;; amdgpu-corpus repo=pytorch/pytorch kind=compiled arch=gfx1030 opt=O3
	.amdgcn_target "amdgcn-amd-amdhsa--gfx1030"
	.amdhsa_code_object_version 6
	.section	.text._ZN2at6native12_GLOBAL__N_129fill_index_and_segment_kernelEP15HIP_vector_typeIiLj2EEiNS_4cuda6detail10IntDividerIjEE,"axG",@progbits,_ZN2at6native12_GLOBAL__N_129fill_index_and_segment_kernelEP15HIP_vector_typeIiLj2EEiNS_4cuda6detail10IntDividerIjEE,comdat
	.globl	_ZN2at6native12_GLOBAL__N_129fill_index_and_segment_kernelEP15HIP_vector_typeIiLj2EEiNS_4cuda6detail10IntDividerIjEE ; -- Begin function _ZN2at6native12_GLOBAL__N_129fill_index_and_segment_kernelEP15HIP_vector_typeIiLj2EEiNS_4cuda6detail10IntDividerIjEE
	.p2align	8
	.type	_ZN2at6native12_GLOBAL__N_129fill_index_and_segment_kernelEP15HIP_vector_typeIiLj2EEiNS_4cuda6detail10IntDividerIjEE,@function
_ZN2at6native12_GLOBAL__N_129fill_index_and_segment_kernelEP15HIP_vector_typeIiLj2EEiNS_4cuda6detail10IntDividerIjEE: ; @_ZN2at6native12_GLOBAL__N_129fill_index_and_segment_kernelEP15HIP_vector_typeIiLj2EEiNS_4cuda6detail10IntDividerIjEE
; %bb.0:
	s_clause 0x1
	s_load_dword s2, s[4:5], 0x24
	s_load_dwordx2 s[0:1], s[4:5], 0x8
	s_add_u32 s8, s4, 24
	s_addc_u32 s9, s5, 0
	s_waitcnt lgkmcnt(0)
	s_and_b32 s12, s2, 0xffff
	s_ashr_i32 s3, s0, 31
	s_mul_i32 s11, s12, s6
	s_mul_hi_u32 s10, s12, s6
	v_add_co_u32 v2, s2, s11, v0
	v_add_co_ci_u32_e64 v3, null, s10, 0, s2
	s_mov_b32 s2, s0
	v_cmp_gt_i64_e32 vcc_lo, s[2:3], v[2:3]
	v_mov_b32_e32 v3, 0
	s_and_saveexec_b32 s0, vcc_lo
	s_cbranch_execz .LBB0_3
; %bb.1:
	s_load_dword s0, s[8:9], 0x0
	s_clause 0x1
	s_load_dwordx2 s[6:7], s[4:5], 0x0
	s_load_dwordx2 s[4:5], s[4:5], 0x10
	v_add_nc_u32_e32 v4, s11, v0
	v_mov_b32_e32 v1, v3
	s_mov_b32 s8, 0
	s_waitcnt lgkmcnt(0)
	s_mul_i32 s9, s0, s12
	s_sub_i32 s12, 0, s1
	s_mov_b32 s13, s9
	s_inst_prefetch 0x1
	.p2align	6
.LBB0_2:                                ; =>This Inner Loop Header: Depth=1
	v_mul_hi_u32 v8, s4, v4
	v_add_nc_u32_e32 v5, s11, v0
	v_add_co_u32 v0, vcc_lo, v0, s9
	v_add_co_ci_u32_e64 v3, null, 0, v3, vcc_lo
	v_ashrrev_i64 v[6:7], 29, v[1:2]
	v_add_nc_u32_e32 v4, s9, v4
	v_add_nc_u32_e32 v9, v5, v8
	v_add_co_u32 v8, vcc_lo, s11, v0
	v_lshrrev_b32_e32 v10, s5, v9
	v_add_co_ci_u32_e64 v9, null, s10, v3, vcc_lo
	v_add_co_u32 v1, vcc_lo, v1, 0
	v_mad_u64_u32 v[11:12], null, s12, v10, v[5:6]
	v_cmp_le_i64_e64 s1, s[2:3], v[8:9]
	v_add_co_u32 v5, s0, s6, v6
	v_add_co_ci_u32_e64 v6, null, s7, v7, s0
	v_add_co_ci_u32_e64 v2, null, s13, v2, vcc_lo
	s_or_b32 s8, s1, s8
	global_store_dwordx2 v[5:6], v[10:11], off
	s_andn2_b32 exec_lo, exec_lo, s8
	s_cbranch_execnz .LBB0_2
.LBB0_3:
	s_inst_prefetch 0x2
	s_endpgm
	.section	.rodata,"a",@progbits
	.p2align	6, 0x0
	.amdhsa_kernel _ZN2at6native12_GLOBAL__N_129fill_index_and_segment_kernelEP15HIP_vector_typeIiLj2EEiNS_4cuda6detail10IntDividerIjEE
		.amdhsa_group_segment_fixed_size 0
		.amdhsa_private_segment_fixed_size 0
		.amdhsa_kernarg_size 280
		.amdhsa_user_sgpr_count 6
		.amdhsa_user_sgpr_private_segment_buffer 1
		.amdhsa_user_sgpr_dispatch_ptr 0
		.amdhsa_user_sgpr_queue_ptr 0
		.amdhsa_user_sgpr_kernarg_segment_ptr 1
		.amdhsa_user_sgpr_dispatch_id 0
		.amdhsa_user_sgpr_flat_scratch_init 0
		.amdhsa_user_sgpr_private_segment_size 0
		.amdhsa_wavefront_size32 1
		.amdhsa_uses_dynamic_stack 0
		.amdhsa_system_sgpr_private_segment_wavefront_offset 0
		.amdhsa_system_sgpr_workgroup_id_x 1
		.amdhsa_system_sgpr_workgroup_id_y 0
		.amdhsa_system_sgpr_workgroup_id_z 0
		.amdhsa_system_sgpr_workgroup_info 0
		.amdhsa_system_vgpr_workitem_id 0
		.amdhsa_next_free_vgpr 13
		.amdhsa_next_free_sgpr 14
		.amdhsa_reserve_vcc 1
		.amdhsa_reserve_flat_scratch 0
		.amdhsa_float_round_mode_32 0
		.amdhsa_float_round_mode_16_64 0
		.amdhsa_float_denorm_mode_32 3
		.amdhsa_float_denorm_mode_16_64 3
		.amdhsa_dx10_clamp 1
		.amdhsa_ieee_mode 1
		.amdhsa_fp16_overflow 0
		.amdhsa_workgroup_processor_mode 1
		.amdhsa_memory_ordered 1
		.amdhsa_forward_progress 1
		.amdhsa_shared_vgpr_count 0
		.amdhsa_exception_fp_ieee_invalid_op 0
		.amdhsa_exception_fp_denorm_src 0
		.amdhsa_exception_fp_ieee_div_zero 0
		.amdhsa_exception_fp_ieee_overflow 0
		.amdhsa_exception_fp_ieee_underflow 0
		.amdhsa_exception_fp_ieee_inexact 0
		.amdhsa_exception_int_div_zero 0
	.end_amdhsa_kernel
	.section	.text._ZN2at6native12_GLOBAL__N_129fill_index_and_segment_kernelEP15HIP_vector_typeIiLj2EEiNS_4cuda6detail10IntDividerIjEE,"axG",@progbits,_ZN2at6native12_GLOBAL__N_129fill_index_and_segment_kernelEP15HIP_vector_typeIiLj2EEiNS_4cuda6detail10IntDividerIjEE,comdat
.Lfunc_end0:
	.size	_ZN2at6native12_GLOBAL__N_129fill_index_and_segment_kernelEP15HIP_vector_typeIiLj2EEiNS_4cuda6detail10IntDividerIjEE, .Lfunc_end0-_ZN2at6native12_GLOBAL__N_129fill_index_and_segment_kernelEP15HIP_vector_typeIiLj2EEiNS_4cuda6detail10IntDividerIjEE
                                        ; -- End function
	.set _ZN2at6native12_GLOBAL__N_129fill_index_and_segment_kernelEP15HIP_vector_typeIiLj2EEiNS_4cuda6detail10IntDividerIjEE.num_vgpr, 13
	.set _ZN2at6native12_GLOBAL__N_129fill_index_and_segment_kernelEP15HIP_vector_typeIiLj2EEiNS_4cuda6detail10IntDividerIjEE.num_agpr, 0
	.set _ZN2at6native12_GLOBAL__N_129fill_index_and_segment_kernelEP15HIP_vector_typeIiLj2EEiNS_4cuda6detail10IntDividerIjEE.numbered_sgpr, 14
	.set _ZN2at6native12_GLOBAL__N_129fill_index_and_segment_kernelEP15HIP_vector_typeIiLj2EEiNS_4cuda6detail10IntDividerIjEE.num_named_barrier, 0
	.set _ZN2at6native12_GLOBAL__N_129fill_index_and_segment_kernelEP15HIP_vector_typeIiLj2EEiNS_4cuda6detail10IntDividerIjEE.private_seg_size, 0
	.set _ZN2at6native12_GLOBAL__N_129fill_index_and_segment_kernelEP15HIP_vector_typeIiLj2EEiNS_4cuda6detail10IntDividerIjEE.uses_vcc, 1
	.set _ZN2at6native12_GLOBAL__N_129fill_index_and_segment_kernelEP15HIP_vector_typeIiLj2EEiNS_4cuda6detail10IntDividerIjEE.uses_flat_scratch, 0
	.set _ZN2at6native12_GLOBAL__N_129fill_index_and_segment_kernelEP15HIP_vector_typeIiLj2EEiNS_4cuda6detail10IntDividerIjEE.has_dyn_sized_stack, 0
	.set _ZN2at6native12_GLOBAL__N_129fill_index_and_segment_kernelEP15HIP_vector_typeIiLj2EEiNS_4cuda6detail10IntDividerIjEE.has_recursion, 0
	.set _ZN2at6native12_GLOBAL__N_129fill_index_and_segment_kernelEP15HIP_vector_typeIiLj2EEiNS_4cuda6detail10IntDividerIjEE.has_indirect_call, 0
	.section	.AMDGPU.csdata,"",@progbits
; Kernel info:
; codeLenInByte = 332
; TotalNumSgprs: 16
; NumVgprs: 13
; ScratchSize: 0
; MemoryBound: 0
; FloatMode: 240
; IeeeMode: 1
; LDSByteSize: 0 bytes/workgroup (compile time only)
; SGPRBlocks: 0
; VGPRBlocks: 1
; NumSGPRsForWavesPerEU: 16
; NumVGPRsForWavesPerEU: 13
; Occupancy: 16
; WaveLimiterHint : 0
; COMPUTE_PGM_RSRC2:SCRATCH_EN: 0
; COMPUTE_PGM_RSRC2:USER_SGPR: 6
; COMPUTE_PGM_RSRC2:TRAP_HANDLER: 0
; COMPUTE_PGM_RSRC2:TGID_X_EN: 1
; COMPUTE_PGM_RSRC2:TGID_Y_EN: 0
; COMPUTE_PGM_RSRC2:TGID_Z_EN: 0
; COMPUTE_PGM_RSRC2:TIDIG_COMP_CNT: 0
	.section	.text._ZN2at6native12_GLOBAL__N_127fill_reverse_indices_kernelEPliNS_4cuda6detail10IntDividerIjEE,"axG",@progbits,_ZN2at6native12_GLOBAL__N_127fill_reverse_indices_kernelEPliNS_4cuda6detail10IntDividerIjEE,comdat
	.globl	_ZN2at6native12_GLOBAL__N_127fill_reverse_indices_kernelEPliNS_4cuda6detail10IntDividerIjEE ; -- Begin function _ZN2at6native12_GLOBAL__N_127fill_reverse_indices_kernelEPliNS_4cuda6detail10IntDividerIjEE
	.p2align	8
	.type	_ZN2at6native12_GLOBAL__N_127fill_reverse_indices_kernelEPliNS_4cuda6detail10IntDividerIjEE,@function
_ZN2at6native12_GLOBAL__N_127fill_reverse_indices_kernelEPliNS_4cuda6detail10IntDividerIjEE: ; @_ZN2at6native12_GLOBAL__N_127fill_reverse_indices_kernelEPliNS_4cuda6detail10IntDividerIjEE
; %bb.0:
	s_clause 0x1
	s_load_dword s2, s[4:5], 0x24
	s_load_dwordx2 s[0:1], s[4:5], 0x8
	s_add_u32 s8, s4, 24
	s_addc_u32 s9, s5, 0
	v_mov_b32_e32 v1, 0
	s_waitcnt lgkmcnt(0)
	s_and_b32 s12, s2, 0xffff
	s_ashr_i32 s3, s0, 31
	s_mul_i32 s11, s12, s6
	s_mul_hi_u32 s10, s12, s6
	v_add_co_u32 v3, s2, s11, v0
	v_add_co_ci_u32_e64 v4, null, s10, 0, s2
	s_mov_b32 s2, s0
	s_mov_b32 s0, exec_lo
	v_cmpx_gt_i64_e64 s[2:3], v[3:4]
	s_cbranch_execz .LBB1_3
; %bb.1:
	s_load_dword s0, s[8:9], 0x0
	s_clause 0x1
	s_load_dwordx2 s[6:7], s[4:5], 0x0
	s_load_dwordx2 s[4:5], s[4:5], 0x10
	v_mov_b32_e32 v5, v1
	v_add_nc_u32_e32 v6, s11, v0
	v_mov_b32_e32 v2, v1
	v_mov_b32_e32 v4, v0
	s_mov_b32 s8, 0
	s_waitcnt lgkmcnt(0)
	s_mul_i32 s9, s0, s12
	s_sub_i32 s12, 0, s1
	s_mov_b32 s13, s9
	s_inst_prefetch 0x1
	.p2align	6
.LBB1_2:                                ; =>This Inner Loop Header: Depth=1
	v_mul_hi_u32 v10, s4, v6
	v_add_nc_u32_e32 v0, s11, v4
	v_add_co_u32 v4, vcc_lo, v4, s9
	v_add_co_ci_u32_e64 v5, null, 0, v5, vcc_lo
	v_ashrrev_i64 v[7:8], 29, v[2:3]
	v_add_co_u32 v9, s0, s11, v4
	v_add_nc_u32_e32 v11, v0, v10
	v_add_co_ci_u32_e64 v10, null, s10, v5, s0
	v_add_co_u32 v2, vcc_lo, v2, 0
	v_lshrrev_b32_e32 v11, s5, v11
	v_cmp_le_i64_e64 s1, s[2:3], v[9:10]
	v_add_co_u32 v7, s0, s6, v7
	v_add_nc_u32_e32 v6, s9, v6
	v_mad_u64_u32 v[9:10], null, s12, v11, v[0:1]
	v_add_co_ci_u32_e64 v8, null, s7, v8, s0
	v_mov_b32_e32 v10, v1
	v_add_co_ci_u32_e64 v3, null, s13, v3, vcc_lo
	s_or_b32 s8, s1, s8
	global_store_dwordx2 v[7:8], v[9:10], off
	s_andn2_b32 exec_lo, exec_lo, s8
	s_cbranch_execnz .LBB1_2
.LBB1_3:
	s_inst_prefetch 0x2
	s_endpgm
	.section	.rodata,"a",@progbits
	.p2align	6, 0x0
	.amdhsa_kernel _ZN2at6native12_GLOBAL__N_127fill_reverse_indices_kernelEPliNS_4cuda6detail10IntDividerIjEE
		.amdhsa_group_segment_fixed_size 0
		.amdhsa_private_segment_fixed_size 0
		.amdhsa_kernarg_size 280
		.amdhsa_user_sgpr_count 6
		.amdhsa_user_sgpr_private_segment_buffer 1
		.amdhsa_user_sgpr_dispatch_ptr 0
		.amdhsa_user_sgpr_queue_ptr 0
		.amdhsa_user_sgpr_kernarg_segment_ptr 1
		.amdhsa_user_sgpr_dispatch_id 0
		.amdhsa_user_sgpr_flat_scratch_init 0
		.amdhsa_user_sgpr_private_segment_size 0
		.amdhsa_wavefront_size32 1
		.amdhsa_uses_dynamic_stack 0
		.amdhsa_system_sgpr_private_segment_wavefront_offset 0
		.amdhsa_system_sgpr_workgroup_id_x 1
		.amdhsa_system_sgpr_workgroup_id_y 0
		.amdhsa_system_sgpr_workgroup_id_z 0
		.amdhsa_system_sgpr_workgroup_info 0
		.amdhsa_system_vgpr_workitem_id 0
		.amdhsa_next_free_vgpr 12
		.amdhsa_next_free_sgpr 14
		.amdhsa_reserve_vcc 1
		.amdhsa_reserve_flat_scratch 0
		.amdhsa_float_round_mode_32 0
		.amdhsa_float_round_mode_16_64 0
		.amdhsa_float_denorm_mode_32 3
		.amdhsa_float_denorm_mode_16_64 3
		.amdhsa_dx10_clamp 1
		.amdhsa_ieee_mode 1
		.amdhsa_fp16_overflow 0
		.amdhsa_workgroup_processor_mode 1
		.amdhsa_memory_ordered 1
		.amdhsa_forward_progress 1
		.amdhsa_shared_vgpr_count 0
		.amdhsa_exception_fp_ieee_invalid_op 0
		.amdhsa_exception_fp_denorm_src 0
		.amdhsa_exception_fp_ieee_div_zero 0
		.amdhsa_exception_fp_ieee_overflow 0
		.amdhsa_exception_fp_ieee_underflow 0
		.amdhsa_exception_fp_ieee_inexact 0
		.amdhsa_exception_int_div_zero 0
	.end_amdhsa_kernel
	.section	.text._ZN2at6native12_GLOBAL__N_127fill_reverse_indices_kernelEPliNS_4cuda6detail10IntDividerIjEE,"axG",@progbits,_ZN2at6native12_GLOBAL__N_127fill_reverse_indices_kernelEPliNS_4cuda6detail10IntDividerIjEE,comdat
.Lfunc_end1:
	.size	_ZN2at6native12_GLOBAL__N_127fill_reverse_indices_kernelEPliNS_4cuda6detail10IntDividerIjEE, .Lfunc_end1-_ZN2at6native12_GLOBAL__N_127fill_reverse_indices_kernelEPliNS_4cuda6detail10IntDividerIjEE
                                        ; -- End function
	.set _ZN2at6native12_GLOBAL__N_127fill_reverse_indices_kernelEPliNS_4cuda6detail10IntDividerIjEE.num_vgpr, 12
	.set _ZN2at6native12_GLOBAL__N_127fill_reverse_indices_kernelEPliNS_4cuda6detail10IntDividerIjEE.num_agpr, 0
	.set _ZN2at6native12_GLOBAL__N_127fill_reverse_indices_kernelEPliNS_4cuda6detail10IntDividerIjEE.numbered_sgpr, 14
	.set _ZN2at6native12_GLOBAL__N_127fill_reverse_indices_kernelEPliNS_4cuda6detail10IntDividerIjEE.num_named_barrier, 0
	.set _ZN2at6native12_GLOBAL__N_127fill_reverse_indices_kernelEPliNS_4cuda6detail10IntDividerIjEE.private_seg_size, 0
	.set _ZN2at6native12_GLOBAL__N_127fill_reverse_indices_kernelEPliNS_4cuda6detail10IntDividerIjEE.uses_vcc, 1
	.set _ZN2at6native12_GLOBAL__N_127fill_reverse_indices_kernelEPliNS_4cuda6detail10IntDividerIjEE.uses_flat_scratch, 0
	.set _ZN2at6native12_GLOBAL__N_127fill_reverse_indices_kernelEPliNS_4cuda6detail10IntDividerIjEE.has_dyn_sized_stack, 0
	.set _ZN2at6native12_GLOBAL__N_127fill_reverse_indices_kernelEPliNS_4cuda6detail10IntDividerIjEE.has_recursion, 0
	.set _ZN2at6native12_GLOBAL__N_127fill_reverse_indices_kernelEPliNS_4cuda6detail10IntDividerIjEE.has_indirect_call, 0
	.section	.AMDGPU.csdata,"",@progbits
; Kernel info:
; codeLenInByte = 336
; TotalNumSgprs: 16
; NumVgprs: 12
; ScratchSize: 0
; MemoryBound: 0
; FloatMode: 240
; IeeeMode: 1
; LDSByteSize: 0 bytes/workgroup (compile time only)
; SGPRBlocks: 0
; VGPRBlocks: 1
; NumSGPRsForWavesPerEU: 16
; NumVGPRsForWavesPerEU: 12
; Occupancy: 16
; WaveLimiterHint : 0
; COMPUTE_PGM_RSRC2:SCRATCH_EN: 0
; COMPUTE_PGM_RSRC2:USER_SGPR: 6
; COMPUTE_PGM_RSRC2:TRAP_HANDLER: 0
; COMPUTE_PGM_RSRC2:TGID_X_EN: 1
; COMPUTE_PGM_RSRC2:TGID_Y_EN: 0
; COMPUTE_PGM_RSRC2:TGID_Z_EN: 0
; COMPUTE_PGM_RSRC2:TIDIG_COMP_CNT: 0
	.section	.text._ZN2at6native12_GLOBAL__N_123sort_postprocess_kernelIhEEvPKT_PS3_PlPK15HIP_vector_typeIiLj2EEii,"axG",@progbits,_ZN2at6native12_GLOBAL__N_123sort_postprocess_kernelIhEEvPKT_PS3_PlPK15HIP_vector_typeIiLj2EEii,comdat
	.globl	_ZN2at6native12_GLOBAL__N_123sort_postprocess_kernelIhEEvPKT_PS3_PlPK15HIP_vector_typeIiLj2EEii ; -- Begin function _ZN2at6native12_GLOBAL__N_123sort_postprocess_kernelIhEEvPKT_PS3_PlPK15HIP_vector_typeIiLj2EEii
	.p2align	8
	.type	_ZN2at6native12_GLOBAL__N_123sort_postprocess_kernelIhEEvPKT_PS3_PlPK15HIP_vector_typeIiLj2EEii,@function
_ZN2at6native12_GLOBAL__N_123sort_postprocess_kernelIhEEvPKT_PS3_PlPK15HIP_vector_typeIiLj2EEii: ; @_ZN2at6native12_GLOBAL__N_123sort_postprocess_kernelIhEEvPKT_PS3_PlPK15HIP_vector_typeIiLj2EEii
; %bb.0:
	s_clause 0x1
	s_load_dword s2, s[4:5], 0x34
	s_load_dwordx2 s[8:9], s[4:5], 0x20
	s_add_u32 s0, s4, 40
	s_addc_u32 s1, s5, 0
	s_waitcnt lgkmcnt(0)
	s_and_b32 s15, s2, 0xffff
	s_mul_i32 s13, s15, s6
	s_mul_hi_u32 s12, s15, s6
	v_add_co_u32 v1, s2, s13, v0
	v_add_co_ci_u32_e64 v2, null, s12, 0, s2
	s_mul_i32 s2, s9, s8
	s_ashr_i32 s3, s2, 31
	v_cmp_gt_i64_e32 vcc_lo, s[2:3], v[1:2]
	v_mov_b32_e32 v1, 0
	s_and_saveexec_b32 s6, vcc_lo
	s_cbranch_execz .LBB2_3
; %bb.1:
	s_abs_i32 s14, s9
	s_load_dword s0, s[0:1], 0x0
	v_cvt_f32_u32_e32 v2, s14
	s_sub_i32 s1, 0, s14
	s_load_dwordx8 s[4:11], s[4:5], 0x0
	v_rcp_iflag_f32_e32 v2, v2
	v_mul_f32_e32 v2, 0x4f7ffffe, v2
	v_cvt_u32_f32_e32 v2, v2
	v_mul_lo_u32 v3, s1, v2
	s_waitcnt lgkmcnt(0)
	s_mul_i32 s1, s0, s15
	s_mov_b32 s15, 0
	v_mul_hi_u32 v3, v2, v3
	v_add_nc_u32_e32 v2, v2, v3
.LBB2_2:                                ; =>This Inner Loop Header: Depth=1
	v_add_nc_u32_e32 v3, s13, v0
	v_sub_nc_u32_e32 v4, 0, v3
	v_max_i32_e32 v4, v3, v4
	v_mul_hi_u32 v5, v4, v2
	v_mul_lo_u32 v5, v5, s14
	v_sub_nc_u32_e32 v4, v4, v5
	v_subrev_nc_u32_e32 v5, s14, v4
	v_cmp_le_u32_e32 vcc_lo, s14, v4
	v_cndmask_b32_e32 v4, v4, v5, vcc_lo
	v_ashrrev_i32_e32 v5, 31, v3
	v_subrev_nc_u32_e32 v6, s14, v4
	v_cmp_le_u32_e32 vcc_lo, s14, v4
	v_add_nc_u32_e32 v3, v3, v5
	v_cndmask_b32_e32 v4, v4, v6, vcc_lo
	v_xor_b32_e32 v4, v4, v5
	v_sub_nc_u32_e32 v3, v3, v4
	v_sub_nc_u32_e32 v5, v4, v5
	v_ashrrev_i32_e32 v4, 31, v3
	v_ashrrev_i32_e32 v6, 31, v5
	v_lshlrev_b64 v[7:8], 3, v[3:4]
	v_lshlrev_b64 v[9:10], 3, v[5:6]
	v_add_co_u32 v11, vcc_lo, s10, v7
	v_add_co_ci_u32_e64 v12, null, s11, v8, vcc_lo
	v_add_co_u32 v11, vcc_lo, v11, v9
	v_add_co_ci_u32_e64 v12, null, v12, v10, vcc_lo
	;; [unrolled: 2-line block ×3, first 2 shown]
	global_load_dword v11, v[11:12], off offset:4
	v_add_co_u32 v7, vcc_lo, s8, v7
	v_add_co_ci_u32_e64 v8, null, s9, v8, vcc_lo
	v_add_co_u32 v7, vcc_lo, v7, v9
	v_add_co_ci_u32_e64 v8, null, v8, v10, vcc_lo
	s_waitcnt vmcnt(0)
	v_ashrrev_i32_e32 v12, 31, v11
	v_add_co_u32 v9, vcc_lo, v13, v11
	v_add_co_ci_u32_e64 v10, null, v14, v12, vcc_lo
	global_store_dwordx2 v[7:8], v[11:12], off
	v_add_co_u32 v0, vcc_lo, v0, s1
	global_load_ubyte v9, v[9:10], off
	v_add_co_ci_u32_e64 v1, null, 0, v1, vcc_lo
	v_add_co_u32 v7, vcc_lo, s13, v0
	v_add_co_ci_u32_e64 v8, null, s12, v1, vcc_lo
	v_add_co_u32 v3, vcc_lo, s6, v3
	v_add_co_ci_u32_e64 v4, null, s7, v4, vcc_lo
	v_cmp_le_i64_e32 vcc_lo, s[2:3], v[7:8]
	v_add_co_u32 v3, s0, v3, v5
	v_add_co_ci_u32_e64 v4, null, v4, v6, s0
	s_or_b32 s15, vcc_lo, s15
	s_waitcnt vmcnt(0)
	global_store_byte v[3:4], v9, off
	s_andn2_b32 exec_lo, exec_lo, s15
	s_cbranch_execnz .LBB2_2
.LBB2_3:
	s_endpgm
	.section	.rodata,"a",@progbits
	.p2align	6, 0x0
	.amdhsa_kernel _ZN2at6native12_GLOBAL__N_123sort_postprocess_kernelIhEEvPKT_PS3_PlPK15HIP_vector_typeIiLj2EEii
		.amdhsa_group_segment_fixed_size 0
		.amdhsa_private_segment_fixed_size 0
		.amdhsa_kernarg_size 296
		.amdhsa_user_sgpr_count 6
		.amdhsa_user_sgpr_private_segment_buffer 1
		.amdhsa_user_sgpr_dispatch_ptr 0
		.amdhsa_user_sgpr_queue_ptr 0
		.amdhsa_user_sgpr_kernarg_segment_ptr 1
		.amdhsa_user_sgpr_dispatch_id 0
		.amdhsa_user_sgpr_flat_scratch_init 0
		.amdhsa_user_sgpr_private_segment_size 0
		.amdhsa_wavefront_size32 1
		.amdhsa_uses_dynamic_stack 0
		.amdhsa_system_sgpr_private_segment_wavefront_offset 0
		.amdhsa_system_sgpr_workgroup_id_x 1
		.amdhsa_system_sgpr_workgroup_id_y 0
		.amdhsa_system_sgpr_workgroup_id_z 0
		.amdhsa_system_sgpr_workgroup_info 0
		.amdhsa_system_vgpr_workitem_id 0
		.amdhsa_next_free_vgpr 15
		.amdhsa_next_free_sgpr 16
		.amdhsa_reserve_vcc 1
		.amdhsa_reserve_flat_scratch 0
		.amdhsa_float_round_mode_32 0
		.amdhsa_float_round_mode_16_64 0
		.amdhsa_float_denorm_mode_32 3
		.amdhsa_float_denorm_mode_16_64 3
		.amdhsa_dx10_clamp 1
		.amdhsa_ieee_mode 1
		.amdhsa_fp16_overflow 0
		.amdhsa_workgroup_processor_mode 1
		.amdhsa_memory_ordered 1
		.amdhsa_forward_progress 1
		.amdhsa_shared_vgpr_count 0
		.amdhsa_exception_fp_ieee_invalid_op 0
		.amdhsa_exception_fp_denorm_src 0
		.amdhsa_exception_fp_ieee_div_zero 0
		.amdhsa_exception_fp_ieee_overflow 0
		.amdhsa_exception_fp_ieee_underflow 0
		.amdhsa_exception_fp_ieee_inexact 0
		.amdhsa_exception_int_div_zero 0
	.end_amdhsa_kernel
	.section	.text._ZN2at6native12_GLOBAL__N_123sort_postprocess_kernelIhEEvPKT_PS3_PlPK15HIP_vector_typeIiLj2EEii,"axG",@progbits,_ZN2at6native12_GLOBAL__N_123sort_postprocess_kernelIhEEvPKT_PS3_PlPK15HIP_vector_typeIiLj2EEii,comdat
.Lfunc_end2:
	.size	_ZN2at6native12_GLOBAL__N_123sort_postprocess_kernelIhEEvPKT_PS3_PlPK15HIP_vector_typeIiLj2EEii, .Lfunc_end2-_ZN2at6native12_GLOBAL__N_123sort_postprocess_kernelIhEEvPKT_PS3_PlPK15HIP_vector_typeIiLj2EEii
                                        ; -- End function
	.set _ZN2at6native12_GLOBAL__N_123sort_postprocess_kernelIhEEvPKT_PS3_PlPK15HIP_vector_typeIiLj2EEii.num_vgpr, 15
	.set _ZN2at6native12_GLOBAL__N_123sort_postprocess_kernelIhEEvPKT_PS3_PlPK15HIP_vector_typeIiLj2EEii.num_agpr, 0
	.set _ZN2at6native12_GLOBAL__N_123sort_postprocess_kernelIhEEvPKT_PS3_PlPK15HIP_vector_typeIiLj2EEii.numbered_sgpr, 16
	.set _ZN2at6native12_GLOBAL__N_123sort_postprocess_kernelIhEEvPKT_PS3_PlPK15HIP_vector_typeIiLj2EEii.num_named_barrier, 0
	.set _ZN2at6native12_GLOBAL__N_123sort_postprocess_kernelIhEEvPKT_PS3_PlPK15HIP_vector_typeIiLj2EEii.private_seg_size, 0
	.set _ZN2at6native12_GLOBAL__N_123sort_postprocess_kernelIhEEvPKT_PS3_PlPK15HIP_vector_typeIiLj2EEii.uses_vcc, 1
	.set _ZN2at6native12_GLOBAL__N_123sort_postprocess_kernelIhEEvPKT_PS3_PlPK15HIP_vector_typeIiLj2EEii.uses_flat_scratch, 0
	.set _ZN2at6native12_GLOBAL__N_123sort_postprocess_kernelIhEEvPKT_PS3_PlPK15HIP_vector_typeIiLj2EEii.has_dyn_sized_stack, 0
	.set _ZN2at6native12_GLOBAL__N_123sort_postprocess_kernelIhEEvPKT_PS3_PlPK15HIP_vector_typeIiLj2EEii.has_recursion, 0
	.set _ZN2at6native12_GLOBAL__N_123sort_postprocess_kernelIhEEvPKT_PS3_PlPK15HIP_vector_typeIiLj2EEii.has_indirect_call, 0
	.section	.AMDGPU.csdata,"",@progbits
; Kernel info:
; codeLenInByte = 488
; TotalNumSgprs: 18
; NumVgprs: 15
; ScratchSize: 0
; MemoryBound: 0
; FloatMode: 240
; IeeeMode: 1
; LDSByteSize: 0 bytes/workgroup (compile time only)
; SGPRBlocks: 0
; VGPRBlocks: 1
; NumSGPRsForWavesPerEU: 18
; NumVGPRsForWavesPerEU: 15
; Occupancy: 16
; WaveLimiterHint : 1
; COMPUTE_PGM_RSRC2:SCRATCH_EN: 0
; COMPUTE_PGM_RSRC2:USER_SGPR: 6
; COMPUTE_PGM_RSRC2:TRAP_HANDLER: 0
; COMPUTE_PGM_RSRC2:TGID_X_EN: 1
; COMPUTE_PGM_RSRC2:TGID_Y_EN: 0
; COMPUTE_PGM_RSRC2:TGID_Z_EN: 0
; COMPUTE_PGM_RSRC2:TIDIG_COMP_CNT: 0
	.section	.text._ZN7rocprim17ROCPRIM_400000_NS6detail31init_lookback_scan_state_kernelINS1_19lookback_scan_stateI15HIP_vector_typeIjLj2EELb0ELb1EEENS1_16block_id_wrapperIjLb0EEEEEvT_jT0_jPNS9_10value_typeE,"axG",@progbits,_ZN7rocprim17ROCPRIM_400000_NS6detail31init_lookback_scan_state_kernelINS1_19lookback_scan_stateI15HIP_vector_typeIjLj2EELb0ELb1EEENS1_16block_id_wrapperIjLb0EEEEEvT_jT0_jPNS9_10value_typeE,comdat
	.protected	_ZN7rocprim17ROCPRIM_400000_NS6detail31init_lookback_scan_state_kernelINS1_19lookback_scan_stateI15HIP_vector_typeIjLj2EELb0ELb1EEENS1_16block_id_wrapperIjLb0EEEEEvT_jT0_jPNS9_10value_typeE ; -- Begin function _ZN7rocprim17ROCPRIM_400000_NS6detail31init_lookback_scan_state_kernelINS1_19lookback_scan_stateI15HIP_vector_typeIjLj2EELb0ELb1EEENS1_16block_id_wrapperIjLb0EEEEEvT_jT0_jPNS9_10value_typeE
	.globl	_ZN7rocprim17ROCPRIM_400000_NS6detail31init_lookback_scan_state_kernelINS1_19lookback_scan_stateI15HIP_vector_typeIjLj2EELb0ELb1EEENS1_16block_id_wrapperIjLb0EEEEEvT_jT0_jPNS9_10value_typeE
	.p2align	8
	.type	_ZN7rocprim17ROCPRIM_400000_NS6detail31init_lookback_scan_state_kernelINS1_19lookback_scan_stateI15HIP_vector_typeIjLj2EELb0ELb1EEENS1_16block_id_wrapperIjLb0EEEEEvT_jT0_jPNS9_10value_typeE,@function
_ZN7rocprim17ROCPRIM_400000_NS6detail31init_lookback_scan_state_kernelINS1_19lookback_scan_stateI15HIP_vector_typeIjLj2EELb0ELb1EEENS1_16block_id_wrapperIjLb0EEEEEvT_jT0_jPNS9_10value_typeE: ; @_ZN7rocprim17ROCPRIM_400000_NS6detail31init_lookback_scan_state_kernelINS1_19lookback_scan_stateI15HIP_vector_typeIjLj2EELb0ELb1EEENS1_16block_id_wrapperIjLb0EEEEEvT_jT0_jPNS9_10value_typeE
; %bb.0:
	s_clause 0x3
	s_load_dword s8, s[4:5], 0x2c
	s_load_dwordx2 s[2:3], s[4:5], 0x18
	s_load_dwordx2 s[0:1], s[4:5], 0x0
	s_load_dword s7, s[4:5], 0x8
	s_waitcnt lgkmcnt(0)
	s_and_b32 s8, s8, 0xffff
	s_cmp_eq_u64 s[2:3], 0
	v_mad_u64_u32 v[0:1], null, s6, s8, v[0:1]
	s_cbranch_scc1 .LBB3_8
; %bb.1:
	s_load_dword s4, s[4:5], 0x10
	s_waitcnt lgkmcnt(0)
	s_cmp_lt_u32 s4, s7
	s_cselect_b32 s5, s4, 0
	v_cmp_eq_u32_e32 vcc_lo, s5, v0
	s_mov_b32 s5, 0
	s_and_saveexec_b32 s6, vcc_lo
	s_cbranch_execz .LBB3_7
; %bb.2:
	s_add_i32 s4, s4, 32
	v_mov_b32_e32 v5, 0
	s_lshl_b64 s[4:5], s[4:5], 4
	s_mov_b32 s8, exec_lo
	s_add_u32 s4, s0, s4
	s_addc_u32 s5, s1, s5
	v_mov_b32_e32 v1, s4
	v_mov_b32_e32 v2, s5
	;;#ASMSTART
	global_load_dwordx4 v[1:4], v[1:2] off glc dlc	
s_waitcnt vmcnt(0)
	;;#ASMEND
	v_and_b32_e32 v4, 0xff, v3
	v_cmpx_eq_u64_e32 0, v[4:5]
	s_cbranch_execz .LBB3_6
; %bb.3:
	v_mov_b32_e32 v7, s5
	v_mov_b32_e32 v6, s4
	s_mov_b32 s4, 0
.LBB3_4:                                ; =>This Inner Loop Header: Depth=1
	;;#ASMSTART
	global_load_dwordx4 v[1:4], v[6:7] off glc dlc	
s_waitcnt vmcnt(0)
	;;#ASMEND
	v_and_b32_e32 v4, 0xff, v3
	v_cmp_ne_u64_e32 vcc_lo, 0, v[4:5]
	s_or_b32 s4, vcc_lo, s4
	s_andn2_b32 exec_lo, exec_lo, s4
	s_cbranch_execnz .LBB3_4
; %bb.5:
	s_or_b32 exec_lo, exec_lo, s4
.LBB3_6:
	s_or_b32 exec_lo, exec_lo, s8
	v_mov_b32_e32 v3, 0
	global_store_dwordx2 v3, v[1:2], s[2:3]
.LBB3_7:
	s_or_b32 exec_lo, exec_lo, s6
.LBB3_8:
	s_mov_b32 s2, exec_lo
	v_cmpx_gt_u32_e64 s7, v0
	s_cbranch_execz .LBB3_10
; %bb.9:
	v_add_nc_u32_e32 v1, 32, v0
	v_mov_b32_e32 v2, 0
	v_lshlrev_b64 v[4:5], 4, v[1:2]
	v_mov_b32_e32 v1, v2
	v_mov_b32_e32 v3, v2
	v_add_co_u32 v6, vcc_lo, s0, v4
	v_add_co_ci_u32_e64 v7, null, s1, v5, vcc_lo
	v_mov_b32_e32 v4, v2
	global_store_dwordx4 v[6:7], v[1:4], off
.LBB3_10:
	s_or_b32 exec_lo, exec_lo, s2
	s_mov_b32 s2, exec_lo
	v_cmpx_gt_u32_e32 32, v0
	s_cbranch_execz .LBB3_12
; %bb.11:
	v_mov_b32_e32 v1, 0
	v_mov_b32_e32 v2, 0xff
	v_lshlrev_b64 v[3:4], 4, v[0:1]
	v_mov_b32_e32 v0, v1
	v_add_co_u32 v5, vcc_lo, s0, v3
	v_add_co_ci_u32_e64 v6, null, s1, v4, vcc_lo
	v_mov_b32_e32 v3, v1
	global_store_dwordx4 v[5:6], v[0:3], off
.LBB3_12:
	s_endpgm
	.section	.rodata,"a",@progbits
	.p2align	6, 0x0
	.amdhsa_kernel _ZN7rocprim17ROCPRIM_400000_NS6detail31init_lookback_scan_state_kernelINS1_19lookback_scan_stateI15HIP_vector_typeIjLj2EELb0ELb1EEENS1_16block_id_wrapperIjLb0EEEEEvT_jT0_jPNS9_10value_typeE
		.amdhsa_group_segment_fixed_size 0
		.amdhsa_private_segment_fixed_size 0
		.amdhsa_kernarg_size 288
		.amdhsa_user_sgpr_count 6
		.amdhsa_user_sgpr_private_segment_buffer 1
		.amdhsa_user_sgpr_dispatch_ptr 0
		.amdhsa_user_sgpr_queue_ptr 0
		.amdhsa_user_sgpr_kernarg_segment_ptr 1
		.amdhsa_user_sgpr_dispatch_id 0
		.amdhsa_user_sgpr_flat_scratch_init 0
		.amdhsa_user_sgpr_private_segment_size 0
		.amdhsa_wavefront_size32 1
		.amdhsa_uses_dynamic_stack 0
		.amdhsa_system_sgpr_private_segment_wavefront_offset 0
		.amdhsa_system_sgpr_workgroup_id_x 1
		.amdhsa_system_sgpr_workgroup_id_y 0
		.amdhsa_system_sgpr_workgroup_id_z 0
		.amdhsa_system_sgpr_workgroup_info 0
		.amdhsa_system_vgpr_workitem_id 0
		.amdhsa_next_free_vgpr 8
		.amdhsa_next_free_sgpr 9
		.amdhsa_reserve_vcc 1
		.amdhsa_reserve_flat_scratch 0
		.amdhsa_float_round_mode_32 0
		.amdhsa_float_round_mode_16_64 0
		.amdhsa_float_denorm_mode_32 3
		.amdhsa_float_denorm_mode_16_64 3
		.amdhsa_dx10_clamp 1
		.amdhsa_ieee_mode 1
		.amdhsa_fp16_overflow 0
		.amdhsa_workgroup_processor_mode 1
		.amdhsa_memory_ordered 1
		.amdhsa_forward_progress 1
		.amdhsa_shared_vgpr_count 0
		.amdhsa_exception_fp_ieee_invalid_op 0
		.amdhsa_exception_fp_denorm_src 0
		.amdhsa_exception_fp_ieee_div_zero 0
		.amdhsa_exception_fp_ieee_overflow 0
		.amdhsa_exception_fp_ieee_underflow 0
		.amdhsa_exception_fp_ieee_inexact 0
		.amdhsa_exception_int_div_zero 0
	.end_amdhsa_kernel
	.section	.text._ZN7rocprim17ROCPRIM_400000_NS6detail31init_lookback_scan_state_kernelINS1_19lookback_scan_stateI15HIP_vector_typeIjLj2EELb0ELb1EEENS1_16block_id_wrapperIjLb0EEEEEvT_jT0_jPNS9_10value_typeE,"axG",@progbits,_ZN7rocprim17ROCPRIM_400000_NS6detail31init_lookback_scan_state_kernelINS1_19lookback_scan_stateI15HIP_vector_typeIjLj2EELb0ELb1EEENS1_16block_id_wrapperIjLb0EEEEEvT_jT0_jPNS9_10value_typeE,comdat
.Lfunc_end3:
	.size	_ZN7rocprim17ROCPRIM_400000_NS6detail31init_lookback_scan_state_kernelINS1_19lookback_scan_stateI15HIP_vector_typeIjLj2EELb0ELb1EEENS1_16block_id_wrapperIjLb0EEEEEvT_jT0_jPNS9_10value_typeE, .Lfunc_end3-_ZN7rocprim17ROCPRIM_400000_NS6detail31init_lookback_scan_state_kernelINS1_19lookback_scan_stateI15HIP_vector_typeIjLj2EELb0ELb1EEENS1_16block_id_wrapperIjLb0EEEEEvT_jT0_jPNS9_10value_typeE
                                        ; -- End function
	.set _ZN7rocprim17ROCPRIM_400000_NS6detail31init_lookback_scan_state_kernelINS1_19lookback_scan_stateI15HIP_vector_typeIjLj2EELb0ELb1EEENS1_16block_id_wrapperIjLb0EEEEEvT_jT0_jPNS9_10value_typeE.num_vgpr, 8
	.set _ZN7rocprim17ROCPRIM_400000_NS6detail31init_lookback_scan_state_kernelINS1_19lookback_scan_stateI15HIP_vector_typeIjLj2EELb0ELb1EEENS1_16block_id_wrapperIjLb0EEEEEvT_jT0_jPNS9_10value_typeE.num_agpr, 0
	.set _ZN7rocprim17ROCPRIM_400000_NS6detail31init_lookback_scan_state_kernelINS1_19lookback_scan_stateI15HIP_vector_typeIjLj2EELb0ELb1EEENS1_16block_id_wrapperIjLb0EEEEEvT_jT0_jPNS9_10value_typeE.numbered_sgpr, 9
	.set _ZN7rocprim17ROCPRIM_400000_NS6detail31init_lookback_scan_state_kernelINS1_19lookback_scan_stateI15HIP_vector_typeIjLj2EELb0ELb1EEENS1_16block_id_wrapperIjLb0EEEEEvT_jT0_jPNS9_10value_typeE.num_named_barrier, 0
	.set _ZN7rocprim17ROCPRIM_400000_NS6detail31init_lookback_scan_state_kernelINS1_19lookback_scan_stateI15HIP_vector_typeIjLj2EELb0ELb1EEENS1_16block_id_wrapperIjLb0EEEEEvT_jT0_jPNS9_10value_typeE.private_seg_size, 0
	.set _ZN7rocprim17ROCPRIM_400000_NS6detail31init_lookback_scan_state_kernelINS1_19lookback_scan_stateI15HIP_vector_typeIjLj2EELb0ELb1EEENS1_16block_id_wrapperIjLb0EEEEEvT_jT0_jPNS9_10value_typeE.uses_vcc, 1
	.set _ZN7rocprim17ROCPRIM_400000_NS6detail31init_lookback_scan_state_kernelINS1_19lookback_scan_stateI15HIP_vector_typeIjLj2EELb0ELb1EEENS1_16block_id_wrapperIjLb0EEEEEvT_jT0_jPNS9_10value_typeE.uses_flat_scratch, 0
	.set _ZN7rocprim17ROCPRIM_400000_NS6detail31init_lookback_scan_state_kernelINS1_19lookback_scan_stateI15HIP_vector_typeIjLj2EELb0ELb1EEENS1_16block_id_wrapperIjLb0EEEEEvT_jT0_jPNS9_10value_typeE.has_dyn_sized_stack, 0
	.set _ZN7rocprim17ROCPRIM_400000_NS6detail31init_lookback_scan_state_kernelINS1_19lookback_scan_stateI15HIP_vector_typeIjLj2EELb0ELb1EEENS1_16block_id_wrapperIjLb0EEEEEvT_jT0_jPNS9_10value_typeE.has_recursion, 0
	.set _ZN7rocprim17ROCPRIM_400000_NS6detail31init_lookback_scan_state_kernelINS1_19lookback_scan_stateI15HIP_vector_typeIjLj2EELb0ELb1EEENS1_16block_id_wrapperIjLb0EEEEEvT_jT0_jPNS9_10value_typeE.has_indirect_call, 0
	.section	.AMDGPU.csdata,"",@progbits
; Kernel info:
; codeLenInByte = 428
; TotalNumSgprs: 11
; NumVgprs: 8
; ScratchSize: 0
; MemoryBound: 0
; FloatMode: 240
; IeeeMode: 1
; LDSByteSize: 0 bytes/workgroup (compile time only)
; SGPRBlocks: 0
; VGPRBlocks: 0
; NumSGPRsForWavesPerEU: 11
; NumVGPRsForWavesPerEU: 8
; Occupancy: 16
; WaveLimiterHint : 0
; COMPUTE_PGM_RSRC2:SCRATCH_EN: 0
; COMPUTE_PGM_RSRC2:USER_SGPR: 6
; COMPUTE_PGM_RSRC2:TRAP_HANDLER: 0
; COMPUTE_PGM_RSRC2:TGID_X_EN: 1
; COMPUTE_PGM_RSRC2:TGID_Y_EN: 0
; COMPUTE_PGM_RSRC2:TGID_Z_EN: 0
; COMPUTE_PGM_RSRC2:TIDIG_COMP_CNT: 0
	.section	.text._ZN7rocprim17ROCPRIM_400000_NS6detail17trampoline_kernelINS0_13select_configILj256ELj13ELNS0_17block_load_methodE3ELS4_3ELS4_3ELNS0_20block_scan_algorithmE0ELj4294967295EEENS1_25partition_config_selectorILNS1_17partition_subalgoE4EjNS0_10empty_typeEbEEZZNS1_14partition_implILS8_4ELb0ES6_15HIP_vector_typeIjLj2EENS0_17counting_iteratorIjlEEPS9_SG_NS0_5tupleIJPjSI_NS0_16reverse_iteratorISI_EEEEENSH_IJSG_SG_SG_EEES9_SI_JZNS1_25segmented_radix_sort_implINS0_14default_configELb1EPKhPhPKlPlN2at6native12_GLOBAL__N_18offset_tEEE10hipError_tPvRmT1_PNSt15iterator_traitsIS12_E10value_typeET2_T3_PNS13_IS18_E10value_typeET4_jRbjT5_S1E_jjP12ihipStream_tbEUljE_ZNSN_ISO_Lb1ESQ_SR_ST_SU_SY_EESZ_S10_S11_S12_S16_S17_S18_S1B_S1C_jS1D_jS1E_S1E_jjS1G_bEUljE0_EEESZ_S10_S11_S18_S1C_S1E_T6_T7_T9_mT8_S1G_bDpT10_ENKUlT_T0_E_clISt17integral_constantIbLb0EES1U_EEDaS1P_S1Q_EUlS1P_E_NS1_11comp_targetILNS1_3genE0ELNS1_11target_archE4294967295ELNS1_3gpuE0ELNS1_3repE0EEENS1_30default_config_static_selectorELNS0_4arch9wavefront6targetE0EEEvS12_,"axG",@progbits,_ZN7rocprim17ROCPRIM_400000_NS6detail17trampoline_kernelINS0_13select_configILj256ELj13ELNS0_17block_load_methodE3ELS4_3ELS4_3ELNS0_20block_scan_algorithmE0ELj4294967295EEENS1_25partition_config_selectorILNS1_17partition_subalgoE4EjNS0_10empty_typeEbEEZZNS1_14partition_implILS8_4ELb0ES6_15HIP_vector_typeIjLj2EENS0_17counting_iteratorIjlEEPS9_SG_NS0_5tupleIJPjSI_NS0_16reverse_iteratorISI_EEEEENSH_IJSG_SG_SG_EEES9_SI_JZNS1_25segmented_radix_sort_implINS0_14default_configELb1EPKhPhPKlPlN2at6native12_GLOBAL__N_18offset_tEEE10hipError_tPvRmT1_PNSt15iterator_traitsIS12_E10value_typeET2_T3_PNS13_IS18_E10value_typeET4_jRbjT5_S1E_jjP12ihipStream_tbEUljE_ZNSN_ISO_Lb1ESQ_SR_ST_SU_SY_EESZ_S10_S11_S12_S16_S17_S18_S1B_S1C_jS1D_jS1E_S1E_jjS1G_bEUljE0_EEESZ_S10_S11_S18_S1C_S1E_T6_T7_T9_mT8_S1G_bDpT10_ENKUlT_T0_E_clISt17integral_constantIbLb0EES1U_EEDaS1P_S1Q_EUlS1P_E_NS1_11comp_targetILNS1_3genE0ELNS1_11target_archE4294967295ELNS1_3gpuE0ELNS1_3repE0EEENS1_30default_config_static_selectorELNS0_4arch9wavefront6targetE0EEEvS12_,comdat
	.globl	_ZN7rocprim17ROCPRIM_400000_NS6detail17trampoline_kernelINS0_13select_configILj256ELj13ELNS0_17block_load_methodE3ELS4_3ELS4_3ELNS0_20block_scan_algorithmE0ELj4294967295EEENS1_25partition_config_selectorILNS1_17partition_subalgoE4EjNS0_10empty_typeEbEEZZNS1_14partition_implILS8_4ELb0ES6_15HIP_vector_typeIjLj2EENS0_17counting_iteratorIjlEEPS9_SG_NS0_5tupleIJPjSI_NS0_16reverse_iteratorISI_EEEEENSH_IJSG_SG_SG_EEES9_SI_JZNS1_25segmented_radix_sort_implINS0_14default_configELb1EPKhPhPKlPlN2at6native12_GLOBAL__N_18offset_tEEE10hipError_tPvRmT1_PNSt15iterator_traitsIS12_E10value_typeET2_T3_PNS13_IS18_E10value_typeET4_jRbjT5_S1E_jjP12ihipStream_tbEUljE_ZNSN_ISO_Lb1ESQ_SR_ST_SU_SY_EESZ_S10_S11_S12_S16_S17_S18_S1B_S1C_jS1D_jS1E_S1E_jjS1G_bEUljE0_EEESZ_S10_S11_S18_S1C_S1E_T6_T7_T9_mT8_S1G_bDpT10_ENKUlT_T0_E_clISt17integral_constantIbLb0EES1U_EEDaS1P_S1Q_EUlS1P_E_NS1_11comp_targetILNS1_3genE0ELNS1_11target_archE4294967295ELNS1_3gpuE0ELNS1_3repE0EEENS1_30default_config_static_selectorELNS0_4arch9wavefront6targetE0EEEvS12_ ; -- Begin function _ZN7rocprim17ROCPRIM_400000_NS6detail17trampoline_kernelINS0_13select_configILj256ELj13ELNS0_17block_load_methodE3ELS4_3ELS4_3ELNS0_20block_scan_algorithmE0ELj4294967295EEENS1_25partition_config_selectorILNS1_17partition_subalgoE4EjNS0_10empty_typeEbEEZZNS1_14partition_implILS8_4ELb0ES6_15HIP_vector_typeIjLj2EENS0_17counting_iteratorIjlEEPS9_SG_NS0_5tupleIJPjSI_NS0_16reverse_iteratorISI_EEEEENSH_IJSG_SG_SG_EEES9_SI_JZNS1_25segmented_radix_sort_implINS0_14default_configELb1EPKhPhPKlPlN2at6native12_GLOBAL__N_18offset_tEEE10hipError_tPvRmT1_PNSt15iterator_traitsIS12_E10value_typeET2_T3_PNS13_IS18_E10value_typeET4_jRbjT5_S1E_jjP12ihipStream_tbEUljE_ZNSN_ISO_Lb1ESQ_SR_ST_SU_SY_EESZ_S10_S11_S12_S16_S17_S18_S1B_S1C_jS1D_jS1E_S1E_jjS1G_bEUljE0_EEESZ_S10_S11_S18_S1C_S1E_T6_T7_T9_mT8_S1G_bDpT10_ENKUlT_T0_E_clISt17integral_constantIbLb0EES1U_EEDaS1P_S1Q_EUlS1P_E_NS1_11comp_targetILNS1_3genE0ELNS1_11target_archE4294967295ELNS1_3gpuE0ELNS1_3repE0EEENS1_30default_config_static_selectorELNS0_4arch9wavefront6targetE0EEEvS12_
	.p2align	8
	.type	_ZN7rocprim17ROCPRIM_400000_NS6detail17trampoline_kernelINS0_13select_configILj256ELj13ELNS0_17block_load_methodE3ELS4_3ELS4_3ELNS0_20block_scan_algorithmE0ELj4294967295EEENS1_25partition_config_selectorILNS1_17partition_subalgoE4EjNS0_10empty_typeEbEEZZNS1_14partition_implILS8_4ELb0ES6_15HIP_vector_typeIjLj2EENS0_17counting_iteratorIjlEEPS9_SG_NS0_5tupleIJPjSI_NS0_16reverse_iteratorISI_EEEEENSH_IJSG_SG_SG_EEES9_SI_JZNS1_25segmented_radix_sort_implINS0_14default_configELb1EPKhPhPKlPlN2at6native12_GLOBAL__N_18offset_tEEE10hipError_tPvRmT1_PNSt15iterator_traitsIS12_E10value_typeET2_T3_PNS13_IS18_E10value_typeET4_jRbjT5_S1E_jjP12ihipStream_tbEUljE_ZNSN_ISO_Lb1ESQ_SR_ST_SU_SY_EESZ_S10_S11_S12_S16_S17_S18_S1B_S1C_jS1D_jS1E_S1E_jjS1G_bEUljE0_EEESZ_S10_S11_S18_S1C_S1E_T6_T7_T9_mT8_S1G_bDpT10_ENKUlT_T0_E_clISt17integral_constantIbLb0EES1U_EEDaS1P_S1Q_EUlS1P_E_NS1_11comp_targetILNS1_3genE0ELNS1_11target_archE4294967295ELNS1_3gpuE0ELNS1_3repE0EEENS1_30default_config_static_selectorELNS0_4arch9wavefront6targetE0EEEvS12_,@function
_ZN7rocprim17ROCPRIM_400000_NS6detail17trampoline_kernelINS0_13select_configILj256ELj13ELNS0_17block_load_methodE3ELS4_3ELS4_3ELNS0_20block_scan_algorithmE0ELj4294967295EEENS1_25partition_config_selectorILNS1_17partition_subalgoE4EjNS0_10empty_typeEbEEZZNS1_14partition_implILS8_4ELb0ES6_15HIP_vector_typeIjLj2EENS0_17counting_iteratorIjlEEPS9_SG_NS0_5tupleIJPjSI_NS0_16reverse_iteratorISI_EEEEENSH_IJSG_SG_SG_EEES9_SI_JZNS1_25segmented_radix_sort_implINS0_14default_configELb1EPKhPhPKlPlN2at6native12_GLOBAL__N_18offset_tEEE10hipError_tPvRmT1_PNSt15iterator_traitsIS12_E10value_typeET2_T3_PNS13_IS18_E10value_typeET4_jRbjT5_S1E_jjP12ihipStream_tbEUljE_ZNSN_ISO_Lb1ESQ_SR_ST_SU_SY_EESZ_S10_S11_S12_S16_S17_S18_S1B_S1C_jS1D_jS1E_S1E_jjS1G_bEUljE0_EEESZ_S10_S11_S18_S1C_S1E_T6_T7_T9_mT8_S1G_bDpT10_ENKUlT_T0_E_clISt17integral_constantIbLb0EES1U_EEDaS1P_S1Q_EUlS1P_E_NS1_11comp_targetILNS1_3genE0ELNS1_11target_archE4294967295ELNS1_3gpuE0ELNS1_3repE0EEENS1_30default_config_static_selectorELNS0_4arch9wavefront6targetE0EEEvS12_: ; @_ZN7rocprim17ROCPRIM_400000_NS6detail17trampoline_kernelINS0_13select_configILj256ELj13ELNS0_17block_load_methodE3ELS4_3ELS4_3ELNS0_20block_scan_algorithmE0ELj4294967295EEENS1_25partition_config_selectorILNS1_17partition_subalgoE4EjNS0_10empty_typeEbEEZZNS1_14partition_implILS8_4ELb0ES6_15HIP_vector_typeIjLj2EENS0_17counting_iteratorIjlEEPS9_SG_NS0_5tupleIJPjSI_NS0_16reverse_iteratorISI_EEEEENSH_IJSG_SG_SG_EEES9_SI_JZNS1_25segmented_radix_sort_implINS0_14default_configELb1EPKhPhPKlPlN2at6native12_GLOBAL__N_18offset_tEEE10hipError_tPvRmT1_PNSt15iterator_traitsIS12_E10value_typeET2_T3_PNS13_IS18_E10value_typeET4_jRbjT5_S1E_jjP12ihipStream_tbEUljE_ZNSN_ISO_Lb1ESQ_SR_ST_SU_SY_EESZ_S10_S11_S12_S16_S17_S18_S1B_S1C_jS1D_jS1E_S1E_jjS1G_bEUljE0_EEESZ_S10_S11_S18_S1C_S1E_T6_T7_T9_mT8_S1G_bDpT10_ENKUlT_T0_E_clISt17integral_constantIbLb0EES1U_EEDaS1P_S1Q_EUlS1P_E_NS1_11comp_targetILNS1_3genE0ELNS1_11target_archE4294967295ELNS1_3gpuE0ELNS1_3repE0EEENS1_30default_config_static_selectorELNS0_4arch9wavefront6targetE0EEEvS12_
; %bb.0:
	.section	.rodata,"a",@progbits
	.p2align	6, 0x0
	.amdhsa_kernel _ZN7rocprim17ROCPRIM_400000_NS6detail17trampoline_kernelINS0_13select_configILj256ELj13ELNS0_17block_load_methodE3ELS4_3ELS4_3ELNS0_20block_scan_algorithmE0ELj4294967295EEENS1_25partition_config_selectorILNS1_17partition_subalgoE4EjNS0_10empty_typeEbEEZZNS1_14partition_implILS8_4ELb0ES6_15HIP_vector_typeIjLj2EENS0_17counting_iteratorIjlEEPS9_SG_NS0_5tupleIJPjSI_NS0_16reverse_iteratorISI_EEEEENSH_IJSG_SG_SG_EEES9_SI_JZNS1_25segmented_radix_sort_implINS0_14default_configELb1EPKhPhPKlPlN2at6native12_GLOBAL__N_18offset_tEEE10hipError_tPvRmT1_PNSt15iterator_traitsIS12_E10value_typeET2_T3_PNS13_IS18_E10value_typeET4_jRbjT5_S1E_jjP12ihipStream_tbEUljE_ZNSN_ISO_Lb1ESQ_SR_ST_SU_SY_EESZ_S10_S11_S12_S16_S17_S18_S1B_S1C_jS1D_jS1E_S1E_jjS1G_bEUljE0_EEESZ_S10_S11_S18_S1C_S1E_T6_T7_T9_mT8_S1G_bDpT10_ENKUlT_T0_E_clISt17integral_constantIbLb0EES1U_EEDaS1P_S1Q_EUlS1P_E_NS1_11comp_targetILNS1_3genE0ELNS1_11target_archE4294967295ELNS1_3gpuE0ELNS1_3repE0EEENS1_30default_config_static_selectorELNS0_4arch9wavefront6targetE0EEEvS12_
		.amdhsa_group_segment_fixed_size 0
		.amdhsa_private_segment_fixed_size 0
		.amdhsa_kernarg_size 176
		.amdhsa_user_sgpr_count 6
		.amdhsa_user_sgpr_private_segment_buffer 1
		.amdhsa_user_sgpr_dispatch_ptr 0
		.amdhsa_user_sgpr_queue_ptr 0
		.amdhsa_user_sgpr_kernarg_segment_ptr 1
		.amdhsa_user_sgpr_dispatch_id 0
		.amdhsa_user_sgpr_flat_scratch_init 0
		.amdhsa_user_sgpr_private_segment_size 0
		.amdhsa_wavefront_size32 1
		.amdhsa_uses_dynamic_stack 0
		.amdhsa_system_sgpr_private_segment_wavefront_offset 0
		.amdhsa_system_sgpr_workgroup_id_x 1
		.amdhsa_system_sgpr_workgroup_id_y 0
		.amdhsa_system_sgpr_workgroup_id_z 0
		.amdhsa_system_sgpr_workgroup_info 0
		.amdhsa_system_vgpr_workitem_id 0
		.amdhsa_next_free_vgpr 1
		.amdhsa_next_free_sgpr 1
		.amdhsa_reserve_vcc 0
		.amdhsa_reserve_flat_scratch 0
		.amdhsa_float_round_mode_32 0
		.amdhsa_float_round_mode_16_64 0
		.amdhsa_float_denorm_mode_32 3
		.amdhsa_float_denorm_mode_16_64 3
		.amdhsa_dx10_clamp 1
		.amdhsa_ieee_mode 1
		.amdhsa_fp16_overflow 0
		.amdhsa_workgroup_processor_mode 1
		.amdhsa_memory_ordered 1
		.amdhsa_forward_progress 1
		.amdhsa_shared_vgpr_count 0
		.amdhsa_exception_fp_ieee_invalid_op 0
		.amdhsa_exception_fp_denorm_src 0
		.amdhsa_exception_fp_ieee_div_zero 0
		.amdhsa_exception_fp_ieee_overflow 0
		.amdhsa_exception_fp_ieee_underflow 0
		.amdhsa_exception_fp_ieee_inexact 0
		.amdhsa_exception_int_div_zero 0
	.end_amdhsa_kernel
	.section	.text._ZN7rocprim17ROCPRIM_400000_NS6detail17trampoline_kernelINS0_13select_configILj256ELj13ELNS0_17block_load_methodE3ELS4_3ELS4_3ELNS0_20block_scan_algorithmE0ELj4294967295EEENS1_25partition_config_selectorILNS1_17partition_subalgoE4EjNS0_10empty_typeEbEEZZNS1_14partition_implILS8_4ELb0ES6_15HIP_vector_typeIjLj2EENS0_17counting_iteratorIjlEEPS9_SG_NS0_5tupleIJPjSI_NS0_16reverse_iteratorISI_EEEEENSH_IJSG_SG_SG_EEES9_SI_JZNS1_25segmented_radix_sort_implINS0_14default_configELb1EPKhPhPKlPlN2at6native12_GLOBAL__N_18offset_tEEE10hipError_tPvRmT1_PNSt15iterator_traitsIS12_E10value_typeET2_T3_PNS13_IS18_E10value_typeET4_jRbjT5_S1E_jjP12ihipStream_tbEUljE_ZNSN_ISO_Lb1ESQ_SR_ST_SU_SY_EESZ_S10_S11_S12_S16_S17_S18_S1B_S1C_jS1D_jS1E_S1E_jjS1G_bEUljE0_EEESZ_S10_S11_S18_S1C_S1E_T6_T7_T9_mT8_S1G_bDpT10_ENKUlT_T0_E_clISt17integral_constantIbLb0EES1U_EEDaS1P_S1Q_EUlS1P_E_NS1_11comp_targetILNS1_3genE0ELNS1_11target_archE4294967295ELNS1_3gpuE0ELNS1_3repE0EEENS1_30default_config_static_selectorELNS0_4arch9wavefront6targetE0EEEvS12_,"axG",@progbits,_ZN7rocprim17ROCPRIM_400000_NS6detail17trampoline_kernelINS0_13select_configILj256ELj13ELNS0_17block_load_methodE3ELS4_3ELS4_3ELNS0_20block_scan_algorithmE0ELj4294967295EEENS1_25partition_config_selectorILNS1_17partition_subalgoE4EjNS0_10empty_typeEbEEZZNS1_14partition_implILS8_4ELb0ES6_15HIP_vector_typeIjLj2EENS0_17counting_iteratorIjlEEPS9_SG_NS0_5tupleIJPjSI_NS0_16reverse_iteratorISI_EEEEENSH_IJSG_SG_SG_EEES9_SI_JZNS1_25segmented_radix_sort_implINS0_14default_configELb1EPKhPhPKlPlN2at6native12_GLOBAL__N_18offset_tEEE10hipError_tPvRmT1_PNSt15iterator_traitsIS12_E10value_typeET2_T3_PNS13_IS18_E10value_typeET4_jRbjT5_S1E_jjP12ihipStream_tbEUljE_ZNSN_ISO_Lb1ESQ_SR_ST_SU_SY_EESZ_S10_S11_S12_S16_S17_S18_S1B_S1C_jS1D_jS1E_S1E_jjS1G_bEUljE0_EEESZ_S10_S11_S18_S1C_S1E_T6_T7_T9_mT8_S1G_bDpT10_ENKUlT_T0_E_clISt17integral_constantIbLb0EES1U_EEDaS1P_S1Q_EUlS1P_E_NS1_11comp_targetILNS1_3genE0ELNS1_11target_archE4294967295ELNS1_3gpuE0ELNS1_3repE0EEENS1_30default_config_static_selectorELNS0_4arch9wavefront6targetE0EEEvS12_,comdat
.Lfunc_end4:
	.size	_ZN7rocprim17ROCPRIM_400000_NS6detail17trampoline_kernelINS0_13select_configILj256ELj13ELNS0_17block_load_methodE3ELS4_3ELS4_3ELNS0_20block_scan_algorithmE0ELj4294967295EEENS1_25partition_config_selectorILNS1_17partition_subalgoE4EjNS0_10empty_typeEbEEZZNS1_14partition_implILS8_4ELb0ES6_15HIP_vector_typeIjLj2EENS0_17counting_iteratorIjlEEPS9_SG_NS0_5tupleIJPjSI_NS0_16reverse_iteratorISI_EEEEENSH_IJSG_SG_SG_EEES9_SI_JZNS1_25segmented_radix_sort_implINS0_14default_configELb1EPKhPhPKlPlN2at6native12_GLOBAL__N_18offset_tEEE10hipError_tPvRmT1_PNSt15iterator_traitsIS12_E10value_typeET2_T3_PNS13_IS18_E10value_typeET4_jRbjT5_S1E_jjP12ihipStream_tbEUljE_ZNSN_ISO_Lb1ESQ_SR_ST_SU_SY_EESZ_S10_S11_S12_S16_S17_S18_S1B_S1C_jS1D_jS1E_S1E_jjS1G_bEUljE0_EEESZ_S10_S11_S18_S1C_S1E_T6_T7_T9_mT8_S1G_bDpT10_ENKUlT_T0_E_clISt17integral_constantIbLb0EES1U_EEDaS1P_S1Q_EUlS1P_E_NS1_11comp_targetILNS1_3genE0ELNS1_11target_archE4294967295ELNS1_3gpuE0ELNS1_3repE0EEENS1_30default_config_static_selectorELNS0_4arch9wavefront6targetE0EEEvS12_, .Lfunc_end4-_ZN7rocprim17ROCPRIM_400000_NS6detail17trampoline_kernelINS0_13select_configILj256ELj13ELNS0_17block_load_methodE3ELS4_3ELS4_3ELNS0_20block_scan_algorithmE0ELj4294967295EEENS1_25partition_config_selectorILNS1_17partition_subalgoE4EjNS0_10empty_typeEbEEZZNS1_14partition_implILS8_4ELb0ES6_15HIP_vector_typeIjLj2EENS0_17counting_iteratorIjlEEPS9_SG_NS0_5tupleIJPjSI_NS0_16reverse_iteratorISI_EEEEENSH_IJSG_SG_SG_EEES9_SI_JZNS1_25segmented_radix_sort_implINS0_14default_configELb1EPKhPhPKlPlN2at6native12_GLOBAL__N_18offset_tEEE10hipError_tPvRmT1_PNSt15iterator_traitsIS12_E10value_typeET2_T3_PNS13_IS18_E10value_typeET4_jRbjT5_S1E_jjP12ihipStream_tbEUljE_ZNSN_ISO_Lb1ESQ_SR_ST_SU_SY_EESZ_S10_S11_S12_S16_S17_S18_S1B_S1C_jS1D_jS1E_S1E_jjS1G_bEUljE0_EEESZ_S10_S11_S18_S1C_S1E_T6_T7_T9_mT8_S1G_bDpT10_ENKUlT_T0_E_clISt17integral_constantIbLb0EES1U_EEDaS1P_S1Q_EUlS1P_E_NS1_11comp_targetILNS1_3genE0ELNS1_11target_archE4294967295ELNS1_3gpuE0ELNS1_3repE0EEENS1_30default_config_static_selectorELNS0_4arch9wavefront6targetE0EEEvS12_
                                        ; -- End function
	.set _ZN7rocprim17ROCPRIM_400000_NS6detail17trampoline_kernelINS0_13select_configILj256ELj13ELNS0_17block_load_methodE3ELS4_3ELS4_3ELNS0_20block_scan_algorithmE0ELj4294967295EEENS1_25partition_config_selectorILNS1_17partition_subalgoE4EjNS0_10empty_typeEbEEZZNS1_14partition_implILS8_4ELb0ES6_15HIP_vector_typeIjLj2EENS0_17counting_iteratorIjlEEPS9_SG_NS0_5tupleIJPjSI_NS0_16reverse_iteratorISI_EEEEENSH_IJSG_SG_SG_EEES9_SI_JZNS1_25segmented_radix_sort_implINS0_14default_configELb1EPKhPhPKlPlN2at6native12_GLOBAL__N_18offset_tEEE10hipError_tPvRmT1_PNSt15iterator_traitsIS12_E10value_typeET2_T3_PNS13_IS18_E10value_typeET4_jRbjT5_S1E_jjP12ihipStream_tbEUljE_ZNSN_ISO_Lb1ESQ_SR_ST_SU_SY_EESZ_S10_S11_S12_S16_S17_S18_S1B_S1C_jS1D_jS1E_S1E_jjS1G_bEUljE0_EEESZ_S10_S11_S18_S1C_S1E_T6_T7_T9_mT8_S1G_bDpT10_ENKUlT_T0_E_clISt17integral_constantIbLb0EES1U_EEDaS1P_S1Q_EUlS1P_E_NS1_11comp_targetILNS1_3genE0ELNS1_11target_archE4294967295ELNS1_3gpuE0ELNS1_3repE0EEENS1_30default_config_static_selectorELNS0_4arch9wavefront6targetE0EEEvS12_.num_vgpr, 0
	.set _ZN7rocprim17ROCPRIM_400000_NS6detail17trampoline_kernelINS0_13select_configILj256ELj13ELNS0_17block_load_methodE3ELS4_3ELS4_3ELNS0_20block_scan_algorithmE0ELj4294967295EEENS1_25partition_config_selectorILNS1_17partition_subalgoE4EjNS0_10empty_typeEbEEZZNS1_14partition_implILS8_4ELb0ES6_15HIP_vector_typeIjLj2EENS0_17counting_iteratorIjlEEPS9_SG_NS0_5tupleIJPjSI_NS0_16reverse_iteratorISI_EEEEENSH_IJSG_SG_SG_EEES9_SI_JZNS1_25segmented_radix_sort_implINS0_14default_configELb1EPKhPhPKlPlN2at6native12_GLOBAL__N_18offset_tEEE10hipError_tPvRmT1_PNSt15iterator_traitsIS12_E10value_typeET2_T3_PNS13_IS18_E10value_typeET4_jRbjT5_S1E_jjP12ihipStream_tbEUljE_ZNSN_ISO_Lb1ESQ_SR_ST_SU_SY_EESZ_S10_S11_S12_S16_S17_S18_S1B_S1C_jS1D_jS1E_S1E_jjS1G_bEUljE0_EEESZ_S10_S11_S18_S1C_S1E_T6_T7_T9_mT8_S1G_bDpT10_ENKUlT_T0_E_clISt17integral_constantIbLb0EES1U_EEDaS1P_S1Q_EUlS1P_E_NS1_11comp_targetILNS1_3genE0ELNS1_11target_archE4294967295ELNS1_3gpuE0ELNS1_3repE0EEENS1_30default_config_static_selectorELNS0_4arch9wavefront6targetE0EEEvS12_.num_agpr, 0
	.set _ZN7rocprim17ROCPRIM_400000_NS6detail17trampoline_kernelINS0_13select_configILj256ELj13ELNS0_17block_load_methodE3ELS4_3ELS4_3ELNS0_20block_scan_algorithmE0ELj4294967295EEENS1_25partition_config_selectorILNS1_17partition_subalgoE4EjNS0_10empty_typeEbEEZZNS1_14partition_implILS8_4ELb0ES6_15HIP_vector_typeIjLj2EENS0_17counting_iteratorIjlEEPS9_SG_NS0_5tupleIJPjSI_NS0_16reverse_iteratorISI_EEEEENSH_IJSG_SG_SG_EEES9_SI_JZNS1_25segmented_radix_sort_implINS0_14default_configELb1EPKhPhPKlPlN2at6native12_GLOBAL__N_18offset_tEEE10hipError_tPvRmT1_PNSt15iterator_traitsIS12_E10value_typeET2_T3_PNS13_IS18_E10value_typeET4_jRbjT5_S1E_jjP12ihipStream_tbEUljE_ZNSN_ISO_Lb1ESQ_SR_ST_SU_SY_EESZ_S10_S11_S12_S16_S17_S18_S1B_S1C_jS1D_jS1E_S1E_jjS1G_bEUljE0_EEESZ_S10_S11_S18_S1C_S1E_T6_T7_T9_mT8_S1G_bDpT10_ENKUlT_T0_E_clISt17integral_constantIbLb0EES1U_EEDaS1P_S1Q_EUlS1P_E_NS1_11comp_targetILNS1_3genE0ELNS1_11target_archE4294967295ELNS1_3gpuE0ELNS1_3repE0EEENS1_30default_config_static_selectorELNS0_4arch9wavefront6targetE0EEEvS12_.numbered_sgpr, 0
	.set _ZN7rocprim17ROCPRIM_400000_NS6detail17trampoline_kernelINS0_13select_configILj256ELj13ELNS0_17block_load_methodE3ELS4_3ELS4_3ELNS0_20block_scan_algorithmE0ELj4294967295EEENS1_25partition_config_selectorILNS1_17partition_subalgoE4EjNS0_10empty_typeEbEEZZNS1_14partition_implILS8_4ELb0ES6_15HIP_vector_typeIjLj2EENS0_17counting_iteratorIjlEEPS9_SG_NS0_5tupleIJPjSI_NS0_16reverse_iteratorISI_EEEEENSH_IJSG_SG_SG_EEES9_SI_JZNS1_25segmented_radix_sort_implINS0_14default_configELb1EPKhPhPKlPlN2at6native12_GLOBAL__N_18offset_tEEE10hipError_tPvRmT1_PNSt15iterator_traitsIS12_E10value_typeET2_T3_PNS13_IS18_E10value_typeET4_jRbjT5_S1E_jjP12ihipStream_tbEUljE_ZNSN_ISO_Lb1ESQ_SR_ST_SU_SY_EESZ_S10_S11_S12_S16_S17_S18_S1B_S1C_jS1D_jS1E_S1E_jjS1G_bEUljE0_EEESZ_S10_S11_S18_S1C_S1E_T6_T7_T9_mT8_S1G_bDpT10_ENKUlT_T0_E_clISt17integral_constantIbLb0EES1U_EEDaS1P_S1Q_EUlS1P_E_NS1_11comp_targetILNS1_3genE0ELNS1_11target_archE4294967295ELNS1_3gpuE0ELNS1_3repE0EEENS1_30default_config_static_selectorELNS0_4arch9wavefront6targetE0EEEvS12_.num_named_barrier, 0
	.set _ZN7rocprim17ROCPRIM_400000_NS6detail17trampoline_kernelINS0_13select_configILj256ELj13ELNS0_17block_load_methodE3ELS4_3ELS4_3ELNS0_20block_scan_algorithmE0ELj4294967295EEENS1_25partition_config_selectorILNS1_17partition_subalgoE4EjNS0_10empty_typeEbEEZZNS1_14partition_implILS8_4ELb0ES6_15HIP_vector_typeIjLj2EENS0_17counting_iteratorIjlEEPS9_SG_NS0_5tupleIJPjSI_NS0_16reverse_iteratorISI_EEEEENSH_IJSG_SG_SG_EEES9_SI_JZNS1_25segmented_radix_sort_implINS0_14default_configELb1EPKhPhPKlPlN2at6native12_GLOBAL__N_18offset_tEEE10hipError_tPvRmT1_PNSt15iterator_traitsIS12_E10value_typeET2_T3_PNS13_IS18_E10value_typeET4_jRbjT5_S1E_jjP12ihipStream_tbEUljE_ZNSN_ISO_Lb1ESQ_SR_ST_SU_SY_EESZ_S10_S11_S12_S16_S17_S18_S1B_S1C_jS1D_jS1E_S1E_jjS1G_bEUljE0_EEESZ_S10_S11_S18_S1C_S1E_T6_T7_T9_mT8_S1G_bDpT10_ENKUlT_T0_E_clISt17integral_constantIbLb0EES1U_EEDaS1P_S1Q_EUlS1P_E_NS1_11comp_targetILNS1_3genE0ELNS1_11target_archE4294967295ELNS1_3gpuE0ELNS1_3repE0EEENS1_30default_config_static_selectorELNS0_4arch9wavefront6targetE0EEEvS12_.private_seg_size, 0
	.set _ZN7rocprim17ROCPRIM_400000_NS6detail17trampoline_kernelINS0_13select_configILj256ELj13ELNS0_17block_load_methodE3ELS4_3ELS4_3ELNS0_20block_scan_algorithmE0ELj4294967295EEENS1_25partition_config_selectorILNS1_17partition_subalgoE4EjNS0_10empty_typeEbEEZZNS1_14partition_implILS8_4ELb0ES6_15HIP_vector_typeIjLj2EENS0_17counting_iteratorIjlEEPS9_SG_NS0_5tupleIJPjSI_NS0_16reverse_iteratorISI_EEEEENSH_IJSG_SG_SG_EEES9_SI_JZNS1_25segmented_radix_sort_implINS0_14default_configELb1EPKhPhPKlPlN2at6native12_GLOBAL__N_18offset_tEEE10hipError_tPvRmT1_PNSt15iterator_traitsIS12_E10value_typeET2_T3_PNS13_IS18_E10value_typeET4_jRbjT5_S1E_jjP12ihipStream_tbEUljE_ZNSN_ISO_Lb1ESQ_SR_ST_SU_SY_EESZ_S10_S11_S12_S16_S17_S18_S1B_S1C_jS1D_jS1E_S1E_jjS1G_bEUljE0_EEESZ_S10_S11_S18_S1C_S1E_T6_T7_T9_mT8_S1G_bDpT10_ENKUlT_T0_E_clISt17integral_constantIbLb0EES1U_EEDaS1P_S1Q_EUlS1P_E_NS1_11comp_targetILNS1_3genE0ELNS1_11target_archE4294967295ELNS1_3gpuE0ELNS1_3repE0EEENS1_30default_config_static_selectorELNS0_4arch9wavefront6targetE0EEEvS12_.uses_vcc, 0
	.set _ZN7rocprim17ROCPRIM_400000_NS6detail17trampoline_kernelINS0_13select_configILj256ELj13ELNS0_17block_load_methodE3ELS4_3ELS4_3ELNS0_20block_scan_algorithmE0ELj4294967295EEENS1_25partition_config_selectorILNS1_17partition_subalgoE4EjNS0_10empty_typeEbEEZZNS1_14partition_implILS8_4ELb0ES6_15HIP_vector_typeIjLj2EENS0_17counting_iteratorIjlEEPS9_SG_NS0_5tupleIJPjSI_NS0_16reverse_iteratorISI_EEEEENSH_IJSG_SG_SG_EEES9_SI_JZNS1_25segmented_radix_sort_implINS0_14default_configELb1EPKhPhPKlPlN2at6native12_GLOBAL__N_18offset_tEEE10hipError_tPvRmT1_PNSt15iterator_traitsIS12_E10value_typeET2_T3_PNS13_IS18_E10value_typeET4_jRbjT5_S1E_jjP12ihipStream_tbEUljE_ZNSN_ISO_Lb1ESQ_SR_ST_SU_SY_EESZ_S10_S11_S12_S16_S17_S18_S1B_S1C_jS1D_jS1E_S1E_jjS1G_bEUljE0_EEESZ_S10_S11_S18_S1C_S1E_T6_T7_T9_mT8_S1G_bDpT10_ENKUlT_T0_E_clISt17integral_constantIbLb0EES1U_EEDaS1P_S1Q_EUlS1P_E_NS1_11comp_targetILNS1_3genE0ELNS1_11target_archE4294967295ELNS1_3gpuE0ELNS1_3repE0EEENS1_30default_config_static_selectorELNS0_4arch9wavefront6targetE0EEEvS12_.uses_flat_scratch, 0
	.set _ZN7rocprim17ROCPRIM_400000_NS6detail17trampoline_kernelINS0_13select_configILj256ELj13ELNS0_17block_load_methodE3ELS4_3ELS4_3ELNS0_20block_scan_algorithmE0ELj4294967295EEENS1_25partition_config_selectorILNS1_17partition_subalgoE4EjNS0_10empty_typeEbEEZZNS1_14partition_implILS8_4ELb0ES6_15HIP_vector_typeIjLj2EENS0_17counting_iteratorIjlEEPS9_SG_NS0_5tupleIJPjSI_NS0_16reverse_iteratorISI_EEEEENSH_IJSG_SG_SG_EEES9_SI_JZNS1_25segmented_radix_sort_implINS0_14default_configELb1EPKhPhPKlPlN2at6native12_GLOBAL__N_18offset_tEEE10hipError_tPvRmT1_PNSt15iterator_traitsIS12_E10value_typeET2_T3_PNS13_IS18_E10value_typeET4_jRbjT5_S1E_jjP12ihipStream_tbEUljE_ZNSN_ISO_Lb1ESQ_SR_ST_SU_SY_EESZ_S10_S11_S12_S16_S17_S18_S1B_S1C_jS1D_jS1E_S1E_jjS1G_bEUljE0_EEESZ_S10_S11_S18_S1C_S1E_T6_T7_T9_mT8_S1G_bDpT10_ENKUlT_T0_E_clISt17integral_constantIbLb0EES1U_EEDaS1P_S1Q_EUlS1P_E_NS1_11comp_targetILNS1_3genE0ELNS1_11target_archE4294967295ELNS1_3gpuE0ELNS1_3repE0EEENS1_30default_config_static_selectorELNS0_4arch9wavefront6targetE0EEEvS12_.has_dyn_sized_stack, 0
	.set _ZN7rocprim17ROCPRIM_400000_NS6detail17trampoline_kernelINS0_13select_configILj256ELj13ELNS0_17block_load_methodE3ELS4_3ELS4_3ELNS0_20block_scan_algorithmE0ELj4294967295EEENS1_25partition_config_selectorILNS1_17partition_subalgoE4EjNS0_10empty_typeEbEEZZNS1_14partition_implILS8_4ELb0ES6_15HIP_vector_typeIjLj2EENS0_17counting_iteratorIjlEEPS9_SG_NS0_5tupleIJPjSI_NS0_16reverse_iteratorISI_EEEEENSH_IJSG_SG_SG_EEES9_SI_JZNS1_25segmented_radix_sort_implINS0_14default_configELb1EPKhPhPKlPlN2at6native12_GLOBAL__N_18offset_tEEE10hipError_tPvRmT1_PNSt15iterator_traitsIS12_E10value_typeET2_T3_PNS13_IS18_E10value_typeET4_jRbjT5_S1E_jjP12ihipStream_tbEUljE_ZNSN_ISO_Lb1ESQ_SR_ST_SU_SY_EESZ_S10_S11_S12_S16_S17_S18_S1B_S1C_jS1D_jS1E_S1E_jjS1G_bEUljE0_EEESZ_S10_S11_S18_S1C_S1E_T6_T7_T9_mT8_S1G_bDpT10_ENKUlT_T0_E_clISt17integral_constantIbLb0EES1U_EEDaS1P_S1Q_EUlS1P_E_NS1_11comp_targetILNS1_3genE0ELNS1_11target_archE4294967295ELNS1_3gpuE0ELNS1_3repE0EEENS1_30default_config_static_selectorELNS0_4arch9wavefront6targetE0EEEvS12_.has_recursion, 0
	.set _ZN7rocprim17ROCPRIM_400000_NS6detail17trampoline_kernelINS0_13select_configILj256ELj13ELNS0_17block_load_methodE3ELS4_3ELS4_3ELNS0_20block_scan_algorithmE0ELj4294967295EEENS1_25partition_config_selectorILNS1_17partition_subalgoE4EjNS0_10empty_typeEbEEZZNS1_14partition_implILS8_4ELb0ES6_15HIP_vector_typeIjLj2EENS0_17counting_iteratorIjlEEPS9_SG_NS0_5tupleIJPjSI_NS0_16reverse_iteratorISI_EEEEENSH_IJSG_SG_SG_EEES9_SI_JZNS1_25segmented_radix_sort_implINS0_14default_configELb1EPKhPhPKlPlN2at6native12_GLOBAL__N_18offset_tEEE10hipError_tPvRmT1_PNSt15iterator_traitsIS12_E10value_typeET2_T3_PNS13_IS18_E10value_typeET4_jRbjT5_S1E_jjP12ihipStream_tbEUljE_ZNSN_ISO_Lb1ESQ_SR_ST_SU_SY_EESZ_S10_S11_S12_S16_S17_S18_S1B_S1C_jS1D_jS1E_S1E_jjS1G_bEUljE0_EEESZ_S10_S11_S18_S1C_S1E_T6_T7_T9_mT8_S1G_bDpT10_ENKUlT_T0_E_clISt17integral_constantIbLb0EES1U_EEDaS1P_S1Q_EUlS1P_E_NS1_11comp_targetILNS1_3genE0ELNS1_11target_archE4294967295ELNS1_3gpuE0ELNS1_3repE0EEENS1_30default_config_static_selectorELNS0_4arch9wavefront6targetE0EEEvS12_.has_indirect_call, 0
	.section	.AMDGPU.csdata,"",@progbits
; Kernel info:
; codeLenInByte = 0
; TotalNumSgprs: 0
; NumVgprs: 0
; ScratchSize: 0
; MemoryBound: 0
; FloatMode: 240
; IeeeMode: 1
; LDSByteSize: 0 bytes/workgroup (compile time only)
; SGPRBlocks: 0
; VGPRBlocks: 0
; NumSGPRsForWavesPerEU: 1
; NumVGPRsForWavesPerEU: 1
; Occupancy: 16
; WaveLimiterHint : 0
; COMPUTE_PGM_RSRC2:SCRATCH_EN: 0
; COMPUTE_PGM_RSRC2:USER_SGPR: 6
; COMPUTE_PGM_RSRC2:TRAP_HANDLER: 0
; COMPUTE_PGM_RSRC2:TGID_X_EN: 1
; COMPUTE_PGM_RSRC2:TGID_Y_EN: 0
; COMPUTE_PGM_RSRC2:TGID_Z_EN: 0
; COMPUTE_PGM_RSRC2:TIDIG_COMP_CNT: 0
	.section	.text._ZN7rocprim17ROCPRIM_400000_NS6detail17trampoline_kernelINS0_13select_configILj256ELj13ELNS0_17block_load_methodE3ELS4_3ELS4_3ELNS0_20block_scan_algorithmE0ELj4294967295EEENS1_25partition_config_selectorILNS1_17partition_subalgoE4EjNS0_10empty_typeEbEEZZNS1_14partition_implILS8_4ELb0ES6_15HIP_vector_typeIjLj2EENS0_17counting_iteratorIjlEEPS9_SG_NS0_5tupleIJPjSI_NS0_16reverse_iteratorISI_EEEEENSH_IJSG_SG_SG_EEES9_SI_JZNS1_25segmented_radix_sort_implINS0_14default_configELb1EPKhPhPKlPlN2at6native12_GLOBAL__N_18offset_tEEE10hipError_tPvRmT1_PNSt15iterator_traitsIS12_E10value_typeET2_T3_PNS13_IS18_E10value_typeET4_jRbjT5_S1E_jjP12ihipStream_tbEUljE_ZNSN_ISO_Lb1ESQ_SR_ST_SU_SY_EESZ_S10_S11_S12_S16_S17_S18_S1B_S1C_jS1D_jS1E_S1E_jjS1G_bEUljE0_EEESZ_S10_S11_S18_S1C_S1E_T6_T7_T9_mT8_S1G_bDpT10_ENKUlT_T0_E_clISt17integral_constantIbLb0EES1U_EEDaS1P_S1Q_EUlS1P_E_NS1_11comp_targetILNS1_3genE5ELNS1_11target_archE942ELNS1_3gpuE9ELNS1_3repE0EEENS1_30default_config_static_selectorELNS0_4arch9wavefront6targetE0EEEvS12_,"axG",@progbits,_ZN7rocprim17ROCPRIM_400000_NS6detail17trampoline_kernelINS0_13select_configILj256ELj13ELNS0_17block_load_methodE3ELS4_3ELS4_3ELNS0_20block_scan_algorithmE0ELj4294967295EEENS1_25partition_config_selectorILNS1_17partition_subalgoE4EjNS0_10empty_typeEbEEZZNS1_14partition_implILS8_4ELb0ES6_15HIP_vector_typeIjLj2EENS0_17counting_iteratorIjlEEPS9_SG_NS0_5tupleIJPjSI_NS0_16reverse_iteratorISI_EEEEENSH_IJSG_SG_SG_EEES9_SI_JZNS1_25segmented_radix_sort_implINS0_14default_configELb1EPKhPhPKlPlN2at6native12_GLOBAL__N_18offset_tEEE10hipError_tPvRmT1_PNSt15iterator_traitsIS12_E10value_typeET2_T3_PNS13_IS18_E10value_typeET4_jRbjT5_S1E_jjP12ihipStream_tbEUljE_ZNSN_ISO_Lb1ESQ_SR_ST_SU_SY_EESZ_S10_S11_S12_S16_S17_S18_S1B_S1C_jS1D_jS1E_S1E_jjS1G_bEUljE0_EEESZ_S10_S11_S18_S1C_S1E_T6_T7_T9_mT8_S1G_bDpT10_ENKUlT_T0_E_clISt17integral_constantIbLb0EES1U_EEDaS1P_S1Q_EUlS1P_E_NS1_11comp_targetILNS1_3genE5ELNS1_11target_archE942ELNS1_3gpuE9ELNS1_3repE0EEENS1_30default_config_static_selectorELNS0_4arch9wavefront6targetE0EEEvS12_,comdat
	.globl	_ZN7rocprim17ROCPRIM_400000_NS6detail17trampoline_kernelINS0_13select_configILj256ELj13ELNS0_17block_load_methodE3ELS4_3ELS4_3ELNS0_20block_scan_algorithmE0ELj4294967295EEENS1_25partition_config_selectorILNS1_17partition_subalgoE4EjNS0_10empty_typeEbEEZZNS1_14partition_implILS8_4ELb0ES6_15HIP_vector_typeIjLj2EENS0_17counting_iteratorIjlEEPS9_SG_NS0_5tupleIJPjSI_NS0_16reverse_iteratorISI_EEEEENSH_IJSG_SG_SG_EEES9_SI_JZNS1_25segmented_radix_sort_implINS0_14default_configELb1EPKhPhPKlPlN2at6native12_GLOBAL__N_18offset_tEEE10hipError_tPvRmT1_PNSt15iterator_traitsIS12_E10value_typeET2_T3_PNS13_IS18_E10value_typeET4_jRbjT5_S1E_jjP12ihipStream_tbEUljE_ZNSN_ISO_Lb1ESQ_SR_ST_SU_SY_EESZ_S10_S11_S12_S16_S17_S18_S1B_S1C_jS1D_jS1E_S1E_jjS1G_bEUljE0_EEESZ_S10_S11_S18_S1C_S1E_T6_T7_T9_mT8_S1G_bDpT10_ENKUlT_T0_E_clISt17integral_constantIbLb0EES1U_EEDaS1P_S1Q_EUlS1P_E_NS1_11comp_targetILNS1_3genE5ELNS1_11target_archE942ELNS1_3gpuE9ELNS1_3repE0EEENS1_30default_config_static_selectorELNS0_4arch9wavefront6targetE0EEEvS12_ ; -- Begin function _ZN7rocprim17ROCPRIM_400000_NS6detail17trampoline_kernelINS0_13select_configILj256ELj13ELNS0_17block_load_methodE3ELS4_3ELS4_3ELNS0_20block_scan_algorithmE0ELj4294967295EEENS1_25partition_config_selectorILNS1_17partition_subalgoE4EjNS0_10empty_typeEbEEZZNS1_14partition_implILS8_4ELb0ES6_15HIP_vector_typeIjLj2EENS0_17counting_iteratorIjlEEPS9_SG_NS0_5tupleIJPjSI_NS0_16reverse_iteratorISI_EEEEENSH_IJSG_SG_SG_EEES9_SI_JZNS1_25segmented_radix_sort_implINS0_14default_configELb1EPKhPhPKlPlN2at6native12_GLOBAL__N_18offset_tEEE10hipError_tPvRmT1_PNSt15iterator_traitsIS12_E10value_typeET2_T3_PNS13_IS18_E10value_typeET4_jRbjT5_S1E_jjP12ihipStream_tbEUljE_ZNSN_ISO_Lb1ESQ_SR_ST_SU_SY_EESZ_S10_S11_S12_S16_S17_S18_S1B_S1C_jS1D_jS1E_S1E_jjS1G_bEUljE0_EEESZ_S10_S11_S18_S1C_S1E_T6_T7_T9_mT8_S1G_bDpT10_ENKUlT_T0_E_clISt17integral_constantIbLb0EES1U_EEDaS1P_S1Q_EUlS1P_E_NS1_11comp_targetILNS1_3genE5ELNS1_11target_archE942ELNS1_3gpuE9ELNS1_3repE0EEENS1_30default_config_static_selectorELNS0_4arch9wavefront6targetE0EEEvS12_
	.p2align	8
	.type	_ZN7rocprim17ROCPRIM_400000_NS6detail17trampoline_kernelINS0_13select_configILj256ELj13ELNS0_17block_load_methodE3ELS4_3ELS4_3ELNS0_20block_scan_algorithmE0ELj4294967295EEENS1_25partition_config_selectorILNS1_17partition_subalgoE4EjNS0_10empty_typeEbEEZZNS1_14partition_implILS8_4ELb0ES6_15HIP_vector_typeIjLj2EENS0_17counting_iteratorIjlEEPS9_SG_NS0_5tupleIJPjSI_NS0_16reverse_iteratorISI_EEEEENSH_IJSG_SG_SG_EEES9_SI_JZNS1_25segmented_radix_sort_implINS0_14default_configELb1EPKhPhPKlPlN2at6native12_GLOBAL__N_18offset_tEEE10hipError_tPvRmT1_PNSt15iterator_traitsIS12_E10value_typeET2_T3_PNS13_IS18_E10value_typeET4_jRbjT5_S1E_jjP12ihipStream_tbEUljE_ZNSN_ISO_Lb1ESQ_SR_ST_SU_SY_EESZ_S10_S11_S12_S16_S17_S18_S1B_S1C_jS1D_jS1E_S1E_jjS1G_bEUljE0_EEESZ_S10_S11_S18_S1C_S1E_T6_T7_T9_mT8_S1G_bDpT10_ENKUlT_T0_E_clISt17integral_constantIbLb0EES1U_EEDaS1P_S1Q_EUlS1P_E_NS1_11comp_targetILNS1_3genE5ELNS1_11target_archE942ELNS1_3gpuE9ELNS1_3repE0EEENS1_30default_config_static_selectorELNS0_4arch9wavefront6targetE0EEEvS12_,@function
_ZN7rocprim17ROCPRIM_400000_NS6detail17trampoline_kernelINS0_13select_configILj256ELj13ELNS0_17block_load_methodE3ELS4_3ELS4_3ELNS0_20block_scan_algorithmE0ELj4294967295EEENS1_25partition_config_selectorILNS1_17partition_subalgoE4EjNS0_10empty_typeEbEEZZNS1_14partition_implILS8_4ELb0ES6_15HIP_vector_typeIjLj2EENS0_17counting_iteratorIjlEEPS9_SG_NS0_5tupleIJPjSI_NS0_16reverse_iteratorISI_EEEEENSH_IJSG_SG_SG_EEES9_SI_JZNS1_25segmented_radix_sort_implINS0_14default_configELb1EPKhPhPKlPlN2at6native12_GLOBAL__N_18offset_tEEE10hipError_tPvRmT1_PNSt15iterator_traitsIS12_E10value_typeET2_T3_PNS13_IS18_E10value_typeET4_jRbjT5_S1E_jjP12ihipStream_tbEUljE_ZNSN_ISO_Lb1ESQ_SR_ST_SU_SY_EESZ_S10_S11_S12_S16_S17_S18_S1B_S1C_jS1D_jS1E_S1E_jjS1G_bEUljE0_EEESZ_S10_S11_S18_S1C_S1E_T6_T7_T9_mT8_S1G_bDpT10_ENKUlT_T0_E_clISt17integral_constantIbLb0EES1U_EEDaS1P_S1Q_EUlS1P_E_NS1_11comp_targetILNS1_3genE5ELNS1_11target_archE942ELNS1_3gpuE9ELNS1_3repE0EEENS1_30default_config_static_selectorELNS0_4arch9wavefront6targetE0EEEvS12_: ; @_ZN7rocprim17ROCPRIM_400000_NS6detail17trampoline_kernelINS0_13select_configILj256ELj13ELNS0_17block_load_methodE3ELS4_3ELS4_3ELNS0_20block_scan_algorithmE0ELj4294967295EEENS1_25partition_config_selectorILNS1_17partition_subalgoE4EjNS0_10empty_typeEbEEZZNS1_14partition_implILS8_4ELb0ES6_15HIP_vector_typeIjLj2EENS0_17counting_iteratorIjlEEPS9_SG_NS0_5tupleIJPjSI_NS0_16reverse_iteratorISI_EEEEENSH_IJSG_SG_SG_EEES9_SI_JZNS1_25segmented_radix_sort_implINS0_14default_configELb1EPKhPhPKlPlN2at6native12_GLOBAL__N_18offset_tEEE10hipError_tPvRmT1_PNSt15iterator_traitsIS12_E10value_typeET2_T3_PNS13_IS18_E10value_typeET4_jRbjT5_S1E_jjP12ihipStream_tbEUljE_ZNSN_ISO_Lb1ESQ_SR_ST_SU_SY_EESZ_S10_S11_S12_S16_S17_S18_S1B_S1C_jS1D_jS1E_S1E_jjS1G_bEUljE0_EEESZ_S10_S11_S18_S1C_S1E_T6_T7_T9_mT8_S1G_bDpT10_ENKUlT_T0_E_clISt17integral_constantIbLb0EES1U_EEDaS1P_S1Q_EUlS1P_E_NS1_11comp_targetILNS1_3genE5ELNS1_11target_archE942ELNS1_3gpuE9ELNS1_3repE0EEENS1_30default_config_static_selectorELNS0_4arch9wavefront6targetE0EEEvS12_
; %bb.0:
	.section	.rodata,"a",@progbits
	.p2align	6, 0x0
	.amdhsa_kernel _ZN7rocprim17ROCPRIM_400000_NS6detail17trampoline_kernelINS0_13select_configILj256ELj13ELNS0_17block_load_methodE3ELS4_3ELS4_3ELNS0_20block_scan_algorithmE0ELj4294967295EEENS1_25partition_config_selectorILNS1_17partition_subalgoE4EjNS0_10empty_typeEbEEZZNS1_14partition_implILS8_4ELb0ES6_15HIP_vector_typeIjLj2EENS0_17counting_iteratorIjlEEPS9_SG_NS0_5tupleIJPjSI_NS0_16reverse_iteratorISI_EEEEENSH_IJSG_SG_SG_EEES9_SI_JZNS1_25segmented_radix_sort_implINS0_14default_configELb1EPKhPhPKlPlN2at6native12_GLOBAL__N_18offset_tEEE10hipError_tPvRmT1_PNSt15iterator_traitsIS12_E10value_typeET2_T3_PNS13_IS18_E10value_typeET4_jRbjT5_S1E_jjP12ihipStream_tbEUljE_ZNSN_ISO_Lb1ESQ_SR_ST_SU_SY_EESZ_S10_S11_S12_S16_S17_S18_S1B_S1C_jS1D_jS1E_S1E_jjS1G_bEUljE0_EEESZ_S10_S11_S18_S1C_S1E_T6_T7_T9_mT8_S1G_bDpT10_ENKUlT_T0_E_clISt17integral_constantIbLb0EES1U_EEDaS1P_S1Q_EUlS1P_E_NS1_11comp_targetILNS1_3genE5ELNS1_11target_archE942ELNS1_3gpuE9ELNS1_3repE0EEENS1_30default_config_static_selectorELNS0_4arch9wavefront6targetE0EEEvS12_
		.amdhsa_group_segment_fixed_size 0
		.amdhsa_private_segment_fixed_size 0
		.amdhsa_kernarg_size 176
		.amdhsa_user_sgpr_count 6
		.amdhsa_user_sgpr_private_segment_buffer 1
		.amdhsa_user_sgpr_dispatch_ptr 0
		.amdhsa_user_sgpr_queue_ptr 0
		.amdhsa_user_sgpr_kernarg_segment_ptr 1
		.amdhsa_user_sgpr_dispatch_id 0
		.amdhsa_user_sgpr_flat_scratch_init 0
		.amdhsa_user_sgpr_private_segment_size 0
		.amdhsa_wavefront_size32 1
		.amdhsa_uses_dynamic_stack 0
		.amdhsa_system_sgpr_private_segment_wavefront_offset 0
		.amdhsa_system_sgpr_workgroup_id_x 1
		.amdhsa_system_sgpr_workgroup_id_y 0
		.amdhsa_system_sgpr_workgroup_id_z 0
		.amdhsa_system_sgpr_workgroup_info 0
		.amdhsa_system_vgpr_workitem_id 0
		.amdhsa_next_free_vgpr 1
		.amdhsa_next_free_sgpr 1
		.amdhsa_reserve_vcc 0
		.amdhsa_reserve_flat_scratch 0
		.amdhsa_float_round_mode_32 0
		.amdhsa_float_round_mode_16_64 0
		.amdhsa_float_denorm_mode_32 3
		.amdhsa_float_denorm_mode_16_64 3
		.amdhsa_dx10_clamp 1
		.amdhsa_ieee_mode 1
		.amdhsa_fp16_overflow 0
		.amdhsa_workgroup_processor_mode 1
		.amdhsa_memory_ordered 1
		.amdhsa_forward_progress 1
		.amdhsa_shared_vgpr_count 0
		.amdhsa_exception_fp_ieee_invalid_op 0
		.amdhsa_exception_fp_denorm_src 0
		.amdhsa_exception_fp_ieee_div_zero 0
		.amdhsa_exception_fp_ieee_overflow 0
		.amdhsa_exception_fp_ieee_underflow 0
		.amdhsa_exception_fp_ieee_inexact 0
		.amdhsa_exception_int_div_zero 0
	.end_amdhsa_kernel
	.section	.text._ZN7rocprim17ROCPRIM_400000_NS6detail17trampoline_kernelINS0_13select_configILj256ELj13ELNS0_17block_load_methodE3ELS4_3ELS4_3ELNS0_20block_scan_algorithmE0ELj4294967295EEENS1_25partition_config_selectorILNS1_17partition_subalgoE4EjNS0_10empty_typeEbEEZZNS1_14partition_implILS8_4ELb0ES6_15HIP_vector_typeIjLj2EENS0_17counting_iteratorIjlEEPS9_SG_NS0_5tupleIJPjSI_NS0_16reverse_iteratorISI_EEEEENSH_IJSG_SG_SG_EEES9_SI_JZNS1_25segmented_radix_sort_implINS0_14default_configELb1EPKhPhPKlPlN2at6native12_GLOBAL__N_18offset_tEEE10hipError_tPvRmT1_PNSt15iterator_traitsIS12_E10value_typeET2_T3_PNS13_IS18_E10value_typeET4_jRbjT5_S1E_jjP12ihipStream_tbEUljE_ZNSN_ISO_Lb1ESQ_SR_ST_SU_SY_EESZ_S10_S11_S12_S16_S17_S18_S1B_S1C_jS1D_jS1E_S1E_jjS1G_bEUljE0_EEESZ_S10_S11_S18_S1C_S1E_T6_T7_T9_mT8_S1G_bDpT10_ENKUlT_T0_E_clISt17integral_constantIbLb0EES1U_EEDaS1P_S1Q_EUlS1P_E_NS1_11comp_targetILNS1_3genE5ELNS1_11target_archE942ELNS1_3gpuE9ELNS1_3repE0EEENS1_30default_config_static_selectorELNS0_4arch9wavefront6targetE0EEEvS12_,"axG",@progbits,_ZN7rocprim17ROCPRIM_400000_NS6detail17trampoline_kernelINS0_13select_configILj256ELj13ELNS0_17block_load_methodE3ELS4_3ELS4_3ELNS0_20block_scan_algorithmE0ELj4294967295EEENS1_25partition_config_selectorILNS1_17partition_subalgoE4EjNS0_10empty_typeEbEEZZNS1_14partition_implILS8_4ELb0ES6_15HIP_vector_typeIjLj2EENS0_17counting_iteratorIjlEEPS9_SG_NS0_5tupleIJPjSI_NS0_16reverse_iteratorISI_EEEEENSH_IJSG_SG_SG_EEES9_SI_JZNS1_25segmented_radix_sort_implINS0_14default_configELb1EPKhPhPKlPlN2at6native12_GLOBAL__N_18offset_tEEE10hipError_tPvRmT1_PNSt15iterator_traitsIS12_E10value_typeET2_T3_PNS13_IS18_E10value_typeET4_jRbjT5_S1E_jjP12ihipStream_tbEUljE_ZNSN_ISO_Lb1ESQ_SR_ST_SU_SY_EESZ_S10_S11_S12_S16_S17_S18_S1B_S1C_jS1D_jS1E_S1E_jjS1G_bEUljE0_EEESZ_S10_S11_S18_S1C_S1E_T6_T7_T9_mT8_S1G_bDpT10_ENKUlT_T0_E_clISt17integral_constantIbLb0EES1U_EEDaS1P_S1Q_EUlS1P_E_NS1_11comp_targetILNS1_3genE5ELNS1_11target_archE942ELNS1_3gpuE9ELNS1_3repE0EEENS1_30default_config_static_selectorELNS0_4arch9wavefront6targetE0EEEvS12_,comdat
.Lfunc_end5:
	.size	_ZN7rocprim17ROCPRIM_400000_NS6detail17trampoline_kernelINS0_13select_configILj256ELj13ELNS0_17block_load_methodE3ELS4_3ELS4_3ELNS0_20block_scan_algorithmE0ELj4294967295EEENS1_25partition_config_selectorILNS1_17partition_subalgoE4EjNS0_10empty_typeEbEEZZNS1_14partition_implILS8_4ELb0ES6_15HIP_vector_typeIjLj2EENS0_17counting_iteratorIjlEEPS9_SG_NS0_5tupleIJPjSI_NS0_16reverse_iteratorISI_EEEEENSH_IJSG_SG_SG_EEES9_SI_JZNS1_25segmented_radix_sort_implINS0_14default_configELb1EPKhPhPKlPlN2at6native12_GLOBAL__N_18offset_tEEE10hipError_tPvRmT1_PNSt15iterator_traitsIS12_E10value_typeET2_T3_PNS13_IS18_E10value_typeET4_jRbjT5_S1E_jjP12ihipStream_tbEUljE_ZNSN_ISO_Lb1ESQ_SR_ST_SU_SY_EESZ_S10_S11_S12_S16_S17_S18_S1B_S1C_jS1D_jS1E_S1E_jjS1G_bEUljE0_EEESZ_S10_S11_S18_S1C_S1E_T6_T7_T9_mT8_S1G_bDpT10_ENKUlT_T0_E_clISt17integral_constantIbLb0EES1U_EEDaS1P_S1Q_EUlS1P_E_NS1_11comp_targetILNS1_3genE5ELNS1_11target_archE942ELNS1_3gpuE9ELNS1_3repE0EEENS1_30default_config_static_selectorELNS0_4arch9wavefront6targetE0EEEvS12_, .Lfunc_end5-_ZN7rocprim17ROCPRIM_400000_NS6detail17trampoline_kernelINS0_13select_configILj256ELj13ELNS0_17block_load_methodE3ELS4_3ELS4_3ELNS0_20block_scan_algorithmE0ELj4294967295EEENS1_25partition_config_selectorILNS1_17partition_subalgoE4EjNS0_10empty_typeEbEEZZNS1_14partition_implILS8_4ELb0ES6_15HIP_vector_typeIjLj2EENS0_17counting_iteratorIjlEEPS9_SG_NS0_5tupleIJPjSI_NS0_16reverse_iteratorISI_EEEEENSH_IJSG_SG_SG_EEES9_SI_JZNS1_25segmented_radix_sort_implINS0_14default_configELb1EPKhPhPKlPlN2at6native12_GLOBAL__N_18offset_tEEE10hipError_tPvRmT1_PNSt15iterator_traitsIS12_E10value_typeET2_T3_PNS13_IS18_E10value_typeET4_jRbjT5_S1E_jjP12ihipStream_tbEUljE_ZNSN_ISO_Lb1ESQ_SR_ST_SU_SY_EESZ_S10_S11_S12_S16_S17_S18_S1B_S1C_jS1D_jS1E_S1E_jjS1G_bEUljE0_EEESZ_S10_S11_S18_S1C_S1E_T6_T7_T9_mT8_S1G_bDpT10_ENKUlT_T0_E_clISt17integral_constantIbLb0EES1U_EEDaS1P_S1Q_EUlS1P_E_NS1_11comp_targetILNS1_3genE5ELNS1_11target_archE942ELNS1_3gpuE9ELNS1_3repE0EEENS1_30default_config_static_selectorELNS0_4arch9wavefront6targetE0EEEvS12_
                                        ; -- End function
	.set _ZN7rocprim17ROCPRIM_400000_NS6detail17trampoline_kernelINS0_13select_configILj256ELj13ELNS0_17block_load_methodE3ELS4_3ELS4_3ELNS0_20block_scan_algorithmE0ELj4294967295EEENS1_25partition_config_selectorILNS1_17partition_subalgoE4EjNS0_10empty_typeEbEEZZNS1_14partition_implILS8_4ELb0ES6_15HIP_vector_typeIjLj2EENS0_17counting_iteratorIjlEEPS9_SG_NS0_5tupleIJPjSI_NS0_16reverse_iteratorISI_EEEEENSH_IJSG_SG_SG_EEES9_SI_JZNS1_25segmented_radix_sort_implINS0_14default_configELb1EPKhPhPKlPlN2at6native12_GLOBAL__N_18offset_tEEE10hipError_tPvRmT1_PNSt15iterator_traitsIS12_E10value_typeET2_T3_PNS13_IS18_E10value_typeET4_jRbjT5_S1E_jjP12ihipStream_tbEUljE_ZNSN_ISO_Lb1ESQ_SR_ST_SU_SY_EESZ_S10_S11_S12_S16_S17_S18_S1B_S1C_jS1D_jS1E_S1E_jjS1G_bEUljE0_EEESZ_S10_S11_S18_S1C_S1E_T6_T7_T9_mT8_S1G_bDpT10_ENKUlT_T0_E_clISt17integral_constantIbLb0EES1U_EEDaS1P_S1Q_EUlS1P_E_NS1_11comp_targetILNS1_3genE5ELNS1_11target_archE942ELNS1_3gpuE9ELNS1_3repE0EEENS1_30default_config_static_selectorELNS0_4arch9wavefront6targetE0EEEvS12_.num_vgpr, 0
	.set _ZN7rocprim17ROCPRIM_400000_NS6detail17trampoline_kernelINS0_13select_configILj256ELj13ELNS0_17block_load_methodE3ELS4_3ELS4_3ELNS0_20block_scan_algorithmE0ELj4294967295EEENS1_25partition_config_selectorILNS1_17partition_subalgoE4EjNS0_10empty_typeEbEEZZNS1_14partition_implILS8_4ELb0ES6_15HIP_vector_typeIjLj2EENS0_17counting_iteratorIjlEEPS9_SG_NS0_5tupleIJPjSI_NS0_16reverse_iteratorISI_EEEEENSH_IJSG_SG_SG_EEES9_SI_JZNS1_25segmented_radix_sort_implINS0_14default_configELb1EPKhPhPKlPlN2at6native12_GLOBAL__N_18offset_tEEE10hipError_tPvRmT1_PNSt15iterator_traitsIS12_E10value_typeET2_T3_PNS13_IS18_E10value_typeET4_jRbjT5_S1E_jjP12ihipStream_tbEUljE_ZNSN_ISO_Lb1ESQ_SR_ST_SU_SY_EESZ_S10_S11_S12_S16_S17_S18_S1B_S1C_jS1D_jS1E_S1E_jjS1G_bEUljE0_EEESZ_S10_S11_S18_S1C_S1E_T6_T7_T9_mT8_S1G_bDpT10_ENKUlT_T0_E_clISt17integral_constantIbLb0EES1U_EEDaS1P_S1Q_EUlS1P_E_NS1_11comp_targetILNS1_3genE5ELNS1_11target_archE942ELNS1_3gpuE9ELNS1_3repE0EEENS1_30default_config_static_selectorELNS0_4arch9wavefront6targetE0EEEvS12_.num_agpr, 0
	.set _ZN7rocprim17ROCPRIM_400000_NS6detail17trampoline_kernelINS0_13select_configILj256ELj13ELNS0_17block_load_methodE3ELS4_3ELS4_3ELNS0_20block_scan_algorithmE0ELj4294967295EEENS1_25partition_config_selectorILNS1_17partition_subalgoE4EjNS0_10empty_typeEbEEZZNS1_14partition_implILS8_4ELb0ES6_15HIP_vector_typeIjLj2EENS0_17counting_iteratorIjlEEPS9_SG_NS0_5tupleIJPjSI_NS0_16reverse_iteratorISI_EEEEENSH_IJSG_SG_SG_EEES9_SI_JZNS1_25segmented_radix_sort_implINS0_14default_configELb1EPKhPhPKlPlN2at6native12_GLOBAL__N_18offset_tEEE10hipError_tPvRmT1_PNSt15iterator_traitsIS12_E10value_typeET2_T3_PNS13_IS18_E10value_typeET4_jRbjT5_S1E_jjP12ihipStream_tbEUljE_ZNSN_ISO_Lb1ESQ_SR_ST_SU_SY_EESZ_S10_S11_S12_S16_S17_S18_S1B_S1C_jS1D_jS1E_S1E_jjS1G_bEUljE0_EEESZ_S10_S11_S18_S1C_S1E_T6_T7_T9_mT8_S1G_bDpT10_ENKUlT_T0_E_clISt17integral_constantIbLb0EES1U_EEDaS1P_S1Q_EUlS1P_E_NS1_11comp_targetILNS1_3genE5ELNS1_11target_archE942ELNS1_3gpuE9ELNS1_3repE0EEENS1_30default_config_static_selectorELNS0_4arch9wavefront6targetE0EEEvS12_.numbered_sgpr, 0
	.set _ZN7rocprim17ROCPRIM_400000_NS6detail17trampoline_kernelINS0_13select_configILj256ELj13ELNS0_17block_load_methodE3ELS4_3ELS4_3ELNS0_20block_scan_algorithmE0ELj4294967295EEENS1_25partition_config_selectorILNS1_17partition_subalgoE4EjNS0_10empty_typeEbEEZZNS1_14partition_implILS8_4ELb0ES6_15HIP_vector_typeIjLj2EENS0_17counting_iteratorIjlEEPS9_SG_NS0_5tupleIJPjSI_NS0_16reverse_iteratorISI_EEEEENSH_IJSG_SG_SG_EEES9_SI_JZNS1_25segmented_radix_sort_implINS0_14default_configELb1EPKhPhPKlPlN2at6native12_GLOBAL__N_18offset_tEEE10hipError_tPvRmT1_PNSt15iterator_traitsIS12_E10value_typeET2_T3_PNS13_IS18_E10value_typeET4_jRbjT5_S1E_jjP12ihipStream_tbEUljE_ZNSN_ISO_Lb1ESQ_SR_ST_SU_SY_EESZ_S10_S11_S12_S16_S17_S18_S1B_S1C_jS1D_jS1E_S1E_jjS1G_bEUljE0_EEESZ_S10_S11_S18_S1C_S1E_T6_T7_T9_mT8_S1G_bDpT10_ENKUlT_T0_E_clISt17integral_constantIbLb0EES1U_EEDaS1P_S1Q_EUlS1P_E_NS1_11comp_targetILNS1_3genE5ELNS1_11target_archE942ELNS1_3gpuE9ELNS1_3repE0EEENS1_30default_config_static_selectorELNS0_4arch9wavefront6targetE0EEEvS12_.num_named_barrier, 0
	.set _ZN7rocprim17ROCPRIM_400000_NS6detail17trampoline_kernelINS0_13select_configILj256ELj13ELNS0_17block_load_methodE3ELS4_3ELS4_3ELNS0_20block_scan_algorithmE0ELj4294967295EEENS1_25partition_config_selectorILNS1_17partition_subalgoE4EjNS0_10empty_typeEbEEZZNS1_14partition_implILS8_4ELb0ES6_15HIP_vector_typeIjLj2EENS0_17counting_iteratorIjlEEPS9_SG_NS0_5tupleIJPjSI_NS0_16reverse_iteratorISI_EEEEENSH_IJSG_SG_SG_EEES9_SI_JZNS1_25segmented_radix_sort_implINS0_14default_configELb1EPKhPhPKlPlN2at6native12_GLOBAL__N_18offset_tEEE10hipError_tPvRmT1_PNSt15iterator_traitsIS12_E10value_typeET2_T3_PNS13_IS18_E10value_typeET4_jRbjT5_S1E_jjP12ihipStream_tbEUljE_ZNSN_ISO_Lb1ESQ_SR_ST_SU_SY_EESZ_S10_S11_S12_S16_S17_S18_S1B_S1C_jS1D_jS1E_S1E_jjS1G_bEUljE0_EEESZ_S10_S11_S18_S1C_S1E_T6_T7_T9_mT8_S1G_bDpT10_ENKUlT_T0_E_clISt17integral_constantIbLb0EES1U_EEDaS1P_S1Q_EUlS1P_E_NS1_11comp_targetILNS1_3genE5ELNS1_11target_archE942ELNS1_3gpuE9ELNS1_3repE0EEENS1_30default_config_static_selectorELNS0_4arch9wavefront6targetE0EEEvS12_.private_seg_size, 0
	.set _ZN7rocprim17ROCPRIM_400000_NS6detail17trampoline_kernelINS0_13select_configILj256ELj13ELNS0_17block_load_methodE3ELS4_3ELS4_3ELNS0_20block_scan_algorithmE0ELj4294967295EEENS1_25partition_config_selectorILNS1_17partition_subalgoE4EjNS0_10empty_typeEbEEZZNS1_14partition_implILS8_4ELb0ES6_15HIP_vector_typeIjLj2EENS0_17counting_iteratorIjlEEPS9_SG_NS0_5tupleIJPjSI_NS0_16reverse_iteratorISI_EEEEENSH_IJSG_SG_SG_EEES9_SI_JZNS1_25segmented_radix_sort_implINS0_14default_configELb1EPKhPhPKlPlN2at6native12_GLOBAL__N_18offset_tEEE10hipError_tPvRmT1_PNSt15iterator_traitsIS12_E10value_typeET2_T3_PNS13_IS18_E10value_typeET4_jRbjT5_S1E_jjP12ihipStream_tbEUljE_ZNSN_ISO_Lb1ESQ_SR_ST_SU_SY_EESZ_S10_S11_S12_S16_S17_S18_S1B_S1C_jS1D_jS1E_S1E_jjS1G_bEUljE0_EEESZ_S10_S11_S18_S1C_S1E_T6_T7_T9_mT8_S1G_bDpT10_ENKUlT_T0_E_clISt17integral_constantIbLb0EES1U_EEDaS1P_S1Q_EUlS1P_E_NS1_11comp_targetILNS1_3genE5ELNS1_11target_archE942ELNS1_3gpuE9ELNS1_3repE0EEENS1_30default_config_static_selectorELNS0_4arch9wavefront6targetE0EEEvS12_.uses_vcc, 0
	.set _ZN7rocprim17ROCPRIM_400000_NS6detail17trampoline_kernelINS0_13select_configILj256ELj13ELNS0_17block_load_methodE3ELS4_3ELS4_3ELNS0_20block_scan_algorithmE0ELj4294967295EEENS1_25partition_config_selectorILNS1_17partition_subalgoE4EjNS0_10empty_typeEbEEZZNS1_14partition_implILS8_4ELb0ES6_15HIP_vector_typeIjLj2EENS0_17counting_iteratorIjlEEPS9_SG_NS0_5tupleIJPjSI_NS0_16reverse_iteratorISI_EEEEENSH_IJSG_SG_SG_EEES9_SI_JZNS1_25segmented_radix_sort_implINS0_14default_configELb1EPKhPhPKlPlN2at6native12_GLOBAL__N_18offset_tEEE10hipError_tPvRmT1_PNSt15iterator_traitsIS12_E10value_typeET2_T3_PNS13_IS18_E10value_typeET4_jRbjT5_S1E_jjP12ihipStream_tbEUljE_ZNSN_ISO_Lb1ESQ_SR_ST_SU_SY_EESZ_S10_S11_S12_S16_S17_S18_S1B_S1C_jS1D_jS1E_S1E_jjS1G_bEUljE0_EEESZ_S10_S11_S18_S1C_S1E_T6_T7_T9_mT8_S1G_bDpT10_ENKUlT_T0_E_clISt17integral_constantIbLb0EES1U_EEDaS1P_S1Q_EUlS1P_E_NS1_11comp_targetILNS1_3genE5ELNS1_11target_archE942ELNS1_3gpuE9ELNS1_3repE0EEENS1_30default_config_static_selectorELNS0_4arch9wavefront6targetE0EEEvS12_.uses_flat_scratch, 0
	.set _ZN7rocprim17ROCPRIM_400000_NS6detail17trampoline_kernelINS0_13select_configILj256ELj13ELNS0_17block_load_methodE3ELS4_3ELS4_3ELNS0_20block_scan_algorithmE0ELj4294967295EEENS1_25partition_config_selectorILNS1_17partition_subalgoE4EjNS0_10empty_typeEbEEZZNS1_14partition_implILS8_4ELb0ES6_15HIP_vector_typeIjLj2EENS0_17counting_iteratorIjlEEPS9_SG_NS0_5tupleIJPjSI_NS0_16reverse_iteratorISI_EEEEENSH_IJSG_SG_SG_EEES9_SI_JZNS1_25segmented_radix_sort_implINS0_14default_configELb1EPKhPhPKlPlN2at6native12_GLOBAL__N_18offset_tEEE10hipError_tPvRmT1_PNSt15iterator_traitsIS12_E10value_typeET2_T3_PNS13_IS18_E10value_typeET4_jRbjT5_S1E_jjP12ihipStream_tbEUljE_ZNSN_ISO_Lb1ESQ_SR_ST_SU_SY_EESZ_S10_S11_S12_S16_S17_S18_S1B_S1C_jS1D_jS1E_S1E_jjS1G_bEUljE0_EEESZ_S10_S11_S18_S1C_S1E_T6_T7_T9_mT8_S1G_bDpT10_ENKUlT_T0_E_clISt17integral_constantIbLb0EES1U_EEDaS1P_S1Q_EUlS1P_E_NS1_11comp_targetILNS1_3genE5ELNS1_11target_archE942ELNS1_3gpuE9ELNS1_3repE0EEENS1_30default_config_static_selectorELNS0_4arch9wavefront6targetE0EEEvS12_.has_dyn_sized_stack, 0
	.set _ZN7rocprim17ROCPRIM_400000_NS6detail17trampoline_kernelINS0_13select_configILj256ELj13ELNS0_17block_load_methodE3ELS4_3ELS4_3ELNS0_20block_scan_algorithmE0ELj4294967295EEENS1_25partition_config_selectorILNS1_17partition_subalgoE4EjNS0_10empty_typeEbEEZZNS1_14partition_implILS8_4ELb0ES6_15HIP_vector_typeIjLj2EENS0_17counting_iteratorIjlEEPS9_SG_NS0_5tupleIJPjSI_NS0_16reverse_iteratorISI_EEEEENSH_IJSG_SG_SG_EEES9_SI_JZNS1_25segmented_radix_sort_implINS0_14default_configELb1EPKhPhPKlPlN2at6native12_GLOBAL__N_18offset_tEEE10hipError_tPvRmT1_PNSt15iterator_traitsIS12_E10value_typeET2_T3_PNS13_IS18_E10value_typeET4_jRbjT5_S1E_jjP12ihipStream_tbEUljE_ZNSN_ISO_Lb1ESQ_SR_ST_SU_SY_EESZ_S10_S11_S12_S16_S17_S18_S1B_S1C_jS1D_jS1E_S1E_jjS1G_bEUljE0_EEESZ_S10_S11_S18_S1C_S1E_T6_T7_T9_mT8_S1G_bDpT10_ENKUlT_T0_E_clISt17integral_constantIbLb0EES1U_EEDaS1P_S1Q_EUlS1P_E_NS1_11comp_targetILNS1_3genE5ELNS1_11target_archE942ELNS1_3gpuE9ELNS1_3repE0EEENS1_30default_config_static_selectorELNS0_4arch9wavefront6targetE0EEEvS12_.has_recursion, 0
	.set _ZN7rocprim17ROCPRIM_400000_NS6detail17trampoline_kernelINS0_13select_configILj256ELj13ELNS0_17block_load_methodE3ELS4_3ELS4_3ELNS0_20block_scan_algorithmE0ELj4294967295EEENS1_25partition_config_selectorILNS1_17partition_subalgoE4EjNS0_10empty_typeEbEEZZNS1_14partition_implILS8_4ELb0ES6_15HIP_vector_typeIjLj2EENS0_17counting_iteratorIjlEEPS9_SG_NS0_5tupleIJPjSI_NS0_16reverse_iteratorISI_EEEEENSH_IJSG_SG_SG_EEES9_SI_JZNS1_25segmented_radix_sort_implINS0_14default_configELb1EPKhPhPKlPlN2at6native12_GLOBAL__N_18offset_tEEE10hipError_tPvRmT1_PNSt15iterator_traitsIS12_E10value_typeET2_T3_PNS13_IS18_E10value_typeET4_jRbjT5_S1E_jjP12ihipStream_tbEUljE_ZNSN_ISO_Lb1ESQ_SR_ST_SU_SY_EESZ_S10_S11_S12_S16_S17_S18_S1B_S1C_jS1D_jS1E_S1E_jjS1G_bEUljE0_EEESZ_S10_S11_S18_S1C_S1E_T6_T7_T9_mT8_S1G_bDpT10_ENKUlT_T0_E_clISt17integral_constantIbLb0EES1U_EEDaS1P_S1Q_EUlS1P_E_NS1_11comp_targetILNS1_3genE5ELNS1_11target_archE942ELNS1_3gpuE9ELNS1_3repE0EEENS1_30default_config_static_selectorELNS0_4arch9wavefront6targetE0EEEvS12_.has_indirect_call, 0
	.section	.AMDGPU.csdata,"",@progbits
; Kernel info:
; codeLenInByte = 0
; TotalNumSgprs: 0
; NumVgprs: 0
; ScratchSize: 0
; MemoryBound: 0
; FloatMode: 240
; IeeeMode: 1
; LDSByteSize: 0 bytes/workgroup (compile time only)
; SGPRBlocks: 0
; VGPRBlocks: 0
; NumSGPRsForWavesPerEU: 1
; NumVGPRsForWavesPerEU: 1
; Occupancy: 16
; WaveLimiterHint : 0
; COMPUTE_PGM_RSRC2:SCRATCH_EN: 0
; COMPUTE_PGM_RSRC2:USER_SGPR: 6
; COMPUTE_PGM_RSRC2:TRAP_HANDLER: 0
; COMPUTE_PGM_RSRC2:TGID_X_EN: 1
; COMPUTE_PGM_RSRC2:TGID_Y_EN: 0
; COMPUTE_PGM_RSRC2:TGID_Z_EN: 0
; COMPUTE_PGM_RSRC2:TIDIG_COMP_CNT: 0
	.section	.text._ZN7rocprim17ROCPRIM_400000_NS6detail17trampoline_kernelINS0_13select_configILj256ELj13ELNS0_17block_load_methodE3ELS4_3ELS4_3ELNS0_20block_scan_algorithmE0ELj4294967295EEENS1_25partition_config_selectorILNS1_17partition_subalgoE4EjNS0_10empty_typeEbEEZZNS1_14partition_implILS8_4ELb0ES6_15HIP_vector_typeIjLj2EENS0_17counting_iteratorIjlEEPS9_SG_NS0_5tupleIJPjSI_NS0_16reverse_iteratorISI_EEEEENSH_IJSG_SG_SG_EEES9_SI_JZNS1_25segmented_radix_sort_implINS0_14default_configELb1EPKhPhPKlPlN2at6native12_GLOBAL__N_18offset_tEEE10hipError_tPvRmT1_PNSt15iterator_traitsIS12_E10value_typeET2_T3_PNS13_IS18_E10value_typeET4_jRbjT5_S1E_jjP12ihipStream_tbEUljE_ZNSN_ISO_Lb1ESQ_SR_ST_SU_SY_EESZ_S10_S11_S12_S16_S17_S18_S1B_S1C_jS1D_jS1E_S1E_jjS1G_bEUljE0_EEESZ_S10_S11_S18_S1C_S1E_T6_T7_T9_mT8_S1G_bDpT10_ENKUlT_T0_E_clISt17integral_constantIbLb0EES1U_EEDaS1P_S1Q_EUlS1P_E_NS1_11comp_targetILNS1_3genE4ELNS1_11target_archE910ELNS1_3gpuE8ELNS1_3repE0EEENS1_30default_config_static_selectorELNS0_4arch9wavefront6targetE0EEEvS12_,"axG",@progbits,_ZN7rocprim17ROCPRIM_400000_NS6detail17trampoline_kernelINS0_13select_configILj256ELj13ELNS0_17block_load_methodE3ELS4_3ELS4_3ELNS0_20block_scan_algorithmE0ELj4294967295EEENS1_25partition_config_selectorILNS1_17partition_subalgoE4EjNS0_10empty_typeEbEEZZNS1_14partition_implILS8_4ELb0ES6_15HIP_vector_typeIjLj2EENS0_17counting_iteratorIjlEEPS9_SG_NS0_5tupleIJPjSI_NS0_16reverse_iteratorISI_EEEEENSH_IJSG_SG_SG_EEES9_SI_JZNS1_25segmented_radix_sort_implINS0_14default_configELb1EPKhPhPKlPlN2at6native12_GLOBAL__N_18offset_tEEE10hipError_tPvRmT1_PNSt15iterator_traitsIS12_E10value_typeET2_T3_PNS13_IS18_E10value_typeET4_jRbjT5_S1E_jjP12ihipStream_tbEUljE_ZNSN_ISO_Lb1ESQ_SR_ST_SU_SY_EESZ_S10_S11_S12_S16_S17_S18_S1B_S1C_jS1D_jS1E_S1E_jjS1G_bEUljE0_EEESZ_S10_S11_S18_S1C_S1E_T6_T7_T9_mT8_S1G_bDpT10_ENKUlT_T0_E_clISt17integral_constantIbLb0EES1U_EEDaS1P_S1Q_EUlS1P_E_NS1_11comp_targetILNS1_3genE4ELNS1_11target_archE910ELNS1_3gpuE8ELNS1_3repE0EEENS1_30default_config_static_selectorELNS0_4arch9wavefront6targetE0EEEvS12_,comdat
	.globl	_ZN7rocprim17ROCPRIM_400000_NS6detail17trampoline_kernelINS0_13select_configILj256ELj13ELNS0_17block_load_methodE3ELS4_3ELS4_3ELNS0_20block_scan_algorithmE0ELj4294967295EEENS1_25partition_config_selectorILNS1_17partition_subalgoE4EjNS0_10empty_typeEbEEZZNS1_14partition_implILS8_4ELb0ES6_15HIP_vector_typeIjLj2EENS0_17counting_iteratorIjlEEPS9_SG_NS0_5tupleIJPjSI_NS0_16reverse_iteratorISI_EEEEENSH_IJSG_SG_SG_EEES9_SI_JZNS1_25segmented_radix_sort_implINS0_14default_configELb1EPKhPhPKlPlN2at6native12_GLOBAL__N_18offset_tEEE10hipError_tPvRmT1_PNSt15iterator_traitsIS12_E10value_typeET2_T3_PNS13_IS18_E10value_typeET4_jRbjT5_S1E_jjP12ihipStream_tbEUljE_ZNSN_ISO_Lb1ESQ_SR_ST_SU_SY_EESZ_S10_S11_S12_S16_S17_S18_S1B_S1C_jS1D_jS1E_S1E_jjS1G_bEUljE0_EEESZ_S10_S11_S18_S1C_S1E_T6_T7_T9_mT8_S1G_bDpT10_ENKUlT_T0_E_clISt17integral_constantIbLb0EES1U_EEDaS1P_S1Q_EUlS1P_E_NS1_11comp_targetILNS1_3genE4ELNS1_11target_archE910ELNS1_3gpuE8ELNS1_3repE0EEENS1_30default_config_static_selectorELNS0_4arch9wavefront6targetE0EEEvS12_ ; -- Begin function _ZN7rocprim17ROCPRIM_400000_NS6detail17trampoline_kernelINS0_13select_configILj256ELj13ELNS0_17block_load_methodE3ELS4_3ELS4_3ELNS0_20block_scan_algorithmE0ELj4294967295EEENS1_25partition_config_selectorILNS1_17partition_subalgoE4EjNS0_10empty_typeEbEEZZNS1_14partition_implILS8_4ELb0ES6_15HIP_vector_typeIjLj2EENS0_17counting_iteratorIjlEEPS9_SG_NS0_5tupleIJPjSI_NS0_16reverse_iteratorISI_EEEEENSH_IJSG_SG_SG_EEES9_SI_JZNS1_25segmented_radix_sort_implINS0_14default_configELb1EPKhPhPKlPlN2at6native12_GLOBAL__N_18offset_tEEE10hipError_tPvRmT1_PNSt15iterator_traitsIS12_E10value_typeET2_T3_PNS13_IS18_E10value_typeET4_jRbjT5_S1E_jjP12ihipStream_tbEUljE_ZNSN_ISO_Lb1ESQ_SR_ST_SU_SY_EESZ_S10_S11_S12_S16_S17_S18_S1B_S1C_jS1D_jS1E_S1E_jjS1G_bEUljE0_EEESZ_S10_S11_S18_S1C_S1E_T6_T7_T9_mT8_S1G_bDpT10_ENKUlT_T0_E_clISt17integral_constantIbLb0EES1U_EEDaS1P_S1Q_EUlS1P_E_NS1_11comp_targetILNS1_3genE4ELNS1_11target_archE910ELNS1_3gpuE8ELNS1_3repE0EEENS1_30default_config_static_selectorELNS0_4arch9wavefront6targetE0EEEvS12_
	.p2align	8
	.type	_ZN7rocprim17ROCPRIM_400000_NS6detail17trampoline_kernelINS0_13select_configILj256ELj13ELNS0_17block_load_methodE3ELS4_3ELS4_3ELNS0_20block_scan_algorithmE0ELj4294967295EEENS1_25partition_config_selectorILNS1_17partition_subalgoE4EjNS0_10empty_typeEbEEZZNS1_14partition_implILS8_4ELb0ES6_15HIP_vector_typeIjLj2EENS0_17counting_iteratorIjlEEPS9_SG_NS0_5tupleIJPjSI_NS0_16reverse_iteratorISI_EEEEENSH_IJSG_SG_SG_EEES9_SI_JZNS1_25segmented_radix_sort_implINS0_14default_configELb1EPKhPhPKlPlN2at6native12_GLOBAL__N_18offset_tEEE10hipError_tPvRmT1_PNSt15iterator_traitsIS12_E10value_typeET2_T3_PNS13_IS18_E10value_typeET4_jRbjT5_S1E_jjP12ihipStream_tbEUljE_ZNSN_ISO_Lb1ESQ_SR_ST_SU_SY_EESZ_S10_S11_S12_S16_S17_S18_S1B_S1C_jS1D_jS1E_S1E_jjS1G_bEUljE0_EEESZ_S10_S11_S18_S1C_S1E_T6_T7_T9_mT8_S1G_bDpT10_ENKUlT_T0_E_clISt17integral_constantIbLb0EES1U_EEDaS1P_S1Q_EUlS1P_E_NS1_11comp_targetILNS1_3genE4ELNS1_11target_archE910ELNS1_3gpuE8ELNS1_3repE0EEENS1_30default_config_static_selectorELNS0_4arch9wavefront6targetE0EEEvS12_,@function
_ZN7rocprim17ROCPRIM_400000_NS6detail17trampoline_kernelINS0_13select_configILj256ELj13ELNS0_17block_load_methodE3ELS4_3ELS4_3ELNS0_20block_scan_algorithmE0ELj4294967295EEENS1_25partition_config_selectorILNS1_17partition_subalgoE4EjNS0_10empty_typeEbEEZZNS1_14partition_implILS8_4ELb0ES6_15HIP_vector_typeIjLj2EENS0_17counting_iteratorIjlEEPS9_SG_NS0_5tupleIJPjSI_NS0_16reverse_iteratorISI_EEEEENSH_IJSG_SG_SG_EEES9_SI_JZNS1_25segmented_radix_sort_implINS0_14default_configELb1EPKhPhPKlPlN2at6native12_GLOBAL__N_18offset_tEEE10hipError_tPvRmT1_PNSt15iterator_traitsIS12_E10value_typeET2_T3_PNS13_IS18_E10value_typeET4_jRbjT5_S1E_jjP12ihipStream_tbEUljE_ZNSN_ISO_Lb1ESQ_SR_ST_SU_SY_EESZ_S10_S11_S12_S16_S17_S18_S1B_S1C_jS1D_jS1E_S1E_jjS1G_bEUljE0_EEESZ_S10_S11_S18_S1C_S1E_T6_T7_T9_mT8_S1G_bDpT10_ENKUlT_T0_E_clISt17integral_constantIbLb0EES1U_EEDaS1P_S1Q_EUlS1P_E_NS1_11comp_targetILNS1_3genE4ELNS1_11target_archE910ELNS1_3gpuE8ELNS1_3repE0EEENS1_30default_config_static_selectorELNS0_4arch9wavefront6targetE0EEEvS12_: ; @_ZN7rocprim17ROCPRIM_400000_NS6detail17trampoline_kernelINS0_13select_configILj256ELj13ELNS0_17block_load_methodE3ELS4_3ELS4_3ELNS0_20block_scan_algorithmE0ELj4294967295EEENS1_25partition_config_selectorILNS1_17partition_subalgoE4EjNS0_10empty_typeEbEEZZNS1_14partition_implILS8_4ELb0ES6_15HIP_vector_typeIjLj2EENS0_17counting_iteratorIjlEEPS9_SG_NS0_5tupleIJPjSI_NS0_16reverse_iteratorISI_EEEEENSH_IJSG_SG_SG_EEES9_SI_JZNS1_25segmented_radix_sort_implINS0_14default_configELb1EPKhPhPKlPlN2at6native12_GLOBAL__N_18offset_tEEE10hipError_tPvRmT1_PNSt15iterator_traitsIS12_E10value_typeET2_T3_PNS13_IS18_E10value_typeET4_jRbjT5_S1E_jjP12ihipStream_tbEUljE_ZNSN_ISO_Lb1ESQ_SR_ST_SU_SY_EESZ_S10_S11_S12_S16_S17_S18_S1B_S1C_jS1D_jS1E_S1E_jjS1G_bEUljE0_EEESZ_S10_S11_S18_S1C_S1E_T6_T7_T9_mT8_S1G_bDpT10_ENKUlT_T0_E_clISt17integral_constantIbLb0EES1U_EEDaS1P_S1Q_EUlS1P_E_NS1_11comp_targetILNS1_3genE4ELNS1_11target_archE910ELNS1_3gpuE8ELNS1_3repE0EEENS1_30default_config_static_selectorELNS0_4arch9wavefront6targetE0EEEvS12_
; %bb.0:
	.section	.rodata,"a",@progbits
	.p2align	6, 0x0
	.amdhsa_kernel _ZN7rocprim17ROCPRIM_400000_NS6detail17trampoline_kernelINS0_13select_configILj256ELj13ELNS0_17block_load_methodE3ELS4_3ELS4_3ELNS0_20block_scan_algorithmE0ELj4294967295EEENS1_25partition_config_selectorILNS1_17partition_subalgoE4EjNS0_10empty_typeEbEEZZNS1_14partition_implILS8_4ELb0ES6_15HIP_vector_typeIjLj2EENS0_17counting_iteratorIjlEEPS9_SG_NS0_5tupleIJPjSI_NS0_16reverse_iteratorISI_EEEEENSH_IJSG_SG_SG_EEES9_SI_JZNS1_25segmented_radix_sort_implINS0_14default_configELb1EPKhPhPKlPlN2at6native12_GLOBAL__N_18offset_tEEE10hipError_tPvRmT1_PNSt15iterator_traitsIS12_E10value_typeET2_T3_PNS13_IS18_E10value_typeET4_jRbjT5_S1E_jjP12ihipStream_tbEUljE_ZNSN_ISO_Lb1ESQ_SR_ST_SU_SY_EESZ_S10_S11_S12_S16_S17_S18_S1B_S1C_jS1D_jS1E_S1E_jjS1G_bEUljE0_EEESZ_S10_S11_S18_S1C_S1E_T6_T7_T9_mT8_S1G_bDpT10_ENKUlT_T0_E_clISt17integral_constantIbLb0EES1U_EEDaS1P_S1Q_EUlS1P_E_NS1_11comp_targetILNS1_3genE4ELNS1_11target_archE910ELNS1_3gpuE8ELNS1_3repE0EEENS1_30default_config_static_selectorELNS0_4arch9wavefront6targetE0EEEvS12_
		.amdhsa_group_segment_fixed_size 0
		.amdhsa_private_segment_fixed_size 0
		.amdhsa_kernarg_size 176
		.amdhsa_user_sgpr_count 6
		.amdhsa_user_sgpr_private_segment_buffer 1
		.amdhsa_user_sgpr_dispatch_ptr 0
		.amdhsa_user_sgpr_queue_ptr 0
		.amdhsa_user_sgpr_kernarg_segment_ptr 1
		.amdhsa_user_sgpr_dispatch_id 0
		.amdhsa_user_sgpr_flat_scratch_init 0
		.amdhsa_user_sgpr_private_segment_size 0
		.amdhsa_wavefront_size32 1
		.amdhsa_uses_dynamic_stack 0
		.amdhsa_system_sgpr_private_segment_wavefront_offset 0
		.amdhsa_system_sgpr_workgroup_id_x 1
		.amdhsa_system_sgpr_workgroup_id_y 0
		.amdhsa_system_sgpr_workgroup_id_z 0
		.amdhsa_system_sgpr_workgroup_info 0
		.amdhsa_system_vgpr_workitem_id 0
		.amdhsa_next_free_vgpr 1
		.amdhsa_next_free_sgpr 1
		.amdhsa_reserve_vcc 0
		.amdhsa_reserve_flat_scratch 0
		.amdhsa_float_round_mode_32 0
		.amdhsa_float_round_mode_16_64 0
		.amdhsa_float_denorm_mode_32 3
		.amdhsa_float_denorm_mode_16_64 3
		.amdhsa_dx10_clamp 1
		.amdhsa_ieee_mode 1
		.amdhsa_fp16_overflow 0
		.amdhsa_workgroup_processor_mode 1
		.amdhsa_memory_ordered 1
		.amdhsa_forward_progress 1
		.amdhsa_shared_vgpr_count 0
		.amdhsa_exception_fp_ieee_invalid_op 0
		.amdhsa_exception_fp_denorm_src 0
		.amdhsa_exception_fp_ieee_div_zero 0
		.amdhsa_exception_fp_ieee_overflow 0
		.amdhsa_exception_fp_ieee_underflow 0
		.amdhsa_exception_fp_ieee_inexact 0
		.amdhsa_exception_int_div_zero 0
	.end_amdhsa_kernel
	.section	.text._ZN7rocprim17ROCPRIM_400000_NS6detail17trampoline_kernelINS0_13select_configILj256ELj13ELNS0_17block_load_methodE3ELS4_3ELS4_3ELNS0_20block_scan_algorithmE0ELj4294967295EEENS1_25partition_config_selectorILNS1_17partition_subalgoE4EjNS0_10empty_typeEbEEZZNS1_14partition_implILS8_4ELb0ES6_15HIP_vector_typeIjLj2EENS0_17counting_iteratorIjlEEPS9_SG_NS0_5tupleIJPjSI_NS0_16reverse_iteratorISI_EEEEENSH_IJSG_SG_SG_EEES9_SI_JZNS1_25segmented_radix_sort_implINS0_14default_configELb1EPKhPhPKlPlN2at6native12_GLOBAL__N_18offset_tEEE10hipError_tPvRmT1_PNSt15iterator_traitsIS12_E10value_typeET2_T3_PNS13_IS18_E10value_typeET4_jRbjT5_S1E_jjP12ihipStream_tbEUljE_ZNSN_ISO_Lb1ESQ_SR_ST_SU_SY_EESZ_S10_S11_S12_S16_S17_S18_S1B_S1C_jS1D_jS1E_S1E_jjS1G_bEUljE0_EEESZ_S10_S11_S18_S1C_S1E_T6_T7_T9_mT8_S1G_bDpT10_ENKUlT_T0_E_clISt17integral_constantIbLb0EES1U_EEDaS1P_S1Q_EUlS1P_E_NS1_11comp_targetILNS1_3genE4ELNS1_11target_archE910ELNS1_3gpuE8ELNS1_3repE0EEENS1_30default_config_static_selectorELNS0_4arch9wavefront6targetE0EEEvS12_,"axG",@progbits,_ZN7rocprim17ROCPRIM_400000_NS6detail17trampoline_kernelINS0_13select_configILj256ELj13ELNS0_17block_load_methodE3ELS4_3ELS4_3ELNS0_20block_scan_algorithmE0ELj4294967295EEENS1_25partition_config_selectorILNS1_17partition_subalgoE4EjNS0_10empty_typeEbEEZZNS1_14partition_implILS8_4ELb0ES6_15HIP_vector_typeIjLj2EENS0_17counting_iteratorIjlEEPS9_SG_NS0_5tupleIJPjSI_NS0_16reverse_iteratorISI_EEEEENSH_IJSG_SG_SG_EEES9_SI_JZNS1_25segmented_radix_sort_implINS0_14default_configELb1EPKhPhPKlPlN2at6native12_GLOBAL__N_18offset_tEEE10hipError_tPvRmT1_PNSt15iterator_traitsIS12_E10value_typeET2_T3_PNS13_IS18_E10value_typeET4_jRbjT5_S1E_jjP12ihipStream_tbEUljE_ZNSN_ISO_Lb1ESQ_SR_ST_SU_SY_EESZ_S10_S11_S12_S16_S17_S18_S1B_S1C_jS1D_jS1E_S1E_jjS1G_bEUljE0_EEESZ_S10_S11_S18_S1C_S1E_T6_T7_T9_mT8_S1G_bDpT10_ENKUlT_T0_E_clISt17integral_constantIbLb0EES1U_EEDaS1P_S1Q_EUlS1P_E_NS1_11comp_targetILNS1_3genE4ELNS1_11target_archE910ELNS1_3gpuE8ELNS1_3repE0EEENS1_30default_config_static_selectorELNS0_4arch9wavefront6targetE0EEEvS12_,comdat
.Lfunc_end6:
	.size	_ZN7rocprim17ROCPRIM_400000_NS6detail17trampoline_kernelINS0_13select_configILj256ELj13ELNS0_17block_load_methodE3ELS4_3ELS4_3ELNS0_20block_scan_algorithmE0ELj4294967295EEENS1_25partition_config_selectorILNS1_17partition_subalgoE4EjNS0_10empty_typeEbEEZZNS1_14partition_implILS8_4ELb0ES6_15HIP_vector_typeIjLj2EENS0_17counting_iteratorIjlEEPS9_SG_NS0_5tupleIJPjSI_NS0_16reverse_iteratorISI_EEEEENSH_IJSG_SG_SG_EEES9_SI_JZNS1_25segmented_radix_sort_implINS0_14default_configELb1EPKhPhPKlPlN2at6native12_GLOBAL__N_18offset_tEEE10hipError_tPvRmT1_PNSt15iterator_traitsIS12_E10value_typeET2_T3_PNS13_IS18_E10value_typeET4_jRbjT5_S1E_jjP12ihipStream_tbEUljE_ZNSN_ISO_Lb1ESQ_SR_ST_SU_SY_EESZ_S10_S11_S12_S16_S17_S18_S1B_S1C_jS1D_jS1E_S1E_jjS1G_bEUljE0_EEESZ_S10_S11_S18_S1C_S1E_T6_T7_T9_mT8_S1G_bDpT10_ENKUlT_T0_E_clISt17integral_constantIbLb0EES1U_EEDaS1P_S1Q_EUlS1P_E_NS1_11comp_targetILNS1_3genE4ELNS1_11target_archE910ELNS1_3gpuE8ELNS1_3repE0EEENS1_30default_config_static_selectorELNS0_4arch9wavefront6targetE0EEEvS12_, .Lfunc_end6-_ZN7rocprim17ROCPRIM_400000_NS6detail17trampoline_kernelINS0_13select_configILj256ELj13ELNS0_17block_load_methodE3ELS4_3ELS4_3ELNS0_20block_scan_algorithmE0ELj4294967295EEENS1_25partition_config_selectorILNS1_17partition_subalgoE4EjNS0_10empty_typeEbEEZZNS1_14partition_implILS8_4ELb0ES6_15HIP_vector_typeIjLj2EENS0_17counting_iteratorIjlEEPS9_SG_NS0_5tupleIJPjSI_NS0_16reverse_iteratorISI_EEEEENSH_IJSG_SG_SG_EEES9_SI_JZNS1_25segmented_radix_sort_implINS0_14default_configELb1EPKhPhPKlPlN2at6native12_GLOBAL__N_18offset_tEEE10hipError_tPvRmT1_PNSt15iterator_traitsIS12_E10value_typeET2_T3_PNS13_IS18_E10value_typeET4_jRbjT5_S1E_jjP12ihipStream_tbEUljE_ZNSN_ISO_Lb1ESQ_SR_ST_SU_SY_EESZ_S10_S11_S12_S16_S17_S18_S1B_S1C_jS1D_jS1E_S1E_jjS1G_bEUljE0_EEESZ_S10_S11_S18_S1C_S1E_T6_T7_T9_mT8_S1G_bDpT10_ENKUlT_T0_E_clISt17integral_constantIbLb0EES1U_EEDaS1P_S1Q_EUlS1P_E_NS1_11comp_targetILNS1_3genE4ELNS1_11target_archE910ELNS1_3gpuE8ELNS1_3repE0EEENS1_30default_config_static_selectorELNS0_4arch9wavefront6targetE0EEEvS12_
                                        ; -- End function
	.set _ZN7rocprim17ROCPRIM_400000_NS6detail17trampoline_kernelINS0_13select_configILj256ELj13ELNS0_17block_load_methodE3ELS4_3ELS4_3ELNS0_20block_scan_algorithmE0ELj4294967295EEENS1_25partition_config_selectorILNS1_17partition_subalgoE4EjNS0_10empty_typeEbEEZZNS1_14partition_implILS8_4ELb0ES6_15HIP_vector_typeIjLj2EENS0_17counting_iteratorIjlEEPS9_SG_NS0_5tupleIJPjSI_NS0_16reverse_iteratorISI_EEEEENSH_IJSG_SG_SG_EEES9_SI_JZNS1_25segmented_radix_sort_implINS0_14default_configELb1EPKhPhPKlPlN2at6native12_GLOBAL__N_18offset_tEEE10hipError_tPvRmT1_PNSt15iterator_traitsIS12_E10value_typeET2_T3_PNS13_IS18_E10value_typeET4_jRbjT5_S1E_jjP12ihipStream_tbEUljE_ZNSN_ISO_Lb1ESQ_SR_ST_SU_SY_EESZ_S10_S11_S12_S16_S17_S18_S1B_S1C_jS1D_jS1E_S1E_jjS1G_bEUljE0_EEESZ_S10_S11_S18_S1C_S1E_T6_T7_T9_mT8_S1G_bDpT10_ENKUlT_T0_E_clISt17integral_constantIbLb0EES1U_EEDaS1P_S1Q_EUlS1P_E_NS1_11comp_targetILNS1_3genE4ELNS1_11target_archE910ELNS1_3gpuE8ELNS1_3repE0EEENS1_30default_config_static_selectorELNS0_4arch9wavefront6targetE0EEEvS12_.num_vgpr, 0
	.set _ZN7rocprim17ROCPRIM_400000_NS6detail17trampoline_kernelINS0_13select_configILj256ELj13ELNS0_17block_load_methodE3ELS4_3ELS4_3ELNS0_20block_scan_algorithmE0ELj4294967295EEENS1_25partition_config_selectorILNS1_17partition_subalgoE4EjNS0_10empty_typeEbEEZZNS1_14partition_implILS8_4ELb0ES6_15HIP_vector_typeIjLj2EENS0_17counting_iteratorIjlEEPS9_SG_NS0_5tupleIJPjSI_NS0_16reverse_iteratorISI_EEEEENSH_IJSG_SG_SG_EEES9_SI_JZNS1_25segmented_radix_sort_implINS0_14default_configELb1EPKhPhPKlPlN2at6native12_GLOBAL__N_18offset_tEEE10hipError_tPvRmT1_PNSt15iterator_traitsIS12_E10value_typeET2_T3_PNS13_IS18_E10value_typeET4_jRbjT5_S1E_jjP12ihipStream_tbEUljE_ZNSN_ISO_Lb1ESQ_SR_ST_SU_SY_EESZ_S10_S11_S12_S16_S17_S18_S1B_S1C_jS1D_jS1E_S1E_jjS1G_bEUljE0_EEESZ_S10_S11_S18_S1C_S1E_T6_T7_T9_mT8_S1G_bDpT10_ENKUlT_T0_E_clISt17integral_constantIbLb0EES1U_EEDaS1P_S1Q_EUlS1P_E_NS1_11comp_targetILNS1_3genE4ELNS1_11target_archE910ELNS1_3gpuE8ELNS1_3repE0EEENS1_30default_config_static_selectorELNS0_4arch9wavefront6targetE0EEEvS12_.num_agpr, 0
	.set _ZN7rocprim17ROCPRIM_400000_NS6detail17trampoline_kernelINS0_13select_configILj256ELj13ELNS0_17block_load_methodE3ELS4_3ELS4_3ELNS0_20block_scan_algorithmE0ELj4294967295EEENS1_25partition_config_selectorILNS1_17partition_subalgoE4EjNS0_10empty_typeEbEEZZNS1_14partition_implILS8_4ELb0ES6_15HIP_vector_typeIjLj2EENS0_17counting_iteratorIjlEEPS9_SG_NS0_5tupleIJPjSI_NS0_16reverse_iteratorISI_EEEEENSH_IJSG_SG_SG_EEES9_SI_JZNS1_25segmented_radix_sort_implINS0_14default_configELb1EPKhPhPKlPlN2at6native12_GLOBAL__N_18offset_tEEE10hipError_tPvRmT1_PNSt15iterator_traitsIS12_E10value_typeET2_T3_PNS13_IS18_E10value_typeET4_jRbjT5_S1E_jjP12ihipStream_tbEUljE_ZNSN_ISO_Lb1ESQ_SR_ST_SU_SY_EESZ_S10_S11_S12_S16_S17_S18_S1B_S1C_jS1D_jS1E_S1E_jjS1G_bEUljE0_EEESZ_S10_S11_S18_S1C_S1E_T6_T7_T9_mT8_S1G_bDpT10_ENKUlT_T0_E_clISt17integral_constantIbLb0EES1U_EEDaS1P_S1Q_EUlS1P_E_NS1_11comp_targetILNS1_3genE4ELNS1_11target_archE910ELNS1_3gpuE8ELNS1_3repE0EEENS1_30default_config_static_selectorELNS0_4arch9wavefront6targetE0EEEvS12_.numbered_sgpr, 0
	.set _ZN7rocprim17ROCPRIM_400000_NS6detail17trampoline_kernelINS0_13select_configILj256ELj13ELNS0_17block_load_methodE3ELS4_3ELS4_3ELNS0_20block_scan_algorithmE0ELj4294967295EEENS1_25partition_config_selectorILNS1_17partition_subalgoE4EjNS0_10empty_typeEbEEZZNS1_14partition_implILS8_4ELb0ES6_15HIP_vector_typeIjLj2EENS0_17counting_iteratorIjlEEPS9_SG_NS0_5tupleIJPjSI_NS0_16reverse_iteratorISI_EEEEENSH_IJSG_SG_SG_EEES9_SI_JZNS1_25segmented_radix_sort_implINS0_14default_configELb1EPKhPhPKlPlN2at6native12_GLOBAL__N_18offset_tEEE10hipError_tPvRmT1_PNSt15iterator_traitsIS12_E10value_typeET2_T3_PNS13_IS18_E10value_typeET4_jRbjT5_S1E_jjP12ihipStream_tbEUljE_ZNSN_ISO_Lb1ESQ_SR_ST_SU_SY_EESZ_S10_S11_S12_S16_S17_S18_S1B_S1C_jS1D_jS1E_S1E_jjS1G_bEUljE0_EEESZ_S10_S11_S18_S1C_S1E_T6_T7_T9_mT8_S1G_bDpT10_ENKUlT_T0_E_clISt17integral_constantIbLb0EES1U_EEDaS1P_S1Q_EUlS1P_E_NS1_11comp_targetILNS1_3genE4ELNS1_11target_archE910ELNS1_3gpuE8ELNS1_3repE0EEENS1_30default_config_static_selectorELNS0_4arch9wavefront6targetE0EEEvS12_.num_named_barrier, 0
	.set _ZN7rocprim17ROCPRIM_400000_NS6detail17trampoline_kernelINS0_13select_configILj256ELj13ELNS0_17block_load_methodE3ELS4_3ELS4_3ELNS0_20block_scan_algorithmE0ELj4294967295EEENS1_25partition_config_selectorILNS1_17partition_subalgoE4EjNS0_10empty_typeEbEEZZNS1_14partition_implILS8_4ELb0ES6_15HIP_vector_typeIjLj2EENS0_17counting_iteratorIjlEEPS9_SG_NS0_5tupleIJPjSI_NS0_16reverse_iteratorISI_EEEEENSH_IJSG_SG_SG_EEES9_SI_JZNS1_25segmented_radix_sort_implINS0_14default_configELb1EPKhPhPKlPlN2at6native12_GLOBAL__N_18offset_tEEE10hipError_tPvRmT1_PNSt15iterator_traitsIS12_E10value_typeET2_T3_PNS13_IS18_E10value_typeET4_jRbjT5_S1E_jjP12ihipStream_tbEUljE_ZNSN_ISO_Lb1ESQ_SR_ST_SU_SY_EESZ_S10_S11_S12_S16_S17_S18_S1B_S1C_jS1D_jS1E_S1E_jjS1G_bEUljE0_EEESZ_S10_S11_S18_S1C_S1E_T6_T7_T9_mT8_S1G_bDpT10_ENKUlT_T0_E_clISt17integral_constantIbLb0EES1U_EEDaS1P_S1Q_EUlS1P_E_NS1_11comp_targetILNS1_3genE4ELNS1_11target_archE910ELNS1_3gpuE8ELNS1_3repE0EEENS1_30default_config_static_selectorELNS0_4arch9wavefront6targetE0EEEvS12_.private_seg_size, 0
	.set _ZN7rocprim17ROCPRIM_400000_NS6detail17trampoline_kernelINS0_13select_configILj256ELj13ELNS0_17block_load_methodE3ELS4_3ELS4_3ELNS0_20block_scan_algorithmE0ELj4294967295EEENS1_25partition_config_selectorILNS1_17partition_subalgoE4EjNS0_10empty_typeEbEEZZNS1_14partition_implILS8_4ELb0ES6_15HIP_vector_typeIjLj2EENS0_17counting_iteratorIjlEEPS9_SG_NS0_5tupleIJPjSI_NS0_16reverse_iteratorISI_EEEEENSH_IJSG_SG_SG_EEES9_SI_JZNS1_25segmented_radix_sort_implINS0_14default_configELb1EPKhPhPKlPlN2at6native12_GLOBAL__N_18offset_tEEE10hipError_tPvRmT1_PNSt15iterator_traitsIS12_E10value_typeET2_T3_PNS13_IS18_E10value_typeET4_jRbjT5_S1E_jjP12ihipStream_tbEUljE_ZNSN_ISO_Lb1ESQ_SR_ST_SU_SY_EESZ_S10_S11_S12_S16_S17_S18_S1B_S1C_jS1D_jS1E_S1E_jjS1G_bEUljE0_EEESZ_S10_S11_S18_S1C_S1E_T6_T7_T9_mT8_S1G_bDpT10_ENKUlT_T0_E_clISt17integral_constantIbLb0EES1U_EEDaS1P_S1Q_EUlS1P_E_NS1_11comp_targetILNS1_3genE4ELNS1_11target_archE910ELNS1_3gpuE8ELNS1_3repE0EEENS1_30default_config_static_selectorELNS0_4arch9wavefront6targetE0EEEvS12_.uses_vcc, 0
	.set _ZN7rocprim17ROCPRIM_400000_NS6detail17trampoline_kernelINS0_13select_configILj256ELj13ELNS0_17block_load_methodE3ELS4_3ELS4_3ELNS0_20block_scan_algorithmE0ELj4294967295EEENS1_25partition_config_selectorILNS1_17partition_subalgoE4EjNS0_10empty_typeEbEEZZNS1_14partition_implILS8_4ELb0ES6_15HIP_vector_typeIjLj2EENS0_17counting_iteratorIjlEEPS9_SG_NS0_5tupleIJPjSI_NS0_16reverse_iteratorISI_EEEEENSH_IJSG_SG_SG_EEES9_SI_JZNS1_25segmented_radix_sort_implINS0_14default_configELb1EPKhPhPKlPlN2at6native12_GLOBAL__N_18offset_tEEE10hipError_tPvRmT1_PNSt15iterator_traitsIS12_E10value_typeET2_T3_PNS13_IS18_E10value_typeET4_jRbjT5_S1E_jjP12ihipStream_tbEUljE_ZNSN_ISO_Lb1ESQ_SR_ST_SU_SY_EESZ_S10_S11_S12_S16_S17_S18_S1B_S1C_jS1D_jS1E_S1E_jjS1G_bEUljE0_EEESZ_S10_S11_S18_S1C_S1E_T6_T7_T9_mT8_S1G_bDpT10_ENKUlT_T0_E_clISt17integral_constantIbLb0EES1U_EEDaS1P_S1Q_EUlS1P_E_NS1_11comp_targetILNS1_3genE4ELNS1_11target_archE910ELNS1_3gpuE8ELNS1_3repE0EEENS1_30default_config_static_selectorELNS0_4arch9wavefront6targetE0EEEvS12_.uses_flat_scratch, 0
	.set _ZN7rocprim17ROCPRIM_400000_NS6detail17trampoline_kernelINS0_13select_configILj256ELj13ELNS0_17block_load_methodE3ELS4_3ELS4_3ELNS0_20block_scan_algorithmE0ELj4294967295EEENS1_25partition_config_selectorILNS1_17partition_subalgoE4EjNS0_10empty_typeEbEEZZNS1_14partition_implILS8_4ELb0ES6_15HIP_vector_typeIjLj2EENS0_17counting_iteratorIjlEEPS9_SG_NS0_5tupleIJPjSI_NS0_16reverse_iteratorISI_EEEEENSH_IJSG_SG_SG_EEES9_SI_JZNS1_25segmented_radix_sort_implINS0_14default_configELb1EPKhPhPKlPlN2at6native12_GLOBAL__N_18offset_tEEE10hipError_tPvRmT1_PNSt15iterator_traitsIS12_E10value_typeET2_T3_PNS13_IS18_E10value_typeET4_jRbjT5_S1E_jjP12ihipStream_tbEUljE_ZNSN_ISO_Lb1ESQ_SR_ST_SU_SY_EESZ_S10_S11_S12_S16_S17_S18_S1B_S1C_jS1D_jS1E_S1E_jjS1G_bEUljE0_EEESZ_S10_S11_S18_S1C_S1E_T6_T7_T9_mT8_S1G_bDpT10_ENKUlT_T0_E_clISt17integral_constantIbLb0EES1U_EEDaS1P_S1Q_EUlS1P_E_NS1_11comp_targetILNS1_3genE4ELNS1_11target_archE910ELNS1_3gpuE8ELNS1_3repE0EEENS1_30default_config_static_selectorELNS0_4arch9wavefront6targetE0EEEvS12_.has_dyn_sized_stack, 0
	.set _ZN7rocprim17ROCPRIM_400000_NS6detail17trampoline_kernelINS0_13select_configILj256ELj13ELNS0_17block_load_methodE3ELS4_3ELS4_3ELNS0_20block_scan_algorithmE0ELj4294967295EEENS1_25partition_config_selectorILNS1_17partition_subalgoE4EjNS0_10empty_typeEbEEZZNS1_14partition_implILS8_4ELb0ES6_15HIP_vector_typeIjLj2EENS0_17counting_iteratorIjlEEPS9_SG_NS0_5tupleIJPjSI_NS0_16reverse_iteratorISI_EEEEENSH_IJSG_SG_SG_EEES9_SI_JZNS1_25segmented_radix_sort_implINS0_14default_configELb1EPKhPhPKlPlN2at6native12_GLOBAL__N_18offset_tEEE10hipError_tPvRmT1_PNSt15iterator_traitsIS12_E10value_typeET2_T3_PNS13_IS18_E10value_typeET4_jRbjT5_S1E_jjP12ihipStream_tbEUljE_ZNSN_ISO_Lb1ESQ_SR_ST_SU_SY_EESZ_S10_S11_S12_S16_S17_S18_S1B_S1C_jS1D_jS1E_S1E_jjS1G_bEUljE0_EEESZ_S10_S11_S18_S1C_S1E_T6_T7_T9_mT8_S1G_bDpT10_ENKUlT_T0_E_clISt17integral_constantIbLb0EES1U_EEDaS1P_S1Q_EUlS1P_E_NS1_11comp_targetILNS1_3genE4ELNS1_11target_archE910ELNS1_3gpuE8ELNS1_3repE0EEENS1_30default_config_static_selectorELNS0_4arch9wavefront6targetE0EEEvS12_.has_recursion, 0
	.set _ZN7rocprim17ROCPRIM_400000_NS6detail17trampoline_kernelINS0_13select_configILj256ELj13ELNS0_17block_load_methodE3ELS4_3ELS4_3ELNS0_20block_scan_algorithmE0ELj4294967295EEENS1_25partition_config_selectorILNS1_17partition_subalgoE4EjNS0_10empty_typeEbEEZZNS1_14partition_implILS8_4ELb0ES6_15HIP_vector_typeIjLj2EENS0_17counting_iteratorIjlEEPS9_SG_NS0_5tupleIJPjSI_NS0_16reverse_iteratorISI_EEEEENSH_IJSG_SG_SG_EEES9_SI_JZNS1_25segmented_radix_sort_implINS0_14default_configELb1EPKhPhPKlPlN2at6native12_GLOBAL__N_18offset_tEEE10hipError_tPvRmT1_PNSt15iterator_traitsIS12_E10value_typeET2_T3_PNS13_IS18_E10value_typeET4_jRbjT5_S1E_jjP12ihipStream_tbEUljE_ZNSN_ISO_Lb1ESQ_SR_ST_SU_SY_EESZ_S10_S11_S12_S16_S17_S18_S1B_S1C_jS1D_jS1E_S1E_jjS1G_bEUljE0_EEESZ_S10_S11_S18_S1C_S1E_T6_T7_T9_mT8_S1G_bDpT10_ENKUlT_T0_E_clISt17integral_constantIbLb0EES1U_EEDaS1P_S1Q_EUlS1P_E_NS1_11comp_targetILNS1_3genE4ELNS1_11target_archE910ELNS1_3gpuE8ELNS1_3repE0EEENS1_30default_config_static_selectorELNS0_4arch9wavefront6targetE0EEEvS12_.has_indirect_call, 0
	.section	.AMDGPU.csdata,"",@progbits
; Kernel info:
; codeLenInByte = 0
; TotalNumSgprs: 0
; NumVgprs: 0
; ScratchSize: 0
; MemoryBound: 0
; FloatMode: 240
; IeeeMode: 1
; LDSByteSize: 0 bytes/workgroup (compile time only)
; SGPRBlocks: 0
; VGPRBlocks: 0
; NumSGPRsForWavesPerEU: 1
; NumVGPRsForWavesPerEU: 1
; Occupancy: 16
; WaveLimiterHint : 0
; COMPUTE_PGM_RSRC2:SCRATCH_EN: 0
; COMPUTE_PGM_RSRC2:USER_SGPR: 6
; COMPUTE_PGM_RSRC2:TRAP_HANDLER: 0
; COMPUTE_PGM_RSRC2:TGID_X_EN: 1
; COMPUTE_PGM_RSRC2:TGID_Y_EN: 0
; COMPUTE_PGM_RSRC2:TGID_Z_EN: 0
; COMPUTE_PGM_RSRC2:TIDIG_COMP_CNT: 0
	.section	.text._ZN7rocprim17ROCPRIM_400000_NS6detail17trampoline_kernelINS0_13select_configILj256ELj13ELNS0_17block_load_methodE3ELS4_3ELS4_3ELNS0_20block_scan_algorithmE0ELj4294967295EEENS1_25partition_config_selectorILNS1_17partition_subalgoE4EjNS0_10empty_typeEbEEZZNS1_14partition_implILS8_4ELb0ES6_15HIP_vector_typeIjLj2EENS0_17counting_iteratorIjlEEPS9_SG_NS0_5tupleIJPjSI_NS0_16reverse_iteratorISI_EEEEENSH_IJSG_SG_SG_EEES9_SI_JZNS1_25segmented_radix_sort_implINS0_14default_configELb1EPKhPhPKlPlN2at6native12_GLOBAL__N_18offset_tEEE10hipError_tPvRmT1_PNSt15iterator_traitsIS12_E10value_typeET2_T3_PNS13_IS18_E10value_typeET4_jRbjT5_S1E_jjP12ihipStream_tbEUljE_ZNSN_ISO_Lb1ESQ_SR_ST_SU_SY_EESZ_S10_S11_S12_S16_S17_S18_S1B_S1C_jS1D_jS1E_S1E_jjS1G_bEUljE0_EEESZ_S10_S11_S18_S1C_S1E_T6_T7_T9_mT8_S1G_bDpT10_ENKUlT_T0_E_clISt17integral_constantIbLb0EES1U_EEDaS1P_S1Q_EUlS1P_E_NS1_11comp_targetILNS1_3genE3ELNS1_11target_archE908ELNS1_3gpuE7ELNS1_3repE0EEENS1_30default_config_static_selectorELNS0_4arch9wavefront6targetE0EEEvS12_,"axG",@progbits,_ZN7rocprim17ROCPRIM_400000_NS6detail17trampoline_kernelINS0_13select_configILj256ELj13ELNS0_17block_load_methodE3ELS4_3ELS4_3ELNS0_20block_scan_algorithmE0ELj4294967295EEENS1_25partition_config_selectorILNS1_17partition_subalgoE4EjNS0_10empty_typeEbEEZZNS1_14partition_implILS8_4ELb0ES6_15HIP_vector_typeIjLj2EENS0_17counting_iteratorIjlEEPS9_SG_NS0_5tupleIJPjSI_NS0_16reverse_iteratorISI_EEEEENSH_IJSG_SG_SG_EEES9_SI_JZNS1_25segmented_radix_sort_implINS0_14default_configELb1EPKhPhPKlPlN2at6native12_GLOBAL__N_18offset_tEEE10hipError_tPvRmT1_PNSt15iterator_traitsIS12_E10value_typeET2_T3_PNS13_IS18_E10value_typeET4_jRbjT5_S1E_jjP12ihipStream_tbEUljE_ZNSN_ISO_Lb1ESQ_SR_ST_SU_SY_EESZ_S10_S11_S12_S16_S17_S18_S1B_S1C_jS1D_jS1E_S1E_jjS1G_bEUljE0_EEESZ_S10_S11_S18_S1C_S1E_T6_T7_T9_mT8_S1G_bDpT10_ENKUlT_T0_E_clISt17integral_constantIbLb0EES1U_EEDaS1P_S1Q_EUlS1P_E_NS1_11comp_targetILNS1_3genE3ELNS1_11target_archE908ELNS1_3gpuE7ELNS1_3repE0EEENS1_30default_config_static_selectorELNS0_4arch9wavefront6targetE0EEEvS12_,comdat
	.globl	_ZN7rocprim17ROCPRIM_400000_NS6detail17trampoline_kernelINS0_13select_configILj256ELj13ELNS0_17block_load_methodE3ELS4_3ELS4_3ELNS0_20block_scan_algorithmE0ELj4294967295EEENS1_25partition_config_selectorILNS1_17partition_subalgoE4EjNS0_10empty_typeEbEEZZNS1_14partition_implILS8_4ELb0ES6_15HIP_vector_typeIjLj2EENS0_17counting_iteratorIjlEEPS9_SG_NS0_5tupleIJPjSI_NS0_16reverse_iteratorISI_EEEEENSH_IJSG_SG_SG_EEES9_SI_JZNS1_25segmented_radix_sort_implINS0_14default_configELb1EPKhPhPKlPlN2at6native12_GLOBAL__N_18offset_tEEE10hipError_tPvRmT1_PNSt15iterator_traitsIS12_E10value_typeET2_T3_PNS13_IS18_E10value_typeET4_jRbjT5_S1E_jjP12ihipStream_tbEUljE_ZNSN_ISO_Lb1ESQ_SR_ST_SU_SY_EESZ_S10_S11_S12_S16_S17_S18_S1B_S1C_jS1D_jS1E_S1E_jjS1G_bEUljE0_EEESZ_S10_S11_S18_S1C_S1E_T6_T7_T9_mT8_S1G_bDpT10_ENKUlT_T0_E_clISt17integral_constantIbLb0EES1U_EEDaS1P_S1Q_EUlS1P_E_NS1_11comp_targetILNS1_3genE3ELNS1_11target_archE908ELNS1_3gpuE7ELNS1_3repE0EEENS1_30default_config_static_selectorELNS0_4arch9wavefront6targetE0EEEvS12_ ; -- Begin function _ZN7rocprim17ROCPRIM_400000_NS6detail17trampoline_kernelINS0_13select_configILj256ELj13ELNS0_17block_load_methodE3ELS4_3ELS4_3ELNS0_20block_scan_algorithmE0ELj4294967295EEENS1_25partition_config_selectorILNS1_17partition_subalgoE4EjNS0_10empty_typeEbEEZZNS1_14partition_implILS8_4ELb0ES6_15HIP_vector_typeIjLj2EENS0_17counting_iteratorIjlEEPS9_SG_NS0_5tupleIJPjSI_NS0_16reverse_iteratorISI_EEEEENSH_IJSG_SG_SG_EEES9_SI_JZNS1_25segmented_radix_sort_implINS0_14default_configELb1EPKhPhPKlPlN2at6native12_GLOBAL__N_18offset_tEEE10hipError_tPvRmT1_PNSt15iterator_traitsIS12_E10value_typeET2_T3_PNS13_IS18_E10value_typeET4_jRbjT5_S1E_jjP12ihipStream_tbEUljE_ZNSN_ISO_Lb1ESQ_SR_ST_SU_SY_EESZ_S10_S11_S12_S16_S17_S18_S1B_S1C_jS1D_jS1E_S1E_jjS1G_bEUljE0_EEESZ_S10_S11_S18_S1C_S1E_T6_T7_T9_mT8_S1G_bDpT10_ENKUlT_T0_E_clISt17integral_constantIbLb0EES1U_EEDaS1P_S1Q_EUlS1P_E_NS1_11comp_targetILNS1_3genE3ELNS1_11target_archE908ELNS1_3gpuE7ELNS1_3repE0EEENS1_30default_config_static_selectorELNS0_4arch9wavefront6targetE0EEEvS12_
	.p2align	8
	.type	_ZN7rocprim17ROCPRIM_400000_NS6detail17trampoline_kernelINS0_13select_configILj256ELj13ELNS0_17block_load_methodE3ELS4_3ELS4_3ELNS0_20block_scan_algorithmE0ELj4294967295EEENS1_25partition_config_selectorILNS1_17partition_subalgoE4EjNS0_10empty_typeEbEEZZNS1_14partition_implILS8_4ELb0ES6_15HIP_vector_typeIjLj2EENS0_17counting_iteratorIjlEEPS9_SG_NS0_5tupleIJPjSI_NS0_16reverse_iteratorISI_EEEEENSH_IJSG_SG_SG_EEES9_SI_JZNS1_25segmented_radix_sort_implINS0_14default_configELb1EPKhPhPKlPlN2at6native12_GLOBAL__N_18offset_tEEE10hipError_tPvRmT1_PNSt15iterator_traitsIS12_E10value_typeET2_T3_PNS13_IS18_E10value_typeET4_jRbjT5_S1E_jjP12ihipStream_tbEUljE_ZNSN_ISO_Lb1ESQ_SR_ST_SU_SY_EESZ_S10_S11_S12_S16_S17_S18_S1B_S1C_jS1D_jS1E_S1E_jjS1G_bEUljE0_EEESZ_S10_S11_S18_S1C_S1E_T6_T7_T9_mT8_S1G_bDpT10_ENKUlT_T0_E_clISt17integral_constantIbLb0EES1U_EEDaS1P_S1Q_EUlS1P_E_NS1_11comp_targetILNS1_3genE3ELNS1_11target_archE908ELNS1_3gpuE7ELNS1_3repE0EEENS1_30default_config_static_selectorELNS0_4arch9wavefront6targetE0EEEvS12_,@function
_ZN7rocprim17ROCPRIM_400000_NS6detail17trampoline_kernelINS0_13select_configILj256ELj13ELNS0_17block_load_methodE3ELS4_3ELS4_3ELNS0_20block_scan_algorithmE0ELj4294967295EEENS1_25partition_config_selectorILNS1_17partition_subalgoE4EjNS0_10empty_typeEbEEZZNS1_14partition_implILS8_4ELb0ES6_15HIP_vector_typeIjLj2EENS0_17counting_iteratorIjlEEPS9_SG_NS0_5tupleIJPjSI_NS0_16reverse_iteratorISI_EEEEENSH_IJSG_SG_SG_EEES9_SI_JZNS1_25segmented_radix_sort_implINS0_14default_configELb1EPKhPhPKlPlN2at6native12_GLOBAL__N_18offset_tEEE10hipError_tPvRmT1_PNSt15iterator_traitsIS12_E10value_typeET2_T3_PNS13_IS18_E10value_typeET4_jRbjT5_S1E_jjP12ihipStream_tbEUljE_ZNSN_ISO_Lb1ESQ_SR_ST_SU_SY_EESZ_S10_S11_S12_S16_S17_S18_S1B_S1C_jS1D_jS1E_S1E_jjS1G_bEUljE0_EEESZ_S10_S11_S18_S1C_S1E_T6_T7_T9_mT8_S1G_bDpT10_ENKUlT_T0_E_clISt17integral_constantIbLb0EES1U_EEDaS1P_S1Q_EUlS1P_E_NS1_11comp_targetILNS1_3genE3ELNS1_11target_archE908ELNS1_3gpuE7ELNS1_3repE0EEENS1_30default_config_static_selectorELNS0_4arch9wavefront6targetE0EEEvS12_: ; @_ZN7rocprim17ROCPRIM_400000_NS6detail17trampoline_kernelINS0_13select_configILj256ELj13ELNS0_17block_load_methodE3ELS4_3ELS4_3ELNS0_20block_scan_algorithmE0ELj4294967295EEENS1_25partition_config_selectorILNS1_17partition_subalgoE4EjNS0_10empty_typeEbEEZZNS1_14partition_implILS8_4ELb0ES6_15HIP_vector_typeIjLj2EENS0_17counting_iteratorIjlEEPS9_SG_NS0_5tupleIJPjSI_NS0_16reverse_iteratorISI_EEEEENSH_IJSG_SG_SG_EEES9_SI_JZNS1_25segmented_radix_sort_implINS0_14default_configELb1EPKhPhPKlPlN2at6native12_GLOBAL__N_18offset_tEEE10hipError_tPvRmT1_PNSt15iterator_traitsIS12_E10value_typeET2_T3_PNS13_IS18_E10value_typeET4_jRbjT5_S1E_jjP12ihipStream_tbEUljE_ZNSN_ISO_Lb1ESQ_SR_ST_SU_SY_EESZ_S10_S11_S12_S16_S17_S18_S1B_S1C_jS1D_jS1E_S1E_jjS1G_bEUljE0_EEESZ_S10_S11_S18_S1C_S1E_T6_T7_T9_mT8_S1G_bDpT10_ENKUlT_T0_E_clISt17integral_constantIbLb0EES1U_EEDaS1P_S1Q_EUlS1P_E_NS1_11comp_targetILNS1_3genE3ELNS1_11target_archE908ELNS1_3gpuE7ELNS1_3repE0EEENS1_30default_config_static_selectorELNS0_4arch9wavefront6targetE0EEEvS12_
; %bb.0:
	.section	.rodata,"a",@progbits
	.p2align	6, 0x0
	.amdhsa_kernel _ZN7rocprim17ROCPRIM_400000_NS6detail17trampoline_kernelINS0_13select_configILj256ELj13ELNS0_17block_load_methodE3ELS4_3ELS4_3ELNS0_20block_scan_algorithmE0ELj4294967295EEENS1_25partition_config_selectorILNS1_17partition_subalgoE4EjNS0_10empty_typeEbEEZZNS1_14partition_implILS8_4ELb0ES6_15HIP_vector_typeIjLj2EENS0_17counting_iteratorIjlEEPS9_SG_NS0_5tupleIJPjSI_NS0_16reverse_iteratorISI_EEEEENSH_IJSG_SG_SG_EEES9_SI_JZNS1_25segmented_radix_sort_implINS0_14default_configELb1EPKhPhPKlPlN2at6native12_GLOBAL__N_18offset_tEEE10hipError_tPvRmT1_PNSt15iterator_traitsIS12_E10value_typeET2_T3_PNS13_IS18_E10value_typeET4_jRbjT5_S1E_jjP12ihipStream_tbEUljE_ZNSN_ISO_Lb1ESQ_SR_ST_SU_SY_EESZ_S10_S11_S12_S16_S17_S18_S1B_S1C_jS1D_jS1E_S1E_jjS1G_bEUljE0_EEESZ_S10_S11_S18_S1C_S1E_T6_T7_T9_mT8_S1G_bDpT10_ENKUlT_T0_E_clISt17integral_constantIbLb0EES1U_EEDaS1P_S1Q_EUlS1P_E_NS1_11comp_targetILNS1_3genE3ELNS1_11target_archE908ELNS1_3gpuE7ELNS1_3repE0EEENS1_30default_config_static_selectorELNS0_4arch9wavefront6targetE0EEEvS12_
		.amdhsa_group_segment_fixed_size 0
		.amdhsa_private_segment_fixed_size 0
		.amdhsa_kernarg_size 176
		.amdhsa_user_sgpr_count 6
		.amdhsa_user_sgpr_private_segment_buffer 1
		.amdhsa_user_sgpr_dispatch_ptr 0
		.amdhsa_user_sgpr_queue_ptr 0
		.amdhsa_user_sgpr_kernarg_segment_ptr 1
		.amdhsa_user_sgpr_dispatch_id 0
		.amdhsa_user_sgpr_flat_scratch_init 0
		.amdhsa_user_sgpr_private_segment_size 0
		.amdhsa_wavefront_size32 1
		.amdhsa_uses_dynamic_stack 0
		.amdhsa_system_sgpr_private_segment_wavefront_offset 0
		.amdhsa_system_sgpr_workgroup_id_x 1
		.amdhsa_system_sgpr_workgroup_id_y 0
		.amdhsa_system_sgpr_workgroup_id_z 0
		.amdhsa_system_sgpr_workgroup_info 0
		.amdhsa_system_vgpr_workitem_id 0
		.amdhsa_next_free_vgpr 1
		.amdhsa_next_free_sgpr 1
		.amdhsa_reserve_vcc 0
		.amdhsa_reserve_flat_scratch 0
		.amdhsa_float_round_mode_32 0
		.amdhsa_float_round_mode_16_64 0
		.amdhsa_float_denorm_mode_32 3
		.amdhsa_float_denorm_mode_16_64 3
		.amdhsa_dx10_clamp 1
		.amdhsa_ieee_mode 1
		.amdhsa_fp16_overflow 0
		.amdhsa_workgroup_processor_mode 1
		.amdhsa_memory_ordered 1
		.amdhsa_forward_progress 1
		.amdhsa_shared_vgpr_count 0
		.amdhsa_exception_fp_ieee_invalid_op 0
		.amdhsa_exception_fp_denorm_src 0
		.amdhsa_exception_fp_ieee_div_zero 0
		.amdhsa_exception_fp_ieee_overflow 0
		.amdhsa_exception_fp_ieee_underflow 0
		.amdhsa_exception_fp_ieee_inexact 0
		.amdhsa_exception_int_div_zero 0
	.end_amdhsa_kernel
	.section	.text._ZN7rocprim17ROCPRIM_400000_NS6detail17trampoline_kernelINS0_13select_configILj256ELj13ELNS0_17block_load_methodE3ELS4_3ELS4_3ELNS0_20block_scan_algorithmE0ELj4294967295EEENS1_25partition_config_selectorILNS1_17partition_subalgoE4EjNS0_10empty_typeEbEEZZNS1_14partition_implILS8_4ELb0ES6_15HIP_vector_typeIjLj2EENS0_17counting_iteratorIjlEEPS9_SG_NS0_5tupleIJPjSI_NS0_16reverse_iteratorISI_EEEEENSH_IJSG_SG_SG_EEES9_SI_JZNS1_25segmented_radix_sort_implINS0_14default_configELb1EPKhPhPKlPlN2at6native12_GLOBAL__N_18offset_tEEE10hipError_tPvRmT1_PNSt15iterator_traitsIS12_E10value_typeET2_T3_PNS13_IS18_E10value_typeET4_jRbjT5_S1E_jjP12ihipStream_tbEUljE_ZNSN_ISO_Lb1ESQ_SR_ST_SU_SY_EESZ_S10_S11_S12_S16_S17_S18_S1B_S1C_jS1D_jS1E_S1E_jjS1G_bEUljE0_EEESZ_S10_S11_S18_S1C_S1E_T6_T7_T9_mT8_S1G_bDpT10_ENKUlT_T0_E_clISt17integral_constantIbLb0EES1U_EEDaS1P_S1Q_EUlS1P_E_NS1_11comp_targetILNS1_3genE3ELNS1_11target_archE908ELNS1_3gpuE7ELNS1_3repE0EEENS1_30default_config_static_selectorELNS0_4arch9wavefront6targetE0EEEvS12_,"axG",@progbits,_ZN7rocprim17ROCPRIM_400000_NS6detail17trampoline_kernelINS0_13select_configILj256ELj13ELNS0_17block_load_methodE3ELS4_3ELS4_3ELNS0_20block_scan_algorithmE0ELj4294967295EEENS1_25partition_config_selectorILNS1_17partition_subalgoE4EjNS0_10empty_typeEbEEZZNS1_14partition_implILS8_4ELb0ES6_15HIP_vector_typeIjLj2EENS0_17counting_iteratorIjlEEPS9_SG_NS0_5tupleIJPjSI_NS0_16reverse_iteratorISI_EEEEENSH_IJSG_SG_SG_EEES9_SI_JZNS1_25segmented_radix_sort_implINS0_14default_configELb1EPKhPhPKlPlN2at6native12_GLOBAL__N_18offset_tEEE10hipError_tPvRmT1_PNSt15iterator_traitsIS12_E10value_typeET2_T3_PNS13_IS18_E10value_typeET4_jRbjT5_S1E_jjP12ihipStream_tbEUljE_ZNSN_ISO_Lb1ESQ_SR_ST_SU_SY_EESZ_S10_S11_S12_S16_S17_S18_S1B_S1C_jS1D_jS1E_S1E_jjS1G_bEUljE0_EEESZ_S10_S11_S18_S1C_S1E_T6_T7_T9_mT8_S1G_bDpT10_ENKUlT_T0_E_clISt17integral_constantIbLb0EES1U_EEDaS1P_S1Q_EUlS1P_E_NS1_11comp_targetILNS1_3genE3ELNS1_11target_archE908ELNS1_3gpuE7ELNS1_3repE0EEENS1_30default_config_static_selectorELNS0_4arch9wavefront6targetE0EEEvS12_,comdat
.Lfunc_end7:
	.size	_ZN7rocprim17ROCPRIM_400000_NS6detail17trampoline_kernelINS0_13select_configILj256ELj13ELNS0_17block_load_methodE3ELS4_3ELS4_3ELNS0_20block_scan_algorithmE0ELj4294967295EEENS1_25partition_config_selectorILNS1_17partition_subalgoE4EjNS0_10empty_typeEbEEZZNS1_14partition_implILS8_4ELb0ES6_15HIP_vector_typeIjLj2EENS0_17counting_iteratorIjlEEPS9_SG_NS0_5tupleIJPjSI_NS0_16reverse_iteratorISI_EEEEENSH_IJSG_SG_SG_EEES9_SI_JZNS1_25segmented_radix_sort_implINS0_14default_configELb1EPKhPhPKlPlN2at6native12_GLOBAL__N_18offset_tEEE10hipError_tPvRmT1_PNSt15iterator_traitsIS12_E10value_typeET2_T3_PNS13_IS18_E10value_typeET4_jRbjT5_S1E_jjP12ihipStream_tbEUljE_ZNSN_ISO_Lb1ESQ_SR_ST_SU_SY_EESZ_S10_S11_S12_S16_S17_S18_S1B_S1C_jS1D_jS1E_S1E_jjS1G_bEUljE0_EEESZ_S10_S11_S18_S1C_S1E_T6_T7_T9_mT8_S1G_bDpT10_ENKUlT_T0_E_clISt17integral_constantIbLb0EES1U_EEDaS1P_S1Q_EUlS1P_E_NS1_11comp_targetILNS1_3genE3ELNS1_11target_archE908ELNS1_3gpuE7ELNS1_3repE0EEENS1_30default_config_static_selectorELNS0_4arch9wavefront6targetE0EEEvS12_, .Lfunc_end7-_ZN7rocprim17ROCPRIM_400000_NS6detail17trampoline_kernelINS0_13select_configILj256ELj13ELNS0_17block_load_methodE3ELS4_3ELS4_3ELNS0_20block_scan_algorithmE0ELj4294967295EEENS1_25partition_config_selectorILNS1_17partition_subalgoE4EjNS0_10empty_typeEbEEZZNS1_14partition_implILS8_4ELb0ES6_15HIP_vector_typeIjLj2EENS0_17counting_iteratorIjlEEPS9_SG_NS0_5tupleIJPjSI_NS0_16reverse_iteratorISI_EEEEENSH_IJSG_SG_SG_EEES9_SI_JZNS1_25segmented_radix_sort_implINS0_14default_configELb1EPKhPhPKlPlN2at6native12_GLOBAL__N_18offset_tEEE10hipError_tPvRmT1_PNSt15iterator_traitsIS12_E10value_typeET2_T3_PNS13_IS18_E10value_typeET4_jRbjT5_S1E_jjP12ihipStream_tbEUljE_ZNSN_ISO_Lb1ESQ_SR_ST_SU_SY_EESZ_S10_S11_S12_S16_S17_S18_S1B_S1C_jS1D_jS1E_S1E_jjS1G_bEUljE0_EEESZ_S10_S11_S18_S1C_S1E_T6_T7_T9_mT8_S1G_bDpT10_ENKUlT_T0_E_clISt17integral_constantIbLb0EES1U_EEDaS1P_S1Q_EUlS1P_E_NS1_11comp_targetILNS1_3genE3ELNS1_11target_archE908ELNS1_3gpuE7ELNS1_3repE0EEENS1_30default_config_static_selectorELNS0_4arch9wavefront6targetE0EEEvS12_
                                        ; -- End function
	.set _ZN7rocprim17ROCPRIM_400000_NS6detail17trampoline_kernelINS0_13select_configILj256ELj13ELNS0_17block_load_methodE3ELS4_3ELS4_3ELNS0_20block_scan_algorithmE0ELj4294967295EEENS1_25partition_config_selectorILNS1_17partition_subalgoE4EjNS0_10empty_typeEbEEZZNS1_14partition_implILS8_4ELb0ES6_15HIP_vector_typeIjLj2EENS0_17counting_iteratorIjlEEPS9_SG_NS0_5tupleIJPjSI_NS0_16reverse_iteratorISI_EEEEENSH_IJSG_SG_SG_EEES9_SI_JZNS1_25segmented_radix_sort_implINS0_14default_configELb1EPKhPhPKlPlN2at6native12_GLOBAL__N_18offset_tEEE10hipError_tPvRmT1_PNSt15iterator_traitsIS12_E10value_typeET2_T3_PNS13_IS18_E10value_typeET4_jRbjT5_S1E_jjP12ihipStream_tbEUljE_ZNSN_ISO_Lb1ESQ_SR_ST_SU_SY_EESZ_S10_S11_S12_S16_S17_S18_S1B_S1C_jS1D_jS1E_S1E_jjS1G_bEUljE0_EEESZ_S10_S11_S18_S1C_S1E_T6_T7_T9_mT8_S1G_bDpT10_ENKUlT_T0_E_clISt17integral_constantIbLb0EES1U_EEDaS1P_S1Q_EUlS1P_E_NS1_11comp_targetILNS1_3genE3ELNS1_11target_archE908ELNS1_3gpuE7ELNS1_3repE0EEENS1_30default_config_static_selectorELNS0_4arch9wavefront6targetE0EEEvS12_.num_vgpr, 0
	.set _ZN7rocprim17ROCPRIM_400000_NS6detail17trampoline_kernelINS0_13select_configILj256ELj13ELNS0_17block_load_methodE3ELS4_3ELS4_3ELNS0_20block_scan_algorithmE0ELj4294967295EEENS1_25partition_config_selectorILNS1_17partition_subalgoE4EjNS0_10empty_typeEbEEZZNS1_14partition_implILS8_4ELb0ES6_15HIP_vector_typeIjLj2EENS0_17counting_iteratorIjlEEPS9_SG_NS0_5tupleIJPjSI_NS0_16reverse_iteratorISI_EEEEENSH_IJSG_SG_SG_EEES9_SI_JZNS1_25segmented_radix_sort_implINS0_14default_configELb1EPKhPhPKlPlN2at6native12_GLOBAL__N_18offset_tEEE10hipError_tPvRmT1_PNSt15iterator_traitsIS12_E10value_typeET2_T3_PNS13_IS18_E10value_typeET4_jRbjT5_S1E_jjP12ihipStream_tbEUljE_ZNSN_ISO_Lb1ESQ_SR_ST_SU_SY_EESZ_S10_S11_S12_S16_S17_S18_S1B_S1C_jS1D_jS1E_S1E_jjS1G_bEUljE0_EEESZ_S10_S11_S18_S1C_S1E_T6_T7_T9_mT8_S1G_bDpT10_ENKUlT_T0_E_clISt17integral_constantIbLb0EES1U_EEDaS1P_S1Q_EUlS1P_E_NS1_11comp_targetILNS1_3genE3ELNS1_11target_archE908ELNS1_3gpuE7ELNS1_3repE0EEENS1_30default_config_static_selectorELNS0_4arch9wavefront6targetE0EEEvS12_.num_agpr, 0
	.set _ZN7rocprim17ROCPRIM_400000_NS6detail17trampoline_kernelINS0_13select_configILj256ELj13ELNS0_17block_load_methodE3ELS4_3ELS4_3ELNS0_20block_scan_algorithmE0ELj4294967295EEENS1_25partition_config_selectorILNS1_17partition_subalgoE4EjNS0_10empty_typeEbEEZZNS1_14partition_implILS8_4ELb0ES6_15HIP_vector_typeIjLj2EENS0_17counting_iteratorIjlEEPS9_SG_NS0_5tupleIJPjSI_NS0_16reverse_iteratorISI_EEEEENSH_IJSG_SG_SG_EEES9_SI_JZNS1_25segmented_radix_sort_implINS0_14default_configELb1EPKhPhPKlPlN2at6native12_GLOBAL__N_18offset_tEEE10hipError_tPvRmT1_PNSt15iterator_traitsIS12_E10value_typeET2_T3_PNS13_IS18_E10value_typeET4_jRbjT5_S1E_jjP12ihipStream_tbEUljE_ZNSN_ISO_Lb1ESQ_SR_ST_SU_SY_EESZ_S10_S11_S12_S16_S17_S18_S1B_S1C_jS1D_jS1E_S1E_jjS1G_bEUljE0_EEESZ_S10_S11_S18_S1C_S1E_T6_T7_T9_mT8_S1G_bDpT10_ENKUlT_T0_E_clISt17integral_constantIbLb0EES1U_EEDaS1P_S1Q_EUlS1P_E_NS1_11comp_targetILNS1_3genE3ELNS1_11target_archE908ELNS1_3gpuE7ELNS1_3repE0EEENS1_30default_config_static_selectorELNS0_4arch9wavefront6targetE0EEEvS12_.numbered_sgpr, 0
	.set _ZN7rocprim17ROCPRIM_400000_NS6detail17trampoline_kernelINS0_13select_configILj256ELj13ELNS0_17block_load_methodE3ELS4_3ELS4_3ELNS0_20block_scan_algorithmE0ELj4294967295EEENS1_25partition_config_selectorILNS1_17partition_subalgoE4EjNS0_10empty_typeEbEEZZNS1_14partition_implILS8_4ELb0ES6_15HIP_vector_typeIjLj2EENS0_17counting_iteratorIjlEEPS9_SG_NS0_5tupleIJPjSI_NS0_16reverse_iteratorISI_EEEEENSH_IJSG_SG_SG_EEES9_SI_JZNS1_25segmented_radix_sort_implINS0_14default_configELb1EPKhPhPKlPlN2at6native12_GLOBAL__N_18offset_tEEE10hipError_tPvRmT1_PNSt15iterator_traitsIS12_E10value_typeET2_T3_PNS13_IS18_E10value_typeET4_jRbjT5_S1E_jjP12ihipStream_tbEUljE_ZNSN_ISO_Lb1ESQ_SR_ST_SU_SY_EESZ_S10_S11_S12_S16_S17_S18_S1B_S1C_jS1D_jS1E_S1E_jjS1G_bEUljE0_EEESZ_S10_S11_S18_S1C_S1E_T6_T7_T9_mT8_S1G_bDpT10_ENKUlT_T0_E_clISt17integral_constantIbLb0EES1U_EEDaS1P_S1Q_EUlS1P_E_NS1_11comp_targetILNS1_3genE3ELNS1_11target_archE908ELNS1_3gpuE7ELNS1_3repE0EEENS1_30default_config_static_selectorELNS0_4arch9wavefront6targetE0EEEvS12_.num_named_barrier, 0
	.set _ZN7rocprim17ROCPRIM_400000_NS6detail17trampoline_kernelINS0_13select_configILj256ELj13ELNS0_17block_load_methodE3ELS4_3ELS4_3ELNS0_20block_scan_algorithmE0ELj4294967295EEENS1_25partition_config_selectorILNS1_17partition_subalgoE4EjNS0_10empty_typeEbEEZZNS1_14partition_implILS8_4ELb0ES6_15HIP_vector_typeIjLj2EENS0_17counting_iteratorIjlEEPS9_SG_NS0_5tupleIJPjSI_NS0_16reverse_iteratorISI_EEEEENSH_IJSG_SG_SG_EEES9_SI_JZNS1_25segmented_radix_sort_implINS0_14default_configELb1EPKhPhPKlPlN2at6native12_GLOBAL__N_18offset_tEEE10hipError_tPvRmT1_PNSt15iterator_traitsIS12_E10value_typeET2_T3_PNS13_IS18_E10value_typeET4_jRbjT5_S1E_jjP12ihipStream_tbEUljE_ZNSN_ISO_Lb1ESQ_SR_ST_SU_SY_EESZ_S10_S11_S12_S16_S17_S18_S1B_S1C_jS1D_jS1E_S1E_jjS1G_bEUljE0_EEESZ_S10_S11_S18_S1C_S1E_T6_T7_T9_mT8_S1G_bDpT10_ENKUlT_T0_E_clISt17integral_constantIbLb0EES1U_EEDaS1P_S1Q_EUlS1P_E_NS1_11comp_targetILNS1_3genE3ELNS1_11target_archE908ELNS1_3gpuE7ELNS1_3repE0EEENS1_30default_config_static_selectorELNS0_4arch9wavefront6targetE0EEEvS12_.private_seg_size, 0
	.set _ZN7rocprim17ROCPRIM_400000_NS6detail17trampoline_kernelINS0_13select_configILj256ELj13ELNS0_17block_load_methodE3ELS4_3ELS4_3ELNS0_20block_scan_algorithmE0ELj4294967295EEENS1_25partition_config_selectorILNS1_17partition_subalgoE4EjNS0_10empty_typeEbEEZZNS1_14partition_implILS8_4ELb0ES6_15HIP_vector_typeIjLj2EENS0_17counting_iteratorIjlEEPS9_SG_NS0_5tupleIJPjSI_NS0_16reverse_iteratorISI_EEEEENSH_IJSG_SG_SG_EEES9_SI_JZNS1_25segmented_radix_sort_implINS0_14default_configELb1EPKhPhPKlPlN2at6native12_GLOBAL__N_18offset_tEEE10hipError_tPvRmT1_PNSt15iterator_traitsIS12_E10value_typeET2_T3_PNS13_IS18_E10value_typeET4_jRbjT5_S1E_jjP12ihipStream_tbEUljE_ZNSN_ISO_Lb1ESQ_SR_ST_SU_SY_EESZ_S10_S11_S12_S16_S17_S18_S1B_S1C_jS1D_jS1E_S1E_jjS1G_bEUljE0_EEESZ_S10_S11_S18_S1C_S1E_T6_T7_T9_mT8_S1G_bDpT10_ENKUlT_T0_E_clISt17integral_constantIbLb0EES1U_EEDaS1P_S1Q_EUlS1P_E_NS1_11comp_targetILNS1_3genE3ELNS1_11target_archE908ELNS1_3gpuE7ELNS1_3repE0EEENS1_30default_config_static_selectorELNS0_4arch9wavefront6targetE0EEEvS12_.uses_vcc, 0
	.set _ZN7rocprim17ROCPRIM_400000_NS6detail17trampoline_kernelINS0_13select_configILj256ELj13ELNS0_17block_load_methodE3ELS4_3ELS4_3ELNS0_20block_scan_algorithmE0ELj4294967295EEENS1_25partition_config_selectorILNS1_17partition_subalgoE4EjNS0_10empty_typeEbEEZZNS1_14partition_implILS8_4ELb0ES6_15HIP_vector_typeIjLj2EENS0_17counting_iteratorIjlEEPS9_SG_NS0_5tupleIJPjSI_NS0_16reverse_iteratorISI_EEEEENSH_IJSG_SG_SG_EEES9_SI_JZNS1_25segmented_radix_sort_implINS0_14default_configELb1EPKhPhPKlPlN2at6native12_GLOBAL__N_18offset_tEEE10hipError_tPvRmT1_PNSt15iterator_traitsIS12_E10value_typeET2_T3_PNS13_IS18_E10value_typeET4_jRbjT5_S1E_jjP12ihipStream_tbEUljE_ZNSN_ISO_Lb1ESQ_SR_ST_SU_SY_EESZ_S10_S11_S12_S16_S17_S18_S1B_S1C_jS1D_jS1E_S1E_jjS1G_bEUljE0_EEESZ_S10_S11_S18_S1C_S1E_T6_T7_T9_mT8_S1G_bDpT10_ENKUlT_T0_E_clISt17integral_constantIbLb0EES1U_EEDaS1P_S1Q_EUlS1P_E_NS1_11comp_targetILNS1_3genE3ELNS1_11target_archE908ELNS1_3gpuE7ELNS1_3repE0EEENS1_30default_config_static_selectorELNS0_4arch9wavefront6targetE0EEEvS12_.uses_flat_scratch, 0
	.set _ZN7rocprim17ROCPRIM_400000_NS6detail17trampoline_kernelINS0_13select_configILj256ELj13ELNS0_17block_load_methodE3ELS4_3ELS4_3ELNS0_20block_scan_algorithmE0ELj4294967295EEENS1_25partition_config_selectorILNS1_17partition_subalgoE4EjNS0_10empty_typeEbEEZZNS1_14partition_implILS8_4ELb0ES6_15HIP_vector_typeIjLj2EENS0_17counting_iteratorIjlEEPS9_SG_NS0_5tupleIJPjSI_NS0_16reverse_iteratorISI_EEEEENSH_IJSG_SG_SG_EEES9_SI_JZNS1_25segmented_radix_sort_implINS0_14default_configELb1EPKhPhPKlPlN2at6native12_GLOBAL__N_18offset_tEEE10hipError_tPvRmT1_PNSt15iterator_traitsIS12_E10value_typeET2_T3_PNS13_IS18_E10value_typeET4_jRbjT5_S1E_jjP12ihipStream_tbEUljE_ZNSN_ISO_Lb1ESQ_SR_ST_SU_SY_EESZ_S10_S11_S12_S16_S17_S18_S1B_S1C_jS1D_jS1E_S1E_jjS1G_bEUljE0_EEESZ_S10_S11_S18_S1C_S1E_T6_T7_T9_mT8_S1G_bDpT10_ENKUlT_T0_E_clISt17integral_constantIbLb0EES1U_EEDaS1P_S1Q_EUlS1P_E_NS1_11comp_targetILNS1_3genE3ELNS1_11target_archE908ELNS1_3gpuE7ELNS1_3repE0EEENS1_30default_config_static_selectorELNS0_4arch9wavefront6targetE0EEEvS12_.has_dyn_sized_stack, 0
	.set _ZN7rocprim17ROCPRIM_400000_NS6detail17trampoline_kernelINS0_13select_configILj256ELj13ELNS0_17block_load_methodE3ELS4_3ELS4_3ELNS0_20block_scan_algorithmE0ELj4294967295EEENS1_25partition_config_selectorILNS1_17partition_subalgoE4EjNS0_10empty_typeEbEEZZNS1_14partition_implILS8_4ELb0ES6_15HIP_vector_typeIjLj2EENS0_17counting_iteratorIjlEEPS9_SG_NS0_5tupleIJPjSI_NS0_16reverse_iteratorISI_EEEEENSH_IJSG_SG_SG_EEES9_SI_JZNS1_25segmented_radix_sort_implINS0_14default_configELb1EPKhPhPKlPlN2at6native12_GLOBAL__N_18offset_tEEE10hipError_tPvRmT1_PNSt15iterator_traitsIS12_E10value_typeET2_T3_PNS13_IS18_E10value_typeET4_jRbjT5_S1E_jjP12ihipStream_tbEUljE_ZNSN_ISO_Lb1ESQ_SR_ST_SU_SY_EESZ_S10_S11_S12_S16_S17_S18_S1B_S1C_jS1D_jS1E_S1E_jjS1G_bEUljE0_EEESZ_S10_S11_S18_S1C_S1E_T6_T7_T9_mT8_S1G_bDpT10_ENKUlT_T0_E_clISt17integral_constantIbLb0EES1U_EEDaS1P_S1Q_EUlS1P_E_NS1_11comp_targetILNS1_3genE3ELNS1_11target_archE908ELNS1_3gpuE7ELNS1_3repE0EEENS1_30default_config_static_selectorELNS0_4arch9wavefront6targetE0EEEvS12_.has_recursion, 0
	.set _ZN7rocprim17ROCPRIM_400000_NS6detail17trampoline_kernelINS0_13select_configILj256ELj13ELNS0_17block_load_methodE3ELS4_3ELS4_3ELNS0_20block_scan_algorithmE0ELj4294967295EEENS1_25partition_config_selectorILNS1_17partition_subalgoE4EjNS0_10empty_typeEbEEZZNS1_14partition_implILS8_4ELb0ES6_15HIP_vector_typeIjLj2EENS0_17counting_iteratorIjlEEPS9_SG_NS0_5tupleIJPjSI_NS0_16reverse_iteratorISI_EEEEENSH_IJSG_SG_SG_EEES9_SI_JZNS1_25segmented_radix_sort_implINS0_14default_configELb1EPKhPhPKlPlN2at6native12_GLOBAL__N_18offset_tEEE10hipError_tPvRmT1_PNSt15iterator_traitsIS12_E10value_typeET2_T3_PNS13_IS18_E10value_typeET4_jRbjT5_S1E_jjP12ihipStream_tbEUljE_ZNSN_ISO_Lb1ESQ_SR_ST_SU_SY_EESZ_S10_S11_S12_S16_S17_S18_S1B_S1C_jS1D_jS1E_S1E_jjS1G_bEUljE0_EEESZ_S10_S11_S18_S1C_S1E_T6_T7_T9_mT8_S1G_bDpT10_ENKUlT_T0_E_clISt17integral_constantIbLb0EES1U_EEDaS1P_S1Q_EUlS1P_E_NS1_11comp_targetILNS1_3genE3ELNS1_11target_archE908ELNS1_3gpuE7ELNS1_3repE0EEENS1_30default_config_static_selectorELNS0_4arch9wavefront6targetE0EEEvS12_.has_indirect_call, 0
	.section	.AMDGPU.csdata,"",@progbits
; Kernel info:
; codeLenInByte = 0
; TotalNumSgprs: 0
; NumVgprs: 0
; ScratchSize: 0
; MemoryBound: 0
; FloatMode: 240
; IeeeMode: 1
; LDSByteSize: 0 bytes/workgroup (compile time only)
; SGPRBlocks: 0
; VGPRBlocks: 0
; NumSGPRsForWavesPerEU: 1
; NumVGPRsForWavesPerEU: 1
; Occupancy: 16
; WaveLimiterHint : 0
; COMPUTE_PGM_RSRC2:SCRATCH_EN: 0
; COMPUTE_PGM_RSRC2:USER_SGPR: 6
; COMPUTE_PGM_RSRC2:TRAP_HANDLER: 0
; COMPUTE_PGM_RSRC2:TGID_X_EN: 1
; COMPUTE_PGM_RSRC2:TGID_Y_EN: 0
; COMPUTE_PGM_RSRC2:TGID_Z_EN: 0
; COMPUTE_PGM_RSRC2:TIDIG_COMP_CNT: 0
	.section	.text._ZN7rocprim17ROCPRIM_400000_NS6detail17trampoline_kernelINS0_13select_configILj256ELj13ELNS0_17block_load_methodE3ELS4_3ELS4_3ELNS0_20block_scan_algorithmE0ELj4294967295EEENS1_25partition_config_selectorILNS1_17partition_subalgoE4EjNS0_10empty_typeEbEEZZNS1_14partition_implILS8_4ELb0ES6_15HIP_vector_typeIjLj2EENS0_17counting_iteratorIjlEEPS9_SG_NS0_5tupleIJPjSI_NS0_16reverse_iteratorISI_EEEEENSH_IJSG_SG_SG_EEES9_SI_JZNS1_25segmented_radix_sort_implINS0_14default_configELb1EPKhPhPKlPlN2at6native12_GLOBAL__N_18offset_tEEE10hipError_tPvRmT1_PNSt15iterator_traitsIS12_E10value_typeET2_T3_PNS13_IS18_E10value_typeET4_jRbjT5_S1E_jjP12ihipStream_tbEUljE_ZNSN_ISO_Lb1ESQ_SR_ST_SU_SY_EESZ_S10_S11_S12_S16_S17_S18_S1B_S1C_jS1D_jS1E_S1E_jjS1G_bEUljE0_EEESZ_S10_S11_S18_S1C_S1E_T6_T7_T9_mT8_S1G_bDpT10_ENKUlT_T0_E_clISt17integral_constantIbLb0EES1U_EEDaS1P_S1Q_EUlS1P_E_NS1_11comp_targetILNS1_3genE2ELNS1_11target_archE906ELNS1_3gpuE6ELNS1_3repE0EEENS1_30default_config_static_selectorELNS0_4arch9wavefront6targetE0EEEvS12_,"axG",@progbits,_ZN7rocprim17ROCPRIM_400000_NS6detail17trampoline_kernelINS0_13select_configILj256ELj13ELNS0_17block_load_methodE3ELS4_3ELS4_3ELNS0_20block_scan_algorithmE0ELj4294967295EEENS1_25partition_config_selectorILNS1_17partition_subalgoE4EjNS0_10empty_typeEbEEZZNS1_14partition_implILS8_4ELb0ES6_15HIP_vector_typeIjLj2EENS0_17counting_iteratorIjlEEPS9_SG_NS0_5tupleIJPjSI_NS0_16reverse_iteratorISI_EEEEENSH_IJSG_SG_SG_EEES9_SI_JZNS1_25segmented_radix_sort_implINS0_14default_configELb1EPKhPhPKlPlN2at6native12_GLOBAL__N_18offset_tEEE10hipError_tPvRmT1_PNSt15iterator_traitsIS12_E10value_typeET2_T3_PNS13_IS18_E10value_typeET4_jRbjT5_S1E_jjP12ihipStream_tbEUljE_ZNSN_ISO_Lb1ESQ_SR_ST_SU_SY_EESZ_S10_S11_S12_S16_S17_S18_S1B_S1C_jS1D_jS1E_S1E_jjS1G_bEUljE0_EEESZ_S10_S11_S18_S1C_S1E_T6_T7_T9_mT8_S1G_bDpT10_ENKUlT_T0_E_clISt17integral_constantIbLb0EES1U_EEDaS1P_S1Q_EUlS1P_E_NS1_11comp_targetILNS1_3genE2ELNS1_11target_archE906ELNS1_3gpuE6ELNS1_3repE0EEENS1_30default_config_static_selectorELNS0_4arch9wavefront6targetE0EEEvS12_,comdat
	.globl	_ZN7rocprim17ROCPRIM_400000_NS6detail17trampoline_kernelINS0_13select_configILj256ELj13ELNS0_17block_load_methodE3ELS4_3ELS4_3ELNS0_20block_scan_algorithmE0ELj4294967295EEENS1_25partition_config_selectorILNS1_17partition_subalgoE4EjNS0_10empty_typeEbEEZZNS1_14partition_implILS8_4ELb0ES6_15HIP_vector_typeIjLj2EENS0_17counting_iteratorIjlEEPS9_SG_NS0_5tupleIJPjSI_NS0_16reverse_iteratorISI_EEEEENSH_IJSG_SG_SG_EEES9_SI_JZNS1_25segmented_radix_sort_implINS0_14default_configELb1EPKhPhPKlPlN2at6native12_GLOBAL__N_18offset_tEEE10hipError_tPvRmT1_PNSt15iterator_traitsIS12_E10value_typeET2_T3_PNS13_IS18_E10value_typeET4_jRbjT5_S1E_jjP12ihipStream_tbEUljE_ZNSN_ISO_Lb1ESQ_SR_ST_SU_SY_EESZ_S10_S11_S12_S16_S17_S18_S1B_S1C_jS1D_jS1E_S1E_jjS1G_bEUljE0_EEESZ_S10_S11_S18_S1C_S1E_T6_T7_T9_mT8_S1G_bDpT10_ENKUlT_T0_E_clISt17integral_constantIbLb0EES1U_EEDaS1P_S1Q_EUlS1P_E_NS1_11comp_targetILNS1_3genE2ELNS1_11target_archE906ELNS1_3gpuE6ELNS1_3repE0EEENS1_30default_config_static_selectorELNS0_4arch9wavefront6targetE0EEEvS12_ ; -- Begin function _ZN7rocprim17ROCPRIM_400000_NS6detail17trampoline_kernelINS0_13select_configILj256ELj13ELNS0_17block_load_methodE3ELS4_3ELS4_3ELNS0_20block_scan_algorithmE0ELj4294967295EEENS1_25partition_config_selectorILNS1_17partition_subalgoE4EjNS0_10empty_typeEbEEZZNS1_14partition_implILS8_4ELb0ES6_15HIP_vector_typeIjLj2EENS0_17counting_iteratorIjlEEPS9_SG_NS0_5tupleIJPjSI_NS0_16reverse_iteratorISI_EEEEENSH_IJSG_SG_SG_EEES9_SI_JZNS1_25segmented_radix_sort_implINS0_14default_configELb1EPKhPhPKlPlN2at6native12_GLOBAL__N_18offset_tEEE10hipError_tPvRmT1_PNSt15iterator_traitsIS12_E10value_typeET2_T3_PNS13_IS18_E10value_typeET4_jRbjT5_S1E_jjP12ihipStream_tbEUljE_ZNSN_ISO_Lb1ESQ_SR_ST_SU_SY_EESZ_S10_S11_S12_S16_S17_S18_S1B_S1C_jS1D_jS1E_S1E_jjS1G_bEUljE0_EEESZ_S10_S11_S18_S1C_S1E_T6_T7_T9_mT8_S1G_bDpT10_ENKUlT_T0_E_clISt17integral_constantIbLb0EES1U_EEDaS1P_S1Q_EUlS1P_E_NS1_11comp_targetILNS1_3genE2ELNS1_11target_archE906ELNS1_3gpuE6ELNS1_3repE0EEENS1_30default_config_static_selectorELNS0_4arch9wavefront6targetE0EEEvS12_
	.p2align	8
	.type	_ZN7rocprim17ROCPRIM_400000_NS6detail17trampoline_kernelINS0_13select_configILj256ELj13ELNS0_17block_load_methodE3ELS4_3ELS4_3ELNS0_20block_scan_algorithmE0ELj4294967295EEENS1_25partition_config_selectorILNS1_17partition_subalgoE4EjNS0_10empty_typeEbEEZZNS1_14partition_implILS8_4ELb0ES6_15HIP_vector_typeIjLj2EENS0_17counting_iteratorIjlEEPS9_SG_NS0_5tupleIJPjSI_NS0_16reverse_iteratorISI_EEEEENSH_IJSG_SG_SG_EEES9_SI_JZNS1_25segmented_radix_sort_implINS0_14default_configELb1EPKhPhPKlPlN2at6native12_GLOBAL__N_18offset_tEEE10hipError_tPvRmT1_PNSt15iterator_traitsIS12_E10value_typeET2_T3_PNS13_IS18_E10value_typeET4_jRbjT5_S1E_jjP12ihipStream_tbEUljE_ZNSN_ISO_Lb1ESQ_SR_ST_SU_SY_EESZ_S10_S11_S12_S16_S17_S18_S1B_S1C_jS1D_jS1E_S1E_jjS1G_bEUljE0_EEESZ_S10_S11_S18_S1C_S1E_T6_T7_T9_mT8_S1G_bDpT10_ENKUlT_T0_E_clISt17integral_constantIbLb0EES1U_EEDaS1P_S1Q_EUlS1P_E_NS1_11comp_targetILNS1_3genE2ELNS1_11target_archE906ELNS1_3gpuE6ELNS1_3repE0EEENS1_30default_config_static_selectorELNS0_4arch9wavefront6targetE0EEEvS12_,@function
_ZN7rocprim17ROCPRIM_400000_NS6detail17trampoline_kernelINS0_13select_configILj256ELj13ELNS0_17block_load_methodE3ELS4_3ELS4_3ELNS0_20block_scan_algorithmE0ELj4294967295EEENS1_25partition_config_selectorILNS1_17partition_subalgoE4EjNS0_10empty_typeEbEEZZNS1_14partition_implILS8_4ELb0ES6_15HIP_vector_typeIjLj2EENS0_17counting_iteratorIjlEEPS9_SG_NS0_5tupleIJPjSI_NS0_16reverse_iteratorISI_EEEEENSH_IJSG_SG_SG_EEES9_SI_JZNS1_25segmented_radix_sort_implINS0_14default_configELb1EPKhPhPKlPlN2at6native12_GLOBAL__N_18offset_tEEE10hipError_tPvRmT1_PNSt15iterator_traitsIS12_E10value_typeET2_T3_PNS13_IS18_E10value_typeET4_jRbjT5_S1E_jjP12ihipStream_tbEUljE_ZNSN_ISO_Lb1ESQ_SR_ST_SU_SY_EESZ_S10_S11_S12_S16_S17_S18_S1B_S1C_jS1D_jS1E_S1E_jjS1G_bEUljE0_EEESZ_S10_S11_S18_S1C_S1E_T6_T7_T9_mT8_S1G_bDpT10_ENKUlT_T0_E_clISt17integral_constantIbLb0EES1U_EEDaS1P_S1Q_EUlS1P_E_NS1_11comp_targetILNS1_3genE2ELNS1_11target_archE906ELNS1_3gpuE6ELNS1_3repE0EEENS1_30default_config_static_selectorELNS0_4arch9wavefront6targetE0EEEvS12_: ; @_ZN7rocprim17ROCPRIM_400000_NS6detail17trampoline_kernelINS0_13select_configILj256ELj13ELNS0_17block_load_methodE3ELS4_3ELS4_3ELNS0_20block_scan_algorithmE0ELj4294967295EEENS1_25partition_config_selectorILNS1_17partition_subalgoE4EjNS0_10empty_typeEbEEZZNS1_14partition_implILS8_4ELb0ES6_15HIP_vector_typeIjLj2EENS0_17counting_iteratorIjlEEPS9_SG_NS0_5tupleIJPjSI_NS0_16reverse_iteratorISI_EEEEENSH_IJSG_SG_SG_EEES9_SI_JZNS1_25segmented_radix_sort_implINS0_14default_configELb1EPKhPhPKlPlN2at6native12_GLOBAL__N_18offset_tEEE10hipError_tPvRmT1_PNSt15iterator_traitsIS12_E10value_typeET2_T3_PNS13_IS18_E10value_typeET4_jRbjT5_S1E_jjP12ihipStream_tbEUljE_ZNSN_ISO_Lb1ESQ_SR_ST_SU_SY_EESZ_S10_S11_S12_S16_S17_S18_S1B_S1C_jS1D_jS1E_S1E_jjS1G_bEUljE0_EEESZ_S10_S11_S18_S1C_S1E_T6_T7_T9_mT8_S1G_bDpT10_ENKUlT_T0_E_clISt17integral_constantIbLb0EES1U_EEDaS1P_S1Q_EUlS1P_E_NS1_11comp_targetILNS1_3genE2ELNS1_11target_archE906ELNS1_3gpuE6ELNS1_3repE0EEENS1_30default_config_static_selectorELNS0_4arch9wavefront6targetE0EEEvS12_
; %bb.0:
	.section	.rodata,"a",@progbits
	.p2align	6, 0x0
	.amdhsa_kernel _ZN7rocprim17ROCPRIM_400000_NS6detail17trampoline_kernelINS0_13select_configILj256ELj13ELNS0_17block_load_methodE3ELS4_3ELS4_3ELNS0_20block_scan_algorithmE0ELj4294967295EEENS1_25partition_config_selectorILNS1_17partition_subalgoE4EjNS0_10empty_typeEbEEZZNS1_14partition_implILS8_4ELb0ES6_15HIP_vector_typeIjLj2EENS0_17counting_iteratorIjlEEPS9_SG_NS0_5tupleIJPjSI_NS0_16reverse_iteratorISI_EEEEENSH_IJSG_SG_SG_EEES9_SI_JZNS1_25segmented_radix_sort_implINS0_14default_configELb1EPKhPhPKlPlN2at6native12_GLOBAL__N_18offset_tEEE10hipError_tPvRmT1_PNSt15iterator_traitsIS12_E10value_typeET2_T3_PNS13_IS18_E10value_typeET4_jRbjT5_S1E_jjP12ihipStream_tbEUljE_ZNSN_ISO_Lb1ESQ_SR_ST_SU_SY_EESZ_S10_S11_S12_S16_S17_S18_S1B_S1C_jS1D_jS1E_S1E_jjS1G_bEUljE0_EEESZ_S10_S11_S18_S1C_S1E_T6_T7_T9_mT8_S1G_bDpT10_ENKUlT_T0_E_clISt17integral_constantIbLb0EES1U_EEDaS1P_S1Q_EUlS1P_E_NS1_11comp_targetILNS1_3genE2ELNS1_11target_archE906ELNS1_3gpuE6ELNS1_3repE0EEENS1_30default_config_static_selectorELNS0_4arch9wavefront6targetE0EEEvS12_
		.amdhsa_group_segment_fixed_size 0
		.amdhsa_private_segment_fixed_size 0
		.amdhsa_kernarg_size 176
		.amdhsa_user_sgpr_count 6
		.amdhsa_user_sgpr_private_segment_buffer 1
		.amdhsa_user_sgpr_dispatch_ptr 0
		.amdhsa_user_sgpr_queue_ptr 0
		.amdhsa_user_sgpr_kernarg_segment_ptr 1
		.amdhsa_user_sgpr_dispatch_id 0
		.amdhsa_user_sgpr_flat_scratch_init 0
		.amdhsa_user_sgpr_private_segment_size 0
		.amdhsa_wavefront_size32 1
		.amdhsa_uses_dynamic_stack 0
		.amdhsa_system_sgpr_private_segment_wavefront_offset 0
		.amdhsa_system_sgpr_workgroup_id_x 1
		.amdhsa_system_sgpr_workgroup_id_y 0
		.amdhsa_system_sgpr_workgroup_id_z 0
		.amdhsa_system_sgpr_workgroup_info 0
		.amdhsa_system_vgpr_workitem_id 0
		.amdhsa_next_free_vgpr 1
		.amdhsa_next_free_sgpr 1
		.amdhsa_reserve_vcc 0
		.amdhsa_reserve_flat_scratch 0
		.amdhsa_float_round_mode_32 0
		.amdhsa_float_round_mode_16_64 0
		.amdhsa_float_denorm_mode_32 3
		.amdhsa_float_denorm_mode_16_64 3
		.amdhsa_dx10_clamp 1
		.amdhsa_ieee_mode 1
		.amdhsa_fp16_overflow 0
		.amdhsa_workgroup_processor_mode 1
		.amdhsa_memory_ordered 1
		.amdhsa_forward_progress 1
		.amdhsa_shared_vgpr_count 0
		.amdhsa_exception_fp_ieee_invalid_op 0
		.amdhsa_exception_fp_denorm_src 0
		.amdhsa_exception_fp_ieee_div_zero 0
		.amdhsa_exception_fp_ieee_overflow 0
		.amdhsa_exception_fp_ieee_underflow 0
		.amdhsa_exception_fp_ieee_inexact 0
		.amdhsa_exception_int_div_zero 0
	.end_amdhsa_kernel
	.section	.text._ZN7rocprim17ROCPRIM_400000_NS6detail17trampoline_kernelINS0_13select_configILj256ELj13ELNS0_17block_load_methodE3ELS4_3ELS4_3ELNS0_20block_scan_algorithmE0ELj4294967295EEENS1_25partition_config_selectorILNS1_17partition_subalgoE4EjNS0_10empty_typeEbEEZZNS1_14partition_implILS8_4ELb0ES6_15HIP_vector_typeIjLj2EENS0_17counting_iteratorIjlEEPS9_SG_NS0_5tupleIJPjSI_NS0_16reverse_iteratorISI_EEEEENSH_IJSG_SG_SG_EEES9_SI_JZNS1_25segmented_radix_sort_implINS0_14default_configELb1EPKhPhPKlPlN2at6native12_GLOBAL__N_18offset_tEEE10hipError_tPvRmT1_PNSt15iterator_traitsIS12_E10value_typeET2_T3_PNS13_IS18_E10value_typeET4_jRbjT5_S1E_jjP12ihipStream_tbEUljE_ZNSN_ISO_Lb1ESQ_SR_ST_SU_SY_EESZ_S10_S11_S12_S16_S17_S18_S1B_S1C_jS1D_jS1E_S1E_jjS1G_bEUljE0_EEESZ_S10_S11_S18_S1C_S1E_T6_T7_T9_mT8_S1G_bDpT10_ENKUlT_T0_E_clISt17integral_constantIbLb0EES1U_EEDaS1P_S1Q_EUlS1P_E_NS1_11comp_targetILNS1_3genE2ELNS1_11target_archE906ELNS1_3gpuE6ELNS1_3repE0EEENS1_30default_config_static_selectorELNS0_4arch9wavefront6targetE0EEEvS12_,"axG",@progbits,_ZN7rocprim17ROCPRIM_400000_NS6detail17trampoline_kernelINS0_13select_configILj256ELj13ELNS0_17block_load_methodE3ELS4_3ELS4_3ELNS0_20block_scan_algorithmE0ELj4294967295EEENS1_25partition_config_selectorILNS1_17partition_subalgoE4EjNS0_10empty_typeEbEEZZNS1_14partition_implILS8_4ELb0ES6_15HIP_vector_typeIjLj2EENS0_17counting_iteratorIjlEEPS9_SG_NS0_5tupleIJPjSI_NS0_16reverse_iteratorISI_EEEEENSH_IJSG_SG_SG_EEES9_SI_JZNS1_25segmented_radix_sort_implINS0_14default_configELb1EPKhPhPKlPlN2at6native12_GLOBAL__N_18offset_tEEE10hipError_tPvRmT1_PNSt15iterator_traitsIS12_E10value_typeET2_T3_PNS13_IS18_E10value_typeET4_jRbjT5_S1E_jjP12ihipStream_tbEUljE_ZNSN_ISO_Lb1ESQ_SR_ST_SU_SY_EESZ_S10_S11_S12_S16_S17_S18_S1B_S1C_jS1D_jS1E_S1E_jjS1G_bEUljE0_EEESZ_S10_S11_S18_S1C_S1E_T6_T7_T9_mT8_S1G_bDpT10_ENKUlT_T0_E_clISt17integral_constantIbLb0EES1U_EEDaS1P_S1Q_EUlS1P_E_NS1_11comp_targetILNS1_3genE2ELNS1_11target_archE906ELNS1_3gpuE6ELNS1_3repE0EEENS1_30default_config_static_selectorELNS0_4arch9wavefront6targetE0EEEvS12_,comdat
.Lfunc_end8:
	.size	_ZN7rocprim17ROCPRIM_400000_NS6detail17trampoline_kernelINS0_13select_configILj256ELj13ELNS0_17block_load_methodE3ELS4_3ELS4_3ELNS0_20block_scan_algorithmE0ELj4294967295EEENS1_25partition_config_selectorILNS1_17partition_subalgoE4EjNS0_10empty_typeEbEEZZNS1_14partition_implILS8_4ELb0ES6_15HIP_vector_typeIjLj2EENS0_17counting_iteratorIjlEEPS9_SG_NS0_5tupleIJPjSI_NS0_16reverse_iteratorISI_EEEEENSH_IJSG_SG_SG_EEES9_SI_JZNS1_25segmented_radix_sort_implINS0_14default_configELb1EPKhPhPKlPlN2at6native12_GLOBAL__N_18offset_tEEE10hipError_tPvRmT1_PNSt15iterator_traitsIS12_E10value_typeET2_T3_PNS13_IS18_E10value_typeET4_jRbjT5_S1E_jjP12ihipStream_tbEUljE_ZNSN_ISO_Lb1ESQ_SR_ST_SU_SY_EESZ_S10_S11_S12_S16_S17_S18_S1B_S1C_jS1D_jS1E_S1E_jjS1G_bEUljE0_EEESZ_S10_S11_S18_S1C_S1E_T6_T7_T9_mT8_S1G_bDpT10_ENKUlT_T0_E_clISt17integral_constantIbLb0EES1U_EEDaS1P_S1Q_EUlS1P_E_NS1_11comp_targetILNS1_3genE2ELNS1_11target_archE906ELNS1_3gpuE6ELNS1_3repE0EEENS1_30default_config_static_selectorELNS0_4arch9wavefront6targetE0EEEvS12_, .Lfunc_end8-_ZN7rocprim17ROCPRIM_400000_NS6detail17trampoline_kernelINS0_13select_configILj256ELj13ELNS0_17block_load_methodE3ELS4_3ELS4_3ELNS0_20block_scan_algorithmE0ELj4294967295EEENS1_25partition_config_selectorILNS1_17partition_subalgoE4EjNS0_10empty_typeEbEEZZNS1_14partition_implILS8_4ELb0ES6_15HIP_vector_typeIjLj2EENS0_17counting_iteratorIjlEEPS9_SG_NS0_5tupleIJPjSI_NS0_16reverse_iteratorISI_EEEEENSH_IJSG_SG_SG_EEES9_SI_JZNS1_25segmented_radix_sort_implINS0_14default_configELb1EPKhPhPKlPlN2at6native12_GLOBAL__N_18offset_tEEE10hipError_tPvRmT1_PNSt15iterator_traitsIS12_E10value_typeET2_T3_PNS13_IS18_E10value_typeET4_jRbjT5_S1E_jjP12ihipStream_tbEUljE_ZNSN_ISO_Lb1ESQ_SR_ST_SU_SY_EESZ_S10_S11_S12_S16_S17_S18_S1B_S1C_jS1D_jS1E_S1E_jjS1G_bEUljE0_EEESZ_S10_S11_S18_S1C_S1E_T6_T7_T9_mT8_S1G_bDpT10_ENKUlT_T0_E_clISt17integral_constantIbLb0EES1U_EEDaS1P_S1Q_EUlS1P_E_NS1_11comp_targetILNS1_3genE2ELNS1_11target_archE906ELNS1_3gpuE6ELNS1_3repE0EEENS1_30default_config_static_selectorELNS0_4arch9wavefront6targetE0EEEvS12_
                                        ; -- End function
	.set _ZN7rocprim17ROCPRIM_400000_NS6detail17trampoline_kernelINS0_13select_configILj256ELj13ELNS0_17block_load_methodE3ELS4_3ELS4_3ELNS0_20block_scan_algorithmE0ELj4294967295EEENS1_25partition_config_selectorILNS1_17partition_subalgoE4EjNS0_10empty_typeEbEEZZNS1_14partition_implILS8_4ELb0ES6_15HIP_vector_typeIjLj2EENS0_17counting_iteratorIjlEEPS9_SG_NS0_5tupleIJPjSI_NS0_16reverse_iteratorISI_EEEEENSH_IJSG_SG_SG_EEES9_SI_JZNS1_25segmented_radix_sort_implINS0_14default_configELb1EPKhPhPKlPlN2at6native12_GLOBAL__N_18offset_tEEE10hipError_tPvRmT1_PNSt15iterator_traitsIS12_E10value_typeET2_T3_PNS13_IS18_E10value_typeET4_jRbjT5_S1E_jjP12ihipStream_tbEUljE_ZNSN_ISO_Lb1ESQ_SR_ST_SU_SY_EESZ_S10_S11_S12_S16_S17_S18_S1B_S1C_jS1D_jS1E_S1E_jjS1G_bEUljE0_EEESZ_S10_S11_S18_S1C_S1E_T6_T7_T9_mT8_S1G_bDpT10_ENKUlT_T0_E_clISt17integral_constantIbLb0EES1U_EEDaS1P_S1Q_EUlS1P_E_NS1_11comp_targetILNS1_3genE2ELNS1_11target_archE906ELNS1_3gpuE6ELNS1_3repE0EEENS1_30default_config_static_selectorELNS0_4arch9wavefront6targetE0EEEvS12_.num_vgpr, 0
	.set _ZN7rocprim17ROCPRIM_400000_NS6detail17trampoline_kernelINS0_13select_configILj256ELj13ELNS0_17block_load_methodE3ELS4_3ELS4_3ELNS0_20block_scan_algorithmE0ELj4294967295EEENS1_25partition_config_selectorILNS1_17partition_subalgoE4EjNS0_10empty_typeEbEEZZNS1_14partition_implILS8_4ELb0ES6_15HIP_vector_typeIjLj2EENS0_17counting_iteratorIjlEEPS9_SG_NS0_5tupleIJPjSI_NS0_16reverse_iteratorISI_EEEEENSH_IJSG_SG_SG_EEES9_SI_JZNS1_25segmented_radix_sort_implINS0_14default_configELb1EPKhPhPKlPlN2at6native12_GLOBAL__N_18offset_tEEE10hipError_tPvRmT1_PNSt15iterator_traitsIS12_E10value_typeET2_T3_PNS13_IS18_E10value_typeET4_jRbjT5_S1E_jjP12ihipStream_tbEUljE_ZNSN_ISO_Lb1ESQ_SR_ST_SU_SY_EESZ_S10_S11_S12_S16_S17_S18_S1B_S1C_jS1D_jS1E_S1E_jjS1G_bEUljE0_EEESZ_S10_S11_S18_S1C_S1E_T6_T7_T9_mT8_S1G_bDpT10_ENKUlT_T0_E_clISt17integral_constantIbLb0EES1U_EEDaS1P_S1Q_EUlS1P_E_NS1_11comp_targetILNS1_3genE2ELNS1_11target_archE906ELNS1_3gpuE6ELNS1_3repE0EEENS1_30default_config_static_selectorELNS0_4arch9wavefront6targetE0EEEvS12_.num_agpr, 0
	.set _ZN7rocprim17ROCPRIM_400000_NS6detail17trampoline_kernelINS0_13select_configILj256ELj13ELNS0_17block_load_methodE3ELS4_3ELS4_3ELNS0_20block_scan_algorithmE0ELj4294967295EEENS1_25partition_config_selectorILNS1_17partition_subalgoE4EjNS0_10empty_typeEbEEZZNS1_14partition_implILS8_4ELb0ES6_15HIP_vector_typeIjLj2EENS0_17counting_iteratorIjlEEPS9_SG_NS0_5tupleIJPjSI_NS0_16reverse_iteratorISI_EEEEENSH_IJSG_SG_SG_EEES9_SI_JZNS1_25segmented_radix_sort_implINS0_14default_configELb1EPKhPhPKlPlN2at6native12_GLOBAL__N_18offset_tEEE10hipError_tPvRmT1_PNSt15iterator_traitsIS12_E10value_typeET2_T3_PNS13_IS18_E10value_typeET4_jRbjT5_S1E_jjP12ihipStream_tbEUljE_ZNSN_ISO_Lb1ESQ_SR_ST_SU_SY_EESZ_S10_S11_S12_S16_S17_S18_S1B_S1C_jS1D_jS1E_S1E_jjS1G_bEUljE0_EEESZ_S10_S11_S18_S1C_S1E_T6_T7_T9_mT8_S1G_bDpT10_ENKUlT_T0_E_clISt17integral_constantIbLb0EES1U_EEDaS1P_S1Q_EUlS1P_E_NS1_11comp_targetILNS1_3genE2ELNS1_11target_archE906ELNS1_3gpuE6ELNS1_3repE0EEENS1_30default_config_static_selectorELNS0_4arch9wavefront6targetE0EEEvS12_.numbered_sgpr, 0
	.set _ZN7rocprim17ROCPRIM_400000_NS6detail17trampoline_kernelINS0_13select_configILj256ELj13ELNS0_17block_load_methodE3ELS4_3ELS4_3ELNS0_20block_scan_algorithmE0ELj4294967295EEENS1_25partition_config_selectorILNS1_17partition_subalgoE4EjNS0_10empty_typeEbEEZZNS1_14partition_implILS8_4ELb0ES6_15HIP_vector_typeIjLj2EENS0_17counting_iteratorIjlEEPS9_SG_NS0_5tupleIJPjSI_NS0_16reverse_iteratorISI_EEEEENSH_IJSG_SG_SG_EEES9_SI_JZNS1_25segmented_radix_sort_implINS0_14default_configELb1EPKhPhPKlPlN2at6native12_GLOBAL__N_18offset_tEEE10hipError_tPvRmT1_PNSt15iterator_traitsIS12_E10value_typeET2_T3_PNS13_IS18_E10value_typeET4_jRbjT5_S1E_jjP12ihipStream_tbEUljE_ZNSN_ISO_Lb1ESQ_SR_ST_SU_SY_EESZ_S10_S11_S12_S16_S17_S18_S1B_S1C_jS1D_jS1E_S1E_jjS1G_bEUljE0_EEESZ_S10_S11_S18_S1C_S1E_T6_T7_T9_mT8_S1G_bDpT10_ENKUlT_T0_E_clISt17integral_constantIbLb0EES1U_EEDaS1P_S1Q_EUlS1P_E_NS1_11comp_targetILNS1_3genE2ELNS1_11target_archE906ELNS1_3gpuE6ELNS1_3repE0EEENS1_30default_config_static_selectorELNS0_4arch9wavefront6targetE0EEEvS12_.num_named_barrier, 0
	.set _ZN7rocprim17ROCPRIM_400000_NS6detail17trampoline_kernelINS0_13select_configILj256ELj13ELNS0_17block_load_methodE3ELS4_3ELS4_3ELNS0_20block_scan_algorithmE0ELj4294967295EEENS1_25partition_config_selectorILNS1_17partition_subalgoE4EjNS0_10empty_typeEbEEZZNS1_14partition_implILS8_4ELb0ES6_15HIP_vector_typeIjLj2EENS0_17counting_iteratorIjlEEPS9_SG_NS0_5tupleIJPjSI_NS0_16reverse_iteratorISI_EEEEENSH_IJSG_SG_SG_EEES9_SI_JZNS1_25segmented_radix_sort_implINS0_14default_configELb1EPKhPhPKlPlN2at6native12_GLOBAL__N_18offset_tEEE10hipError_tPvRmT1_PNSt15iterator_traitsIS12_E10value_typeET2_T3_PNS13_IS18_E10value_typeET4_jRbjT5_S1E_jjP12ihipStream_tbEUljE_ZNSN_ISO_Lb1ESQ_SR_ST_SU_SY_EESZ_S10_S11_S12_S16_S17_S18_S1B_S1C_jS1D_jS1E_S1E_jjS1G_bEUljE0_EEESZ_S10_S11_S18_S1C_S1E_T6_T7_T9_mT8_S1G_bDpT10_ENKUlT_T0_E_clISt17integral_constantIbLb0EES1U_EEDaS1P_S1Q_EUlS1P_E_NS1_11comp_targetILNS1_3genE2ELNS1_11target_archE906ELNS1_3gpuE6ELNS1_3repE0EEENS1_30default_config_static_selectorELNS0_4arch9wavefront6targetE0EEEvS12_.private_seg_size, 0
	.set _ZN7rocprim17ROCPRIM_400000_NS6detail17trampoline_kernelINS0_13select_configILj256ELj13ELNS0_17block_load_methodE3ELS4_3ELS4_3ELNS0_20block_scan_algorithmE0ELj4294967295EEENS1_25partition_config_selectorILNS1_17partition_subalgoE4EjNS0_10empty_typeEbEEZZNS1_14partition_implILS8_4ELb0ES6_15HIP_vector_typeIjLj2EENS0_17counting_iteratorIjlEEPS9_SG_NS0_5tupleIJPjSI_NS0_16reverse_iteratorISI_EEEEENSH_IJSG_SG_SG_EEES9_SI_JZNS1_25segmented_radix_sort_implINS0_14default_configELb1EPKhPhPKlPlN2at6native12_GLOBAL__N_18offset_tEEE10hipError_tPvRmT1_PNSt15iterator_traitsIS12_E10value_typeET2_T3_PNS13_IS18_E10value_typeET4_jRbjT5_S1E_jjP12ihipStream_tbEUljE_ZNSN_ISO_Lb1ESQ_SR_ST_SU_SY_EESZ_S10_S11_S12_S16_S17_S18_S1B_S1C_jS1D_jS1E_S1E_jjS1G_bEUljE0_EEESZ_S10_S11_S18_S1C_S1E_T6_T7_T9_mT8_S1G_bDpT10_ENKUlT_T0_E_clISt17integral_constantIbLb0EES1U_EEDaS1P_S1Q_EUlS1P_E_NS1_11comp_targetILNS1_3genE2ELNS1_11target_archE906ELNS1_3gpuE6ELNS1_3repE0EEENS1_30default_config_static_selectorELNS0_4arch9wavefront6targetE0EEEvS12_.uses_vcc, 0
	.set _ZN7rocprim17ROCPRIM_400000_NS6detail17trampoline_kernelINS0_13select_configILj256ELj13ELNS0_17block_load_methodE3ELS4_3ELS4_3ELNS0_20block_scan_algorithmE0ELj4294967295EEENS1_25partition_config_selectorILNS1_17partition_subalgoE4EjNS0_10empty_typeEbEEZZNS1_14partition_implILS8_4ELb0ES6_15HIP_vector_typeIjLj2EENS0_17counting_iteratorIjlEEPS9_SG_NS0_5tupleIJPjSI_NS0_16reverse_iteratorISI_EEEEENSH_IJSG_SG_SG_EEES9_SI_JZNS1_25segmented_radix_sort_implINS0_14default_configELb1EPKhPhPKlPlN2at6native12_GLOBAL__N_18offset_tEEE10hipError_tPvRmT1_PNSt15iterator_traitsIS12_E10value_typeET2_T3_PNS13_IS18_E10value_typeET4_jRbjT5_S1E_jjP12ihipStream_tbEUljE_ZNSN_ISO_Lb1ESQ_SR_ST_SU_SY_EESZ_S10_S11_S12_S16_S17_S18_S1B_S1C_jS1D_jS1E_S1E_jjS1G_bEUljE0_EEESZ_S10_S11_S18_S1C_S1E_T6_T7_T9_mT8_S1G_bDpT10_ENKUlT_T0_E_clISt17integral_constantIbLb0EES1U_EEDaS1P_S1Q_EUlS1P_E_NS1_11comp_targetILNS1_3genE2ELNS1_11target_archE906ELNS1_3gpuE6ELNS1_3repE0EEENS1_30default_config_static_selectorELNS0_4arch9wavefront6targetE0EEEvS12_.uses_flat_scratch, 0
	.set _ZN7rocprim17ROCPRIM_400000_NS6detail17trampoline_kernelINS0_13select_configILj256ELj13ELNS0_17block_load_methodE3ELS4_3ELS4_3ELNS0_20block_scan_algorithmE0ELj4294967295EEENS1_25partition_config_selectorILNS1_17partition_subalgoE4EjNS0_10empty_typeEbEEZZNS1_14partition_implILS8_4ELb0ES6_15HIP_vector_typeIjLj2EENS0_17counting_iteratorIjlEEPS9_SG_NS0_5tupleIJPjSI_NS0_16reverse_iteratorISI_EEEEENSH_IJSG_SG_SG_EEES9_SI_JZNS1_25segmented_radix_sort_implINS0_14default_configELb1EPKhPhPKlPlN2at6native12_GLOBAL__N_18offset_tEEE10hipError_tPvRmT1_PNSt15iterator_traitsIS12_E10value_typeET2_T3_PNS13_IS18_E10value_typeET4_jRbjT5_S1E_jjP12ihipStream_tbEUljE_ZNSN_ISO_Lb1ESQ_SR_ST_SU_SY_EESZ_S10_S11_S12_S16_S17_S18_S1B_S1C_jS1D_jS1E_S1E_jjS1G_bEUljE0_EEESZ_S10_S11_S18_S1C_S1E_T6_T7_T9_mT8_S1G_bDpT10_ENKUlT_T0_E_clISt17integral_constantIbLb0EES1U_EEDaS1P_S1Q_EUlS1P_E_NS1_11comp_targetILNS1_3genE2ELNS1_11target_archE906ELNS1_3gpuE6ELNS1_3repE0EEENS1_30default_config_static_selectorELNS0_4arch9wavefront6targetE0EEEvS12_.has_dyn_sized_stack, 0
	.set _ZN7rocprim17ROCPRIM_400000_NS6detail17trampoline_kernelINS0_13select_configILj256ELj13ELNS0_17block_load_methodE3ELS4_3ELS4_3ELNS0_20block_scan_algorithmE0ELj4294967295EEENS1_25partition_config_selectorILNS1_17partition_subalgoE4EjNS0_10empty_typeEbEEZZNS1_14partition_implILS8_4ELb0ES6_15HIP_vector_typeIjLj2EENS0_17counting_iteratorIjlEEPS9_SG_NS0_5tupleIJPjSI_NS0_16reverse_iteratorISI_EEEEENSH_IJSG_SG_SG_EEES9_SI_JZNS1_25segmented_radix_sort_implINS0_14default_configELb1EPKhPhPKlPlN2at6native12_GLOBAL__N_18offset_tEEE10hipError_tPvRmT1_PNSt15iterator_traitsIS12_E10value_typeET2_T3_PNS13_IS18_E10value_typeET4_jRbjT5_S1E_jjP12ihipStream_tbEUljE_ZNSN_ISO_Lb1ESQ_SR_ST_SU_SY_EESZ_S10_S11_S12_S16_S17_S18_S1B_S1C_jS1D_jS1E_S1E_jjS1G_bEUljE0_EEESZ_S10_S11_S18_S1C_S1E_T6_T7_T9_mT8_S1G_bDpT10_ENKUlT_T0_E_clISt17integral_constantIbLb0EES1U_EEDaS1P_S1Q_EUlS1P_E_NS1_11comp_targetILNS1_3genE2ELNS1_11target_archE906ELNS1_3gpuE6ELNS1_3repE0EEENS1_30default_config_static_selectorELNS0_4arch9wavefront6targetE0EEEvS12_.has_recursion, 0
	.set _ZN7rocprim17ROCPRIM_400000_NS6detail17trampoline_kernelINS0_13select_configILj256ELj13ELNS0_17block_load_methodE3ELS4_3ELS4_3ELNS0_20block_scan_algorithmE0ELj4294967295EEENS1_25partition_config_selectorILNS1_17partition_subalgoE4EjNS0_10empty_typeEbEEZZNS1_14partition_implILS8_4ELb0ES6_15HIP_vector_typeIjLj2EENS0_17counting_iteratorIjlEEPS9_SG_NS0_5tupleIJPjSI_NS0_16reverse_iteratorISI_EEEEENSH_IJSG_SG_SG_EEES9_SI_JZNS1_25segmented_radix_sort_implINS0_14default_configELb1EPKhPhPKlPlN2at6native12_GLOBAL__N_18offset_tEEE10hipError_tPvRmT1_PNSt15iterator_traitsIS12_E10value_typeET2_T3_PNS13_IS18_E10value_typeET4_jRbjT5_S1E_jjP12ihipStream_tbEUljE_ZNSN_ISO_Lb1ESQ_SR_ST_SU_SY_EESZ_S10_S11_S12_S16_S17_S18_S1B_S1C_jS1D_jS1E_S1E_jjS1G_bEUljE0_EEESZ_S10_S11_S18_S1C_S1E_T6_T7_T9_mT8_S1G_bDpT10_ENKUlT_T0_E_clISt17integral_constantIbLb0EES1U_EEDaS1P_S1Q_EUlS1P_E_NS1_11comp_targetILNS1_3genE2ELNS1_11target_archE906ELNS1_3gpuE6ELNS1_3repE0EEENS1_30default_config_static_selectorELNS0_4arch9wavefront6targetE0EEEvS12_.has_indirect_call, 0
	.section	.AMDGPU.csdata,"",@progbits
; Kernel info:
; codeLenInByte = 0
; TotalNumSgprs: 0
; NumVgprs: 0
; ScratchSize: 0
; MemoryBound: 0
; FloatMode: 240
; IeeeMode: 1
; LDSByteSize: 0 bytes/workgroup (compile time only)
; SGPRBlocks: 0
; VGPRBlocks: 0
; NumSGPRsForWavesPerEU: 1
; NumVGPRsForWavesPerEU: 1
; Occupancy: 16
; WaveLimiterHint : 0
; COMPUTE_PGM_RSRC2:SCRATCH_EN: 0
; COMPUTE_PGM_RSRC2:USER_SGPR: 6
; COMPUTE_PGM_RSRC2:TRAP_HANDLER: 0
; COMPUTE_PGM_RSRC2:TGID_X_EN: 1
; COMPUTE_PGM_RSRC2:TGID_Y_EN: 0
; COMPUTE_PGM_RSRC2:TGID_Z_EN: 0
; COMPUTE_PGM_RSRC2:TIDIG_COMP_CNT: 0
	.section	.text._ZN7rocprim17ROCPRIM_400000_NS6detail17trampoline_kernelINS0_13select_configILj256ELj13ELNS0_17block_load_methodE3ELS4_3ELS4_3ELNS0_20block_scan_algorithmE0ELj4294967295EEENS1_25partition_config_selectorILNS1_17partition_subalgoE4EjNS0_10empty_typeEbEEZZNS1_14partition_implILS8_4ELb0ES6_15HIP_vector_typeIjLj2EENS0_17counting_iteratorIjlEEPS9_SG_NS0_5tupleIJPjSI_NS0_16reverse_iteratorISI_EEEEENSH_IJSG_SG_SG_EEES9_SI_JZNS1_25segmented_radix_sort_implINS0_14default_configELb1EPKhPhPKlPlN2at6native12_GLOBAL__N_18offset_tEEE10hipError_tPvRmT1_PNSt15iterator_traitsIS12_E10value_typeET2_T3_PNS13_IS18_E10value_typeET4_jRbjT5_S1E_jjP12ihipStream_tbEUljE_ZNSN_ISO_Lb1ESQ_SR_ST_SU_SY_EESZ_S10_S11_S12_S16_S17_S18_S1B_S1C_jS1D_jS1E_S1E_jjS1G_bEUljE0_EEESZ_S10_S11_S18_S1C_S1E_T6_T7_T9_mT8_S1G_bDpT10_ENKUlT_T0_E_clISt17integral_constantIbLb0EES1U_EEDaS1P_S1Q_EUlS1P_E_NS1_11comp_targetILNS1_3genE10ELNS1_11target_archE1200ELNS1_3gpuE4ELNS1_3repE0EEENS1_30default_config_static_selectorELNS0_4arch9wavefront6targetE0EEEvS12_,"axG",@progbits,_ZN7rocprim17ROCPRIM_400000_NS6detail17trampoline_kernelINS0_13select_configILj256ELj13ELNS0_17block_load_methodE3ELS4_3ELS4_3ELNS0_20block_scan_algorithmE0ELj4294967295EEENS1_25partition_config_selectorILNS1_17partition_subalgoE4EjNS0_10empty_typeEbEEZZNS1_14partition_implILS8_4ELb0ES6_15HIP_vector_typeIjLj2EENS0_17counting_iteratorIjlEEPS9_SG_NS0_5tupleIJPjSI_NS0_16reverse_iteratorISI_EEEEENSH_IJSG_SG_SG_EEES9_SI_JZNS1_25segmented_radix_sort_implINS0_14default_configELb1EPKhPhPKlPlN2at6native12_GLOBAL__N_18offset_tEEE10hipError_tPvRmT1_PNSt15iterator_traitsIS12_E10value_typeET2_T3_PNS13_IS18_E10value_typeET4_jRbjT5_S1E_jjP12ihipStream_tbEUljE_ZNSN_ISO_Lb1ESQ_SR_ST_SU_SY_EESZ_S10_S11_S12_S16_S17_S18_S1B_S1C_jS1D_jS1E_S1E_jjS1G_bEUljE0_EEESZ_S10_S11_S18_S1C_S1E_T6_T7_T9_mT8_S1G_bDpT10_ENKUlT_T0_E_clISt17integral_constantIbLb0EES1U_EEDaS1P_S1Q_EUlS1P_E_NS1_11comp_targetILNS1_3genE10ELNS1_11target_archE1200ELNS1_3gpuE4ELNS1_3repE0EEENS1_30default_config_static_selectorELNS0_4arch9wavefront6targetE0EEEvS12_,comdat
	.globl	_ZN7rocprim17ROCPRIM_400000_NS6detail17trampoline_kernelINS0_13select_configILj256ELj13ELNS0_17block_load_methodE3ELS4_3ELS4_3ELNS0_20block_scan_algorithmE0ELj4294967295EEENS1_25partition_config_selectorILNS1_17partition_subalgoE4EjNS0_10empty_typeEbEEZZNS1_14partition_implILS8_4ELb0ES6_15HIP_vector_typeIjLj2EENS0_17counting_iteratorIjlEEPS9_SG_NS0_5tupleIJPjSI_NS0_16reverse_iteratorISI_EEEEENSH_IJSG_SG_SG_EEES9_SI_JZNS1_25segmented_radix_sort_implINS0_14default_configELb1EPKhPhPKlPlN2at6native12_GLOBAL__N_18offset_tEEE10hipError_tPvRmT1_PNSt15iterator_traitsIS12_E10value_typeET2_T3_PNS13_IS18_E10value_typeET4_jRbjT5_S1E_jjP12ihipStream_tbEUljE_ZNSN_ISO_Lb1ESQ_SR_ST_SU_SY_EESZ_S10_S11_S12_S16_S17_S18_S1B_S1C_jS1D_jS1E_S1E_jjS1G_bEUljE0_EEESZ_S10_S11_S18_S1C_S1E_T6_T7_T9_mT8_S1G_bDpT10_ENKUlT_T0_E_clISt17integral_constantIbLb0EES1U_EEDaS1P_S1Q_EUlS1P_E_NS1_11comp_targetILNS1_3genE10ELNS1_11target_archE1200ELNS1_3gpuE4ELNS1_3repE0EEENS1_30default_config_static_selectorELNS0_4arch9wavefront6targetE0EEEvS12_ ; -- Begin function _ZN7rocprim17ROCPRIM_400000_NS6detail17trampoline_kernelINS0_13select_configILj256ELj13ELNS0_17block_load_methodE3ELS4_3ELS4_3ELNS0_20block_scan_algorithmE0ELj4294967295EEENS1_25partition_config_selectorILNS1_17partition_subalgoE4EjNS0_10empty_typeEbEEZZNS1_14partition_implILS8_4ELb0ES6_15HIP_vector_typeIjLj2EENS0_17counting_iteratorIjlEEPS9_SG_NS0_5tupleIJPjSI_NS0_16reverse_iteratorISI_EEEEENSH_IJSG_SG_SG_EEES9_SI_JZNS1_25segmented_radix_sort_implINS0_14default_configELb1EPKhPhPKlPlN2at6native12_GLOBAL__N_18offset_tEEE10hipError_tPvRmT1_PNSt15iterator_traitsIS12_E10value_typeET2_T3_PNS13_IS18_E10value_typeET4_jRbjT5_S1E_jjP12ihipStream_tbEUljE_ZNSN_ISO_Lb1ESQ_SR_ST_SU_SY_EESZ_S10_S11_S12_S16_S17_S18_S1B_S1C_jS1D_jS1E_S1E_jjS1G_bEUljE0_EEESZ_S10_S11_S18_S1C_S1E_T6_T7_T9_mT8_S1G_bDpT10_ENKUlT_T0_E_clISt17integral_constantIbLb0EES1U_EEDaS1P_S1Q_EUlS1P_E_NS1_11comp_targetILNS1_3genE10ELNS1_11target_archE1200ELNS1_3gpuE4ELNS1_3repE0EEENS1_30default_config_static_selectorELNS0_4arch9wavefront6targetE0EEEvS12_
	.p2align	8
	.type	_ZN7rocprim17ROCPRIM_400000_NS6detail17trampoline_kernelINS0_13select_configILj256ELj13ELNS0_17block_load_methodE3ELS4_3ELS4_3ELNS0_20block_scan_algorithmE0ELj4294967295EEENS1_25partition_config_selectorILNS1_17partition_subalgoE4EjNS0_10empty_typeEbEEZZNS1_14partition_implILS8_4ELb0ES6_15HIP_vector_typeIjLj2EENS0_17counting_iteratorIjlEEPS9_SG_NS0_5tupleIJPjSI_NS0_16reverse_iteratorISI_EEEEENSH_IJSG_SG_SG_EEES9_SI_JZNS1_25segmented_radix_sort_implINS0_14default_configELb1EPKhPhPKlPlN2at6native12_GLOBAL__N_18offset_tEEE10hipError_tPvRmT1_PNSt15iterator_traitsIS12_E10value_typeET2_T3_PNS13_IS18_E10value_typeET4_jRbjT5_S1E_jjP12ihipStream_tbEUljE_ZNSN_ISO_Lb1ESQ_SR_ST_SU_SY_EESZ_S10_S11_S12_S16_S17_S18_S1B_S1C_jS1D_jS1E_S1E_jjS1G_bEUljE0_EEESZ_S10_S11_S18_S1C_S1E_T6_T7_T9_mT8_S1G_bDpT10_ENKUlT_T0_E_clISt17integral_constantIbLb0EES1U_EEDaS1P_S1Q_EUlS1P_E_NS1_11comp_targetILNS1_3genE10ELNS1_11target_archE1200ELNS1_3gpuE4ELNS1_3repE0EEENS1_30default_config_static_selectorELNS0_4arch9wavefront6targetE0EEEvS12_,@function
_ZN7rocprim17ROCPRIM_400000_NS6detail17trampoline_kernelINS0_13select_configILj256ELj13ELNS0_17block_load_methodE3ELS4_3ELS4_3ELNS0_20block_scan_algorithmE0ELj4294967295EEENS1_25partition_config_selectorILNS1_17partition_subalgoE4EjNS0_10empty_typeEbEEZZNS1_14partition_implILS8_4ELb0ES6_15HIP_vector_typeIjLj2EENS0_17counting_iteratorIjlEEPS9_SG_NS0_5tupleIJPjSI_NS0_16reverse_iteratorISI_EEEEENSH_IJSG_SG_SG_EEES9_SI_JZNS1_25segmented_radix_sort_implINS0_14default_configELb1EPKhPhPKlPlN2at6native12_GLOBAL__N_18offset_tEEE10hipError_tPvRmT1_PNSt15iterator_traitsIS12_E10value_typeET2_T3_PNS13_IS18_E10value_typeET4_jRbjT5_S1E_jjP12ihipStream_tbEUljE_ZNSN_ISO_Lb1ESQ_SR_ST_SU_SY_EESZ_S10_S11_S12_S16_S17_S18_S1B_S1C_jS1D_jS1E_S1E_jjS1G_bEUljE0_EEESZ_S10_S11_S18_S1C_S1E_T6_T7_T9_mT8_S1G_bDpT10_ENKUlT_T0_E_clISt17integral_constantIbLb0EES1U_EEDaS1P_S1Q_EUlS1P_E_NS1_11comp_targetILNS1_3genE10ELNS1_11target_archE1200ELNS1_3gpuE4ELNS1_3repE0EEENS1_30default_config_static_selectorELNS0_4arch9wavefront6targetE0EEEvS12_: ; @_ZN7rocprim17ROCPRIM_400000_NS6detail17trampoline_kernelINS0_13select_configILj256ELj13ELNS0_17block_load_methodE3ELS4_3ELS4_3ELNS0_20block_scan_algorithmE0ELj4294967295EEENS1_25partition_config_selectorILNS1_17partition_subalgoE4EjNS0_10empty_typeEbEEZZNS1_14partition_implILS8_4ELb0ES6_15HIP_vector_typeIjLj2EENS0_17counting_iteratorIjlEEPS9_SG_NS0_5tupleIJPjSI_NS0_16reverse_iteratorISI_EEEEENSH_IJSG_SG_SG_EEES9_SI_JZNS1_25segmented_radix_sort_implINS0_14default_configELb1EPKhPhPKlPlN2at6native12_GLOBAL__N_18offset_tEEE10hipError_tPvRmT1_PNSt15iterator_traitsIS12_E10value_typeET2_T3_PNS13_IS18_E10value_typeET4_jRbjT5_S1E_jjP12ihipStream_tbEUljE_ZNSN_ISO_Lb1ESQ_SR_ST_SU_SY_EESZ_S10_S11_S12_S16_S17_S18_S1B_S1C_jS1D_jS1E_S1E_jjS1G_bEUljE0_EEESZ_S10_S11_S18_S1C_S1E_T6_T7_T9_mT8_S1G_bDpT10_ENKUlT_T0_E_clISt17integral_constantIbLb0EES1U_EEDaS1P_S1Q_EUlS1P_E_NS1_11comp_targetILNS1_3genE10ELNS1_11target_archE1200ELNS1_3gpuE4ELNS1_3repE0EEENS1_30default_config_static_selectorELNS0_4arch9wavefront6targetE0EEEvS12_
; %bb.0:
	.section	.rodata,"a",@progbits
	.p2align	6, 0x0
	.amdhsa_kernel _ZN7rocprim17ROCPRIM_400000_NS6detail17trampoline_kernelINS0_13select_configILj256ELj13ELNS0_17block_load_methodE3ELS4_3ELS4_3ELNS0_20block_scan_algorithmE0ELj4294967295EEENS1_25partition_config_selectorILNS1_17partition_subalgoE4EjNS0_10empty_typeEbEEZZNS1_14partition_implILS8_4ELb0ES6_15HIP_vector_typeIjLj2EENS0_17counting_iteratorIjlEEPS9_SG_NS0_5tupleIJPjSI_NS0_16reverse_iteratorISI_EEEEENSH_IJSG_SG_SG_EEES9_SI_JZNS1_25segmented_radix_sort_implINS0_14default_configELb1EPKhPhPKlPlN2at6native12_GLOBAL__N_18offset_tEEE10hipError_tPvRmT1_PNSt15iterator_traitsIS12_E10value_typeET2_T3_PNS13_IS18_E10value_typeET4_jRbjT5_S1E_jjP12ihipStream_tbEUljE_ZNSN_ISO_Lb1ESQ_SR_ST_SU_SY_EESZ_S10_S11_S12_S16_S17_S18_S1B_S1C_jS1D_jS1E_S1E_jjS1G_bEUljE0_EEESZ_S10_S11_S18_S1C_S1E_T6_T7_T9_mT8_S1G_bDpT10_ENKUlT_T0_E_clISt17integral_constantIbLb0EES1U_EEDaS1P_S1Q_EUlS1P_E_NS1_11comp_targetILNS1_3genE10ELNS1_11target_archE1200ELNS1_3gpuE4ELNS1_3repE0EEENS1_30default_config_static_selectorELNS0_4arch9wavefront6targetE0EEEvS12_
		.amdhsa_group_segment_fixed_size 0
		.amdhsa_private_segment_fixed_size 0
		.amdhsa_kernarg_size 176
		.amdhsa_user_sgpr_count 6
		.amdhsa_user_sgpr_private_segment_buffer 1
		.amdhsa_user_sgpr_dispatch_ptr 0
		.amdhsa_user_sgpr_queue_ptr 0
		.amdhsa_user_sgpr_kernarg_segment_ptr 1
		.amdhsa_user_sgpr_dispatch_id 0
		.amdhsa_user_sgpr_flat_scratch_init 0
		.amdhsa_user_sgpr_private_segment_size 0
		.amdhsa_wavefront_size32 1
		.amdhsa_uses_dynamic_stack 0
		.amdhsa_system_sgpr_private_segment_wavefront_offset 0
		.amdhsa_system_sgpr_workgroup_id_x 1
		.amdhsa_system_sgpr_workgroup_id_y 0
		.amdhsa_system_sgpr_workgroup_id_z 0
		.amdhsa_system_sgpr_workgroup_info 0
		.amdhsa_system_vgpr_workitem_id 0
		.amdhsa_next_free_vgpr 1
		.amdhsa_next_free_sgpr 1
		.amdhsa_reserve_vcc 0
		.amdhsa_reserve_flat_scratch 0
		.amdhsa_float_round_mode_32 0
		.amdhsa_float_round_mode_16_64 0
		.amdhsa_float_denorm_mode_32 3
		.amdhsa_float_denorm_mode_16_64 3
		.amdhsa_dx10_clamp 1
		.amdhsa_ieee_mode 1
		.amdhsa_fp16_overflow 0
		.amdhsa_workgroup_processor_mode 1
		.amdhsa_memory_ordered 1
		.amdhsa_forward_progress 1
		.amdhsa_shared_vgpr_count 0
		.amdhsa_exception_fp_ieee_invalid_op 0
		.amdhsa_exception_fp_denorm_src 0
		.amdhsa_exception_fp_ieee_div_zero 0
		.amdhsa_exception_fp_ieee_overflow 0
		.amdhsa_exception_fp_ieee_underflow 0
		.amdhsa_exception_fp_ieee_inexact 0
		.amdhsa_exception_int_div_zero 0
	.end_amdhsa_kernel
	.section	.text._ZN7rocprim17ROCPRIM_400000_NS6detail17trampoline_kernelINS0_13select_configILj256ELj13ELNS0_17block_load_methodE3ELS4_3ELS4_3ELNS0_20block_scan_algorithmE0ELj4294967295EEENS1_25partition_config_selectorILNS1_17partition_subalgoE4EjNS0_10empty_typeEbEEZZNS1_14partition_implILS8_4ELb0ES6_15HIP_vector_typeIjLj2EENS0_17counting_iteratorIjlEEPS9_SG_NS0_5tupleIJPjSI_NS0_16reverse_iteratorISI_EEEEENSH_IJSG_SG_SG_EEES9_SI_JZNS1_25segmented_radix_sort_implINS0_14default_configELb1EPKhPhPKlPlN2at6native12_GLOBAL__N_18offset_tEEE10hipError_tPvRmT1_PNSt15iterator_traitsIS12_E10value_typeET2_T3_PNS13_IS18_E10value_typeET4_jRbjT5_S1E_jjP12ihipStream_tbEUljE_ZNSN_ISO_Lb1ESQ_SR_ST_SU_SY_EESZ_S10_S11_S12_S16_S17_S18_S1B_S1C_jS1D_jS1E_S1E_jjS1G_bEUljE0_EEESZ_S10_S11_S18_S1C_S1E_T6_T7_T9_mT8_S1G_bDpT10_ENKUlT_T0_E_clISt17integral_constantIbLb0EES1U_EEDaS1P_S1Q_EUlS1P_E_NS1_11comp_targetILNS1_3genE10ELNS1_11target_archE1200ELNS1_3gpuE4ELNS1_3repE0EEENS1_30default_config_static_selectorELNS0_4arch9wavefront6targetE0EEEvS12_,"axG",@progbits,_ZN7rocprim17ROCPRIM_400000_NS6detail17trampoline_kernelINS0_13select_configILj256ELj13ELNS0_17block_load_methodE3ELS4_3ELS4_3ELNS0_20block_scan_algorithmE0ELj4294967295EEENS1_25partition_config_selectorILNS1_17partition_subalgoE4EjNS0_10empty_typeEbEEZZNS1_14partition_implILS8_4ELb0ES6_15HIP_vector_typeIjLj2EENS0_17counting_iteratorIjlEEPS9_SG_NS0_5tupleIJPjSI_NS0_16reverse_iteratorISI_EEEEENSH_IJSG_SG_SG_EEES9_SI_JZNS1_25segmented_radix_sort_implINS0_14default_configELb1EPKhPhPKlPlN2at6native12_GLOBAL__N_18offset_tEEE10hipError_tPvRmT1_PNSt15iterator_traitsIS12_E10value_typeET2_T3_PNS13_IS18_E10value_typeET4_jRbjT5_S1E_jjP12ihipStream_tbEUljE_ZNSN_ISO_Lb1ESQ_SR_ST_SU_SY_EESZ_S10_S11_S12_S16_S17_S18_S1B_S1C_jS1D_jS1E_S1E_jjS1G_bEUljE0_EEESZ_S10_S11_S18_S1C_S1E_T6_T7_T9_mT8_S1G_bDpT10_ENKUlT_T0_E_clISt17integral_constantIbLb0EES1U_EEDaS1P_S1Q_EUlS1P_E_NS1_11comp_targetILNS1_3genE10ELNS1_11target_archE1200ELNS1_3gpuE4ELNS1_3repE0EEENS1_30default_config_static_selectorELNS0_4arch9wavefront6targetE0EEEvS12_,comdat
.Lfunc_end9:
	.size	_ZN7rocprim17ROCPRIM_400000_NS6detail17trampoline_kernelINS0_13select_configILj256ELj13ELNS0_17block_load_methodE3ELS4_3ELS4_3ELNS0_20block_scan_algorithmE0ELj4294967295EEENS1_25partition_config_selectorILNS1_17partition_subalgoE4EjNS0_10empty_typeEbEEZZNS1_14partition_implILS8_4ELb0ES6_15HIP_vector_typeIjLj2EENS0_17counting_iteratorIjlEEPS9_SG_NS0_5tupleIJPjSI_NS0_16reverse_iteratorISI_EEEEENSH_IJSG_SG_SG_EEES9_SI_JZNS1_25segmented_radix_sort_implINS0_14default_configELb1EPKhPhPKlPlN2at6native12_GLOBAL__N_18offset_tEEE10hipError_tPvRmT1_PNSt15iterator_traitsIS12_E10value_typeET2_T3_PNS13_IS18_E10value_typeET4_jRbjT5_S1E_jjP12ihipStream_tbEUljE_ZNSN_ISO_Lb1ESQ_SR_ST_SU_SY_EESZ_S10_S11_S12_S16_S17_S18_S1B_S1C_jS1D_jS1E_S1E_jjS1G_bEUljE0_EEESZ_S10_S11_S18_S1C_S1E_T6_T7_T9_mT8_S1G_bDpT10_ENKUlT_T0_E_clISt17integral_constantIbLb0EES1U_EEDaS1P_S1Q_EUlS1P_E_NS1_11comp_targetILNS1_3genE10ELNS1_11target_archE1200ELNS1_3gpuE4ELNS1_3repE0EEENS1_30default_config_static_selectorELNS0_4arch9wavefront6targetE0EEEvS12_, .Lfunc_end9-_ZN7rocprim17ROCPRIM_400000_NS6detail17trampoline_kernelINS0_13select_configILj256ELj13ELNS0_17block_load_methodE3ELS4_3ELS4_3ELNS0_20block_scan_algorithmE0ELj4294967295EEENS1_25partition_config_selectorILNS1_17partition_subalgoE4EjNS0_10empty_typeEbEEZZNS1_14partition_implILS8_4ELb0ES6_15HIP_vector_typeIjLj2EENS0_17counting_iteratorIjlEEPS9_SG_NS0_5tupleIJPjSI_NS0_16reverse_iteratorISI_EEEEENSH_IJSG_SG_SG_EEES9_SI_JZNS1_25segmented_radix_sort_implINS0_14default_configELb1EPKhPhPKlPlN2at6native12_GLOBAL__N_18offset_tEEE10hipError_tPvRmT1_PNSt15iterator_traitsIS12_E10value_typeET2_T3_PNS13_IS18_E10value_typeET4_jRbjT5_S1E_jjP12ihipStream_tbEUljE_ZNSN_ISO_Lb1ESQ_SR_ST_SU_SY_EESZ_S10_S11_S12_S16_S17_S18_S1B_S1C_jS1D_jS1E_S1E_jjS1G_bEUljE0_EEESZ_S10_S11_S18_S1C_S1E_T6_T7_T9_mT8_S1G_bDpT10_ENKUlT_T0_E_clISt17integral_constantIbLb0EES1U_EEDaS1P_S1Q_EUlS1P_E_NS1_11comp_targetILNS1_3genE10ELNS1_11target_archE1200ELNS1_3gpuE4ELNS1_3repE0EEENS1_30default_config_static_selectorELNS0_4arch9wavefront6targetE0EEEvS12_
                                        ; -- End function
	.set _ZN7rocprim17ROCPRIM_400000_NS6detail17trampoline_kernelINS0_13select_configILj256ELj13ELNS0_17block_load_methodE3ELS4_3ELS4_3ELNS0_20block_scan_algorithmE0ELj4294967295EEENS1_25partition_config_selectorILNS1_17partition_subalgoE4EjNS0_10empty_typeEbEEZZNS1_14partition_implILS8_4ELb0ES6_15HIP_vector_typeIjLj2EENS0_17counting_iteratorIjlEEPS9_SG_NS0_5tupleIJPjSI_NS0_16reverse_iteratorISI_EEEEENSH_IJSG_SG_SG_EEES9_SI_JZNS1_25segmented_radix_sort_implINS0_14default_configELb1EPKhPhPKlPlN2at6native12_GLOBAL__N_18offset_tEEE10hipError_tPvRmT1_PNSt15iterator_traitsIS12_E10value_typeET2_T3_PNS13_IS18_E10value_typeET4_jRbjT5_S1E_jjP12ihipStream_tbEUljE_ZNSN_ISO_Lb1ESQ_SR_ST_SU_SY_EESZ_S10_S11_S12_S16_S17_S18_S1B_S1C_jS1D_jS1E_S1E_jjS1G_bEUljE0_EEESZ_S10_S11_S18_S1C_S1E_T6_T7_T9_mT8_S1G_bDpT10_ENKUlT_T0_E_clISt17integral_constantIbLb0EES1U_EEDaS1P_S1Q_EUlS1P_E_NS1_11comp_targetILNS1_3genE10ELNS1_11target_archE1200ELNS1_3gpuE4ELNS1_3repE0EEENS1_30default_config_static_selectorELNS0_4arch9wavefront6targetE0EEEvS12_.num_vgpr, 0
	.set _ZN7rocprim17ROCPRIM_400000_NS6detail17trampoline_kernelINS0_13select_configILj256ELj13ELNS0_17block_load_methodE3ELS4_3ELS4_3ELNS0_20block_scan_algorithmE0ELj4294967295EEENS1_25partition_config_selectorILNS1_17partition_subalgoE4EjNS0_10empty_typeEbEEZZNS1_14partition_implILS8_4ELb0ES6_15HIP_vector_typeIjLj2EENS0_17counting_iteratorIjlEEPS9_SG_NS0_5tupleIJPjSI_NS0_16reverse_iteratorISI_EEEEENSH_IJSG_SG_SG_EEES9_SI_JZNS1_25segmented_radix_sort_implINS0_14default_configELb1EPKhPhPKlPlN2at6native12_GLOBAL__N_18offset_tEEE10hipError_tPvRmT1_PNSt15iterator_traitsIS12_E10value_typeET2_T3_PNS13_IS18_E10value_typeET4_jRbjT5_S1E_jjP12ihipStream_tbEUljE_ZNSN_ISO_Lb1ESQ_SR_ST_SU_SY_EESZ_S10_S11_S12_S16_S17_S18_S1B_S1C_jS1D_jS1E_S1E_jjS1G_bEUljE0_EEESZ_S10_S11_S18_S1C_S1E_T6_T7_T9_mT8_S1G_bDpT10_ENKUlT_T0_E_clISt17integral_constantIbLb0EES1U_EEDaS1P_S1Q_EUlS1P_E_NS1_11comp_targetILNS1_3genE10ELNS1_11target_archE1200ELNS1_3gpuE4ELNS1_3repE0EEENS1_30default_config_static_selectorELNS0_4arch9wavefront6targetE0EEEvS12_.num_agpr, 0
	.set _ZN7rocprim17ROCPRIM_400000_NS6detail17trampoline_kernelINS0_13select_configILj256ELj13ELNS0_17block_load_methodE3ELS4_3ELS4_3ELNS0_20block_scan_algorithmE0ELj4294967295EEENS1_25partition_config_selectorILNS1_17partition_subalgoE4EjNS0_10empty_typeEbEEZZNS1_14partition_implILS8_4ELb0ES6_15HIP_vector_typeIjLj2EENS0_17counting_iteratorIjlEEPS9_SG_NS0_5tupleIJPjSI_NS0_16reverse_iteratorISI_EEEEENSH_IJSG_SG_SG_EEES9_SI_JZNS1_25segmented_radix_sort_implINS0_14default_configELb1EPKhPhPKlPlN2at6native12_GLOBAL__N_18offset_tEEE10hipError_tPvRmT1_PNSt15iterator_traitsIS12_E10value_typeET2_T3_PNS13_IS18_E10value_typeET4_jRbjT5_S1E_jjP12ihipStream_tbEUljE_ZNSN_ISO_Lb1ESQ_SR_ST_SU_SY_EESZ_S10_S11_S12_S16_S17_S18_S1B_S1C_jS1D_jS1E_S1E_jjS1G_bEUljE0_EEESZ_S10_S11_S18_S1C_S1E_T6_T7_T9_mT8_S1G_bDpT10_ENKUlT_T0_E_clISt17integral_constantIbLb0EES1U_EEDaS1P_S1Q_EUlS1P_E_NS1_11comp_targetILNS1_3genE10ELNS1_11target_archE1200ELNS1_3gpuE4ELNS1_3repE0EEENS1_30default_config_static_selectorELNS0_4arch9wavefront6targetE0EEEvS12_.numbered_sgpr, 0
	.set _ZN7rocprim17ROCPRIM_400000_NS6detail17trampoline_kernelINS0_13select_configILj256ELj13ELNS0_17block_load_methodE3ELS4_3ELS4_3ELNS0_20block_scan_algorithmE0ELj4294967295EEENS1_25partition_config_selectorILNS1_17partition_subalgoE4EjNS0_10empty_typeEbEEZZNS1_14partition_implILS8_4ELb0ES6_15HIP_vector_typeIjLj2EENS0_17counting_iteratorIjlEEPS9_SG_NS0_5tupleIJPjSI_NS0_16reverse_iteratorISI_EEEEENSH_IJSG_SG_SG_EEES9_SI_JZNS1_25segmented_radix_sort_implINS0_14default_configELb1EPKhPhPKlPlN2at6native12_GLOBAL__N_18offset_tEEE10hipError_tPvRmT1_PNSt15iterator_traitsIS12_E10value_typeET2_T3_PNS13_IS18_E10value_typeET4_jRbjT5_S1E_jjP12ihipStream_tbEUljE_ZNSN_ISO_Lb1ESQ_SR_ST_SU_SY_EESZ_S10_S11_S12_S16_S17_S18_S1B_S1C_jS1D_jS1E_S1E_jjS1G_bEUljE0_EEESZ_S10_S11_S18_S1C_S1E_T6_T7_T9_mT8_S1G_bDpT10_ENKUlT_T0_E_clISt17integral_constantIbLb0EES1U_EEDaS1P_S1Q_EUlS1P_E_NS1_11comp_targetILNS1_3genE10ELNS1_11target_archE1200ELNS1_3gpuE4ELNS1_3repE0EEENS1_30default_config_static_selectorELNS0_4arch9wavefront6targetE0EEEvS12_.num_named_barrier, 0
	.set _ZN7rocprim17ROCPRIM_400000_NS6detail17trampoline_kernelINS0_13select_configILj256ELj13ELNS0_17block_load_methodE3ELS4_3ELS4_3ELNS0_20block_scan_algorithmE0ELj4294967295EEENS1_25partition_config_selectorILNS1_17partition_subalgoE4EjNS0_10empty_typeEbEEZZNS1_14partition_implILS8_4ELb0ES6_15HIP_vector_typeIjLj2EENS0_17counting_iteratorIjlEEPS9_SG_NS0_5tupleIJPjSI_NS0_16reverse_iteratorISI_EEEEENSH_IJSG_SG_SG_EEES9_SI_JZNS1_25segmented_radix_sort_implINS0_14default_configELb1EPKhPhPKlPlN2at6native12_GLOBAL__N_18offset_tEEE10hipError_tPvRmT1_PNSt15iterator_traitsIS12_E10value_typeET2_T3_PNS13_IS18_E10value_typeET4_jRbjT5_S1E_jjP12ihipStream_tbEUljE_ZNSN_ISO_Lb1ESQ_SR_ST_SU_SY_EESZ_S10_S11_S12_S16_S17_S18_S1B_S1C_jS1D_jS1E_S1E_jjS1G_bEUljE0_EEESZ_S10_S11_S18_S1C_S1E_T6_T7_T9_mT8_S1G_bDpT10_ENKUlT_T0_E_clISt17integral_constantIbLb0EES1U_EEDaS1P_S1Q_EUlS1P_E_NS1_11comp_targetILNS1_3genE10ELNS1_11target_archE1200ELNS1_3gpuE4ELNS1_3repE0EEENS1_30default_config_static_selectorELNS0_4arch9wavefront6targetE0EEEvS12_.private_seg_size, 0
	.set _ZN7rocprim17ROCPRIM_400000_NS6detail17trampoline_kernelINS0_13select_configILj256ELj13ELNS0_17block_load_methodE3ELS4_3ELS4_3ELNS0_20block_scan_algorithmE0ELj4294967295EEENS1_25partition_config_selectorILNS1_17partition_subalgoE4EjNS0_10empty_typeEbEEZZNS1_14partition_implILS8_4ELb0ES6_15HIP_vector_typeIjLj2EENS0_17counting_iteratorIjlEEPS9_SG_NS0_5tupleIJPjSI_NS0_16reverse_iteratorISI_EEEEENSH_IJSG_SG_SG_EEES9_SI_JZNS1_25segmented_radix_sort_implINS0_14default_configELb1EPKhPhPKlPlN2at6native12_GLOBAL__N_18offset_tEEE10hipError_tPvRmT1_PNSt15iterator_traitsIS12_E10value_typeET2_T3_PNS13_IS18_E10value_typeET4_jRbjT5_S1E_jjP12ihipStream_tbEUljE_ZNSN_ISO_Lb1ESQ_SR_ST_SU_SY_EESZ_S10_S11_S12_S16_S17_S18_S1B_S1C_jS1D_jS1E_S1E_jjS1G_bEUljE0_EEESZ_S10_S11_S18_S1C_S1E_T6_T7_T9_mT8_S1G_bDpT10_ENKUlT_T0_E_clISt17integral_constantIbLb0EES1U_EEDaS1P_S1Q_EUlS1P_E_NS1_11comp_targetILNS1_3genE10ELNS1_11target_archE1200ELNS1_3gpuE4ELNS1_3repE0EEENS1_30default_config_static_selectorELNS0_4arch9wavefront6targetE0EEEvS12_.uses_vcc, 0
	.set _ZN7rocprim17ROCPRIM_400000_NS6detail17trampoline_kernelINS0_13select_configILj256ELj13ELNS0_17block_load_methodE3ELS4_3ELS4_3ELNS0_20block_scan_algorithmE0ELj4294967295EEENS1_25partition_config_selectorILNS1_17partition_subalgoE4EjNS0_10empty_typeEbEEZZNS1_14partition_implILS8_4ELb0ES6_15HIP_vector_typeIjLj2EENS0_17counting_iteratorIjlEEPS9_SG_NS0_5tupleIJPjSI_NS0_16reverse_iteratorISI_EEEEENSH_IJSG_SG_SG_EEES9_SI_JZNS1_25segmented_radix_sort_implINS0_14default_configELb1EPKhPhPKlPlN2at6native12_GLOBAL__N_18offset_tEEE10hipError_tPvRmT1_PNSt15iterator_traitsIS12_E10value_typeET2_T3_PNS13_IS18_E10value_typeET4_jRbjT5_S1E_jjP12ihipStream_tbEUljE_ZNSN_ISO_Lb1ESQ_SR_ST_SU_SY_EESZ_S10_S11_S12_S16_S17_S18_S1B_S1C_jS1D_jS1E_S1E_jjS1G_bEUljE0_EEESZ_S10_S11_S18_S1C_S1E_T6_T7_T9_mT8_S1G_bDpT10_ENKUlT_T0_E_clISt17integral_constantIbLb0EES1U_EEDaS1P_S1Q_EUlS1P_E_NS1_11comp_targetILNS1_3genE10ELNS1_11target_archE1200ELNS1_3gpuE4ELNS1_3repE0EEENS1_30default_config_static_selectorELNS0_4arch9wavefront6targetE0EEEvS12_.uses_flat_scratch, 0
	.set _ZN7rocprim17ROCPRIM_400000_NS6detail17trampoline_kernelINS0_13select_configILj256ELj13ELNS0_17block_load_methodE3ELS4_3ELS4_3ELNS0_20block_scan_algorithmE0ELj4294967295EEENS1_25partition_config_selectorILNS1_17partition_subalgoE4EjNS0_10empty_typeEbEEZZNS1_14partition_implILS8_4ELb0ES6_15HIP_vector_typeIjLj2EENS0_17counting_iteratorIjlEEPS9_SG_NS0_5tupleIJPjSI_NS0_16reverse_iteratorISI_EEEEENSH_IJSG_SG_SG_EEES9_SI_JZNS1_25segmented_radix_sort_implINS0_14default_configELb1EPKhPhPKlPlN2at6native12_GLOBAL__N_18offset_tEEE10hipError_tPvRmT1_PNSt15iterator_traitsIS12_E10value_typeET2_T3_PNS13_IS18_E10value_typeET4_jRbjT5_S1E_jjP12ihipStream_tbEUljE_ZNSN_ISO_Lb1ESQ_SR_ST_SU_SY_EESZ_S10_S11_S12_S16_S17_S18_S1B_S1C_jS1D_jS1E_S1E_jjS1G_bEUljE0_EEESZ_S10_S11_S18_S1C_S1E_T6_T7_T9_mT8_S1G_bDpT10_ENKUlT_T0_E_clISt17integral_constantIbLb0EES1U_EEDaS1P_S1Q_EUlS1P_E_NS1_11comp_targetILNS1_3genE10ELNS1_11target_archE1200ELNS1_3gpuE4ELNS1_3repE0EEENS1_30default_config_static_selectorELNS0_4arch9wavefront6targetE0EEEvS12_.has_dyn_sized_stack, 0
	.set _ZN7rocprim17ROCPRIM_400000_NS6detail17trampoline_kernelINS0_13select_configILj256ELj13ELNS0_17block_load_methodE3ELS4_3ELS4_3ELNS0_20block_scan_algorithmE0ELj4294967295EEENS1_25partition_config_selectorILNS1_17partition_subalgoE4EjNS0_10empty_typeEbEEZZNS1_14partition_implILS8_4ELb0ES6_15HIP_vector_typeIjLj2EENS0_17counting_iteratorIjlEEPS9_SG_NS0_5tupleIJPjSI_NS0_16reverse_iteratorISI_EEEEENSH_IJSG_SG_SG_EEES9_SI_JZNS1_25segmented_radix_sort_implINS0_14default_configELb1EPKhPhPKlPlN2at6native12_GLOBAL__N_18offset_tEEE10hipError_tPvRmT1_PNSt15iterator_traitsIS12_E10value_typeET2_T3_PNS13_IS18_E10value_typeET4_jRbjT5_S1E_jjP12ihipStream_tbEUljE_ZNSN_ISO_Lb1ESQ_SR_ST_SU_SY_EESZ_S10_S11_S12_S16_S17_S18_S1B_S1C_jS1D_jS1E_S1E_jjS1G_bEUljE0_EEESZ_S10_S11_S18_S1C_S1E_T6_T7_T9_mT8_S1G_bDpT10_ENKUlT_T0_E_clISt17integral_constantIbLb0EES1U_EEDaS1P_S1Q_EUlS1P_E_NS1_11comp_targetILNS1_3genE10ELNS1_11target_archE1200ELNS1_3gpuE4ELNS1_3repE0EEENS1_30default_config_static_selectorELNS0_4arch9wavefront6targetE0EEEvS12_.has_recursion, 0
	.set _ZN7rocprim17ROCPRIM_400000_NS6detail17trampoline_kernelINS0_13select_configILj256ELj13ELNS0_17block_load_methodE3ELS4_3ELS4_3ELNS0_20block_scan_algorithmE0ELj4294967295EEENS1_25partition_config_selectorILNS1_17partition_subalgoE4EjNS0_10empty_typeEbEEZZNS1_14partition_implILS8_4ELb0ES6_15HIP_vector_typeIjLj2EENS0_17counting_iteratorIjlEEPS9_SG_NS0_5tupleIJPjSI_NS0_16reverse_iteratorISI_EEEEENSH_IJSG_SG_SG_EEES9_SI_JZNS1_25segmented_radix_sort_implINS0_14default_configELb1EPKhPhPKlPlN2at6native12_GLOBAL__N_18offset_tEEE10hipError_tPvRmT1_PNSt15iterator_traitsIS12_E10value_typeET2_T3_PNS13_IS18_E10value_typeET4_jRbjT5_S1E_jjP12ihipStream_tbEUljE_ZNSN_ISO_Lb1ESQ_SR_ST_SU_SY_EESZ_S10_S11_S12_S16_S17_S18_S1B_S1C_jS1D_jS1E_S1E_jjS1G_bEUljE0_EEESZ_S10_S11_S18_S1C_S1E_T6_T7_T9_mT8_S1G_bDpT10_ENKUlT_T0_E_clISt17integral_constantIbLb0EES1U_EEDaS1P_S1Q_EUlS1P_E_NS1_11comp_targetILNS1_3genE10ELNS1_11target_archE1200ELNS1_3gpuE4ELNS1_3repE0EEENS1_30default_config_static_selectorELNS0_4arch9wavefront6targetE0EEEvS12_.has_indirect_call, 0
	.section	.AMDGPU.csdata,"",@progbits
; Kernel info:
; codeLenInByte = 0
; TotalNumSgprs: 0
; NumVgprs: 0
; ScratchSize: 0
; MemoryBound: 0
; FloatMode: 240
; IeeeMode: 1
; LDSByteSize: 0 bytes/workgroup (compile time only)
; SGPRBlocks: 0
; VGPRBlocks: 0
; NumSGPRsForWavesPerEU: 1
; NumVGPRsForWavesPerEU: 1
; Occupancy: 16
; WaveLimiterHint : 0
; COMPUTE_PGM_RSRC2:SCRATCH_EN: 0
; COMPUTE_PGM_RSRC2:USER_SGPR: 6
; COMPUTE_PGM_RSRC2:TRAP_HANDLER: 0
; COMPUTE_PGM_RSRC2:TGID_X_EN: 1
; COMPUTE_PGM_RSRC2:TGID_Y_EN: 0
; COMPUTE_PGM_RSRC2:TGID_Z_EN: 0
; COMPUTE_PGM_RSRC2:TIDIG_COMP_CNT: 0
	.section	.text._ZN7rocprim17ROCPRIM_400000_NS6detail17trampoline_kernelINS0_13select_configILj256ELj13ELNS0_17block_load_methodE3ELS4_3ELS4_3ELNS0_20block_scan_algorithmE0ELj4294967295EEENS1_25partition_config_selectorILNS1_17partition_subalgoE4EjNS0_10empty_typeEbEEZZNS1_14partition_implILS8_4ELb0ES6_15HIP_vector_typeIjLj2EENS0_17counting_iteratorIjlEEPS9_SG_NS0_5tupleIJPjSI_NS0_16reverse_iteratorISI_EEEEENSH_IJSG_SG_SG_EEES9_SI_JZNS1_25segmented_radix_sort_implINS0_14default_configELb1EPKhPhPKlPlN2at6native12_GLOBAL__N_18offset_tEEE10hipError_tPvRmT1_PNSt15iterator_traitsIS12_E10value_typeET2_T3_PNS13_IS18_E10value_typeET4_jRbjT5_S1E_jjP12ihipStream_tbEUljE_ZNSN_ISO_Lb1ESQ_SR_ST_SU_SY_EESZ_S10_S11_S12_S16_S17_S18_S1B_S1C_jS1D_jS1E_S1E_jjS1G_bEUljE0_EEESZ_S10_S11_S18_S1C_S1E_T6_T7_T9_mT8_S1G_bDpT10_ENKUlT_T0_E_clISt17integral_constantIbLb0EES1U_EEDaS1P_S1Q_EUlS1P_E_NS1_11comp_targetILNS1_3genE9ELNS1_11target_archE1100ELNS1_3gpuE3ELNS1_3repE0EEENS1_30default_config_static_selectorELNS0_4arch9wavefront6targetE0EEEvS12_,"axG",@progbits,_ZN7rocprim17ROCPRIM_400000_NS6detail17trampoline_kernelINS0_13select_configILj256ELj13ELNS0_17block_load_methodE3ELS4_3ELS4_3ELNS0_20block_scan_algorithmE0ELj4294967295EEENS1_25partition_config_selectorILNS1_17partition_subalgoE4EjNS0_10empty_typeEbEEZZNS1_14partition_implILS8_4ELb0ES6_15HIP_vector_typeIjLj2EENS0_17counting_iteratorIjlEEPS9_SG_NS0_5tupleIJPjSI_NS0_16reverse_iteratorISI_EEEEENSH_IJSG_SG_SG_EEES9_SI_JZNS1_25segmented_radix_sort_implINS0_14default_configELb1EPKhPhPKlPlN2at6native12_GLOBAL__N_18offset_tEEE10hipError_tPvRmT1_PNSt15iterator_traitsIS12_E10value_typeET2_T3_PNS13_IS18_E10value_typeET4_jRbjT5_S1E_jjP12ihipStream_tbEUljE_ZNSN_ISO_Lb1ESQ_SR_ST_SU_SY_EESZ_S10_S11_S12_S16_S17_S18_S1B_S1C_jS1D_jS1E_S1E_jjS1G_bEUljE0_EEESZ_S10_S11_S18_S1C_S1E_T6_T7_T9_mT8_S1G_bDpT10_ENKUlT_T0_E_clISt17integral_constantIbLb0EES1U_EEDaS1P_S1Q_EUlS1P_E_NS1_11comp_targetILNS1_3genE9ELNS1_11target_archE1100ELNS1_3gpuE3ELNS1_3repE0EEENS1_30default_config_static_selectorELNS0_4arch9wavefront6targetE0EEEvS12_,comdat
	.globl	_ZN7rocprim17ROCPRIM_400000_NS6detail17trampoline_kernelINS0_13select_configILj256ELj13ELNS0_17block_load_methodE3ELS4_3ELS4_3ELNS0_20block_scan_algorithmE0ELj4294967295EEENS1_25partition_config_selectorILNS1_17partition_subalgoE4EjNS0_10empty_typeEbEEZZNS1_14partition_implILS8_4ELb0ES6_15HIP_vector_typeIjLj2EENS0_17counting_iteratorIjlEEPS9_SG_NS0_5tupleIJPjSI_NS0_16reverse_iteratorISI_EEEEENSH_IJSG_SG_SG_EEES9_SI_JZNS1_25segmented_radix_sort_implINS0_14default_configELb1EPKhPhPKlPlN2at6native12_GLOBAL__N_18offset_tEEE10hipError_tPvRmT1_PNSt15iterator_traitsIS12_E10value_typeET2_T3_PNS13_IS18_E10value_typeET4_jRbjT5_S1E_jjP12ihipStream_tbEUljE_ZNSN_ISO_Lb1ESQ_SR_ST_SU_SY_EESZ_S10_S11_S12_S16_S17_S18_S1B_S1C_jS1D_jS1E_S1E_jjS1G_bEUljE0_EEESZ_S10_S11_S18_S1C_S1E_T6_T7_T9_mT8_S1G_bDpT10_ENKUlT_T0_E_clISt17integral_constantIbLb0EES1U_EEDaS1P_S1Q_EUlS1P_E_NS1_11comp_targetILNS1_3genE9ELNS1_11target_archE1100ELNS1_3gpuE3ELNS1_3repE0EEENS1_30default_config_static_selectorELNS0_4arch9wavefront6targetE0EEEvS12_ ; -- Begin function _ZN7rocprim17ROCPRIM_400000_NS6detail17trampoline_kernelINS0_13select_configILj256ELj13ELNS0_17block_load_methodE3ELS4_3ELS4_3ELNS0_20block_scan_algorithmE0ELj4294967295EEENS1_25partition_config_selectorILNS1_17partition_subalgoE4EjNS0_10empty_typeEbEEZZNS1_14partition_implILS8_4ELb0ES6_15HIP_vector_typeIjLj2EENS0_17counting_iteratorIjlEEPS9_SG_NS0_5tupleIJPjSI_NS0_16reverse_iteratorISI_EEEEENSH_IJSG_SG_SG_EEES9_SI_JZNS1_25segmented_radix_sort_implINS0_14default_configELb1EPKhPhPKlPlN2at6native12_GLOBAL__N_18offset_tEEE10hipError_tPvRmT1_PNSt15iterator_traitsIS12_E10value_typeET2_T3_PNS13_IS18_E10value_typeET4_jRbjT5_S1E_jjP12ihipStream_tbEUljE_ZNSN_ISO_Lb1ESQ_SR_ST_SU_SY_EESZ_S10_S11_S12_S16_S17_S18_S1B_S1C_jS1D_jS1E_S1E_jjS1G_bEUljE0_EEESZ_S10_S11_S18_S1C_S1E_T6_T7_T9_mT8_S1G_bDpT10_ENKUlT_T0_E_clISt17integral_constantIbLb0EES1U_EEDaS1P_S1Q_EUlS1P_E_NS1_11comp_targetILNS1_3genE9ELNS1_11target_archE1100ELNS1_3gpuE3ELNS1_3repE0EEENS1_30default_config_static_selectorELNS0_4arch9wavefront6targetE0EEEvS12_
	.p2align	8
	.type	_ZN7rocprim17ROCPRIM_400000_NS6detail17trampoline_kernelINS0_13select_configILj256ELj13ELNS0_17block_load_methodE3ELS4_3ELS4_3ELNS0_20block_scan_algorithmE0ELj4294967295EEENS1_25partition_config_selectorILNS1_17partition_subalgoE4EjNS0_10empty_typeEbEEZZNS1_14partition_implILS8_4ELb0ES6_15HIP_vector_typeIjLj2EENS0_17counting_iteratorIjlEEPS9_SG_NS0_5tupleIJPjSI_NS0_16reverse_iteratorISI_EEEEENSH_IJSG_SG_SG_EEES9_SI_JZNS1_25segmented_radix_sort_implINS0_14default_configELb1EPKhPhPKlPlN2at6native12_GLOBAL__N_18offset_tEEE10hipError_tPvRmT1_PNSt15iterator_traitsIS12_E10value_typeET2_T3_PNS13_IS18_E10value_typeET4_jRbjT5_S1E_jjP12ihipStream_tbEUljE_ZNSN_ISO_Lb1ESQ_SR_ST_SU_SY_EESZ_S10_S11_S12_S16_S17_S18_S1B_S1C_jS1D_jS1E_S1E_jjS1G_bEUljE0_EEESZ_S10_S11_S18_S1C_S1E_T6_T7_T9_mT8_S1G_bDpT10_ENKUlT_T0_E_clISt17integral_constantIbLb0EES1U_EEDaS1P_S1Q_EUlS1P_E_NS1_11comp_targetILNS1_3genE9ELNS1_11target_archE1100ELNS1_3gpuE3ELNS1_3repE0EEENS1_30default_config_static_selectorELNS0_4arch9wavefront6targetE0EEEvS12_,@function
_ZN7rocprim17ROCPRIM_400000_NS6detail17trampoline_kernelINS0_13select_configILj256ELj13ELNS0_17block_load_methodE3ELS4_3ELS4_3ELNS0_20block_scan_algorithmE0ELj4294967295EEENS1_25partition_config_selectorILNS1_17partition_subalgoE4EjNS0_10empty_typeEbEEZZNS1_14partition_implILS8_4ELb0ES6_15HIP_vector_typeIjLj2EENS0_17counting_iteratorIjlEEPS9_SG_NS0_5tupleIJPjSI_NS0_16reverse_iteratorISI_EEEEENSH_IJSG_SG_SG_EEES9_SI_JZNS1_25segmented_radix_sort_implINS0_14default_configELb1EPKhPhPKlPlN2at6native12_GLOBAL__N_18offset_tEEE10hipError_tPvRmT1_PNSt15iterator_traitsIS12_E10value_typeET2_T3_PNS13_IS18_E10value_typeET4_jRbjT5_S1E_jjP12ihipStream_tbEUljE_ZNSN_ISO_Lb1ESQ_SR_ST_SU_SY_EESZ_S10_S11_S12_S16_S17_S18_S1B_S1C_jS1D_jS1E_S1E_jjS1G_bEUljE0_EEESZ_S10_S11_S18_S1C_S1E_T6_T7_T9_mT8_S1G_bDpT10_ENKUlT_T0_E_clISt17integral_constantIbLb0EES1U_EEDaS1P_S1Q_EUlS1P_E_NS1_11comp_targetILNS1_3genE9ELNS1_11target_archE1100ELNS1_3gpuE3ELNS1_3repE0EEENS1_30default_config_static_selectorELNS0_4arch9wavefront6targetE0EEEvS12_: ; @_ZN7rocprim17ROCPRIM_400000_NS6detail17trampoline_kernelINS0_13select_configILj256ELj13ELNS0_17block_load_methodE3ELS4_3ELS4_3ELNS0_20block_scan_algorithmE0ELj4294967295EEENS1_25partition_config_selectorILNS1_17partition_subalgoE4EjNS0_10empty_typeEbEEZZNS1_14partition_implILS8_4ELb0ES6_15HIP_vector_typeIjLj2EENS0_17counting_iteratorIjlEEPS9_SG_NS0_5tupleIJPjSI_NS0_16reverse_iteratorISI_EEEEENSH_IJSG_SG_SG_EEES9_SI_JZNS1_25segmented_radix_sort_implINS0_14default_configELb1EPKhPhPKlPlN2at6native12_GLOBAL__N_18offset_tEEE10hipError_tPvRmT1_PNSt15iterator_traitsIS12_E10value_typeET2_T3_PNS13_IS18_E10value_typeET4_jRbjT5_S1E_jjP12ihipStream_tbEUljE_ZNSN_ISO_Lb1ESQ_SR_ST_SU_SY_EESZ_S10_S11_S12_S16_S17_S18_S1B_S1C_jS1D_jS1E_S1E_jjS1G_bEUljE0_EEESZ_S10_S11_S18_S1C_S1E_T6_T7_T9_mT8_S1G_bDpT10_ENKUlT_T0_E_clISt17integral_constantIbLb0EES1U_EEDaS1P_S1Q_EUlS1P_E_NS1_11comp_targetILNS1_3genE9ELNS1_11target_archE1100ELNS1_3gpuE3ELNS1_3repE0EEENS1_30default_config_static_selectorELNS0_4arch9wavefront6targetE0EEEvS12_
; %bb.0:
	.section	.rodata,"a",@progbits
	.p2align	6, 0x0
	.amdhsa_kernel _ZN7rocprim17ROCPRIM_400000_NS6detail17trampoline_kernelINS0_13select_configILj256ELj13ELNS0_17block_load_methodE3ELS4_3ELS4_3ELNS0_20block_scan_algorithmE0ELj4294967295EEENS1_25partition_config_selectorILNS1_17partition_subalgoE4EjNS0_10empty_typeEbEEZZNS1_14partition_implILS8_4ELb0ES6_15HIP_vector_typeIjLj2EENS0_17counting_iteratorIjlEEPS9_SG_NS0_5tupleIJPjSI_NS0_16reverse_iteratorISI_EEEEENSH_IJSG_SG_SG_EEES9_SI_JZNS1_25segmented_radix_sort_implINS0_14default_configELb1EPKhPhPKlPlN2at6native12_GLOBAL__N_18offset_tEEE10hipError_tPvRmT1_PNSt15iterator_traitsIS12_E10value_typeET2_T3_PNS13_IS18_E10value_typeET4_jRbjT5_S1E_jjP12ihipStream_tbEUljE_ZNSN_ISO_Lb1ESQ_SR_ST_SU_SY_EESZ_S10_S11_S12_S16_S17_S18_S1B_S1C_jS1D_jS1E_S1E_jjS1G_bEUljE0_EEESZ_S10_S11_S18_S1C_S1E_T6_T7_T9_mT8_S1G_bDpT10_ENKUlT_T0_E_clISt17integral_constantIbLb0EES1U_EEDaS1P_S1Q_EUlS1P_E_NS1_11comp_targetILNS1_3genE9ELNS1_11target_archE1100ELNS1_3gpuE3ELNS1_3repE0EEENS1_30default_config_static_selectorELNS0_4arch9wavefront6targetE0EEEvS12_
		.amdhsa_group_segment_fixed_size 0
		.amdhsa_private_segment_fixed_size 0
		.amdhsa_kernarg_size 176
		.amdhsa_user_sgpr_count 6
		.amdhsa_user_sgpr_private_segment_buffer 1
		.amdhsa_user_sgpr_dispatch_ptr 0
		.amdhsa_user_sgpr_queue_ptr 0
		.amdhsa_user_sgpr_kernarg_segment_ptr 1
		.amdhsa_user_sgpr_dispatch_id 0
		.amdhsa_user_sgpr_flat_scratch_init 0
		.amdhsa_user_sgpr_private_segment_size 0
		.amdhsa_wavefront_size32 1
		.amdhsa_uses_dynamic_stack 0
		.amdhsa_system_sgpr_private_segment_wavefront_offset 0
		.amdhsa_system_sgpr_workgroup_id_x 1
		.amdhsa_system_sgpr_workgroup_id_y 0
		.amdhsa_system_sgpr_workgroup_id_z 0
		.amdhsa_system_sgpr_workgroup_info 0
		.amdhsa_system_vgpr_workitem_id 0
		.amdhsa_next_free_vgpr 1
		.amdhsa_next_free_sgpr 1
		.amdhsa_reserve_vcc 0
		.amdhsa_reserve_flat_scratch 0
		.amdhsa_float_round_mode_32 0
		.amdhsa_float_round_mode_16_64 0
		.amdhsa_float_denorm_mode_32 3
		.amdhsa_float_denorm_mode_16_64 3
		.amdhsa_dx10_clamp 1
		.amdhsa_ieee_mode 1
		.amdhsa_fp16_overflow 0
		.amdhsa_workgroup_processor_mode 1
		.amdhsa_memory_ordered 1
		.amdhsa_forward_progress 1
		.amdhsa_shared_vgpr_count 0
		.amdhsa_exception_fp_ieee_invalid_op 0
		.amdhsa_exception_fp_denorm_src 0
		.amdhsa_exception_fp_ieee_div_zero 0
		.amdhsa_exception_fp_ieee_overflow 0
		.amdhsa_exception_fp_ieee_underflow 0
		.amdhsa_exception_fp_ieee_inexact 0
		.amdhsa_exception_int_div_zero 0
	.end_amdhsa_kernel
	.section	.text._ZN7rocprim17ROCPRIM_400000_NS6detail17trampoline_kernelINS0_13select_configILj256ELj13ELNS0_17block_load_methodE3ELS4_3ELS4_3ELNS0_20block_scan_algorithmE0ELj4294967295EEENS1_25partition_config_selectorILNS1_17partition_subalgoE4EjNS0_10empty_typeEbEEZZNS1_14partition_implILS8_4ELb0ES6_15HIP_vector_typeIjLj2EENS0_17counting_iteratorIjlEEPS9_SG_NS0_5tupleIJPjSI_NS0_16reverse_iteratorISI_EEEEENSH_IJSG_SG_SG_EEES9_SI_JZNS1_25segmented_radix_sort_implINS0_14default_configELb1EPKhPhPKlPlN2at6native12_GLOBAL__N_18offset_tEEE10hipError_tPvRmT1_PNSt15iterator_traitsIS12_E10value_typeET2_T3_PNS13_IS18_E10value_typeET4_jRbjT5_S1E_jjP12ihipStream_tbEUljE_ZNSN_ISO_Lb1ESQ_SR_ST_SU_SY_EESZ_S10_S11_S12_S16_S17_S18_S1B_S1C_jS1D_jS1E_S1E_jjS1G_bEUljE0_EEESZ_S10_S11_S18_S1C_S1E_T6_T7_T9_mT8_S1G_bDpT10_ENKUlT_T0_E_clISt17integral_constantIbLb0EES1U_EEDaS1P_S1Q_EUlS1P_E_NS1_11comp_targetILNS1_3genE9ELNS1_11target_archE1100ELNS1_3gpuE3ELNS1_3repE0EEENS1_30default_config_static_selectorELNS0_4arch9wavefront6targetE0EEEvS12_,"axG",@progbits,_ZN7rocprim17ROCPRIM_400000_NS6detail17trampoline_kernelINS0_13select_configILj256ELj13ELNS0_17block_load_methodE3ELS4_3ELS4_3ELNS0_20block_scan_algorithmE0ELj4294967295EEENS1_25partition_config_selectorILNS1_17partition_subalgoE4EjNS0_10empty_typeEbEEZZNS1_14partition_implILS8_4ELb0ES6_15HIP_vector_typeIjLj2EENS0_17counting_iteratorIjlEEPS9_SG_NS0_5tupleIJPjSI_NS0_16reverse_iteratorISI_EEEEENSH_IJSG_SG_SG_EEES9_SI_JZNS1_25segmented_radix_sort_implINS0_14default_configELb1EPKhPhPKlPlN2at6native12_GLOBAL__N_18offset_tEEE10hipError_tPvRmT1_PNSt15iterator_traitsIS12_E10value_typeET2_T3_PNS13_IS18_E10value_typeET4_jRbjT5_S1E_jjP12ihipStream_tbEUljE_ZNSN_ISO_Lb1ESQ_SR_ST_SU_SY_EESZ_S10_S11_S12_S16_S17_S18_S1B_S1C_jS1D_jS1E_S1E_jjS1G_bEUljE0_EEESZ_S10_S11_S18_S1C_S1E_T6_T7_T9_mT8_S1G_bDpT10_ENKUlT_T0_E_clISt17integral_constantIbLb0EES1U_EEDaS1P_S1Q_EUlS1P_E_NS1_11comp_targetILNS1_3genE9ELNS1_11target_archE1100ELNS1_3gpuE3ELNS1_3repE0EEENS1_30default_config_static_selectorELNS0_4arch9wavefront6targetE0EEEvS12_,comdat
.Lfunc_end10:
	.size	_ZN7rocprim17ROCPRIM_400000_NS6detail17trampoline_kernelINS0_13select_configILj256ELj13ELNS0_17block_load_methodE3ELS4_3ELS4_3ELNS0_20block_scan_algorithmE0ELj4294967295EEENS1_25partition_config_selectorILNS1_17partition_subalgoE4EjNS0_10empty_typeEbEEZZNS1_14partition_implILS8_4ELb0ES6_15HIP_vector_typeIjLj2EENS0_17counting_iteratorIjlEEPS9_SG_NS0_5tupleIJPjSI_NS0_16reverse_iteratorISI_EEEEENSH_IJSG_SG_SG_EEES9_SI_JZNS1_25segmented_radix_sort_implINS0_14default_configELb1EPKhPhPKlPlN2at6native12_GLOBAL__N_18offset_tEEE10hipError_tPvRmT1_PNSt15iterator_traitsIS12_E10value_typeET2_T3_PNS13_IS18_E10value_typeET4_jRbjT5_S1E_jjP12ihipStream_tbEUljE_ZNSN_ISO_Lb1ESQ_SR_ST_SU_SY_EESZ_S10_S11_S12_S16_S17_S18_S1B_S1C_jS1D_jS1E_S1E_jjS1G_bEUljE0_EEESZ_S10_S11_S18_S1C_S1E_T6_T7_T9_mT8_S1G_bDpT10_ENKUlT_T0_E_clISt17integral_constantIbLb0EES1U_EEDaS1P_S1Q_EUlS1P_E_NS1_11comp_targetILNS1_3genE9ELNS1_11target_archE1100ELNS1_3gpuE3ELNS1_3repE0EEENS1_30default_config_static_selectorELNS0_4arch9wavefront6targetE0EEEvS12_, .Lfunc_end10-_ZN7rocprim17ROCPRIM_400000_NS6detail17trampoline_kernelINS0_13select_configILj256ELj13ELNS0_17block_load_methodE3ELS4_3ELS4_3ELNS0_20block_scan_algorithmE0ELj4294967295EEENS1_25partition_config_selectorILNS1_17partition_subalgoE4EjNS0_10empty_typeEbEEZZNS1_14partition_implILS8_4ELb0ES6_15HIP_vector_typeIjLj2EENS0_17counting_iteratorIjlEEPS9_SG_NS0_5tupleIJPjSI_NS0_16reverse_iteratorISI_EEEEENSH_IJSG_SG_SG_EEES9_SI_JZNS1_25segmented_radix_sort_implINS0_14default_configELb1EPKhPhPKlPlN2at6native12_GLOBAL__N_18offset_tEEE10hipError_tPvRmT1_PNSt15iterator_traitsIS12_E10value_typeET2_T3_PNS13_IS18_E10value_typeET4_jRbjT5_S1E_jjP12ihipStream_tbEUljE_ZNSN_ISO_Lb1ESQ_SR_ST_SU_SY_EESZ_S10_S11_S12_S16_S17_S18_S1B_S1C_jS1D_jS1E_S1E_jjS1G_bEUljE0_EEESZ_S10_S11_S18_S1C_S1E_T6_T7_T9_mT8_S1G_bDpT10_ENKUlT_T0_E_clISt17integral_constantIbLb0EES1U_EEDaS1P_S1Q_EUlS1P_E_NS1_11comp_targetILNS1_3genE9ELNS1_11target_archE1100ELNS1_3gpuE3ELNS1_3repE0EEENS1_30default_config_static_selectorELNS0_4arch9wavefront6targetE0EEEvS12_
                                        ; -- End function
	.set _ZN7rocprim17ROCPRIM_400000_NS6detail17trampoline_kernelINS0_13select_configILj256ELj13ELNS0_17block_load_methodE3ELS4_3ELS4_3ELNS0_20block_scan_algorithmE0ELj4294967295EEENS1_25partition_config_selectorILNS1_17partition_subalgoE4EjNS0_10empty_typeEbEEZZNS1_14partition_implILS8_4ELb0ES6_15HIP_vector_typeIjLj2EENS0_17counting_iteratorIjlEEPS9_SG_NS0_5tupleIJPjSI_NS0_16reverse_iteratorISI_EEEEENSH_IJSG_SG_SG_EEES9_SI_JZNS1_25segmented_radix_sort_implINS0_14default_configELb1EPKhPhPKlPlN2at6native12_GLOBAL__N_18offset_tEEE10hipError_tPvRmT1_PNSt15iterator_traitsIS12_E10value_typeET2_T3_PNS13_IS18_E10value_typeET4_jRbjT5_S1E_jjP12ihipStream_tbEUljE_ZNSN_ISO_Lb1ESQ_SR_ST_SU_SY_EESZ_S10_S11_S12_S16_S17_S18_S1B_S1C_jS1D_jS1E_S1E_jjS1G_bEUljE0_EEESZ_S10_S11_S18_S1C_S1E_T6_T7_T9_mT8_S1G_bDpT10_ENKUlT_T0_E_clISt17integral_constantIbLb0EES1U_EEDaS1P_S1Q_EUlS1P_E_NS1_11comp_targetILNS1_3genE9ELNS1_11target_archE1100ELNS1_3gpuE3ELNS1_3repE0EEENS1_30default_config_static_selectorELNS0_4arch9wavefront6targetE0EEEvS12_.num_vgpr, 0
	.set _ZN7rocprim17ROCPRIM_400000_NS6detail17trampoline_kernelINS0_13select_configILj256ELj13ELNS0_17block_load_methodE3ELS4_3ELS4_3ELNS0_20block_scan_algorithmE0ELj4294967295EEENS1_25partition_config_selectorILNS1_17partition_subalgoE4EjNS0_10empty_typeEbEEZZNS1_14partition_implILS8_4ELb0ES6_15HIP_vector_typeIjLj2EENS0_17counting_iteratorIjlEEPS9_SG_NS0_5tupleIJPjSI_NS0_16reverse_iteratorISI_EEEEENSH_IJSG_SG_SG_EEES9_SI_JZNS1_25segmented_radix_sort_implINS0_14default_configELb1EPKhPhPKlPlN2at6native12_GLOBAL__N_18offset_tEEE10hipError_tPvRmT1_PNSt15iterator_traitsIS12_E10value_typeET2_T3_PNS13_IS18_E10value_typeET4_jRbjT5_S1E_jjP12ihipStream_tbEUljE_ZNSN_ISO_Lb1ESQ_SR_ST_SU_SY_EESZ_S10_S11_S12_S16_S17_S18_S1B_S1C_jS1D_jS1E_S1E_jjS1G_bEUljE0_EEESZ_S10_S11_S18_S1C_S1E_T6_T7_T9_mT8_S1G_bDpT10_ENKUlT_T0_E_clISt17integral_constantIbLb0EES1U_EEDaS1P_S1Q_EUlS1P_E_NS1_11comp_targetILNS1_3genE9ELNS1_11target_archE1100ELNS1_3gpuE3ELNS1_3repE0EEENS1_30default_config_static_selectorELNS0_4arch9wavefront6targetE0EEEvS12_.num_agpr, 0
	.set _ZN7rocprim17ROCPRIM_400000_NS6detail17trampoline_kernelINS0_13select_configILj256ELj13ELNS0_17block_load_methodE3ELS4_3ELS4_3ELNS0_20block_scan_algorithmE0ELj4294967295EEENS1_25partition_config_selectorILNS1_17partition_subalgoE4EjNS0_10empty_typeEbEEZZNS1_14partition_implILS8_4ELb0ES6_15HIP_vector_typeIjLj2EENS0_17counting_iteratorIjlEEPS9_SG_NS0_5tupleIJPjSI_NS0_16reverse_iteratorISI_EEEEENSH_IJSG_SG_SG_EEES9_SI_JZNS1_25segmented_radix_sort_implINS0_14default_configELb1EPKhPhPKlPlN2at6native12_GLOBAL__N_18offset_tEEE10hipError_tPvRmT1_PNSt15iterator_traitsIS12_E10value_typeET2_T3_PNS13_IS18_E10value_typeET4_jRbjT5_S1E_jjP12ihipStream_tbEUljE_ZNSN_ISO_Lb1ESQ_SR_ST_SU_SY_EESZ_S10_S11_S12_S16_S17_S18_S1B_S1C_jS1D_jS1E_S1E_jjS1G_bEUljE0_EEESZ_S10_S11_S18_S1C_S1E_T6_T7_T9_mT8_S1G_bDpT10_ENKUlT_T0_E_clISt17integral_constantIbLb0EES1U_EEDaS1P_S1Q_EUlS1P_E_NS1_11comp_targetILNS1_3genE9ELNS1_11target_archE1100ELNS1_3gpuE3ELNS1_3repE0EEENS1_30default_config_static_selectorELNS0_4arch9wavefront6targetE0EEEvS12_.numbered_sgpr, 0
	.set _ZN7rocprim17ROCPRIM_400000_NS6detail17trampoline_kernelINS0_13select_configILj256ELj13ELNS0_17block_load_methodE3ELS4_3ELS4_3ELNS0_20block_scan_algorithmE0ELj4294967295EEENS1_25partition_config_selectorILNS1_17partition_subalgoE4EjNS0_10empty_typeEbEEZZNS1_14partition_implILS8_4ELb0ES6_15HIP_vector_typeIjLj2EENS0_17counting_iteratorIjlEEPS9_SG_NS0_5tupleIJPjSI_NS0_16reverse_iteratorISI_EEEEENSH_IJSG_SG_SG_EEES9_SI_JZNS1_25segmented_radix_sort_implINS0_14default_configELb1EPKhPhPKlPlN2at6native12_GLOBAL__N_18offset_tEEE10hipError_tPvRmT1_PNSt15iterator_traitsIS12_E10value_typeET2_T3_PNS13_IS18_E10value_typeET4_jRbjT5_S1E_jjP12ihipStream_tbEUljE_ZNSN_ISO_Lb1ESQ_SR_ST_SU_SY_EESZ_S10_S11_S12_S16_S17_S18_S1B_S1C_jS1D_jS1E_S1E_jjS1G_bEUljE0_EEESZ_S10_S11_S18_S1C_S1E_T6_T7_T9_mT8_S1G_bDpT10_ENKUlT_T0_E_clISt17integral_constantIbLb0EES1U_EEDaS1P_S1Q_EUlS1P_E_NS1_11comp_targetILNS1_3genE9ELNS1_11target_archE1100ELNS1_3gpuE3ELNS1_3repE0EEENS1_30default_config_static_selectorELNS0_4arch9wavefront6targetE0EEEvS12_.num_named_barrier, 0
	.set _ZN7rocprim17ROCPRIM_400000_NS6detail17trampoline_kernelINS0_13select_configILj256ELj13ELNS0_17block_load_methodE3ELS4_3ELS4_3ELNS0_20block_scan_algorithmE0ELj4294967295EEENS1_25partition_config_selectorILNS1_17partition_subalgoE4EjNS0_10empty_typeEbEEZZNS1_14partition_implILS8_4ELb0ES6_15HIP_vector_typeIjLj2EENS0_17counting_iteratorIjlEEPS9_SG_NS0_5tupleIJPjSI_NS0_16reverse_iteratorISI_EEEEENSH_IJSG_SG_SG_EEES9_SI_JZNS1_25segmented_radix_sort_implINS0_14default_configELb1EPKhPhPKlPlN2at6native12_GLOBAL__N_18offset_tEEE10hipError_tPvRmT1_PNSt15iterator_traitsIS12_E10value_typeET2_T3_PNS13_IS18_E10value_typeET4_jRbjT5_S1E_jjP12ihipStream_tbEUljE_ZNSN_ISO_Lb1ESQ_SR_ST_SU_SY_EESZ_S10_S11_S12_S16_S17_S18_S1B_S1C_jS1D_jS1E_S1E_jjS1G_bEUljE0_EEESZ_S10_S11_S18_S1C_S1E_T6_T7_T9_mT8_S1G_bDpT10_ENKUlT_T0_E_clISt17integral_constantIbLb0EES1U_EEDaS1P_S1Q_EUlS1P_E_NS1_11comp_targetILNS1_3genE9ELNS1_11target_archE1100ELNS1_3gpuE3ELNS1_3repE0EEENS1_30default_config_static_selectorELNS0_4arch9wavefront6targetE0EEEvS12_.private_seg_size, 0
	.set _ZN7rocprim17ROCPRIM_400000_NS6detail17trampoline_kernelINS0_13select_configILj256ELj13ELNS0_17block_load_methodE3ELS4_3ELS4_3ELNS0_20block_scan_algorithmE0ELj4294967295EEENS1_25partition_config_selectorILNS1_17partition_subalgoE4EjNS0_10empty_typeEbEEZZNS1_14partition_implILS8_4ELb0ES6_15HIP_vector_typeIjLj2EENS0_17counting_iteratorIjlEEPS9_SG_NS0_5tupleIJPjSI_NS0_16reverse_iteratorISI_EEEEENSH_IJSG_SG_SG_EEES9_SI_JZNS1_25segmented_radix_sort_implINS0_14default_configELb1EPKhPhPKlPlN2at6native12_GLOBAL__N_18offset_tEEE10hipError_tPvRmT1_PNSt15iterator_traitsIS12_E10value_typeET2_T3_PNS13_IS18_E10value_typeET4_jRbjT5_S1E_jjP12ihipStream_tbEUljE_ZNSN_ISO_Lb1ESQ_SR_ST_SU_SY_EESZ_S10_S11_S12_S16_S17_S18_S1B_S1C_jS1D_jS1E_S1E_jjS1G_bEUljE0_EEESZ_S10_S11_S18_S1C_S1E_T6_T7_T9_mT8_S1G_bDpT10_ENKUlT_T0_E_clISt17integral_constantIbLb0EES1U_EEDaS1P_S1Q_EUlS1P_E_NS1_11comp_targetILNS1_3genE9ELNS1_11target_archE1100ELNS1_3gpuE3ELNS1_3repE0EEENS1_30default_config_static_selectorELNS0_4arch9wavefront6targetE0EEEvS12_.uses_vcc, 0
	.set _ZN7rocprim17ROCPRIM_400000_NS6detail17trampoline_kernelINS0_13select_configILj256ELj13ELNS0_17block_load_methodE3ELS4_3ELS4_3ELNS0_20block_scan_algorithmE0ELj4294967295EEENS1_25partition_config_selectorILNS1_17partition_subalgoE4EjNS0_10empty_typeEbEEZZNS1_14partition_implILS8_4ELb0ES6_15HIP_vector_typeIjLj2EENS0_17counting_iteratorIjlEEPS9_SG_NS0_5tupleIJPjSI_NS0_16reverse_iteratorISI_EEEEENSH_IJSG_SG_SG_EEES9_SI_JZNS1_25segmented_radix_sort_implINS0_14default_configELb1EPKhPhPKlPlN2at6native12_GLOBAL__N_18offset_tEEE10hipError_tPvRmT1_PNSt15iterator_traitsIS12_E10value_typeET2_T3_PNS13_IS18_E10value_typeET4_jRbjT5_S1E_jjP12ihipStream_tbEUljE_ZNSN_ISO_Lb1ESQ_SR_ST_SU_SY_EESZ_S10_S11_S12_S16_S17_S18_S1B_S1C_jS1D_jS1E_S1E_jjS1G_bEUljE0_EEESZ_S10_S11_S18_S1C_S1E_T6_T7_T9_mT8_S1G_bDpT10_ENKUlT_T0_E_clISt17integral_constantIbLb0EES1U_EEDaS1P_S1Q_EUlS1P_E_NS1_11comp_targetILNS1_3genE9ELNS1_11target_archE1100ELNS1_3gpuE3ELNS1_3repE0EEENS1_30default_config_static_selectorELNS0_4arch9wavefront6targetE0EEEvS12_.uses_flat_scratch, 0
	.set _ZN7rocprim17ROCPRIM_400000_NS6detail17trampoline_kernelINS0_13select_configILj256ELj13ELNS0_17block_load_methodE3ELS4_3ELS4_3ELNS0_20block_scan_algorithmE0ELj4294967295EEENS1_25partition_config_selectorILNS1_17partition_subalgoE4EjNS0_10empty_typeEbEEZZNS1_14partition_implILS8_4ELb0ES6_15HIP_vector_typeIjLj2EENS0_17counting_iteratorIjlEEPS9_SG_NS0_5tupleIJPjSI_NS0_16reverse_iteratorISI_EEEEENSH_IJSG_SG_SG_EEES9_SI_JZNS1_25segmented_radix_sort_implINS0_14default_configELb1EPKhPhPKlPlN2at6native12_GLOBAL__N_18offset_tEEE10hipError_tPvRmT1_PNSt15iterator_traitsIS12_E10value_typeET2_T3_PNS13_IS18_E10value_typeET4_jRbjT5_S1E_jjP12ihipStream_tbEUljE_ZNSN_ISO_Lb1ESQ_SR_ST_SU_SY_EESZ_S10_S11_S12_S16_S17_S18_S1B_S1C_jS1D_jS1E_S1E_jjS1G_bEUljE0_EEESZ_S10_S11_S18_S1C_S1E_T6_T7_T9_mT8_S1G_bDpT10_ENKUlT_T0_E_clISt17integral_constantIbLb0EES1U_EEDaS1P_S1Q_EUlS1P_E_NS1_11comp_targetILNS1_3genE9ELNS1_11target_archE1100ELNS1_3gpuE3ELNS1_3repE0EEENS1_30default_config_static_selectorELNS0_4arch9wavefront6targetE0EEEvS12_.has_dyn_sized_stack, 0
	.set _ZN7rocprim17ROCPRIM_400000_NS6detail17trampoline_kernelINS0_13select_configILj256ELj13ELNS0_17block_load_methodE3ELS4_3ELS4_3ELNS0_20block_scan_algorithmE0ELj4294967295EEENS1_25partition_config_selectorILNS1_17partition_subalgoE4EjNS0_10empty_typeEbEEZZNS1_14partition_implILS8_4ELb0ES6_15HIP_vector_typeIjLj2EENS0_17counting_iteratorIjlEEPS9_SG_NS0_5tupleIJPjSI_NS0_16reverse_iteratorISI_EEEEENSH_IJSG_SG_SG_EEES9_SI_JZNS1_25segmented_radix_sort_implINS0_14default_configELb1EPKhPhPKlPlN2at6native12_GLOBAL__N_18offset_tEEE10hipError_tPvRmT1_PNSt15iterator_traitsIS12_E10value_typeET2_T3_PNS13_IS18_E10value_typeET4_jRbjT5_S1E_jjP12ihipStream_tbEUljE_ZNSN_ISO_Lb1ESQ_SR_ST_SU_SY_EESZ_S10_S11_S12_S16_S17_S18_S1B_S1C_jS1D_jS1E_S1E_jjS1G_bEUljE0_EEESZ_S10_S11_S18_S1C_S1E_T6_T7_T9_mT8_S1G_bDpT10_ENKUlT_T0_E_clISt17integral_constantIbLb0EES1U_EEDaS1P_S1Q_EUlS1P_E_NS1_11comp_targetILNS1_3genE9ELNS1_11target_archE1100ELNS1_3gpuE3ELNS1_3repE0EEENS1_30default_config_static_selectorELNS0_4arch9wavefront6targetE0EEEvS12_.has_recursion, 0
	.set _ZN7rocprim17ROCPRIM_400000_NS6detail17trampoline_kernelINS0_13select_configILj256ELj13ELNS0_17block_load_methodE3ELS4_3ELS4_3ELNS0_20block_scan_algorithmE0ELj4294967295EEENS1_25partition_config_selectorILNS1_17partition_subalgoE4EjNS0_10empty_typeEbEEZZNS1_14partition_implILS8_4ELb0ES6_15HIP_vector_typeIjLj2EENS0_17counting_iteratorIjlEEPS9_SG_NS0_5tupleIJPjSI_NS0_16reverse_iteratorISI_EEEEENSH_IJSG_SG_SG_EEES9_SI_JZNS1_25segmented_radix_sort_implINS0_14default_configELb1EPKhPhPKlPlN2at6native12_GLOBAL__N_18offset_tEEE10hipError_tPvRmT1_PNSt15iterator_traitsIS12_E10value_typeET2_T3_PNS13_IS18_E10value_typeET4_jRbjT5_S1E_jjP12ihipStream_tbEUljE_ZNSN_ISO_Lb1ESQ_SR_ST_SU_SY_EESZ_S10_S11_S12_S16_S17_S18_S1B_S1C_jS1D_jS1E_S1E_jjS1G_bEUljE0_EEESZ_S10_S11_S18_S1C_S1E_T6_T7_T9_mT8_S1G_bDpT10_ENKUlT_T0_E_clISt17integral_constantIbLb0EES1U_EEDaS1P_S1Q_EUlS1P_E_NS1_11comp_targetILNS1_3genE9ELNS1_11target_archE1100ELNS1_3gpuE3ELNS1_3repE0EEENS1_30default_config_static_selectorELNS0_4arch9wavefront6targetE0EEEvS12_.has_indirect_call, 0
	.section	.AMDGPU.csdata,"",@progbits
; Kernel info:
; codeLenInByte = 0
; TotalNumSgprs: 0
; NumVgprs: 0
; ScratchSize: 0
; MemoryBound: 0
; FloatMode: 240
; IeeeMode: 1
; LDSByteSize: 0 bytes/workgroup (compile time only)
; SGPRBlocks: 0
; VGPRBlocks: 0
; NumSGPRsForWavesPerEU: 1
; NumVGPRsForWavesPerEU: 1
; Occupancy: 16
; WaveLimiterHint : 0
; COMPUTE_PGM_RSRC2:SCRATCH_EN: 0
; COMPUTE_PGM_RSRC2:USER_SGPR: 6
; COMPUTE_PGM_RSRC2:TRAP_HANDLER: 0
; COMPUTE_PGM_RSRC2:TGID_X_EN: 1
; COMPUTE_PGM_RSRC2:TGID_Y_EN: 0
; COMPUTE_PGM_RSRC2:TGID_Z_EN: 0
; COMPUTE_PGM_RSRC2:TIDIG_COMP_CNT: 0
	.section	.text._ZN7rocprim17ROCPRIM_400000_NS6detail17trampoline_kernelINS0_13select_configILj256ELj13ELNS0_17block_load_methodE3ELS4_3ELS4_3ELNS0_20block_scan_algorithmE0ELj4294967295EEENS1_25partition_config_selectorILNS1_17partition_subalgoE4EjNS0_10empty_typeEbEEZZNS1_14partition_implILS8_4ELb0ES6_15HIP_vector_typeIjLj2EENS0_17counting_iteratorIjlEEPS9_SG_NS0_5tupleIJPjSI_NS0_16reverse_iteratorISI_EEEEENSH_IJSG_SG_SG_EEES9_SI_JZNS1_25segmented_radix_sort_implINS0_14default_configELb1EPKhPhPKlPlN2at6native12_GLOBAL__N_18offset_tEEE10hipError_tPvRmT1_PNSt15iterator_traitsIS12_E10value_typeET2_T3_PNS13_IS18_E10value_typeET4_jRbjT5_S1E_jjP12ihipStream_tbEUljE_ZNSN_ISO_Lb1ESQ_SR_ST_SU_SY_EESZ_S10_S11_S12_S16_S17_S18_S1B_S1C_jS1D_jS1E_S1E_jjS1G_bEUljE0_EEESZ_S10_S11_S18_S1C_S1E_T6_T7_T9_mT8_S1G_bDpT10_ENKUlT_T0_E_clISt17integral_constantIbLb0EES1U_EEDaS1P_S1Q_EUlS1P_E_NS1_11comp_targetILNS1_3genE8ELNS1_11target_archE1030ELNS1_3gpuE2ELNS1_3repE0EEENS1_30default_config_static_selectorELNS0_4arch9wavefront6targetE0EEEvS12_,"axG",@progbits,_ZN7rocprim17ROCPRIM_400000_NS6detail17trampoline_kernelINS0_13select_configILj256ELj13ELNS0_17block_load_methodE3ELS4_3ELS4_3ELNS0_20block_scan_algorithmE0ELj4294967295EEENS1_25partition_config_selectorILNS1_17partition_subalgoE4EjNS0_10empty_typeEbEEZZNS1_14partition_implILS8_4ELb0ES6_15HIP_vector_typeIjLj2EENS0_17counting_iteratorIjlEEPS9_SG_NS0_5tupleIJPjSI_NS0_16reverse_iteratorISI_EEEEENSH_IJSG_SG_SG_EEES9_SI_JZNS1_25segmented_radix_sort_implINS0_14default_configELb1EPKhPhPKlPlN2at6native12_GLOBAL__N_18offset_tEEE10hipError_tPvRmT1_PNSt15iterator_traitsIS12_E10value_typeET2_T3_PNS13_IS18_E10value_typeET4_jRbjT5_S1E_jjP12ihipStream_tbEUljE_ZNSN_ISO_Lb1ESQ_SR_ST_SU_SY_EESZ_S10_S11_S12_S16_S17_S18_S1B_S1C_jS1D_jS1E_S1E_jjS1G_bEUljE0_EEESZ_S10_S11_S18_S1C_S1E_T6_T7_T9_mT8_S1G_bDpT10_ENKUlT_T0_E_clISt17integral_constantIbLb0EES1U_EEDaS1P_S1Q_EUlS1P_E_NS1_11comp_targetILNS1_3genE8ELNS1_11target_archE1030ELNS1_3gpuE2ELNS1_3repE0EEENS1_30default_config_static_selectorELNS0_4arch9wavefront6targetE0EEEvS12_,comdat
	.globl	_ZN7rocprim17ROCPRIM_400000_NS6detail17trampoline_kernelINS0_13select_configILj256ELj13ELNS0_17block_load_methodE3ELS4_3ELS4_3ELNS0_20block_scan_algorithmE0ELj4294967295EEENS1_25partition_config_selectorILNS1_17partition_subalgoE4EjNS0_10empty_typeEbEEZZNS1_14partition_implILS8_4ELb0ES6_15HIP_vector_typeIjLj2EENS0_17counting_iteratorIjlEEPS9_SG_NS0_5tupleIJPjSI_NS0_16reverse_iteratorISI_EEEEENSH_IJSG_SG_SG_EEES9_SI_JZNS1_25segmented_radix_sort_implINS0_14default_configELb1EPKhPhPKlPlN2at6native12_GLOBAL__N_18offset_tEEE10hipError_tPvRmT1_PNSt15iterator_traitsIS12_E10value_typeET2_T3_PNS13_IS18_E10value_typeET4_jRbjT5_S1E_jjP12ihipStream_tbEUljE_ZNSN_ISO_Lb1ESQ_SR_ST_SU_SY_EESZ_S10_S11_S12_S16_S17_S18_S1B_S1C_jS1D_jS1E_S1E_jjS1G_bEUljE0_EEESZ_S10_S11_S18_S1C_S1E_T6_T7_T9_mT8_S1G_bDpT10_ENKUlT_T0_E_clISt17integral_constantIbLb0EES1U_EEDaS1P_S1Q_EUlS1P_E_NS1_11comp_targetILNS1_3genE8ELNS1_11target_archE1030ELNS1_3gpuE2ELNS1_3repE0EEENS1_30default_config_static_selectorELNS0_4arch9wavefront6targetE0EEEvS12_ ; -- Begin function _ZN7rocprim17ROCPRIM_400000_NS6detail17trampoline_kernelINS0_13select_configILj256ELj13ELNS0_17block_load_methodE3ELS4_3ELS4_3ELNS0_20block_scan_algorithmE0ELj4294967295EEENS1_25partition_config_selectorILNS1_17partition_subalgoE4EjNS0_10empty_typeEbEEZZNS1_14partition_implILS8_4ELb0ES6_15HIP_vector_typeIjLj2EENS0_17counting_iteratorIjlEEPS9_SG_NS0_5tupleIJPjSI_NS0_16reverse_iteratorISI_EEEEENSH_IJSG_SG_SG_EEES9_SI_JZNS1_25segmented_radix_sort_implINS0_14default_configELb1EPKhPhPKlPlN2at6native12_GLOBAL__N_18offset_tEEE10hipError_tPvRmT1_PNSt15iterator_traitsIS12_E10value_typeET2_T3_PNS13_IS18_E10value_typeET4_jRbjT5_S1E_jjP12ihipStream_tbEUljE_ZNSN_ISO_Lb1ESQ_SR_ST_SU_SY_EESZ_S10_S11_S12_S16_S17_S18_S1B_S1C_jS1D_jS1E_S1E_jjS1G_bEUljE0_EEESZ_S10_S11_S18_S1C_S1E_T6_T7_T9_mT8_S1G_bDpT10_ENKUlT_T0_E_clISt17integral_constantIbLb0EES1U_EEDaS1P_S1Q_EUlS1P_E_NS1_11comp_targetILNS1_3genE8ELNS1_11target_archE1030ELNS1_3gpuE2ELNS1_3repE0EEENS1_30default_config_static_selectorELNS0_4arch9wavefront6targetE0EEEvS12_
	.p2align	8
	.type	_ZN7rocprim17ROCPRIM_400000_NS6detail17trampoline_kernelINS0_13select_configILj256ELj13ELNS0_17block_load_methodE3ELS4_3ELS4_3ELNS0_20block_scan_algorithmE0ELj4294967295EEENS1_25partition_config_selectorILNS1_17partition_subalgoE4EjNS0_10empty_typeEbEEZZNS1_14partition_implILS8_4ELb0ES6_15HIP_vector_typeIjLj2EENS0_17counting_iteratorIjlEEPS9_SG_NS0_5tupleIJPjSI_NS0_16reverse_iteratorISI_EEEEENSH_IJSG_SG_SG_EEES9_SI_JZNS1_25segmented_radix_sort_implINS0_14default_configELb1EPKhPhPKlPlN2at6native12_GLOBAL__N_18offset_tEEE10hipError_tPvRmT1_PNSt15iterator_traitsIS12_E10value_typeET2_T3_PNS13_IS18_E10value_typeET4_jRbjT5_S1E_jjP12ihipStream_tbEUljE_ZNSN_ISO_Lb1ESQ_SR_ST_SU_SY_EESZ_S10_S11_S12_S16_S17_S18_S1B_S1C_jS1D_jS1E_S1E_jjS1G_bEUljE0_EEESZ_S10_S11_S18_S1C_S1E_T6_T7_T9_mT8_S1G_bDpT10_ENKUlT_T0_E_clISt17integral_constantIbLb0EES1U_EEDaS1P_S1Q_EUlS1P_E_NS1_11comp_targetILNS1_3genE8ELNS1_11target_archE1030ELNS1_3gpuE2ELNS1_3repE0EEENS1_30default_config_static_selectorELNS0_4arch9wavefront6targetE0EEEvS12_,@function
_ZN7rocprim17ROCPRIM_400000_NS6detail17trampoline_kernelINS0_13select_configILj256ELj13ELNS0_17block_load_methodE3ELS4_3ELS4_3ELNS0_20block_scan_algorithmE0ELj4294967295EEENS1_25partition_config_selectorILNS1_17partition_subalgoE4EjNS0_10empty_typeEbEEZZNS1_14partition_implILS8_4ELb0ES6_15HIP_vector_typeIjLj2EENS0_17counting_iteratorIjlEEPS9_SG_NS0_5tupleIJPjSI_NS0_16reverse_iteratorISI_EEEEENSH_IJSG_SG_SG_EEES9_SI_JZNS1_25segmented_radix_sort_implINS0_14default_configELb1EPKhPhPKlPlN2at6native12_GLOBAL__N_18offset_tEEE10hipError_tPvRmT1_PNSt15iterator_traitsIS12_E10value_typeET2_T3_PNS13_IS18_E10value_typeET4_jRbjT5_S1E_jjP12ihipStream_tbEUljE_ZNSN_ISO_Lb1ESQ_SR_ST_SU_SY_EESZ_S10_S11_S12_S16_S17_S18_S1B_S1C_jS1D_jS1E_S1E_jjS1G_bEUljE0_EEESZ_S10_S11_S18_S1C_S1E_T6_T7_T9_mT8_S1G_bDpT10_ENKUlT_T0_E_clISt17integral_constantIbLb0EES1U_EEDaS1P_S1Q_EUlS1P_E_NS1_11comp_targetILNS1_3genE8ELNS1_11target_archE1030ELNS1_3gpuE2ELNS1_3repE0EEENS1_30default_config_static_selectorELNS0_4arch9wavefront6targetE0EEEvS12_: ; @_ZN7rocprim17ROCPRIM_400000_NS6detail17trampoline_kernelINS0_13select_configILj256ELj13ELNS0_17block_load_methodE3ELS4_3ELS4_3ELNS0_20block_scan_algorithmE0ELj4294967295EEENS1_25partition_config_selectorILNS1_17partition_subalgoE4EjNS0_10empty_typeEbEEZZNS1_14partition_implILS8_4ELb0ES6_15HIP_vector_typeIjLj2EENS0_17counting_iteratorIjlEEPS9_SG_NS0_5tupleIJPjSI_NS0_16reverse_iteratorISI_EEEEENSH_IJSG_SG_SG_EEES9_SI_JZNS1_25segmented_radix_sort_implINS0_14default_configELb1EPKhPhPKlPlN2at6native12_GLOBAL__N_18offset_tEEE10hipError_tPvRmT1_PNSt15iterator_traitsIS12_E10value_typeET2_T3_PNS13_IS18_E10value_typeET4_jRbjT5_S1E_jjP12ihipStream_tbEUljE_ZNSN_ISO_Lb1ESQ_SR_ST_SU_SY_EESZ_S10_S11_S12_S16_S17_S18_S1B_S1C_jS1D_jS1E_S1E_jjS1G_bEUljE0_EEESZ_S10_S11_S18_S1C_S1E_T6_T7_T9_mT8_S1G_bDpT10_ENKUlT_T0_E_clISt17integral_constantIbLb0EES1U_EEDaS1P_S1Q_EUlS1P_E_NS1_11comp_targetILNS1_3genE8ELNS1_11target_archE1030ELNS1_3gpuE2ELNS1_3repE0EEENS1_30default_config_static_selectorELNS0_4arch9wavefront6targetE0EEEvS12_
; %bb.0:
	s_clause 0x6
	s_load_dword s3, s[4:5], 0x80
	s_load_dwordx2 s[34:35], s[4:5], 0x10
	s_load_dwordx2 s[0:1], s[4:5], 0x68
	s_load_dword s7, s[4:5], 0x8
	s_load_dwordx4 s[24:27], s[4:5], 0x58
	s_load_dwordx2 s[40:41], s[4:5], 0xa8
	s_load_dwordx8 s[16:23], s[4:5], 0x88
	s_mul_i32 s42, s6, 0xd00
	s_waitcnt lgkmcnt(0)
	s_mul_i32 s2, s3, 0xd00
	s_add_i32 s3, s3, -1
	s_add_u32 s8, s34, s2
	s_addc_u32 s9, s35, 0
	s_load_dwordx4 s[28:31], s[26:27], 0x0
	s_cmp_eq_u32 s6, s3
	v_cmp_gt_u64_e64 s1, s[0:1], s[8:9]
	s_cselect_b32 s33, -1, 0
	s_cmp_lg_u32 s6, s3
	s_cselect_b32 s3, -1, 0
	s_add_i32 s7, s7, s42
	s_or_b32 s1, s3, s1
	s_add_i32 s7, s7, s34
	s_and_b32 vcc_lo, exec_lo, s1
	v_add_nc_u32_e32 v1, s7, v0
	s_mov_b32 s3, -1
	v_add_nc_u32_e32 v2, 0x100, v1
	v_add_nc_u32_e32 v3, 0x200, v1
	;; [unrolled: 1-line block ×12, first 2 shown]
	s_cbranch_vccz .LBB11_2
; %bb.1:
	v_lshlrev_b32_e32 v14, 2, v0
	s_mov_b32 s3, 0
	ds_write2st64_b32 v14, v1, v2 offset1:4
	ds_write2st64_b32 v14, v3, v4 offset0:8 offset1:12
	ds_write2st64_b32 v14, v5, v6 offset0:16 offset1:20
	;; [unrolled: 1-line block ×5, first 2 shown]
	ds_write_b32 v14, v13 offset:12288
	s_waitcnt lgkmcnt(0)
	s_barrier
.LBB11_2:
	s_andn2_b32 vcc_lo, exec_lo, s3
	s_add_i32 s2, s2, s34
	s_cbranch_vccnz .LBB11_4
; %bb.3:
	v_lshlrev_b32_e32 v14, 2, v0
	ds_write2st64_b32 v14, v1, v2 offset1:4
	ds_write2st64_b32 v14, v3, v4 offset0:8 offset1:12
	ds_write2st64_b32 v14, v5, v6 offset0:16 offset1:20
	;; [unrolled: 1-line block ×5, first 2 shown]
	ds_write_b32 v14, v13 offset:12288
	s_waitcnt lgkmcnt(0)
	s_barrier
.LBB11_4:
	v_mul_u32_u24_e32 v29, 13, v0
	s_clause 0x1
	s_load_dwordx4 s[36:39], s[4:5], 0x28
	s_load_dwordx2 s[26:27], s[4:5], 0x38
	s_waitcnt lgkmcnt(0)
	buffer_gl0_inv
	v_cndmask_b32_e64 v27, 0, 1, s1
	s_sub_i32 s43, s0, s2
	v_lshlrev_b32_e32 v1, 2, v29
	s_andn2_b32 vcc_lo, exec_lo, s1
	ds_read_b32 v28, v1 offset:48
	ds_read2_b32 v[9:10], v1 offset0:10 offset1:11
	ds_read2_b32 v[11:12], v1 offset0:8 offset1:9
	;; [unrolled: 1-line block ×4, first 2 shown]
	ds_read2_b32 v[19:20], v1 offset1:1
	ds_read2_b32 v[17:18], v1 offset0:2 offset1:3
	s_waitcnt lgkmcnt(0)
	s_barrier
	buffer_gl0_inv
	s_cbranch_vccnz .LBB11_32
; %bb.5:
	v_add_nc_u32_e32 v1, s17, v19
	v_add_nc_u32_e32 v2, s19, v19
	s_mov_b32 s45, 0
	s_mov_b32 s44, 0
	s_mov_b32 s1, exec_lo
	v_mul_lo_u32 v1, v1, s16
	v_mul_lo_u32 v2, v2, s18
	v_sub_nc_u32_e32 v1, v1, v2
	v_cmp_lt_u32_e32 vcc_lo, s20, v1
	v_cmpx_ge_u32_e64 s20, v1
	s_cbranch_execz .LBB11_7
; %bb.6:
	v_add_nc_u32_e32 v1, s22, v19
	v_add_nc_u32_e32 v2, s40, v19
	v_mul_lo_u32 v1, v1, s21
	v_mul_lo_u32 v2, v2, s23
	v_sub_nc_u32_e32 v1, v1, v2
	v_cmp_lt_u32_e64 s0, s41, v1
	s_and_b32 s44, s0, exec_lo
.LBB11_7:
	s_or_b32 exec_lo, exec_lo, s1
	v_add_nc_u32_e32 v1, s17, v20
	v_add_nc_u32_e32 v2, s19, v20
	s_mov_b32 s2, exec_lo
	v_mul_lo_u32 v1, v1, s16
	v_mul_lo_u32 v2, v2, s18
	v_sub_nc_u32_e32 v1, v1, v2
	v_cmp_lt_u32_e64 s0, s20, v1
	v_cmpx_ge_u32_e64 s20, v1
	s_cbranch_execz .LBB11_9
; %bb.8:
	v_add_nc_u32_e32 v1, s22, v20
	v_add_nc_u32_e32 v2, s40, v20
	v_mul_lo_u32 v1, v1, s21
	v_mul_lo_u32 v2, v2, s23
	v_sub_nc_u32_e32 v1, v1, v2
	v_cmp_lt_u32_e64 s1, s41, v1
	s_and_b32 s45, s1, exec_lo
.LBB11_9:
	s_or_b32 exec_lo, exec_lo, s2
	v_add_nc_u32_e32 v1, s17, v17
	v_add_nc_u32_e32 v2, s19, v17
	s_mov_b32 s47, 0
	s_mov_b32 s46, 0
	s_mov_b32 s3, exec_lo
	v_mul_lo_u32 v1, v1, s16
	v_mul_lo_u32 v2, v2, s18
	v_sub_nc_u32_e32 v1, v1, v2
	v_cmp_lt_u32_e64 s1, s20, v1
	v_cmpx_ge_u32_e64 s20, v1
	s_cbranch_execz .LBB11_11
; %bb.10:
	v_add_nc_u32_e32 v1, s22, v17
	v_add_nc_u32_e32 v2, s40, v17
	v_mul_lo_u32 v1, v1, s21
	v_mul_lo_u32 v2, v2, s23
	v_sub_nc_u32_e32 v1, v1, v2
	v_cmp_lt_u32_e64 s2, s41, v1
	s_and_b32 s46, s2, exec_lo
.LBB11_11:
	s_or_b32 exec_lo, exec_lo, s3
	v_add_nc_u32_e32 v1, s17, v18
	v_add_nc_u32_e32 v2, s19, v18
	s_mov_b32 s7, exec_lo
	v_mul_lo_u32 v1, v1, s16
	v_mul_lo_u32 v2, v2, s18
	v_sub_nc_u32_e32 v1, v1, v2
	v_cmp_lt_u32_e64 s2, s20, v1
	v_cmpx_ge_u32_e64 s20, v1
	s_cbranch_execz .LBB11_13
; %bb.12:
	v_add_nc_u32_e32 v1, s22, v18
	v_add_nc_u32_e32 v2, s40, v18
	v_mul_lo_u32 v1, v1, s21
	v_mul_lo_u32 v2, v2, s23
	v_sub_nc_u32_e32 v1, v1, v2
	v_cmp_lt_u32_e64 s3, s41, v1
	s_and_b32 s47, s3, exec_lo
.LBB11_13:
	s_or_b32 exec_lo, exec_lo, s7
	v_add_nc_u32_e32 v1, s17, v15
	v_add_nc_u32_e32 v2, s19, v15
	s_mov_b32 s49, 0
	s_mov_b32 s48, 0
	s_mov_b32 s8, exec_lo
	v_mul_lo_u32 v1, v1, s16
	v_mul_lo_u32 v2, v2, s18
	v_sub_nc_u32_e32 v1, v1, v2
	v_cmp_lt_u32_e64 s3, s20, v1
	;; [unrolled: 40-line block ×6, first 2 shown]
	v_cmpx_ge_u32_e64 s20, v1
	s_cbranch_execz .LBB11_31
; %bb.30:
	v_add_nc_u32_e32 v1, s22, v28
	v_add_nc_u32_e32 v2, s40, v28
	v_mul_lo_u32 v1, v1, s21
	v_mul_lo_u32 v2, v2, s23
	v_sub_nc_u32_e32 v1, v1, v2
	v_cmp_lt_u32_e64 s15, s41, v1
	s_and_b32 s57, s15, exec_lo
.LBB11_31:
	s_or_b32 exec_lo, exec_lo, s58
	v_cndmask_b32_e64 v2, 0, 1, s0
	v_cndmask_b32_e64 v4, 0, 1, s2
	v_cndmask_b32_e64 v1, 0, 1, vcc_lo
	v_cndmask_b32_e64 v3, 0, 1, s1
	v_cndmask_b32_e64 v6, 0, 1, s7
	v_lshlrev_b16 v2, 8, v2
	v_lshlrev_b16 v4, 8, v4
	v_cndmask_b32_e64 v8, 0, 1, s9
	v_cndmask_b32_e64 v22, 0, 1, s11
	;; [unrolled: 1-line block ×3, first 2 shown]
	v_or_b32_e32 v1, v1, v2
	v_or_b32_sdwa v2, v3, v4 dst_sel:WORD_1 dst_unused:UNUSED_PAD src0_sel:DWORD src1_sel:DWORD
	v_cndmask_b32_e64 v3, 0, 1, s44
	v_cndmask_b32_e64 v5, 0, 1, s3
	;; [unrolled: 1-line block ×11, first 2 shown]
	v_or_b32_sdwa v30, v1, v2 dst_sel:DWORD dst_unused:UNUSED_PAD src0_sel:WORD_0 src1_sel:DWORD
	v_lshlrev_b16 v1, 8, v6
	v_lshlrev_b16 v2, 8, v8
	;; [unrolled: 1-line block ×5, first 2 shown]
	v_cndmask_b32_e64 v26, 0, 1, s53
	v_cndmask_b32_e64 v32, 0, 1, s51
	;; [unrolled: 1-line block ×5, first 2 shown]
	v_or_b32_e32 v1, v5, v1
	v_or_b32_sdwa v2, v7, v2 dst_sel:WORD_1 dst_unused:UNUSED_PAD src0_sel:DWORD src1_sel:DWORD
	v_or_b32_e32 v5, v21, v6
	v_or_b32_sdwa v6, v23, v8 dst_sel:WORD_1 dst_unused:UNUSED_PAD src0_sel:DWORD src1_sel:DWORD
	v_or_b32_e32 v3, v4, v3
	v_lshlrev_b16 v4, 8, v39
	v_lshlrev_b16 v7, 8, v36
	;; [unrolled: 1-line block ×5, first 2 shown]
	v_or_b32_sdwa v4, v40, v4 dst_sel:WORD_1 dst_unused:UNUSED_PAD src0_sel:DWORD src1_sel:DWORD
	v_or_b32_e32 v7, v38, v7
	v_or_b32_sdwa v8, v35, v8 dst_sel:WORD_1 dst_unused:UNUSED_PAD src0_sel:DWORD src1_sel:DWORD
	v_or_b32_e32 v21, v32, v21
	v_or_b32_sdwa v22, v26, v22 dst_sel:WORD_1 dst_unused:UNUSED_PAD src0_sel:DWORD src1_sel:DWORD
	v_cndmask_b32_e64 v34, 0, 1, s55
	v_cndmask_b32_e64 v37, 0, 1, s57
	v_or_b32_sdwa v32, v1, v2 dst_sel:DWORD dst_unused:UNUSED_PAD src0_sel:WORD_0 src1_sel:DWORD
	v_or_b32_sdwa v35, v5, v6 dst_sel:DWORD dst_unused:UNUSED_PAD src0_sel:WORD_0 src1_sel:DWORD
	;; [unrolled: 1-line block ×5, first 2 shown]
	s_load_dwordx2 s[4:5], s[4:5], 0x78
	s_and_b32 vcc_lo, exec_lo, s54
	s_add_i32 s7, s43, 0xd00
	s_cbranch_vccnz .LBB11_33
	s_branch .LBB11_110
.LBB11_32:
                                        ; implicit-def: $vgpr37
                                        ; implicit-def: $vgpr34
                                        ; implicit-def: $vgpr33
                                        ; implicit-def: $vgpr31
                                        ; implicit-def: $vgpr36
                                        ; implicit-def: $vgpr35
                                        ; implicit-def: $vgpr32
                                        ; implicit-def: $vgpr30
	s_load_dwordx2 s[4:5], s[4:5], 0x78
	s_add_i32 s7, s43, 0xd00
	s_cbranch_execz .LBB11_110
.LBB11_33:
	v_mov_b32_e32 v2, 0
	v_mov_b32_e32 v1, 0
	s_mov_b32 s1, exec_lo
	v_cmpx_gt_u32_e64 s7, v29
	s_cbranch_execz .LBB11_37
; %bb.34:
	v_add_nc_u32_e32 v1, s17, v19
	v_add_nc_u32_e32 v2, s19, v19
	s_mov_b32 s3, 0
	s_mov_b32 s2, exec_lo
	v_mul_lo_u32 v1, v1, s16
	v_mul_lo_u32 v2, v2, s18
	v_sub_nc_u32_e32 v1, v1, v2
	v_cmp_lt_u32_e32 vcc_lo, s20, v1
	v_cmpx_ge_u32_e64 s20, v1
	s_cbranch_execz .LBB11_36
; %bb.35:
	v_add_nc_u32_e32 v1, s22, v19
	v_add_nc_u32_e32 v2, s40, v19
	v_mul_lo_u32 v1, v1, s21
	v_mul_lo_u32 v2, v2, s23
	v_sub_nc_u32_e32 v1, v1, v2
	v_cmp_lt_u32_e64 s0, s41, v1
	s_and_b32 s3, s0, exec_lo
.LBB11_36:
	s_or_b32 exec_lo, exec_lo, s2
	v_cndmask_b32_e64 v2, 0, 1, s3
	v_cndmask_b32_e64 v1, 0, 1, vcc_lo
.LBB11_37:
	s_or_b32 exec_lo, exec_lo, s1
	v_add_nc_u32_e32 v3, 1, v29
	v_lshlrev_b16 v21, 8, v2
	v_and_b32_e32 v6, 0xff, v1
	v_lshlrev_b16 v7, 8, 0
                                        ; implicit-def: $vgpr5
                                        ; implicit-def: $vgpr8
                                        ; implicit-def: $vgpr2
                                        ; implicit-def: $vgpr4
	v_cmp_le_u32_e32 vcc_lo, s7, v3
                                        ; implicit-def: $vgpr3
	s_and_saveexec_b32 s0, vcc_lo
	s_xor_b32 s0, exec_lo, s0
	s_cbranch_execz .LBB11_39
; %bb.38:
	v_mov_b32_e32 v1, 8
	v_mov_b32_e32 v2, 0xff
	;; [unrolled: 1-line block ×3, first 2 shown]
	v_and_b32_e32 v4, 0xffff, v7
	v_and_b32_e32 v3, 0xffff, v7
	v_lshrrev_b32_sdwa v1, v1, v21 dst_sel:BYTE_1 dst_unused:UNUSED_PAD src0_sel:DWORD src1_sel:WORD_0
	v_and_b32_sdwa v2, v21, v2 dst_sel:DWORD dst_unused:UNUSED_PAD src0_sel:WORD_0 src1_sel:DWORD
                                        ; implicit-def: $vgpr21
	v_or_b32_e32 v1, v2, v1
	v_and_b32_e32 v2, 0xffff, v7
                                        ; implicit-def: $vgpr7
	v_and_b32_e32 v8, 0xffff, v1
                                        ; implicit-def: $vgpr1
.LBB11_39:
	s_andn2_saveexec_b32 s1, s0
	s_cbranch_execz .LBB11_43
; %bb.40:
	v_add_nc_u32_e32 v2, s17, v20
	v_add_nc_u32_e32 v3, s19, v20
	s_mov_b32 s2, 0
	s_mov_b32 s3, exec_lo
	v_mul_lo_u32 v2, v2, s16
	v_mul_lo_u32 v3, v3, s18
	v_sub_nc_u32_e32 v2, v2, v3
	v_cmp_lt_u32_e32 vcc_lo, s20, v2
	v_cmpx_ge_u32_e64 s20, v2
	s_cbranch_execz .LBB11_42
; %bb.41:
	v_add_nc_u32_e32 v2, s22, v20
	v_add_nc_u32_e32 v3, s40, v20
	v_mul_lo_u32 v2, v2, s21
	v_mul_lo_u32 v3, v3, s23
	v_sub_nc_u32_e32 v2, v2, v3
	v_cmp_lt_u32_e64 s0, s41, v2
	s_and_b32 s2, s0, exec_lo
.LBB11_42:
	s_or_b32 exec_lo, exec_lo, s3
	v_mov_b32_e32 v2, 0xff
	v_mov_b32_e32 v3, 8
	v_cndmask_b32_e64 v4, 0, 1, vcc_lo
	v_mov_b32_e32 v5, 0
	v_and_b32_sdwa v2, v21, v2 dst_sel:DWORD dst_unused:UNUSED_PAD src0_sel:WORD_0 src1_sel:DWORD
	v_lshrrev_b32_sdwa v3, v3, v21 dst_sel:BYTE_1 dst_unused:UNUSED_PAD src0_sel:DWORD src1_sel:WORD_0
	v_lshlrev_b16 v4, 8, v4
	v_or_b32_e32 v2, v2, v3
	v_cndmask_b32_e64 v3, 0, 1, s2
	v_or_b32_sdwa v1, v1, v4 dst_sel:DWORD dst_unused:UNUSED_PAD src0_sel:BYTE_0 src1_sel:DWORD
	v_and_b32_e32 v4, 0xffff, v7
	v_and_b32_e32 v8, 0xffff, v2
	v_mov_b32_e32 v2, 0
	v_and_b32_e32 v6, 0xffff, v1
	v_lshl_or_b32 v8, v3, 16, v8
	v_and_b32_e32 v3, 0xffff, v7
.LBB11_43:
	s_or_b32 exec_lo, exec_lo, s1
	v_add_nc_u32_e32 v1, 2, v29
                                        ; implicit-def: $vgpr7
	v_cmp_le_u32_e32 vcc_lo, s7, v1
                                        ; implicit-def: $vgpr1
	s_and_saveexec_b32 s0, vcc_lo
	s_xor_b32 s0, exec_lo, s0
	s_cbranch_execz .LBB11_45
; %bb.44:
	v_lshrrev_b32_e32 v1, 24, v6
	v_mov_b32_e32 v7, 8
	v_and_b32_e32 v21, 0xff0000, v8
	v_perm_b32 v4, v4, v4, 0x3060504
	v_perm_b32 v1, v1, v6, 0x40c0100
	v_lshrrev_b32_sdwa v6, v7, v1 dst_sel:BYTE_1 dst_unused:UNUSED_PAD src0_sel:DWORD src1_sel:DWORD
	v_or_b32_sdwa v6, v1, v6 dst_sel:DWORD dst_unused:UNUSED_PAD src0_sel:BYTE_0 src1_sel:DWORD
	v_and_b32_e32 v6, 0xffff, v6
	v_and_or_b32 v7, 0xff000000, v1, v6
	v_perm_b32 v1, v8, v21, 0x3020504
                                        ; implicit-def: $vgpr6
                                        ; implicit-def: $vgpr8
.LBB11_45:
	s_andn2_saveexec_b32 s1, s0
	s_cbranch_execz .LBB11_49
; %bb.46:
	v_add_nc_u32_e32 v1, s17, v17
	v_add_nc_u32_e32 v7, s19, v17
	s_mov_b32 s2, 0
	s_mov_b32 s3, exec_lo
	v_mul_lo_u32 v1, v1, s16
	v_mul_lo_u32 v7, v7, s18
	v_sub_nc_u32_e32 v1, v1, v7
	v_cmp_lt_u32_e32 vcc_lo, s20, v1
	v_cmpx_ge_u32_e64 s20, v1
	s_cbranch_execz .LBB11_48
; %bb.47:
	v_add_nc_u32_e32 v1, s22, v17
	v_add_nc_u32_e32 v7, s40, v17
	v_mul_lo_u32 v1, v1, s21
	v_mul_lo_u32 v7, v7, s23
	v_sub_nc_u32_e32 v1, v1, v7
	v_cmp_lt_u32_e64 s0, s41, v1
	s_and_b32 s2, s0, exec_lo
.LBB11_48:
	s_or_b32 exec_lo, exec_lo, s3
	v_mov_b32_e32 v1, 8
	v_mov_b32_e32 v7, 24
	v_cndmask_b32_e64 v22, 0, 1, s2
	v_mov_b32_e32 v23, 0xff
	v_cndmask_b32_e64 v21, 0, 1, vcc_lo
	v_lshrrev_b32_sdwa v24, v1, v6 dst_sel:BYTE_1 dst_unused:UNUSED_PAD src0_sel:DWORD src1_sel:DWORD
	v_lshrrev_b32_sdwa v7, v7, v6 dst_sel:BYTE_1 dst_unused:UNUSED_PAD src0_sel:DWORD src1_sel:DWORD
	;; [unrolled: 1-line block ×3, first 2 shown]
	v_lshlrev_b16 v22, 8, v22
	v_and_b32_sdwa v23, v8, v23 dst_sel:DWORD dst_unused:UNUSED_PAD src0_sel:WORD_1 src1_sel:DWORD
	v_or_b32_sdwa v6, v6, v24 dst_sel:DWORD dst_unused:UNUSED_PAD src0_sel:BYTE_0 src1_sel:DWORD
	v_or_b32_sdwa v7, v21, v7 dst_sel:WORD_1 dst_unused:UNUSED_PAD src0_sel:DWORD src1_sel:DWORD
	v_or_b32_sdwa v1, v8, v1 dst_sel:DWORD dst_unused:UNUSED_PAD src0_sel:BYTE_0 src1_sel:DWORD
	v_or_b32_sdwa v8, v23, v22 dst_sel:WORD_1 dst_unused:UNUSED_PAD src0_sel:DWORD src1_sel:DWORD
	v_or_b32_sdwa v7, v6, v7 dst_sel:DWORD dst_unused:UNUSED_PAD src0_sel:WORD_0 src1_sel:DWORD
	v_or_b32_sdwa v1, v1, v8 dst_sel:DWORD dst_unused:UNUSED_PAD src0_sel:WORD_0 src1_sel:DWORD
.LBB11_49:
	s_or_b32 exec_lo, exec_lo, s1
	v_add_nc_u32_e32 v6, 3, v29
                                        ; implicit-def: $vgpr30
	v_cmp_le_u32_e32 vcc_lo, s7, v6
                                        ; implicit-def: $vgpr6
	s_and_saveexec_b32 s0, vcc_lo
	s_xor_b32 s0, exec_lo, s0
	s_cbranch_execz .LBB11_51
; %bb.50:
	v_mov_b32_e32 v6, 24
	v_mov_b32_e32 v8, 0xff
	;; [unrolled: 1-line block ×3, first 2 shown]
	v_and_b32_e32 v22, 0xff0000, v7
	v_perm_b32 v4, v4, v4, 0x3060504
	v_lshrrev_b32_sdwa v6, v6, v5 dst_sel:BYTE_1 dst_unused:UNUSED_PAD src0_sel:DWORD src1_sel:DWORD
	v_and_b32_sdwa v8, v5, v8 dst_sel:DWORD dst_unused:UNUSED_PAD src0_sel:WORD_1 src1_sel:DWORD
	v_lshrrev_b32_sdwa v5, v21, v5 dst_sel:BYTE_1 dst_unused:UNUSED_PAD src0_sel:DWORD src1_sel:DWORD
	v_perm_b32 v30, v7, v22, 0x3020504
	v_perm_b32 v3, v3, v3, 0x3060504
                                        ; implicit-def: $vgpr7
	v_or_b32_sdwa v6, v8, v6 dst_sel:WORD_1 dst_unused:UNUSED_PAD src0_sel:DWORD src1_sel:DWORD
	v_or_b32_sdwa v6, v5, v6 dst_sel:DWORD dst_unused:UNUSED_PAD src0_sel:WORD_0 src1_sel:DWORD
                                        ; implicit-def: $vgpr5
.LBB11_51:
	s_andn2_saveexec_b32 s1, s0
	s_cbranch_execz .LBB11_55
; %bb.52:
	v_add_nc_u32_e32 v6, s17, v18
	v_add_nc_u32_e32 v8, s19, v18
	s_mov_b32 s2, 0
	s_mov_b32 s3, exec_lo
	v_mul_lo_u32 v6, v6, s16
	v_mul_lo_u32 v8, v8, s18
	v_sub_nc_u32_e32 v6, v6, v8
	v_cmp_lt_u32_e32 vcc_lo, s20, v6
	v_cmpx_ge_u32_e64 s20, v6
	s_cbranch_execz .LBB11_54
; %bb.53:
	v_add_nc_u32_e32 v6, s22, v18
	v_add_nc_u32_e32 v8, s40, v18
	v_mul_lo_u32 v6, v6, s21
	v_mul_lo_u32 v8, v8, s23
	v_sub_nc_u32_e32 v6, v6, v8
	v_cmp_lt_u32_e64 s0, s41, v6
	s_and_b32 s2, s0, exec_lo
.LBB11_54:
	s_or_b32 exec_lo, exec_lo, s3
	v_mov_b32_e32 v6, 8
	v_cndmask_b32_e64 v8, 0, 1, vcc_lo
	v_mov_b32_e32 v21, 0xff
	v_mov_b32_e32 v22, 24
	v_cndmask_b32_e64 v23, 0, 1, s2
	v_lshrrev_b32_sdwa v24, v6, v7 dst_sel:BYTE_1 dst_unused:UNUSED_PAD src0_sel:DWORD src1_sel:DWORD
	v_lshlrev_b16 v8, 8, v8
	v_and_b32_sdwa v25, v7, v21 dst_sel:DWORD dst_unused:UNUSED_PAD src0_sel:WORD_1 src1_sel:DWORD
	v_lshrrev_b32_sdwa v22, v22, v5 dst_sel:BYTE_1 dst_unused:UNUSED_PAD src0_sel:DWORD src1_sel:DWORD
	v_and_b32_sdwa v21, v5, v21 dst_sel:DWORD dst_unused:UNUSED_PAD src0_sel:WORD_1 src1_sel:DWORD
	v_lshrrev_b32_sdwa v5, v6, v5 dst_sel:BYTE_1 dst_unused:UNUSED_PAD src0_sel:DWORD src1_sel:DWORD
	v_or_b32_sdwa v6, v7, v24 dst_sel:DWORD dst_unused:UNUSED_PAD src0_sel:BYTE_0 src1_sel:DWORD
	v_or_b32_sdwa v7, v25, v8 dst_sel:WORD_1 dst_unused:UNUSED_PAD src0_sel:DWORD src1_sel:DWORD
	v_or_b32_sdwa v8, v21, v22 dst_sel:WORD_1 dst_unused:UNUSED_PAD src0_sel:DWORD src1_sel:DWORD
	v_or_b32_e32 v5, v23, v5
	v_or_b32_sdwa v30, v6, v7 dst_sel:DWORD dst_unused:UNUSED_PAD src0_sel:WORD_0 src1_sel:DWORD
	v_or_b32_sdwa v6, v5, v8 dst_sel:DWORD dst_unused:UNUSED_PAD src0_sel:WORD_0 src1_sel:DWORD
.LBB11_55:
	s_or_b32 exec_lo, exec_lo, s1
	v_add_nc_u32_e32 v5, 4, v29
                                        ; implicit-def: $vgpr7
	v_cmp_le_u32_e32 vcc_lo, s7, v5
                                        ; implicit-def: $vgpr5
	s_and_saveexec_b32 s0, vcc_lo
	s_xor_b32 s0, exec_lo, s0
	s_cbranch_execz .LBB11_57
; %bb.56:
	v_mov_b32_e32 v5, 24
	v_mov_b32_e32 v7, 0xff
	;; [unrolled: 1-line block ×3, first 2 shown]
	v_perm_b32 v3, v3, v3, 0x3060504
	v_lshrrev_b32_sdwa v21, v5, v4 dst_sel:BYTE_1 dst_unused:UNUSED_PAD src0_sel:DWORD src1_sel:DWORD
	v_and_b32_sdwa v22, v4, v7 dst_sel:DWORD dst_unused:UNUSED_PAD src0_sel:WORD_1 src1_sel:DWORD
	v_lshrrev_b32_sdwa v5, v5, v6 dst_sel:BYTE_1 dst_unused:UNUSED_PAD src0_sel:DWORD src1_sel:DWORD
	v_and_b32_sdwa v7, v6, v7 dst_sel:DWORD dst_unused:UNUSED_PAD src0_sel:WORD_1 src1_sel:DWORD
	v_lshrrev_b32_sdwa v4, v8, v4 dst_sel:BYTE_1 dst_unused:UNUSED_PAD src0_sel:DWORD src1_sel:DWORD
	v_or_b32_sdwa v8, v22, v21 dst_sel:WORD_1 dst_unused:UNUSED_PAD src0_sel:DWORD src1_sel:DWORD
	v_or_b32_e32 v7, v7, v5
	v_or_b32_sdwa v5, v4, v8 dst_sel:DWORD dst_unused:UNUSED_PAD src0_sel:WORD_0 src1_sel:DWORD
                                        ; implicit-def: $vgpr4
	v_perm_b32 v7, v7, v6, 0x5040c00
                                        ; implicit-def: $vgpr6
.LBB11_57:
	s_andn2_saveexec_b32 s1, s0
	s_cbranch_execz .LBB11_61
; %bb.58:
	v_add_nc_u32_e32 v5, s17, v15
	v_add_nc_u32_e32 v7, s19, v15
	s_mov_b32 s2, 0
	s_mov_b32 s3, exec_lo
	v_mul_lo_u32 v5, v5, s16
	v_mul_lo_u32 v7, v7, s18
	v_sub_nc_u32_e32 v5, v5, v7
	v_cmp_lt_u32_e32 vcc_lo, s20, v5
	v_cmpx_ge_u32_e64 s20, v5
	s_cbranch_execz .LBB11_60
; %bb.59:
	v_add_nc_u32_e32 v5, s22, v15
	v_add_nc_u32_e32 v7, s40, v15
	v_mul_lo_u32 v5, v5, s21
	v_mul_lo_u32 v7, v7, s23
	v_sub_nc_u32_e32 v5, v5, v7
	v_cmp_lt_u32_e64 s0, s41, v5
	s_and_b32 s2, s0, exec_lo
.LBB11_60:
	s_or_b32 exec_lo, exec_lo, s3
	v_mov_b32_e32 v5, 24
	v_mov_b32_e32 v7, 0xff
	v_mov_b32_e32 v8, 8
	v_cndmask_b32_e64 v21, 0, 1, s2
	v_cndmask_b32_e64 v22, 0, 1, vcc_lo
	v_lshrrev_b32_sdwa v23, v5, v4 dst_sel:BYTE_1 dst_unused:UNUSED_PAD src0_sel:DWORD src1_sel:DWORD
	v_and_b32_sdwa v24, v4, v7 dst_sel:DWORD dst_unused:UNUSED_PAD src0_sel:WORD_1 src1_sel:DWORD
	v_lshrrev_b32_sdwa v4, v8, v4 dst_sel:BYTE_1 dst_unused:UNUSED_PAD src0_sel:DWORD src1_sel:DWORD
	v_lshlrev_b16 v8, 8, v21
	v_lshrrev_b32_sdwa v5, v5, v6 dst_sel:BYTE_1 dst_unused:UNUSED_PAD src0_sel:DWORD src1_sel:DWORD
	v_and_b32_sdwa v7, v6, v7 dst_sel:DWORD dst_unused:UNUSED_PAD src0_sel:WORD_1 src1_sel:DWORD
	v_or_b32_sdwa v21, v24, v23 dst_sel:WORD_1 dst_unused:UNUSED_PAD src0_sel:DWORD src1_sel:DWORD
	v_or_b32_e32 v4, v22, v4
	v_or_b32_sdwa v6, v6, v8 dst_sel:DWORD dst_unused:UNUSED_PAD src0_sel:BYTE_0 src1_sel:DWORD
	v_or_b32_sdwa v7, v7, v5 dst_sel:WORD_1 dst_unused:UNUSED_PAD src0_sel:DWORD src1_sel:DWORD
	v_or_b32_sdwa v5, v4, v21 dst_sel:DWORD dst_unused:UNUSED_PAD src0_sel:WORD_0 src1_sel:DWORD
	v_or_b32_sdwa v7, v6, v7 dst_sel:DWORD dst_unused:UNUSED_PAD src0_sel:WORD_0 src1_sel:DWORD
.LBB11_61:
	s_or_b32 exec_lo, exec_lo, s1
	v_add_nc_u32_e32 v4, 5, v29
                                        ; implicit-def: $vgpr6
	v_cmp_le_u32_e32 vcc_lo, s7, v4
                                        ; implicit-def: $vgpr4
	s_and_saveexec_b32 s0, vcc_lo
	s_xor_b32 s0, exec_lo, s0
	s_cbranch_execz .LBB11_63
; %bb.62:
	v_lshrrev_b32_e32 v4, 24, v7
	v_mov_b32_e32 v6, 8
	v_mov_b32_e32 v8, 0xff
	v_perm_b32 v3, v3, v3, 0x3060504
	v_perm_b32 v4, v4, v7, 0x40c0100
	v_mov_b32_e32 v7, 24
	v_and_b32_sdwa v8, v5, v8 dst_sel:DWORD dst_unused:UNUSED_PAD src0_sel:WORD_1 src1_sel:DWORD
	v_lshrrev_b32_sdwa v6, v6, v4 dst_sel:BYTE_1 dst_unused:UNUSED_PAD src0_sel:DWORD src1_sel:DWORD
	v_lshrrev_b32_sdwa v7, v7, v5 dst_sel:BYTE_1 dst_unused:UNUSED_PAD src0_sel:DWORD src1_sel:DWORD
	v_or_b32_sdwa v6, v4, v6 dst_sel:DWORD dst_unused:UNUSED_PAD src0_sel:BYTE_0 src1_sel:DWORD
	v_or_b32_e32 v7, v8, v7
	v_and_b32_e32 v8, 0xffff, v6
	v_perm_b32 v6, v7, v5, 0x5040c00
                                        ; implicit-def: $vgpr5
                                        ; implicit-def: $vgpr7
	v_and_or_b32 v4, 0xff000000, v4, v8
.LBB11_63:
	s_andn2_saveexec_b32 s1, s0
	s_cbranch_execz .LBB11_67
; %bb.64:
	v_add_nc_u32_e32 v4, s17, v16
	v_add_nc_u32_e32 v6, s19, v16
	s_mov_b32 s2, 0
	s_mov_b32 s3, exec_lo
	v_mul_lo_u32 v4, v4, s16
	v_mul_lo_u32 v6, v6, s18
	v_sub_nc_u32_e32 v4, v4, v6
	v_cmp_lt_u32_e32 vcc_lo, s20, v4
	v_cmpx_ge_u32_e64 s20, v4
	s_cbranch_execz .LBB11_66
; %bb.65:
	v_add_nc_u32_e32 v4, s22, v16
	v_add_nc_u32_e32 v6, s40, v16
	v_mul_lo_u32 v4, v4, s21
	v_mul_lo_u32 v6, v6, s23
	v_sub_nc_u32_e32 v4, v4, v6
	v_cmp_lt_u32_e64 s0, s41, v4
	s_and_b32 s2, s0, exec_lo
.LBB11_66:
	s_or_b32 exec_lo, exec_lo, s3
	v_cndmask_b32_e64 v4, 0, 1, vcc_lo
	v_mov_b32_e32 v6, 24
	v_mov_b32_e32 v8, 0xff
	;; [unrolled: 1-line block ×3, first 2 shown]
	v_cndmask_b32_e64 v22, 0, 1, s2
	v_lshlrev_b16 v4, 8, v4
	v_lshrrev_b32_sdwa v23, v6, v5 dst_sel:BYTE_1 dst_unused:UNUSED_PAD src0_sel:DWORD src1_sel:DWORD
	v_and_b32_sdwa v8, v5, v8 dst_sel:DWORD dst_unused:UNUSED_PAD src0_sel:WORD_1 src1_sel:DWORD
	v_lshrrev_b32_sdwa v21, v21, v7 dst_sel:BYTE_1 dst_unused:UNUSED_PAD src0_sel:DWORD src1_sel:DWORD
	v_lshrrev_b32_sdwa v6, v6, v7 dst_sel:BYTE_1 dst_unused:UNUSED_PAD src0_sel:DWORD src1_sel:DWORD
	v_or_b32_sdwa v4, v5, v4 dst_sel:DWORD dst_unused:UNUSED_PAD src0_sel:BYTE_0 src1_sel:DWORD
	v_or_b32_sdwa v5, v8, v23 dst_sel:WORD_1 dst_unused:UNUSED_PAD src0_sel:DWORD src1_sel:DWORD
	v_or_b32_sdwa v7, v7, v21 dst_sel:DWORD dst_unused:UNUSED_PAD src0_sel:BYTE_0 src1_sel:DWORD
	v_or_b32_sdwa v8, v22, v6 dst_sel:WORD_1 dst_unused:UNUSED_PAD src0_sel:DWORD src1_sel:DWORD
	v_or_b32_sdwa v6, v4, v5 dst_sel:DWORD dst_unused:UNUSED_PAD src0_sel:WORD_0 src1_sel:DWORD
	v_or_b32_sdwa v4, v7, v8 dst_sel:DWORD dst_unused:UNUSED_PAD src0_sel:WORD_0 src1_sel:DWORD
.LBB11_67:
	s_or_b32 exec_lo, exec_lo, s1
	v_add_nc_u32_e32 v5, 6, v29
                                        ; implicit-def: $vgpr31
	v_cmp_le_u32_e32 vcc_lo, s7, v5
                                        ; implicit-def: $vgpr5
	s_and_saveexec_b32 s0, vcc_lo
	s_xor_b32 s0, exec_lo, s0
	s_cbranch_execz .LBB11_69
; %bb.68:
	v_lshrrev_b32_e32 v5, 24, v6
	v_mov_b32_e32 v7, 8
	v_perm_b32 v3, v3, v3, 0x3060504
	v_perm_b32 v5, v5, v6, 0x40c0100
	v_lshrrev_b32_sdwa v6, v7, v5 dst_sel:BYTE_1 dst_unused:UNUSED_PAD src0_sel:DWORD src1_sel:DWORD
	v_and_b32_e32 v7, 0xff0000, v4
	v_or_b32_sdwa v6, v5, v6 dst_sel:DWORD dst_unused:UNUSED_PAD src0_sel:BYTE_0 src1_sel:DWORD
	v_perm_b32 v31, v4, v7, 0x3020504
                                        ; implicit-def: $vgpr4
	v_and_b32_e32 v6, 0xffff, v6
	v_and_or_b32 v5, 0xff000000, v5, v6
                                        ; implicit-def: $vgpr6
.LBB11_69:
	s_andn2_saveexec_b32 s1, s0
	s_cbranch_execz .LBB11_73
; %bb.70:
	v_add_nc_u32_e32 v5, s17, v13
	v_add_nc_u32_e32 v7, s19, v13
	s_mov_b32 s2, 0
	s_mov_b32 s3, exec_lo
	v_mul_lo_u32 v5, v5, s16
	v_mul_lo_u32 v7, v7, s18
	v_sub_nc_u32_e32 v5, v5, v7
	v_cmp_lt_u32_e32 vcc_lo, s20, v5
	v_cmpx_ge_u32_e64 s20, v5
	s_cbranch_execz .LBB11_72
; %bb.71:
	v_add_nc_u32_e32 v5, s22, v13
	v_add_nc_u32_e32 v7, s40, v13
	v_mul_lo_u32 v5, v5, s21
	v_mul_lo_u32 v7, v7, s23
	v_sub_nc_u32_e32 v5, v5, v7
	v_cmp_lt_u32_e64 s0, s41, v5
	s_and_b32 s2, s0, exec_lo
.LBB11_72:
	s_or_b32 exec_lo, exec_lo, s3
	v_mov_b32_e32 v5, 8
	v_mov_b32_e32 v7, 24
	v_cndmask_b32_e64 v21, 0, 1, s2
	v_mov_b32_e32 v22, 0xff
	v_cndmask_b32_e64 v8, 0, 1, vcc_lo
	v_lshrrev_b32_sdwa v23, v5, v6 dst_sel:BYTE_1 dst_unused:UNUSED_PAD src0_sel:DWORD src1_sel:DWORD
	v_lshrrev_b32_sdwa v7, v7, v6 dst_sel:BYTE_1 dst_unused:UNUSED_PAD src0_sel:DWORD src1_sel:DWORD
	;; [unrolled: 1-line block ×3, first 2 shown]
	v_lshlrev_b16 v21, 8, v21
	v_and_b32_sdwa v22, v4, v22 dst_sel:DWORD dst_unused:UNUSED_PAD src0_sel:WORD_1 src1_sel:DWORD
	v_or_b32_sdwa v6, v6, v23 dst_sel:DWORD dst_unused:UNUSED_PAD src0_sel:BYTE_0 src1_sel:DWORD
	v_or_b32_sdwa v7, v8, v7 dst_sel:WORD_1 dst_unused:UNUSED_PAD src0_sel:DWORD src1_sel:DWORD
	v_or_b32_sdwa v4, v4, v5 dst_sel:DWORD dst_unused:UNUSED_PAD src0_sel:BYTE_0 src1_sel:DWORD
	v_or_b32_sdwa v8, v22, v21 dst_sel:WORD_1 dst_unused:UNUSED_PAD src0_sel:DWORD src1_sel:DWORD
	v_or_b32_sdwa v5, v6, v7 dst_sel:DWORD dst_unused:UNUSED_PAD src0_sel:WORD_0 src1_sel:DWORD
	v_or_b32_sdwa v31, v4, v8 dst_sel:DWORD dst_unused:UNUSED_PAD src0_sel:WORD_0 src1_sel:DWORD
.LBB11_73:
	s_or_b32 exec_lo, exec_lo, s1
	v_add_nc_u32_e32 v4, 7, v29
                                        ; implicit-def: $vgpr32
	v_cmp_le_u32_e32 vcc_lo, s7, v4
                                        ; implicit-def: $vgpr4
	s_and_saveexec_b32 s0, vcc_lo
	s_xor_b32 s0, exec_lo, s0
	s_cbranch_execz .LBB11_75
; %bb.74:
	v_mov_b32_e32 v4, 24
	v_mov_b32_e32 v6, 0xff
	;; [unrolled: 1-line block ×3, first 2 shown]
	v_lshrrev_b32_sdwa v4, v4, v3 dst_sel:BYTE_1 dst_unused:UNUSED_PAD src0_sel:DWORD src1_sel:DWORD
	v_and_b32_sdwa v6, v3, v6 dst_sel:DWORD dst_unused:UNUSED_PAD src0_sel:WORD_1 src1_sel:DWORD
	v_lshrrev_b32_sdwa v3, v7, v3 dst_sel:BYTE_1 dst_unused:UNUSED_PAD src0_sel:DWORD src1_sel:DWORD
	v_and_b32_e32 v7, 0xff0000, v5
	v_or_b32_sdwa v4, v6, v4 dst_sel:WORD_1 dst_unused:UNUSED_PAD src0_sel:DWORD src1_sel:DWORD
	v_perm_b32 v32, v5, v7, 0x3020504
                                        ; implicit-def: $vgpr5
	v_or_b32_sdwa v4, v3, v4 dst_sel:DWORD dst_unused:UNUSED_PAD src0_sel:WORD_0 src1_sel:DWORD
                                        ; implicit-def: $vgpr3
.LBB11_75:
	s_andn2_saveexec_b32 s1, s0
	s_cbranch_execz .LBB11_79
; %bb.76:
	v_add_nc_u32_e32 v4, s17, v14
	v_add_nc_u32_e32 v6, s19, v14
	s_mov_b32 s2, 0
	s_mov_b32 s3, exec_lo
	v_mul_lo_u32 v4, v4, s16
	v_mul_lo_u32 v6, v6, s18
	v_sub_nc_u32_e32 v4, v4, v6
	v_cmp_lt_u32_e32 vcc_lo, s20, v4
	v_cmpx_ge_u32_e64 s20, v4
	s_cbranch_execz .LBB11_78
; %bb.77:
	v_add_nc_u32_e32 v4, s22, v14
	v_add_nc_u32_e32 v6, s40, v14
	v_mul_lo_u32 v4, v4, s21
	v_mul_lo_u32 v6, v6, s23
	v_sub_nc_u32_e32 v4, v4, v6
	v_cmp_lt_u32_e64 s0, s41, v4
	s_and_b32 s2, s0, exec_lo
.LBB11_78:
	s_or_b32 exec_lo, exec_lo, s3
	v_mov_b32_e32 v4, 8
	v_cndmask_b32_e64 v6, 0, 1, vcc_lo
	v_mov_b32_e32 v7, 0xff
	v_mov_b32_e32 v8, 24
	v_cndmask_b32_e64 v21, 0, 1, s2
	v_lshrrev_b32_sdwa v22, v4, v5 dst_sel:BYTE_1 dst_unused:UNUSED_PAD src0_sel:DWORD src1_sel:DWORD
	v_lshlrev_b16 v6, 8, v6
	v_and_b32_sdwa v23, v5, v7 dst_sel:DWORD dst_unused:UNUSED_PAD src0_sel:WORD_1 src1_sel:DWORD
	v_lshrrev_b32_sdwa v8, v8, v3 dst_sel:BYTE_1 dst_unused:UNUSED_PAD src0_sel:DWORD src1_sel:DWORD
	v_and_b32_sdwa v7, v3, v7 dst_sel:DWORD dst_unused:UNUSED_PAD src0_sel:WORD_1 src1_sel:DWORD
	v_lshrrev_b32_sdwa v3, v4, v3 dst_sel:BYTE_1 dst_unused:UNUSED_PAD src0_sel:DWORD src1_sel:DWORD
	v_or_b32_sdwa v4, v5, v22 dst_sel:DWORD dst_unused:UNUSED_PAD src0_sel:BYTE_0 src1_sel:DWORD
	v_or_b32_sdwa v5, v23, v6 dst_sel:WORD_1 dst_unused:UNUSED_PAD src0_sel:DWORD src1_sel:DWORD
	v_or_b32_sdwa v6, v7, v8 dst_sel:WORD_1 dst_unused:UNUSED_PAD src0_sel:DWORD src1_sel:DWORD
	v_or_b32_e32 v3, v21, v3
	v_or_b32_sdwa v32, v4, v5 dst_sel:DWORD dst_unused:UNUSED_PAD src0_sel:WORD_0 src1_sel:DWORD
	v_or_b32_sdwa v4, v3, v6 dst_sel:DWORD dst_unused:UNUSED_PAD src0_sel:WORD_0 src1_sel:DWORD
.LBB11_79:
	s_or_b32 exec_lo, exec_lo, s1
	v_add_nc_u32_e32 v3, 8, v29
                                        ; implicit-def: $vgpr5
	v_cmp_le_u32_e32 vcc_lo, s7, v3
                                        ; implicit-def: $vgpr3
	s_and_saveexec_b32 s0, vcc_lo
	s_xor_b32 s0, exec_lo, s0
	s_cbranch_execz .LBB11_81
; %bb.80:
	v_mov_b32_e32 v3, 24
	v_mov_b32_e32 v5, 0xff
	;; [unrolled: 1-line block ×3, first 2 shown]
	v_perm_b32 v1, v1, v1, 0x3060504
	v_lshrrev_b32_sdwa v7, v3, v4 dst_sel:BYTE_1 dst_unused:UNUSED_PAD src0_sel:DWORD src1_sel:DWORD
	v_lshrrev_b32_sdwa v3, v3, v2 dst_sel:BYTE_1 dst_unused:UNUSED_PAD src0_sel:DWORD src1_sel:DWORD
	v_and_b32_sdwa v8, v2, v5 dst_sel:DWORD dst_unused:UNUSED_PAD src0_sel:WORD_1 src1_sel:DWORD
	v_and_b32_sdwa v5, v4, v5 dst_sel:DWORD dst_unused:UNUSED_PAD src0_sel:WORD_1 src1_sel:DWORD
	v_lshrrev_b32_sdwa v2, v6, v2 dst_sel:BYTE_1 dst_unused:UNUSED_PAD src0_sel:DWORD src1_sel:DWORD
	v_or_b32_sdwa v3, v8, v3 dst_sel:WORD_1 dst_unused:UNUSED_PAD src0_sel:DWORD src1_sel:DWORD
	v_or_b32_e32 v5, v5, v7
	v_or_b32_sdwa v3, v2, v3 dst_sel:DWORD dst_unused:UNUSED_PAD src0_sel:WORD_0 src1_sel:DWORD
	v_perm_b32 v5, v5, v4, 0x5040c00
                                        ; implicit-def: $vgpr2
                                        ; implicit-def: $vgpr4
.LBB11_81:
	s_andn2_saveexec_b32 s1, s0
	s_cbranch_execz .LBB11_85
; %bb.82:
	v_add_nc_u32_e32 v3, s17, v11
	v_add_nc_u32_e32 v5, s19, v11
	s_mov_b32 s2, 0
	s_mov_b32 s3, exec_lo
	v_mul_lo_u32 v3, v3, s16
	v_mul_lo_u32 v5, v5, s18
	v_sub_nc_u32_e32 v3, v3, v5
	v_cmp_lt_u32_e32 vcc_lo, s20, v3
	v_cmpx_ge_u32_e64 s20, v3
	s_cbranch_execz .LBB11_84
; %bb.83:
	v_add_nc_u32_e32 v3, s22, v11
	v_add_nc_u32_e32 v5, s40, v11
	v_mul_lo_u32 v3, v3, s21
	v_mul_lo_u32 v5, v5, s23
	v_sub_nc_u32_e32 v3, v3, v5
	v_cmp_lt_u32_e64 s0, s41, v3
	s_and_b32 s2, s0, exec_lo
.LBB11_84:
	s_or_b32 exec_lo, exec_lo, s3
	v_mov_b32_e32 v3, 24
	v_mov_b32_e32 v5, 0xff
	;; [unrolled: 1-line block ×3, first 2 shown]
	v_cndmask_b32_e64 v7, 0, 1, s2
	v_cndmask_b32_e64 v8, 0, 1, vcc_lo
	v_lshrrev_b32_sdwa v21, v3, v2 dst_sel:BYTE_1 dst_unused:UNUSED_PAD src0_sel:DWORD src1_sel:DWORD
	v_and_b32_sdwa v22, v2, v5 dst_sel:DWORD dst_unused:UNUSED_PAD src0_sel:WORD_1 src1_sel:DWORD
	v_lshrrev_b32_sdwa v2, v6, v2 dst_sel:BYTE_1 dst_unused:UNUSED_PAD src0_sel:DWORD src1_sel:DWORD
	v_lshlrev_b16 v6, 8, v7
	v_lshrrev_b32_sdwa v3, v3, v4 dst_sel:BYTE_1 dst_unused:UNUSED_PAD src0_sel:DWORD src1_sel:DWORD
	v_and_b32_sdwa v5, v4, v5 dst_sel:DWORD dst_unused:UNUSED_PAD src0_sel:WORD_1 src1_sel:DWORD
	v_or_b32_sdwa v7, v22, v21 dst_sel:WORD_1 dst_unused:UNUSED_PAD src0_sel:DWORD src1_sel:DWORD
	v_or_b32_e32 v2, v8, v2
	v_or_b32_sdwa v4, v4, v6 dst_sel:DWORD dst_unused:UNUSED_PAD src0_sel:BYTE_0 src1_sel:DWORD
	v_or_b32_sdwa v5, v5, v3 dst_sel:WORD_1 dst_unused:UNUSED_PAD src0_sel:DWORD src1_sel:DWORD
	v_or_b32_sdwa v3, v2, v7 dst_sel:DWORD dst_unused:UNUSED_PAD src0_sel:WORD_0 src1_sel:DWORD
	v_or_b32_sdwa v5, v4, v5 dst_sel:DWORD dst_unused:UNUSED_PAD src0_sel:WORD_0 src1_sel:DWORD
.LBB11_85:
	s_or_b32 exec_lo, exec_lo, s1
	v_add_nc_u32_e32 v2, 9, v29
                                        ; implicit-def: $vgpr4
	v_cmp_le_u32_e32 vcc_lo, s7, v2
                                        ; implicit-def: $vgpr2
	s_and_saveexec_b32 s0, vcc_lo
	s_xor_b32 s0, exec_lo, s0
	s_cbranch_execz .LBB11_87
; %bb.86:
	v_lshrrev_b32_e32 v2, 24, v5
	v_mov_b32_e32 v4, 8
	v_mov_b32_e32 v6, 0xff
	v_perm_b32 v1, v1, v1, 0x3060504
	v_perm_b32 v2, v2, v5, 0x40c0100
	v_mov_b32_e32 v5, 24
	v_and_b32_sdwa v6, v3, v6 dst_sel:DWORD dst_unused:UNUSED_PAD src0_sel:WORD_1 src1_sel:DWORD
	v_lshrrev_b32_sdwa v4, v4, v2 dst_sel:BYTE_1 dst_unused:UNUSED_PAD src0_sel:DWORD src1_sel:DWORD
	v_lshrrev_b32_sdwa v5, v5, v3 dst_sel:BYTE_1 dst_unused:UNUSED_PAD src0_sel:DWORD src1_sel:DWORD
	v_or_b32_sdwa v4, v2, v4 dst_sel:DWORD dst_unused:UNUSED_PAD src0_sel:BYTE_0 src1_sel:DWORD
	v_or_b32_e32 v5, v6, v5
	v_and_b32_e32 v6, 0xffff, v4
	v_perm_b32 v4, v5, v3, 0x5040c00
                                        ; implicit-def: $vgpr3
                                        ; implicit-def: $vgpr5
	v_and_or_b32 v2, 0xff000000, v2, v6
.LBB11_87:
	s_andn2_saveexec_b32 s1, s0
	s_cbranch_execz .LBB11_91
; %bb.88:
	v_add_nc_u32_e32 v2, s17, v12
	v_add_nc_u32_e32 v4, s19, v12
	s_mov_b32 s2, 0
	s_mov_b32 s3, exec_lo
	v_mul_lo_u32 v2, v2, s16
	v_mul_lo_u32 v4, v4, s18
	v_sub_nc_u32_e32 v2, v2, v4
	v_cmp_lt_u32_e32 vcc_lo, s20, v2
	v_cmpx_ge_u32_e64 s20, v2
	s_cbranch_execz .LBB11_90
; %bb.89:
	v_add_nc_u32_e32 v2, s22, v12
	v_add_nc_u32_e32 v4, s40, v12
	v_mul_lo_u32 v2, v2, s21
	v_mul_lo_u32 v4, v4, s23
	v_sub_nc_u32_e32 v2, v2, v4
	v_cmp_lt_u32_e64 s0, s41, v2
	s_and_b32 s2, s0, exec_lo
.LBB11_90:
	s_or_b32 exec_lo, exec_lo, s3
	v_cndmask_b32_e64 v2, 0, 1, vcc_lo
	v_mov_b32_e32 v4, 24
	v_mov_b32_e32 v6, 0xff
	;; [unrolled: 1-line block ×3, first 2 shown]
	v_cndmask_b32_e64 v8, 0, 1, s2
	v_lshlrev_b16 v2, 8, v2
	v_lshrrev_b32_sdwa v21, v4, v3 dst_sel:BYTE_1 dst_unused:UNUSED_PAD src0_sel:DWORD src1_sel:DWORD
	v_and_b32_sdwa v6, v3, v6 dst_sel:DWORD dst_unused:UNUSED_PAD src0_sel:WORD_1 src1_sel:DWORD
	v_lshrrev_b32_sdwa v7, v7, v5 dst_sel:BYTE_1 dst_unused:UNUSED_PAD src0_sel:DWORD src1_sel:DWORD
	v_lshrrev_b32_sdwa v4, v4, v5 dst_sel:BYTE_1 dst_unused:UNUSED_PAD src0_sel:DWORD src1_sel:DWORD
	v_or_b32_sdwa v2, v3, v2 dst_sel:DWORD dst_unused:UNUSED_PAD src0_sel:BYTE_0 src1_sel:DWORD
	v_or_b32_sdwa v3, v6, v21 dst_sel:WORD_1 dst_unused:UNUSED_PAD src0_sel:DWORD src1_sel:DWORD
	v_or_b32_sdwa v5, v5, v7 dst_sel:DWORD dst_unused:UNUSED_PAD src0_sel:BYTE_0 src1_sel:DWORD
	v_or_b32_sdwa v6, v8, v4 dst_sel:WORD_1 dst_unused:UNUSED_PAD src0_sel:DWORD src1_sel:DWORD
	v_or_b32_sdwa v4, v2, v3 dst_sel:DWORD dst_unused:UNUSED_PAD src0_sel:WORD_0 src1_sel:DWORD
	v_or_b32_sdwa v2, v5, v6 dst_sel:DWORD dst_unused:UNUSED_PAD src0_sel:WORD_0 src1_sel:DWORD
.LBB11_91:
	s_or_b32 exec_lo, exec_lo, s1
	v_add_nc_u32_e32 v3, 10, v29
                                        ; implicit-def: $vgpr33
	v_cmp_le_u32_e32 vcc_lo, s7, v3
                                        ; implicit-def: $vgpr3
	s_and_saveexec_b32 s0, vcc_lo
	s_xor_b32 s0, exec_lo, s0
	s_cbranch_execz .LBB11_93
; %bb.92:
	v_lshrrev_b32_e32 v3, 24, v4
	v_mov_b32_e32 v5, 8
	v_perm_b32 v1, v1, v1, 0x3060504
	v_perm_b32 v3, v3, v4, 0x40c0100
	v_lshrrev_b32_sdwa v4, v5, v3 dst_sel:BYTE_1 dst_unused:UNUSED_PAD src0_sel:DWORD src1_sel:DWORD
	v_and_b32_e32 v5, 0xff0000, v2
	v_or_b32_sdwa v4, v3, v4 dst_sel:DWORD dst_unused:UNUSED_PAD src0_sel:BYTE_0 src1_sel:DWORD
	v_perm_b32 v33, v2, v5, 0x3020504
                                        ; implicit-def: $vgpr2
	v_and_b32_e32 v4, 0xffff, v4
	v_and_or_b32 v3, 0xff000000, v3, v4
                                        ; implicit-def: $vgpr4
.LBB11_93:
	s_andn2_saveexec_b32 s1, s0
	s_cbranch_execz .LBB11_97
; %bb.94:
	v_add_nc_u32_e32 v3, s17, v9
	v_add_nc_u32_e32 v5, s19, v9
	s_mov_b32 s2, 0
	s_mov_b32 s3, exec_lo
	v_mul_lo_u32 v3, v3, s16
	v_mul_lo_u32 v5, v5, s18
	v_sub_nc_u32_e32 v3, v3, v5
	v_cmp_lt_u32_e32 vcc_lo, s20, v3
	v_cmpx_ge_u32_e64 s20, v3
	s_cbranch_execz .LBB11_96
; %bb.95:
	v_add_nc_u32_e32 v3, s22, v9
	v_add_nc_u32_e32 v5, s40, v9
	v_mul_lo_u32 v3, v3, s21
	v_mul_lo_u32 v5, v5, s23
	v_sub_nc_u32_e32 v3, v3, v5
	v_cmp_lt_u32_e64 s0, s41, v3
	s_and_b32 s2, s0, exec_lo
.LBB11_96:
	s_or_b32 exec_lo, exec_lo, s3
	v_mov_b32_e32 v3, 8
	v_mov_b32_e32 v5, 24
	v_cndmask_b32_e64 v7, 0, 1, s2
	v_mov_b32_e32 v8, 0xff
	v_cndmask_b32_e64 v6, 0, 1, vcc_lo
	v_lshrrev_b32_sdwa v21, v3, v4 dst_sel:BYTE_1 dst_unused:UNUSED_PAD src0_sel:DWORD src1_sel:DWORD
	v_lshrrev_b32_sdwa v5, v5, v4 dst_sel:BYTE_1 dst_unused:UNUSED_PAD src0_sel:DWORD src1_sel:DWORD
	;; [unrolled: 1-line block ×3, first 2 shown]
	v_lshlrev_b16 v7, 8, v7
	v_and_b32_sdwa v8, v2, v8 dst_sel:DWORD dst_unused:UNUSED_PAD src0_sel:WORD_1 src1_sel:DWORD
	v_or_b32_sdwa v4, v4, v21 dst_sel:DWORD dst_unused:UNUSED_PAD src0_sel:BYTE_0 src1_sel:DWORD
	v_or_b32_sdwa v5, v6, v5 dst_sel:WORD_1 dst_unused:UNUSED_PAD src0_sel:DWORD src1_sel:DWORD
	v_or_b32_sdwa v2, v2, v3 dst_sel:DWORD dst_unused:UNUSED_PAD src0_sel:BYTE_0 src1_sel:DWORD
	v_or_b32_sdwa v6, v8, v7 dst_sel:WORD_1 dst_unused:UNUSED_PAD src0_sel:DWORD src1_sel:DWORD
	v_or_b32_sdwa v3, v4, v5 dst_sel:DWORD dst_unused:UNUSED_PAD src0_sel:WORD_0 src1_sel:DWORD
	v_or_b32_sdwa v33, v2, v6 dst_sel:DWORD dst_unused:UNUSED_PAD src0_sel:WORD_0 src1_sel:DWORD
.LBB11_97:
	s_or_b32 exec_lo, exec_lo, s1
	v_add_nc_u32_e32 v2, 11, v29
	v_mov_b32_e32 v34, 0
	s_mov_b32 s0, exec_lo
                                        ; implicit-def: $vgpr35
	v_cmpx_le_u32_e64 s7, v2
	s_xor_b32 s0, exec_lo, s0
; %bb.98:
	v_and_b32_e32 v2, 0xff0000, v3
	v_perm_b32 v1, v1, v1, 0x3060504
	v_perm_b32 v35, v3, v2, 0x3020504
                                        ; implicit-def: $vgpr3
; %bb.99:
	s_andn2_saveexec_b32 s1, s0
	s_cbranch_execz .LBB11_103
; %bb.100:
	v_add_nc_u32_e32 v2, s17, v10
	v_add_nc_u32_e32 v4, s19, v10
	s_mov_b32 s2, 0
	s_mov_b32 s3, exec_lo
	v_mul_lo_u32 v2, v2, s16
	v_mul_lo_u32 v4, v4, s18
	v_sub_nc_u32_e32 v2, v2, v4
	v_cmp_lt_u32_e32 vcc_lo, s20, v2
	v_cmpx_ge_u32_e64 s20, v2
	s_cbranch_execz .LBB11_102
; %bb.101:
	v_add_nc_u32_e32 v2, s22, v10
	v_add_nc_u32_e32 v4, s40, v10
	v_mul_lo_u32 v2, v2, s21
	v_mul_lo_u32 v4, v4, s23
	v_sub_nc_u32_e32 v2, v2, v4
	v_cmp_lt_u32_e64 s0, s41, v2
	s_and_b32 s2, s0, exec_lo
.LBB11_102:
	s_or_b32 exec_lo, exec_lo, s3
	v_mov_b32_e32 v2, 8
	v_cndmask_b32_e64 v4, 0, 1, vcc_lo
	v_mov_b32_e32 v5, 0xff
	v_cndmask_b32_e64 v34, 0, 1, s2
	v_lshrrev_b32_sdwa v2, v2, v3 dst_sel:BYTE_1 dst_unused:UNUSED_PAD src0_sel:DWORD src1_sel:DWORD
	v_lshlrev_b16 v4, 8, v4
	v_and_b32_sdwa v5, v3, v5 dst_sel:DWORD dst_unused:UNUSED_PAD src0_sel:WORD_1 src1_sel:DWORD
	v_or_b32_sdwa v2, v3, v2 dst_sel:DWORD dst_unused:UNUSED_PAD src0_sel:BYTE_0 src1_sel:DWORD
	v_or_b32_sdwa v3, v5, v4 dst_sel:WORD_1 dst_unused:UNUSED_PAD src0_sel:DWORD src1_sel:DWORD
	v_or_b32_sdwa v35, v2, v3 dst_sel:DWORD dst_unused:UNUSED_PAD src0_sel:WORD_0 src1_sel:DWORD
.LBB11_103:
	s_or_b32 exec_lo, exec_lo, s1
	v_add_nc_u32_e32 v2, 12, v29
	s_mov_b32 s0, exec_lo
                                        ; implicit-def: $vgpr36
	v_cmpx_le_u32_e64 s7, v2
	s_xor_b32 s0, exec_lo, s0
	s_cbranch_execz .LBB11_105
; %bb.104:
	v_mov_b32_e32 v2, 24
	v_mov_b32_e32 v3, 0xff
	;; [unrolled: 1-line block ×3, first 2 shown]
	v_lshrrev_b32_sdwa v2, v2, v1 dst_sel:BYTE_1 dst_unused:UNUSED_PAD src0_sel:DWORD src1_sel:DWORD
	v_and_b32_sdwa v3, v1, v3 dst_sel:DWORD dst_unused:UNUSED_PAD src0_sel:WORD_1 src1_sel:DWORD
	v_lshrrev_b32_sdwa v1, v4, v1 dst_sel:BYTE_1 dst_unused:UNUSED_PAD src0_sel:DWORD src1_sel:DWORD
	v_or_b32_sdwa v2, v3, v2 dst_sel:WORD_1 dst_unused:UNUSED_PAD src0_sel:DWORD src1_sel:DWORD
	v_or_b32_sdwa v36, v1, v2 dst_sel:DWORD dst_unused:UNUSED_PAD src0_sel:WORD_0 src1_sel:DWORD
                                        ; implicit-def: $vgpr1
.LBB11_105:
	s_or_saveexec_b32 s1, s0
	v_mov_b32_e32 v37, 0
	s_xor_b32 exec_lo, exec_lo, s1
	s_cbranch_execz .LBB11_109
; %bb.106:
	v_add_nc_u32_e32 v2, s17, v28
	v_add_nc_u32_e32 v3, s19, v28
	s_mov_b32 s2, 0
	s_mov_b32 s3, exec_lo
	v_mul_lo_u32 v2, v2, s16
	v_mul_lo_u32 v3, v3, s18
	v_sub_nc_u32_e32 v2, v2, v3
	v_cmp_lt_u32_e32 vcc_lo, s20, v2
	v_cmpx_ge_u32_e64 s20, v2
	s_cbranch_execz .LBB11_108
; %bb.107:
	v_add_nc_u32_e32 v2, s22, v28
	v_add_nc_u32_e32 v3, s40, v28
	v_mul_lo_u32 v2, v2, s21
	v_mul_lo_u32 v3, v3, s23
	v_sub_nc_u32_e32 v2, v2, v3
	v_cmp_lt_u32_e64 s0, s41, v2
	s_and_b32 s2, s0, exec_lo
.LBB11_108:
	s_or_b32 exec_lo, exec_lo, s3
	v_mov_b32_e32 v2, 24
	v_mov_b32_e32 v3, 0xff
	;; [unrolled: 1-line block ×3, first 2 shown]
	v_cndmask_b32_e64 v5, 0, 1, vcc_lo
	v_cndmask_b32_e64 v37, 0, 1, s2
	v_lshrrev_b32_sdwa v2, v2, v1 dst_sel:BYTE_1 dst_unused:UNUSED_PAD src0_sel:DWORD src1_sel:DWORD
	v_and_b32_sdwa v3, v1, v3 dst_sel:DWORD dst_unused:UNUSED_PAD src0_sel:WORD_1 src1_sel:DWORD
	v_lshrrev_b32_sdwa v1, v4, v1 dst_sel:BYTE_1 dst_unused:UNUSED_PAD src0_sel:DWORD src1_sel:DWORD
	v_or_b32_sdwa v2, v3, v2 dst_sel:WORD_1 dst_unused:UNUSED_PAD src0_sel:DWORD src1_sel:DWORD
	v_or_b32_e32 v1, v5, v1
	v_or_b32_sdwa v36, v1, v2 dst_sel:DWORD dst_unused:UNUSED_PAD src0_sel:WORD_0 src1_sel:DWORD
.LBB11_109:
	s_or_b32 exec_lo, exec_lo, s1
.LBB11_110:
	v_and_b32_e32 v60, 0xff, v30
	v_bfe_u32 v61, v36, 8, 8
	v_bfe_u32 v57, v30, 8, 8
	;; [unrolled: 1-line block ×4, first 2 shown]
	v_lshrrev_b32_e32 v43, 24, v36
	v_lshrrev_b32_e32 v42, 24, v30
	v_and_b32_e32 v56, 0xff, v31
	v_and_b32_e32 v54, 0xff, v32
	v_bfe_u32 v55, v31, 8, 8
	v_add3_u32 v1, v57, v60, v59
	v_add3_u32 v2, v58, v61, v43
	v_bfe_u32 v52, v32, 8, 8
	v_bfe_u32 v53, v31, 16, 8
	v_bfe_u32 v46, v32, 16, 8
	v_lshrrev_b32_e32 v41, 24, v31
	v_add3_u32 v1, v1, v42, v54
	v_add3_u32 v2, v2, v56, v55
	v_lshrrev_b32_e32 v40, 24, v32
	v_and_b32_e32 v51, 0xff, v33
	v_and_b32_e32 v49, 0xff, v35
	v_bfe_u32 v50, v33, 8, 8
	v_add3_u32 v1, v1, v52, v46
	v_add3_u32 v2, v2, v53, v41
	v_bfe_u32 v47, v35, 8, 8
	v_bfe_u32 v48, v33, 16, 8
	;; [unrolled: 1-line block ×3, first 2 shown]
	v_lshrrev_b32_e32 v39, 24, v33
	v_add3_u32 v1, v1, v40, v49
	v_add3_u32 v2, v2, v51, v50
	v_mbcnt_lo_u32_b32 v62, -1, 0
	v_lshrrev_b32_e32 v38, 24, v35
	v_and_b32_e32 v44, 0xff, v34
	v_and_b32_e32 v3, 0xff, v36
	;; [unrolled: 1-line block ×3, first 2 shown]
	v_add3_u32 v1, v1, v47, v45
	v_add3_u32 v2, v2, v48, v39
	v_and_b32_e32 v64, 15, v62
	v_and_b32_e32 v66, 16, v62
	v_lshrrev_b32_e32 v63, 5, v0
	v_add3_u32 v67, v1, v38, v3
	v_add3_u32 v68, v2, v44, v4
	v_cmp_eq_u32_e64 s1, 0, v64
	v_cmp_lt_u32_e64 s0, 1, v64
	v_cmp_lt_u32_e64 s2, 3, v64
	v_or_b32_e32 v65, 31, v0
	s_cmp_lg_u32 s6, 0
	s_mov_b32 s3, -1
	v_cmp_lt_u32_e32 vcc_lo, 7, v64
	s_cbranch_scc0 .LBB11_132
; %bb.111:
	v_mov_b32_dpp v1, v68 row_shr:1 row_mask:0xf bank_mask:0xf
	v_mov_b32_dpp v2, v67 row_shr:1 row_mask:0xf bank_mask:0xf
	s_mov_b32 s3, exec_lo
	v_add_nc_u32_e32 v1, v1, v68
	v_add_nc_u32_e32 v2, v2, v67
	v_cndmask_b32_e64 v1, v1, v68, s1
	v_cndmask_b32_e64 v2, v2, v67, s1
	v_mov_b32_dpp v3, v1 row_shr:2 row_mask:0xf bank_mask:0xf
	v_mov_b32_dpp v4, v2 row_shr:2 row_mask:0xf bank_mask:0xf
	v_add_nc_u32_e32 v3, v1, v3
	v_add_nc_u32_e32 v4, v2, v4
	v_cndmask_b32_e64 v1, v1, v3, s0
	v_cndmask_b32_e64 v2, v2, v4, s0
	v_mov_b32_dpp v3, v1 row_shr:4 row_mask:0xf bank_mask:0xf
	v_mov_b32_dpp v4, v2 row_shr:4 row_mask:0xf bank_mask:0xf
	;; [unrolled: 6-line block ×3, first 2 shown]
	v_add_nc_u32_e32 v3, v1, v3
	v_add_nc_u32_e32 v4, v2, v4
	v_cndmask_b32_e32 v1, v1, v3, vcc_lo
	v_cndmask_b32_e32 v2, v2, v4, vcc_lo
	v_cmp_eq_u32_e32 vcc_lo, 0, v66
	ds_swizzle_b32 v3, v1 offset:swizzle(BROADCAST,32,15)
	ds_swizzle_b32 v4, v2 offset:swizzle(BROADCAST,32,15)
	s_waitcnt lgkmcnt(0)
	v_add_nc_u32_e32 v3, v1, v3
	v_add_nc_u32_e32 v4, v2, v4
	v_cmpx_eq_u32_e64 v0, v65
	s_cbranch_execz .LBB11_113
; %bb.112:
	v_lshlrev_b32_e32 v7, 3, v63
	v_cndmask_b32_e32 v6, v3, v1, vcc_lo
	v_cndmask_b32_e32 v5, v4, v2, vcc_lo
	ds_write_b64 v7, v[5:6]
.LBB11_113:
	s_or_b32 exec_lo, exec_lo, s3
	s_mov_b32 s3, exec_lo
	s_waitcnt lgkmcnt(0)
	s_barrier
	buffer_gl0_inv
	v_cmpx_gt_u32_e32 8, v0
	s_cbranch_execz .LBB11_115
; %bb.114:
	v_lshlrev_b32_e32 v7, 3, v0
	v_and_b32_e32 v22, 7, v62
	ds_read_b64 v[5:6], v7
	v_cmp_eq_u32_e64 s2, 0, v22
	s_waitcnt lgkmcnt(0)
	v_mov_b32_dpp v8, v5 row_shr:1 row_mask:0xf bank_mask:0xf
	v_mov_b32_dpp v21, v6 row_shr:1 row_mask:0xf bank_mask:0xf
	v_add_nc_u32_e32 v8, v8, v5
	v_add_nc_u32_e32 v21, v21, v6
	v_cndmask_b32_e64 v5, v8, v5, s2
	v_cndmask_b32_e64 v6, v21, v6, s2
	v_cmp_lt_u32_e64 s2, 1, v22
	v_mov_b32_dpp v8, v5 row_shr:2 row_mask:0xf bank_mask:0xf
	v_mov_b32_dpp v21, v6 row_shr:2 row_mask:0xf bank_mask:0xf
	v_add_nc_u32_e32 v8, v5, v8
	v_add_nc_u32_e32 v21, v6, v21
	v_cndmask_b32_e64 v5, v5, v8, s2
	v_cndmask_b32_e64 v6, v6, v21, s2
	v_cmp_lt_u32_e64 s2, 3, v22
	v_mov_b32_dpp v8, v5 row_shr:4 row_mask:0xf bank_mask:0xf
	v_mov_b32_dpp v21, v6 row_shr:4 row_mask:0xf bank_mask:0xf
	v_cndmask_b32_e64 v8, 0, v8, s2
	v_cndmask_b32_e64 v21, 0, v21, s2
	v_add_nc_u32_e32 v5, v8, v5
	v_add_nc_u32_e32 v6, v21, v6
	ds_write_b64 v7, v[5:6]
.LBB11_115:
	s_or_b32 exec_lo, exec_lo, s3
	v_cndmask_b32_e32 v1, v3, v1, vcc_lo
	v_cndmask_b32_e32 v2, v4, v2, vcc_lo
	s_mov_b32 s3, exec_lo
	v_cmp_gt_u32_e32 vcc_lo, 32, v0
	s_waitcnt lgkmcnt(0)
	s_barrier
	buffer_gl0_inv
                                        ; implicit-def: $vgpr21
	v_cmpx_lt_u32_e32 31, v0
	s_cbranch_execz .LBB11_117
; %bb.116:
	v_lshl_add_u32 v3, v63, 3, -8
	ds_read_b64 v[21:22], v3
	s_waitcnt lgkmcnt(0)
	v_add_nc_u32_e32 v1, v22, v1
	v_add_nc_u32_e32 v2, v21, v2
.LBB11_117:
	s_or_b32 exec_lo, exec_lo, s3
	v_sub_co_u32 v3, s2, v62, 1
	v_cmp_gt_i32_e64 s3, 0, v3
	v_cndmask_b32_e64 v3, v3, v62, s3
	v_lshlrev_b32_e32 v3, 2, v3
	ds_bpermute_b32 v69, v3, v2
	ds_bpermute_b32 v70, v3, v1
	s_and_saveexec_b32 s3, vcc_lo
	s_cbranch_execz .LBB11_137
; %bb.118:
	v_mov_b32_e32 v4, 0
	ds_read_b64 v[1:2], v4 offset:56
	s_and_saveexec_b32 s8, s2
	s_cbranch_execz .LBB11_120
; %bb.119:
	s_add_i32 s10, s6, 32
	s_mov_b32 s11, 0
	v_mov_b32_e32 v3, 1
	s_lshl_b64 s[10:11], s[10:11], 4
	s_add_u32 s10, s4, s10
	s_addc_u32 s11, s5, s11
	v_mov_b32_e32 v5, s10
	v_mov_b32_e32 v6, s11
	s_waitcnt lgkmcnt(0)
	;;#ASMSTART
	global_store_dwordx4 v[5:6], v[1:4] off	
s_waitcnt vmcnt(0)
	;;#ASMEND
.LBB11_120:
	s_or_b32 exec_lo, exec_lo, s8
	v_xad_u32 v23, v62, -1, s6
	s_mov_b32 s9, 0
	v_add_nc_u32_e32 v3, 32, v23
	v_lshlrev_b64 v[5:6], 4, v[3:4]
	v_add_co_u32 v24, vcc_lo, s4, v5
	v_add_co_ci_u32_e64 v25, null, s5, v6, vcc_lo
	;;#ASMSTART
	global_load_dwordx4 v[5:8], v[24:25] off glc dlc	
s_waitcnt vmcnt(0)
	;;#ASMEND
	v_cmp_eq_u16_sdwa s10, v7, v4 src0_sel:BYTE_0 src1_sel:DWORD
	s_and_saveexec_b32 s8, s10
	s_cbranch_execz .LBB11_124
; %bb.121:
	v_mov_b32_e32 v3, 0
.LBB11_122:                             ; =>This Inner Loop Header: Depth=1
	;;#ASMSTART
	global_load_dwordx4 v[5:8], v[24:25] off glc dlc	
s_waitcnt vmcnt(0)
	;;#ASMEND
	v_cmp_ne_u16_sdwa s10, v7, v3 src0_sel:BYTE_0 src1_sel:DWORD
	s_or_b32 s9, s10, s9
	s_andn2_b32 exec_lo, exec_lo, s9
	s_cbranch_execnz .LBB11_122
; %bb.123:
	s_or_b32 exec_lo, exec_lo, s9
.LBB11_124:
	s_or_b32 exec_lo, exec_lo, s8
	v_cmp_ne_u32_e32 vcc_lo, 31, v62
	v_mov_b32_e32 v72, 2
	v_lshlrev_b32_e64 v73, v62, -1
	v_add_nc_u32_e32 v75, 2, v62
	v_add_nc_u32_e32 v77, 4, v62
	v_add_co_ci_u32_e64 v3, null, 0, v62, vcc_lo
	v_cmp_eq_u16_sdwa s8, v7, v72 src0_sel:BYTE_0 src1_sel:DWORD
	v_cmp_gt_u32_e32 vcc_lo, 30, v62
	v_add_nc_u32_e32 v79, 8, v62
	v_lshlrev_b32_e32 v71, 2, v3
	v_lshl_or_b32 v80, v62, 2, 64
	v_and_b32_e32 v8, s8, v73
	v_cndmask_b32_e64 v24, 0, 2, vcc_lo
	v_add_nc_u32_e32 v81, 16, v62
	ds_bpermute_b32 v3, v71, v6
	ds_bpermute_b32 v4, v71, v5
	v_or_b32_e32 v8, 0x80000000, v8
	v_add_lshl_u32 v74, v24, v62, 2
	v_ffbl_b32_e32 v8, v8
	v_cmp_lt_u32_e32 vcc_lo, v62, v8
	s_waitcnt lgkmcnt(1)
	v_add_nc_u32_e32 v3, v3, v6
	s_waitcnt lgkmcnt(0)
	v_add_nc_u32_e32 v4, v4, v5
	v_cndmask_b32_e32 v3, v6, v3, vcc_lo
	v_cndmask_b32_e32 v4, v5, v4, vcc_lo
	v_cmp_gt_u32_e32 vcc_lo, 28, v62
	ds_bpermute_b32 v5, v74, v3
	ds_bpermute_b32 v6, v74, v4
	v_cndmask_b32_e64 v24, 0, 4, vcc_lo
	v_cmp_gt_u32_e32 vcc_lo, v75, v8
	v_add_lshl_u32 v76, v24, v62, 2
	s_waitcnt lgkmcnt(1)
	v_add_nc_u32_e32 v5, v3, v5
	s_waitcnt lgkmcnt(0)
	v_add_nc_u32_e32 v6, v4, v6
	v_cndmask_b32_e32 v3, v5, v3, vcc_lo
	v_cndmask_b32_e32 v4, v6, v4, vcc_lo
	v_cmp_gt_u32_e32 vcc_lo, 24, v62
	ds_bpermute_b32 v5, v76, v3
	ds_bpermute_b32 v6, v76, v4
	v_cndmask_b32_e64 v24, 0, 8, vcc_lo
	v_cmp_gt_u32_e32 vcc_lo, v77, v8
	v_add_lshl_u32 v78, v24, v62, 2
	v_mov_b32_e32 v24, 0
	s_waitcnt lgkmcnt(1)
	v_add_nc_u32_e32 v5, v3, v5
	s_waitcnt lgkmcnt(0)
	v_add_nc_u32_e32 v6, v4, v6
	v_cndmask_b32_e32 v3, v5, v3, vcc_lo
	v_cndmask_b32_e32 v4, v6, v4, vcc_lo
	v_cmp_gt_u32_e32 vcc_lo, v79, v8
	ds_bpermute_b32 v5, v78, v3
	ds_bpermute_b32 v6, v78, v4
	s_waitcnt lgkmcnt(1)
	v_add_nc_u32_e32 v5, v3, v5
	s_waitcnt lgkmcnt(0)
	v_add_nc_u32_e32 v6, v4, v6
	v_cndmask_b32_e32 v3, v5, v3, vcc_lo
	v_cndmask_b32_e32 v4, v6, v4, vcc_lo
	v_cmp_le_u32_e32 vcc_lo, v81, v8
	ds_bpermute_b32 v6, v80, v3
	ds_bpermute_b32 v5, v80, v4
	s_waitcnt lgkmcnt(1)
	v_cndmask_b32_e32 v6, 0, v6, vcc_lo
	s_waitcnt lgkmcnt(0)
	v_cndmask_b32_e32 v5, 0, v5, vcc_lo
	v_add_nc_u32_e32 v6, v6, v3
	v_add_nc_u32_e32 v5, v5, v4
	s_branch .LBB11_128
.LBB11_125:                             ;   in Loop: Header=BB11_128 Depth=1
	s_or_b32 exec_lo, exec_lo, s9
.LBB11_126:                             ;   in Loop: Header=BB11_128 Depth=1
	s_or_b32 exec_lo, exec_lo, s8
	ds_bpermute_b32 v8, v71, v5
	ds_bpermute_b32 v25, v71, v6
	v_cmp_eq_u16_sdwa s8, v7, v72 src0_sel:BYTE_0 src1_sel:DWORD
	v_subrev_nc_u32_e32 v23, 32, v23
	v_and_or_b32 v26, s8, v73, 0x80000000
	s_mov_b32 s8, 0
	v_ffbl_b32_e32 v26, v26
	v_cmp_lt_u32_e32 vcc_lo, v62, v26
	s_waitcnt lgkmcnt(1)
	v_add_nc_u32_e32 v8, v8, v5
	s_waitcnt lgkmcnt(0)
	v_add_nc_u32_e32 v25, v25, v6
	v_cndmask_b32_e32 v5, v5, v8, vcc_lo
	v_cndmask_b32_e32 v6, v6, v25, vcc_lo
	v_cmp_gt_u32_e32 vcc_lo, v75, v26
	ds_bpermute_b32 v8, v74, v5
	ds_bpermute_b32 v25, v74, v6
	s_waitcnt lgkmcnt(1)
	v_add_nc_u32_e32 v8, v5, v8
	s_waitcnt lgkmcnt(0)
	v_add_nc_u32_e32 v25, v6, v25
	v_cndmask_b32_e32 v5, v8, v5, vcc_lo
	v_cndmask_b32_e32 v6, v25, v6, vcc_lo
	v_cmp_gt_u32_e32 vcc_lo, v77, v26
	ds_bpermute_b32 v8, v76, v5
	ds_bpermute_b32 v25, v76, v6
	;; [unrolled: 9-line block ×3, first 2 shown]
	s_waitcnt lgkmcnt(1)
	v_add_nc_u32_e32 v8, v5, v8
	s_waitcnt lgkmcnt(0)
	v_add_nc_u32_e32 v25, v6, v25
	v_cndmask_b32_e32 v5, v8, v5, vcc_lo
	v_cndmask_b32_e32 v6, v25, v6, vcc_lo
	v_cmp_le_u32_e32 vcc_lo, v81, v26
	ds_bpermute_b32 v8, v80, v5
	ds_bpermute_b32 v25, v80, v6
	s_waitcnt lgkmcnt(1)
	v_cndmask_b32_e32 v8, 0, v8, vcc_lo
	s_waitcnt lgkmcnt(0)
	v_cndmask_b32_e32 v25, 0, v25, vcc_lo
	v_add3_u32 v5, v5, v3, v8
	v_add3_u32 v6, v6, v4, v25
.LBB11_127:                             ;   in Loop: Header=BB11_128 Depth=1
	s_and_b32 vcc_lo, exec_lo, s8
	s_cbranch_vccnz .LBB11_133
.LBB11_128:                             ; =>This Loop Header: Depth=1
                                        ;     Child Loop BB11_131 Depth 2
	v_cmp_ne_u16_sdwa s8, v7, v72 src0_sel:BYTE_0 src1_sel:DWORD
	v_mov_b32_e32 v3, v5
	v_mov_b32_e32 v4, v6
                                        ; implicit-def: $vgpr7
                                        ; implicit-def: $vgpr5_vgpr6
	s_cmp_lg_u32 s8, exec_lo
	s_mov_b32 s8, -1
	s_cbranch_scc1 .LBB11_127
; %bb.129:                              ;   in Loop: Header=BB11_128 Depth=1
	v_lshlrev_b64 v[5:6], 4, v[23:24]
	v_add_co_u32 v25, vcc_lo, s4, v5
	v_add_co_ci_u32_e64 v26, null, s5, v6, vcc_lo
	;;#ASMSTART
	global_load_dwordx4 v[5:8], v[25:26] off glc dlc	
s_waitcnt vmcnt(0)
	;;#ASMEND
	v_cmp_eq_u16_sdwa s9, v7, v24 src0_sel:BYTE_0 src1_sel:DWORD
	s_and_saveexec_b32 s8, s9
	s_cbranch_execz .LBB11_126
; %bb.130:                              ;   in Loop: Header=BB11_128 Depth=1
	s_mov_b32 s9, 0
.LBB11_131:                             ;   Parent Loop BB11_128 Depth=1
                                        ; =>  This Inner Loop Header: Depth=2
	;;#ASMSTART
	global_load_dwordx4 v[5:8], v[25:26] off glc dlc	
s_waitcnt vmcnt(0)
	;;#ASMEND
	v_cmp_ne_u16_sdwa s10, v7, v24 src0_sel:BYTE_0 src1_sel:DWORD
	s_or_b32 s9, s10, s9
	s_andn2_b32 exec_lo, exec_lo, s9
	s_cbranch_execnz .LBB11_131
	s_branch .LBB11_125
.LBB11_132:
                                        ; implicit-def: $vgpr23
                                        ; implicit-def: $vgpr3
                                        ; implicit-def: $vgpr24
	s_and_b32 vcc_lo, exec_lo, s3
	s_cbranch_vccnz .LBB11_138
	s_branch .LBB11_147
.LBB11_133:
	s_and_saveexec_b32 s8, s2
	s_cbranch_execnz .LBB11_375
; %bb.134:
	s_or_b32 exec_lo, exec_lo, s8
	s_and_saveexec_b32 s6, s2
	s_cbranch_execnz .LBB11_376
.LBB11_135:
	s_or_b32 exec_lo, exec_lo, s6
	v_cmp_eq_u32_e32 vcc_lo, 0, v0
	s_and_b32 exec_lo, exec_lo, vcc_lo
.LBB11_136:
	v_mov_b32_e32 v1, 0
	ds_write_b64 v1, v[3:4] offset:56
.LBB11_137:
	s_or_b32 exec_lo, exec_lo, s3
	v_mov_b32_e32 v1, 0
	s_waitcnt lgkmcnt(0)
	s_barrier
	buffer_gl0_inv
	v_cndmask_b32_e64 v7, v69, v21, s2
	ds_read_b64 v[5:6], v1 offset:56
	s_waitcnt lgkmcnt(0)
	s_barrier
	buffer_gl0_inv
	ds_read_b128 v[1:4], v1 offset:13312
	v_cndmask_b32_e64 v8, v70, v22, s2
	v_cmp_eq_u32_e32 vcc_lo, 0, v0
	v_add_nc_u32_e32 v7, v5, v7
	v_add_nc_u32_e32 v8, v6, v8
	v_cndmask_b32_e32 v24, v7, v5, vcc_lo
	v_cndmask_b32_e32 v23, v8, v6, vcc_lo
	s_branch .LBB11_147
.LBB11_138:
	s_waitcnt lgkmcnt(0)
	v_mov_b32_dpp v1, v67 row_shr:1 row_mask:0xf bank_mask:0xf
	v_mov_b32_dpp v2, v68 row_shr:1 row_mask:0xf bank_mask:0xf
	v_cmp_lt_u32_e32 vcc_lo, 3, v64
	v_add_nc_u32_e32 v1, v1, v67
	v_add_nc_u32_e32 v2, v2, v68
	v_cndmask_b32_e64 v1, v1, v67, s1
	v_cndmask_b32_e64 v2, v2, v68, s1
	s_mov_b32 s1, exec_lo
	v_mov_b32_dpp v3, v1 row_shr:2 row_mask:0xf bank_mask:0xf
	v_mov_b32_dpp v4, v2 row_shr:2 row_mask:0xf bank_mask:0xf
	v_add_nc_u32_e32 v3, v1, v3
	v_add_nc_u32_e32 v4, v2, v4
	v_cndmask_b32_e64 v1, v1, v3, s0
	v_cndmask_b32_e64 v2, v2, v4, s0
	v_mov_b32_dpp v3, v1 row_shr:4 row_mask:0xf bank_mask:0xf
	v_mov_b32_dpp v4, v2 row_shr:4 row_mask:0xf bank_mask:0xf
	v_add_nc_u32_e32 v3, v1, v3
	v_add_nc_u32_e32 v4, v2, v4
	v_cndmask_b32_e32 v3, v1, v3, vcc_lo
	v_cndmask_b32_e32 v2, v2, v4, vcc_lo
	v_cmp_lt_u32_e32 vcc_lo, 7, v64
	v_mov_b32_dpp v1, v3 row_shr:8 row_mask:0xf bank_mask:0xf
	v_mov_b32_dpp v4, v2 row_shr:8 row_mask:0xf bank_mask:0xf
	v_add_nc_u32_e32 v5, v3, v1
	v_add_nc_u32_e32 v1, v2, v4
	v_cndmask_b32_e32 v1, v2, v1, vcc_lo
	v_cndmask_b32_e32 v2, v3, v5, vcc_lo
	v_cmp_eq_u32_e32 vcc_lo, 0, v66
	ds_swizzle_b32 v3, v1 offset:swizzle(BROADCAST,32,15)
	ds_swizzle_b32 v4, v2 offset:swizzle(BROADCAST,32,15)
	s_waitcnt lgkmcnt(1)
	v_add_nc_u32_e32 v3, v1, v3
	s_waitcnt lgkmcnt(0)
	v_add_nc_u32_e32 v4, v2, v4
	v_cmpx_eq_u32_e64 v0, v65
	s_cbranch_execz .LBB11_140
; %bb.139:
	v_cndmask_b32_e32 v5, v4, v2, vcc_lo
	v_cndmask_b32_e32 v6, v3, v1, vcc_lo
	v_lshlrev_b32_e32 v7, 3, v63
	ds_write_b64 v7, v[5:6]
.LBB11_140:
	s_or_b32 exec_lo, exec_lo, s1
	s_mov_b32 s1, exec_lo
	s_waitcnt lgkmcnt(0)
	s_barrier
	buffer_gl0_inv
	v_cmpx_gt_u32_e32 8, v0
	s_cbranch_execz .LBB11_142
; %bb.141:
	v_lshlrev_b32_e32 v7, 3, v0
	v_and_b32_e32 v22, 7, v62
	ds_read_b64 v[5:6], v7
	v_cmp_eq_u32_e64 s0, 0, v22
	s_waitcnt lgkmcnt(0)
	v_mov_b32_dpp v8, v5 row_shr:1 row_mask:0xf bank_mask:0xf
	v_mov_b32_dpp v21, v6 row_shr:1 row_mask:0xf bank_mask:0xf
	v_add_nc_u32_e32 v8, v8, v5
	v_add_nc_u32_e32 v21, v21, v6
	v_cndmask_b32_e64 v5, v8, v5, s0
	v_cndmask_b32_e64 v6, v21, v6, s0
	v_cmp_lt_u32_e64 s0, 1, v22
	v_mov_b32_dpp v8, v5 row_shr:2 row_mask:0xf bank_mask:0xf
	v_mov_b32_dpp v21, v6 row_shr:2 row_mask:0xf bank_mask:0xf
	v_add_nc_u32_e32 v8, v5, v8
	v_add_nc_u32_e32 v21, v6, v21
	v_cndmask_b32_e64 v5, v5, v8, s0
	v_cndmask_b32_e64 v6, v6, v21, s0
	v_cmp_lt_u32_e64 s0, 3, v22
	v_mov_b32_dpp v8, v5 row_shr:4 row_mask:0xf bank_mask:0xf
	v_mov_b32_dpp v21, v6 row_shr:4 row_mask:0xf bank_mask:0xf
	v_cndmask_b32_e64 v8, 0, v8, s0
	v_cndmask_b32_e64 v21, 0, v21, s0
	v_add_nc_u32_e32 v5, v8, v5
	v_add_nc_u32_e32 v6, v21, v6
	ds_write_b64 v7, v[5:6]
.LBB11_142:
	s_or_b32 exec_lo, exec_lo, s1
	v_mov_b32_e32 v7, 0
	v_mov_b32_e32 v5, 0
	v_mov_b32_e32 v6, 0
	s_mov_b32 s1, exec_lo
	s_waitcnt lgkmcnt(0)
	s_barrier
	buffer_gl0_inv
	v_cmpx_lt_u32_e32 31, v0
; %bb.143:
	v_lshl_add_u32 v5, v63, 3, -8
	ds_read_b64 v[5:6], v5
; %bb.144:
	s_or_b32 exec_lo, exec_lo, s1
	v_sub_co_u32 v8, s0, v62, 1
	v_cndmask_b32_e32 v2, v4, v2, vcc_lo
	v_cndmask_b32_e32 v1, v3, v1, vcc_lo
	v_cmp_eq_u32_e32 vcc_lo, 0, v0
	v_cmp_gt_i32_e64 s1, 0, v8
	s_waitcnt lgkmcnt(0)
	v_add_nc_u32_e32 v2, v5, v2
	v_add_nc_u32_e32 v1, v6, v1
	v_cndmask_b32_e64 v4, v8, v62, s1
	v_lshlrev_b32_e32 v3, 2, v4
	ds_bpermute_b32 v8, v3, v2
	ds_bpermute_b32 v21, v3, v1
	ds_read_b64 v[1:2], v7 offset:56
	s_and_saveexec_b32 s1, vcc_lo
	s_cbranch_execz .LBB11_146
; %bb.145:
	s_add_u32 s2, s4, 0x200
	s_addc_u32 s3, s5, 0
	v_mov_b32_e32 v3, 2
	v_mov_b32_e32 v23, s3
	;; [unrolled: 1-line block ×4, first 2 shown]
	s_waitcnt lgkmcnt(0)
	;;#ASMSTART
	global_store_dwordx4 v[22:23], v[1:4] off	
s_waitcnt vmcnt(0)
	;;#ASMEND
.LBB11_146:
	s_or_b32 exec_lo, exec_lo, s1
	s_waitcnt lgkmcnt(1)
	v_cndmask_b32_e64 v3, v21, v6, s0
	v_cndmask_b32_e64 v5, v8, v5, s0
	v_mov_b32_e32 v4, 0
	s_waitcnt lgkmcnt(0)
	s_barrier
	v_cndmask_b32_e64 v23, v3, 0, vcc_lo
	v_cndmask_b32_e64 v24, v5, 0, vcc_lo
	v_mov_b32_e32 v3, 0
	buffer_gl0_inv
.LBB11_147:
	v_add_nc_u32_e32 v61, v23, v61
	v_add_nc_u32_e32 v60, v24, v60
	s_waitcnt lgkmcnt(0)
	v_sub_nc_u32_e32 v23, v23, v4
	v_lshrrev_b32_e32 v26, 8, v36
	v_lshlrev_b32_e32 v66, 1, v1
	v_add_nc_u32_e32 v58, v61, v58
	v_sub_nc_u32_e32 v61, v61, v4
	v_add_nc_u32_e32 v57, v60, v57
	v_sub_nc_u32_e32 v24, v24, v3
	v_sub_nc_u32_e32 v60, v60, v3
	v_add_nc_u32_e32 v23, v23, v1
	v_add_nc_u32_e32 v61, v61, v1
	v_and_b32_e32 v26, 1, v26
	v_mov_b32_e32 v68, 1
	v_add3_u32 v29, v66, v2, v29
	v_add_nc_u32_e32 v73, v24, v23
	v_add_nc_u32_e32 v72, v61, v60
	v_cmp_eq_u32_e32 vcc_lo, 1, v26
	v_and_b32_sdwa v71, v68, v36 dst_sel:DWORD dst_unused:UNUSED_PAD src0_sel:DWORD src1_sel:WORD_1
	v_lshrrev_b32_e32 v25, 8, v30
	v_sub_nc_u32_e32 v73, v29, v73
	v_sub_nc_u32_e32 v72, v29, v72
	v_and_b32_e32 v67, 1, v30
	v_add_nc_u32_e32 v62, v58, v43
	v_and_b32_e32 v25, 1, v25
	v_cndmask_b32_e32 v23, v73, v23, vcc_lo
	v_add_nc_u32_e32 v72, 1, v72
	v_cmp_eq_u32_e32 vcc_lo, 1, v71
	v_sub_nc_u32_e32 v58, v58, v4
	v_add_nc_u32_e32 v59, v57, v59
	v_sub_nc_u32_e32 v57, v57, v3
	v_add_co_u32 v5, s0, s28, v3
	v_cndmask_b32_e32 v26, v72, v61, vcc_lo
	v_cmp_eq_u32_e32 vcc_lo, 1, v67
	v_add_nc_u32_e32 v58, v58, v1
	v_add_co_ci_u32_e64 v6, null, s29, 0, s0
	v_sub_co_u32 v64, s0, s30, v1
	v_cndmask_b32_e32 v67, v23, v24, vcc_lo
	v_cmp_eq_u32_e32 vcc_lo, 1, v25
	v_sub_co_ci_u32_e64 v65, null, s31, 0, s0
	v_and_b32_e32 v43, 1, v43
	v_add_nc_u32_e32 v56, v62, v56
	v_cndmask_b32_e32 v25, v26, v60, vcc_lo
	v_add_nc_u32_e32 v26, v58, v57
	v_add_co_u32 v23, vcc_lo, v64, v4
	v_add_co_ci_u32_e64 v24, null, 0, v65, vcc_lo
	v_sub_nc_u32_e32 v26, v29, v26
	v_sub_nc_u32_e32 v62, v62, v4
	v_and_b32_sdwa v30, v68, v30 dst_sel:DWORD dst_unused:UNUSED_PAD src0_sel:DWORD src1_sel:WORD_1
	v_cmp_eq_u32_e32 vcc_lo, 1, v43
	v_add_nc_u32_e32 v63, v59, v42
	v_add_nc_u32_e32 v26, 2, v26
	v_sub_nc_u32_e32 v59, v59, v3
	v_add_nc_u32_e32 v62, v62, v1
	v_add_nc_u32_e32 v55, v56, v55
	v_lshlrev_b32_e32 v60, 2, v67
	v_cndmask_b32_e32 v26, v26, v58, vcc_lo
	v_cmp_eq_u32_e32 vcc_lo, 1, v30
	v_lshlrev_b32_e32 v25, 2, v25
	v_sub_nc_u32_e32 v56, v56, v4
	v_add_nc_u32_e32 v43, v59, v62
	v_sub_nc_u32_e32 v58, v63, v3
	v_cndmask_b32_e32 v26, v26, v57, vcc_lo
	ds_write_b32 v60, v19
	v_add_nc_u32_e32 v56, v56, v1
	v_sub_nc_u32_e32 v19, v29, v43
	ds_write_b32 v25, v20
	v_lshlrev_b32_e32 v25, 2, v26
	v_and_b32_e32 v26, 1, v31
	v_lshrrev_b32_e32 v22, 8, v31
	v_add_nc_u32_e32 v54, v63, v54
	v_add_nc_u32_e32 v20, v58, v56
	;; [unrolled: 1-line block ×3, first 2 shown]
	v_and_b32_e32 v30, 1, v42
	v_sub_nc_u32_e32 v42, v55, v4
	v_cmp_eq_u32_e32 vcc_lo, 1, v26
	v_sub_nc_u32_e32 v20, v29, v20
	v_and_b32_e32 v22, 1, v22
	v_sub_nc_u32_e32 v26, v54, v3
	v_add_nc_u32_e32 v42, v42, v1
	v_cndmask_b32_e32 v19, v19, v62, vcc_lo
	v_cmp_eq_u32_e32 vcc_lo, 1, v30
	v_add_nc_u32_e32 v20, 4, v20
	v_and_b32_e32 v30, 1, v32
	v_add_nc_u32_e32 v43, v26, v42
	v_lshrrev_b32_e32 v21, 8, v32
	v_cndmask_b32_e32 v19, v19, v59, vcc_lo
	v_cmp_eq_u32_e32 vcc_lo, 1, v22
	v_add_nc_u32_e32 v53, v55, v53
	ds_write_b32 v25, v17
	v_and_b32_sdwa v25, v68, v31 dst_sel:DWORD dst_unused:UNUSED_PAD src0_sel:DWORD src1_sel:WORD_1
	v_lshlrev_b32_e32 v17, 2, v19
	v_cndmask_b32_e32 v20, v20, v56, vcc_lo
	v_sub_nc_u32_e32 v19, v29, v43
	v_cmp_eq_u32_e32 vcc_lo, 1, v30
	v_add_nc_u32_e32 v52, v54, v52
	v_add_nc_u32_e32 v69, v53, v41
	v_and_b32_e32 v21, 1, v21
	v_sub_nc_u32_e32 v22, v53, v4
	v_cndmask_b32_e32 v20, v20, v58, vcc_lo
	v_add_nc_u32_e32 v19, 5, v19
	v_cmp_eq_u32_e32 vcc_lo, 1, v25
	v_add_nc_u32_e32 v46, v52, v46
	v_sub_nc_u32_e32 v30, v52, v3
	v_sub_nc_u32_e32 v31, v69, v4
	v_add_nc_u32_e32 v22, v22, v1
	v_cndmask_b32_e32 v19, v19, v42, vcc_lo
	v_cmp_eq_u32_e32 vcc_lo, 1, v21
	v_sub_nc_u32_e32 v25, v46, v3
	v_add_nc_u32_e32 v31, v31, v1
	v_lshlrev_b32_e32 v20, 2, v20
	v_add_nc_u32_e32 v42, v30, v22
	v_cndmask_b32_e32 v19, v19, v26, vcc_lo
	ds_write_b32 v17, v18
	v_add_nc_u32_e32 v21, v25, v31
	ds_write_b32 v20, v15
	v_sub_nc_u32_e32 v17, v29, v42
	v_lshlrev_b32_e32 v15, 2, v19
	v_and_b32_e32 v19, 1, v41
	v_sub_nc_u32_e32 v18, v29, v21
	v_and_b32_e32 v21, 1, v33
	v_add_nc_u32_e32 v17, 6, v17
	v_add_nc_u32_e32 v51, v69, v51
	v_cmp_eq_u32_e32 vcc_lo, 1, v19
	v_and_b32_sdwa v20, v68, v32 dst_sel:DWORD dst_unused:UNUSED_PAD src0_sel:DWORD src1_sel:WORD_1
	v_add_nc_u32_e32 v18, 7, v18
	v_add_nc_u32_e32 v70, v46, v40
	v_sub_nc_u32_e32 v19, v51, v4
	v_cndmask_b32_e32 v17, v17, v22, vcc_lo
	v_cmp_eq_u32_e32 vcc_lo, 1, v21
	v_and_b32_e32 v22, 1, v40
	v_add_nc_u32_e32 v50, v51, v50
	v_sub_nc_u32_e32 v21, v70, v3
	v_add_nc_u32_e32 v19, v19, v1
	v_cndmask_b32_e32 v18, v18, v31, vcc_lo
	v_cmp_eq_u32_e32 vcc_lo, 1, v20
	v_lshrrev_b32_e32 v8, 8, v33
	v_add_nc_u32_e32 v49, v70, v49
	v_add_nc_u32_e32 v20, v21, v19
	ds_write_b32 v15, v16
	v_cndmask_b32_e32 v17, v17, v30, vcc_lo
	v_cmp_eq_u32_e32 vcc_lo, 1, v22
	v_sub_nc_u32_e32 v15, v50, v4
	v_add_nc_u32_e32 v48, v50, v48
	v_and_b32_e32 v8, 1, v8
	v_lshlrev_b32_e32 v16, 2, v17
	v_cndmask_b32_e32 v18, v18, v25, vcc_lo
	v_add_nc_u32_e32 v15, v15, v1
	v_add_nc_u32_e32 v47, v49, v47
	v_cmp_eq_u32_e32 vcc_lo, 1, v8
	v_lshrrev_b32_e32 v7, 8, v35
	v_lshlrev_b32_e32 v17, 2, v18
	v_sub_nc_u32_e32 v18, v29, v20
	v_sub_nc_u32_e32 v20, v49, v3
	ds_write_b32 v16, v13
	ds_write_b32 v17, v14
	v_and_b32_e32 v16, 1, v35
	v_add_nc_u32_e32 v13, 8, v18
	v_add_nc_u32_e32 v14, v20, v15
	v_sub_nc_u32_e32 v17, v48, v4
	v_add_nc_u32_e32 v74, v48, v39
	v_add_nc_u32_e32 v45, v47, v45
	v_cndmask_b32_e32 v8, v13, v19, vcc_lo
	v_sub_nc_u32_e32 v13, v29, v14
	v_sub_nc_u32_e32 v14, v47, v3
	v_add_nc_u32_e32 v17, v17, v1
	v_cmp_eq_u32_e32 vcc_lo, 1, v16
	v_and_b32_sdwa v16, v68, v33 dst_sel:DWORD dst_unused:UNUSED_PAD src0_sel:DWORD src1_sel:WORD_1
	v_add_nc_u32_e32 v44, v74, v44
	v_add_nc_u32_e32 v13, 9, v13
	v_and_b32_e32 v7, 1, v7
	v_cndmask_b32_e32 v8, v8, v21, vcc_lo
	v_add_nc_u32_e32 v18, v14, v17
	v_sub_nc_u32_e32 v19, v74, v4
	v_cmp_eq_u32_e32 vcc_lo, 1, v16
	v_add_nc_u32_e32 v61, v45, v38
	v_and_b32_e32 v25, 1, v37
	v_sub_nc_u32_e32 v16, v29, v18
	v_sub_nc_u32_e32 v18, v45, v3
	v_cndmask_b32_e32 v13, v13, v15, vcc_lo
	v_sub_nc_u32_e32 v15, v44, v4
	v_add_nc_u32_e32 v19, v19, v1
	v_cmp_eq_u32_e32 vcc_lo, 1, v7
	v_sub_nc_u32_e32 v3, v61, v3
	v_add_nc_u32_e32 v16, 10, v16
	v_add_nc_u32_e32 v15, v15, v1
	v_and_b32_sdwa v22, v68, v35 dst_sel:DWORD dst_unused:UNUSED_PAD src0_sel:DWORD src1_sel:WORD_1
	v_cndmask_b32_e32 v7, v13, v20, vcc_lo
	v_add_nc_u32_e32 v13, v18, v19
	v_and_b32_e32 v20, 1, v39
	v_add_nc_u32_e32 v21, v3, v15
	v_lshlrev_b32_e32 v8, 2, v8
	v_lshlrev_b32_e32 v7, 2, v7
	v_sub_nc_u32_e32 v13, v29, v13
	v_cmp_eq_u32_e32 vcc_lo, 1, v20
	v_and_b32_e32 v20, 1, v34
	v_add_nc_u32_e32 v13, 11, v13
	v_cndmask_b32_e32 v16, v16, v17, vcc_lo
	v_sub_nc_u32_e32 v17, v29, v21
	v_cmp_eq_u32_e32 vcc_lo, 1, v20
	v_and_b32_e32 v21, 1, v38
	v_add_nc_u32_e32 v17, 12, v17
	v_cndmask_b32_e32 v13, v13, v19, vcc_lo
	v_cmp_eq_u32_e32 vcc_lo, 1, v25
	v_and_b32_e32 v19, 1, v36
	v_cndmask_b32_e32 v15, v17, v15, vcc_lo
	v_cmp_eq_u32_e32 vcc_lo, 1, v22
	v_cndmask_b32_e32 v14, v16, v14, vcc_lo
	v_cmp_eq_u32_e32 vcc_lo, 1, v21
	v_lshlrev_b32_e32 v14, 2, v14
	v_cndmask_b32_e32 v13, v13, v18, vcc_lo
	v_cmp_eq_u32_e32 vcc_lo, 1, v19
	v_lshlrev_b32_e32 v13, 2, v13
	v_cndmask_b32_e32 v3, v15, v3, vcc_lo
	v_lshlrev_b32_e32 v3, 2, v3
	ds_write_b32 v8, v11
	ds_write_b32 v7, v12
	;; [unrolled: 1-line block ×5, first 2 shown]
	v_add_co_u32 v3, s0, v2, v66
	v_add_co_ci_u32_e64 v7, null, 0, 0, s0
	s_add_u32 s0, s34, s42
	v_add_co_u32 v3, vcc_lo, v3, v23
	v_add_co_ci_u32_e64 v7, null, v7, v24, vcc_lo
	s_addc_u32 s1, s35, 0
	v_add_co_u32 v3, vcc_lo, v3, v5
	v_add_co_ci_u32_e64 v9, null, v7, v6, vcc_lo
	v_lshlrev_b64 v[7:8], 2, v[23:24]
	v_sub_co_u32 v3, vcc_lo, s0, v3
	v_sub_co_ci_u32_e64 v11, null, s1, v9, vcc_lo
	v_lshlrev_b64 v[9:10], 2, v[5:6]
	v_add_co_u32 v7, vcc_lo, s38, v7
	v_add_co_ci_u32_e64 v8, null, s39, v8, vcc_lo
	v_cmp_ne_u32_e32 vcc_lo, 1, v27
	v_add_co_u32 v9, s0, s36, v9
	v_add_nc_u32_e32 v12, v1, v2
	v_add_co_ci_u32_e64 v10, null, s37, v10, s0
	s_and_b32 vcc_lo, exec_lo, vcc_lo
	s_mov_b32 s0, -1
	s_waitcnt lgkmcnt(0)
	s_barrier
	buffer_gl0_inv
	s_cbranch_vccz .LBB11_151
; %bb.148:
	s_and_b32 vcc_lo, exec_lo, s0
	s_cbranch_vccnz .LBB11_256
.LBB11_149:
	v_cmp_eq_u32_e32 vcc_lo, 0, v0
	s_and_b32 s0, vcc_lo, s33
	s_and_saveexec_b32 s1, s0
	s_cbranch_execnz .LBB11_374
.LBB11_150:
	s_endpgm
.LBB11_151:
	s_mov_b32 s0, exec_lo
	v_cmpx_ge_u32_e64 v0, v1
	s_xor_b32 s0, exec_lo, s0
	s_cbranch_execz .LBB11_157
; %bb.152:
	s_mov_b32 s1, exec_lo
	v_cmpx_ge_u32_e64 v0, v12
	s_xor_b32 s1, exec_lo, s1
	s_cbranch_execz .LBB11_154
; %bb.153:
	v_lshlrev_b32_e32 v13, 2, v0
	ds_read_b32 v15, v13
	v_add_co_u32 v13, vcc_lo, v3, v0
	v_add_co_ci_u32_e64 v14, null, 0, v11, vcc_lo
	v_lshlrev_b64 v[13:14], 2, v[13:14]
	v_sub_co_u32 v13, vcc_lo, s26, v13
	v_sub_co_ci_u32_e64 v14, null, s27, v14, vcc_lo
	s_waitcnt lgkmcnt(0)
	global_store_dword v[13:14], v15, off offset:-4
.LBB11_154:
	s_andn2_saveexec_b32 s1, s1
	s_cbranch_execz .LBB11_156
; %bb.155:
	v_lshlrev_b32_e32 v13, 2, v0
	v_readfirstlane_b32 s2, v7
	v_readfirstlane_b32 s3, v8
	ds_read_b32 v14, v13
	s_waitcnt lgkmcnt(0)
	global_store_dword v13, v14, s[2:3]
.LBB11_156:
	s_or_b32 exec_lo, exec_lo, s1
.LBB11_157:
	s_andn2_saveexec_b32 s0, s0
	s_cbranch_execz .LBB11_159
; %bb.158:
	v_lshlrev_b32_e32 v13, 2, v0
	v_readfirstlane_b32 s2, v9
	v_readfirstlane_b32 s3, v10
	ds_read_b32 v14, v13
	s_waitcnt lgkmcnt(0)
	global_store_dword v13, v14, s[2:3]
.LBB11_159:
	s_or_b32 exec_lo, exec_lo, s0
	v_or_b32_e32 v13, 0x100, v0
	s_mov_b32 s0, exec_lo
	v_cmpx_ge_u32_e64 v13, v1
	s_xor_b32 s0, exec_lo, s0
	s_cbranch_execz .LBB11_165
; %bb.160:
	s_mov_b32 s1, exec_lo
	v_cmpx_ge_u32_e64 v13, v12
	s_xor_b32 s1, exec_lo, s1
	s_cbranch_execz .LBB11_162
; %bb.161:
	v_lshlrev_b32_e32 v13, 2, v0
	ds_read_b32 v15, v13 offset:1024
	v_add_co_u32 v13, vcc_lo, v3, v0
	v_add_co_ci_u32_e64 v14, null, 0, v11, vcc_lo
	v_lshlrev_b64 v[13:14], 2, v[13:14]
	v_sub_co_u32 v13, vcc_lo, s26, v13
	v_sub_co_ci_u32_e64 v14, null, s27, v14, vcc_lo
	s_waitcnt lgkmcnt(0)
	global_store_dword v[13:14], v15, off offset:-1028
.LBB11_162:
	s_andn2_saveexec_b32 s1, s1
	s_cbranch_execz .LBB11_164
; %bb.163:
	v_lshlrev_b32_e32 v13, 2, v0
	v_readfirstlane_b32 s2, v7
	v_readfirstlane_b32 s3, v8
	ds_read_b32 v14, v13 offset:1024
	s_waitcnt lgkmcnt(0)
	global_store_dword v13, v14, s[2:3] offset:1024
.LBB11_164:
	s_or_b32 exec_lo, exec_lo, s1
.LBB11_165:
	s_andn2_saveexec_b32 s0, s0
	s_cbranch_execz .LBB11_167
; %bb.166:
	v_lshlrev_b32_e32 v13, 2, v0
	v_readfirstlane_b32 s2, v9
	v_readfirstlane_b32 s3, v10
	ds_read_b32 v14, v13 offset:1024
	s_waitcnt lgkmcnt(0)
	global_store_dword v13, v14, s[2:3] offset:1024
.LBB11_167:
	s_or_b32 exec_lo, exec_lo, s0
	v_or_b32_e32 v13, 0x200, v0
	s_mov_b32 s0, exec_lo
	v_cmpx_ge_u32_e64 v13, v1
	s_xor_b32 s0, exec_lo, s0
	s_cbranch_execz .LBB11_173
; %bb.168:
	s_mov_b32 s1, exec_lo
	v_cmpx_ge_u32_e64 v13, v12
	s_xor_b32 s1, exec_lo, s1
	s_cbranch_execz .LBB11_170
; %bb.169:
	v_lshlrev_b32_e32 v15, 2, v0
	v_add_co_u32 v13, vcc_lo, v3, v0
	v_add_co_ci_u32_e64 v14, null, 0, v11, vcc_lo
	ds_read_b32 v15, v15 offset:2048
	v_lshlrev_b64 v[13:14], 2, v[13:14]
	v_sub_co_u32 v13, vcc_lo, s26, v13
	v_sub_co_ci_u32_e64 v14, null, s27, v14, vcc_lo
	v_add_co_u32 v13, vcc_lo, 0xfffff800, v13
	v_add_co_ci_u32_e64 v14, null, -1, v14, vcc_lo
	s_waitcnt lgkmcnt(0)
	global_store_dword v[13:14], v15, off offset:-4
                                        ; implicit-def: $vgpr13
.LBB11_170:
	s_andn2_saveexec_b32 s1, s1
	s_cbranch_execz .LBB11_172
; %bb.171:
	v_lshlrev_b32_e32 v14, 2, v0
	v_lshlrev_b32_e32 v13, 2, v13
	v_readfirstlane_b32 s2, v7
	v_readfirstlane_b32 s3, v8
	ds_read_b32 v14, v14 offset:2048
	s_waitcnt lgkmcnt(0)
	global_store_dword v13, v14, s[2:3]
.LBB11_172:
	s_or_b32 exec_lo, exec_lo, s1
                                        ; implicit-def: $vgpr13
.LBB11_173:
	s_andn2_saveexec_b32 s0, s0
	s_cbranch_execz .LBB11_175
; %bb.174:
	v_lshlrev_b32_e32 v14, 2, v0
	v_lshlrev_b32_e32 v13, 2, v13
	v_readfirstlane_b32 s2, v9
	v_readfirstlane_b32 s3, v10
	ds_read_b32 v14, v14 offset:2048
	s_waitcnt lgkmcnt(0)
	global_store_dword v13, v14, s[2:3]
.LBB11_175:
	s_or_b32 exec_lo, exec_lo, s0
	v_or_b32_e32 v13, 0x300, v0
	s_mov_b32 s0, exec_lo
	v_cmpx_ge_u32_e64 v13, v1
	s_xor_b32 s0, exec_lo, s0
	s_cbranch_execz .LBB11_181
; %bb.176:
	s_mov_b32 s1, exec_lo
	v_cmpx_ge_u32_e64 v13, v12
	s_xor_b32 s1, exec_lo, s1
	s_cbranch_execz .LBB11_178
; %bb.177:
	v_lshlrev_b32_e32 v14, 2, v0
	v_add_co_u32 v13, vcc_lo, v3, v13
	ds_read_b32 v15, v14 offset:3072
	v_add_co_ci_u32_e64 v14, null, 0, v11, vcc_lo
	v_lshlrev_b64 v[13:14], 2, v[13:14]
	v_sub_co_u32 v13, vcc_lo, s26, v13
	v_sub_co_ci_u32_e64 v14, null, s27, v14, vcc_lo
	s_waitcnt lgkmcnt(0)
	global_store_dword v[13:14], v15, off offset:-4
                                        ; implicit-def: $vgpr13
.LBB11_178:
	s_andn2_saveexec_b32 s1, s1
	s_cbranch_execz .LBB11_180
; %bb.179:
	v_lshlrev_b32_e32 v14, 2, v0
	v_lshlrev_b32_e32 v13, 2, v13
	v_readfirstlane_b32 s2, v7
	v_readfirstlane_b32 s3, v8
	ds_read_b32 v14, v14 offset:3072
	s_waitcnt lgkmcnt(0)
	global_store_dword v13, v14, s[2:3]
.LBB11_180:
	s_or_b32 exec_lo, exec_lo, s1
                                        ; implicit-def: $vgpr13
.LBB11_181:
	s_andn2_saveexec_b32 s0, s0
	s_cbranch_execz .LBB11_183
; %bb.182:
	v_lshlrev_b32_e32 v14, 2, v0
	v_lshlrev_b32_e32 v13, 2, v13
	v_readfirstlane_b32 s2, v9
	v_readfirstlane_b32 s3, v10
	ds_read_b32 v14, v14 offset:3072
	s_waitcnt lgkmcnt(0)
	global_store_dword v13, v14, s[2:3]
.LBB11_183:
	s_or_b32 exec_lo, exec_lo, s0
	v_or_b32_e32 v13, 0x400, v0
	s_mov_b32 s0, exec_lo
	v_cmpx_ge_u32_e64 v13, v1
	s_xor_b32 s0, exec_lo, s0
	s_cbranch_execz .LBB11_189
; %bb.184:
	s_mov_b32 s1, exec_lo
	v_cmpx_ge_u32_e64 v13, v12
	s_xor_b32 s1, exec_lo, s1
	s_cbranch_execz .LBB11_186
; %bb.185:
	v_lshlrev_b32_e32 v14, 2, v0
	v_add_co_u32 v13, vcc_lo, v3, v13
	ds_read_b32 v15, v14 offset:4096
	v_add_co_ci_u32_e64 v14, null, 0, v11, vcc_lo
	v_lshlrev_b64 v[13:14], 2, v[13:14]
	v_sub_co_u32 v13, vcc_lo, s26, v13
	v_sub_co_ci_u32_e64 v14, null, s27, v14, vcc_lo
	s_waitcnt lgkmcnt(0)
	global_store_dword v[13:14], v15, off offset:-4
                                        ; implicit-def: $vgpr13
.LBB11_186:
	s_andn2_saveexec_b32 s1, s1
	s_cbranch_execz .LBB11_188
; %bb.187:
	v_lshlrev_b32_e32 v14, 2, v0
	v_lshlrev_b32_e32 v13, 2, v13
	v_readfirstlane_b32 s2, v7
	v_readfirstlane_b32 s3, v8
	ds_read_b32 v14, v14 offset:4096
	s_waitcnt lgkmcnt(0)
	global_store_dword v13, v14, s[2:3]
.LBB11_188:
	s_or_b32 exec_lo, exec_lo, s1
                                        ; implicit-def: $vgpr13
.LBB11_189:
	;; [unrolled: 48-line block ×10, first 2 shown]
	s_andn2_saveexec_b32 s0, s0
	s_cbranch_execz .LBB11_255
; %bb.254:
	v_lshlrev_b32_e32 v14, 2, v0
	v_lshlrev_b32_e32 v13, 2, v13
	v_readfirstlane_b32 s2, v9
	v_readfirstlane_b32 s3, v10
	ds_read_b32 v14, v14 offset:12288
	s_waitcnt lgkmcnt(0)
	global_store_dword v13, v14, s[2:3]
.LBB11_255:
	s_or_b32 exec_lo, exec_lo, s0
	s_branch .LBB11_149
.LBB11_256:
	s_mov_b32 s0, exec_lo
	v_cmpx_gt_u32_e64 s7, v0
	s_cbranch_execz .LBB11_265
; %bb.257:
	s_mov_b32 s1, exec_lo
	v_cmpx_ge_u32_e64 v0, v1
	s_xor_b32 s1, exec_lo, s1
	s_cbranch_execz .LBB11_263
; %bb.258:
	s_mov_b32 s2, exec_lo
	v_cmpx_ge_u32_e64 v0, v12
	s_xor_b32 s2, exec_lo, s2
	s_cbranch_execz .LBB11_260
; %bb.259:
	v_lshlrev_b32_e32 v13, 2, v0
	ds_read_b32 v15, v13
	v_add_co_u32 v13, vcc_lo, v3, v0
	v_add_co_ci_u32_e64 v14, null, 0, v11, vcc_lo
	v_lshlrev_b64 v[13:14], 2, v[13:14]
	v_sub_co_u32 v13, vcc_lo, s26, v13
	v_sub_co_ci_u32_e64 v14, null, s27, v14, vcc_lo
	s_waitcnt lgkmcnt(0)
	global_store_dword v[13:14], v15, off offset:-4
.LBB11_260:
	s_andn2_saveexec_b32 s2, s2
	s_cbranch_execz .LBB11_262
; %bb.261:
	v_lshlrev_b32_e32 v13, 2, v0
	v_readfirstlane_b32 s4, v7
	v_readfirstlane_b32 s5, v8
	ds_read_b32 v14, v13
	s_waitcnt lgkmcnt(0)
	global_store_dword v13, v14, s[4:5]
.LBB11_262:
	s_or_b32 exec_lo, exec_lo, s2
.LBB11_263:
	s_andn2_saveexec_b32 s1, s1
	s_cbranch_execz .LBB11_265
; %bb.264:
	v_lshlrev_b32_e32 v13, 2, v0
	v_readfirstlane_b32 s2, v9
	v_readfirstlane_b32 s3, v10
	ds_read_b32 v14, v13
	s_waitcnt lgkmcnt(0)
	global_store_dword v13, v14, s[2:3]
.LBB11_265:
	s_or_b32 exec_lo, exec_lo, s0
	v_or_b32_e32 v13, 0x100, v0
	s_mov_b32 s0, exec_lo
	v_cmpx_gt_u32_e64 s7, v13
	s_cbranch_execz .LBB11_274
; %bb.266:
	s_mov_b32 s1, exec_lo
	v_cmpx_ge_u32_e64 v13, v1
	s_xor_b32 s1, exec_lo, s1
	s_cbranch_execz .LBB11_272
; %bb.267:
	s_mov_b32 s2, exec_lo
	v_cmpx_ge_u32_e64 v13, v12
	s_xor_b32 s2, exec_lo, s2
	s_cbranch_execz .LBB11_269
; %bb.268:
	v_lshlrev_b32_e32 v13, 2, v0
	ds_read_b32 v15, v13 offset:1024
	v_add_co_u32 v13, vcc_lo, v3, v0
	v_add_co_ci_u32_e64 v14, null, 0, v11, vcc_lo
	v_lshlrev_b64 v[13:14], 2, v[13:14]
	v_sub_co_u32 v13, vcc_lo, s26, v13
	v_sub_co_ci_u32_e64 v14, null, s27, v14, vcc_lo
	s_waitcnt lgkmcnt(0)
	global_store_dword v[13:14], v15, off offset:-1028
.LBB11_269:
	s_andn2_saveexec_b32 s2, s2
	s_cbranch_execz .LBB11_271
; %bb.270:
	v_lshlrev_b32_e32 v13, 2, v0
	v_readfirstlane_b32 s4, v7
	v_readfirstlane_b32 s5, v8
	ds_read_b32 v14, v13 offset:1024
	s_waitcnt lgkmcnt(0)
	global_store_dword v13, v14, s[4:5] offset:1024
.LBB11_271:
	s_or_b32 exec_lo, exec_lo, s2
.LBB11_272:
	s_andn2_saveexec_b32 s1, s1
	s_cbranch_execz .LBB11_274
; %bb.273:
	v_lshlrev_b32_e32 v13, 2, v0
	v_readfirstlane_b32 s2, v9
	v_readfirstlane_b32 s3, v10
	ds_read_b32 v14, v13 offset:1024
	s_waitcnt lgkmcnt(0)
	global_store_dword v13, v14, s[2:3] offset:1024
.LBB11_274:
	s_or_b32 exec_lo, exec_lo, s0
	v_or_b32_e32 v13, 0x200, v0
	s_mov_b32 s0, exec_lo
	v_cmpx_gt_u32_e64 s7, v13
	s_cbranch_execz .LBB11_283
; %bb.275:
	s_mov_b32 s1, exec_lo
	v_cmpx_ge_u32_e64 v13, v1
	s_xor_b32 s1, exec_lo, s1
	s_cbranch_execz .LBB11_281
; %bb.276:
	s_mov_b32 s2, exec_lo
	v_cmpx_ge_u32_e64 v13, v12
	s_xor_b32 s2, exec_lo, s2
	s_cbranch_execz .LBB11_278
; %bb.277:
	v_lshlrev_b32_e32 v15, 2, v0
	v_add_co_u32 v13, vcc_lo, v3, v0
	v_add_co_ci_u32_e64 v14, null, 0, v11, vcc_lo
	ds_read_b32 v15, v15 offset:2048
	v_lshlrev_b64 v[13:14], 2, v[13:14]
	v_sub_co_u32 v13, vcc_lo, s26, v13
	v_sub_co_ci_u32_e64 v14, null, s27, v14, vcc_lo
	v_add_co_u32 v13, vcc_lo, 0xfffff800, v13
	v_add_co_ci_u32_e64 v14, null, -1, v14, vcc_lo
	s_waitcnt lgkmcnt(0)
	global_store_dword v[13:14], v15, off offset:-4
                                        ; implicit-def: $vgpr13
.LBB11_278:
	s_andn2_saveexec_b32 s2, s2
	s_cbranch_execz .LBB11_280
; %bb.279:
	v_lshlrev_b32_e32 v14, 2, v0
	v_lshlrev_b32_e32 v13, 2, v13
	v_readfirstlane_b32 s4, v7
	v_readfirstlane_b32 s5, v8
	ds_read_b32 v14, v14 offset:2048
	s_waitcnt lgkmcnt(0)
	global_store_dword v13, v14, s[4:5]
.LBB11_280:
	s_or_b32 exec_lo, exec_lo, s2
                                        ; implicit-def: $vgpr13
.LBB11_281:
	s_andn2_saveexec_b32 s1, s1
	s_cbranch_execz .LBB11_283
; %bb.282:
	v_lshlrev_b32_e32 v14, 2, v0
	v_lshlrev_b32_e32 v13, 2, v13
	v_readfirstlane_b32 s2, v9
	v_readfirstlane_b32 s3, v10
	ds_read_b32 v14, v14 offset:2048
	s_waitcnt lgkmcnt(0)
	global_store_dword v13, v14, s[2:3]
.LBB11_283:
	s_or_b32 exec_lo, exec_lo, s0
	v_or_b32_e32 v13, 0x300, v0
	s_mov_b32 s0, exec_lo
	v_cmpx_gt_u32_e64 s7, v13
	s_cbranch_execz .LBB11_292
; %bb.284:
	s_mov_b32 s1, exec_lo
	v_cmpx_ge_u32_e64 v13, v1
	s_xor_b32 s1, exec_lo, s1
	s_cbranch_execz .LBB11_290
; %bb.285:
	s_mov_b32 s2, exec_lo
	v_cmpx_ge_u32_e64 v13, v12
	s_xor_b32 s2, exec_lo, s2
	s_cbranch_execz .LBB11_287
; %bb.286:
	v_lshlrev_b32_e32 v14, 2, v0
	v_add_co_u32 v13, vcc_lo, v3, v13
	ds_read_b32 v15, v14 offset:3072
	v_add_co_ci_u32_e64 v14, null, 0, v11, vcc_lo
	v_lshlrev_b64 v[13:14], 2, v[13:14]
	v_sub_co_u32 v13, vcc_lo, s26, v13
	v_sub_co_ci_u32_e64 v14, null, s27, v14, vcc_lo
	s_waitcnt lgkmcnt(0)
	global_store_dword v[13:14], v15, off offset:-4
                                        ; implicit-def: $vgpr13
.LBB11_287:
	s_andn2_saveexec_b32 s2, s2
	s_cbranch_execz .LBB11_289
; %bb.288:
	v_lshlrev_b32_e32 v14, 2, v0
	v_lshlrev_b32_e32 v13, 2, v13
	v_readfirstlane_b32 s4, v7
	v_readfirstlane_b32 s5, v8
	ds_read_b32 v14, v14 offset:3072
	s_waitcnt lgkmcnt(0)
	global_store_dword v13, v14, s[4:5]
.LBB11_289:
	s_or_b32 exec_lo, exec_lo, s2
                                        ; implicit-def: $vgpr13
.LBB11_290:
	s_andn2_saveexec_b32 s1, s1
	s_cbranch_execz .LBB11_292
; %bb.291:
	v_lshlrev_b32_e32 v14, 2, v0
	v_lshlrev_b32_e32 v13, 2, v13
	v_readfirstlane_b32 s2, v9
	v_readfirstlane_b32 s3, v10
	ds_read_b32 v14, v14 offset:3072
	s_waitcnt lgkmcnt(0)
	global_store_dword v13, v14, s[2:3]
.LBB11_292:
	s_or_b32 exec_lo, exec_lo, s0
	v_or_b32_e32 v13, 0x400, v0
	s_mov_b32 s0, exec_lo
	v_cmpx_gt_u32_e64 s7, v13
	s_cbranch_execz .LBB11_301
; %bb.293:
	s_mov_b32 s1, exec_lo
	v_cmpx_ge_u32_e64 v13, v1
	s_xor_b32 s1, exec_lo, s1
	s_cbranch_execz .LBB11_299
; %bb.294:
	s_mov_b32 s2, exec_lo
	v_cmpx_ge_u32_e64 v13, v12
	s_xor_b32 s2, exec_lo, s2
	s_cbranch_execz .LBB11_296
; %bb.295:
	v_lshlrev_b32_e32 v14, 2, v0
	v_add_co_u32 v13, vcc_lo, v3, v13
	ds_read_b32 v15, v14 offset:4096
	v_add_co_ci_u32_e64 v14, null, 0, v11, vcc_lo
	v_lshlrev_b64 v[13:14], 2, v[13:14]
	v_sub_co_u32 v13, vcc_lo, s26, v13
	v_sub_co_ci_u32_e64 v14, null, s27, v14, vcc_lo
	s_waitcnt lgkmcnt(0)
	global_store_dword v[13:14], v15, off offset:-4
                                        ; implicit-def: $vgpr13
.LBB11_296:
	s_andn2_saveexec_b32 s2, s2
	s_cbranch_execz .LBB11_298
; %bb.297:
	v_lshlrev_b32_e32 v14, 2, v0
	v_lshlrev_b32_e32 v13, 2, v13
	v_readfirstlane_b32 s4, v7
	v_readfirstlane_b32 s5, v8
	ds_read_b32 v14, v14 offset:4096
	s_waitcnt lgkmcnt(0)
	global_store_dword v13, v14, s[4:5]
.LBB11_298:
	s_or_b32 exec_lo, exec_lo, s2
                                        ; implicit-def: $vgpr13
.LBB11_299:
	s_andn2_saveexec_b32 s1, s1
	s_cbranch_execz .LBB11_301
; %bb.300:
	v_lshlrev_b32_e32 v14, 2, v0
	v_lshlrev_b32_e32 v13, 2, v13
	v_readfirstlane_b32 s2, v9
	v_readfirstlane_b32 s3, v10
	ds_read_b32 v14, v14 offset:4096
	s_waitcnt lgkmcnt(0)
	global_store_dword v13, v14, s[2:3]
.LBB11_301:
	;; [unrolled: 52-line block ×9, first 2 shown]
	s_or_b32 exec_lo, exec_lo, s0
	v_or_b32_e32 v13, 0xc00, v0
	s_mov_b32 s0, exec_lo
	v_cmpx_gt_u32_e64 s7, v13
	s_cbranch_execz .LBB11_373
; %bb.365:
	s_mov_b32 s1, exec_lo
	v_cmpx_ge_u32_e64 v13, v1
	s_xor_b32 s1, exec_lo, s1
	s_cbranch_execz .LBB11_371
; %bb.366:
	s_mov_b32 s2, exec_lo
	v_cmpx_ge_u32_e64 v13, v12
	s_xor_b32 s2, exec_lo, s2
	s_cbranch_execz .LBB11_368
; %bb.367:
	v_lshlrev_b32_e32 v7, 2, v0
	ds_read_b32 v9, v7 offset:12288
	v_add_co_u32 v7, vcc_lo, v3, v13
	v_add_co_ci_u32_e64 v8, null, 0, v11, vcc_lo
                                        ; implicit-def: $vgpr13
	v_lshlrev_b64 v[7:8], 2, v[7:8]
	v_sub_co_u32 v7, vcc_lo, s26, v7
	v_sub_co_ci_u32_e64 v8, null, s27, v8, vcc_lo
	s_waitcnt lgkmcnt(0)
	global_store_dword v[7:8], v9, off offset:-4
                                        ; implicit-def: $vgpr7_vgpr8
.LBB11_368:
	s_andn2_saveexec_b32 s2, s2
	s_cbranch_execz .LBB11_370
; %bb.369:
	v_lshlrev_b32_e32 v3, 2, v0
	v_lshlrev_b32_e32 v9, 2, v13
	v_readfirstlane_b32 s4, v7
	v_readfirstlane_b32 s5, v8
	ds_read_b32 v3, v3 offset:12288
	s_waitcnt lgkmcnt(0)
	global_store_dword v9, v3, s[4:5]
.LBB11_370:
	s_or_b32 exec_lo, exec_lo, s2
                                        ; implicit-def: $vgpr13
                                        ; implicit-def: $vgpr9_vgpr10
.LBB11_371:
	s_andn2_saveexec_b32 s1, s1
	s_cbranch_execz .LBB11_373
; %bb.372:
	v_lshlrev_b32_e32 v3, 2, v0
	v_lshlrev_b32_e32 v7, 2, v13
	v_readfirstlane_b32 s2, v9
	v_readfirstlane_b32 s3, v10
	ds_read_b32 v3, v3 offset:12288
	s_waitcnt lgkmcnt(0)
	global_store_dword v7, v3, s[2:3]
.LBB11_373:
	s_or_b32 exec_lo, exec_lo, s0
	v_cmp_eq_u32_e32 vcc_lo, 0, v0
	s_and_b32 s0, vcc_lo, s33
	s_and_saveexec_b32 s1, s0
	s_cbranch_execz .LBB11_150
.LBB11_374:
	v_add_co_u32 v0, s0, s30, v2
	v_add_co_ci_u32_e64 v3, null, s31, 0, s0
	v_mov_b32_e32 v7, 0
	v_add_co_u32 v2, vcc_lo, v0, v4
	v_add_co_ci_u32_e64 v3, null, 0, v3, vcc_lo
	v_add_co_u32 v0, vcc_lo, v5, v1
	v_add_co_ci_u32_e64 v1, null, 0, v6, vcc_lo
	global_store_dwordx4 v7, v[0:3], s[24:25]
	s_endpgm
.LBB11_375:
	s_add_i32 s10, s6, 32
	s_mov_b32 s11, 0
	v_add_nc_u32_e32 v6, v4, v2
	s_lshl_b64 s[10:11], s[10:11], 4
	v_add_nc_u32_e32 v5, v3, v1
	s_add_u32 s10, s4, s10
	s_addc_u32 s11, s5, s11
	v_mov_b32_e32 v7, 2
	v_mov_b32_e32 v24, s11
	;; [unrolled: 1-line block ×4, first 2 shown]
	;;#ASMSTART
	global_store_dwordx4 v[23:24], v[5:8] off	
s_waitcnt vmcnt(0)
	;;#ASMEND
	s_or_b32 exec_lo, exec_lo, s8
	s_and_saveexec_b32 s6, s2
	s_cbranch_execz .LBB11_135
.LBB11_376:
	v_mov_b32_e32 v5, 0
	ds_write_b128 v5, v[1:4] offset:13312
	s_or_b32 exec_lo, exec_lo, s6
	v_cmp_eq_u32_e32 vcc_lo, 0, v0
	s_and_b32 exec_lo, exec_lo, vcc_lo
	s_cbranch_execnz .LBB11_136
	s_branch .LBB11_137
	.section	.rodata,"a",@progbits
	.p2align	6, 0x0
	.amdhsa_kernel _ZN7rocprim17ROCPRIM_400000_NS6detail17trampoline_kernelINS0_13select_configILj256ELj13ELNS0_17block_load_methodE3ELS4_3ELS4_3ELNS0_20block_scan_algorithmE0ELj4294967295EEENS1_25partition_config_selectorILNS1_17partition_subalgoE4EjNS0_10empty_typeEbEEZZNS1_14partition_implILS8_4ELb0ES6_15HIP_vector_typeIjLj2EENS0_17counting_iteratorIjlEEPS9_SG_NS0_5tupleIJPjSI_NS0_16reverse_iteratorISI_EEEEENSH_IJSG_SG_SG_EEES9_SI_JZNS1_25segmented_radix_sort_implINS0_14default_configELb1EPKhPhPKlPlN2at6native12_GLOBAL__N_18offset_tEEE10hipError_tPvRmT1_PNSt15iterator_traitsIS12_E10value_typeET2_T3_PNS13_IS18_E10value_typeET4_jRbjT5_S1E_jjP12ihipStream_tbEUljE_ZNSN_ISO_Lb1ESQ_SR_ST_SU_SY_EESZ_S10_S11_S12_S16_S17_S18_S1B_S1C_jS1D_jS1E_S1E_jjS1G_bEUljE0_EEESZ_S10_S11_S18_S1C_S1E_T6_T7_T9_mT8_S1G_bDpT10_ENKUlT_T0_E_clISt17integral_constantIbLb0EES1U_EEDaS1P_S1Q_EUlS1P_E_NS1_11comp_targetILNS1_3genE8ELNS1_11target_archE1030ELNS1_3gpuE2ELNS1_3repE0EEENS1_30default_config_static_selectorELNS0_4arch9wavefront6targetE0EEEvS12_
		.amdhsa_group_segment_fixed_size 13328
		.amdhsa_private_segment_fixed_size 0
		.amdhsa_kernarg_size 176
		.amdhsa_user_sgpr_count 6
		.amdhsa_user_sgpr_private_segment_buffer 1
		.amdhsa_user_sgpr_dispatch_ptr 0
		.amdhsa_user_sgpr_queue_ptr 0
		.amdhsa_user_sgpr_kernarg_segment_ptr 1
		.amdhsa_user_sgpr_dispatch_id 0
		.amdhsa_user_sgpr_flat_scratch_init 0
		.amdhsa_user_sgpr_private_segment_size 0
		.amdhsa_wavefront_size32 1
		.amdhsa_uses_dynamic_stack 0
		.amdhsa_system_sgpr_private_segment_wavefront_offset 0
		.amdhsa_system_sgpr_workgroup_id_x 1
		.amdhsa_system_sgpr_workgroup_id_y 0
		.amdhsa_system_sgpr_workgroup_id_z 0
		.amdhsa_system_sgpr_workgroup_info 0
		.amdhsa_system_vgpr_workitem_id 0
		.amdhsa_next_free_vgpr 82
		.amdhsa_next_free_sgpr 59
		.amdhsa_reserve_vcc 1
		.amdhsa_reserve_flat_scratch 0
		.amdhsa_float_round_mode_32 0
		.amdhsa_float_round_mode_16_64 0
		.amdhsa_float_denorm_mode_32 3
		.amdhsa_float_denorm_mode_16_64 3
		.amdhsa_dx10_clamp 1
		.amdhsa_ieee_mode 1
		.amdhsa_fp16_overflow 0
		.amdhsa_workgroup_processor_mode 1
		.amdhsa_memory_ordered 1
		.amdhsa_forward_progress 1
		.amdhsa_shared_vgpr_count 0
		.amdhsa_exception_fp_ieee_invalid_op 0
		.amdhsa_exception_fp_denorm_src 0
		.amdhsa_exception_fp_ieee_div_zero 0
		.amdhsa_exception_fp_ieee_overflow 0
		.amdhsa_exception_fp_ieee_underflow 0
		.amdhsa_exception_fp_ieee_inexact 0
		.amdhsa_exception_int_div_zero 0
	.end_amdhsa_kernel
	.section	.text._ZN7rocprim17ROCPRIM_400000_NS6detail17trampoline_kernelINS0_13select_configILj256ELj13ELNS0_17block_load_methodE3ELS4_3ELS4_3ELNS0_20block_scan_algorithmE0ELj4294967295EEENS1_25partition_config_selectorILNS1_17partition_subalgoE4EjNS0_10empty_typeEbEEZZNS1_14partition_implILS8_4ELb0ES6_15HIP_vector_typeIjLj2EENS0_17counting_iteratorIjlEEPS9_SG_NS0_5tupleIJPjSI_NS0_16reverse_iteratorISI_EEEEENSH_IJSG_SG_SG_EEES9_SI_JZNS1_25segmented_radix_sort_implINS0_14default_configELb1EPKhPhPKlPlN2at6native12_GLOBAL__N_18offset_tEEE10hipError_tPvRmT1_PNSt15iterator_traitsIS12_E10value_typeET2_T3_PNS13_IS18_E10value_typeET4_jRbjT5_S1E_jjP12ihipStream_tbEUljE_ZNSN_ISO_Lb1ESQ_SR_ST_SU_SY_EESZ_S10_S11_S12_S16_S17_S18_S1B_S1C_jS1D_jS1E_S1E_jjS1G_bEUljE0_EEESZ_S10_S11_S18_S1C_S1E_T6_T7_T9_mT8_S1G_bDpT10_ENKUlT_T0_E_clISt17integral_constantIbLb0EES1U_EEDaS1P_S1Q_EUlS1P_E_NS1_11comp_targetILNS1_3genE8ELNS1_11target_archE1030ELNS1_3gpuE2ELNS1_3repE0EEENS1_30default_config_static_selectorELNS0_4arch9wavefront6targetE0EEEvS12_,"axG",@progbits,_ZN7rocprim17ROCPRIM_400000_NS6detail17trampoline_kernelINS0_13select_configILj256ELj13ELNS0_17block_load_methodE3ELS4_3ELS4_3ELNS0_20block_scan_algorithmE0ELj4294967295EEENS1_25partition_config_selectorILNS1_17partition_subalgoE4EjNS0_10empty_typeEbEEZZNS1_14partition_implILS8_4ELb0ES6_15HIP_vector_typeIjLj2EENS0_17counting_iteratorIjlEEPS9_SG_NS0_5tupleIJPjSI_NS0_16reverse_iteratorISI_EEEEENSH_IJSG_SG_SG_EEES9_SI_JZNS1_25segmented_radix_sort_implINS0_14default_configELb1EPKhPhPKlPlN2at6native12_GLOBAL__N_18offset_tEEE10hipError_tPvRmT1_PNSt15iterator_traitsIS12_E10value_typeET2_T3_PNS13_IS18_E10value_typeET4_jRbjT5_S1E_jjP12ihipStream_tbEUljE_ZNSN_ISO_Lb1ESQ_SR_ST_SU_SY_EESZ_S10_S11_S12_S16_S17_S18_S1B_S1C_jS1D_jS1E_S1E_jjS1G_bEUljE0_EEESZ_S10_S11_S18_S1C_S1E_T6_T7_T9_mT8_S1G_bDpT10_ENKUlT_T0_E_clISt17integral_constantIbLb0EES1U_EEDaS1P_S1Q_EUlS1P_E_NS1_11comp_targetILNS1_3genE8ELNS1_11target_archE1030ELNS1_3gpuE2ELNS1_3repE0EEENS1_30default_config_static_selectorELNS0_4arch9wavefront6targetE0EEEvS12_,comdat
.Lfunc_end11:
	.size	_ZN7rocprim17ROCPRIM_400000_NS6detail17trampoline_kernelINS0_13select_configILj256ELj13ELNS0_17block_load_methodE3ELS4_3ELS4_3ELNS0_20block_scan_algorithmE0ELj4294967295EEENS1_25partition_config_selectorILNS1_17partition_subalgoE4EjNS0_10empty_typeEbEEZZNS1_14partition_implILS8_4ELb0ES6_15HIP_vector_typeIjLj2EENS0_17counting_iteratorIjlEEPS9_SG_NS0_5tupleIJPjSI_NS0_16reverse_iteratorISI_EEEEENSH_IJSG_SG_SG_EEES9_SI_JZNS1_25segmented_radix_sort_implINS0_14default_configELb1EPKhPhPKlPlN2at6native12_GLOBAL__N_18offset_tEEE10hipError_tPvRmT1_PNSt15iterator_traitsIS12_E10value_typeET2_T3_PNS13_IS18_E10value_typeET4_jRbjT5_S1E_jjP12ihipStream_tbEUljE_ZNSN_ISO_Lb1ESQ_SR_ST_SU_SY_EESZ_S10_S11_S12_S16_S17_S18_S1B_S1C_jS1D_jS1E_S1E_jjS1G_bEUljE0_EEESZ_S10_S11_S18_S1C_S1E_T6_T7_T9_mT8_S1G_bDpT10_ENKUlT_T0_E_clISt17integral_constantIbLb0EES1U_EEDaS1P_S1Q_EUlS1P_E_NS1_11comp_targetILNS1_3genE8ELNS1_11target_archE1030ELNS1_3gpuE2ELNS1_3repE0EEENS1_30default_config_static_selectorELNS0_4arch9wavefront6targetE0EEEvS12_, .Lfunc_end11-_ZN7rocprim17ROCPRIM_400000_NS6detail17trampoline_kernelINS0_13select_configILj256ELj13ELNS0_17block_load_methodE3ELS4_3ELS4_3ELNS0_20block_scan_algorithmE0ELj4294967295EEENS1_25partition_config_selectorILNS1_17partition_subalgoE4EjNS0_10empty_typeEbEEZZNS1_14partition_implILS8_4ELb0ES6_15HIP_vector_typeIjLj2EENS0_17counting_iteratorIjlEEPS9_SG_NS0_5tupleIJPjSI_NS0_16reverse_iteratorISI_EEEEENSH_IJSG_SG_SG_EEES9_SI_JZNS1_25segmented_radix_sort_implINS0_14default_configELb1EPKhPhPKlPlN2at6native12_GLOBAL__N_18offset_tEEE10hipError_tPvRmT1_PNSt15iterator_traitsIS12_E10value_typeET2_T3_PNS13_IS18_E10value_typeET4_jRbjT5_S1E_jjP12ihipStream_tbEUljE_ZNSN_ISO_Lb1ESQ_SR_ST_SU_SY_EESZ_S10_S11_S12_S16_S17_S18_S1B_S1C_jS1D_jS1E_S1E_jjS1G_bEUljE0_EEESZ_S10_S11_S18_S1C_S1E_T6_T7_T9_mT8_S1G_bDpT10_ENKUlT_T0_E_clISt17integral_constantIbLb0EES1U_EEDaS1P_S1Q_EUlS1P_E_NS1_11comp_targetILNS1_3genE8ELNS1_11target_archE1030ELNS1_3gpuE2ELNS1_3repE0EEENS1_30default_config_static_selectorELNS0_4arch9wavefront6targetE0EEEvS12_
                                        ; -- End function
	.set _ZN7rocprim17ROCPRIM_400000_NS6detail17trampoline_kernelINS0_13select_configILj256ELj13ELNS0_17block_load_methodE3ELS4_3ELS4_3ELNS0_20block_scan_algorithmE0ELj4294967295EEENS1_25partition_config_selectorILNS1_17partition_subalgoE4EjNS0_10empty_typeEbEEZZNS1_14partition_implILS8_4ELb0ES6_15HIP_vector_typeIjLj2EENS0_17counting_iteratorIjlEEPS9_SG_NS0_5tupleIJPjSI_NS0_16reverse_iteratorISI_EEEEENSH_IJSG_SG_SG_EEES9_SI_JZNS1_25segmented_radix_sort_implINS0_14default_configELb1EPKhPhPKlPlN2at6native12_GLOBAL__N_18offset_tEEE10hipError_tPvRmT1_PNSt15iterator_traitsIS12_E10value_typeET2_T3_PNS13_IS18_E10value_typeET4_jRbjT5_S1E_jjP12ihipStream_tbEUljE_ZNSN_ISO_Lb1ESQ_SR_ST_SU_SY_EESZ_S10_S11_S12_S16_S17_S18_S1B_S1C_jS1D_jS1E_S1E_jjS1G_bEUljE0_EEESZ_S10_S11_S18_S1C_S1E_T6_T7_T9_mT8_S1G_bDpT10_ENKUlT_T0_E_clISt17integral_constantIbLb0EES1U_EEDaS1P_S1Q_EUlS1P_E_NS1_11comp_targetILNS1_3genE8ELNS1_11target_archE1030ELNS1_3gpuE2ELNS1_3repE0EEENS1_30default_config_static_selectorELNS0_4arch9wavefront6targetE0EEEvS12_.num_vgpr, 82
	.set _ZN7rocprim17ROCPRIM_400000_NS6detail17trampoline_kernelINS0_13select_configILj256ELj13ELNS0_17block_load_methodE3ELS4_3ELS4_3ELNS0_20block_scan_algorithmE0ELj4294967295EEENS1_25partition_config_selectorILNS1_17partition_subalgoE4EjNS0_10empty_typeEbEEZZNS1_14partition_implILS8_4ELb0ES6_15HIP_vector_typeIjLj2EENS0_17counting_iteratorIjlEEPS9_SG_NS0_5tupleIJPjSI_NS0_16reverse_iteratorISI_EEEEENSH_IJSG_SG_SG_EEES9_SI_JZNS1_25segmented_radix_sort_implINS0_14default_configELb1EPKhPhPKlPlN2at6native12_GLOBAL__N_18offset_tEEE10hipError_tPvRmT1_PNSt15iterator_traitsIS12_E10value_typeET2_T3_PNS13_IS18_E10value_typeET4_jRbjT5_S1E_jjP12ihipStream_tbEUljE_ZNSN_ISO_Lb1ESQ_SR_ST_SU_SY_EESZ_S10_S11_S12_S16_S17_S18_S1B_S1C_jS1D_jS1E_S1E_jjS1G_bEUljE0_EEESZ_S10_S11_S18_S1C_S1E_T6_T7_T9_mT8_S1G_bDpT10_ENKUlT_T0_E_clISt17integral_constantIbLb0EES1U_EEDaS1P_S1Q_EUlS1P_E_NS1_11comp_targetILNS1_3genE8ELNS1_11target_archE1030ELNS1_3gpuE2ELNS1_3repE0EEENS1_30default_config_static_selectorELNS0_4arch9wavefront6targetE0EEEvS12_.num_agpr, 0
	.set _ZN7rocprim17ROCPRIM_400000_NS6detail17trampoline_kernelINS0_13select_configILj256ELj13ELNS0_17block_load_methodE3ELS4_3ELS4_3ELNS0_20block_scan_algorithmE0ELj4294967295EEENS1_25partition_config_selectorILNS1_17partition_subalgoE4EjNS0_10empty_typeEbEEZZNS1_14partition_implILS8_4ELb0ES6_15HIP_vector_typeIjLj2EENS0_17counting_iteratorIjlEEPS9_SG_NS0_5tupleIJPjSI_NS0_16reverse_iteratorISI_EEEEENSH_IJSG_SG_SG_EEES9_SI_JZNS1_25segmented_radix_sort_implINS0_14default_configELb1EPKhPhPKlPlN2at6native12_GLOBAL__N_18offset_tEEE10hipError_tPvRmT1_PNSt15iterator_traitsIS12_E10value_typeET2_T3_PNS13_IS18_E10value_typeET4_jRbjT5_S1E_jjP12ihipStream_tbEUljE_ZNSN_ISO_Lb1ESQ_SR_ST_SU_SY_EESZ_S10_S11_S12_S16_S17_S18_S1B_S1C_jS1D_jS1E_S1E_jjS1G_bEUljE0_EEESZ_S10_S11_S18_S1C_S1E_T6_T7_T9_mT8_S1G_bDpT10_ENKUlT_T0_E_clISt17integral_constantIbLb0EES1U_EEDaS1P_S1Q_EUlS1P_E_NS1_11comp_targetILNS1_3genE8ELNS1_11target_archE1030ELNS1_3gpuE2ELNS1_3repE0EEENS1_30default_config_static_selectorELNS0_4arch9wavefront6targetE0EEEvS12_.numbered_sgpr, 59
	.set _ZN7rocprim17ROCPRIM_400000_NS6detail17trampoline_kernelINS0_13select_configILj256ELj13ELNS0_17block_load_methodE3ELS4_3ELS4_3ELNS0_20block_scan_algorithmE0ELj4294967295EEENS1_25partition_config_selectorILNS1_17partition_subalgoE4EjNS0_10empty_typeEbEEZZNS1_14partition_implILS8_4ELb0ES6_15HIP_vector_typeIjLj2EENS0_17counting_iteratorIjlEEPS9_SG_NS0_5tupleIJPjSI_NS0_16reverse_iteratorISI_EEEEENSH_IJSG_SG_SG_EEES9_SI_JZNS1_25segmented_radix_sort_implINS0_14default_configELb1EPKhPhPKlPlN2at6native12_GLOBAL__N_18offset_tEEE10hipError_tPvRmT1_PNSt15iterator_traitsIS12_E10value_typeET2_T3_PNS13_IS18_E10value_typeET4_jRbjT5_S1E_jjP12ihipStream_tbEUljE_ZNSN_ISO_Lb1ESQ_SR_ST_SU_SY_EESZ_S10_S11_S12_S16_S17_S18_S1B_S1C_jS1D_jS1E_S1E_jjS1G_bEUljE0_EEESZ_S10_S11_S18_S1C_S1E_T6_T7_T9_mT8_S1G_bDpT10_ENKUlT_T0_E_clISt17integral_constantIbLb0EES1U_EEDaS1P_S1Q_EUlS1P_E_NS1_11comp_targetILNS1_3genE8ELNS1_11target_archE1030ELNS1_3gpuE2ELNS1_3repE0EEENS1_30default_config_static_selectorELNS0_4arch9wavefront6targetE0EEEvS12_.num_named_barrier, 0
	.set _ZN7rocprim17ROCPRIM_400000_NS6detail17trampoline_kernelINS0_13select_configILj256ELj13ELNS0_17block_load_methodE3ELS4_3ELS4_3ELNS0_20block_scan_algorithmE0ELj4294967295EEENS1_25partition_config_selectorILNS1_17partition_subalgoE4EjNS0_10empty_typeEbEEZZNS1_14partition_implILS8_4ELb0ES6_15HIP_vector_typeIjLj2EENS0_17counting_iteratorIjlEEPS9_SG_NS0_5tupleIJPjSI_NS0_16reverse_iteratorISI_EEEEENSH_IJSG_SG_SG_EEES9_SI_JZNS1_25segmented_radix_sort_implINS0_14default_configELb1EPKhPhPKlPlN2at6native12_GLOBAL__N_18offset_tEEE10hipError_tPvRmT1_PNSt15iterator_traitsIS12_E10value_typeET2_T3_PNS13_IS18_E10value_typeET4_jRbjT5_S1E_jjP12ihipStream_tbEUljE_ZNSN_ISO_Lb1ESQ_SR_ST_SU_SY_EESZ_S10_S11_S12_S16_S17_S18_S1B_S1C_jS1D_jS1E_S1E_jjS1G_bEUljE0_EEESZ_S10_S11_S18_S1C_S1E_T6_T7_T9_mT8_S1G_bDpT10_ENKUlT_T0_E_clISt17integral_constantIbLb0EES1U_EEDaS1P_S1Q_EUlS1P_E_NS1_11comp_targetILNS1_3genE8ELNS1_11target_archE1030ELNS1_3gpuE2ELNS1_3repE0EEENS1_30default_config_static_selectorELNS0_4arch9wavefront6targetE0EEEvS12_.private_seg_size, 0
	.set _ZN7rocprim17ROCPRIM_400000_NS6detail17trampoline_kernelINS0_13select_configILj256ELj13ELNS0_17block_load_methodE3ELS4_3ELS4_3ELNS0_20block_scan_algorithmE0ELj4294967295EEENS1_25partition_config_selectorILNS1_17partition_subalgoE4EjNS0_10empty_typeEbEEZZNS1_14partition_implILS8_4ELb0ES6_15HIP_vector_typeIjLj2EENS0_17counting_iteratorIjlEEPS9_SG_NS0_5tupleIJPjSI_NS0_16reverse_iteratorISI_EEEEENSH_IJSG_SG_SG_EEES9_SI_JZNS1_25segmented_radix_sort_implINS0_14default_configELb1EPKhPhPKlPlN2at6native12_GLOBAL__N_18offset_tEEE10hipError_tPvRmT1_PNSt15iterator_traitsIS12_E10value_typeET2_T3_PNS13_IS18_E10value_typeET4_jRbjT5_S1E_jjP12ihipStream_tbEUljE_ZNSN_ISO_Lb1ESQ_SR_ST_SU_SY_EESZ_S10_S11_S12_S16_S17_S18_S1B_S1C_jS1D_jS1E_S1E_jjS1G_bEUljE0_EEESZ_S10_S11_S18_S1C_S1E_T6_T7_T9_mT8_S1G_bDpT10_ENKUlT_T0_E_clISt17integral_constantIbLb0EES1U_EEDaS1P_S1Q_EUlS1P_E_NS1_11comp_targetILNS1_3genE8ELNS1_11target_archE1030ELNS1_3gpuE2ELNS1_3repE0EEENS1_30default_config_static_selectorELNS0_4arch9wavefront6targetE0EEEvS12_.uses_vcc, 1
	.set _ZN7rocprim17ROCPRIM_400000_NS6detail17trampoline_kernelINS0_13select_configILj256ELj13ELNS0_17block_load_methodE3ELS4_3ELS4_3ELNS0_20block_scan_algorithmE0ELj4294967295EEENS1_25partition_config_selectorILNS1_17partition_subalgoE4EjNS0_10empty_typeEbEEZZNS1_14partition_implILS8_4ELb0ES6_15HIP_vector_typeIjLj2EENS0_17counting_iteratorIjlEEPS9_SG_NS0_5tupleIJPjSI_NS0_16reverse_iteratorISI_EEEEENSH_IJSG_SG_SG_EEES9_SI_JZNS1_25segmented_radix_sort_implINS0_14default_configELb1EPKhPhPKlPlN2at6native12_GLOBAL__N_18offset_tEEE10hipError_tPvRmT1_PNSt15iterator_traitsIS12_E10value_typeET2_T3_PNS13_IS18_E10value_typeET4_jRbjT5_S1E_jjP12ihipStream_tbEUljE_ZNSN_ISO_Lb1ESQ_SR_ST_SU_SY_EESZ_S10_S11_S12_S16_S17_S18_S1B_S1C_jS1D_jS1E_S1E_jjS1G_bEUljE0_EEESZ_S10_S11_S18_S1C_S1E_T6_T7_T9_mT8_S1G_bDpT10_ENKUlT_T0_E_clISt17integral_constantIbLb0EES1U_EEDaS1P_S1Q_EUlS1P_E_NS1_11comp_targetILNS1_3genE8ELNS1_11target_archE1030ELNS1_3gpuE2ELNS1_3repE0EEENS1_30default_config_static_selectorELNS0_4arch9wavefront6targetE0EEEvS12_.uses_flat_scratch, 0
	.set _ZN7rocprim17ROCPRIM_400000_NS6detail17trampoline_kernelINS0_13select_configILj256ELj13ELNS0_17block_load_methodE3ELS4_3ELS4_3ELNS0_20block_scan_algorithmE0ELj4294967295EEENS1_25partition_config_selectorILNS1_17partition_subalgoE4EjNS0_10empty_typeEbEEZZNS1_14partition_implILS8_4ELb0ES6_15HIP_vector_typeIjLj2EENS0_17counting_iteratorIjlEEPS9_SG_NS0_5tupleIJPjSI_NS0_16reverse_iteratorISI_EEEEENSH_IJSG_SG_SG_EEES9_SI_JZNS1_25segmented_radix_sort_implINS0_14default_configELb1EPKhPhPKlPlN2at6native12_GLOBAL__N_18offset_tEEE10hipError_tPvRmT1_PNSt15iterator_traitsIS12_E10value_typeET2_T3_PNS13_IS18_E10value_typeET4_jRbjT5_S1E_jjP12ihipStream_tbEUljE_ZNSN_ISO_Lb1ESQ_SR_ST_SU_SY_EESZ_S10_S11_S12_S16_S17_S18_S1B_S1C_jS1D_jS1E_S1E_jjS1G_bEUljE0_EEESZ_S10_S11_S18_S1C_S1E_T6_T7_T9_mT8_S1G_bDpT10_ENKUlT_T0_E_clISt17integral_constantIbLb0EES1U_EEDaS1P_S1Q_EUlS1P_E_NS1_11comp_targetILNS1_3genE8ELNS1_11target_archE1030ELNS1_3gpuE2ELNS1_3repE0EEENS1_30default_config_static_selectorELNS0_4arch9wavefront6targetE0EEEvS12_.has_dyn_sized_stack, 0
	.set _ZN7rocprim17ROCPRIM_400000_NS6detail17trampoline_kernelINS0_13select_configILj256ELj13ELNS0_17block_load_methodE3ELS4_3ELS4_3ELNS0_20block_scan_algorithmE0ELj4294967295EEENS1_25partition_config_selectorILNS1_17partition_subalgoE4EjNS0_10empty_typeEbEEZZNS1_14partition_implILS8_4ELb0ES6_15HIP_vector_typeIjLj2EENS0_17counting_iteratorIjlEEPS9_SG_NS0_5tupleIJPjSI_NS0_16reverse_iteratorISI_EEEEENSH_IJSG_SG_SG_EEES9_SI_JZNS1_25segmented_radix_sort_implINS0_14default_configELb1EPKhPhPKlPlN2at6native12_GLOBAL__N_18offset_tEEE10hipError_tPvRmT1_PNSt15iterator_traitsIS12_E10value_typeET2_T3_PNS13_IS18_E10value_typeET4_jRbjT5_S1E_jjP12ihipStream_tbEUljE_ZNSN_ISO_Lb1ESQ_SR_ST_SU_SY_EESZ_S10_S11_S12_S16_S17_S18_S1B_S1C_jS1D_jS1E_S1E_jjS1G_bEUljE0_EEESZ_S10_S11_S18_S1C_S1E_T6_T7_T9_mT8_S1G_bDpT10_ENKUlT_T0_E_clISt17integral_constantIbLb0EES1U_EEDaS1P_S1Q_EUlS1P_E_NS1_11comp_targetILNS1_3genE8ELNS1_11target_archE1030ELNS1_3gpuE2ELNS1_3repE0EEENS1_30default_config_static_selectorELNS0_4arch9wavefront6targetE0EEEvS12_.has_recursion, 0
	.set _ZN7rocprim17ROCPRIM_400000_NS6detail17trampoline_kernelINS0_13select_configILj256ELj13ELNS0_17block_load_methodE3ELS4_3ELS4_3ELNS0_20block_scan_algorithmE0ELj4294967295EEENS1_25partition_config_selectorILNS1_17partition_subalgoE4EjNS0_10empty_typeEbEEZZNS1_14partition_implILS8_4ELb0ES6_15HIP_vector_typeIjLj2EENS0_17counting_iteratorIjlEEPS9_SG_NS0_5tupleIJPjSI_NS0_16reverse_iteratorISI_EEEEENSH_IJSG_SG_SG_EEES9_SI_JZNS1_25segmented_radix_sort_implINS0_14default_configELb1EPKhPhPKlPlN2at6native12_GLOBAL__N_18offset_tEEE10hipError_tPvRmT1_PNSt15iterator_traitsIS12_E10value_typeET2_T3_PNS13_IS18_E10value_typeET4_jRbjT5_S1E_jjP12ihipStream_tbEUljE_ZNSN_ISO_Lb1ESQ_SR_ST_SU_SY_EESZ_S10_S11_S12_S16_S17_S18_S1B_S1C_jS1D_jS1E_S1E_jjS1G_bEUljE0_EEESZ_S10_S11_S18_S1C_S1E_T6_T7_T9_mT8_S1G_bDpT10_ENKUlT_T0_E_clISt17integral_constantIbLb0EES1U_EEDaS1P_S1Q_EUlS1P_E_NS1_11comp_targetILNS1_3genE8ELNS1_11target_archE1030ELNS1_3gpuE2ELNS1_3repE0EEENS1_30default_config_static_selectorELNS0_4arch9wavefront6targetE0EEEvS12_.has_indirect_call, 0
	.section	.AMDGPU.csdata,"",@progbits
; Kernel info:
; codeLenInByte = 16236
; TotalNumSgprs: 61
; NumVgprs: 82
; ScratchSize: 0
; MemoryBound: 0
; FloatMode: 240
; IeeeMode: 1
; LDSByteSize: 13328 bytes/workgroup (compile time only)
; SGPRBlocks: 0
; VGPRBlocks: 10
; NumSGPRsForWavesPerEU: 61
; NumVGPRsForWavesPerEU: 82
; Occupancy: 10
; WaveLimiterHint : 1
; COMPUTE_PGM_RSRC2:SCRATCH_EN: 0
; COMPUTE_PGM_RSRC2:USER_SGPR: 6
; COMPUTE_PGM_RSRC2:TRAP_HANDLER: 0
; COMPUTE_PGM_RSRC2:TGID_X_EN: 1
; COMPUTE_PGM_RSRC2:TGID_Y_EN: 0
; COMPUTE_PGM_RSRC2:TGID_Z_EN: 0
; COMPUTE_PGM_RSRC2:TIDIG_COMP_CNT: 0
	.section	.text._ZN7rocprim17ROCPRIM_400000_NS6detail17trampoline_kernelINS0_14default_configENS1_25transform_config_selectorImLb1EEEZNS1_14transform_implILb1ES3_S5_PmPjNS0_8identityIvEEEE10hipError_tT2_T3_mT4_P12ihipStream_tbEUlT_E_NS1_11comp_targetILNS1_3genE0ELNS1_11target_archE4294967295ELNS1_3gpuE0ELNS1_3repE0EEENS1_30default_config_static_selectorELNS0_4arch9wavefront6targetE0EEEvT1_,"axG",@progbits,_ZN7rocprim17ROCPRIM_400000_NS6detail17trampoline_kernelINS0_14default_configENS1_25transform_config_selectorImLb1EEEZNS1_14transform_implILb1ES3_S5_PmPjNS0_8identityIvEEEE10hipError_tT2_T3_mT4_P12ihipStream_tbEUlT_E_NS1_11comp_targetILNS1_3genE0ELNS1_11target_archE4294967295ELNS1_3gpuE0ELNS1_3repE0EEENS1_30default_config_static_selectorELNS0_4arch9wavefront6targetE0EEEvT1_,comdat
	.protected	_ZN7rocprim17ROCPRIM_400000_NS6detail17trampoline_kernelINS0_14default_configENS1_25transform_config_selectorImLb1EEEZNS1_14transform_implILb1ES3_S5_PmPjNS0_8identityIvEEEE10hipError_tT2_T3_mT4_P12ihipStream_tbEUlT_E_NS1_11comp_targetILNS1_3genE0ELNS1_11target_archE4294967295ELNS1_3gpuE0ELNS1_3repE0EEENS1_30default_config_static_selectorELNS0_4arch9wavefront6targetE0EEEvT1_ ; -- Begin function _ZN7rocprim17ROCPRIM_400000_NS6detail17trampoline_kernelINS0_14default_configENS1_25transform_config_selectorImLb1EEEZNS1_14transform_implILb1ES3_S5_PmPjNS0_8identityIvEEEE10hipError_tT2_T3_mT4_P12ihipStream_tbEUlT_E_NS1_11comp_targetILNS1_3genE0ELNS1_11target_archE4294967295ELNS1_3gpuE0ELNS1_3repE0EEENS1_30default_config_static_selectorELNS0_4arch9wavefront6targetE0EEEvT1_
	.globl	_ZN7rocprim17ROCPRIM_400000_NS6detail17trampoline_kernelINS0_14default_configENS1_25transform_config_selectorImLb1EEEZNS1_14transform_implILb1ES3_S5_PmPjNS0_8identityIvEEEE10hipError_tT2_T3_mT4_P12ihipStream_tbEUlT_E_NS1_11comp_targetILNS1_3genE0ELNS1_11target_archE4294967295ELNS1_3gpuE0ELNS1_3repE0EEENS1_30default_config_static_selectorELNS0_4arch9wavefront6targetE0EEEvT1_
	.p2align	8
	.type	_ZN7rocprim17ROCPRIM_400000_NS6detail17trampoline_kernelINS0_14default_configENS1_25transform_config_selectorImLb1EEEZNS1_14transform_implILb1ES3_S5_PmPjNS0_8identityIvEEEE10hipError_tT2_T3_mT4_P12ihipStream_tbEUlT_E_NS1_11comp_targetILNS1_3genE0ELNS1_11target_archE4294967295ELNS1_3gpuE0ELNS1_3repE0EEENS1_30default_config_static_selectorELNS0_4arch9wavefront6targetE0EEEvT1_,@function
_ZN7rocprim17ROCPRIM_400000_NS6detail17trampoline_kernelINS0_14default_configENS1_25transform_config_selectorImLb1EEEZNS1_14transform_implILb1ES3_S5_PmPjNS0_8identityIvEEEE10hipError_tT2_T3_mT4_P12ihipStream_tbEUlT_E_NS1_11comp_targetILNS1_3genE0ELNS1_11target_archE4294967295ELNS1_3gpuE0ELNS1_3repE0EEENS1_30default_config_static_selectorELNS0_4arch9wavefront6targetE0EEEvT1_: ; @_ZN7rocprim17ROCPRIM_400000_NS6detail17trampoline_kernelINS0_14default_configENS1_25transform_config_selectorImLb1EEEZNS1_14transform_implILb1ES3_S5_PmPjNS0_8identityIvEEEE10hipError_tT2_T3_mT4_P12ihipStream_tbEUlT_E_NS1_11comp_targetILNS1_3genE0ELNS1_11target_archE4294967295ELNS1_3gpuE0ELNS1_3repE0EEENS1_30default_config_static_selectorELNS0_4arch9wavefront6targetE0EEEvT1_
; %bb.0:
	.section	.rodata,"a",@progbits
	.p2align	6, 0x0
	.amdhsa_kernel _ZN7rocprim17ROCPRIM_400000_NS6detail17trampoline_kernelINS0_14default_configENS1_25transform_config_selectorImLb1EEEZNS1_14transform_implILb1ES3_S5_PmPjNS0_8identityIvEEEE10hipError_tT2_T3_mT4_P12ihipStream_tbEUlT_E_NS1_11comp_targetILNS1_3genE0ELNS1_11target_archE4294967295ELNS1_3gpuE0ELNS1_3repE0EEENS1_30default_config_static_selectorELNS0_4arch9wavefront6targetE0EEEvT1_
		.amdhsa_group_segment_fixed_size 0
		.amdhsa_private_segment_fixed_size 0
		.amdhsa_kernarg_size 40
		.amdhsa_user_sgpr_count 6
		.amdhsa_user_sgpr_private_segment_buffer 1
		.amdhsa_user_sgpr_dispatch_ptr 0
		.amdhsa_user_sgpr_queue_ptr 0
		.amdhsa_user_sgpr_kernarg_segment_ptr 1
		.amdhsa_user_sgpr_dispatch_id 0
		.amdhsa_user_sgpr_flat_scratch_init 0
		.amdhsa_user_sgpr_private_segment_size 0
		.amdhsa_wavefront_size32 1
		.amdhsa_uses_dynamic_stack 0
		.amdhsa_system_sgpr_private_segment_wavefront_offset 0
		.amdhsa_system_sgpr_workgroup_id_x 1
		.amdhsa_system_sgpr_workgroup_id_y 0
		.amdhsa_system_sgpr_workgroup_id_z 0
		.amdhsa_system_sgpr_workgroup_info 0
		.amdhsa_system_vgpr_workitem_id 0
		.amdhsa_next_free_vgpr 1
		.amdhsa_next_free_sgpr 1
		.amdhsa_reserve_vcc 0
		.amdhsa_reserve_flat_scratch 0
		.amdhsa_float_round_mode_32 0
		.amdhsa_float_round_mode_16_64 0
		.amdhsa_float_denorm_mode_32 3
		.amdhsa_float_denorm_mode_16_64 3
		.amdhsa_dx10_clamp 1
		.amdhsa_ieee_mode 1
		.amdhsa_fp16_overflow 0
		.amdhsa_workgroup_processor_mode 1
		.amdhsa_memory_ordered 1
		.amdhsa_forward_progress 1
		.amdhsa_shared_vgpr_count 0
		.amdhsa_exception_fp_ieee_invalid_op 0
		.amdhsa_exception_fp_denorm_src 0
		.amdhsa_exception_fp_ieee_div_zero 0
		.amdhsa_exception_fp_ieee_overflow 0
		.amdhsa_exception_fp_ieee_underflow 0
		.amdhsa_exception_fp_ieee_inexact 0
		.amdhsa_exception_int_div_zero 0
	.end_amdhsa_kernel
	.section	.text._ZN7rocprim17ROCPRIM_400000_NS6detail17trampoline_kernelINS0_14default_configENS1_25transform_config_selectorImLb1EEEZNS1_14transform_implILb1ES3_S5_PmPjNS0_8identityIvEEEE10hipError_tT2_T3_mT4_P12ihipStream_tbEUlT_E_NS1_11comp_targetILNS1_3genE0ELNS1_11target_archE4294967295ELNS1_3gpuE0ELNS1_3repE0EEENS1_30default_config_static_selectorELNS0_4arch9wavefront6targetE0EEEvT1_,"axG",@progbits,_ZN7rocprim17ROCPRIM_400000_NS6detail17trampoline_kernelINS0_14default_configENS1_25transform_config_selectorImLb1EEEZNS1_14transform_implILb1ES3_S5_PmPjNS0_8identityIvEEEE10hipError_tT2_T3_mT4_P12ihipStream_tbEUlT_E_NS1_11comp_targetILNS1_3genE0ELNS1_11target_archE4294967295ELNS1_3gpuE0ELNS1_3repE0EEENS1_30default_config_static_selectorELNS0_4arch9wavefront6targetE0EEEvT1_,comdat
.Lfunc_end12:
	.size	_ZN7rocprim17ROCPRIM_400000_NS6detail17trampoline_kernelINS0_14default_configENS1_25transform_config_selectorImLb1EEEZNS1_14transform_implILb1ES3_S5_PmPjNS0_8identityIvEEEE10hipError_tT2_T3_mT4_P12ihipStream_tbEUlT_E_NS1_11comp_targetILNS1_3genE0ELNS1_11target_archE4294967295ELNS1_3gpuE0ELNS1_3repE0EEENS1_30default_config_static_selectorELNS0_4arch9wavefront6targetE0EEEvT1_, .Lfunc_end12-_ZN7rocprim17ROCPRIM_400000_NS6detail17trampoline_kernelINS0_14default_configENS1_25transform_config_selectorImLb1EEEZNS1_14transform_implILb1ES3_S5_PmPjNS0_8identityIvEEEE10hipError_tT2_T3_mT4_P12ihipStream_tbEUlT_E_NS1_11comp_targetILNS1_3genE0ELNS1_11target_archE4294967295ELNS1_3gpuE0ELNS1_3repE0EEENS1_30default_config_static_selectorELNS0_4arch9wavefront6targetE0EEEvT1_
                                        ; -- End function
	.set _ZN7rocprim17ROCPRIM_400000_NS6detail17trampoline_kernelINS0_14default_configENS1_25transform_config_selectorImLb1EEEZNS1_14transform_implILb1ES3_S5_PmPjNS0_8identityIvEEEE10hipError_tT2_T3_mT4_P12ihipStream_tbEUlT_E_NS1_11comp_targetILNS1_3genE0ELNS1_11target_archE4294967295ELNS1_3gpuE0ELNS1_3repE0EEENS1_30default_config_static_selectorELNS0_4arch9wavefront6targetE0EEEvT1_.num_vgpr, 0
	.set _ZN7rocprim17ROCPRIM_400000_NS6detail17trampoline_kernelINS0_14default_configENS1_25transform_config_selectorImLb1EEEZNS1_14transform_implILb1ES3_S5_PmPjNS0_8identityIvEEEE10hipError_tT2_T3_mT4_P12ihipStream_tbEUlT_E_NS1_11comp_targetILNS1_3genE0ELNS1_11target_archE4294967295ELNS1_3gpuE0ELNS1_3repE0EEENS1_30default_config_static_selectorELNS0_4arch9wavefront6targetE0EEEvT1_.num_agpr, 0
	.set _ZN7rocprim17ROCPRIM_400000_NS6detail17trampoline_kernelINS0_14default_configENS1_25transform_config_selectorImLb1EEEZNS1_14transform_implILb1ES3_S5_PmPjNS0_8identityIvEEEE10hipError_tT2_T3_mT4_P12ihipStream_tbEUlT_E_NS1_11comp_targetILNS1_3genE0ELNS1_11target_archE4294967295ELNS1_3gpuE0ELNS1_3repE0EEENS1_30default_config_static_selectorELNS0_4arch9wavefront6targetE0EEEvT1_.numbered_sgpr, 0
	.set _ZN7rocprim17ROCPRIM_400000_NS6detail17trampoline_kernelINS0_14default_configENS1_25transform_config_selectorImLb1EEEZNS1_14transform_implILb1ES3_S5_PmPjNS0_8identityIvEEEE10hipError_tT2_T3_mT4_P12ihipStream_tbEUlT_E_NS1_11comp_targetILNS1_3genE0ELNS1_11target_archE4294967295ELNS1_3gpuE0ELNS1_3repE0EEENS1_30default_config_static_selectorELNS0_4arch9wavefront6targetE0EEEvT1_.num_named_barrier, 0
	.set _ZN7rocprim17ROCPRIM_400000_NS6detail17trampoline_kernelINS0_14default_configENS1_25transform_config_selectorImLb1EEEZNS1_14transform_implILb1ES3_S5_PmPjNS0_8identityIvEEEE10hipError_tT2_T3_mT4_P12ihipStream_tbEUlT_E_NS1_11comp_targetILNS1_3genE0ELNS1_11target_archE4294967295ELNS1_3gpuE0ELNS1_3repE0EEENS1_30default_config_static_selectorELNS0_4arch9wavefront6targetE0EEEvT1_.private_seg_size, 0
	.set _ZN7rocprim17ROCPRIM_400000_NS6detail17trampoline_kernelINS0_14default_configENS1_25transform_config_selectorImLb1EEEZNS1_14transform_implILb1ES3_S5_PmPjNS0_8identityIvEEEE10hipError_tT2_T3_mT4_P12ihipStream_tbEUlT_E_NS1_11comp_targetILNS1_3genE0ELNS1_11target_archE4294967295ELNS1_3gpuE0ELNS1_3repE0EEENS1_30default_config_static_selectorELNS0_4arch9wavefront6targetE0EEEvT1_.uses_vcc, 0
	.set _ZN7rocprim17ROCPRIM_400000_NS6detail17trampoline_kernelINS0_14default_configENS1_25transform_config_selectorImLb1EEEZNS1_14transform_implILb1ES3_S5_PmPjNS0_8identityIvEEEE10hipError_tT2_T3_mT4_P12ihipStream_tbEUlT_E_NS1_11comp_targetILNS1_3genE0ELNS1_11target_archE4294967295ELNS1_3gpuE0ELNS1_3repE0EEENS1_30default_config_static_selectorELNS0_4arch9wavefront6targetE0EEEvT1_.uses_flat_scratch, 0
	.set _ZN7rocprim17ROCPRIM_400000_NS6detail17trampoline_kernelINS0_14default_configENS1_25transform_config_selectorImLb1EEEZNS1_14transform_implILb1ES3_S5_PmPjNS0_8identityIvEEEE10hipError_tT2_T3_mT4_P12ihipStream_tbEUlT_E_NS1_11comp_targetILNS1_3genE0ELNS1_11target_archE4294967295ELNS1_3gpuE0ELNS1_3repE0EEENS1_30default_config_static_selectorELNS0_4arch9wavefront6targetE0EEEvT1_.has_dyn_sized_stack, 0
	.set _ZN7rocprim17ROCPRIM_400000_NS6detail17trampoline_kernelINS0_14default_configENS1_25transform_config_selectorImLb1EEEZNS1_14transform_implILb1ES3_S5_PmPjNS0_8identityIvEEEE10hipError_tT2_T3_mT4_P12ihipStream_tbEUlT_E_NS1_11comp_targetILNS1_3genE0ELNS1_11target_archE4294967295ELNS1_3gpuE0ELNS1_3repE0EEENS1_30default_config_static_selectorELNS0_4arch9wavefront6targetE0EEEvT1_.has_recursion, 0
	.set _ZN7rocprim17ROCPRIM_400000_NS6detail17trampoline_kernelINS0_14default_configENS1_25transform_config_selectorImLb1EEEZNS1_14transform_implILb1ES3_S5_PmPjNS0_8identityIvEEEE10hipError_tT2_T3_mT4_P12ihipStream_tbEUlT_E_NS1_11comp_targetILNS1_3genE0ELNS1_11target_archE4294967295ELNS1_3gpuE0ELNS1_3repE0EEENS1_30default_config_static_selectorELNS0_4arch9wavefront6targetE0EEEvT1_.has_indirect_call, 0
	.section	.AMDGPU.csdata,"",@progbits
; Kernel info:
; codeLenInByte = 0
; TotalNumSgprs: 0
; NumVgprs: 0
; ScratchSize: 0
; MemoryBound: 0
; FloatMode: 240
; IeeeMode: 1
; LDSByteSize: 0 bytes/workgroup (compile time only)
; SGPRBlocks: 0
; VGPRBlocks: 0
; NumSGPRsForWavesPerEU: 1
; NumVGPRsForWavesPerEU: 1
; Occupancy: 16
; WaveLimiterHint : 0
; COMPUTE_PGM_RSRC2:SCRATCH_EN: 0
; COMPUTE_PGM_RSRC2:USER_SGPR: 6
; COMPUTE_PGM_RSRC2:TRAP_HANDLER: 0
; COMPUTE_PGM_RSRC2:TGID_X_EN: 1
; COMPUTE_PGM_RSRC2:TGID_Y_EN: 0
; COMPUTE_PGM_RSRC2:TGID_Z_EN: 0
; COMPUTE_PGM_RSRC2:TIDIG_COMP_CNT: 0
	.section	.text._ZN7rocprim17ROCPRIM_400000_NS6detail17trampoline_kernelINS0_14default_configENS1_25transform_config_selectorImLb1EEEZNS1_14transform_implILb1ES3_S5_PmPjNS0_8identityIvEEEE10hipError_tT2_T3_mT4_P12ihipStream_tbEUlT_E_NS1_11comp_targetILNS1_3genE10ELNS1_11target_archE1201ELNS1_3gpuE5ELNS1_3repE0EEENS1_30default_config_static_selectorELNS0_4arch9wavefront6targetE0EEEvT1_,"axG",@progbits,_ZN7rocprim17ROCPRIM_400000_NS6detail17trampoline_kernelINS0_14default_configENS1_25transform_config_selectorImLb1EEEZNS1_14transform_implILb1ES3_S5_PmPjNS0_8identityIvEEEE10hipError_tT2_T3_mT4_P12ihipStream_tbEUlT_E_NS1_11comp_targetILNS1_3genE10ELNS1_11target_archE1201ELNS1_3gpuE5ELNS1_3repE0EEENS1_30default_config_static_selectorELNS0_4arch9wavefront6targetE0EEEvT1_,comdat
	.protected	_ZN7rocprim17ROCPRIM_400000_NS6detail17trampoline_kernelINS0_14default_configENS1_25transform_config_selectorImLb1EEEZNS1_14transform_implILb1ES3_S5_PmPjNS0_8identityIvEEEE10hipError_tT2_T3_mT4_P12ihipStream_tbEUlT_E_NS1_11comp_targetILNS1_3genE10ELNS1_11target_archE1201ELNS1_3gpuE5ELNS1_3repE0EEENS1_30default_config_static_selectorELNS0_4arch9wavefront6targetE0EEEvT1_ ; -- Begin function _ZN7rocprim17ROCPRIM_400000_NS6detail17trampoline_kernelINS0_14default_configENS1_25transform_config_selectorImLb1EEEZNS1_14transform_implILb1ES3_S5_PmPjNS0_8identityIvEEEE10hipError_tT2_T3_mT4_P12ihipStream_tbEUlT_E_NS1_11comp_targetILNS1_3genE10ELNS1_11target_archE1201ELNS1_3gpuE5ELNS1_3repE0EEENS1_30default_config_static_selectorELNS0_4arch9wavefront6targetE0EEEvT1_
	.globl	_ZN7rocprim17ROCPRIM_400000_NS6detail17trampoline_kernelINS0_14default_configENS1_25transform_config_selectorImLb1EEEZNS1_14transform_implILb1ES3_S5_PmPjNS0_8identityIvEEEE10hipError_tT2_T3_mT4_P12ihipStream_tbEUlT_E_NS1_11comp_targetILNS1_3genE10ELNS1_11target_archE1201ELNS1_3gpuE5ELNS1_3repE0EEENS1_30default_config_static_selectorELNS0_4arch9wavefront6targetE0EEEvT1_
	.p2align	8
	.type	_ZN7rocprim17ROCPRIM_400000_NS6detail17trampoline_kernelINS0_14default_configENS1_25transform_config_selectorImLb1EEEZNS1_14transform_implILb1ES3_S5_PmPjNS0_8identityIvEEEE10hipError_tT2_T3_mT4_P12ihipStream_tbEUlT_E_NS1_11comp_targetILNS1_3genE10ELNS1_11target_archE1201ELNS1_3gpuE5ELNS1_3repE0EEENS1_30default_config_static_selectorELNS0_4arch9wavefront6targetE0EEEvT1_,@function
_ZN7rocprim17ROCPRIM_400000_NS6detail17trampoline_kernelINS0_14default_configENS1_25transform_config_selectorImLb1EEEZNS1_14transform_implILb1ES3_S5_PmPjNS0_8identityIvEEEE10hipError_tT2_T3_mT4_P12ihipStream_tbEUlT_E_NS1_11comp_targetILNS1_3genE10ELNS1_11target_archE1201ELNS1_3gpuE5ELNS1_3repE0EEENS1_30default_config_static_selectorELNS0_4arch9wavefront6targetE0EEEvT1_: ; @_ZN7rocprim17ROCPRIM_400000_NS6detail17trampoline_kernelINS0_14default_configENS1_25transform_config_selectorImLb1EEEZNS1_14transform_implILb1ES3_S5_PmPjNS0_8identityIvEEEE10hipError_tT2_T3_mT4_P12ihipStream_tbEUlT_E_NS1_11comp_targetILNS1_3genE10ELNS1_11target_archE1201ELNS1_3gpuE5ELNS1_3repE0EEENS1_30default_config_static_selectorELNS0_4arch9wavefront6targetE0EEEvT1_
; %bb.0:
	.section	.rodata,"a",@progbits
	.p2align	6, 0x0
	.amdhsa_kernel _ZN7rocprim17ROCPRIM_400000_NS6detail17trampoline_kernelINS0_14default_configENS1_25transform_config_selectorImLb1EEEZNS1_14transform_implILb1ES3_S5_PmPjNS0_8identityIvEEEE10hipError_tT2_T3_mT4_P12ihipStream_tbEUlT_E_NS1_11comp_targetILNS1_3genE10ELNS1_11target_archE1201ELNS1_3gpuE5ELNS1_3repE0EEENS1_30default_config_static_selectorELNS0_4arch9wavefront6targetE0EEEvT1_
		.amdhsa_group_segment_fixed_size 0
		.amdhsa_private_segment_fixed_size 0
		.amdhsa_kernarg_size 40
		.amdhsa_user_sgpr_count 6
		.amdhsa_user_sgpr_private_segment_buffer 1
		.amdhsa_user_sgpr_dispatch_ptr 0
		.amdhsa_user_sgpr_queue_ptr 0
		.amdhsa_user_sgpr_kernarg_segment_ptr 1
		.amdhsa_user_sgpr_dispatch_id 0
		.amdhsa_user_sgpr_flat_scratch_init 0
		.amdhsa_user_sgpr_private_segment_size 0
		.amdhsa_wavefront_size32 1
		.amdhsa_uses_dynamic_stack 0
		.amdhsa_system_sgpr_private_segment_wavefront_offset 0
		.amdhsa_system_sgpr_workgroup_id_x 1
		.amdhsa_system_sgpr_workgroup_id_y 0
		.amdhsa_system_sgpr_workgroup_id_z 0
		.amdhsa_system_sgpr_workgroup_info 0
		.amdhsa_system_vgpr_workitem_id 0
		.amdhsa_next_free_vgpr 1
		.amdhsa_next_free_sgpr 1
		.amdhsa_reserve_vcc 0
		.amdhsa_reserve_flat_scratch 0
		.amdhsa_float_round_mode_32 0
		.amdhsa_float_round_mode_16_64 0
		.amdhsa_float_denorm_mode_32 3
		.amdhsa_float_denorm_mode_16_64 3
		.amdhsa_dx10_clamp 1
		.amdhsa_ieee_mode 1
		.amdhsa_fp16_overflow 0
		.amdhsa_workgroup_processor_mode 1
		.amdhsa_memory_ordered 1
		.amdhsa_forward_progress 1
		.amdhsa_shared_vgpr_count 0
		.amdhsa_exception_fp_ieee_invalid_op 0
		.amdhsa_exception_fp_denorm_src 0
		.amdhsa_exception_fp_ieee_div_zero 0
		.amdhsa_exception_fp_ieee_overflow 0
		.amdhsa_exception_fp_ieee_underflow 0
		.amdhsa_exception_fp_ieee_inexact 0
		.amdhsa_exception_int_div_zero 0
	.end_amdhsa_kernel
	.section	.text._ZN7rocprim17ROCPRIM_400000_NS6detail17trampoline_kernelINS0_14default_configENS1_25transform_config_selectorImLb1EEEZNS1_14transform_implILb1ES3_S5_PmPjNS0_8identityIvEEEE10hipError_tT2_T3_mT4_P12ihipStream_tbEUlT_E_NS1_11comp_targetILNS1_3genE10ELNS1_11target_archE1201ELNS1_3gpuE5ELNS1_3repE0EEENS1_30default_config_static_selectorELNS0_4arch9wavefront6targetE0EEEvT1_,"axG",@progbits,_ZN7rocprim17ROCPRIM_400000_NS6detail17trampoline_kernelINS0_14default_configENS1_25transform_config_selectorImLb1EEEZNS1_14transform_implILb1ES3_S5_PmPjNS0_8identityIvEEEE10hipError_tT2_T3_mT4_P12ihipStream_tbEUlT_E_NS1_11comp_targetILNS1_3genE10ELNS1_11target_archE1201ELNS1_3gpuE5ELNS1_3repE0EEENS1_30default_config_static_selectorELNS0_4arch9wavefront6targetE0EEEvT1_,comdat
.Lfunc_end13:
	.size	_ZN7rocprim17ROCPRIM_400000_NS6detail17trampoline_kernelINS0_14default_configENS1_25transform_config_selectorImLb1EEEZNS1_14transform_implILb1ES3_S5_PmPjNS0_8identityIvEEEE10hipError_tT2_T3_mT4_P12ihipStream_tbEUlT_E_NS1_11comp_targetILNS1_3genE10ELNS1_11target_archE1201ELNS1_3gpuE5ELNS1_3repE0EEENS1_30default_config_static_selectorELNS0_4arch9wavefront6targetE0EEEvT1_, .Lfunc_end13-_ZN7rocprim17ROCPRIM_400000_NS6detail17trampoline_kernelINS0_14default_configENS1_25transform_config_selectorImLb1EEEZNS1_14transform_implILb1ES3_S5_PmPjNS0_8identityIvEEEE10hipError_tT2_T3_mT4_P12ihipStream_tbEUlT_E_NS1_11comp_targetILNS1_3genE10ELNS1_11target_archE1201ELNS1_3gpuE5ELNS1_3repE0EEENS1_30default_config_static_selectorELNS0_4arch9wavefront6targetE0EEEvT1_
                                        ; -- End function
	.set _ZN7rocprim17ROCPRIM_400000_NS6detail17trampoline_kernelINS0_14default_configENS1_25transform_config_selectorImLb1EEEZNS1_14transform_implILb1ES3_S5_PmPjNS0_8identityIvEEEE10hipError_tT2_T3_mT4_P12ihipStream_tbEUlT_E_NS1_11comp_targetILNS1_3genE10ELNS1_11target_archE1201ELNS1_3gpuE5ELNS1_3repE0EEENS1_30default_config_static_selectorELNS0_4arch9wavefront6targetE0EEEvT1_.num_vgpr, 0
	.set _ZN7rocprim17ROCPRIM_400000_NS6detail17trampoline_kernelINS0_14default_configENS1_25transform_config_selectorImLb1EEEZNS1_14transform_implILb1ES3_S5_PmPjNS0_8identityIvEEEE10hipError_tT2_T3_mT4_P12ihipStream_tbEUlT_E_NS1_11comp_targetILNS1_3genE10ELNS1_11target_archE1201ELNS1_3gpuE5ELNS1_3repE0EEENS1_30default_config_static_selectorELNS0_4arch9wavefront6targetE0EEEvT1_.num_agpr, 0
	.set _ZN7rocprim17ROCPRIM_400000_NS6detail17trampoline_kernelINS0_14default_configENS1_25transform_config_selectorImLb1EEEZNS1_14transform_implILb1ES3_S5_PmPjNS0_8identityIvEEEE10hipError_tT2_T3_mT4_P12ihipStream_tbEUlT_E_NS1_11comp_targetILNS1_3genE10ELNS1_11target_archE1201ELNS1_3gpuE5ELNS1_3repE0EEENS1_30default_config_static_selectorELNS0_4arch9wavefront6targetE0EEEvT1_.numbered_sgpr, 0
	.set _ZN7rocprim17ROCPRIM_400000_NS6detail17trampoline_kernelINS0_14default_configENS1_25transform_config_selectorImLb1EEEZNS1_14transform_implILb1ES3_S5_PmPjNS0_8identityIvEEEE10hipError_tT2_T3_mT4_P12ihipStream_tbEUlT_E_NS1_11comp_targetILNS1_3genE10ELNS1_11target_archE1201ELNS1_3gpuE5ELNS1_3repE0EEENS1_30default_config_static_selectorELNS0_4arch9wavefront6targetE0EEEvT1_.num_named_barrier, 0
	.set _ZN7rocprim17ROCPRIM_400000_NS6detail17trampoline_kernelINS0_14default_configENS1_25transform_config_selectorImLb1EEEZNS1_14transform_implILb1ES3_S5_PmPjNS0_8identityIvEEEE10hipError_tT2_T3_mT4_P12ihipStream_tbEUlT_E_NS1_11comp_targetILNS1_3genE10ELNS1_11target_archE1201ELNS1_3gpuE5ELNS1_3repE0EEENS1_30default_config_static_selectorELNS0_4arch9wavefront6targetE0EEEvT1_.private_seg_size, 0
	.set _ZN7rocprim17ROCPRIM_400000_NS6detail17trampoline_kernelINS0_14default_configENS1_25transform_config_selectorImLb1EEEZNS1_14transform_implILb1ES3_S5_PmPjNS0_8identityIvEEEE10hipError_tT2_T3_mT4_P12ihipStream_tbEUlT_E_NS1_11comp_targetILNS1_3genE10ELNS1_11target_archE1201ELNS1_3gpuE5ELNS1_3repE0EEENS1_30default_config_static_selectorELNS0_4arch9wavefront6targetE0EEEvT1_.uses_vcc, 0
	.set _ZN7rocprim17ROCPRIM_400000_NS6detail17trampoline_kernelINS0_14default_configENS1_25transform_config_selectorImLb1EEEZNS1_14transform_implILb1ES3_S5_PmPjNS0_8identityIvEEEE10hipError_tT2_T3_mT4_P12ihipStream_tbEUlT_E_NS1_11comp_targetILNS1_3genE10ELNS1_11target_archE1201ELNS1_3gpuE5ELNS1_3repE0EEENS1_30default_config_static_selectorELNS0_4arch9wavefront6targetE0EEEvT1_.uses_flat_scratch, 0
	.set _ZN7rocprim17ROCPRIM_400000_NS6detail17trampoline_kernelINS0_14default_configENS1_25transform_config_selectorImLb1EEEZNS1_14transform_implILb1ES3_S5_PmPjNS0_8identityIvEEEE10hipError_tT2_T3_mT4_P12ihipStream_tbEUlT_E_NS1_11comp_targetILNS1_3genE10ELNS1_11target_archE1201ELNS1_3gpuE5ELNS1_3repE0EEENS1_30default_config_static_selectorELNS0_4arch9wavefront6targetE0EEEvT1_.has_dyn_sized_stack, 0
	.set _ZN7rocprim17ROCPRIM_400000_NS6detail17trampoline_kernelINS0_14default_configENS1_25transform_config_selectorImLb1EEEZNS1_14transform_implILb1ES3_S5_PmPjNS0_8identityIvEEEE10hipError_tT2_T3_mT4_P12ihipStream_tbEUlT_E_NS1_11comp_targetILNS1_3genE10ELNS1_11target_archE1201ELNS1_3gpuE5ELNS1_3repE0EEENS1_30default_config_static_selectorELNS0_4arch9wavefront6targetE0EEEvT1_.has_recursion, 0
	.set _ZN7rocprim17ROCPRIM_400000_NS6detail17trampoline_kernelINS0_14default_configENS1_25transform_config_selectorImLb1EEEZNS1_14transform_implILb1ES3_S5_PmPjNS0_8identityIvEEEE10hipError_tT2_T3_mT4_P12ihipStream_tbEUlT_E_NS1_11comp_targetILNS1_3genE10ELNS1_11target_archE1201ELNS1_3gpuE5ELNS1_3repE0EEENS1_30default_config_static_selectorELNS0_4arch9wavefront6targetE0EEEvT1_.has_indirect_call, 0
	.section	.AMDGPU.csdata,"",@progbits
; Kernel info:
; codeLenInByte = 0
; TotalNumSgprs: 0
; NumVgprs: 0
; ScratchSize: 0
; MemoryBound: 0
; FloatMode: 240
; IeeeMode: 1
; LDSByteSize: 0 bytes/workgroup (compile time only)
; SGPRBlocks: 0
; VGPRBlocks: 0
; NumSGPRsForWavesPerEU: 1
; NumVGPRsForWavesPerEU: 1
; Occupancy: 16
; WaveLimiterHint : 0
; COMPUTE_PGM_RSRC2:SCRATCH_EN: 0
; COMPUTE_PGM_RSRC2:USER_SGPR: 6
; COMPUTE_PGM_RSRC2:TRAP_HANDLER: 0
; COMPUTE_PGM_RSRC2:TGID_X_EN: 1
; COMPUTE_PGM_RSRC2:TGID_Y_EN: 0
; COMPUTE_PGM_RSRC2:TGID_Z_EN: 0
; COMPUTE_PGM_RSRC2:TIDIG_COMP_CNT: 0
	.section	.text._ZN7rocprim17ROCPRIM_400000_NS6detail17trampoline_kernelINS0_14default_configENS1_25transform_config_selectorImLb1EEEZNS1_14transform_implILb1ES3_S5_PmPjNS0_8identityIvEEEE10hipError_tT2_T3_mT4_P12ihipStream_tbEUlT_E_NS1_11comp_targetILNS1_3genE5ELNS1_11target_archE942ELNS1_3gpuE9ELNS1_3repE0EEENS1_30default_config_static_selectorELNS0_4arch9wavefront6targetE0EEEvT1_,"axG",@progbits,_ZN7rocprim17ROCPRIM_400000_NS6detail17trampoline_kernelINS0_14default_configENS1_25transform_config_selectorImLb1EEEZNS1_14transform_implILb1ES3_S5_PmPjNS0_8identityIvEEEE10hipError_tT2_T3_mT4_P12ihipStream_tbEUlT_E_NS1_11comp_targetILNS1_3genE5ELNS1_11target_archE942ELNS1_3gpuE9ELNS1_3repE0EEENS1_30default_config_static_selectorELNS0_4arch9wavefront6targetE0EEEvT1_,comdat
	.protected	_ZN7rocprim17ROCPRIM_400000_NS6detail17trampoline_kernelINS0_14default_configENS1_25transform_config_selectorImLb1EEEZNS1_14transform_implILb1ES3_S5_PmPjNS0_8identityIvEEEE10hipError_tT2_T3_mT4_P12ihipStream_tbEUlT_E_NS1_11comp_targetILNS1_3genE5ELNS1_11target_archE942ELNS1_3gpuE9ELNS1_3repE0EEENS1_30default_config_static_selectorELNS0_4arch9wavefront6targetE0EEEvT1_ ; -- Begin function _ZN7rocprim17ROCPRIM_400000_NS6detail17trampoline_kernelINS0_14default_configENS1_25transform_config_selectorImLb1EEEZNS1_14transform_implILb1ES3_S5_PmPjNS0_8identityIvEEEE10hipError_tT2_T3_mT4_P12ihipStream_tbEUlT_E_NS1_11comp_targetILNS1_3genE5ELNS1_11target_archE942ELNS1_3gpuE9ELNS1_3repE0EEENS1_30default_config_static_selectorELNS0_4arch9wavefront6targetE0EEEvT1_
	.globl	_ZN7rocprim17ROCPRIM_400000_NS6detail17trampoline_kernelINS0_14default_configENS1_25transform_config_selectorImLb1EEEZNS1_14transform_implILb1ES3_S5_PmPjNS0_8identityIvEEEE10hipError_tT2_T3_mT4_P12ihipStream_tbEUlT_E_NS1_11comp_targetILNS1_3genE5ELNS1_11target_archE942ELNS1_3gpuE9ELNS1_3repE0EEENS1_30default_config_static_selectorELNS0_4arch9wavefront6targetE0EEEvT1_
	.p2align	8
	.type	_ZN7rocprim17ROCPRIM_400000_NS6detail17trampoline_kernelINS0_14default_configENS1_25transform_config_selectorImLb1EEEZNS1_14transform_implILb1ES3_S5_PmPjNS0_8identityIvEEEE10hipError_tT2_T3_mT4_P12ihipStream_tbEUlT_E_NS1_11comp_targetILNS1_3genE5ELNS1_11target_archE942ELNS1_3gpuE9ELNS1_3repE0EEENS1_30default_config_static_selectorELNS0_4arch9wavefront6targetE0EEEvT1_,@function
_ZN7rocprim17ROCPRIM_400000_NS6detail17trampoline_kernelINS0_14default_configENS1_25transform_config_selectorImLb1EEEZNS1_14transform_implILb1ES3_S5_PmPjNS0_8identityIvEEEE10hipError_tT2_T3_mT4_P12ihipStream_tbEUlT_E_NS1_11comp_targetILNS1_3genE5ELNS1_11target_archE942ELNS1_3gpuE9ELNS1_3repE0EEENS1_30default_config_static_selectorELNS0_4arch9wavefront6targetE0EEEvT1_: ; @_ZN7rocprim17ROCPRIM_400000_NS6detail17trampoline_kernelINS0_14default_configENS1_25transform_config_selectorImLb1EEEZNS1_14transform_implILb1ES3_S5_PmPjNS0_8identityIvEEEE10hipError_tT2_T3_mT4_P12ihipStream_tbEUlT_E_NS1_11comp_targetILNS1_3genE5ELNS1_11target_archE942ELNS1_3gpuE9ELNS1_3repE0EEENS1_30default_config_static_selectorELNS0_4arch9wavefront6targetE0EEEvT1_
; %bb.0:
	.section	.rodata,"a",@progbits
	.p2align	6, 0x0
	.amdhsa_kernel _ZN7rocprim17ROCPRIM_400000_NS6detail17trampoline_kernelINS0_14default_configENS1_25transform_config_selectorImLb1EEEZNS1_14transform_implILb1ES3_S5_PmPjNS0_8identityIvEEEE10hipError_tT2_T3_mT4_P12ihipStream_tbEUlT_E_NS1_11comp_targetILNS1_3genE5ELNS1_11target_archE942ELNS1_3gpuE9ELNS1_3repE0EEENS1_30default_config_static_selectorELNS0_4arch9wavefront6targetE0EEEvT1_
		.amdhsa_group_segment_fixed_size 0
		.amdhsa_private_segment_fixed_size 0
		.amdhsa_kernarg_size 40
		.amdhsa_user_sgpr_count 6
		.amdhsa_user_sgpr_private_segment_buffer 1
		.amdhsa_user_sgpr_dispatch_ptr 0
		.amdhsa_user_sgpr_queue_ptr 0
		.amdhsa_user_sgpr_kernarg_segment_ptr 1
		.amdhsa_user_sgpr_dispatch_id 0
		.amdhsa_user_sgpr_flat_scratch_init 0
		.amdhsa_user_sgpr_private_segment_size 0
		.amdhsa_wavefront_size32 1
		.amdhsa_uses_dynamic_stack 0
		.amdhsa_system_sgpr_private_segment_wavefront_offset 0
		.amdhsa_system_sgpr_workgroup_id_x 1
		.amdhsa_system_sgpr_workgroup_id_y 0
		.amdhsa_system_sgpr_workgroup_id_z 0
		.amdhsa_system_sgpr_workgroup_info 0
		.amdhsa_system_vgpr_workitem_id 0
		.amdhsa_next_free_vgpr 1
		.amdhsa_next_free_sgpr 1
		.amdhsa_reserve_vcc 0
		.amdhsa_reserve_flat_scratch 0
		.amdhsa_float_round_mode_32 0
		.amdhsa_float_round_mode_16_64 0
		.amdhsa_float_denorm_mode_32 3
		.amdhsa_float_denorm_mode_16_64 3
		.amdhsa_dx10_clamp 1
		.amdhsa_ieee_mode 1
		.amdhsa_fp16_overflow 0
		.amdhsa_workgroup_processor_mode 1
		.amdhsa_memory_ordered 1
		.amdhsa_forward_progress 1
		.amdhsa_shared_vgpr_count 0
		.amdhsa_exception_fp_ieee_invalid_op 0
		.amdhsa_exception_fp_denorm_src 0
		.amdhsa_exception_fp_ieee_div_zero 0
		.amdhsa_exception_fp_ieee_overflow 0
		.amdhsa_exception_fp_ieee_underflow 0
		.amdhsa_exception_fp_ieee_inexact 0
		.amdhsa_exception_int_div_zero 0
	.end_amdhsa_kernel
	.section	.text._ZN7rocprim17ROCPRIM_400000_NS6detail17trampoline_kernelINS0_14default_configENS1_25transform_config_selectorImLb1EEEZNS1_14transform_implILb1ES3_S5_PmPjNS0_8identityIvEEEE10hipError_tT2_T3_mT4_P12ihipStream_tbEUlT_E_NS1_11comp_targetILNS1_3genE5ELNS1_11target_archE942ELNS1_3gpuE9ELNS1_3repE0EEENS1_30default_config_static_selectorELNS0_4arch9wavefront6targetE0EEEvT1_,"axG",@progbits,_ZN7rocprim17ROCPRIM_400000_NS6detail17trampoline_kernelINS0_14default_configENS1_25transform_config_selectorImLb1EEEZNS1_14transform_implILb1ES3_S5_PmPjNS0_8identityIvEEEE10hipError_tT2_T3_mT4_P12ihipStream_tbEUlT_E_NS1_11comp_targetILNS1_3genE5ELNS1_11target_archE942ELNS1_3gpuE9ELNS1_3repE0EEENS1_30default_config_static_selectorELNS0_4arch9wavefront6targetE0EEEvT1_,comdat
.Lfunc_end14:
	.size	_ZN7rocprim17ROCPRIM_400000_NS6detail17trampoline_kernelINS0_14default_configENS1_25transform_config_selectorImLb1EEEZNS1_14transform_implILb1ES3_S5_PmPjNS0_8identityIvEEEE10hipError_tT2_T3_mT4_P12ihipStream_tbEUlT_E_NS1_11comp_targetILNS1_3genE5ELNS1_11target_archE942ELNS1_3gpuE9ELNS1_3repE0EEENS1_30default_config_static_selectorELNS0_4arch9wavefront6targetE0EEEvT1_, .Lfunc_end14-_ZN7rocprim17ROCPRIM_400000_NS6detail17trampoline_kernelINS0_14default_configENS1_25transform_config_selectorImLb1EEEZNS1_14transform_implILb1ES3_S5_PmPjNS0_8identityIvEEEE10hipError_tT2_T3_mT4_P12ihipStream_tbEUlT_E_NS1_11comp_targetILNS1_3genE5ELNS1_11target_archE942ELNS1_3gpuE9ELNS1_3repE0EEENS1_30default_config_static_selectorELNS0_4arch9wavefront6targetE0EEEvT1_
                                        ; -- End function
	.set _ZN7rocprim17ROCPRIM_400000_NS6detail17trampoline_kernelINS0_14default_configENS1_25transform_config_selectorImLb1EEEZNS1_14transform_implILb1ES3_S5_PmPjNS0_8identityIvEEEE10hipError_tT2_T3_mT4_P12ihipStream_tbEUlT_E_NS1_11comp_targetILNS1_3genE5ELNS1_11target_archE942ELNS1_3gpuE9ELNS1_3repE0EEENS1_30default_config_static_selectorELNS0_4arch9wavefront6targetE0EEEvT1_.num_vgpr, 0
	.set _ZN7rocprim17ROCPRIM_400000_NS6detail17trampoline_kernelINS0_14default_configENS1_25transform_config_selectorImLb1EEEZNS1_14transform_implILb1ES3_S5_PmPjNS0_8identityIvEEEE10hipError_tT2_T3_mT4_P12ihipStream_tbEUlT_E_NS1_11comp_targetILNS1_3genE5ELNS1_11target_archE942ELNS1_3gpuE9ELNS1_3repE0EEENS1_30default_config_static_selectorELNS0_4arch9wavefront6targetE0EEEvT1_.num_agpr, 0
	.set _ZN7rocprim17ROCPRIM_400000_NS6detail17trampoline_kernelINS0_14default_configENS1_25transform_config_selectorImLb1EEEZNS1_14transform_implILb1ES3_S5_PmPjNS0_8identityIvEEEE10hipError_tT2_T3_mT4_P12ihipStream_tbEUlT_E_NS1_11comp_targetILNS1_3genE5ELNS1_11target_archE942ELNS1_3gpuE9ELNS1_3repE0EEENS1_30default_config_static_selectorELNS0_4arch9wavefront6targetE0EEEvT1_.numbered_sgpr, 0
	.set _ZN7rocprim17ROCPRIM_400000_NS6detail17trampoline_kernelINS0_14default_configENS1_25transform_config_selectorImLb1EEEZNS1_14transform_implILb1ES3_S5_PmPjNS0_8identityIvEEEE10hipError_tT2_T3_mT4_P12ihipStream_tbEUlT_E_NS1_11comp_targetILNS1_3genE5ELNS1_11target_archE942ELNS1_3gpuE9ELNS1_3repE0EEENS1_30default_config_static_selectorELNS0_4arch9wavefront6targetE0EEEvT1_.num_named_barrier, 0
	.set _ZN7rocprim17ROCPRIM_400000_NS6detail17trampoline_kernelINS0_14default_configENS1_25transform_config_selectorImLb1EEEZNS1_14transform_implILb1ES3_S5_PmPjNS0_8identityIvEEEE10hipError_tT2_T3_mT4_P12ihipStream_tbEUlT_E_NS1_11comp_targetILNS1_3genE5ELNS1_11target_archE942ELNS1_3gpuE9ELNS1_3repE0EEENS1_30default_config_static_selectorELNS0_4arch9wavefront6targetE0EEEvT1_.private_seg_size, 0
	.set _ZN7rocprim17ROCPRIM_400000_NS6detail17trampoline_kernelINS0_14default_configENS1_25transform_config_selectorImLb1EEEZNS1_14transform_implILb1ES3_S5_PmPjNS0_8identityIvEEEE10hipError_tT2_T3_mT4_P12ihipStream_tbEUlT_E_NS1_11comp_targetILNS1_3genE5ELNS1_11target_archE942ELNS1_3gpuE9ELNS1_3repE0EEENS1_30default_config_static_selectorELNS0_4arch9wavefront6targetE0EEEvT1_.uses_vcc, 0
	.set _ZN7rocprim17ROCPRIM_400000_NS6detail17trampoline_kernelINS0_14default_configENS1_25transform_config_selectorImLb1EEEZNS1_14transform_implILb1ES3_S5_PmPjNS0_8identityIvEEEE10hipError_tT2_T3_mT4_P12ihipStream_tbEUlT_E_NS1_11comp_targetILNS1_3genE5ELNS1_11target_archE942ELNS1_3gpuE9ELNS1_3repE0EEENS1_30default_config_static_selectorELNS0_4arch9wavefront6targetE0EEEvT1_.uses_flat_scratch, 0
	.set _ZN7rocprim17ROCPRIM_400000_NS6detail17trampoline_kernelINS0_14default_configENS1_25transform_config_selectorImLb1EEEZNS1_14transform_implILb1ES3_S5_PmPjNS0_8identityIvEEEE10hipError_tT2_T3_mT4_P12ihipStream_tbEUlT_E_NS1_11comp_targetILNS1_3genE5ELNS1_11target_archE942ELNS1_3gpuE9ELNS1_3repE0EEENS1_30default_config_static_selectorELNS0_4arch9wavefront6targetE0EEEvT1_.has_dyn_sized_stack, 0
	.set _ZN7rocprim17ROCPRIM_400000_NS6detail17trampoline_kernelINS0_14default_configENS1_25transform_config_selectorImLb1EEEZNS1_14transform_implILb1ES3_S5_PmPjNS0_8identityIvEEEE10hipError_tT2_T3_mT4_P12ihipStream_tbEUlT_E_NS1_11comp_targetILNS1_3genE5ELNS1_11target_archE942ELNS1_3gpuE9ELNS1_3repE0EEENS1_30default_config_static_selectorELNS0_4arch9wavefront6targetE0EEEvT1_.has_recursion, 0
	.set _ZN7rocprim17ROCPRIM_400000_NS6detail17trampoline_kernelINS0_14default_configENS1_25transform_config_selectorImLb1EEEZNS1_14transform_implILb1ES3_S5_PmPjNS0_8identityIvEEEE10hipError_tT2_T3_mT4_P12ihipStream_tbEUlT_E_NS1_11comp_targetILNS1_3genE5ELNS1_11target_archE942ELNS1_3gpuE9ELNS1_3repE0EEENS1_30default_config_static_selectorELNS0_4arch9wavefront6targetE0EEEvT1_.has_indirect_call, 0
	.section	.AMDGPU.csdata,"",@progbits
; Kernel info:
; codeLenInByte = 0
; TotalNumSgprs: 0
; NumVgprs: 0
; ScratchSize: 0
; MemoryBound: 0
; FloatMode: 240
; IeeeMode: 1
; LDSByteSize: 0 bytes/workgroup (compile time only)
; SGPRBlocks: 0
; VGPRBlocks: 0
; NumSGPRsForWavesPerEU: 1
; NumVGPRsForWavesPerEU: 1
; Occupancy: 16
; WaveLimiterHint : 0
; COMPUTE_PGM_RSRC2:SCRATCH_EN: 0
; COMPUTE_PGM_RSRC2:USER_SGPR: 6
; COMPUTE_PGM_RSRC2:TRAP_HANDLER: 0
; COMPUTE_PGM_RSRC2:TGID_X_EN: 1
; COMPUTE_PGM_RSRC2:TGID_Y_EN: 0
; COMPUTE_PGM_RSRC2:TGID_Z_EN: 0
; COMPUTE_PGM_RSRC2:TIDIG_COMP_CNT: 0
	.section	.text._ZN7rocprim17ROCPRIM_400000_NS6detail17trampoline_kernelINS0_14default_configENS1_25transform_config_selectorImLb1EEEZNS1_14transform_implILb1ES3_S5_PmPjNS0_8identityIvEEEE10hipError_tT2_T3_mT4_P12ihipStream_tbEUlT_E_NS1_11comp_targetILNS1_3genE4ELNS1_11target_archE910ELNS1_3gpuE8ELNS1_3repE0EEENS1_30default_config_static_selectorELNS0_4arch9wavefront6targetE0EEEvT1_,"axG",@progbits,_ZN7rocprim17ROCPRIM_400000_NS6detail17trampoline_kernelINS0_14default_configENS1_25transform_config_selectorImLb1EEEZNS1_14transform_implILb1ES3_S5_PmPjNS0_8identityIvEEEE10hipError_tT2_T3_mT4_P12ihipStream_tbEUlT_E_NS1_11comp_targetILNS1_3genE4ELNS1_11target_archE910ELNS1_3gpuE8ELNS1_3repE0EEENS1_30default_config_static_selectorELNS0_4arch9wavefront6targetE0EEEvT1_,comdat
	.protected	_ZN7rocprim17ROCPRIM_400000_NS6detail17trampoline_kernelINS0_14default_configENS1_25transform_config_selectorImLb1EEEZNS1_14transform_implILb1ES3_S5_PmPjNS0_8identityIvEEEE10hipError_tT2_T3_mT4_P12ihipStream_tbEUlT_E_NS1_11comp_targetILNS1_3genE4ELNS1_11target_archE910ELNS1_3gpuE8ELNS1_3repE0EEENS1_30default_config_static_selectorELNS0_4arch9wavefront6targetE0EEEvT1_ ; -- Begin function _ZN7rocprim17ROCPRIM_400000_NS6detail17trampoline_kernelINS0_14default_configENS1_25transform_config_selectorImLb1EEEZNS1_14transform_implILb1ES3_S5_PmPjNS0_8identityIvEEEE10hipError_tT2_T3_mT4_P12ihipStream_tbEUlT_E_NS1_11comp_targetILNS1_3genE4ELNS1_11target_archE910ELNS1_3gpuE8ELNS1_3repE0EEENS1_30default_config_static_selectorELNS0_4arch9wavefront6targetE0EEEvT1_
	.globl	_ZN7rocprim17ROCPRIM_400000_NS6detail17trampoline_kernelINS0_14default_configENS1_25transform_config_selectorImLb1EEEZNS1_14transform_implILb1ES3_S5_PmPjNS0_8identityIvEEEE10hipError_tT2_T3_mT4_P12ihipStream_tbEUlT_E_NS1_11comp_targetILNS1_3genE4ELNS1_11target_archE910ELNS1_3gpuE8ELNS1_3repE0EEENS1_30default_config_static_selectorELNS0_4arch9wavefront6targetE0EEEvT1_
	.p2align	8
	.type	_ZN7rocprim17ROCPRIM_400000_NS6detail17trampoline_kernelINS0_14default_configENS1_25transform_config_selectorImLb1EEEZNS1_14transform_implILb1ES3_S5_PmPjNS0_8identityIvEEEE10hipError_tT2_T3_mT4_P12ihipStream_tbEUlT_E_NS1_11comp_targetILNS1_3genE4ELNS1_11target_archE910ELNS1_3gpuE8ELNS1_3repE0EEENS1_30default_config_static_selectorELNS0_4arch9wavefront6targetE0EEEvT1_,@function
_ZN7rocprim17ROCPRIM_400000_NS6detail17trampoline_kernelINS0_14default_configENS1_25transform_config_selectorImLb1EEEZNS1_14transform_implILb1ES3_S5_PmPjNS0_8identityIvEEEE10hipError_tT2_T3_mT4_P12ihipStream_tbEUlT_E_NS1_11comp_targetILNS1_3genE4ELNS1_11target_archE910ELNS1_3gpuE8ELNS1_3repE0EEENS1_30default_config_static_selectorELNS0_4arch9wavefront6targetE0EEEvT1_: ; @_ZN7rocprim17ROCPRIM_400000_NS6detail17trampoline_kernelINS0_14default_configENS1_25transform_config_selectorImLb1EEEZNS1_14transform_implILb1ES3_S5_PmPjNS0_8identityIvEEEE10hipError_tT2_T3_mT4_P12ihipStream_tbEUlT_E_NS1_11comp_targetILNS1_3genE4ELNS1_11target_archE910ELNS1_3gpuE8ELNS1_3repE0EEENS1_30default_config_static_selectorELNS0_4arch9wavefront6targetE0EEEvT1_
; %bb.0:
	.section	.rodata,"a",@progbits
	.p2align	6, 0x0
	.amdhsa_kernel _ZN7rocprim17ROCPRIM_400000_NS6detail17trampoline_kernelINS0_14default_configENS1_25transform_config_selectorImLb1EEEZNS1_14transform_implILb1ES3_S5_PmPjNS0_8identityIvEEEE10hipError_tT2_T3_mT4_P12ihipStream_tbEUlT_E_NS1_11comp_targetILNS1_3genE4ELNS1_11target_archE910ELNS1_3gpuE8ELNS1_3repE0EEENS1_30default_config_static_selectorELNS0_4arch9wavefront6targetE0EEEvT1_
		.amdhsa_group_segment_fixed_size 0
		.amdhsa_private_segment_fixed_size 0
		.amdhsa_kernarg_size 40
		.amdhsa_user_sgpr_count 6
		.amdhsa_user_sgpr_private_segment_buffer 1
		.amdhsa_user_sgpr_dispatch_ptr 0
		.amdhsa_user_sgpr_queue_ptr 0
		.amdhsa_user_sgpr_kernarg_segment_ptr 1
		.amdhsa_user_sgpr_dispatch_id 0
		.amdhsa_user_sgpr_flat_scratch_init 0
		.amdhsa_user_sgpr_private_segment_size 0
		.amdhsa_wavefront_size32 1
		.amdhsa_uses_dynamic_stack 0
		.amdhsa_system_sgpr_private_segment_wavefront_offset 0
		.amdhsa_system_sgpr_workgroup_id_x 1
		.amdhsa_system_sgpr_workgroup_id_y 0
		.amdhsa_system_sgpr_workgroup_id_z 0
		.amdhsa_system_sgpr_workgroup_info 0
		.amdhsa_system_vgpr_workitem_id 0
		.amdhsa_next_free_vgpr 1
		.amdhsa_next_free_sgpr 1
		.amdhsa_reserve_vcc 0
		.amdhsa_reserve_flat_scratch 0
		.amdhsa_float_round_mode_32 0
		.amdhsa_float_round_mode_16_64 0
		.amdhsa_float_denorm_mode_32 3
		.amdhsa_float_denorm_mode_16_64 3
		.amdhsa_dx10_clamp 1
		.amdhsa_ieee_mode 1
		.amdhsa_fp16_overflow 0
		.amdhsa_workgroup_processor_mode 1
		.amdhsa_memory_ordered 1
		.amdhsa_forward_progress 1
		.amdhsa_shared_vgpr_count 0
		.amdhsa_exception_fp_ieee_invalid_op 0
		.amdhsa_exception_fp_denorm_src 0
		.amdhsa_exception_fp_ieee_div_zero 0
		.amdhsa_exception_fp_ieee_overflow 0
		.amdhsa_exception_fp_ieee_underflow 0
		.amdhsa_exception_fp_ieee_inexact 0
		.amdhsa_exception_int_div_zero 0
	.end_amdhsa_kernel
	.section	.text._ZN7rocprim17ROCPRIM_400000_NS6detail17trampoline_kernelINS0_14default_configENS1_25transform_config_selectorImLb1EEEZNS1_14transform_implILb1ES3_S5_PmPjNS0_8identityIvEEEE10hipError_tT2_T3_mT4_P12ihipStream_tbEUlT_E_NS1_11comp_targetILNS1_3genE4ELNS1_11target_archE910ELNS1_3gpuE8ELNS1_3repE0EEENS1_30default_config_static_selectorELNS0_4arch9wavefront6targetE0EEEvT1_,"axG",@progbits,_ZN7rocprim17ROCPRIM_400000_NS6detail17trampoline_kernelINS0_14default_configENS1_25transform_config_selectorImLb1EEEZNS1_14transform_implILb1ES3_S5_PmPjNS0_8identityIvEEEE10hipError_tT2_T3_mT4_P12ihipStream_tbEUlT_E_NS1_11comp_targetILNS1_3genE4ELNS1_11target_archE910ELNS1_3gpuE8ELNS1_3repE0EEENS1_30default_config_static_selectorELNS0_4arch9wavefront6targetE0EEEvT1_,comdat
.Lfunc_end15:
	.size	_ZN7rocprim17ROCPRIM_400000_NS6detail17trampoline_kernelINS0_14default_configENS1_25transform_config_selectorImLb1EEEZNS1_14transform_implILb1ES3_S5_PmPjNS0_8identityIvEEEE10hipError_tT2_T3_mT4_P12ihipStream_tbEUlT_E_NS1_11comp_targetILNS1_3genE4ELNS1_11target_archE910ELNS1_3gpuE8ELNS1_3repE0EEENS1_30default_config_static_selectorELNS0_4arch9wavefront6targetE0EEEvT1_, .Lfunc_end15-_ZN7rocprim17ROCPRIM_400000_NS6detail17trampoline_kernelINS0_14default_configENS1_25transform_config_selectorImLb1EEEZNS1_14transform_implILb1ES3_S5_PmPjNS0_8identityIvEEEE10hipError_tT2_T3_mT4_P12ihipStream_tbEUlT_E_NS1_11comp_targetILNS1_3genE4ELNS1_11target_archE910ELNS1_3gpuE8ELNS1_3repE0EEENS1_30default_config_static_selectorELNS0_4arch9wavefront6targetE0EEEvT1_
                                        ; -- End function
	.set _ZN7rocprim17ROCPRIM_400000_NS6detail17trampoline_kernelINS0_14default_configENS1_25transform_config_selectorImLb1EEEZNS1_14transform_implILb1ES3_S5_PmPjNS0_8identityIvEEEE10hipError_tT2_T3_mT4_P12ihipStream_tbEUlT_E_NS1_11comp_targetILNS1_3genE4ELNS1_11target_archE910ELNS1_3gpuE8ELNS1_3repE0EEENS1_30default_config_static_selectorELNS0_4arch9wavefront6targetE0EEEvT1_.num_vgpr, 0
	.set _ZN7rocprim17ROCPRIM_400000_NS6detail17trampoline_kernelINS0_14default_configENS1_25transform_config_selectorImLb1EEEZNS1_14transform_implILb1ES3_S5_PmPjNS0_8identityIvEEEE10hipError_tT2_T3_mT4_P12ihipStream_tbEUlT_E_NS1_11comp_targetILNS1_3genE4ELNS1_11target_archE910ELNS1_3gpuE8ELNS1_3repE0EEENS1_30default_config_static_selectorELNS0_4arch9wavefront6targetE0EEEvT1_.num_agpr, 0
	.set _ZN7rocprim17ROCPRIM_400000_NS6detail17trampoline_kernelINS0_14default_configENS1_25transform_config_selectorImLb1EEEZNS1_14transform_implILb1ES3_S5_PmPjNS0_8identityIvEEEE10hipError_tT2_T3_mT4_P12ihipStream_tbEUlT_E_NS1_11comp_targetILNS1_3genE4ELNS1_11target_archE910ELNS1_3gpuE8ELNS1_3repE0EEENS1_30default_config_static_selectorELNS0_4arch9wavefront6targetE0EEEvT1_.numbered_sgpr, 0
	.set _ZN7rocprim17ROCPRIM_400000_NS6detail17trampoline_kernelINS0_14default_configENS1_25transform_config_selectorImLb1EEEZNS1_14transform_implILb1ES3_S5_PmPjNS0_8identityIvEEEE10hipError_tT2_T3_mT4_P12ihipStream_tbEUlT_E_NS1_11comp_targetILNS1_3genE4ELNS1_11target_archE910ELNS1_3gpuE8ELNS1_3repE0EEENS1_30default_config_static_selectorELNS0_4arch9wavefront6targetE0EEEvT1_.num_named_barrier, 0
	.set _ZN7rocprim17ROCPRIM_400000_NS6detail17trampoline_kernelINS0_14default_configENS1_25transform_config_selectorImLb1EEEZNS1_14transform_implILb1ES3_S5_PmPjNS0_8identityIvEEEE10hipError_tT2_T3_mT4_P12ihipStream_tbEUlT_E_NS1_11comp_targetILNS1_3genE4ELNS1_11target_archE910ELNS1_3gpuE8ELNS1_3repE0EEENS1_30default_config_static_selectorELNS0_4arch9wavefront6targetE0EEEvT1_.private_seg_size, 0
	.set _ZN7rocprim17ROCPRIM_400000_NS6detail17trampoline_kernelINS0_14default_configENS1_25transform_config_selectorImLb1EEEZNS1_14transform_implILb1ES3_S5_PmPjNS0_8identityIvEEEE10hipError_tT2_T3_mT4_P12ihipStream_tbEUlT_E_NS1_11comp_targetILNS1_3genE4ELNS1_11target_archE910ELNS1_3gpuE8ELNS1_3repE0EEENS1_30default_config_static_selectorELNS0_4arch9wavefront6targetE0EEEvT1_.uses_vcc, 0
	.set _ZN7rocprim17ROCPRIM_400000_NS6detail17trampoline_kernelINS0_14default_configENS1_25transform_config_selectorImLb1EEEZNS1_14transform_implILb1ES3_S5_PmPjNS0_8identityIvEEEE10hipError_tT2_T3_mT4_P12ihipStream_tbEUlT_E_NS1_11comp_targetILNS1_3genE4ELNS1_11target_archE910ELNS1_3gpuE8ELNS1_3repE0EEENS1_30default_config_static_selectorELNS0_4arch9wavefront6targetE0EEEvT1_.uses_flat_scratch, 0
	.set _ZN7rocprim17ROCPRIM_400000_NS6detail17trampoline_kernelINS0_14default_configENS1_25transform_config_selectorImLb1EEEZNS1_14transform_implILb1ES3_S5_PmPjNS0_8identityIvEEEE10hipError_tT2_T3_mT4_P12ihipStream_tbEUlT_E_NS1_11comp_targetILNS1_3genE4ELNS1_11target_archE910ELNS1_3gpuE8ELNS1_3repE0EEENS1_30default_config_static_selectorELNS0_4arch9wavefront6targetE0EEEvT1_.has_dyn_sized_stack, 0
	.set _ZN7rocprim17ROCPRIM_400000_NS6detail17trampoline_kernelINS0_14default_configENS1_25transform_config_selectorImLb1EEEZNS1_14transform_implILb1ES3_S5_PmPjNS0_8identityIvEEEE10hipError_tT2_T3_mT4_P12ihipStream_tbEUlT_E_NS1_11comp_targetILNS1_3genE4ELNS1_11target_archE910ELNS1_3gpuE8ELNS1_3repE0EEENS1_30default_config_static_selectorELNS0_4arch9wavefront6targetE0EEEvT1_.has_recursion, 0
	.set _ZN7rocprim17ROCPRIM_400000_NS6detail17trampoline_kernelINS0_14default_configENS1_25transform_config_selectorImLb1EEEZNS1_14transform_implILb1ES3_S5_PmPjNS0_8identityIvEEEE10hipError_tT2_T3_mT4_P12ihipStream_tbEUlT_E_NS1_11comp_targetILNS1_3genE4ELNS1_11target_archE910ELNS1_3gpuE8ELNS1_3repE0EEENS1_30default_config_static_selectorELNS0_4arch9wavefront6targetE0EEEvT1_.has_indirect_call, 0
	.section	.AMDGPU.csdata,"",@progbits
; Kernel info:
; codeLenInByte = 0
; TotalNumSgprs: 0
; NumVgprs: 0
; ScratchSize: 0
; MemoryBound: 0
; FloatMode: 240
; IeeeMode: 1
; LDSByteSize: 0 bytes/workgroup (compile time only)
; SGPRBlocks: 0
; VGPRBlocks: 0
; NumSGPRsForWavesPerEU: 1
; NumVGPRsForWavesPerEU: 1
; Occupancy: 16
; WaveLimiterHint : 0
; COMPUTE_PGM_RSRC2:SCRATCH_EN: 0
; COMPUTE_PGM_RSRC2:USER_SGPR: 6
; COMPUTE_PGM_RSRC2:TRAP_HANDLER: 0
; COMPUTE_PGM_RSRC2:TGID_X_EN: 1
; COMPUTE_PGM_RSRC2:TGID_Y_EN: 0
; COMPUTE_PGM_RSRC2:TGID_Z_EN: 0
; COMPUTE_PGM_RSRC2:TIDIG_COMP_CNT: 0
	.section	.text._ZN7rocprim17ROCPRIM_400000_NS6detail17trampoline_kernelINS0_14default_configENS1_25transform_config_selectorImLb1EEEZNS1_14transform_implILb1ES3_S5_PmPjNS0_8identityIvEEEE10hipError_tT2_T3_mT4_P12ihipStream_tbEUlT_E_NS1_11comp_targetILNS1_3genE3ELNS1_11target_archE908ELNS1_3gpuE7ELNS1_3repE0EEENS1_30default_config_static_selectorELNS0_4arch9wavefront6targetE0EEEvT1_,"axG",@progbits,_ZN7rocprim17ROCPRIM_400000_NS6detail17trampoline_kernelINS0_14default_configENS1_25transform_config_selectorImLb1EEEZNS1_14transform_implILb1ES3_S5_PmPjNS0_8identityIvEEEE10hipError_tT2_T3_mT4_P12ihipStream_tbEUlT_E_NS1_11comp_targetILNS1_3genE3ELNS1_11target_archE908ELNS1_3gpuE7ELNS1_3repE0EEENS1_30default_config_static_selectorELNS0_4arch9wavefront6targetE0EEEvT1_,comdat
	.protected	_ZN7rocprim17ROCPRIM_400000_NS6detail17trampoline_kernelINS0_14default_configENS1_25transform_config_selectorImLb1EEEZNS1_14transform_implILb1ES3_S5_PmPjNS0_8identityIvEEEE10hipError_tT2_T3_mT4_P12ihipStream_tbEUlT_E_NS1_11comp_targetILNS1_3genE3ELNS1_11target_archE908ELNS1_3gpuE7ELNS1_3repE0EEENS1_30default_config_static_selectorELNS0_4arch9wavefront6targetE0EEEvT1_ ; -- Begin function _ZN7rocprim17ROCPRIM_400000_NS6detail17trampoline_kernelINS0_14default_configENS1_25transform_config_selectorImLb1EEEZNS1_14transform_implILb1ES3_S5_PmPjNS0_8identityIvEEEE10hipError_tT2_T3_mT4_P12ihipStream_tbEUlT_E_NS1_11comp_targetILNS1_3genE3ELNS1_11target_archE908ELNS1_3gpuE7ELNS1_3repE0EEENS1_30default_config_static_selectorELNS0_4arch9wavefront6targetE0EEEvT1_
	.globl	_ZN7rocprim17ROCPRIM_400000_NS6detail17trampoline_kernelINS0_14default_configENS1_25transform_config_selectorImLb1EEEZNS1_14transform_implILb1ES3_S5_PmPjNS0_8identityIvEEEE10hipError_tT2_T3_mT4_P12ihipStream_tbEUlT_E_NS1_11comp_targetILNS1_3genE3ELNS1_11target_archE908ELNS1_3gpuE7ELNS1_3repE0EEENS1_30default_config_static_selectorELNS0_4arch9wavefront6targetE0EEEvT1_
	.p2align	8
	.type	_ZN7rocprim17ROCPRIM_400000_NS6detail17trampoline_kernelINS0_14default_configENS1_25transform_config_selectorImLb1EEEZNS1_14transform_implILb1ES3_S5_PmPjNS0_8identityIvEEEE10hipError_tT2_T3_mT4_P12ihipStream_tbEUlT_E_NS1_11comp_targetILNS1_3genE3ELNS1_11target_archE908ELNS1_3gpuE7ELNS1_3repE0EEENS1_30default_config_static_selectorELNS0_4arch9wavefront6targetE0EEEvT1_,@function
_ZN7rocprim17ROCPRIM_400000_NS6detail17trampoline_kernelINS0_14default_configENS1_25transform_config_selectorImLb1EEEZNS1_14transform_implILb1ES3_S5_PmPjNS0_8identityIvEEEE10hipError_tT2_T3_mT4_P12ihipStream_tbEUlT_E_NS1_11comp_targetILNS1_3genE3ELNS1_11target_archE908ELNS1_3gpuE7ELNS1_3repE0EEENS1_30default_config_static_selectorELNS0_4arch9wavefront6targetE0EEEvT1_: ; @_ZN7rocprim17ROCPRIM_400000_NS6detail17trampoline_kernelINS0_14default_configENS1_25transform_config_selectorImLb1EEEZNS1_14transform_implILb1ES3_S5_PmPjNS0_8identityIvEEEE10hipError_tT2_T3_mT4_P12ihipStream_tbEUlT_E_NS1_11comp_targetILNS1_3genE3ELNS1_11target_archE908ELNS1_3gpuE7ELNS1_3repE0EEENS1_30default_config_static_selectorELNS0_4arch9wavefront6targetE0EEEvT1_
; %bb.0:
	.section	.rodata,"a",@progbits
	.p2align	6, 0x0
	.amdhsa_kernel _ZN7rocprim17ROCPRIM_400000_NS6detail17trampoline_kernelINS0_14default_configENS1_25transform_config_selectorImLb1EEEZNS1_14transform_implILb1ES3_S5_PmPjNS0_8identityIvEEEE10hipError_tT2_T3_mT4_P12ihipStream_tbEUlT_E_NS1_11comp_targetILNS1_3genE3ELNS1_11target_archE908ELNS1_3gpuE7ELNS1_3repE0EEENS1_30default_config_static_selectorELNS0_4arch9wavefront6targetE0EEEvT1_
		.amdhsa_group_segment_fixed_size 0
		.amdhsa_private_segment_fixed_size 0
		.amdhsa_kernarg_size 40
		.amdhsa_user_sgpr_count 6
		.amdhsa_user_sgpr_private_segment_buffer 1
		.amdhsa_user_sgpr_dispatch_ptr 0
		.amdhsa_user_sgpr_queue_ptr 0
		.amdhsa_user_sgpr_kernarg_segment_ptr 1
		.amdhsa_user_sgpr_dispatch_id 0
		.amdhsa_user_sgpr_flat_scratch_init 0
		.amdhsa_user_sgpr_private_segment_size 0
		.amdhsa_wavefront_size32 1
		.amdhsa_uses_dynamic_stack 0
		.amdhsa_system_sgpr_private_segment_wavefront_offset 0
		.amdhsa_system_sgpr_workgroup_id_x 1
		.amdhsa_system_sgpr_workgroup_id_y 0
		.amdhsa_system_sgpr_workgroup_id_z 0
		.amdhsa_system_sgpr_workgroup_info 0
		.amdhsa_system_vgpr_workitem_id 0
		.amdhsa_next_free_vgpr 1
		.amdhsa_next_free_sgpr 1
		.amdhsa_reserve_vcc 0
		.amdhsa_reserve_flat_scratch 0
		.amdhsa_float_round_mode_32 0
		.amdhsa_float_round_mode_16_64 0
		.amdhsa_float_denorm_mode_32 3
		.amdhsa_float_denorm_mode_16_64 3
		.amdhsa_dx10_clamp 1
		.amdhsa_ieee_mode 1
		.amdhsa_fp16_overflow 0
		.amdhsa_workgroup_processor_mode 1
		.amdhsa_memory_ordered 1
		.amdhsa_forward_progress 1
		.amdhsa_shared_vgpr_count 0
		.amdhsa_exception_fp_ieee_invalid_op 0
		.amdhsa_exception_fp_denorm_src 0
		.amdhsa_exception_fp_ieee_div_zero 0
		.amdhsa_exception_fp_ieee_overflow 0
		.amdhsa_exception_fp_ieee_underflow 0
		.amdhsa_exception_fp_ieee_inexact 0
		.amdhsa_exception_int_div_zero 0
	.end_amdhsa_kernel
	.section	.text._ZN7rocprim17ROCPRIM_400000_NS6detail17trampoline_kernelINS0_14default_configENS1_25transform_config_selectorImLb1EEEZNS1_14transform_implILb1ES3_S5_PmPjNS0_8identityIvEEEE10hipError_tT2_T3_mT4_P12ihipStream_tbEUlT_E_NS1_11comp_targetILNS1_3genE3ELNS1_11target_archE908ELNS1_3gpuE7ELNS1_3repE0EEENS1_30default_config_static_selectorELNS0_4arch9wavefront6targetE0EEEvT1_,"axG",@progbits,_ZN7rocprim17ROCPRIM_400000_NS6detail17trampoline_kernelINS0_14default_configENS1_25transform_config_selectorImLb1EEEZNS1_14transform_implILb1ES3_S5_PmPjNS0_8identityIvEEEE10hipError_tT2_T3_mT4_P12ihipStream_tbEUlT_E_NS1_11comp_targetILNS1_3genE3ELNS1_11target_archE908ELNS1_3gpuE7ELNS1_3repE0EEENS1_30default_config_static_selectorELNS0_4arch9wavefront6targetE0EEEvT1_,comdat
.Lfunc_end16:
	.size	_ZN7rocprim17ROCPRIM_400000_NS6detail17trampoline_kernelINS0_14default_configENS1_25transform_config_selectorImLb1EEEZNS1_14transform_implILb1ES3_S5_PmPjNS0_8identityIvEEEE10hipError_tT2_T3_mT4_P12ihipStream_tbEUlT_E_NS1_11comp_targetILNS1_3genE3ELNS1_11target_archE908ELNS1_3gpuE7ELNS1_3repE0EEENS1_30default_config_static_selectorELNS0_4arch9wavefront6targetE0EEEvT1_, .Lfunc_end16-_ZN7rocprim17ROCPRIM_400000_NS6detail17trampoline_kernelINS0_14default_configENS1_25transform_config_selectorImLb1EEEZNS1_14transform_implILb1ES3_S5_PmPjNS0_8identityIvEEEE10hipError_tT2_T3_mT4_P12ihipStream_tbEUlT_E_NS1_11comp_targetILNS1_3genE3ELNS1_11target_archE908ELNS1_3gpuE7ELNS1_3repE0EEENS1_30default_config_static_selectorELNS0_4arch9wavefront6targetE0EEEvT1_
                                        ; -- End function
	.set _ZN7rocprim17ROCPRIM_400000_NS6detail17trampoline_kernelINS0_14default_configENS1_25transform_config_selectorImLb1EEEZNS1_14transform_implILb1ES3_S5_PmPjNS0_8identityIvEEEE10hipError_tT2_T3_mT4_P12ihipStream_tbEUlT_E_NS1_11comp_targetILNS1_3genE3ELNS1_11target_archE908ELNS1_3gpuE7ELNS1_3repE0EEENS1_30default_config_static_selectorELNS0_4arch9wavefront6targetE0EEEvT1_.num_vgpr, 0
	.set _ZN7rocprim17ROCPRIM_400000_NS6detail17trampoline_kernelINS0_14default_configENS1_25transform_config_selectorImLb1EEEZNS1_14transform_implILb1ES3_S5_PmPjNS0_8identityIvEEEE10hipError_tT2_T3_mT4_P12ihipStream_tbEUlT_E_NS1_11comp_targetILNS1_3genE3ELNS1_11target_archE908ELNS1_3gpuE7ELNS1_3repE0EEENS1_30default_config_static_selectorELNS0_4arch9wavefront6targetE0EEEvT1_.num_agpr, 0
	.set _ZN7rocprim17ROCPRIM_400000_NS6detail17trampoline_kernelINS0_14default_configENS1_25transform_config_selectorImLb1EEEZNS1_14transform_implILb1ES3_S5_PmPjNS0_8identityIvEEEE10hipError_tT2_T3_mT4_P12ihipStream_tbEUlT_E_NS1_11comp_targetILNS1_3genE3ELNS1_11target_archE908ELNS1_3gpuE7ELNS1_3repE0EEENS1_30default_config_static_selectorELNS0_4arch9wavefront6targetE0EEEvT1_.numbered_sgpr, 0
	.set _ZN7rocprim17ROCPRIM_400000_NS6detail17trampoline_kernelINS0_14default_configENS1_25transform_config_selectorImLb1EEEZNS1_14transform_implILb1ES3_S5_PmPjNS0_8identityIvEEEE10hipError_tT2_T3_mT4_P12ihipStream_tbEUlT_E_NS1_11comp_targetILNS1_3genE3ELNS1_11target_archE908ELNS1_3gpuE7ELNS1_3repE0EEENS1_30default_config_static_selectorELNS0_4arch9wavefront6targetE0EEEvT1_.num_named_barrier, 0
	.set _ZN7rocprim17ROCPRIM_400000_NS6detail17trampoline_kernelINS0_14default_configENS1_25transform_config_selectorImLb1EEEZNS1_14transform_implILb1ES3_S5_PmPjNS0_8identityIvEEEE10hipError_tT2_T3_mT4_P12ihipStream_tbEUlT_E_NS1_11comp_targetILNS1_3genE3ELNS1_11target_archE908ELNS1_3gpuE7ELNS1_3repE0EEENS1_30default_config_static_selectorELNS0_4arch9wavefront6targetE0EEEvT1_.private_seg_size, 0
	.set _ZN7rocprim17ROCPRIM_400000_NS6detail17trampoline_kernelINS0_14default_configENS1_25transform_config_selectorImLb1EEEZNS1_14transform_implILb1ES3_S5_PmPjNS0_8identityIvEEEE10hipError_tT2_T3_mT4_P12ihipStream_tbEUlT_E_NS1_11comp_targetILNS1_3genE3ELNS1_11target_archE908ELNS1_3gpuE7ELNS1_3repE0EEENS1_30default_config_static_selectorELNS0_4arch9wavefront6targetE0EEEvT1_.uses_vcc, 0
	.set _ZN7rocprim17ROCPRIM_400000_NS6detail17trampoline_kernelINS0_14default_configENS1_25transform_config_selectorImLb1EEEZNS1_14transform_implILb1ES3_S5_PmPjNS0_8identityIvEEEE10hipError_tT2_T3_mT4_P12ihipStream_tbEUlT_E_NS1_11comp_targetILNS1_3genE3ELNS1_11target_archE908ELNS1_3gpuE7ELNS1_3repE0EEENS1_30default_config_static_selectorELNS0_4arch9wavefront6targetE0EEEvT1_.uses_flat_scratch, 0
	.set _ZN7rocprim17ROCPRIM_400000_NS6detail17trampoline_kernelINS0_14default_configENS1_25transform_config_selectorImLb1EEEZNS1_14transform_implILb1ES3_S5_PmPjNS0_8identityIvEEEE10hipError_tT2_T3_mT4_P12ihipStream_tbEUlT_E_NS1_11comp_targetILNS1_3genE3ELNS1_11target_archE908ELNS1_3gpuE7ELNS1_3repE0EEENS1_30default_config_static_selectorELNS0_4arch9wavefront6targetE0EEEvT1_.has_dyn_sized_stack, 0
	.set _ZN7rocprim17ROCPRIM_400000_NS6detail17trampoline_kernelINS0_14default_configENS1_25transform_config_selectorImLb1EEEZNS1_14transform_implILb1ES3_S5_PmPjNS0_8identityIvEEEE10hipError_tT2_T3_mT4_P12ihipStream_tbEUlT_E_NS1_11comp_targetILNS1_3genE3ELNS1_11target_archE908ELNS1_3gpuE7ELNS1_3repE0EEENS1_30default_config_static_selectorELNS0_4arch9wavefront6targetE0EEEvT1_.has_recursion, 0
	.set _ZN7rocprim17ROCPRIM_400000_NS6detail17trampoline_kernelINS0_14default_configENS1_25transform_config_selectorImLb1EEEZNS1_14transform_implILb1ES3_S5_PmPjNS0_8identityIvEEEE10hipError_tT2_T3_mT4_P12ihipStream_tbEUlT_E_NS1_11comp_targetILNS1_3genE3ELNS1_11target_archE908ELNS1_3gpuE7ELNS1_3repE0EEENS1_30default_config_static_selectorELNS0_4arch9wavefront6targetE0EEEvT1_.has_indirect_call, 0
	.section	.AMDGPU.csdata,"",@progbits
; Kernel info:
; codeLenInByte = 0
; TotalNumSgprs: 0
; NumVgprs: 0
; ScratchSize: 0
; MemoryBound: 0
; FloatMode: 240
; IeeeMode: 1
; LDSByteSize: 0 bytes/workgroup (compile time only)
; SGPRBlocks: 0
; VGPRBlocks: 0
; NumSGPRsForWavesPerEU: 1
; NumVGPRsForWavesPerEU: 1
; Occupancy: 16
; WaveLimiterHint : 0
; COMPUTE_PGM_RSRC2:SCRATCH_EN: 0
; COMPUTE_PGM_RSRC2:USER_SGPR: 6
; COMPUTE_PGM_RSRC2:TRAP_HANDLER: 0
; COMPUTE_PGM_RSRC2:TGID_X_EN: 1
; COMPUTE_PGM_RSRC2:TGID_Y_EN: 0
; COMPUTE_PGM_RSRC2:TGID_Z_EN: 0
; COMPUTE_PGM_RSRC2:TIDIG_COMP_CNT: 0
	.section	.text._ZN7rocprim17ROCPRIM_400000_NS6detail17trampoline_kernelINS0_14default_configENS1_25transform_config_selectorImLb1EEEZNS1_14transform_implILb1ES3_S5_PmPjNS0_8identityIvEEEE10hipError_tT2_T3_mT4_P12ihipStream_tbEUlT_E_NS1_11comp_targetILNS1_3genE2ELNS1_11target_archE906ELNS1_3gpuE6ELNS1_3repE0EEENS1_30default_config_static_selectorELNS0_4arch9wavefront6targetE0EEEvT1_,"axG",@progbits,_ZN7rocprim17ROCPRIM_400000_NS6detail17trampoline_kernelINS0_14default_configENS1_25transform_config_selectorImLb1EEEZNS1_14transform_implILb1ES3_S5_PmPjNS0_8identityIvEEEE10hipError_tT2_T3_mT4_P12ihipStream_tbEUlT_E_NS1_11comp_targetILNS1_3genE2ELNS1_11target_archE906ELNS1_3gpuE6ELNS1_3repE0EEENS1_30default_config_static_selectorELNS0_4arch9wavefront6targetE0EEEvT1_,comdat
	.protected	_ZN7rocprim17ROCPRIM_400000_NS6detail17trampoline_kernelINS0_14default_configENS1_25transform_config_selectorImLb1EEEZNS1_14transform_implILb1ES3_S5_PmPjNS0_8identityIvEEEE10hipError_tT2_T3_mT4_P12ihipStream_tbEUlT_E_NS1_11comp_targetILNS1_3genE2ELNS1_11target_archE906ELNS1_3gpuE6ELNS1_3repE0EEENS1_30default_config_static_selectorELNS0_4arch9wavefront6targetE0EEEvT1_ ; -- Begin function _ZN7rocprim17ROCPRIM_400000_NS6detail17trampoline_kernelINS0_14default_configENS1_25transform_config_selectorImLb1EEEZNS1_14transform_implILb1ES3_S5_PmPjNS0_8identityIvEEEE10hipError_tT2_T3_mT4_P12ihipStream_tbEUlT_E_NS1_11comp_targetILNS1_3genE2ELNS1_11target_archE906ELNS1_3gpuE6ELNS1_3repE0EEENS1_30default_config_static_selectorELNS0_4arch9wavefront6targetE0EEEvT1_
	.globl	_ZN7rocprim17ROCPRIM_400000_NS6detail17trampoline_kernelINS0_14default_configENS1_25transform_config_selectorImLb1EEEZNS1_14transform_implILb1ES3_S5_PmPjNS0_8identityIvEEEE10hipError_tT2_T3_mT4_P12ihipStream_tbEUlT_E_NS1_11comp_targetILNS1_3genE2ELNS1_11target_archE906ELNS1_3gpuE6ELNS1_3repE0EEENS1_30default_config_static_selectorELNS0_4arch9wavefront6targetE0EEEvT1_
	.p2align	8
	.type	_ZN7rocprim17ROCPRIM_400000_NS6detail17trampoline_kernelINS0_14default_configENS1_25transform_config_selectorImLb1EEEZNS1_14transform_implILb1ES3_S5_PmPjNS0_8identityIvEEEE10hipError_tT2_T3_mT4_P12ihipStream_tbEUlT_E_NS1_11comp_targetILNS1_3genE2ELNS1_11target_archE906ELNS1_3gpuE6ELNS1_3repE0EEENS1_30default_config_static_selectorELNS0_4arch9wavefront6targetE0EEEvT1_,@function
_ZN7rocprim17ROCPRIM_400000_NS6detail17trampoline_kernelINS0_14default_configENS1_25transform_config_selectorImLb1EEEZNS1_14transform_implILb1ES3_S5_PmPjNS0_8identityIvEEEE10hipError_tT2_T3_mT4_P12ihipStream_tbEUlT_E_NS1_11comp_targetILNS1_3genE2ELNS1_11target_archE906ELNS1_3gpuE6ELNS1_3repE0EEENS1_30default_config_static_selectorELNS0_4arch9wavefront6targetE0EEEvT1_: ; @_ZN7rocprim17ROCPRIM_400000_NS6detail17trampoline_kernelINS0_14default_configENS1_25transform_config_selectorImLb1EEEZNS1_14transform_implILb1ES3_S5_PmPjNS0_8identityIvEEEE10hipError_tT2_T3_mT4_P12ihipStream_tbEUlT_E_NS1_11comp_targetILNS1_3genE2ELNS1_11target_archE906ELNS1_3gpuE6ELNS1_3repE0EEENS1_30default_config_static_selectorELNS0_4arch9wavefront6targetE0EEEvT1_
; %bb.0:
	.section	.rodata,"a",@progbits
	.p2align	6, 0x0
	.amdhsa_kernel _ZN7rocprim17ROCPRIM_400000_NS6detail17trampoline_kernelINS0_14default_configENS1_25transform_config_selectorImLb1EEEZNS1_14transform_implILb1ES3_S5_PmPjNS0_8identityIvEEEE10hipError_tT2_T3_mT4_P12ihipStream_tbEUlT_E_NS1_11comp_targetILNS1_3genE2ELNS1_11target_archE906ELNS1_3gpuE6ELNS1_3repE0EEENS1_30default_config_static_selectorELNS0_4arch9wavefront6targetE0EEEvT1_
		.amdhsa_group_segment_fixed_size 0
		.amdhsa_private_segment_fixed_size 0
		.amdhsa_kernarg_size 40
		.amdhsa_user_sgpr_count 6
		.amdhsa_user_sgpr_private_segment_buffer 1
		.amdhsa_user_sgpr_dispatch_ptr 0
		.amdhsa_user_sgpr_queue_ptr 0
		.amdhsa_user_sgpr_kernarg_segment_ptr 1
		.amdhsa_user_sgpr_dispatch_id 0
		.amdhsa_user_sgpr_flat_scratch_init 0
		.amdhsa_user_sgpr_private_segment_size 0
		.amdhsa_wavefront_size32 1
		.amdhsa_uses_dynamic_stack 0
		.amdhsa_system_sgpr_private_segment_wavefront_offset 0
		.amdhsa_system_sgpr_workgroup_id_x 1
		.amdhsa_system_sgpr_workgroup_id_y 0
		.amdhsa_system_sgpr_workgroup_id_z 0
		.amdhsa_system_sgpr_workgroup_info 0
		.amdhsa_system_vgpr_workitem_id 0
		.amdhsa_next_free_vgpr 1
		.amdhsa_next_free_sgpr 1
		.amdhsa_reserve_vcc 0
		.amdhsa_reserve_flat_scratch 0
		.amdhsa_float_round_mode_32 0
		.amdhsa_float_round_mode_16_64 0
		.amdhsa_float_denorm_mode_32 3
		.amdhsa_float_denorm_mode_16_64 3
		.amdhsa_dx10_clamp 1
		.amdhsa_ieee_mode 1
		.amdhsa_fp16_overflow 0
		.amdhsa_workgroup_processor_mode 1
		.amdhsa_memory_ordered 1
		.amdhsa_forward_progress 1
		.amdhsa_shared_vgpr_count 0
		.amdhsa_exception_fp_ieee_invalid_op 0
		.amdhsa_exception_fp_denorm_src 0
		.amdhsa_exception_fp_ieee_div_zero 0
		.amdhsa_exception_fp_ieee_overflow 0
		.amdhsa_exception_fp_ieee_underflow 0
		.amdhsa_exception_fp_ieee_inexact 0
		.amdhsa_exception_int_div_zero 0
	.end_amdhsa_kernel
	.section	.text._ZN7rocprim17ROCPRIM_400000_NS6detail17trampoline_kernelINS0_14default_configENS1_25transform_config_selectorImLb1EEEZNS1_14transform_implILb1ES3_S5_PmPjNS0_8identityIvEEEE10hipError_tT2_T3_mT4_P12ihipStream_tbEUlT_E_NS1_11comp_targetILNS1_3genE2ELNS1_11target_archE906ELNS1_3gpuE6ELNS1_3repE0EEENS1_30default_config_static_selectorELNS0_4arch9wavefront6targetE0EEEvT1_,"axG",@progbits,_ZN7rocprim17ROCPRIM_400000_NS6detail17trampoline_kernelINS0_14default_configENS1_25transform_config_selectorImLb1EEEZNS1_14transform_implILb1ES3_S5_PmPjNS0_8identityIvEEEE10hipError_tT2_T3_mT4_P12ihipStream_tbEUlT_E_NS1_11comp_targetILNS1_3genE2ELNS1_11target_archE906ELNS1_3gpuE6ELNS1_3repE0EEENS1_30default_config_static_selectorELNS0_4arch9wavefront6targetE0EEEvT1_,comdat
.Lfunc_end17:
	.size	_ZN7rocprim17ROCPRIM_400000_NS6detail17trampoline_kernelINS0_14default_configENS1_25transform_config_selectorImLb1EEEZNS1_14transform_implILb1ES3_S5_PmPjNS0_8identityIvEEEE10hipError_tT2_T3_mT4_P12ihipStream_tbEUlT_E_NS1_11comp_targetILNS1_3genE2ELNS1_11target_archE906ELNS1_3gpuE6ELNS1_3repE0EEENS1_30default_config_static_selectorELNS0_4arch9wavefront6targetE0EEEvT1_, .Lfunc_end17-_ZN7rocprim17ROCPRIM_400000_NS6detail17trampoline_kernelINS0_14default_configENS1_25transform_config_selectorImLb1EEEZNS1_14transform_implILb1ES3_S5_PmPjNS0_8identityIvEEEE10hipError_tT2_T3_mT4_P12ihipStream_tbEUlT_E_NS1_11comp_targetILNS1_3genE2ELNS1_11target_archE906ELNS1_3gpuE6ELNS1_3repE0EEENS1_30default_config_static_selectorELNS0_4arch9wavefront6targetE0EEEvT1_
                                        ; -- End function
	.set _ZN7rocprim17ROCPRIM_400000_NS6detail17trampoline_kernelINS0_14default_configENS1_25transform_config_selectorImLb1EEEZNS1_14transform_implILb1ES3_S5_PmPjNS0_8identityIvEEEE10hipError_tT2_T3_mT4_P12ihipStream_tbEUlT_E_NS1_11comp_targetILNS1_3genE2ELNS1_11target_archE906ELNS1_3gpuE6ELNS1_3repE0EEENS1_30default_config_static_selectorELNS0_4arch9wavefront6targetE0EEEvT1_.num_vgpr, 0
	.set _ZN7rocprim17ROCPRIM_400000_NS6detail17trampoline_kernelINS0_14default_configENS1_25transform_config_selectorImLb1EEEZNS1_14transform_implILb1ES3_S5_PmPjNS0_8identityIvEEEE10hipError_tT2_T3_mT4_P12ihipStream_tbEUlT_E_NS1_11comp_targetILNS1_3genE2ELNS1_11target_archE906ELNS1_3gpuE6ELNS1_3repE0EEENS1_30default_config_static_selectorELNS0_4arch9wavefront6targetE0EEEvT1_.num_agpr, 0
	.set _ZN7rocprim17ROCPRIM_400000_NS6detail17trampoline_kernelINS0_14default_configENS1_25transform_config_selectorImLb1EEEZNS1_14transform_implILb1ES3_S5_PmPjNS0_8identityIvEEEE10hipError_tT2_T3_mT4_P12ihipStream_tbEUlT_E_NS1_11comp_targetILNS1_3genE2ELNS1_11target_archE906ELNS1_3gpuE6ELNS1_3repE0EEENS1_30default_config_static_selectorELNS0_4arch9wavefront6targetE0EEEvT1_.numbered_sgpr, 0
	.set _ZN7rocprim17ROCPRIM_400000_NS6detail17trampoline_kernelINS0_14default_configENS1_25transform_config_selectorImLb1EEEZNS1_14transform_implILb1ES3_S5_PmPjNS0_8identityIvEEEE10hipError_tT2_T3_mT4_P12ihipStream_tbEUlT_E_NS1_11comp_targetILNS1_3genE2ELNS1_11target_archE906ELNS1_3gpuE6ELNS1_3repE0EEENS1_30default_config_static_selectorELNS0_4arch9wavefront6targetE0EEEvT1_.num_named_barrier, 0
	.set _ZN7rocprim17ROCPRIM_400000_NS6detail17trampoline_kernelINS0_14default_configENS1_25transform_config_selectorImLb1EEEZNS1_14transform_implILb1ES3_S5_PmPjNS0_8identityIvEEEE10hipError_tT2_T3_mT4_P12ihipStream_tbEUlT_E_NS1_11comp_targetILNS1_3genE2ELNS1_11target_archE906ELNS1_3gpuE6ELNS1_3repE0EEENS1_30default_config_static_selectorELNS0_4arch9wavefront6targetE0EEEvT1_.private_seg_size, 0
	.set _ZN7rocprim17ROCPRIM_400000_NS6detail17trampoline_kernelINS0_14default_configENS1_25transform_config_selectorImLb1EEEZNS1_14transform_implILb1ES3_S5_PmPjNS0_8identityIvEEEE10hipError_tT2_T3_mT4_P12ihipStream_tbEUlT_E_NS1_11comp_targetILNS1_3genE2ELNS1_11target_archE906ELNS1_3gpuE6ELNS1_3repE0EEENS1_30default_config_static_selectorELNS0_4arch9wavefront6targetE0EEEvT1_.uses_vcc, 0
	.set _ZN7rocprim17ROCPRIM_400000_NS6detail17trampoline_kernelINS0_14default_configENS1_25transform_config_selectorImLb1EEEZNS1_14transform_implILb1ES3_S5_PmPjNS0_8identityIvEEEE10hipError_tT2_T3_mT4_P12ihipStream_tbEUlT_E_NS1_11comp_targetILNS1_3genE2ELNS1_11target_archE906ELNS1_3gpuE6ELNS1_3repE0EEENS1_30default_config_static_selectorELNS0_4arch9wavefront6targetE0EEEvT1_.uses_flat_scratch, 0
	.set _ZN7rocprim17ROCPRIM_400000_NS6detail17trampoline_kernelINS0_14default_configENS1_25transform_config_selectorImLb1EEEZNS1_14transform_implILb1ES3_S5_PmPjNS0_8identityIvEEEE10hipError_tT2_T3_mT4_P12ihipStream_tbEUlT_E_NS1_11comp_targetILNS1_3genE2ELNS1_11target_archE906ELNS1_3gpuE6ELNS1_3repE0EEENS1_30default_config_static_selectorELNS0_4arch9wavefront6targetE0EEEvT1_.has_dyn_sized_stack, 0
	.set _ZN7rocprim17ROCPRIM_400000_NS6detail17trampoline_kernelINS0_14default_configENS1_25transform_config_selectorImLb1EEEZNS1_14transform_implILb1ES3_S5_PmPjNS0_8identityIvEEEE10hipError_tT2_T3_mT4_P12ihipStream_tbEUlT_E_NS1_11comp_targetILNS1_3genE2ELNS1_11target_archE906ELNS1_3gpuE6ELNS1_3repE0EEENS1_30default_config_static_selectorELNS0_4arch9wavefront6targetE0EEEvT1_.has_recursion, 0
	.set _ZN7rocprim17ROCPRIM_400000_NS6detail17trampoline_kernelINS0_14default_configENS1_25transform_config_selectorImLb1EEEZNS1_14transform_implILb1ES3_S5_PmPjNS0_8identityIvEEEE10hipError_tT2_T3_mT4_P12ihipStream_tbEUlT_E_NS1_11comp_targetILNS1_3genE2ELNS1_11target_archE906ELNS1_3gpuE6ELNS1_3repE0EEENS1_30default_config_static_selectorELNS0_4arch9wavefront6targetE0EEEvT1_.has_indirect_call, 0
	.section	.AMDGPU.csdata,"",@progbits
; Kernel info:
; codeLenInByte = 0
; TotalNumSgprs: 0
; NumVgprs: 0
; ScratchSize: 0
; MemoryBound: 0
; FloatMode: 240
; IeeeMode: 1
; LDSByteSize: 0 bytes/workgroup (compile time only)
; SGPRBlocks: 0
; VGPRBlocks: 0
; NumSGPRsForWavesPerEU: 1
; NumVGPRsForWavesPerEU: 1
; Occupancy: 16
; WaveLimiterHint : 0
; COMPUTE_PGM_RSRC2:SCRATCH_EN: 0
; COMPUTE_PGM_RSRC2:USER_SGPR: 6
; COMPUTE_PGM_RSRC2:TRAP_HANDLER: 0
; COMPUTE_PGM_RSRC2:TGID_X_EN: 1
; COMPUTE_PGM_RSRC2:TGID_Y_EN: 0
; COMPUTE_PGM_RSRC2:TGID_Z_EN: 0
; COMPUTE_PGM_RSRC2:TIDIG_COMP_CNT: 0
	.section	.text._ZN7rocprim17ROCPRIM_400000_NS6detail17trampoline_kernelINS0_14default_configENS1_25transform_config_selectorImLb1EEEZNS1_14transform_implILb1ES3_S5_PmPjNS0_8identityIvEEEE10hipError_tT2_T3_mT4_P12ihipStream_tbEUlT_E_NS1_11comp_targetILNS1_3genE9ELNS1_11target_archE1100ELNS1_3gpuE3ELNS1_3repE0EEENS1_30default_config_static_selectorELNS0_4arch9wavefront6targetE0EEEvT1_,"axG",@progbits,_ZN7rocprim17ROCPRIM_400000_NS6detail17trampoline_kernelINS0_14default_configENS1_25transform_config_selectorImLb1EEEZNS1_14transform_implILb1ES3_S5_PmPjNS0_8identityIvEEEE10hipError_tT2_T3_mT4_P12ihipStream_tbEUlT_E_NS1_11comp_targetILNS1_3genE9ELNS1_11target_archE1100ELNS1_3gpuE3ELNS1_3repE0EEENS1_30default_config_static_selectorELNS0_4arch9wavefront6targetE0EEEvT1_,comdat
	.protected	_ZN7rocprim17ROCPRIM_400000_NS6detail17trampoline_kernelINS0_14default_configENS1_25transform_config_selectorImLb1EEEZNS1_14transform_implILb1ES3_S5_PmPjNS0_8identityIvEEEE10hipError_tT2_T3_mT4_P12ihipStream_tbEUlT_E_NS1_11comp_targetILNS1_3genE9ELNS1_11target_archE1100ELNS1_3gpuE3ELNS1_3repE0EEENS1_30default_config_static_selectorELNS0_4arch9wavefront6targetE0EEEvT1_ ; -- Begin function _ZN7rocprim17ROCPRIM_400000_NS6detail17trampoline_kernelINS0_14default_configENS1_25transform_config_selectorImLb1EEEZNS1_14transform_implILb1ES3_S5_PmPjNS0_8identityIvEEEE10hipError_tT2_T3_mT4_P12ihipStream_tbEUlT_E_NS1_11comp_targetILNS1_3genE9ELNS1_11target_archE1100ELNS1_3gpuE3ELNS1_3repE0EEENS1_30default_config_static_selectorELNS0_4arch9wavefront6targetE0EEEvT1_
	.globl	_ZN7rocprim17ROCPRIM_400000_NS6detail17trampoline_kernelINS0_14default_configENS1_25transform_config_selectorImLb1EEEZNS1_14transform_implILb1ES3_S5_PmPjNS0_8identityIvEEEE10hipError_tT2_T3_mT4_P12ihipStream_tbEUlT_E_NS1_11comp_targetILNS1_3genE9ELNS1_11target_archE1100ELNS1_3gpuE3ELNS1_3repE0EEENS1_30default_config_static_selectorELNS0_4arch9wavefront6targetE0EEEvT1_
	.p2align	8
	.type	_ZN7rocprim17ROCPRIM_400000_NS6detail17trampoline_kernelINS0_14default_configENS1_25transform_config_selectorImLb1EEEZNS1_14transform_implILb1ES3_S5_PmPjNS0_8identityIvEEEE10hipError_tT2_T3_mT4_P12ihipStream_tbEUlT_E_NS1_11comp_targetILNS1_3genE9ELNS1_11target_archE1100ELNS1_3gpuE3ELNS1_3repE0EEENS1_30default_config_static_selectorELNS0_4arch9wavefront6targetE0EEEvT1_,@function
_ZN7rocprim17ROCPRIM_400000_NS6detail17trampoline_kernelINS0_14default_configENS1_25transform_config_selectorImLb1EEEZNS1_14transform_implILb1ES3_S5_PmPjNS0_8identityIvEEEE10hipError_tT2_T3_mT4_P12ihipStream_tbEUlT_E_NS1_11comp_targetILNS1_3genE9ELNS1_11target_archE1100ELNS1_3gpuE3ELNS1_3repE0EEENS1_30default_config_static_selectorELNS0_4arch9wavefront6targetE0EEEvT1_: ; @_ZN7rocprim17ROCPRIM_400000_NS6detail17trampoline_kernelINS0_14default_configENS1_25transform_config_selectorImLb1EEEZNS1_14transform_implILb1ES3_S5_PmPjNS0_8identityIvEEEE10hipError_tT2_T3_mT4_P12ihipStream_tbEUlT_E_NS1_11comp_targetILNS1_3genE9ELNS1_11target_archE1100ELNS1_3gpuE3ELNS1_3repE0EEENS1_30default_config_static_selectorELNS0_4arch9wavefront6targetE0EEEvT1_
; %bb.0:
	.section	.rodata,"a",@progbits
	.p2align	6, 0x0
	.amdhsa_kernel _ZN7rocprim17ROCPRIM_400000_NS6detail17trampoline_kernelINS0_14default_configENS1_25transform_config_selectorImLb1EEEZNS1_14transform_implILb1ES3_S5_PmPjNS0_8identityIvEEEE10hipError_tT2_T3_mT4_P12ihipStream_tbEUlT_E_NS1_11comp_targetILNS1_3genE9ELNS1_11target_archE1100ELNS1_3gpuE3ELNS1_3repE0EEENS1_30default_config_static_selectorELNS0_4arch9wavefront6targetE0EEEvT1_
		.amdhsa_group_segment_fixed_size 0
		.amdhsa_private_segment_fixed_size 0
		.amdhsa_kernarg_size 40
		.amdhsa_user_sgpr_count 6
		.amdhsa_user_sgpr_private_segment_buffer 1
		.amdhsa_user_sgpr_dispatch_ptr 0
		.amdhsa_user_sgpr_queue_ptr 0
		.amdhsa_user_sgpr_kernarg_segment_ptr 1
		.amdhsa_user_sgpr_dispatch_id 0
		.amdhsa_user_sgpr_flat_scratch_init 0
		.amdhsa_user_sgpr_private_segment_size 0
		.amdhsa_wavefront_size32 1
		.amdhsa_uses_dynamic_stack 0
		.amdhsa_system_sgpr_private_segment_wavefront_offset 0
		.amdhsa_system_sgpr_workgroup_id_x 1
		.amdhsa_system_sgpr_workgroup_id_y 0
		.amdhsa_system_sgpr_workgroup_id_z 0
		.amdhsa_system_sgpr_workgroup_info 0
		.amdhsa_system_vgpr_workitem_id 0
		.amdhsa_next_free_vgpr 1
		.amdhsa_next_free_sgpr 1
		.amdhsa_reserve_vcc 0
		.amdhsa_reserve_flat_scratch 0
		.amdhsa_float_round_mode_32 0
		.amdhsa_float_round_mode_16_64 0
		.amdhsa_float_denorm_mode_32 3
		.amdhsa_float_denorm_mode_16_64 3
		.amdhsa_dx10_clamp 1
		.amdhsa_ieee_mode 1
		.amdhsa_fp16_overflow 0
		.amdhsa_workgroup_processor_mode 1
		.amdhsa_memory_ordered 1
		.amdhsa_forward_progress 1
		.amdhsa_shared_vgpr_count 0
		.amdhsa_exception_fp_ieee_invalid_op 0
		.amdhsa_exception_fp_denorm_src 0
		.amdhsa_exception_fp_ieee_div_zero 0
		.amdhsa_exception_fp_ieee_overflow 0
		.amdhsa_exception_fp_ieee_underflow 0
		.amdhsa_exception_fp_ieee_inexact 0
		.amdhsa_exception_int_div_zero 0
	.end_amdhsa_kernel
	.section	.text._ZN7rocprim17ROCPRIM_400000_NS6detail17trampoline_kernelINS0_14default_configENS1_25transform_config_selectorImLb1EEEZNS1_14transform_implILb1ES3_S5_PmPjNS0_8identityIvEEEE10hipError_tT2_T3_mT4_P12ihipStream_tbEUlT_E_NS1_11comp_targetILNS1_3genE9ELNS1_11target_archE1100ELNS1_3gpuE3ELNS1_3repE0EEENS1_30default_config_static_selectorELNS0_4arch9wavefront6targetE0EEEvT1_,"axG",@progbits,_ZN7rocprim17ROCPRIM_400000_NS6detail17trampoline_kernelINS0_14default_configENS1_25transform_config_selectorImLb1EEEZNS1_14transform_implILb1ES3_S5_PmPjNS0_8identityIvEEEE10hipError_tT2_T3_mT4_P12ihipStream_tbEUlT_E_NS1_11comp_targetILNS1_3genE9ELNS1_11target_archE1100ELNS1_3gpuE3ELNS1_3repE0EEENS1_30default_config_static_selectorELNS0_4arch9wavefront6targetE0EEEvT1_,comdat
.Lfunc_end18:
	.size	_ZN7rocprim17ROCPRIM_400000_NS6detail17trampoline_kernelINS0_14default_configENS1_25transform_config_selectorImLb1EEEZNS1_14transform_implILb1ES3_S5_PmPjNS0_8identityIvEEEE10hipError_tT2_T3_mT4_P12ihipStream_tbEUlT_E_NS1_11comp_targetILNS1_3genE9ELNS1_11target_archE1100ELNS1_3gpuE3ELNS1_3repE0EEENS1_30default_config_static_selectorELNS0_4arch9wavefront6targetE0EEEvT1_, .Lfunc_end18-_ZN7rocprim17ROCPRIM_400000_NS6detail17trampoline_kernelINS0_14default_configENS1_25transform_config_selectorImLb1EEEZNS1_14transform_implILb1ES3_S5_PmPjNS0_8identityIvEEEE10hipError_tT2_T3_mT4_P12ihipStream_tbEUlT_E_NS1_11comp_targetILNS1_3genE9ELNS1_11target_archE1100ELNS1_3gpuE3ELNS1_3repE0EEENS1_30default_config_static_selectorELNS0_4arch9wavefront6targetE0EEEvT1_
                                        ; -- End function
	.set _ZN7rocprim17ROCPRIM_400000_NS6detail17trampoline_kernelINS0_14default_configENS1_25transform_config_selectorImLb1EEEZNS1_14transform_implILb1ES3_S5_PmPjNS0_8identityIvEEEE10hipError_tT2_T3_mT4_P12ihipStream_tbEUlT_E_NS1_11comp_targetILNS1_3genE9ELNS1_11target_archE1100ELNS1_3gpuE3ELNS1_3repE0EEENS1_30default_config_static_selectorELNS0_4arch9wavefront6targetE0EEEvT1_.num_vgpr, 0
	.set _ZN7rocprim17ROCPRIM_400000_NS6detail17trampoline_kernelINS0_14default_configENS1_25transform_config_selectorImLb1EEEZNS1_14transform_implILb1ES3_S5_PmPjNS0_8identityIvEEEE10hipError_tT2_T3_mT4_P12ihipStream_tbEUlT_E_NS1_11comp_targetILNS1_3genE9ELNS1_11target_archE1100ELNS1_3gpuE3ELNS1_3repE0EEENS1_30default_config_static_selectorELNS0_4arch9wavefront6targetE0EEEvT1_.num_agpr, 0
	.set _ZN7rocprim17ROCPRIM_400000_NS6detail17trampoline_kernelINS0_14default_configENS1_25transform_config_selectorImLb1EEEZNS1_14transform_implILb1ES3_S5_PmPjNS0_8identityIvEEEE10hipError_tT2_T3_mT4_P12ihipStream_tbEUlT_E_NS1_11comp_targetILNS1_3genE9ELNS1_11target_archE1100ELNS1_3gpuE3ELNS1_3repE0EEENS1_30default_config_static_selectorELNS0_4arch9wavefront6targetE0EEEvT1_.numbered_sgpr, 0
	.set _ZN7rocprim17ROCPRIM_400000_NS6detail17trampoline_kernelINS0_14default_configENS1_25transform_config_selectorImLb1EEEZNS1_14transform_implILb1ES3_S5_PmPjNS0_8identityIvEEEE10hipError_tT2_T3_mT4_P12ihipStream_tbEUlT_E_NS1_11comp_targetILNS1_3genE9ELNS1_11target_archE1100ELNS1_3gpuE3ELNS1_3repE0EEENS1_30default_config_static_selectorELNS0_4arch9wavefront6targetE0EEEvT1_.num_named_barrier, 0
	.set _ZN7rocprim17ROCPRIM_400000_NS6detail17trampoline_kernelINS0_14default_configENS1_25transform_config_selectorImLb1EEEZNS1_14transform_implILb1ES3_S5_PmPjNS0_8identityIvEEEE10hipError_tT2_T3_mT4_P12ihipStream_tbEUlT_E_NS1_11comp_targetILNS1_3genE9ELNS1_11target_archE1100ELNS1_3gpuE3ELNS1_3repE0EEENS1_30default_config_static_selectorELNS0_4arch9wavefront6targetE0EEEvT1_.private_seg_size, 0
	.set _ZN7rocprim17ROCPRIM_400000_NS6detail17trampoline_kernelINS0_14default_configENS1_25transform_config_selectorImLb1EEEZNS1_14transform_implILb1ES3_S5_PmPjNS0_8identityIvEEEE10hipError_tT2_T3_mT4_P12ihipStream_tbEUlT_E_NS1_11comp_targetILNS1_3genE9ELNS1_11target_archE1100ELNS1_3gpuE3ELNS1_3repE0EEENS1_30default_config_static_selectorELNS0_4arch9wavefront6targetE0EEEvT1_.uses_vcc, 0
	.set _ZN7rocprim17ROCPRIM_400000_NS6detail17trampoline_kernelINS0_14default_configENS1_25transform_config_selectorImLb1EEEZNS1_14transform_implILb1ES3_S5_PmPjNS0_8identityIvEEEE10hipError_tT2_T3_mT4_P12ihipStream_tbEUlT_E_NS1_11comp_targetILNS1_3genE9ELNS1_11target_archE1100ELNS1_3gpuE3ELNS1_3repE0EEENS1_30default_config_static_selectorELNS0_4arch9wavefront6targetE0EEEvT1_.uses_flat_scratch, 0
	.set _ZN7rocprim17ROCPRIM_400000_NS6detail17trampoline_kernelINS0_14default_configENS1_25transform_config_selectorImLb1EEEZNS1_14transform_implILb1ES3_S5_PmPjNS0_8identityIvEEEE10hipError_tT2_T3_mT4_P12ihipStream_tbEUlT_E_NS1_11comp_targetILNS1_3genE9ELNS1_11target_archE1100ELNS1_3gpuE3ELNS1_3repE0EEENS1_30default_config_static_selectorELNS0_4arch9wavefront6targetE0EEEvT1_.has_dyn_sized_stack, 0
	.set _ZN7rocprim17ROCPRIM_400000_NS6detail17trampoline_kernelINS0_14default_configENS1_25transform_config_selectorImLb1EEEZNS1_14transform_implILb1ES3_S5_PmPjNS0_8identityIvEEEE10hipError_tT2_T3_mT4_P12ihipStream_tbEUlT_E_NS1_11comp_targetILNS1_3genE9ELNS1_11target_archE1100ELNS1_3gpuE3ELNS1_3repE0EEENS1_30default_config_static_selectorELNS0_4arch9wavefront6targetE0EEEvT1_.has_recursion, 0
	.set _ZN7rocprim17ROCPRIM_400000_NS6detail17trampoline_kernelINS0_14default_configENS1_25transform_config_selectorImLb1EEEZNS1_14transform_implILb1ES3_S5_PmPjNS0_8identityIvEEEE10hipError_tT2_T3_mT4_P12ihipStream_tbEUlT_E_NS1_11comp_targetILNS1_3genE9ELNS1_11target_archE1100ELNS1_3gpuE3ELNS1_3repE0EEENS1_30default_config_static_selectorELNS0_4arch9wavefront6targetE0EEEvT1_.has_indirect_call, 0
	.section	.AMDGPU.csdata,"",@progbits
; Kernel info:
; codeLenInByte = 0
; TotalNumSgprs: 0
; NumVgprs: 0
; ScratchSize: 0
; MemoryBound: 0
; FloatMode: 240
; IeeeMode: 1
; LDSByteSize: 0 bytes/workgroup (compile time only)
; SGPRBlocks: 0
; VGPRBlocks: 0
; NumSGPRsForWavesPerEU: 1
; NumVGPRsForWavesPerEU: 1
; Occupancy: 16
; WaveLimiterHint : 0
; COMPUTE_PGM_RSRC2:SCRATCH_EN: 0
; COMPUTE_PGM_RSRC2:USER_SGPR: 6
; COMPUTE_PGM_RSRC2:TRAP_HANDLER: 0
; COMPUTE_PGM_RSRC2:TGID_X_EN: 1
; COMPUTE_PGM_RSRC2:TGID_Y_EN: 0
; COMPUTE_PGM_RSRC2:TGID_Z_EN: 0
; COMPUTE_PGM_RSRC2:TIDIG_COMP_CNT: 0
	.section	.text._ZN7rocprim17ROCPRIM_400000_NS6detail17trampoline_kernelINS0_14default_configENS1_25transform_config_selectorImLb1EEEZNS1_14transform_implILb1ES3_S5_PmPjNS0_8identityIvEEEE10hipError_tT2_T3_mT4_P12ihipStream_tbEUlT_E_NS1_11comp_targetILNS1_3genE8ELNS1_11target_archE1030ELNS1_3gpuE2ELNS1_3repE0EEENS1_30default_config_static_selectorELNS0_4arch9wavefront6targetE0EEEvT1_,"axG",@progbits,_ZN7rocprim17ROCPRIM_400000_NS6detail17trampoline_kernelINS0_14default_configENS1_25transform_config_selectorImLb1EEEZNS1_14transform_implILb1ES3_S5_PmPjNS0_8identityIvEEEE10hipError_tT2_T3_mT4_P12ihipStream_tbEUlT_E_NS1_11comp_targetILNS1_3genE8ELNS1_11target_archE1030ELNS1_3gpuE2ELNS1_3repE0EEENS1_30default_config_static_selectorELNS0_4arch9wavefront6targetE0EEEvT1_,comdat
	.protected	_ZN7rocprim17ROCPRIM_400000_NS6detail17trampoline_kernelINS0_14default_configENS1_25transform_config_selectorImLb1EEEZNS1_14transform_implILb1ES3_S5_PmPjNS0_8identityIvEEEE10hipError_tT2_T3_mT4_P12ihipStream_tbEUlT_E_NS1_11comp_targetILNS1_3genE8ELNS1_11target_archE1030ELNS1_3gpuE2ELNS1_3repE0EEENS1_30default_config_static_selectorELNS0_4arch9wavefront6targetE0EEEvT1_ ; -- Begin function _ZN7rocprim17ROCPRIM_400000_NS6detail17trampoline_kernelINS0_14default_configENS1_25transform_config_selectorImLb1EEEZNS1_14transform_implILb1ES3_S5_PmPjNS0_8identityIvEEEE10hipError_tT2_T3_mT4_P12ihipStream_tbEUlT_E_NS1_11comp_targetILNS1_3genE8ELNS1_11target_archE1030ELNS1_3gpuE2ELNS1_3repE0EEENS1_30default_config_static_selectorELNS0_4arch9wavefront6targetE0EEEvT1_
	.globl	_ZN7rocprim17ROCPRIM_400000_NS6detail17trampoline_kernelINS0_14default_configENS1_25transform_config_selectorImLb1EEEZNS1_14transform_implILb1ES3_S5_PmPjNS0_8identityIvEEEE10hipError_tT2_T3_mT4_P12ihipStream_tbEUlT_E_NS1_11comp_targetILNS1_3genE8ELNS1_11target_archE1030ELNS1_3gpuE2ELNS1_3repE0EEENS1_30default_config_static_selectorELNS0_4arch9wavefront6targetE0EEEvT1_
	.p2align	8
	.type	_ZN7rocprim17ROCPRIM_400000_NS6detail17trampoline_kernelINS0_14default_configENS1_25transform_config_selectorImLb1EEEZNS1_14transform_implILb1ES3_S5_PmPjNS0_8identityIvEEEE10hipError_tT2_T3_mT4_P12ihipStream_tbEUlT_E_NS1_11comp_targetILNS1_3genE8ELNS1_11target_archE1030ELNS1_3gpuE2ELNS1_3repE0EEENS1_30default_config_static_selectorELNS0_4arch9wavefront6targetE0EEEvT1_,@function
_ZN7rocprim17ROCPRIM_400000_NS6detail17trampoline_kernelINS0_14default_configENS1_25transform_config_selectorImLb1EEEZNS1_14transform_implILb1ES3_S5_PmPjNS0_8identityIvEEEE10hipError_tT2_T3_mT4_P12ihipStream_tbEUlT_E_NS1_11comp_targetILNS1_3genE8ELNS1_11target_archE1030ELNS1_3gpuE2ELNS1_3repE0EEENS1_30default_config_static_selectorELNS0_4arch9wavefront6targetE0EEEvT1_: ; @_ZN7rocprim17ROCPRIM_400000_NS6detail17trampoline_kernelINS0_14default_configENS1_25transform_config_selectorImLb1EEEZNS1_14transform_implILb1ES3_S5_PmPjNS0_8identityIvEEEE10hipError_tT2_T3_mT4_P12ihipStream_tbEUlT_E_NS1_11comp_targetILNS1_3genE8ELNS1_11target_archE1030ELNS1_3gpuE2ELNS1_3repE0EEENS1_30default_config_static_selectorELNS0_4arch9wavefront6targetE0EEEvT1_
; %bb.0:
	s_clause 0x1
	s_load_dword s0, s[4:5], 0x28
	s_load_dword s1, s[4:5], 0x10
	s_waitcnt lgkmcnt(0)
	s_add_i32 s2, s0, -1
	s_lshl_b32 s0, s6, 10
	s_cmp_lg_u32 s6, s2
	s_cselect_b32 s2, -1, 0
	s_sub_i32 s1, s1, s0
	v_cmp_gt_u32_e32 vcc_lo, s1, v0
	s_or_b32 s1, vcc_lo, s2
	s_and_saveexec_b32 s2, s1
	s_cbranch_execz .LBB19_2
; %bb.1:
	s_clause 0x1
	s_load_dwordx4 s[8:11], s[4:5], 0x0
	s_load_dwordx2 s[2:3], s[4:5], 0x18
	s_mov_b32 s1, 0
	v_lshlrev_b32_e32 v1, 3, v0
	v_lshlrev_b32_e32 v0, 2, v0
	s_waitcnt lgkmcnt(0)
	s_lshl_b64 s[4:5], s[10:11], 3
	s_add_u32 s6, s8, s4
	s_addc_u32 s7, s9, s5
	s_lshl_b64 s[4:5], s[0:1], 3
	s_add_u32 s4, s6, s4
	s_addc_u32 s5, s7, s5
	global_load_dword v1, v1, s[4:5]
	s_lshl_b64 s[4:5], s[10:11], 2
	s_add_u32 s2, s2, s4
	s_addc_u32 s3, s3, s5
	s_lshl_b64 s[0:1], s[0:1], 2
	s_add_u32 s0, s2, s0
	s_addc_u32 s1, s3, s1
	s_waitcnt vmcnt(0)
	global_store_dword v0, v1, s[0:1]
.LBB19_2:
	s_endpgm
	.section	.rodata,"a",@progbits
	.p2align	6, 0x0
	.amdhsa_kernel _ZN7rocprim17ROCPRIM_400000_NS6detail17trampoline_kernelINS0_14default_configENS1_25transform_config_selectorImLb1EEEZNS1_14transform_implILb1ES3_S5_PmPjNS0_8identityIvEEEE10hipError_tT2_T3_mT4_P12ihipStream_tbEUlT_E_NS1_11comp_targetILNS1_3genE8ELNS1_11target_archE1030ELNS1_3gpuE2ELNS1_3repE0EEENS1_30default_config_static_selectorELNS0_4arch9wavefront6targetE0EEEvT1_
		.amdhsa_group_segment_fixed_size 0
		.amdhsa_private_segment_fixed_size 0
		.amdhsa_kernarg_size 296
		.amdhsa_user_sgpr_count 6
		.amdhsa_user_sgpr_private_segment_buffer 1
		.amdhsa_user_sgpr_dispatch_ptr 0
		.amdhsa_user_sgpr_queue_ptr 0
		.amdhsa_user_sgpr_kernarg_segment_ptr 1
		.amdhsa_user_sgpr_dispatch_id 0
		.amdhsa_user_sgpr_flat_scratch_init 0
		.amdhsa_user_sgpr_private_segment_size 0
		.amdhsa_wavefront_size32 1
		.amdhsa_uses_dynamic_stack 0
		.amdhsa_system_sgpr_private_segment_wavefront_offset 0
		.amdhsa_system_sgpr_workgroup_id_x 1
		.amdhsa_system_sgpr_workgroup_id_y 0
		.amdhsa_system_sgpr_workgroup_id_z 0
		.amdhsa_system_sgpr_workgroup_info 0
		.amdhsa_system_vgpr_workitem_id 0
		.amdhsa_next_free_vgpr 2
		.amdhsa_next_free_sgpr 12
		.amdhsa_reserve_vcc 1
		.amdhsa_reserve_flat_scratch 0
		.amdhsa_float_round_mode_32 0
		.amdhsa_float_round_mode_16_64 0
		.amdhsa_float_denorm_mode_32 3
		.amdhsa_float_denorm_mode_16_64 3
		.amdhsa_dx10_clamp 1
		.amdhsa_ieee_mode 1
		.amdhsa_fp16_overflow 0
		.amdhsa_workgroup_processor_mode 1
		.amdhsa_memory_ordered 1
		.amdhsa_forward_progress 1
		.amdhsa_shared_vgpr_count 0
		.amdhsa_exception_fp_ieee_invalid_op 0
		.amdhsa_exception_fp_denorm_src 0
		.amdhsa_exception_fp_ieee_div_zero 0
		.amdhsa_exception_fp_ieee_overflow 0
		.amdhsa_exception_fp_ieee_underflow 0
		.amdhsa_exception_fp_ieee_inexact 0
		.amdhsa_exception_int_div_zero 0
	.end_amdhsa_kernel
	.section	.text._ZN7rocprim17ROCPRIM_400000_NS6detail17trampoline_kernelINS0_14default_configENS1_25transform_config_selectorImLb1EEEZNS1_14transform_implILb1ES3_S5_PmPjNS0_8identityIvEEEE10hipError_tT2_T3_mT4_P12ihipStream_tbEUlT_E_NS1_11comp_targetILNS1_3genE8ELNS1_11target_archE1030ELNS1_3gpuE2ELNS1_3repE0EEENS1_30default_config_static_selectorELNS0_4arch9wavefront6targetE0EEEvT1_,"axG",@progbits,_ZN7rocprim17ROCPRIM_400000_NS6detail17trampoline_kernelINS0_14default_configENS1_25transform_config_selectorImLb1EEEZNS1_14transform_implILb1ES3_S5_PmPjNS0_8identityIvEEEE10hipError_tT2_T3_mT4_P12ihipStream_tbEUlT_E_NS1_11comp_targetILNS1_3genE8ELNS1_11target_archE1030ELNS1_3gpuE2ELNS1_3repE0EEENS1_30default_config_static_selectorELNS0_4arch9wavefront6targetE0EEEvT1_,comdat
.Lfunc_end19:
	.size	_ZN7rocprim17ROCPRIM_400000_NS6detail17trampoline_kernelINS0_14default_configENS1_25transform_config_selectorImLb1EEEZNS1_14transform_implILb1ES3_S5_PmPjNS0_8identityIvEEEE10hipError_tT2_T3_mT4_P12ihipStream_tbEUlT_E_NS1_11comp_targetILNS1_3genE8ELNS1_11target_archE1030ELNS1_3gpuE2ELNS1_3repE0EEENS1_30default_config_static_selectorELNS0_4arch9wavefront6targetE0EEEvT1_, .Lfunc_end19-_ZN7rocprim17ROCPRIM_400000_NS6detail17trampoline_kernelINS0_14default_configENS1_25transform_config_selectorImLb1EEEZNS1_14transform_implILb1ES3_S5_PmPjNS0_8identityIvEEEE10hipError_tT2_T3_mT4_P12ihipStream_tbEUlT_E_NS1_11comp_targetILNS1_3genE8ELNS1_11target_archE1030ELNS1_3gpuE2ELNS1_3repE0EEENS1_30default_config_static_selectorELNS0_4arch9wavefront6targetE0EEEvT1_
                                        ; -- End function
	.set _ZN7rocprim17ROCPRIM_400000_NS6detail17trampoline_kernelINS0_14default_configENS1_25transform_config_selectorImLb1EEEZNS1_14transform_implILb1ES3_S5_PmPjNS0_8identityIvEEEE10hipError_tT2_T3_mT4_P12ihipStream_tbEUlT_E_NS1_11comp_targetILNS1_3genE8ELNS1_11target_archE1030ELNS1_3gpuE2ELNS1_3repE0EEENS1_30default_config_static_selectorELNS0_4arch9wavefront6targetE0EEEvT1_.num_vgpr, 2
	.set _ZN7rocprim17ROCPRIM_400000_NS6detail17trampoline_kernelINS0_14default_configENS1_25transform_config_selectorImLb1EEEZNS1_14transform_implILb1ES3_S5_PmPjNS0_8identityIvEEEE10hipError_tT2_T3_mT4_P12ihipStream_tbEUlT_E_NS1_11comp_targetILNS1_3genE8ELNS1_11target_archE1030ELNS1_3gpuE2ELNS1_3repE0EEENS1_30default_config_static_selectorELNS0_4arch9wavefront6targetE0EEEvT1_.num_agpr, 0
	.set _ZN7rocprim17ROCPRIM_400000_NS6detail17trampoline_kernelINS0_14default_configENS1_25transform_config_selectorImLb1EEEZNS1_14transform_implILb1ES3_S5_PmPjNS0_8identityIvEEEE10hipError_tT2_T3_mT4_P12ihipStream_tbEUlT_E_NS1_11comp_targetILNS1_3genE8ELNS1_11target_archE1030ELNS1_3gpuE2ELNS1_3repE0EEENS1_30default_config_static_selectorELNS0_4arch9wavefront6targetE0EEEvT1_.numbered_sgpr, 12
	.set _ZN7rocprim17ROCPRIM_400000_NS6detail17trampoline_kernelINS0_14default_configENS1_25transform_config_selectorImLb1EEEZNS1_14transform_implILb1ES3_S5_PmPjNS0_8identityIvEEEE10hipError_tT2_T3_mT4_P12ihipStream_tbEUlT_E_NS1_11comp_targetILNS1_3genE8ELNS1_11target_archE1030ELNS1_3gpuE2ELNS1_3repE0EEENS1_30default_config_static_selectorELNS0_4arch9wavefront6targetE0EEEvT1_.num_named_barrier, 0
	.set _ZN7rocprim17ROCPRIM_400000_NS6detail17trampoline_kernelINS0_14default_configENS1_25transform_config_selectorImLb1EEEZNS1_14transform_implILb1ES3_S5_PmPjNS0_8identityIvEEEE10hipError_tT2_T3_mT4_P12ihipStream_tbEUlT_E_NS1_11comp_targetILNS1_3genE8ELNS1_11target_archE1030ELNS1_3gpuE2ELNS1_3repE0EEENS1_30default_config_static_selectorELNS0_4arch9wavefront6targetE0EEEvT1_.private_seg_size, 0
	.set _ZN7rocprim17ROCPRIM_400000_NS6detail17trampoline_kernelINS0_14default_configENS1_25transform_config_selectorImLb1EEEZNS1_14transform_implILb1ES3_S5_PmPjNS0_8identityIvEEEE10hipError_tT2_T3_mT4_P12ihipStream_tbEUlT_E_NS1_11comp_targetILNS1_3genE8ELNS1_11target_archE1030ELNS1_3gpuE2ELNS1_3repE0EEENS1_30default_config_static_selectorELNS0_4arch9wavefront6targetE0EEEvT1_.uses_vcc, 1
	.set _ZN7rocprim17ROCPRIM_400000_NS6detail17trampoline_kernelINS0_14default_configENS1_25transform_config_selectorImLb1EEEZNS1_14transform_implILb1ES3_S5_PmPjNS0_8identityIvEEEE10hipError_tT2_T3_mT4_P12ihipStream_tbEUlT_E_NS1_11comp_targetILNS1_3genE8ELNS1_11target_archE1030ELNS1_3gpuE2ELNS1_3repE0EEENS1_30default_config_static_selectorELNS0_4arch9wavefront6targetE0EEEvT1_.uses_flat_scratch, 0
	.set _ZN7rocprim17ROCPRIM_400000_NS6detail17trampoline_kernelINS0_14default_configENS1_25transform_config_selectorImLb1EEEZNS1_14transform_implILb1ES3_S5_PmPjNS0_8identityIvEEEE10hipError_tT2_T3_mT4_P12ihipStream_tbEUlT_E_NS1_11comp_targetILNS1_3genE8ELNS1_11target_archE1030ELNS1_3gpuE2ELNS1_3repE0EEENS1_30default_config_static_selectorELNS0_4arch9wavefront6targetE0EEEvT1_.has_dyn_sized_stack, 0
	.set _ZN7rocprim17ROCPRIM_400000_NS6detail17trampoline_kernelINS0_14default_configENS1_25transform_config_selectorImLb1EEEZNS1_14transform_implILb1ES3_S5_PmPjNS0_8identityIvEEEE10hipError_tT2_T3_mT4_P12ihipStream_tbEUlT_E_NS1_11comp_targetILNS1_3genE8ELNS1_11target_archE1030ELNS1_3gpuE2ELNS1_3repE0EEENS1_30default_config_static_selectorELNS0_4arch9wavefront6targetE0EEEvT1_.has_recursion, 0
	.set _ZN7rocprim17ROCPRIM_400000_NS6detail17trampoline_kernelINS0_14default_configENS1_25transform_config_selectorImLb1EEEZNS1_14transform_implILb1ES3_S5_PmPjNS0_8identityIvEEEE10hipError_tT2_T3_mT4_P12ihipStream_tbEUlT_E_NS1_11comp_targetILNS1_3genE8ELNS1_11target_archE1030ELNS1_3gpuE2ELNS1_3repE0EEENS1_30default_config_static_selectorELNS0_4arch9wavefront6targetE0EEEvT1_.has_indirect_call, 0
	.section	.AMDGPU.csdata,"",@progbits
; Kernel info:
; codeLenInByte = 168
; TotalNumSgprs: 14
; NumVgprs: 2
; ScratchSize: 0
; MemoryBound: 0
; FloatMode: 240
; IeeeMode: 1
; LDSByteSize: 0 bytes/workgroup (compile time only)
; SGPRBlocks: 0
; VGPRBlocks: 0
; NumSGPRsForWavesPerEU: 14
; NumVGPRsForWavesPerEU: 2
; Occupancy: 16
; WaveLimiterHint : 0
; COMPUTE_PGM_RSRC2:SCRATCH_EN: 0
; COMPUTE_PGM_RSRC2:USER_SGPR: 6
; COMPUTE_PGM_RSRC2:TRAP_HANDLER: 0
; COMPUTE_PGM_RSRC2:TGID_X_EN: 1
; COMPUTE_PGM_RSRC2:TGID_Y_EN: 0
; COMPUTE_PGM_RSRC2:TGID_Z_EN: 0
; COMPUTE_PGM_RSRC2:TIDIG_COMP_CNT: 0
	.section	.text._ZN7rocprim17ROCPRIM_400000_NS6detail31init_lookback_scan_state_kernelINS1_19lookback_scan_stateI15HIP_vector_typeIjLj2EELb1ELb1EEENS1_16block_id_wrapperIjLb1EEEEEvT_jT0_jPNS9_10value_typeE,"axG",@progbits,_ZN7rocprim17ROCPRIM_400000_NS6detail31init_lookback_scan_state_kernelINS1_19lookback_scan_stateI15HIP_vector_typeIjLj2EELb1ELb1EEENS1_16block_id_wrapperIjLb1EEEEEvT_jT0_jPNS9_10value_typeE,comdat
	.protected	_ZN7rocprim17ROCPRIM_400000_NS6detail31init_lookback_scan_state_kernelINS1_19lookback_scan_stateI15HIP_vector_typeIjLj2EELb1ELb1EEENS1_16block_id_wrapperIjLb1EEEEEvT_jT0_jPNS9_10value_typeE ; -- Begin function _ZN7rocprim17ROCPRIM_400000_NS6detail31init_lookback_scan_state_kernelINS1_19lookback_scan_stateI15HIP_vector_typeIjLj2EELb1ELb1EEENS1_16block_id_wrapperIjLb1EEEEEvT_jT0_jPNS9_10value_typeE
	.globl	_ZN7rocprim17ROCPRIM_400000_NS6detail31init_lookback_scan_state_kernelINS1_19lookback_scan_stateI15HIP_vector_typeIjLj2EELb1ELb1EEENS1_16block_id_wrapperIjLb1EEEEEvT_jT0_jPNS9_10value_typeE
	.p2align	8
	.type	_ZN7rocprim17ROCPRIM_400000_NS6detail31init_lookback_scan_state_kernelINS1_19lookback_scan_stateI15HIP_vector_typeIjLj2EELb1ELb1EEENS1_16block_id_wrapperIjLb1EEEEEvT_jT0_jPNS9_10value_typeE,@function
_ZN7rocprim17ROCPRIM_400000_NS6detail31init_lookback_scan_state_kernelINS1_19lookback_scan_stateI15HIP_vector_typeIjLj2EELb1ELb1EEENS1_16block_id_wrapperIjLb1EEEEEvT_jT0_jPNS9_10value_typeE: ; @_ZN7rocprim17ROCPRIM_400000_NS6detail31init_lookback_scan_state_kernelINS1_19lookback_scan_stateI15HIP_vector_typeIjLj2EELb1ELb1EEENS1_16block_id_wrapperIjLb1EEEEEvT_jT0_jPNS9_10value_typeE
; %bb.0:
	s_clause 0x3
	s_load_dword s7, s[4:5], 0x34
	s_load_dwordx2 s[2:3], s[4:5], 0x20
	s_load_dwordx2 s[0:1], s[4:5], 0x0
	s_load_dword s8, s[4:5], 0x8
	s_waitcnt lgkmcnt(0)
	s_and_b32 s7, s7, 0xffff
	s_cmp_eq_u64 s[2:3], 0
	v_mad_u64_u32 v[0:1], null, s6, s7, v[0:1]
	s_cbranch_scc1 .LBB20_10
; %bb.1:
	s_load_dword s6, s[4:5], 0x18
	s_waitcnt lgkmcnt(0)
	s_cmp_lt_u32 s6, s8
	s_cselect_b32 s7, s6, 0
	v_cmp_eq_u32_e32 vcc_lo, s7, v0
	s_mov_b32 s7, 0
	s_and_saveexec_b32 s9, vcc_lo
	s_cbranch_execz .LBB20_9
; %bb.2:
	s_add_i32 s6, s6, 32
	v_mov_b32_e32 v5, 0
	s_lshl_b64 s[6:7], s[6:7], 4
	s_mov_b32 s10, exec_lo
	s_add_u32 s6, s0, s6
	s_addc_u32 s7, s1, s7
	v_mov_b32_e32 v1, s6
	v_mov_b32_e32 v2, s7
	;;#ASMSTART
	global_load_dwordx4 v[1:4], v[1:2] off glc dlc	
s_waitcnt vmcnt(0)
	;;#ASMEND
	v_and_b32_e32 v4, 0xff, v3
	v_cmpx_eq_u64_e32 0, v[4:5]
	s_cbranch_execz .LBB20_8
; %bb.3:
	v_mov_b32_e32 v6, s6
	v_mov_b32_e32 v7, s7
	s_mov_b32 s7, 1
	s_mov_b32 s6, 0
	.p2align	6
.LBB20_4:                               ; =>This Loop Header: Depth=1
                                        ;     Child Loop BB20_5 Depth 2
	s_mov_b32 s11, s7
.LBB20_5:                               ;   Parent Loop BB20_4 Depth=1
                                        ; =>  This Inner Loop Header: Depth=2
	s_add_i32 s11, s11, -1
	s_sleep 1
	s_cmp_eq_u32 s11, 0
	s_cbranch_scc0 .LBB20_5
; %bb.6:                                ;   in Loop: Header=BB20_4 Depth=1
	;;#ASMSTART
	global_load_dwordx4 v[1:4], v[6:7] off glc dlc	
s_waitcnt vmcnt(0)
	;;#ASMEND
	v_and_b32_e32 v4, 0xff, v3
	s_cmp_lt_u32 s7, 32
	s_cselect_b32 s11, -1, 0
	s_cmp_lg_u32 s11, 0
	v_cmp_ne_u64_e32 vcc_lo, 0, v[4:5]
	s_addc_u32 s7, s7, 0
	s_or_b32 s6, vcc_lo, s6
	s_andn2_b32 exec_lo, exec_lo, s6
	s_cbranch_execnz .LBB20_4
; %bb.7:
	s_or_b32 exec_lo, exec_lo, s6
.LBB20_8:
	s_or_b32 exec_lo, exec_lo, s10
	v_mov_b32_e32 v3, 0
	global_store_dwordx2 v3, v[1:2], s[2:3]
.LBB20_9:
	s_or_b32 exec_lo, exec_lo, s9
.LBB20_10:
	s_mov_b32 s2, exec_lo
	v_cmpx_eq_u32_e32 0, v0
	s_cbranch_execz .LBB20_12
; %bb.11:
	s_load_dwordx2 s[4:5], s[4:5], 0x10
	v_mov_b32_e32 v1, 0
	s_waitcnt lgkmcnt(0)
	global_store_dword v1, v1, s[4:5]
.LBB20_12:
	s_or_b32 exec_lo, exec_lo, s2
	s_mov_b32 s2, exec_lo
	v_cmpx_gt_u32_e64 s8, v0
	s_cbranch_execz .LBB20_14
; %bb.13:
	v_add_nc_u32_e32 v1, 32, v0
	v_mov_b32_e32 v2, 0
	v_lshlrev_b64 v[4:5], 4, v[1:2]
	v_mov_b32_e32 v1, v2
	v_mov_b32_e32 v3, v2
	v_add_co_u32 v6, vcc_lo, s0, v4
	v_add_co_ci_u32_e64 v7, null, s1, v5, vcc_lo
	v_mov_b32_e32 v4, v2
	global_store_dwordx4 v[6:7], v[1:4], off
.LBB20_14:
	s_or_b32 exec_lo, exec_lo, s2
	s_mov_b32 s2, exec_lo
	v_cmpx_gt_u32_e32 32, v0
	s_cbranch_execz .LBB20_16
; %bb.15:
	v_mov_b32_e32 v1, 0
	v_mov_b32_e32 v2, 0xff
	v_lshlrev_b64 v[3:4], 4, v[0:1]
	v_mov_b32_e32 v0, v1
	v_add_co_u32 v5, vcc_lo, s0, v3
	v_add_co_ci_u32_e64 v6, null, s1, v4, vcc_lo
	v_mov_b32_e32 v3, v1
	global_store_dwordx4 v[5:6], v[0:3], off
.LBB20_16:
	s_endpgm
	.section	.rodata,"a",@progbits
	.p2align	6, 0x0
	.amdhsa_kernel _ZN7rocprim17ROCPRIM_400000_NS6detail31init_lookback_scan_state_kernelINS1_19lookback_scan_stateI15HIP_vector_typeIjLj2EELb1ELb1EEENS1_16block_id_wrapperIjLb1EEEEEvT_jT0_jPNS9_10value_typeE
		.amdhsa_group_segment_fixed_size 0
		.amdhsa_private_segment_fixed_size 0
		.amdhsa_kernarg_size 296
		.amdhsa_user_sgpr_count 6
		.amdhsa_user_sgpr_private_segment_buffer 1
		.amdhsa_user_sgpr_dispatch_ptr 0
		.amdhsa_user_sgpr_queue_ptr 0
		.amdhsa_user_sgpr_kernarg_segment_ptr 1
		.amdhsa_user_sgpr_dispatch_id 0
		.amdhsa_user_sgpr_flat_scratch_init 0
		.amdhsa_user_sgpr_private_segment_size 0
		.amdhsa_wavefront_size32 1
		.amdhsa_uses_dynamic_stack 0
		.amdhsa_system_sgpr_private_segment_wavefront_offset 0
		.amdhsa_system_sgpr_workgroup_id_x 1
		.amdhsa_system_sgpr_workgroup_id_y 0
		.amdhsa_system_sgpr_workgroup_id_z 0
		.amdhsa_system_sgpr_workgroup_info 0
		.amdhsa_system_vgpr_workitem_id 0
		.amdhsa_next_free_vgpr 8
		.amdhsa_next_free_sgpr 12
		.amdhsa_reserve_vcc 1
		.amdhsa_reserve_flat_scratch 0
		.amdhsa_float_round_mode_32 0
		.amdhsa_float_round_mode_16_64 0
		.amdhsa_float_denorm_mode_32 3
		.amdhsa_float_denorm_mode_16_64 3
		.amdhsa_dx10_clamp 1
		.amdhsa_ieee_mode 1
		.amdhsa_fp16_overflow 0
		.amdhsa_workgroup_processor_mode 1
		.amdhsa_memory_ordered 1
		.amdhsa_forward_progress 1
		.amdhsa_shared_vgpr_count 0
		.amdhsa_exception_fp_ieee_invalid_op 0
		.amdhsa_exception_fp_denorm_src 0
		.amdhsa_exception_fp_ieee_div_zero 0
		.amdhsa_exception_fp_ieee_overflow 0
		.amdhsa_exception_fp_ieee_underflow 0
		.amdhsa_exception_fp_ieee_inexact 0
		.amdhsa_exception_int_div_zero 0
	.end_amdhsa_kernel
	.section	.text._ZN7rocprim17ROCPRIM_400000_NS6detail31init_lookback_scan_state_kernelINS1_19lookback_scan_stateI15HIP_vector_typeIjLj2EELb1ELb1EEENS1_16block_id_wrapperIjLb1EEEEEvT_jT0_jPNS9_10value_typeE,"axG",@progbits,_ZN7rocprim17ROCPRIM_400000_NS6detail31init_lookback_scan_state_kernelINS1_19lookback_scan_stateI15HIP_vector_typeIjLj2EELb1ELb1EEENS1_16block_id_wrapperIjLb1EEEEEvT_jT0_jPNS9_10value_typeE,comdat
.Lfunc_end20:
	.size	_ZN7rocprim17ROCPRIM_400000_NS6detail31init_lookback_scan_state_kernelINS1_19lookback_scan_stateI15HIP_vector_typeIjLj2EELb1ELb1EEENS1_16block_id_wrapperIjLb1EEEEEvT_jT0_jPNS9_10value_typeE, .Lfunc_end20-_ZN7rocprim17ROCPRIM_400000_NS6detail31init_lookback_scan_state_kernelINS1_19lookback_scan_stateI15HIP_vector_typeIjLj2EELb1ELb1EEENS1_16block_id_wrapperIjLb1EEEEEvT_jT0_jPNS9_10value_typeE
                                        ; -- End function
	.set _ZN7rocprim17ROCPRIM_400000_NS6detail31init_lookback_scan_state_kernelINS1_19lookback_scan_stateI15HIP_vector_typeIjLj2EELb1ELb1EEENS1_16block_id_wrapperIjLb1EEEEEvT_jT0_jPNS9_10value_typeE.num_vgpr, 8
	.set _ZN7rocprim17ROCPRIM_400000_NS6detail31init_lookback_scan_state_kernelINS1_19lookback_scan_stateI15HIP_vector_typeIjLj2EELb1ELb1EEENS1_16block_id_wrapperIjLb1EEEEEvT_jT0_jPNS9_10value_typeE.num_agpr, 0
	.set _ZN7rocprim17ROCPRIM_400000_NS6detail31init_lookback_scan_state_kernelINS1_19lookback_scan_stateI15HIP_vector_typeIjLj2EELb1ELb1EEENS1_16block_id_wrapperIjLb1EEEEEvT_jT0_jPNS9_10value_typeE.numbered_sgpr, 12
	.set _ZN7rocprim17ROCPRIM_400000_NS6detail31init_lookback_scan_state_kernelINS1_19lookback_scan_stateI15HIP_vector_typeIjLj2EELb1ELb1EEENS1_16block_id_wrapperIjLb1EEEEEvT_jT0_jPNS9_10value_typeE.num_named_barrier, 0
	.set _ZN7rocprim17ROCPRIM_400000_NS6detail31init_lookback_scan_state_kernelINS1_19lookback_scan_stateI15HIP_vector_typeIjLj2EELb1ELb1EEENS1_16block_id_wrapperIjLb1EEEEEvT_jT0_jPNS9_10value_typeE.private_seg_size, 0
	.set _ZN7rocprim17ROCPRIM_400000_NS6detail31init_lookback_scan_state_kernelINS1_19lookback_scan_stateI15HIP_vector_typeIjLj2EELb1ELb1EEENS1_16block_id_wrapperIjLb1EEEEEvT_jT0_jPNS9_10value_typeE.uses_vcc, 1
	.set _ZN7rocprim17ROCPRIM_400000_NS6detail31init_lookback_scan_state_kernelINS1_19lookback_scan_stateI15HIP_vector_typeIjLj2EELb1ELb1EEENS1_16block_id_wrapperIjLb1EEEEEvT_jT0_jPNS9_10value_typeE.uses_flat_scratch, 0
	.set _ZN7rocprim17ROCPRIM_400000_NS6detail31init_lookback_scan_state_kernelINS1_19lookback_scan_stateI15HIP_vector_typeIjLj2EELb1ELb1EEENS1_16block_id_wrapperIjLb1EEEEEvT_jT0_jPNS9_10value_typeE.has_dyn_sized_stack, 0
	.set _ZN7rocprim17ROCPRIM_400000_NS6detail31init_lookback_scan_state_kernelINS1_19lookback_scan_stateI15HIP_vector_typeIjLj2EELb1ELb1EEENS1_16block_id_wrapperIjLb1EEEEEvT_jT0_jPNS9_10value_typeE.has_recursion, 0
	.set _ZN7rocprim17ROCPRIM_400000_NS6detail31init_lookback_scan_state_kernelINS1_19lookback_scan_stateI15HIP_vector_typeIjLj2EELb1ELb1EEENS1_16block_id_wrapperIjLb1EEEEEvT_jT0_jPNS9_10value_typeE.has_indirect_call, 0
	.section	.AMDGPU.csdata,"",@progbits
; Kernel info:
; codeLenInByte = 560
; TotalNumSgprs: 14
; NumVgprs: 8
; ScratchSize: 0
; MemoryBound: 0
; FloatMode: 240
; IeeeMode: 1
; LDSByteSize: 0 bytes/workgroup (compile time only)
; SGPRBlocks: 0
; VGPRBlocks: 0
; NumSGPRsForWavesPerEU: 14
; NumVGPRsForWavesPerEU: 8
; Occupancy: 16
; WaveLimiterHint : 0
; COMPUTE_PGM_RSRC2:SCRATCH_EN: 0
; COMPUTE_PGM_RSRC2:USER_SGPR: 6
; COMPUTE_PGM_RSRC2:TRAP_HANDLER: 0
; COMPUTE_PGM_RSRC2:TGID_X_EN: 1
; COMPUTE_PGM_RSRC2:TGID_Y_EN: 0
; COMPUTE_PGM_RSRC2:TGID_Z_EN: 0
; COMPUTE_PGM_RSRC2:TIDIG_COMP_CNT: 0
	.section	.text._ZN7rocprim17ROCPRIM_400000_NS6detail17trampoline_kernelINS0_13select_configILj256ELj13ELNS0_17block_load_methodE3ELS4_3ELS4_3ELNS0_20block_scan_algorithmE0ELj4294967295EEENS1_25partition_config_selectorILNS1_17partition_subalgoE4EjNS0_10empty_typeEbEEZZNS1_14partition_implILS8_4ELb0ES6_15HIP_vector_typeIjLj2EENS0_17counting_iteratorIjlEEPS9_SG_NS0_5tupleIJPjSI_NS0_16reverse_iteratorISI_EEEEENSH_IJSG_SG_SG_EEES9_SI_JZNS1_25segmented_radix_sort_implINS0_14default_configELb1EPKhPhPKlPlN2at6native12_GLOBAL__N_18offset_tEEE10hipError_tPvRmT1_PNSt15iterator_traitsIS12_E10value_typeET2_T3_PNS13_IS18_E10value_typeET4_jRbjT5_S1E_jjP12ihipStream_tbEUljE_ZNSN_ISO_Lb1ESQ_SR_ST_SU_SY_EESZ_S10_S11_S12_S16_S17_S18_S1B_S1C_jS1D_jS1E_S1E_jjS1G_bEUljE0_EEESZ_S10_S11_S18_S1C_S1E_T6_T7_T9_mT8_S1G_bDpT10_ENKUlT_T0_E_clISt17integral_constantIbLb1EES1U_EEDaS1P_S1Q_EUlS1P_E_NS1_11comp_targetILNS1_3genE0ELNS1_11target_archE4294967295ELNS1_3gpuE0ELNS1_3repE0EEENS1_30default_config_static_selectorELNS0_4arch9wavefront6targetE0EEEvS12_,"axG",@progbits,_ZN7rocprim17ROCPRIM_400000_NS6detail17trampoline_kernelINS0_13select_configILj256ELj13ELNS0_17block_load_methodE3ELS4_3ELS4_3ELNS0_20block_scan_algorithmE0ELj4294967295EEENS1_25partition_config_selectorILNS1_17partition_subalgoE4EjNS0_10empty_typeEbEEZZNS1_14partition_implILS8_4ELb0ES6_15HIP_vector_typeIjLj2EENS0_17counting_iteratorIjlEEPS9_SG_NS0_5tupleIJPjSI_NS0_16reverse_iteratorISI_EEEEENSH_IJSG_SG_SG_EEES9_SI_JZNS1_25segmented_radix_sort_implINS0_14default_configELb1EPKhPhPKlPlN2at6native12_GLOBAL__N_18offset_tEEE10hipError_tPvRmT1_PNSt15iterator_traitsIS12_E10value_typeET2_T3_PNS13_IS18_E10value_typeET4_jRbjT5_S1E_jjP12ihipStream_tbEUljE_ZNSN_ISO_Lb1ESQ_SR_ST_SU_SY_EESZ_S10_S11_S12_S16_S17_S18_S1B_S1C_jS1D_jS1E_S1E_jjS1G_bEUljE0_EEESZ_S10_S11_S18_S1C_S1E_T6_T7_T9_mT8_S1G_bDpT10_ENKUlT_T0_E_clISt17integral_constantIbLb1EES1U_EEDaS1P_S1Q_EUlS1P_E_NS1_11comp_targetILNS1_3genE0ELNS1_11target_archE4294967295ELNS1_3gpuE0ELNS1_3repE0EEENS1_30default_config_static_selectorELNS0_4arch9wavefront6targetE0EEEvS12_,comdat
	.globl	_ZN7rocprim17ROCPRIM_400000_NS6detail17trampoline_kernelINS0_13select_configILj256ELj13ELNS0_17block_load_methodE3ELS4_3ELS4_3ELNS0_20block_scan_algorithmE0ELj4294967295EEENS1_25partition_config_selectorILNS1_17partition_subalgoE4EjNS0_10empty_typeEbEEZZNS1_14partition_implILS8_4ELb0ES6_15HIP_vector_typeIjLj2EENS0_17counting_iteratorIjlEEPS9_SG_NS0_5tupleIJPjSI_NS0_16reverse_iteratorISI_EEEEENSH_IJSG_SG_SG_EEES9_SI_JZNS1_25segmented_radix_sort_implINS0_14default_configELb1EPKhPhPKlPlN2at6native12_GLOBAL__N_18offset_tEEE10hipError_tPvRmT1_PNSt15iterator_traitsIS12_E10value_typeET2_T3_PNS13_IS18_E10value_typeET4_jRbjT5_S1E_jjP12ihipStream_tbEUljE_ZNSN_ISO_Lb1ESQ_SR_ST_SU_SY_EESZ_S10_S11_S12_S16_S17_S18_S1B_S1C_jS1D_jS1E_S1E_jjS1G_bEUljE0_EEESZ_S10_S11_S18_S1C_S1E_T6_T7_T9_mT8_S1G_bDpT10_ENKUlT_T0_E_clISt17integral_constantIbLb1EES1U_EEDaS1P_S1Q_EUlS1P_E_NS1_11comp_targetILNS1_3genE0ELNS1_11target_archE4294967295ELNS1_3gpuE0ELNS1_3repE0EEENS1_30default_config_static_selectorELNS0_4arch9wavefront6targetE0EEEvS12_ ; -- Begin function _ZN7rocprim17ROCPRIM_400000_NS6detail17trampoline_kernelINS0_13select_configILj256ELj13ELNS0_17block_load_methodE3ELS4_3ELS4_3ELNS0_20block_scan_algorithmE0ELj4294967295EEENS1_25partition_config_selectorILNS1_17partition_subalgoE4EjNS0_10empty_typeEbEEZZNS1_14partition_implILS8_4ELb0ES6_15HIP_vector_typeIjLj2EENS0_17counting_iteratorIjlEEPS9_SG_NS0_5tupleIJPjSI_NS0_16reverse_iteratorISI_EEEEENSH_IJSG_SG_SG_EEES9_SI_JZNS1_25segmented_radix_sort_implINS0_14default_configELb1EPKhPhPKlPlN2at6native12_GLOBAL__N_18offset_tEEE10hipError_tPvRmT1_PNSt15iterator_traitsIS12_E10value_typeET2_T3_PNS13_IS18_E10value_typeET4_jRbjT5_S1E_jjP12ihipStream_tbEUljE_ZNSN_ISO_Lb1ESQ_SR_ST_SU_SY_EESZ_S10_S11_S12_S16_S17_S18_S1B_S1C_jS1D_jS1E_S1E_jjS1G_bEUljE0_EEESZ_S10_S11_S18_S1C_S1E_T6_T7_T9_mT8_S1G_bDpT10_ENKUlT_T0_E_clISt17integral_constantIbLb1EES1U_EEDaS1P_S1Q_EUlS1P_E_NS1_11comp_targetILNS1_3genE0ELNS1_11target_archE4294967295ELNS1_3gpuE0ELNS1_3repE0EEENS1_30default_config_static_selectorELNS0_4arch9wavefront6targetE0EEEvS12_
	.p2align	8
	.type	_ZN7rocprim17ROCPRIM_400000_NS6detail17trampoline_kernelINS0_13select_configILj256ELj13ELNS0_17block_load_methodE3ELS4_3ELS4_3ELNS0_20block_scan_algorithmE0ELj4294967295EEENS1_25partition_config_selectorILNS1_17partition_subalgoE4EjNS0_10empty_typeEbEEZZNS1_14partition_implILS8_4ELb0ES6_15HIP_vector_typeIjLj2EENS0_17counting_iteratorIjlEEPS9_SG_NS0_5tupleIJPjSI_NS0_16reverse_iteratorISI_EEEEENSH_IJSG_SG_SG_EEES9_SI_JZNS1_25segmented_radix_sort_implINS0_14default_configELb1EPKhPhPKlPlN2at6native12_GLOBAL__N_18offset_tEEE10hipError_tPvRmT1_PNSt15iterator_traitsIS12_E10value_typeET2_T3_PNS13_IS18_E10value_typeET4_jRbjT5_S1E_jjP12ihipStream_tbEUljE_ZNSN_ISO_Lb1ESQ_SR_ST_SU_SY_EESZ_S10_S11_S12_S16_S17_S18_S1B_S1C_jS1D_jS1E_S1E_jjS1G_bEUljE0_EEESZ_S10_S11_S18_S1C_S1E_T6_T7_T9_mT8_S1G_bDpT10_ENKUlT_T0_E_clISt17integral_constantIbLb1EES1U_EEDaS1P_S1Q_EUlS1P_E_NS1_11comp_targetILNS1_3genE0ELNS1_11target_archE4294967295ELNS1_3gpuE0ELNS1_3repE0EEENS1_30default_config_static_selectorELNS0_4arch9wavefront6targetE0EEEvS12_,@function
_ZN7rocprim17ROCPRIM_400000_NS6detail17trampoline_kernelINS0_13select_configILj256ELj13ELNS0_17block_load_methodE3ELS4_3ELS4_3ELNS0_20block_scan_algorithmE0ELj4294967295EEENS1_25partition_config_selectorILNS1_17partition_subalgoE4EjNS0_10empty_typeEbEEZZNS1_14partition_implILS8_4ELb0ES6_15HIP_vector_typeIjLj2EENS0_17counting_iteratorIjlEEPS9_SG_NS0_5tupleIJPjSI_NS0_16reverse_iteratorISI_EEEEENSH_IJSG_SG_SG_EEES9_SI_JZNS1_25segmented_radix_sort_implINS0_14default_configELb1EPKhPhPKlPlN2at6native12_GLOBAL__N_18offset_tEEE10hipError_tPvRmT1_PNSt15iterator_traitsIS12_E10value_typeET2_T3_PNS13_IS18_E10value_typeET4_jRbjT5_S1E_jjP12ihipStream_tbEUljE_ZNSN_ISO_Lb1ESQ_SR_ST_SU_SY_EESZ_S10_S11_S12_S16_S17_S18_S1B_S1C_jS1D_jS1E_S1E_jjS1G_bEUljE0_EEESZ_S10_S11_S18_S1C_S1E_T6_T7_T9_mT8_S1G_bDpT10_ENKUlT_T0_E_clISt17integral_constantIbLb1EES1U_EEDaS1P_S1Q_EUlS1P_E_NS1_11comp_targetILNS1_3genE0ELNS1_11target_archE4294967295ELNS1_3gpuE0ELNS1_3repE0EEENS1_30default_config_static_selectorELNS0_4arch9wavefront6targetE0EEEvS12_: ; @_ZN7rocprim17ROCPRIM_400000_NS6detail17trampoline_kernelINS0_13select_configILj256ELj13ELNS0_17block_load_methodE3ELS4_3ELS4_3ELNS0_20block_scan_algorithmE0ELj4294967295EEENS1_25partition_config_selectorILNS1_17partition_subalgoE4EjNS0_10empty_typeEbEEZZNS1_14partition_implILS8_4ELb0ES6_15HIP_vector_typeIjLj2EENS0_17counting_iteratorIjlEEPS9_SG_NS0_5tupleIJPjSI_NS0_16reverse_iteratorISI_EEEEENSH_IJSG_SG_SG_EEES9_SI_JZNS1_25segmented_radix_sort_implINS0_14default_configELb1EPKhPhPKlPlN2at6native12_GLOBAL__N_18offset_tEEE10hipError_tPvRmT1_PNSt15iterator_traitsIS12_E10value_typeET2_T3_PNS13_IS18_E10value_typeET4_jRbjT5_S1E_jjP12ihipStream_tbEUljE_ZNSN_ISO_Lb1ESQ_SR_ST_SU_SY_EESZ_S10_S11_S12_S16_S17_S18_S1B_S1C_jS1D_jS1E_S1E_jjS1G_bEUljE0_EEESZ_S10_S11_S18_S1C_S1E_T6_T7_T9_mT8_S1G_bDpT10_ENKUlT_T0_E_clISt17integral_constantIbLb1EES1U_EEDaS1P_S1Q_EUlS1P_E_NS1_11comp_targetILNS1_3genE0ELNS1_11target_archE4294967295ELNS1_3gpuE0ELNS1_3repE0EEENS1_30default_config_static_selectorELNS0_4arch9wavefront6targetE0EEEvS12_
; %bb.0:
	.section	.rodata,"a",@progbits
	.p2align	6, 0x0
	.amdhsa_kernel _ZN7rocprim17ROCPRIM_400000_NS6detail17trampoline_kernelINS0_13select_configILj256ELj13ELNS0_17block_load_methodE3ELS4_3ELS4_3ELNS0_20block_scan_algorithmE0ELj4294967295EEENS1_25partition_config_selectorILNS1_17partition_subalgoE4EjNS0_10empty_typeEbEEZZNS1_14partition_implILS8_4ELb0ES6_15HIP_vector_typeIjLj2EENS0_17counting_iteratorIjlEEPS9_SG_NS0_5tupleIJPjSI_NS0_16reverse_iteratorISI_EEEEENSH_IJSG_SG_SG_EEES9_SI_JZNS1_25segmented_radix_sort_implINS0_14default_configELb1EPKhPhPKlPlN2at6native12_GLOBAL__N_18offset_tEEE10hipError_tPvRmT1_PNSt15iterator_traitsIS12_E10value_typeET2_T3_PNS13_IS18_E10value_typeET4_jRbjT5_S1E_jjP12ihipStream_tbEUljE_ZNSN_ISO_Lb1ESQ_SR_ST_SU_SY_EESZ_S10_S11_S12_S16_S17_S18_S1B_S1C_jS1D_jS1E_S1E_jjS1G_bEUljE0_EEESZ_S10_S11_S18_S1C_S1E_T6_T7_T9_mT8_S1G_bDpT10_ENKUlT_T0_E_clISt17integral_constantIbLb1EES1U_EEDaS1P_S1Q_EUlS1P_E_NS1_11comp_targetILNS1_3genE0ELNS1_11target_archE4294967295ELNS1_3gpuE0ELNS1_3repE0EEENS1_30default_config_static_selectorELNS0_4arch9wavefront6targetE0EEEvS12_
		.amdhsa_group_segment_fixed_size 0
		.amdhsa_private_segment_fixed_size 0
		.amdhsa_kernarg_size 184
		.amdhsa_user_sgpr_count 6
		.amdhsa_user_sgpr_private_segment_buffer 1
		.amdhsa_user_sgpr_dispatch_ptr 0
		.amdhsa_user_sgpr_queue_ptr 0
		.amdhsa_user_sgpr_kernarg_segment_ptr 1
		.amdhsa_user_sgpr_dispatch_id 0
		.amdhsa_user_sgpr_flat_scratch_init 0
		.amdhsa_user_sgpr_private_segment_size 0
		.amdhsa_wavefront_size32 1
		.amdhsa_uses_dynamic_stack 0
		.amdhsa_system_sgpr_private_segment_wavefront_offset 0
		.amdhsa_system_sgpr_workgroup_id_x 1
		.amdhsa_system_sgpr_workgroup_id_y 0
		.amdhsa_system_sgpr_workgroup_id_z 0
		.amdhsa_system_sgpr_workgroup_info 0
		.amdhsa_system_vgpr_workitem_id 0
		.amdhsa_next_free_vgpr 1
		.amdhsa_next_free_sgpr 1
		.amdhsa_reserve_vcc 0
		.amdhsa_reserve_flat_scratch 0
		.amdhsa_float_round_mode_32 0
		.amdhsa_float_round_mode_16_64 0
		.amdhsa_float_denorm_mode_32 3
		.amdhsa_float_denorm_mode_16_64 3
		.amdhsa_dx10_clamp 1
		.amdhsa_ieee_mode 1
		.amdhsa_fp16_overflow 0
		.amdhsa_workgroup_processor_mode 1
		.amdhsa_memory_ordered 1
		.amdhsa_forward_progress 1
		.amdhsa_shared_vgpr_count 0
		.amdhsa_exception_fp_ieee_invalid_op 0
		.amdhsa_exception_fp_denorm_src 0
		.amdhsa_exception_fp_ieee_div_zero 0
		.amdhsa_exception_fp_ieee_overflow 0
		.amdhsa_exception_fp_ieee_underflow 0
		.amdhsa_exception_fp_ieee_inexact 0
		.amdhsa_exception_int_div_zero 0
	.end_amdhsa_kernel
	.section	.text._ZN7rocprim17ROCPRIM_400000_NS6detail17trampoline_kernelINS0_13select_configILj256ELj13ELNS0_17block_load_methodE3ELS4_3ELS4_3ELNS0_20block_scan_algorithmE0ELj4294967295EEENS1_25partition_config_selectorILNS1_17partition_subalgoE4EjNS0_10empty_typeEbEEZZNS1_14partition_implILS8_4ELb0ES6_15HIP_vector_typeIjLj2EENS0_17counting_iteratorIjlEEPS9_SG_NS0_5tupleIJPjSI_NS0_16reverse_iteratorISI_EEEEENSH_IJSG_SG_SG_EEES9_SI_JZNS1_25segmented_radix_sort_implINS0_14default_configELb1EPKhPhPKlPlN2at6native12_GLOBAL__N_18offset_tEEE10hipError_tPvRmT1_PNSt15iterator_traitsIS12_E10value_typeET2_T3_PNS13_IS18_E10value_typeET4_jRbjT5_S1E_jjP12ihipStream_tbEUljE_ZNSN_ISO_Lb1ESQ_SR_ST_SU_SY_EESZ_S10_S11_S12_S16_S17_S18_S1B_S1C_jS1D_jS1E_S1E_jjS1G_bEUljE0_EEESZ_S10_S11_S18_S1C_S1E_T6_T7_T9_mT8_S1G_bDpT10_ENKUlT_T0_E_clISt17integral_constantIbLb1EES1U_EEDaS1P_S1Q_EUlS1P_E_NS1_11comp_targetILNS1_3genE0ELNS1_11target_archE4294967295ELNS1_3gpuE0ELNS1_3repE0EEENS1_30default_config_static_selectorELNS0_4arch9wavefront6targetE0EEEvS12_,"axG",@progbits,_ZN7rocprim17ROCPRIM_400000_NS6detail17trampoline_kernelINS0_13select_configILj256ELj13ELNS0_17block_load_methodE3ELS4_3ELS4_3ELNS0_20block_scan_algorithmE0ELj4294967295EEENS1_25partition_config_selectorILNS1_17partition_subalgoE4EjNS0_10empty_typeEbEEZZNS1_14partition_implILS8_4ELb0ES6_15HIP_vector_typeIjLj2EENS0_17counting_iteratorIjlEEPS9_SG_NS0_5tupleIJPjSI_NS0_16reverse_iteratorISI_EEEEENSH_IJSG_SG_SG_EEES9_SI_JZNS1_25segmented_radix_sort_implINS0_14default_configELb1EPKhPhPKlPlN2at6native12_GLOBAL__N_18offset_tEEE10hipError_tPvRmT1_PNSt15iterator_traitsIS12_E10value_typeET2_T3_PNS13_IS18_E10value_typeET4_jRbjT5_S1E_jjP12ihipStream_tbEUljE_ZNSN_ISO_Lb1ESQ_SR_ST_SU_SY_EESZ_S10_S11_S12_S16_S17_S18_S1B_S1C_jS1D_jS1E_S1E_jjS1G_bEUljE0_EEESZ_S10_S11_S18_S1C_S1E_T6_T7_T9_mT8_S1G_bDpT10_ENKUlT_T0_E_clISt17integral_constantIbLb1EES1U_EEDaS1P_S1Q_EUlS1P_E_NS1_11comp_targetILNS1_3genE0ELNS1_11target_archE4294967295ELNS1_3gpuE0ELNS1_3repE0EEENS1_30default_config_static_selectorELNS0_4arch9wavefront6targetE0EEEvS12_,comdat
.Lfunc_end21:
	.size	_ZN7rocprim17ROCPRIM_400000_NS6detail17trampoline_kernelINS0_13select_configILj256ELj13ELNS0_17block_load_methodE3ELS4_3ELS4_3ELNS0_20block_scan_algorithmE0ELj4294967295EEENS1_25partition_config_selectorILNS1_17partition_subalgoE4EjNS0_10empty_typeEbEEZZNS1_14partition_implILS8_4ELb0ES6_15HIP_vector_typeIjLj2EENS0_17counting_iteratorIjlEEPS9_SG_NS0_5tupleIJPjSI_NS0_16reverse_iteratorISI_EEEEENSH_IJSG_SG_SG_EEES9_SI_JZNS1_25segmented_radix_sort_implINS0_14default_configELb1EPKhPhPKlPlN2at6native12_GLOBAL__N_18offset_tEEE10hipError_tPvRmT1_PNSt15iterator_traitsIS12_E10value_typeET2_T3_PNS13_IS18_E10value_typeET4_jRbjT5_S1E_jjP12ihipStream_tbEUljE_ZNSN_ISO_Lb1ESQ_SR_ST_SU_SY_EESZ_S10_S11_S12_S16_S17_S18_S1B_S1C_jS1D_jS1E_S1E_jjS1G_bEUljE0_EEESZ_S10_S11_S18_S1C_S1E_T6_T7_T9_mT8_S1G_bDpT10_ENKUlT_T0_E_clISt17integral_constantIbLb1EES1U_EEDaS1P_S1Q_EUlS1P_E_NS1_11comp_targetILNS1_3genE0ELNS1_11target_archE4294967295ELNS1_3gpuE0ELNS1_3repE0EEENS1_30default_config_static_selectorELNS0_4arch9wavefront6targetE0EEEvS12_, .Lfunc_end21-_ZN7rocprim17ROCPRIM_400000_NS6detail17trampoline_kernelINS0_13select_configILj256ELj13ELNS0_17block_load_methodE3ELS4_3ELS4_3ELNS0_20block_scan_algorithmE0ELj4294967295EEENS1_25partition_config_selectorILNS1_17partition_subalgoE4EjNS0_10empty_typeEbEEZZNS1_14partition_implILS8_4ELb0ES6_15HIP_vector_typeIjLj2EENS0_17counting_iteratorIjlEEPS9_SG_NS0_5tupleIJPjSI_NS0_16reverse_iteratorISI_EEEEENSH_IJSG_SG_SG_EEES9_SI_JZNS1_25segmented_radix_sort_implINS0_14default_configELb1EPKhPhPKlPlN2at6native12_GLOBAL__N_18offset_tEEE10hipError_tPvRmT1_PNSt15iterator_traitsIS12_E10value_typeET2_T3_PNS13_IS18_E10value_typeET4_jRbjT5_S1E_jjP12ihipStream_tbEUljE_ZNSN_ISO_Lb1ESQ_SR_ST_SU_SY_EESZ_S10_S11_S12_S16_S17_S18_S1B_S1C_jS1D_jS1E_S1E_jjS1G_bEUljE0_EEESZ_S10_S11_S18_S1C_S1E_T6_T7_T9_mT8_S1G_bDpT10_ENKUlT_T0_E_clISt17integral_constantIbLb1EES1U_EEDaS1P_S1Q_EUlS1P_E_NS1_11comp_targetILNS1_3genE0ELNS1_11target_archE4294967295ELNS1_3gpuE0ELNS1_3repE0EEENS1_30default_config_static_selectorELNS0_4arch9wavefront6targetE0EEEvS12_
                                        ; -- End function
	.set _ZN7rocprim17ROCPRIM_400000_NS6detail17trampoline_kernelINS0_13select_configILj256ELj13ELNS0_17block_load_methodE3ELS4_3ELS4_3ELNS0_20block_scan_algorithmE0ELj4294967295EEENS1_25partition_config_selectorILNS1_17partition_subalgoE4EjNS0_10empty_typeEbEEZZNS1_14partition_implILS8_4ELb0ES6_15HIP_vector_typeIjLj2EENS0_17counting_iteratorIjlEEPS9_SG_NS0_5tupleIJPjSI_NS0_16reverse_iteratorISI_EEEEENSH_IJSG_SG_SG_EEES9_SI_JZNS1_25segmented_radix_sort_implINS0_14default_configELb1EPKhPhPKlPlN2at6native12_GLOBAL__N_18offset_tEEE10hipError_tPvRmT1_PNSt15iterator_traitsIS12_E10value_typeET2_T3_PNS13_IS18_E10value_typeET4_jRbjT5_S1E_jjP12ihipStream_tbEUljE_ZNSN_ISO_Lb1ESQ_SR_ST_SU_SY_EESZ_S10_S11_S12_S16_S17_S18_S1B_S1C_jS1D_jS1E_S1E_jjS1G_bEUljE0_EEESZ_S10_S11_S18_S1C_S1E_T6_T7_T9_mT8_S1G_bDpT10_ENKUlT_T0_E_clISt17integral_constantIbLb1EES1U_EEDaS1P_S1Q_EUlS1P_E_NS1_11comp_targetILNS1_3genE0ELNS1_11target_archE4294967295ELNS1_3gpuE0ELNS1_3repE0EEENS1_30default_config_static_selectorELNS0_4arch9wavefront6targetE0EEEvS12_.num_vgpr, 0
	.set _ZN7rocprim17ROCPRIM_400000_NS6detail17trampoline_kernelINS0_13select_configILj256ELj13ELNS0_17block_load_methodE3ELS4_3ELS4_3ELNS0_20block_scan_algorithmE0ELj4294967295EEENS1_25partition_config_selectorILNS1_17partition_subalgoE4EjNS0_10empty_typeEbEEZZNS1_14partition_implILS8_4ELb0ES6_15HIP_vector_typeIjLj2EENS0_17counting_iteratorIjlEEPS9_SG_NS0_5tupleIJPjSI_NS0_16reverse_iteratorISI_EEEEENSH_IJSG_SG_SG_EEES9_SI_JZNS1_25segmented_radix_sort_implINS0_14default_configELb1EPKhPhPKlPlN2at6native12_GLOBAL__N_18offset_tEEE10hipError_tPvRmT1_PNSt15iterator_traitsIS12_E10value_typeET2_T3_PNS13_IS18_E10value_typeET4_jRbjT5_S1E_jjP12ihipStream_tbEUljE_ZNSN_ISO_Lb1ESQ_SR_ST_SU_SY_EESZ_S10_S11_S12_S16_S17_S18_S1B_S1C_jS1D_jS1E_S1E_jjS1G_bEUljE0_EEESZ_S10_S11_S18_S1C_S1E_T6_T7_T9_mT8_S1G_bDpT10_ENKUlT_T0_E_clISt17integral_constantIbLb1EES1U_EEDaS1P_S1Q_EUlS1P_E_NS1_11comp_targetILNS1_3genE0ELNS1_11target_archE4294967295ELNS1_3gpuE0ELNS1_3repE0EEENS1_30default_config_static_selectorELNS0_4arch9wavefront6targetE0EEEvS12_.num_agpr, 0
	.set _ZN7rocprim17ROCPRIM_400000_NS6detail17trampoline_kernelINS0_13select_configILj256ELj13ELNS0_17block_load_methodE3ELS4_3ELS4_3ELNS0_20block_scan_algorithmE0ELj4294967295EEENS1_25partition_config_selectorILNS1_17partition_subalgoE4EjNS0_10empty_typeEbEEZZNS1_14partition_implILS8_4ELb0ES6_15HIP_vector_typeIjLj2EENS0_17counting_iteratorIjlEEPS9_SG_NS0_5tupleIJPjSI_NS0_16reverse_iteratorISI_EEEEENSH_IJSG_SG_SG_EEES9_SI_JZNS1_25segmented_radix_sort_implINS0_14default_configELb1EPKhPhPKlPlN2at6native12_GLOBAL__N_18offset_tEEE10hipError_tPvRmT1_PNSt15iterator_traitsIS12_E10value_typeET2_T3_PNS13_IS18_E10value_typeET4_jRbjT5_S1E_jjP12ihipStream_tbEUljE_ZNSN_ISO_Lb1ESQ_SR_ST_SU_SY_EESZ_S10_S11_S12_S16_S17_S18_S1B_S1C_jS1D_jS1E_S1E_jjS1G_bEUljE0_EEESZ_S10_S11_S18_S1C_S1E_T6_T7_T9_mT8_S1G_bDpT10_ENKUlT_T0_E_clISt17integral_constantIbLb1EES1U_EEDaS1P_S1Q_EUlS1P_E_NS1_11comp_targetILNS1_3genE0ELNS1_11target_archE4294967295ELNS1_3gpuE0ELNS1_3repE0EEENS1_30default_config_static_selectorELNS0_4arch9wavefront6targetE0EEEvS12_.numbered_sgpr, 0
	.set _ZN7rocprim17ROCPRIM_400000_NS6detail17trampoline_kernelINS0_13select_configILj256ELj13ELNS0_17block_load_methodE3ELS4_3ELS4_3ELNS0_20block_scan_algorithmE0ELj4294967295EEENS1_25partition_config_selectorILNS1_17partition_subalgoE4EjNS0_10empty_typeEbEEZZNS1_14partition_implILS8_4ELb0ES6_15HIP_vector_typeIjLj2EENS0_17counting_iteratorIjlEEPS9_SG_NS0_5tupleIJPjSI_NS0_16reverse_iteratorISI_EEEEENSH_IJSG_SG_SG_EEES9_SI_JZNS1_25segmented_radix_sort_implINS0_14default_configELb1EPKhPhPKlPlN2at6native12_GLOBAL__N_18offset_tEEE10hipError_tPvRmT1_PNSt15iterator_traitsIS12_E10value_typeET2_T3_PNS13_IS18_E10value_typeET4_jRbjT5_S1E_jjP12ihipStream_tbEUljE_ZNSN_ISO_Lb1ESQ_SR_ST_SU_SY_EESZ_S10_S11_S12_S16_S17_S18_S1B_S1C_jS1D_jS1E_S1E_jjS1G_bEUljE0_EEESZ_S10_S11_S18_S1C_S1E_T6_T7_T9_mT8_S1G_bDpT10_ENKUlT_T0_E_clISt17integral_constantIbLb1EES1U_EEDaS1P_S1Q_EUlS1P_E_NS1_11comp_targetILNS1_3genE0ELNS1_11target_archE4294967295ELNS1_3gpuE0ELNS1_3repE0EEENS1_30default_config_static_selectorELNS0_4arch9wavefront6targetE0EEEvS12_.num_named_barrier, 0
	.set _ZN7rocprim17ROCPRIM_400000_NS6detail17trampoline_kernelINS0_13select_configILj256ELj13ELNS0_17block_load_methodE3ELS4_3ELS4_3ELNS0_20block_scan_algorithmE0ELj4294967295EEENS1_25partition_config_selectorILNS1_17partition_subalgoE4EjNS0_10empty_typeEbEEZZNS1_14partition_implILS8_4ELb0ES6_15HIP_vector_typeIjLj2EENS0_17counting_iteratorIjlEEPS9_SG_NS0_5tupleIJPjSI_NS0_16reverse_iteratorISI_EEEEENSH_IJSG_SG_SG_EEES9_SI_JZNS1_25segmented_radix_sort_implINS0_14default_configELb1EPKhPhPKlPlN2at6native12_GLOBAL__N_18offset_tEEE10hipError_tPvRmT1_PNSt15iterator_traitsIS12_E10value_typeET2_T3_PNS13_IS18_E10value_typeET4_jRbjT5_S1E_jjP12ihipStream_tbEUljE_ZNSN_ISO_Lb1ESQ_SR_ST_SU_SY_EESZ_S10_S11_S12_S16_S17_S18_S1B_S1C_jS1D_jS1E_S1E_jjS1G_bEUljE0_EEESZ_S10_S11_S18_S1C_S1E_T6_T7_T9_mT8_S1G_bDpT10_ENKUlT_T0_E_clISt17integral_constantIbLb1EES1U_EEDaS1P_S1Q_EUlS1P_E_NS1_11comp_targetILNS1_3genE0ELNS1_11target_archE4294967295ELNS1_3gpuE0ELNS1_3repE0EEENS1_30default_config_static_selectorELNS0_4arch9wavefront6targetE0EEEvS12_.private_seg_size, 0
	.set _ZN7rocprim17ROCPRIM_400000_NS6detail17trampoline_kernelINS0_13select_configILj256ELj13ELNS0_17block_load_methodE3ELS4_3ELS4_3ELNS0_20block_scan_algorithmE0ELj4294967295EEENS1_25partition_config_selectorILNS1_17partition_subalgoE4EjNS0_10empty_typeEbEEZZNS1_14partition_implILS8_4ELb0ES6_15HIP_vector_typeIjLj2EENS0_17counting_iteratorIjlEEPS9_SG_NS0_5tupleIJPjSI_NS0_16reverse_iteratorISI_EEEEENSH_IJSG_SG_SG_EEES9_SI_JZNS1_25segmented_radix_sort_implINS0_14default_configELb1EPKhPhPKlPlN2at6native12_GLOBAL__N_18offset_tEEE10hipError_tPvRmT1_PNSt15iterator_traitsIS12_E10value_typeET2_T3_PNS13_IS18_E10value_typeET4_jRbjT5_S1E_jjP12ihipStream_tbEUljE_ZNSN_ISO_Lb1ESQ_SR_ST_SU_SY_EESZ_S10_S11_S12_S16_S17_S18_S1B_S1C_jS1D_jS1E_S1E_jjS1G_bEUljE0_EEESZ_S10_S11_S18_S1C_S1E_T6_T7_T9_mT8_S1G_bDpT10_ENKUlT_T0_E_clISt17integral_constantIbLb1EES1U_EEDaS1P_S1Q_EUlS1P_E_NS1_11comp_targetILNS1_3genE0ELNS1_11target_archE4294967295ELNS1_3gpuE0ELNS1_3repE0EEENS1_30default_config_static_selectorELNS0_4arch9wavefront6targetE0EEEvS12_.uses_vcc, 0
	.set _ZN7rocprim17ROCPRIM_400000_NS6detail17trampoline_kernelINS0_13select_configILj256ELj13ELNS0_17block_load_methodE3ELS4_3ELS4_3ELNS0_20block_scan_algorithmE0ELj4294967295EEENS1_25partition_config_selectorILNS1_17partition_subalgoE4EjNS0_10empty_typeEbEEZZNS1_14partition_implILS8_4ELb0ES6_15HIP_vector_typeIjLj2EENS0_17counting_iteratorIjlEEPS9_SG_NS0_5tupleIJPjSI_NS0_16reverse_iteratorISI_EEEEENSH_IJSG_SG_SG_EEES9_SI_JZNS1_25segmented_radix_sort_implINS0_14default_configELb1EPKhPhPKlPlN2at6native12_GLOBAL__N_18offset_tEEE10hipError_tPvRmT1_PNSt15iterator_traitsIS12_E10value_typeET2_T3_PNS13_IS18_E10value_typeET4_jRbjT5_S1E_jjP12ihipStream_tbEUljE_ZNSN_ISO_Lb1ESQ_SR_ST_SU_SY_EESZ_S10_S11_S12_S16_S17_S18_S1B_S1C_jS1D_jS1E_S1E_jjS1G_bEUljE0_EEESZ_S10_S11_S18_S1C_S1E_T6_T7_T9_mT8_S1G_bDpT10_ENKUlT_T0_E_clISt17integral_constantIbLb1EES1U_EEDaS1P_S1Q_EUlS1P_E_NS1_11comp_targetILNS1_3genE0ELNS1_11target_archE4294967295ELNS1_3gpuE0ELNS1_3repE0EEENS1_30default_config_static_selectorELNS0_4arch9wavefront6targetE0EEEvS12_.uses_flat_scratch, 0
	.set _ZN7rocprim17ROCPRIM_400000_NS6detail17trampoline_kernelINS0_13select_configILj256ELj13ELNS0_17block_load_methodE3ELS4_3ELS4_3ELNS0_20block_scan_algorithmE0ELj4294967295EEENS1_25partition_config_selectorILNS1_17partition_subalgoE4EjNS0_10empty_typeEbEEZZNS1_14partition_implILS8_4ELb0ES6_15HIP_vector_typeIjLj2EENS0_17counting_iteratorIjlEEPS9_SG_NS0_5tupleIJPjSI_NS0_16reverse_iteratorISI_EEEEENSH_IJSG_SG_SG_EEES9_SI_JZNS1_25segmented_radix_sort_implINS0_14default_configELb1EPKhPhPKlPlN2at6native12_GLOBAL__N_18offset_tEEE10hipError_tPvRmT1_PNSt15iterator_traitsIS12_E10value_typeET2_T3_PNS13_IS18_E10value_typeET4_jRbjT5_S1E_jjP12ihipStream_tbEUljE_ZNSN_ISO_Lb1ESQ_SR_ST_SU_SY_EESZ_S10_S11_S12_S16_S17_S18_S1B_S1C_jS1D_jS1E_S1E_jjS1G_bEUljE0_EEESZ_S10_S11_S18_S1C_S1E_T6_T7_T9_mT8_S1G_bDpT10_ENKUlT_T0_E_clISt17integral_constantIbLb1EES1U_EEDaS1P_S1Q_EUlS1P_E_NS1_11comp_targetILNS1_3genE0ELNS1_11target_archE4294967295ELNS1_3gpuE0ELNS1_3repE0EEENS1_30default_config_static_selectorELNS0_4arch9wavefront6targetE0EEEvS12_.has_dyn_sized_stack, 0
	.set _ZN7rocprim17ROCPRIM_400000_NS6detail17trampoline_kernelINS0_13select_configILj256ELj13ELNS0_17block_load_methodE3ELS4_3ELS4_3ELNS0_20block_scan_algorithmE0ELj4294967295EEENS1_25partition_config_selectorILNS1_17partition_subalgoE4EjNS0_10empty_typeEbEEZZNS1_14partition_implILS8_4ELb0ES6_15HIP_vector_typeIjLj2EENS0_17counting_iteratorIjlEEPS9_SG_NS0_5tupleIJPjSI_NS0_16reverse_iteratorISI_EEEEENSH_IJSG_SG_SG_EEES9_SI_JZNS1_25segmented_radix_sort_implINS0_14default_configELb1EPKhPhPKlPlN2at6native12_GLOBAL__N_18offset_tEEE10hipError_tPvRmT1_PNSt15iterator_traitsIS12_E10value_typeET2_T3_PNS13_IS18_E10value_typeET4_jRbjT5_S1E_jjP12ihipStream_tbEUljE_ZNSN_ISO_Lb1ESQ_SR_ST_SU_SY_EESZ_S10_S11_S12_S16_S17_S18_S1B_S1C_jS1D_jS1E_S1E_jjS1G_bEUljE0_EEESZ_S10_S11_S18_S1C_S1E_T6_T7_T9_mT8_S1G_bDpT10_ENKUlT_T0_E_clISt17integral_constantIbLb1EES1U_EEDaS1P_S1Q_EUlS1P_E_NS1_11comp_targetILNS1_3genE0ELNS1_11target_archE4294967295ELNS1_3gpuE0ELNS1_3repE0EEENS1_30default_config_static_selectorELNS0_4arch9wavefront6targetE0EEEvS12_.has_recursion, 0
	.set _ZN7rocprim17ROCPRIM_400000_NS6detail17trampoline_kernelINS0_13select_configILj256ELj13ELNS0_17block_load_methodE3ELS4_3ELS4_3ELNS0_20block_scan_algorithmE0ELj4294967295EEENS1_25partition_config_selectorILNS1_17partition_subalgoE4EjNS0_10empty_typeEbEEZZNS1_14partition_implILS8_4ELb0ES6_15HIP_vector_typeIjLj2EENS0_17counting_iteratorIjlEEPS9_SG_NS0_5tupleIJPjSI_NS0_16reverse_iteratorISI_EEEEENSH_IJSG_SG_SG_EEES9_SI_JZNS1_25segmented_radix_sort_implINS0_14default_configELb1EPKhPhPKlPlN2at6native12_GLOBAL__N_18offset_tEEE10hipError_tPvRmT1_PNSt15iterator_traitsIS12_E10value_typeET2_T3_PNS13_IS18_E10value_typeET4_jRbjT5_S1E_jjP12ihipStream_tbEUljE_ZNSN_ISO_Lb1ESQ_SR_ST_SU_SY_EESZ_S10_S11_S12_S16_S17_S18_S1B_S1C_jS1D_jS1E_S1E_jjS1G_bEUljE0_EEESZ_S10_S11_S18_S1C_S1E_T6_T7_T9_mT8_S1G_bDpT10_ENKUlT_T0_E_clISt17integral_constantIbLb1EES1U_EEDaS1P_S1Q_EUlS1P_E_NS1_11comp_targetILNS1_3genE0ELNS1_11target_archE4294967295ELNS1_3gpuE0ELNS1_3repE0EEENS1_30default_config_static_selectorELNS0_4arch9wavefront6targetE0EEEvS12_.has_indirect_call, 0
	.section	.AMDGPU.csdata,"",@progbits
; Kernel info:
; codeLenInByte = 0
; TotalNumSgprs: 0
; NumVgprs: 0
; ScratchSize: 0
; MemoryBound: 0
; FloatMode: 240
; IeeeMode: 1
; LDSByteSize: 0 bytes/workgroup (compile time only)
; SGPRBlocks: 0
; VGPRBlocks: 0
; NumSGPRsForWavesPerEU: 1
; NumVGPRsForWavesPerEU: 1
; Occupancy: 16
; WaveLimiterHint : 0
; COMPUTE_PGM_RSRC2:SCRATCH_EN: 0
; COMPUTE_PGM_RSRC2:USER_SGPR: 6
; COMPUTE_PGM_RSRC2:TRAP_HANDLER: 0
; COMPUTE_PGM_RSRC2:TGID_X_EN: 1
; COMPUTE_PGM_RSRC2:TGID_Y_EN: 0
; COMPUTE_PGM_RSRC2:TGID_Z_EN: 0
; COMPUTE_PGM_RSRC2:TIDIG_COMP_CNT: 0
	.section	.text._ZN7rocprim17ROCPRIM_400000_NS6detail17trampoline_kernelINS0_13select_configILj256ELj13ELNS0_17block_load_methodE3ELS4_3ELS4_3ELNS0_20block_scan_algorithmE0ELj4294967295EEENS1_25partition_config_selectorILNS1_17partition_subalgoE4EjNS0_10empty_typeEbEEZZNS1_14partition_implILS8_4ELb0ES6_15HIP_vector_typeIjLj2EENS0_17counting_iteratorIjlEEPS9_SG_NS0_5tupleIJPjSI_NS0_16reverse_iteratorISI_EEEEENSH_IJSG_SG_SG_EEES9_SI_JZNS1_25segmented_radix_sort_implINS0_14default_configELb1EPKhPhPKlPlN2at6native12_GLOBAL__N_18offset_tEEE10hipError_tPvRmT1_PNSt15iterator_traitsIS12_E10value_typeET2_T3_PNS13_IS18_E10value_typeET4_jRbjT5_S1E_jjP12ihipStream_tbEUljE_ZNSN_ISO_Lb1ESQ_SR_ST_SU_SY_EESZ_S10_S11_S12_S16_S17_S18_S1B_S1C_jS1D_jS1E_S1E_jjS1G_bEUljE0_EEESZ_S10_S11_S18_S1C_S1E_T6_T7_T9_mT8_S1G_bDpT10_ENKUlT_T0_E_clISt17integral_constantIbLb1EES1U_EEDaS1P_S1Q_EUlS1P_E_NS1_11comp_targetILNS1_3genE5ELNS1_11target_archE942ELNS1_3gpuE9ELNS1_3repE0EEENS1_30default_config_static_selectorELNS0_4arch9wavefront6targetE0EEEvS12_,"axG",@progbits,_ZN7rocprim17ROCPRIM_400000_NS6detail17trampoline_kernelINS0_13select_configILj256ELj13ELNS0_17block_load_methodE3ELS4_3ELS4_3ELNS0_20block_scan_algorithmE0ELj4294967295EEENS1_25partition_config_selectorILNS1_17partition_subalgoE4EjNS0_10empty_typeEbEEZZNS1_14partition_implILS8_4ELb0ES6_15HIP_vector_typeIjLj2EENS0_17counting_iteratorIjlEEPS9_SG_NS0_5tupleIJPjSI_NS0_16reverse_iteratorISI_EEEEENSH_IJSG_SG_SG_EEES9_SI_JZNS1_25segmented_radix_sort_implINS0_14default_configELb1EPKhPhPKlPlN2at6native12_GLOBAL__N_18offset_tEEE10hipError_tPvRmT1_PNSt15iterator_traitsIS12_E10value_typeET2_T3_PNS13_IS18_E10value_typeET4_jRbjT5_S1E_jjP12ihipStream_tbEUljE_ZNSN_ISO_Lb1ESQ_SR_ST_SU_SY_EESZ_S10_S11_S12_S16_S17_S18_S1B_S1C_jS1D_jS1E_S1E_jjS1G_bEUljE0_EEESZ_S10_S11_S18_S1C_S1E_T6_T7_T9_mT8_S1G_bDpT10_ENKUlT_T0_E_clISt17integral_constantIbLb1EES1U_EEDaS1P_S1Q_EUlS1P_E_NS1_11comp_targetILNS1_3genE5ELNS1_11target_archE942ELNS1_3gpuE9ELNS1_3repE0EEENS1_30default_config_static_selectorELNS0_4arch9wavefront6targetE0EEEvS12_,comdat
	.globl	_ZN7rocprim17ROCPRIM_400000_NS6detail17trampoline_kernelINS0_13select_configILj256ELj13ELNS0_17block_load_methodE3ELS4_3ELS4_3ELNS0_20block_scan_algorithmE0ELj4294967295EEENS1_25partition_config_selectorILNS1_17partition_subalgoE4EjNS0_10empty_typeEbEEZZNS1_14partition_implILS8_4ELb0ES6_15HIP_vector_typeIjLj2EENS0_17counting_iteratorIjlEEPS9_SG_NS0_5tupleIJPjSI_NS0_16reverse_iteratorISI_EEEEENSH_IJSG_SG_SG_EEES9_SI_JZNS1_25segmented_radix_sort_implINS0_14default_configELb1EPKhPhPKlPlN2at6native12_GLOBAL__N_18offset_tEEE10hipError_tPvRmT1_PNSt15iterator_traitsIS12_E10value_typeET2_T3_PNS13_IS18_E10value_typeET4_jRbjT5_S1E_jjP12ihipStream_tbEUljE_ZNSN_ISO_Lb1ESQ_SR_ST_SU_SY_EESZ_S10_S11_S12_S16_S17_S18_S1B_S1C_jS1D_jS1E_S1E_jjS1G_bEUljE0_EEESZ_S10_S11_S18_S1C_S1E_T6_T7_T9_mT8_S1G_bDpT10_ENKUlT_T0_E_clISt17integral_constantIbLb1EES1U_EEDaS1P_S1Q_EUlS1P_E_NS1_11comp_targetILNS1_3genE5ELNS1_11target_archE942ELNS1_3gpuE9ELNS1_3repE0EEENS1_30default_config_static_selectorELNS0_4arch9wavefront6targetE0EEEvS12_ ; -- Begin function _ZN7rocprim17ROCPRIM_400000_NS6detail17trampoline_kernelINS0_13select_configILj256ELj13ELNS0_17block_load_methodE3ELS4_3ELS4_3ELNS0_20block_scan_algorithmE0ELj4294967295EEENS1_25partition_config_selectorILNS1_17partition_subalgoE4EjNS0_10empty_typeEbEEZZNS1_14partition_implILS8_4ELb0ES6_15HIP_vector_typeIjLj2EENS0_17counting_iteratorIjlEEPS9_SG_NS0_5tupleIJPjSI_NS0_16reverse_iteratorISI_EEEEENSH_IJSG_SG_SG_EEES9_SI_JZNS1_25segmented_radix_sort_implINS0_14default_configELb1EPKhPhPKlPlN2at6native12_GLOBAL__N_18offset_tEEE10hipError_tPvRmT1_PNSt15iterator_traitsIS12_E10value_typeET2_T3_PNS13_IS18_E10value_typeET4_jRbjT5_S1E_jjP12ihipStream_tbEUljE_ZNSN_ISO_Lb1ESQ_SR_ST_SU_SY_EESZ_S10_S11_S12_S16_S17_S18_S1B_S1C_jS1D_jS1E_S1E_jjS1G_bEUljE0_EEESZ_S10_S11_S18_S1C_S1E_T6_T7_T9_mT8_S1G_bDpT10_ENKUlT_T0_E_clISt17integral_constantIbLb1EES1U_EEDaS1P_S1Q_EUlS1P_E_NS1_11comp_targetILNS1_3genE5ELNS1_11target_archE942ELNS1_3gpuE9ELNS1_3repE0EEENS1_30default_config_static_selectorELNS0_4arch9wavefront6targetE0EEEvS12_
	.p2align	8
	.type	_ZN7rocprim17ROCPRIM_400000_NS6detail17trampoline_kernelINS0_13select_configILj256ELj13ELNS0_17block_load_methodE3ELS4_3ELS4_3ELNS0_20block_scan_algorithmE0ELj4294967295EEENS1_25partition_config_selectorILNS1_17partition_subalgoE4EjNS0_10empty_typeEbEEZZNS1_14partition_implILS8_4ELb0ES6_15HIP_vector_typeIjLj2EENS0_17counting_iteratorIjlEEPS9_SG_NS0_5tupleIJPjSI_NS0_16reverse_iteratorISI_EEEEENSH_IJSG_SG_SG_EEES9_SI_JZNS1_25segmented_radix_sort_implINS0_14default_configELb1EPKhPhPKlPlN2at6native12_GLOBAL__N_18offset_tEEE10hipError_tPvRmT1_PNSt15iterator_traitsIS12_E10value_typeET2_T3_PNS13_IS18_E10value_typeET4_jRbjT5_S1E_jjP12ihipStream_tbEUljE_ZNSN_ISO_Lb1ESQ_SR_ST_SU_SY_EESZ_S10_S11_S12_S16_S17_S18_S1B_S1C_jS1D_jS1E_S1E_jjS1G_bEUljE0_EEESZ_S10_S11_S18_S1C_S1E_T6_T7_T9_mT8_S1G_bDpT10_ENKUlT_T0_E_clISt17integral_constantIbLb1EES1U_EEDaS1P_S1Q_EUlS1P_E_NS1_11comp_targetILNS1_3genE5ELNS1_11target_archE942ELNS1_3gpuE9ELNS1_3repE0EEENS1_30default_config_static_selectorELNS0_4arch9wavefront6targetE0EEEvS12_,@function
_ZN7rocprim17ROCPRIM_400000_NS6detail17trampoline_kernelINS0_13select_configILj256ELj13ELNS0_17block_load_methodE3ELS4_3ELS4_3ELNS0_20block_scan_algorithmE0ELj4294967295EEENS1_25partition_config_selectorILNS1_17partition_subalgoE4EjNS0_10empty_typeEbEEZZNS1_14partition_implILS8_4ELb0ES6_15HIP_vector_typeIjLj2EENS0_17counting_iteratorIjlEEPS9_SG_NS0_5tupleIJPjSI_NS0_16reverse_iteratorISI_EEEEENSH_IJSG_SG_SG_EEES9_SI_JZNS1_25segmented_radix_sort_implINS0_14default_configELb1EPKhPhPKlPlN2at6native12_GLOBAL__N_18offset_tEEE10hipError_tPvRmT1_PNSt15iterator_traitsIS12_E10value_typeET2_T3_PNS13_IS18_E10value_typeET4_jRbjT5_S1E_jjP12ihipStream_tbEUljE_ZNSN_ISO_Lb1ESQ_SR_ST_SU_SY_EESZ_S10_S11_S12_S16_S17_S18_S1B_S1C_jS1D_jS1E_S1E_jjS1G_bEUljE0_EEESZ_S10_S11_S18_S1C_S1E_T6_T7_T9_mT8_S1G_bDpT10_ENKUlT_T0_E_clISt17integral_constantIbLb1EES1U_EEDaS1P_S1Q_EUlS1P_E_NS1_11comp_targetILNS1_3genE5ELNS1_11target_archE942ELNS1_3gpuE9ELNS1_3repE0EEENS1_30default_config_static_selectorELNS0_4arch9wavefront6targetE0EEEvS12_: ; @_ZN7rocprim17ROCPRIM_400000_NS6detail17trampoline_kernelINS0_13select_configILj256ELj13ELNS0_17block_load_methodE3ELS4_3ELS4_3ELNS0_20block_scan_algorithmE0ELj4294967295EEENS1_25partition_config_selectorILNS1_17partition_subalgoE4EjNS0_10empty_typeEbEEZZNS1_14partition_implILS8_4ELb0ES6_15HIP_vector_typeIjLj2EENS0_17counting_iteratorIjlEEPS9_SG_NS0_5tupleIJPjSI_NS0_16reverse_iteratorISI_EEEEENSH_IJSG_SG_SG_EEES9_SI_JZNS1_25segmented_radix_sort_implINS0_14default_configELb1EPKhPhPKlPlN2at6native12_GLOBAL__N_18offset_tEEE10hipError_tPvRmT1_PNSt15iterator_traitsIS12_E10value_typeET2_T3_PNS13_IS18_E10value_typeET4_jRbjT5_S1E_jjP12ihipStream_tbEUljE_ZNSN_ISO_Lb1ESQ_SR_ST_SU_SY_EESZ_S10_S11_S12_S16_S17_S18_S1B_S1C_jS1D_jS1E_S1E_jjS1G_bEUljE0_EEESZ_S10_S11_S18_S1C_S1E_T6_T7_T9_mT8_S1G_bDpT10_ENKUlT_T0_E_clISt17integral_constantIbLb1EES1U_EEDaS1P_S1Q_EUlS1P_E_NS1_11comp_targetILNS1_3genE5ELNS1_11target_archE942ELNS1_3gpuE9ELNS1_3repE0EEENS1_30default_config_static_selectorELNS0_4arch9wavefront6targetE0EEEvS12_
; %bb.0:
	.section	.rodata,"a",@progbits
	.p2align	6, 0x0
	.amdhsa_kernel _ZN7rocprim17ROCPRIM_400000_NS6detail17trampoline_kernelINS0_13select_configILj256ELj13ELNS0_17block_load_methodE3ELS4_3ELS4_3ELNS0_20block_scan_algorithmE0ELj4294967295EEENS1_25partition_config_selectorILNS1_17partition_subalgoE4EjNS0_10empty_typeEbEEZZNS1_14partition_implILS8_4ELb0ES6_15HIP_vector_typeIjLj2EENS0_17counting_iteratorIjlEEPS9_SG_NS0_5tupleIJPjSI_NS0_16reverse_iteratorISI_EEEEENSH_IJSG_SG_SG_EEES9_SI_JZNS1_25segmented_radix_sort_implINS0_14default_configELb1EPKhPhPKlPlN2at6native12_GLOBAL__N_18offset_tEEE10hipError_tPvRmT1_PNSt15iterator_traitsIS12_E10value_typeET2_T3_PNS13_IS18_E10value_typeET4_jRbjT5_S1E_jjP12ihipStream_tbEUljE_ZNSN_ISO_Lb1ESQ_SR_ST_SU_SY_EESZ_S10_S11_S12_S16_S17_S18_S1B_S1C_jS1D_jS1E_S1E_jjS1G_bEUljE0_EEESZ_S10_S11_S18_S1C_S1E_T6_T7_T9_mT8_S1G_bDpT10_ENKUlT_T0_E_clISt17integral_constantIbLb1EES1U_EEDaS1P_S1Q_EUlS1P_E_NS1_11comp_targetILNS1_3genE5ELNS1_11target_archE942ELNS1_3gpuE9ELNS1_3repE0EEENS1_30default_config_static_selectorELNS0_4arch9wavefront6targetE0EEEvS12_
		.amdhsa_group_segment_fixed_size 0
		.amdhsa_private_segment_fixed_size 0
		.amdhsa_kernarg_size 184
		.amdhsa_user_sgpr_count 6
		.amdhsa_user_sgpr_private_segment_buffer 1
		.amdhsa_user_sgpr_dispatch_ptr 0
		.amdhsa_user_sgpr_queue_ptr 0
		.amdhsa_user_sgpr_kernarg_segment_ptr 1
		.amdhsa_user_sgpr_dispatch_id 0
		.amdhsa_user_sgpr_flat_scratch_init 0
		.amdhsa_user_sgpr_private_segment_size 0
		.amdhsa_wavefront_size32 1
		.amdhsa_uses_dynamic_stack 0
		.amdhsa_system_sgpr_private_segment_wavefront_offset 0
		.amdhsa_system_sgpr_workgroup_id_x 1
		.amdhsa_system_sgpr_workgroup_id_y 0
		.amdhsa_system_sgpr_workgroup_id_z 0
		.amdhsa_system_sgpr_workgroup_info 0
		.amdhsa_system_vgpr_workitem_id 0
		.amdhsa_next_free_vgpr 1
		.amdhsa_next_free_sgpr 1
		.amdhsa_reserve_vcc 0
		.amdhsa_reserve_flat_scratch 0
		.amdhsa_float_round_mode_32 0
		.amdhsa_float_round_mode_16_64 0
		.amdhsa_float_denorm_mode_32 3
		.amdhsa_float_denorm_mode_16_64 3
		.amdhsa_dx10_clamp 1
		.amdhsa_ieee_mode 1
		.amdhsa_fp16_overflow 0
		.amdhsa_workgroup_processor_mode 1
		.amdhsa_memory_ordered 1
		.amdhsa_forward_progress 1
		.amdhsa_shared_vgpr_count 0
		.amdhsa_exception_fp_ieee_invalid_op 0
		.amdhsa_exception_fp_denorm_src 0
		.amdhsa_exception_fp_ieee_div_zero 0
		.amdhsa_exception_fp_ieee_overflow 0
		.amdhsa_exception_fp_ieee_underflow 0
		.amdhsa_exception_fp_ieee_inexact 0
		.amdhsa_exception_int_div_zero 0
	.end_amdhsa_kernel
	.section	.text._ZN7rocprim17ROCPRIM_400000_NS6detail17trampoline_kernelINS0_13select_configILj256ELj13ELNS0_17block_load_methodE3ELS4_3ELS4_3ELNS0_20block_scan_algorithmE0ELj4294967295EEENS1_25partition_config_selectorILNS1_17partition_subalgoE4EjNS0_10empty_typeEbEEZZNS1_14partition_implILS8_4ELb0ES6_15HIP_vector_typeIjLj2EENS0_17counting_iteratorIjlEEPS9_SG_NS0_5tupleIJPjSI_NS0_16reverse_iteratorISI_EEEEENSH_IJSG_SG_SG_EEES9_SI_JZNS1_25segmented_radix_sort_implINS0_14default_configELb1EPKhPhPKlPlN2at6native12_GLOBAL__N_18offset_tEEE10hipError_tPvRmT1_PNSt15iterator_traitsIS12_E10value_typeET2_T3_PNS13_IS18_E10value_typeET4_jRbjT5_S1E_jjP12ihipStream_tbEUljE_ZNSN_ISO_Lb1ESQ_SR_ST_SU_SY_EESZ_S10_S11_S12_S16_S17_S18_S1B_S1C_jS1D_jS1E_S1E_jjS1G_bEUljE0_EEESZ_S10_S11_S18_S1C_S1E_T6_T7_T9_mT8_S1G_bDpT10_ENKUlT_T0_E_clISt17integral_constantIbLb1EES1U_EEDaS1P_S1Q_EUlS1P_E_NS1_11comp_targetILNS1_3genE5ELNS1_11target_archE942ELNS1_3gpuE9ELNS1_3repE0EEENS1_30default_config_static_selectorELNS0_4arch9wavefront6targetE0EEEvS12_,"axG",@progbits,_ZN7rocprim17ROCPRIM_400000_NS6detail17trampoline_kernelINS0_13select_configILj256ELj13ELNS0_17block_load_methodE3ELS4_3ELS4_3ELNS0_20block_scan_algorithmE0ELj4294967295EEENS1_25partition_config_selectorILNS1_17partition_subalgoE4EjNS0_10empty_typeEbEEZZNS1_14partition_implILS8_4ELb0ES6_15HIP_vector_typeIjLj2EENS0_17counting_iteratorIjlEEPS9_SG_NS0_5tupleIJPjSI_NS0_16reverse_iteratorISI_EEEEENSH_IJSG_SG_SG_EEES9_SI_JZNS1_25segmented_radix_sort_implINS0_14default_configELb1EPKhPhPKlPlN2at6native12_GLOBAL__N_18offset_tEEE10hipError_tPvRmT1_PNSt15iterator_traitsIS12_E10value_typeET2_T3_PNS13_IS18_E10value_typeET4_jRbjT5_S1E_jjP12ihipStream_tbEUljE_ZNSN_ISO_Lb1ESQ_SR_ST_SU_SY_EESZ_S10_S11_S12_S16_S17_S18_S1B_S1C_jS1D_jS1E_S1E_jjS1G_bEUljE0_EEESZ_S10_S11_S18_S1C_S1E_T6_T7_T9_mT8_S1G_bDpT10_ENKUlT_T0_E_clISt17integral_constantIbLb1EES1U_EEDaS1P_S1Q_EUlS1P_E_NS1_11comp_targetILNS1_3genE5ELNS1_11target_archE942ELNS1_3gpuE9ELNS1_3repE0EEENS1_30default_config_static_selectorELNS0_4arch9wavefront6targetE0EEEvS12_,comdat
.Lfunc_end22:
	.size	_ZN7rocprim17ROCPRIM_400000_NS6detail17trampoline_kernelINS0_13select_configILj256ELj13ELNS0_17block_load_methodE3ELS4_3ELS4_3ELNS0_20block_scan_algorithmE0ELj4294967295EEENS1_25partition_config_selectorILNS1_17partition_subalgoE4EjNS0_10empty_typeEbEEZZNS1_14partition_implILS8_4ELb0ES6_15HIP_vector_typeIjLj2EENS0_17counting_iteratorIjlEEPS9_SG_NS0_5tupleIJPjSI_NS0_16reverse_iteratorISI_EEEEENSH_IJSG_SG_SG_EEES9_SI_JZNS1_25segmented_radix_sort_implINS0_14default_configELb1EPKhPhPKlPlN2at6native12_GLOBAL__N_18offset_tEEE10hipError_tPvRmT1_PNSt15iterator_traitsIS12_E10value_typeET2_T3_PNS13_IS18_E10value_typeET4_jRbjT5_S1E_jjP12ihipStream_tbEUljE_ZNSN_ISO_Lb1ESQ_SR_ST_SU_SY_EESZ_S10_S11_S12_S16_S17_S18_S1B_S1C_jS1D_jS1E_S1E_jjS1G_bEUljE0_EEESZ_S10_S11_S18_S1C_S1E_T6_T7_T9_mT8_S1G_bDpT10_ENKUlT_T0_E_clISt17integral_constantIbLb1EES1U_EEDaS1P_S1Q_EUlS1P_E_NS1_11comp_targetILNS1_3genE5ELNS1_11target_archE942ELNS1_3gpuE9ELNS1_3repE0EEENS1_30default_config_static_selectorELNS0_4arch9wavefront6targetE0EEEvS12_, .Lfunc_end22-_ZN7rocprim17ROCPRIM_400000_NS6detail17trampoline_kernelINS0_13select_configILj256ELj13ELNS0_17block_load_methodE3ELS4_3ELS4_3ELNS0_20block_scan_algorithmE0ELj4294967295EEENS1_25partition_config_selectorILNS1_17partition_subalgoE4EjNS0_10empty_typeEbEEZZNS1_14partition_implILS8_4ELb0ES6_15HIP_vector_typeIjLj2EENS0_17counting_iteratorIjlEEPS9_SG_NS0_5tupleIJPjSI_NS0_16reverse_iteratorISI_EEEEENSH_IJSG_SG_SG_EEES9_SI_JZNS1_25segmented_radix_sort_implINS0_14default_configELb1EPKhPhPKlPlN2at6native12_GLOBAL__N_18offset_tEEE10hipError_tPvRmT1_PNSt15iterator_traitsIS12_E10value_typeET2_T3_PNS13_IS18_E10value_typeET4_jRbjT5_S1E_jjP12ihipStream_tbEUljE_ZNSN_ISO_Lb1ESQ_SR_ST_SU_SY_EESZ_S10_S11_S12_S16_S17_S18_S1B_S1C_jS1D_jS1E_S1E_jjS1G_bEUljE0_EEESZ_S10_S11_S18_S1C_S1E_T6_T7_T9_mT8_S1G_bDpT10_ENKUlT_T0_E_clISt17integral_constantIbLb1EES1U_EEDaS1P_S1Q_EUlS1P_E_NS1_11comp_targetILNS1_3genE5ELNS1_11target_archE942ELNS1_3gpuE9ELNS1_3repE0EEENS1_30default_config_static_selectorELNS0_4arch9wavefront6targetE0EEEvS12_
                                        ; -- End function
	.set _ZN7rocprim17ROCPRIM_400000_NS6detail17trampoline_kernelINS0_13select_configILj256ELj13ELNS0_17block_load_methodE3ELS4_3ELS4_3ELNS0_20block_scan_algorithmE0ELj4294967295EEENS1_25partition_config_selectorILNS1_17partition_subalgoE4EjNS0_10empty_typeEbEEZZNS1_14partition_implILS8_4ELb0ES6_15HIP_vector_typeIjLj2EENS0_17counting_iteratorIjlEEPS9_SG_NS0_5tupleIJPjSI_NS0_16reverse_iteratorISI_EEEEENSH_IJSG_SG_SG_EEES9_SI_JZNS1_25segmented_radix_sort_implINS0_14default_configELb1EPKhPhPKlPlN2at6native12_GLOBAL__N_18offset_tEEE10hipError_tPvRmT1_PNSt15iterator_traitsIS12_E10value_typeET2_T3_PNS13_IS18_E10value_typeET4_jRbjT5_S1E_jjP12ihipStream_tbEUljE_ZNSN_ISO_Lb1ESQ_SR_ST_SU_SY_EESZ_S10_S11_S12_S16_S17_S18_S1B_S1C_jS1D_jS1E_S1E_jjS1G_bEUljE0_EEESZ_S10_S11_S18_S1C_S1E_T6_T7_T9_mT8_S1G_bDpT10_ENKUlT_T0_E_clISt17integral_constantIbLb1EES1U_EEDaS1P_S1Q_EUlS1P_E_NS1_11comp_targetILNS1_3genE5ELNS1_11target_archE942ELNS1_3gpuE9ELNS1_3repE0EEENS1_30default_config_static_selectorELNS0_4arch9wavefront6targetE0EEEvS12_.num_vgpr, 0
	.set _ZN7rocprim17ROCPRIM_400000_NS6detail17trampoline_kernelINS0_13select_configILj256ELj13ELNS0_17block_load_methodE3ELS4_3ELS4_3ELNS0_20block_scan_algorithmE0ELj4294967295EEENS1_25partition_config_selectorILNS1_17partition_subalgoE4EjNS0_10empty_typeEbEEZZNS1_14partition_implILS8_4ELb0ES6_15HIP_vector_typeIjLj2EENS0_17counting_iteratorIjlEEPS9_SG_NS0_5tupleIJPjSI_NS0_16reverse_iteratorISI_EEEEENSH_IJSG_SG_SG_EEES9_SI_JZNS1_25segmented_radix_sort_implINS0_14default_configELb1EPKhPhPKlPlN2at6native12_GLOBAL__N_18offset_tEEE10hipError_tPvRmT1_PNSt15iterator_traitsIS12_E10value_typeET2_T3_PNS13_IS18_E10value_typeET4_jRbjT5_S1E_jjP12ihipStream_tbEUljE_ZNSN_ISO_Lb1ESQ_SR_ST_SU_SY_EESZ_S10_S11_S12_S16_S17_S18_S1B_S1C_jS1D_jS1E_S1E_jjS1G_bEUljE0_EEESZ_S10_S11_S18_S1C_S1E_T6_T7_T9_mT8_S1G_bDpT10_ENKUlT_T0_E_clISt17integral_constantIbLb1EES1U_EEDaS1P_S1Q_EUlS1P_E_NS1_11comp_targetILNS1_3genE5ELNS1_11target_archE942ELNS1_3gpuE9ELNS1_3repE0EEENS1_30default_config_static_selectorELNS0_4arch9wavefront6targetE0EEEvS12_.num_agpr, 0
	.set _ZN7rocprim17ROCPRIM_400000_NS6detail17trampoline_kernelINS0_13select_configILj256ELj13ELNS0_17block_load_methodE3ELS4_3ELS4_3ELNS0_20block_scan_algorithmE0ELj4294967295EEENS1_25partition_config_selectorILNS1_17partition_subalgoE4EjNS0_10empty_typeEbEEZZNS1_14partition_implILS8_4ELb0ES6_15HIP_vector_typeIjLj2EENS0_17counting_iteratorIjlEEPS9_SG_NS0_5tupleIJPjSI_NS0_16reverse_iteratorISI_EEEEENSH_IJSG_SG_SG_EEES9_SI_JZNS1_25segmented_radix_sort_implINS0_14default_configELb1EPKhPhPKlPlN2at6native12_GLOBAL__N_18offset_tEEE10hipError_tPvRmT1_PNSt15iterator_traitsIS12_E10value_typeET2_T3_PNS13_IS18_E10value_typeET4_jRbjT5_S1E_jjP12ihipStream_tbEUljE_ZNSN_ISO_Lb1ESQ_SR_ST_SU_SY_EESZ_S10_S11_S12_S16_S17_S18_S1B_S1C_jS1D_jS1E_S1E_jjS1G_bEUljE0_EEESZ_S10_S11_S18_S1C_S1E_T6_T7_T9_mT8_S1G_bDpT10_ENKUlT_T0_E_clISt17integral_constantIbLb1EES1U_EEDaS1P_S1Q_EUlS1P_E_NS1_11comp_targetILNS1_3genE5ELNS1_11target_archE942ELNS1_3gpuE9ELNS1_3repE0EEENS1_30default_config_static_selectorELNS0_4arch9wavefront6targetE0EEEvS12_.numbered_sgpr, 0
	.set _ZN7rocprim17ROCPRIM_400000_NS6detail17trampoline_kernelINS0_13select_configILj256ELj13ELNS0_17block_load_methodE3ELS4_3ELS4_3ELNS0_20block_scan_algorithmE0ELj4294967295EEENS1_25partition_config_selectorILNS1_17partition_subalgoE4EjNS0_10empty_typeEbEEZZNS1_14partition_implILS8_4ELb0ES6_15HIP_vector_typeIjLj2EENS0_17counting_iteratorIjlEEPS9_SG_NS0_5tupleIJPjSI_NS0_16reverse_iteratorISI_EEEEENSH_IJSG_SG_SG_EEES9_SI_JZNS1_25segmented_radix_sort_implINS0_14default_configELb1EPKhPhPKlPlN2at6native12_GLOBAL__N_18offset_tEEE10hipError_tPvRmT1_PNSt15iterator_traitsIS12_E10value_typeET2_T3_PNS13_IS18_E10value_typeET4_jRbjT5_S1E_jjP12ihipStream_tbEUljE_ZNSN_ISO_Lb1ESQ_SR_ST_SU_SY_EESZ_S10_S11_S12_S16_S17_S18_S1B_S1C_jS1D_jS1E_S1E_jjS1G_bEUljE0_EEESZ_S10_S11_S18_S1C_S1E_T6_T7_T9_mT8_S1G_bDpT10_ENKUlT_T0_E_clISt17integral_constantIbLb1EES1U_EEDaS1P_S1Q_EUlS1P_E_NS1_11comp_targetILNS1_3genE5ELNS1_11target_archE942ELNS1_3gpuE9ELNS1_3repE0EEENS1_30default_config_static_selectorELNS0_4arch9wavefront6targetE0EEEvS12_.num_named_barrier, 0
	.set _ZN7rocprim17ROCPRIM_400000_NS6detail17trampoline_kernelINS0_13select_configILj256ELj13ELNS0_17block_load_methodE3ELS4_3ELS4_3ELNS0_20block_scan_algorithmE0ELj4294967295EEENS1_25partition_config_selectorILNS1_17partition_subalgoE4EjNS0_10empty_typeEbEEZZNS1_14partition_implILS8_4ELb0ES6_15HIP_vector_typeIjLj2EENS0_17counting_iteratorIjlEEPS9_SG_NS0_5tupleIJPjSI_NS0_16reverse_iteratorISI_EEEEENSH_IJSG_SG_SG_EEES9_SI_JZNS1_25segmented_radix_sort_implINS0_14default_configELb1EPKhPhPKlPlN2at6native12_GLOBAL__N_18offset_tEEE10hipError_tPvRmT1_PNSt15iterator_traitsIS12_E10value_typeET2_T3_PNS13_IS18_E10value_typeET4_jRbjT5_S1E_jjP12ihipStream_tbEUljE_ZNSN_ISO_Lb1ESQ_SR_ST_SU_SY_EESZ_S10_S11_S12_S16_S17_S18_S1B_S1C_jS1D_jS1E_S1E_jjS1G_bEUljE0_EEESZ_S10_S11_S18_S1C_S1E_T6_T7_T9_mT8_S1G_bDpT10_ENKUlT_T0_E_clISt17integral_constantIbLb1EES1U_EEDaS1P_S1Q_EUlS1P_E_NS1_11comp_targetILNS1_3genE5ELNS1_11target_archE942ELNS1_3gpuE9ELNS1_3repE0EEENS1_30default_config_static_selectorELNS0_4arch9wavefront6targetE0EEEvS12_.private_seg_size, 0
	.set _ZN7rocprim17ROCPRIM_400000_NS6detail17trampoline_kernelINS0_13select_configILj256ELj13ELNS0_17block_load_methodE3ELS4_3ELS4_3ELNS0_20block_scan_algorithmE0ELj4294967295EEENS1_25partition_config_selectorILNS1_17partition_subalgoE4EjNS0_10empty_typeEbEEZZNS1_14partition_implILS8_4ELb0ES6_15HIP_vector_typeIjLj2EENS0_17counting_iteratorIjlEEPS9_SG_NS0_5tupleIJPjSI_NS0_16reverse_iteratorISI_EEEEENSH_IJSG_SG_SG_EEES9_SI_JZNS1_25segmented_radix_sort_implINS0_14default_configELb1EPKhPhPKlPlN2at6native12_GLOBAL__N_18offset_tEEE10hipError_tPvRmT1_PNSt15iterator_traitsIS12_E10value_typeET2_T3_PNS13_IS18_E10value_typeET4_jRbjT5_S1E_jjP12ihipStream_tbEUljE_ZNSN_ISO_Lb1ESQ_SR_ST_SU_SY_EESZ_S10_S11_S12_S16_S17_S18_S1B_S1C_jS1D_jS1E_S1E_jjS1G_bEUljE0_EEESZ_S10_S11_S18_S1C_S1E_T6_T7_T9_mT8_S1G_bDpT10_ENKUlT_T0_E_clISt17integral_constantIbLb1EES1U_EEDaS1P_S1Q_EUlS1P_E_NS1_11comp_targetILNS1_3genE5ELNS1_11target_archE942ELNS1_3gpuE9ELNS1_3repE0EEENS1_30default_config_static_selectorELNS0_4arch9wavefront6targetE0EEEvS12_.uses_vcc, 0
	.set _ZN7rocprim17ROCPRIM_400000_NS6detail17trampoline_kernelINS0_13select_configILj256ELj13ELNS0_17block_load_methodE3ELS4_3ELS4_3ELNS0_20block_scan_algorithmE0ELj4294967295EEENS1_25partition_config_selectorILNS1_17partition_subalgoE4EjNS0_10empty_typeEbEEZZNS1_14partition_implILS8_4ELb0ES6_15HIP_vector_typeIjLj2EENS0_17counting_iteratorIjlEEPS9_SG_NS0_5tupleIJPjSI_NS0_16reverse_iteratorISI_EEEEENSH_IJSG_SG_SG_EEES9_SI_JZNS1_25segmented_radix_sort_implINS0_14default_configELb1EPKhPhPKlPlN2at6native12_GLOBAL__N_18offset_tEEE10hipError_tPvRmT1_PNSt15iterator_traitsIS12_E10value_typeET2_T3_PNS13_IS18_E10value_typeET4_jRbjT5_S1E_jjP12ihipStream_tbEUljE_ZNSN_ISO_Lb1ESQ_SR_ST_SU_SY_EESZ_S10_S11_S12_S16_S17_S18_S1B_S1C_jS1D_jS1E_S1E_jjS1G_bEUljE0_EEESZ_S10_S11_S18_S1C_S1E_T6_T7_T9_mT8_S1G_bDpT10_ENKUlT_T0_E_clISt17integral_constantIbLb1EES1U_EEDaS1P_S1Q_EUlS1P_E_NS1_11comp_targetILNS1_3genE5ELNS1_11target_archE942ELNS1_3gpuE9ELNS1_3repE0EEENS1_30default_config_static_selectorELNS0_4arch9wavefront6targetE0EEEvS12_.uses_flat_scratch, 0
	.set _ZN7rocprim17ROCPRIM_400000_NS6detail17trampoline_kernelINS0_13select_configILj256ELj13ELNS0_17block_load_methodE3ELS4_3ELS4_3ELNS0_20block_scan_algorithmE0ELj4294967295EEENS1_25partition_config_selectorILNS1_17partition_subalgoE4EjNS0_10empty_typeEbEEZZNS1_14partition_implILS8_4ELb0ES6_15HIP_vector_typeIjLj2EENS0_17counting_iteratorIjlEEPS9_SG_NS0_5tupleIJPjSI_NS0_16reverse_iteratorISI_EEEEENSH_IJSG_SG_SG_EEES9_SI_JZNS1_25segmented_radix_sort_implINS0_14default_configELb1EPKhPhPKlPlN2at6native12_GLOBAL__N_18offset_tEEE10hipError_tPvRmT1_PNSt15iterator_traitsIS12_E10value_typeET2_T3_PNS13_IS18_E10value_typeET4_jRbjT5_S1E_jjP12ihipStream_tbEUljE_ZNSN_ISO_Lb1ESQ_SR_ST_SU_SY_EESZ_S10_S11_S12_S16_S17_S18_S1B_S1C_jS1D_jS1E_S1E_jjS1G_bEUljE0_EEESZ_S10_S11_S18_S1C_S1E_T6_T7_T9_mT8_S1G_bDpT10_ENKUlT_T0_E_clISt17integral_constantIbLb1EES1U_EEDaS1P_S1Q_EUlS1P_E_NS1_11comp_targetILNS1_3genE5ELNS1_11target_archE942ELNS1_3gpuE9ELNS1_3repE0EEENS1_30default_config_static_selectorELNS0_4arch9wavefront6targetE0EEEvS12_.has_dyn_sized_stack, 0
	.set _ZN7rocprim17ROCPRIM_400000_NS6detail17trampoline_kernelINS0_13select_configILj256ELj13ELNS0_17block_load_methodE3ELS4_3ELS4_3ELNS0_20block_scan_algorithmE0ELj4294967295EEENS1_25partition_config_selectorILNS1_17partition_subalgoE4EjNS0_10empty_typeEbEEZZNS1_14partition_implILS8_4ELb0ES6_15HIP_vector_typeIjLj2EENS0_17counting_iteratorIjlEEPS9_SG_NS0_5tupleIJPjSI_NS0_16reverse_iteratorISI_EEEEENSH_IJSG_SG_SG_EEES9_SI_JZNS1_25segmented_radix_sort_implINS0_14default_configELb1EPKhPhPKlPlN2at6native12_GLOBAL__N_18offset_tEEE10hipError_tPvRmT1_PNSt15iterator_traitsIS12_E10value_typeET2_T3_PNS13_IS18_E10value_typeET4_jRbjT5_S1E_jjP12ihipStream_tbEUljE_ZNSN_ISO_Lb1ESQ_SR_ST_SU_SY_EESZ_S10_S11_S12_S16_S17_S18_S1B_S1C_jS1D_jS1E_S1E_jjS1G_bEUljE0_EEESZ_S10_S11_S18_S1C_S1E_T6_T7_T9_mT8_S1G_bDpT10_ENKUlT_T0_E_clISt17integral_constantIbLb1EES1U_EEDaS1P_S1Q_EUlS1P_E_NS1_11comp_targetILNS1_3genE5ELNS1_11target_archE942ELNS1_3gpuE9ELNS1_3repE0EEENS1_30default_config_static_selectorELNS0_4arch9wavefront6targetE0EEEvS12_.has_recursion, 0
	.set _ZN7rocprim17ROCPRIM_400000_NS6detail17trampoline_kernelINS0_13select_configILj256ELj13ELNS0_17block_load_methodE3ELS4_3ELS4_3ELNS0_20block_scan_algorithmE0ELj4294967295EEENS1_25partition_config_selectorILNS1_17partition_subalgoE4EjNS0_10empty_typeEbEEZZNS1_14partition_implILS8_4ELb0ES6_15HIP_vector_typeIjLj2EENS0_17counting_iteratorIjlEEPS9_SG_NS0_5tupleIJPjSI_NS0_16reverse_iteratorISI_EEEEENSH_IJSG_SG_SG_EEES9_SI_JZNS1_25segmented_radix_sort_implINS0_14default_configELb1EPKhPhPKlPlN2at6native12_GLOBAL__N_18offset_tEEE10hipError_tPvRmT1_PNSt15iterator_traitsIS12_E10value_typeET2_T3_PNS13_IS18_E10value_typeET4_jRbjT5_S1E_jjP12ihipStream_tbEUljE_ZNSN_ISO_Lb1ESQ_SR_ST_SU_SY_EESZ_S10_S11_S12_S16_S17_S18_S1B_S1C_jS1D_jS1E_S1E_jjS1G_bEUljE0_EEESZ_S10_S11_S18_S1C_S1E_T6_T7_T9_mT8_S1G_bDpT10_ENKUlT_T0_E_clISt17integral_constantIbLb1EES1U_EEDaS1P_S1Q_EUlS1P_E_NS1_11comp_targetILNS1_3genE5ELNS1_11target_archE942ELNS1_3gpuE9ELNS1_3repE0EEENS1_30default_config_static_selectorELNS0_4arch9wavefront6targetE0EEEvS12_.has_indirect_call, 0
	.section	.AMDGPU.csdata,"",@progbits
; Kernel info:
; codeLenInByte = 0
; TotalNumSgprs: 0
; NumVgprs: 0
; ScratchSize: 0
; MemoryBound: 0
; FloatMode: 240
; IeeeMode: 1
; LDSByteSize: 0 bytes/workgroup (compile time only)
; SGPRBlocks: 0
; VGPRBlocks: 0
; NumSGPRsForWavesPerEU: 1
; NumVGPRsForWavesPerEU: 1
; Occupancy: 16
; WaveLimiterHint : 0
; COMPUTE_PGM_RSRC2:SCRATCH_EN: 0
; COMPUTE_PGM_RSRC2:USER_SGPR: 6
; COMPUTE_PGM_RSRC2:TRAP_HANDLER: 0
; COMPUTE_PGM_RSRC2:TGID_X_EN: 1
; COMPUTE_PGM_RSRC2:TGID_Y_EN: 0
; COMPUTE_PGM_RSRC2:TGID_Z_EN: 0
; COMPUTE_PGM_RSRC2:TIDIG_COMP_CNT: 0
	.section	.text._ZN7rocprim17ROCPRIM_400000_NS6detail17trampoline_kernelINS0_13select_configILj256ELj13ELNS0_17block_load_methodE3ELS4_3ELS4_3ELNS0_20block_scan_algorithmE0ELj4294967295EEENS1_25partition_config_selectorILNS1_17partition_subalgoE4EjNS0_10empty_typeEbEEZZNS1_14partition_implILS8_4ELb0ES6_15HIP_vector_typeIjLj2EENS0_17counting_iteratorIjlEEPS9_SG_NS0_5tupleIJPjSI_NS0_16reverse_iteratorISI_EEEEENSH_IJSG_SG_SG_EEES9_SI_JZNS1_25segmented_radix_sort_implINS0_14default_configELb1EPKhPhPKlPlN2at6native12_GLOBAL__N_18offset_tEEE10hipError_tPvRmT1_PNSt15iterator_traitsIS12_E10value_typeET2_T3_PNS13_IS18_E10value_typeET4_jRbjT5_S1E_jjP12ihipStream_tbEUljE_ZNSN_ISO_Lb1ESQ_SR_ST_SU_SY_EESZ_S10_S11_S12_S16_S17_S18_S1B_S1C_jS1D_jS1E_S1E_jjS1G_bEUljE0_EEESZ_S10_S11_S18_S1C_S1E_T6_T7_T9_mT8_S1G_bDpT10_ENKUlT_T0_E_clISt17integral_constantIbLb1EES1U_EEDaS1P_S1Q_EUlS1P_E_NS1_11comp_targetILNS1_3genE4ELNS1_11target_archE910ELNS1_3gpuE8ELNS1_3repE0EEENS1_30default_config_static_selectorELNS0_4arch9wavefront6targetE0EEEvS12_,"axG",@progbits,_ZN7rocprim17ROCPRIM_400000_NS6detail17trampoline_kernelINS0_13select_configILj256ELj13ELNS0_17block_load_methodE3ELS4_3ELS4_3ELNS0_20block_scan_algorithmE0ELj4294967295EEENS1_25partition_config_selectorILNS1_17partition_subalgoE4EjNS0_10empty_typeEbEEZZNS1_14partition_implILS8_4ELb0ES6_15HIP_vector_typeIjLj2EENS0_17counting_iteratorIjlEEPS9_SG_NS0_5tupleIJPjSI_NS0_16reverse_iteratorISI_EEEEENSH_IJSG_SG_SG_EEES9_SI_JZNS1_25segmented_radix_sort_implINS0_14default_configELb1EPKhPhPKlPlN2at6native12_GLOBAL__N_18offset_tEEE10hipError_tPvRmT1_PNSt15iterator_traitsIS12_E10value_typeET2_T3_PNS13_IS18_E10value_typeET4_jRbjT5_S1E_jjP12ihipStream_tbEUljE_ZNSN_ISO_Lb1ESQ_SR_ST_SU_SY_EESZ_S10_S11_S12_S16_S17_S18_S1B_S1C_jS1D_jS1E_S1E_jjS1G_bEUljE0_EEESZ_S10_S11_S18_S1C_S1E_T6_T7_T9_mT8_S1G_bDpT10_ENKUlT_T0_E_clISt17integral_constantIbLb1EES1U_EEDaS1P_S1Q_EUlS1P_E_NS1_11comp_targetILNS1_3genE4ELNS1_11target_archE910ELNS1_3gpuE8ELNS1_3repE0EEENS1_30default_config_static_selectorELNS0_4arch9wavefront6targetE0EEEvS12_,comdat
	.globl	_ZN7rocprim17ROCPRIM_400000_NS6detail17trampoline_kernelINS0_13select_configILj256ELj13ELNS0_17block_load_methodE3ELS4_3ELS4_3ELNS0_20block_scan_algorithmE0ELj4294967295EEENS1_25partition_config_selectorILNS1_17partition_subalgoE4EjNS0_10empty_typeEbEEZZNS1_14partition_implILS8_4ELb0ES6_15HIP_vector_typeIjLj2EENS0_17counting_iteratorIjlEEPS9_SG_NS0_5tupleIJPjSI_NS0_16reverse_iteratorISI_EEEEENSH_IJSG_SG_SG_EEES9_SI_JZNS1_25segmented_radix_sort_implINS0_14default_configELb1EPKhPhPKlPlN2at6native12_GLOBAL__N_18offset_tEEE10hipError_tPvRmT1_PNSt15iterator_traitsIS12_E10value_typeET2_T3_PNS13_IS18_E10value_typeET4_jRbjT5_S1E_jjP12ihipStream_tbEUljE_ZNSN_ISO_Lb1ESQ_SR_ST_SU_SY_EESZ_S10_S11_S12_S16_S17_S18_S1B_S1C_jS1D_jS1E_S1E_jjS1G_bEUljE0_EEESZ_S10_S11_S18_S1C_S1E_T6_T7_T9_mT8_S1G_bDpT10_ENKUlT_T0_E_clISt17integral_constantIbLb1EES1U_EEDaS1P_S1Q_EUlS1P_E_NS1_11comp_targetILNS1_3genE4ELNS1_11target_archE910ELNS1_3gpuE8ELNS1_3repE0EEENS1_30default_config_static_selectorELNS0_4arch9wavefront6targetE0EEEvS12_ ; -- Begin function _ZN7rocprim17ROCPRIM_400000_NS6detail17trampoline_kernelINS0_13select_configILj256ELj13ELNS0_17block_load_methodE3ELS4_3ELS4_3ELNS0_20block_scan_algorithmE0ELj4294967295EEENS1_25partition_config_selectorILNS1_17partition_subalgoE4EjNS0_10empty_typeEbEEZZNS1_14partition_implILS8_4ELb0ES6_15HIP_vector_typeIjLj2EENS0_17counting_iteratorIjlEEPS9_SG_NS0_5tupleIJPjSI_NS0_16reverse_iteratorISI_EEEEENSH_IJSG_SG_SG_EEES9_SI_JZNS1_25segmented_radix_sort_implINS0_14default_configELb1EPKhPhPKlPlN2at6native12_GLOBAL__N_18offset_tEEE10hipError_tPvRmT1_PNSt15iterator_traitsIS12_E10value_typeET2_T3_PNS13_IS18_E10value_typeET4_jRbjT5_S1E_jjP12ihipStream_tbEUljE_ZNSN_ISO_Lb1ESQ_SR_ST_SU_SY_EESZ_S10_S11_S12_S16_S17_S18_S1B_S1C_jS1D_jS1E_S1E_jjS1G_bEUljE0_EEESZ_S10_S11_S18_S1C_S1E_T6_T7_T9_mT8_S1G_bDpT10_ENKUlT_T0_E_clISt17integral_constantIbLb1EES1U_EEDaS1P_S1Q_EUlS1P_E_NS1_11comp_targetILNS1_3genE4ELNS1_11target_archE910ELNS1_3gpuE8ELNS1_3repE0EEENS1_30default_config_static_selectorELNS0_4arch9wavefront6targetE0EEEvS12_
	.p2align	8
	.type	_ZN7rocprim17ROCPRIM_400000_NS6detail17trampoline_kernelINS0_13select_configILj256ELj13ELNS0_17block_load_methodE3ELS4_3ELS4_3ELNS0_20block_scan_algorithmE0ELj4294967295EEENS1_25partition_config_selectorILNS1_17partition_subalgoE4EjNS0_10empty_typeEbEEZZNS1_14partition_implILS8_4ELb0ES6_15HIP_vector_typeIjLj2EENS0_17counting_iteratorIjlEEPS9_SG_NS0_5tupleIJPjSI_NS0_16reverse_iteratorISI_EEEEENSH_IJSG_SG_SG_EEES9_SI_JZNS1_25segmented_radix_sort_implINS0_14default_configELb1EPKhPhPKlPlN2at6native12_GLOBAL__N_18offset_tEEE10hipError_tPvRmT1_PNSt15iterator_traitsIS12_E10value_typeET2_T3_PNS13_IS18_E10value_typeET4_jRbjT5_S1E_jjP12ihipStream_tbEUljE_ZNSN_ISO_Lb1ESQ_SR_ST_SU_SY_EESZ_S10_S11_S12_S16_S17_S18_S1B_S1C_jS1D_jS1E_S1E_jjS1G_bEUljE0_EEESZ_S10_S11_S18_S1C_S1E_T6_T7_T9_mT8_S1G_bDpT10_ENKUlT_T0_E_clISt17integral_constantIbLb1EES1U_EEDaS1P_S1Q_EUlS1P_E_NS1_11comp_targetILNS1_3genE4ELNS1_11target_archE910ELNS1_3gpuE8ELNS1_3repE0EEENS1_30default_config_static_selectorELNS0_4arch9wavefront6targetE0EEEvS12_,@function
_ZN7rocprim17ROCPRIM_400000_NS6detail17trampoline_kernelINS0_13select_configILj256ELj13ELNS0_17block_load_methodE3ELS4_3ELS4_3ELNS0_20block_scan_algorithmE0ELj4294967295EEENS1_25partition_config_selectorILNS1_17partition_subalgoE4EjNS0_10empty_typeEbEEZZNS1_14partition_implILS8_4ELb0ES6_15HIP_vector_typeIjLj2EENS0_17counting_iteratorIjlEEPS9_SG_NS0_5tupleIJPjSI_NS0_16reverse_iteratorISI_EEEEENSH_IJSG_SG_SG_EEES9_SI_JZNS1_25segmented_radix_sort_implINS0_14default_configELb1EPKhPhPKlPlN2at6native12_GLOBAL__N_18offset_tEEE10hipError_tPvRmT1_PNSt15iterator_traitsIS12_E10value_typeET2_T3_PNS13_IS18_E10value_typeET4_jRbjT5_S1E_jjP12ihipStream_tbEUljE_ZNSN_ISO_Lb1ESQ_SR_ST_SU_SY_EESZ_S10_S11_S12_S16_S17_S18_S1B_S1C_jS1D_jS1E_S1E_jjS1G_bEUljE0_EEESZ_S10_S11_S18_S1C_S1E_T6_T7_T9_mT8_S1G_bDpT10_ENKUlT_T0_E_clISt17integral_constantIbLb1EES1U_EEDaS1P_S1Q_EUlS1P_E_NS1_11comp_targetILNS1_3genE4ELNS1_11target_archE910ELNS1_3gpuE8ELNS1_3repE0EEENS1_30default_config_static_selectorELNS0_4arch9wavefront6targetE0EEEvS12_: ; @_ZN7rocprim17ROCPRIM_400000_NS6detail17trampoline_kernelINS0_13select_configILj256ELj13ELNS0_17block_load_methodE3ELS4_3ELS4_3ELNS0_20block_scan_algorithmE0ELj4294967295EEENS1_25partition_config_selectorILNS1_17partition_subalgoE4EjNS0_10empty_typeEbEEZZNS1_14partition_implILS8_4ELb0ES6_15HIP_vector_typeIjLj2EENS0_17counting_iteratorIjlEEPS9_SG_NS0_5tupleIJPjSI_NS0_16reverse_iteratorISI_EEEEENSH_IJSG_SG_SG_EEES9_SI_JZNS1_25segmented_radix_sort_implINS0_14default_configELb1EPKhPhPKlPlN2at6native12_GLOBAL__N_18offset_tEEE10hipError_tPvRmT1_PNSt15iterator_traitsIS12_E10value_typeET2_T3_PNS13_IS18_E10value_typeET4_jRbjT5_S1E_jjP12ihipStream_tbEUljE_ZNSN_ISO_Lb1ESQ_SR_ST_SU_SY_EESZ_S10_S11_S12_S16_S17_S18_S1B_S1C_jS1D_jS1E_S1E_jjS1G_bEUljE0_EEESZ_S10_S11_S18_S1C_S1E_T6_T7_T9_mT8_S1G_bDpT10_ENKUlT_T0_E_clISt17integral_constantIbLb1EES1U_EEDaS1P_S1Q_EUlS1P_E_NS1_11comp_targetILNS1_3genE4ELNS1_11target_archE910ELNS1_3gpuE8ELNS1_3repE0EEENS1_30default_config_static_selectorELNS0_4arch9wavefront6targetE0EEEvS12_
; %bb.0:
	.section	.rodata,"a",@progbits
	.p2align	6, 0x0
	.amdhsa_kernel _ZN7rocprim17ROCPRIM_400000_NS6detail17trampoline_kernelINS0_13select_configILj256ELj13ELNS0_17block_load_methodE3ELS4_3ELS4_3ELNS0_20block_scan_algorithmE0ELj4294967295EEENS1_25partition_config_selectorILNS1_17partition_subalgoE4EjNS0_10empty_typeEbEEZZNS1_14partition_implILS8_4ELb0ES6_15HIP_vector_typeIjLj2EENS0_17counting_iteratorIjlEEPS9_SG_NS0_5tupleIJPjSI_NS0_16reverse_iteratorISI_EEEEENSH_IJSG_SG_SG_EEES9_SI_JZNS1_25segmented_radix_sort_implINS0_14default_configELb1EPKhPhPKlPlN2at6native12_GLOBAL__N_18offset_tEEE10hipError_tPvRmT1_PNSt15iterator_traitsIS12_E10value_typeET2_T3_PNS13_IS18_E10value_typeET4_jRbjT5_S1E_jjP12ihipStream_tbEUljE_ZNSN_ISO_Lb1ESQ_SR_ST_SU_SY_EESZ_S10_S11_S12_S16_S17_S18_S1B_S1C_jS1D_jS1E_S1E_jjS1G_bEUljE0_EEESZ_S10_S11_S18_S1C_S1E_T6_T7_T9_mT8_S1G_bDpT10_ENKUlT_T0_E_clISt17integral_constantIbLb1EES1U_EEDaS1P_S1Q_EUlS1P_E_NS1_11comp_targetILNS1_3genE4ELNS1_11target_archE910ELNS1_3gpuE8ELNS1_3repE0EEENS1_30default_config_static_selectorELNS0_4arch9wavefront6targetE0EEEvS12_
		.amdhsa_group_segment_fixed_size 0
		.amdhsa_private_segment_fixed_size 0
		.amdhsa_kernarg_size 184
		.amdhsa_user_sgpr_count 6
		.amdhsa_user_sgpr_private_segment_buffer 1
		.amdhsa_user_sgpr_dispatch_ptr 0
		.amdhsa_user_sgpr_queue_ptr 0
		.amdhsa_user_sgpr_kernarg_segment_ptr 1
		.amdhsa_user_sgpr_dispatch_id 0
		.amdhsa_user_sgpr_flat_scratch_init 0
		.amdhsa_user_sgpr_private_segment_size 0
		.amdhsa_wavefront_size32 1
		.amdhsa_uses_dynamic_stack 0
		.amdhsa_system_sgpr_private_segment_wavefront_offset 0
		.amdhsa_system_sgpr_workgroup_id_x 1
		.amdhsa_system_sgpr_workgroup_id_y 0
		.amdhsa_system_sgpr_workgroup_id_z 0
		.amdhsa_system_sgpr_workgroup_info 0
		.amdhsa_system_vgpr_workitem_id 0
		.amdhsa_next_free_vgpr 1
		.amdhsa_next_free_sgpr 1
		.amdhsa_reserve_vcc 0
		.amdhsa_reserve_flat_scratch 0
		.amdhsa_float_round_mode_32 0
		.amdhsa_float_round_mode_16_64 0
		.amdhsa_float_denorm_mode_32 3
		.amdhsa_float_denorm_mode_16_64 3
		.amdhsa_dx10_clamp 1
		.amdhsa_ieee_mode 1
		.amdhsa_fp16_overflow 0
		.amdhsa_workgroup_processor_mode 1
		.amdhsa_memory_ordered 1
		.amdhsa_forward_progress 1
		.amdhsa_shared_vgpr_count 0
		.amdhsa_exception_fp_ieee_invalid_op 0
		.amdhsa_exception_fp_denorm_src 0
		.amdhsa_exception_fp_ieee_div_zero 0
		.amdhsa_exception_fp_ieee_overflow 0
		.amdhsa_exception_fp_ieee_underflow 0
		.amdhsa_exception_fp_ieee_inexact 0
		.amdhsa_exception_int_div_zero 0
	.end_amdhsa_kernel
	.section	.text._ZN7rocprim17ROCPRIM_400000_NS6detail17trampoline_kernelINS0_13select_configILj256ELj13ELNS0_17block_load_methodE3ELS4_3ELS4_3ELNS0_20block_scan_algorithmE0ELj4294967295EEENS1_25partition_config_selectorILNS1_17partition_subalgoE4EjNS0_10empty_typeEbEEZZNS1_14partition_implILS8_4ELb0ES6_15HIP_vector_typeIjLj2EENS0_17counting_iteratorIjlEEPS9_SG_NS0_5tupleIJPjSI_NS0_16reverse_iteratorISI_EEEEENSH_IJSG_SG_SG_EEES9_SI_JZNS1_25segmented_radix_sort_implINS0_14default_configELb1EPKhPhPKlPlN2at6native12_GLOBAL__N_18offset_tEEE10hipError_tPvRmT1_PNSt15iterator_traitsIS12_E10value_typeET2_T3_PNS13_IS18_E10value_typeET4_jRbjT5_S1E_jjP12ihipStream_tbEUljE_ZNSN_ISO_Lb1ESQ_SR_ST_SU_SY_EESZ_S10_S11_S12_S16_S17_S18_S1B_S1C_jS1D_jS1E_S1E_jjS1G_bEUljE0_EEESZ_S10_S11_S18_S1C_S1E_T6_T7_T9_mT8_S1G_bDpT10_ENKUlT_T0_E_clISt17integral_constantIbLb1EES1U_EEDaS1P_S1Q_EUlS1P_E_NS1_11comp_targetILNS1_3genE4ELNS1_11target_archE910ELNS1_3gpuE8ELNS1_3repE0EEENS1_30default_config_static_selectorELNS0_4arch9wavefront6targetE0EEEvS12_,"axG",@progbits,_ZN7rocprim17ROCPRIM_400000_NS6detail17trampoline_kernelINS0_13select_configILj256ELj13ELNS0_17block_load_methodE3ELS4_3ELS4_3ELNS0_20block_scan_algorithmE0ELj4294967295EEENS1_25partition_config_selectorILNS1_17partition_subalgoE4EjNS0_10empty_typeEbEEZZNS1_14partition_implILS8_4ELb0ES6_15HIP_vector_typeIjLj2EENS0_17counting_iteratorIjlEEPS9_SG_NS0_5tupleIJPjSI_NS0_16reverse_iteratorISI_EEEEENSH_IJSG_SG_SG_EEES9_SI_JZNS1_25segmented_radix_sort_implINS0_14default_configELb1EPKhPhPKlPlN2at6native12_GLOBAL__N_18offset_tEEE10hipError_tPvRmT1_PNSt15iterator_traitsIS12_E10value_typeET2_T3_PNS13_IS18_E10value_typeET4_jRbjT5_S1E_jjP12ihipStream_tbEUljE_ZNSN_ISO_Lb1ESQ_SR_ST_SU_SY_EESZ_S10_S11_S12_S16_S17_S18_S1B_S1C_jS1D_jS1E_S1E_jjS1G_bEUljE0_EEESZ_S10_S11_S18_S1C_S1E_T6_T7_T9_mT8_S1G_bDpT10_ENKUlT_T0_E_clISt17integral_constantIbLb1EES1U_EEDaS1P_S1Q_EUlS1P_E_NS1_11comp_targetILNS1_3genE4ELNS1_11target_archE910ELNS1_3gpuE8ELNS1_3repE0EEENS1_30default_config_static_selectorELNS0_4arch9wavefront6targetE0EEEvS12_,comdat
.Lfunc_end23:
	.size	_ZN7rocprim17ROCPRIM_400000_NS6detail17trampoline_kernelINS0_13select_configILj256ELj13ELNS0_17block_load_methodE3ELS4_3ELS4_3ELNS0_20block_scan_algorithmE0ELj4294967295EEENS1_25partition_config_selectorILNS1_17partition_subalgoE4EjNS0_10empty_typeEbEEZZNS1_14partition_implILS8_4ELb0ES6_15HIP_vector_typeIjLj2EENS0_17counting_iteratorIjlEEPS9_SG_NS0_5tupleIJPjSI_NS0_16reverse_iteratorISI_EEEEENSH_IJSG_SG_SG_EEES9_SI_JZNS1_25segmented_radix_sort_implINS0_14default_configELb1EPKhPhPKlPlN2at6native12_GLOBAL__N_18offset_tEEE10hipError_tPvRmT1_PNSt15iterator_traitsIS12_E10value_typeET2_T3_PNS13_IS18_E10value_typeET4_jRbjT5_S1E_jjP12ihipStream_tbEUljE_ZNSN_ISO_Lb1ESQ_SR_ST_SU_SY_EESZ_S10_S11_S12_S16_S17_S18_S1B_S1C_jS1D_jS1E_S1E_jjS1G_bEUljE0_EEESZ_S10_S11_S18_S1C_S1E_T6_T7_T9_mT8_S1G_bDpT10_ENKUlT_T0_E_clISt17integral_constantIbLb1EES1U_EEDaS1P_S1Q_EUlS1P_E_NS1_11comp_targetILNS1_3genE4ELNS1_11target_archE910ELNS1_3gpuE8ELNS1_3repE0EEENS1_30default_config_static_selectorELNS0_4arch9wavefront6targetE0EEEvS12_, .Lfunc_end23-_ZN7rocprim17ROCPRIM_400000_NS6detail17trampoline_kernelINS0_13select_configILj256ELj13ELNS0_17block_load_methodE3ELS4_3ELS4_3ELNS0_20block_scan_algorithmE0ELj4294967295EEENS1_25partition_config_selectorILNS1_17partition_subalgoE4EjNS0_10empty_typeEbEEZZNS1_14partition_implILS8_4ELb0ES6_15HIP_vector_typeIjLj2EENS0_17counting_iteratorIjlEEPS9_SG_NS0_5tupleIJPjSI_NS0_16reverse_iteratorISI_EEEEENSH_IJSG_SG_SG_EEES9_SI_JZNS1_25segmented_radix_sort_implINS0_14default_configELb1EPKhPhPKlPlN2at6native12_GLOBAL__N_18offset_tEEE10hipError_tPvRmT1_PNSt15iterator_traitsIS12_E10value_typeET2_T3_PNS13_IS18_E10value_typeET4_jRbjT5_S1E_jjP12ihipStream_tbEUljE_ZNSN_ISO_Lb1ESQ_SR_ST_SU_SY_EESZ_S10_S11_S12_S16_S17_S18_S1B_S1C_jS1D_jS1E_S1E_jjS1G_bEUljE0_EEESZ_S10_S11_S18_S1C_S1E_T6_T7_T9_mT8_S1G_bDpT10_ENKUlT_T0_E_clISt17integral_constantIbLb1EES1U_EEDaS1P_S1Q_EUlS1P_E_NS1_11comp_targetILNS1_3genE4ELNS1_11target_archE910ELNS1_3gpuE8ELNS1_3repE0EEENS1_30default_config_static_selectorELNS0_4arch9wavefront6targetE0EEEvS12_
                                        ; -- End function
	.set _ZN7rocprim17ROCPRIM_400000_NS6detail17trampoline_kernelINS0_13select_configILj256ELj13ELNS0_17block_load_methodE3ELS4_3ELS4_3ELNS0_20block_scan_algorithmE0ELj4294967295EEENS1_25partition_config_selectorILNS1_17partition_subalgoE4EjNS0_10empty_typeEbEEZZNS1_14partition_implILS8_4ELb0ES6_15HIP_vector_typeIjLj2EENS0_17counting_iteratorIjlEEPS9_SG_NS0_5tupleIJPjSI_NS0_16reverse_iteratorISI_EEEEENSH_IJSG_SG_SG_EEES9_SI_JZNS1_25segmented_radix_sort_implINS0_14default_configELb1EPKhPhPKlPlN2at6native12_GLOBAL__N_18offset_tEEE10hipError_tPvRmT1_PNSt15iterator_traitsIS12_E10value_typeET2_T3_PNS13_IS18_E10value_typeET4_jRbjT5_S1E_jjP12ihipStream_tbEUljE_ZNSN_ISO_Lb1ESQ_SR_ST_SU_SY_EESZ_S10_S11_S12_S16_S17_S18_S1B_S1C_jS1D_jS1E_S1E_jjS1G_bEUljE0_EEESZ_S10_S11_S18_S1C_S1E_T6_T7_T9_mT8_S1G_bDpT10_ENKUlT_T0_E_clISt17integral_constantIbLb1EES1U_EEDaS1P_S1Q_EUlS1P_E_NS1_11comp_targetILNS1_3genE4ELNS1_11target_archE910ELNS1_3gpuE8ELNS1_3repE0EEENS1_30default_config_static_selectorELNS0_4arch9wavefront6targetE0EEEvS12_.num_vgpr, 0
	.set _ZN7rocprim17ROCPRIM_400000_NS6detail17trampoline_kernelINS0_13select_configILj256ELj13ELNS0_17block_load_methodE3ELS4_3ELS4_3ELNS0_20block_scan_algorithmE0ELj4294967295EEENS1_25partition_config_selectorILNS1_17partition_subalgoE4EjNS0_10empty_typeEbEEZZNS1_14partition_implILS8_4ELb0ES6_15HIP_vector_typeIjLj2EENS0_17counting_iteratorIjlEEPS9_SG_NS0_5tupleIJPjSI_NS0_16reverse_iteratorISI_EEEEENSH_IJSG_SG_SG_EEES9_SI_JZNS1_25segmented_radix_sort_implINS0_14default_configELb1EPKhPhPKlPlN2at6native12_GLOBAL__N_18offset_tEEE10hipError_tPvRmT1_PNSt15iterator_traitsIS12_E10value_typeET2_T3_PNS13_IS18_E10value_typeET4_jRbjT5_S1E_jjP12ihipStream_tbEUljE_ZNSN_ISO_Lb1ESQ_SR_ST_SU_SY_EESZ_S10_S11_S12_S16_S17_S18_S1B_S1C_jS1D_jS1E_S1E_jjS1G_bEUljE0_EEESZ_S10_S11_S18_S1C_S1E_T6_T7_T9_mT8_S1G_bDpT10_ENKUlT_T0_E_clISt17integral_constantIbLb1EES1U_EEDaS1P_S1Q_EUlS1P_E_NS1_11comp_targetILNS1_3genE4ELNS1_11target_archE910ELNS1_3gpuE8ELNS1_3repE0EEENS1_30default_config_static_selectorELNS0_4arch9wavefront6targetE0EEEvS12_.num_agpr, 0
	.set _ZN7rocprim17ROCPRIM_400000_NS6detail17trampoline_kernelINS0_13select_configILj256ELj13ELNS0_17block_load_methodE3ELS4_3ELS4_3ELNS0_20block_scan_algorithmE0ELj4294967295EEENS1_25partition_config_selectorILNS1_17partition_subalgoE4EjNS0_10empty_typeEbEEZZNS1_14partition_implILS8_4ELb0ES6_15HIP_vector_typeIjLj2EENS0_17counting_iteratorIjlEEPS9_SG_NS0_5tupleIJPjSI_NS0_16reverse_iteratorISI_EEEEENSH_IJSG_SG_SG_EEES9_SI_JZNS1_25segmented_radix_sort_implINS0_14default_configELb1EPKhPhPKlPlN2at6native12_GLOBAL__N_18offset_tEEE10hipError_tPvRmT1_PNSt15iterator_traitsIS12_E10value_typeET2_T3_PNS13_IS18_E10value_typeET4_jRbjT5_S1E_jjP12ihipStream_tbEUljE_ZNSN_ISO_Lb1ESQ_SR_ST_SU_SY_EESZ_S10_S11_S12_S16_S17_S18_S1B_S1C_jS1D_jS1E_S1E_jjS1G_bEUljE0_EEESZ_S10_S11_S18_S1C_S1E_T6_T7_T9_mT8_S1G_bDpT10_ENKUlT_T0_E_clISt17integral_constantIbLb1EES1U_EEDaS1P_S1Q_EUlS1P_E_NS1_11comp_targetILNS1_3genE4ELNS1_11target_archE910ELNS1_3gpuE8ELNS1_3repE0EEENS1_30default_config_static_selectorELNS0_4arch9wavefront6targetE0EEEvS12_.numbered_sgpr, 0
	.set _ZN7rocprim17ROCPRIM_400000_NS6detail17trampoline_kernelINS0_13select_configILj256ELj13ELNS0_17block_load_methodE3ELS4_3ELS4_3ELNS0_20block_scan_algorithmE0ELj4294967295EEENS1_25partition_config_selectorILNS1_17partition_subalgoE4EjNS0_10empty_typeEbEEZZNS1_14partition_implILS8_4ELb0ES6_15HIP_vector_typeIjLj2EENS0_17counting_iteratorIjlEEPS9_SG_NS0_5tupleIJPjSI_NS0_16reverse_iteratorISI_EEEEENSH_IJSG_SG_SG_EEES9_SI_JZNS1_25segmented_radix_sort_implINS0_14default_configELb1EPKhPhPKlPlN2at6native12_GLOBAL__N_18offset_tEEE10hipError_tPvRmT1_PNSt15iterator_traitsIS12_E10value_typeET2_T3_PNS13_IS18_E10value_typeET4_jRbjT5_S1E_jjP12ihipStream_tbEUljE_ZNSN_ISO_Lb1ESQ_SR_ST_SU_SY_EESZ_S10_S11_S12_S16_S17_S18_S1B_S1C_jS1D_jS1E_S1E_jjS1G_bEUljE0_EEESZ_S10_S11_S18_S1C_S1E_T6_T7_T9_mT8_S1G_bDpT10_ENKUlT_T0_E_clISt17integral_constantIbLb1EES1U_EEDaS1P_S1Q_EUlS1P_E_NS1_11comp_targetILNS1_3genE4ELNS1_11target_archE910ELNS1_3gpuE8ELNS1_3repE0EEENS1_30default_config_static_selectorELNS0_4arch9wavefront6targetE0EEEvS12_.num_named_barrier, 0
	.set _ZN7rocprim17ROCPRIM_400000_NS6detail17trampoline_kernelINS0_13select_configILj256ELj13ELNS0_17block_load_methodE3ELS4_3ELS4_3ELNS0_20block_scan_algorithmE0ELj4294967295EEENS1_25partition_config_selectorILNS1_17partition_subalgoE4EjNS0_10empty_typeEbEEZZNS1_14partition_implILS8_4ELb0ES6_15HIP_vector_typeIjLj2EENS0_17counting_iteratorIjlEEPS9_SG_NS0_5tupleIJPjSI_NS0_16reverse_iteratorISI_EEEEENSH_IJSG_SG_SG_EEES9_SI_JZNS1_25segmented_radix_sort_implINS0_14default_configELb1EPKhPhPKlPlN2at6native12_GLOBAL__N_18offset_tEEE10hipError_tPvRmT1_PNSt15iterator_traitsIS12_E10value_typeET2_T3_PNS13_IS18_E10value_typeET4_jRbjT5_S1E_jjP12ihipStream_tbEUljE_ZNSN_ISO_Lb1ESQ_SR_ST_SU_SY_EESZ_S10_S11_S12_S16_S17_S18_S1B_S1C_jS1D_jS1E_S1E_jjS1G_bEUljE0_EEESZ_S10_S11_S18_S1C_S1E_T6_T7_T9_mT8_S1G_bDpT10_ENKUlT_T0_E_clISt17integral_constantIbLb1EES1U_EEDaS1P_S1Q_EUlS1P_E_NS1_11comp_targetILNS1_3genE4ELNS1_11target_archE910ELNS1_3gpuE8ELNS1_3repE0EEENS1_30default_config_static_selectorELNS0_4arch9wavefront6targetE0EEEvS12_.private_seg_size, 0
	.set _ZN7rocprim17ROCPRIM_400000_NS6detail17trampoline_kernelINS0_13select_configILj256ELj13ELNS0_17block_load_methodE3ELS4_3ELS4_3ELNS0_20block_scan_algorithmE0ELj4294967295EEENS1_25partition_config_selectorILNS1_17partition_subalgoE4EjNS0_10empty_typeEbEEZZNS1_14partition_implILS8_4ELb0ES6_15HIP_vector_typeIjLj2EENS0_17counting_iteratorIjlEEPS9_SG_NS0_5tupleIJPjSI_NS0_16reverse_iteratorISI_EEEEENSH_IJSG_SG_SG_EEES9_SI_JZNS1_25segmented_radix_sort_implINS0_14default_configELb1EPKhPhPKlPlN2at6native12_GLOBAL__N_18offset_tEEE10hipError_tPvRmT1_PNSt15iterator_traitsIS12_E10value_typeET2_T3_PNS13_IS18_E10value_typeET4_jRbjT5_S1E_jjP12ihipStream_tbEUljE_ZNSN_ISO_Lb1ESQ_SR_ST_SU_SY_EESZ_S10_S11_S12_S16_S17_S18_S1B_S1C_jS1D_jS1E_S1E_jjS1G_bEUljE0_EEESZ_S10_S11_S18_S1C_S1E_T6_T7_T9_mT8_S1G_bDpT10_ENKUlT_T0_E_clISt17integral_constantIbLb1EES1U_EEDaS1P_S1Q_EUlS1P_E_NS1_11comp_targetILNS1_3genE4ELNS1_11target_archE910ELNS1_3gpuE8ELNS1_3repE0EEENS1_30default_config_static_selectorELNS0_4arch9wavefront6targetE0EEEvS12_.uses_vcc, 0
	.set _ZN7rocprim17ROCPRIM_400000_NS6detail17trampoline_kernelINS0_13select_configILj256ELj13ELNS0_17block_load_methodE3ELS4_3ELS4_3ELNS0_20block_scan_algorithmE0ELj4294967295EEENS1_25partition_config_selectorILNS1_17partition_subalgoE4EjNS0_10empty_typeEbEEZZNS1_14partition_implILS8_4ELb0ES6_15HIP_vector_typeIjLj2EENS0_17counting_iteratorIjlEEPS9_SG_NS0_5tupleIJPjSI_NS0_16reverse_iteratorISI_EEEEENSH_IJSG_SG_SG_EEES9_SI_JZNS1_25segmented_radix_sort_implINS0_14default_configELb1EPKhPhPKlPlN2at6native12_GLOBAL__N_18offset_tEEE10hipError_tPvRmT1_PNSt15iterator_traitsIS12_E10value_typeET2_T3_PNS13_IS18_E10value_typeET4_jRbjT5_S1E_jjP12ihipStream_tbEUljE_ZNSN_ISO_Lb1ESQ_SR_ST_SU_SY_EESZ_S10_S11_S12_S16_S17_S18_S1B_S1C_jS1D_jS1E_S1E_jjS1G_bEUljE0_EEESZ_S10_S11_S18_S1C_S1E_T6_T7_T9_mT8_S1G_bDpT10_ENKUlT_T0_E_clISt17integral_constantIbLb1EES1U_EEDaS1P_S1Q_EUlS1P_E_NS1_11comp_targetILNS1_3genE4ELNS1_11target_archE910ELNS1_3gpuE8ELNS1_3repE0EEENS1_30default_config_static_selectorELNS0_4arch9wavefront6targetE0EEEvS12_.uses_flat_scratch, 0
	.set _ZN7rocprim17ROCPRIM_400000_NS6detail17trampoline_kernelINS0_13select_configILj256ELj13ELNS0_17block_load_methodE3ELS4_3ELS4_3ELNS0_20block_scan_algorithmE0ELj4294967295EEENS1_25partition_config_selectorILNS1_17partition_subalgoE4EjNS0_10empty_typeEbEEZZNS1_14partition_implILS8_4ELb0ES6_15HIP_vector_typeIjLj2EENS0_17counting_iteratorIjlEEPS9_SG_NS0_5tupleIJPjSI_NS0_16reverse_iteratorISI_EEEEENSH_IJSG_SG_SG_EEES9_SI_JZNS1_25segmented_radix_sort_implINS0_14default_configELb1EPKhPhPKlPlN2at6native12_GLOBAL__N_18offset_tEEE10hipError_tPvRmT1_PNSt15iterator_traitsIS12_E10value_typeET2_T3_PNS13_IS18_E10value_typeET4_jRbjT5_S1E_jjP12ihipStream_tbEUljE_ZNSN_ISO_Lb1ESQ_SR_ST_SU_SY_EESZ_S10_S11_S12_S16_S17_S18_S1B_S1C_jS1D_jS1E_S1E_jjS1G_bEUljE0_EEESZ_S10_S11_S18_S1C_S1E_T6_T7_T9_mT8_S1G_bDpT10_ENKUlT_T0_E_clISt17integral_constantIbLb1EES1U_EEDaS1P_S1Q_EUlS1P_E_NS1_11comp_targetILNS1_3genE4ELNS1_11target_archE910ELNS1_3gpuE8ELNS1_3repE0EEENS1_30default_config_static_selectorELNS0_4arch9wavefront6targetE0EEEvS12_.has_dyn_sized_stack, 0
	.set _ZN7rocprim17ROCPRIM_400000_NS6detail17trampoline_kernelINS0_13select_configILj256ELj13ELNS0_17block_load_methodE3ELS4_3ELS4_3ELNS0_20block_scan_algorithmE0ELj4294967295EEENS1_25partition_config_selectorILNS1_17partition_subalgoE4EjNS0_10empty_typeEbEEZZNS1_14partition_implILS8_4ELb0ES6_15HIP_vector_typeIjLj2EENS0_17counting_iteratorIjlEEPS9_SG_NS0_5tupleIJPjSI_NS0_16reverse_iteratorISI_EEEEENSH_IJSG_SG_SG_EEES9_SI_JZNS1_25segmented_radix_sort_implINS0_14default_configELb1EPKhPhPKlPlN2at6native12_GLOBAL__N_18offset_tEEE10hipError_tPvRmT1_PNSt15iterator_traitsIS12_E10value_typeET2_T3_PNS13_IS18_E10value_typeET4_jRbjT5_S1E_jjP12ihipStream_tbEUljE_ZNSN_ISO_Lb1ESQ_SR_ST_SU_SY_EESZ_S10_S11_S12_S16_S17_S18_S1B_S1C_jS1D_jS1E_S1E_jjS1G_bEUljE0_EEESZ_S10_S11_S18_S1C_S1E_T6_T7_T9_mT8_S1G_bDpT10_ENKUlT_T0_E_clISt17integral_constantIbLb1EES1U_EEDaS1P_S1Q_EUlS1P_E_NS1_11comp_targetILNS1_3genE4ELNS1_11target_archE910ELNS1_3gpuE8ELNS1_3repE0EEENS1_30default_config_static_selectorELNS0_4arch9wavefront6targetE0EEEvS12_.has_recursion, 0
	.set _ZN7rocprim17ROCPRIM_400000_NS6detail17trampoline_kernelINS0_13select_configILj256ELj13ELNS0_17block_load_methodE3ELS4_3ELS4_3ELNS0_20block_scan_algorithmE0ELj4294967295EEENS1_25partition_config_selectorILNS1_17partition_subalgoE4EjNS0_10empty_typeEbEEZZNS1_14partition_implILS8_4ELb0ES6_15HIP_vector_typeIjLj2EENS0_17counting_iteratorIjlEEPS9_SG_NS0_5tupleIJPjSI_NS0_16reverse_iteratorISI_EEEEENSH_IJSG_SG_SG_EEES9_SI_JZNS1_25segmented_radix_sort_implINS0_14default_configELb1EPKhPhPKlPlN2at6native12_GLOBAL__N_18offset_tEEE10hipError_tPvRmT1_PNSt15iterator_traitsIS12_E10value_typeET2_T3_PNS13_IS18_E10value_typeET4_jRbjT5_S1E_jjP12ihipStream_tbEUljE_ZNSN_ISO_Lb1ESQ_SR_ST_SU_SY_EESZ_S10_S11_S12_S16_S17_S18_S1B_S1C_jS1D_jS1E_S1E_jjS1G_bEUljE0_EEESZ_S10_S11_S18_S1C_S1E_T6_T7_T9_mT8_S1G_bDpT10_ENKUlT_T0_E_clISt17integral_constantIbLb1EES1U_EEDaS1P_S1Q_EUlS1P_E_NS1_11comp_targetILNS1_3genE4ELNS1_11target_archE910ELNS1_3gpuE8ELNS1_3repE0EEENS1_30default_config_static_selectorELNS0_4arch9wavefront6targetE0EEEvS12_.has_indirect_call, 0
	.section	.AMDGPU.csdata,"",@progbits
; Kernel info:
; codeLenInByte = 0
; TotalNumSgprs: 0
; NumVgprs: 0
; ScratchSize: 0
; MemoryBound: 0
; FloatMode: 240
; IeeeMode: 1
; LDSByteSize: 0 bytes/workgroup (compile time only)
; SGPRBlocks: 0
; VGPRBlocks: 0
; NumSGPRsForWavesPerEU: 1
; NumVGPRsForWavesPerEU: 1
; Occupancy: 16
; WaveLimiterHint : 0
; COMPUTE_PGM_RSRC2:SCRATCH_EN: 0
; COMPUTE_PGM_RSRC2:USER_SGPR: 6
; COMPUTE_PGM_RSRC2:TRAP_HANDLER: 0
; COMPUTE_PGM_RSRC2:TGID_X_EN: 1
; COMPUTE_PGM_RSRC2:TGID_Y_EN: 0
; COMPUTE_PGM_RSRC2:TGID_Z_EN: 0
; COMPUTE_PGM_RSRC2:TIDIG_COMP_CNT: 0
	.section	.text._ZN7rocprim17ROCPRIM_400000_NS6detail17trampoline_kernelINS0_13select_configILj256ELj13ELNS0_17block_load_methodE3ELS4_3ELS4_3ELNS0_20block_scan_algorithmE0ELj4294967295EEENS1_25partition_config_selectorILNS1_17partition_subalgoE4EjNS0_10empty_typeEbEEZZNS1_14partition_implILS8_4ELb0ES6_15HIP_vector_typeIjLj2EENS0_17counting_iteratorIjlEEPS9_SG_NS0_5tupleIJPjSI_NS0_16reverse_iteratorISI_EEEEENSH_IJSG_SG_SG_EEES9_SI_JZNS1_25segmented_radix_sort_implINS0_14default_configELb1EPKhPhPKlPlN2at6native12_GLOBAL__N_18offset_tEEE10hipError_tPvRmT1_PNSt15iterator_traitsIS12_E10value_typeET2_T3_PNS13_IS18_E10value_typeET4_jRbjT5_S1E_jjP12ihipStream_tbEUljE_ZNSN_ISO_Lb1ESQ_SR_ST_SU_SY_EESZ_S10_S11_S12_S16_S17_S18_S1B_S1C_jS1D_jS1E_S1E_jjS1G_bEUljE0_EEESZ_S10_S11_S18_S1C_S1E_T6_T7_T9_mT8_S1G_bDpT10_ENKUlT_T0_E_clISt17integral_constantIbLb1EES1U_EEDaS1P_S1Q_EUlS1P_E_NS1_11comp_targetILNS1_3genE3ELNS1_11target_archE908ELNS1_3gpuE7ELNS1_3repE0EEENS1_30default_config_static_selectorELNS0_4arch9wavefront6targetE0EEEvS12_,"axG",@progbits,_ZN7rocprim17ROCPRIM_400000_NS6detail17trampoline_kernelINS0_13select_configILj256ELj13ELNS0_17block_load_methodE3ELS4_3ELS4_3ELNS0_20block_scan_algorithmE0ELj4294967295EEENS1_25partition_config_selectorILNS1_17partition_subalgoE4EjNS0_10empty_typeEbEEZZNS1_14partition_implILS8_4ELb0ES6_15HIP_vector_typeIjLj2EENS0_17counting_iteratorIjlEEPS9_SG_NS0_5tupleIJPjSI_NS0_16reverse_iteratorISI_EEEEENSH_IJSG_SG_SG_EEES9_SI_JZNS1_25segmented_radix_sort_implINS0_14default_configELb1EPKhPhPKlPlN2at6native12_GLOBAL__N_18offset_tEEE10hipError_tPvRmT1_PNSt15iterator_traitsIS12_E10value_typeET2_T3_PNS13_IS18_E10value_typeET4_jRbjT5_S1E_jjP12ihipStream_tbEUljE_ZNSN_ISO_Lb1ESQ_SR_ST_SU_SY_EESZ_S10_S11_S12_S16_S17_S18_S1B_S1C_jS1D_jS1E_S1E_jjS1G_bEUljE0_EEESZ_S10_S11_S18_S1C_S1E_T6_T7_T9_mT8_S1G_bDpT10_ENKUlT_T0_E_clISt17integral_constantIbLb1EES1U_EEDaS1P_S1Q_EUlS1P_E_NS1_11comp_targetILNS1_3genE3ELNS1_11target_archE908ELNS1_3gpuE7ELNS1_3repE0EEENS1_30default_config_static_selectorELNS0_4arch9wavefront6targetE0EEEvS12_,comdat
	.globl	_ZN7rocprim17ROCPRIM_400000_NS6detail17trampoline_kernelINS0_13select_configILj256ELj13ELNS0_17block_load_methodE3ELS4_3ELS4_3ELNS0_20block_scan_algorithmE0ELj4294967295EEENS1_25partition_config_selectorILNS1_17partition_subalgoE4EjNS0_10empty_typeEbEEZZNS1_14partition_implILS8_4ELb0ES6_15HIP_vector_typeIjLj2EENS0_17counting_iteratorIjlEEPS9_SG_NS0_5tupleIJPjSI_NS0_16reverse_iteratorISI_EEEEENSH_IJSG_SG_SG_EEES9_SI_JZNS1_25segmented_radix_sort_implINS0_14default_configELb1EPKhPhPKlPlN2at6native12_GLOBAL__N_18offset_tEEE10hipError_tPvRmT1_PNSt15iterator_traitsIS12_E10value_typeET2_T3_PNS13_IS18_E10value_typeET4_jRbjT5_S1E_jjP12ihipStream_tbEUljE_ZNSN_ISO_Lb1ESQ_SR_ST_SU_SY_EESZ_S10_S11_S12_S16_S17_S18_S1B_S1C_jS1D_jS1E_S1E_jjS1G_bEUljE0_EEESZ_S10_S11_S18_S1C_S1E_T6_T7_T9_mT8_S1G_bDpT10_ENKUlT_T0_E_clISt17integral_constantIbLb1EES1U_EEDaS1P_S1Q_EUlS1P_E_NS1_11comp_targetILNS1_3genE3ELNS1_11target_archE908ELNS1_3gpuE7ELNS1_3repE0EEENS1_30default_config_static_selectorELNS0_4arch9wavefront6targetE0EEEvS12_ ; -- Begin function _ZN7rocprim17ROCPRIM_400000_NS6detail17trampoline_kernelINS0_13select_configILj256ELj13ELNS0_17block_load_methodE3ELS4_3ELS4_3ELNS0_20block_scan_algorithmE0ELj4294967295EEENS1_25partition_config_selectorILNS1_17partition_subalgoE4EjNS0_10empty_typeEbEEZZNS1_14partition_implILS8_4ELb0ES6_15HIP_vector_typeIjLj2EENS0_17counting_iteratorIjlEEPS9_SG_NS0_5tupleIJPjSI_NS0_16reverse_iteratorISI_EEEEENSH_IJSG_SG_SG_EEES9_SI_JZNS1_25segmented_radix_sort_implINS0_14default_configELb1EPKhPhPKlPlN2at6native12_GLOBAL__N_18offset_tEEE10hipError_tPvRmT1_PNSt15iterator_traitsIS12_E10value_typeET2_T3_PNS13_IS18_E10value_typeET4_jRbjT5_S1E_jjP12ihipStream_tbEUljE_ZNSN_ISO_Lb1ESQ_SR_ST_SU_SY_EESZ_S10_S11_S12_S16_S17_S18_S1B_S1C_jS1D_jS1E_S1E_jjS1G_bEUljE0_EEESZ_S10_S11_S18_S1C_S1E_T6_T7_T9_mT8_S1G_bDpT10_ENKUlT_T0_E_clISt17integral_constantIbLb1EES1U_EEDaS1P_S1Q_EUlS1P_E_NS1_11comp_targetILNS1_3genE3ELNS1_11target_archE908ELNS1_3gpuE7ELNS1_3repE0EEENS1_30default_config_static_selectorELNS0_4arch9wavefront6targetE0EEEvS12_
	.p2align	8
	.type	_ZN7rocprim17ROCPRIM_400000_NS6detail17trampoline_kernelINS0_13select_configILj256ELj13ELNS0_17block_load_methodE3ELS4_3ELS4_3ELNS0_20block_scan_algorithmE0ELj4294967295EEENS1_25partition_config_selectorILNS1_17partition_subalgoE4EjNS0_10empty_typeEbEEZZNS1_14partition_implILS8_4ELb0ES6_15HIP_vector_typeIjLj2EENS0_17counting_iteratorIjlEEPS9_SG_NS0_5tupleIJPjSI_NS0_16reverse_iteratorISI_EEEEENSH_IJSG_SG_SG_EEES9_SI_JZNS1_25segmented_radix_sort_implINS0_14default_configELb1EPKhPhPKlPlN2at6native12_GLOBAL__N_18offset_tEEE10hipError_tPvRmT1_PNSt15iterator_traitsIS12_E10value_typeET2_T3_PNS13_IS18_E10value_typeET4_jRbjT5_S1E_jjP12ihipStream_tbEUljE_ZNSN_ISO_Lb1ESQ_SR_ST_SU_SY_EESZ_S10_S11_S12_S16_S17_S18_S1B_S1C_jS1D_jS1E_S1E_jjS1G_bEUljE0_EEESZ_S10_S11_S18_S1C_S1E_T6_T7_T9_mT8_S1G_bDpT10_ENKUlT_T0_E_clISt17integral_constantIbLb1EES1U_EEDaS1P_S1Q_EUlS1P_E_NS1_11comp_targetILNS1_3genE3ELNS1_11target_archE908ELNS1_3gpuE7ELNS1_3repE0EEENS1_30default_config_static_selectorELNS0_4arch9wavefront6targetE0EEEvS12_,@function
_ZN7rocprim17ROCPRIM_400000_NS6detail17trampoline_kernelINS0_13select_configILj256ELj13ELNS0_17block_load_methodE3ELS4_3ELS4_3ELNS0_20block_scan_algorithmE0ELj4294967295EEENS1_25partition_config_selectorILNS1_17partition_subalgoE4EjNS0_10empty_typeEbEEZZNS1_14partition_implILS8_4ELb0ES6_15HIP_vector_typeIjLj2EENS0_17counting_iteratorIjlEEPS9_SG_NS0_5tupleIJPjSI_NS0_16reverse_iteratorISI_EEEEENSH_IJSG_SG_SG_EEES9_SI_JZNS1_25segmented_radix_sort_implINS0_14default_configELb1EPKhPhPKlPlN2at6native12_GLOBAL__N_18offset_tEEE10hipError_tPvRmT1_PNSt15iterator_traitsIS12_E10value_typeET2_T3_PNS13_IS18_E10value_typeET4_jRbjT5_S1E_jjP12ihipStream_tbEUljE_ZNSN_ISO_Lb1ESQ_SR_ST_SU_SY_EESZ_S10_S11_S12_S16_S17_S18_S1B_S1C_jS1D_jS1E_S1E_jjS1G_bEUljE0_EEESZ_S10_S11_S18_S1C_S1E_T6_T7_T9_mT8_S1G_bDpT10_ENKUlT_T0_E_clISt17integral_constantIbLb1EES1U_EEDaS1P_S1Q_EUlS1P_E_NS1_11comp_targetILNS1_3genE3ELNS1_11target_archE908ELNS1_3gpuE7ELNS1_3repE0EEENS1_30default_config_static_selectorELNS0_4arch9wavefront6targetE0EEEvS12_: ; @_ZN7rocprim17ROCPRIM_400000_NS6detail17trampoline_kernelINS0_13select_configILj256ELj13ELNS0_17block_load_methodE3ELS4_3ELS4_3ELNS0_20block_scan_algorithmE0ELj4294967295EEENS1_25partition_config_selectorILNS1_17partition_subalgoE4EjNS0_10empty_typeEbEEZZNS1_14partition_implILS8_4ELb0ES6_15HIP_vector_typeIjLj2EENS0_17counting_iteratorIjlEEPS9_SG_NS0_5tupleIJPjSI_NS0_16reverse_iteratorISI_EEEEENSH_IJSG_SG_SG_EEES9_SI_JZNS1_25segmented_radix_sort_implINS0_14default_configELb1EPKhPhPKlPlN2at6native12_GLOBAL__N_18offset_tEEE10hipError_tPvRmT1_PNSt15iterator_traitsIS12_E10value_typeET2_T3_PNS13_IS18_E10value_typeET4_jRbjT5_S1E_jjP12ihipStream_tbEUljE_ZNSN_ISO_Lb1ESQ_SR_ST_SU_SY_EESZ_S10_S11_S12_S16_S17_S18_S1B_S1C_jS1D_jS1E_S1E_jjS1G_bEUljE0_EEESZ_S10_S11_S18_S1C_S1E_T6_T7_T9_mT8_S1G_bDpT10_ENKUlT_T0_E_clISt17integral_constantIbLb1EES1U_EEDaS1P_S1Q_EUlS1P_E_NS1_11comp_targetILNS1_3genE3ELNS1_11target_archE908ELNS1_3gpuE7ELNS1_3repE0EEENS1_30default_config_static_selectorELNS0_4arch9wavefront6targetE0EEEvS12_
; %bb.0:
	.section	.rodata,"a",@progbits
	.p2align	6, 0x0
	.amdhsa_kernel _ZN7rocprim17ROCPRIM_400000_NS6detail17trampoline_kernelINS0_13select_configILj256ELj13ELNS0_17block_load_methodE3ELS4_3ELS4_3ELNS0_20block_scan_algorithmE0ELj4294967295EEENS1_25partition_config_selectorILNS1_17partition_subalgoE4EjNS0_10empty_typeEbEEZZNS1_14partition_implILS8_4ELb0ES6_15HIP_vector_typeIjLj2EENS0_17counting_iteratorIjlEEPS9_SG_NS0_5tupleIJPjSI_NS0_16reverse_iteratorISI_EEEEENSH_IJSG_SG_SG_EEES9_SI_JZNS1_25segmented_radix_sort_implINS0_14default_configELb1EPKhPhPKlPlN2at6native12_GLOBAL__N_18offset_tEEE10hipError_tPvRmT1_PNSt15iterator_traitsIS12_E10value_typeET2_T3_PNS13_IS18_E10value_typeET4_jRbjT5_S1E_jjP12ihipStream_tbEUljE_ZNSN_ISO_Lb1ESQ_SR_ST_SU_SY_EESZ_S10_S11_S12_S16_S17_S18_S1B_S1C_jS1D_jS1E_S1E_jjS1G_bEUljE0_EEESZ_S10_S11_S18_S1C_S1E_T6_T7_T9_mT8_S1G_bDpT10_ENKUlT_T0_E_clISt17integral_constantIbLb1EES1U_EEDaS1P_S1Q_EUlS1P_E_NS1_11comp_targetILNS1_3genE3ELNS1_11target_archE908ELNS1_3gpuE7ELNS1_3repE0EEENS1_30default_config_static_selectorELNS0_4arch9wavefront6targetE0EEEvS12_
		.amdhsa_group_segment_fixed_size 0
		.amdhsa_private_segment_fixed_size 0
		.amdhsa_kernarg_size 184
		.amdhsa_user_sgpr_count 6
		.amdhsa_user_sgpr_private_segment_buffer 1
		.amdhsa_user_sgpr_dispatch_ptr 0
		.amdhsa_user_sgpr_queue_ptr 0
		.amdhsa_user_sgpr_kernarg_segment_ptr 1
		.amdhsa_user_sgpr_dispatch_id 0
		.amdhsa_user_sgpr_flat_scratch_init 0
		.amdhsa_user_sgpr_private_segment_size 0
		.amdhsa_wavefront_size32 1
		.amdhsa_uses_dynamic_stack 0
		.amdhsa_system_sgpr_private_segment_wavefront_offset 0
		.amdhsa_system_sgpr_workgroup_id_x 1
		.amdhsa_system_sgpr_workgroup_id_y 0
		.amdhsa_system_sgpr_workgroup_id_z 0
		.amdhsa_system_sgpr_workgroup_info 0
		.amdhsa_system_vgpr_workitem_id 0
		.amdhsa_next_free_vgpr 1
		.amdhsa_next_free_sgpr 1
		.amdhsa_reserve_vcc 0
		.amdhsa_reserve_flat_scratch 0
		.amdhsa_float_round_mode_32 0
		.amdhsa_float_round_mode_16_64 0
		.amdhsa_float_denorm_mode_32 3
		.amdhsa_float_denorm_mode_16_64 3
		.amdhsa_dx10_clamp 1
		.amdhsa_ieee_mode 1
		.amdhsa_fp16_overflow 0
		.amdhsa_workgroup_processor_mode 1
		.amdhsa_memory_ordered 1
		.amdhsa_forward_progress 1
		.amdhsa_shared_vgpr_count 0
		.amdhsa_exception_fp_ieee_invalid_op 0
		.amdhsa_exception_fp_denorm_src 0
		.amdhsa_exception_fp_ieee_div_zero 0
		.amdhsa_exception_fp_ieee_overflow 0
		.amdhsa_exception_fp_ieee_underflow 0
		.amdhsa_exception_fp_ieee_inexact 0
		.amdhsa_exception_int_div_zero 0
	.end_amdhsa_kernel
	.section	.text._ZN7rocprim17ROCPRIM_400000_NS6detail17trampoline_kernelINS0_13select_configILj256ELj13ELNS0_17block_load_methodE3ELS4_3ELS4_3ELNS0_20block_scan_algorithmE0ELj4294967295EEENS1_25partition_config_selectorILNS1_17partition_subalgoE4EjNS0_10empty_typeEbEEZZNS1_14partition_implILS8_4ELb0ES6_15HIP_vector_typeIjLj2EENS0_17counting_iteratorIjlEEPS9_SG_NS0_5tupleIJPjSI_NS0_16reverse_iteratorISI_EEEEENSH_IJSG_SG_SG_EEES9_SI_JZNS1_25segmented_radix_sort_implINS0_14default_configELb1EPKhPhPKlPlN2at6native12_GLOBAL__N_18offset_tEEE10hipError_tPvRmT1_PNSt15iterator_traitsIS12_E10value_typeET2_T3_PNS13_IS18_E10value_typeET4_jRbjT5_S1E_jjP12ihipStream_tbEUljE_ZNSN_ISO_Lb1ESQ_SR_ST_SU_SY_EESZ_S10_S11_S12_S16_S17_S18_S1B_S1C_jS1D_jS1E_S1E_jjS1G_bEUljE0_EEESZ_S10_S11_S18_S1C_S1E_T6_T7_T9_mT8_S1G_bDpT10_ENKUlT_T0_E_clISt17integral_constantIbLb1EES1U_EEDaS1P_S1Q_EUlS1P_E_NS1_11comp_targetILNS1_3genE3ELNS1_11target_archE908ELNS1_3gpuE7ELNS1_3repE0EEENS1_30default_config_static_selectorELNS0_4arch9wavefront6targetE0EEEvS12_,"axG",@progbits,_ZN7rocprim17ROCPRIM_400000_NS6detail17trampoline_kernelINS0_13select_configILj256ELj13ELNS0_17block_load_methodE3ELS4_3ELS4_3ELNS0_20block_scan_algorithmE0ELj4294967295EEENS1_25partition_config_selectorILNS1_17partition_subalgoE4EjNS0_10empty_typeEbEEZZNS1_14partition_implILS8_4ELb0ES6_15HIP_vector_typeIjLj2EENS0_17counting_iteratorIjlEEPS9_SG_NS0_5tupleIJPjSI_NS0_16reverse_iteratorISI_EEEEENSH_IJSG_SG_SG_EEES9_SI_JZNS1_25segmented_radix_sort_implINS0_14default_configELb1EPKhPhPKlPlN2at6native12_GLOBAL__N_18offset_tEEE10hipError_tPvRmT1_PNSt15iterator_traitsIS12_E10value_typeET2_T3_PNS13_IS18_E10value_typeET4_jRbjT5_S1E_jjP12ihipStream_tbEUljE_ZNSN_ISO_Lb1ESQ_SR_ST_SU_SY_EESZ_S10_S11_S12_S16_S17_S18_S1B_S1C_jS1D_jS1E_S1E_jjS1G_bEUljE0_EEESZ_S10_S11_S18_S1C_S1E_T6_T7_T9_mT8_S1G_bDpT10_ENKUlT_T0_E_clISt17integral_constantIbLb1EES1U_EEDaS1P_S1Q_EUlS1P_E_NS1_11comp_targetILNS1_3genE3ELNS1_11target_archE908ELNS1_3gpuE7ELNS1_3repE0EEENS1_30default_config_static_selectorELNS0_4arch9wavefront6targetE0EEEvS12_,comdat
.Lfunc_end24:
	.size	_ZN7rocprim17ROCPRIM_400000_NS6detail17trampoline_kernelINS0_13select_configILj256ELj13ELNS0_17block_load_methodE3ELS4_3ELS4_3ELNS0_20block_scan_algorithmE0ELj4294967295EEENS1_25partition_config_selectorILNS1_17partition_subalgoE4EjNS0_10empty_typeEbEEZZNS1_14partition_implILS8_4ELb0ES6_15HIP_vector_typeIjLj2EENS0_17counting_iteratorIjlEEPS9_SG_NS0_5tupleIJPjSI_NS0_16reverse_iteratorISI_EEEEENSH_IJSG_SG_SG_EEES9_SI_JZNS1_25segmented_radix_sort_implINS0_14default_configELb1EPKhPhPKlPlN2at6native12_GLOBAL__N_18offset_tEEE10hipError_tPvRmT1_PNSt15iterator_traitsIS12_E10value_typeET2_T3_PNS13_IS18_E10value_typeET4_jRbjT5_S1E_jjP12ihipStream_tbEUljE_ZNSN_ISO_Lb1ESQ_SR_ST_SU_SY_EESZ_S10_S11_S12_S16_S17_S18_S1B_S1C_jS1D_jS1E_S1E_jjS1G_bEUljE0_EEESZ_S10_S11_S18_S1C_S1E_T6_T7_T9_mT8_S1G_bDpT10_ENKUlT_T0_E_clISt17integral_constantIbLb1EES1U_EEDaS1P_S1Q_EUlS1P_E_NS1_11comp_targetILNS1_3genE3ELNS1_11target_archE908ELNS1_3gpuE7ELNS1_3repE0EEENS1_30default_config_static_selectorELNS0_4arch9wavefront6targetE0EEEvS12_, .Lfunc_end24-_ZN7rocprim17ROCPRIM_400000_NS6detail17trampoline_kernelINS0_13select_configILj256ELj13ELNS0_17block_load_methodE3ELS4_3ELS4_3ELNS0_20block_scan_algorithmE0ELj4294967295EEENS1_25partition_config_selectorILNS1_17partition_subalgoE4EjNS0_10empty_typeEbEEZZNS1_14partition_implILS8_4ELb0ES6_15HIP_vector_typeIjLj2EENS0_17counting_iteratorIjlEEPS9_SG_NS0_5tupleIJPjSI_NS0_16reverse_iteratorISI_EEEEENSH_IJSG_SG_SG_EEES9_SI_JZNS1_25segmented_radix_sort_implINS0_14default_configELb1EPKhPhPKlPlN2at6native12_GLOBAL__N_18offset_tEEE10hipError_tPvRmT1_PNSt15iterator_traitsIS12_E10value_typeET2_T3_PNS13_IS18_E10value_typeET4_jRbjT5_S1E_jjP12ihipStream_tbEUljE_ZNSN_ISO_Lb1ESQ_SR_ST_SU_SY_EESZ_S10_S11_S12_S16_S17_S18_S1B_S1C_jS1D_jS1E_S1E_jjS1G_bEUljE0_EEESZ_S10_S11_S18_S1C_S1E_T6_T7_T9_mT8_S1G_bDpT10_ENKUlT_T0_E_clISt17integral_constantIbLb1EES1U_EEDaS1P_S1Q_EUlS1P_E_NS1_11comp_targetILNS1_3genE3ELNS1_11target_archE908ELNS1_3gpuE7ELNS1_3repE0EEENS1_30default_config_static_selectorELNS0_4arch9wavefront6targetE0EEEvS12_
                                        ; -- End function
	.set _ZN7rocprim17ROCPRIM_400000_NS6detail17trampoline_kernelINS0_13select_configILj256ELj13ELNS0_17block_load_methodE3ELS4_3ELS4_3ELNS0_20block_scan_algorithmE0ELj4294967295EEENS1_25partition_config_selectorILNS1_17partition_subalgoE4EjNS0_10empty_typeEbEEZZNS1_14partition_implILS8_4ELb0ES6_15HIP_vector_typeIjLj2EENS0_17counting_iteratorIjlEEPS9_SG_NS0_5tupleIJPjSI_NS0_16reverse_iteratorISI_EEEEENSH_IJSG_SG_SG_EEES9_SI_JZNS1_25segmented_radix_sort_implINS0_14default_configELb1EPKhPhPKlPlN2at6native12_GLOBAL__N_18offset_tEEE10hipError_tPvRmT1_PNSt15iterator_traitsIS12_E10value_typeET2_T3_PNS13_IS18_E10value_typeET4_jRbjT5_S1E_jjP12ihipStream_tbEUljE_ZNSN_ISO_Lb1ESQ_SR_ST_SU_SY_EESZ_S10_S11_S12_S16_S17_S18_S1B_S1C_jS1D_jS1E_S1E_jjS1G_bEUljE0_EEESZ_S10_S11_S18_S1C_S1E_T6_T7_T9_mT8_S1G_bDpT10_ENKUlT_T0_E_clISt17integral_constantIbLb1EES1U_EEDaS1P_S1Q_EUlS1P_E_NS1_11comp_targetILNS1_3genE3ELNS1_11target_archE908ELNS1_3gpuE7ELNS1_3repE0EEENS1_30default_config_static_selectorELNS0_4arch9wavefront6targetE0EEEvS12_.num_vgpr, 0
	.set _ZN7rocprim17ROCPRIM_400000_NS6detail17trampoline_kernelINS0_13select_configILj256ELj13ELNS0_17block_load_methodE3ELS4_3ELS4_3ELNS0_20block_scan_algorithmE0ELj4294967295EEENS1_25partition_config_selectorILNS1_17partition_subalgoE4EjNS0_10empty_typeEbEEZZNS1_14partition_implILS8_4ELb0ES6_15HIP_vector_typeIjLj2EENS0_17counting_iteratorIjlEEPS9_SG_NS0_5tupleIJPjSI_NS0_16reverse_iteratorISI_EEEEENSH_IJSG_SG_SG_EEES9_SI_JZNS1_25segmented_radix_sort_implINS0_14default_configELb1EPKhPhPKlPlN2at6native12_GLOBAL__N_18offset_tEEE10hipError_tPvRmT1_PNSt15iterator_traitsIS12_E10value_typeET2_T3_PNS13_IS18_E10value_typeET4_jRbjT5_S1E_jjP12ihipStream_tbEUljE_ZNSN_ISO_Lb1ESQ_SR_ST_SU_SY_EESZ_S10_S11_S12_S16_S17_S18_S1B_S1C_jS1D_jS1E_S1E_jjS1G_bEUljE0_EEESZ_S10_S11_S18_S1C_S1E_T6_T7_T9_mT8_S1G_bDpT10_ENKUlT_T0_E_clISt17integral_constantIbLb1EES1U_EEDaS1P_S1Q_EUlS1P_E_NS1_11comp_targetILNS1_3genE3ELNS1_11target_archE908ELNS1_3gpuE7ELNS1_3repE0EEENS1_30default_config_static_selectorELNS0_4arch9wavefront6targetE0EEEvS12_.num_agpr, 0
	.set _ZN7rocprim17ROCPRIM_400000_NS6detail17trampoline_kernelINS0_13select_configILj256ELj13ELNS0_17block_load_methodE3ELS4_3ELS4_3ELNS0_20block_scan_algorithmE0ELj4294967295EEENS1_25partition_config_selectorILNS1_17partition_subalgoE4EjNS0_10empty_typeEbEEZZNS1_14partition_implILS8_4ELb0ES6_15HIP_vector_typeIjLj2EENS0_17counting_iteratorIjlEEPS9_SG_NS0_5tupleIJPjSI_NS0_16reverse_iteratorISI_EEEEENSH_IJSG_SG_SG_EEES9_SI_JZNS1_25segmented_radix_sort_implINS0_14default_configELb1EPKhPhPKlPlN2at6native12_GLOBAL__N_18offset_tEEE10hipError_tPvRmT1_PNSt15iterator_traitsIS12_E10value_typeET2_T3_PNS13_IS18_E10value_typeET4_jRbjT5_S1E_jjP12ihipStream_tbEUljE_ZNSN_ISO_Lb1ESQ_SR_ST_SU_SY_EESZ_S10_S11_S12_S16_S17_S18_S1B_S1C_jS1D_jS1E_S1E_jjS1G_bEUljE0_EEESZ_S10_S11_S18_S1C_S1E_T6_T7_T9_mT8_S1G_bDpT10_ENKUlT_T0_E_clISt17integral_constantIbLb1EES1U_EEDaS1P_S1Q_EUlS1P_E_NS1_11comp_targetILNS1_3genE3ELNS1_11target_archE908ELNS1_3gpuE7ELNS1_3repE0EEENS1_30default_config_static_selectorELNS0_4arch9wavefront6targetE0EEEvS12_.numbered_sgpr, 0
	.set _ZN7rocprim17ROCPRIM_400000_NS6detail17trampoline_kernelINS0_13select_configILj256ELj13ELNS0_17block_load_methodE3ELS4_3ELS4_3ELNS0_20block_scan_algorithmE0ELj4294967295EEENS1_25partition_config_selectorILNS1_17partition_subalgoE4EjNS0_10empty_typeEbEEZZNS1_14partition_implILS8_4ELb0ES6_15HIP_vector_typeIjLj2EENS0_17counting_iteratorIjlEEPS9_SG_NS0_5tupleIJPjSI_NS0_16reverse_iteratorISI_EEEEENSH_IJSG_SG_SG_EEES9_SI_JZNS1_25segmented_radix_sort_implINS0_14default_configELb1EPKhPhPKlPlN2at6native12_GLOBAL__N_18offset_tEEE10hipError_tPvRmT1_PNSt15iterator_traitsIS12_E10value_typeET2_T3_PNS13_IS18_E10value_typeET4_jRbjT5_S1E_jjP12ihipStream_tbEUljE_ZNSN_ISO_Lb1ESQ_SR_ST_SU_SY_EESZ_S10_S11_S12_S16_S17_S18_S1B_S1C_jS1D_jS1E_S1E_jjS1G_bEUljE0_EEESZ_S10_S11_S18_S1C_S1E_T6_T7_T9_mT8_S1G_bDpT10_ENKUlT_T0_E_clISt17integral_constantIbLb1EES1U_EEDaS1P_S1Q_EUlS1P_E_NS1_11comp_targetILNS1_3genE3ELNS1_11target_archE908ELNS1_3gpuE7ELNS1_3repE0EEENS1_30default_config_static_selectorELNS0_4arch9wavefront6targetE0EEEvS12_.num_named_barrier, 0
	.set _ZN7rocprim17ROCPRIM_400000_NS6detail17trampoline_kernelINS0_13select_configILj256ELj13ELNS0_17block_load_methodE3ELS4_3ELS4_3ELNS0_20block_scan_algorithmE0ELj4294967295EEENS1_25partition_config_selectorILNS1_17partition_subalgoE4EjNS0_10empty_typeEbEEZZNS1_14partition_implILS8_4ELb0ES6_15HIP_vector_typeIjLj2EENS0_17counting_iteratorIjlEEPS9_SG_NS0_5tupleIJPjSI_NS0_16reverse_iteratorISI_EEEEENSH_IJSG_SG_SG_EEES9_SI_JZNS1_25segmented_radix_sort_implINS0_14default_configELb1EPKhPhPKlPlN2at6native12_GLOBAL__N_18offset_tEEE10hipError_tPvRmT1_PNSt15iterator_traitsIS12_E10value_typeET2_T3_PNS13_IS18_E10value_typeET4_jRbjT5_S1E_jjP12ihipStream_tbEUljE_ZNSN_ISO_Lb1ESQ_SR_ST_SU_SY_EESZ_S10_S11_S12_S16_S17_S18_S1B_S1C_jS1D_jS1E_S1E_jjS1G_bEUljE0_EEESZ_S10_S11_S18_S1C_S1E_T6_T7_T9_mT8_S1G_bDpT10_ENKUlT_T0_E_clISt17integral_constantIbLb1EES1U_EEDaS1P_S1Q_EUlS1P_E_NS1_11comp_targetILNS1_3genE3ELNS1_11target_archE908ELNS1_3gpuE7ELNS1_3repE0EEENS1_30default_config_static_selectorELNS0_4arch9wavefront6targetE0EEEvS12_.private_seg_size, 0
	.set _ZN7rocprim17ROCPRIM_400000_NS6detail17trampoline_kernelINS0_13select_configILj256ELj13ELNS0_17block_load_methodE3ELS4_3ELS4_3ELNS0_20block_scan_algorithmE0ELj4294967295EEENS1_25partition_config_selectorILNS1_17partition_subalgoE4EjNS0_10empty_typeEbEEZZNS1_14partition_implILS8_4ELb0ES6_15HIP_vector_typeIjLj2EENS0_17counting_iteratorIjlEEPS9_SG_NS0_5tupleIJPjSI_NS0_16reverse_iteratorISI_EEEEENSH_IJSG_SG_SG_EEES9_SI_JZNS1_25segmented_radix_sort_implINS0_14default_configELb1EPKhPhPKlPlN2at6native12_GLOBAL__N_18offset_tEEE10hipError_tPvRmT1_PNSt15iterator_traitsIS12_E10value_typeET2_T3_PNS13_IS18_E10value_typeET4_jRbjT5_S1E_jjP12ihipStream_tbEUljE_ZNSN_ISO_Lb1ESQ_SR_ST_SU_SY_EESZ_S10_S11_S12_S16_S17_S18_S1B_S1C_jS1D_jS1E_S1E_jjS1G_bEUljE0_EEESZ_S10_S11_S18_S1C_S1E_T6_T7_T9_mT8_S1G_bDpT10_ENKUlT_T0_E_clISt17integral_constantIbLb1EES1U_EEDaS1P_S1Q_EUlS1P_E_NS1_11comp_targetILNS1_3genE3ELNS1_11target_archE908ELNS1_3gpuE7ELNS1_3repE0EEENS1_30default_config_static_selectorELNS0_4arch9wavefront6targetE0EEEvS12_.uses_vcc, 0
	.set _ZN7rocprim17ROCPRIM_400000_NS6detail17trampoline_kernelINS0_13select_configILj256ELj13ELNS0_17block_load_methodE3ELS4_3ELS4_3ELNS0_20block_scan_algorithmE0ELj4294967295EEENS1_25partition_config_selectorILNS1_17partition_subalgoE4EjNS0_10empty_typeEbEEZZNS1_14partition_implILS8_4ELb0ES6_15HIP_vector_typeIjLj2EENS0_17counting_iteratorIjlEEPS9_SG_NS0_5tupleIJPjSI_NS0_16reverse_iteratorISI_EEEEENSH_IJSG_SG_SG_EEES9_SI_JZNS1_25segmented_radix_sort_implINS0_14default_configELb1EPKhPhPKlPlN2at6native12_GLOBAL__N_18offset_tEEE10hipError_tPvRmT1_PNSt15iterator_traitsIS12_E10value_typeET2_T3_PNS13_IS18_E10value_typeET4_jRbjT5_S1E_jjP12ihipStream_tbEUljE_ZNSN_ISO_Lb1ESQ_SR_ST_SU_SY_EESZ_S10_S11_S12_S16_S17_S18_S1B_S1C_jS1D_jS1E_S1E_jjS1G_bEUljE0_EEESZ_S10_S11_S18_S1C_S1E_T6_T7_T9_mT8_S1G_bDpT10_ENKUlT_T0_E_clISt17integral_constantIbLb1EES1U_EEDaS1P_S1Q_EUlS1P_E_NS1_11comp_targetILNS1_3genE3ELNS1_11target_archE908ELNS1_3gpuE7ELNS1_3repE0EEENS1_30default_config_static_selectorELNS0_4arch9wavefront6targetE0EEEvS12_.uses_flat_scratch, 0
	.set _ZN7rocprim17ROCPRIM_400000_NS6detail17trampoline_kernelINS0_13select_configILj256ELj13ELNS0_17block_load_methodE3ELS4_3ELS4_3ELNS0_20block_scan_algorithmE0ELj4294967295EEENS1_25partition_config_selectorILNS1_17partition_subalgoE4EjNS0_10empty_typeEbEEZZNS1_14partition_implILS8_4ELb0ES6_15HIP_vector_typeIjLj2EENS0_17counting_iteratorIjlEEPS9_SG_NS0_5tupleIJPjSI_NS0_16reverse_iteratorISI_EEEEENSH_IJSG_SG_SG_EEES9_SI_JZNS1_25segmented_radix_sort_implINS0_14default_configELb1EPKhPhPKlPlN2at6native12_GLOBAL__N_18offset_tEEE10hipError_tPvRmT1_PNSt15iterator_traitsIS12_E10value_typeET2_T3_PNS13_IS18_E10value_typeET4_jRbjT5_S1E_jjP12ihipStream_tbEUljE_ZNSN_ISO_Lb1ESQ_SR_ST_SU_SY_EESZ_S10_S11_S12_S16_S17_S18_S1B_S1C_jS1D_jS1E_S1E_jjS1G_bEUljE0_EEESZ_S10_S11_S18_S1C_S1E_T6_T7_T9_mT8_S1G_bDpT10_ENKUlT_T0_E_clISt17integral_constantIbLb1EES1U_EEDaS1P_S1Q_EUlS1P_E_NS1_11comp_targetILNS1_3genE3ELNS1_11target_archE908ELNS1_3gpuE7ELNS1_3repE0EEENS1_30default_config_static_selectorELNS0_4arch9wavefront6targetE0EEEvS12_.has_dyn_sized_stack, 0
	.set _ZN7rocprim17ROCPRIM_400000_NS6detail17trampoline_kernelINS0_13select_configILj256ELj13ELNS0_17block_load_methodE3ELS4_3ELS4_3ELNS0_20block_scan_algorithmE0ELj4294967295EEENS1_25partition_config_selectorILNS1_17partition_subalgoE4EjNS0_10empty_typeEbEEZZNS1_14partition_implILS8_4ELb0ES6_15HIP_vector_typeIjLj2EENS0_17counting_iteratorIjlEEPS9_SG_NS0_5tupleIJPjSI_NS0_16reverse_iteratorISI_EEEEENSH_IJSG_SG_SG_EEES9_SI_JZNS1_25segmented_radix_sort_implINS0_14default_configELb1EPKhPhPKlPlN2at6native12_GLOBAL__N_18offset_tEEE10hipError_tPvRmT1_PNSt15iterator_traitsIS12_E10value_typeET2_T3_PNS13_IS18_E10value_typeET4_jRbjT5_S1E_jjP12ihipStream_tbEUljE_ZNSN_ISO_Lb1ESQ_SR_ST_SU_SY_EESZ_S10_S11_S12_S16_S17_S18_S1B_S1C_jS1D_jS1E_S1E_jjS1G_bEUljE0_EEESZ_S10_S11_S18_S1C_S1E_T6_T7_T9_mT8_S1G_bDpT10_ENKUlT_T0_E_clISt17integral_constantIbLb1EES1U_EEDaS1P_S1Q_EUlS1P_E_NS1_11comp_targetILNS1_3genE3ELNS1_11target_archE908ELNS1_3gpuE7ELNS1_3repE0EEENS1_30default_config_static_selectorELNS0_4arch9wavefront6targetE0EEEvS12_.has_recursion, 0
	.set _ZN7rocprim17ROCPRIM_400000_NS6detail17trampoline_kernelINS0_13select_configILj256ELj13ELNS0_17block_load_methodE3ELS4_3ELS4_3ELNS0_20block_scan_algorithmE0ELj4294967295EEENS1_25partition_config_selectorILNS1_17partition_subalgoE4EjNS0_10empty_typeEbEEZZNS1_14partition_implILS8_4ELb0ES6_15HIP_vector_typeIjLj2EENS0_17counting_iteratorIjlEEPS9_SG_NS0_5tupleIJPjSI_NS0_16reverse_iteratorISI_EEEEENSH_IJSG_SG_SG_EEES9_SI_JZNS1_25segmented_radix_sort_implINS0_14default_configELb1EPKhPhPKlPlN2at6native12_GLOBAL__N_18offset_tEEE10hipError_tPvRmT1_PNSt15iterator_traitsIS12_E10value_typeET2_T3_PNS13_IS18_E10value_typeET4_jRbjT5_S1E_jjP12ihipStream_tbEUljE_ZNSN_ISO_Lb1ESQ_SR_ST_SU_SY_EESZ_S10_S11_S12_S16_S17_S18_S1B_S1C_jS1D_jS1E_S1E_jjS1G_bEUljE0_EEESZ_S10_S11_S18_S1C_S1E_T6_T7_T9_mT8_S1G_bDpT10_ENKUlT_T0_E_clISt17integral_constantIbLb1EES1U_EEDaS1P_S1Q_EUlS1P_E_NS1_11comp_targetILNS1_3genE3ELNS1_11target_archE908ELNS1_3gpuE7ELNS1_3repE0EEENS1_30default_config_static_selectorELNS0_4arch9wavefront6targetE0EEEvS12_.has_indirect_call, 0
	.section	.AMDGPU.csdata,"",@progbits
; Kernel info:
; codeLenInByte = 0
; TotalNumSgprs: 0
; NumVgprs: 0
; ScratchSize: 0
; MemoryBound: 0
; FloatMode: 240
; IeeeMode: 1
; LDSByteSize: 0 bytes/workgroup (compile time only)
; SGPRBlocks: 0
; VGPRBlocks: 0
; NumSGPRsForWavesPerEU: 1
; NumVGPRsForWavesPerEU: 1
; Occupancy: 16
; WaveLimiterHint : 0
; COMPUTE_PGM_RSRC2:SCRATCH_EN: 0
; COMPUTE_PGM_RSRC2:USER_SGPR: 6
; COMPUTE_PGM_RSRC2:TRAP_HANDLER: 0
; COMPUTE_PGM_RSRC2:TGID_X_EN: 1
; COMPUTE_PGM_RSRC2:TGID_Y_EN: 0
; COMPUTE_PGM_RSRC2:TGID_Z_EN: 0
; COMPUTE_PGM_RSRC2:TIDIG_COMP_CNT: 0
	.section	.text._ZN7rocprim17ROCPRIM_400000_NS6detail17trampoline_kernelINS0_13select_configILj256ELj13ELNS0_17block_load_methodE3ELS4_3ELS4_3ELNS0_20block_scan_algorithmE0ELj4294967295EEENS1_25partition_config_selectorILNS1_17partition_subalgoE4EjNS0_10empty_typeEbEEZZNS1_14partition_implILS8_4ELb0ES6_15HIP_vector_typeIjLj2EENS0_17counting_iteratorIjlEEPS9_SG_NS0_5tupleIJPjSI_NS0_16reverse_iteratorISI_EEEEENSH_IJSG_SG_SG_EEES9_SI_JZNS1_25segmented_radix_sort_implINS0_14default_configELb1EPKhPhPKlPlN2at6native12_GLOBAL__N_18offset_tEEE10hipError_tPvRmT1_PNSt15iterator_traitsIS12_E10value_typeET2_T3_PNS13_IS18_E10value_typeET4_jRbjT5_S1E_jjP12ihipStream_tbEUljE_ZNSN_ISO_Lb1ESQ_SR_ST_SU_SY_EESZ_S10_S11_S12_S16_S17_S18_S1B_S1C_jS1D_jS1E_S1E_jjS1G_bEUljE0_EEESZ_S10_S11_S18_S1C_S1E_T6_T7_T9_mT8_S1G_bDpT10_ENKUlT_T0_E_clISt17integral_constantIbLb1EES1U_EEDaS1P_S1Q_EUlS1P_E_NS1_11comp_targetILNS1_3genE2ELNS1_11target_archE906ELNS1_3gpuE6ELNS1_3repE0EEENS1_30default_config_static_selectorELNS0_4arch9wavefront6targetE0EEEvS12_,"axG",@progbits,_ZN7rocprim17ROCPRIM_400000_NS6detail17trampoline_kernelINS0_13select_configILj256ELj13ELNS0_17block_load_methodE3ELS4_3ELS4_3ELNS0_20block_scan_algorithmE0ELj4294967295EEENS1_25partition_config_selectorILNS1_17partition_subalgoE4EjNS0_10empty_typeEbEEZZNS1_14partition_implILS8_4ELb0ES6_15HIP_vector_typeIjLj2EENS0_17counting_iteratorIjlEEPS9_SG_NS0_5tupleIJPjSI_NS0_16reverse_iteratorISI_EEEEENSH_IJSG_SG_SG_EEES9_SI_JZNS1_25segmented_radix_sort_implINS0_14default_configELb1EPKhPhPKlPlN2at6native12_GLOBAL__N_18offset_tEEE10hipError_tPvRmT1_PNSt15iterator_traitsIS12_E10value_typeET2_T3_PNS13_IS18_E10value_typeET4_jRbjT5_S1E_jjP12ihipStream_tbEUljE_ZNSN_ISO_Lb1ESQ_SR_ST_SU_SY_EESZ_S10_S11_S12_S16_S17_S18_S1B_S1C_jS1D_jS1E_S1E_jjS1G_bEUljE0_EEESZ_S10_S11_S18_S1C_S1E_T6_T7_T9_mT8_S1G_bDpT10_ENKUlT_T0_E_clISt17integral_constantIbLb1EES1U_EEDaS1P_S1Q_EUlS1P_E_NS1_11comp_targetILNS1_3genE2ELNS1_11target_archE906ELNS1_3gpuE6ELNS1_3repE0EEENS1_30default_config_static_selectorELNS0_4arch9wavefront6targetE0EEEvS12_,comdat
	.globl	_ZN7rocprim17ROCPRIM_400000_NS6detail17trampoline_kernelINS0_13select_configILj256ELj13ELNS0_17block_load_methodE3ELS4_3ELS4_3ELNS0_20block_scan_algorithmE0ELj4294967295EEENS1_25partition_config_selectorILNS1_17partition_subalgoE4EjNS0_10empty_typeEbEEZZNS1_14partition_implILS8_4ELb0ES6_15HIP_vector_typeIjLj2EENS0_17counting_iteratorIjlEEPS9_SG_NS0_5tupleIJPjSI_NS0_16reverse_iteratorISI_EEEEENSH_IJSG_SG_SG_EEES9_SI_JZNS1_25segmented_radix_sort_implINS0_14default_configELb1EPKhPhPKlPlN2at6native12_GLOBAL__N_18offset_tEEE10hipError_tPvRmT1_PNSt15iterator_traitsIS12_E10value_typeET2_T3_PNS13_IS18_E10value_typeET4_jRbjT5_S1E_jjP12ihipStream_tbEUljE_ZNSN_ISO_Lb1ESQ_SR_ST_SU_SY_EESZ_S10_S11_S12_S16_S17_S18_S1B_S1C_jS1D_jS1E_S1E_jjS1G_bEUljE0_EEESZ_S10_S11_S18_S1C_S1E_T6_T7_T9_mT8_S1G_bDpT10_ENKUlT_T0_E_clISt17integral_constantIbLb1EES1U_EEDaS1P_S1Q_EUlS1P_E_NS1_11comp_targetILNS1_3genE2ELNS1_11target_archE906ELNS1_3gpuE6ELNS1_3repE0EEENS1_30default_config_static_selectorELNS0_4arch9wavefront6targetE0EEEvS12_ ; -- Begin function _ZN7rocprim17ROCPRIM_400000_NS6detail17trampoline_kernelINS0_13select_configILj256ELj13ELNS0_17block_load_methodE3ELS4_3ELS4_3ELNS0_20block_scan_algorithmE0ELj4294967295EEENS1_25partition_config_selectorILNS1_17partition_subalgoE4EjNS0_10empty_typeEbEEZZNS1_14partition_implILS8_4ELb0ES6_15HIP_vector_typeIjLj2EENS0_17counting_iteratorIjlEEPS9_SG_NS0_5tupleIJPjSI_NS0_16reverse_iteratorISI_EEEEENSH_IJSG_SG_SG_EEES9_SI_JZNS1_25segmented_radix_sort_implINS0_14default_configELb1EPKhPhPKlPlN2at6native12_GLOBAL__N_18offset_tEEE10hipError_tPvRmT1_PNSt15iterator_traitsIS12_E10value_typeET2_T3_PNS13_IS18_E10value_typeET4_jRbjT5_S1E_jjP12ihipStream_tbEUljE_ZNSN_ISO_Lb1ESQ_SR_ST_SU_SY_EESZ_S10_S11_S12_S16_S17_S18_S1B_S1C_jS1D_jS1E_S1E_jjS1G_bEUljE0_EEESZ_S10_S11_S18_S1C_S1E_T6_T7_T9_mT8_S1G_bDpT10_ENKUlT_T0_E_clISt17integral_constantIbLb1EES1U_EEDaS1P_S1Q_EUlS1P_E_NS1_11comp_targetILNS1_3genE2ELNS1_11target_archE906ELNS1_3gpuE6ELNS1_3repE0EEENS1_30default_config_static_selectorELNS0_4arch9wavefront6targetE0EEEvS12_
	.p2align	8
	.type	_ZN7rocprim17ROCPRIM_400000_NS6detail17trampoline_kernelINS0_13select_configILj256ELj13ELNS0_17block_load_methodE3ELS4_3ELS4_3ELNS0_20block_scan_algorithmE0ELj4294967295EEENS1_25partition_config_selectorILNS1_17partition_subalgoE4EjNS0_10empty_typeEbEEZZNS1_14partition_implILS8_4ELb0ES6_15HIP_vector_typeIjLj2EENS0_17counting_iteratorIjlEEPS9_SG_NS0_5tupleIJPjSI_NS0_16reverse_iteratorISI_EEEEENSH_IJSG_SG_SG_EEES9_SI_JZNS1_25segmented_radix_sort_implINS0_14default_configELb1EPKhPhPKlPlN2at6native12_GLOBAL__N_18offset_tEEE10hipError_tPvRmT1_PNSt15iterator_traitsIS12_E10value_typeET2_T3_PNS13_IS18_E10value_typeET4_jRbjT5_S1E_jjP12ihipStream_tbEUljE_ZNSN_ISO_Lb1ESQ_SR_ST_SU_SY_EESZ_S10_S11_S12_S16_S17_S18_S1B_S1C_jS1D_jS1E_S1E_jjS1G_bEUljE0_EEESZ_S10_S11_S18_S1C_S1E_T6_T7_T9_mT8_S1G_bDpT10_ENKUlT_T0_E_clISt17integral_constantIbLb1EES1U_EEDaS1P_S1Q_EUlS1P_E_NS1_11comp_targetILNS1_3genE2ELNS1_11target_archE906ELNS1_3gpuE6ELNS1_3repE0EEENS1_30default_config_static_selectorELNS0_4arch9wavefront6targetE0EEEvS12_,@function
_ZN7rocprim17ROCPRIM_400000_NS6detail17trampoline_kernelINS0_13select_configILj256ELj13ELNS0_17block_load_methodE3ELS4_3ELS4_3ELNS0_20block_scan_algorithmE0ELj4294967295EEENS1_25partition_config_selectorILNS1_17partition_subalgoE4EjNS0_10empty_typeEbEEZZNS1_14partition_implILS8_4ELb0ES6_15HIP_vector_typeIjLj2EENS0_17counting_iteratorIjlEEPS9_SG_NS0_5tupleIJPjSI_NS0_16reverse_iteratorISI_EEEEENSH_IJSG_SG_SG_EEES9_SI_JZNS1_25segmented_radix_sort_implINS0_14default_configELb1EPKhPhPKlPlN2at6native12_GLOBAL__N_18offset_tEEE10hipError_tPvRmT1_PNSt15iterator_traitsIS12_E10value_typeET2_T3_PNS13_IS18_E10value_typeET4_jRbjT5_S1E_jjP12ihipStream_tbEUljE_ZNSN_ISO_Lb1ESQ_SR_ST_SU_SY_EESZ_S10_S11_S12_S16_S17_S18_S1B_S1C_jS1D_jS1E_S1E_jjS1G_bEUljE0_EEESZ_S10_S11_S18_S1C_S1E_T6_T7_T9_mT8_S1G_bDpT10_ENKUlT_T0_E_clISt17integral_constantIbLb1EES1U_EEDaS1P_S1Q_EUlS1P_E_NS1_11comp_targetILNS1_3genE2ELNS1_11target_archE906ELNS1_3gpuE6ELNS1_3repE0EEENS1_30default_config_static_selectorELNS0_4arch9wavefront6targetE0EEEvS12_: ; @_ZN7rocprim17ROCPRIM_400000_NS6detail17trampoline_kernelINS0_13select_configILj256ELj13ELNS0_17block_load_methodE3ELS4_3ELS4_3ELNS0_20block_scan_algorithmE0ELj4294967295EEENS1_25partition_config_selectorILNS1_17partition_subalgoE4EjNS0_10empty_typeEbEEZZNS1_14partition_implILS8_4ELb0ES6_15HIP_vector_typeIjLj2EENS0_17counting_iteratorIjlEEPS9_SG_NS0_5tupleIJPjSI_NS0_16reverse_iteratorISI_EEEEENSH_IJSG_SG_SG_EEES9_SI_JZNS1_25segmented_radix_sort_implINS0_14default_configELb1EPKhPhPKlPlN2at6native12_GLOBAL__N_18offset_tEEE10hipError_tPvRmT1_PNSt15iterator_traitsIS12_E10value_typeET2_T3_PNS13_IS18_E10value_typeET4_jRbjT5_S1E_jjP12ihipStream_tbEUljE_ZNSN_ISO_Lb1ESQ_SR_ST_SU_SY_EESZ_S10_S11_S12_S16_S17_S18_S1B_S1C_jS1D_jS1E_S1E_jjS1G_bEUljE0_EEESZ_S10_S11_S18_S1C_S1E_T6_T7_T9_mT8_S1G_bDpT10_ENKUlT_T0_E_clISt17integral_constantIbLb1EES1U_EEDaS1P_S1Q_EUlS1P_E_NS1_11comp_targetILNS1_3genE2ELNS1_11target_archE906ELNS1_3gpuE6ELNS1_3repE0EEENS1_30default_config_static_selectorELNS0_4arch9wavefront6targetE0EEEvS12_
; %bb.0:
	.section	.rodata,"a",@progbits
	.p2align	6, 0x0
	.amdhsa_kernel _ZN7rocprim17ROCPRIM_400000_NS6detail17trampoline_kernelINS0_13select_configILj256ELj13ELNS0_17block_load_methodE3ELS4_3ELS4_3ELNS0_20block_scan_algorithmE0ELj4294967295EEENS1_25partition_config_selectorILNS1_17partition_subalgoE4EjNS0_10empty_typeEbEEZZNS1_14partition_implILS8_4ELb0ES6_15HIP_vector_typeIjLj2EENS0_17counting_iteratorIjlEEPS9_SG_NS0_5tupleIJPjSI_NS0_16reverse_iteratorISI_EEEEENSH_IJSG_SG_SG_EEES9_SI_JZNS1_25segmented_radix_sort_implINS0_14default_configELb1EPKhPhPKlPlN2at6native12_GLOBAL__N_18offset_tEEE10hipError_tPvRmT1_PNSt15iterator_traitsIS12_E10value_typeET2_T3_PNS13_IS18_E10value_typeET4_jRbjT5_S1E_jjP12ihipStream_tbEUljE_ZNSN_ISO_Lb1ESQ_SR_ST_SU_SY_EESZ_S10_S11_S12_S16_S17_S18_S1B_S1C_jS1D_jS1E_S1E_jjS1G_bEUljE0_EEESZ_S10_S11_S18_S1C_S1E_T6_T7_T9_mT8_S1G_bDpT10_ENKUlT_T0_E_clISt17integral_constantIbLb1EES1U_EEDaS1P_S1Q_EUlS1P_E_NS1_11comp_targetILNS1_3genE2ELNS1_11target_archE906ELNS1_3gpuE6ELNS1_3repE0EEENS1_30default_config_static_selectorELNS0_4arch9wavefront6targetE0EEEvS12_
		.amdhsa_group_segment_fixed_size 0
		.amdhsa_private_segment_fixed_size 0
		.amdhsa_kernarg_size 184
		.amdhsa_user_sgpr_count 6
		.amdhsa_user_sgpr_private_segment_buffer 1
		.amdhsa_user_sgpr_dispatch_ptr 0
		.amdhsa_user_sgpr_queue_ptr 0
		.amdhsa_user_sgpr_kernarg_segment_ptr 1
		.amdhsa_user_sgpr_dispatch_id 0
		.amdhsa_user_sgpr_flat_scratch_init 0
		.amdhsa_user_sgpr_private_segment_size 0
		.amdhsa_wavefront_size32 1
		.amdhsa_uses_dynamic_stack 0
		.amdhsa_system_sgpr_private_segment_wavefront_offset 0
		.amdhsa_system_sgpr_workgroup_id_x 1
		.amdhsa_system_sgpr_workgroup_id_y 0
		.amdhsa_system_sgpr_workgroup_id_z 0
		.amdhsa_system_sgpr_workgroup_info 0
		.amdhsa_system_vgpr_workitem_id 0
		.amdhsa_next_free_vgpr 1
		.amdhsa_next_free_sgpr 1
		.amdhsa_reserve_vcc 0
		.amdhsa_reserve_flat_scratch 0
		.amdhsa_float_round_mode_32 0
		.amdhsa_float_round_mode_16_64 0
		.amdhsa_float_denorm_mode_32 3
		.amdhsa_float_denorm_mode_16_64 3
		.amdhsa_dx10_clamp 1
		.amdhsa_ieee_mode 1
		.amdhsa_fp16_overflow 0
		.amdhsa_workgroup_processor_mode 1
		.amdhsa_memory_ordered 1
		.amdhsa_forward_progress 1
		.amdhsa_shared_vgpr_count 0
		.amdhsa_exception_fp_ieee_invalid_op 0
		.amdhsa_exception_fp_denorm_src 0
		.amdhsa_exception_fp_ieee_div_zero 0
		.amdhsa_exception_fp_ieee_overflow 0
		.amdhsa_exception_fp_ieee_underflow 0
		.amdhsa_exception_fp_ieee_inexact 0
		.amdhsa_exception_int_div_zero 0
	.end_amdhsa_kernel
	.section	.text._ZN7rocprim17ROCPRIM_400000_NS6detail17trampoline_kernelINS0_13select_configILj256ELj13ELNS0_17block_load_methodE3ELS4_3ELS4_3ELNS0_20block_scan_algorithmE0ELj4294967295EEENS1_25partition_config_selectorILNS1_17partition_subalgoE4EjNS0_10empty_typeEbEEZZNS1_14partition_implILS8_4ELb0ES6_15HIP_vector_typeIjLj2EENS0_17counting_iteratorIjlEEPS9_SG_NS0_5tupleIJPjSI_NS0_16reverse_iteratorISI_EEEEENSH_IJSG_SG_SG_EEES9_SI_JZNS1_25segmented_radix_sort_implINS0_14default_configELb1EPKhPhPKlPlN2at6native12_GLOBAL__N_18offset_tEEE10hipError_tPvRmT1_PNSt15iterator_traitsIS12_E10value_typeET2_T3_PNS13_IS18_E10value_typeET4_jRbjT5_S1E_jjP12ihipStream_tbEUljE_ZNSN_ISO_Lb1ESQ_SR_ST_SU_SY_EESZ_S10_S11_S12_S16_S17_S18_S1B_S1C_jS1D_jS1E_S1E_jjS1G_bEUljE0_EEESZ_S10_S11_S18_S1C_S1E_T6_T7_T9_mT8_S1G_bDpT10_ENKUlT_T0_E_clISt17integral_constantIbLb1EES1U_EEDaS1P_S1Q_EUlS1P_E_NS1_11comp_targetILNS1_3genE2ELNS1_11target_archE906ELNS1_3gpuE6ELNS1_3repE0EEENS1_30default_config_static_selectorELNS0_4arch9wavefront6targetE0EEEvS12_,"axG",@progbits,_ZN7rocprim17ROCPRIM_400000_NS6detail17trampoline_kernelINS0_13select_configILj256ELj13ELNS0_17block_load_methodE3ELS4_3ELS4_3ELNS0_20block_scan_algorithmE0ELj4294967295EEENS1_25partition_config_selectorILNS1_17partition_subalgoE4EjNS0_10empty_typeEbEEZZNS1_14partition_implILS8_4ELb0ES6_15HIP_vector_typeIjLj2EENS0_17counting_iteratorIjlEEPS9_SG_NS0_5tupleIJPjSI_NS0_16reverse_iteratorISI_EEEEENSH_IJSG_SG_SG_EEES9_SI_JZNS1_25segmented_radix_sort_implINS0_14default_configELb1EPKhPhPKlPlN2at6native12_GLOBAL__N_18offset_tEEE10hipError_tPvRmT1_PNSt15iterator_traitsIS12_E10value_typeET2_T3_PNS13_IS18_E10value_typeET4_jRbjT5_S1E_jjP12ihipStream_tbEUljE_ZNSN_ISO_Lb1ESQ_SR_ST_SU_SY_EESZ_S10_S11_S12_S16_S17_S18_S1B_S1C_jS1D_jS1E_S1E_jjS1G_bEUljE0_EEESZ_S10_S11_S18_S1C_S1E_T6_T7_T9_mT8_S1G_bDpT10_ENKUlT_T0_E_clISt17integral_constantIbLb1EES1U_EEDaS1P_S1Q_EUlS1P_E_NS1_11comp_targetILNS1_3genE2ELNS1_11target_archE906ELNS1_3gpuE6ELNS1_3repE0EEENS1_30default_config_static_selectorELNS0_4arch9wavefront6targetE0EEEvS12_,comdat
.Lfunc_end25:
	.size	_ZN7rocprim17ROCPRIM_400000_NS6detail17trampoline_kernelINS0_13select_configILj256ELj13ELNS0_17block_load_methodE3ELS4_3ELS4_3ELNS0_20block_scan_algorithmE0ELj4294967295EEENS1_25partition_config_selectorILNS1_17partition_subalgoE4EjNS0_10empty_typeEbEEZZNS1_14partition_implILS8_4ELb0ES6_15HIP_vector_typeIjLj2EENS0_17counting_iteratorIjlEEPS9_SG_NS0_5tupleIJPjSI_NS0_16reverse_iteratorISI_EEEEENSH_IJSG_SG_SG_EEES9_SI_JZNS1_25segmented_radix_sort_implINS0_14default_configELb1EPKhPhPKlPlN2at6native12_GLOBAL__N_18offset_tEEE10hipError_tPvRmT1_PNSt15iterator_traitsIS12_E10value_typeET2_T3_PNS13_IS18_E10value_typeET4_jRbjT5_S1E_jjP12ihipStream_tbEUljE_ZNSN_ISO_Lb1ESQ_SR_ST_SU_SY_EESZ_S10_S11_S12_S16_S17_S18_S1B_S1C_jS1D_jS1E_S1E_jjS1G_bEUljE0_EEESZ_S10_S11_S18_S1C_S1E_T6_T7_T9_mT8_S1G_bDpT10_ENKUlT_T0_E_clISt17integral_constantIbLb1EES1U_EEDaS1P_S1Q_EUlS1P_E_NS1_11comp_targetILNS1_3genE2ELNS1_11target_archE906ELNS1_3gpuE6ELNS1_3repE0EEENS1_30default_config_static_selectorELNS0_4arch9wavefront6targetE0EEEvS12_, .Lfunc_end25-_ZN7rocprim17ROCPRIM_400000_NS6detail17trampoline_kernelINS0_13select_configILj256ELj13ELNS0_17block_load_methodE3ELS4_3ELS4_3ELNS0_20block_scan_algorithmE0ELj4294967295EEENS1_25partition_config_selectorILNS1_17partition_subalgoE4EjNS0_10empty_typeEbEEZZNS1_14partition_implILS8_4ELb0ES6_15HIP_vector_typeIjLj2EENS0_17counting_iteratorIjlEEPS9_SG_NS0_5tupleIJPjSI_NS0_16reverse_iteratorISI_EEEEENSH_IJSG_SG_SG_EEES9_SI_JZNS1_25segmented_radix_sort_implINS0_14default_configELb1EPKhPhPKlPlN2at6native12_GLOBAL__N_18offset_tEEE10hipError_tPvRmT1_PNSt15iterator_traitsIS12_E10value_typeET2_T3_PNS13_IS18_E10value_typeET4_jRbjT5_S1E_jjP12ihipStream_tbEUljE_ZNSN_ISO_Lb1ESQ_SR_ST_SU_SY_EESZ_S10_S11_S12_S16_S17_S18_S1B_S1C_jS1D_jS1E_S1E_jjS1G_bEUljE0_EEESZ_S10_S11_S18_S1C_S1E_T6_T7_T9_mT8_S1G_bDpT10_ENKUlT_T0_E_clISt17integral_constantIbLb1EES1U_EEDaS1P_S1Q_EUlS1P_E_NS1_11comp_targetILNS1_3genE2ELNS1_11target_archE906ELNS1_3gpuE6ELNS1_3repE0EEENS1_30default_config_static_selectorELNS0_4arch9wavefront6targetE0EEEvS12_
                                        ; -- End function
	.set _ZN7rocprim17ROCPRIM_400000_NS6detail17trampoline_kernelINS0_13select_configILj256ELj13ELNS0_17block_load_methodE3ELS4_3ELS4_3ELNS0_20block_scan_algorithmE0ELj4294967295EEENS1_25partition_config_selectorILNS1_17partition_subalgoE4EjNS0_10empty_typeEbEEZZNS1_14partition_implILS8_4ELb0ES6_15HIP_vector_typeIjLj2EENS0_17counting_iteratorIjlEEPS9_SG_NS0_5tupleIJPjSI_NS0_16reverse_iteratorISI_EEEEENSH_IJSG_SG_SG_EEES9_SI_JZNS1_25segmented_radix_sort_implINS0_14default_configELb1EPKhPhPKlPlN2at6native12_GLOBAL__N_18offset_tEEE10hipError_tPvRmT1_PNSt15iterator_traitsIS12_E10value_typeET2_T3_PNS13_IS18_E10value_typeET4_jRbjT5_S1E_jjP12ihipStream_tbEUljE_ZNSN_ISO_Lb1ESQ_SR_ST_SU_SY_EESZ_S10_S11_S12_S16_S17_S18_S1B_S1C_jS1D_jS1E_S1E_jjS1G_bEUljE0_EEESZ_S10_S11_S18_S1C_S1E_T6_T7_T9_mT8_S1G_bDpT10_ENKUlT_T0_E_clISt17integral_constantIbLb1EES1U_EEDaS1P_S1Q_EUlS1P_E_NS1_11comp_targetILNS1_3genE2ELNS1_11target_archE906ELNS1_3gpuE6ELNS1_3repE0EEENS1_30default_config_static_selectorELNS0_4arch9wavefront6targetE0EEEvS12_.num_vgpr, 0
	.set _ZN7rocprim17ROCPRIM_400000_NS6detail17trampoline_kernelINS0_13select_configILj256ELj13ELNS0_17block_load_methodE3ELS4_3ELS4_3ELNS0_20block_scan_algorithmE0ELj4294967295EEENS1_25partition_config_selectorILNS1_17partition_subalgoE4EjNS0_10empty_typeEbEEZZNS1_14partition_implILS8_4ELb0ES6_15HIP_vector_typeIjLj2EENS0_17counting_iteratorIjlEEPS9_SG_NS0_5tupleIJPjSI_NS0_16reverse_iteratorISI_EEEEENSH_IJSG_SG_SG_EEES9_SI_JZNS1_25segmented_radix_sort_implINS0_14default_configELb1EPKhPhPKlPlN2at6native12_GLOBAL__N_18offset_tEEE10hipError_tPvRmT1_PNSt15iterator_traitsIS12_E10value_typeET2_T3_PNS13_IS18_E10value_typeET4_jRbjT5_S1E_jjP12ihipStream_tbEUljE_ZNSN_ISO_Lb1ESQ_SR_ST_SU_SY_EESZ_S10_S11_S12_S16_S17_S18_S1B_S1C_jS1D_jS1E_S1E_jjS1G_bEUljE0_EEESZ_S10_S11_S18_S1C_S1E_T6_T7_T9_mT8_S1G_bDpT10_ENKUlT_T0_E_clISt17integral_constantIbLb1EES1U_EEDaS1P_S1Q_EUlS1P_E_NS1_11comp_targetILNS1_3genE2ELNS1_11target_archE906ELNS1_3gpuE6ELNS1_3repE0EEENS1_30default_config_static_selectorELNS0_4arch9wavefront6targetE0EEEvS12_.num_agpr, 0
	.set _ZN7rocprim17ROCPRIM_400000_NS6detail17trampoline_kernelINS0_13select_configILj256ELj13ELNS0_17block_load_methodE3ELS4_3ELS4_3ELNS0_20block_scan_algorithmE0ELj4294967295EEENS1_25partition_config_selectorILNS1_17partition_subalgoE4EjNS0_10empty_typeEbEEZZNS1_14partition_implILS8_4ELb0ES6_15HIP_vector_typeIjLj2EENS0_17counting_iteratorIjlEEPS9_SG_NS0_5tupleIJPjSI_NS0_16reverse_iteratorISI_EEEEENSH_IJSG_SG_SG_EEES9_SI_JZNS1_25segmented_radix_sort_implINS0_14default_configELb1EPKhPhPKlPlN2at6native12_GLOBAL__N_18offset_tEEE10hipError_tPvRmT1_PNSt15iterator_traitsIS12_E10value_typeET2_T3_PNS13_IS18_E10value_typeET4_jRbjT5_S1E_jjP12ihipStream_tbEUljE_ZNSN_ISO_Lb1ESQ_SR_ST_SU_SY_EESZ_S10_S11_S12_S16_S17_S18_S1B_S1C_jS1D_jS1E_S1E_jjS1G_bEUljE0_EEESZ_S10_S11_S18_S1C_S1E_T6_T7_T9_mT8_S1G_bDpT10_ENKUlT_T0_E_clISt17integral_constantIbLb1EES1U_EEDaS1P_S1Q_EUlS1P_E_NS1_11comp_targetILNS1_3genE2ELNS1_11target_archE906ELNS1_3gpuE6ELNS1_3repE0EEENS1_30default_config_static_selectorELNS0_4arch9wavefront6targetE0EEEvS12_.numbered_sgpr, 0
	.set _ZN7rocprim17ROCPRIM_400000_NS6detail17trampoline_kernelINS0_13select_configILj256ELj13ELNS0_17block_load_methodE3ELS4_3ELS4_3ELNS0_20block_scan_algorithmE0ELj4294967295EEENS1_25partition_config_selectorILNS1_17partition_subalgoE4EjNS0_10empty_typeEbEEZZNS1_14partition_implILS8_4ELb0ES6_15HIP_vector_typeIjLj2EENS0_17counting_iteratorIjlEEPS9_SG_NS0_5tupleIJPjSI_NS0_16reverse_iteratorISI_EEEEENSH_IJSG_SG_SG_EEES9_SI_JZNS1_25segmented_radix_sort_implINS0_14default_configELb1EPKhPhPKlPlN2at6native12_GLOBAL__N_18offset_tEEE10hipError_tPvRmT1_PNSt15iterator_traitsIS12_E10value_typeET2_T3_PNS13_IS18_E10value_typeET4_jRbjT5_S1E_jjP12ihipStream_tbEUljE_ZNSN_ISO_Lb1ESQ_SR_ST_SU_SY_EESZ_S10_S11_S12_S16_S17_S18_S1B_S1C_jS1D_jS1E_S1E_jjS1G_bEUljE0_EEESZ_S10_S11_S18_S1C_S1E_T6_T7_T9_mT8_S1G_bDpT10_ENKUlT_T0_E_clISt17integral_constantIbLb1EES1U_EEDaS1P_S1Q_EUlS1P_E_NS1_11comp_targetILNS1_3genE2ELNS1_11target_archE906ELNS1_3gpuE6ELNS1_3repE0EEENS1_30default_config_static_selectorELNS0_4arch9wavefront6targetE0EEEvS12_.num_named_barrier, 0
	.set _ZN7rocprim17ROCPRIM_400000_NS6detail17trampoline_kernelINS0_13select_configILj256ELj13ELNS0_17block_load_methodE3ELS4_3ELS4_3ELNS0_20block_scan_algorithmE0ELj4294967295EEENS1_25partition_config_selectorILNS1_17partition_subalgoE4EjNS0_10empty_typeEbEEZZNS1_14partition_implILS8_4ELb0ES6_15HIP_vector_typeIjLj2EENS0_17counting_iteratorIjlEEPS9_SG_NS0_5tupleIJPjSI_NS0_16reverse_iteratorISI_EEEEENSH_IJSG_SG_SG_EEES9_SI_JZNS1_25segmented_radix_sort_implINS0_14default_configELb1EPKhPhPKlPlN2at6native12_GLOBAL__N_18offset_tEEE10hipError_tPvRmT1_PNSt15iterator_traitsIS12_E10value_typeET2_T3_PNS13_IS18_E10value_typeET4_jRbjT5_S1E_jjP12ihipStream_tbEUljE_ZNSN_ISO_Lb1ESQ_SR_ST_SU_SY_EESZ_S10_S11_S12_S16_S17_S18_S1B_S1C_jS1D_jS1E_S1E_jjS1G_bEUljE0_EEESZ_S10_S11_S18_S1C_S1E_T6_T7_T9_mT8_S1G_bDpT10_ENKUlT_T0_E_clISt17integral_constantIbLb1EES1U_EEDaS1P_S1Q_EUlS1P_E_NS1_11comp_targetILNS1_3genE2ELNS1_11target_archE906ELNS1_3gpuE6ELNS1_3repE0EEENS1_30default_config_static_selectorELNS0_4arch9wavefront6targetE0EEEvS12_.private_seg_size, 0
	.set _ZN7rocprim17ROCPRIM_400000_NS6detail17trampoline_kernelINS0_13select_configILj256ELj13ELNS0_17block_load_methodE3ELS4_3ELS4_3ELNS0_20block_scan_algorithmE0ELj4294967295EEENS1_25partition_config_selectorILNS1_17partition_subalgoE4EjNS0_10empty_typeEbEEZZNS1_14partition_implILS8_4ELb0ES6_15HIP_vector_typeIjLj2EENS0_17counting_iteratorIjlEEPS9_SG_NS0_5tupleIJPjSI_NS0_16reverse_iteratorISI_EEEEENSH_IJSG_SG_SG_EEES9_SI_JZNS1_25segmented_radix_sort_implINS0_14default_configELb1EPKhPhPKlPlN2at6native12_GLOBAL__N_18offset_tEEE10hipError_tPvRmT1_PNSt15iterator_traitsIS12_E10value_typeET2_T3_PNS13_IS18_E10value_typeET4_jRbjT5_S1E_jjP12ihipStream_tbEUljE_ZNSN_ISO_Lb1ESQ_SR_ST_SU_SY_EESZ_S10_S11_S12_S16_S17_S18_S1B_S1C_jS1D_jS1E_S1E_jjS1G_bEUljE0_EEESZ_S10_S11_S18_S1C_S1E_T6_T7_T9_mT8_S1G_bDpT10_ENKUlT_T0_E_clISt17integral_constantIbLb1EES1U_EEDaS1P_S1Q_EUlS1P_E_NS1_11comp_targetILNS1_3genE2ELNS1_11target_archE906ELNS1_3gpuE6ELNS1_3repE0EEENS1_30default_config_static_selectorELNS0_4arch9wavefront6targetE0EEEvS12_.uses_vcc, 0
	.set _ZN7rocprim17ROCPRIM_400000_NS6detail17trampoline_kernelINS0_13select_configILj256ELj13ELNS0_17block_load_methodE3ELS4_3ELS4_3ELNS0_20block_scan_algorithmE0ELj4294967295EEENS1_25partition_config_selectorILNS1_17partition_subalgoE4EjNS0_10empty_typeEbEEZZNS1_14partition_implILS8_4ELb0ES6_15HIP_vector_typeIjLj2EENS0_17counting_iteratorIjlEEPS9_SG_NS0_5tupleIJPjSI_NS0_16reverse_iteratorISI_EEEEENSH_IJSG_SG_SG_EEES9_SI_JZNS1_25segmented_radix_sort_implINS0_14default_configELb1EPKhPhPKlPlN2at6native12_GLOBAL__N_18offset_tEEE10hipError_tPvRmT1_PNSt15iterator_traitsIS12_E10value_typeET2_T3_PNS13_IS18_E10value_typeET4_jRbjT5_S1E_jjP12ihipStream_tbEUljE_ZNSN_ISO_Lb1ESQ_SR_ST_SU_SY_EESZ_S10_S11_S12_S16_S17_S18_S1B_S1C_jS1D_jS1E_S1E_jjS1G_bEUljE0_EEESZ_S10_S11_S18_S1C_S1E_T6_T7_T9_mT8_S1G_bDpT10_ENKUlT_T0_E_clISt17integral_constantIbLb1EES1U_EEDaS1P_S1Q_EUlS1P_E_NS1_11comp_targetILNS1_3genE2ELNS1_11target_archE906ELNS1_3gpuE6ELNS1_3repE0EEENS1_30default_config_static_selectorELNS0_4arch9wavefront6targetE0EEEvS12_.uses_flat_scratch, 0
	.set _ZN7rocprim17ROCPRIM_400000_NS6detail17trampoline_kernelINS0_13select_configILj256ELj13ELNS0_17block_load_methodE3ELS4_3ELS4_3ELNS0_20block_scan_algorithmE0ELj4294967295EEENS1_25partition_config_selectorILNS1_17partition_subalgoE4EjNS0_10empty_typeEbEEZZNS1_14partition_implILS8_4ELb0ES6_15HIP_vector_typeIjLj2EENS0_17counting_iteratorIjlEEPS9_SG_NS0_5tupleIJPjSI_NS0_16reverse_iteratorISI_EEEEENSH_IJSG_SG_SG_EEES9_SI_JZNS1_25segmented_radix_sort_implINS0_14default_configELb1EPKhPhPKlPlN2at6native12_GLOBAL__N_18offset_tEEE10hipError_tPvRmT1_PNSt15iterator_traitsIS12_E10value_typeET2_T3_PNS13_IS18_E10value_typeET4_jRbjT5_S1E_jjP12ihipStream_tbEUljE_ZNSN_ISO_Lb1ESQ_SR_ST_SU_SY_EESZ_S10_S11_S12_S16_S17_S18_S1B_S1C_jS1D_jS1E_S1E_jjS1G_bEUljE0_EEESZ_S10_S11_S18_S1C_S1E_T6_T7_T9_mT8_S1G_bDpT10_ENKUlT_T0_E_clISt17integral_constantIbLb1EES1U_EEDaS1P_S1Q_EUlS1P_E_NS1_11comp_targetILNS1_3genE2ELNS1_11target_archE906ELNS1_3gpuE6ELNS1_3repE0EEENS1_30default_config_static_selectorELNS0_4arch9wavefront6targetE0EEEvS12_.has_dyn_sized_stack, 0
	.set _ZN7rocprim17ROCPRIM_400000_NS6detail17trampoline_kernelINS0_13select_configILj256ELj13ELNS0_17block_load_methodE3ELS4_3ELS4_3ELNS0_20block_scan_algorithmE0ELj4294967295EEENS1_25partition_config_selectorILNS1_17partition_subalgoE4EjNS0_10empty_typeEbEEZZNS1_14partition_implILS8_4ELb0ES6_15HIP_vector_typeIjLj2EENS0_17counting_iteratorIjlEEPS9_SG_NS0_5tupleIJPjSI_NS0_16reverse_iteratorISI_EEEEENSH_IJSG_SG_SG_EEES9_SI_JZNS1_25segmented_radix_sort_implINS0_14default_configELb1EPKhPhPKlPlN2at6native12_GLOBAL__N_18offset_tEEE10hipError_tPvRmT1_PNSt15iterator_traitsIS12_E10value_typeET2_T3_PNS13_IS18_E10value_typeET4_jRbjT5_S1E_jjP12ihipStream_tbEUljE_ZNSN_ISO_Lb1ESQ_SR_ST_SU_SY_EESZ_S10_S11_S12_S16_S17_S18_S1B_S1C_jS1D_jS1E_S1E_jjS1G_bEUljE0_EEESZ_S10_S11_S18_S1C_S1E_T6_T7_T9_mT8_S1G_bDpT10_ENKUlT_T0_E_clISt17integral_constantIbLb1EES1U_EEDaS1P_S1Q_EUlS1P_E_NS1_11comp_targetILNS1_3genE2ELNS1_11target_archE906ELNS1_3gpuE6ELNS1_3repE0EEENS1_30default_config_static_selectorELNS0_4arch9wavefront6targetE0EEEvS12_.has_recursion, 0
	.set _ZN7rocprim17ROCPRIM_400000_NS6detail17trampoline_kernelINS0_13select_configILj256ELj13ELNS0_17block_load_methodE3ELS4_3ELS4_3ELNS0_20block_scan_algorithmE0ELj4294967295EEENS1_25partition_config_selectorILNS1_17partition_subalgoE4EjNS0_10empty_typeEbEEZZNS1_14partition_implILS8_4ELb0ES6_15HIP_vector_typeIjLj2EENS0_17counting_iteratorIjlEEPS9_SG_NS0_5tupleIJPjSI_NS0_16reverse_iteratorISI_EEEEENSH_IJSG_SG_SG_EEES9_SI_JZNS1_25segmented_radix_sort_implINS0_14default_configELb1EPKhPhPKlPlN2at6native12_GLOBAL__N_18offset_tEEE10hipError_tPvRmT1_PNSt15iterator_traitsIS12_E10value_typeET2_T3_PNS13_IS18_E10value_typeET4_jRbjT5_S1E_jjP12ihipStream_tbEUljE_ZNSN_ISO_Lb1ESQ_SR_ST_SU_SY_EESZ_S10_S11_S12_S16_S17_S18_S1B_S1C_jS1D_jS1E_S1E_jjS1G_bEUljE0_EEESZ_S10_S11_S18_S1C_S1E_T6_T7_T9_mT8_S1G_bDpT10_ENKUlT_T0_E_clISt17integral_constantIbLb1EES1U_EEDaS1P_S1Q_EUlS1P_E_NS1_11comp_targetILNS1_3genE2ELNS1_11target_archE906ELNS1_3gpuE6ELNS1_3repE0EEENS1_30default_config_static_selectorELNS0_4arch9wavefront6targetE0EEEvS12_.has_indirect_call, 0
	.section	.AMDGPU.csdata,"",@progbits
; Kernel info:
; codeLenInByte = 0
; TotalNumSgprs: 0
; NumVgprs: 0
; ScratchSize: 0
; MemoryBound: 0
; FloatMode: 240
; IeeeMode: 1
; LDSByteSize: 0 bytes/workgroup (compile time only)
; SGPRBlocks: 0
; VGPRBlocks: 0
; NumSGPRsForWavesPerEU: 1
; NumVGPRsForWavesPerEU: 1
; Occupancy: 16
; WaveLimiterHint : 0
; COMPUTE_PGM_RSRC2:SCRATCH_EN: 0
; COMPUTE_PGM_RSRC2:USER_SGPR: 6
; COMPUTE_PGM_RSRC2:TRAP_HANDLER: 0
; COMPUTE_PGM_RSRC2:TGID_X_EN: 1
; COMPUTE_PGM_RSRC2:TGID_Y_EN: 0
; COMPUTE_PGM_RSRC2:TGID_Z_EN: 0
; COMPUTE_PGM_RSRC2:TIDIG_COMP_CNT: 0
	.section	.text._ZN7rocprim17ROCPRIM_400000_NS6detail17trampoline_kernelINS0_13select_configILj256ELj13ELNS0_17block_load_methodE3ELS4_3ELS4_3ELNS0_20block_scan_algorithmE0ELj4294967295EEENS1_25partition_config_selectorILNS1_17partition_subalgoE4EjNS0_10empty_typeEbEEZZNS1_14partition_implILS8_4ELb0ES6_15HIP_vector_typeIjLj2EENS0_17counting_iteratorIjlEEPS9_SG_NS0_5tupleIJPjSI_NS0_16reverse_iteratorISI_EEEEENSH_IJSG_SG_SG_EEES9_SI_JZNS1_25segmented_radix_sort_implINS0_14default_configELb1EPKhPhPKlPlN2at6native12_GLOBAL__N_18offset_tEEE10hipError_tPvRmT1_PNSt15iterator_traitsIS12_E10value_typeET2_T3_PNS13_IS18_E10value_typeET4_jRbjT5_S1E_jjP12ihipStream_tbEUljE_ZNSN_ISO_Lb1ESQ_SR_ST_SU_SY_EESZ_S10_S11_S12_S16_S17_S18_S1B_S1C_jS1D_jS1E_S1E_jjS1G_bEUljE0_EEESZ_S10_S11_S18_S1C_S1E_T6_T7_T9_mT8_S1G_bDpT10_ENKUlT_T0_E_clISt17integral_constantIbLb1EES1U_EEDaS1P_S1Q_EUlS1P_E_NS1_11comp_targetILNS1_3genE10ELNS1_11target_archE1200ELNS1_3gpuE4ELNS1_3repE0EEENS1_30default_config_static_selectorELNS0_4arch9wavefront6targetE0EEEvS12_,"axG",@progbits,_ZN7rocprim17ROCPRIM_400000_NS6detail17trampoline_kernelINS0_13select_configILj256ELj13ELNS0_17block_load_methodE3ELS4_3ELS4_3ELNS0_20block_scan_algorithmE0ELj4294967295EEENS1_25partition_config_selectorILNS1_17partition_subalgoE4EjNS0_10empty_typeEbEEZZNS1_14partition_implILS8_4ELb0ES6_15HIP_vector_typeIjLj2EENS0_17counting_iteratorIjlEEPS9_SG_NS0_5tupleIJPjSI_NS0_16reverse_iteratorISI_EEEEENSH_IJSG_SG_SG_EEES9_SI_JZNS1_25segmented_radix_sort_implINS0_14default_configELb1EPKhPhPKlPlN2at6native12_GLOBAL__N_18offset_tEEE10hipError_tPvRmT1_PNSt15iterator_traitsIS12_E10value_typeET2_T3_PNS13_IS18_E10value_typeET4_jRbjT5_S1E_jjP12ihipStream_tbEUljE_ZNSN_ISO_Lb1ESQ_SR_ST_SU_SY_EESZ_S10_S11_S12_S16_S17_S18_S1B_S1C_jS1D_jS1E_S1E_jjS1G_bEUljE0_EEESZ_S10_S11_S18_S1C_S1E_T6_T7_T9_mT8_S1G_bDpT10_ENKUlT_T0_E_clISt17integral_constantIbLb1EES1U_EEDaS1P_S1Q_EUlS1P_E_NS1_11comp_targetILNS1_3genE10ELNS1_11target_archE1200ELNS1_3gpuE4ELNS1_3repE0EEENS1_30default_config_static_selectorELNS0_4arch9wavefront6targetE0EEEvS12_,comdat
	.globl	_ZN7rocprim17ROCPRIM_400000_NS6detail17trampoline_kernelINS0_13select_configILj256ELj13ELNS0_17block_load_methodE3ELS4_3ELS4_3ELNS0_20block_scan_algorithmE0ELj4294967295EEENS1_25partition_config_selectorILNS1_17partition_subalgoE4EjNS0_10empty_typeEbEEZZNS1_14partition_implILS8_4ELb0ES6_15HIP_vector_typeIjLj2EENS0_17counting_iteratorIjlEEPS9_SG_NS0_5tupleIJPjSI_NS0_16reverse_iteratorISI_EEEEENSH_IJSG_SG_SG_EEES9_SI_JZNS1_25segmented_radix_sort_implINS0_14default_configELb1EPKhPhPKlPlN2at6native12_GLOBAL__N_18offset_tEEE10hipError_tPvRmT1_PNSt15iterator_traitsIS12_E10value_typeET2_T3_PNS13_IS18_E10value_typeET4_jRbjT5_S1E_jjP12ihipStream_tbEUljE_ZNSN_ISO_Lb1ESQ_SR_ST_SU_SY_EESZ_S10_S11_S12_S16_S17_S18_S1B_S1C_jS1D_jS1E_S1E_jjS1G_bEUljE0_EEESZ_S10_S11_S18_S1C_S1E_T6_T7_T9_mT8_S1G_bDpT10_ENKUlT_T0_E_clISt17integral_constantIbLb1EES1U_EEDaS1P_S1Q_EUlS1P_E_NS1_11comp_targetILNS1_3genE10ELNS1_11target_archE1200ELNS1_3gpuE4ELNS1_3repE0EEENS1_30default_config_static_selectorELNS0_4arch9wavefront6targetE0EEEvS12_ ; -- Begin function _ZN7rocprim17ROCPRIM_400000_NS6detail17trampoline_kernelINS0_13select_configILj256ELj13ELNS0_17block_load_methodE3ELS4_3ELS4_3ELNS0_20block_scan_algorithmE0ELj4294967295EEENS1_25partition_config_selectorILNS1_17partition_subalgoE4EjNS0_10empty_typeEbEEZZNS1_14partition_implILS8_4ELb0ES6_15HIP_vector_typeIjLj2EENS0_17counting_iteratorIjlEEPS9_SG_NS0_5tupleIJPjSI_NS0_16reverse_iteratorISI_EEEEENSH_IJSG_SG_SG_EEES9_SI_JZNS1_25segmented_radix_sort_implINS0_14default_configELb1EPKhPhPKlPlN2at6native12_GLOBAL__N_18offset_tEEE10hipError_tPvRmT1_PNSt15iterator_traitsIS12_E10value_typeET2_T3_PNS13_IS18_E10value_typeET4_jRbjT5_S1E_jjP12ihipStream_tbEUljE_ZNSN_ISO_Lb1ESQ_SR_ST_SU_SY_EESZ_S10_S11_S12_S16_S17_S18_S1B_S1C_jS1D_jS1E_S1E_jjS1G_bEUljE0_EEESZ_S10_S11_S18_S1C_S1E_T6_T7_T9_mT8_S1G_bDpT10_ENKUlT_T0_E_clISt17integral_constantIbLb1EES1U_EEDaS1P_S1Q_EUlS1P_E_NS1_11comp_targetILNS1_3genE10ELNS1_11target_archE1200ELNS1_3gpuE4ELNS1_3repE0EEENS1_30default_config_static_selectorELNS0_4arch9wavefront6targetE0EEEvS12_
	.p2align	8
	.type	_ZN7rocprim17ROCPRIM_400000_NS6detail17trampoline_kernelINS0_13select_configILj256ELj13ELNS0_17block_load_methodE3ELS4_3ELS4_3ELNS0_20block_scan_algorithmE0ELj4294967295EEENS1_25partition_config_selectorILNS1_17partition_subalgoE4EjNS0_10empty_typeEbEEZZNS1_14partition_implILS8_4ELb0ES6_15HIP_vector_typeIjLj2EENS0_17counting_iteratorIjlEEPS9_SG_NS0_5tupleIJPjSI_NS0_16reverse_iteratorISI_EEEEENSH_IJSG_SG_SG_EEES9_SI_JZNS1_25segmented_radix_sort_implINS0_14default_configELb1EPKhPhPKlPlN2at6native12_GLOBAL__N_18offset_tEEE10hipError_tPvRmT1_PNSt15iterator_traitsIS12_E10value_typeET2_T3_PNS13_IS18_E10value_typeET4_jRbjT5_S1E_jjP12ihipStream_tbEUljE_ZNSN_ISO_Lb1ESQ_SR_ST_SU_SY_EESZ_S10_S11_S12_S16_S17_S18_S1B_S1C_jS1D_jS1E_S1E_jjS1G_bEUljE0_EEESZ_S10_S11_S18_S1C_S1E_T6_T7_T9_mT8_S1G_bDpT10_ENKUlT_T0_E_clISt17integral_constantIbLb1EES1U_EEDaS1P_S1Q_EUlS1P_E_NS1_11comp_targetILNS1_3genE10ELNS1_11target_archE1200ELNS1_3gpuE4ELNS1_3repE0EEENS1_30default_config_static_selectorELNS0_4arch9wavefront6targetE0EEEvS12_,@function
_ZN7rocprim17ROCPRIM_400000_NS6detail17trampoline_kernelINS0_13select_configILj256ELj13ELNS0_17block_load_methodE3ELS4_3ELS4_3ELNS0_20block_scan_algorithmE0ELj4294967295EEENS1_25partition_config_selectorILNS1_17partition_subalgoE4EjNS0_10empty_typeEbEEZZNS1_14partition_implILS8_4ELb0ES6_15HIP_vector_typeIjLj2EENS0_17counting_iteratorIjlEEPS9_SG_NS0_5tupleIJPjSI_NS0_16reverse_iteratorISI_EEEEENSH_IJSG_SG_SG_EEES9_SI_JZNS1_25segmented_radix_sort_implINS0_14default_configELb1EPKhPhPKlPlN2at6native12_GLOBAL__N_18offset_tEEE10hipError_tPvRmT1_PNSt15iterator_traitsIS12_E10value_typeET2_T3_PNS13_IS18_E10value_typeET4_jRbjT5_S1E_jjP12ihipStream_tbEUljE_ZNSN_ISO_Lb1ESQ_SR_ST_SU_SY_EESZ_S10_S11_S12_S16_S17_S18_S1B_S1C_jS1D_jS1E_S1E_jjS1G_bEUljE0_EEESZ_S10_S11_S18_S1C_S1E_T6_T7_T9_mT8_S1G_bDpT10_ENKUlT_T0_E_clISt17integral_constantIbLb1EES1U_EEDaS1P_S1Q_EUlS1P_E_NS1_11comp_targetILNS1_3genE10ELNS1_11target_archE1200ELNS1_3gpuE4ELNS1_3repE0EEENS1_30default_config_static_selectorELNS0_4arch9wavefront6targetE0EEEvS12_: ; @_ZN7rocprim17ROCPRIM_400000_NS6detail17trampoline_kernelINS0_13select_configILj256ELj13ELNS0_17block_load_methodE3ELS4_3ELS4_3ELNS0_20block_scan_algorithmE0ELj4294967295EEENS1_25partition_config_selectorILNS1_17partition_subalgoE4EjNS0_10empty_typeEbEEZZNS1_14partition_implILS8_4ELb0ES6_15HIP_vector_typeIjLj2EENS0_17counting_iteratorIjlEEPS9_SG_NS0_5tupleIJPjSI_NS0_16reverse_iteratorISI_EEEEENSH_IJSG_SG_SG_EEES9_SI_JZNS1_25segmented_radix_sort_implINS0_14default_configELb1EPKhPhPKlPlN2at6native12_GLOBAL__N_18offset_tEEE10hipError_tPvRmT1_PNSt15iterator_traitsIS12_E10value_typeET2_T3_PNS13_IS18_E10value_typeET4_jRbjT5_S1E_jjP12ihipStream_tbEUljE_ZNSN_ISO_Lb1ESQ_SR_ST_SU_SY_EESZ_S10_S11_S12_S16_S17_S18_S1B_S1C_jS1D_jS1E_S1E_jjS1G_bEUljE0_EEESZ_S10_S11_S18_S1C_S1E_T6_T7_T9_mT8_S1G_bDpT10_ENKUlT_T0_E_clISt17integral_constantIbLb1EES1U_EEDaS1P_S1Q_EUlS1P_E_NS1_11comp_targetILNS1_3genE10ELNS1_11target_archE1200ELNS1_3gpuE4ELNS1_3repE0EEENS1_30default_config_static_selectorELNS0_4arch9wavefront6targetE0EEEvS12_
; %bb.0:
	.section	.rodata,"a",@progbits
	.p2align	6, 0x0
	.amdhsa_kernel _ZN7rocprim17ROCPRIM_400000_NS6detail17trampoline_kernelINS0_13select_configILj256ELj13ELNS0_17block_load_methodE3ELS4_3ELS4_3ELNS0_20block_scan_algorithmE0ELj4294967295EEENS1_25partition_config_selectorILNS1_17partition_subalgoE4EjNS0_10empty_typeEbEEZZNS1_14partition_implILS8_4ELb0ES6_15HIP_vector_typeIjLj2EENS0_17counting_iteratorIjlEEPS9_SG_NS0_5tupleIJPjSI_NS0_16reverse_iteratorISI_EEEEENSH_IJSG_SG_SG_EEES9_SI_JZNS1_25segmented_radix_sort_implINS0_14default_configELb1EPKhPhPKlPlN2at6native12_GLOBAL__N_18offset_tEEE10hipError_tPvRmT1_PNSt15iterator_traitsIS12_E10value_typeET2_T3_PNS13_IS18_E10value_typeET4_jRbjT5_S1E_jjP12ihipStream_tbEUljE_ZNSN_ISO_Lb1ESQ_SR_ST_SU_SY_EESZ_S10_S11_S12_S16_S17_S18_S1B_S1C_jS1D_jS1E_S1E_jjS1G_bEUljE0_EEESZ_S10_S11_S18_S1C_S1E_T6_T7_T9_mT8_S1G_bDpT10_ENKUlT_T0_E_clISt17integral_constantIbLb1EES1U_EEDaS1P_S1Q_EUlS1P_E_NS1_11comp_targetILNS1_3genE10ELNS1_11target_archE1200ELNS1_3gpuE4ELNS1_3repE0EEENS1_30default_config_static_selectorELNS0_4arch9wavefront6targetE0EEEvS12_
		.amdhsa_group_segment_fixed_size 0
		.amdhsa_private_segment_fixed_size 0
		.amdhsa_kernarg_size 184
		.amdhsa_user_sgpr_count 6
		.amdhsa_user_sgpr_private_segment_buffer 1
		.amdhsa_user_sgpr_dispatch_ptr 0
		.amdhsa_user_sgpr_queue_ptr 0
		.amdhsa_user_sgpr_kernarg_segment_ptr 1
		.amdhsa_user_sgpr_dispatch_id 0
		.amdhsa_user_sgpr_flat_scratch_init 0
		.amdhsa_user_sgpr_private_segment_size 0
		.amdhsa_wavefront_size32 1
		.amdhsa_uses_dynamic_stack 0
		.amdhsa_system_sgpr_private_segment_wavefront_offset 0
		.amdhsa_system_sgpr_workgroup_id_x 1
		.amdhsa_system_sgpr_workgroup_id_y 0
		.amdhsa_system_sgpr_workgroup_id_z 0
		.amdhsa_system_sgpr_workgroup_info 0
		.amdhsa_system_vgpr_workitem_id 0
		.amdhsa_next_free_vgpr 1
		.amdhsa_next_free_sgpr 1
		.amdhsa_reserve_vcc 0
		.amdhsa_reserve_flat_scratch 0
		.amdhsa_float_round_mode_32 0
		.amdhsa_float_round_mode_16_64 0
		.amdhsa_float_denorm_mode_32 3
		.amdhsa_float_denorm_mode_16_64 3
		.amdhsa_dx10_clamp 1
		.amdhsa_ieee_mode 1
		.amdhsa_fp16_overflow 0
		.amdhsa_workgroup_processor_mode 1
		.amdhsa_memory_ordered 1
		.amdhsa_forward_progress 1
		.amdhsa_shared_vgpr_count 0
		.amdhsa_exception_fp_ieee_invalid_op 0
		.amdhsa_exception_fp_denorm_src 0
		.amdhsa_exception_fp_ieee_div_zero 0
		.amdhsa_exception_fp_ieee_overflow 0
		.amdhsa_exception_fp_ieee_underflow 0
		.amdhsa_exception_fp_ieee_inexact 0
		.amdhsa_exception_int_div_zero 0
	.end_amdhsa_kernel
	.section	.text._ZN7rocprim17ROCPRIM_400000_NS6detail17trampoline_kernelINS0_13select_configILj256ELj13ELNS0_17block_load_methodE3ELS4_3ELS4_3ELNS0_20block_scan_algorithmE0ELj4294967295EEENS1_25partition_config_selectorILNS1_17partition_subalgoE4EjNS0_10empty_typeEbEEZZNS1_14partition_implILS8_4ELb0ES6_15HIP_vector_typeIjLj2EENS0_17counting_iteratorIjlEEPS9_SG_NS0_5tupleIJPjSI_NS0_16reverse_iteratorISI_EEEEENSH_IJSG_SG_SG_EEES9_SI_JZNS1_25segmented_radix_sort_implINS0_14default_configELb1EPKhPhPKlPlN2at6native12_GLOBAL__N_18offset_tEEE10hipError_tPvRmT1_PNSt15iterator_traitsIS12_E10value_typeET2_T3_PNS13_IS18_E10value_typeET4_jRbjT5_S1E_jjP12ihipStream_tbEUljE_ZNSN_ISO_Lb1ESQ_SR_ST_SU_SY_EESZ_S10_S11_S12_S16_S17_S18_S1B_S1C_jS1D_jS1E_S1E_jjS1G_bEUljE0_EEESZ_S10_S11_S18_S1C_S1E_T6_T7_T9_mT8_S1G_bDpT10_ENKUlT_T0_E_clISt17integral_constantIbLb1EES1U_EEDaS1P_S1Q_EUlS1P_E_NS1_11comp_targetILNS1_3genE10ELNS1_11target_archE1200ELNS1_3gpuE4ELNS1_3repE0EEENS1_30default_config_static_selectorELNS0_4arch9wavefront6targetE0EEEvS12_,"axG",@progbits,_ZN7rocprim17ROCPRIM_400000_NS6detail17trampoline_kernelINS0_13select_configILj256ELj13ELNS0_17block_load_methodE3ELS4_3ELS4_3ELNS0_20block_scan_algorithmE0ELj4294967295EEENS1_25partition_config_selectorILNS1_17partition_subalgoE4EjNS0_10empty_typeEbEEZZNS1_14partition_implILS8_4ELb0ES6_15HIP_vector_typeIjLj2EENS0_17counting_iteratorIjlEEPS9_SG_NS0_5tupleIJPjSI_NS0_16reverse_iteratorISI_EEEEENSH_IJSG_SG_SG_EEES9_SI_JZNS1_25segmented_radix_sort_implINS0_14default_configELb1EPKhPhPKlPlN2at6native12_GLOBAL__N_18offset_tEEE10hipError_tPvRmT1_PNSt15iterator_traitsIS12_E10value_typeET2_T3_PNS13_IS18_E10value_typeET4_jRbjT5_S1E_jjP12ihipStream_tbEUljE_ZNSN_ISO_Lb1ESQ_SR_ST_SU_SY_EESZ_S10_S11_S12_S16_S17_S18_S1B_S1C_jS1D_jS1E_S1E_jjS1G_bEUljE0_EEESZ_S10_S11_S18_S1C_S1E_T6_T7_T9_mT8_S1G_bDpT10_ENKUlT_T0_E_clISt17integral_constantIbLb1EES1U_EEDaS1P_S1Q_EUlS1P_E_NS1_11comp_targetILNS1_3genE10ELNS1_11target_archE1200ELNS1_3gpuE4ELNS1_3repE0EEENS1_30default_config_static_selectorELNS0_4arch9wavefront6targetE0EEEvS12_,comdat
.Lfunc_end26:
	.size	_ZN7rocprim17ROCPRIM_400000_NS6detail17trampoline_kernelINS0_13select_configILj256ELj13ELNS0_17block_load_methodE3ELS4_3ELS4_3ELNS0_20block_scan_algorithmE0ELj4294967295EEENS1_25partition_config_selectorILNS1_17partition_subalgoE4EjNS0_10empty_typeEbEEZZNS1_14partition_implILS8_4ELb0ES6_15HIP_vector_typeIjLj2EENS0_17counting_iteratorIjlEEPS9_SG_NS0_5tupleIJPjSI_NS0_16reverse_iteratorISI_EEEEENSH_IJSG_SG_SG_EEES9_SI_JZNS1_25segmented_radix_sort_implINS0_14default_configELb1EPKhPhPKlPlN2at6native12_GLOBAL__N_18offset_tEEE10hipError_tPvRmT1_PNSt15iterator_traitsIS12_E10value_typeET2_T3_PNS13_IS18_E10value_typeET4_jRbjT5_S1E_jjP12ihipStream_tbEUljE_ZNSN_ISO_Lb1ESQ_SR_ST_SU_SY_EESZ_S10_S11_S12_S16_S17_S18_S1B_S1C_jS1D_jS1E_S1E_jjS1G_bEUljE0_EEESZ_S10_S11_S18_S1C_S1E_T6_T7_T9_mT8_S1G_bDpT10_ENKUlT_T0_E_clISt17integral_constantIbLb1EES1U_EEDaS1P_S1Q_EUlS1P_E_NS1_11comp_targetILNS1_3genE10ELNS1_11target_archE1200ELNS1_3gpuE4ELNS1_3repE0EEENS1_30default_config_static_selectorELNS0_4arch9wavefront6targetE0EEEvS12_, .Lfunc_end26-_ZN7rocprim17ROCPRIM_400000_NS6detail17trampoline_kernelINS0_13select_configILj256ELj13ELNS0_17block_load_methodE3ELS4_3ELS4_3ELNS0_20block_scan_algorithmE0ELj4294967295EEENS1_25partition_config_selectorILNS1_17partition_subalgoE4EjNS0_10empty_typeEbEEZZNS1_14partition_implILS8_4ELb0ES6_15HIP_vector_typeIjLj2EENS0_17counting_iteratorIjlEEPS9_SG_NS0_5tupleIJPjSI_NS0_16reverse_iteratorISI_EEEEENSH_IJSG_SG_SG_EEES9_SI_JZNS1_25segmented_radix_sort_implINS0_14default_configELb1EPKhPhPKlPlN2at6native12_GLOBAL__N_18offset_tEEE10hipError_tPvRmT1_PNSt15iterator_traitsIS12_E10value_typeET2_T3_PNS13_IS18_E10value_typeET4_jRbjT5_S1E_jjP12ihipStream_tbEUljE_ZNSN_ISO_Lb1ESQ_SR_ST_SU_SY_EESZ_S10_S11_S12_S16_S17_S18_S1B_S1C_jS1D_jS1E_S1E_jjS1G_bEUljE0_EEESZ_S10_S11_S18_S1C_S1E_T6_T7_T9_mT8_S1G_bDpT10_ENKUlT_T0_E_clISt17integral_constantIbLb1EES1U_EEDaS1P_S1Q_EUlS1P_E_NS1_11comp_targetILNS1_3genE10ELNS1_11target_archE1200ELNS1_3gpuE4ELNS1_3repE0EEENS1_30default_config_static_selectorELNS0_4arch9wavefront6targetE0EEEvS12_
                                        ; -- End function
	.set _ZN7rocprim17ROCPRIM_400000_NS6detail17trampoline_kernelINS0_13select_configILj256ELj13ELNS0_17block_load_methodE3ELS4_3ELS4_3ELNS0_20block_scan_algorithmE0ELj4294967295EEENS1_25partition_config_selectorILNS1_17partition_subalgoE4EjNS0_10empty_typeEbEEZZNS1_14partition_implILS8_4ELb0ES6_15HIP_vector_typeIjLj2EENS0_17counting_iteratorIjlEEPS9_SG_NS0_5tupleIJPjSI_NS0_16reverse_iteratorISI_EEEEENSH_IJSG_SG_SG_EEES9_SI_JZNS1_25segmented_radix_sort_implINS0_14default_configELb1EPKhPhPKlPlN2at6native12_GLOBAL__N_18offset_tEEE10hipError_tPvRmT1_PNSt15iterator_traitsIS12_E10value_typeET2_T3_PNS13_IS18_E10value_typeET4_jRbjT5_S1E_jjP12ihipStream_tbEUljE_ZNSN_ISO_Lb1ESQ_SR_ST_SU_SY_EESZ_S10_S11_S12_S16_S17_S18_S1B_S1C_jS1D_jS1E_S1E_jjS1G_bEUljE0_EEESZ_S10_S11_S18_S1C_S1E_T6_T7_T9_mT8_S1G_bDpT10_ENKUlT_T0_E_clISt17integral_constantIbLb1EES1U_EEDaS1P_S1Q_EUlS1P_E_NS1_11comp_targetILNS1_3genE10ELNS1_11target_archE1200ELNS1_3gpuE4ELNS1_3repE0EEENS1_30default_config_static_selectorELNS0_4arch9wavefront6targetE0EEEvS12_.num_vgpr, 0
	.set _ZN7rocprim17ROCPRIM_400000_NS6detail17trampoline_kernelINS0_13select_configILj256ELj13ELNS0_17block_load_methodE3ELS4_3ELS4_3ELNS0_20block_scan_algorithmE0ELj4294967295EEENS1_25partition_config_selectorILNS1_17partition_subalgoE4EjNS0_10empty_typeEbEEZZNS1_14partition_implILS8_4ELb0ES6_15HIP_vector_typeIjLj2EENS0_17counting_iteratorIjlEEPS9_SG_NS0_5tupleIJPjSI_NS0_16reverse_iteratorISI_EEEEENSH_IJSG_SG_SG_EEES9_SI_JZNS1_25segmented_radix_sort_implINS0_14default_configELb1EPKhPhPKlPlN2at6native12_GLOBAL__N_18offset_tEEE10hipError_tPvRmT1_PNSt15iterator_traitsIS12_E10value_typeET2_T3_PNS13_IS18_E10value_typeET4_jRbjT5_S1E_jjP12ihipStream_tbEUljE_ZNSN_ISO_Lb1ESQ_SR_ST_SU_SY_EESZ_S10_S11_S12_S16_S17_S18_S1B_S1C_jS1D_jS1E_S1E_jjS1G_bEUljE0_EEESZ_S10_S11_S18_S1C_S1E_T6_T7_T9_mT8_S1G_bDpT10_ENKUlT_T0_E_clISt17integral_constantIbLb1EES1U_EEDaS1P_S1Q_EUlS1P_E_NS1_11comp_targetILNS1_3genE10ELNS1_11target_archE1200ELNS1_3gpuE4ELNS1_3repE0EEENS1_30default_config_static_selectorELNS0_4arch9wavefront6targetE0EEEvS12_.num_agpr, 0
	.set _ZN7rocprim17ROCPRIM_400000_NS6detail17trampoline_kernelINS0_13select_configILj256ELj13ELNS0_17block_load_methodE3ELS4_3ELS4_3ELNS0_20block_scan_algorithmE0ELj4294967295EEENS1_25partition_config_selectorILNS1_17partition_subalgoE4EjNS0_10empty_typeEbEEZZNS1_14partition_implILS8_4ELb0ES6_15HIP_vector_typeIjLj2EENS0_17counting_iteratorIjlEEPS9_SG_NS0_5tupleIJPjSI_NS0_16reverse_iteratorISI_EEEEENSH_IJSG_SG_SG_EEES9_SI_JZNS1_25segmented_radix_sort_implINS0_14default_configELb1EPKhPhPKlPlN2at6native12_GLOBAL__N_18offset_tEEE10hipError_tPvRmT1_PNSt15iterator_traitsIS12_E10value_typeET2_T3_PNS13_IS18_E10value_typeET4_jRbjT5_S1E_jjP12ihipStream_tbEUljE_ZNSN_ISO_Lb1ESQ_SR_ST_SU_SY_EESZ_S10_S11_S12_S16_S17_S18_S1B_S1C_jS1D_jS1E_S1E_jjS1G_bEUljE0_EEESZ_S10_S11_S18_S1C_S1E_T6_T7_T9_mT8_S1G_bDpT10_ENKUlT_T0_E_clISt17integral_constantIbLb1EES1U_EEDaS1P_S1Q_EUlS1P_E_NS1_11comp_targetILNS1_3genE10ELNS1_11target_archE1200ELNS1_3gpuE4ELNS1_3repE0EEENS1_30default_config_static_selectorELNS0_4arch9wavefront6targetE0EEEvS12_.numbered_sgpr, 0
	.set _ZN7rocprim17ROCPRIM_400000_NS6detail17trampoline_kernelINS0_13select_configILj256ELj13ELNS0_17block_load_methodE3ELS4_3ELS4_3ELNS0_20block_scan_algorithmE0ELj4294967295EEENS1_25partition_config_selectorILNS1_17partition_subalgoE4EjNS0_10empty_typeEbEEZZNS1_14partition_implILS8_4ELb0ES6_15HIP_vector_typeIjLj2EENS0_17counting_iteratorIjlEEPS9_SG_NS0_5tupleIJPjSI_NS0_16reverse_iteratorISI_EEEEENSH_IJSG_SG_SG_EEES9_SI_JZNS1_25segmented_radix_sort_implINS0_14default_configELb1EPKhPhPKlPlN2at6native12_GLOBAL__N_18offset_tEEE10hipError_tPvRmT1_PNSt15iterator_traitsIS12_E10value_typeET2_T3_PNS13_IS18_E10value_typeET4_jRbjT5_S1E_jjP12ihipStream_tbEUljE_ZNSN_ISO_Lb1ESQ_SR_ST_SU_SY_EESZ_S10_S11_S12_S16_S17_S18_S1B_S1C_jS1D_jS1E_S1E_jjS1G_bEUljE0_EEESZ_S10_S11_S18_S1C_S1E_T6_T7_T9_mT8_S1G_bDpT10_ENKUlT_T0_E_clISt17integral_constantIbLb1EES1U_EEDaS1P_S1Q_EUlS1P_E_NS1_11comp_targetILNS1_3genE10ELNS1_11target_archE1200ELNS1_3gpuE4ELNS1_3repE0EEENS1_30default_config_static_selectorELNS0_4arch9wavefront6targetE0EEEvS12_.num_named_barrier, 0
	.set _ZN7rocprim17ROCPRIM_400000_NS6detail17trampoline_kernelINS0_13select_configILj256ELj13ELNS0_17block_load_methodE3ELS4_3ELS4_3ELNS0_20block_scan_algorithmE0ELj4294967295EEENS1_25partition_config_selectorILNS1_17partition_subalgoE4EjNS0_10empty_typeEbEEZZNS1_14partition_implILS8_4ELb0ES6_15HIP_vector_typeIjLj2EENS0_17counting_iteratorIjlEEPS9_SG_NS0_5tupleIJPjSI_NS0_16reverse_iteratorISI_EEEEENSH_IJSG_SG_SG_EEES9_SI_JZNS1_25segmented_radix_sort_implINS0_14default_configELb1EPKhPhPKlPlN2at6native12_GLOBAL__N_18offset_tEEE10hipError_tPvRmT1_PNSt15iterator_traitsIS12_E10value_typeET2_T3_PNS13_IS18_E10value_typeET4_jRbjT5_S1E_jjP12ihipStream_tbEUljE_ZNSN_ISO_Lb1ESQ_SR_ST_SU_SY_EESZ_S10_S11_S12_S16_S17_S18_S1B_S1C_jS1D_jS1E_S1E_jjS1G_bEUljE0_EEESZ_S10_S11_S18_S1C_S1E_T6_T7_T9_mT8_S1G_bDpT10_ENKUlT_T0_E_clISt17integral_constantIbLb1EES1U_EEDaS1P_S1Q_EUlS1P_E_NS1_11comp_targetILNS1_3genE10ELNS1_11target_archE1200ELNS1_3gpuE4ELNS1_3repE0EEENS1_30default_config_static_selectorELNS0_4arch9wavefront6targetE0EEEvS12_.private_seg_size, 0
	.set _ZN7rocprim17ROCPRIM_400000_NS6detail17trampoline_kernelINS0_13select_configILj256ELj13ELNS0_17block_load_methodE3ELS4_3ELS4_3ELNS0_20block_scan_algorithmE0ELj4294967295EEENS1_25partition_config_selectorILNS1_17partition_subalgoE4EjNS0_10empty_typeEbEEZZNS1_14partition_implILS8_4ELb0ES6_15HIP_vector_typeIjLj2EENS0_17counting_iteratorIjlEEPS9_SG_NS0_5tupleIJPjSI_NS0_16reverse_iteratorISI_EEEEENSH_IJSG_SG_SG_EEES9_SI_JZNS1_25segmented_radix_sort_implINS0_14default_configELb1EPKhPhPKlPlN2at6native12_GLOBAL__N_18offset_tEEE10hipError_tPvRmT1_PNSt15iterator_traitsIS12_E10value_typeET2_T3_PNS13_IS18_E10value_typeET4_jRbjT5_S1E_jjP12ihipStream_tbEUljE_ZNSN_ISO_Lb1ESQ_SR_ST_SU_SY_EESZ_S10_S11_S12_S16_S17_S18_S1B_S1C_jS1D_jS1E_S1E_jjS1G_bEUljE0_EEESZ_S10_S11_S18_S1C_S1E_T6_T7_T9_mT8_S1G_bDpT10_ENKUlT_T0_E_clISt17integral_constantIbLb1EES1U_EEDaS1P_S1Q_EUlS1P_E_NS1_11comp_targetILNS1_3genE10ELNS1_11target_archE1200ELNS1_3gpuE4ELNS1_3repE0EEENS1_30default_config_static_selectorELNS0_4arch9wavefront6targetE0EEEvS12_.uses_vcc, 0
	.set _ZN7rocprim17ROCPRIM_400000_NS6detail17trampoline_kernelINS0_13select_configILj256ELj13ELNS0_17block_load_methodE3ELS4_3ELS4_3ELNS0_20block_scan_algorithmE0ELj4294967295EEENS1_25partition_config_selectorILNS1_17partition_subalgoE4EjNS0_10empty_typeEbEEZZNS1_14partition_implILS8_4ELb0ES6_15HIP_vector_typeIjLj2EENS0_17counting_iteratorIjlEEPS9_SG_NS0_5tupleIJPjSI_NS0_16reverse_iteratorISI_EEEEENSH_IJSG_SG_SG_EEES9_SI_JZNS1_25segmented_radix_sort_implINS0_14default_configELb1EPKhPhPKlPlN2at6native12_GLOBAL__N_18offset_tEEE10hipError_tPvRmT1_PNSt15iterator_traitsIS12_E10value_typeET2_T3_PNS13_IS18_E10value_typeET4_jRbjT5_S1E_jjP12ihipStream_tbEUljE_ZNSN_ISO_Lb1ESQ_SR_ST_SU_SY_EESZ_S10_S11_S12_S16_S17_S18_S1B_S1C_jS1D_jS1E_S1E_jjS1G_bEUljE0_EEESZ_S10_S11_S18_S1C_S1E_T6_T7_T9_mT8_S1G_bDpT10_ENKUlT_T0_E_clISt17integral_constantIbLb1EES1U_EEDaS1P_S1Q_EUlS1P_E_NS1_11comp_targetILNS1_3genE10ELNS1_11target_archE1200ELNS1_3gpuE4ELNS1_3repE0EEENS1_30default_config_static_selectorELNS0_4arch9wavefront6targetE0EEEvS12_.uses_flat_scratch, 0
	.set _ZN7rocprim17ROCPRIM_400000_NS6detail17trampoline_kernelINS0_13select_configILj256ELj13ELNS0_17block_load_methodE3ELS4_3ELS4_3ELNS0_20block_scan_algorithmE0ELj4294967295EEENS1_25partition_config_selectorILNS1_17partition_subalgoE4EjNS0_10empty_typeEbEEZZNS1_14partition_implILS8_4ELb0ES6_15HIP_vector_typeIjLj2EENS0_17counting_iteratorIjlEEPS9_SG_NS0_5tupleIJPjSI_NS0_16reverse_iteratorISI_EEEEENSH_IJSG_SG_SG_EEES9_SI_JZNS1_25segmented_radix_sort_implINS0_14default_configELb1EPKhPhPKlPlN2at6native12_GLOBAL__N_18offset_tEEE10hipError_tPvRmT1_PNSt15iterator_traitsIS12_E10value_typeET2_T3_PNS13_IS18_E10value_typeET4_jRbjT5_S1E_jjP12ihipStream_tbEUljE_ZNSN_ISO_Lb1ESQ_SR_ST_SU_SY_EESZ_S10_S11_S12_S16_S17_S18_S1B_S1C_jS1D_jS1E_S1E_jjS1G_bEUljE0_EEESZ_S10_S11_S18_S1C_S1E_T6_T7_T9_mT8_S1G_bDpT10_ENKUlT_T0_E_clISt17integral_constantIbLb1EES1U_EEDaS1P_S1Q_EUlS1P_E_NS1_11comp_targetILNS1_3genE10ELNS1_11target_archE1200ELNS1_3gpuE4ELNS1_3repE0EEENS1_30default_config_static_selectorELNS0_4arch9wavefront6targetE0EEEvS12_.has_dyn_sized_stack, 0
	.set _ZN7rocprim17ROCPRIM_400000_NS6detail17trampoline_kernelINS0_13select_configILj256ELj13ELNS0_17block_load_methodE3ELS4_3ELS4_3ELNS0_20block_scan_algorithmE0ELj4294967295EEENS1_25partition_config_selectorILNS1_17partition_subalgoE4EjNS0_10empty_typeEbEEZZNS1_14partition_implILS8_4ELb0ES6_15HIP_vector_typeIjLj2EENS0_17counting_iteratorIjlEEPS9_SG_NS0_5tupleIJPjSI_NS0_16reverse_iteratorISI_EEEEENSH_IJSG_SG_SG_EEES9_SI_JZNS1_25segmented_radix_sort_implINS0_14default_configELb1EPKhPhPKlPlN2at6native12_GLOBAL__N_18offset_tEEE10hipError_tPvRmT1_PNSt15iterator_traitsIS12_E10value_typeET2_T3_PNS13_IS18_E10value_typeET4_jRbjT5_S1E_jjP12ihipStream_tbEUljE_ZNSN_ISO_Lb1ESQ_SR_ST_SU_SY_EESZ_S10_S11_S12_S16_S17_S18_S1B_S1C_jS1D_jS1E_S1E_jjS1G_bEUljE0_EEESZ_S10_S11_S18_S1C_S1E_T6_T7_T9_mT8_S1G_bDpT10_ENKUlT_T0_E_clISt17integral_constantIbLb1EES1U_EEDaS1P_S1Q_EUlS1P_E_NS1_11comp_targetILNS1_3genE10ELNS1_11target_archE1200ELNS1_3gpuE4ELNS1_3repE0EEENS1_30default_config_static_selectorELNS0_4arch9wavefront6targetE0EEEvS12_.has_recursion, 0
	.set _ZN7rocprim17ROCPRIM_400000_NS6detail17trampoline_kernelINS0_13select_configILj256ELj13ELNS0_17block_load_methodE3ELS4_3ELS4_3ELNS0_20block_scan_algorithmE0ELj4294967295EEENS1_25partition_config_selectorILNS1_17partition_subalgoE4EjNS0_10empty_typeEbEEZZNS1_14partition_implILS8_4ELb0ES6_15HIP_vector_typeIjLj2EENS0_17counting_iteratorIjlEEPS9_SG_NS0_5tupleIJPjSI_NS0_16reverse_iteratorISI_EEEEENSH_IJSG_SG_SG_EEES9_SI_JZNS1_25segmented_radix_sort_implINS0_14default_configELb1EPKhPhPKlPlN2at6native12_GLOBAL__N_18offset_tEEE10hipError_tPvRmT1_PNSt15iterator_traitsIS12_E10value_typeET2_T3_PNS13_IS18_E10value_typeET4_jRbjT5_S1E_jjP12ihipStream_tbEUljE_ZNSN_ISO_Lb1ESQ_SR_ST_SU_SY_EESZ_S10_S11_S12_S16_S17_S18_S1B_S1C_jS1D_jS1E_S1E_jjS1G_bEUljE0_EEESZ_S10_S11_S18_S1C_S1E_T6_T7_T9_mT8_S1G_bDpT10_ENKUlT_T0_E_clISt17integral_constantIbLb1EES1U_EEDaS1P_S1Q_EUlS1P_E_NS1_11comp_targetILNS1_3genE10ELNS1_11target_archE1200ELNS1_3gpuE4ELNS1_3repE0EEENS1_30default_config_static_selectorELNS0_4arch9wavefront6targetE0EEEvS12_.has_indirect_call, 0
	.section	.AMDGPU.csdata,"",@progbits
; Kernel info:
; codeLenInByte = 0
; TotalNumSgprs: 0
; NumVgprs: 0
; ScratchSize: 0
; MemoryBound: 0
; FloatMode: 240
; IeeeMode: 1
; LDSByteSize: 0 bytes/workgroup (compile time only)
; SGPRBlocks: 0
; VGPRBlocks: 0
; NumSGPRsForWavesPerEU: 1
; NumVGPRsForWavesPerEU: 1
; Occupancy: 16
; WaveLimiterHint : 0
; COMPUTE_PGM_RSRC2:SCRATCH_EN: 0
; COMPUTE_PGM_RSRC2:USER_SGPR: 6
; COMPUTE_PGM_RSRC2:TRAP_HANDLER: 0
; COMPUTE_PGM_RSRC2:TGID_X_EN: 1
; COMPUTE_PGM_RSRC2:TGID_Y_EN: 0
; COMPUTE_PGM_RSRC2:TGID_Z_EN: 0
; COMPUTE_PGM_RSRC2:TIDIG_COMP_CNT: 0
	.section	.text._ZN7rocprim17ROCPRIM_400000_NS6detail17trampoline_kernelINS0_13select_configILj256ELj13ELNS0_17block_load_methodE3ELS4_3ELS4_3ELNS0_20block_scan_algorithmE0ELj4294967295EEENS1_25partition_config_selectorILNS1_17partition_subalgoE4EjNS0_10empty_typeEbEEZZNS1_14partition_implILS8_4ELb0ES6_15HIP_vector_typeIjLj2EENS0_17counting_iteratorIjlEEPS9_SG_NS0_5tupleIJPjSI_NS0_16reverse_iteratorISI_EEEEENSH_IJSG_SG_SG_EEES9_SI_JZNS1_25segmented_radix_sort_implINS0_14default_configELb1EPKhPhPKlPlN2at6native12_GLOBAL__N_18offset_tEEE10hipError_tPvRmT1_PNSt15iterator_traitsIS12_E10value_typeET2_T3_PNS13_IS18_E10value_typeET4_jRbjT5_S1E_jjP12ihipStream_tbEUljE_ZNSN_ISO_Lb1ESQ_SR_ST_SU_SY_EESZ_S10_S11_S12_S16_S17_S18_S1B_S1C_jS1D_jS1E_S1E_jjS1G_bEUljE0_EEESZ_S10_S11_S18_S1C_S1E_T6_T7_T9_mT8_S1G_bDpT10_ENKUlT_T0_E_clISt17integral_constantIbLb1EES1U_EEDaS1P_S1Q_EUlS1P_E_NS1_11comp_targetILNS1_3genE9ELNS1_11target_archE1100ELNS1_3gpuE3ELNS1_3repE0EEENS1_30default_config_static_selectorELNS0_4arch9wavefront6targetE0EEEvS12_,"axG",@progbits,_ZN7rocprim17ROCPRIM_400000_NS6detail17trampoline_kernelINS0_13select_configILj256ELj13ELNS0_17block_load_methodE3ELS4_3ELS4_3ELNS0_20block_scan_algorithmE0ELj4294967295EEENS1_25partition_config_selectorILNS1_17partition_subalgoE4EjNS0_10empty_typeEbEEZZNS1_14partition_implILS8_4ELb0ES6_15HIP_vector_typeIjLj2EENS0_17counting_iteratorIjlEEPS9_SG_NS0_5tupleIJPjSI_NS0_16reverse_iteratorISI_EEEEENSH_IJSG_SG_SG_EEES9_SI_JZNS1_25segmented_radix_sort_implINS0_14default_configELb1EPKhPhPKlPlN2at6native12_GLOBAL__N_18offset_tEEE10hipError_tPvRmT1_PNSt15iterator_traitsIS12_E10value_typeET2_T3_PNS13_IS18_E10value_typeET4_jRbjT5_S1E_jjP12ihipStream_tbEUljE_ZNSN_ISO_Lb1ESQ_SR_ST_SU_SY_EESZ_S10_S11_S12_S16_S17_S18_S1B_S1C_jS1D_jS1E_S1E_jjS1G_bEUljE0_EEESZ_S10_S11_S18_S1C_S1E_T6_T7_T9_mT8_S1G_bDpT10_ENKUlT_T0_E_clISt17integral_constantIbLb1EES1U_EEDaS1P_S1Q_EUlS1P_E_NS1_11comp_targetILNS1_3genE9ELNS1_11target_archE1100ELNS1_3gpuE3ELNS1_3repE0EEENS1_30default_config_static_selectorELNS0_4arch9wavefront6targetE0EEEvS12_,comdat
	.globl	_ZN7rocprim17ROCPRIM_400000_NS6detail17trampoline_kernelINS0_13select_configILj256ELj13ELNS0_17block_load_methodE3ELS4_3ELS4_3ELNS0_20block_scan_algorithmE0ELj4294967295EEENS1_25partition_config_selectorILNS1_17partition_subalgoE4EjNS0_10empty_typeEbEEZZNS1_14partition_implILS8_4ELb0ES6_15HIP_vector_typeIjLj2EENS0_17counting_iteratorIjlEEPS9_SG_NS0_5tupleIJPjSI_NS0_16reverse_iteratorISI_EEEEENSH_IJSG_SG_SG_EEES9_SI_JZNS1_25segmented_radix_sort_implINS0_14default_configELb1EPKhPhPKlPlN2at6native12_GLOBAL__N_18offset_tEEE10hipError_tPvRmT1_PNSt15iterator_traitsIS12_E10value_typeET2_T3_PNS13_IS18_E10value_typeET4_jRbjT5_S1E_jjP12ihipStream_tbEUljE_ZNSN_ISO_Lb1ESQ_SR_ST_SU_SY_EESZ_S10_S11_S12_S16_S17_S18_S1B_S1C_jS1D_jS1E_S1E_jjS1G_bEUljE0_EEESZ_S10_S11_S18_S1C_S1E_T6_T7_T9_mT8_S1G_bDpT10_ENKUlT_T0_E_clISt17integral_constantIbLb1EES1U_EEDaS1P_S1Q_EUlS1P_E_NS1_11comp_targetILNS1_3genE9ELNS1_11target_archE1100ELNS1_3gpuE3ELNS1_3repE0EEENS1_30default_config_static_selectorELNS0_4arch9wavefront6targetE0EEEvS12_ ; -- Begin function _ZN7rocprim17ROCPRIM_400000_NS6detail17trampoline_kernelINS0_13select_configILj256ELj13ELNS0_17block_load_methodE3ELS4_3ELS4_3ELNS0_20block_scan_algorithmE0ELj4294967295EEENS1_25partition_config_selectorILNS1_17partition_subalgoE4EjNS0_10empty_typeEbEEZZNS1_14partition_implILS8_4ELb0ES6_15HIP_vector_typeIjLj2EENS0_17counting_iteratorIjlEEPS9_SG_NS0_5tupleIJPjSI_NS0_16reverse_iteratorISI_EEEEENSH_IJSG_SG_SG_EEES9_SI_JZNS1_25segmented_radix_sort_implINS0_14default_configELb1EPKhPhPKlPlN2at6native12_GLOBAL__N_18offset_tEEE10hipError_tPvRmT1_PNSt15iterator_traitsIS12_E10value_typeET2_T3_PNS13_IS18_E10value_typeET4_jRbjT5_S1E_jjP12ihipStream_tbEUljE_ZNSN_ISO_Lb1ESQ_SR_ST_SU_SY_EESZ_S10_S11_S12_S16_S17_S18_S1B_S1C_jS1D_jS1E_S1E_jjS1G_bEUljE0_EEESZ_S10_S11_S18_S1C_S1E_T6_T7_T9_mT8_S1G_bDpT10_ENKUlT_T0_E_clISt17integral_constantIbLb1EES1U_EEDaS1P_S1Q_EUlS1P_E_NS1_11comp_targetILNS1_3genE9ELNS1_11target_archE1100ELNS1_3gpuE3ELNS1_3repE0EEENS1_30default_config_static_selectorELNS0_4arch9wavefront6targetE0EEEvS12_
	.p2align	8
	.type	_ZN7rocprim17ROCPRIM_400000_NS6detail17trampoline_kernelINS0_13select_configILj256ELj13ELNS0_17block_load_methodE3ELS4_3ELS4_3ELNS0_20block_scan_algorithmE0ELj4294967295EEENS1_25partition_config_selectorILNS1_17partition_subalgoE4EjNS0_10empty_typeEbEEZZNS1_14partition_implILS8_4ELb0ES6_15HIP_vector_typeIjLj2EENS0_17counting_iteratorIjlEEPS9_SG_NS0_5tupleIJPjSI_NS0_16reverse_iteratorISI_EEEEENSH_IJSG_SG_SG_EEES9_SI_JZNS1_25segmented_radix_sort_implINS0_14default_configELb1EPKhPhPKlPlN2at6native12_GLOBAL__N_18offset_tEEE10hipError_tPvRmT1_PNSt15iterator_traitsIS12_E10value_typeET2_T3_PNS13_IS18_E10value_typeET4_jRbjT5_S1E_jjP12ihipStream_tbEUljE_ZNSN_ISO_Lb1ESQ_SR_ST_SU_SY_EESZ_S10_S11_S12_S16_S17_S18_S1B_S1C_jS1D_jS1E_S1E_jjS1G_bEUljE0_EEESZ_S10_S11_S18_S1C_S1E_T6_T7_T9_mT8_S1G_bDpT10_ENKUlT_T0_E_clISt17integral_constantIbLb1EES1U_EEDaS1P_S1Q_EUlS1P_E_NS1_11comp_targetILNS1_3genE9ELNS1_11target_archE1100ELNS1_3gpuE3ELNS1_3repE0EEENS1_30default_config_static_selectorELNS0_4arch9wavefront6targetE0EEEvS12_,@function
_ZN7rocprim17ROCPRIM_400000_NS6detail17trampoline_kernelINS0_13select_configILj256ELj13ELNS0_17block_load_methodE3ELS4_3ELS4_3ELNS0_20block_scan_algorithmE0ELj4294967295EEENS1_25partition_config_selectorILNS1_17partition_subalgoE4EjNS0_10empty_typeEbEEZZNS1_14partition_implILS8_4ELb0ES6_15HIP_vector_typeIjLj2EENS0_17counting_iteratorIjlEEPS9_SG_NS0_5tupleIJPjSI_NS0_16reverse_iteratorISI_EEEEENSH_IJSG_SG_SG_EEES9_SI_JZNS1_25segmented_radix_sort_implINS0_14default_configELb1EPKhPhPKlPlN2at6native12_GLOBAL__N_18offset_tEEE10hipError_tPvRmT1_PNSt15iterator_traitsIS12_E10value_typeET2_T3_PNS13_IS18_E10value_typeET4_jRbjT5_S1E_jjP12ihipStream_tbEUljE_ZNSN_ISO_Lb1ESQ_SR_ST_SU_SY_EESZ_S10_S11_S12_S16_S17_S18_S1B_S1C_jS1D_jS1E_S1E_jjS1G_bEUljE0_EEESZ_S10_S11_S18_S1C_S1E_T6_T7_T9_mT8_S1G_bDpT10_ENKUlT_T0_E_clISt17integral_constantIbLb1EES1U_EEDaS1P_S1Q_EUlS1P_E_NS1_11comp_targetILNS1_3genE9ELNS1_11target_archE1100ELNS1_3gpuE3ELNS1_3repE0EEENS1_30default_config_static_selectorELNS0_4arch9wavefront6targetE0EEEvS12_: ; @_ZN7rocprim17ROCPRIM_400000_NS6detail17trampoline_kernelINS0_13select_configILj256ELj13ELNS0_17block_load_methodE3ELS4_3ELS4_3ELNS0_20block_scan_algorithmE0ELj4294967295EEENS1_25partition_config_selectorILNS1_17partition_subalgoE4EjNS0_10empty_typeEbEEZZNS1_14partition_implILS8_4ELb0ES6_15HIP_vector_typeIjLj2EENS0_17counting_iteratorIjlEEPS9_SG_NS0_5tupleIJPjSI_NS0_16reverse_iteratorISI_EEEEENSH_IJSG_SG_SG_EEES9_SI_JZNS1_25segmented_radix_sort_implINS0_14default_configELb1EPKhPhPKlPlN2at6native12_GLOBAL__N_18offset_tEEE10hipError_tPvRmT1_PNSt15iterator_traitsIS12_E10value_typeET2_T3_PNS13_IS18_E10value_typeET4_jRbjT5_S1E_jjP12ihipStream_tbEUljE_ZNSN_ISO_Lb1ESQ_SR_ST_SU_SY_EESZ_S10_S11_S12_S16_S17_S18_S1B_S1C_jS1D_jS1E_S1E_jjS1G_bEUljE0_EEESZ_S10_S11_S18_S1C_S1E_T6_T7_T9_mT8_S1G_bDpT10_ENKUlT_T0_E_clISt17integral_constantIbLb1EES1U_EEDaS1P_S1Q_EUlS1P_E_NS1_11comp_targetILNS1_3genE9ELNS1_11target_archE1100ELNS1_3gpuE3ELNS1_3repE0EEENS1_30default_config_static_selectorELNS0_4arch9wavefront6targetE0EEEvS12_
; %bb.0:
	.section	.rodata,"a",@progbits
	.p2align	6, 0x0
	.amdhsa_kernel _ZN7rocprim17ROCPRIM_400000_NS6detail17trampoline_kernelINS0_13select_configILj256ELj13ELNS0_17block_load_methodE3ELS4_3ELS4_3ELNS0_20block_scan_algorithmE0ELj4294967295EEENS1_25partition_config_selectorILNS1_17partition_subalgoE4EjNS0_10empty_typeEbEEZZNS1_14partition_implILS8_4ELb0ES6_15HIP_vector_typeIjLj2EENS0_17counting_iteratorIjlEEPS9_SG_NS0_5tupleIJPjSI_NS0_16reverse_iteratorISI_EEEEENSH_IJSG_SG_SG_EEES9_SI_JZNS1_25segmented_radix_sort_implINS0_14default_configELb1EPKhPhPKlPlN2at6native12_GLOBAL__N_18offset_tEEE10hipError_tPvRmT1_PNSt15iterator_traitsIS12_E10value_typeET2_T3_PNS13_IS18_E10value_typeET4_jRbjT5_S1E_jjP12ihipStream_tbEUljE_ZNSN_ISO_Lb1ESQ_SR_ST_SU_SY_EESZ_S10_S11_S12_S16_S17_S18_S1B_S1C_jS1D_jS1E_S1E_jjS1G_bEUljE0_EEESZ_S10_S11_S18_S1C_S1E_T6_T7_T9_mT8_S1G_bDpT10_ENKUlT_T0_E_clISt17integral_constantIbLb1EES1U_EEDaS1P_S1Q_EUlS1P_E_NS1_11comp_targetILNS1_3genE9ELNS1_11target_archE1100ELNS1_3gpuE3ELNS1_3repE0EEENS1_30default_config_static_selectorELNS0_4arch9wavefront6targetE0EEEvS12_
		.amdhsa_group_segment_fixed_size 0
		.amdhsa_private_segment_fixed_size 0
		.amdhsa_kernarg_size 184
		.amdhsa_user_sgpr_count 6
		.amdhsa_user_sgpr_private_segment_buffer 1
		.amdhsa_user_sgpr_dispatch_ptr 0
		.amdhsa_user_sgpr_queue_ptr 0
		.amdhsa_user_sgpr_kernarg_segment_ptr 1
		.amdhsa_user_sgpr_dispatch_id 0
		.amdhsa_user_sgpr_flat_scratch_init 0
		.amdhsa_user_sgpr_private_segment_size 0
		.amdhsa_wavefront_size32 1
		.amdhsa_uses_dynamic_stack 0
		.amdhsa_system_sgpr_private_segment_wavefront_offset 0
		.amdhsa_system_sgpr_workgroup_id_x 1
		.amdhsa_system_sgpr_workgroup_id_y 0
		.amdhsa_system_sgpr_workgroup_id_z 0
		.amdhsa_system_sgpr_workgroup_info 0
		.amdhsa_system_vgpr_workitem_id 0
		.amdhsa_next_free_vgpr 1
		.amdhsa_next_free_sgpr 1
		.amdhsa_reserve_vcc 0
		.amdhsa_reserve_flat_scratch 0
		.amdhsa_float_round_mode_32 0
		.amdhsa_float_round_mode_16_64 0
		.amdhsa_float_denorm_mode_32 3
		.amdhsa_float_denorm_mode_16_64 3
		.amdhsa_dx10_clamp 1
		.amdhsa_ieee_mode 1
		.amdhsa_fp16_overflow 0
		.amdhsa_workgroup_processor_mode 1
		.amdhsa_memory_ordered 1
		.amdhsa_forward_progress 1
		.amdhsa_shared_vgpr_count 0
		.amdhsa_exception_fp_ieee_invalid_op 0
		.amdhsa_exception_fp_denorm_src 0
		.amdhsa_exception_fp_ieee_div_zero 0
		.amdhsa_exception_fp_ieee_overflow 0
		.amdhsa_exception_fp_ieee_underflow 0
		.amdhsa_exception_fp_ieee_inexact 0
		.amdhsa_exception_int_div_zero 0
	.end_amdhsa_kernel
	.section	.text._ZN7rocprim17ROCPRIM_400000_NS6detail17trampoline_kernelINS0_13select_configILj256ELj13ELNS0_17block_load_methodE3ELS4_3ELS4_3ELNS0_20block_scan_algorithmE0ELj4294967295EEENS1_25partition_config_selectorILNS1_17partition_subalgoE4EjNS0_10empty_typeEbEEZZNS1_14partition_implILS8_4ELb0ES6_15HIP_vector_typeIjLj2EENS0_17counting_iteratorIjlEEPS9_SG_NS0_5tupleIJPjSI_NS0_16reverse_iteratorISI_EEEEENSH_IJSG_SG_SG_EEES9_SI_JZNS1_25segmented_radix_sort_implINS0_14default_configELb1EPKhPhPKlPlN2at6native12_GLOBAL__N_18offset_tEEE10hipError_tPvRmT1_PNSt15iterator_traitsIS12_E10value_typeET2_T3_PNS13_IS18_E10value_typeET4_jRbjT5_S1E_jjP12ihipStream_tbEUljE_ZNSN_ISO_Lb1ESQ_SR_ST_SU_SY_EESZ_S10_S11_S12_S16_S17_S18_S1B_S1C_jS1D_jS1E_S1E_jjS1G_bEUljE0_EEESZ_S10_S11_S18_S1C_S1E_T6_T7_T9_mT8_S1G_bDpT10_ENKUlT_T0_E_clISt17integral_constantIbLb1EES1U_EEDaS1P_S1Q_EUlS1P_E_NS1_11comp_targetILNS1_3genE9ELNS1_11target_archE1100ELNS1_3gpuE3ELNS1_3repE0EEENS1_30default_config_static_selectorELNS0_4arch9wavefront6targetE0EEEvS12_,"axG",@progbits,_ZN7rocprim17ROCPRIM_400000_NS6detail17trampoline_kernelINS0_13select_configILj256ELj13ELNS0_17block_load_methodE3ELS4_3ELS4_3ELNS0_20block_scan_algorithmE0ELj4294967295EEENS1_25partition_config_selectorILNS1_17partition_subalgoE4EjNS0_10empty_typeEbEEZZNS1_14partition_implILS8_4ELb0ES6_15HIP_vector_typeIjLj2EENS0_17counting_iteratorIjlEEPS9_SG_NS0_5tupleIJPjSI_NS0_16reverse_iteratorISI_EEEEENSH_IJSG_SG_SG_EEES9_SI_JZNS1_25segmented_radix_sort_implINS0_14default_configELb1EPKhPhPKlPlN2at6native12_GLOBAL__N_18offset_tEEE10hipError_tPvRmT1_PNSt15iterator_traitsIS12_E10value_typeET2_T3_PNS13_IS18_E10value_typeET4_jRbjT5_S1E_jjP12ihipStream_tbEUljE_ZNSN_ISO_Lb1ESQ_SR_ST_SU_SY_EESZ_S10_S11_S12_S16_S17_S18_S1B_S1C_jS1D_jS1E_S1E_jjS1G_bEUljE0_EEESZ_S10_S11_S18_S1C_S1E_T6_T7_T9_mT8_S1G_bDpT10_ENKUlT_T0_E_clISt17integral_constantIbLb1EES1U_EEDaS1P_S1Q_EUlS1P_E_NS1_11comp_targetILNS1_3genE9ELNS1_11target_archE1100ELNS1_3gpuE3ELNS1_3repE0EEENS1_30default_config_static_selectorELNS0_4arch9wavefront6targetE0EEEvS12_,comdat
.Lfunc_end27:
	.size	_ZN7rocprim17ROCPRIM_400000_NS6detail17trampoline_kernelINS0_13select_configILj256ELj13ELNS0_17block_load_methodE3ELS4_3ELS4_3ELNS0_20block_scan_algorithmE0ELj4294967295EEENS1_25partition_config_selectorILNS1_17partition_subalgoE4EjNS0_10empty_typeEbEEZZNS1_14partition_implILS8_4ELb0ES6_15HIP_vector_typeIjLj2EENS0_17counting_iteratorIjlEEPS9_SG_NS0_5tupleIJPjSI_NS0_16reverse_iteratorISI_EEEEENSH_IJSG_SG_SG_EEES9_SI_JZNS1_25segmented_radix_sort_implINS0_14default_configELb1EPKhPhPKlPlN2at6native12_GLOBAL__N_18offset_tEEE10hipError_tPvRmT1_PNSt15iterator_traitsIS12_E10value_typeET2_T3_PNS13_IS18_E10value_typeET4_jRbjT5_S1E_jjP12ihipStream_tbEUljE_ZNSN_ISO_Lb1ESQ_SR_ST_SU_SY_EESZ_S10_S11_S12_S16_S17_S18_S1B_S1C_jS1D_jS1E_S1E_jjS1G_bEUljE0_EEESZ_S10_S11_S18_S1C_S1E_T6_T7_T9_mT8_S1G_bDpT10_ENKUlT_T0_E_clISt17integral_constantIbLb1EES1U_EEDaS1P_S1Q_EUlS1P_E_NS1_11comp_targetILNS1_3genE9ELNS1_11target_archE1100ELNS1_3gpuE3ELNS1_3repE0EEENS1_30default_config_static_selectorELNS0_4arch9wavefront6targetE0EEEvS12_, .Lfunc_end27-_ZN7rocprim17ROCPRIM_400000_NS6detail17trampoline_kernelINS0_13select_configILj256ELj13ELNS0_17block_load_methodE3ELS4_3ELS4_3ELNS0_20block_scan_algorithmE0ELj4294967295EEENS1_25partition_config_selectorILNS1_17partition_subalgoE4EjNS0_10empty_typeEbEEZZNS1_14partition_implILS8_4ELb0ES6_15HIP_vector_typeIjLj2EENS0_17counting_iteratorIjlEEPS9_SG_NS0_5tupleIJPjSI_NS0_16reverse_iteratorISI_EEEEENSH_IJSG_SG_SG_EEES9_SI_JZNS1_25segmented_radix_sort_implINS0_14default_configELb1EPKhPhPKlPlN2at6native12_GLOBAL__N_18offset_tEEE10hipError_tPvRmT1_PNSt15iterator_traitsIS12_E10value_typeET2_T3_PNS13_IS18_E10value_typeET4_jRbjT5_S1E_jjP12ihipStream_tbEUljE_ZNSN_ISO_Lb1ESQ_SR_ST_SU_SY_EESZ_S10_S11_S12_S16_S17_S18_S1B_S1C_jS1D_jS1E_S1E_jjS1G_bEUljE0_EEESZ_S10_S11_S18_S1C_S1E_T6_T7_T9_mT8_S1G_bDpT10_ENKUlT_T0_E_clISt17integral_constantIbLb1EES1U_EEDaS1P_S1Q_EUlS1P_E_NS1_11comp_targetILNS1_3genE9ELNS1_11target_archE1100ELNS1_3gpuE3ELNS1_3repE0EEENS1_30default_config_static_selectorELNS0_4arch9wavefront6targetE0EEEvS12_
                                        ; -- End function
	.set _ZN7rocprim17ROCPRIM_400000_NS6detail17trampoline_kernelINS0_13select_configILj256ELj13ELNS0_17block_load_methodE3ELS4_3ELS4_3ELNS0_20block_scan_algorithmE0ELj4294967295EEENS1_25partition_config_selectorILNS1_17partition_subalgoE4EjNS0_10empty_typeEbEEZZNS1_14partition_implILS8_4ELb0ES6_15HIP_vector_typeIjLj2EENS0_17counting_iteratorIjlEEPS9_SG_NS0_5tupleIJPjSI_NS0_16reverse_iteratorISI_EEEEENSH_IJSG_SG_SG_EEES9_SI_JZNS1_25segmented_radix_sort_implINS0_14default_configELb1EPKhPhPKlPlN2at6native12_GLOBAL__N_18offset_tEEE10hipError_tPvRmT1_PNSt15iterator_traitsIS12_E10value_typeET2_T3_PNS13_IS18_E10value_typeET4_jRbjT5_S1E_jjP12ihipStream_tbEUljE_ZNSN_ISO_Lb1ESQ_SR_ST_SU_SY_EESZ_S10_S11_S12_S16_S17_S18_S1B_S1C_jS1D_jS1E_S1E_jjS1G_bEUljE0_EEESZ_S10_S11_S18_S1C_S1E_T6_T7_T9_mT8_S1G_bDpT10_ENKUlT_T0_E_clISt17integral_constantIbLb1EES1U_EEDaS1P_S1Q_EUlS1P_E_NS1_11comp_targetILNS1_3genE9ELNS1_11target_archE1100ELNS1_3gpuE3ELNS1_3repE0EEENS1_30default_config_static_selectorELNS0_4arch9wavefront6targetE0EEEvS12_.num_vgpr, 0
	.set _ZN7rocprim17ROCPRIM_400000_NS6detail17trampoline_kernelINS0_13select_configILj256ELj13ELNS0_17block_load_methodE3ELS4_3ELS4_3ELNS0_20block_scan_algorithmE0ELj4294967295EEENS1_25partition_config_selectorILNS1_17partition_subalgoE4EjNS0_10empty_typeEbEEZZNS1_14partition_implILS8_4ELb0ES6_15HIP_vector_typeIjLj2EENS0_17counting_iteratorIjlEEPS9_SG_NS0_5tupleIJPjSI_NS0_16reverse_iteratorISI_EEEEENSH_IJSG_SG_SG_EEES9_SI_JZNS1_25segmented_radix_sort_implINS0_14default_configELb1EPKhPhPKlPlN2at6native12_GLOBAL__N_18offset_tEEE10hipError_tPvRmT1_PNSt15iterator_traitsIS12_E10value_typeET2_T3_PNS13_IS18_E10value_typeET4_jRbjT5_S1E_jjP12ihipStream_tbEUljE_ZNSN_ISO_Lb1ESQ_SR_ST_SU_SY_EESZ_S10_S11_S12_S16_S17_S18_S1B_S1C_jS1D_jS1E_S1E_jjS1G_bEUljE0_EEESZ_S10_S11_S18_S1C_S1E_T6_T7_T9_mT8_S1G_bDpT10_ENKUlT_T0_E_clISt17integral_constantIbLb1EES1U_EEDaS1P_S1Q_EUlS1P_E_NS1_11comp_targetILNS1_3genE9ELNS1_11target_archE1100ELNS1_3gpuE3ELNS1_3repE0EEENS1_30default_config_static_selectorELNS0_4arch9wavefront6targetE0EEEvS12_.num_agpr, 0
	.set _ZN7rocprim17ROCPRIM_400000_NS6detail17trampoline_kernelINS0_13select_configILj256ELj13ELNS0_17block_load_methodE3ELS4_3ELS4_3ELNS0_20block_scan_algorithmE0ELj4294967295EEENS1_25partition_config_selectorILNS1_17partition_subalgoE4EjNS0_10empty_typeEbEEZZNS1_14partition_implILS8_4ELb0ES6_15HIP_vector_typeIjLj2EENS0_17counting_iteratorIjlEEPS9_SG_NS0_5tupleIJPjSI_NS0_16reverse_iteratorISI_EEEEENSH_IJSG_SG_SG_EEES9_SI_JZNS1_25segmented_radix_sort_implINS0_14default_configELb1EPKhPhPKlPlN2at6native12_GLOBAL__N_18offset_tEEE10hipError_tPvRmT1_PNSt15iterator_traitsIS12_E10value_typeET2_T3_PNS13_IS18_E10value_typeET4_jRbjT5_S1E_jjP12ihipStream_tbEUljE_ZNSN_ISO_Lb1ESQ_SR_ST_SU_SY_EESZ_S10_S11_S12_S16_S17_S18_S1B_S1C_jS1D_jS1E_S1E_jjS1G_bEUljE0_EEESZ_S10_S11_S18_S1C_S1E_T6_T7_T9_mT8_S1G_bDpT10_ENKUlT_T0_E_clISt17integral_constantIbLb1EES1U_EEDaS1P_S1Q_EUlS1P_E_NS1_11comp_targetILNS1_3genE9ELNS1_11target_archE1100ELNS1_3gpuE3ELNS1_3repE0EEENS1_30default_config_static_selectorELNS0_4arch9wavefront6targetE0EEEvS12_.numbered_sgpr, 0
	.set _ZN7rocprim17ROCPRIM_400000_NS6detail17trampoline_kernelINS0_13select_configILj256ELj13ELNS0_17block_load_methodE3ELS4_3ELS4_3ELNS0_20block_scan_algorithmE0ELj4294967295EEENS1_25partition_config_selectorILNS1_17partition_subalgoE4EjNS0_10empty_typeEbEEZZNS1_14partition_implILS8_4ELb0ES6_15HIP_vector_typeIjLj2EENS0_17counting_iteratorIjlEEPS9_SG_NS0_5tupleIJPjSI_NS0_16reverse_iteratorISI_EEEEENSH_IJSG_SG_SG_EEES9_SI_JZNS1_25segmented_radix_sort_implINS0_14default_configELb1EPKhPhPKlPlN2at6native12_GLOBAL__N_18offset_tEEE10hipError_tPvRmT1_PNSt15iterator_traitsIS12_E10value_typeET2_T3_PNS13_IS18_E10value_typeET4_jRbjT5_S1E_jjP12ihipStream_tbEUljE_ZNSN_ISO_Lb1ESQ_SR_ST_SU_SY_EESZ_S10_S11_S12_S16_S17_S18_S1B_S1C_jS1D_jS1E_S1E_jjS1G_bEUljE0_EEESZ_S10_S11_S18_S1C_S1E_T6_T7_T9_mT8_S1G_bDpT10_ENKUlT_T0_E_clISt17integral_constantIbLb1EES1U_EEDaS1P_S1Q_EUlS1P_E_NS1_11comp_targetILNS1_3genE9ELNS1_11target_archE1100ELNS1_3gpuE3ELNS1_3repE0EEENS1_30default_config_static_selectorELNS0_4arch9wavefront6targetE0EEEvS12_.num_named_barrier, 0
	.set _ZN7rocprim17ROCPRIM_400000_NS6detail17trampoline_kernelINS0_13select_configILj256ELj13ELNS0_17block_load_methodE3ELS4_3ELS4_3ELNS0_20block_scan_algorithmE0ELj4294967295EEENS1_25partition_config_selectorILNS1_17partition_subalgoE4EjNS0_10empty_typeEbEEZZNS1_14partition_implILS8_4ELb0ES6_15HIP_vector_typeIjLj2EENS0_17counting_iteratorIjlEEPS9_SG_NS0_5tupleIJPjSI_NS0_16reverse_iteratorISI_EEEEENSH_IJSG_SG_SG_EEES9_SI_JZNS1_25segmented_radix_sort_implINS0_14default_configELb1EPKhPhPKlPlN2at6native12_GLOBAL__N_18offset_tEEE10hipError_tPvRmT1_PNSt15iterator_traitsIS12_E10value_typeET2_T3_PNS13_IS18_E10value_typeET4_jRbjT5_S1E_jjP12ihipStream_tbEUljE_ZNSN_ISO_Lb1ESQ_SR_ST_SU_SY_EESZ_S10_S11_S12_S16_S17_S18_S1B_S1C_jS1D_jS1E_S1E_jjS1G_bEUljE0_EEESZ_S10_S11_S18_S1C_S1E_T6_T7_T9_mT8_S1G_bDpT10_ENKUlT_T0_E_clISt17integral_constantIbLb1EES1U_EEDaS1P_S1Q_EUlS1P_E_NS1_11comp_targetILNS1_3genE9ELNS1_11target_archE1100ELNS1_3gpuE3ELNS1_3repE0EEENS1_30default_config_static_selectorELNS0_4arch9wavefront6targetE0EEEvS12_.private_seg_size, 0
	.set _ZN7rocprim17ROCPRIM_400000_NS6detail17trampoline_kernelINS0_13select_configILj256ELj13ELNS0_17block_load_methodE3ELS4_3ELS4_3ELNS0_20block_scan_algorithmE0ELj4294967295EEENS1_25partition_config_selectorILNS1_17partition_subalgoE4EjNS0_10empty_typeEbEEZZNS1_14partition_implILS8_4ELb0ES6_15HIP_vector_typeIjLj2EENS0_17counting_iteratorIjlEEPS9_SG_NS0_5tupleIJPjSI_NS0_16reverse_iteratorISI_EEEEENSH_IJSG_SG_SG_EEES9_SI_JZNS1_25segmented_radix_sort_implINS0_14default_configELb1EPKhPhPKlPlN2at6native12_GLOBAL__N_18offset_tEEE10hipError_tPvRmT1_PNSt15iterator_traitsIS12_E10value_typeET2_T3_PNS13_IS18_E10value_typeET4_jRbjT5_S1E_jjP12ihipStream_tbEUljE_ZNSN_ISO_Lb1ESQ_SR_ST_SU_SY_EESZ_S10_S11_S12_S16_S17_S18_S1B_S1C_jS1D_jS1E_S1E_jjS1G_bEUljE0_EEESZ_S10_S11_S18_S1C_S1E_T6_T7_T9_mT8_S1G_bDpT10_ENKUlT_T0_E_clISt17integral_constantIbLb1EES1U_EEDaS1P_S1Q_EUlS1P_E_NS1_11comp_targetILNS1_3genE9ELNS1_11target_archE1100ELNS1_3gpuE3ELNS1_3repE0EEENS1_30default_config_static_selectorELNS0_4arch9wavefront6targetE0EEEvS12_.uses_vcc, 0
	.set _ZN7rocprim17ROCPRIM_400000_NS6detail17trampoline_kernelINS0_13select_configILj256ELj13ELNS0_17block_load_methodE3ELS4_3ELS4_3ELNS0_20block_scan_algorithmE0ELj4294967295EEENS1_25partition_config_selectorILNS1_17partition_subalgoE4EjNS0_10empty_typeEbEEZZNS1_14partition_implILS8_4ELb0ES6_15HIP_vector_typeIjLj2EENS0_17counting_iteratorIjlEEPS9_SG_NS0_5tupleIJPjSI_NS0_16reverse_iteratorISI_EEEEENSH_IJSG_SG_SG_EEES9_SI_JZNS1_25segmented_radix_sort_implINS0_14default_configELb1EPKhPhPKlPlN2at6native12_GLOBAL__N_18offset_tEEE10hipError_tPvRmT1_PNSt15iterator_traitsIS12_E10value_typeET2_T3_PNS13_IS18_E10value_typeET4_jRbjT5_S1E_jjP12ihipStream_tbEUljE_ZNSN_ISO_Lb1ESQ_SR_ST_SU_SY_EESZ_S10_S11_S12_S16_S17_S18_S1B_S1C_jS1D_jS1E_S1E_jjS1G_bEUljE0_EEESZ_S10_S11_S18_S1C_S1E_T6_T7_T9_mT8_S1G_bDpT10_ENKUlT_T0_E_clISt17integral_constantIbLb1EES1U_EEDaS1P_S1Q_EUlS1P_E_NS1_11comp_targetILNS1_3genE9ELNS1_11target_archE1100ELNS1_3gpuE3ELNS1_3repE0EEENS1_30default_config_static_selectorELNS0_4arch9wavefront6targetE0EEEvS12_.uses_flat_scratch, 0
	.set _ZN7rocprim17ROCPRIM_400000_NS6detail17trampoline_kernelINS0_13select_configILj256ELj13ELNS0_17block_load_methodE3ELS4_3ELS4_3ELNS0_20block_scan_algorithmE0ELj4294967295EEENS1_25partition_config_selectorILNS1_17partition_subalgoE4EjNS0_10empty_typeEbEEZZNS1_14partition_implILS8_4ELb0ES6_15HIP_vector_typeIjLj2EENS0_17counting_iteratorIjlEEPS9_SG_NS0_5tupleIJPjSI_NS0_16reverse_iteratorISI_EEEEENSH_IJSG_SG_SG_EEES9_SI_JZNS1_25segmented_radix_sort_implINS0_14default_configELb1EPKhPhPKlPlN2at6native12_GLOBAL__N_18offset_tEEE10hipError_tPvRmT1_PNSt15iterator_traitsIS12_E10value_typeET2_T3_PNS13_IS18_E10value_typeET4_jRbjT5_S1E_jjP12ihipStream_tbEUljE_ZNSN_ISO_Lb1ESQ_SR_ST_SU_SY_EESZ_S10_S11_S12_S16_S17_S18_S1B_S1C_jS1D_jS1E_S1E_jjS1G_bEUljE0_EEESZ_S10_S11_S18_S1C_S1E_T6_T7_T9_mT8_S1G_bDpT10_ENKUlT_T0_E_clISt17integral_constantIbLb1EES1U_EEDaS1P_S1Q_EUlS1P_E_NS1_11comp_targetILNS1_3genE9ELNS1_11target_archE1100ELNS1_3gpuE3ELNS1_3repE0EEENS1_30default_config_static_selectorELNS0_4arch9wavefront6targetE0EEEvS12_.has_dyn_sized_stack, 0
	.set _ZN7rocprim17ROCPRIM_400000_NS6detail17trampoline_kernelINS0_13select_configILj256ELj13ELNS0_17block_load_methodE3ELS4_3ELS4_3ELNS0_20block_scan_algorithmE0ELj4294967295EEENS1_25partition_config_selectorILNS1_17partition_subalgoE4EjNS0_10empty_typeEbEEZZNS1_14partition_implILS8_4ELb0ES6_15HIP_vector_typeIjLj2EENS0_17counting_iteratorIjlEEPS9_SG_NS0_5tupleIJPjSI_NS0_16reverse_iteratorISI_EEEEENSH_IJSG_SG_SG_EEES9_SI_JZNS1_25segmented_radix_sort_implINS0_14default_configELb1EPKhPhPKlPlN2at6native12_GLOBAL__N_18offset_tEEE10hipError_tPvRmT1_PNSt15iterator_traitsIS12_E10value_typeET2_T3_PNS13_IS18_E10value_typeET4_jRbjT5_S1E_jjP12ihipStream_tbEUljE_ZNSN_ISO_Lb1ESQ_SR_ST_SU_SY_EESZ_S10_S11_S12_S16_S17_S18_S1B_S1C_jS1D_jS1E_S1E_jjS1G_bEUljE0_EEESZ_S10_S11_S18_S1C_S1E_T6_T7_T9_mT8_S1G_bDpT10_ENKUlT_T0_E_clISt17integral_constantIbLb1EES1U_EEDaS1P_S1Q_EUlS1P_E_NS1_11comp_targetILNS1_3genE9ELNS1_11target_archE1100ELNS1_3gpuE3ELNS1_3repE0EEENS1_30default_config_static_selectorELNS0_4arch9wavefront6targetE0EEEvS12_.has_recursion, 0
	.set _ZN7rocprim17ROCPRIM_400000_NS6detail17trampoline_kernelINS0_13select_configILj256ELj13ELNS0_17block_load_methodE3ELS4_3ELS4_3ELNS0_20block_scan_algorithmE0ELj4294967295EEENS1_25partition_config_selectorILNS1_17partition_subalgoE4EjNS0_10empty_typeEbEEZZNS1_14partition_implILS8_4ELb0ES6_15HIP_vector_typeIjLj2EENS0_17counting_iteratorIjlEEPS9_SG_NS0_5tupleIJPjSI_NS0_16reverse_iteratorISI_EEEEENSH_IJSG_SG_SG_EEES9_SI_JZNS1_25segmented_radix_sort_implINS0_14default_configELb1EPKhPhPKlPlN2at6native12_GLOBAL__N_18offset_tEEE10hipError_tPvRmT1_PNSt15iterator_traitsIS12_E10value_typeET2_T3_PNS13_IS18_E10value_typeET4_jRbjT5_S1E_jjP12ihipStream_tbEUljE_ZNSN_ISO_Lb1ESQ_SR_ST_SU_SY_EESZ_S10_S11_S12_S16_S17_S18_S1B_S1C_jS1D_jS1E_S1E_jjS1G_bEUljE0_EEESZ_S10_S11_S18_S1C_S1E_T6_T7_T9_mT8_S1G_bDpT10_ENKUlT_T0_E_clISt17integral_constantIbLb1EES1U_EEDaS1P_S1Q_EUlS1P_E_NS1_11comp_targetILNS1_3genE9ELNS1_11target_archE1100ELNS1_3gpuE3ELNS1_3repE0EEENS1_30default_config_static_selectorELNS0_4arch9wavefront6targetE0EEEvS12_.has_indirect_call, 0
	.section	.AMDGPU.csdata,"",@progbits
; Kernel info:
; codeLenInByte = 0
; TotalNumSgprs: 0
; NumVgprs: 0
; ScratchSize: 0
; MemoryBound: 0
; FloatMode: 240
; IeeeMode: 1
; LDSByteSize: 0 bytes/workgroup (compile time only)
; SGPRBlocks: 0
; VGPRBlocks: 0
; NumSGPRsForWavesPerEU: 1
; NumVGPRsForWavesPerEU: 1
; Occupancy: 16
; WaveLimiterHint : 0
; COMPUTE_PGM_RSRC2:SCRATCH_EN: 0
; COMPUTE_PGM_RSRC2:USER_SGPR: 6
; COMPUTE_PGM_RSRC2:TRAP_HANDLER: 0
; COMPUTE_PGM_RSRC2:TGID_X_EN: 1
; COMPUTE_PGM_RSRC2:TGID_Y_EN: 0
; COMPUTE_PGM_RSRC2:TGID_Z_EN: 0
; COMPUTE_PGM_RSRC2:TIDIG_COMP_CNT: 0
	.section	.text._ZN7rocprim17ROCPRIM_400000_NS6detail17trampoline_kernelINS0_13select_configILj256ELj13ELNS0_17block_load_methodE3ELS4_3ELS4_3ELNS0_20block_scan_algorithmE0ELj4294967295EEENS1_25partition_config_selectorILNS1_17partition_subalgoE4EjNS0_10empty_typeEbEEZZNS1_14partition_implILS8_4ELb0ES6_15HIP_vector_typeIjLj2EENS0_17counting_iteratorIjlEEPS9_SG_NS0_5tupleIJPjSI_NS0_16reverse_iteratorISI_EEEEENSH_IJSG_SG_SG_EEES9_SI_JZNS1_25segmented_radix_sort_implINS0_14default_configELb1EPKhPhPKlPlN2at6native12_GLOBAL__N_18offset_tEEE10hipError_tPvRmT1_PNSt15iterator_traitsIS12_E10value_typeET2_T3_PNS13_IS18_E10value_typeET4_jRbjT5_S1E_jjP12ihipStream_tbEUljE_ZNSN_ISO_Lb1ESQ_SR_ST_SU_SY_EESZ_S10_S11_S12_S16_S17_S18_S1B_S1C_jS1D_jS1E_S1E_jjS1G_bEUljE0_EEESZ_S10_S11_S18_S1C_S1E_T6_T7_T9_mT8_S1G_bDpT10_ENKUlT_T0_E_clISt17integral_constantIbLb1EES1U_EEDaS1P_S1Q_EUlS1P_E_NS1_11comp_targetILNS1_3genE8ELNS1_11target_archE1030ELNS1_3gpuE2ELNS1_3repE0EEENS1_30default_config_static_selectorELNS0_4arch9wavefront6targetE0EEEvS12_,"axG",@progbits,_ZN7rocprim17ROCPRIM_400000_NS6detail17trampoline_kernelINS0_13select_configILj256ELj13ELNS0_17block_load_methodE3ELS4_3ELS4_3ELNS0_20block_scan_algorithmE0ELj4294967295EEENS1_25partition_config_selectorILNS1_17partition_subalgoE4EjNS0_10empty_typeEbEEZZNS1_14partition_implILS8_4ELb0ES6_15HIP_vector_typeIjLj2EENS0_17counting_iteratorIjlEEPS9_SG_NS0_5tupleIJPjSI_NS0_16reverse_iteratorISI_EEEEENSH_IJSG_SG_SG_EEES9_SI_JZNS1_25segmented_radix_sort_implINS0_14default_configELb1EPKhPhPKlPlN2at6native12_GLOBAL__N_18offset_tEEE10hipError_tPvRmT1_PNSt15iterator_traitsIS12_E10value_typeET2_T3_PNS13_IS18_E10value_typeET4_jRbjT5_S1E_jjP12ihipStream_tbEUljE_ZNSN_ISO_Lb1ESQ_SR_ST_SU_SY_EESZ_S10_S11_S12_S16_S17_S18_S1B_S1C_jS1D_jS1E_S1E_jjS1G_bEUljE0_EEESZ_S10_S11_S18_S1C_S1E_T6_T7_T9_mT8_S1G_bDpT10_ENKUlT_T0_E_clISt17integral_constantIbLb1EES1U_EEDaS1P_S1Q_EUlS1P_E_NS1_11comp_targetILNS1_3genE8ELNS1_11target_archE1030ELNS1_3gpuE2ELNS1_3repE0EEENS1_30default_config_static_selectorELNS0_4arch9wavefront6targetE0EEEvS12_,comdat
	.globl	_ZN7rocprim17ROCPRIM_400000_NS6detail17trampoline_kernelINS0_13select_configILj256ELj13ELNS0_17block_load_methodE3ELS4_3ELS4_3ELNS0_20block_scan_algorithmE0ELj4294967295EEENS1_25partition_config_selectorILNS1_17partition_subalgoE4EjNS0_10empty_typeEbEEZZNS1_14partition_implILS8_4ELb0ES6_15HIP_vector_typeIjLj2EENS0_17counting_iteratorIjlEEPS9_SG_NS0_5tupleIJPjSI_NS0_16reverse_iteratorISI_EEEEENSH_IJSG_SG_SG_EEES9_SI_JZNS1_25segmented_radix_sort_implINS0_14default_configELb1EPKhPhPKlPlN2at6native12_GLOBAL__N_18offset_tEEE10hipError_tPvRmT1_PNSt15iterator_traitsIS12_E10value_typeET2_T3_PNS13_IS18_E10value_typeET4_jRbjT5_S1E_jjP12ihipStream_tbEUljE_ZNSN_ISO_Lb1ESQ_SR_ST_SU_SY_EESZ_S10_S11_S12_S16_S17_S18_S1B_S1C_jS1D_jS1E_S1E_jjS1G_bEUljE0_EEESZ_S10_S11_S18_S1C_S1E_T6_T7_T9_mT8_S1G_bDpT10_ENKUlT_T0_E_clISt17integral_constantIbLb1EES1U_EEDaS1P_S1Q_EUlS1P_E_NS1_11comp_targetILNS1_3genE8ELNS1_11target_archE1030ELNS1_3gpuE2ELNS1_3repE0EEENS1_30default_config_static_selectorELNS0_4arch9wavefront6targetE0EEEvS12_ ; -- Begin function _ZN7rocprim17ROCPRIM_400000_NS6detail17trampoline_kernelINS0_13select_configILj256ELj13ELNS0_17block_load_methodE3ELS4_3ELS4_3ELNS0_20block_scan_algorithmE0ELj4294967295EEENS1_25partition_config_selectorILNS1_17partition_subalgoE4EjNS0_10empty_typeEbEEZZNS1_14partition_implILS8_4ELb0ES6_15HIP_vector_typeIjLj2EENS0_17counting_iteratorIjlEEPS9_SG_NS0_5tupleIJPjSI_NS0_16reverse_iteratorISI_EEEEENSH_IJSG_SG_SG_EEES9_SI_JZNS1_25segmented_radix_sort_implINS0_14default_configELb1EPKhPhPKlPlN2at6native12_GLOBAL__N_18offset_tEEE10hipError_tPvRmT1_PNSt15iterator_traitsIS12_E10value_typeET2_T3_PNS13_IS18_E10value_typeET4_jRbjT5_S1E_jjP12ihipStream_tbEUljE_ZNSN_ISO_Lb1ESQ_SR_ST_SU_SY_EESZ_S10_S11_S12_S16_S17_S18_S1B_S1C_jS1D_jS1E_S1E_jjS1G_bEUljE0_EEESZ_S10_S11_S18_S1C_S1E_T6_T7_T9_mT8_S1G_bDpT10_ENKUlT_T0_E_clISt17integral_constantIbLb1EES1U_EEDaS1P_S1Q_EUlS1P_E_NS1_11comp_targetILNS1_3genE8ELNS1_11target_archE1030ELNS1_3gpuE2ELNS1_3repE0EEENS1_30default_config_static_selectorELNS0_4arch9wavefront6targetE0EEEvS12_
	.p2align	8
	.type	_ZN7rocprim17ROCPRIM_400000_NS6detail17trampoline_kernelINS0_13select_configILj256ELj13ELNS0_17block_load_methodE3ELS4_3ELS4_3ELNS0_20block_scan_algorithmE0ELj4294967295EEENS1_25partition_config_selectorILNS1_17partition_subalgoE4EjNS0_10empty_typeEbEEZZNS1_14partition_implILS8_4ELb0ES6_15HIP_vector_typeIjLj2EENS0_17counting_iteratorIjlEEPS9_SG_NS0_5tupleIJPjSI_NS0_16reverse_iteratorISI_EEEEENSH_IJSG_SG_SG_EEES9_SI_JZNS1_25segmented_radix_sort_implINS0_14default_configELb1EPKhPhPKlPlN2at6native12_GLOBAL__N_18offset_tEEE10hipError_tPvRmT1_PNSt15iterator_traitsIS12_E10value_typeET2_T3_PNS13_IS18_E10value_typeET4_jRbjT5_S1E_jjP12ihipStream_tbEUljE_ZNSN_ISO_Lb1ESQ_SR_ST_SU_SY_EESZ_S10_S11_S12_S16_S17_S18_S1B_S1C_jS1D_jS1E_S1E_jjS1G_bEUljE0_EEESZ_S10_S11_S18_S1C_S1E_T6_T7_T9_mT8_S1G_bDpT10_ENKUlT_T0_E_clISt17integral_constantIbLb1EES1U_EEDaS1P_S1Q_EUlS1P_E_NS1_11comp_targetILNS1_3genE8ELNS1_11target_archE1030ELNS1_3gpuE2ELNS1_3repE0EEENS1_30default_config_static_selectorELNS0_4arch9wavefront6targetE0EEEvS12_,@function
_ZN7rocprim17ROCPRIM_400000_NS6detail17trampoline_kernelINS0_13select_configILj256ELj13ELNS0_17block_load_methodE3ELS4_3ELS4_3ELNS0_20block_scan_algorithmE0ELj4294967295EEENS1_25partition_config_selectorILNS1_17partition_subalgoE4EjNS0_10empty_typeEbEEZZNS1_14partition_implILS8_4ELb0ES6_15HIP_vector_typeIjLj2EENS0_17counting_iteratorIjlEEPS9_SG_NS0_5tupleIJPjSI_NS0_16reverse_iteratorISI_EEEEENSH_IJSG_SG_SG_EEES9_SI_JZNS1_25segmented_radix_sort_implINS0_14default_configELb1EPKhPhPKlPlN2at6native12_GLOBAL__N_18offset_tEEE10hipError_tPvRmT1_PNSt15iterator_traitsIS12_E10value_typeET2_T3_PNS13_IS18_E10value_typeET4_jRbjT5_S1E_jjP12ihipStream_tbEUljE_ZNSN_ISO_Lb1ESQ_SR_ST_SU_SY_EESZ_S10_S11_S12_S16_S17_S18_S1B_S1C_jS1D_jS1E_S1E_jjS1G_bEUljE0_EEESZ_S10_S11_S18_S1C_S1E_T6_T7_T9_mT8_S1G_bDpT10_ENKUlT_T0_E_clISt17integral_constantIbLb1EES1U_EEDaS1P_S1Q_EUlS1P_E_NS1_11comp_targetILNS1_3genE8ELNS1_11target_archE1030ELNS1_3gpuE2ELNS1_3repE0EEENS1_30default_config_static_selectorELNS0_4arch9wavefront6targetE0EEEvS12_: ; @_ZN7rocprim17ROCPRIM_400000_NS6detail17trampoline_kernelINS0_13select_configILj256ELj13ELNS0_17block_load_methodE3ELS4_3ELS4_3ELNS0_20block_scan_algorithmE0ELj4294967295EEENS1_25partition_config_selectorILNS1_17partition_subalgoE4EjNS0_10empty_typeEbEEZZNS1_14partition_implILS8_4ELb0ES6_15HIP_vector_typeIjLj2EENS0_17counting_iteratorIjlEEPS9_SG_NS0_5tupleIJPjSI_NS0_16reverse_iteratorISI_EEEEENSH_IJSG_SG_SG_EEES9_SI_JZNS1_25segmented_radix_sort_implINS0_14default_configELb1EPKhPhPKlPlN2at6native12_GLOBAL__N_18offset_tEEE10hipError_tPvRmT1_PNSt15iterator_traitsIS12_E10value_typeET2_T3_PNS13_IS18_E10value_typeET4_jRbjT5_S1E_jjP12ihipStream_tbEUljE_ZNSN_ISO_Lb1ESQ_SR_ST_SU_SY_EESZ_S10_S11_S12_S16_S17_S18_S1B_S1C_jS1D_jS1E_S1E_jjS1G_bEUljE0_EEESZ_S10_S11_S18_S1C_S1E_T6_T7_T9_mT8_S1G_bDpT10_ENKUlT_T0_E_clISt17integral_constantIbLb1EES1U_EEDaS1P_S1Q_EUlS1P_E_NS1_11comp_targetILNS1_3genE8ELNS1_11target_archE1030ELNS1_3gpuE2ELNS1_3repE0EEENS1_30default_config_static_selectorELNS0_4arch9wavefront6targetE0EEEvS12_
; %bb.0:
	s_endpgm
	.section	.rodata,"a",@progbits
	.p2align	6, 0x0
	.amdhsa_kernel _ZN7rocprim17ROCPRIM_400000_NS6detail17trampoline_kernelINS0_13select_configILj256ELj13ELNS0_17block_load_methodE3ELS4_3ELS4_3ELNS0_20block_scan_algorithmE0ELj4294967295EEENS1_25partition_config_selectorILNS1_17partition_subalgoE4EjNS0_10empty_typeEbEEZZNS1_14partition_implILS8_4ELb0ES6_15HIP_vector_typeIjLj2EENS0_17counting_iteratorIjlEEPS9_SG_NS0_5tupleIJPjSI_NS0_16reverse_iteratorISI_EEEEENSH_IJSG_SG_SG_EEES9_SI_JZNS1_25segmented_radix_sort_implINS0_14default_configELb1EPKhPhPKlPlN2at6native12_GLOBAL__N_18offset_tEEE10hipError_tPvRmT1_PNSt15iterator_traitsIS12_E10value_typeET2_T3_PNS13_IS18_E10value_typeET4_jRbjT5_S1E_jjP12ihipStream_tbEUljE_ZNSN_ISO_Lb1ESQ_SR_ST_SU_SY_EESZ_S10_S11_S12_S16_S17_S18_S1B_S1C_jS1D_jS1E_S1E_jjS1G_bEUljE0_EEESZ_S10_S11_S18_S1C_S1E_T6_T7_T9_mT8_S1G_bDpT10_ENKUlT_T0_E_clISt17integral_constantIbLb1EES1U_EEDaS1P_S1Q_EUlS1P_E_NS1_11comp_targetILNS1_3genE8ELNS1_11target_archE1030ELNS1_3gpuE2ELNS1_3repE0EEENS1_30default_config_static_selectorELNS0_4arch9wavefront6targetE0EEEvS12_
		.amdhsa_group_segment_fixed_size 0
		.amdhsa_private_segment_fixed_size 0
		.amdhsa_kernarg_size 184
		.amdhsa_user_sgpr_count 6
		.amdhsa_user_sgpr_private_segment_buffer 1
		.amdhsa_user_sgpr_dispatch_ptr 0
		.amdhsa_user_sgpr_queue_ptr 0
		.amdhsa_user_sgpr_kernarg_segment_ptr 1
		.amdhsa_user_sgpr_dispatch_id 0
		.amdhsa_user_sgpr_flat_scratch_init 0
		.amdhsa_user_sgpr_private_segment_size 0
		.amdhsa_wavefront_size32 1
		.amdhsa_uses_dynamic_stack 0
		.amdhsa_system_sgpr_private_segment_wavefront_offset 0
		.amdhsa_system_sgpr_workgroup_id_x 1
		.amdhsa_system_sgpr_workgroup_id_y 0
		.amdhsa_system_sgpr_workgroup_id_z 0
		.amdhsa_system_sgpr_workgroup_info 0
		.amdhsa_system_vgpr_workitem_id 0
		.amdhsa_next_free_vgpr 1
		.amdhsa_next_free_sgpr 1
		.amdhsa_reserve_vcc 0
		.amdhsa_reserve_flat_scratch 0
		.amdhsa_float_round_mode_32 0
		.amdhsa_float_round_mode_16_64 0
		.amdhsa_float_denorm_mode_32 3
		.amdhsa_float_denorm_mode_16_64 3
		.amdhsa_dx10_clamp 1
		.amdhsa_ieee_mode 1
		.amdhsa_fp16_overflow 0
		.amdhsa_workgroup_processor_mode 1
		.amdhsa_memory_ordered 1
		.amdhsa_forward_progress 1
		.amdhsa_shared_vgpr_count 0
		.amdhsa_exception_fp_ieee_invalid_op 0
		.amdhsa_exception_fp_denorm_src 0
		.amdhsa_exception_fp_ieee_div_zero 0
		.amdhsa_exception_fp_ieee_overflow 0
		.amdhsa_exception_fp_ieee_underflow 0
		.amdhsa_exception_fp_ieee_inexact 0
		.amdhsa_exception_int_div_zero 0
	.end_amdhsa_kernel
	.section	.text._ZN7rocprim17ROCPRIM_400000_NS6detail17trampoline_kernelINS0_13select_configILj256ELj13ELNS0_17block_load_methodE3ELS4_3ELS4_3ELNS0_20block_scan_algorithmE0ELj4294967295EEENS1_25partition_config_selectorILNS1_17partition_subalgoE4EjNS0_10empty_typeEbEEZZNS1_14partition_implILS8_4ELb0ES6_15HIP_vector_typeIjLj2EENS0_17counting_iteratorIjlEEPS9_SG_NS0_5tupleIJPjSI_NS0_16reverse_iteratorISI_EEEEENSH_IJSG_SG_SG_EEES9_SI_JZNS1_25segmented_radix_sort_implINS0_14default_configELb1EPKhPhPKlPlN2at6native12_GLOBAL__N_18offset_tEEE10hipError_tPvRmT1_PNSt15iterator_traitsIS12_E10value_typeET2_T3_PNS13_IS18_E10value_typeET4_jRbjT5_S1E_jjP12ihipStream_tbEUljE_ZNSN_ISO_Lb1ESQ_SR_ST_SU_SY_EESZ_S10_S11_S12_S16_S17_S18_S1B_S1C_jS1D_jS1E_S1E_jjS1G_bEUljE0_EEESZ_S10_S11_S18_S1C_S1E_T6_T7_T9_mT8_S1G_bDpT10_ENKUlT_T0_E_clISt17integral_constantIbLb1EES1U_EEDaS1P_S1Q_EUlS1P_E_NS1_11comp_targetILNS1_3genE8ELNS1_11target_archE1030ELNS1_3gpuE2ELNS1_3repE0EEENS1_30default_config_static_selectorELNS0_4arch9wavefront6targetE0EEEvS12_,"axG",@progbits,_ZN7rocprim17ROCPRIM_400000_NS6detail17trampoline_kernelINS0_13select_configILj256ELj13ELNS0_17block_load_methodE3ELS4_3ELS4_3ELNS0_20block_scan_algorithmE0ELj4294967295EEENS1_25partition_config_selectorILNS1_17partition_subalgoE4EjNS0_10empty_typeEbEEZZNS1_14partition_implILS8_4ELb0ES6_15HIP_vector_typeIjLj2EENS0_17counting_iteratorIjlEEPS9_SG_NS0_5tupleIJPjSI_NS0_16reverse_iteratorISI_EEEEENSH_IJSG_SG_SG_EEES9_SI_JZNS1_25segmented_radix_sort_implINS0_14default_configELb1EPKhPhPKlPlN2at6native12_GLOBAL__N_18offset_tEEE10hipError_tPvRmT1_PNSt15iterator_traitsIS12_E10value_typeET2_T3_PNS13_IS18_E10value_typeET4_jRbjT5_S1E_jjP12ihipStream_tbEUljE_ZNSN_ISO_Lb1ESQ_SR_ST_SU_SY_EESZ_S10_S11_S12_S16_S17_S18_S1B_S1C_jS1D_jS1E_S1E_jjS1G_bEUljE0_EEESZ_S10_S11_S18_S1C_S1E_T6_T7_T9_mT8_S1G_bDpT10_ENKUlT_T0_E_clISt17integral_constantIbLb1EES1U_EEDaS1P_S1Q_EUlS1P_E_NS1_11comp_targetILNS1_3genE8ELNS1_11target_archE1030ELNS1_3gpuE2ELNS1_3repE0EEENS1_30default_config_static_selectorELNS0_4arch9wavefront6targetE0EEEvS12_,comdat
.Lfunc_end28:
	.size	_ZN7rocprim17ROCPRIM_400000_NS6detail17trampoline_kernelINS0_13select_configILj256ELj13ELNS0_17block_load_methodE3ELS4_3ELS4_3ELNS0_20block_scan_algorithmE0ELj4294967295EEENS1_25partition_config_selectorILNS1_17partition_subalgoE4EjNS0_10empty_typeEbEEZZNS1_14partition_implILS8_4ELb0ES6_15HIP_vector_typeIjLj2EENS0_17counting_iteratorIjlEEPS9_SG_NS0_5tupleIJPjSI_NS0_16reverse_iteratorISI_EEEEENSH_IJSG_SG_SG_EEES9_SI_JZNS1_25segmented_radix_sort_implINS0_14default_configELb1EPKhPhPKlPlN2at6native12_GLOBAL__N_18offset_tEEE10hipError_tPvRmT1_PNSt15iterator_traitsIS12_E10value_typeET2_T3_PNS13_IS18_E10value_typeET4_jRbjT5_S1E_jjP12ihipStream_tbEUljE_ZNSN_ISO_Lb1ESQ_SR_ST_SU_SY_EESZ_S10_S11_S12_S16_S17_S18_S1B_S1C_jS1D_jS1E_S1E_jjS1G_bEUljE0_EEESZ_S10_S11_S18_S1C_S1E_T6_T7_T9_mT8_S1G_bDpT10_ENKUlT_T0_E_clISt17integral_constantIbLb1EES1U_EEDaS1P_S1Q_EUlS1P_E_NS1_11comp_targetILNS1_3genE8ELNS1_11target_archE1030ELNS1_3gpuE2ELNS1_3repE0EEENS1_30default_config_static_selectorELNS0_4arch9wavefront6targetE0EEEvS12_, .Lfunc_end28-_ZN7rocprim17ROCPRIM_400000_NS6detail17trampoline_kernelINS0_13select_configILj256ELj13ELNS0_17block_load_methodE3ELS4_3ELS4_3ELNS0_20block_scan_algorithmE0ELj4294967295EEENS1_25partition_config_selectorILNS1_17partition_subalgoE4EjNS0_10empty_typeEbEEZZNS1_14partition_implILS8_4ELb0ES6_15HIP_vector_typeIjLj2EENS0_17counting_iteratorIjlEEPS9_SG_NS0_5tupleIJPjSI_NS0_16reverse_iteratorISI_EEEEENSH_IJSG_SG_SG_EEES9_SI_JZNS1_25segmented_radix_sort_implINS0_14default_configELb1EPKhPhPKlPlN2at6native12_GLOBAL__N_18offset_tEEE10hipError_tPvRmT1_PNSt15iterator_traitsIS12_E10value_typeET2_T3_PNS13_IS18_E10value_typeET4_jRbjT5_S1E_jjP12ihipStream_tbEUljE_ZNSN_ISO_Lb1ESQ_SR_ST_SU_SY_EESZ_S10_S11_S12_S16_S17_S18_S1B_S1C_jS1D_jS1E_S1E_jjS1G_bEUljE0_EEESZ_S10_S11_S18_S1C_S1E_T6_T7_T9_mT8_S1G_bDpT10_ENKUlT_T0_E_clISt17integral_constantIbLb1EES1U_EEDaS1P_S1Q_EUlS1P_E_NS1_11comp_targetILNS1_3genE8ELNS1_11target_archE1030ELNS1_3gpuE2ELNS1_3repE0EEENS1_30default_config_static_selectorELNS0_4arch9wavefront6targetE0EEEvS12_
                                        ; -- End function
	.set _ZN7rocprim17ROCPRIM_400000_NS6detail17trampoline_kernelINS0_13select_configILj256ELj13ELNS0_17block_load_methodE3ELS4_3ELS4_3ELNS0_20block_scan_algorithmE0ELj4294967295EEENS1_25partition_config_selectorILNS1_17partition_subalgoE4EjNS0_10empty_typeEbEEZZNS1_14partition_implILS8_4ELb0ES6_15HIP_vector_typeIjLj2EENS0_17counting_iteratorIjlEEPS9_SG_NS0_5tupleIJPjSI_NS0_16reverse_iteratorISI_EEEEENSH_IJSG_SG_SG_EEES9_SI_JZNS1_25segmented_radix_sort_implINS0_14default_configELb1EPKhPhPKlPlN2at6native12_GLOBAL__N_18offset_tEEE10hipError_tPvRmT1_PNSt15iterator_traitsIS12_E10value_typeET2_T3_PNS13_IS18_E10value_typeET4_jRbjT5_S1E_jjP12ihipStream_tbEUljE_ZNSN_ISO_Lb1ESQ_SR_ST_SU_SY_EESZ_S10_S11_S12_S16_S17_S18_S1B_S1C_jS1D_jS1E_S1E_jjS1G_bEUljE0_EEESZ_S10_S11_S18_S1C_S1E_T6_T7_T9_mT8_S1G_bDpT10_ENKUlT_T0_E_clISt17integral_constantIbLb1EES1U_EEDaS1P_S1Q_EUlS1P_E_NS1_11comp_targetILNS1_3genE8ELNS1_11target_archE1030ELNS1_3gpuE2ELNS1_3repE0EEENS1_30default_config_static_selectorELNS0_4arch9wavefront6targetE0EEEvS12_.num_vgpr, 0
	.set _ZN7rocprim17ROCPRIM_400000_NS6detail17trampoline_kernelINS0_13select_configILj256ELj13ELNS0_17block_load_methodE3ELS4_3ELS4_3ELNS0_20block_scan_algorithmE0ELj4294967295EEENS1_25partition_config_selectorILNS1_17partition_subalgoE4EjNS0_10empty_typeEbEEZZNS1_14partition_implILS8_4ELb0ES6_15HIP_vector_typeIjLj2EENS0_17counting_iteratorIjlEEPS9_SG_NS0_5tupleIJPjSI_NS0_16reverse_iteratorISI_EEEEENSH_IJSG_SG_SG_EEES9_SI_JZNS1_25segmented_radix_sort_implINS0_14default_configELb1EPKhPhPKlPlN2at6native12_GLOBAL__N_18offset_tEEE10hipError_tPvRmT1_PNSt15iterator_traitsIS12_E10value_typeET2_T3_PNS13_IS18_E10value_typeET4_jRbjT5_S1E_jjP12ihipStream_tbEUljE_ZNSN_ISO_Lb1ESQ_SR_ST_SU_SY_EESZ_S10_S11_S12_S16_S17_S18_S1B_S1C_jS1D_jS1E_S1E_jjS1G_bEUljE0_EEESZ_S10_S11_S18_S1C_S1E_T6_T7_T9_mT8_S1G_bDpT10_ENKUlT_T0_E_clISt17integral_constantIbLb1EES1U_EEDaS1P_S1Q_EUlS1P_E_NS1_11comp_targetILNS1_3genE8ELNS1_11target_archE1030ELNS1_3gpuE2ELNS1_3repE0EEENS1_30default_config_static_selectorELNS0_4arch9wavefront6targetE0EEEvS12_.num_agpr, 0
	.set _ZN7rocprim17ROCPRIM_400000_NS6detail17trampoline_kernelINS0_13select_configILj256ELj13ELNS0_17block_load_methodE3ELS4_3ELS4_3ELNS0_20block_scan_algorithmE0ELj4294967295EEENS1_25partition_config_selectorILNS1_17partition_subalgoE4EjNS0_10empty_typeEbEEZZNS1_14partition_implILS8_4ELb0ES6_15HIP_vector_typeIjLj2EENS0_17counting_iteratorIjlEEPS9_SG_NS0_5tupleIJPjSI_NS0_16reverse_iteratorISI_EEEEENSH_IJSG_SG_SG_EEES9_SI_JZNS1_25segmented_radix_sort_implINS0_14default_configELb1EPKhPhPKlPlN2at6native12_GLOBAL__N_18offset_tEEE10hipError_tPvRmT1_PNSt15iterator_traitsIS12_E10value_typeET2_T3_PNS13_IS18_E10value_typeET4_jRbjT5_S1E_jjP12ihipStream_tbEUljE_ZNSN_ISO_Lb1ESQ_SR_ST_SU_SY_EESZ_S10_S11_S12_S16_S17_S18_S1B_S1C_jS1D_jS1E_S1E_jjS1G_bEUljE0_EEESZ_S10_S11_S18_S1C_S1E_T6_T7_T9_mT8_S1G_bDpT10_ENKUlT_T0_E_clISt17integral_constantIbLb1EES1U_EEDaS1P_S1Q_EUlS1P_E_NS1_11comp_targetILNS1_3genE8ELNS1_11target_archE1030ELNS1_3gpuE2ELNS1_3repE0EEENS1_30default_config_static_selectorELNS0_4arch9wavefront6targetE0EEEvS12_.numbered_sgpr, 0
	.set _ZN7rocprim17ROCPRIM_400000_NS6detail17trampoline_kernelINS0_13select_configILj256ELj13ELNS0_17block_load_methodE3ELS4_3ELS4_3ELNS0_20block_scan_algorithmE0ELj4294967295EEENS1_25partition_config_selectorILNS1_17partition_subalgoE4EjNS0_10empty_typeEbEEZZNS1_14partition_implILS8_4ELb0ES6_15HIP_vector_typeIjLj2EENS0_17counting_iteratorIjlEEPS9_SG_NS0_5tupleIJPjSI_NS0_16reverse_iteratorISI_EEEEENSH_IJSG_SG_SG_EEES9_SI_JZNS1_25segmented_radix_sort_implINS0_14default_configELb1EPKhPhPKlPlN2at6native12_GLOBAL__N_18offset_tEEE10hipError_tPvRmT1_PNSt15iterator_traitsIS12_E10value_typeET2_T3_PNS13_IS18_E10value_typeET4_jRbjT5_S1E_jjP12ihipStream_tbEUljE_ZNSN_ISO_Lb1ESQ_SR_ST_SU_SY_EESZ_S10_S11_S12_S16_S17_S18_S1B_S1C_jS1D_jS1E_S1E_jjS1G_bEUljE0_EEESZ_S10_S11_S18_S1C_S1E_T6_T7_T9_mT8_S1G_bDpT10_ENKUlT_T0_E_clISt17integral_constantIbLb1EES1U_EEDaS1P_S1Q_EUlS1P_E_NS1_11comp_targetILNS1_3genE8ELNS1_11target_archE1030ELNS1_3gpuE2ELNS1_3repE0EEENS1_30default_config_static_selectorELNS0_4arch9wavefront6targetE0EEEvS12_.num_named_barrier, 0
	.set _ZN7rocprim17ROCPRIM_400000_NS6detail17trampoline_kernelINS0_13select_configILj256ELj13ELNS0_17block_load_methodE3ELS4_3ELS4_3ELNS0_20block_scan_algorithmE0ELj4294967295EEENS1_25partition_config_selectorILNS1_17partition_subalgoE4EjNS0_10empty_typeEbEEZZNS1_14partition_implILS8_4ELb0ES6_15HIP_vector_typeIjLj2EENS0_17counting_iteratorIjlEEPS9_SG_NS0_5tupleIJPjSI_NS0_16reverse_iteratorISI_EEEEENSH_IJSG_SG_SG_EEES9_SI_JZNS1_25segmented_radix_sort_implINS0_14default_configELb1EPKhPhPKlPlN2at6native12_GLOBAL__N_18offset_tEEE10hipError_tPvRmT1_PNSt15iterator_traitsIS12_E10value_typeET2_T3_PNS13_IS18_E10value_typeET4_jRbjT5_S1E_jjP12ihipStream_tbEUljE_ZNSN_ISO_Lb1ESQ_SR_ST_SU_SY_EESZ_S10_S11_S12_S16_S17_S18_S1B_S1C_jS1D_jS1E_S1E_jjS1G_bEUljE0_EEESZ_S10_S11_S18_S1C_S1E_T6_T7_T9_mT8_S1G_bDpT10_ENKUlT_T0_E_clISt17integral_constantIbLb1EES1U_EEDaS1P_S1Q_EUlS1P_E_NS1_11comp_targetILNS1_3genE8ELNS1_11target_archE1030ELNS1_3gpuE2ELNS1_3repE0EEENS1_30default_config_static_selectorELNS0_4arch9wavefront6targetE0EEEvS12_.private_seg_size, 0
	.set _ZN7rocprim17ROCPRIM_400000_NS6detail17trampoline_kernelINS0_13select_configILj256ELj13ELNS0_17block_load_methodE3ELS4_3ELS4_3ELNS0_20block_scan_algorithmE0ELj4294967295EEENS1_25partition_config_selectorILNS1_17partition_subalgoE4EjNS0_10empty_typeEbEEZZNS1_14partition_implILS8_4ELb0ES6_15HIP_vector_typeIjLj2EENS0_17counting_iteratorIjlEEPS9_SG_NS0_5tupleIJPjSI_NS0_16reverse_iteratorISI_EEEEENSH_IJSG_SG_SG_EEES9_SI_JZNS1_25segmented_radix_sort_implINS0_14default_configELb1EPKhPhPKlPlN2at6native12_GLOBAL__N_18offset_tEEE10hipError_tPvRmT1_PNSt15iterator_traitsIS12_E10value_typeET2_T3_PNS13_IS18_E10value_typeET4_jRbjT5_S1E_jjP12ihipStream_tbEUljE_ZNSN_ISO_Lb1ESQ_SR_ST_SU_SY_EESZ_S10_S11_S12_S16_S17_S18_S1B_S1C_jS1D_jS1E_S1E_jjS1G_bEUljE0_EEESZ_S10_S11_S18_S1C_S1E_T6_T7_T9_mT8_S1G_bDpT10_ENKUlT_T0_E_clISt17integral_constantIbLb1EES1U_EEDaS1P_S1Q_EUlS1P_E_NS1_11comp_targetILNS1_3genE8ELNS1_11target_archE1030ELNS1_3gpuE2ELNS1_3repE0EEENS1_30default_config_static_selectorELNS0_4arch9wavefront6targetE0EEEvS12_.uses_vcc, 0
	.set _ZN7rocprim17ROCPRIM_400000_NS6detail17trampoline_kernelINS0_13select_configILj256ELj13ELNS0_17block_load_methodE3ELS4_3ELS4_3ELNS0_20block_scan_algorithmE0ELj4294967295EEENS1_25partition_config_selectorILNS1_17partition_subalgoE4EjNS0_10empty_typeEbEEZZNS1_14partition_implILS8_4ELb0ES6_15HIP_vector_typeIjLj2EENS0_17counting_iteratorIjlEEPS9_SG_NS0_5tupleIJPjSI_NS0_16reverse_iteratorISI_EEEEENSH_IJSG_SG_SG_EEES9_SI_JZNS1_25segmented_radix_sort_implINS0_14default_configELb1EPKhPhPKlPlN2at6native12_GLOBAL__N_18offset_tEEE10hipError_tPvRmT1_PNSt15iterator_traitsIS12_E10value_typeET2_T3_PNS13_IS18_E10value_typeET4_jRbjT5_S1E_jjP12ihipStream_tbEUljE_ZNSN_ISO_Lb1ESQ_SR_ST_SU_SY_EESZ_S10_S11_S12_S16_S17_S18_S1B_S1C_jS1D_jS1E_S1E_jjS1G_bEUljE0_EEESZ_S10_S11_S18_S1C_S1E_T6_T7_T9_mT8_S1G_bDpT10_ENKUlT_T0_E_clISt17integral_constantIbLb1EES1U_EEDaS1P_S1Q_EUlS1P_E_NS1_11comp_targetILNS1_3genE8ELNS1_11target_archE1030ELNS1_3gpuE2ELNS1_3repE0EEENS1_30default_config_static_selectorELNS0_4arch9wavefront6targetE0EEEvS12_.uses_flat_scratch, 0
	.set _ZN7rocprim17ROCPRIM_400000_NS6detail17trampoline_kernelINS0_13select_configILj256ELj13ELNS0_17block_load_methodE3ELS4_3ELS4_3ELNS0_20block_scan_algorithmE0ELj4294967295EEENS1_25partition_config_selectorILNS1_17partition_subalgoE4EjNS0_10empty_typeEbEEZZNS1_14partition_implILS8_4ELb0ES6_15HIP_vector_typeIjLj2EENS0_17counting_iteratorIjlEEPS9_SG_NS0_5tupleIJPjSI_NS0_16reverse_iteratorISI_EEEEENSH_IJSG_SG_SG_EEES9_SI_JZNS1_25segmented_radix_sort_implINS0_14default_configELb1EPKhPhPKlPlN2at6native12_GLOBAL__N_18offset_tEEE10hipError_tPvRmT1_PNSt15iterator_traitsIS12_E10value_typeET2_T3_PNS13_IS18_E10value_typeET4_jRbjT5_S1E_jjP12ihipStream_tbEUljE_ZNSN_ISO_Lb1ESQ_SR_ST_SU_SY_EESZ_S10_S11_S12_S16_S17_S18_S1B_S1C_jS1D_jS1E_S1E_jjS1G_bEUljE0_EEESZ_S10_S11_S18_S1C_S1E_T6_T7_T9_mT8_S1G_bDpT10_ENKUlT_T0_E_clISt17integral_constantIbLb1EES1U_EEDaS1P_S1Q_EUlS1P_E_NS1_11comp_targetILNS1_3genE8ELNS1_11target_archE1030ELNS1_3gpuE2ELNS1_3repE0EEENS1_30default_config_static_selectorELNS0_4arch9wavefront6targetE0EEEvS12_.has_dyn_sized_stack, 0
	.set _ZN7rocprim17ROCPRIM_400000_NS6detail17trampoline_kernelINS0_13select_configILj256ELj13ELNS0_17block_load_methodE3ELS4_3ELS4_3ELNS0_20block_scan_algorithmE0ELj4294967295EEENS1_25partition_config_selectorILNS1_17partition_subalgoE4EjNS0_10empty_typeEbEEZZNS1_14partition_implILS8_4ELb0ES6_15HIP_vector_typeIjLj2EENS0_17counting_iteratorIjlEEPS9_SG_NS0_5tupleIJPjSI_NS0_16reverse_iteratorISI_EEEEENSH_IJSG_SG_SG_EEES9_SI_JZNS1_25segmented_radix_sort_implINS0_14default_configELb1EPKhPhPKlPlN2at6native12_GLOBAL__N_18offset_tEEE10hipError_tPvRmT1_PNSt15iterator_traitsIS12_E10value_typeET2_T3_PNS13_IS18_E10value_typeET4_jRbjT5_S1E_jjP12ihipStream_tbEUljE_ZNSN_ISO_Lb1ESQ_SR_ST_SU_SY_EESZ_S10_S11_S12_S16_S17_S18_S1B_S1C_jS1D_jS1E_S1E_jjS1G_bEUljE0_EEESZ_S10_S11_S18_S1C_S1E_T6_T7_T9_mT8_S1G_bDpT10_ENKUlT_T0_E_clISt17integral_constantIbLb1EES1U_EEDaS1P_S1Q_EUlS1P_E_NS1_11comp_targetILNS1_3genE8ELNS1_11target_archE1030ELNS1_3gpuE2ELNS1_3repE0EEENS1_30default_config_static_selectorELNS0_4arch9wavefront6targetE0EEEvS12_.has_recursion, 0
	.set _ZN7rocprim17ROCPRIM_400000_NS6detail17trampoline_kernelINS0_13select_configILj256ELj13ELNS0_17block_load_methodE3ELS4_3ELS4_3ELNS0_20block_scan_algorithmE0ELj4294967295EEENS1_25partition_config_selectorILNS1_17partition_subalgoE4EjNS0_10empty_typeEbEEZZNS1_14partition_implILS8_4ELb0ES6_15HIP_vector_typeIjLj2EENS0_17counting_iteratorIjlEEPS9_SG_NS0_5tupleIJPjSI_NS0_16reverse_iteratorISI_EEEEENSH_IJSG_SG_SG_EEES9_SI_JZNS1_25segmented_radix_sort_implINS0_14default_configELb1EPKhPhPKlPlN2at6native12_GLOBAL__N_18offset_tEEE10hipError_tPvRmT1_PNSt15iterator_traitsIS12_E10value_typeET2_T3_PNS13_IS18_E10value_typeET4_jRbjT5_S1E_jjP12ihipStream_tbEUljE_ZNSN_ISO_Lb1ESQ_SR_ST_SU_SY_EESZ_S10_S11_S12_S16_S17_S18_S1B_S1C_jS1D_jS1E_S1E_jjS1G_bEUljE0_EEESZ_S10_S11_S18_S1C_S1E_T6_T7_T9_mT8_S1G_bDpT10_ENKUlT_T0_E_clISt17integral_constantIbLb1EES1U_EEDaS1P_S1Q_EUlS1P_E_NS1_11comp_targetILNS1_3genE8ELNS1_11target_archE1030ELNS1_3gpuE2ELNS1_3repE0EEENS1_30default_config_static_selectorELNS0_4arch9wavefront6targetE0EEEvS12_.has_indirect_call, 0
	.section	.AMDGPU.csdata,"",@progbits
; Kernel info:
; codeLenInByte = 4
; TotalNumSgprs: 0
; NumVgprs: 0
; ScratchSize: 0
; MemoryBound: 0
; FloatMode: 240
; IeeeMode: 1
; LDSByteSize: 0 bytes/workgroup (compile time only)
; SGPRBlocks: 0
; VGPRBlocks: 0
; NumSGPRsForWavesPerEU: 1
; NumVGPRsForWavesPerEU: 1
; Occupancy: 16
; WaveLimiterHint : 0
; COMPUTE_PGM_RSRC2:SCRATCH_EN: 0
; COMPUTE_PGM_RSRC2:USER_SGPR: 6
; COMPUTE_PGM_RSRC2:TRAP_HANDLER: 0
; COMPUTE_PGM_RSRC2:TGID_X_EN: 1
; COMPUTE_PGM_RSRC2:TGID_Y_EN: 0
; COMPUTE_PGM_RSRC2:TGID_Z_EN: 0
; COMPUTE_PGM_RSRC2:TIDIG_COMP_CNT: 0
	.section	.text._ZN7rocprim17ROCPRIM_400000_NS6detail31init_lookback_scan_state_kernelINS1_19lookback_scan_stateI15HIP_vector_typeIjLj2EELb1ELb1EEENS1_16block_id_wrapperIjLb0EEEEEvT_jT0_jPNS9_10value_typeE,"axG",@progbits,_ZN7rocprim17ROCPRIM_400000_NS6detail31init_lookback_scan_state_kernelINS1_19lookback_scan_stateI15HIP_vector_typeIjLj2EELb1ELb1EEENS1_16block_id_wrapperIjLb0EEEEEvT_jT0_jPNS9_10value_typeE,comdat
	.protected	_ZN7rocprim17ROCPRIM_400000_NS6detail31init_lookback_scan_state_kernelINS1_19lookback_scan_stateI15HIP_vector_typeIjLj2EELb1ELb1EEENS1_16block_id_wrapperIjLb0EEEEEvT_jT0_jPNS9_10value_typeE ; -- Begin function _ZN7rocprim17ROCPRIM_400000_NS6detail31init_lookback_scan_state_kernelINS1_19lookback_scan_stateI15HIP_vector_typeIjLj2EELb1ELb1EEENS1_16block_id_wrapperIjLb0EEEEEvT_jT0_jPNS9_10value_typeE
	.globl	_ZN7rocprim17ROCPRIM_400000_NS6detail31init_lookback_scan_state_kernelINS1_19lookback_scan_stateI15HIP_vector_typeIjLj2EELb1ELb1EEENS1_16block_id_wrapperIjLb0EEEEEvT_jT0_jPNS9_10value_typeE
	.p2align	8
	.type	_ZN7rocprim17ROCPRIM_400000_NS6detail31init_lookback_scan_state_kernelINS1_19lookback_scan_stateI15HIP_vector_typeIjLj2EELb1ELb1EEENS1_16block_id_wrapperIjLb0EEEEEvT_jT0_jPNS9_10value_typeE,@function
_ZN7rocprim17ROCPRIM_400000_NS6detail31init_lookback_scan_state_kernelINS1_19lookback_scan_stateI15HIP_vector_typeIjLj2EELb1ELb1EEENS1_16block_id_wrapperIjLb0EEEEEvT_jT0_jPNS9_10value_typeE: ; @_ZN7rocprim17ROCPRIM_400000_NS6detail31init_lookback_scan_state_kernelINS1_19lookback_scan_stateI15HIP_vector_typeIjLj2EELb1ELb1EEENS1_16block_id_wrapperIjLb0EEEEEvT_jT0_jPNS9_10value_typeE
; %bb.0:
	s_clause 0x3
	s_load_dword s8, s[4:5], 0x2c
	s_load_dwordx2 s[2:3], s[4:5], 0x18
	s_load_dwordx2 s[0:1], s[4:5], 0x0
	s_load_dword s7, s[4:5], 0x8
	s_waitcnt lgkmcnt(0)
	s_and_b32 s8, s8, 0xffff
	s_cmp_eq_u64 s[2:3], 0
	v_mad_u64_u32 v[0:1], null, s6, s8, v[0:1]
	s_cbranch_scc1 .LBB29_10
; %bb.1:
	s_load_dword s4, s[4:5], 0x10
	s_waitcnt lgkmcnt(0)
	s_cmp_lt_u32 s4, s7
	s_cselect_b32 s5, s4, 0
	v_cmp_eq_u32_e32 vcc_lo, s5, v0
	s_mov_b32 s5, 0
	s_and_saveexec_b32 s6, vcc_lo
	s_cbranch_execz .LBB29_9
; %bb.2:
	s_add_i32 s4, s4, 32
	v_mov_b32_e32 v5, 0
	s_lshl_b64 s[4:5], s[4:5], 4
	s_mov_b32 s8, exec_lo
	s_add_u32 s4, s0, s4
	s_addc_u32 s5, s1, s5
	v_mov_b32_e32 v1, s4
	v_mov_b32_e32 v2, s5
	;;#ASMSTART
	global_load_dwordx4 v[1:4], v[1:2] off glc dlc	
s_waitcnt vmcnt(0)
	;;#ASMEND
	v_and_b32_e32 v4, 0xff, v3
	v_cmpx_eq_u64_e32 0, v[4:5]
	s_cbranch_execz .LBB29_8
; %bb.3:
	v_mov_b32_e32 v7, s5
	v_mov_b32_e32 v6, s4
	s_mov_b32 s5, 1
	s_mov_b32 s4, 0
	.p2align	6
.LBB29_4:                               ; =>This Loop Header: Depth=1
                                        ;     Child Loop BB29_5 Depth 2
	s_mov_b32 s9, s5
.LBB29_5:                               ;   Parent Loop BB29_4 Depth=1
                                        ; =>  This Inner Loop Header: Depth=2
	s_add_i32 s9, s9, -1
	s_sleep 1
	s_cmp_eq_u32 s9, 0
	s_cbranch_scc0 .LBB29_5
; %bb.6:                                ;   in Loop: Header=BB29_4 Depth=1
	;;#ASMSTART
	global_load_dwordx4 v[1:4], v[6:7] off glc dlc	
s_waitcnt vmcnt(0)
	;;#ASMEND
	v_and_b32_e32 v4, 0xff, v3
	s_cmp_lt_u32 s5, 32
	s_cselect_b32 s9, -1, 0
	s_cmp_lg_u32 s9, 0
	v_cmp_ne_u64_e32 vcc_lo, 0, v[4:5]
	s_addc_u32 s5, s5, 0
	s_or_b32 s4, vcc_lo, s4
	s_andn2_b32 exec_lo, exec_lo, s4
	s_cbranch_execnz .LBB29_4
; %bb.7:
	s_or_b32 exec_lo, exec_lo, s4
.LBB29_8:
	s_or_b32 exec_lo, exec_lo, s8
	v_mov_b32_e32 v3, 0
	global_store_dwordx2 v3, v[1:2], s[2:3]
.LBB29_9:
	s_or_b32 exec_lo, exec_lo, s6
.LBB29_10:
	s_mov_b32 s2, exec_lo
	v_cmpx_gt_u32_e64 s7, v0
	s_cbranch_execz .LBB29_12
; %bb.11:
	v_add_nc_u32_e32 v1, 32, v0
	v_mov_b32_e32 v2, 0
	v_lshlrev_b64 v[4:5], 4, v[1:2]
	v_mov_b32_e32 v1, v2
	v_mov_b32_e32 v3, v2
	v_add_co_u32 v6, vcc_lo, s0, v4
	v_add_co_ci_u32_e64 v7, null, s1, v5, vcc_lo
	v_mov_b32_e32 v4, v2
	global_store_dwordx4 v[6:7], v[1:4], off
.LBB29_12:
	s_or_b32 exec_lo, exec_lo, s2
	s_mov_b32 s2, exec_lo
	v_cmpx_gt_u32_e32 32, v0
	s_cbranch_execz .LBB29_14
; %bb.13:
	v_mov_b32_e32 v1, 0
	v_mov_b32_e32 v2, 0xff
	v_lshlrev_b64 v[3:4], 4, v[0:1]
	v_mov_b32_e32 v0, v1
	v_add_co_u32 v5, vcc_lo, s0, v3
	v_add_co_ci_u32_e64 v6, null, s1, v4, vcc_lo
	v_mov_b32_e32 v3, v1
	global_store_dwordx4 v[5:6], v[0:3], off
.LBB29_14:
	s_endpgm
	.section	.rodata,"a",@progbits
	.p2align	6, 0x0
	.amdhsa_kernel _ZN7rocprim17ROCPRIM_400000_NS6detail31init_lookback_scan_state_kernelINS1_19lookback_scan_stateI15HIP_vector_typeIjLj2EELb1ELb1EEENS1_16block_id_wrapperIjLb0EEEEEvT_jT0_jPNS9_10value_typeE
		.amdhsa_group_segment_fixed_size 0
		.amdhsa_private_segment_fixed_size 0
		.amdhsa_kernarg_size 288
		.amdhsa_user_sgpr_count 6
		.amdhsa_user_sgpr_private_segment_buffer 1
		.amdhsa_user_sgpr_dispatch_ptr 0
		.amdhsa_user_sgpr_queue_ptr 0
		.amdhsa_user_sgpr_kernarg_segment_ptr 1
		.amdhsa_user_sgpr_dispatch_id 0
		.amdhsa_user_sgpr_flat_scratch_init 0
		.amdhsa_user_sgpr_private_segment_size 0
		.amdhsa_wavefront_size32 1
		.amdhsa_uses_dynamic_stack 0
		.amdhsa_system_sgpr_private_segment_wavefront_offset 0
		.amdhsa_system_sgpr_workgroup_id_x 1
		.amdhsa_system_sgpr_workgroup_id_y 0
		.amdhsa_system_sgpr_workgroup_id_z 0
		.amdhsa_system_sgpr_workgroup_info 0
		.amdhsa_system_vgpr_workitem_id 0
		.amdhsa_next_free_vgpr 8
		.amdhsa_next_free_sgpr 10
		.amdhsa_reserve_vcc 1
		.amdhsa_reserve_flat_scratch 0
		.amdhsa_float_round_mode_32 0
		.amdhsa_float_round_mode_16_64 0
		.amdhsa_float_denorm_mode_32 3
		.amdhsa_float_denorm_mode_16_64 3
		.amdhsa_dx10_clamp 1
		.amdhsa_ieee_mode 1
		.amdhsa_fp16_overflow 0
		.amdhsa_workgroup_processor_mode 1
		.amdhsa_memory_ordered 1
		.amdhsa_forward_progress 1
		.amdhsa_shared_vgpr_count 0
		.amdhsa_exception_fp_ieee_invalid_op 0
		.amdhsa_exception_fp_denorm_src 0
		.amdhsa_exception_fp_ieee_div_zero 0
		.amdhsa_exception_fp_ieee_overflow 0
		.amdhsa_exception_fp_ieee_underflow 0
		.amdhsa_exception_fp_ieee_inexact 0
		.amdhsa_exception_int_div_zero 0
	.end_amdhsa_kernel
	.section	.text._ZN7rocprim17ROCPRIM_400000_NS6detail31init_lookback_scan_state_kernelINS1_19lookback_scan_stateI15HIP_vector_typeIjLj2EELb1ELb1EEENS1_16block_id_wrapperIjLb0EEEEEvT_jT0_jPNS9_10value_typeE,"axG",@progbits,_ZN7rocprim17ROCPRIM_400000_NS6detail31init_lookback_scan_state_kernelINS1_19lookback_scan_stateI15HIP_vector_typeIjLj2EELb1ELb1EEENS1_16block_id_wrapperIjLb0EEEEEvT_jT0_jPNS9_10value_typeE,comdat
.Lfunc_end29:
	.size	_ZN7rocprim17ROCPRIM_400000_NS6detail31init_lookback_scan_state_kernelINS1_19lookback_scan_stateI15HIP_vector_typeIjLj2EELb1ELb1EEENS1_16block_id_wrapperIjLb0EEEEEvT_jT0_jPNS9_10value_typeE, .Lfunc_end29-_ZN7rocprim17ROCPRIM_400000_NS6detail31init_lookback_scan_state_kernelINS1_19lookback_scan_stateI15HIP_vector_typeIjLj2EELb1ELb1EEENS1_16block_id_wrapperIjLb0EEEEEvT_jT0_jPNS9_10value_typeE
                                        ; -- End function
	.set _ZN7rocprim17ROCPRIM_400000_NS6detail31init_lookback_scan_state_kernelINS1_19lookback_scan_stateI15HIP_vector_typeIjLj2EELb1ELb1EEENS1_16block_id_wrapperIjLb0EEEEEvT_jT0_jPNS9_10value_typeE.num_vgpr, 8
	.set _ZN7rocprim17ROCPRIM_400000_NS6detail31init_lookback_scan_state_kernelINS1_19lookback_scan_stateI15HIP_vector_typeIjLj2EELb1ELb1EEENS1_16block_id_wrapperIjLb0EEEEEvT_jT0_jPNS9_10value_typeE.num_agpr, 0
	.set _ZN7rocprim17ROCPRIM_400000_NS6detail31init_lookback_scan_state_kernelINS1_19lookback_scan_stateI15HIP_vector_typeIjLj2EELb1ELb1EEENS1_16block_id_wrapperIjLb0EEEEEvT_jT0_jPNS9_10value_typeE.numbered_sgpr, 10
	.set _ZN7rocprim17ROCPRIM_400000_NS6detail31init_lookback_scan_state_kernelINS1_19lookback_scan_stateI15HIP_vector_typeIjLj2EELb1ELb1EEENS1_16block_id_wrapperIjLb0EEEEEvT_jT0_jPNS9_10value_typeE.num_named_barrier, 0
	.set _ZN7rocprim17ROCPRIM_400000_NS6detail31init_lookback_scan_state_kernelINS1_19lookback_scan_stateI15HIP_vector_typeIjLj2EELb1ELb1EEENS1_16block_id_wrapperIjLb0EEEEEvT_jT0_jPNS9_10value_typeE.private_seg_size, 0
	.set _ZN7rocprim17ROCPRIM_400000_NS6detail31init_lookback_scan_state_kernelINS1_19lookback_scan_stateI15HIP_vector_typeIjLj2EELb1ELb1EEENS1_16block_id_wrapperIjLb0EEEEEvT_jT0_jPNS9_10value_typeE.uses_vcc, 1
	.set _ZN7rocprim17ROCPRIM_400000_NS6detail31init_lookback_scan_state_kernelINS1_19lookback_scan_stateI15HIP_vector_typeIjLj2EELb1ELb1EEENS1_16block_id_wrapperIjLb0EEEEEvT_jT0_jPNS9_10value_typeE.uses_flat_scratch, 0
	.set _ZN7rocprim17ROCPRIM_400000_NS6detail31init_lookback_scan_state_kernelINS1_19lookback_scan_stateI15HIP_vector_typeIjLj2EELb1ELb1EEENS1_16block_id_wrapperIjLb0EEEEEvT_jT0_jPNS9_10value_typeE.has_dyn_sized_stack, 0
	.set _ZN7rocprim17ROCPRIM_400000_NS6detail31init_lookback_scan_state_kernelINS1_19lookback_scan_stateI15HIP_vector_typeIjLj2EELb1ELb1EEENS1_16block_id_wrapperIjLb0EEEEEvT_jT0_jPNS9_10value_typeE.has_recursion, 0
	.set _ZN7rocprim17ROCPRIM_400000_NS6detail31init_lookback_scan_state_kernelINS1_19lookback_scan_stateI15HIP_vector_typeIjLj2EELb1ELb1EEENS1_16block_id_wrapperIjLb0EEEEEvT_jT0_jPNS9_10value_typeE.has_indirect_call, 0
	.section	.AMDGPU.csdata,"",@progbits
; Kernel info:
; codeLenInByte = 520
; TotalNumSgprs: 12
; NumVgprs: 8
; ScratchSize: 0
; MemoryBound: 0
; FloatMode: 240
; IeeeMode: 1
; LDSByteSize: 0 bytes/workgroup (compile time only)
; SGPRBlocks: 0
; VGPRBlocks: 0
; NumSGPRsForWavesPerEU: 12
; NumVGPRsForWavesPerEU: 8
; Occupancy: 16
; WaveLimiterHint : 0
; COMPUTE_PGM_RSRC2:SCRATCH_EN: 0
; COMPUTE_PGM_RSRC2:USER_SGPR: 6
; COMPUTE_PGM_RSRC2:TRAP_HANDLER: 0
; COMPUTE_PGM_RSRC2:TGID_X_EN: 1
; COMPUTE_PGM_RSRC2:TGID_Y_EN: 0
; COMPUTE_PGM_RSRC2:TGID_Z_EN: 0
; COMPUTE_PGM_RSRC2:TIDIG_COMP_CNT: 0
	.section	.text._ZN7rocprim17ROCPRIM_400000_NS6detail17trampoline_kernelINS0_13select_configILj256ELj13ELNS0_17block_load_methodE3ELS4_3ELS4_3ELNS0_20block_scan_algorithmE0ELj4294967295EEENS1_25partition_config_selectorILNS1_17partition_subalgoE4EjNS0_10empty_typeEbEEZZNS1_14partition_implILS8_4ELb0ES6_15HIP_vector_typeIjLj2EENS0_17counting_iteratorIjlEEPS9_SG_NS0_5tupleIJPjSI_NS0_16reverse_iteratorISI_EEEEENSH_IJSG_SG_SG_EEES9_SI_JZNS1_25segmented_radix_sort_implINS0_14default_configELb1EPKhPhPKlPlN2at6native12_GLOBAL__N_18offset_tEEE10hipError_tPvRmT1_PNSt15iterator_traitsIS12_E10value_typeET2_T3_PNS13_IS18_E10value_typeET4_jRbjT5_S1E_jjP12ihipStream_tbEUljE_ZNSN_ISO_Lb1ESQ_SR_ST_SU_SY_EESZ_S10_S11_S12_S16_S17_S18_S1B_S1C_jS1D_jS1E_S1E_jjS1G_bEUljE0_EEESZ_S10_S11_S18_S1C_S1E_T6_T7_T9_mT8_S1G_bDpT10_ENKUlT_T0_E_clISt17integral_constantIbLb1EES1T_IbLb0EEEEDaS1P_S1Q_EUlS1P_E_NS1_11comp_targetILNS1_3genE0ELNS1_11target_archE4294967295ELNS1_3gpuE0ELNS1_3repE0EEENS1_30default_config_static_selectorELNS0_4arch9wavefront6targetE0EEEvS12_,"axG",@progbits,_ZN7rocprim17ROCPRIM_400000_NS6detail17trampoline_kernelINS0_13select_configILj256ELj13ELNS0_17block_load_methodE3ELS4_3ELS4_3ELNS0_20block_scan_algorithmE0ELj4294967295EEENS1_25partition_config_selectorILNS1_17partition_subalgoE4EjNS0_10empty_typeEbEEZZNS1_14partition_implILS8_4ELb0ES6_15HIP_vector_typeIjLj2EENS0_17counting_iteratorIjlEEPS9_SG_NS0_5tupleIJPjSI_NS0_16reverse_iteratorISI_EEEEENSH_IJSG_SG_SG_EEES9_SI_JZNS1_25segmented_radix_sort_implINS0_14default_configELb1EPKhPhPKlPlN2at6native12_GLOBAL__N_18offset_tEEE10hipError_tPvRmT1_PNSt15iterator_traitsIS12_E10value_typeET2_T3_PNS13_IS18_E10value_typeET4_jRbjT5_S1E_jjP12ihipStream_tbEUljE_ZNSN_ISO_Lb1ESQ_SR_ST_SU_SY_EESZ_S10_S11_S12_S16_S17_S18_S1B_S1C_jS1D_jS1E_S1E_jjS1G_bEUljE0_EEESZ_S10_S11_S18_S1C_S1E_T6_T7_T9_mT8_S1G_bDpT10_ENKUlT_T0_E_clISt17integral_constantIbLb1EES1T_IbLb0EEEEDaS1P_S1Q_EUlS1P_E_NS1_11comp_targetILNS1_3genE0ELNS1_11target_archE4294967295ELNS1_3gpuE0ELNS1_3repE0EEENS1_30default_config_static_selectorELNS0_4arch9wavefront6targetE0EEEvS12_,comdat
	.globl	_ZN7rocprim17ROCPRIM_400000_NS6detail17trampoline_kernelINS0_13select_configILj256ELj13ELNS0_17block_load_methodE3ELS4_3ELS4_3ELNS0_20block_scan_algorithmE0ELj4294967295EEENS1_25partition_config_selectorILNS1_17partition_subalgoE4EjNS0_10empty_typeEbEEZZNS1_14partition_implILS8_4ELb0ES6_15HIP_vector_typeIjLj2EENS0_17counting_iteratorIjlEEPS9_SG_NS0_5tupleIJPjSI_NS0_16reverse_iteratorISI_EEEEENSH_IJSG_SG_SG_EEES9_SI_JZNS1_25segmented_radix_sort_implINS0_14default_configELb1EPKhPhPKlPlN2at6native12_GLOBAL__N_18offset_tEEE10hipError_tPvRmT1_PNSt15iterator_traitsIS12_E10value_typeET2_T3_PNS13_IS18_E10value_typeET4_jRbjT5_S1E_jjP12ihipStream_tbEUljE_ZNSN_ISO_Lb1ESQ_SR_ST_SU_SY_EESZ_S10_S11_S12_S16_S17_S18_S1B_S1C_jS1D_jS1E_S1E_jjS1G_bEUljE0_EEESZ_S10_S11_S18_S1C_S1E_T6_T7_T9_mT8_S1G_bDpT10_ENKUlT_T0_E_clISt17integral_constantIbLb1EES1T_IbLb0EEEEDaS1P_S1Q_EUlS1P_E_NS1_11comp_targetILNS1_3genE0ELNS1_11target_archE4294967295ELNS1_3gpuE0ELNS1_3repE0EEENS1_30default_config_static_selectorELNS0_4arch9wavefront6targetE0EEEvS12_ ; -- Begin function _ZN7rocprim17ROCPRIM_400000_NS6detail17trampoline_kernelINS0_13select_configILj256ELj13ELNS0_17block_load_methodE3ELS4_3ELS4_3ELNS0_20block_scan_algorithmE0ELj4294967295EEENS1_25partition_config_selectorILNS1_17partition_subalgoE4EjNS0_10empty_typeEbEEZZNS1_14partition_implILS8_4ELb0ES6_15HIP_vector_typeIjLj2EENS0_17counting_iteratorIjlEEPS9_SG_NS0_5tupleIJPjSI_NS0_16reverse_iteratorISI_EEEEENSH_IJSG_SG_SG_EEES9_SI_JZNS1_25segmented_radix_sort_implINS0_14default_configELb1EPKhPhPKlPlN2at6native12_GLOBAL__N_18offset_tEEE10hipError_tPvRmT1_PNSt15iterator_traitsIS12_E10value_typeET2_T3_PNS13_IS18_E10value_typeET4_jRbjT5_S1E_jjP12ihipStream_tbEUljE_ZNSN_ISO_Lb1ESQ_SR_ST_SU_SY_EESZ_S10_S11_S12_S16_S17_S18_S1B_S1C_jS1D_jS1E_S1E_jjS1G_bEUljE0_EEESZ_S10_S11_S18_S1C_S1E_T6_T7_T9_mT8_S1G_bDpT10_ENKUlT_T0_E_clISt17integral_constantIbLb1EES1T_IbLb0EEEEDaS1P_S1Q_EUlS1P_E_NS1_11comp_targetILNS1_3genE0ELNS1_11target_archE4294967295ELNS1_3gpuE0ELNS1_3repE0EEENS1_30default_config_static_selectorELNS0_4arch9wavefront6targetE0EEEvS12_
	.p2align	8
	.type	_ZN7rocprim17ROCPRIM_400000_NS6detail17trampoline_kernelINS0_13select_configILj256ELj13ELNS0_17block_load_methodE3ELS4_3ELS4_3ELNS0_20block_scan_algorithmE0ELj4294967295EEENS1_25partition_config_selectorILNS1_17partition_subalgoE4EjNS0_10empty_typeEbEEZZNS1_14partition_implILS8_4ELb0ES6_15HIP_vector_typeIjLj2EENS0_17counting_iteratorIjlEEPS9_SG_NS0_5tupleIJPjSI_NS0_16reverse_iteratorISI_EEEEENSH_IJSG_SG_SG_EEES9_SI_JZNS1_25segmented_radix_sort_implINS0_14default_configELb1EPKhPhPKlPlN2at6native12_GLOBAL__N_18offset_tEEE10hipError_tPvRmT1_PNSt15iterator_traitsIS12_E10value_typeET2_T3_PNS13_IS18_E10value_typeET4_jRbjT5_S1E_jjP12ihipStream_tbEUljE_ZNSN_ISO_Lb1ESQ_SR_ST_SU_SY_EESZ_S10_S11_S12_S16_S17_S18_S1B_S1C_jS1D_jS1E_S1E_jjS1G_bEUljE0_EEESZ_S10_S11_S18_S1C_S1E_T6_T7_T9_mT8_S1G_bDpT10_ENKUlT_T0_E_clISt17integral_constantIbLb1EES1T_IbLb0EEEEDaS1P_S1Q_EUlS1P_E_NS1_11comp_targetILNS1_3genE0ELNS1_11target_archE4294967295ELNS1_3gpuE0ELNS1_3repE0EEENS1_30default_config_static_selectorELNS0_4arch9wavefront6targetE0EEEvS12_,@function
_ZN7rocprim17ROCPRIM_400000_NS6detail17trampoline_kernelINS0_13select_configILj256ELj13ELNS0_17block_load_methodE3ELS4_3ELS4_3ELNS0_20block_scan_algorithmE0ELj4294967295EEENS1_25partition_config_selectorILNS1_17partition_subalgoE4EjNS0_10empty_typeEbEEZZNS1_14partition_implILS8_4ELb0ES6_15HIP_vector_typeIjLj2EENS0_17counting_iteratorIjlEEPS9_SG_NS0_5tupleIJPjSI_NS0_16reverse_iteratorISI_EEEEENSH_IJSG_SG_SG_EEES9_SI_JZNS1_25segmented_radix_sort_implINS0_14default_configELb1EPKhPhPKlPlN2at6native12_GLOBAL__N_18offset_tEEE10hipError_tPvRmT1_PNSt15iterator_traitsIS12_E10value_typeET2_T3_PNS13_IS18_E10value_typeET4_jRbjT5_S1E_jjP12ihipStream_tbEUljE_ZNSN_ISO_Lb1ESQ_SR_ST_SU_SY_EESZ_S10_S11_S12_S16_S17_S18_S1B_S1C_jS1D_jS1E_S1E_jjS1G_bEUljE0_EEESZ_S10_S11_S18_S1C_S1E_T6_T7_T9_mT8_S1G_bDpT10_ENKUlT_T0_E_clISt17integral_constantIbLb1EES1T_IbLb0EEEEDaS1P_S1Q_EUlS1P_E_NS1_11comp_targetILNS1_3genE0ELNS1_11target_archE4294967295ELNS1_3gpuE0ELNS1_3repE0EEENS1_30default_config_static_selectorELNS0_4arch9wavefront6targetE0EEEvS12_: ; @_ZN7rocprim17ROCPRIM_400000_NS6detail17trampoline_kernelINS0_13select_configILj256ELj13ELNS0_17block_load_methodE3ELS4_3ELS4_3ELNS0_20block_scan_algorithmE0ELj4294967295EEENS1_25partition_config_selectorILNS1_17partition_subalgoE4EjNS0_10empty_typeEbEEZZNS1_14partition_implILS8_4ELb0ES6_15HIP_vector_typeIjLj2EENS0_17counting_iteratorIjlEEPS9_SG_NS0_5tupleIJPjSI_NS0_16reverse_iteratorISI_EEEEENSH_IJSG_SG_SG_EEES9_SI_JZNS1_25segmented_radix_sort_implINS0_14default_configELb1EPKhPhPKlPlN2at6native12_GLOBAL__N_18offset_tEEE10hipError_tPvRmT1_PNSt15iterator_traitsIS12_E10value_typeET2_T3_PNS13_IS18_E10value_typeET4_jRbjT5_S1E_jjP12ihipStream_tbEUljE_ZNSN_ISO_Lb1ESQ_SR_ST_SU_SY_EESZ_S10_S11_S12_S16_S17_S18_S1B_S1C_jS1D_jS1E_S1E_jjS1G_bEUljE0_EEESZ_S10_S11_S18_S1C_S1E_T6_T7_T9_mT8_S1G_bDpT10_ENKUlT_T0_E_clISt17integral_constantIbLb1EES1T_IbLb0EEEEDaS1P_S1Q_EUlS1P_E_NS1_11comp_targetILNS1_3genE0ELNS1_11target_archE4294967295ELNS1_3gpuE0ELNS1_3repE0EEENS1_30default_config_static_selectorELNS0_4arch9wavefront6targetE0EEEvS12_
; %bb.0:
	.section	.rodata,"a",@progbits
	.p2align	6, 0x0
	.amdhsa_kernel _ZN7rocprim17ROCPRIM_400000_NS6detail17trampoline_kernelINS0_13select_configILj256ELj13ELNS0_17block_load_methodE3ELS4_3ELS4_3ELNS0_20block_scan_algorithmE0ELj4294967295EEENS1_25partition_config_selectorILNS1_17partition_subalgoE4EjNS0_10empty_typeEbEEZZNS1_14partition_implILS8_4ELb0ES6_15HIP_vector_typeIjLj2EENS0_17counting_iteratorIjlEEPS9_SG_NS0_5tupleIJPjSI_NS0_16reverse_iteratorISI_EEEEENSH_IJSG_SG_SG_EEES9_SI_JZNS1_25segmented_radix_sort_implINS0_14default_configELb1EPKhPhPKlPlN2at6native12_GLOBAL__N_18offset_tEEE10hipError_tPvRmT1_PNSt15iterator_traitsIS12_E10value_typeET2_T3_PNS13_IS18_E10value_typeET4_jRbjT5_S1E_jjP12ihipStream_tbEUljE_ZNSN_ISO_Lb1ESQ_SR_ST_SU_SY_EESZ_S10_S11_S12_S16_S17_S18_S1B_S1C_jS1D_jS1E_S1E_jjS1G_bEUljE0_EEESZ_S10_S11_S18_S1C_S1E_T6_T7_T9_mT8_S1G_bDpT10_ENKUlT_T0_E_clISt17integral_constantIbLb1EES1T_IbLb0EEEEDaS1P_S1Q_EUlS1P_E_NS1_11comp_targetILNS1_3genE0ELNS1_11target_archE4294967295ELNS1_3gpuE0ELNS1_3repE0EEENS1_30default_config_static_selectorELNS0_4arch9wavefront6targetE0EEEvS12_
		.amdhsa_group_segment_fixed_size 0
		.amdhsa_private_segment_fixed_size 0
		.amdhsa_kernarg_size 176
		.amdhsa_user_sgpr_count 6
		.amdhsa_user_sgpr_private_segment_buffer 1
		.amdhsa_user_sgpr_dispatch_ptr 0
		.amdhsa_user_sgpr_queue_ptr 0
		.amdhsa_user_sgpr_kernarg_segment_ptr 1
		.amdhsa_user_sgpr_dispatch_id 0
		.amdhsa_user_sgpr_flat_scratch_init 0
		.amdhsa_user_sgpr_private_segment_size 0
		.amdhsa_wavefront_size32 1
		.amdhsa_uses_dynamic_stack 0
		.amdhsa_system_sgpr_private_segment_wavefront_offset 0
		.amdhsa_system_sgpr_workgroup_id_x 1
		.amdhsa_system_sgpr_workgroup_id_y 0
		.amdhsa_system_sgpr_workgroup_id_z 0
		.amdhsa_system_sgpr_workgroup_info 0
		.amdhsa_system_vgpr_workitem_id 0
		.amdhsa_next_free_vgpr 1
		.amdhsa_next_free_sgpr 1
		.amdhsa_reserve_vcc 0
		.amdhsa_reserve_flat_scratch 0
		.amdhsa_float_round_mode_32 0
		.amdhsa_float_round_mode_16_64 0
		.amdhsa_float_denorm_mode_32 3
		.amdhsa_float_denorm_mode_16_64 3
		.amdhsa_dx10_clamp 1
		.amdhsa_ieee_mode 1
		.amdhsa_fp16_overflow 0
		.amdhsa_workgroup_processor_mode 1
		.amdhsa_memory_ordered 1
		.amdhsa_forward_progress 1
		.amdhsa_shared_vgpr_count 0
		.amdhsa_exception_fp_ieee_invalid_op 0
		.amdhsa_exception_fp_denorm_src 0
		.amdhsa_exception_fp_ieee_div_zero 0
		.amdhsa_exception_fp_ieee_overflow 0
		.amdhsa_exception_fp_ieee_underflow 0
		.amdhsa_exception_fp_ieee_inexact 0
		.amdhsa_exception_int_div_zero 0
	.end_amdhsa_kernel
	.section	.text._ZN7rocprim17ROCPRIM_400000_NS6detail17trampoline_kernelINS0_13select_configILj256ELj13ELNS0_17block_load_methodE3ELS4_3ELS4_3ELNS0_20block_scan_algorithmE0ELj4294967295EEENS1_25partition_config_selectorILNS1_17partition_subalgoE4EjNS0_10empty_typeEbEEZZNS1_14partition_implILS8_4ELb0ES6_15HIP_vector_typeIjLj2EENS0_17counting_iteratorIjlEEPS9_SG_NS0_5tupleIJPjSI_NS0_16reverse_iteratorISI_EEEEENSH_IJSG_SG_SG_EEES9_SI_JZNS1_25segmented_radix_sort_implINS0_14default_configELb1EPKhPhPKlPlN2at6native12_GLOBAL__N_18offset_tEEE10hipError_tPvRmT1_PNSt15iterator_traitsIS12_E10value_typeET2_T3_PNS13_IS18_E10value_typeET4_jRbjT5_S1E_jjP12ihipStream_tbEUljE_ZNSN_ISO_Lb1ESQ_SR_ST_SU_SY_EESZ_S10_S11_S12_S16_S17_S18_S1B_S1C_jS1D_jS1E_S1E_jjS1G_bEUljE0_EEESZ_S10_S11_S18_S1C_S1E_T6_T7_T9_mT8_S1G_bDpT10_ENKUlT_T0_E_clISt17integral_constantIbLb1EES1T_IbLb0EEEEDaS1P_S1Q_EUlS1P_E_NS1_11comp_targetILNS1_3genE0ELNS1_11target_archE4294967295ELNS1_3gpuE0ELNS1_3repE0EEENS1_30default_config_static_selectorELNS0_4arch9wavefront6targetE0EEEvS12_,"axG",@progbits,_ZN7rocprim17ROCPRIM_400000_NS6detail17trampoline_kernelINS0_13select_configILj256ELj13ELNS0_17block_load_methodE3ELS4_3ELS4_3ELNS0_20block_scan_algorithmE0ELj4294967295EEENS1_25partition_config_selectorILNS1_17partition_subalgoE4EjNS0_10empty_typeEbEEZZNS1_14partition_implILS8_4ELb0ES6_15HIP_vector_typeIjLj2EENS0_17counting_iteratorIjlEEPS9_SG_NS0_5tupleIJPjSI_NS0_16reverse_iteratorISI_EEEEENSH_IJSG_SG_SG_EEES9_SI_JZNS1_25segmented_radix_sort_implINS0_14default_configELb1EPKhPhPKlPlN2at6native12_GLOBAL__N_18offset_tEEE10hipError_tPvRmT1_PNSt15iterator_traitsIS12_E10value_typeET2_T3_PNS13_IS18_E10value_typeET4_jRbjT5_S1E_jjP12ihipStream_tbEUljE_ZNSN_ISO_Lb1ESQ_SR_ST_SU_SY_EESZ_S10_S11_S12_S16_S17_S18_S1B_S1C_jS1D_jS1E_S1E_jjS1G_bEUljE0_EEESZ_S10_S11_S18_S1C_S1E_T6_T7_T9_mT8_S1G_bDpT10_ENKUlT_T0_E_clISt17integral_constantIbLb1EES1T_IbLb0EEEEDaS1P_S1Q_EUlS1P_E_NS1_11comp_targetILNS1_3genE0ELNS1_11target_archE4294967295ELNS1_3gpuE0ELNS1_3repE0EEENS1_30default_config_static_selectorELNS0_4arch9wavefront6targetE0EEEvS12_,comdat
.Lfunc_end30:
	.size	_ZN7rocprim17ROCPRIM_400000_NS6detail17trampoline_kernelINS0_13select_configILj256ELj13ELNS0_17block_load_methodE3ELS4_3ELS4_3ELNS0_20block_scan_algorithmE0ELj4294967295EEENS1_25partition_config_selectorILNS1_17partition_subalgoE4EjNS0_10empty_typeEbEEZZNS1_14partition_implILS8_4ELb0ES6_15HIP_vector_typeIjLj2EENS0_17counting_iteratorIjlEEPS9_SG_NS0_5tupleIJPjSI_NS0_16reverse_iteratorISI_EEEEENSH_IJSG_SG_SG_EEES9_SI_JZNS1_25segmented_radix_sort_implINS0_14default_configELb1EPKhPhPKlPlN2at6native12_GLOBAL__N_18offset_tEEE10hipError_tPvRmT1_PNSt15iterator_traitsIS12_E10value_typeET2_T3_PNS13_IS18_E10value_typeET4_jRbjT5_S1E_jjP12ihipStream_tbEUljE_ZNSN_ISO_Lb1ESQ_SR_ST_SU_SY_EESZ_S10_S11_S12_S16_S17_S18_S1B_S1C_jS1D_jS1E_S1E_jjS1G_bEUljE0_EEESZ_S10_S11_S18_S1C_S1E_T6_T7_T9_mT8_S1G_bDpT10_ENKUlT_T0_E_clISt17integral_constantIbLb1EES1T_IbLb0EEEEDaS1P_S1Q_EUlS1P_E_NS1_11comp_targetILNS1_3genE0ELNS1_11target_archE4294967295ELNS1_3gpuE0ELNS1_3repE0EEENS1_30default_config_static_selectorELNS0_4arch9wavefront6targetE0EEEvS12_, .Lfunc_end30-_ZN7rocprim17ROCPRIM_400000_NS6detail17trampoline_kernelINS0_13select_configILj256ELj13ELNS0_17block_load_methodE3ELS4_3ELS4_3ELNS0_20block_scan_algorithmE0ELj4294967295EEENS1_25partition_config_selectorILNS1_17partition_subalgoE4EjNS0_10empty_typeEbEEZZNS1_14partition_implILS8_4ELb0ES6_15HIP_vector_typeIjLj2EENS0_17counting_iteratorIjlEEPS9_SG_NS0_5tupleIJPjSI_NS0_16reverse_iteratorISI_EEEEENSH_IJSG_SG_SG_EEES9_SI_JZNS1_25segmented_radix_sort_implINS0_14default_configELb1EPKhPhPKlPlN2at6native12_GLOBAL__N_18offset_tEEE10hipError_tPvRmT1_PNSt15iterator_traitsIS12_E10value_typeET2_T3_PNS13_IS18_E10value_typeET4_jRbjT5_S1E_jjP12ihipStream_tbEUljE_ZNSN_ISO_Lb1ESQ_SR_ST_SU_SY_EESZ_S10_S11_S12_S16_S17_S18_S1B_S1C_jS1D_jS1E_S1E_jjS1G_bEUljE0_EEESZ_S10_S11_S18_S1C_S1E_T6_T7_T9_mT8_S1G_bDpT10_ENKUlT_T0_E_clISt17integral_constantIbLb1EES1T_IbLb0EEEEDaS1P_S1Q_EUlS1P_E_NS1_11comp_targetILNS1_3genE0ELNS1_11target_archE4294967295ELNS1_3gpuE0ELNS1_3repE0EEENS1_30default_config_static_selectorELNS0_4arch9wavefront6targetE0EEEvS12_
                                        ; -- End function
	.set _ZN7rocprim17ROCPRIM_400000_NS6detail17trampoline_kernelINS0_13select_configILj256ELj13ELNS0_17block_load_methodE3ELS4_3ELS4_3ELNS0_20block_scan_algorithmE0ELj4294967295EEENS1_25partition_config_selectorILNS1_17partition_subalgoE4EjNS0_10empty_typeEbEEZZNS1_14partition_implILS8_4ELb0ES6_15HIP_vector_typeIjLj2EENS0_17counting_iteratorIjlEEPS9_SG_NS0_5tupleIJPjSI_NS0_16reverse_iteratorISI_EEEEENSH_IJSG_SG_SG_EEES9_SI_JZNS1_25segmented_radix_sort_implINS0_14default_configELb1EPKhPhPKlPlN2at6native12_GLOBAL__N_18offset_tEEE10hipError_tPvRmT1_PNSt15iterator_traitsIS12_E10value_typeET2_T3_PNS13_IS18_E10value_typeET4_jRbjT5_S1E_jjP12ihipStream_tbEUljE_ZNSN_ISO_Lb1ESQ_SR_ST_SU_SY_EESZ_S10_S11_S12_S16_S17_S18_S1B_S1C_jS1D_jS1E_S1E_jjS1G_bEUljE0_EEESZ_S10_S11_S18_S1C_S1E_T6_T7_T9_mT8_S1G_bDpT10_ENKUlT_T0_E_clISt17integral_constantIbLb1EES1T_IbLb0EEEEDaS1P_S1Q_EUlS1P_E_NS1_11comp_targetILNS1_3genE0ELNS1_11target_archE4294967295ELNS1_3gpuE0ELNS1_3repE0EEENS1_30default_config_static_selectorELNS0_4arch9wavefront6targetE0EEEvS12_.num_vgpr, 0
	.set _ZN7rocprim17ROCPRIM_400000_NS6detail17trampoline_kernelINS0_13select_configILj256ELj13ELNS0_17block_load_methodE3ELS4_3ELS4_3ELNS0_20block_scan_algorithmE0ELj4294967295EEENS1_25partition_config_selectorILNS1_17partition_subalgoE4EjNS0_10empty_typeEbEEZZNS1_14partition_implILS8_4ELb0ES6_15HIP_vector_typeIjLj2EENS0_17counting_iteratorIjlEEPS9_SG_NS0_5tupleIJPjSI_NS0_16reverse_iteratorISI_EEEEENSH_IJSG_SG_SG_EEES9_SI_JZNS1_25segmented_radix_sort_implINS0_14default_configELb1EPKhPhPKlPlN2at6native12_GLOBAL__N_18offset_tEEE10hipError_tPvRmT1_PNSt15iterator_traitsIS12_E10value_typeET2_T3_PNS13_IS18_E10value_typeET4_jRbjT5_S1E_jjP12ihipStream_tbEUljE_ZNSN_ISO_Lb1ESQ_SR_ST_SU_SY_EESZ_S10_S11_S12_S16_S17_S18_S1B_S1C_jS1D_jS1E_S1E_jjS1G_bEUljE0_EEESZ_S10_S11_S18_S1C_S1E_T6_T7_T9_mT8_S1G_bDpT10_ENKUlT_T0_E_clISt17integral_constantIbLb1EES1T_IbLb0EEEEDaS1P_S1Q_EUlS1P_E_NS1_11comp_targetILNS1_3genE0ELNS1_11target_archE4294967295ELNS1_3gpuE0ELNS1_3repE0EEENS1_30default_config_static_selectorELNS0_4arch9wavefront6targetE0EEEvS12_.num_agpr, 0
	.set _ZN7rocprim17ROCPRIM_400000_NS6detail17trampoline_kernelINS0_13select_configILj256ELj13ELNS0_17block_load_methodE3ELS4_3ELS4_3ELNS0_20block_scan_algorithmE0ELj4294967295EEENS1_25partition_config_selectorILNS1_17partition_subalgoE4EjNS0_10empty_typeEbEEZZNS1_14partition_implILS8_4ELb0ES6_15HIP_vector_typeIjLj2EENS0_17counting_iteratorIjlEEPS9_SG_NS0_5tupleIJPjSI_NS0_16reverse_iteratorISI_EEEEENSH_IJSG_SG_SG_EEES9_SI_JZNS1_25segmented_radix_sort_implINS0_14default_configELb1EPKhPhPKlPlN2at6native12_GLOBAL__N_18offset_tEEE10hipError_tPvRmT1_PNSt15iterator_traitsIS12_E10value_typeET2_T3_PNS13_IS18_E10value_typeET4_jRbjT5_S1E_jjP12ihipStream_tbEUljE_ZNSN_ISO_Lb1ESQ_SR_ST_SU_SY_EESZ_S10_S11_S12_S16_S17_S18_S1B_S1C_jS1D_jS1E_S1E_jjS1G_bEUljE0_EEESZ_S10_S11_S18_S1C_S1E_T6_T7_T9_mT8_S1G_bDpT10_ENKUlT_T0_E_clISt17integral_constantIbLb1EES1T_IbLb0EEEEDaS1P_S1Q_EUlS1P_E_NS1_11comp_targetILNS1_3genE0ELNS1_11target_archE4294967295ELNS1_3gpuE0ELNS1_3repE0EEENS1_30default_config_static_selectorELNS0_4arch9wavefront6targetE0EEEvS12_.numbered_sgpr, 0
	.set _ZN7rocprim17ROCPRIM_400000_NS6detail17trampoline_kernelINS0_13select_configILj256ELj13ELNS0_17block_load_methodE3ELS4_3ELS4_3ELNS0_20block_scan_algorithmE0ELj4294967295EEENS1_25partition_config_selectorILNS1_17partition_subalgoE4EjNS0_10empty_typeEbEEZZNS1_14partition_implILS8_4ELb0ES6_15HIP_vector_typeIjLj2EENS0_17counting_iteratorIjlEEPS9_SG_NS0_5tupleIJPjSI_NS0_16reverse_iteratorISI_EEEEENSH_IJSG_SG_SG_EEES9_SI_JZNS1_25segmented_radix_sort_implINS0_14default_configELb1EPKhPhPKlPlN2at6native12_GLOBAL__N_18offset_tEEE10hipError_tPvRmT1_PNSt15iterator_traitsIS12_E10value_typeET2_T3_PNS13_IS18_E10value_typeET4_jRbjT5_S1E_jjP12ihipStream_tbEUljE_ZNSN_ISO_Lb1ESQ_SR_ST_SU_SY_EESZ_S10_S11_S12_S16_S17_S18_S1B_S1C_jS1D_jS1E_S1E_jjS1G_bEUljE0_EEESZ_S10_S11_S18_S1C_S1E_T6_T7_T9_mT8_S1G_bDpT10_ENKUlT_T0_E_clISt17integral_constantIbLb1EES1T_IbLb0EEEEDaS1P_S1Q_EUlS1P_E_NS1_11comp_targetILNS1_3genE0ELNS1_11target_archE4294967295ELNS1_3gpuE0ELNS1_3repE0EEENS1_30default_config_static_selectorELNS0_4arch9wavefront6targetE0EEEvS12_.num_named_barrier, 0
	.set _ZN7rocprim17ROCPRIM_400000_NS6detail17trampoline_kernelINS0_13select_configILj256ELj13ELNS0_17block_load_methodE3ELS4_3ELS4_3ELNS0_20block_scan_algorithmE0ELj4294967295EEENS1_25partition_config_selectorILNS1_17partition_subalgoE4EjNS0_10empty_typeEbEEZZNS1_14partition_implILS8_4ELb0ES6_15HIP_vector_typeIjLj2EENS0_17counting_iteratorIjlEEPS9_SG_NS0_5tupleIJPjSI_NS0_16reverse_iteratorISI_EEEEENSH_IJSG_SG_SG_EEES9_SI_JZNS1_25segmented_radix_sort_implINS0_14default_configELb1EPKhPhPKlPlN2at6native12_GLOBAL__N_18offset_tEEE10hipError_tPvRmT1_PNSt15iterator_traitsIS12_E10value_typeET2_T3_PNS13_IS18_E10value_typeET4_jRbjT5_S1E_jjP12ihipStream_tbEUljE_ZNSN_ISO_Lb1ESQ_SR_ST_SU_SY_EESZ_S10_S11_S12_S16_S17_S18_S1B_S1C_jS1D_jS1E_S1E_jjS1G_bEUljE0_EEESZ_S10_S11_S18_S1C_S1E_T6_T7_T9_mT8_S1G_bDpT10_ENKUlT_T0_E_clISt17integral_constantIbLb1EES1T_IbLb0EEEEDaS1P_S1Q_EUlS1P_E_NS1_11comp_targetILNS1_3genE0ELNS1_11target_archE4294967295ELNS1_3gpuE0ELNS1_3repE0EEENS1_30default_config_static_selectorELNS0_4arch9wavefront6targetE0EEEvS12_.private_seg_size, 0
	.set _ZN7rocprim17ROCPRIM_400000_NS6detail17trampoline_kernelINS0_13select_configILj256ELj13ELNS0_17block_load_methodE3ELS4_3ELS4_3ELNS0_20block_scan_algorithmE0ELj4294967295EEENS1_25partition_config_selectorILNS1_17partition_subalgoE4EjNS0_10empty_typeEbEEZZNS1_14partition_implILS8_4ELb0ES6_15HIP_vector_typeIjLj2EENS0_17counting_iteratorIjlEEPS9_SG_NS0_5tupleIJPjSI_NS0_16reverse_iteratorISI_EEEEENSH_IJSG_SG_SG_EEES9_SI_JZNS1_25segmented_radix_sort_implINS0_14default_configELb1EPKhPhPKlPlN2at6native12_GLOBAL__N_18offset_tEEE10hipError_tPvRmT1_PNSt15iterator_traitsIS12_E10value_typeET2_T3_PNS13_IS18_E10value_typeET4_jRbjT5_S1E_jjP12ihipStream_tbEUljE_ZNSN_ISO_Lb1ESQ_SR_ST_SU_SY_EESZ_S10_S11_S12_S16_S17_S18_S1B_S1C_jS1D_jS1E_S1E_jjS1G_bEUljE0_EEESZ_S10_S11_S18_S1C_S1E_T6_T7_T9_mT8_S1G_bDpT10_ENKUlT_T0_E_clISt17integral_constantIbLb1EES1T_IbLb0EEEEDaS1P_S1Q_EUlS1P_E_NS1_11comp_targetILNS1_3genE0ELNS1_11target_archE4294967295ELNS1_3gpuE0ELNS1_3repE0EEENS1_30default_config_static_selectorELNS0_4arch9wavefront6targetE0EEEvS12_.uses_vcc, 0
	.set _ZN7rocprim17ROCPRIM_400000_NS6detail17trampoline_kernelINS0_13select_configILj256ELj13ELNS0_17block_load_methodE3ELS4_3ELS4_3ELNS0_20block_scan_algorithmE0ELj4294967295EEENS1_25partition_config_selectorILNS1_17partition_subalgoE4EjNS0_10empty_typeEbEEZZNS1_14partition_implILS8_4ELb0ES6_15HIP_vector_typeIjLj2EENS0_17counting_iteratorIjlEEPS9_SG_NS0_5tupleIJPjSI_NS0_16reverse_iteratorISI_EEEEENSH_IJSG_SG_SG_EEES9_SI_JZNS1_25segmented_radix_sort_implINS0_14default_configELb1EPKhPhPKlPlN2at6native12_GLOBAL__N_18offset_tEEE10hipError_tPvRmT1_PNSt15iterator_traitsIS12_E10value_typeET2_T3_PNS13_IS18_E10value_typeET4_jRbjT5_S1E_jjP12ihipStream_tbEUljE_ZNSN_ISO_Lb1ESQ_SR_ST_SU_SY_EESZ_S10_S11_S12_S16_S17_S18_S1B_S1C_jS1D_jS1E_S1E_jjS1G_bEUljE0_EEESZ_S10_S11_S18_S1C_S1E_T6_T7_T9_mT8_S1G_bDpT10_ENKUlT_T0_E_clISt17integral_constantIbLb1EES1T_IbLb0EEEEDaS1P_S1Q_EUlS1P_E_NS1_11comp_targetILNS1_3genE0ELNS1_11target_archE4294967295ELNS1_3gpuE0ELNS1_3repE0EEENS1_30default_config_static_selectorELNS0_4arch9wavefront6targetE0EEEvS12_.uses_flat_scratch, 0
	.set _ZN7rocprim17ROCPRIM_400000_NS6detail17trampoline_kernelINS0_13select_configILj256ELj13ELNS0_17block_load_methodE3ELS4_3ELS4_3ELNS0_20block_scan_algorithmE0ELj4294967295EEENS1_25partition_config_selectorILNS1_17partition_subalgoE4EjNS0_10empty_typeEbEEZZNS1_14partition_implILS8_4ELb0ES6_15HIP_vector_typeIjLj2EENS0_17counting_iteratorIjlEEPS9_SG_NS0_5tupleIJPjSI_NS0_16reverse_iteratorISI_EEEEENSH_IJSG_SG_SG_EEES9_SI_JZNS1_25segmented_radix_sort_implINS0_14default_configELb1EPKhPhPKlPlN2at6native12_GLOBAL__N_18offset_tEEE10hipError_tPvRmT1_PNSt15iterator_traitsIS12_E10value_typeET2_T3_PNS13_IS18_E10value_typeET4_jRbjT5_S1E_jjP12ihipStream_tbEUljE_ZNSN_ISO_Lb1ESQ_SR_ST_SU_SY_EESZ_S10_S11_S12_S16_S17_S18_S1B_S1C_jS1D_jS1E_S1E_jjS1G_bEUljE0_EEESZ_S10_S11_S18_S1C_S1E_T6_T7_T9_mT8_S1G_bDpT10_ENKUlT_T0_E_clISt17integral_constantIbLb1EES1T_IbLb0EEEEDaS1P_S1Q_EUlS1P_E_NS1_11comp_targetILNS1_3genE0ELNS1_11target_archE4294967295ELNS1_3gpuE0ELNS1_3repE0EEENS1_30default_config_static_selectorELNS0_4arch9wavefront6targetE0EEEvS12_.has_dyn_sized_stack, 0
	.set _ZN7rocprim17ROCPRIM_400000_NS6detail17trampoline_kernelINS0_13select_configILj256ELj13ELNS0_17block_load_methodE3ELS4_3ELS4_3ELNS0_20block_scan_algorithmE0ELj4294967295EEENS1_25partition_config_selectorILNS1_17partition_subalgoE4EjNS0_10empty_typeEbEEZZNS1_14partition_implILS8_4ELb0ES6_15HIP_vector_typeIjLj2EENS0_17counting_iteratorIjlEEPS9_SG_NS0_5tupleIJPjSI_NS0_16reverse_iteratorISI_EEEEENSH_IJSG_SG_SG_EEES9_SI_JZNS1_25segmented_radix_sort_implINS0_14default_configELb1EPKhPhPKlPlN2at6native12_GLOBAL__N_18offset_tEEE10hipError_tPvRmT1_PNSt15iterator_traitsIS12_E10value_typeET2_T3_PNS13_IS18_E10value_typeET4_jRbjT5_S1E_jjP12ihipStream_tbEUljE_ZNSN_ISO_Lb1ESQ_SR_ST_SU_SY_EESZ_S10_S11_S12_S16_S17_S18_S1B_S1C_jS1D_jS1E_S1E_jjS1G_bEUljE0_EEESZ_S10_S11_S18_S1C_S1E_T6_T7_T9_mT8_S1G_bDpT10_ENKUlT_T0_E_clISt17integral_constantIbLb1EES1T_IbLb0EEEEDaS1P_S1Q_EUlS1P_E_NS1_11comp_targetILNS1_3genE0ELNS1_11target_archE4294967295ELNS1_3gpuE0ELNS1_3repE0EEENS1_30default_config_static_selectorELNS0_4arch9wavefront6targetE0EEEvS12_.has_recursion, 0
	.set _ZN7rocprim17ROCPRIM_400000_NS6detail17trampoline_kernelINS0_13select_configILj256ELj13ELNS0_17block_load_methodE3ELS4_3ELS4_3ELNS0_20block_scan_algorithmE0ELj4294967295EEENS1_25partition_config_selectorILNS1_17partition_subalgoE4EjNS0_10empty_typeEbEEZZNS1_14partition_implILS8_4ELb0ES6_15HIP_vector_typeIjLj2EENS0_17counting_iteratorIjlEEPS9_SG_NS0_5tupleIJPjSI_NS0_16reverse_iteratorISI_EEEEENSH_IJSG_SG_SG_EEES9_SI_JZNS1_25segmented_radix_sort_implINS0_14default_configELb1EPKhPhPKlPlN2at6native12_GLOBAL__N_18offset_tEEE10hipError_tPvRmT1_PNSt15iterator_traitsIS12_E10value_typeET2_T3_PNS13_IS18_E10value_typeET4_jRbjT5_S1E_jjP12ihipStream_tbEUljE_ZNSN_ISO_Lb1ESQ_SR_ST_SU_SY_EESZ_S10_S11_S12_S16_S17_S18_S1B_S1C_jS1D_jS1E_S1E_jjS1G_bEUljE0_EEESZ_S10_S11_S18_S1C_S1E_T6_T7_T9_mT8_S1G_bDpT10_ENKUlT_T0_E_clISt17integral_constantIbLb1EES1T_IbLb0EEEEDaS1P_S1Q_EUlS1P_E_NS1_11comp_targetILNS1_3genE0ELNS1_11target_archE4294967295ELNS1_3gpuE0ELNS1_3repE0EEENS1_30default_config_static_selectorELNS0_4arch9wavefront6targetE0EEEvS12_.has_indirect_call, 0
	.section	.AMDGPU.csdata,"",@progbits
; Kernel info:
; codeLenInByte = 0
; TotalNumSgprs: 0
; NumVgprs: 0
; ScratchSize: 0
; MemoryBound: 0
; FloatMode: 240
; IeeeMode: 1
; LDSByteSize: 0 bytes/workgroup (compile time only)
; SGPRBlocks: 0
; VGPRBlocks: 0
; NumSGPRsForWavesPerEU: 1
; NumVGPRsForWavesPerEU: 1
; Occupancy: 16
; WaveLimiterHint : 0
; COMPUTE_PGM_RSRC2:SCRATCH_EN: 0
; COMPUTE_PGM_RSRC2:USER_SGPR: 6
; COMPUTE_PGM_RSRC2:TRAP_HANDLER: 0
; COMPUTE_PGM_RSRC2:TGID_X_EN: 1
; COMPUTE_PGM_RSRC2:TGID_Y_EN: 0
; COMPUTE_PGM_RSRC2:TGID_Z_EN: 0
; COMPUTE_PGM_RSRC2:TIDIG_COMP_CNT: 0
	.section	.text._ZN7rocprim17ROCPRIM_400000_NS6detail17trampoline_kernelINS0_13select_configILj256ELj13ELNS0_17block_load_methodE3ELS4_3ELS4_3ELNS0_20block_scan_algorithmE0ELj4294967295EEENS1_25partition_config_selectorILNS1_17partition_subalgoE4EjNS0_10empty_typeEbEEZZNS1_14partition_implILS8_4ELb0ES6_15HIP_vector_typeIjLj2EENS0_17counting_iteratorIjlEEPS9_SG_NS0_5tupleIJPjSI_NS0_16reverse_iteratorISI_EEEEENSH_IJSG_SG_SG_EEES9_SI_JZNS1_25segmented_radix_sort_implINS0_14default_configELb1EPKhPhPKlPlN2at6native12_GLOBAL__N_18offset_tEEE10hipError_tPvRmT1_PNSt15iterator_traitsIS12_E10value_typeET2_T3_PNS13_IS18_E10value_typeET4_jRbjT5_S1E_jjP12ihipStream_tbEUljE_ZNSN_ISO_Lb1ESQ_SR_ST_SU_SY_EESZ_S10_S11_S12_S16_S17_S18_S1B_S1C_jS1D_jS1E_S1E_jjS1G_bEUljE0_EEESZ_S10_S11_S18_S1C_S1E_T6_T7_T9_mT8_S1G_bDpT10_ENKUlT_T0_E_clISt17integral_constantIbLb1EES1T_IbLb0EEEEDaS1P_S1Q_EUlS1P_E_NS1_11comp_targetILNS1_3genE5ELNS1_11target_archE942ELNS1_3gpuE9ELNS1_3repE0EEENS1_30default_config_static_selectorELNS0_4arch9wavefront6targetE0EEEvS12_,"axG",@progbits,_ZN7rocprim17ROCPRIM_400000_NS6detail17trampoline_kernelINS0_13select_configILj256ELj13ELNS0_17block_load_methodE3ELS4_3ELS4_3ELNS0_20block_scan_algorithmE0ELj4294967295EEENS1_25partition_config_selectorILNS1_17partition_subalgoE4EjNS0_10empty_typeEbEEZZNS1_14partition_implILS8_4ELb0ES6_15HIP_vector_typeIjLj2EENS0_17counting_iteratorIjlEEPS9_SG_NS0_5tupleIJPjSI_NS0_16reverse_iteratorISI_EEEEENSH_IJSG_SG_SG_EEES9_SI_JZNS1_25segmented_radix_sort_implINS0_14default_configELb1EPKhPhPKlPlN2at6native12_GLOBAL__N_18offset_tEEE10hipError_tPvRmT1_PNSt15iterator_traitsIS12_E10value_typeET2_T3_PNS13_IS18_E10value_typeET4_jRbjT5_S1E_jjP12ihipStream_tbEUljE_ZNSN_ISO_Lb1ESQ_SR_ST_SU_SY_EESZ_S10_S11_S12_S16_S17_S18_S1B_S1C_jS1D_jS1E_S1E_jjS1G_bEUljE0_EEESZ_S10_S11_S18_S1C_S1E_T6_T7_T9_mT8_S1G_bDpT10_ENKUlT_T0_E_clISt17integral_constantIbLb1EES1T_IbLb0EEEEDaS1P_S1Q_EUlS1P_E_NS1_11comp_targetILNS1_3genE5ELNS1_11target_archE942ELNS1_3gpuE9ELNS1_3repE0EEENS1_30default_config_static_selectorELNS0_4arch9wavefront6targetE0EEEvS12_,comdat
	.globl	_ZN7rocprim17ROCPRIM_400000_NS6detail17trampoline_kernelINS0_13select_configILj256ELj13ELNS0_17block_load_methodE3ELS4_3ELS4_3ELNS0_20block_scan_algorithmE0ELj4294967295EEENS1_25partition_config_selectorILNS1_17partition_subalgoE4EjNS0_10empty_typeEbEEZZNS1_14partition_implILS8_4ELb0ES6_15HIP_vector_typeIjLj2EENS0_17counting_iteratorIjlEEPS9_SG_NS0_5tupleIJPjSI_NS0_16reverse_iteratorISI_EEEEENSH_IJSG_SG_SG_EEES9_SI_JZNS1_25segmented_radix_sort_implINS0_14default_configELb1EPKhPhPKlPlN2at6native12_GLOBAL__N_18offset_tEEE10hipError_tPvRmT1_PNSt15iterator_traitsIS12_E10value_typeET2_T3_PNS13_IS18_E10value_typeET4_jRbjT5_S1E_jjP12ihipStream_tbEUljE_ZNSN_ISO_Lb1ESQ_SR_ST_SU_SY_EESZ_S10_S11_S12_S16_S17_S18_S1B_S1C_jS1D_jS1E_S1E_jjS1G_bEUljE0_EEESZ_S10_S11_S18_S1C_S1E_T6_T7_T9_mT8_S1G_bDpT10_ENKUlT_T0_E_clISt17integral_constantIbLb1EES1T_IbLb0EEEEDaS1P_S1Q_EUlS1P_E_NS1_11comp_targetILNS1_3genE5ELNS1_11target_archE942ELNS1_3gpuE9ELNS1_3repE0EEENS1_30default_config_static_selectorELNS0_4arch9wavefront6targetE0EEEvS12_ ; -- Begin function _ZN7rocprim17ROCPRIM_400000_NS6detail17trampoline_kernelINS0_13select_configILj256ELj13ELNS0_17block_load_methodE3ELS4_3ELS4_3ELNS0_20block_scan_algorithmE0ELj4294967295EEENS1_25partition_config_selectorILNS1_17partition_subalgoE4EjNS0_10empty_typeEbEEZZNS1_14partition_implILS8_4ELb0ES6_15HIP_vector_typeIjLj2EENS0_17counting_iteratorIjlEEPS9_SG_NS0_5tupleIJPjSI_NS0_16reverse_iteratorISI_EEEEENSH_IJSG_SG_SG_EEES9_SI_JZNS1_25segmented_radix_sort_implINS0_14default_configELb1EPKhPhPKlPlN2at6native12_GLOBAL__N_18offset_tEEE10hipError_tPvRmT1_PNSt15iterator_traitsIS12_E10value_typeET2_T3_PNS13_IS18_E10value_typeET4_jRbjT5_S1E_jjP12ihipStream_tbEUljE_ZNSN_ISO_Lb1ESQ_SR_ST_SU_SY_EESZ_S10_S11_S12_S16_S17_S18_S1B_S1C_jS1D_jS1E_S1E_jjS1G_bEUljE0_EEESZ_S10_S11_S18_S1C_S1E_T6_T7_T9_mT8_S1G_bDpT10_ENKUlT_T0_E_clISt17integral_constantIbLb1EES1T_IbLb0EEEEDaS1P_S1Q_EUlS1P_E_NS1_11comp_targetILNS1_3genE5ELNS1_11target_archE942ELNS1_3gpuE9ELNS1_3repE0EEENS1_30default_config_static_selectorELNS0_4arch9wavefront6targetE0EEEvS12_
	.p2align	8
	.type	_ZN7rocprim17ROCPRIM_400000_NS6detail17trampoline_kernelINS0_13select_configILj256ELj13ELNS0_17block_load_methodE3ELS4_3ELS4_3ELNS0_20block_scan_algorithmE0ELj4294967295EEENS1_25partition_config_selectorILNS1_17partition_subalgoE4EjNS0_10empty_typeEbEEZZNS1_14partition_implILS8_4ELb0ES6_15HIP_vector_typeIjLj2EENS0_17counting_iteratorIjlEEPS9_SG_NS0_5tupleIJPjSI_NS0_16reverse_iteratorISI_EEEEENSH_IJSG_SG_SG_EEES9_SI_JZNS1_25segmented_radix_sort_implINS0_14default_configELb1EPKhPhPKlPlN2at6native12_GLOBAL__N_18offset_tEEE10hipError_tPvRmT1_PNSt15iterator_traitsIS12_E10value_typeET2_T3_PNS13_IS18_E10value_typeET4_jRbjT5_S1E_jjP12ihipStream_tbEUljE_ZNSN_ISO_Lb1ESQ_SR_ST_SU_SY_EESZ_S10_S11_S12_S16_S17_S18_S1B_S1C_jS1D_jS1E_S1E_jjS1G_bEUljE0_EEESZ_S10_S11_S18_S1C_S1E_T6_T7_T9_mT8_S1G_bDpT10_ENKUlT_T0_E_clISt17integral_constantIbLb1EES1T_IbLb0EEEEDaS1P_S1Q_EUlS1P_E_NS1_11comp_targetILNS1_3genE5ELNS1_11target_archE942ELNS1_3gpuE9ELNS1_3repE0EEENS1_30default_config_static_selectorELNS0_4arch9wavefront6targetE0EEEvS12_,@function
_ZN7rocprim17ROCPRIM_400000_NS6detail17trampoline_kernelINS0_13select_configILj256ELj13ELNS0_17block_load_methodE3ELS4_3ELS4_3ELNS0_20block_scan_algorithmE0ELj4294967295EEENS1_25partition_config_selectorILNS1_17partition_subalgoE4EjNS0_10empty_typeEbEEZZNS1_14partition_implILS8_4ELb0ES6_15HIP_vector_typeIjLj2EENS0_17counting_iteratorIjlEEPS9_SG_NS0_5tupleIJPjSI_NS0_16reverse_iteratorISI_EEEEENSH_IJSG_SG_SG_EEES9_SI_JZNS1_25segmented_radix_sort_implINS0_14default_configELb1EPKhPhPKlPlN2at6native12_GLOBAL__N_18offset_tEEE10hipError_tPvRmT1_PNSt15iterator_traitsIS12_E10value_typeET2_T3_PNS13_IS18_E10value_typeET4_jRbjT5_S1E_jjP12ihipStream_tbEUljE_ZNSN_ISO_Lb1ESQ_SR_ST_SU_SY_EESZ_S10_S11_S12_S16_S17_S18_S1B_S1C_jS1D_jS1E_S1E_jjS1G_bEUljE0_EEESZ_S10_S11_S18_S1C_S1E_T6_T7_T9_mT8_S1G_bDpT10_ENKUlT_T0_E_clISt17integral_constantIbLb1EES1T_IbLb0EEEEDaS1P_S1Q_EUlS1P_E_NS1_11comp_targetILNS1_3genE5ELNS1_11target_archE942ELNS1_3gpuE9ELNS1_3repE0EEENS1_30default_config_static_selectorELNS0_4arch9wavefront6targetE0EEEvS12_: ; @_ZN7rocprim17ROCPRIM_400000_NS6detail17trampoline_kernelINS0_13select_configILj256ELj13ELNS0_17block_load_methodE3ELS4_3ELS4_3ELNS0_20block_scan_algorithmE0ELj4294967295EEENS1_25partition_config_selectorILNS1_17partition_subalgoE4EjNS0_10empty_typeEbEEZZNS1_14partition_implILS8_4ELb0ES6_15HIP_vector_typeIjLj2EENS0_17counting_iteratorIjlEEPS9_SG_NS0_5tupleIJPjSI_NS0_16reverse_iteratorISI_EEEEENSH_IJSG_SG_SG_EEES9_SI_JZNS1_25segmented_radix_sort_implINS0_14default_configELb1EPKhPhPKlPlN2at6native12_GLOBAL__N_18offset_tEEE10hipError_tPvRmT1_PNSt15iterator_traitsIS12_E10value_typeET2_T3_PNS13_IS18_E10value_typeET4_jRbjT5_S1E_jjP12ihipStream_tbEUljE_ZNSN_ISO_Lb1ESQ_SR_ST_SU_SY_EESZ_S10_S11_S12_S16_S17_S18_S1B_S1C_jS1D_jS1E_S1E_jjS1G_bEUljE0_EEESZ_S10_S11_S18_S1C_S1E_T6_T7_T9_mT8_S1G_bDpT10_ENKUlT_T0_E_clISt17integral_constantIbLb1EES1T_IbLb0EEEEDaS1P_S1Q_EUlS1P_E_NS1_11comp_targetILNS1_3genE5ELNS1_11target_archE942ELNS1_3gpuE9ELNS1_3repE0EEENS1_30default_config_static_selectorELNS0_4arch9wavefront6targetE0EEEvS12_
; %bb.0:
	.section	.rodata,"a",@progbits
	.p2align	6, 0x0
	.amdhsa_kernel _ZN7rocprim17ROCPRIM_400000_NS6detail17trampoline_kernelINS0_13select_configILj256ELj13ELNS0_17block_load_methodE3ELS4_3ELS4_3ELNS0_20block_scan_algorithmE0ELj4294967295EEENS1_25partition_config_selectorILNS1_17partition_subalgoE4EjNS0_10empty_typeEbEEZZNS1_14partition_implILS8_4ELb0ES6_15HIP_vector_typeIjLj2EENS0_17counting_iteratorIjlEEPS9_SG_NS0_5tupleIJPjSI_NS0_16reverse_iteratorISI_EEEEENSH_IJSG_SG_SG_EEES9_SI_JZNS1_25segmented_radix_sort_implINS0_14default_configELb1EPKhPhPKlPlN2at6native12_GLOBAL__N_18offset_tEEE10hipError_tPvRmT1_PNSt15iterator_traitsIS12_E10value_typeET2_T3_PNS13_IS18_E10value_typeET4_jRbjT5_S1E_jjP12ihipStream_tbEUljE_ZNSN_ISO_Lb1ESQ_SR_ST_SU_SY_EESZ_S10_S11_S12_S16_S17_S18_S1B_S1C_jS1D_jS1E_S1E_jjS1G_bEUljE0_EEESZ_S10_S11_S18_S1C_S1E_T6_T7_T9_mT8_S1G_bDpT10_ENKUlT_T0_E_clISt17integral_constantIbLb1EES1T_IbLb0EEEEDaS1P_S1Q_EUlS1P_E_NS1_11comp_targetILNS1_3genE5ELNS1_11target_archE942ELNS1_3gpuE9ELNS1_3repE0EEENS1_30default_config_static_selectorELNS0_4arch9wavefront6targetE0EEEvS12_
		.amdhsa_group_segment_fixed_size 0
		.amdhsa_private_segment_fixed_size 0
		.amdhsa_kernarg_size 176
		.amdhsa_user_sgpr_count 6
		.amdhsa_user_sgpr_private_segment_buffer 1
		.amdhsa_user_sgpr_dispatch_ptr 0
		.amdhsa_user_sgpr_queue_ptr 0
		.amdhsa_user_sgpr_kernarg_segment_ptr 1
		.amdhsa_user_sgpr_dispatch_id 0
		.amdhsa_user_sgpr_flat_scratch_init 0
		.amdhsa_user_sgpr_private_segment_size 0
		.amdhsa_wavefront_size32 1
		.amdhsa_uses_dynamic_stack 0
		.amdhsa_system_sgpr_private_segment_wavefront_offset 0
		.amdhsa_system_sgpr_workgroup_id_x 1
		.amdhsa_system_sgpr_workgroup_id_y 0
		.amdhsa_system_sgpr_workgroup_id_z 0
		.amdhsa_system_sgpr_workgroup_info 0
		.amdhsa_system_vgpr_workitem_id 0
		.amdhsa_next_free_vgpr 1
		.amdhsa_next_free_sgpr 1
		.amdhsa_reserve_vcc 0
		.amdhsa_reserve_flat_scratch 0
		.amdhsa_float_round_mode_32 0
		.amdhsa_float_round_mode_16_64 0
		.amdhsa_float_denorm_mode_32 3
		.amdhsa_float_denorm_mode_16_64 3
		.amdhsa_dx10_clamp 1
		.amdhsa_ieee_mode 1
		.amdhsa_fp16_overflow 0
		.amdhsa_workgroup_processor_mode 1
		.amdhsa_memory_ordered 1
		.amdhsa_forward_progress 1
		.amdhsa_shared_vgpr_count 0
		.amdhsa_exception_fp_ieee_invalid_op 0
		.amdhsa_exception_fp_denorm_src 0
		.amdhsa_exception_fp_ieee_div_zero 0
		.amdhsa_exception_fp_ieee_overflow 0
		.amdhsa_exception_fp_ieee_underflow 0
		.amdhsa_exception_fp_ieee_inexact 0
		.amdhsa_exception_int_div_zero 0
	.end_amdhsa_kernel
	.section	.text._ZN7rocprim17ROCPRIM_400000_NS6detail17trampoline_kernelINS0_13select_configILj256ELj13ELNS0_17block_load_methodE3ELS4_3ELS4_3ELNS0_20block_scan_algorithmE0ELj4294967295EEENS1_25partition_config_selectorILNS1_17partition_subalgoE4EjNS0_10empty_typeEbEEZZNS1_14partition_implILS8_4ELb0ES6_15HIP_vector_typeIjLj2EENS0_17counting_iteratorIjlEEPS9_SG_NS0_5tupleIJPjSI_NS0_16reverse_iteratorISI_EEEEENSH_IJSG_SG_SG_EEES9_SI_JZNS1_25segmented_radix_sort_implINS0_14default_configELb1EPKhPhPKlPlN2at6native12_GLOBAL__N_18offset_tEEE10hipError_tPvRmT1_PNSt15iterator_traitsIS12_E10value_typeET2_T3_PNS13_IS18_E10value_typeET4_jRbjT5_S1E_jjP12ihipStream_tbEUljE_ZNSN_ISO_Lb1ESQ_SR_ST_SU_SY_EESZ_S10_S11_S12_S16_S17_S18_S1B_S1C_jS1D_jS1E_S1E_jjS1G_bEUljE0_EEESZ_S10_S11_S18_S1C_S1E_T6_T7_T9_mT8_S1G_bDpT10_ENKUlT_T0_E_clISt17integral_constantIbLb1EES1T_IbLb0EEEEDaS1P_S1Q_EUlS1P_E_NS1_11comp_targetILNS1_3genE5ELNS1_11target_archE942ELNS1_3gpuE9ELNS1_3repE0EEENS1_30default_config_static_selectorELNS0_4arch9wavefront6targetE0EEEvS12_,"axG",@progbits,_ZN7rocprim17ROCPRIM_400000_NS6detail17trampoline_kernelINS0_13select_configILj256ELj13ELNS0_17block_load_methodE3ELS4_3ELS4_3ELNS0_20block_scan_algorithmE0ELj4294967295EEENS1_25partition_config_selectorILNS1_17partition_subalgoE4EjNS0_10empty_typeEbEEZZNS1_14partition_implILS8_4ELb0ES6_15HIP_vector_typeIjLj2EENS0_17counting_iteratorIjlEEPS9_SG_NS0_5tupleIJPjSI_NS0_16reverse_iteratorISI_EEEEENSH_IJSG_SG_SG_EEES9_SI_JZNS1_25segmented_radix_sort_implINS0_14default_configELb1EPKhPhPKlPlN2at6native12_GLOBAL__N_18offset_tEEE10hipError_tPvRmT1_PNSt15iterator_traitsIS12_E10value_typeET2_T3_PNS13_IS18_E10value_typeET4_jRbjT5_S1E_jjP12ihipStream_tbEUljE_ZNSN_ISO_Lb1ESQ_SR_ST_SU_SY_EESZ_S10_S11_S12_S16_S17_S18_S1B_S1C_jS1D_jS1E_S1E_jjS1G_bEUljE0_EEESZ_S10_S11_S18_S1C_S1E_T6_T7_T9_mT8_S1G_bDpT10_ENKUlT_T0_E_clISt17integral_constantIbLb1EES1T_IbLb0EEEEDaS1P_S1Q_EUlS1P_E_NS1_11comp_targetILNS1_3genE5ELNS1_11target_archE942ELNS1_3gpuE9ELNS1_3repE0EEENS1_30default_config_static_selectorELNS0_4arch9wavefront6targetE0EEEvS12_,comdat
.Lfunc_end31:
	.size	_ZN7rocprim17ROCPRIM_400000_NS6detail17trampoline_kernelINS0_13select_configILj256ELj13ELNS0_17block_load_methodE3ELS4_3ELS4_3ELNS0_20block_scan_algorithmE0ELj4294967295EEENS1_25partition_config_selectorILNS1_17partition_subalgoE4EjNS0_10empty_typeEbEEZZNS1_14partition_implILS8_4ELb0ES6_15HIP_vector_typeIjLj2EENS0_17counting_iteratorIjlEEPS9_SG_NS0_5tupleIJPjSI_NS0_16reverse_iteratorISI_EEEEENSH_IJSG_SG_SG_EEES9_SI_JZNS1_25segmented_radix_sort_implINS0_14default_configELb1EPKhPhPKlPlN2at6native12_GLOBAL__N_18offset_tEEE10hipError_tPvRmT1_PNSt15iterator_traitsIS12_E10value_typeET2_T3_PNS13_IS18_E10value_typeET4_jRbjT5_S1E_jjP12ihipStream_tbEUljE_ZNSN_ISO_Lb1ESQ_SR_ST_SU_SY_EESZ_S10_S11_S12_S16_S17_S18_S1B_S1C_jS1D_jS1E_S1E_jjS1G_bEUljE0_EEESZ_S10_S11_S18_S1C_S1E_T6_T7_T9_mT8_S1G_bDpT10_ENKUlT_T0_E_clISt17integral_constantIbLb1EES1T_IbLb0EEEEDaS1P_S1Q_EUlS1P_E_NS1_11comp_targetILNS1_3genE5ELNS1_11target_archE942ELNS1_3gpuE9ELNS1_3repE0EEENS1_30default_config_static_selectorELNS0_4arch9wavefront6targetE0EEEvS12_, .Lfunc_end31-_ZN7rocprim17ROCPRIM_400000_NS6detail17trampoline_kernelINS0_13select_configILj256ELj13ELNS0_17block_load_methodE3ELS4_3ELS4_3ELNS0_20block_scan_algorithmE0ELj4294967295EEENS1_25partition_config_selectorILNS1_17partition_subalgoE4EjNS0_10empty_typeEbEEZZNS1_14partition_implILS8_4ELb0ES6_15HIP_vector_typeIjLj2EENS0_17counting_iteratorIjlEEPS9_SG_NS0_5tupleIJPjSI_NS0_16reverse_iteratorISI_EEEEENSH_IJSG_SG_SG_EEES9_SI_JZNS1_25segmented_radix_sort_implINS0_14default_configELb1EPKhPhPKlPlN2at6native12_GLOBAL__N_18offset_tEEE10hipError_tPvRmT1_PNSt15iterator_traitsIS12_E10value_typeET2_T3_PNS13_IS18_E10value_typeET4_jRbjT5_S1E_jjP12ihipStream_tbEUljE_ZNSN_ISO_Lb1ESQ_SR_ST_SU_SY_EESZ_S10_S11_S12_S16_S17_S18_S1B_S1C_jS1D_jS1E_S1E_jjS1G_bEUljE0_EEESZ_S10_S11_S18_S1C_S1E_T6_T7_T9_mT8_S1G_bDpT10_ENKUlT_T0_E_clISt17integral_constantIbLb1EES1T_IbLb0EEEEDaS1P_S1Q_EUlS1P_E_NS1_11comp_targetILNS1_3genE5ELNS1_11target_archE942ELNS1_3gpuE9ELNS1_3repE0EEENS1_30default_config_static_selectorELNS0_4arch9wavefront6targetE0EEEvS12_
                                        ; -- End function
	.set _ZN7rocprim17ROCPRIM_400000_NS6detail17trampoline_kernelINS0_13select_configILj256ELj13ELNS0_17block_load_methodE3ELS4_3ELS4_3ELNS0_20block_scan_algorithmE0ELj4294967295EEENS1_25partition_config_selectorILNS1_17partition_subalgoE4EjNS0_10empty_typeEbEEZZNS1_14partition_implILS8_4ELb0ES6_15HIP_vector_typeIjLj2EENS0_17counting_iteratorIjlEEPS9_SG_NS0_5tupleIJPjSI_NS0_16reverse_iteratorISI_EEEEENSH_IJSG_SG_SG_EEES9_SI_JZNS1_25segmented_radix_sort_implINS0_14default_configELb1EPKhPhPKlPlN2at6native12_GLOBAL__N_18offset_tEEE10hipError_tPvRmT1_PNSt15iterator_traitsIS12_E10value_typeET2_T3_PNS13_IS18_E10value_typeET4_jRbjT5_S1E_jjP12ihipStream_tbEUljE_ZNSN_ISO_Lb1ESQ_SR_ST_SU_SY_EESZ_S10_S11_S12_S16_S17_S18_S1B_S1C_jS1D_jS1E_S1E_jjS1G_bEUljE0_EEESZ_S10_S11_S18_S1C_S1E_T6_T7_T9_mT8_S1G_bDpT10_ENKUlT_T0_E_clISt17integral_constantIbLb1EES1T_IbLb0EEEEDaS1P_S1Q_EUlS1P_E_NS1_11comp_targetILNS1_3genE5ELNS1_11target_archE942ELNS1_3gpuE9ELNS1_3repE0EEENS1_30default_config_static_selectorELNS0_4arch9wavefront6targetE0EEEvS12_.num_vgpr, 0
	.set _ZN7rocprim17ROCPRIM_400000_NS6detail17trampoline_kernelINS0_13select_configILj256ELj13ELNS0_17block_load_methodE3ELS4_3ELS4_3ELNS0_20block_scan_algorithmE0ELj4294967295EEENS1_25partition_config_selectorILNS1_17partition_subalgoE4EjNS0_10empty_typeEbEEZZNS1_14partition_implILS8_4ELb0ES6_15HIP_vector_typeIjLj2EENS0_17counting_iteratorIjlEEPS9_SG_NS0_5tupleIJPjSI_NS0_16reverse_iteratorISI_EEEEENSH_IJSG_SG_SG_EEES9_SI_JZNS1_25segmented_radix_sort_implINS0_14default_configELb1EPKhPhPKlPlN2at6native12_GLOBAL__N_18offset_tEEE10hipError_tPvRmT1_PNSt15iterator_traitsIS12_E10value_typeET2_T3_PNS13_IS18_E10value_typeET4_jRbjT5_S1E_jjP12ihipStream_tbEUljE_ZNSN_ISO_Lb1ESQ_SR_ST_SU_SY_EESZ_S10_S11_S12_S16_S17_S18_S1B_S1C_jS1D_jS1E_S1E_jjS1G_bEUljE0_EEESZ_S10_S11_S18_S1C_S1E_T6_T7_T9_mT8_S1G_bDpT10_ENKUlT_T0_E_clISt17integral_constantIbLb1EES1T_IbLb0EEEEDaS1P_S1Q_EUlS1P_E_NS1_11comp_targetILNS1_3genE5ELNS1_11target_archE942ELNS1_3gpuE9ELNS1_3repE0EEENS1_30default_config_static_selectorELNS0_4arch9wavefront6targetE0EEEvS12_.num_agpr, 0
	.set _ZN7rocprim17ROCPRIM_400000_NS6detail17trampoline_kernelINS0_13select_configILj256ELj13ELNS0_17block_load_methodE3ELS4_3ELS4_3ELNS0_20block_scan_algorithmE0ELj4294967295EEENS1_25partition_config_selectorILNS1_17partition_subalgoE4EjNS0_10empty_typeEbEEZZNS1_14partition_implILS8_4ELb0ES6_15HIP_vector_typeIjLj2EENS0_17counting_iteratorIjlEEPS9_SG_NS0_5tupleIJPjSI_NS0_16reverse_iteratorISI_EEEEENSH_IJSG_SG_SG_EEES9_SI_JZNS1_25segmented_radix_sort_implINS0_14default_configELb1EPKhPhPKlPlN2at6native12_GLOBAL__N_18offset_tEEE10hipError_tPvRmT1_PNSt15iterator_traitsIS12_E10value_typeET2_T3_PNS13_IS18_E10value_typeET4_jRbjT5_S1E_jjP12ihipStream_tbEUljE_ZNSN_ISO_Lb1ESQ_SR_ST_SU_SY_EESZ_S10_S11_S12_S16_S17_S18_S1B_S1C_jS1D_jS1E_S1E_jjS1G_bEUljE0_EEESZ_S10_S11_S18_S1C_S1E_T6_T7_T9_mT8_S1G_bDpT10_ENKUlT_T0_E_clISt17integral_constantIbLb1EES1T_IbLb0EEEEDaS1P_S1Q_EUlS1P_E_NS1_11comp_targetILNS1_3genE5ELNS1_11target_archE942ELNS1_3gpuE9ELNS1_3repE0EEENS1_30default_config_static_selectorELNS0_4arch9wavefront6targetE0EEEvS12_.numbered_sgpr, 0
	.set _ZN7rocprim17ROCPRIM_400000_NS6detail17trampoline_kernelINS0_13select_configILj256ELj13ELNS0_17block_load_methodE3ELS4_3ELS4_3ELNS0_20block_scan_algorithmE0ELj4294967295EEENS1_25partition_config_selectorILNS1_17partition_subalgoE4EjNS0_10empty_typeEbEEZZNS1_14partition_implILS8_4ELb0ES6_15HIP_vector_typeIjLj2EENS0_17counting_iteratorIjlEEPS9_SG_NS0_5tupleIJPjSI_NS0_16reverse_iteratorISI_EEEEENSH_IJSG_SG_SG_EEES9_SI_JZNS1_25segmented_radix_sort_implINS0_14default_configELb1EPKhPhPKlPlN2at6native12_GLOBAL__N_18offset_tEEE10hipError_tPvRmT1_PNSt15iterator_traitsIS12_E10value_typeET2_T3_PNS13_IS18_E10value_typeET4_jRbjT5_S1E_jjP12ihipStream_tbEUljE_ZNSN_ISO_Lb1ESQ_SR_ST_SU_SY_EESZ_S10_S11_S12_S16_S17_S18_S1B_S1C_jS1D_jS1E_S1E_jjS1G_bEUljE0_EEESZ_S10_S11_S18_S1C_S1E_T6_T7_T9_mT8_S1G_bDpT10_ENKUlT_T0_E_clISt17integral_constantIbLb1EES1T_IbLb0EEEEDaS1P_S1Q_EUlS1P_E_NS1_11comp_targetILNS1_3genE5ELNS1_11target_archE942ELNS1_3gpuE9ELNS1_3repE0EEENS1_30default_config_static_selectorELNS0_4arch9wavefront6targetE0EEEvS12_.num_named_barrier, 0
	.set _ZN7rocprim17ROCPRIM_400000_NS6detail17trampoline_kernelINS0_13select_configILj256ELj13ELNS0_17block_load_methodE3ELS4_3ELS4_3ELNS0_20block_scan_algorithmE0ELj4294967295EEENS1_25partition_config_selectorILNS1_17partition_subalgoE4EjNS0_10empty_typeEbEEZZNS1_14partition_implILS8_4ELb0ES6_15HIP_vector_typeIjLj2EENS0_17counting_iteratorIjlEEPS9_SG_NS0_5tupleIJPjSI_NS0_16reverse_iteratorISI_EEEEENSH_IJSG_SG_SG_EEES9_SI_JZNS1_25segmented_radix_sort_implINS0_14default_configELb1EPKhPhPKlPlN2at6native12_GLOBAL__N_18offset_tEEE10hipError_tPvRmT1_PNSt15iterator_traitsIS12_E10value_typeET2_T3_PNS13_IS18_E10value_typeET4_jRbjT5_S1E_jjP12ihipStream_tbEUljE_ZNSN_ISO_Lb1ESQ_SR_ST_SU_SY_EESZ_S10_S11_S12_S16_S17_S18_S1B_S1C_jS1D_jS1E_S1E_jjS1G_bEUljE0_EEESZ_S10_S11_S18_S1C_S1E_T6_T7_T9_mT8_S1G_bDpT10_ENKUlT_T0_E_clISt17integral_constantIbLb1EES1T_IbLb0EEEEDaS1P_S1Q_EUlS1P_E_NS1_11comp_targetILNS1_3genE5ELNS1_11target_archE942ELNS1_3gpuE9ELNS1_3repE0EEENS1_30default_config_static_selectorELNS0_4arch9wavefront6targetE0EEEvS12_.private_seg_size, 0
	.set _ZN7rocprim17ROCPRIM_400000_NS6detail17trampoline_kernelINS0_13select_configILj256ELj13ELNS0_17block_load_methodE3ELS4_3ELS4_3ELNS0_20block_scan_algorithmE0ELj4294967295EEENS1_25partition_config_selectorILNS1_17partition_subalgoE4EjNS0_10empty_typeEbEEZZNS1_14partition_implILS8_4ELb0ES6_15HIP_vector_typeIjLj2EENS0_17counting_iteratorIjlEEPS9_SG_NS0_5tupleIJPjSI_NS0_16reverse_iteratorISI_EEEEENSH_IJSG_SG_SG_EEES9_SI_JZNS1_25segmented_radix_sort_implINS0_14default_configELb1EPKhPhPKlPlN2at6native12_GLOBAL__N_18offset_tEEE10hipError_tPvRmT1_PNSt15iterator_traitsIS12_E10value_typeET2_T3_PNS13_IS18_E10value_typeET4_jRbjT5_S1E_jjP12ihipStream_tbEUljE_ZNSN_ISO_Lb1ESQ_SR_ST_SU_SY_EESZ_S10_S11_S12_S16_S17_S18_S1B_S1C_jS1D_jS1E_S1E_jjS1G_bEUljE0_EEESZ_S10_S11_S18_S1C_S1E_T6_T7_T9_mT8_S1G_bDpT10_ENKUlT_T0_E_clISt17integral_constantIbLb1EES1T_IbLb0EEEEDaS1P_S1Q_EUlS1P_E_NS1_11comp_targetILNS1_3genE5ELNS1_11target_archE942ELNS1_3gpuE9ELNS1_3repE0EEENS1_30default_config_static_selectorELNS0_4arch9wavefront6targetE0EEEvS12_.uses_vcc, 0
	.set _ZN7rocprim17ROCPRIM_400000_NS6detail17trampoline_kernelINS0_13select_configILj256ELj13ELNS0_17block_load_methodE3ELS4_3ELS4_3ELNS0_20block_scan_algorithmE0ELj4294967295EEENS1_25partition_config_selectorILNS1_17partition_subalgoE4EjNS0_10empty_typeEbEEZZNS1_14partition_implILS8_4ELb0ES6_15HIP_vector_typeIjLj2EENS0_17counting_iteratorIjlEEPS9_SG_NS0_5tupleIJPjSI_NS0_16reverse_iteratorISI_EEEEENSH_IJSG_SG_SG_EEES9_SI_JZNS1_25segmented_radix_sort_implINS0_14default_configELb1EPKhPhPKlPlN2at6native12_GLOBAL__N_18offset_tEEE10hipError_tPvRmT1_PNSt15iterator_traitsIS12_E10value_typeET2_T3_PNS13_IS18_E10value_typeET4_jRbjT5_S1E_jjP12ihipStream_tbEUljE_ZNSN_ISO_Lb1ESQ_SR_ST_SU_SY_EESZ_S10_S11_S12_S16_S17_S18_S1B_S1C_jS1D_jS1E_S1E_jjS1G_bEUljE0_EEESZ_S10_S11_S18_S1C_S1E_T6_T7_T9_mT8_S1G_bDpT10_ENKUlT_T0_E_clISt17integral_constantIbLb1EES1T_IbLb0EEEEDaS1P_S1Q_EUlS1P_E_NS1_11comp_targetILNS1_3genE5ELNS1_11target_archE942ELNS1_3gpuE9ELNS1_3repE0EEENS1_30default_config_static_selectorELNS0_4arch9wavefront6targetE0EEEvS12_.uses_flat_scratch, 0
	.set _ZN7rocprim17ROCPRIM_400000_NS6detail17trampoline_kernelINS0_13select_configILj256ELj13ELNS0_17block_load_methodE3ELS4_3ELS4_3ELNS0_20block_scan_algorithmE0ELj4294967295EEENS1_25partition_config_selectorILNS1_17partition_subalgoE4EjNS0_10empty_typeEbEEZZNS1_14partition_implILS8_4ELb0ES6_15HIP_vector_typeIjLj2EENS0_17counting_iteratorIjlEEPS9_SG_NS0_5tupleIJPjSI_NS0_16reverse_iteratorISI_EEEEENSH_IJSG_SG_SG_EEES9_SI_JZNS1_25segmented_radix_sort_implINS0_14default_configELb1EPKhPhPKlPlN2at6native12_GLOBAL__N_18offset_tEEE10hipError_tPvRmT1_PNSt15iterator_traitsIS12_E10value_typeET2_T3_PNS13_IS18_E10value_typeET4_jRbjT5_S1E_jjP12ihipStream_tbEUljE_ZNSN_ISO_Lb1ESQ_SR_ST_SU_SY_EESZ_S10_S11_S12_S16_S17_S18_S1B_S1C_jS1D_jS1E_S1E_jjS1G_bEUljE0_EEESZ_S10_S11_S18_S1C_S1E_T6_T7_T9_mT8_S1G_bDpT10_ENKUlT_T0_E_clISt17integral_constantIbLb1EES1T_IbLb0EEEEDaS1P_S1Q_EUlS1P_E_NS1_11comp_targetILNS1_3genE5ELNS1_11target_archE942ELNS1_3gpuE9ELNS1_3repE0EEENS1_30default_config_static_selectorELNS0_4arch9wavefront6targetE0EEEvS12_.has_dyn_sized_stack, 0
	.set _ZN7rocprim17ROCPRIM_400000_NS6detail17trampoline_kernelINS0_13select_configILj256ELj13ELNS0_17block_load_methodE3ELS4_3ELS4_3ELNS0_20block_scan_algorithmE0ELj4294967295EEENS1_25partition_config_selectorILNS1_17partition_subalgoE4EjNS0_10empty_typeEbEEZZNS1_14partition_implILS8_4ELb0ES6_15HIP_vector_typeIjLj2EENS0_17counting_iteratorIjlEEPS9_SG_NS0_5tupleIJPjSI_NS0_16reverse_iteratorISI_EEEEENSH_IJSG_SG_SG_EEES9_SI_JZNS1_25segmented_radix_sort_implINS0_14default_configELb1EPKhPhPKlPlN2at6native12_GLOBAL__N_18offset_tEEE10hipError_tPvRmT1_PNSt15iterator_traitsIS12_E10value_typeET2_T3_PNS13_IS18_E10value_typeET4_jRbjT5_S1E_jjP12ihipStream_tbEUljE_ZNSN_ISO_Lb1ESQ_SR_ST_SU_SY_EESZ_S10_S11_S12_S16_S17_S18_S1B_S1C_jS1D_jS1E_S1E_jjS1G_bEUljE0_EEESZ_S10_S11_S18_S1C_S1E_T6_T7_T9_mT8_S1G_bDpT10_ENKUlT_T0_E_clISt17integral_constantIbLb1EES1T_IbLb0EEEEDaS1P_S1Q_EUlS1P_E_NS1_11comp_targetILNS1_3genE5ELNS1_11target_archE942ELNS1_3gpuE9ELNS1_3repE0EEENS1_30default_config_static_selectorELNS0_4arch9wavefront6targetE0EEEvS12_.has_recursion, 0
	.set _ZN7rocprim17ROCPRIM_400000_NS6detail17trampoline_kernelINS0_13select_configILj256ELj13ELNS0_17block_load_methodE3ELS4_3ELS4_3ELNS0_20block_scan_algorithmE0ELj4294967295EEENS1_25partition_config_selectorILNS1_17partition_subalgoE4EjNS0_10empty_typeEbEEZZNS1_14partition_implILS8_4ELb0ES6_15HIP_vector_typeIjLj2EENS0_17counting_iteratorIjlEEPS9_SG_NS0_5tupleIJPjSI_NS0_16reverse_iteratorISI_EEEEENSH_IJSG_SG_SG_EEES9_SI_JZNS1_25segmented_radix_sort_implINS0_14default_configELb1EPKhPhPKlPlN2at6native12_GLOBAL__N_18offset_tEEE10hipError_tPvRmT1_PNSt15iterator_traitsIS12_E10value_typeET2_T3_PNS13_IS18_E10value_typeET4_jRbjT5_S1E_jjP12ihipStream_tbEUljE_ZNSN_ISO_Lb1ESQ_SR_ST_SU_SY_EESZ_S10_S11_S12_S16_S17_S18_S1B_S1C_jS1D_jS1E_S1E_jjS1G_bEUljE0_EEESZ_S10_S11_S18_S1C_S1E_T6_T7_T9_mT8_S1G_bDpT10_ENKUlT_T0_E_clISt17integral_constantIbLb1EES1T_IbLb0EEEEDaS1P_S1Q_EUlS1P_E_NS1_11comp_targetILNS1_3genE5ELNS1_11target_archE942ELNS1_3gpuE9ELNS1_3repE0EEENS1_30default_config_static_selectorELNS0_4arch9wavefront6targetE0EEEvS12_.has_indirect_call, 0
	.section	.AMDGPU.csdata,"",@progbits
; Kernel info:
; codeLenInByte = 0
; TotalNumSgprs: 0
; NumVgprs: 0
; ScratchSize: 0
; MemoryBound: 0
; FloatMode: 240
; IeeeMode: 1
; LDSByteSize: 0 bytes/workgroup (compile time only)
; SGPRBlocks: 0
; VGPRBlocks: 0
; NumSGPRsForWavesPerEU: 1
; NumVGPRsForWavesPerEU: 1
; Occupancy: 16
; WaveLimiterHint : 0
; COMPUTE_PGM_RSRC2:SCRATCH_EN: 0
; COMPUTE_PGM_RSRC2:USER_SGPR: 6
; COMPUTE_PGM_RSRC2:TRAP_HANDLER: 0
; COMPUTE_PGM_RSRC2:TGID_X_EN: 1
; COMPUTE_PGM_RSRC2:TGID_Y_EN: 0
; COMPUTE_PGM_RSRC2:TGID_Z_EN: 0
; COMPUTE_PGM_RSRC2:TIDIG_COMP_CNT: 0
	.section	.text._ZN7rocprim17ROCPRIM_400000_NS6detail17trampoline_kernelINS0_13select_configILj256ELj13ELNS0_17block_load_methodE3ELS4_3ELS4_3ELNS0_20block_scan_algorithmE0ELj4294967295EEENS1_25partition_config_selectorILNS1_17partition_subalgoE4EjNS0_10empty_typeEbEEZZNS1_14partition_implILS8_4ELb0ES6_15HIP_vector_typeIjLj2EENS0_17counting_iteratorIjlEEPS9_SG_NS0_5tupleIJPjSI_NS0_16reverse_iteratorISI_EEEEENSH_IJSG_SG_SG_EEES9_SI_JZNS1_25segmented_radix_sort_implINS0_14default_configELb1EPKhPhPKlPlN2at6native12_GLOBAL__N_18offset_tEEE10hipError_tPvRmT1_PNSt15iterator_traitsIS12_E10value_typeET2_T3_PNS13_IS18_E10value_typeET4_jRbjT5_S1E_jjP12ihipStream_tbEUljE_ZNSN_ISO_Lb1ESQ_SR_ST_SU_SY_EESZ_S10_S11_S12_S16_S17_S18_S1B_S1C_jS1D_jS1E_S1E_jjS1G_bEUljE0_EEESZ_S10_S11_S18_S1C_S1E_T6_T7_T9_mT8_S1G_bDpT10_ENKUlT_T0_E_clISt17integral_constantIbLb1EES1T_IbLb0EEEEDaS1P_S1Q_EUlS1P_E_NS1_11comp_targetILNS1_3genE4ELNS1_11target_archE910ELNS1_3gpuE8ELNS1_3repE0EEENS1_30default_config_static_selectorELNS0_4arch9wavefront6targetE0EEEvS12_,"axG",@progbits,_ZN7rocprim17ROCPRIM_400000_NS6detail17trampoline_kernelINS0_13select_configILj256ELj13ELNS0_17block_load_methodE3ELS4_3ELS4_3ELNS0_20block_scan_algorithmE0ELj4294967295EEENS1_25partition_config_selectorILNS1_17partition_subalgoE4EjNS0_10empty_typeEbEEZZNS1_14partition_implILS8_4ELb0ES6_15HIP_vector_typeIjLj2EENS0_17counting_iteratorIjlEEPS9_SG_NS0_5tupleIJPjSI_NS0_16reverse_iteratorISI_EEEEENSH_IJSG_SG_SG_EEES9_SI_JZNS1_25segmented_radix_sort_implINS0_14default_configELb1EPKhPhPKlPlN2at6native12_GLOBAL__N_18offset_tEEE10hipError_tPvRmT1_PNSt15iterator_traitsIS12_E10value_typeET2_T3_PNS13_IS18_E10value_typeET4_jRbjT5_S1E_jjP12ihipStream_tbEUljE_ZNSN_ISO_Lb1ESQ_SR_ST_SU_SY_EESZ_S10_S11_S12_S16_S17_S18_S1B_S1C_jS1D_jS1E_S1E_jjS1G_bEUljE0_EEESZ_S10_S11_S18_S1C_S1E_T6_T7_T9_mT8_S1G_bDpT10_ENKUlT_T0_E_clISt17integral_constantIbLb1EES1T_IbLb0EEEEDaS1P_S1Q_EUlS1P_E_NS1_11comp_targetILNS1_3genE4ELNS1_11target_archE910ELNS1_3gpuE8ELNS1_3repE0EEENS1_30default_config_static_selectorELNS0_4arch9wavefront6targetE0EEEvS12_,comdat
	.globl	_ZN7rocprim17ROCPRIM_400000_NS6detail17trampoline_kernelINS0_13select_configILj256ELj13ELNS0_17block_load_methodE3ELS4_3ELS4_3ELNS0_20block_scan_algorithmE0ELj4294967295EEENS1_25partition_config_selectorILNS1_17partition_subalgoE4EjNS0_10empty_typeEbEEZZNS1_14partition_implILS8_4ELb0ES6_15HIP_vector_typeIjLj2EENS0_17counting_iteratorIjlEEPS9_SG_NS0_5tupleIJPjSI_NS0_16reverse_iteratorISI_EEEEENSH_IJSG_SG_SG_EEES9_SI_JZNS1_25segmented_radix_sort_implINS0_14default_configELb1EPKhPhPKlPlN2at6native12_GLOBAL__N_18offset_tEEE10hipError_tPvRmT1_PNSt15iterator_traitsIS12_E10value_typeET2_T3_PNS13_IS18_E10value_typeET4_jRbjT5_S1E_jjP12ihipStream_tbEUljE_ZNSN_ISO_Lb1ESQ_SR_ST_SU_SY_EESZ_S10_S11_S12_S16_S17_S18_S1B_S1C_jS1D_jS1E_S1E_jjS1G_bEUljE0_EEESZ_S10_S11_S18_S1C_S1E_T6_T7_T9_mT8_S1G_bDpT10_ENKUlT_T0_E_clISt17integral_constantIbLb1EES1T_IbLb0EEEEDaS1P_S1Q_EUlS1P_E_NS1_11comp_targetILNS1_3genE4ELNS1_11target_archE910ELNS1_3gpuE8ELNS1_3repE0EEENS1_30default_config_static_selectorELNS0_4arch9wavefront6targetE0EEEvS12_ ; -- Begin function _ZN7rocprim17ROCPRIM_400000_NS6detail17trampoline_kernelINS0_13select_configILj256ELj13ELNS0_17block_load_methodE3ELS4_3ELS4_3ELNS0_20block_scan_algorithmE0ELj4294967295EEENS1_25partition_config_selectorILNS1_17partition_subalgoE4EjNS0_10empty_typeEbEEZZNS1_14partition_implILS8_4ELb0ES6_15HIP_vector_typeIjLj2EENS0_17counting_iteratorIjlEEPS9_SG_NS0_5tupleIJPjSI_NS0_16reverse_iteratorISI_EEEEENSH_IJSG_SG_SG_EEES9_SI_JZNS1_25segmented_radix_sort_implINS0_14default_configELb1EPKhPhPKlPlN2at6native12_GLOBAL__N_18offset_tEEE10hipError_tPvRmT1_PNSt15iterator_traitsIS12_E10value_typeET2_T3_PNS13_IS18_E10value_typeET4_jRbjT5_S1E_jjP12ihipStream_tbEUljE_ZNSN_ISO_Lb1ESQ_SR_ST_SU_SY_EESZ_S10_S11_S12_S16_S17_S18_S1B_S1C_jS1D_jS1E_S1E_jjS1G_bEUljE0_EEESZ_S10_S11_S18_S1C_S1E_T6_T7_T9_mT8_S1G_bDpT10_ENKUlT_T0_E_clISt17integral_constantIbLb1EES1T_IbLb0EEEEDaS1P_S1Q_EUlS1P_E_NS1_11comp_targetILNS1_3genE4ELNS1_11target_archE910ELNS1_3gpuE8ELNS1_3repE0EEENS1_30default_config_static_selectorELNS0_4arch9wavefront6targetE0EEEvS12_
	.p2align	8
	.type	_ZN7rocprim17ROCPRIM_400000_NS6detail17trampoline_kernelINS0_13select_configILj256ELj13ELNS0_17block_load_methodE3ELS4_3ELS4_3ELNS0_20block_scan_algorithmE0ELj4294967295EEENS1_25partition_config_selectorILNS1_17partition_subalgoE4EjNS0_10empty_typeEbEEZZNS1_14partition_implILS8_4ELb0ES6_15HIP_vector_typeIjLj2EENS0_17counting_iteratorIjlEEPS9_SG_NS0_5tupleIJPjSI_NS0_16reverse_iteratorISI_EEEEENSH_IJSG_SG_SG_EEES9_SI_JZNS1_25segmented_radix_sort_implINS0_14default_configELb1EPKhPhPKlPlN2at6native12_GLOBAL__N_18offset_tEEE10hipError_tPvRmT1_PNSt15iterator_traitsIS12_E10value_typeET2_T3_PNS13_IS18_E10value_typeET4_jRbjT5_S1E_jjP12ihipStream_tbEUljE_ZNSN_ISO_Lb1ESQ_SR_ST_SU_SY_EESZ_S10_S11_S12_S16_S17_S18_S1B_S1C_jS1D_jS1E_S1E_jjS1G_bEUljE0_EEESZ_S10_S11_S18_S1C_S1E_T6_T7_T9_mT8_S1G_bDpT10_ENKUlT_T0_E_clISt17integral_constantIbLb1EES1T_IbLb0EEEEDaS1P_S1Q_EUlS1P_E_NS1_11comp_targetILNS1_3genE4ELNS1_11target_archE910ELNS1_3gpuE8ELNS1_3repE0EEENS1_30default_config_static_selectorELNS0_4arch9wavefront6targetE0EEEvS12_,@function
_ZN7rocprim17ROCPRIM_400000_NS6detail17trampoline_kernelINS0_13select_configILj256ELj13ELNS0_17block_load_methodE3ELS4_3ELS4_3ELNS0_20block_scan_algorithmE0ELj4294967295EEENS1_25partition_config_selectorILNS1_17partition_subalgoE4EjNS0_10empty_typeEbEEZZNS1_14partition_implILS8_4ELb0ES6_15HIP_vector_typeIjLj2EENS0_17counting_iteratorIjlEEPS9_SG_NS0_5tupleIJPjSI_NS0_16reverse_iteratorISI_EEEEENSH_IJSG_SG_SG_EEES9_SI_JZNS1_25segmented_radix_sort_implINS0_14default_configELb1EPKhPhPKlPlN2at6native12_GLOBAL__N_18offset_tEEE10hipError_tPvRmT1_PNSt15iterator_traitsIS12_E10value_typeET2_T3_PNS13_IS18_E10value_typeET4_jRbjT5_S1E_jjP12ihipStream_tbEUljE_ZNSN_ISO_Lb1ESQ_SR_ST_SU_SY_EESZ_S10_S11_S12_S16_S17_S18_S1B_S1C_jS1D_jS1E_S1E_jjS1G_bEUljE0_EEESZ_S10_S11_S18_S1C_S1E_T6_T7_T9_mT8_S1G_bDpT10_ENKUlT_T0_E_clISt17integral_constantIbLb1EES1T_IbLb0EEEEDaS1P_S1Q_EUlS1P_E_NS1_11comp_targetILNS1_3genE4ELNS1_11target_archE910ELNS1_3gpuE8ELNS1_3repE0EEENS1_30default_config_static_selectorELNS0_4arch9wavefront6targetE0EEEvS12_: ; @_ZN7rocprim17ROCPRIM_400000_NS6detail17trampoline_kernelINS0_13select_configILj256ELj13ELNS0_17block_load_methodE3ELS4_3ELS4_3ELNS0_20block_scan_algorithmE0ELj4294967295EEENS1_25partition_config_selectorILNS1_17partition_subalgoE4EjNS0_10empty_typeEbEEZZNS1_14partition_implILS8_4ELb0ES6_15HIP_vector_typeIjLj2EENS0_17counting_iteratorIjlEEPS9_SG_NS0_5tupleIJPjSI_NS0_16reverse_iteratorISI_EEEEENSH_IJSG_SG_SG_EEES9_SI_JZNS1_25segmented_radix_sort_implINS0_14default_configELb1EPKhPhPKlPlN2at6native12_GLOBAL__N_18offset_tEEE10hipError_tPvRmT1_PNSt15iterator_traitsIS12_E10value_typeET2_T3_PNS13_IS18_E10value_typeET4_jRbjT5_S1E_jjP12ihipStream_tbEUljE_ZNSN_ISO_Lb1ESQ_SR_ST_SU_SY_EESZ_S10_S11_S12_S16_S17_S18_S1B_S1C_jS1D_jS1E_S1E_jjS1G_bEUljE0_EEESZ_S10_S11_S18_S1C_S1E_T6_T7_T9_mT8_S1G_bDpT10_ENKUlT_T0_E_clISt17integral_constantIbLb1EES1T_IbLb0EEEEDaS1P_S1Q_EUlS1P_E_NS1_11comp_targetILNS1_3genE4ELNS1_11target_archE910ELNS1_3gpuE8ELNS1_3repE0EEENS1_30default_config_static_selectorELNS0_4arch9wavefront6targetE0EEEvS12_
; %bb.0:
	.section	.rodata,"a",@progbits
	.p2align	6, 0x0
	.amdhsa_kernel _ZN7rocprim17ROCPRIM_400000_NS6detail17trampoline_kernelINS0_13select_configILj256ELj13ELNS0_17block_load_methodE3ELS4_3ELS4_3ELNS0_20block_scan_algorithmE0ELj4294967295EEENS1_25partition_config_selectorILNS1_17partition_subalgoE4EjNS0_10empty_typeEbEEZZNS1_14partition_implILS8_4ELb0ES6_15HIP_vector_typeIjLj2EENS0_17counting_iteratorIjlEEPS9_SG_NS0_5tupleIJPjSI_NS0_16reverse_iteratorISI_EEEEENSH_IJSG_SG_SG_EEES9_SI_JZNS1_25segmented_radix_sort_implINS0_14default_configELb1EPKhPhPKlPlN2at6native12_GLOBAL__N_18offset_tEEE10hipError_tPvRmT1_PNSt15iterator_traitsIS12_E10value_typeET2_T3_PNS13_IS18_E10value_typeET4_jRbjT5_S1E_jjP12ihipStream_tbEUljE_ZNSN_ISO_Lb1ESQ_SR_ST_SU_SY_EESZ_S10_S11_S12_S16_S17_S18_S1B_S1C_jS1D_jS1E_S1E_jjS1G_bEUljE0_EEESZ_S10_S11_S18_S1C_S1E_T6_T7_T9_mT8_S1G_bDpT10_ENKUlT_T0_E_clISt17integral_constantIbLb1EES1T_IbLb0EEEEDaS1P_S1Q_EUlS1P_E_NS1_11comp_targetILNS1_3genE4ELNS1_11target_archE910ELNS1_3gpuE8ELNS1_3repE0EEENS1_30default_config_static_selectorELNS0_4arch9wavefront6targetE0EEEvS12_
		.amdhsa_group_segment_fixed_size 0
		.amdhsa_private_segment_fixed_size 0
		.amdhsa_kernarg_size 176
		.amdhsa_user_sgpr_count 6
		.amdhsa_user_sgpr_private_segment_buffer 1
		.amdhsa_user_sgpr_dispatch_ptr 0
		.amdhsa_user_sgpr_queue_ptr 0
		.amdhsa_user_sgpr_kernarg_segment_ptr 1
		.amdhsa_user_sgpr_dispatch_id 0
		.amdhsa_user_sgpr_flat_scratch_init 0
		.amdhsa_user_sgpr_private_segment_size 0
		.amdhsa_wavefront_size32 1
		.amdhsa_uses_dynamic_stack 0
		.amdhsa_system_sgpr_private_segment_wavefront_offset 0
		.amdhsa_system_sgpr_workgroup_id_x 1
		.amdhsa_system_sgpr_workgroup_id_y 0
		.amdhsa_system_sgpr_workgroup_id_z 0
		.amdhsa_system_sgpr_workgroup_info 0
		.amdhsa_system_vgpr_workitem_id 0
		.amdhsa_next_free_vgpr 1
		.amdhsa_next_free_sgpr 1
		.amdhsa_reserve_vcc 0
		.amdhsa_reserve_flat_scratch 0
		.amdhsa_float_round_mode_32 0
		.amdhsa_float_round_mode_16_64 0
		.amdhsa_float_denorm_mode_32 3
		.amdhsa_float_denorm_mode_16_64 3
		.amdhsa_dx10_clamp 1
		.amdhsa_ieee_mode 1
		.amdhsa_fp16_overflow 0
		.amdhsa_workgroup_processor_mode 1
		.amdhsa_memory_ordered 1
		.amdhsa_forward_progress 1
		.amdhsa_shared_vgpr_count 0
		.amdhsa_exception_fp_ieee_invalid_op 0
		.amdhsa_exception_fp_denorm_src 0
		.amdhsa_exception_fp_ieee_div_zero 0
		.amdhsa_exception_fp_ieee_overflow 0
		.amdhsa_exception_fp_ieee_underflow 0
		.amdhsa_exception_fp_ieee_inexact 0
		.amdhsa_exception_int_div_zero 0
	.end_amdhsa_kernel
	.section	.text._ZN7rocprim17ROCPRIM_400000_NS6detail17trampoline_kernelINS0_13select_configILj256ELj13ELNS0_17block_load_methodE3ELS4_3ELS4_3ELNS0_20block_scan_algorithmE0ELj4294967295EEENS1_25partition_config_selectorILNS1_17partition_subalgoE4EjNS0_10empty_typeEbEEZZNS1_14partition_implILS8_4ELb0ES6_15HIP_vector_typeIjLj2EENS0_17counting_iteratorIjlEEPS9_SG_NS0_5tupleIJPjSI_NS0_16reverse_iteratorISI_EEEEENSH_IJSG_SG_SG_EEES9_SI_JZNS1_25segmented_radix_sort_implINS0_14default_configELb1EPKhPhPKlPlN2at6native12_GLOBAL__N_18offset_tEEE10hipError_tPvRmT1_PNSt15iterator_traitsIS12_E10value_typeET2_T3_PNS13_IS18_E10value_typeET4_jRbjT5_S1E_jjP12ihipStream_tbEUljE_ZNSN_ISO_Lb1ESQ_SR_ST_SU_SY_EESZ_S10_S11_S12_S16_S17_S18_S1B_S1C_jS1D_jS1E_S1E_jjS1G_bEUljE0_EEESZ_S10_S11_S18_S1C_S1E_T6_T7_T9_mT8_S1G_bDpT10_ENKUlT_T0_E_clISt17integral_constantIbLb1EES1T_IbLb0EEEEDaS1P_S1Q_EUlS1P_E_NS1_11comp_targetILNS1_3genE4ELNS1_11target_archE910ELNS1_3gpuE8ELNS1_3repE0EEENS1_30default_config_static_selectorELNS0_4arch9wavefront6targetE0EEEvS12_,"axG",@progbits,_ZN7rocprim17ROCPRIM_400000_NS6detail17trampoline_kernelINS0_13select_configILj256ELj13ELNS0_17block_load_methodE3ELS4_3ELS4_3ELNS0_20block_scan_algorithmE0ELj4294967295EEENS1_25partition_config_selectorILNS1_17partition_subalgoE4EjNS0_10empty_typeEbEEZZNS1_14partition_implILS8_4ELb0ES6_15HIP_vector_typeIjLj2EENS0_17counting_iteratorIjlEEPS9_SG_NS0_5tupleIJPjSI_NS0_16reverse_iteratorISI_EEEEENSH_IJSG_SG_SG_EEES9_SI_JZNS1_25segmented_radix_sort_implINS0_14default_configELb1EPKhPhPKlPlN2at6native12_GLOBAL__N_18offset_tEEE10hipError_tPvRmT1_PNSt15iterator_traitsIS12_E10value_typeET2_T3_PNS13_IS18_E10value_typeET4_jRbjT5_S1E_jjP12ihipStream_tbEUljE_ZNSN_ISO_Lb1ESQ_SR_ST_SU_SY_EESZ_S10_S11_S12_S16_S17_S18_S1B_S1C_jS1D_jS1E_S1E_jjS1G_bEUljE0_EEESZ_S10_S11_S18_S1C_S1E_T6_T7_T9_mT8_S1G_bDpT10_ENKUlT_T0_E_clISt17integral_constantIbLb1EES1T_IbLb0EEEEDaS1P_S1Q_EUlS1P_E_NS1_11comp_targetILNS1_3genE4ELNS1_11target_archE910ELNS1_3gpuE8ELNS1_3repE0EEENS1_30default_config_static_selectorELNS0_4arch9wavefront6targetE0EEEvS12_,comdat
.Lfunc_end32:
	.size	_ZN7rocprim17ROCPRIM_400000_NS6detail17trampoline_kernelINS0_13select_configILj256ELj13ELNS0_17block_load_methodE3ELS4_3ELS4_3ELNS0_20block_scan_algorithmE0ELj4294967295EEENS1_25partition_config_selectorILNS1_17partition_subalgoE4EjNS0_10empty_typeEbEEZZNS1_14partition_implILS8_4ELb0ES6_15HIP_vector_typeIjLj2EENS0_17counting_iteratorIjlEEPS9_SG_NS0_5tupleIJPjSI_NS0_16reverse_iteratorISI_EEEEENSH_IJSG_SG_SG_EEES9_SI_JZNS1_25segmented_radix_sort_implINS0_14default_configELb1EPKhPhPKlPlN2at6native12_GLOBAL__N_18offset_tEEE10hipError_tPvRmT1_PNSt15iterator_traitsIS12_E10value_typeET2_T3_PNS13_IS18_E10value_typeET4_jRbjT5_S1E_jjP12ihipStream_tbEUljE_ZNSN_ISO_Lb1ESQ_SR_ST_SU_SY_EESZ_S10_S11_S12_S16_S17_S18_S1B_S1C_jS1D_jS1E_S1E_jjS1G_bEUljE0_EEESZ_S10_S11_S18_S1C_S1E_T6_T7_T9_mT8_S1G_bDpT10_ENKUlT_T0_E_clISt17integral_constantIbLb1EES1T_IbLb0EEEEDaS1P_S1Q_EUlS1P_E_NS1_11comp_targetILNS1_3genE4ELNS1_11target_archE910ELNS1_3gpuE8ELNS1_3repE0EEENS1_30default_config_static_selectorELNS0_4arch9wavefront6targetE0EEEvS12_, .Lfunc_end32-_ZN7rocprim17ROCPRIM_400000_NS6detail17trampoline_kernelINS0_13select_configILj256ELj13ELNS0_17block_load_methodE3ELS4_3ELS4_3ELNS0_20block_scan_algorithmE0ELj4294967295EEENS1_25partition_config_selectorILNS1_17partition_subalgoE4EjNS0_10empty_typeEbEEZZNS1_14partition_implILS8_4ELb0ES6_15HIP_vector_typeIjLj2EENS0_17counting_iteratorIjlEEPS9_SG_NS0_5tupleIJPjSI_NS0_16reverse_iteratorISI_EEEEENSH_IJSG_SG_SG_EEES9_SI_JZNS1_25segmented_radix_sort_implINS0_14default_configELb1EPKhPhPKlPlN2at6native12_GLOBAL__N_18offset_tEEE10hipError_tPvRmT1_PNSt15iterator_traitsIS12_E10value_typeET2_T3_PNS13_IS18_E10value_typeET4_jRbjT5_S1E_jjP12ihipStream_tbEUljE_ZNSN_ISO_Lb1ESQ_SR_ST_SU_SY_EESZ_S10_S11_S12_S16_S17_S18_S1B_S1C_jS1D_jS1E_S1E_jjS1G_bEUljE0_EEESZ_S10_S11_S18_S1C_S1E_T6_T7_T9_mT8_S1G_bDpT10_ENKUlT_T0_E_clISt17integral_constantIbLb1EES1T_IbLb0EEEEDaS1P_S1Q_EUlS1P_E_NS1_11comp_targetILNS1_3genE4ELNS1_11target_archE910ELNS1_3gpuE8ELNS1_3repE0EEENS1_30default_config_static_selectorELNS0_4arch9wavefront6targetE0EEEvS12_
                                        ; -- End function
	.set _ZN7rocprim17ROCPRIM_400000_NS6detail17trampoline_kernelINS0_13select_configILj256ELj13ELNS0_17block_load_methodE3ELS4_3ELS4_3ELNS0_20block_scan_algorithmE0ELj4294967295EEENS1_25partition_config_selectorILNS1_17partition_subalgoE4EjNS0_10empty_typeEbEEZZNS1_14partition_implILS8_4ELb0ES6_15HIP_vector_typeIjLj2EENS0_17counting_iteratorIjlEEPS9_SG_NS0_5tupleIJPjSI_NS0_16reverse_iteratorISI_EEEEENSH_IJSG_SG_SG_EEES9_SI_JZNS1_25segmented_radix_sort_implINS0_14default_configELb1EPKhPhPKlPlN2at6native12_GLOBAL__N_18offset_tEEE10hipError_tPvRmT1_PNSt15iterator_traitsIS12_E10value_typeET2_T3_PNS13_IS18_E10value_typeET4_jRbjT5_S1E_jjP12ihipStream_tbEUljE_ZNSN_ISO_Lb1ESQ_SR_ST_SU_SY_EESZ_S10_S11_S12_S16_S17_S18_S1B_S1C_jS1D_jS1E_S1E_jjS1G_bEUljE0_EEESZ_S10_S11_S18_S1C_S1E_T6_T7_T9_mT8_S1G_bDpT10_ENKUlT_T0_E_clISt17integral_constantIbLb1EES1T_IbLb0EEEEDaS1P_S1Q_EUlS1P_E_NS1_11comp_targetILNS1_3genE4ELNS1_11target_archE910ELNS1_3gpuE8ELNS1_3repE0EEENS1_30default_config_static_selectorELNS0_4arch9wavefront6targetE0EEEvS12_.num_vgpr, 0
	.set _ZN7rocprim17ROCPRIM_400000_NS6detail17trampoline_kernelINS0_13select_configILj256ELj13ELNS0_17block_load_methodE3ELS4_3ELS4_3ELNS0_20block_scan_algorithmE0ELj4294967295EEENS1_25partition_config_selectorILNS1_17partition_subalgoE4EjNS0_10empty_typeEbEEZZNS1_14partition_implILS8_4ELb0ES6_15HIP_vector_typeIjLj2EENS0_17counting_iteratorIjlEEPS9_SG_NS0_5tupleIJPjSI_NS0_16reverse_iteratorISI_EEEEENSH_IJSG_SG_SG_EEES9_SI_JZNS1_25segmented_radix_sort_implINS0_14default_configELb1EPKhPhPKlPlN2at6native12_GLOBAL__N_18offset_tEEE10hipError_tPvRmT1_PNSt15iterator_traitsIS12_E10value_typeET2_T3_PNS13_IS18_E10value_typeET4_jRbjT5_S1E_jjP12ihipStream_tbEUljE_ZNSN_ISO_Lb1ESQ_SR_ST_SU_SY_EESZ_S10_S11_S12_S16_S17_S18_S1B_S1C_jS1D_jS1E_S1E_jjS1G_bEUljE0_EEESZ_S10_S11_S18_S1C_S1E_T6_T7_T9_mT8_S1G_bDpT10_ENKUlT_T0_E_clISt17integral_constantIbLb1EES1T_IbLb0EEEEDaS1P_S1Q_EUlS1P_E_NS1_11comp_targetILNS1_3genE4ELNS1_11target_archE910ELNS1_3gpuE8ELNS1_3repE0EEENS1_30default_config_static_selectorELNS0_4arch9wavefront6targetE0EEEvS12_.num_agpr, 0
	.set _ZN7rocprim17ROCPRIM_400000_NS6detail17trampoline_kernelINS0_13select_configILj256ELj13ELNS0_17block_load_methodE3ELS4_3ELS4_3ELNS0_20block_scan_algorithmE0ELj4294967295EEENS1_25partition_config_selectorILNS1_17partition_subalgoE4EjNS0_10empty_typeEbEEZZNS1_14partition_implILS8_4ELb0ES6_15HIP_vector_typeIjLj2EENS0_17counting_iteratorIjlEEPS9_SG_NS0_5tupleIJPjSI_NS0_16reverse_iteratorISI_EEEEENSH_IJSG_SG_SG_EEES9_SI_JZNS1_25segmented_radix_sort_implINS0_14default_configELb1EPKhPhPKlPlN2at6native12_GLOBAL__N_18offset_tEEE10hipError_tPvRmT1_PNSt15iterator_traitsIS12_E10value_typeET2_T3_PNS13_IS18_E10value_typeET4_jRbjT5_S1E_jjP12ihipStream_tbEUljE_ZNSN_ISO_Lb1ESQ_SR_ST_SU_SY_EESZ_S10_S11_S12_S16_S17_S18_S1B_S1C_jS1D_jS1E_S1E_jjS1G_bEUljE0_EEESZ_S10_S11_S18_S1C_S1E_T6_T7_T9_mT8_S1G_bDpT10_ENKUlT_T0_E_clISt17integral_constantIbLb1EES1T_IbLb0EEEEDaS1P_S1Q_EUlS1P_E_NS1_11comp_targetILNS1_3genE4ELNS1_11target_archE910ELNS1_3gpuE8ELNS1_3repE0EEENS1_30default_config_static_selectorELNS0_4arch9wavefront6targetE0EEEvS12_.numbered_sgpr, 0
	.set _ZN7rocprim17ROCPRIM_400000_NS6detail17trampoline_kernelINS0_13select_configILj256ELj13ELNS0_17block_load_methodE3ELS4_3ELS4_3ELNS0_20block_scan_algorithmE0ELj4294967295EEENS1_25partition_config_selectorILNS1_17partition_subalgoE4EjNS0_10empty_typeEbEEZZNS1_14partition_implILS8_4ELb0ES6_15HIP_vector_typeIjLj2EENS0_17counting_iteratorIjlEEPS9_SG_NS0_5tupleIJPjSI_NS0_16reverse_iteratorISI_EEEEENSH_IJSG_SG_SG_EEES9_SI_JZNS1_25segmented_radix_sort_implINS0_14default_configELb1EPKhPhPKlPlN2at6native12_GLOBAL__N_18offset_tEEE10hipError_tPvRmT1_PNSt15iterator_traitsIS12_E10value_typeET2_T3_PNS13_IS18_E10value_typeET4_jRbjT5_S1E_jjP12ihipStream_tbEUljE_ZNSN_ISO_Lb1ESQ_SR_ST_SU_SY_EESZ_S10_S11_S12_S16_S17_S18_S1B_S1C_jS1D_jS1E_S1E_jjS1G_bEUljE0_EEESZ_S10_S11_S18_S1C_S1E_T6_T7_T9_mT8_S1G_bDpT10_ENKUlT_T0_E_clISt17integral_constantIbLb1EES1T_IbLb0EEEEDaS1P_S1Q_EUlS1P_E_NS1_11comp_targetILNS1_3genE4ELNS1_11target_archE910ELNS1_3gpuE8ELNS1_3repE0EEENS1_30default_config_static_selectorELNS0_4arch9wavefront6targetE0EEEvS12_.num_named_barrier, 0
	.set _ZN7rocprim17ROCPRIM_400000_NS6detail17trampoline_kernelINS0_13select_configILj256ELj13ELNS0_17block_load_methodE3ELS4_3ELS4_3ELNS0_20block_scan_algorithmE0ELj4294967295EEENS1_25partition_config_selectorILNS1_17partition_subalgoE4EjNS0_10empty_typeEbEEZZNS1_14partition_implILS8_4ELb0ES6_15HIP_vector_typeIjLj2EENS0_17counting_iteratorIjlEEPS9_SG_NS0_5tupleIJPjSI_NS0_16reverse_iteratorISI_EEEEENSH_IJSG_SG_SG_EEES9_SI_JZNS1_25segmented_radix_sort_implINS0_14default_configELb1EPKhPhPKlPlN2at6native12_GLOBAL__N_18offset_tEEE10hipError_tPvRmT1_PNSt15iterator_traitsIS12_E10value_typeET2_T3_PNS13_IS18_E10value_typeET4_jRbjT5_S1E_jjP12ihipStream_tbEUljE_ZNSN_ISO_Lb1ESQ_SR_ST_SU_SY_EESZ_S10_S11_S12_S16_S17_S18_S1B_S1C_jS1D_jS1E_S1E_jjS1G_bEUljE0_EEESZ_S10_S11_S18_S1C_S1E_T6_T7_T9_mT8_S1G_bDpT10_ENKUlT_T0_E_clISt17integral_constantIbLb1EES1T_IbLb0EEEEDaS1P_S1Q_EUlS1P_E_NS1_11comp_targetILNS1_3genE4ELNS1_11target_archE910ELNS1_3gpuE8ELNS1_3repE0EEENS1_30default_config_static_selectorELNS0_4arch9wavefront6targetE0EEEvS12_.private_seg_size, 0
	.set _ZN7rocprim17ROCPRIM_400000_NS6detail17trampoline_kernelINS0_13select_configILj256ELj13ELNS0_17block_load_methodE3ELS4_3ELS4_3ELNS0_20block_scan_algorithmE0ELj4294967295EEENS1_25partition_config_selectorILNS1_17partition_subalgoE4EjNS0_10empty_typeEbEEZZNS1_14partition_implILS8_4ELb0ES6_15HIP_vector_typeIjLj2EENS0_17counting_iteratorIjlEEPS9_SG_NS0_5tupleIJPjSI_NS0_16reverse_iteratorISI_EEEEENSH_IJSG_SG_SG_EEES9_SI_JZNS1_25segmented_radix_sort_implINS0_14default_configELb1EPKhPhPKlPlN2at6native12_GLOBAL__N_18offset_tEEE10hipError_tPvRmT1_PNSt15iterator_traitsIS12_E10value_typeET2_T3_PNS13_IS18_E10value_typeET4_jRbjT5_S1E_jjP12ihipStream_tbEUljE_ZNSN_ISO_Lb1ESQ_SR_ST_SU_SY_EESZ_S10_S11_S12_S16_S17_S18_S1B_S1C_jS1D_jS1E_S1E_jjS1G_bEUljE0_EEESZ_S10_S11_S18_S1C_S1E_T6_T7_T9_mT8_S1G_bDpT10_ENKUlT_T0_E_clISt17integral_constantIbLb1EES1T_IbLb0EEEEDaS1P_S1Q_EUlS1P_E_NS1_11comp_targetILNS1_3genE4ELNS1_11target_archE910ELNS1_3gpuE8ELNS1_3repE0EEENS1_30default_config_static_selectorELNS0_4arch9wavefront6targetE0EEEvS12_.uses_vcc, 0
	.set _ZN7rocprim17ROCPRIM_400000_NS6detail17trampoline_kernelINS0_13select_configILj256ELj13ELNS0_17block_load_methodE3ELS4_3ELS4_3ELNS0_20block_scan_algorithmE0ELj4294967295EEENS1_25partition_config_selectorILNS1_17partition_subalgoE4EjNS0_10empty_typeEbEEZZNS1_14partition_implILS8_4ELb0ES6_15HIP_vector_typeIjLj2EENS0_17counting_iteratorIjlEEPS9_SG_NS0_5tupleIJPjSI_NS0_16reverse_iteratorISI_EEEEENSH_IJSG_SG_SG_EEES9_SI_JZNS1_25segmented_radix_sort_implINS0_14default_configELb1EPKhPhPKlPlN2at6native12_GLOBAL__N_18offset_tEEE10hipError_tPvRmT1_PNSt15iterator_traitsIS12_E10value_typeET2_T3_PNS13_IS18_E10value_typeET4_jRbjT5_S1E_jjP12ihipStream_tbEUljE_ZNSN_ISO_Lb1ESQ_SR_ST_SU_SY_EESZ_S10_S11_S12_S16_S17_S18_S1B_S1C_jS1D_jS1E_S1E_jjS1G_bEUljE0_EEESZ_S10_S11_S18_S1C_S1E_T6_T7_T9_mT8_S1G_bDpT10_ENKUlT_T0_E_clISt17integral_constantIbLb1EES1T_IbLb0EEEEDaS1P_S1Q_EUlS1P_E_NS1_11comp_targetILNS1_3genE4ELNS1_11target_archE910ELNS1_3gpuE8ELNS1_3repE0EEENS1_30default_config_static_selectorELNS0_4arch9wavefront6targetE0EEEvS12_.uses_flat_scratch, 0
	.set _ZN7rocprim17ROCPRIM_400000_NS6detail17trampoline_kernelINS0_13select_configILj256ELj13ELNS0_17block_load_methodE3ELS4_3ELS4_3ELNS0_20block_scan_algorithmE0ELj4294967295EEENS1_25partition_config_selectorILNS1_17partition_subalgoE4EjNS0_10empty_typeEbEEZZNS1_14partition_implILS8_4ELb0ES6_15HIP_vector_typeIjLj2EENS0_17counting_iteratorIjlEEPS9_SG_NS0_5tupleIJPjSI_NS0_16reverse_iteratorISI_EEEEENSH_IJSG_SG_SG_EEES9_SI_JZNS1_25segmented_radix_sort_implINS0_14default_configELb1EPKhPhPKlPlN2at6native12_GLOBAL__N_18offset_tEEE10hipError_tPvRmT1_PNSt15iterator_traitsIS12_E10value_typeET2_T3_PNS13_IS18_E10value_typeET4_jRbjT5_S1E_jjP12ihipStream_tbEUljE_ZNSN_ISO_Lb1ESQ_SR_ST_SU_SY_EESZ_S10_S11_S12_S16_S17_S18_S1B_S1C_jS1D_jS1E_S1E_jjS1G_bEUljE0_EEESZ_S10_S11_S18_S1C_S1E_T6_T7_T9_mT8_S1G_bDpT10_ENKUlT_T0_E_clISt17integral_constantIbLb1EES1T_IbLb0EEEEDaS1P_S1Q_EUlS1P_E_NS1_11comp_targetILNS1_3genE4ELNS1_11target_archE910ELNS1_3gpuE8ELNS1_3repE0EEENS1_30default_config_static_selectorELNS0_4arch9wavefront6targetE0EEEvS12_.has_dyn_sized_stack, 0
	.set _ZN7rocprim17ROCPRIM_400000_NS6detail17trampoline_kernelINS0_13select_configILj256ELj13ELNS0_17block_load_methodE3ELS4_3ELS4_3ELNS0_20block_scan_algorithmE0ELj4294967295EEENS1_25partition_config_selectorILNS1_17partition_subalgoE4EjNS0_10empty_typeEbEEZZNS1_14partition_implILS8_4ELb0ES6_15HIP_vector_typeIjLj2EENS0_17counting_iteratorIjlEEPS9_SG_NS0_5tupleIJPjSI_NS0_16reverse_iteratorISI_EEEEENSH_IJSG_SG_SG_EEES9_SI_JZNS1_25segmented_radix_sort_implINS0_14default_configELb1EPKhPhPKlPlN2at6native12_GLOBAL__N_18offset_tEEE10hipError_tPvRmT1_PNSt15iterator_traitsIS12_E10value_typeET2_T3_PNS13_IS18_E10value_typeET4_jRbjT5_S1E_jjP12ihipStream_tbEUljE_ZNSN_ISO_Lb1ESQ_SR_ST_SU_SY_EESZ_S10_S11_S12_S16_S17_S18_S1B_S1C_jS1D_jS1E_S1E_jjS1G_bEUljE0_EEESZ_S10_S11_S18_S1C_S1E_T6_T7_T9_mT8_S1G_bDpT10_ENKUlT_T0_E_clISt17integral_constantIbLb1EES1T_IbLb0EEEEDaS1P_S1Q_EUlS1P_E_NS1_11comp_targetILNS1_3genE4ELNS1_11target_archE910ELNS1_3gpuE8ELNS1_3repE0EEENS1_30default_config_static_selectorELNS0_4arch9wavefront6targetE0EEEvS12_.has_recursion, 0
	.set _ZN7rocprim17ROCPRIM_400000_NS6detail17trampoline_kernelINS0_13select_configILj256ELj13ELNS0_17block_load_methodE3ELS4_3ELS4_3ELNS0_20block_scan_algorithmE0ELj4294967295EEENS1_25partition_config_selectorILNS1_17partition_subalgoE4EjNS0_10empty_typeEbEEZZNS1_14partition_implILS8_4ELb0ES6_15HIP_vector_typeIjLj2EENS0_17counting_iteratorIjlEEPS9_SG_NS0_5tupleIJPjSI_NS0_16reverse_iteratorISI_EEEEENSH_IJSG_SG_SG_EEES9_SI_JZNS1_25segmented_radix_sort_implINS0_14default_configELb1EPKhPhPKlPlN2at6native12_GLOBAL__N_18offset_tEEE10hipError_tPvRmT1_PNSt15iterator_traitsIS12_E10value_typeET2_T3_PNS13_IS18_E10value_typeET4_jRbjT5_S1E_jjP12ihipStream_tbEUljE_ZNSN_ISO_Lb1ESQ_SR_ST_SU_SY_EESZ_S10_S11_S12_S16_S17_S18_S1B_S1C_jS1D_jS1E_S1E_jjS1G_bEUljE0_EEESZ_S10_S11_S18_S1C_S1E_T6_T7_T9_mT8_S1G_bDpT10_ENKUlT_T0_E_clISt17integral_constantIbLb1EES1T_IbLb0EEEEDaS1P_S1Q_EUlS1P_E_NS1_11comp_targetILNS1_3genE4ELNS1_11target_archE910ELNS1_3gpuE8ELNS1_3repE0EEENS1_30default_config_static_selectorELNS0_4arch9wavefront6targetE0EEEvS12_.has_indirect_call, 0
	.section	.AMDGPU.csdata,"",@progbits
; Kernel info:
; codeLenInByte = 0
; TotalNumSgprs: 0
; NumVgprs: 0
; ScratchSize: 0
; MemoryBound: 0
; FloatMode: 240
; IeeeMode: 1
; LDSByteSize: 0 bytes/workgroup (compile time only)
; SGPRBlocks: 0
; VGPRBlocks: 0
; NumSGPRsForWavesPerEU: 1
; NumVGPRsForWavesPerEU: 1
; Occupancy: 16
; WaveLimiterHint : 0
; COMPUTE_PGM_RSRC2:SCRATCH_EN: 0
; COMPUTE_PGM_RSRC2:USER_SGPR: 6
; COMPUTE_PGM_RSRC2:TRAP_HANDLER: 0
; COMPUTE_PGM_RSRC2:TGID_X_EN: 1
; COMPUTE_PGM_RSRC2:TGID_Y_EN: 0
; COMPUTE_PGM_RSRC2:TGID_Z_EN: 0
; COMPUTE_PGM_RSRC2:TIDIG_COMP_CNT: 0
	.section	.text._ZN7rocprim17ROCPRIM_400000_NS6detail17trampoline_kernelINS0_13select_configILj256ELj13ELNS0_17block_load_methodE3ELS4_3ELS4_3ELNS0_20block_scan_algorithmE0ELj4294967295EEENS1_25partition_config_selectorILNS1_17partition_subalgoE4EjNS0_10empty_typeEbEEZZNS1_14partition_implILS8_4ELb0ES6_15HIP_vector_typeIjLj2EENS0_17counting_iteratorIjlEEPS9_SG_NS0_5tupleIJPjSI_NS0_16reverse_iteratorISI_EEEEENSH_IJSG_SG_SG_EEES9_SI_JZNS1_25segmented_radix_sort_implINS0_14default_configELb1EPKhPhPKlPlN2at6native12_GLOBAL__N_18offset_tEEE10hipError_tPvRmT1_PNSt15iterator_traitsIS12_E10value_typeET2_T3_PNS13_IS18_E10value_typeET4_jRbjT5_S1E_jjP12ihipStream_tbEUljE_ZNSN_ISO_Lb1ESQ_SR_ST_SU_SY_EESZ_S10_S11_S12_S16_S17_S18_S1B_S1C_jS1D_jS1E_S1E_jjS1G_bEUljE0_EEESZ_S10_S11_S18_S1C_S1E_T6_T7_T9_mT8_S1G_bDpT10_ENKUlT_T0_E_clISt17integral_constantIbLb1EES1T_IbLb0EEEEDaS1P_S1Q_EUlS1P_E_NS1_11comp_targetILNS1_3genE3ELNS1_11target_archE908ELNS1_3gpuE7ELNS1_3repE0EEENS1_30default_config_static_selectorELNS0_4arch9wavefront6targetE0EEEvS12_,"axG",@progbits,_ZN7rocprim17ROCPRIM_400000_NS6detail17trampoline_kernelINS0_13select_configILj256ELj13ELNS0_17block_load_methodE3ELS4_3ELS4_3ELNS0_20block_scan_algorithmE0ELj4294967295EEENS1_25partition_config_selectorILNS1_17partition_subalgoE4EjNS0_10empty_typeEbEEZZNS1_14partition_implILS8_4ELb0ES6_15HIP_vector_typeIjLj2EENS0_17counting_iteratorIjlEEPS9_SG_NS0_5tupleIJPjSI_NS0_16reverse_iteratorISI_EEEEENSH_IJSG_SG_SG_EEES9_SI_JZNS1_25segmented_radix_sort_implINS0_14default_configELb1EPKhPhPKlPlN2at6native12_GLOBAL__N_18offset_tEEE10hipError_tPvRmT1_PNSt15iterator_traitsIS12_E10value_typeET2_T3_PNS13_IS18_E10value_typeET4_jRbjT5_S1E_jjP12ihipStream_tbEUljE_ZNSN_ISO_Lb1ESQ_SR_ST_SU_SY_EESZ_S10_S11_S12_S16_S17_S18_S1B_S1C_jS1D_jS1E_S1E_jjS1G_bEUljE0_EEESZ_S10_S11_S18_S1C_S1E_T6_T7_T9_mT8_S1G_bDpT10_ENKUlT_T0_E_clISt17integral_constantIbLb1EES1T_IbLb0EEEEDaS1P_S1Q_EUlS1P_E_NS1_11comp_targetILNS1_3genE3ELNS1_11target_archE908ELNS1_3gpuE7ELNS1_3repE0EEENS1_30default_config_static_selectorELNS0_4arch9wavefront6targetE0EEEvS12_,comdat
	.globl	_ZN7rocprim17ROCPRIM_400000_NS6detail17trampoline_kernelINS0_13select_configILj256ELj13ELNS0_17block_load_methodE3ELS4_3ELS4_3ELNS0_20block_scan_algorithmE0ELj4294967295EEENS1_25partition_config_selectorILNS1_17partition_subalgoE4EjNS0_10empty_typeEbEEZZNS1_14partition_implILS8_4ELb0ES6_15HIP_vector_typeIjLj2EENS0_17counting_iteratorIjlEEPS9_SG_NS0_5tupleIJPjSI_NS0_16reverse_iteratorISI_EEEEENSH_IJSG_SG_SG_EEES9_SI_JZNS1_25segmented_radix_sort_implINS0_14default_configELb1EPKhPhPKlPlN2at6native12_GLOBAL__N_18offset_tEEE10hipError_tPvRmT1_PNSt15iterator_traitsIS12_E10value_typeET2_T3_PNS13_IS18_E10value_typeET4_jRbjT5_S1E_jjP12ihipStream_tbEUljE_ZNSN_ISO_Lb1ESQ_SR_ST_SU_SY_EESZ_S10_S11_S12_S16_S17_S18_S1B_S1C_jS1D_jS1E_S1E_jjS1G_bEUljE0_EEESZ_S10_S11_S18_S1C_S1E_T6_T7_T9_mT8_S1G_bDpT10_ENKUlT_T0_E_clISt17integral_constantIbLb1EES1T_IbLb0EEEEDaS1P_S1Q_EUlS1P_E_NS1_11comp_targetILNS1_3genE3ELNS1_11target_archE908ELNS1_3gpuE7ELNS1_3repE0EEENS1_30default_config_static_selectorELNS0_4arch9wavefront6targetE0EEEvS12_ ; -- Begin function _ZN7rocprim17ROCPRIM_400000_NS6detail17trampoline_kernelINS0_13select_configILj256ELj13ELNS0_17block_load_methodE3ELS4_3ELS4_3ELNS0_20block_scan_algorithmE0ELj4294967295EEENS1_25partition_config_selectorILNS1_17partition_subalgoE4EjNS0_10empty_typeEbEEZZNS1_14partition_implILS8_4ELb0ES6_15HIP_vector_typeIjLj2EENS0_17counting_iteratorIjlEEPS9_SG_NS0_5tupleIJPjSI_NS0_16reverse_iteratorISI_EEEEENSH_IJSG_SG_SG_EEES9_SI_JZNS1_25segmented_radix_sort_implINS0_14default_configELb1EPKhPhPKlPlN2at6native12_GLOBAL__N_18offset_tEEE10hipError_tPvRmT1_PNSt15iterator_traitsIS12_E10value_typeET2_T3_PNS13_IS18_E10value_typeET4_jRbjT5_S1E_jjP12ihipStream_tbEUljE_ZNSN_ISO_Lb1ESQ_SR_ST_SU_SY_EESZ_S10_S11_S12_S16_S17_S18_S1B_S1C_jS1D_jS1E_S1E_jjS1G_bEUljE0_EEESZ_S10_S11_S18_S1C_S1E_T6_T7_T9_mT8_S1G_bDpT10_ENKUlT_T0_E_clISt17integral_constantIbLb1EES1T_IbLb0EEEEDaS1P_S1Q_EUlS1P_E_NS1_11comp_targetILNS1_3genE3ELNS1_11target_archE908ELNS1_3gpuE7ELNS1_3repE0EEENS1_30default_config_static_selectorELNS0_4arch9wavefront6targetE0EEEvS12_
	.p2align	8
	.type	_ZN7rocprim17ROCPRIM_400000_NS6detail17trampoline_kernelINS0_13select_configILj256ELj13ELNS0_17block_load_methodE3ELS4_3ELS4_3ELNS0_20block_scan_algorithmE0ELj4294967295EEENS1_25partition_config_selectorILNS1_17partition_subalgoE4EjNS0_10empty_typeEbEEZZNS1_14partition_implILS8_4ELb0ES6_15HIP_vector_typeIjLj2EENS0_17counting_iteratorIjlEEPS9_SG_NS0_5tupleIJPjSI_NS0_16reverse_iteratorISI_EEEEENSH_IJSG_SG_SG_EEES9_SI_JZNS1_25segmented_radix_sort_implINS0_14default_configELb1EPKhPhPKlPlN2at6native12_GLOBAL__N_18offset_tEEE10hipError_tPvRmT1_PNSt15iterator_traitsIS12_E10value_typeET2_T3_PNS13_IS18_E10value_typeET4_jRbjT5_S1E_jjP12ihipStream_tbEUljE_ZNSN_ISO_Lb1ESQ_SR_ST_SU_SY_EESZ_S10_S11_S12_S16_S17_S18_S1B_S1C_jS1D_jS1E_S1E_jjS1G_bEUljE0_EEESZ_S10_S11_S18_S1C_S1E_T6_T7_T9_mT8_S1G_bDpT10_ENKUlT_T0_E_clISt17integral_constantIbLb1EES1T_IbLb0EEEEDaS1P_S1Q_EUlS1P_E_NS1_11comp_targetILNS1_3genE3ELNS1_11target_archE908ELNS1_3gpuE7ELNS1_3repE0EEENS1_30default_config_static_selectorELNS0_4arch9wavefront6targetE0EEEvS12_,@function
_ZN7rocprim17ROCPRIM_400000_NS6detail17trampoline_kernelINS0_13select_configILj256ELj13ELNS0_17block_load_methodE3ELS4_3ELS4_3ELNS0_20block_scan_algorithmE0ELj4294967295EEENS1_25partition_config_selectorILNS1_17partition_subalgoE4EjNS0_10empty_typeEbEEZZNS1_14partition_implILS8_4ELb0ES6_15HIP_vector_typeIjLj2EENS0_17counting_iteratorIjlEEPS9_SG_NS0_5tupleIJPjSI_NS0_16reverse_iteratorISI_EEEEENSH_IJSG_SG_SG_EEES9_SI_JZNS1_25segmented_radix_sort_implINS0_14default_configELb1EPKhPhPKlPlN2at6native12_GLOBAL__N_18offset_tEEE10hipError_tPvRmT1_PNSt15iterator_traitsIS12_E10value_typeET2_T3_PNS13_IS18_E10value_typeET4_jRbjT5_S1E_jjP12ihipStream_tbEUljE_ZNSN_ISO_Lb1ESQ_SR_ST_SU_SY_EESZ_S10_S11_S12_S16_S17_S18_S1B_S1C_jS1D_jS1E_S1E_jjS1G_bEUljE0_EEESZ_S10_S11_S18_S1C_S1E_T6_T7_T9_mT8_S1G_bDpT10_ENKUlT_T0_E_clISt17integral_constantIbLb1EES1T_IbLb0EEEEDaS1P_S1Q_EUlS1P_E_NS1_11comp_targetILNS1_3genE3ELNS1_11target_archE908ELNS1_3gpuE7ELNS1_3repE0EEENS1_30default_config_static_selectorELNS0_4arch9wavefront6targetE0EEEvS12_: ; @_ZN7rocprim17ROCPRIM_400000_NS6detail17trampoline_kernelINS0_13select_configILj256ELj13ELNS0_17block_load_methodE3ELS4_3ELS4_3ELNS0_20block_scan_algorithmE0ELj4294967295EEENS1_25partition_config_selectorILNS1_17partition_subalgoE4EjNS0_10empty_typeEbEEZZNS1_14partition_implILS8_4ELb0ES6_15HIP_vector_typeIjLj2EENS0_17counting_iteratorIjlEEPS9_SG_NS0_5tupleIJPjSI_NS0_16reverse_iteratorISI_EEEEENSH_IJSG_SG_SG_EEES9_SI_JZNS1_25segmented_radix_sort_implINS0_14default_configELb1EPKhPhPKlPlN2at6native12_GLOBAL__N_18offset_tEEE10hipError_tPvRmT1_PNSt15iterator_traitsIS12_E10value_typeET2_T3_PNS13_IS18_E10value_typeET4_jRbjT5_S1E_jjP12ihipStream_tbEUljE_ZNSN_ISO_Lb1ESQ_SR_ST_SU_SY_EESZ_S10_S11_S12_S16_S17_S18_S1B_S1C_jS1D_jS1E_S1E_jjS1G_bEUljE0_EEESZ_S10_S11_S18_S1C_S1E_T6_T7_T9_mT8_S1G_bDpT10_ENKUlT_T0_E_clISt17integral_constantIbLb1EES1T_IbLb0EEEEDaS1P_S1Q_EUlS1P_E_NS1_11comp_targetILNS1_3genE3ELNS1_11target_archE908ELNS1_3gpuE7ELNS1_3repE0EEENS1_30default_config_static_selectorELNS0_4arch9wavefront6targetE0EEEvS12_
; %bb.0:
	.section	.rodata,"a",@progbits
	.p2align	6, 0x0
	.amdhsa_kernel _ZN7rocprim17ROCPRIM_400000_NS6detail17trampoline_kernelINS0_13select_configILj256ELj13ELNS0_17block_load_methodE3ELS4_3ELS4_3ELNS0_20block_scan_algorithmE0ELj4294967295EEENS1_25partition_config_selectorILNS1_17partition_subalgoE4EjNS0_10empty_typeEbEEZZNS1_14partition_implILS8_4ELb0ES6_15HIP_vector_typeIjLj2EENS0_17counting_iteratorIjlEEPS9_SG_NS0_5tupleIJPjSI_NS0_16reverse_iteratorISI_EEEEENSH_IJSG_SG_SG_EEES9_SI_JZNS1_25segmented_radix_sort_implINS0_14default_configELb1EPKhPhPKlPlN2at6native12_GLOBAL__N_18offset_tEEE10hipError_tPvRmT1_PNSt15iterator_traitsIS12_E10value_typeET2_T3_PNS13_IS18_E10value_typeET4_jRbjT5_S1E_jjP12ihipStream_tbEUljE_ZNSN_ISO_Lb1ESQ_SR_ST_SU_SY_EESZ_S10_S11_S12_S16_S17_S18_S1B_S1C_jS1D_jS1E_S1E_jjS1G_bEUljE0_EEESZ_S10_S11_S18_S1C_S1E_T6_T7_T9_mT8_S1G_bDpT10_ENKUlT_T0_E_clISt17integral_constantIbLb1EES1T_IbLb0EEEEDaS1P_S1Q_EUlS1P_E_NS1_11comp_targetILNS1_3genE3ELNS1_11target_archE908ELNS1_3gpuE7ELNS1_3repE0EEENS1_30default_config_static_selectorELNS0_4arch9wavefront6targetE0EEEvS12_
		.amdhsa_group_segment_fixed_size 0
		.amdhsa_private_segment_fixed_size 0
		.amdhsa_kernarg_size 176
		.amdhsa_user_sgpr_count 6
		.amdhsa_user_sgpr_private_segment_buffer 1
		.amdhsa_user_sgpr_dispatch_ptr 0
		.amdhsa_user_sgpr_queue_ptr 0
		.amdhsa_user_sgpr_kernarg_segment_ptr 1
		.amdhsa_user_sgpr_dispatch_id 0
		.amdhsa_user_sgpr_flat_scratch_init 0
		.amdhsa_user_sgpr_private_segment_size 0
		.amdhsa_wavefront_size32 1
		.amdhsa_uses_dynamic_stack 0
		.amdhsa_system_sgpr_private_segment_wavefront_offset 0
		.amdhsa_system_sgpr_workgroup_id_x 1
		.amdhsa_system_sgpr_workgroup_id_y 0
		.amdhsa_system_sgpr_workgroup_id_z 0
		.amdhsa_system_sgpr_workgroup_info 0
		.amdhsa_system_vgpr_workitem_id 0
		.amdhsa_next_free_vgpr 1
		.amdhsa_next_free_sgpr 1
		.amdhsa_reserve_vcc 0
		.amdhsa_reserve_flat_scratch 0
		.amdhsa_float_round_mode_32 0
		.amdhsa_float_round_mode_16_64 0
		.amdhsa_float_denorm_mode_32 3
		.amdhsa_float_denorm_mode_16_64 3
		.amdhsa_dx10_clamp 1
		.amdhsa_ieee_mode 1
		.amdhsa_fp16_overflow 0
		.amdhsa_workgroup_processor_mode 1
		.amdhsa_memory_ordered 1
		.amdhsa_forward_progress 1
		.amdhsa_shared_vgpr_count 0
		.amdhsa_exception_fp_ieee_invalid_op 0
		.amdhsa_exception_fp_denorm_src 0
		.amdhsa_exception_fp_ieee_div_zero 0
		.amdhsa_exception_fp_ieee_overflow 0
		.amdhsa_exception_fp_ieee_underflow 0
		.amdhsa_exception_fp_ieee_inexact 0
		.amdhsa_exception_int_div_zero 0
	.end_amdhsa_kernel
	.section	.text._ZN7rocprim17ROCPRIM_400000_NS6detail17trampoline_kernelINS0_13select_configILj256ELj13ELNS0_17block_load_methodE3ELS4_3ELS4_3ELNS0_20block_scan_algorithmE0ELj4294967295EEENS1_25partition_config_selectorILNS1_17partition_subalgoE4EjNS0_10empty_typeEbEEZZNS1_14partition_implILS8_4ELb0ES6_15HIP_vector_typeIjLj2EENS0_17counting_iteratorIjlEEPS9_SG_NS0_5tupleIJPjSI_NS0_16reverse_iteratorISI_EEEEENSH_IJSG_SG_SG_EEES9_SI_JZNS1_25segmented_radix_sort_implINS0_14default_configELb1EPKhPhPKlPlN2at6native12_GLOBAL__N_18offset_tEEE10hipError_tPvRmT1_PNSt15iterator_traitsIS12_E10value_typeET2_T3_PNS13_IS18_E10value_typeET4_jRbjT5_S1E_jjP12ihipStream_tbEUljE_ZNSN_ISO_Lb1ESQ_SR_ST_SU_SY_EESZ_S10_S11_S12_S16_S17_S18_S1B_S1C_jS1D_jS1E_S1E_jjS1G_bEUljE0_EEESZ_S10_S11_S18_S1C_S1E_T6_T7_T9_mT8_S1G_bDpT10_ENKUlT_T0_E_clISt17integral_constantIbLb1EES1T_IbLb0EEEEDaS1P_S1Q_EUlS1P_E_NS1_11comp_targetILNS1_3genE3ELNS1_11target_archE908ELNS1_3gpuE7ELNS1_3repE0EEENS1_30default_config_static_selectorELNS0_4arch9wavefront6targetE0EEEvS12_,"axG",@progbits,_ZN7rocprim17ROCPRIM_400000_NS6detail17trampoline_kernelINS0_13select_configILj256ELj13ELNS0_17block_load_methodE3ELS4_3ELS4_3ELNS0_20block_scan_algorithmE0ELj4294967295EEENS1_25partition_config_selectorILNS1_17partition_subalgoE4EjNS0_10empty_typeEbEEZZNS1_14partition_implILS8_4ELb0ES6_15HIP_vector_typeIjLj2EENS0_17counting_iteratorIjlEEPS9_SG_NS0_5tupleIJPjSI_NS0_16reverse_iteratorISI_EEEEENSH_IJSG_SG_SG_EEES9_SI_JZNS1_25segmented_radix_sort_implINS0_14default_configELb1EPKhPhPKlPlN2at6native12_GLOBAL__N_18offset_tEEE10hipError_tPvRmT1_PNSt15iterator_traitsIS12_E10value_typeET2_T3_PNS13_IS18_E10value_typeET4_jRbjT5_S1E_jjP12ihipStream_tbEUljE_ZNSN_ISO_Lb1ESQ_SR_ST_SU_SY_EESZ_S10_S11_S12_S16_S17_S18_S1B_S1C_jS1D_jS1E_S1E_jjS1G_bEUljE0_EEESZ_S10_S11_S18_S1C_S1E_T6_T7_T9_mT8_S1G_bDpT10_ENKUlT_T0_E_clISt17integral_constantIbLb1EES1T_IbLb0EEEEDaS1P_S1Q_EUlS1P_E_NS1_11comp_targetILNS1_3genE3ELNS1_11target_archE908ELNS1_3gpuE7ELNS1_3repE0EEENS1_30default_config_static_selectorELNS0_4arch9wavefront6targetE0EEEvS12_,comdat
.Lfunc_end33:
	.size	_ZN7rocprim17ROCPRIM_400000_NS6detail17trampoline_kernelINS0_13select_configILj256ELj13ELNS0_17block_load_methodE3ELS4_3ELS4_3ELNS0_20block_scan_algorithmE0ELj4294967295EEENS1_25partition_config_selectorILNS1_17partition_subalgoE4EjNS0_10empty_typeEbEEZZNS1_14partition_implILS8_4ELb0ES6_15HIP_vector_typeIjLj2EENS0_17counting_iteratorIjlEEPS9_SG_NS0_5tupleIJPjSI_NS0_16reverse_iteratorISI_EEEEENSH_IJSG_SG_SG_EEES9_SI_JZNS1_25segmented_radix_sort_implINS0_14default_configELb1EPKhPhPKlPlN2at6native12_GLOBAL__N_18offset_tEEE10hipError_tPvRmT1_PNSt15iterator_traitsIS12_E10value_typeET2_T3_PNS13_IS18_E10value_typeET4_jRbjT5_S1E_jjP12ihipStream_tbEUljE_ZNSN_ISO_Lb1ESQ_SR_ST_SU_SY_EESZ_S10_S11_S12_S16_S17_S18_S1B_S1C_jS1D_jS1E_S1E_jjS1G_bEUljE0_EEESZ_S10_S11_S18_S1C_S1E_T6_T7_T9_mT8_S1G_bDpT10_ENKUlT_T0_E_clISt17integral_constantIbLb1EES1T_IbLb0EEEEDaS1P_S1Q_EUlS1P_E_NS1_11comp_targetILNS1_3genE3ELNS1_11target_archE908ELNS1_3gpuE7ELNS1_3repE0EEENS1_30default_config_static_selectorELNS0_4arch9wavefront6targetE0EEEvS12_, .Lfunc_end33-_ZN7rocprim17ROCPRIM_400000_NS6detail17trampoline_kernelINS0_13select_configILj256ELj13ELNS0_17block_load_methodE3ELS4_3ELS4_3ELNS0_20block_scan_algorithmE0ELj4294967295EEENS1_25partition_config_selectorILNS1_17partition_subalgoE4EjNS0_10empty_typeEbEEZZNS1_14partition_implILS8_4ELb0ES6_15HIP_vector_typeIjLj2EENS0_17counting_iteratorIjlEEPS9_SG_NS0_5tupleIJPjSI_NS0_16reverse_iteratorISI_EEEEENSH_IJSG_SG_SG_EEES9_SI_JZNS1_25segmented_radix_sort_implINS0_14default_configELb1EPKhPhPKlPlN2at6native12_GLOBAL__N_18offset_tEEE10hipError_tPvRmT1_PNSt15iterator_traitsIS12_E10value_typeET2_T3_PNS13_IS18_E10value_typeET4_jRbjT5_S1E_jjP12ihipStream_tbEUljE_ZNSN_ISO_Lb1ESQ_SR_ST_SU_SY_EESZ_S10_S11_S12_S16_S17_S18_S1B_S1C_jS1D_jS1E_S1E_jjS1G_bEUljE0_EEESZ_S10_S11_S18_S1C_S1E_T6_T7_T9_mT8_S1G_bDpT10_ENKUlT_T0_E_clISt17integral_constantIbLb1EES1T_IbLb0EEEEDaS1P_S1Q_EUlS1P_E_NS1_11comp_targetILNS1_3genE3ELNS1_11target_archE908ELNS1_3gpuE7ELNS1_3repE0EEENS1_30default_config_static_selectorELNS0_4arch9wavefront6targetE0EEEvS12_
                                        ; -- End function
	.set _ZN7rocprim17ROCPRIM_400000_NS6detail17trampoline_kernelINS0_13select_configILj256ELj13ELNS0_17block_load_methodE3ELS4_3ELS4_3ELNS0_20block_scan_algorithmE0ELj4294967295EEENS1_25partition_config_selectorILNS1_17partition_subalgoE4EjNS0_10empty_typeEbEEZZNS1_14partition_implILS8_4ELb0ES6_15HIP_vector_typeIjLj2EENS0_17counting_iteratorIjlEEPS9_SG_NS0_5tupleIJPjSI_NS0_16reverse_iteratorISI_EEEEENSH_IJSG_SG_SG_EEES9_SI_JZNS1_25segmented_radix_sort_implINS0_14default_configELb1EPKhPhPKlPlN2at6native12_GLOBAL__N_18offset_tEEE10hipError_tPvRmT1_PNSt15iterator_traitsIS12_E10value_typeET2_T3_PNS13_IS18_E10value_typeET4_jRbjT5_S1E_jjP12ihipStream_tbEUljE_ZNSN_ISO_Lb1ESQ_SR_ST_SU_SY_EESZ_S10_S11_S12_S16_S17_S18_S1B_S1C_jS1D_jS1E_S1E_jjS1G_bEUljE0_EEESZ_S10_S11_S18_S1C_S1E_T6_T7_T9_mT8_S1G_bDpT10_ENKUlT_T0_E_clISt17integral_constantIbLb1EES1T_IbLb0EEEEDaS1P_S1Q_EUlS1P_E_NS1_11comp_targetILNS1_3genE3ELNS1_11target_archE908ELNS1_3gpuE7ELNS1_3repE0EEENS1_30default_config_static_selectorELNS0_4arch9wavefront6targetE0EEEvS12_.num_vgpr, 0
	.set _ZN7rocprim17ROCPRIM_400000_NS6detail17trampoline_kernelINS0_13select_configILj256ELj13ELNS0_17block_load_methodE3ELS4_3ELS4_3ELNS0_20block_scan_algorithmE0ELj4294967295EEENS1_25partition_config_selectorILNS1_17partition_subalgoE4EjNS0_10empty_typeEbEEZZNS1_14partition_implILS8_4ELb0ES6_15HIP_vector_typeIjLj2EENS0_17counting_iteratorIjlEEPS9_SG_NS0_5tupleIJPjSI_NS0_16reverse_iteratorISI_EEEEENSH_IJSG_SG_SG_EEES9_SI_JZNS1_25segmented_radix_sort_implINS0_14default_configELb1EPKhPhPKlPlN2at6native12_GLOBAL__N_18offset_tEEE10hipError_tPvRmT1_PNSt15iterator_traitsIS12_E10value_typeET2_T3_PNS13_IS18_E10value_typeET4_jRbjT5_S1E_jjP12ihipStream_tbEUljE_ZNSN_ISO_Lb1ESQ_SR_ST_SU_SY_EESZ_S10_S11_S12_S16_S17_S18_S1B_S1C_jS1D_jS1E_S1E_jjS1G_bEUljE0_EEESZ_S10_S11_S18_S1C_S1E_T6_T7_T9_mT8_S1G_bDpT10_ENKUlT_T0_E_clISt17integral_constantIbLb1EES1T_IbLb0EEEEDaS1P_S1Q_EUlS1P_E_NS1_11comp_targetILNS1_3genE3ELNS1_11target_archE908ELNS1_3gpuE7ELNS1_3repE0EEENS1_30default_config_static_selectorELNS0_4arch9wavefront6targetE0EEEvS12_.num_agpr, 0
	.set _ZN7rocprim17ROCPRIM_400000_NS6detail17trampoline_kernelINS0_13select_configILj256ELj13ELNS0_17block_load_methodE3ELS4_3ELS4_3ELNS0_20block_scan_algorithmE0ELj4294967295EEENS1_25partition_config_selectorILNS1_17partition_subalgoE4EjNS0_10empty_typeEbEEZZNS1_14partition_implILS8_4ELb0ES6_15HIP_vector_typeIjLj2EENS0_17counting_iteratorIjlEEPS9_SG_NS0_5tupleIJPjSI_NS0_16reverse_iteratorISI_EEEEENSH_IJSG_SG_SG_EEES9_SI_JZNS1_25segmented_radix_sort_implINS0_14default_configELb1EPKhPhPKlPlN2at6native12_GLOBAL__N_18offset_tEEE10hipError_tPvRmT1_PNSt15iterator_traitsIS12_E10value_typeET2_T3_PNS13_IS18_E10value_typeET4_jRbjT5_S1E_jjP12ihipStream_tbEUljE_ZNSN_ISO_Lb1ESQ_SR_ST_SU_SY_EESZ_S10_S11_S12_S16_S17_S18_S1B_S1C_jS1D_jS1E_S1E_jjS1G_bEUljE0_EEESZ_S10_S11_S18_S1C_S1E_T6_T7_T9_mT8_S1G_bDpT10_ENKUlT_T0_E_clISt17integral_constantIbLb1EES1T_IbLb0EEEEDaS1P_S1Q_EUlS1P_E_NS1_11comp_targetILNS1_3genE3ELNS1_11target_archE908ELNS1_3gpuE7ELNS1_3repE0EEENS1_30default_config_static_selectorELNS0_4arch9wavefront6targetE0EEEvS12_.numbered_sgpr, 0
	.set _ZN7rocprim17ROCPRIM_400000_NS6detail17trampoline_kernelINS0_13select_configILj256ELj13ELNS0_17block_load_methodE3ELS4_3ELS4_3ELNS0_20block_scan_algorithmE0ELj4294967295EEENS1_25partition_config_selectorILNS1_17partition_subalgoE4EjNS0_10empty_typeEbEEZZNS1_14partition_implILS8_4ELb0ES6_15HIP_vector_typeIjLj2EENS0_17counting_iteratorIjlEEPS9_SG_NS0_5tupleIJPjSI_NS0_16reverse_iteratorISI_EEEEENSH_IJSG_SG_SG_EEES9_SI_JZNS1_25segmented_radix_sort_implINS0_14default_configELb1EPKhPhPKlPlN2at6native12_GLOBAL__N_18offset_tEEE10hipError_tPvRmT1_PNSt15iterator_traitsIS12_E10value_typeET2_T3_PNS13_IS18_E10value_typeET4_jRbjT5_S1E_jjP12ihipStream_tbEUljE_ZNSN_ISO_Lb1ESQ_SR_ST_SU_SY_EESZ_S10_S11_S12_S16_S17_S18_S1B_S1C_jS1D_jS1E_S1E_jjS1G_bEUljE0_EEESZ_S10_S11_S18_S1C_S1E_T6_T7_T9_mT8_S1G_bDpT10_ENKUlT_T0_E_clISt17integral_constantIbLb1EES1T_IbLb0EEEEDaS1P_S1Q_EUlS1P_E_NS1_11comp_targetILNS1_3genE3ELNS1_11target_archE908ELNS1_3gpuE7ELNS1_3repE0EEENS1_30default_config_static_selectorELNS0_4arch9wavefront6targetE0EEEvS12_.num_named_barrier, 0
	.set _ZN7rocprim17ROCPRIM_400000_NS6detail17trampoline_kernelINS0_13select_configILj256ELj13ELNS0_17block_load_methodE3ELS4_3ELS4_3ELNS0_20block_scan_algorithmE0ELj4294967295EEENS1_25partition_config_selectorILNS1_17partition_subalgoE4EjNS0_10empty_typeEbEEZZNS1_14partition_implILS8_4ELb0ES6_15HIP_vector_typeIjLj2EENS0_17counting_iteratorIjlEEPS9_SG_NS0_5tupleIJPjSI_NS0_16reverse_iteratorISI_EEEEENSH_IJSG_SG_SG_EEES9_SI_JZNS1_25segmented_radix_sort_implINS0_14default_configELb1EPKhPhPKlPlN2at6native12_GLOBAL__N_18offset_tEEE10hipError_tPvRmT1_PNSt15iterator_traitsIS12_E10value_typeET2_T3_PNS13_IS18_E10value_typeET4_jRbjT5_S1E_jjP12ihipStream_tbEUljE_ZNSN_ISO_Lb1ESQ_SR_ST_SU_SY_EESZ_S10_S11_S12_S16_S17_S18_S1B_S1C_jS1D_jS1E_S1E_jjS1G_bEUljE0_EEESZ_S10_S11_S18_S1C_S1E_T6_T7_T9_mT8_S1G_bDpT10_ENKUlT_T0_E_clISt17integral_constantIbLb1EES1T_IbLb0EEEEDaS1P_S1Q_EUlS1P_E_NS1_11comp_targetILNS1_3genE3ELNS1_11target_archE908ELNS1_3gpuE7ELNS1_3repE0EEENS1_30default_config_static_selectorELNS0_4arch9wavefront6targetE0EEEvS12_.private_seg_size, 0
	.set _ZN7rocprim17ROCPRIM_400000_NS6detail17trampoline_kernelINS0_13select_configILj256ELj13ELNS0_17block_load_methodE3ELS4_3ELS4_3ELNS0_20block_scan_algorithmE0ELj4294967295EEENS1_25partition_config_selectorILNS1_17partition_subalgoE4EjNS0_10empty_typeEbEEZZNS1_14partition_implILS8_4ELb0ES6_15HIP_vector_typeIjLj2EENS0_17counting_iteratorIjlEEPS9_SG_NS0_5tupleIJPjSI_NS0_16reverse_iteratorISI_EEEEENSH_IJSG_SG_SG_EEES9_SI_JZNS1_25segmented_radix_sort_implINS0_14default_configELb1EPKhPhPKlPlN2at6native12_GLOBAL__N_18offset_tEEE10hipError_tPvRmT1_PNSt15iterator_traitsIS12_E10value_typeET2_T3_PNS13_IS18_E10value_typeET4_jRbjT5_S1E_jjP12ihipStream_tbEUljE_ZNSN_ISO_Lb1ESQ_SR_ST_SU_SY_EESZ_S10_S11_S12_S16_S17_S18_S1B_S1C_jS1D_jS1E_S1E_jjS1G_bEUljE0_EEESZ_S10_S11_S18_S1C_S1E_T6_T7_T9_mT8_S1G_bDpT10_ENKUlT_T0_E_clISt17integral_constantIbLb1EES1T_IbLb0EEEEDaS1P_S1Q_EUlS1P_E_NS1_11comp_targetILNS1_3genE3ELNS1_11target_archE908ELNS1_3gpuE7ELNS1_3repE0EEENS1_30default_config_static_selectorELNS0_4arch9wavefront6targetE0EEEvS12_.uses_vcc, 0
	.set _ZN7rocprim17ROCPRIM_400000_NS6detail17trampoline_kernelINS0_13select_configILj256ELj13ELNS0_17block_load_methodE3ELS4_3ELS4_3ELNS0_20block_scan_algorithmE0ELj4294967295EEENS1_25partition_config_selectorILNS1_17partition_subalgoE4EjNS0_10empty_typeEbEEZZNS1_14partition_implILS8_4ELb0ES6_15HIP_vector_typeIjLj2EENS0_17counting_iteratorIjlEEPS9_SG_NS0_5tupleIJPjSI_NS0_16reverse_iteratorISI_EEEEENSH_IJSG_SG_SG_EEES9_SI_JZNS1_25segmented_radix_sort_implINS0_14default_configELb1EPKhPhPKlPlN2at6native12_GLOBAL__N_18offset_tEEE10hipError_tPvRmT1_PNSt15iterator_traitsIS12_E10value_typeET2_T3_PNS13_IS18_E10value_typeET4_jRbjT5_S1E_jjP12ihipStream_tbEUljE_ZNSN_ISO_Lb1ESQ_SR_ST_SU_SY_EESZ_S10_S11_S12_S16_S17_S18_S1B_S1C_jS1D_jS1E_S1E_jjS1G_bEUljE0_EEESZ_S10_S11_S18_S1C_S1E_T6_T7_T9_mT8_S1G_bDpT10_ENKUlT_T0_E_clISt17integral_constantIbLb1EES1T_IbLb0EEEEDaS1P_S1Q_EUlS1P_E_NS1_11comp_targetILNS1_3genE3ELNS1_11target_archE908ELNS1_3gpuE7ELNS1_3repE0EEENS1_30default_config_static_selectorELNS0_4arch9wavefront6targetE0EEEvS12_.uses_flat_scratch, 0
	.set _ZN7rocprim17ROCPRIM_400000_NS6detail17trampoline_kernelINS0_13select_configILj256ELj13ELNS0_17block_load_methodE3ELS4_3ELS4_3ELNS0_20block_scan_algorithmE0ELj4294967295EEENS1_25partition_config_selectorILNS1_17partition_subalgoE4EjNS0_10empty_typeEbEEZZNS1_14partition_implILS8_4ELb0ES6_15HIP_vector_typeIjLj2EENS0_17counting_iteratorIjlEEPS9_SG_NS0_5tupleIJPjSI_NS0_16reverse_iteratorISI_EEEEENSH_IJSG_SG_SG_EEES9_SI_JZNS1_25segmented_radix_sort_implINS0_14default_configELb1EPKhPhPKlPlN2at6native12_GLOBAL__N_18offset_tEEE10hipError_tPvRmT1_PNSt15iterator_traitsIS12_E10value_typeET2_T3_PNS13_IS18_E10value_typeET4_jRbjT5_S1E_jjP12ihipStream_tbEUljE_ZNSN_ISO_Lb1ESQ_SR_ST_SU_SY_EESZ_S10_S11_S12_S16_S17_S18_S1B_S1C_jS1D_jS1E_S1E_jjS1G_bEUljE0_EEESZ_S10_S11_S18_S1C_S1E_T6_T7_T9_mT8_S1G_bDpT10_ENKUlT_T0_E_clISt17integral_constantIbLb1EES1T_IbLb0EEEEDaS1P_S1Q_EUlS1P_E_NS1_11comp_targetILNS1_3genE3ELNS1_11target_archE908ELNS1_3gpuE7ELNS1_3repE0EEENS1_30default_config_static_selectorELNS0_4arch9wavefront6targetE0EEEvS12_.has_dyn_sized_stack, 0
	.set _ZN7rocprim17ROCPRIM_400000_NS6detail17trampoline_kernelINS0_13select_configILj256ELj13ELNS0_17block_load_methodE3ELS4_3ELS4_3ELNS0_20block_scan_algorithmE0ELj4294967295EEENS1_25partition_config_selectorILNS1_17partition_subalgoE4EjNS0_10empty_typeEbEEZZNS1_14partition_implILS8_4ELb0ES6_15HIP_vector_typeIjLj2EENS0_17counting_iteratorIjlEEPS9_SG_NS0_5tupleIJPjSI_NS0_16reverse_iteratorISI_EEEEENSH_IJSG_SG_SG_EEES9_SI_JZNS1_25segmented_radix_sort_implINS0_14default_configELb1EPKhPhPKlPlN2at6native12_GLOBAL__N_18offset_tEEE10hipError_tPvRmT1_PNSt15iterator_traitsIS12_E10value_typeET2_T3_PNS13_IS18_E10value_typeET4_jRbjT5_S1E_jjP12ihipStream_tbEUljE_ZNSN_ISO_Lb1ESQ_SR_ST_SU_SY_EESZ_S10_S11_S12_S16_S17_S18_S1B_S1C_jS1D_jS1E_S1E_jjS1G_bEUljE0_EEESZ_S10_S11_S18_S1C_S1E_T6_T7_T9_mT8_S1G_bDpT10_ENKUlT_T0_E_clISt17integral_constantIbLb1EES1T_IbLb0EEEEDaS1P_S1Q_EUlS1P_E_NS1_11comp_targetILNS1_3genE3ELNS1_11target_archE908ELNS1_3gpuE7ELNS1_3repE0EEENS1_30default_config_static_selectorELNS0_4arch9wavefront6targetE0EEEvS12_.has_recursion, 0
	.set _ZN7rocprim17ROCPRIM_400000_NS6detail17trampoline_kernelINS0_13select_configILj256ELj13ELNS0_17block_load_methodE3ELS4_3ELS4_3ELNS0_20block_scan_algorithmE0ELj4294967295EEENS1_25partition_config_selectorILNS1_17partition_subalgoE4EjNS0_10empty_typeEbEEZZNS1_14partition_implILS8_4ELb0ES6_15HIP_vector_typeIjLj2EENS0_17counting_iteratorIjlEEPS9_SG_NS0_5tupleIJPjSI_NS0_16reverse_iteratorISI_EEEEENSH_IJSG_SG_SG_EEES9_SI_JZNS1_25segmented_radix_sort_implINS0_14default_configELb1EPKhPhPKlPlN2at6native12_GLOBAL__N_18offset_tEEE10hipError_tPvRmT1_PNSt15iterator_traitsIS12_E10value_typeET2_T3_PNS13_IS18_E10value_typeET4_jRbjT5_S1E_jjP12ihipStream_tbEUljE_ZNSN_ISO_Lb1ESQ_SR_ST_SU_SY_EESZ_S10_S11_S12_S16_S17_S18_S1B_S1C_jS1D_jS1E_S1E_jjS1G_bEUljE0_EEESZ_S10_S11_S18_S1C_S1E_T6_T7_T9_mT8_S1G_bDpT10_ENKUlT_T0_E_clISt17integral_constantIbLb1EES1T_IbLb0EEEEDaS1P_S1Q_EUlS1P_E_NS1_11comp_targetILNS1_3genE3ELNS1_11target_archE908ELNS1_3gpuE7ELNS1_3repE0EEENS1_30default_config_static_selectorELNS0_4arch9wavefront6targetE0EEEvS12_.has_indirect_call, 0
	.section	.AMDGPU.csdata,"",@progbits
; Kernel info:
; codeLenInByte = 0
; TotalNumSgprs: 0
; NumVgprs: 0
; ScratchSize: 0
; MemoryBound: 0
; FloatMode: 240
; IeeeMode: 1
; LDSByteSize: 0 bytes/workgroup (compile time only)
; SGPRBlocks: 0
; VGPRBlocks: 0
; NumSGPRsForWavesPerEU: 1
; NumVGPRsForWavesPerEU: 1
; Occupancy: 16
; WaveLimiterHint : 0
; COMPUTE_PGM_RSRC2:SCRATCH_EN: 0
; COMPUTE_PGM_RSRC2:USER_SGPR: 6
; COMPUTE_PGM_RSRC2:TRAP_HANDLER: 0
; COMPUTE_PGM_RSRC2:TGID_X_EN: 1
; COMPUTE_PGM_RSRC2:TGID_Y_EN: 0
; COMPUTE_PGM_RSRC2:TGID_Z_EN: 0
; COMPUTE_PGM_RSRC2:TIDIG_COMP_CNT: 0
	.section	.text._ZN7rocprim17ROCPRIM_400000_NS6detail17trampoline_kernelINS0_13select_configILj256ELj13ELNS0_17block_load_methodE3ELS4_3ELS4_3ELNS0_20block_scan_algorithmE0ELj4294967295EEENS1_25partition_config_selectorILNS1_17partition_subalgoE4EjNS0_10empty_typeEbEEZZNS1_14partition_implILS8_4ELb0ES6_15HIP_vector_typeIjLj2EENS0_17counting_iteratorIjlEEPS9_SG_NS0_5tupleIJPjSI_NS0_16reverse_iteratorISI_EEEEENSH_IJSG_SG_SG_EEES9_SI_JZNS1_25segmented_radix_sort_implINS0_14default_configELb1EPKhPhPKlPlN2at6native12_GLOBAL__N_18offset_tEEE10hipError_tPvRmT1_PNSt15iterator_traitsIS12_E10value_typeET2_T3_PNS13_IS18_E10value_typeET4_jRbjT5_S1E_jjP12ihipStream_tbEUljE_ZNSN_ISO_Lb1ESQ_SR_ST_SU_SY_EESZ_S10_S11_S12_S16_S17_S18_S1B_S1C_jS1D_jS1E_S1E_jjS1G_bEUljE0_EEESZ_S10_S11_S18_S1C_S1E_T6_T7_T9_mT8_S1G_bDpT10_ENKUlT_T0_E_clISt17integral_constantIbLb1EES1T_IbLb0EEEEDaS1P_S1Q_EUlS1P_E_NS1_11comp_targetILNS1_3genE2ELNS1_11target_archE906ELNS1_3gpuE6ELNS1_3repE0EEENS1_30default_config_static_selectorELNS0_4arch9wavefront6targetE0EEEvS12_,"axG",@progbits,_ZN7rocprim17ROCPRIM_400000_NS6detail17trampoline_kernelINS0_13select_configILj256ELj13ELNS0_17block_load_methodE3ELS4_3ELS4_3ELNS0_20block_scan_algorithmE0ELj4294967295EEENS1_25partition_config_selectorILNS1_17partition_subalgoE4EjNS0_10empty_typeEbEEZZNS1_14partition_implILS8_4ELb0ES6_15HIP_vector_typeIjLj2EENS0_17counting_iteratorIjlEEPS9_SG_NS0_5tupleIJPjSI_NS0_16reverse_iteratorISI_EEEEENSH_IJSG_SG_SG_EEES9_SI_JZNS1_25segmented_radix_sort_implINS0_14default_configELb1EPKhPhPKlPlN2at6native12_GLOBAL__N_18offset_tEEE10hipError_tPvRmT1_PNSt15iterator_traitsIS12_E10value_typeET2_T3_PNS13_IS18_E10value_typeET4_jRbjT5_S1E_jjP12ihipStream_tbEUljE_ZNSN_ISO_Lb1ESQ_SR_ST_SU_SY_EESZ_S10_S11_S12_S16_S17_S18_S1B_S1C_jS1D_jS1E_S1E_jjS1G_bEUljE0_EEESZ_S10_S11_S18_S1C_S1E_T6_T7_T9_mT8_S1G_bDpT10_ENKUlT_T0_E_clISt17integral_constantIbLb1EES1T_IbLb0EEEEDaS1P_S1Q_EUlS1P_E_NS1_11comp_targetILNS1_3genE2ELNS1_11target_archE906ELNS1_3gpuE6ELNS1_3repE0EEENS1_30default_config_static_selectorELNS0_4arch9wavefront6targetE0EEEvS12_,comdat
	.globl	_ZN7rocprim17ROCPRIM_400000_NS6detail17trampoline_kernelINS0_13select_configILj256ELj13ELNS0_17block_load_methodE3ELS4_3ELS4_3ELNS0_20block_scan_algorithmE0ELj4294967295EEENS1_25partition_config_selectorILNS1_17partition_subalgoE4EjNS0_10empty_typeEbEEZZNS1_14partition_implILS8_4ELb0ES6_15HIP_vector_typeIjLj2EENS0_17counting_iteratorIjlEEPS9_SG_NS0_5tupleIJPjSI_NS0_16reverse_iteratorISI_EEEEENSH_IJSG_SG_SG_EEES9_SI_JZNS1_25segmented_radix_sort_implINS0_14default_configELb1EPKhPhPKlPlN2at6native12_GLOBAL__N_18offset_tEEE10hipError_tPvRmT1_PNSt15iterator_traitsIS12_E10value_typeET2_T3_PNS13_IS18_E10value_typeET4_jRbjT5_S1E_jjP12ihipStream_tbEUljE_ZNSN_ISO_Lb1ESQ_SR_ST_SU_SY_EESZ_S10_S11_S12_S16_S17_S18_S1B_S1C_jS1D_jS1E_S1E_jjS1G_bEUljE0_EEESZ_S10_S11_S18_S1C_S1E_T6_T7_T9_mT8_S1G_bDpT10_ENKUlT_T0_E_clISt17integral_constantIbLb1EES1T_IbLb0EEEEDaS1P_S1Q_EUlS1P_E_NS1_11comp_targetILNS1_3genE2ELNS1_11target_archE906ELNS1_3gpuE6ELNS1_3repE0EEENS1_30default_config_static_selectorELNS0_4arch9wavefront6targetE0EEEvS12_ ; -- Begin function _ZN7rocprim17ROCPRIM_400000_NS6detail17trampoline_kernelINS0_13select_configILj256ELj13ELNS0_17block_load_methodE3ELS4_3ELS4_3ELNS0_20block_scan_algorithmE0ELj4294967295EEENS1_25partition_config_selectorILNS1_17partition_subalgoE4EjNS0_10empty_typeEbEEZZNS1_14partition_implILS8_4ELb0ES6_15HIP_vector_typeIjLj2EENS0_17counting_iteratorIjlEEPS9_SG_NS0_5tupleIJPjSI_NS0_16reverse_iteratorISI_EEEEENSH_IJSG_SG_SG_EEES9_SI_JZNS1_25segmented_radix_sort_implINS0_14default_configELb1EPKhPhPKlPlN2at6native12_GLOBAL__N_18offset_tEEE10hipError_tPvRmT1_PNSt15iterator_traitsIS12_E10value_typeET2_T3_PNS13_IS18_E10value_typeET4_jRbjT5_S1E_jjP12ihipStream_tbEUljE_ZNSN_ISO_Lb1ESQ_SR_ST_SU_SY_EESZ_S10_S11_S12_S16_S17_S18_S1B_S1C_jS1D_jS1E_S1E_jjS1G_bEUljE0_EEESZ_S10_S11_S18_S1C_S1E_T6_T7_T9_mT8_S1G_bDpT10_ENKUlT_T0_E_clISt17integral_constantIbLb1EES1T_IbLb0EEEEDaS1P_S1Q_EUlS1P_E_NS1_11comp_targetILNS1_3genE2ELNS1_11target_archE906ELNS1_3gpuE6ELNS1_3repE0EEENS1_30default_config_static_selectorELNS0_4arch9wavefront6targetE0EEEvS12_
	.p2align	8
	.type	_ZN7rocprim17ROCPRIM_400000_NS6detail17trampoline_kernelINS0_13select_configILj256ELj13ELNS0_17block_load_methodE3ELS4_3ELS4_3ELNS0_20block_scan_algorithmE0ELj4294967295EEENS1_25partition_config_selectorILNS1_17partition_subalgoE4EjNS0_10empty_typeEbEEZZNS1_14partition_implILS8_4ELb0ES6_15HIP_vector_typeIjLj2EENS0_17counting_iteratorIjlEEPS9_SG_NS0_5tupleIJPjSI_NS0_16reverse_iteratorISI_EEEEENSH_IJSG_SG_SG_EEES9_SI_JZNS1_25segmented_radix_sort_implINS0_14default_configELb1EPKhPhPKlPlN2at6native12_GLOBAL__N_18offset_tEEE10hipError_tPvRmT1_PNSt15iterator_traitsIS12_E10value_typeET2_T3_PNS13_IS18_E10value_typeET4_jRbjT5_S1E_jjP12ihipStream_tbEUljE_ZNSN_ISO_Lb1ESQ_SR_ST_SU_SY_EESZ_S10_S11_S12_S16_S17_S18_S1B_S1C_jS1D_jS1E_S1E_jjS1G_bEUljE0_EEESZ_S10_S11_S18_S1C_S1E_T6_T7_T9_mT8_S1G_bDpT10_ENKUlT_T0_E_clISt17integral_constantIbLb1EES1T_IbLb0EEEEDaS1P_S1Q_EUlS1P_E_NS1_11comp_targetILNS1_3genE2ELNS1_11target_archE906ELNS1_3gpuE6ELNS1_3repE0EEENS1_30default_config_static_selectorELNS0_4arch9wavefront6targetE0EEEvS12_,@function
_ZN7rocprim17ROCPRIM_400000_NS6detail17trampoline_kernelINS0_13select_configILj256ELj13ELNS0_17block_load_methodE3ELS4_3ELS4_3ELNS0_20block_scan_algorithmE0ELj4294967295EEENS1_25partition_config_selectorILNS1_17partition_subalgoE4EjNS0_10empty_typeEbEEZZNS1_14partition_implILS8_4ELb0ES6_15HIP_vector_typeIjLj2EENS0_17counting_iteratorIjlEEPS9_SG_NS0_5tupleIJPjSI_NS0_16reverse_iteratorISI_EEEEENSH_IJSG_SG_SG_EEES9_SI_JZNS1_25segmented_radix_sort_implINS0_14default_configELb1EPKhPhPKlPlN2at6native12_GLOBAL__N_18offset_tEEE10hipError_tPvRmT1_PNSt15iterator_traitsIS12_E10value_typeET2_T3_PNS13_IS18_E10value_typeET4_jRbjT5_S1E_jjP12ihipStream_tbEUljE_ZNSN_ISO_Lb1ESQ_SR_ST_SU_SY_EESZ_S10_S11_S12_S16_S17_S18_S1B_S1C_jS1D_jS1E_S1E_jjS1G_bEUljE0_EEESZ_S10_S11_S18_S1C_S1E_T6_T7_T9_mT8_S1G_bDpT10_ENKUlT_T0_E_clISt17integral_constantIbLb1EES1T_IbLb0EEEEDaS1P_S1Q_EUlS1P_E_NS1_11comp_targetILNS1_3genE2ELNS1_11target_archE906ELNS1_3gpuE6ELNS1_3repE0EEENS1_30default_config_static_selectorELNS0_4arch9wavefront6targetE0EEEvS12_: ; @_ZN7rocprim17ROCPRIM_400000_NS6detail17trampoline_kernelINS0_13select_configILj256ELj13ELNS0_17block_load_methodE3ELS4_3ELS4_3ELNS0_20block_scan_algorithmE0ELj4294967295EEENS1_25partition_config_selectorILNS1_17partition_subalgoE4EjNS0_10empty_typeEbEEZZNS1_14partition_implILS8_4ELb0ES6_15HIP_vector_typeIjLj2EENS0_17counting_iteratorIjlEEPS9_SG_NS0_5tupleIJPjSI_NS0_16reverse_iteratorISI_EEEEENSH_IJSG_SG_SG_EEES9_SI_JZNS1_25segmented_radix_sort_implINS0_14default_configELb1EPKhPhPKlPlN2at6native12_GLOBAL__N_18offset_tEEE10hipError_tPvRmT1_PNSt15iterator_traitsIS12_E10value_typeET2_T3_PNS13_IS18_E10value_typeET4_jRbjT5_S1E_jjP12ihipStream_tbEUljE_ZNSN_ISO_Lb1ESQ_SR_ST_SU_SY_EESZ_S10_S11_S12_S16_S17_S18_S1B_S1C_jS1D_jS1E_S1E_jjS1G_bEUljE0_EEESZ_S10_S11_S18_S1C_S1E_T6_T7_T9_mT8_S1G_bDpT10_ENKUlT_T0_E_clISt17integral_constantIbLb1EES1T_IbLb0EEEEDaS1P_S1Q_EUlS1P_E_NS1_11comp_targetILNS1_3genE2ELNS1_11target_archE906ELNS1_3gpuE6ELNS1_3repE0EEENS1_30default_config_static_selectorELNS0_4arch9wavefront6targetE0EEEvS12_
; %bb.0:
	.section	.rodata,"a",@progbits
	.p2align	6, 0x0
	.amdhsa_kernel _ZN7rocprim17ROCPRIM_400000_NS6detail17trampoline_kernelINS0_13select_configILj256ELj13ELNS0_17block_load_methodE3ELS4_3ELS4_3ELNS0_20block_scan_algorithmE0ELj4294967295EEENS1_25partition_config_selectorILNS1_17partition_subalgoE4EjNS0_10empty_typeEbEEZZNS1_14partition_implILS8_4ELb0ES6_15HIP_vector_typeIjLj2EENS0_17counting_iteratorIjlEEPS9_SG_NS0_5tupleIJPjSI_NS0_16reverse_iteratorISI_EEEEENSH_IJSG_SG_SG_EEES9_SI_JZNS1_25segmented_radix_sort_implINS0_14default_configELb1EPKhPhPKlPlN2at6native12_GLOBAL__N_18offset_tEEE10hipError_tPvRmT1_PNSt15iterator_traitsIS12_E10value_typeET2_T3_PNS13_IS18_E10value_typeET4_jRbjT5_S1E_jjP12ihipStream_tbEUljE_ZNSN_ISO_Lb1ESQ_SR_ST_SU_SY_EESZ_S10_S11_S12_S16_S17_S18_S1B_S1C_jS1D_jS1E_S1E_jjS1G_bEUljE0_EEESZ_S10_S11_S18_S1C_S1E_T6_T7_T9_mT8_S1G_bDpT10_ENKUlT_T0_E_clISt17integral_constantIbLb1EES1T_IbLb0EEEEDaS1P_S1Q_EUlS1P_E_NS1_11comp_targetILNS1_3genE2ELNS1_11target_archE906ELNS1_3gpuE6ELNS1_3repE0EEENS1_30default_config_static_selectorELNS0_4arch9wavefront6targetE0EEEvS12_
		.amdhsa_group_segment_fixed_size 0
		.amdhsa_private_segment_fixed_size 0
		.amdhsa_kernarg_size 176
		.amdhsa_user_sgpr_count 6
		.amdhsa_user_sgpr_private_segment_buffer 1
		.amdhsa_user_sgpr_dispatch_ptr 0
		.amdhsa_user_sgpr_queue_ptr 0
		.amdhsa_user_sgpr_kernarg_segment_ptr 1
		.amdhsa_user_sgpr_dispatch_id 0
		.amdhsa_user_sgpr_flat_scratch_init 0
		.amdhsa_user_sgpr_private_segment_size 0
		.amdhsa_wavefront_size32 1
		.amdhsa_uses_dynamic_stack 0
		.amdhsa_system_sgpr_private_segment_wavefront_offset 0
		.amdhsa_system_sgpr_workgroup_id_x 1
		.amdhsa_system_sgpr_workgroup_id_y 0
		.amdhsa_system_sgpr_workgroup_id_z 0
		.amdhsa_system_sgpr_workgroup_info 0
		.amdhsa_system_vgpr_workitem_id 0
		.amdhsa_next_free_vgpr 1
		.amdhsa_next_free_sgpr 1
		.amdhsa_reserve_vcc 0
		.amdhsa_reserve_flat_scratch 0
		.amdhsa_float_round_mode_32 0
		.amdhsa_float_round_mode_16_64 0
		.amdhsa_float_denorm_mode_32 3
		.amdhsa_float_denorm_mode_16_64 3
		.amdhsa_dx10_clamp 1
		.amdhsa_ieee_mode 1
		.amdhsa_fp16_overflow 0
		.amdhsa_workgroup_processor_mode 1
		.amdhsa_memory_ordered 1
		.amdhsa_forward_progress 1
		.amdhsa_shared_vgpr_count 0
		.amdhsa_exception_fp_ieee_invalid_op 0
		.amdhsa_exception_fp_denorm_src 0
		.amdhsa_exception_fp_ieee_div_zero 0
		.amdhsa_exception_fp_ieee_overflow 0
		.amdhsa_exception_fp_ieee_underflow 0
		.amdhsa_exception_fp_ieee_inexact 0
		.amdhsa_exception_int_div_zero 0
	.end_amdhsa_kernel
	.section	.text._ZN7rocprim17ROCPRIM_400000_NS6detail17trampoline_kernelINS0_13select_configILj256ELj13ELNS0_17block_load_methodE3ELS4_3ELS4_3ELNS0_20block_scan_algorithmE0ELj4294967295EEENS1_25partition_config_selectorILNS1_17partition_subalgoE4EjNS0_10empty_typeEbEEZZNS1_14partition_implILS8_4ELb0ES6_15HIP_vector_typeIjLj2EENS0_17counting_iteratorIjlEEPS9_SG_NS0_5tupleIJPjSI_NS0_16reverse_iteratorISI_EEEEENSH_IJSG_SG_SG_EEES9_SI_JZNS1_25segmented_radix_sort_implINS0_14default_configELb1EPKhPhPKlPlN2at6native12_GLOBAL__N_18offset_tEEE10hipError_tPvRmT1_PNSt15iterator_traitsIS12_E10value_typeET2_T3_PNS13_IS18_E10value_typeET4_jRbjT5_S1E_jjP12ihipStream_tbEUljE_ZNSN_ISO_Lb1ESQ_SR_ST_SU_SY_EESZ_S10_S11_S12_S16_S17_S18_S1B_S1C_jS1D_jS1E_S1E_jjS1G_bEUljE0_EEESZ_S10_S11_S18_S1C_S1E_T6_T7_T9_mT8_S1G_bDpT10_ENKUlT_T0_E_clISt17integral_constantIbLb1EES1T_IbLb0EEEEDaS1P_S1Q_EUlS1P_E_NS1_11comp_targetILNS1_3genE2ELNS1_11target_archE906ELNS1_3gpuE6ELNS1_3repE0EEENS1_30default_config_static_selectorELNS0_4arch9wavefront6targetE0EEEvS12_,"axG",@progbits,_ZN7rocprim17ROCPRIM_400000_NS6detail17trampoline_kernelINS0_13select_configILj256ELj13ELNS0_17block_load_methodE3ELS4_3ELS4_3ELNS0_20block_scan_algorithmE0ELj4294967295EEENS1_25partition_config_selectorILNS1_17partition_subalgoE4EjNS0_10empty_typeEbEEZZNS1_14partition_implILS8_4ELb0ES6_15HIP_vector_typeIjLj2EENS0_17counting_iteratorIjlEEPS9_SG_NS0_5tupleIJPjSI_NS0_16reverse_iteratorISI_EEEEENSH_IJSG_SG_SG_EEES9_SI_JZNS1_25segmented_radix_sort_implINS0_14default_configELb1EPKhPhPKlPlN2at6native12_GLOBAL__N_18offset_tEEE10hipError_tPvRmT1_PNSt15iterator_traitsIS12_E10value_typeET2_T3_PNS13_IS18_E10value_typeET4_jRbjT5_S1E_jjP12ihipStream_tbEUljE_ZNSN_ISO_Lb1ESQ_SR_ST_SU_SY_EESZ_S10_S11_S12_S16_S17_S18_S1B_S1C_jS1D_jS1E_S1E_jjS1G_bEUljE0_EEESZ_S10_S11_S18_S1C_S1E_T6_T7_T9_mT8_S1G_bDpT10_ENKUlT_T0_E_clISt17integral_constantIbLb1EES1T_IbLb0EEEEDaS1P_S1Q_EUlS1P_E_NS1_11comp_targetILNS1_3genE2ELNS1_11target_archE906ELNS1_3gpuE6ELNS1_3repE0EEENS1_30default_config_static_selectorELNS0_4arch9wavefront6targetE0EEEvS12_,comdat
.Lfunc_end34:
	.size	_ZN7rocprim17ROCPRIM_400000_NS6detail17trampoline_kernelINS0_13select_configILj256ELj13ELNS0_17block_load_methodE3ELS4_3ELS4_3ELNS0_20block_scan_algorithmE0ELj4294967295EEENS1_25partition_config_selectorILNS1_17partition_subalgoE4EjNS0_10empty_typeEbEEZZNS1_14partition_implILS8_4ELb0ES6_15HIP_vector_typeIjLj2EENS0_17counting_iteratorIjlEEPS9_SG_NS0_5tupleIJPjSI_NS0_16reverse_iteratorISI_EEEEENSH_IJSG_SG_SG_EEES9_SI_JZNS1_25segmented_radix_sort_implINS0_14default_configELb1EPKhPhPKlPlN2at6native12_GLOBAL__N_18offset_tEEE10hipError_tPvRmT1_PNSt15iterator_traitsIS12_E10value_typeET2_T3_PNS13_IS18_E10value_typeET4_jRbjT5_S1E_jjP12ihipStream_tbEUljE_ZNSN_ISO_Lb1ESQ_SR_ST_SU_SY_EESZ_S10_S11_S12_S16_S17_S18_S1B_S1C_jS1D_jS1E_S1E_jjS1G_bEUljE0_EEESZ_S10_S11_S18_S1C_S1E_T6_T7_T9_mT8_S1G_bDpT10_ENKUlT_T0_E_clISt17integral_constantIbLb1EES1T_IbLb0EEEEDaS1P_S1Q_EUlS1P_E_NS1_11comp_targetILNS1_3genE2ELNS1_11target_archE906ELNS1_3gpuE6ELNS1_3repE0EEENS1_30default_config_static_selectorELNS0_4arch9wavefront6targetE0EEEvS12_, .Lfunc_end34-_ZN7rocprim17ROCPRIM_400000_NS6detail17trampoline_kernelINS0_13select_configILj256ELj13ELNS0_17block_load_methodE3ELS4_3ELS4_3ELNS0_20block_scan_algorithmE0ELj4294967295EEENS1_25partition_config_selectorILNS1_17partition_subalgoE4EjNS0_10empty_typeEbEEZZNS1_14partition_implILS8_4ELb0ES6_15HIP_vector_typeIjLj2EENS0_17counting_iteratorIjlEEPS9_SG_NS0_5tupleIJPjSI_NS0_16reverse_iteratorISI_EEEEENSH_IJSG_SG_SG_EEES9_SI_JZNS1_25segmented_radix_sort_implINS0_14default_configELb1EPKhPhPKlPlN2at6native12_GLOBAL__N_18offset_tEEE10hipError_tPvRmT1_PNSt15iterator_traitsIS12_E10value_typeET2_T3_PNS13_IS18_E10value_typeET4_jRbjT5_S1E_jjP12ihipStream_tbEUljE_ZNSN_ISO_Lb1ESQ_SR_ST_SU_SY_EESZ_S10_S11_S12_S16_S17_S18_S1B_S1C_jS1D_jS1E_S1E_jjS1G_bEUljE0_EEESZ_S10_S11_S18_S1C_S1E_T6_T7_T9_mT8_S1G_bDpT10_ENKUlT_T0_E_clISt17integral_constantIbLb1EES1T_IbLb0EEEEDaS1P_S1Q_EUlS1P_E_NS1_11comp_targetILNS1_3genE2ELNS1_11target_archE906ELNS1_3gpuE6ELNS1_3repE0EEENS1_30default_config_static_selectorELNS0_4arch9wavefront6targetE0EEEvS12_
                                        ; -- End function
	.set _ZN7rocprim17ROCPRIM_400000_NS6detail17trampoline_kernelINS0_13select_configILj256ELj13ELNS0_17block_load_methodE3ELS4_3ELS4_3ELNS0_20block_scan_algorithmE0ELj4294967295EEENS1_25partition_config_selectorILNS1_17partition_subalgoE4EjNS0_10empty_typeEbEEZZNS1_14partition_implILS8_4ELb0ES6_15HIP_vector_typeIjLj2EENS0_17counting_iteratorIjlEEPS9_SG_NS0_5tupleIJPjSI_NS0_16reverse_iteratorISI_EEEEENSH_IJSG_SG_SG_EEES9_SI_JZNS1_25segmented_radix_sort_implINS0_14default_configELb1EPKhPhPKlPlN2at6native12_GLOBAL__N_18offset_tEEE10hipError_tPvRmT1_PNSt15iterator_traitsIS12_E10value_typeET2_T3_PNS13_IS18_E10value_typeET4_jRbjT5_S1E_jjP12ihipStream_tbEUljE_ZNSN_ISO_Lb1ESQ_SR_ST_SU_SY_EESZ_S10_S11_S12_S16_S17_S18_S1B_S1C_jS1D_jS1E_S1E_jjS1G_bEUljE0_EEESZ_S10_S11_S18_S1C_S1E_T6_T7_T9_mT8_S1G_bDpT10_ENKUlT_T0_E_clISt17integral_constantIbLb1EES1T_IbLb0EEEEDaS1P_S1Q_EUlS1P_E_NS1_11comp_targetILNS1_3genE2ELNS1_11target_archE906ELNS1_3gpuE6ELNS1_3repE0EEENS1_30default_config_static_selectorELNS0_4arch9wavefront6targetE0EEEvS12_.num_vgpr, 0
	.set _ZN7rocprim17ROCPRIM_400000_NS6detail17trampoline_kernelINS0_13select_configILj256ELj13ELNS0_17block_load_methodE3ELS4_3ELS4_3ELNS0_20block_scan_algorithmE0ELj4294967295EEENS1_25partition_config_selectorILNS1_17partition_subalgoE4EjNS0_10empty_typeEbEEZZNS1_14partition_implILS8_4ELb0ES6_15HIP_vector_typeIjLj2EENS0_17counting_iteratorIjlEEPS9_SG_NS0_5tupleIJPjSI_NS0_16reverse_iteratorISI_EEEEENSH_IJSG_SG_SG_EEES9_SI_JZNS1_25segmented_radix_sort_implINS0_14default_configELb1EPKhPhPKlPlN2at6native12_GLOBAL__N_18offset_tEEE10hipError_tPvRmT1_PNSt15iterator_traitsIS12_E10value_typeET2_T3_PNS13_IS18_E10value_typeET4_jRbjT5_S1E_jjP12ihipStream_tbEUljE_ZNSN_ISO_Lb1ESQ_SR_ST_SU_SY_EESZ_S10_S11_S12_S16_S17_S18_S1B_S1C_jS1D_jS1E_S1E_jjS1G_bEUljE0_EEESZ_S10_S11_S18_S1C_S1E_T6_T7_T9_mT8_S1G_bDpT10_ENKUlT_T0_E_clISt17integral_constantIbLb1EES1T_IbLb0EEEEDaS1P_S1Q_EUlS1P_E_NS1_11comp_targetILNS1_3genE2ELNS1_11target_archE906ELNS1_3gpuE6ELNS1_3repE0EEENS1_30default_config_static_selectorELNS0_4arch9wavefront6targetE0EEEvS12_.num_agpr, 0
	.set _ZN7rocprim17ROCPRIM_400000_NS6detail17trampoline_kernelINS0_13select_configILj256ELj13ELNS0_17block_load_methodE3ELS4_3ELS4_3ELNS0_20block_scan_algorithmE0ELj4294967295EEENS1_25partition_config_selectorILNS1_17partition_subalgoE4EjNS0_10empty_typeEbEEZZNS1_14partition_implILS8_4ELb0ES6_15HIP_vector_typeIjLj2EENS0_17counting_iteratorIjlEEPS9_SG_NS0_5tupleIJPjSI_NS0_16reverse_iteratorISI_EEEEENSH_IJSG_SG_SG_EEES9_SI_JZNS1_25segmented_radix_sort_implINS0_14default_configELb1EPKhPhPKlPlN2at6native12_GLOBAL__N_18offset_tEEE10hipError_tPvRmT1_PNSt15iterator_traitsIS12_E10value_typeET2_T3_PNS13_IS18_E10value_typeET4_jRbjT5_S1E_jjP12ihipStream_tbEUljE_ZNSN_ISO_Lb1ESQ_SR_ST_SU_SY_EESZ_S10_S11_S12_S16_S17_S18_S1B_S1C_jS1D_jS1E_S1E_jjS1G_bEUljE0_EEESZ_S10_S11_S18_S1C_S1E_T6_T7_T9_mT8_S1G_bDpT10_ENKUlT_T0_E_clISt17integral_constantIbLb1EES1T_IbLb0EEEEDaS1P_S1Q_EUlS1P_E_NS1_11comp_targetILNS1_3genE2ELNS1_11target_archE906ELNS1_3gpuE6ELNS1_3repE0EEENS1_30default_config_static_selectorELNS0_4arch9wavefront6targetE0EEEvS12_.numbered_sgpr, 0
	.set _ZN7rocprim17ROCPRIM_400000_NS6detail17trampoline_kernelINS0_13select_configILj256ELj13ELNS0_17block_load_methodE3ELS4_3ELS4_3ELNS0_20block_scan_algorithmE0ELj4294967295EEENS1_25partition_config_selectorILNS1_17partition_subalgoE4EjNS0_10empty_typeEbEEZZNS1_14partition_implILS8_4ELb0ES6_15HIP_vector_typeIjLj2EENS0_17counting_iteratorIjlEEPS9_SG_NS0_5tupleIJPjSI_NS0_16reverse_iteratorISI_EEEEENSH_IJSG_SG_SG_EEES9_SI_JZNS1_25segmented_radix_sort_implINS0_14default_configELb1EPKhPhPKlPlN2at6native12_GLOBAL__N_18offset_tEEE10hipError_tPvRmT1_PNSt15iterator_traitsIS12_E10value_typeET2_T3_PNS13_IS18_E10value_typeET4_jRbjT5_S1E_jjP12ihipStream_tbEUljE_ZNSN_ISO_Lb1ESQ_SR_ST_SU_SY_EESZ_S10_S11_S12_S16_S17_S18_S1B_S1C_jS1D_jS1E_S1E_jjS1G_bEUljE0_EEESZ_S10_S11_S18_S1C_S1E_T6_T7_T9_mT8_S1G_bDpT10_ENKUlT_T0_E_clISt17integral_constantIbLb1EES1T_IbLb0EEEEDaS1P_S1Q_EUlS1P_E_NS1_11comp_targetILNS1_3genE2ELNS1_11target_archE906ELNS1_3gpuE6ELNS1_3repE0EEENS1_30default_config_static_selectorELNS0_4arch9wavefront6targetE0EEEvS12_.num_named_barrier, 0
	.set _ZN7rocprim17ROCPRIM_400000_NS6detail17trampoline_kernelINS0_13select_configILj256ELj13ELNS0_17block_load_methodE3ELS4_3ELS4_3ELNS0_20block_scan_algorithmE0ELj4294967295EEENS1_25partition_config_selectorILNS1_17partition_subalgoE4EjNS0_10empty_typeEbEEZZNS1_14partition_implILS8_4ELb0ES6_15HIP_vector_typeIjLj2EENS0_17counting_iteratorIjlEEPS9_SG_NS0_5tupleIJPjSI_NS0_16reverse_iteratorISI_EEEEENSH_IJSG_SG_SG_EEES9_SI_JZNS1_25segmented_radix_sort_implINS0_14default_configELb1EPKhPhPKlPlN2at6native12_GLOBAL__N_18offset_tEEE10hipError_tPvRmT1_PNSt15iterator_traitsIS12_E10value_typeET2_T3_PNS13_IS18_E10value_typeET4_jRbjT5_S1E_jjP12ihipStream_tbEUljE_ZNSN_ISO_Lb1ESQ_SR_ST_SU_SY_EESZ_S10_S11_S12_S16_S17_S18_S1B_S1C_jS1D_jS1E_S1E_jjS1G_bEUljE0_EEESZ_S10_S11_S18_S1C_S1E_T6_T7_T9_mT8_S1G_bDpT10_ENKUlT_T0_E_clISt17integral_constantIbLb1EES1T_IbLb0EEEEDaS1P_S1Q_EUlS1P_E_NS1_11comp_targetILNS1_3genE2ELNS1_11target_archE906ELNS1_3gpuE6ELNS1_3repE0EEENS1_30default_config_static_selectorELNS0_4arch9wavefront6targetE0EEEvS12_.private_seg_size, 0
	.set _ZN7rocprim17ROCPRIM_400000_NS6detail17trampoline_kernelINS0_13select_configILj256ELj13ELNS0_17block_load_methodE3ELS4_3ELS4_3ELNS0_20block_scan_algorithmE0ELj4294967295EEENS1_25partition_config_selectorILNS1_17partition_subalgoE4EjNS0_10empty_typeEbEEZZNS1_14partition_implILS8_4ELb0ES6_15HIP_vector_typeIjLj2EENS0_17counting_iteratorIjlEEPS9_SG_NS0_5tupleIJPjSI_NS0_16reverse_iteratorISI_EEEEENSH_IJSG_SG_SG_EEES9_SI_JZNS1_25segmented_radix_sort_implINS0_14default_configELb1EPKhPhPKlPlN2at6native12_GLOBAL__N_18offset_tEEE10hipError_tPvRmT1_PNSt15iterator_traitsIS12_E10value_typeET2_T3_PNS13_IS18_E10value_typeET4_jRbjT5_S1E_jjP12ihipStream_tbEUljE_ZNSN_ISO_Lb1ESQ_SR_ST_SU_SY_EESZ_S10_S11_S12_S16_S17_S18_S1B_S1C_jS1D_jS1E_S1E_jjS1G_bEUljE0_EEESZ_S10_S11_S18_S1C_S1E_T6_T7_T9_mT8_S1G_bDpT10_ENKUlT_T0_E_clISt17integral_constantIbLb1EES1T_IbLb0EEEEDaS1P_S1Q_EUlS1P_E_NS1_11comp_targetILNS1_3genE2ELNS1_11target_archE906ELNS1_3gpuE6ELNS1_3repE0EEENS1_30default_config_static_selectorELNS0_4arch9wavefront6targetE0EEEvS12_.uses_vcc, 0
	.set _ZN7rocprim17ROCPRIM_400000_NS6detail17trampoline_kernelINS0_13select_configILj256ELj13ELNS0_17block_load_methodE3ELS4_3ELS4_3ELNS0_20block_scan_algorithmE0ELj4294967295EEENS1_25partition_config_selectorILNS1_17partition_subalgoE4EjNS0_10empty_typeEbEEZZNS1_14partition_implILS8_4ELb0ES6_15HIP_vector_typeIjLj2EENS0_17counting_iteratorIjlEEPS9_SG_NS0_5tupleIJPjSI_NS0_16reverse_iteratorISI_EEEEENSH_IJSG_SG_SG_EEES9_SI_JZNS1_25segmented_radix_sort_implINS0_14default_configELb1EPKhPhPKlPlN2at6native12_GLOBAL__N_18offset_tEEE10hipError_tPvRmT1_PNSt15iterator_traitsIS12_E10value_typeET2_T3_PNS13_IS18_E10value_typeET4_jRbjT5_S1E_jjP12ihipStream_tbEUljE_ZNSN_ISO_Lb1ESQ_SR_ST_SU_SY_EESZ_S10_S11_S12_S16_S17_S18_S1B_S1C_jS1D_jS1E_S1E_jjS1G_bEUljE0_EEESZ_S10_S11_S18_S1C_S1E_T6_T7_T9_mT8_S1G_bDpT10_ENKUlT_T0_E_clISt17integral_constantIbLb1EES1T_IbLb0EEEEDaS1P_S1Q_EUlS1P_E_NS1_11comp_targetILNS1_3genE2ELNS1_11target_archE906ELNS1_3gpuE6ELNS1_3repE0EEENS1_30default_config_static_selectorELNS0_4arch9wavefront6targetE0EEEvS12_.uses_flat_scratch, 0
	.set _ZN7rocprim17ROCPRIM_400000_NS6detail17trampoline_kernelINS0_13select_configILj256ELj13ELNS0_17block_load_methodE3ELS4_3ELS4_3ELNS0_20block_scan_algorithmE0ELj4294967295EEENS1_25partition_config_selectorILNS1_17partition_subalgoE4EjNS0_10empty_typeEbEEZZNS1_14partition_implILS8_4ELb0ES6_15HIP_vector_typeIjLj2EENS0_17counting_iteratorIjlEEPS9_SG_NS0_5tupleIJPjSI_NS0_16reverse_iteratorISI_EEEEENSH_IJSG_SG_SG_EEES9_SI_JZNS1_25segmented_radix_sort_implINS0_14default_configELb1EPKhPhPKlPlN2at6native12_GLOBAL__N_18offset_tEEE10hipError_tPvRmT1_PNSt15iterator_traitsIS12_E10value_typeET2_T3_PNS13_IS18_E10value_typeET4_jRbjT5_S1E_jjP12ihipStream_tbEUljE_ZNSN_ISO_Lb1ESQ_SR_ST_SU_SY_EESZ_S10_S11_S12_S16_S17_S18_S1B_S1C_jS1D_jS1E_S1E_jjS1G_bEUljE0_EEESZ_S10_S11_S18_S1C_S1E_T6_T7_T9_mT8_S1G_bDpT10_ENKUlT_T0_E_clISt17integral_constantIbLb1EES1T_IbLb0EEEEDaS1P_S1Q_EUlS1P_E_NS1_11comp_targetILNS1_3genE2ELNS1_11target_archE906ELNS1_3gpuE6ELNS1_3repE0EEENS1_30default_config_static_selectorELNS0_4arch9wavefront6targetE0EEEvS12_.has_dyn_sized_stack, 0
	.set _ZN7rocprim17ROCPRIM_400000_NS6detail17trampoline_kernelINS0_13select_configILj256ELj13ELNS0_17block_load_methodE3ELS4_3ELS4_3ELNS0_20block_scan_algorithmE0ELj4294967295EEENS1_25partition_config_selectorILNS1_17partition_subalgoE4EjNS0_10empty_typeEbEEZZNS1_14partition_implILS8_4ELb0ES6_15HIP_vector_typeIjLj2EENS0_17counting_iteratorIjlEEPS9_SG_NS0_5tupleIJPjSI_NS0_16reverse_iteratorISI_EEEEENSH_IJSG_SG_SG_EEES9_SI_JZNS1_25segmented_radix_sort_implINS0_14default_configELb1EPKhPhPKlPlN2at6native12_GLOBAL__N_18offset_tEEE10hipError_tPvRmT1_PNSt15iterator_traitsIS12_E10value_typeET2_T3_PNS13_IS18_E10value_typeET4_jRbjT5_S1E_jjP12ihipStream_tbEUljE_ZNSN_ISO_Lb1ESQ_SR_ST_SU_SY_EESZ_S10_S11_S12_S16_S17_S18_S1B_S1C_jS1D_jS1E_S1E_jjS1G_bEUljE0_EEESZ_S10_S11_S18_S1C_S1E_T6_T7_T9_mT8_S1G_bDpT10_ENKUlT_T0_E_clISt17integral_constantIbLb1EES1T_IbLb0EEEEDaS1P_S1Q_EUlS1P_E_NS1_11comp_targetILNS1_3genE2ELNS1_11target_archE906ELNS1_3gpuE6ELNS1_3repE0EEENS1_30default_config_static_selectorELNS0_4arch9wavefront6targetE0EEEvS12_.has_recursion, 0
	.set _ZN7rocprim17ROCPRIM_400000_NS6detail17trampoline_kernelINS0_13select_configILj256ELj13ELNS0_17block_load_methodE3ELS4_3ELS4_3ELNS0_20block_scan_algorithmE0ELj4294967295EEENS1_25partition_config_selectorILNS1_17partition_subalgoE4EjNS0_10empty_typeEbEEZZNS1_14partition_implILS8_4ELb0ES6_15HIP_vector_typeIjLj2EENS0_17counting_iteratorIjlEEPS9_SG_NS0_5tupleIJPjSI_NS0_16reverse_iteratorISI_EEEEENSH_IJSG_SG_SG_EEES9_SI_JZNS1_25segmented_radix_sort_implINS0_14default_configELb1EPKhPhPKlPlN2at6native12_GLOBAL__N_18offset_tEEE10hipError_tPvRmT1_PNSt15iterator_traitsIS12_E10value_typeET2_T3_PNS13_IS18_E10value_typeET4_jRbjT5_S1E_jjP12ihipStream_tbEUljE_ZNSN_ISO_Lb1ESQ_SR_ST_SU_SY_EESZ_S10_S11_S12_S16_S17_S18_S1B_S1C_jS1D_jS1E_S1E_jjS1G_bEUljE0_EEESZ_S10_S11_S18_S1C_S1E_T6_T7_T9_mT8_S1G_bDpT10_ENKUlT_T0_E_clISt17integral_constantIbLb1EES1T_IbLb0EEEEDaS1P_S1Q_EUlS1P_E_NS1_11comp_targetILNS1_3genE2ELNS1_11target_archE906ELNS1_3gpuE6ELNS1_3repE0EEENS1_30default_config_static_selectorELNS0_4arch9wavefront6targetE0EEEvS12_.has_indirect_call, 0
	.section	.AMDGPU.csdata,"",@progbits
; Kernel info:
; codeLenInByte = 0
; TotalNumSgprs: 0
; NumVgprs: 0
; ScratchSize: 0
; MemoryBound: 0
; FloatMode: 240
; IeeeMode: 1
; LDSByteSize: 0 bytes/workgroup (compile time only)
; SGPRBlocks: 0
; VGPRBlocks: 0
; NumSGPRsForWavesPerEU: 1
; NumVGPRsForWavesPerEU: 1
; Occupancy: 16
; WaveLimiterHint : 0
; COMPUTE_PGM_RSRC2:SCRATCH_EN: 0
; COMPUTE_PGM_RSRC2:USER_SGPR: 6
; COMPUTE_PGM_RSRC2:TRAP_HANDLER: 0
; COMPUTE_PGM_RSRC2:TGID_X_EN: 1
; COMPUTE_PGM_RSRC2:TGID_Y_EN: 0
; COMPUTE_PGM_RSRC2:TGID_Z_EN: 0
; COMPUTE_PGM_RSRC2:TIDIG_COMP_CNT: 0
	.section	.text._ZN7rocprim17ROCPRIM_400000_NS6detail17trampoline_kernelINS0_13select_configILj256ELj13ELNS0_17block_load_methodE3ELS4_3ELS4_3ELNS0_20block_scan_algorithmE0ELj4294967295EEENS1_25partition_config_selectorILNS1_17partition_subalgoE4EjNS0_10empty_typeEbEEZZNS1_14partition_implILS8_4ELb0ES6_15HIP_vector_typeIjLj2EENS0_17counting_iteratorIjlEEPS9_SG_NS0_5tupleIJPjSI_NS0_16reverse_iteratorISI_EEEEENSH_IJSG_SG_SG_EEES9_SI_JZNS1_25segmented_radix_sort_implINS0_14default_configELb1EPKhPhPKlPlN2at6native12_GLOBAL__N_18offset_tEEE10hipError_tPvRmT1_PNSt15iterator_traitsIS12_E10value_typeET2_T3_PNS13_IS18_E10value_typeET4_jRbjT5_S1E_jjP12ihipStream_tbEUljE_ZNSN_ISO_Lb1ESQ_SR_ST_SU_SY_EESZ_S10_S11_S12_S16_S17_S18_S1B_S1C_jS1D_jS1E_S1E_jjS1G_bEUljE0_EEESZ_S10_S11_S18_S1C_S1E_T6_T7_T9_mT8_S1G_bDpT10_ENKUlT_T0_E_clISt17integral_constantIbLb1EES1T_IbLb0EEEEDaS1P_S1Q_EUlS1P_E_NS1_11comp_targetILNS1_3genE10ELNS1_11target_archE1200ELNS1_3gpuE4ELNS1_3repE0EEENS1_30default_config_static_selectorELNS0_4arch9wavefront6targetE0EEEvS12_,"axG",@progbits,_ZN7rocprim17ROCPRIM_400000_NS6detail17trampoline_kernelINS0_13select_configILj256ELj13ELNS0_17block_load_methodE3ELS4_3ELS4_3ELNS0_20block_scan_algorithmE0ELj4294967295EEENS1_25partition_config_selectorILNS1_17partition_subalgoE4EjNS0_10empty_typeEbEEZZNS1_14partition_implILS8_4ELb0ES6_15HIP_vector_typeIjLj2EENS0_17counting_iteratorIjlEEPS9_SG_NS0_5tupleIJPjSI_NS0_16reverse_iteratorISI_EEEEENSH_IJSG_SG_SG_EEES9_SI_JZNS1_25segmented_radix_sort_implINS0_14default_configELb1EPKhPhPKlPlN2at6native12_GLOBAL__N_18offset_tEEE10hipError_tPvRmT1_PNSt15iterator_traitsIS12_E10value_typeET2_T3_PNS13_IS18_E10value_typeET4_jRbjT5_S1E_jjP12ihipStream_tbEUljE_ZNSN_ISO_Lb1ESQ_SR_ST_SU_SY_EESZ_S10_S11_S12_S16_S17_S18_S1B_S1C_jS1D_jS1E_S1E_jjS1G_bEUljE0_EEESZ_S10_S11_S18_S1C_S1E_T6_T7_T9_mT8_S1G_bDpT10_ENKUlT_T0_E_clISt17integral_constantIbLb1EES1T_IbLb0EEEEDaS1P_S1Q_EUlS1P_E_NS1_11comp_targetILNS1_3genE10ELNS1_11target_archE1200ELNS1_3gpuE4ELNS1_3repE0EEENS1_30default_config_static_selectorELNS0_4arch9wavefront6targetE0EEEvS12_,comdat
	.globl	_ZN7rocprim17ROCPRIM_400000_NS6detail17trampoline_kernelINS0_13select_configILj256ELj13ELNS0_17block_load_methodE3ELS4_3ELS4_3ELNS0_20block_scan_algorithmE0ELj4294967295EEENS1_25partition_config_selectorILNS1_17partition_subalgoE4EjNS0_10empty_typeEbEEZZNS1_14partition_implILS8_4ELb0ES6_15HIP_vector_typeIjLj2EENS0_17counting_iteratorIjlEEPS9_SG_NS0_5tupleIJPjSI_NS0_16reverse_iteratorISI_EEEEENSH_IJSG_SG_SG_EEES9_SI_JZNS1_25segmented_radix_sort_implINS0_14default_configELb1EPKhPhPKlPlN2at6native12_GLOBAL__N_18offset_tEEE10hipError_tPvRmT1_PNSt15iterator_traitsIS12_E10value_typeET2_T3_PNS13_IS18_E10value_typeET4_jRbjT5_S1E_jjP12ihipStream_tbEUljE_ZNSN_ISO_Lb1ESQ_SR_ST_SU_SY_EESZ_S10_S11_S12_S16_S17_S18_S1B_S1C_jS1D_jS1E_S1E_jjS1G_bEUljE0_EEESZ_S10_S11_S18_S1C_S1E_T6_T7_T9_mT8_S1G_bDpT10_ENKUlT_T0_E_clISt17integral_constantIbLb1EES1T_IbLb0EEEEDaS1P_S1Q_EUlS1P_E_NS1_11comp_targetILNS1_3genE10ELNS1_11target_archE1200ELNS1_3gpuE4ELNS1_3repE0EEENS1_30default_config_static_selectorELNS0_4arch9wavefront6targetE0EEEvS12_ ; -- Begin function _ZN7rocprim17ROCPRIM_400000_NS6detail17trampoline_kernelINS0_13select_configILj256ELj13ELNS0_17block_load_methodE3ELS4_3ELS4_3ELNS0_20block_scan_algorithmE0ELj4294967295EEENS1_25partition_config_selectorILNS1_17partition_subalgoE4EjNS0_10empty_typeEbEEZZNS1_14partition_implILS8_4ELb0ES6_15HIP_vector_typeIjLj2EENS0_17counting_iteratorIjlEEPS9_SG_NS0_5tupleIJPjSI_NS0_16reverse_iteratorISI_EEEEENSH_IJSG_SG_SG_EEES9_SI_JZNS1_25segmented_radix_sort_implINS0_14default_configELb1EPKhPhPKlPlN2at6native12_GLOBAL__N_18offset_tEEE10hipError_tPvRmT1_PNSt15iterator_traitsIS12_E10value_typeET2_T3_PNS13_IS18_E10value_typeET4_jRbjT5_S1E_jjP12ihipStream_tbEUljE_ZNSN_ISO_Lb1ESQ_SR_ST_SU_SY_EESZ_S10_S11_S12_S16_S17_S18_S1B_S1C_jS1D_jS1E_S1E_jjS1G_bEUljE0_EEESZ_S10_S11_S18_S1C_S1E_T6_T7_T9_mT8_S1G_bDpT10_ENKUlT_T0_E_clISt17integral_constantIbLb1EES1T_IbLb0EEEEDaS1P_S1Q_EUlS1P_E_NS1_11comp_targetILNS1_3genE10ELNS1_11target_archE1200ELNS1_3gpuE4ELNS1_3repE0EEENS1_30default_config_static_selectorELNS0_4arch9wavefront6targetE0EEEvS12_
	.p2align	8
	.type	_ZN7rocprim17ROCPRIM_400000_NS6detail17trampoline_kernelINS0_13select_configILj256ELj13ELNS0_17block_load_methodE3ELS4_3ELS4_3ELNS0_20block_scan_algorithmE0ELj4294967295EEENS1_25partition_config_selectorILNS1_17partition_subalgoE4EjNS0_10empty_typeEbEEZZNS1_14partition_implILS8_4ELb0ES6_15HIP_vector_typeIjLj2EENS0_17counting_iteratorIjlEEPS9_SG_NS0_5tupleIJPjSI_NS0_16reverse_iteratorISI_EEEEENSH_IJSG_SG_SG_EEES9_SI_JZNS1_25segmented_radix_sort_implINS0_14default_configELb1EPKhPhPKlPlN2at6native12_GLOBAL__N_18offset_tEEE10hipError_tPvRmT1_PNSt15iterator_traitsIS12_E10value_typeET2_T3_PNS13_IS18_E10value_typeET4_jRbjT5_S1E_jjP12ihipStream_tbEUljE_ZNSN_ISO_Lb1ESQ_SR_ST_SU_SY_EESZ_S10_S11_S12_S16_S17_S18_S1B_S1C_jS1D_jS1E_S1E_jjS1G_bEUljE0_EEESZ_S10_S11_S18_S1C_S1E_T6_T7_T9_mT8_S1G_bDpT10_ENKUlT_T0_E_clISt17integral_constantIbLb1EES1T_IbLb0EEEEDaS1P_S1Q_EUlS1P_E_NS1_11comp_targetILNS1_3genE10ELNS1_11target_archE1200ELNS1_3gpuE4ELNS1_3repE0EEENS1_30default_config_static_selectorELNS0_4arch9wavefront6targetE0EEEvS12_,@function
_ZN7rocprim17ROCPRIM_400000_NS6detail17trampoline_kernelINS0_13select_configILj256ELj13ELNS0_17block_load_methodE3ELS4_3ELS4_3ELNS0_20block_scan_algorithmE0ELj4294967295EEENS1_25partition_config_selectorILNS1_17partition_subalgoE4EjNS0_10empty_typeEbEEZZNS1_14partition_implILS8_4ELb0ES6_15HIP_vector_typeIjLj2EENS0_17counting_iteratorIjlEEPS9_SG_NS0_5tupleIJPjSI_NS0_16reverse_iteratorISI_EEEEENSH_IJSG_SG_SG_EEES9_SI_JZNS1_25segmented_radix_sort_implINS0_14default_configELb1EPKhPhPKlPlN2at6native12_GLOBAL__N_18offset_tEEE10hipError_tPvRmT1_PNSt15iterator_traitsIS12_E10value_typeET2_T3_PNS13_IS18_E10value_typeET4_jRbjT5_S1E_jjP12ihipStream_tbEUljE_ZNSN_ISO_Lb1ESQ_SR_ST_SU_SY_EESZ_S10_S11_S12_S16_S17_S18_S1B_S1C_jS1D_jS1E_S1E_jjS1G_bEUljE0_EEESZ_S10_S11_S18_S1C_S1E_T6_T7_T9_mT8_S1G_bDpT10_ENKUlT_T0_E_clISt17integral_constantIbLb1EES1T_IbLb0EEEEDaS1P_S1Q_EUlS1P_E_NS1_11comp_targetILNS1_3genE10ELNS1_11target_archE1200ELNS1_3gpuE4ELNS1_3repE0EEENS1_30default_config_static_selectorELNS0_4arch9wavefront6targetE0EEEvS12_: ; @_ZN7rocprim17ROCPRIM_400000_NS6detail17trampoline_kernelINS0_13select_configILj256ELj13ELNS0_17block_load_methodE3ELS4_3ELS4_3ELNS0_20block_scan_algorithmE0ELj4294967295EEENS1_25partition_config_selectorILNS1_17partition_subalgoE4EjNS0_10empty_typeEbEEZZNS1_14partition_implILS8_4ELb0ES6_15HIP_vector_typeIjLj2EENS0_17counting_iteratorIjlEEPS9_SG_NS0_5tupleIJPjSI_NS0_16reverse_iteratorISI_EEEEENSH_IJSG_SG_SG_EEES9_SI_JZNS1_25segmented_radix_sort_implINS0_14default_configELb1EPKhPhPKlPlN2at6native12_GLOBAL__N_18offset_tEEE10hipError_tPvRmT1_PNSt15iterator_traitsIS12_E10value_typeET2_T3_PNS13_IS18_E10value_typeET4_jRbjT5_S1E_jjP12ihipStream_tbEUljE_ZNSN_ISO_Lb1ESQ_SR_ST_SU_SY_EESZ_S10_S11_S12_S16_S17_S18_S1B_S1C_jS1D_jS1E_S1E_jjS1G_bEUljE0_EEESZ_S10_S11_S18_S1C_S1E_T6_T7_T9_mT8_S1G_bDpT10_ENKUlT_T0_E_clISt17integral_constantIbLb1EES1T_IbLb0EEEEDaS1P_S1Q_EUlS1P_E_NS1_11comp_targetILNS1_3genE10ELNS1_11target_archE1200ELNS1_3gpuE4ELNS1_3repE0EEENS1_30default_config_static_selectorELNS0_4arch9wavefront6targetE0EEEvS12_
; %bb.0:
	.section	.rodata,"a",@progbits
	.p2align	6, 0x0
	.amdhsa_kernel _ZN7rocprim17ROCPRIM_400000_NS6detail17trampoline_kernelINS0_13select_configILj256ELj13ELNS0_17block_load_methodE3ELS4_3ELS4_3ELNS0_20block_scan_algorithmE0ELj4294967295EEENS1_25partition_config_selectorILNS1_17partition_subalgoE4EjNS0_10empty_typeEbEEZZNS1_14partition_implILS8_4ELb0ES6_15HIP_vector_typeIjLj2EENS0_17counting_iteratorIjlEEPS9_SG_NS0_5tupleIJPjSI_NS0_16reverse_iteratorISI_EEEEENSH_IJSG_SG_SG_EEES9_SI_JZNS1_25segmented_radix_sort_implINS0_14default_configELb1EPKhPhPKlPlN2at6native12_GLOBAL__N_18offset_tEEE10hipError_tPvRmT1_PNSt15iterator_traitsIS12_E10value_typeET2_T3_PNS13_IS18_E10value_typeET4_jRbjT5_S1E_jjP12ihipStream_tbEUljE_ZNSN_ISO_Lb1ESQ_SR_ST_SU_SY_EESZ_S10_S11_S12_S16_S17_S18_S1B_S1C_jS1D_jS1E_S1E_jjS1G_bEUljE0_EEESZ_S10_S11_S18_S1C_S1E_T6_T7_T9_mT8_S1G_bDpT10_ENKUlT_T0_E_clISt17integral_constantIbLb1EES1T_IbLb0EEEEDaS1P_S1Q_EUlS1P_E_NS1_11comp_targetILNS1_3genE10ELNS1_11target_archE1200ELNS1_3gpuE4ELNS1_3repE0EEENS1_30default_config_static_selectorELNS0_4arch9wavefront6targetE0EEEvS12_
		.amdhsa_group_segment_fixed_size 0
		.amdhsa_private_segment_fixed_size 0
		.amdhsa_kernarg_size 176
		.amdhsa_user_sgpr_count 6
		.amdhsa_user_sgpr_private_segment_buffer 1
		.amdhsa_user_sgpr_dispatch_ptr 0
		.amdhsa_user_sgpr_queue_ptr 0
		.amdhsa_user_sgpr_kernarg_segment_ptr 1
		.amdhsa_user_sgpr_dispatch_id 0
		.amdhsa_user_sgpr_flat_scratch_init 0
		.amdhsa_user_sgpr_private_segment_size 0
		.amdhsa_wavefront_size32 1
		.amdhsa_uses_dynamic_stack 0
		.amdhsa_system_sgpr_private_segment_wavefront_offset 0
		.amdhsa_system_sgpr_workgroup_id_x 1
		.amdhsa_system_sgpr_workgroup_id_y 0
		.amdhsa_system_sgpr_workgroup_id_z 0
		.amdhsa_system_sgpr_workgroup_info 0
		.amdhsa_system_vgpr_workitem_id 0
		.amdhsa_next_free_vgpr 1
		.amdhsa_next_free_sgpr 1
		.amdhsa_reserve_vcc 0
		.amdhsa_reserve_flat_scratch 0
		.amdhsa_float_round_mode_32 0
		.amdhsa_float_round_mode_16_64 0
		.amdhsa_float_denorm_mode_32 3
		.amdhsa_float_denorm_mode_16_64 3
		.amdhsa_dx10_clamp 1
		.amdhsa_ieee_mode 1
		.amdhsa_fp16_overflow 0
		.amdhsa_workgroup_processor_mode 1
		.amdhsa_memory_ordered 1
		.amdhsa_forward_progress 1
		.amdhsa_shared_vgpr_count 0
		.amdhsa_exception_fp_ieee_invalid_op 0
		.amdhsa_exception_fp_denorm_src 0
		.amdhsa_exception_fp_ieee_div_zero 0
		.amdhsa_exception_fp_ieee_overflow 0
		.amdhsa_exception_fp_ieee_underflow 0
		.amdhsa_exception_fp_ieee_inexact 0
		.amdhsa_exception_int_div_zero 0
	.end_amdhsa_kernel
	.section	.text._ZN7rocprim17ROCPRIM_400000_NS6detail17trampoline_kernelINS0_13select_configILj256ELj13ELNS0_17block_load_methodE3ELS4_3ELS4_3ELNS0_20block_scan_algorithmE0ELj4294967295EEENS1_25partition_config_selectorILNS1_17partition_subalgoE4EjNS0_10empty_typeEbEEZZNS1_14partition_implILS8_4ELb0ES6_15HIP_vector_typeIjLj2EENS0_17counting_iteratorIjlEEPS9_SG_NS0_5tupleIJPjSI_NS0_16reverse_iteratorISI_EEEEENSH_IJSG_SG_SG_EEES9_SI_JZNS1_25segmented_radix_sort_implINS0_14default_configELb1EPKhPhPKlPlN2at6native12_GLOBAL__N_18offset_tEEE10hipError_tPvRmT1_PNSt15iterator_traitsIS12_E10value_typeET2_T3_PNS13_IS18_E10value_typeET4_jRbjT5_S1E_jjP12ihipStream_tbEUljE_ZNSN_ISO_Lb1ESQ_SR_ST_SU_SY_EESZ_S10_S11_S12_S16_S17_S18_S1B_S1C_jS1D_jS1E_S1E_jjS1G_bEUljE0_EEESZ_S10_S11_S18_S1C_S1E_T6_T7_T9_mT8_S1G_bDpT10_ENKUlT_T0_E_clISt17integral_constantIbLb1EES1T_IbLb0EEEEDaS1P_S1Q_EUlS1P_E_NS1_11comp_targetILNS1_3genE10ELNS1_11target_archE1200ELNS1_3gpuE4ELNS1_3repE0EEENS1_30default_config_static_selectorELNS0_4arch9wavefront6targetE0EEEvS12_,"axG",@progbits,_ZN7rocprim17ROCPRIM_400000_NS6detail17trampoline_kernelINS0_13select_configILj256ELj13ELNS0_17block_load_methodE3ELS4_3ELS4_3ELNS0_20block_scan_algorithmE0ELj4294967295EEENS1_25partition_config_selectorILNS1_17partition_subalgoE4EjNS0_10empty_typeEbEEZZNS1_14partition_implILS8_4ELb0ES6_15HIP_vector_typeIjLj2EENS0_17counting_iteratorIjlEEPS9_SG_NS0_5tupleIJPjSI_NS0_16reverse_iteratorISI_EEEEENSH_IJSG_SG_SG_EEES9_SI_JZNS1_25segmented_radix_sort_implINS0_14default_configELb1EPKhPhPKlPlN2at6native12_GLOBAL__N_18offset_tEEE10hipError_tPvRmT1_PNSt15iterator_traitsIS12_E10value_typeET2_T3_PNS13_IS18_E10value_typeET4_jRbjT5_S1E_jjP12ihipStream_tbEUljE_ZNSN_ISO_Lb1ESQ_SR_ST_SU_SY_EESZ_S10_S11_S12_S16_S17_S18_S1B_S1C_jS1D_jS1E_S1E_jjS1G_bEUljE0_EEESZ_S10_S11_S18_S1C_S1E_T6_T7_T9_mT8_S1G_bDpT10_ENKUlT_T0_E_clISt17integral_constantIbLb1EES1T_IbLb0EEEEDaS1P_S1Q_EUlS1P_E_NS1_11comp_targetILNS1_3genE10ELNS1_11target_archE1200ELNS1_3gpuE4ELNS1_3repE0EEENS1_30default_config_static_selectorELNS0_4arch9wavefront6targetE0EEEvS12_,comdat
.Lfunc_end35:
	.size	_ZN7rocprim17ROCPRIM_400000_NS6detail17trampoline_kernelINS0_13select_configILj256ELj13ELNS0_17block_load_methodE3ELS4_3ELS4_3ELNS0_20block_scan_algorithmE0ELj4294967295EEENS1_25partition_config_selectorILNS1_17partition_subalgoE4EjNS0_10empty_typeEbEEZZNS1_14partition_implILS8_4ELb0ES6_15HIP_vector_typeIjLj2EENS0_17counting_iteratorIjlEEPS9_SG_NS0_5tupleIJPjSI_NS0_16reverse_iteratorISI_EEEEENSH_IJSG_SG_SG_EEES9_SI_JZNS1_25segmented_radix_sort_implINS0_14default_configELb1EPKhPhPKlPlN2at6native12_GLOBAL__N_18offset_tEEE10hipError_tPvRmT1_PNSt15iterator_traitsIS12_E10value_typeET2_T3_PNS13_IS18_E10value_typeET4_jRbjT5_S1E_jjP12ihipStream_tbEUljE_ZNSN_ISO_Lb1ESQ_SR_ST_SU_SY_EESZ_S10_S11_S12_S16_S17_S18_S1B_S1C_jS1D_jS1E_S1E_jjS1G_bEUljE0_EEESZ_S10_S11_S18_S1C_S1E_T6_T7_T9_mT8_S1G_bDpT10_ENKUlT_T0_E_clISt17integral_constantIbLb1EES1T_IbLb0EEEEDaS1P_S1Q_EUlS1P_E_NS1_11comp_targetILNS1_3genE10ELNS1_11target_archE1200ELNS1_3gpuE4ELNS1_3repE0EEENS1_30default_config_static_selectorELNS0_4arch9wavefront6targetE0EEEvS12_, .Lfunc_end35-_ZN7rocprim17ROCPRIM_400000_NS6detail17trampoline_kernelINS0_13select_configILj256ELj13ELNS0_17block_load_methodE3ELS4_3ELS4_3ELNS0_20block_scan_algorithmE0ELj4294967295EEENS1_25partition_config_selectorILNS1_17partition_subalgoE4EjNS0_10empty_typeEbEEZZNS1_14partition_implILS8_4ELb0ES6_15HIP_vector_typeIjLj2EENS0_17counting_iteratorIjlEEPS9_SG_NS0_5tupleIJPjSI_NS0_16reverse_iteratorISI_EEEEENSH_IJSG_SG_SG_EEES9_SI_JZNS1_25segmented_radix_sort_implINS0_14default_configELb1EPKhPhPKlPlN2at6native12_GLOBAL__N_18offset_tEEE10hipError_tPvRmT1_PNSt15iterator_traitsIS12_E10value_typeET2_T3_PNS13_IS18_E10value_typeET4_jRbjT5_S1E_jjP12ihipStream_tbEUljE_ZNSN_ISO_Lb1ESQ_SR_ST_SU_SY_EESZ_S10_S11_S12_S16_S17_S18_S1B_S1C_jS1D_jS1E_S1E_jjS1G_bEUljE0_EEESZ_S10_S11_S18_S1C_S1E_T6_T7_T9_mT8_S1G_bDpT10_ENKUlT_T0_E_clISt17integral_constantIbLb1EES1T_IbLb0EEEEDaS1P_S1Q_EUlS1P_E_NS1_11comp_targetILNS1_3genE10ELNS1_11target_archE1200ELNS1_3gpuE4ELNS1_3repE0EEENS1_30default_config_static_selectorELNS0_4arch9wavefront6targetE0EEEvS12_
                                        ; -- End function
	.set _ZN7rocprim17ROCPRIM_400000_NS6detail17trampoline_kernelINS0_13select_configILj256ELj13ELNS0_17block_load_methodE3ELS4_3ELS4_3ELNS0_20block_scan_algorithmE0ELj4294967295EEENS1_25partition_config_selectorILNS1_17partition_subalgoE4EjNS0_10empty_typeEbEEZZNS1_14partition_implILS8_4ELb0ES6_15HIP_vector_typeIjLj2EENS0_17counting_iteratorIjlEEPS9_SG_NS0_5tupleIJPjSI_NS0_16reverse_iteratorISI_EEEEENSH_IJSG_SG_SG_EEES9_SI_JZNS1_25segmented_radix_sort_implINS0_14default_configELb1EPKhPhPKlPlN2at6native12_GLOBAL__N_18offset_tEEE10hipError_tPvRmT1_PNSt15iterator_traitsIS12_E10value_typeET2_T3_PNS13_IS18_E10value_typeET4_jRbjT5_S1E_jjP12ihipStream_tbEUljE_ZNSN_ISO_Lb1ESQ_SR_ST_SU_SY_EESZ_S10_S11_S12_S16_S17_S18_S1B_S1C_jS1D_jS1E_S1E_jjS1G_bEUljE0_EEESZ_S10_S11_S18_S1C_S1E_T6_T7_T9_mT8_S1G_bDpT10_ENKUlT_T0_E_clISt17integral_constantIbLb1EES1T_IbLb0EEEEDaS1P_S1Q_EUlS1P_E_NS1_11comp_targetILNS1_3genE10ELNS1_11target_archE1200ELNS1_3gpuE4ELNS1_3repE0EEENS1_30default_config_static_selectorELNS0_4arch9wavefront6targetE0EEEvS12_.num_vgpr, 0
	.set _ZN7rocprim17ROCPRIM_400000_NS6detail17trampoline_kernelINS0_13select_configILj256ELj13ELNS0_17block_load_methodE3ELS4_3ELS4_3ELNS0_20block_scan_algorithmE0ELj4294967295EEENS1_25partition_config_selectorILNS1_17partition_subalgoE4EjNS0_10empty_typeEbEEZZNS1_14partition_implILS8_4ELb0ES6_15HIP_vector_typeIjLj2EENS0_17counting_iteratorIjlEEPS9_SG_NS0_5tupleIJPjSI_NS0_16reverse_iteratorISI_EEEEENSH_IJSG_SG_SG_EEES9_SI_JZNS1_25segmented_radix_sort_implINS0_14default_configELb1EPKhPhPKlPlN2at6native12_GLOBAL__N_18offset_tEEE10hipError_tPvRmT1_PNSt15iterator_traitsIS12_E10value_typeET2_T3_PNS13_IS18_E10value_typeET4_jRbjT5_S1E_jjP12ihipStream_tbEUljE_ZNSN_ISO_Lb1ESQ_SR_ST_SU_SY_EESZ_S10_S11_S12_S16_S17_S18_S1B_S1C_jS1D_jS1E_S1E_jjS1G_bEUljE0_EEESZ_S10_S11_S18_S1C_S1E_T6_T7_T9_mT8_S1G_bDpT10_ENKUlT_T0_E_clISt17integral_constantIbLb1EES1T_IbLb0EEEEDaS1P_S1Q_EUlS1P_E_NS1_11comp_targetILNS1_3genE10ELNS1_11target_archE1200ELNS1_3gpuE4ELNS1_3repE0EEENS1_30default_config_static_selectorELNS0_4arch9wavefront6targetE0EEEvS12_.num_agpr, 0
	.set _ZN7rocprim17ROCPRIM_400000_NS6detail17trampoline_kernelINS0_13select_configILj256ELj13ELNS0_17block_load_methodE3ELS4_3ELS4_3ELNS0_20block_scan_algorithmE0ELj4294967295EEENS1_25partition_config_selectorILNS1_17partition_subalgoE4EjNS0_10empty_typeEbEEZZNS1_14partition_implILS8_4ELb0ES6_15HIP_vector_typeIjLj2EENS0_17counting_iteratorIjlEEPS9_SG_NS0_5tupleIJPjSI_NS0_16reverse_iteratorISI_EEEEENSH_IJSG_SG_SG_EEES9_SI_JZNS1_25segmented_radix_sort_implINS0_14default_configELb1EPKhPhPKlPlN2at6native12_GLOBAL__N_18offset_tEEE10hipError_tPvRmT1_PNSt15iterator_traitsIS12_E10value_typeET2_T3_PNS13_IS18_E10value_typeET4_jRbjT5_S1E_jjP12ihipStream_tbEUljE_ZNSN_ISO_Lb1ESQ_SR_ST_SU_SY_EESZ_S10_S11_S12_S16_S17_S18_S1B_S1C_jS1D_jS1E_S1E_jjS1G_bEUljE0_EEESZ_S10_S11_S18_S1C_S1E_T6_T7_T9_mT8_S1G_bDpT10_ENKUlT_T0_E_clISt17integral_constantIbLb1EES1T_IbLb0EEEEDaS1P_S1Q_EUlS1P_E_NS1_11comp_targetILNS1_3genE10ELNS1_11target_archE1200ELNS1_3gpuE4ELNS1_3repE0EEENS1_30default_config_static_selectorELNS0_4arch9wavefront6targetE0EEEvS12_.numbered_sgpr, 0
	.set _ZN7rocprim17ROCPRIM_400000_NS6detail17trampoline_kernelINS0_13select_configILj256ELj13ELNS0_17block_load_methodE3ELS4_3ELS4_3ELNS0_20block_scan_algorithmE0ELj4294967295EEENS1_25partition_config_selectorILNS1_17partition_subalgoE4EjNS0_10empty_typeEbEEZZNS1_14partition_implILS8_4ELb0ES6_15HIP_vector_typeIjLj2EENS0_17counting_iteratorIjlEEPS9_SG_NS0_5tupleIJPjSI_NS0_16reverse_iteratorISI_EEEEENSH_IJSG_SG_SG_EEES9_SI_JZNS1_25segmented_radix_sort_implINS0_14default_configELb1EPKhPhPKlPlN2at6native12_GLOBAL__N_18offset_tEEE10hipError_tPvRmT1_PNSt15iterator_traitsIS12_E10value_typeET2_T3_PNS13_IS18_E10value_typeET4_jRbjT5_S1E_jjP12ihipStream_tbEUljE_ZNSN_ISO_Lb1ESQ_SR_ST_SU_SY_EESZ_S10_S11_S12_S16_S17_S18_S1B_S1C_jS1D_jS1E_S1E_jjS1G_bEUljE0_EEESZ_S10_S11_S18_S1C_S1E_T6_T7_T9_mT8_S1G_bDpT10_ENKUlT_T0_E_clISt17integral_constantIbLb1EES1T_IbLb0EEEEDaS1P_S1Q_EUlS1P_E_NS1_11comp_targetILNS1_3genE10ELNS1_11target_archE1200ELNS1_3gpuE4ELNS1_3repE0EEENS1_30default_config_static_selectorELNS0_4arch9wavefront6targetE0EEEvS12_.num_named_barrier, 0
	.set _ZN7rocprim17ROCPRIM_400000_NS6detail17trampoline_kernelINS0_13select_configILj256ELj13ELNS0_17block_load_methodE3ELS4_3ELS4_3ELNS0_20block_scan_algorithmE0ELj4294967295EEENS1_25partition_config_selectorILNS1_17partition_subalgoE4EjNS0_10empty_typeEbEEZZNS1_14partition_implILS8_4ELb0ES6_15HIP_vector_typeIjLj2EENS0_17counting_iteratorIjlEEPS9_SG_NS0_5tupleIJPjSI_NS0_16reverse_iteratorISI_EEEEENSH_IJSG_SG_SG_EEES9_SI_JZNS1_25segmented_radix_sort_implINS0_14default_configELb1EPKhPhPKlPlN2at6native12_GLOBAL__N_18offset_tEEE10hipError_tPvRmT1_PNSt15iterator_traitsIS12_E10value_typeET2_T3_PNS13_IS18_E10value_typeET4_jRbjT5_S1E_jjP12ihipStream_tbEUljE_ZNSN_ISO_Lb1ESQ_SR_ST_SU_SY_EESZ_S10_S11_S12_S16_S17_S18_S1B_S1C_jS1D_jS1E_S1E_jjS1G_bEUljE0_EEESZ_S10_S11_S18_S1C_S1E_T6_T7_T9_mT8_S1G_bDpT10_ENKUlT_T0_E_clISt17integral_constantIbLb1EES1T_IbLb0EEEEDaS1P_S1Q_EUlS1P_E_NS1_11comp_targetILNS1_3genE10ELNS1_11target_archE1200ELNS1_3gpuE4ELNS1_3repE0EEENS1_30default_config_static_selectorELNS0_4arch9wavefront6targetE0EEEvS12_.private_seg_size, 0
	.set _ZN7rocprim17ROCPRIM_400000_NS6detail17trampoline_kernelINS0_13select_configILj256ELj13ELNS0_17block_load_methodE3ELS4_3ELS4_3ELNS0_20block_scan_algorithmE0ELj4294967295EEENS1_25partition_config_selectorILNS1_17partition_subalgoE4EjNS0_10empty_typeEbEEZZNS1_14partition_implILS8_4ELb0ES6_15HIP_vector_typeIjLj2EENS0_17counting_iteratorIjlEEPS9_SG_NS0_5tupleIJPjSI_NS0_16reverse_iteratorISI_EEEEENSH_IJSG_SG_SG_EEES9_SI_JZNS1_25segmented_radix_sort_implINS0_14default_configELb1EPKhPhPKlPlN2at6native12_GLOBAL__N_18offset_tEEE10hipError_tPvRmT1_PNSt15iterator_traitsIS12_E10value_typeET2_T3_PNS13_IS18_E10value_typeET4_jRbjT5_S1E_jjP12ihipStream_tbEUljE_ZNSN_ISO_Lb1ESQ_SR_ST_SU_SY_EESZ_S10_S11_S12_S16_S17_S18_S1B_S1C_jS1D_jS1E_S1E_jjS1G_bEUljE0_EEESZ_S10_S11_S18_S1C_S1E_T6_T7_T9_mT8_S1G_bDpT10_ENKUlT_T0_E_clISt17integral_constantIbLb1EES1T_IbLb0EEEEDaS1P_S1Q_EUlS1P_E_NS1_11comp_targetILNS1_3genE10ELNS1_11target_archE1200ELNS1_3gpuE4ELNS1_3repE0EEENS1_30default_config_static_selectorELNS0_4arch9wavefront6targetE0EEEvS12_.uses_vcc, 0
	.set _ZN7rocprim17ROCPRIM_400000_NS6detail17trampoline_kernelINS0_13select_configILj256ELj13ELNS0_17block_load_methodE3ELS4_3ELS4_3ELNS0_20block_scan_algorithmE0ELj4294967295EEENS1_25partition_config_selectorILNS1_17partition_subalgoE4EjNS0_10empty_typeEbEEZZNS1_14partition_implILS8_4ELb0ES6_15HIP_vector_typeIjLj2EENS0_17counting_iteratorIjlEEPS9_SG_NS0_5tupleIJPjSI_NS0_16reverse_iteratorISI_EEEEENSH_IJSG_SG_SG_EEES9_SI_JZNS1_25segmented_radix_sort_implINS0_14default_configELb1EPKhPhPKlPlN2at6native12_GLOBAL__N_18offset_tEEE10hipError_tPvRmT1_PNSt15iterator_traitsIS12_E10value_typeET2_T3_PNS13_IS18_E10value_typeET4_jRbjT5_S1E_jjP12ihipStream_tbEUljE_ZNSN_ISO_Lb1ESQ_SR_ST_SU_SY_EESZ_S10_S11_S12_S16_S17_S18_S1B_S1C_jS1D_jS1E_S1E_jjS1G_bEUljE0_EEESZ_S10_S11_S18_S1C_S1E_T6_T7_T9_mT8_S1G_bDpT10_ENKUlT_T0_E_clISt17integral_constantIbLb1EES1T_IbLb0EEEEDaS1P_S1Q_EUlS1P_E_NS1_11comp_targetILNS1_3genE10ELNS1_11target_archE1200ELNS1_3gpuE4ELNS1_3repE0EEENS1_30default_config_static_selectorELNS0_4arch9wavefront6targetE0EEEvS12_.uses_flat_scratch, 0
	.set _ZN7rocprim17ROCPRIM_400000_NS6detail17trampoline_kernelINS0_13select_configILj256ELj13ELNS0_17block_load_methodE3ELS4_3ELS4_3ELNS0_20block_scan_algorithmE0ELj4294967295EEENS1_25partition_config_selectorILNS1_17partition_subalgoE4EjNS0_10empty_typeEbEEZZNS1_14partition_implILS8_4ELb0ES6_15HIP_vector_typeIjLj2EENS0_17counting_iteratorIjlEEPS9_SG_NS0_5tupleIJPjSI_NS0_16reverse_iteratorISI_EEEEENSH_IJSG_SG_SG_EEES9_SI_JZNS1_25segmented_radix_sort_implINS0_14default_configELb1EPKhPhPKlPlN2at6native12_GLOBAL__N_18offset_tEEE10hipError_tPvRmT1_PNSt15iterator_traitsIS12_E10value_typeET2_T3_PNS13_IS18_E10value_typeET4_jRbjT5_S1E_jjP12ihipStream_tbEUljE_ZNSN_ISO_Lb1ESQ_SR_ST_SU_SY_EESZ_S10_S11_S12_S16_S17_S18_S1B_S1C_jS1D_jS1E_S1E_jjS1G_bEUljE0_EEESZ_S10_S11_S18_S1C_S1E_T6_T7_T9_mT8_S1G_bDpT10_ENKUlT_T0_E_clISt17integral_constantIbLb1EES1T_IbLb0EEEEDaS1P_S1Q_EUlS1P_E_NS1_11comp_targetILNS1_3genE10ELNS1_11target_archE1200ELNS1_3gpuE4ELNS1_3repE0EEENS1_30default_config_static_selectorELNS0_4arch9wavefront6targetE0EEEvS12_.has_dyn_sized_stack, 0
	.set _ZN7rocprim17ROCPRIM_400000_NS6detail17trampoline_kernelINS0_13select_configILj256ELj13ELNS0_17block_load_methodE3ELS4_3ELS4_3ELNS0_20block_scan_algorithmE0ELj4294967295EEENS1_25partition_config_selectorILNS1_17partition_subalgoE4EjNS0_10empty_typeEbEEZZNS1_14partition_implILS8_4ELb0ES6_15HIP_vector_typeIjLj2EENS0_17counting_iteratorIjlEEPS9_SG_NS0_5tupleIJPjSI_NS0_16reverse_iteratorISI_EEEEENSH_IJSG_SG_SG_EEES9_SI_JZNS1_25segmented_radix_sort_implINS0_14default_configELb1EPKhPhPKlPlN2at6native12_GLOBAL__N_18offset_tEEE10hipError_tPvRmT1_PNSt15iterator_traitsIS12_E10value_typeET2_T3_PNS13_IS18_E10value_typeET4_jRbjT5_S1E_jjP12ihipStream_tbEUljE_ZNSN_ISO_Lb1ESQ_SR_ST_SU_SY_EESZ_S10_S11_S12_S16_S17_S18_S1B_S1C_jS1D_jS1E_S1E_jjS1G_bEUljE0_EEESZ_S10_S11_S18_S1C_S1E_T6_T7_T9_mT8_S1G_bDpT10_ENKUlT_T0_E_clISt17integral_constantIbLb1EES1T_IbLb0EEEEDaS1P_S1Q_EUlS1P_E_NS1_11comp_targetILNS1_3genE10ELNS1_11target_archE1200ELNS1_3gpuE4ELNS1_3repE0EEENS1_30default_config_static_selectorELNS0_4arch9wavefront6targetE0EEEvS12_.has_recursion, 0
	.set _ZN7rocprim17ROCPRIM_400000_NS6detail17trampoline_kernelINS0_13select_configILj256ELj13ELNS0_17block_load_methodE3ELS4_3ELS4_3ELNS0_20block_scan_algorithmE0ELj4294967295EEENS1_25partition_config_selectorILNS1_17partition_subalgoE4EjNS0_10empty_typeEbEEZZNS1_14partition_implILS8_4ELb0ES6_15HIP_vector_typeIjLj2EENS0_17counting_iteratorIjlEEPS9_SG_NS0_5tupleIJPjSI_NS0_16reverse_iteratorISI_EEEEENSH_IJSG_SG_SG_EEES9_SI_JZNS1_25segmented_radix_sort_implINS0_14default_configELb1EPKhPhPKlPlN2at6native12_GLOBAL__N_18offset_tEEE10hipError_tPvRmT1_PNSt15iterator_traitsIS12_E10value_typeET2_T3_PNS13_IS18_E10value_typeET4_jRbjT5_S1E_jjP12ihipStream_tbEUljE_ZNSN_ISO_Lb1ESQ_SR_ST_SU_SY_EESZ_S10_S11_S12_S16_S17_S18_S1B_S1C_jS1D_jS1E_S1E_jjS1G_bEUljE0_EEESZ_S10_S11_S18_S1C_S1E_T6_T7_T9_mT8_S1G_bDpT10_ENKUlT_T0_E_clISt17integral_constantIbLb1EES1T_IbLb0EEEEDaS1P_S1Q_EUlS1P_E_NS1_11comp_targetILNS1_3genE10ELNS1_11target_archE1200ELNS1_3gpuE4ELNS1_3repE0EEENS1_30default_config_static_selectorELNS0_4arch9wavefront6targetE0EEEvS12_.has_indirect_call, 0
	.section	.AMDGPU.csdata,"",@progbits
; Kernel info:
; codeLenInByte = 0
; TotalNumSgprs: 0
; NumVgprs: 0
; ScratchSize: 0
; MemoryBound: 0
; FloatMode: 240
; IeeeMode: 1
; LDSByteSize: 0 bytes/workgroup (compile time only)
; SGPRBlocks: 0
; VGPRBlocks: 0
; NumSGPRsForWavesPerEU: 1
; NumVGPRsForWavesPerEU: 1
; Occupancy: 16
; WaveLimiterHint : 0
; COMPUTE_PGM_RSRC2:SCRATCH_EN: 0
; COMPUTE_PGM_RSRC2:USER_SGPR: 6
; COMPUTE_PGM_RSRC2:TRAP_HANDLER: 0
; COMPUTE_PGM_RSRC2:TGID_X_EN: 1
; COMPUTE_PGM_RSRC2:TGID_Y_EN: 0
; COMPUTE_PGM_RSRC2:TGID_Z_EN: 0
; COMPUTE_PGM_RSRC2:TIDIG_COMP_CNT: 0
	.section	.text._ZN7rocprim17ROCPRIM_400000_NS6detail17trampoline_kernelINS0_13select_configILj256ELj13ELNS0_17block_load_methodE3ELS4_3ELS4_3ELNS0_20block_scan_algorithmE0ELj4294967295EEENS1_25partition_config_selectorILNS1_17partition_subalgoE4EjNS0_10empty_typeEbEEZZNS1_14partition_implILS8_4ELb0ES6_15HIP_vector_typeIjLj2EENS0_17counting_iteratorIjlEEPS9_SG_NS0_5tupleIJPjSI_NS0_16reverse_iteratorISI_EEEEENSH_IJSG_SG_SG_EEES9_SI_JZNS1_25segmented_radix_sort_implINS0_14default_configELb1EPKhPhPKlPlN2at6native12_GLOBAL__N_18offset_tEEE10hipError_tPvRmT1_PNSt15iterator_traitsIS12_E10value_typeET2_T3_PNS13_IS18_E10value_typeET4_jRbjT5_S1E_jjP12ihipStream_tbEUljE_ZNSN_ISO_Lb1ESQ_SR_ST_SU_SY_EESZ_S10_S11_S12_S16_S17_S18_S1B_S1C_jS1D_jS1E_S1E_jjS1G_bEUljE0_EEESZ_S10_S11_S18_S1C_S1E_T6_T7_T9_mT8_S1G_bDpT10_ENKUlT_T0_E_clISt17integral_constantIbLb1EES1T_IbLb0EEEEDaS1P_S1Q_EUlS1P_E_NS1_11comp_targetILNS1_3genE9ELNS1_11target_archE1100ELNS1_3gpuE3ELNS1_3repE0EEENS1_30default_config_static_selectorELNS0_4arch9wavefront6targetE0EEEvS12_,"axG",@progbits,_ZN7rocprim17ROCPRIM_400000_NS6detail17trampoline_kernelINS0_13select_configILj256ELj13ELNS0_17block_load_methodE3ELS4_3ELS4_3ELNS0_20block_scan_algorithmE0ELj4294967295EEENS1_25partition_config_selectorILNS1_17partition_subalgoE4EjNS0_10empty_typeEbEEZZNS1_14partition_implILS8_4ELb0ES6_15HIP_vector_typeIjLj2EENS0_17counting_iteratorIjlEEPS9_SG_NS0_5tupleIJPjSI_NS0_16reverse_iteratorISI_EEEEENSH_IJSG_SG_SG_EEES9_SI_JZNS1_25segmented_radix_sort_implINS0_14default_configELb1EPKhPhPKlPlN2at6native12_GLOBAL__N_18offset_tEEE10hipError_tPvRmT1_PNSt15iterator_traitsIS12_E10value_typeET2_T3_PNS13_IS18_E10value_typeET4_jRbjT5_S1E_jjP12ihipStream_tbEUljE_ZNSN_ISO_Lb1ESQ_SR_ST_SU_SY_EESZ_S10_S11_S12_S16_S17_S18_S1B_S1C_jS1D_jS1E_S1E_jjS1G_bEUljE0_EEESZ_S10_S11_S18_S1C_S1E_T6_T7_T9_mT8_S1G_bDpT10_ENKUlT_T0_E_clISt17integral_constantIbLb1EES1T_IbLb0EEEEDaS1P_S1Q_EUlS1P_E_NS1_11comp_targetILNS1_3genE9ELNS1_11target_archE1100ELNS1_3gpuE3ELNS1_3repE0EEENS1_30default_config_static_selectorELNS0_4arch9wavefront6targetE0EEEvS12_,comdat
	.globl	_ZN7rocprim17ROCPRIM_400000_NS6detail17trampoline_kernelINS0_13select_configILj256ELj13ELNS0_17block_load_methodE3ELS4_3ELS4_3ELNS0_20block_scan_algorithmE0ELj4294967295EEENS1_25partition_config_selectorILNS1_17partition_subalgoE4EjNS0_10empty_typeEbEEZZNS1_14partition_implILS8_4ELb0ES6_15HIP_vector_typeIjLj2EENS0_17counting_iteratorIjlEEPS9_SG_NS0_5tupleIJPjSI_NS0_16reverse_iteratorISI_EEEEENSH_IJSG_SG_SG_EEES9_SI_JZNS1_25segmented_radix_sort_implINS0_14default_configELb1EPKhPhPKlPlN2at6native12_GLOBAL__N_18offset_tEEE10hipError_tPvRmT1_PNSt15iterator_traitsIS12_E10value_typeET2_T3_PNS13_IS18_E10value_typeET4_jRbjT5_S1E_jjP12ihipStream_tbEUljE_ZNSN_ISO_Lb1ESQ_SR_ST_SU_SY_EESZ_S10_S11_S12_S16_S17_S18_S1B_S1C_jS1D_jS1E_S1E_jjS1G_bEUljE0_EEESZ_S10_S11_S18_S1C_S1E_T6_T7_T9_mT8_S1G_bDpT10_ENKUlT_T0_E_clISt17integral_constantIbLb1EES1T_IbLb0EEEEDaS1P_S1Q_EUlS1P_E_NS1_11comp_targetILNS1_3genE9ELNS1_11target_archE1100ELNS1_3gpuE3ELNS1_3repE0EEENS1_30default_config_static_selectorELNS0_4arch9wavefront6targetE0EEEvS12_ ; -- Begin function _ZN7rocprim17ROCPRIM_400000_NS6detail17trampoline_kernelINS0_13select_configILj256ELj13ELNS0_17block_load_methodE3ELS4_3ELS4_3ELNS0_20block_scan_algorithmE0ELj4294967295EEENS1_25partition_config_selectorILNS1_17partition_subalgoE4EjNS0_10empty_typeEbEEZZNS1_14partition_implILS8_4ELb0ES6_15HIP_vector_typeIjLj2EENS0_17counting_iteratorIjlEEPS9_SG_NS0_5tupleIJPjSI_NS0_16reverse_iteratorISI_EEEEENSH_IJSG_SG_SG_EEES9_SI_JZNS1_25segmented_radix_sort_implINS0_14default_configELb1EPKhPhPKlPlN2at6native12_GLOBAL__N_18offset_tEEE10hipError_tPvRmT1_PNSt15iterator_traitsIS12_E10value_typeET2_T3_PNS13_IS18_E10value_typeET4_jRbjT5_S1E_jjP12ihipStream_tbEUljE_ZNSN_ISO_Lb1ESQ_SR_ST_SU_SY_EESZ_S10_S11_S12_S16_S17_S18_S1B_S1C_jS1D_jS1E_S1E_jjS1G_bEUljE0_EEESZ_S10_S11_S18_S1C_S1E_T6_T7_T9_mT8_S1G_bDpT10_ENKUlT_T0_E_clISt17integral_constantIbLb1EES1T_IbLb0EEEEDaS1P_S1Q_EUlS1P_E_NS1_11comp_targetILNS1_3genE9ELNS1_11target_archE1100ELNS1_3gpuE3ELNS1_3repE0EEENS1_30default_config_static_selectorELNS0_4arch9wavefront6targetE0EEEvS12_
	.p2align	8
	.type	_ZN7rocprim17ROCPRIM_400000_NS6detail17trampoline_kernelINS0_13select_configILj256ELj13ELNS0_17block_load_methodE3ELS4_3ELS4_3ELNS0_20block_scan_algorithmE0ELj4294967295EEENS1_25partition_config_selectorILNS1_17partition_subalgoE4EjNS0_10empty_typeEbEEZZNS1_14partition_implILS8_4ELb0ES6_15HIP_vector_typeIjLj2EENS0_17counting_iteratorIjlEEPS9_SG_NS0_5tupleIJPjSI_NS0_16reverse_iteratorISI_EEEEENSH_IJSG_SG_SG_EEES9_SI_JZNS1_25segmented_radix_sort_implINS0_14default_configELb1EPKhPhPKlPlN2at6native12_GLOBAL__N_18offset_tEEE10hipError_tPvRmT1_PNSt15iterator_traitsIS12_E10value_typeET2_T3_PNS13_IS18_E10value_typeET4_jRbjT5_S1E_jjP12ihipStream_tbEUljE_ZNSN_ISO_Lb1ESQ_SR_ST_SU_SY_EESZ_S10_S11_S12_S16_S17_S18_S1B_S1C_jS1D_jS1E_S1E_jjS1G_bEUljE0_EEESZ_S10_S11_S18_S1C_S1E_T6_T7_T9_mT8_S1G_bDpT10_ENKUlT_T0_E_clISt17integral_constantIbLb1EES1T_IbLb0EEEEDaS1P_S1Q_EUlS1P_E_NS1_11comp_targetILNS1_3genE9ELNS1_11target_archE1100ELNS1_3gpuE3ELNS1_3repE0EEENS1_30default_config_static_selectorELNS0_4arch9wavefront6targetE0EEEvS12_,@function
_ZN7rocprim17ROCPRIM_400000_NS6detail17trampoline_kernelINS0_13select_configILj256ELj13ELNS0_17block_load_methodE3ELS4_3ELS4_3ELNS0_20block_scan_algorithmE0ELj4294967295EEENS1_25partition_config_selectorILNS1_17partition_subalgoE4EjNS0_10empty_typeEbEEZZNS1_14partition_implILS8_4ELb0ES6_15HIP_vector_typeIjLj2EENS0_17counting_iteratorIjlEEPS9_SG_NS0_5tupleIJPjSI_NS0_16reverse_iteratorISI_EEEEENSH_IJSG_SG_SG_EEES9_SI_JZNS1_25segmented_radix_sort_implINS0_14default_configELb1EPKhPhPKlPlN2at6native12_GLOBAL__N_18offset_tEEE10hipError_tPvRmT1_PNSt15iterator_traitsIS12_E10value_typeET2_T3_PNS13_IS18_E10value_typeET4_jRbjT5_S1E_jjP12ihipStream_tbEUljE_ZNSN_ISO_Lb1ESQ_SR_ST_SU_SY_EESZ_S10_S11_S12_S16_S17_S18_S1B_S1C_jS1D_jS1E_S1E_jjS1G_bEUljE0_EEESZ_S10_S11_S18_S1C_S1E_T6_T7_T9_mT8_S1G_bDpT10_ENKUlT_T0_E_clISt17integral_constantIbLb1EES1T_IbLb0EEEEDaS1P_S1Q_EUlS1P_E_NS1_11comp_targetILNS1_3genE9ELNS1_11target_archE1100ELNS1_3gpuE3ELNS1_3repE0EEENS1_30default_config_static_selectorELNS0_4arch9wavefront6targetE0EEEvS12_: ; @_ZN7rocprim17ROCPRIM_400000_NS6detail17trampoline_kernelINS0_13select_configILj256ELj13ELNS0_17block_load_methodE3ELS4_3ELS4_3ELNS0_20block_scan_algorithmE0ELj4294967295EEENS1_25partition_config_selectorILNS1_17partition_subalgoE4EjNS0_10empty_typeEbEEZZNS1_14partition_implILS8_4ELb0ES6_15HIP_vector_typeIjLj2EENS0_17counting_iteratorIjlEEPS9_SG_NS0_5tupleIJPjSI_NS0_16reverse_iteratorISI_EEEEENSH_IJSG_SG_SG_EEES9_SI_JZNS1_25segmented_radix_sort_implINS0_14default_configELb1EPKhPhPKlPlN2at6native12_GLOBAL__N_18offset_tEEE10hipError_tPvRmT1_PNSt15iterator_traitsIS12_E10value_typeET2_T3_PNS13_IS18_E10value_typeET4_jRbjT5_S1E_jjP12ihipStream_tbEUljE_ZNSN_ISO_Lb1ESQ_SR_ST_SU_SY_EESZ_S10_S11_S12_S16_S17_S18_S1B_S1C_jS1D_jS1E_S1E_jjS1G_bEUljE0_EEESZ_S10_S11_S18_S1C_S1E_T6_T7_T9_mT8_S1G_bDpT10_ENKUlT_T0_E_clISt17integral_constantIbLb1EES1T_IbLb0EEEEDaS1P_S1Q_EUlS1P_E_NS1_11comp_targetILNS1_3genE9ELNS1_11target_archE1100ELNS1_3gpuE3ELNS1_3repE0EEENS1_30default_config_static_selectorELNS0_4arch9wavefront6targetE0EEEvS12_
; %bb.0:
	.section	.rodata,"a",@progbits
	.p2align	6, 0x0
	.amdhsa_kernel _ZN7rocprim17ROCPRIM_400000_NS6detail17trampoline_kernelINS0_13select_configILj256ELj13ELNS0_17block_load_methodE3ELS4_3ELS4_3ELNS0_20block_scan_algorithmE0ELj4294967295EEENS1_25partition_config_selectorILNS1_17partition_subalgoE4EjNS0_10empty_typeEbEEZZNS1_14partition_implILS8_4ELb0ES6_15HIP_vector_typeIjLj2EENS0_17counting_iteratorIjlEEPS9_SG_NS0_5tupleIJPjSI_NS0_16reverse_iteratorISI_EEEEENSH_IJSG_SG_SG_EEES9_SI_JZNS1_25segmented_radix_sort_implINS0_14default_configELb1EPKhPhPKlPlN2at6native12_GLOBAL__N_18offset_tEEE10hipError_tPvRmT1_PNSt15iterator_traitsIS12_E10value_typeET2_T3_PNS13_IS18_E10value_typeET4_jRbjT5_S1E_jjP12ihipStream_tbEUljE_ZNSN_ISO_Lb1ESQ_SR_ST_SU_SY_EESZ_S10_S11_S12_S16_S17_S18_S1B_S1C_jS1D_jS1E_S1E_jjS1G_bEUljE0_EEESZ_S10_S11_S18_S1C_S1E_T6_T7_T9_mT8_S1G_bDpT10_ENKUlT_T0_E_clISt17integral_constantIbLb1EES1T_IbLb0EEEEDaS1P_S1Q_EUlS1P_E_NS1_11comp_targetILNS1_3genE9ELNS1_11target_archE1100ELNS1_3gpuE3ELNS1_3repE0EEENS1_30default_config_static_selectorELNS0_4arch9wavefront6targetE0EEEvS12_
		.amdhsa_group_segment_fixed_size 0
		.amdhsa_private_segment_fixed_size 0
		.amdhsa_kernarg_size 176
		.amdhsa_user_sgpr_count 6
		.amdhsa_user_sgpr_private_segment_buffer 1
		.amdhsa_user_sgpr_dispatch_ptr 0
		.amdhsa_user_sgpr_queue_ptr 0
		.amdhsa_user_sgpr_kernarg_segment_ptr 1
		.amdhsa_user_sgpr_dispatch_id 0
		.amdhsa_user_sgpr_flat_scratch_init 0
		.amdhsa_user_sgpr_private_segment_size 0
		.amdhsa_wavefront_size32 1
		.amdhsa_uses_dynamic_stack 0
		.amdhsa_system_sgpr_private_segment_wavefront_offset 0
		.amdhsa_system_sgpr_workgroup_id_x 1
		.amdhsa_system_sgpr_workgroup_id_y 0
		.amdhsa_system_sgpr_workgroup_id_z 0
		.amdhsa_system_sgpr_workgroup_info 0
		.amdhsa_system_vgpr_workitem_id 0
		.amdhsa_next_free_vgpr 1
		.amdhsa_next_free_sgpr 1
		.amdhsa_reserve_vcc 0
		.amdhsa_reserve_flat_scratch 0
		.amdhsa_float_round_mode_32 0
		.amdhsa_float_round_mode_16_64 0
		.amdhsa_float_denorm_mode_32 3
		.amdhsa_float_denorm_mode_16_64 3
		.amdhsa_dx10_clamp 1
		.amdhsa_ieee_mode 1
		.amdhsa_fp16_overflow 0
		.amdhsa_workgroup_processor_mode 1
		.amdhsa_memory_ordered 1
		.amdhsa_forward_progress 1
		.amdhsa_shared_vgpr_count 0
		.amdhsa_exception_fp_ieee_invalid_op 0
		.amdhsa_exception_fp_denorm_src 0
		.amdhsa_exception_fp_ieee_div_zero 0
		.amdhsa_exception_fp_ieee_overflow 0
		.amdhsa_exception_fp_ieee_underflow 0
		.amdhsa_exception_fp_ieee_inexact 0
		.amdhsa_exception_int_div_zero 0
	.end_amdhsa_kernel
	.section	.text._ZN7rocprim17ROCPRIM_400000_NS6detail17trampoline_kernelINS0_13select_configILj256ELj13ELNS0_17block_load_methodE3ELS4_3ELS4_3ELNS0_20block_scan_algorithmE0ELj4294967295EEENS1_25partition_config_selectorILNS1_17partition_subalgoE4EjNS0_10empty_typeEbEEZZNS1_14partition_implILS8_4ELb0ES6_15HIP_vector_typeIjLj2EENS0_17counting_iteratorIjlEEPS9_SG_NS0_5tupleIJPjSI_NS0_16reverse_iteratorISI_EEEEENSH_IJSG_SG_SG_EEES9_SI_JZNS1_25segmented_radix_sort_implINS0_14default_configELb1EPKhPhPKlPlN2at6native12_GLOBAL__N_18offset_tEEE10hipError_tPvRmT1_PNSt15iterator_traitsIS12_E10value_typeET2_T3_PNS13_IS18_E10value_typeET4_jRbjT5_S1E_jjP12ihipStream_tbEUljE_ZNSN_ISO_Lb1ESQ_SR_ST_SU_SY_EESZ_S10_S11_S12_S16_S17_S18_S1B_S1C_jS1D_jS1E_S1E_jjS1G_bEUljE0_EEESZ_S10_S11_S18_S1C_S1E_T6_T7_T9_mT8_S1G_bDpT10_ENKUlT_T0_E_clISt17integral_constantIbLb1EES1T_IbLb0EEEEDaS1P_S1Q_EUlS1P_E_NS1_11comp_targetILNS1_3genE9ELNS1_11target_archE1100ELNS1_3gpuE3ELNS1_3repE0EEENS1_30default_config_static_selectorELNS0_4arch9wavefront6targetE0EEEvS12_,"axG",@progbits,_ZN7rocprim17ROCPRIM_400000_NS6detail17trampoline_kernelINS0_13select_configILj256ELj13ELNS0_17block_load_methodE3ELS4_3ELS4_3ELNS0_20block_scan_algorithmE0ELj4294967295EEENS1_25partition_config_selectorILNS1_17partition_subalgoE4EjNS0_10empty_typeEbEEZZNS1_14partition_implILS8_4ELb0ES6_15HIP_vector_typeIjLj2EENS0_17counting_iteratorIjlEEPS9_SG_NS0_5tupleIJPjSI_NS0_16reverse_iteratorISI_EEEEENSH_IJSG_SG_SG_EEES9_SI_JZNS1_25segmented_radix_sort_implINS0_14default_configELb1EPKhPhPKlPlN2at6native12_GLOBAL__N_18offset_tEEE10hipError_tPvRmT1_PNSt15iterator_traitsIS12_E10value_typeET2_T3_PNS13_IS18_E10value_typeET4_jRbjT5_S1E_jjP12ihipStream_tbEUljE_ZNSN_ISO_Lb1ESQ_SR_ST_SU_SY_EESZ_S10_S11_S12_S16_S17_S18_S1B_S1C_jS1D_jS1E_S1E_jjS1G_bEUljE0_EEESZ_S10_S11_S18_S1C_S1E_T6_T7_T9_mT8_S1G_bDpT10_ENKUlT_T0_E_clISt17integral_constantIbLb1EES1T_IbLb0EEEEDaS1P_S1Q_EUlS1P_E_NS1_11comp_targetILNS1_3genE9ELNS1_11target_archE1100ELNS1_3gpuE3ELNS1_3repE0EEENS1_30default_config_static_selectorELNS0_4arch9wavefront6targetE0EEEvS12_,comdat
.Lfunc_end36:
	.size	_ZN7rocprim17ROCPRIM_400000_NS6detail17trampoline_kernelINS0_13select_configILj256ELj13ELNS0_17block_load_methodE3ELS4_3ELS4_3ELNS0_20block_scan_algorithmE0ELj4294967295EEENS1_25partition_config_selectorILNS1_17partition_subalgoE4EjNS0_10empty_typeEbEEZZNS1_14partition_implILS8_4ELb0ES6_15HIP_vector_typeIjLj2EENS0_17counting_iteratorIjlEEPS9_SG_NS0_5tupleIJPjSI_NS0_16reverse_iteratorISI_EEEEENSH_IJSG_SG_SG_EEES9_SI_JZNS1_25segmented_radix_sort_implINS0_14default_configELb1EPKhPhPKlPlN2at6native12_GLOBAL__N_18offset_tEEE10hipError_tPvRmT1_PNSt15iterator_traitsIS12_E10value_typeET2_T3_PNS13_IS18_E10value_typeET4_jRbjT5_S1E_jjP12ihipStream_tbEUljE_ZNSN_ISO_Lb1ESQ_SR_ST_SU_SY_EESZ_S10_S11_S12_S16_S17_S18_S1B_S1C_jS1D_jS1E_S1E_jjS1G_bEUljE0_EEESZ_S10_S11_S18_S1C_S1E_T6_T7_T9_mT8_S1G_bDpT10_ENKUlT_T0_E_clISt17integral_constantIbLb1EES1T_IbLb0EEEEDaS1P_S1Q_EUlS1P_E_NS1_11comp_targetILNS1_3genE9ELNS1_11target_archE1100ELNS1_3gpuE3ELNS1_3repE0EEENS1_30default_config_static_selectorELNS0_4arch9wavefront6targetE0EEEvS12_, .Lfunc_end36-_ZN7rocprim17ROCPRIM_400000_NS6detail17trampoline_kernelINS0_13select_configILj256ELj13ELNS0_17block_load_methodE3ELS4_3ELS4_3ELNS0_20block_scan_algorithmE0ELj4294967295EEENS1_25partition_config_selectorILNS1_17partition_subalgoE4EjNS0_10empty_typeEbEEZZNS1_14partition_implILS8_4ELb0ES6_15HIP_vector_typeIjLj2EENS0_17counting_iteratorIjlEEPS9_SG_NS0_5tupleIJPjSI_NS0_16reverse_iteratorISI_EEEEENSH_IJSG_SG_SG_EEES9_SI_JZNS1_25segmented_radix_sort_implINS0_14default_configELb1EPKhPhPKlPlN2at6native12_GLOBAL__N_18offset_tEEE10hipError_tPvRmT1_PNSt15iterator_traitsIS12_E10value_typeET2_T3_PNS13_IS18_E10value_typeET4_jRbjT5_S1E_jjP12ihipStream_tbEUljE_ZNSN_ISO_Lb1ESQ_SR_ST_SU_SY_EESZ_S10_S11_S12_S16_S17_S18_S1B_S1C_jS1D_jS1E_S1E_jjS1G_bEUljE0_EEESZ_S10_S11_S18_S1C_S1E_T6_T7_T9_mT8_S1G_bDpT10_ENKUlT_T0_E_clISt17integral_constantIbLb1EES1T_IbLb0EEEEDaS1P_S1Q_EUlS1P_E_NS1_11comp_targetILNS1_3genE9ELNS1_11target_archE1100ELNS1_3gpuE3ELNS1_3repE0EEENS1_30default_config_static_selectorELNS0_4arch9wavefront6targetE0EEEvS12_
                                        ; -- End function
	.set _ZN7rocprim17ROCPRIM_400000_NS6detail17trampoline_kernelINS0_13select_configILj256ELj13ELNS0_17block_load_methodE3ELS4_3ELS4_3ELNS0_20block_scan_algorithmE0ELj4294967295EEENS1_25partition_config_selectorILNS1_17partition_subalgoE4EjNS0_10empty_typeEbEEZZNS1_14partition_implILS8_4ELb0ES6_15HIP_vector_typeIjLj2EENS0_17counting_iteratorIjlEEPS9_SG_NS0_5tupleIJPjSI_NS0_16reverse_iteratorISI_EEEEENSH_IJSG_SG_SG_EEES9_SI_JZNS1_25segmented_radix_sort_implINS0_14default_configELb1EPKhPhPKlPlN2at6native12_GLOBAL__N_18offset_tEEE10hipError_tPvRmT1_PNSt15iterator_traitsIS12_E10value_typeET2_T3_PNS13_IS18_E10value_typeET4_jRbjT5_S1E_jjP12ihipStream_tbEUljE_ZNSN_ISO_Lb1ESQ_SR_ST_SU_SY_EESZ_S10_S11_S12_S16_S17_S18_S1B_S1C_jS1D_jS1E_S1E_jjS1G_bEUljE0_EEESZ_S10_S11_S18_S1C_S1E_T6_T7_T9_mT8_S1G_bDpT10_ENKUlT_T0_E_clISt17integral_constantIbLb1EES1T_IbLb0EEEEDaS1P_S1Q_EUlS1P_E_NS1_11comp_targetILNS1_3genE9ELNS1_11target_archE1100ELNS1_3gpuE3ELNS1_3repE0EEENS1_30default_config_static_selectorELNS0_4arch9wavefront6targetE0EEEvS12_.num_vgpr, 0
	.set _ZN7rocprim17ROCPRIM_400000_NS6detail17trampoline_kernelINS0_13select_configILj256ELj13ELNS0_17block_load_methodE3ELS4_3ELS4_3ELNS0_20block_scan_algorithmE0ELj4294967295EEENS1_25partition_config_selectorILNS1_17partition_subalgoE4EjNS0_10empty_typeEbEEZZNS1_14partition_implILS8_4ELb0ES6_15HIP_vector_typeIjLj2EENS0_17counting_iteratorIjlEEPS9_SG_NS0_5tupleIJPjSI_NS0_16reverse_iteratorISI_EEEEENSH_IJSG_SG_SG_EEES9_SI_JZNS1_25segmented_radix_sort_implINS0_14default_configELb1EPKhPhPKlPlN2at6native12_GLOBAL__N_18offset_tEEE10hipError_tPvRmT1_PNSt15iterator_traitsIS12_E10value_typeET2_T3_PNS13_IS18_E10value_typeET4_jRbjT5_S1E_jjP12ihipStream_tbEUljE_ZNSN_ISO_Lb1ESQ_SR_ST_SU_SY_EESZ_S10_S11_S12_S16_S17_S18_S1B_S1C_jS1D_jS1E_S1E_jjS1G_bEUljE0_EEESZ_S10_S11_S18_S1C_S1E_T6_T7_T9_mT8_S1G_bDpT10_ENKUlT_T0_E_clISt17integral_constantIbLb1EES1T_IbLb0EEEEDaS1P_S1Q_EUlS1P_E_NS1_11comp_targetILNS1_3genE9ELNS1_11target_archE1100ELNS1_3gpuE3ELNS1_3repE0EEENS1_30default_config_static_selectorELNS0_4arch9wavefront6targetE0EEEvS12_.num_agpr, 0
	.set _ZN7rocprim17ROCPRIM_400000_NS6detail17trampoline_kernelINS0_13select_configILj256ELj13ELNS0_17block_load_methodE3ELS4_3ELS4_3ELNS0_20block_scan_algorithmE0ELj4294967295EEENS1_25partition_config_selectorILNS1_17partition_subalgoE4EjNS0_10empty_typeEbEEZZNS1_14partition_implILS8_4ELb0ES6_15HIP_vector_typeIjLj2EENS0_17counting_iteratorIjlEEPS9_SG_NS0_5tupleIJPjSI_NS0_16reverse_iteratorISI_EEEEENSH_IJSG_SG_SG_EEES9_SI_JZNS1_25segmented_radix_sort_implINS0_14default_configELb1EPKhPhPKlPlN2at6native12_GLOBAL__N_18offset_tEEE10hipError_tPvRmT1_PNSt15iterator_traitsIS12_E10value_typeET2_T3_PNS13_IS18_E10value_typeET4_jRbjT5_S1E_jjP12ihipStream_tbEUljE_ZNSN_ISO_Lb1ESQ_SR_ST_SU_SY_EESZ_S10_S11_S12_S16_S17_S18_S1B_S1C_jS1D_jS1E_S1E_jjS1G_bEUljE0_EEESZ_S10_S11_S18_S1C_S1E_T6_T7_T9_mT8_S1G_bDpT10_ENKUlT_T0_E_clISt17integral_constantIbLb1EES1T_IbLb0EEEEDaS1P_S1Q_EUlS1P_E_NS1_11comp_targetILNS1_3genE9ELNS1_11target_archE1100ELNS1_3gpuE3ELNS1_3repE0EEENS1_30default_config_static_selectorELNS0_4arch9wavefront6targetE0EEEvS12_.numbered_sgpr, 0
	.set _ZN7rocprim17ROCPRIM_400000_NS6detail17trampoline_kernelINS0_13select_configILj256ELj13ELNS0_17block_load_methodE3ELS4_3ELS4_3ELNS0_20block_scan_algorithmE0ELj4294967295EEENS1_25partition_config_selectorILNS1_17partition_subalgoE4EjNS0_10empty_typeEbEEZZNS1_14partition_implILS8_4ELb0ES6_15HIP_vector_typeIjLj2EENS0_17counting_iteratorIjlEEPS9_SG_NS0_5tupleIJPjSI_NS0_16reverse_iteratorISI_EEEEENSH_IJSG_SG_SG_EEES9_SI_JZNS1_25segmented_radix_sort_implINS0_14default_configELb1EPKhPhPKlPlN2at6native12_GLOBAL__N_18offset_tEEE10hipError_tPvRmT1_PNSt15iterator_traitsIS12_E10value_typeET2_T3_PNS13_IS18_E10value_typeET4_jRbjT5_S1E_jjP12ihipStream_tbEUljE_ZNSN_ISO_Lb1ESQ_SR_ST_SU_SY_EESZ_S10_S11_S12_S16_S17_S18_S1B_S1C_jS1D_jS1E_S1E_jjS1G_bEUljE0_EEESZ_S10_S11_S18_S1C_S1E_T6_T7_T9_mT8_S1G_bDpT10_ENKUlT_T0_E_clISt17integral_constantIbLb1EES1T_IbLb0EEEEDaS1P_S1Q_EUlS1P_E_NS1_11comp_targetILNS1_3genE9ELNS1_11target_archE1100ELNS1_3gpuE3ELNS1_3repE0EEENS1_30default_config_static_selectorELNS0_4arch9wavefront6targetE0EEEvS12_.num_named_barrier, 0
	.set _ZN7rocprim17ROCPRIM_400000_NS6detail17trampoline_kernelINS0_13select_configILj256ELj13ELNS0_17block_load_methodE3ELS4_3ELS4_3ELNS0_20block_scan_algorithmE0ELj4294967295EEENS1_25partition_config_selectorILNS1_17partition_subalgoE4EjNS0_10empty_typeEbEEZZNS1_14partition_implILS8_4ELb0ES6_15HIP_vector_typeIjLj2EENS0_17counting_iteratorIjlEEPS9_SG_NS0_5tupleIJPjSI_NS0_16reverse_iteratorISI_EEEEENSH_IJSG_SG_SG_EEES9_SI_JZNS1_25segmented_radix_sort_implINS0_14default_configELb1EPKhPhPKlPlN2at6native12_GLOBAL__N_18offset_tEEE10hipError_tPvRmT1_PNSt15iterator_traitsIS12_E10value_typeET2_T3_PNS13_IS18_E10value_typeET4_jRbjT5_S1E_jjP12ihipStream_tbEUljE_ZNSN_ISO_Lb1ESQ_SR_ST_SU_SY_EESZ_S10_S11_S12_S16_S17_S18_S1B_S1C_jS1D_jS1E_S1E_jjS1G_bEUljE0_EEESZ_S10_S11_S18_S1C_S1E_T6_T7_T9_mT8_S1G_bDpT10_ENKUlT_T0_E_clISt17integral_constantIbLb1EES1T_IbLb0EEEEDaS1P_S1Q_EUlS1P_E_NS1_11comp_targetILNS1_3genE9ELNS1_11target_archE1100ELNS1_3gpuE3ELNS1_3repE0EEENS1_30default_config_static_selectorELNS0_4arch9wavefront6targetE0EEEvS12_.private_seg_size, 0
	.set _ZN7rocprim17ROCPRIM_400000_NS6detail17trampoline_kernelINS0_13select_configILj256ELj13ELNS0_17block_load_methodE3ELS4_3ELS4_3ELNS0_20block_scan_algorithmE0ELj4294967295EEENS1_25partition_config_selectorILNS1_17partition_subalgoE4EjNS0_10empty_typeEbEEZZNS1_14partition_implILS8_4ELb0ES6_15HIP_vector_typeIjLj2EENS0_17counting_iteratorIjlEEPS9_SG_NS0_5tupleIJPjSI_NS0_16reverse_iteratorISI_EEEEENSH_IJSG_SG_SG_EEES9_SI_JZNS1_25segmented_radix_sort_implINS0_14default_configELb1EPKhPhPKlPlN2at6native12_GLOBAL__N_18offset_tEEE10hipError_tPvRmT1_PNSt15iterator_traitsIS12_E10value_typeET2_T3_PNS13_IS18_E10value_typeET4_jRbjT5_S1E_jjP12ihipStream_tbEUljE_ZNSN_ISO_Lb1ESQ_SR_ST_SU_SY_EESZ_S10_S11_S12_S16_S17_S18_S1B_S1C_jS1D_jS1E_S1E_jjS1G_bEUljE0_EEESZ_S10_S11_S18_S1C_S1E_T6_T7_T9_mT8_S1G_bDpT10_ENKUlT_T0_E_clISt17integral_constantIbLb1EES1T_IbLb0EEEEDaS1P_S1Q_EUlS1P_E_NS1_11comp_targetILNS1_3genE9ELNS1_11target_archE1100ELNS1_3gpuE3ELNS1_3repE0EEENS1_30default_config_static_selectorELNS0_4arch9wavefront6targetE0EEEvS12_.uses_vcc, 0
	.set _ZN7rocprim17ROCPRIM_400000_NS6detail17trampoline_kernelINS0_13select_configILj256ELj13ELNS0_17block_load_methodE3ELS4_3ELS4_3ELNS0_20block_scan_algorithmE0ELj4294967295EEENS1_25partition_config_selectorILNS1_17partition_subalgoE4EjNS0_10empty_typeEbEEZZNS1_14partition_implILS8_4ELb0ES6_15HIP_vector_typeIjLj2EENS0_17counting_iteratorIjlEEPS9_SG_NS0_5tupleIJPjSI_NS0_16reverse_iteratorISI_EEEEENSH_IJSG_SG_SG_EEES9_SI_JZNS1_25segmented_radix_sort_implINS0_14default_configELb1EPKhPhPKlPlN2at6native12_GLOBAL__N_18offset_tEEE10hipError_tPvRmT1_PNSt15iterator_traitsIS12_E10value_typeET2_T3_PNS13_IS18_E10value_typeET4_jRbjT5_S1E_jjP12ihipStream_tbEUljE_ZNSN_ISO_Lb1ESQ_SR_ST_SU_SY_EESZ_S10_S11_S12_S16_S17_S18_S1B_S1C_jS1D_jS1E_S1E_jjS1G_bEUljE0_EEESZ_S10_S11_S18_S1C_S1E_T6_T7_T9_mT8_S1G_bDpT10_ENKUlT_T0_E_clISt17integral_constantIbLb1EES1T_IbLb0EEEEDaS1P_S1Q_EUlS1P_E_NS1_11comp_targetILNS1_3genE9ELNS1_11target_archE1100ELNS1_3gpuE3ELNS1_3repE0EEENS1_30default_config_static_selectorELNS0_4arch9wavefront6targetE0EEEvS12_.uses_flat_scratch, 0
	.set _ZN7rocprim17ROCPRIM_400000_NS6detail17trampoline_kernelINS0_13select_configILj256ELj13ELNS0_17block_load_methodE3ELS4_3ELS4_3ELNS0_20block_scan_algorithmE0ELj4294967295EEENS1_25partition_config_selectorILNS1_17partition_subalgoE4EjNS0_10empty_typeEbEEZZNS1_14partition_implILS8_4ELb0ES6_15HIP_vector_typeIjLj2EENS0_17counting_iteratorIjlEEPS9_SG_NS0_5tupleIJPjSI_NS0_16reverse_iteratorISI_EEEEENSH_IJSG_SG_SG_EEES9_SI_JZNS1_25segmented_radix_sort_implINS0_14default_configELb1EPKhPhPKlPlN2at6native12_GLOBAL__N_18offset_tEEE10hipError_tPvRmT1_PNSt15iterator_traitsIS12_E10value_typeET2_T3_PNS13_IS18_E10value_typeET4_jRbjT5_S1E_jjP12ihipStream_tbEUljE_ZNSN_ISO_Lb1ESQ_SR_ST_SU_SY_EESZ_S10_S11_S12_S16_S17_S18_S1B_S1C_jS1D_jS1E_S1E_jjS1G_bEUljE0_EEESZ_S10_S11_S18_S1C_S1E_T6_T7_T9_mT8_S1G_bDpT10_ENKUlT_T0_E_clISt17integral_constantIbLb1EES1T_IbLb0EEEEDaS1P_S1Q_EUlS1P_E_NS1_11comp_targetILNS1_3genE9ELNS1_11target_archE1100ELNS1_3gpuE3ELNS1_3repE0EEENS1_30default_config_static_selectorELNS0_4arch9wavefront6targetE0EEEvS12_.has_dyn_sized_stack, 0
	.set _ZN7rocprim17ROCPRIM_400000_NS6detail17trampoline_kernelINS0_13select_configILj256ELj13ELNS0_17block_load_methodE3ELS4_3ELS4_3ELNS0_20block_scan_algorithmE0ELj4294967295EEENS1_25partition_config_selectorILNS1_17partition_subalgoE4EjNS0_10empty_typeEbEEZZNS1_14partition_implILS8_4ELb0ES6_15HIP_vector_typeIjLj2EENS0_17counting_iteratorIjlEEPS9_SG_NS0_5tupleIJPjSI_NS0_16reverse_iteratorISI_EEEEENSH_IJSG_SG_SG_EEES9_SI_JZNS1_25segmented_radix_sort_implINS0_14default_configELb1EPKhPhPKlPlN2at6native12_GLOBAL__N_18offset_tEEE10hipError_tPvRmT1_PNSt15iterator_traitsIS12_E10value_typeET2_T3_PNS13_IS18_E10value_typeET4_jRbjT5_S1E_jjP12ihipStream_tbEUljE_ZNSN_ISO_Lb1ESQ_SR_ST_SU_SY_EESZ_S10_S11_S12_S16_S17_S18_S1B_S1C_jS1D_jS1E_S1E_jjS1G_bEUljE0_EEESZ_S10_S11_S18_S1C_S1E_T6_T7_T9_mT8_S1G_bDpT10_ENKUlT_T0_E_clISt17integral_constantIbLb1EES1T_IbLb0EEEEDaS1P_S1Q_EUlS1P_E_NS1_11comp_targetILNS1_3genE9ELNS1_11target_archE1100ELNS1_3gpuE3ELNS1_3repE0EEENS1_30default_config_static_selectorELNS0_4arch9wavefront6targetE0EEEvS12_.has_recursion, 0
	.set _ZN7rocprim17ROCPRIM_400000_NS6detail17trampoline_kernelINS0_13select_configILj256ELj13ELNS0_17block_load_methodE3ELS4_3ELS4_3ELNS0_20block_scan_algorithmE0ELj4294967295EEENS1_25partition_config_selectorILNS1_17partition_subalgoE4EjNS0_10empty_typeEbEEZZNS1_14partition_implILS8_4ELb0ES6_15HIP_vector_typeIjLj2EENS0_17counting_iteratorIjlEEPS9_SG_NS0_5tupleIJPjSI_NS0_16reverse_iteratorISI_EEEEENSH_IJSG_SG_SG_EEES9_SI_JZNS1_25segmented_radix_sort_implINS0_14default_configELb1EPKhPhPKlPlN2at6native12_GLOBAL__N_18offset_tEEE10hipError_tPvRmT1_PNSt15iterator_traitsIS12_E10value_typeET2_T3_PNS13_IS18_E10value_typeET4_jRbjT5_S1E_jjP12ihipStream_tbEUljE_ZNSN_ISO_Lb1ESQ_SR_ST_SU_SY_EESZ_S10_S11_S12_S16_S17_S18_S1B_S1C_jS1D_jS1E_S1E_jjS1G_bEUljE0_EEESZ_S10_S11_S18_S1C_S1E_T6_T7_T9_mT8_S1G_bDpT10_ENKUlT_T0_E_clISt17integral_constantIbLb1EES1T_IbLb0EEEEDaS1P_S1Q_EUlS1P_E_NS1_11comp_targetILNS1_3genE9ELNS1_11target_archE1100ELNS1_3gpuE3ELNS1_3repE0EEENS1_30default_config_static_selectorELNS0_4arch9wavefront6targetE0EEEvS12_.has_indirect_call, 0
	.section	.AMDGPU.csdata,"",@progbits
; Kernel info:
; codeLenInByte = 0
; TotalNumSgprs: 0
; NumVgprs: 0
; ScratchSize: 0
; MemoryBound: 0
; FloatMode: 240
; IeeeMode: 1
; LDSByteSize: 0 bytes/workgroup (compile time only)
; SGPRBlocks: 0
; VGPRBlocks: 0
; NumSGPRsForWavesPerEU: 1
; NumVGPRsForWavesPerEU: 1
; Occupancy: 16
; WaveLimiterHint : 0
; COMPUTE_PGM_RSRC2:SCRATCH_EN: 0
; COMPUTE_PGM_RSRC2:USER_SGPR: 6
; COMPUTE_PGM_RSRC2:TRAP_HANDLER: 0
; COMPUTE_PGM_RSRC2:TGID_X_EN: 1
; COMPUTE_PGM_RSRC2:TGID_Y_EN: 0
; COMPUTE_PGM_RSRC2:TGID_Z_EN: 0
; COMPUTE_PGM_RSRC2:TIDIG_COMP_CNT: 0
	.section	.text._ZN7rocprim17ROCPRIM_400000_NS6detail17trampoline_kernelINS0_13select_configILj256ELj13ELNS0_17block_load_methodE3ELS4_3ELS4_3ELNS0_20block_scan_algorithmE0ELj4294967295EEENS1_25partition_config_selectorILNS1_17partition_subalgoE4EjNS0_10empty_typeEbEEZZNS1_14partition_implILS8_4ELb0ES6_15HIP_vector_typeIjLj2EENS0_17counting_iteratorIjlEEPS9_SG_NS0_5tupleIJPjSI_NS0_16reverse_iteratorISI_EEEEENSH_IJSG_SG_SG_EEES9_SI_JZNS1_25segmented_radix_sort_implINS0_14default_configELb1EPKhPhPKlPlN2at6native12_GLOBAL__N_18offset_tEEE10hipError_tPvRmT1_PNSt15iterator_traitsIS12_E10value_typeET2_T3_PNS13_IS18_E10value_typeET4_jRbjT5_S1E_jjP12ihipStream_tbEUljE_ZNSN_ISO_Lb1ESQ_SR_ST_SU_SY_EESZ_S10_S11_S12_S16_S17_S18_S1B_S1C_jS1D_jS1E_S1E_jjS1G_bEUljE0_EEESZ_S10_S11_S18_S1C_S1E_T6_T7_T9_mT8_S1G_bDpT10_ENKUlT_T0_E_clISt17integral_constantIbLb1EES1T_IbLb0EEEEDaS1P_S1Q_EUlS1P_E_NS1_11comp_targetILNS1_3genE8ELNS1_11target_archE1030ELNS1_3gpuE2ELNS1_3repE0EEENS1_30default_config_static_selectorELNS0_4arch9wavefront6targetE0EEEvS12_,"axG",@progbits,_ZN7rocprim17ROCPRIM_400000_NS6detail17trampoline_kernelINS0_13select_configILj256ELj13ELNS0_17block_load_methodE3ELS4_3ELS4_3ELNS0_20block_scan_algorithmE0ELj4294967295EEENS1_25partition_config_selectorILNS1_17partition_subalgoE4EjNS0_10empty_typeEbEEZZNS1_14partition_implILS8_4ELb0ES6_15HIP_vector_typeIjLj2EENS0_17counting_iteratorIjlEEPS9_SG_NS0_5tupleIJPjSI_NS0_16reverse_iteratorISI_EEEEENSH_IJSG_SG_SG_EEES9_SI_JZNS1_25segmented_radix_sort_implINS0_14default_configELb1EPKhPhPKlPlN2at6native12_GLOBAL__N_18offset_tEEE10hipError_tPvRmT1_PNSt15iterator_traitsIS12_E10value_typeET2_T3_PNS13_IS18_E10value_typeET4_jRbjT5_S1E_jjP12ihipStream_tbEUljE_ZNSN_ISO_Lb1ESQ_SR_ST_SU_SY_EESZ_S10_S11_S12_S16_S17_S18_S1B_S1C_jS1D_jS1E_S1E_jjS1G_bEUljE0_EEESZ_S10_S11_S18_S1C_S1E_T6_T7_T9_mT8_S1G_bDpT10_ENKUlT_T0_E_clISt17integral_constantIbLb1EES1T_IbLb0EEEEDaS1P_S1Q_EUlS1P_E_NS1_11comp_targetILNS1_3genE8ELNS1_11target_archE1030ELNS1_3gpuE2ELNS1_3repE0EEENS1_30default_config_static_selectorELNS0_4arch9wavefront6targetE0EEEvS12_,comdat
	.globl	_ZN7rocprim17ROCPRIM_400000_NS6detail17trampoline_kernelINS0_13select_configILj256ELj13ELNS0_17block_load_methodE3ELS4_3ELS4_3ELNS0_20block_scan_algorithmE0ELj4294967295EEENS1_25partition_config_selectorILNS1_17partition_subalgoE4EjNS0_10empty_typeEbEEZZNS1_14partition_implILS8_4ELb0ES6_15HIP_vector_typeIjLj2EENS0_17counting_iteratorIjlEEPS9_SG_NS0_5tupleIJPjSI_NS0_16reverse_iteratorISI_EEEEENSH_IJSG_SG_SG_EEES9_SI_JZNS1_25segmented_radix_sort_implINS0_14default_configELb1EPKhPhPKlPlN2at6native12_GLOBAL__N_18offset_tEEE10hipError_tPvRmT1_PNSt15iterator_traitsIS12_E10value_typeET2_T3_PNS13_IS18_E10value_typeET4_jRbjT5_S1E_jjP12ihipStream_tbEUljE_ZNSN_ISO_Lb1ESQ_SR_ST_SU_SY_EESZ_S10_S11_S12_S16_S17_S18_S1B_S1C_jS1D_jS1E_S1E_jjS1G_bEUljE0_EEESZ_S10_S11_S18_S1C_S1E_T6_T7_T9_mT8_S1G_bDpT10_ENKUlT_T0_E_clISt17integral_constantIbLb1EES1T_IbLb0EEEEDaS1P_S1Q_EUlS1P_E_NS1_11comp_targetILNS1_3genE8ELNS1_11target_archE1030ELNS1_3gpuE2ELNS1_3repE0EEENS1_30default_config_static_selectorELNS0_4arch9wavefront6targetE0EEEvS12_ ; -- Begin function _ZN7rocprim17ROCPRIM_400000_NS6detail17trampoline_kernelINS0_13select_configILj256ELj13ELNS0_17block_load_methodE3ELS4_3ELS4_3ELNS0_20block_scan_algorithmE0ELj4294967295EEENS1_25partition_config_selectorILNS1_17partition_subalgoE4EjNS0_10empty_typeEbEEZZNS1_14partition_implILS8_4ELb0ES6_15HIP_vector_typeIjLj2EENS0_17counting_iteratorIjlEEPS9_SG_NS0_5tupleIJPjSI_NS0_16reverse_iteratorISI_EEEEENSH_IJSG_SG_SG_EEES9_SI_JZNS1_25segmented_radix_sort_implINS0_14default_configELb1EPKhPhPKlPlN2at6native12_GLOBAL__N_18offset_tEEE10hipError_tPvRmT1_PNSt15iterator_traitsIS12_E10value_typeET2_T3_PNS13_IS18_E10value_typeET4_jRbjT5_S1E_jjP12ihipStream_tbEUljE_ZNSN_ISO_Lb1ESQ_SR_ST_SU_SY_EESZ_S10_S11_S12_S16_S17_S18_S1B_S1C_jS1D_jS1E_S1E_jjS1G_bEUljE0_EEESZ_S10_S11_S18_S1C_S1E_T6_T7_T9_mT8_S1G_bDpT10_ENKUlT_T0_E_clISt17integral_constantIbLb1EES1T_IbLb0EEEEDaS1P_S1Q_EUlS1P_E_NS1_11comp_targetILNS1_3genE8ELNS1_11target_archE1030ELNS1_3gpuE2ELNS1_3repE0EEENS1_30default_config_static_selectorELNS0_4arch9wavefront6targetE0EEEvS12_
	.p2align	8
	.type	_ZN7rocprim17ROCPRIM_400000_NS6detail17trampoline_kernelINS0_13select_configILj256ELj13ELNS0_17block_load_methodE3ELS4_3ELS4_3ELNS0_20block_scan_algorithmE0ELj4294967295EEENS1_25partition_config_selectorILNS1_17partition_subalgoE4EjNS0_10empty_typeEbEEZZNS1_14partition_implILS8_4ELb0ES6_15HIP_vector_typeIjLj2EENS0_17counting_iteratorIjlEEPS9_SG_NS0_5tupleIJPjSI_NS0_16reverse_iteratorISI_EEEEENSH_IJSG_SG_SG_EEES9_SI_JZNS1_25segmented_radix_sort_implINS0_14default_configELb1EPKhPhPKlPlN2at6native12_GLOBAL__N_18offset_tEEE10hipError_tPvRmT1_PNSt15iterator_traitsIS12_E10value_typeET2_T3_PNS13_IS18_E10value_typeET4_jRbjT5_S1E_jjP12ihipStream_tbEUljE_ZNSN_ISO_Lb1ESQ_SR_ST_SU_SY_EESZ_S10_S11_S12_S16_S17_S18_S1B_S1C_jS1D_jS1E_S1E_jjS1G_bEUljE0_EEESZ_S10_S11_S18_S1C_S1E_T6_T7_T9_mT8_S1G_bDpT10_ENKUlT_T0_E_clISt17integral_constantIbLb1EES1T_IbLb0EEEEDaS1P_S1Q_EUlS1P_E_NS1_11comp_targetILNS1_3genE8ELNS1_11target_archE1030ELNS1_3gpuE2ELNS1_3repE0EEENS1_30default_config_static_selectorELNS0_4arch9wavefront6targetE0EEEvS12_,@function
_ZN7rocprim17ROCPRIM_400000_NS6detail17trampoline_kernelINS0_13select_configILj256ELj13ELNS0_17block_load_methodE3ELS4_3ELS4_3ELNS0_20block_scan_algorithmE0ELj4294967295EEENS1_25partition_config_selectorILNS1_17partition_subalgoE4EjNS0_10empty_typeEbEEZZNS1_14partition_implILS8_4ELb0ES6_15HIP_vector_typeIjLj2EENS0_17counting_iteratorIjlEEPS9_SG_NS0_5tupleIJPjSI_NS0_16reverse_iteratorISI_EEEEENSH_IJSG_SG_SG_EEES9_SI_JZNS1_25segmented_radix_sort_implINS0_14default_configELb1EPKhPhPKlPlN2at6native12_GLOBAL__N_18offset_tEEE10hipError_tPvRmT1_PNSt15iterator_traitsIS12_E10value_typeET2_T3_PNS13_IS18_E10value_typeET4_jRbjT5_S1E_jjP12ihipStream_tbEUljE_ZNSN_ISO_Lb1ESQ_SR_ST_SU_SY_EESZ_S10_S11_S12_S16_S17_S18_S1B_S1C_jS1D_jS1E_S1E_jjS1G_bEUljE0_EEESZ_S10_S11_S18_S1C_S1E_T6_T7_T9_mT8_S1G_bDpT10_ENKUlT_T0_E_clISt17integral_constantIbLb1EES1T_IbLb0EEEEDaS1P_S1Q_EUlS1P_E_NS1_11comp_targetILNS1_3genE8ELNS1_11target_archE1030ELNS1_3gpuE2ELNS1_3repE0EEENS1_30default_config_static_selectorELNS0_4arch9wavefront6targetE0EEEvS12_: ; @_ZN7rocprim17ROCPRIM_400000_NS6detail17trampoline_kernelINS0_13select_configILj256ELj13ELNS0_17block_load_methodE3ELS4_3ELS4_3ELNS0_20block_scan_algorithmE0ELj4294967295EEENS1_25partition_config_selectorILNS1_17partition_subalgoE4EjNS0_10empty_typeEbEEZZNS1_14partition_implILS8_4ELb0ES6_15HIP_vector_typeIjLj2EENS0_17counting_iteratorIjlEEPS9_SG_NS0_5tupleIJPjSI_NS0_16reverse_iteratorISI_EEEEENSH_IJSG_SG_SG_EEES9_SI_JZNS1_25segmented_radix_sort_implINS0_14default_configELb1EPKhPhPKlPlN2at6native12_GLOBAL__N_18offset_tEEE10hipError_tPvRmT1_PNSt15iterator_traitsIS12_E10value_typeET2_T3_PNS13_IS18_E10value_typeET4_jRbjT5_S1E_jjP12ihipStream_tbEUljE_ZNSN_ISO_Lb1ESQ_SR_ST_SU_SY_EESZ_S10_S11_S12_S16_S17_S18_S1B_S1C_jS1D_jS1E_S1E_jjS1G_bEUljE0_EEESZ_S10_S11_S18_S1C_S1E_T6_T7_T9_mT8_S1G_bDpT10_ENKUlT_T0_E_clISt17integral_constantIbLb1EES1T_IbLb0EEEEDaS1P_S1Q_EUlS1P_E_NS1_11comp_targetILNS1_3genE8ELNS1_11target_archE1030ELNS1_3gpuE2ELNS1_3repE0EEENS1_30default_config_static_selectorELNS0_4arch9wavefront6targetE0EEEvS12_
; %bb.0:
	s_endpgm
	.section	.rodata,"a",@progbits
	.p2align	6, 0x0
	.amdhsa_kernel _ZN7rocprim17ROCPRIM_400000_NS6detail17trampoline_kernelINS0_13select_configILj256ELj13ELNS0_17block_load_methodE3ELS4_3ELS4_3ELNS0_20block_scan_algorithmE0ELj4294967295EEENS1_25partition_config_selectorILNS1_17partition_subalgoE4EjNS0_10empty_typeEbEEZZNS1_14partition_implILS8_4ELb0ES6_15HIP_vector_typeIjLj2EENS0_17counting_iteratorIjlEEPS9_SG_NS0_5tupleIJPjSI_NS0_16reverse_iteratorISI_EEEEENSH_IJSG_SG_SG_EEES9_SI_JZNS1_25segmented_radix_sort_implINS0_14default_configELb1EPKhPhPKlPlN2at6native12_GLOBAL__N_18offset_tEEE10hipError_tPvRmT1_PNSt15iterator_traitsIS12_E10value_typeET2_T3_PNS13_IS18_E10value_typeET4_jRbjT5_S1E_jjP12ihipStream_tbEUljE_ZNSN_ISO_Lb1ESQ_SR_ST_SU_SY_EESZ_S10_S11_S12_S16_S17_S18_S1B_S1C_jS1D_jS1E_S1E_jjS1G_bEUljE0_EEESZ_S10_S11_S18_S1C_S1E_T6_T7_T9_mT8_S1G_bDpT10_ENKUlT_T0_E_clISt17integral_constantIbLb1EES1T_IbLb0EEEEDaS1P_S1Q_EUlS1P_E_NS1_11comp_targetILNS1_3genE8ELNS1_11target_archE1030ELNS1_3gpuE2ELNS1_3repE0EEENS1_30default_config_static_selectorELNS0_4arch9wavefront6targetE0EEEvS12_
		.amdhsa_group_segment_fixed_size 0
		.amdhsa_private_segment_fixed_size 0
		.amdhsa_kernarg_size 176
		.amdhsa_user_sgpr_count 6
		.amdhsa_user_sgpr_private_segment_buffer 1
		.amdhsa_user_sgpr_dispatch_ptr 0
		.amdhsa_user_sgpr_queue_ptr 0
		.amdhsa_user_sgpr_kernarg_segment_ptr 1
		.amdhsa_user_sgpr_dispatch_id 0
		.amdhsa_user_sgpr_flat_scratch_init 0
		.amdhsa_user_sgpr_private_segment_size 0
		.amdhsa_wavefront_size32 1
		.amdhsa_uses_dynamic_stack 0
		.amdhsa_system_sgpr_private_segment_wavefront_offset 0
		.amdhsa_system_sgpr_workgroup_id_x 1
		.amdhsa_system_sgpr_workgroup_id_y 0
		.amdhsa_system_sgpr_workgroup_id_z 0
		.amdhsa_system_sgpr_workgroup_info 0
		.amdhsa_system_vgpr_workitem_id 0
		.amdhsa_next_free_vgpr 1
		.amdhsa_next_free_sgpr 1
		.amdhsa_reserve_vcc 0
		.amdhsa_reserve_flat_scratch 0
		.amdhsa_float_round_mode_32 0
		.amdhsa_float_round_mode_16_64 0
		.amdhsa_float_denorm_mode_32 3
		.amdhsa_float_denorm_mode_16_64 3
		.amdhsa_dx10_clamp 1
		.amdhsa_ieee_mode 1
		.amdhsa_fp16_overflow 0
		.amdhsa_workgroup_processor_mode 1
		.amdhsa_memory_ordered 1
		.amdhsa_forward_progress 1
		.amdhsa_shared_vgpr_count 0
		.amdhsa_exception_fp_ieee_invalid_op 0
		.amdhsa_exception_fp_denorm_src 0
		.amdhsa_exception_fp_ieee_div_zero 0
		.amdhsa_exception_fp_ieee_overflow 0
		.amdhsa_exception_fp_ieee_underflow 0
		.amdhsa_exception_fp_ieee_inexact 0
		.amdhsa_exception_int_div_zero 0
	.end_amdhsa_kernel
	.section	.text._ZN7rocprim17ROCPRIM_400000_NS6detail17trampoline_kernelINS0_13select_configILj256ELj13ELNS0_17block_load_methodE3ELS4_3ELS4_3ELNS0_20block_scan_algorithmE0ELj4294967295EEENS1_25partition_config_selectorILNS1_17partition_subalgoE4EjNS0_10empty_typeEbEEZZNS1_14partition_implILS8_4ELb0ES6_15HIP_vector_typeIjLj2EENS0_17counting_iteratorIjlEEPS9_SG_NS0_5tupleIJPjSI_NS0_16reverse_iteratorISI_EEEEENSH_IJSG_SG_SG_EEES9_SI_JZNS1_25segmented_radix_sort_implINS0_14default_configELb1EPKhPhPKlPlN2at6native12_GLOBAL__N_18offset_tEEE10hipError_tPvRmT1_PNSt15iterator_traitsIS12_E10value_typeET2_T3_PNS13_IS18_E10value_typeET4_jRbjT5_S1E_jjP12ihipStream_tbEUljE_ZNSN_ISO_Lb1ESQ_SR_ST_SU_SY_EESZ_S10_S11_S12_S16_S17_S18_S1B_S1C_jS1D_jS1E_S1E_jjS1G_bEUljE0_EEESZ_S10_S11_S18_S1C_S1E_T6_T7_T9_mT8_S1G_bDpT10_ENKUlT_T0_E_clISt17integral_constantIbLb1EES1T_IbLb0EEEEDaS1P_S1Q_EUlS1P_E_NS1_11comp_targetILNS1_3genE8ELNS1_11target_archE1030ELNS1_3gpuE2ELNS1_3repE0EEENS1_30default_config_static_selectorELNS0_4arch9wavefront6targetE0EEEvS12_,"axG",@progbits,_ZN7rocprim17ROCPRIM_400000_NS6detail17trampoline_kernelINS0_13select_configILj256ELj13ELNS0_17block_load_methodE3ELS4_3ELS4_3ELNS0_20block_scan_algorithmE0ELj4294967295EEENS1_25partition_config_selectorILNS1_17partition_subalgoE4EjNS0_10empty_typeEbEEZZNS1_14partition_implILS8_4ELb0ES6_15HIP_vector_typeIjLj2EENS0_17counting_iteratorIjlEEPS9_SG_NS0_5tupleIJPjSI_NS0_16reverse_iteratorISI_EEEEENSH_IJSG_SG_SG_EEES9_SI_JZNS1_25segmented_radix_sort_implINS0_14default_configELb1EPKhPhPKlPlN2at6native12_GLOBAL__N_18offset_tEEE10hipError_tPvRmT1_PNSt15iterator_traitsIS12_E10value_typeET2_T3_PNS13_IS18_E10value_typeET4_jRbjT5_S1E_jjP12ihipStream_tbEUljE_ZNSN_ISO_Lb1ESQ_SR_ST_SU_SY_EESZ_S10_S11_S12_S16_S17_S18_S1B_S1C_jS1D_jS1E_S1E_jjS1G_bEUljE0_EEESZ_S10_S11_S18_S1C_S1E_T6_T7_T9_mT8_S1G_bDpT10_ENKUlT_T0_E_clISt17integral_constantIbLb1EES1T_IbLb0EEEEDaS1P_S1Q_EUlS1P_E_NS1_11comp_targetILNS1_3genE8ELNS1_11target_archE1030ELNS1_3gpuE2ELNS1_3repE0EEENS1_30default_config_static_selectorELNS0_4arch9wavefront6targetE0EEEvS12_,comdat
.Lfunc_end37:
	.size	_ZN7rocprim17ROCPRIM_400000_NS6detail17trampoline_kernelINS0_13select_configILj256ELj13ELNS0_17block_load_methodE3ELS4_3ELS4_3ELNS0_20block_scan_algorithmE0ELj4294967295EEENS1_25partition_config_selectorILNS1_17partition_subalgoE4EjNS0_10empty_typeEbEEZZNS1_14partition_implILS8_4ELb0ES6_15HIP_vector_typeIjLj2EENS0_17counting_iteratorIjlEEPS9_SG_NS0_5tupleIJPjSI_NS0_16reverse_iteratorISI_EEEEENSH_IJSG_SG_SG_EEES9_SI_JZNS1_25segmented_radix_sort_implINS0_14default_configELb1EPKhPhPKlPlN2at6native12_GLOBAL__N_18offset_tEEE10hipError_tPvRmT1_PNSt15iterator_traitsIS12_E10value_typeET2_T3_PNS13_IS18_E10value_typeET4_jRbjT5_S1E_jjP12ihipStream_tbEUljE_ZNSN_ISO_Lb1ESQ_SR_ST_SU_SY_EESZ_S10_S11_S12_S16_S17_S18_S1B_S1C_jS1D_jS1E_S1E_jjS1G_bEUljE0_EEESZ_S10_S11_S18_S1C_S1E_T6_T7_T9_mT8_S1G_bDpT10_ENKUlT_T0_E_clISt17integral_constantIbLb1EES1T_IbLb0EEEEDaS1P_S1Q_EUlS1P_E_NS1_11comp_targetILNS1_3genE8ELNS1_11target_archE1030ELNS1_3gpuE2ELNS1_3repE0EEENS1_30default_config_static_selectorELNS0_4arch9wavefront6targetE0EEEvS12_, .Lfunc_end37-_ZN7rocprim17ROCPRIM_400000_NS6detail17trampoline_kernelINS0_13select_configILj256ELj13ELNS0_17block_load_methodE3ELS4_3ELS4_3ELNS0_20block_scan_algorithmE0ELj4294967295EEENS1_25partition_config_selectorILNS1_17partition_subalgoE4EjNS0_10empty_typeEbEEZZNS1_14partition_implILS8_4ELb0ES6_15HIP_vector_typeIjLj2EENS0_17counting_iteratorIjlEEPS9_SG_NS0_5tupleIJPjSI_NS0_16reverse_iteratorISI_EEEEENSH_IJSG_SG_SG_EEES9_SI_JZNS1_25segmented_radix_sort_implINS0_14default_configELb1EPKhPhPKlPlN2at6native12_GLOBAL__N_18offset_tEEE10hipError_tPvRmT1_PNSt15iterator_traitsIS12_E10value_typeET2_T3_PNS13_IS18_E10value_typeET4_jRbjT5_S1E_jjP12ihipStream_tbEUljE_ZNSN_ISO_Lb1ESQ_SR_ST_SU_SY_EESZ_S10_S11_S12_S16_S17_S18_S1B_S1C_jS1D_jS1E_S1E_jjS1G_bEUljE0_EEESZ_S10_S11_S18_S1C_S1E_T6_T7_T9_mT8_S1G_bDpT10_ENKUlT_T0_E_clISt17integral_constantIbLb1EES1T_IbLb0EEEEDaS1P_S1Q_EUlS1P_E_NS1_11comp_targetILNS1_3genE8ELNS1_11target_archE1030ELNS1_3gpuE2ELNS1_3repE0EEENS1_30default_config_static_selectorELNS0_4arch9wavefront6targetE0EEEvS12_
                                        ; -- End function
	.set _ZN7rocprim17ROCPRIM_400000_NS6detail17trampoline_kernelINS0_13select_configILj256ELj13ELNS0_17block_load_methodE3ELS4_3ELS4_3ELNS0_20block_scan_algorithmE0ELj4294967295EEENS1_25partition_config_selectorILNS1_17partition_subalgoE4EjNS0_10empty_typeEbEEZZNS1_14partition_implILS8_4ELb0ES6_15HIP_vector_typeIjLj2EENS0_17counting_iteratorIjlEEPS9_SG_NS0_5tupleIJPjSI_NS0_16reverse_iteratorISI_EEEEENSH_IJSG_SG_SG_EEES9_SI_JZNS1_25segmented_radix_sort_implINS0_14default_configELb1EPKhPhPKlPlN2at6native12_GLOBAL__N_18offset_tEEE10hipError_tPvRmT1_PNSt15iterator_traitsIS12_E10value_typeET2_T3_PNS13_IS18_E10value_typeET4_jRbjT5_S1E_jjP12ihipStream_tbEUljE_ZNSN_ISO_Lb1ESQ_SR_ST_SU_SY_EESZ_S10_S11_S12_S16_S17_S18_S1B_S1C_jS1D_jS1E_S1E_jjS1G_bEUljE0_EEESZ_S10_S11_S18_S1C_S1E_T6_T7_T9_mT8_S1G_bDpT10_ENKUlT_T0_E_clISt17integral_constantIbLb1EES1T_IbLb0EEEEDaS1P_S1Q_EUlS1P_E_NS1_11comp_targetILNS1_3genE8ELNS1_11target_archE1030ELNS1_3gpuE2ELNS1_3repE0EEENS1_30default_config_static_selectorELNS0_4arch9wavefront6targetE0EEEvS12_.num_vgpr, 0
	.set _ZN7rocprim17ROCPRIM_400000_NS6detail17trampoline_kernelINS0_13select_configILj256ELj13ELNS0_17block_load_methodE3ELS4_3ELS4_3ELNS0_20block_scan_algorithmE0ELj4294967295EEENS1_25partition_config_selectorILNS1_17partition_subalgoE4EjNS0_10empty_typeEbEEZZNS1_14partition_implILS8_4ELb0ES6_15HIP_vector_typeIjLj2EENS0_17counting_iteratorIjlEEPS9_SG_NS0_5tupleIJPjSI_NS0_16reverse_iteratorISI_EEEEENSH_IJSG_SG_SG_EEES9_SI_JZNS1_25segmented_radix_sort_implINS0_14default_configELb1EPKhPhPKlPlN2at6native12_GLOBAL__N_18offset_tEEE10hipError_tPvRmT1_PNSt15iterator_traitsIS12_E10value_typeET2_T3_PNS13_IS18_E10value_typeET4_jRbjT5_S1E_jjP12ihipStream_tbEUljE_ZNSN_ISO_Lb1ESQ_SR_ST_SU_SY_EESZ_S10_S11_S12_S16_S17_S18_S1B_S1C_jS1D_jS1E_S1E_jjS1G_bEUljE0_EEESZ_S10_S11_S18_S1C_S1E_T6_T7_T9_mT8_S1G_bDpT10_ENKUlT_T0_E_clISt17integral_constantIbLb1EES1T_IbLb0EEEEDaS1P_S1Q_EUlS1P_E_NS1_11comp_targetILNS1_3genE8ELNS1_11target_archE1030ELNS1_3gpuE2ELNS1_3repE0EEENS1_30default_config_static_selectorELNS0_4arch9wavefront6targetE0EEEvS12_.num_agpr, 0
	.set _ZN7rocprim17ROCPRIM_400000_NS6detail17trampoline_kernelINS0_13select_configILj256ELj13ELNS0_17block_load_methodE3ELS4_3ELS4_3ELNS0_20block_scan_algorithmE0ELj4294967295EEENS1_25partition_config_selectorILNS1_17partition_subalgoE4EjNS0_10empty_typeEbEEZZNS1_14partition_implILS8_4ELb0ES6_15HIP_vector_typeIjLj2EENS0_17counting_iteratorIjlEEPS9_SG_NS0_5tupleIJPjSI_NS0_16reverse_iteratorISI_EEEEENSH_IJSG_SG_SG_EEES9_SI_JZNS1_25segmented_radix_sort_implINS0_14default_configELb1EPKhPhPKlPlN2at6native12_GLOBAL__N_18offset_tEEE10hipError_tPvRmT1_PNSt15iterator_traitsIS12_E10value_typeET2_T3_PNS13_IS18_E10value_typeET4_jRbjT5_S1E_jjP12ihipStream_tbEUljE_ZNSN_ISO_Lb1ESQ_SR_ST_SU_SY_EESZ_S10_S11_S12_S16_S17_S18_S1B_S1C_jS1D_jS1E_S1E_jjS1G_bEUljE0_EEESZ_S10_S11_S18_S1C_S1E_T6_T7_T9_mT8_S1G_bDpT10_ENKUlT_T0_E_clISt17integral_constantIbLb1EES1T_IbLb0EEEEDaS1P_S1Q_EUlS1P_E_NS1_11comp_targetILNS1_3genE8ELNS1_11target_archE1030ELNS1_3gpuE2ELNS1_3repE0EEENS1_30default_config_static_selectorELNS0_4arch9wavefront6targetE0EEEvS12_.numbered_sgpr, 0
	.set _ZN7rocprim17ROCPRIM_400000_NS6detail17trampoline_kernelINS0_13select_configILj256ELj13ELNS0_17block_load_methodE3ELS4_3ELS4_3ELNS0_20block_scan_algorithmE0ELj4294967295EEENS1_25partition_config_selectorILNS1_17partition_subalgoE4EjNS0_10empty_typeEbEEZZNS1_14partition_implILS8_4ELb0ES6_15HIP_vector_typeIjLj2EENS0_17counting_iteratorIjlEEPS9_SG_NS0_5tupleIJPjSI_NS0_16reverse_iteratorISI_EEEEENSH_IJSG_SG_SG_EEES9_SI_JZNS1_25segmented_radix_sort_implINS0_14default_configELb1EPKhPhPKlPlN2at6native12_GLOBAL__N_18offset_tEEE10hipError_tPvRmT1_PNSt15iterator_traitsIS12_E10value_typeET2_T3_PNS13_IS18_E10value_typeET4_jRbjT5_S1E_jjP12ihipStream_tbEUljE_ZNSN_ISO_Lb1ESQ_SR_ST_SU_SY_EESZ_S10_S11_S12_S16_S17_S18_S1B_S1C_jS1D_jS1E_S1E_jjS1G_bEUljE0_EEESZ_S10_S11_S18_S1C_S1E_T6_T7_T9_mT8_S1G_bDpT10_ENKUlT_T0_E_clISt17integral_constantIbLb1EES1T_IbLb0EEEEDaS1P_S1Q_EUlS1P_E_NS1_11comp_targetILNS1_3genE8ELNS1_11target_archE1030ELNS1_3gpuE2ELNS1_3repE0EEENS1_30default_config_static_selectorELNS0_4arch9wavefront6targetE0EEEvS12_.num_named_barrier, 0
	.set _ZN7rocprim17ROCPRIM_400000_NS6detail17trampoline_kernelINS0_13select_configILj256ELj13ELNS0_17block_load_methodE3ELS4_3ELS4_3ELNS0_20block_scan_algorithmE0ELj4294967295EEENS1_25partition_config_selectorILNS1_17partition_subalgoE4EjNS0_10empty_typeEbEEZZNS1_14partition_implILS8_4ELb0ES6_15HIP_vector_typeIjLj2EENS0_17counting_iteratorIjlEEPS9_SG_NS0_5tupleIJPjSI_NS0_16reverse_iteratorISI_EEEEENSH_IJSG_SG_SG_EEES9_SI_JZNS1_25segmented_radix_sort_implINS0_14default_configELb1EPKhPhPKlPlN2at6native12_GLOBAL__N_18offset_tEEE10hipError_tPvRmT1_PNSt15iterator_traitsIS12_E10value_typeET2_T3_PNS13_IS18_E10value_typeET4_jRbjT5_S1E_jjP12ihipStream_tbEUljE_ZNSN_ISO_Lb1ESQ_SR_ST_SU_SY_EESZ_S10_S11_S12_S16_S17_S18_S1B_S1C_jS1D_jS1E_S1E_jjS1G_bEUljE0_EEESZ_S10_S11_S18_S1C_S1E_T6_T7_T9_mT8_S1G_bDpT10_ENKUlT_T0_E_clISt17integral_constantIbLb1EES1T_IbLb0EEEEDaS1P_S1Q_EUlS1P_E_NS1_11comp_targetILNS1_3genE8ELNS1_11target_archE1030ELNS1_3gpuE2ELNS1_3repE0EEENS1_30default_config_static_selectorELNS0_4arch9wavefront6targetE0EEEvS12_.private_seg_size, 0
	.set _ZN7rocprim17ROCPRIM_400000_NS6detail17trampoline_kernelINS0_13select_configILj256ELj13ELNS0_17block_load_methodE3ELS4_3ELS4_3ELNS0_20block_scan_algorithmE0ELj4294967295EEENS1_25partition_config_selectorILNS1_17partition_subalgoE4EjNS0_10empty_typeEbEEZZNS1_14partition_implILS8_4ELb0ES6_15HIP_vector_typeIjLj2EENS0_17counting_iteratorIjlEEPS9_SG_NS0_5tupleIJPjSI_NS0_16reverse_iteratorISI_EEEEENSH_IJSG_SG_SG_EEES9_SI_JZNS1_25segmented_radix_sort_implINS0_14default_configELb1EPKhPhPKlPlN2at6native12_GLOBAL__N_18offset_tEEE10hipError_tPvRmT1_PNSt15iterator_traitsIS12_E10value_typeET2_T3_PNS13_IS18_E10value_typeET4_jRbjT5_S1E_jjP12ihipStream_tbEUljE_ZNSN_ISO_Lb1ESQ_SR_ST_SU_SY_EESZ_S10_S11_S12_S16_S17_S18_S1B_S1C_jS1D_jS1E_S1E_jjS1G_bEUljE0_EEESZ_S10_S11_S18_S1C_S1E_T6_T7_T9_mT8_S1G_bDpT10_ENKUlT_T0_E_clISt17integral_constantIbLb1EES1T_IbLb0EEEEDaS1P_S1Q_EUlS1P_E_NS1_11comp_targetILNS1_3genE8ELNS1_11target_archE1030ELNS1_3gpuE2ELNS1_3repE0EEENS1_30default_config_static_selectorELNS0_4arch9wavefront6targetE0EEEvS12_.uses_vcc, 0
	.set _ZN7rocprim17ROCPRIM_400000_NS6detail17trampoline_kernelINS0_13select_configILj256ELj13ELNS0_17block_load_methodE3ELS4_3ELS4_3ELNS0_20block_scan_algorithmE0ELj4294967295EEENS1_25partition_config_selectorILNS1_17partition_subalgoE4EjNS0_10empty_typeEbEEZZNS1_14partition_implILS8_4ELb0ES6_15HIP_vector_typeIjLj2EENS0_17counting_iteratorIjlEEPS9_SG_NS0_5tupleIJPjSI_NS0_16reverse_iteratorISI_EEEEENSH_IJSG_SG_SG_EEES9_SI_JZNS1_25segmented_radix_sort_implINS0_14default_configELb1EPKhPhPKlPlN2at6native12_GLOBAL__N_18offset_tEEE10hipError_tPvRmT1_PNSt15iterator_traitsIS12_E10value_typeET2_T3_PNS13_IS18_E10value_typeET4_jRbjT5_S1E_jjP12ihipStream_tbEUljE_ZNSN_ISO_Lb1ESQ_SR_ST_SU_SY_EESZ_S10_S11_S12_S16_S17_S18_S1B_S1C_jS1D_jS1E_S1E_jjS1G_bEUljE0_EEESZ_S10_S11_S18_S1C_S1E_T6_T7_T9_mT8_S1G_bDpT10_ENKUlT_T0_E_clISt17integral_constantIbLb1EES1T_IbLb0EEEEDaS1P_S1Q_EUlS1P_E_NS1_11comp_targetILNS1_3genE8ELNS1_11target_archE1030ELNS1_3gpuE2ELNS1_3repE0EEENS1_30default_config_static_selectorELNS0_4arch9wavefront6targetE0EEEvS12_.uses_flat_scratch, 0
	.set _ZN7rocprim17ROCPRIM_400000_NS6detail17trampoline_kernelINS0_13select_configILj256ELj13ELNS0_17block_load_methodE3ELS4_3ELS4_3ELNS0_20block_scan_algorithmE0ELj4294967295EEENS1_25partition_config_selectorILNS1_17partition_subalgoE4EjNS0_10empty_typeEbEEZZNS1_14partition_implILS8_4ELb0ES6_15HIP_vector_typeIjLj2EENS0_17counting_iteratorIjlEEPS9_SG_NS0_5tupleIJPjSI_NS0_16reverse_iteratorISI_EEEEENSH_IJSG_SG_SG_EEES9_SI_JZNS1_25segmented_radix_sort_implINS0_14default_configELb1EPKhPhPKlPlN2at6native12_GLOBAL__N_18offset_tEEE10hipError_tPvRmT1_PNSt15iterator_traitsIS12_E10value_typeET2_T3_PNS13_IS18_E10value_typeET4_jRbjT5_S1E_jjP12ihipStream_tbEUljE_ZNSN_ISO_Lb1ESQ_SR_ST_SU_SY_EESZ_S10_S11_S12_S16_S17_S18_S1B_S1C_jS1D_jS1E_S1E_jjS1G_bEUljE0_EEESZ_S10_S11_S18_S1C_S1E_T6_T7_T9_mT8_S1G_bDpT10_ENKUlT_T0_E_clISt17integral_constantIbLb1EES1T_IbLb0EEEEDaS1P_S1Q_EUlS1P_E_NS1_11comp_targetILNS1_3genE8ELNS1_11target_archE1030ELNS1_3gpuE2ELNS1_3repE0EEENS1_30default_config_static_selectorELNS0_4arch9wavefront6targetE0EEEvS12_.has_dyn_sized_stack, 0
	.set _ZN7rocprim17ROCPRIM_400000_NS6detail17trampoline_kernelINS0_13select_configILj256ELj13ELNS0_17block_load_methodE3ELS4_3ELS4_3ELNS0_20block_scan_algorithmE0ELj4294967295EEENS1_25partition_config_selectorILNS1_17partition_subalgoE4EjNS0_10empty_typeEbEEZZNS1_14partition_implILS8_4ELb0ES6_15HIP_vector_typeIjLj2EENS0_17counting_iteratorIjlEEPS9_SG_NS0_5tupleIJPjSI_NS0_16reverse_iteratorISI_EEEEENSH_IJSG_SG_SG_EEES9_SI_JZNS1_25segmented_radix_sort_implINS0_14default_configELb1EPKhPhPKlPlN2at6native12_GLOBAL__N_18offset_tEEE10hipError_tPvRmT1_PNSt15iterator_traitsIS12_E10value_typeET2_T3_PNS13_IS18_E10value_typeET4_jRbjT5_S1E_jjP12ihipStream_tbEUljE_ZNSN_ISO_Lb1ESQ_SR_ST_SU_SY_EESZ_S10_S11_S12_S16_S17_S18_S1B_S1C_jS1D_jS1E_S1E_jjS1G_bEUljE0_EEESZ_S10_S11_S18_S1C_S1E_T6_T7_T9_mT8_S1G_bDpT10_ENKUlT_T0_E_clISt17integral_constantIbLb1EES1T_IbLb0EEEEDaS1P_S1Q_EUlS1P_E_NS1_11comp_targetILNS1_3genE8ELNS1_11target_archE1030ELNS1_3gpuE2ELNS1_3repE0EEENS1_30default_config_static_selectorELNS0_4arch9wavefront6targetE0EEEvS12_.has_recursion, 0
	.set _ZN7rocprim17ROCPRIM_400000_NS6detail17trampoline_kernelINS0_13select_configILj256ELj13ELNS0_17block_load_methodE3ELS4_3ELS4_3ELNS0_20block_scan_algorithmE0ELj4294967295EEENS1_25partition_config_selectorILNS1_17partition_subalgoE4EjNS0_10empty_typeEbEEZZNS1_14partition_implILS8_4ELb0ES6_15HIP_vector_typeIjLj2EENS0_17counting_iteratorIjlEEPS9_SG_NS0_5tupleIJPjSI_NS0_16reverse_iteratorISI_EEEEENSH_IJSG_SG_SG_EEES9_SI_JZNS1_25segmented_radix_sort_implINS0_14default_configELb1EPKhPhPKlPlN2at6native12_GLOBAL__N_18offset_tEEE10hipError_tPvRmT1_PNSt15iterator_traitsIS12_E10value_typeET2_T3_PNS13_IS18_E10value_typeET4_jRbjT5_S1E_jjP12ihipStream_tbEUljE_ZNSN_ISO_Lb1ESQ_SR_ST_SU_SY_EESZ_S10_S11_S12_S16_S17_S18_S1B_S1C_jS1D_jS1E_S1E_jjS1G_bEUljE0_EEESZ_S10_S11_S18_S1C_S1E_T6_T7_T9_mT8_S1G_bDpT10_ENKUlT_T0_E_clISt17integral_constantIbLb1EES1T_IbLb0EEEEDaS1P_S1Q_EUlS1P_E_NS1_11comp_targetILNS1_3genE8ELNS1_11target_archE1030ELNS1_3gpuE2ELNS1_3repE0EEENS1_30default_config_static_selectorELNS0_4arch9wavefront6targetE0EEEvS12_.has_indirect_call, 0
	.section	.AMDGPU.csdata,"",@progbits
; Kernel info:
; codeLenInByte = 4
; TotalNumSgprs: 0
; NumVgprs: 0
; ScratchSize: 0
; MemoryBound: 0
; FloatMode: 240
; IeeeMode: 1
; LDSByteSize: 0 bytes/workgroup (compile time only)
; SGPRBlocks: 0
; VGPRBlocks: 0
; NumSGPRsForWavesPerEU: 1
; NumVGPRsForWavesPerEU: 1
; Occupancy: 16
; WaveLimiterHint : 0
; COMPUTE_PGM_RSRC2:SCRATCH_EN: 0
; COMPUTE_PGM_RSRC2:USER_SGPR: 6
; COMPUTE_PGM_RSRC2:TRAP_HANDLER: 0
; COMPUTE_PGM_RSRC2:TGID_X_EN: 1
; COMPUTE_PGM_RSRC2:TGID_Y_EN: 0
; COMPUTE_PGM_RSRC2:TGID_Z_EN: 0
; COMPUTE_PGM_RSRC2:TIDIG_COMP_CNT: 0
	.section	.text._ZN7rocprim17ROCPRIM_400000_NS6detail31init_lookback_scan_state_kernelINS1_19lookback_scan_stateI15HIP_vector_typeIjLj2EELb0ELb1EEENS1_16block_id_wrapperIjLb1EEEEEvT_jT0_jPNS9_10value_typeE,"axG",@progbits,_ZN7rocprim17ROCPRIM_400000_NS6detail31init_lookback_scan_state_kernelINS1_19lookback_scan_stateI15HIP_vector_typeIjLj2EELb0ELb1EEENS1_16block_id_wrapperIjLb1EEEEEvT_jT0_jPNS9_10value_typeE,comdat
	.protected	_ZN7rocprim17ROCPRIM_400000_NS6detail31init_lookback_scan_state_kernelINS1_19lookback_scan_stateI15HIP_vector_typeIjLj2EELb0ELb1EEENS1_16block_id_wrapperIjLb1EEEEEvT_jT0_jPNS9_10value_typeE ; -- Begin function _ZN7rocprim17ROCPRIM_400000_NS6detail31init_lookback_scan_state_kernelINS1_19lookback_scan_stateI15HIP_vector_typeIjLj2EELb0ELb1EEENS1_16block_id_wrapperIjLb1EEEEEvT_jT0_jPNS9_10value_typeE
	.globl	_ZN7rocprim17ROCPRIM_400000_NS6detail31init_lookback_scan_state_kernelINS1_19lookback_scan_stateI15HIP_vector_typeIjLj2EELb0ELb1EEENS1_16block_id_wrapperIjLb1EEEEEvT_jT0_jPNS9_10value_typeE
	.p2align	8
	.type	_ZN7rocprim17ROCPRIM_400000_NS6detail31init_lookback_scan_state_kernelINS1_19lookback_scan_stateI15HIP_vector_typeIjLj2EELb0ELb1EEENS1_16block_id_wrapperIjLb1EEEEEvT_jT0_jPNS9_10value_typeE,@function
_ZN7rocprim17ROCPRIM_400000_NS6detail31init_lookback_scan_state_kernelINS1_19lookback_scan_stateI15HIP_vector_typeIjLj2EELb0ELb1EEENS1_16block_id_wrapperIjLb1EEEEEvT_jT0_jPNS9_10value_typeE: ; @_ZN7rocprim17ROCPRIM_400000_NS6detail31init_lookback_scan_state_kernelINS1_19lookback_scan_stateI15HIP_vector_typeIjLj2EELb0ELb1EEENS1_16block_id_wrapperIjLb1EEEEEvT_jT0_jPNS9_10value_typeE
; %bb.0:
	s_clause 0x3
	s_load_dword s7, s[4:5], 0x34
	s_load_dwordx2 s[2:3], s[4:5], 0x20
	s_load_dwordx2 s[0:1], s[4:5], 0x0
	s_load_dword s8, s[4:5], 0x8
	s_waitcnt lgkmcnt(0)
	s_and_b32 s7, s7, 0xffff
	s_cmp_eq_u64 s[2:3], 0
	v_mad_u64_u32 v[0:1], null, s6, s7, v[0:1]
	s_cbranch_scc1 .LBB38_8
; %bb.1:
	s_load_dword s6, s[4:5], 0x18
	s_waitcnt lgkmcnt(0)
	s_cmp_lt_u32 s6, s8
	s_cselect_b32 s7, s6, 0
	v_cmp_eq_u32_e32 vcc_lo, s7, v0
	s_mov_b32 s7, 0
	s_and_saveexec_b32 s9, vcc_lo
	s_cbranch_execz .LBB38_7
; %bb.2:
	s_add_i32 s6, s6, 32
	v_mov_b32_e32 v5, 0
	s_lshl_b64 s[6:7], s[6:7], 4
	s_mov_b32 s10, exec_lo
	s_add_u32 s6, s0, s6
	s_addc_u32 s7, s1, s7
	v_mov_b32_e32 v1, s6
	v_mov_b32_e32 v2, s7
	;;#ASMSTART
	global_load_dwordx4 v[1:4], v[1:2] off glc dlc	
s_waitcnt vmcnt(0)
	;;#ASMEND
	v_and_b32_e32 v4, 0xff, v3
	v_cmpx_eq_u64_e32 0, v[4:5]
	s_cbranch_execz .LBB38_6
; %bb.3:
	v_mov_b32_e32 v6, s6
	v_mov_b32_e32 v7, s7
	s_mov_b32 s6, 0
.LBB38_4:                               ; =>This Inner Loop Header: Depth=1
	;;#ASMSTART
	global_load_dwordx4 v[1:4], v[6:7] off glc dlc	
s_waitcnt vmcnt(0)
	;;#ASMEND
	v_and_b32_e32 v4, 0xff, v3
	v_cmp_ne_u64_e32 vcc_lo, 0, v[4:5]
	s_or_b32 s6, vcc_lo, s6
	s_andn2_b32 exec_lo, exec_lo, s6
	s_cbranch_execnz .LBB38_4
; %bb.5:
	s_or_b32 exec_lo, exec_lo, s6
.LBB38_6:
	s_or_b32 exec_lo, exec_lo, s10
	v_mov_b32_e32 v3, 0
	global_store_dwordx2 v3, v[1:2], s[2:3]
.LBB38_7:
	s_or_b32 exec_lo, exec_lo, s9
.LBB38_8:
	s_mov_b32 s2, exec_lo
	v_cmpx_eq_u32_e32 0, v0
	s_cbranch_execz .LBB38_10
; %bb.9:
	s_load_dwordx2 s[4:5], s[4:5], 0x10
	v_mov_b32_e32 v1, 0
	s_waitcnt lgkmcnt(0)
	global_store_dword v1, v1, s[4:5]
.LBB38_10:
	s_or_b32 exec_lo, exec_lo, s2
	s_mov_b32 s2, exec_lo
	v_cmpx_gt_u32_e64 s8, v0
	s_cbranch_execz .LBB38_12
; %bb.11:
	v_add_nc_u32_e32 v1, 32, v0
	v_mov_b32_e32 v2, 0
	v_lshlrev_b64 v[4:5], 4, v[1:2]
	v_mov_b32_e32 v1, v2
	v_mov_b32_e32 v3, v2
	v_add_co_u32 v6, vcc_lo, s0, v4
	v_add_co_ci_u32_e64 v7, null, s1, v5, vcc_lo
	v_mov_b32_e32 v4, v2
	global_store_dwordx4 v[6:7], v[1:4], off
.LBB38_12:
	s_or_b32 exec_lo, exec_lo, s2
	s_mov_b32 s2, exec_lo
	v_cmpx_gt_u32_e32 32, v0
	s_cbranch_execz .LBB38_14
; %bb.13:
	v_mov_b32_e32 v1, 0
	v_mov_b32_e32 v2, 0xff
	v_lshlrev_b64 v[3:4], 4, v[0:1]
	v_mov_b32_e32 v0, v1
	v_add_co_u32 v5, vcc_lo, s0, v3
	v_add_co_ci_u32_e64 v6, null, s1, v4, vcc_lo
	v_mov_b32_e32 v3, v1
	global_store_dwordx4 v[5:6], v[0:3], off
.LBB38_14:
	s_endpgm
	.section	.rodata,"a",@progbits
	.p2align	6, 0x0
	.amdhsa_kernel _ZN7rocprim17ROCPRIM_400000_NS6detail31init_lookback_scan_state_kernelINS1_19lookback_scan_stateI15HIP_vector_typeIjLj2EELb0ELb1EEENS1_16block_id_wrapperIjLb1EEEEEvT_jT0_jPNS9_10value_typeE
		.amdhsa_group_segment_fixed_size 0
		.amdhsa_private_segment_fixed_size 0
		.amdhsa_kernarg_size 296
		.amdhsa_user_sgpr_count 6
		.amdhsa_user_sgpr_private_segment_buffer 1
		.amdhsa_user_sgpr_dispatch_ptr 0
		.amdhsa_user_sgpr_queue_ptr 0
		.amdhsa_user_sgpr_kernarg_segment_ptr 1
		.amdhsa_user_sgpr_dispatch_id 0
		.amdhsa_user_sgpr_flat_scratch_init 0
		.amdhsa_user_sgpr_private_segment_size 0
		.amdhsa_wavefront_size32 1
		.amdhsa_uses_dynamic_stack 0
		.amdhsa_system_sgpr_private_segment_wavefront_offset 0
		.amdhsa_system_sgpr_workgroup_id_x 1
		.amdhsa_system_sgpr_workgroup_id_y 0
		.amdhsa_system_sgpr_workgroup_id_z 0
		.amdhsa_system_sgpr_workgroup_info 0
		.amdhsa_system_vgpr_workitem_id 0
		.amdhsa_next_free_vgpr 8
		.amdhsa_next_free_sgpr 11
		.amdhsa_reserve_vcc 1
		.amdhsa_reserve_flat_scratch 0
		.amdhsa_float_round_mode_32 0
		.amdhsa_float_round_mode_16_64 0
		.amdhsa_float_denorm_mode_32 3
		.amdhsa_float_denorm_mode_16_64 3
		.amdhsa_dx10_clamp 1
		.amdhsa_ieee_mode 1
		.amdhsa_fp16_overflow 0
		.amdhsa_workgroup_processor_mode 1
		.amdhsa_memory_ordered 1
		.amdhsa_forward_progress 1
		.amdhsa_shared_vgpr_count 0
		.amdhsa_exception_fp_ieee_invalid_op 0
		.amdhsa_exception_fp_denorm_src 0
		.amdhsa_exception_fp_ieee_div_zero 0
		.amdhsa_exception_fp_ieee_overflow 0
		.amdhsa_exception_fp_ieee_underflow 0
		.amdhsa_exception_fp_ieee_inexact 0
		.amdhsa_exception_int_div_zero 0
	.end_amdhsa_kernel
	.section	.text._ZN7rocprim17ROCPRIM_400000_NS6detail31init_lookback_scan_state_kernelINS1_19lookback_scan_stateI15HIP_vector_typeIjLj2EELb0ELb1EEENS1_16block_id_wrapperIjLb1EEEEEvT_jT0_jPNS9_10value_typeE,"axG",@progbits,_ZN7rocprim17ROCPRIM_400000_NS6detail31init_lookback_scan_state_kernelINS1_19lookback_scan_stateI15HIP_vector_typeIjLj2EELb0ELb1EEENS1_16block_id_wrapperIjLb1EEEEEvT_jT0_jPNS9_10value_typeE,comdat
.Lfunc_end38:
	.size	_ZN7rocprim17ROCPRIM_400000_NS6detail31init_lookback_scan_state_kernelINS1_19lookback_scan_stateI15HIP_vector_typeIjLj2EELb0ELb1EEENS1_16block_id_wrapperIjLb1EEEEEvT_jT0_jPNS9_10value_typeE, .Lfunc_end38-_ZN7rocprim17ROCPRIM_400000_NS6detail31init_lookback_scan_state_kernelINS1_19lookback_scan_stateI15HIP_vector_typeIjLj2EELb0ELb1EEENS1_16block_id_wrapperIjLb1EEEEEvT_jT0_jPNS9_10value_typeE
                                        ; -- End function
	.set _ZN7rocprim17ROCPRIM_400000_NS6detail31init_lookback_scan_state_kernelINS1_19lookback_scan_stateI15HIP_vector_typeIjLj2EELb0ELb1EEENS1_16block_id_wrapperIjLb1EEEEEvT_jT0_jPNS9_10value_typeE.num_vgpr, 8
	.set _ZN7rocprim17ROCPRIM_400000_NS6detail31init_lookback_scan_state_kernelINS1_19lookback_scan_stateI15HIP_vector_typeIjLj2EELb0ELb1EEENS1_16block_id_wrapperIjLb1EEEEEvT_jT0_jPNS9_10value_typeE.num_agpr, 0
	.set _ZN7rocprim17ROCPRIM_400000_NS6detail31init_lookback_scan_state_kernelINS1_19lookback_scan_stateI15HIP_vector_typeIjLj2EELb0ELb1EEENS1_16block_id_wrapperIjLb1EEEEEvT_jT0_jPNS9_10value_typeE.numbered_sgpr, 11
	.set _ZN7rocprim17ROCPRIM_400000_NS6detail31init_lookback_scan_state_kernelINS1_19lookback_scan_stateI15HIP_vector_typeIjLj2EELb0ELb1EEENS1_16block_id_wrapperIjLb1EEEEEvT_jT0_jPNS9_10value_typeE.num_named_barrier, 0
	.set _ZN7rocprim17ROCPRIM_400000_NS6detail31init_lookback_scan_state_kernelINS1_19lookback_scan_stateI15HIP_vector_typeIjLj2EELb0ELb1EEENS1_16block_id_wrapperIjLb1EEEEEvT_jT0_jPNS9_10value_typeE.private_seg_size, 0
	.set _ZN7rocprim17ROCPRIM_400000_NS6detail31init_lookback_scan_state_kernelINS1_19lookback_scan_stateI15HIP_vector_typeIjLj2EELb0ELb1EEENS1_16block_id_wrapperIjLb1EEEEEvT_jT0_jPNS9_10value_typeE.uses_vcc, 1
	.set _ZN7rocprim17ROCPRIM_400000_NS6detail31init_lookback_scan_state_kernelINS1_19lookback_scan_stateI15HIP_vector_typeIjLj2EELb0ELb1EEENS1_16block_id_wrapperIjLb1EEEEEvT_jT0_jPNS9_10value_typeE.uses_flat_scratch, 0
	.set _ZN7rocprim17ROCPRIM_400000_NS6detail31init_lookback_scan_state_kernelINS1_19lookback_scan_stateI15HIP_vector_typeIjLj2EELb0ELb1EEENS1_16block_id_wrapperIjLb1EEEEEvT_jT0_jPNS9_10value_typeE.has_dyn_sized_stack, 0
	.set _ZN7rocprim17ROCPRIM_400000_NS6detail31init_lookback_scan_state_kernelINS1_19lookback_scan_stateI15HIP_vector_typeIjLj2EELb0ELb1EEENS1_16block_id_wrapperIjLb1EEEEEvT_jT0_jPNS9_10value_typeE.has_recursion, 0
	.set _ZN7rocprim17ROCPRIM_400000_NS6detail31init_lookback_scan_state_kernelINS1_19lookback_scan_stateI15HIP_vector_typeIjLj2EELb0ELb1EEENS1_16block_id_wrapperIjLb1EEEEEvT_jT0_jPNS9_10value_typeE.has_indirect_call, 0
	.section	.AMDGPU.csdata,"",@progbits
; Kernel info:
; codeLenInByte = 468
; TotalNumSgprs: 13
; NumVgprs: 8
; ScratchSize: 0
; MemoryBound: 0
; FloatMode: 240
; IeeeMode: 1
; LDSByteSize: 0 bytes/workgroup (compile time only)
; SGPRBlocks: 0
; VGPRBlocks: 0
; NumSGPRsForWavesPerEU: 13
; NumVGPRsForWavesPerEU: 8
; Occupancy: 16
; WaveLimiterHint : 0
; COMPUTE_PGM_RSRC2:SCRATCH_EN: 0
; COMPUTE_PGM_RSRC2:USER_SGPR: 6
; COMPUTE_PGM_RSRC2:TRAP_HANDLER: 0
; COMPUTE_PGM_RSRC2:TGID_X_EN: 1
; COMPUTE_PGM_RSRC2:TGID_Y_EN: 0
; COMPUTE_PGM_RSRC2:TGID_Z_EN: 0
; COMPUTE_PGM_RSRC2:TIDIG_COMP_CNT: 0
	.section	.text._ZN7rocprim17ROCPRIM_400000_NS6detail17trampoline_kernelINS0_13select_configILj256ELj13ELNS0_17block_load_methodE3ELS4_3ELS4_3ELNS0_20block_scan_algorithmE0ELj4294967295EEENS1_25partition_config_selectorILNS1_17partition_subalgoE4EjNS0_10empty_typeEbEEZZNS1_14partition_implILS8_4ELb0ES6_15HIP_vector_typeIjLj2EENS0_17counting_iteratorIjlEEPS9_SG_NS0_5tupleIJPjSI_NS0_16reverse_iteratorISI_EEEEENSH_IJSG_SG_SG_EEES9_SI_JZNS1_25segmented_radix_sort_implINS0_14default_configELb1EPKhPhPKlPlN2at6native12_GLOBAL__N_18offset_tEEE10hipError_tPvRmT1_PNSt15iterator_traitsIS12_E10value_typeET2_T3_PNS13_IS18_E10value_typeET4_jRbjT5_S1E_jjP12ihipStream_tbEUljE_ZNSN_ISO_Lb1ESQ_SR_ST_SU_SY_EESZ_S10_S11_S12_S16_S17_S18_S1B_S1C_jS1D_jS1E_S1E_jjS1G_bEUljE0_EEESZ_S10_S11_S18_S1C_S1E_T6_T7_T9_mT8_S1G_bDpT10_ENKUlT_T0_E_clISt17integral_constantIbLb0EES1T_IbLb1EEEEDaS1P_S1Q_EUlS1P_E_NS1_11comp_targetILNS1_3genE0ELNS1_11target_archE4294967295ELNS1_3gpuE0ELNS1_3repE0EEENS1_30default_config_static_selectorELNS0_4arch9wavefront6targetE0EEEvS12_,"axG",@progbits,_ZN7rocprim17ROCPRIM_400000_NS6detail17trampoline_kernelINS0_13select_configILj256ELj13ELNS0_17block_load_methodE3ELS4_3ELS4_3ELNS0_20block_scan_algorithmE0ELj4294967295EEENS1_25partition_config_selectorILNS1_17partition_subalgoE4EjNS0_10empty_typeEbEEZZNS1_14partition_implILS8_4ELb0ES6_15HIP_vector_typeIjLj2EENS0_17counting_iteratorIjlEEPS9_SG_NS0_5tupleIJPjSI_NS0_16reverse_iteratorISI_EEEEENSH_IJSG_SG_SG_EEES9_SI_JZNS1_25segmented_radix_sort_implINS0_14default_configELb1EPKhPhPKlPlN2at6native12_GLOBAL__N_18offset_tEEE10hipError_tPvRmT1_PNSt15iterator_traitsIS12_E10value_typeET2_T3_PNS13_IS18_E10value_typeET4_jRbjT5_S1E_jjP12ihipStream_tbEUljE_ZNSN_ISO_Lb1ESQ_SR_ST_SU_SY_EESZ_S10_S11_S12_S16_S17_S18_S1B_S1C_jS1D_jS1E_S1E_jjS1G_bEUljE0_EEESZ_S10_S11_S18_S1C_S1E_T6_T7_T9_mT8_S1G_bDpT10_ENKUlT_T0_E_clISt17integral_constantIbLb0EES1T_IbLb1EEEEDaS1P_S1Q_EUlS1P_E_NS1_11comp_targetILNS1_3genE0ELNS1_11target_archE4294967295ELNS1_3gpuE0ELNS1_3repE0EEENS1_30default_config_static_selectorELNS0_4arch9wavefront6targetE0EEEvS12_,comdat
	.globl	_ZN7rocprim17ROCPRIM_400000_NS6detail17trampoline_kernelINS0_13select_configILj256ELj13ELNS0_17block_load_methodE3ELS4_3ELS4_3ELNS0_20block_scan_algorithmE0ELj4294967295EEENS1_25partition_config_selectorILNS1_17partition_subalgoE4EjNS0_10empty_typeEbEEZZNS1_14partition_implILS8_4ELb0ES6_15HIP_vector_typeIjLj2EENS0_17counting_iteratorIjlEEPS9_SG_NS0_5tupleIJPjSI_NS0_16reverse_iteratorISI_EEEEENSH_IJSG_SG_SG_EEES9_SI_JZNS1_25segmented_radix_sort_implINS0_14default_configELb1EPKhPhPKlPlN2at6native12_GLOBAL__N_18offset_tEEE10hipError_tPvRmT1_PNSt15iterator_traitsIS12_E10value_typeET2_T3_PNS13_IS18_E10value_typeET4_jRbjT5_S1E_jjP12ihipStream_tbEUljE_ZNSN_ISO_Lb1ESQ_SR_ST_SU_SY_EESZ_S10_S11_S12_S16_S17_S18_S1B_S1C_jS1D_jS1E_S1E_jjS1G_bEUljE0_EEESZ_S10_S11_S18_S1C_S1E_T6_T7_T9_mT8_S1G_bDpT10_ENKUlT_T0_E_clISt17integral_constantIbLb0EES1T_IbLb1EEEEDaS1P_S1Q_EUlS1P_E_NS1_11comp_targetILNS1_3genE0ELNS1_11target_archE4294967295ELNS1_3gpuE0ELNS1_3repE0EEENS1_30default_config_static_selectorELNS0_4arch9wavefront6targetE0EEEvS12_ ; -- Begin function _ZN7rocprim17ROCPRIM_400000_NS6detail17trampoline_kernelINS0_13select_configILj256ELj13ELNS0_17block_load_methodE3ELS4_3ELS4_3ELNS0_20block_scan_algorithmE0ELj4294967295EEENS1_25partition_config_selectorILNS1_17partition_subalgoE4EjNS0_10empty_typeEbEEZZNS1_14partition_implILS8_4ELb0ES6_15HIP_vector_typeIjLj2EENS0_17counting_iteratorIjlEEPS9_SG_NS0_5tupleIJPjSI_NS0_16reverse_iteratorISI_EEEEENSH_IJSG_SG_SG_EEES9_SI_JZNS1_25segmented_radix_sort_implINS0_14default_configELb1EPKhPhPKlPlN2at6native12_GLOBAL__N_18offset_tEEE10hipError_tPvRmT1_PNSt15iterator_traitsIS12_E10value_typeET2_T3_PNS13_IS18_E10value_typeET4_jRbjT5_S1E_jjP12ihipStream_tbEUljE_ZNSN_ISO_Lb1ESQ_SR_ST_SU_SY_EESZ_S10_S11_S12_S16_S17_S18_S1B_S1C_jS1D_jS1E_S1E_jjS1G_bEUljE0_EEESZ_S10_S11_S18_S1C_S1E_T6_T7_T9_mT8_S1G_bDpT10_ENKUlT_T0_E_clISt17integral_constantIbLb0EES1T_IbLb1EEEEDaS1P_S1Q_EUlS1P_E_NS1_11comp_targetILNS1_3genE0ELNS1_11target_archE4294967295ELNS1_3gpuE0ELNS1_3repE0EEENS1_30default_config_static_selectorELNS0_4arch9wavefront6targetE0EEEvS12_
	.p2align	8
	.type	_ZN7rocprim17ROCPRIM_400000_NS6detail17trampoline_kernelINS0_13select_configILj256ELj13ELNS0_17block_load_methodE3ELS4_3ELS4_3ELNS0_20block_scan_algorithmE0ELj4294967295EEENS1_25partition_config_selectorILNS1_17partition_subalgoE4EjNS0_10empty_typeEbEEZZNS1_14partition_implILS8_4ELb0ES6_15HIP_vector_typeIjLj2EENS0_17counting_iteratorIjlEEPS9_SG_NS0_5tupleIJPjSI_NS0_16reverse_iteratorISI_EEEEENSH_IJSG_SG_SG_EEES9_SI_JZNS1_25segmented_radix_sort_implINS0_14default_configELb1EPKhPhPKlPlN2at6native12_GLOBAL__N_18offset_tEEE10hipError_tPvRmT1_PNSt15iterator_traitsIS12_E10value_typeET2_T3_PNS13_IS18_E10value_typeET4_jRbjT5_S1E_jjP12ihipStream_tbEUljE_ZNSN_ISO_Lb1ESQ_SR_ST_SU_SY_EESZ_S10_S11_S12_S16_S17_S18_S1B_S1C_jS1D_jS1E_S1E_jjS1G_bEUljE0_EEESZ_S10_S11_S18_S1C_S1E_T6_T7_T9_mT8_S1G_bDpT10_ENKUlT_T0_E_clISt17integral_constantIbLb0EES1T_IbLb1EEEEDaS1P_S1Q_EUlS1P_E_NS1_11comp_targetILNS1_3genE0ELNS1_11target_archE4294967295ELNS1_3gpuE0ELNS1_3repE0EEENS1_30default_config_static_selectorELNS0_4arch9wavefront6targetE0EEEvS12_,@function
_ZN7rocprim17ROCPRIM_400000_NS6detail17trampoline_kernelINS0_13select_configILj256ELj13ELNS0_17block_load_methodE3ELS4_3ELS4_3ELNS0_20block_scan_algorithmE0ELj4294967295EEENS1_25partition_config_selectorILNS1_17partition_subalgoE4EjNS0_10empty_typeEbEEZZNS1_14partition_implILS8_4ELb0ES6_15HIP_vector_typeIjLj2EENS0_17counting_iteratorIjlEEPS9_SG_NS0_5tupleIJPjSI_NS0_16reverse_iteratorISI_EEEEENSH_IJSG_SG_SG_EEES9_SI_JZNS1_25segmented_radix_sort_implINS0_14default_configELb1EPKhPhPKlPlN2at6native12_GLOBAL__N_18offset_tEEE10hipError_tPvRmT1_PNSt15iterator_traitsIS12_E10value_typeET2_T3_PNS13_IS18_E10value_typeET4_jRbjT5_S1E_jjP12ihipStream_tbEUljE_ZNSN_ISO_Lb1ESQ_SR_ST_SU_SY_EESZ_S10_S11_S12_S16_S17_S18_S1B_S1C_jS1D_jS1E_S1E_jjS1G_bEUljE0_EEESZ_S10_S11_S18_S1C_S1E_T6_T7_T9_mT8_S1G_bDpT10_ENKUlT_T0_E_clISt17integral_constantIbLb0EES1T_IbLb1EEEEDaS1P_S1Q_EUlS1P_E_NS1_11comp_targetILNS1_3genE0ELNS1_11target_archE4294967295ELNS1_3gpuE0ELNS1_3repE0EEENS1_30default_config_static_selectorELNS0_4arch9wavefront6targetE0EEEvS12_: ; @_ZN7rocprim17ROCPRIM_400000_NS6detail17trampoline_kernelINS0_13select_configILj256ELj13ELNS0_17block_load_methodE3ELS4_3ELS4_3ELNS0_20block_scan_algorithmE0ELj4294967295EEENS1_25partition_config_selectorILNS1_17partition_subalgoE4EjNS0_10empty_typeEbEEZZNS1_14partition_implILS8_4ELb0ES6_15HIP_vector_typeIjLj2EENS0_17counting_iteratorIjlEEPS9_SG_NS0_5tupleIJPjSI_NS0_16reverse_iteratorISI_EEEEENSH_IJSG_SG_SG_EEES9_SI_JZNS1_25segmented_radix_sort_implINS0_14default_configELb1EPKhPhPKlPlN2at6native12_GLOBAL__N_18offset_tEEE10hipError_tPvRmT1_PNSt15iterator_traitsIS12_E10value_typeET2_T3_PNS13_IS18_E10value_typeET4_jRbjT5_S1E_jjP12ihipStream_tbEUljE_ZNSN_ISO_Lb1ESQ_SR_ST_SU_SY_EESZ_S10_S11_S12_S16_S17_S18_S1B_S1C_jS1D_jS1E_S1E_jjS1G_bEUljE0_EEESZ_S10_S11_S18_S1C_S1E_T6_T7_T9_mT8_S1G_bDpT10_ENKUlT_T0_E_clISt17integral_constantIbLb0EES1T_IbLb1EEEEDaS1P_S1Q_EUlS1P_E_NS1_11comp_targetILNS1_3genE0ELNS1_11target_archE4294967295ELNS1_3gpuE0ELNS1_3repE0EEENS1_30default_config_static_selectorELNS0_4arch9wavefront6targetE0EEEvS12_
; %bb.0:
	.section	.rodata,"a",@progbits
	.p2align	6, 0x0
	.amdhsa_kernel _ZN7rocprim17ROCPRIM_400000_NS6detail17trampoline_kernelINS0_13select_configILj256ELj13ELNS0_17block_load_methodE3ELS4_3ELS4_3ELNS0_20block_scan_algorithmE0ELj4294967295EEENS1_25partition_config_selectorILNS1_17partition_subalgoE4EjNS0_10empty_typeEbEEZZNS1_14partition_implILS8_4ELb0ES6_15HIP_vector_typeIjLj2EENS0_17counting_iteratorIjlEEPS9_SG_NS0_5tupleIJPjSI_NS0_16reverse_iteratorISI_EEEEENSH_IJSG_SG_SG_EEES9_SI_JZNS1_25segmented_radix_sort_implINS0_14default_configELb1EPKhPhPKlPlN2at6native12_GLOBAL__N_18offset_tEEE10hipError_tPvRmT1_PNSt15iterator_traitsIS12_E10value_typeET2_T3_PNS13_IS18_E10value_typeET4_jRbjT5_S1E_jjP12ihipStream_tbEUljE_ZNSN_ISO_Lb1ESQ_SR_ST_SU_SY_EESZ_S10_S11_S12_S16_S17_S18_S1B_S1C_jS1D_jS1E_S1E_jjS1G_bEUljE0_EEESZ_S10_S11_S18_S1C_S1E_T6_T7_T9_mT8_S1G_bDpT10_ENKUlT_T0_E_clISt17integral_constantIbLb0EES1T_IbLb1EEEEDaS1P_S1Q_EUlS1P_E_NS1_11comp_targetILNS1_3genE0ELNS1_11target_archE4294967295ELNS1_3gpuE0ELNS1_3repE0EEENS1_30default_config_static_selectorELNS0_4arch9wavefront6targetE0EEEvS12_
		.amdhsa_group_segment_fixed_size 0
		.amdhsa_private_segment_fixed_size 0
		.amdhsa_kernarg_size 184
		.amdhsa_user_sgpr_count 6
		.amdhsa_user_sgpr_private_segment_buffer 1
		.amdhsa_user_sgpr_dispatch_ptr 0
		.amdhsa_user_sgpr_queue_ptr 0
		.amdhsa_user_sgpr_kernarg_segment_ptr 1
		.amdhsa_user_sgpr_dispatch_id 0
		.amdhsa_user_sgpr_flat_scratch_init 0
		.amdhsa_user_sgpr_private_segment_size 0
		.amdhsa_wavefront_size32 1
		.amdhsa_uses_dynamic_stack 0
		.amdhsa_system_sgpr_private_segment_wavefront_offset 0
		.amdhsa_system_sgpr_workgroup_id_x 1
		.amdhsa_system_sgpr_workgroup_id_y 0
		.amdhsa_system_sgpr_workgroup_id_z 0
		.amdhsa_system_sgpr_workgroup_info 0
		.amdhsa_system_vgpr_workitem_id 0
		.amdhsa_next_free_vgpr 1
		.amdhsa_next_free_sgpr 1
		.amdhsa_reserve_vcc 0
		.amdhsa_reserve_flat_scratch 0
		.amdhsa_float_round_mode_32 0
		.amdhsa_float_round_mode_16_64 0
		.amdhsa_float_denorm_mode_32 3
		.amdhsa_float_denorm_mode_16_64 3
		.amdhsa_dx10_clamp 1
		.amdhsa_ieee_mode 1
		.amdhsa_fp16_overflow 0
		.amdhsa_workgroup_processor_mode 1
		.amdhsa_memory_ordered 1
		.amdhsa_forward_progress 1
		.amdhsa_shared_vgpr_count 0
		.amdhsa_exception_fp_ieee_invalid_op 0
		.amdhsa_exception_fp_denorm_src 0
		.amdhsa_exception_fp_ieee_div_zero 0
		.amdhsa_exception_fp_ieee_overflow 0
		.amdhsa_exception_fp_ieee_underflow 0
		.amdhsa_exception_fp_ieee_inexact 0
		.amdhsa_exception_int_div_zero 0
	.end_amdhsa_kernel
	.section	.text._ZN7rocprim17ROCPRIM_400000_NS6detail17trampoline_kernelINS0_13select_configILj256ELj13ELNS0_17block_load_methodE3ELS4_3ELS4_3ELNS0_20block_scan_algorithmE0ELj4294967295EEENS1_25partition_config_selectorILNS1_17partition_subalgoE4EjNS0_10empty_typeEbEEZZNS1_14partition_implILS8_4ELb0ES6_15HIP_vector_typeIjLj2EENS0_17counting_iteratorIjlEEPS9_SG_NS0_5tupleIJPjSI_NS0_16reverse_iteratorISI_EEEEENSH_IJSG_SG_SG_EEES9_SI_JZNS1_25segmented_radix_sort_implINS0_14default_configELb1EPKhPhPKlPlN2at6native12_GLOBAL__N_18offset_tEEE10hipError_tPvRmT1_PNSt15iterator_traitsIS12_E10value_typeET2_T3_PNS13_IS18_E10value_typeET4_jRbjT5_S1E_jjP12ihipStream_tbEUljE_ZNSN_ISO_Lb1ESQ_SR_ST_SU_SY_EESZ_S10_S11_S12_S16_S17_S18_S1B_S1C_jS1D_jS1E_S1E_jjS1G_bEUljE0_EEESZ_S10_S11_S18_S1C_S1E_T6_T7_T9_mT8_S1G_bDpT10_ENKUlT_T0_E_clISt17integral_constantIbLb0EES1T_IbLb1EEEEDaS1P_S1Q_EUlS1P_E_NS1_11comp_targetILNS1_3genE0ELNS1_11target_archE4294967295ELNS1_3gpuE0ELNS1_3repE0EEENS1_30default_config_static_selectorELNS0_4arch9wavefront6targetE0EEEvS12_,"axG",@progbits,_ZN7rocprim17ROCPRIM_400000_NS6detail17trampoline_kernelINS0_13select_configILj256ELj13ELNS0_17block_load_methodE3ELS4_3ELS4_3ELNS0_20block_scan_algorithmE0ELj4294967295EEENS1_25partition_config_selectorILNS1_17partition_subalgoE4EjNS0_10empty_typeEbEEZZNS1_14partition_implILS8_4ELb0ES6_15HIP_vector_typeIjLj2EENS0_17counting_iteratorIjlEEPS9_SG_NS0_5tupleIJPjSI_NS0_16reverse_iteratorISI_EEEEENSH_IJSG_SG_SG_EEES9_SI_JZNS1_25segmented_radix_sort_implINS0_14default_configELb1EPKhPhPKlPlN2at6native12_GLOBAL__N_18offset_tEEE10hipError_tPvRmT1_PNSt15iterator_traitsIS12_E10value_typeET2_T3_PNS13_IS18_E10value_typeET4_jRbjT5_S1E_jjP12ihipStream_tbEUljE_ZNSN_ISO_Lb1ESQ_SR_ST_SU_SY_EESZ_S10_S11_S12_S16_S17_S18_S1B_S1C_jS1D_jS1E_S1E_jjS1G_bEUljE0_EEESZ_S10_S11_S18_S1C_S1E_T6_T7_T9_mT8_S1G_bDpT10_ENKUlT_T0_E_clISt17integral_constantIbLb0EES1T_IbLb1EEEEDaS1P_S1Q_EUlS1P_E_NS1_11comp_targetILNS1_3genE0ELNS1_11target_archE4294967295ELNS1_3gpuE0ELNS1_3repE0EEENS1_30default_config_static_selectorELNS0_4arch9wavefront6targetE0EEEvS12_,comdat
.Lfunc_end39:
	.size	_ZN7rocprim17ROCPRIM_400000_NS6detail17trampoline_kernelINS0_13select_configILj256ELj13ELNS0_17block_load_methodE3ELS4_3ELS4_3ELNS0_20block_scan_algorithmE0ELj4294967295EEENS1_25partition_config_selectorILNS1_17partition_subalgoE4EjNS0_10empty_typeEbEEZZNS1_14partition_implILS8_4ELb0ES6_15HIP_vector_typeIjLj2EENS0_17counting_iteratorIjlEEPS9_SG_NS0_5tupleIJPjSI_NS0_16reverse_iteratorISI_EEEEENSH_IJSG_SG_SG_EEES9_SI_JZNS1_25segmented_radix_sort_implINS0_14default_configELb1EPKhPhPKlPlN2at6native12_GLOBAL__N_18offset_tEEE10hipError_tPvRmT1_PNSt15iterator_traitsIS12_E10value_typeET2_T3_PNS13_IS18_E10value_typeET4_jRbjT5_S1E_jjP12ihipStream_tbEUljE_ZNSN_ISO_Lb1ESQ_SR_ST_SU_SY_EESZ_S10_S11_S12_S16_S17_S18_S1B_S1C_jS1D_jS1E_S1E_jjS1G_bEUljE0_EEESZ_S10_S11_S18_S1C_S1E_T6_T7_T9_mT8_S1G_bDpT10_ENKUlT_T0_E_clISt17integral_constantIbLb0EES1T_IbLb1EEEEDaS1P_S1Q_EUlS1P_E_NS1_11comp_targetILNS1_3genE0ELNS1_11target_archE4294967295ELNS1_3gpuE0ELNS1_3repE0EEENS1_30default_config_static_selectorELNS0_4arch9wavefront6targetE0EEEvS12_, .Lfunc_end39-_ZN7rocprim17ROCPRIM_400000_NS6detail17trampoline_kernelINS0_13select_configILj256ELj13ELNS0_17block_load_methodE3ELS4_3ELS4_3ELNS0_20block_scan_algorithmE0ELj4294967295EEENS1_25partition_config_selectorILNS1_17partition_subalgoE4EjNS0_10empty_typeEbEEZZNS1_14partition_implILS8_4ELb0ES6_15HIP_vector_typeIjLj2EENS0_17counting_iteratorIjlEEPS9_SG_NS0_5tupleIJPjSI_NS0_16reverse_iteratorISI_EEEEENSH_IJSG_SG_SG_EEES9_SI_JZNS1_25segmented_radix_sort_implINS0_14default_configELb1EPKhPhPKlPlN2at6native12_GLOBAL__N_18offset_tEEE10hipError_tPvRmT1_PNSt15iterator_traitsIS12_E10value_typeET2_T3_PNS13_IS18_E10value_typeET4_jRbjT5_S1E_jjP12ihipStream_tbEUljE_ZNSN_ISO_Lb1ESQ_SR_ST_SU_SY_EESZ_S10_S11_S12_S16_S17_S18_S1B_S1C_jS1D_jS1E_S1E_jjS1G_bEUljE0_EEESZ_S10_S11_S18_S1C_S1E_T6_T7_T9_mT8_S1G_bDpT10_ENKUlT_T0_E_clISt17integral_constantIbLb0EES1T_IbLb1EEEEDaS1P_S1Q_EUlS1P_E_NS1_11comp_targetILNS1_3genE0ELNS1_11target_archE4294967295ELNS1_3gpuE0ELNS1_3repE0EEENS1_30default_config_static_selectorELNS0_4arch9wavefront6targetE0EEEvS12_
                                        ; -- End function
	.set _ZN7rocprim17ROCPRIM_400000_NS6detail17trampoline_kernelINS0_13select_configILj256ELj13ELNS0_17block_load_methodE3ELS4_3ELS4_3ELNS0_20block_scan_algorithmE0ELj4294967295EEENS1_25partition_config_selectorILNS1_17partition_subalgoE4EjNS0_10empty_typeEbEEZZNS1_14partition_implILS8_4ELb0ES6_15HIP_vector_typeIjLj2EENS0_17counting_iteratorIjlEEPS9_SG_NS0_5tupleIJPjSI_NS0_16reverse_iteratorISI_EEEEENSH_IJSG_SG_SG_EEES9_SI_JZNS1_25segmented_radix_sort_implINS0_14default_configELb1EPKhPhPKlPlN2at6native12_GLOBAL__N_18offset_tEEE10hipError_tPvRmT1_PNSt15iterator_traitsIS12_E10value_typeET2_T3_PNS13_IS18_E10value_typeET4_jRbjT5_S1E_jjP12ihipStream_tbEUljE_ZNSN_ISO_Lb1ESQ_SR_ST_SU_SY_EESZ_S10_S11_S12_S16_S17_S18_S1B_S1C_jS1D_jS1E_S1E_jjS1G_bEUljE0_EEESZ_S10_S11_S18_S1C_S1E_T6_T7_T9_mT8_S1G_bDpT10_ENKUlT_T0_E_clISt17integral_constantIbLb0EES1T_IbLb1EEEEDaS1P_S1Q_EUlS1P_E_NS1_11comp_targetILNS1_3genE0ELNS1_11target_archE4294967295ELNS1_3gpuE0ELNS1_3repE0EEENS1_30default_config_static_selectorELNS0_4arch9wavefront6targetE0EEEvS12_.num_vgpr, 0
	.set _ZN7rocprim17ROCPRIM_400000_NS6detail17trampoline_kernelINS0_13select_configILj256ELj13ELNS0_17block_load_methodE3ELS4_3ELS4_3ELNS0_20block_scan_algorithmE0ELj4294967295EEENS1_25partition_config_selectorILNS1_17partition_subalgoE4EjNS0_10empty_typeEbEEZZNS1_14partition_implILS8_4ELb0ES6_15HIP_vector_typeIjLj2EENS0_17counting_iteratorIjlEEPS9_SG_NS0_5tupleIJPjSI_NS0_16reverse_iteratorISI_EEEEENSH_IJSG_SG_SG_EEES9_SI_JZNS1_25segmented_radix_sort_implINS0_14default_configELb1EPKhPhPKlPlN2at6native12_GLOBAL__N_18offset_tEEE10hipError_tPvRmT1_PNSt15iterator_traitsIS12_E10value_typeET2_T3_PNS13_IS18_E10value_typeET4_jRbjT5_S1E_jjP12ihipStream_tbEUljE_ZNSN_ISO_Lb1ESQ_SR_ST_SU_SY_EESZ_S10_S11_S12_S16_S17_S18_S1B_S1C_jS1D_jS1E_S1E_jjS1G_bEUljE0_EEESZ_S10_S11_S18_S1C_S1E_T6_T7_T9_mT8_S1G_bDpT10_ENKUlT_T0_E_clISt17integral_constantIbLb0EES1T_IbLb1EEEEDaS1P_S1Q_EUlS1P_E_NS1_11comp_targetILNS1_3genE0ELNS1_11target_archE4294967295ELNS1_3gpuE0ELNS1_3repE0EEENS1_30default_config_static_selectorELNS0_4arch9wavefront6targetE0EEEvS12_.num_agpr, 0
	.set _ZN7rocprim17ROCPRIM_400000_NS6detail17trampoline_kernelINS0_13select_configILj256ELj13ELNS0_17block_load_methodE3ELS4_3ELS4_3ELNS0_20block_scan_algorithmE0ELj4294967295EEENS1_25partition_config_selectorILNS1_17partition_subalgoE4EjNS0_10empty_typeEbEEZZNS1_14partition_implILS8_4ELb0ES6_15HIP_vector_typeIjLj2EENS0_17counting_iteratorIjlEEPS9_SG_NS0_5tupleIJPjSI_NS0_16reverse_iteratorISI_EEEEENSH_IJSG_SG_SG_EEES9_SI_JZNS1_25segmented_radix_sort_implINS0_14default_configELb1EPKhPhPKlPlN2at6native12_GLOBAL__N_18offset_tEEE10hipError_tPvRmT1_PNSt15iterator_traitsIS12_E10value_typeET2_T3_PNS13_IS18_E10value_typeET4_jRbjT5_S1E_jjP12ihipStream_tbEUljE_ZNSN_ISO_Lb1ESQ_SR_ST_SU_SY_EESZ_S10_S11_S12_S16_S17_S18_S1B_S1C_jS1D_jS1E_S1E_jjS1G_bEUljE0_EEESZ_S10_S11_S18_S1C_S1E_T6_T7_T9_mT8_S1G_bDpT10_ENKUlT_T0_E_clISt17integral_constantIbLb0EES1T_IbLb1EEEEDaS1P_S1Q_EUlS1P_E_NS1_11comp_targetILNS1_3genE0ELNS1_11target_archE4294967295ELNS1_3gpuE0ELNS1_3repE0EEENS1_30default_config_static_selectorELNS0_4arch9wavefront6targetE0EEEvS12_.numbered_sgpr, 0
	.set _ZN7rocprim17ROCPRIM_400000_NS6detail17trampoline_kernelINS0_13select_configILj256ELj13ELNS0_17block_load_methodE3ELS4_3ELS4_3ELNS0_20block_scan_algorithmE0ELj4294967295EEENS1_25partition_config_selectorILNS1_17partition_subalgoE4EjNS0_10empty_typeEbEEZZNS1_14partition_implILS8_4ELb0ES6_15HIP_vector_typeIjLj2EENS0_17counting_iteratorIjlEEPS9_SG_NS0_5tupleIJPjSI_NS0_16reverse_iteratorISI_EEEEENSH_IJSG_SG_SG_EEES9_SI_JZNS1_25segmented_radix_sort_implINS0_14default_configELb1EPKhPhPKlPlN2at6native12_GLOBAL__N_18offset_tEEE10hipError_tPvRmT1_PNSt15iterator_traitsIS12_E10value_typeET2_T3_PNS13_IS18_E10value_typeET4_jRbjT5_S1E_jjP12ihipStream_tbEUljE_ZNSN_ISO_Lb1ESQ_SR_ST_SU_SY_EESZ_S10_S11_S12_S16_S17_S18_S1B_S1C_jS1D_jS1E_S1E_jjS1G_bEUljE0_EEESZ_S10_S11_S18_S1C_S1E_T6_T7_T9_mT8_S1G_bDpT10_ENKUlT_T0_E_clISt17integral_constantIbLb0EES1T_IbLb1EEEEDaS1P_S1Q_EUlS1P_E_NS1_11comp_targetILNS1_3genE0ELNS1_11target_archE4294967295ELNS1_3gpuE0ELNS1_3repE0EEENS1_30default_config_static_selectorELNS0_4arch9wavefront6targetE0EEEvS12_.num_named_barrier, 0
	.set _ZN7rocprim17ROCPRIM_400000_NS6detail17trampoline_kernelINS0_13select_configILj256ELj13ELNS0_17block_load_methodE3ELS4_3ELS4_3ELNS0_20block_scan_algorithmE0ELj4294967295EEENS1_25partition_config_selectorILNS1_17partition_subalgoE4EjNS0_10empty_typeEbEEZZNS1_14partition_implILS8_4ELb0ES6_15HIP_vector_typeIjLj2EENS0_17counting_iteratorIjlEEPS9_SG_NS0_5tupleIJPjSI_NS0_16reverse_iteratorISI_EEEEENSH_IJSG_SG_SG_EEES9_SI_JZNS1_25segmented_radix_sort_implINS0_14default_configELb1EPKhPhPKlPlN2at6native12_GLOBAL__N_18offset_tEEE10hipError_tPvRmT1_PNSt15iterator_traitsIS12_E10value_typeET2_T3_PNS13_IS18_E10value_typeET4_jRbjT5_S1E_jjP12ihipStream_tbEUljE_ZNSN_ISO_Lb1ESQ_SR_ST_SU_SY_EESZ_S10_S11_S12_S16_S17_S18_S1B_S1C_jS1D_jS1E_S1E_jjS1G_bEUljE0_EEESZ_S10_S11_S18_S1C_S1E_T6_T7_T9_mT8_S1G_bDpT10_ENKUlT_T0_E_clISt17integral_constantIbLb0EES1T_IbLb1EEEEDaS1P_S1Q_EUlS1P_E_NS1_11comp_targetILNS1_3genE0ELNS1_11target_archE4294967295ELNS1_3gpuE0ELNS1_3repE0EEENS1_30default_config_static_selectorELNS0_4arch9wavefront6targetE0EEEvS12_.private_seg_size, 0
	.set _ZN7rocprim17ROCPRIM_400000_NS6detail17trampoline_kernelINS0_13select_configILj256ELj13ELNS0_17block_load_methodE3ELS4_3ELS4_3ELNS0_20block_scan_algorithmE0ELj4294967295EEENS1_25partition_config_selectorILNS1_17partition_subalgoE4EjNS0_10empty_typeEbEEZZNS1_14partition_implILS8_4ELb0ES6_15HIP_vector_typeIjLj2EENS0_17counting_iteratorIjlEEPS9_SG_NS0_5tupleIJPjSI_NS0_16reverse_iteratorISI_EEEEENSH_IJSG_SG_SG_EEES9_SI_JZNS1_25segmented_radix_sort_implINS0_14default_configELb1EPKhPhPKlPlN2at6native12_GLOBAL__N_18offset_tEEE10hipError_tPvRmT1_PNSt15iterator_traitsIS12_E10value_typeET2_T3_PNS13_IS18_E10value_typeET4_jRbjT5_S1E_jjP12ihipStream_tbEUljE_ZNSN_ISO_Lb1ESQ_SR_ST_SU_SY_EESZ_S10_S11_S12_S16_S17_S18_S1B_S1C_jS1D_jS1E_S1E_jjS1G_bEUljE0_EEESZ_S10_S11_S18_S1C_S1E_T6_T7_T9_mT8_S1G_bDpT10_ENKUlT_T0_E_clISt17integral_constantIbLb0EES1T_IbLb1EEEEDaS1P_S1Q_EUlS1P_E_NS1_11comp_targetILNS1_3genE0ELNS1_11target_archE4294967295ELNS1_3gpuE0ELNS1_3repE0EEENS1_30default_config_static_selectorELNS0_4arch9wavefront6targetE0EEEvS12_.uses_vcc, 0
	.set _ZN7rocprim17ROCPRIM_400000_NS6detail17trampoline_kernelINS0_13select_configILj256ELj13ELNS0_17block_load_methodE3ELS4_3ELS4_3ELNS0_20block_scan_algorithmE0ELj4294967295EEENS1_25partition_config_selectorILNS1_17partition_subalgoE4EjNS0_10empty_typeEbEEZZNS1_14partition_implILS8_4ELb0ES6_15HIP_vector_typeIjLj2EENS0_17counting_iteratorIjlEEPS9_SG_NS0_5tupleIJPjSI_NS0_16reverse_iteratorISI_EEEEENSH_IJSG_SG_SG_EEES9_SI_JZNS1_25segmented_radix_sort_implINS0_14default_configELb1EPKhPhPKlPlN2at6native12_GLOBAL__N_18offset_tEEE10hipError_tPvRmT1_PNSt15iterator_traitsIS12_E10value_typeET2_T3_PNS13_IS18_E10value_typeET4_jRbjT5_S1E_jjP12ihipStream_tbEUljE_ZNSN_ISO_Lb1ESQ_SR_ST_SU_SY_EESZ_S10_S11_S12_S16_S17_S18_S1B_S1C_jS1D_jS1E_S1E_jjS1G_bEUljE0_EEESZ_S10_S11_S18_S1C_S1E_T6_T7_T9_mT8_S1G_bDpT10_ENKUlT_T0_E_clISt17integral_constantIbLb0EES1T_IbLb1EEEEDaS1P_S1Q_EUlS1P_E_NS1_11comp_targetILNS1_3genE0ELNS1_11target_archE4294967295ELNS1_3gpuE0ELNS1_3repE0EEENS1_30default_config_static_selectorELNS0_4arch9wavefront6targetE0EEEvS12_.uses_flat_scratch, 0
	.set _ZN7rocprim17ROCPRIM_400000_NS6detail17trampoline_kernelINS0_13select_configILj256ELj13ELNS0_17block_load_methodE3ELS4_3ELS4_3ELNS0_20block_scan_algorithmE0ELj4294967295EEENS1_25partition_config_selectorILNS1_17partition_subalgoE4EjNS0_10empty_typeEbEEZZNS1_14partition_implILS8_4ELb0ES6_15HIP_vector_typeIjLj2EENS0_17counting_iteratorIjlEEPS9_SG_NS0_5tupleIJPjSI_NS0_16reverse_iteratorISI_EEEEENSH_IJSG_SG_SG_EEES9_SI_JZNS1_25segmented_radix_sort_implINS0_14default_configELb1EPKhPhPKlPlN2at6native12_GLOBAL__N_18offset_tEEE10hipError_tPvRmT1_PNSt15iterator_traitsIS12_E10value_typeET2_T3_PNS13_IS18_E10value_typeET4_jRbjT5_S1E_jjP12ihipStream_tbEUljE_ZNSN_ISO_Lb1ESQ_SR_ST_SU_SY_EESZ_S10_S11_S12_S16_S17_S18_S1B_S1C_jS1D_jS1E_S1E_jjS1G_bEUljE0_EEESZ_S10_S11_S18_S1C_S1E_T6_T7_T9_mT8_S1G_bDpT10_ENKUlT_T0_E_clISt17integral_constantIbLb0EES1T_IbLb1EEEEDaS1P_S1Q_EUlS1P_E_NS1_11comp_targetILNS1_3genE0ELNS1_11target_archE4294967295ELNS1_3gpuE0ELNS1_3repE0EEENS1_30default_config_static_selectorELNS0_4arch9wavefront6targetE0EEEvS12_.has_dyn_sized_stack, 0
	.set _ZN7rocprim17ROCPRIM_400000_NS6detail17trampoline_kernelINS0_13select_configILj256ELj13ELNS0_17block_load_methodE3ELS4_3ELS4_3ELNS0_20block_scan_algorithmE0ELj4294967295EEENS1_25partition_config_selectorILNS1_17partition_subalgoE4EjNS0_10empty_typeEbEEZZNS1_14partition_implILS8_4ELb0ES6_15HIP_vector_typeIjLj2EENS0_17counting_iteratorIjlEEPS9_SG_NS0_5tupleIJPjSI_NS0_16reverse_iteratorISI_EEEEENSH_IJSG_SG_SG_EEES9_SI_JZNS1_25segmented_radix_sort_implINS0_14default_configELb1EPKhPhPKlPlN2at6native12_GLOBAL__N_18offset_tEEE10hipError_tPvRmT1_PNSt15iterator_traitsIS12_E10value_typeET2_T3_PNS13_IS18_E10value_typeET4_jRbjT5_S1E_jjP12ihipStream_tbEUljE_ZNSN_ISO_Lb1ESQ_SR_ST_SU_SY_EESZ_S10_S11_S12_S16_S17_S18_S1B_S1C_jS1D_jS1E_S1E_jjS1G_bEUljE0_EEESZ_S10_S11_S18_S1C_S1E_T6_T7_T9_mT8_S1G_bDpT10_ENKUlT_T0_E_clISt17integral_constantIbLb0EES1T_IbLb1EEEEDaS1P_S1Q_EUlS1P_E_NS1_11comp_targetILNS1_3genE0ELNS1_11target_archE4294967295ELNS1_3gpuE0ELNS1_3repE0EEENS1_30default_config_static_selectorELNS0_4arch9wavefront6targetE0EEEvS12_.has_recursion, 0
	.set _ZN7rocprim17ROCPRIM_400000_NS6detail17trampoline_kernelINS0_13select_configILj256ELj13ELNS0_17block_load_methodE3ELS4_3ELS4_3ELNS0_20block_scan_algorithmE0ELj4294967295EEENS1_25partition_config_selectorILNS1_17partition_subalgoE4EjNS0_10empty_typeEbEEZZNS1_14partition_implILS8_4ELb0ES6_15HIP_vector_typeIjLj2EENS0_17counting_iteratorIjlEEPS9_SG_NS0_5tupleIJPjSI_NS0_16reverse_iteratorISI_EEEEENSH_IJSG_SG_SG_EEES9_SI_JZNS1_25segmented_radix_sort_implINS0_14default_configELb1EPKhPhPKlPlN2at6native12_GLOBAL__N_18offset_tEEE10hipError_tPvRmT1_PNSt15iterator_traitsIS12_E10value_typeET2_T3_PNS13_IS18_E10value_typeET4_jRbjT5_S1E_jjP12ihipStream_tbEUljE_ZNSN_ISO_Lb1ESQ_SR_ST_SU_SY_EESZ_S10_S11_S12_S16_S17_S18_S1B_S1C_jS1D_jS1E_S1E_jjS1G_bEUljE0_EEESZ_S10_S11_S18_S1C_S1E_T6_T7_T9_mT8_S1G_bDpT10_ENKUlT_T0_E_clISt17integral_constantIbLb0EES1T_IbLb1EEEEDaS1P_S1Q_EUlS1P_E_NS1_11comp_targetILNS1_3genE0ELNS1_11target_archE4294967295ELNS1_3gpuE0ELNS1_3repE0EEENS1_30default_config_static_selectorELNS0_4arch9wavefront6targetE0EEEvS12_.has_indirect_call, 0
	.section	.AMDGPU.csdata,"",@progbits
; Kernel info:
; codeLenInByte = 0
; TotalNumSgprs: 0
; NumVgprs: 0
; ScratchSize: 0
; MemoryBound: 0
; FloatMode: 240
; IeeeMode: 1
; LDSByteSize: 0 bytes/workgroup (compile time only)
; SGPRBlocks: 0
; VGPRBlocks: 0
; NumSGPRsForWavesPerEU: 1
; NumVGPRsForWavesPerEU: 1
; Occupancy: 16
; WaveLimiterHint : 0
; COMPUTE_PGM_RSRC2:SCRATCH_EN: 0
; COMPUTE_PGM_RSRC2:USER_SGPR: 6
; COMPUTE_PGM_RSRC2:TRAP_HANDLER: 0
; COMPUTE_PGM_RSRC2:TGID_X_EN: 1
; COMPUTE_PGM_RSRC2:TGID_Y_EN: 0
; COMPUTE_PGM_RSRC2:TGID_Z_EN: 0
; COMPUTE_PGM_RSRC2:TIDIG_COMP_CNT: 0
	.section	.text._ZN7rocprim17ROCPRIM_400000_NS6detail17trampoline_kernelINS0_13select_configILj256ELj13ELNS0_17block_load_methodE3ELS4_3ELS4_3ELNS0_20block_scan_algorithmE0ELj4294967295EEENS1_25partition_config_selectorILNS1_17partition_subalgoE4EjNS0_10empty_typeEbEEZZNS1_14partition_implILS8_4ELb0ES6_15HIP_vector_typeIjLj2EENS0_17counting_iteratorIjlEEPS9_SG_NS0_5tupleIJPjSI_NS0_16reverse_iteratorISI_EEEEENSH_IJSG_SG_SG_EEES9_SI_JZNS1_25segmented_radix_sort_implINS0_14default_configELb1EPKhPhPKlPlN2at6native12_GLOBAL__N_18offset_tEEE10hipError_tPvRmT1_PNSt15iterator_traitsIS12_E10value_typeET2_T3_PNS13_IS18_E10value_typeET4_jRbjT5_S1E_jjP12ihipStream_tbEUljE_ZNSN_ISO_Lb1ESQ_SR_ST_SU_SY_EESZ_S10_S11_S12_S16_S17_S18_S1B_S1C_jS1D_jS1E_S1E_jjS1G_bEUljE0_EEESZ_S10_S11_S18_S1C_S1E_T6_T7_T9_mT8_S1G_bDpT10_ENKUlT_T0_E_clISt17integral_constantIbLb0EES1T_IbLb1EEEEDaS1P_S1Q_EUlS1P_E_NS1_11comp_targetILNS1_3genE5ELNS1_11target_archE942ELNS1_3gpuE9ELNS1_3repE0EEENS1_30default_config_static_selectorELNS0_4arch9wavefront6targetE0EEEvS12_,"axG",@progbits,_ZN7rocprim17ROCPRIM_400000_NS6detail17trampoline_kernelINS0_13select_configILj256ELj13ELNS0_17block_load_methodE3ELS4_3ELS4_3ELNS0_20block_scan_algorithmE0ELj4294967295EEENS1_25partition_config_selectorILNS1_17partition_subalgoE4EjNS0_10empty_typeEbEEZZNS1_14partition_implILS8_4ELb0ES6_15HIP_vector_typeIjLj2EENS0_17counting_iteratorIjlEEPS9_SG_NS0_5tupleIJPjSI_NS0_16reverse_iteratorISI_EEEEENSH_IJSG_SG_SG_EEES9_SI_JZNS1_25segmented_radix_sort_implINS0_14default_configELb1EPKhPhPKlPlN2at6native12_GLOBAL__N_18offset_tEEE10hipError_tPvRmT1_PNSt15iterator_traitsIS12_E10value_typeET2_T3_PNS13_IS18_E10value_typeET4_jRbjT5_S1E_jjP12ihipStream_tbEUljE_ZNSN_ISO_Lb1ESQ_SR_ST_SU_SY_EESZ_S10_S11_S12_S16_S17_S18_S1B_S1C_jS1D_jS1E_S1E_jjS1G_bEUljE0_EEESZ_S10_S11_S18_S1C_S1E_T6_T7_T9_mT8_S1G_bDpT10_ENKUlT_T0_E_clISt17integral_constantIbLb0EES1T_IbLb1EEEEDaS1P_S1Q_EUlS1P_E_NS1_11comp_targetILNS1_3genE5ELNS1_11target_archE942ELNS1_3gpuE9ELNS1_3repE0EEENS1_30default_config_static_selectorELNS0_4arch9wavefront6targetE0EEEvS12_,comdat
	.globl	_ZN7rocprim17ROCPRIM_400000_NS6detail17trampoline_kernelINS0_13select_configILj256ELj13ELNS0_17block_load_methodE3ELS4_3ELS4_3ELNS0_20block_scan_algorithmE0ELj4294967295EEENS1_25partition_config_selectorILNS1_17partition_subalgoE4EjNS0_10empty_typeEbEEZZNS1_14partition_implILS8_4ELb0ES6_15HIP_vector_typeIjLj2EENS0_17counting_iteratorIjlEEPS9_SG_NS0_5tupleIJPjSI_NS0_16reverse_iteratorISI_EEEEENSH_IJSG_SG_SG_EEES9_SI_JZNS1_25segmented_radix_sort_implINS0_14default_configELb1EPKhPhPKlPlN2at6native12_GLOBAL__N_18offset_tEEE10hipError_tPvRmT1_PNSt15iterator_traitsIS12_E10value_typeET2_T3_PNS13_IS18_E10value_typeET4_jRbjT5_S1E_jjP12ihipStream_tbEUljE_ZNSN_ISO_Lb1ESQ_SR_ST_SU_SY_EESZ_S10_S11_S12_S16_S17_S18_S1B_S1C_jS1D_jS1E_S1E_jjS1G_bEUljE0_EEESZ_S10_S11_S18_S1C_S1E_T6_T7_T9_mT8_S1G_bDpT10_ENKUlT_T0_E_clISt17integral_constantIbLb0EES1T_IbLb1EEEEDaS1P_S1Q_EUlS1P_E_NS1_11comp_targetILNS1_3genE5ELNS1_11target_archE942ELNS1_3gpuE9ELNS1_3repE0EEENS1_30default_config_static_selectorELNS0_4arch9wavefront6targetE0EEEvS12_ ; -- Begin function _ZN7rocprim17ROCPRIM_400000_NS6detail17trampoline_kernelINS0_13select_configILj256ELj13ELNS0_17block_load_methodE3ELS4_3ELS4_3ELNS0_20block_scan_algorithmE0ELj4294967295EEENS1_25partition_config_selectorILNS1_17partition_subalgoE4EjNS0_10empty_typeEbEEZZNS1_14partition_implILS8_4ELb0ES6_15HIP_vector_typeIjLj2EENS0_17counting_iteratorIjlEEPS9_SG_NS0_5tupleIJPjSI_NS0_16reverse_iteratorISI_EEEEENSH_IJSG_SG_SG_EEES9_SI_JZNS1_25segmented_radix_sort_implINS0_14default_configELb1EPKhPhPKlPlN2at6native12_GLOBAL__N_18offset_tEEE10hipError_tPvRmT1_PNSt15iterator_traitsIS12_E10value_typeET2_T3_PNS13_IS18_E10value_typeET4_jRbjT5_S1E_jjP12ihipStream_tbEUljE_ZNSN_ISO_Lb1ESQ_SR_ST_SU_SY_EESZ_S10_S11_S12_S16_S17_S18_S1B_S1C_jS1D_jS1E_S1E_jjS1G_bEUljE0_EEESZ_S10_S11_S18_S1C_S1E_T6_T7_T9_mT8_S1G_bDpT10_ENKUlT_T0_E_clISt17integral_constantIbLb0EES1T_IbLb1EEEEDaS1P_S1Q_EUlS1P_E_NS1_11comp_targetILNS1_3genE5ELNS1_11target_archE942ELNS1_3gpuE9ELNS1_3repE0EEENS1_30default_config_static_selectorELNS0_4arch9wavefront6targetE0EEEvS12_
	.p2align	8
	.type	_ZN7rocprim17ROCPRIM_400000_NS6detail17trampoline_kernelINS0_13select_configILj256ELj13ELNS0_17block_load_methodE3ELS4_3ELS4_3ELNS0_20block_scan_algorithmE0ELj4294967295EEENS1_25partition_config_selectorILNS1_17partition_subalgoE4EjNS0_10empty_typeEbEEZZNS1_14partition_implILS8_4ELb0ES6_15HIP_vector_typeIjLj2EENS0_17counting_iteratorIjlEEPS9_SG_NS0_5tupleIJPjSI_NS0_16reverse_iteratorISI_EEEEENSH_IJSG_SG_SG_EEES9_SI_JZNS1_25segmented_radix_sort_implINS0_14default_configELb1EPKhPhPKlPlN2at6native12_GLOBAL__N_18offset_tEEE10hipError_tPvRmT1_PNSt15iterator_traitsIS12_E10value_typeET2_T3_PNS13_IS18_E10value_typeET4_jRbjT5_S1E_jjP12ihipStream_tbEUljE_ZNSN_ISO_Lb1ESQ_SR_ST_SU_SY_EESZ_S10_S11_S12_S16_S17_S18_S1B_S1C_jS1D_jS1E_S1E_jjS1G_bEUljE0_EEESZ_S10_S11_S18_S1C_S1E_T6_T7_T9_mT8_S1G_bDpT10_ENKUlT_T0_E_clISt17integral_constantIbLb0EES1T_IbLb1EEEEDaS1P_S1Q_EUlS1P_E_NS1_11comp_targetILNS1_3genE5ELNS1_11target_archE942ELNS1_3gpuE9ELNS1_3repE0EEENS1_30default_config_static_selectorELNS0_4arch9wavefront6targetE0EEEvS12_,@function
_ZN7rocprim17ROCPRIM_400000_NS6detail17trampoline_kernelINS0_13select_configILj256ELj13ELNS0_17block_load_methodE3ELS4_3ELS4_3ELNS0_20block_scan_algorithmE0ELj4294967295EEENS1_25partition_config_selectorILNS1_17partition_subalgoE4EjNS0_10empty_typeEbEEZZNS1_14partition_implILS8_4ELb0ES6_15HIP_vector_typeIjLj2EENS0_17counting_iteratorIjlEEPS9_SG_NS0_5tupleIJPjSI_NS0_16reverse_iteratorISI_EEEEENSH_IJSG_SG_SG_EEES9_SI_JZNS1_25segmented_radix_sort_implINS0_14default_configELb1EPKhPhPKlPlN2at6native12_GLOBAL__N_18offset_tEEE10hipError_tPvRmT1_PNSt15iterator_traitsIS12_E10value_typeET2_T3_PNS13_IS18_E10value_typeET4_jRbjT5_S1E_jjP12ihipStream_tbEUljE_ZNSN_ISO_Lb1ESQ_SR_ST_SU_SY_EESZ_S10_S11_S12_S16_S17_S18_S1B_S1C_jS1D_jS1E_S1E_jjS1G_bEUljE0_EEESZ_S10_S11_S18_S1C_S1E_T6_T7_T9_mT8_S1G_bDpT10_ENKUlT_T0_E_clISt17integral_constantIbLb0EES1T_IbLb1EEEEDaS1P_S1Q_EUlS1P_E_NS1_11comp_targetILNS1_3genE5ELNS1_11target_archE942ELNS1_3gpuE9ELNS1_3repE0EEENS1_30default_config_static_selectorELNS0_4arch9wavefront6targetE0EEEvS12_: ; @_ZN7rocprim17ROCPRIM_400000_NS6detail17trampoline_kernelINS0_13select_configILj256ELj13ELNS0_17block_load_methodE3ELS4_3ELS4_3ELNS0_20block_scan_algorithmE0ELj4294967295EEENS1_25partition_config_selectorILNS1_17partition_subalgoE4EjNS0_10empty_typeEbEEZZNS1_14partition_implILS8_4ELb0ES6_15HIP_vector_typeIjLj2EENS0_17counting_iteratorIjlEEPS9_SG_NS0_5tupleIJPjSI_NS0_16reverse_iteratorISI_EEEEENSH_IJSG_SG_SG_EEES9_SI_JZNS1_25segmented_radix_sort_implINS0_14default_configELb1EPKhPhPKlPlN2at6native12_GLOBAL__N_18offset_tEEE10hipError_tPvRmT1_PNSt15iterator_traitsIS12_E10value_typeET2_T3_PNS13_IS18_E10value_typeET4_jRbjT5_S1E_jjP12ihipStream_tbEUljE_ZNSN_ISO_Lb1ESQ_SR_ST_SU_SY_EESZ_S10_S11_S12_S16_S17_S18_S1B_S1C_jS1D_jS1E_S1E_jjS1G_bEUljE0_EEESZ_S10_S11_S18_S1C_S1E_T6_T7_T9_mT8_S1G_bDpT10_ENKUlT_T0_E_clISt17integral_constantIbLb0EES1T_IbLb1EEEEDaS1P_S1Q_EUlS1P_E_NS1_11comp_targetILNS1_3genE5ELNS1_11target_archE942ELNS1_3gpuE9ELNS1_3repE0EEENS1_30default_config_static_selectorELNS0_4arch9wavefront6targetE0EEEvS12_
; %bb.0:
	.section	.rodata,"a",@progbits
	.p2align	6, 0x0
	.amdhsa_kernel _ZN7rocprim17ROCPRIM_400000_NS6detail17trampoline_kernelINS0_13select_configILj256ELj13ELNS0_17block_load_methodE3ELS4_3ELS4_3ELNS0_20block_scan_algorithmE0ELj4294967295EEENS1_25partition_config_selectorILNS1_17partition_subalgoE4EjNS0_10empty_typeEbEEZZNS1_14partition_implILS8_4ELb0ES6_15HIP_vector_typeIjLj2EENS0_17counting_iteratorIjlEEPS9_SG_NS0_5tupleIJPjSI_NS0_16reverse_iteratorISI_EEEEENSH_IJSG_SG_SG_EEES9_SI_JZNS1_25segmented_radix_sort_implINS0_14default_configELb1EPKhPhPKlPlN2at6native12_GLOBAL__N_18offset_tEEE10hipError_tPvRmT1_PNSt15iterator_traitsIS12_E10value_typeET2_T3_PNS13_IS18_E10value_typeET4_jRbjT5_S1E_jjP12ihipStream_tbEUljE_ZNSN_ISO_Lb1ESQ_SR_ST_SU_SY_EESZ_S10_S11_S12_S16_S17_S18_S1B_S1C_jS1D_jS1E_S1E_jjS1G_bEUljE0_EEESZ_S10_S11_S18_S1C_S1E_T6_T7_T9_mT8_S1G_bDpT10_ENKUlT_T0_E_clISt17integral_constantIbLb0EES1T_IbLb1EEEEDaS1P_S1Q_EUlS1P_E_NS1_11comp_targetILNS1_3genE5ELNS1_11target_archE942ELNS1_3gpuE9ELNS1_3repE0EEENS1_30default_config_static_selectorELNS0_4arch9wavefront6targetE0EEEvS12_
		.amdhsa_group_segment_fixed_size 0
		.amdhsa_private_segment_fixed_size 0
		.amdhsa_kernarg_size 184
		.amdhsa_user_sgpr_count 6
		.amdhsa_user_sgpr_private_segment_buffer 1
		.amdhsa_user_sgpr_dispatch_ptr 0
		.amdhsa_user_sgpr_queue_ptr 0
		.amdhsa_user_sgpr_kernarg_segment_ptr 1
		.amdhsa_user_sgpr_dispatch_id 0
		.amdhsa_user_sgpr_flat_scratch_init 0
		.amdhsa_user_sgpr_private_segment_size 0
		.amdhsa_wavefront_size32 1
		.amdhsa_uses_dynamic_stack 0
		.amdhsa_system_sgpr_private_segment_wavefront_offset 0
		.amdhsa_system_sgpr_workgroup_id_x 1
		.amdhsa_system_sgpr_workgroup_id_y 0
		.amdhsa_system_sgpr_workgroup_id_z 0
		.amdhsa_system_sgpr_workgroup_info 0
		.amdhsa_system_vgpr_workitem_id 0
		.amdhsa_next_free_vgpr 1
		.amdhsa_next_free_sgpr 1
		.amdhsa_reserve_vcc 0
		.amdhsa_reserve_flat_scratch 0
		.amdhsa_float_round_mode_32 0
		.amdhsa_float_round_mode_16_64 0
		.amdhsa_float_denorm_mode_32 3
		.amdhsa_float_denorm_mode_16_64 3
		.amdhsa_dx10_clamp 1
		.amdhsa_ieee_mode 1
		.amdhsa_fp16_overflow 0
		.amdhsa_workgroup_processor_mode 1
		.amdhsa_memory_ordered 1
		.amdhsa_forward_progress 1
		.amdhsa_shared_vgpr_count 0
		.amdhsa_exception_fp_ieee_invalid_op 0
		.amdhsa_exception_fp_denorm_src 0
		.amdhsa_exception_fp_ieee_div_zero 0
		.amdhsa_exception_fp_ieee_overflow 0
		.amdhsa_exception_fp_ieee_underflow 0
		.amdhsa_exception_fp_ieee_inexact 0
		.amdhsa_exception_int_div_zero 0
	.end_amdhsa_kernel
	.section	.text._ZN7rocprim17ROCPRIM_400000_NS6detail17trampoline_kernelINS0_13select_configILj256ELj13ELNS0_17block_load_methodE3ELS4_3ELS4_3ELNS0_20block_scan_algorithmE0ELj4294967295EEENS1_25partition_config_selectorILNS1_17partition_subalgoE4EjNS0_10empty_typeEbEEZZNS1_14partition_implILS8_4ELb0ES6_15HIP_vector_typeIjLj2EENS0_17counting_iteratorIjlEEPS9_SG_NS0_5tupleIJPjSI_NS0_16reverse_iteratorISI_EEEEENSH_IJSG_SG_SG_EEES9_SI_JZNS1_25segmented_radix_sort_implINS0_14default_configELb1EPKhPhPKlPlN2at6native12_GLOBAL__N_18offset_tEEE10hipError_tPvRmT1_PNSt15iterator_traitsIS12_E10value_typeET2_T3_PNS13_IS18_E10value_typeET4_jRbjT5_S1E_jjP12ihipStream_tbEUljE_ZNSN_ISO_Lb1ESQ_SR_ST_SU_SY_EESZ_S10_S11_S12_S16_S17_S18_S1B_S1C_jS1D_jS1E_S1E_jjS1G_bEUljE0_EEESZ_S10_S11_S18_S1C_S1E_T6_T7_T9_mT8_S1G_bDpT10_ENKUlT_T0_E_clISt17integral_constantIbLb0EES1T_IbLb1EEEEDaS1P_S1Q_EUlS1P_E_NS1_11comp_targetILNS1_3genE5ELNS1_11target_archE942ELNS1_3gpuE9ELNS1_3repE0EEENS1_30default_config_static_selectorELNS0_4arch9wavefront6targetE0EEEvS12_,"axG",@progbits,_ZN7rocprim17ROCPRIM_400000_NS6detail17trampoline_kernelINS0_13select_configILj256ELj13ELNS0_17block_load_methodE3ELS4_3ELS4_3ELNS0_20block_scan_algorithmE0ELj4294967295EEENS1_25partition_config_selectorILNS1_17partition_subalgoE4EjNS0_10empty_typeEbEEZZNS1_14partition_implILS8_4ELb0ES6_15HIP_vector_typeIjLj2EENS0_17counting_iteratorIjlEEPS9_SG_NS0_5tupleIJPjSI_NS0_16reverse_iteratorISI_EEEEENSH_IJSG_SG_SG_EEES9_SI_JZNS1_25segmented_radix_sort_implINS0_14default_configELb1EPKhPhPKlPlN2at6native12_GLOBAL__N_18offset_tEEE10hipError_tPvRmT1_PNSt15iterator_traitsIS12_E10value_typeET2_T3_PNS13_IS18_E10value_typeET4_jRbjT5_S1E_jjP12ihipStream_tbEUljE_ZNSN_ISO_Lb1ESQ_SR_ST_SU_SY_EESZ_S10_S11_S12_S16_S17_S18_S1B_S1C_jS1D_jS1E_S1E_jjS1G_bEUljE0_EEESZ_S10_S11_S18_S1C_S1E_T6_T7_T9_mT8_S1G_bDpT10_ENKUlT_T0_E_clISt17integral_constantIbLb0EES1T_IbLb1EEEEDaS1P_S1Q_EUlS1P_E_NS1_11comp_targetILNS1_3genE5ELNS1_11target_archE942ELNS1_3gpuE9ELNS1_3repE0EEENS1_30default_config_static_selectorELNS0_4arch9wavefront6targetE0EEEvS12_,comdat
.Lfunc_end40:
	.size	_ZN7rocprim17ROCPRIM_400000_NS6detail17trampoline_kernelINS0_13select_configILj256ELj13ELNS0_17block_load_methodE3ELS4_3ELS4_3ELNS0_20block_scan_algorithmE0ELj4294967295EEENS1_25partition_config_selectorILNS1_17partition_subalgoE4EjNS0_10empty_typeEbEEZZNS1_14partition_implILS8_4ELb0ES6_15HIP_vector_typeIjLj2EENS0_17counting_iteratorIjlEEPS9_SG_NS0_5tupleIJPjSI_NS0_16reverse_iteratorISI_EEEEENSH_IJSG_SG_SG_EEES9_SI_JZNS1_25segmented_radix_sort_implINS0_14default_configELb1EPKhPhPKlPlN2at6native12_GLOBAL__N_18offset_tEEE10hipError_tPvRmT1_PNSt15iterator_traitsIS12_E10value_typeET2_T3_PNS13_IS18_E10value_typeET4_jRbjT5_S1E_jjP12ihipStream_tbEUljE_ZNSN_ISO_Lb1ESQ_SR_ST_SU_SY_EESZ_S10_S11_S12_S16_S17_S18_S1B_S1C_jS1D_jS1E_S1E_jjS1G_bEUljE0_EEESZ_S10_S11_S18_S1C_S1E_T6_T7_T9_mT8_S1G_bDpT10_ENKUlT_T0_E_clISt17integral_constantIbLb0EES1T_IbLb1EEEEDaS1P_S1Q_EUlS1P_E_NS1_11comp_targetILNS1_3genE5ELNS1_11target_archE942ELNS1_3gpuE9ELNS1_3repE0EEENS1_30default_config_static_selectorELNS0_4arch9wavefront6targetE0EEEvS12_, .Lfunc_end40-_ZN7rocprim17ROCPRIM_400000_NS6detail17trampoline_kernelINS0_13select_configILj256ELj13ELNS0_17block_load_methodE3ELS4_3ELS4_3ELNS0_20block_scan_algorithmE0ELj4294967295EEENS1_25partition_config_selectorILNS1_17partition_subalgoE4EjNS0_10empty_typeEbEEZZNS1_14partition_implILS8_4ELb0ES6_15HIP_vector_typeIjLj2EENS0_17counting_iteratorIjlEEPS9_SG_NS0_5tupleIJPjSI_NS0_16reverse_iteratorISI_EEEEENSH_IJSG_SG_SG_EEES9_SI_JZNS1_25segmented_radix_sort_implINS0_14default_configELb1EPKhPhPKlPlN2at6native12_GLOBAL__N_18offset_tEEE10hipError_tPvRmT1_PNSt15iterator_traitsIS12_E10value_typeET2_T3_PNS13_IS18_E10value_typeET4_jRbjT5_S1E_jjP12ihipStream_tbEUljE_ZNSN_ISO_Lb1ESQ_SR_ST_SU_SY_EESZ_S10_S11_S12_S16_S17_S18_S1B_S1C_jS1D_jS1E_S1E_jjS1G_bEUljE0_EEESZ_S10_S11_S18_S1C_S1E_T6_T7_T9_mT8_S1G_bDpT10_ENKUlT_T0_E_clISt17integral_constantIbLb0EES1T_IbLb1EEEEDaS1P_S1Q_EUlS1P_E_NS1_11comp_targetILNS1_3genE5ELNS1_11target_archE942ELNS1_3gpuE9ELNS1_3repE0EEENS1_30default_config_static_selectorELNS0_4arch9wavefront6targetE0EEEvS12_
                                        ; -- End function
	.set _ZN7rocprim17ROCPRIM_400000_NS6detail17trampoline_kernelINS0_13select_configILj256ELj13ELNS0_17block_load_methodE3ELS4_3ELS4_3ELNS0_20block_scan_algorithmE0ELj4294967295EEENS1_25partition_config_selectorILNS1_17partition_subalgoE4EjNS0_10empty_typeEbEEZZNS1_14partition_implILS8_4ELb0ES6_15HIP_vector_typeIjLj2EENS0_17counting_iteratorIjlEEPS9_SG_NS0_5tupleIJPjSI_NS0_16reverse_iteratorISI_EEEEENSH_IJSG_SG_SG_EEES9_SI_JZNS1_25segmented_radix_sort_implINS0_14default_configELb1EPKhPhPKlPlN2at6native12_GLOBAL__N_18offset_tEEE10hipError_tPvRmT1_PNSt15iterator_traitsIS12_E10value_typeET2_T3_PNS13_IS18_E10value_typeET4_jRbjT5_S1E_jjP12ihipStream_tbEUljE_ZNSN_ISO_Lb1ESQ_SR_ST_SU_SY_EESZ_S10_S11_S12_S16_S17_S18_S1B_S1C_jS1D_jS1E_S1E_jjS1G_bEUljE0_EEESZ_S10_S11_S18_S1C_S1E_T6_T7_T9_mT8_S1G_bDpT10_ENKUlT_T0_E_clISt17integral_constantIbLb0EES1T_IbLb1EEEEDaS1P_S1Q_EUlS1P_E_NS1_11comp_targetILNS1_3genE5ELNS1_11target_archE942ELNS1_3gpuE9ELNS1_3repE0EEENS1_30default_config_static_selectorELNS0_4arch9wavefront6targetE0EEEvS12_.num_vgpr, 0
	.set _ZN7rocprim17ROCPRIM_400000_NS6detail17trampoline_kernelINS0_13select_configILj256ELj13ELNS0_17block_load_methodE3ELS4_3ELS4_3ELNS0_20block_scan_algorithmE0ELj4294967295EEENS1_25partition_config_selectorILNS1_17partition_subalgoE4EjNS0_10empty_typeEbEEZZNS1_14partition_implILS8_4ELb0ES6_15HIP_vector_typeIjLj2EENS0_17counting_iteratorIjlEEPS9_SG_NS0_5tupleIJPjSI_NS0_16reverse_iteratorISI_EEEEENSH_IJSG_SG_SG_EEES9_SI_JZNS1_25segmented_radix_sort_implINS0_14default_configELb1EPKhPhPKlPlN2at6native12_GLOBAL__N_18offset_tEEE10hipError_tPvRmT1_PNSt15iterator_traitsIS12_E10value_typeET2_T3_PNS13_IS18_E10value_typeET4_jRbjT5_S1E_jjP12ihipStream_tbEUljE_ZNSN_ISO_Lb1ESQ_SR_ST_SU_SY_EESZ_S10_S11_S12_S16_S17_S18_S1B_S1C_jS1D_jS1E_S1E_jjS1G_bEUljE0_EEESZ_S10_S11_S18_S1C_S1E_T6_T7_T9_mT8_S1G_bDpT10_ENKUlT_T0_E_clISt17integral_constantIbLb0EES1T_IbLb1EEEEDaS1P_S1Q_EUlS1P_E_NS1_11comp_targetILNS1_3genE5ELNS1_11target_archE942ELNS1_3gpuE9ELNS1_3repE0EEENS1_30default_config_static_selectorELNS0_4arch9wavefront6targetE0EEEvS12_.num_agpr, 0
	.set _ZN7rocprim17ROCPRIM_400000_NS6detail17trampoline_kernelINS0_13select_configILj256ELj13ELNS0_17block_load_methodE3ELS4_3ELS4_3ELNS0_20block_scan_algorithmE0ELj4294967295EEENS1_25partition_config_selectorILNS1_17partition_subalgoE4EjNS0_10empty_typeEbEEZZNS1_14partition_implILS8_4ELb0ES6_15HIP_vector_typeIjLj2EENS0_17counting_iteratorIjlEEPS9_SG_NS0_5tupleIJPjSI_NS0_16reverse_iteratorISI_EEEEENSH_IJSG_SG_SG_EEES9_SI_JZNS1_25segmented_radix_sort_implINS0_14default_configELb1EPKhPhPKlPlN2at6native12_GLOBAL__N_18offset_tEEE10hipError_tPvRmT1_PNSt15iterator_traitsIS12_E10value_typeET2_T3_PNS13_IS18_E10value_typeET4_jRbjT5_S1E_jjP12ihipStream_tbEUljE_ZNSN_ISO_Lb1ESQ_SR_ST_SU_SY_EESZ_S10_S11_S12_S16_S17_S18_S1B_S1C_jS1D_jS1E_S1E_jjS1G_bEUljE0_EEESZ_S10_S11_S18_S1C_S1E_T6_T7_T9_mT8_S1G_bDpT10_ENKUlT_T0_E_clISt17integral_constantIbLb0EES1T_IbLb1EEEEDaS1P_S1Q_EUlS1P_E_NS1_11comp_targetILNS1_3genE5ELNS1_11target_archE942ELNS1_3gpuE9ELNS1_3repE0EEENS1_30default_config_static_selectorELNS0_4arch9wavefront6targetE0EEEvS12_.numbered_sgpr, 0
	.set _ZN7rocprim17ROCPRIM_400000_NS6detail17trampoline_kernelINS0_13select_configILj256ELj13ELNS0_17block_load_methodE3ELS4_3ELS4_3ELNS0_20block_scan_algorithmE0ELj4294967295EEENS1_25partition_config_selectorILNS1_17partition_subalgoE4EjNS0_10empty_typeEbEEZZNS1_14partition_implILS8_4ELb0ES6_15HIP_vector_typeIjLj2EENS0_17counting_iteratorIjlEEPS9_SG_NS0_5tupleIJPjSI_NS0_16reverse_iteratorISI_EEEEENSH_IJSG_SG_SG_EEES9_SI_JZNS1_25segmented_radix_sort_implINS0_14default_configELb1EPKhPhPKlPlN2at6native12_GLOBAL__N_18offset_tEEE10hipError_tPvRmT1_PNSt15iterator_traitsIS12_E10value_typeET2_T3_PNS13_IS18_E10value_typeET4_jRbjT5_S1E_jjP12ihipStream_tbEUljE_ZNSN_ISO_Lb1ESQ_SR_ST_SU_SY_EESZ_S10_S11_S12_S16_S17_S18_S1B_S1C_jS1D_jS1E_S1E_jjS1G_bEUljE0_EEESZ_S10_S11_S18_S1C_S1E_T6_T7_T9_mT8_S1G_bDpT10_ENKUlT_T0_E_clISt17integral_constantIbLb0EES1T_IbLb1EEEEDaS1P_S1Q_EUlS1P_E_NS1_11comp_targetILNS1_3genE5ELNS1_11target_archE942ELNS1_3gpuE9ELNS1_3repE0EEENS1_30default_config_static_selectorELNS0_4arch9wavefront6targetE0EEEvS12_.num_named_barrier, 0
	.set _ZN7rocprim17ROCPRIM_400000_NS6detail17trampoline_kernelINS0_13select_configILj256ELj13ELNS0_17block_load_methodE3ELS4_3ELS4_3ELNS0_20block_scan_algorithmE0ELj4294967295EEENS1_25partition_config_selectorILNS1_17partition_subalgoE4EjNS0_10empty_typeEbEEZZNS1_14partition_implILS8_4ELb0ES6_15HIP_vector_typeIjLj2EENS0_17counting_iteratorIjlEEPS9_SG_NS0_5tupleIJPjSI_NS0_16reverse_iteratorISI_EEEEENSH_IJSG_SG_SG_EEES9_SI_JZNS1_25segmented_radix_sort_implINS0_14default_configELb1EPKhPhPKlPlN2at6native12_GLOBAL__N_18offset_tEEE10hipError_tPvRmT1_PNSt15iterator_traitsIS12_E10value_typeET2_T3_PNS13_IS18_E10value_typeET4_jRbjT5_S1E_jjP12ihipStream_tbEUljE_ZNSN_ISO_Lb1ESQ_SR_ST_SU_SY_EESZ_S10_S11_S12_S16_S17_S18_S1B_S1C_jS1D_jS1E_S1E_jjS1G_bEUljE0_EEESZ_S10_S11_S18_S1C_S1E_T6_T7_T9_mT8_S1G_bDpT10_ENKUlT_T0_E_clISt17integral_constantIbLb0EES1T_IbLb1EEEEDaS1P_S1Q_EUlS1P_E_NS1_11comp_targetILNS1_3genE5ELNS1_11target_archE942ELNS1_3gpuE9ELNS1_3repE0EEENS1_30default_config_static_selectorELNS0_4arch9wavefront6targetE0EEEvS12_.private_seg_size, 0
	.set _ZN7rocprim17ROCPRIM_400000_NS6detail17trampoline_kernelINS0_13select_configILj256ELj13ELNS0_17block_load_methodE3ELS4_3ELS4_3ELNS0_20block_scan_algorithmE0ELj4294967295EEENS1_25partition_config_selectorILNS1_17partition_subalgoE4EjNS0_10empty_typeEbEEZZNS1_14partition_implILS8_4ELb0ES6_15HIP_vector_typeIjLj2EENS0_17counting_iteratorIjlEEPS9_SG_NS0_5tupleIJPjSI_NS0_16reverse_iteratorISI_EEEEENSH_IJSG_SG_SG_EEES9_SI_JZNS1_25segmented_radix_sort_implINS0_14default_configELb1EPKhPhPKlPlN2at6native12_GLOBAL__N_18offset_tEEE10hipError_tPvRmT1_PNSt15iterator_traitsIS12_E10value_typeET2_T3_PNS13_IS18_E10value_typeET4_jRbjT5_S1E_jjP12ihipStream_tbEUljE_ZNSN_ISO_Lb1ESQ_SR_ST_SU_SY_EESZ_S10_S11_S12_S16_S17_S18_S1B_S1C_jS1D_jS1E_S1E_jjS1G_bEUljE0_EEESZ_S10_S11_S18_S1C_S1E_T6_T7_T9_mT8_S1G_bDpT10_ENKUlT_T0_E_clISt17integral_constantIbLb0EES1T_IbLb1EEEEDaS1P_S1Q_EUlS1P_E_NS1_11comp_targetILNS1_3genE5ELNS1_11target_archE942ELNS1_3gpuE9ELNS1_3repE0EEENS1_30default_config_static_selectorELNS0_4arch9wavefront6targetE0EEEvS12_.uses_vcc, 0
	.set _ZN7rocprim17ROCPRIM_400000_NS6detail17trampoline_kernelINS0_13select_configILj256ELj13ELNS0_17block_load_methodE3ELS4_3ELS4_3ELNS0_20block_scan_algorithmE0ELj4294967295EEENS1_25partition_config_selectorILNS1_17partition_subalgoE4EjNS0_10empty_typeEbEEZZNS1_14partition_implILS8_4ELb0ES6_15HIP_vector_typeIjLj2EENS0_17counting_iteratorIjlEEPS9_SG_NS0_5tupleIJPjSI_NS0_16reverse_iteratorISI_EEEEENSH_IJSG_SG_SG_EEES9_SI_JZNS1_25segmented_radix_sort_implINS0_14default_configELb1EPKhPhPKlPlN2at6native12_GLOBAL__N_18offset_tEEE10hipError_tPvRmT1_PNSt15iterator_traitsIS12_E10value_typeET2_T3_PNS13_IS18_E10value_typeET4_jRbjT5_S1E_jjP12ihipStream_tbEUljE_ZNSN_ISO_Lb1ESQ_SR_ST_SU_SY_EESZ_S10_S11_S12_S16_S17_S18_S1B_S1C_jS1D_jS1E_S1E_jjS1G_bEUljE0_EEESZ_S10_S11_S18_S1C_S1E_T6_T7_T9_mT8_S1G_bDpT10_ENKUlT_T0_E_clISt17integral_constantIbLb0EES1T_IbLb1EEEEDaS1P_S1Q_EUlS1P_E_NS1_11comp_targetILNS1_3genE5ELNS1_11target_archE942ELNS1_3gpuE9ELNS1_3repE0EEENS1_30default_config_static_selectorELNS0_4arch9wavefront6targetE0EEEvS12_.uses_flat_scratch, 0
	.set _ZN7rocprim17ROCPRIM_400000_NS6detail17trampoline_kernelINS0_13select_configILj256ELj13ELNS0_17block_load_methodE3ELS4_3ELS4_3ELNS0_20block_scan_algorithmE0ELj4294967295EEENS1_25partition_config_selectorILNS1_17partition_subalgoE4EjNS0_10empty_typeEbEEZZNS1_14partition_implILS8_4ELb0ES6_15HIP_vector_typeIjLj2EENS0_17counting_iteratorIjlEEPS9_SG_NS0_5tupleIJPjSI_NS0_16reverse_iteratorISI_EEEEENSH_IJSG_SG_SG_EEES9_SI_JZNS1_25segmented_radix_sort_implINS0_14default_configELb1EPKhPhPKlPlN2at6native12_GLOBAL__N_18offset_tEEE10hipError_tPvRmT1_PNSt15iterator_traitsIS12_E10value_typeET2_T3_PNS13_IS18_E10value_typeET4_jRbjT5_S1E_jjP12ihipStream_tbEUljE_ZNSN_ISO_Lb1ESQ_SR_ST_SU_SY_EESZ_S10_S11_S12_S16_S17_S18_S1B_S1C_jS1D_jS1E_S1E_jjS1G_bEUljE0_EEESZ_S10_S11_S18_S1C_S1E_T6_T7_T9_mT8_S1G_bDpT10_ENKUlT_T0_E_clISt17integral_constantIbLb0EES1T_IbLb1EEEEDaS1P_S1Q_EUlS1P_E_NS1_11comp_targetILNS1_3genE5ELNS1_11target_archE942ELNS1_3gpuE9ELNS1_3repE0EEENS1_30default_config_static_selectorELNS0_4arch9wavefront6targetE0EEEvS12_.has_dyn_sized_stack, 0
	.set _ZN7rocprim17ROCPRIM_400000_NS6detail17trampoline_kernelINS0_13select_configILj256ELj13ELNS0_17block_load_methodE3ELS4_3ELS4_3ELNS0_20block_scan_algorithmE0ELj4294967295EEENS1_25partition_config_selectorILNS1_17partition_subalgoE4EjNS0_10empty_typeEbEEZZNS1_14partition_implILS8_4ELb0ES6_15HIP_vector_typeIjLj2EENS0_17counting_iteratorIjlEEPS9_SG_NS0_5tupleIJPjSI_NS0_16reverse_iteratorISI_EEEEENSH_IJSG_SG_SG_EEES9_SI_JZNS1_25segmented_radix_sort_implINS0_14default_configELb1EPKhPhPKlPlN2at6native12_GLOBAL__N_18offset_tEEE10hipError_tPvRmT1_PNSt15iterator_traitsIS12_E10value_typeET2_T3_PNS13_IS18_E10value_typeET4_jRbjT5_S1E_jjP12ihipStream_tbEUljE_ZNSN_ISO_Lb1ESQ_SR_ST_SU_SY_EESZ_S10_S11_S12_S16_S17_S18_S1B_S1C_jS1D_jS1E_S1E_jjS1G_bEUljE0_EEESZ_S10_S11_S18_S1C_S1E_T6_T7_T9_mT8_S1G_bDpT10_ENKUlT_T0_E_clISt17integral_constantIbLb0EES1T_IbLb1EEEEDaS1P_S1Q_EUlS1P_E_NS1_11comp_targetILNS1_3genE5ELNS1_11target_archE942ELNS1_3gpuE9ELNS1_3repE0EEENS1_30default_config_static_selectorELNS0_4arch9wavefront6targetE0EEEvS12_.has_recursion, 0
	.set _ZN7rocprim17ROCPRIM_400000_NS6detail17trampoline_kernelINS0_13select_configILj256ELj13ELNS0_17block_load_methodE3ELS4_3ELS4_3ELNS0_20block_scan_algorithmE0ELj4294967295EEENS1_25partition_config_selectorILNS1_17partition_subalgoE4EjNS0_10empty_typeEbEEZZNS1_14partition_implILS8_4ELb0ES6_15HIP_vector_typeIjLj2EENS0_17counting_iteratorIjlEEPS9_SG_NS0_5tupleIJPjSI_NS0_16reverse_iteratorISI_EEEEENSH_IJSG_SG_SG_EEES9_SI_JZNS1_25segmented_radix_sort_implINS0_14default_configELb1EPKhPhPKlPlN2at6native12_GLOBAL__N_18offset_tEEE10hipError_tPvRmT1_PNSt15iterator_traitsIS12_E10value_typeET2_T3_PNS13_IS18_E10value_typeET4_jRbjT5_S1E_jjP12ihipStream_tbEUljE_ZNSN_ISO_Lb1ESQ_SR_ST_SU_SY_EESZ_S10_S11_S12_S16_S17_S18_S1B_S1C_jS1D_jS1E_S1E_jjS1G_bEUljE0_EEESZ_S10_S11_S18_S1C_S1E_T6_T7_T9_mT8_S1G_bDpT10_ENKUlT_T0_E_clISt17integral_constantIbLb0EES1T_IbLb1EEEEDaS1P_S1Q_EUlS1P_E_NS1_11comp_targetILNS1_3genE5ELNS1_11target_archE942ELNS1_3gpuE9ELNS1_3repE0EEENS1_30default_config_static_selectorELNS0_4arch9wavefront6targetE0EEEvS12_.has_indirect_call, 0
	.section	.AMDGPU.csdata,"",@progbits
; Kernel info:
; codeLenInByte = 0
; TotalNumSgprs: 0
; NumVgprs: 0
; ScratchSize: 0
; MemoryBound: 0
; FloatMode: 240
; IeeeMode: 1
; LDSByteSize: 0 bytes/workgroup (compile time only)
; SGPRBlocks: 0
; VGPRBlocks: 0
; NumSGPRsForWavesPerEU: 1
; NumVGPRsForWavesPerEU: 1
; Occupancy: 16
; WaveLimiterHint : 0
; COMPUTE_PGM_RSRC2:SCRATCH_EN: 0
; COMPUTE_PGM_RSRC2:USER_SGPR: 6
; COMPUTE_PGM_RSRC2:TRAP_HANDLER: 0
; COMPUTE_PGM_RSRC2:TGID_X_EN: 1
; COMPUTE_PGM_RSRC2:TGID_Y_EN: 0
; COMPUTE_PGM_RSRC2:TGID_Z_EN: 0
; COMPUTE_PGM_RSRC2:TIDIG_COMP_CNT: 0
	.section	.text._ZN7rocprim17ROCPRIM_400000_NS6detail17trampoline_kernelINS0_13select_configILj256ELj13ELNS0_17block_load_methodE3ELS4_3ELS4_3ELNS0_20block_scan_algorithmE0ELj4294967295EEENS1_25partition_config_selectorILNS1_17partition_subalgoE4EjNS0_10empty_typeEbEEZZNS1_14partition_implILS8_4ELb0ES6_15HIP_vector_typeIjLj2EENS0_17counting_iteratorIjlEEPS9_SG_NS0_5tupleIJPjSI_NS0_16reverse_iteratorISI_EEEEENSH_IJSG_SG_SG_EEES9_SI_JZNS1_25segmented_radix_sort_implINS0_14default_configELb1EPKhPhPKlPlN2at6native12_GLOBAL__N_18offset_tEEE10hipError_tPvRmT1_PNSt15iterator_traitsIS12_E10value_typeET2_T3_PNS13_IS18_E10value_typeET4_jRbjT5_S1E_jjP12ihipStream_tbEUljE_ZNSN_ISO_Lb1ESQ_SR_ST_SU_SY_EESZ_S10_S11_S12_S16_S17_S18_S1B_S1C_jS1D_jS1E_S1E_jjS1G_bEUljE0_EEESZ_S10_S11_S18_S1C_S1E_T6_T7_T9_mT8_S1G_bDpT10_ENKUlT_T0_E_clISt17integral_constantIbLb0EES1T_IbLb1EEEEDaS1P_S1Q_EUlS1P_E_NS1_11comp_targetILNS1_3genE4ELNS1_11target_archE910ELNS1_3gpuE8ELNS1_3repE0EEENS1_30default_config_static_selectorELNS0_4arch9wavefront6targetE0EEEvS12_,"axG",@progbits,_ZN7rocprim17ROCPRIM_400000_NS6detail17trampoline_kernelINS0_13select_configILj256ELj13ELNS0_17block_load_methodE3ELS4_3ELS4_3ELNS0_20block_scan_algorithmE0ELj4294967295EEENS1_25partition_config_selectorILNS1_17partition_subalgoE4EjNS0_10empty_typeEbEEZZNS1_14partition_implILS8_4ELb0ES6_15HIP_vector_typeIjLj2EENS0_17counting_iteratorIjlEEPS9_SG_NS0_5tupleIJPjSI_NS0_16reverse_iteratorISI_EEEEENSH_IJSG_SG_SG_EEES9_SI_JZNS1_25segmented_radix_sort_implINS0_14default_configELb1EPKhPhPKlPlN2at6native12_GLOBAL__N_18offset_tEEE10hipError_tPvRmT1_PNSt15iterator_traitsIS12_E10value_typeET2_T3_PNS13_IS18_E10value_typeET4_jRbjT5_S1E_jjP12ihipStream_tbEUljE_ZNSN_ISO_Lb1ESQ_SR_ST_SU_SY_EESZ_S10_S11_S12_S16_S17_S18_S1B_S1C_jS1D_jS1E_S1E_jjS1G_bEUljE0_EEESZ_S10_S11_S18_S1C_S1E_T6_T7_T9_mT8_S1G_bDpT10_ENKUlT_T0_E_clISt17integral_constantIbLb0EES1T_IbLb1EEEEDaS1P_S1Q_EUlS1P_E_NS1_11comp_targetILNS1_3genE4ELNS1_11target_archE910ELNS1_3gpuE8ELNS1_3repE0EEENS1_30default_config_static_selectorELNS0_4arch9wavefront6targetE0EEEvS12_,comdat
	.globl	_ZN7rocprim17ROCPRIM_400000_NS6detail17trampoline_kernelINS0_13select_configILj256ELj13ELNS0_17block_load_methodE3ELS4_3ELS4_3ELNS0_20block_scan_algorithmE0ELj4294967295EEENS1_25partition_config_selectorILNS1_17partition_subalgoE4EjNS0_10empty_typeEbEEZZNS1_14partition_implILS8_4ELb0ES6_15HIP_vector_typeIjLj2EENS0_17counting_iteratorIjlEEPS9_SG_NS0_5tupleIJPjSI_NS0_16reverse_iteratorISI_EEEEENSH_IJSG_SG_SG_EEES9_SI_JZNS1_25segmented_radix_sort_implINS0_14default_configELb1EPKhPhPKlPlN2at6native12_GLOBAL__N_18offset_tEEE10hipError_tPvRmT1_PNSt15iterator_traitsIS12_E10value_typeET2_T3_PNS13_IS18_E10value_typeET4_jRbjT5_S1E_jjP12ihipStream_tbEUljE_ZNSN_ISO_Lb1ESQ_SR_ST_SU_SY_EESZ_S10_S11_S12_S16_S17_S18_S1B_S1C_jS1D_jS1E_S1E_jjS1G_bEUljE0_EEESZ_S10_S11_S18_S1C_S1E_T6_T7_T9_mT8_S1G_bDpT10_ENKUlT_T0_E_clISt17integral_constantIbLb0EES1T_IbLb1EEEEDaS1P_S1Q_EUlS1P_E_NS1_11comp_targetILNS1_3genE4ELNS1_11target_archE910ELNS1_3gpuE8ELNS1_3repE0EEENS1_30default_config_static_selectorELNS0_4arch9wavefront6targetE0EEEvS12_ ; -- Begin function _ZN7rocprim17ROCPRIM_400000_NS6detail17trampoline_kernelINS0_13select_configILj256ELj13ELNS0_17block_load_methodE3ELS4_3ELS4_3ELNS0_20block_scan_algorithmE0ELj4294967295EEENS1_25partition_config_selectorILNS1_17partition_subalgoE4EjNS0_10empty_typeEbEEZZNS1_14partition_implILS8_4ELb0ES6_15HIP_vector_typeIjLj2EENS0_17counting_iteratorIjlEEPS9_SG_NS0_5tupleIJPjSI_NS0_16reverse_iteratorISI_EEEEENSH_IJSG_SG_SG_EEES9_SI_JZNS1_25segmented_radix_sort_implINS0_14default_configELb1EPKhPhPKlPlN2at6native12_GLOBAL__N_18offset_tEEE10hipError_tPvRmT1_PNSt15iterator_traitsIS12_E10value_typeET2_T3_PNS13_IS18_E10value_typeET4_jRbjT5_S1E_jjP12ihipStream_tbEUljE_ZNSN_ISO_Lb1ESQ_SR_ST_SU_SY_EESZ_S10_S11_S12_S16_S17_S18_S1B_S1C_jS1D_jS1E_S1E_jjS1G_bEUljE0_EEESZ_S10_S11_S18_S1C_S1E_T6_T7_T9_mT8_S1G_bDpT10_ENKUlT_T0_E_clISt17integral_constantIbLb0EES1T_IbLb1EEEEDaS1P_S1Q_EUlS1P_E_NS1_11comp_targetILNS1_3genE4ELNS1_11target_archE910ELNS1_3gpuE8ELNS1_3repE0EEENS1_30default_config_static_selectorELNS0_4arch9wavefront6targetE0EEEvS12_
	.p2align	8
	.type	_ZN7rocprim17ROCPRIM_400000_NS6detail17trampoline_kernelINS0_13select_configILj256ELj13ELNS0_17block_load_methodE3ELS4_3ELS4_3ELNS0_20block_scan_algorithmE0ELj4294967295EEENS1_25partition_config_selectorILNS1_17partition_subalgoE4EjNS0_10empty_typeEbEEZZNS1_14partition_implILS8_4ELb0ES6_15HIP_vector_typeIjLj2EENS0_17counting_iteratorIjlEEPS9_SG_NS0_5tupleIJPjSI_NS0_16reverse_iteratorISI_EEEEENSH_IJSG_SG_SG_EEES9_SI_JZNS1_25segmented_radix_sort_implINS0_14default_configELb1EPKhPhPKlPlN2at6native12_GLOBAL__N_18offset_tEEE10hipError_tPvRmT1_PNSt15iterator_traitsIS12_E10value_typeET2_T3_PNS13_IS18_E10value_typeET4_jRbjT5_S1E_jjP12ihipStream_tbEUljE_ZNSN_ISO_Lb1ESQ_SR_ST_SU_SY_EESZ_S10_S11_S12_S16_S17_S18_S1B_S1C_jS1D_jS1E_S1E_jjS1G_bEUljE0_EEESZ_S10_S11_S18_S1C_S1E_T6_T7_T9_mT8_S1G_bDpT10_ENKUlT_T0_E_clISt17integral_constantIbLb0EES1T_IbLb1EEEEDaS1P_S1Q_EUlS1P_E_NS1_11comp_targetILNS1_3genE4ELNS1_11target_archE910ELNS1_3gpuE8ELNS1_3repE0EEENS1_30default_config_static_selectorELNS0_4arch9wavefront6targetE0EEEvS12_,@function
_ZN7rocprim17ROCPRIM_400000_NS6detail17trampoline_kernelINS0_13select_configILj256ELj13ELNS0_17block_load_methodE3ELS4_3ELS4_3ELNS0_20block_scan_algorithmE0ELj4294967295EEENS1_25partition_config_selectorILNS1_17partition_subalgoE4EjNS0_10empty_typeEbEEZZNS1_14partition_implILS8_4ELb0ES6_15HIP_vector_typeIjLj2EENS0_17counting_iteratorIjlEEPS9_SG_NS0_5tupleIJPjSI_NS0_16reverse_iteratorISI_EEEEENSH_IJSG_SG_SG_EEES9_SI_JZNS1_25segmented_radix_sort_implINS0_14default_configELb1EPKhPhPKlPlN2at6native12_GLOBAL__N_18offset_tEEE10hipError_tPvRmT1_PNSt15iterator_traitsIS12_E10value_typeET2_T3_PNS13_IS18_E10value_typeET4_jRbjT5_S1E_jjP12ihipStream_tbEUljE_ZNSN_ISO_Lb1ESQ_SR_ST_SU_SY_EESZ_S10_S11_S12_S16_S17_S18_S1B_S1C_jS1D_jS1E_S1E_jjS1G_bEUljE0_EEESZ_S10_S11_S18_S1C_S1E_T6_T7_T9_mT8_S1G_bDpT10_ENKUlT_T0_E_clISt17integral_constantIbLb0EES1T_IbLb1EEEEDaS1P_S1Q_EUlS1P_E_NS1_11comp_targetILNS1_3genE4ELNS1_11target_archE910ELNS1_3gpuE8ELNS1_3repE0EEENS1_30default_config_static_selectorELNS0_4arch9wavefront6targetE0EEEvS12_: ; @_ZN7rocprim17ROCPRIM_400000_NS6detail17trampoline_kernelINS0_13select_configILj256ELj13ELNS0_17block_load_methodE3ELS4_3ELS4_3ELNS0_20block_scan_algorithmE0ELj4294967295EEENS1_25partition_config_selectorILNS1_17partition_subalgoE4EjNS0_10empty_typeEbEEZZNS1_14partition_implILS8_4ELb0ES6_15HIP_vector_typeIjLj2EENS0_17counting_iteratorIjlEEPS9_SG_NS0_5tupleIJPjSI_NS0_16reverse_iteratorISI_EEEEENSH_IJSG_SG_SG_EEES9_SI_JZNS1_25segmented_radix_sort_implINS0_14default_configELb1EPKhPhPKlPlN2at6native12_GLOBAL__N_18offset_tEEE10hipError_tPvRmT1_PNSt15iterator_traitsIS12_E10value_typeET2_T3_PNS13_IS18_E10value_typeET4_jRbjT5_S1E_jjP12ihipStream_tbEUljE_ZNSN_ISO_Lb1ESQ_SR_ST_SU_SY_EESZ_S10_S11_S12_S16_S17_S18_S1B_S1C_jS1D_jS1E_S1E_jjS1G_bEUljE0_EEESZ_S10_S11_S18_S1C_S1E_T6_T7_T9_mT8_S1G_bDpT10_ENKUlT_T0_E_clISt17integral_constantIbLb0EES1T_IbLb1EEEEDaS1P_S1Q_EUlS1P_E_NS1_11comp_targetILNS1_3genE4ELNS1_11target_archE910ELNS1_3gpuE8ELNS1_3repE0EEENS1_30default_config_static_selectorELNS0_4arch9wavefront6targetE0EEEvS12_
; %bb.0:
	.section	.rodata,"a",@progbits
	.p2align	6, 0x0
	.amdhsa_kernel _ZN7rocprim17ROCPRIM_400000_NS6detail17trampoline_kernelINS0_13select_configILj256ELj13ELNS0_17block_load_methodE3ELS4_3ELS4_3ELNS0_20block_scan_algorithmE0ELj4294967295EEENS1_25partition_config_selectorILNS1_17partition_subalgoE4EjNS0_10empty_typeEbEEZZNS1_14partition_implILS8_4ELb0ES6_15HIP_vector_typeIjLj2EENS0_17counting_iteratorIjlEEPS9_SG_NS0_5tupleIJPjSI_NS0_16reverse_iteratorISI_EEEEENSH_IJSG_SG_SG_EEES9_SI_JZNS1_25segmented_radix_sort_implINS0_14default_configELb1EPKhPhPKlPlN2at6native12_GLOBAL__N_18offset_tEEE10hipError_tPvRmT1_PNSt15iterator_traitsIS12_E10value_typeET2_T3_PNS13_IS18_E10value_typeET4_jRbjT5_S1E_jjP12ihipStream_tbEUljE_ZNSN_ISO_Lb1ESQ_SR_ST_SU_SY_EESZ_S10_S11_S12_S16_S17_S18_S1B_S1C_jS1D_jS1E_S1E_jjS1G_bEUljE0_EEESZ_S10_S11_S18_S1C_S1E_T6_T7_T9_mT8_S1G_bDpT10_ENKUlT_T0_E_clISt17integral_constantIbLb0EES1T_IbLb1EEEEDaS1P_S1Q_EUlS1P_E_NS1_11comp_targetILNS1_3genE4ELNS1_11target_archE910ELNS1_3gpuE8ELNS1_3repE0EEENS1_30default_config_static_selectorELNS0_4arch9wavefront6targetE0EEEvS12_
		.amdhsa_group_segment_fixed_size 0
		.amdhsa_private_segment_fixed_size 0
		.amdhsa_kernarg_size 184
		.amdhsa_user_sgpr_count 6
		.amdhsa_user_sgpr_private_segment_buffer 1
		.amdhsa_user_sgpr_dispatch_ptr 0
		.amdhsa_user_sgpr_queue_ptr 0
		.amdhsa_user_sgpr_kernarg_segment_ptr 1
		.amdhsa_user_sgpr_dispatch_id 0
		.amdhsa_user_sgpr_flat_scratch_init 0
		.amdhsa_user_sgpr_private_segment_size 0
		.amdhsa_wavefront_size32 1
		.amdhsa_uses_dynamic_stack 0
		.amdhsa_system_sgpr_private_segment_wavefront_offset 0
		.amdhsa_system_sgpr_workgroup_id_x 1
		.amdhsa_system_sgpr_workgroup_id_y 0
		.amdhsa_system_sgpr_workgroup_id_z 0
		.amdhsa_system_sgpr_workgroup_info 0
		.amdhsa_system_vgpr_workitem_id 0
		.amdhsa_next_free_vgpr 1
		.amdhsa_next_free_sgpr 1
		.amdhsa_reserve_vcc 0
		.amdhsa_reserve_flat_scratch 0
		.amdhsa_float_round_mode_32 0
		.amdhsa_float_round_mode_16_64 0
		.amdhsa_float_denorm_mode_32 3
		.amdhsa_float_denorm_mode_16_64 3
		.amdhsa_dx10_clamp 1
		.amdhsa_ieee_mode 1
		.amdhsa_fp16_overflow 0
		.amdhsa_workgroup_processor_mode 1
		.amdhsa_memory_ordered 1
		.amdhsa_forward_progress 1
		.amdhsa_shared_vgpr_count 0
		.amdhsa_exception_fp_ieee_invalid_op 0
		.amdhsa_exception_fp_denorm_src 0
		.amdhsa_exception_fp_ieee_div_zero 0
		.amdhsa_exception_fp_ieee_overflow 0
		.amdhsa_exception_fp_ieee_underflow 0
		.amdhsa_exception_fp_ieee_inexact 0
		.amdhsa_exception_int_div_zero 0
	.end_amdhsa_kernel
	.section	.text._ZN7rocprim17ROCPRIM_400000_NS6detail17trampoline_kernelINS0_13select_configILj256ELj13ELNS0_17block_load_methodE3ELS4_3ELS4_3ELNS0_20block_scan_algorithmE0ELj4294967295EEENS1_25partition_config_selectorILNS1_17partition_subalgoE4EjNS0_10empty_typeEbEEZZNS1_14partition_implILS8_4ELb0ES6_15HIP_vector_typeIjLj2EENS0_17counting_iteratorIjlEEPS9_SG_NS0_5tupleIJPjSI_NS0_16reverse_iteratorISI_EEEEENSH_IJSG_SG_SG_EEES9_SI_JZNS1_25segmented_radix_sort_implINS0_14default_configELb1EPKhPhPKlPlN2at6native12_GLOBAL__N_18offset_tEEE10hipError_tPvRmT1_PNSt15iterator_traitsIS12_E10value_typeET2_T3_PNS13_IS18_E10value_typeET4_jRbjT5_S1E_jjP12ihipStream_tbEUljE_ZNSN_ISO_Lb1ESQ_SR_ST_SU_SY_EESZ_S10_S11_S12_S16_S17_S18_S1B_S1C_jS1D_jS1E_S1E_jjS1G_bEUljE0_EEESZ_S10_S11_S18_S1C_S1E_T6_T7_T9_mT8_S1G_bDpT10_ENKUlT_T0_E_clISt17integral_constantIbLb0EES1T_IbLb1EEEEDaS1P_S1Q_EUlS1P_E_NS1_11comp_targetILNS1_3genE4ELNS1_11target_archE910ELNS1_3gpuE8ELNS1_3repE0EEENS1_30default_config_static_selectorELNS0_4arch9wavefront6targetE0EEEvS12_,"axG",@progbits,_ZN7rocprim17ROCPRIM_400000_NS6detail17trampoline_kernelINS0_13select_configILj256ELj13ELNS0_17block_load_methodE3ELS4_3ELS4_3ELNS0_20block_scan_algorithmE0ELj4294967295EEENS1_25partition_config_selectorILNS1_17partition_subalgoE4EjNS0_10empty_typeEbEEZZNS1_14partition_implILS8_4ELb0ES6_15HIP_vector_typeIjLj2EENS0_17counting_iteratorIjlEEPS9_SG_NS0_5tupleIJPjSI_NS0_16reverse_iteratorISI_EEEEENSH_IJSG_SG_SG_EEES9_SI_JZNS1_25segmented_radix_sort_implINS0_14default_configELb1EPKhPhPKlPlN2at6native12_GLOBAL__N_18offset_tEEE10hipError_tPvRmT1_PNSt15iterator_traitsIS12_E10value_typeET2_T3_PNS13_IS18_E10value_typeET4_jRbjT5_S1E_jjP12ihipStream_tbEUljE_ZNSN_ISO_Lb1ESQ_SR_ST_SU_SY_EESZ_S10_S11_S12_S16_S17_S18_S1B_S1C_jS1D_jS1E_S1E_jjS1G_bEUljE0_EEESZ_S10_S11_S18_S1C_S1E_T6_T7_T9_mT8_S1G_bDpT10_ENKUlT_T0_E_clISt17integral_constantIbLb0EES1T_IbLb1EEEEDaS1P_S1Q_EUlS1P_E_NS1_11comp_targetILNS1_3genE4ELNS1_11target_archE910ELNS1_3gpuE8ELNS1_3repE0EEENS1_30default_config_static_selectorELNS0_4arch9wavefront6targetE0EEEvS12_,comdat
.Lfunc_end41:
	.size	_ZN7rocprim17ROCPRIM_400000_NS6detail17trampoline_kernelINS0_13select_configILj256ELj13ELNS0_17block_load_methodE3ELS4_3ELS4_3ELNS0_20block_scan_algorithmE0ELj4294967295EEENS1_25partition_config_selectorILNS1_17partition_subalgoE4EjNS0_10empty_typeEbEEZZNS1_14partition_implILS8_4ELb0ES6_15HIP_vector_typeIjLj2EENS0_17counting_iteratorIjlEEPS9_SG_NS0_5tupleIJPjSI_NS0_16reverse_iteratorISI_EEEEENSH_IJSG_SG_SG_EEES9_SI_JZNS1_25segmented_radix_sort_implINS0_14default_configELb1EPKhPhPKlPlN2at6native12_GLOBAL__N_18offset_tEEE10hipError_tPvRmT1_PNSt15iterator_traitsIS12_E10value_typeET2_T3_PNS13_IS18_E10value_typeET4_jRbjT5_S1E_jjP12ihipStream_tbEUljE_ZNSN_ISO_Lb1ESQ_SR_ST_SU_SY_EESZ_S10_S11_S12_S16_S17_S18_S1B_S1C_jS1D_jS1E_S1E_jjS1G_bEUljE0_EEESZ_S10_S11_S18_S1C_S1E_T6_T7_T9_mT8_S1G_bDpT10_ENKUlT_T0_E_clISt17integral_constantIbLb0EES1T_IbLb1EEEEDaS1P_S1Q_EUlS1P_E_NS1_11comp_targetILNS1_3genE4ELNS1_11target_archE910ELNS1_3gpuE8ELNS1_3repE0EEENS1_30default_config_static_selectorELNS0_4arch9wavefront6targetE0EEEvS12_, .Lfunc_end41-_ZN7rocprim17ROCPRIM_400000_NS6detail17trampoline_kernelINS0_13select_configILj256ELj13ELNS0_17block_load_methodE3ELS4_3ELS4_3ELNS0_20block_scan_algorithmE0ELj4294967295EEENS1_25partition_config_selectorILNS1_17partition_subalgoE4EjNS0_10empty_typeEbEEZZNS1_14partition_implILS8_4ELb0ES6_15HIP_vector_typeIjLj2EENS0_17counting_iteratorIjlEEPS9_SG_NS0_5tupleIJPjSI_NS0_16reverse_iteratorISI_EEEEENSH_IJSG_SG_SG_EEES9_SI_JZNS1_25segmented_radix_sort_implINS0_14default_configELb1EPKhPhPKlPlN2at6native12_GLOBAL__N_18offset_tEEE10hipError_tPvRmT1_PNSt15iterator_traitsIS12_E10value_typeET2_T3_PNS13_IS18_E10value_typeET4_jRbjT5_S1E_jjP12ihipStream_tbEUljE_ZNSN_ISO_Lb1ESQ_SR_ST_SU_SY_EESZ_S10_S11_S12_S16_S17_S18_S1B_S1C_jS1D_jS1E_S1E_jjS1G_bEUljE0_EEESZ_S10_S11_S18_S1C_S1E_T6_T7_T9_mT8_S1G_bDpT10_ENKUlT_T0_E_clISt17integral_constantIbLb0EES1T_IbLb1EEEEDaS1P_S1Q_EUlS1P_E_NS1_11comp_targetILNS1_3genE4ELNS1_11target_archE910ELNS1_3gpuE8ELNS1_3repE0EEENS1_30default_config_static_selectorELNS0_4arch9wavefront6targetE0EEEvS12_
                                        ; -- End function
	.set _ZN7rocprim17ROCPRIM_400000_NS6detail17trampoline_kernelINS0_13select_configILj256ELj13ELNS0_17block_load_methodE3ELS4_3ELS4_3ELNS0_20block_scan_algorithmE0ELj4294967295EEENS1_25partition_config_selectorILNS1_17partition_subalgoE4EjNS0_10empty_typeEbEEZZNS1_14partition_implILS8_4ELb0ES6_15HIP_vector_typeIjLj2EENS0_17counting_iteratorIjlEEPS9_SG_NS0_5tupleIJPjSI_NS0_16reverse_iteratorISI_EEEEENSH_IJSG_SG_SG_EEES9_SI_JZNS1_25segmented_radix_sort_implINS0_14default_configELb1EPKhPhPKlPlN2at6native12_GLOBAL__N_18offset_tEEE10hipError_tPvRmT1_PNSt15iterator_traitsIS12_E10value_typeET2_T3_PNS13_IS18_E10value_typeET4_jRbjT5_S1E_jjP12ihipStream_tbEUljE_ZNSN_ISO_Lb1ESQ_SR_ST_SU_SY_EESZ_S10_S11_S12_S16_S17_S18_S1B_S1C_jS1D_jS1E_S1E_jjS1G_bEUljE0_EEESZ_S10_S11_S18_S1C_S1E_T6_T7_T9_mT8_S1G_bDpT10_ENKUlT_T0_E_clISt17integral_constantIbLb0EES1T_IbLb1EEEEDaS1P_S1Q_EUlS1P_E_NS1_11comp_targetILNS1_3genE4ELNS1_11target_archE910ELNS1_3gpuE8ELNS1_3repE0EEENS1_30default_config_static_selectorELNS0_4arch9wavefront6targetE0EEEvS12_.num_vgpr, 0
	.set _ZN7rocprim17ROCPRIM_400000_NS6detail17trampoline_kernelINS0_13select_configILj256ELj13ELNS0_17block_load_methodE3ELS4_3ELS4_3ELNS0_20block_scan_algorithmE0ELj4294967295EEENS1_25partition_config_selectorILNS1_17partition_subalgoE4EjNS0_10empty_typeEbEEZZNS1_14partition_implILS8_4ELb0ES6_15HIP_vector_typeIjLj2EENS0_17counting_iteratorIjlEEPS9_SG_NS0_5tupleIJPjSI_NS0_16reverse_iteratorISI_EEEEENSH_IJSG_SG_SG_EEES9_SI_JZNS1_25segmented_radix_sort_implINS0_14default_configELb1EPKhPhPKlPlN2at6native12_GLOBAL__N_18offset_tEEE10hipError_tPvRmT1_PNSt15iterator_traitsIS12_E10value_typeET2_T3_PNS13_IS18_E10value_typeET4_jRbjT5_S1E_jjP12ihipStream_tbEUljE_ZNSN_ISO_Lb1ESQ_SR_ST_SU_SY_EESZ_S10_S11_S12_S16_S17_S18_S1B_S1C_jS1D_jS1E_S1E_jjS1G_bEUljE0_EEESZ_S10_S11_S18_S1C_S1E_T6_T7_T9_mT8_S1G_bDpT10_ENKUlT_T0_E_clISt17integral_constantIbLb0EES1T_IbLb1EEEEDaS1P_S1Q_EUlS1P_E_NS1_11comp_targetILNS1_3genE4ELNS1_11target_archE910ELNS1_3gpuE8ELNS1_3repE0EEENS1_30default_config_static_selectorELNS0_4arch9wavefront6targetE0EEEvS12_.num_agpr, 0
	.set _ZN7rocprim17ROCPRIM_400000_NS6detail17trampoline_kernelINS0_13select_configILj256ELj13ELNS0_17block_load_methodE3ELS4_3ELS4_3ELNS0_20block_scan_algorithmE0ELj4294967295EEENS1_25partition_config_selectorILNS1_17partition_subalgoE4EjNS0_10empty_typeEbEEZZNS1_14partition_implILS8_4ELb0ES6_15HIP_vector_typeIjLj2EENS0_17counting_iteratorIjlEEPS9_SG_NS0_5tupleIJPjSI_NS0_16reverse_iteratorISI_EEEEENSH_IJSG_SG_SG_EEES9_SI_JZNS1_25segmented_radix_sort_implINS0_14default_configELb1EPKhPhPKlPlN2at6native12_GLOBAL__N_18offset_tEEE10hipError_tPvRmT1_PNSt15iterator_traitsIS12_E10value_typeET2_T3_PNS13_IS18_E10value_typeET4_jRbjT5_S1E_jjP12ihipStream_tbEUljE_ZNSN_ISO_Lb1ESQ_SR_ST_SU_SY_EESZ_S10_S11_S12_S16_S17_S18_S1B_S1C_jS1D_jS1E_S1E_jjS1G_bEUljE0_EEESZ_S10_S11_S18_S1C_S1E_T6_T7_T9_mT8_S1G_bDpT10_ENKUlT_T0_E_clISt17integral_constantIbLb0EES1T_IbLb1EEEEDaS1P_S1Q_EUlS1P_E_NS1_11comp_targetILNS1_3genE4ELNS1_11target_archE910ELNS1_3gpuE8ELNS1_3repE0EEENS1_30default_config_static_selectorELNS0_4arch9wavefront6targetE0EEEvS12_.numbered_sgpr, 0
	.set _ZN7rocprim17ROCPRIM_400000_NS6detail17trampoline_kernelINS0_13select_configILj256ELj13ELNS0_17block_load_methodE3ELS4_3ELS4_3ELNS0_20block_scan_algorithmE0ELj4294967295EEENS1_25partition_config_selectorILNS1_17partition_subalgoE4EjNS0_10empty_typeEbEEZZNS1_14partition_implILS8_4ELb0ES6_15HIP_vector_typeIjLj2EENS0_17counting_iteratorIjlEEPS9_SG_NS0_5tupleIJPjSI_NS0_16reverse_iteratorISI_EEEEENSH_IJSG_SG_SG_EEES9_SI_JZNS1_25segmented_radix_sort_implINS0_14default_configELb1EPKhPhPKlPlN2at6native12_GLOBAL__N_18offset_tEEE10hipError_tPvRmT1_PNSt15iterator_traitsIS12_E10value_typeET2_T3_PNS13_IS18_E10value_typeET4_jRbjT5_S1E_jjP12ihipStream_tbEUljE_ZNSN_ISO_Lb1ESQ_SR_ST_SU_SY_EESZ_S10_S11_S12_S16_S17_S18_S1B_S1C_jS1D_jS1E_S1E_jjS1G_bEUljE0_EEESZ_S10_S11_S18_S1C_S1E_T6_T7_T9_mT8_S1G_bDpT10_ENKUlT_T0_E_clISt17integral_constantIbLb0EES1T_IbLb1EEEEDaS1P_S1Q_EUlS1P_E_NS1_11comp_targetILNS1_3genE4ELNS1_11target_archE910ELNS1_3gpuE8ELNS1_3repE0EEENS1_30default_config_static_selectorELNS0_4arch9wavefront6targetE0EEEvS12_.num_named_barrier, 0
	.set _ZN7rocprim17ROCPRIM_400000_NS6detail17trampoline_kernelINS0_13select_configILj256ELj13ELNS0_17block_load_methodE3ELS4_3ELS4_3ELNS0_20block_scan_algorithmE0ELj4294967295EEENS1_25partition_config_selectorILNS1_17partition_subalgoE4EjNS0_10empty_typeEbEEZZNS1_14partition_implILS8_4ELb0ES6_15HIP_vector_typeIjLj2EENS0_17counting_iteratorIjlEEPS9_SG_NS0_5tupleIJPjSI_NS0_16reverse_iteratorISI_EEEEENSH_IJSG_SG_SG_EEES9_SI_JZNS1_25segmented_radix_sort_implINS0_14default_configELb1EPKhPhPKlPlN2at6native12_GLOBAL__N_18offset_tEEE10hipError_tPvRmT1_PNSt15iterator_traitsIS12_E10value_typeET2_T3_PNS13_IS18_E10value_typeET4_jRbjT5_S1E_jjP12ihipStream_tbEUljE_ZNSN_ISO_Lb1ESQ_SR_ST_SU_SY_EESZ_S10_S11_S12_S16_S17_S18_S1B_S1C_jS1D_jS1E_S1E_jjS1G_bEUljE0_EEESZ_S10_S11_S18_S1C_S1E_T6_T7_T9_mT8_S1G_bDpT10_ENKUlT_T0_E_clISt17integral_constantIbLb0EES1T_IbLb1EEEEDaS1P_S1Q_EUlS1P_E_NS1_11comp_targetILNS1_3genE4ELNS1_11target_archE910ELNS1_3gpuE8ELNS1_3repE0EEENS1_30default_config_static_selectorELNS0_4arch9wavefront6targetE0EEEvS12_.private_seg_size, 0
	.set _ZN7rocprim17ROCPRIM_400000_NS6detail17trampoline_kernelINS0_13select_configILj256ELj13ELNS0_17block_load_methodE3ELS4_3ELS4_3ELNS0_20block_scan_algorithmE0ELj4294967295EEENS1_25partition_config_selectorILNS1_17partition_subalgoE4EjNS0_10empty_typeEbEEZZNS1_14partition_implILS8_4ELb0ES6_15HIP_vector_typeIjLj2EENS0_17counting_iteratorIjlEEPS9_SG_NS0_5tupleIJPjSI_NS0_16reverse_iteratorISI_EEEEENSH_IJSG_SG_SG_EEES9_SI_JZNS1_25segmented_radix_sort_implINS0_14default_configELb1EPKhPhPKlPlN2at6native12_GLOBAL__N_18offset_tEEE10hipError_tPvRmT1_PNSt15iterator_traitsIS12_E10value_typeET2_T3_PNS13_IS18_E10value_typeET4_jRbjT5_S1E_jjP12ihipStream_tbEUljE_ZNSN_ISO_Lb1ESQ_SR_ST_SU_SY_EESZ_S10_S11_S12_S16_S17_S18_S1B_S1C_jS1D_jS1E_S1E_jjS1G_bEUljE0_EEESZ_S10_S11_S18_S1C_S1E_T6_T7_T9_mT8_S1G_bDpT10_ENKUlT_T0_E_clISt17integral_constantIbLb0EES1T_IbLb1EEEEDaS1P_S1Q_EUlS1P_E_NS1_11comp_targetILNS1_3genE4ELNS1_11target_archE910ELNS1_3gpuE8ELNS1_3repE0EEENS1_30default_config_static_selectorELNS0_4arch9wavefront6targetE0EEEvS12_.uses_vcc, 0
	.set _ZN7rocprim17ROCPRIM_400000_NS6detail17trampoline_kernelINS0_13select_configILj256ELj13ELNS0_17block_load_methodE3ELS4_3ELS4_3ELNS0_20block_scan_algorithmE0ELj4294967295EEENS1_25partition_config_selectorILNS1_17partition_subalgoE4EjNS0_10empty_typeEbEEZZNS1_14partition_implILS8_4ELb0ES6_15HIP_vector_typeIjLj2EENS0_17counting_iteratorIjlEEPS9_SG_NS0_5tupleIJPjSI_NS0_16reverse_iteratorISI_EEEEENSH_IJSG_SG_SG_EEES9_SI_JZNS1_25segmented_radix_sort_implINS0_14default_configELb1EPKhPhPKlPlN2at6native12_GLOBAL__N_18offset_tEEE10hipError_tPvRmT1_PNSt15iterator_traitsIS12_E10value_typeET2_T3_PNS13_IS18_E10value_typeET4_jRbjT5_S1E_jjP12ihipStream_tbEUljE_ZNSN_ISO_Lb1ESQ_SR_ST_SU_SY_EESZ_S10_S11_S12_S16_S17_S18_S1B_S1C_jS1D_jS1E_S1E_jjS1G_bEUljE0_EEESZ_S10_S11_S18_S1C_S1E_T6_T7_T9_mT8_S1G_bDpT10_ENKUlT_T0_E_clISt17integral_constantIbLb0EES1T_IbLb1EEEEDaS1P_S1Q_EUlS1P_E_NS1_11comp_targetILNS1_3genE4ELNS1_11target_archE910ELNS1_3gpuE8ELNS1_3repE0EEENS1_30default_config_static_selectorELNS0_4arch9wavefront6targetE0EEEvS12_.uses_flat_scratch, 0
	.set _ZN7rocprim17ROCPRIM_400000_NS6detail17trampoline_kernelINS0_13select_configILj256ELj13ELNS0_17block_load_methodE3ELS4_3ELS4_3ELNS0_20block_scan_algorithmE0ELj4294967295EEENS1_25partition_config_selectorILNS1_17partition_subalgoE4EjNS0_10empty_typeEbEEZZNS1_14partition_implILS8_4ELb0ES6_15HIP_vector_typeIjLj2EENS0_17counting_iteratorIjlEEPS9_SG_NS0_5tupleIJPjSI_NS0_16reverse_iteratorISI_EEEEENSH_IJSG_SG_SG_EEES9_SI_JZNS1_25segmented_radix_sort_implINS0_14default_configELb1EPKhPhPKlPlN2at6native12_GLOBAL__N_18offset_tEEE10hipError_tPvRmT1_PNSt15iterator_traitsIS12_E10value_typeET2_T3_PNS13_IS18_E10value_typeET4_jRbjT5_S1E_jjP12ihipStream_tbEUljE_ZNSN_ISO_Lb1ESQ_SR_ST_SU_SY_EESZ_S10_S11_S12_S16_S17_S18_S1B_S1C_jS1D_jS1E_S1E_jjS1G_bEUljE0_EEESZ_S10_S11_S18_S1C_S1E_T6_T7_T9_mT8_S1G_bDpT10_ENKUlT_T0_E_clISt17integral_constantIbLb0EES1T_IbLb1EEEEDaS1P_S1Q_EUlS1P_E_NS1_11comp_targetILNS1_3genE4ELNS1_11target_archE910ELNS1_3gpuE8ELNS1_3repE0EEENS1_30default_config_static_selectorELNS0_4arch9wavefront6targetE0EEEvS12_.has_dyn_sized_stack, 0
	.set _ZN7rocprim17ROCPRIM_400000_NS6detail17trampoline_kernelINS0_13select_configILj256ELj13ELNS0_17block_load_methodE3ELS4_3ELS4_3ELNS0_20block_scan_algorithmE0ELj4294967295EEENS1_25partition_config_selectorILNS1_17partition_subalgoE4EjNS0_10empty_typeEbEEZZNS1_14partition_implILS8_4ELb0ES6_15HIP_vector_typeIjLj2EENS0_17counting_iteratorIjlEEPS9_SG_NS0_5tupleIJPjSI_NS0_16reverse_iteratorISI_EEEEENSH_IJSG_SG_SG_EEES9_SI_JZNS1_25segmented_radix_sort_implINS0_14default_configELb1EPKhPhPKlPlN2at6native12_GLOBAL__N_18offset_tEEE10hipError_tPvRmT1_PNSt15iterator_traitsIS12_E10value_typeET2_T3_PNS13_IS18_E10value_typeET4_jRbjT5_S1E_jjP12ihipStream_tbEUljE_ZNSN_ISO_Lb1ESQ_SR_ST_SU_SY_EESZ_S10_S11_S12_S16_S17_S18_S1B_S1C_jS1D_jS1E_S1E_jjS1G_bEUljE0_EEESZ_S10_S11_S18_S1C_S1E_T6_T7_T9_mT8_S1G_bDpT10_ENKUlT_T0_E_clISt17integral_constantIbLb0EES1T_IbLb1EEEEDaS1P_S1Q_EUlS1P_E_NS1_11comp_targetILNS1_3genE4ELNS1_11target_archE910ELNS1_3gpuE8ELNS1_3repE0EEENS1_30default_config_static_selectorELNS0_4arch9wavefront6targetE0EEEvS12_.has_recursion, 0
	.set _ZN7rocprim17ROCPRIM_400000_NS6detail17trampoline_kernelINS0_13select_configILj256ELj13ELNS0_17block_load_methodE3ELS4_3ELS4_3ELNS0_20block_scan_algorithmE0ELj4294967295EEENS1_25partition_config_selectorILNS1_17partition_subalgoE4EjNS0_10empty_typeEbEEZZNS1_14partition_implILS8_4ELb0ES6_15HIP_vector_typeIjLj2EENS0_17counting_iteratorIjlEEPS9_SG_NS0_5tupleIJPjSI_NS0_16reverse_iteratorISI_EEEEENSH_IJSG_SG_SG_EEES9_SI_JZNS1_25segmented_radix_sort_implINS0_14default_configELb1EPKhPhPKlPlN2at6native12_GLOBAL__N_18offset_tEEE10hipError_tPvRmT1_PNSt15iterator_traitsIS12_E10value_typeET2_T3_PNS13_IS18_E10value_typeET4_jRbjT5_S1E_jjP12ihipStream_tbEUljE_ZNSN_ISO_Lb1ESQ_SR_ST_SU_SY_EESZ_S10_S11_S12_S16_S17_S18_S1B_S1C_jS1D_jS1E_S1E_jjS1G_bEUljE0_EEESZ_S10_S11_S18_S1C_S1E_T6_T7_T9_mT8_S1G_bDpT10_ENKUlT_T0_E_clISt17integral_constantIbLb0EES1T_IbLb1EEEEDaS1P_S1Q_EUlS1P_E_NS1_11comp_targetILNS1_3genE4ELNS1_11target_archE910ELNS1_3gpuE8ELNS1_3repE0EEENS1_30default_config_static_selectorELNS0_4arch9wavefront6targetE0EEEvS12_.has_indirect_call, 0
	.section	.AMDGPU.csdata,"",@progbits
; Kernel info:
; codeLenInByte = 0
; TotalNumSgprs: 0
; NumVgprs: 0
; ScratchSize: 0
; MemoryBound: 0
; FloatMode: 240
; IeeeMode: 1
; LDSByteSize: 0 bytes/workgroup (compile time only)
; SGPRBlocks: 0
; VGPRBlocks: 0
; NumSGPRsForWavesPerEU: 1
; NumVGPRsForWavesPerEU: 1
; Occupancy: 16
; WaveLimiterHint : 0
; COMPUTE_PGM_RSRC2:SCRATCH_EN: 0
; COMPUTE_PGM_RSRC2:USER_SGPR: 6
; COMPUTE_PGM_RSRC2:TRAP_HANDLER: 0
; COMPUTE_PGM_RSRC2:TGID_X_EN: 1
; COMPUTE_PGM_RSRC2:TGID_Y_EN: 0
; COMPUTE_PGM_RSRC2:TGID_Z_EN: 0
; COMPUTE_PGM_RSRC2:TIDIG_COMP_CNT: 0
	.section	.text._ZN7rocprim17ROCPRIM_400000_NS6detail17trampoline_kernelINS0_13select_configILj256ELj13ELNS0_17block_load_methodE3ELS4_3ELS4_3ELNS0_20block_scan_algorithmE0ELj4294967295EEENS1_25partition_config_selectorILNS1_17partition_subalgoE4EjNS0_10empty_typeEbEEZZNS1_14partition_implILS8_4ELb0ES6_15HIP_vector_typeIjLj2EENS0_17counting_iteratorIjlEEPS9_SG_NS0_5tupleIJPjSI_NS0_16reverse_iteratorISI_EEEEENSH_IJSG_SG_SG_EEES9_SI_JZNS1_25segmented_radix_sort_implINS0_14default_configELb1EPKhPhPKlPlN2at6native12_GLOBAL__N_18offset_tEEE10hipError_tPvRmT1_PNSt15iterator_traitsIS12_E10value_typeET2_T3_PNS13_IS18_E10value_typeET4_jRbjT5_S1E_jjP12ihipStream_tbEUljE_ZNSN_ISO_Lb1ESQ_SR_ST_SU_SY_EESZ_S10_S11_S12_S16_S17_S18_S1B_S1C_jS1D_jS1E_S1E_jjS1G_bEUljE0_EEESZ_S10_S11_S18_S1C_S1E_T6_T7_T9_mT8_S1G_bDpT10_ENKUlT_T0_E_clISt17integral_constantIbLb0EES1T_IbLb1EEEEDaS1P_S1Q_EUlS1P_E_NS1_11comp_targetILNS1_3genE3ELNS1_11target_archE908ELNS1_3gpuE7ELNS1_3repE0EEENS1_30default_config_static_selectorELNS0_4arch9wavefront6targetE0EEEvS12_,"axG",@progbits,_ZN7rocprim17ROCPRIM_400000_NS6detail17trampoline_kernelINS0_13select_configILj256ELj13ELNS0_17block_load_methodE3ELS4_3ELS4_3ELNS0_20block_scan_algorithmE0ELj4294967295EEENS1_25partition_config_selectorILNS1_17partition_subalgoE4EjNS0_10empty_typeEbEEZZNS1_14partition_implILS8_4ELb0ES6_15HIP_vector_typeIjLj2EENS0_17counting_iteratorIjlEEPS9_SG_NS0_5tupleIJPjSI_NS0_16reverse_iteratorISI_EEEEENSH_IJSG_SG_SG_EEES9_SI_JZNS1_25segmented_radix_sort_implINS0_14default_configELb1EPKhPhPKlPlN2at6native12_GLOBAL__N_18offset_tEEE10hipError_tPvRmT1_PNSt15iterator_traitsIS12_E10value_typeET2_T3_PNS13_IS18_E10value_typeET4_jRbjT5_S1E_jjP12ihipStream_tbEUljE_ZNSN_ISO_Lb1ESQ_SR_ST_SU_SY_EESZ_S10_S11_S12_S16_S17_S18_S1B_S1C_jS1D_jS1E_S1E_jjS1G_bEUljE0_EEESZ_S10_S11_S18_S1C_S1E_T6_T7_T9_mT8_S1G_bDpT10_ENKUlT_T0_E_clISt17integral_constantIbLb0EES1T_IbLb1EEEEDaS1P_S1Q_EUlS1P_E_NS1_11comp_targetILNS1_3genE3ELNS1_11target_archE908ELNS1_3gpuE7ELNS1_3repE0EEENS1_30default_config_static_selectorELNS0_4arch9wavefront6targetE0EEEvS12_,comdat
	.globl	_ZN7rocprim17ROCPRIM_400000_NS6detail17trampoline_kernelINS0_13select_configILj256ELj13ELNS0_17block_load_methodE3ELS4_3ELS4_3ELNS0_20block_scan_algorithmE0ELj4294967295EEENS1_25partition_config_selectorILNS1_17partition_subalgoE4EjNS0_10empty_typeEbEEZZNS1_14partition_implILS8_4ELb0ES6_15HIP_vector_typeIjLj2EENS0_17counting_iteratorIjlEEPS9_SG_NS0_5tupleIJPjSI_NS0_16reverse_iteratorISI_EEEEENSH_IJSG_SG_SG_EEES9_SI_JZNS1_25segmented_radix_sort_implINS0_14default_configELb1EPKhPhPKlPlN2at6native12_GLOBAL__N_18offset_tEEE10hipError_tPvRmT1_PNSt15iterator_traitsIS12_E10value_typeET2_T3_PNS13_IS18_E10value_typeET4_jRbjT5_S1E_jjP12ihipStream_tbEUljE_ZNSN_ISO_Lb1ESQ_SR_ST_SU_SY_EESZ_S10_S11_S12_S16_S17_S18_S1B_S1C_jS1D_jS1E_S1E_jjS1G_bEUljE0_EEESZ_S10_S11_S18_S1C_S1E_T6_T7_T9_mT8_S1G_bDpT10_ENKUlT_T0_E_clISt17integral_constantIbLb0EES1T_IbLb1EEEEDaS1P_S1Q_EUlS1P_E_NS1_11comp_targetILNS1_3genE3ELNS1_11target_archE908ELNS1_3gpuE7ELNS1_3repE0EEENS1_30default_config_static_selectorELNS0_4arch9wavefront6targetE0EEEvS12_ ; -- Begin function _ZN7rocprim17ROCPRIM_400000_NS6detail17trampoline_kernelINS0_13select_configILj256ELj13ELNS0_17block_load_methodE3ELS4_3ELS4_3ELNS0_20block_scan_algorithmE0ELj4294967295EEENS1_25partition_config_selectorILNS1_17partition_subalgoE4EjNS0_10empty_typeEbEEZZNS1_14partition_implILS8_4ELb0ES6_15HIP_vector_typeIjLj2EENS0_17counting_iteratorIjlEEPS9_SG_NS0_5tupleIJPjSI_NS0_16reverse_iteratorISI_EEEEENSH_IJSG_SG_SG_EEES9_SI_JZNS1_25segmented_radix_sort_implINS0_14default_configELb1EPKhPhPKlPlN2at6native12_GLOBAL__N_18offset_tEEE10hipError_tPvRmT1_PNSt15iterator_traitsIS12_E10value_typeET2_T3_PNS13_IS18_E10value_typeET4_jRbjT5_S1E_jjP12ihipStream_tbEUljE_ZNSN_ISO_Lb1ESQ_SR_ST_SU_SY_EESZ_S10_S11_S12_S16_S17_S18_S1B_S1C_jS1D_jS1E_S1E_jjS1G_bEUljE0_EEESZ_S10_S11_S18_S1C_S1E_T6_T7_T9_mT8_S1G_bDpT10_ENKUlT_T0_E_clISt17integral_constantIbLb0EES1T_IbLb1EEEEDaS1P_S1Q_EUlS1P_E_NS1_11comp_targetILNS1_3genE3ELNS1_11target_archE908ELNS1_3gpuE7ELNS1_3repE0EEENS1_30default_config_static_selectorELNS0_4arch9wavefront6targetE0EEEvS12_
	.p2align	8
	.type	_ZN7rocprim17ROCPRIM_400000_NS6detail17trampoline_kernelINS0_13select_configILj256ELj13ELNS0_17block_load_methodE3ELS4_3ELS4_3ELNS0_20block_scan_algorithmE0ELj4294967295EEENS1_25partition_config_selectorILNS1_17partition_subalgoE4EjNS0_10empty_typeEbEEZZNS1_14partition_implILS8_4ELb0ES6_15HIP_vector_typeIjLj2EENS0_17counting_iteratorIjlEEPS9_SG_NS0_5tupleIJPjSI_NS0_16reverse_iteratorISI_EEEEENSH_IJSG_SG_SG_EEES9_SI_JZNS1_25segmented_radix_sort_implINS0_14default_configELb1EPKhPhPKlPlN2at6native12_GLOBAL__N_18offset_tEEE10hipError_tPvRmT1_PNSt15iterator_traitsIS12_E10value_typeET2_T3_PNS13_IS18_E10value_typeET4_jRbjT5_S1E_jjP12ihipStream_tbEUljE_ZNSN_ISO_Lb1ESQ_SR_ST_SU_SY_EESZ_S10_S11_S12_S16_S17_S18_S1B_S1C_jS1D_jS1E_S1E_jjS1G_bEUljE0_EEESZ_S10_S11_S18_S1C_S1E_T6_T7_T9_mT8_S1G_bDpT10_ENKUlT_T0_E_clISt17integral_constantIbLb0EES1T_IbLb1EEEEDaS1P_S1Q_EUlS1P_E_NS1_11comp_targetILNS1_3genE3ELNS1_11target_archE908ELNS1_3gpuE7ELNS1_3repE0EEENS1_30default_config_static_selectorELNS0_4arch9wavefront6targetE0EEEvS12_,@function
_ZN7rocprim17ROCPRIM_400000_NS6detail17trampoline_kernelINS0_13select_configILj256ELj13ELNS0_17block_load_methodE3ELS4_3ELS4_3ELNS0_20block_scan_algorithmE0ELj4294967295EEENS1_25partition_config_selectorILNS1_17partition_subalgoE4EjNS0_10empty_typeEbEEZZNS1_14partition_implILS8_4ELb0ES6_15HIP_vector_typeIjLj2EENS0_17counting_iteratorIjlEEPS9_SG_NS0_5tupleIJPjSI_NS0_16reverse_iteratorISI_EEEEENSH_IJSG_SG_SG_EEES9_SI_JZNS1_25segmented_radix_sort_implINS0_14default_configELb1EPKhPhPKlPlN2at6native12_GLOBAL__N_18offset_tEEE10hipError_tPvRmT1_PNSt15iterator_traitsIS12_E10value_typeET2_T3_PNS13_IS18_E10value_typeET4_jRbjT5_S1E_jjP12ihipStream_tbEUljE_ZNSN_ISO_Lb1ESQ_SR_ST_SU_SY_EESZ_S10_S11_S12_S16_S17_S18_S1B_S1C_jS1D_jS1E_S1E_jjS1G_bEUljE0_EEESZ_S10_S11_S18_S1C_S1E_T6_T7_T9_mT8_S1G_bDpT10_ENKUlT_T0_E_clISt17integral_constantIbLb0EES1T_IbLb1EEEEDaS1P_S1Q_EUlS1P_E_NS1_11comp_targetILNS1_3genE3ELNS1_11target_archE908ELNS1_3gpuE7ELNS1_3repE0EEENS1_30default_config_static_selectorELNS0_4arch9wavefront6targetE0EEEvS12_: ; @_ZN7rocprim17ROCPRIM_400000_NS6detail17trampoline_kernelINS0_13select_configILj256ELj13ELNS0_17block_load_methodE3ELS4_3ELS4_3ELNS0_20block_scan_algorithmE0ELj4294967295EEENS1_25partition_config_selectorILNS1_17partition_subalgoE4EjNS0_10empty_typeEbEEZZNS1_14partition_implILS8_4ELb0ES6_15HIP_vector_typeIjLj2EENS0_17counting_iteratorIjlEEPS9_SG_NS0_5tupleIJPjSI_NS0_16reverse_iteratorISI_EEEEENSH_IJSG_SG_SG_EEES9_SI_JZNS1_25segmented_radix_sort_implINS0_14default_configELb1EPKhPhPKlPlN2at6native12_GLOBAL__N_18offset_tEEE10hipError_tPvRmT1_PNSt15iterator_traitsIS12_E10value_typeET2_T3_PNS13_IS18_E10value_typeET4_jRbjT5_S1E_jjP12ihipStream_tbEUljE_ZNSN_ISO_Lb1ESQ_SR_ST_SU_SY_EESZ_S10_S11_S12_S16_S17_S18_S1B_S1C_jS1D_jS1E_S1E_jjS1G_bEUljE0_EEESZ_S10_S11_S18_S1C_S1E_T6_T7_T9_mT8_S1G_bDpT10_ENKUlT_T0_E_clISt17integral_constantIbLb0EES1T_IbLb1EEEEDaS1P_S1Q_EUlS1P_E_NS1_11comp_targetILNS1_3genE3ELNS1_11target_archE908ELNS1_3gpuE7ELNS1_3repE0EEENS1_30default_config_static_selectorELNS0_4arch9wavefront6targetE0EEEvS12_
; %bb.0:
	.section	.rodata,"a",@progbits
	.p2align	6, 0x0
	.amdhsa_kernel _ZN7rocprim17ROCPRIM_400000_NS6detail17trampoline_kernelINS0_13select_configILj256ELj13ELNS0_17block_load_methodE3ELS4_3ELS4_3ELNS0_20block_scan_algorithmE0ELj4294967295EEENS1_25partition_config_selectorILNS1_17partition_subalgoE4EjNS0_10empty_typeEbEEZZNS1_14partition_implILS8_4ELb0ES6_15HIP_vector_typeIjLj2EENS0_17counting_iteratorIjlEEPS9_SG_NS0_5tupleIJPjSI_NS0_16reverse_iteratorISI_EEEEENSH_IJSG_SG_SG_EEES9_SI_JZNS1_25segmented_radix_sort_implINS0_14default_configELb1EPKhPhPKlPlN2at6native12_GLOBAL__N_18offset_tEEE10hipError_tPvRmT1_PNSt15iterator_traitsIS12_E10value_typeET2_T3_PNS13_IS18_E10value_typeET4_jRbjT5_S1E_jjP12ihipStream_tbEUljE_ZNSN_ISO_Lb1ESQ_SR_ST_SU_SY_EESZ_S10_S11_S12_S16_S17_S18_S1B_S1C_jS1D_jS1E_S1E_jjS1G_bEUljE0_EEESZ_S10_S11_S18_S1C_S1E_T6_T7_T9_mT8_S1G_bDpT10_ENKUlT_T0_E_clISt17integral_constantIbLb0EES1T_IbLb1EEEEDaS1P_S1Q_EUlS1P_E_NS1_11comp_targetILNS1_3genE3ELNS1_11target_archE908ELNS1_3gpuE7ELNS1_3repE0EEENS1_30default_config_static_selectorELNS0_4arch9wavefront6targetE0EEEvS12_
		.amdhsa_group_segment_fixed_size 0
		.amdhsa_private_segment_fixed_size 0
		.amdhsa_kernarg_size 184
		.amdhsa_user_sgpr_count 6
		.amdhsa_user_sgpr_private_segment_buffer 1
		.amdhsa_user_sgpr_dispatch_ptr 0
		.amdhsa_user_sgpr_queue_ptr 0
		.amdhsa_user_sgpr_kernarg_segment_ptr 1
		.amdhsa_user_sgpr_dispatch_id 0
		.amdhsa_user_sgpr_flat_scratch_init 0
		.amdhsa_user_sgpr_private_segment_size 0
		.amdhsa_wavefront_size32 1
		.amdhsa_uses_dynamic_stack 0
		.amdhsa_system_sgpr_private_segment_wavefront_offset 0
		.amdhsa_system_sgpr_workgroup_id_x 1
		.amdhsa_system_sgpr_workgroup_id_y 0
		.amdhsa_system_sgpr_workgroup_id_z 0
		.amdhsa_system_sgpr_workgroup_info 0
		.amdhsa_system_vgpr_workitem_id 0
		.amdhsa_next_free_vgpr 1
		.amdhsa_next_free_sgpr 1
		.amdhsa_reserve_vcc 0
		.amdhsa_reserve_flat_scratch 0
		.amdhsa_float_round_mode_32 0
		.amdhsa_float_round_mode_16_64 0
		.amdhsa_float_denorm_mode_32 3
		.amdhsa_float_denorm_mode_16_64 3
		.amdhsa_dx10_clamp 1
		.amdhsa_ieee_mode 1
		.amdhsa_fp16_overflow 0
		.amdhsa_workgroup_processor_mode 1
		.amdhsa_memory_ordered 1
		.amdhsa_forward_progress 1
		.amdhsa_shared_vgpr_count 0
		.amdhsa_exception_fp_ieee_invalid_op 0
		.amdhsa_exception_fp_denorm_src 0
		.amdhsa_exception_fp_ieee_div_zero 0
		.amdhsa_exception_fp_ieee_overflow 0
		.amdhsa_exception_fp_ieee_underflow 0
		.amdhsa_exception_fp_ieee_inexact 0
		.amdhsa_exception_int_div_zero 0
	.end_amdhsa_kernel
	.section	.text._ZN7rocprim17ROCPRIM_400000_NS6detail17trampoline_kernelINS0_13select_configILj256ELj13ELNS0_17block_load_methodE3ELS4_3ELS4_3ELNS0_20block_scan_algorithmE0ELj4294967295EEENS1_25partition_config_selectorILNS1_17partition_subalgoE4EjNS0_10empty_typeEbEEZZNS1_14partition_implILS8_4ELb0ES6_15HIP_vector_typeIjLj2EENS0_17counting_iteratorIjlEEPS9_SG_NS0_5tupleIJPjSI_NS0_16reverse_iteratorISI_EEEEENSH_IJSG_SG_SG_EEES9_SI_JZNS1_25segmented_radix_sort_implINS0_14default_configELb1EPKhPhPKlPlN2at6native12_GLOBAL__N_18offset_tEEE10hipError_tPvRmT1_PNSt15iterator_traitsIS12_E10value_typeET2_T3_PNS13_IS18_E10value_typeET4_jRbjT5_S1E_jjP12ihipStream_tbEUljE_ZNSN_ISO_Lb1ESQ_SR_ST_SU_SY_EESZ_S10_S11_S12_S16_S17_S18_S1B_S1C_jS1D_jS1E_S1E_jjS1G_bEUljE0_EEESZ_S10_S11_S18_S1C_S1E_T6_T7_T9_mT8_S1G_bDpT10_ENKUlT_T0_E_clISt17integral_constantIbLb0EES1T_IbLb1EEEEDaS1P_S1Q_EUlS1P_E_NS1_11comp_targetILNS1_3genE3ELNS1_11target_archE908ELNS1_3gpuE7ELNS1_3repE0EEENS1_30default_config_static_selectorELNS0_4arch9wavefront6targetE0EEEvS12_,"axG",@progbits,_ZN7rocprim17ROCPRIM_400000_NS6detail17trampoline_kernelINS0_13select_configILj256ELj13ELNS0_17block_load_methodE3ELS4_3ELS4_3ELNS0_20block_scan_algorithmE0ELj4294967295EEENS1_25partition_config_selectorILNS1_17partition_subalgoE4EjNS0_10empty_typeEbEEZZNS1_14partition_implILS8_4ELb0ES6_15HIP_vector_typeIjLj2EENS0_17counting_iteratorIjlEEPS9_SG_NS0_5tupleIJPjSI_NS0_16reverse_iteratorISI_EEEEENSH_IJSG_SG_SG_EEES9_SI_JZNS1_25segmented_radix_sort_implINS0_14default_configELb1EPKhPhPKlPlN2at6native12_GLOBAL__N_18offset_tEEE10hipError_tPvRmT1_PNSt15iterator_traitsIS12_E10value_typeET2_T3_PNS13_IS18_E10value_typeET4_jRbjT5_S1E_jjP12ihipStream_tbEUljE_ZNSN_ISO_Lb1ESQ_SR_ST_SU_SY_EESZ_S10_S11_S12_S16_S17_S18_S1B_S1C_jS1D_jS1E_S1E_jjS1G_bEUljE0_EEESZ_S10_S11_S18_S1C_S1E_T6_T7_T9_mT8_S1G_bDpT10_ENKUlT_T0_E_clISt17integral_constantIbLb0EES1T_IbLb1EEEEDaS1P_S1Q_EUlS1P_E_NS1_11comp_targetILNS1_3genE3ELNS1_11target_archE908ELNS1_3gpuE7ELNS1_3repE0EEENS1_30default_config_static_selectorELNS0_4arch9wavefront6targetE0EEEvS12_,comdat
.Lfunc_end42:
	.size	_ZN7rocprim17ROCPRIM_400000_NS6detail17trampoline_kernelINS0_13select_configILj256ELj13ELNS0_17block_load_methodE3ELS4_3ELS4_3ELNS0_20block_scan_algorithmE0ELj4294967295EEENS1_25partition_config_selectorILNS1_17partition_subalgoE4EjNS0_10empty_typeEbEEZZNS1_14partition_implILS8_4ELb0ES6_15HIP_vector_typeIjLj2EENS0_17counting_iteratorIjlEEPS9_SG_NS0_5tupleIJPjSI_NS0_16reverse_iteratorISI_EEEEENSH_IJSG_SG_SG_EEES9_SI_JZNS1_25segmented_radix_sort_implINS0_14default_configELb1EPKhPhPKlPlN2at6native12_GLOBAL__N_18offset_tEEE10hipError_tPvRmT1_PNSt15iterator_traitsIS12_E10value_typeET2_T3_PNS13_IS18_E10value_typeET4_jRbjT5_S1E_jjP12ihipStream_tbEUljE_ZNSN_ISO_Lb1ESQ_SR_ST_SU_SY_EESZ_S10_S11_S12_S16_S17_S18_S1B_S1C_jS1D_jS1E_S1E_jjS1G_bEUljE0_EEESZ_S10_S11_S18_S1C_S1E_T6_T7_T9_mT8_S1G_bDpT10_ENKUlT_T0_E_clISt17integral_constantIbLb0EES1T_IbLb1EEEEDaS1P_S1Q_EUlS1P_E_NS1_11comp_targetILNS1_3genE3ELNS1_11target_archE908ELNS1_3gpuE7ELNS1_3repE0EEENS1_30default_config_static_selectorELNS0_4arch9wavefront6targetE0EEEvS12_, .Lfunc_end42-_ZN7rocprim17ROCPRIM_400000_NS6detail17trampoline_kernelINS0_13select_configILj256ELj13ELNS0_17block_load_methodE3ELS4_3ELS4_3ELNS0_20block_scan_algorithmE0ELj4294967295EEENS1_25partition_config_selectorILNS1_17partition_subalgoE4EjNS0_10empty_typeEbEEZZNS1_14partition_implILS8_4ELb0ES6_15HIP_vector_typeIjLj2EENS0_17counting_iteratorIjlEEPS9_SG_NS0_5tupleIJPjSI_NS0_16reverse_iteratorISI_EEEEENSH_IJSG_SG_SG_EEES9_SI_JZNS1_25segmented_radix_sort_implINS0_14default_configELb1EPKhPhPKlPlN2at6native12_GLOBAL__N_18offset_tEEE10hipError_tPvRmT1_PNSt15iterator_traitsIS12_E10value_typeET2_T3_PNS13_IS18_E10value_typeET4_jRbjT5_S1E_jjP12ihipStream_tbEUljE_ZNSN_ISO_Lb1ESQ_SR_ST_SU_SY_EESZ_S10_S11_S12_S16_S17_S18_S1B_S1C_jS1D_jS1E_S1E_jjS1G_bEUljE0_EEESZ_S10_S11_S18_S1C_S1E_T6_T7_T9_mT8_S1G_bDpT10_ENKUlT_T0_E_clISt17integral_constantIbLb0EES1T_IbLb1EEEEDaS1P_S1Q_EUlS1P_E_NS1_11comp_targetILNS1_3genE3ELNS1_11target_archE908ELNS1_3gpuE7ELNS1_3repE0EEENS1_30default_config_static_selectorELNS0_4arch9wavefront6targetE0EEEvS12_
                                        ; -- End function
	.set _ZN7rocprim17ROCPRIM_400000_NS6detail17trampoline_kernelINS0_13select_configILj256ELj13ELNS0_17block_load_methodE3ELS4_3ELS4_3ELNS0_20block_scan_algorithmE0ELj4294967295EEENS1_25partition_config_selectorILNS1_17partition_subalgoE4EjNS0_10empty_typeEbEEZZNS1_14partition_implILS8_4ELb0ES6_15HIP_vector_typeIjLj2EENS0_17counting_iteratorIjlEEPS9_SG_NS0_5tupleIJPjSI_NS0_16reverse_iteratorISI_EEEEENSH_IJSG_SG_SG_EEES9_SI_JZNS1_25segmented_radix_sort_implINS0_14default_configELb1EPKhPhPKlPlN2at6native12_GLOBAL__N_18offset_tEEE10hipError_tPvRmT1_PNSt15iterator_traitsIS12_E10value_typeET2_T3_PNS13_IS18_E10value_typeET4_jRbjT5_S1E_jjP12ihipStream_tbEUljE_ZNSN_ISO_Lb1ESQ_SR_ST_SU_SY_EESZ_S10_S11_S12_S16_S17_S18_S1B_S1C_jS1D_jS1E_S1E_jjS1G_bEUljE0_EEESZ_S10_S11_S18_S1C_S1E_T6_T7_T9_mT8_S1G_bDpT10_ENKUlT_T0_E_clISt17integral_constantIbLb0EES1T_IbLb1EEEEDaS1P_S1Q_EUlS1P_E_NS1_11comp_targetILNS1_3genE3ELNS1_11target_archE908ELNS1_3gpuE7ELNS1_3repE0EEENS1_30default_config_static_selectorELNS0_4arch9wavefront6targetE0EEEvS12_.num_vgpr, 0
	.set _ZN7rocprim17ROCPRIM_400000_NS6detail17trampoline_kernelINS0_13select_configILj256ELj13ELNS0_17block_load_methodE3ELS4_3ELS4_3ELNS0_20block_scan_algorithmE0ELj4294967295EEENS1_25partition_config_selectorILNS1_17partition_subalgoE4EjNS0_10empty_typeEbEEZZNS1_14partition_implILS8_4ELb0ES6_15HIP_vector_typeIjLj2EENS0_17counting_iteratorIjlEEPS9_SG_NS0_5tupleIJPjSI_NS0_16reverse_iteratorISI_EEEEENSH_IJSG_SG_SG_EEES9_SI_JZNS1_25segmented_radix_sort_implINS0_14default_configELb1EPKhPhPKlPlN2at6native12_GLOBAL__N_18offset_tEEE10hipError_tPvRmT1_PNSt15iterator_traitsIS12_E10value_typeET2_T3_PNS13_IS18_E10value_typeET4_jRbjT5_S1E_jjP12ihipStream_tbEUljE_ZNSN_ISO_Lb1ESQ_SR_ST_SU_SY_EESZ_S10_S11_S12_S16_S17_S18_S1B_S1C_jS1D_jS1E_S1E_jjS1G_bEUljE0_EEESZ_S10_S11_S18_S1C_S1E_T6_T7_T9_mT8_S1G_bDpT10_ENKUlT_T0_E_clISt17integral_constantIbLb0EES1T_IbLb1EEEEDaS1P_S1Q_EUlS1P_E_NS1_11comp_targetILNS1_3genE3ELNS1_11target_archE908ELNS1_3gpuE7ELNS1_3repE0EEENS1_30default_config_static_selectorELNS0_4arch9wavefront6targetE0EEEvS12_.num_agpr, 0
	.set _ZN7rocprim17ROCPRIM_400000_NS6detail17trampoline_kernelINS0_13select_configILj256ELj13ELNS0_17block_load_methodE3ELS4_3ELS4_3ELNS0_20block_scan_algorithmE0ELj4294967295EEENS1_25partition_config_selectorILNS1_17partition_subalgoE4EjNS0_10empty_typeEbEEZZNS1_14partition_implILS8_4ELb0ES6_15HIP_vector_typeIjLj2EENS0_17counting_iteratorIjlEEPS9_SG_NS0_5tupleIJPjSI_NS0_16reverse_iteratorISI_EEEEENSH_IJSG_SG_SG_EEES9_SI_JZNS1_25segmented_radix_sort_implINS0_14default_configELb1EPKhPhPKlPlN2at6native12_GLOBAL__N_18offset_tEEE10hipError_tPvRmT1_PNSt15iterator_traitsIS12_E10value_typeET2_T3_PNS13_IS18_E10value_typeET4_jRbjT5_S1E_jjP12ihipStream_tbEUljE_ZNSN_ISO_Lb1ESQ_SR_ST_SU_SY_EESZ_S10_S11_S12_S16_S17_S18_S1B_S1C_jS1D_jS1E_S1E_jjS1G_bEUljE0_EEESZ_S10_S11_S18_S1C_S1E_T6_T7_T9_mT8_S1G_bDpT10_ENKUlT_T0_E_clISt17integral_constantIbLb0EES1T_IbLb1EEEEDaS1P_S1Q_EUlS1P_E_NS1_11comp_targetILNS1_3genE3ELNS1_11target_archE908ELNS1_3gpuE7ELNS1_3repE0EEENS1_30default_config_static_selectorELNS0_4arch9wavefront6targetE0EEEvS12_.numbered_sgpr, 0
	.set _ZN7rocprim17ROCPRIM_400000_NS6detail17trampoline_kernelINS0_13select_configILj256ELj13ELNS0_17block_load_methodE3ELS4_3ELS4_3ELNS0_20block_scan_algorithmE0ELj4294967295EEENS1_25partition_config_selectorILNS1_17partition_subalgoE4EjNS0_10empty_typeEbEEZZNS1_14partition_implILS8_4ELb0ES6_15HIP_vector_typeIjLj2EENS0_17counting_iteratorIjlEEPS9_SG_NS0_5tupleIJPjSI_NS0_16reverse_iteratorISI_EEEEENSH_IJSG_SG_SG_EEES9_SI_JZNS1_25segmented_radix_sort_implINS0_14default_configELb1EPKhPhPKlPlN2at6native12_GLOBAL__N_18offset_tEEE10hipError_tPvRmT1_PNSt15iterator_traitsIS12_E10value_typeET2_T3_PNS13_IS18_E10value_typeET4_jRbjT5_S1E_jjP12ihipStream_tbEUljE_ZNSN_ISO_Lb1ESQ_SR_ST_SU_SY_EESZ_S10_S11_S12_S16_S17_S18_S1B_S1C_jS1D_jS1E_S1E_jjS1G_bEUljE0_EEESZ_S10_S11_S18_S1C_S1E_T6_T7_T9_mT8_S1G_bDpT10_ENKUlT_T0_E_clISt17integral_constantIbLb0EES1T_IbLb1EEEEDaS1P_S1Q_EUlS1P_E_NS1_11comp_targetILNS1_3genE3ELNS1_11target_archE908ELNS1_3gpuE7ELNS1_3repE0EEENS1_30default_config_static_selectorELNS0_4arch9wavefront6targetE0EEEvS12_.num_named_barrier, 0
	.set _ZN7rocprim17ROCPRIM_400000_NS6detail17trampoline_kernelINS0_13select_configILj256ELj13ELNS0_17block_load_methodE3ELS4_3ELS4_3ELNS0_20block_scan_algorithmE0ELj4294967295EEENS1_25partition_config_selectorILNS1_17partition_subalgoE4EjNS0_10empty_typeEbEEZZNS1_14partition_implILS8_4ELb0ES6_15HIP_vector_typeIjLj2EENS0_17counting_iteratorIjlEEPS9_SG_NS0_5tupleIJPjSI_NS0_16reverse_iteratorISI_EEEEENSH_IJSG_SG_SG_EEES9_SI_JZNS1_25segmented_radix_sort_implINS0_14default_configELb1EPKhPhPKlPlN2at6native12_GLOBAL__N_18offset_tEEE10hipError_tPvRmT1_PNSt15iterator_traitsIS12_E10value_typeET2_T3_PNS13_IS18_E10value_typeET4_jRbjT5_S1E_jjP12ihipStream_tbEUljE_ZNSN_ISO_Lb1ESQ_SR_ST_SU_SY_EESZ_S10_S11_S12_S16_S17_S18_S1B_S1C_jS1D_jS1E_S1E_jjS1G_bEUljE0_EEESZ_S10_S11_S18_S1C_S1E_T6_T7_T9_mT8_S1G_bDpT10_ENKUlT_T0_E_clISt17integral_constantIbLb0EES1T_IbLb1EEEEDaS1P_S1Q_EUlS1P_E_NS1_11comp_targetILNS1_3genE3ELNS1_11target_archE908ELNS1_3gpuE7ELNS1_3repE0EEENS1_30default_config_static_selectorELNS0_4arch9wavefront6targetE0EEEvS12_.private_seg_size, 0
	.set _ZN7rocprim17ROCPRIM_400000_NS6detail17trampoline_kernelINS0_13select_configILj256ELj13ELNS0_17block_load_methodE3ELS4_3ELS4_3ELNS0_20block_scan_algorithmE0ELj4294967295EEENS1_25partition_config_selectorILNS1_17partition_subalgoE4EjNS0_10empty_typeEbEEZZNS1_14partition_implILS8_4ELb0ES6_15HIP_vector_typeIjLj2EENS0_17counting_iteratorIjlEEPS9_SG_NS0_5tupleIJPjSI_NS0_16reverse_iteratorISI_EEEEENSH_IJSG_SG_SG_EEES9_SI_JZNS1_25segmented_radix_sort_implINS0_14default_configELb1EPKhPhPKlPlN2at6native12_GLOBAL__N_18offset_tEEE10hipError_tPvRmT1_PNSt15iterator_traitsIS12_E10value_typeET2_T3_PNS13_IS18_E10value_typeET4_jRbjT5_S1E_jjP12ihipStream_tbEUljE_ZNSN_ISO_Lb1ESQ_SR_ST_SU_SY_EESZ_S10_S11_S12_S16_S17_S18_S1B_S1C_jS1D_jS1E_S1E_jjS1G_bEUljE0_EEESZ_S10_S11_S18_S1C_S1E_T6_T7_T9_mT8_S1G_bDpT10_ENKUlT_T0_E_clISt17integral_constantIbLb0EES1T_IbLb1EEEEDaS1P_S1Q_EUlS1P_E_NS1_11comp_targetILNS1_3genE3ELNS1_11target_archE908ELNS1_3gpuE7ELNS1_3repE0EEENS1_30default_config_static_selectorELNS0_4arch9wavefront6targetE0EEEvS12_.uses_vcc, 0
	.set _ZN7rocprim17ROCPRIM_400000_NS6detail17trampoline_kernelINS0_13select_configILj256ELj13ELNS0_17block_load_methodE3ELS4_3ELS4_3ELNS0_20block_scan_algorithmE0ELj4294967295EEENS1_25partition_config_selectorILNS1_17partition_subalgoE4EjNS0_10empty_typeEbEEZZNS1_14partition_implILS8_4ELb0ES6_15HIP_vector_typeIjLj2EENS0_17counting_iteratorIjlEEPS9_SG_NS0_5tupleIJPjSI_NS0_16reverse_iteratorISI_EEEEENSH_IJSG_SG_SG_EEES9_SI_JZNS1_25segmented_radix_sort_implINS0_14default_configELb1EPKhPhPKlPlN2at6native12_GLOBAL__N_18offset_tEEE10hipError_tPvRmT1_PNSt15iterator_traitsIS12_E10value_typeET2_T3_PNS13_IS18_E10value_typeET4_jRbjT5_S1E_jjP12ihipStream_tbEUljE_ZNSN_ISO_Lb1ESQ_SR_ST_SU_SY_EESZ_S10_S11_S12_S16_S17_S18_S1B_S1C_jS1D_jS1E_S1E_jjS1G_bEUljE0_EEESZ_S10_S11_S18_S1C_S1E_T6_T7_T9_mT8_S1G_bDpT10_ENKUlT_T0_E_clISt17integral_constantIbLb0EES1T_IbLb1EEEEDaS1P_S1Q_EUlS1P_E_NS1_11comp_targetILNS1_3genE3ELNS1_11target_archE908ELNS1_3gpuE7ELNS1_3repE0EEENS1_30default_config_static_selectorELNS0_4arch9wavefront6targetE0EEEvS12_.uses_flat_scratch, 0
	.set _ZN7rocprim17ROCPRIM_400000_NS6detail17trampoline_kernelINS0_13select_configILj256ELj13ELNS0_17block_load_methodE3ELS4_3ELS4_3ELNS0_20block_scan_algorithmE0ELj4294967295EEENS1_25partition_config_selectorILNS1_17partition_subalgoE4EjNS0_10empty_typeEbEEZZNS1_14partition_implILS8_4ELb0ES6_15HIP_vector_typeIjLj2EENS0_17counting_iteratorIjlEEPS9_SG_NS0_5tupleIJPjSI_NS0_16reverse_iteratorISI_EEEEENSH_IJSG_SG_SG_EEES9_SI_JZNS1_25segmented_radix_sort_implINS0_14default_configELb1EPKhPhPKlPlN2at6native12_GLOBAL__N_18offset_tEEE10hipError_tPvRmT1_PNSt15iterator_traitsIS12_E10value_typeET2_T3_PNS13_IS18_E10value_typeET4_jRbjT5_S1E_jjP12ihipStream_tbEUljE_ZNSN_ISO_Lb1ESQ_SR_ST_SU_SY_EESZ_S10_S11_S12_S16_S17_S18_S1B_S1C_jS1D_jS1E_S1E_jjS1G_bEUljE0_EEESZ_S10_S11_S18_S1C_S1E_T6_T7_T9_mT8_S1G_bDpT10_ENKUlT_T0_E_clISt17integral_constantIbLb0EES1T_IbLb1EEEEDaS1P_S1Q_EUlS1P_E_NS1_11comp_targetILNS1_3genE3ELNS1_11target_archE908ELNS1_3gpuE7ELNS1_3repE0EEENS1_30default_config_static_selectorELNS0_4arch9wavefront6targetE0EEEvS12_.has_dyn_sized_stack, 0
	.set _ZN7rocprim17ROCPRIM_400000_NS6detail17trampoline_kernelINS0_13select_configILj256ELj13ELNS0_17block_load_methodE3ELS4_3ELS4_3ELNS0_20block_scan_algorithmE0ELj4294967295EEENS1_25partition_config_selectorILNS1_17partition_subalgoE4EjNS0_10empty_typeEbEEZZNS1_14partition_implILS8_4ELb0ES6_15HIP_vector_typeIjLj2EENS0_17counting_iteratorIjlEEPS9_SG_NS0_5tupleIJPjSI_NS0_16reverse_iteratorISI_EEEEENSH_IJSG_SG_SG_EEES9_SI_JZNS1_25segmented_radix_sort_implINS0_14default_configELb1EPKhPhPKlPlN2at6native12_GLOBAL__N_18offset_tEEE10hipError_tPvRmT1_PNSt15iterator_traitsIS12_E10value_typeET2_T3_PNS13_IS18_E10value_typeET4_jRbjT5_S1E_jjP12ihipStream_tbEUljE_ZNSN_ISO_Lb1ESQ_SR_ST_SU_SY_EESZ_S10_S11_S12_S16_S17_S18_S1B_S1C_jS1D_jS1E_S1E_jjS1G_bEUljE0_EEESZ_S10_S11_S18_S1C_S1E_T6_T7_T9_mT8_S1G_bDpT10_ENKUlT_T0_E_clISt17integral_constantIbLb0EES1T_IbLb1EEEEDaS1P_S1Q_EUlS1P_E_NS1_11comp_targetILNS1_3genE3ELNS1_11target_archE908ELNS1_3gpuE7ELNS1_3repE0EEENS1_30default_config_static_selectorELNS0_4arch9wavefront6targetE0EEEvS12_.has_recursion, 0
	.set _ZN7rocprim17ROCPRIM_400000_NS6detail17trampoline_kernelINS0_13select_configILj256ELj13ELNS0_17block_load_methodE3ELS4_3ELS4_3ELNS0_20block_scan_algorithmE0ELj4294967295EEENS1_25partition_config_selectorILNS1_17partition_subalgoE4EjNS0_10empty_typeEbEEZZNS1_14partition_implILS8_4ELb0ES6_15HIP_vector_typeIjLj2EENS0_17counting_iteratorIjlEEPS9_SG_NS0_5tupleIJPjSI_NS0_16reverse_iteratorISI_EEEEENSH_IJSG_SG_SG_EEES9_SI_JZNS1_25segmented_radix_sort_implINS0_14default_configELb1EPKhPhPKlPlN2at6native12_GLOBAL__N_18offset_tEEE10hipError_tPvRmT1_PNSt15iterator_traitsIS12_E10value_typeET2_T3_PNS13_IS18_E10value_typeET4_jRbjT5_S1E_jjP12ihipStream_tbEUljE_ZNSN_ISO_Lb1ESQ_SR_ST_SU_SY_EESZ_S10_S11_S12_S16_S17_S18_S1B_S1C_jS1D_jS1E_S1E_jjS1G_bEUljE0_EEESZ_S10_S11_S18_S1C_S1E_T6_T7_T9_mT8_S1G_bDpT10_ENKUlT_T0_E_clISt17integral_constantIbLb0EES1T_IbLb1EEEEDaS1P_S1Q_EUlS1P_E_NS1_11comp_targetILNS1_3genE3ELNS1_11target_archE908ELNS1_3gpuE7ELNS1_3repE0EEENS1_30default_config_static_selectorELNS0_4arch9wavefront6targetE0EEEvS12_.has_indirect_call, 0
	.section	.AMDGPU.csdata,"",@progbits
; Kernel info:
; codeLenInByte = 0
; TotalNumSgprs: 0
; NumVgprs: 0
; ScratchSize: 0
; MemoryBound: 0
; FloatMode: 240
; IeeeMode: 1
; LDSByteSize: 0 bytes/workgroup (compile time only)
; SGPRBlocks: 0
; VGPRBlocks: 0
; NumSGPRsForWavesPerEU: 1
; NumVGPRsForWavesPerEU: 1
; Occupancy: 16
; WaveLimiterHint : 0
; COMPUTE_PGM_RSRC2:SCRATCH_EN: 0
; COMPUTE_PGM_RSRC2:USER_SGPR: 6
; COMPUTE_PGM_RSRC2:TRAP_HANDLER: 0
; COMPUTE_PGM_RSRC2:TGID_X_EN: 1
; COMPUTE_PGM_RSRC2:TGID_Y_EN: 0
; COMPUTE_PGM_RSRC2:TGID_Z_EN: 0
; COMPUTE_PGM_RSRC2:TIDIG_COMP_CNT: 0
	.section	.text._ZN7rocprim17ROCPRIM_400000_NS6detail17trampoline_kernelINS0_13select_configILj256ELj13ELNS0_17block_load_methodE3ELS4_3ELS4_3ELNS0_20block_scan_algorithmE0ELj4294967295EEENS1_25partition_config_selectorILNS1_17partition_subalgoE4EjNS0_10empty_typeEbEEZZNS1_14partition_implILS8_4ELb0ES6_15HIP_vector_typeIjLj2EENS0_17counting_iteratorIjlEEPS9_SG_NS0_5tupleIJPjSI_NS0_16reverse_iteratorISI_EEEEENSH_IJSG_SG_SG_EEES9_SI_JZNS1_25segmented_radix_sort_implINS0_14default_configELb1EPKhPhPKlPlN2at6native12_GLOBAL__N_18offset_tEEE10hipError_tPvRmT1_PNSt15iterator_traitsIS12_E10value_typeET2_T3_PNS13_IS18_E10value_typeET4_jRbjT5_S1E_jjP12ihipStream_tbEUljE_ZNSN_ISO_Lb1ESQ_SR_ST_SU_SY_EESZ_S10_S11_S12_S16_S17_S18_S1B_S1C_jS1D_jS1E_S1E_jjS1G_bEUljE0_EEESZ_S10_S11_S18_S1C_S1E_T6_T7_T9_mT8_S1G_bDpT10_ENKUlT_T0_E_clISt17integral_constantIbLb0EES1T_IbLb1EEEEDaS1P_S1Q_EUlS1P_E_NS1_11comp_targetILNS1_3genE2ELNS1_11target_archE906ELNS1_3gpuE6ELNS1_3repE0EEENS1_30default_config_static_selectorELNS0_4arch9wavefront6targetE0EEEvS12_,"axG",@progbits,_ZN7rocprim17ROCPRIM_400000_NS6detail17trampoline_kernelINS0_13select_configILj256ELj13ELNS0_17block_load_methodE3ELS4_3ELS4_3ELNS0_20block_scan_algorithmE0ELj4294967295EEENS1_25partition_config_selectorILNS1_17partition_subalgoE4EjNS0_10empty_typeEbEEZZNS1_14partition_implILS8_4ELb0ES6_15HIP_vector_typeIjLj2EENS0_17counting_iteratorIjlEEPS9_SG_NS0_5tupleIJPjSI_NS0_16reverse_iteratorISI_EEEEENSH_IJSG_SG_SG_EEES9_SI_JZNS1_25segmented_radix_sort_implINS0_14default_configELb1EPKhPhPKlPlN2at6native12_GLOBAL__N_18offset_tEEE10hipError_tPvRmT1_PNSt15iterator_traitsIS12_E10value_typeET2_T3_PNS13_IS18_E10value_typeET4_jRbjT5_S1E_jjP12ihipStream_tbEUljE_ZNSN_ISO_Lb1ESQ_SR_ST_SU_SY_EESZ_S10_S11_S12_S16_S17_S18_S1B_S1C_jS1D_jS1E_S1E_jjS1G_bEUljE0_EEESZ_S10_S11_S18_S1C_S1E_T6_T7_T9_mT8_S1G_bDpT10_ENKUlT_T0_E_clISt17integral_constantIbLb0EES1T_IbLb1EEEEDaS1P_S1Q_EUlS1P_E_NS1_11comp_targetILNS1_3genE2ELNS1_11target_archE906ELNS1_3gpuE6ELNS1_3repE0EEENS1_30default_config_static_selectorELNS0_4arch9wavefront6targetE0EEEvS12_,comdat
	.globl	_ZN7rocprim17ROCPRIM_400000_NS6detail17trampoline_kernelINS0_13select_configILj256ELj13ELNS0_17block_load_methodE3ELS4_3ELS4_3ELNS0_20block_scan_algorithmE0ELj4294967295EEENS1_25partition_config_selectorILNS1_17partition_subalgoE4EjNS0_10empty_typeEbEEZZNS1_14partition_implILS8_4ELb0ES6_15HIP_vector_typeIjLj2EENS0_17counting_iteratorIjlEEPS9_SG_NS0_5tupleIJPjSI_NS0_16reverse_iteratorISI_EEEEENSH_IJSG_SG_SG_EEES9_SI_JZNS1_25segmented_radix_sort_implINS0_14default_configELb1EPKhPhPKlPlN2at6native12_GLOBAL__N_18offset_tEEE10hipError_tPvRmT1_PNSt15iterator_traitsIS12_E10value_typeET2_T3_PNS13_IS18_E10value_typeET4_jRbjT5_S1E_jjP12ihipStream_tbEUljE_ZNSN_ISO_Lb1ESQ_SR_ST_SU_SY_EESZ_S10_S11_S12_S16_S17_S18_S1B_S1C_jS1D_jS1E_S1E_jjS1G_bEUljE0_EEESZ_S10_S11_S18_S1C_S1E_T6_T7_T9_mT8_S1G_bDpT10_ENKUlT_T0_E_clISt17integral_constantIbLb0EES1T_IbLb1EEEEDaS1P_S1Q_EUlS1P_E_NS1_11comp_targetILNS1_3genE2ELNS1_11target_archE906ELNS1_3gpuE6ELNS1_3repE0EEENS1_30default_config_static_selectorELNS0_4arch9wavefront6targetE0EEEvS12_ ; -- Begin function _ZN7rocprim17ROCPRIM_400000_NS6detail17trampoline_kernelINS0_13select_configILj256ELj13ELNS0_17block_load_methodE3ELS4_3ELS4_3ELNS0_20block_scan_algorithmE0ELj4294967295EEENS1_25partition_config_selectorILNS1_17partition_subalgoE4EjNS0_10empty_typeEbEEZZNS1_14partition_implILS8_4ELb0ES6_15HIP_vector_typeIjLj2EENS0_17counting_iteratorIjlEEPS9_SG_NS0_5tupleIJPjSI_NS0_16reverse_iteratorISI_EEEEENSH_IJSG_SG_SG_EEES9_SI_JZNS1_25segmented_radix_sort_implINS0_14default_configELb1EPKhPhPKlPlN2at6native12_GLOBAL__N_18offset_tEEE10hipError_tPvRmT1_PNSt15iterator_traitsIS12_E10value_typeET2_T3_PNS13_IS18_E10value_typeET4_jRbjT5_S1E_jjP12ihipStream_tbEUljE_ZNSN_ISO_Lb1ESQ_SR_ST_SU_SY_EESZ_S10_S11_S12_S16_S17_S18_S1B_S1C_jS1D_jS1E_S1E_jjS1G_bEUljE0_EEESZ_S10_S11_S18_S1C_S1E_T6_T7_T9_mT8_S1G_bDpT10_ENKUlT_T0_E_clISt17integral_constantIbLb0EES1T_IbLb1EEEEDaS1P_S1Q_EUlS1P_E_NS1_11comp_targetILNS1_3genE2ELNS1_11target_archE906ELNS1_3gpuE6ELNS1_3repE0EEENS1_30default_config_static_selectorELNS0_4arch9wavefront6targetE0EEEvS12_
	.p2align	8
	.type	_ZN7rocprim17ROCPRIM_400000_NS6detail17trampoline_kernelINS0_13select_configILj256ELj13ELNS0_17block_load_methodE3ELS4_3ELS4_3ELNS0_20block_scan_algorithmE0ELj4294967295EEENS1_25partition_config_selectorILNS1_17partition_subalgoE4EjNS0_10empty_typeEbEEZZNS1_14partition_implILS8_4ELb0ES6_15HIP_vector_typeIjLj2EENS0_17counting_iteratorIjlEEPS9_SG_NS0_5tupleIJPjSI_NS0_16reverse_iteratorISI_EEEEENSH_IJSG_SG_SG_EEES9_SI_JZNS1_25segmented_radix_sort_implINS0_14default_configELb1EPKhPhPKlPlN2at6native12_GLOBAL__N_18offset_tEEE10hipError_tPvRmT1_PNSt15iterator_traitsIS12_E10value_typeET2_T3_PNS13_IS18_E10value_typeET4_jRbjT5_S1E_jjP12ihipStream_tbEUljE_ZNSN_ISO_Lb1ESQ_SR_ST_SU_SY_EESZ_S10_S11_S12_S16_S17_S18_S1B_S1C_jS1D_jS1E_S1E_jjS1G_bEUljE0_EEESZ_S10_S11_S18_S1C_S1E_T6_T7_T9_mT8_S1G_bDpT10_ENKUlT_T0_E_clISt17integral_constantIbLb0EES1T_IbLb1EEEEDaS1P_S1Q_EUlS1P_E_NS1_11comp_targetILNS1_3genE2ELNS1_11target_archE906ELNS1_3gpuE6ELNS1_3repE0EEENS1_30default_config_static_selectorELNS0_4arch9wavefront6targetE0EEEvS12_,@function
_ZN7rocprim17ROCPRIM_400000_NS6detail17trampoline_kernelINS0_13select_configILj256ELj13ELNS0_17block_load_methodE3ELS4_3ELS4_3ELNS0_20block_scan_algorithmE0ELj4294967295EEENS1_25partition_config_selectorILNS1_17partition_subalgoE4EjNS0_10empty_typeEbEEZZNS1_14partition_implILS8_4ELb0ES6_15HIP_vector_typeIjLj2EENS0_17counting_iteratorIjlEEPS9_SG_NS0_5tupleIJPjSI_NS0_16reverse_iteratorISI_EEEEENSH_IJSG_SG_SG_EEES9_SI_JZNS1_25segmented_radix_sort_implINS0_14default_configELb1EPKhPhPKlPlN2at6native12_GLOBAL__N_18offset_tEEE10hipError_tPvRmT1_PNSt15iterator_traitsIS12_E10value_typeET2_T3_PNS13_IS18_E10value_typeET4_jRbjT5_S1E_jjP12ihipStream_tbEUljE_ZNSN_ISO_Lb1ESQ_SR_ST_SU_SY_EESZ_S10_S11_S12_S16_S17_S18_S1B_S1C_jS1D_jS1E_S1E_jjS1G_bEUljE0_EEESZ_S10_S11_S18_S1C_S1E_T6_T7_T9_mT8_S1G_bDpT10_ENKUlT_T0_E_clISt17integral_constantIbLb0EES1T_IbLb1EEEEDaS1P_S1Q_EUlS1P_E_NS1_11comp_targetILNS1_3genE2ELNS1_11target_archE906ELNS1_3gpuE6ELNS1_3repE0EEENS1_30default_config_static_selectorELNS0_4arch9wavefront6targetE0EEEvS12_: ; @_ZN7rocprim17ROCPRIM_400000_NS6detail17trampoline_kernelINS0_13select_configILj256ELj13ELNS0_17block_load_methodE3ELS4_3ELS4_3ELNS0_20block_scan_algorithmE0ELj4294967295EEENS1_25partition_config_selectorILNS1_17partition_subalgoE4EjNS0_10empty_typeEbEEZZNS1_14partition_implILS8_4ELb0ES6_15HIP_vector_typeIjLj2EENS0_17counting_iteratorIjlEEPS9_SG_NS0_5tupleIJPjSI_NS0_16reverse_iteratorISI_EEEEENSH_IJSG_SG_SG_EEES9_SI_JZNS1_25segmented_radix_sort_implINS0_14default_configELb1EPKhPhPKlPlN2at6native12_GLOBAL__N_18offset_tEEE10hipError_tPvRmT1_PNSt15iterator_traitsIS12_E10value_typeET2_T3_PNS13_IS18_E10value_typeET4_jRbjT5_S1E_jjP12ihipStream_tbEUljE_ZNSN_ISO_Lb1ESQ_SR_ST_SU_SY_EESZ_S10_S11_S12_S16_S17_S18_S1B_S1C_jS1D_jS1E_S1E_jjS1G_bEUljE0_EEESZ_S10_S11_S18_S1C_S1E_T6_T7_T9_mT8_S1G_bDpT10_ENKUlT_T0_E_clISt17integral_constantIbLb0EES1T_IbLb1EEEEDaS1P_S1Q_EUlS1P_E_NS1_11comp_targetILNS1_3genE2ELNS1_11target_archE906ELNS1_3gpuE6ELNS1_3repE0EEENS1_30default_config_static_selectorELNS0_4arch9wavefront6targetE0EEEvS12_
; %bb.0:
	.section	.rodata,"a",@progbits
	.p2align	6, 0x0
	.amdhsa_kernel _ZN7rocprim17ROCPRIM_400000_NS6detail17trampoline_kernelINS0_13select_configILj256ELj13ELNS0_17block_load_methodE3ELS4_3ELS4_3ELNS0_20block_scan_algorithmE0ELj4294967295EEENS1_25partition_config_selectorILNS1_17partition_subalgoE4EjNS0_10empty_typeEbEEZZNS1_14partition_implILS8_4ELb0ES6_15HIP_vector_typeIjLj2EENS0_17counting_iteratorIjlEEPS9_SG_NS0_5tupleIJPjSI_NS0_16reverse_iteratorISI_EEEEENSH_IJSG_SG_SG_EEES9_SI_JZNS1_25segmented_radix_sort_implINS0_14default_configELb1EPKhPhPKlPlN2at6native12_GLOBAL__N_18offset_tEEE10hipError_tPvRmT1_PNSt15iterator_traitsIS12_E10value_typeET2_T3_PNS13_IS18_E10value_typeET4_jRbjT5_S1E_jjP12ihipStream_tbEUljE_ZNSN_ISO_Lb1ESQ_SR_ST_SU_SY_EESZ_S10_S11_S12_S16_S17_S18_S1B_S1C_jS1D_jS1E_S1E_jjS1G_bEUljE0_EEESZ_S10_S11_S18_S1C_S1E_T6_T7_T9_mT8_S1G_bDpT10_ENKUlT_T0_E_clISt17integral_constantIbLb0EES1T_IbLb1EEEEDaS1P_S1Q_EUlS1P_E_NS1_11comp_targetILNS1_3genE2ELNS1_11target_archE906ELNS1_3gpuE6ELNS1_3repE0EEENS1_30default_config_static_selectorELNS0_4arch9wavefront6targetE0EEEvS12_
		.amdhsa_group_segment_fixed_size 0
		.amdhsa_private_segment_fixed_size 0
		.amdhsa_kernarg_size 184
		.amdhsa_user_sgpr_count 6
		.amdhsa_user_sgpr_private_segment_buffer 1
		.amdhsa_user_sgpr_dispatch_ptr 0
		.amdhsa_user_sgpr_queue_ptr 0
		.amdhsa_user_sgpr_kernarg_segment_ptr 1
		.amdhsa_user_sgpr_dispatch_id 0
		.amdhsa_user_sgpr_flat_scratch_init 0
		.amdhsa_user_sgpr_private_segment_size 0
		.amdhsa_wavefront_size32 1
		.amdhsa_uses_dynamic_stack 0
		.amdhsa_system_sgpr_private_segment_wavefront_offset 0
		.amdhsa_system_sgpr_workgroup_id_x 1
		.amdhsa_system_sgpr_workgroup_id_y 0
		.amdhsa_system_sgpr_workgroup_id_z 0
		.amdhsa_system_sgpr_workgroup_info 0
		.amdhsa_system_vgpr_workitem_id 0
		.amdhsa_next_free_vgpr 1
		.amdhsa_next_free_sgpr 1
		.amdhsa_reserve_vcc 0
		.amdhsa_reserve_flat_scratch 0
		.amdhsa_float_round_mode_32 0
		.amdhsa_float_round_mode_16_64 0
		.amdhsa_float_denorm_mode_32 3
		.amdhsa_float_denorm_mode_16_64 3
		.amdhsa_dx10_clamp 1
		.amdhsa_ieee_mode 1
		.amdhsa_fp16_overflow 0
		.amdhsa_workgroup_processor_mode 1
		.amdhsa_memory_ordered 1
		.amdhsa_forward_progress 1
		.amdhsa_shared_vgpr_count 0
		.amdhsa_exception_fp_ieee_invalid_op 0
		.amdhsa_exception_fp_denorm_src 0
		.amdhsa_exception_fp_ieee_div_zero 0
		.amdhsa_exception_fp_ieee_overflow 0
		.amdhsa_exception_fp_ieee_underflow 0
		.amdhsa_exception_fp_ieee_inexact 0
		.amdhsa_exception_int_div_zero 0
	.end_amdhsa_kernel
	.section	.text._ZN7rocprim17ROCPRIM_400000_NS6detail17trampoline_kernelINS0_13select_configILj256ELj13ELNS0_17block_load_methodE3ELS4_3ELS4_3ELNS0_20block_scan_algorithmE0ELj4294967295EEENS1_25partition_config_selectorILNS1_17partition_subalgoE4EjNS0_10empty_typeEbEEZZNS1_14partition_implILS8_4ELb0ES6_15HIP_vector_typeIjLj2EENS0_17counting_iteratorIjlEEPS9_SG_NS0_5tupleIJPjSI_NS0_16reverse_iteratorISI_EEEEENSH_IJSG_SG_SG_EEES9_SI_JZNS1_25segmented_radix_sort_implINS0_14default_configELb1EPKhPhPKlPlN2at6native12_GLOBAL__N_18offset_tEEE10hipError_tPvRmT1_PNSt15iterator_traitsIS12_E10value_typeET2_T3_PNS13_IS18_E10value_typeET4_jRbjT5_S1E_jjP12ihipStream_tbEUljE_ZNSN_ISO_Lb1ESQ_SR_ST_SU_SY_EESZ_S10_S11_S12_S16_S17_S18_S1B_S1C_jS1D_jS1E_S1E_jjS1G_bEUljE0_EEESZ_S10_S11_S18_S1C_S1E_T6_T7_T9_mT8_S1G_bDpT10_ENKUlT_T0_E_clISt17integral_constantIbLb0EES1T_IbLb1EEEEDaS1P_S1Q_EUlS1P_E_NS1_11comp_targetILNS1_3genE2ELNS1_11target_archE906ELNS1_3gpuE6ELNS1_3repE0EEENS1_30default_config_static_selectorELNS0_4arch9wavefront6targetE0EEEvS12_,"axG",@progbits,_ZN7rocprim17ROCPRIM_400000_NS6detail17trampoline_kernelINS0_13select_configILj256ELj13ELNS0_17block_load_methodE3ELS4_3ELS4_3ELNS0_20block_scan_algorithmE0ELj4294967295EEENS1_25partition_config_selectorILNS1_17partition_subalgoE4EjNS0_10empty_typeEbEEZZNS1_14partition_implILS8_4ELb0ES6_15HIP_vector_typeIjLj2EENS0_17counting_iteratorIjlEEPS9_SG_NS0_5tupleIJPjSI_NS0_16reverse_iteratorISI_EEEEENSH_IJSG_SG_SG_EEES9_SI_JZNS1_25segmented_radix_sort_implINS0_14default_configELb1EPKhPhPKlPlN2at6native12_GLOBAL__N_18offset_tEEE10hipError_tPvRmT1_PNSt15iterator_traitsIS12_E10value_typeET2_T3_PNS13_IS18_E10value_typeET4_jRbjT5_S1E_jjP12ihipStream_tbEUljE_ZNSN_ISO_Lb1ESQ_SR_ST_SU_SY_EESZ_S10_S11_S12_S16_S17_S18_S1B_S1C_jS1D_jS1E_S1E_jjS1G_bEUljE0_EEESZ_S10_S11_S18_S1C_S1E_T6_T7_T9_mT8_S1G_bDpT10_ENKUlT_T0_E_clISt17integral_constantIbLb0EES1T_IbLb1EEEEDaS1P_S1Q_EUlS1P_E_NS1_11comp_targetILNS1_3genE2ELNS1_11target_archE906ELNS1_3gpuE6ELNS1_3repE0EEENS1_30default_config_static_selectorELNS0_4arch9wavefront6targetE0EEEvS12_,comdat
.Lfunc_end43:
	.size	_ZN7rocprim17ROCPRIM_400000_NS6detail17trampoline_kernelINS0_13select_configILj256ELj13ELNS0_17block_load_methodE3ELS4_3ELS4_3ELNS0_20block_scan_algorithmE0ELj4294967295EEENS1_25partition_config_selectorILNS1_17partition_subalgoE4EjNS0_10empty_typeEbEEZZNS1_14partition_implILS8_4ELb0ES6_15HIP_vector_typeIjLj2EENS0_17counting_iteratorIjlEEPS9_SG_NS0_5tupleIJPjSI_NS0_16reverse_iteratorISI_EEEEENSH_IJSG_SG_SG_EEES9_SI_JZNS1_25segmented_radix_sort_implINS0_14default_configELb1EPKhPhPKlPlN2at6native12_GLOBAL__N_18offset_tEEE10hipError_tPvRmT1_PNSt15iterator_traitsIS12_E10value_typeET2_T3_PNS13_IS18_E10value_typeET4_jRbjT5_S1E_jjP12ihipStream_tbEUljE_ZNSN_ISO_Lb1ESQ_SR_ST_SU_SY_EESZ_S10_S11_S12_S16_S17_S18_S1B_S1C_jS1D_jS1E_S1E_jjS1G_bEUljE0_EEESZ_S10_S11_S18_S1C_S1E_T6_T7_T9_mT8_S1G_bDpT10_ENKUlT_T0_E_clISt17integral_constantIbLb0EES1T_IbLb1EEEEDaS1P_S1Q_EUlS1P_E_NS1_11comp_targetILNS1_3genE2ELNS1_11target_archE906ELNS1_3gpuE6ELNS1_3repE0EEENS1_30default_config_static_selectorELNS0_4arch9wavefront6targetE0EEEvS12_, .Lfunc_end43-_ZN7rocprim17ROCPRIM_400000_NS6detail17trampoline_kernelINS0_13select_configILj256ELj13ELNS0_17block_load_methodE3ELS4_3ELS4_3ELNS0_20block_scan_algorithmE0ELj4294967295EEENS1_25partition_config_selectorILNS1_17partition_subalgoE4EjNS0_10empty_typeEbEEZZNS1_14partition_implILS8_4ELb0ES6_15HIP_vector_typeIjLj2EENS0_17counting_iteratorIjlEEPS9_SG_NS0_5tupleIJPjSI_NS0_16reverse_iteratorISI_EEEEENSH_IJSG_SG_SG_EEES9_SI_JZNS1_25segmented_radix_sort_implINS0_14default_configELb1EPKhPhPKlPlN2at6native12_GLOBAL__N_18offset_tEEE10hipError_tPvRmT1_PNSt15iterator_traitsIS12_E10value_typeET2_T3_PNS13_IS18_E10value_typeET4_jRbjT5_S1E_jjP12ihipStream_tbEUljE_ZNSN_ISO_Lb1ESQ_SR_ST_SU_SY_EESZ_S10_S11_S12_S16_S17_S18_S1B_S1C_jS1D_jS1E_S1E_jjS1G_bEUljE0_EEESZ_S10_S11_S18_S1C_S1E_T6_T7_T9_mT8_S1G_bDpT10_ENKUlT_T0_E_clISt17integral_constantIbLb0EES1T_IbLb1EEEEDaS1P_S1Q_EUlS1P_E_NS1_11comp_targetILNS1_3genE2ELNS1_11target_archE906ELNS1_3gpuE6ELNS1_3repE0EEENS1_30default_config_static_selectorELNS0_4arch9wavefront6targetE0EEEvS12_
                                        ; -- End function
	.set _ZN7rocprim17ROCPRIM_400000_NS6detail17trampoline_kernelINS0_13select_configILj256ELj13ELNS0_17block_load_methodE3ELS4_3ELS4_3ELNS0_20block_scan_algorithmE0ELj4294967295EEENS1_25partition_config_selectorILNS1_17partition_subalgoE4EjNS0_10empty_typeEbEEZZNS1_14partition_implILS8_4ELb0ES6_15HIP_vector_typeIjLj2EENS0_17counting_iteratorIjlEEPS9_SG_NS0_5tupleIJPjSI_NS0_16reverse_iteratorISI_EEEEENSH_IJSG_SG_SG_EEES9_SI_JZNS1_25segmented_radix_sort_implINS0_14default_configELb1EPKhPhPKlPlN2at6native12_GLOBAL__N_18offset_tEEE10hipError_tPvRmT1_PNSt15iterator_traitsIS12_E10value_typeET2_T3_PNS13_IS18_E10value_typeET4_jRbjT5_S1E_jjP12ihipStream_tbEUljE_ZNSN_ISO_Lb1ESQ_SR_ST_SU_SY_EESZ_S10_S11_S12_S16_S17_S18_S1B_S1C_jS1D_jS1E_S1E_jjS1G_bEUljE0_EEESZ_S10_S11_S18_S1C_S1E_T6_T7_T9_mT8_S1G_bDpT10_ENKUlT_T0_E_clISt17integral_constantIbLb0EES1T_IbLb1EEEEDaS1P_S1Q_EUlS1P_E_NS1_11comp_targetILNS1_3genE2ELNS1_11target_archE906ELNS1_3gpuE6ELNS1_3repE0EEENS1_30default_config_static_selectorELNS0_4arch9wavefront6targetE0EEEvS12_.num_vgpr, 0
	.set _ZN7rocprim17ROCPRIM_400000_NS6detail17trampoline_kernelINS0_13select_configILj256ELj13ELNS0_17block_load_methodE3ELS4_3ELS4_3ELNS0_20block_scan_algorithmE0ELj4294967295EEENS1_25partition_config_selectorILNS1_17partition_subalgoE4EjNS0_10empty_typeEbEEZZNS1_14partition_implILS8_4ELb0ES6_15HIP_vector_typeIjLj2EENS0_17counting_iteratorIjlEEPS9_SG_NS0_5tupleIJPjSI_NS0_16reverse_iteratorISI_EEEEENSH_IJSG_SG_SG_EEES9_SI_JZNS1_25segmented_radix_sort_implINS0_14default_configELb1EPKhPhPKlPlN2at6native12_GLOBAL__N_18offset_tEEE10hipError_tPvRmT1_PNSt15iterator_traitsIS12_E10value_typeET2_T3_PNS13_IS18_E10value_typeET4_jRbjT5_S1E_jjP12ihipStream_tbEUljE_ZNSN_ISO_Lb1ESQ_SR_ST_SU_SY_EESZ_S10_S11_S12_S16_S17_S18_S1B_S1C_jS1D_jS1E_S1E_jjS1G_bEUljE0_EEESZ_S10_S11_S18_S1C_S1E_T6_T7_T9_mT8_S1G_bDpT10_ENKUlT_T0_E_clISt17integral_constantIbLb0EES1T_IbLb1EEEEDaS1P_S1Q_EUlS1P_E_NS1_11comp_targetILNS1_3genE2ELNS1_11target_archE906ELNS1_3gpuE6ELNS1_3repE0EEENS1_30default_config_static_selectorELNS0_4arch9wavefront6targetE0EEEvS12_.num_agpr, 0
	.set _ZN7rocprim17ROCPRIM_400000_NS6detail17trampoline_kernelINS0_13select_configILj256ELj13ELNS0_17block_load_methodE3ELS4_3ELS4_3ELNS0_20block_scan_algorithmE0ELj4294967295EEENS1_25partition_config_selectorILNS1_17partition_subalgoE4EjNS0_10empty_typeEbEEZZNS1_14partition_implILS8_4ELb0ES6_15HIP_vector_typeIjLj2EENS0_17counting_iteratorIjlEEPS9_SG_NS0_5tupleIJPjSI_NS0_16reverse_iteratorISI_EEEEENSH_IJSG_SG_SG_EEES9_SI_JZNS1_25segmented_radix_sort_implINS0_14default_configELb1EPKhPhPKlPlN2at6native12_GLOBAL__N_18offset_tEEE10hipError_tPvRmT1_PNSt15iterator_traitsIS12_E10value_typeET2_T3_PNS13_IS18_E10value_typeET4_jRbjT5_S1E_jjP12ihipStream_tbEUljE_ZNSN_ISO_Lb1ESQ_SR_ST_SU_SY_EESZ_S10_S11_S12_S16_S17_S18_S1B_S1C_jS1D_jS1E_S1E_jjS1G_bEUljE0_EEESZ_S10_S11_S18_S1C_S1E_T6_T7_T9_mT8_S1G_bDpT10_ENKUlT_T0_E_clISt17integral_constantIbLb0EES1T_IbLb1EEEEDaS1P_S1Q_EUlS1P_E_NS1_11comp_targetILNS1_3genE2ELNS1_11target_archE906ELNS1_3gpuE6ELNS1_3repE0EEENS1_30default_config_static_selectorELNS0_4arch9wavefront6targetE0EEEvS12_.numbered_sgpr, 0
	.set _ZN7rocprim17ROCPRIM_400000_NS6detail17trampoline_kernelINS0_13select_configILj256ELj13ELNS0_17block_load_methodE3ELS4_3ELS4_3ELNS0_20block_scan_algorithmE0ELj4294967295EEENS1_25partition_config_selectorILNS1_17partition_subalgoE4EjNS0_10empty_typeEbEEZZNS1_14partition_implILS8_4ELb0ES6_15HIP_vector_typeIjLj2EENS0_17counting_iteratorIjlEEPS9_SG_NS0_5tupleIJPjSI_NS0_16reverse_iteratorISI_EEEEENSH_IJSG_SG_SG_EEES9_SI_JZNS1_25segmented_radix_sort_implINS0_14default_configELb1EPKhPhPKlPlN2at6native12_GLOBAL__N_18offset_tEEE10hipError_tPvRmT1_PNSt15iterator_traitsIS12_E10value_typeET2_T3_PNS13_IS18_E10value_typeET4_jRbjT5_S1E_jjP12ihipStream_tbEUljE_ZNSN_ISO_Lb1ESQ_SR_ST_SU_SY_EESZ_S10_S11_S12_S16_S17_S18_S1B_S1C_jS1D_jS1E_S1E_jjS1G_bEUljE0_EEESZ_S10_S11_S18_S1C_S1E_T6_T7_T9_mT8_S1G_bDpT10_ENKUlT_T0_E_clISt17integral_constantIbLb0EES1T_IbLb1EEEEDaS1P_S1Q_EUlS1P_E_NS1_11comp_targetILNS1_3genE2ELNS1_11target_archE906ELNS1_3gpuE6ELNS1_3repE0EEENS1_30default_config_static_selectorELNS0_4arch9wavefront6targetE0EEEvS12_.num_named_barrier, 0
	.set _ZN7rocprim17ROCPRIM_400000_NS6detail17trampoline_kernelINS0_13select_configILj256ELj13ELNS0_17block_load_methodE3ELS4_3ELS4_3ELNS0_20block_scan_algorithmE0ELj4294967295EEENS1_25partition_config_selectorILNS1_17partition_subalgoE4EjNS0_10empty_typeEbEEZZNS1_14partition_implILS8_4ELb0ES6_15HIP_vector_typeIjLj2EENS0_17counting_iteratorIjlEEPS9_SG_NS0_5tupleIJPjSI_NS0_16reverse_iteratorISI_EEEEENSH_IJSG_SG_SG_EEES9_SI_JZNS1_25segmented_radix_sort_implINS0_14default_configELb1EPKhPhPKlPlN2at6native12_GLOBAL__N_18offset_tEEE10hipError_tPvRmT1_PNSt15iterator_traitsIS12_E10value_typeET2_T3_PNS13_IS18_E10value_typeET4_jRbjT5_S1E_jjP12ihipStream_tbEUljE_ZNSN_ISO_Lb1ESQ_SR_ST_SU_SY_EESZ_S10_S11_S12_S16_S17_S18_S1B_S1C_jS1D_jS1E_S1E_jjS1G_bEUljE0_EEESZ_S10_S11_S18_S1C_S1E_T6_T7_T9_mT8_S1G_bDpT10_ENKUlT_T0_E_clISt17integral_constantIbLb0EES1T_IbLb1EEEEDaS1P_S1Q_EUlS1P_E_NS1_11comp_targetILNS1_3genE2ELNS1_11target_archE906ELNS1_3gpuE6ELNS1_3repE0EEENS1_30default_config_static_selectorELNS0_4arch9wavefront6targetE0EEEvS12_.private_seg_size, 0
	.set _ZN7rocprim17ROCPRIM_400000_NS6detail17trampoline_kernelINS0_13select_configILj256ELj13ELNS0_17block_load_methodE3ELS4_3ELS4_3ELNS0_20block_scan_algorithmE0ELj4294967295EEENS1_25partition_config_selectorILNS1_17partition_subalgoE4EjNS0_10empty_typeEbEEZZNS1_14partition_implILS8_4ELb0ES6_15HIP_vector_typeIjLj2EENS0_17counting_iteratorIjlEEPS9_SG_NS0_5tupleIJPjSI_NS0_16reverse_iteratorISI_EEEEENSH_IJSG_SG_SG_EEES9_SI_JZNS1_25segmented_radix_sort_implINS0_14default_configELb1EPKhPhPKlPlN2at6native12_GLOBAL__N_18offset_tEEE10hipError_tPvRmT1_PNSt15iterator_traitsIS12_E10value_typeET2_T3_PNS13_IS18_E10value_typeET4_jRbjT5_S1E_jjP12ihipStream_tbEUljE_ZNSN_ISO_Lb1ESQ_SR_ST_SU_SY_EESZ_S10_S11_S12_S16_S17_S18_S1B_S1C_jS1D_jS1E_S1E_jjS1G_bEUljE0_EEESZ_S10_S11_S18_S1C_S1E_T6_T7_T9_mT8_S1G_bDpT10_ENKUlT_T0_E_clISt17integral_constantIbLb0EES1T_IbLb1EEEEDaS1P_S1Q_EUlS1P_E_NS1_11comp_targetILNS1_3genE2ELNS1_11target_archE906ELNS1_3gpuE6ELNS1_3repE0EEENS1_30default_config_static_selectorELNS0_4arch9wavefront6targetE0EEEvS12_.uses_vcc, 0
	.set _ZN7rocprim17ROCPRIM_400000_NS6detail17trampoline_kernelINS0_13select_configILj256ELj13ELNS0_17block_load_methodE3ELS4_3ELS4_3ELNS0_20block_scan_algorithmE0ELj4294967295EEENS1_25partition_config_selectorILNS1_17partition_subalgoE4EjNS0_10empty_typeEbEEZZNS1_14partition_implILS8_4ELb0ES6_15HIP_vector_typeIjLj2EENS0_17counting_iteratorIjlEEPS9_SG_NS0_5tupleIJPjSI_NS0_16reverse_iteratorISI_EEEEENSH_IJSG_SG_SG_EEES9_SI_JZNS1_25segmented_radix_sort_implINS0_14default_configELb1EPKhPhPKlPlN2at6native12_GLOBAL__N_18offset_tEEE10hipError_tPvRmT1_PNSt15iterator_traitsIS12_E10value_typeET2_T3_PNS13_IS18_E10value_typeET4_jRbjT5_S1E_jjP12ihipStream_tbEUljE_ZNSN_ISO_Lb1ESQ_SR_ST_SU_SY_EESZ_S10_S11_S12_S16_S17_S18_S1B_S1C_jS1D_jS1E_S1E_jjS1G_bEUljE0_EEESZ_S10_S11_S18_S1C_S1E_T6_T7_T9_mT8_S1G_bDpT10_ENKUlT_T0_E_clISt17integral_constantIbLb0EES1T_IbLb1EEEEDaS1P_S1Q_EUlS1P_E_NS1_11comp_targetILNS1_3genE2ELNS1_11target_archE906ELNS1_3gpuE6ELNS1_3repE0EEENS1_30default_config_static_selectorELNS0_4arch9wavefront6targetE0EEEvS12_.uses_flat_scratch, 0
	.set _ZN7rocprim17ROCPRIM_400000_NS6detail17trampoline_kernelINS0_13select_configILj256ELj13ELNS0_17block_load_methodE3ELS4_3ELS4_3ELNS0_20block_scan_algorithmE0ELj4294967295EEENS1_25partition_config_selectorILNS1_17partition_subalgoE4EjNS0_10empty_typeEbEEZZNS1_14partition_implILS8_4ELb0ES6_15HIP_vector_typeIjLj2EENS0_17counting_iteratorIjlEEPS9_SG_NS0_5tupleIJPjSI_NS0_16reverse_iteratorISI_EEEEENSH_IJSG_SG_SG_EEES9_SI_JZNS1_25segmented_radix_sort_implINS0_14default_configELb1EPKhPhPKlPlN2at6native12_GLOBAL__N_18offset_tEEE10hipError_tPvRmT1_PNSt15iterator_traitsIS12_E10value_typeET2_T3_PNS13_IS18_E10value_typeET4_jRbjT5_S1E_jjP12ihipStream_tbEUljE_ZNSN_ISO_Lb1ESQ_SR_ST_SU_SY_EESZ_S10_S11_S12_S16_S17_S18_S1B_S1C_jS1D_jS1E_S1E_jjS1G_bEUljE0_EEESZ_S10_S11_S18_S1C_S1E_T6_T7_T9_mT8_S1G_bDpT10_ENKUlT_T0_E_clISt17integral_constantIbLb0EES1T_IbLb1EEEEDaS1P_S1Q_EUlS1P_E_NS1_11comp_targetILNS1_3genE2ELNS1_11target_archE906ELNS1_3gpuE6ELNS1_3repE0EEENS1_30default_config_static_selectorELNS0_4arch9wavefront6targetE0EEEvS12_.has_dyn_sized_stack, 0
	.set _ZN7rocprim17ROCPRIM_400000_NS6detail17trampoline_kernelINS0_13select_configILj256ELj13ELNS0_17block_load_methodE3ELS4_3ELS4_3ELNS0_20block_scan_algorithmE0ELj4294967295EEENS1_25partition_config_selectorILNS1_17partition_subalgoE4EjNS0_10empty_typeEbEEZZNS1_14partition_implILS8_4ELb0ES6_15HIP_vector_typeIjLj2EENS0_17counting_iteratorIjlEEPS9_SG_NS0_5tupleIJPjSI_NS0_16reverse_iteratorISI_EEEEENSH_IJSG_SG_SG_EEES9_SI_JZNS1_25segmented_radix_sort_implINS0_14default_configELb1EPKhPhPKlPlN2at6native12_GLOBAL__N_18offset_tEEE10hipError_tPvRmT1_PNSt15iterator_traitsIS12_E10value_typeET2_T3_PNS13_IS18_E10value_typeET4_jRbjT5_S1E_jjP12ihipStream_tbEUljE_ZNSN_ISO_Lb1ESQ_SR_ST_SU_SY_EESZ_S10_S11_S12_S16_S17_S18_S1B_S1C_jS1D_jS1E_S1E_jjS1G_bEUljE0_EEESZ_S10_S11_S18_S1C_S1E_T6_T7_T9_mT8_S1G_bDpT10_ENKUlT_T0_E_clISt17integral_constantIbLb0EES1T_IbLb1EEEEDaS1P_S1Q_EUlS1P_E_NS1_11comp_targetILNS1_3genE2ELNS1_11target_archE906ELNS1_3gpuE6ELNS1_3repE0EEENS1_30default_config_static_selectorELNS0_4arch9wavefront6targetE0EEEvS12_.has_recursion, 0
	.set _ZN7rocprim17ROCPRIM_400000_NS6detail17trampoline_kernelINS0_13select_configILj256ELj13ELNS0_17block_load_methodE3ELS4_3ELS4_3ELNS0_20block_scan_algorithmE0ELj4294967295EEENS1_25partition_config_selectorILNS1_17partition_subalgoE4EjNS0_10empty_typeEbEEZZNS1_14partition_implILS8_4ELb0ES6_15HIP_vector_typeIjLj2EENS0_17counting_iteratorIjlEEPS9_SG_NS0_5tupleIJPjSI_NS0_16reverse_iteratorISI_EEEEENSH_IJSG_SG_SG_EEES9_SI_JZNS1_25segmented_radix_sort_implINS0_14default_configELb1EPKhPhPKlPlN2at6native12_GLOBAL__N_18offset_tEEE10hipError_tPvRmT1_PNSt15iterator_traitsIS12_E10value_typeET2_T3_PNS13_IS18_E10value_typeET4_jRbjT5_S1E_jjP12ihipStream_tbEUljE_ZNSN_ISO_Lb1ESQ_SR_ST_SU_SY_EESZ_S10_S11_S12_S16_S17_S18_S1B_S1C_jS1D_jS1E_S1E_jjS1G_bEUljE0_EEESZ_S10_S11_S18_S1C_S1E_T6_T7_T9_mT8_S1G_bDpT10_ENKUlT_T0_E_clISt17integral_constantIbLb0EES1T_IbLb1EEEEDaS1P_S1Q_EUlS1P_E_NS1_11comp_targetILNS1_3genE2ELNS1_11target_archE906ELNS1_3gpuE6ELNS1_3repE0EEENS1_30default_config_static_selectorELNS0_4arch9wavefront6targetE0EEEvS12_.has_indirect_call, 0
	.section	.AMDGPU.csdata,"",@progbits
; Kernel info:
; codeLenInByte = 0
; TotalNumSgprs: 0
; NumVgprs: 0
; ScratchSize: 0
; MemoryBound: 0
; FloatMode: 240
; IeeeMode: 1
; LDSByteSize: 0 bytes/workgroup (compile time only)
; SGPRBlocks: 0
; VGPRBlocks: 0
; NumSGPRsForWavesPerEU: 1
; NumVGPRsForWavesPerEU: 1
; Occupancy: 16
; WaveLimiterHint : 0
; COMPUTE_PGM_RSRC2:SCRATCH_EN: 0
; COMPUTE_PGM_RSRC2:USER_SGPR: 6
; COMPUTE_PGM_RSRC2:TRAP_HANDLER: 0
; COMPUTE_PGM_RSRC2:TGID_X_EN: 1
; COMPUTE_PGM_RSRC2:TGID_Y_EN: 0
; COMPUTE_PGM_RSRC2:TGID_Z_EN: 0
; COMPUTE_PGM_RSRC2:TIDIG_COMP_CNT: 0
	.section	.text._ZN7rocprim17ROCPRIM_400000_NS6detail17trampoline_kernelINS0_13select_configILj256ELj13ELNS0_17block_load_methodE3ELS4_3ELS4_3ELNS0_20block_scan_algorithmE0ELj4294967295EEENS1_25partition_config_selectorILNS1_17partition_subalgoE4EjNS0_10empty_typeEbEEZZNS1_14partition_implILS8_4ELb0ES6_15HIP_vector_typeIjLj2EENS0_17counting_iteratorIjlEEPS9_SG_NS0_5tupleIJPjSI_NS0_16reverse_iteratorISI_EEEEENSH_IJSG_SG_SG_EEES9_SI_JZNS1_25segmented_radix_sort_implINS0_14default_configELb1EPKhPhPKlPlN2at6native12_GLOBAL__N_18offset_tEEE10hipError_tPvRmT1_PNSt15iterator_traitsIS12_E10value_typeET2_T3_PNS13_IS18_E10value_typeET4_jRbjT5_S1E_jjP12ihipStream_tbEUljE_ZNSN_ISO_Lb1ESQ_SR_ST_SU_SY_EESZ_S10_S11_S12_S16_S17_S18_S1B_S1C_jS1D_jS1E_S1E_jjS1G_bEUljE0_EEESZ_S10_S11_S18_S1C_S1E_T6_T7_T9_mT8_S1G_bDpT10_ENKUlT_T0_E_clISt17integral_constantIbLb0EES1T_IbLb1EEEEDaS1P_S1Q_EUlS1P_E_NS1_11comp_targetILNS1_3genE10ELNS1_11target_archE1200ELNS1_3gpuE4ELNS1_3repE0EEENS1_30default_config_static_selectorELNS0_4arch9wavefront6targetE0EEEvS12_,"axG",@progbits,_ZN7rocprim17ROCPRIM_400000_NS6detail17trampoline_kernelINS0_13select_configILj256ELj13ELNS0_17block_load_methodE3ELS4_3ELS4_3ELNS0_20block_scan_algorithmE0ELj4294967295EEENS1_25partition_config_selectorILNS1_17partition_subalgoE4EjNS0_10empty_typeEbEEZZNS1_14partition_implILS8_4ELb0ES6_15HIP_vector_typeIjLj2EENS0_17counting_iteratorIjlEEPS9_SG_NS0_5tupleIJPjSI_NS0_16reverse_iteratorISI_EEEEENSH_IJSG_SG_SG_EEES9_SI_JZNS1_25segmented_radix_sort_implINS0_14default_configELb1EPKhPhPKlPlN2at6native12_GLOBAL__N_18offset_tEEE10hipError_tPvRmT1_PNSt15iterator_traitsIS12_E10value_typeET2_T3_PNS13_IS18_E10value_typeET4_jRbjT5_S1E_jjP12ihipStream_tbEUljE_ZNSN_ISO_Lb1ESQ_SR_ST_SU_SY_EESZ_S10_S11_S12_S16_S17_S18_S1B_S1C_jS1D_jS1E_S1E_jjS1G_bEUljE0_EEESZ_S10_S11_S18_S1C_S1E_T6_T7_T9_mT8_S1G_bDpT10_ENKUlT_T0_E_clISt17integral_constantIbLb0EES1T_IbLb1EEEEDaS1P_S1Q_EUlS1P_E_NS1_11comp_targetILNS1_3genE10ELNS1_11target_archE1200ELNS1_3gpuE4ELNS1_3repE0EEENS1_30default_config_static_selectorELNS0_4arch9wavefront6targetE0EEEvS12_,comdat
	.globl	_ZN7rocprim17ROCPRIM_400000_NS6detail17trampoline_kernelINS0_13select_configILj256ELj13ELNS0_17block_load_methodE3ELS4_3ELS4_3ELNS0_20block_scan_algorithmE0ELj4294967295EEENS1_25partition_config_selectorILNS1_17partition_subalgoE4EjNS0_10empty_typeEbEEZZNS1_14partition_implILS8_4ELb0ES6_15HIP_vector_typeIjLj2EENS0_17counting_iteratorIjlEEPS9_SG_NS0_5tupleIJPjSI_NS0_16reverse_iteratorISI_EEEEENSH_IJSG_SG_SG_EEES9_SI_JZNS1_25segmented_radix_sort_implINS0_14default_configELb1EPKhPhPKlPlN2at6native12_GLOBAL__N_18offset_tEEE10hipError_tPvRmT1_PNSt15iterator_traitsIS12_E10value_typeET2_T3_PNS13_IS18_E10value_typeET4_jRbjT5_S1E_jjP12ihipStream_tbEUljE_ZNSN_ISO_Lb1ESQ_SR_ST_SU_SY_EESZ_S10_S11_S12_S16_S17_S18_S1B_S1C_jS1D_jS1E_S1E_jjS1G_bEUljE0_EEESZ_S10_S11_S18_S1C_S1E_T6_T7_T9_mT8_S1G_bDpT10_ENKUlT_T0_E_clISt17integral_constantIbLb0EES1T_IbLb1EEEEDaS1P_S1Q_EUlS1P_E_NS1_11comp_targetILNS1_3genE10ELNS1_11target_archE1200ELNS1_3gpuE4ELNS1_3repE0EEENS1_30default_config_static_selectorELNS0_4arch9wavefront6targetE0EEEvS12_ ; -- Begin function _ZN7rocprim17ROCPRIM_400000_NS6detail17trampoline_kernelINS0_13select_configILj256ELj13ELNS0_17block_load_methodE3ELS4_3ELS4_3ELNS0_20block_scan_algorithmE0ELj4294967295EEENS1_25partition_config_selectorILNS1_17partition_subalgoE4EjNS0_10empty_typeEbEEZZNS1_14partition_implILS8_4ELb0ES6_15HIP_vector_typeIjLj2EENS0_17counting_iteratorIjlEEPS9_SG_NS0_5tupleIJPjSI_NS0_16reverse_iteratorISI_EEEEENSH_IJSG_SG_SG_EEES9_SI_JZNS1_25segmented_radix_sort_implINS0_14default_configELb1EPKhPhPKlPlN2at6native12_GLOBAL__N_18offset_tEEE10hipError_tPvRmT1_PNSt15iterator_traitsIS12_E10value_typeET2_T3_PNS13_IS18_E10value_typeET4_jRbjT5_S1E_jjP12ihipStream_tbEUljE_ZNSN_ISO_Lb1ESQ_SR_ST_SU_SY_EESZ_S10_S11_S12_S16_S17_S18_S1B_S1C_jS1D_jS1E_S1E_jjS1G_bEUljE0_EEESZ_S10_S11_S18_S1C_S1E_T6_T7_T9_mT8_S1G_bDpT10_ENKUlT_T0_E_clISt17integral_constantIbLb0EES1T_IbLb1EEEEDaS1P_S1Q_EUlS1P_E_NS1_11comp_targetILNS1_3genE10ELNS1_11target_archE1200ELNS1_3gpuE4ELNS1_3repE0EEENS1_30default_config_static_selectorELNS0_4arch9wavefront6targetE0EEEvS12_
	.p2align	8
	.type	_ZN7rocprim17ROCPRIM_400000_NS6detail17trampoline_kernelINS0_13select_configILj256ELj13ELNS0_17block_load_methodE3ELS4_3ELS4_3ELNS0_20block_scan_algorithmE0ELj4294967295EEENS1_25partition_config_selectorILNS1_17partition_subalgoE4EjNS0_10empty_typeEbEEZZNS1_14partition_implILS8_4ELb0ES6_15HIP_vector_typeIjLj2EENS0_17counting_iteratorIjlEEPS9_SG_NS0_5tupleIJPjSI_NS0_16reverse_iteratorISI_EEEEENSH_IJSG_SG_SG_EEES9_SI_JZNS1_25segmented_radix_sort_implINS0_14default_configELb1EPKhPhPKlPlN2at6native12_GLOBAL__N_18offset_tEEE10hipError_tPvRmT1_PNSt15iterator_traitsIS12_E10value_typeET2_T3_PNS13_IS18_E10value_typeET4_jRbjT5_S1E_jjP12ihipStream_tbEUljE_ZNSN_ISO_Lb1ESQ_SR_ST_SU_SY_EESZ_S10_S11_S12_S16_S17_S18_S1B_S1C_jS1D_jS1E_S1E_jjS1G_bEUljE0_EEESZ_S10_S11_S18_S1C_S1E_T6_T7_T9_mT8_S1G_bDpT10_ENKUlT_T0_E_clISt17integral_constantIbLb0EES1T_IbLb1EEEEDaS1P_S1Q_EUlS1P_E_NS1_11comp_targetILNS1_3genE10ELNS1_11target_archE1200ELNS1_3gpuE4ELNS1_3repE0EEENS1_30default_config_static_selectorELNS0_4arch9wavefront6targetE0EEEvS12_,@function
_ZN7rocprim17ROCPRIM_400000_NS6detail17trampoline_kernelINS0_13select_configILj256ELj13ELNS0_17block_load_methodE3ELS4_3ELS4_3ELNS0_20block_scan_algorithmE0ELj4294967295EEENS1_25partition_config_selectorILNS1_17partition_subalgoE4EjNS0_10empty_typeEbEEZZNS1_14partition_implILS8_4ELb0ES6_15HIP_vector_typeIjLj2EENS0_17counting_iteratorIjlEEPS9_SG_NS0_5tupleIJPjSI_NS0_16reverse_iteratorISI_EEEEENSH_IJSG_SG_SG_EEES9_SI_JZNS1_25segmented_radix_sort_implINS0_14default_configELb1EPKhPhPKlPlN2at6native12_GLOBAL__N_18offset_tEEE10hipError_tPvRmT1_PNSt15iterator_traitsIS12_E10value_typeET2_T3_PNS13_IS18_E10value_typeET4_jRbjT5_S1E_jjP12ihipStream_tbEUljE_ZNSN_ISO_Lb1ESQ_SR_ST_SU_SY_EESZ_S10_S11_S12_S16_S17_S18_S1B_S1C_jS1D_jS1E_S1E_jjS1G_bEUljE0_EEESZ_S10_S11_S18_S1C_S1E_T6_T7_T9_mT8_S1G_bDpT10_ENKUlT_T0_E_clISt17integral_constantIbLb0EES1T_IbLb1EEEEDaS1P_S1Q_EUlS1P_E_NS1_11comp_targetILNS1_3genE10ELNS1_11target_archE1200ELNS1_3gpuE4ELNS1_3repE0EEENS1_30default_config_static_selectorELNS0_4arch9wavefront6targetE0EEEvS12_: ; @_ZN7rocprim17ROCPRIM_400000_NS6detail17trampoline_kernelINS0_13select_configILj256ELj13ELNS0_17block_load_methodE3ELS4_3ELS4_3ELNS0_20block_scan_algorithmE0ELj4294967295EEENS1_25partition_config_selectorILNS1_17partition_subalgoE4EjNS0_10empty_typeEbEEZZNS1_14partition_implILS8_4ELb0ES6_15HIP_vector_typeIjLj2EENS0_17counting_iteratorIjlEEPS9_SG_NS0_5tupleIJPjSI_NS0_16reverse_iteratorISI_EEEEENSH_IJSG_SG_SG_EEES9_SI_JZNS1_25segmented_radix_sort_implINS0_14default_configELb1EPKhPhPKlPlN2at6native12_GLOBAL__N_18offset_tEEE10hipError_tPvRmT1_PNSt15iterator_traitsIS12_E10value_typeET2_T3_PNS13_IS18_E10value_typeET4_jRbjT5_S1E_jjP12ihipStream_tbEUljE_ZNSN_ISO_Lb1ESQ_SR_ST_SU_SY_EESZ_S10_S11_S12_S16_S17_S18_S1B_S1C_jS1D_jS1E_S1E_jjS1G_bEUljE0_EEESZ_S10_S11_S18_S1C_S1E_T6_T7_T9_mT8_S1G_bDpT10_ENKUlT_T0_E_clISt17integral_constantIbLb0EES1T_IbLb1EEEEDaS1P_S1Q_EUlS1P_E_NS1_11comp_targetILNS1_3genE10ELNS1_11target_archE1200ELNS1_3gpuE4ELNS1_3repE0EEENS1_30default_config_static_selectorELNS0_4arch9wavefront6targetE0EEEvS12_
; %bb.0:
	.section	.rodata,"a",@progbits
	.p2align	6, 0x0
	.amdhsa_kernel _ZN7rocprim17ROCPRIM_400000_NS6detail17trampoline_kernelINS0_13select_configILj256ELj13ELNS0_17block_load_methodE3ELS4_3ELS4_3ELNS0_20block_scan_algorithmE0ELj4294967295EEENS1_25partition_config_selectorILNS1_17partition_subalgoE4EjNS0_10empty_typeEbEEZZNS1_14partition_implILS8_4ELb0ES6_15HIP_vector_typeIjLj2EENS0_17counting_iteratorIjlEEPS9_SG_NS0_5tupleIJPjSI_NS0_16reverse_iteratorISI_EEEEENSH_IJSG_SG_SG_EEES9_SI_JZNS1_25segmented_radix_sort_implINS0_14default_configELb1EPKhPhPKlPlN2at6native12_GLOBAL__N_18offset_tEEE10hipError_tPvRmT1_PNSt15iterator_traitsIS12_E10value_typeET2_T3_PNS13_IS18_E10value_typeET4_jRbjT5_S1E_jjP12ihipStream_tbEUljE_ZNSN_ISO_Lb1ESQ_SR_ST_SU_SY_EESZ_S10_S11_S12_S16_S17_S18_S1B_S1C_jS1D_jS1E_S1E_jjS1G_bEUljE0_EEESZ_S10_S11_S18_S1C_S1E_T6_T7_T9_mT8_S1G_bDpT10_ENKUlT_T0_E_clISt17integral_constantIbLb0EES1T_IbLb1EEEEDaS1P_S1Q_EUlS1P_E_NS1_11comp_targetILNS1_3genE10ELNS1_11target_archE1200ELNS1_3gpuE4ELNS1_3repE0EEENS1_30default_config_static_selectorELNS0_4arch9wavefront6targetE0EEEvS12_
		.amdhsa_group_segment_fixed_size 0
		.amdhsa_private_segment_fixed_size 0
		.amdhsa_kernarg_size 184
		.amdhsa_user_sgpr_count 6
		.amdhsa_user_sgpr_private_segment_buffer 1
		.amdhsa_user_sgpr_dispatch_ptr 0
		.amdhsa_user_sgpr_queue_ptr 0
		.amdhsa_user_sgpr_kernarg_segment_ptr 1
		.amdhsa_user_sgpr_dispatch_id 0
		.amdhsa_user_sgpr_flat_scratch_init 0
		.amdhsa_user_sgpr_private_segment_size 0
		.amdhsa_wavefront_size32 1
		.amdhsa_uses_dynamic_stack 0
		.amdhsa_system_sgpr_private_segment_wavefront_offset 0
		.amdhsa_system_sgpr_workgroup_id_x 1
		.amdhsa_system_sgpr_workgroup_id_y 0
		.amdhsa_system_sgpr_workgroup_id_z 0
		.amdhsa_system_sgpr_workgroup_info 0
		.amdhsa_system_vgpr_workitem_id 0
		.amdhsa_next_free_vgpr 1
		.amdhsa_next_free_sgpr 1
		.amdhsa_reserve_vcc 0
		.amdhsa_reserve_flat_scratch 0
		.amdhsa_float_round_mode_32 0
		.amdhsa_float_round_mode_16_64 0
		.amdhsa_float_denorm_mode_32 3
		.amdhsa_float_denorm_mode_16_64 3
		.amdhsa_dx10_clamp 1
		.amdhsa_ieee_mode 1
		.amdhsa_fp16_overflow 0
		.amdhsa_workgroup_processor_mode 1
		.amdhsa_memory_ordered 1
		.amdhsa_forward_progress 1
		.amdhsa_shared_vgpr_count 0
		.amdhsa_exception_fp_ieee_invalid_op 0
		.amdhsa_exception_fp_denorm_src 0
		.amdhsa_exception_fp_ieee_div_zero 0
		.amdhsa_exception_fp_ieee_overflow 0
		.amdhsa_exception_fp_ieee_underflow 0
		.amdhsa_exception_fp_ieee_inexact 0
		.amdhsa_exception_int_div_zero 0
	.end_amdhsa_kernel
	.section	.text._ZN7rocprim17ROCPRIM_400000_NS6detail17trampoline_kernelINS0_13select_configILj256ELj13ELNS0_17block_load_methodE3ELS4_3ELS4_3ELNS0_20block_scan_algorithmE0ELj4294967295EEENS1_25partition_config_selectorILNS1_17partition_subalgoE4EjNS0_10empty_typeEbEEZZNS1_14partition_implILS8_4ELb0ES6_15HIP_vector_typeIjLj2EENS0_17counting_iteratorIjlEEPS9_SG_NS0_5tupleIJPjSI_NS0_16reverse_iteratorISI_EEEEENSH_IJSG_SG_SG_EEES9_SI_JZNS1_25segmented_radix_sort_implINS0_14default_configELb1EPKhPhPKlPlN2at6native12_GLOBAL__N_18offset_tEEE10hipError_tPvRmT1_PNSt15iterator_traitsIS12_E10value_typeET2_T3_PNS13_IS18_E10value_typeET4_jRbjT5_S1E_jjP12ihipStream_tbEUljE_ZNSN_ISO_Lb1ESQ_SR_ST_SU_SY_EESZ_S10_S11_S12_S16_S17_S18_S1B_S1C_jS1D_jS1E_S1E_jjS1G_bEUljE0_EEESZ_S10_S11_S18_S1C_S1E_T6_T7_T9_mT8_S1G_bDpT10_ENKUlT_T0_E_clISt17integral_constantIbLb0EES1T_IbLb1EEEEDaS1P_S1Q_EUlS1P_E_NS1_11comp_targetILNS1_3genE10ELNS1_11target_archE1200ELNS1_3gpuE4ELNS1_3repE0EEENS1_30default_config_static_selectorELNS0_4arch9wavefront6targetE0EEEvS12_,"axG",@progbits,_ZN7rocprim17ROCPRIM_400000_NS6detail17trampoline_kernelINS0_13select_configILj256ELj13ELNS0_17block_load_methodE3ELS4_3ELS4_3ELNS0_20block_scan_algorithmE0ELj4294967295EEENS1_25partition_config_selectorILNS1_17partition_subalgoE4EjNS0_10empty_typeEbEEZZNS1_14partition_implILS8_4ELb0ES6_15HIP_vector_typeIjLj2EENS0_17counting_iteratorIjlEEPS9_SG_NS0_5tupleIJPjSI_NS0_16reverse_iteratorISI_EEEEENSH_IJSG_SG_SG_EEES9_SI_JZNS1_25segmented_radix_sort_implINS0_14default_configELb1EPKhPhPKlPlN2at6native12_GLOBAL__N_18offset_tEEE10hipError_tPvRmT1_PNSt15iterator_traitsIS12_E10value_typeET2_T3_PNS13_IS18_E10value_typeET4_jRbjT5_S1E_jjP12ihipStream_tbEUljE_ZNSN_ISO_Lb1ESQ_SR_ST_SU_SY_EESZ_S10_S11_S12_S16_S17_S18_S1B_S1C_jS1D_jS1E_S1E_jjS1G_bEUljE0_EEESZ_S10_S11_S18_S1C_S1E_T6_T7_T9_mT8_S1G_bDpT10_ENKUlT_T0_E_clISt17integral_constantIbLb0EES1T_IbLb1EEEEDaS1P_S1Q_EUlS1P_E_NS1_11comp_targetILNS1_3genE10ELNS1_11target_archE1200ELNS1_3gpuE4ELNS1_3repE0EEENS1_30default_config_static_selectorELNS0_4arch9wavefront6targetE0EEEvS12_,comdat
.Lfunc_end44:
	.size	_ZN7rocprim17ROCPRIM_400000_NS6detail17trampoline_kernelINS0_13select_configILj256ELj13ELNS0_17block_load_methodE3ELS4_3ELS4_3ELNS0_20block_scan_algorithmE0ELj4294967295EEENS1_25partition_config_selectorILNS1_17partition_subalgoE4EjNS0_10empty_typeEbEEZZNS1_14partition_implILS8_4ELb0ES6_15HIP_vector_typeIjLj2EENS0_17counting_iteratorIjlEEPS9_SG_NS0_5tupleIJPjSI_NS0_16reverse_iteratorISI_EEEEENSH_IJSG_SG_SG_EEES9_SI_JZNS1_25segmented_radix_sort_implINS0_14default_configELb1EPKhPhPKlPlN2at6native12_GLOBAL__N_18offset_tEEE10hipError_tPvRmT1_PNSt15iterator_traitsIS12_E10value_typeET2_T3_PNS13_IS18_E10value_typeET4_jRbjT5_S1E_jjP12ihipStream_tbEUljE_ZNSN_ISO_Lb1ESQ_SR_ST_SU_SY_EESZ_S10_S11_S12_S16_S17_S18_S1B_S1C_jS1D_jS1E_S1E_jjS1G_bEUljE0_EEESZ_S10_S11_S18_S1C_S1E_T6_T7_T9_mT8_S1G_bDpT10_ENKUlT_T0_E_clISt17integral_constantIbLb0EES1T_IbLb1EEEEDaS1P_S1Q_EUlS1P_E_NS1_11comp_targetILNS1_3genE10ELNS1_11target_archE1200ELNS1_3gpuE4ELNS1_3repE0EEENS1_30default_config_static_selectorELNS0_4arch9wavefront6targetE0EEEvS12_, .Lfunc_end44-_ZN7rocprim17ROCPRIM_400000_NS6detail17trampoline_kernelINS0_13select_configILj256ELj13ELNS0_17block_load_methodE3ELS4_3ELS4_3ELNS0_20block_scan_algorithmE0ELj4294967295EEENS1_25partition_config_selectorILNS1_17partition_subalgoE4EjNS0_10empty_typeEbEEZZNS1_14partition_implILS8_4ELb0ES6_15HIP_vector_typeIjLj2EENS0_17counting_iteratorIjlEEPS9_SG_NS0_5tupleIJPjSI_NS0_16reverse_iteratorISI_EEEEENSH_IJSG_SG_SG_EEES9_SI_JZNS1_25segmented_radix_sort_implINS0_14default_configELb1EPKhPhPKlPlN2at6native12_GLOBAL__N_18offset_tEEE10hipError_tPvRmT1_PNSt15iterator_traitsIS12_E10value_typeET2_T3_PNS13_IS18_E10value_typeET4_jRbjT5_S1E_jjP12ihipStream_tbEUljE_ZNSN_ISO_Lb1ESQ_SR_ST_SU_SY_EESZ_S10_S11_S12_S16_S17_S18_S1B_S1C_jS1D_jS1E_S1E_jjS1G_bEUljE0_EEESZ_S10_S11_S18_S1C_S1E_T6_T7_T9_mT8_S1G_bDpT10_ENKUlT_T0_E_clISt17integral_constantIbLb0EES1T_IbLb1EEEEDaS1P_S1Q_EUlS1P_E_NS1_11comp_targetILNS1_3genE10ELNS1_11target_archE1200ELNS1_3gpuE4ELNS1_3repE0EEENS1_30default_config_static_selectorELNS0_4arch9wavefront6targetE0EEEvS12_
                                        ; -- End function
	.set _ZN7rocprim17ROCPRIM_400000_NS6detail17trampoline_kernelINS0_13select_configILj256ELj13ELNS0_17block_load_methodE3ELS4_3ELS4_3ELNS0_20block_scan_algorithmE0ELj4294967295EEENS1_25partition_config_selectorILNS1_17partition_subalgoE4EjNS0_10empty_typeEbEEZZNS1_14partition_implILS8_4ELb0ES6_15HIP_vector_typeIjLj2EENS0_17counting_iteratorIjlEEPS9_SG_NS0_5tupleIJPjSI_NS0_16reverse_iteratorISI_EEEEENSH_IJSG_SG_SG_EEES9_SI_JZNS1_25segmented_radix_sort_implINS0_14default_configELb1EPKhPhPKlPlN2at6native12_GLOBAL__N_18offset_tEEE10hipError_tPvRmT1_PNSt15iterator_traitsIS12_E10value_typeET2_T3_PNS13_IS18_E10value_typeET4_jRbjT5_S1E_jjP12ihipStream_tbEUljE_ZNSN_ISO_Lb1ESQ_SR_ST_SU_SY_EESZ_S10_S11_S12_S16_S17_S18_S1B_S1C_jS1D_jS1E_S1E_jjS1G_bEUljE0_EEESZ_S10_S11_S18_S1C_S1E_T6_T7_T9_mT8_S1G_bDpT10_ENKUlT_T0_E_clISt17integral_constantIbLb0EES1T_IbLb1EEEEDaS1P_S1Q_EUlS1P_E_NS1_11comp_targetILNS1_3genE10ELNS1_11target_archE1200ELNS1_3gpuE4ELNS1_3repE0EEENS1_30default_config_static_selectorELNS0_4arch9wavefront6targetE0EEEvS12_.num_vgpr, 0
	.set _ZN7rocprim17ROCPRIM_400000_NS6detail17trampoline_kernelINS0_13select_configILj256ELj13ELNS0_17block_load_methodE3ELS4_3ELS4_3ELNS0_20block_scan_algorithmE0ELj4294967295EEENS1_25partition_config_selectorILNS1_17partition_subalgoE4EjNS0_10empty_typeEbEEZZNS1_14partition_implILS8_4ELb0ES6_15HIP_vector_typeIjLj2EENS0_17counting_iteratorIjlEEPS9_SG_NS0_5tupleIJPjSI_NS0_16reverse_iteratorISI_EEEEENSH_IJSG_SG_SG_EEES9_SI_JZNS1_25segmented_radix_sort_implINS0_14default_configELb1EPKhPhPKlPlN2at6native12_GLOBAL__N_18offset_tEEE10hipError_tPvRmT1_PNSt15iterator_traitsIS12_E10value_typeET2_T3_PNS13_IS18_E10value_typeET4_jRbjT5_S1E_jjP12ihipStream_tbEUljE_ZNSN_ISO_Lb1ESQ_SR_ST_SU_SY_EESZ_S10_S11_S12_S16_S17_S18_S1B_S1C_jS1D_jS1E_S1E_jjS1G_bEUljE0_EEESZ_S10_S11_S18_S1C_S1E_T6_T7_T9_mT8_S1G_bDpT10_ENKUlT_T0_E_clISt17integral_constantIbLb0EES1T_IbLb1EEEEDaS1P_S1Q_EUlS1P_E_NS1_11comp_targetILNS1_3genE10ELNS1_11target_archE1200ELNS1_3gpuE4ELNS1_3repE0EEENS1_30default_config_static_selectorELNS0_4arch9wavefront6targetE0EEEvS12_.num_agpr, 0
	.set _ZN7rocprim17ROCPRIM_400000_NS6detail17trampoline_kernelINS0_13select_configILj256ELj13ELNS0_17block_load_methodE3ELS4_3ELS4_3ELNS0_20block_scan_algorithmE0ELj4294967295EEENS1_25partition_config_selectorILNS1_17partition_subalgoE4EjNS0_10empty_typeEbEEZZNS1_14partition_implILS8_4ELb0ES6_15HIP_vector_typeIjLj2EENS0_17counting_iteratorIjlEEPS9_SG_NS0_5tupleIJPjSI_NS0_16reverse_iteratorISI_EEEEENSH_IJSG_SG_SG_EEES9_SI_JZNS1_25segmented_radix_sort_implINS0_14default_configELb1EPKhPhPKlPlN2at6native12_GLOBAL__N_18offset_tEEE10hipError_tPvRmT1_PNSt15iterator_traitsIS12_E10value_typeET2_T3_PNS13_IS18_E10value_typeET4_jRbjT5_S1E_jjP12ihipStream_tbEUljE_ZNSN_ISO_Lb1ESQ_SR_ST_SU_SY_EESZ_S10_S11_S12_S16_S17_S18_S1B_S1C_jS1D_jS1E_S1E_jjS1G_bEUljE0_EEESZ_S10_S11_S18_S1C_S1E_T6_T7_T9_mT8_S1G_bDpT10_ENKUlT_T0_E_clISt17integral_constantIbLb0EES1T_IbLb1EEEEDaS1P_S1Q_EUlS1P_E_NS1_11comp_targetILNS1_3genE10ELNS1_11target_archE1200ELNS1_3gpuE4ELNS1_3repE0EEENS1_30default_config_static_selectorELNS0_4arch9wavefront6targetE0EEEvS12_.numbered_sgpr, 0
	.set _ZN7rocprim17ROCPRIM_400000_NS6detail17trampoline_kernelINS0_13select_configILj256ELj13ELNS0_17block_load_methodE3ELS4_3ELS4_3ELNS0_20block_scan_algorithmE0ELj4294967295EEENS1_25partition_config_selectorILNS1_17partition_subalgoE4EjNS0_10empty_typeEbEEZZNS1_14partition_implILS8_4ELb0ES6_15HIP_vector_typeIjLj2EENS0_17counting_iteratorIjlEEPS9_SG_NS0_5tupleIJPjSI_NS0_16reverse_iteratorISI_EEEEENSH_IJSG_SG_SG_EEES9_SI_JZNS1_25segmented_radix_sort_implINS0_14default_configELb1EPKhPhPKlPlN2at6native12_GLOBAL__N_18offset_tEEE10hipError_tPvRmT1_PNSt15iterator_traitsIS12_E10value_typeET2_T3_PNS13_IS18_E10value_typeET4_jRbjT5_S1E_jjP12ihipStream_tbEUljE_ZNSN_ISO_Lb1ESQ_SR_ST_SU_SY_EESZ_S10_S11_S12_S16_S17_S18_S1B_S1C_jS1D_jS1E_S1E_jjS1G_bEUljE0_EEESZ_S10_S11_S18_S1C_S1E_T6_T7_T9_mT8_S1G_bDpT10_ENKUlT_T0_E_clISt17integral_constantIbLb0EES1T_IbLb1EEEEDaS1P_S1Q_EUlS1P_E_NS1_11comp_targetILNS1_3genE10ELNS1_11target_archE1200ELNS1_3gpuE4ELNS1_3repE0EEENS1_30default_config_static_selectorELNS0_4arch9wavefront6targetE0EEEvS12_.num_named_barrier, 0
	.set _ZN7rocprim17ROCPRIM_400000_NS6detail17trampoline_kernelINS0_13select_configILj256ELj13ELNS0_17block_load_methodE3ELS4_3ELS4_3ELNS0_20block_scan_algorithmE0ELj4294967295EEENS1_25partition_config_selectorILNS1_17partition_subalgoE4EjNS0_10empty_typeEbEEZZNS1_14partition_implILS8_4ELb0ES6_15HIP_vector_typeIjLj2EENS0_17counting_iteratorIjlEEPS9_SG_NS0_5tupleIJPjSI_NS0_16reverse_iteratorISI_EEEEENSH_IJSG_SG_SG_EEES9_SI_JZNS1_25segmented_radix_sort_implINS0_14default_configELb1EPKhPhPKlPlN2at6native12_GLOBAL__N_18offset_tEEE10hipError_tPvRmT1_PNSt15iterator_traitsIS12_E10value_typeET2_T3_PNS13_IS18_E10value_typeET4_jRbjT5_S1E_jjP12ihipStream_tbEUljE_ZNSN_ISO_Lb1ESQ_SR_ST_SU_SY_EESZ_S10_S11_S12_S16_S17_S18_S1B_S1C_jS1D_jS1E_S1E_jjS1G_bEUljE0_EEESZ_S10_S11_S18_S1C_S1E_T6_T7_T9_mT8_S1G_bDpT10_ENKUlT_T0_E_clISt17integral_constantIbLb0EES1T_IbLb1EEEEDaS1P_S1Q_EUlS1P_E_NS1_11comp_targetILNS1_3genE10ELNS1_11target_archE1200ELNS1_3gpuE4ELNS1_3repE0EEENS1_30default_config_static_selectorELNS0_4arch9wavefront6targetE0EEEvS12_.private_seg_size, 0
	.set _ZN7rocprim17ROCPRIM_400000_NS6detail17trampoline_kernelINS0_13select_configILj256ELj13ELNS0_17block_load_methodE3ELS4_3ELS4_3ELNS0_20block_scan_algorithmE0ELj4294967295EEENS1_25partition_config_selectorILNS1_17partition_subalgoE4EjNS0_10empty_typeEbEEZZNS1_14partition_implILS8_4ELb0ES6_15HIP_vector_typeIjLj2EENS0_17counting_iteratorIjlEEPS9_SG_NS0_5tupleIJPjSI_NS0_16reverse_iteratorISI_EEEEENSH_IJSG_SG_SG_EEES9_SI_JZNS1_25segmented_radix_sort_implINS0_14default_configELb1EPKhPhPKlPlN2at6native12_GLOBAL__N_18offset_tEEE10hipError_tPvRmT1_PNSt15iterator_traitsIS12_E10value_typeET2_T3_PNS13_IS18_E10value_typeET4_jRbjT5_S1E_jjP12ihipStream_tbEUljE_ZNSN_ISO_Lb1ESQ_SR_ST_SU_SY_EESZ_S10_S11_S12_S16_S17_S18_S1B_S1C_jS1D_jS1E_S1E_jjS1G_bEUljE0_EEESZ_S10_S11_S18_S1C_S1E_T6_T7_T9_mT8_S1G_bDpT10_ENKUlT_T0_E_clISt17integral_constantIbLb0EES1T_IbLb1EEEEDaS1P_S1Q_EUlS1P_E_NS1_11comp_targetILNS1_3genE10ELNS1_11target_archE1200ELNS1_3gpuE4ELNS1_3repE0EEENS1_30default_config_static_selectorELNS0_4arch9wavefront6targetE0EEEvS12_.uses_vcc, 0
	.set _ZN7rocprim17ROCPRIM_400000_NS6detail17trampoline_kernelINS0_13select_configILj256ELj13ELNS0_17block_load_methodE3ELS4_3ELS4_3ELNS0_20block_scan_algorithmE0ELj4294967295EEENS1_25partition_config_selectorILNS1_17partition_subalgoE4EjNS0_10empty_typeEbEEZZNS1_14partition_implILS8_4ELb0ES6_15HIP_vector_typeIjLj2EENS0_17counting_iteratorIjlEEPS9_SG_NS0_5tupleIJPjSI_NS0_16reverse_iteratorISI_EEEEENSH_IJSG_SG_SG_EEES9_SI_JZNS1_25segmented_radix_sort_implINS0_14default_configELb1EPKhPhPKlPlN2at6native12_GLOBAL__N_18offset_tEEE10hipError_tPvRmT1_PNSt15iterator_traitsIS12_E10value_typeET2_T3_PNS13_IS18_E10value_typeET4_jRbjT5_S1E_jjP12ihipStream_tbEUljE_ZNSN_ISO_Lb1ESQ_SR_ST_SU_SY_EESZ_S10_S11_S12_S16_S17_S18_S1B_S1C_jS1D_jS1E_S1E_jjS1G_bEUljE0_EEESZ_S10_S11_S18_S1C_S1E_T6_T7_T9_mT8_S1G_bDpT10_ENKUlT_T0_E_clISt17integral_constantIbLb0EES1T_IbLb1EEEEDaS1P_S1Q_EUlS1P_E_NS1_11comp_targetILNS1_3genE10ELNS1_11target_archE1200ELNS1_3gpuE4ELNS1_3repE0EEENS1_30default_config_static_selectorELNS0_4arch9wavefront6targetE0EEEvS12_.uses_flat_scratch, 0
	.set _ZN7rocprim17ROCPRIM_400000_NS6detail17trampoline_kernelINS0_13select_configILj256ELj13ELNS0_17block_load_methodE3ELS4_3ELS4_3ELNS0_20block_scan_algorithmE0ELj4294967295EEENS1_25partition_config_selectorILNS1_17partition_subalgoE4EjNS0_10empty_typeEbEEZZNS1_14partition_implILS8_4ELb0ES6_15HIP_vector_typeIjLj2EENS0_17counting_iteratorIjlEEPS9_SG_NS0_5tupleIJPjSI_NS0_16reverse_iteratorISI_EEEEENSH_IJSG_SG_SG_EEES9_SI_JZNS1_25segmented_radix_sort_implINS0_14default_configELb1EPKhPhPKlPlN2at6native12_GLOBAL__N_18offset_tEEE10hipError_tPvRmT1_PNSt15iterator_traitsIS12_E10value_typeET2_T3_PNS13_IS18_E10value_typeET4_jRbjT5_S1E_jjP12ihipStream_tbEUljE_ZNSN_ISO_Lb1ESQ_SR_ST_SU_SY_EESZ_S10_S11_S12_S16_S17_S18_S1B_S1C_jS1D_jS1E_S1E_jjS1G_bEUljE0_EEESZ_S10_S11_S18_S1C_S1E_T6_T7_T9_mT8_S1G_bDpT10_ENKUlT_T0_E_clISt17integral_constantIbLb0EES1T_IbLb1EEEEDaS1P_S1Q_EUlS1P_E_NS1_11comp_targetILNS1_3genE10ELNS1_11target_archE1200ELNS1_3gpuE4ELNS1_3repE0EEENS1_30default_config_static_selectorELNS0_4arch9wavefront6targetE0EEEvS12_.has_dyn_sized_stack, 0
	.set _ZN7rocprim17ROCPRIM_400000_NS6detail17trampoline_kernelINS0_13select_configILj256ELj13ELNS0_17block_load_methodE3ELS4_3ELS4_3ELNS0_20block_scan_algorithmE0ELj4294967295EEENS1_25partition_config_selectorILNS1_17partition_subalgoE4EjNS0_10empty_typeEbEEZZNS1_14partition_implILS8_4ELb0ES6_15HIP_vector_typeIjLj2EENS0_17counting_iteratorIjlEEPS9_SG_NS0_5tupleIJPjSI_NS0_16reverse_iteratorISI_EEEEENSH_IJSG_SG_SG_EEES9_SI_JZNS1_25segmented_radix_sort_implINS0_14default_configELb1EPKhPhPKlPlN2at6native12_GLOBAL__N_18offset_tEEE10hipError_tPvRmT1_PNSt15iterator_traitsIS12_E10value_typeET2_T3_PNS13_IS18_E10value_typeET4_jRbjT5_S1E_jjP12ihipStream_tbEUljE_ZNSN_ISO_Lb1ESQ_SR_ST_SU_SY_EESZ_S10_S11_S12_S16_S17_S18_S1B_S1C_jS1D_jS1E_S1E_jjS1G_bEUljE0_EEESZ_S10_S11_S18_S1C_S1E_T6_T7_T9_mT8_S1G_bDpT10_ENKUlT_T0_E_clISt17integral_constantIbLb0EES1T_IbLb1EEEEDaS1P_S1Q_EUlS1P_E_NS1_11comp_targetILNS1_3genE10ELNS1_11target_archE1200ELNS1_3gpuE4ELNS1_3repE0EEENS1_30default_config_static_selectorELNS0_4arch9wavefront6targetE0EEEvS12_.has_recursion, 0
	.set _ZN7rocprim17ROCPRIM_400000_NS6detail17trampoline_kernelINS0_13select_configILj256ELj13ELNS0_17block_load_methodE3ELS4_3ELS4_3ELNS0_20block_scan_algorithmE0ELj4294967295EEENS1_25partition_config_selectorILNS1_17partition_subalgoE4EjNS0_10empty_typeEbEEZZNS1_14partition_implILS8_4ELb0ES6_15HIP_vector_typeIjLj2EENS0_17counting_iteratorIjlEEPS9_SG_NS0_5tupleIJPjSI_NS0_16reverse_iteratorISI_EEEEENSH_IJSG_SG_SG_EEES9_SI_JZNS1_25segmented_radix_sort_implINS0_14default_configELb1EPKhPhPKlPlN2at6native12_GLOBAL__N_18offset_tEEE10hipError_tPvRmT1_PNSt15iterator_traitsIS12_E10value_typeET2_T3_PNS13_IS18_E10value_typeET4_jRbjT5_S1E_jjP12ihipStream_tbEUljE_ZNSN_ISO_Lb1ESQ_SR_ST_SU_SY_EESZ_S10_S11_S12_S16_S17_S18_S1B_S1C_jS1D_jS1E_S1E_jjS1G_bEUljE0_EEESZ_S10_S11_S18_S1C_S1E_T6_T7_T9_mT8_S1G_bDpT10_ENKUlT_T0_E_clISt17integral_constantIbLb0EES1T_IbLb1EEEEDaS1P_S1Q_EUlS1P_E_NS1_11comp_targetILNS1_3genE10ELNS1_11target_archE1200ELNS1_3gpuE4ELNS1_3repE0EEENS1_30default_config_static_selectorELNS0_4arch9wavefront6targetE0EEEvS12_.has_indirect_call, 0
	.section	.AMDGPU.csdata,"",@progbits
; Kernel info:
; codeLenInByte = 0
; TotalNumSgprs: 0
; NumVgprs: 0
; ScratchSize: 0
; MemoryBound: 0
; FloatMode: 240
; IeeeMode: 1
; LDSByteSize: 0 bytes/workgroup (compile time only)
; SGPRBlocks: 0
; VGPRBlocks: 0
; NumSGPRsForWavesPerEU: 1
; NumVGPRsForWavesPerEU: 1
; Occupancy: 16
; WaveLimiterHint : 0
; COMPUTE_PGM_RSRC2:SCRATCH_EN: 0
; COMPUTE_PGM_RSRC2:USER_SGPR: 6
; COMPUTE_PGM_RSRC2:TRAP_HANDLER: 0
; COMPUTE_PGM_RSRC2:TGID_X_EN: 1
; COMPUTE_PGM_RSRC2:TGID_Y_EN: 0
; COMPUTE_PGM_RSRC2:TGID_Z_EN: 0
; COMPUTE_PGM_RSRC2:TIDIG_COMP_CNT: 0
	.section	.text._ZN7rocprim17ROCPRIM_400000_NS6detail17trampoline_kernelINS0_13select_configILj256ELj13ELNS0_17block_load_methodE3ELS4_3ELS4_3ELNS0_20block_scan_algorithmE0ELj4294967295EEENS1_25partition_config_selectorILNS1_17partition_subalgoE4EjNS0_10empty_typeEbEEZZNS1_14partition_implILS8_4ELb0ES6_15HIP_vector_typeIjLj2EENS0_17counting_iteratorIjlEEPS9_SG_NS0_5tupleIJPjSI_NS0_16reverse_iteratorISI_EEEEENSH_IJSG_SG_SG_EEES9_SI_JZNS1_25segmented_radix_sort_implINS0_14default_configELb1EPKhPhPKlPlN2at6native12_GLOBAL__N_18offset_tEEE10hipError_tPvRmT1_PNSt15iterator_traitsIS12_E10value_typeET2_T3_PNS13_IS18_E10value_typeET4_jRbjT5_S1E_jjP12ihipStream_tbEUljE_ZNSN_ISO_Lb1ESQ_SR_ST_SU_SY_EESZ_S10_S11_S12_S16_S17_S18_S1B_S1C_jS1D_jS1E_S1E_jjS1G_bEUljE0_EEESZ_S10_S11_S18_S1C_S1E_T6_T7_T9_mT8_S1G_bDpT10_ENKUlT_T0_E_clISt17integral_constantIbLb0EES1T_IbLb1EEEEDaS1P_S1Q_EUlS1P_E_NS1_11comp_targetILNS1_3genE9ELNS1_11target_archE1100ELNS1_3gpuE3ELNS1_3repE0EEENS1_30default_config_static_selectorELNS0_4arch9wavefront6targetE0EEEvS12_,"axG",@progbits,_ZN7rocprim17ROCPRIM_400000_NS6detail17trampoline_kernelINS0_13select_configILj256ELj13ELNS0_17block_load_methodE3ELS4_3ELS4_3ELNS0_20block_scan_algorithmE0ELj4294967295EEENS1_25partition_config_selectorILNS1_17partition_subalgoE4EjNS0_10empty_typeEbEEZZNS1_14partition_implILS8_4ELb0ES6_15HIP_vector_typeIjLj2EENS0_17counting_iteratorIjlEEPS9_SG_NS0_5tupleIJPjSI_NS0_16reverse_iteratorISI_EEEEENSH_IJSG_SG_SG_EEES9_SI_JZNS1_25segmented_radix_sort_implINS0_14default_configELb1EPKhPhPKlPlN2at6native12_GLOBAL__N_18offset_tEEE10hipError_tPvRmT1_PNSt15iterator_traitsIS12_E10value_typeET2_T3_PNS13_IS18_E10value_typeET4_jRbjT5_S1E_jjP12ihipStream_tbEUljE_ZNSN_ISO_Lb1ESQ_SR_ST_SU_SY_EESZ_S10_S11_S12_S16_S17_S18_S1B_S1C_jS1D_jS1E_S1E_jjS1G_bEUljE0_EEESZ_S10_S11_S18_S1C_S1E_T6_T7_T9_mT8_S1G_bDpT10_ENKUlT_T0_E_clISt17integral_constantIbLb0EES1T_IbLb1EEEEDaS1P_S1Q_EUlS1P_E_NS1_11comp_targetILNS1_3genE9ELNS1_11target_archE1100ELNS1_3gpuE3ELNS1_3repE0EEENS1_30default_config_static_selectorELNS0_4arch9wavefront6targetE0EEEvS12_,comdat
	.globl	_ZN7rocprim17ROCPRIM_400000_NS6detail17trampoline_kernelINS0_13select_configILj256ELj13ELNS0_17block_load_methodE3ELS4_3ELS4_3ELNS0_20block_scan_algorithmE0ELj4294967295EEENS1_25partition_config_selectorILNS1_17partition_subalgoE4EjNS0_10empty_typeEbEEZZNS1_14partition_implILS8_4ELb0ES6_15HIP_vector_typeIjLj2EENS0_17counting_iteratorIjlEEPS9_SG_NS0_5tupleIJPjSI_NS0_16reverse_iteratorISI_EEEEENSH_IJSG_SG_SG_EEES9_SI_JZNS1_25segmented_radix_sort_implINS0_14default_configELb1EPKhPhPKlPlN2at6native12_GLOBAL__N_18offset_tEEE10hipError_tPvRmT1_PNSt15iterator_traitsIS12_E10value_typeET2_T3_PNS13_IS18_E10value_typeET4_jRbjT5_S1E_jjP12ihipStream_tbEUljE_ZNSN_ISO_Lb1ESQ_SR_ST_SU_SY_EESZ_S10_S11_S12_S16_S17_S18_S1B_S1C_jS1D_jS1E_S1E_jjS1G_bEUljE0_EEESZ_S10_S11_S18_S1C_S1E_T6_T7_T9_mT8_S1G_bDpT10_ENKUlT_T0_E_clISt17integral_constantIbLb0EES1T_IbLb1EEEEDaS1P_S1Q_EUlS1P_E_NS1_11comp_targetILNS1_3genE9ELNS1_11target_archE1100ELNS1_3gpuE3ELNS1_3repE0EEENS1_30default_config_static_selectorELNS0_4arch9wavefront6targetE0EEEvS12_ ; -- Begin function _ZN7rocprim17ROCPRIM_400000_NS6detail17trampoline_kernelINS0_13select_configILj256ELj13ELNS0_17block_load_methodE3ELS4_3ELS4_3ELNS0_20block_scan_algorithmE0ELj4294967295EEENS1_25partition_config_selectorILNS1_17partition_subalgoE4EjNS0_10empty_typeEbEEZZNS1_14partition_implILS8_4ELb0ES6_15HIP_vector_typeIjLj2EENS0_17counting_iteratorIjlEEPS9_SG_NS0_5tupleIJPjSI_NS0_16reverse_iteratorISI_EEEEENSH_IJSG_SG_SG_EEES9_SI_JZNS1_25segmented_radix_sort_implINS0_14default_configELb1EPKhPhPKlPlN2at6native12_GLOBAL__N_18offset_tEEE10hipError_tPvRmT1_PNSt15iterator_traitsIS12_E10value_typeET2_T3_PNS13_IS18_E10value_typeET4_jRbjT5_S1E_jjP12ihipStream_tbEUljE_ZNSN_ISO_Lb1ESQ_SR_ST_SU_SY_EESZ_S10_S11_S12_S16_S17_S18_S1B_S1C_jS1D_jS1E_S1E_jjS1G_bEUljE0_EEESZ_S10_S11_S18_S1C_S1E_T6_T7_T9_mT8_S1G_bDpT10_ENKUlT_T0_E_clISt17integral_constantIbLb0EES1T_IbLb1EEEEDaS1P_S1Q_EUlS1P_E_NS1_11comp_targetILNS1_3genE9ELNS1_11target_archE1100ELNS1_3gpuE3ELNS1_3repE0EEENS1_30default_config_static_selectorELNS0_4arch9wavefront6targetE0EEEvS12_
	.p2align	8
	.type	_ZN7rocprim17ROCPRIM_400000_NS6detail17trampoline_kernelINS0_13select_configILj256ELj13ELNS0_17block_load_methodE3ELS4_3ELS4_3ELNS0_20block_scan_algorithmE0ELj4294967295EEENS1_25partition_config_selectorILNS1_17partition_subalgoE4EjNS0_10empty_typeEbEEZZNS1_14partition_implILS8_4ELb0ES6_15HIP_vector_typeIjLj2EENS0_17counting_iteratorIjlEEPS9_SG_NS0_5tupleIJPjSI_NS0_16reverse_iteratorISI_EEEEENSH_IJSG_SG_SG_EEES9_SI_JZNS1_25segmented_radix_sort_implINS0_14default_configELb1EPKhPhPKlPlN2at6native12_GLOBAL__N_18offset_tEEE10hipError_tPvRmT1_PNSt15iterator_traitsIS12_E10value_typeET2_T3_PNS13_IS18_E10value_typeET4_jRbjT5_S1E_jjP12ihipStream_tbEUljE_ZNSN_ISO_Lb1ESQ_SR_ST_SU_SY_EESZ_S10_S11_S12_S16_S17_S18_S1B_S1C_jS1D_jS1E_S1E_jjS1G_bEUljE0_EEESZ_S10_S11_S18_S1C_S1E_T6_T7_T9_mT8_S1G_bDpT10_ENKUlT_T0_E_clISt17integral_constantIbLb0EES1T_IbLb1EEEEDaS1P_S1Q_EUlS1P_E_NS1_11comp_targetILNS1_3genE9ELNS1_11target_archE1100ELNS1_3gpuE3ELNS1_3repE0EEENS1_30default_config_static_selectorELNS0_4arch9wavefront6targetE0EEEvS12_,@function
_ZN7rocprim17ROCPRIM_400000_NS6detail17trampoline_kernelINS0_13select_configILj256ELj13ELNS0_17block_load_methodE3ELS4_3ELS4_3ELNS0_20block_scan_algorithmE0ELj4294967295EEENS1_25partition_config_selectorILNS1_17partition_subalgoE4EjNS0_10empty_typeEbEEZZNS1_14partition_implILS8_4ELb0ES6_15HIP_vector_typeIjLj2EENS0_17counting_iteratorIjlEEPS9_SG_NS0_5tupleIJPjSI_NS0_16reverse_iteratorISI_EEEEENSH_IJSG_SG_SG_EEES9_SI_JZNS1_25segmented_radix_sort_implINS0_14default_configELb1EPKhPhPKlPlN2at6native12_GLOBAL__N_18offset_tEEE10hipError_tPvRmT1_PNSt15iterator_traitsIS12_E10value_typeET2_T3_PNS13_IS18_E10value_typeET4_jRbjT5_S1E_jjP12ihipStream_tbEUljE_ZNSN_ISO_Lb1ESQ_SR_ST_SU_SY_EESZ_S10_S11_S12_S16_S17_S18_S1B_S1C_jS1D_jS1E_S1E_jjS1G_bEUljE0_EEESZ_S10_S11_S18_S1C_S1E_T6_T7_T9_mT8_S1G_bDpT10_ENKUlT_T0_E_clISt17integral_constantIbLb0EES1T_IbLb1EEEEDaS1P_S1Q_EUlS1P_E_NS1_11comp_targetILNS1_3genE9ELNS1_11target_archE1100ELNS1_3gpuE3ELNS1_3repE0EEENS1_30default_config_static_selectorELNS0_4arch9wavefront6targetE0EEEvS12_: ; @_ZN7rocprim17ROCPRIM_400000_NS6detail17trampoline_kernelINS0_13select_configILj256ELj13ELNS0_17block_load_methodE3ELS4_3ELS4_3ELNS0_20block_scan_algorithmE0ELj4294967295EEENS1_25partition_config_selectorILNS1_17partition_subalgoE4EjNS0_10empty_typeEbEEZZNS1_14partition_implILS8_4ELb0ES6_15HIP_vector_typeIjLj2EENS0_17counting_iteratorIjlEEPS9_SG_NS0_5tupleIJPjSI_NS0_16reverse_iteratorISI_EEEEENSH_IJSG_SG_SG_EEES9_SI_JZNS1_25segmented_radix_sort_implINS0_14default_configELb1EPKhPhPKlPlN2at6native12_GLOBAL__N_18offset_tEEE10hipError_tPvRmT1_PNSt15iterator_traitsIS12_E10value_typeET2_T3_PNS13_IS18_E10value_typeET4_jRbjT5_S1E_jjP12ihipStream_tbEUljE_ZNSN_ISO_Lb1ESQ_SR_ST_SU_SY_EESZ_S10_S11_S12_S16_S17_S18_S1B_S1C_jS1D_jS1E_S1E_jjS1G_bEUljE0_EEESZ_S10_S11_S18_S1C_S1E_T6_T7_T9_mT8_S1G_bDpT10_ENKUlT_T0_E_clISt17integral_constantIbLb0EES1T_IbLb1EEEEDaS1P_S1Q_EUlS1P_E_NS1_11comp_targetILNS1_3genE9ELNS1_11target_archE1100ELNS1_3gpuE3ELNS1_3repE0EEENS1_30default_config_static_selectorELNS0_4arch9wavefront6targetE0EEEvS12_
; %bb.0:
	.section	.rodata,"a",@progbits
	.p2align	6, 0x0
	.amdhsa_kernel _ZN7rocprim17ROCPRIM_400000_NS6detail17trampoline_kernelINS0_13select_configILj256ELj13ELNS0_17block_load_methodE3ELS4_3ELS4_3ELNS0_20block_scan_algorithmE0ELj4294967295EEENS1_25partition_config_selectorILNS1_17partition_subalgoE4EjNS0_10empty_typeEbEEZZNS1_14partition_implILS8_4ELb0ES6_15HIP_vector_typeIjLj2EENS0_17counting_iteratorIjlEEPS9_SG_NS0_5tupleIJPjSI_NS0_16reverse_iteratorISI_EEEEENSH_IJSG_SG_SG_EEES9_SI_JZNS1_25segmented_radix_sort_implINS0_14default_configELb1EPKhPhPKlPlN2at6native12_GLOBAL__N_18offset_tEEE10hipError_tPvRmT1_PNSt15iterator_traitsIS12_E10value_typeET2_T3_PNS13_IS18_E10value_typeET4_jRbjT5_S1E_jjP12ihipStream_tbEUljE_ZNSN_ISO_Lb1ESQ_SR_ST_SU_SY_EESZ_S10_S11_S12_S16_S17_S18_S1B_S1C_jS1D_jS1E_S1E_jjS1G_bEUljE0_EEESZ_S10_S11_S18_S1C_S1E_T6_T7_T9_mT8_S1G_bDpT10_ENKUlT_T0_E_clISt17integral_constantIbLb0EES1T_IbLb1EEEEDaS1P_S1Q_EUlS1P_E_NS1_11comp_targetILNS1_3genE9ELNS1_11target_archE1100ELNS1_3gpuE3ELNS1_3repE0EEENS1_30default_config_static_selectorELNS0_4arch9wavefront6targetE0EEEvS12_
		.amdhsa_group_segment_fixed_size 0
		.amdhsa_private_segment_fixed_size 0
		.amdhsa_kernarg_size 184
		.amdhsa_user_sgpr_count 6
		.amdhsa_user_sgpr_private_segment_buffer 1
		.amdhsa_user_sgpr_dispatch_ptr 0
		.amdhsa_user_sgpr_queue_ptr 0
		.amdhsa_user_sgpr_kernarg_segment_ptr 1
		.amdhsa_user_sgpr_dispatch_id 0
		.amdhsa_user_sgpr_flat_scratch_init 0
		.amdhsa_user_sgpr_private_segment_size 0
		.amdhsa_wavefront_size32 1
		.amdhsa_uses_dynamic_stack 0
		.amdhsa_system_sgpr_private_segment_wavefront_offset 0
		.amdhsa_system_sgpr_workgroup_id_x 1
		.amdhsa_system_sgpr_workgroup_id_y 0
		.amdhsa_system_sgpr_workgroup_id_z 0
		.amdhsa_system_sgpr_workgroup_info 0
		.amdhsa_system_vgpr_workitem_id 0
		.amdhsa_next_free_vgpr 1
		.amdhsa_next_free_sgpr 1
		.amdhsa_reserve_vcc 0
		.amdhsa_reserve_flat_scratch 0
		.amdhsa_float_round_mode_32 0
		.amdhsa_float_round_mode_16_64 0
		.amdhsa_float_denorm_mode_32 3
		.amdhsa_float_denorm_mode_16_64 3
		.amdhsa_dx10_clamp 1
		.amdhsa_ieee_mode 1
		.amdhsa_fp16_overflow 0
		.amdhsa_workgroup_processor_mode 1
		.amdhsa_memory_ordered 1
		.amdhsa_forward_progress 1
		.amdhsa_shared_vgpr_count 0
		.amdhsa_exception_fp_ieee_invalid_op 0
		.amdhsa_exception_fp_denorm_src 0
		.amdhsa_exception_fp_ieee_div_zero 0
		.amdhsa_exception_fp_ieee_overflow 0
		.amdhsa_exception_fp_ieee_underflow 0
		.amdhsa_exception_fp_ieee_inexact 0
		.amdhsa_exception_int_div_zero 0
	.end_amdhsa_kernel
	.section	.text._ZN7rocprim17ROCPRIM_400000_NS6detail17trampoline_kernelINS0_13select_configILj256ELj13ELNS0_17block_load_methodE3ELS4_3ELS4_3ELNS0_20block_scan_algorithmE0ELj4294967295EEENS1_25partition_config_selectorILNS1_17partition_subalgoE4EjNS0_10empty_typeEbEEZZNS1_14partition_implILS8_4ELb0ES6_15HIP_vector_typeIjLj2EENS0_17counting_iteratorIjlEEPS9_SG_NS0_5tupleIJPjSI_NS0_16reverse_iteratorISI_EEEEENSH_IJSG_SG_SG_EEES9_SI_JZNS1_25segmented_radix_sort_implINS0_14default_configELb1EPKhPhPKlPlN2at6native12_GLOBAL__N_18offset_tEEE10hipError_tPvRmT1_PNSt15iterator_traitsIS12_E10value_typeET2_T3_PNS13_IS18_E10value_typeET4_jRbjT5_S1E_jjP12ihipStream_tbEUljE_ZNSN_ISO_Lb1ESQ_SR_ST_SU_SY_EESZ_S10_S11_S12_S16_S17_S18_S1B_S1C_jS1D_jS1E_S1E_jjS1G_bEUljE0_EEESZ_S10_S11_S18_S1C_S1E_T6_T7_T9_mT8_S1G_bDpT10_ENKUlT_T0_E_clISt17integral_constantIbLb0EES1T_IbLb1EEEEDaS1P_S1Q_EUlS1P_E_NS1_11comp_targetILNS1_3genE9ELNS1_11target_archE1100ELNS1_3gpuE3ELNS1_3repE0EEENS1_30default_config_static_selectorELNS0_4arch9wavefront6targetE0EEEvS12_,"axG",@progbits,_ZN7rocprim17ROCPRIM_400000_NS6detail17trampoline_kernelINS0_13select_configILj256ELj13ELNS0_17block_load_methodE3ELS4_3ELS4_3ELNS0_20block_scan_algorithmE0ELj4294967295EEENS1_25partition_config_selectorILNS1_17partition_subalgoE4EjNS0_10empty_typeEbEEZZNS1_14partition_implILS8_4ELb0ES6_15HIP_vector_typeIjLj2EENS0_17counting_iteratorIjlEEPS9_SG_NS0_5tupleIJPjSI_NS0_16reverse_iteratorISI_EEEEENSH_IJSG_SG_SG_EEES9_SI_JZNS1_25segmented_radix_sort_implINS0_14default_configELb1EPKhPhPKlPlN2at6native12_GLOBAL__N_18offset_tEEE10hipError_tPvRmT1_PNSt15iterator_traitsIS12_E10value_typeET2_T3_PNS13_IS18_E10value_typeET4_jRbjT5_S1E_jjP12ihipStream_tbEUljE_ZNSN_ISO_Lb1ESQ_SR_ST_SU_SY_EESZ_S10_S11_S12_S16_S17_S18_S1B_S1C_jS1D_jS1E_S1E_jjS1G_bEUljE0_EEESZ_S10_S11_S18_S1C_S1E_T6_T7_T9_mT8_S1G_bDpT10_ENKUlT_T0_E_clISt17integral_constantIbLb0EES1T_IbLb1EEEEDaS1P_S1Q_EUlS1P_E_NS1_11comp_targetILNS1_3genE9ELNS1_11target_archE1100ELNS1_3gpuE3ELNS1_3repE0EEENS1_30default_config_static_selectorELNS0_4arch9wavefront6targetE0EEEvS12_,comdat
.Lfunc_end45:
	.size	_ZN7rocprim17ROCPRIM_400000_NS6detail17trampoline_kernelINS0_13select_configILj256ELj13ELNS0_17block_load_methodE3ELS4_3ELS4_3ELNS0_20block_scan_algorithmE0ELj4294967295EEENS1_25partition_config_selectorILNS1_17partition_subalgoE4EjNS0_10empty_typeEbEEZZNS1_14partition_implILS8_4ELb0ES6_15HIP_vector_typeIjLj2EENS0_17counting_iteratorIjlEEPS9_SG_NS0_5tupleIJPjSI_NS0_16reverse_iteratorISI_EEEEENSH_IJSG_SG_SG_EEES9_SI_JZNS1_25segmented_radix_sort_implINS0_14default_configELb1EPKhPhPKlPlN2at6native12_GLOBAL__N_18offset_tEEE10hipError_tPvRmT1_PNSt15iterator_traitsIS12_E10value_typeET2_T3_PNS13_IS18_E10value_typeET4_jRbjT5_S1E_jjP12ihipStream_tbEUljE_ZNSN_ISO_Lb1ESQ_SR_ST_SU_SY_EESZ_S10_S11_S12_S16_S17_S18_S1B_S1C_jS1D_jS1E_S1E_jjS1G_bEUljE0_EEESZ_S10_S11_S18_S1C_S1E_T6_T7_T9_mT8_S1G_bDpT10_ENKUlT_T0_E_clISt17integral_constantIbLb0EES1T_IbLb1EEEEDaS1P_S1Q_EUlS1P_E_NS1_11comp_targetILNS1_3genE9ELNS1_11target_archE1100ELNS1_3gpuE3ELNS1_3repE0EEENS1_30default_config_static_selectorELNS0_4arch9wavefront6targetE0EEEvS12_, .Lfunc_end45-_ZN7rocprim17ROCPRIM_400000_NS6detail17trampoline_kernelINS0_13select_configILj256ELj13ELNS0_17block_load_methodE3ELS4_3ELS4_3ELNS0_20block_scan_algorithmE0ELj4294967295EEENS1_25partition_config_selectorILNS1_17partition_subalgoE4EjNS0_10empty_typeEbEEZZNS1_14partition_implILS8_4ELb0ES6_15HIP_vector_typeIjLj2EENS0_17counting_iteratorIjlEEPS9_SG_NS0_5tupleIJPjSI_NS0_16reverse_iteratorISI_EEEEENSH_IJSG_SG_SG_EEES9_SI_JZNS1_25segmented_radix_sort_implINS0_14default_configELb1EPKhPhPKlPlN2at6native12_GLOBAL__N_18offset_tEEE10hipError_tPvRmT1_PNSt15iterator_traitsIS12_E10value_typeET2_T3_PNS13_IS18_E10value_typeET4_jRbjT5_S1E_jjP12ihipStream_tbEUljE_ZNSN_ISO_Lb1ESQ_SR_ST_SU_SY_EESZ_S10_S11_S12_S16_S17_S18_S1B_S1C_jS1D_jS1E_S1E_jjS1G_bEUljE0_EEESZ_S10_S11_S18_S1C_S1E_T6_T7_T9_mT8_S1G_bDpT10_ENKUlT_T0_E_clISt17integral_constantIbLb0EES1T_IbLb1EEEEDaS1P_S1Q_EUlS1P_E_NS1_11comp_targetILNS1_3genE9ELNS1_11target_archE1100ELNS1_3gpuE3ELNS1_3repE0EEENS1_30default_config_static_selectorELNS0_4arch9wavefront6targetE0EEEvS12_
                                        ; -- End function
	.set _ZN7rocprim17ROCPRIM_400000_NS6detail17trampoline_kernelINS0_13select_configILj256ELj13ELNS0_17block_load_methodE3ELS4_3ELS4_3ELNS0_20block_scan_algorithmE0ELj4294967295EEENS1_25partition_config_selectorILNS1_17partition_subalgoE4EjNS0_10empty_typeEbEEZZNS1_14partition_implILS8_4ELb0ES6_15HIP_vector_typeIjLj2EENS0_17counting_iteratorIjlEEPS9_SG_NS0_5tupleIJPjSI_NS0_16reverse_iteratorISI_EEEEENSH_IJSG_SG_SG_EEES9_SI_JZNS1_25segmented_radix_sort_implINS0_14default_configELb1EPKhPhPKlPlN2at6native12_GLOBAL__N_18offset_tEEE10hipError_tPvRmT1_PNSt15iterator_traitsIS12_E10value_typeET2_T3_PNS13_IS18_E10value_typeET4_jRbjT5_S1E_jjP12ihipStream_tbEUljE_ZNSN_ISO_Lb1ESQ_SR_ST_SU_SY_EESZ_S10_S11_S12_S16_S17_S18_S1B_S1C_jS1D_jS1E_S1E_jjS1G_bEUljE0_EEESZ_S10_S11_S18_S1C_S1E_T6_T7_T9_mT8_S1G_bDpT10_ENKUlT_T0_E_clISt17integral_constantIbLb0EES1T_IbLb1EEEEDaS1P_S1Q_EUlS1P_E_NS1_11comp_targetILNS1_3genE9ELNS1_11target_archE1100ELNS1_3gpuE3ELNS1_3repE0EEENS1_30default_config_static_selectorELNS0_4arch9wavefront6targetE0EEEvS12_.num_vgpr, 0
	.set _ZN7rocprim17ROCPRIM_400000_NS6detail17trampoline_kernelINS0_13select_configILj256ELj13ELNS0_17block_load_methodE3ELS4_3ELS4_3ELNS0_20block_scan_algorithmE0ELj4294967295EEENS1_25partition_config_selectorILNS1_17partition_subalgoE4EjNS0_10empty_typeEbEEZZNS1_14partition_implILS8_4ELb0ES6_15HIP_vector_typeIjLj2EENS0_17counting_iteratorIjlEEPS9_SG_NS0_5tupleIJPjSI_NS0_16reverse_iteratorISI_EEEEENSH_IJSG_SG_SG_EEES9_SI_JZNS1_25segmented_radix_sort_implINS0_14default_configELb1EPKhPhPKlPlN2at6native12_GLOBAL__N_18offset_tEEE10hipError_tPvRmT1_PNSt15iterator_traitsIS12_E10value_typeET2_T3_PNS13_IS18_E10value_typeET4_jRbjT5_S1E_jjP12ihipStream_tbEUljE_ZNSN_ISO_Lb1ESQ_SR_ST_SU_SY_EESZ_S10_S11_S12_S16_S17_S18_S1B_S1C_jS1D_jS1E_S1E_jjS1G_bEUljE0_EEESZ_S10_S11_S18_S1C_S1E_T6_T7_T9_mT8_S1G_bDpT10_ENKUlT_T0_E_clISt17integral_constantIbLb0EES1T_IbLb1EEEEDaS1P_S1Q_EUlS1P_E_NS1_11comp_targetILNS1_3genE9ELNS1_11target_archE1100ELNS1_3gpuE3ELNS1_3repE0EEENS1_30default_config_static_selectorELNS0_4arch9wavefront6targetE0EEEvS12_.num_agpr, 0
	.set _ZN7rocprim17ROCPRIM_400000_NS6detail17trampoline_kernelINS0_13select_configILj256ELj13ELNS0_17block_load_methodE3ELS4_3ELS4_3ELNS0_20block_scan_algorithmE0ELj4294967295EEENS1_25partition_config_selectorILNS1_17partition_subalgoE4EjNS0_10empty_typeEbEEZZNS1_14partition_implILS8_4ELb0ES6_15HIP_vector_typeIjLj2EENS0_17counting_iteratorIjlEEPS9_SG_NS0_5tupleIJPjSI_NS0_16reverse_iteratorISI_EEEEENSH_IJSG_SG_SG_EEES9_SI_JZNS1_25segmented_radix_sort_implINS0_14default_configELb1EPKhPhPKlPlN2at6native12_GLOBAL__N_18offset_tEEE10hipError_tPvRmT1_PNSt15iterator_traitsIS12_E10value_typeET2_T3_PNS13_IS18_E10value_typeET4_jRbjT5_S1E_jjP12ihipStream_tbEUljE_ZNSN_ISO_Lb1ESQ_SR_ST_SU_SY_EESZ_S10_S11_S12_S16_S17_S18_S1B_S1C_jS1D_jS1E_S1E_jjS1G_bEUljE0_EEESZ_S10_S11_S18_S1C_S1E_T6_T7_T9_mT8_S1G_bDpT10_ENKUlT_T0_E_clISt17integral_constantIbLb0EES1T_IbLb1EEEEDaS1P_S1Q_EUlS1P_E_NS1_11comp_targetILNS1_3genE9ELNS1_11target_archE1100ELNS1_3gpuE3ELNS1_3repE0EEENS1_30default_config_static_selectorELNS0_4arch9wavefront6targetE0EEEvS12_.numbered_sgpr, 0
	.set _ZN7rocprim17ROCPRIM_400000_NS6detail17trampoline_kernelINS0_13select_configILj256ELj13ELNS0_17block_load_methodE3ELS4_3ELS4_3ELNS0_20block_scan_algorithmE0ELj4294967295EEENS1_25partition_config_selectorILNS1_17partition_subalgoE4EjNS0_10empty_typeEbEEZZNS1_14partition_implILS8_4ELb0ES6_15HIP_vector_typeIjLj2EENS0_17counting_iteratorIjlEEPS9_SG_NS0_5tupleIJPjSI_NS0_16reverse_iteratorISI_EEEEENSH_IJSG_SG_SG_EEES9_SI_JZNS1_25segmented_radix_sort_implINS0_14default_configELb1EPKhPhPKlPlN2at6native12_GLOBAL__N_18offset_tEEE10hipError_tPvRmT1_PNSt15iterator_traitsIS12_E10value_typeET2_T3_PNS13_IS18_E10value_typeET4_jRbjT5_S1E_jjP12ihipStream_tbEUljE_ZNSN_ISO_Lb1ESQ_SR_ST_SU_SY_EESZ_S10_S11_S12_S16_S17_S18_S1B_S1C_jS1D_jS1E_S1E_jjS1G_bEUljE0_EEESZ_S10_S11_S18_S1C_S1E_T6_T7_T9_mT8_S1G_bDpT10_ENKUlT_T0_E_clISt17integral_constantIbLb0EES1T_IbLb1EEEEDaS1P_S1Q_EUlS1P_E_NS1_11comp_targetILNS1_3genE9ELNS1_11target_archE1100ELNS1_3gpuE3ELNS1_3repE0EEENS1_30default_config_static_selectorELNS0_4arch9wavefront6targetE0EEEvS12_.num_named_barrier, 0
	.set _ZN7rocprim17ROCPRIM_400000_NS6detail17trampoline_kernelINS0_13select_configILj256ELj13ELNS0_17block_load_methodE3ELS4_3ELS4_3ELNS0_20block_scan_algorithmE0ELj4294967295EEENS1_25partition_config_selectorILNS1_17partition_subalgoE4EjNS0_10empty_typeEbEEZZNS1_14partition_implILS8_4ELb0ES6_15HIP_vector_typeIjLj2EENS0_17counting_iteratorIjlEEPS9_SG_NS0_5tupleIJPjSI_NS0_16reverse_iteratorISI_EEEEENSH_IJSG_SG_SG_EEES9_SI_JZNS1_25segmented_radix_sort_implINS0_14default_configELb1EPKhPhPKlPlN2at6native12_GLOBAL__N_18offset_tEEE10hipError_tPvRmT1_PNSt15iterator_traitsIS12_E10value_typeET2_T3_PNS13_IS18_E10value_typeET4_jRbjT5_S1E_jjP12ihipStream_tbEUljE_ZNSN_ISO_Lb1ESQ_SR_ST_SU_SY_EESZ_S10_S11_S12_S16_S17_S18_S1B_S1C_jS1D_jS1E_S1E_jjS1G_bEUljE0_EEESZ_S10_S11_S18_S1C_S1E_T6_T7_T9_mT8_S1G_bDpT10_ENKUlT_T0_E_clISt17integral_constantIbLb0EES1T_IbLb1EEEEDaS1P_S1Q_EUlS1P_E_NS1_11comp_targetILNS1_3genE9ELNS1_11target_archE1100ELNS1_3gpuE3ELNS1_3repE0EEENS1_30default_config_static_selectorELNS0_4arch9wavefront6targetE0EEEvS12_.private_seg_size, 0
	.set _ZN7rocprim17ROCPRIM_400000_NS6detail17trampoline_kernelINS0_13select_configILj256ELj13ELNS0_17block_load_methodE3ELS4_3ELS4_3ELNS0_20block_scan_algorithmE0ELj4294967295EEENS1_25partition_config_selectorILNS1_17partition_subalgoE4EjNS0_10empty_typeEbEEZZNS1_14partition_implILS8_4ELb0ES6_15HIP_vector_typeIjLj2EENS0_17counting_iteratorIjlEEPS9_SG_NS0_5tupleIJPjSI_NS0_16reverse_iteratorISI_EEEEENSH_IJSG_SG_SG_EEES9_SI_JZNS1_25segmented_radix_sort_implINS0_14default_configELb1EPKhPhPKlPlN2at6native12_GLOBAL__N_18offset_tEEE10hipError_tPvRmT1_PNSt15iterator_traitsIS12_E10value_typeET2_T3_PNS13_IS18_E10value_typeET4_jRbjT5_S1E_jjP12ihipStream_tbEUljE_ZNSN_ISO_Lb1ESQ_SR_ST_SU_SY_EESZ_S10_S11_S12_S16_S17_S18_S1B_S1C_jS1D_jS1E_S1E_jjS1G_bEUljE0_EEESZ_S10_S11_S18_S1C_S1E_T6_T7_T9_mT8_S1G_bDpT10_ENKUlT_T0_E_clISt17integral_constantIbLb0EES1T_IbLb1EEEEDaS1P_S1Q_EUlS1P_E_NS1_11comp_targetILNS1_3genE9ELNS1_11target_archE1100ELNS1_3gpuE3ELNS1_3repE0EEENS1_30default_config_static_selectorELNS0_4arch9wavefront6targetE0EEEvS12_.uses_vcc, 0
	.set _ZN7rocprim17ROCPRIM_400000_NS6detail17trampoline_kernelINS0_13select_configILj256ELj13ELNS0_17block_load_methodE3ELS4_3ELS4_3ELNS0_20block_scan_algorithmE0ELj4294967295EEENS1_25partition_config_selectorILNS1_17partition_subalgoE4EjNS0_10empty_typeEbEEZZNS1_14partition_implILS8_4ELb0ES6_15HIP_vector_typeIjLj2EENS0_17counting_iteratorIjlEEPS9_SG_NS0_5tupleIJPjSI_NS0_16reverse_iteratorISI_EEEEENSH_IJSG_SG_SG_EEES9_SI_JZNS1_25segmented_radix_sort_implINS0_14default_configELb1EPKhPhPKlPlN2at6native12_GLOBAL__N_18offset_tEEE10hipError_tPvRmT1_PNSt15iterator_traitsIS12_E10value_typeET2_T3_PNS13_IS18_E10value_typeET4_jRbjT5_S1E_jjP12ihipStream_tbEUljE_ZNSN_ISO_Lb1ESQ_SR_ST_SU_SY_EESZ_S10_S11_S12_S16_S17_S18_S1B_S1C_jS1D_jS1E_S1E_jjS1G_bEUljE0_EEESZ_S10_S11_S18_S1C_S1E_T6_T7_T9_mT8_S1G_bDpT10_ENKUlT_T0_E_clISt17integral_constantIbLb0EES1T_IbLb1EEEEDaS1P_S1Q_EUlS1P_E_NS1_11comp_targetILNS1_3genE9ELNS1_11target_archE1100ELNS1_3gpuE3ELNS1_3repE0EEENS1_30default_config_static_selectorELNS0_4arch9wavefront6targetE0EEEvS12_.uses_flat_scratch, 0
	.set _ZN7rocprim17ROCPRIM_400000_NS6detail17trampoline_kernelINS0_13select_configILj256ELj13ELNS0_17block_load_methodE3ELS4_3ELS4_3ELNS0_20block_scan_algorithmE0ELj4294967295EEENS1_25partition_config_selectorILNS1_17partition_subalgoE4EjNS0_10empty_typeEbEEZZNS1_14partition_implILS8_4ELb0ES6_15HIP_vector_typeIjLj2EENS0_17counting_iteratorIjlEEPS9_SG_NS0_5tupleIJPjSI_NS0_16reverse_iteratorISI_EEEEENSH_IJSG_SG_SG_EEES9_SI_JZNS1_25segmented_radix_sort_implINS0_14default_configELb1EPKhPhPKlPlN2at6native12_GLOBAL__N_18offset_tEEE10hipError_tPvRmT1_PNSt15iterator_traitsIS12_E10value_typeET2_T3_PNS13_IS18_E10value_typeET4_jRbjT5_S1E_jjP12ihipStream_tbEUljE_ZNSN_ISO_Lb1ESQ_SR_ST_SU_SY_EESZ_S10_S11_S12_S16_S17_S18_S1B_S1C_jS1D_jS1E_S1E_jjS1G_bEUljE0_EEESZ_S10_S11_S18_S1C_S1E_T6_T7_T9_mT8_S1G_bDpT10_ENKUlT_T0_E_clISt17integral_constantIbLb0EES1T_IbLb1EEEEDaS1P_S1Q_EUlS1P_E_NS1_11comp_targetILNS1_3genE9ELNS1_11target_archE1100ELNS1_3gpuE3ELNS1_3repE0EEENS1_30default_config_static_selectorELNS0_4arch9wavefront6targetE0EEEvS12_.has_dyn_sized_stack, 0
	.set _ZN7rocprim17ROCPRIM_400000_NS6detail17trampoline_kernelINS0_13select_configILj256ELj13ELNS0_17block_load_methodE3ELS4_3ELS4_3ELNS0_20block_scan_algorithmE0ELj4294967295EEENS1_25partition_config_selectorILNS1_17partition_subalgoE4EjNS0_10empty_typeEbEEZZNS1_14partition_implILS8_4ELb0ES6_15HIP_vector_typeIjLj2EENS0_17counting_iteratorIjlEEPS9_SG_NS0_5tupleIJPjSI_NS0_16reverse_iteratorISI_EEEEENSH_IJSG_SG_SG_EEES9_SI_JZNS1_25segmented_radix_sort_implINS0_14default_configELb1EPKhPhPKlPlN2at6native12_GLOBAL__N_18offset_tEEE10hipError_tPvRmT1_PNSt15iterator_traitsIS12_E10value_typeET2_T3_PNS13_IS18_E10value_typeET4_jRbjT5_S1E_jjP12ihipStream_tbEUljE_ZNSN_ISO_Lb1ESQ_SR_ST_SU_SY_EESZ_S10_S11_S12_S16_S17_S18_S1B_S1C_jS1D_jS1E_S1E_jjS1G_bEUljE0_EEESZ_S10_S11_S18_S1C_S1E_T6_T7_T9_mT8_S1G_bDpT10_ENKUlT_T0_E_clISt17integral_constantIbLb0EES1T_IbLb1EEEEDaS1P_S1Q_EUlS1P_E_NS1_11comp_targetILNS1_3genE9ELNS1_11target_archE1100ELNS1_3gpuE3ELNS1_3repE0EEENS1_30default_config_static_selectorELNS0_4arch9wavefront6targetE0EEEvS12_.has_recursion, 0
	.set _ZN7rocprim17ROCPRIM_400000_NS6detail17trampoline_kernelINS0_13select_configILj256ELj13ELNS0_17block_load_methodE3ELS4_3ELS4_3ELNS0_20block_scan_algorithmE0ELj4294967295EEENS1_25partition_config_selectorILNS1_17partition_subalgoE4EjNS0_10empty_typeEbEEZZNS1_14partition_implILS8_4ELb0ES6_15HIP_vector_typeIjLj2EENS0_17counting_iteratorIjlEEPS9_SG_NS0_5tupleIJPjSI_NS0_16reverse_iteratorISI_EEEEENSH_IJSG_SG_SG_EEES9_SI_JZNS1_25segmented_radix_sort_implINS0_14default_configELb1EPKhPhPKlPlN2at6native12_GLOBAL__N_18offset_tEEE10hipError_tPvRmT1_PNSt15iterator_traitsIS12_E10value_typeET2_T3_PNS13_IS18_E10value_typeET4_jRbjT5_S1E_jjP12ihipStream_tbEUljE_ZNSN_ISO_Lb1ESQ_SR_ST_SU_SY_EESZ_S10_S11_S12_S16_S17_S18_S1B_S1C_jS1D_jS1E_S1E_jjS1G_bEUljE0_EEESZ_S10_S11_S18_S1C_S1E_T6_T7_T9_mT8_S1G_bDpT10_ENKUlT_T0_E_clISt17integral_constantIbLb0EES1T_IbLb1EEEEDaS1P_S1Q_EUlS1P_E_NS1_11comp_targetILNS1_3genE9ELNS1_11target_archE1100ELNS1_3gpuE3ELNS1_3repE0EEENS1_30default_config_static_selectorELNS0_4arch9wavefront6targetE0EEEvS12_.has_indirect_call, 0
	.section	.AMDGPU.csdata,"",@progbits
; Kernel info:
; codeLenInByte = 0
; TotalNumSgprs: 0
; NumVgprs: 0
; ScratchSize: 0
; MemoryBound: 0
; FloatMode: 240
; IeeeMode: 1
; LDSByteSize: 0 bytes/workgroup (compile time only)
; SGPRBlocks: 0
; VGPRBlocks: 0
; NumSGPRsForWavesPerEU: 1
; NumVGPRsForWavesPerEU: 1
; Occupancy: 16
; WaveLimiterHint : 0
; COMPUTE_PGM_RSRC2:SCRATCH_EN: 0
; COMPUTE_PGM_RSRC2:USER_SGPR: 6
; COMPUTE_PGM_RSRC2:TRAP_HANDLER: 0
; COMPUTE_PGM_RSRC2:TGID_X_EN: 1
; COMPUTE_PGM_RSRC2:TGID_Y_EN: 0
; COMPUTE_PGM_RSRC2:TGID_Z_EN: 0
; COMPUTE_PGM_RSRC2:TIDIG_COMP_CNT: 0
	.section	.text._ZN7rocprim17ROCPRIM_400000_NS6detail17trampoline_kernelINS0_13select_configILj256ELj13ELNS0_17block_load_methodE3ELS4_3ELS4_3ELNS0_20block_scan_algorithmE0ELj4294967295EEENS1_25partition_config_selectorILNS1_17partition_subalgoE4EjNS0_10empty_typeEbEEZZNS1_14partition_implILS8_4ELb0ES6_15HIP_vector_typeIjLj2EENS0_17counting_iteratorIjlEEPS9_SG_NS0_5tupleIJPjSI_NS0_16reverse_iteratorISI_EEEEENSH_IJSG_SG_SG_EEES9_SI_JZNS1_25segmented_radix_sort_implINS0_14default_configELb1EPKhPhPKlPlN2at6native12_GLOBAL__N_18offset_tEEE10hipError_tPvRmT1_PNSt15iterator_traitsIS12_E10value_typeET2_T3_PNS13_IS18_E10value_typeET4_jRbjT5_S1E_jjP12ihipStream_tbEUljE_ZNSN_ISO_Lb1ESQ_SR_ST_SU_SY_EESZ_S10_S11_S12_S16_S17_S18_S1B_S1C_jS1D_jS1E_S1E_jjS1G_bEUljE0_EEESZ_S10_S11_S18_S1C_S1E_T6_T7_T9_mT8_S1G_bDpT10_ENKUlT_T0_E_clISt17integral_constantIbLb0EES1T_IbLb1EEEEDaS1P_S1Q_EUlS1P_E_NS1_11comp_targetILNS1_3genE8ELNS1_11target_archE1030ELNS1_3gpuE2ELNS1_3repE0EEENS1_30default_config_static_selectorELNS0_4arch9wavefront6targetE0EEEvS12_,"axG",@progbits,_ZN7rocprim17ROCPRIM_400000_NS6detail17trampoline_kernelINS0_13select_configILj256ELj13ELNS0_17block_load_methodE3ELS4_3ELS4_3ELNS0_20block_scan_algorithmE0ELj4294967295EEENS1_25partition_config_selectorILNS1_17partition_subalgoE4EjNS0_10empty_typeEbEEZZNS1_14partition_implILS8_4ELb0ES6_15HIP_vector_typeIjLj2EENS0_17counting_iteratorIjlEEPS9_SG_NS0_5tupleIJPjSI_NS0_16reverse_iteratorISI_EEEEENSH_IJSG_SG_SG_EEES9_SI_JZNS1_25segmented_radix_sort_implINS0_14default_configELb1EPKhPhPKlPlN2at6native12_GLOBAL__N_18offset_tEEE10hipError_tPvRmT1_PNSt15iterator_traitsIS12_E10value_typeET2_T3_PNS13_IS18_E10value_typeET4_jRbjT5_S1E_jjP12ihipStream_tbEUljE_ZNSN_ISO_Lb1ESQ_SR_ST_SU_SY_EESZ_S10_S11_S12_S16_S17_S18_S1B_S1C_jS1D_jS1E_S1E_jjS1G_bEUljE0_EEESZ_S10_S11_S18_S1C_S1E_T6_T7_T9_mT8_S1G_bDpT10_ENKUlT_T0_E_clISt17integral_constantIbLb0EES1T_IbLb1EEEEDaS1P_S1Q_EUlS1P_E_NS1_11comp_targetILNS1_3genE8ELNS1_11target_archE1030ELNS1_3gpuE2ELNS1_3repE0EEENS1_30default_config_static_selectorELNS0_4arch9wavefront6targetE0EEEvS12_,comdat
	.globl	_ZN7rocprim17ROCPRIM_400000_NS6detail17trampoline_kernelINS0_13select_configILj256ELj13ELNS0_17block_load_methodE3ELS4_3ELS4_3ELNS0_20block_scan_algorithmE0ELj4294967295EEENS1_25partition_config_selectorILNS1_17partition_subalgoE4EjNS0_10empty_typeEbEEZZNS1_14partition_implILS8_4ELb0ES6_15HIP_vector_typeIjLj2EENS0_17counting_iteratorIjlEEPS9_SG_NS0_5tupleIJPjSI_NS0_16reverse_iteratorISI_EEEEENSH_IJSG_SG_SG_EEES9_SI_JZNS1_25segmented_radix_sort_implINS0_14default_configELb1EPKhPhPKlPlN2at6native12_GLOBAL__N_18offset_tEEE10hipError_tPvRmT1_PNSt15iterator_traitsIS12_E10value_typeET2_T3_PNS13_IS18_E10value_typeET4_jRbjT5_S1E_jjP12ihipStream_tbEUljE_ZNSN_ISO_Lb1ESQ_SR_ST_SU_SY_EESZ_S10_S11_S12_S16_S17_S18_S1B_S1C_jS1D_jS1E_S1E_jjS1G_bEUljE0_EEESZ_S10_S11_S18_S1C_S1E_T6_T7_T9_mT8_S1G_bDpT10_ENKUlT_T0_E_clISt17integral_constantIbLb0EES1T_IbLb1EEEEDaS1P_S1Q_EUlS1P_E_NS1_11comp_targetILNS1_3genE8ELNS1_11target_archE1030ELNS1_3gpuE2ELNS1_3repE0EEENS1_30default_config_static_selectorELNS0_4arch9wavefront6targetE0EEEvS12_ ; -- Begin function _ZN7rocprim17ROCPRIM_400000_NS6detail17trampoline_kernelINS0_13select_configILj256ELj13ELNS0_17block_load_methodE3ELS4_3ELS4_3ELNS0_20block_scan_algorithmE0ELj4294967295EEENS1_25partition_config_selectorILNS1_17partition_subalgoE4EjNS0_10empty_typeEbEEZZNS1_14partition_implILS8_4ELb0ES6_15HIP_vector_typeIjLj2EENS0_17counting_iteratorIjlEEPS9_SG_NS0_5tupleIJPjSI_NS0_16reverse_iteratorISI_EEEEENSH_IJSG_SG_SG_EEES9_SI_JZNS1_25segmented_radix_sort_implINS0_14default_configELb1EPKhPhPKlPlN2at6native12_GLOBAL__N_18offset_tEEE10hipError_tPvRmT1_PNSt15iterator_traitsIS12_E10value_typeET2_T3_PNS13_IS18_E10value_typeET4_jRbjT5_S1E_jjP12ihipStream_tbEUljE_ZNSN_ISO_Lb1ESQ_SR_ST_SU_SY_EESZ_S10_S11_S12_S16_S17_S18_S1B_S1C_jS1D_jS1E_S1E_jjS1G_bEUljE0_EEESZ_S10_S11_S18_S1C_S1E_T6_T7_T9_mT8_S1G_bDpT10_ENKUlT_T0_E_clISt17integral_constantIbLb0EES1T_IbLb1EEEEDaS1P_S1Q_EUlS1P_E_NS1_11comp_targetILNS1_3genE8ELNS1_11target_archE1030ELNS1_3gpuE2ELNS1_3repE0EEENS1_30default_config_static_selectorELNS0_4arch9wavefront6targetE0EEEvS12_
	.p2align	8
	.type	_ZN7rocprim17ROCPRIM_400000_NS6detail17trampoline_kernelINS0_13select_configILj256ELj13ELNS0_17block_load_methodE3ELS4_3ELS4_3ELNS0_20block_scan_algorithmE0ELj4294967295EEENS1_25partition_config_selectorILNS1_17partition_subalgoE4EjNS0_10empty_typeEbEEZZNS1_14partition_implILS8_4ELb0ES6_15HIP_vector_typeIjLj2EENS0_17counting_iteratorIjlEEPS9_SG_NS0_5tupleIJPjSI_NS0_16reverse_iteratorISI_EEEEENSH_IJSG_SG_SG_EEES9_SI_JZNS1_25segmented_radix_sort_implINS0_14default_configELb1EPKhPhPKlPlN2at6native12_GLOBAL__N_18offset_tEEE10hipError_tPvRmT1_PNSt15iterator_traitsIS12_E10value_typeET2_T3_PNS13_IS18_E10value_typeET4_jRbjT5_S1E_jjP12ihipStream_tbEUljE_ZNSN_ISO_Lb1ESQ_SR_ST_SU_SY_EESZ_S10_S11_S12_S16_S17_S18_S1B_S1C_jS1D_jS1E_S1E_jjS1G_bEUljE0_EEESZ_S10_S11_S18_S1C_S1E_T6_T7_T9_mT8_S1G_bDpT10_ENKUlT_T0_E_clISt17integral_constantIbLb0EES1T_IbLb1EEEEDaS1P_S1Q_EUlS1P_E_NS1_11comp_targetILNS1_3genE8ELNS1_11target_archE1030ELNS1_3gpuE2ELNS1_3repE0EEENS1_30default_config_static_selectorELNS0_4arch9wavefront6targetE0EEEvS12_,@function
_ZN7rocprim17ROCPRIM_400000_NS6detail17trampoline_kernelINS0_13select_configILj256ELj13ELNS0_17block_load_methodE3ELS4_3ELS4_3ELNS0_20block_scan_algorithmE0ELj4294967295EEENS1_25partition_config_selectorILNS1_17partition_subalgoE4EjNS0_10empty_typeEbEEZZNS1_14partition_implILS8_4ELb0ES6_15HIP_vector_typeIjLj2EENS0_17counting_iteratorIjlEEPS9_SG_NS0_5tupleIJPjSI_NS0_16reverse_iteratorISI_EEEEENSH_IJSG_SG_SG_EEES9_SI_JZNS1_25segmented_radix_sort_implINS0_14default_configELb1EPKhPhPKlPlN2at6native12_GLOBAL__N_18offset_tEEE10hipError_tPvRmT1_PNSt15iterator_traitsIS12_E10value_typeET2_T3_PNS13_IS18_E10value_typeET4_jRbjT5_S1E_jjP12ihipStream_tbEUljE_ZNSN_ISO_Lb1ESQ_SR_ST_SU_SY_EESZ_S10_S11_S12_S16_S17_S18_S1B_S1C_jS1D_jS1E_S1E_jjS1G_bEUljE0_EEESZ_S10_S11_S18_S1C_S1E_T6_T7_T9_mT8_S1G_bDpT10_ENKUlT_T0_E_clISt17integral_constantIbLb0EES1T_IbLb1EEEEDaS1P_S1Q_EUlS1P_E_NS1_11comp_targetILNS1_3genE8ELNS1_11target_archE1030ELNS1_3gpuE2ELNS1_3repE0EEENS1_30default_config_static_selectorELNS0_4arch9wavefront6targetE0EEEvS12_: ; @_ZN7rocprim17ROCPRIM_400000_NS6detail17trampoline_kernelINS0_13select_configILj256ELj13ELNS0_17block_load_methodE3ELS4_3ELS4_3ELNS0_20block_scan_algorithmE0ELj4294967295EEENS1_25partition_config_selectorILNS1_17partition_subalgoE4EjNS0_10empty_typeEbEEZZNS1_14partition_implILS8_4ELb0ES6_15HIP_vector_typeIjLj2EENS0_17counting_iteratorIjlEEPS9_SG_NS0_5tupleIJPjSI_NS0_16reverse_iteratorISI_EEEEENSH_IJSG_SG_SG_EEES9_SI_JZNS1_25segmented_radix_sort_implINS0_14default_configELb1EPKhPhPKlPlN2at6native12_GLOBAL__N_18offset_tEEE10hipError_tPvRmT1_PNSt15iterator_traitsIS12_E10value_typeET2_T3_PNS13_IS18_E10value_typeET4_jRbjT5_S1E_jjP12ihipStream_tbEUljE_ZNSN_ISO_Lb1ESQ_SR_ST_SU_SY_EESZ_S10_S11_S12_S16_S17_S18_S1B_S1C_jS1D_jS1E_S1E_jjS1G_bEUljE0_EEESZ_S10_S11_S18_S1C_S1E_T6_T7_T9_mT8_S1G_bDpT10_ENKUlT_T0_E_clISt17integral_constantIbLb0EES1T_IbLb1EEEEDaS1P_S1Q_EUlS1P_E_NS1_11comp_targetILNS1_3genE8ELNS1_11target_archE1030ELNS1_3gpuE2ELNS1_3repE0EEENS1_30default_config_static_selectorELNS0_4arch9wavefront6targetE0EEEvS12_
; %bb.0:
	s_clause 0x7
	s_load_dwordx2 s[34:35], s[4:5], 0x10
	s_load_dwordx4 s[28:31], s[4:5], 0x28
	s_load_dwordx2 s[14:15], s[4:5], 0x38
	s_load_dwordx4 s[24:27], s[4:5], 0x58
	s_load_dwordx2 s[2:3], s[4:5], 0x68
	s_load_dwordx2 s[36:37], s[4:5], 0x78
	;; [unrolled: 1-line block ×3, first 2 shown]
	s_load_dwordx8 s[16:23], s[4:5], 0x90
	v_cmp_eq_u32_e64 s0, 0, v0
	s_and_saveexec_b32 s1, s0
	s_cbranch_execz .LBB46_4
; %bb.1:
	s_mov_b32 s7, exec_lo
	s_mov_b32 s6, exec_lo
	v_mbcnt_lo_u32_b32 v1, s7, 0
                                        ; implicit-def: $vgpr2
	v_cmpx_eq_u32_e32 0, v1
	s_cbranch_execz .LBB46_3
; %bb.2:
	s_load_dwordx2 s[8:9], s[4:5], 0x88
	s_bcnt1_i32_b32 s7, s7
	v_mov_b32_e32 v2, 0
	v_mov_b32_e32 v3, s7
	s_waitcnt lgkmcnt(0)
	global_atomic_add v2, v2, v3, s[8:9] glc
.LBB46_3:
	s_or_b32 exec_lo, exec_lo, s6
	s_waitcnt vmcnt(0)
	v_readfirstlane_b32 s6, v2
	v_mov_b32_e32 v2, 0
	v_add_nc_u32_e32 v1, s6, v1
	ds_write_b32 v2, v1
.LBB46_4:
	s_or_b32 exec_lo, exec_lo, s1
	v_mov_b32_e32 v1, 0
	s_clause 0x1
	s_load_dword s6, s[4:5], 0x8
	s_load_dword s1, s[4:5], 0x80
	s_waitcnt lgkmcnt(0)
	s_barrier
	buffer_gl0_inv
	ds_read_b32 v5, v1
	s_waitcnt lgkmcnt(0)
	s_barrier
	buffer_gl0_inv
	global_load_dwordx4 v[1:4], v1, s[26:27]
	s_add_i32 s5, s6, s34
	s_mul_i32 s4, s1, 0xd00
	s_add_i32 s1, s1, -1
	s_add_u32 s6, s34, s4
	s_addc_u32 s7, s35, 0
	v_mul_lo_u32 v31, 0xd00, v5
	v_readfirstlane_b32 s27, v5
	v_cmp_gt_u64_e64 s3, s[2:3], s[6:7]
	v_cmp_ne_u32_e32 vcc_lo, s1, v5
	s_cmp_eq_u32 s27, s1
	s_cselect_b32 s26, -1, 0
	v_add3_u32 v5, v31, s5, v0
	s_or_b32 s1, s3, vcc_lo
	s_mov_b32 s3, -1
	s_and_b32 vcc_lo, exec_lo, s1
	v_add_nc_u32_e32 v6, 0x100, v5
	v_add_nc_u32_e32 v7, 0x200, v5
	;; [unrolled: 1-line block ×12, first 2 shown]
	s_cbranch_vccz .LBB46_6
; %bb.5:
	v_lshlrev_b32_e32 v18, 2, v0
	s_mov_b32 s3, 0
	ds_write2st64_b32 v18, v5, v6 offset1:4
	ds_write2st64_b32 v18, v7, v8 offset0:8 offset1:12
	ds_write2st64_b32 v18, v9, v10 offset0:16 offset1:20
	;; [unrolled: 1-line block ×5, first 2 shown]
	ds_write_b32 v18, v17 offset:12288
	s_waitcnt vmcnt(0) lgkmcnt(0)
	s_barrier
.LBB46_6:
	s_andn2_b32 vcc_lo, exec_lo, s3
	s_add_i32 s4, s4, s34
	s_cbranch_vccnz .LBB46_8
; %bb.7:
	v_lshlrev_b32_e32 v18, 2, v0
	ds_write2st64_b32 v18, v5, v6 offset1:4
	ds_write2st64_b32 v18, v7, v8 offset0:8 offset1:12
	ds_write2st64_b32 v18, v9, v10 offset0:16 offset1:20
	;; [unrolled: 1-line block ×5, first 2 shown]
	ds_write_b32 v18, v17 offset:12288
	s_waitcnt vmcnt(0) lgkmcnt(0)
	s_barrier
.LBB46_8:
	v_mul_u32_u24_e32 v34, 13, v0
	s_waitcnt vmcnt(0)
	buffer_gl0_inv
	v_cndmask_b32_e64 v32, 0, 1, s1
	s_sub_i32 s33, s2, s4
	s_andn2_b32 vcc_lo, exec_lo, s1
	v_lshlrev_b32_e32 v5, 2, v34
	ds_read_b32 v33, v5 offset:48
	ds_read2_b32 v[13:14], v5 offset0:10 offset1:11
	ds_read2_b32 v[15:16], v5 offset0:8 offset1:9
	;; [unrolled: 1-line block ×4, first 2 shown]
	ds_read2_b32 v[23:24], v5 offset1:1
	ds_read2_b32 v[21:22], v5 offset0:2 offset1:3
	s_waitcnt lgkmcnt(0)
	s_barrier
	buffer_gl0_inv
	s_cbranch_vccnz .LBB46_36
; %bb.9:
	v_add_nc_u32_e32 v5, s17, v23
	v_add_nc_u32_e32 v6, s19, v23
	s_mov_b32 s41, 0
	s_mov_b32 s40, 0
	s_mov_b32 s2, exec_lo
	v_mul_lo_u32 v5, v5, s16
	v_mul_lo_u32 v6, v6, s18
	v_sub_nc_u32_e32 v5, v5, v6
	v_cmp_lt_u32_e32 vcc_lo, s20, v5
	v_cmpx_ge_u32_e64 s20, v5
	s_cbranch_execz .LBB46_11
; %bb.10:
	v_add_nc_u32_e32 v5, s22, v23
	v_add_nc_u32_e32 v6, s38, v23
	v_mul_lo_u32 v5, v5, s21
	v_mul_lo_u32 v6, v6, s23
	v_sub_nc_u32_e32 v5, v5, v6
	v_cmp_lt_u32_e64 s1, s39, v5
	s_and_b32 s40, s1, exec_lo
.LBB46_11:
	s_or_b32 exec_lo, exec_lo, s2
	v_add_nc_u32_e32 v5, s17, v24
	v_add_nc_u32_e32 v6, s19, v24
	s_mov_b32 s3, exec_lo
	v_mul_lo_u32 v5, v5, s16
	v_mul_lo_u32 v6, v6, s18
	v_sub_nc_u32_e32 v5, v5, v6
	v_cmp_lt_u32_e64 s1, s20, v5
	v_cmpx_ge_u32_e64 s20, v5
	s_cbranch_execz .LBB46_13
; %bb.12:
	v_add_nc_u32_e32 v5, s22, v24
	v_add_nc_u32_e32 v6, s38, v24
	v_mul_lo_u32 v5, v5, s21
	v_mul_lo_u32 v6, v6, s23
	v_sub_nc_u32_e32 v5, v5, v6
	v_cmp_lt_u32_e64 s2, s39, v5
	s_and_b32 s41, s2, exec_lo
.LBB46_13:
	s_or_b32 exec_lo, exec_lo, s3
	v_add_nc_u32_e32 v5, s17, v21
	v_add_nc_u32_e32 v6, s19, v21
	s_mov_b32 s43, 0
	s_mov_b32 s42, 0
	s_mov_b32 s4, exec_lo
	v_mul_lo_u32 v5, v5, s16
	v_mul_lo_u32 v6, v6, s18
	v_sub_nc_u32_e32 v5, v5, v6
	v_cmp_lt_u32_e64 s2, s20, v5
	v_cmpx_ge_u32_e64 s20, v5
	s_cbranch_execz .LBB46_15
; %bb.14:
	v_add_nc_u32_e32 v5, s22, v21
	v_add_nc_u32_e32 v6, s38, v21
	v_mul_lo_u32 v5, v5, s21
	v_mul_lo_u32 v6, v6, s23
	v_sub_nc_u32_e32 v5, v5, v6
	v_cmp_lt_u32_e64 s3, s39, v5
	s_and_b32 s42, s3, exec_lo
.LBB46_15:
	s_or_b32 exec_lo, exec_lo, s4
	v_add_nc_u32_e32 v5, s17, v22
	v_add_nc_u32_e32 v6, s19, v22
	s_mov_b32 s5, exec_lo
	v_mul_lo_u32 v5, v5, s16
	v_mul_lo_u32 v6, v6, s18
	v_sub_nc_u32_e32 v5, v5, v6
	v_cmp_lt_u32_e64 s3, s20, v5
	v_cmpx_ge_u32_e64 s20, v5
	s_cbranch_execz .LBB46_17
; %bb.16:
	v_add_nc_u32_e32 v5, s22, v22
	v_add_nc_u32_e32 v6, s38, v22
	v_mul_lo_u32 v5, v5, s21
	v_mul_lo_u32 v6, v6, s23
	v_sub_nc_u32_e32 v5, v5, v6
	v_cmp_lt_u32_e64 s4, s39, v5
	s_and_b32 s43, s4, exec_lo
.LBB46_17:
	s_or_b32 exec_lo, exec_lo, s5
	v_add_nc_u32_e32 v5, s17, v19
	v_add_nc_u32_e32 v6, s19, v19
	s_mov_b32 s45, 0
	s_mov_b32 s44, 0
	s_mov_b32 s6, exec_lo
	v_mul_lo_u32 v5, v5, s16
	v_mul_lo_u32 v6, v6, s18
	v_sub_nc_u32_e32 v5, v5, v6
	v_cmp_lt_u32_e64 s4, s20, v5
	;; [unrolled: 40-line block ×6, first 2 shown]
	v_cmpx_ge_u32_e64 s20, v5
	s_cbranch_execz .LBB46_35
; %bb.34:
	v_add_nc_u32_e32 v5, s22, v33
	v_add_nc_u32_e32 v6, s38, v33
	v_mul_lo_u32 v5, v5, s21
	v_mul_lo_u32 v6, v6, s23
	v_sub_nc_u32_e32 v5, v5, v6
	v_cmp_lt_u32_e64 s13, s39, v5
	s_and_b32 s53, s13, exec_lo
.LBB46_35:
	s_or_b32 exec_lo, exec_lo, s54
	v_cndmask_b32_e64 v6, 0, 1, s1
	v_cndmask_b32_e64 v8, 0, 1, s3
	v_cndmask_b32_e64 v5, 0, 1, vcc_lo
	v_cndmask_b32_e64 v7, 0, 1, s2
	v_cndmask_b32_e64 v10, 0, 1, s5
	v_lshlrev_b16 v6, 8, v6
	v_lshlrev_b16 v8, 8, v8
	v_cndmask_b32_e64 v12, 0, 1, s7
	v_cndmask_b32_e64 v26, 0, 1, s9
	;; [unrolled: 1-line block ×3, first 2 shown]
	v_or_b32_e32 v5, v5, v6
	v_or_b32_sdwa v6, v7, v8 dst_sel:WORD_1 dst_unused:UNUSED_PAD src0_sel:DWORD src1_sel:DWORD
	v_cndmask_b32_e64 v7, 0, 1, s40
	v_cndmask_b32_e64 v9, 0, 1, s4
	;; [unrolled: 1-line block ×11, first 2 shown]
	v_or_b32_sdwa v35, v5, v6 dst_sel:DWORD dst_unused:UNUSED_PAD src0_sel:WORD_0 src1_sel:DWORD
	v_lshlrev_b16 v5, 8, v10
	v_lshlrev_b16 v6, 8, v12
	;; [unrolled: 1-line block ×5, first 2 shown]
	v_cndmask_b32_e64 v30, 0, 1, s49
	v_cndmask_b32_e64 v37, 0, 1, s47
	;; [unrolled: 1-line block ×5, first 2 shown]
	v_or_b32_e32 v5, v9, v5
	v_or_b32_sdwa v6, v11, v6 dst_sel:WORD_1 dst_unused:UNUSED_PAD src0_sel:DWORD src1_sel:DWORD
	v_or_b32_e32 v9, v25, v10
	v_or_b32_sdwa v10, v27, v12 dst_sel:WORD_1 dst_unused:UNUSED_PAD src0_sel:DWORD src1_sel:DWORD
	v_or_b32_e32 v7, v8, v7
	v_lshlrev_b16 v8, 8, v44
	v_lshlrev_b16 v11, 8, v41
	;; [unrolled: 1-line block ×5, first 2 shown]
	v_or_b32_sdwa v8, v45, v8 dst_sel:WORD_1 dst_unused:UNUSED_PAD src0_sel:DWORD src1_sel:DWORD
	v_or_b32_e32 v11, v43, v11
	v_or_b32_sdwa v12, v40, v12 dst_sel:WORD_1 dst_unused:UNUSED_PAD src0_sel:DWORD src1_sel:DWORD
	v_or_b32_e32 v25, v37, v25
	v_or_b32_sdwa v26, v30, v26 dst_sel:WORD_1 dst_unused:UNUSED_PAD src0_sel:DWORD src1_sel:DWORD
	v_cndmask_b32_e64 v39, 0, 1, s51
	v_cndmask_b32_e64 v42, 0, 1, s53
	v_or_b32_sdwa v37, v5, v6 dst_sel:DWORD dst_unused:UNUSED_PAD src0_sel:WORD_0 src1_sel:DWORD
	v_or_b32_sdwa v40, v9, v10 dst_sel:DWORD dst_unused:UNUSED_PAD src0_sel:WORD_0 src1_sel:DWORD
	v_or_b32_sdwa v41, v7, v8 dst_sel:DWORD dst_unused:UNUSED_PAD src0_sel:WORD_0 src1_sel:DWORD
	v_or_b32_sdwa v36, v11, v12 dst_sel:DWORD dst_unused:UNUSED_PAD src0_sel:WORD_0 src1_sel:DWORD
	v_or_b32_sdwa v38, v25, v26 dst_sel:DWORD dst_unused:UNUSED_PAD src0_sel:WORD_0 src1_sel:DWORD
	s_and_b32 vcc_lo, exec_lo, s50
	s_add_i32 s5, s33, 0xd00
	s_cbranch_vccnz .LBB46_37
	s_branch .LBB46_114
.LBB46_36:
                                        ; implicit-def: $vgpr42
                                        ; implicit-def: $vgpr39
                                        ; implicit-def: $vgpr38
                                        ; implicit-def: $vgpr36
                                        ; implicit-def: $vgpr41
                                        ; implicit-def: $vgpr40
                                        ; implicit-def: $vgpr37
                                        ; implicit-def: $vgpr35
	s_add_i32 s5, s33, 0xd00
	s_cbranch_execz .LBB46_114
.LBB46_37:
	v_mov_b32_e32 v6, 0
	v_mov_b32_e32 v5, 0
	s_mov_b32 s2, exec_lo
	v_cmpx_gt_u32_e64 s5, v34
	s_cbranch_execz .LBB46_41
; %bb.38:
	v_add_nc_u32_e32 v5, s17, v23
	v_add_nc_u32_e32 v6, s19, v23
	s_mov_b32 s4, 0
	s_mov_b32 s3, exec_lo
	v_mul_lo_u32 v5, v5, s16
	v_mul_lo_u32 v6, v6, s18
	v_sub_nc_u32_e32 v5, v5, v6
	v_cmp_lt_u32_e32 vcc_lo, s20, v5
	v_cmpx_ge_u32_e64 s20, v5
	s_cbranch_execz .LBB46_40
; %bb.39:
	v_add_nc_u32_e32 v5, s22, v23
	v_add_nc_u32_e32 v6, s38, v23
	v_mul_lo_u32 v5, v5, s21
	v_mul_lo_u32 v6, v6, s23
	v_sub_nc_u32_e32 v5, v5, v6
	v_cmp_lt_u32_e64 s1, s39, v5
	s_and_b32 s4, s1, exec_lo
.LBB46_40:
	s_or_b32 exec_lo, exec_lo, s3
	v_cndmask_b32_e64 v6, 0, 1, s4
	v_cndmask_b32_e64 v5, 0, 1, vcc_lo
.LBB46_41:
	s_or_b32 exec_lo, exec_lo, s2
	v_add_nc_u32_e32 v7, 1, v34
	v_lshlrev_b16 v25, 8, v6
	v_and_b32_e32 v10, 0xff, v5
	v_lshlrev_b16 v11, 8, 0
                                        ; implicit-def: $vgpr9
                                        ; implicit-def: $vgpr12
                                        ; implicit-def: $vgpr6
                                        ; implicit-def: $vgpr8
	v_cmp_le_u32_e32 vcc_lo, s5, v7
                                        ; implicit-def: $vgpr7
	s_and_saveexec_b32 s1, vcc_lo
	s_xor_b32 s1, exec_lo, s1
	s_cbranch_execz .LBB46_43
; %bb.42:
	v_mov_b32_e32 v5, 8
	v_mov_b32_e32 v6, 0xff
	;; [unrolled: 1-line block ×3, first 2 shown]
	v_and_b32_e32 v8, 0xffff, v11
	v_and_b32_e32 v7, 0xffff, v11
	v_lshrrev_b32_sdwa v5, v5, v25 dst_sel:BYTE_1 dst_unused:UNUSED_PAD src0_sel:DWORD src1_sel:WORD_0
	v_and_b32_sdwa v6, v25, v6 dst_sel:DWORD dst_unused:UNUSED_PAD src0_sel:WORD_0 src1_sel:DWORD
                                        ; implicit-def: $vgpr25
	v_or_b32_e32 v5, v6, v5
	v_and_b32_e32 v6, 0xffff, v11
                                        ; implicit-def: $vgpr11
	v_and_b32_e32 v12, 0xffff, v5
                                        ; implicit-def: $vgpr5
.LBB46_43:
	s_andn2_saveexec_b32 s2, s1
	s_cbranch_execz .LBB46_47
; %bb.44:
	v_add_nc_u32_e32 v6, s17, v24
	v_add_nc_u32_e32 v7, s19, v24
	s_mov_b32 s3, 0
	s_mov_b32 s4, exec_lo
	v_mul_lo_u32 v6, v6, s16
	v_mul_lo_u32 v7, v7, s18
	v_sub_nc_u32_e32 v6, v6, v7
	v_cmp_lt_u32_e32 vcc_lo, s20, v6
	v_cmpx_ge_u32_e64 s20, v6
	s_cbranch_execz .LBB46_46
; %bb.45:
	v_add_nc_u32_e32 v6, s22, v24
	v_add_nc_u32_e32 v7, s38, v24
	v_mul_lo_u32 v6, v6, s21
	v_mul_lo_u32 v7, v7, s23
	v_sub_nc_u32_e32 v6, v6, v7
	v_cmp_lt_u32_e64 s1, s39, v6
	s_and_b32 s3, s1, exec_lo
.LBB46_46:
	s_or_b32 exec_lo, exec_lo, s4
	v_mov_b32_e32 v6, 0xff
	v_mov_b32_e32 v7, 8
	v_cndmask_b32_e64 v8, 0, 1, vcc_lo
	v_mov_b32_e32 v9, 0
	v_and_b32_sdwa v6, v25, v6 dst_sel:DWORD dst_unused:UNUSED_PAD src0_sel:WORD_0 src1_sel:DWORD
	v_lshrrev_b32_sdwa v7, v7, v25 dst_sel:BYTE_1 dst_unused:UNUSED_PAD src0_sel:DWORD src1_sel:WORD_0
	v_lshlrev_b16 v8, 8, v8
	v_or_b32_e32 v6, v6, v7
	v_cndmask_b32_e64 v7, 0, 1, s3
	v_or_b32_sdwa v5, v5, v8 dst_sel:DWORD dst_unused:UNUSED_PAD src0_sel:BYTE_0 src1_sel:DWORD
	v_and_b32_e32 v8, 0xffff, v11
	v_and_b32_e32 v12, 0xffff, v6
	v_mov_b32_e32 v6, 0
	v_and_b32_e32 v10, 0xffff, v5
	v_lshl_or_b32 v12, v7, 16, v12
	v_and_b32_e32 v7, 0xffff, v11
.LBB46_47:
	s_or_b32 exec_lo, exec_lo, s2
	v_add_nc_u32_e32 v5, 2, v34
                                        ; implicit-def: $vgpr11
	v_cmp_le_u32_e32 vcc_lo, s5, v5
                                        ; implicit-def: $vgpr5
	s_and_saveexec_b32 s1, vcc_lo
	s_xor_b32 s1, exec_lo, s1
	s_cbranch_execz .LBB46_49
; %bb.48:
	v_lshrrev_b32_e32 v5, 24, v10
	v_mov_b32_e32 v11, 8
	v_and_b32_e32 v25, 0xff0000, v12
	v_perm_b32 v8, v8, v8, 0x3060504
	v_perm_b32 v5, v5, v10, 0x40c0100
	v_lshrrev_b32_sdwa v10, v11, v5 dst_sel:BYTE_1 dst_unused:UNUSED_PAD src0_sel:DWORD src1_sel:DWORD
	v_or_b32_sdwa v10, v5, v10 dst_sel:DWORD dst_unused:UNUSED_PAD src0_sel:BYTE_0 src1_sel:DWORD
	v_and_b32_e32 v10, 0xffff, v10
	v_and_or_b32 v11, 0xff000000, v5, v10
	v_perm_b32 v5, v12, v25, 0x3020504
                                        ; implicit-def: $vgpr10
                                        ; implicit-def: $vgpr12
.LBB46_49:
	s_andn2_saveexec_b32 s2, s1
	s_cbranch_execz .LBB46_53
; %bb.50:
	v_add_nc_u32_e32 v5, s17, v21
	v_add_nc_u32_e32 v11, s19, v21
	s_mov_b32 s3, 0
	s_mov_b32 s4, exec_lo
	v_mul_lo_u32 v5, v5, s16
	v_mul_lo_u32 v11, v11, s18
	v_sub_nc_u32_e32 v5, v5, v11
	v_cmp_lt_u32_e32 vcc_lo, s20, v5
	v_cmpx_ge_u32_e64 s20, v5
	s_cbranch_execz .LBB46_52
; %bb.51:
	v_add_nc_u32_e32 v5, s22, v21
	v_add_nc_u32_e32 v11, s38, v21
	v_mul_lo_u32 v5, v5, s21
	v_mul_lo_u32 v11, v11, s23
	v_sub_nc_u32_e32 v5, v5, v11
	v_cmp_lt_u32_e64 s1, s39, v5
	s_and_b32 s3, s1, exec_lo
.LBB46_52:
	s_or_b32 exec_lo, exec_lo, s4
	v_mov_b32_e32 v5, 8
	v_mov_b32_e32 v11, 24
	v_cndmask_b32_e64 v26, 0, 1, s3
	v_mov_b32_e32 v27, 0xff
	v_cndmask_b32_e64 v25, 0, 1, vcc_lo
	v_lshrrev_b32_sdwa v28, v5, v10 dst_sel:BYTE_1 dst_unused:UNUSED_PAD src0_sel:DWORD src1_sel:DWORD
	v_lshrrev_b32_sdwa v11, v11, v10 dst_sel:BYTE_1 dst_unused:UNUSED_PAD src0_sel:DWORD src1_sel:DWORD
	;; [unrolled: 1-line block ×3, first 2 shown]
	v_lshlrev_b16 v26, 8, v26
	v_and_b32_sdwa v27, v12, v27 dst_sel:DWORD dst_unused:UNUSED_PAD src0_sel:WORD_1 src1_sel:DWORD
	v_or_b32_sdwa v10, v10, v28 dst_sel:DWORD dst_unused:UNUSED_PAD src0_sel:BYTE_0 src1_sel:DWORD
	v_or_b32_sdwa v11, v25, v11 dst_sel:WORD_1 dst_unused:UNUSED_PAD src0_sel:DWORD src1_sel:DWORD
	v_or_b32_sdwa v5, v12, v5 dst_sel:DWORD dst_unused:UNUSED_PAD src0_sel:BYTE_0 src1_sel:DWORD
	v_or_b32_sdwa v12, v27, v26 dst_sel:WORD_1 dst_unused:UNUSED_PAD src0_sel:DWORD src1_sel:DWORD
	v_or_b32_sdwa v11, v10, v11 dst_sel:DWORD dst_unused:UNUSED_PAD src0_sel:WORD_0 src1_sel:DWORD
	v_or_b32_sdwa v5, v5, v12 dst_sel:DWORD dst_unused:UNUSED_PAD src0_sel:WORD_0 src1_sel:DWORD
.LBB46_53:
	s_or_b32 exec_lo, exec_lo, s2
	v_add_nc_u32_e32 v10, 3, v34
                                        ; implicit-def: $vgpr35
	v_cmp_le_u32_e32 vcc_lo, s5, v10
                                        ; implicit-def: $vgpr10
	s_and_saveexec_b32 s1, vcc_lo
	s_xor_b32 s1, exec_lo, s1
	s_cbranch_execz .LBB46_55
; %bb.54:
	v_mov_b32_e32 v10, 24
	v_mov_b32_e32 v12, 0xff
	;; [unrolled: 1-line block ×3, first 2 shown]
	v_and_b32_e32 v26, 0xff0000, v11
	v_perm_b32 v8, v8, v8, 0x3060504
	v_lshrrev_b32_sdwa v10, v10, v9 dst_sel:BYTE_1 dst_unused:UNUSED_PAD src0_sel:DWORD src1_sel:DWORD
	v_and_b32_sdwa v12, v9, v12 dst_sel:DWORD dst_unused:UNUSED_PAD src0_sel:WORD_1 src1_sel:DWORD
	v_lshrrev_b32_sdwa v9, v25, v9 dst_sel:BYTE_1 dst_unused:UNUSED_PAD src0_sel:DWORD src1_sel:DWORD
	v_perm_b32 v35, v11, v26, 0x3020504
	v_perm_b32 v7, v7, v7, 0x3060504
                                        ; implicit-def: $vgpr11
	v_or_b32_sdwa v10, v12, v10 dst_sel:WORD_1 dst_unused:UNUSED_PAD src0_sel:DWORD src1_sel:DWORD
	v_or_b32_sdwa v10, v9, v10 dst_sel:DWORD dst_unused:UNUSED_PAD src0_sel:WORD_0 src1_sel:DWORD
                                        ; implicit-def: $vgpr9
.LBB46_55:
	s_andn2_saveexec_b32 s2, s1
	s_cbranch_execz .LBB46_59
; %bb.56:
	v_add_nc_u32_e32 v10, s17, v22
	v_add_nc_u32_e32 v12, s19, v22
	s_mov_b32 s3, 0
	s_mov_b32 s4, exec_lo
	v_mul_lo_u32 v10, v10, s16
	v_mul_lo_u32 v12, v12, s18
	v_sub_nc_u32_e32 v10, v10, v12
	v_cmp_lt_u32_e32 vcc_lo, s20, v10
	v_cmpx_ge_u32_e64 s20, v10
	s_cbranch_execz .LBB46_58
; %bb.57:
	v_add_nc_u32_e32 v10, s22, v22
	v_add_nc_u32_e32 v12, s38, v22
	v_mul_lo_u32 v10, v10, s21
	v_mul_lo_u32 v12, v12, s23
	v_sub_nc_u32_e32 v10, v10, v12
	v_cmp_lt_u32_e64 s1, s39, v10
	s_and_b32 s3, s1, exec_lo
.LBB46_58:
	s_or_b32 exec_lo, exec_lo, s4
	v_mov_b32_e32 v10, 8
	v_cndmask_b32_e64 v12, 0, 1, vcc_lo
	v_mov_b32_e32 v25, 0xff
	v_mov_b32_e32 v26, 24
	v_cndmask_b32_e64 v27, 0, 1, s3
	v_lshrrev_b32_sdwa v28, v10, v11 dst_sel:BYTE_1 dst_unused:UNUSED_PAD src0_sel:DWORD src1_sel:DWORD
	v_lshlrev_b16 v12, 8, v12
	v_and_b32_sdwa v29, v11, v25 dst_sel:DWORD dst_unused:UNUSED_PAD src0_sel:WORD_1 src1_sel:DWORD
	v_lshrrev_b32_sdwa v26, v26, v9 dst_sel:BYTE_1 dst_unused:UNUSED_PAD src0_sel:DWORD src1_sel:DWORD
	v_and_b32_sdwa v25, v9, v25 dst_sel:DWORD dst_unused:UNUSED_PAD src0_sel:WORD_1 src1_sel:DWORD
	v_lshrrev_b32_sdwa v9, v10, v9 dst_sel:BYTE_1 dst_unused:UNUSED_PAD src0_sel:DWORD src1_sel:DWORD
	v_or_b32_sdwa v10, v11, v28 dst_sel:DWORD dst_unused:UNUSED_PAD src0_sel:BYTE_0 src1_sel:DWORD
	v_or_b32_sdwa v11, v29, v12 dst_sel:WORD_1 dst_unused:UNUSED_PAD src0_sel:DWORD src1_sel:DWORD
	v_or_b32_sdwa v12, v25, v26 dst_sel:WORD_1 dst_unused:UNUSED_PAD src0_sel:DWORD src1_sel:DWORD
	v_or_b32_e32 v9, v27, v9
	v_or_b32_sdwa v35, v10, v11 dst_sel:DWORD dst_unused:UNUSED_PAD src0_sel:WORD_0 src1_sel:DWORD
	v_or_b32_sdwa v10, v9, v12 dst_sel:DWORD dst_unused:UNUSED_PAD src0_sel:WORD_0 src1_sel:DWORD
.LBB46_59:
	s_or_b32 exec_lo, exec_lo, s2
	v_add_nc_u32_e32 v9, 4, v34
                                        ; implicit-def: $vgpr11
	v_cmp_le_u32_e32 vcc_lo, s5, v9
                                        ; implicit-def: $vgpr9
	s_and_saveexec_b32 s1, vcc_lo
	s_xor_b32 s1, exec_lo, s1
	s_cbranch_execz .LBB46_61
; %bb.60:
	v_mov_b32_e32 v9, 24
	v_mov_b32_e32 v11, 0xff
	;; [unrolled: 1-line block ×3, first 2 shown]
	v_perm_b32 v7, v7, v7, 0x3060504
	v_lshrrev_b32_sdwa v25, v9, v8 dst_sel:BYTE_1 dst_unused:UNUSED_PAD src0_sel:DWORD src1_sel:DWORD
	v_and_b32_sdwa v26, v8, v11 dst_sel:DWORD dst_unused:UNUSED_PAD src0_sel:WORD_1 src1_sel:DWORD
	v_lshrrev_b32_sdwa v9, v9, v10 dst_sel:BYTE_1 dst_unused:UNUSED_PAD src0_sel:DWORD src1_sel:DWORD
	v_and_b32_sdwa v11, v10, v11 dst_sel:DWORD dst_unused:UNUSED_PAD src0_sel:WORD_1 src1_sel:DWORD
	v_lshrrev_b32_sdwa v8, v12, v8 dst_sel:BYTE_1 dst_unused:UNUSED_PAD src0_sel:DWORD src1_sel:DWORD
	v_or_b32_sdwa v12, v26, v25 dst_sel:WORD_1 dst_unused:UNUSED_PAD src0_sel:DWORD src1_sel:DWORD
	v_or_b32_e32 v11, v11, v9
	v_or_b32_sdwa v9, v8, v12 dst_sel:DWORD dst_unused:UNUSED_PAD src0_sel:WORD_0 src1_sel:DWORD
                                        ; implicit-def: $vgpr8
	v_perm_b32 v11, v11, v10, 0x5040c00
                                        ; implicit-def: $vgpr10
.LBB46_61:
	s_andn2_saveexec_b32 s2, s1
	s_cbranch_execz .LBB46_65
; %bb.62:
	v_add_nc_u32_e32 v9, s17, v19
	v_add_nc_u32_e32 v11, s19, v19
	s_mov_b32 s3, 0
	s_mov_b32 s4, exec_lo
	v_mul_lo_u32 v9, v9, s16
	v_mul_lo_u32 v11, v11, s18
	v_sub_nc_u32_e32 v9, v9, v11
	v_cmp_lt_u32_e32 vcc_lo, s20, v9
	v_cmpx_ge_u32_e64 s20, v9
	s_cbranch_execz .LBB46_64
; %bb.63:
	v_add_nc_u32_e32 v9, s22, v19
	v_add_nc_u32_e32 v11, s38, v19
	v_mul_lo_u32 v9, v9, s21
	v_mul_lo_u32 v11, v11, s23
	v_sub_nc_u32_e32 v9, v9, v11
	v_cmp_lt_u32_e64 s1, s39, v9
	s_and_b32 s3, s1, exec_lo
.LBB46_64:
	s_or_b32 exec_lo, exec_lo, s4
	v_mov_b32_e32 v9, 24
	v_mov_b32_e32 v11, 0xff
	;; [unrolled: 1-line block ×3, first 2 shown]
	v_cndmask_b32_e64 v25, 0, 1, s3
	v_cndmask_b32_e64 v26, 0, 1, vcc_lo
	v_lshrrev_b32_sdwa v27, v9, v8 dst_sel:BYTE_1 dst_unused:UNUSED_PAD src0_sel:DWORD src1_sel:DWORD
	v_and_b32_sdwa v28, v8, v11 dst_sel:DWORD dst_unused:UNUSED_PAD src0_sel:WORD_1 src1_sel:DWORD
	v_lshrrev_b32_sdwa v8, v12, v8 dst_sel:BYTE_1 dst_unused:UNUSED_PAD src0_sel:DWORD src1_sel:DWORD
	v_lshlrev_b16 v12, 8, v25
	v_lshrrev_b32_sdwa v9, v9, v10 dst_sel:BYTE_1 dst_unused:UNUSED_PAD src0_sel:DWORD src1_sel:DWORD
	v_and_b32_sdwa v11, v10, v11 dst_sel:DWORD dst_unused:UNUSED_PAD src0_sel:WORD_1 src1_sel:DWORD
	v_or_b32_sdwa v25, v28, v27 dst_sel:WORD_1 dst_unused:UNUSED_PAD src0_sel:DWORD src1_sel:DWORD
	v_or_b32_e32 v8, v26, v8
	v_or_b32_sdwa v10, v10, v12 dst_sel:DWORD dst_unused:UNUSED_PAD src0_sel:BYTE_0 src1_sel:DWORD
	v_or_b32_sdwa v11, v11, v9 dst_sel:WORD_1 dst_unused:UNUSED_PAD src0_sel:DWORD src1_sel:DWORD
	v_or_b32_sdwa v9, v8, v25 dst_sel:DWORD dst_unused:UNUSED_PAD src0_sel:WORD_0 src1_sel:DWORD
	v_or_b32_sdwa v11, v10, v11 dst_sel:DWORD dst_unused:UNUSED_PAD src0_sel:WORD_0 src1_sel:DWORD
.LBB46_65:
	s_or_b32 exec_lo, exec_lo, s2
	v_add_nc_u32_e32 v8, 5, v34
                                        ; implicit-def: $vgpr10
	v_cmp_le_u32_e32 vcc_lo, s5, v8
                                        ; implicit-def: $vgpr8
	s_and_saveexec_b32 s1, vcc_lo
	s_xor_b32 s1, exec_lo, s1
	s_cbranch_execz .LBB46_67
; %bb.66:
	v_lshrrev_b32_e32 v8, 24, v11
	v_mov_b32_e32 v10, 8
	v_mov_b32_e32 v12, 0xff
	v_perm_b32 v7, v7, v7, 0x3060504
	v_perm_b32 v8, v8, v11, 0x40c0100
	v_mov_b32_e32 v11, 24
	v_and_b32_sdwa v12, v9, v12 dst_sel:DWORD dst_unused:UNUSED_PAD src0_sel:WORD_1 src1_sel:DWORD
	v_lshrrev_b32_sdwa v10, v10, v8 dst_sel:BYTE_1 dst_unused:UNUSED_PAD src0_sel:DWORD src1_sel:DWORD
	v_lshrrev_b32_sdwa v11, v11, v9 dst_sel:BYTE_1 dst_unused:UNUSED_PAD src0_sel:DWORD src1_sel:DWORD
	v_or_b32_sdwa v10, v8, v10 dst_sel:DWORD dst_unused:UNUSED_PAD src0_sel:BYTE_0 src1_sel:DWORD
	v_or_b32_e32 v11, v12, v11
	v_and_b32_e32 v12, 0xffff, v10
	v_perm_b32 v10, v11, v9, 0x5040c00
                                        ; implicit-def: $vgpr9
                                        ; implicit-def: $vgpr11
	v_and_or_b32 v8, 0xff000000, v8, v12
.LBB46_67:
	s_andn2_saveexec_b32 s2, s1
	s_cbranch_execz .LBB46_71
; %bb.68:
	v_add_nc_u32_e32 v8, s17, v20
	v_add_nc_u32_e32 v10, s19, v20
	s_mov_b32 s3, 0
	s_mov_b32 s4, exec_lo
	v_mul_lo_u32 v8, v8, s16
	v_mul_lo_u32 v10, v10, s18
	v_sub_nc_u32_e32 v8, v8, v10
	v_cmp_lt_u32_e32 vcc_lo, s20, v8
	v_cmpx_ge_u32_e64 s20, v8
	s_cbranch_execz .LBB46_70
; %bb.69:
	v_add_nc_u32_e32 v8, s22, v20
	v_add_nc_u32_e32 v10, s38, v20
	v_mul_lo_u32 v8, v8, s21
	v_mul_lo_u32 v10, v10, s23
	v_sub_nc_u32_e32 v8, v8, v10
	v_cmp_lt_u32_e64 s1, s39, v8
	s_and_b32 s3, s1, exec_lo
.LBB46_70:
	s_or_b32 exec_lo, exec_lo, s4
	v_cndmask_b32_e64 v8, 0, 1, vcc_lo
	v_mov_b32_e32 v10, 24
	v_mov_b32_e32 v12, 0xff
	;; [unrolled: 1-line block ×3, first 2 shown]
	v_cndmask_b32_e64 v26, 0, 1, s3
	v_lshlrev_b16 v8, 8, v8
	v_lshrrev_b32_sdwa v27, v10, v9 dst_sel:BYTE_1 dst_unused:UNUSED_PAD src0_sel:DWORD src1_sel:DWORD
	v_and_b32_sdwa v12, v9, v12 dst_sel:DWORD dst_unused:UNUSED_PAD src0_sel:WORD_1 src1_sel:DWORD
	v_lshrrev_b32_sdwa v25, v25, v11 dst_sel:BYTE_1 dst_unused:UNUSED_PAD src0_sel:DWORD src1_sel:DWORD
	v_lshrrev_b32_sdwa v10, v10, v11 dst_sel:BYTE_1 dst_unused:UNUSED_PAD src0_sel:DWORD src1_sel:DWORD
	v_or_b32_sdwa v8, v9, v8 dst_sel:DWORD dst_unused:UNUSED_PAD src0_sel:BYTE_0 src1_sel:DWORD
	v_or_b32_sdwa v9, v12, v27 dst_sel:WORD_1 dst_unused:UNUSED_PAD src0_sel:DWORD src1_sel:DWORD
	v_or_b32_sdwa v11, v11, v25 dst_sel:DWORD dst_unused:UNUSED_PAD src0_sel:BYTE_0 src1_sel:DWORD
	v_or_b32_sdwa v12, v26, v10 dst_sel:WORD_1 dst_unused:UNUSED_PAD src0_sel:DWORD src1_sel:DWORD
	v_or_b32_sdwa v10, v8, v9 dst_sel:DWORD dst_unused:UNUSED_PAD src0_sel:WORD_0 src1_sel:DWORD
	v_or_b32_sdwa v8, v11, v12 dst_sel:DWORD dst_unused:UNUSED_PAD src0_sel:WORD_0 src1_sel:DWORD
.LBB46_71:
	s_or_b32 exec_lo, exec_lo, s2
	v_add_nc_u32_e32 v9, 6, v34
                                        ; implicit-def: $vgpr36
	v_cmp_le_u32_e32 vcc_lo, s5, v9
                                        ; implicit-def: $vgpr9
	s_and_saveexec_b32 s1, vcc_lo
	s_xor_b32 s1, exec_lo, s1
	s_cbranch_execz .LBB46_73
; %bb.72:
	v_lshrrev_b32_e32 v9, 24, v10
	v_mov_b32_e32 v11, 8
	v_perm_b32 v7, v7, v7, 0x3060504
	v_perm_b32 v9, v9, v10, 0x40c0100
	v_lshrrev_b32_sdwa v10, v11, v9 dst_sel:BYTE_1 dst_unused:UNUSED_PAD src0_sel:DWORD src1_sel:DWORD
	v_and_b32_e32 v11, 0xff0000, v8
	v_or_b32_sdwa v10, v9, v10 dst_sel:DWORD dst_unused:UNUSED_PAD src0_sel:BYTE_0 src1_sel:DWORD
	v_perm_b32 v36, v8, v11, 0x3020504
                                        ; implicit-def: $vgpr8
	v_and_b32_e32 v10, 0xffff, v10
	v_and_or_b32 v9, 0xff000000, v9, v10
                                        ; implicit-def: $vgpr10
.LBB46_73:
	s_andn2_saveexec_b32 s2, s1
	s_cbranch_execz .LBB46_77
; %bb.74:
	v_add_nc_u32_e32 v9, s17, v17
	v_add_nc_u32_e32 v11, s19, v17
	s_mov_b32 s3, 0
	s_mov_b32 s4, exec_lo
	v_mul_lo_u32 v9, v9, s16
	v_mul_lo_u32 v11, v11, s18
	v_sub_nc_u32_e32 v9, v9, v11
	v_cmp_lt_u32_e32 vcc_lo, s20, v9
	v_cmpx_ge_u32_e64 s20, v9
	s_cbranch_execz .LBB46_76
; %bb.75:
	v_add_nc_u32_e32 v9, s22, v17
	v_add_nc_u32_e32 v11, s38, v17
	v_mul_lo_u32 v9, v9, s21
	v_mul_lo_u32 v11, v11, s23
	v_sub_nc_u32_e32 v9, v9, v11
	v_cmp_lt_u32_e64 s1, s39, v9
	s_and_b32 s3, s1, exec_lo
.LBB46_76:
	s_or_b32 exec_lo, exec_lo, s4
	v_mov_b32_e32 v9, 8
	v_mov_b32_e32 v11, 24
	v_cndmask_b32_e64 v25, 0, 1, s3
	v_mov_b32_e32 v26, 0xff
	v_cndmask_b32_e64 v12, 0, 1, vcc_lo
	v_lshrrev_b32_sdwa v27, v9, v10 dst_sel:BYTE_1 dst_unused:UNUSED_PAD src0_sel:DWORD src1_sel:DWORD
	v_lshrrev_b32_sdwa v11, v11, v10 dst_sel:BYTE_1 dst_unused:UNUSED_PAD src0_sel:DWORD src1_sel:DWORD
	;; [unrolled: 1-line block ×3, first 2 shown]
	v_lshlrev_b16 v25, 8, v25
	v_and_b32_sdwa v26, v8, v26 dst_sel:DWORD dst_unused:UNUSED_PAD src0_sel:WORD_1 src1_sel:DWORD
	v_or_b32_sdwa v10, v10, v27 dst_sel:DWORD dst_unused:UNUSED_PAD src0_sel:BYTE_0 src1_sel:DWORD
	v_or_b32_sdwa v11, v12, v11 dst_sel:WORD_1 dst_unused:UNUSED_PAD src0_sel:DWORD src1_sel:DWORD
	v_or_b32_sdwa v8, v8, v9 dst_sel:DWORD dst_unused:UNUSED_PAD src0_sel:BYTE_0 src1_sel:DWORD
	v_or_b32_sdwa v12, v26, v25 dst_sel:WORD_1 dst_unused:UNUSED_PAD src0_sel:DWORD src1_sel:DWORD
	v_or_b32_sdwa v9, v10, v11 dst_sel:DWORD dst_unused:UNUSED_PAD src0_sel:WORD_0 src1_sel:DWORD
	v_or_b32_sdwa v36, v8, v12 dst_sel:DWORD dst_unused:UNUSED_PAD src0_sel:WORD_0 src1_sel:DWORD
.LBB46_77:
	s_or_b32 exec_lo, exec_lo, s2
	v_add_nc_u32_e32 v8, 7, v34
                                        ; implicit-def: $vgpr37
	v_cmp_le_u32_e32 vcc_lo, s5, v8
                                        ; implicit-def: $vgpr8
	s_and_saveexec_b32 s1, vcc_lo
	s_xor_b32 s1, exec_lo, s1
	s_cbranch_execz .LBB46_79
; %bb.78:
	v_mov_b32_e32 v8, 24
	v_mov_b32_e32 v10, 0xff
	;; [unrolled: 1-line block ×3, first 2 shown]
	v_lshrrev_b32_sdwa v8, v8, v7 dst_sel:BYTE_1 dst_unused:UNUSED_PAD src0_sel:DWORD src1_sel:DWORD
	v_and_b32_sdwa v10, v7, v10 dst_sel:DWORD dst_unused:UNUSED_PAD src0_sel:WORD_1 src1_sel:DWORD
	v_lshrrev_b32_sdwa v7, v11, v7 dst_sel:BYTE_1 dst_unused:UNUSED_PAD src0_sel:DWORD src1_sel:DWORD
	v_and_b32_e32 v11, 0xff0000, v9
	v_or_b32_sdwa v8, v10, v8 dst_sel:WORD_1 dst_unused:UNUSED_PAD src0_sel:DWORD src1_sel:DWORD
	v_perm_b32 v37, v9, v11, 0x3020504
                                        ; implicit-def: $vgpr9
	v_or_b32_sdwa v8, v7, v8 dst_sel:DWORD dst_unused:UNUSED_PAD src0_sel:WORD_0 src1_sel:DWORD
                                        ; implicit-def: $vgpr7
.LBB46_79:
	s_andn2_saveexec_b32 s2, s1
	s_cbranch_execz .LBB46_83
; %bb.80:
	v_add_nc_u32_e32 v8, s17, v18
	v_add_nc_u32_e32 v10, s19, v18
	s_mov_b32 s3, 0
	s_mov_b32 s4, exec_lo
	v_mul_lo_u32 v8, v8, s16
	v_mul_lo_u32 v10, v10, s18
	v_sub_nc_u32_e32 v8, v8, v10
	v_cmp_lt_u32_e32 vcc_lo, s20, v8
	v_cmpx_ge_u32_e64 s20, v8
	s_cbranch_execz .LBB46_82
; %bb.81:
	v_add_nc_u32_e32 v8, s22, v18
	v_add_nc_u32_e32 v10, s38, v18
	v_mul_lo_u32 v8, v8, s21
	v_mul_lo_u32 v10, v10, s23
	v_sub_nc_u32_e32 v8, v8, v10
	v_cmp_lt_u32_e64 s1, s39, v8
	s_and_b32 s3, s1, exec_lo
.LBB46_82:
	s_or_b32 exec_lo, exec_lo, s4
	v_mov_b32_e32 v8, 8
	v_cndmask_b32_e64 v10, 0, 1, vcc_lo
	v_mov_b32_e32 v11, 0xff
	v_mov_b32_e32 v12, 24
	v_cndmask_b32_e64 v25, 0, 1, s3
	v_lshrrev_b32_sdwa v26, v8, v9 dst_sel:BYTE_1 dst_unused:UNUSED_PAD src0_sel:DWORD src1_sel:DWORD
	v_lshlrev_b16 v10, 8, v10
	v_and_b32_sdwa v27, v9, v11 dst_sel:DWORD dst_unused:UNUSED_PAD src0_sel:WORD_1 src1_sel:DWORD
	v_lshrrev_b32_sdwa v12, v12, v7 dst_sel:BYTE_1 dst_unused:UNUSED_PAD src0_sel:DWORD src1_sel:DWORD
	v_and_b32_sdwa v11, v7, v11 dst_sel:DWORD dst_unused:UNUSED_PAD src0_sel:WORD_1 src1_sel:DWORD
	v_lshrrev_b32_sdwa v7, v8, v7 dst_sel:BYTE_1 dst_unused:UNUSED_PAD src0_sel:DWORD src1_sel:DWORD
	v_or_b32_sdwa v8, v9, v26 dst_sel:DWORD dst_unused:UNUSED_PAD src0_sel:BYTE_0 src1_sel:DWORD
	v_or_b32_sdwa v9, v27, v10 dst_sel:WORD_1 dst_unused:UNUSED_PAD src0_sel:DWORD src1_sel:DWORD
	v_or_b32_sdwa v10, v11, v12 dst_sel:WORD_1 dst_unused:UNUSED_PAD src0_sel:DWORD src1_sel:DWORD
	v_or_b32_e32 v7, v25, v7
	v_or_b32_sdwa v37, v8, v9 dst_sel:DWORD dst_unused:UNUSED_PAD src0_sel:WORD_0 src1_sel:DWORD
	v_or_b32_sdwa v8, v7, v10 dst_sel:DWORD dst_unused:UNUSED_PAD src0_sel:WORD_0 src1_sel:DWORD
.LBB46_83:
	s_or_b32 exec_lo, exec_lo, s2
	v_add_nc_u32_e32 v7, 8, v34
                                        ; implicit-def: $vgpr9
	v_cmp_le_u32_e32 vcc_lo, s5, v7
                                        ; implicit-def: $vgpr7
	s_and_saveexec_b32 s1, vcc_lo
	s_xor_b32 s1, exec_lo, s1
	s_cbranch_execz .LBB46_85
; %bb.84:
	v_mov_b32_e32 v7, 24
	v_mov_b32_e32 v9, 0xff
	;; [unrolled: 1-line block ×3, first 2 shown]
	v_perm_b32 v5, v5, v5, 0x3060504
	v_lshrrev_b32_sdwa v11, v7, v8 dst_sel:BYTE_1 dst_unused:UNUSED_PAD src0_sel:DWORD src1_sel:DWORD
	v_lshrrev_b32_sdwa v7, v7, v6 dst_sel:BYTE_1 dst_unused:UNUSED_PAD src0_sel:DWORD src1_sel:DWORD
	v_and_b32_sdwa v12, v6, v9 dst_sel:DWORD dst_unused:UNUSED_PAD src0_sel:WORD_1 src1_sel:DWORD
	v_and_b32_sdwa v9, v8, v9 dst_sel:DWORD dst_unused:UNUSED_PAD src0_sel:WORD_1 src1_sel:DWORD
	v_lshrrev_b32_sdwa v6, v10, v6 dst_sel:BYTE_1 dst_unused:UNUSED_PAD src0_sel:DWORD src1_sel:DWORD
	v_or_b32_sdwa v7, v12, v7 dst_sel:WORD_1 dst_unused:UNUSED_PAD src0_sel:DWORD src1_sel:DWORD
	v_or_b32_e32 v9, v9, v11
	v_or_b32_sdwa v7, v6, v7 dst_sel:DWORD dst_unused:UNUSED_PAD src0_sel:WORD_0 src1_sel:DWORD
	v_perm_b32 v9, v9, v8, 0x5040c00
                                        ; implicit-def: $vgpr6
                                        ; implicit-def: $vgpr8
.LBB46_85:
	s_andn2_saveexec_b32 s2, s1
	s_cbranch_execz .LBB46_89
; %bb.86:
	v_add_nc_u32_e32 v7, s17, v15
	v_add_nc_u32_e32 v9, s19, v15
	s_mov_b32 s3, 0
	s_mov_b32 s4, exec_lo
	v_mul_lo_u32 v7, v7, s16
	v_mul_lo_u32 v9, v9, s18
	v_sub_nc_u32_e32 v7, v7, v9
	v_cmp_lt_u32_e32 vcc_lo, s20, v7
	v_cmpx_ge_u32_e64 s20, v7
	s_cbranch_execz .LBB46_88
; %bb.87:
	v_add_nc_u32_e32 v7, s22, v15
	v_add_nc_u32_e32 v9, s38, v15
	v_mul_lo_u32 v7, v7, s21
	v_mul_lo_u32 v9, v9, s23
	v_sub_nc_u32_e32 v7, v7, v9
	v_cmp_lt_u32_e64 s1, s39, v7
	s_and_b32 s3, s1, exec_lo
.LBB46_88:
	s_or_b32 exec_lo, exec_lo, s4
	v_mov_b32_e32 v7, 24
	v_mov_b32_e32 v9, 0xff
	v_mov_b32_e32 v10, 8
	v_cndmask_b32_e64 v11, 0, 1, s3
	v_cndmask_b32_e64 v12, 0, 1, vcc_lo
	v_lshrrev_b32_sdwa v25, v7, v6 dst_sel:BYTE_1 dst_unused:UNUSED_PAD src0_sel:DWORD src1_sel:DWORD
	v_and_b32_sdwa v26, v6, v9 dst_sel:DWORD dst_unused:UNUSED_PAD src0_sel:WORD_1 src1_sel:DWORD
	v_lshrrev_b32_sdwa v6, v10, v6 dst_sel:BYTE_1 dst_unused:UNUSED_PAD src0_sel:DWORD src1_sel:DWORD
	v_lshlrev_b16 v10, 8, v11
	v_lshrrev_b32_sdwa v7, v7, v8 dst_sel:BYTE_1 dst_unused:UNUSED_PAD src0_sel:DWORD src1_sel:DWORD
	v_and_b32_sdwa v9, v8, v9 dst_sel:DWORD dst_unused:UNUSED_PAD src0_sel:WORD_1 src1_sel:DWORD
	v_or_b32_sdwa v11, v26, v25 dst_sel:WORD_1 dst_unused:UNUSED_PAD src0_sel:DWORD src1_sel:DWORD
	v_or_b32_e32 v6, v12, v6
	v_or_b32_sdwa v8, v8, v10 dst_sel:DWORD dst_unused:UNUSED_PAD src0_sel:BYTE_0 src1_sel:DWORD
	v_or_b32_sdwa v9, v9, v7 dst_sel:WORD_1 dst_unused:UNUSED_PAD src0_sel:DWORD src1_sel:DWORD
	v_or_b32_sdwa v7, v6, v11 dst_sel:DWORD dst_unused:UNUSED_PAD src0_sel:WORD_0 src1_sel:DWORD
	v_or_b32_sdwa v9, v8, v9 dst_sel:DWORD dst_unused:UNUSED_PAD src0_sel:WORD_0 src1_sel:DWORD
.LBB46_89:
	s_or_b32 exec_lo, exec_lo, s2
	v_add_nc_u32_e32 v6, 9, v34
                                        ; implicit-def: $vgpr8
	v_cmp_le_u32_e32 vcc_lo, s5, v6
                                        ; implicit-def: $vgpr6
	s_and_saveexec_b32 s1, vcc_lo
	s_xor_b32 s1, exec_lo, s1
	s_cbranch_execz .LBB46_91
; %bb.90:
	v_lshrrev_b32_e32 v6, 24, v9
	v_mov_b32_e32 v8, 8
	v_mov_b32_e32 v10, 0xff
	v_perm_b32 v5, v5, v5, 0x3060504
	v_perm_b32 v6, v6, v9, 0x40c0100
	v_mov_b32_e32 v9, 24
	v_and_b32_sdwa v10, v7, v10 dst_sel:DWORD dst_unused:UNUSED_PAD src0_sel:WORD_1 src1_sel:DWORD
	v_lshrrev_b32_sdwa v8, v8, v6 dst_sel:BYTE_1 dst_unused:UNUSED_PAD src0_sel:DWORD src1_sel:DWORD
	v_lshrrev_b32_sdwa v9, v9, v7 dst_sel:BYTE_1 dst_unused:UNUSED_PAD src0_sel:DWORD src1_sel:DWORD
	v_or_b32_sdwa v8, v6, v8 dst_sel:DWORD dst_unused:UNUSED_PAD src0_sel:BYTE_0 src1_sel:DWORD
	v_or_b32_e32 v9, v10, v9
	v_and_b32_e32 v10, 0xffff, v8
	v_perm_b32 v8, v9, v7, 0x5040c00
                                        ; implicit-def: $vgpr7
                                        ; implicit-def: $vgpr9
	v_and_or_b32 v6, 0xff000000, v6, v10
.LBB46_91:
	s_andn2_saveexec_b32 s2, s1
	s_cbranch_execz .LBB46_95
; %bb.92:
	v_add_nc_u32_e32 v6, s17, v16
	v_add_nc_u32_e32 v8, s19, v16
	s_mov_b32 s3, 0
	s_mov_b32 s4, exec_lo
	v_mul_lo_u32 v6, v6, s16
	v_mul_lo_u32 v8, v8, s18
	v_sub_nc_u32_e32 v6, v6, v8
	v_cmp_lt_u32_e32 vcc_lo, s20, v6
	v_cmpx_ge_u32_e64 s20, v6
	s_cbranch_execz .LBB46_94
; %bb.93:
	v_add_nc_u32_e32 v6, s22, v16
	v_add_nc_u32_e32 v8, s38, v16
	v_mul_lo_u32 v6, v6, s21
	v_mul_lo_u32 v8, v8, s23
	v_sub_nc_u32_e32 v6, v6, v8
	v_cmp_lt_u32_e64 s1, s39, v6
	s_and_b32 s3, s1, exec_lo
.LBB46_94:
	s_or_b32 exec_lo, exec_lo, s4
	v_cndmask_b32_e64 v6, 0, 1, vcc_lo
	v_mov_b32_e32 v8, 24
	v_mov_b32_e32 v10, 0xff
	;; [unrolled: 1-line block ×3, first 2 shown]
	v_cndmask_b32_e64 v12, 0, 1, s3
	v_lshlrev_b16 v6, 8, v6
	v_lshrrev_b32_sdwa v25, v8, v7 dst_sel:BYTE_1 dst_unused:UNUSED_PAD src0_sel:DWORD src1_sel:DWORD
	v_and_b32_sdwa v10, v7, v10 dst_sel:DWORD dst_unused:UNUSED_PAD src0_sel:WORD_1 src1_sel:DWORD
	v_lshrrev_b32_sdwa v11, v11, v9 dst_sel:BYTE_1 dst_unused:UNUSED_PAD src0_sel:DWORD src1_sel:DWORD
	v_lshrrev_b32_sdwa v8, v8, v9 dst_sel:BYTE_1 dst_unused:UNUSED_PAD src0_sel:DWORD src1_sel:DWORD
	v_or_b32_sdwa v6, v7, v6 dst_sel:DWORD dst_unused:UNUSED_PAD src0_sel:BYTE_0 src1_sel:DWORD
	v_or_b32_sdwa v7, v10, v25 dst_sel:WORD_1 dst_unused:UNUSED_PAD src0_sel:DWORD src1_sel:DWORD
	v_or_b32_sdwa v9, v9, v11 dst_sel:DWORD dst_unused:UNUSED_PAD src0_sel:BYTE_0 src1_sel:DWORD
	v_or_b32_sdwa v10, v12, v8 dst_sel:WORD_1 dst_unused:UNUSED_PAD src0_sel:DWORD src1_sel:DWORD
	v_or_b32_sdwa v8, v6, v7 dst_sel:DWORD dst_unused:UNUSED_PAD src0_sel:WORD_0 src1_sel:DWORD
	v_or_b32_sdwa v6, v9, v10 dst_sel:DWORD dst_unused:UNUSED_PAD src0_sel:WORD_0 src1_sel:DWORD
.LBB46_95:
	s_or_b32 exec_lo, exec_lo, s2
	v_add_nc_u32_e32 v7, 10, v34
                                        ; implicit-def: $vgpr38
	v_cmp_le_u32_e32 vcc_lo, s5, v7
                                        ; implicit-def: $vgpr7
	s_and_saveexec_b32 s1, vcc_lo
	s_xor_b32 s1, exec_lo, s1
	s_cbranch_execz .LBB46_97
; %bb.96:
	v_lshrrev_b32_e32 v7, 24, v8
	v_mov_b32_e32 v9, 8
	v_perm_b32 v5, v5, v5, 0x3060504
	v_perm_b32 v7, v7, v8, 0x40c0100
	v_lshrrev_b32_sdwa v8, v9, v7 dst_sel:BYTE_1 dst_unused:UNUSED_PAD src0_sel:DWORD src1_sel:DWORD
	v_and_b32_e32 v9, 0xff0000, v6
	v_or_b32_sdwa v8, v7, v8 dst_sel:DWORD dst_unused:UNUSED_PAD src0_sel:BYTE_0 src1_sel:DWORD
	v_perm_b32 v38, v6, v9, 0x3020504
                                        ; implicit-def: $vgpr6
	v_and_b32_e32 v8, 0xffff, v8
	v_and_or_b32 v7, 0xff000000, v7, v8
                                        ; implicit-def: $vgpr8
.LBB46_97:
	s_andn2_saveexec_b32 s2, s1
	s_cbranch_execz .LBB46_101
; %bb.98:
	v_add_nc_u32_e32 v7, s17, v13
	v_add_nc_u32_e32 v9, s19, v13
	s_mov_b32 s3, 0
	s_mov_b32 s4, exec_lo
	v_mul_lo_u32 v7, v7, s16
	v_mul_lo_u32 v9, v9, s18
	v_sub_nc_u32_e32 v7, v7, v9
	v_cmp_lt_u32_e32 vcc_lo, s20, v7
	v_cmpx_ge_u32_e64 s20, v7
	s_cbranch_execz .LBB46_100
; %bb.99:
	v_add_nc_u32_e32 v7, s22, v13
	v_add_nc_u32_e32 v9, s38, v13
	v_mul_lo_u32 v7, v7, s21
	v_mul_lo_u32 v9, v9, s23
	v_sub_nc_u32_e32 v7, v7, v9
	v_cmp_lt_u32_e64 s1, s39, v7
	s_and_b32 s3, s1, exec_lo
.LBB46_100:
	s_or_b32 exec_lo, exec_lo, s4
	v_mov_b32_e32 v7, 8
	v_mov_b32_e32 v9, 24
	v_cndmask_b32_e64 v11, 0, 1, s3
	v_mov_b32_e32 v12, 0xff
	v_cndmask_b32_e64 v10, 0, 1, vcc_lo
	v_lshrrev_b32_sdwa v25, v7, v8 dst_sel:BYTE_1 dst_unused:UNUSED_PAD src0_sel:DWORD src1_sel:DWORD
	v_lshrrev_b32_sdwa v9, v9, v8 dst_sel:BYTE_1 dst_unused:UNUSED_PAD src0_sel:DWORD src1_sel:DWORD
	v_lshrrev_b32_sdwa v7, v7, v6 dst_sel:BYTE_1 dst_unused:UNUSED_PAD src0_sel:DWORD src1_sel:DWORD
	v_lshlrev_b16 v11, 8, v11
	v_and_b32_sdwa v12, v6, v12 dst_sel:DWORD dst_unused:UNUSED_PAD src0_sel:WORD_1 src1_sel:DWORD
	v_or_b32_sdwa v8, v8, v25 dst_sel:DWORD dst_unused:UNUSED_PAD src0_sel:BYTE_0 src1_sel:DWORD
	v_or_b32_sdwa v9, v10, v9 dst_sel:WORD_1 dst_unused:UNUSED_PAD src0_sel:DWORD src1_sel:DWORD
	v_or_b32_sdwa v6, v6, v7 dst_sel:DWORD dst_unused:UNUSED_PAD src0_sel:BYTE_0 src1_sel:DWORD
	v_or_b32_sdwa v10, v12, v11 dst_sel:WORD_1 dst_unused:UNUSED_PAD src0_sel:DWORD src1_sel:DWORD
	v_or_b32_sdwa v7, v8, v9 dst_sel:DWORD dst_unused:UNUSED_PAD src0_sel:WORD_0 src1_sel:DWORD
	v_or_b32_sdwa v38, v6, v10 dst_sel:DWORD dst_unused:UNUSED_PAD src0_sel:WORD_0 src1_sel:DWORD
.LBB46_101:
	s_or_b32 exec_lo, exec_lo, s2
	v_add_nc_u32_e32 v6, 11, v34
	v_mov_b32_e32 v39, 0
	s_mov_b32 s1, exec_lo
                                        ; implicit-def: $vgpr40
	v_cmpx_le_u32_e64 s5, v6
	s_xor_b32 s1, exec_lo, s1
; %bb.102:
	v_and_b32_e32 v6, 0xff0000, v7
	v_perm_b32 v5, v5, v5, 0x3060504
	v_perm_b32 v40, v7, v6, 0x3020504
                                        ; implicit-def: $vgpr7
; %bb.103:
	s_andn2_saveexec_b32 s2, s1
	s_cbranch_execz .LBB46_107
; %bb.104:
	v_add_nc_u32_e32 v6, s17, v14
	v_add_nc_u32_e32 v8, s19, v14
	s_mov_b32 s3, 0
	s_mov_b32 s4, exec_lo
	v_mul_lo_u32 v6, v6, s16
	v_mul_lo_u32 v8, v8, s18
	v_sub_nc_u32_e32 v6, v6, v8
	v_cmp_lt_u32_e32 vcc_lo, s20, v6
	v_cmpx_ge_u32_e64 s20, v6
	s_cbranch_execz .LBB46_106
; %bb.105:
	v_add_nc_u32_e32 v6, s22, v14
	v_add_nc_u32_e32 v8, s38, v14
	v_mul_lo_u32 v6, v6, s21
	v_mul_lo_u32 v8, v8, s23
	v_sub_nc_u32_e32 v6, v6, v8
	v_cmp_lt_u32_e64 s1, s39, v6
	s_and_b32 s3, s1, exec_lo
.LBB46_106:
	s_or_b32 exec_lo, exec_lo, s4
	v_mov_b32_e32 v6, 8
	v_cndmask_b32_e64 v8, 0, 1, vcc_lo
	v_mov_b32_e32 v9, 0xff
	v_cndmask_b32_e64 v39, 0, 1, s3
	v_lshrrev_b32_sdwa v6, v6, v7 dst_sel:BYTE_1 dst_unused:UNUSED_PAD src0_sel:DWORD src1_sel:DWORD
	v_lshlrev_b16 v8, 8, v8
	v_and_b32_sdwa v9, v7, v9 dst_sel:DWORD dst_unused:UNUSED_PAD src0_sel:WORD_1 src1_sel:DWORD
	v_or_b32_sdwa v6, v7, v6 dst_sel:DWORD dst_unused:UNUSED_PAD src0_sel:BYTE_0 src1_sel:DWORD
	v_or_b32_sdwa v7, v9, v8 dst_sel:WORD_1 dst_unused:UNUSED_PAD src0_sel:DWORD src1_sel:DWORD
	v_or_b32_sdwa v40, v6, v7 dst_sel:DWORD dst_unused:UNUSED_PAD src0_sel:WORD_0 src1_sel:DWORD
.LBB46_107:
	s_or_b32 exec_lo, exec_lo, s2
	v_add_nc_u32_e32 v6, 12, v34
	s_mov_b32 s1, exec_lo
                                        ; implicit-def: $vgpr41
	v_cmpx_le_u32_e64 s5, v6
	s_xor_b32 s1, exec_lo, s1
	s_cbranch_execz .LBB46_109
; %bb.108:
	v_mov_b32_e32 v6, 24
	v_mov_b32_e32 v7, 0xff
	;; [unrolled: 1-line block ×3, first 2 shown]
	v_lshrrev_b32_sdwa v6, v6, v5 dst_sel:BYTE_1 dst_unused:UNUSED_PAD src0_sel:DWORD src1_sel:DWORD
	v_and_b32_sdwa v7, v5, v7 dst_sel:DWORD dst_unused:UNUSED_PAD src0_sel:WORD_1 src1_sel:DWORD
	v_lshrrev_b32_sdwa v5, v8, v5 dst_sel:BYTE_1 dst_unused:UNUSED_PAD src0_sel:DWORD src1_sel:DWORD
	v_or_b32_sdwa v6, v7, v6 dst_sel:WORD_1 dst_unused:UNUSED_PAD src0_sel:DWORD src1_sel:DWORD
	v_or_b32_sdwa v41, v5, v6 dst_sel:DWORD dst_unused:UNUSED_PAD src0_sel:WORD_0 src1_sel:DWORD
                                        ; implicit-def: $vgpr5
.LBB46_109:
	s_or_saveexec_b32 s2, s1
	v_mov_b32_e32 v42, 0
	s_xor_b32 exec_lo, exec_lo, s2
	s_cbranch_execz .LBB46_113
; %bb.110:
	v_add_nc_u32_e32 v6, s17, v33
	v_add_nc_u32_e32 v7, s19, v33
	s_mov_b32 s3, 0
	s_mov_b32 s4, exec_lo
	v_mul_lo_u32 v6, v6, s16
	v_mul_lo_u32 v7, v7, s18
	v_sub_nc_u32_e32 v6, v6, v7
	v_cmp_lt_u32_e32 vcc_lo, s20, v6
	v_cmpx_ge_u32_e64 s20, v6
	s_cbranch_execz .LBB46_112
; %bb.111:
	v_add_nc_u32_e32 v6, s22, v33
	v_add_nc_u32_e32 v7, s38, v33
	v_mul_lo_u32 v6, v6, s21
	v_mul_lo_u32 v7, v7, s23
	v_sub_nc_u32_e32 v6, v6, v7
	v_cmp_lt_u32_e64 s1, s39, v6
	s_and_b32 s3, s1, exec_lo
.LBB46_112:
	s_or_b32 exec_lo, exec_lo, s4
	v_mov_b32_e32 v6, 24
	v_mov_b32_e32 v7, 0xff
	;; [unrolled: 1-line block ×3, first 2 shown]
	v_cndmask_b32_e64 v9, 0, 1, vcc_lo
	v_cndmask_b32_e64 v42, 0, 1, s3
	v_lshrrev_b32_sdwa v6, v6, v5 dst_sel:BYTE_1 dst_unused:UNUSED_PAD src0_sel:DWORD src1_sel:DWORD
	v_and_b32_sdwa v7, v5, v7 dst_sel:DWORD dst_unused:UNUSED_PAD src0_sel:WORD_1 src1_sel:DWORD
	v_lshrrev_b32_sdwa v5, v8, v5 dst_sel:BYTE_1 dst_unused:UNUSED_PAD src0_sel:DWORD src1_sel:DWORD
	v_or_b32_sdwa v6, v7, v6 dst_sel:WORD_1 dst_unused:UNUSED_PAD src0_sel:DWORD src1_sel:DWORD
	v_or_b32_e32 v5, v9, v5
	v_or_b32_sdwa v41, v5, v6 dst_sel:DWORD dst_unused:UNUSED_PAD src0_sel:WORD_0 src1_sel:DWORD
.LBB46_113:
	s_or_b32 exec_lo, exec_lo, s2
.LBB46_114:
	v_and_b32_e32 v65, 0xff, v35
	v_bfe_u32 v66, v41, 8, 8
	v_bfe_u32 v62, v35, 8, 8
	v_bfe_u32 v63, v41, 16, 8
	v_bfe_u32 v64, v35, 16, 8
	v_lshrrev_b32_e32 v48, 24, v41
	v_lshrrev_b32_e32 v47, 24, v35
	v_and_b32_e32 v61, 0xff, v36
	v_and_b32_e32 v59, 0xff, v37
	v_bfe_u32 v60, v36, 8, 8
	v_add3_u32 v5, v62, v65, v64
	v_add3_u32 v6, v63, v66, v48
	v_bfe_u32 v57, v37, 8, 8
	v_bfe_u32 v58, v36, 16, 8
	;; [unrolled: 1-line block ×3, first 2 shown]
	v_lshrrev_b32_e32 v46, 24, v36
	v_add3_u32 v5, v5, v47, v59
	v_add3_u32 v6, v6, v61, v60
	v_lshrrev_b32_e32 v45, 24, v37
	v_and_b32_e32 v56, 0xff, v38
	v_and_b32_e32 v54, 0xff, v40
	v_bfe_u32 v55, v38, 8, 8
	v_add3_u32 v5, v5, v57, v52
	v_add3_u32 v6, v6, v58, v46
	v_bfe_u32 v51, v40, 8, 8
	v_bfe_u32 v53, v38, 16, 8
	;; [unrolled: 1-line block ×3, first 2 shown]
	v_lshrrev_b32_e32 v44, 24, v38
	v_add3_u32 v5, v5, v45, v54
	v_add3_u32 v6, v6, v56, v55
	v_mbcnt_lo_u32_b32 v67, -1, 0
	v_lshrrev_b32_e32 v43, 24, v40
	v_and_b32_e32 v50, 0xff, v39
	v_and_b32_e32 v7, 0xff, v41
	;; [unrolled: 1-line block ×3, first 2 shown]
	v_add3_u32 v5, v5, v51, v49
	v_add3_u32 v6, v6, v53, v44
	v_and_b32_e32 v69, 15, v67
	v_and_b32_e32 v71, 16, v67
	v_lshrrev_b32_e32 v68, 5, v0
	v_add3_u32 v72, v5, v43, v7
	v_add3_u32 v73, v6, v50, v8
	v_cmp_eq_u32_e64 s2, 0, v69
	v_cmp_lt_u32_e64 s1, 1, v69
	v_cmp_lt_u32_e64 s3, 3, v69
	v_or_b32_e32 v70, 31, v0
	s_cmp_lg_u32 s27, 0
	s_mov_b32 s4, -1
	v_cmp_lt_u32_e32 vcc_lo, 7, v69
	s_cbranch_scc0 .LBB46_136
; %bb.115:
	v_mov_b32_dpp v5, v73 row_shr:1 row_mask:0xf bank_mask:0xf
	v_mov_b32_dpp v6, v72 row_shr:1 row_mask:0xf bank_mask:0xf
	s_mov_b32 s4, exec_lo
	v_add_nc_u32_e32 v5, v5, v73
	v_add_nc_u32_e32 v6, v6, v72
	v_cndmask_b32_e64 v5, v5, v73, s2
	v_cndmask_b32_e64 v6, v6, v72, s2
	v_mov_b32_dpp v7, v5 row_shr:2 row_mask:0xf bank_mask:0xf
	v_mov_b32_dpp v8, v6 row_shr:2 row_mask:0xf bank_mask:0xf
	v_add_nc_u32_e32 v7, v5, v7
	v_add_nc_u32_e32 v8, v6, v8
	v_cndmask_b32_e64 v5, v5, v7, s1
	v_cndmask_b32_e64 v6, v6, v8, s1
	v_mov_b32_dpp v7, v5 row_shr:4 row_mask:0xf bank_mask:0xf
	v_mov_b32_dpp v8, v6 row_shr:4 row_mask:0xf bank_mask:0xf
	;; [unrolled: 6-line block ×3, first 2 shown]
	v_add_nc_u32_e32 v7, v5, v7
	v_add_nc_u32_e32 v8, v6, v8
	v_cndmask_b32_e32 v5, v5, v7, vcc_lo
	v_cndmask_b32_e32 v6, v6, v8, vcc_lo
	v_cmp_eq_u32_e32 vcc_lo, 0, v71
	ds_swizzle_b32 v7, v5 offset:swizzle(BROADCAST,32,15)
	ds_swizzle_b32 v8, v6 offset:swizzle(BROADCAST,32,15)
	s_waitcnt lgkmcnt(1)
	v_add_nc_u32_e32 v7, v5, v7
	s_waitcnt lgkmcnt(0)
	v_add_nc_u32_e32 v8, v6, v8
	v_cmpx_eq_u32_e64 v0, v70
	s_cbranch_execz .LBB46_117
; %bb.116:
	v_lshlrev_b32_e32 v11, 3, v68
	v_cndmask_b32_e32 v10, v7, v5, vcc_lo
	v_cndmask_b32_e32 v9, v8, v6, vcc_lo
	ds_write_b64 v11, v[9:10]
.LBB46_117:
	s_or_b32 exec_lo, exec_lo, s4
	s_mov_b32 s4, exec_lo
	s_waitcnt lgkmcnt(0)
	s_barrier
	buffer_gl0_inv
	v_cmpx_gt_u32_e32 8, v0
	s_cbranch_execz .LBB46_119
; %bb.118:
	v_lshlrev_b32_e32 v11, 3, v0
	v_and_b32_e32 v26, 7, v67
	ds_read_b64 v[9:10], v11
	v_cmp_eq_u32_e64 s3, 0, v26
	s_waitcnt lgkmcnt(0)
	v_mov_b32_dpp v12, v9 row_shr:1 row_mask:0xf bank_mask:0xf
	v_mov_b32_dpp v25, v10 row_shr:1 row_mask:0xf bank_mask:0xf
	v_add_nc_u32_e32 v12, v12, v9
	v_add_nc_u32_e32 v25, v25, v10
	v_cndmask_b32_e64 v9, v12, v9, s3
	v_cndmask_b32_e64 v10, v25, v10, s3
	v_cmp_lt_u32_e64 s3, 1, v26
	v_mov_b32_dpp v12, v9 row_shr:2 row_mask:0xf bank_mask:0xf
	v_mov_b32_dpp v25, v10 row_shr:2 row_mask:0xf bank_mask:0xf
	v_add_nc_u32_e32 v12, v9, v12
	v_add_nc_u32_e32 v25, v10, v25
	v_cndmask_b32_e64 v9, v9, v12, s3
	v_cndmask_b32_e64 v10, v10, v25, s3
	v_cmp_lt_u32_e64 s3, 3, v26
	v_mov_b32_dpp v12, v9 row_shr:4 row_mask:0xf bank_mask:0xf
	v_mov_b32_dpp v25, v10 row_shr:4 row_mask:0xf bank_mask:0xf
	v_cndmask_b32_e64 v12, 0, v12, s3
	v_cndmask_b32_e64 v25, 0, v25, s3
	v_add_nc_u32_e32 v9, v12, v9
	v_add_nc_u32_e32 v10, v25, v10
	ds_write_b64 v11, v[9:10]
.LBB46_119:
	s_or_b32 exec_lo, exec_lo, s4
	v_cndmask_b32_e32 v5, v7, v5, vcc_lo
	v_cndmask_b32_e32 v6, v8, v6, vcc_lo
	s_mov_b32 s4, exec_lo
	v_cmp_gt_u32_e32 vcc_lo, 32, v0
	s_waitcnt lgkmcnt(0)
	s_barrier
	buffer_gl0_inv
                                        ; implicit-def: $vgpr25
	v_cmpx_lt_u32_e32 31, v0
	s_cbranch_execz .LBB46_121
; %bb.120:
	v_lshl_add_u32 v7, v68, 3, -8
	ds_read_b64 v[25:26], v7
	s_waitcnt lgkmcnt(0)
	v_add_nc_u32_e32 v5, v26, v5
	v_add_nc_u32_e32 v6, v25, v6
.LBB46_121:
	s_or_b32 exec_lo, exec_lo, s4
	v_sub_co_u32 v7, s3, v67, 1
	v_cmp_gt_i32_e64 s4, 0, v7
	v_cndmask_b32_e64 v7, v7, v67, s4
	v_lshlrev_b32_e32 v7, 2, v7
	ds_bpermute_b32 v74, v7, v6
	ds_bpermute_b32 v75, v7, v5
	s_and_saveexec_b32 s4, vcc_lo
	s_cbranch_execz .LBB46_141
; %bb.122:
	v_mov_b32_e32 v8, 0
	ds_read_b64 v[5:6], v8 offset:56
	s_and_saveexec_b32 s6, s3
	s_cbranch_execz .LBB46_124
; %bb.123:
	s_add_i32 s8, s27, 32
	s_mov_b32 s9, 0
	v_mov_b32_e32 v7, 1
	s_lshl_b64 s[8:9], s[8:9], 4
	s_add_u32 s8, s36, s8
	s_addc_u32 s9, s37, s9
	v_mov_b32_e32 v10, s9
	v_mov_b32_e32 v9, s8
	s_waitcnt lgkmcnt(0)
	;;#ASMSTART
	global_store_dwordx4 v[9:10], v[5:8] off	
s_waitcnt vmcnt(0)
	;;#ASMEND
.LBB46_124:
	s_or_b32 exec_lo, exec_lo, s6
	v_xad_u32 v27, v67, -1, s27
	s_mov_b32 s7, 0
	v_add_nc_u32_e32 v7, 32, v27
	v_lshlrev_b64 v[9:10], 4, v[7:8]
	v_add_co_u32 v28, vcc_lo, s36, v9
	v_add_co_ci_u32_e64 v29, null, s37, v10, vcc_lo
	;;#ASMSTART
	global_load_dwordx4 v[9:12], v[28:29] off glc dlc	
s_waitcnt vmcnt(0)
	;;#ASMEND
	v_cmp_eq_u16_sdwa s8, v11, v8 src0_sel:BYTE_0 src1_sel:DWORD
	s_and_saveexec_b32 s6, s8
	s_cbranch_execz .LBB46_128
; %bb.125:
	v_mov_b32_e32 v7, 0
.LBB46_126:                             ; =>This Inner Loop Header: Depth=1
	;;#ASMSTART
	global_load_dwordx4 v[9:12], v[28:29] off glc dlc	
s_waitcnt vmcnt(0)
	;;#ASMEND
	v_cmp_ne_u16_sdwa s8, v11, v7 src0_sel:BYTE_0 src1_sel:DWORD
	s_or_b32 s7, s8, s7
	s_andn2_b32 exec_lo, exec_lo, s7
	s_cbranch_execnz .LBB46_126
; %bb.127:
	s_or_b32 exec_lo, exec_lo, s7
.LBB46_128:
	s_or_b32 exec_lo, exec_lo, s6
	v_cmp_ne_u32_e32 vcc_lo, 31, v67
	v_mov_b32_e32 v77, 2
	v_lshlrev_b32_e64 v78, v67, -1
	v_add_nc_u32_e32 v80, 2, v67
	v_add_nc_u32_e32 v82, 4, v67
	v_add_co_ci_u32_e64 v7, null, 0, v67, vcc_lo
	v_cmp_eq_u16_sdwa s6, v11, v77 src0_sel:BYTE_0 src1_sel:DWORD
	v_cmp_gt_u32_e32 vcc_lo, 30, v67
	v_add_nc_u32_e32 v84, 8, v67
	v_lshlrev_b32_e32 v76, 2, v7
	v_lshl_or_b32 v85, v67, 2, 64
	v_and_b32_e32 v12, s6, v78
	v_cndmask_b32_e64 v28, 0, 2, vcc_lo
	v_add_nc_u32_e32 v86, 16, v67
	ds_bpermute_b32 v7, v76, v10
	ds_bpermute_b32 v8, v76, v9
	v_or_b32_e32 v12, 0x80000000, v12
	v_add_lshl_u32 v79, v28, v67, 2
	v_ffbl_b32_e32 v12, v12
	v_cmp_lt_u32_e32 vcc_lo, v67, v12
	s_waitcnt lgkmcnt(1)
	v_add_nc_u32_e32 v7, v7, v10
	s_waitcnt lgkmcnt(0)
	v_add_nc_u32_e32 v8, v8, v9
	v_cndmask_b32_e32 v7, v10, v7, vcc_lo
	v_cndmask_b32_e32 v8, v9, v8, vcc_lo
	v_cmp_gt_u32_e32 vcc_lo, 28, v67
	ds_bpermute_b32 v9, v79, v7
	ds_bpermute_b32 v10, v79, v8
	v_cndmask_b32_e64 v28, 0, 4, vcc_lo
	v_cmp_gt_u32_e32 vcc_lo, v80, v12
	v_add_lshl_u32 v81, v28, v67, 2
	s_waitcnt lgkmcnt(1)
	v_add_nc_u32_e32 v9, v7, v9
	s_waitcnt lgkmcnt(0)
	v_add_nc_u32_e32 v10, v8, v10
	v_cndmask_b32_e32 v7, v9, v7, vcc_lo
	v_cndmask_b32_e32 v8, v10, v8, vcc_lo
	v_cmp_gt_u32_e32 vcc_lo, 24, v67
	ds_bpermute_b32 v9, v81, v7
	ds_bpermute_b32 v10, v81, v8
	v_cndmask_b32_e64 v28, 0, 8, vcc_lo
	v_cmp_gt_u32_e32 vcc_lo, v82, v12
	v_add_lshl_u32 v83, v28, v67, 2
	v_mov_b32_e32 v28, 0
	s_waitcnt lgkmcnt(1)
	v_add_nc_u32_e32 v9, v7, v9
	s_waitcnt lgkmcnt(0)
	v_add_nc_u32_e32 v10, v8, v10
	v_cndmask_b32_e32 v7, v9, v7, vcc_lo
	v_cndmask_b32_e32 v8, v10, v8, vcc_lo
	v_cmp_gt_u32_e32 vcc_lo, v84, v12
	ds_bpermute_b32 v9, v83, v7
	ds_bpermute_b32 v10, v83, v8
	s_waitcnt lgkmcnt(1)
	v_add_nc_u32_e32 v9, v7, v9
	s_waitcnt lgkmcnt(0)
	v_add_nc_u32_e32 v10, v8, v10
	v_cndmask_b32_e32 v7, v9, v7, vcc_lo
	v_cndmask_b32_e32 v8, v10, v8, vcc_lo
	v_cmp_le_u32_e32 vcc_lo, v86, v12
	ds_bpermute_b32 v10, v85, v7
	ds_bpermute_b32 v9, v85, v8
	s_waitcnt lgkmcnt(1)
	v_cndmask_b32_e32 v10, 0, v10, vcc_lo
	s_waitcnt lgkmcnt(0)
	v_cndmask_b32_e32 v9, 0, v9, vcc_lo
	v_add_nc_u32_e32 v10, v10, v7
	v_add_nc_u32_e32 v9, v9, v8
	s_branch .LBB46_132
.LBB46_129:                             ;   in Loop: Header=BB46_132 Depth=1
	s_or_b32 exec_lo, exec_lo, s7
.LBB46_130:                             ;   in Loop: Header=BB46_132 Depth=1
	s_or_b32 exec_lo, exec_lo, s6
	ds_bpermute_b32 v12, v76, v9
	ds_bpermute_b32 v29, v76, v10
	v_cmp_eq_u16_sdwa s6, v11, v77 src0_sel:BYTE_0 src1_sel:DWORD
	v_subrev_nc_u32_e32 v27, 32, v27
	v_and_or_b32 v30, s6, v78, 0x80000000
	s_mov_b32 s6, 0
	v_ffbl_b32_e32 v30, v30
	v_cmp_lt_u32_e32 vcc_lo, v67, v30
	s_waitcnt lgkmcnt(1)
	v_add_nc_u32_e32 v12, v12, v9
	s_waitcnt lgkmcnt(0)
	v_add_nc_u32_e32 v29, v29, v10
	v_cndmask_b32_e32 v9, v9, v12, vcc_lo
	v_cndmask_b32_e32 v10, v10, v29, vcc_lo
	v_cmp_gt_u32_e32 vcc_lo, v80, v30
	ds_bpermute_b32 v12, v79, v9
	ds_bpermute_b32 v29, v79, v10
	s_waitcnt lgkmcnt(1)
	v_add_nc_u32_e32 v12, v9, v12
	s_waitcnt lgkmcnt(0)
	v_add_nc_u32_e32 v29, v10, v29
	v_cndmask_b32_e32 v9, v12, v9, vcc_lo
	v_cndmask_b32_e32 v10, v29, v10, vcc_lo
	v_cmp_gt_u32_e32 vcc_lo, v82, v30
	ds_bpermute_b32 v12, v81, v9
	ds_bpermute_b32 v29, v81, v10
	;; [unrolled: 9-line block ×3, first 2 shown]
	s_waitcnt lgkmcnt(1)
	v_add_nc_u32_e32 v12, v9, v12
	s_waitcnt lgkmcnt(0)
	v_add_nc_u32_e32 v29, v10, v29
	v_cndmask_b32_e32 v9, v12, v9, vcc_lo
	v_cndmask_b32_e32 v10, v29, v10, vcc_lo
	v_cmp_le_u32_e32 vcc_lo, v86, v30
	ds_bpermute_b32 v12, v85, v9
	ds_bpermute_b32 v29, v85, v10
	s_waitcnt lgkmcnt(1)
	v_cndmask_b32_e32 v12, 0, v12, vcc_lo
	s_waitcnt lgkmcnt(0)
	v_cndmask_b32_e32 v29, 0, v29, vcc_lo
	v_add3_u32 v9, v9, v7, v12
	v_add3_u32 v10, v10, v8, v29
.LBB46_131:                             ;   in Loop: Header=BB46_132 Depth=1
	s_and_b32 vcc_lo, exec_lo, s6
	s_cbranch_vccnz .LBB46_137
.LBB46_132:                             ; =>This Loop Header: Depth=1
                                        ;     Child Loop BB46_135 Depth 2
	v_cmp_ne_u16_sdwa s6, v11, v77 src0_sel:BYTE_0 src1_sel:DWORD
	v_mov_b32_e32 v7, v9
	v_mov_b32_e32 v8, v10
                                        ; implicit-def: $vgpr11
                                        ; implicit-def: $vgpr9_vgpr10
	s_cmp_lg_u32 s6, exec_lo
	s_mov_b32 s6, -1
	s_cbranch_scc1 .LBB46_131
; %bb.133:                              ;   in Loop: Header=BB46_132 Depth=1
	v_lshlrev_b64 v[9:10], 4, v[27:28]
	v_add_co_u32 v29, vcc_lo, s36, v9
	v_add_co_ci_u32_e64 v30, null, s37, v10, vcc_lo
	;;#ASMSTART
	global_load_dwordx4 v[9:12], v[29:30] off glc dlc	
s_waitcnt vmcnt(0)
	;;#ASMEND
	v_cmp_eq_u16_sdwa s7, v11, v28 src0_sel:BYTE_0 src1_sel:DWORD
	s_and_saveexec_b32 s6, s7
	s_cbranch_execz .LBB46_130
; %bb.134:                              ;   in Loop: Header=BB46_132 Depth=1
	s_mov_b32 s7, 0
.LBB46_135:                             ;   Parent Loop BB46_132 Depth=1
                                        ; =>  This Inner Loop Header: Depth=2
	;;#ASMSTART
	global_load_dwordx4 v[9:12], v[29:30] off glc dlc	
s_waitcnt vmcnt(0)
	;;#ASMEND
	v_cmp_ne_u16_sdwa s8, v11, v28 src0_sel:BYTE_0 src1_sel:DWORD
	s_or_b32 s7, s8, s7
	s_andn2_b32 exec_lo, exec_lo, s7
	s_cbranch_execnz .LBB46_135
	s_branch .LBB46_129
.LBB46_136:
                                        ; implicit-def: $vgpr25
                                        ; implicit-def: $vgpr7
                                        ; implicit-def: $vgpr26
	s_and_b32 vcc_lo, exec_lo, s4
	s_cbranch_vccnz .LBB46_142
	s_branch .LBB46_151
.LBB46_137:
	s_and_saveexec_b32 s6, s3
	s_cbranch_execnz .LBB46_379
; %bb.138:
	s_or_b32 exec_lo, exec_lo, s6
	s_and_saveexec_b32 s6, s3
	s_cbranch_execnz .LBB46_380
.LBB46_139:
	s_or_b32 exec_lo, exec_lo, s6
	s_and_b32 exec_lo, exec_lo, s0
.LBB46_140:
	v_mov_b32_e32 v5, 0
	ds_write_b64 v5, v[7:8] offset:56
.LBB46_141:
	s_or_b32 exec_lo, exec_lo, s4
	v_mov_b32_e32 v5, 0
	s_waitcnt lgkmcnt(0)
	s_barrier
	buffer_gl0_inv
	v_cndmask_b32_e64 v11, v75, v26, s3
	ds_read_b64 v[9:10], v5 offset:56
	s_waitcnt lgkmcnt(0)
	s_barrier
	buffer_gl0_inv
	ds_read_b128 v[5:8], v5 offset:13312
	v_cndmask_b32_e64 v12, v74, v25, s3
	v_add_nc_u32_e32 v11, v10, v11
	v_add_nc_u32_e32 v12, v9, v12
	v_cndmask_b32_e64 v25, v11, v10, s0
	v_cndmask_b32_e64 v26, v12, v9, s0
	s_branch .LBB46_151
.LBB46_142:
	s_waitcnt lgkmcnt(0)
	v_mov_b32_dpp v5, v72 row_shr:1 row_mask:0xf bank_mask:0xf
	v_mov_b32_dpp v6, v73 row_shr:1 row_mask:0xf bank_mask:0xf
	v_cmp_lt_u32_e32 vcc_lo, 3, v69
	v_add_nc_u32_e32 v5, v5, v72
	v_add_nc_u32_e32 v6, v6, v73
	v_cndmask_b32_e64 v5, v5, v72, s2
	v_cndmask_b32_e64 v6, v6, v73, s2
	s_mov_b32 s2, exec_lo
	v_mov_b32_dpp v7, v5 row_shr:2 row_mask:0xf bank_mask:0xf
	v_mov_b32_dpp v8, v6 row_shr:2 row_mask:0xf bank_mask:0xf
	v_add_nc_u32_e32 v7, v5, v7
	v_add_nc_u32_e32 v8, v6, v8
	v_cndmask_b32_e64 v5, v5, v7, s1
	v_cndmask_b32_e64 v6, v6, v8, s1
	v_mov_b32_dpp v7, v5 row_shr:4 row_mask:0xf bank_mask:0xf
	v_mov_b32_dpp v8, v6 row_shr:4 row_mask:0xf bank_mask:0xf
	v_add_nc_u32_e32 v7, v5, v7
	v_add_nc_u32_e32 v8, v6, v8
	v_cndmask_b32_e32 v7, v5, v7, vcc_lo
	v_cndmask_b32_e32 v6, v6, v8, vcc_lo
	v_cmp_lt_u32_e32 vcc_lo, 7, v69
	v_mov_b32_dpp v5, v7 row_shr:8 row_mask:0xf bank_mask:0xf
	v_mov_b32_dpp v8, v6 row_shr:8 row_mask:0xf bank_mask:0xf
	v_add_nc_u32_e32 v9, v7, v5
	v_add_nc_u32_e32 v5, v6, v8
	v_cndmask_b32_e32 v5, v6, v5, vcc_lo
	v_cndmask_b32_e32 v6, v7, v9, vcc_lo
	v_cmp_eq_u32_e32 vcc_lo, 0, v71
	ds_swizzle_b32 v7, v5 offset:swizzle(BROADCAST,32,15)
	ds_swizzle_b32 v8, v6 offset:swizzle(BROADCAST,32,15)
	s_waitcnt lgkmcnt(1)
	v_add_nc_u32_e32 v7, v5, v7
	s_waitcnt lgkmcnt(0)
	v_add_nc_u32_e32 v8, v6, v8
	v_cmpx_eq_u32_e64 v0, v70
	s_cbranch_execz .LBB46_144
; %bb.143:
	v_cndmask_b32_e32 v9, v8, v6, vcc_lo
	v_cndmask_b32_e32 v10, v7, v5, vcc_lo
	v_lshlrev_b32_e32 v11, 3, v68
	ds_write_b64 v11, v[9:10]
.LBB46_144:
	s_or_b32 exec_lo, exec_lo, s2
	s_mov_b32 s2, exec_lo
	s_waitcnt lgkmcnt(0)
	s_barrier
	buffer_gl0_inv
	v_cmpx_gt_u32_e32 8, v0
	s_cbranch_execz .LBB46_146
; %bb.145:
	v_lshlrev_b32_e32 v11, 3, v0
	v_and_b32_e32 v26, 7, v67
	ds_read_b64 v[9:10], v11
	v_cmp_eq_u32_e64 s1, 0, v26
	s_waitcnt lgkmcnt(0)
	v_mov_b32_dpp v12, v9 row_shr:1 row_mask:0xf bank_mask:0xf
	v_mov_b32_dpp v25, v10 row_shr:1 row_mask:0xf bank_mask:0xf
	v_add_nc_u32_e32 v12, v12, v9
	v_add_nc_u32_e32 v25, v25, v10
	v_cndmask_b32_e64 v9, v12, v9, s1
	v_cndmask_b32_e64 v10, v25, v10, s1
	v_cmp_lt_u32_e64 s1, 1, v26
	v_mov_b32_dpp v12, v9 row_shr:2 row_mask:0xf bank_mask:0xf
	v_mov_b32_dpp v25, v10 row_shr:2 row_mask:0xf bank_mask:0xf
	v_add_nc_u32_e32 v12, v9, v12
	v_add_nc_u32_e32 v25, v10, v25
	v_cndmask_b32_e64 v9, v9, v12, s1
	v_cndmask_b32_e64 v10, v10, v25, s1
	v_cmp_lt_u32_e64 s1, 3, v26
	v_mov_b32_dpp v12, v9 row_shr:4 row_mask:0xf bank_mask:0xf
	v_mov_b32_dpp v25, v10 row_shr:4 row_mask:0xf bank_mask:0xf
	v_cndmask_b32_e64 v12, 0, v12, s1
	v_cndmask_b32_e64 v25, 0, v25, s1
	v_add_nc_u32_e32 v9, v12, v9
	v_add_nc_u32_e32 v10, v25, v10
	ds_write_b64 v11, v[9:10]
.LBB46_146:
	s_or_b32 exec_lo, exec_lo, s2
	v_mov_b32_e32 v11, 0
	v_mov_b32_e32 v9, 0
	v_mov_b32_e32 v10, 0
	s_mov_b32 s2, exec_lo
	s_waitcnt lgkmcnt(0)
	s_barrier
	buffer_gl0_inv
	v_cmpx_lt_u32_e32 31, v0
; %bb.147:
	v_lshl_add_u32 v9, v68, 3, -8
	ds_read_b64 v[9:10], v9
; %bb.148:
	s_or_b32 exec_lo, exec_lo, s2
	v_sub_co_u32 v12, s1, v67, 1
	v_cndmask_b32_e32 v6, v8, v6, vcc_lo
	v_cndmask_b32_e32 v5, v7, v5, vcc_lo
	v_cmp_gt_i32_e64 s2, 0, v12
	s_waitcnt lgkmcnt(0)
	v_add_nc_u32_e32 v6, v9, v6
	v_add_nc_u32_e32 v5, v10, v5
	v_cndmask_b32_e64 v8, v12, v67, s2
	v_lshlrev_b32_e32 v7, 2, v8
	ds_bpermute_b32 v12, v7, v6
	ds_bpermute_b32 v25, v7, v5
	ds_read_b64 v[5:6], v11 offset:56
	s_and_saveexec_b32 s2, s0
	s_cbranch_execz .LBB46_150
; %bb.149:
	s_add_u32 s6, s36, 0x200
	s_addc_u32 s7, s37, 0
	v_mov_b32_e32 v7, 2
	v_mov_b32_e32 v27, s7
	;; [unrolled: 1-line block ×4, first 2 shown]
	s_waitcnt lgkmcnt(0)
	;;#ASMSTART
	global_store_dwordx4 v[26:27], v[5:8] off	
s_waitcnt vmcnt(0)
	;;#ASMEND
.LBB46_150:
	s_or_b32 exec_lo, exec_lo, s2
	s_waitcnt lgkmcnt(1)
	v_cndmask_b32_e64 v7, v25, v10, s1
	v_cndmask_b32_e64 v9, v12, v9, s1
	v_mov_b32_e32 v8, 0
	s_waitcnt lgkmcnt(0)
	s_barrier
	v_cndmask_b32_e64 v25, v7, 0, s0
	v_cndmask_b32_e64 v26, v9, 0, s0
	v_mov_b32_e32 v7, 0
	buffer_gl0_inv
.LBB46_151:
	v_add_nc_u32_e32 v30, v25, v66
	v_add_nc_u32_e32 v29, v26, v65
	s_waitcnt lgkmcnt(0)
	v_sub_nc_u32_e32 v25, v25, v8
	v_lshrrev_b32_e32 v28, 8, v41
	v_lshlrev_b32_e32 v69, 1, v5
	v_add_nc_u32_e32 v63, v30, v63
	v_sub_nc_u32_e32 v30, v30, v8
	v_add_nc_u32_e32 v62, v29, v62
	v_sub_nc_u32_e32 v26, v26, v7
	;; [unrolled: 2-line block ×3, first 2 shown]
	v_add_nc_u32_e32 v30, v30, v5
	v_and_b32_e32 v28, 1, v28
	v_mov_b32_e32 v71, 1
	v_add3_u32 v34, v69, v6, v34
	v_add_nc_u32_e32 v75, v26, v25
	v_add_nc_u32_e32 v76, v30, v29
	v_add_co_u32 v1, vcc_lo, v1, v7
	v_add_co_ci_u32_e64 v2, null, 0, v2, vcc_lo
	v_sub_co_u32 v67, vcc_lo, v3, v5
	v_subrev_co_ci_u32_e64 v68, null, 0, v4, vcc_lo
	v_and_b32_sdwa v74, v71, v41 dst_sel:DWORD dst_unused:UNUSED_PAD src0_sel:DWORD src1_sel:WORD_1
	v_sub_nc_u32_e32 v76, v34, v76
	v_sub_nc_u32_e32 v75, v34, v75
	v_cmp_eq_u32_e32 vcc_lo, 1, v28
	v_lshrrev_b32_e32 v27, 8, v35
	v_add_nc_u32_e32 v65, v63, v48
	v_and_b32_e32 v70, 1, v35
	v_sub_nc_u32_e32 v63, v63, v8
	v_add_nc_u32_e32 v76, 1, v76
	v_cndmask_b32_e32 v25, v75, v25, vcc_lo
	v_cmp_eq_u32_e32 vcc_lo, 1, v74
	v_add_nc_u32_e32 v64, v62, v64
	v_and_b32_e32 v27, 1, v27
	v_sub_nc_u32_e32 v62, v62, v7
	v_add_nc_u32_e32 v63, v63, v5
	v_cndmask_b32_e32 v30, v76, v30, vcc_lo
	v_cmp_eq_u32_e32 vcc_lo, 1, v70
	v_and_b32_e32 v48, 1, v48
	v_add_nc_u32_e32 v61, v65, v61
	v_add_nc_u32_e32 v74, v63, v62
	v_and_b32_sdwa v35, v71, v35 dst_sel:DWORD dst_unused:UNUSED_PAD src0_sel:DWORD src1_sel:WORD_1
	v_cndmask_b32_e32 v70, v25, v26, vcc_lo
	v_cmp_eq_u32_e32 vcc_lo, 1, v27
	v_sub_nc_u32_e32 v65, v65, v8
	v_add_nc_u32_e32 v66, v64, v47
	v_add_nc_u32_e32 v60, v61, v60
	v_sub_nc_u32_e32 v61, v61, v8
	v_cndmask_b32_e32 v27, v30, v29, vcc_lo
	v_sub_nc_u32_e32 v29, v34, v74
	v_add_co_u32 v25, vcc_lo, v67, v8
	v_add_co_ci_u32_e64 v26, null, 0, v68, vcc_lo
	v_add_nc_u32_e32 v29, 2, v29
	v_cmp_eq_u32_e32 vcc_lo, 1, v48
	v_sub_nc_u32_e32 v48, v64, v7
	v_lshlrev_b32_e32 v30, 2, v70
	v_add_nc_u32_e32 v61, v61, v5
	v_lshlrev_b32_e32 v27, 2, v27
	v_cndmask_b32_e32 v29, v29, v63, vcc_lo
	v_add_nc_u32_e32 v63, v65, v5
	v_cmp_eq_u32_e32 vcc_lo, 1, v35
	v_sub_nc_u32_e32 v35, v66, v7
	v_lshrrev_b32_e32 v12, 8, v36
	ds_write_b32 v30, v23
	ds_write_b32 v27, v24
	v_and_b32_e32 v30, 1, v36
	v_cndmask_b32_e32 v29, v29, v62, vcc_lo
	v_add_nc_u32_e32 v62, v48, v63
	v_add_nc_u32_e32 v24, v35, v61
	;; [unrolled: 1-line block ×3, first 2 shown]
	v_and_b32_e32 v12, 1, v12
	v_lshlrev_b32_e32 v23, 2, v29
	v_sub_nc_u32_e32 v27, v34, v62
	v_and_b32_e32 v29, 1, v47
	v_sub_nc_u32_e32 v47, v60, v8
	v_sub_nc_u32_e32 v24, v34, v24
	v_cmp_eq_u32_e32 vcc_lo, 1, v30
	v_add_nc_u32_e32 v27, 3, v27
	v_add_nc_u32_e32 v57, v59, v57
	v_sub_nc_u32_e32 v59, v59, v7
	v_add_nc_u32_e32 v47, v47, v5
	v_add_nc_u32_e32 v24, 4, v24
	v_cndmask_b32_e32 v27, v27, v63, vcc_lo
	v_cmp_eq_u32_e32 vcc_lo, 1, v12
	v_add_nc_u32_e32 v58, v60, v58
	v_and_b32_e32 v30, 1, v37
	v_add_nc_u32_e32 v60, v59, v47
	v_lshrrev_b32_e32 v11, 8, v37
	v_cndmask_b32_e32 v12, v24, v61, vcc_lo
	v_cmp_eq_u32_e32 vcc_lo, 1, v29
	ds_write_b32 v23, v21
	v_and_b32_sdwa v23, v71, v36 dst_sel:DWORD dst_unused:UNUSED_PAD src0_sel:DWORD src1_sel:WORD_1
	v_add_nc_u32_e32 v72, v58, v46
	v_and_b32_e32 v11, 1, v11
	v_cndmask_b32_e32 v24, v27, v48, vcc_lo
	v_sub_nc_u32_e32 v27, v34, v60
	v_cmp_eq_u32_e32 vcc_lo, 1, v30
	v_add_nc_u32_e32 v52, v57, v52
	v_sub_nc_u32_e32 v29, v72, v8
	v_lshlrev_b32_e32 v21, 2, v24
	v_add_nc_u32_e32 v24, 5, v27
	v_cndmask_b32_e32 v12, v12, v35, vcc_lo
	v_sub_nc_u32_e32 v27, v58, v8
	v_cmp_eq_u32_e32 vcc_lo, 1, v23
	v_add_nc_u32_e32 v29, v29, v5
	v_add_nc_u32_e32 v56, v72, v56
	v_lshlrev_b32_e32 v12, 2, v12
	v_add_nc_u32_e32 v27, v27, v5
	v_cndmask_b32_e32 v23, v24, v47, vcc_lo
	v_sub_nc_u32_e32 v24, v57, v7
	v_cmp_eq_u32_e32 vcc_lo, 1, v11
	ds_write_b32 v21, v22
	ds_write_b32 v12, v19
	v_and_b32_e32 v22, 1, v46
	v_and_b32_e32 v35, 1, v38
	v_add_nc_u32_e32 v30, v24, v27
	v_cndmask_b32_e32 v11, v23, v59, vcc_lo
	v_sub_nc_u32_e32 v23, v52, v7
	v_cmp_eq_u32_e32 vcc_lo, 1, v22
	v_add_nc_u32_e32 v73, v52, v45
	v_sub_nc_u32_e32 v19, v34, v30
	v_sub_nc_u32_e32 v30, v56, v8
	v_add_nc_u32_e32 v12, v23, v29
	v_and_b32_sdwa v21, v71, v37 dst_sel:DWORD dst_unused:UNUSED_PAD src0_sel:DWORD src1_sel:WORD_1
	v_sub_nc_u32_e32 v36, v73, v7
	v_add_nc_u32_e32 v19, 6, v19
	v_add_nc_u32_e32 v30, v30, v5
	v_sub_nc_u32_e32 v12, v34, v12
	v_and_b32_e32 v22, 1, v45
	v_lshrrev_b32_e32 v10, 8, v38
	v_cndmask_b32_e32 v19, v19, v27, vcc_lo
	v_cmp_eq_u32_e32 vcc_lo, 1, v35
	v_add_nc_u32_e32 v12, 7, v12
	v_add_nc_u32_e32 v55, v56, v55
	;; [unrolled: 1-line block ×4, first 2 shown]
	v_and_b32_e32 v10, 1, v10
	v_cndmask_b32_e32 v12, v12, v29, vcc_lo
	v_cmp_eq_u32_e32 vcc_lo, 1, v21
	v_sub_nc_u32_e32 v21, v34, v27
	v_add_nc_u32_e32 v53, v55, v53
	v_lshlrev_b32_e32 v11, 2, v11
	v_add_nc_u32_e32 v51, v54, v51
	v_cndmask_b32_e32 v19, v19, v24, vcc_lo
	v_cmp_eq_u32_e32 vcc_lo, 1, v22
	v_sub_nc_u32_e32 v22, v55, v8
	v_add_nc_u32_e32 v21, 8, v21
	v_sub_nc_u32_e32 v24, v54, v7
	v_lshlrev_b32_e32 v19, 2, v19
	v_cndmask_b32_e32 v12, v12, v23, vcc_lo
	v_add_nc_u32_e32 v22, v22, v5
	v_cmp_eq_u32_e32 vcc_lo, 1, v10
	v_add_nc_u32_e32 v77, v53, v44
	v_and_b32_e32 v23, 1, v40
	v_lshlrev_b32_e32 v12, 2, v12
	ds_write_b32 v11, v20
	ds_write_b32 v19, v17
	;; [unrolled: 1-line block ×3, first 2 shown]
	v_cndmask_b32_e32 v10, v21, v30, vcc_lo
	v_add_nc_u32_e32 v21, v24, v22
	v_sub_nc_u32_e32 v12, v53, v8
	v_lshrrev_b32_e32 v9, 8, v40
	v_add_nc_u32_e32 v49, v51, v49
	v_cmp_eq_u32_e32 vcc_lo, 1, v23
	v_sub_nc_u32_e32 v11, v34, v21
	v_and_b32_sdwa v17, v71, v38 dst_sel:DWORD dst_unused:UNUSED_PAD src0_sel:DWORD src1_sel:WORD_1
	v_sub_nc_u32_e32 v18, v51, v7
	v_sub_nc_u32_e32 v19, v77, v8
	v_add_nc_u32_e32 v12, v12, v5
	v_cndmask_b32_e32 v10, v10, v36, vcc_lo
	v_and_b32_e32 v9, 1, v9
	v_add_nc_u32_e32 v11, 9, v11
	v_cmp_eq_u32_e32 vcc_lo, 1, v17
	v_sub_nc_u32_e32 v17, v49, v7
	v_add_nc_u32_e32 v19, v19, v5
	v_add_nc_u32_e32 v20, v18, v12
	;; [unrolled: 1-line block ×3, first 2 shown]
	v_cndmask_b32_e32 v11, v11, v22, vcc_lo
	v_cmp_eq_u32_e32 vcc_lo, 1, v9
	v_add_nc_u32_e32 v21, v17, v19
	v_sub_nc_u32_e32 v20, v34, v20
	v_and_b32_e32 v23, 1, v44
	v_add_nc_u32_e32 v50, v49, v43
	v_cndmask_b32_e32 v9, v11, v24, vcc_lo
	v_sub_nc_u32_e32 v11, v28, v8
	v_sub_nc_u32_e32 v21, v34, v21
	v_add_nc_u32_e32 v20, 10, v20
	v_and_b32_e32 v24, 1, v39
	v_cmp_eq_u32_e32 vcc_lo, 1, v23
	v_and_b32_sdwa v22, v71, v40 dst_sel:DWORD dst_unused:UNUSED_PAD src0_sel:DWORD src1_sel:WORD_1
	v_sub_nc_u32_e32 v7, v50, v7
	v_add_nc_u32_e32 v11, v11, v5
	v_add_nc_u32_e32 v21, 11, v21
	v_cndmask_b32_e32 v12, v20, v12, vcc_lo
	v_cmp_eq_u32_e32 vcc_lo, 1, v24
	v_and_b32_e32 v20, 1, v43
	v_add_nc_u32_e32 v27, v7, v11
	v_lshlrev_b32_e32 v10, 2, v10
	v_lshlrev_b32_e32 v9, 2, v9
	v_cndmask_b32_e32 v19, v21, v19, vcc_lo
	v_cmp_eq_u32_e32 vcc_lo, 1, v22
	v_sub_nc_u32_e32 v23, v34, v27
	v_cndmask_b32_e32 v12, v12, v18, vcc_lo
	v_and_b32_e32 v18, 1, v42
	v_cmp_eq_u32_e32 vcc_lo, 1, v20
	v_add_nc_u32_e32 v21, 12, v23
	v_lshlrev_b32_e32 v12, 2, v12
	v_cndmask_b32_e32 v17, v19, v17, vcc_lo
	v_and_b32_e32 v19, 1, v41
	v_cmp_eq_u32_e32 vcc_lo, 1, v18
	v_lshlrev_b32_e32 v17, 2, v17
	ds_write_b32 v10, v15
	ds_write_b32 v9, v16
	;; [unrolled: 1-line block ×4, first 2 shown]
	v_cndmask_b32_e32 v11, v21, v11, vcc_lo
	v_cmp_eq_u32_e32 vcc_lo, 1, v19
	v_add_co_u32 v9, s1, v6, v69
	v_add_co_ci_u32_e64 v10, null, 0, 0, s1
	v_cndmask_b32_e32 v7, v11, v7, vcc_lo
	v_add_co_u32 v11, s1, s34, v31
	v_add_co_ci_u32_e64 v12, null, s35, 0, s1
	v_lshlrev_b32_e32 v7, 2, v7
	v_add_nc_u32_e32 v14, v5, v6
	ds_write_b32 v7, v33
	v_add_co_u32 v7, vcc_lo, v9, v25
	v_add_co_ci_u32_e64 v9, null, v10, v26, vcc_lo
	s_waitcnt lgkmcnt(0)
	v_add_co_u32 v7, vcc_lo, v7, v1
	v_add_co_ci_u32_e64 v13, null, v9, v2, vcc_lo
	v_lshlrev_b64 v[9:10], 2, v[25:26]
	v_sub_co_u32 v7, vcc_lo, v11, v7
	v_sub_co_ci_u32_e64 v13, null, v12, v13, vcc_lo
	v_lshlrev_b64 v[11:12], 2, v[1:2]
	v_add_co_u32 v9, vcc_lo, s30, v9
	v_add_co_ci_u32_e64 v10, null, s31, v10, vcc_lo
	v_cmp_ne_u32_e32 vcc_lo, 1, v32
	v_add_co_u32 v11, s1, s28, v11
	v_add_co_ci_u32_e64 v12, null, s29, v12, s1
	s_mov_b32 s1, -1
	s_barrier
	buffer_gl0_inv
	s_cbranch_vccz .LBB46_155
; %bb.152:
	s_and_b32 vcc_lo, exec_lo, s1
	s_cbranch_vccnz .LBB46_260
.LBB46_153:
	s_and_b32 s0, s0, s26
	s_and_saveexec_b32 s1, s0
	s_cbranch_execnz .LBB46_378
.LBB46_154:
	s_endpgm
.LBB46_155:
	s_mov_b32 s1, exec_lo
	v_cmpx_ge_u32_e64 v0, v5
	s_xor_b32 s1, exec_lo, s1
	s_cbranch_execz .LBB46_161
; %bb.156:
	s_mov_b32 s2, exec_lo
	v_cmpx_ge_u32_e64 v0, v14
	s_xor_b32 s2, exec_lo, s2
	s_cbranch_execz .LBB46_158
; %bb.157:
	v_lshlrev_b32_e32 v15, 2, v0
	ds_read_b32 v17, v15
	v_add_co_u32 v15, vcc_lo, v7, v0
	v_add_co_ci_u32_e64 v16, null, 0, v13, vcc_lo
	v_lshlrev_b64 v[15:16], 2, v[15:16]
	v_sub_co_u32 v15, vcc_lo, s14, v15
	v_sub_co_ci_u32_e64 v16, null, s15, v16, vcc_lo
	s_waitcnt lgkmcnt(0)
	global_store_dword v[15:16], v17, off offset:-4
.LBB46_158:
	s_andn2_saveexec_b32 s2, s2
	s_cbranch_execz .LBB46_160
; %bb.159:
	v_lshlrev_b32_e32 v15, 2, v0
	v_readfirstlane_b32 s6, v9
	v_readfirstlane_b32 s7, v10
	ds_read_b32 v16, v15
	s_waitcnt lgkmcnt(0)
	global_store_dword v15, v16, s[6:7]
.LBB46_160:
	s_or_b32 exec_lo, exec_lo, s2
.LBB46_161:
	s_andn2_saveexec_b32 s1, s1
	s_cbranch_execz .LBB46_163
; %bb.162:
	v_lshlrev_b32_e32 v15, 2, v0
	v_readfirstlane_b32 s2, v11
	v_readfirstlane_b32 s3, v12
	ds_read_b32 v16, v15
	s_waitcnt lgkmcnt(0)
	global_store_dword v15, v16, s[2:3]
.LBB46_163:
	s_or_b32 exec_lo, exec_lo, s1
	v_or_b32_e32 v15, 0x100, v0
	s_mov_b32 s1, exec_lo
	v_cmpx_ge_u32_e64 v15, v5
	s_xor_b32 s1, exec_lo, s1
	s_cbranch_execz .LBB46_169
; %bb.164:
	s_mov_b32 s2, exec_lo
	v_cmpx_ge_u32_e64 v15, v14
	s_xor_b32 s2, exec_lo, s2
	s_cbranch_execz .LBB46_166
; %bb.165:
	v_lshlrev_b32_e32 v15, 2, v0
	ds_read_b32 v17, v15 offset:1024
	v_add_co_u32 v15, vcc_lo, v7, v0
	v_add_co_ci_u32_e64 v16, null, 0, v13, vcc_lo
	v_lshlrev_b64 v[15:16], 2, v[15:16]
	v_sub_co_u32 v15, vcc_lo, s14, v15
	v_sub_co_ci_u32_e64 v16, null, s15, v16, vcc_lo
	s_waitcnt lgkmcnt(0)
	global_store_dword v[15:16], v17, off offset:-1028
.LBB46_166:
	s_andn2_saveexec_b32 s2, s2
	s_cbranch_execz .LBB46_168
; %bb.167:
	v_lshlrev_b32_e32 v15, 2, v0
	v_readfirstlane_b32 s6, v9
	v_readfirstlane_b32 s7, v10
	ds_read_b32 v16, v15 offset:1024
	s_waitcnt lgkmcnt(0)
	global_store_dword v15, v16, s[6:7] offset:1024
.LBB46_168:
	s_or_b32 exec_lo, exec_lo, s2
.LBB46_169:
	s_andn2_saveexec_b32 s1, s1
	s_cbranch_execz .LBB46_171
; %bb.170:
	v_lshlrev_b32_e32 v15, 2, v0
	v_readfirstlane_b32 s2, v11
	v_readfirstlane_b32 s3, v12
	ds_read_b32 v16, v15 offset:1024
	s_waitcnt lgkmcnt(0)
	global_store_dword v15, v16, s[2:3] offset:1024
.LBB46_171:
	s_or_b32 exec_lo, exec_lo, s1
	v_or_b32_e32 v15, 0x200, v0
	s_mov_b32 s1, exec_lo
	v_cmpx_ge_u32_e64 v15, v5
	s_xor_b32 s1, exec_lo, s1
	s_cbranch_execz .LBB46_177
; %bb.172:
	s_mov_b32 s2, exec_lo
	v_cmpx_ge_u32_e64 v15, v14
	s_xor_b32 s2, exec_lo, s2
	s_cbranch_execz .LBB46_174
; %bb.173:
	v_lshlrev_b32_e32 v17, 2, v0
	v_add_co_u32 v15, vcc_lo, v7, v0
	v_add_co_ci_u32_e64 v16, null, 0, v13, vcc_lo
	ds_read_b32 v17, v17 offset:2048
	v_lshlrev_b64 v[15:16], 2, v[15:16]
	v_sub_co_u32 v15, vcc_lo, s14, v15
	v_sub_co_ci_u32_e64 v16, null, s15, v16, vcc_lo
	v_add_co_u32 v15, vcc_lo, 0xfffff800, v15
	v_add_co_ci_u32_e64 v16, null, -1, v16, vcc_lo
	s_waitcnt lgkmcnt(0)
	global_store_dword v[15:16], v17, off offset:-4
                                        ; implicit-def: $vgpr15
.LBB46_174:
	s_andn2_saveexec_b32 s2, s2
	s_cbranch_execz .LBB46_176
; %bb.175:
	v_lshlrev_b32_e32 v16, 2, v0
	v_lshlrev_b32_e32 v15, 2, v15
	v_readfirstlane_b32 s6, v9
	v_readfirstlane_b32 s7, v10
	ds_read_b32 v16, v16 offset:2048
	s_waitcnt lgkmcnt(0)
	global_store_dword v15, v16, s[6:7]
.LBB46_176:
	s_or_b32 exec_lo, exec_lo, s2
                                        ; implicit-def: $vgpr15
.LBB46_177:
	s_andn2_saveexec_b32 s1, s1
	s_cbranch_execz .LBB46_179
; %bb.178:
	v_lshlrev_b32_e32 v16, 2, v0
	v_lshlrev_b32_e32 v15, 2, v15
	v_readfirstlane_b32 s2, v11
	v_readfirstlane_b32 s3, v12
	ds_read_b32 v16, v16 offset:2048
	s_waitcnt lgkmcnt(0)
	global_store_dword v15, v16, s[2:3]
.LBB46_179:
	s_or_b32 exec_lo, exec_lo, s1
	v_or_b32_e32 v15, 0x300, v0
	s_mov_b32 s1, exec_lo
	v_cmpx_ge_u32_e64 v15, v5
	s_xor_b32 s1, exec_lo, s1
	s_cbranch_execz .LBB46_185
; %bb.180:
	s_mov_b32 s2, exec_lo
	v_cmpx_ge_u32_e64 v15, v14
	s_xor_b32 s2, exec_lo, s2
	s_cbranch_execz .LBB46_182
; %bb.181:
	v_lshlrev_b32_e32 v16, 2, v0
	v_add_co_u32 v15, vcc_lo, v7, v15
	ds_read_b32 v17, v16 offset:3072
	v_add_co_ci_u32_e64 v16, null, 0, v13, vcc_lo
	v_lshlrev_b64 v[15:16], 2, v[15:16]
	v_sub_co_u32 v15, vcc_lo, s14, v15
	v_sub_co_ci_u32_e64 v16, null, s15, v16, vcc_lo
	s_waitcnt lgkmcnt(0)
	global_store_dword v[15:16], v17, off offset:-4
                                        ; implicit-def: $vgpr15
.LBB46_182:
	s_andn2_saveexec_b32 s2, s2
	s_cbranch_execz .LBB46_184
; %bb.183:
	v_lshlrev_b32_e32 v16, 2, v0
	v_lshlrev_b32_e32 v15, 2, v15
	v_readfirstlane_b32 s6, v9
	v_readfirstlane_b32 s7, v10
	ds_read_b32 v16, v16 offset:3072
	s_waitcnt lgkmcnt(0)
	global_store_dword v15, v16, s[6:7]
.LBB46_184:
	s_or_b32 exec_lo, exec_lo, s2
                                        ; implicit-def: $vgpr15
.LBB46_185:
	s_andn2_saveexec_b32 s1, s1
	s_cbranch_execz .LBB46_187
; %bb.186:
	v_lshlrev_b32_e32 v16, 2, v0
	v_lshlrev_b32_e32 v15, 2, v15
	v_readfirstlane_b32 s2, v11
	v_readfirstlane_b32 s3, v12
	ds_read_b32 v16, v16 offset:3072
	s_waitcnt lgkmcnt(0)
	global_store_dword v15, v16, s[2:3]
.LBB46_187:
	s_or_b32 exec_lo, exec_lo, s1
	v_or_b32_e32 v15, 0x400, v0
	s_mov_b32 s1, exec_lo
	v_cmpx_ge_u32_e64 v15, v5
	s_xor_b32 s1, exec_lo, s1
	s_cbranch_execz .LBB46_193
; %bb.188:
	s_mov_b32 s2, exec_lo
	v_cmpx_ge_u32_e64 v15, v14
	s_xor_b32 s2, exec_lo, s2
	s_cbranch_execz .LBB46_190
; %bb.189:
	v_lshlrev_b32_e32 v16, 2, v0
	v_add_co_u32 v15, vcc_lo, v7, v15
	ds_read_b32 v17, v16 offset:4096
	v_add_co_ci_u32_e64 v16, null, 0, v13, vcc_lo
	v_lshlrev_b64 v[15:16], 2, v[15:16]
	v_sub_co_u32 v15, vcc_lo, s14, v15
	v_sub_co_ci_u32_e64 v16, null, s15, v16, vcc_lo
	s_waitcnt lgkmcnt(0)
	global_store_dword v[15:16], v17, off offset:-4
                                        ; implicit-def: $vgpr15
.LBB46_190:
	s_andn2_saveexec_b32 s2, s2
	s_cbranch_execz .LBB46_192
; %bb.191:
	v_lshlrev_b32_e32 v16, 2, v0
	v_lshlrev_b32_e32 v15, 2, v15
	v_readfirstlane_b32 s6, v9
	v_readfirstlane_b32 s7, v10
	ds_read_b32 v16, v16 offset:4096
	s_waitcnt lgkmcnt(0)
	global_store_dword v15, v16, s[6:7]
.LBB46_192:
	s_or_b32 exec_lo, exec_lo, s2
                                        ; implicit-def: $vgpr15
.LBB46_193:
	;; [unrolled: 48-line block ×10, first 2 shown]
	s_andn2_saveexec_b32 s1, s1
	s_cbranch_execz .LBB46_259
; %bb.258:
	v_lshlrev_b32_e32 v16, 2, v0
	v_lshlrev_b32_e32 v15, 2, v15
	v_readfirstlane_b32 s2, v11
	v_readfirstlane_b32 s3, v12
	ds_read_b32 v16, v16 offset:12288
	s_waitcnt lgkmcnt(0)
	global_store_dword v15, v16, s[2:3]
.LBB46_259:
	s_or_b32 exec_lo, exec_lo, s1
	s_branch .LBB46_153
.LBB46_260:
	s_mov_b32 s1, exec_lo
	v_cmpx_gt_u32_e64 s5, v0
	s_cbranch_execz .LBB46_269
; %bb.261:
	s_mov_b32 s2, exec_lo
	v_cmpx_ge_u32_e64 v0, v5
	s_xor_b32 s2, exec_lo, s2
	s_cbranch_execz .LBB46_267
; %bb.262:
	s_mov_b32 s3, exec_lo
	v_cmpx_ge_u32_e64 v0, v14
	s_xor_b32 s3, exec_lo, s3
	s_cbranch_execz .LBB46_264
; %bb.263:
	v_lshlrev_b32_e32 v15, 2, v0
	ds_read_b32 v17, v15
	v_add_co_u32 v15, vcc_lo, v7, v0
	v_add_co_ci_u32_e64 v16, null, 0, v13, vcc_lo
	v_lshlrev_b64 v[15:16], 2, v[15:16]
	v_sub_co_u32 v15, vcc_lo, s14, v15
	v_sub_co_ci_u32_e64 v16, null, s15, v16, vcc_lo
	s_waitcnt lgkmcnt(0)
	global_store_dword v[15:16], v17, off offset:-4
.LBB46_264:
	s_andn2_saveexec_b32 s3, s3
	s_cbranch_execz .LBB46_266
; %bb.265:
	v_lshlrev_b32_e32 v15, 2, v0
	v_readfirstlane_b32 s6, v9
	v_readfirstlane_b32 s7, v10
	ds_read_b32 v16, v15
	s_waitcnt lgkmcnt(0)
	global_store_dword v15, v16, s[6:7]
.LBB46_266:
	s_or_b32 exec_lo, exec_lo, s3
.LBB46_267:
	s_andn2_saveexec_b32 s2, s2
	s_cbranch_execz .LBB46_269
; %bb.268:
	v_lshlrev_b32_e32 v15, 2, v0
	v_readfirstlane_b32 s2, v11
	v_readfirstlane_b32 s3, v12
	ds_read_b32 v16, v15
	s_waitcnt lgkmcnt(0)
	global_store_dword v15, v16, s[2:3]
.LBB46_269:
	s_or_b32 exec_lo, exec_lo, s1
	v_or_b32_e32 v15, 0x100, v0
	s_mov_b32 s1, exec_lo
	v_cmpx_gt_u32_e64 s5, v15
	s_cbranch_execz .LBB46_278
; %bb.270:
	s_mov_b32 s2, exec_lo
	v_cmpx_ge_u32_e64 v15, v5
	s_xor_b32 s2, exec_lo, s2
	s_cbranch_execz .LBB46_276
; %bb.271:
	s_mov_b32 s3, exec_lo
	v_cmpx_ge_u32_e64 v15, v14
	s_xor_b32 s3, exec_lo, s3
	s_cbranch_execz .LBB46_273
; %bb.272:
	v_lshlrev_b32_e32 v15, 2, v0
	ds_read_b32 v17, v15 offset:1024
	v_add_co_u32 v15, vcc_lo, v7, v0
	v_add_co_ci_u32_e64 v16, null, 0, v13, vcc_lo
	v_lshlrev_b64 v[15:16], 2, v[15:16]
	v_sub_co_u32 v15, vcc_lo, s14, v15
	v_sub_co_ci_u32_e64 v16, null, s15, v16, vcc_lo
	s_waitcnt lgkmcnt(0)
	global_store_dword v[15:16], v17, off offset:-1028
.LBB46_273:
	s_andn2_saveexec_b32 s3, s3
	s_cbranch_execz .LBB46_275
; %bb.274:
	v_lshlrev_b32_e32 v15, 2, v0
	v_readfirstlane_b32 s6, v9
	v_readfirstlane_b32 s7, v10
	ds_read_b32 v16, v15 offset:1024
	s_waitcnt lgkmcnt(0)
	global_store_dword v15, v16, s[6:7] offset:1024
.LBB46_275:
	s_or_b32 exec_lo, exec_lo, s3
.LBB46_276:
	s_andn2_saveexec_b32 s2, s2
	s_cbranch_execz .LBB46_278
; %bb.277:
	v_lshlrev_b32_e32 v15, 2, v0
	v_readfirstlane_b32 s2, v11
	v_readfirstlane_b32 s3, v12
	ds_read_b32 v16, v15 offset:1024
	s_waitcnt lgkmcnt(0)
	global_store_dword v15, v16, s[2:3] offset:1024
.LBB46_278:
	s_or_b32 exec_lo, exec_lo, s1
	v_or_b32_e32 v15, 0x200, v0
	s_mov_b32 s1, exec_lo
	v_cmpx_gt_u32_e64 s5, v15
	s_cbranch_execz .LBB46_287
; %bb.279:
	s_mov_b32 s2, exec_lo
	v_cmpx_ge_u32_e64 v15, v5
	s_xor_b32 s2, exec_lo, s2
	s_cbranch_execz .LBB46_285
; %bb.280:
	s_mov_b32 s3, exec_lo
	v_cmpx_ge_u32_e64 v15, v14
	s_xor_b32 s3, exec_lo, s3
	s_cbranch_execz .LBB46_282
; %bb.281:
	v_lshlrev_b32_e32 v17, 2, v0
	v_add_co_u32 v15, vcc_lo, v7, v0
	v_add_co_ci_u32_e64 v16, null, 0, v13, vcc_lo
	ds_read_b32 v17, v17 offset:2048
	v_lshlrev_b64 v[15:16], 2, v[15:16]
	v_sub_co_u32 v15, vcc_lo, s14, v15
	v_sub_co_ci_u32_e64 v16, null, s15, v16, vcc_lo
	v_add_co_u32 v15, vcc_lo, 0xfffff800, v15
	v_add_co_ci_u32_e64 v16, null, -1, v16, vcc_lo
	s_waitcnt lgkmcnt(0)
	global_store_dword v[15:16], v17, off offset:-4
                                        ; implicit-def: $vgpr15
.LBB46_282:
	s_andn2_saveexec_b32 s3, s3
	s_cbranch_execz .LBB46_284
; %bb.283:
	v_lshlrev_b32_e32 v16, 2, v0
	v_lshlrev_b32_e32 v15, 2, v15
	v_readfirstlane_b32 s6, v9
	v_readfirstlane_b32 s7, v10
	ds_read_b32 v16, v16 offset:2048
	s_waitcnt lgkmcnt(0)
	global_store_dword v15, v16, s[6:7]
.LBB46_284:
	s_or_b32 exec_lo, exec_lo, s3
                                        ; implicit-def: $vgpr15
.LBB46_285:
	s_andn2_saveexec_b32 s2, s2
	s_cbranch_execz .LBB46_287
; %bb.286:
	v_lshlrev_b32_e32 v16, 2, v0
	v_lshlrev_b32_e32 v15, 2, v15
	v_readfirstlane_b32 s2, v11
	v_readfirstlane_b32 s3, v12
	ds_read_b32 v16, v16 offset:2048
	s_waitcnt lgkmcnt(0)
	global_store_dword v15, v16, s[2:3]
.LBB46_287:
	s_or_b32 exec_lo, exec_lo, s1
	v_or_b32_e32 v15, 0x300, v0
	s_mov_b32 s1, exec_lo
	v_cmpx_gt_u32_e64 s5, v15
	s_cbranch_execz .LBB46_296
; %bb.288:
	s_mov_b32 s2, exec_lo
	v_cmpx_ge_u32_e64 v15, v5
	s_xor_b32 s2, exec_lo, s2
	s_cbranch_execz .LBB46_294
; %bb.289:
	s_mov_b32 s3, exec_lo
	v_cmpx_ge_u32_e64 v15, v14
	s_xor_b32 s3, exec_lo, s3
	s_cbranch_execz .LBB46_291
; %bb.290:
	v_lshlrev_b32_e32 v16, 2, v0
	v_add_co_u32 v15, vcc_lo, v7, v15
	ds_read_b32 v17, v16 offset:3072
	v_add_co_ci_u32_e64 v16, null, 0, v13, vcc_lo
	v_lshlrev_b64 v[15:16], 2, v[15:16]
	v_sub_co_u32 v15, vcc_lo, s14, v15
	v_sub_co_ci_u32_e64 v16, null, s15, v16, vcc_lo
	s_waitcnt lgkmcnt(0)
	global_store_dword v[15:16], v17, off offset:-4
                                        ; implicit-def: $vgpr15
.LBB46_291:
	s_andn2_saveexec_b32 s3, s3
	s_cbranch_execz .LBB46_293
; %bb.292:
	v_lshlrev_b32_e32 v16, 2, v0
	v_lshlrev_b32_e32 v15, 2, v15
	v_readfirstlane_b32 s6, v9
	v_readfirstlane_b32 s7, v10
	ds_read_b32 v16, v16 offset:3072
	s_waitcnt lgkmcnt(0)
	global_store_dword v15, v16, s[6:7]
.LBB46_293:
	s_or_b32 exec_lo, exec_lo, s3
                                        ; implicit-def: $vgpr15
.LBB46_294:
	s_andn2_saveexec_b32 s2, s2
	s_cbranch_execz .LBB46_296
; %bb.295:
	v_lshlrev_b32_e32 v16, 2, v0
	v_lshlrev_b32_e32 v15, 2, v15
	v_readfirstlane_b32 s2, v11
	v_readfirstlane_b32 s3, v12
	ds_read_b32 v16, v16 offset:3072
	s_waitcnt lgkmcnt(0)
	global_store_dword v15, v16, s[2:3]
.LBB46_296:
	s_or_b32 exec_lo, exec_lo, s1
	v_or_b32_e32 v15, 0x400, v0
	s_mov_b32 s1, exec_lo
	v_cmpx_gt_u32_e64 s5, v15
	s_cbranch_execz .LBB46_305
; %bb.297:
	s_mov_b32 s2, exec_lo
	v_cmpx_ge_u32_e64 v15, v5
	s_xor_b32 s2, exec_lo, s2
	s_cbranch_execz .LBB46_303
; %bb.298:
	s_mov_b32 s3, exec_lo
	v_cmpx_ge_u32_e64 v15, v14
	s_xor_b32 s3, exec_lo, s3
	s_cbranch_execz .LBB46_300
; %bb.299:
	v_lshlrev_b32_e32 v16, 2, v0
	v_add_co_u32 v15, vcc_lo, v7, v15
	ds_read_b32 v17, v16 offset:4096
	v_add_co_ci_u32_e64 v16, null, 0, v13, vcc_lo
	v_lshlrev_b64 v[15:16], 2, v[15:16]
	v_sub_co_u32 v15, vcc_lo, s14, v15
	v_sub_co_ci_u32_e64 v16, null, s15, v16, vcc_lo
	s_waitcnt lgkmcnt(0)
	global_store_dword v[15:16], v17, off offset:-4
                                        ; implicit-def: $vgpr15
.LBB46_300:
	s_andn2_saveexec_b32 s3, s3
	s_cbranch_execz .LBB46_302
; %bb.301:
	v_lshlrev_b32_e32 v16, 2, v0
	v_lshlrev_b32_e32 v15, 2, v15
	v_readfirstlane_b32 s6, v9
	v_readfirstlane_b32 s7, v10
	ds_read_b32 v16, v16 offset:4096
	s_waitcnt lgkmcnt(0)
	global_store_dword v15, v16, s[6:7]
.LBB46_302:
	s_or_b32 exec_lo, exec_lo, s3
                                        ; implicit-def: $vgpr15
.LBB46_303:
	s_andn2_saveexec_b32 s2, s2
	s_cbranch_execz .LBB46_305
; %bb.304:
	v_lshlrev_b32_e32 v16, 2, v0
	v_lshlrev_b32_e32 v15, 2, v15
	v_readfirstlane_b32 s2, v11
	v_readfirstlane_b32 s3, v12
	ds_read_b32 v16, v16 offset:4096
	s_waitcnt lgkmcnt(0)
	global_store_dword v15, v16, s[2:3]
.LBB46_305:
	;; [unrolled: 52-line block ×9, first 2 shown]
	s_or_b32 exec_lo, exec_lo, s1
	v_or_b32_e32 v15, 0xc00, v0
	s_mov_b32 s1, exec_lo
	v_cmpx_gt_u32_e64 s5, v15
	s_cbranch_execz .LBB46_377
; %bb.369:
	s_mov_b32 s2, exec_lo
	v_cmpx_ge_u32_e64 v15, v5
	s_xor_b32 s2, exec_lo, s2
	s_cbranch_execz .LBB46_375
; %bb.370:
	s_mov_b32 s3, exec_lo
	v_cmpx_ge_u32_e64 v15, v14
	s_xor_b32 s3, exec_lo, s3
	s_cbranch_execz .LBB46_372
; %bb.371:
	v_lshlrev_b32_e32 v0, 2, v0
	v_add_co_u32 v9, vcc_lo, v7, v15
	v_add_co_ci_u32_e64 v10, null, 0, v13, vcc_lo
	ds_read_b32 v0, v0 offset:12288
                                        ; implicit-def: $vgpr15
	v_lshlrev_b64 v[9:10], 2, v[9:10]
	v_sub_co_u32 v9, vcc_lo, s14, v9
	v_sub_co_ci_u32_e64 v10, null, s15, v10, vcc_lo
	s_waitcnt lgkmcnt(0)
	global_store_dword v[9:10], v0, off offset:-4
                                        ; implicit-def: $vgpr0
                                        ; implicit-def: $vgpr9_vgpr10
.LBB46_372:
	s_andn2_saveexec_b32 s3, s3
	s_cbranch_execz .LBB46_374
; %bb.373:
	v_lshlrev_b32_e32 v0, 2, v0
	v_lshlrev_b32_e32 v7, 2, v15
	v_readfirstlane_b32 s4, v9
	v_readfirstlane_b32 s5, v10
	ds_read_b32 v0, v0 offset:12288
	s_waitcnt lgkmcnt(0)
	global_store_dword v7, v0, s[4:5]
.LBB46_374:
	s_or_b32 exec_lo, exec_lo, s3
                                        ; implicit-def: $vgpr0
                                        ; implicit-def: $vgpr15
                                        ; implicit-def: $vgpr11_vgpr12
.LBB46_375:
	s_andn2_saveexec_b32 s2, s2
	s_cbranch_execz .LBB46_377
; %bb.376:
	v_lshlrev_b32_e32 v0, 2, v0
	v_lshlrev_b32_e32 v7, 2, v15
	v_readfirstlane_b32 s2, v11
	v_readfirstlane_b32 s3, v12
	ds_read_b32 v0, v0 offset:12288
	s_waitcnt lgkmcnt(0)
	global_store_dword v7, v0, s[2:3]
.LBB46_377:
	s_or_b32 exec_lo, exec_lo, s1
	s_and_b32 s0, s0, s26
	s_and_saveexec_b32 s1, s0
	s_cbranch_execz .LBB46_154
.LBB46_378:
	v_add_co_u32 v0, vcc_lo, v3, v6
	v_add_co_ci_u32_e64 v4, null, 0, v4, vcc_lo
	v_mov_b32_e32 v6, 0
	v_add_co_u32 v3, vcc_lo, v0, v8
	v_add_co_ci_u32_e64 v4, null, 0, v4, vcc_lo
	v_add_co_u32 v1, vcc_lo, v1, v5
	v_add_co_ci_u32_e64 v2, null, 0, v2, vcc_lo
	global_store_dwordx4 v6, v[1:4], s[24:25]
	s_endpgm
.LBB46_379:
	s_add_i32 s8, s27, 32
	s_mov_b32 s9, 0
	v_add_nc_u32_e32 v10, v8, v6
	s_lshl_b64 s[8:9], s[8:9], 4
	v_add_nc_u32_e32 v9, v7, v5
	s_add_u32 s8, s36, s8
	s_addc_u32 s9, s37, s9
	v_mov_b32_e32 v11, 2
	v_mov_b32_e32 v28, s9
	v_mov_b32_e32 v12, 0
	v_mov_b32_e32 v27, s8
	;;#ASMSTART
	global_store_dwordx4 v[27:28], v[9:12] off	
s_waitcnt vmcnt(0)
	;;#ASMEND
	s_or_b32 exec_lo, exec_lo, s6
	s_and_saveexec_b32 s6, s3
	s_cbranch_execz .LBB46_139
.LBB46_380:
	v_mov_b32_e32 v9, 0
	ds_write_b128 v9, v[5:8] offset:13312
	s_or_b32 exec_lo, exec_lo, s6
	s_and_b32 exec_lo, exec_lo, s0
	s_cbranch_execnz .LBB46_140
	s_branch .LBB46_141
	.section	.rodata,"a",@progbits
	.p2align	6, 0x0
	.amdhsa_kernel _ZN7rocprim17ROCPRIM_400000_NS6detail17trampoline_kernelINS0_13select_configILj256ELj13ELNS0_17block_load_methodE3ELS4_3ELS4_3ELNS0_20block_scan_algorithmE0ELj4294967295EEENS1_25partition_config_selectorILNS1_17partition_subalgoE4EjNS0_10empty_typeEbEEZZNS1_14partition_implILS8_4ELb0ES6_15HIP_vector_typeIjLj2EENS0_17counting_iteratorIjlEEPS9_SG_NS0_5tupleIJPjSI_NS0_16reverse_iteratorISI_EEEEENSH_IJSG_SG_SG_EEES9_SI_JZNS1_25segmented_radix_sort_implINS0_14default_configELb1EPKhPhPKlPlN2at6native12_GLOBAL__N_18offset_tEEE10hipError_tPvRmT1_PNSt15iterator_traitsIS12_E10value_typeET2_T3_PNS13_IS18_E10value_typeET4_jRbjT5_S1E_jjP12ihipStream_tbEUljE_ZNSN_ISO_Lb1ESQ_SR_ST_SU_SY_EESZ_S10_S11_S12_S16_S17_S18_S1B_S1C_jS1D_jS1E_S1E_jjS1G_bEUljE0_EEESZ_S10_S11_S18_S1C_S1E_T6_T7_T9_mT8_S1G_bDpT10_ENKUlT_T0_E_clISt17integral_constantIbLb0EES1T_IbLb1EEEEDaS1P_S1Q_EUlS1P_E_NS1_11comp_targetILNS1_3genE8ELNS1_11target_archE1030ELNS1_3gpuE2ELNS1_3repE0EEENS1_30default_config_static_selectorELNS0_4arch9wavefront6targetE0EEEvS12_
		.amdhsa_group_segment_fixed_size 13328
		.amdhsa_private_segment_fixed_size 0
		.amdhsa_kernarg_size 184
		.amdhsa_user_sgpr_count 6
		.amdhsa_user_sgpr_private_segment_buffer 1
		.amdhsa_user_sgpr_dispatch_ptr 0
		.amdhsa_user_sgpr_queue_ptr 0
		.amdhsa_user_sgpr_kernarg_segment_ptr 1
		.amdhsa_user_sgpr_dispatch_id 0
		.amdhsa_user_sgpr_flat_scratch_init 0
		.amdhsa_user_sgpr_private_segment_size 0
		.amdhsa_wavefront_size32 1
		.amdhsa_uses_dynamic_stack 0
		.amdhsa_system_sgpr_private_segment_wavefront_offset 0
		.amdhsa_system_sgpr_workgroup_id_x 1
		.amdhsa_system_sgpr_workgroup_id_y 0
		.amdhsa_system_sgpr_workgroup_id_z 0
		.amdhsa_system_sgpr_workgroup_info 0
		.amdhsa_system_vgpr_workitem_id 0
		.amdhsa_next_free_vgpr 87
		.amdhsa_next_free_sgpr 55
		.amdhsa_reserve_vcc 1
		.amdhsa_reserve_flat_scratch 0
		.amdhsa_float_round_mode_32 0
		.amdhsa_float_round_mode_16_64 0
		.amdhsa_float_denorm_mode_32 3
		.amdhsa_float_denorm_mode_16_64 3
		.amdhsa_dx10_clamp 1
		.amdhsa_ieee_mode 1
		.amdhsa_fp16_overflow 0
		.amdhsa_workgroup_processor_mode 1
		.amdhsa_memory_ordered 1
		.amdhsa_forward_progress 1
		.amdhsa_shared_vgpr_count 0
		.amdhsa_exception_fp_ieee_invalid_op 0
		.amdhsa_exception_fp_denorm_src 0
		.amdhsa_exception_fp_ieee_div_zero 0
		.amdhsa_exception_fp_ieee_overflow 0
		.amdhsa_exception_fp_ieee_underflow 0
		.amdhsa_exception_fp_ieee_inexact 0
		.amdhsa_exception_int_div_zero 0
	.end_amdhsa_kernel
	.section	.text._ZN7rocprim17ROCPRIM_400000_NS6detail17trampoline_kernelINS0_13select_configILj256ELj13ELNS0_17block_load_methodE3ELS4_3ELS4_3ELNS0_20block_scan_algorithmE0ELj4294967295EEENS1_25partition_config_selectorILNS1_17partition_subalgoE4EjNS0_10empty_typeEbEEZZNS1_14partition_implILS8_4ELb0ES6_15HIP_vector_typeIjLj2EENS0_17counting_iteratorIjlEEPS9_SG_NS0_5tupleIJPjSI_NS0_16reverse_iteratorISI_EEEEENSH_IJSG_SG_SG_EEES9_SI_JZNS1_25segmented_radix_sort_implINS0_14default_configELb1EPKhPhPKlPlN2at6native12_GLOBAL__N_18offset_tEEE10hipError_tPvRmT1_PNSt15iterator_traitsIS12_E10value_typeET2_T3_PNS13_IS18_E10value_typeET4_jRbjT5_S1E_jjP12ihipStream_tbEUljE_ZNSN_ISO_Lb1ESQ_SR_ST_SU_SY_EESZ_S10_S11_S12_S16_S17_S18_S1B_S1C_jS1D_jS1E_S1E_jjS1G_bEUljE0_EEESZ_S10_S11_S18_S1C_S1E_T6_T7_T9_mT8_S1G_bDpT10_ENKUlT_T0_E_clISt17integral_constantIbLb0EES1T_IbLb1EEEEDaS1P_S1Q_EUlS1P_E_NS1_11comp_targetILNS1_3genE8ELNS1_11target_archE1030ELNS1_3gpuE2ELNS1_3repE0EEENS1_30default_config_static_selectorELNS0_4arch9wavefront6targetE0EEEvS12_,"axG",@progbits,_ZN7rocprim17ROCPRIM_400000_NS6detail17trampoline_kernelINS0_13select_configILj256ELj13ELNS0_17block_load_methodE3ELS4_3ELS4_3ELNS0_20block_scan_algorithmE0ELj4294967295EEENS1_25partition_config_selectorILNS1_17partition_subalgoE4EjNS0_10empty_typeEbEEZZNS1_14partition_implILS8_4ELb0ES6_15HIP_vector_typeIjLj2EENS0_17counting_iteratorIjlEEPS9_SG_NS0_5tupleIJPjSI_NS0_16reverse_iteratorISI_EEEEENSH_IJSG_SG_SG_EEES9_SI_JZNS1_25segmented_radix_sort_implINS0_14default_configELb1EPKhPhPKlPlN2at6native12_GLOBAL__N_18offset_tEEE10hipError_tPvRmT1_PNSt15iterator_traitsIS12_E10value_typeET2_T3_PNS13_IS18_E10value_typeET4_jRbjT5_S1E_jjP12ihipStream_tbEUljE_ZNSN_ISO_Lb1ESQ_SR_ST_SU_SY_EESZ_S10_S11_S12_S16_S17_S18_S1B_S1C_jS1D_jS1E_S1E_jjS1G_bEUljE0_EEESZ_S10_S11_S18_S1C_S1E_T6_T7_T9_mT8_S1G_bDpT10_ENKUlT_T0_E_clISt17integral_constantIbLb0EES1T_IbLb1EEEEDaS1P_S1Q_EUlS1P_E_NS1_11comp_targetILNS1_3genE8ELNS1_11target_archE1030ELNS1_3gpuE2ELNS1_3repE0EEENS1_30default_config_static_selectorELNS0_4arch9wavefront6targetE0EEEvS12_,comdat
.Lfunc_end46:
	.size	_ZN7rocprim17ROCPRIM_400000_NS6detail17trampoline_kernelINS0_13select_configILj256ELj13ELNS0_17block_load_methodE3ELS4_3ELS4_3ELNS0_20block_scan_algorithmE0ELj4294967295EEENS1_25partition_config_selectorILNS1_17partition_subalgoE4EjNS0_10empty_typeEbEEZZNS1_14partition_implILS8_4ELb0ES6_15HIP_vector_typeIjLj2EENS0_17counting_iteratorIjlEEPS9_SG_NS0_5tupleIJPjSI_NS0_16reverse_iteratorISI_EEEEENSH_IJSG_SG_SG_EEES9_SI_JZNS1_25segmented_radix_sort_implINS0_14default_configELb1EPKhPhPKlPlN2at6native12_GLOBAL__N_18offset_tEEE10hipError_tPvRmT1_PNSt15iterator_traitsIS12_E10value_typeET2_T3_PNS13_IS18_E10value_typeET4_jRbjT5_S1E_jjP12ihipStream_tbEUljE_ZNSN_ISO_Lb1ESQ_SR_ST_SU_SY_EESZ_S10_S11_S12_S16_S17_S18_S1B_S1C_jS1D_jS1E_S1E_jjS1G_bEUljE0_EEESZ_S10_S11_S18_S1C_S1E_T6_T7_T9_mT8_S1G_bDpT10_ENKUlT_T0_E_clISt17integral_constantIbLb0EES1T_IbLb1EEEEDaS1P_S1Q_EUlS1P_E_NS1_11comp_targetILNS1_3genE8ELNS1_11target_archE1030ELNS1_3gpuE2ELNS1_3repE0EEENS1_30default_config_static_selectorELNS0_4arch9wavefront6targetE0EEEvS12_, .Lfunc_end46-_ZN7rocprim17ROCPRIM_400000_NS6detail17trampoline_kernelINS0_13select_configILj256ELj13ELNS0_17block_load_methodE3ELS4_3ELS4_3ELNS0_20block_scan_algorithmE0ELj4294967295EEENS1_25partition_config_selectorILNS1_17partition_subalgoE4EjNS0_10empty_typeEbEEZZNS1_14partition_implILS8_4ELb0ES6_15HIP_vector_typeIjLj2EENS0_17counting_iteratorIjlEEPS9_SG_NS0_5tupleIJPjSI_NS0_16reverse_iteratorISI_EEEEENSH_IJSG_SG_SG_EEES9_SI_JZNS1_25segmented_radix_sort_implINS0_14default_configELb1EPKhPhPKlPlN2at6native12_GLOBAL__N_18offset_tEEE10hipError_tPvRmT1_PNSt15iterator_traitsIS12_E10value_typeET2_T3_PNS13_IS18_E10value_typeET4_jRbjT5_S1E_jjP12ihipStream_tbEUljE_ZNSN_ISO_Lb1ESQ_SR_ST_SU_SY_EESZ_S10_S11_S12_S16_S17_S18_S1B_S1C_jS1D_jS1E_S1E_jjS1G_bEUljE0_EEESZ_S10_S11_S18_S1C_S1E_T6_T7_T9_mT8_S1G_bDpT10_ENKUlT_T0_E_clISt17integral_constantIbLb0EES1T_IbLb1EEEEDaS1P_S1Q_EUlS1P_E_NS1_11comp_targetILNS1_3genE8ELNS1_11target_archE1030ELNS1_3gpuE2ELNS1_3repE0EEENS1_30default_config_static_selectorELNS0_4arch9wavefront6targetE0EEEvS12_
                                        ; -- End function
	.set _ZN7rocprim17ROCPRIM_400000_NS6detail17trampoline_kernelINS0_13select_configILj256ELj13ELNS0_17block_load_methodE3ELS4_3ELS4_3ELNS0_20block_scan_algorithmE0ELj4294967295EEENS1_25partition_config_selectorILNS1_17partition_subalgoE4EjNS0_10empty_typeEbEEZZNS1_14partition_implILS8_4ELb0ES6_15HIP_vector_typeIjLj2EENS0_17counting_iteratorIjlEEPS9_SG_NS0_5tupleIJPjSI_NS0_16reverse_iteratorISI_EEEEENSH_IJSG_SG_SG_EEES9_SI_JZNS1_25segmented_radix_sort_implINS0_14default_configELb1EPKhPhPKlPlN2at6native12_GLOBAL__N_18offset_tEEE10hipError_tPvRmT1_PNSt15iterator_traitsIS12_E10value_typeET2_T3_PNS13_IS18_E10value_typeET4_jRbjT5_S1E_jjP12ihipStream_tbEUljE_ZNSN_ISO_Lb1ESQ_SR_ST_SU_SY_EESZ_S10_S11_S12_S16_S17_S18_S1B_S1C_jS1D_jS1E_S1E_jjS1G_bEUljE0_EEESZ_S10_S11_S18_S1C_S1E_T6_T7_T9_mT8_S1G_bDpT10_ENKUlT_T0_E_clISt17integral_constantIbLb0EES1T_IbLb1EEEEDaS1P_S1Q_EUlS1P_E_NS1_11comp_targetILNS1_3genE8ELNS1_11target_archE1030ELNS1_3gpuE2ELNS1_3repE0EEENS1_30default_config_static_selectorELNS0_4arch9wavefront6targetE0EEEvS12_.num_vgpr, 87
	.set _ZN7rocprim17ROCPRIM_400000_NS6detail17trampoline_kernelINS0_13select_configILj256ELj13ELNS0_17block_load_methodE3ELS4_3ELS4_3ELNS0_20block_scan_algorithmE0ELj4294967295EEENS1_25partition_config_selectorILNS1_17partition_subalgoE4EjNS0_10empty_typeEbEEZZNS1_14partition_implILS8_4ELb0ES6_15HIP_vector_typeIjLj2EENS0_17counting_iteratorIjlEEPS9_SG_NS0_5tupleIJPjSI_NS0_16reverse_iteratorISI_EEEEENSH_IJSG_SG_SG_EEES9_SI_JZNS1_25segmented_radix_sort_implINS0_14default_configELb1EPKhPhPKlPlN2at6native12_GLOBAL__N_18offset_tEEE10hipError_tPvRmT1_PNSt15iterator_traitsIS12_E10value_typeET2_T3_PNS13_IS18_E10value_typeET4_jRbjT5_S1E_jjP12ihipStream_tbEUljE_ZNSN_ISO_Lb1ESQ_SR_ST_SU_SY_EESZ_S10_S11_S12_S16_S17_S18_S1B_S1C_jS1D_jS1E_S1E_jjS1G_bEUljE0_EEESZ_S10_S11_S18_S1C_S1E_T6_T7_T9_mT8_S1G_bDpT10_ENKUlT_T0_E_clISt17integral_constantIbLb0EES1T_IbLb1EEEEDaS1P_S1Q_EUlS1P_E_NS1_11comp_targetILNS1_3genE8ELNS1_11target_archE1030ELNS1_3gpuE2ELNS1_3repE0EEENS1_30default_config_static_selectorELNS0_4arch9wavefront6targetE0EEEvS12_.num_agpr, 0
	.set _ZN7rocprim17ROCPRIM_400000_NS6detail17trampoline_kernelINS0_13select_configILj256ELj13ELNS0_17block_load_methodE3ELS4_3ELS4_3ELNS0_20block_scan_algorithmE0ELj4294967295EEENS1_25partition_config_selectorILNS1_17partition_subalgoE4EjNS0_10empty_typeEbEEZZNS1_14partition_implILS8_4ELb0ES6_15HIP_vector_typeIjLj2EENS0_17counting_iteratorIjlEEPS9_SG_NS0_5tupleIJPjSI_NS0_16reverse_iteratorISI_EEEEENSH_IJSG_SG_SG_EEES9_SI_JZNS1_25segmented_radix_sort_implINS0_14default_configELb1EPKhPhPKlPlN2at6native12_GLOBAL__N_18offset_tEEE10hipError_tPvRmT1_PNSt15iterator_traitsIS12_E10value_typeET2_T3_PNS13_IS18_E10value_typeET4_jRbjT5_S1E_jjP12ihipStream_tbEUljE_ZNSN_ISO_Lb1ESQ_SR_ST_SU_SY_EESZ_S10_S11_S12_S16_S17_S18_S1B_S1C_jS1D_jS1E_S1E_jjS1G_bEUljE0_EEESZ_S10_S11_S18_S1C_S1E_T6_T7_T9_mT8_S1G_bDpT10_ENKUlT_T0_E_clISt17integral_constantIbLb0EES1T_IbLb1EEEEDaS1P_S1Q_EUlS1P_E_NS1_11comp_targetILNS1_3genE8ELNS1_11target_archE1030ELNS1_3gpuE2ELNS1_3repE0EEENS1_30default_config_static_selectorELNS0_4arch9wavefront6targetE0EEEvS12_.numbered_sgpr, 55
	.set _ZN7rocprim17ROCPRIM_400000_NS6detail17trampoline_kernelINS0_13select_configILj256ELj13ELNS0_17block_load_methodE3ELS4_3ELS4_3ELNS0_20block_scan_algorithmE0ELj4294967295EEENS1_25partition_config_selectorILNS1_17partition_subalgoE4EjNS0_10empty_typeEbEEZZNS1_14partition_implILS8_4ELb0ES6_15HIP_vector_typeIjLj2EENS0_17counting_iteratorIjlEEPS9_SG_NS0_5tupleIJPjSI_NS0_16reverse_iteratorISI_EEEEENSH_IJSG_SG_SG_EEES9_SI_JZNS1_25segmented_radix_sort_implINS0_14default_configELb1EPKhPhPKlPlN2at6native12_GLOBAL__N_18offset_tEEE10hipError_tPvRmT1_PNSt15iterator_traitsIS12_E10value_typeET2_T3_PNS13_IS18_E10value_typeET4_jRbjT5_S1E_jjP12ihipStream_tbEUljE_ZNSN_ISO_Lb1ESQ_SR_ST_SU_SY_EESZ_S10_S11_S12_S16_S17_S18_S1B_S1C_jS1D_jS1E_S1E_jjS1G_bEUljE0_EEESZ_S10_S11_S18_S1C_S1E_T6_T7_T9_mT8_S1G_bDpT10_ENKUlT_T0_E_clISt17integral_constantIbLb0EES1T_IbLb1EEEEDaS1P_S1Q_EUlS1P_E_NS1_11comp_targetILNS1_3genE8ELNS1_11target_archE1030ELNS1_3gpuE2ELNS1_3repE0EEENS1_30default_config_static_selectorELNS0_4arch9wavefront6targetE0EEEvS12_.num_named_barrier, 0
	.set _ZN7rocprim17ROCPRIM_400000_NS6detail17trampoline_kernelINS0_13select_configILj256ELj13ELNS0_17block_load_methodE3ELS4_3ELS4_3ELNS0_20block_scan_algorithmE0ELj4294967295EEENS1_25partition_config_selectorILNS1_17partition_subalgoE4EjNS0_10empty_typeEbEEZZNS1_14partition_implILS8_4ELb0ES6_15HIP_vector_typeIjLj2EENS0_17counting_iteratorIjlEEPS9_SG_NS0_5tupleIJPjSI_NS0_16reverse_iteratorISI_EEEEENSH_IJSG_SG_SG_EEES9_SI_JZNS1_25segmented_radix_sort_implINS0_14default_configELb1EPKhPhPKlPlN2at6native12_GLOBAL__N_18offset_tEEE10hipError_tPvRmT1_PNSt15iterator_traitsIS12_E10value_typeET2_T3_PNS13_IS18_E10value_typeET4_jRbjT5_S1E_jjP12ihipStream_tbEUljE_ZNSN_ISO_Lb1ESQ_SR_ST_SU_SY_EESZ_S10_S11_S12_S16_S17_S18_S1B_S1C_jS1D_jS1E_S1E_jjS1G_bEUljE0_EEESZ_S10_S11_S18_S1C_S1E_T6_T7_T9_mT8_S1G_bDpT10_ENKUlT_T0_E_clISt17integral_constantIbLb0EES1T_IbLb1EEEEDaS1P_S1Q_EUlS1P_E_NS1_11comp_targetILNS1_3genE8ELNS1_11target_archE1030ELNS1_3gpuE2ELNS1_3repE0EEENS1_30default_config_static_selectorELNS0_4arch9wavefront6targetE0EEEvS12_.private_seg_size, 0
	.set _ZN7rocprim17ROCPRIM_400000_NS6detail17trampoline_kernelINS0_13select_configILj256ELj13ELNS0_17block_load_methodE3ELS4_3ELS4_3ELNS0_20block_scan_algorithmE0ELj4294967295EEENS1_25partition_config_selectorILNS1_17partition_subalgoE4EjNS0_10empty_typeEbEEZZNS1_14partition_implILS8_4ELb0ES6_15HIP_vector_typeIjLj2EENS0_17counting_iteratorIjlEEPS9_SG_NS0_5tupleIJPjSI_NS0_16reverse_iteratorISI_EEEEENSH_IJSG_SG_SG_EEES9_SI_JZNS1_25segmented_radix_sort_implINS0_14default_configELb1EPKhPhPKlPlN2at6native12_GLOBAL__N_18offset_tEEE10hipError_tPvRmT1_PNSt15iterator_traitsIS12_E10value_typeET2_T3_PNS13_IS18_E10value_typeET4_jRbjT5_S1E_jjP12ihipStream_tbEUljE_ZNSN_ISO_Lb1ESQ_SR_ST_SU_SY_EESZ_S10_S11_S12_S16_S17_S18_S1B_S1C_jS1D_jS1E_S1E_jjS1G_bEUljE0_EEESZ_S10_S11_S18_S1C_S1E_T6_T7_T9_mT8_S1G_bDpT10_ENKUlT_T0_E_clISt17integral_constantIbLb0EES1T_IbLb1EEEEDaS1P_S1Q_EUlS1P_E_NS1_11comp_targetILNS1_3genE8ELNS1_11target_archE1030ELNS1_3gpuE2ELNS1_3repE0EEENS1_30default_config_static_selectorELNS0_4arch9wavefront6targetE0EEEvS12_.uses_vcc, 1
	.set _ZN7rocprim17ROCPRIM_400000_NS6detail17trampoline_kernelINS0_13select_configILj256ELj13ELNS0_17block_load_methodE3ELS4_3ELS4_3ELNS0_20block_scan_algorithmE0ELj4294967295EEENS1_25partition_config_selectorILNS1_17partition_subalgoE4EjNS0_10empty_typeEbEEZZNS1_14partition_implILS8_4ELb0ES6_15HIP_vector_typeIjLj2EENS0_17counting_iteratorIjlEEPS9_SG_NS0_5tupleIJPjSI_NS0_16reverse_iteratorISI_EEEEENSH_IJSG_SG_SG_EEES9_SI_JZNS1_25segmented_radix_sort_implINS0_14default_configELb1EPKhPhPKlPlN2at6native12_GLOBAL__N_18offset_tEEE10hipError_tPvRmT1_PNSt15iterator_traitsIS12_E10value_typeET2_T3_PNS13_IS18_E10value_typeET4_jRbjT5_S1E_jjP12ihipStream_tbEUljE_ZNSN_ISO_Lb1ESQ_SR_ST_SU_SY_EESZ_S10_S11_S12_S16_S17_S18_S1B_S1C_jS1D_jS1E_S1E_jjS1G_bEUljE0_EEESZ_S10_S11_S18_S1C_S1E_T6_T7_T9_mT8_S1G_bDpT10_ENKUlT_T0_E_clISt17integral_constantIbLb0EES1T_IbLb1EEEEDaS1P_S1Q_EUlS1P_E_NS1_11comp_targetILNS1_3genE8ELNS1_11target_archE1030ELNS1_3gpuE2ELNS1_3repE0EEENS1_30default_config_static_selectorELNS0_4arch9wavefront6targetE0EEEvS12_.uses_flat_scratch, 0
	.set _ZN7rocprim17ROCPRIM_400000_NS6detail17trampoline_kernelINS0_13select_configILj256ELj13ELNS0_17block_load_methodE3ELS4_3ELS4_3ELNS0_20block_scan_algorithmE0ELj4294967295EEENS1_25partition_config_selectorILNS1_17partition_subalgoE4EjNS0_10empty_typeEbEEZZNS1_14partition_implILS8_4ELb0ES6_15HIP_vector_typeIjLj2EENS0_17counting_iteratorIjlEEPS9_SG_NS0_5tupleIJPjSI_NS0_16reverse_iteratorISI_EEEEENSH_IJSG_SG_SG_EEES9_SI_JZNS1_25segmented_radix_sort_implINS0_14default_configELb1EPKhPhPKlPlN2at6native12_GLOBAL__N_18offset_tEEE10hipError_tPvRmT1_PNSt15iterator_traitsIS12_E10value_typeET2_T3_PNS13_IS18_E10value_typeET4_jRbjT5_S1E_jjP12ihipStream_tbEUljE_ZNSN_ISO_Lb1ESQ_SR_ST_SU_SY_EESZ_S10_S11_S12_S16_S17_S18_S1B_S1C_jS1D_jS1E_S1E_jjS1G_bEUljE0_EEESZ_S10_S11_S18_S1C_S1E_T6_T7_T9_mT8_S1G_bDpT10_ENKUlT_T0_E_clISt17integral_constantIbLb0EES1T_IbLb1EEEEDaS1P_S1Q_EUlS1P_E_NS1_11comp_targetILNS1_3genE8ELNS1_11target_archE1030ELNS1_3gpuE2ELNS1_3repE0EEENS1_30default_config_static_selectorELNS0_4arch9wavefront6targetE0EEEvS12_.has_dyn_sized_stack, 0
	.set _ZN7rocprim17ROCPRIM_400000_NS6detail17trampoline_kernelINS0_13select_configILj256ELj13ELNS0_17block_load_methodE3ELS4_3ELS4_3ELNS0_20block_scan_algorithmE0ELj4294967295EEENS1_25partition_config_selectorILNS1_17partition_subalgoE4EjNS0_10empty_typeEbEEZZNS1_14partition_implILS8_4ELb0ES6_15HIP_vector_typeIjLj2EENS0_17counting_iteratorIjlEEPS9_SG_NS0_5tupleIJPjSI_NS0_16reverse_iteratorISI_EEEEENSH_IJSG_SG_SG_EEES9_SI_JZNS1_25segmented_radix_sort_implINS0_14default_configELb1EPKhPhPKlPlN2at6native12_GLOBAL__N_18offset_tEEE10hipError_tPvRmT1_PNSt15iterator_traitsIS12_E10value_typeET2_T3_PNS13_IS18_E10value_typeET4_jRbjT5_S1E_jjP12ihipStream_tbEUljE_ZNSN_ISO_Lb1ESQ_SR_ST_SU_SY_EESZ_S10_S11_S12_S16_S17_S18_S1B_S1C_jS1D_jS1E_S1E_jjS1G_bEUljE0_EEESZ_S10_S11_S18_S1C_S1E_T6_T7_T9_mT8_S1G_bDpT10_ENKUlT_T0_E_clISt17integral_constantIbLb0EES1T_IbLb1EEEEDaS1P_S1Q_EUlS1P_E_NS1_11comp_targetILNS1_3genE8ELNS1_11target_archE1030ELNS1_3gpuE2ELNS1_3repE0EEENS1_30default_config_static_selectorELNS0_4arch9wavefront6targetE0EEEvS12_.has_recursion, 0
	.set _ZN7rocprim17ROCPRIM_400000_NS6detail17trampoline_kernelINS0_13select_configILj256ELj13ELNS0_17block_load_methodE3ELS4_3ELS4_3ELNS0_20block_scan_algorithmE0ELj4294967295EEENS1_25partition_config_selectorILNS1_17partition_subalgoE4EjNS0_10empty_typeEbEEZZNS1_14partition_implILS8_4ELb0ES6_15HIP_vector_typeIjLj2EENS0_17counting_iteratorIjlEEPS9_SG_NS0_5tupleIJPjSI_NS0_16reverse_iteratorISI_EEEEENSH_IJSG_SG_SG_EEES9_SI_JZNS1_25segmented_radix_sort_implINS0_14default_configELb1EPKhPhPKlPlN2at6native12_GLOBAL__N_18offset_tEEE10hipError_tPvRmT1_PNSt15iterator_traitsIS12_E10value_typeET2_T3_PNS13_IS18_E10value_typeET4_jRbjT5_S1E_jjP12ihipStream_tbEUljE_ZNSN_ISO_Lb1ESQ_SR_ST_SU_SY_EESZ_S10_S11_S12_S16_S17_S18_S1B_S1C_jS1D_jS1E_S1E_jjS1G_bEUljE0_EEESZ_S10_S11_S18_S1C_S1E_T6_T7_T9_mT8_S1G_bDpT10_ENKUlT_T0_E_clISt17integral_constantIbLb0EES1T_IbLb1EEEEDaS1P_S1Q_EUlS1P_E_NS1_11comp_targetILNS1_3genE8ELNS1_11target_archE1030ELNS1_3gpuE2ELNS1_3repE0EEENS1_30default_config_static_selectorELNS0_4arch9wavefront6targetE0EEEvS12_.has_indirect_call, 0
	.section	.AMDGPU.csdata,"",@progbits
; Kernel info:
; codeLenInByte = 16368
; TotalNumSgprs: 57
; NumVgprs: 87
; ScratchSize: 0
; MemoryBound: 0
; FloatMode: 240
; IeeeMode: 1
; LDSByteSize: 13328 bytes/workgroup (compile time only)
; SGPRBlocks: 0
; VGPRBlocks: 10
; NumSGPRsForWavesPerEU: 57
; NumVGPRsForWavesPerEU: 87
; Occupancy: 10
; WaveLimiterHint : 1
; COMPUTE_PGM_RSRC2:SCRATCH_EN: 0
; COMPUTE_PGM_RSRC2:USER_SGPR: 6
; COMPUTE_PGM_RSRC2:TRAP_HANDLER: 0
; COMPUTE_PGM_RSRC2:TGID_X_EN: 1
; COMPUTE_PGM_RSRC2:TGID_Y_EN: 0
; COMPUTE_PGM_RSRC2:TGID_Z_EN: 0
; COMPUTE_PGM_RSRC2:TIDIG_COMP_CNT: 0
	.section	.text._ZN7rocprim17ROCPRIM_400000_NS6detail31init_lookback_scan_state_kernelINS1_19lookback_scan_stateIjLb0ELb1EEENS1_16block_id_wrapperIjLb0EEEEEvT_jT0_jPNS7_10value_typeE,"axG",@progbits,_ZN7rocprim17ROCPRIM_400000_NS6detail31init_lookback_scan_state_kernelINS1_19lookback_scan_stateIjLb0ELb1EEENS1_16block_id_wrapperIjLb0EEEEEvT_jT0_jPNS7_10value_typeE,comdat
	.protected	_ZN7rocprim17ROCPRIM_400000_NS6detail31init_lookback_scan_state_kernelINS1_19lookback_scan_stateIjLb0ELb1EEENS1_16block_id_wrapperIjLb0EEEEEvT_jT0_jPNS7_10value_typeE ; -- Begin function _ZN7rocprim17ROCPRIM_400000_NS6detail31init_lookback_scan_state_kernelINS1_19lookback_scan_stateIjLb0ELb1EEENS1_16block_id_wrapperIjLb0EEEEEvT_jT0_jPNS7_10value_typeE
	.globl	_ZN7rocprim17ROCPRIM_400000_NS6detail31init_lookback_scan_state_kernelINS1_19lookback_scan_stateIjLb0ELb1EEENS1_16block_id_wrapperIjLb0EEEEEvT_jT0_jPNS7_10value_typeE
	.p2align	8
	.type	_ZN7rocprim17ROCPRIM_400000_NS6detail31init_lookback_scan_state_kernelINS1_19lookback_scan_stateIjLb0ELb1EEENS1_16block_id_wrapperIjLb0EEEEEvT_jT0_jPNS7_10value_typeE,@function
_ZN7rocprim17ROCPRIM_400000_NS6detail31init_lookback_scan_state_kernelINS1_19lookback_scan_stateIjLb0ELb1EEENS1_16block_id_wrapperIjLb0EEEEEvT_jT0_jPNS7_10value_typeE: ; @_ZN7rocprim17ROCPRIM_400000_NS6detail31init_lookback_scan_state_kernelINS1_19lookback_scan_stateIjLb0ELb1EEENS1_16block_id_wrapperIjLb0EEEEEvT_jT0_jPNS7_10value_typeE
; %bb.0:
	s_clause 0x3
	s_load_dword s8, s[4:5], 0x2c
	s_load_dwordx2 s[2:3], s[4:5], 0x18
	s_load_dwordx2 s[0:1], s[4:5], 0x0
	s_load_dword s7, s[4:5], 0x8
	s_waitcnt lgkmcnt(0)
	s_and_b32 s8, s8, 0xffff
	s_cmp_eq_u64 s[2:3], 0
	v_mad_u64_u32 v[0:1], null, s6, s8, v[0:1]
	s_cbranch_scc1 .LBB47_6
; %bb.1:
	s_load_dword s4, s[4:5], 0x10
	s_waitcnt lgkmcnt(0)
	s_cmp_lt_u32 s4, s7
	s_cselect_b32 s5, s4, 0
	v_cmp_eq_u32_e32 vcc_lo, s5, v0
	s_mov_b32 s5, 0
	s_and_saveexec_b32 s6, vcc_lo
	s_cbranch_execz .LBB47_5
; %bb.2:
	s_add_i32 s4, s4, 32
	v_mov_b32_e32 v3, 0
	s_lshl_b64 s[4:5], s[4:5], 3
	s_add_u32 s4, s0, s4
	s_addc_u32 s5, s1, s5
	global_load_dwordx2 v[1:2], v3, s[4:5] glc dlc
	s_waitcnt vmcnt(0)
	v_and_b32_e32 v4, 0xff, v2
	v_cmp_ne_u64_e32 vcc_lo, 0, v[3:4]
	s_cbranch_vccnz .LBB47_4
.LBB47_3:                               ; =>This Inner Loop Header: Depth=1
	global_load_dwordx2 v[1:2], v3, s[4:5] glc dlc
	s_waitcnt vmcnt(0)
	v_and_b32_e32 v4, 0xff, v2
	v_cmp_eq_u64_e32 vcc_lo, 0, v[3:4]
	s_cbranch_vccnz .LBB47_3
.LBB47_4:
	v_mov_b32_e32 v2, 0
	global_store_dword v2, v1, s[2:3]
.LBB47_5:
	s_or_b32 exec_lo, exec_lo, s6
.LBB47_6:
	s_mov_b32 s2, exec_lo
	v_cmpx_gt_u32_e64 s7, v0
	s_cbranch_execz .LBB47_8
; %bb.7:
	v_add_nc_u32_e32 v1, 32, v0
	v_mov_b32_e32 v2, 0
	v_lshlrev_b64 v[3:4], 3, v[1:2]
	v_mov_b32_e32 v1, v2
	v_add_co_u32 v3, vcc_lo, s0, v3
	v_add_co_ci_u32_e64 v4, null, s1, v4, vcc_lo
	global_store_dwordx2 v[3:4], v[1:2], off
.LBB47_8:
	s_or_b32 exec_lo, exec_lo, s2
	s_mov_b32 s2, exec_lo
	v_cmpx_gt_u32_e32 32, v0
	s_cbranch_execz .LBB47_10
; %bb.9:
	v_mov_b32_e32 v1, 0
	v_mov_b32_e32 v4, 0xff
	v_lshlrev_b64 v[2:3], 3, v[0:1]
	v_add_co_u32 v5, vcc_lo, s0, v2
	v_add_co_ci_u32_e64 v6, null, s1, v3, vcc_lo
	v_mov_b32_e32 v3, v1
	global_store_dwordx2 v[5:6], v[3:4], off
.LBB47_10:
	s_endpgm
	.section	.rodata,"a",@progbits
	.p2align	6, 0x0
	.amdhsa_kernel _ZN7rocprim17ROCPRIM_400000_NS6detail31init_lookback_scan_state_kernelINS1_19lookback_scan_stateIjLb0ELb1EEENS1_16block_id_wrapperIjLb0EEEEEvT_jT0_jPNS7_10value_typeE
		.amdhsa_group_segment_fixed_size 0
		.amdhsa_private_segment_fixed_size 0
		.amdhsa_kernarg_size 288
		.amdhsa_user_sgpr_count 6
		.amdhsa_user_sgpr_private_segment_buffer 1
		.amdhsa_user_sgpr_dispatch_ptr 0
		.amdhsa_user_sgpr_queue_ptr 0
		.amdhsa_user_sgpr_kernarg_segment_ptr 1
		.amdhsa_user_sgpr_dispatch_id 0
		.amdhsa_user_sgpr_flat_scratch_init 0
		.amdhsa_user_sgpr_private_segment_size 0
		.amdhsa_wavefront_size32 1
		.amdhsa_uses_dynamic_stack 0
		.amdhsa_system_sgpr_private_segment_wavefront_offset 0
		.amdhsa_system_sgpr_workgroup_id_x 1
		.amdhsa_system_sgpr_workgroup_id_y 0
		.amdhsa_system_sgpr_workgroup_id_z 0
		.amdhsa_system_sgpr_workgroup_info 0
		.amdhsa_system_vgpr_workitem_id 0
		.amdhsa_next_free_vgpr 7
		.amdhsa_next_free_sgpr 9
		.amdhsa_reserve_vcc 1
		.amdhsa_reserve_flat_scratch 0
		.amdhsa_float_round_mode_32 0
		.amdhsa_float_round_mode_16_64 0
		.amdhsa_float_denorm_mode_32 3
		.amdhsa_float_denorm_mode_16_64 3
		.amdhsa_dx10_clamp 1
		.amdhsa_ieee_mode 1
		.amdhsa_fp16_overflow 0
		.amdhsa_workgroup_processor_mode 1
		.amdhsa_memory_ordered 1
		.amdhsa_forward_progress 1
		.amdhsa_shared_vgpr_count 0
		.amdhsa_exception_fp_ieee_invalid_op 0
		.amdhsa_exception_fp_denorm_src 0
		.amdhsa_exception_fp_ieee_div_zero 0
		.amdhsa_exception_fp_ieee_overflow 0
		.amdhsa_exception_fp_ieee_underflow 0
		.amdhsa_exception_fp_ieee_inexact 0
		.amdhsa_exception_int_div_zero 0
	.end_amdhsa_kernel
	.section	.text._ZN7rocprim17ROCPRIM_400000_NS6detail31init_lookback_scan_state_kernelINS1_19lookback_scan_stateIjLb0ELb1EEENS1_16block_id_wrapperIjLb0EEEEEvT_jT0_jPNS7_10value_typeE,"axG",@progbits,_ZN7rocprim17ROCPRIM_400000_NS6detail31init_lookback_scan_state_kernelINS1_19lookback_scan_stateIjLb0ELb1EEENS1_16block_id_wrapperIjLb0EEEEEvT_jT0_jPNS7_10value_typeE,comdat
.Lfunc_end47:
	.size	_ZN7rocprim17ROCPRIM_400000_NS6detail31init_lookback_scan_state_kernelINS1_19lookback_scan_stateIjLb0ELb1EEENS1_16block_id_wrapperIjLb0EEEEEvT_jT0_jPNS7_10value_typeE, .Lfunc_end47-_ZN7rocprim17ROCPRIM_400000_NS6detail31init_lookback_scan_state_kernelINS1_19lookback_scan_stateIjLb0ELb1EEENS1_16block_id_wrapperIjLb0EEEEEvT_jT0_jPNS7_10value_typeE
                                        ; -- End function
	.set _ZN7rocprim17ROCPRIM_400000_NS6detail31init_lookback_scan_state_kernelINS1_19lookback_scan_stateIjLb0ELb1EEENS1_16block_id_wrapperIjLb0EEEEEvT_jT0_jPNS7_10value_typeE.num_vgpr, 7
	.set _ZN7rocprim17ROCPRIM_400000_NS6detail31init_lookback_scan_state_kernelINS1_19lookback_scan_stateIjLb0ELb1EEENS1_16block_id_wrapperIjLb0EEEEEvT_jT0_jPNS7_10value_typeE.num_agpr, 0
	.set _ZN7rocprim17ROCPRIM_400000_NS6detail31init_lookback_scan_state_kernelINS1_19lookback_scan_stateIjLb0ELb1EEENS1_16block_id_wrapperIjLb0EEEEEvT_jT0_jPNS7_10value_typeE.numbered_sgpr, 9
	.set _ZN7rocprim17ROCPRIM_400000_NS6detail31init_lookback_scan_state_kernelINS1_19lookback_scan_stateIjLb0ELb1EEENS1_16block_id_wrapperIjLb0EEEEEvT_jT0_jPNS7_10value_typeE.num_named_barrier, 0
	.set _ZN7rocprim17ROCPRIM_400000_NS6detail31init_lookback_scan_state_kernelINS1_19lookback_scan_stateIjLb0ELb1EEENS1_16block_id_wrapperIjLb0EEEEEvT_jT0_jPNS7_10value_typeE.private_seg_size, 0
	.set _ZN7rocprim17ROCPRIM_400000_NS6detail31init_lookback_scan_state_kernelINS1_19lookback_scan_stateIjLb0ELb1EEENS1_16block_id_wrapperIjLb0EEEEEvT_jT0_jPNS7_10value_typeE.uses_vcc, 1
	.set _ZN7rocprim17ROCPRIM_400000_NS6detail31init_lookback_scan_state_kernelINS1_19lookback_scan_stateIjLb0ELb1EEENS1_16block_id_wrapperIjLb0EEEEEvT_jT0_jPNS7_10value_typeE.uses_flat_scratch, 0
	.set _ZN7rocprim17ROCPRIM_400000_NS6detail31init_lookback_scan_state_kernelINS1_19lookback_scan_stateIjLb0ELb1EEENS1_16block_id_wrapperIjLb0EEEEEvT_jT0_jPNS7_10value_typeE.has_dyn_sized_stack, 0
	.set _ZN7rocprim17ROCPRIM_400000_NS6detail31init_lookback_scan_state_kernelINS1_19lookback_scan_stateIjLb0ELb1EEENS1_16block_id_wrapperIjLb0EEEEEvT_jT0_jPNS7_10value_typeE.has_recursion, 0
	.set _ZN7rocprim17ROCPRIM_400000_NS6detail31init_lookback_scan_state_kernelINS1_19lookback_scan_stateIjLb0ELb1EEENS1_16block_id_wrapperIjLb0EEEEEvT_jT0_jPNS7_10value_typeE.has_indirect_call, 0
	.section	.AMDGPU.csdata,"",@progbits
; Kernel info:
; codeLenInByte = 320
; TotalNumSgprs: 11
; NumVgprs: 7
; ScratchSize: 0
; MemoryBound: 0
; FloatMode: 240
; IeeeMode: 1
; LDSByteSize: 0 bytes/workgroup (compile time only)
; SGPRBlocks: 0
; VGPRBlocks: 0
; NumSGPRsForWavesPerEU: 11
; NumVGPRsForWavesPerEU: 7
; Occupancy: 16
; WaveLimiterHint : 0
; COMPUTE_PGM_RSRC2:SCRATCH_EN: 0
; COMPUTE_PGM_RSRC2:USER_SGPR: 6
; COMPUTE_PGM_RSRC2:TRAP_HANDLER: 0
; COMPUTE_PGM_RSRC2:TGID_X_EN: 1
; COMPUTE_PGM_RSRC2:TGID_Y_EN: 0
; COMPUTE_PGM_RSRC2:TGID_Z_EN: 0
; COMPUTE_PGM_RSRC2:TIDIG_COMP_CNT: 0
	.section	.text._ZN7rocprim17ROCPRIM_400000_NS6detail17trampoline_kernelINS0_13select_configILj256ELj13ELNS0_17block_load_methodE3ELS4_3ELS4_3ELNS0_20block_scan_algorithmE0ELj4294967295EEENS1_25partition_config_selectorILNS1_17partition_subalgoE3EjNS0_10empty_typeEbEEZZNS1_14partition_implILS8_3ELb0ES6_jNS0_17counting_iteratorIjlEEPS9_SE_NS0_5tupleIJPjSE_EEENSF_IJSE_SE_EEES9_SG_JZNS1_25segmented_radix_sort_implINS0_14default_configELb1EPKhPhPKlPlN2at6native12_GLOBAL__N_18offset_tEEE10hipError_tPvRmT1_PNSt15iterator_traitsISY_E10value_typeET2_T3_PNSZ_IS14_E10value_typeET4_jRbjT5_S1A_jjP12ihipStream_tbEUljE_EEESV_SW_SX_S14_S18_S1A_T6_T7_T9_mT8_S1C_bDpT10_ENKUlT_T0_E_clISt17integral_constantIbLb0EES1P_EEDaS1K_S1L_EUlS1K_E_NS1_11comp_targetILNS1_3genE0ELNS1_11target_archE4294967295ELNS1_3gpuE0ELNS1_3repE0EEENS1_30default_config_static_selectorELNS0_4arch9wavefront6targetE0EEEvSY_,"axG",@progbits,_ZN7rocprim17ROCPRIM_400000_NS6detail17trampoline_kernelINS0_13select_configILj256ELj13ELNS0_17block_load_methodE3ELS4_3ELS4_3ELNS0_20block_scan_algorithmE0ELj4294967295EEENS1_25partition_config_selectorILNS1_17partition_subalgoE3EjNS0_10empty_typeEbEEZZNS1_14partition_implILS8_3ELb0ES6_jNS0_17counting_iteratorIjlEEPS9_SE_NS0_5tupleIJPjSE_EEENSF_IJSE_SE_EEES9_SG_JZNS1_25segmented_radix_sort_implINS0_14default_configELb1EPKhPhPKlPlN2at6native12_GLOBAL__N_18offset_tEEE10hipError_tPvRmT1_PNSt15iterator_traitsISY_E10value_typeET2_T3_PNSZ_IS14_E10value_typeET4_jRbjT5_S1A_jjP12ihipStream_tbEUljE_EEESV_SW_SX_S14_S18_S1A_T6_T7_T9_mT8_S1C_bDpT10_ENKUlT_T0_E_clISt17integral_constantIbLb0EES1P_EEDaS1K_S1L_EUlS1K_E_NS1_11comp_targetILNS1_3genE0ELNS1_11target_archE4294967295ELNS1_3gpuE0ELNS1_3repE0EEENS1_30default_config_static_selectorELNS0_4arch9wavefront6targetE0EEEvSY_,comdat
	.globl	_ZN7rocprim17ROCPRIM_400000_NS6detail17trampoline_kernelINS0_13select_configILj256ELj13ELNS0_17block_load_methodE3ELS4_3ELS4_3ELNS0_20block_scan_algorithmE0ELj4294967295EEENS1_25partition_config_selectorILNS1_17partition_subalgoE3EjNS0_10empty_typeEbEEZZNS1_14partition_implILS8_3ELb0ES6_jNS0_17counting_iteratorIjlEEPS9_SE_NS0_5tupleIJPjSE_EEENSF_IJSE_SE_EEES9_SG_JZNS1_25segmented_radix_sort_implINS0_14default_configELb1EPKhPhPKlPlN2at6native12_GLOBAL__N_18offset_tEEE10hipError_tPvRmT1_PNSt15iterator_traitsISY_E10value_typeET2_T3_PNSZ_IS14_E10value_typeET4_jRbjT5_S1A_jjP12ihipStream_tbEUljE_EEESV_SW_SX_S14_S18_S1A_T6_T7_T9_mT8_S1C_bDpT10_ENKUlT_T0_E_clISt17integral_constantIbLb0EES1P_EEDaS1K_S1L_EUlS1K_E_NS1_11comp_targetILNS1_3genE0ELNS1_11target_archE4294967295ELNS1_3gpuE0ELNS1_3repE0EEENS1_30default_config_static_selectorELNS0_4arch9wavefront6targetE0EEEvSY_ ; -- Begin function _ZN7rocprim17ROCPRIM_400000_NS6detail17trampoline_kernelINS0_13select_configILj256ELj13ELNS0_17block_load_methodE3ELS4_3ELS4_3ELNS0_20block_scan_algorithmE0ELj4294967295EEENS1_25partition_config_selectorILNS1_17partition_subalgoE3EjNS0_10empty_typeEbEEZZNS1_14partition_implILS8_3ELb0ES6_jNS0_17counting_iteratorIjlEEPS9_SE_NS0_5tupleIJPjSE_EEENSF_IJSE_SE_EEES9_SG_JZNS1_25segmented_radix_sort_implINS0_14default_configELb1EPKhPhPKlPlN2at6native12_GLOBAL__N_18offset_tEEE10hipError_tPvRmT1_PNSt15iterator_traitsISY_E10value_typeET2_T3_PNSZ_IS14_E10value_typeET4_jRbjT5_S1A_jjP12ihipStream_tbEUljE_EEESV_SW_SX_S14_S18_S1A_T6_T7_T9_mT8_S1C_bDpT10_ENKUlT_T0_E_clISt17integral_constantIbLb0EES1P_EEDaS1K_S1L_EUlS1K_E_NS1_11comp_targetILNS1_3genE0ELNS1_11target_archE4294967295ELNS1_3gpuE0ELNS1_3repE0EEENS1_30default_config_static_selectorELNS0_4arch9wavefront6targetE0EEEvSY_
	.p2align	8
	.type	_ZN7rocprim17ROCPRIM_400000_NS6detail17trampoline_kernelINS0_13select_configILj256ELj13ELNS0_17block_load_methodE3ELS4_3ELS4_3ELNS0_20block_scan_algorithmE0ELj4294967295EEENS1_25partition_config_selectorILNS1_17partition_subalgoE3EjNS0_10empty_typeEbEEZZNS1_14partition_implILS8_3ELb0ES6_jNS0_17counting_iteratorIjlEEPS9_SE_NS0_5tupleIJPjSE_EEENSF_IJSE_SE_EEES9_SG_JZNS1_25segmented_radix_sort_implINS0_14default_configELb1EPKhPhPKlPlN2at6native12_GLOBAL__N_18offset_tEEE10hipError_tPvRmT1_PNSt15iterator_traitsISY_E10value_typeET2_T3_PNSZ_IS14_E10value_typeET4_jRbjT5_S1A_jjP12ihipStream_tbEUljE_EEESV_SW_SX_S14_S18_S1A_T6_T7_T9_mT8_S1C_bDpT10_ENKUlT_T0_E_clISt17integral_constantIbLb0EES1P_EEDaS1K_S1L_EUlS1K_E_NS1_11comp_targetILNS1_3genE0ELNS1_11target_archE4294967295ELNS1_3gpuE0ELNS1_3repE0EEENS1_30default_config_static_selectorELNS0_4arch9wavefront6targetE0EEEvSY_,@function
_ZN7rocprim17ROCPRIM_400000_NS6detail17trampoline_kernelINS0_13select_configILj256ELj13ELNS0_17block_load_methodE3ELS4_3ELS4_3ELNS0_20block_scan_algorithmE0ELj4294967295EEENS1_25partition_config_selectorILNS1_17partition_subalgoE3EjNS0_10empty_typeEbEEZZNS1_14partition_implILS8_3ELb0ES6_jNS0_17counting_iteratorIjlEEPS9_SE_NS0_5tupleIJPjSE_EEENSF_IJSE_SE_EEES9_SG_JZNS1_25segmented_radix_sort_implINS0_14default_configELb1EPKhPhPKlPlN2at6native12_GLOBAL__N_18offset_tEEE10hipError_tPvRmT1_PNSt15iterator_traitsISY_E10value_typeET2_T3_PNSZ_IS14_E10value_typeET4_jRbjT5_S1A_jjP12ihipStream_tbEUljE_EEESV_SW_SX_S14_S18_S1A_T6_T7_T9_mT8_S1C_bDpT10_ENKUlT_T0_E_clISt17integral_constantIbLb0EES1P_EEDaS1K_S1L_EUlS1K_E_NS1_11comp_targetILNS1_3genE0ELNS1_11target_archE4294967295ELNS1_3gpuE0ELNS1_3repE0EEENS1_30default_config_static_selectorELNS0_4arch9wavefront6targetE0EEEvSY_: ; @_ZN7rocprim17ROCPRIM_400000_NS6detail17trampoline_kernelINS0_13select_configILj256ELj13ELNS0_17block_load_methodE3ELS4_3ELS4_3ELNS0_20block_scan_algorithmE0ELj4294967295EEENS1_25partition_config_selectorILNS1_17partition_subalgoE3EjNS0_10empty_typeEbEEZZNS1_14partition_implILS8_3ELb0ES6_jNS0_17counting_iteratorIjlEEPS9_SE_NS0_5tupleIJPjSE_EEENSF_IJSE_SE_EEES9_SG_JZNS1_25segmented_radix_sort_implINS0_14default_configELb1EPKhPhPKlPlN2at6native12_GLOBAL__N_18offset_tEEE10hipError_tPvRmT1_PNSt15iterator_traitsISY_E10value_typeET2_T3_PNSZ_IS14_E10value_typeET4_jRbjT5_S1A_jjP12ihipStream_tbEUljE_EEESV_SW_SX_S14_S18_S1A_T6_T7_T9_mT8_S1C_bDpT10_ENKUlT_T0_E_clISt17integral_constantIbLb0EES1P_EEDaS1K_S1L_EUlS1K_E_NS1_11comp_targetILNS1_3genE0ELNS1_11target_archE4294967295ELNS1_3gpuE0ELNS1_3repE0EEENS1_30default_config_static_selectorELNS0_4arch9wavefront6targetE0EEEvSY_
; %bb.0:
	.section	.rodata,"a",@progbits
	.p2align	6, 0x0
	.amdhsa_kernel _ZN7rocprim17ROCPRIM_400000_NS6detail17trampoline_kernelINS0_13select_configILj256ELj13ELNS0_17block_load_methodE3ELS4_3ELS4_3ELNS0_20block_scan_algorithmE0ELj4294967295EEENS1_25partition_config_selectorILNS1_17partition_subalgoE3EjNS0_10empty_typeEbEEZZNS1_14partition_implILS8_3ELb0ES6_jNS0_17counting_iteratorIjlEEPS9_SE_NS0_5tupleIJPjSE_EEENSF_IJSE_SE_EEES9_SG_JZNS1_25segmented_radix_sort_implINS0_14default_configELb1EPKhPhPKlPlN2at6native12_GLOBAL__N_18offset_tEEE10hipError_tPvRmT1_PNSt15iterator_traitsISY_E10value_typeET2_T3_PNSZ_IS14_E10value_typeET4_jRbjT5_S1A_jjP12ihipStream_tbEUljE_EEESV_SW_SX_S14_S18_S1A_T6_T7_T9_mT8_S1C_bDpT10_ENKUlT_T0_E_clISt17integral_constantIbLb0EES1P_EEDaS1K_S1L_EUlS1K_E_NS1_11comp_targetILNS1_3genE0ELNS1_11target_archE4294967295ELNS1_3gpuE0ELNS1_3repE0EEENS1_30default_config_static_selectorELNS0_4arch9wavefront6targetE0EEEvSY_
		.amdhsa_group_segment_fixed_size 0
		.amdhsa_private_segment_fixed_size 0
		.amdhsa_kernarg_size 144
		.amdhsa_user_sgpr_count 6
		.amdhsa_user_sgpr_private_segment_buffer 1
		.amdhsa_user_sgpr_dispatch_ptr 0
		.amdhsa_user_sgpr_queue_ptr 0
		.amdhsa_user_sgpr_kernarg_segment_ptr 1
		.amdhsa_user_sgpr_dispatch_id 0
		.amdhsa_user_sgpr_flat_scratch_init 0
		.amdhsa_user_sgpr_private_segment_size 0
		.amdhsa_wavefront_size32 1
		.amdhsa_uses_dynamic_stack 0
		.amdhsa_system_sgpr_private_segment_wavefront_offset 0
		.amdhsa_system_sgpr_workgroup_id_x 1
		.amdhsa_system_sgpr_workgroup_id_y 0
		.amdhsa_system_sgpr_workgroup_id_z 0
		.amdhsa_system_sgpr_workgroup_info 0
		.amdhsa_system_vgpr_workitem_id 0
		.amdhsa_next_free_vgpr 1
		.amdhsa_next_free_sgpr 1
		.amdhsa_reserve_vcc 0
		.amdhsa_reserve_flat_scratch 0
		.amdhsa_float_round_mode_32 0
		.amdhsa_float_round_mode_16_64 0
		.amdhsa_float_denorm_mode_32 3
		.amdhsa_float_denorm_mode_16_64 3
		.amdhsa_dx10_clamp 1
		.amdhsa_ieee_mode 1
		.amdhsa_fp16_overflow 0
		.amdhsa_workgroup_processor_mode 1
		.amdhsa_memory_ordered 1
		.amdhsa_forward_progress 1
		.amdhsa_shared_vgpr_count 0
		.amdhsa_exception_fp_ieee_invalid_op 0
		.amdhsa_exception_fp_denorm_src 0
		.amdhsa_exception_fp_ieee_div_zero 0
		.amdhsa_exception_fp_ieee_overflow 0
		.amdhsa_exception_fp_ieee_underflow 0
		.amdhsa_exception_fp_ieee_inexact 0
		.amdhsa_exception_int_div_zero 0
	.end_amdhsa_kernel
	.section	.text._ZN7rocprim17ROCPRIM_400000_NS6detail17trampoline_kernelINS0_13select_configILj256ELj13ELNS0_17block_load_methodE3ELS4_3ELS4_3ELNS0_20block_scan_algorithmE0ELj4294967295EEENS1_25partition_config_selectorILNS1_17partition_subalgoE3EjNS0_10empty_typeEbEEZZNS1_14partition_implILS8_3ELb0ES6_jNS0_17counting_iteratorIjlEEPS9_SE_NS0_5tupleIJPjSE_EEENSF_IJSE_SE_EEES9_SG_JZNS1_25segmented_radix_sort_implINS0_14default_configELb1EPKhPhPKlPlN2at6native12_GLOBAL__N_18offset_tEEE10hipError_tPvRmT1_PNSt15iterator_traitsISY_E10value_typeET2_T3_PNSZ_IS14_E10value_typeET4_jRbjT5_S1A_jjP12ihipStream_tbEUljE_EEESV_SW_SX_S14_S18_S1A_T6_T7_T9_mT8_S1C_bDpT10_ENKUlT_T0_E_clISt17integral_constantIbLb0EES1P_EEDaS1K_S1L_EUlS1K_E_NS1_11comp_targetILNS1_3genE0ELNS1_11target_archE4294967295ELNS1_3gpuE0ELNS1_3repE0EEENS1_30default_config_static_selectorELNS0_4arch9wavefront6targetE0EEEvSY_,"axG",@progbits,_ZN7rocprim17ROCPRIM_400000_NS6detail17trampoline_kernelINS0_13select_configILj256ELj13ELNS0_17block_load_methodE3ELS4_3ELS4_3ELNS0_20block_scan_algorithmE0ELj4294967295EEENS1_25partition_config_selectorILNS1_17partition_subalgoE3EjNS0_10empty_typeEbEEZZNS1_14partition_implILS8_3ELb0ES6_jNS0_17counting_iteratorIjlEEPS9_SE_NS0_5tupleIJPjSE_EEENSF_IJSE_SE_EEES9_SG_JZNS1_25segmented_radix_sort_implINS0_14default_configELb1EPKhPhPKlPlN2at6native12_GLOBAL__N_18offset_tEEE10hipError_tPvRmT1_PNSt15iterator_traitsISY_E10value_typeET2_T3_PNSZ_IS14_E10value_typeET4_jRbjT5_S1A_jjP12ihipStream_tbEUljE_EEESV_SW_SX_S14_S18_S1A_T6_T7_T9_mT8_S1C_bDpT10_ENKUlT_T0_E_clISt17integral_constantIbLb0EES1P_EEDaS1K_S1L_EUlS1K_E_NS1_11comp_targetILNS1_3genE0ELNS1_11target_archE4294967295ELNS1_3gpuE0ELNS1_3repE0EEENS1_30default_config_static_selectorELNS0_4arch9wavefront6targetE0EEEvSY_,comdat
.Lfunc_end48:
	.size	_ZN7rocprim17ROCPRIM_400000_NS6detail17trampoline_kernelINS0_13select_configILj256ELj13ELNS0_17block_load_methodE3ELS4_3ELS4_3ELNS0_20block_scan_algorithmE0ELj4294967295EEENS1_25partition_config_selectorILNS1_17partition_subalgoE3EjNS0_10empty_typeEbEEZZNS1_14partition_implILS8_3ELb0ES6_jNS0_17counting_iteratorIjlEEPS9_SE_NS0_5tupleIJPjSE_EEENSF_IJSE_SE_EEES9_SG_JZNS1_25segmented_radix_sort_implINS0_14default_configELb1EPKhPhPKlPlN2at6native12_GLOBAL__N_18offset_tEEE10hipError_tPvRmT1_PNSt15iterator_traitsISY_E10value_typeET2_T3_PNSZ_IS14_E10value_typeET4_jRbjT5_S1A_jjP12ihipStream_tbEUljE_EEESV_SW_SX_S14_S18_S1A_T6_T7_T9_mT8_S1C_bDpT10_ENKUlT_T0_E_clISt17integral_constantIbLb0EES1P_EEDaS1K_S1L_EUlS1K_E_NS1_11comp_targetILNS1_3genE0ELNS1_11target_archE4294967295ELNS1_3gpuE0ELNS1_3repE0EEENS1_30default_config_static_selectorELNS0_4arch9wavefront6targetE0EEEvSY_, .Lfunc_end48-_ZN7rocprim17ROCPRIM_400000_NS6detail17trampoline_kernelINS0_13select_configILj256ELj13ELNS0_17block_load_methodE3ELS4_3ELS4_3ELNS0_20block_scan_algorithmE0ELj4294967295EEENS1_25partition_config_selectorILNS1_17partition_subalgoE3EjNS0_10empty_typeEbEEZZNS1_14partition_implILS8_3ELb0ES6_jNS0_17counting_iteratorIjlEEPS9_SE_NS0_5tupleIJPjSE_EEENSF_IJSE_SE_EEES9_SG_JZNS1_25segmented_radix_sort_implINS0_14default_configELb1EPKhPhPKlPlN2at6native12_GLOBAL__N_18offset_tEEE10hipError_tPvRmT1_PNSt15iterator_traitsISY_E10value_typeET2_T3_PNSZ_IS14_E10value_typeET4_jRbjT5_S1A_jjP12ihipStream_tbEUljE_EEESV_SW_SX_S14_S18_S1A_T6_T7_T9_mT8_S1C_bDpT10_ENKUlT_T0_E_clISt17integral_constantIbLb0EES1P_EEDaS1K_S1L_EUlS1K_E_NS1_11comp_targetILNS1_3genE0ELNS1_11target_archE4294967295ELNS1_3gpuE0ELNS1_3repE0EEENS1_30default_config_static_selectorELNS0_4arch9wavefront6targetE0EEEvSY_
                                        ; -- End function
	.set _ZN7rocprim17ROCPRIM_400000_NS6detail17trampoline_kernelINS0_13select_configILj256ELj13ELNS0_17block_load_methodE3ELS4_3ELS4_3ELNS0_20block_scan_algorithmE0ELj4294967295EEENS1_25partition_config_selectorILNS1_17partition_subalgoE3EjNS0_10empty_typeEbEEZZNS1_14partition_implILS8_3ELb0ES6_jNS0_17counting_iteratorIjlEEPS9_SE_NS0_5tupleIJPjSE_EEENSF_IJSE_SE_EEES9_SG_JZNS1_25segmented_radix_sort_implINS0_14default_configELb1EPKhPhPKlPlN2at6native12_GLOBAL__N_18offset_tEEE10hipError_tPvRmT1_PNSt15iterator_traitsISY_E10value_typeET2_T3_PNSZ_IS14_E10value_typeET4_jRbjT5_S1A_jjP12ihipStream_tbEUljE_EEESV_SW_SX_S14_S18_S1A_T6_T7_T9_mT8_S1C_bDpT10_ENKUlT_T0_E_clISt17integral_constantIbLb0EES1P_EEDaS1K_S1L_EUlS1K_E_NS1_11comp_targetILNS1_3genE0ELNS1_11target_archE4294967295ELNS1_3gpuE0ELNS1_3repE0EEENS1_30default_config_static_selectorELNS0_4arch9wavefront6targetE0EEEvSY_.num_vgpr, 0
	.set _ZN7rocprim17ROCPRIM_400000_NS6detail17trampoline_kernelINS0_13select_configILj256ELj13ELNS0_17block_load_methodE3ELS4_3ELS4_3ELNS0_20block_scan_algorithmE0ELj4294967295EEENS1_25partition_config_selectorILNS1_17partition_subalgoE3EjNS0_10empty_typeEbEEZZNS1_14partition_implILS8_3ELb0ES6_jNS0_17counting_iteratorIjlEEPS9_SE_NS0_5tupleIJPjSE_EEENSF_IJSE_SE_EEES9_SG_JZNS1_25segmented_radix_sort_implINS0_14default_configELb1EPKhPhPKlPlN2at6native12_GLOBAL__N_18offset_tEEE10hipError_tPvRmT1_PNSt15iterator_traitsISY_E10value_typeET2_T3_PNSZ_IS14_E10value_typeET4_jRbjT5_S1A_jjP12ihipStream_tbEUljE_EEESV_SW_SX_S14_S18_S1A_T6_T7_T9_mT8_S1C_bDpT10_ENKUlT_T0_E_clISt17integral_constantIbLb0EES1P_EEDaS1K_S1L_EUlS1K_E_NS1_11comp_targetILNS1_3genE0ELNS1_11target_archE4294967295ELNS1_3gpuE0ELNS1_3repE0EEENS1_30default_config_static_selectorELNS0_4arch9wavefront6targetE0EEEvSY_.num_agpr, 0
	.set _ZN7rocprim17ROCPRIM_400000_NS6detail17trampoline_kernelINS0_13select_configILj256ELj13ELNS0_17block_load_methodE3ELS4_3ELS4_3ELNS0_20block_scan_algorithmE0ELj4294967295EEENS1_25partition_config_selectorILNS1_17partition_subalgoE3EjNS0_10empty_typeEbEEZZNS1_14partition_implILS8_3ELb0ES6_jNS0_17counting_iteratorIjlEEPS9_SE_NS0_5tupleIJPjSE_EEENSF_IJSE_SE_EEES9_SG_JZNS1_25segmented_radix_sort_implINS0_14default_configELb1EPKhPhPKlPlN2at6native12_GLOBAL__N_18offset_tEEE10hipError_tPvRmT1_PNSt15iterator_traitsISY_E10value_typeET2_T3_PNSZ_IS14_E10value_typeET4_jRbjT5_S1A_jjP12ihipStream_tbEUljE_EEESV_SW_SX_S14_S18_S1A_T6_T7_T9_mT8_S1C_bDpT10_ENKUlT_T0_E_clISt17integral_constantIbLb0EES1P_EEDaS1K_S1L_EUlS1K_E_NS1_11comp_targetILNS1_3genE0ELNS1_11target_archE4294967295ELNS1_3gpuE0ELNS1_3repE0EEENS1_30default_config_static_selectorELNS0_4arch9wavefront6targetE0EEEvSY_.numbered_sgpr, 0
	.set _ZN7rocprim17ROCPRIM_400000_NS6detail17trampoline_kernelINS0_13select_configILj256ELj13ELNS0_17block_load_methodE3ELS4_3ELS4_3ELNS0_20block_scan_algorithmE0ELj4294967295EEENS1_25partition_config_selectorILNS1_17partition_subalgoE3EjNS0_10empty_typeEbEEZZNS1_14partition_implILS8_3ELb0ES6_jNS0_17counting_iteratorIjlEEPS9_SE_NS0_5tupleIJPjSE_EEENSF_IJSE_SE_EEES9_SG_JZNS1_25segmented_radix_sort_implINS0_14default_configELb1EPKhPhPKlPlN2at6native12_GLOBAL__N_18offset_tEEE10hipError_tPvRmT1_PNSt15iterator_traitsISY_E10value_typeET2_T3_PNSZ_IS14_E10value_typeET4_jRbjT5_S1A_jjP12ihipStream_tbEUljE_EEESV_SW_SX_S14_S18_S1A_T6_T7_T9_mT8_S1C_bDpT10_ENKUlT_T0_E_clISt17integral_constantIbLb0EES1P_EEDaS1K_S1L_EUlS1K_E_NS1_11comp_targetILNS1_3genE0ELNS1_11target_archE4294967295ELNS1_3gpuE0ELNS1_3repE0EEENS1_30default_config_static_selectorELNS0_4arch9wavefront6targetE0EEEvSY_.num_named_barrier, 0
	.set _ZN7rocprim17ROCPRIM_400000_NS6detail17trampoline_kernelINS0_13select_configILj256ELj13ELNS0_17block_load_methodE3ELS4_3ELS4_3ELNS0_20block_scan_algorithmE0ELj4294967295EEENS1_25partition_config_selectorILNS1_17partition_subalgoE3EjNS0_10empty_typeEbEEZZNS1_14partition_implILS8_3ELb0ES6_jNS0_17counting_iteratorIjlEEPS9_SE_NS0_5tupleIJPjSE_EEENSF_IJSE_SE_EEES9_SG_JZNS1_25segmented_radix_sort_implINS0_14default_configELb1EPKhPhPKlPlN2at6native12_GLOBAL__N_18offset_tEEE10hipError_tPvRmT1_PNSt15iterator_traitsISY_E10value_typeET2_T3_PNSZ_IS14_E10value_typeET4_jRbjT5_S1A_jjP12ihipStream_tbEUljE_EEESV_SW_SX_S14_S18_S1A_T6_T7_T9_mT8_S1C_bDpT10_ENKUlT_T0_E_clISt17integral_constantIbLb0EES1P_EEDaS1K_S1L_EUlS1K_E_NS1_11comp_targetILNS1_3genE0ELNS1_11target_archE4294967295ELNS1_3gpuE0ELNS1_3repE0EEENS1_30default_config_static_selectorELNS0_4arch9wavefront6targetE0EEEvSY_.private_seg_size, 0
	.set _ZN7rocprim17ROCPRIM_400000_NS6detail17trampoline_kernelINS0_13select_configILj256ELj13ELNS0_17block_load_methodE3ELS4_3ELS4_3ELNS0_20block_scan_algorithmE0ELj4294967295EEENS1_25partition_config_selectorILNS1_17partition_subalgoE3EjNS0_10empty_typeEbEEZZNS1_14partition_implILS8_3ELb0ES6_jNS0_17counting_iteratorIjlEEPS9_SE_NS0_5tupleIJPjSE_EEENSF_IJSE_SE_EEES9_SG_JZNS1_25segmented_radix_sort_implINS0_14default_configELb1EPKhPhPKlPlN2at6native12_GLOBAL__N_18offset_tEEE10hipError_tPvRmT1_PNSt15iterator_traitsISY_E10value_typeET2_T3_PNSZ_IS14_E10value_typeET4_jRbjT5_S1A_jjP12ihipStream_tbEUljE_EEESV_SW_SX_S14_S18_S1A_T6_T7_T9_mT8_S1C_bDpT10_ENKUlT_T0_E_clISt17integral_constantIbLb0EES1P_EEDaS1K_S1L_EUlS1K_E_NS1_11comp_targetILNS1_3genE0ELNS1_11target_archE4294967295ELNS1_3gpuE0ELNS1_3repE0EEENS1_30default_config_static_selectorELNS0_4arch9wavefront6targetE0EEEvSY_.uses_vcc, 0
	.set _ZN7rocprim17ROCPRIM_400000_NS6detail17trampoline_kernelINS0_13select_configILj256ELj13ELNS0_17block_load_methodE3ELS4_3ELS4_3ELNS0_20block_scan_algorithmE0ELj4294967295EEENS1_25partition_config_selectorILNS1_17partition_subalgoE3EjNS0_10empty_typeEbEEZZNS1_14partition_implILS8_3ELb0ES6_jNS0_17counting_iteratorIjlEEPS9_SE_NS0_5tupleIJPjSE_EEENSF_IJSE_SE_EEES9_SG_JZNS1_25segmented_radix_sort_implINS0_14default_configELb1EPKhPhPKlPlN2at6native12_GLOBAL__N_18offset_tEEE10hipError_tPvRmT1_PNSt15iterator_traitsISY_E10value_typeET2_T3_PNSZ_IS14_E10value_typeET4_jRbjT5_S1A_jjP12ihipStream_tbEUljE_EEESV_SW_SX_S14_S18_S1A_T6_T7_T9_mT8_S1C_bDpT10_ENKUlT_T0_E_clISt17integral_constantIbLb0EES1P_EEDaS1K_S1L_EUlS1K_E_NS1_11comp_targetILNS1_3genE0ELNS1_11target_archE4294967295ELNS1_3gpuE0ELNS1_3repE0EEENS1_30default_config_static_selectorELNS0_4arch9wavefront6targetE0EEEvSY_.uses_flat_scratch, 0
	.set _ZN7rocprim17ROCPRIM_400000_NS6detail17trampoline_kernelINS0_13select_configILj256ELj13ELNS0_17block_load_methodE3ELS4_3ELS4_3ELNS0_20block_scan_algorithmE0ELj4294967295EEENS1_25partition_config_selectorILNS1_17partition_subalgoE3EjNS0_10empty_typeEbEEZZNS1_14partition_implILS8_3ELb0ES6_jNS0_17counting_iteratorIjlEEPS9_SE_NS0_5tupleIJPjSE_EEENSF_IJSE_SE_EEES9_SG_JZNS1_25segmented_radix_sort_implINS0_14default_configELb1EPKhPhPKlPlN2at6native12_GLOBAL__N_18offset_tEEE10hipError_tPvRmT1_PNSt15iterator_traitsISY_E10value_typeET2_T3_PNSZ_IS14_E10value_typeET4_jRbjT5_S1A_jjP12ihipStream_tbEUljE_EEESV_SW_SX_S14_S18_S1A_T6_T7_T9_mT8_S1C_bDpT10_ENKUlT_T0_E_clISt17integral_constantIbLb0EES1P_EEDaS1K_S1L_EUlS1K_E_NS1_11comp_targetILNS1_3genE0ELNS1_11target_archE4294967295ELNS1_3gpuE0ELNS1_3repE0EEENS1_30default_config_static_selectorELNS0_4arch9wavefront6targetE0EEEvSY_.has_dyn_sized_stack, 0
	.set _ZN7rocprim17ROCPRIM_400000_NS6detail17trampoline_kernelINS0_13select_configILj256ELj13ELNS0_17block_load_methodE3ELS4_3ELS4_3ELNS0_20block_scan_algorithmE0ELj4294967295EEENS1_25partition_config_selectorILNS1_17partition_subalgoE3EjNS0_10empty_typeEbEEZZNS1_14partition_implILS8_3ELb0ES6_jNS0_17counting_iteratorIjlEEPS9_SE_NS0_5tupleIJPjSE_EEENSF_IJSE_SE_EEES9_SG_JZNS1_25segmented_radix_sort_implINS0_14default_configELb1EPKhPhPKlPlN2at6native12_GLOBAL__N_18offset_tEEE10hipError_tPvRmT1_PNSt15iterator_traitsISY_E10value_typeET2_T3_PNSZ_IS14_E10value_typeET4_jRbjT5_S1A_jjP12ihipStream_tbEUljE_EEESV_SW_SX_S14_S18_S1A_T6_T7_T9_mT8_S1C_bDpT10_ENKUlT_T0_E_clISt17integral_constantIbLb0EES1P_EEDaS1K_S1L_EUlS1K_E_NS1_11comp_targetILNS1_3genE0ELNS1_11target_archE4294967295ELNS1_3gpuE0ELNS1_3repE0EEENS1_30default_config_static_selectorELNS0_4arch9wavefront6targetE0EEEvSY_.has_recursion, 0
	.set _ZN7rocprim17ROCPRIM_400000_NS6detail17trampoline_kernelINS0_13select_configILj256ELj13ELNS0_17block_load_methodE3ELS4_3ELS4_3ELNS0_20block_scan_algorithmE0ELj4294967295EEENS1_25partition_config_selectorILNS1_17partition_subalgoE3EjNS0_10empty_typeEbEEZZNS1_14partition_implILS8_3ELb0ES6_jNS0_17counting_iteratorIjlEEPS9_SE_NS0_5tupleIJPjSE_EEENSF_IJSE_SE_EEES9_SG_JZNS1_25segmented_radix_sort_implINS0_14default_configELb1EPKhPhPKlPlN2at6native12_GLOBAL__N_18offset_tEEE10hipError_tPvRmT1_PNSt15iterator_traitsISY_E10value_typeET2_T3_PNSZ_IS14_E10value_typeET4_jRbjT5_S1A_jjP12ihipStream_tbEUljE_EEESV_SW_SX_S14_S18_S1A_T6_T7_T9_mT8_S1C_bDpT10_ENKUlT_T0_E_clISt17integral_constantIbLb0EES1P_EEDaS1K_S1L_EUlS1K_E_NS1_11comp_targetILNS1_3genE0ELNS1_11target_archE4294967295ELNS1_3gpuE0ELNS1_3repE0EEENS1_30default_config_static_selectorELNS0_4arch9wavefront6targetE0EEEvSY_.has_indirect_call, 0
	.section	.AMDGPU.csdata,"",@progbits
; Kernel info:
; codeLenInByte = 0
; TotalNumSgprs: 0
; NumVgprs: 0
; ScratchSize: 0
; MemoryBound: 0
; FloatMode: 240
; IeeeMode: 1
; LDSByteSize: 0 bytes/workgroup (compile time only)
; SGPRBlocks: 0
; VGPRBlocks: 0
; NumSGPRsForWavesPerEU: 1
; NumVGPRsForWavesPerEU: 1
; Occupancy: 16
; WaveLimiterHint : 0
; COMPUTE_PGM_RSRC2:SCRATCH_EN: 0
; COMPUTE_PGM_RSRC2:USER_SGPR: 6
; COMPUTE_PGM_RSRC2:TRAP_HANDLER: 0
; COMPUTE_PGM_RSRC2:TGID_X_EN: 1
; COMPUTE_PGM_RSRC2:TGID_Y_EN: 0
; COMPUTE_PGM_RSRC2:TGID_Z_EN: 0
; COMPUTE_PGM_RSRC2:TIDIG_COMP_CNT: 0
	.section	.text._ZN7rocprim17ROCPRIM_400000_NS6detail17trampoline_kernelINS0_13select_configILj256ELj13ELNS0_17block_load_methodE3ELS4_3ELS4_3ELNS0_20block_scan_algorithmE0ELj4294967295EEENS1_25partition_config_selectorILNS1_17partition_subalgoE3EjNS0_10empty_typeEbEEZZNS1_14partition_implILS8_3ELb0ES6_jNS0_17counting_iteratorIjlEEPS9_SE_NS0_5tupleIJPjSE_EEENSF_IJSE_SE_EEES9_SG_JZNS1_25segmented_radix_sort_implINS0_14default_configELb1EPKhPhPKlPlN2at6native12_GLOBAL__N_18offset_tEEE10hipError_tPvRmT1_PNSt15iterator_traitsISY_E10value_typeET2_T3_PNSZ_IS14_E10value_typeET4_jRbjT5_S1A_jjP12ihipStream_tbEUljE_EEESV_SW_SX_S14_S18_S1A_T6_T7_T9_mT8_S1C_bDpT10_ENKUlT_T0_E_clISt17integral_constantIbLb0EES1P_EEDaS1K_S1L_EUlS1K_E_NS1_11comp_targetILNS1_3genE5ELNS1_11target_archE942ELNS1_3gpuE9ELNS1_3repE0EEENS1_30default_config_static_selectorELNS0_4arch9wavefront6targetE0EEEvSY_,"axG",@progbits,_ZN7rocprim17ROCPRIM_400000_NS6detail17trampoline_kernelINS0_13select_configILj256ELj13ELNS0_17block_load_methodE3ELS4_3ELS4_3ELNS0_20block_scan_algorithmE0ELj4294967295EEENS1_25partition_config_selectorILNS1_17partition_subalgoE3EjNS0_10empty_typeEbEEZZNS1_14partition_implILS8_3ELb0ES6_jNS0_17counting_iteratorIjlEEPS9_SE_NS0_5tupleIJPjSE_EEENSF_IJSE_SE_EEES9_SG_JZNS1_25segmented_radix_sort_implINS0_14default_configELb1EPKhPhPKlPlN2at6native12_GLOBAL__N_18offset_tEEE10hipError_tPvRmT1_PNSt15iterator_traitsISY_E10value_typeET2_T3_PNSZ_IS14_E10value_typeET4_jRbjT5_S1A_jjP12ihipStream_tbEUljE_EEESV_SW_SX_S14_S18_S1A_T6_T7_T9_mT8_S1C_bDpT10_ENKUlT_T0_E_clISt17integral_constantIbLb0EES1P_EEDaS1K_S1L_EUlS1K_E_NS1_11comp_targetILNS1_3genE5ELNS1_11target_archE942ELNS1_3gpuE9ELNS1_3repE0EEENS1_30default_config_static_selectorELNS0_4arch9wavefront6targetE0EEEvSY_,comdat
	.globl	_ZN7rocprim17ROCPRIM_400000_NS6detail17trampoline_kernelINS0_13select_configILj256ELj13ELNS0_17block_load_methodE3ELS4_3ELS4_3ELNS0_20block_scan_algorithmE0ELj4294967295EEENS1_25partition_config_selectorILNS1_17partition_subalgoE3EjNS0_10empty_typeEbEEZZNS1_14partition_implILS8_3ELb0ES6_jNS0_17counting_iteratorIjlEEPS9_SE_NS0_5tupleIJPjSE_EEENSF_IJSE_SE_EEES9_SG_JZNS1_25segmented_radix_sort_implINS0_14default_configELb1EPKhPhPKlPlN2at6native12_GLOBAL__N_18offset_tEEE10hipError_tPvRmT1_PNSt15iterator_traitsISY_E10value_typeET2_T3_PNSZ_IS14_E10value_typeET4_jRbjT5_S1A_jjP12ihipStream_tbEUljE_EEESV_SW_SX_S14_S18_S1A_T6_T7_T9_mT8_S1C_bDpT10_ENKUlT_T0_E_clISt17integral_constantIbLb0EES1P_EEDaS1K_S1L_EUlS1K_E_NS1_11comp_targetILNS1_3genE5ELNS1_11target_archE942ELNS1_3gpuE9ELNS1_3repE0EEENS1_30default_config_static_selectorELNS0_4arch9wavefront6targetE0EEEvSY_ ; -- Begin function _ZN7rocprim17ROCPRIM_400000_NS6detail17trampoline_kernelINS0_13select_configILj256ELj13ELNS0_17block_load_methodE3ELS4_3ELS4_3ELNS0_20block_scan_algorithmE0ELj4294967295EEENS1_25partition_config_selectorILNS1_17partition_subalgoE3EjNS0_10empty_typeEbEEZZNS1_14partition_implILS8_3ELb0ES6_jNS0_17counting_iteratorIjlEEPS9_SE_NS0_5tupleIJPjSE_EEENSF_IJSE_SE_EEES9_SG_JZNS1_25segmented_radix_sort_implINS0_14default_configELb1EPKhPhPKlPlN2at6native12_GLOBAL__N_18offset_tEEE10hipError_tPvRmT1_PNSt15iterator_traitsISY_E10value_typeET2_T3_PNSZ_IS14_E10value_typeET4_jRbjT5_S1A_jjP12ihipStream_tbEUljE_EEESV_SW_SX_S14_S18_S1A_T6_T7_T9_mT8_S1C_bDpT10_ENKUlT_T0_E_clISt17integral_constantIbLb0EES1P_EEDaS1K_S1L_EUlS1K_E_NS1_11comp_targetILNS1_3genE5ELNS1_11target_archE942ELNS1_3gpuE9ELNS1_3repE0EEENS1_30default_config_static_selectorELNS0_4arch9wavefront6targetE0EEEvSY_
	.p2align	8
	.type	_ZN7rocprim17ROCPRIM_400000_NS6detail17trampoline_kernelINS0_13select_configILj256ELj13ELNS0_17block_load_methodE3ELS4_3ELS4_3ELNS0_20block_scan_algorithmE0ELj4294967295EEENS1_25partition_config_selectorILNS1_17partition_subalgoE3EjNS0_10empty_typeEbEEZZNS1_14partition_implILS8_3ELb0ES6_jNS0_17counting_iteratorIjlEEPS9_SE_NS0_5tupleIJPjSE_EEENSF_IJSE_SE_EEES9_SG_JZNS1_25segmented_radix_sort_implINS0_14default_configELb1EPKhPhPKlPlN2at6native12_GLOBAL__N_18offset_tEEE10hipError_tPvRmT1_PNSt15iterator_traitsISY_E10value_typeET2_T3_PNSZ_IS14_E10value_typeET4_jRbjT5_S1A_jjP12ihipStream_tbEUljE_EEESV_SW_SX_S14_S18_S1A_T6_T7_T9_mT8_S1C_bDpT10_ENKUlT_T0_E_clISt17integral_constantIbLb0EES1P_EEDaS1K_S1L_EUlS1K_E_NS1_11comp_targetILNS1_3genE5ELNS1_11target_archE942ELNS1_3gpuE9ELNS1_3repE0EEENS1_30default_config_static_selectorELNS0_4arch9wavefront6targetE0EEEvSY_,@function
_ZN7rocprim17ROCPRIM_400000_NS6detail17trampoline_kernelINS0_13select_configILj256ELj13ELNS0_17block_load_methodE3ELS4_3ELS4_3ELNS0_20block_scan_algorithmE0ELj4294967295EEENS1_25partition_config_selectorILNS1_17partition_subalgoE3EjNS0_10empty_typeEbEEZZNS1_14partition_implILS8_3ELb0ES6_jNS0_17counting_iteratorIjlEEPS9_SE_NS0_5tupleIJPjSE_EEENSF_IJSE_SE_EEES9_SG_JZNS1_25segmented_radix_sort_implINS0_14default_configELb1EPKhPhPKlPlN2at6native12_GLOBAL__N_18offset_tEEE10hipError_tPvRmT1_PNSt15iterator_traitsISY_E10value_typeET2_T3_PNSZ_IS14_E10value_typeET4_jRbjT5_S1A_jjP12ihipStream_tbEUljE_EEESV_SW_SX_S14_S18_S1A_T6_T7_T9_mT8_S1C_bDpT10_ENKUlT_T0_E_clISt17integral_constantIbLb0EES1P_EEDaS1K_S1L_EUlS1K_E_NS1_11comp_targetILNS1_3genE5ELNS1_11target_archE942ELNS1_3gpuE9ELNS1_3repE0EEENS1_30default_config_static_selectorELNS0_4arch9wavefront6targetE0EEEvSY_: ; @_ZN7rocprim17ROCPRIM_400000_NS6detail17trampoline_kernelINS0_13select_configILj256ELj13ELNS0_17block_load_methodE3ELS4_3ELS4_3ELNS0_20block_scan_algorithmE0ELj4294967295EEENS1_25partition_config_selectorILNS1_17partition_subalgoE3EjNS0_10empty_typeEbEEZZNS1_14partition_implILS8_3ELb0ES6_jNS0_17counting_iteratorIjlEEPS9_SE_NS0_5tupleIJPjSE_EEENSF_IJSE_SE_EEES9_SG_JZNS1_25segmented_radix_sort_implINS0_14default_configELb1EPKhPhPKlPlN2at6native12_GLOBAL__N_18offset_tEEE10hipError_tPvRmT1_PNSt15iterator_traitsISY_E10value_typeET2_T3_PNSZ_IS14_E10value_typeET4_jRbjT5_S1A_jjP12ihipStream_tbEUljE_EEESV_SW_SX_S14_S18_S1A_T6_T7_T9_mT8_S1C_bDpT10_ENKUlT_T0_E_clISt17integral_constantIbLb0EES1P_EEDaS1K_S1L_EUlS1K_E_NS1_11comp_targetILNS1_3genE5ELNS1_11target_archE942ELNS1_3gpuE9ELNS1_3repE0EEENS1_30default_config_static_selectorELNS0_4arch9wavefront6targetE0EEEvSY_
; %bb.0:
	.section	.rodata,"a",@progbits
	.p2align	6, 0x0
	.amdhsa_kernel _ZN7rocprim17ROCPRIM_400000_NS6detail17trampoline_kernelINS0_13select_configILj256ELj13ELNS0_17block_load_methodE3ELS4_3ELS4_3ELNS0_20block_scan_algorithmE0ELj4294967295EEENS1_25partition_config_selectorILNS1_17partition_subalgoE3EjNS0_10empty_typeEbEEZZNS1_14partition_implILS8_3ELb0ES6_jNS0_17counting_iteratorIjlEEPS9_SE_NS0_5tupleIJPjSE_EEENSF_IJSE_SE_EEES9_SG_JZNS1_25segmented_radix_sort_implINS0_14default_configELb1EPKhPhPKlPlN2at6native12_GLOBAL__N_18offset_tEEE10hipError_tPvRmT1_PNSt15iterator_traitsISY_E10value_typeET2_T3_PNSZ_IS14_E10value_typeET4_jRbjT5_S1A_jjP12ihipStream_tbEUljE_EEESV_SW_SX_S14_S18_S1A_T6_T7_T9_mT8_S1C_bDpT10_ENKUlT_T0_E_clISt17integral_constantIbLb0EES1P_EEDaS1K_S1L_EUlS1K_E_NS1_11comp_targetILNS1_3genE5ELNS1_11target_archE942ELNS1_3gpuE9ELNS1_3repE0EEENS1_30default_config_static_selectorELNS0_4arch9wavefront6targetE0EEEvSY_
		.amdhsa_group_segment_fixed_size 0
		.amdhsa_private_segment_fixed_size 0
		.amdhsa_kernarg_size 144
		.amdhsa_user_sgpr_count 6
		.amdhsa_user_sgpr_private_segment_buffer 1
		.amdhsa_user_sgpr_dispatch_ptr 0
		.amdhsa_user_sgpr_queue_ptr 0
		.amdhsa_user_sgpr_kernarg_segment_ptr 1
		.amdhsa_user_sgpr_dispatch_id 0
		.amdhsa_user_sgpr_flat_scratch_init 0
		.amdhsa_user_sgpr_private_segment_size 0
		.amdhsa_wavefront_size32 1
		.amdhsa_uses_dynamic_stack 0
		.amdhsa_system_sgpr_private_segment_wavefront_offset 0
		.amdhsa_system_sgpr_workgroup_id_x 1
		.amdhsa_system_sgpr_workgroup_id_y 0
		.amdhsa_system_sgpr_workgroup_id_z 0
		.amdhsa_system_sgpr_workgroup_info 0
		.amdhsa_system_vgpr_workitem_id 0
		.amdhsa_next_free_vgpr 1
		.amdhsa_next_free_sgpr 1
		.amdhsa_reserve_vcc 0
		.amdhsa_reserve_flat_scratch 0
		.amdhsa_float_round_mode_32 0
		.amdhsa_float_round_mode_16_64 0
		.amdhsa_float_denorm_mode_32 3
		.amdhsa_float_denorm_mode_16_64 3
		.amdhsa_dx10_clamp 1
		.amdhsa_ieee_mode 1
		.amdhsa_fp16_overflow 0
		.amdhsa_workgroup_processor_mode 1
		.amdhsa_memory_ordered 1
		.amdhsa_forward_progress 1
		.amdhsa_shared_vgpr_count 0
		.amdhsa_exception_fp_ieee_invalid_op 0
		.amdhsa_exception_fp_denorm_src 0
		.amdhsa_exception_fp_ieee_div_zero 0
		.amdhsa_exception_fp_ieee_overflow 0
		.amdhsa_exception_fp_ieee_underflow 0
		.amdhsa_exception_fp_ieee_inexact 0
		.amdhsa_exception_int_div_zero 0
	.end_amdhsa_kernel
	.section	.text._ZN7rocprim17ROCPRIM_400000_NS6detail17trampoline_kernelINS0_13select_configILj256ELj13ELNS0_17block_load_methodE3ELS4_3ELS4_3ELNS0_20block_scan_algorithmE0ELj4294967295EEENS1_25partition_config_selectorILNS1_17partition_subalgoE3EjNS0_10empty_typeEbEEZZNS1_14partition_implILS8_3ELb0ES6_jNS0_17counting_iteratorIjlEEPS9_SE_NS0_5tupleIJPjSE_EEENSF_IJSE_SE_EEES9_SG_JZNS1_25segmented_radix_sort_implINS0_14default_configELb1EPKhPhPKlPlN2at6native12_GLOBAL__N_18offset_tEEE10hipError_tPvRmT1_PNSt15iterator_traitsISY_E10value_typeET2_T3_PNSZ_IS14_E10value_typeET4_jRbjT5_S1A_jjP12ihipStream_tbEUljE_EEESV_SW_SX_S14_S18_S1A_T6_T7_T9_mT8_S1C_bDpT10_ENKUlT_T0_E_clISt17integral_constantIbLb0EES1P_EEDaS1K_S1L_EUlS1K_E_NS1_11comp_targetILNS1_3genE5ELNS1_11target_archE942ELNS1_3gpuE9ELNS1_3repE0EEENS1_30default_config_static_selectorELNS0_4arch9wavefront6targetE0EEEvSY_,"axG",@progbits,_ZN7rocprim17ROCPRIM_400000_NS6detail17trampoline_kernelINS0_13select_configILj256ELj13ELNS0_17block_load_methodE3ELS4_3ELS4_3ELNS0_20block_scan_algorithmE0ELj4294967295EEENS1_25partition_config_selectorILNS1_17partition_subalgoE3EjNS0_10empty_typeEbEEZZNS1_14partition_implILS8_3ELb0ES6_jNS0_17counting_iteratorIjlEEPS9_SE_NS0_5tupleIJPjSE_EEENSF_IJSE_SE_EEES9_SG_JZNS1_25segmented_radix_sort_implINS0_14default_configELb1EPKhPhPKlPlN2at6native12_GLOBAL__N_18offset_tEEE10hipError_tPvRmT1_PNSt15iterator_traitsISY_E10value_typeET2_T3_PNSZ_IS14_E10value_typeET4_jRbjT5_S1A_jjP12ihipStream_tbEUljE_EEESV_SW_SX_S14_S18_S1A_T6_T7_T9_mT8_S1C_bDpT10_ENKUlT_T0_E_clISt17integral_constantIbLb0EES1P_EEDaS1K_S1L_EUlS1K_E_NS1_11comp_targetILNS1_3genE5ELNS1_11target_archE942ELNS1_3gpuE9ELNS1_3repE0EEENS1_30default_config_static_selectorELNS0_4arch9wavefront6targetE0EEEvSY_,comdat
.Lfunc_end49:
	.size	_ZN7rocprim17ROCPRIM_400000_NS6detail17trampoline_kernelINS0_13select_configILj256ELj13ELNS0_17block_load_methodE3ELS4_3ELS4_3ELNS0_20block_scan_algorithmE0ELj4294967295EEENS1_25partition_config_selectorILNS1_17partition_subalgoE3EjNS0_10empty_typeEbEEZZNS1_14partition_implILS8_3ELb0ES6_jNS0_17counting_iteratorIjlEEPS9_SE_NS0_5tupleIJPjSE_EEENSF_IJSE_SE_EEES9_SG_JZNS1_25segmented_radix_sort_implINS0_14default_configELb1EPKhPhPKlPlN2at6native12_GLOBAL__N_18offset_tEEE10hipError_tPvRmT1_PNSt15iterator_traitsISY_E10value_typeET2_T3_PNSZ_IS14_E10value_typeET4_jRbjT5_S1A_jjP12ihipStream_tbEUljE_EEESV_SW_SX_S14_S18_S1A_T6_T7_T9_mT8_S1C_bDpT10_ENKUlT_T0_E_clISt17integral_constantIbLb0EES1P_EEDaS1K_S1L_EUlS1K_E_NS1_11comp_targetILNS1_3genE5ELNS1_11target_archE942ELNS1_3gpuE9ELNS1_3repE0EEENS1_30default_config_static_selectorELNS0_4arch9wavefront6targetE0EEEvSY_, .Lfunc_end49-_ZN7rocprim17ROCPRIM_400000_NS6detail17trampoline_kernelINS0_13select_configILj256ELj13ELNS0_17block_load_methodE3ELS4_3ELS4_3ELNS0_20block_scan_algorithmE0ELj4294967295EEENS1_25partition_config_selectorILNS1_17partition_subalgoE3EjNS0_10empty_typeEbEEZZNS1_14partition_implILS8_3ELb0ES6_jNS0_17counting_iteratorIjlEEPS9_SE_NS0_5tupleIJPjSE_EEENSF_IJSE_SE_EEES9_SG_JZNS1_25segmented_radix_sort_implINS0_14default_configELb1EPKhPhPKlPlN2at6native12_GLOBAL__N_18offset_tEEE10hipError_tPvRmT1_PNSt15iterator_traitsISY_E10value_typeET2_T3_PNSZ_IS14_E10value_typeET4_jRbjT5_S1A_jjP12ihipStream_tbEUljE_EEESV_SW_SX_S14_S18_S1A_T6_T7_T9_mT8_S1C_bDpT10_ENKUlT_T0_E_clISt17integral_constantIbLb0EES1P_EEDaS1K_S1L_EUlS1K_E_NS1_11comp_targetILNS1_3genE5ELNS1_11target_archE942ELNS1_3gpuE9ELNS1_3repE0EEENS1_30default_config_static_selectorELNS0_4arch9wavefront6targetE0EEEvSY_
                                        ; -- End function
	.set _ZN7rocprim17ROCPRIM_400000_NS6detail17trampoline_kernelINS0_13select_configILj256ELj13ELNS0_17block_load_methodE3ELS4_3ELS4_3ELNS0_20block_scan_algorithmE0ELj4294967295EEENS1_25partition_config_selectorILNS1_17partition_subalgoE3EjNS0_10empty_typeEbEEZZNS1_14partition_implILS8_3ELb0ES6_jNS0_17counting_iteratorIjlEEPS9_SE_NS0_5tupleIJPjSE_EEENSF_IJSE_SE_EEES9_SG_JZNS1_25segmented_radix_sort_implINS0_14default_configELb1EPKhPhPKlPlN2at6native12_GLOBAL__N_18offset_tEEE10hipError_tPvRmT1_PNSt15iterator_traitsISY_E10value_typeET2_T3_PNSZ_IS14_E10value_typeET4_jRbjT5_S1A_jjP12ihipStream_tbEUljE_EEESV_SW_SX_S14_S18_S1A_T6_T7_T9_mT8_S1C_bDpT10_ENKUlT_T0_E_clISt17integral_constantIbLb0EES1P_EEDaS1K_S1L_EUlS1K_E_NS1_11comp_targetILNS1_3genE5ELNS1_11target_archE942ELNS1_3gpuE9ELNS1_3repE0EEENS1_30default_config_static_selectorELNS0_4arch9wavefront6targetE0EEEvSY_.num_vgpr, 0
	.set _ZN7rocprim17ROCPRIM_400000_NS6detail17trampoline_kernelINS0_13select_configILj256ELj13ELNS0_17block_load_methodE3ELS4_3ELS4_3ELNS0_20block_scan_algorithmE0ELj4294967295EEENS1_25partition_config_selectorILNS1_17partition_subalgoE3EjNS0_10empty_typeEbEEZZNS1_14partition_implILS8_3ELb0ES6_jNS0_17counting_iteratorIjlEEPS9_SE_NS0_5tupleIJPjSE_EEENSF_IJSE_SE_EEES9_SG_JZNS1_25segmented_radix_sort_implINS0_14default_configELb1EPKhPhPKlPlN2at6native12_GLOBAL__N_18offset_tEEE10hipError_tPvRmT1_PNSt15iterator_traitsISY_E10value_typeET2_T3_PNSZ_IS14_E10value_typeET4_jRbjT5_S1A_jjP12ihipStream_tbEUljE_EEESV_SW_SX_S14_S18_S1A_T6_T7_T9_mT8_S1C_bDpT10_ENKUlT_T0_E_clISt17integral_constantIbLb0EES1P_EEDaS1K_S1L_EUlS1K_E_NS1_11comp_targetILNS1_3genE5ELNS1_11target_archE942ELNS1_3gpuE9ELNS1_3repE0EEENS1_30default_config_static_selectorELNS0_4arch9wavefront6targetE0EEEvSY_.num_agpr, 0
	.set _ZN7rocprim17ROCPRIM_400000_NS6detail17trampoline_kernelINS0_13select_configILj256ELj13ELNS0_17block_load_methodE3ELS4_3ELS4_3ELNS0_20block_scan_algorithmE0ELj4294967295EEENS1_25partition_config_selectorILNS1_17partition_subalgoE3EjNS0_10empty_typeEbEEZZNS1_14partition_implILS8_3ELb0ES6_jNS0_17counting_iteratorIjlEEPS9_SE_NS0_5tupleIJPjSE_EEENSF_IJSE_SE_EEES9_SG_JZNS1_25segmented_radix_sort_implINS0_14default_configELb1EPKhPhPKlPlN2at6native12_GLOBAL__N_18offset_tEEE10hipError_tPvRmT1_PNSt15iterator_traitsISY_E10value_typeET2_T3_PNSZ_IS14_E10value_typeET4_jRbjT5_S1A_jjP12ihipStream_tbEUljE_EEESV_SW_SX_S14_S18_S1A_T6_T7_T9_mT8_S1C_bDpT10_ENKUlT_T0_E_clISt17integral_constantIbLb0EES1P_EEDaS1K_S1L_EUlS1K_E_NS1_11comp_targetILNS1_3genE5ELNS1_11target_archE942ELNS1_3gpuE9ELNS1_3repE0EEENS1_30default_config_static_selectorELNS0_4arch9wavefront6targetE0EEEvSY_.numbered_sgpr, 0
	.set _ZN7rocprim17ROCPRIM_400000_NS6detail17trampoline_kernelINS0_13select_configILj256ELj13ELNS0_17block_load_methodE3ELS4_3ELS4_3ELNS0_20block_scan_algorithmE0ELj4294967295EEENS1_25partition_config_selectorILNS1_17partition_subalgoE3EjNS0_10empty_typeEbEEZZNS1_14partition_implILS8_3ELb0ES6_jNS0_17counting_iteratorIjlEEPS9_SE_NS0_5tupleIJPjSE_EEENSF_IJSE_SE_EEES9_SG_JZNS1_25segmented_radix_sort_implINS0_14default_configELb1EPKhPhPKlPlN2at6native12_GLOBAL__N_18offset_tEEE10hipError_tPvRmT1_PNSt15iterator_traitsISY_E10value_typeET2_T3_PNSZ_IS14_E10value_typeET4_jRbjT5_S1A_jjP12ihipStream_tbEUljE_EEESV_SW_SX_S14_S18_S1A_T6_T7_T9_mT8_S1C_bDpT10_ENKUlT_T0_E_clISt17integral_constantIbLb0EES1P_EEDaS1K_S1L_EUlS1K_E_NS1_11comp_targetILNS1_3genE5ELNS1_11target_archE942ELNS1_3gpuE9ELNS1_3repE0EEENS1_30default_config_static_selectorELNS0_4arch9wavefront6targetE0EEEvSY_.num_named_barrier, 0
	.set _ZN7rocprim17ROCPRIM_400000_NS6detail17trampoline_kernelINS0_13select_configILj256ELj13ELNS0_17block_load_methodE3ELS4_3ELS4_3ELNS0_20block_scan_algorithmE0ELj4294967295EEENS1_25partition_config_selectorILNS1_17partition_subalgoE3EjNS0_10empty_typeEbEEZZNS1_14partition_implILS8_3ELb0ES6_jNS0_17counting_iteratorIjlEEPS9_SE_NS0_5tupleIJPjSE_EEENSF_IJSE_SE_EEES9_SG_JZNS1_25segmented_radix_sort_implINS0_14default_configELb1EPKhPhPKlPlN2at6native12_GLOBAL__N_18offset_tEEE10hipError_tPvRmT1_PNSt15iterator_traitsISY_E10value_typeET2_T3_PNSZ_IS14_E10value_typeET4_jRbjT5_S1A_jjP12ihipStream_tbEUljE_EEESV_SW_SX_S14_S18_S1A_T6_T7_T9_mT8_S1C_bDpT10_ENKUlT_T0_E_clISt17integral_constantIbLb0EES1P_EEDaS1K_S1L_EUlS1K_E_NS1_11comp_targetILNS1_3genE5ELNS1_11target_archE942ELNS1_3gpuE9ELNS1_3repE0EEENS1_30default_config_static_selectorELNS0_4arch9wavefront6targetE0EEEvSY_.private_seg_size, 0
	.set _ZN7rocprim17ROCPRIM_400000_NS6detail17trampoline_kernelINS0_13select_configILj256ELj13ELNS0_17block_load_methodE3ELS4_3ELS4_3ELNS0_20block_scan_algorithmE0ELj4294967295EEENS1_25partition_config_selectorILNS1_17partition_subalgoE3EjNS0_10empty_typeEbEEZZNS1_14partition_implILS8_3ELb0ES6_jNS0_17counting_iteratorIjlEEPS9_SE_NS0_5tupleIJPjSE_EEENSF_IJSE_SE_EEES9_SG_JZNS1_25segmented_radix_sort_implINS0_14default_configELb1EPKhPhPKlPlN2at6native12_GLOBAL__N_18offset_tEEE10hipError_tPvRmT1_PNSt15iterator_traitsISY_E10value_typeET2_T3_PNSZ_IS14_E10value_typeET4_jRbjT5_S1A_jjP12ihipStream_tbEUljE_EEESV_SW_SX_S14_S18_S1A_T6_T7_T9_mT8_S1C_bDpT10_ENKUlT_T0_E_clISt17integral_constantIbLb0EES1P_EEDaS1K_S1L_EUlS1K_E_NS1_11comp_targetILNS1_3genE5ELNS1_11target_archE942ELNS1_3gpuE9ELNS1_3repE0EEENS1_30default_config_static_selectorELNS0_4arch9wavefront6targetE0EEEvSY_.uses_vcc, 0
	.set _ZN7rocprim17ROCPRIM_400000_NS6detail17trampoline_kernelINS0_13select_configILj256ELj13ELNS0_17block_load_methodE3ELS4_3ELS4_3ELNS0_20block_scan_algorithmE0ELj4294967295EEENS1_25partition_config_selectorILNS1_17partition_subalgoE3EjNS0_10empty_typeEbEEZZNS1_14partition_implILS8_3ELb0ES6_jNS0_17counting_iteratorIjlEEPS9_SE_NS0_5tupleIJPjSE_EEENSF_IJSE_SE_EEES9_SG_JZNS1_25segmented_radix_sort_implINS0_14default_configELb1EPKhPhPKlPlN2at6native12_GLOBAL__N_18offset_tEEE10hipError_tPvRmT1_PNSt15iterator_traitsISY_E10value_typeET2_T3_PNSZ_IS14_E10value_typeET4_jRbjT5_S1A_jjP12ihipStream_tbEUljE_EEESV_SW_SX_S14_S18_S1A_T6_T7_T9_mT8_S1C_bDpT10_ENKUlT_T0_E_clISt17integral_constantIbLb0EES1P_EEDaS1K_S1L_EUlS1K_E_NS1_11comp_targetILNS1_3genE5ELNS1_11target_archE942ELNS1_3gpuE9ELNS1_3repE0EEENS1_30default_config_static_selectorELNS0_4arch9wavefront6targetE0EEEvSY_.uses_flat_scratch, 0
	.set _ZN7rocprim17ROCPRIM_400000_NS6detail17trampoline_kernelINS0_13select_configILj256ELj13ELNS0_17block_load_methodE3ELS4_3ELS4_3ELNS0_20block_scan_algorithmE0ELj4294967295EEENS1_25partition_config_selectorILNS1_17partition_subalgoE3EjNS0_10empty_typeEbEEZZNS1_14partition_implILS8_3ELb0ES6_jNS0_17counting_iteratorIjlEEPS9_SE_NS0_5tupleIJPjSE_EEENSF_IJSE_SE_EEES9_SG_JZNS1_25segmented_radix_sort_implINS0_14default_configELb1EPKhPhPKlPlN2at6native12_GLOBAL__N_18offset_tEEE10hipError_tPvRmT1_PNSt15iterator_traitsISY_E10value_typeET2_T3_PNSZ_IS14_E10value_typeET4_jRbjT5_S1A_jjP12ihipStream_tbEUljE_EEESV_SW_SX_S14_S18_S1A_T6_T7_T9_mT8_S1C_bDpT10_ENKUlT_T0_E_clISt17integral_constantIbLb0EES1P_EEDaS1K_S1L_EUlS1K_E_NS1_11comp_targetILNS1_3genE5ELNS1_11target_archE942ELNS1_3gpuE9ELNS1_3repE0EEENS1_30default_config_static_selectorELNS0_4arch9wavefront6targetE0EEEvSY_.has_dyn_sized_stack, 0
	.set _ZN7rocprim17ROCPRIM_400000_NS6detail17trampoline_kernelINS0_13select_configILj256ELj13ELNS0_17block_load_methodE3ELS4_3ELS4_3ELNS0_20block_scan_algorithmE0ELj4294967295EEENS1_25partition_config_selectorILNS1_17partition_subalgoE3EjNS0_10empty_typeEbEEZZNS1_14partition_implILS8_3ELb0ES6_jNS0_17counting_iteratorIjlEEPS9_SE_NS0_5tupleIJPjSE_EEENSF_IJSE_SE_EEES9_SG_JZNS1_25segmented_radix_sort_implINS0_14default_configELb1EPKhPhPKlPlN2at6native12_GLOBAL__N_18offset_tEEE10hipError_tPvRmT1_PNSt15iterator_traitsISY_E10value_typeET2_T3_PNSZ_IS14_E10value_typeET4_jRbjT5_S1A_jjP12ihipStream_tbEUljE_EEESV_SW_SX_S14_S18_S1A_T6_T7_T9_mT8_S1C_bDpT10_ENKUlT_T0_E_clISt17integral_constantIbLb0EES1P_EEDaS1K_S1L_EUlS1K_E_NS1_11comp_targetILNS1_3genE5ELNS1_11target_archE942ELNS1_3gpuE9ELNS1_3repE0EEENS1_30default_config_static_selectorELNS0_4arch9wavefront6targetE0EEEvSY_.has_recursion, 0
	.set _ZN7rocprim17ROCPRIM_400000_NS6detail17trampoline_kernelINS0_13select_configILj256ELj13ELNS0_17block_load_methodE3ELS4_3ELS4_3ELNS0_20block_scan_algorithmE0ELj4294967295EEENS1_25partition_config_selectorILNS1_17partition_subalgoE3EjNS0_10empty_typeEbEEZZNS1_14partition_implILS8_3ELb0ES6_jNS0_17counting_iteratorIjlEEPS9_SE_NS0_5tupleIJPjSE_EEENSF_IJSE_SE_EEES9_SG_JZNS1_25segmented_radix_sort_implINS0_14default_configELb1EPKhPhPKlPlN2at6native12_GLOBAL__N_18offset_tEEE10hipError_tPvRmT1_PNSt15iterator_traitsISY_E10value_typeET2_T3_PNSZ_IS14_E10value_typeET4_jRbjT5_S1A_jjP12ihipStream_tbEUljE_EEESV_SW_SX_S14_S18_S1A_T6_T7_T9_mT8_S1C_bDpT10_ENKUlT_T0_E_clISt17integral_constantIbLb0EES1P_EEDaS1K_S1L_EUlS1K_E_NS1_11comp_targetILNS1_3genE5ELNS1_11target_archE942ELNS1_3gpuE9ELNS1_3repE0EEENS1_30default_config_static_selectorELNS0_4arch9wavefront6targetE0EEEvSY_.has_indirect_call, 0
	.section	.AMDGPU.csdata,"",@progbits
; Kernel info:
; codeLenInByte = 0
; TotalNumSgprs: 0
; NumVgprs: 0
; ScratchSize: 0
; MemoryBound: 0
; FloatMode: 240
; IeeeMode: 1
; LDSByteSize: 0 bytes/workgroup (compile time only)
; SGPRBlocks: 0
; VGPRBlocks: 0
; NumSGPRsForWavesPerEU: 1
; NumVGPRsForWavesPerEU: 1
; Occupancy: 16
; WaveLimiterHint : 0
; COMPUTE_PGM_RSRC2:SCRATCH_EN: 0
; COMPUTE_PGM_RSRC2:USER_SGPR: 6
; COMPUTE_PGM_RSRC2:TRAP_HANDLER: 0
; COMPUTE_PGM_RSRC2:TGID_X_EN: 1
; COMPUTE_PGM_RSRC2:TGID_Y_EN: 0
; COMPUTE_PGM_RSRC2:TGID_Z_EN: 0
; COMPUTE_PGM_RSRC2:TIDIG_COMP_CNT: 0
	.section	.text._ZN7rocprim17ROCPRIM_400000_NS6detail17trampoline_kernelINS0_13select_configILj256ELj13ELNS0_17block_load_methodE3ELS4_3ELS4_3ELNS0_20block_scan_algorithmE0ELj4294967295EEENS1_25partition_config_selectorILNS1_17partition_subalgoE3EjNS0_10empty_typeEbEEZZNS1_14partition_implILS8_3ELb0ES6_jNS0_17counting_iteratorIjlEEPS9_SE_NS0_5tupleIJPjSE_EEENSF_IJSE_SE_EEES9_SG_JZNS1_25segmented_radix_sort_implINS0_14default_configELb1EPKhPhPKlPlN2at6native12_GLOBAL__N_18offset_tEEE10hipError_tPvRmT1_PNSt15iterator_traitsISY_E10value_typeET2_T3_PNSZ_IS14_E10value_typeET4_jRbjT5_S1A_jjP12ihipStream_tbEUljE_EEESV_SW_SX_S14_S18_S1A_T6_T7_T9_mT8_S1C_bDpT10_ENKUlT_T0_E_clISt17integral_constantIbLb0EES1P_EEDaS1K_S1L_EUlS1K_E_NS1_11comp_targetILNS1_3genE4ELNS1_11target_archE910ELNS1_3gpuE8ELNS1_3repE0EEENS1_30default_config_static_selectorELNS0_4arch9wavefront6targetE0EEEvSY_,"axG",@progbits,_ZN7rocprim17ROCPRIM_400000_NS6detail17trampoline_kernelINS0_13select_configILj256ELj13ELNS0_17block_load_methodE3ELS4_3ELS4_3ELNS0_20block_scan_algorithmE0ELj4294967295EEENS1_25partition_config_selectorILNS1_17partition_subalgoE3EjNS0_10empty_typeEbEEZZNS1_14partition_implILS8_3ELb0ES6_jNS0_17counting_iteratorIjlEEPS9_SE_NS0_5tupleIJPjSE_EEENSF_IJSE_SE_EEES9_SG_JZNS1_25segmented_radix_sort_implINS0_14default_configELb1EPKhPhPKlPlN2at6native12_GLOBAL__N_18offset_tEEE10hipError_tPvRmT1_PNSt15iterator_traitsISY_E10value_typeET2_T3_PNSZ_IS14_E10value_typeET4_jRbjT5_S1A_jjP12ihipStream_tbEUljE_EEESV_SW_SX_S14_S18_S1A_T6_T7_T9_mT8_S1C_bDpT10_ENKUlT_T0_E_clISt17integral_constantIbLb0EES1P_EEDaS1K_S1L_EUlS1K_E_NS1_11comp_targetILNS1_3genE4ELNS1_11target_archE910ELNS1_3gpuE8ELNS1_3repE0EEENS1_30default_config_static_selectorELNS0_4arch9wavefront6targetE0EEEvSY_,comdat
	.globl	_ZN7rocprim17ROCPRIM_400000_NS6detail17trampoline_kernelINS0_13select_configILj256ELj13ELNS0_17block_load_methodE3ELS4_3ELS4_3ELNS0_20block_scan_algorithmE0ELj4294967295EEENS1_25partition_config_selectorILNS1_17partition_subalgoE3EjNS0_10empty_typeEbEEZZNS1_14partition_implILS8_3ELb0ES6_jNS0_17counting_iteratorIjlEEPS9_SE_NS0_5tupleIJPjSE_EEENSF_IJSE_SE_EEES9_SG_JZNS1_25segmented_radix_sort_implINS0_14default_configELb1EPKhPhPKlPlN2at6native12_GLOBAL__N_18offset_tEEE10hipError_tPvRmT1_PNSt15iterator_traitsISY_E10value_typeET2_T3_PNSZ_IS14_E10value_typeET4_jRbjT5_S1A_jjP12ihipStream_tbEUljE_EEESV_SW_SX_S14_S18_S1A_T6_T7_T9_mT8_S1C_bDpT10_ENKUlT_T0_E_clISt17integral_constantIbLb0EES1P_EEDaS1K_S1L_EUlS1K_E_NS1_11comp_targetILNS1_3genE4ELNS1_11target_archE910ELNS1_3gpuE8ELNS1_3repE0EEENS1_30default_config_static_selectorELNS0_4arch9wavefront6targetE0EEEvSY_ ; -- Begin function _ZN7rocprim17ROCPRIM_400000_NS6detail17trampoline_kernelINS0_13select_configILj256ELj13ELNS0_17block_load_methodE3ELS4_3ELS4_3ELNS0_20block_scan_algorithmE0ELj4294967295EEENS1_25partition_config_selectorILNS1_17partition_subalgoE3EjNS0_10empty_typeEbEEZZNS1_14partition_implILS8_3ELb0ES6_jNS0_17counting_iteratorIjlEEPS9_SE_NS0_5tupleIJPjSE_EEENSF_IJSE_SE_EEES9_SG_JZNS1_25segmented_radix_sort_implINS0_14default_configELb1EPKhPhPKlPlN2at6native12_GLOBAL__N_18offset_tEEE10hipError_tPvRmT1_PNSt15iterator_traitsISY_E10value_typeET2_T3_PNSZ_IS14_E10value_typeET4_jRbjT5_S1A_jjP12ihipStream_tbEUljE_EEESV_SW_SX_S14_S18_S1A_T6_T7_T9_mT8_S1C_bDpT10_ENKUlT_T0_E_clISt17integral_constantIbLb0EES1P_EEDaS1K_S1L_EUlS1K_E_NS1_11comp_targetILNS1_3genE4ELNS1_11target_archE910ELNS1_3gpuE8ELNS1_3repE0EEENS1_30default_config_static_selectorELNS0_4arch9wavefront6targetE0EEEvSY_
	.p2align	8
	.type	_ZN7rocprim17ROCPRIM_400000_NS6detail17trampoline_kernelINS0_13select_configILj256ELj13ELNS0_17block_load_methodE3ELS4_3ELS4_3ELNS0_20block_scan_algorithmE0ELj4294967295EEENS1_25partition_config_selectorILNS1_17partition_subalgoE3EjNS0_10empty_typeEbEEZZNS1_14partition_implILS8_3ELb0ES6_jNS0_17counting_iteratorIjlEEPS9_SE_NS0_5tupleIJPjSE_EEENSF_IJSE_SE_EEES9_SG_JZNS1_25segmented_radix_sort_implINS0_14default_configELb1EPKhPhPKlPlN2at6native12_GLOBAL__N_18offset_tEEE10hipError_tPvRmT1_PNSt15iterator_traitsISY_E10value_typeET2_T3_PNSZ_IS14_E10value_typeET4_jRbjT5_S1A_jjP12ihipStream_tbEUljE_EEESV_SW_SX_S14_S18_S1A_T6_T7_T9_mT8_S1C_bDpT10_ENKUlT_T0_E_clISt17integral_constantIbLb0EES1P_EEDaS1K_S1L_EUlS1K_E_NS1_11comp_targetILNS1_3genE4ELNS1_11target_archE910ELNS1_3gpuE8ELNS1_3repE0EEENS1_30default_config_static_selectorELNS0_4arch9wavefront6targetE0EEEvSY_,@function
_ZN7rocprim17ROCPRIM_400000_NS6detail17trampoline_kernelINS0_13select_configILj256ELj13ELNS0_17block_load_methodE3ELS4_3ELS4_3ELNS0_20block_scan_algorithmE0ELj4294967295EEENS1_25partition_config_selectorILNS1_17partition_subalgoE3EjNS0_10empty_typeEbEEZZNS1_14partition_implILS8_3ELb0ES6_jNS0_17counting_iteratorIjlEEPS9_SE_NS0_5tupleIJPjSE_EEENSF_IJSE_SE_EEES9_SG_JZNS1_25segmented_radix_sort_implINS0_14default_configELb1EPKhPhPKlPlN2at6native12_GLOBAL__N_18offset_tEEE10hipError_tPvRmT1_PNSt15iterator_traitsISY_E10value_typeET2_T3_PNSZ_IS14_E10value_typeET4_jRbjT5_S1A_jjP12ihipStream_tbEUljE_EEESV_SW_SX_S14_S18_S1A_T6_T7_T9_mT8_S1C_bDpT10_ENKUlT_T0_E_clISt17integral_constantIbLb0EES1P_EEDaS1K_S1L_EUlS1K_E_NS1_11comp_targetILNS1_3genE4ELNS1_11target_archE910ELNS1_3gpuE8ELNS1_3repE0EEENS1_30default_config_static_selectorELNS0_4arch9wavefront6targetE0EEEvSY_: ; @_ZN7rocprim17ROCPRIM_400000_NS6detail17trampoline_kernelINS0_13select_configILj256ELj13ELNS0_17block_load_methodE3ELS4_3ELS4_3ELNS0_20block_scan_algorithmE0ELj4294967295EEENS1_25partition_config_selectorILNS1_17partition_subalgoE3EjNS0_10empty_typeEbEEZZNS1_14partition_implILS8_3ELb0ES6_jNS0_17counting_iteratorIjlEEPS9_SE_NS0_5tupleIJPjSE_EEENSF_IJSE_SE_EEES9_SG_JZNS1_25segmented_radix_sort_implINS0_14default_configELb1EPKhPhPKlPlN2at6native12_GLOBAL__N_18offset_tEEE10hipError_tPvRmT1_PNSt15iterator_traitsISY_E10value_typeET2_T3_PNSZ_IS14_E10value_typeET4_jRbjT5_S1A_jjP12ihipStream_tbEUljE_EEESV_SW_SX_S14_S18_S1A_T6_T7_T9_mT8_S1C_bDpT10_ENKUlT_T0_E_clISt17integral_constantIbLb0EES1P_EEDaS1K_S1L_EUlS1K_E_NS1_11comp_targetILNS1_3genE4ELNS1_11target_archE910ELNS1_3gpuE8ELNS1_3repE0EEENS1_30default_config_static_selectorELNS0_4arch9wavefront6targetE0EEEvSY_
; %bb.0:
	.section	.rodata,"a",@progbits
	.p2align	6, 0x0
	.amdhsa_kernel _ZN7rocprim17ROCPRIM_400000_NS6detail17trampoline_kernelINS0_13select_configILj256ELj13ELNS0_17block_load_methodE3ELS4_3ELS4_3ELNS0_20block_scan_algorithmE0ELj4294967295EEENS1_25partition_config_selectorILNS1_17partition_subalgoE3EjNS0_10empty_typeEbEEZZNS1_14partition_implILS8_3ELb0ES6_jNS0_17counting_iteratorIjlEEPS9_SE_NS0_5tupleIJPjSE_EEENSF_IJSE_SE_EEES9_SG_JZNS1_25segmented_radix_sort_implINS0_14default_configELb1EPKhPhPKlPlN2at6native12_GLOBAL__N_18offset_tEEE10hipError_tPvRmT1_PNSt15iterator_traitsISY_E10value_typeET2_T3_PNSZ_IS14_E10value_typeET4_jRbjT5_S1A_jjP12ihipStream_tbEUljE_EEESV_SW_SX_S14_S18_S1A_T6_T7_T9_mT8_S1C_bDpT10_ENKUlT_T0_E_clISt17integral_constantIbLb0EES1P_EEDaS1K_S1L_EUlS1K_E_NS1_11comp_targetILNS1_3genE4ELNS1_11target_archE910ELNS1_3gpuE8ELNS1_3repE0EEENS1_30default_config_static_selectorELNS0_4arch9wavefront6targetE0EEEvSY_
		.amdhsa_group_segment_fixed_size 0
		.amdhsa_private_segment_fixed_size 0
		.amdhsa_kernarg_size 144
		.amdhsa_user_sgpr_count 6
		.amdhsa_user_sgpr_private_segment_buffer 1
		.amdhsa_user_sgpr_dispatch_ptr 0
		.amdhsa_user_sgpr_queue_ptr 0
		.amdhsa_user_sgpr_kernarg_segment_ptr 1
		.amdhsa_user_sgpr_dispatch_id 0
		.amdhsa_user_sgpr_flat_scratch_init 0
		.amdhsa_user_sgpr_private_segment_size 0
		.amdhsa_wavefront_size32 1
		.amdhsa_uses_dynamic_stack 0
		.amdhsa_system_sgpr_private_segment_wavefront_offset 0
		.amdhsa_system_sgpr_workgroup_id_x 1
		.amdhsa_system_sgpr_workgroup_id_y 0
		.amdhsa_system_sgpr_workgroup_id_z 0
		.amdhsa_system_sgpr_workgroup_info 0
		.amdhsa_system_vgpr_workitem_id 0
		.amdhsa_next_free_vgpr 1
		.amdhsa_next_free_sgpr 1
		.amdhsa_reserve_vcc 0
		.amdhsa_reserve_flat_scratch 0
		.amdhsa_float_round_mode_32 0
		.amdhsa_float_round_mode_16_64 0
		.amdhsa_float_denorm_mode_32 3
		.amdhsa_float_denorm_mode_16_64 3
		.amdhsa_dx10_clamp 1
		.amdhsa_ieee_mode 1
		.amdhsa_fp16_overflow 0
		.amdhsa_workgroup_processor_mode 1
		.amdhsa_memory_ordered 1
		.amdhsa_forward_progress 1
		.amdhsa_shared_vgpr_count 0
		.amdhsa_exception_fp_ieee_invalid_op 0
		.amdhsa_exception_fp_denorm_src 0
		.amdhsa_exception_fp_ieee_div_zero 0
		.amdhsa_exception_fp_ieee_overflow 0
		.amdhsa_exception_fp_ieee_underflow 0
		.amdhsa_exception_fp_ieee_inexact 0
		.amdhsa_exception_int_div_zero 0
	.end_amdhsa_kernel
	.section	.text._ZN7rocprim17ROCPRIM_400000_NS6detail17trampoline_kernelINS0_13select_configILj256ELj13ELNS0_17block_load_methodE3ELS4_3ELS4_3ELNS0_20block_scan_algorithmE0ELj4294967295EEENS1_25partition_config_selectorILNS1_17partition_subalgoE3EjNS0_10empty_typeEbEEZZNS1_14partition_implILS8_3ELb0ES6_jNS0_17counting_iteratorIjlEEPS9_SE_NS0_5tupleIJPjSE_EEENSF_IJSE_SE_EEES9_SG_JZNS1_25segmented_radix_sort_implINS0_14default_configELb1EPKhPhPKlPlN2at6native12_GLOBAL__N_18offset_tEEE10hipError_tPvRmT1_PNSt15iterator_traitsISY_E10value_typeET2_T3_PNSZ_IS14_E10value_typeET4_jRbjT5_S1A_jjP12ihipStream_tbEUljE_EEESV_SW_SX_S14_S18_S1A_T6_T7_T9_mT8_S1C_bDpT10_ENKUlT_T0_E_clISt17integral_constantIbLb0EES1P_EEDaS1K_S1L_EUlS1K_E_NS1_11comp_targetILNS1_3genE4ELNS1_11target_archE910ELNS1_3gpuE8ELNS1_3repE0EEENS1_30default_config_static_selectorELNS0_4arch9wavefront6targetE0EEEvSY_,"axG",@progbits,_ZN7rocprim17ROCPRIM_400000_NS6detail17trampoline_kernelINS0_13select_configILj256ELj13ELNS0_17block_load_methodE3ELS4_3ELS4_3ELNS0_20block_scan_algorithmE0ELj4294967295EEENS1_25partition_config_selectorILNS1_17partition_subalgoE3EjNS0_10empty_typeEbEEZZNS1_14partition_implILS8_3ELb0ES6_jNS0_17counting_iteratorIjlEEPS9_SE_NS0_5tupleIJPjSE_EEENSF_IJSE_SE_EEES9_SG_JZNS1_25segmented_radix_sort_implINS0_14default_configELb1EPKhPhPKlPlN2at6native12_GLOBAL__N_18offset_tEEE10hipError_tPvRmT1_PNSt15iterator_traitsISY_E10value_typeET2_T3_PNSZ_IS14_E10value_typeET4_jRbjT5_S1A_jjP12ihipStream_tbEUljE_EEESV_SW_SX_S14_S18_S1A_T6_T7_T9_mT8_S1C_bDpT10_ENKUlT_T0_E_clISt17integral_constantIbLb0EES1P_EEDaS1K_S1L_EUlS1K_E_NS1_11comp_targetILNS1_3genE4ELNS1_11target_archE910ELNS1_3gpuE8ELNS1_3repE0EEENS1_30default_config_static_selectorELNS0_4arch9wavefront6targetE0EEEvSY_,comdat
.Lfunc_end50:
	.size	_ZN7rocprim17ROCPRIM_400000_NS6detail17trampoline_kernelINS0_13select_configILj256ELj13ELNS0_17block_load_methodE3ELS4_3ELS4_3ELNS0_20block_scan_algorithmE0ELj4294967295EEENS1_25partition_config_selectorILNS1_17partition_subalgoE3EjNS0_10empty_typeEbEEZZNS1_14partition_implILS8_3ELb0ES6_jNS0_17counting_iteratorIjlEEPS9_SE_NS0_5tupleIJPjSE_EEENSF_IJSE_SE_EEES9_SG_JZNS1_25segmented_radix_sort_implINS0_14default_configELb1EPKhPhPKlPlN2at6native12_GLOBAL__N_18offset_tEEE10hipError_tPvRmT1_PNSt15iterator_traitsISY_E10value_typeET2_T3_PNSZ_IS14_E10value_typeET4_jRbjT5_S1A_jjP12ihipStream_tbEUljE_EEESV_SW_SX_S14_S18_S1A_T6_T7_T9_mT8_S1C_bDpT10_ENKUlT_T0_E_clISt17integral_constantIbLb0EES1P_EEDaS1K_S1L_EUlS1K_E_NS1_11comp_targetILNS1_3genE4ELNS1_11target_archE910ELNS1_3gpuE8ELNS1_3repE0EEENS1_30default_config_static_selectorELNS0_4arch9wavefront6targetE0EEEvSY_, .Lfunc_end50-_ZN7rocprim17ROCPRIM_400000_NS6detail17trampoline_kernelINS0_13select_configILj256ELj13ELNS0_17block_load_methodE3ELS4_3ELS4_3ELNS0_20block_scan_algorithmE0ELj4294967295EEENS1_25partition_config_selectorILNS1_17partition_subalgoE3EjNS0_10empty_typeEbEEZZNS1_14partition_implILS8_3ELb0ES6_jNS0_17counting_iteratorIjlEEPS9_SE_NS0_5tupleIJPjSE_EEENSF_IJSE_SE_EEES9_SG_JZNS1_25segmented_radix_sort_implINS0_14default_configELb1EPKhPhPKlPlN2at6native12_GLOBAL__N_18offset_tEEE10hipError_tPvRmT1_PNSt15iterator_traitsISY_E10value_typeET2_T3_PNSZ_IS14_E10value_typeET4_jRbjT5_S1A_jjP12ihipStream_tbEUljE_EEESV_SW_SX_S14_S18_S1A_T6_T7_T9_mT8_S1C_bDpT10_ENKUlT_T0_E_clISt17integral_constantIbLb0EES1P_EEDaS1K_S1L_EUlS1K_E_NS1_11comp_targetILNS1_3genE4ELNS1_11target_archE910ELNS1_3gpuE8ELNS1_3repE0EEENS1_30default_config_static_selectorELNS0_4arch9wavefront6targetE0EEEvSY_
                                        ; -- End function
	.set _ZN7rocprim17ROCPRIM_400000_NS6detail17trampoline_kernelINS0_13select_configILj256ELj13ELNS0_17block_load_methodE3ELS4_3ELS4_3ELNS0_20block_scan_algorithmE0ELj4294967295EEENS1_25partition_config_selectorILNS1_17partition_subalgoE3EjNS0_10empty_typeEbEEZZNS1_14partition_implILS8_3ELb0ES6_jNS0_17counting_iteratorIjlEEPS9_SE_NS0_5tupleIJPjSE_EEENSF_IJSE_SE_EEES9_SG_JZNS1_25segmented_radix_sort_implINS0_14default_configELb1EPKhPhPKlPlN2at6native12_GLOBAL__N_18offset_tEEE10hipError_tPvRmT1_PNSt15iterator_traitsISY_E10value_typeET2_T3_PNSZ_IS14_E10value_typeET4_jRbjT5_S1A_jjP12ihipStream_tbEUljE_EEESV_SW_SX_S14_S18_S1A_T6_T7_T9_mT8_S1C_bDpT10_ENKUlT_T0_E_clISt17integral_constantIbLb0EES1P_EEDaS1K_S1L_EUlS1K_E_NS1_11comp_targetILNS1_3genE4ELNS1_11target_archE910ELNS1_3gpuE8ELNS1_3repE0EEENS1_30default_config_static_selectorELNS0_4arch9wavefront6targetE0EEEvSY_.num_vgpr, 0
	.set _ZN7rocprim17ROCPRIM_400000_NS6detail17trampoline_kernelINS0_13select_configILj256ELj13ELNS0_17block_load_methodE3ELS4_3ELS4_3ELNS0_20block_scan_algorithmE0ELj4294967295EEENS1_25partition_config_selectorILNS1_17partition_subalgoE3EjNS0_10empty_typeEbEEZZNS1_14partition_implILS8_3ELb0ES6_jNS0_17counting_iteratorIjlEEPS9_SE_NS0_5tupleIJPjSE_EEENSF_IJSE_SE_EEES9_SG_JZNS1_25segmented_radix_sort_implINS0_14default_configELb1EPKhPhPKlPlN2at6native12_GLOBAL__N_18offset_tEEE10hipError_tPvRmT1_PNSt15iterator_traitsISY_E10value_typeET2_T3_PNSZ_IS14_E10value_typeET4_jRbjT5_S1A_jjP12ihipStream_tbEUljE_EEESV_SW_SX_S14_S18_S1A_T6_T7_T9_mT8_S1C_bDpT10_ENKUlT_T0_E_clISt17integral_constantIbLb0EES1P_EEDaS1K_S1L_EUlS1K_E_NS1_11comp_targetILNS1_3genE4ELNS1_11target_archE910ELNS1_3gpuE8ELNS1_3repE0EEENS1_30default_config_static_selectorELNS0_4arch9wavefront6targetE0EEEvSY_.num_agpr, 0
	.set _ZN7rocprim17ROCPRIM_400000_NS6detail17trampoline_kernelINS0_13select_configILj256ELj13ELNS0_17block_load_methodE3ELS4_3ELS4_3ELNS0_20block_scan_algorithmE0ELj4294967295EEENS1_25partition_config_selectorILNS1_17partition_subalgoE3EjNS0_10empty_typeEbEEZZNS1_14partition_implILS8_3ELb0ES6_jNS0_17counting_iteratorIjlEEPS9_SE_NS0_5tupleIJPjSE_EEENSF_IJSE_SE_EEES9_SG_JZNS1_25segmented_radix_sort_implINS0_14default_configELb1EPKhPhPKlPlN2at6native12_GLOBAL__N_18offset_tEEE10hipError_tPvRmT1_PNSt15iterator_traitsISY_E10value_typeET2_T3_PNSZ_IS14_E10value_typeET4_jRbjT5_S1A_jjP12ihipStream_tbEUljE_EEESV_SW_SX_S14_S18_S1A_T6_T7_T9_mT8_S1C_bDpT10_ENKUlT_T0_E_clISt17integral_constantIbLb0EES1P_EEDaS1K_S1L_EUlS1K_E_NS1_11comp_targetILNS1_3genE4ELNS1_11target_archE910ELNS1_3gpuE8ELNS1_3repE0EEENS1_30default_config_static_selectorELNS0_4arch9wavefront6targetE0EEEvSY_.numbered_sgpr, 0
	.set _ZN7rocprim17ROCPRIM_400000_NS6detail17trampoline_kernelINS0_13select_configILj256ELj13ELNS0_17block_load_methodE3ELS4_3ELS4_3ELNS0_20block_scan_algorithmE0ELj4294967295EEENS1_25partition_config_selectorILNS1_17partition_subalgoE3EjNS0_10empty_typeEbEEZZNS1_14partition_implILS8_3ELb0ES6_jNS0_17counting_iteratorIjlEEPS9_SE_NS0_5tupleIJPjSE_EEENSF_IJSE_SE_EEES9_SG_JZNS1_25segmented_radix_sort_implINS0_14default_configELb1EPKhPhPKlPlN2at6native12_GLOBAL__N_18offset_tEEE10hipError_tPvRmT1_PNSt15iterator_traitsISY_E10value_typeET2_T3_PNSZ_IS14_E10value_typeET4_jRbjT5_S1A_jjP12ihipStream_tbEUljE_EEESV_SW_SX_S14_S18_S1A_T6_T7_T9_mT8_S1C_bDpT10_ENKUlT_T0_E_clISt17integral_constantIbLb0EES1P_EEDaS1K_S1L_EUlS1K_E_NS1_11comp_targetILNS1_3genE4ELNS1_11target_archE910ELNS1_3gpuE8ELNS1_3repE0EEENS1_30default_config_static_selectorELNS0_4arch9wavefront6targetE0EEEvSY_.num_named_barrier, 0
	.set _ZN7rocprim17ROCPRIM_400000_NS6detail17trampoline_kernelINS0_13select_configILj256ELj13ELNS0_17block_load_methodE3ELS4_3ELS4_3ELNS0_20block_scan_algorithmE0ELj4294967295EEENS1_25partition_config_selectorILNS1_17partition_subalgoE3EjNS0_10empty_typeEbEEZZNS1_14partition_implILS8_3ELb0ES6_jNS0_17counting_iteratorIjlEEPS9_SE_NS0_5tupleIJPjSE_EEENSF_IJSE_SE_EEES9_SG_JZNS1_25segmented_radix_sort_implINS0_14default_configELb1EPKhPhPKlPlN2at6native12_GLOBAL__N_18offset_tEEE10hipError_tPvRmT1_PNSt15iterator_traitsISY_E10value_typeET2_T3_PNSZ_IS14_E10value_typeET4_jRbjT5_S1A_jjP12ihipStream_tbEUljE_EEESV_SW_SX_S14_S18_S1A_T6_T7_T9_mT8_S1C_bDpT10_ENKUlT_T0_E_clISt17integral_constantIbLb0EES1P_EEDaS1K_S1L_EUlS1K_E_NS1_11comp_targetILNS1_3genE4ELNS1_11target_archE910ELNS1_3gpuE8ELNS1_3repE0EEENS1_30default_config_static_selectorELNS0_4arch9wavefront6targetE0EEEvSY_.private_seg_size, 0
	.set _ZN7rocprim17ROCPRIM_400000_NS6detail17trampoline_kernelINS0_13select_configILj256ELj13ELNS0_17block_load_methodE3ELS4_3ELS4_3ELNS0_20block_scan_algorithmE0ELj4294967295EEENS1_25partition_config_selectorILNS1_17partition_subalgoE3EjNS0_10empty_typeEbEEZZNS1_14partition_implILS8_3ELb0ES6_jNS0_17counting_iteratorIjlEEPS9_SE_NS0_5tupleIJPjSE_EEENSF_IJSE_SE_EEES9_SG_JZNS1_25segmented_radix_sort_implINS0_14default_configELb1EPKhPhPKlPlN2at6native12_GLOBAL__N_18offset_tEEE10hipError_tPvRmT1_PNSt15iterator_traitsISY_E10value_typeET2_T3_PNSZ_IS14_E10value_typeET4_jRbjT5_S1A_jjP12ihipStream_tbEUljE_EEESV_SW_SX_S14_S18_S1A_T6_T7_T9_mT8_S1C_bDpT10_ENKUlT_T0_E_clISt17integral_constantIbLb0EES1P_EEDaS1K_S1L_EUlS1K_E_NS1_11comp_targetILNS1_3genE4ELNS1_11target_archE910ELNS1_3gpuE8ELNS1_3repE0EEENS1_30default_config_static_selectorELNS0_4arch9wavefront6targetE0EEEvSY_.uses_vcc, 0
	.set _ZN7rocprim17ROCPRIM_400000_NS6detail17trampoline_kernelINS0_13select_configILj256ELj13ELNS0_17block_load_methodE3ELS4_3ELS4_3ELNS0_20block_scan_algorithmE0ELj4294967295EEENS1_25partition_config_selectorILNS1_17partition_subalgoE3EjNS0_10empty_typeEbEEZZNS1_14partition_implILS8_3ELb0ES6_jNS0_17counting_iteratorIjlEEPS9_SE_NS0_5tupleIJPjSE_EEENSF_IJSE_SE_EEES9_SG_JZNS1_25segmented_radix_sort_implINS0_14default_configELb1EPKhPhPKlPlN2at6native12_GLOBAL__N_18offset_tEEE10hipError_tPvRmT1_PNSt15iterator_traitsISY_E10value_typeET2_T3_PNSZ_IS14_E10value_typeET4_jRbjT5_S1A_jjP12ihipStream_tbEUljE_EEESV_SW_SX_S14_S18_S1A_T6_T7_T9_mT8_S1C_bDpT10_ENKUlT_T0_E_clISt17integral_constantIbLb0EES1P_EEDaS1K_S1L_EUlS1K_E_NS1_11comp_targetILNS1_3genE4ELNS1_11target_archE910ELNS1_3gpuE8ELNS1_3repE0EEENS1_30default_config_static_selectorELNS0_4arch9wavefront6targetE0EEEvSY_.uses_flat_scratch, 0
	.set _ZN7rocprim17ROCPRIM_400000_NS6detail17trampoline_kernelINS0_13select_configILj256ELj13ELNS0_17block_load_methodE3ELS4_3ELS4_3ELNS0_20block_scan_algorithmE0ELj4294967295EEENS1_25partition_config_selectorILNS1_17partition_subalgoE3EjNS0_10empty_typeEbEEZZNS1_14partition_implILS8_3ELb0ES6_jNS0_17counting_iteratorIjlEEPS9_SE_NS0_5tupleIJPjSE_EEENSF_IJSE_SE_EEES9_SG_JZNS1_25segmented_radix_sort_implINS0_14default_configELb1EPKhPhPKlPlN2at6native12_GLOBAL__N_18offset_tEEE10hipError_tPvRmT1_PNSt15iterator_traitsISY_E10value_typeET2_T3_PNSZ_IS14_E10value_typeET4_jRbjT5_S1A_jjP12ihipStream_tbEUljE_EEESV_SW_SX_S14_S18_S1A_T6_T7_T9_mT8_S1C_bDpT10_ENKUlT_T0_E_clISt17integral_constantIbLb0EES1P_EEDaS1K_S1L_EUlS1K_E_NS1_11comp_targetILNS1_3genE4ELNS1_11target_archE910ELNS1_3gpuE8ELNS1_3repE0EEENS1_30default_config_static_selectorELNS0_4arch9wavefront6targetE0EEEvSY_.has_dyn_sized_stack, 0
	.set _ZN7rocprim17ROCPRIM_400000_NS6detail17trampoline_kernelINS0_13select_configILj256ELj13ELNS0_17block_load_methodE3ELS4_3ELS4_3ELNS0_20block_scan_algorithmE0ELj4294967295EEENS1_25partition_config_selectorILNS1_17partition_subalgoE3EjNS0_10empty_typeEbEEZZNS1_14partition_implILS8_3ELb0ES6_jNS0_17counting_iteratorIjlEEPS9_SE_NS0_5tupleIJPjSE_EEENSF_IJSE_SE_EEES9_SG_JZNS1_25segmented_radix_sort_implINS0_14default_configELb1EPKhPhPKlPlN2at6native12_GLOBAL__N_18offset_tEEE10hipError_tPvRmT1_PNSt15iterator_traitsISY_E10value_typeET2_T3_PNSZ_IS14_E10value_typeET4_jRbjT5_S1A_jjP12ihipStream_tbEUljE_EEESV_SW_SX_S14_S18_S1A_T6_T7_T9_mT8_S1C_bDpT10_ENKUlT_T0_E_clISt17integral_constantIbLb0EES1P_EEDaS1K_S1L_EUlS1K_E_NS1_11comp_targetILNS1_3genE4ELNS1_11target_archE910ELNS1_3gpuE8ELNS1_3repE0EEENS1_30default_config_static_selectorELNS0_4arch9wavefront6targetE0EEEvSY_.has_recursion, 0
	.set _ZN7rocprim17ROCPRIM_400000_NS6detail17trampoline_kernelINS0_13select_configILj256ELj13ELNS0_17block_load_methodE3ELS4_3ELS4_3ELNS0_20block_scan_algorithmE0ELj4294967295EEENS1_25partition_config_selectorILNS1_17partition_subalgoE3EjNS0_10empty_typeEbEEZZNS1_14partition_implILS8_3ELb0ES6_jNS0_17counting_iteratorIjlEEPS9_SE_NS0_5tupleIJPjSE_EEENSF_IJSE_SE_EEES9_SG_JZNS1_25segmented_radix_sort_implINS0_14default_configELb1EPKhPhPKlPlN2at6native12_GLOBAL__N_18offset_tEEE10hipError_tPvRmT1_PNSt15iterator_traitsISY_E10value_typeET2_T3_PNSZ_IS14_E10value_typeET4_jRbjT5_S1A_jjP12ihipStream_tbEUljE_EEESV_SW_SX_S14_S18_S1A_T6_T7_T9_mT8_S1C_bDpT10_ENKUlT_T0_E_clISt17integral_constantIbLb0EES1P_EEDaS1K_S1L_EUlS1K_E_NS1_11comp_targetILNS1_3genE4ELNS1_11target_archE910ELNS1_3gpuE8ELNS1_3repE0EEENS1_30default_config_static_selectorELNS0_4arch9wavefront6targetE0EEEvSY_.has_indirect_call, 0
	.section	.AMDGPU.csdata,"",@progbits
; Kernel info:
; codeLenInByte = 0
; TotalNumSgprs: 0
; NumVgprs: 0
; ScratchSize: 0
; MemoryBound: 0
; FloatMode: 240
; IeeeMode: 1
; LDSByteSize: 0 bytes/workgroup (compile time only)
; SGPRBlocks: 0
; VGPRBlocks: 0
; NumSGPRsForWavesPerEU: 1
; NumVGPRsForWavesPerEU: 1
; Occupancy: 16
; WaveLimiterHint : 0
; COMPUTE_PGM_RSRC2:SCRATCH_EN: 0
; COMPUTE_PGM_RSRC2:USER_SGPR: 6
; COMPUTE_PGM_RSRC2:TRAP_HANDLER: 0
; COMPUTE_PGM_RSRC2:TGID_X_EN: 1
; COMPUTE_PGM_RSRC2:TGID_Y_EN: 0
; COMPUTE_PGM_RSRC2:TGID_Z_EN: 0
; COMPUTE_PGM_RSRC2:TIDIG_COMP_CNT: 0
	.section	.text._ZN7rocprim17ROCPRIM_400000_NS6detail17trampoline_kernelINS0_13select_configILj256ELj13ELNS0_17block_load_methodE3ELS4_3ELS4_3ELNS0_20block_scan_algorithmE0ELj4294967295EEENS1_25partition_config_selectorILNS1_17partition_subalgoE3EjNS0_10empty_typeEbEEZZNS1_14partition_implILS8_3ELb0ES6_jNS0_17counting_iteratorIjlEEPS9_SE_NS0_5tupleIJPjSE_EEENSF_IJSE_SE_EEES9_SG_JZNS1_25segmented_radix_sort_implINS0_14default_configELb1EPKhPhPKlPlN2at6native12_GLOBAL__N_18offset_tEEE10hipError_tPvRmT1_PNSt15iterator_traitsISY_E10value_typeET2_T3_PNSZ_IS14_E10value_typeET4_jRbjT5_S1A_jjP12ihipStream_tbEUljE_EEESV_SW_SX_S14_S18_S1A_T6_T7_T9_mT8_S1C_bDpT10_ENKUlT_T0_E_clISt17integral_constantIbLb0EES1P_EEDaS1K_S1L_EUlS1K_E_NS1_11comp_targetILNS1_3genE3ELNS1_11target_archE908ELNS1_3gpuE7ELNS1_3repE0EEENS1_30default_config_static_selectorELNS0_4arch9wavefront6targetE0EEEvSY_,"axG",@progbits,_ZN7rocprim17ROCPRIM_400000_NS6detail17trampoline_kernelINS0_13select_configILj256ELj13ELNS0_17block_load_methodE3ELS4_3ELS4_3ELNS0_20block_scan_algorithmE0ELj4294967295EEENS1_25partition_config_selectorILNS1_17partition_subalgoE3EjNS0_10empty_typeEbEEZZNS1_14partition_implILS8_3ELb0ES6_jNS0_17counting_iteratorIjlEEPS9_SE_NS0_5tupleIJPjSE_EEENSF_IJSE_SE_EEES9_SG_JZNS1_25segmented_radix_sort_implINS0_14default_configELb1EPKhPhPKlPlN2at6native12_GLOBAL__N_18offset_tEEE10hipError_tPvRmT1_PNSt15iterator_traitsISY_E10value_typeET2_T3_PNSZ_IS14_E10value_typeET4_jRbjT5_S1A_jjP12ihipStream_tbEUljE_EEESV_SW_SX_S14_S18_S1A_T6_T7_T9_mT8_S1C_bDpT10_ENKUlT_T0_E_clISt17integral_constantIbLb0EES1P_EEDaS1K_S1L_EUlS1K_E_NS1_11comp_targetILNS1_3genE3ELNS1_11target_archE908ELNS1_3gpuE7ELNS1_3repE0EEENS1_30default_config_static_selectorELNS0_4arch9wavefront6targetE0EEEvSY_,comdat
	.globl	_ZN7rocprim17ROCPRIM_400000_NS6detail17trampoline_kernelINS0_13select_configILj256ELj13ELNS0_17block_load_methodE3ELS4_3ELS4_3ELNS0_20block_scan_algorithmE0ELj4294967295EEENS1_25partition_config_selectorILNS1_17partition_subalgoE3EjNS0_10empty_typeEbEEZZNS1_14partition_implILS8_3ELb0ES6_jNS0_17counting_iteratorIjlEEPS9_SE_NS0_5tupleIJPjSE_EEENSF_IJSE_SE_EEES9_SG_JZNS1_25segmented_radix_sort_implINS0_14default_configELb1EPKhPhPKlPlN2at6native12_GLOBAL__N_18offset_tEEE10hipError_tPvRmT1_PNSt15iterator_traitsISY_E10value_typeET2_T3_PNSZ_IS14_E10value_typeET4_jRbjT5_S1A_jjP12ihipStream_tbEUljE_EEESV_SW_SX_S14_S18_S1A_T6_T7_T9_mT8_S1C_bDpT10_ENKUlT_T0_E_clISt17integral_constantIbLb0EES1P_EEDaS1K_S1L_EUlS1K_E_NS1_11comp_targetILNS1_3genE3ELNS1_11target_archE908ELNS1_3gpuE7ELNS1_3repE0EEENS1_30default_config_static_selectorELNS0_4arch9wavefront6targetE0EEEvSY_ ; -- Begin function _ZN7rocprim17ROCPRIM_400000_NS6detail17trampoline_kernelINS0_13select_configILj256ELj13ELNS0_17block_load_methodE3ELS4_3ELS4_3ELNS0_20block_scan_algorithmE0ELj4294967295EEENS1_25partition_config_selectorILNS1_17partition_subalgoE3EjNS0_10empty_typeEbEEZZNS1_14partition_implILS8_3ELb0ES6_jNS0_17counting_iteratorIjlEEPS9_SE_NS0_5tupleIJPjSE_EEENSF_IJSE_SE_EEES9_SG_JZNS1_25segmented_radix_sort_implINS0_14default_configELb1EPKhPhPKlPlN2at6native12_GLOBAL__N_18offset_tEEE10hipError_tPvRmT1_PNSt15iterator_traitsISY_E10value_typeET2_T3_PNSZ_IS14_E10value_typeET4_jRbjT5_S1A_jjP12ihipStream_tbEUljE_EEESV_SW_SX_S14_S18_S1A_T6_T7_T9_mT8_S1C_bDpT10_ENKUlT_T0_E_clISt17integral_constantIbLb0EES1P_EEDaS1K_S1L_EUlS1K_E_NS1_11comp_targetILNS1_3genE3ELNS1_11target_archE908ELNS1_3gpuE7ELNS1_3repE0EEENS1_30default_config_static_selectorELNS0_4arch9wavefront6targetE0EEEvSY_
	.p2align	8
	.type	_ZN7rocprim17ROCPRIM_400000_NS6detail17trampoline_kernelINS0_13select_configILj256ELj13ELNS0_17block_load_methodE3ELS4_3ELS4_3ELNS0_20block_scan_algorithmE0ELj4294967295EEENS1_25partition_config_selectorILNS1_17partition_subalgoE3EjNS0_10empty_typeEbEEZZNS1_14partition_implILS8_3ELb0ES6_jNS0_17counting_iteratorIjlEEPS9_SE_NS0_5tupleIJPjSE_EEENSF_IJSE_SE_EEES9_SG_JZNS1_25segmented_radix_sort_implINS0_14default_configELb1EPKhPhPKlPlN2at6native12_GLOBAL__N_18offset_tEEE10hipError_tPvRmT1_PNSt15iterator_traitsISY_E10value_typeET2_T3_PNSZ_IS14_E10value_typeET4_jRbjT5_S1A_jjP12ihipStream_tbEUljE_EEESV_SW_SX_S14_S18_S1A_T6_T7_T9_mT8_S1C_bDpT10_ENKUlT_T0_E_clISt17integral_constantIbLb0EES1P_EEDaS1K_S1L_EUlS1K_E_NS1_11comp_targetILNS1_3genE3ELNS1_11target_archE908ELNS1_3gpuE7ELNS1_3repE0EEENS1_30default_config_static_selectorELNS0_4arch9wavefront6targetE0EEEvSY_,@function
_ZN7rocprim17ROCPRIM_400000_NS6detail17trampoline_kernelINS0_13select_configILj256ELj13ELNS0_17block_load_methodE3ELS4_3ELS4_3ELNS0_20block_scan_algorithmE0ELj4294967295EEENS1_25partition_config_selectorILNS1_17partition_subalgoE3EjNS0_10empty_typeEbEEZZNS1_14partition_implILS8_3ELb0ES6_jNS0_17counting_iteratorIjlEEPS9_SE_NS0_5tupleIJPjSE_EEENSF_IJSE_SE_EEES9_SG_JZNS1_25segmented_radix_sort_implINS0_14default_configELb1EPKhPhPKlPlN2at6native12_GLOBAL__N_18offset_tEEE10hipError_tPvRmT1_PNSt15iterator_traitsISY_E10value_typeET2_T3_PNSZ_IS14_E10value_typeET4_jRbjT5_S1A_jjP12ihipStream_tbEUljE_EEESV_SW_SX_S14_S18_S1A_T6_T7_T9_mT8_S1C_bDpT10_ENKUlT_T0_E_clISt17integral_constantIbLb0EES1P_EEDaS1K_S1L_EUlS1K_E_NS1_11comp_targetILNS1_3genE3ELNS1_11target_archE908ELNS1_3gpuE7ELNS1_3repE0EEENS1_30default_config_static_selectorELNS0_4arch9wavefront6targetE0EEEvSY_: ; @_ZN7rocprim17ROCPRIM_400000_NS6detail17trampoline_kernelINS0_13select_configILj256ELj13ELNS0_17block_load_methodE3ELS4_3ELS4_3ELNS0_20block_scan_algorithmE0ELj4294967295EEENS1_25partition_config_selectorILNS1_17partition_subalgoE3EjNS0_10empty_typeEbEEZZNS1_14partition_implILS8_3ELb0ES6_jNS0_17counting_iteratorIjlEEPS9_SE_NS0_5tupleIJPjSE_EEENSF_IJSE_SE_EEES9_SG_JZNS1_25segmented_radix_sort_implINS0_14default_configELb1EPKhPhPKlPlN2at6native12_GLOBAL__N_18offset_tEEE10hipError_tPvRmT1_PNSt15iterator_traitsISY_E10value_typeET2_T3_PNSZ_IS14_E10value_typeET4_jRbjT5_S1A_jjP12ihipStream_tbEUljE_EEESV_SW_SX_S14_S18_S1A_T6_T7_T9_mT8_S1C_bDpT10_ENKUlT_T0_E_clISt17integral_constantIbLb0EES1P_EEDaS1K_S1L_EUlS1K_E_NS1_11comp_targetILNS1_3genE3ELNS1_11target_archE908ELNS1_3gpuE7ELNS1_3repE0EEENS1_30default_config_static_selectorELNS0_4arch9wavefront6targetE0EEEvSY_
; %bb.0:
	.section	.rodata,"a",@progbits
	.p2align	6, 0x0
	.amdhsa_kernel _ZN7rocprim17ROCPRIM_400000_NS6detail17trampoline_kernelINS0_13select_configILj256ELj13ELNS0_17block_load_methodE3ELS4_3ELS4_3ELNS0_20block_scan_algorithmE0ELj4294967295EEENS1_25partition_config_selectorILNS1_17partition_subalgoE3EjNS0_10empty_typeEbEEZZNS1_14partition_implILS8_3ELb0ES6_jNS0_17counting_iteratorIjlEEPS9_SE_NS0_5tupleIJPjSE_EEENSF_IJSE_SE_EEES9_SG_JZNS1_25segmented_radix_sort_implINS0_14default_configELb1EPKhPhPKlPlN2at6native12_GLOBAL__N_18offset_tEEE10hipError_tPvRmT1_PNSt15iterator_traitsISY_E10value_typeET2_T3_PNSZ_IS14_E10value_typeET4_jRbjT5_S1A_jjP12ihipStream_tbEUljE_EEESV_SW_SX_S14_S18_S1A_T6_T7_T9_mT8_S1C_bDpT10_ENKUlT_T0_E_clISt17integral_constantIbLb0EES1P_EEDaS1K_S1L_EUlS1K_E_NS1_11comp_targetILNS1_3genE3ELNS1_11target_archE908ELNS1_3gpuE7ELNS1_3repE0EEENS1_30default_config_static_selectorELNS0_4arch9wavefront6targetE0EEEvSY_
		.amdhsa_group_segment_fixed_size 0
		.amdhsa_private_segment_fixed_size 0
		.amdhsa_kernarg_size 144
		.amdhsa_user_sgpr_count 6
		.amdhsa_user_sgpr_private_segment_buffer 1
		.amdhsa_user_sgpr_dispatch_ptr 0
		.amdhsa_user_sgpr_queue_ptr 0
		.amdhsa_user_sgpr_kernarg_segment_ptr 1
		.amdhsa_user_sgpr_dispatch_id 0
		.amdhsa_user_sgpr_flat_scratch_init 0
		.amdhsa_user_sgpr_private_segment_size 0
		.amdhsa_wavefront_size32 1
		.amdhsa_uses_dynamic_stack 0
		.amdhsa_system_sgpr_private_segment_wavefront_offset 0
		.amdhsa_system_sgpr_workgroup_id_x 1
		.amdhsa_system_sgpr_workgroup_id_y 0
		.amdhsa_system_sgpr_workgroup_id_z 0
		.amdhsa_system_sgpr_workgroup_info 0
		.amdhsa_system_vgpr_workitem_id 0
		.amdhsa_next_free_vgpr 1
		.amdhsa_next_free_sgpr 1
		.amdhsa_reserve_vcc 0
		.amdhsa_reserve_flat_scratch 0
		.amdhsa_float_round_mode_32 0
		.amdhsa_float_round_mode_16_64 0
		.amdhsa_float_denorm_mode_32 3
		.amdhsa_float_denorm_mode_16_64 3
		.amdhsa_dx10_clamp 1
		.amdhsa_ieee_mode 1
		.amdhsa_fp16_overflow 0
		.amdhsa_workgroup_processor_mode 1
		.amdhsa_memory_ordered 1
		.amdhsa_forward_progress 1
		.amdhsa_shared_vgpr_count 0
		.amdhsa_exception_fp_ieee_invalid_op 0
		.amdhsa_exception_fp_denorm_src 0
		.amdhsa_exception_fp_ieee_div_zero 0
		.amdhsa_exception_fp_ieee_overflow 0
		.amdhsa_exception_fp_ieee_underflow 0
		.amdhsa_exception_fp_ieee_inexact 0
		.amdhsa_exception_int_div_zero 0
	.end_amdhsa_kernel
	.section	.text._ZN7rocprim17ROCPRIM_400000_NS6detail17trampoline_kernelINS0_13select_configILj256ELj13ELNS0_17block_load_methodE3ELS4_3ELS4_3ELNS0_20block_scan_algorithmE0ELj4294967295EEENS1_25partition_config_selectorILNS1_17partition_subalgoE3EjNS0_10empty_typeEbEEZZNS1_14partition_implILS8_3ELb0ES6_jNS0_17counting_iteratorIjlEEPS9_SE_NS0_5tupleIJPjSE_EEENSF_IJSE_SE_EEES9_SG_JZNS1_25segmented_radix_sort_implINS0_14default_configELb1EPKhPhPKlPlN2at6native12_GLOBAL__N_18offset_tEEE10hipError_tPvRmT1_PNSt15iterator_traitsISY_E10value_typeET2_T3_PNSZ_IS14_E10value_typeET4_jRbjT5_S1A_jjP12ihipStream_tbEUljE_EEESV_SW_SX_S14_S18_S1A_T6_T7_T9_mT8_S1C_bDpT10_ENKUlT_T0_E_clISt17integral_constantIbLb0EES1P_EEDaS1K_S1L_EUlS1K_E_NS1_11comp_targetILNS1_3genE3ELNS1_11target_archE908ELNS1_3gpuE7ELNS1_3repE0EEENS1_30default_config_static_selectorELNS0_4arch9wavefront6targetE0EEEvSY_,"axG",@progbits,_ZN7rocprim17ROCPRIM_400000_NS6detail17trampoline_kernelINS0_13select_configILj256ELj13ELNS0_17block_load_methodE3ELS4_3ELS4_3ELNS0_20block_scan_algorithmE0ELj4294967295EEENS1_25partition_config_selectorILNS1_17partition_subalgoE3EjNS0_10empty_typeEbEEZZNS1_14partition_implILS8_3ELb0ES6_jNS0_17counting_iteratorIjlEEPS9_SE_NS0_5tupleIJPjSE_EEENSF_IJSE_SE_EEES9_SG_JZNS1_25segmented_radix_sort_implINS0_14default_configELb1EPKhPhPKlPlN2at6native12_GLOBAL__N_18offset_tEEE10hipError_tPvRmT1_PNSt15iterator_traitsISY_E10value_typeET2_T3_PNSZ_IS14_E10value_typeET4_jRbjT5_S1A_jjP12ihipStream_tbEUljE_EEESV_SW_SX_S14_S18_S1A_T6_T7_T9_mT8_S1C_bDpT10_ENKUlT_T0_E_clISt17integral_constantIbLb0EES1P_EEDaS1K_S1L_EUlS1K_E_NS1_11comp_targetILNS1_3genE3ELNS1_11target_archE908ELNS1_3gpuE7ELNS1_3repE0EEENS1_30default_config_static_selectorELNS0_4arch9wavefront6targetE0EEEvSY_,comdat
.Lfunc_end51:
	.size	_ZN7rocprim17ROCPRIM_400000_NS6detail17trampoline_kernelINS0_13select_configILj256ELj13ELNS0_17block_load_methodE3ELS4_3ELS4_3ELNS0_20block_scan_algorithmE0ELj4294967295EEENS1_25partition_config_selectorILNS1_17partition_subalgoE3EjNS0_10empty_typeEbEEZZNS1_14partition_implILS8_3ELb0ES6_jNS0_17counting_iteratorIjlEEPS9_SE_NS0_5tupleIJPjSE_EEENSF_IJSE_SE_EEES9_SG_JZNS1_25segmented_radix_sort_implINS0_14default_configELb1EPKhPhPKlPlN2at6native12_GLOBAL__N_18offset_tEEE10hipError_tPvRmT1_PNSt15iterator_traitsISY_E10value_typeET2_T3_PNSZ_IS14_E10value_typeET4_jRbjT5_S1A_jjP12ihipStream_tbEUljE_EEESV_SW_SX_S14_S18_S1A_T6_T7_T9_mT8_S1C_bDpT10_ENKUlT_T0_E_clISt17integral_constantIbLb0EES1P_EEDaS1K_S1L_EUlS1K_E_NS1_11comp_targetILNS1_3genE3ELNS1_11target_archE908ELNS1_3gpuE7ELNS1_3repE0EEENS1_30default_config_static_selectorELNS0_4arch9wavefront6targetE0EEEvSY_, .Lfunc_end51-_ZN7rocprim17ROCPRIM_400000_NS6detail17trampoline_kernelINS0_13select_configILj256ELj13ELNS0_17block_load_methodE3ELS4_3ELS4_3ELNS0_20block_scan_algorithmE0ELj4294967295EEENS1_25partition_config_selectorILNS1_17partition_subalgoE3EjNS0_10empty_typeEbEEZZNS1_14partition_implILS8_3ELb0ES6_jNS0_17counting_iteratorIjlEEPS9_SE_NS0_5tupleIJPjSE_EEENSF_IJSE_SE_EEES9_SG_JZNS1_25segmented_radix_sort_implINS0_14default_configELb1EPKhPhPKlPlN2at6native12_GLOBAL__N_18offset_tEEE10hipError_tPvRmT1_PNSt15iterator_traitsISY_E10value_typeET2_T3_PNSZ_IS14_E10value_typeET4_jRbjT5_S1A_jjP12ihipStream_tbEUljE_EEESV_SW_SX_S14_S18_S1A_T6_T7_T9_mT8_S1C_bDpT10_ENKUlT_T0_E_clISt17integral_constantIbLb0EES1P_EEDaS1K_S1L_EUlS1K_E_NS1_11comp_targetILNS1_3genE3ELNS1_11target_archE908ELNS1_3gpuE7ELNS1_3repE0EEENS1_30default_config_static_selectorELNS0_4arch9wavefront6targetE0EEEvSY_
                                        ; -- End function
	.set _ZN7rocprim17ROCPRIM_400000_NS6detail17trampoline_kernelINS0_13select_configILj256ELj13ELNS0_17block_load_methodE3ELS4_3ELS4_3ELNS0_20block_scan_algorithmE0ELj4294967295EEENS1_25partition_config_selectorILNS1_17partition_subalgoE3EjNS0_10empty_typeEbEEZZNS1_14partition_implILS8_3ELb0ES6_jNS0_17counting_iteratorIjlEEPS9_SE_NS0_5tupleIJPjSE_EEENSF_IJSE_SE_EEES9_SG_JZNS1_25segmented_radix_sort_implINS0_14default_configELb1EPKhPhPKlPlN2at6native12_GLOBAL__N_18offset_tEEE10hipError_tPvRmT1_PNSt15iterator_traitsISY_E10value_typeET2_T3_PNSZ_IS14_E10value_typeET4_jRbjT5_S1A_jjP12ihipStream_tbEUljE_EEESV_SW_SX_S14_S18_S1A_T6_T7_T9_mT8_S1C_bDpT10_ENKUlT_T0_E_clISt17integral_constantIbLb0EES1P_EEDaS1K_S1L_EUlS1K_E_NS1_11comp_targetILNS1_3genE3ELNS1_11target_archE908ELNS1_3gpuE7ELNS1_3repE0EEENS1_30default_config_static_selectorELNS0_4arch9wavefront6targetE0EEEvSY_.num_vgpr, 0
	.set _ZN7rocprim17ROCPRIM_400000_NS6detail17trampoline_kernelINS0_13select_configILj256ELj13ELNS0_17block_load_methodE3ELS4_3ELS4_3ELNS0_20block_scan_algorithmE0ELj4294967295EEENS1_25partition_config_selectorILNS1_17partition_subalgoE3EjNS0_10empty_typeEbEEZZNS1_14partition_implILS8_3ELb0ES6_jNS0_17counting_iteratorIjlEEPS9_SE_NS0_5tupleIJPjSE_EEENSF_IJSE_SE_EEES9_SG_JZNS1_25segmented_radix_sort_implINS0_14default_configELb1EPKhPhPKlPlN2at6native12_GLOBAL__N_18offset_tEEE10hipError_tPvRmT1_PNSt15iterator_traitsISY_E10value_typeET2_T3_PNSZ_IS14_E10value_typeET4_jRbjT5_S1A_jjP12ihipStream_tbEUljE_EEESV_SW_SX_S14_S18_S1A_T6_T7_T9_mT8_S1C_bDpT10_ENKUlT_T0_E_clISt17integral_constantIbLb0EES1P_EEDaS1K_S1L_EUlS1K_E_NS1_11comp_targetILNS1_3genE3ELNS1_11target_archE908ELNS1_3gpuE7ELNS1_3repE0EEENS1_30default_config_static_selectorELNS0_4arch9wavefront6targetE0EEEvSY_.num_agpr, 0
	.set _ZN7rocprim17ROCPRIM_400000_NS6detail17trampoline_kernelINS0_13select_configILj256ELj13ELNS0_17block_load_methodE3ELS4_3ELS4_3ELNS0_20block_scan_algorithmE0ELj4294967295EEENS1_25partition_config_selectorILNS1_17partition_subalgoE3EjNS0_10empty_typeEbEEZZNS1_14partition_implILS8_3ELb0ES6_jNS0_17counting_iteratorIjlEEPS9_SE_NS0_5tupleIJPjSE_EEENSF_IJSE_SE_EEES9_SG_JZNS1_25segmented_radix_sort_implINS0_14default_configELb1EPKhPhPKlPlN2at6native12_GLOBAL__N_18offset_tEEE10hipError_tPvRmT1_PNSt15iterator_traitsISY_E10value_typeET2_T3_PNSZ_IS14_E10value_typeET4_jRbjT5_S1A_jjP12ihipStream_tbEUljE_EEESV_SW_SX_S14_S18_S1A_T6_T7_T9_mT8_S1C_bDpT10_ENKUlT_T0_E_clISt17integral_constantIbLb0EES1P_EEDaS1K_S1L_EUlS1K_E_NS1_11comp_targetILNS1_3genE3ELNS1_11target_archE908ELNS1_3gpuE7ELNS1_3repE0EEENS1_30default_config_static_selectorELNS0_4arch9wavefront6targetE0EEEvSY_.numbered_sgpr, 0
	.set _ZN7rocprim17ROCPRIM_400000_NS6detail17trampoline_kernelINS0_13select_configILj256ELj13ELNS0_17block_load_methodE3ELS4_3ELS4_3ELNS0_20block_scan_algorithmE0ELj4294967295EEENS1_25partition_config_selectorILNS1_17partition_subalgoE3EjNS0_10empty_typeEbEEZZNS1_14partition_implILS8_3ELb0ES6_jNS0_17counting_iteratorIjlEEPS9_SE_NS0_5tupleIJPjSE_EEENSF_IJSE_SE_EEES9_SG_JZNS1_25segmented_radix_sort_implINS0_14default_configELb1EPKhPhPKlPlN2at6native12_GLOBAL__N_18offset_tEEE10hipError_tPvRmT1_PNSt15iterator_traitsISY_E10value_typeET2_T3_PNSZ_IS14_E10value_typeET4_jRbjT5_S1A_jjP12ihipStream_tbEUljE_EEESV_SW_SX_S14_S18_S1A_T6_T7_T9_mT8_S1C_bDpT10_ENKUlT_T0_E_clISt17integral_constantIbLb0EES1P_EEDaS1K_S1L_EUlS1K_E_NS1_11comp_targetILNS1_3genE3ELNS1_11target_archE908ELNS1_3gpuE7ELNS1_3repE0EEENS1_30default_config_static_selectorELNS0_4arch9wavefront6targetE0EEEvSY_.num_named_barrier, 0
	.set _ZN7rocprim17ROCPRIM_400000_NS6detail17trampoline_kernelINS0_13select_configILj256ELj13ELNS0_17block_load_methodE3ELS4_3ELS4_3ELNS0_20block_scan_algorithmE0ELj4294967295EEENS1_25partition_config_selectorILNS1_17partition_subalgoE3EjNS0_10empty_typeEbEEZZNS1_14partition_implILS8_3ELb0ES6_jNS0_17counting_iteratorIjlEEPS9_SE_NS0_5tupleIJPjSE_EEENSF_IJSE_SE_EEES9_SG_JZNS1_25segmented_radix_sort_implINS0_14default_configELb1EPKhPhPKlPlN2at6native12_GLOBAL__N_18offset_tEEE10hipError_tPvRmT1_PNSt15iterator_traitsISY_E10value_typeET2_T3_PNSZ_IS14_E10value_typeET4_jRbjT5_S1A_jjP12ihipStream_tbEUljE_EEESV_SW_SX_S14_S18_S1A_T6_T7_T9_mT8_S1C_bDpT10_ENKUlT_T0_E_clISt17integral_constantIbLb0EES1P_EEDaS1K_S1L_EUlS1K_E_NS1_11comp_targetILNS1_3genE3ELNS1_11target_archE908ELNS1_3gpuE7ELNS1_3repE0EEENS1_30default_config_static_selectorELNS0_4arch9wavefront6targetE0EEEvSY_.private_seg_size, 0
	.set _ZN7rocprim17ROCPRIM_400000_NS6detail17trampoline_kernelINS0_13select_configILj256ELj13ELNS0_17block_load_methodE3ELS4_3ELS4_3ELNS0_20block_scan_algorithmE0ELj4294967295EEENS1_25partition_config_selectorILNS1_17partition_subalgoE3EjNS0_10empty_typeEbEEZZNS1_14partition_implILS8_3ELb0ES6_jNS0_17counting_iteratorIjlEEPS9_SE_NS0_5tupleIJPjSE_EEENSF_IJSE_SE_EEES9_SG_JZNS1_25segmented_radix_sort_implINS0_14default_configELb1EPKhPhPKlPlN2at6native12_GLOBAL__N_18offset_tEEE10hipError_tPvRmT1_PNSt15iterator_traitsISY_E10value_typeET2_T3_PNSZ_IS14_E10value_typeET4_jRbjT5_S1A_jjP12ihipStream_tbEUljE_EEESV_SW_SX_S14_S18_S1A_T6_T7_T9_mT8_S1C_bDpT10_ENKUlT_T0_E_clISt17integral_constantIbLb0EES1P_EEDaS1K_S1L_EUlS1K_E_NS1_11comp_targetILNS1_3genE3ELNS1_11target_archE908ELNS1_3gpuE7ELNS1_3repE0EEENS1_30default_config_static_selectorELNS0_4arch9wavefront6targetE0EEEvSY_.uses_vcc, 0
	.set _ZN7rocprim17ROCPRIM_400000_NS6detail17trampoline_kernelINS0_13select_configILj256ELj13ELNS0_17block_load_methodE3ELS4_3ELS4_3ELNS0_20block_scan_algorithmE0ELj4294967295EEENS1_25partition_config_selectorILNS1_17partition_subalgoE3EjNS0_10empty_typeEbEEZZNS1_14partition_implILS8_3ELb0ES6_jNS0_17counting_iteratorIjlEEPS9_SE_NS0_5tupleIJPjSE_EEENSF_IJSE_SE_EEES9_SG_JZNS1_25segmented_radix_sort_implINS0_14default_configELb1EPKhPhPKlPlN2at6native12_GLOBAL__N_18offset_tEEE10hipError_tPvRmT1_PNSt15iterator_traitsISY_E10value_typeET2_T3_PNSZ_IS14_E10value_typeET4_jRbjT5_S1A_jjP12ihipStream_tbEUljE_EEESV_SW_SX_S14_S18_S1A_T6_T7_T9_mT8_S1C_bDpT10_ENKUlT_T0_E_clISt17integral_constantIbLb0EES1P_EEDaS1K_S1L_EUlS1K_E_NS1_11comp_targetILNS1_3genE3ELNS1_11target_archE908ELNS1_3gpuE7ELNS1_3repE0EEENS1_30default_config_static_selectorELNS0_4arch9wavefront6targetE0EEEvSY_.uses_flat_scratch, 0
	.set _ZN7rocprim17ROCPRIM_400000_NS6detail17trampoline_kernelINS0_13select_configILj256ELj13ELNS0_17block_load_methodE3ELS4_3ELS4_3ELNS0_20block_scan_algorithmE0ELj4294967295EEENS1_25partition_config_selectorILNS1_17partition_subalgoE3EjNS0_10empty_typeEbEEZZNS1_14partition_implILS8_3ELb0ES6_jNS0_17counting_iteratorIjlEEPS9_SE_NS0_5tupleIJPjSE_EEENSF_IJSE_SE_EEES9_SG_JZNS1_25segmented_radix_sort_implINS0_14default_configELb1EPKhPhPKlPlN2at6native12_GLOBAL__N_18offset_tEEE10hipError_tPvRmT1_PNSt15iterator_traitsISY_E10value_typeET2_T3_PNSZ_IS14_E10value_typeET4_jRbjT5_S1A_jjP12ihipStream_tbEUljE_EEESV_SW_SX_S14_S18_S1A_T6_T7_T9_mT8_S1C_bDpT10_ENKUlT_T0_E_clISt17integral_constantIbLb0EES1P_EEDaS1K_S1L_EUlS1K_E_NS1_11comp_targetILNS1_3genE3ELNS1_11target_archE908ELNS1_3gpuE7ELNS1_3repE0EEENS1_30default_config_static_selectorELNS0_4arch9wavefront6targetE0EEEvSY_.has_dyn_sized_stack, 0
	.set _ZN7rocprim17ROCPRIM_400000_NS6detail17trampoline_kernelINS0_13select_configILj256ELj13ELNS0_17block_load_methodE3ELS4_3ELS4_3ELNS0_20block_scan_algorithmE0ELj4294967295EEENS1_25partition_config_selectorILNS1_17partition_subalgoE3EjNS0_10empty_typeEbEEZZNS1_14partition_implILS8_3ELb0ES6_jNS0_17counting_iteratorIjlEEPS9_SE_NS0_5tupleIJPjSE_EEENSF_IJSE_SE_EEES9_SG_JZNS1_25segmented_radix_sort_implINS0_14default_configELb1EPKhPhPKlPlN2at6native12_GLOBAL__N_18offset_tEEE10hipError_tPvRmT1_PNSt15iterator_traitsISY_E10value_typeET2_T3_PNSZ_IS14_E10value_typeET4_jRbjT5_S1A_jjP12ihipStream_tbEUljE_EEESV_SW_SX_S14_S18_S1A_T6_T7_T9_mT8_S1C_bDpT10_ENKUlT_T0_E_clISt17integral_constantIbLb0EES1P_EEDaS1K_S1L_EUlS1K_E_NS1_11comp_targetILNS1_3genE3ELNS1_11target_archE908ELNS1_3gpuE7ELNS1_3repE0EEENS1_30default_config_static_selectorELNS0_4arch9wavefront6targetE0EEEvSY_.has_recursion, 0
	.set _ZN7rocprim17ROCPRIM_400000_NS6detail17trampoline_kernelINS0_13select_configILj256ELj13ELNS0_17block_load_methodE3ELS4_3ELS4_3ELNS0_20block_scan_algorithmE0ELj4294967295EEENS1_25partition_config_selectorILNS1_17partition_subalgoE3EjNS0_10empty_typeEbEEZZNS1_14partition_implILS8_3ELb0ES6_jNS0_17counting_iteratorIjlEEPS9_SE_NS0_5tupleIJPjSE_EEENSF_IJSE_SE_EEES9_SG_JZNS1_25segmented_radix_sort_implINS0_14default_configELb1EPKhPhPKlPlN2at6native12_GLOBAL__N_18offset_tEEE10hipError_tPvRmT1_PNSt15iterator_traitsISY_E10value_typeET2_T3_PNSZ_IS14_E10value_typeET4_jRbjT5_S1A_jjP12ihipStream_tbEUljE_EEESV_SW_SX_S14_S18_S1A_T6_T7_T9_mT8_S1C_bDpT10_ENKUlT_T0_E_clISt17integral_constantIbLb0EES1P_EEDaS1K_S1L_EUlS1K_E_NS1_11comp_targetILNS1_3genE3ELNS1_11target_archE908ELNS1_3gpuE7ELNS1_3repE0EEENS1_30default_config_static_selectorELNS0_4arch9wavefront6targetE0EEEvSY_.has_indirect_call, 0
	.section	.AMDGPU.csdata,"",@progbits
; Kernel info:
; codeLenInByte = 0
; TotalNumSgprs: 0
; NumVgprs: 0
; ScratchSize: 0
; MemoryBound: 0
; FloatMode: 240
; IeeeMode: 1
; LDSByteSize: 0 bytes/workgroup (compile time only)
; SGPRBlocks: 0
; VGPRBlocks: 0
; NumSGPRsForWavesPerEU: 1
; NumVGPRsForWavesPerEU: 1
; Occupancy: 16
; WaveLimiterHint : 0
; COMPUTE_PGM_RSRC2:SCRATCH_EN: 0
; COMPUTE_PGM_RSRC2:USER_SGPR: 6
; COMPUTE_PGM_RSRC2:TRAP_HANDLER: 0
; COMPUTE_PGM_RSRC2:TGID_X_EN: 1
; COMPUTE_PGM_RSRC2:TGID_Y_EN: 0
; COMPUTE_PGM_RSRC2:TGID_Z_EN: 0
; COMPUTE_PGM_RSRC2:TIDIG_COMP_CNT: 0
	.section	.text._ZN7rocprim17ROCPRIM_400000_NS6detail17trampoline_kernelINS0_13select_configILj256ELj13ELNS0_17block_load_methodE3ELS4_3ELS4_3ELNS0_20block_scan_algorithmE0ELj4294967295EEENS1_25partition_config_selectorILNS1_17partition_subalgoE3EjNS0_10empty_typeEbEEZZNS1_14partition_implILS8_3ELb0ES6_jNS0_17counting_iteratorIjlEEPS9_SE_NS0_5tupleIJPjSE_EEENSF_IJSE_SE_EEES9_SG_JZNS1_25segmented_radix_sort_implINS0_14default_configELb1EPKhPhPKlPlN2at6native12_GLOBAL__N_18offset_tEEE10hipError_tPvRmT1_PNSt15iterator_traitsISY_E10value_typeET2_T3_PNSZ_IS14_E10value_typeET4_jRbjT5_S1A_jjP12ihipStream_tbEUljE_EEESV_SW_SX_S14_S18_S1A_T6_T7_T9_mT8_S1C_bDpT10_ENKUlT_T0_E_clISt17integral_constantIbLb0EES1P_EEDaS1K_S1L_EUlS1K_E_NS1_11comp_targetILNS1_3genE2ELNS1_11target_archE906ELNS1_3gpuE6ELNS1_3repE0EEENS1_30default_config_static_selectorELNS0_4arch9wavefront6targetE0EEEvSY_,"axG",@progbits,_ZN7rocprim17ROCPRIM_400000_NS6detail17trampoline_kernelINS0_13select_configILj256ELj13ELNS0_17block_load_methodE3ELS4_3ELS4_3ELNS0_20block_scan_algorithmE0ELj4294967295EEENS1_25partition_config_selectorILNS1_17partition_subalgoE3EjNS0_10empty_typeEbEEZZNS1_14partition_implILS8_3ELb0ES6_jNS0_17counting_iteratorIjlEEPS9_SE_NS0_5tupleIJPjSE_EEENSF_IJSE_SE_EEES9_SG_JZNS1_25segmented_radix_sort_implINS0_14default_configELb1EPKhPhPKlPlN2at6native12_GLOBAL__N_18offset_tEEE10hipError_tPvRmT1_PNSt15iterator_traitsISY_E10value_typeET2_T3_PNSZ_IS14_E10value_typeET4_jRbjT5_S1A_jjP12ihipStream_tbEUljE_EEESV_SW_SX_S14_S18_S1A_T6_T7_T9_mT8_S1C_bDpT10_ENKUlT_T0_E_clISt17integral_constantIbLb0EES1P_EEDaS1K_S1L_EUlS1K_E_NS1_11comp_targetILNS1_3genE2ELNS1_11target_archE906ELNS1_3gpuE6ELNS1_3repE0EEENS1_30default_config_static_selectorELNS0_4arch9wavefront6targetE0EEEvSY_,comdat
	.globl	_ZN7rocprim17ROCPRIM_400000_NS6detail17trampoline_kernelINS0_13select_configILj256ELj13ELNS0_17block_load_methodE3ELS4_3ELS4_3ELNS0_20block_scan_algorithmE0ELj4294967295EEENS1_25partition_config_selectorILNS1_17partition_subalgoE3EjNS0_10empty_typeEbEEZZNS1_14partition_implILS8_3ELb0ES6_jNS0_17counting_iteratorIjlEEPS9_SE_NS0_5tupleIJPjSE_EEENSF_IJSE_SE_EEES9_SG_JZNS1_25segmented_radix_sort_implINS0_14default_configELb1EPKhPhPKlPlN2at6native12_GLOBAL__N_18offset_tEEE10hipError_tPvRmT1_PNSt15iterator_traitsISY_E10value_typeET2_T3_PNSZ_IS14_E10value_typeET4_jRbjT5_S1A_jjP12ihipStream_tbEUljE_EEESV_SW_SX_S14_S18_S1A_T6_T7_T9_mT8_S1C_bDpT10_ENKUlT_T0_E_clISt17integral_constantIbLb0EES1P_EEDaS1K_S1L_EUlS1K_E_NS1_11comp_targetILNS1_3genE2ELNS1_11target_archE906ELNS1_3gpuE6ELNS1_3repE0EEENS1_30default_config_static_selectorELNS0_4arch9wavefront6targetE0EEEvSY_ ; -- Begin function _ZN7rocprim17ROCPRIM_400000_NS6detail17trampoline_kernelINS0_13select_configILj256ELj13ELNS0_17block_load_methodE3ELS4_3ELS4_3ELNS0_20block_scan_algorithmE0ELj4294967295EEENS1_25partition_config_selectorILNS1_17partition_subalgoE3EjNS0_10empty_typeEbEEZZNS1_14partition_implILS8_3ELb0ES6_jNS0_17counting_iteratorIjlEEPS9_SE_NS0_5tupleIJPjSE_EEENSF_IJSE_SE_EEES9_SG_JZNS1_25segmented_radix_sort_implINS0_14default_configELb1EPKhPhPKlPlN2at6native12_GLOBAL__N_18offset_tEEE10hipError_tPvRmT1_PNSt15iterator_traitsISY_E10value_typeET2_T3_PNSZ_IS14_E10value_typeET4_jRbjT5_S1A_jjP12ihipStream_tbEUljE_EEESV_SW_SX_S14_S18_S1A_T6_T7_T9_mT8_S1C_bDpT10_ENKUlT_T0_E_clISt17integral_constantIbLb0EES1P_EEDaS1K_S1L_EUlS1K_E_NS1_11comp_targetILNS1_3genE2ELNS1_11target_archE906ELNS1_3gpuE6ELNS1_3repE0EEENS1_30default_config_static_selectorELNS0_4arch9wavefront6targetE0EEEvSY_
	.p2align	8
	.type	_ZN7rocprim17ROCPRIM_400000_NS6detail17trampoline_kernelINS0_13select_configILj256ELj13ELNS0_17block_load_methodE3ELS4_3ELS4_3ELNS0_20block_scan_algorithmE0ELj4294967295EEENS1_25partition_config_selectorILNS1_17partition_subalgoE3EjNS0_10empty_typeEbEEZZNS1_14partition_implILS8_3ELb0ES6_jNS0_17counting_iteratorIjlEEPS9_SE_NS0_5tupleIJPjSE_EEENSF_IJSE_SE_EEES9_SG_JZNS1_25segmented_radix_sort_implINS0_14default_configELb1EPKhPhPKlPlN2at6native12_GLOBAL__N_18offset_tEEE10hipError_tPvRmT1_PNSt15iterator_traitsISY_E10value_typeET2_T3_PNSZ_IS14_E10value_typeET4_jRbjT5_S1A_jjP12ihipStream_tbEUljE_EEESV_SW_SX_S14_S18_S1A_T6_T7_T9_mT8_S1C_bDpT10_ENKUlT_T0_E_clISt17integral_constantIbLb0EES1P_EEDaS1K_S1L_EUlS1K_E_NS1_11comp_targetILNS1_3genE2ELNS1_11target_archE906ELNS1_3gpuE6ELNS1_3repE0EEENS1_30default_config_static_selectorELNS0_4arch9wavefront6targetE0EEEvSY_,@function
_ZN7rocprim17ROCPRIM_400000_NS6detail17trampoline_kernelINS0_13select_configILj256ELj13ELNS0_17block_load_methodE3ELS4_3ELS4_3ELNS0_20block_scan_algorithmE0ELj4294967295EEENS1_25partition_config_selectorILNS1_17partition_subalgoE3EjNS0_10empty_typeEbEEZZNS1_14partition_implILS8_3ELb0ES6_jNS0_17counting_iteratorIjlEEPS9_SE_NS0_5tupleIJPjSE_EEENSF_IJSE_SE_EEES9_SG_JZNS1_25segmented_radix_sort_implINS0_14default_configELb1EPKhPhPKlPlN2at6native12_GLOBAL__N_18offset_tEEE10hipError_tPvRmT1_PNSt15iterator_traitsISY_E10value_typeET2_T3_PNSZ_IS14_E10value_typeET4_jRbjT5_S1A_jjP12ihipStream_tbEUljE_EEESV_SW_SX_S14_S18_S1A_T6_T7_T9_mT8_S1C_bDpT10_ENKUlT_T0_E_clISt17integral_constantIbLb0EES1P_EEDaS1K_S1L_EUlS1K_E_NS1_11comp_targetILNS1_3genE2ELNS1_11target_archE906ELNS1_3gpuE6ELNS1_3repE0EEENS1_30default_config_static_selectorELNS0_4arch9wavefront6targetE0EEEvSY_: ; @_ZN7rocprim17ROCPRIM_400000_NS6detail17trampoline_kernelINS0_13select_configILj256ELj13ELNS0_17block_load_methodE3ELS4_3ELS4_3ELNS0_20block_scan_algorithmE0ELj4294967295EEENS1_25partition_config_selectorILNS1_17partition_subalgoE3EjNS0_10empty_typeEbEEZZNS1_14partition_implILS8_3ELb0ES6_jNS0_17counting_iteratorIjlEEPS9_SE_NS0_5tupleIJPjSE_EEENSF_IJSE_SE_EEES9_SG_JZNS1_25segmented_radix_sort_implINS0_14default_configELb1EPKhPhPKlPlN2at6native12_GLOBAL__N_18offset_tEEE10hipError_tPvRmT1_PNSt15iterator_traitsISY_E10value_typeET2_T3_PNSZ_IS14_E10value_typeET4_jRbjT5_S1A_jjP12ihipStream_tbEUljE_EEESV_SW_SX_S14_S18_S1A_T6_T7_T9_mT8_S1C_bDpT10_ENKUlT_T0_E_clISt17integral_constantIbLb0EES1P_EEDaS1K_S1L_EUlS1K_E_NS1_11comp_targetILNS1_3genE2ELNS1_11target_archE906ELNS1_3gpuE6ELNS1_3repE0EEENS1_30default_config_static_selectorELNS0_4arch9wavefront6targetE0EEEvSY_
; %bb.0:
	.section	.rodata,"a",@progbits
	.p2align	6, 0x0
	.amdhsa_kernel _ZN7rocprim17ROCPRIM_400000_NS6detail17trampoline_kernelINS0_13select_configILj256ELj13ELNS0_17block_load_methodE3ELS4_3ELS4_3ELNS0_20block_scan_algorithmE0ELj4294967295EEENS1_25partition_config_selectorILNS1_17partition_subalgoE3EjNS0_10empty_typeEbEEZZNS1_14partition_implILS8_3ELb0ES6_jNS0_17counting_iteratorIjlEEPS9_SE_NS0_5tupleIJPjSE_EEENSF_IJSE_SE_EEES9_SG_JZNS1_25segmented_radix_sort_implINS0_14default_configELb1EPKhPhPKlPlN2at6native12_GLOBAL__N_18offset_tEEE10hipError_tPvRmT1_PNSt15iterator_traitsISY_E10value_typeET2_T3_PNSZ_IS14_E10value_typeET4_jRbjT5_S1A_jjP12ihipStream_tbEUljE_EEESV_SW_SX_S14_S18_S1A_T6_T7_T9_mT8_S1C_bDpT10_ENKUlT_T0_E_clISt17integral_constantIbLb0EES1P_EEDaS1K_S1L_EUlS1K_E_NS1_11comp_targetILNS1_3genE2ELNS1_11target_archE906ELNS1_3gpuE6ELNS1_3repE0EEENS1_30default_config_static_selectorELNS0_4arch9wavefront6targetE0EEEvSY_
		.amdhsa_group_segment_fixed_size 0
		.amdhsa_private_segment_fixed_size 0
		.amdhsa_kernarg_size 144
		.amdhsa_user_sgpr_count 6
		.amdhsa_user_sgpr_private_segment_buffer 1
		.amdhsa_user_sgpr_dispatch_ptr 0
		.amdhsa_user_sgpr_queue_ptr 0
		.amdhsa_user_sgpr_kernarg_segment_ptr 1
		.amdhsa_user_sgpr_dispatch_id 0
		.amdhsa_user_sgpr_flat_scratch_init 0
		.amdhsa_user_sgpr_private_segment_size 0
		.amdhsa_wavefront_size32 1
		.amdhsa_uses_dynamic_stack 0
		.amdhsa_system_sgpr_private_segment_wavefront_offset 0
		.amdhsa_system_sgpr_workgroup_id_x 1
		.amdhsa_system_sgpr_workgroup_id_y 0
		.amdhsa_system_sgpr_workgroup_id_z 0
		.amdhsa_system_sgpr_workgroup_info 0
		.amdhsa_system_vgpr_workitem_id 0
		.amdhsa_next_free_vgpr 1
		.amdhsa_next_free_sgpr 1
		.amdhsa_reserve_vcc 0
		.amdhsa_reserve_flat_scratch 0
		.amdhsa_float_round_mode_32 0
		.amdhsa_float_round_mode_16_64 0
		.amdhsa_float_denorm_mode_32 3
		.amdhsa_float_denorm_mode_16_64 3
		.amdhsa_dx10_clamp 1
		.amdhsa_ieee_mode 1
		.amdhsa_fp16_overflow 0
		.amdhsa_workgroup_processor_mode 1
		.amdhsa_memory_ordered 1
		.amdhsa_forward_progress 1
		.amdhsa_shared_vgpr_count 0
		.amdhsa_exception_fp_ieee_invalid_op 0
		.amdhsa_exception_fp_denorm_src 0
		.amdhsa_exception_fp_ieee_div_zero 0
		.amdhsa_exception_fp_ieee_overflow 0
		.amdhsa_exception_fp_ieee_underflow 0
		.amdhsa_exception_fp_ieee_inexact 0
		.amdhsa_exception_int_div_zero 0
	.end_amdhsa_kernel
	.section	.text._ZN7rocprim17ROCPRIM_400000_NS6detail17trampoline_kernelINS0_13select_configILj256ELj13ELNS0_17block_load_methodE3ELS4_3ELS4_3ELNS0_20block_scan_algorithmE0ELj4294967295EEENS1_25partition_config_selectorILNS1_17partition_subalgoE3EjNS0_10empty_typeEbEEZZNS1_14partition_implILS8_3ELb0ES6_jNS0_17counting_iteratorIjlEEPS9_SE_NS0_5tupleIJPjSE_EEENSF_IJSE_SE_EEES9_SG_JZNS1_25segmented_radix_sort_implINS0_14default_configELb1EPKhPhPKlPlN2at6native12_GLOBAL__N_18offset_tEEE10hipError_tPvRmT1_PNSt15iterator_traitsISY_E10value_typeET2_T3_PNSZ_IS14_E10value_typeET4_jRbjT5_S1A_jjP12ihipStream_tbEUljE_EEESV_SW_SX_S14_S18_S1A_T6_T7_T9_mT8_S1C_bDpT10_ENKUlT_T0_E_clISt17integral_constantIbLb0EES1P_EEDaS1K_S1L_EUlS1K_E_NS1_11comp_targetILNS1_3genE2ELNS1_11target_archE906ELNS1_3gpuE6ELNS1_3repE0EEENS1_30default_config_static_selectorELNS0_4arch9wavefront6targetE0EEEvSY_,"axG",@progbits,_ZN7rocprim17ROCPRIM_400000_NS6detail17trampoline_kernelINS0_13select_configILj256ELj13ELNS0_17block_load_methodE3ELS4_3ELS4_3ELNS0_20block_scan_algorithmE0ELj4294967295EEENS1_25partition_config_selectorILNS1_17partition_subalgoE3EjNS0_10empty_typeEbEEZZNS1_14partition_implILS8_3ELb0ES6_jNS0_17counting_iteratorIjlEEPS9_SE_NS0_5tupleIJPjSE_EEENSF_IJSE_SE_EEES9_SG_JZNS1_25segmented_radix_sort_implINS0_14default_configELb1EPKhPhPKlPlN2at6native12_GLOBAL__N_18offset_tEEE10hipError_tPvRmT1_PNSt15iterator_traitsISY_E10value_typeET2_T3_PNSZ_IS14_E10value_typeET4_jRbjT5_S1A_jjP12ihipStream_tbEUljE_EEESV_SW_SX_S14_S18_S1A_T6_T7_T9_mT8_S1C_bDpT10_ENKUlT_T0_E_clISt17integral_constantIbLb0EES1P_EEDaS1K_S1L_EUlS1K_E_NS1_11comp_targetILNS1_3genE2ELNS1_11target_archE906ELNS1_3gpuE6ELNS1_3repE0EEENS1_30default_config_static_selectorELNS0_4arch9wavefront6targetE0EEEvSY_,comdat
.Lfunc_end52:
	.size	_ZN7rocprim17ROCPRIM_400000_NS6detail17trampoline_kernelINS0_13select_configILj256ELj13ELNS0_17block_load_methodE3ELS4_3ELS4_3ELNS0_20block_scan_algorithmE0ELj4294967295EEENS1_25partition_config_selectorILNS1_17partition_subalgoE3EjNS0_10empty_typeEbEEZZNS1_14partition_implILS8_3ELb0ES6_jNS0_17counting_iteratorIjlEEPS9_SE_NS0_5tupleIJPjSE_EEENSF_IJSE_SE_EEES9_SG_JZNS1_25segmented_radix_sort_implINS0_14default_configELb1EPKhPhPKlPlN2at6native12_GLOBAL__N_18offset_tEEE10hipError_tPvRmT1_PNSt15iterator_traitsISY_E10value_typeET2_T3_PNSZ_IS14_E10value_typeET4_jRbjT5_S1A_jjP12ihipStream_tbEUljE_EEESV_SW_SX_S14_S18_S1A_T6_T7_T9_mT8_S1C_bDpT10_ENKUlT_T0_E_clISt17integral_constantIbLb0EES1P_EEDaS1K_S1L_EUlS1K_E_NS1_11comp_targetILNS1_3genE2ELNS1_11target_archE906ELNS1_3gpuE6ELNS1_3repE0EEENS1_30default_config_static_selectorELNS0_4arch9wavefront6targetE0EEEvSY_, .Lfunc_end52-_ZN7rocprim17ROCPRIM_400000_NS6detail17trampoline_kernelINS0_13select_configILj256ELj13ELNS0_17block_load_methodE3ELS4_3ELS4_3ELNS0_20block_scan_algorithmE0ELj4294967295EEENS1_25partition_config_selectorILNS1_17partition_subalgoE3EjNS0_10empty_typeEbEEZZNS1_14partition_implILS8_3ELb0ES6_jNS0_17counting_iteratorIjlEEPS9_SE_NS0_5tupleIJPjSE_EEENSF_IJSE_SE_EEES9_SG_JZNS1_25segmented_radix_sort_implINS0_14default_configELb1EPKhPhPKlPlN2at6native12_GLOBAL__N_18offset_tEEE10hipError_tPvRmT1_PNSt15iterator_traitsISY_E10value_typeET2_T3_PNSZ_IS14_E10value_typeET4_jRbjT5_S1A_jjP12ihipStream_tbEUljE_EEESV_SW_SX_S14_S18_S1A_T6_T7_T9_mT8_S1C_bDpT10_ENKUlT_T0_E_clISt17integral_constantIbLb0EES1P_EEDaS1K_S1L_EUlS1K_E_NS1_11comp_targetILNS1_3genE2ELNS1_11target_archE906ELNS1_3gpuE6ELNS1_3repE0EEENS1_30default_config_static_selectorELNS0_4arch9wavefront6targetE0EEEvSY_
                                        ; -- End function
	.set _ZN7rocprim17ROCPRIM_400000_NS6detail17trampoline_kernelINS0_13select_configILj256ELj13ELNS0_17block_load_methodE3ELS4_3ELS4_3ELNS0_20block_scan_algorithmE0ELj4294967295EEENS1_25partition_config_selectorILNS1_17partition_subalgoE3EjNS0_10empty_typeEbEEZZNS1_14partition_implILS8_3ELb0ES6_jNS0_17counting_iteratorIjlEEPS9_SE_NS0_5tupleIJPjSE_EEENSF_IJSE_SE_EEES9_SG_JZNS1_25segmented_radix_sort_implINS0_14default_configELb1EPKhPhPKlPlN2at6native12_GLOBAL__N_18offset_tEEE10hipError_tPvRmT1_PNSt15iterator_traitsISY_E10value_typeET2_T3_PNSZ_IS14_E10value_typeET4_jRbjT5_S1A_jjP12ihipStream_tbEUljE_EEESV_SW_SX_S14_S18_S1A_T6_T7_T9_mT8_S1C_bDpT10_ENKUlT_T0_E_clISt17integral_constantIbLb0EES1P_EEDaS1K_S1L_EUlS1K_E_NS1_11comp_targetILNS1_3genE2ELNS1_11target_archE906ELNS1_3gpuE6ELNS1_3repE0EEENS1_30default_config_static_selectorELNS0_4arch9wavefront6targetE0EEEvSY_.num_vgpr, 0
	.set _ZN7rocprim17ROCPRIM_400000_NS6detail17trampoline_kernelINS0_13select_configILj256ELj13ELNS0_17block_load_methodE3ELS4_3ELS4_3ELNS0_20block_scan_algorithmE0ELj4294967295EEENS1_25partition_config_selectorILNS1_17partition_subalgoE3EjNS0_10empty_typeEbEEZZNS1_14partition_implILS8_3ELb0ES6_jNS0_17counting_iteratorIjlEEPS9_SE_NS0_5tupleIJPjSE_EEENSF_IJSE_SE_EEES9_SG_JZNS1_25segmented_radix_sort_implINS0_14default_configELb1EPKhPhPKlPlN2at6native12_GLOBAL__N_18offset_tEEE10hipError_tPvRmT1_PNSt15iterator_traitsISY_E10value_typeET2_T3_PNSZ_IS14_E10value_typeET4_jRbjT5_S1A_jjP12ihipStream_tbEUljE_EEESV_SW_SX_S14_S18_S1A_T6_T7_T9_mT8_S1C_bDpT10_ENKUlT_T0_E_clISt17integral_constantIbLb0EES1P_EEDaS1K_S1L_EUlS1K_E_NS1_11comp_targetILNS1_3genE2ELNS1_11target_archE906ELNS1_3gpuE6ELNS1_3repE0EEENS1_30default_config_static_selectorELNS0_4arch9wavefront6targetE0EEEvSY_.num_agpr, 0
	.set _ZN7rocprim17ROCPRIM_400000_NS6detail17trampoline_kernelINS0_13select_configILj256ELj13ELNS0_17block_load_methodE3ELS4_3ELS4_3ELNS0_20block_scan_algorithmE0ELj4294967295EEENS1_25partition_config_selectorILNS1_17partition_subalgoE3EjNS0_10empty_typeEbEEZZNS1_14partition_implILS8_3ELb0ES6_jNS0_17counting_iteratorIjlEEPS9_SE_NS0_5tupleIJPjSE_EEENSF_IJSE_SE_EEES9_SG_JZNS1_25segmented_radix_sort_implINS0_14default_configELb1EPKhPhPKlPlN2at6native12_GLOBAL__N_18offset_tEEE10hipError_tPvRmT1_PNSt15iterator_traitsISY_E10value_typeET2_T3_PNSZ_IS14_E10value_typeET4_jRbjT5_S1A_jjP12ihipStream_tbEUljE_EEESV_SW_SX_S14_S18_S1A_T6_T7_T9_mT8_S1C_bDpT10_ENKUlT_T0_E_clISt17integral_constantIbLb0EES1P_EEDaS1K_S1L_EUlS1K_E_NS1_11comp_targetILNS1_3genE2ELNS1_11target_archE906ELNS1_3gpuE6ELNS1_3repE0EEENS1_30default_config_static_selectorELNS0_4arch9wavefront6targetE0EEEvSY_.numbered_sgpr, 0
	.set _ZN7rocprim17ROCPRIM_400000_NS6detail17trampoline_kernelINS0_13select_configILj256ELj13ELNS0_17block_load_methodE3ELS4_3ELS4_3ELNS0_20block_scan_algorithmE0ELj4294967295EEENS1_25partition_config_selectorILNS1_17partition_subalgoE3EjNS0_10empty_typeEbEEZZNS1_14partition_implILS8_3ELb0ES6_jNS0_17counting_iteratorIjlEEPS9_SE_NS0_5tupleIJPjSE_EEENSF_IJSE_SE_EEES9_SG_JZNS1_25segmented_radix_sort_implINS0_14default_configELb1EPKhPhPKlPlN2at6native12_GLOBAL__N_18offset_tEEE10hipError_tPvRmT1_PNSt15iterator_traitsISY_E10value_typeET2_T3_PNSZ_IS14_E10value_typeET4_jRbjT5_S1A_jjP12ihipStream_tbEUljE_EEESV_SW_SX_S14_S18_S1A_T6_T7_T9_mT8_S1C_bDpT10_ENKUlT_T0_E_clISt17integral_constantIbLb0EES1P_EEDaS1K_S1L_EUlS1K_E_NS1_11comp_targetILNS1_3genE2ELNS1_11target_archE906ELNS1_3gpuE6ELNS1_3repE0EEENS1_30default_config_static_selectorELNS0_4arch9wavefront6targetE0EEEvSY_.num_named_barrier, 0
	.set _ZN7rocprim17ROCPRIM_400000_NS6detail17trampoline_kernelINS0_13select_configILj256ELj13ELNS0_17block_load_methodE3ELS4_3ELS4_3ELNS0_20block_scan_algorithmE0ELj4294967295EEENS1_25partition_config_selectorILNS1_17partition_subalgoE3EjNS0_10empty_typeEbEEZZNS1_14partition_implILS8_3ELb0ES6_jNS0_17counting_iteratorIjlEEPS9_SE_NS0_5tupleIJPjSE_EEENSF_IJSE_SE_EEES9_SG_JZNS1_25segmented_radix_sort_implINS0_14default_configELb1EPKhPhPKlPlN2at6native12_GLOBAL__N_18offset_tEEE10hipError_tPvRmT1_PNSt15iterator_traitsISY_E10value_typeET2_T3_PNSZ_IS14_E10value_typeET4_jRbjT5_S1A_jjP12ihipStream_tbEUljE_EEESV_SW_SX_S14_S18_S1A_T6_T7_T9_mT8_S1C_bDpT10_ENKUlT_T0_E_clISt17integral_constantIbLb0EES1P_EEDaS1K_S1L_EUlS1K_E_NS1_11comp_targetILNS1_3genE2ELNS1_11target_archE906ELNS1_3gpuE6ELNS1_3repE0EEENS1_30default_config_static_selectorELNS0_4arch9wavefront6targetE0EEEvSY_.private_seg_size, 0
	.set _ZN7rocprim17ROCPRIM_400000_NS6detail17trampoline_kernelINS0_13select_configILj256ELj13ELNS0_17block_load_methodE3ELS4_3ELS4_3ELNS0_20block_scan_algorithmE0ELj4294967295EEENS1_25partition_config_selectorILNS1_17partition_subalgoE3EjNS0_10empty_typeEbEEZZNS1_14partition_implILS8_3ELb0ES6_jNS0_17counting_iteratorIjlEEPS9_SE_NS0_5tupleIJPjSE_EEENSF_IJSE_SE_EEES9_SG_JZNS1_25segmented_radix_sort_implINS0_14default_configELb1EPKhPhPKlPlN2at6native12_GLOBAL__N_18offset_tEEE10hipError_tPvRmT1_PNSt15iterator_traitsISY_E10value_typeET2_T3_PNSZ_IS14_E10value_typeET4_jRbjT5_S1A_jjP12ihipStream_tbEUljE_EEESV_SW_SX_S14_S18_S1A_T6_T7_T9_mT8_S1C_bDpT10_ENKUlT_T0_E_clISt17integral_constantIbLb0EES1P_EEDaS1K_S1L_EUlS1K_E_NS1_11comp_targetILNS1_3genE2ELNS1_11target_archE906ELNS1_3gpuE6ELNS1_3repE0EEENS1_30default_config_static_selectorELNS0_4arch9wavefront6targetE0EEEvSY_.uses_vcc, 0
	.set _ZN7rocprim17ROCPRIM_400000_NS6detail17trampoline_kernelINS0_13select_configILj256ELj13ELNS0_17block_load_methodE3ELS4_3ELS4_3ELNS0_20block_scan_algorithmE0ELj4294967295EEENS1_25partition_config_selectorILNS1_17partition_subalgoE3EjNS0_10empty_typeEbEEZZNS1_14partition_implILS8_3ELb0ES6_jNS0_17counting_iteratorIjlEEPS9_SE_NS0_5tupleIJPjSE_EEENSF_IJSE_SE_EEES9_SG_JZNS1_25segmented_radix_sort_implINS0_14default_configELb1EPKhPhPKlPlN2at6native12_GLOBAL__N_18offset_tEEE10hipError_tPvRmT1_PNSt15iterator_traitsISY_E10value_typeET2_T3_PNSZ_IS14_E10value_typeET4_jRbjT5_S1A_jjP12ihipStream_tbEUljE_EEESV_SW_SX_S14_S18_S1A_T6_T7_T9_mT8_S1C_bDpT10_ENKUlT_T0_E_clISt17integral_constantIbLb0EES1P_EEDaS1K_S1L_EUlS1K_E_NS1_11comp_targetILNS1_3genE2ELNS1_11target_archE906ELNS1_3gpuE6ELNS1_3repE0EEENS1_30default_config_static_selectorELNS0_4arch9wavefront6targetE0EEEvSY_.uses_flat_scratch, 0
	.set _ZN7rocprim17ROCPRIM_400000_NS6detail17trampoline_kernelINS0_13select_configILj256ELj13ELNS0_17block_load_methodE3ELS4_3ELS4_3ELNS0_20block_scan_algorithmE0ELj4294967295EEENS1_25partition_config_selectorILNS1_17partition_subalgoE3EjNS0_10empty_typeEbEEZZNS1_14partition_implILS8_3ELb0ES6_jNS0_17counting_iteratorIjlEEPS9_SE_NS0_5tupleIJPjSE_EEENSF_IJSE_SE_EEES9_SG_JZNS1_25segmented_radix_sort_implINS0_14default_configELb1EPKhPhPKlPlN2at6native12_GLOBAL__N_18offset_tEEE10hipError_tPvRmT1_PNSt15iterator_traitsISY_E10value_typeET2_T3_PNSZ_IS14_E10value_typeET4_jRbjT5_S1A_jjP12ihipStream_tbEUljE_EEESV_SW_SX_S14_S18_S1A_T6_T7_T9_mT8_S1C_bDpT10_ENKUlT_T0_E_clISt17integral_constantIbLb0EES1P_EEDaS1K_S1L_EUlS1K_E_NS1_11comp_targetILNS1_3genE2ELNS1_11target_archE906ELNS1_3gpuE6ELNS1_3repE0EEENS1_30default_config_static_selectorELNS0_4arch9wavefront6targetE0EEEvSY_.has_dyn_sized_stack, 0
	.set _ZN7rocprim17ROCPRIM_400000_NS6detail17trampoline_kernelINS0_13select_configILj256ELj13ELNS0_17block_load_methodE3ELS4_3ELS4_3ELNS0_20block_scan_algorithmE0ELj4294967295EEENS1_25partition_config_selectorILNS1_17partition_subalgoE3EjNS0_10empty_typeEbEEZZNS1_14partition_implILS8_3ELb0ES6_jNS0_17counting_iteratorIjlEEPS9_SE_NS0_5tupleIJPjSE_EEENSF_IJSE_SE_EEES9_SG_JZNS1_25segmented_radix_sort_implINS0_14default_configELb1EPKhPhPKlPlN2at6native12_GLOBAL__N_18offset_tEEE10hipError_tPvRmT1_PNSt15iterator_traitsISY_E10value_typeET2_T3_PNSZ_IS14_E10value_typeET4_jRbjT5_S1A_jjP12ihipStream_tbEUljE_EEESV_SW_SX_S14_S18_S1A_T6_T7_T9_mT8_S1C_bDpT10_ENKUlT_T0_E_clISt17integral_constantIbLb0EES1P_EEDaS1K_S1L_EUlS1K_E_NS1_11comp_targetILNS1_3genE2ELNS1_11target_archE906ELNS1_3gpuE6ELNS1_3repE0EEENS1_30default_config_static_selectorELNS0_4arch9wavefront6targetE0EEEvSY_.has_recursion, 0
	.set _ZN7rocprim17ROCPRIM_400000_NS6detail17trampoline_kernelINS0_13select_configILj256ELj13ELNS0_17block_load_methodE3ELS4_3ELS4_3ELNS0_20block_scan_algorithmE0ELj4294967295EEENS1_25partition_config_selectorILNS1_17partition_subalgoE3EjNS0_10empty_typeEbEEZZNS1_14partition_implILS8_3ELb0ES6_jNS0_17counting_iteratorIjlEEPS9_SE_NS0_5tupleIJPjSE_EEENSF_IJSE_SE_EEES9_SG_JZNS1_25segmented_radix_sort_implINS0_14default_configELb1EPKhPhPKlPlN2at6native12_GLOBAL__N_18offset_tEEE10hipError_tPvRmT1_PNSt15iterator_traitsISY_E10value_typeET2_T3_PNSZ_IS14_E10value_typeET4_jRbjT5_S1A_jjP12ihipStream_tbEUljE_EEESV_SW_SX_S14_S18_S1A_T6_T7_T9_mT8_S1C_bDpT10_ENKUlT_T0_E_clISt17integral_constantIbLb0EES1P_EEDaS1K_S1L_EUlS1K_E_NS1_11comp_targetILNS1_3genE2ELNS1_11target_archE906ELNS1_3gpuE6ELNS1_3repE0EEENS1_30default_config_static_selectorELNS0_4arch9wavefront6targetE0EEEvSY_.has_indirect_call, 0
	.section	.AMDGPU.csdata,"",@progbits
; Kernel info:
; codeLenInByte = 0
; TotalNumSgprs: 0
; NumVgprs: 0
; ScratchSize: 0
; MemoryBound: 0
; FloatMode: 240
; IeeeMode: 1
; LDSByteSize: 0 bytes/workgroup (compile time only)
; SGPRBlocks: 0
; VGPRBlocks: 0
; NumSGPRsForWavesPerEU: 1
; NumVGPRsForWavesPerEU: 1
; Occupancy: 16
; WaveLimiterHint : 0
; COMPUTE_PGM_RSRC2:SCRATCH_EN: 0
; COMPUTE_PGM_RSRC2:USER_SGPR: 6
; COMPUTE_PGM_RSRC2:TRAP_HANDLER: 0
; COMPUTE_PGM_RSRC2:TGID_X_EN: 1
; COMPUTE_PGM_RSRC2:TGID_Y_EN: 0
; COMPUTE_PGM_RSRC2:TGID_Z_EN: 0
; COMPUTE_PGM_RSRC2:TIDIG_COMP_CNT: 0
	.section	.text._ZN7rocprim17ROCPRIM_400000_NS6detail17trampoline_kernelINS0_13select_configILj256ELj13ELNS0_17block_load_methodE3ELS4_3ELS4_3ELNS0_20block_scan_algorithmE0ELj4294967295EEENS1_25partition_config_selectorILNS1_17partition_subalgoE3EjNS0_10empty_typeEbEEZZNS1_14partition_implILS8_3ELb0ES6_jNS0_17counting_iteratorIjlEEPS9_SE_NS0_5tupleIJPjSE_EEENSF_IJSE_SE_EEES9_SG_JZNS1_25segmented_radix_sort_implINS0_14default_configELb1EPKhPhPKlPlN2at6native12_GLOBAL__N_18offset_tEEE10hipError_tPvRmT1_PNSt15iterator_traitsISY_E10value_typeET2_T3_PNSZ_IS14_E10value_typeET4_jRbjT5_S1A_jjP12ihipStream_tbEUljE_EEESV_SW_SX_S14_S18_S1A_T6_T7_T9_mT8_S1C_bDpT10_ENKUlT_T0_E_clISt17integral_constantIbLb0EES1P_EEDaS1K_S1L_EUlS1K_E_NS1_11comp_targetILNS1_3genE10ELNS1_11target_archE1200ELNS1_3gpuE4ELNS1_3repE0EEENS1_30default_config_static_selectorELNS0_4arch9wavefront6targetE0EEEvSY_,"axG",@progbits,_ZN7rocprim17ROCPRIM_400000_NS6detail17trampoline_kernelINS0_13select_configILj256ELj13ELNS0_17block_load_methodE3ELS4_3ELS4_3ELNS0_20block_scan_algorithmE0ELj4294967295EEENS1_25partition_config_selectorILNS1_17partition_subalgoE3EjNS0_10empty_typeEbEEZZNS1_14partition_implILS8_3ELb0ES6_jNS0_17counting_iteratorIjlEEPS9_SE_NS0_5tupleIJPjSE_EEENSF_IJSE_SE_EEES9_SG_JZNS1_25segmented_radix_sort_implINS0_14default_configELb1EPKhPhPKlPlN2at6native12_GLOBAL__N_18offset_tEEE10hipError_tPvRmT1_PNSt15iterator_traitsISY_E10value_typeET2_T3_PNSZ_IS14_E10value_typeET4_jRbjT5_S1A_jjP12ihipStream_tbEUljE_EEESV_SW_SX_S14_S18_S1A_T6_T7_T9_mT8_S1C_bDpT10_ENKUlT_T0_E_clISt17integral_constantIbLb0EES1P_EEDaS1K_S1L_EUlS1K_E_NS1_11comp_targetILNS1_3genE10ELNS1_11target_archE1200ELNS1_3gpuE4ELNS1_3repE0EEENS1_30default_config_static_selectorELNS0_4arch9wavefront6targetE0EEEvSY_,comdat
	.globl	_ZN7rocprim17ROCPRIM_400000_NS6detail17trampoline_kernelINS0_13select_configILj256ELj13ELNS0_17block_load_methodE3ELS4_3ELS4_3ELNS0_20block_scan_algorithmE0ELj4294967295EEENS1_25partition_config_selectorILNS1_17partition_subalgoE3EjNS0_10empty_typeEbEEZZNS1_14partition_implILS8_3ELb0ES6_jNS0_17counting_iteratorIjlEEPS9_SE_NS0_5tupleIJPjSE_EEENSF_IJSE_SE_EEES9_SG_JZNS1_25segmented_radix_sort_implINS0_14default_configELb1EPKhPhPKlPlN2at6native12_GLOBAL__N_18offset_tEEE10hipError_tPvRmT1_PNSt15iterator_traitsISY_E10value_typeET2_T3_PNSZ_IS14_E10value_typeET4_jRbjT5_S1A_jjP12ihipStream_tbEUljE_EEESV_SW_SX_S14_S18_S1A_T6_T7_T9_mT8_S1C_bDpT10_ENKUlT_T0_E_clISt17integral_constantIbLb0EES1P_EEDaS1K_S1L_EUlS1K_E_NS1_11comp_targetILNS1_3genE10ELNS1_11target_archE1200ELNS1_3gpuE4ELNS1_3repE0EEENS1_30default_config_static_selectorELNS0_4arch9wavefront6targetE0EEEvSY_ ; -- Begin function _ZN7rocprim17ROCPRIM_400000_NS6detail17trampoline_kernelINS0_13select_configILj256ELj13ELNS0_17block_load_methodE3ELS4_3ELS4_3ELNS0_20block_scan_algorithmE0ELj4294967295EEENS1_25partition_config_selectorILNS1_17partition_subalgoE3EjNS0_10empty_typeEbEEZZNS1_14partition_implILS8_3ELb0ES6_jNS0_17counting_iteratorIjlEEPS9_SE_NS0_5tupleIJPjSE_EEENSF_IJSE_SE_EEES9_SG_JZNS1_25segmented_radix_sort_implINS0_14default_configELb1EPKhPhPKlPlN2at6native12_GLOBAL__N_18offset_tEEE10hipError_tPvRmT1_PNSt15iterator_traitsISY_E10value_typeET2_T3_PNSZ_IS14_E10value_typeET4_jRbjT5_S1A_jjP12ihipStream_tbEUljE_EEESV_SW_SX_S14_S18_S1A_T6_T7_T9_mT8_S1C_bDpT10_ENKUlT_T0_E_clISt17integral_constantIbLb0EES1P_EEDaS1K_S1L_EUlS1K_E_NS1_11comp_targetILNS1_3genE10ELNS1_11target_archE1200ELNS1_3gpuE4ELNS1_3repE0EEENS1_30default_config_static_selectorELNS0_4arch9wavefront6targetE0EEEvSY_
	.p2align	8
	.type	_ZN7rocprim17ROCPRIM_400000_NS6detail17trampoline_kernelINS0_13select_configILj256ELj13ELNS0_17block_load_methodE3ELS4_3ELS4_3ELNS0_20block_scan_algorithmE0ELj4294967295EEENS1_25partition_config_selectorILNS1_17partition_subalgoE3EjNS0_10empty_typeEbEEZZNS1_14partition_implILS8_3ELb0ES6_jNS0_17counting_iteratorIjlEEPS9_SE_NS0_5tupleIJPjSE_EEENSF_IJSE_SE_EEES9_SG_JZNS1_25segmented_radix_sort_implINS0_14default_configELb1EPKhPhPKlPlN2at6native12_GLOBAL__N_18offset_tEEE10hipError_tPvRmT1_PNSt15iterator_traitsISY_E10value_typeET2_T3_PNSZ_IS14_E10value_typeET4_jRbjT5_S1A_jjP12ihipStream_tbEUljE_EEESV_SW_SX_S14_S18_S1A_T6_T7_T9_mT8_S1C_bDpT10_ENKUlT_T0_E_clISt17integral_constantIbLb0EES1P_EEDaS1K_S1L_EUlS1K_E_NS1_11comp_targetILNS1_3genE10ELNS1_11target_archE1200ELNS1_3gpuE4ELNS1_3repE0EEENS1_30default_config_static_selectorELNS0_4arch9wavefront6targetE0EEEvSY_,@function
_ZN7rocprim17ROCPRIM_400000_NS6detail17trampoline_kernelINS0_13select_configILj256ELj13ELNS0_17block_load_methodE3ELS4_3ELS4_3ELNS0_20block_scan_algorithmE0ELj4294967295EEENS1_25partition_config_selectorILNS1_17partition_subalgoE3EjNS0_10empty_typeEbEEZZNS1_14partition_implILS8_3ELb0ES6_jNS0_17counting_iteratorIjlEEPS9_SE_NS0_5tupleIJPjSE_EEENSF_IJSE_SE_EEES9_SG_JZNS1_25segmented_radix_sort_implINS0_14default_configELb1EPKhPhPKlPlN2at6native12_GLOBAL__N_18offset_tEEE10hipError_tPvRmT1_PNSt15iterator_traitsISY_E10value_typeET2_T3_PNSZ_IS14_E10value_typeET4_jRbjT5_S1A_jjP12ihipStream_tbEUljE_EEESV_SW_SX_S14_S18_S1A_T6_T7_T9_mT8_S1C_bDpT10_ENKUlT_T0_E_clISt17integral_constantIbLb0EES1P_EEDaS1K_S1L_EUlS1K_E_NS1_11comp_targetILNS1_3genE10ELNS1_11target_archE1200ELNS1_3gpuE4ELNS1_3repE0EEENS1_30default_config_static_selectorELNS0_4arch9wavefront6targetE0EEEvSY_: ; @_ZN7rocprim17ROCPRIM_400000_NS6detail17trampoline_kernelINS0_13select_configILj256ELj13ELNS0_17block_load_methodE3ELS4_3ELS4_3ELNS0_20block_scan_algorithmE0ELj4294967295EEENS1_25partition_config_selectorILNS1_17partition_subalgoE3EjNS0_10empty_typeEbEEZZNS1_14partition_implILS8_3ELb0ES6_jNS0_17counting_iteratorIjlEEPS9_SE_NS0_5tupleIJPjSE_EEENSF_IJSE_SE_EEES9_SG_JZNS1_25segmented_radix_sort_implINS0_14default_configELb1EPKhPhPKlPlN2at6native12_GLOBAL__N_18offset_tEEE10hipError_tPvRmT1_PNSt15iterator_traitsISY_E10value_typeET2_T3_PNSZ_IS14_E10value_typeET4_jRbjT5_S1A_jjP12ihipStream_tbEUljE_EEESV_SW_SX_S14_S18_S1A_T6_T7_T9_mT8_S1C_bDpT10_ENKUlT_T0_E_clISt17integral_constantIbLb0EES1P_EEDaS1K_S1L_EUlS1K_E_NS1_11comp_targetILNS1_3genE10ELNS1_11target_archE1200ELNS1_3gpuE4ELNS1_3repE0EEENS1_30default_config_static_selectorELNS0_4arch9wavefront6targetE0EEEvSY_
; %bb.0:
	.section	.rodata,"a",@progbits
	.p2align	6, 0x0
	.amdhsa_kernel _ZN7rocprim17ROCPRIM_400000_NS6detail17trampoline_kernelINS0_13select_configILj256ELj13ELNS0_17block_load_methodE3ELS4_3ELS4_3ELNS0_20block_scan_algorithmE0ELj4294967295EEENS1_25partition_config_selectorILNS1_17partition_subalgoE3EjNS0_10empty_typeEbEEZZNS1_14partition_implILS8_3ELb0ES6_jNS0_17counting_iteratorIjlEEPS9_SE_NS0_5tupleIJPjSE_EEENSF_IJSE_SE_EEES9_SG_JZNS1_25segmented_radix_sort_implINS0_14default_configELb1EPKhPhPKlPlN2at6native12_GLOBAL__N_18offset_tEEE10hipError_tPvRmT1_PNSt15iterator_traitsISY_E10value_typeET2_T3_PNSZ_IS14_E10value_typeET4_jRbjT5_S1A_jjP12ihipStream_tbEUljE_EEESV_SW_SX_S14_S18_S1A_T6_T7_T9_mT8_S1C_bDpT10_ENKUlT_T0_E_clISt17integral_constantIbLb0EES1P_EEDaS1K_S1L_EUlS1K_E_NS1_11comp_targetILNS1_3genE10ELNS1_11target_archE1200ELNS1_3gpuE4ELNS1_3repE0EEENS1_30default_config_static_selectorELNS0_4arch9wavefront6targetE0EEEvSY_
		.amdhsa_group_segment_fixed_size 0
		.amdhsa_private_segment_fixed_size 0
		.amdhsa_kernarg_size 144
		.amdhsa_user_sgpr_count 6
		.amdhsa_user_sgpr_private_segment_buffer 1
		.amdhsa_user_sgpr_dispatch_ptr 0
		.amdhsa_user_sgpr_queue_ptr 0
		.amdhsa_user_sgpr_kernarg_segment_ptr 1
		.amdhsa_user_sgpr_dispatch_id 0
		.amdhsa_user_sgpr_flat_scratch_init 0
		.amdhsa_user_sgpr_private_segment_size 0
		.amdhsa_wavefront_size32 1
		.amdhsa_uses_dynamic_stack 0
		.amdhsa_system_sgpr_private_segment_wavefront_offset 0
		.amdhsa_system_sgpr_workgroup_id_x 1
		.amdhsa_system_sgpr_workgroup_id_y 0
		.amdhsa_system_sgpr_workgroup_id_z 0
		.amdhsa_system_sgpr_workgroup_info 0
		.amdhsa_system_vgpr_workitem_id 0
		.amdhsa_next_free_vgpr 1
		.amdhsa_next_free_sgpr 1
		.amdhsa_reserve_vcc 0
		.amdhsa_reserve_flat_scratch 0
		.amdhsa_float_round_mode_32 0
		.amdhsa_float_round_mode_16_64 0
		.amdhsa_float_denorm_mode_32 3
		.amdhsa_float_denorm_mode_16_64 3
		.amdhsa_dx10_clamp 1
		.amdhsa_ieee_mode 1
		.amdhsa_fp16_overflow 0
		.amdhsa_workgroup_processor_mode 1
		.amdhsa_memory_ordered 1
		.amdhsa_forward_progress 1
		.amdhsa_shared_vgpr_count 0
		.amdhsa_exception_fp_ieee_invalid_op 0
		.amdhsa_exception_fp_denorm_src 0
		.amdhsa_exception_fp_ieee_div_zero 0
		.amdhsa_exception_fp_ieee_overflow 0
		.amdhsa_exception_fp_ieee_underflow 0
		.amdhsa_exception_fp_ieee_inexact 0
		.amdhsa_exception_int_div_zero 0
	.end_amdhsa_kernel
	.section	.text._ZN7rocprim17ROCPRIM_400000_NS6detail17trampoline_kernelINS0_13select_configILj256ELj13ELNS0_17block_load_methodE3ELS4_3ELS4_3ELNS0_20block_scan_algorithmE0ELj4294967295EEENS1_25partition_config_selectorILNS1_17partition_subalgoE3EjNS0_10empty_typeEbEEZZNS1_14partition_implILS8_3ELb0ES6_jNS0_17counting_iteratorIjlEEPS9_SE_NS0_5tupleIJPjSE_EEENSF_IJSE_SE_EEES9_SG_JZNS1_25segmented_radix_sort_implINS0_14default_configELb1EPKhPhPKlPlN2at6native12_GLOBAL__N_18offset_tEEE10hipError_tPvRmT1_PNSt15iterator_traitsISY_E10value_typeET2_T3_PNSZ_IS14_E10value_typeET4_jRbjT5_S1A_jjP12ihipStream_tbEUljE_EEESV_SW_SX_S14_S18_S1A_T6_T7_T9_mT8_S1C_bDpT10_ENKUlT_T0_E_clISt17integral_constantIbLb0EES1P_EEDaS1K_S1L_EUlS1K_E_NS1_11comp_targetILNS1_3genE10ELNS1_11target_archE1200ELNS1_3gpuE4ELNS1_3repE0EEENS1_30default_config_static_selectorELNS0_4arch9wavefront6targetE0EEEvSY_,"axG",@progbits,_ZN7rocprim17ROCPRIM_400000_NS6detail17trampoline_kernelINS0_13select_configILj256ELj13ELNS0_17block_load_methodE3ELS4_3ELS4_3ELNS0_20block_scan_algorithmE0ELj4294967295EEENS1_25partition_config_selectorILNS1_17partition_subalgoE3EjNS0_10empty_typeEbEEZZNS1_14partition_implILS8_3ELb0ES6_jNS0_17counting_iteratorIjlEEPS9_SE_NS0_5tupleIJPjSE_EEENSF_IJSE_SE_EEES9_SG_JZNS1_25segmented_radix_sort_implINS0_14default_configELb1EPKhPhPKlPlN2at6native12_GLOBAL__N_18offset_tEEE10hipError_tPvRmT1_PNSt15iterator_traitsISY_E10value_typeET2_T3_PNSZ_IS14_E10value_typeET4_jRbjT5_S1A_jjP12ihipStream_tbEUljE_EEESV_SW_SX_S14_S18_S1A_T6_T7_T9_mT8_S1C_bDpT10_ENKUlT_T0_E_clISt17integral_constantIbLb0EES1P_EEDaS1K_S1L_EUlS1K_E_NS1_11comp_targetILNS1_3genE10ELNS1_11target_archE1200ELNS1_3gpuE4ELNS1_3repE0EEENS1_30default_config_static_selectorELNS0_4arch9wavefront6targetE0EEEvSY_,comdat
.Lfunc_end53:
	.size	_ZN7rocprim17ROCPRIM_400000_NS6detail17trampoline_kernelINS0_13select_configILj256ELj13ELNS0_17block_load_methodE3ELS4_3ELS4_3ELNS0_20block_scan_algorithmE0ELj4294967295EEENS1_25partition_config_selectorILNS1_17partition_subalgoE3EjNS0_10empty_typeEbEEZZNS1_14partition_implILS8_3ELb0ES6_jNS0_17counting_iteratorIjlEEPS9_SE_NS0_5tupleIJPjSE_EEENSF_IJSE_SE_EEES9_SG_JZNS1_25segmented_radix_sort_implINS0_14default_configELb1EPKhPhPKlPlN2at6native12_GLOBAL__N_18offset_tEEE10hipError_tPvRmT1_PNSt15iterator_traitsISY_E10value_typeET2_T3_PNSZ_IS14_E10value_typeET4_jRbjT5_S1A_jjP12ihipStream_tbEUljE_EEESV_SW_SX_S14_S18_S1A_T6_T7_T9_mT8_S1C_bDpT10_ENKUlT_T0_E_clISt17integral_constantIbLb0EES1P_EEDaS1K_S1L_EUlS1K_E_NS1_11comp_targetILNS1_3genE10ELNS1_11target_archE1200ELNS1_3gpuE4ELNS1_3repE0EEENS1_30default_config_static_selectorELNS0_4arch9wavefront6targetE0EEEvSY_, .Lfunc_end53-_ZN7rocprim17ROCPRIM_400000_NS6detail17trampoline_kernelINS0_13select_configILj256ELj13ELNS0_17block_load_methodE3ELS4_3ELS4_3ELNS0_20block_scan_algorithmE0ELj4294967295EEENS1_25partition_config_selectorILNS1_17partition_subalgoE3EjNS0_10empty_typeEbEEZZNS1_14partition_implILS8_3ELb0ES6_jNS0_17counting_iteratorIjlEEPS9_SE_NS0_5tupleIJPjSE_EEENSF_IJSE_SE_EEES9_SG_JZNS1_25segmented_radix_sort_implINS0_14default_configELb1EPKhPhPKlPlN2at6native12_GLOBAL__N_18offset_tEEE10hipError_tPvRmT1_PNSt15iterator_traitsISY_E10value_typeET2_T3_PNSZ_IS14_E10value_typeET4_jRbjT5_S1A_jjP12ihipStream_tbEUljE_EEESV_SW_SX_S14_S18_S1A_T6_T7_T9_mT8_S1C_bDpT10_ENKUlT_T0_E_clISt17integral_constantIbLb0EES1P_EEDaS1K_S1L_EUlS1K_E_NS1_11comp_targetILNS1_3genE10ELNS1_11target_archE1200ELNS1_3gpuE4ELNS1_3repE0EEENS1_30default_config_static_selectorELNS0_4arch9wavefront6targetE0EEEvSY_
                                        ; -- End function
	.set _ZN7rocprim17ROCPRIM_400000_NS6detail17trampoline_kernelINS0_13select_configILj256ELj13ELNS0_17block_load_methodE3ELS4_3ELS4_3ELNS0_20block_scan_algorithmE0ELj4294967295EEENS1_25partition_config_selectorILNS1_17partition_subalgoE3EjNS0_10empty_typeEbEEZZNS1_14partition_implILS8_3ELb0ES6_jNS0_17counting_iteratorIjlEEPS9_SE_NS0_5tupleIJPjSE_EEENSF_IJSE_SE_EEES9_SG_JZNS1_25segmented_radix_sort_implINS0_14default_configELb1EPKhPhPKlPlN2at6native12_GLOBAL__N_18offset_tEEE10hipError_tPvRmT1_PNSt15iterator_traitsISY_E10value_typeET2_T3_PNSZ_IS14_E10value_typeET4_jRbjT5_S1A_jjP12ihipStream_tbEUljE_EEESV_SW_SX_S14_S18_S1A_T6_T7_T9_mT8_S1C_bDpT10_ENKUlT_T0_E_clISt17integral_constantIbLb0EES1P_EEDaS1K_S1L_EUlS1K_E_NS1_11comp_targetILNS1_3genE10ELNS1_11target_archE1200ELNS1_3gpuE4ELNS1_3repE0EEENS1_30default_config_static_selectorELNS0_4arch9wavefront6targetE0EEEvSY_.num_vgpr, 0
	.set _ZN7rocprim17ROCPRIM_400000_NS6detail17trampoline_kernelINS0_13select_configILj256ELj13ELNS0_17block_load_methodE3ELS4_3ELS4_3ELNS0_20block_scan_algorithmE0ELj4294967295EEENS1_25partition_config_selectorILNS1_17partition_subalgoE3EjNS0_10empty_typeEbEEZZNS1_14partition_implILS8_3ELb0ES6_jNS0_17counting_iteratorIjlEEPS9_SE_NS0_5tupleIJPjSE_EEENSF_IJSE_SE_EEES9_SG_JZNS1_25segmented_radix_sort_implINS0_14default_configELb1EPKhPhPKlPlN2at6native12_GLOBAL__N_18offset_tEEE10hipError_tPvRmT1_PNSt15iterator_traitsISY_E10value_typeET2_T3_PNSZ_IS14_E10value_typeET4_jRbjT5_S1A_jjP12ihipStream_tbEUljE_EEESV_SW_SX_S14_S18_S1A_T6_T7_T9_mT8_S1C_bDpT10_ENKUlT_T0_E_clISt17integral_constantIbLb0EES1P_EEDaS1K_S1L_EUlS1K_E_NS1_11comp_targetILNS1_3genE10ELNS1_11target_archE1200ELNS1_3gpuE4ELNS1_3repE0EEENS1_30default_config_static_selectorELNS0_4arch9wavefront6targetE0EEEvSY_.num_agpr, 0
	.set _ZN7rocprim17ROCPRIM_400000_NS6detail17trampoline_kernelINS0_13select_configILj256ELj13ELNS0_17block_load_methodE3ELS4_3ELS4_3ELNS0_20block_scan_algorithmE0ELj4294967295EEENS1_25partition_config_selectorILNS1_17partition_subalgoE3EjNS0_10empty_typeEbEEZZNS1_14partition_implILS8_3ELb0ES6_jNS0_17counting_iteratorIjlEEPS9_SE_NS0_5tupleIJPjSE_EEENSF_IJSE_SE_EEES9_SG_JZNS1_25segmented_radix_sort_implINS0_14default_configELb1EPKhPhPKlPlN2at6native12_GLOBAL__N_18offset_tEEE10hipError_tPvRmT1_PNSt15iterator_traitsISY_E10value_typeET2_T3_PNSZ_IS14_E10value_typeET4_jRbjT5_S1A_jjP12ihipStream_tbEUljE_EEESV_SW_SX_S14_S18_S1A_T6_T7_T9_mT8_S1C_bDpT10_ENKUlT_T0_E_clISt17integral_constantIbLb0EES1P_EEDaS1K_S1L_EUlS1K_E_NS1_11comp_targetILNS1_3genE10ELNS1_11target_archE1200ELNS1_3gpuE4ELNS1_3repE0EEENS1_30default_config_static_selectorELNS0_4arch9wavefront6targetE0EEEvSY_.numbered_sgpr, 0
	.set _ZN7rocprim17ROCPRIM_400000_NS6detail17trampoline_kernelINS0_13select_configILj256ELj13ELNS0_17block_load_methodE3ELS4_3ELS4_3ELNS0_20block_scan_algorithmE0ELj4294967295EEENS1_25partition_config_selectorILNS1_17partition_subalgoE3EjNS0_10empty_typeEbEEZZNS1_14partition_implILS8_3ELb0ES6_jNS0_17counting_iteratorIjlEEPS9_SE_NS0_5tupleIJPjSE_EEENSF_IJSE_SE_EEES9_SG_JZNS1_25segmented_radix_sort_implINS0_14default_configELb1EPKhPhPKlPlN2at6native12_GLOBAL__N_18offset_tEEE10hipError_tPvRmT1_PNSt15iterator_traitsISY_E10value_typeET2_T3_PNSZ_IS14_E10value_typeET4_jRbjT5_S1A_jjP12ihipStream_tbEUljE_EEESV_SW_SX_S14_S18_S1A_T6_T7_T9_mT8_S1C_bDpT10_ENKUlT_T0_E_clISt17integral_constantIbLb0EES1P_EEDaS1K_S1L_EUlS1K_E_NS1_11comp_targetILNS1_3genE10ELNS1_11target_archE1200ELNS1_3gpuE4ELNS1_3repE0EEENS1_30default_config_static_selectorELNS0_4arch9wavefront6targetE0EEEvSY_.num_named_barrier, 0
	.set _ZN7rocprim17ROCPRIM_400000_NS6detail17trampoline_kernelINS0_13select_configILj256ELj13ELNS0_17block_load_methodE3ELS4_3ELS4_3ELNS0_20block_scan_algorithmE0ELj4294967295EEENS1_25partition_config_selectorILNS1_17partition_subalgoE3EjNS0_10empty_typeEbEEZZNS1_14partition_implILS8_3ELb0ES6_jNS0_17counting_iteratorIjlEEPS9_SE_NS0_5tupleIJPjSE_EEENSF_IJSE_SE_EEES9_SG_JZNS1_25segmented_radix_sort_implINS0_14default_configELb1EPKhPhPKlPlN2at6native12_GLOBAL__N_18offset_tEEE10hipError_tPvRmT1_PNSt15iterator_traitsISY_E10value_typeET2_T3_PNSZ_IS14_E10value_typeET4_jRbjT5_S1A_jjP12ihipStream_tbEUljE_EEESV_SW_SX_S14_S18_S1A_T6_T7_T9_mT8_S1C_bDpT10_ENKUlT_T0_E_clISt17integral_constantIbLb0EES1P_EEDaS1K_S1L_EUlS1K_E_NS1_11comp_targetILNS1_3genE10ELNS1_11target_archE1200ELNS1_3gpuE4ELNS1_3repE0EEENS1_30default_config_static_selectorELNS0_4arch9wavefront6targetE0EEEvSY_.private_seg_size, 0
	.set _ZN7rocprim17ROCPRIM_400000_NS6detail17trampoline_kernelINS0_13select_configILj256ELj13ELNS0_17block_load_methodE3ELS4_3ELS4_3ELNS0_20block_scan_algorithmE0ELj4294967295EEENS1_25partition_config_selectorILNS1_17partition_subalgoE3EjNS0_10empty_typeEbEEZZNS1_14partition_implILS8_3ELb0ES6_jNS0_17counting_iteratorIjlEEPS9_SE_NS0_5tupleIJPjSE_EEENSF_IJSE_SE_EEES9_SG_JZNS1_25segmented_radix_sort_implINS0_14default_configELb1EPKhPhPKlPlN2at6native12_GLOBAL__N_18offset_tEEE10hipError_tPvRmT1_PNSt15iterator_traitsISY_E10value_typeET2_T3_PNSZ_IS14_E10value_typeET4_jRbjT5_S1A_jjP12ihipStream_tbEUljE_EEESV_SW_SX_S14_S18_S1A_T6_T7_T9_mT8_S1C_bDpT10_ENKUlT_T0_E_clISt17integral_constantIbLb0EES1P_EEDaS1K_S1L_EUlS1K_E_NS1_11comp_targetILNS1_3genE10ELNS1_11target_archE1200ELNS1_3gpuE4ELNS1_3repE0EEENS1_30default_config_static_selectorELNS0_4arch9wavefront6targetE0EEEvSY_.uses_vcc, 0
	.set _ZN7rocprim17ROCPRIM_400000_NS6detail17trampoline_kernelINS0_13select_configILj256ELj13ELNS0_17block_load_methodE3ELS4_3ELS4_3ELNS0_20block_scan_algorithmE0ELj4294967295EEENS1_25partition_config_selectorILNS1_17partition_subalgoE3EjNS0_10empty_typeEbEEZZNS1_14partition_implILS8_3ELb0ES6_jNS0_17counting_iteratorIjlEEPS9_SE_NS0_5tupleIJPjSE_EEENSF_IJSE_SE_EEES9_SG_JZNS1_25segmented_radix_sort_implINS0_14default_configELb1EPKhPhPKlPlN2at6native12_GLOBAL__N_18offset_tEEE10hipError_tPvRmT1_PNSt15iterator_traitsISY_E10value_typeET2_T3_PNSZ_IS14_E10value_typeET4_jRbjT5_S1A_jjP12ihipStream_tbEUljE_EEESV_SW_SX_S14_S18_S1A_T6_T7_T9_mT8_S1C_bDpT10_ENKUlT_T0_E_clISt17integral_constantIbLb0EES1P_EEDaS1K_S1L_EUlS1K_E_NS1_11comp_targetILNS1_3genE10ELNS1_11target_archE1200ELNS1_3gpuE4ELNS1_3repE0EEENS1_30default_config_static_selectorELNS0_4arch9wavefront6targetE0EEEvSY_.uses_flat_scratch, 0
	.set _ZN7rocprim17ROCPRIM_400000_NS6detail17trampoline_kernelINS0_13select_configILj256ELj13ELNS0_17block_load_methodE3ELS4_3ELS4_3ELNS0_20block_scan_algorithmE0ELj4294967295EEENS1_25partition_config_selectorILNS1_17partition_subalgoE3EjNS0_10empty_typeEbEEZZNS1_14partition_implILS8_3ELb0ES6_jNS0_17counting_iteratorIjlEEPS9_SE_NS0_5tupleIJPjSE_EEENSF_IJSE_SE_EEES9_SG_JZNS1_25segmented_radix_sort_implINS0_14default_configELb1EPKhPhPKlPlN2at6native12_GLOBAL__N_18offset_tEEE10hipError_tPvRmT1_PNSt15iterator_traitsISY_E10value_typeET2_T3_PNSZ_IS14_E10value_typeET4_jRbjT5_S1A_jjP12ihipStream_tbEUljE_EEESV_SW_SX_S14_S18_S1A_T6_T7_T9_mT8_S1C_bDpT10_ENKUlT_T0_E_clISt17integral_constantIbLb0EES1P_EEDaS1K_S1L_EUlS1K_E_NS1_11comp_targetILNS1_3genE10ELNS1_11target_archE1200ELNS1_3gpuE4ELNS1_3repE0EEENS1_30default_config_static_selectorELNS0_4arch9wavefront6targetE0EEEvSY_.has_dyn_sized_stack, 0
	.set _ZN7rocprim17ROCPRIM_400000_NS6detail17trampoline_kernelINS0_13select_configILj256ELj13ELNS0_17block_load_methodE3ELS4_3ELS4_3ELNS0_20block_scan_algorithmE0ELj4294967295EEENS1_25partition_config_selectorILNS1_17partition_subalgoE3EjNS0_10empty_typeEbEEZZNS1_14partition_implILS8_3ELb0ES6_jNS0_17counting_iteratorIjlEEPS9_SE_NS0_5tupleIJPjSE_EEENSF_IJSE_SE_EEES9_SG_JZNS1_25segmented_radix_sort_implINS0_14default_configELb1EPKhPhPKlPlN2at6native12_GLOBAL__N_18offset_tEEE10hipError_tPvRmT1_PNSt15iterator_traitsISY_E10value_typeET2_T3_PNSZ_IS14_E10value_typeET4_jRbjT5_S1A_jjP12ihipStream_tbEUljE_EEESV_SW_SX_S14_S18_S1A_T6_T7_T9_mT8_S1C_bDpT10_ENKUlT_T0_E_clISt17integral_constantIbLb0EES1P_EEDaS1K_S1L_EUlS1K_E_NS1_11comp_targetILNS1_3genE10ELNS1_11target_archE1200ELNS1_3gpuE4ELNS1_3repE0EEENS1_30default_config_static_selectorELNS0_4arch9wavefront6targetE0EEEvSY_.has_recursion, 0
	.set _ZN7rocprim17ROCPRIM_400000_NS6detail17trampoline_kernelINS0_13select_configILj256ELj13ELNS0_17block_load_methodE3ELS4_3ELS4_3ELNS0_20block_scan_algorithmE0ELj4294967295EEENS1_25partition_config_selectorILNS1_17partition_subalgoE3EjNS0_10empty_typeEbEEZZNS1_14partition_implILS8_3ELb0ES6_jNS0_17counting_iteratorIjlEEPS9_SE_NS0_5tupleIJPjSE_EEENSF_IJSE_SE_EEES9_SG_JZNS1_25segmented_radix_sort_implINS0_14default_configELb1EPKhPhPKlPlN2at6native12_GLOBAL__N_18offset_tEEE10hipError_tPvRmT1_PNSt15iterator_traitsISY_E10value_typeET2_T3_PNSZ_IS14_E10value_typeET4_jRbjT5_S1A_jjP12ihipStream_tbEUljE_EEESV_SW_SX_S14_S18_S1A_T6_T7_T9_mT8_S1C_bDpT10_ENKUlT_T0_E_clISt17integral_constantIbLb0EES1P_EEDaS1K_S1L_EUlS1K_E_NS1_11comp_targetILNS1_3genE10ELNS1_11target_archE1200ELNS1_3gpuE4ELNS1_3repE0EEENS1_30default_config_static_selectorELNS0_4arch9wavefront6targetE0EEEvSY_.has_indirect_call, 0
	.section	.AMDGPU.csdata,"",@progbits
; Kernel info:
; codeLenInByte = 0
; TotalNumSgprs: 0
; NumVgprs: 0
; ScratchSize: 0
; MemoryBound: 0
; FloatMode: 240
; IeeeMode: 1
; LDSByteSize: 0 bytes/workgroup (compile time only)
; SGPRBlocks: 0
; VGPRBlocks: 0
; NumSGPRsForWavesPerEU: 1
; NumVGPRsForWavesPerEU: 1
; Occupancy: 16
; WaveLimiterHint : 0
; COMPUTE_PGM_RSRC2:SCRATCH_EN: 0
; COMPUTE_PGM_RSRC2:USER_SGPR: 6
; COMPUTE_PGM_RSRC2:TRAP_HANDLER: 0
; COMPUTE_PGM_RSRC2:TGID_X_EN: 1
; COMPUTE_PGM_RSRC2:TGID_Y_EN: 0
; COMPUTE_PGM_RSRC2:TGID_Z_EN: 0
; COMPUTE_PGM_RSRC2:TIDIG_COMP_CNT: 0
	.section	.text._ZN7rocprim17ROCPRIM_400000_NS6detail17trampoline_kernelINS0_13select_configILj256ELj13ELNS0_17block_load_methodE3ELS4_3ELS4_3ELNS0_20block_scan_algorithmE0ELj4294967295EEENS1_25partition_config_selectorILNS1_17partition_subalgoE3EjNS0_10empty_typeEbEEZZNS1_14partition_implILS8_3ELb0ES6_jNS0_17counting_iteratorIjlEEPS9_SE_NS0_5tupleIJPjSE_EEENSF_IJSE_SE_EEES9_SG_JZNS1_25segmented_radix_sort_implINS0_14default_configELb1EPKhPhPKlPlN2at6native12_GLOBAL__N_18offset_tEEE10hipError_tPvRmT1_PNSt15iterator_traitsISY_E10value_typeET2_T3_PNSZ_IS14_E10value_typeET4_jRbjT5_S1A_jjP12ihipStream_tbEUljE_EEESV_SW_SX_S14_S18_S1A_T6_T7_T9_mT8_S1C_bDpT10_ENKUlT_T0_E_clISt17integral_constantIbLb0EES1P_EEDaS1K_S1L_EUlS1K_E_NS1_11comp_targetILNS1_3genE9ELNS1_11target_archE1100ELNS1_3gpuE3ELNS1_3repE0EEENS1_30default_config_static_selectorELNS0_4arch9wavefront6targetE0EEEvSY_,"axG",@progbits,_ZN7rocprim17ROCPRIM_400000_NS6detail17trampoline_kernelINS0_13select_configILj256ELj13ELNS0_17block_load_methodE3ELS4_3ELS4_3ELNS0_20block_scan_algorithmE0ELj4294967295EEENS1_25partition_config_selectorILNS1_17partition_subalgoE3EjNS0_10empty_typeEbEEZZNS1_14partition_implILS8_3ELb0ES6_jNS0_17counting_iteratorIjlEEPS9_SE_NS0_5tupleIJPjSE_EEENSF_IJSE_SE_EEES9_SG_JZNS1_25segmented_radix_sort_implINS0_14default_configELb1EPKhPhPKlPlN2at6native12_GLOBAL__N_18offset_tEEE10hipError_tPvRmT1_PNSt15iterator_traitsISY_E10value_typeET2_T3_PNSZ_IS14_E10value_typeET4_jRbjT5_S1A_jjP12ihipStream_tbEUljE_EEESV_SW_SX_S14_S18_S1A_T6_T7_T9_mT8_S1C_bDpT10_ENKUlT_T0_E_clISt17integral_constantIbLb0EES1P_EEDaS1K_S1L_EUlS1K_E_NS1_11comp_targetILNS1_3genE9ELNS1_11target_archE1100ELNS1_3gpuE3ELNS1_3repE0EEENS1_30default_config_static_selectorELNS0_4arch9wavefront6targetE0EEEvSY_,comdat
	.globl	_ZN7rocprim17ROCPRIM_400000_NS6detail17trampoline_kernelINS0_13select_configILj256ELj13ELNS0_17block_load_methodE3ELS4_3ELS4_3ELNS0_20block_scan_algorithmE0ELj4294967295EEENS1_25partition_config_selectorILNS1_17partition_subalgoE3EjNS0_10empty_typeEbEEZZNS1_14partition_implILS8_3ELb0ES6_jNS0_17counting_iteratorIjlEEPS9_SE_NS0_5tupleIJPjSE_EEENSF_IJSE_SE_EEES9_SG_JZNS1_25segmented_radix_sort_implINS0_14default_configELb1EPKhPhPKlPlN2at6native12_GLOBAL__N_18offset_tEEE10hipError_tPvRmT1_PNSt15iterator_traitsISY_E10value_typeET2_T3_PNSZ_IS14_E10value_typeET4_jRbjT5_S1A_jjP12ihipStream_tbEUljE_EEESV_SW_SX_S14_S18_S1A_T6_T7_T9_mT8_S1C_bDpT10_ENKUlT_T0_E_clISt17integral_constantIbLb0EES1P_EEDaS1K_S1L_EUlS1K_E_NS1_11comp_targetILNS1_3genE9ELNS1_11target_archE1100ELNS1_3gpuE3ELNS1_3repE0EEENS1_30default_config_static_selectorELNS0_4arch9wavefront6targetE0EEEvSY_ ; -- Begin function _ZN7rocprim17ROCPRIM_400000_NS6detail17trampoline_kernelINS0_13select_configILj256ELj13ELNS0_17block_load_methodE3ELS4_3ELS4_3ELNS0_20block_scan_algorithmE0ELj4294967295EEENS1_25partition_config_selectorILNS1_17partition_subalgoE3EjNS0_10empty_typeEbEEZZNS1_14partition_implILS8_3ELb0ES6_jNS0_17counting_iteratorIjlEEPS9_SE_NS0_5tupleIJPjSE_EEENSF_IJSE_SE_EEES9_SG_JZNS1_25segmented_radix_sort_implINS0_14default_configELb1EPKhPhPKlPlN2at6native12_GLOBAL__N_18offset_tEEE10hipError_tPvRmT1_PNSt15iterator_traitsISY_E10value_typeET2_T3_PNSZ_IS14_E10value_typeET4_jRbjT5_S1A_jjP12ihipStream_tbEUljE_EEESV_SW_SX_S14_S18_S1A_T6_T7_T9_mT8_S1C_bDpT10_ENKUlT_T0_E_clISt17integral_constantIbLb0EES1P_EEDaS1K_S1L_EUlS1K_E_NS1_11comp_targetILNS1_3genE9ELNS1_11target_archE1100ELNS1_3gpuE3ELNS1_3repE0EEENS1_30default_config_static_selectorELNS0_4arch9wavefront6targetE0EEEvSY_
	.p2align	8
	.type	_ZN7rocprim17ROCPRIM_400000_NS6detail17trampoline_kernelINS0_13select_configILj256ELj13ELNS0_17block_load_methodE3ELS4_3ELS4_3ELNS0_20block_scan_algorithmE0ELj4294967295EEENS1_25partition_config_selectorILNS1_17partition_subalgoE3EjNS0_10empty_typeEbEEZZNS1_14partition_implILS8_3ELb0ES6_jNS0_17counting_iteratorIjlEEPS9_SE_NS0_5tupleIJPjSE_EEENSF_IJSE_SE_EEES9_SG_JZNS1_25segmented_radix_sort_implINS0_14default_configELb1EPKhPhPKlPlN2at6native12_GLOBAL__N_18offset_tEEE10hipError_tPvRmT1_PNSt15iterator_traitsISY_E10value_typeET2_T3_PNSZ_IS14_E10value_typeET4_jRbjT5_S1A_jjP12ihipStream_tbEUljE_EEESV_SW_SX_S14_S18_S1A_T6_T7_T9_mT8_S1C_bDpT10_ENKUlT_T0_E_clISt17integral_constantIbLb0EES1P_EEDaS1K_S1L_EUlS1K_E_NS1_11comp_targetILNS1_3genE9ELNS1_11target_archE1100ELNS1_3gpuE3ELNS1_3repE0EEENS1_30default_config_static_selectorELNS0_4arch9wavefront6targetE0EEEvSY_,@function
_ZN7rocprim17ROCPRIM_400000_NS6detail17trampoline_kernelINS0_13select_configILj256ELj13ELNS0_17block_load_methodE3ELS4_3ELS4_3ELNS0_20block_scan_algorithmE0ELj4294967295EEENS1_25partition_config_selectorILNS1_17partition_subalgoE3EjNS0_10empty_typeEbEEZZNS1_14partition_implILS8_3ELb0ES6_jNS0_17counting_iteratorIjlEEPS9_SE_NS0_5tupleIJPjSE_EEENSF_IJSE_SE_EEES9_SG_JZNS1_25segmented_radix_sort_implINS0_14default_configELb1EPKhPhPKlPlN2at6native12_GLOBAL__N_18offset_tEEE10hipError_tPvRmT1_PNSt15iterator_traitsISY_E10value_typeET2_T3_PNSZ_IS14_E10value_typeET4_jRbjT5_S1A_jjP12ihipStream_tbEUljE_EEESV_SW_SX_S14_S18_S1A_T6_T7_T9_mT8_S1C_bDpT10_ENKUlT_T0_E_clISt17integral_constantIbLb0EES1P_EEDaS1K_S1L_EUlS1K_E_NS1_11comp_targetILNS1_3genE9ELNS1_11target_archE1100ELNS1_3gpuE3ELNS1_3repE0EEENS1_30default_config_static_selectorELNS0_4arch9wavefront6targetE0EEEvSY_: ; @_ZN7rocprim17ROCPRIM_400000_NS6detail17trampoline_kernelINS0_13select_configILj256ELj13ELNS0_17block_load_methodE3ELS4_3ELS4_3ELNS0_20block_scan_algorithmE0ELj4294967295EEENS1_25partition_config_selectorILNS1_17partition_subalgoE3EjNS0_10empty_typeEbEEZZNS1_14partition_implILS8_3ELb0ES6_jNS0_17counting_iteratorIjlEEPS9_SE_NS0_5tupleIJPjSE_EEENSF_IJSE_SE_EEES9_SG_JZNS1_25segmented_radix_sort_implINS0_14default_configELb1EPKhPhPKlPlN2at6native12_GLOBAL__N_18offset_tEEE10hipError_tPvRmT1_PNSt15iterator_traitsISY_E10value_typeET2_T3_PNSZ_IS14_E10value_typeET4_jRbjT5_S1A_jjP12ihipStream_tbEUljE_EEESV_SW_SX_S14_S18_S1A_T6_T7_T9_mT8_S1C_bDpT10_ENKUlT_T0_E_clISt17integral_constantIbLb0EES1P_EEDaS1K_S1L_EUlS1K_E_NS1_11comp_targetILNS1_3genE9ELNS1_11target_archE1100ELNS1_3gpuE3ELNS1_3repE0EEENS1_30default_config_static_selectorELNS0_4arch9wavefront6targetE0EEEvSY_
; %bb.0:
	.section	.rodata,"a",@progbits
	.p2align	6, 0x0
	.amdhsa_kernel _ZN7rocprim17ROCPRIM_400000_NS6detail17trampoline_kernelINS0_13select_configILj256ELj13ELNS0_17block_load_methodE3ELS4_3ELS4_3ELNS0_20block_scan_algorithmE0ELj4294967295EEENS1_25partition_config_selectorILNS1_17partition_subalgoE3EjNS0_10empty_typeEbEEZZNS1_14partition_implILS8_3ELb0ES6_jNS0_17counting_iteratorIjlEEPS9_SE_NS0_5tupleIJPjSE_EEENSF_IJSE_SE_EEES9_SG_JZNS1_25segmented_radix_sort_implINS0_14default_configELb1EPKhPhPKlPlN2at6native12_GLOBAL__N_18offset_tEEE10hipError_tPvRmT1_PNSt15iterator_traitsISY_E10value_typeET2_T3_PNSZ_IS14_E10value_typeET4_jRbjT5_S1A_jjP12ihipStream_tbEUljE_EEESV_SW_SX_S14_S18_S1A_T6_T7_T9_mT8_S1C_bDpT10_ENKUlT_T0_E_clISt17integral_constantIbLb0EES1P_EEDaS1K_S1L_EUlS1K_E_NS1_11comp_targetILNS1_3genE9ELNS1_11target_archE1100ELNS1_3gpuE3ELNS1_3repE0EEENS1_30default_config_static_selectorELNS0_4arch9wavefront6targetE0EEEvSY_
		.amdhsa_group_segment_fixed_size 0
		.amdhsa_private_segment_fixed_size 0
		.amdhsa_kernarg_size 144
		.amdhsa_user_sgpr_count 6
		.amdhsa_user_sgpr_private_segment_buffer 1
		.amdhsa_user_sgpr_dispatch_ptr 0
		.amdhsa_user_sgpr_queue_ptr 0
		.amdhsa_user_sgpr_kernarg_segment_ptr 1
		.amdhsa_user_sgpr_dispatch_id 0
		.amdhsa_user_sgpr_flat_scratch_init 0
		.amdhsa_user_sgpr_private_segment_size 0
		.amdhsa_wavefront_size32 1
		.amdhsa_uses_dynamic_stack 0
		.amdhsa_system_sgpr_private_segment_wavefront_offset 0
		.amdhsa_system_sgpr_workgroup_id_x 1
		.amdhsa_system_sgpr_workgroup_id_y 0
		.amdhsa_system_sgpr_workgroup_id_z 0
		.amdhsa_system_sgpr_workgroup_info 0
		.amdhsa_system_vgpr_workitem_id 0
		.amdhsa_next_free_vgpr 1
		.amdhsa_next_free_sgpr 1
		.amdhsa_reserve_vcc 0
		.amdhsa_reserve_flat_scratch 0
		.amdhsa_float_round_mode_32 0
		.amdhsa_float_round_mode_16_64 0
		.amdhsa_float_denorm_mode_32 3
		.amdhsa_float_denorm_mode_16_64 3
		.amdhsa_dx10_clamp 1
		.amdhsa_ieee_mode 1
		.amdhsa_fp16_overflow 0
		.amdhsa_workgroup_processor_mode 1
		.amdhsa_memory_ordered 1
		.amdhsa_forward_progress 1
		.amdhsa_shared_vgpr_count 0
		.amdhsa_exception_fp_ieee_invalid_op 0
		.amdhsa_exception_fp_denorm_src 0
		.amdhsa_exception_fp_ieee_div_zero 0
		.amdhsa_exception_fp_ieee_overflow 0
		.amdhsa_exception_fp_ieee_underflow 0
		.amdhsa_exception_fp_ieee_inexact 0
		.amdhsa_exception_int_div_zero 0
	.end_amdhsa_kernel
	.section	.text._ZN7rocprim17ROCPRIM_400000_NS6detail17trampoline_kernelINS0_13select_configILj256ELj13ELNS0_17block_load_methodE3ELS4_3ELS4_3ELNS0_20block_scan_algorithmE0ELj4294967295EEENS1_25partition_config_selectorILNS1_17partition_subalgoE3EjNS0_10empty_typeEbEEZZNS1_14partition_implILS8_3ELb0ES6_jNS0_17counting_iteratorIjlEEPS9_SE_NS0_5tupleIJPjSE_EEENSF_IJSE_SE_EEES9_SG_JZNS1_25segmented_radix_sort_implINS0_14default_configELb1EPKhPhPKlPlN2at6native12_GLOBAL__N_18offset_tEEE10hipError_tPvRmT1_PNSt15iterator_traitsISY_E10value_typeET2_T3_PNSZ_IS14_E10value_typeET4_jRbjT5_S1A_jjP12ihipStream_tbEUljE_EEESV_SW_SX_S14_S18_S1A_T6_T7_T9_mT8_S1C_bDpT10_ENKUlT_T0_E_clISt17integral_constantIbLb0EES1P_EEDaS1K_S1L_EUlS1K_E_NS1_11comp_targetILNS1_3genE9ELNS1_11target_archE1100ELNS1_3gpuE3ELNS1_3repE0EEENS1_30default_config_static_selectorELNS0_4arch9wavefront6targetE0EEEvSY_,"axG",@progbits,_ZN7rocprim17ROCPRIM_400000_NS6detail17trampoline_kernelINS0_13select_configILj256ELj13ELNS0_17block_load_methodE3ELS4_3ELS4_3ELNS0_20block_scan_algorithmE0ELj4294967295EEENS1_25partition_config_selectorILNS1_17partition_subalgoE3EjNS0_10empty_typeEbEEZZNS1_14partition_implILS8_3ELb0ES6_jNS0_17counting_iteratorIjlEEPS9_SE_NS0_5tupleIJPjSE_EEENSF_IJSE_SE_EEES9_SG_JZNS1_25segmented_radix_sort_implINS0_14default_configELb1EPKhPhPKlPlN2at6native12_GLOBAL__N_18offset_tEEE10hipError_tPvRmT1_PNSt15iterator_traitsISY_E10value_typeET2_T3_PNSZ_IS14_E10value_typeET4_jRbjT5_S1A_jjP12ihipStream_tbEUljE_EEESV_SW_SX_S14_S18_S1A_T6_T7_T9_mT8_S1C_bDpT10_ENKUlT_T0_E_clISt17integral_constantIbLb0EES1P_EEDaS1K_S1L_EUlS1K_E_NS1_11comp_targetILNS1_3genE9ELNS1_11target_archE1100ELNS1_3gpuE3ELNS1_3repE0EEENS1_30default_config_static_selectorELNS0_4arch9wavefront6targetE0EEEvSY_,comdat
.Lfunc_end54:
	.size	_ZN7rocprim17ROCPRIM_400000_NS6detail17trampoline_kernelINS0_13select_configILj256ELj13ELNS0_17block_load_methodE3ELS4_3ELS4_3ELNS0_20block_scan_algorithmE0ELj4294967295EEENS1_25partition_config_selectorILNS1_17partition_subalgoE3EjNS0_10empty_typeEbEEZZNS1_14partition_implILS8_3ELb0ES6_jNS0_17counting_iteratorIjlEEPS9_SE_NS0_5tupleIJPjSE_EEENSF_IJSE_SE_EEES9_SG_JZNS1_25segmented_radix_sort_implINS0_14default_configELb1EPKhPhPKlPlN2at6native12_GLOBAL__N_18offset_tEEE10hipError_tPvRmT1_PNSt15iterator_traitsISY_E10value_typeET2_T3_PNSZ_IS14_E10value_typeET4_jRbjT5_S1A_jjP12ihipStream_tbEUljE_EEESV_SW_SX_S14_S18_S1A_T6_T7_T9_mT8_S1C_bDpT10_ENKUlT_T0_E_clISt17integral_constantIbLb0EES1P_EEDaS1K_S1L_EUlS1K_E_NS1_11comp_targetILNS1_3genE9ELNS1_11target_archE1100ELNS1_3gpuE3ELNS1_3repE0EEENS1_30default_config_static_selectorELNS0_4arch9wavefront6targetE0EEEvSY_, .Lfunc_end54-_ZN7rocprim17ROCPRIM_400000_NS6detail17trampoline_kernelINS0_13select_configILj256ELj13ELNS0_17block_load_methodE3ELS4_3ELS4_3ELNS0_20block_scan_algorithmE0ELj4294967295EEENS1_25partition_config_selectorILNS1_17partition_subalgoE3EjNS0_10empty_typeEbEEZZNS1_14partition_implILS8_3ELb0ES6_jNS0_17counting_iteratorIjlEEPS9_SE_NS0_5tupleIJPjSE_EEENSF_IJSE_SE_EEES9_SG_JZNS1_25segmented_radix_sort_implINS0_14default_configELb1EPKhPhPKlPlN2at6native12_GLOBAL__N_18offset_tEEE10hipError_tPvRmT1_PNSt15iterator_traitsISY_E10value_typeET2_T3_PNSZ_IS14_E10value_typeET4_jRbjT5_S1A_jjP12ihipStream_tbEUljE_EEESV_SW_SX_S14_S18_S1A_T6_T7_T9_mT8_S1C_bDpT10_ENKUlT_T0_E_clISt17integral_constantIbLb0EES1P_EEDaS1K_S1L_EUlS1K_E_NS1_11comp_targetILNS1_3genE9ELNS1_11target_archE1100ELNS1_3gpuE3ELNS1_3repE0EEENS1_30default_config_static_selectorELNS0_4arch9wavefront6targetE0EEEvSY_
                                        ; -- End function
	.set _ZN7rocprim17ROCPRIM_400000_NS6detail17trampoline_kernelINS0_13select_configILj256ELj13ELNS0_17block_load_methodE3ELS4_3ELS4_3ELNS0_20block_scan_algorithmE0ELj4294967295EEENS1_25partition_config_selectorILNS1_17partition_subalgoE3EjNS0_10empty_typeEbEEZZNS1_14partition_implILS8_3ELb0ES6_jNS0_17counting_iteratorIjlEEPS9_SE_NS0_5tupleIJPjSE_EEENSF_IJSE_SE_EEES9_SG_JZNS1_25segmented_radix_sort_implINS0_14default_configELb1EPKhPhPKlPlN2at6native12_GLOBAL__N_18offset_tEEE10hipError_tPvRmT1_PNSt15iterator_traitsISY_E10value_typeET2_T3_PNSZ_IS14_E10value_typeET4_jRbjT5_S1A_jjP12ihipStream_tbEUljE_EEESV_SW_SX_S14_S18_S1A_T6_T7_T9_mT8_S1C_bDpT10_ENKUlT_T0_E_clISt17integral_constantIbLb0EES1P_EEDaS1K_S1L_EUlS1K_E_NS1_11comp_targetILNS1_3genE9ELNS1_11target_archE1100ELNS1_3gpuE3ELNS1_3repE0EEENS1_30default_config_static_selectorELNS0_4arch9wavefront6targetE0EEEvSY_.num_vgpr, 0
	.set _ZN7rocprim17ROCPRIM_400000_NS6detail17trampoline_kernelINS0_13select_configILj256ELj13ELNS0_17block_load_methodE3ELS4_3ELS4_3ELNS0_20block_scan_algorithmE0ELj4294967295EEENS1_25partition_config_selectorILNS1_17partition_subalgoE3EjNS0_10empty_typeEbEEZZNS1_14partition_implILS8_3ELb0ES6_jNS0_17counting_iteratorIjlEEPS9_SE_NS0_5tupleIJPjSE_EEENSF_IJSE_SE_EEES9_SG_JZNS1_25segmented_radix_sort_implINS0_14default_configELb1EPKhPhPKlPlN2at6native12_GLOBAL__N_18offset_tEEE10hipError_tPvRmT1_PNSt15iterator_traitsISY_E10value_typeET2_T3_PNSZ_IS14_E10value_typeET4_jRbjT5_S1A_jjP12ihipStream_tbEUljE_EEESV_SW_SX_S14_S18_S1A_T6_T7_T9_mT8_S1C_bDpT10_ENKUlT_T0_E_clISt17integral_constantIbLb0EES1P_EEDaS1K_S1L_EUlS1K_E_NS1_11comp_targetILNS1_3genE9ELNS1_11target_archE1100ELNS1_3gpuE3ELNS1_3repE0EEENS1_30default_config_static_selectorELNS0_4arch9wavefront6targetE0EEEvSY_.num_agpr, 0
	.set _ZN7rocprim17ROCPRIM_400000_NS6detail17trampoline_kernelINS0_13select_configILj256ELj13ELNS0_17block_load_methodE3ELS4_3ELS4_3ELNS0_20block_scan_algorithmE0ELj4294967295EEENS1_25partition_config_selectorILNS1_17partition_subalgoE3EjNS0_10empty_typeEbEEZZNS1_14partition_implILS8_3ELb0ES6_jNS0_17counting_iteratorIjlEEPS9_SE_NS0_5tupleIJPjSE_EEENSF_IJSE_SE_EEES9_SG_JZNS1_25segmented_radix_sort_implINS0_14default_configELb1EPKhPhPKlPlN2at6native12_GLOBAL__N_18offset_tEEE10hipError_tPvRmT1_PNSt15iterator_traitsISY_E10value_typeET2_T3_PNSZ_IS14_E10value_typeET4_jRbjT5_S1A_jjP12ihipStream_tbEUljE_EEESV_SW_SX_S14_S18_S1A_T6_T7_T9_mT8_S1C_bDpT10_ENKUlT_T0_E_clISt17integral_constantIbLb0EES1P_EEDaS1K_S1L_EUlS1K_E_NS1_11comp_targetILNS1_3genE9ELNS1_11target_archE1100ELNS1_3gpuE3ELNS1_3repE0EEENS1_30default_config_static_selectorELNS0_4arch9wavefront6targetE0EEEvSY_.numbered_sgpr, 0
	.set _ZN7rocprim17ROCPRIM_400000_NS6detail17trampoline_kernelINS0_13select_configILj256ELj13ELNS0_17block_load_methodE3ELS4_3ELS4_3ELNS0_20block_scan_algorithmE0ELj4294967295EEENS1_25partition_config_selectorILNS1_17partition_subalgoE3EjNS0_10empty_typeEbEEZZNS1_14partition_implILS8_3ELb0ES6_jNS0_17counting_iteratorIjlEEPS9_SE_NS0_5tupleIJPjSE_EEENSF_IJSE_SE_EEES9_SG_JZNS1_25segmented_radix_sort_implINS0_14default_configELb1EPKhPhPKlPlN2at6native12_GLOBAL__N_18offset_tEEE10hipError_tPvRmT1_PNSt15iterator_traitsISY_E10value_typeET2_T3_PNSZ_IS14_E10value_typeET4_jRbjT5_S1A_jjP12ihipStream_tbEUljE_EEESV_SW_SX_S14_S18_S1A_T6_T7_T9_mT8_S1C_bDpT10_ENKUlT_T0_E_clISt17integral_constantIbLb0EES1P_EEDaS1K_S1L_EUlS1K_E_NS1_11comp_targetILNS1_3genE9ELNS1_11target_archE1100ELNS1_3gpuE3ELNS1_3repE0EEENS1_30default_config_static_selectorELNS0_4arch9wavefront6targetE0EEEvSY_.num_named_barrier, 0
	.set _ZN7rocprim17ROCPRIM_400000_NS6detail17trampoline_kernelINS0_13select_configILj256ELj13ELNS0_17block_load_methodE3ELS4_3ELS4_3ELNS0_20block_scan_algorithmE0ELj4294967295EEENS1_25partition_config_selectorILNS1_17partition_subalgoE3EjNS0_10empty_typeEbEEZZNS1_14partition_implILS8_3ELb0ES6_jNS0_17counting_iteratorIjlEEPS9_SE_NS0_5tupleIJPjSE_EEENSF_IJSE_SE_EEES9_SG_JZNS1_25segmented_radix_sort_implINS0_14default_configELb1EPKhPhPKlPlN2at6native12_GLOBAL__N_18offset_tEEE10hipError_tPvRmT1_PNSt15iterator_traitsISY_E10value_typeET2_T3_PNSZ_IS14_E10value_typeET4_jRbjT5_S1A_jjP12ihipStream_tbEUljE_EEESV_SW_SX_S14_S18_S1A_T6_T7_T9_mT8_S1C_bDpT10_ENKUlT_T0_E_clISt17integral_constantIbLb0EES1P_EEDaS1K_S1L_EUlS1K_E_NS1_11comp_targetILNS1_3genE9ELNS1_11target_archE1100ELNS1_3gpuE3ELNS1_3repE0EEENS1_30default_config_static_selectorELNS0_4arch9wavefront6targetE0EEEvSY_.private_seg_size, 0
	.set _ZN7rocprim17ROCPRIM_400000_NS6detail17trampoline_kernelINS0_13select_configILj256ELj13ELNS0_17block_load_methodE3ELS4_3ELS4_3ELNS0_20block_scan_algorithmE0ELj4294967295EEENS1_25partition_config_selectorILNS1_17partition_subalgoE3EjNS0_10empty_typeEbEEZZNS1_14partition_implILS8_3ELb0ES6_jNS0_17counting_iteratorIjlEEPS9_SE_NS0_5tupleIJPjSE_EEENSF_IJSE_SE_EEES9_SG_JZNS1_25segmented_radix_sort_implINS0_14default_configELb1EPKhPhPKlPlN2at6native12_GLOBAL__N_18offset_tEEE10hipError_tPvRmT1_PNSt15iterator_traitsISY_E10value_typeET2_T3_PNSZ_IS14_E10value_typeET4_jRbjT5_S1A_jjP12ihipStream_tbEUljE_EEESV_SW_SX_S14_S18_S1A_T6_T7_T9_mT8_S1C_bDpT10_ENKUlT_T0_E_clISt17integral_constantIbLb0EES1P_EEDaS1K_S1L_EUlS1K_E_NS1_11comp_targetILNS1_3genE9ELNS1_11target_archE1100ELNS1_3gpuE3ELNS1_3repE0EEENS1_30default_config_static_selectorELNS0_4arch9wavefront6targetE0EEEvSY_.uses_vcc, 0
	.set _ZN7rocprim17ROCPRIM_400000_NS6detail17trampoline_kernelINS0_13select_configILj256ELj13ELNS0_17block_load_methodE3ELS4_3ELS4_3ELNS0_20block_scan_algorithmE0ELj4294967295EEENS1_25partition_config_selectorILNS1_17partition_subalgoE3EjNS0_10empty_typeEbEEZZNS1_14partition_implILS8_3ELb0ES6_jNS0_17counting_iteratorIjlEEPS9_SE_NS0_5tupleIJPjSE_EEENSF_IJSE_SE_EEES9_SG_JZNS1_25segmented_radix_sort_implINS0_14default_configELb1EPKhPhPKlPlN2at6native12_GLOBAL__N_18offset_tEEE10hipError_tPvRmT1_PNSt15iterator_traitsISY_E10value_typeET2_T3_PNSZ_IS14_E10value_typeET4_jRbjT5_S1A_jjP12ihipStream_tbEUljE_EEESV_SW_SX_S14_S18_S1A_T6_T7_T9_mT8_S1C_bDpT10_ENKUlT_T0_E_clISt17integral_constantIbLb0EES1P_EEDaS1K_S1L_EUlS1K_E_NS1_11comp_targetILNS1_3genE9ELNS1_11target_archE1100ELNS1_3gpuE3ELNS1_3repE0EEENS1_30default_config_static_selectorELNS0_4arch9wavefront6targetE0EEEvSY_.uses_flat_scratch, 0
	.set _ZN7rocprim17ROCPRIM_400000_NS6detail17trampoline_kernelINS0_13select_configILj256ELj13ELNS0_17block_load_methodE3ELS4_3ELS4_3ELNS0_20block_scan_algorithmE0ELj4294967295EEENS1_25partition_config_selectorILNS1_17partition_subalgoE3EjNS0_10empty_typeEbEEZZNS1_14partition_implILS8_3ELb0ES6_jNS0_17counting_iteratorIjlEEPS9_SE_NS0_5tupleIJPjSE_EEENSF_IJSE_SE_EEES9_SG_JZNS1_25segmented_radix_sort_implINS0_14default_configELb1EPKhPhPKlPlN2at6native12_GLOBAL__N_18offset_tEEE10hipError_tPvRmT1_PNSt15iterator_traitsISY_E10value_typeET2_T3_PNSZ_IS14_E10value_typeET4_jRbjT5_S1A_jjP12ihipStream_tbEUljE_EEESV_SW_SX_S14_S18_S1A_T6_T7_T9_mT8_S1C_bDpT10_ENKUlT_T0_E_clISt17integral_constantIbLb0EES1P_EEDaS1K_S1L_EUlS1K_E_NS1_11comp_targetILNS1_3genE9ELNS1_11target_archE1100ELNS1_3gpuE3ELNS1_3repE0EEENS1_30default_config_static_selectorELNS0_4arch9wavefront6targetE0EEEvSY_.has_dyn_sized_stack, 0
	.set _ZN7rocprim17ROCPRIM_400000_NS6detail17trampoline_kernelINS0_13select_configILj256ELj13ELNS0_17block_load_methodE3ELS4_3ELS4_3ELNS0_20block_scan_algorithmE0ELj4294967295EEENS1_25partition_config_selectorILNS1_17partition_subalgoE3EjNS0_10empty_typeEbEEZZNS1_14partition_implILS8_3ELb0ES6_jNS0_17counting_iteratorIjlEEPS9_SE_NS0_5tupleIJPjSE_EEENSF_IJSE_SE_EEES9_SG_JZNS1_25segmented_radix_sort_implINS0_14default_configELb1EPKhPhPKlPlN2at6native12_GLOBAL__N_18offset_tEEE10hipError_tPvRmT1_PNSt15iterator_traitsISY_E10value_typeET2_T3_PNSZ_IS14_E10value_typeET4_jRbjT5_S1A_jjP12ihipStream_tbEUljE_EEESV_SW_SX_S14_S18_S1A_T6_T7_T9_mT8_S1C_bDpT10_ENKUlT_T0_E_clISt17integral_constantIbLb0EES1P_EEDaS1K_S1L_EUlS1K_E_NS1_11comp_targetILNS1_3genE9ELNS1_11target_archE1100ELNS1_3gpuE3ELNS1_3repE0EEENS1_30default_config_static_selectorELNS0_4arch9wavefront6targetE0EEEvSY_.has_recursion, 0
	.set _ZN7rocprim17ROCPRIM_400000_NS6detail17trampoline_kernelINS0_13select_configILj256ELj13ELNS0_17block_load_methodE3ELS4_3ELS4_3ELNS0_20block_scan_algorithmE0ELj4294967295EEENS1_25partition_config_selectorILNS1_17partition_subalgoE3EjNS0_10empty_typeEbEEZZNS1_14partition_implILS8_3ELb0ES6_jNS0_17counting_iteratorIjlEEPS9_SE_NS0_5tupleIJPjSE_EEENSF_IJSE_SE_EEES9_SG_JZNS1_25segmented_radix_sort_implINS0_14default_configELb1EPKhPhPKlPlN2at6native12_GLOBAL__N_18offset_tEEE10hipError_tPvRmT1_PNSt15iterator_traitsISY_E10value_typeET2_T3_PNSZ_IS14_E10value_typeET4_jRbjT5_S1A_jjP12ihipStream_tbEUljE_EEESV_SW_SX_S14_S18_S1A_T6_T7_T9_mT8_S1C_bDpT10_ENKUlT_T0_E_clISt17integral_constantIbLb0EES1P_EEDaS1K_S1L_EUlS1K_E_NS1_11comp_targetILNS1_3genE9ELNS1_11target_archE1100ELNS1_3gpuE3ELNS1_3repE0EEENS1_30default_config_static_selectorELNS0_4arch9wavefront6targetE0EEEvSY_.has_indirect_call, 0
	.section	.AMDGPU.csdata,"",@progbits
; Kernel info:
; codeLenInByte = 0
; TotalNumSgprs: 0
; NumVgprs: 0
; ScratchSize: 0
; MemoryBound: 0
; FloatMode: 240
; IeeeMode: 1
; LDSByteSize: 0 bytes/workgroup (compile time only)
; SGPRBlocks: 0
; VGPRBlocks: 0
; NumSGPRsForWavesPerEU: 1
; NumVGPRsForWavesPerEU: 1
; Occupancy: 16
; WaveLimiterHint : 0
; COMPUTE_PGM_RSRC2:SCRATCH_EN: 0
; COMPUTE_PGM_RSRC2:USER_SGPR: 6
; COMPUTE_PGM_RSRC2:TRAP_HANDLER: 0
; COMPUTE_PGM_RSRC2:TGID_X_EN: 1
; COMPUTE_PGM_RSRC2:TGID_Y_EN: 0
; COMPUTE_PGM_RSRC2:TGID_Z_EN: 0
; COMPUTE_PGM_RSRC2:TIDIG_COMP_CNT: 0
	.section	.text._ZN7rocprim17ROCPRIM_400000_NS6detail17trampoline_kernelINS0_13select_configILj256ELj13ELNS0_17block_load_methodE3ELS4_3ELS4_3ELNS0_20block_scan_algorithmE0ELj4294967295EEENS1_25partition_config_selectorILNS1_17partition_subalgoE3EjNS0_10empty_typeEbEEZZNS1_14partition_implILS8_3ELb0ES6_jNS0_17counting_iteratorIjlEEPS9_SE_NS0_5tupleIJPjSE_EEENSF_IJSE_SE_EEES9_SG_JZNS1_25segmented_radix_sort_implINS0_14default_configELb1EPKhPhPKlPlN2at6native12_GLOBAL__N_18offset_tEEE10hipError_tPvRmT1_PNSt15iterator_traitsISY_E10value_typeET2_T3_PNSZ_IS14_E10value_typeET4_jRbjT5_S1A_jjP12ihipStream_tbEUljE_EEESV_SW_SX_S14_S18_S1A_T6_T7_T9_mT8_S1C_bDpT10_ENKUlT_T0_E_clISt17integral_constantIbLb0EES1P_EEDaS1K_S1L_EUlS1K_E_NS1_11comp_targetILNS1_3genE8ELNS1_11target_archE1030ELNS1_3gpuE2ELNS1_3repE0EEENS1_30default_config_static_selectorELNS0_4arch9wavefront6targetE0EEEvSY_,"axG",@progbits,_ZN7rocprim17ROCPRIM_400000_NS6detail17trampoline_kernelINS0_13select_configILj256ELj13ELNS0_17block_load_methodE3ELS4_3ELS4_3ELNS0_20block_scan_algorithmE0ELj4294967295EEENS1_25partition_config_selectorILNS1_17partition_subalgoE3EjNS0_10empty_typeEbEEZZNS1_14partition_implILS8_3ELb0ES6_jNS0_17counting_iteratorIjlEEPS9_SE_NS0_5tupleIJPjSE_EEENSF_IJSE_SE_EEES9_SG_JZNS1_25segmented_radix_sort_implINS0_14default_configELb1EPKhPhPKlPlN2at6native12_GLOBAL__N_18offset_tEEE10hipError_tPvRmT1_PNSt15iterator_traitsISY_E10value_typeET2_T3_PNSZ_IS14_E10value_typeET4_jRbjT5_S1A_jjP12ihipStream_tbEUljE_EEESV_SW_SX_S14_S18_S1A_T6_T7_T9_mT8_S1C_bDpT10_ENKUlT_T0_E_clISt17integral_constantIbLb0EES1P_EEDaS1K_S1L_EUlS1K_E_NS1_11comp_targetILNS1_3genE8ELNS1_11target_archE1030ELNS1_3gpuE2ELNS1_3repE0EEENS1_30default_config_static_selectorELNS0_4arch9wavefront6targetE0EEEvSY_,comdat
	.globl	_ZN7rocprim17ROCPRIM_400000_NS6detail17trampoline_kernelINS0_13select_configILj256ELj13ELNS0_17block_load_methodE3ELS4_3ELS4_3ELNS0_20block_scan_algorithmE0ELj4294967295EEENS1_25partition_config_selectorILNS1_17partition_subalgoE3EjNS0_10empty_typeEbEEZZNS1_14partition_implILS8_3ELb0ES6_jNS0_17counting_iteratorIjlEEPS9_SE_NS0_5tupleIJPjSE_EEENSF_IJSE_SE_EEES9_SG_JZNS1_25segmented_radix_sort_implINS0_14default_configELb1EPKhPhPKlPlN2at6native12_GLOBAL__N_18offset_tEEE10hipError_tPvRmT1_PNSt15iterator_traitsISY_E10value_typeET2_T3_PNSZ_IS14_E10value_typeET4_jRbjT5_S1A_jjP12ihipStream_tbEUljE_EEESV_SW_SX_S14_S18_S1A_T6_T7_T9_mT8_S1C_bDpT10_ENKUlT_T0_E_clISt17integral_constantIbLb0EES1P_EEDaS1K_S1L_EUlS1K_E_NS1_11comp_targetILNS1_3genE8ELNS1_11target_archE1030ELNS1_3gpuE2ELNS1_3repE0EEENS1_30default_config_static_selectorELNS0_4arch9wavefront6targetE0EEEvSY_ ; -- Begin function _ZN7rocprim17ROCPRIM_400000_NS6detail17trampoline_kernelINS0_13select_configILj256ELj13ELNS0_17block_load_methodE3ELS4_3ELS4_3ELNS0_20block_scan_algorithmE0ELj4294967295EEENS1_25partition_config_selectorILNS1_17partition_subalgoE3EjNS0_10empty_typeEbEEZZNS1_14partition_implILS8_3ELb0ES6_jNS0_17counting_iteratorIjlEEPS9_SE_NS0_5tupleIJPjSE_EEENSF_IJSE_SE_EEES9_SG_JZNS1_25segmented_radix_sort_implINS0_14default_configELb1EPKhPhPKlPlN2at6native12_GLOBAL__N_18offset_tEEE10hipError_tPvRmT1_PNSt15iterator_traitsISY_E10value_typeET2_T3_PNSZ_IS14_E10value_typeET4_jRbjT5_S1A_jjP12ihipStream_tbEUljE_EEESV_SW_SX_S14_S18_S1A_T6_T7_T9_mT8_S1C_bDpT10_ENKUlT_T0_E_clISt17integral_constantIbLb0EES1P_EEDaS1K_S1L_EUlS1K_E_NS1_11comp_targetILNS1_3genE8ELNS1_11target_archE1030ELNS1_3gpuE2ELNS1_3repE0EEENS1_30default_config_static_selectorELNS0_4arch9wavefront6targetE0EEEvSY_
	.p2align	8
	.type	_ZN7rocprim17ROCPRIM_400000_NS6detail17trampoline_kernelINS0_13select_configILj256ELj13ELNS0_17block_load_methodE3ELS4_3ELS4_3ELNS0_20block_scan_algorithmE0ELj4294967295EEENS1_25partition_config_selectorILNS1_17partition_subalgoE3EjNS0_10empty_typeEbEEZZNS1_14partition_implILS8_3ELb0ES6_jNS0_17counting_iteratorIjlEEPS9_SE_NS0_5tupleIJPjSE_EEENSF_IJSE_SE_EEES9_SG_JZNS1_25segmented_radix_sort_implINS0_14default_configELb1EPKhPhPKlPlN2at6native12_GLOBAL__N_18offset_tEEE10hipError_tPvRmT1_PNSt15iterator_traitsISY_E10value_typeET2_T3_PNSZ_IS14_E10value_typeET4_jRbjT5_S1A_jjP12ihipStream_tbEUljE_EEESV_SW_SX_S14_S18_S1A_T6_T7_T9_mT8_S1C_bDpT10_ENKUlT_T0_E_clISt17integral_constantIbLb0EES1P_EEDaS1K_S1L_EUlS1K_E_NS1_11comp_targetILNS1_3genE8ELNS1_11target_archE1030ELNS1_3gpuE2ELNS1_3repE0EEENS1_30default_config_static_selectorELNS0_4arch9wavefront6targetE0EEEvSY_,@function
_ZN7rocprim17ROCPRIM_400000_NS6detail17trampoline_kernelINS0_13select_configILj256ELj13ELNS0_17block_load_methodE3ELS4_3ELS4_3ELNS0_20block_scan_algorithmE0ELj4294967295EEENS1_25partition_config_selectorILNS1_17partition_subalgoE3EjNS0_10empty_typeEbEEZZNS1_14partition_implILS8_3ELb0ES6_jNS0_17counting_iteratorIjlEEPS9_SE_NS0_5tupleIJPjSE_EEENSF_IJSE_SE_EEES9_SG_JZNS1_25segmented_radix_sort_implINS0_14default_configELb1EPKhPhPKlPlN2at6native12_GLOBAL__N_18offset_tEEE10hipError_tPvRmT1_PNSt15iterator_traitsISY_E10value_typeET2_T3_PNSZ_IS14_E10value_typeET4_jRbjT5_S1A_jjP12ihipStream_tbEUljE_EEESV_SW_SX_S14_S18_S1A_T6_T7_T9_mT8_S1C_bDpT10_ENKUlT_T0_E_clISt17integral_constantIbLb0EES1P_EEDaS1K_S1L_EUlS1K_E_NS1_11comp_targetILNS1_3genE8ELNS1_11target_archE1030ELNS1_3gpuE2ELNS1_3repE0EEENS1_30default_config_static_selectorELNS0_4arch9wavefront6targetE0EEEvSY_: ; @_ZN7rocprim17ROCPRIM_400000_NS6detail17trampoline_kernelINS0_13select_configILj256ELj13ELNS0_17block_load_methodE3ELS4_3ELS4_3ELNS0_20block_scan_algorithmE0ELj4294967295EEENS1_25partition_config_selectorILNS1_17partition_subalgoE3EjNS0_10empty_typeEbEEZZNS1_14partition_implILS8_3ELb0ES6_jNS0_17counting_iteratorIjlEEPS9_SE_NS0_5tupleIJPjSE_EEENSF_IJSE_SE_EEES9_SG_JZNS1_25segmented_radix_sort_implINS0_14default_configELb1EPKhPhPKlPlN2at6native12_GLOBAL__N_18offset_tEEE10hipError_tPvRmT1_PNSt15iterator_traitsISY_E10value_typeET2_T3_PNSZ_IS14_E10value_typeET4_jRbjT5_S1A_jjP12ihipStream_tbEUljE_EEESV_SW_SX_S14_S18_S1A_T6_T7_T9_mT8_S1C_bDpT10_ENKUlT_T0_E_clISt17integral_constantIbLb0EES1P_EEDaS1K_S1L_EUlS1K_E_NS1_11comp_targetILNS1_3genE8ELNS1_11target_archE1030ELNS1_3gpuE2ELNS1_3repE0EEENS1_30default_config_static_selectorELNS0_4arch9wavefront6targetE0EEEvSY_
; %bb.0:
	s_clause 0x6
	s_load_dword s0, s[4:5], 0x70
	s_load_dwordx2 s[16:17], s[4:5], 0x10
	s_load_dwordx4 s[12:15], s[4:5], 0x48
	s_load_dwordx2 s[18:19], s[4:5], 0x58
	s_load_dword s7, s[4:5], 0x8
	s_load_dwordx4 s[8:11], s[4:5], 0x78
	s_load_dword s1, s[4:5], 0x88
	s_mul_i32 s26, s6, 0xd00
	v_lshlrev_b32_e32 v42, 2, v0
	s_waitcnt lgkmcnt(0)
	s_mul_i32 s2, s0, 0xd00
	s_add_i32 s0, s0, -1
	s_add_i32 s3, s2, s16
	s_load_dwordx2 s[20:21], s[14:15], 0x0
	s_sub_i32 s25, s18, s3
	s_addk_i32 s25, 0xd00
	s_add_u32 s2, s16, s2
	s_addc_u32 s3, s17, 0
	s_cmp_eq_u32 s6, s0
	v_cmp_gt_u64_e64 s2, s[18:19], s[2:3]
	s_cselect_b32 s24, -1, 0
	s_cmp_lg_u32 s6, s0
	s_cselect_b32 s0, -1, 0
	s_add_i32 s3, s7, s26
	s_or_b32 s2, s0, s2
	s_add_i32 s3, s3, s16
	s_and_b32 vcc_lo, exec_lo, s2
	v_add_nc_u32_e32 v1, s3, v0
	s_mov_b32 s7, -1
	s_cbranch_vccz .LBB55_2
; %bb.1:
	v_add_nc_u32_e32 v2, 0x100, v1
	v_add_nc_u32_e32 v3, 0x200, v1
	;; [unrolled: 1-line block ×12, first 2 shown]
	ds_write2st64_b32 v42, v1, v2 offset1:4
	ds_write2st64_b32 v42, v3, v4 offset0:8 offset1:12
	ds_write2st64_b32 v42, v5, v6 offset0:16 offset1:20
	;; [unrolled: 1-line block ×5, first 2 shown]
	ds_write_b32 v42, v13 offset:12288
	s_waitcnt lgkmcnt(0)
	s_mov_b32 s7, 0
	s_barrier
.LBB55_2:
	v_cmp_gt_u32_e64 s0, s25, v0
	v_or_b32_e32 v41, 0x100, v0
	v_or_b32_e32 v40, 0x200, v0
	v_or_b32_e32 v39, 0x300, v0
	v_or_b32_e32 v38, 0x400, v0
	v_or_b32_e32 v37, 0x500, v0
	v_or_b32_e32 v36, 0x600, v0
	v_or_b32_e32 v35, 0x700, v0
	v_or_b32_e32 v34, 0x800, v0
	v_or_b32_e32 v33, 0x900, v0
	v_or_b32_e32 v32, 0xa00, v0
	v_or_b32_e32 v31, 0xb00, v0
	v_or_b32_e32 v30, 0xc00, v0
	s_andn2_b32 vcc_lo, exec_lo, s7
	s_cbranch_vccnz .LBB55_4
; %bb.3:
	v_add_nc_u32_e32 v2, s3, v41
	v_cmp_gt_u32_e32 vcc_lo, s25, v41
	v_add_nc_u32_e32 v3, s3, v40
	v_add_nc_u32_e32 v4, s3, v39
	;; [unrolled: 1-line block ×4, first 2 shown]
	v_cndmask_b32_e32 v2, 0, v2, vcc_lo
	v_cmp_gt_u32_e32 vcc_lo, s25, v40
	v_add_nc_u32_e32 v7, s3, v36
	v_add_nc_u32_e32 v8, s3, v35
	;; [unrolled: 1-line block ×4, first 2 shown]
	v_cndmask_b32_e32 v3, 0, v3, vcc_lo
	v_cmp_gt_u32_e32 vcc_lo, s25, v39
	v_add_nc_u32_e32 v11, s3, v32
	v_add_nc_u32_e32 v12, s3, v31
	v_cndmask_b32_e64 v1, 0, v1, s0
	v_add_nc_u32_e32 v13, s3, v30
	v_cndmask_b32_e32 v4, 0, v4, vcc_lo
	v_cmp_gt_u32_e32 vcc_lo, s25, v38
	v_cndmask_b32_e32 v5, 0, v5, vcc_lo
	v_cmp_gt_u32_e32 vcc_lo, s25, v37
	v_cndmask_b32_e32 v6, 0, v6, vcc_lo
	v_cmp_gt_u32_e32 vcc_lo, s25, v36
	v_cndmask_b32_e32 v7, 0, v7, vcc_lo
	v_cmp_gt_u32_e32 vcc_lo, s25, v35
	v_cndmask_b32_e32 v8, 0, v8, vcc_lo
	v_cmp_gt_u32_e32 vcc_lo, s25, v34
	v_cndmask_b32_e32 v9, 0, v9, vcc_lo
	v_cmp_gt_u32_e32 vcc_lo, s25, v33
	v_cndmask_b32_e32 v10, 0, v10, vcc_lo
	v_cmp_gt_u32_e32 vcc_lo, s25, v32
	v_cndmask_b32_e32 v11, 0, v11, vcc_lo
	v_cmp_gt_u32_e32 vcc_lo, s25, v31
	v_cndmask_b32_e32 v12, 0, v12, vcc_lo
	v_cmp_gt_u32_e32 vcc_lo, s25, v30
	v_cndmask_b32_e32 v13, 0, v13, vcc_lo
	ds_write2st64_b32 v42, v1, v2 offset1:4
	ds_write2st64_b32 v42, v3, v4 offset0:8 offset1:12
	ds_write2st64_b32 v42, v5, v6 offset0:16 offset1:20
	;; [unrolled: 1-line block ×5, first 2 shown]
	ds_write_b32 v42, v13 offset:12288
	s_waitcnt lgkmcnt(0)
	s_barrier
.LBB55_4:
	v_mul_u32_u24_e32 v45, 13, v0
	s_waitcnt lgkmcnt(0)
	buffer_gl0_inv
	v_cndmask_b32_e64 v43, 0, 1, s2
	s_andn2_b32 vcc_lo, exec_lo, s2
	v_lshlrev_b32_e32 v1, 2, v45
	ds_read2_b32 v[26:27], v1 offset0:2 offset1:3
	ds_read2_b32 v[22:23], v1 offset0:6 offset1:7
	;; [unrolled: 1-line block ×3, first 2 shown]
	ds_read2_b32 v[28:29], v1 offset1:1
	ds_read2_b32 v[18:19], v1 offset0:10 offset1:11
	ds_read_b32 v44, v1 offset:48
	ds_read2_b32 v[20:21], v1 offset0:8 offset1:9
	s_waitcnt lgkmcnt(0)
	s_barrier
	buffer_gl0_inv
	s_cbranch_vccnz .LBB55_6
; %bb.5:
	v_add_nc_u32_e32 v1, s9, v27
	v_add_nc_u32_e32 v4, s9, v26
	;; [unrolled: 1-line block ×6, first 2 shown]
	v_mul_lo_u32 v4, v4, s8
	v_mul_lo_u32 v1, v1, s8
	;; [unrolled: 1-line block ×4, first 2 shown]
	v_add_nc_u32_e32 v3, s9, v28
	v_add_nc_u32_e32 v7, s11, v28
	v_mul_lo_u32 v2, v2, s8
	v_mul_lo_u32 v6, v6, s10
	v_add_nc_u32_e32 v10, s11, v25
	v_mul_lo_u32 v3, v3, s8
	v_mul_lo_u32 v7, v7, s10
	v_sub_nc_u32_e32 v1, v1, v5
	v_sub_nc_u32_e32 v4, v4, v8
	v_add_nc_u32_e32 v5, s9, v23
	v_add_nc_u32_e32 v8, s11, v23
	v_sub_nc_u32_e32 v2, v2, v6
	v_add_nc_u32_e32 v6, s9, v25
	v_add_nc_u32_e32 v9, s9, v22
	v_mul_lo_u32 v5, v5, s8
	v_mul_lo_u32 v8, v8, s10
	v_sub_nc_u32_e32 v3, v3, v7
	v_add_nc_u32_e32 v7, s9, v24
	v_add_nc_u32_e32 v11, s11, v22
	v_mul_lo_u32 v6, v6, s8
	v_mul_lo_u32 v10, v10, s10
	v_add_nc_u32_e32 v12, s11, v24
	v_mul_lo_u32 v9, v9, s8
	v_mul_lo_u32 v7, v7, s8
	;; [unrolled: 1-line block ×3, first 2 shown]
	v_sub_nc_u32_e32 v5, v5, v8
	v_mul_lo_u32 v8, v12, s10
	v_cmp_lt_u32_e32 vcc_lo, s1, v1
	v_sub_nc_u32_e32 v6, v6, v10
	v_add_nc_u32_e32 v10, s9, v19
	v_add_nc_u32_e32 v14, s11, v19
	;; [unrolled: 1-line block ×3, first 2 shown]
	v_cndmask_b32_e64 v1, 0, 1, vcc_lo
	v_cmp_lt_u32_e32 vcc_lo, s1, v2
	v_sub_nc_u32_e32 v7, v7, v8
	v_sub_nc_u32_e32 v8, v9, v11
	v_add_nc_u32_e32 v11, s9, v21
	v_mul_lo_u32 v10, v10, s8
	v_mul_lo_u32 v14, v14, s10
	v_cndmask_b32_e64 v2, 0, 1, vcc_lo
	v_cmp_lt_u32_e32 vcc_lo, s1, v5
	v_mul_lo_u32 v11, v11, s8
	v_mul_lo_u32 v15, v15, s10
	v_mov_b32_e32 v9, 8
	v_lshlrev_b16 v2, 8, v2
	v_cndmask_b32_e64 v5, 0, 1, vcc_lo
	v_cmp_lt_u32_e32 vcc_lo, s1, v6
	v_sub_nc_u32_e32 v10, v10, v14
	v_add_nc_u32_e32 v12, s9, v20
	v_add_nc_u32_e32 v16, s11, v20
	v_sub_nc_u32_e32 v11, v11, v15
	v_cndmask_b32_e64 v6, 0, 1, vcc_lo
	v_cmp_lt_u32_e32 vcc_lo, s1, v10
	v_lshrrev_b32_sdwa v2, v9, v2 dst_sel:BYTE_1 dst_unused:UNUSED_PAD src0_sel:DWORD src1_sel:DWORD
	v_add_nc_u32_e32 v13, s9, v18
	v_add_nc_u32_e32 v17, s11, v18
	v_mul_lo_u32 v12, v12, s8
	v_cndmask_b32_e64 v10, 0, 1, vcc_lo
	v_cmp_lt_u32_e32 vcc_lo, s1, v11
	v_mul_lo_u32 v16, v16, s10
	v_mul_lo_u32 v13, v13, s8
	;; [unrolled: 1-line block ×3, first 2 shown]
	v_add_nc_u32_e32 v14, s9, v44
	v_cndmask_b32_e64 v11, 0, 1, vcc_lo
	v_cmp_lt_u32_e32 vcc_lo, s1, v3
	v_add_nc_u32_e32 v15, s11, v44
	v_lshlrev_b16 v1, 8, v1
	v_sub_nc_u32_e32 v12, v12, v16
	v_lshlrev_b16 v11, 8, v11
	v_cndmask_b32_e64 v3, 0, 1, vcc_lo
	v_cmp_lt_u32_e32 vcc_lo, s1, v4
	v_sub_nc_u32_e32 v13, v13, v17
	v_mul_lo_u32 v14, v14, s8
	v_mul_lo_u32 v15, v15, s10
	v_or_b32_e32 v2, v3, v2
	v_cndmask_b32_e64 v3, 0, 1, vcc_lo
	v_cmp_lt_u32_e32 vcc_lo, s1, v7
	v_lshlrev_b16 v6, 8, v6
	v_lshlrev_b16 v10, 8, v10
	;; [unrolled: 1-line block ×3, first 2 shown]
	v_lshrrev_b32_sdwa v1, v9, v1 dst_sel:BYTE_1 dst_unused:UNUSED_PAD src0_sel:DWORD src1_sel:DWORD
	v_cndmask_b32_e64 v4, 0, 1, vcc_lo
	v_cmp_lt_u32_e32 vcc_lo, s1, v8
	v_lshrrev_b32_sdwa v8, v9, v11 dst_sel:BYTE_1 dst_unused:UNUSED_PAD src0_sel:DWORD src1_sel:DWORD
	v_lshrrev_b32_sdwa v6, v9, v6 dst_sel:BYTE_1 dst_unused:UNUSED_PAD src0_sel:DWORD src1_sel:DWORD
	v_sub_nc_u32_e32 v14, v14, v15
	v_lshrrev_b32_sdwa v9, v9, v10 dst_sel:BYTE_1 dst_unused:UNUSED_PAD src0_sel:DWORD src1_sel:DWORD
	v_cndmask_b32_e64 v7, 0, 1, vcc_lo
	v_cmp_lt_u32_e32 vcc_lo, s1, v12
	v_or_b32_sdwa v1, v3, v1 dst_sel:WORD_1 dst_unused:UNUSED_PAD src0_sel:DWORD src1_sel:DWORD
	v_or_b32_e32 v3, v4, v6
	v_or_b32_sdwa v4, v7, v5 dst_sel:WORD_1 dst_unused:UNUSED_PAD src0_sel:DWORD src1_sel:DWORD
	v_cndmask_b32_e64 v11, 0, 1, vcc_lo
	v_cmp_lt_u32_e32 vcc_lo, s1, v13
	v_or_b32_sdwa v50, v2, v1 dst_sel:DWORD dst_unused:UNUSED_PAD src0_sel:WORD_0 src1_sel:DWORD
	v_or_b32_sdwa v48, v3, v4 dst_sel:DWORD dst_unused:UNUSED_PAD src0_sel:WORD_0 src1_sel:DWORD
	v_or_b32_e32 v5, v11, v8
	v_cndmask_b32_e64 v10, 0, 1, vcc_lo
	v_cmp_lt_u32_e32 vcc_lo, s1, v14
	v_or_b32_sdwa v6, v10, v9 dst_sel:WORD_1 dst_unused:UNUSED_PAD src0_sel:DWORD src1_sel:DWORD
	v_cndmask_b32_e64 v46, 0, 1, vcc_lo
	v_or_b32_sdwa v47, v5, v6 dst_sel:DWORD dst_unused:UNUSED_PAD src0_sel:WORD_0 src1_sel:DWORD
	s_clause 0x1
	s_load_dwordx2 s[14:15], s[4:5], 0x28
	s_load_dwordx2 s[22:23], s[4:5], 0x68
	s_cbranch_execz .LBB55_7
	s_branch .LBB55_34
.LBB55_6:
                                        ; implicit-def: $vgpr46
                                        ; implicit-def: $vgpr47
                                        ; implicit-def: $vgpr48
                                        ; implicit-def: $vgpr50
	s_clause 0x1
	s_load_dwordx2 s[14:15], s[4:5], 0x28
	s_load_dwordx2 s[22:23], s[4:5], 0x68
.LBB55_7:
	v_mov_b32_e32 v2, 0
	v_mov_b32_e32 v1, 0
	s_mov_b32 s0, exec_lo
	v_cmpx_gt_u32_e64 s25, v45
	s_cbranch_execz .LBB55_9
; %bb.8:
	v_add_nc_u32_e32 v1, s9, v28
	v_add_nc_u32_e32 v3, s11, v28
	v_mul_lo_u32 v1, v1, s8
	v_mul_lo_u32 v3, v3, s10
	v_sub_nc_u32_e32 v1, v1, v3
	v_cmp_lt_u32_e32 vcc_lo, s1, v1
	v_cndmask_b32_e64 v1, 0, 1, vcc_lo
.LBB55_9:
	s_or_b32 exec_lo, exec_lo, s0
	v_add_nc_u32_e32 v3, 1, v45
	s_mov_b32 s0, exec_lo
	v_cmpx_gt_u32_e64 s25, v3
	s_cbranch_execz .LBB55_11
; %bb.10:
	v_add_nc_u32_e32 v2, s9, v29
	v_add_nc_u32_e32 v3, s11, v29
	v_mul_lo_u32 v2, v2, s8
	v_mul_lo_u32 v3, v3, s10
	v_sub_nc_u32_e32 v2, v2, v3
	v_cmp_lt_u32_e32 vcc_lo, s1, v2
	v_cndmask_b32_e64 v2, 0, 1, vcc_lo
.LBB55_11:
	s_or_b32 exec_lo, exec_lo, s0
	v_add_nc_u32_e32 v3, 2, v45
	v_mov_b32_e32 v4, 0
	v_cmp_gt_u32_e32 vcc_lo, s25, v3
	v_mov_b32_e32 v3, 0
	s_and_saveexec_b32 s0, vcc_lo
	s_cbranch_execz .LBB55_13
; %bb.12:
	v_add_nc_u32_e32 v3, s9, v26
	v_add_nc_u32_e32 v5, s11, v26
	v_mul_lo_u32 v3, v3, s8
	v_mul_lo_u32 v5, v5, s10
	v_sub_nc_u32_e32 v3, v3, v5
	v_cmp_lt_u32_e32 vcc_lo, s1, v3
	v_cndmask_b32_e64 v3, 0, 1, vcc_lo
.LBB55_13:
	s_or_b32 exec_lo, exec_lo, s0
	v_add_nc_u32_e32 v5, 3, v45
	s_mov_b32 s0, exec_lo
	v_cmpx_gt_u32_e64 s25, v5
	s_cbranch_execz .LBB55_15
; %bb.14:
	v_add_nc_u32_e32 v4, s9, v27
	v_add_nc_u32_e32 v5, s11, v27
	v_mul_lo_u32 v4, v4, s8
	v_mul_lo_u32 v5, v5, s10
	v_sub_nc_u32_e32 v4, v4, v5
	v_cmp_lt_u32_e32 vcc_lo, s1, v4
	v_cndmask_b32_e64 v4, 0, 1, vcc_lo
.LBB55_15:
	s_or_b32 exec_lo, exec_lo, s0
	v_add_nc_u32_e32 v5, 4, v45
	v_mov_b32_e32 v6, 0
	v_cmp_gt_u32_e32 vcc_lo, s25, v5
	v_mov_b32_e32 v5, 0
	s_and_saveexec_b32 s0, vcc_lo
	;; [unrolled: 30-line block ×5, first 2 shown]
	s_cbranch_execz .LBB55_29
; %bb.28:
	v_add_nc_u32_e32 v11, s9, v18
	v_add_nc_u32_e32 v13, s11, v18
	v_mul_lo_u32 v11, v11, s8
	v_mul_lo_u32 v13, v13, s10
	v_sub_nc_u32_e32 v11, v11, v13
	v_cmp_lt_u32_e32 vcc_lo, s1, v11
	v_cndmask_b32_e64 v11, 0, 1, vcc_lo
.LBB55_29:
	s_or_b32 exec_lo, exec_lo, s0
	v_add_nc_u32_e32 v13, 11, v45
	s_mov_b32 s0, exec_lo
	v_cmpx_gt_u32_e64 s25, v13
	s_cbranch_execz .LBB55_31
; %bb.30:
	v_add_nc_u32_e32 v12, s9, v19
	v_add_nc_u32_e32 v13, s11, v19
	v_mul_lo_u32 v12, v12, s8
	v_mul_lo_u32 v13, v13, s10
	v_sub_nc_u32_e32 v12, v12, v13
	v_cmp_lt_u32_e32 vcc_lo, s1, v12
	v_cndmask_b32_e64 v12, 0, 1, vcc_lo
.LBB55_31:
	s_or_b32 exec_lo, exec_lo, s0
	v_add_nc_u32_e32 v13, 12, v45
	v_mov_b32_e32 v46, 0
	s_mov_b32 s0, exec_lo
	v_cmpx_gt_u32_e64 s25, v13
	s_cbranch_execz .LBB55_33
; %bb.32:
	v_add_nc_u32_e32 v13, s9, v44
	v_add_nc_u32_e32 v14, s11, v44
	v_mul_lo_u32 v13, v13, s8
	v_mul_lo_u32 v14, v14, s10
	v_sub_nc_u32_e32 v13, v13, v14
	v_cmp_lt_u32_e32 vcc_lo, s1, v13
	v_cndmask_b32_e64 v46, 0, 1, vcc_lo
.LBB55_33:
	s_or_b32 exec_lo, exec_lo, s0
	v_lshlrev_b16 v2, 8, v2
	v_lshlrev_b16 v4, 8, v4
	v_lshlrev_b16 v6, 8, v6
	v_lshlrev_b16 v8, 8, v8
	v_lshlrev_b16 v10, 8, v10
	v_or_b32_e32 v1, v1, v2
	v_lshlrev_b16 v2, 8, v12
	v_or_b32_sdwa v3, v3, v4 dst_sel:WORD_1 dst_unused:UNUSED_PAD src0_sel:DWORD src1_sel:DWORD
	v_or_b32_e32 v4, v5, v6
	v_or_b32_sdwa v5, v7, v8 dst_sel:WORD_1 dst_unused:UNUSED_PAD src0_sel:DWORD src1_sel:DWORD
	v_or_b32_e32 v6, v9, v10
	v_or_b32_sdwa v2, v11, v2 dst_sel:WORD_1 dst_unused:UNUSED_PAD src0_sel:DWORD src1_sel:DWORD
	v_or_b32_sdwa v50, v1, v3 dst_sel:DWORD dst_unused:UNUSED_PAD src0_sel:WORD_0 src1_sel:DWORD
	v_or_b32_sdwa v48, v4, v5 dst_sel:DWORD dst_unused:UNUSED_PAD src0_sel:WORD_0 src1_sel:DWORD
	;; [unrolled: 1-line block ×3, first 2 shown]
.LBB55_34:
	v_and_b32_e32 v53, 0xff, v50
	v_bfe_u32 v54, v50, 8, 8
	v_bfe_u32 v55, v50, 16, 8
	v_lshrrev_b32_e32 v52, 24, v50
	v_and_b32_e32 v56, 0xff, v48
	v_bfe_u32 v57, v48, 8, 8
	v_bfe_u32 v58, v48, 16, 8
	v_add3_u32 v1, v54, v53, v55
	v_lshrrev_b32_e32 v51, 24, v48
	v_and_b32_e32 v59, 0xff, v47
	v_bfe_u32 v60, v47, 8, 8
	v_mbcnt_lo_u32_b32 v62, -1, 0
	v_add3_u32 v1, v1, v52, v56
	v_bfe_u32 v61, v47, 16, 8
	v_lshrrev_b32_e32 v49, 24, v47
	v_and_b32_e32 v2, 0xff, v46
	v_and_b32_e32 v3, 15, v62
	v_add3_u32 v1, v1, v57, v58
	v_or_b32_e32 v4, 31, v0
	v_and_b32_e32 v5, 16, v62
	v_lshrrev_b32_e32 v63, 5, v0
	v_cmp_eq_u32_e64 s5, 0, v3
	v_add3_u32 v1, v1, v51, v59
	v_cmp_lt_u32_e64 s4, 1, v3
	v_cmp_lt_u32_e64 s3, 3, v3
	;; [unrolled: 1-line block ×3, first 2 shown]
	v_cmp_eq_u32_e64 s1, 0, v5
	v_add3_u32 v1, v1, v60, v61
	v_cmp_eq_u32_e64 s0, v0, v4
	s_cmp_lg_u32 s6, 0
	s_mov_b32 s7, -1
	v_add3_u32 v64, v1, v49, v2
	s_cbranch_scc0 .LBB55_56
; %bb.35:
	v_mov_b32_dpp v1, v64 row_shr:1 row_mask:0xf bank_mask:0xf
	v_cndmask_b32_e64 v1, v1, 0, s5
	v_add_nc_u32_e32 v1, v1, v64
	v_mov_b32_dpp v2, v1 row_shr:2 row_mask:0xf bank_mask:0xf
	v_cndmask_b32_e64 v2, 0, v2, s4
	v_add_nc_u32_e32 v1, v1, v2
	;; [unrolled: 3-line block ×4, first 2 shown]
	ds_swizzle_b32 v2, v1 offset:swizzle(BROADCAST,32,15)
	s_waitcnt lgkmcnt(0)
	v_cndmask_b32_e64 v2, v2, 0, s1
	v_add_nc_u32_e32 v1, v1, v2
	s_and_saveexec_b32 s7, s0
; %bb.36:
	v_lshlrev_b32_e32 v2, 2, v63
	ds_write_b32 v2, v1
; %bb.37:
	s_or_b32 exec_lo, exec_lo, s7
	s_mov_b32 s7, exec_lo
	s_waitcnt lgkmcnt(0)
	s_barrier
	buffer_gl0_inv
	v_cmpx_gt_u32_e32 8, v0
	s_cbranch_execz .LBB55_39
; %bb.38:
	ds_read_b32 v2, v42
	v_and_b32_e32 v3, 7, v62
	v_cmp_ne_u32_e32 vcc_lo, 0, v3
	s_waitcnt lgkmcnt(0)
	v_mov_b32_dpp v4, v2 row_shr:1 row_mask:0xf bank_mask:0xf
	v_cndmask_b32_e32 v4, 0, v4, vcc_lo
	v_cmp_lt_u32_e32 vcc_lo, 1, v3
	v_add_nc_u32_e32 v2, v4, v2
	v_mov_b32_dpp v4, v2 row_shr:2 row_mask:0xf bank_mask:0xf
	v_cndmask_b32_e32 v4, 0, v4, vcc_lo
	v_cmp_lt_u32_e32 vcc_lo, 3, v3
	v_add_nc_u32_e32 v2, v2, v4
	v_mov_b32_dpp v4, v2 row_shr:4 row_mask:0xf bank_mask:0xf
	v_cndmask_b32_e32 v3, 0, v4, vcc_lo
	v_add_nc_u32_e32 v2, v2, v3
	ds_write_b32 v42, v2
.LBB55_39:
	s_or_b32 exec_lo, exec_lo, s7
	s_mov_b32 s8, exec_lo
	v_cmp_gt_u32_e32 vcc_lo, 32, v0
	s_waitcnt lgkmcnt(0)
	s_barrier
	buffer_gl0_inv
                                        ; implicit-def: $vgpr10
	v_cmpx_lt_u32_e32 31, v0
	s_cbranch_execz .LBB55_41
; %bb.40:
	v_lshl_add_u32 v2, v63, 2, -4
	ds_read_b32 v10, v2
	s_waitcnt lgkmcnt(0)
	v_add_nc_u32_e32 v1, v10, v1
.LBB55_41:
	s_or_b32 exec_lo, exec_lo, s8
	v_sub_co_u32 v2, s7, v62, 1
	v_cmp_gt_i32_e64 s8, 0, v2
	v_cndmask_b32_e64 v2, v2, v62, s8
	v_lshlrev_b32_e32 v2, 2, v2
	ds_bpermute_b32 v11, v2, v1
	s_and_saveexec_b32 s8, vcc_lo
	s_cbranch_execz .LBB55_61
; %bb.42:
	v_mov_b32_e32 v7, 0
	ds_read_b32 v1, v7 offset:28
	s_and_saveexec_b32 s9, s7
	s_cbranch_execz .LBB55_44
; %bb.43:
	s_add_i32 s10, s6, 32
	s_mov_b32 s11, 0
	v_mov_b32_e32 v2, 1
	s_lshl_b64 s[10:11], s[10:11], 3
	s_add_u32 s10, s22, s10
	s_addc_u32 s11, s23, s11
	s_waitcnt lgkmcnt(0)
	global_store_dwordx2 v7, v[1:2], s[10:11]
.LBB55_44:
	s_or_b32 exec_lo, exec_lo, s9
	v_xad_u32 v3, v62, -1, s6
	s_mov_b32 s10, 0
	v_add_nc_u32_e32 v6, 32, v3
	v_lshlrev_b64 v[4:5], 3, v[6:7]
	v_add_co_u32 v8, vcc_lo, s22, v4
	v_add_co_ci_u32_e64 v9, null, s23, v5, vcc_lo
	global_load_dwordx2 v[5:6], v[8:9], off glc dlc
	s_waitcnt vmcnt(0)
	v_cmp_eq_u16_sdwa s11, v6, v7 src0_sel:BYTE_0 src1_sel:DWORD
	s_and_saveexec_b32 s9, s11
	s_cbranch_execz .LBB55_48
; %bb.45:
	v_mov_b32_e32 v2, 0
.LBB55_46:                              ; =>This Inner Loop Header: Depth=1
	global_load_dwordx2 v[5:6], v[8:9], off glc dlc
	s_waitcnt vmcnt(0)
	v_cmp_ne_u16_sdwa s11, v6, v2 src0_sel:BYTE_0 src1_sel:DWORD
	s_or_b32 s10, s11, s10
	s_andn2_b32 exec_lo, exec_lo, s10
	s_cbranch_execnz .LBB55_46
; %bb.47:
	s_or_b32 exec_lo, exec_lo, s10
.LBB55_48:
	s_or_b32 exec_lo, exec_lo, s9
	v_cmp_ne_u32_e32 vcc_lo, 31, v62
	v_mov_b32_e32 v12, 2
	v_lshlrev_b32_e64 v13, v62, -1
	v_add_nc_u32_e32 v15, 2, v62
	v_add_nc_u32_e32 v17, 4, v62
	v_add_co_ci_u32_e64 v2, null, 0, v62, vcc_lo
	v_cmp_eq_u16_sdwa s9, v6, v12 src0_sel:BYTE_0 src1_sel:DWORD
	v_cmp_gt_u32_e32 vcc_lo, 30, v62
	v_add_nc_u32_e32 v66, 8, v62
	v_lshlrev_b32_e32 v9, 2, v2
	v_lshl_or_b32 v67, v62, 2, 64
	v_and_or_b32 v4, s9, v13, 0x80000000
	v_cndmask_b32_e64 v7, 0, 2, vcc_lo
	v_add_nc_u32_e32 v68, 16, v62
	ds_bpermute_b32 v2, v9, v5
	v_ffbl_b32_e32 v4, v4
	v_add_lshl_u32 v14, v7, v62, 2
	v_cmp_lt_u32_e32 vcc_lo, v62, v4
	s_waitcnt lgkmcnt(0)
	v_cndmask_b32_e32 v2, 0, v2, vcc_lo
	v_cmp_gt_u32_e32 vcc_lo, 28, v62
	v_add_nc_u32_e32 v2, v2, v5
	v_cndmask_b32_e64 v7, 0, 4, vcc_lo
	v_cmp_le_u32_e32 vcc_lo, v15, v4
	ds_bpermute_b32 v5, v14, v2
	v_add_lshl_u32 v16, v7, v62, 2
	s_waitcnt lgkmcnt(0)
	v_cndmask_b32_e32 v5, 0, v5, vcc_lo
	v_cmp_gt_u32_e32 vcc_lo, 24, v62
	v_add_nc_u32_e32 v2, v2, v5
	v_cndmask_b32_e64 v7, 0, 8, vcc_lo
	v_cmp_le_u32_e32 vcc_lo, v17, v4
	ds_bpermute_b32 v5, v16, v2
	v_add_lshl_u32 v65, v7, v62, 2
	s_waitcnt lgkmcnt(0)
	v_cndmask_b32_e32 v5, 0, v5, vcc_lo
	v_cmp_le_u32_e32 vcc_lo, v66, v4
	v_add_nc_u32_e32 v2, v2, v5
	ds_bpermute_b32 v5, v65, v2
	s_waitcnt lgkmcnt(0)
	v_cndmask_b32_e32 v5, 0, v5, vcc_lo
	v_cmp_le_u32_e32 vcc_lo, v68, v4
	v_add_nc_u32_e32 v2, v2, v5
	ds_bpermute_b32 v5, v67, v2
	s_waitcnt lgkmcnt(0)
	v_cndmask_b32_e32 v4, 0, v5, vcc_lo
	v_add_nc_u32_e32 v5, v2, v4
	v_mov_b32_e32 v4, 0
	s_branch .LBB55_52
.LBB55_49:                              ;   in Loop: Header=BB55_52 Depth=1
	s_or_b32 exec_lo, exec_lo, s10
.LBB55_50:                              ;   in Loop: Header=BB55_52 Depth=1
	s_or_b32 exec_lo, exec_lo, s9
	ds_bpermute_b32 v7, v9, v5
	v_cmp_eq_u16_sdwa s9, v6, v12 src0_sel:BYTE_0 src1_sel:DWORD
	v_subrev_nc_u32_e32 v3, 32, v3
	v_and_or_b32 v8, s9, v13, 0x80000000
	s_mov_b32 s9, 0
	v_ffbl_b32_e32 v8, v8
	v_cmp_lt_u32_e32 vcc_lo, v62, v8
	s_waitcnt lgkmcnt(0)
	v_cndmask_b32_e32 v7, 0, v7, vcc_lo
	v_cmp_le_u32_e32 vcc_lo, v15, v8
	v_add_nc_u32_e32 v5, v7, v5
	ds_bpermute_b32 v7, v14, v5
	s_waitcnt lgkmcnt(0)
	v_cndmask_b32_e32 v7, 0, v7, vcc_lo
	v_cmp_le_u32_e32 vcc_lo, v17, v8
	v_add_nc_u32_e32 v5, v5, v7
	ds_bpermute_b32 v7, v16, v5
	;; [unrolled: 5-line block ×4, first 2 shown]
	s_waitcnt lgkmcnt(0)
	v_cndmask_b32_e32 v7, 0, v7, vcc_lo
	v_add3_u32 v5, v7, v2, v5
.LBB55_51:                              ;   in Loop: Header=BB55_52 Depth=1
	s_and_b32 vcc_lo, exec_lo, s9
	s_cbranch_vccnz .LBB55_57
.LBB55_52:                              ; =>This Loop Header: Depth=1
                                        ;     Child Loop BB55_55 Depth 2
	v_cmp_ne_u16_sdwa s9, v6, v12 src0_sel:BYTE_0 src1_sel:DWORD
	v_mov_b32_e32 v2, v5
                                        ; implicit-def: $vgpr5
                                        ; implicit-def: $vgpr6
	s_cmp_lg_u32 s9, exec_lo
	s_mov_b32 s9, -1
	s_cbranch_scc1 .LBB55_51
; %bb.53:                               ;   in Loop: Header=BB55_52 Depth=1
	v_lshlrev_b64 v[5:6], 3, v[3:4]
	v_add_co_u32 v7, vcc_lo, s22, v5
	v_add_co_ci_u32_e64 v8, null, s23, v6, vcc_lo
	global_load_dwordx2 v[5:6], v[7:8], off glc dlc
	s_waitcnt vmcnt(0)
	v_cmp_eq_u16_sdwa s10, v6, v4 src0_sel:BYTE_0 src1_sel:DWORD
	s_and_saveexec_b32 s9, s10
	s_cbranch_execz .LBB55_50
; %bb.54:                               ;   in Loop: Header=BB55_52 Depth=1
	s_mov_b32 s10, 0
.LBB55_55:                              ;   Parent Loop BB55_52 Depth=1
                                        ; =>  This Inner Loop Header: Depth=2
	global_load_dwordx2 v[5:6], v[7:8], off glc dlc
	s_waitcnt vmcnt(0)
	v_cmp_ne_u16_sdwa s11, v6, v4 src0_sel:BYTE_0 src1_sel:DWORD
	s_or_b32 s10, s11, s10
	s_andn2_b32 exec_lo, exec_lo, s10
	s_cbranch_execnz .LBB55_55
	s_branch .LBB55_49
.LBB55_56:
                                        ; implicit-def: $vgpr17
                                        ; implicit-def: $vgpr1_vgpr2_vgpr3_vgpr4_vgpr5_vgpr6_vgpr7_vgpr8_vgpr9_vgpr10_vgpr11_vgpr12_vgpr13_vgpr14_vgpr15_vgpr16
	s_and_b32 vcc_lo, exec_lo, s7
	s_cbranch_vccnz .LBB55_62
	s_branch .LBB55_71
.LBB55_57:
	s_and_saveexec_b32 s9, s7
	s_cbranch_execz .LBB55_59
; %bb.58:
	s_add_i32 s10, s6, 32
	s_mov_b32 s11, 0
	v_add_nc_u32_e32 v3, v2, v1
	v_mov_b32_e32 v4, 2
	s_lshl_b64 s[10:11], s[10:11], 3
	v_mov_b32_e32 v5, 0
	s_add_u32 s10, s22, s10
	s_addc_u32 s11, s23, s11
	global_store_dwordx2 v5, v[3:4], s[10:11]
	ds_write_b64 v5, v[1:2] offset:13312
.LBB55_59:
	s_or_b32 exec_lo, exec_lo, s9
	v_cmp_eq_u32_e32 vcc_lo, 0, v0
	s_and_b32 exec_lo, exec_lo, vcc_lo
; %bb.60:
	v_mov_b32_e32 v1, 0
	ds_write_b32 v1, v2 offset:28
.LBB55_61:
	s_or_b32 exec_lo, exec_lo, s8
	v_mov_b32_e32 v12, 0
	s_waitcnt lgkmcnt(0)
	s_waitcnt_vscnt null, 0x0
	s_barrier
	buffer_gl0_inv
	v_cndmask_b32_e64 v2, v11, v10, s7
	ds_read_b32 v1, v12 offset:28
	v_cmp_ne_u32_e32 vcc_lo, 0, v0
	s_waitcnt lgkmcnt(0)
	s_barrier
	buffer_gl0_inv
	ds_read_b64 v[16:17], v12 offset:13312
	v_cndmask_b32_e32 v2, 0, v2, vcc_lo
	v_add_nc_u32_e32 v1, v1, v2
	v_add_nc_u32_e32 v2, v1, v53
	;; [unrolled: 1-line block ×13, first 2 shown]
	s_branch .LBB55_71
.LBB55_62:
	v_mov_b32_dpp v1, v64 row_shr:1 row_mask:0xf bank_mask:0xf
	v_cndmask_b32_e64 v1, v1, 0, s5
	v_add_nc_u32_e32 v1, v1, v64
	v_mov_b32_dpp v2, v1 row_shr:2 row_mask:0xf bank_mask:0xf
	v_cndmask_b32_e64 v2, 0, v2, s4
	v_add_nc_u32_e32 v1, v1, v2
	;; [unrolled: 3-line block ×4, first 2 shown]
	ds_swizzle_b32 v2, v1 offset:swizzle(BROADCAST,32,15)
	s_waitcnt lgkmcnt(0)
	v_cndmask_b32_e64 v2, v2, 0, s1
	v_add_nc_u32_e32 v1, v1, v2
	s_and_saveexec_b32 s1, s0
; %bb.63:
	v_lshlrev_b32_e32 v2, 2, v63
	ds_write_b32 v2, v1
; %bb.64:
	s_or_b32 exec_lo, exec_lo, s1
	s_mov_b32 s0, exec_lo
	s_waitcnt lgkmcnt(0)
	s_barrier
	buffer_gl0_inv
	v_cmpx_gt_u32_e32 8, v0
	s_cbranch_execz .LBB55_66
; %bb.65:
	ds_read_b32 v2, v42
	v_and_b32_e32 v3, 7, v62
	v_cmp_ne_u32_e32 vcc_lo, 0, v3
	s_waitcnt lgkmcnt(0)
	v_mov_b32_dpp v4, v2 row_shr:1 row_mask:0xf bank_mask:0xf
	v_cndmask_b32_e32 v4, 0, v4, vcc_lo
	v_cmp_lt_u32_e32 vcc_lo, 1, v3
	v_add_nc_u32_e32 v2, v4, v2
	v_mov_b32_dpp v4, v2 row_shr:2 row_mask:0xf bank_mask:0xf
	v_cndmask_b32_e32 v4, 0, v4, vcc_lo
	v_cmp_lt_u32_e32 vcc_lo, 3, v3
	v_add_nc_u32_e32 v2, v2, v4
	v_mov_b32_dpp v4, v2 row_shr:4 row_mask:0xf bank_mask:0xf
	v_cndmask_b32_e32 v3, 0, v4, vcc_lo
	v_add_nc_u32_e32 v2, v2, v3
	ds_write_b32 v42, v2
.LBB55_66:
	s_or_b32 exec_lo, exec_lo, s0
	v_mov_b32_e32 v3, 0
	v_mov_b32_e32 v2, 0
	s_mov_b32 s0, exec_lo
	s_waitcnt lgkmcnt(0)
	s_barrier
	buffer_gl0_inv
	v_cmpx_lt_u32_e32 31, v0
; %bb.67:
	v_lshl_add_u32 v2, v63, 2, -4
	ds_read_b32 v2, v2
; %bb.68:
	s_or_b32 exec_lo, exec_lo, s0
	v_sub_co_u32 v4, vcc_lo, v62, 1
	s_waitcnt lgkmcnt(0)
	v_add_nc_u32_e32 v1, v2, v1
	ds_read_b32 v16, v3 offset:28
	v_cmp_gt_i32_e64 s0, 0, v4
	v_cndmask_b32_e64 v4, v4, v62, s0
	v_cmp_eq_u32_e64 s0, 0, v0
	v_lshlrev_b32_e32 v4, 2, v4
	ds_bpermute_b32 v1, v4, v1
	s_and_saveexec_b32 s1, s0
	s_cbranch_execz .LBB55_70
; %bb.69:
	v_mov_b32_e32 v3, 0
	v_mov_b32_e32 v17, 2
	s_waitcnt lgkmcnt(1)
	global_store_dwordx2 v3, v[16:17], s[22:23] offset:256
.LBB55_70:
	s_or_b32 exec_lo, exec_lo, s1
	s_waitcnt lgkmcnt(0)
	v_cndmask_b32_e32 v1, v1, v2, vcc_lo
	v_mov_b32_e32 v17, 0
	s_waitcnt_vscnt null, 0x0
	s_barrier
	buffer_gl0_inv
	v_cndmask_b32_e64 v1, v1, 0, s0
	v_add_nc_u32_e32 v2, v1, v53
	v_add_nc_u32_e32 v3, v2, v54
	;; [unrolled: 1-line block ×12, first 2 shown]
.LBB55_71:
	s_waitcnt lgkmcnt(0)
	v_add_nc_u32_e32 v45, v16, v45
	v_sub_nc_u32_e32 v1, v1, v17
	v_and_b32_e32 v54, 1, v50
	v_lshrrev_b32_e32 v53, 8, v50
	v_sub_nc_u32_e32 v2, v2, v17
	v_sub_nc_u32_e32 v3, v3, v17
	;; [unrolled: 1-line block ×3, first 2 shown]
	v_cmp_eq_u32_e32 vcc_lo, 1, v54
	v_and_b32_e32 v53, 1, v53
	v_mov_b32_e32 v56, 1
	v_sub_nc_u32_e32 v54, v45, v2
	v_sub_nc_u32_e32 v4, v4, v17
	v_cndmask_b32_e32 v1, v55, v1, vcc_lo
	v_sub_nc_u32_e32 v55, v45, v3
	v_and_b32_sdwa v50, v56, v50 dst_sel:DWORD dst_unused:UNUSED_PAD src0_sel:DWORD src1_sel:WORD_1
	v_add_nc_u32_e32 v54, 1, v54
	v_cmp_eq_u32_e32 vcc_lo, 1, v53
	v_lshlrev_b32_e32 v1, 2, v1
	v_and_b32_e32 v52, 1, v52
	v_sub_nc_u32_e32 v57, v45, v4
	v_add_nc_u32_e32 v55, 2, v55
	v_lshrrev_b32_e32 v15, 8, v48
	ds_write_b32 v1, v28
	v_cndmask_b32_e32 v1, v54, v2, vcc_lo
	v_cmp_eq_u32_e32 vcc_lo, 1, v50
	v_add_nc_u32_e32 v57, 3, v57
	v_lshrrev_b32_e32 v14, 8, v47
	v_lshlrev_b32_e32 v1, 2, v1
	v_cndmask_b32_e32 v2, v55, v3, vcc_lo
	v_cmp_eq_u32_e32 vcc_lo, 1, v52
	ds_write_b32 v1, v29
	v_lshlrev_b32_e32 v2, 2, v2
	v_cndmask_b32_e32 v3, v57, v4, vcc_lo
	v_sub_nc_u32_e32 v4, v5, v17
	v_sub_nc_u32_e32 v5, v6, v17
	v_lshlrev_b32_e32 v3, 2, v3
	v_sub_nc_u32_e32 v1, v45, v4
	v_sub_nc_u32_e32 v6, v45, v5
	ds_write_b32 v2, v26
	ds_write_b32 v3, v27
	v_and_b32_e32 v2, 1, v48
	v_add_nc_u32_e32 v1, 4, v1
	v_add_nc_u32_e32 v3, 5, v6
	v_sub_nc_u32_e32 v6, v7, v17
	v_and_b32_e32 v7, 1, v15
	v_cmp_eq_u32_e32 vcc_lo, 1, v2
	v_sub_nc_u32_e32 v2, v8, v17
	v_and_b32_e32 v8, 1, v51
	v_add_co_u32 v15, s0, s20, v17
	v_cndmask_b32_e32 v1, v1, v4, vcc_lo
	v_sub_nc_u32_e32 v4, v45, v6
	v_cmp_eq_u32_e32 vcc_lo, 1, v7
	v_and_b32_sdwa v7, v56, v48 dst_sel:DWORD dst_unused:UNUSED_PAD src0_sel:DWORD src1_sel:WORD_1
	v_lshlrev_b32_e32 v1, 2, v1
	v_add_nc_u32_e32 v4, 6, v4
	v_cndmask_b32_e32 v3, v3, v5, vcc_lo
	v_sub_nc_u32_e32 v5, v45, v2
	v_cmp_eq_u32_e32 vcc_lo, 1, v7
	v_sub_nc_u32_e32 v7, v13, v17
	v_lshlrev_b32_e32 v3, 2, v3
	v_add_nc_u32_e32 v5, 7, v5
	v_cndmask_b32_e32 v4, v4, v6, vcc_lo
	v_cmp_eq_u32_e32 vcc_lo, 1, v8
	v_sub_nc_u32_e32 v6, v9, v17
	ds_write_b32 v1, v24
	ds_write_b32 v3, v25
	v_lshlrev_b32_e32 v3, 2, v4
	v_cndmask_b32_e32 v2, v5, v2, vcc_lo
	v_sub_nc_u32_e32 v1, v45, v6
	v_and_b32_e32 v5, 1, v47
	v_sub_nc_u32_e32 v4, v10, v17
	v_and_b32_e32 v10, 1, v49
	v_lshlrev_b32_e32 v2, 2, v2
	v_add_nc_u32_e32 v1, 8, v1
	ds_write_b32 v3, v22
	ds_write_b32 v2, v23
	v_cmp_eq_u32_e32 vcc_lo, 1, v5
	v_sub_nc_u32_e32 v3, v11, v17
	v_sub_nc_u32_e32 v2, v45, v4
	;; [unrolled: 1-line block ×3, first 2 shown]
	v_and_b32_e32 v11, 1, v46
	v_cndmask_b32_e32 v1, v1, v6, vcc_lo
	v_and_b32_e32 v6, 1, v14
	v_sub_nc_u32_e32 v8, v45, v3
	v_add_nc_u32_e32 v2, 9, v2
	v_sub_nc_u32_e32 v9, v45, v5
	v_lshlrev_b32_e32 v1, 2, v1
	v_cmp_eq_u32_e32 vcc_lo, 1, v6
	v_add_nc_u32_e32 v6, 10, v8
	v_and_b32_sdwa v8, v56, v47 dst_sel:DWORD dst_unused:UNUSED_PAD src0_sel:DWORD src1_sel:WORD_1
	v_add_nc_u32_e32 v9, 11, v9
	v_add_co_ci_u32_e64 v17, null, s21, 0, s0
	v_cndmask_b32_e32 v2, v2, v4, vcc_lo
	v_cmp_eq_u32_e32 vcc_lo, 1, v8
	v_sub_nc_u32_e32 v4, v45, v7
	v_lshlrev_b32_e32 v2, 2, v2
	v_cndmask_b32_e32 v3, v6, v3, vcc_lo
	v_cmp_eq_u32_e32 vcc_lo, 1, v10
	v_add_nc_u32_e32 v4, 12, v4
	v_lshlrev_b32_e32 v3, 2, v3
	v_cndmask_b32_e32 v5, v9, v5, vcc_lo
	v_cmp_eq_u32_e32 vcc_lo, 1, v11
	v_lshlrev_b32_e32 v5, 2, v5
	v_cndmask_b32_e32 v4, v4, v7, vcc_lo
	v_cmp_ne_u32_e32 vcc_lo, 1, v43
	v_lshlrev_b32_e32 v4, 2, v4
	ds_write_b32 v1, v20
	ds_write_b32 v2, v21
	ds_write_b32 v3, v18
	ds_write_b32 v5, v19
	ds_write_b32 v4, v44
	s_waitcnt lgkmcnt(0)
	s_barrier
	buffer_gl0_inv
	ds_read2st64_b32 v[11:12], v42 offset1:4
	ds_read2st64_b32 v[9:10], v42 offset0:8 offset1:12
	ds_read2st64_b32 v[7:8], v42 offset0:16 offset1:20
	;; [unrolled: 1-line block ×5, first 2 shown]
	ds_read_b32 v18, v42 offset:12288
	s_cbranch_vccnz .LBB55_125
; %bb.72:
	s_sub_u32 s0, s18, s26
	v_sub_co_u32 v13, vcc_lo, v15, s16
	s_subb_u32 s1, s19, 0
	v_add_co_u32 v19, s0, s0, v16
	v_subrev_co_ci_u32_e64 v14, null, s17, v17, vcc_lo
	v_add_co_ci_u32_e64 v20, null, s1, 0, s0
	v_add_co_u32 v19, vcc_lo, v19, v13
	s_mov_b32 s0, exec_lo
	v_add_co_ci_u32_e64 v20, null, v20, v14, vcc_lo
                                        ; implicit-def: $vgpr13_vgpr14
	v_cmpx_ge_u32_e64 v0, v16
	s_xor_b32 s0, exec_lo, s0
; %bb.73:
	v_not_b32_e32 v13, v0
	v_ashrrev_i32_e32 v14, 31, v13
	v_add_co_u32 v13, vcc_lo, v19, v13
	v_add_co_ci_u32_e64 v14, null, v20, v14, vcc_lo
; %bb.74:
	s_andn2_saveexec_b32 s0, s0
; %bb.75:
	v_add_co_u32 v13, vcc_lo, v15, v0
	v_add_co_ci_u32_e64 v14, null, 0, v17, vcc_lo
; %bb.76:
	s_or_b32 exec_lo, exec_lo, s0
	v_lshlrev_b64 v[13:14], 2, v[13:14]
	s_mov_b32 s0, exec_lo
	v_add_co_u32 v13, vcc_lo, s14, v13
	v_add_co_ci_u32_e64 v14, null, s15, v14, vcc_lo
	s_waitcnt lgkmcnt(6)
	global_store_dword v[13:14], v11, off
                                        ; implicit-def: $vgpr13_vgpr14
	v_cmpx_ge_u32_e64 v41, v16
	s_xor_b32 s0, exec_lo, s0
; %bb.77:
	v_xor_b32_e32 v13, 0xfffffeff, v0
	v_ashrrev_i32_e32 v14, 31, v13
	v_add_co_u32 v13, vcc_lo, v19, v13
	v_add_co_ci_u32_e64 v14, null, v20, v14, vcc_lo
; %bb.78:
	s_andn2_saveexec_b32 s0, s0
; %bb.79:
	v_add_co_u32 v13, vcc_lo, v15, v41
	v_add_co_ci_u32_e64 v14, null, 0, v17, vcc_lo
; %bb.80:
	s_or_b32 exec_lo, exec_lo, s0
	v_lshlrev_b64 v[13:14], 2, v[13:14]
	s_mov_b32 s0, exec_lo
	v_add_co_u32 v13, vcc_lo, s14, v13
	v_add_co_ci_u32_e64 v14, null, s15, v14, vcc_lo
	global_store_dword v[13:14], v12, off
                                        ; implicit-def: $vgpr13_vgpr14
	v_cmpx_ge_u32_e64 v40, v16
	s_xor_b32 s0, exec_lo, s0
; %bb.81:
	v_xor_b32_e32 v13, 0xfffffdff, v0
	v_ashrrev_i32_e32 v14, 31, v13
	v_add_co_u32 v13, vcc_lo, v19, v13
	v_add_co_ci_u32_e64 v14, null, v20, v14, vcc_lo
; %bb.82:
	s_andn2_saveexec_b32 s0, s0
; %bb.83:
	v_add_co_u32 v13, vcc_lo, v15, v40
	v_add_co_ci_u32_e64 v14, null, 0, v17, vcc_lo
; %bb.84:
	s_or_b32 exec_lo, exec_lo, s0
	v_lshlrev_b64 v[13:14], 2, v[13:14]
	s_mov_b32 s0, exec_lo
	v_add_co_u32 v13, vcc_lo, s14, v13
	v_add_co_ci_u32_e64 v14, null, s15, v14, vcc_lo
	s_waitcnt lgkmcnt(5)
	global_store_dword v[13:14], v9, off
                                        ; implicit-def: $vgpr13_vgpr14
	v_cmpx_ge_u32_e64 v39, v16
	s_xor_b32 s0, exec_lo, s0
; %bb.85:
	v_xor_b32_e32 v13, 0xfffffcff, v0
	v_ashrrev_i32_e32 v14, 31, v13
	v_add_co_u32 v13, vcc_lo, v19, v13
	v_add_co_ci_u32_e64 v14, null, v20, v14, vcc_lo
; %bb.86:
	s_andn2_saveexec_b32 s0, s0
; %bb.87:
	v_add_co_u32 v13, vcc_lo, v15, v39
	v_add_co_ci_u32_e64 v14, null, 0, v17, vcc_lo
; %bb.88:
	s_or_b32 exec_lo, exec_lo, s0
	v_lshlrev_b64 v[13:14], 2, v[13:14]
	s_mov_b32 s0, exec_lo
	v_add_co_u32 v13, vcc_lo, s14, v13
	v_add_co_ci_u32_e64 v14, null, s15, v14, vcc_lo
	global_store_dword v[13:14], v10, off
                                        ; implicit-def: $vgpr13_vgpr14
	v_cmpx_ge_u32_e64 v38, v16
	s_xor_b32 s0, exec_lo, s0
; %bb.89:
	v_xor_b32_e32 v13, 0xfffffbff, v0
	;; [unrolled: 41-line block ×6, first 2 shown]
	v_ashrrev_i32_e32 v14, 31, v13
	v_add_co_u32 v13, vcc_lo, v19, v13
	v_add_co_ci_u32_e64 v14, null, v20, v14, vcc_lo
; %bb.122:
	s_andn2_saveexec_b32 s0, s0
; %bb.123:
	v_add_co_u32 v13, vcc_lo, v15, v30
	v_add_co_ci_u32_e64 v14, null, 0, v17, vcc_lo
; %bb.124:
	s_or_b32 exec_lo, exec_lo, s0
	s_mov_b32 s0, -1
	s_branch .LBB55_205
.LBB55_125:
	s_mov_b32 s0, 0
                                        ; implicit-def: $vgpr13_vgpr14
	s_cbranch_execz .LBB55_205
; %bb.126:
	s_add_u32 s1, s16, s26
	s_addc_u32 s2, s17, 0
	s_sub_u32 s1, s18, s1
	s_subb_u32 s2, s19, s2
	v_add_co_u32 v13, s1, s1, v16
	v_add_co_ci_u32_e64 v14, null, s2, 0, s1
	s_mov_b32 s1, exec_lo
	v_add_co_u32 v19, vcc_lo, v13, v15
	v_add_co_ci_u32_e64 v20, null, v14, v17, vcc_lo
	v_cmpx_gt_u32_e64 s25, v0
	s_cbranch_execz .LBB55_162
; %bb.127:
	s_mov_b32 s2, exec_lo
                                        ; implicit-def: $vgpr13_vgpr14
	v_cmpx_ge_u32_e64 v0, v16
	s_xor_b32 s2, exec_lo, s2
; %bb.128:
	v_not_b32_e32 v13, v0
	v_ashrrev_i32_e32 v14, 31, v13
	v_add_co_u32 v13, vcc_lo, v19, v13
	v_add_co_ci_u32_e64 v14, null, v20, v14, vcc_lo
; %bb.129:
	s_andn2_saveexec_b32 s2, s2
; %bb.130:
	v_add_co_u32 v13, vcc_lo, v15, v0
	v_add_co_ci_u32_e64 v14, null, 0, v17, vcc_lo
; %bb.131:
	s_or_b32 exec_lo, exec_lo, s2
	v_lshlrev_b64 v[13:14], 2, v[13:14]
	v_add_co_u32 v13, vcc_lo, s14, v13
	v_add_co_ci_u32_e64 v14, null, s15, v14, vcc_lo
	s_waitcnt lgkmcnt(6)
	global_store_dword v[13:14], v11, off
	s_or_b32 exec_lo, exec_lo, s1
	s_mov_b32 s1, exec_lo
	v_cmpx_gt_u32_e64 s25, v41
	s_cbranch_execnz .LBB55_163
.LBB55_132:
	s_or_b32 exec_lo, exec_lo, s1
	s_mov_b32 s1, exec_lo
	v_cmpx_gt_u32_e64 s25, v40
	s_cbranch_execz .LBB55_168
.LBB55_133:
	s_mov_b32 s2, exec_lo
                                        ; implicit-def: $vgpr11_vgpr12
	v_cmpx_ge_u32_e64 v40, v16
	s_xor_b32 s2, exec_lo, s2
	s_cbranch_execz .LBB55_135
; %bb.134:
	s_waitcnt lgkmcnt(6)
	v_xor_b32_e32 v11, 0xfffffdff, v0
                                        ; implicit-def: $vgpr40
	v_ashrrev_i32_e32 v12, 31, v11
	v_add_co_u32 v11, vcc_lo, v19, v11
	v_add_co_ci_u32_e64 v12, null, v20, v12, vcc_lo
.LBB55_135:
	s_andn2_saveexec_b32 s2, s2
	s_cbranch_execz .LBB55_137
; %bb.136:
	s_waitcnt lgkmcnt(6)
	v_add_co_u32 v11, vcc_lo, v15, v40
	v_add_co_ci_u32_e64 v12, null, 0, v17, vcc_lo
.LBB55_137:
	s_or_b32 exec_lo, exec_lo, s2
	s_waitcnt lgkmcnt(6)
	v_lshlrev_b64 v[11:12], 2, v[11:12]
	v_add_co_u32 v11, vcc_lo, s14, v11
	v_add_co_ci_u32_e64 v12, null, s15, v12, vcc_lo
	s_waitcnt lgkmcnt(5)
	global_store_dword v[11:12], v9, off
	s_or_b32 exec_lo, exec_lo, s1
	s_mov_b32 s1, exec_lo
	v_cmpx_gt_u32_e64 s25, v39
	s_cbranch_execnz .LBB55_169
.LBB55_138:
	s_or_b32 exec_lo, exec_lo, s1
	s_mov_b32 s1, exec_lo
	v_cmpx_gt_u32_e64 s25, v38
	s_cbranch_execz .LBB55_174
.LBB55_139:
	s_mov_b32 s2, exec_lo
                                        ; implicit-def: $vgpr9_vgpr10
	v_cmpx_ge_u32_e64 v38, v16
	s_xor_b32 s2, exec_lo, s2
	s_cbranch_execz .LBB55_141
; %bb.140:
	s_waitcnt lgkmcnt(5)
	v_xor_b32_e32 v9, 0xfffffbff, v0
                                        ; implicit-def: $vgpr38
	v_ashrrev_i32_e32 v10, 31, v9
	v_add_co_u32 v9, vcc_lo, v19, v9
	v_add_co_ci_u32_e64 v10, null, v20, v10, vcc_lo
.LBB55_141:
	s_andn2_saveexec_b32 s2, s2
	s_cbranch_execz .LBB55_143
; %bb.142:
	s_waitcnt lgkmcnt(5)
	v_add_co_u32 v9, vcc_lo, v15, v38
	v_add_co_ci_u32_e64 v10, null, 0, v17, vcc_lo
.LBB55_143:
	s_or_b32 exec_lo, exec_lo, s2
	s_waitcnt lgkmcnt(5)
	v_lshlrev_b64 v[9:10], 2, v[9:10]
	v_add_co_u32 v9, vcc_lo, s14, v9
	v_add_co_ci_u32_e64 v10, null, s15, v10, vcc_lo
	s_waitcnt lgkmcnt(4)
	global_store_dword v[9:10], v7, off
	s_or_b32 exec_lo, exec_lo, s1
	s_mov_b32 s1, exec_lo
	v_cmpx_gt_u32_e64 s25, v37
	s_cbranch_execnz .LBB55_175
.LBB55_144:
	s_or_b32 exec_lo, exec_lo, s1
	s_mov_b32 s1, exec_lo
	v_cmpx_gt_u32_e64 s25, v36
	s_cbranch_execz .LBB55_180
.LBB55_145:
	s_mov_b32 s2, exec_lo
                                        ; implicit-def: $vgpr7_vgpr8
	v_cmpx_ge_u32_e64 v36, v16
	s_xor_b32 s2, exec_lo, s2
	s_cbranch_execz .LBB55_147
; %bb.146:
	s_waitcnt lgkmcnt(4)
	v_xor_b32_e32 v7, 0xfffff9ff, v0
                                        ; implicit-def: $vgpr36
	v_ashrrev_i32_e32 v8, 31, v7
	v_add_co_u32 v7, vcc_lo, v19, v7
	v_add_co_ci_u32_e64 v8, null, v20, v8, vcc_lo
.LBB55_147:
	s_andn2_saveexec_b32 s2, s2
	s_cbranch_execz .LBB55_149
; %bb.148:
	s_waitcnt lgkmcnt(4)
	v_add_co_u32 v7, vcc_lo, v15, v36
	v_add_co_ci_u32_e64 v8, null, 0, v17, vcc_lo
.LBB55_149:
	s_or_b32 exec_lo, exec_lo, s2
	s_waitcnt lgkmcnt(4)
	v_lshlrev_b64 v[7:8], 2, v[7:8]
	v_add_co_u32 v7, vcc_lo, s14, v7
	v_add_co_ci_u32_e64 v8, null, s15, v8, vcc_lo
	s_waitcnt lgkmcnt(3)
	global_store_dword v[7:8], v5, off
	s_or_b32 exec_lo, exec_lo, s1
	s_mov_b32 s1, exec_lo
	v_cmpx_gt_u32_e64 s25, v35
	s_cbranch_execnz .LBB55_181
.LBB55_150:
	s_or_b32 exec_lo, exec_lo, s1
	s_mov_b32 s1, exec_lo
	v_cmpx_gt_u32_e64 s25, v34
	s_cbranch_execz .LBB55_186
.LBB55_151:
	s_mov_b32 s2, exec_lo
                                        ; implicit-def: $vgpr5_vgpr6
	v_cmpx_ge_u32_e64 v34, v16
	s_xor_b32 s2, exec_lo, s2
	s_cbranch_execz .LBB55_153
; %bb.152:
	s_waitcnt lgkmcnt(3)
	v_xor_b32_e32 v5, 0xfffff7ff, v0
                                        ; implicit-def: $vgpr34
	v_ashrrev_i32_e32 v6, 31, v5
	v_add_co_u32 v5, vcc_lo, v19, v5
	v_add_co_ci_u32_e64 v6, null, v20, v6, vcc_lo
.LBB55_153:
	s_andn2_saveexec_b32 s2, s2
	s_cbranch_execz .LBB55_155
; %bb.154:
	s_waitcnt lgkmcnt(3)
	v_add_co_u32 v5, vcc_lo, v15, v34
	v_add_co_ci_u32_e64 v6, null, 0, v17, vcc_lo
.LBB55_155:
	s_or_b32 exec_lo, exec_lo, s2
	s_waitcnt lgkmcnt(3)
	v_lshlrev_b64 v[5:6], 2, v[5:6]
	v_add_co_u32 v5, vcc_lo, s14, v5
	v_add_co_ci_u32_e64 v6, null, s15, v6, vcc_lo
	s_waitcnt lgkmcnt(2)
	global_store_dword v[5:6], v3, off
	s_or_b32 exec_lo, exec_lo, s1
	s_mov_b32 s1, exec_lo
	v_cmpx_gt_u32_e64 s25, v33
	s_cbranch_execnz .LBB55_187
.LBB55_156:
	s_or_b32 exec_lo, exec_lo, s1
	s_mov_b32 s1, exec_lo
	v_cmpx_gt_u32_e64 s25, v32
	s_cbranch_execz .LBB55_192
.LBB55_157:
	s_mov_b32 s2, exec_lo
                                        ; implicit-def: $vgpr3_vgpr4
	v_cmpx_ge_u32_e64 v32, v16
	s_xor_b32 s2, exec_lo, s2
	s_cbranch_execz .LBB55_159
; %bb.158:
	s_waitcnt lgkmcnt(2)
	v_xor_b32_e32 v3, 0xfffff5ff, v0
                                        ; implicit-def: $vgpr32
	v_ashrrev_i32_e32 v4, 31, v3
	v_add_co_u32 v3, vcc_lo, v19, v3
	v_add_co_ci_u32_e64 v4, null, v20, v4, vcc_lo
.LBB55_159:
	s_andn2_saveexec_b32 s2, s2
	s_cbranch_execz .LBB55_161
; %bb.160:
	s_waitcnt lgkmcnt(2)
	v_add_co_u32 v3, vcc_lo, v15, v32
	v_add_co_ci_u32_e64 v4, null, 0, v17, vcc_lo
.LBB55_161:
	s_or_b32 exec_lo, exec_lo, s2
	s_waitcnt lgkmcnt(2)
	v_lshlrev_b64 v[3:4], 2, v[3:4]
	v_add_co_u32 v3, vcc_lo, s14, v3
	v_add_co_ci_u32_e64 v4, null, s15, v4, vcc_lo
	s_waitcnt lgkmcnt(1)
	global_store_dword v[3:4], v1, off
	s_or_b32 exec_lo, exec_lo, s1
	s_mov_b32 s1, exec_lo
	v_cmpx_gt_u32_e64 s25, v31
	s_cbranch_execz .LBB55_198
	s_branch .LBB55_193
.LBB55_162:
	s_or_b32 exec_lo, exec_lo, s1
	s_mov_b32 s1, exec_lo
	v_cmpx_gt_u32_e64 s25, v41
	s_cbranch_execz .LBB55_132
.LBB55_163:
	s_mov_b32 s2, exec_lo
                                        ; implicit-def: $vgpr13_vgpr14
	v_cmpx_ge_u32_e64 v41, v16
	s_xor_b32 s2, exec_lo, s2
	s_cbranch_execz .LBB55_165
; %bb.164:
	s_waitcnt lgkmcnt(6)
	v_xor_b32_e32 v11, 0xfffffeff, v0
                                        ; implicit-def: $vgpr41
	v_ashrrev_i32_e32 v14, 31, v11
	v_add_co_u32 v13, vcc_lo, v19, v11
	v_add_co_ci_u32_e64 v14, null, v20, v14, vcc_lo
.LBB55_165:
	s_andn2_saveexec_b32 s2, s2
; %bb.166:
	v_add_co_u32 v13, vcc_lo, v15, v41
	v_add_co_ci_u32_e64 v14, null, 0, v17, vcc_lo
; %bb.167:
	s_or_b32 exec_lo, exec_lo, s2
	v_lshlrev_b64 v[13:14], 2, v[13:14]
	v_add_co_u32 v13, vcc_lo, s14, v13
	v_add_co_ci_u32_e64 v14, null, s15, v14, vcc_lo
	s_waitcnt lgkmcnt(6)
	global_store_dword v[13:14], v12, off
	s_or_b32 exec_lo, exec_lo, s1
	s_mov_b32 s1, exec_lo
	v_cmpx_gt_u32_e64 s25, v40
	s_cbranch_execnz .LBB55_133
.LBB55_168:
	s_or_b32 exec_lo, exec_lo, s1
	s_mov_b32 s1, exec_lo
	v_cmpx_gt_u32_e64 s25, v39
	s_cbranch_execz .LBB55_138
.LBB55_169:
	s_mov_b32 s2, exec_lo
                                        ; implicit-def: $vgpr11_vgpr12
	v_cmpx_ge_u32_e64 v39, v16
	s_xor_b32 s2, exec_lo, s2
	s_cbranch_execz .LBB55_171
; %bb.170:
	s_waitcnt lgkmcnt(5)
	v_xor_b32_e32 v9, 0xfffffcff, v0
                                        ; implicit-def: $vgpr39
	v_ashrrev_i32_e32 v12, 31, v9
	v_add_co_u32 v11, vcc_lo, v19, v9
	v_add_co_ci_u32_e64 v12, null, v20, v12, vcc_lo
.LBB55_171:
	s_andn2_saveexec_b32 s2, s2
	s_cbranch_execz .LBB55_173
; %bb.172:
	s_waitcnt lgkmcnt(6)
	v_add_co_u32 v11, vcc_lo, v15, v39
	v_add_co_ci_u32_e64 v12, null, 0, v17, vcc_lo
.LBB55_173:
	s_or_b32 exec_lo, exec_lo, s2
	s_waitcnt lgkmcnt(6)
	v_lshlrev_b64 v[11:12], 2, v[11:12]
	v_add_co_u32 v11, vcc_lo, s14, v11
	v_add_co_ci_u32_e64 v12, null, s15, v12, vcc_lo
	s_waitcnt lgkmcnt(5)
	global_store_dword v[11:12], v10, off
	s_or_b32 exec_lo, exec_lo, s1
	s_mov_b32 s1, exec_lo
	v_cmpx_gt_u32_e64 s25, v38
	s_cbranch_execnz .LBB55_139
.LBB55_174:
	s_or_b32 exec_lo, exec_lo, s1
	s_mov_b32 s1, exec_lo
	v_cmpx_gt_u32_e64 s25, v37
	s_cbranch_execz .LBB55_144
.LBB55_175:
	s_mov_b32 s2, exec_lo
                                        ; implicit-def: $vgpr9_vgpr10
	v_cmpx_ge_u32_e64 v37, v16
	s_xor_b32 s2, exec_lo, s2
	s_cbranch_execz .LBB55_177
; %bb.176:
	s_waitcnt lgkmcnt(4)
	v_xor_b32_e32 v7, 0xfffffaff, v0
                                        ; implicit-def: $vgpr37
	v_ashrrev_i32_e32 v10, 31, v7
	v_add_co_u32 v9, vcc_lo, v19, v7
	v_add_co_ci_u32_e64 v10, null, v20, v10, vcc_lo
.LBB55_177:
	s_andn2_saveexec_b32 s2, s2
	s_cbranch_execz .LBB55_179
; %bb.178:
	s_waitcnt lgkmcnt(5)
	v_add_co_u32 v9, vcc_lo, v15, v37
	v_add_co_ci_u32_e64 v10, null, 0, v17, vcc_lo
.LBB55_179:
	s_or_b32 exec_lo, exec_lo, s2
	s_waitcnt lgkmcnt(5)
	v_lshlrev_b64 v[9:10], 2, v[9:10]
	v_add_co_u32 v9, vcc_lo, s14, v9
	v_add_co_ci_u32_e64 v10, null, s15, v10, vcc_lo
	s_waitcnt lgkmcnt(4)
	global_store_dword v[9:10], v8, off
	s_or_b32 exec_lo, exec_lo, s1
	s_mov_b32 s1, exec_lo
	v_cmpx_gt_u32_e64 s25, v36
	s_cbranch_execnz .LBB55_145
.LBB55_180:
	s_or_b32 exec_lo, exec_lo, s1
	s_mov_b32 s1, exec_lo
	v_cmpx_gt_u32_e64 s25, v35
	s_cbranch_execz .LBB55_150
.LBB55_181:
	s_mov_b32 s2, exec_lo
                                        ; implicit-def: $vgpr7_vgpr8
	v_cmpx_ge_u32_e64 v35, v16
	s_xor_b32 s2, exec_lo, s2
	s_cbranch_execz .LBB55_183
; %bb.182:
	s_waitcnt lgkmcnt(3)
	v_xor_b32_e32 v5, 0xfffff8ff, v0
                                        ; implicit-def: $vgpr35
	v_ashrrev_i32_e32 v8, 31, v5
	v_add_co_u32 v7, vcc_lo, v19, v5
	v_add_co_ci_u32_e64 v8, null, v20, v8, vcc_lo
.LBB55_183:
	s_andn2_saveexec_b32 s2, s2
	s_cbranch_execz .LBB55_185
; %bb.184:
	s_waitcnt lgkmcnt(4)
	v_add_co_u32 v7, vcc_lo, v15, v35
	v_add_co_ci_u32_e64 v8, null, 0, v17, vcc_lo
.LBB55_185:
	s_or_b32 exec_lo, exec_lo, s2
	s_waitcnt lgkmcnt(4)
	v_lshlrev_b64 v[7:8], 2, v[7:8]
	v_add_co_u32 v7, vcc_lo, s14, v7
	v_add_co_ci_u32_e64 v8, null, s15, v8, vcc_lo
	s_waitcnt lgkmcnt(3)
	global_store_dword v[7:8], v6, off
	s_or_b32 exec_lo, exec_lo, s1
	s_mov_b32 s1, exec_lo
	v_cmpx_gt_u32_e64 s25, v34
	s_cbranch_execnz .LBB55_151
.LBB55_186:
	s_or_b32 exec_lo, exec_lo, s1
	s_mov_b32 s1, exec_lo
	v_cmpx_gt_u32_e64 s25, v33
	s_cbranch_execz .LBB55_156
.LBB55_187:
	s_mov_b32 s2, exec_lo
                                        ; implicit-def: $vgpr5_vgpr6
	v_cmpx_ge_u32_e64 v33, v16
	s_xor_b32 s2, exec_lo, s2
	s_cbranch_execz .LBB55_189
; %bb.188:
	s_waitcnt lgkmcnt(2)
	v_xor_b32_e32 v3, 0xfffff6ff, v0
                                        ; implicit-def: $vgpr33
	v_ashrrev_i32_e32 v6, 31, v3
	v_add_co_u32 v5, vcc_lo, v19, v3
	v_add_co_ci_u32_e64 v6, null, v20, v6, vcc_lo
.LBB55_189:
	s_andn2_saveexec_b32 s2, s2
	s_cbranch_execz .LBB55_191
; %bb.190:
	s_waitcnt lgkmcnt(3)
	v_add_co_u32 v5, vcc_lo, v15, v33
	v_add_co_ci_u32_e64 v6, null, 0, v17, vcc_lo
.LBB55_191:
	s_or_b32 exec_lo, exec_lo, s2
	s_waitcnt lgkmcnt(3)
	v_lshlrev_b64 v[5:6], 2, v[5:6]
	v_add_co_u32 v5, vcc_lo, s14, v5
	v_add_co_ci_u32_e64 v6, null, s15, v6, vcc_lo
	s_waitcnt lgkmcnt(2)
	global_store_dword v[5:6], v4, off
	s_or_b32 exec_lo, exec_lo, s1
	s_mov_b32 s1, exec_lo
	v_cmpx_gt_u32_e64 s25, v32
	s_cbranch_execnz .LBB55_157
.LBB55_192:
	s_or_b32 exec_lo, exec_lo, s1
	s_mov_b32 s1, exec_lo
	v_cmpx_gt_u32_e64 s25, v31
	s_cbranch_execz .LBB55_198
.LBB55_193:
	s_mov_b32 s2, exec_lo
                                        ; implicit-def: $vgpr3_vgpr4
	v_cmpx_ge_u32_e64 v31, v16
	s_xor_b32 s2, exec_lo, s2
	s_cbranch_execz .LBB55_195
; %bb.194:
	s_waitcnt lgkmcnt(1)
	v_xor_b32_e32 v1, 0xfffff4ff, v0
                                        ; implicit-def: $vgpr31
	v_ashrrev_i32_e32 v4, 31, v1
	v_add_co_u32 v3, vcc_lo, v19, v1
	v_add_co_ci_u32_e64 v4, null, v20, v4, vcc_lo
.LBB55_195:
	s_andn2_saveexec_b32 s2, s2
	s_cbranch_execz .LBB55_197
; %bb.196:
	s_waitcnt lgkmcnt(2)
	v_add_co_u32 v3, vcc_lo, v15, v31
	v_add_co_ci_u32_e64 v4, null, 0, v17, vcc_lo
.LBB55_197:
	s_or_b32 exec_lo, exec_lo, s2
	s_waitcnt lgkmcnt(2)
	v_lshlrev_b64 v[3:4], 2, v[3:4]
	v_add_co_u32 v3, vcc_lo, s14, v3
	v_add_co_ci_u32_e64 v4, null, s15, v4, vcc_lo
	s_waitcnt lgkmcnt(1)
	global_store_dword v[3:4], v2, off
.LBB55_198:
	s_or_b32 exec_lo, exec_lo, s1
	s_mov_b32 s1, exec_lo
                                        ; implicit-def: $vgpr13_vgpr14
	v_cmpx_gt_u32_e64 s25, v30
	s_cbranch_execz .LBB55_204
; %bb.199:
	s_mov_b32 s2, exec_lo
                                        ; implicit-def: $vgpr13_vgpr14
	v_cmpx_ge_u32_e64 v30, v16
	s_xor_b32 s2, exec_lo, s2
	s_cbranch_execz .LBB55_201
; %bb.200:
	s_waitcnt lgkmcnt(1)
	v_xor_b32_e32 v1, 0xfffff3ff, v0
                                        ; implicit-def: $vgpr30
	v_ashrrev_i32_e32 v2, 31, v1
	v_add_co_u32 v13, vcc_lo, v19, v1
	v_add_co_ci_u32_e64 v14, null, v20, v2, vcc_lo
.LBB55_201:
	s_andn2_saveexec_b32 s2, s2
; %bb.202:
	v_add_co_u32 v13, vcc_lo, v15, v30
	v_add_co_ci_u32_e64 v14, null, 0, v17, vcc_lo
; %bb.203:
	s_or_b32 exec_lo, exec_lo, s2
	s_or_b32 s0, s0, exec_lo
.LBB55_204:
	s_or_b32 exec_lo, exec_lo, s1
.LBB55_205:
	s_and_saveexec_b32 s1, s0
	s_cbranch_execz .LBB55_207
; %bb.206:
	s_waitcnt lgkmcnt(1)
	v_lshlrev_b64 v[1:2], 2, v[13:14]
	v_add_co_u32 v1, vcc_lo, s14, v1
	v_add_co_ci_u32_e64 v2, null, s15, v2, vcc_lo
	s_waitcnt lgkmcnt(0)
	global_store_dword v[1:2], v18, off
.LBB55_207:
	s_or_b32 exec_lo, exec_lo, s1
	v_cmp_eq_u32_e32 vcc_lo, 0, v0
	s_and_b32 s0, vcc_lo, s24
	s_and_saveexec_b32 s1, s0
	s_cbranch_execz .LBB55_209
; %bb.208:
	v_add_co_u32 v0, vcc_lo, v15, v16
	s_waitcnt lgkmcnt(1)
	v_mov_b32_e32 v2, 0
	v_add_co_ci_u32_e64 v1, null, 0, v17, vcc_lo
	global_store_dwordx2 v2, v[0:1], s[12:13]
.LBB55_209:
	s_endpgm
	.section	.rodata,"a",@progbits
	.p2align	6, 0x0
	.amdhsa_kernel _ZN7rocprim17ROCPRIM_400000_NS6detail17trampoline_kernelINS0_13select_configILj256ELj13ELNS0_17block_load_methodE3ELS4_3ELS4_3ELNS0_20block_scan_algorithmE0ELj4294967295EEENS1_25partition_config_selectorILNS1_17partition_subalgoE3EjNS0_10empty_typeEbEEZZNS1_14partition_implILS8_3ELb0ES6_jNS0_17counting_iteratorIjlEEPS9_SE_NS0_5tupleIJPjSE_EEENSF_IJSE_SE_EEES9_SG_JZNS1_25segmented_radix_sort_implINS0_14default_configELb1EPKhPhPKlPlN2at6native12_GLOBAL__N_18offset_tEEE10hipError_tPvRmT1_PNSt15iterator_traitsISY_E10value_typeET2_T3_PNSZ_IS14_E10value_typeET4_jRbjT5_S1A_jjP12ihipStream_tbEUljE_EEESV_SW_SX_S14_S18_S1A_T6_T7_T9_mT8_S1C_bDpT10_ENKUlT_T0_E_clISt17integral_constantIbLb0EES1P_EEDaS1K_S1L_EUlS1K_E_NS1_11comp_targetILNS1_3genE8ELNS1_11target_archE1030ELNS1_3gpuE2ELNS1_3repE0EEENS1_30default_config_static_selectorELNS0_4arch9wavefront6targetE0EEEvSY_
		.amdhsa_group_segment_fixed_size 13320
		.amdhsa_private_segment_fixed_size 0
		.amdhsa_kernarg_size 144
		.amdhsa_user_sgpr_count 6
		.amdhsa_user_sgpr_private_segment_buffer 1
		.amdhsa_user_sgpr_dispatch_ptr 0
		.amdhsa_user_sgpr_queue_ptr 0
		.amdhsa_user_sgpr_kernarg_segment_ptr 1
		.amdhsa_user_sgpr_dispatch_id 0
		.amdhsa_user_sgpr_flat_scratch_init 0
		.amdhsa_user_sgpr_private_segment_size 0
		.amdhsa_wavefront_size32 1
		.amdhsa_uses_dynamic_stack 0
		.amdhsa_system_sgpr_private_segment_wavefront_offset 0
		.amdhsa_system_sgpr_workgroup_id_x 1
		.amdhsa_system_sgpr_workgroup_id_y 0
		.amdhsa_system_sgpr_workgroup_id_z 0
		.amdhsa_system_sgpr_workgroup_info 0
		.amdhsa_system_vgpr_workitem_id 0
		.amdhsa_next_free_vgpr 69
		.amdhsa_next_free_sgpr 27
		.amdhsa_reserve_vcc 1
		.amdhsa_reserve_flat_scratch 0
		.amdhsa_float_round_mode_32 0
		.amdhsa_float_round_mode_16_64 0
		.amdhsa_float_denorm_mode_32 3
		.amdhsa_float_denorm_mode_16_64 3
		.amdhsa_dx10_clamp 1
		.amdhsa_ieee_mode 1
		.amdhsa_fp16_overflow 0
		.amdhsa_workgroup_processor_mode 1
		.amdhsa_memory_ordered 1
		.amdhsa_forward_progress 1
		.amdhsa_shared_vgpr_count 0
		.amdhsa_exception_fp_ieee_invalid_op 0
		.amdhsa_exception_fp_denorm_src 0
		.amdhsa_exception_fp_ieee_div_zero 0
		.amdhsa_exception_fp_ieee_overflow 0
		.amdhsa_exception_fp_ieee_underflow 0
		.amdhsa_exception_fp_ieee_inexact 0
		.amdhsa_exception_int_div_zero 0
	.end_amdhsa_kernel
	.section	.text._ZN7rocprim17ROCPRIM_400000_NS6detail17trampoline_kernelINS0_13select_configILj256ELj13ELNS0_17block_load_methodE3ELS4_3ELS4_3ELNS0_20block_scan_algorithmE0ELj4294967295EEENS1_25partition_config_selectorILNS1_17partition_subalgoE3EjNS0_10empty_typeEbEEZZNS1_14partition_implILS8_3ELb0ES6_jNS0_17counting_iteratorIjlEEPS9_SE_NS0_5tupleIJPjSE_EEENSF_IJSE_SE_EEES9_SG_JZNS1_25segmented_radix_sort_implINS0_14default_configELb1EPKhPhPKlPlN2at6native12_GLOBAL__N_18offset_tEEE10hipError_tPvRmT1_PNSt15iterator_traitsISY_E10value_typeET2_T3_PNSZ_IS14_E10value_typeET4_jRbjT5_S1A_jjP12ihipStream_tbEUljE_EEESV_SW_SX_S14_S18_S1A_T6_T7_T9_mT8_S1C_bDpT10_ENKUlT_T0_E_clISt17integral_constantIbLb0EES1P_EEDaS1K_S1L_EUlS1K_E_NS1_11comp_targetILNS1_3genE8ELNS1_11target_archE1030ELNS1_3gpuE2ELNS1_3repE0EEENS1_30default_config_static_selectorELNS0_4arch9wavefront6targetE0EEEvSY_,"axG",@progbits,_ZN7rocprim17ROCPRIM_400000_NS6detail17trampoline_kernelINS0_13select_configILj256ELj13ELNS0_17block_load_methodE3ELS4_3ELS4_3ELNS0_20block_scan_algorithmE0ELj4294967295EEENS1_25partition_config_selectorILNS1_17partition_subalgoE3EjNS0_10empty_typeEbEEZZNS1_14partition_implILS8_3ELb0ES6_jNS0_17counting_iteratorIjlEEPS9_SE_NS0_5tupleIJPjSE_EEENSF_IJSE_SE_EEES9_SG_JZNS1_25segmented_radix_sort_implINS0_14default_configELb1EPKhPhPKlPlN2at6native12_GLOBAL__N_18offset_tEEE10hipError_tPvRmT1_PNSt15iterator_traitsISY_E10value_typeET2_T3_PNSZ_IS14_E10value_typeET4_jRbjT5_S1A_jjP12ihipStream_tbEUljE_EEESV_SW_SX_S14_S18_S1A_T6_T7_T9_mT8_S1C_bDpT10_ENKUlT_T0_E_clISt17integral_constantIbLb0EES1P_EEDaS1K_S1L_EUlS1K_E_NS1_11comp_targetILNS1_3genE8ELNS1_11target_archE1030ELNS1_3gpuE2ELNS1_3repE0EEENS1_30default_config_static_selectorELNS0_4arch9wavefront6targetE0EEEvSY_,comdat
.Lfunc_end55:
	.size	_ZN7rocprim17ROCPRIM_400000_NS6detail17trampoline_kernelINS0_13select_configILj256ELj13ELNS0_17block_load_methodE3ELS4_3ELS4_3ELNS0_20block_scan_algorithmE0ELj4294967295EEENS1_25partition_config_selectorILNS1_17partition_subalgoE3EjNS0_10empty_typeEbEEZZNS1_14partition_implILS8_3ELb0ES6_jNS0_17counting_iteratorIjlEEPS9_SE_NS0_5tupleIJPjSE_EEENSF_IJSE_SE_EEES9_SG_JZNS1_25segmented_radix_sort_implINS0_14default_configELb1EPKhPhPKlPlN2at6native12_GLOBAL__N_18offset_tEEE10hipError_tPvRmT1_PNSt15iterator_traitsISY_E10value_typeET2_T3_PNSZ_IS14_E10value_typeET4_jRbjT5_S1A_jjP12ihipStream_tbEUljE_EEESV_SW_SX_S14_S18_S1A_T6_T7_T9_mT8_S1C_bDpT10_ENKUlT_T0_E_clISt17integral_constantIbLb0EES1P_EEDaS1K_S1L_EUlS1K_E_NS1_11comp_targetILNS1_3genE8ELNS1_11target_archE1030ELNS1_3gpuE2ELNS1_3repE0EEENS1_30default_config_static_selectorELNS0_4arch9wavefront6targetE0EEEvSY_, .Lfunc_end55-_ZN7rocprim17ROCPRIM_400000_NS6detail17trampoline_kernelINS0_13select_configILj256ELj13ELNS0_17block_load_methodE3ELS4_3ELS4_3ELNS0_20block_scan_algorithmE0ELj4294967295EEENS1_25partition_config_selectorILNS1_17partition_subalgoE3EjNS0_10empty_typeEbEEZZNS1_14partition_implILS8_3ELb0ES6_jNS0_17counting_iteratorIjlEEPS9_SE_NS0_5tupleIJPjSE_EEENSF_IJSE_SE_EEES9_SG_JZNS1_25segmented_radix_sort_implINS0_14default_configELb1EPKhPhPKlPlN2at6native12_GLOBAL__N_18offset_tEEE10hipError_tPvRmT1_PNSt15iterator_traitsISY_E10value_typeET2_T3_PNSZ_IS14_E10value_typeET4_jRbjT5_S1A_jjP12ihipStream_tbEUljE_EEESV_SW_SX_S14_S18_S1A_T6_T7_T9_mT8_S1C_bDpT10_ENKUlT_T0_E_clISt17integral_constantIbLb0EES1P_EEDaS1K_S1L_EUlS1K_E_NS1_11comp_targetILNS1_3genE8ELNS1_11target_archE1030ELNS1_3gpuE2ELNS1_3repE0EEENS1_30default_config_static_selectorELNS0_4arch9wavefront6targetE0EEEvSY_
                                        ; -- End function
	.set _ZN7rocprim17ROCPRIM_400000_NS6detail17trampoline_kernelINS0_13select_configILj256ELj13ELNS0_17block_load_methodE3ELS4_3ELS4_3ELNS0_20block_scan_algorithmE0ELj4294967295EEENS1_25partition_config_selectorILNS1_17partition_subalgoE3EjNS0_10empty_typeEbEEZZNS1_14partition_implILS8_3ELb0ES6_jNS0_17counting_iteratorIjlEEPS9_SE_NS0_5tupleIJPjSE_EEENSF_IJSE_SE_EEES9_SG_JZNS1_25segmented_radix_sort_implINS0_14default_configELb1EPKhPhPKlPlN2at6native12_GLOBAL__N_18offset_tEEE10hipError_tPvRmT1_PNSt15iterator_traitsISY_E10value_typeET2_T3_PNSZ_IS14_E10value_typeET4_jRbjT5_S1A_jjP12ihipStream_tbEUljE_EEESV_SW_SX_S14_S18_S1A_T6_T7_T9_mT8_S1C_bDpT10_ENKUlT_T0_E_clISt17integral_constantIbLb0EES1P_EEDaS1K_S1L_EUlS1K_E_NS1_11comp_targetILNS1_3genE8ELNS1_11target_archE1030ELNS1_3gpuE2ELNS1_3repE0EEENS1_30default_config_static_selectorELNS0_4arch9wavefront6targetE0EEEvSY_.num_vgpr, 69
	.set _ZN7rocprim17ROCPRIM_400000_NS6detail17trampoline_kernelINS0_13select_configILj256ELj13ELNS0_17block_load_methodE3ELS4_3ELS4_3ELNS0_20block_scan_algorithmE0ELj4294967295EEENS1_25partition_config_selectorILNS1_17partition_subalgoE3EjNS0_10empty_typeEbEEZZNS1_14partition_implILS8_3ELb0ES6_jNS0_17counting_iteratorIjlEEPS9_SE_NS0_5tupleIJPjSE_EEENSF_IJSE_SE_EEES9_SG_JZNS1_25segmented_radix_sort_implINS0_14default_configELb1EPKhPhPKlPlN2at6native12_GLOBAL__N_18offset_tEEE10hipError_tPvRmT1_PNSt15iterator_traitsISY_E10value_typeET2_T3_PNSZ_IS14_E10value_typeET4_jRbjT5_S1A_jjP12ihipStream_tbEUljE_EEESV_SW_SX_S14_S18_S1A_T6_T7_T9_mT8_S1C_bDpT10_ENKUlT_T0_E_clISt17integral_constantIbLb0EES1P_EEDaS1K_S1L_EUlS1K_E_NS1_11comp_targetILNS1_3genE8ELNS1_11target_archE1030ELNS1_3gpuE2ELNS1_3repE0EEENS1_30default_config_static_selectorELNS0_4arch9wavefront6targetE0EEEvSY_.num_agpr, 0
	.set _ZN7rocprim17ROCPRIM_400000_NS6detail17trampoline_kernelINS0_13select_configILj256ELj13ELNS0_17block_load_methodE3ELS4_3ELS4_3ELNS0_20block_scan_algorithmE0ELj4294967295EEENS1_25partition_config_selectorILNS1_17partition_subalgoE3EjNS0_10empty_typeEbEEZZNS1_14partition_implILS8_3ELb0ES6_jNS0_17counting_iteratorIjlEEPS9_SE_NS0_5tupleIJPjSE_EEENSF_IJSE_SE_EEES9_SG_JZNS1_25segmented_radix_sort_implINS0_14default_configELb1EPKhPhPKlPlN2at6native12_GLOBAL__N_18offset_tEEE10hipError_tPvRmT1_PNSt15iterator_traitsISY_E10value_typeET2_T3_PNSZ_IS14_E10value_typeET4_jRbjT5_S1A_jjP12ihipStream_tbEUljE_EEESV_SW_SX_S14_S18_S1A_T6_T7_T9_mT8_S1C_bDpT10_ENKUlT_T0_E_clISt17integral_constantIbLb0EES1P_EEDaS1K_S1L_EUlS1K_E_NS1_11comp_targetILNS1_3genE8ELNS1_11target_archE1030ELNS1_3gpuE2ELNS1_3repE0EEENS1_30default_config_static_selectorELNS0_4arch9wavefront6targetE0EEEvSY_.numbered_sgpr, 27
	.set _ZN7rocprim17ROCPRIM_400000_NS6detail17trampoline_kernelINS0_13select_configILj256ELj13ELNS0_17block_load_methodE3ELS4_3ELS4_3ELNS0_20block_scan_algorithmE0ELj4294967295EEENS1_25partition_config_selectorILNS1_17partition_subalgoE3EjNS0_10empty_typeEbEEZZNS1_14partition_implILS8_3ELb0ES6_jNS0_17counting_iteratorIjlEEPS9_SE_NS0_5tupleIJPjSE_EEENSF_IJSE_SE_EEES9_SG_JZNS1_25segmented_radix_sort_implINS0_14default_configELb1EPKhPhPKlPlN2at6native12_GLOBAL__N_18offset_tEEE10hipError_tPvRmT1_PNSt15iterator_traitsISY_E10value_typeET2_T3_PNSZ_IS14_E10value_typeET4_jRbjT5_S1A_jjP12ihipStream_tbEUljE_EEESV_SW_SX_S14_S18_S1A_T6_T7_T9_mT8_S1C_bDpT10_ENKUlT_T0_E_clISt17integral_constantIbLb0EES1P_EEDaS1K_S1L_EUlS1K_E_NS1_11comp_targetILNS1_3genE8ELNS1_11target_archE1030ELNS1_3gpuE2ELNS1_3repE0EEENS1_30default_config_static_selectorELNS0_4arch9wavefront6targetE0EEEvSY_.num_named_barrier, 0
	.set _ZN7rocprim17ROCPRIM_400000_NS6detail17trampoline_kernelINS0_13select_configILj256ELj13ELNS0_17block_load_methodE3ELS4_3ELS4_3ELNS0_20block_scan_algorithmE0ELj4294967295EEENS1_25partition_config_selectorILNS1_17partition_subalgoE3EjNS0_10empty_typeEbEEZZNS1_14partition_implILS8_3ELb0ES6_jNS0_17counting_iteratorIjlEEPS9_SE_NS0_5tupleIJPjSE_EEENSF_IJSE_SE_EEES9_SG_JZNS1_25segmented_radix_sort_implINS0_14default_configELb1EPKhPhPKlPlN2at6native12_GLOBAL__N_18offset_tEEE10hipError_tPvRmT1_PNSt15iterator_traitsISY_E10value_typeET2_T3_PNSZ_IS14_E10value_typeET4_jRbjT5_S1A_jjP12ihipStream_tbEUljE_EEESV_SW_SX_S14_S18_S1A_T6_T7_T9_mT8_S1C_bDpT10_ENKUlT_T0_E_clISt17integral_constantIbLb0EES1P_EEDaS1K_S1L_EUlS1K_E_NS1_11comp_targetILNS1_3genE8ELNS1_11target_archE1030ELNS1_3gpuE2ELNS1_3repE0EEENS1_30default_config_static_selectorELNS0_4arch9wavefront6targetE0EEEvSY_.private_seg_size, 0
	.set _ZN7rocprim17ROCPRIM_400000_NS6detail17trampoline_kernelINS0_13select_configILj256ELj13ELNS0_17block_load_methodE3ELS4_3ELS4_3ELNS0_20block_scan_algorithmE0ELj4294967295EEENS1_25partition_config_selectorILNS1_17partition_subalgoE3EjNS0_10empty_typeEbEEZZNS1_14partition_implILS8_3ELb0ES6_jNS0_17counting_iteratorIjlEEPS9_SE_NS0_5tupleIJPjSE_EEENSF_IJSE_SE_EEES9_SG_JZNS1_25segmented_radix_sort_implINS0_14default_configELb1EPKhPhPKlPlN2at6native12_GLOBAL__N_18offset_tEEE10hipError_tPvRmT1_PNSt15iterator_traitsISY_E10value_typeET2_T3_PNSZ_IS14_E10value_typeET4_jRbjT5_S1A_jjP12ihipStream_tbEUljE_EEESV_SW_SX_S14_S18_S1A_T6_T7_T9_mT8_S1C_bDpT10_ENKUlT_T0_E_clISt17integral_constantIbLb0EES1P_EEDaS1K_S1L_EUlS1K_E_NS1_11comp_targetILNS1_3genE8ELNS1_11target_archE1030ELNS1_3gpuE2ELNS1_3repE0EEENS1_30default_config_static_selectorELNS0_4arch9wavefront6targetE0EEEvSY_.uses_vcc, 1
	.set _ZN7rocprim17ROCPRIM_400000_NS6detail17trampoline_kernelINS0_13select_configILj256ELj13ELNS0_17block_load_methodE3ELS4_3ELS4_3ELNS0_20block_scan_algorithmE0ELj4294967295EEENS1_25partition_config_selectorILNS1_17partition_subalgoE3EjNS0_10empty_typeEbEEZZNS1_14partition_implILS8_3ELb0ES6_jNS0_17counting_iteratorIjlEEPS9_SE_NS0_5tupleIJPjSE_EEENSF_IJSE_SE_EEES9_SG_JZNS1_25segmented_radix_sort_implINS0_14default_configELb1EPKhPhPKlPlN2at6native12_GLOBAL__N_18offset_tEEE10hipError_tPvRmT1_PNSt15iterator_traitsISY_E10value_typeET2_T3_PNSZ_IS14_E10value_typeET4_jRbjT5_S1A_jjP12ihipStream_tbEUljE_EEESV_SW_SX_S14_S18_S1A_T6_T7_T9_mT8_S1C_bDpT10_ENKUlT_T0_E_clISt17integral_constantIbLb0EES1P_EEDaS1K_S1L_EUlS1K_E_NS1_11comp_targetILNS1_3genE8ELNS1_11target_archE1030ELNS1_3gpuE2ELNS1_3repE0EEENS1_30default_config_static_selectorELNS0_4arch9wavefront6targetE0EEEvSY_.uses_flat_scratch, 0
	.set _ZN7rocprim17ROCPRIM_400000_NS6detail17trampoline_kernelINS0_13select_configILj256ELj13ELNS0_17block_load_methodE3ELS4_3ELS4_3ELNS0_20block_scan_algorithmE0ELj4294967295EEENS1_25partition_config_selectorILNS1_17partition_subalgoE3EjNS0_10empty_typeEbEEZZNS1_14partition_implILS8_3ELb0ES6_jNS0_17counting_iteratorIjlEEPS9_SE_NS0_5tupleIJPjSE_EEENSF_IJSE_SE_EEES9_SG_JZNS1_25segmented_radix_sort_implINS0_14default_configELb1EPKhPhPKlPlN2at6native12_GLOBAL__N_18offset_tEEE10hipError_tPvRmT1_PNSt15iterator_traitsISY_E10value_typeET2_T3_PNSZ_IS14_E10value_typeET4_jRbjT5_S1A_jjP12ihipStream_tbEUljE_EEESV_SW_SX_S14_S18_S1A_T6_T7_T9_mT8_S1C_bDpT10_ENKUlT_T0_E_clISt17integral_constantIbLb0EES1P_EEDaS1K_S1L_EUlS1K_E_NS1_11comp_targetILNS1_3genE8ELNS1_11target_archE1030ELNS1_3gpuE2ELNS1_3repE0EEENS1_30default_config_static_selectorELNS0_4arch9wavefront6targetE0EEEvSY_.has_dyn_sized_stack, 0
	.set _ZN7rocprim17ROCPRIM_400000_NS6detail17trampoline_kernelINS0_13select_configILj256ELj13ELNS0_17block_load_methodE3ELS4_3ELS4_3ELNS0_20block_scan_algorithmE0ELj4294967295EEENS1_25partition_config_selectorILNS1_17partition_subalgoE3EjNS0_10empty_typeEbEEZZNS1_14partition_implILS8_3ELb0ES6_jNS0_17counting_iteratorIjlEEPS9_SE_NS0_5tupleIJPjSE_EEENSF_IJSE_SE_EEES9_SG_JZNS1_25segmented_radix_sort_implINS0_14default_configELb1EPKhPhPKlPlN2at6native12_GLOBAL__N_18offset_tEEE10hipError_tPvRmT1_PNSt15iterator_traitsISY_E10value_typeET2_T3_PNSZ_IS14_E10value_typeET4_jRbjT5_S1A_jjP12ihipStream_tbEUljE_EEESV_SW_SX_S14_S18_S1A_T6_T7_T9_mT8_S1C_bDpT10_ENKUlT_T0_E_clISt17integral_constantIbLb0EES1P_EEDaS1K_S1L_EUlS1K_E_NS1_11comp_targetILNS1_3genE8ELNS1_11target_archE1030ELNS1_3gpuE2ELNS1_3repE0EEENS1_30default_config_static_selectorELNS0_4arch9wavefront6targetE0EEEvSY_.has_recursion, 0
	.set _ZN7rocprim17ROCPRIM_400000_NS6detail17trampoline_kernelINS0_13select_configILj256ELj13ELNS0_17block_load_methodE3ELS4_3ELS4_3ELNS0_20block_scan_algorithmE0ELj4294967295EEENS1_25partition_config_selectorILNS1_17partition_subalgoE3EjNS0_10empty_typeEbEEZZNS1_14partition_implILS8_3ELb0ES6_jNS0_17counting_iteratorIjlEEPS9_SE_NS0_5tupleIJPjSE_EEENSF_IJSE_SE_EEES9_SG_JZNS1_25segmented_radix_sort_implINS0_14default_configELb1EPKhPhPKlPlN2at6native12_GLOBAL__N_18offset_tEEE10hipError_tPvRmT1_PNSt15iterator_traitsISY_E10value_typeET2_T3_PNSZ_IS14_E10value_typeET4_jRbjT5_S1A_jjP12ihipStream_tbEUljE_EEESV_SW_SX_S14_S18_S1A_T6_T7_T9_mT8_S1C_bDpT10_ENKUlT_T0_E_clISt17integral_constantIbLb0EES1P_EEDaS1K_S1L_EUlS1K_E_NS1_11comp_targetILNS1_3genE8ELNS1_11target_archE1030ELNS1_3gpuE2ELNS1_3repE0EEENS1_30default_config_static_selectorELNS0_4arch9wavefront6targetE0EEEvSY_.has_indirect_call, 0
	.section	.AMDGPU.csdata,"",@progbits
; Kernel info:
; codeLenInByte = 8564
; TotalNumSgprs: 29
; NumVgprs: 69
; ScratchSize: 0
; MemoryBound: 0
; FloatMode: 240
; IeeeMode: 1
; LDSByteSize: 13320 bytes/workgroup (compile time only)
; SGPRBlocks: 0
; VGPRBlocks: 8
; NumSGPRsForWavesPerEU: 29
; NumVGPRsForWavesPerEU: 69
; Occupancy: 12
; WaveLimiterHint : 0
; COMPUTE_PGM_RSRC2:SCRATCH_EN: 0
; COMPUTE_PGM_RSRC2:USER_SGPR: 6
; COMPUTE_PGM_RSRC2:TRAP_HANDLER: 0
; COMPUTE_PGM_RSRC2:TGID_X_EN: 1
; COMPUTE_PGM_RSRC2:TGID_Y_EN: 0
; COMPUTE_PGM_RSRC2:TGID_Z_EN: 0
; COMPUTE_PGM_RSRC2:TIDIG_COMP_CNT: 0
	.section	.text._ZN7rocprim17ROCPRIM_400000_NS6detail31init_lookback_scan_state_kernelINS1_19lookback_scan_stateIjLb1ELb1EEENS1_16block_id_wrapperIjLb1EEEEEvT_jT0_jPNS7_10value_typeE,"axG",@progbits,_ZN7rocprim17ROCPRIM_400000_NS6detail31init_lookback_scan_state_kernelINS1_19lookback_scan_stateIjLb1ELb1EEENS1_16block_id_wrapperIjLb1EEEEEvT_jT0_jPNS7_10value_typeE,comdat
	.protected	_ZN7rocprim17ROCPRIM_400000_NS6detail31init_lookback_scan_state_kernelINS1_19lookback_scan_stateIjLb1ELb1EEENS1_16block_id_wrapperIjLb1EEEEEvT_jT0_jPNS7_10value_typeE ; -- Begin function _ZN7rocprim17ROCPRIM_400000_NS6detail31init_lookback_scan_state_kernelINS1_19lookback_scan_stateIjLb1ELb1EEENS1_16block_id_wrapperIjLb1EEEEEvT_jT0_jPNS7_10value_typeE
	.globl	_ZN7rocprim17ROCPRIM_400000_NS6detail31init_lookback_scan_state_kernelINS1_19lookback_scan_stateIjLb1ELb1EEENS1_16block_id_wrapperIjLb1EEEEEvT_jT0_jPNS7_10value_typeE
	.p2align	8
	.type	_ZN7rocprim17ROCPRIM_400000_NS6detail31init_lookback_scan_state_kernelINS1_19lookback_scan_stateIjLb1ELb1EEENS1_16block_id_wrapperIjLb1EEEEEvT_jT0_jPNS7_10value_typeE,@function
_ZN7rocprim17ROCPRIM_400000_NS6detail31init_lookback_scan_state_kernelINS1_19lookback_scan_stateIjLb1ELb1EEENS1_16block_id_wrapperIjLb1EEEEEvT_jT0_jPNS7_10value_typeE: ; @_ZN7rocprim17ROCPRIM_400000_NS6detail31init_lookback_scan_state_kernelINS1_19lookback_scan_stateIjLb1ELb1EEENS1_16block_id_wrapperIjLb1EEEEEvT_jT0_jPNS7_10value_typeE
; %bb.0:
	s_clause 0x3
	s_load_dword s7, s[4:5], 0x34
	s_load_dwordx2 s[2:3], s[4:5], 0x20
	s_load_dwordx2 s[0:1], s[4:5], 0x0
	s_load_dword s8, s[4:5], 0x8
	s_waitcnt lgkmcnt(0)
	s_and_b32 s7, s7, 0xffff
	s_cmp_eq_u64 s[2:3], 0
	v_mad_u64_u32 v[0:1], null, s6, s7, v[0:1]
	s_cbranch_scc1 .LBB56_9
; %bb.1:
	s_load_dword s6, s[4:5], 0x18
	s_waitcnt lgkmcnt(0)
	s_cmp_lt_u32 s6, s8
	s_cselect_b32 s7, s6, 0
	v_cmp_eq_u32_e32 vcc_lo, s7, v0
	s_mov_b32 s7, 0
	s_and_saveexec_b32 s9, vcc_lo
	s_cbranch_execz .LBB56_8
; %bb.2:
	s_add_i32 s6, s6, 32
	v_mov_b32_e32 v1, 0
	s_lshl_b64 s[6:7], s[6:7], 3
	s_add_u32 s6, s0, s6
	s_addc_u32 s7, s1, s7
	global_load_dwordx2 v[3:4], v1, s[6:7] glc dlc
	s_waitcnt vmcnt(0)
	v_and_b32_e32 v2, 0xff, v4
	v_cmp_ne_u64_e32 vcc_lo, 0, v[1:2]
	s_cbranch_vccnz .LBB56_7
; %bb.3:
	s_mov_b32 s10, 1
.LBB56_4:                               ; =>This Loop Header: Depth=1
                                        ;     Child Loop BB56_5 Depth 2
	s_mov_b32 s11, s10
.LBB56_5:                               ;   Parent Loop BB56_4 Depth=1
                                        ; =>  This Inner Loop Header: Depth=2
	s_add_i32 s11, s11, -1
	s_sleep 1
	s_cmp_eq_u32 s11, 0
	s_cbranch_scc0 .LBB56_5
; %bb.6:                                ;   in Loop: Header=BB56_4 Depth=1
	global_load_dwordx2 v[3:4], v1, s[6:7] glc dlc
	s_cmp_lt_u32 s10, 32
	s_cselect_b32 s11, -1, 0
	s_cmp_lg_u32 s11, 0
	s_addc_u32 s10, s10, 0
	s_waitcnt vmcnt(0)
	v_and_b32_e32 v2, 0xff, v4
	v_cmp_ne_u64_e32 vcc_lo, 0, v[1:2]
	s_cbranch_vccz .LBB56_4
.LBB56_7:
	v_mov_b32_e32 v1, 0
	global_store_dword v1, v3, s[2:3]
.LBB56_8:
	s_or_b32 exec_lo, exec_lo, s9
.LBB56_9:
	s_mov_b32 s2, exec_lo
	v_cmpx_eq_u32_e32 0, v0
	s_cbranch_execz .LBB56_11
; %bb.10:
	s_load_dwordx2 s[4:5], s[4:5], 0x10
	v_mov_b32_e32 v1, 0
	s_waitcnt lgkmcnt(0)
	global_store_dword v1, v1, s[4:5]
.LBB56_11:
	s_or_b32 exec_lo, exec_lo, s2
	s_mov_b32 s2, exec_lo
	v_cmpx_gt_u32_e64 s8, v0
	s_cbranch_execz .LBB56_13
; %bb.12:
	v_add_nc_u32_e32 v1, 32, v0
	v_mov_b32_e32 v2, 0
	v_lshlrev_b64 v[3:4], 3, v[1:2]
	v_mov_b32_e32 v1, v2
	v_add_co_u32 v3, vcc_lo, s0, v3
	v_add_co_ci_u32_e64 v4, null, s1, v4, vcc_lo
	global_store_dwordx2 v[3:4], v[1:2], off
.LBB56_13:
	s_or_b32 exec_lo, exec_lo, s2
	s_mov_b32 s2, exec_lo
	v_cmpx_gt_u32_e32 32, v0
	s_cbranch_execz .LBB56_15
; %bb.14:
	v_mov_b32_e32 v1, 0
	v_mov_b32_e32 v4, 0xff
	v_lshlrev_b64 v[2:3], 3, v[0:1]
	v_add_co_u32 v5, vcc_lo, s0, v2
	v_add_co_ci_u32_e64 v6, null, s1, v3, vcc_lo
	v_mov_b32_e32 v3, v1
	global_store_dwordx2 v[5:6], v[3:4], off
.LBB56_15:
	s_endpgm
	.section	.rodata,"a",@progbits
	.p2align	6, 0x0
	.amdhsa_kernel _ZN7rocprim17ROCPRIM_400000_NS6detail31init_lookback_scan_state_kernelINS1_19lookback_scan_stateIjLb1ELb1EEENS1_16block_id_wrapperIjLb1EEEEEvT_jT0_jPNS7_10value_typeE
		.amdhsa_group_segment_fixed_size 0
		.amdhsa_private_segment_fixed_size 0
		.amdhsa_kernarg_size 296
		.amdhsa_user_sgpr_count 6
		.amdhsa_user_sgpr_private_segment_buffer 1
		.amdhsa_user_sgpr_dispatch_ptr 0
		.amdhsa_user_sgpr_queue_ptr 0
		.amdhsa_user_sgpr_kernarg_segment_ptr 1
		.amdhsa_user_sgpr_dispatch_id 0
		.amdhsa_user_sgpr_flat_scratch_init 0
		.amdhsa_user_sgpr_private_segment_size 0
		.amdhsa_wavefront_size32 1
		.amdhsa_uses_dynamic_stack 0
		.amdhsa_system_sgpr_private_segment_wavefront_offset 0
		.amdhsa_system_sgpr_workgroup_id_x 1
		.amdhsa_system_sgpr_workgroup_id_y 0
		.amdhsa_system_sgpr_workgroup_id_z 0
		.amdhsa_system_sgpr_workgroup_info 0
		.amdhsa_system_vgpr_workitem_id 0
		.amdhsa_next_free_vgpr 7
		.amdhsa_next_free_sgpr 12
		.amdhsa_reserve_vcc 1
		.amdhsa_reserve_flat_scratch 0
		.amdhsa_float_round_mode_32 0
		.amdhsa_float_round_mode_16_64 0
		.amdhsa_float_denorm_mode_32 3
		.amdhsa_float_denorm_mode_16_64 3
		.amdhsa_dx10_clamp 1
		.amdhsa_ieee_mode 1
		.amdhsa_fp16_overflow 0
		.amdhsa_workgroup_processor_mode 1
		.amdhsa_memory_ordered 1
		.amdhsa_forward_progress 1
		.amdhsa_shared_vgpr_count 0
		.amdhsa_exception_fp_ieee_invalid_op 0
		.amdhsa_exception_fp_denorm_src 0
		.amdhsa_exception_fp_ieee_div_zero 0
		.amdhsa_exception_fp_ieee_overflow 0
		.amdhsa_exception_fp_ieee_underflow 0
		.amdhsa_exception_fp_ieee_inexact 0
		.amdhsa_exception_int_div_zero 0
	.end_amdhsa_kernel
	.section	.text._ZN7rocprim17ROCPRIM_400000_NS6detail31init_lookback_scan_state_kernelINS1_19lookback_scan_stateIjLb1ELb1EEENS1_16block_id_wrapperIjLb1EEEEEvT_jT0_jPNS7_10value_typeE,"axG",@progbits,_ZN7rocprim17ROCPRIM_400000_NS6detail31init_lookback_scan_state_kernelINS1_19lookback_scan_stateIjLb1ELb1EEENS1_16block_id_wrapperIjLb1EEEEEvT_jT0_jPNS7_10value_typeE,comdat
.Lfunc_end56:
	.size	_ZN7rocprim17ROCPRIM_400000_NS6detail31init_lookback_scan_state_kernelINS1_19lookback_scan_stateIjLb1ELb1EEENS1_16block_id_wrapperIjLb1EEEEEvT_jT0_jPNS7_10value_typeE, .Lfunc_end56-_ZN7rocprim17ROCPRIM_400000_NS6detail31init_lookback_scan_state_kernelINS1_19lookback_scan_stateIjLb1ELb1EEENS1_16block_id_wrapperIjLb1EEEEEvT_jT0_jPNS7_10value_typeE
                                        ; -- End function
	.set _ZN7rocprim17ROCPRIM_400000_NS6detail31init_lookback_scan_state_kernelINS1_19lookback_scan_stateIjLb1ELb1EEENS1_16block_id_wrapperIjLb1EEEEEvT_jT0_jPNS7_10value_typeE.num_vgpr, 7
	.set _ZN7rocprim17ROCPRIM_400000_NS6detail31init_lookback_scan_state_kernelINS1_19lookback_scan_stateIjLb1ELb1EEENS1_16block_id_wrapperIjLb1EEEEEvT_jT0_jPNS7_10value_typeE.num_agpr, 0
	.set _ZN7rocprim17ROCPRIM_400000_NS6detail31init_lookback_scan_state_kernelINS1_19lookback_scan_stateIjLb1ELb1EEENS1_16block_id_wrapperIjLb1EEEEEvT_jT0_jPNS7_10value_typeE.numbered_sgpr, 12
	.set _ZN7rocprim17ROCPRIM_400000_NS6detail31init_lookback_scan_state_kernelINS1_19lookback_scan_stateIjLb1ELb1EEENS1_16block_id_wrapperIjLb1EEEEEvT_jT0_jPNS7_10value_typeE.num_named_barrier, 0
	.set _ZN7rocprim17ROCPRIM_400000_NS6detail31init_lookback_scan_state_kernelINS1_19lookback_scan_stateIjLb1ELb1EEENS1_16block_id_wrapperIjLb1EEEEEvT_jT0_jPNS7_10value_typeE.private_seg_size, 0
	.set _ZN7rocprim17ROCPRIM_400000_NS6detail31init_lookback_scan_state_kernelINS1_19lookback_scan_stateIjLb1ELb1EEENS1_16block_id_wrapperIjLb1EEEEEvT_jT0_jPNS7_10value_typeE.uses_vcc, 1
	.set _ZN7rocprim17ROCPRIM_400000_NS6detail31init_lookback_scan_state_kernelINS1_19lookback_scan_stateIjLb1ELb1EEENS1_16block_id_wrapperIjLb1EEEEEvT_jT0_jPNS7_10value_typeE.uses_flat_scratch, 0
	.set _ZN7rocprim17ROCPRIM_400000_NS6detail31init_lookback_scan_state_kernelINS1_19lookback_scan_stateIjLb1ELb1EEENS1_16block_id_wrapperIjLb1EEEEEvT_jT0_jPNS7_10value_typeE.has_dyn_sized_stack, 0
	.set _ZN7rocprim17ROCPRIM_400000_NS6detail31init_lookback_scan_state_kernelINS1_19lookback_scan_stateIjLb1ELb1EEENS1_16block_id_wrapperIjLb1EEEEEvT_jT0_jPNS7_10value_typeE.has_recursion, 0
	.set _ZN7rocprim17ROCPRIM_400000_NS6detail31init_lookback_scan_state_kernelINS1_19lookback_scan_stateIjLb1ELb1EEENS1_16block_id_wrapperIjLb1EEEEEvT_jT0_jPNS7_10value_typeE.has_indirect_call, 0
	.section	.AMDGPU.csdata,"",@progbits
; Kernel info:
; codeLenInByte = 400
; TotalNumSgprs: 14
; NumVgprs: 7
; ScratchSize: 0
; MemoryBound: 0
; FloatMode: 240
; IeeeMode: 1
; LDSByteSize: 0 bytes/workgroup (compile time only)
; SGPRBlocks: 0
; VGPRBlocks: 0
; NumSGPRsForWavesPerEU: 14
; NumVGPRsForWavesPerEU: 7
; Occupancy: 16
; WaveLimiterHint : 0
; COMPUTE_PGM_RSRC2:SCRATCH_EN: 0
; COMPUTE_PGM_RSRC2:USER_SGPR: 6
; COMPUTE_PGM_RSRC2:TRAP_HANDLER: 0
; COMPUTE_PGM_RSRC2:TGID_X_EN: 1
; COMPUTE_PGM_RSRC2:TGID_Y_EN: 0
; COMPUTE_PGM_RSRC2:TGID_Z_EN: 0
; COMPUTE_PGM_RSRC2:TIDIG_COMP_CNT: 0
	.section	.text._ZN7rocprim17ROCPRIM_400000_NS6detail17trampoline_kernelINS0_13select_configILj256ELj13ELNS0_17block_load_methodE3ELS4_3ELS4_3ELNS0_20block_scan_algorithmE0ELj4294967295EEENS1_25partition_config_selectorILNS1_17partition_subalgoE3EjNS0_10empty_typeEbEEZZNS1_14partition_implILS8_3ELb0ES6_jNS0_17counting_iteratorIjlEEPS9_SE_NS0_5tupleIJPjSE_EEENSF_IJSE_SE_EEES9_SG_JZNS1_25segmented_radix_sort_implINS0_14default_configELb1EPKhPhPKlPlN2at6native12_GLOBAL__N_18offset_tEEE10hipError_tPvRmT1_PNSt15iterator_traitsISY_E10value_typeET2_T3_PNSZ_IS14_E10value_typeET4_jRbjT5_S1A_jjP12ihipStream_tbEUljE_EEESV_SW_SX_S14_S18_S1A_T6_T7_T9_mT8_S1C_bDpT10_ENKUlT_T0_E_clISt17integral_constantIbLb1EES1P_EEDaS1K_S1L_EUlS1K_E_NS1_11comp_targetILNS1_3genE0ELNS1_11target_archE4294967295ELNS1_3gpuE0ELNS1_3repE0EEENS1_30default_config_static_selectorELNS0_4arch9wavefront6targetE0EEEvSY_,"axG",@progbits,_ZN7rocprim17ROCPRIM_400000_NS6detail17trampoline_kernelINS0_13select_configILj256ELj13ELNS0_17block_load_methodE3ELS4_3ELS4_3ELNS0_20block_scan_algorithmE0ELj4294967295EEENS1_25partition_config_selectorILNS1_17partition_subalgoE3EjNS0_10empty_typeEbEEZZNS1_14partition_implILS8_3ELb0ES6_jNS0_17counting_iteratorIjlEEPS9_SE_NS0_5tupleIJPjSE_EEENSF_IJSE_SE_EEES9_SG_JZNS1_25segmented_radix_sort_implINS0_14default_configELb1EPKhPhPKlPlN2at6native12_GLOBAL__N_18offset_tEEE10hipError_tPvRmT1_PNSt15iterator_traitsISY_E10value_typeET2_T3_PNSZ_IS14_E10value_typeET4_jRbjT5_S1A_jjP12ihipStream_tbEUljE_EEESV_SW_SX_S14_S18_S1A_T6_T7_T9_mT8_S1C_bDpT10_ENKUlT_T0_E_clISt17integral_constantIbLb1EES1P_EEDaS1K_S1L_EUlS1K_E_NS1_11comp_targetILNS1_3genE0ELNS1_11target_archE4294967295ELNS1_3gpuE0ELNS1_3repE0EEENS1_30default_config_static_selectorELNS0_4arch9wavefront6targetE0EEEvSY_,comdat
	.globl	_ZN7rocprim17ROCPRIM_400000_NS6detail17trampoline_kernelINS0_13select_configILj256ELj13ELNS0_17block_load_methodE3ELS4_3ELS4_3ELNS0_20block_scan_algorithmE0ELj4294967295EEENS1_25partition_config_selectorILNS1_17partition_subalgoE3EjNS0_10empty_typeEbEEZZNS1_14partition_implILS8_3ELb0ES6_jNS0_17counting_iteratorIjlEEPS9_SE_NS0_5tupleIJPjSE_EEENSF_IJSE_SE_EEES9_SG_JZNS1_25segmented_radix_sort_implINS0_14default_configELb1EPKhPhPKlPlN2at6native12_GLOBAL__N_18offset_tEEE10hipError_tPvRmT1_PNSt15iterator_traitsISY_E10value_typeET2_T3_PNSZ_IS14_E10value_typeET4_jRbjT5_S1A_jjP12ihipStream_tbEUljE_EEESV_SW_SX_S14_S18_S1A_T6_T7_T9_mT8_S1C_bDpT10_ENKUlT_T0_E_clISt17integral_constantIbLb1EES1P_EEDaS1K_S1L_EUlS1K_E_NS1_11comp_targetILNS1_3genE0ELNS1_11target_archE4294967295ELNS1_3gpuE0ELNS1_3repE0EEENS1_30default_config_static_selectorELNS0_4arch9wavefront6targetE0EEEvSY_ ; -- Begin function _ZN7rocprim17ROCPRIM_400000_NS6detail17trampoline_kernelINS0_13select_configILj256ELj13ELNS0_17block_load_methodE3ELS4_3ELS4_3ELNS0_20block_scan_algorithmE0ELj4294967295EEENS1_25partition_config_selectorILNS1_17partition_subalgoE3EjNS0_10empty_typeEbEEZZNS1_14partition_implILS8_3ELb0ES6_jNS0_17counting_iteratorIjlEEPS9_SE_NS0_5tupleIJPjSE_EEENSF_IJSE_SE_EEES9_SG_JZNS1_25segmented_radix_sort_implINS0_14default_configELb1EPKhPhPKlPlN2at6native12_GLOBAL__N_18offset_tEEE10hipError_tPvRmT1_PNSt15iterator_traitsISY_E10value_typeET2_T3_PNSZ_IS14_E10value_typeET4_jRbjT5_S1A_jjP12ihipStream_tbEUljE_EEESV_SW_SX_S14_S18_S1A_T6_T7_T9_mT8_S1C_bDpT10_ENKUlT_T0_E_clISt17integral_constantIbLb1EES1P_EEDaS1K_S1L_EUlS1K_E_NS1_11comp_targetILNS1_3genE0ELNS1_11target_archE4294967295ELNS1_3gpuE0ELNS1_3repE0EEENS1_30default_config_static_selectorELNS0_4arch9wavefront6targetE0EEEvSY_
	.p2align	8
	.type	_ZN7rocprim17ROCPRIM_400000_NS6detail17trampoline_kernelINS0_13select_configILj256ELj13ELNS0_17block_load_methodE3ELS4_3ELS4_3ELNS0_20block_scan_algorithmE0ELj4294967295EEENS1_25partition_config_selectorILNS1_17partition_subalgoE3EjNS0_10empty_typeEbEEZZNS1_14partition_implILS8_3ELb0ES6_jNS0_17counting_iteratorIjlEEPS9_SE_NS0_5tupleIJPjSE_EEENSF_IJSE_SE_EEES9_SG_JZNS1_25segmented_radix_sort_implINS0_14default_configELb1EPKhPhPKlPlN2at6native12_GLOBAL__N_18offset_tEEE10hipError_tPvRmT1_PNSt15iterator_traitsISY_E10value_typeET2_T3_PNSZ_IS14_E10value_typeET4_jRbjT5_S1A_jjP12ihipStream_tbEUljE_EEESV_SW_SX_S14_S18_S1A_T6_T7_T9_mT8_S1C_bDpT10_ENKUlT_T0_E_clISt17integral_constantIbLb1EES1P_EEDaS1K_S1L_EUlS1K_E_NS1_11comp_targetILNS1_3genE0ELNS1_11target_archE4294967295ELNS1_3gpuE0ELNS1_3repE0EEENS1_30default_config_static_selectorELNS0_4arch9wavefront6targetE0EEEvSY_,@function
_ZN7rocprim17ROCPRIM_400000_NS6detail17trampoline_kernelINS0_13select_configILj256ELj13ELNS0_17block_load_methodE3ELS4_3ELS4_3ELNS0_20block_scan_algorithmE0ELj4294967295EEENS1_25partition_config_selectorILNS1_17partition_subalgoE3EjNS0_10empty_typeEbEEZZNS1_14partition_implILS8_3ELb0ES6_jNS0_17counting_iteratorIjlEEPS9_SE_NS0_5tupleIJPjSE_EEENSF_IJSE_SE_EEES9_SG_JZNS1_25segmented_radix_sort_implINS0_14default_configELb1EPKhPhPKlPlN2at6native12_GLOBAL__N_18offset_tEEE10hipError_tPvRmT1_PNSt15iterator_traitsISY_E10value_typeET2_T3_PNSZ_IS14_E10value_typeET4_jRbjT5_S1A_jjP12ihipStream_tbEUljE_EEESV_SW_SX_S14_S18_S1A_T6_T7_T9_mT8_S1C_bDpT10_ENKUlT_T0_E_clISt17integral_constantIbLb1EES1P_EEDaS1K_S1L_EUlS1K_E_NS1_11comp_targetILNS1_3genE0ELNS1_11target_archE4294967295ELNS1_3gpuE0ELNS1_3repE0EEENS1_30default_config_static_selectorELNS0_4arch9wavefront6targetE0EEEvSY_: ; @_ZN7rocprim17ROCPRIM_400000_NS6detail17trampoline_kernelINS0_13select_configILj256ELj13ELNS0_17block_load_methodE3ELS4_3ELS4_3ELNS0_20block_scan_algorithmE0ELj4294967295EEENS1_25partition_config_selectorILNS1_17partition_subalgoE3EjNS0_10empty_typeEbEEZZNS1_14partition_implILS8_3ELb0ES6_jNS0_17counting_iteratorIjlEEPS9_SE_NS0_5tupleIJPjSE_EEENSF_IJSE_SE_EEES9_SG_JZNS1_25segmented_radix_sort_implINS0_14default_configELb1EPKhPhPKlPlN2at6native12_GLOBAL__N_18offset_tEEE10hipError_tPvRmT1_PNSt15iterator_traitsISY_E10value_typeET2_T3_PNSZ_IS14_E10value_typeET4_jRbjT5_S1A_jjP12ihipStream_tbEUljE_EEESV_SW_SX_S14_S18_S1A_T6_T7_T9_mT8_S1C_bDpT10_ENKUlT_T0_E_clISt17integral_constantIbLb1EES1P_EEDaS1K_S1L_EUlS1K_E_NS1_11comp_targetILNS1_3genE0ELNS1_11target_archE4294967295ELNS1_3gpuE0ELNS1_3repE0EEENS1_30default_config_static_selectorELNS0_4arch9wavefront6targetE0EEEvSY_
; %bb.0:
	.section	.rodata,"a",@progbits
	.p2align	6, 0x0
	.amdhsa_kernel _ZN7rocprim17ROCPRIM_400000_NS6detail17trampoline_kernelINS0_13select_configILj256ELj13ELNS0_17block_load_methodE3ELS4_3ELS4_3ELNS0_20block_scan_algorithmE0ELj4294967295EEENS1_25partition_config_selectorILNS1_17partition_subalgoE3EjNS0_10empty_typeEbEEZZNS1_14partition_implILS8_3ELb0ES6_jNS0_17counting_iteratorIjlEEPS9_SE_NS0_5tupleIJPjSE_EEENSF_IJSE_SE_EEES9_SG_JZNS1_25segmented_radix_sort_implINS0_14default_configELb1EPKhPhPKlPlN2at6native12_GLOBAL__N_18offset_tEEE10hipError_tPvRmT1_PNSt15iterator_traitsISY_E10value_typeET2_T3_PNSZ_IS14_E10value_typeET4_jRbjT5_S1A_jjP12ihipStream_tbEUljE_EEESV_SW_SX_S14_S18_S1A_T6_T7_T9_mT8_S1C_bDpT10_ENKUlT_T0_E_clISt17integral_constantIbLb1EES1P_EEDaS1K_S1L_EUlS1K_E_NS1_11comp_targetILNS1_3genE0ELNS1_11target_archE4294967295ELNS1_3gpuE0ELNS1_3repE0EEENS1_30default_config_static_selectorELNS0_4arch9wavefront6targetE0EEEvSY_
		.amdhsa_group_segment_fixed_size 0
		.amdhsa_private_segment_fixed_size 0
		.amdhsa_kernarg_size 152
		.amdhsa_user_sgpr_count 6
		.amdhsa_user_sgpr_private_segment_buffer 1
		.amdhsa_user_sgpr_dispatch_ptr 0
		.amdhsa_user_sgpr_queue_ptr 0
		.amdhsa_user_sgpr_kernarg_segment_ptr 1
		.amdhsa_user_sgpr_dispatch_id 0
		.amdhsa_user_sgpr_flat_scratch_init 0
		.amdhsa_user_sgpr_private_segment_size 0
		.amdhsa_wavefront_size32 1
		.amdhsa_uses_dynamic_stack 0
		.amdhsa_system_sgpr_private_segment_wavefront_offset 0
		.amdhsa_system_sgpr_workgroup_id_x 1
		.amdhsa_system_sgpr_workgroup_id_y 0
		.amdhsa_system_sgpr_workgroup_id_z 0
		.amdhsa_system_sgpr_workgroup_info 0
		.amdhsa_system_vgpr_workitem_id 0
		.amdhsa_next_free_vgpr 1
		.amdhsa_next_free_sgpr 1
		.amdhsa_reserve_vcc 0
		.amdhsa_reserve_flat_scratch 0
		.amdhsa_float_round_mode_32 0
		.amdhsa_float_round_mode_16_64 0
		.amdhsa_float_denorm_mode_32 3
		.amdhsa_float_denorm_mode_16_64 3
		.amdhsa_dx10_clamp 1
		.amdhsa_ieee_mode 1
		.amdhsa_fp16_overflow 0
		.amdhsa_workgroup_processor_mode 1
		.amdhsa_memory_ordered 1
		.amdhsa_forward_progress 1
		.amdhsa_shared_vgpr_count 0
		.amdhsa_exception_fp_ieee_invalid_op 0
		.amdhsa_exception_fp_denorm_src 0
		.amdhsa_exception_fp_ieee_div_zero 0
		.amdhsa_exception_fp_ieee_overflow 0
		.amdhsa_exception_fp_ieee_underflow 0
		.amdhsa_exception_fp_ieee_inexact 0
		.amdhsa_exception_int_div_zero 0
	.end_amdhsa_kernel
	.section	.text._ZN7rocprim17ROCPRIM_400000_NS6detail17trampoline_kernelINS0_13select_configILj256ELj13ELNS0_17block_load_methodE3ELS4_3ELS4_3ELNS0_20block_scan_algorithmE0ELj4294967295EEENS1_25partition_config_selectorILNS1_17partition_subalgoE3EjNS0_10empty_typeEbEEZZNS1_14partition_implILS8_3ELb0ES6_jNS0_17counting_iteratorIjlEEPS9_SE_NS0_5tupleIJPjSE_EEENSF_IJSE_SE_EEES9_SG_JZNS1_25segmented_radix_sort_implINS0_14default_configELb1EPKhPhPKlPlN2at6native12_GLOBAL__N_18offset_tEEE10hipError_tPvRmT1_PNSt15iterator_traitsISY_E10value_typeET2_T3_PNSZ_IS14_E10value_typeET4_jRbjT5_S1A_jjP12ihipStream_tbEUljE_EEESV_SW_SX_S14_S18_S1A_T6_T7_T9_mT8_S1C_bDpT10_ENKUlT_T0_E_clISt17integral_constantIbLb1EES1P_EEDaS1K_S1L_EUlS1K_E_NS1_11comp_targetILNS1_3genE0ELNS1_11target_archE4294967295ELNS1_3gpuE0ELNS1_3repE0EEENS1_30default_config_static_selectorELNS0_4arch9wavefront6targetE0EEEvSY_,"axG",@progbits,_ZN7rocprim17ROCPRIM_400000_NS6detail17trampoline_kernelINS0_13select_configILj256ELj13ELNS0_17block_load_methodE3ELS4_3ELS4_3ELNS0_20block_scan_algorithmE0ELj4294967295EEENS1_25partition_config_selectorILNS1_17partition_subalgoE3EjNS0_10empty_typeEbEEZZNS1_14partition_implILS8_3ELb0ES6_jNS0_17counting_iteratorIjlEEPS9_SE_NS0_5tupleIJPjSE_EEENSF_IJSE_SE_EEES9_SG_JZNS1_25segmented_radix_sort_implINS0_14default_configELb1EPKhPhPKlPlN2at6native12_GLOBAL__N_18offset_tEEE10hipError_tPvRmT1_PNSt15iterator_traitsISY_E10value_typeET2_T3_PNSZ_IS14_E10value_typeET4_jRbjT5_S1A_jjP12ihipStream_tbEUljE_EEESV_SW_SX_S14_S18_S1A_T6_T7_T9_mT8_S1C_bDpT10_ENKUlT_T0_E_clISt17integral_constantIbLb1EES1P_EEDaS1K_S1L_EUlS1K_E_NS1_11comp_targetILNS1_3genE0ELNS1_11target_archE4294967295ELNS1_3gpuE0ELNS1_3repE0EEENS1_30default_config_static_selectorELNS0_4arch9wavefront6targetE0EEEvSY_,comdat
.Lfunc_end57:
	.size	_ZN7rocprim17ROCPRIM_400000_NS6detail17trampoline_kernelINS0_13select_configILj256ELj13ELNS0_17block_load_methodE3ELS4_3ELS4_3ELNS0_20block_scan_algorithmE0ELj4294967295EEENS1_25partition_config_selectorILNS1_17partition_subalgoE3EjNS0_10empty_typeEbEEZZNS1_14partition_implILS8_3ELb0ES6_jNS0_17counting_iteratorIjlEEPS9_SE_NS0_5tupleIJPjSE_EEENSF_IJSE_SE_EEES9_SG_JZNS1_25segmented_radix_sort_implINS0_14default_configELb1EPKhPhPKlPlN2at6native12_GLOBAL__N_18offset_tEEE10hipError_tPvRmT1_PNSt15iterator_traitsISY_E10value_typeET2_T3_PNSZ_IS14_E10value_typeET4_jRbjT5_S1A_jjP12ihipStream_tbEUljE_EEESV_SW_SX_S14_S18_S1A_T6_T7_T9_mT8_S1C_bDpT10_ENKUlT_T0_E_clISt17integral_constantIbLb1EES1P_EEDaS1K_S1L_EUlS1K_E_NS1_11comp_targetILNS1_3genE0ELNS1_11target_archE4294967295ELNS1_3gpuE0ELNS1_3repE0EEENS1_30default_config_static_selectorELNS0_4arch9wavefront6targetE0EEEvSY_, .Lfunc_end57-_ZN7rocprim17ROCPRIM_400000_NS6detail17trampoline_kernelINS0_13select_configILj256ELj13ELNS0_17block_load_methodE3ELS4_3ELS4_3ELNS0_20block_scan_algorithmE0ELj4294967295EEENS1_25partition_config_selectorILNS1_17partition_subalgoE3EjNS0_10empty_typeEbEEZZNS1_14partition_implILS8_3ELb0ES6_jNS0_17counting_iteratorIjlEEPS9_SE_NS0_5tupleIJPjSE_EEENSF_IJSE_SE_EEES9_SG_JZNS1_25segmented_radix_sort_implINS0_14default_configELb1EPKhPhPKlPlN2at6native12_GLOBAL__N_18offset_tEEE10hipError_tPvRmT1_PNSt15iterator_traitsISY_E10value_typeET2_T3_PNSZ_IS14_E10value_typeET4_jRbjT5_S1A_jjP12ihipStream_tbEUljE_EEESV_SW_SX_S14_S18_S1A_T6_T7_T9_mT8_S1C_bDpT10_ENKUlT_T0_E_clISt17integral_constantIbLb1EES1P_EEDaS1K_S1L_EUlS1K_E_NS1_11comp_targetILNS1_3genE0ELNS1_11target_archE4294967295ELNS1_3gpuE0ELNS1_3repE0EEENS1_30default_config_static_selectorELNS0_4arch9wavefront6targetE0EEEvSY_
                                        ; -- End function
	.set _ZN7rocprim17ROCPRIM_400000_NS6detail17trampoline_kernelINS0_13select_configILj256ELj13ELNS0_17block_load_methodE3ELS4_3ELS4_3ELNS0_20block_scan_algorithmE0ELj4294967295EEENS1_25partition_config_selectorILNS1_17partition_subalgoE3EjNS0_10empty_typeEbEEZZNS1_14partition_implILS8_3ELb0ES6_jNS0_17counting_iteratorIjlEEPS9_SE_NS0_5tupleIJPjSE_EEENSF_IJSE_SE_EEES9_SG_JZNS1_25segmented_radix_sort_implINS0_14default_configELb1EPKhPhPKlPlN2at6native12_GLOBAL__N_18offset_tEEE10hipError_tPvRmT1_PNSt15iterator_traitsISY_E10value_typeET2_T3_PNSZ_IS14_E10value_typeET4_jRbjT5_S1A_jjP12ihipStream_tbEUljE_EEESV_SW_SX_S14_S18_S1A_T6_T7_T9_mT8_S1C_bDpT10_ENKUlT_T0_E_clISt17integral_constantIbLb1EES1P_EEDaS1K_S1L_EUlS1K_E_NS1_11comp_targetILNS1_3genE0ELNS1_11target_archE4294967295ELNS1_3gpuE0ELNS1_3repE0EEENS1_30default_config_static_selectorELNS0_4arch9wavefront6targetE0EEEvSY_.num_vgpr, 0
	.set _ZN7rocprim17ROCPRIM_400000_NS6detail17trampoline_kernelINS0_13select_configILj256ELj13ELNS0_17block_load_methodE3ELS4_3ELS4_3ELNS0_20block_scan_algorithmE0ELj4294967295EEENS1_25partition_config_selectorILNS1_17partition_subalgoE3EjNS0_10empty_typeEbEEZZNS1_14partition_implILS8_3ELb0ES6_jNS0_17counting_iteratorIjlEEPS9_SE_NS0_5tupleIJPjSE_EEENSF_IJSE_SE_EEES9_SG_JZNS1_25segmented_radix_sort_implINS0_14default_configELb1EPKhPhPKlPlN2at6native12_GLOBAL__N_18offset_tEEE10hipError_tPvRmT1_PNSt15iterator_traitsISY_E10value_typeET2_T3_PNSZ_IS14_E10value_typeET4_jRbjT5_S1A_jjP12ihipStream_tbEUljE_EEESV_SW_SX_S14_S18_S1A_T6_T7_T9_mT8_S1C_bDpT10_ENKUlT_T0_E_clISt17integral_constantIbLb1EES1P_EEDaS1K_S1L_EUlS1K_E_NS1_11comp_targetILNS1_3genE0ELNS1_11target_archE4294967295ELNS1_3gpuE0ELNS1_3repE0EEENS1_30default_config_static_selectorELNS0_4arch9wavefront6targetE0EEEvSY_.num_agpr, 0
	.set _ZN7rocprim17ROCPRIM_400000_NS6detail17trampoline_kernelINS0_13select_configILj256ELj13ELNS0_17block_load_methodE3ELS4_3ELS4_3ELNS0_20block_scan_algorithmE0ELj4294967295EEENS1_25partition_config_selectorILNS1_17partition_subalgoE3EjNS0_10empty_typeEbEEZZNS1_14partition_implILS8_3ELb0ES6_jNS0_17counting_iteratorIjlEEPS9_SE_NS0_5tupleIJPjSE_EEENSF_IJSE_SE_EEES9_SG_JZNS1_25segmented_radix_sort_implINS0_14default_configELb1EPKhPhPKlPlN2at6native12_GLOBAL__N_18offset_tEEE10hipError_tPvRmT1_PNSt15iterator_traitsISY_E10value_typeET2_T3_PNSZ_IS14_E10value_typeET4_jRbjT5_S1A_jjP12ihipStream_tbEUljE_EEESV_SW_SX_S14_S18_S1A_T6_T7_T9_mT8_S1C_bDpT10_ENKUlT_T0_E_clISt17integral_constantIbLb1EES1P_EEDaS1K_S1L_EUlS1K_E_NS1_11comp_targetILNS1_3genE0ELNS1_11target_archE4294967295ELNS1_3gpuE0ELNS1_3repE0EEENS1_30default_config_static_selectorELNS0_4arch9wavefront6targetE0EEEvSY_.numbered_sgpr, 0
	.set _ZN7rocprim17ROCPRIM_400000_NS6detail17trampoline_kernelINS0_13select_configILj256ELj13ELNS0_17block_load_methodE3ELS4_3ELS4_3ELNS0_20block_scan_algorithmE0ELj4294967295EEENS1_25partition_config_selectorILNS1_17partition_subalgoE3EjNS0_10empty_typeEbEEZZNS1_14partition_implILS8_3ELb0ES6_jNS0_17counting_iteratorIjlEEPS9_SE_NS0_5tupleIJPjSE_EEENSF_IJSE_SE_EEES9_SG_JZNS1_25segmented_radix_sort_implINS0_14default_configELb1EPKhPhPKlPlN2at6native12_GLOBAL__N_18offset_tEEE10hipError_tPvRmT1_PNSt15iterator_traitsISY_E10value_typeET2_T3_PNSZ_IS14_E10value_typeET4_jRbjT5_S1A_jjP12ihipStream_tbEUljE_EEESV_SW_SX_S14_S18_S1A_T6_T7_T9_mT8_S1C_bDpT10_ENKUlT_T0_E_clISt17integral_constantIbLb1EES1P_EEDaS1K_S1L_EUlS1K_E_NS1_11comp_targetILNS1_3genE0ELNS1_11target_archE4294967295ELNS1_3gpuE0ELNS1_3repE0EEENS1_30default_config_static_selectorELNS0_4arch9wavefront6targetE0EEEvSY_.num_named_barrier, 0
	.set _ZN7rocprim17ROCPRIM_400000_NS6detail17trampoline_kernelINS0_13select_configILj256ELj13ELNS0_17block_load_methodE3ELS4_3ELS4_3ELNS0_20block_scan_algorithmE0ELj4294967295EEENS1_25partition_config_selectorILNS1_17partition_subalgoE3EjNS0_10empty_typeEbEEZZNS1_14partition_implILS8_3ELb0ES6_jNS0_17counting_iteratorIjlEEPS9_SE_NS0_5tupleIJPjSE_EEENSF_IJSE_SE_EEES9_SG_JZNS1_25segmented_radix_sort_implINS0_14default_configELb1EPKhPhPKlPlN2at6native12_GLOBAL__N_18offset_tEEE10hipError_tPvRmT1_PNSt15iterator_traitsISY_E10value_typeET2_T3_PNSZ_IS14_E10value_typeET4_jRbjT5_S1A_jjP12ihipStream_tbEUljE_EEESV_SW_SX_S14_S18_S1A_T6_T7_T9_mT8_S1C_bDpT10_ENKUlT_T0_E_clISt17integral_constantIbLb1EES1P_EEDaS1K_S1L_EUlS1K_E_NS1_11comp_targetILNS1_3genE0ELNS1_11target_archE4294967295ELNS1_3gpuE0ELNS1_3repE0EEENS1_30default_config_static_selectorELNS0_4arch9wavefront6targetE0EEEvSY_.private_seg_size, 0
	.set _ZN7rocprim17ROCPRIM_400000_NS6detail17trampoline_kernelINS0_13select_configILj256ELj13ELNS0_17block_load_methodE3ELS4_3ELS4_3ELNS0_20block_scan_algorithmE0ELj4294967295EEENS1_25partition_config_selectorILNS1_17partition_subalgoE3EjNS0_10empty_typeEbEEZZNS1_14partition_implILS8_3ELb0ES6_jNS0_17counting_iteratorIjlEEPS9_SE_NS0_5tupleIJPjSE_EEENSF_IJSE_SE_EEES9_SG_JZNS1_25segmented_radix_sort_implINS0_14default_configELb1EPKhPhPKlPlN2at6native12_GLOBAL__N_18offset_tEEE10hipError_tPvRmT1_PNSt15iterator_traitsISY_E10value_typeET2_T3_PNSZ_IS14_E10value_typeET4_jRbjT5_S1A_jjP12ihipStream_tbEUljE_EEESV_SW_SX_S14_S18_S1A_T6_T7_T9_mT8_S1C_bDpT10_ENKUlT_T0_E_clISt17integral_constantIbLb1EES1P_EEDaS1K_S1L_EUlS1K_E_NS1_11comp_targetILNS1_3genE0ELNS1_11target_archE4294967295ELNS1_3gpuE0ELNS1_3repE0EEENS1_30default_config_static_selectorELNS0_4arch9wavefront6targetE0EEEvSY_.uses_vcc, 0
	.set _ZN7rocprim17ROCPRIM_400000_NS6detail17trampoline_kernelINS0_13select_configILj256ELj13ELNS0_17block_load_methodE3ELS4_3ELS4_3ELNS0_20block_scan_algorithmE0ELj4294967295EEENS1_25partition_config_selectorILNS1_17partition_subalgoE3EjNS0_10empty_typeEbEEZZNS1_14partition_implILS8_3ELb0ES6_jNS0_17counting_iteratorIjlEEPS9_SE_NS0_5tupleIJPjSE_EEENSF_IJSE_SE_EEES9_SG_JZNS1_25segmented_radix_sort_implINS0_14default_configELb1EPKhPhPKlPlN2at6native12_GLOBAL__N_18offset_tEEE10hipError_tPvRmT1_PNSt15iterator_traitsISY_E10value_typeET2_T3_PNSZ_IS14_E10value_typeET4_jRbjT5_S1A_jjP12ihipStream_tbEUljE_EEESV_SW_SX_S14_S18_S1A_T6_T7_T9_mT8_S1C_bDpT10_ENKUlT_T0_E_clISt17integral_constantIbLb1EES1P_EEDaS1K_S1L_EUlS1K_E_NS1_11comp_targetILNS1_3genE0ELNS1_11target_archE4294967295ELNS1_3gpuE0ELNS1_3repE0EEENS1_30default_config_static_selectorELNS0_4arch9wavefront6targetE0EEEvSY_.uses_flat_scratch, 0
	.set _ZN7rocprim17ROCPRIM_400000_NS6detail17trampoline_kernelINS0_13select_configILj256ELj13ELNS0_17block_load_methodE3ELS4_3ELS4_3ELNS0_20block_scan_algorithmE0ELj4294967295EEENS1_25partition_config_selectorILNS1_17partition_subalgoE3EjNS0_10empty_typeEbEEZZNS1_14partition_implILS8_3ELb0ES6_jNS0_17counting_iteratorIjlEEPS9_SE_NS0_5tupleIJPjSE_EEENSF_IJSE_SE_EEES9_SG_JZNS1_25segmented_radix_sort_implINS0_14default_configELb1EPKhPhPKlPlN2at6native12_GLOBAL__N_18offset_tEEE10hipError_tPvRmT1_PNSt15iterator_traitsISY_E10value_typeET2_T3_PNSZ_IS14_E10value_typeET4_jRbjT5_S1A_jjP12ihipStream_tbEUljE_EEESV_SW_SX_S14_S18_S1A_T6_T7_T9_mT8_S1C_bDpT10_ENKUlT_T0_E_clISt17integral_constantIbLb1EES1P_EEDaS1K_S1L_EUlS1K_E_NS1_11comp_targetILNS1_3genE0ELNS1_11target_archE4294967295ELNS1_3gpuE0ELNS1_3repE0EEENS1_30default_config_static_selectorELNS0_4arch9wavefront6targetE0EEEvSY_.has_dyn_sized_stack, 0
	.set _ZN7rocprim17ROCPRIM_400000_NS6detail17trampoline_kernelINS0_13select_configILj256ELj13ELNS0_17block_load_methodE3ELS4_3ELS4_3ELNS0_20block_scan_algorithmE0ELj4294967295EEENS1_25partition_config_selectorILNS1_17partition_subalgoE3EjNS0_10empty_typeEbEEZZNS1_14partition_implILS8_3ELb0ES6_jNS0_17counting_iteratorIjlEEPS9_SE_NS0_5tupleIJPjSE_EEENSF_IJSE_SE_EEES9_SG_JZNS1_25segmented_radix_sort_implINS0_14default_configELb1EPKhPhPKlPlN2at6native12_GLOBAL__N_18offset_tEEE10hipError_tPvRmT1_PNSt15iterator_traitsISY_E10value_typeET2_T3_PNSZ_IS14_E10value_typeET4_jRbjT5_S1A_jjP12ihipStream_tbEUljE_EEESV_SW_SX_S14_S18_S1A_T6_T7_T9_mT8_S1C_bDpT10_ENKUlT_T0_E_clISt17integral_constantIbLb1EES1P_EEDaS1K_S1L_EUlS1K_E_NS1_11comp_targetILNS1_3genE0ELNS1_11target_archE4294967295ELNS1_3gpuE0ELNS1_3repE0EEENS1_30default_config_static_selectorELNS0_4arch9wavefront6targetE0EEEvSY_.has_recursion, 0
	.set _ZN7rocprim17ROCPRIM_400000_NS6detail17trampoline_kernelINS0_13select_configILj256ELj13ELNS0_17block_load_methodE3ELS4_3ELS4_3ELNS0_20block_scan_algorithmE0ELj4294967295EEENS1_25partition_config_selectorILNS1_17partition_subalgoE3EjNS0_10empty_typeEbEEZZNS1_14partition_implILS8_3ELb0ES6_jNS0_17counting_iteratorIjlEEPS9_SE_NS0_5tupleIJPjSE_EEENSF_IJSE_SE_EEES9_SG_JZNS1_25segmented_radix_sort_implINS0_14default_configELb1EPKhPhPKlPlN2at6native12_GLOBAL__N_18offset_tEEE10hipError_tPvRmT1_PNSt15iterator_traitsISY_E10value_typeET2_T3_PNSZ_IS14_E10value_typeET4_jRbjT5_S1A_jjP12ihipStream_tbEUljE_EEESV_SW_SX_S14_S18_S1A_T6_T7_T9_mT8_S1C_bDpT10_ENKUlT_T0_E_clISt17integral_constantIbLb1EES1P_EEDaS1K_S1L_EUlS1K_E_NS1_11comp_targetILNS1_3genE0ELNS1_11target_archE4294967295ELNS1_3gpuE0ELNS1_3repE0EEENS1_30default_config_static_selectorELNS0_4arch9wavefront6targetE0EEEvSY_.has_indirect_call, 0
	.section	.AMDGPU.csdata,"",@progbits
; Kernel info:
; codeLenInByte = 0
; TotalNumSgprs: 0
; NumVgprs: 0
; ScratchSize: 0
; MemoryBound: 0
; FloatMode: 240
; IeeeMode: 1
; LDSByteSize: 0 bytes/workgroup (compile time only)
; SGPRBlocks: 0
; VGPRBlocks: 0
; NumSGPRsForWavesPerEU: 1
; NumVGPRsForWavesPerEU: 1
; Occupancy: 16
; WaveLimiterHint : 0
; COMPUTE_PGM_RSRC2:SCRATCH_EN: 0
; COMPUTE_PGM_RSRC2:USER_SGPR: 6
; COMPUTE_PGM_RSRC2:TRAP_HANDLER: 0
; COMPUTE_PGM_RSRC2:TGID_X_EN: 1
; COMPUTE_PGM_RSRC2:TGID_Y_EN: 0
; COMPUTE_PGM_RSRC2:TGID_Z_EN: 0
; COMPUTE_PGM_RSRC2:TIDIG_COMP_CNT: 0
	.section	.text._ZN7rocprim17ROCPRIM_400000_NS6detail17trampoline_kernelINS0_13select_configILj256ELj13ELNS0_17block_load_methodE3ELS4_3ELS4_3ELNS0_20block_scan_algorithmE0ELj4294967295EEENS1_25partition_config_selectorILNS1_17partition_subalgoE3EjNS0_10empty_typeEbEEZZNS1_14partition_implILS8_3ELb0ES6_jNS0_17counting_iteratorIjlEEPS9_SE_NS0_5tupleIJPjSE_EEENSF_IJSE_SE_EEES9_SG_JZNS1_25segmented_radix_sort_implINS0_14default_configELb1EPKhPhPKlPlN2at6native12_GLOBAL__N_18offset_tEEE10hipError_tPvRmT1_PNSt15iterator_traitsISY_E10value_typeET2_T3_PNSZ_IS14_E10value_typeET4_jRbjT5_S1A_jjP12ihipStream_tbEUljE_EEESV_SW_SX_S14_S18_S1A_T6_T7_T9_mT8_S1C_bDpT10_ENKUlT_T0_E_clISt17integral_constantIbLb1EES1P_EEDaS1K_S1L_EUlS1K_E_NS1_11comp_targetILNS1_3genE5ELNS1_11target_archE942ELNS1_3gpuE9ELNS1_3repE0EEENS1_30default_config_static_selectorELNS0_4arch9wavefront6targetE0EEEvSY_,"axG",@progbits,_ZN7rocprim17ROCPRIM_400000_NS6detail17trampoline_kernelINS0_13select_configILj256ELj13ELNS0_17block_load_methodE3ELS4_3ELS4_3ELNS0_20block_scan_algorithmE0ELj4294967295EEENS1_25partition_config_selectorILNS1_17partition_subalgoE3EjNS0_10empty_typeEbEEZZNS1_14partition_implILS8_3ELb0ES6_jNS0_17counting_iteratorIjlEEPS9_SE_NS0_5tupleIJPjSE_EEENSF_IJSE_SE_EEES9_SG_JZNS1_25segmented_radix_sort_implINS0_14default_configELb1EPKhPhPKlPlN2at6native12_GLOBAL__N_18offset_tEEE10hipError_tPvRmT1_PNSt15iterator_traitsISY_E10value_typeET2_T3_PNSZ_IS14_E10value_typeET4_jRbjT5_S1A_jjP12ihipStream_tbEUljE_EEESV_SW_SX_S14_S18_S1A_T6_T7_T9_mT8_S1C_bDpT10_ENKUlT_T0_E_clISt17integral_constantIbLb1EES1P_EEDaS1K_S1L_EUlS1K_E_NS1_11comp_targetILNS1_3genE5ELNS1_11target_archE942ELNS1_3gpuE9ELNS1_3repE0EEENS1_30default_config_static_selectorELNS0_4arch9wavefront6targetE0EEEvSY_,comdat
	.globl	_ZN7rocprim17ROCPRIM_400000_NS6detail17trampoline_kernelINS0_13select_configILj256ELj13ELNS0_17block_load_methodE3ELS4_3ELS4_3ELNS0_20block_scan_algorithmE0ELj4294967295EEENS1_25partition_config_selectorILNS1_17partition_subalgoE3EjNS0_10empty_typeEbEEZZNS1_14partition_implILS8_3ELb0ES6_jNS0_17counting_iteratorIjlEEPS9_SE_NS0_5tupleIJPjSE_EEENSF_IJSE_SE_EEES9_SG_JZNS1_25segmented_radix_sort_implINS0_14default_configELb1EPKhPhPKlPlN2at6native12_GLOBAL__N_18offset_tEEE10hipError_tPvRmT1_PNSt15iterator_traitsISY_E10value_typeET2_T3_PNSZ_IS14_E10value_typeET4_jRbjT5_S1A_jjP12ihipStream_tbEUljE_EEESV_SW_SX_S14_S18_S1A_T6_T7_T9_mT8_S1C_bDpT10_ENKUlT_T0_E_clISt17integral_constantIbLb1EES1P_EEDaS1K_S1L_EUlS1K_E_NS1_11comp_targetILNS1_3genE5ELNS1_11target_archE942ELNS1_3gpuE9ELNS1_3repE0EEENS1_30default_config_static_selectorELNS0_4arch9wavefront6targetE0EEEvSY_ ; -- Begin function _ZN7rocprim17ROCPRIM_400000_NS6detail17trampoline_kernelINS0_13select_configILj256ELj13ELNS0_17block_load_methodE3ELS4_3ELS4_3ELNS0_20block_scan_algorithmE0ELj4294967295EEENS1_25partition_config_selectorILNS1_17partition_subalgoE3EjNS0_10empty_typeEbEEZZNS1_14partition_implILS8_3ELb0ES6_jNS0_17counting_iteratorIjlEEPS9_SE_NS0_5tupleIJPjSE_EEENSF_IJSE_SE_EEES9_SG_JZNS1_25segmented_radix_sort_implINS0_14default_configELb1EPKhPhPKlPlN2at6native12_GLOBAL__N_18offset_tEEE10hipError_tPvRmT1_PNSt15iterator_traitsISY_E10value_typeET2_T3_PNSZ_IS14_E10value_typeET4_jRbjT5_S1A_jjP12ihipStream_tbEUljE_EEESV_SW_SX_S14_S18_S1A_T6_T7_T9_mT8_S1C_bDpT10_ENKUlT_T0_E_clISt17integral_constantIbLb1EES1P_EEDaS1K_S1L_EUlS1K_E_NS1_11comp_targetILNS1_3genE5ELNS1_11target_archE942ELNS1_3gpuE9ELNS1_3repE0EEENS1_30default_config_static_selectorELNS0_4arch9wavefront6targetE0EEEvSY_
	.p2align	8
	.type	_ZN7rocprim17ROCPRIM_400000_NS6detail17trampoline_kernelINS0_13select_configILj256ELj13ELNS0_17block_load_methodE3ELS4_3ELS4_3ELNS0_20block_scan_algorithmE0ELj4294967295EEENS1_25partition_config_selectorILNS1_17partition_subalgoE3EjNS0_10empty_typeEbEEZZNS1_14partition_implILS8_3ELb0ES6_jNS0_17counting_iteratorIjlEEPS9_SE_NS0_5tupleIJPjSE_EEENSF_IJSE_SE_EEES9_SG_JZNS1_25segmented_radix_sort_implINS0_14default_configELb1EPKhPhPKlPlN2at6native12_GLOBAL__N_18offset_tEEE10hipError_tPvRmT1_PNSt15iterator_traitsISY_E10value_typeET2_T3_PNSZ_IS14_E10value_typeET4_jRbjT5_S1A_jjP12ihipStream_tbEUljE_EEESV_SW_SX_S14_S18_S1A_T6_T7_T9_mT8_S1C_bDpT10_ENKUlT_T0_E_clISt17integral_constantIbLb1EES1P_EEDaS1K_S1L_EUlS1K_E_NS1_11comp_targetILNS1_3genE5ELNS1_11target_archE942ELNS1_3gpuE9ELNS1_3repE0EEENS1_30default_config_static_selectorELNS0_4arch9wavefront6targetE0EEEvSY_,@function
_ZN7rocprim17ROCPRIM_400000_NS6detail17trampoline_kernelINS0_13select_configILj256ELj13ELNS0_17block_load_methodE3ELS4_3ELS4_3ELNS0_20block_scan_algorithmE0ELj4294967295EEENS1_25partition_config_selectorILNS1_17partition_subalgoE3EjNS0_10empty_typeEbEEZZNS1_14partition_implILS8_3ELb0ES6_jNS0_17counting_iteratorIjlEEPS9_SE_NS0_5tupleIJPjSE_EEENSF_IJSE_SE_EEES9_SG_JZNS1_25segmented_radix_sort_implINS0_14default_configELb1EPKhPhPKlPlN2at6native12_GLOBAL__N_18offset_tEEE10hipError_tPvRmT1_PNSt15iterator_traitsISY_E10value_typeET2_T3_PNSZ_IS14_E10value_typeET4_jRbjT5_S1A_jjP12ihipStream_tbEUljE_EEESV_SW_SX_S14_S18_S1A_T6_T7_T9_mT8_S1C_bDpT10_ENKUlT_T0_E_clISt17integral_constantIbLb1EES1P_EEDaS1K_S1L_EUlS1K_E_NS1_11comp_targetILNS1_3genE5ELNS1_11target_archE942ELNS1_3gpuE9ELNS1_3repE0EEENS1_30default_config_static_selectorELNS0_4arch9wavefront6targetE0EEEvSY_: ; @_ZN7rocprim17ROCPRIM_400000_NS6detail17trampoline_kernelINS0_13select_configILj256ELj13ELNS0_17block_load_methodE3ELS4_3ELS4_3ELNS0_20block_scan_algorithmE0ELj4294967295EEENS1_25partition_config_selectorILNS1_17partition_subalgoE3EjNS0_10empty_typeEbEEZZNS1_14partition_implILS8_3ELb0ES6_jNS0_17counting_iteratorIjlEEPS9_SE_NS0_5tupleIJPjSE_EEENSF_IJSE_SE_EEES9_SG_JZNS1_25segmented_radix_sort_implINS0_14default_configELb1EPKhPhPKlPlN2at6native12_GLOBAL__N_18offset_tEEE10hipError_tPvRmT1_PNSt15iterator_traitsISY_E10value_typeET2_T3_PNSZ_IS14_E10value_typeET4_jRbjT5_S1A_jjP12ihipStream_tbEUljE_EEESV_SW_SX_S14_S18_S1A_T6_T7_T9_mT8_S1C_bDpT10_ENKUlT_T0_E_clISt17integral_constantIbLb1EES1P_EEDaS1K_S1L_EUlS1K_E_NS1_11comp_targetILNS1_3genE5ELNS1_11target_archE942ELNS1_3gpuE9ELNS1_3repE0EEENS1_30default_config_static_selectorELNS0_4arch9wavefront6targetE0EEEvSY_
; %bb.0:
	.section	.rodata,"a",@progbits
	.p2align	6, 0x0
	.amdhsa_kernel _ZN7rocprim17ROCPRIM_400000_NS6detail17trampoline_kernelINS0_13select_configILj256ELj13ELNS0_17block_load_methodE3ELS4_3ELS4_3ELNS0_20block_scan_algorithmE0ELj4294967295EEENS1_25partition_config_selectorILNS1_17partition_subalgoE3EjNS0_10empty_typeEbEEZZNS1_14partition_implILS8_3ELb0ES6_jNS0_17counting_iteratorIjlEEPS9_SE_NS0_5tupleIJPjSE_EEENSF_IJSE_SE_EEES9_SG_JZNS1_25segmented_radix_sort_implINS0_14default_configELb1EPKhPhPKlPlN2at6native12_GLOBAL__N_18offset_tEEE10hipError_tPvRmT1_PNSt15iterator_traitsISY_E10value_typeET2_T3_PNSZ_IS14_E10value_typeET4_jRbjT5_S1A_jjP12ihipStream_tbEUljE_EEESV_SW_SX_S14_S18_S1A_T6_T7_T9_mT8_S1C_bDpT10_ENKUlT_T0_E_clISt17integral_constantIbLb1EES1P_EEDaS1K_S1L_EUlS1K_E_NS1_11comp_targetILNS1_3genE5ELNS1_11target_archE942ELNS1_3gpuE9ELNS1_3repE0EEENS1_30default_config_static_selectorELNS0_4arch9wavefront6targetE0EEEvSY_
		.amdhsa_group_segment_fixed_size 0
		.amdhsa_private_segment_fixed_size 0
		.amdhsa_kernarg_size 152
		.amdhsa_user_sgpr_count 6
		.amdhsa_user_sgpr_private_segment_buffer 1
		.amdhsa_user_sgpr_dispatch_ptr 0
		.amdhsa_user_sgpr_queue_ptr 0
		.amdhsa_user_sgpr_kernarg_segment_ptr 1
		.amdhsa_user_sgpr_dispatch_id 0
		.amdhsa_user_sgpr_flat_scratch_init 0
		.amdhsa_user_sgpr_private_segment_size 0
		.amdhsa_wavefront_size32 1
		.amdhsa_uses_dynamic_stack 0
		.amdhsa_system_sgpr_private_segment_wavefront_offset 0
		.amdhsa_system_sgpr_workgroup_id_x 1
		.amdhsa_system_sgpr_workgroup_id_y 0
		.amdhsa_system_sgpr_workgroup_id_z 0
		.amdhsa_system_sgpr_workgroup_info 0
		.amdhsa_system_vgpr_workitem_id 0
		.amdhsa_next_free_vgpr 1
		.amdhsa_next_free_sgpr 1
		.amdhsa_reserve_vcc 0
		.amdhsa_reserve_flat_scratch 0
		.amdhsa_float_round_mode_32 0
		.amdhsa_float_round_mode_16_64 0
		.amdhsa_float_denorm_mode_32 3
		.amdhsa_float_denorm_mode_16_64 3
		.amdhsa_dx10_clamp 1
		.amdhsa_ieee_mode 1
		.amdhsa_fp16_overflow 0
		.amdhsa_workgroup_processor_mode 1
		.amdhsa_memory_ordered 1
		.amdhsa_forward_progress 1
		.amdhsa_shared_vgpr_count 0
		.amdhsa_exception_fp_ieee_invalid_op 0
		.amdhsa_exception_fp_denorm_src 0
		.amdhsa_exception_fp_ieee_div_zero 0
		.amdhsa_exception_fp_ieee_overflow 0
		.amdhsa_exception_fp_ieee_underflow 0
		.amdhsa_exception_fp_ieee_inexact 0
		.amdhsa_exception_int_div_zero 0
	.end_amdhsa_kernel
	.section	.text._ZN7rocprim17ROCPRIM_400000_NS6detail17trampoline_kernelINS0_13select_configILj256ELj13ELNS0_17block_load_methodE3ELS4_3ELS4_3ELNS0_20block_scan_algorithmE0ELj4294967295EEENS1_25partition_config_selectorILNS1_17partition_subalgoE3EjNS0_10empty_typeEbEEZZNS1_14partition_implILS8_3ELb0ES6_jNS0_17counting_iteratorIjlEEPS9_SE_NS0_5tupleIJPjSE_EEENSF_IJSE_SE_EEES9_SG_JZNS1_25segmented_radix_sort_implINS0_14default_configELb1EPKhPhPKlPlN2at6native12_GLOBAL__N_18offset_tEEE10hipError_tPvRmT1_PNSt15iterator_traitsISY_E10value_typeET2_T3_PNSZ_IS14_E10value_typeET4_jRbjT5_S1A_jjP12ihipStream_tbEUljE_EEESV_SW_SX_S14_S18_S1A_T6_T7_T9_mT8_S1C_bDpT10_ENKUlT_T0_E_clISt17integral_constantIbLb1EES1P_EEDaS1K_S1L_EUlS1K_E_NS1_11comp_targetILNS1_3genE5ELNS1_11target_archE942ELNS1_3gpuE9ELNS1_3repE0EEENS1_30default_config_static_selectorELNS0_4arch9wavefront6targetE0EEEvSY_,"axG",@progbits,_ZN7rocprim17ROCPRIM_400000_NS6detail17trampoline_kernelINS0_13select_configILj256ELj13ELNS0_17block_load_methodE3ELS4_3ELS4_3ELNS0_20block_scan_algorithmE0ELj4294967295EEENS1_25partition_config_selectorILNS1_17partition_subalgoE3EjNS0_10empty_typeEbEEZZNS1_14partition_implILS8_3ELb0ES6_jNS0_17counting_iteratorIjlEEPS9_SE_NS0_5tupleIJPjSE_EEENSF_IJSE_SE_EEES9_SG_JZNS1_25segmented_radix_sort_implINS0_14default_configELb1EPKhPhPKlPlN2at6native12_GLOBAL__N_18offset_tEEE10hipError_tPvRmT1_PNSt15iterator_traitsISY_E10value_typeET2_T3_PNSZ_IS14_E10value_typeET4_jRbjT5_S1A_jjP12ihipStream_tbEUljE_EEESV_SW_SX_S14_S18_S1A_T6_T7_T9_mT8_S1C_bDpT10_ENKUlT_T0_E_clISt17integral_constantIbLb1EES1P_EEDaS1K_S1L_EUlS1K_E_NS1_11comp_targetILNS1_3genE5ELNS1_11target_archE942ELNS1_3gpuE9ELNS1_3repE0EEENS1_30default_config_static_selectorELNS0_4arch9wavefront6targetE0EEEvSY_,comdat
.Lfunc_end58:
	.size	_ZN7rocprim17ROCPRIM_400000_NS6detail17trampoline_kernelINS0_13select_configILj256ELj13ELNS0_17block_load_methodE3ELS4_3ELS4_3ELNS0_20block_scan_algorithmE0ELj4294967295EEENS1_25partition_config_selectorILNS1_17partition_subalgoE3EjNS0_10empty_typeEbEEZZNS1_14partition_implILS8_3ELb0ES6_jNS0_17counting_iteratorIjlEEPS9_SE_NS0_5tupleIJPjSE_EEENSF_IJSE_SE_EEES9_SG_JZNS1_25segmented_radix_sort_implINS0_14default_configELb1EPKhPhPKlPlN2at6native12_GLOBAL__N_18offset_tEEE10hipError_tPvRmT1_PNSt15iterator_traitsISY_E10value_typeET2_T3_PNSZ_IS14_E10value_typeET4_jRbjT5_S1A_jjP12ihipStream_tbEUljE_EEESV_SW_SX_S14_S18_S1A_T6_T7_T9_mT8_S1C_bDpT10_ENKUlT_T0_E_clISt17integral_constantIbLb1EES1P_EEDaS1K_S1L_EUlS1K_E_NS1_11comp_targetILNS1_3genE5ELNS1_11target_archE942ELNS1_3gpuE9ELNS1_3repE0EEENS1_30default_config_static_selectorELNS0_4arch9wavefront6targetE0EEEvSY_, .Lfunc_end58-_ZN7rocprim17ROCPRIM_400000_NS6detail17trampoline_kernelINS0_13select_configILj256ELj13ELNS0_17block_load_methodE3ELS4_3ELS4_3ELNS0_20block_scan_algorithmE0ELj4294967295EEENS1_25partition_config_selectorILNS1_17partition_subalgoE3EjNS0_10empty_typeEbEEZZNS1_14partition_implILS8_3ELb0ES6_jNS0_17counting_iteratorIjlEEPS9_SE_NS0_5tupleIJPjSE_EEENSF_IJSE_SE_EEES9_SG_JZNS1_25segmented_radix_sort_implINS0_14default_configELb1EPKhPhPKlPlN2at6native12_GLOBAL__N_18offset_tEEE10hipError_tPvRmT1_PNSt15iterator_traitsISY_E10value_typeET2_T3_PNSZ_IS14_E10value_typeET4_jRbjT5_S1A_jjP12ihipStream_tbEUljE_EEESV_SW_SX_S14_S18_S1A_T6_T7_T9_mT8_S1C_bDpT10_ENKUlT_T0_E_clISt17integral_constantIbLb1EES1P_EEDaS1K_S1L_EUlS1K_E_NS1_11comp_targetILNS1_3genE5ELNS1_11target_archE942ELNS1_3gpuE9ELNS1_3repE0EEENS1_30default_config_static_selectorELNS0_4arch9wavefront6targetE0EEEvSY_
                                        ; -- End function
	.set _ZN7rocprim17ROCPRIM_400000_NS6detail17trampoline_kernelINS0_13select_configILj256ELj13ELNS0_17block_load_methodE3ELS4_3ELS4_3ELNS0_20block_scan_algorithmE0ELj4294967295EEENS1_25partition_config_selectorILNS1_17partition_subalgoE3EjNS0_10empty_typeEbEEZZNS1_14partition_implILS8_3ELb0ES6_jNS0_17counting_iteratorIjlEEPS9_SE_NS0_5tupleIJPjSE_EEENSF_IJSE_SE_EEES9_SG_JZNS1_25segmented_radix_sort_implINS0_14default_configELb1EPKhPhPKlPlN2at6native12_GLOBAL__N_18offset_tEEE10hipError_tPvRmT1_PNSt15iterator_traitsISY_E10value_typeET2_T3_PNSZ_IS14_E10value_typeET4_jRbjT5_S1A_jjP12ihipStream_tbEUljE_EEESV_SW_SX_S14_S18_S1A_T6_T7_T9_mT8_S1C_bDpT10_ENKUlT_T0_E_clISt17integral_constantIbLb1EES1P_EEDaS1K_S1L_EUlS1K_E_NS1_11comp_targetILNS1_3genE5ELNS1_11target_archE942ELNS1_3gpuE9ELNS1_3repE0EEENS1_30default_config_static_selectorELNS0_4arch9wavefront6targetE0EEEvSY_.num_vgpr, 0
	.set _ZN7rocprim17ROCPRIM_400000_NS6detail17trampoline_kernelINS0_13select_configILj256ELj13ELNS0_17block_load_methodE3ELS4_3ELS4_3ELNS0_20block_scan_algorithmE0ELj4294967295EEENS1_25partition_config_selectorILNS1_17partition_subalgoE3EjNS0_10empty_typeEbEEZZNS1_14partition_implILS8_3ELb0ES6_jNS0_17counting_iteratorIjlEEPS9_SE_NS0_5tupleIJPjSE_EEENSF_IJSE_SE_EEES9_SG_JZNS1_25segmented_radix_sort_implINS0_14default_configELb1EPKhPhPKlPlN2at6native12_GLOBAL__N_18offset_tEEE10hipError_tPvRmT1_PNSt15iterator_traitsISY_E10value_typeET2_T3_PNSZ_IS14_E10value_typeET4_jRbjT5_S1A_jjP12ihipStream_tbEUljE_EEESV_SW_SX_S14_S18_S1A_T6_T7_T9_mT8_S1C_bDpT10_ENKUlT_T0_E_clISt17integral_constantIbLb1EES1P_EEDaS1K_S1L_EUlS1K_E_NS1_11comp_targetILNS1_3genE5ELNS1_11target_archE942ELNS1_3gpuE9ELNS1_3repE0EEENS1_30default_config_static_selectorELNS0_4arch9wavefront6targetE0EEEvSY_.num_agpr, 0
	.set _ZN7rocprim17ROCPRIM_400000_NS6detail17trampoline_kernelINS0_13select_configILj256ELj13ELNS0_17block_load_methodE3ELS4_3ELS4_3ELNS0_20block_scan_algorithmE0ELj4294967295EEENS1_25partition_config_selectorILNS1_17partition_subalgoE3EjNS0_10empty_typeEbEEZZNS1_14partition_implILS8_3ELb0ES6_jNS0_17counting_iteratorIjlEEPS9_SE_NS0_5tupleIJPjSE_EEENSF_IJSE_SE_EEES9_SG_JZNS1_25segmented_radix_sort_implINS0_14default_configELb1EPKhPhPKlPlN2at6native12_GLOBAL__N_18offset_tEEE10hipError_tPvRmT1_PNSt15iterator_traitsISY_E10value_typeET2_T3_PNSZ_IS14_E10value_typeET4_jRbjT5_S1A_jjP12ihipStream_tbEUljE_EEESV_SW_SX_S14_S18_S1A_T6_T7_T9_mT8_S1C_bDpT10_ENKUlT_T0_E_clISt17integral_constantIbLb1EES1P_EEDaS1K_S1L_EUlS1K_E_NS1_11comp_targetILNS1_3genE5ELNS1_11target_archE942ELNS1_3gpuE9ELNS1_3repE0EEENS1_30default_config_static_selectorELNS0_4arch9wavefront6targetE0EEEvSY_.numbered_sgpr, 0
	.set _ZN7rocprim17ROCPRIM_400000_NS6detail17trampoline_kernelINS0_13select_configILj256ELj13ELNS0_17block_load_methodE3ELS4_3ELS4_3ELNS0_20block_scan_algorithmE0ELj4294967295EEENS1_25partition_config_selectorILNS1_17partition_subalgoE3EjNS0_10empty_typeEbEEZZNS1_14partition_implILS8_3ELb0ES6_jNS0_17counting_iteratorIjlEEPS9_SE_NS0_5tupleIJPjSE_EEENSF_IJSE_SE_EEES9_SG_JZNS1_25segmented_radix_sort_implINS0_14default_configELb1EPKhPhPKlPlN2at6native12_GLOBAL__N_18offset_tEEE10hipError_tPvRmT1_PNSt15iterator_traitsISY_E10value_typeET2_T3_PNSZ_IS14_E10value_typeET4_jRbjT5_S1A_jjP12ihipStream_tbEUljE_EEESV_SW_SX_S14_S18_S1A_T6_T7_T9_mT8_S1C_bDpT10_ENKUlT_T0_E_clISt17integral_constantIbLb1EES1P_EEDaS1K_S1L_EUlS1K_E_NS1_11comp_targetILNS1_3genE5ELNS1_11target_archE942ELNS1_3gpuE9ELNS1_3repE0EEENS1_30default_config_static_selectorELNS0_4arch9wavefront6targetE0EEEvSY_.num_named_barrier, 0
	.set _ZN7rocprim17ROCPRIM_400000_NS6detail17trampoline_kernelINS0_13select_configILj256ELj13ELNS0_17block_load_methodE3ELS4_3ELS4_3ELNS0_20block_scan_algorithmE0ELj4294967295EEENS1_25partition_config_selectorILNS1_17partition_subalgoE3EjNS0_10empty_typeEbEEZZNS1_14partition_implILS8_3ELb0ES6_jNS0_17counting_iteratorIjlEEPS9_SE_NS0_5tupleIJPjSE_EEENSF_IJSE_SE_EEES9_SG_JZNS1_25segmented_radix_sort_implINS0_14default_configELb1EPKhPhPKlPlN2at6native12_GLOBAL__N_18offset_tEEE10hipError_tPvRmT1_PNSt15iterator_traitsISY_E10value_typeET2_T3_PNSZ_IS14_E10value_typeET4_jRbjT5_S1A_jjP12ihipStream_tbEUljE_EEESV_SW_SX_S14_S18_S1A_T6_T7_T9_mT8_S1C_bDpT10_ENKUlT_T0_E_clISt17integral_constantIbLb1EES1P_EEDaS1K_S1L_EUlS1K_E_NS1_11comp_targetILNS1_3genE5ELNS1_11target_archE942ELNS1_3gpuE9ELNS1_3repE0EEENS1_30default_config_static_selectorELNS0_4arch9wavefront6targetE0EEEvSY_.private_seg_size, 0
	.set _ZN7rocprim17ROCPRIM_400000_NS6detail17trampoline_kernelINS0_13select_configILj256ELj13ELNS0_17block_load_methodE3ELS4_3ELS4_3ELNS0_20block_scan_algorithmE0ELj4294967295EEENS1_25partition_config_selectorILNS1_17partition_subalgoE3EjNS0_10empty_typeEbEEZZNS1_14partition_implILS8_3ELb0ES6_jNS0_17counting_iteratorIjlEEPS9_SE_NS0_5tupleIJPjSE_EEENSF_IJSE_SE_EEES9_SG_JZNS1_25segmented_radix_sort_implINS0_14default_configELb1EPKhPhPKlPlN2at6native12_GLOBAL__N_18offset_tEEE10hipError_tPvRmT1_PNSt15iterator_traitsISY_E10value_typeET2_T3_PNSZ_IS14_E10value_typeET4_jRbjT5_S1A_jjP12ihipStream_tbEUljE_EEESV_SW_SX_S14_S18_S1A_T6_T7_T9_mT8_S1C_bDpT10_ENKUlT_T0_E_clISt17integral_constantIbLb1EES1P_EEDaS1K_S1L_EUlS1K_E_NS1_11comp_targetILNS1_3genE5ELNS1_11target_archE942ELNS1_3gpuE9ELNS1_3repE0EEENS1_30default_config_static_selectorELNS0_4arch9wavefront6targetE0EEEvSY_.uses_vcc, 0
	.set _ZN7rocprim17ROCPRIM_400000_NS6detail17trampoline_kernelINS0_13select_configILj256ELj13ELNS0_17block_load_methodE3ELS4_3ELS4_3ELNS0_20block_scan_algorithmE0ELj4294967295EEENS1_25partition_config_selectorILNS1_17partition_subalgoE3EjNS0_10empty_typeEbEEZZNS1_14partition_implILS8_3ELb0ES6_jNS0_17counting_iteratorIjlEEPS9_SE_NS0_5tupleIJPjSE_EEENSF_IJSE_SE_EEES9_SG_JZNS1_25segmented_radix_sort_implINS0_14default_configELb1EPKhPhPKlPlN2at6native12_GLOBAL__N_18offset_tEEE10hipError_tPvRmT1_PNSt15iterator_traitsISY_E10value_typeET2_T3_PNSZ_IS14_E10value_typeET4_jRbjT5_S1A_jjP12ihipStream_tbEUljE_EEESV_SW_SX_S14_S18_S1A_T6_T7_T9_mT8_S1C_bDpT10_ENKUlT_T0_E_clISt17integral_constantIbLb1EES1P_EEDaS1K_S1L_EUlS1K_E_NS1_11comp_targetILNS1_3genE5ELNS1_11target_archE942ELNS1_3gpuE9ELNS1_3repE0EEENS1_30default_config_static_selectorELNS0_4arch9wavefront6targetE0EEEvSY_.uses_flat_scratch, 0
	.set _ZN7rocprim17ROCPRIM_400000_NS6detail17trampoline_kernelINS0_13select_configILj256ELj13ELNS0_17block_load_methodE3ELS4_3ELS4_3ELNS0_20block_scan_algorithmE0ELj4294967295EEENS1_25partition_config_selectorILNS1_17partition_subalgoE3EjNS0_10empty_typeEbEEZZNS1_14partition_implILS8_3ELb0ES6_jNS0_17counting_iteratorIjlEEPS9_SE_NS0_5tupleIJPjSE_EEENSF_IJSE_SE_EEES9_SG_JZNS1_25segmented_radix_sort_implINS0_14default_configELb1EPKhPhPKlPlN2at6native12_GLOBAL__N_18offset_tEEE10hipError_tPvRmT1_PNSt15iterator_traitsISY_E10value_typeET2_T3_PNSZ_IS14_E10value_typeET4_jRbjT5_S1A_jjP12ihipStream_tbEUljE_EEESV_SW_SX_S14_S18_S1A_T6_T7_T9_mT8_S1C_bDpT10_ENKUlT_T0_E_clISt17integral_constantIbLb1EES1P_EEDaS1K_S1L_EUlS1K_E_NS1_11comp_targetILNS1_3genE5ELNS1_11target_archE942ELNS1_3gpuE9ELNS1_3repE0EEENS1_30default_config_static_selectorELNS0_4arch9wavefront6targetE0EEEvSY_.has_dyn_sized_stack, 0
	.set _ZN7rocprim17ROCPRIM_400000_NS6detail17trampoline_kernelINS0_13select_configILj256ELj13ELNS0_17block_load_methodE3ELS4_3ELS4_3ELNS0_20block_scan_algorithmE0ELj4294967295EEENS1_25partition_config_selectorILNS1_17partition_subalgoE3EjNS0_10empty_typeEbEEZZNS1_14partition_implILS8_3ELb0ES6_jNS0_17counting_iteratorIjlEEPS9_SE_NS0_5tupleIJPjSE_EEENSF_IJSE_SE_EEES9_SG_JZNS1_25segmented_radix_sort_implINS0_14default_configELb1EPKhPhPKlPlN2at6native12_GLOBAL__N_18offset_tEEE10hipError_tPvRmT1_PNSt15iterator_traitsISY_E10value_typeET2_T3_PNSZ_IS14_E10value_typeET4_jRbjT5_S1A_jjP12ihipStream_tbEUljE_EEESV_SW_SX_S14_S18_S1A_T6_T7_T9_mT8_S1C_bDpT10_ENKUlT_T0_E_clISt17integral_constantIbLb1EES1P_EEDaS1K_S1L_EUlS1K_E_NS1_11comp_targetILNS1_3genE5ELNS1_11target_archE942ELNS1_3gpuE9ELNS1_3repE0EEENS1_30default_config_static_selectorELNS0_4arch9wavefront6targetE0EEEvSY_.has_recursion, 0
	.set _ZN7rocprim17ROCPRIM_400000_NS6detail17trampoline_kernelINS0_13select_configILj256ELj13ELNS0_17block_load_methodE3ELS4_3ELS4_3ELNS0_20block_scan_algorithmE0ELj4294967295EEENS1_25partition_config_selectorILNS1_17partition_subalgoE3EjNS0_10empty_typeEbEEZZNS1_14partition_implILS8_3ELb0ES6_jNS0_17counting_iteratorIjlEEPS9_SE_NS0_5tupleIJPjSE_EEENSF_IJSE_SE_EEES9_SG_JZNS1_25segmented_radix_sort_implINS0_14default_configELb1EPKhPhPKlPlN2at6native12_GLOBAL__N_18offset_tEEE10hipError_tPvRmT1_PNSt15iterator_traitsISY_E10value_typeET2_T3_PNSZ_IS14_E10value_typeET4_jRbjT5_S1A_jjP12ihipStream_tbEUljE_EEESV_SW_SX_S14_S18_S1A_T6_T7_T9_mT8_S1C_bDpT10_ENKUlT_T0_E_clISt17integral_constantIbLb1EES1P_EEDaS1K_S1L_EUlS1K_E_NS1_11comp_targetILNS1_3genE5ELNS1_11target_archE942ELNS1_3gpuE9ELNS1_3repE0EEENS1_30default_config_static_selectorELNS0_4arch9wavefront6targetE0EEEvSY_.has_indirect_call, 0
	.section	.AMDGPU.csdata,"",@progbits
; Kernel info:
; codeLenInByte = 0
; TotalNumSgprs: 0
; NumVgprs: 0
; ScratchSize: 0
; MemoryBound: 0
; FloatMode: 240
; IeeeMode: 1
; LDSByteSize: 0 bytes/workgroup (compile time only)
; SGPRBlocks: 0
; VGPRBlocks: 0
; NumSGPRsForWavesPerEU: 1
; NumVGPRsForWavesPerEU: 1
; Occupancy: 16
; WaveLimiterHint : 0
; COMPUTE_PGM_RSRC2:SCRATCH_EN: 0
; COMPUTE_PGM_RSRC2:USER_SGPR: 6
; COMPUTE_PGM_RSRC2:TRAP_HANDLER: 0
; COMPUTE_PGM_RSRC2:TGID_X_EN: 1
; COMPUTE_PGM_RSRC2:TGID_Y_EN: 0
; COMPUTE_PGM_RSRC2:TGID_Z_EN: 0
; COMPUTE_PGM_RSRC2:TIDIG_COMP_CNT: 0
	.section	.text._ZN7rocprim17ROCPRIM_400000_NS6detail17trampoline_kernelINS0_13select_configILj256ELj13ELNS0_17block_load_methodE3ELS4_3ELS4_3ELNS0_20block_scan_algorithmE0ELj4294967295EEENS1_25partition_config_selectorILNS1_17partition_subalgoE3EjNS0_10empty_typeEbEEZZNS1_14partition_implILS8_3ELb0ES6_jNS0_17counting_iteratorIjlEEPS9_SE_NS0_5tupleIJPjSE_EEENSF_IJSE_SE_EEES9_SG_JZNS1_25segmented_radix_sort_implINS0_14default_configELb1EPKhPhPKlPlN2at6native12_GLOBAL__N_18offset_tEEE10hipError_tPvRmT1_PNSt15iterator_traitsISY_E10value_typeET2_T3_PNSZ_IS14_E10value_typeET4_jRbjT5_S1A_jjP12ihipStream_tbEUljE_EEESV_SW_SX_S14_S18_S1A_T6_T7_T9_mT8_S1C_bDpT10_ENKUlT_T0_E_clISt17integral_constantIbLb1EES1P_EEDaS1K_S1L_EUlS1K_E_NS1_11comp_targetILNS1_3genE4ELNS1_11target_archE910ELNS1_3gpuE8ELNS1_3repE0EEENS1_30default_config_static_selectorELNS0_4arch9wavefront6targetE0EEEvSY_,"axG",@progbits,_ZN7rocprim17ROCPRIM_400000_NS6detail17trampoline_kernelINS0_13select_configILj256ELj13ELNS0_17block_load_methodE3ELS4_3ELS4_3ELNS0_20block_scan_algorithmE0ELj4294967295EEENS1_25partition_config_selectorILNS1_17partition_subalgoE3EjNS0_10empty_typeEbEEZZNS1_14partition_implILS8_3ELb0ES6_jNS0_17counting_iteratorIjlEEPS9_SE_NS0_5tupleIJPjSE_EEENSF_IJSE_SE_EEES9_SG_JZNS1_25segmented_radix_sort_implINS0_14default_configELb1EPKhPhPKlPlN2at6native12_GLOBAL__N_18offset_tEEE10hipError_tPvRmT1_PNSt15iterator_traitsISY_E10value_typeET2_T3_PNSZ_IS14_E10value_typeET4_jRbjT5_S1A_jjP12ihipStream_tbEUljE_EEESV_SW_SX_S14_S18_S1A_T6_T7_T9_mT8_S1C_bDpT10_ENKUlT_T0_E_clISt17integral_constantIbLb1EES1P_EEDaS1K_S1L_EUlS1K_E_NS1_11comp_targetILNS1_3genE4ELNS1_11target_archE910ELNS1_3gpuE8ELNS1_3repE0EEENS1_30default_config_static_selectorELNS0_4arch9wavefront6targetE0EEEvSY_,comdat
	.globl	_ZN7rocprim17ROCPRIM_400000_NS6detail17trampoline_kernelINS0_13select_configILj256ELj13ELNS0_17block_load_methodE3ELS4_3ELS4_3ELNS0_20block_scan_algorithmE0ELj4294967295EEENS1_25partition_config_selectorILNS1_17partition_subalgoE3EjNS0_10empty_typeEbEEZZNS1_14partition_implILS8_3ELb0ES6_jNS0_17counting_iteratorIjlEEPS9_SE_NS0_5tupleIJPjSE_EEENSF_IJSE_SE_EEES9_SG_JZNS1_25segmented_radix_sort_implINS0_14default_configELb1EPKhPhPKlPlN2at6native12_GLOBAL__N_18offset_tEEE10hipError_tPvRmT1_PNSt15iterator_traitsISY_E10value_typeET2_T3_PNSZ_IS14_E10value_typeET4_jRbjT5_S1A_jjP12ihipStream_tbEUljE_EEESV_SW_SX_S14_S18_S1A_T6_T7_T9_mT8_S1C_bDpT10_ENKUlT_T0_E_clISt17integral_constantIbLb1EES1P_EEDaS1K_S1L_EUlS1K_E_NS1_11comp_targetILNS1_3genE4ELNS1_11target_archE910ELNS1_3gpuE8ELNS1_3repE0EEENS1_30default_config_static_selectorELNS0_4arch9wavefront6targetE0EEEvSY_ ; -- Begin function _ZN7rocprim17ROCPRIM_400000_NS6detail17trampoline_kernelINS0_13select_configILj256ELj13ELNS0_17block_load_methodE3ELS4_3ELS4_3ELNS0_20block_scan_algorithmE0ELj4294967295EEENS1_25partition_config_selectorILNS1_17partition_subalgoE3EjNS0_10empty_typeEbEEZZNS1_14partition_implILS8_3ELb0ES6_jNS0_17counting_iteratorIjlEEPS9_SE_NS0_5tupleIJPjSE_EEENSF_IJSE_SE_EEES9_SG_JZNS1_25segmented_radix_sort_implINS0_14default_configELb1EPKhPhPKlPlN2at6native12_GLOBAL__N_18offset_tEEE10hipError_tPvRmT1_PNSt15iterator_traitsISY_E10value_typeET2_T3_PNSZ_IS14_E10value_typeET4_jRbjT5_S1A_jjP12ihipStream_tbEUljE_EEESV_SW_SX_S14_S18_S1A_T6_T7_T9_mT8_S1C_bDpT10_ENKUlT_T0_E_clISt17integral_constantIbLb1EES1P_EEDaS1K_S1L_EUlS1K_E_NS1_11comp_targetILNS1_3genE4ELNS1_11target_archE910ELNS1_3gpuE8ELNS1_3repE0EEENS1_30default_config_static_selectorELNS0_4arch9wavefront6targetE0EEEvSY_
	.p2align	8
	.type	_ZN7rocprim17ROCPRIM_400000_NS6detail17trampoline_kernelINS0_13select_configILj256ELj13ELNS0_17block_load_methodE3ELS4_3ELS4_3ELNS0_20block_scan_algorithmE0ELj4294967295EEENS1_25partition_config_selectorILNS1_17partition_subalgoE3EjNS0_10empty_typeEbEEZZNS1_14partition_implILS8_3ELb0ES6_jNS0_17counting_iteratorIjlEEPS9_SE_NS0_5tupleIJPjSE_EEENSF_IJSE_SE_EEES9_SG_JZNS1_25segmented_radix_sort_implINS0_14default_configELb1EPKhPhPKlPlN2at6native12_GLOBAL__N_18offset_tEEE10hipError_tPvRmT1_PNSt15iterator_traitsISY_E10value_typeET2_T3_PNSZ_IS14_E10value_typeET4_jRbjT5_S1A_jjP12ihipStream_tbEUljE_EEESV_SW_SX_S14_S18_S1A_T6_T7_T9_mT8_S1C_bDpT10_ENKUlT_T0_E_clISt17integral_constantIbLb1EES1P_EEDaS1K_S1L_EUlS1K_E_NS1_11comp_targetILNS1_3genE4ELNS1_11target_archE910ELNS1_3gpuE8ELNS1_3repE0EEENS1_30default_config_static_selectorELNS0_4arch9wavefront6targetE0EEEvSY_,@function
_ZN7rocprim17ROCPRIM_400000_NS6detail17trampoline_kernelINS0_13select_configILj256ELj13ELNS0_17block_load_methodE3ELS4_3ELS4_3ELNS0_20block_scan_algorithmE0ELj4294967295EEENS1_25partition_config_selectorILNS1_17partition_subalgoE3EjNS0_10empty_typeEbEEZZNS1_14partition_implILS8_3ELb0ES6_jNS0_17counting_iteratorIjlEEPS9_SE_NS0_5tupleIJPjSE_EEENSF_IJSE_SE_EEES9_SG_JZNS1_25segmented_radix_sort_implINS0_14default_configELb1EPKhPhPKlPlN2at6native12_GLOBAL__N_18offset_tEEE10hipError_tPvRmT1_PNSt15iterator_traitsISY_E10value_typeET2_T3_PNSZ_IS14_E10value_typeET4_jRbjT5_S1A_jjP12ihipStream_tbEUljE_EEESV_SW_SX_S14_S18_S1A_T6_T7_T9_mT8_S1C_bDpT10_ENKUlT_T0_E_clISt17integral_constantIbLb1EES1P_EEDaS1K_S1L_EUlS1K_E_NS1_11comp_targetILNS1_3genE4ELNS1_11target_archE910ELNS1_3gpuE8ELNS1_3repE0EEENS1_30default_config_static_selectorELNS0_4arch9wavefront6targetE0EEEvSY_: ; @_ZN7rocprim17ROCPRIM_400000_NS6detail17trampoline_kernelINS0_13select_configILj256ELj13ELNS0_17block_load_methodE3ELS4_3ELS4_3ELNS0_20block_scan_algorithmE0ELj4294967295EEENS1_25partition_config_selectorILNS1_17partition_subalgoE3EjNS0_10empty_typeEbEEZZNS1_14partition_implILS8_3ELb0ES6_jNS0_17counting_iteratorIjlEEPS9_SE_NS0_5tupleIJPjSE_EEENSF_IJSE_SE_EEES9_SG_JZNS1_25segmented_radix_sort_implINS0_14default_configELb1EPKhPhPKlPlN2at6native12_GLOBAL__N_18offset_tEEE10hipError_tPvRmT1_PNSt15iterator_traitsISY_E10value_typeET2_T3_PNSZ_IS14_E10value_typeET4_jRbjT5_S1A_jjP12ihipStream_tbEUljE_EEESV_SW_SX_S14_S18_S1A_T6_T7_T9_mT8_S1C_bDpT10_ENKUlT_T0_E_clISt17integral_constantIbLb1EES1P_EEDaS1K_S1L_EUlS1K_E_NS1_11comp_targetILNS1_3genE4ELNS1_11target_archE910ELNS1_3gpuE8ELNS1_3repE0EEENS1_30default_config_static_selectorELNS0_4arch9wavefront6targetE0EEEvSY_
; %bb.0:
	.section	.rodata,"a",@progbits
	.p2align	6, 0x0
	.amdhsa_kernel _ZN7rocprim17ROCPRIM_400000_NS6detail17trampoline_kernelINS0_13select_configILj256ELj13ELNS0_17block_load_methodE3ELS4_3ELS4_3ELNS0_20block_scan_algorithmE0ELj4294967295EEENS1_25partition_config_selectorILNS1_17partition_subalgoE3EjNS0_10empty_typeEbEEZZNS1_14partition_implILS8_3ELb0ES6_jNS0_17counting_iteratorIjlEEPS9_SE_NS0_5tupleIJPjSE_EEENSF_IJSE_SE_EEES9_SG_JZNS1_25segmented_radix_sort_implINS0_14default_configELb1EPKhPhPKlPlN2at6native12_GLOBAL__N_18offset_tEEE10hipError_tPvRmT1_PNSt15iterator_traitsISY_E10value_typeET2_T3_PNSZ_IS14_E10value_typeET4_jRbjT5_S1A_jjP12ihipStream_tbEUljE_EEESV_SW_SX_S14_S18_S1A_T6_T7_T9_mT8_S1C_bDpT10_ENKUlT_T0_E_clISt17integral_constantIbLb1EES1P_EEDaS1K_S1L_EUlS1K_E_NS1_11comp_targetILNS1_3genE4ELNS1_11target_archE910ELNS1_3gpuE8ELNS1_3repE0EEENS1_30default_config_static_selectorELNS0_4arch9wavefront6targetE0EEEvSY_
		.amdhsa_group_segment_fixed_size 0
		.amdhsa_private_segment_fixed_size 0
		.amdhsa_kernarg_size 152
		.amdhsa_user_sgpr_count 6
		.amdhsa_user_sgpr_private_segment_buffer 1
		.amdhsa_user_sgpr_dispatch_ptr 0
		.amdhsa_user_sgpr_queue_ptr 0
		.amdhsa_user_sgpr_kernarg_segment_ptr 1
		.amdhsa_user_sgpr_dispatch_id 0
		.amdhsa_user_sgpr_flat_scratch_init 0
		.amdhsa_user_sgpr_private_segment_size 0
		.amdhsa_wavefront_size32 1
		.amdhsa_uses_dynamic_stack 0
		.amdhsa_system_sgpr_private_segment_wavefront_offset 0
		.amdhsa_system_sgpr_workgroup_id_x 1
		.amdhsa_system_sgpr_workgroup_id_y 0
		.amdhsa_system_sgpr_workgroup_id_z 0
		.amdhsa_system_sgpr_workgroup_info 0
		.amdhsa_system_vgpr_workitem_id 0
		.amdhsa_next_free_vgpr 1
		.amdhsa_next_free_sgpr 1
		.amdhsa_reserve_vcc 0
		.amdhsa_reserve_flat_scratch 0
		.amdhsa_float_round_mode_32 0
		.amdhsa_float_round_mode_16_64 0
		.amdhsa_float_denorm_mode_32 3
		.amdhsa_float_denorm_mode_16_64 3
		.amdhsa_dx10_clamp 1
		.amdhsa_ieee_mode 1
		.amdhsa_fp16_overflow 0
		.amdhsa_workgroup_processor_mode 1
		.amdhsa_memory_ordered 1
		.amdhsa_forward_progress 1
		.amdhsa_shared_vgpr_count 0
		.amdhsa_exception_fp_ieee_invalid_op 0
		.amdhsa_exception_fp_denorm_src 0
		.amdhsa_exception_fp_ieee_div_zero 0
		.amdhsa_exception_fp_ieee_overflow 0
		.amdhsa_exception_fp_ieee_underflow 0
		.amdhsa_exception_fp_ieee_inexact 0
		.amdhsa_exception_int_div_zero 0
	.end_amdhsa_kernel
	.section	.text._ZN7rocprim17ROCPRIM_400000_NS6detail17trampoline_kernelINS0_13select_configILj256ELj13ELNS0_17block_load_methodE3ELS4_3ELS4_3ELNS0_20block_scan_algorithmE0ELj4294967295EEENS1_25partition_config_selectorILNS1_17partition_subalgoE3EjNS0_10empty_typeEbEEZZNS1_14partition_implILS8_3ELb0ES6_jNS0_17counting_iteratorIjlEEPS9_SE_NS0_5tupleIJPjSE_EEENSF_IJSE_SE_EEES9_SG_JZNS1_25segmented_radix_sort_implINS0_14default_configELb1EPKhPhPKlPlN2at6native12_GLOBAL__N_18offset_tEEE10hipError_tPvRmT1_PNSt15iterator_traitsISY_E10value_typeET2_T3_PNSZ_IS14_E10value_typeET4_jRbjT5_S1A_jjP12ihipStream_tbEUljE_EEESV_SW_SX_S14_S18_S1A_T6_T7_T9_mT8_S1C_bDpT10_ENKUlT_T0_E_clISt17integral_constantIbLb1EES1P_EEDaS1K_S1L_EUlS1K_E_NS1_11comp_targetILNS1_3genE4ELNS1_11target_archE910ELNS1_3gpuE8ELNS1_3repE0EEENS1_30default_config_static_selectorELNS0_4arch9wavefront6targetE0EEEvSY_,"axG",@progbits,_ZN7rocprim17ROCPRIM_400000_NS6detail17trampoline_kernelINS0_13select_configILj256ELj13ELNS0_17block_load_methodE3ELS4_3ELS4_3ELNS0_20block_scan_algorithmE0ELj4294967295EEENS1_25partition_config_selectorILNS1_17partition_subalgoE3EjNS0_10empty_typeEbEEZZNS1_14partition_implILS8_3ELb0ES6_jNS0_17counting_iteratorIjlEEPS9_SE_NS0_5tupleIJPjSE_EEENSF_IJSE_SE_EEES9_SG_JZNS1_25segmented_radix_sort_implINS0_14default_configELb1EPKhPhPKlPlN2at6native12_GLOBAL__N_18offset_tEEE10hipError_tPvRmT1_PNSt15iterator_traitsISY_E10value_typeET2_T3_PNSZ_IS14_E10value_typeET4_jRbjT5_S1A_jjP12ihipStream_tbEUljE_EEESV_SW_SX_S14_S18_S1A_T6_T7_T9_mT8_S1C_bDpT10_ENKUlT_T0_E_clISt17integral_constantIbLb1EES1P_EEDaS1K_S1L_EUlS1K_E_NS1_11comp_targetILNS1_3genE4ELNS1_11target_archE910ELNS1_3gpuE8ELNS1_3repE0EEENS1_30default_config_static_selectorELNS0_4arch9wavefront6targetE0EEEvSY_,comdat
.Lfunc_end59:
	.size	_ZN7rocprim17ROCPRIM_400000_NS6detail17trampoline_kernelINS0_13select_configILj256ELj13ELNS0_17block_load_methodE3ELS4_3ELS4_3ELNS0_20block_scan_algorithmE0ELj4294967295EEENS1_25partition_config_selectorILNS1_17partition_subalgoE3EjNS0_10empty_typeEbEEZZNS1_14partition_implILS8_3ELb0ES6_jNS0_17counting_iteratorIjlEEPS9_SE_NS0_5tupleIJPjSE_EEENSF_IJSE_SE_EEES9_SG_JZNS1_25segmented_radix_sort_implINS0_14default_configELb1EPKhPhPKlPlN2at6native12_GLOBAL__N_18offset_tEEE10hipError_tPvRmT1_PNSt15iterator_traitsISY_E10value_typeET2_T3_PNSZ_IS14_E10value_typeET4_jRbjT5_S1A_jjP12ihipStream_tbEUljE_EEESV_SW_SX_S14_S18_S1A_T6_T7_T9_mT8_S1C_bDpT10_ENKUlT_T0_E_clISt17integral_constantIbLb1EES1P_EEDaS1K_S1L_EUlS1K_E_NS1_11comp_targetILNS1_3genE4ELNS1_11target_archE910ELNS1_3gpuE8ELNS1_3repE0EEENS1_30default_config_static_selectorELNS0_4arch9wavefront6targetE0EEEvSY_, .Lfunc_end59-_ZN7rocprim17ROCPRIM_400000_NS6detail17trampoline_kernelINS0_13select_configILj256ELj13ELNS0_17block_load_methodE3ELS4_3ELS4_3ELNS0_20block_scan_algorithmE0ELj4294967295EEENS1_25partition_config_selectorILNS1_17partition_subalgoE3EjNS0_10empty_typeEbEEZZNS1_14partition_implILS8_3ELb0ES6_jNS0_17counting_iteratorIjlEEPS9_SE_NS0_5tupleIJPjSE_EEENSF_IJSE_SE_EEES9_SG_JZNS1_25segmented_radix_sort_implINS0_14default_configELb1EPKhPhPKlPlN2at6native12_GLOBAL__N_18offset_tEEE10hipError_tPvRmT1_PNSt15iterator_traitsISY_E10value_typeET2_T3_PNSZ_IS14_E10value_typeET4_jRbjT5_S1A_jjP12ihipStream_tbEUljE_EEESV_SW_SX_S14_S18_S1A_T6_T7_T9_mT8_S1C_bDpT10_ENKUlT_T0_E_clISt17integral_constantIbLb1EES1P_EEDaS1K_S1L_EUlS1K_E_NS1_11comp_targetILNS1_3genE4ELNS1_11target_archE910ELNS1_3gpuE8ELNS1_3repE0EEENS1_30default_config_static_selectorELNS0_4arch9wavefront6targetE0EEEvSY_
                                        ; -- End function
	.set _ZN7rocprim17ROCPRIM_400000_NS6detail17trampoline_kernelINS0_13select_configILj256ELj13ELNS0_17block_load_methodE3ELS4_3ELS4_3ELNS0_20block_scan_algorithmE0ELj4294967295EEENS1_25partition_config_selectorILNS1_17partition_subalgoE3EjNS0_10empty_typeEbEEZZNS1_14partition_implILS8_3ELb0ES6_jNS0_17counting_iteratorIjlEEPS9_SE_NS0_5tupleIJPjSE_EEENSF_IJSE_SE_EEES9_SG_JZNS1_25segmented_radix_sort_implINS0_14default_configELb1EPKhPhPKlPlN2at6native12_GLOBAL__N_18offset_tEEE10hipError_tPvRmT1_PNSt15iterator_traitsISY_E10value_typeET2_T3_PNSZ_IS14_E10value_typeET4_jRbjT5_S1A_jjP12ihipStream_tbEUljE_EEESV_SW_SX_S14_S18_S1A_T6_T7_T9_mT8_S1C_bDpT10_ENKUlT_T0_E_clISt17integral_constantIbLb1EES1P_EEDaS1K_S1L_EUlS1K_E_NS1_11comp_targetILNS1_3genE4ELNS1_11target_archE910ELNS1_3gpuE8ELNS1_3repE0EEENS1_30default_config_static_selectorELNS0_4arch9wavefront6targetE0EEEvSY_.num_vgpr, 0
	.set _ZN7rocprim17ROCPRIM_400000_NS6detail17trampoline_kernelINS0_13select_configILj256ELj13ELNS0_17block_load_methodE3ELS4_3ELS4_3ELNS0_20block_scan_algorithmE0ELj4294967295EEENS1_25partition_config_selectorILNS1_17partition_subalgoE3EjNS0_10empty_typeEbEEZZNS1_14partition_implILS8_3ELb0ES6_jNS0_17counting_iteratorIjlEEPS9_SE_NS0_5tupleIJPjSE_EEENSF_IJSE_SE_EEES9_SG_JZNS1_25segmented_radix_sort_implINS0_14default_configELb1EPKhPhPKlPlN2at6native12_GLOBAL__N_18offset_tEEE10hipError_tPvRmT1_PNSt15iterator_traitsISY_E10value_typeET2_T3_PNSZ_IS14_E10value_typeET4_jRbjT5_S1A_jjP12ihipStream_tbEUljE_EEESV_SW_SX_S14_S18_S1A_T6_T7_T9_mT8_S1C_bDpT10_ENKUlT_T0_E_clISt17integral_constantIbLb1EES1P_EEDaS1K_S1L_EUlS1K_E_NS1_11comp_targetILNS1_3genE4ELNS1_11target_archE910ELNS1_3gpuE8ELNS1_3repE0EEENS1_30default_config_static_selectorELNS0_4arch9wavefront6targetE0EEEvSY_.num_agpr, 0
	.set _ZN7rocprim17ROCPRIM_400000_NS6detail17trampoline_kernelINS0_13select_configILj256ELj13ELNS0_17block_load_methodE3ELS4_3ELS4_3ELNS0_20block_scan_algorithmE0ELj4294967295EEENS1_25partition_config_selectorILNS1_17partition_subalgoE3EjNS0_10empty_typeEbEEZZNS1_14partition_implILS8_3ELb0ES6_jNS0_17counting_iteratorIjlEEPS9_SE_NS0_5tupleIJPjSE_EEENSF_IJSE_SE_EEES9_SG_JZNS1_25segmented_radix_sort_implINS0_14default_configELb1EPKhPhPKlPlN2at6native12_GLOBAL__N_18offset_tEEE10hipError_tPvRmT1_PNSt15iterator_traitsISY_E10value_typeET2_T3_PNSZ_IS14_E10value_typeET4_jRbjT5_S1A_jjP12ihipStream_tbEUljE_EEESV_SW_SX_S14_S18_S1A_T6_T7_T9_mT8_S1C_bDpT10_ENKUlT_T0_E_clISt17integral_constantIbLb1EES1P_EEDaS1K_S1L_EUlS1K_E_NS1_11comp_targetILNS1_3genE4ELNS1_11target_archE910ELNS1_3gpuE8ELNS1_3repE0EEENS1_30default_config_static_selectorELNS0_4arch9wavefront6targetE0EEEvSY_.numbered_sgpr, 0
	.set _ZN7rocprim17ROCPRIM_400000_NS6detail17trampoline_kernelINS0_13select_configILj256ELj13ELNS0_17block_load_methodE3ELS4_3ELS4_3ELNS0_20block_scan_algorithmE0ELj4294967295EEENS1_25partition_config_selectorILNS1_17partition_subalgoE3EjNS0_10empty_typeEbEEZZNS1_14partition_implILS8_3ELb0ES6_jNS0_17counting_iteratorIjlEEPS9_SE_NS0_5tupleIJPjSE_EEENSF_IJSE_SE_EEES9_SG_JZNS1_25segmented_radix_sort_implINS0_14default_configELb1EPKhPhPKlPlN2at6native12_GLOBAL__N_18offset_tEEE10hipError_tPvRmT1_PNSt15iterator_traitsISY_E10value_typeET2_T3_PNSZ_IS14_E10value_typeET4_jRbjT5_S1A_jjP12ihipStream_tbEUljE_EEESV_SW_SX_S14_S18_S1A_T6_T7_T9_mT8_S1C_bDpT10_ENKUlT_T0_E_clISt17integral_constantIbLb1EES1P_EEDaS1K_S1L_EUlS1K_E_NS1_11comp_targetILNS1_3genE4ELNS1_11target_archE910ELNS1_3gpuE8ELNS1_3repE0EEENS1_30default_config_static_selectorELNS0_4arch9wavefront6targetE0EEEvSY_.num_named_barrier, 0
	.set _ZN7rocprim17ROCPRIM_400000_NS6detail17trampoline_kernelINS0_13select_configILj256ELj13ELNS0_17block_load_methodE3ELS4_3ELS4_3ELNS0_20block_scan_algorithmE0ELj4294967295EEENS1_25partition_config_selectorILNS1_17partition_subalgoE3EjNS0_10empty_typeEbEEZZNS1_14partition_implILS8_3ELb0ES6_jNS0_17counting_iteratorIjlEEPS9_SE_NS0_5tupleIJPjSE_EEENSF_IJSE_SE_EEES9_SG_JZNS1_25segmented_radix_sort_implINS0_14default_configELb1EPKhPhPKlPlN2at6native12_GLOBAL__N_18offset_tEEE10hipError_tPvRmT1_PNSt15iterator_traitsISY_E10value_typeET2_T3_PNSZ_IS14_E10value_typeET4_jRbjT5_S1A_jjP12ihipStream_tbEUljE_EEESV_SW_SX_S14_S18_S1A_T6_T7_T9_mT8_S1C_bDpT10_ENKUlT_T0_E_clISt17integral_constantIbLb1EES1P_EEDaS1K_S1L_EUlS1K_E_NS1_11comp_targetILNS1_3genE4ELNS1_11target_archE910ELNS1_3gpuE8ELNS1_3repE0EEENS1_30default_config_static_selectorELNS0_4arch9wavefront6targetE0EEEvSY_.private_seg_size, 0
	.set _ZN7rocprim17ROCPRIM_400000_NS6detail17trampoline_kernelINS0_13select_configILj256ELj13ELNS0_17block_load_methodE3ELS4_3ELS4_3ELNS0_20block_scan_algorithmE0ELj4294967295EEENS1_25partition_config_selectorILNS1_17partition_subalgoE3EjNS0_10empty_typeEbEEZZNS1_14partition_implILS8_3ELb0ES6_jNS0_17counting_iteratorIjlEEPS9_SE_NS0_5tupleIJPjSE_EEENSF_IJSE_SE_EEES9_SG_JZNS1_25segmented_radix_sort_implINS0_14default_configELb1EPKhPhPKlPlN2at6native12_GLOBAL__N_18offset_tEEE10hipError_tPvRmT1_PNSt15iterator_traitsISY_E10value_typeET2_T3_PNSZ_IS14_E10value_typeET4_jRbjT5_S1A_jjP12ihipStream_tbEUljE_EEESV_SW_SX_S14_S18_S1A_T6_T7_T9_mT8_S1C_bDpT10_ENKUlT_T0_E_clISt17integral_constantIbLb1EES1P_EEDaS1K_S1L_EUlS1K_E_NS1_11comp_targetILNS1_3genE4ELNS1_11target_archE910ELNS1_3gpuE8ELNS1_3repE0EEENS1_30default_config_static_selectorELNS0_4arch9wavefront6targetE0EEEvSY_.uses_vcc, 0
	.set _ZN7rocprim17ROCPRIM_400000_NS6detail17trampoline_kernelINS0_13select_configILj256ELj13ELNS0_17block_load_methodE3ELS4_3ELS4_3ELNS0_20block_scan_algorithmE0ELj4294967295EEENS1_25partition_config_selectorILNS1_17partition_subalgoE3EjNS0_10empty_typeEbEEZZNS1_14partition_implILS8_3ELb0ES6_jNS0_17counting_iteratorIjlEEPS9_SE_NS0_5tupleIJPjSE_EEENSF_IJSE_SE_EEES9_SG_JZNS1_25segmented_radix_sort_implINS0_14default_configELb1EPKhPhPKlPlN2at6native12_GLOBAL__N_18offset_tEEE10hipError_tPvRmT1_PNSt15iterator_traitsISY_E10value_typeET2_T3_PNSZ_IS14_E10value_typeET4_jRbjT5_S1A_jjP12ihipStream_tbEUljE_EEESV_SW_SX_S14_S18_S1A_T6_T7_T9_mT8_S1C_bDpT10_ENKUlT_T0_E_clISt17integral_constantIbLb1EES1P_EEDaS1K_S1L_EUlS1K_E_NS1_11comp_targetILNS1_3genE4ELNS1_11target_archE910ELNS1_3gpuE8ELNS1_3repE0EEENS1_30default_config_static_selectorELNS0_4arch9wavefront6targetE0EEEvSY_.uses_flat_scratch, 0
	.set _ZN7rocprim17ROCPRIM_400000_NS6detail17trampoline_kernelINS0_13select_configILj256ELj13ELNS0_17block_load_methodE3ELS4_3ELS4_3ELNS0_20block_scan_algorithmE0ELj4294967295EEENS1_25partition_config_selectorILNS1_17partition_subalgoE3EjNS0_10empty_typeEbEEZZNS1_14partition_implILS8_3ELb0ES6_jNS0_17counting_iteratorIjlEEPS9_SE_NS0_5tupleIJPjSE_EEENSF_IJSE_SE_EEES9_SG_JZNS1_25segmented_radix_sort_implINS0_14default_configELb1EPKhPhPKlPlN2at6native12_GLOBAL__N_18offset_tEEE10hipError_tPvRmT1_PNSt15iterator_traitsISY_E10value_typeET2_T3_PNSZ_IS14_E10value_typeET4_jRbjT5_S1A_jjP12ihipStream_tbEUljE_EEESV_SW_SX_S14_S18_S1A_T6_T7_T9_mT8_S1C_bDpT10_ENKUlT_T0_E_clISt17integral_constantIbLb1EES1P_EEDaS1K_S1L_EUlS1K_E_NS1_11comp_targetILNS1_3genE4ELNS1_11target_archE910ELNS1_3gpuE8ELNS1_3repE0EEENS1_30default_config_static_selectorELNS0_4arch9wavefront6targetE0EEEvSY_.has_dyn_sized_stack, 0
	.set _ZN7rocprim17ROCPRIM_400000_NS6detail17trampoline_kernelINS0_13select_configILj256ELj13ELNS0_17block_load_methodE3ELS4_3ELS4_3ELNS0_20block_scan_algorithmE0ELj4294967295EEENS1_25partition_config_selectorILNS1_17partition_subalgoE3EjNS0_10empty_typeEbEEZZNS1_14partition_implILS8_3ELb0ES6_jNS0_17counting_iteratorIjlEEPS9_SE_NS0_5tupleIJPjSE_EEENSF_IJSE_SE_EEES9_SG_JZNS1_25segmented_radix_sort_implINS0_14default_configELb1EPKhPhPKlPlN2at6native12_GLOBAL__N_18offset_tEEE10hipError_tPvRmT1_PNSt15iterator_traitsISY_E10value_typeET2_T3_PNSZ_IS14_E10value_typeET4_jRbjT5_S1A_jjP12ihipStream_tbEUljE_EEESV_SW_SX_S14_S18_S1A_T6_T7_T9_mT8_S1C_bDpT10_ENKUlT_T0_E_clISt17integral_constantIbLb1EES1P_EEDaS1K_S1L_EUlS1K_E_NS1_11comp_targetILNS1_3genE4ELNS1_11target_archE910ELNS1_3gpuE8ELNS1_3repE0EEENS1_30default_config_static_selectorELNS0_4arch9wavefront6targetE0EEEvSY_.has_recursion, 0
	.set _ZN7rocprim17ROCPRIM_400000_NS6detail17trampoline_kernelINS0_13select_configILj256ELj13ELNS0_17block_load_methodE3ELS4_3ELS4_3ELNS0_20block_scan_algorithmE0ELj4294967295EEENS1_25partition_config_selectorILNS1_17partition_subalgoE3EjNS0_10empty_typeEbEEZZNS1_14partition_implILS8_3ELb0ES6_jNS0_17counting_iteratorIjlEEPS9_SE_NS0_5tupleIJPjSE_EEENSF_IJSE_SE_EEES9_SG_JZNS1_25segmented_radix_sort_implINS0_14default_configELb1EPKhPhPKlPlN2at6native12_GLOBAL__N_18offset_tEEE10hipError_tPvRmT1_PNSt15iterator_traitsISY_E10value_typeET2_T3_PNSZ_IS14_E10value_typeET4_jRbjT5_S1A_jjP12ihipStream_tbEUljE_EEESV_SW_SX_S14_S18_S1A_T6_T7_T9_mT8_S1C_bDpT10_ENKUlT_T0_E_clISt17integral_constantIbLb1EES1P_EEDaS1K_S1L_EUlS1K_E_NS1_11comp_targetILNS1_3genE4ELNS1_11target_archE910ELNS1_3gpuE8ELNS1_3repE0EEENS1_30default_config_static_selectorELNS0_4arch9wavefront6targetE0EEEvSY_.has_indirect_call, 0
	.section	.AMDGPU.csdata,"",@progbits
; Kernel info:
; codeLenInByte = 0
; TotalNumSgprs: 0
; NumVgprs: 0
; ScratchSize: 0
; MemoryBound: 0
; FloatMode: 240
; IeeeMode: 1
; LDSByteSize: 0 bytes/workgroup (compile time only)
; SGPRBlocks: 0
; VGPRBlocks: 0
; NumSGPRsForWavesPerEU: 1
; NumVGPRsForWavesPerEU: 1
; Occupancy: 16
; WaveLimiterHint : 0
; COMPUTE_PGM_RSRC2:SCRATCH_EN: 0
; COMPUTE_PGM_RSRC2:USER_SGPR: 6
; COMPUTE_PGM_RSRC2:TRAP_HANDLER: 0
; COMPUTE_PGM_RSRC2:TGID_X_EN: 1
; COMPUTE_PGM_RSRC2:TGID_Y_EN: 0
; COMPUTE_PGM_RSRC2:TGID_Z_EN: 0
; COMPUTE_PGM_RSRC2:TIDIG_COMP_CNT: 0
	.section	.text._ZN7rocprim17ROCPRIM_400000_NS6detail17trampoline_kernelINS0_13select_configILj256ELj13ELNS0_17block_load_methodE3ELS4_3ELS4_3ELNS0_20block_scan_algorithmE0ELj4294967295EEENS1_25partition_config_selectorILNS1_17partition_subalgoE3EjNS0_10empty_typeEbEEZZNS1_14partition_implILS8_3ELb0ES6_jNS0_17counting_iteratorIjlEEPS9_SE_NS0_5tupleIJPjSE_EEENSF_IJSE_SE_EEES9_SG_JZNS1_25segmented_radix_sort_implINS0_14default_configELb1EPKhPhPKlPlN2at6native12_GLOBAL__N_18offset_tEEE10hipError_tPvRmT1_PNSt15iterator_traitsISY_E10value_typeET2_T3_PNSZ_IS14_E10value_typeET4_jRbjT5_S1A_jjP12ihipStream_tbEUljE_EEESV_SW_SX_S14_S18_S1A_T6_T7_T9_mT8_S1C_bDpT10_ENKUlT_T0_E_clISt17integral_constantIbLb1EES1P_EEDaS1K_S1L_EUlS1K_E_NS1_11comp_targetILNS1_3genE3ELNS1_11target_archE908ELNS1_3gpuE7ELNS1_3repE0EEENS1_30default_config_static_selectorELNS0_4arch9wavefront6targetE0EEEvSY_,"axG",@progbits,_ZN7rocprim17ROCPRIM_400000_NS6detail17trampoline_kernelINS0_13select_configILj256ELj13ELNS0_17block_load_methodE3ELS4_3ELS4_3ELNS0_20block_scan_algorithmE0ELj4294967295EEENS1_25partition_config_selectorILNS1_17partition_subalgoE3EjNS0_10empty_typeEbEEZZNS1_14partition_implILS8_3ELb0ES6_jNS0_17counting_iteratorIjlEEPS9_SE_NS0_5tupleIJPjSE_EEENSF_IJSE_SE_EEES9_SG_JZNS1_25segmented_radix_sort_implINS0_14default_configELb1EPKhPhPKlPlN2at6native12_GLOBAL__N_18offset_tEEE10hipError_tPvRmT1_PNSt15iterator_traitsISY_E10value_typeET2_T3_PNSZ_IS14_E10value_typeET4_jRbjT5_S1A_jjP12ihipStream_tbEUljE_EEESV_SW_SX_S14_S18_S1A_T6_T7_T9_mT8_S1C_bDpT10_ENKUlT_T0_E_clISt17integral_constantIbLb1EES1P_EEDaS1K_S1L_EUlS1K_E_NS1_11comp_targetILNS1_3genE3ELNS1_11target_archE908ELNS1_3gpuE7ELNS1_3repE0EEENS1_30default_config_static_selectorELNS0_4arch9wavefront6targetE0EEEvSY_,comdat
	.globl	_ZN7rocprim17ROCPRIM_400000_NS6detail17trampoline_kernelINS0_13select_configILj256ELj13ELNS0_17block_load_methodE3ELS4_3ELS4_3ELNS0_20block_scan_algorithmE0ELj4294967295EEENS1_25partition_config_selectorILNS1_17partition_subalgoE3EjNS0_10empty_typeEbEEZZNS1_14partition_implILS8_3ELb0ES6_jNS0_17counting_iteratorIjlEEPS9_SE_NS0_5tupleIJPjSE_EEENSF_IJSE_SE_EEES9_SG_JZNS1_25segmented_radix_sort_implINS0_14default_configELb1EPKhPhPKlPlN2at6native12_GLOBAL__N_18offset_tEEE10hipError_tPvRmT1_PNSt15iterator_traitsISY_E10value_typeET2_T3_PNSZ_IS14_E10value_typeET4_jRbjT5_S1A_jjP12ihipStream_tbEUljE_EEESV_SW_SX_S14_S18_S1A_T6_T7_T9_mT8_S1C_bDpT10_ENKUlT_T0_E_clISt17integral_constantIbLb1EES1P_EEDaS1K_S1L_EUlS1K_E_NS1_11comp_targetILNS1_3genE3ELNS1_11target_archE908ELNS1_3gpuE7ELNS1_3repE0EEENS1_30default_config_static_selectorELNS0_4arch9wavefront6targetE0EEEvSY_ ; -- Begin function _ZN7rocprim17ROCPRIM_400000_NS6detail17trampoline_kernelINS0_13select_configILj256ELj13ELNS0_17block_load_methodE3ELS4_3ELS4_3ELNS0_20block_scan_algorithmE0ELj4294967295EEENS1_25partition_config_selectorILNS1_17partition_subalgoE3EjNS0_10empty_typeEbEEZZNS1_14partition_implILS8_3ELb0ES6_jNS0_17counting_iteratorIjlEEPS9_SE_NS0_5tupleIJPjSE_EEENSF_IJSE_SE_EEES9_SG_JZNS1_25segmented_radix_sort_implINS0_14default_configELb1EPKhPhPKlPlN2at6native12_GLOBAL__N_18offset_tEEE10hipError_tPvRmT1_PNSt15iterator_traitsISY_E10value_typeET2_T3_PNSZ_IS14_E10value_typeET4_jRbjT5_S1A_jjP12ihipStream_tbEUljE_EEESV_SW_SX_S14_S18_S1A_T6_T7_T9_mT8_S1C_bDpT10_ENKUlT_T0_E_clISt17integral_constantIbLb1EES1P_EEDaS1K_S1L_EUlS1K_E_NS1_11comp_targetILNS1_3genE3ELNS1_11target_archE908ELNS1_3gpuE7ELNS1_3repE0EEENS1_30default_config_static_selectorELNS0_4arch9wavefront6targetE0EEEvSY_
	.p2align	8
	.type	_ZN7rocprim17ROCPRIM_400000_NS6detail17trampoline_kernelINS0_13select_configILj256ELj13ELNS0_17block_load_methodE3ELS4_3ELS4_3ELNS0_20block_scan_algorithmE0ELj4294967295EEENS1_25partition_config_selectorILNS1_17partition_subalgoE3EjNS0_10empty_typeEbEEZZNS1_14partition_implILS8_3ELb0ES6_jNS0_17counting_iteratorIjlEEPS9_SE_NS0_5tupleIJPjSE_EEENSF_IJSE_SE_EEES9_SG_JZNS1_25segmented_radix_sort_implINS0_14default_configELb1EPKhPhPKlPlN2at6native12_GLOBAL__N_18offset_tEEE10hipError_tPvRmT1_PNSt15iterator_traitsISY_E10value_typeET2_T3_PNSZ_IS14_E10value_typeET4_jRbjT5_S1A_jjP12ihipStream_tbEUljE_EEESV_SW_SX_S14_S18_S1A_T6_T7_T9_mT8_S1C_bDpT10_ENKUlT_T0_E_clISt17integral_constantIbLb1EES1P_EEDaS1K_S1L_EUlS1K_E_NS1_11comp_targetILNS1_3genE3ELNS1_11target_archE908ELNS1_3gpuE7ELNS1_3repE0EEENS1_30default_config_static_selectorELNS0_4arch9wavefront6targetE0EEEvSY_,@function
_ZN7rocprim17ROCPRIM_400000_NS6detail17trampoline_kernelINS0_13select_configILj256ELj13ELNS0_17block_load_methodE3ELS4_3ELS4_3ELNS0_20block_scan_algorithmE0ELj4294967295EEENS1_25partition_config_selectorILNS1_17partition_subalgoE3EjNS0_10empty_typeEbEEZZNS1_14partition_implILS8_3ELb0ES6_jNS0_17counting_iteratorIjlEEPS9_SE_NS0_5tupleIJPjSE_EEENSF_IJSE_SE_EEES9_SG_JZNS1_25segmented_radix_sort_implINS0_14default_configELb1EPKhPhPKlPlN2at6native12_GLOBAL__N_18offset_tEEE10hipError_tPvRmT1_PNSt15iterator_traitsISY_E10value_typeET2_T3_PNSZ_IS14_E10value_typeET4_jRbjT5_S1A_jjP12ihipStream_tbEUljE_EEESV_SW_SX_S14_S18_S1A_T6_T7_T9_mT8_S1C_bDpT10_ENKUlT_T0_E_clISt17integral_constantIbLb1EES1P_EEDaS1K_S1L_EUlS1K_E_NS1_11comp_targetILNS1_3genE3ELNS1_11target_archE908ELNS1_3gpuE7ELNS1_3repE0EEENS1_30default_config_static_selectorELNS0_4arch9wavefront6targetE0EEEvSY_: ; @_ZN7rocprim17ROCPRIM_400000_NS6detail17trampoline_kernelINS0_13select_configILj256ELj13ELNS0_17block_load_methodE3ELS4_3ELS4_3ELNS0_20block_scan_algorithmE0ELj4294967295EEENS1_25partition_config_selectorILNS1_17partition_subalgoE3EjNS0_10empty_typeEbEEZZNS1_14partition_implILS8_3ELb0ES6_jNS0_17counting_iteratorIjlEEPS9_SE_NS0_5tupleIJPjSE_EEENSF_IJSE_SE_EEES9_SG_JZNS1_25segmented_radix_sort_implINS0_14default_configELb1EPKhPhPKlPlN2at6native12_GLOBAL__N_18offset_tEEE10hipError_tPvRmT1_PNSt15iterator_traitsISY_E10value_typeET2_T3_PNSZ_IS14_E10value_typeET4_jRbjT5_S1A_jjP12ihipStream_tbEUljE_EEESV_SW_SX_S14_S18_S1A_T6_T7_T9_mT8_S1C_bDpT10_ENKUlT_T0_E_clISt17integral_constantIbLb1EES1P_EEDaS1K_S1L_EUlS1K_E_NS1_11comp_targetILNS1_3genE3ELNS1_11target_archE908ELNS1_3gpuE7ELNS1_3repE0EEENS1_30default_config_static_selectorELNS0_4arch9wavefront6targetE0EEEvSY_
; %bb.0:
	.section	.rodata,"a",@progbits
	.p2align	6, 0x0
	.amdhsa_kernel _ZN7rocprim17ROCPRIM_400000_NS6detail17trampoline_kernelINS0_13select_configILj256ELj13ELNS0_17block_load_methodE3ELS4_3ELS4_3ELNS0_20block_scan_algorithmE0ELj4294967295EEENS1_25partition_config_selectorILNS1_17partition_subalgoE3EjNS0_10empty_typeEbEEZZNS1_14partition_implILS8_3ELb0ES6_jNS0_17counting_iteratorIjlEEPS9_SE_NS0_5tupleIJPjSE_EEENSF_IJSE_SE_EEES9_SG_JZNS1_25segmented_radix_sort_implINS0_14default_configELb1EPKhPhPKlPlN2at6native12_GLOBAL__N_18offset_tEEE10hipError_tPvRmT1_PNSt15iterator_traitsISY_E10value_typeET2_T3_PNSZ_IS14_E10value_typeET4_jRbjT5_S1A_jjP12ihipStream_tbEUljE_EEESV_SW_SX_S14_S18_S1A_T6_T7_T9_mT8_S1C_bDpT10_ENKUlT_T0_E_clISt17integral_constantIbLb1EES1P_EEDaS1K_S1L_EUlS1K_E_NS1_11comp_targetILNS1_3genE3ELNS1_11target_archE908ELNS1_3gpuE7ELNS1_3repE0EEENS1_30default_config_static_selectorELNS0_4arch9wavefront6targetE0EEEvSY_
		.amdhsa_group_segment_fixed_size 0
		.amdhsa_private_segment_fixed_size 0
		.amdhsa_kernarg_size 152
		.amdhsa_user_sgpr_count 6
		.amdhsa_user_sgpr_private_segment_buffer 1
		.amdhsa_user_sgpr_dispatch_ptr 0
		.amdhsa_user_sgpr_queue_ptr 0
		.amdhsa_user_sgpr_kernarg_segment_ptr 1
		.amdhsa_user_sgpr_dispatch_id 0
		.amdhsa_user_sgpr_flat_scratch_init 0
		.amdhsa_user_sgpr_private_segment_size 0
		.amdhsa_wavefront_size32 1
		.amdhsa_uses_dynamic_stack 0
		.amdhsa_system_sgpr_private_segment_wavefront_offset 0
		.amdhsa_system_sgpr_workgroup_id_x 1
		.amdhsa_system_sgpr_workgroup_id_y 0
		.amdhsa_system_sgpr_workgroup_id_z 0
		.amdhsa_system_sgpr_workgroup_info 0
		.amdhsa_system_vgpr_workitem_id 0
		.amdhsa_next_free_vgpr 1
		.amdhsa_next_free_sgpr 1
		.amdhsa_reserve_vcc 0
		.amdhsa_reserve_flat_scratch 0
		.amdhsa_float_round_mode_32 0
		.amdhsa_float_round_mode_16_64 0
		.amdhsa_float_denorm_mode_32 3
		.amdhsa_float_denorm_mode_16_64 3
		.amdhsa_dx10_clamp 1
		.amdhsa_ieee_mode 1
		.amdhsa_fp16_overflow 0
		.amdhsa_workgroup_processor_mode 1
		.amdhsa_memory_ordered 1
		.amdhsa_forward_progress 1
		.amdhsa_shared_vgpr_count 0
		.amdhsa_exception_fp_ieee_invalid_op 0
		.amdhsa_exception_fp_denorm_src 0
		.amdhsa_exception_fp_ieee_div_zero 0
		.amdhsa_exception_fp_ieee_overflow 0
		.amdhsa_exception_fp_ieee_underflow 0
		.amdhsa_exception_fp_ieee_inexact 0
		.amdhsa_exception_int_div_zero 0
	.end_amdhsa_kernel
	.section	.text._ZN7rocprim17ROCPRIM_400000_NS6detail17trampoline_kernelINS0_13select_configILj256ELj13ELNS0_17block_load_methodE3ELS4_3ELS4_3ELNS0_20block_scan_algorithmE0ELj4294967295EEENS1_25partition_config_selectorILNS1_17partition_subalgoE3EjNS0_10empty_typeEbEEZZNS1_14partition_implILS8_3ELb0ES6_jNS0_17counting_iteratorIjlEEPS9_SE_NS0_5tupleIJPjSE_EEENSF_IJSE_SE_EEES9_SG_JZNS1_25segmented_radix_sort_implINS0_14default_configELb1EPKhPhPKlPlN2at6native12_GLOBAL__N_18offset_tEEE10hipError_tPvRmT1_PNSt15iterator_traitsISY_E10value_typeET2_T3_PNSZ_IS14_E10value_typeET4_jRbjT5_S1A_jjP12ihipStream_tbEUljE_EEESV_SW_SX_S14_S18_S1A_T6_T7_T9_mT8_S1C_bDpT10_ENKUlT_T0_E_clISt17integral_constantIbLb1EES1P_EEDaS1K_S1L_EUlS1K_E_NS1_11comp_targetILNS1_3genE3ELNS1_11target_archE908ELNS1_3gpuE7ELNS1_3repE0EEENS1_30default_config_static_selectorELNS0_4arch9wavefront6targetE0EEEvSY_,"axG",@progbits,_ZN7rocprim17ROCPRIM_400000_NS6detail17trampoline_kernelINS0_13select_configILj256ELj13ELNS0_17block_load_methodE3ELS4_3ELS4_3ELNS0_20block_scan_algorithmE0ELj4294967295EEENS1_25partition_config_selectorILNS1_17partition_subalgoE3EjNS0_10empty_typeEbEEZZNS1_14partition_implILS8_3ELb0ES6_jNS0_17counting_iteratorIjlEEPS9_SE_NS0_5tupleIJPjSE_EEENSF_IJSE_SE_EEES9_SG_JZNS1_25segmented_radix_sort_implINS0_14default_configELb1EPKhPhPKlPlN2at6native12_GLOBAL__N_18offset_tEEE10hipError_tPvRmT1_PNSt15iterator_traitsISY_E10value_typeET2_T3_PNSZ_IS14_E10value_typeET4_jRbjT5_S1A_jjP12ihipStream_tbEUljE_EEESV_SW_SX_S14_S18_S1A_T6_T7_T9_mT8_S1C_bDpT10_ENKUlT_T0_E_clISt17integral_constantIbLb1EES1P_EEDaS1K_S1L_EUlS1K_E_NS1_11comp_targetILNS1_3genE3ELNS1_11target_archE908ELNS1_3gpuE7ELNS1_3repE0EEENS1_30default_config_static_selectorELNS0_4arch9wavefront6targetE0EEEvSY_,comdat
.Lfunc_end60:
	.size	_ZN7rocprim17ROCPRIM_400000_NS6detail17trampoline_kernelINS0_13select_configILj256ELj13ELNS0_17block_load_methodE3ELS4_3ELS4_3ELNS0_20block_scan_algorithmE0ELj4294967295EEENS1_25partition_config_selectorILNS1_17partition_subalgoE3EjNS0_10empty_typeEbEEZZNS1_14partition_implILS8_3ELb0ES6_jNS0_17counting_iteratorIjlEEPS9_SE_NS0_5tupleIJPjSE_EEENSF_IJSE_SE_EEES9_SG_JZNS1_25segmented_radix_sort_implINS0_14default_configELb1EPKhPhPKlPlN2at6native12_GLOBAL__N_18offset_tEEE10hipError_tPvRmT1_PNSt15iterator_traitsISY_E10value_typeET2_T3_PNSZ_IS14_E10value_typeET4_jRbjT5_S1A_jjP12ihipStream_tbEUljE_EEESV_SW_SX_S14_S18_S1A_T6_T7_T9_mT8_S1C_bDpT10_ENKUlT_T0_E_clISt17integral_constantIbLb1EES1P_EEDaS1K_S1L_EUlS1K_E_NS1_11comp_targetILNS1_3genE3ELNS1_11target_archE908ELNS1_3gpuE7ELNS1_3repE0EEENS1_30default_config_static_selectorELNS0_4arch9wavefront6targetE0EEEvSY_, .Lfunc_end60-_ZN7rocprim17ROCPRIM_400000_NS6detail17trampoline_kernelINS0_13select_configILj256ELj13ELNS0_17block_load_methodE3ELS4_3ELS4_3ELNS0_20block_scan_algorithmE0ELj4294967295EEENS1_25partition_config_selectorILNS1_17partition_subalgoE3EjNS0_10empty_typeEbEEZZNS1_14partition_implILS8_3ELb0ES6_jNS0_17counting_iteratorIjlEEPS9_SE_NS0_5tupleIJPjSE_EEENSF_IJSE_SE_EEES9_SG_JZNS1_25segmented_radix_sort_implINS0_14default_configELb1EPKhPhPKlPlN2at6native12_GLOBAL__N_18offset_tEEE10hipError_tPvRmT1_PNSt15iterator_traitsISY_E10value_typeET2_T3_PNSZ_IS14_E10value_typeET4_jRbjT5_S1A_jjP12ihipStream_tbEUljE_EEESV_SW_SX_S14_S18_S1A_T6_T7_T9_mT8_S1C_bDpT10_ENKUlT_T0_E_clISt17integral_constantIbLb1EES1P_EEDaS1K_S1L_EUlS1K_E_NS1_11comp_targetILNS1_3genE3ELNS1_11target_archE908ELNS1_3gpuE7ELNS1_3repE0EEENS1_30default_config_static_selectorELNS0_4arch9wavefront6targetE0EEEvSY_
                                        ; -- End function
	.set _ZN7rocprim17ROCPRIM_400000_NS6detail17trampoline_kernelINS0_13select_configILj256ELj13ELNS0_17block_load_methodE3ELS4_3ELS4_3ELNS0_20block_scan_algorithmE0ELj4294967295EEENS1_25partition_config_selectorILNS1_17partition_subalgoE3EjNS0_10empty_typeEbEEZZNS1_14partition_implILS8_3ELb0ES6_jNS0_17counting_iteratorIjlEEPS9_SE_NS0_5tupleIJPjSE_EEENSF_IJSE_SE_EEES9_SG_JZNS1_25segmented_radix_sort_implINS0_14default_configELb1EPKhPhPKlPlN2at6native12_GLOBAL__N_18offset_tEEE10hipError_tPvRmT1_PNSt15iterator_traitsISY_E10value_typeET2_T3_PNSZ_IS14_E10value_typeET4_jRbjT5_S1A_jjP12ihipStream_tbEUljE_EEESV_SW_SX_S14_S18_S1A_T6_T7_T9_mT8_S1C_bDpT10_ENKUlT_T0_E_clISt17integral_constantIbLb1EES1P_EEDaS1K_S1L_EUlS1K_E_NS1_11comp_targetILNS1_3genE3ELNS1_11target_archE908ELNS1_3gpuE7ELNS1_3repE0EEENS1_30default_config_static_selectorELNS0_4arch9wavefront6targetE0EEEvSY_.num_vgpr, 0
	.set _ZN7rocprim17ROCPRIM_400000_NS6detail17trampoline_kernelINS0_13select_configILj256ELj13ELNS0_17block_load_methodE3ELS4_3ELS4_3ELNS0_20block_scan_algorithmE0ELj4294967295EEENS1_25partition_config_selectorILNS1_17partition_subalgoE3EjNS0_10empty_typeEbEEZZNS1_14partition_implILS8_3ELb0ES6_jNS0_17counting_iteratorIjlEEPS9_SE_NS0_5tupleIJPjSE_EEENSF_IJSE_SE_EEES9_SG_JZNS1_25segmented_radix_sort_implINS0_14default_configELb1EPKhPhPKlPlN2at6native12_GLOBAL__N_18offset_tEEE10hipError_tPvRmT1_PNSt15iterator_traitsISY_E10value_typeET2_T3_PNSZ_IS14_E10value_typeET4_jRbjT5_S1A_jjP12ihipStream_tbEUljE_EEESV_SW_SX_S14_S18_S1A_T6_T7_T9_mT8_S1C_bDpT10_ENKUlT_T0_E_clISt17integral_constantIbLb1EES1P_EEDaS1K_S1L_EUlS1K_E_NS1_11comp_targetILNS1_3genE3ELNS1_11target_archE908ELNS1_3gpuE7ELNS1_3repE0EEENS1_30default_config_static_selectorELNS0_4arch9wavefront6targetE0EEEvSY_.num_agpr, 0
	.set _ZN7rocprim17ROCPRIM_400000_NS6detail17trampoline_kernelINS0_13select_configILj256ELj13ELNS0_17block_load_methodE3ELS4_3ELS4_3ELNS0_20block_scan_algorithmE0ELj4294967295EEENS1_25partition_config_selectorILNS1_17partition_subalgoE3EjNS0_10empty_typeEbEEZZNS1_14partition_implILS8_3ELb0ES6_jNS0_17counting_iteratorIjlEEPS9_SE_NS0_5tupleIJPjSE_EEENSF_IJSE_SE_EEES9_SG_JZNS1_25segmented_radix_sort_implINS0_14default_configELb1EPKhPhPKlPlN2at6native12_GLOBAL__N_18offset_tEEE10hipError_tPvRmT1_PNSt15iterator_traitsISY_E10value_typeET2_T3_PNSZ_IS14_E10value_typeET4_jRbjT5_S1A_jjP12ihipStream_tbEUljE_EEESV_SW_SX_S14_S18_S1A_T6_T7_T9_mT8_S1C_bDpT10_ENKUlT_T0_E_clISt17integral_constantIbLb1EES1P_EEDaS1K_S1L_EUlS1K_E_NS1_11comp_targetILNS1_3genE3ELNS1_11target_archE908ELNS1_3gpuE7ELNS1_3repE0EEENS1_30default_config_static_selectorELNS0_4arch9wavefront6targetE0EEEvSY_.numbered_sgpr, 0
	.set _ZN7rocprim17ROCPRIM_400000_NS6detail17trampoline_kernelINS0_13select_configILj256ELj13ELNS0_17block_load_methodE3ELS4_3ELS4_3ELNS0_20block_scan_algorithmE0ELj4294967295EEENS1_25partition_config_selectorILNS1_17partition_subalgoE3EjNS0_10empty_typeEbEEZZNS1_14partition_implILS8_3ELb0ES6_jNS0_17counting_iteratorIjlEEPS9_SE_NS0_5tupleIJPjSE_EEENSF_IJSE_SE_EEES9_SG_JZNS1_25segmented_radix_sort_implINS0_14default_configELb1EPKhPhPKlPlN2at6native12_GLOBAL__N_18offset_tEEE10hipError_tPvRmT1_PNSt15iterator_traitsISY_E10value_typeET2_T3_PNSZ_IS14_E10value_typeET4_jRbjT5_S1A_jjP12ihipStream_tbEUljE_EEESV_SW_SX_S14_S18_S1A_T6_T7_T9_mT8_S1C_bDpT10_ENKUlT_T0_E_clISt17integral_constantIbLb1EES1P_EEDaS1K_S1L_EUlS1K_E_NS1_11comp_targetILNS1_3genE3ELNS1_11target_archE908ELNS1_3gpuE7ELNS1_3repE0EEENS1_30default_config_static_selectorELNS0_4arch9wavefront6targetE0EEEvSY_.num_named_barrier, 0
	.set _ZN7rocprim17ROCPRIM_400000_NS6detail17trampoline_kernelINS0_13select_configILj256ELj13ELNS0_17block_load_methodE3ELS4_3ELS4_3ELNS0_20block_scan_algorithmE0ELj4294967295EEENS1_25partition_config_selectorILNS1_17partition_subalgoE3EjNS0_10empty_typeEbEEZZNS1_14partition_implILS8_3ELb0ES6_jNS0_17counting_iteratorIjlEEPS9_SE_NS0_5tupleIJPjSE_EEENSF_IJSE_SE_EEES9_SG_JZNS1_25segmented_radix_sort_implINS0_14default_configELb1EPKhPhPKlPlN2at6native12_GLOBAL__N_18offset_tEEE10hipError_tPvRmT1_PNSt15iterator_traitsISY_E10value_typeET2_T3_PNSZ_IS14_E10value_typeET4_jRbjT5_S1A_jjP12ihipStream_tbEUljE_EEESV_SW_SX_S14_S18_S1A_T6_T7_T9_mT8_S1C_bDpT10_ENKUlT_T0_E_clISt17integral_constantIbLb1EES1P_EEDaS1K_S1L_EUlS1K_E_NS1_11comp_targetILNS1_3genE3ELNS1_11target_archE908ELNS1_3gpuE7ELNS1_3repE0EEENS1_30default_config_static_selectorELNS0_4arch9wavefront6targetE0EEEvSY_.private_seg_size, 0
	.set _ZN7rocprim17ROCPRIM_400000_NS6detail17trampoline_kernelINS0_13select_configILj256ELj13ELNS0_17block_load_methodE3ELS4_3ELS4_3ELNS0_20block_scan_algorithmE0ELj4294967295EEENS1_25partition_config_selectorILNS1_17partition_subalgoE3EjNS0_10empty_typeEbEEZZNS1_14partition_implILS8_3ELb0ES6_jNS0_17counting_iteratorIjlEEPS9_SE_NS0_5tupleIJPjSE_EEENSF_IJSE_SE_EEES9_SG_JZNS1_25segmented_radix_sort_implINS0_14default_configELb1EPKhPhPKlPlN2at6native12_GLOBAL__N_18offset_tEEE10hipError_tPvRmT1_PNSt15iterator_traitsISY_E10value_typeET2_T3_PNSZ_IS14_E10value_typeET4_jRbjT5_S1A_jjP12ihipStream_tbEUljE_EEESV_SW_SX_S14_S18_S1A_T6_T7_T9_mT8_S1C_bDpT10_ENKUlT_T0_E_clISt17integral_constantIbLb1EES1P_EEDaS1K_S1L_EUlS1K_E_NS1_11comp_targetILNS1_3genE3ELNS1_11target_archE908ELNS1_3gpuE7ELNS1_3repE0EEENS1_30default_config_static_selectorELNS0_4arch9wavefront6targetE0EEEvSY_.uses_vcc, 0
	.set _ZN7rocprim17ROCPRIM_400000_NS6detail17trampoline_kernelINS0_13select_configILj256ELj13ELNS0_17block_load_methodE3ELS4_3ELS4_3ELNS0_20block_scan_algorithmE0ELj4294967295EEENS1_25partition_config_selectorILNS1_17partition_subalgoE3EjNS0_10empty_typeEbEEZZNS1_14partition_implILS8_3ELb0ES6_jNS0_17counting_iteratorIjlEEPS9_SE_NS0_5tupleIJPjSE_EEENSF_IJSE_SE_EEES9_SG_JZNS1_25segmented_radix_sort_implINS0_14default_configELb1EPKhPhPKlPlN2at6native12_GLOBAL__N_18offset_tEEE10hipError_tPvRmT1_PNSt15iterator_traitsISY_E10value_typeET2_T3_PNSZ_IS14_E10value_typeET4_jRbjT5_S1A_jjP12ihipStream_tbEUljE_EEESV_SW_SX_S14_S18_S1A_T6_T7_T9_mT8_S1C_bDpT10_ENKUlT_T0_E_clISt17integral_constantIbLb1EES1P_EEDaS1K_S1L_EUlS1K_E_NS1_11comp_targetILNS1_3genE3ELNS1_11target_archE908ELNS1_3gpuE7ELNS1_3repE0EEENS1_30default_config_static_selectorELNS0_4arch9wavefront6targetE0EEEvSY_.uses_flat_scratch, 0
	.set _ZN7rocprim17ROCPRIM_400000_NS6detail17trampoline_kernelINS0_13select_configILj256ELj13ELNS0_17block_load_methodE3ELS4_3ELS4_3ELNS0_20block_scan_algorithmE0ELj4294967295EEENS1_25partition_config_selectorILNS1_17partition_subalgoE3EjNS0_10empty_typeEbEEZZNS1_14partition_implILS8_3ELb0ES6_jNS0_17counting_iteratorIjlEEPS9_SE_NS0_5tupleIJPjSE_EEENSF_IJSE_SE_EEES9_SG_JZNS1_25segmented_radix_sort_implINS0_14default_configELb1EPKhPhPKlPlN2at6native12_GLOBAL__N_18offset_tEEE10hipError_tPvRmT1_PNSt15iterator_traitsISY_E10value_typeET2_T3_PNSZ_IS14_E10value_typeET4_jRbjT5_S1A_jjP12ihipStream_tbEUljE_EEESV_SW_SX_S14_S18_S1A_T6_T7_T9_mT8_S1C_bDpT10_ENKUlT_T0_E_clISt17integral_constantIbLb1EES1P_EEDaS1K_S1L_EUlS1K_E_NS1_11comp_targetILNS1_3genE3ELNS1_11target_archE908ELNS1_3gpuE7ELNS1_3repE0EEENS1_30default_config_static_selectorELNS0_4arch9wavefront6targetE0EEEvSY_.has_dyn_sized_stack, 0
	.set _ZN7rocprim17ROCPRIM_400000_NS6detail17trampoline_kernelINS0_13select_configILj256ELj13ELNS0_17block_load_methodE3ELS4_3ELS4_3ELNS0_20block_scan_algorithmE0ELj4294967295EEENS1_25partition_config_selectorILNS1_17partition_subalgoE3EjNS0_10empty_typeEbEEZZNS1_14partition_implILS8_3ELb0ES6_jNS0_17counting_iteratorIjlEEPS9_SE_NS0_5tupleIJPjSE_EEENSF_IJSE_SE_EEES9_SG_JZNS1_25segmented_radix_sort_implINS0_14default_configELb1EPKhPhPKlPlN2at6native12_GLOBAL__N_18offset_tEEE10hipError_tPvRmT1_PNSt15iterator_traitsISY_E10value_typeET2_T3_PNSZ_IS14_E10value_typeET4_jRbjT5_S1A_jjP12ihipStream_tbEUljE_EEESV_SW_SX_S14_S18_S1A_T6_T7_T9_mT8_S1C_bDpT10_ENKUlT_T0_E_clISt17integral_constantIbLb1EES1P_EEDaS1K_S1L_EUlS1K_E_NS1_11comp_targetILNS1_3genE3ELNS1_11target_archE908ELNS1_3gpuE7ELNS1_3repE0EEENS1_30default_config_static_selectorELNS0_4arch9wavefront6targetE0EEEvSY_.has_recursion, 0
	.set _ZN7rocprim17ROCPRIM_400000_NS6detail17trampoline_kernelINS0_13select_configILj256ELj13ELNS0_17block_load_methodE3ELS4_3ELS4_3ELNS0_20block_scan_algorithmE0ELj4294967295EEENS1_25partition_config_selectorILNS1_17partition_subalgoE3EjNS0_10empty_typeEbEEZZNS1_14partition_implILS8_3ELb0ES6_jNS0_17counting_iteratorIjlEEPS9_SE_NS0_5tupleIJPjSE_EEENSF_IJSE_SE_EEES9_SG_JZNS1_25segmented_radix_sort_implINS0_14default_configELb1EPKhPhPKlPlN2at6native12_GLOBAL__N_18offset_tEEE10hipError_tPvRmT1_PNSt15iterator_traitsISY_E10value_typeET2_T3_PNSZ_IS14_E10value_typeET4_jRbjT5_S1A_jjP12ihipStream_tbEUljE_EEESV_SW_SX_S14_S18_S1A_T6_T7_T9_mT8_S1C_bDpT10_ENKUlT_T0_E_clISt17integral_constantIbLb1EES1P_EEDaS1K_S1L_EUlS1K_E_NS1_11comp_targetILNS1_3genE3ELNS1_11target_archE908ELNS1_3gpuE7ELNS1_3repE0EEENS1_30default_config_static_selectorELNS0_4arch9wavefront6targetE0EEEvSY_.has_indirect_call, 0
	.section	.AMDGPU.csdata,"",@progbits
; Kernel info:
; codeLenInByte = 0
; TotalNumSgprs: 0
; NumVgprs: 0
; ScratchSize: 0
; MemoryBound: 0
; FloatMode: 240
; IeeeMode: 1
; LDSByteSize: 0 bytes/workgroup (compile time only)
; SGPRBlocks: 0
; VGPRBlocks: 0
; NumSGPRsForWavesPerEU: 1
; NumVGPRsForWavesPerEU: 1
; Occupancy: 16
; WaveLimiterHint : 0
; COMPUTE_PGM_RSRC2:SCRATCH_EN: 0
; COMPUTE_PGM_RSRC2:USER_SGPR: 6
; COMPUTE_PGM_RSRC2:TRAP_HANDLER: 0
; COMPUTE_PGM_RSRC2:TGID_X_EN: 1
; COMPUTE_PGM_RSRC2:TGID_Y_EN: 0
; COMPUTE_PGM_RSRC2:TGID_Z_EN: 0
; COMPUTE_PGM_RSRC2:TIDIG_COMP_CNT: 0
	.section	.text._ZN7rocprim17ROCPRIM_400000_NS6detail17trampoline_kernelINS0_13select_configILj256ELj13ELNS0_17block_load_methodE3ELS4_3ELS4_3ELNS0_20block_scan_algorithmE0ELj4294967295EEENS1_25partition_config_selectorILNS1_17partition_subalgoE3EjNS0_10empty_typeEbEEZZNS1_14partition_implILS8_3ELb0ES6_jNS0_17counting_iteratorIjlEEPS9_SE_NS0_5tupleIJPjSE_EEENSF_IJSE_SE_EEES9_SG_JZNS1_25segmented_radix_sort_implINS0_14default_configELb1EPKhPhPKlPlN2at6native12_GLOBAL__N_18offset_tEEE10hipError_tPvRmT1_PNSt15iterator_traitsISY_E10value_typeET2_T3_PNSZ_IS14_E10value_typeET4_jRbjT5_S1A_jjP12ihipStream_tbEUljE_EEESV_SW_SX_S14_S18_S1A_T6_T7_T9_mT8_S1C_bDpT10_ENKUlT_T0_E_clISt17integral_constantIbLb1EES1P_EEDaS1K_S1L_EUlS1K_E_NS1_11comp_targetILNS1_3genE2ELNS1_11target_archE906ELNS1_3gpuE6ELNS1_3repE0EEENS1_30default_config_static_selectorELNS0_4arch9wavefront6targetE0EEEvSY_,"axG",@progbits,_ZN7rocprim17ROCPRIM_400000_NS6detail17trampoline_kernelINS0_13select_configILj256ELj13ELNS0_17block_load_methodE3ELS4_3ELS4_3ELNS0_20block_scan_algorithmE0ELj4294967295EEENS1_25partition_config_selectorILNS1_17partition_subalgoE3EjNS0_10empty_typeEbEEZZNS1_14partition_implILS8_3ELb0ES6_jNS0_17counting_iteratorIjlEEPS9_SE_NS0_5tupleIJPjSE_EEENSF_IJSE_SE_EEES9_SG_JZNS1_25segmented_radix_sort_implINS0_14default_configELb1EPKhPhPKlPlN2at6native12_GLOBAL__N_18offset_tEEE10hipError_tPvRmT1_PNSt15iterator_traitsISY_E10value_typeET2_T3_PNSZ_IS14_E10value_typeET4_jRbjT5_S1A_jjP12ihipStream_tbEUljE_EEESV_SW_SX_S14_S18_S1A_T6_T7_T9_mT8_S1C_bDpT10_ENKUlT_T0_E_clISt17integral_constantIbLb1EES1P_EEDaS1K_S1L_EUlS1K_E_NS1_11comp_targetILNS1_3genE2ELNS1_11target_archE906ELNS1_3gpuE6ELNS1_3repE0EEENS1_30default_config_static_selectorELNS0_4arch9wavefront6targetE0EEEvSY_,comdat
	.globl	_ZN7rocprim17ROCPRIM_400000_NS6detail17trampoline_kernelINS0_13select_configILj256ELj13ELNS0_17block_load_methodE3ELS4_3ELS4_3ELNS0_20block_scan_algorithmE0ELj4294967295EEENS1_25partition_config_selectorILNS1_17partition_subalgoE3EjNS0_10empty_typeEbEEZZNS1_14partition_implILS8_3ELb0ES6_jNS0_17counting_iteratorIjlEEPS9_SE_NS0_5tupleIJPjSE_EEENSF_IJSE_SE_EEES9_SG_JZNS1_25segmented_radix_sort_implINS0_14default_configELb1EPKhPhPKlPlN2at6native12_GLOBAL__N_18offset_tEEE10hipError_tPvRmT1_PNSt15iterator_traitsISY_E10value_typeET2_T3_PNSZ_IS14_E10value_typeET4_jRbjT5_S1A_jjP12ihipStream_tbEUljE_EEESV_SW_SX_S14_S18_S1A_T6_T7_T9_mT8_S1C_bDpT10_ENKUlT_T0_E_clISt17integral_constantIbLb1EES1P_EEDaS1K_S1L_EUlS1K_E_NS1_11comp_targetILNS1_3genE2ELNS1_11target_archE906ELNS1_3gpuE6ELNS1_3repE0EEENS1_30default_config_static_selectorELNS0_4arch9wavefront6targetE0EEEvSY_ ; -- Begin function _ZN7rocprim17ROCPRIM_400000_NS6detail17trampoline_kernelINS0_13select_configILj256ELj13ELNS0_17block_load_methodE3ELS4_3ELS4_3ELNS0_20block_scan_algorithmE0ELj4294967295EEENS1_25partition_config_selectorILNS1_17partition_subalgoE3EjNS0_10empty_typeEbEEZZNS1_14partition_implILS8_3ELb0ES6_jNS0_17counting_iteratorIjlEEPS9_SE_NS0_5tupleIJPjSE_EEENSF_IJSE_SE_EEES9_SG_JZNS1_25segmented_radix_sort_implINS0_14default_configELb1EPKhPhPKlPlN2at6native12_GLOBAL__N_18offset_tEEE10hipError_tPvRmT1_PNSt15iterator_traitsISY_E10value_typeET2_T3_PNSZ_IS14_E10value_typeET4_jRbjT5_S1A_jjP12ihipStream_tbEUljE_EEESV_SW_SX_S14_S18_S1A_T6_T7_T9_mT8_S1C_bDpT10_ENKUlT_T0_E_clISt17integral_constantIbLb1EES1P_EEDaS1K_S1L_EUlS1K_E_NS1_11comp_targetILNS1_3genE2ELNS1_11target_archE906ELNS1_3gpuE6ELNS1_3repE0EEENS1_30default_config_static_selectorELNS0_4arch9wavefront6targetE0EEEvSY_
	.p2align	8
	.type	_ZN7rocprim17ROCPRIM_400000_NS6detail17trampoline_kernelINS0_13select_configILj256ELj13ELNS0_17block_load_methodE3ELS4_3ELS4_3ELNS0_20block_scan_algorithmE0ELj4294967295EEENS1_25partition_config_selectorILNS1_17partition_subalgoE3EjNS0_10empty_typeEbEEZZNS1_14partition_implILS8_3ELb0ES6_jNS0_17counting_iteratorIjlEEPS9_SE_NS0_5tupleIJPjSE_EEENSF_IJSE_SE_EEES9_SG_JZNS1_25segmented_radix_sort_implINS0_14default_configELb1EPKhPhPKlPlN2at6native12_GLOBAL__N_18offset_tEEE10hipError_tPvRmT1_PNSt15iterator_traitsISY_E10value_typeET2_T3_PNSZ_IS14_E10value_typeET4_jRbjT5_S1A_jjP12ihipStream_tbEUljE_EEESV_SW_SX_S14_S18_S1A_T6_T7_T9_mT8_S1C_bDpT10_ENKUlT_T0_E_clISt17integral_constantIbLb1EES1P_EEDaS1K_S1L_EUlS1K_E_NS1_11comp_targetILNS1_3genE2ELNS1_11target_archE906ELNS1_3gpuE6ELNS1_3repE0EEENS1_30default_config_static_selectorELNS0_4arch9wavefront6targetE0EEEvSY_,@function
_ZN7rocprim17ROCPRIM_400000_NS6detail17trampoline_kernelINS0_13select_configILj256ELj13ELNS0_17block_load_methodE3ELS4_3ELS4_3ELNS0_20block_scan_algorithmE0ELj4294967295EEENS1_25partition_config_selectorILNS1_17partition_subalgoE3EjNS0_10empty_typeEbEEZZNS1_14partition_implILS8_3ELb0ES6_jNS0_17counting_iteratorIjlEEPS9_SE_NS0_5tupleIJPjSE_EEENSF_IJSE_SE_EEES9_SG_JZNS1_25segmented_radix_sort_implINS0_14default_configELb1EPKhPhPKlPlN2at6native12_GLOBAL__N_18offset_tEEE10hipError_tPvRmT1_PNSt15iterator_traitsISY_E10value_typeET2_T3_PNSZ_IS14_E10value_typeET4_jRbjT5_S1A_jjP12ihipStream_tbEUljE_EEESV_SW_SX_S14_S18_S1A_T6_T7_T9_mT8_S1C_bDpT10_ENKUlT_T0_E_clISt17integral_constantIbLb1EES1P_EEDaS1K_S1L_EUlS1K_E_NS1_11comp_targetILNS1_3genE2ELNS1_11target_archE906ELNS1_3gpuE6ELNS1_3repE0EEENS1_30default_config_static_selectorELNS0_4arch9wavefront6targetE0EEEvSY_: ; @_ZN7rocprim17ROCPRIM_400000_NS6detail17trampoline_kernelINS0_13select_configILj256ELj13ELNS0_17block_load_methodE3ELS4_3ELS4_3ELNS0_20block_scan_algorithmE0ELj4294967295EEENS1_25partition_config_selectorILNS1_17partition_subalgoE3EjNS0_10empty_typeEbEEZZNS1_14partition_implILS8_3ELb0ES6_jNS0_17counting_iteratorIjlEEPS9_SE_NS0_5tupleIJPjSE_EEENSF_IJSE_SE_EEES9_SG_JZNS1_25segmented_radix_sort_implINS0_14default_configELb1EPKhPhPKlPlN2at6native12_GLOBAL__N_18offset_tEEE10hipError_tPvRmT1_PNSt15iterator_traitsISY_E10value_typeET2_T3_PNSZ_IS14_E10value_typeET4_jRbjT5_S1A_jjP12ihipStream_tbEUljE_EEESV_SW_SX_S14_S18_S1A_T6_T7_T9_mT8_S1C_bDpT10_ENKUlT_T0_E_clISt17integral_constantIbLb1EES1P_EEDaS1K_S1L_EUlS1K_E_NS1_11comp_targetILNS1_3genE2ELNS1_11target_archE906ELNS1_3gpuE6ELNS1_3repE0EEENS1_30default_config_static_selectorELNS0_4arch9wavefront6targetE0EEEvSY_
; %bb.0:
	.section	.rodata,"a",@progbits
	.p2align	6, 0x0
	.amdhsa_kernel _ZN7rocprim17ROCPRIM_400000_NS6detail17trampoline_kernelINS0_13select_configILj256ELj13ELNS0_17block_load_methodE3ELS4_3ELS4_3ELNS0_20block_scan_algorithmE0ELj4294967295EEENS1_25partition_config_selectorILNS1_17partition_subalgoE3EjNS0_10empty_typeEbEEZZNS1_14partition_implILS8_3ELb0ES6_jNS0_17counting_iteratorIjlEEPS9_SE_NS0_5tupleIJPjSE_EEENSF_IJSE_SE_EEES9_SG_JZNS1_25segmented_radix_sort_implINS0_14default_configELb1EPKhPhPKlPlN2at6native12_GLOBAL__N_18offset_tEEE10hipError_tPvRmT1_PNSt15iterator_traitsISY_E10value_typeET2_T3_PNSZ_IS14_E10value_typeET4_jRbjT5_S1A_jjP12ihipStream_tbEUljE_EEESV_SW_SX_S14_S18_S1A_T6_T7_T9_mT8_S1C_bDpT10_ENKUlT_T0_E_clISt17integral_constantIbLb1EES1P_EEDaS1K_S1L_EUlS1K_E_NS1_11comp_targetILNS1_3genE2ELNS1_11target_archE906ELNS1_3gpuE6ELNS1_3repE0EEENS1_30default_config_static_selectorELNS0_4arch9wavefront6targetE0EEEvSY_
		.amdhsa_group_segment_fixed_size 0
		.amdhsa_private_segment_fixed_size 0
		.amdhsa_kernarg_size 152
		.amdhsa_user_sgpr_count 6
		.amdhsa_user_sgpr_private_segment_buffer 1
		.amdhsa_user_sgpr_dispatch_ptr 0
		.amdhsa_user_sgpr_queue_ptr 0
		.amdhsa_user_sgpr_kernarg_segment_ptr 1
		.amdhsa_user_sgpr_dispatch_id 0
		.amdhsa_user_sgpr_flat_scratch_init 0
		.amdhsa_user_sgpr_private_segment_size 0
		.amdhsa_wavefront_size32 1
		.amdhsa_uses_dynamic_stack 0
		.amdhsa_system_sgpr_private_segment_wavefront_offset 0
		.amdhsa_system_sgpr_workgroup_id_x 1
		.amdhsa_system_sgpr_workgroup_id_y 0
		.amdhsa_system_sgpr_workgroup_id_z 0
		.amdhsa_system_sgpr_workgroup_info 0
		.amdhsa_system_vgpr_workitem_id 0
		.amdhsa_next_free_vgpr 1
		.amdhsa_next_free_sgpr 1
		.amdhsa_reserve_vcc 0
		.amdhsa_reserve_flat_scratch 0
		.amdhsa_float_round_mode_32 0
		.amdhsa_float_round_mode_16_64 0
		.amdhsa_float_denorm_mode_32 3
		.amdhsa_float_denorm_mode_16_64 3
		.amdhsa_dx10_clamp 1
		.amdhsa_ieee_mode 1
		.amdhsa_fp16_overflow 0
		.amdhsa_workgroup_processor_mode 1
		.amdhsa_memory_ordered 1
		.amdhsa_forward_progress 1
		.amdhsa_shared_vgpr_count 0
		.amdhsa_exception_fp_ieee_invalid_op 0
		.amdhsa_exception_fp_denorm_src 0
		.amdhsa_exception_fp_ieee_div_zero 0
		.amdhsa_exception_fp_ieee_overflow 0
		.amdhsa_exception_fp_ieee_underflow 0
		.amdhsa_exception_fp_ieee_inexact 0
		.amdhsa_exception_int_div_zero 0
	.end_amdhsa_kernel
	.section	.text._ZN7rocprim17ROCPRIM_400000_NS6detail17trampoline_kernelINS0_13select_configILj256ELj13ELNS0_17block_load_methodE3ELS4_3ELS4_3ELNS0_20block_scan_algorithmE0ELj4294967295EEENS1_25partition_config_selectorILNS1_17partition_subalgoE3EjNS0_10empty_typeEbEEZZNS1_14partition_implILS8_3ELb0ES6_jNS0_17counting_iteratorIjlEEPS9_SE_NS0_5tupleIJPjSE_EEENSF_IJSE_SE_EEES9_SG_JZNS1_25segmented_radix_sort_implINS0_14default_configELb1EPKhPhPKlPlN2at6native12_GLOBAL__N_18offset_tEEE10hipError_tPvRmT1_PNSt15iterator_traitsISY_E10value_typeET2_T3_PNSZ_IS14_E10value_typeET4_jRbjT5_S1A_jjP12ihipStream_tbEUljE_EEESV_SW_SX_S14_S18_S1A_T6_T7_T9_mT8_S1C_bDpT10_ENKUlT_T0_E_clISt17integral_constantIbLb1EES1P_EEDaS1K_S1L_EUlS1K_E_NS1_11comp_targetILNS1_3genE2ELNS1_11target_archE906ELNS1_3gpuE6ELNS1_3repE0EEENS1_30default_config_static_selectorELNS0_4arch9wavefront6targetE0EEEvSY_,"axG",@progbits,_ZN7rocprim17ROCPRIM_400000_NS6detail17trampoline_kernelINS0_13select_configILj256ELj13ELNS0_17block_load_methodE3ELS4_3ELS4_3ELNS0_20block_scan_algorithmE0ELj4294967295EEENS1_25partition_config_selectorILNS1_17partition_subalgoE3EjNS0_10empty_typeEbEEZZNS1_14partition_implILS8_3ELb0ES6_jNS0_17counting_iteratorIjlEEPS9_SE_NS0_5tupleIJPjSE_EEENSF_IJSE_SE_EEES9_SG_JZNS1_25segmented_radix_sort_implINS0_14default_configELb1EPKhPhPKlPlN2at6native12_GLOBAL__N_18offset_tEEE10hipError_tPvRmT1_PNSt15iterator_traitsISY_E10value_typeET2_T3_PNSZ_IS14_E10value_typeET4_jRbjT5_S1A_jjP12ihipStream_tbEUljE_EEESV_SW_SX_S14_S18_S1A_T6_T7_T9_mT8_S1C_bDpT10_ENKUlT_T0_E_clISt17integral_constantIbLb1EES1P_EEDaS1K_S1L_EUlS1K_E_NS1_11comp_targetILNS1_3genE2ELNS1_11target_archE906ELNS1_3gpuE6ELNS1_3repE0EEENS1_30default_config_static_selectorELNS0_4arch9wavefront6targetE0EEEvSY_,comdat
.Lfunc_end61:
	.size	_ZN7rocprim17ROCPRIM_400000_NS6detail17trampoline_kernelINS0_13select_configILj256ELj13ELNS0_17block_load_methodE3ELS4_3ELS4_3ELNS0_20block_scan_algorithmE0ELj4294967295EEENS1_25partition_config_selectorILNS1_17partition_subalgoE3EjNS0_10empty_typeEbEEZZNS1_14partition_implILS8_3ELb0ES6_jNS0_17counting_iteratorIjlEEPS9_SE_NS0_5tupleIJPjSE_EEENSF_IJSE_SE_EEES9_SG_JZNS1_25segmented_radix_sort_implINS0_14default_configELb1EPKhPhPKlPlN2at6native12_GLOBAL__N_18offset_tEEE10hipError_tPvRmT1_PNSt15iterator_traitsISY_E10value_typeET2_T3_PNSZ_IS14_E10value_typeET4_jRbjT5_S1A_jjP12ihipStream_tbEUljE_EEESV_SW_SX_S14_S18_S1A_T6_T7_T9_mT8_S1C_bDpT10_ENKUlT_T0_E_clISt17integral_constantIbLb1EES1P_EEDaS1K_S1L_EUlS1K_E_NS1_11comp_targetILNS1_3genE2ELNS1_11target_archE906ELNS1_3gpuE6ELNS1_3repE0EEENS1_30default_config_static_selectorELNS0_4arch9wavefront6targetE0EEEvSY_, .Lfunc_end61-_ZN7rocprim17ROCPRIM_400000_NS6detail17trampoline_kernelINS0_13select_configILj256ELj13ELNS0_17block_load_methodE3ELS4_3ELS4_3ELNS0_20block_scan_algorithmE0ELj4294967295EEENS1_25partition_config_selectorILNS1_17partition_subalgoE3EjNS0_10empty_typeEbEEZZNS1_14partition_implILS8_3ELb0ES6_jNS0_17counting_iteratorIjlEEPS9_SE_NS0_5tupleIJPjSE_EEENSF_IJSE_SE_EEES9_SG_JZNS1_25segmented_radix_sort_implINS0_14default_configELb1EPKhPhPKlPlN2at6native12_GLOBAL__N_18offset_tEEE10hipError_tPvRmT1_PNSt15iterator_traitsISY_E10value_typeET2_T3_PNSZ_IS14_E10value_typeET4_jRbjT5_S1A_jjP12ihipStream_tbEUljE_EEESV_SW_SX_S14_S18_S1A_T6_T7_T9_mT8_S1C_bDpT10_ENKUlT_T0_E_clISt17integral_constantIbLb1EES1P_EEDaS1K_S1L_EUlS1K_E_NS1_11comp_targetILNS1_3genE2ELNS1_11target_archE906ELNS1_3gpuE6ELNS1_3repE0EEENS1_30default_config_static_selectorELNS0_4arch9wavefront6targetE0EEEvSY_
                                        ; -- End function
	.set _ZN7rocprim17ROCPRIM_400000_NS6detail17trampoline_kernelINS0_13select_configILj256ELj13ELNS0_17block_load_methodE3ELS4_3ELS4_3ELNS0_20block_scan_algorithmE0ELj4294967295EEENS1_25partition_config_selectorILNS1_17partition_subalgoE3EjNS0_10empty_typeEbEEZZNS1_14partition_implILS8_3ELb0ES6_jNS0_17counting_iteratorIjlEEPS9_SE_NS0_5tupleIJPjSE_EEENSF_IJSE_SE_EEES9_SG_JZNS1_25segmented_radix_sort_implINS0_14default_configELb1EPKhPhPKlPlN2at6native12_GLOBAL__N_18offset_tEEE10hipError_tPvRmT1_PNSt15iterator_traitsISY_E10value_typeET2_T3_PNSZ_IS14_E10value_typeET4_jRbjT5_S1A_jjP12ihipStream_tbEUljE_EEESV_SW_SX_S14_S18_S1A_T6_T7_T9_mT8_S1C_bDpT10_ENKUlT_T0_E_clISt17integral_constantIbLb1EES1P_EEDaS1K_S1L_EUlS1K_E_NS1_11comp_targetILNS1_3genE2ELNS1_11target_archE906ELNS1_3gpuE6ELNS1_3repE0EEENS1_30default_config_static_selectorELNS0_4arch9wavefront6targetE0EEEvSY_.num_vgpr, 0
	.set _ZN7rocprim17ROCPRIM_400000_NS6detail17trampoline_kernelINS0_13select_configILj256ELj13ELNS0_17block_load_methodE3ELS4_3ELS4_3ELNS0_20block_scan_algorithmE0ELj4294967295EEENS1_25partition_config_selectorILNS1_17partition_subalgoE3EjNS0_10empty_typeEbEEZZNS1_14partition_implILS8_3ELb0ES6_jNS0_17counting_iteratorIjlEEPS9_SE_NS0_5tupleIJPjSE_EEENSF_IJSE_SE_EEES9_SG_JZNS1_25segmented_radix_sort_implINS0_14default_configELb1EPKhPhPKlPlN2at6native12_GLOBAL__N_18offset_tEEE10hipError_tPvRmT1_PNSt15iterator_traitsISY_E10value_typeET2_T3_PNSZ_IS14_E10value_typeET4_jRbjT5_S1A_jjP12ihipStream_tbEUljE_EEESV_SW_SX_S14_S18_S1A_T6_T7_T9_mT8_S1C_bDpT10_ENKUlT_T0_E_clISt17integral_constantIbLb1EES1P_EEDaS1K_S1L_EUlS1K_E_NS1_11comp_targetILNS1_3genE2ELNS1_11target_archE906ELNS1_3gpuE6ELNS1_3repE0EEENS1_30default_config_static_selectorELNS0_4arch9wavefront6targetE0EEEvSY_.num_agpr, 0
	.set _ZN7rocprim17ROCPRIM_400000_NS6detail17trampoline_kernelINS0_13select_configILj256ELj13ELNS0_17block_load_methodE3ELS4_3ELS4_3ELNS0_20block_scan_algorithmE0ELj4294967295EEENS1_25partition_config_selectorILNS1_17partition_subalgoE3EjNS0_10empty_typeEbEEZZNS1_14partition_implILS8_3ELb0ES6_jNS0_17counting_iteratorIjlEEPS9_SE_NS0_5tupleIJPjSE_EEENSF_IJSE_SE_EEES9_SG_JZNS1_25segmented_radix_sort_implINS0_14default_configELb1EPKhPhPKlPlN2at6native12_GLOBAL__N_18offset_tEEE10hipError_tPvRmT1_PNSt15iterator_traitsISY_E10value_typeET2_T3_PNSZ_IS14_E10value_typeET4_jRbjT5_S1A_jjP12ihipStream_tbEUljE_EEESV_SW_SX_S14_S18_S1A_T6_T7_T9_mT8_S1C_bDpT10_ENKUlT_T0_E_clISt17integral_constantIbLb1EES1P_EEDaS1K_S1L_EUlS1K_E_NS1_11comp_targetILNS1_3genE2ELNS1_11target_archE906ELNS1_3gpuE6ELNS1_3repE0EEENS1_30default_config_static_selectorELNS0_4arch9wavefront6targetE0EEEvSY_.numbered_sgpr, 0
	.set _ZN7rocprim17ROCPRIM_400000_NS6detail17trampoline_kernelINS0_13select_configILj256ELj13ELNS0_17block_load_methodE3ELS4_3ELS4_3ELNS0_20block_scan_algorithmE0ELj4294967295EEENS1_25partition_config_selectorILNS1_17partition_subalgoE3EjNS0_10empty_typeEbEEZZNS1_14partition_implILS8_3ELb0ES6_jNS0_17counting_iteratorIjlEEPS9_SE_NS0_5tupleIJPjSE_EEENSF_IJSE_SE_EEES9_SG_JZNS1_25segmented_radix_sort_implINS0_14default_configELb1EPKhPhPKlPlN2at6native12_GLOBAL__N_18offset_tEEE10hipError_tPvRmT1_PNSt15iterator_traitsISY_E10value_typeET2_T3_PNSZ_IS14_E10value_typeET4_jRbjT5_S1A_jjP12ihipStream_tbEUljE_EEESV_SW_SX_S14_S18_S1A_T6_T7_T9_mT8_S1C_bDpT10_ENKUlT_T0_E_clISt17integral_constantIbLb1EES1P_EEDaS1K_S1L_EUlS1K_E_NS1_11comp_targetILNS1_3genE2ELNS1_11target_archE906ELNS1_3gpuE6ELNS1_3repE0EEENS1_30default_config_static_selectorELNS0_4arch9wavefront6targetE0EEEvSY_.num_named_barrier, 0
	.set _ZN7rocprim17ROCPRIM_400000_NS6detail17trampoline_kernelINS0_13select_configILj256ELj13ELNS0_17block_load_methodE3ELS4_3ELS4_3ELNS0_20block_scan_algorithmE0ELj4294967295EEENS1_25partition_config_selectorILNS1_17partition_subalgoE3EjNS0_10empty_typeEbEEZZNS1_14partition_implILS8_3ELb0ES6_jNS0_17counting_iteratorIjlEEPS9_SE_NS0_5tupleIJPjSE_EEENSF_IJSE_SE_EEES9_SG_JZNS1_25segmented_radix_sort_implINS0_14default_configELb1EPKhPhPKlPlN2at6native12_GLOBAL__N_18offset_tEEE10hipError_tPvRmT1_PNSt15iterator_traitsISY_E10value_typeET2_T3_PNSZ_IS14_E10value_typeET4_jRbjT5_S1A_jjP12ihipStream_tbEUljE_EEESV_SW_SX_S14_S18_S1A_T6_T7_T9_mT8_S1C_bDpT10_ENKUlT_T0_E_clISt17integral_constantIbLb1EES1P_EEDaS1K_S1L_EUlS1K_E_NS1_11comp_targetILNS1_3genE2ELNS1_11target_archE906ELNS1_3gpuE6ELNS1_3repE0EEENS1_30default_config_static_selectorELNS0_4arch9wavefront6targetE0EEEvSY_.private_seg_size, 0
	.set _ZN7rocprim17ROCPRIM_400000_NS6detail17trampoline_kernelINS0_13select_configILj256ELj13ELNS0_17block_load_methodE3ELS4_3ELS4_3ELNS0_20block_scan_algorithmE0ELj4294967295EEENS1_25partition_config_selectorILNS1_17partition_subalgoE3EjNS0_10empty_typeEbEEZZNS1_14partition_implILS8_3ELb0ES6_jNS0_17counting_iteratorIjlEEPS9_SE_NS0_5tupleIJPjSE_EEENSF_IJSE_SE_EEES9_SG_JZNS1_25segmented_radix_sort_implINS0_14default_configELb1EPKhPhPKlPlN2at6native12_GLOBAL__N_18offset_tEEE10hipError_tPvRmT1_PNSt15iterator_traitsISY_E10value_typeET2_T3_PNSZ_IS14_E10value_typeET4_jRbjT5_S1A_jjP12ihipStream_tbEUljE_EEESV_SW_SX_S14_S18_S1A_T6_T7_T9_mT8_S1C_bDpT10_ENKUlT_T0_E_clISt17integral_constantIbLb1EES1P_EEDaS1K_S1L_EUlS1K_E_NS1_11comp_targetILNS1_3genE2ELNS1_11target_archE906ELNS1_3gpuE6ELNS1_3repE0EEENS1_30default_config_static_selectorELNS0_4arch9wavefront6targetE0EEEvSY_.uses_vcc, 0
	.set _ZN7rocprim17ROCPRIM_400000_NS6detail17trampoline_kernelINS0_13select_configILj256ELj13ELNS0_17block_load_methodE3ELS4_3ELS4_3ELNS0_20block_scan_algorithmE0ELj4294967295EEENS1_25partition_config_selectorILNS1_17partition_subalgoE3EjNS0_10empty_typeEbEEZZNS1_14partition_implILS8_3ELb0ES6_jNS0_17counting_iteratorIjlEEPS9_SE_NS0_5tupleIJPjSE_EEENSF_IJSE_SE_EEES9_SG_JZNS1_25segmented_radix_sort_implINS0_14default_configELb1EPKhPhPKlPlN2at6native12_GLOBAL__N_18offset_tEEE10hipError_tPvRmT1_PNSt15iterator_traitsISY_E10value_typeET2_T3_PNSZ_IS14_E10value_typeET4_jRbjT5_S1A_jjP12ihipStream_tbEUljE_EEESV_SW_SX_S14_S18_S1A_T6_T7_T9_mT8_S1C_bDpT10_ENKUlT_T0_E_clISt17integral_constantIbLb1EES1P_EEDaS1K_S1L_EUlS1K_E_NS1_11comp_targetILNS1_3genE2ELNS1_11target_archE906ELNS1_3gpuE6ELNS1_3repE0EEENS1_30default_config_static_selectorELNS0_4arch9wavefront6targetE0EEEvSY_.uses_flat_scratch, 0
	.set _ZN7rocprim17ROCPRIM_400000_NS6detail17trampoline_kernelINS0_13select_configILj256ELj13ELNS0_17block_load_methodE3ELS4_3ELS4_3ELNS0_20block_scan_algorithmE0ELj4294967295EEENS1_25partition_config_selectorILNS1_17partition_subalgoE3EjNS0_10empty_typeEbEEZZNS1_14partition_implILS8_3ELb0ES6_jNS0_17counting_iteratorIjlEEPS9_SE_NS0_5tupleIJPjSE_EEENSF_IJSE_SE_EEES9_SG_JZNS1_25segmented_radix_sort_implINS0_14default_configELb1EPKhPhPKlPlN2at6native12_GLOBAL__N_18offset_tEEE10hipError_tPvRmT1_PNSt15iterator_traitsISY_E10value_typeET2_T3_PNSZ_IS14_E10value_typeET4_jRbjT5_S1A_jjP12ihipStream_tbEUljE_EEESV_SW_SX_S14_S18_S1A_T6_T7_T9_mT8_S1C_bDpT10_ENKUlT_T0_E_clISt17integral_constantIbLb1EES1P_EEDaS1K_S1L_EUlS1K_E_NS1_11comp_targetILNS1_3genE2ELNS1_11target_archE906ELNS1_3gpuE6ELNS1_3repE0EEENS1_30default_config_static_selectorELNS0_4arch9wavefront6targetE0EEEvSY_.has_dyn_sized_stack, 0
	.set _ZN7rocprim17ROCPRIM_400000_NS6detail17trampoline_kernelINS0_13select_configILj256ELj13ELNS0_17block_load_methodE3ELS4_3ELS4_3ELNS0_20block_scan_algorithmE0ELj4294967295EEENS1_25partition_config_selectorILNS1_17partition_subalgoE3EjNS0_10empty_typeEbEEZZNS1_14partition_implILS8_3ELb0ES6_jNS0_17counting_iteratorIjlEEPS9_SE_NS0_5tupleIJPjSE_EEENSF_IJSE_SE_EEES9_SG_JZNS1_25segmented_radix_sort_implINS0_14default_configELb1EPKhPhPKlPlN2at6native12_GLOBAL__N_18offset_tEEE10hipError_tPvRmT1_PNSt15iterator_traitsISY_E10value_typeET2_T3_PNSZ_IS14_E10value_typeET4_jRbjT5_S1A_jjP12ihipStream_tbEUljE_EEESV_SW_SX_S14_S18_S1A_T6_T7_T9_mT8_S1C_bDpT10_ENKUlT_T0_E_clISt17integral_constantIbLb1EES1P_EEDaS1K_S1L_EUlS1K_E_NS1_11comp_targetILNS1_3genE2ELNS1_11target_archE906ELNS1_3gpuE6ELNS1_3repE0EEENS1_30default_config_static_selectorELNS0_4arch9wavefront6targetE0EEEvSY_.has_recursion, 0
	.set _ZN7rocprim17ROCPRIM_400000_NS6detail17trampoline_kernelINS0_13select_configILj256ELj13ELNS0_17block_load_methodE3ELS4_3ELS4_3ELNS0_20block_scan_algorithmE0ELj4294967295EEENS1_25partition_config_selectorILNS1_17partition_subalgoE3EjNS0_10empty_typeEbEEZZNS1_14partition_implILS8_3ELb0ES6_jNS0_17counting_iteratorIjlEEPS9_SE_NS0_5tupleIJPjSE_EEENSF_IJSE_SE_EEES9_SG_JZNS1_25segmented_radix_sort_implINS0_14default_configELb1EPKhPhPKlPlN2at6native12_GLOBAL__N_18offset_tEEE10hipError_tPvRmT1_PNSt15iterator_traitsISY_E10value_typeET2_T3_PNSZ_IS14_E10value_typeET4_jRbjT5_S1A_jjP12ihipStream_tbEUljE_EEESV_SW_SX_S14_S18_S1A_T6_T7_T9_mT8_S1C_bDpT10_ENKUlT_T0_E_clISt17integral_constantIbLb1EES1P_EEDaS1K_S1L_EUlS1K_E_NS1_11comp_targetILNS1_3genE2ELNS1_11target_archE906ELNS1_3gpuE6ELNS1_3repE0EEENS1_30default_config_static_selectorELNS0_4arch9wavefront6targetE0EEEvSY_.has_indirect_call, 0
	.section	.AMDGPU.csdata,"",@progbits
; Kernel info:
; codeLenInByte = 0
; TotalNumSgprs: 0
; NumVgprs: 0
; ScratchSize: 0
; MemoryBound: 0
; FloatMode: 240
; IeeeMode: 1
; LDSByteSize: 0 bytes/workgroup (compile time only)
; SGPRBlocks: 0
; VGPRBlocks: 0
; NumSGPRsForWavesPerEU: 1
; NumVGPRsForWavesPerEU: 1
; Occupancy: 16
; WaveLimiterHint : 0
; COMPUTE_PGM_RSRC2:SCRATCH_EN: 0
; COMPUTE_PGM_RSRC2:USER_SGPR: 6
; COMPUTE_PGM_RSRC2:TRAP_HANDLER: 0
; COMPUTE_PGM_RSRC2:TGID_X_EN: 1
; COMPUTE_PGM_RSRC2:TGID_Y_EN: 0
; COMPUTE_PGM_RSRC2:TGID_Z_EN: 0
; COMPUTE_PGM_RSRC2:TIDIG_COMP_CNT: 0
	.section	.text._ZN7rocprim17ROCPRIM_400000_NS6detail17trampoline_kernelINS0_13select_configILj256ELj13ELNS0_17block_load_methodE3ELS4_3ELS4_3ELNS0_20block_scan_algorithmE0ELj4294967295EEENS1_25partition_config_selectorILNS1_17partition_subalgoE3EjNS0_10empty_typeEbEEZZNS1_14partition_implILS8_3ELb0ES6_jNS0_17counting_iteratorIjlEEPS9_SE_NS0_5tupleIJPjSE_EEENSF_IJSE_SE_EEES9_SG_JZNS1_25segmented_radix_sort_implINS0_14default_configELb1EPKhPhPKlPlN2at6native12_GLOBAL__N_18offset_tEEE10hipError_tPvRmT1_PNSt15iterator_traitsISY_E10value_typeET2_T3_PNSZ_IS14_E10value_typeET4_jRbjT5_S1A_jjP12ihipStream_tbEUljE_EEESV_SW_SX_S14_S18_S1A_T6_T7_T9_mT8_S1C_bDpT10_ENKUlT_T0_E_clISt17integral_constantIbLb1EES1P_EEDaS1K_S1L_EUlS1K_E_NS1_11comp_targetILNS1_3genE10ELNS1_11target_archE1200ELNS1_3gpuE4ELNS1_3repE0EEENS1_30default_config_static_selectorELNS0_4arch9wavefront6targetE0EEEvSY_,"axG",@progbits,_ZN7rocprim17ROCPRIM_400000_NS6detail17trampoline_kernelINS0_13select_configILj256ELj13ELNS0_17block_load_methodE3ELS4_3ELS4_3ELNS0_20block_scan_algorithmE0ELj4294967295EEENS1_25partition_config_selectorILNS1_17partition_subalgoE3EjNS0_10empty_typeEbEEZZNS1_14partition_implILS8_3ELb0ES6_jNS0_17counting_iteratorIjlEEPS9_SE_NS0_5tupleIJPjSE_EEENSF_IJSE_SE_EEES9_SG_JZNS1_25segmented_radix_sort_implINS0_14default_configELb1EPKhPhPKlPlN2at6native12_GLOBAL__N_18offset_tEEE10hipError_tPvRmT1_PNSt15iterator_traitsISY_E10value_typeET2_T3_PNSZ_IS14_E10value_typeET4_jRbjT5_S1A_jjP12ihipStream_tbEUljE_EEESV_SW_SX_S14_S18_S1A_T6_T7_T9_mT8_S1C_bDpT10_ENKUlT_T0_E_clISt17integral_constantIbLb1EES1P_EEDaS1K_S1L_EUlS1K_E_NS1_11comp_targetILNS1_3genE10ELNS1_11target_archE1200ELNS1_3gpuE4ELNS1_3repE0EEENS1_30default_config_static_selectorELNS0_4arch9wavefront6targetE0EEEvSY_,comdat
	.globl	_ZN7rocprim17ROCPRIM_400000_NS6detail17trampoline_kernelINS0_13select_configILj256ELj13ELNS0_17block_load_methodE3ELS4_3ELS4_3ELNS0_20block_scan_algorithmE0ELj4294967295EEENS1_25partition_config_selectorILNS1_17partition_subalgoE3EjNS0_10empty_typeEbEEZZNS1_14partition_implILS8_3ELb0ES6_jNS0_17counting_iteratorIjlEEPS9_SE_NS0_5tupleIJPjSE_EEENSF_IJSE_SE_EEES9_SG_JZNS1_25segmented_radix_sort_implINS0_14default_configELb1EPKhPhPKlPlN2at6native12_GLOBAL__N_18offset_tEEE10hipError_tPvRmT1_PNSt15iterator_traitsISY_E10value_typeET2_T3_PNSZ_IS14_E10value_typeET4_jRbjT5_S1A_jjP12ihipStream_tbEUljE_EEESV_SW_SX_S14_S18_S1A_T6_T7_T9_mT8_S1C_bDpT10_ENKUlT_T0_E_clISt17integral_constantIbLb1EES1P_EEDaS1K_S1L_EUlS1K_E_NS1_11comp_targetILNS1_3genE10ELNS1_11target_archE1200ELNS1_3gpuE4ELNS1_3repE0EEENS1_30default_config_static_selectorELNS0_4arch9wavefront6targetE0EEEvSY_ ; -- Begin function _ZN7rocprim17ROCPRIM_400000_NS6detail17trampoline_kernelINS0_13select_configILj256ELj13ELNS0_17block_load_methodE3ELS4_3ELS4_3ELNS0_20block_scan_algorithmE0ELj4294967295EEENS1_25partition_config_selectorILNS1_17partition_subalgoE3EjNS0_10empty_typeEbEEZZNS1_14partition_implILS8_3ELb0ES6_jNS0_17counting_iteratorIjlEEPS9_SE_NS0_5tupleIJPjSE_EEENSF_IJSE_SE_EEES9_SG_JZNS1_25segmented_radix_sort_implINS0_14default_configELb1EPKhPhPKlPlN2at6native12_GLOBAL__N_18offset_tEEE10hipError_tPvRmT1_PNSt15iterator_traitsISY_E10value_typeET2_T3_PNSZ_IS14_E10value_typeET4_jRbjT5_S1A_jjP12ihipStream_tbEUljE_EEESV_SW_SX_S14_S18_S1A_T6_T7_T9_mT8_S1C_bDpT10_ENKUlT_T0_E_clISt17integral_constantIbLb1EES1P_EEDaS1K_S1L_EUlS1K_E_NS1_11comp_targetILNS1_3genE10ELNS1_11target_archE1200ELNS1_3gpuE4ELNS1_3repE0EEENS1_30default_config_static_selectorELNS0_4arch9wavefront6targetE0EEEvSY_
	.p2align	8
	.type	_ZN7rocprim17ROCPRIM_400000_NS6detail17trampoline_kernelINS0_13select_configILj256ELj13ELNS0_17block_load_methodE3ELS4_3ELS4_3ELNS0_20block_scan_algorithmE0ELj4294967295EEENS1_25partition_config_selectorILNS1_17partition_subalgoE3EjNS0_10empty_typeEbEEZZNS1_14partition_implILS8_3ELb0ES6_jNS0_17counting_iteratorIjlEEPS9_SE_NS0_5tupleIJPjSE_EEENSF_IJSE_SE_EEES9_SG_JZNS1_25segmented_radix_sort_implINS0_14default_configELb1EPKhPhPKlPlN2at6native12_GLOBAL__N_18offset_tEEE10hipError_tPvRmT1_PNSt15iterator_traitsISY_E10value_typeET2_T3_PNSZ_IS14_E10value_typeET4_jRbjT5_S1A_jjP12ihipStream_tbEUljE_EEESV_SW_SX_S14_S18_S1A_T6_T7_T9_mT8_S1C_bDpT10_ENKUlT_T0_E_clISt17integral_constantIbLb1EES1P_EEDaS1K_S1L_EUlS1K_E_NS1_11comp_targetILNS1_3genE10ELNS1_11target_archE1200ELNS1_3gpuE4ELNS1_3repE0EEENS1_30default_config_static_selectorELNS0_4arch9wavefront6targetE0EEEvSY_,@function
_ZN7rocprim17ROCPRIM_400000_NS6detail17trampoline_kernelINS0_13select_configILj256ELj13ELNS0_17block_load_methodE3ELS4_3ELS4_3ELNS0_20block_scan_algorithmE0ELj4294967295EEENS1_25partition_config_selectorILNS1_17partition_subalgoE3EjNS0_10empty_typeEbEEZZNS1_14partition_implILS8_3ELb0ES6_jNS0_17counting_iteratorIjlEEPS9_SE_NS0_5tupleIJPjSE_EEENSF_IJSE_SE_EEES9_SG_JZNS1_25segmented_radix_sort_implINS0_14default_configELb1EPKhPhPKlPlN2at6native12_GLOBAL__N_18offset_tEEE10hipError_tPvRmT1_PNSt15iterator_traitsISY_E10value_typeET2_T3_PNSZ_IS14_E10value_typeET4_jRbjT5_S1A_jjP12ihipStream_tbEUljE_EEESV_SW_SX_S14_S18_S1A_T6_T7_T9_mT8_S1C_bDpT10_ENKUlT_T0_E_clISt17integral_constantIbLb1EES1P_EEDaS1K_S1L_EUlS1K_E_NS1_11comp_targetILNS1_3genE10ELNS1_11target_archE1200ELNS1_3gpuE4ELNS1_3repE0EEENS1_30default_config_static_selectorELNS0_4arch9wavefront6targetE0EEEvSY_: ; @_ZN7rocprim17ROCPRIM_400000_NS6detail17trampoline_kernelINS0_13select_configILj256ELj13ELNS0_17block_load_methodE3ELS4_3ELS4_3ELNS0_20block_scan_algorithmE0ELj4294967295EEENS1_25partition_config_selectorILNS1_17partition_subalgoE3EjNS0_10empty_typeEbEEZZNS1_14partition_implILS8_3ELb0ES6_jNS0_17counting_iteratorIjlEEPS9_SE_NS0_5tupleIJPjSE_EEENSF_IJSE_SE_EEES9_SG_JZNS1_25segmented_radix_sort_implINS0_14default_configELb1EPKhPhPKlPlN2at6native12_GLOBAL__N_18offset_tEEE10hipError_tPvRmT1_PNSt15iterator_traitsISY_E10value_typeET2_T3_PNSZ_IS14_E10value_typeET4_jRbjT5_S1A_jjP12ihipStream_tbEUljE_EEESV_SW_SX_S14_S18_S1A_T6_T7_T9_mT8_S1C_bDpT10_ENKUlT_T0_E_clISt17integral_constantIbLb1EES1P_EEDaS1K_S1L_EUlS1K_E_NS1_11comp_targetILNS1_3genE10ELNS1_11target_archE1200ELNS1_3gpuE4ELNS1_3repE0EEENS1_30default_config_static_selectorELNS0_4arch9wavefront6targetE0EEEvSY_
; %bb.0:
	.section	.rodata,"a",@progbits
	.p2align	6, 0x0
	.amdhsa_kernel _ZN7rocprim17ROCPRIM_400000_NS6detail17trampoline_kernelINS0_13select_configILj256ELj13ELNS0_17block_load_methodE3ELS4_3ELS4_3ELNS0_20block_scan_algorithmE0ELj4294967295EEENS1_25partition_config_selectorILNS1_17partition_subalgoE3EjNS0_10empty_typeEbEEZZNS1_14partition_implILS8_3ELb0ES6_jNS0_17counting_iteratorIjlEEPS9_SE_NS0_5tupleIJPjSE_EEENSF_IJSE_SE_EEES9_SG_JZNS1_25segmented_radix_sort_implINS0_14default_configELb1EPKhPhPKlPlN2at6native12_GLOBAL__N_18offset_tEEE10hipError_tPvRmT1_PNSt15iterator_traitsISY_E10value_typeET2_T3_PNSZ_IS14_E10value_typeET4_jRbjT5_S1A_jjP12ihipStream_tbEUljE_EEESV_SW_SX_S14_S18_S1A_T6_T7_T9_mT8_S1C_bDpT10_ENKUlT_T0_E_clISt17integral_constantIbLb1EES1P_EEDaS1K_S1L_EUlS1K_E_NS1_11comp_targetILNS1_3genE10ELNS1_11target_archE1200ELNS1_3gpuE4ELNS1_3repE0EEENS1_30default_config_static_selectorELNS0_4arch9wavefront6targetE0EEEvSY_
		.amdhsa_group_segment_fixed_size 0
		.amdhsa_private_segment_fixed_size 0
		.amdhsa_kernarg_size 152
		.amdhsa_user_sgpr_count 6
		.amdhsa_user_sgpr_private_segment_buffer 1
		.amdhsa_user_sgpr_dispatch_ptr 0
		.amdhsa_user_sgpr_queue_ptr 0
		.amdhsa_user_sgpr_kernarg_segment_ptr 1
		.amdhsa_user_sgpr_dispatch_id 0
		.amdhsa_user_sgpr_flat_scratch_init 0
		.amdhsa_user_sgpr_private_segment_size 0
		.amdhsa_wavefront_size32 1
		.amdhsa_uses_dynamic_stack 0
		.amdhsa_system_sgpr_private_segment_wavefront_offset 0
		.amdhsa_system_sgpr_workgroup_id_x 1
		.amdhsa_system_sgpr_workgroup_id_y 0
		.amdhsa_system_sgpr_workgroup_id_z 0
		.amdhsa_system_sgpr_workgroup_info 0
		.amdhsa_system_vgpr_workitem_id 0
		.amdhsa_next_free_vgpr 1
		.amdhsa_next_free_sgpr 1
		.amdhsa_reserve_vcc 0
		.amdhsa_reserve_flat_scratch 0
		.amdhsa_float_round_mode_32 0
		.amdhsa_float_round_mode_16_64 0
		.amdhsa_float_denorm_mode_32 3
		.amdhsa_float_denorm_mode_16_64 3
		.amdhsa_dx10_clamp 1
		.amdhsa_ieee_mode 1
		.amdhsa_fp16_overflow 0
		.amdhsa_workgroup_processor_mode 1
		.amdhsa_memory_ordered 1
		.amdhsa_forward_progress 1
		.amdhsa_shared_vgpr_count 0
		.amdhsa_exception_fp_ieee_invalid_op 0
		.amdhsa_exception_fp_denorm_src 0
		.amdhsa_exception_fp_ieee_div_zero 0
		.amdhsa_exception_fp_ieee_overflow 0
		.amdhsa_exception_fp_ieee_underflow 0
		.amdhsa_exception_fp_ieee_inexact 0
		.amdhsa_exception_int_div_zero 0
	.end_amdhsa_kernel
	.section	.text._ZN7rocprim17ROCPRIM_400000_NS6detail17trampoline_kernelINS0_13select_configILj256ELj13ELNS0_17block_load_methodE3ELS4_3ELS4_3ELNS0_20block_scan_algorithmE0ELj4294967295EEENS1_25partition_config_selectorILNS1_17partition_subalgoE3EjNS0_10empty_typeEbEEZZNS1_14partition_implILS8_3ELb0ES6_jNS0_17counting_iteratorIjlEEPS9_SE_NS0_5tupleIJPjSE_EEENSF_IJSE_SE_EEES9_SG_JZNS1_25segmented_radix_sort_implINS0_14default_configELb1EPKhPhPKlPlN2at6native12_GLOBAL__N_18offset_tEEE10hipError_tPvRmT1_PNSt15iterator_traitsISY_E10value_typeET2_T3_PNSZ_IS14_E10value_typeET4_jRbjT5_S1A_jjP12ihipStream_tbEUljE_EEESV_SW_SX_S14_S18_S1A_T6_T7_T9_mT8_S1C_bDpT10_ENKUlT_T0_E_clISt17integral_constantIbLb1EES1P_EEDaS1K_S1L_EUlS1K_E_NS1_11comp_targetILNS1_3genE10ELNS1_11target_archE1200ELNS1_3gpuE4ELNS1_3repE0EEENS1_30default_config_static_selectorELNS0_4arch9wavefront6targetE0EEEvSY_,"axG",@progbits,_ZN7rocprim17ROCPRIM_400000_NS6detail17trampoline_kernelINS0_13select_configILj256ELj13ELNS0_17block_load_methodE3ELS4_3ELS4_3ELNS0_20block_scan_algorithmE0ELj4294967295EEENS1_25partition_config_selectorILNS1_17partition_subalgoE3EjNS0_10empty_typeEbEEZZNS1_14partition_implILS8_3ELb0ES6_jNS0_17counting_iteratorIjlEEPS9_SE_NS0_5tupleIJPjSE_EEENSF_IJSE_SE_EEES9_SG_JZNS1_25segmented_radix_sort_implINS0_14default_configELb1EPKhPhPKlPlN2at6native12_GLOBAL__N_18offset_tEEE10hipError_tPvRmT1_PNSt15iterator_traitsISY_E10value_typeET2_T3_PNSZ_IS14_E10value_typeET4_jRbjT5_S1A_jjP12ihipStream_tbEUljE_EEESV_SW_SX_S14_S18_S1A_T6_T7_T9_mT8_S1C_bDpT10_ENKUlT_T0_E_clISt17integral_constantIbLb1EES1P_EEDaS1K_S1L_EUlS1K_E_NS1_11comp_targetILNS1_3genE10ELNS1_11target_archE1200ELNS1_3gpuE4ELNS1_3repE0EEENS1_30default_config_static_selectorELNS0_4arch9wavefront6targetE0EEEvSY_,comdat
.Lfunc_end62:
	.size	_ZN7rocprim17ROCPRIM_400000_NS6detail17trampoline_kernelINS0_13select_configILj256ELj13ELNS0_17block_load_methodE3ELS4_3ELS4_3ELNS0_20block_scan_algorithmE0ELj4294967295EEENS1_25partition_config_selectorILNS1_17partition_subalgoE3EjNS0_10empty_typeEbEEZZNS1_14partition_implILS8_3ELb0ES6_jNS0_17counting_iteratorIjlEEPS9_SE_NS0_5tupleIJPjSE_EEENSF_IJSE_SE_EEES9_SG_JZNS1_25segmented_radix_sort_implINS0_14default_configELb1EPKhPhPKlPlN2at6native12_GLOBAL__N_18offset_tEEE10hipError_tPvRmT1_PNSt15iterator_traitsISY_E10value_typeET2_T3_PNSZ_IS14_E10value_typeET4_jRbjT5_S1A_jjP12ihipStream_tbEUljE_EEESV_SW_SX_S14_S18_S1A_T6_T7_T9_mT8_S1C_bDpT10_ENKUlT_T0_E_clISt17integral_constantIbLb1EES1P_EEDaS1K_S1L_EUlS1K_E_NS1_11comp_targetILNS1_3genE10ELNS1_11target_archE1200ELNS1_3gpuE4ELNS1_3repE0EEENS1_30default_config_static_selectorELNS0_4arch9wavefront6targetE0EEEvSY_, .Lfunc_end62-_ZN7rocprim17ROCPRIM_400000_NS6detail17trampoline_kernelINS0_13select_configILj256ELj13ELNS0_17block_load_methodE3ELS4_3ELS4_3ELNS0_20block_scan_algorithmE0ELj4294967295EEENS1_25partition_config_selectorILNS1_17partition_subalgoE3EjNS0_10empty_typeEbEEZZNS1_14partition_implILS8_3ELb0ES6_jNS0_17counting_iteratorIjlEEPS9_SE_NS0_5tupleIJPjSE_EEENSF_IJSE_SE_EEES9_SG_JZNS1_25segmented_radix_sort_implINS0_14default_configELb1EPKhPhPKlPlN2at6native12_GLOBAL__N_18offset_tEEE10hipError_tPvRmT1_PNSt15iterator_traitsISY_E10value_typeET2_T3_PNSZ_IS14_E10value_typeET4_jRbjT5_S1A_jjP12ihipStream_tbEUljE_EEESV_SW_SX_S14_S18_S1A_T6_T7_T9_mT8_S1C_bDpT10_ENKUlT_T0_E_clISt17integral_constantIbLb1EES1P_EEDaS1K_S1L_EUlS1K_E_NS1_11comp_targetILNS1_3genE10ELNS1_11target_archE1200ELNS1_3gpuE4ELNS1_3repE0EEENS1_30default_config_static_selectorELNS0_4arch9wavefront6targetE0EEEvSY_
                                        ; -- End function
	.set _ZN7rocprim17ROCPRIM_400000_NS6detail17trampoline_kernelINS0_13select_configILj256ELj13ELNS0_17block_load_methodE3ELS4_3ELS4_3ELNS0_20block_scan_algorithmE0ELj4294967295EEENS1_25partition_config_selectorILNS1_17partition_subalgoE3EjNS0_10empty_typeEbEEZZNS1_14partition_implILS8_3ELb0ES6_jNS0_17counting_iteratorIjlEEPS9_SE_NS0_5tupleIJPjSE_EEENSF_IJSE_SE_EEES9_SG_JZNS1_25segmented_radix_sort_implINS0_14default_configELb1EPKhPhPKlPlN2at6native12_GLOBAL__N_18offset_tEEE10hipError_tPvRmT1_PNSt15iterator_traitsISY_E10value_typeET2_T3_PNSZ_IS14_E10value_typeET4_jRbjT5_S1A_jjP12ihipStream_tbEUljE_EEESV_SW_SX_S14_S18_S1A_T6_T7_T9_mT8_S1C_bDpT10_ENKUlT_T0_E_clISt17integral_constantIbLb1EES1P_EEDaS1K_S1L_EUlS1K_E_NS1_11comp_targetILNS1_3genE10ELNS1_11target_archE1200ELNS1_3gpuE4ELNS1_3repE0EEENS1_30default_config_static_selectorELNS0_4arch9wavefront6targetE0EEEvSY_.num_vgpr, 0
	.set _ZN7rocprim17ROCPRIM_400000_NS6detail17trampoline_kernelINS0_13select_configILj256ELj13ELNS0_17block_load_methodE3ELS4_3ELS4_3ELNS0_20block_scan_algorithmE0ELj4294967295EEENS1_25partition_config_selectorILNS1_17partition_subalgoE3EjNS0_10empty_typeEbEEZZNS1_14partition_implILS8_3ELb0ES6_jNS0_17counting_iteratorIjlEEPS9_SE_NS0_5tupleIJPjSE_EEENSF_IJSE_SE_EEES9_SG_JZNS1_25segmented_radix_sort_implINS0_14default_configELb1EPKhPhPKlPlN2at6native12_GLOBAL__N_18offset_tEEE10hipError_tPvRmT1_PNSt15iterator_traitsISY_E10value_typeET2_T3_PNSZ_IS14_E10value_typeET4_jRbjT5_S1A_jjP12ihipStream_tbEUljE_EEESV_SW_SX_S14_S18_S1A_T6_T7_T9_mT8_S1C_bDpT10_ENKUlT_T0_E_clISt17integral_constantIbLb1EES1P_EEDaS1K_S1L_EUlS1K_E_NS1_11comp_targetILNS1_3genE10ELNS1_11target_archE1200ELNS1_3gpuE4ELNS1_3repE0EEENS1_30default_config_static_selectorELNS0_4arch9wavefront6targetE0EEEvSY_.num_agpr, 0
	.set _ZN7rocprim17ROCPRIM_400000_NS6detail17trampoline_kernelINS0_13select_configILj256ELj13ELNS0_17block_load_methodE3ELS4_3ELS4_3ELNS0_20block_scan_algorithmE0ELj4294967295EEENS1_25partition_config_selectorILNS1_17partition_subalgoE3EjNS0_10empty_typeEbEEZZNS1_14partition_implILS8_3ELb0ES6_jNS0_17counting_iteratorIjlEEPS9_SE_NS0_5tupleIJPjSE_EEENSF_IJSE_SE_EEES9_SG_JZNS1_25segmented_radix_sort_implINS0_14default_configELb1EPKhPhPKlPlN2at6native12_GLOBAL__N_18offset_tEEE10hipError_tPvRmT1_PNSt15iterator_traitsISY_E10value_typeET2_T3_PNSZ_IS14_E10value_typeET4_jRbjT5_S1A_jjP12ihipStream_tbEUljE_EEESV_SW_SX_S14_S18_S1A_T6_T7_T9_mT8_S1C_bDpT10_ENKUlT_T0_E_clISt17integral_constantIbLb1EES1P_EEDaS1K_S1L_EUlS1K_E_NS1_11comp_targetILNS1_3genE10ELNS1_11target_archE1200ELNS1_3gpuE4ELNS1_3repE0EEENS1_30default_config_static_selectorELNS0_4arch9wavefront6targetE0EEEvSY_.numbered_sgpr, 0
	.set _ZN7rocprim17ROCPRIM_400000_NS6detail17trampoline_kernelINS0_13select_configILj256ELj13ELNS0_17block_load_methodE3ELS4_3ELS4_3ELNS0_20block_scan_algorithmE0ELj4294967295EEENS1_25partition_config_selectorILNS1_17partition_subalgoE3EjNS0_10empty_typeEbEEZZNS1_14partition_implILS8_3ELb0ES6_jNS0_17counting_iteratorIjlEEPS9_SE_NS0_5tupleIJPjSE_EEENSF_IJSE_SE_EEES9_SG_JZNS1_25segmented_radix_sort_implINS0_14default_configELb1EPKhPhPKlPlN2at6native12_GLOBAL__N_18offset_tEEE10hipError_tPvRmT1_PNSt15iterator_traitsISY_E10value_typeET2_T3_PNSZ_IS14_E10value_typeET4_jRbjT5_S1A_jjP12ihipStream_tbEUljE_EEESV_SW_SX_S14_S18_S1A_T6_T7_T9_mT8_S1C_bDpT10_ENKUlT_T0_E_clISt17integral_constantIbLb1EES1P_EEDaS1K_S1L_EUlS1K_E_NS1_11comp_targetILNS1_3genE10ELNS1_11target_archE1200ELNS1_3gpuE4ELNS1_3repE0EEENS1_30default_config_static_selectorELNS0_4arch9wavefront6targetE0EEEvSY_.num_named_barrier, 0
	.set _ZN7rocprim17ROCPRIM_400000_NS6detail17trampoline_kernelINS0_13select_configILj256ELj13ELNS0_17block_load_methodE3ELS4_3ELS4_3ELNS0_20block_scan_algorithmE0ELj4294967295EEENS1_25partition_config_selectorILNS1_17partition_subalgoE3EjNS0_10empty_typeEbEEZZNS1_14partition_implILS8_3ELb0ES6_jNS0_17counting_iteratorIjlEEPS9_SE_NS0_5tupleIJPjSE_EEENSF_IJSE_SE_EEES9_SG_JZNS1_25segmented_radix_sort_implINS0_14default_configELb1EPKhPhPKlPlN2at6native12_GLOBAL__N_18offset_tEEE10hipError_tPvRmT1_PNSt15iterator_traitsISY_E10value_typeET2_T3_PNSZ_IS14_E10value_typeET4_jRbjT5_S1A_jjP12ihipStream_tbEUljE_EEESV_SW_SX_S14_S18_S1A_T6_T7_T9_mT8_S1C_bDpT10_ENKUlT_T0_E_clISt17integral_constantIbLb1EES1P_EEDaS1K_S1L_EUlS1K_E_NS1_11comp_targetILNS1_3genE10ELNS1_11target_archE1200ELNS1_3gpuE4ELNS1_3repE0EEENS1_30default_config_static_selectorELNS0_4arch9wavefront6targetE0EEEvSY_.private_seg_size, 0
	.set _ZN7rocprim17ROCPRIM_400000_NS6detail17trampoline_kernelINS0_13select_configILj256ELj13ELNS0_17block_load_methodE3ELS4_3ELS4_3ELNS0_20block_scan_algorithmE0ELj4294967295EEENS1_25partition_config_selectorILNS1_17partition_subalgoE3EjNS0_10empty_typeEbEEZZNS1_14partition_implILS8_3ELb0ES6_jNS0_17counting_iteratorIjlEEPS9_SE_NS0_5tupleIJPjSE_EEENSF_IJSE_SE_EEES9_SG_JZNS1_25segmented_radix_sort_implINS0_14default_configELb1EPKhPhPKlPlN2at6native12_GLOBAL__N_18offset_tEEE10hipError_tPvRmT1_PNSt15iterator_traitsISY_E10value_typeET2_T3_PNSZ_IS14_E10value_typeET4_jRbjT5_S1A_jjP12ihipStream_tbEUljE_EEESV_SW_SX_S14_S18_S1A_T6_T7_T9_mT8_S1C_bDpT10_ENKUlT_T0_E_clISt17integral_constantIbLb1EES1P_EEDaS1K_S1L_EUlS1K_E_NS1_11comp_targetILNS1_3genE10ELNS1_11target_archE1200ELNS1_3gpuE4ELNS1_3repE0EEENS1_30default_config_static_selectorELNS0_4arch9wavefront6targetE0EEEvSY_.uses_vcc, 0
	.set _ZN7rocprim17ROCPRIM_400000_NS6detail17trampoline_kernelINS0_13select_configILj256ELj13ELNS0_17block_load_methodE3ELS4_3ELS4_3ELNS0_20block_scan_algorithmE0ELj4294967295EEENS1_25partition_config_selectorILNS1_17partition_subalgoE3EjNS0_10empty_typeEbEEZZNS1_14partition_implILS8_3ELb0ES6_jNS0_17counting_iteratorIjlEEPS9_SE_NS0_5tupleIJPjSE_EEENSF_IJSE_SE_EEES9_SG_JZNS1_25segmented_radix_sort_implINS0_14default_configELb1EPKhPhPKlPlN2at6native12_GLOBAL__N_18offset_tEEE10hipError_tPvRmT1_PNSt15iterator_traitsISY_E10value_typeET2_T3_PNSZ_IS14_E10value_typeET4_jRbjT5_S1A_jjP12ihipStream_tbEUljE_EEESV_SW_SX_S14_S18_S1A_T6_T7_T9_mT8_S1C_bDpT10_ENKUlT_T0_E_clISt17integral_constantIbLb1EES1P_EEDaS1K_S1L_EUlS1K_E_NS1_11comp_targetILNS1_3genE10ELNS1_11target_archE1200ELNS1_3gpuE4ELNS1_3repE0EEENS1_30default_config_static_selectorELNS0_4arch9wavefront6targetE0EEEvSY_.uses_flat_scratch, 0
	.set _ZN7rocprim17ROCPRIM_400000_NS6detail17trampoline_kernelINS0_13select_configILj256ELj13ELNS0_17block_load_methodE3ELS4_3ELS4_3ELNS0_20block_scan_algorithmE0ELj4294967295EEENS1_25partition_config_selectorILNS1_17partition_subalgoE3EjNS0_10empty_typeEbEEZZNS1_14partition_implILS8_3ELb0ES6_jNS0_17counting_iteratorIjlEEPS9_SE_NS0_5tupleIJPjSE_EEENSF_IJSE_SE_EEES9_SG_JZNS1_25segmented_radix_sort_implINS0_14default_configELb1EPKhPhPKlPlN2at6native12_GLOBAL__N_18offset_tEEE10hipError_tPvRmT1_PNSt15iterator_traitsISY_E10value_typeET2_T3_PNSZ_IS14_E10value_typeET4_jRbjT5_S1A_jjP12ihipStream_tbEUljE_EEESV_SW_SX_S14_S18_S1A_T6_T7_T9_mT8_S1C_bDpT10_ENKUlT_T0_E_clISt17integral_constantIbLb1EES1P_EEDaS1K_S1L_EUlS1K_E_NS1_11comp_targetILNS1_3genE10ELNS1_11target_archE1200ELNS1_3gpuE4ELNS1_3repE0EEENS1_30default_config_static_selectorELNS0_4arch9wavefront6targetE0EEEvSY_.has_dyn_sized_stack, 0
	.set _ZN7rocprim17ROCPRIM_400000_NS6detail17trampoline_kernelINS0_13select_configILj256ELj13ELNS0_17block_load_methodE3ELS4_3ELS4_3ELNS0_20block_scan_algorithmE0ELj4294967295EEENS1_25partition_config_selectorILNS1_17partition_subalgoE3EjNS0_10empty_typeEbEEZZNS1_14partition_implILS8_3ELb0ES6_jNS0_17counting_iteratorIjlEEPS9_SE_NS0_5tupleIJPjSE_EEENSF_IJSE_SE_EEES9_SG_JZNS1_25segmented_radix_sort_implINS0_14default_configELb1EPKhPhPKlPlN2at6native12_GLOBAL__N_18offset_tEEE10hipError_tPvRmT1_PNSt15iterator_traitsISY_E10value_typeET2_T3_PNSZ_IS14_E10value_typeET4_jRbjT5_S1A_jjP12ihipStream_tbEUljE_EEESV_SW_SX_S14_S18_S1A_T6_T7_T9_mT8_S1C_bDpT10_ENKUlT_T0_E_clISt17integral_constantIbLb1EES1P_EEDaS1K_S1L_EUlS1K_E_NS1_11comp_targetILNS1_3genE10ELNS1_11target_archE1200ELNS1_3gpuE4ELNS1_3repE0EEENS1_30default_config_static_selectorELNS0_4arch9wavefront6targetE0EEEvSY_.has_recursion, 0
	.set _ZN7rocprim17ROCPRIM_400000_NS6detail17trampoline_kernelINS0_13select_configILj256ELj13ELNS0_17block_load_methodE3ELS4_3ELS4_3ELNS0_20block_scan_algorithmE0ELj4294967295EEENS1_25partition_config_selectorILNS1_17partition_subalgoE3EjNS0_10empty_typeEbEEZZNS1_14partition_implILS8_3ELb0ES6_jNS0_17counting_iteratorIjlEEPS9_SE_NS0_5tupleIJPjSE_EEENSF_IJSE_SE_EEES9_SG_JZNS1_25segmented_radix_sort_implINS0_14default_configELb1EPKhPhPKlPlN2at6native12_GLOBAL__N_18offset_tEEE10hipError_tPvRmT1_PNSt15iterator_traitsISY_E10value_typeET2_T3_PNSZ_IS14_E10value_typeET4_jRbjT5_S1A_jjP12ihipStream_tbEUljE_EEESV_SW_SX_S14_S18_S1A_T6_T7_T9_mT8_S1C_bDpT10_ENKUlT_T0_E_clISt17integral_constantIbLb1EES1P_EEDaS1K_S1L_EUlS1K_E_NS1_11comp_targetILNS1_3genE10ELNS1_11target_archE1200ELNS1_3gpuE4ELNS1_3repE0EEENS1_30default_config_static_selectorELNS0_4arch9wavefront6targetE0EEEvSY_.has_indirect_call, 0
	.section	.AMDGPU.csdata,"",@progbits
; Kernel info:
; codeLenInByte = 0
; TotalNumSgprs: 0
; NumVgprs: 0
; ScratchSize: 0
; MemoryBound: 0
; FloatMode: 240
; IeeeMode: 1
; LDSByteSize: 0 bytes/workgroup (compile time only)
; SGPRBlocks: 0
; VGPRBlocks: 0
; NumSGPRsForWavesPerEU: 1
; NumVGPRsForWavesPerEU: 1
; Occupancy: 16
; WaveLimiterHint : 0
; COMPUTE_PGM_RSRC2:SCRATCH_EN: 0
; COMPUTE_PGM_RSRC2:USER_SGPR: 6
; COMPUTE_PGM_RSRC2:TRAP_HANDLER: 0
; COMPUTE_PGM_RSRC2:TGID_X_EN: 1
; COMPUTE_PGM_RSRC2:TGID_Y_EN: 0
; COMPUTE_PGM_RSRC2:TGID_Z_EN: 0
; COMPUTE_PGM_RSRC2:TIDIG_COMP_CNT: 0
	.section	.text._ZN7rocprim17ROCPRIM_400000_NS6detail17trampoline_kernelINS0_13select_configILj256ELj13ELNS0_17block_load_methodE3ELS4_3ELS4_3ELNS0_20block_scan_algorithmE0ELj4294967295EEENS1_25partition_config_selectorILNS1_17partition_subalgoE3EjNS0_10empty_typeEbEEZZNS1_14partition_implILS8_3ELb0ES6_jNS0_17counting_iteratorIjlEEPS9_SE_NS0_5tupleIJPjSE_EEENSF_IJSE_SE_EEES9_SG_JZNS1_25segmented_radix_sort_implINS0_14default_configELb1EPKhPhPKlPlN2at6native12_GLOBAL__N_18offset_tEEE10hipError_tPvRmT1_PNSt15iterator_traitsISY_E10value_typeET2_T3_PNSZ_IS14_E10value_typeET4_jRbjT5_S1A_jjP12ihipStream_tbEUljE_EEESV_SW_SX_S14_S18_S1A_T6_T7_T9_mT8_S1C_bDpT10_ENKUlT_T0_E_clISt17integral_constantIbLb1EES1P_EEDaS1K_S1L_EUlS1K_E_NS1_11comp_targetILNS1_3genE9ELNS1_11target_archE1100ELNS1_3gpuE3ELNS1_3repE0EEENS1_30default_config_static_selectorELNS0_4arch9wavefront6targetE0EEEvSY_,"axG",@progbits,_ZN7rocprim17ROCPRIM_400000_NS6detail17trampoline_kernelINS0_13select_configILj256ELj13ELNS0_17block_load_methodE3ELS4_3ELS4_3ELNS0_20block_scan_algorithmE0ELj4294967295EEENS1_25partition_config_selectorILNS1_17partition_subalgoE3EjNS0_10empty_typeEbEEZZNS1_14partition_implILS8_3ELb0ES6_jNS0_17counting_iteratorIjlEEPS9_SE_NS0_5tupleIJPjSE_EEENSF_IJSE_SE_EEES9_SG_JZNS1_25segmented_radix_sort_implINS0_14default_configELb1EPKhPhPKlPlN2at6native12_GLOBAL__N_18offset_tEEE10hipError_tPvRmT1_PNSt15iterator_traitsISY_E10value_typeET2_T3_PNSZ_IS14_E10value_typeET4_jRbjT5_S1A_jjP12ihipStream_tbEUljE_EEESV_SW_SX_S14_S18_S1A_T6_T7_T9_mT8_S1C_bDpT10_ENKUlT_T0_E_clISt17integral_constantIbLb1EES1P_EEDaS1K_S1L_EUlS1K_E_NS1_11comp_targetILNS1_3genE9ELNS1_11target_archE1100ELNS1_3gpuE3ELNS1_3repE0EEENS1_30default_config_static_selectorELNS0_4arch9wavefront6targetE0EEEvSY_,comdat
	.globl	_ZN7rocprim17ROCPRIM_400000_NS6detail17trampoline_kernelINS0_13select_configILj256ELj13ELNS0_17block_load_methodE3ELS4_3ELS4_3ELNS0_20block_scan_algorithmE0ELj4294967295EEENS1_25partition_config_selectorILNS1_17partition_subalgoE3EjNS0_10empty_typeEbEEZZNS1_14partition_implILS8_3ELb0ES6_jNS0_17counting_iteratorIjlEEPS9_SE_NS0_5tupleIJPjSE_EEENSF_IJSE_SE_EEES9_SG_JZNS1_25segmented_radix_sort_implINS0_14default_configELb1EPKhPhPKlPlN2at6native12_GLOBAL__N_18offset_tEEE10hipError_tPvRmT1_PNSt15iterator_traitsISY_E10value_typeET2_T3_PNSZ_IS14_E10value_typeET4_jRbjT5_S1A_jjP12ihipStream_tbEUljE_EEESV_SW_SX_S14_S18_S1A_T6_T7_T9_mT8_S1C_bDpT10_ENKUlT_T0_E_clISt17integral_constantIbLb1EES1P_EEDaS1K_S1L_EUlS1K_E_NS1_11comp_targetILNS1_3genE9ELNS1_11target_archE1100ELNS1_3gpuE3ELNS1_3repE0EEENS1_30default_config_static_selectorELNS0_4arch9wavefront6targetE0EEEvSY_ ; -- Begin function _ZN7rocprim17ROCPRIM_400000_NS6detail17trampoline_kernelINS0_13select_configILj256ELj13ELNS0_17block_load_methodE3ELS4_3ELS4_3ELNS0_20block_scan_algorithmE0ELj4294967295EEENS1_25partition_config_selectorILNS1_17partition_subalgoE3EjNS0_10empty_typeEbEEZZNS1_14partition_implILS8_3ELb0ES6_jNS0_17counting_iteratorIjlEEPS9_SE_NS0_5tupleIJPjSE_EEENSF_IJSE_SE_EEES9_SG_JZNS1_25segmented_radix_sort_implINS0_14default_configELb1EPKhPhPKlPlN2at6native12_GLOBAL__N_18offset_tEEE10hipError_tPvRmT1_PNSt15iterator_traitsISY_E10value_typeET2_T3_PNSZ_IS14_E10value_typeET4_jRbjT5_S1A_jjP12ihipStream_tbEUljE_EEESV_SW_SX_S14_S18_S1A_T6_T7_T9_mT8_S1C_bDpT10_ENKUlT_T0_E_clISt17integral_constantIbLb1EES1P_EEDaS1K_S1L_EUlS1K_E_NS1_11comp_targetILNS1_3genE9ELNS1_11target_archE1100ELNS1_3gpuE3ELNS1_3repE0EEENS1_30default_config_static_selectorELNS0_4arch9wavefront6targetE0EEEvSY_
	.p2align	8
	.type	_ZN7rocprim17ROCPRIM_400000_NS6detail17trampoline_kernelINS0_13select_configILj256ELj13ELNS0_17block_load_methodE3ELS4_3ELS4_3ELNS0_20block_scan_algorithmE0ELj4294967295EEENS1_25partition_config_selectorILNS1_17partition_subalgoE3EjNS0_10empty_typeEbEEZZNS1_14partition_implILS8_3ELb0ES6_jNS0_17counting_iteratorIjlEEPS9_SE_NS0_5tupleIJPjSE_EEENSF_IJSE_SE_EEES9_SG_JZNS1_25segmented_radix_sort_implINS0_14default_configELb1EPKhPhPKlPlN2at6native12_GLOBAL__N_18offset_tEEE10hipError_tPvRmT1_PNSt15iterator_traitsISY_E10value_typeET2_T3_PNSZ_IS14_E10value_typeET4_jRbjT5_S1A_jjP12ihipStream_tbEUljE_EEESV_SW_SX_S14_S18_S1A_T6_T7_T9_mT8_S1C_bDpT10_ENKUlT_T0_E_clISt17integral_constantIbLb1EES1P_EEDaS1K_S1L_EUlS1K_E_NS1_11comp_targetILNS1_3genE9ELNS1_11target_archE1100ELNS1_3gpuE3ELNS1_3repE0EEENS1_30default_config_static_selectorELNS0_4arch9wavefront6targetE0EEEvSY_,@function
_ZN7rocprim17ROCPRIM_400000_NS6detail17trampoline_kernelINS0_13select_configILj256ELj13ELNS0_17block_load_methodE3ELS4_3ELS4_3ELNS0_20block_scan_algorithmE0ELj4294967295EEENS1_25partition_config_selectorILNS1_17partition_subalgoE3EjNS0_10empty_typeEbEEZZNS1_14partition_implILS8_3ELb0ES6_jNS0_17counting_iteratorIjlEEPS9_SE_NS0_5tupleIJPjSE_EEENSF_IJSE_SE_EEES9_SG_JZNS1_25segmented_radix_sort_implINS0_14default_configELb1EPKhPhPKlPlN2at6native12_GLOBAL__N_18offset_tEEE10hipError_tPvRmT1_PNSt15iterator_traitsISY_E10value_typeET2_T3_PNSZ_IS14_E10value_typeET4_jRbjT5_S1A_jjP12ihipStream_tbEUljE_EEESV_SW_SX_S14_S18_S1A_T6_T7_T9_mT8_S1C_bDpT10_ENKUlT_T0_E_clISt17integral_constantIbLb1EES1P_EEDaS1K_S1L_EUlS1K_E_NS1_11comp_targetILNS1_3genE9ELNS1_11target_archE1100ELNS1_3gpuE3ELNS1_3repE0EEENS1_30default_config_static_selectorELNS0_4arch9wavefront6targetE0EEEvSY_: ; @_ZN7rocprim17ROCPRIM_400000_NS6detail17trampoline_kernelINS0_13select_configILj256ELj13ELNS0_17block_load_methodE3ELS4_3ELS4_3ELNS0_20block_scan_algorithmE0ELj4294967295EEENS1_25partition_config_selectorILNS1_17partition_subalgoE3EjNS0_10empty_typeEbEEZZNS1_14partition_implILS8_3ELb0ES6_jNS0_17counting_iteratorIjlEEPS9_SE_NS0_5tupleIJPjSE_EEENSF_IJSE_SE_EEES9_SG_JZNS1_25segmented_radix_sort_implINS0_14default_configELb1EPKhPhPKlPlN2at6native12_GLOBAL__N_18offset_tEEE10hipError_tPvRmT1_PNSt15iterator_traitsISY_E10value_typeET2_T3_PNSZ_IS14_E10value_typeET4_jRbjT5_S1A_jjP12ihipStream_tbEUljE_EEESV_SW_SX_S14_S18_S1A_T6_T7_T9_mT8_S1C_bDpT10_ENKUlT_T0_E_clISt17integral_constantIbLb1EES1P_EEDaS1K_S1L_EUlS1K_E_NS1_11comp_targetILNS1_3genE9ELNS1_11target_archE1100ELNS1_3gpuE3ELNS1_3repE0EEENS1_30default_config_static_selectorELNS0_4arch9wavefront6targetE0EEEvSY_
; %bb.0:
	.section	.rodata,"a",@progbits
	.p2align	6, 0x0
	.amdhsa_kernel _ZN7rocprim17ROCPRIM_400000_NS6detail17trampoline_kernelINS0_13select_configILj256ELj13ELNS0_17block_load_methodE3ELS4_3ELS4_3ELNS0_20block_scan_algorithmE0ELj4294967295EEENS1_25partition_config_selectorILNS1_17partition_subalgoE3EjNS0_10empty_typeEbEEZZNS1_14partition_implILS8_3ELb0ES6_jNS0_17counting_iteratorIjlEEPS9_SE_NS0_5tupleIJPjSE_EEENSF_IJSE_SE_EEES9_SG_JZNS1_25segmented_radix_sort_implINS0_14default_configELb1EPKhPhPKlPlN2at6native12_GLOBAL__N_18offset_tEEE10hipError_tPvRmT1_PNSt15iterator_traitsISY_E10value_typeET2_T3_PNSZ_IS14_E10value_typeET4_jRbjT5_S1A_jjP12ihipStream_tbEUljE_EEESV_SW_SX_S14_S18_S1A_T6_T7_T9_mT8_S1C_bDpT10_ENKUlT_T0_E_clISt17integral_constantIbLb1EES1P_EEDaS1K_S1L_EUlS1K_E_NS1_11comp_targetILNS1_3genE9ELNS1_11target_archE1100ELNS1_3gpuE3ELNS1_3repE0EEENS1_30default_config_static_selectorELNS0_4arch9wavefront6targetE0EEEvSY_
		.amdhsa_group_segment_fixed_size 0
		.amdhsa_private_segment_fixed_size 0
		.amdhsa_kernarg_size 152
		.amdhsa_user_sgpr_count 6
		.amdhsa_user_sgpr_private_segment_buffer 1
		.amdhsa_user_sgpr_dispatch_ptr 0
		.amdhsa_user_sgpr_queue_ptr 0
		.amdhsa_user_sgpr_kernarg_segment_ptr 1
		.amdhsa_user_sgpr_dispatch_id 0
		.amdhsa_user_sgpr_flat_scratch_init 0
		.amdhsa_user_sgpr_private_segment_size 0
		.amdhsa_wavefront_size32 1
		.amdhsa_uses_dynamic_stack 0
		.amdhsa_system_sgpr_private_segment_wavefront_offset 0
		.amdhsa_system_sgpr_workgroup_id_x 1
		.amdhsa_system_sgpr_workgroup_id_y 0
		.amdhsa_system_sgpr_workgroup_id_z 0
		.amdhsa_system_sgpr_workgroup_info 0
		.amdhsa_system_vgpr_workitem_id 0
		.amdhsa_next_free_vgpr 1
		.amdhsa_next_free_sgpr 1
		.amdhsa_reserve_vcc 0
		.amdhsa_reserve_flat_scratch 0
		.amdhsa_float_round_mode_32 0
		.amdhsa_float_round_mode_16_64 0
		.amdhsa_float_denorm_mode_32 3
		.amdhsa_float_denorm_mode_16_64 3
		.amdhsa_dx10_clamp 1
		.amdhsa_ieee_mode 1
		.amdhsa_fp16_overflow 0
		.amdhsa_workgroup_processor_mode 1
		.amdhsa_memory_ordered 1
		.amdhsa_forward_progress 1
		.amdhsa_shared_vgpr_count 0
		.amdhsa_exception_fp_ieee_invalid_op 0
		.amdhsa_exception_fp_denorm_src 0
		.amdhsa_exception_fp_ieee_div_zero 0
		.amdhsa_exception_fp_ieee_overflow 0
		.amdhsa_exception_fp_ieee_underflow 0
		.amdhsa_exception_fp_ieee_inexact 0
		.amdhsa_exception_int_div_zero 0
	.end_amdhsa_kernel
	.section	.text._ZN7rocprim17ROCPRIM_400000_NS6detail17trampoline_kernelINS0_13select_configILj256ELj13ELNS0_17block_load_methodE3ELS4_3ELS4_3ELNS0_20block_scan_algorithmE0ELj4294967295EEENS1_25partition_config_selectorILNS1_17partition_subalgoE3EjNS0_10empty_typeEbEEZZNS1_14partition_implILS8_3ELb0ES6_jNS0_17counting_iteratorIjlEEPS9_SE_NS0_5tupleIJPjSE_EEENSF_IJSE_SE_EEES9_SG_JZNS1_25segmented_radix_sort_implINS0_14default_configELb1EPKhPhPKlPlN2at6native12_GLOBAL__N_18offset_tEEE10hipError_tPvRmT1_PNSt15iterator_traitsISY_E10value_typeET2_T3_PNSZ_IS14_E10value_typeET4_jRbjT5_S1A_jjP12ihipStream_tbEUljE_EEESV_SW_SX_S14_S18_S1A_T6_T7_T9_mT8_S1C_bDpT10_ENKUlT_T0_E_clISt17integral_constantIbLb1EES1P_EEDaS1K_S1L_EUlS1K_E_NS1_11comp_targetILNS1_3genE9ELNS1_11target_archE1100ELNS1_3gpuE3ELNS1_3repE0EEENS1_30default_config_static_selectorELNS0_4arch9wavefront6targetE0EEEvSY_,"axG",@progbits,_ZN7rocprim17ROCPRIM_400000_NS6detail17trampoline_kernelINS0_13select_configILj256ELj13ELNS0_17block_load_methodE3ELS4_3ELS4_3ELNS0_20block_scan_algorithmE0ELj4294967295EEENS1_25partition_config_selectorILNS1_17partition_subalgoE3EjNS0_10empty_typeEbEEZZNS1_14partition_implILS8_3ELb0ES6_jNS0_17counting_iteratorIjlEEPS9_SE_NS0_5tupleIJPjSE_EEENSF_IJSE_SE_EEES9_SG_JZNS1_25segmented_radix_sort_implINS0_14default_configELb1EPKhPhPKlPlN2at6native12_GLOBAL__N_18offset_tEEE10hipError_tPvRmT1_PNSt15iterator_traitsISY_E10value_typeET2_T3_PNSZ_IS14_E10value_typeET4_jRbjT5_S1A_jjP12ihipStream_tbEUljE_EEESV_SW_SX_S14_S18_S1A_T6_T7_T9_mT8_S1C_bDpT10_ENKUlT_T0_E_clISt17integral_constantIbLb1EES1P_EEDaS1K_S1L_EUlS1K_E_NS1_11comp_targetILNS1_3genE9ELNS1_11target_archE1100ELNS1_3gpuE3ELNS1_3repE0EEENS1_30default_config_static_selectorELNS0_4arch9wavefront6targetE0EEEvSY_,comdat
.Lfunc_end63:
	.size	_ZN7rocprim17ROCPRIM_400000_NS6detail17trampoline_kernelINS0_13select_configILj256ELj13ELNS0_17block_load_methodE3ELS4_3ELS4_3ELNS0_20block_scan_algorithmE0ELj4294967295EEENS1_25partition_config_selectorILNS1_17partition_subalgoE3EjNS0_10empty_typeEbEEZZNS1_14partition_implILS8_3ELb0ES6_jNS0_17counting_iteratorIjlEEPS9_SE_NS0_5tupleIJPjSE_EEENSF_IJSE_SE_EEES9_SG_JZNS1_25segmented_radix_sort_implINS0_14default_configELb1EPKhPhPKlPlN2at6native12_GLOBAL__N_18offset_tEEE10hipError_tPvRmT1_PNSt15iterator_traitsISY_E10value_typeET2_T3_PNSZ_IS14_E10value_typeET4_jRbjT5_S1A_jjP12ihipStream_tbEUljE_EEESV_SW_SX_S14_S18_S1A_T6_T7_T9_mT8_S1C_bDpT10_ENKUlT_T0_E_clISt17integral_constantIbLb1EES1P_EEDaS1K_S1L_EUlS1K_E_NS1_11comp_targetILNS1_3genE9ELNS1_11target_archE1100ELNS1_3gpuE3ELNS1_3repE0EEENS1_30default_config_static_selectorELNS0_4arch9wavefront6targetE0EEEvSY_, .Lfunc_end63-_ZN7rocprim17ROCPRIM_400000_NS6detail17trampoline_kernelINS0_13select_configILj256ELj13ELNS0_17block_load_methodE3ELS4_3ELS4_3ELNS0_20block_scan_algorithmE0ELj4294967295EEENS1_25partition_config_selectorILNS1_17partition_subalgoE3EjNS0_10empty_typeEbEEZZNS1_14partition_implILS8_3ELb0ES6_jNS0_17counting_iteratorIjlEEPS9_SE_NS0_5tupleIJPjSE_EEENSF_IJSE_SE_EEES9_SG_JZNS1_25segmented_radix_sort_implINS0_14default_configELb1EPKhPhPKlPlN2at6native12_GLOBAL__N_18offset_tEEE10hipError_tPvRmT1_PNSt15iterator_traitsISY_E10value_typeET2_T3_PNSZ_IS14_E10value_typeET4_jRbjT5_S1A_jjP12ihipStream_tbEUljE_EEESV_SW_SX_S14_S18_S1A_T6_T7_T9_mT8_S1C_bDpT10_ENKUlT_T0_E_clISt17integral_constantIbLb1EES1P_EEDaS1K_S1L_EUlS1K_E_NS1_11comp_targetILNS1_3genE9ELNS1_11target_archE1100ELNS1_3gpuE3ELNS1_3repE0EEENS1_30default_config_static_selectorELNS0_4arch9wavefront6targetE0EEEvSY_
                                        ; -- End function
	.set _ZN7rocprim17ROCPRIM_400000_NS6detail17trampoline_kernelINS0_13select_configILj256ELj13ELNS0_17block_load_methodE3ELS4_3ELS4_3ELNS0_20block_scan_algorithmE0ELj4294967295EEENS1_25partition_config_selectorILNS1_17partition_subalgoE3EjNS0_10empty_typeEbEEZZNS1_14partition_implILS8_3ELb0ES6_jNS0_17counting_iteratorIjlEEPS9_SE_NS0_5tupleIJPjSE_EEENSF_IJSE_SE_EEES9_SG_JZNS1_25segmented_radix_sort_implINS0_14default_configELb1EPKhPhPKlPlN2at6native12_GLOBAL__N_18offset_tEEE10hipError_tPvRmT1_PNSt15iterator_traitsISY_E10value_typeET2_T3_PNSZ_IS14_E10value_typeET4_jRbjT5_S1A_jjP12ihipStream_tbEUljE_EEESV_SW_SX_S14_S18_S1A_T6_T7_T9_mT8_S1C_bDpT10_ENKUlT_T0_E_clISt17integral_constantIbLb1EES1P_EEDaS1K_S1L_EUlS1K_E_NS1_11comp_targetILNS1_3genE9ELNS1_11target_archE1100ELNS1_3gpuE3ELNS1_3repE0EEENS1_30default_config_static_selectorELNS0_4arch9wavefront6targetE0EEEvSY_.num_vgpr, 0
	.set _ZN7rocprim17ROCPRIM_400000_NS6detail17trampoline_kernelINS0_13select_configILj256ELj13ELNS0_17block_load_methodE3ELS4_3ELS4_3ELNS0_20block_scan_algorithmE0ELj4294967295EEENS1_25partition_config_selectorILNS1_17partition_subalgoE3EjNS0_10empty_typeEbEEZZNS1_14partition_implILS8_3ELb0ES6_jNS0_17counting_iteratorIjlEEPS9_SE_NS0_5tupleIJPjSE_EEENSF_IJSE_SE_EEES9_SG_JZNS1_25segmented_radix_sort_implINS0_14default_configELb1EPKhPhPKlPlN2at6native12_GLOBAL__N_18offset_tEEE10hipError_tPvRmT1_PNSt15iterator_traitsISY_E10value_typeET2_T3_PNSZ_IS14_E10value_typeET4_jRbjT5_S1A_jjP12ihipStream_tbEUljE_EEESV_SW_SX_S14_S18_S1A_T6_T7_T9_mT8_S1C_bDpT10_ENKUlT_T0_E_clISt17integral_constantIbLb1EES1P_EEDaS1K_S1L_EUlS1K_E_NS1_11comp_targetILNS1_3genE9ELNS1_11target_archE1100ELNS1_3gpuE3ELNS1_3repE0EEENS1_30default_config_static_selectorELNS0_4arch9wavefront6targetE0EEEvSY_.num_agpr, 0
	.set _ZN7rocprim17ROCPRIM_400000_NS6detail17trampoline_kernelINS0_13select_configILj256ELj13ELNS0_17block_load_methodE3ELS4_3ELS4_3ELNS0_20block_scan_algorithmE0ELj4294967295EEENS1_25partition_config_selectorILNS1_17partition_subalgoE3EjNS0_10empty_typeEbEEZZNS1_14partition_implILS8_3ELb0ES6_jNS0_17counting_iteratorIjlEEPS9_SE_NS0_5tupleIJPjSE_EEENSF_IJSE_SE_EEES9_SG_JZNS1_25segmented_radix_sort_implINS0_14default_configELb1EPKhPhPKlPlN2at6native12_GLOBAL__N_18offset_tEEE10hipError_tPvRmT1_PNSt15iterator_traitsISY_E10value_typeET2_T3_PNSZ_IS14_E10value_typeET4_jRbjT5_S1A_jjP12ihipStream_tbEUljE_EEESV_SW_SX_S14_S18_S1A_T6_T7_T9_mT8_S1C_bDpT10_ENKUlT_T0_E_clISt17integral_constantIbLb1EES1P_EEDaS1K_S1L_EUlS1K_E_NS1_11comp_targetILNS1_3genE9ELNS1_11target_archE1100ELNS1_3gpuE3ELNS1_3repE0EEENS1_30default_config_static_selectorELNS0_4arch9wavefront6targetE0EEEvSY_.numbered_sgpr, 0
	.set _ZN7rocprim17ROCPRIM_400000_NS6detail17trampoline_kernelINS0_13select_configILj256ELj13ELNS0_17block_load_methodE3ELS4_3ELS4_3ELNS0_20block_scan_algorithmE0ELj4294967295EEENS1_25partition_config_selectorILNS1_17partition_subalgoE3EjNS0_10empty_typeEbEEZZNS1_14partition_implILS8_3ELb0ES6_jNS0_17counting_iteratorIjlEEPS9_SE_NS0_5tupleIJPjSE_EEENSF_IJSE_SE_EEES9_SG_JZNS1_25segmented_radix_sort_implINS0_14default_configELb1EPKhPhPKlPlN2at6native12_GLOBAL__N_18offset_tEEE10hipError_tPvRmT1_PNSt15iterator_traitsISY_E10value_typeET2_T3_PNSZ_IS14_E10value_typeET4_jRbjT5_S1A_jjP12ihipStream_tbEUljE_EEESV_SW_SX_S14_S18_S1A_T6_T7_T9_mT8_S1C_bDpT10_ENKUlT_T0_E_clISt17integral_constantIbLb1EES1P_EEDaS1K_S1L_EUlS1K_E_NS1_11comp_targetILNS1_3genE9ELNS1_11target_archE1100ELNS1_3gpuE3ELNS1_3repE0EEENS1_30default_config_static_selectorELNS0_4arch9wavefront6targetE0EEEvSY_.num_named_barrier, 0
	.set _ZN7rocprim17ROCPRIM_400000_NS6detail17trampoline_kernelINS0_13select_configILj256ELj13ELNS0_17block_load_methodE3ELS4_3ELS4_3ELNS0_20block_scan_algorithmE0ELj4294967295EEENS1_25partition_config_selectorILNS1_17partition_subalgoE3EjNS0_10empty_typeEbEEZZNS1_14partition_implILS8_3ELb0ES6_jNS0_17counting_iteratorIjlEEPS9_SE_NS0_5tupleIJPjSE_EEENSF_IJSE_SE_EEES9_SG_JZNS1_25segmented_radix_sort_implINS0_14default_configELb1EPKhPhPKlPlN2at6native12_GLOBAL__N_18offset_tEEE10hipError_tPvRmT1_PNSt15iterator_traitsISY_E10value_typeET2_T3_PNSZ_IS14_E10value_typeET4_jRbjT5_S1A_jjP12ihipStream_tbEUljE_EEESV_SW_SX_S14_S18_S1A_T6_T7_T9_mT8_S1C_bDpT10_ENKUlT_T0_E_clISt17integral_constantIbLb1EES1P_EEDaS1K_S1L_EUlS1K_E_NS1_11comp_targetILNS1_3genE9ELNS1_11target_archE1100ELNS1_3gpuE3ELNS1_3repE0EEENS1_30default_config_static_selectorELNS0_4arch9wavefront6targetE0EEEvSY_.private_seg_size, 0
	.set _ZN7rocprim17ROCPRIM_400000_NS6detail17trampoline_kernelINS0_13select_configILj256ELj13ELNS0_17block_load_methodE3ELS4_3ELS4_3ELNS0_20block_scan_algorithmE0ELj4294967295EEENS1_25partition_config_selectorILNS1_17partition_subalgoE3EjNS0_10empty_typeEbEEZZNS1_14partition_implILS8_3ELb0ES6_jNS0_17counting_iteratorIjlEEPS9_SE_NS0_5tupleIJPjSE_EEENSF_IJSE_SE_EEES9_SG_JZNS1_25segmented_radix_sort_implINS0_14default_configELb1EPKhPhPKlPlN2at6native12_GLOBAL__N_18offset_tEEE10hipError_tPvRmT1_PNSt15iterator_traitsISY_E10value_typeET2_T3_PNSZ_IS14_E10value_typeET4_jRbjT5_S1A_jjP12ihipStream_tbEUljE_EEESV_SW_SX_S14_S18_S1A_T6_T7_T9_mT8_S1C_bDpT10_ENKUlT_T0_E_clISt17integral_constantIbLb1EES1P_EEDaS1K_S1L_EUlS1K_E_NS1_11comp_targetILNS1_3genE9ELNS1_11target_archE1100ELNS1_3gpuE3ELNS1_3repE0EEENS1_30default_config_static_selectorELNS0_4arch9wavefront6targetE0EEEvSY_.uses_vcc, 0
	.set _ZN7rocprim17ROCPRIM_400000_NS6detail17trampoline_kernelINS0_13select_configILj256ELj13ELNS0_17block_load_methodE3ELS4_3ELS4_3ELNS0_20block_scan_algorithmE0ELj4294967295EEENS1_25partition_config_selectorILNS1_17partition_subalgoE3EjNS0_10empty_typeEbEEZZNS1_14partition_implILS8_3ELb0ES6_jNS0_17counting_iteratorIjlEEPS9_SE_NS0_5tupleIJPjSE_EEENSF_IJSE_SE_EEES9_SG_JZNS1_25segmented_radix_sort_implINS0_14default_configELb1EPKhPhPKlPlN2at6native12_GLOBAL__N_18offset_tEEE10hipError_tPvRmT1_PNSt15iterator_traitsISY_E10value_typeET2_T3_PNSZ_IS14_E10value_typeET4_jRbjT5_S1A_jjP12ihipStream_tbEUljE_EEESV_SW_SX_S14_S18_S1A_T6_T7_T9_mT8_S1C_bDpT10_ENKUlT_T0_E_clISt17integral_constantIbLb1EES1P_EEDaS1K_S1L_EUlS1K_E_NS1_11comp_targetILNS1_3genE9ELNS1_11target_archE1100ELNS1_3gpuE3ELNS1_3repE0EEENS1_30default_config_static_selectorELNS0_4arch9wavefront6targetE0EEEvSY_.uses_flat_scratch, 0
	.set _ZN7rocprim17ROCPRIM_400000_NS6detail17trampoline_kernelINS0_13select_configILj256ELj13ELNS0_17block_load_methodE3ELS4_3ELS4_3ELNS0_20block_scan_algorithmE0ELj4294967295EEENS1_25partition_config_selectorILNS1_17partition_subalgoE3EjNS0_10empty_typeEbEEZZNS1_14partition_implILS8_3ELb0ES6_jNS0_17counting_iteratorIjlEEPS9_SE_NS0_5tupleIJPjSE_EEENSF_IJSE_SE_EEES9_SG_JZNS1_25segmented_radix_sort_implINS0_14default_configELb1EPKhPhPKlPlN2at6native12_GLOBAL__N_18offset_tEEE10hipError_tPvRmT1_PNSt15iterator_traitsISY_E10value_typeET2_T3_PNSZ_IS14_E10value_typeET4_jRbjT5_S1A_jjP12ihipStream_tbEUljE_EEESV_SW_SX_S14_S18_S1A_T6_T7_T9_mT8_S1C_bDpT10_ENKUlT_T0_E_clISt17integral_constantIbLb1EES1P_EEDaS1K_S1L_EUlS1K_E_NS1_11comp_targetILNS1_3genE9ELNS1_11target_archE1100ELNS1_3gpuE3ELNS1_3repE0EEENS1_30default_config_static_selectorELNS0_4arch9wavefront6targetE0EEEvSY_.has_dyn_sized_stack, 0
	.set _ZN7rocprim17ROCPRIM_400000_NS6detail17trampoline_kernelINS0_13select_configILj256ELj13ELNS0_17block_load_methodE3ELS4_3ELS4_3ELNS0_20block_scan_algorithmE0ELj4294967295EEENS1_25partition_config_selectorILNS1_17partition_subalgoE3EjNS0_10empty_typeEbEEZZNS1_14partition_implILS8_3ELb0ES6_jNS0_17counting_iteratorIjlEEPS9_SE_NS0_5tupleIJPjSE_EEENSF_IJSE_SE_EEES9_SG_JZNS1_25segmented_radix_sort_implINS0_14default_configELb1EPKhPhPKlPlN2at6native12_GLOBAL__N_18offset_tEEE10hipError_tPvRmT1_PNSt15iterator_traitsISY_E10value_typeET2_T3_PNSZ_IS14_E10value_typeET4_jRbjT5_S1A_jjP12ihipStream_tbEUljE_EEESV_SW_SX_S14_S18_S1A_T6_T7_T9_mT8_S1C_bDpT10_ENKUlT_T0_E_clISt17integral_constantIbLb1EES1P_EEDaS1K_S1L_EUlS1K_E_NS1_11comp_targetILNS1_3genE9ELNS1_11target_archE1100ELNS1_3gpuE3ELNS1_3repE0EEENS1_30default_config_static_selectorELNS0_4arch9wavefront6targetE0EEEvSY_.has_recursion, 0
	.set _ZN7rocprim17ROCPRIM_400000_NS6detail17trampoline_kernelINS0_13select_configILj256ELj13ELNS0_17block_load_methodE3ELS4_3ELS4_3ELNS0_20block_scan_algorithmE0ELj4294967295EEENS1_25partition_config_selectorILNS1_17partition_subalgoE3EjNS0_10empty_typeEbEEZZNS1_14partition_implILS8_3ELb0ES6_jNS0_17counting_iteratorIjlEEPS9_SE_NS0_5tupleIJPjSE_EEENSF_IJSE_SE_EEES9_SG_JZNS1_25segmented_radix_sort_implINS0_14default_configELb1EPKhPhPKlPlN2at6native12_GLOBAL__N_18offset_tEEE10hipError_tPvRmT1_PNSt15iterator_traitsISY_E10value_typeET2_T3_PNSZ_IS14_E10value_typeET4_jRbjT5_S1A_jjP12ihipStream_tbEUljE_EEESV_SW_SX_S14_S18_S1A_T6_T7_T9_mT8_S1C_bDpT10_ENKUlT_T0_E_clISt17integral_constantIbLb1EES1P_EEDaS1K_S1L_EUlS1K_E_NS1_11comp_targetILNS1_3genE9ELNS1_11target_archE1100ELNS1_3gpuE3ELNS1_3repE0EEENS1_30default_config_static_selectorELNS0_4arch9wavefront6targetE0EEEvSY_.has_indirect_call, 0
	.section	.AMDGPU.csdata,"",@progbits
; Kernel info:
; codeLenInByte = 0
; TotalNumSgprs: 0
; NumVgprs: 0
; ScratchSize: 0
; MemoryBound: 0
; FloatMode: 240
; IeeeMode: 1
; LDSByteSize: 0 bytes/workgroup (compile time only)
; SGPRBlocks: 0
; VGPRBlocks: 0
; NumSGPRsForWavesPerEU: 1
; NumVGPRsForWavesPerEU: 1
; Occupancy: 16
; WaveLimiterHint : 0
; COMPUTE_PGM_RSRC2:SCRATCH_EN: 0
; COMPUTE_PGM_RSRC2:USER_SGPR: 6
; COMPUTE_PGM_RSRC2:TRAP_HANDLER: 0
; COMPUTE_PGM_RSRC2:TGID_X_EN: 1
; COMPUTE_PGM_RSRC2:TGID_Y_EN: 0
; COMPUTE_PGM_RSRC2:TGID_Z_EN: 0
; COMPUTE_PGM_RSRC2:TIDIG_COMP_CNT: 0
	.section	.text._ZN7rocprim17ROCPRIM_400000_NS6detail17trampoline_kernelINS0_13select_configILj256ELj13ELNS0_17block_load_methodE3ELS4_3ELS4_3ELNS0_20block_scan_algorithmE0ELj4294967295EEENS1_25partition_config_selectorILNS1_17partition_subalgoE3EjNS0_10empty_typeEbEEZZNS1_14partition_implILS8_3ELb0ES6_jNS0_17counting_iteratorIjlEEPS9_SE_NS0_5tupleIJPjSE_EEENSF_IJSE_SE_EEES9_SG_JZNS1_25segmented_radix_sort_implINS0_14default_configELb1EPKhPhPKlPlN2at6native12_GLOBAL__N_18offset_tEEE10hipError_tPvRmT1_PNSt15iterator_traitsISY_E10value_typeET2_T3_PNSZ_IS14_E10value_typeET4_jRbjT5_S1A_jjP12ihipStream_tbEUljE_EEESV_SW_SX_S14_S18_S1A_T6_T7_T9_mT8_S1C_bDpT10_ENKUlT_T0_E_clISt17integral_constantIbLb1EES1P_EEDaS1K_S1L_EUlS1K_E_NS1_11comp_targetILNS1_3genE8ELNS1_11target_archE1030ELNS1_3gpuE2ELNS1_3repE0EEENS1_30default_config_static_selectorELNS0_4arch9wavefront6targetE0EEEvSY_,"axG",@progbits,_ZN7rocprim17ROCPRIM_400000_NS6detail17trampoline_kernelINS0_13select_configILj256ELj13ELNS0_17block_load_methodE3ELS4_3ELS4_3ELNS0_20block_scan_algorithmE0ELj4294967295EEENS1_25partition_config_selectorILNS1_17partition_subalgoE3EjNS0_10empty_typeEbEEZZNS1_14partition_implILS8_3ELb0ES6_jNS0_17counting_iteratorIjlEEPS9_SE_NS0_5tupleIJPjSE_EEENSF_IJSE_SE_EEES9_SG_JZNS1_25segmented_radix_sort_implINS0_14default_configELb1EPKhPhPKlPlN2at6native12_GLOBAL__N_18offset_tEEE10hipError_tPvRmT1_PNSt15iterator_traitsISY_E10value_typeET2_T3_PNSZ_IS14_E10value_typeET4_jRbjT5_S1A_jjP12ihipStream_tbEUljE_EEESV_SW_SX_S14_S18_S1A_T6_T7_T9_mT8_S1C_bDpT10_ENKUlT_T0_E_clISt17integral_constantIbLb1EES1P_EEDaS1K_S1L_EUlS1K_E_NS1_11comp_targetILNS1_3genE8ELNS1_11target_archE1030ELNS1_3gpuE2ELNS1_3repE0EEENS1_30default_config_static_selectorELNS0_4arch9wavefront6targetE0EEEvSY_,comdat
	.globl	_ZN7rocprim17ROCPRIM_400000_NS6detail17trampoline_kernelINS0_13select_configILj256ELj13ELNS0_17block_load_methodE3ELS4_3ELS4_3ELNS0_20block_scan_algorithmE0ELj4294967295EEENS1_25partition_config_selectorILNS1_17partition_subalgoE3EjNS0_10empty_typeEbEEZZNS1_14partition_implILS8_3ELb0ES6_jNS0_17counting_iteratorIjlEEPS9_SE_NS0_5tupleIJPjSE_EEENSF_IJSE_SE_EEES9_SG_JZNS1_25segmented_radix_sort_implINS0_14default_configELb1EPKhPhPKlPlN2at6native12_GLOBAL__N_18offset_tEEE10hipError_tPvRmT1_PNSt15iterator_traitsISY_E10value_typeET2_T3_PNSZ_IS14_E10value_typeET4_jRbjT5_S1A_jjP12ihipStream_tbEUljE_EEESV_SW_SX_S14_S18_S1A_T6_T7_T9_mT8_S1C_bDpT10_ENKUlT_T0_E_clISt17integral_constantIbLb1EES1P_EEDaS1K_S1L_EUlS1K_E_NS1_11comp_targetILNS1_3genE8ELNS1_11target_archE1030ELNS1_3gpuE2ELNS1_3repE0EEENS1_30default_config_static_selectorELNS0_4arch9wavefront6targetE0EEEvSY_ ; -- Begin function _ZN7rocprim17ROCPRIM_400000_NS6detail17trampoline_kernelINS0_13select_configILj256ELj13ELNS0_17block_load_methodE3ELS4_3ELS4_3ELNS0_20block_scan_algorithmE0ELj4294967295EEENS1_25partition_config_selectorILNS1_17partition_subalgoE3EjNS0_10empty_typeEbEEZZNS1_14partition_implILS8_3ELb0ES6_jNS0_17counting_iteratorIjlEEPS9_SE_NS0_5tupleIJPjSE_EEENSF_IJSE_SE_EEES9_SG_JZNS1_25segmented_radix_sort_implINS0_14default_configELb1EPKhPhPKlPlN2at6native12_GLOBAL__N_18offset_tEEE10hipError_tPvRmT1_PNSt15iterator_traitsISY_E10value_typeET2_T3_PNSZ_IS14_E10value_typeET4_jRbjT5_S1A_jjP12ihipStream_tbEUljE_EEESV_SW_SX_S14_S18_S1A_T6_T7_T9_mT8_S1C_bDpT10_ENKUlT_T0_E_clISt17integral_constantIbLb1EES1P_EEDaS1K_S1L_EUlS1K_E_NS1_11comp_targetILNS1_3genE8ELNS1_11target_archE1030ELNS1_3gpuE2ELNS1_3repE0EEENS1_30default_config_static_selectorELNS0_4arch9wavefront6targetE0EEEvSY_
	.p2align	8
	.type	_ZN7rocprim17ROCPRIM_400000_NS6detail17trampoline_kernelINS0_13select_configILj256ELj13ELNS0_17block_load_methodE3ELS4_3ELS4_3ELNS0_20block_scan_algorithmE0ELj4294967295EEENS1_25partition_config_selectorILNS1_17partition_subalgoE3EjNS0_10empty_typeEbEEZZNS1_14partition_implILS8_3ELb0ES6_jNS0_17counting_iteratorIjlEEPS9_SE_NS0_5tupleIJPjSE_EEENSF_IJSE_SE_EEES9_SG_JZNS1_25segmented_radix_sort_implINS0_14default_configELb1EPKhPhPKlPlN2at6native12_GLOBAL__N_18offset_tEEE10hipError_tPvRmT1_PNSt15iterator_traitsISY_E10value_typeET2_T3_PNSZ_IS14_E10value_typeET4_jRbjT5_S1A_jjP12ihipStream_tbEUljE_EEESV_SW_SX_S14_S18_S1A_T6_T7_T9_mT8_S1C_bDpT10_ENKUlT_T0_E_clISt17integral_constantIbLb1EES1P_EEDaS1K_S1L_EUlS1K_E_NS1_11comp_targetILNS1_3genE8ELNS1_11target_archE1030ELNS1_3gpuE2ELNS1_3repE0EEENS1_30default_config_static_selectorELNS0_4arch9wavefront6targetE0EEEvSY_,@function
_ZN7rocprim17ROCPRIM_400000_NS6detail17trampoline_kernelINS0_13select_configILj256ELj13ELNS0_17block_load_methodE3ELS4_3ELS4_3ELNS0_20block_scan_algorithmE0ELj4294967295EEENS1_25partition_config_selectorILNS1_17partition_subalgoE3EjNS0_10empty_typeEbEEZZNS1_14partition_implILS8_3ELb0ES6_jNS0_17counting_iteratorIjlEEPS9_SE_NS0_5tupleIJPjSE_EEENSF_IJSE_SE_EEES9_SG_JZNS1_25segmented_radix_sort_implINS0_14default_configELb1EPKhPhPKlPlN2at6native12_GLOBAL__N_18offset_tEEE10hipError_tPvRmT1_PNSt15iterator_traitsISY_E10value_typeET2_T3_PNSZ_IS14_E10value_typeET4_jRbjT5_S1A_jjP12ihipStream_tbEUljE_EEESV_SW_SX_S14_S18_S1A_T6_T7_T9_mT8_S1C_bDpT10_ENKUlT_T0_E_clISt17integral_constantIbLb1EES1P_EEDaS1K_S1L_EUlS1K_E_NS1_11comp_targetILNS1_3genE8ELNS1_11target_archE1030ELNS1_3gpuE2ELNS1_3repE0EEENS1_30default_config_static_selectorELNS0_4arch9wavefront6targetE0EEEvSY_: ; @_ZN7rocprim17ROCPRIM_400000_NS6detail17trampoline_kernelINS0_13select_configILj256ELj13ELNS0_17block_load_methodE3ELS4_3ELS4_3ELNS0_20block_scan_algorithmE0ELj4294967295EEENS1_25partition_config_selectorILNS1_17partition_subalgoE3EjNS0_10empty_typeEbEEZZNS1_14partition_implILS8_3ELb0ES6_jNS0_17counting_iteratorIjlEEPS9_SE_NS0_5tupleIJPjSE_EEENSF_IJSE_SE_EEES9_SG_JZNS1_25segmented_radix_sort_implINS0_14default_configELb1EPKhPhPKlPlN2at6native12_GLOBAL__N_18offset_tEEE10hipError_tPvRmT1_PNSt15iterator_traitsISY_E10value_typeET2_T3_PNSZ_IS14_E10value_typeET4_jRbjT5_S1A_jjP12ihipStream_tbEUljE_EEESV_SW_SX_S14_S18_S1A_T6_T7_T9_mT8_S1C_bDpT10_ENKUlT_T0_E_clISt17integral_constantIbLb1EES1P_EEDaS1K_S1L_EUlS1K_E_NS1_11comp_targetILNS1_3genE8ELNS1_11target_archE1030ELNS1_3gpuE2ELNS1_3repE0EEENS1_30default_config_static_selectorELNS0_4arch9wavefront6targetE0EEEvSY_
; %bb.0:
	s_endpgm
	.section	.rodata,"a",@progbits
	.p2align	6, 0x0
	.amdhsa_kernel _ZN7rocprim17ROCPRIM_400000_NS6detail17trampoline_kernelINS0_13select_configILj256ELj13ELNS0_17block_load_methodE3ELS4_3ELS4_3ELNS0_20block_scan_algorithmE0ELj4294967295EEENS1_25partition_config_selectorILNS1_17partition_subalgoE3EjNS0_10empty_typeEbEEZZNS1_14partition_implILS8_3ELb0ES6_jNS0_17counting_iteratorIjlEEPS9_SE_NS0_5tupleIJPjSE_EEENSF_IJSE_SE_EEES9_SG_JZNS1_25segmented_radix_sort_implINS0_14default_configELb1EPKhPhPKlPlN2at6native12_GLOBAL__N_18offset_tEEE10hipError_tPvRmT1_PNSt15iterator_traitsISY_E10value_typeET2_T3_PNSZ_IS14_E10value_typeET4_jRbjT5_S1A_jjP12ihipStream_tbEUljE_EEESV_SW_SX_S14_S18_S1A_T6_T7_T9_mT8_S1C_bDpT10_ENKUlT_T0_E_clISt17integral_constantIbLb1EES1P_EEDaS1K_S1L_EUlS1K_E_NS1_11comp_targetILNS1_3genE8ELNS1_11target_archE1030ELNS1_3gpuE2ELNS1_3repE0EEENS1_30default_config_static_selectorELNS0_4arch9wavefront6targetE0EEEvSY_
		.amdhsa_group_segment_fixed_size 0
		.amdhsa_private_segment_fixed_size 0
		.amdhsa_kernarg_size 152
		.amdhsa_user_sgpr_count 6
		.amdhsa_user_sgpr_private_segment_buffer 1
		.amdhsa_user_sgpr_dispatch_ptr 0
		.amdhsa_user_sgpr_queue_ptr 0
		.amdhsa_user_sgpr_kernarg_segment_ptr 1
		.amdhsa_user_sgpr_dispatch_id 0
		.amdhsa_user_sgpr_flat_scratch_init 0
		.amdhsa_user_sgpr_private_segment_size 0
		.amdhsa_wavefront_size32 1
		.amdhsa_uses_dynamic_stack 0
		.amdhsa_system_sgpr_private_segment_wavefront_offset 0
		.amdhsa_system_sgpr_workgroup_id_x 1
		.amdhsa_system_sgpr_workgroup_id_y 0
		.amdhsa_system_sgpr_workgroup_id_z 0
		.amdhsa_system_sgpr_workgroup_info 0
		.amdhsa_system_vgpr_workitem_id 0
		.amdhsa_next_free_vgpr 1
		.amdhsa_next_free_sgpr 1
		.amdhsa_reserve_vcc 0
		.amdhsa_reserve_flat_scratch 0
		.amdhsa_float_round_mode_32 0
		.amdhsa_float_round_mode_16_64 0
		.amdhsa_float_denorm_mode_32 3
		.amdhsa_float_denorm_mode_16_64 3
		.amdhsa_dx10_clamp 1
		.amdhsa_ieee_mode 1
		.amdhsa_fp16_overflow 0
		.amdhsa_workgroup_processor_mode 1
		.amdhsa_memory_ordered 1
		.amdhsa_forward_progress 1
		.amdhsa_shared_vgpr_count 0
		.amdhsa_exception_fp_ieee_invalid_op 0
		.amdhsa_exception_fp_denorm_src 0
		.amdhsa_exception_fp_ieee_div_zero 0
		.amdhsa_exception_fp_ieee_overflow 0
		.amdhsa_exception_fp_ieee_underflow 0
		.amdhsa_exception_fp_ieee_inexact 0
		.amdhsa_exception_int_div_zero 0
	.end_amdhsa_kernel
	.section	.text._ZN7rocprim17ROCPRIM_400000_NS6detail17trampoline_kernelINS0_13select_configILj256ELj13ELNS0_17block_load_methodE3ELS4_3ELS4_3ELNS0_20block_scan_algorithmE0ELj4294967295EEENS1_25partition_config_selectorILNS1_17partition_subalgoE3EjNS0_10empty_typeEbEEZZNS1_14partition_implILS8_3ELb0ES6_jNS0_17counting_iteratorIjlEEPS9_SE_NS0_5tupleIJPjSE_EEENSF_IJSE_SE_EEES9_SG_JZNS1_25segmented_radix_sort_implINS0_14default_configELb1EPKhPhPKlPlN2at6native12_GLOBAL__N_18offset_tEEE10hipError_tPvRmT1_PNSt15iterator_traitsISY_E10value_typeET2_T3_PNSZ_IS14_E10value_typeET4_jRbjT5_S1A_jjP12ihipStream_tbEUljE_EEESV_SW_SX_S14_S18_S1A_T6_T7_T9_mT8_S1C_bDpT10_ENKUlT_T0_E_clISt17integral_constantIbLb1EES1P_EEDaS1K_S1L_EUlS1K_E_NS1_11comp_targetILNS1_3genE8ELNS1_11target_archE1030ELNS1_3gpuE2ELNS1_3repE0EEENS1_30default_config_static_selectorELNS0_4arch9wavefront6targetE0EEEvSY_,"axG",@progbits,_ZN7rocprim17ROCPRIM_400000_NS6detail17trampoline_kernelINS0_13select_configILj256ELj13ELNS0_17block_load_methodE3ELS4_3ELS4_3ELNS0_20block_scan_algorithmE0ELj4294967295EEENS1_25partition_config_selectorILNS1_17partition_subalgoE3EjNS0_10empty_typeEbEEZZNS1_14partition_implILS8_3ELb0ES6_jNS0_17counting_iteratorIjlEEPS9_SE_NS0_5tupleIJPjSE_EEENSF_IJSE_SE_EEES9_SG_JZNS1_25segmented_radix_sort_implINS0_14default_configELb1EPKhPhPKlPlN2at6native12_GLOBAL__N_18offset_tEEE10hipError_tPvRmT1_PNSt15iterator_traitsISY_E10value_typeET2_T3_PNSZ_IS14_E10value_typeET4_jRbjT5_S1A_jjP12ihipStream_tbEUljE_EEESV_SW_SX_S14_S18_S1A_T6_T7_T9_mT8_S1C_bDpT10_ENKUlT_T0_E_clISt17integral_constantIbLb1EES1P_EEDaS1K_S1L_EUlS1K_E_NS1_11comp_targetILNS1_3genE8ELNS1_11target_archE1030ELNS1_3gpuE2ELNS1_3repE0EEENS1_30default_config_static_selectorELNS0_4arch9wavefront6targetE0EEEvSY_,comdat
.Lfunc_end64:
	.size	_ZN7rocprim17ROCPRIM_400000_NS6detail17trampoline_kernelINS0_13select_configILj256ELj13ELNS0_17block_load_methodE3ELS4_3ELS4_3ELNS0_20block_scan_algorithmE0ELj4294967295EEENS1_25partition_config_selectorILNS1_17partition_subalgoE3EjNS0_10empty_typeEbEEZZNS1_14partition_implILS8_3ELb0ES6_jNS0_17counting_iteratorIjlEEPS9_SE_NS0_5tupleIJPjSE_EEENSF_IJSE_SE_EEES9_SG_JZNS1_25segmented_radix_sort_implINS0_14default_configELb1EPKhPhPKlPlN2at6native12_GLOBAL__N_18offset_tEEE10hipError_tPvRmT1_PNSt15iterator_traitsISY_E10value_typeET2_T3_PNSZ_IS14_E10value_typeET4_jRbjT5_S1A_jjP12ihipStream_tbEUljE_EEESV_SW_SX_S14_S18_S1A_T6_T7_T9_mT8_S1C_bDpT10_ENKUlT_T0_E_clISt17integral_constantIbLb1EES1P_EEDaS1K_S1L_EUlS1K_E_NS1_11comp_targetILNS1_3genE8ELNS1_11target_archE1030ELNS1_3gpuE2ELNS1_3repE0EEENS1_30default_config_static_selectorELNS0_4arch9wavefront6targetE0EEEvSY_, .Lfunc_end64-_ZN7rocprim17ROCPRIM_400000_NS6detail17trampoline_kernelINS0_13select_configILj256ELj13ELNS0_17block_load_methodE3ELS4_3ELS4_3ELNS0_20block_scan_algorithmE0ELj4294967295EEENS1_25partition_config_selectorILNS1_17partition_subalgoE3EjNS0_10empty_typeEbEEZZNS1_14partition_implILS8_3ELb0ES6_jNS0_17counting_iteratorIjlEEPS9_SE_NS0_5tupleIJPjSE_EEENSF_IJSE_SE_EEES9_SG_JZNS1_25segmented_radix_sort_implINS0_14default_configELb1EPKhPhPKlPlN2at6native12_GLOBAL__N_18offset_tEEE10hipError_tPvRmT1_PNSt15iterator_traitsISY_E10value_typeET2_T3_PNSZ_IS14_E10value_typeET4_jRbjT5_S1A_jjP12ihipStream_tbEUljE_EEESV_SW_SX_S14_S18_S1A_T6_T7_T9_mT8_S1C_bDpT10_ENKUlT_T0_E_clISt17integral_constantIbLb1EES1P_EEDaS1K_S1L_EUlS1K_E_NS1_11comp_targetILNS1_3genE8ELNS1_11target_archE1030ELNS1_3gpuE2ELNS1_3repE0EEENS1_30default_config_static_selectorELNS0_4arch9wavefront6targetE0EEEvSY_
                                        ; -- End function
	.set _ZN7rocprim17ROCPRIM_400000_NS6detail17trampoline_kernelINS0_13select_configILj256ELj13ELNS0_17block_load_methodE3ELS4_3ELS4_3ELNS0_20block_scan_algorithmE0ELj4294967295EEENS1_25partition_config_selectorILNS1_17partition_subalgoE3EjNS0_10empty_typeEbEEZZNS1_14partition_implILS8_3ELb0ES6_jNS0_17counting_iteratorIjlEEPS9_SE_NS0_5tupleIJPjSE_EEENSF_IJSE_SE_EEES9_SG_JZNS1_25segmented_radix_sort_implINS0_14default_configELb1EPKhPhPKlPlN2at6native12_GLOBAL__N_18offset_tEEE10hipError_tPvRmT1_PNSt15iterator_traitsISY_E10value_typeET2_T3_PNSZ_IS14_E10value_typeET4_jRbjT5_S1A_jjP12ihipStream_tbEUljE_EEESV_SW_SX_S14_S18_S1A_T6_T7_T9_mT8_S1C_bDpT10_ENKUlT_T0_E_clISt17integral_constantIbLb1EES1P_EEDaS1K_S1L_EUlS1K_E_NS1_11comp_targetILNS1_3genE8ELNS1_11target_archE1030ELNS1_3gpuE2ELNS1_3repE0EEENS1_30default_config_static_selectorELNS0_4arch9wavefront6targetE0EEEvSY_.num_vgpr, 0
	.set _ZN7rocprim17ROCPRIM_400000_NS6detail17trampoline_kernelINS0_13select_configILj256ELj13ELNS0_17block_load_methodE3ELS4_3ELS4_3ELNS0_20block_scan_algorithmE0ELj4294967295EEENS1_25partition_config_selectorILNS1_17partition_subalgoE3EjNS0_10empty_typeEbEEZZNS1_14partition_implILS8_3ELb0ES6_jNS0_17counting_iteratorIjlEEPS9_SE_NS0_5tupleIJPjSE_EEENSF_IJSE_SE_EEES9_SG_JZNS1_25segmented_radix_sort_implINS0_14default_configELb1EPKhPhPKlPlN2at6native12_GLOBAL__N_18offset_tEEE10hipError_tPvRmT1_PNSt15iterator_traitsISY_E10value_typeET2_T3_PNSZ_IS14_E10value_typeET4_jRbjT5_S1A_jjP12ihipStream_tbEUljE_EEESV_SW_SX_S14_S18_S1A_T6_T7_T9_mT8_S1C_bDpT10_ENKUlT_T0_E_clISt17integral_constantIbLb1EES1P_EEDaS1K_S1L_EUlS1K_E_NS1_11comp_targetILNS1_3genE8ELNS1_11target_archE1030ELNS1_3gpuE2ELNS1_3repE0EEENS1_30default_config_static_selectorELNS0_4arch9wavefront6targetE0EEEvSY_.num_agpr, 0
	.set _ZN7rocprim17ROCPRIM_400000_NS6detail17trampoline_kernelINS0_13select_configILj256ELj13ELNS0_17block_load_methodE3ELS4_3ELS4_3ELNS0_20block_scan_algorithmE0ELj4294967295EEENS1_25partition_config_selectorILNS1_17partition_subalgoE3EjNS0_10empty_typeEbEEZZNS1_14partition_implILS8_3ELb0ES6_jNS0_17counting_iteratorIjlEEPS9_SE_NS0_5tupleIJPjSE_EEENSF_IJSE_SE_EEES9_SG_JZNS1_25segmented_radix_sort_implINS0_14default_configELb1EPKhPhPKlPlN2at6native12_GLOBAL__N_18offset_tEEE10hipError_tPvRmT1_PNSt15iterator_traitsISY_E10value_typeET2_T3_PNSZ_IS14_E10value_typeET4_jRbjT5_S1A_jjP12ihipStream_tbEUljE_EEESV_SW_SX_S14_S18_S1A_T6_T7_T9_mT8_S1C_bDpT10_ENKUlT_T0_E_clISt17integral_constantIbLb1EES1P_EEDaS1K_S1L_EUlS1K_E_NS1_11comp_targetILNS1_3genE8ELNS1_11target_archE1030ELNS1_3gpuE2ELNS1_3repE0EEENS1_30default_config_static_selectorELNS0_4arch9wavefront6targetE0EEEvSY_.numbered_sgpr, 0
	.set _ZN7rocprim17ROCPRIM_400000_NS6detail17trampoline_kernelINS0_13select_configILj256ELj13ELNS0_17block_load_methodE3ELS4_3ELS4_3ELNS0_20block_scan_algorithmE0ELj4294967295EEENS1_25partition_config_selectorILNS1_17partition_subalgoE3EjNS0_10empty_typeEbEEZZNS1_14partition_implILS8_3ELb0ES6_jNS0_17counting_iteratorIjlEEPS9_SE_NS0_5tupleIJPjSE_EEENSF_IJSE_SE_EEES9_SG_JZNS1_25segmented_radix_sort_implINS0_14default_configELb1EPKhPhPKlPlN2at6native12_GLOBAL__N_18offset_tEEE10hipError_tPvRmT1_PNSt15iterator_traitsISY_E10value_typeET2_T3_PNSZ_IS14_E10value_typeET4_jRbjT5_S1A_jjP12ihipStream_tbEUljE_EEESV_SW_SX_S14_S18_S1A_T6_T7_T9_mT8_S1C_bDpT10_ENKUlT_T0_E_clISt17integral_constantIbLb1EES1P_EEDaS1K_S1L_EUlS1K_E_NS1_11comp_targetILNS1_3genE8ELNS1_11target_archE1030ELNS1_3gpuE2ELNS1_3repE0EEENS1_30default_config_static_selectorELNS0_4arch9wavefront6targetE0EEEvSY_.num_named_barrier, 0
	.set _ZN7rocprim17ROCPRIM_400000_NS6detail17trampoline_kernelINS0_13select_configILj256ELj13ELNS0_17block_load_methodE3ELS4_3ELS4_3ELNS0_20block_scan_algorithmE0ELj4294967295EEENS1_25partition_config_selectorILNS1_17partition_subalgoE3EjNS0_10empty_typeEbEEZZNS1_14partition_implILS8_3ELb0ES6_jNS0_17counting_iteratorIjlEEPS9_SE_NS0_5tupleIJPjSE_EEENSF_IJSE_SE_EEES9_SG_JZNS1_25segmented_radix_sort_implINS0_14default_configELb1EPKhPhPKlPlN2at6native12_GLOBAL__N_18offset_tEEE10hipError_tPvRmT1_PNSt15iterator_traitsISY_E10value_typeET2_T3_PNSZ_IS14_E10value_typeET4_jRbjT5_S1A_jjP12ihipStream_tbEUljE_EEESV_SW_SX_S14_S18_S1A_T6_T7_T9_mT8_S1C_bDpT10_ENKUlT_T0_E_clISt17integral_constantIbLb1EES1P_EEDaS1K_S1L_EUlS1K_E_NS1_11comp_targetILNS1_3genE8ELNS1_11target_archE1030ELNS1_3gpuE2ELNS1_3repE0EEENS1_30default_config_static_selectorELNS0_4arch9wavefront6targetE0EEEvSY_.private_seg_size, 0
	.set _ZN7rocprim17ROCPRIM_400000_NS6detail17trampoline_kernelINS0_13select_configILj256ELj13ELNS0_17block_load_methodE3ELS4_3ELS4_3ELNS0_20block_scan_algorithmE0ELj4294967295EEENS1_25partition_config_selectorILNS1_17partition_subalgoE3EjNS0_10empty_typeEbEEZZNS1_14partition_implILS8_3ELb0ES6_jNS0_17counting_iteratorIjlEEPS9_SE_NS0_5tupleIJPjSE_EEENSF_IJSE_SE_EEES9_SG_JZNS1_25segmented_radix_sort_implINS0_14default_configELb1EPKhPhPKlPlN2at6native12_GLOBAL__N_18offset_tEEE10hipError_tPvRmT1_PNSt15iterator_traitsISY_E10value_typeET2_T3_PNSZ_IS14_E10value_typeET4_jRbjT5_S1A_jjP12ihipStream_tbEUljE_EEESV_SW_SX_S14_S18_S1A_T6_T7_T9_mT8_S1C_bDpT10_ENKUlT_T0_E_clISt17integral_constantIbLb1EES1P_EEDaS1K_S1L_EUlS1K_E_NS1_11comp_targetILNS1_3genE8ELNS1_11target_archE1030ELNS1_3gpuE2ELNS1_3repE0EEENS1_30default_config_static_selectorELNS0_4arch9wavefront6targetE0EEEvSY_.uses_vcc, 0
	.set _ZN7rocprim17ROCPRIM_400000_NS6detail17trampoline_kernelINS0_13select_configILj256ELj13ELNS0_17block_load_methodE3ELS4_3ELS4_3ELNS0_20block_scan_algorithmE0ELj4294967295EEENS1_25partition_config_selectorILNS1_17partition_subalgoE3EjNS0_10empty_typeEbEEZZNS1_14partition_implILS8_3ELb0ES6_jNS0_17counting_iteratorIjlEEPS9_SE_NS0_5tupleIJPjSE_EEENSF_IJSE_SE_EEES9_SG_JZNS1_25segmented_radix_sort_implINS0_14default_configELb1EPKhPhPKlPlN2at6native12_GLOBAL__N_18offset_tEEE10hipError_tPvRmT1_PNSt15iterator_traitsISY_E10value_typeET2_T3_PNSZ_IS14_E10value_typeET4_jRbjT5_S1A_jjP12ihipStream_tbEUljE_EEESV_SW_SX_S14_S18_S1A_T6_T7_T9_mT8_S1C_bDpT10_ENKUlT_T0_E_clISt17integral_constantIbLb1EES1P_EEDaS1K_S1L_EUlS1K_E_NS1_11comp_targetILNS1_3genE8ELNS1_11target_archE1030ELNS1_3gpuE2ELNS1_3repE0EEENS1_30default_config_static_selectorELNS0_4arch9wavefront6targetE0EEEvSY_.uses_flat_scratch, 0
	.set _ZN7rocprim17ROCPRIM_400000_NS6detail17trampoline_kernelINS0_13select_configILj256ELj13ELNS0_17block_load_methodE3ELS4_3ELS4_3ELNS0_20block_scan_algorithmE0ELj4294967295EEENS1_25partition_config_selectorILNS1_17partition_subalgoE3EjNS0_10empty_typeEbEEZZNS1_14partition_implILS8_3ELb0ES6_jNS0_17counting_iteratorIjlEEPS9_SE_NS0_5tupleIJPjSE_EEENSF_IJSE_SE_EEES9_SG_JZNS1_25segmented_radix_sort_implINS0_14default_configELb1EPKhPhPKlPlN2at6native12_GLOBAL__N_18offset_tEEE10hipError_tPvRmT1_PNSt15iterator_traitsISY_E10value_typeET2_T3_PNSZ_IS14_E10value_typeET4_jRbjT5_S1A_jjP12ihipStream_tbEUljE_EEESV_SW_SX_S14_S18_S1A_T6_T7_T9_mT8_S1C_bDpT10_ENKUlT_T0_E_clISt17integral_constantIbLb1EES1P_EEDaS1K_S1L_EUlS1K_E_NS1_11comp_targetILNS1_3genE8ELNS1_11target_archE1030ELNS1_3gpuE2ELNS1_3repE0EEENS1_30default_config_static_selectorELNS0_4arch9wavefront6targetE0EEEvSY_.has_dyn_sized_stack, 0
	.set _ZN7rocprim17ROCPRIM_400000_NS6detail17trampoline_kernelINS0_13select_configILj256ELj13ELNS0_17block_load_methodE3ELS4_3ELS4_3ELNS0_20block_scan_algorithmE0ELj4294967295EEENS1_25partition_config_selectorILNS1_17partition_subalgoE3EjNS0_10empty_typeEbEEZZNS1_14partition_implILS8_3ELb0ES6_jNS0_17counting_iteratorIjlEEPS9_SE_NS0_5tupleIJPjSE_EEENSF_IJSE_SE_EEES9_SG_JZNS1_25segmented_radix_sort_implINS0_14default_configELb1EPKhPhPKlPlN2at6native12_GLOBAL__N_18offset_tEEE10hipError_tPvRmT1_PNSt15iterator_traitsISY_E10value_typeET2_T3_PNSZ_IS14_E10value_typeET4_jRbjT5_S1A_jjP12ihipStream_tbEUljE_EEESV_SW_SX_S14_S18_S1A_T6_T7_T9_mT8_S1C_bDpT10_ENKUlT_T0_E_clISt17integral_constantIbLb1EES1P_EEDaS1K_S1L_EUlS1K_E_NS1_11comp_targetILNS1_3genE8ELNS1_11target_archE1030ELNS1_3gpuE2ELNS1_3repE0EEENS1_30default_config_static_selectorELNS0_4arch9wavefront6targetE0EEEvSY_.has_recursion, 0
	.set _ZN7rocprim17ROCPRIM_400000_NS6detail17trampoline_kernelINS0_13select_configILj256ELj13ELNS0_17block_load_methodE3ELS4_3ELS4_3ELNS0_20block_scan_algorithmE0ELj4294967295EEENS1_25partition_config_selectorILNS1_17partition_subalgoE3EjNS0_10empty_typeEbEEZZNS1_14partition_implILS8_3ELb0ES6_jNS0_17counting_iteratorIjlEEPS9_SE_NS0_5tupleIJPjSE_EEENSF_IJSE_SE_EEES9_SG_JZNS1_25segmented_radix_sort_implINS0_14default_configELb1EPKhPhPKlPlN2at6native12_GLOBAL__N_18offset_tEEE10hipError_tPvRmT1_PNSt15iterator_traitsISY_E10value_typeET2_T3_PNSZ_IS14_E10value_typeET4_jRbjT5_S1A_jjP12ihipStream_tbEUljE_EEESV_SW_SX_S14_S18_S1A_T6_T7_T9_mT8_S1C_bDpT10_ENKUlT_T0_E_clISt17integral_constantIbLb1EES1P_EEDaS1K_S1L_EUlS1K_E_NS1_11comp_targetILNS1_3genE8ELNS1_11target_archE1030ELNS1_3gpuE2ELNS1_3repE0EEENS1_30default_config_static_selectorELNS0_4arch9wavefront6targetE0EEEvSY_.has_indirect_call, 0
	.section	.AMDGPU.csdata,"",@progbits
; Kernel info:
; codeLenInByte = 4
; TotalNumSgprs: 0
; NumVgprs: 0
; ScratchSize: 0
; MemoryBound: 0
; FloatMode: 240
; IeeeMode: 1
; LDSByteSize: 0 bytes/workgroup (compile time only)
; SGPRBlocks: 0
; VGPRBlocks: 0
; NumSGPRsForWavesPerEU: 1
; NumVGPRsForWavesPerEU: 1
; Occupancy: 16
; WaveLimiterHint : 0
; COMPUTE_PGM_RSRC2:SCRATCH_EN: 0
; COMPUTE_PGM_RSRC2:USER_SGPR: 6
; COMPUTE_PGM_RSRC2:TRAP_HANDLER: 0
; COMPUTE_PGM_RSRC2:TGID_X_EN: 1
; COMPUTE_PGM_RSRC2:TGID_Y_EN: 0
; COMPUTE_PGM_RSRC2:TGID_Z_EN: 0
; COMPUTE_PGM_RSRC2:TIDIG_COMP_CNT: 0
	.section	.text._ZN7rocprim17ROCPRIM_400000_NS6detail31init_lookback_scan_state_kernelINS1_19lookback_scan_stateIjLb1ELb1EEENS1_16block_id_wrapperIjLb0EEEEEvT_jT0_jPNS7_10value_typeE,"axG",@progbits,_ZN7rocprim17ROCPRIM_400000_NS6detail31init_lookback_scan_state_kernelINS1_19lookback_scan_stateIjLb1ELb1EEENS1_16block_id_wrapperIjLb0EEEEEvT_jT0_jPNS7_10value_typeE,comdat
	.protected	_ZN7rocprim17ROCPRIM_400000_NS6detail31init_lookback_scan_state_kernelINS1_19lookback_scan_stateIjLb1ELb1EEENS1_16block_id_wrapperIjLb0EEEEEvT_jT0_jPNS7_10value_typeE ; -- Begin function _ZN7rocprim17ROCPRIM_400000_NS6detail31init_lookback_scan_state_kernelINS1_19lookback_scan_stateIjLb1ELb1EEENS1_16block_id_wrapperIjLb0EEEEEvT_jT0_jPNS7_10value_typeE
	.globl	_ZN7rocprim17ROCPRIM_400000_NS6detail31init_lookback_scan_state_kernelINS1_19lookback_scan_stateIjLb1ELb1EEENS1_16block_id_wrapperIjLb0EEEEEvT_jT0_jPNS7_10value_typeE
	.p2align	8
	.type	_ZN7rocprim17ROCPRIM_400000_NS6detail31init_lookback_scan_state_kernelINS1_19lookback_scan_stateIjLb1ELb1EEENS1_16block_id_wrapperIjLb0EEEEEvT_jT0_jPNS7_10value_typeE,@function
_ZN7rocprim17ROCPRIM_400000_NS6detail31init_lookback_scan_state_kernelINS1_19lookback_scan_stateIjLb1ELb1EEENS1_16block_id_wrapperIjLb0EEEEEvT_jT0_jPNS7_10value_typeE: ; @_ZN7rocprim17ROCPRIM_400000_NS6detail31init_lookback_scan_state_kernelINS1_19lookback_scan_stateIjLb1ELb1EEENS1_16block_id_wrapperIjLb0EEEEEvT_jT0_jPNS7_10value_typeE
; %bb.0:
	s_clause 0x3
	s_load_dword s8, s[4:5], 0x2c
	s_load_dwordx2 s[2:3], s[4:5], 0x18
	s_load_dwordx2 s[0:1], s[4:5], 0x0
	s_load_dword s7, s[4:5], 0x8
	s_waitcnt lgkmcnt(0)
	s_and_b32 s8, s8, 0xffff
	s_cmp_eq_u64 s[2:3], 0
	v_mad_u64_u32 v[0:1], null, s6, s8, v[0:1]
	s_cbranch_scc1 .LBB65_9
; %bb.1:
	s_load_dword s4, s[4:5], 0x10
	s_waitcnt lgkmcnt(0)
	s_cmp_lt_u32 s4, s7
	s_cselect_b32 s5, s4, 0
	v_cmp_eq_u32_e32 vcc_lo, s5, v0
	s_mov_b32 s5, 0
	s_and_saveexec_b32 s6, vcc_lo
	s_cbranch_execz .LBB65_8
; %bb.2:
	s_add_i32 s4, s4, 32
	v_mov_b32_e32 v1, 0
	s_lshl_b64 s[4:5], s[4:5], 3
	s_add_u32 s4, s0, s4
	s_addc_u32 s5, s1, s5
	global_load_dwordx2 v[3:4], v1, s[4:5] glc dlc
	s_waitcnt vmcnt(0)
	v_and_b32_e32 v2, 0xff, v4
	v_cmp_ne_u64_e32 vcc_lo, 0, v[1:2]
	s_cbranch_vccnz .LBB65_7
; %bb.3:
	s_mov_b32 s8, 1
.LBB65_4:                               ; =>This Loop Header: Depth=1
                                        ;     Child Loop BB65_5 Depth 2
	s_mov_b32 s9, s8
.LBB65_5:                               ;   Parent Loop BB65_4 Depth=1
                                        ; =>  This Inner Loop Header: Depth=2
	s_add_i32 s9, s9, -1
	s_sleep 1
	s_cmp_eq_u32 s9, 0
	s_cbranch_scc0 .LBB65_5
; %bb.6:                                ;   in Loop: Header=BB65_4 Depth=1
	global_load_dwordx2 v[3:4], v1, s[4:5] glc dlc
	s_cmp_lt_u32 s8, 32
	s_cselect_b32 s9, -1, 0
	s_cmp_lg_u32 s9, 0
	s_addc_u32 s8, s8, 0
	s_waitcnt vmcnt(0)
	v_and_b32_e32 v2, 0xff, v4
	v_cmp_ne_u64_e32 vcc_lo, 0, v[1:2]
	s_cbranch_vccz .LBB65_4
.LBB65_7:
	v_mov_b32_e32 v1, 0
	global_store_dword v1, v3, s[2:3]
.LBB65_8:
	s_or_b32 exec_lo, exec_lo, s6
.LBB65_9:
	s_mov_b32 s2, exec_lo
	v_cmpx_gt_u32_e64 s7, v0
	s_cbranch_execz .LBB65_11
; %bb.10:
	v_add_nc_u32_e32 v1, 32, v0
	v_mov_b32_e32 v2, 0
	v_lshlrev_b64 v[3:4], 3, v[1:2]
	v_mov_b32_e32 v1, v2
	v_add_co_u32 v3, vcc_lo, s0, v3
	v_add_co_ci_u32_e64 v4, null, s1, v4, vcc_lo
	global_store_dwordx2 v[3:4], v[1:2], off
.LBB65_11:
	s_or_b32 exec_lo, exec_lo, s2
	s_mov_b32 s2, exec_lo
	v_cmpx_gt_u32_e32 32, v0
	s_cbranch_execz .LBB65_13
; %bb.12:
	v_mov_b32_e32 v1, 0
	v_mov_b32_e32 v4, 0xff
	v_lshlrev_b64 v[2:3], 3, v[0:1]
	v_add_co_u32 v5, vcc_lo, s0, v2
	v_add_co_ci_u32_e64 v6, null, s1, v3, vcc_lo
	v_mov_b32_e32 v3, v1
	global_store_dwordx2 v[5:6], v[3:4], off
.LBB65_13:
	s_endpgm
	.section	.rodata,"a",@progbits
	.p2align	6, 0x0
	.amdhsa_kernel _ZN7rocprim17ROCPRIM_400000_NS6detail31init_lookback_scan_state_kernelINS1_19lookback_scan_stateIjLb1ELb1EEENS1_16block_id_wrapperIjLb0EEEEEvT_jT0_jPNS7_10value_typeE
		.amdhsa_group_segment_fixed_size 0
		.amdhsa_private_segment_fixed_size 0
		.amdhsa_kernarg_size 288
		.amdhsa_user_sgpr_count 6
		.amdhsa_user_sgpr_private_segment_buffer 1
		.amdhsa_user_sgpr_dispatch_ptr 0
		.amdhsa_user_sgpr_queue_ptr 0
		.amdhsa_user_sgpr_kernarg_segment_ptr 1
		.amdhsa_user_sgpr_dispatch_id 0
		.amdhsa_user_sgpr_flat_scratch_init 0
		.amdhsa_user_sgpr_private_segment_size 0
		.amdhsa_wavefront_size32 1
		.amdhsa_uses_dynamic_stack 0
		.amdhsa_system_sgpr_private_segment_wavefront_offset 0
		.amdhsa_system_sgpr_workgroup_id_x 1
		.amdhsa_system_sgpr_workgroup_id_y 0
		.amdhsa_system_sgpr_workgroup_id_z 0
		.amdhsa_system_sgpr_workgroup_info 0
		.amdhsa_system_vgpr_workitem_id 0
		.amdhsa_next_free_vgpr 7
		.amdhsa_next_free_sgpr 10
		.amdhsa_reserve_vcc 1
		.amdhsa_reserve_flat_scratch 0
		.amdhsa_float_round_mode_32 0
		.amdhsa_float_round_mode_16_64 0
		.amdhsa_float_denorm_mode_32 3
		.amdhsa_float_denorm_mode_16_64 3
		.amdhsa_dx10_clamp 1
		.amdhsa_ieee_mode 1
		.amdhsa_fp16_overflow 0
		.amdhsa_workgroup_processor_mode 1
		.amdhsa_memory_ordered 1
		.amdhsa_forward_progress 1
		.amdhsa_shared_vgpr_count 0
		.amdhsa_exception_fp_ieee_invalid_op 0
		.amdhsa_exception_fp_denorm_src 0
		.amdhsa_exception_fp_ieee_div_zero 0
		.amdhsa_exception_fp_ieee_overflow 0
		.amdhsa_exception_fp_ieee_underflow 0
		.amdhsa_exception_fp_ieee_inexact 0
		.amdhsa_exception_int_div_zero 0
	.end_amdhsa_kernel
	.section	.text._ZN7rocprim17ROCPRIM_400000_NS6detail31init_lookback_scan_state_kernelINS1_19lookback_scan_stateIjLb1ELb1EEENS1_16block_id_wrapperIjLb0EEEEEvT_jT0_jPNS7_10value_typeE,"axG",@progbits,_ZN7rocprim17ROCPRIM_400000_NS6detail31init_lookback_scan_state_kernelINS1_19lookback_scan_stateIjLb1ELb1EEENS1_16block_id_wrapperIjLb0EEEEEvT_jT0_jPNS7_10value_typeE,comdat
.Lfunc_end65:
	.size	_ZN7rocprim17ROCPRIM_400000_NS6detail31init_lookback_scan_state_kernelINS1_19lookback_scan_stateIjLb1ELb1EEENS1_16block_id_wrapperIjLb0EEEEEvT_jT0_jPNS7_10value_typeE, .Lfunc_end65-_ZN7rocprim17ROCPRIM_400000_NS6detail31init_lookback_scan_state_kernelINS1_19lookback_scan_stateIjLb1ELb1EEENS1_16block_id_wrapperIjLb0EEEEEvT_jT0_jPNS7_10value_typeE
                                        ; -- End function
	.set _ZN7rocprim17ROCPRIM_400000_NS6detail31init_lookback_scan_state_kernelINS1_19lookback_scan_stateIjLb1ELb1EEENS1_16block_id_wrapperIjLb0EEEEEvT_jT0_jPNS7_10value_typeE.num_vgpr, 7
	.set _ZN7rocprim17ROCPRIM_400000_NS6detail31init_lookback_scan_state_kernelINS1_19lookback_scan_stateIjLb1ELb1EEENS1_16block_id_wrapperIjLb0EEEEEvT_jT0_jPNS7_10value_typeE.num_agpr, 0
	.set _ZN7rocprim17ROCPRIM_400000_NS6detail31init_lookback_scan_state_kernelINS1_19lookback_scan_stateIjLb1ELb1EEENS1_16block_id_wrapperIjLb0EEEEEvT_jT0_jPNS7_10value_typeE.numbered_sgpr, 10
	.set _ZN7rocprim17ROCPRIM_400000_NS6detail31init_lookback_scan_state_kernelINS1_19lookback_scan_stateIjLb1ELb1EEENS1_16block_id_wrapperIjLb0EEEEEvT_jT0_jPNS7_10value_typeE.num_named_barrier, 0
	.set _ZN7rocprim17ROCPRIM_400000_NS6detail31init_lookback_scan_state_kernelINS1_19lookback_scan_stateIjLb1ELb1EEENS1_16block_id_wrapperIjLb0EEEEEvT_jT0_jPNS7_10value_typeE.private_seg_size, 0
	.set _ZN7rocprim17ROCPRIM_400000_NS6detail31init_lookback_scan_state_kernelINS1_19lookback_scan_stateIjLb1ELb1EEENS1_16block_id_wrapperIjLb0EEEEEvT_jT0_jPNS7_10value_typeE.uses_vcc, 1
	.set _ZN7rocprim17ROCPRIM_400000_NS6detail31init_lookback_scan_state_kernelINS1_19lookback_scan_stateIjLb1ELb1EEENS1_16block_id_wrapperIjLb0EEEEEvT_jT0_jPNS7_10value_typeE.uses_flat_scratch, 0
	.set _ZN7rocprim17ROCPRIM_400000_NS6detail31init_lookback_scan_state_kernelINS1_19lookback_scan_stateIjLb1ELb1EEENS1_16block_id_wrapperIjLb0EEEEEvT_jT0_jPNS7_10value_typeE.has_dyn_sized_stack, 0
	.set _ZN7rocprim17ROCPRIM_400000_NS6detail31init_lookback_scan_state_kernelINS1_19lookback_scan_stateIjLb1ELb1EEENS1_16block_id_wrapperIjLb0EEEEEvT_jT0_jPNS7_10value_typeE.has_recursion, 0
	.set _ZN7rocprim17ROCPRIM_400000_NS6detail31init_lookback_scan_state_kernelINS1_19lookback_scan_stateIjLb1ELb1EEENS1_16block_id_wrapperIjLb0EEEEEvT_jT0_jPNS7_10value_typeE.has_indirect_call, 0
	.section	.AMDGPU.csdata,"",@progbits
; Kernel info:
; codeLenInByte = 360
; TotalNumSgprs: 12
; NumVgprs: 7
; ScratchSize: 0
; MemoryBound: 0
; FloatMode: 240
; IeeeMode: 1
; LDSByteSize: 0 bytes/workgroup (compile time only)
; SGPRBlocks: 0
; VGPRBlocks: 0
; NumSGPRsForWavesPerEU: 12
; NumVGPRsForWavesPerEU: 7
; Occupancy: 16
; WaveLimiterHint : 0
; COMPUTE_PGM_RSRC2:SCRATCH_EN: 0
; COMPUTE_PGM_RSRC2:USER_SGPR: 6
; COMPUTE_PGM_RSRC2:TRAP_HANDLER: 0
; COMPUTE_PGM_RSRC2:TGID_X_EN: 1
; COMPUTE_PGM_RSRC2:TGID_Y_EN: 0
; COMPUTE_PGM_RSRC2:TGID_Z_EN: 0
; COMPUTE_PGM_RSRC2:TIDIG_COMP_CNT: 0
	.section	.text._ZN7rocprim17ROCPRIM_400000_NS6detail17trampoline_kernelINS0_13select_configILj256ELj13ELNS0_17block_load_methodE3ELS4_3ELS4_3ELNS0_20block_scan_algorithmE0ELj4294967295EEENS1_25partition_config_selectorILNS1_17partition_subalgoE3EjNS0_10empty_typeEbEEZZNS1_14partition_implILS8_3ELb0ES6_jNS0_17counting_iteratorIjlEEPS9_SE_NS0_5tupleIJPjSE_EEENSF_IJSE_SE_EEES9_SG_JZNS1_25segmented_radix_sort_implINS0_14default_configELb1EPKhPhPKlPlN2at6native12_GLOBAL__N_18offset_tEEE10hipError_tPvRmT1_PNSt15iterator_traitsISY_E10value_typeET2_T3_PNSZ_IS14_E10value_typeET4_jRbjT5_S1A_jjP12ihipStream_tbEUljE_EEESV_SW_SX_S14_S18_S1A_T6_T7_T9_mT8_S1C_bDpT10_ENKUlT_T0_E_clISt17integral_constantIbLb1EES1O_IbLb0EEEEDaS1K_S1L_EUlS1K_E_NS1_11comp_targetILNS1_3genE0ELNS1_11target_archE4294967295ELNS1_3gpuE0ELNS1_3repE0EEENS1_30default_config_static_selectorELNS0_4arch9wavefront6targetE0EEEvSY_,"axG",@progbits,_ZN7rocprim17ROCPRIM_400000_NS6detail17trampoline_kernelINS0_13select_configILj256ELj13ELNS0_17block_load_methodE3ELS4_3ELS4_3ELNS0_20block_scan_algorithmE0ELj4294967295EEENS1_25partition_config_selectorILNS1_17partition_subalgoE3EjNS0_10empty_typeEbEEZZNS1_14partition_implILS8_3ELb0ES6_jNS0_17counting_iteratorIjlEEPS9_SE_NS0_5tupleIJPjSE_EEENSF_IJSE_SE_EEES9_SG_JZNS1_25segmented_radix_sort_implINS0_14default_configELb1EPKhPhPKlPlN2at6native12_GLOBAL__N_18offset_tEEE10hipError_tPvRmT1_PNSt15iterator_traitsISY_E10value_typeET2_T3_PNSZ_IS14_E10value_typeET4_jRbjT5_S1A_jjP12ihipStream_tbEUljE_EEESV_SW_SX_S14_S18_S1A_T6_T7_T9_mT8_S1C_bDpT10_ENKUlT_T0_E_clISt17integral_constantIbLb1EES1O_IbLb0EEEEDaS1K_S1L_EUlS1K_E_NS1_11comp_targetILNS1_3genE0ELNS1_11target_archE4294967295ELNS1_3gpuE0ELNS1_3repE0EEENS1_30default_config_static_selectorELNS0_4arch9wavefront6targetE0EEEvSY_,comdat
	.globl	_ZN7rocprim17ROCPRIM_400000_NS6detail17trampoline_kernelINS0_13select_configILj256ELj13ELNS0_17block_load_methodE3ELS4_3ELS4_3ELNS0_20block_scan_algorithmE0ELj4294967295EEENS1_25partition_config_selectorILNS1_17partition_subalgoE3EjNS0_10empty_typeEbEEZZNS1_14partition_implILS8_3ELb0ES6_jNS0_17counting_iteratorIjlEEPS9_SE_NS0_5tupleIJPjSE_EEENSF_IJSE_SE_EEES9_SG_JZNS1_25segmented_radix_sort_implINS0_14default_configELb1EPKhPhPKlPlN2at6native12_GLOBAL__N_18offset_tEEE10hipError_tPvRmT1_PNSt15iterator_traitsISY_E10value_typeET2_T3_PNSZ_IS14_E10value_typeET4_jRbjT5_S1A_jjP12ihipStream_tbEUljE_EEESV_SW_SX_S14_S18_S1A_T6_T7_T9_mT8_S1C_bDpT10_ENKUlT_T0_E_clISt17integral_constantIbLb1EES1O_IbLb0EEEEDaS1K_S1L_EUlS1K_E_NS1_11comp_targetILNS1_3genE0ELNS1_11target_archE4294967295ELNS1_3gpuE0ELNS1_3repE0EEENS1_30default_config_static_selectorELNS0_4arch9wavefront6targetE0EEEvSY_ ; -- Begin function _ZN7rocprim17ROCPRIM_400000_NS6detail17trampoline_kernelINS0_13select_configILj256ELj13ELNS0_17block_load_methodE3ELS4_3ELS4_3ELNS0_20block_scan_algorithmE0ELj4294967295EEENS1_25partition_config_selectorILNS1_17partition_subalgoE3EjNS0_10empty_typeEbEEZZNS1_14partition_implILS8_3ELb0ES6_jNS0_17counting_iteratorIjlEEPS9_SE_NS0_5tupleIJPjSE_EEENSF_IJSE_SE_EEES9_SG_JZNS1_25segmented_radix_sort_implINS0_14default_configELb1EPKhPhPKlPlN2at6native12_GLOBAL__N_18offset_tEEE10hipError_tPvRmT1_PNSt15iterator_traitsISY_E10value_typeET2_T3_PNSZ_IS14_E10value_typeET4_jRbjT5_S1A_jjP12ihipStream_tbEUljE_EEESV_SW_SX_S14_S18_S1A_T6_T7_T9_mT8_S1C_bDpT10_ENKUlT_T0_E_clISt17integral_constantIbLb1EES1O_IbLb0EEEEDaS1K_S1L_EUlS1K_E_NS1_11comp_targetILNS1_3genE0ELNS1_11target_archE4294967295ELNS1_3gpuE0ELNS1_3repE0EEENS1_30default_config_static_selectorELNS0_4arch9wavefront6targetE0EEEvSY_
	.p2align	8
	.type	_ZN7rocprim17ROCPRIM_400000_NS6detail17trampoline_kernelINS0_13select_configILj256ELj13ELNS0_17block_load_methodE3ELS4_3ELS4_3ELNS0_20block_scan_algorithmE0ELj4294967295EEENS1_25partition_config_selectorILNS1_17partition_subalgoE3EjNS0_10empty_typeEbEEZZNS1_14partition_implILS8_3ELb0ES6_jNS0_17counting_iteratorIjlEEPS9_SE_NS0_5tupleIJPjSE_EEENSF_IJSE_SE_EEES9_SG_JZNS1_25segmented_radix_sort_implINS0_14default_configELb1EPKhPhPKlPlN2at6native12_GLOBAL__N_18offset_tEEE10hipError_tPvRmT1_PNSt15iterator_traitsISY_E10value_typeET2_T3_PNSZ_IS14_E10value_typeET4_jRbjT5_S1A_jjP12ihipStream_tbEUljE_EEESV_SW_SX_S14_S18_S1A_T6_T7_T9_mT8_S1C_bDpT10_ENKUlT_T0_E_clISt17integral_constantIbLb1EES1O_IbLb0EEEEDaS1K_S1L_EUlS1K_E_NS1_11comp_targetILNS1_3genE0ELNS1_11target_archE4294967295ELNS1_3gpuE0ELNS1_3repE0EEENS1_30default_config_static_selectorELNS0_4arch9wavefront6targetE0EEEvSY_,@function
_ZN7rocprim17ROCPRIM_400000_NS6detail17trampoline_kernelINS0_13select_configILj256ELj13ELNS0_17block_load_methodE3ELS4_3ELS4_3ELNS0_20block_scan_algorithmE0ELj4294967295EEENS1_25partition_config_selectorILNS1_17partition_subalgoE3EjNS0_10empty_typeEbEEZZNS1_14partition_implILS8_3ELb0ES6_jNS0_17counting_iteratorIjlEEPS9_SE_NS0_5tupleIJPjSE_EEENSF_IJSE_SE_EEES9_SG_JZNS1_25segmented_radix_sort_implINS0_14default_configELb1EPKhPhPKlPlN2at6native12_GLOBAL__N_18offset_tEEE10hipError_tPvRmT1_PNSt15iterator_traitsISY_E10value_typeET2_T3_PNSZ_IS14_E10value_typeET4_jRbjT5_S1A_jjP12ihipStream_tbEUljE_EEESV_SW_SX_S14_S18_S1A_T6_T7_T9_mT8_S1C_bDpT10_ENKUlT_T0_E_clISt17integral_constantIbLb1EES1O_IbLb0EEEEDaS1K_S1L_EUlS1K_E_NS1_11comp_targetILNS1_3genE0ELNS1_11target_archE4294967295ELNS1_3gpuE0ELNS1_3repE0EEENS1_30default_config_static_selectorELNS0_4arch9wavefront6targetE0EEEvSY_: ; @_ZN7rocprim17ROCPRIM_400000_NS6detail17trampoline_kernelINS0_13select_configILj256ELj13ELNS0_17block_load_methodE3ELS4_3ELS4_3ELNS0_20block_scan_algorithmE0ELj4294967295EEENS1_25partition_config_selectorILNS1_17partition_subalgoE3EjNS0_10empty_typeEbEEZZNS1_14partition_implILS8_3ELb0ES6_jNS0_17counting_iteratorIjlEEPS9_SE_NS0_5tupleIJPjSE_EEENSF_IJSE_SE_EEES9_SG_JZNS1_25segmented_radix_sort_implINS0_14default_configELb1EPKhPhPKlPlN2at6native12_GLOBAL__N_18offset_tEEE10hipError_tPvRmT1_PNSt15iterator_traitsISY_E10value_typeET2_T3_PNSZ_IS14_E10value_typeET4_jRbjT5_S1A_jjP12ihipStream_tbEUljE_EEESV_SW_SX_S14_S18_S1A_T6_T7_T9_mT8_S1C_bDpT10_ENKUlT_T0_E_clISt17integral_constantIbLb1EES1O_IbLb0EEEEDaS1K_S1L_EUlS1K_E_NS1_11comp_targetILNS1_3genE0ELNS1_11target_archE4294967295ELNS1_3gpuE0ELNS1_3repE0EEENS1_30default_config_static_selectorELNS0_4arch9wavefront6targetE0EEEvSY_
; %bb.0:
	.section	.rodata,"a",@progbits
	.p2align	6, 0x0
	.amdhsa_kernel _ZN7rocprim17ROCPRIM_400000_NS6detail17trampoline_kernelINS0_13select_configILj256ELj13ELNS0_17block_load_methodE3ELS4_3ELS4_3ELNS0_20block_scan_algorithmE0ELj4294967295EEENS1_25partition_config_selectorILNS1_17partition_subalgoE3EjNS0_10empty_typeEbEEZZNS1_14partition_implILS8_3ELb0ES6_jNS0_17counting_iteratorIjlEEPS9_SE_NS0_5tupleIJPjSE_EEENSF_IJSE_SE_EEES9_SG_JZNS1_25segmented_radix_sort_implINS0_14default_configELb1EPKhPhPKlPlN2at6native12_GLOBAL__N_18offset_tEEE10hipError_tPvRmT1_PNSt15iterator_traitsISY_E10value_typeET2_T3_PNSZ_IS14_E10value_typeET4_jRbjT5_S1A_jjP12ihipStream_tbEUljE_EEESV_SW_SX_S14_S18_S1A_T6_T7_T9_mT8_S1C_bDpT10_ENKUlT_T0_E_clISt17integral_constantIbLb1EES1O_IbLb0EEEEDaS1K_S1L_EUlS1K_E_NS1_11comp_targetILNS1_3genE0ELNS1_11target_archE4294967295ELNS1_3gpuE0ELNS1_3repE0EEENS1_30default_config_static_selectorELNS0_4arch9wavefront6targetE0EEEvSY_
		.amdhsa_group_segment_fixed_size 0
		.amdhsa_private_segment_fixed_size 0
		.amdhsa_kernarg_size 144
		.amdhsa_user_sgpr_count 6
		.amdhsa_user_sgpr_private_segment_buffer 1
		.amdhsa_user_sgpr_dispatch_ptr 0
		.amdhsa_user_sgpr_queue_ptr 0
		.amdhsa_user_sgpr_kernarg_segment_ptr 1
		.amdhsa_user_sgpr_dispatch_id 0
		.amdhsa_user_sgpr_flat_scratch_init 0
		.amdhsa_user_sgpr_private_segment_size 0
		.amdhsa_wavefront_size32 1
		.amdhsa_uses_dynamic_stack 0
		.amdhsa_system_sgpr_private_segment_wavefront_offset 0
		.amdhsa_system_sgpr_workgroup_id_x 1
		.amdhsa_system_sgpr_workgroup_id_y 0
		.amdhsa_system_sgpr_workgroup_id_z 0
		.amdhsa_system_sgpr_workgroup_info 0
		.amdhsa_system_vgpr_workitem_id 0
		.amdhsa_next_free_vgpr 1
		.amdhsa_next_free_sgpr 1
		.amdhsa_reserve_vcc 0
		.amdhsa_reserve_flat_scratch 0
		.amdhsa_float_round_mode_32 0
		.amdhsa_float_round_mode_16_64 0
		.amdhsa_float_denorm_mode_32 3
		.amdhsa_float_denorm_mode_16_64 3
		.amdhsa_dx10_clamp 1
		.amdhsa_ieee_mode 1
		.amdhsa_fp16_overflow 0
		.amdhsa_workgroup_processor_mode 1
		.amdhsa_memory_ordered 1
		.amdhsa_forward_progress 1
		.amdhsa_shared_vgpr_count 0
		.amdhsa_exception_fp_ieee_invalid_op 0
		.amdhsa_exception_fp_denorm_src 0
		.amdhsa_exception_fp_ieee_div_zero 0
		.amdhsa_exception_fp_ieee_overflow 0
		.amdhsa_exception_fp_ieee_underflow 0
		.amdhsa_exception_fp_ieee_inexact 0
		.amdhsa_exception_int_div_zero 0
	.end_amdhsa_kernel
	.section	.text._ZN7rocprim17ROCPRIM_400000_NS6detail17trampoline_kernelINS0_13select_configILj256ELj13ELNS0_17block_load_methodE3ELS4_3ELS4_3ELNS0_20block_scan_algorithmE0ELj4294967295EEENS1_25partition_config_selectorILNS1_17partition_subalgoE3EjNS0_10empty_typeEbEEZZNS1_14partition_implILS8_3ELb0ES6_jNS0_17counting_iteratorIjlEEPS9_SE_NS0_5tupleIJPjSE_EEENSF_IJSE_SE_EEES9_SG_JZNS1_25segmented_radix_sort_implINS0_14default_configELb1EPKhPhPKlPlN2at6native12_GLOBAL__N_18offset_tEEE10hipError_tPvRmT1_PNSt15iterator_traitsISY_E10value_typeET2_T3_PNSZ_IS14_E10value_typeET4_jRbjT5_S1A_jjP12ihipStream_tbEUljE_EEESV_SW_SX_S14_S18_S1A_T6_T7_T9_mT8_S1C_bDpT10_ENKUlT_T0_E_clISt17integral_constantIbLb1EES1O_IbLb0EEEEDaS1K_S1L_EUlS1K_E_NS1_11comp_targetILNS1_3genE0ELNS1_11target_archE4294967295ELNS1_3gpuE0ELNS1_3repE0EEENS1_30default_config_static_selectorELNS0_4arch9wavefront6targetE0EEEvSY_,"axG",@progbits,_ZN7rocprim17ROCPRIM_400000_NS6detail17trampoline_kernelINS0_13select_configILj256ELj13ELNS0_17block_load_methodE3ELS4_3ELS4_3ELNS0_20block_scan_algorithmE0ELj4294967295EEENS1_25partition_config_selectorILNS1_17partition_subalgoE3EjNS0_10empty_typeEbEEZZNS1_14partition_implILS8_3ELb0ES6_jNS0_17counting_iteratorIjlEEPS9_SE_NS0_5tupleIJPjSE_EEENSF_IJSE_SE_EEES9_SG_JZNS1_25segmented_radix_sort_implINS0_14default_configELb1EPKhPhPKlPlN2at6native12_GLOBAL__N_18offset_tEEE10hipError_tPvRmT1_PNSt15iterator_traitsISY_E10value_typeET2_T3_PNSZ_IS14_E10value_typeET4_jRbjT5_S1A_jjP12ihipStream_tbEUljE_EEESV_SW_SX_S14_S18_S1A_T6_T7_T9_mT8_S1C_bDpT10_ENKUlT_T0_E_clISt17integral_constantIbLb1EES1O_IbLb0EEEEDaS1K_S1L_EUlS1K_E_NS1_11comp_targetILNS1_3genE0ELNS1_11target_archE4294967295ELNS1_3gpuE0ELNS1_3repE0EEENS1_30default_config_static_selectorELNS0_4arch9wavefront6targetE0EEEvSY_,comdat
.Lfunc_end66:
	.size	_ZN7rocprim17ROCPRIM_400000_NS6detail17trampoline_kernelINS0_13select_configILj256ELj13ELNS0_17block_load_methodE3ELS4_3ELS4_3ELNS0_20block_scan_algorithmE0ELj4294967295EEENS1_25partition_config_selectorILNS1_17partition_subalgoE3EjNS0_10empty_typeEbEEZZNS1_14partition_implILS8_3ELb0ES6_jNS0_17counting_iteratorIjlEEPS9_SE_NS0_5tupleIJPjSE_EEENSF_IJSE_SE_EEES9_SG_JZNS1_25segmented_radix_sort_implINS0_14default_configELb1EPKhPhPKlPlN2at6native12_GLOBAL__N_18offset_tEEE10hipError_tPvRmT1_PNSt15iterator_traitsISY_E10value_typeET2_T3_PNSZ_IS14_E10value_typeET4_jRbjT5_S1A_jjP12ihipStream_tbEUljE_EEESV_SW_SX_S14_S18_S1A_T6_T7_T9_mT8_S1C_bDpT10_ENKUlT_T0_E_clISt17integral_constantIbLb1EES1O_IbLb0EEEEDaS1K_S1L_EUlS1K_E_NS1_11comp_targetILNS1_3genE0ELNS1_11target_archE4294967295ELNS1_3gpuE0ELNS1_3repE0EEENS1_30default_config_static_selectorELNS0_4arch9wavefront6targetE0EEEvSY_, .Lfunc_end66-_ZN7rocprim17ROCPRIM_400000_NS6detail17trampoline_kernelINS0_13select_configILj256ELj13ELNS0_17block_load_methodE3ELS4_3ELS4_3ELNS0_20block_scan_algorithmE0ELj4294967295EEENS1_25partition_config_selectorILNS1_17partition_subalgoE3EjNS0_10empty_typeEbEEZZNS1_14partition_implILS8_3ELb0ES6_jNS0_17counting_iteratorIjlEEPS9_SE_NS0_5tupleIJPjSE_EEENSF_IJSE_SE_EEES9_SG_JZNS1_25segmented_radix_sort_implINS0_14default_configELb1EPKhPhPKlPlN2at6native12_GLOBAL__N_18offset_tEEE10hipError_tPvRmT1_PNSt15iterator_traitsISY_E10value_typeET2_T3_PNSZ_IS14_E10value_typeET4_jRbjT5_S1A_jjP12ihipStream_tbEUljE_EEESV_SW_SX_S14_S18_S1A_T6_T7_T9_mT8_S1C_bDpT10_ENKUlT_T0_E_clISt17integral_constantIbLb1EES1O_IbLb0EEEEDaS1K_S1L_EUlS1K_E_NS1_11comp_targetILNS1_3genE0ELNS1_11target_archE4294967295ELNS1_3gpuE0ELNS1_3repE0EEENS1_30default_config_static_selectorELNS0_4arch9wavefront6targetE0EEEvSY_
                                        ; -- End function
	.set _ZN7rocprim17ROCPRIM_400000_NS6detail17trampoline_kernelINS0_13select_configILj256ELj13ELNS0_17block_load_methodE3ELS4_3ELS4_3ELNS0_20block_scan_algorithmE0ELj4294967295EEENS1_25partition_config_selectorILNS1_17partition_subalgoE3EjNS0_10empty_typeEbEEZZNS1_14partition_implILS8_3ELb0ES6_jNS0_17counting_iteratorIjlEEPS9_SE_NS0_5tupleIJPjSE_EEENSF_IJSE_SE_EEES9_SG_JZNS1_25segmented_radix_sort_implINS0_14default_configELb1EPKhPhPKlPlN2at6native12_GLOBAL__N_18offset_tEEE10hipError_tPvRmT1_PNSt15iterator_traitsISY_E10value_typeET2_T3_PNSZ_IS14_E10value_typeET4_jRbjT5_S1A_jjP12ihipStream_tbEUljE_EEESV_SW_SX_S14_S18_S1A_T6_T7_T9_mT8_S1C_bDpT10_ENKUlT_T0_E_clISt17integral_constantIbLb1EES1O_IbLb0EEEEDaS1K_S1L_EUlS1K_E_NS1_11comp_targetILNS1_3genE0ELNS1_11target_archE4294967295ELNS1_3gpuE0ELNS1_3repE0EEENS1_30default_config_static_selectorELNS0_4arch9wavefront6targetE0EEEvSY_.num_vgpr, 0
	.set _ZN7rocprim17ROCPRIM_400000_NS6detail17trampoline_kernelINS0_13select_configILj256ELj13ELNS0_17block_load_methodE3ELS4_3ELS4_3ELNS0_20block_scan_algorithmE0ELj4294967295EEENS1_25partition_config_selectorILNS1_17partition_subalgoE3EjNS0_10empty_typeEbEEZZNS1_14partition_implILS8_3ELb0ES6_jNS0_17counting_iteratorIjlEEPS9_SE_NS0_5tupleIJPjSE_EEENSF_IJSE_SE_EEES9_SG_JZNS1_25segmented_radix_sort_implINS0_14default_configELb1EPKhPhPKlPlN2at6native12_GLOBAL__N_18offset_tEEE10hipError_tPvRmT1_PNSt15iterator_traitsISY_E10value_typeET2_T3_PNSZ_IS14_E10value_typeET4_jRbjT5_S1A_jjP12ihipStream_tbEUljE_EEESV_SW_SX_S14_S18_S1A_T6_T7_T9_mT8_S1C_bDpT10_ENKUlT_T0_E_clISt17integral_constantIbLb1EES1O_IbLb0EEEEDaS1K_S1L_EUlS1K_E_NS1_11comp_targetILNS1_3genE0ELNS1_11target_archE4294967295ELNS1_3gpuE0ELNS1_3repE0EEENS1_30default_config_static_selectorELNS0_4arch9wavefront6targetE0EEEvSY_.num_agpr, 0
	.set _ZN7rocprim17ROCPRIM_400000_NS6detail17trampoline_kernelINS0_13select_configILj256ELj13ELNS0_17block_load_methodE3ELS4_3ELS4_3ELNS0_20block_scan_algorithmE0ELj4294967295EEENS1_25partition_config_selectorILNS1_17partition_subalgoE3EjNS0_10empty_typeEbEEZZNS1_14partition_implILS8_3ELb0ES6_jNS0_17counting_iteratorIjlEEPS9_SE_NS0_5tupleIJPjSE_EEENSF_IJSE_SE_EEES9_SG_JZNS1_25segmented_radix_sort_implINS0_14default_configELb1EPKhPhPKlPlN2at6native12_GLOBAL__N_18offset_tEEE10hipError_tPvRmT1_PNSt15iterator_traitsISY_E10value_typeET2_T3_PNSZ_IS14_E10value_typeET4_jRbjT5_S1A_jjP12ihipStream_tbEUljE_EEESV_SW_SX_S14_S18_S1A_T6_T7_T9_mT8_S1C_bDpT10_ENKUlT_T0_E_clISt17integral_constantIbLb1EES1O_IbLb0EEEEDaS1K_S1L_EUlS1K_E_NS1_11comp_targetILNS1_3genE0ELNS1_11target_archE4294967295ELNS1_3gpuE0ELNS1_3repE0EEENS1_30default_config_static_selectorELNS0_4arch9wavefront6targetE0EEEvSY_.numbered_sgpr, 0
	.set _ZN7rocprim17ROCPRIM_400000_NS6detail17trampoline_kernelINS0_13select_configILj256ELj13ELNS0_17block_load_methodE3ELS4_3ELS4_3ELNS0_20block_scan_algorithmE0ELj4294967295EEENS1_25partition_config_selectorILNS1_17partition_subalgoE3EjNS0_10empty_typeEbEEZZNS1_14partition_implILS8_3ELb0ES6_jNS0_17counting_iteratorIjlEEPS9_SE_NS0_5tupleIJPjSE_EEENSF_IJSE_SE_EEES9_SG_JZNS1_25segmented_radix_sort_implINS0_14default_configELb1EPKhPhPKlPlN2at6native12_GLOBAL__N_18offset_tEEE10hipError_tPvRmT1_PNSt15iterator_traitsISY_E10value_typeET2_T3_PNSZ_IS14_E10value_typeET4_jRbjT5_S1A_jjP12ihipStream_tbEUljE_EEESV_SW_SX_S14_S18_S1A_T6_T7_T9_mT8_S1C_bDpT10_ENKUlT_T0_E_clISt17integral_constantIbLb1EES1O_IbLb0EEEEDaS1K_S1L_EUlS1K_E_NS1_11comp_targetILNS1_3genE0ELNS1_11target_archE4294967295ELNS1_3gpuE0ELNS1_3repE0EEENS1_30default_config_static_selectorELNS0_4arch9wavefront6targetE0EEEvSY_.num_named_barrier, 0
	.set _ZN7rocprim17ROCPRIM_400000_NS6detail17trampoline_kernelINS0_13select_configILj256ELj13ELNS0_17block_load_methodE3ELS4_3ELS4_3ELNS0_20block_scan_algorithmE0ELj4294967295EEENS1_25partition_config_selectorILNS1_17partition_subalgoE3EjNS0_10empty_typeEbEEZZNS1_14partition_implILS8_3ELb0ES6_jNS0_17counting_iteratorIjlEEPS9_SE_NS0_5tupleIJPjSE_EEENSF_IJSE_SE_EEES9_SG_JZNS1_25segmented_radix_sort_implINS0_14default_configELb1EPKhPhPKlPlN2at6native12_GLOBAL__N_18offset_tEEE10hipError_tPvRmT1_PNSt15iterator_traitsISY_E10value_typeET2_T3_PNSZ_IS14_E10value_typeET4_jRbjT5_S1A_jjP12ihipStream_tbEUljE_EEESV_SW_SX_S14_S18_S1A_T6_T7_T9_mT8_S1C_bDpT10_ENKUlT_T0_E_clISt17integral_constantIbLb1EES1O_IbLb0EEEEDaS1K_S1L_EUlS1K_E_NS1_11comp_targetILNS1_3genE0ELNS1_11target_archE4294967295ELNS1_3gpuE0ELNS1_3repE0EEENS1_30default_config_static_selectorELNS0_4arch9wavefront6targetE0EEEvSY_.private_seg_size, 0
	.set _ZN7rocprim17ROCPRIM_400000_NS6detail17trampoline_kernelINS0_13select_configILj256ELj13ELNS0_17block_load_methodE3ELS4_3ELS4_3ELNS0_20block_scan_algorithmE0ELj4294967295EEENS1_25partition_config_selectorILNS1_17partition_subalgoE3EjNS0_10empty_typeEbEEZZNS1_14partition_implILS8_3ELb0ES6_jNS0_17counting_iteratorIjlEEPS9_SE_NS0_5tupleIJPjSE_EEENSF_IJSE_SE_EEES9_SG_JZNS1_25segmented_radix_sort_implINS0_14default_configELb1EPKhPhPKlPlN2at6native12_GLOBAL__N_18offset_tEEE10hipError_tPvRmT1_PNSt15iterator_traitsISY_E10value_typeET2_T3_PNSZ_IS14_E10value_typeET4_jRbjT5_S1A_jjP12ihipStream_tbEUljE_EEESV_SW_SX_S14_S18_S1A_T6_T7_T9_mT8_S1C_bDpT10_ENKUlT_T0_E_clISt17integral_constantIbLb1EES1O_IbLb0EEEEDaS1K_S1L_EUlS1K_E_NS1_11comp_targetILNS1_3genE0ELNS1_11target_archE4294967295ELNS1_3gpuE0ELNS1_3repE0EEENS1_30default_config_static_selectorELNS0_4arch9wavefront6targetE0EEEvSY_.uses_vcc, 0
	.set _ZN7rocprim17ROCPRIM_400000_NS6detail17trampoline_kernelINS0_13select_configILj256ELj13ELNS0_17block_load_methodE3ELS4_3ELS4_3ELNS0_20block_scan_algorithmE0ELj4294967295EEENS1_25partition_config_selectorILNS1_17partition_subalgoE3EjNS0_10empty_typeEbEEZZNS1_14partition_implILS8_3ELb0ES6_jNS0_17counting_iteratorIjlEEPS9_SE_NS0_5tupleIJPjSE_EEENSF_IJSE_SE_EEES9_SG_JZNS1_25segmented_radix_sort_implINS0_14default_configELb1EPKhPhPKlPlN2at6native12_GLOBAL__N_18offset_tEEE10hipError_tPvRmT1_PNSt15iterator_traitsISY_E10value_typeET2_T3_PNSZ_IS14_E10value_typeET4_jRbjT5_S1A_jjP12ihipStream_tbEUljE_EEESV_SW_SX_S14_S18_S1A_T6_T7_T9_mT8_S1C_bDpT10_ENKUlT_T0_E_clISt17integral_constantIbLb1EES1O_IbLb0EEEEDaS1K_S1L_EUlS1K_E_NS1_11comp_targetILNS1_3genE0ELNS1_11target_archE4294967295ELNS1_3gpuE0ELNS1_3repE0EEENS1_30default_config_static_selectorELNS0_4arch9wavefront6targetE0EEEvSY_.uses_flat_scratch, 0
	.set _ZN7rocprim17ROCPRIM_400000_NS6detail17trampoline_kernelINS0_13select_configILj256ELj13ELNS0_17block_load_methodE3ELS4_3ELS4_3ELNS0_20block_scan_algorithmE0ELj4294967295EEENS1_25partition_config_selectorILNS1_17partition_subalgoE3EjNS0_10empty_typeEbEEZZNS1_14partition_implILS8_3ELb0ES6_jNS0_17counting_iteratorIjlEEPS9_SE_NS0_5tupleIJPjSE_EEENSF_IJSE_SE_EEES9_SG_JZNS1_25segmented_radix_sort_implINS0_14default_configELb1EPKhPhPKlPlN2at6native12_GLOBAL__N_18offset_tEEE10hipError_tPvRmT1_PNSt15iterator_traitsISY_E10value_typeET2_T3_PNSZ_IS14_E10value_typeET4_jRbjT5_S1A_jjP12ihipStream_tbEUljE_EEESV_SW_SX_S14_S18_S1A_T6_T7_T9_mT8_S1C_bDpT10_ENKUlT_T0_E_clISt17integral_constantIbLb1EES1O_IbLb0EEEEDaS1K_S1L_EUlS1K_E_NS1_11comp_targetILNS1_3genE0ELNS1_11target_archE4294967295ELNS1_3gpuE0ELNS1_3repE0EEENS1_30default_config_static_selectorELNS0_4arch9wavefront6targetE0EEEvSY_.has_dyn_sized_stack, 0
	.set _ZN7rocprim17ROCPRIM_400000_NS6detail17trampoline_kernelINS0_13select_configILj256ELj13ELNS0_17block_load_methodE3ELS4_3ELS4_3ELNS0_20block_scan_algorithmE0ELj4294967295EEENS1_25partition_config_selectorILNS1_17partition_subalgoE3EjNS0_10empty_typeEbEEZZNS1_14partition_implILS8_3ELb0ES6_jNS0_17counting_iteratorIjlEEPS9_SE_NS0_5tupleIJPjSE_EEENSF_IJSE_SE_EEES9_SG_JZNS1_25segmented_radix_sort_implINS0_14default_configELb1EPKhPhPKlPlN2at6native12_GLOBAL__N_18offset_tEEE10hipError_tPvRmT1_PNSt15iterator_traitsISY_E10value_typeET2_T3_PNSZ_IS14_E10value_typeET4_jRbjT5_S1A_jjP12ihipStream_tbEUljE_EEESV_SW_SX_S14_S18_S1A_T6_T7_T9_mT8_S1C_bDpT10_ENKUlT_T0_E_clISt17integral_constantIbLb1EES1O_IbLb0EEEEDaS1K_S1L_EUlS1K_E_NS1_11comp_targetILNS1_3genE0ELNS1_11target_archE4294967295ELNS1_3gpuE0ELNS1_3repE0EEENS1_30default_config_static_selectorELNS0_4arch9wavefront6targetE0EEEvSY_.has_recursion, 0
	.set _ZN7rocprim17ROCPRIM_400000_NS6detail17trampoline_kernelINS0_13select_configILj256ELj13ELNS0_17block_load_methodE3ELS4_3ELS4_3ELNS0_20block_scan_algorithmE0ELj4294967295EEENS1_25partition_config_selectorILNS1_17partition_subalgoE3EjNS0_10empty_typeEbEEZZNS1_14partition_implILS8_3ELb0ES6_jNS0_17counting_iteratorIjlEEPS9_SE_NS0_5tupleIJPjSE_EEENSF_IJSE_SE_EEES9_SG_JZNS1_25segmented_radix_sort_implINS0_14default_configELb1EPKhPhPKlPlN2at6native12_GLOBAL__N_18offset_tEEE10hipError_tPvRmT1_PNSt15iterator_traitsISY_E10value_typeET2_T3_PNSZ_IS14_E10value_typeET4_jRbjT5_S1A_jjP12ihipStream_tbEUljE_EEESV_SW_SX_S14_S18_S1A_T6_T7_T9_mT8_S1C_bDpT10_ENKUlT_T0_E_clISt17integral_constantIbLb1EES1O_IbLb0EEEEDaS1K_S1L_EUlS1K_E_NS1_11comp_targetILNS1_3genE0ELNS1_11target_archE4294967295ELNS1_3gpuE0ELNS1_3repE0EEENS1_30default_config_static_selectorELNS0_4arch9wavefront6targetE0EEEvSY_.has_indirect_call, 0
	.section	.AMDGPU.csdata,"",@progbits
; Kernel info:
; codeLenInByte = 0
; TotalNumSgprs: 0
; NumVgprs: 0
; ScratchSize: 0
; MemoryBound: 0
; FloatMode: 240
; IeeeMode: 1
; LDSByteSize: 0 bytes/workgroup (compile time only)
; SGPRBlocks: 0
; VGPRBlocks: 0
; NumSGPRsForWavesPerEU: 1
; NumVGPRsForWavesPerEU: 1
; Occupancy: 16
; WaveLimiterHint : 0
; COMPUTE_PGM_RSRC2:SCRATCH_EN: 0
; COMPUTE_PGM_RSRC2:USER_SGPR: 6
; COMPUTE_PGM_RSRC2:TRAP_HANDLER: 0
; COMPUTE_PGM_RSRC2:TGID_X_EN: 1
; COMPUTE_PGM_RSRC2:TGID_Y_EN: 0
; COMPUTE_PGM_RSRC2:TGID_Z_EN: 0
; COMPUTE_PGM_RSRC2:TIDIG_COMP_CNT: 0
	.section	.text._ZN7rocprim17ROCPRIM_400000_NS6detail17trampoline_kernelINS0_13select_configILj256ELj13ELNS0_17block_load_methodE3ELS4_3ELS4_3ELNS0_20block_scan_algorithmE0ELj4294967295EEENS1_25partition_config_selectorILNS1_17partition_subalgoE3EjNS0_10empty_typeEbEEZZNS1_14partition_implILS8_3ELb0ES6_jNS0_17counting_iteratorIjlEEPS9_SE_NS0_5tupleIJPjSE_EEENSF_IJSE_SE_EEES9_SG_JZNS1_25segmented_radix_sort_implINS0_14default_configELb1EPKhPhPKlPlN2at6native12_GLOBAL__N_18offset_tEEE10hipError_tPvRmT1_PNSt15iterator_traitsISY_E10value_typeET2_T3_PNSZ_IS14_E10value_typeET4_jRbjT5_S1A_jjP12ihipStream_tbEUljE_EEESV_SW_SX_S14_S18_S1A_T6_T7_T9_mT8_S1C_bDpT10_ENKUlT_T0_E_clISt17integral_constantIbLb1EES1O_IbLb0EEEEDaS1K_S1L_EUlS1K_E_NS1_11comp_targetILNS1_3genE5ELNS1_11target_archE942ELNS1_3gpuE9ELNS1_3repE0EEENS1_30default_config_static_selectorELNS0_4arch9wavefront6targetE0EEEvSY_,"axG",@progbits,_ZN7rocprim17ROCPRIM_400000_NS6detail17trampoline_kernelINS0_13select_configILj256ELj13ELNS0_17block_load_methodE3ELS4_3ELS4_3ELNS0_20block_scan_algorithmE0ELj4294967295EEENS1_25partition_config_selectorILNS1_17partition_subalgoE3EjNS0_10empty_typeEbEEZZNS1_14partition_implILS8_3ELb0ES6_jNS0_17counting_iteratorIjlEEPS9_SE_NS0_5tupleIJPjSE_EEENSF_IJSE_SE_EEES9_SG_JZNS1_25segmented_radix_sort_implINS0_14default_configELb1EPKhPhPKlPlN2at6native12_GLOBAL__N_18offset_tEEE10hipError_tPvRmT1_PNSt15iterator_traitsISY_E10value_typeET2_T3_PNSZ_IS14_E10value_typeET4_jRbjT5_S1A_jjP12ihipStream_tbEUljE_EEESV_SW_SX_S14_S18_S1A_T6_T7_T9_mT8_S1C_bDpT10_ENKUlT_T0_E_clISt17integral_constantIbLb1EES1O_IbLb0EEEEDaS1K_S1L_EUlS1K_E_NS1_11comp_targetILNS1_3genE5ELNS1_11target_archE942ELNS1_3gpuE9ELNS1_3repE0EEENS1_30default_config_static_selectorELNS0_4arch9wavefront6targetE0EEEvSY_,comdat
	.globl	_ZN7rocprim17ROCPRIM_400000_NS6detail17trampoline_kernelINS0_13select_configILj256ELj13ELNS0_17block_load_methodE3ELS4_3ELS4_3ELNS0_20block_scan_algorithmE0ELj4294967295EEENS1_25partition_config_selectorILNS1_17partition_subalgoE3EjNS0_10empty_typeEbEEZZNS1_14partition_implILS8_3ELb0ES6_jNS0_17counting_iteratorIjlEEPS9_SE_NS0_5tupleIJPjSE_EEENSF_IJSE_SE_EEES9_SG_JZNS1_25segmented_radix_sort_implINS0_14default_configELb1EPKhPhPKlPlN2at6native12_GLOBAL__N_18offset_tEEE10hipError_tPvRmT1_PNSt15iterator_traitsISY_E10value_typeET2_T3_PNSZ_IS14_E10value_typeET4_jRbjT5_S1A_jjP12ihipStream_tbEUljE_EEESV_SW_SX_S14_S18_S1A_T6_T7_T9_mT8_S1C_bDpT10_ENKUlT_T0_E_clISt17integral_constantIbLb1EES1O_IbLb0EEEEDaS1K_S1L_EUlS1K_E_NS1_11comp_targetILNS1_3genE5ELNS1_11target_archE942ELNS1_3gpuE9ELNS1_3repE0EEENS1_30default_config_static_selectorELNS0_4arch9wavefront6targetE0EEEvSY_ ; -- Begin function _ZN7rocprim17ROCPRIM_400000_NS6detail17trampoline_kernelINS0_13select_configILj256ELj13ELNS0_17block_load_methodE3ELS4_3ELS4_3ELNS0_20block_scan_algorithmE0ELj4294967295EEENS1_25partition_config_selectorILNS1_17partition_subalgoE3EjNS0_10empty_typeEbEEZZNS1_14partition_implILS8_3ELb0ES6_jNS0_17counting_iteratorIjlEEPS9_SE_NS0_5tupleIJPjSE_EEENSF_IJSE_SE_EEES9_SG_JZNS1_25segmented_radix_sort_implINS0_14default_configELb1EPKhPhPKlPlN2at6native12_GLOBAL__N_18offset_tEEE10hipError_tPvRmT1_PNSt15iterator_traitsISY_E10value_typeET2_T3_PNSZ_IS14_E10value_typeET4_jRbjT5_S1A_jjP12ihipStream_tbEUljE_EEESV_SW_SX_S14_S18_S1A_T6_T7_T9_mT8_S1C_bDpT10_ENKUlT_T0_E_clISt17integral_constantIbLb1EES1O_IbLb0EEEEDaS1K_S1L_EUlS1K_E_NS1_11comp_targetILNS1_3genE5ELNS1_11target_archE942ELNS1_3gpuE9ELNS1_3repE0EEENS1_30default_config_static_selectorELNS0_4arch9wavefront6targetE0EEEvSY_
	.p2align	8
	.type	_ZN7rocprim17ROCPRIM_400000_NS6detail17trampoline_kernelINS0_13select_configILj256ELj13ELNS0_17block_load_methodE3ELS4_3ELS4_3ELNS0_20block_scan_algorithmE0ELj4294967295EEENS1_25partition_config_selectorILNS1_17partition_subalgoE3EjNS0_10empty_typeEbEEZZNS1_14partition_implILS8_3ELb0ES6_jNS0_17counting_iteratorIjlEEPS9_SE_NS0_5tupleIJPjSE_EEENSF_IJSE_SE_EEES9_SG_JZNS1_25segmented_radix_sort_implINS0_14default_configELb1EPKhPhPKlPlN2at6native12_GLOBAL__N_18offset_tEEE10hipError_tPvRmT1_PNSt15iterator_traitsISY_E10value_typeET2_T3_PNSZ_IS14_E10value_typeET4_jRbjT5_S1A_jjP12ihipStream_tbEUljE_EEESV_SW_SX_S14_S18_S1A_T6_T7_T9_mT8_S1C_bDpT10_ENKUlT_T0_E_clISt17integral_constantIbLb1EES1O_IbLb0EEEEDaS1K_S1L_EUlS1K_E_NS1_11comp_targetILNS1_3genE5ELNS1_11target_archE942ELNS1_3gpuE9ELNS1_3repE0EEENS1_30default_config_static_selectorELNS0_4arch9wavefront6targetE0EEEvSY_,@function
_ZN7rocprim17ROCPRIM_400000_NS6detail17trampoline_kernelINS0_13select_configILj256ELj13ELNS0_17block_load_methodE3ELS4_3ELS4_3ELNS0_20block_scan_algorithmE0ELj4294967295EEENS1_25partition_config_selectorILNS1_17partition_subalgoE3EjNS0_10empty_typeEbEEZZNS1_14partition_implILS8_3ELb0ES6_jNS0_17counting_iteratorIjlEEPS9_SE_NS0_5tupleIJPjSE_EEENSF_IJSE_SE_EEES9_SG_JZNS1_25segmented_radix_sort_implINS0_14default_configELb1EPKhPhPKlPlN2at6native12_GLOBAL__N_18offset_tEEE10hipError_tPvRmT1_PNSt15iterator_traitsISY_E10value_typeET2_T3_PNSZ_IS14_E10value_typeET4_jRbjT5_S1A_jjP12ihipStream_tbEUljE_EEESV_SW_SX_S14_S18_S1A_T6_T7_T9_mT8_S1C_bDpT10_ENKUlT_T0_E_clISt17integral_constantIbLb1EES1O_IbLb0EEEEDaS1K_S1L_EUlS1K_E_NS1_11comp_targetILNS1_3genE5ELNS1_11target_archE942ELNS1_3gpuE9ELNS1_3repE0EEENS1_30default_config_static_selectorELNS0_4arch9wavefront6targetE0EEEvSY_: ; @_ZN7rocprim17ROCPRIM_400000_NS6detail17trampoline_kernelINS0_13select_configILj256ELj13ELNS0_17block_load_methodE3ELS4_3ELS4_3ELNS0_20block_scan_algorithmE0ELj4294967295EEENS1_25partition_config_selectorILNS1_17partition_subalgoE3EjNS0_10empty_typeEbEEZZNS1_14partition_implILS8_3ELb0ES6_jNS0_17counting_iteratorIjlEEPS9_SE_NS0_5tupleIJPjSE_EEENSF_IJSE_SE_EEES9_SG_JZNS1_25segmented_radix_sort_implINS0_14default_configELb1EPKhPhPKlPlN2at6native12_GLOBAL__N_18offset_tEEE10hipError_tPvRmT1_PNSt15iterator_traitsISY_E10value_typeET2_T3_PNSZ_IS14_E10value_typeET4_jRbjT5_S1A_jjP12ihipStream_tbEUljE_EEESV_SW_SX_S14_S18_S1A_T6_T7_T9_mT8_S1C_bDpT10_ENKUlT_T0_E_clISt17integral_constantIbLb1EES1O_IbLb0EEEEDaS1K_S1L_EUlS1K_E_NS1_11comp_targetILNS1_3genE5ELNS1_11target_archE942ELNS1_3gpuE9ELNS1_3repE0EEENS1_30default_config_static_selectorELNS0_4arch9wavefront6targetE0EEEvSY_
; %bb.0:
	.section	.rodata,"a",@progbits
	.p2align	6, 0x0
	.amdhsa_kernel _ZN7rocprim17ROCPRIM_400000_NS6detail17trampoline_kernelINS0_13select_configILj256ELj13ELNS0_17block_load_methodE3ELS4_3ELS4_3ELNS0_20block_scan_algorithmE0ELj4294967295EEENS1_25partition_config_selectorILNS1_17partition_subalgoE3EjNS0_10empty_typeEbEEZZNS1_14partition_implILS8_3ELb0ES6_jNS0_17counting_iteratorIjlEEPS9_SE_NS0_5tupleIJPjSE_EEENSF_IJSE_SE_EEES9_SG_JZNS1_25segmented_radix_sort_implINS0_14default_configELb1EPKhPhPKlPlN2at6native12_GLOBAL__N_18offset_tEEE10hipError_tPvRmT1_PNSt15iterator_traitsISY_E10value_typeET2_T3_PNSZ_IS14_E10value_typeET4_jRbjT5_S1A_jjP12ihipStream_tbEUljE_EEESV_SW_SX_S14_S18_S1A_T6_T7_T9_mT8_S1C_bDpT10_ENKUlT_T0_E_clISt17integral_constantIbLb1EES1O_IbLb0EEEEDaS1K_S1L_EUlS1K_E_NS1_11comp_targetILNS1_3genE5ELNS1_11target_archE942ELNS1_3gpuE9ELNS1_3repE0EEENS1_30default_config_static_selectorELNS0_4arch9wavefront6targetE0EEEvSY_
		.amdhsa_group_segment_fixed_size 0
		.amdhsa_private_segment_fixed_size 0
		.amdhsa_kernarg_size 144
		.amdhsa_user_sgpr_count 6
		.amdhsa_user_sgpr_private_segment_buffer 1
		.amdhsa_user_sgpr_dispatch_ptr 0
		.amdhsa_user_sgpr_queue_ptr 0
		.amdhsa_user_sgpr_kernarg_segment_ptr 1
		.amdhsa_user_sgpr_dispatch_id 0
		.amdhsa_user_sgpr_flat_scratch_init 0
		.amdhsa_user_sgpr_private_segment_size 0
		.amdhsa_wavefront_size32 1
		.amdhsa_uses_dynamic_stack 0
		.amdhsa_system_sgpr_private_segment_wavefront_offset 0
		.amdhsa_system_sgpr_workgroup_id_x 1
		.amdhsa_system_sgpr_workgroup_id_y 0
		.amdhsa_system_sgpr_workgroup_id_z 0
		.amdhsa_system_sgpr_workgroup_info 0
		.amdhsa_system_vgpr_workitem_id 0
		.amdhsa_next_free_vgpr 1
		.amdhsa_next_free_sgpr 1
		.amdhsa_reserve_vcc 0
		.amdhsa_reserve_flat_scratch 0
		.amdhsa_float_round_mode_32 0
		.amdhsa_float_round_mode_16_64 0
		.amdhsa_float_denorm_mode_32 3
		.amdhsa_float_denorm_mode_16_64 3
		.amdhsa_dx10_clamp 1
		.amdhsa_ieee_mode 1
		.amdhsa_fp16_overflow 0
		.amdhsa_workgroup_processor_mode 1
		.amdhsa_memory_ordered 1
		.amdhsa_forward_progress 1
		.amdhsa_shared_vgpr_count 0
		.amdhsa_exception_fp_ieee_invalid_op 0
		.amdhsa_exception_fp_denorm_src 0
		.amdhsa_exception_fp_ieee_div_zero 0
		.amdhsa_exception_fp_ieee_overflow 0
		.amdhsa_exception_fp_ieee_underflow 0
		.amdhsa_exception_fp_ieee_inexact 0
		.amdhsa_exception_int_div_zero 0
	.end_amdhsa_kernel
	.section	.text._ZN7rocprim17ROCPRIM_400000_NS6detail17trampoline_kernelINS0_13select_configILj256ELj13ELNS0_17block_load_methodE3ELS4_3ELS4_3ELNS0_20block_scan_algorithmE0ELj4294967295EEENS1_25partition_config_selectorILNS1_17partition_subalgoE3EjNS0_10empty_typeEbEEZZNS1_14partition_implILS8_3ELb0ES6_jNS0_17counting_iteratorIjlEEPS9_SE_NS0_5tupleIJPjSE_EEENSF_IJSE_SE_EEES9_SG_JZNS1_25segmented_radix_sort_implINS0_14default_configELb1EPKhPhPKlPlN2at6native12_GLOBAL__N_18offset_tEEE10hipError_tPvRmT1_PNSt15iterator_traitsISY_E10value_typeET2_T3_PNSZ_IS14_E10value_typeET4_jRbjT5_S1A_jjP12ihipStream_tbEUljE_EEESV_SW_SX_S14_S18_S1A_T6_T7_T9_mT8_S1C_bDpT10_ENKUlT_T0_E_clISt17integral_constantIbLb1EES1O_IbLb0EEEEDaS1K_S1L_EUlS1K_E_NS1_11comp_targetILNS1_3genE5ELNS1_11target_archE942ELNS1_3gpuE9ELNS1_3repE0EEENS1_30default_config_static_selectorELNS0_4arch9wavefront6targetE0EEEvSY_,"axG",@progbits,_ZN7rocprim17ROCPRIM_400000_NS6detail17trampoline_kernelINS0_13select_configILj256ELj13ELNS0_17block_load_methodE3ELS4_3ELS4_3ELNS0_20block_scan_algorithmE0ELj4294967295EEENS1_25partition_config_selectorILNS1_17partition_subalgoE3EjNS0_10empty_typeEbEEZZNS1_14partition_implILS8_3ELb0ES6_jNS0_17counting_iteratorIjlEEPS9_SE_NS0_5tupleIJPjSE_EEENSF_IJSE_SE_EEES9_SG_JZNS1_25segmented_radix_sort_implINS0_14default_configELb1EPKhPhPKlPlN2at6native12_GLOBAL__N_18offset_tEEE10hipError_tPvRmT1_PNSt15iterator_traitsISY_E10value_typeET2_T3_PNSZ_IS14_E10value_typeET4_jRbjT5_S1A_jjP12ihipStream_tbEUljE_EEESV_SW_SX_S14_S18_S1A_T6_T7_T9_mT8_S1C_bDpT10_ENKUlT_T0_E_clISt17integral_constantIbLb1EES1O_IbLb0EEEEDaS1K_S1L_EUlS1K_E_NS1_11comp_targetILNS1_3genE5ELNS1_11target_archE942ELNS1_3gpuE9ELNS1_3repE0EEENS1_30default_config_static_selectorELNS0_4arch9wavefront6targetE0EEEvSY_,comdat
.Lfunc_end67:
	.size	_ZN7rocprim17ROCPRIM_400000_NS6detail17trampoline_kernelINS0_13select_configILj256ELj13ELNS0_17block_load_methodE3ELS4_3ELS4_3ELNS0_20block_scan_algorithmE0ELj4294967295EEENS1_25partition_config_selectorILNS1_17partition_subalgoE3EjNS0_10empty_typeEbEEZZNS1_14partition_implILS8_3ELb0ES6_jNS0_17counting_iteratorIjlEEPS9_SE_NS0_5tupleIJPjSE_EEENSF_IJSE_SE_EEES9_SG_JZNS1_25segmented_radix_sort_implINS0_14default_configELb1EPKhPhPKlPlN2at6native12_GLOBAL__N_18offset_tEEE10hipError_tPvRmT1_PNSt15iterator_traitsISY_E10value_typeET2_T3_PNSZ_IS14_E10value_typeET4_jRbjT5_S1A_jjP12ihipStream_tbEUljE_EEESV_SW_SX_S14_S18_S1A_T6_T7_T9_mT8_S1C_bDpT10_ENKUlT_T0_E_clISt17integral_constantIbLb1EES1O_IbLb0EEEEDaS1K_S1L_EUlS1K_E_NS1_11comp_targetILNS1_3genE5ELNS1_11target_archE942ELNS1_3gpuE9ELNS1_3repE0EEENS1_30default_config_static_selectorELNS0_4arch9wavefront6targetE0EEEvSY_, .Lfunc_end67-_ZN7rocprim17ROCPRIM_400000_NS6detail17trampoline_kernelINS0_13select_configILj256ELj13ELNS0_17block_load_methodE3ELS4_3ELS4_3ELNS0_20block_scan_algorithmE0ELj4294967295EEENS1_25partition_config_selectorILNS1_17partition_subalgoE3EjNS0_10empty_typeEbEEZZNS1_14partition_implILS8_3ELb0ES6_jNS0_17counting_iteratorIjlEEPS9_SE_NS0_5tupleIJPjSE_EEENSF_IJSE_SE_EEES9_SG_JZNS1_25segmented_radix_sort_implINS0_14default_configELb1EPKhPhPKlPlN2at6native12_GLOBAL__N_18offset_tEEE10hipError_tPvRmT1_PNSt15iterator_traitsISY_E10value_typeET2_T3_PNSZ_IS14_E10value_typeET4_jRbjT5_S1A_jjP12ihipStream_tbEUljE_EEESV_SW_SX_S14_S18_S1A_T6_T7_T9_mT8_S1C_bDpT10_ENKUlT_T0_E_clISt17integral_constantIbLb1EES1O_IbLb0EEEEDaS1K_S1L_EUlS1K_E_NS1_11comp_targetILNS1_3genE5ELNS1_11target_archE942ELNS1_3gpuE9ELNS1_3repE0EEENS1_30default_config_static_selectorELNS0_4arch9wavefront6targetE0EEEvSY_
                                        ; -- End function
	.set _ZN7rocprim17ROCPRIM_400000_NS6detail17trampoline_kernelINS0_13select_configILj256ELj13ELNS0_17block_load_methodE3ELS4_3ELS4_3ELNS0_20block_scan_algorithmE0ELj4294967295EEENS1_25partition_config_selectorILNS1_17partition_subalgoE3EjNS0_10empty_typeEbEEZZNS1_14partition_implILS8_3ELb0ES6_jNS0_17counting_iteratorIjlEEPS9_SE_NS0_5tupleIJPjSE_EEENSF_IJSE_SE_EEES9_SG_JZNS1_25segmented_radix_sort_implINS0_14default_configELb1EPKhPhPKlPlN2at6native12_GLOBAL__N_18offset_tEEE10hipError_tPvRmT1_PNSt15iterator_traitsISY_E10value_typeET2_T3_PNSZ_IS14_E10value_typeET4_jRbjT5_S1A_jjP12ihipStream_tbEUljE_EEESV_SW_SX_S14_S18_S1A_T6_T7_T9_mT8_S1C_bDpT10_ENKUlT_T0_E_clISt17integral_constantIbLb1EES1O_IbLb0EEEEDaS1K_S1L_EUlS1K_E_NS1_11comp_targetILNS1_3genE5ELNS1_11target_archE942ELNS1_3gpuE9ELNS1_3repE0EEENS1_30default_config_static_selectorELNS0_4arch9wavefront6targetE0EEEvSY_.num_vgpr, 0
	.set _ZN7rocprim17ROCPRIM_400000_NS6detail17trampoline_kernelINS0_13select_configILj256ELj13ELNS0_17block_load_methodE3ELS4_3ELS4_3ELNS0_20block_scan_algorithmE0ELj4294967295EEENS1_25partition_config_selectorILNS1_17partition_subalgoE3EjNS0_10empty_typeEbEEZZNS1_14partition_implILS8_3ELb0ES6_jNS0_17counting_iteratorIjlEEPS9_SE_NS0_5tupleIJPjSE_EEENSF_IJSE_SE_EEES9_SG_JZNS1_25segmented_radix_sort_implINS0_14default_configELb1EPKhPhPKlPlN2at6native12_GLOBAL__N_18offset_tEEE10hipError_tPvRmT1_PNSt15iterator_traitsISY_E10value_typeET2_T3_PNSZ_IS14_E10value_typeET4_jRbjT5_S1A_jjP12ihipStream_tbEUljE_EEESV_SW_SX_S14_S18_S1A_T6_T7_T9_mT8_S1C_bDpT10_ENKUlT_T0_E_clISt17integral_constantIbLb1EES1O_IbLb0EEEEDaS1K_S1L_EUlS1K_E_NS1_11comp_targetILNS1_3genE5ELNS1_11target_archE942ELNS1_3gpuE9ELNS1_3repE0EEENS1_30default_config_static_selectorELNS0_4arch9wavefront6targetE0EEEvSY_.num_agpr, 0
	.set _ZN7rocprim17ROCPRIM_400000_NS6detail17trampoline_kernelINS0_13select_configILj256ELj13ELNS0_17block_load_methodE3ELS4_3ELS4_3ELNS0_20block_scan_algorithmE0ELj4294967295EEENS1_25partition_config_selectorILNS1_17partition_subalgoE3EjNS0_10empty_typeEbEEZZNS1_14partition_implILS8_3ELb0ES6_jNS0_17counting_iteratorIjlEEPS9_SE_NS0_5tupleIJPjSE_EEENSF_IJSE_SE_EEES9_SG_JZNS1_25segmented_radix_sort_implINS0_14default_configELb1EPKhPhPKlPlN2at6native12_GLOBAL__N_18offset_tEEE10hipError_tPvRmT1_PNSt15iterator_traitsISY_E10value_typeET2_T3_PNSZ_IS14_E10value_typeET4_jRbjT5_S1A_jjP12ihipStream_tbEUljE_EEESV_SW_SX_S14_S18_S1A_T6_T7_T9_mT8_S1C_bDpT10_ENKUlT_T0_E_clISt17integral_constantIbLb1EES1O_IbLb0EEEEDaS1K_S1L_EUlS1K_E_NS1_11comp_targetILNS1_3genE5ELNS1_11target_archE942ELNS1_3gpuE9ELNS1_3repE0EEENS1_30default_config_static_selectorELNS0_4arch9wavefront6targetE0EEEvSY_.numbered_sgpr, 0
	.set _ZN7rocprim17ROCPRIM_400000_NS6detail17trampoline_kernelINS0_13select_configILj256ELj13ELNS0_17block_load_methodE3ELS4_3ELS4_3ELNS0_20block_scan_algorithmE0ELj4294967295EEENS1_25partition_config_selectorILNS1_17partition_subalgoE3EjNS0_10empty_typeEbEEZZNS1_14partition_implILS8_3ELb0ES6_jNS0_17counting_iteratorIjlEEPS9_SE_NS0_5tupleIJPjSE_EEENSF_IJSE_SE_EEES9_SG_JZNS1_25segmented_radix_sort_implINS0_14default_configELb1EPKhPhPKlPlN2at6native12_GLOBAL__N_18offset_tEEE10hipError_tPvRmT1_PNSt15iterator_traitsISY_E10value_typeET2_T3_PNSZ_IS14_E10value_typeET4_jRbjT5_S1A_jjP12ihipStream_tbEUljE_EEESV_SW_SX_S14_S18_S1A_T6_T7_T9_mT8_S1C_bDpT10_ENKUlT_T0_E_clISt17integral_constantIbLb1EES1O_IbLb0EEEEDaS1K_S1L_EUlS1K_E_NS1_11comp_targetILNS1_3genE5ELNS1_11target_archE942ELNS1_3gpuE9ELNS1_3repE0EEENS1_30default_config_static_selectorELNS0_4arch9wavefront6targetE0EEEvSY_.num_named_barrier, 0
	.set _ZN7rocprim17ROCPRIM_400000_NS6detail17trampoline_kernelINS0_13select_configILj256ELj13ELNS0_17block_load_methodE3ELS4_3ELS4_3ELNS0_20block_scan_algorithmE0ELj4294967295EEENS1_25partition_config_selectorILNS1_17partition_subalgoE3EjNS0_10empty_typeEbEEZZNS1_14partition_implILS8_3ELb0ES6_jNS0_17counting_iteratorIjlEEPS9_SE_NS0_5tupleIJPjSE_EEENSF_IJSE_SE_EEES9_SG_JZNS1_25segmented_radix_sort_implINS0_14default_configELb1EPKhPhPKlPlN2at6native12_GLOBAL__N_18offset_tEEE10hipError_tPvRmT1_PNSt15iterator_traitsISY_E10value_typeET2_T3_PNSZ_IS14_E10value_typeET4_jRbjT5_S1A_jjP12ihipStream_tbEUljE_EEESV_SW_SX_S14_S18_S1A_T6_T7_T9_mT8_S1C_bDpT10_ENKUlT_T0_E_clISt17integral_constantIbLb1EES1O_IbLb0EEEEDaS1K_S1L_EUlS1K_E_NS1_11comp_targetILNS1_3genE5ELNS1_11target_archE942ELNS1_3gpuE9ELNS1_3repE0EEENS1_30default_config_static_selectorELNS0_4arch9wavefront6targetE0EEEvSY_.private_seg_size, 0
	.set _ZN7rocprim17ROCPRIM_400000_NS6detail17trampoline_kernelINS0_13select_configILj256ELj13ELNS0_17block_load_methodE3ELS4_3ELS4_3ELNS0_20block_scan_algorithmE0ELj4294967295EEENS1_25partition_config_selectorILNS1_17partition_subalgoE3EjNS0_10empty_typeEbEEZZNS1_14partition_implILS8_3ELb0ES6_jNS0_17counting_iteratorIjlEEPS9_SE_NS0_5tupleIJPjSE_EEENSF_IJSE_SE_EEES9_SG_JZNS1_25segmented_radix_sort_implINS0_14default_configELb1EPKhPhPKlPlN2at6native12_GLOBAL__N_18offset_tEEE10hipError_tPvRmT1_PNSt15iterator_traitsISY_E10value_typeET2_T3_PNSZ_IS14_E10value_typeET4_jRbjT5_S1A_jjP12ihipStream_tbEUljE_EEESV_SW_SX_S14_S18_S1A_T6_T7_T9_mT8_S1C_bDpT10_ENKUlT_T0_E_clISt17integral_constantIbLb1EES1O_IbLb0EEEEDaS1K_S1L_EUlS1K_E_NS1_11comp_targetILNS1_3genE5ELNS1_11target_archE942ELNS1_3gpuE9ELNS1_3repE0EEENS1_30default_config_static_selectorELNS0_4arch9wavefront6targetE0EEEvSY_.uses_vcc, 0
	.set _ZN7rocprim17ROCPRIM_400000_NS6detail17trampoline_kernelINS0_13select_configILj256ELj13ELNS0_17block_load_methodE3ELS4_3ELS4_3ELNS0_20block_scan_algorithmE0ELj4294967295EEENS1_25partition_config_selectorILNS1_17partition_subalgoE3EjNS0_10empty_typeEbEEZZNS1_14partition_implILS8_3ELb0ES6_jNS0_17counting_iteratorIjlEEPS9_SE_NS0_5tupleIJPjSE_EEENSF_IJSE_SE_EEES9_SG_JZNS1_25segmented_radix_sort_implINS0_14default_configELb1EPKhPhPKlPlN2at6native12_GLOBAL__N_18offset_tEEE10hipError_tPvRmT1_PNSt15iterator_traitsISY_E10value_typeET2_T3_PNSZ_IS14_E10value_typeET4_jRbjT5_S1A_jjP12ihipStream_tbEUljE_EEESV_SW_SX_S14_S18_S1A_T6_T7_T9_mT8_S1C_bDpT10_ENKUlT_T0_E_clISt17integral_constantIbLb1EES1O_IbLb0EEEEDaS1K_S1L_EUlS1K_E_NS1_11comp_targetILNS1_3genE5ELNS1_11target_archE942ELNS1_3gpuE9ELNS1_3repE0EEENS1_30default_config_static_selectorELNS0_4arch9wavefront6targetE0EEEvSY_.uses_flat_scratch, 0
	.set _ZN7rocprim17ROCPRIM_400000_NS6detail17trampoline_kernelINS0_13select_configILj256ELj13ELNS0_17block_load_methodE3ELS4_3ELS4_3ELNS0_20block_scan_algorithmE0ELj4294967295EEENS1_25partition_config_selectorILNS1_17partition_subalgoE3EjNS0_10empty_typeEbEEZZNS1_14partition_implILS8_3ELb0ES6_jNS0_17counting_iteratorIjlEEPS9_SE_NS0_5tupleIJPjSE_EEENSF_IJSE_SE_EEES9_SG_JZNS1_25segmented_radix_sort_implINS0_14default_configELb1EPKhPhPKlPlN2at6native12_GLOBAL__N_18offset_tEEE10hipError_tPvRmT1_PNSt15iterator_traitsISY_E10value_typeET2_T3_PNSZ_IS14_E10value_typeET4_jRbjT5_S1A_jjP12ihipStream_tbEUljE_EEESV_SW_SX_S14_S18_S1A_T6_T7_T9_mT8_S1C_bDpT10_ENKUlT_T0_E_clISt17integral_constantIbLb1EES1O_IbLb0EEEEDaS1K_S1L_EUlS1K_E_NS1_11comp_targetILNS1_3genE5ELNS1_11target_archE942ELNS1_3gpuE9ELNS1_3repE0EEENS1_30default_config_static_selectorELNS0_4arch9wavefront6targetE0EEEvSY_.has_dyn_sized_stack, 0
	.set _ZN7rocprim17ROCPRIM_400000_NS6detail17trampoline_kernelINS0_13select_configILj256ELj13ELNS0_17block_load_methodE3ELS4_3ELS4_3ELNS0_20block_scan_algorithmE0ELj4294967295EEENS1_25partition_config_selectorILNS1_17partition_subalgoE3EjNS0_10empty_typeEbEEZZNS1_14partition_implILS8_3ELb0ES6_jNS0_17counting_iteratorIjlEEPS9_SE_NS0_5tupleIJPjSE_EEENSF_IJSE_SE_EEES9_SG_JZNS1_25segmented_radix_sort_implINS0_14default_configELb1EPKhPhPKlPlN2at6native12_GLOBAL__N_18offset_tEEE10hipError_tPvRmT1_PNSt15iterator_traitsISY_E10value_typeET2_T3_PNSZ_IS14_E10value_typeET4_jRbjT5_S1A_jjP12ihipStream_tbEUljE_EEESV_SW_SX_S14_S18_S1A_T6_T7_T9_mT8_S1C_bDpT10_ENKUlT_T0_E_clISt17integral_constantIbLb1EES1O_IbLb0EEEEDaS1K_S1L_EUlS1K_E_NS1_11comp_targetILNS1_3genE5ELNS1_11target_archE942ELNS1_3gpuE9ELNS1_3repE0EEENS1_30default_config_static_selectorELNS0_4arch9wavefront6targetE0EEEvSY_.has_recursion, 0
	.set _ZN7rocprim17ROCPRIM_400000_NS6detail17trampoline_kernelINS0_13select_configILj256ELj13ELNS0_17block_load_methodE3ELS4_3ELS4_3ELNS0_20block_scan_algorithmE0ELj4294967295EEENS1_25partition_config_selectorILNS1_17partition_subalgoE3EjNS0_10empty_typeEbEEZZNS1_14partition_implILS8_3ELb0ES6_jNS0_17counting_iteratorIjlEEPS9_SE_NS0_5tupleIJPjSE_EEENSF_IJSE_SE_EEES9_SG_JZNS1_25segmented_radix_sort_implINS0_14default_configELb1EPKhPhPKlPlN2at6native12_GLOBAL__N_18offset_tEEE10hipError_tPvRmT1_PNSt15iterator_traitsISY_E10value_typeET2_T3_PNSZ_IS14_E10value_typeET4_jRbjT5_S1A_jjP12ihipStream_tbEUljE_EEESV_SW_SX_S14_S18_S1A_T6_T7_T9_mT8_S1C_bDpT10_ENKUlT_T0_E_clISt17integral_constantIbLb1EES1O_IbLb0EEEEDaS1K_S1L_EUlS1K_E_NS1_11comp_targetILNS1_3genE5ELNS1_11target_archE942ELNS1_3gpuE9ELNS1_3repE0EEENS1_30default_config_static_selectorELNS0_4arch9wavefront6targetE0EEEvSY_.has_indirect_call, 0
	.section	.AMDGPU.csdata,"",@progbits
; Kernel info:
; codeLenInByte = 0
; TotalNumSgprs: 0
; NumVgprs: 0
; ScratchSize: 0
; MemoryBound: 0
; FloatMode: 240
; IeeeMode: 1
; LDSByteSize: 0 bytes/workgroup (compile time only)
; SGPRBlocks: 0
; VGPRBlocks: 0
; NumSGPRsForWavesPerEU: 1
; NumVGPRsForWavesPerEU: 1
; Occupancy: 16
; WaveLimiterHint : 0
; COMPUTE_PGM_RSRC2:SCRATCH_EN: 0
; COMPUTE_PGM_RSRC2:USER_SGPR: 6
; COMPUTE_PGM_RSRC2:TRAP_HANDLER: 0
; COMPUTE_PGM_RSRC2:TGID_X_EN: 1
; COMPUTE_PGM_RSRC2:TGID_Y_EN: 0
; COMPUTE_PGM_RSRC2:TGID_Z_EN: 0
; COMPUTE_PGM_RSRC2:TIDIG_COMP_CNT: 0
	.section	.text._ZN7rocprim17ROCPRIM_400000_NS6detail17trampoline_kernelINS0_13select_configILj256ELj13ELNS0_17block_load_methodE3ELS4_3ELS4_3ELNS0_20block_scan_algorithmE0ELj4294967295EEENS1_25partition_config_selectorILNS1_17partition_subalgoE3EjNS0_10empty_typeEbEEZZNS1_14partition_implILS8_3ELb0ES6_jNS0_17counting_iteratorIjlEEPS9_SE_NS0_5tupleIJPjSE_EEENSF_IJSE_SE_EEES9_SG_JZNS1_25segmented_radix_sort_implINS0_14default_configELb1EPKhPhPKlPlN2at6native12_GLOBAL__N_18offset_tEEE10hipError_tPvRmT1_PNSt15iterator_traitsISY_E10value_typeET2_T3_PNSZ_IS14_E10value_typeET4_jRbjT5_S1A_jjP12ihipStream_tbEUljE_EEESV_SW_SX_S14_S18_S1A_T6_T7_T9_mT8_S1C_bDpT10_ENKUlT_T0_E_clISt17integral_constantIbLb1EES1O_IbLb0EEEEDaS1K_S1L_EUlS1K_E_NS1_11comp_targetILNS1_3genE4ELNS1_11target_archE910ELNS1_3gpuE8ELNS1_3repE0EEENS1_30default_config_static_selectorELNS0_4arch9wavefront6targetE0EEEvSY_,"axG",@progbits,_ZN7rocprim17ROCPRIM_400000_NS6detail17trampoline_kernelINS0_13select_configILj256ELj13ELNS0_17block_load_methodE3ELS4_3ELS4_3ELNS0_20block_scan_algorithmE0ELj4294967295EEENS1_25partition_config_selectorILNS1_17partition_subalgoE3EjNS0_10empty_typeEbEEZZNS1_14partition_implILS8_3ELb0ES6_jNS0_17counting_iteratorIjlEEPS9_SE_NS0_5tupleIJPjSE_EEENSF_IJSE_SE_EEES9_SG_JZNS1_25segmented_radix_sort_implINS0_14default_configELb1EPKhPhPKlPlN2at6native12_GLOBAL__N_18offset_tEEE10hipError_tPvRmT1_PNSt15iterator_traitsISY_E10value_typeET2_T3_PNSZ_IS14_E10value_typeET4_jRbjT5_S1A_jjP12ihipStream_tbEUljE_EEESV_SW_SX_S14_S18_S1A_T6_T7_T9_mT8_S1C_bDpT10_ENKUlT_T0_E_clISt17integral_constantIbLb1EES1O_IbLb0EEEEDaS1K_S1L_EUlS1K_E_NS1_11comp_targetILNS1_3genE4ELNS1_11target_archE910ELNS1_3gpuE8ELNS1_3repE0EEENS1_30default_config_static_selectorELNS0_4arch9wavefront6targetE0EEEvSY_,comdat
	.globl	_ZN7rocprim17ROCPRIM_400000_NS6detail17trampoline_kernelINS0_13select_configILj256ELj13ELNS0_17block_load_methodE3ELS4_3ELS4_3ELNS0_20block_scan_algorithmE0ELj4294967295EEENS1_25partition_config_selectorILNS1_17partition_subalgoE3EjNS0_10empty_typeEbEEZZNS1_14partition_implILS8_3ELb0ES6_jNS0_17counting_iteratorIjlEEPS9_SE_NS0_5tupleIJPjSE_EEENSF_IJSE_SE_EEES9_SG_JZNS1_25segmented_radix_sort_implINS0_14default_configELb1EPKhPhPKlPlN2at6native12_GLOBAL__N_18offset_tEEE10hipError_tPvRmT1_PNSt15iterator_traitsISY_E10value_typeET2_T3_PNSZ_IS14_E10value_typeET4_jRbjT5_S1A_jjP12ihipStream_tbEUljE_EEESV_SW_SX_S14_S18_S1A_T6_T7_T9_mT8_S1C_bDpT10_ENKUlT_T0_E_clISt17integral_constantIbLb1EES1O_IbLb0EEEEDaS1K_S1L_EUlS1K_E_NS1_11comp_targetILNS1_3genE4ELNS1_11target_archE910ELNS1_3gpuE8ELNS1_3repE0EEENS1_30default_config_static_selectorELNS0_4arch9wavefront6targetE0EEEvSY_ ; -- Begin function _ZN7rocprim17ROCPRIM_400000_NS6detail17trampoline_kernelINS0_13select_configILj256ELj13ELNS0_17block_load_methodE3ELS4_3ELS4_3ELNS0_20block_scan_algorithmE0ELj4294967295EEENS1_25partition_config_selectorILNS1_17partition_subalgoE3EjNS0_10empty_typeEbEEZZNS1_14partition_implILS8_3ELb0ES6_jNS0_17counting_iteratorIjlEEPS9_SE_NS0_5tupleIJPjSE_EEENSF_IJSE_SE_EEES9_SG_JZNS1_25segmented_radix_sort_implINS0_14default_configELb1EPKhPhPKlPlN2at6native12_GLOBAL__N_18offset_tEEE10hipError_tPvRmT1_PNSt15iterator_traitsISY_E10value_typeET2_T3_PNSZ_IS14_E10value_typeET4_jRbjT5_S1A_jjP12ihipStream_tbEUljE_EEESV_SW_SX_S14_S18_S1A_T6_T7_T9_mT8_S1C_bDpT10_ENKUlT_T0_E_clISt17integral_constantIbLb1EES1O_IbLb0EEEEDaS1K_S1L_EUlS1K_E_NS1_11comp_targetILNS1_3genE4ELNS1_11target_archE910ELNS1_3gpuE8ELNS1_3repE0EEENS1_30default_config_static_selectorELNS0_4arch9wavefront6targetE0EEEvSY_
	.p2align	8
	.type	_ZN7rocprim17ROCPRIM_400000_NS6detail17trampoline_kernelINS0_13select_configILj256ELj13ELNS0_17block_load_methodE3ELS4_3ELS4_3ELNS0_20block_scan_algorithmE0ELj4294967295EEENS1_25partition_config_selectorILNS1_17partition_subalgoE3EjNS0_10empty_typeEbEEZZNS1_14partition_implILS8_3ELb0ES6_jNS0_17counting_iteratorIjlEEPS9_SE_NS0_5tupleIJPjSE_EEENSF_IJSE_SE_EEES9_SG_JZNS1_25segmented_radix_sort_implINS0_14default_configELb1EPKhPhPKlPlN2at6native12_GLOBAL__N_18offset_tEEE10hipError_tPvRmT1_PNSt15iterator_traitsISY_E10value_typeET2_T3_PNSZ_IS14_E10value_typeET4_jRbjT5_S1A_jjP12ihipStream_tbEUljE_EEESV_SW_SX_S14_S18_S1A_T6_T7_T9_mT8_S1C_bDpT10_ENKUlT_T0_E_clISt17integral_constantIbLb1EES1O_IbLb0EEEEDaS1K_S1L_EUlS1K_E_NS1_11comp_targetILNS1_3genE4ELNS1_11target_archE910ELNS1_3gpuE8ELNS1_3repE0EEENS1_30default_config_static_selectorELNS0_4arch9wavefront6targetE0EEEvSY_,@function
_ZN7rocprim17ROCPRIM_400000_NS6detail17trampoline_kernelINS0_13select_configILj256ELj13ELNS0_17block_load_methodE3ELS4_3ELS4_3ELNS0_20block_scan_algorithmE0ELj4294967295EEENS1_25partition_config_selectorILNS1_17partition_subalgoE3EjNS0_10empty_typeEbEEZZNS1_14partition_implILS8_3ELb0ES6_jNS0_17counting_iteratorIjlEEPS9_SE_NS0_5tupleIJPjSE_EEENSF_IJSE_SE_EEES9_SG_JZNS1_25segmented_radix_sort_implINS0_14default_configELb1EPKhPhPKlPlN2at6native12_GLOBAL__N_18offset_tEEE10hipError_tPvRmT1_PNSt15iterator_traitsISY_E10value_typeET2_T3_PNSZ_IS14_E10value_typeET4_jRbjT5_S1A_jjP12ihipStream_tbEUljE_EEESV_SW_SX_S14_S18_S1A_T6_T7_T9_mT8_S1C_bDpT10_ENKUlT_T0_E_clISt17integral_constantIbLb1EES1O_IbLb0EEEEDaS1K_S1L_EUlS1K_E_NS1_11comp_targetILNS1_3genE4ELNS1_11target_archE910ELNS1_3gpuE8ELNS1_3repE0EEENS1_30default_config_static_selectorELNS0_4arch9wavefront6targetE0EEEvSY_: ; @_ZN7rocprim17ROCPRIM_400000_NS6detail17trampoline_kernelINS0_13select_configILj256ELj13ELNS0_17block_load_methodE3ELS4_3ELS4_3ELNS0_20block_scan_algorithmE0ELj4294967295EEENS1_25partition_config_selectorILNS1_17partition_subalgoE3EjNS0_10empty_typeEbEEZZNS1_14partition_implILS8_3ELb0ES6_jNS0_17counting_iteratorIjlEEPS9_SE_NS0_5tupleIJPjSE_EEENSF_IJSE_SE_EEES9_SG_JZNS1_25segmented_radix_sort_implINS0_14default_configELb1EPKhPhPKlPlN2at6native12_GLOBAL__N_18offset_tEEE10hipError_tPvRmT1_PNSt15iterator_traitsISY_E10value_typeET2_T3_PNSZ_IS14_E10value_typeET4_jRbjT5_S1A_jjP12ihipStream_tbEUljE_EEESV_SW_SX_S14_S18_S1A_T6_T7_T9_mT8_S1C_bDpT10_ENKUlT_T0_E_clISt17integral_constantIbLb1EES1O_IbLb0EEEEDaS1K_S1L_EUlS1K_E_NS1_11comp_targetILNS1_3genE4ELNS1_11target_archE910ELNS1_3gpuE8ELNS1_3repE0EEENS1_30default_config_static_selectorELNS0_4arch9wavefront6targetE0EEEvSY_
; %bb.0:
	.section	.rodata,"a",@progbits
	.p2align	6, 0x0
	.amdhsa_kernel _ZN7rocprim17ROCPRIM_400000_NS6detail17trampoline_kernelINS0_13select_configILj256ELj13ELNS0_17block_load_methodE3ELS4_3ELS4_3ELNS0_20block_scan_algorithmE0ELj4294967295EEENS1_25partition_config_selectorILNS1_17partition_subalgoE3EjNS0_10empty_typeEbEEZZNS1_14partition_implILS8_3ELb0ES6_jNS0_17counting_iteratorIjlEEPS9_SE_NS0_5tupleIJPjSE_EEENSF_IJSE_SE_EEES9_SG_JZNS1_25segmented_radix_sort_implINS0_14default_configELb1EPKhPhPKlPlN2at6native12_GLOBAL__N_18offset_tEEE10hipError_tPvRmT1_PNSt15iterator_traitsISY_E10value_typeET2_T3_PNSZ_IS14_E10value_typeET4_jRbjT5_S1A_jjP12ihipStream_tbEUljE_EEESV_SW_SX_S14_S18_S1A_T6_T7_T9_mT8_S1C_bDpT10_ENKUlT_T0_E_clISt17integral_constantIbLb1EES1O_IbLb0EEEEDaS1K_S1L_EUlS1K_E_NS1_11comp_targetILNS1_3genE4ELNS1_11target_archE910ELNS1_3gpuE8ELNS1_3repE0EEENS1_30default_config_static_selectorELNS0_4arch9wavefront6targetE0EEEvSY_
		.amdhsa_group_segment_fixed_size 0
		.amdhsa_private_segment_fixed_size 0
		.amdhsa_kernarg_size 144
		.amdhsa_user_sgpr_count 6
		.amdhsa_user_sgpr_private_segment_buffer 1
		.amdhsa_user_sgpr_dispatch_ptr 0
		.amdhsa_user_sgpr_queue_ptr 0
		.amdhsa_user_sgpr_kernarg_segment_ptr 1
		.amdhsa_user_sgpr_dispatch_id 0
		.amdhsa_user_sgpr_flat_scratch_init 0
		.amdhsa_user_sgpr_private_segment_size 0
		.amdhsa_wavefront_size32 1
		.amdhsa_uses_dynamic_stack 0
		.amdhsa_system_sgpr_private_segment_wavefront_offset 0
		.amdhsa_system_sgpr_workgroup_id_x 1
		.amdhsa_system_sgpr_workgroup_id_y 0
		.amdhsa_system_sgpr_workgroup_id_z 0
		.amdhsa_system_sgpr_workgroup_info 0
		.amdhsa_system_vgpr_workitem_id 0
		.amdhsa_next_free_vgpr 1
		.amdhsa_next_free_sgpr 1
		.amdhsa_reserve_vcc 0
		.amdhsa_reserve_flat_scratch 0
		.amdhsa_float_round_mode_32 0
		.amdhsa_float_round_mode_16_64 0
		.amdhsa_float_denorm_mode_32 3
		.amdhsa_float_denorm_mode_16_64 3
		.amdhsa_dx10_clamp 1
		.amdhsa_ieee_mode 1
		.amdhsa_fp16_overflow 0
		.amdhsa_workgroup_processor_mode 1
		.amdhsa_memory_ordered 1
		.amdhsa_forward_progress 1
		.amdhsa_shared_vgpr_count 0
		.amdhsa_exception_fp_ieee_invalid_op 0
		.amdhsa_exception_fp_denorm_src 0
		.amdhsa_exception_fp_ieee_div_zero 0
		.amdhsa_exception_fp_ieee_overflow 0
		.amdhsa_exception_fp_ieee_underflow 0
		.amdhsa_exception_fp_ieee_inexact 0
		.amdhsa_exception_int_div_zero 0
	.end_amdhsa_kernel
	.section	.text._ZN7rocprim17ROCPRIM_400000_NS6detail17trampoline_kernelINS0_13select_configILj256ELj13ELNS0_17block_load_methodE3ELS4_3ELS4_3ELNS0_20block_scan_algorithmE0ELj4294967295EEENS1_25partition_config_selectorILNS1_17partition_subalgoE3EjNS0_10empty_typeEbEEZZNS1_14partition_implILS8_3ELb0ES6_jNS0_17counting_iteratorIjlEEPS9_SE_NS0_5tupleIJPjSE_EEENSF_IJSE_SE_EEES9_SG_JZNS1_25segmented_radix_sort_implINS0_14default_configELb1EPKhPhPKlPlN2at6native12_GLOBAL__N_18offset_tEEE10hipError_tPvRmT1_PNSt15iterator_traitsISY_E10value_typeET2_T3_PNSZ_IS14_E10value_typeET4_jRbjT5_S1A_jjP12ihipStream_tbEUljE_EEESV_SW_SX_S14_S18_S1A_T6_T7_T9_mT8_S1C_bDpT10_ENKUlT_T0_E_clISt17integral_constantIbLb1EES1O_IbLb0EEEEDaS1K_S1L_EUlS1K_E_NS1_11comp_targetILNS1_3genE4ELNS1_11target_archE910ELNS1_3gpuE8ELNS1_3repE0EEENS1_30default_config_static_selectorELNS0_4arch9wavefront6targetE0EEEvSY_,"axG",@progbits,_ZN7rocprim17ROCPRIM_400000_NS6detail17trampoline_kernelINS0_13select_configILj256ELj13ELNS0_17block_load_methodE3ELS4_3ELS4_3ELNS0_20block_scan_algorithmE0ELj4294967295EEENS1_25partition_config_selectorILNS1_17partition_subalgoE3EjNS0_10empty_typeEbEEZZNS1_14partition_implILS8_3ELb0ES6_jNS0_17counting_iteratorIjlEEPS9_SE_NS0_5tupleIJPjSE_EEENSF_IJSE_SE_EEES9_SG_JZNS1_25segmented_radix_sort_implINS0_14default_configELb1EPKhPhPKlPlN2at6native12_GLOBAL__N_18offset_tEEE10hipError_tPvRmT1_PNSt15iterator_traitsISY_E10value_typeET2_T3_PNSZ_IS14_E10value_typeET4_jRbjT5_S1A_jjP12ihipStream_tbEUljE_EEESV_SW_SX_S14_S18_S1A_T6_T7_T9_mT8_S1C_bDpT10_ENKUlT_T0_E_clISt17integral_constantIbLb1EES1O_IbLb0EEEEDaS1K_S1L_EUlS1K_E_NS1_11comp_targetILNS1_3genE4ELNS1_11target_archE910ELNS1_3gpuE8ELNS1_3repE0EEENS1_30default_config_static_selectorELNS0_4arch9wavefront6targetE0EEEvSY_,comdat
.Lfunc_end68:
	.size	_ZN7rocprim17ROCPRIM_400000_NS6detail17trampoline_kernelINS0_13select_configILj256ELj13ELNS0_17block_load_methodE3ELS4_3ELS4_3ELNS0_20block_scan_algorithmE0ELj4294967295EEENS1_25partition_config_selectorILNS1_17partition_subalgoE3EjNS0_10empty_typeEbEEZZNS1_14partition_implILS8_3ELb0ES6_jNS0_17counting_iteratorIjlEEPS9_SE_NS0_5tupleIJPjSE_EEENSF_IJSE_SE_EEES9_SG_JZNS1_25segmented_radix_sort_implINS0_14default_configELb1EPKhPhPKlPlN2at6native12_GLOBAL__N_18offset_tEEE10hipError_tPvRmT1_PNSt15iterator_traitsISY_E10value_typeET2_T3_PNSZ_IS14_E10value_typeET4_jRbjT5_S1A_jjP12ihipStream_tbEUljE_EEESV_SW_SX_S14_S18_S1A_T6_T7_T9_mT8_S1C_bDpT10_ENKUlT_T0_E_clISt17integral_constantIbLb1EES1O_IbLb0EEEEDaS1K_S1L_EUlS1K_E_NS1_11comp_targetILNS1_3genE4ELNS1_11target_archE910ELNS1_3gpuE8ELNS1_3repE0EEENS1_30default_config_static_selectorELNS0_4arch9wavefront6targetE0EEEvSY_, .Lfunc_end68-_ZN7rocprim17ROCPRIM_400000_NS6detail17trampoline_kernelINS0_13select_configILj256ELj13ELNS0_17block_load_methodE3ELS4_3ELS4_3ELNS0_20block_scan_algorithmE0ELj4294967295EEENS1_25partition_config_selectorILNS1_17partition_subalgoE3EjNS0_10empty_typeEbEEZZNS1_14partition_implILS8_3ELb0ES6_jNS0_17counting_iteratorIjlEEPS9_SE_NS0_5tupleIJPjSE_EEENSF_IJSE_SE_EEES9_SG_JZNS1_25segmented_radix_sort_implINS0_14default_configELb1EPKhPhPKlPlN2at6native12_GLOBAL__N_18offset_tEEE10hipError_tPvRmT1_PNSt15iterator_traitsISY_E10value_typeET2_T3_PNSZ_IS14_E10value_typeET4_jRbjT5_S1A_jjP12ihipStream_tbEUljE_EEESV_SW_SX_S14_S18_S1A_T6_T7_T9_mT8_S1C_bDpT10_ENKUlT_T0_E_clISt17integral_constantIbLb1EES1O_IbLb0EEEEDaS1K_S1L_EUlS1K_E_NS1_11comp_targetILNS1_3genE4ELNS1_11target_archE910ELNS1_3gpuE8ELNS1_3repE0EEENS1_30default_config_static_selectorELNS0_4arch9wavefront6targetE0EEEvSY_
                                        ; -- End function
	.set _ZN7rocprim17ROCPRIM_400000_NS6detail17trampoline_kernelINS0_13select_configILj256ELj13ELNS0_17block_load_methodE3ELS4_3ELS4_3ELNS0_20block_scan_algorithmE0ELj4294967295EEENS1_25partition_config_selectorILNS1_17partition_subalgoE3EjNS0_10empty_typeEbEEZZNS1_14partition_implILS8_3ELb0ES6_jNS0_17counting_iteratorIjlEEPS9_SE_NS0_5tupleIJPjSE_EEENSF_IJSE_SE_EEES9_SG_JZNS1_25segmented_radix_sort_implINS0_14default_configELb1EPKhPhPKlPlN2at6native12_GLOBAL__N_18offset_tEEE10hipError_tPvRmT1_PNSt15iterator_traitsISY_E10value_typeET2_T3_PNSZ_IS14_E10value_typeET4_jRbjT5_S1A_jjP12ihipStream_tbEUljE_EEESV_SW_SX_S14_S18_S1A_T6_T7_T9_mT8_S1C_bDpT10_ENKUlT_T0_E_clISt17integral_constantIbLb1EES1O_IbLb0EEEEDaS1K_S1L_EUlS1K_E_NS1_11comp_targetILNS1_3genE4ELNS1_11target_archE910ELNS1_3gpuE8ELNS1_3repE0EEENS1_30default_config_static_selectorELNS0_4arch9wavefront6targetE0EEEvSY_.num_vgpr, 0
	.set _ZN7rocprim17ROCPRIM_400000_NS6detail17trampoline_kernelINS0_13select_configILj256ELj13ELNS0_17block_load_methodE3ELS4_3ELS4_3ELNS0_20block_scan_algorithmE0ELj4294967295EEENS1_25partition_config_selectorILNS1_17partition_subalgoE3EjNS0_10empty_typeEbEEZZNS1_14partition_implILS8_3ELb0ES6_jNS0_17counting_iteratorIjlEEPS9_SE_NS0_5tupleIJPjSE_EEENSF_IJSE_SE_EEES9_SG_JZNS1_25segmented_radix_sort_implINS0_14default_configELb1EPKhPhPKlPlN2at6native12_GLOBAL__N_18offset_tEEE10hipError_tPvRmT1_PNSt15iterator_traitsISY_E10value_typeET2_T3_PNSZ_IS14_E10value_typeET4_jRbjT5_S1A_jjP12ihipStream_tbEUljE_EEESV_SW_SX_S14_S18_S1A_T6_T7_T9_mT8_S1C_bDpT10_ENKUlT_T0_E_clISt17integral_constantIbLb1EES1O_IbLb0EEEEDaS1K_S1L_EUlS1K_E_NS1_11comp_targetILNS1_3genE4ELNS1_11target_archE910ELNS1_3gpuE8ELNS1_3repE0EEENS1_30default_config_static_selectorELNS0_4arch9wavefront6targetE0EEEvSY_.num_agpr, 0
	.set _ZN7rocprim17ROCPRIM_400000_NS6detail17trampoline_kernelINS0_13select_configILj256ELj13ELNS0_17block_load_methodE3ELS4_3ELS4_3ELNS0_20block_scan_algorithmE0ELj4294967295EEENS1_25partition_config_selectorILNS1_17partition_subalgoE3EjNS0_10empty_typeEbEEZZNS1_14partition_implILS8_3ELb0ES6_jNS0_17counting_iteratorIjlEEPS9_SE_NS0_5tupleIJPjSE_EEENSF_IJSE_SE_EEES9_SG_JZNS1_25segmented_radix_sort_implINS0_14default_configELb1EPKhPhPKlPlN2at6native12_GLOBAL__N_18offset_tEEE10hipError_tPvRmT1_PNSt15iterator_traitsISY_E10value_typeET2_T3_PNSZ_IS14_E10value_typeET4_jRbjT5_S1A_jjP12ihipStream_tbEUljE_EEESV_SW_SX_S14_S18_S1A_T6_T7_T9_mT8_S1C_bDpT10_ENKUlT_T0_E_clISt17integral_constantIbLb1EES1O_IbLb0EEEEDaS1K_S1L_EUlS1K_E_NS1_11comp_targetILNS1_3genE4ELNS1_11target_archE910ELNS1_3gpuE8ELNS1_3repE0EEENS1_30default_config_static_selectorELNS0_4arch9wavefront6targetE0EEEvSY_.numbered_sgpr, 0
	.set _ZN7rocprim17ROCPRIM_400000_NS6detail17trampoline_kernelINS0_13select_configILj256ELj13ELNS0_17block_load_methodE3ELS4_3ELS4_3ELNS0_20block_scan_algorithmE0ELj4294967295EEENS1_25partition_config_selectorILNS1_17partition_subalgoE3EjNS0_10empty_typeEbEEZZNS1_14partition_implILS8_3ELb0ES6_jNS0_17counting_iteratorIjlEEPS9_SE_NS0_5tupleIJPjSE_EEENSF_IJSE_SE_EEES9_SG_JZNS1_25segmented_radix_sort_implINS0_14default_configELb1EPKhPhPKlPlN2at6native12_GLOBAL__N_18offset_tEEE10hipError_tPvRmT1_PNSt15iterator_traitsISY_E10value_typeET2_T3_PNSZ_IS14_E10value_typeET4_jRbjT5_S1A_jjP12ihipStream_tbEUljE_EEESV_SW_SX_S14_S18_S1A_T6_T7_T9_mT8_S1C_bDpT10_ENKUlT_T0_E_clISt17integral_constantIbLb1EES1O_IbLb0EEEEDaS1K_S1L_EUlS1K_E_NS1_11comp_targetILNS1_3genE4ELNS1_11target_archE910ELNS1_3gpuE8ELNS1_3repE0EEENS1_30default_config_static_selectorELNS0_4arch9wavefront6targetE0EEEvSY_.num_named_barrier, 0
	.set _ZN7rocprim17ROCPRIM_400000_NS6detail17trampoline_kernelINS0_13select_configILj256ELj13ELNS0_17block_load_methodE3ELS4_3ELS4_3ELNS0_20block_scan_algorithmE0ELj4294967295EEENS1_25partition_config_selectorILNS1_17partition_subalgoE3EjNS0_10empty_typeEbEEZZNS1_14partition_implILS8_3ELb0ES6_jNS0_17counting_iteratorIjlEEPS9_SE_NS0_5tupleIJPjSE_EEENSF_IJSE_SE_EEES9_SG_JZNS1_25segmented_radix_sort_implINS0_14default_configELb1EPKhPhPKlPlN2at6native12_GLOBAL__N_18offset_tEEE10hipError_tPvRmT1_PNSt15iterator_traitsISY_E10value_typeET2_T3_PNSZ_IS14_E10value_typeET4_jRbjT5_S1A_jjP12ihipStream_tbEUljE_EEESV_SW_SX_S14_S18_S1A_T6_T7_T9_mT8_S1C_bDpT10_ENKUlT_T0_E_clISt17integral_constantIbLb1EES1O_IbLb0EEEEDaS1K_S1L_EUlS1K_E_NS1_11comp_targetILNS1_3genE4ELNS1_11target_archE910ELNS1_3gpuE8ELNS1_3repE0EEENS1_30default_config_static_selectorELNS0_4arch9wavefront6targetE0EEEvSY_.private_seg_size, 0
	.set _ZN7rocprim17ROCPRIM_400000_NS6detail17trampoline_kernelINS0_13select_configILj256ELj13ELNS0_17block_load_methodE3ELS4_3ELS4_3ELNS0_20block_scan_algorithmE0ELj4294967295EEENS1_25partition_config_selectorILNS1_17partition_subalgoE3EjNS0_10empty_typeEbEEZZNS1_14partition_implILS8_3ELb0ES6_jNS0_17counting_iteratorIjlEEPS9_SE_NS0_5tupleIJPjSE_EEENSF_IJSE_SE_EEES9_SG_JZNS1_25segmented_radix_sort_implINS0_14default_configELb1EPKhPhPKlPlN2at6native12_GLOBAL__N_18offset_tEEE10hipError_tPvRmT1_PNSt15iterator_traitsISY_E10value_typeET2_T3_PNSZ_IS14_E10value_typeET4_jRbjT5_S1A_jjP12ihipStream_tbEUljE_EEESV_SW_SX_S14_S18_S1A_T6_T7_T9_mT8_S1C_bDpT10_ENKUlT_T0_E_clISt17integral_constantIbLb1EES1O_IbLb0EEEEDaS1K_S1L_EUlS1K_E_NS1_11comp_targetILNS1_3genE4ELNS1_11target_archE910ELNS1_3gpuE8ELNS1_3repE0EEENS1_30default_config_static_selectorELNS0_4arch9wavefront6targetE0EEEvSY_.uses_vcc, 0
	.set _ZN7rocprim17ROCPRIM_400000_NS6detail17trampoline_kernelINS0_13select_configILj256ELj13ELNS0_17block_load_methodE3ELS4_3ELS4_3ELNS0_20block_scan_algorithmE0ELj4294967295EEENS1_25partition_config_selectorILNS1_17partition_subalgoE3EjNS0_10empty_typeEbEEZZNS1_14partition_implILS8_3ELb0ES6_jNS0_17counting_iteratorIjlEEPS9_SE_NS0_5tupleIJPjSE_EEENSF_IJSE_SE_EEES9_SG_JZNS1_25segmented_radix_sort_implINS0_14default_configELb1EPKhPhPKlPlN2at6native12_GLOBAL__N_18offset_tEEE10hipError_tPvRmT1_PNSt15iterator_traitsISY_E10value_typeET2_T3_PNSZ_IS14_E10value_typeET4_jRbjT5_S1A_jjP12ihipStream_tbEUljE_EEESV_SW_SX_S14_S18_S1A_T6_T7_T9_mT8_S1C_bDpT10_ENKUlT_T0_E_clISt17integral_constantIbLb1EES1O_IbLb0EEEEDaS1K_S1L_EUlS1K_E_NS1_11comp_targetILNS1_3genE4ELNS1_11target_archE910ELNS1_3gpuE8ELNS1_3repE0EEENS1_30default_config_static_selectorELNS0_4arch9wavefront6targetE0EEEvSY_.uses_flat_scratch, 0
	.set _ZN7rocprim17ROCPRIM_400000_NS6detail17trampoline_kernelINS0_13select_configILj256ELj13ELNS0_17block_load_methodE3ELS4_3ELS4_3ELNS0_20block_scan_algorithmE0ELj4294967295EEENS1_25partition_config_selectorILNS1_17partition_subalgoE3EjNS0_10empty_typeEbEEZZNS1_14partition_implILS8_3ELb0ES6_jNS0_17counting_iteratorIjlEEPS9_SE_NS0_5tupleIJPjSE_EEENSF_IJSE_SE_EEES9_SG_JZNS1_25segmented_radix_sort_implINS0_14default_configELb1EPKhPhPKlPlN2at6native12_GLOBAL__N_18offset_tEEE10hipError_tPvRmT1_PNSt15iterator_traitsISY_E10value_typeET2_T3_PNSZ_IS14_E10value_typeET4_jRbjT5_S1A_jjP12ihipStream_tbEUljE_EEESV_SW_SX_S14_S18_S1A_T6_T7_T9_mT8_S1C_bDpT10_ENKUlT_T0_E_clISt17integral_constantIbLb1EES1O_IbLb0EEEEDaS1K_S1L_EUlS1K_E_NS1_11comp_targetILNS1_3genE4ELNS1_11target_archE910ELNS1_3gpuE8ELNS1_3repE0EEENS1_30default_config_static_selectorELNS0_4arch9wavefront6targetE0EEEvSY_.has_dyn_sized_stack, 0
	.set _ZN7rocprim17ROCPRIM_400000_NS6detail17trampoline_kernelINS0_13select_configILj256ELj13ELNS0_17block_load_methodE3ELS4_3ELS4_3ELNS0_20block_scan_algorithmE0ELj4294967295EEENS1_25partition_config_selectorILNS1_17partition_subalgoE3EjNS0_10empty_typeEbEEZZNS1_14partition_implILS8_3ELb0ES6_jNS0_17counting_iteratorIjlEEPS9_SE_NS0_5tupleIJPjSE_EEENSF_IJSE_SE_EEES9_SG_JZNS1_25segmented_radix_sort_implINS0_14default_configELb1EPKhPhPKlPlN2at6native12_GLOBAL__N_18offset_tEEE10hipError_tPvRmT1_PNSt15iterator_traitsISY_E10value_typeET2_T3_PNSZ_IS14_E10value_typeET4_jRbjT5_S1A_jjP12ihipStream_tbEUljE_EEESV_SW_SX_S14_S18_S1A_T6_T7_T9_mT8_S1C_bDpT10_ENKUlT_T0_E_clISt17integral_constantIbLb1EES1O_IbLb0EEEEDaS1K_S1L_EUlS1K_E_NS1_11comp_targetILNS1_3genE4ELNS1_11target_archE910ELNS1_3gpuE8ELNS1_3repE0EEENS1_30default_config_static_selectorELNS0_4arch9wavefront6targetE0EEEvSY_.has_recursion, 0
	.set _ZN7rocprim17ROCPRIM_400000_NS6detail17trampoline_kernelINS0_13select_configILj256ELj13ELNS0_17block_load_methodE3ELS4_3ELS4_3ELNS0_20block_scan_algorithmE0ELj4294967295EEENS1_25partition_config_selectorILNS1_17partition_subalgoE3EjNS0_10empty_typeEbEEZZNS1_14partition_implILS8_3ELb0ES6_jNS0_17counting_iteratorIjlEEPS9_SE_NS0_5tupleIJPjSE_EEENSF_IJSE_SE_EEES9_SG_JZNS1_25segmented_radix_sort_implINS0_14default_configELb1EPKhPhPKlPlN2at6native12_GLOBAL__N_18offset_tEEE10hipError_tPvRmT1_PNSt15iterator_traitsISY_E10value_typeET2_T3_PNSZ_IS14_E10value_typeET4_jRbjT5_S1A_jjP12ihipStream_tbEUljE_EEESV_SW_SX_S14_S18_S1A_T6_T7_T9_mT8_S1C_bDpT10_ENKUlT_T0_E_clISt17integral_constantIbLb1EES1O_IbLb0EEEEDaS1K_S1L_EUlS1K_E_NS1_11comp_targetILNS1_3genE4ELNS1_11target_archE910ELNS1_3gpuE8ELNS1_3repE0EEENS1_30default_config_static_selectorELNS0_4arch9wavefront6targetE0EEEvSY_.has_indirect_call, 0
	.section	.AMDGPU.csdata,"",@progbits
; Kernel info:
; codeLenInByte = 0
; TotalNumSgprs: 0
; NumVgprs: 0
; ScratchSize: 0
; MemoryBound: 0
; FloatMode: 240
; IeeeMode: 1
; LDSByteSize: 0 bytes/workgroup (compile time only)
; SGPRBlocks: 0
; VGPRBlocks: 0
; NumSGPRsForWavesPerEU: 1
; NumVGPRsForWavesPerEU: 1
; Occupancy: 16
; WaveLimiterHint : 0
; COMPUTE_PGM_RSRC2:SCRATCH_EN: 0
; COMPUTE_PGM_RSRC2:USER_SGPR: 6
; COMPUTE_PGM_RSRC2:TRAP_HANDLER: 0
; COMPUTE_PGM_RSRC2:TGID_X_EN: 1
; COMPUTE_PGM_RSRC2:TGID_Y_EN: 0
; COMPUTE_PGM_RSRC2:TGID_Z_EN: 0
; COMPUTE_PGM_RSRC2:TIDIG_COMP_CNT: 0
	.section	.text._ZN7rocprim17ROCPRIM_400000_NS6detail17trampoline_kernelINS0_13select_configILj256ELj13ELNS0_17block_load_methodE3ELS4_3ELS4_3ELNS0_20block_scan_algorithmE0ELj4294967295EEENS1_25partition_config_selectorILNS1_17partition_subalgoE3EjNS0_10empty_typeEbEEZZNS1_14partition_implILS8_3ELb0ES6_jNS0_17counting_iteratorIjlEEPS9_SE_NS0_5tupleIJPjSE_EEENSF_IJSE_SE_EEES9_SG_JZNS1_25segmented_radix_sort_implINS0_14default_configELb1EPKhPhPKlPlN2at6native12_GLOBAL__N_18offset_tEEE10hipError_tPvRmT1_PNSt15iterator_traitsISY_E10value_typeET2_T3_PNSZ_IS14_E10value_typeET4_jRbjT5_S1A_jjP12ihipStream_tbEUljE_EEESV_SW_SX_S14_S18_S1A_T6_T7_T9_mT8_S1C_bDpT10_ENKUlT_T0_E_clISt17integral_constantIbLb1EES1O_IbLb0EEEEDaS1K_S1L_EUlS1K_E_NS1_11comp_targetILNS1_3genE3ELNS1_11target_archE908ELNS1_3gpuE7ELNS1_3repE0EEENS1_30default_config_static_selectorELNS0_4arch9wavefront6targetE0EEEvSY_,"axG",@progbits,_ZN7rocprim17ROCPRIM_400000_NS6detail17trampoline_kernelINS0_13select_configILj256ELj13ELNS0_17block_load_methodE3ELS4_3ELS4_3ELNS0_20block_scan_algorithmE0ELj4294967295EEENS1_25partition_config_selectorILNS1_17partition_subalgoE3EjNS0_10empty_typeEbEEZZNS1_14partition_implILS8_3ELb0ES6_jNS0_17counting_iteratorIjlEEPS9_SE_NS0_5tupleIJPjSE_EEENSF_IJSE_SE_EEES9_SG_JZNS1_25segmented_radix_sort_implINS0_14default_configELb1EPKhPhPKlPlN2at6native12_GLOBAL__N_18offset_tEEE10hipError_tPvRmT1_PNSt15iterator_traitsISY_E10value_typeET2_T3_PNSZ_IS14_E10value_typeET4_jRbjT5_S1A_jjP12ihipStream_tbEUljE_EEESV_SW_SX_S14_S18_S1A_T6_T7_T9_mT8_S1C_bDpT10_ENKUlT_T0_E_clISt17integral_constantIbLb1EES1O_IbLb0EEEEDaS1K_S1L_EUlS1K_E_NS1_11comp_targetILNS1_3genE3ELNS1_11target_archE908ELNS1_3gpuE7ELNS1_3repE0EEENS1_30default_config_static_selectorELNS0_4arch9wavefront6targetE0EEEvSY_,comdat
	.globl	_ZN7rocprim17ROCPRIM_400000_NS6detail17trampoline_kernelINS0_13select_configILj256ELj13ELNS0_17block_load_methodE3ELS4_3ELS4_3ELNS0_20block_scan_algorithmE0ELj4294967295EEENS1_25partition_config_selectorILNS1_17partition_subalgoE3EjNS0_10empty_typeEbEEZZNS1_14partition_implILS8_3ELb0ES6_jNS0_17counting_iteratorIjlEEPS9_SE_NS0_5tupleIJPjSE_EEENSF_IJSE_SE_EEES9_SG_JZNS1_25segmented_radix_sort_implINS0_14default_configELb1EPKhPhPKlPlN2at6native12_GLOBAL__N_18offset_tEEE10hipError_tPvRmT1_PNSt15iterator_traitsISY_E10value_typeET2_T3_PNSZ_IS14_E10value_typeET4_jRbjT5_S1A_jjP12ihipStream_tbEUljE_EEESV_SW_SX_S14_S18_S1A_T6_T7_T9_mT8_S1C_bDpT10_ENKUlT_T0_E_clISt17integral_constantIbLb1EES1O_IbLb0EEEEDaS1K_S1L_EUlS1K_E_NS1_11comp_targetILNS1_3genE3ELNS1_11target_archE908ELNS1_3gpuE7ELNS1_3repE0EEENS1_30default_config_static_selectorELNS0_4arch9wavefront6targetE0EEEvSY_ ; -- Begin function _ZN7rocprim17ROCPRIM_400000_NS6detail17trampoline_kernelINS0_13select_configILj256ELj13ELNS0_17block_load_methodE3ELS4_3ELS4_3ELNS0_20block_scan_algorithmE0ELj4294967295EEENS1_25partition_config_selectorILNS1_17partition_subalgoE3EjNS0_10empty_typeEbEEZZNS1_14partition_implILS8_3ELb0ES6_jNS0_17counting_iteratorIjlEEPS9_SE_NS0_5tupleIJPjSE_EEENSF_IJSE_SE_EEES9_SG_JZNS1_25segmented_radix_sort_implINS0_14default_configELb1EPKhPhPKlPlN2at6native12_GLOBAL__N_18offset_tEEE10hipError_tPvRmT1_PNSt15iterator_traitsISY_E10value_typeET2_T3_PNSZ_IS14_E10value_typeET4_jRbjT5_S1A_jjP12ihipStream_tbEUljE_EEESV_SW_SX_S14_S18_S1A_T6_T7_T9_mT8_S1C_bDpT10_ENKUlT_T0_E_clISt17integral_constantIbLb1EES1O_IbLb0EEEEDaS1K_S1L_EUlS1K_E_NS1_11comp_targetILNS1_3genE3ELNS1_11target_archE908ELNS1_3gpuE7ELNS1_3repE0EEENS1_30default_config_static_selectorELNS0_4arch9wavefront6targetE0EEEvSY_
	.p2align	8
	.type	_ZN7rocprim17ROCPRIM_400000_NS6detail17trampoline_kernelINS0_13select_configILj256ELj13ELNS0_17block_load_methodE3ELS4_3ELS4_3ELNS0_20block_scan_algorithmE0ELj4294967295EEENS1_25partition_config_selectorILNS1_17partition_subalgoE3EjNS0_10empty_typeEbEEZZNS1_14partition_implILS8_3ELb0ES6_jNS0_17counting_iteratorIjlEEPS9_SE_NS0_5tupleIJPjSE_EEENSF_IJSE_SE_EEES9_SG_JZNS1_25segmented_radix_sort_implINS0_14default_configELb1EPKhPhPKlPlN2at6native12_GLOBAL__N_18offset_tEEE10hipError_tPvRmT1_PNSt15iterator_traitsISY_E10value_typeET2_T3_PNSZ_IS14_E10value_typeET4_jRbjT5_S1A_jjP12ihipStream_tbEUljE_EEESV_SW_SX_S14_S18_S1A_T6_T7_T9_mT8_S1C_bDpT10_ENKUlT_T0_E_clISt17integral_constantIbLb1EES1O_IbLb0EEEEDaS1K_S1L_EUlS1K_E_NS1_11comp_targetILNS1_3genE3ELNS1_11target_archE908ELNS1_3gpuE7ELNS1_3repE0EEENS1_30default_config_static_selectorELNS0_4arch9wavefront6targetE0EEEvSY_,@function
_ZN7rocprim17ROCPRIM_400000_NS6detail17trampoline_kernelINS0_13select_configILj256ELj13ELNS0_17block_load_methodE3ELS4_3ELS4_3ELNS0_20block_scan_algorithmE0ELj4294967295EEENS1_25partition_config_selectorILNS1_17partition_subalgoE3EjNS0_10empty_typeEbEEZZNS1_14partition_implILS8_3ELb0ES6_jNS0_17counting_iteratorIjlEEPS9_SE_NS0_5tupleIJPjSE_EEENSF_IJSE_SE_EEES9_SG_JZNS1_25segmented_radix_sort_implINS0_14default_configELb1EPKhPhPKlPlN2at6native12_GLOBAL__N_18offset_tEEE10hipError_tPvRmT1_PNSt15iterator_traitsISY_E10value_typeET2_T3_PNSZ_IS14_E10value_typeET4_jRbjT5_S1A_jjP12ihipStream_tbEUljE_EEESV_SW_SX_S14_S18_S1A_T6_T7_T9_mT8_S1C_bDpT10_ENKUlT_T0_E_clISt17integral_constantIbLb1EES1O_IbLb0EEEEDaS1K_S1L_EUlS1K_E_NS1_11comp_targetILNS1_3genE3ELNS1_11target_archE908ELNS1_3gpuE7ELNS1_3repE0EEENS1_30default_config_static_selectorELNS0_4arch9wavefront6targetE0EEEvSY_: ; @_ZN7rocprim17ROCPRIM_400000_NS6detail17trampoline_kernelINS0_13select_configILj256ELj13ELNS0_17block_load_methodE3ELS4_3ELS4_3ELNS0_20block_scan_algorithmE0ELj4294967295EEENS1_25partition_config_selectorILNS1_17partition_subalgoE3EjNS0_10empty_typeEbEEZZNS1_14partition_implILS8_3ELb0ES6_jNS0_17counting_iteratorIjlEEPS9_SE_NS0_5tupleIJPjSE_EEENSF_IJSE_SE_EEES9_SG_JZNS1_25segmented_radix_sort_implINS0_14default_configELb1EPKhPhPKlPlN2at6native12_GLOBAL__N_18offset_tEEE10hipError_tPvRmT1_PNSt15iterator_traitsISY_E10value_typeET2_T3_PNSZ_IS14_E10value_typeET4_jRbjT5_S1A_jjP12ihipStream_tbEUljE_EEESV_SW_SX_S14_S18_S1A_T6_T7_T9_mT8_S1C_bDpT10_ENKUlT_T0_E_clISt17integral_constantIbLb1EES1O_IbLb0EEEEDaS1K_S1L_EUlS1K_E_NS1_11comp_targetILNS1_3genE3ELNS1_11target_archE908ELNS1_3gpuE7ELNS1_3repE0EEENS1_30default_config_static_selectorELNS0_4arch9wavefront6targetE0EEEvSY_
; %bb.0:
	.section	.rodata,"a",@progbits
	.p2align	6, 0x0
	.amdhsa_kernel _ZN7rocprim17ROCPRIM_400000_NS6detail17trampoline_kernelINS0_13select_configILj256ELj13ELNS0_17block_load_methodE3ELS4_3ELS4_3ELNS0_20block_scan_algorithmE0ELj4294967295EEENS1_25partition_config_selectorILNS1_17partition_subalgoE3EjNS0_10empty_typeEbEEZZNS1_14partition_implILS8_3ELb0ES6_jNS0_17counting_iteratorIjlEEPS9_SE_NS0_5tupleIJPjSE_EEENSF_IJSE_SE_EEES9_SG_JZNS1_25segmented_radix_sort_implINS0_14default_configELb1EPKhPhPKlPlN2at6native12_GLOBAL__N_18offset_tEEE10hipError_tPvRmT1_PNSt15iterator_traitsISY_E10value_typeET2_T3_PNSZ_IS14_E10value_typeET4_jRbjT5_S1A_jjP12ihipStream_tbEUljE_EEESV_SW_SX_S14_S18_S1A_T6_T7_T9_mT8_S1C_bDpT10_ENKUlT_T0_E_clISt17integral_constantIbLb1EES1O_IbLb0EEEEDaS1K_S1L_EUlS1K_E_NS1_11comp_targetILNS1_3genE3ELNS1_11target_archE908ELNS1_3gpuE7ELNS1_3repE0EEENS1_30default_config_static_selectorELNS0_4arch9wavefront6targetE0EEEvSY_
		.amdhsa_group_segment_fixed_size 0
		.amdhsa_private_segment_fixed_size 0
		.amdhsa_kernarg_size 144
		.amdhsa_user_sgpr_count 6
		.amdhsa_user_sgpr_private_segment_buffer 1
		.amdhsa_user_sgpr_dispatch_ptr 0
		.amdhsa_user_sgpr_queue_ptr 0
		.amdhsa_user_sgpr_kernarg_segment_ptr 1
		.amdhsa_user_sgpr_dispatch_id 0
		.amdhsa_user_sgpr_flat_scratch_init 0
		.amdhsa_user_sgpr_private_segment_size 0
		.amdhsa_wavefront_size32 1
		.amdhsa_uses_dynamic_stack 0
		.amdhsa_system_sgpr_private_segment_wavefront_offset 0
		.amdhsa_system_sgpr_workgroup_id_x 1
		.amdhsa_system_sgpr_workgroup_id_y 0
		.amdhsa_system_sgpr_workgroup_id_z 0
		.amdhsa_system_sgpr_workgroup_info 0
		.amdhsa_system_vgpr_workitem_id 0
		.amdhsa_next_free_vgpr 1
		.amdhsa_next_free_sgpr 1
		.amdhsa_reserve_vcc 0
		.amdhsa_reserve_flat_scratch 0
		.amdhsa_float_round_mode_32 0
		.amdhsa_float_round_mode_16_64 0
		.amdhsa_float_denorm_mode_32 3
		.amdhsa_float_denorm_mode_16_64 3
		.amdhsa_dx10_clamp 1
		.amdhsa_ieee_mode 1
		.amdhsa_fp16_overflow 0
		.amdhsa_workgroup_processor_mode 1
		.amdhsa_memory_ordered 1
		.amdhsa_forward_progress 1
		.amdhsa_shared_vgpr_count 0
		.amdhsa_exception_fp_ieee_invalid_op 0
		.amdhsa_exception_fp_denorm_src 0
		.amdhsa_exception_fp_ieee_div_zero 0
		.amdhsa_exception_fp_ieee_overflow 0
		.amdhsa_exception_fp_ieee_underflow 0
		.amdhsa_exception_fp_ieee_inexact 0
		.amdhsa_exception_int_div_zero 0
	.end_amdhsa_kernel
	.section	.text._ZN7rocprim17ROCPRIM_400000_NS6detail17trampoline_kernelINS0_13select_configILj256ELj13ELNS0_17block_load_methodE3ELS4_3ELS4_3ELNS0_20block_scan_algorithmE0ELj4294967295EEENS1_25partition_config_selectorILNS1_17partition_subalgoE3EjNS0_10empty_typeEbEEZZNS1_14partition_implILS8_3ELb0ES6_jNS0_17counting_iteratorIjlEEPS9_SE_NS0_5tupleIJPjSE_EEENSF_IJSE_SE_EEES9_SG_JZNS1_25segmented_radix_sort_implINS0_14default_configELb1EPKhPhPKlPlN2at6native12_GLOBAL__N_18offset_tEEE10hipError_tPvRmT1_PNSt15iterator_traitsISY_E10value_typeET2_T3_PNSZ_IS14_E10value_typeET4_jRbjT5_S1A_jjP12ihipStream_tbEUljE_EEESV_SW_SX_S14_S18_S1A_T6_T7_T9_mT8_S1C_bDpT10_ENKUlT_T0_E_clISt17integral_constantIbLb1EES1O_IbLb0EEEEDaS1K_S1L_EUlS1K_E_NS1_11comp_targetILNS1_3genE3ELNS1_11target_archE908ELNS1_3gpuE7ELNS1_3repE0EEENS1_30default_config_static_selectorELNS0_4arch9wavefront6targetE0EEEvSY_,"axG",@progbits,_ZN7rocprim17ROCPRIM_400000_NS6detail17trampoline_kernelINS0_13select_configILj256ELj13ELNS0_17block_load_methodE3ELS4_3ELS4_3ELNS0_20block_scan_algorithmE0ELj4294967295EEENS1_25partition_config_selectorILNS1_17partition_subalgoE3EjNS0_10empty_typeEbEEZZNS1_14partition_implILS8_3ELb0ES6_jNS0_17counting_iteratorIjlEEPS9_SE_NS0_5tupleIJPjSE_EEENSF_IJSE_SE_EEES9_SG_JZNS1_25segmented_radix_sort_implINS0_14default_configELb1EPKhPhPKlPlN2at6native12_GLOBAL__N_18offset_tEEE10hipError_tPvRmT1_PNSt15iterator_traitsISY_E10value_typeET2_T3_PNSZ_IS14_E10value_typeET4_jRbjT5_S1A_jjP12ihipStream_tbEUljE_EEESV_SW_SX_S14_S18_S1A_T6_T7_T9_mT8_S1C_bDpT10_ENKUlT_T0_E_clISt17integral_constantIbLb1EES1O_IbLb0EEEEDaS1K_S1L_EUlS1K_E_NS1_11comp_targetILNS1_3genE3ELNS1_11target_archE908ELNS1_3gpuE7ELNS1_3repE0EEENS1_30default_config_static_selectorELNS0_4arch9wavefront6targetE0EEEvSY_,comdat
.Lfunc_end69:
	.size	_ZN7rocprim17ROCPRIM_400000_NS6detail17trampoline_kernelINS0_13select_configILj256ELj13ELNS0_17block_load_methodE3ELS4_3ELS4_3ELNS0_20block_scan_algorithmE0ELj4294967295EEENS1_25partition_config_selectorILNS1_17partition_subalgoE3EjNS0_10empty_typeEbEEZZNS1_14partition_implILS8_3ELb0ES6_jNS0_17counting_iteratorIjlEEPS9_SE_NS0_5tupleIJPjSE_EEENSF_IJSE_SE_EEES9_SG_JZNS1_25segmented_radix_sort_implINS0_14default_configELb1EPKhPhPKlPlN2at6native12_GLOBAL__N_18offset_tEEE10hipError_tPvRmT1_PNSt15iterator_traitsISY_E10value_typeET2_T3_PNSZ_IS14_E10value_typeET4_jRbjT5_S1A_jjP12ihipStream_tbEUljE_EEESV_SW_SX_S14_S18_S1A_T6_T7_T9_mT8_S1C_bDpT10_ENKUlT_T0_E_clISt17integral_constantIbLb1EES1O_IbLb0EEEEDaS1K_S1L_EUlS1K_E_NS1_11comp_targetILNS1_3genE3ELNS1_11target_archE908ELNS1_3gpuE7ELNS1_3repE0EEENS1_30default_config_static_selectorELNS0_4arch9wavefront6targetE0EEEvSY_, .Lfunc_end69-_ZN7rocprim17ROCPRIM_400000_NS6detail17trampoline_kernelINS0_13select_configILj256ELj13ELNS0_17block_load_methodE3ELS4_3ELS4_3ELNS0_20block_scan_algorithmE0ELj4294967295EEENS1_25partition_config_selectorILNS1_17partition_subalgoE3EjNS0_10empty_typeEbEEZZNS1_14partition_implILS8_3ELb0ES6_jNS0_17counting_iteratorIjlEEPS9_SE_NS0_5tupleIJPjSE_EEENSF_IJSE_SE_EEES9_SG_JZNS1_25segmented_radix_sort_implINS0_14default_configELb1EPKhPhPKlPlN2at6native12_GLOBAL__N_18offset_tEEE10hipError_tPvRmT1_PNSt15iterator_traitsISY_E10value_typeET2_T3_PNSZ_IS14_E10value_typeET4_jRbjT5_S1A_jjP12ihipStream_tbEUljE_EEESV_SW_SX_S14_S18_S1A_T6_T7_T9_mT8_S1C_bDpT10_ENKUlT_T0_E_clISt17integral_constantIbLb1EES1O_IbLb0EEEEDaS1K_S1L_EUlS1K_E_NS1_11comp_targetILNS1_3genE3ELNS1_11target_archE908ELNS1_3gpuE7ELNS1_3repE0EEENS1_30default_config_static_selectorELNS0_4arch9wavefront6targetE0EEEvSY_
                                        ; -- End function
	.set _ZN7rocprim17ROCPRIM_400000_NS6detail17trampoline_kernelINS0_13select_configILj256ELj13ELNS0_17block_load_methodE3ELS4_3ELS4_3ELNS0_20block_scan_algorithmE0ELj4294967295EEENS1_25partition_config_selectorILNS1_17partition_subalgoE3EjNS0_10empty_typeEbEEZZNS1_14partition_implILS8_3ELb0ES6_jNS0_17counting_iteratorIjlEEPS9_SE_NS0_5tupleIJPjSE_EEENSF_IJSE_SE_EEES9_SG_JZNS1_25segmented_radix_sort_implINS0_14default_configELb1EPKhPhPKlPlN2at6native12_GLOBAL__N_18offset_tEEE10hipError_tPvRmT1_PNSt15iterator_traitsISY_E10value_typeET2_T3_PNSZ_IS14_E10value_typeET4_jRbjT5_S1A_jjP12ihipStream_tbEUljE_EEESV_SW_SX_S14_S18_S1A_T6_T7_T9_mT8_S1C_bDpT10_ENKUlT_T0_E_clISt17integral_constantIbLb1EES1O_IbLb0EEEEDaS1K_S1L_EUlS1K_E_NS1_11comp_targetILNS1_3genE3ELNS1_11target_archE908ELNS1_3gpuE7ELNS1_3repE0EEENS1_30default_config_static_selectorELNS0_4arch9wavefront6targetE0EEEvSY_.num_vgpr, 0
	.set _ZN7rocprim17ROCPRIM_400000_NS6detail17trampoline_kernelINS0_13select_configILj256ELj13ELNS0_17block_load_methodE3ELS4_3ELS4_3ELNS0_20block_scan_algorithmE0ELj4294967295EEENS1_25partition_config_selectorILNS1_17partition_subalgoE3EjNS0_10empty_typeEbEEZZNS1_14partition_implILS8_3ELb0ES6_jNS0_17counting_iteratorIjlEEPS9_SE_NS0_5tupleIJPjSE_EEENSF_IJSE_SE_EEES9_SG_JZNS1_25segmented_radix_sort_implINS0_14default_configELb1EPKhPhPKlPlN2at6native12_GLOBAL__N_18offset_tEEE10hipError_tPvRmT1_PNSt15iterator_traitsISY_E10value_typeET2_T3_PNSZ_IS14_E10value_typeET4_jRbjT5_S1A_jjP12ihipStream_tbEUljE_EEESV_SW_SX_S14_S18_S1A_T6_T7_T9_mT8_S1C_bDpT10_ENKUlT_T0_E_clISt17integral_constantIbLb1EES1O_IbLb0EEEEDaS1K_S1L_EUlS1K_E_NS1_11comp_targetILNS1_3genE3ELNS1_11target_archE908ELNS1_3gpuE7ELNS1_3repE0EEENS1_30default_config_static_selectorELNS0_4arch9wavefront6targetE0EEEvSY_.num_agpr, 0
	.set _ZN7rocprim17ROCPRIM_400000_NS6detail17trampoline_kernelINS0_13select_configILj256ELj13ELNS0_17block_load_methodE3ELS4_3ELS4_3ELNS0_20block_scan_algorithmE0ELj4294967295EEENS1_25partition_config_selectorILNS1_17partition_subalgoE3EjNS0_10empty_typeEbEEZZNS1_14partition_implILS8_3ELb0ES6_jNS0_17counting_iteratorIjlEEPS9_SE_NS0_5tupleIJPjSE_EEENSF_IJSE_SE_EEES9_SG_JZNS1_25segmented_radix_sort_implINS0_14default_configELb1EPKhPhPKlPlN2at6native12_GLOBAL__N_18offset_tEEE10hipError_tPvRmT1_PNSt15iterator_traitsISY_E10value_typeET2_T3_PNSZ_IS14_E10value_typeET4_jRbjT5_S1A_jjP12ihipStream_tbEUljE_EEESV_SW_SX_S14_S18_S1A_T6_T7_T9_mT8_S1C_bDpT10_ENKUlT_T0_E_clISt17integral_constantIbLb1EES1O_IbLb0EEEEDaS1K_S1L_EUlS1K_E_NS1_11comp_targetILNS1_3genE3ELNS1_11target_archE908ELNS1_3gpuE7ELNS1_3repE0EEENS1_30default_config_static_selectorELNS0_4arch9wavefront6targetE0EEEvSY_.numbered_sgpr, 0
	.set _ZN7rocprim17ROCPRIM_400000_NS6detail17trampoline_kernelINS0_13select_configILj256ELj13ELNS0_17block_load_methodE3ELS4_3ELS4_3ELNS0_20block_scan_algorithmE0ELj4294967295EEENS1_25partition_config_selectorILNS1_17partition_subalgoE3EjNS0_10empty_typeEbEEZZNS1_14partition_implILS8_3ELb0ES6_jNS0_17counting_iteratorIjlEEPS9_SE_NS0_5tupleIJPjSE_EEENSF_IJSE_SE_EEES9_SG_JZNS1_25segmented_radix_sort_implINS0_14default_configELb1EPKhPhPKlPlN2at6native12_GLOBAL__N_18offset_tEEE10hipError_tPvRmT1_PNSt15iterator_traitsISY_E10value_typeET2_T3_PNSZ_IS14_E10value_typeET4_jRbjT5_S1A_jjP12ihipStream_tbEUljE_EEESV_SW_SX_S14_S18_S1A_T6_T7_T9_mT8_S1C_bDpT10_ENKUlT_T0_E_clISt17integral_constantIbLb1EES1O_IbLb0EEEEDaS1K_S1L_EUlS1K_E_NS1_11comp_targetILNS1_3genE3ELNS1_11target_archE908ELNS1_3gpuE7ELNS1_3repE0EEENS1_30default_config_static_selectorELNS0_4arch9wavefront6targetE0EEEvSY_.num_named_barrier, 0
	.set _ZN7rocprim17ROCPRIM_400000_NS6detail17trampoline_kernelINS0_13select_configILj256ELj13ELNS0_17block_load_methodE3ELS4_3ELS4_3ELNS0_20block_scan_algorithmE0ELj4294967295EEENS1_25partition_config_selectorILNS1_17partition_subalgoE3EjNS0_10empty_typeEbEEZZNS1_14partition_implILS8_3ELb0ES6_jNS0_17counting_iteratorIjlEEPS9_SE_NS0_5tupleIJPjSE_EEENSF_IJSE_SE_EEES9_SG_JZNS1_25segmented_radix_sort_implINS0_14default_configELb1EPKhPhPKlPlN2at6native12_GLOBAL__N_18offset_tEEE10hipError_tPvRmT1_PNSt15iterator_traitsISY_E10value_typeET2_T3_PNSZ_IS14_E10value_typeET4_jRbjT5_S1A_jjP12ihipStream_tbEUljE_EEESV_SW_SX_S14_S18_S1A_T6_T7_T9_mT8_S1C_bDpT10_ENKUlT_T0_E_clISt17integral_constantIbLb1EES1O_IbLb0EEEEDaS1K_S1L_EUlS1K_E_NS1_11comp_targetILNS1_3genE3ELNS1_11target_archE908ELNS1_3gpuE7ELNS1_3repE0EEENS1_30default_config_static_selectorELNS0_4arch9wavefront6targetE0EEEvSY_.private_seg_size, 0
	.set _ZN7rocprim17ROCPRIM_400000_NS6detail17trampoline_kernelINS0_13select_configILj256ELj13ELNS0_17block_load_methodE3ELS4_3ELS4_3ELNS0_20block_scan_algorithmE0ELj4294967295EEENS1_25partition_config_selectorILNS1_17partition_subalgoE3EjNS0_10empty_typeEbEEZZNS1_14partition_implILS8_3ELb0ES6_jNS0_17counting_iteratorIjlEEPS9_SE_NS0_5tupleIJPjSE_EEENSF_IJSE_SE_EEES9_SG_JZNS1_25segmented_radix_sort_implINS0_14default_configELb1EPKhPhPKlPlN2at6native12_GLOBAL__N_18offset_tEEE10hipError_tPvRmT1_PNSt15iterator_traitsISY_E10value_typeET2_T3_PNSZ_IS14_E10value_typeET4_jRbjT5_S1A_jjP12ihipStream_tbEUljE_EEESV_SW_SX_S14_S18_S1A_T6_T7_T9_mT8_S1C_bDpT10_ENKUlT_T0_E_clISt17integral_constantIbLb1EES1O_IbLb0EEEEDaS1K_S1L_EUlS1K_E_NS1_11comp_targetILNS1_3genE3ELNS1_11target_archE908ELNS1_3gpuE7ELNS1_3repE0EEENS1_30default_config_static_selectorELNS0_4arch9wavefront6targetE0EEEvSY_.uses_vcc, 0
	.set _ZN7rocprim17ROCPRIM_400000_NS6detail17trampoline_kernelINS0_13select_configILj256ELj13ELNS0_17block_load_methodE3ELS4_3ELS4_3ELNS0_20block_scan_algorithmE0ELj4294967295EEENS1_25partition_config_selectorILNS1_17partition_subalgoE3EjNS0_10empty_typeEbEEZZNS1_14partition_implILS8_3ELb0ES6_jNS0_17counting_iteratorIjlEEPS9_SE_NS0_5tupleIJPjSE_EEENSF_IJSE_SE_EEES9_SG_JZNS1_25segmented_radix_sort_implINS0_14default_configELb1EPKhPhPKlPlN2at6native12_GLOBAL__N_18offset_tEEE10hipError_tPvRmT1_PNSt15iterator_traitsISY_E10value_typeET2_T3_PNSZ_IS14_E10value_typeET4_jRbjT5_S1A_jjP12ihipStream_tbEUljE_EEESV_SW_SX_S14_S18_S1A_T6_T7_T9_mT8_S1C_bDpT10_ENKUlT_T0_E_clISt17integral_constantIbLb1EES1O_IbLb0EEEEDaS1K_S1L_EUlS1K_E_NS1_11comp_targetILNS1_3genE3ELNS1_11target_archE908ELNS1_3gpuE7ELNS1_3repE0EEENS1_30default_config_static_selectorELNS0_4arch9wavefront6targetE0EEEvSY_.uses_flat_scratch, 0
	.set _ZN7rocprim17ROCPRIM_400000_NS6detail17trampoline_kernelINS0_13select_configILj256ELj13ELNS0_17block_load_methodE3ELS4_3ELS4_3ELNS0_20block_scan_algorithmE0ELj4294967295EEENS1_25partition_config_selectorILNS1_17partition_subalgoE3EjNS0_10empty_typeEbEEZZNS1_14partition_implILS8_3ELb0ES6_jNS0_17counting_iteratorIjlEEPS9_SE_NS0_5tupleIJPjSE_EEENSF_IJSE_SE_EEES9_SG_JZNS1_25segmented_radix_sort_implINS0_14default_configELb1EPKhPhPKlPlN2at6native12_GLOBAL__N_18offset_tEEE10hipError_tPvRmT1_PNSt15iterator_traitsISY_E10value_typeET2_T3_PNSZ_IS14_E10value_typeET4_jRbjT5_S1A_jjP12ihipStream_tbEUljE_EEESV_SW_SX_S14_S18_S1A_T6_T7_T9_mT8_S1C_bDpT10_ENKUlT_T0_E_clISt17integral_constantIbLb1EES1O_IbLb0EEEEDaS1K_S1L_EUlS1K_E_NS1_11comp_targetILNS1_3genE3ELNS1_11target_archE908ELNS1_3gpuE7ELNS1_3repE0EEENS1_30default_config_static_selectorELNS0_4arch9wavefront6targetE0EEEvSY_.has_dyn_sized_stack, 0
	.set _ZN7rocprim17ROCPRIM_400000_NS6detail17trampoline_kernelINS0_13select_configILj256ELj13ELNS0_17block_load_methodE3ELS4_3ELS4_3ELNS0_20block_scan_algorithmE0ELj4294967295EEENS1_25partition_config_selectorILNS1_17partition_subalgoE3EjNS0_10empty_typeEbEEZZNS1_14partition_implILS8_3ELb0ES6_jNS0_17counting_iteratorIjlEEPS9_SE_NS0_5tupleIJPjSE_EEENSF_IJSE_SE_EEES9_SG_JZNS1_25segmented_radix_sort_implINS0_14default_configELb1EPKhPhPKlPlN2at6native12_GLOBAL__N_18offset_tEEE10hipError_tPvRmT1_PNSt15iterator_traitsISY_E10value_typeET2_T3_PNSZ_IS14_E10value_typeET4_jRbjT5_S1A_jjP12ihipStream_tbEUljE_EEESV_SW_SX_S14_S18_S1A_T6_T7_T9_mT8_S1C_bDpT10_ENKUlT_T0_E_clISt17integral_constantIbLb1EES1O_IbLb0EEEEDaS1K_S1L_EUlS1K_E_NS1_11comp_targetILNS1_3genE3ELNS1_11target_archE908ELNS1_3gpuE7ELNS1_3repE0EEENS1_30default_config_static_selectorELNS0_4arch9wavefront6targetE0EEEvSY_.has_recursion, 0
	.set _ZN7rocprim17ROCPRIM_400000_NS6detail17trampoline_kernelINS0_13select_configILj256ELj13ELNS0_17block_load_methodE3ELS4_3ELS4_3ELNS0_20block_scan_algorithmE0ELj4294967295EEENS1_25partition_config_selectorILNS1_17partition_subalgoE3EjNS0_10empty_typeEbEEZZNS1_14partition_implILS8_3ELb0ES6_jNS0_17counting_iteratorIjlEEPS9_SE_NS0_5tupleIJPjSE_EEENSF_IJSE_SE_EEES9_SG_JZNS1_25segmented_radix_sort_implINS0_14default_configELb1EPKhPhPKlPlN2at6native12_GLOBAL__N_18offset_tEEE10hipError_tPvRmT1_PNSt15iterator_traitsISY_E10value_typeET2_T3_PNSZ_IS14_E10value_typeET4_jRbjT5_S1A_jjP12ihipStream_tbEUljE_EEESV_SW_SX_S14_S18_S1A_T6_T7_T9_mT8_S1C_bDpT10_ENKUlT_T0_E_clISt17integral_constantIbLb1EES1O_IbLb0EEEEDaS1K_S1L_EUlS1K_E_NS1_11comp_targetILNS1_3genE3ELNS1_11target_archE908ELNS1_3gpuE7ELNS1_3repE0EEENS1_30default_config_static_selectorELNS0_4arch9wavefront6targetE0EEEvSY_.has_indirect_call, 0
	.section	.AMDGPU.csdata,"",@progbits
; Kernel info:
; codeLenInByte = 0
; TotalNumSgprs: 0
; NumVgprs: 0
; ScratchSize: 0
; MemoryBound: 0
; FloatMode: 240
; IeeeMode: 1
; LDSByteSize: 0 bytes/workgroup (compile time only)
; SGPRBlocks: 0
; VGPRBlocks: 0
; NumSGPRsForWavesPerEU: 1
; NumVGPRsForWavesPerEU: 1
; Occupancy: 16
; WaveLimiterHint : 0
; COMPUTE_PGM_RSRC2:SCRATCH_EN: 0
; COMPUTE_PGM_RSRC2:USER_SGPR: 6
; COMPUTE_PGM_RSRC2:TRAP_HANDLER: 0
; COMPUTE_PGM_RSRC2:TGID_X_EN: 1
; COMPUTE_PGM_RSRC2:TGID_Y_EN: 0
; COMPUTE_PGM_RSRC2:TGID_Z_EN: 0
; COMPUTE_PGM_RSRC2:TIDIG_COMP_CNT: 0
	.section	.text._ZN7rocprim17ROCPRIM_400000_NS6detail17trampoline_kernelINS0_13select_configILj256ELj13ELNS0_17block_load_methodE3ELS4_3ELS4_3ELNS0_20block_scan_algorithmE0ELj4294967295EEENS1_25partition_config_selectorILNS1_17partition_subalgoE3EjNS0_10empty_typeEbEEZZNS1_14partition_implILS8_3ELb0ES6_jNS0_17counting_iteratorIjlEEPS9_SE_NS0_5tupleIJPjSE_EEENSF_IJSE_SE_EEES9_SG_JZNS1_25segmented_radix_sort_implINS0_14default_configELb1EPKhPhPKlPlN2at6native12_GLOBAL__N_18offset_tEEE10hipError_tPvRmT1_PNSt15iterator_traitsISY_E10value_typeET2_T3_PNSZ_IS14_E10value_typeET4_jRbjT5_S1A_jjP12ihipStream_tbEUljE_EEESV_SW_SX_S14_S18_S1A_T6_T7_T9_mT8_S1C_bDpT10_ENKUlT_T0_E_clISt17integral_constantIbLb1EES1O_IbLb0EEEEDaS1K_S1L_EUlS1K_E_NS1_11comp_targetILNS1_3genE2ELNS1_11target_archE906ELNS1_3gpuE6ELNS1_3repE0EEENS1_30default_config_static_selectorELNS0_4arch9wavefront6targetE0EEEvSY_,"axG",@progbits,_ZN7rocprim17ROCPRIM_400000_NS6detail17trampoline_kernelINS0_13select_configILj256ELj13ELNS0_17block_load_methodE3ELS4_3ELS4_3ELNS0_20block_scan_algorithmE0ELj4294967295EEENS1_25partition_config_selectorILNS1_17partition_subalgoE3EjNS0_10empty_typeEbEEZZNS1_14partition_implILS8_3ELb0ES6_jNS0_17counting_iteratorIjlEEPS9_SE_NS0_5tupleIJPjSE_EEENSF_IJSE_SE_EEES9_SG_JZNS1_25segmented_radix_sort_implINS0_14default_configELb1EPKhPhPKlPlN2at6native12_GLOBAL__N_18offset_tEEE10hipError_tPvRmT1_PNSt15iterator_traitsISY_E10value_typeET2_T3_PNSZ_IS14_E10value_typeET4_jRbjT5_S1A_jjP12ihipStream_tbEUljE_EEESV_SW_SX_S14_S18_S1A_T6_T7_T9_mT8_S1C_bDpT10_ENKUlT_T0_E_clISt17integral_constantIbLb1EES1O_IbLb0EEEEDaS1K_S1L_EUlS1K_E_NS1_11comp_targetILNS1_3genE2ELNS1_11target_archE906ELNS1_3gpuE6ELNS1_3repE0EEENS1_30default_config_static_selectorELNS0_4arch9wavefront6targetE0EEEvSY_,comdat
	.globl	_ZN7rocprim17ROCPRIM_400000_NS6detail17trampoline_kernelINS0_13select_configILj256ELj13ELNS0_17block_load_methodE3ELS4_3ELS4_3ELNS0_20block_scan_algorithmE0ELj4294967295EEENS1_25partition_config_selectorILNS1_17partition_subalgoE3EjNS0_10empty_typeEbEEZZNS1_14partition_implILS8_3ELb0ES6_jNS0_17counting_iteratorIjlEEPS9_SE_NS0_5tupleIJPjSE_EEENSF_IJSE_SE_EEES9_SG_JZNS1_25segmented_radix_sort_implINS0_14default_configELb1EPKhPhPKlPlN2at6native12_GLOBAL__N_18offset_tEEE10hipError_tPvRmT1_PNSt15iterator_traitsISY_E10value_typeET2_T3_PNSZ_IS14_E10value_typeET4_jRbjT5_S1A_jjP12ihipStream_tbEUljE_EEESV_SW_SX_S14_S18_S1A_T6_T7_T9_mT8_S1C_bDpT10_ENKUlT_T0_E_clISt17integral_constantIbLb1EES1O_IbLb0EEEEDaS1K_S1L_EUlS1K_E_NS1_11comp_targetILNS1_3genE2ELNS1_11target_archE906ELNS1_3gpuE6ELNS1_3repE0EEENS1_30default_config_static_selectorELNS0_4arch9wavefront6targetE0EEEvSY_ ; -- Begin function _ZN7rocprim17ROCPRIM_400000_NS6detail17trampoline_kernelINS0_13select_configILj256ELj13ELNS0_17block_load_methodE3ELS4_3ELS4_3ELNS0_20block_scan_algorithmE0ELj4294967295EEENS1_25partition_config_selectorILNS1_17partition_subalgoE3EjNS0_10empty_typeEbEEZZNS1_14partition_implILS8_3ELb0ES6_jNS0_17counting_iteratorIjlEEPS9_SE_NS0_5tupleIJPjSE_EEENSF_IJSE_SE_EEES9_SG_JZNS1_25segmented_radix_sort_implINS0_14default_configELb1EPKhPhPKlPlN2at6native12_GLOBAL__N_18offset_tEEE10hipError_tPvRmT1_PNSt15iterator_traitsISY_E10value_typeET2_T3_PNSZ_IS14_E10value_typeET4_jRbjT5_S1A_jjP12ihipStream_tbEUljE_EEESV_SW_SX_S14_S18_S1A_T6_T7_T9_mT8_S1C_bDpT10_ENKUlT_T0_E_clISt17integral_constantIbLb1EES1O_IbLb0EEEEDaS1K_S1L_EUlS1K_E_NS1_11comp_targetILNS1_3genE2ELNS1_11target_archE906ELNS1_3gpuE6ELNS1_3repE0EEENS1_30default_config_static_selectorELNS0_4arch9wavefront6targetE0EEEvSY_
	.p2align	8
	.type	_ZN7rocprim17ROCPRIM_400000_NS6detail17trampoline_kernelINS0_13select_configILj256ELj13ELNS0_17block_load_methodE3ELS4_3ELS4_3ELNS0_20block_scan_algorithmE0ELj4294967295EEENS1_25partition_config_selectorILNS1_17partition_subalgoE3EjNS0_10empty_typeEbEEZZNS1_14partition_implILS8_3ELb0ES6_jNS0_17counting_iteratorIjlEEPS9_SE_NS0_5tupleIJPjSE_EEENSF_IJSE_SE_EEES9_SG_JZNS1_25segmented_radix_sort_implINS0_14default_configELb1EPKhPhPKlPlN2at6native12_GLOBAL__N_18offset_tEEE10hipError_tPvRmT1_PNSt15iterator_traitsISY_E10value_typeET2_T3_PNSZ_IS14_E10value_typeET4_jRbjT5_S1A_jjP12ihipStream_tbEUljE_EEESV_SW_SX_S14_S18_S1A_T6_T7_T9_mT8_S1C_bDpT10_ENKUlT_T0_E_clISt17integral_constantIbLb1EES1O_IbLb0EEEEDaS1K_S1L_EUlS1K_E_NS1_11comp_targetILNS1_3genE2ELNS1_11target_archE906ELNS1_3gpuE6ELNS1_3repE0EEENS1_30default_config_static_selectorELNS0_4arch9wavefront6targetE0EEEvSY_,@function
_ZN7rocprim17ROCPRIM_400000_NS6detail17trampoline_kernelINS0_13select_configILj256ELj13ELNS0_17block_load_methodE3ELS4_3ELS4_3ELNS0_20block_scan_algorithmE0ELj4294967295EEENS1_25partition_config_selectorILNS1_17partition_subalgoE3EjNS0_10empty_typeEbEEZZNS1_14partition_implILS8_3ELb0ES6_jNS0_17counting_iteratorIjlEEPS9_SE_NS0_5tupleIJPjSE_EEENSF_IJSE_SE_EEES9_SG_JZNS1_25segmented_radix_sort_implINS0_14default_configELb1EPKhPhPKlPlN2at6native12_GLOBAL__N_18offset_tEEE10hipError_tPvRmT1_PNSt15iterator_traitsISY_E10value_typeET2_T3_PNSZ_IS14_E10value_typeET4_jRbjT5_S1A_jjP12ihipStream_tbEUljE_EEESV_SW_SX_S14_S18_S1A_T6_T7_T9_mT8_S1C_bDpT10_ENKUlT_T0_E_clISt17integral_constantIbLb1EES1O_IbLb0EEEEDaS1K_S1L_EUlS1K_E_NS1_11comp_targetILNS1_3genE2ELNS1_11target_archE906ELNS1_3gpuE6ELNS1_3repE0EEENS1_30default_config_static_selectorELNS0_4arch9wavefront6targetE0EEEvSY_: ; @_ZN7rocprim17ROCPRIM_400000_NS6detail17trampoline_kernelINS0_13select_configILj256ELj13ELNS0_17block_load_methodE3ELS4_3ELS4_3ELNS0_20block_scan_algorithmE0ELj4294967295EEENS1_25partition_config_selectorILNS1_17partition_subalgoE3EjNS0_10empty_typeEbEEZZNS1_14partition_implILS8_3ELb0ES6_jNS0_17counting_iteratorIjlEEPS9_SE_NS0_5tupleIJPjSE_EEENSF_IJSE_SE_EEES9_SG_JZNS1_25segmented_radix_sort_implINS0_14default_configELb1EPKhPhPKlPlN2at6native12_GLOBAL__N_18offset_tEEE10hipError_tPvRmT1_PNSt15iterator_traitsISY_E10value_typeET2_T3_PNSZ_IS14_E10value_typeET4_jRbjT5_S1A_jjP12ihipStream_tbEUljE_EEESV_SW_SX_S14_S18_S1A_T6_T7_T9_mT8_S1C_bDpT10_ENKUlT_T0_E_clISt17integral_constantIbLb1EES1O_IbLb0EEEEDaS1K_S1L_EUlS1K_E_NS1_11comp_targetILNS1_3genE2ELNS1_11target_archE906ELNS1_3gpuE6ELNS1_3repE0EEENS1_30default_config_static_selectorELNS0_4arch9wavefront6targetE0EEEvSY_
; %bb.0:
	.section	.rodata,"a",@progbits
	.p2align	6, 0x0
	.amdhsa_kernel _ZN7rocprim17ROCPRIM_400000_NS6detail17trampoline_kernelINS0_13select_configILj256ELj13ELNS0_17block_load_methodE3ELS4_3ELS4_3ELNS0_20block_scan_algorithmE0ELj4294967295EEENS1_25partition_config_selectorILNS1_17partition_subalgoE3EjNS0_10empty_typeEbEEZZNS1_14partition_implILS8_3ELb0ES6_jNS0_17counting_iteratorIjlEEPS9_SE_NS0_5tupleIJPjSE_EEENSF_IJSE_SE_EEES9_SG_JZNS1_25segmented_radix_sort_implINS0_14default_configELb1EPKhPhPKlPlN2at6native12_GLOBAL__N_18offset_tEEE10hipError_tPvRmT1_PNSt15iterator_traitsISY_E10value_typeET2_T3_PNSZ_IS14_E10value_typeET4_jRbjT5_S1A_jjP12ihipStream_tbEUljE_EEESV_SW_SX_S14_S18_S1A_T6_T7_T9_mT8_S1C_bDpT10_ENKUlT_T0_E_clISt17integral_constantIbLb1EES1O_IbLb0EEEEDaS1K_S1L_EUlS1K_E_NS1_11comp_targetILNS1_3genE2ELNS1_11target_archE906ELNS1_3gpuE6ELNS1_3repE0EEENS1_30default_config_static_selectorELNS0_4arch9wavefront6targetE0EEEvSY_
		.amdhsa_group_segment_fixed_size 0
		.amdhsa_private_segment_fixed_size 0
		.amdhsa_kernarg_size 144
		.amdhsa_user_sgpr_count 6
		.amdhsa_user_sgpr_private_segment_buffer 1
		.amdhsa_user_sgpr_dispatch_ptr 0
		.amdhsa_user_sgpr_queue_ptr 0
		.amdhsa_user_sgpr_kernarg_segment_ptr 1
		.amdhsa_user_sgpr_dispatch_id 0
		.amdhsa_user_sgpr_flat_scratch_init 0
		.amdhsa_user_sgpr_private_segment_size 0
		.amdhsa_wavefront_size32 1
		.amdhsa_uses_dynamic_stack 0
		.amdhsa_system_sgpr_private_segment_wavefront_offset 0
		.amdhsa_system_sgpr_workgroup_id_x 1
		.amdhsa_system_sgpr_workgroup_id_y 0
		.amdhsa_system_sgpr_workgroup_id_z 0
		.amdhsa_system_sgpr_workgroup_info 0
		.amdhsa_system_vgpr_workitem_id 0
		.amdhsa_next_free_vgpr 1
		.amdhsa_next_free_sgpr 1
		.amdhsa_reserve_vcc 0
		.amdhsa_reserve_flat_scratch 0
		.amdhsa_float_round_mode_32 0
		.amdhsa_float_round_mode_16_64 0
		.amdhsa_float_denorm_mode_32 3
		.amdhsa_float_denorm_mode_16_64 3
		.amdhsa_dx10_clamp 1
		.amdhsa_ieee_mode 1
		.amdhsa_fp16_overflow 0
		.amdhsa_workgroup_processor_mode 1
		.amdhsa_memory_ordered 1
		.amdhsa_forward_progress 1
		.amdhsa_shared_vgpr_count 0
		.amdhsa_exception_fp_ieee_invalid_op 0
		.amdhsa_exception_fp_denorm_src 0
		.amdhsa_exception_fp_ieee_div_zero 0
		.amdhsa_exception_fp_ieee_overflow 0
		.amdhsa_exception_fp_ieee_underflow 0
		.amdhsa_exception_fp_ieee_inexact 0
		.amdhsa_exception_int_div_zero 0
	.end_amdhsa_kernel
	.section	.text._ZN7rocprim17ROCPRIM_400000_NS6detail17trampoline_kernelINS0_13select_configILj256ELj13ELNS0_17block_load_methodE3ELS4_3ELS4_3ELNS0_20block_scan_algorithmE0ELj4294967295EEENS1_25partition_config_selectorILNS1_17partition_subalgoE3EjNS0_10empty_typeEbEEZZNS1_14partition_implILS8_3ELb0ES6_jNS0_17counting_iteratorIjlEEPS9_SE_NS0_5tupleIJPjSE_EEENSF_IJSE_SE_EEES9_SG_JZNS1_25segmented_radix_sort_implINS0_14default_configELb1EPKhPhPKlPlN2at6native12_GLOBAL__N_18offset_tEEE10hipError_tPvRmT1_PNSt15iterator_traitsISY_E10value_typeET2_T3_PNSZ_IS14_E10value_typeET4_jRbjT5_S1A_jjP12ihipStream_tbEUljE_EEESV_SW_SX_S14_S18_S1A_T6_T7_T9_mT8_S1C_bDpT10_ENKUlT_T0_E_clISt17integral_constantIbLb1EES1O_IbLb0EEEEDaS1K_S1L_EUlS1K_E_NS1_11comp_targetILNS1_3genE2ELNS1_11target_archE906ELNS1_3gpuE6ELNS1_3repE0EEENS1_30default_config_static_selectorELNS0_4arch9wavefront6targetE0EEEvSY_,"axG",@progbits,_ZN7rocprim17ROCPRIM_400000_NS6detail17trampoline_kernelINS0_13select_configILj256ELj13ELNS0_17block_load_methodE3ELS4_3ELS4_3ELNS0_20block_scan_algorithmE0ELj4294967295EEENS1_25partition_config_selectorILNS1_17partition_subalgoE3EjNS0_10empty_typeEbEEZZNS1_14partition_implILS8_3ELb0ES6_jNS0_17counting_iteratorIjlEEPS9_SE_NS0_5tupleIJPjSE_EEENSF_IJSE_SE_EEES9_SG_JZNS1_25segmented_radix_sort_implINS0_14default_configELb1EPKhPhPKlPlN2at6native12_GLOBAL__N_18offset_tEEE10hipError_tPvRmT1_PNSt15iterator_traitsISY_E10value_typeET2_T3_PNSZ_IS14_E10value_typeET4_jRbjT5_S1A_jjP12ihipStream_tbEUljE_EEESV_SW_SX_S14_S18_S1A_T6_T7_T9_mT8_S1C_bDpT10_ENKUlT_T0_E_clISt17integral_constantIbLb1EES1O_IbLb0EEEEDaS1K_S1L_EUlS1K_E_NS1_11comp_targetILNS1_3genE2ELNS1_11target_archE906ELNS1_3gpuE6ELNS1_3repE0EEENS1_30default_config_static_selectorELNS0_4arch9wavefront6targetE0EEEvSY_,comdat
.Lfunc_end70:
	.size	_ZN7rocprim17ROCPRIM_400000_NS6detail17trampoline_kernelINS0_13select_configILj256ELj13ELNS0_17block_load_methodE3ELS4_3ELS4_3ELNS0_20block_scan_algorithmE0ELj4294967295EEENS1_25partition_config_selectorILNS1_17partition_subalgoE3EjNS0_10empty_typeEbEEZZNS1_14partition_implILS8_3ELb0ES6_jNS0_17counting_iteratorIjlEEPS9_SE_NS0_5tupleIJPjSE_EEENSF_IJSE_SE_EEES9_SG_JZNS1_25segmented_radix_sort_implINS0_14default_configELb1EPKhPhPKlPlN2at6native12_GLOBAL__N_18offset_tEEE10hipError_tPvRmT1_PNSt15iterator_traitsISY_E10value_typeET2_T3_PNSZ_IS14_E10value_typeET4_jRbjT5_S1A_jjP12ihipStream_tbEUljE_EEESV_SW_SX_S14_S18_S1A_T6_T7_T9_mT8_S1C_bDpT10_ENKUlT_T0_E_clISt17integral_constantIbLb1EES1O_IbLb0EEEEDaS1K_S1L_EUlS1K_E_NS1_11comp_targetILNS1_3genE2ELNS1_11target_archE906ELNS1_3gpuE6ELNS1_3repE0EEENS1_30default_config_static_selectorELNS0_4arch9wavefront6targetE0EEEvSY_, .Lfunc_end70-_ZN7rocprim17ROCPRIM_400000_NS6detail17trampoline_kernelINS0_13select_configILj256ELj13ELNS0_17block_load_methodE3ELS4_3ELS4_3ELNS0_20block_scan_algorithmE0ELj4294967295EEENS1_25partition_config_selectorILNS1_17partition_subalgoE3EjNS0_10empty_typeEbEEZZNS1_14partition_implILS8_3ELb0ES6_jNS0_17counting_iteratorIjlEEPS9_SE_NS0_5tupleIJPjSE_EEENSF_IJSE_SE_EEES9_SG_JZNS1_25segmented_radix_sort_implINS0_14default_configELb1EPKhPhPKlPlN2at6native12_GLOBAL__N_18offset_tEEE10hipError_tPvRmT1_PNSt15iterator_traitsISY_E10value_typeET2_T3_PNSZ_IS14_E10value_typeET4_jRbjT5_S1A_jjP12ihipStream_tbEUljE_EEESV_SW_SX_S14_S18_S1A_T6_T7_T9_mT8_S1C_bDpT10_ENKUlT_T0_E_clISt17integral_constantIbLb1EES1O_IbLb0EEEEDaS1K_S1L_EUlS1K_E_NS1_11comp_targetILNS1_3genE2ELNS1_11target_archE906ELNS1_3gpuE6ELNS1_3repE0EEENS1_30default_config_static_selectorELNS0_4arch9wavefront6targetE0EEEvSY_
                                        ; -- End function
	.set _ZN7rocprim17ROCPRIM_400000_NS6detail17trampoline_kernelINS0_13select_configILj256ELj13ELNS0_17block_load_methodE3ELS4_3ELS4_3ELNS0_20block_scan_algorithmE0ELj4294967295EEENS1_25partition_config_selectorILNS1_17partition_subalgoE3EjNS0_10empty_typeEbEEZZNS1_14partition_implILS8_3ELb0ES6_jNS0_17counting_iteratorIjlEEPS9_SE_NS0_5tupleIJPjSE_EEENSF_IJSE_SE_EEES9_SG_JZNS1_25segmented_radix_sort_implINS0_14default_configELb1EPKhPhPKlPlN2at6native12_GLOBAL__N_18offset_tEEE10hipError_tPvRmT1_PNSt15iterator_traitsISY_E10value_typeET2_T3_PNSZ_IS14_E10value_typeET4_jRbjT5_S1A_jjP12ihipStream_tbEUljE_EEESV_SW_SX_S14_S18_S1A_T6_T7_T9_mT8_S1C_bDpT10_ENKUlT_T0_E_clISt17integral_constantIbLb1EES1O_IbLb0EEEEDaS1K_S1L_EUlS1K_E_NS1_11comp_targetILNS1_3genE2ELNS1_11target_archE906ELNS1_3gpuE6ELNS1_3repE0EEENS1_30default_config_static_selectorELNS0_4arch9wavefront6targetE0EEEvSY_.num_vgpr, 0
	.set _ZN7rocprim17ROCPRIM_400000_NS6detail17trampoline_kernelINS0_13select_configILj256ELj13ELNS0_17block_load_methodE3ELS4_3ELS4_3ELNS0_20block_scan_algorithmE0ELj4294967295EEENS1_25partition_config_selectorILNS1_17partition_subalgoE3EjNS0_10empty_typeEbEEZZNS1_14partition_implILS8_3ELb0ES6_jNS0_17counting_iteratorIjlEEPS9_SE_NS0_5tupleIJPjSE_EEENSF_IJSE_SE_EEES9_SG_JZNS1_25segmented_radix_sort_implINS0_14default_configELb1EPKhPhPKlPlN2at6native12_GLOBAL__N_18offset_tEEE10hipError_tPvRmT1_PNSt15iterator_traitsISY_E10value_typeET2_T3_PNSZ_IS14_E10value_typeET4_jRbjT5_S1A_jjP12ihipStream_tbEUljE_EEESV_SW_SX_S14_S18_S1A_T6_T7_T9_mT8_S1C_bDpT10_ENKUlT_T0_E_clISt17integral_constantIbLb1EES1O_IbLb0EEEEDaS1K_S1L_EUlS1K_E_NS1_11comp_targetILNS1_3genE2ELNS1_11target_archE906ELNS1_3gpuE6ELNS1_3repE0EEENS1_30default_config_static_selectorELNS0_4arch9wavefront6targetE0EEEvSY_.num_agpr, 0
	.set _ZN7rocprim17ROCPRIM_400000_NS6detail17trampoline_kernelINS0_13select_configILj256ELj13ELNS0_17block_load_methodE3ELS4_3ELS4_3ELNS0_20block_scan_algorithmE0ELj4294967295EEENS1_25partition_config_selectorILNS1_17partition_subalgoE3EjNS0_10empty_typeEbEEZZNS1_14partition_implILS8_3ELb0ES6_jNS0_17counting_iteratorIjlEEPS9_SE_NS0_5tupleIJPjSE_EEENSF_IJSE_SE_EEES9_SG_JZNS1_25segmented_radix_sort_implINS0_14default_configELb1EPKhPhPKlPlN2at6native12_GLOBAL__N_18offset_tEEE10hipError_tPvRmT1_PNSt15iterator_traitsISY_E10value_typeET2_T3_PNSZ_IS14_E10value_typeET4_jRbjT5_S1A_jjP12ihipStream_tbEUljE_EEESV_SW_SX_S14_S18_S1A_T6_T7_T9_mT8_S1C_bDpT10_ENKUlT_T0_E_clISt17integral_constantIbLb1EES1O_IbLb0EEEEDaS1K_S1L_EUlS1K_E_NS1_11comp_targetILNS1_3genE2ELNS1_11target_archE906ELNS1_3gpuE6ELNS1_3repE0EEENS1_30default_config_static_selectorELNS0_4arch9wavefront6targetE0EEEvSY_.numbered_sgpr, 0
	.set _ZN7rocprim17ROCPRIM_400000_NS6detail17trampoline_kernelINS0_13select_configILj256ELj13ELNS0_17block_load_methodE3ELS4_3ELS4_3ELNS0_20block_scan_algorithmE0ELj4294967295EEENS1_25partition_config_selectorILNS1_17partition_subalgoE3EjNS0_10empty_typeEbEEZZNS1_14partition_implILS8_3ELb0ES6_jNS0_17counting_iteratorIjlEEPS9_SE_NS0_5tupleIJPjSE_EEENSF_IJSE_SE_EEES9_SG_JZNS1_25segmented_radix_sort_implINS0_14default_configELb1EPKhPhPKlPlN2at6native12_GLOBAL__N_18offset_tEEE10hipError_tPvRmT1_PNSt15iterator_traitsISY_E10value_typeET2_T3_PNSZ_IS14_E10value_typeET4_jRbjT5_S1A_jjP12ihipStream_tbEUljE_EEESV_SW_SX_S14_S18_S1A_T6_T7_T9_mT8_S1C_bDpT10_ENKUlT_T0_E_clISt17integral_constantIbLb1EES1O_IbLb0EEEEDaS1K_S1L_EUlS1K_E_NS1_11comp_targetILNS1_3genE2ELNS1_11target_archE906ELNS1_3gpuE6ELNS1_3repE0EEENS1_30default_config_static_selectorELNS0_4arch9wavefront6targetE0EEEvSY_.num_named_barrier, 0
	.set _ZN7rocprim17ROCPRIM_400000_NS6detail17trampoline_kernelINS0_13select_configILj256ELj13ELNS0_17block_load_methodE3ELS4_3ELS4_3ELNS0_20block_scan_algorithmE0ELj4294967295EEENS1_25partition_config_selectorILNS1_17partition_subalgoE3EjNS0_10empty_typeEbEEZZNS1_14partition_implILS8_3ELb0ES6_jNS0_17counting_iteratorIjlEEPS9_SE_NS0_5tupleIJPjSE_EEENSF_IJSE_SE_EEES9_SG_JZNS1_25segmented_radix_sort_implINS0_14default_configELb1EPKhPhPKlPlN2at6native12_GLOBAL__N_18offset_tEEE10hipError_tPvRmT1_PNSt15iterator_traitsISY_E10value_typeET2_T3_PNSZ_IS14_E10value_typeET4_jRbjT5_S1A_jjP12ihipStream_tbEUljE_EEESV_SW_SX_S14_S18_S1A_T6_T7_T9_mT8_S1C_bDpT10_ENKUlT_T0_E_clISt17integral_constantIbLb1EES1O_IbLb0EEEEDaS1K_S1L_EUlS1K_E_NS1_11comp_targetILNS1_3genE2ELNS1_11target_archE906ELNS1_3gpuE6ELNS1_3repE0EEENS1_30default_config_static_selectorELNS0_4arch9wavefront6targetE0EEEvSY_.private_seg_size, 0
	.set _ZN7rocprim17ROCPRIM_400000_NS6detail17trampoline_kernelINS0_13select_configILj256ELj13ELNS0_17block_load_methodE3ELS4_3ELS4_3ELNS0_20block_scan_algorithmE0ELj4294967295EEENS1_25partition_config_selectorILNS1_17partition_subalgoE3EjNS0_10empty_typeEbEEZZNS1_14partition_implILS8_3ELb0ES6_jNS0_17counting_iteratorIjlEEPS9_SE_NS0_5tupleIJPjSE_EEENSF_IJSE_SE_EEES9_SG_JZNS1_25segmented_radix_sort_implINS0_14default_configELb1EPKhPhPKlPlN2at6native12_GLOBAL__N_18offset_tEEE10hipError_tPvRmT1_PNSt15iterator_traitsISY_E10value_typeET2_T3_PNSZ_IS14_E10value_typeET4_jRbjT5_S1A_jjP12ihipStream_tbEUljE_EEESV_SW_SX_S14_S18_S1A_T6_T7_T9_mT8_S1C_bDpT10_ENKUlT_T0_E_clISt17integral_constantIbLb1EES1O_IbLb0EEEEDaS1K_S1L_EUlS1K_E_NS1_11comp_targetILNS1_3genE2ELNS1_11target_archE906ELNS1_3gpuE6ELNS1_3repE0EEENS1_30default_config_static_selectorELNS0_4arch9wavefront6targetE0EEEvSY_.uses_vcc, 0
	.set _ZN7rocprim17ROCPRIM_400000_NS6detail17trampoline_kernelINS0_13select_configILj256ELj13ELNS0_17block_load_methodE3ELS4_3ELS4_3ELNS0_20block_scan_algorithmE0ELj4294967295EEENS1_25partition_config_selectorILNS1_17partition_subalgoE3EjNS0_10empty_typeEbEEZZNS1_14partition_implILS8_3ELb0ES6_jNS0_17counting_iteratorIjlEEPS9_SE_NS0_5tupleIJPjSE_EEENSF_IJSE_SE_EEES9_SG_JZNS1_25segmented_radix_sort_implINS0_14default_configELb1EPKhPhPKlPlN2at6native12_GLOBAL__N_18offset_tEEE10hipError_tPvRmT1_PNSt15iterator_traitsISY_E10value_typeET2_T3_PNSZ_IS14_E10value_typeET4_jRbjT5_S1A_jjP12ihipStream_tbEUljE_EEESV_SW_SX_S14_S18_S1A_T6_T7_T9_mT8_S1C_bDpT10_ENKUlT_T0_E_clISt17integral_constantIbLb1EES1O_IbLb0EEEEDaS1K_S1L_EUlS1K_E_NS1_11comp_targetILNS1_3genE2ELNS1_11target_archE906ELNS1_3gpuE6ELNS1_3repE0EEENS1_30default_config_static_selectorELNS0_4arch9wavefront6targetE0EEEvSY_.uses_flat_scratch, 0
	.set _ZN7rocprim17ROCPRIM_400000_NS6detail17trampoline_kernelINS0_13select_configILj256ELj13ELNS0_17block_load_methodE3ELS4_3ELS4_3ELNS0_20block_scan_algorithmE0ELj4294967295EEENS1_25partition_config_selectorILNS1_17partition_subalgoE3EjNS0_10empty_typeEbEEZZNS1_14partition_implILS8_3ELb0ES6_jNS0_17counting_iteratorIjlEEPS9_SE_NS0_5tupleIJPjSE_EEENSF_IJSE_SE_EEES9_SG_JZNS1_25segmented_radix_sort_implINS0_14default_configELb1EPKhPhPKlPlN2at6native12_GLOBAL__N_18offset_tEEE10hipError_tPvRmT1_PNSt15iterator_traitsISY_E10value_typeET2_T3_PNSZ_IS14_E10value_typeET4_jRbjT5_S1A_jjP12ihipStream_tbEUljE_EEESV_SW_SX_S14_S18_S1A_T6_T7_T9_mT8_S1C_bDpT10_ENKUlT_T0_E_clISt17integral_constantIbLb1EES1O_IbLb0EEEEDaS1K_S1L_EUlS1K_E_NS1_11comp_targetILNS1_3genE2ELNS1_11target_archE906ELNS1_3gpuE6ELNS1_3repE0EEENS1_30default_config_static_selectorELNS0_4arch9wavefront6targetE0EEEvSY_.has_dyn_sized_stack, 0
	.set _ZN7rocprim17ROCPRIM_400000_NS6detail17trampoline_kernelINS0_13select_configILj256ELj13ELNS0_17block_load_methodE3ELS4_3ELS4_3ELNS0_20block_scan_algorithmE0ELj4294967295EEENS1_25partition_config_selectorILNS1_17partition_subalgoE3EjNS0_10empty_typeEbEEZZNS1_14partition_implILS8_3ELb0ES6_jNS0_17counting_iteratorIjlEEPS9_SE_NS0_5tupleIJPjSE_EEENSF_IJSE_SE_EEES9_SG_JZNS1_25segmented_radix_sort_implINS0_14default_configELb1EPKhPhPKlPlN2at6native12_GLOBAL__N_18offset_tEEE10hipError_tPvRmT1_PNSt15iterator_traitsISY_E10value_typeET2_T3_PNSZ_IS14_E10value_typeET4_jRbjT5_S1A_jjP12ihipStream_tbEUljE_EEESV_SW_SX_S14_S18_S1A_T6_T7_T9_mT8_S1C_bDpT10_ENKUlT_T0_E_clISt17integral_constantIbLb1EES1O_IbLb0EEEEDaS1K_S1L_EUlS1K_E_NS1_11comp_targetILNS1_3genE2ELNS1_11target_archE906ELNS1_3gpuE6ELNS1_3repE0EEENS1_30default_config_static_selectorELNS0_4arch9wavefront6targetE0EEEvSY_.has_recursion, 0
	.set _ZN7rocprim17ROCPRIM_400000_NS6detail17trampoline_kernelINS0_13select_configILj256ELj13ELNS0_17block_load_methodE3ELS4_3ELS4_3ELNS0_20block_scan_algorithmE0ELj4294967295EEENS1_25partition_config_selectorILNS1_17partition_subalgoE3EjNS0_10empty_typeEbEEZZNS1_14partition_implILS8_3ELb0ES6_jNS0_17counting_iteratorIjlEEPS9_SE_NS0_5tupleIJPjSE_EEENSF_IJSE_SE_EEES9_SG_JZNS1_25segmented_radix_sort_implINS0_14default_configELb1EPKhPhPKlPlN2at6native12_GLOBAL__N_18offset_tEEE10hipError_tPvRmT1_PNSt15iterator_traitsISY_E10value_typeET2_T3_PNSZ_IS14_E10value_typeET4_jRbjT5_S1A_jjP12ihipStream_tbEUljE_EEESV_SW_SX_S14_S18_S1A_T6_T7_T9_mT8_S1C_bDpT10_ENKUlT_T0_E_clISt17integral_constantIbLb1EES1O_IbLb0EEEEDaS1K_S1L_EUlS1K_E_NS1_11comp_targetILNS1_3genE2ELNS1_11target_archE906ELNS1_3gpuE6ELNS1_3repE0EEENS1_30default_config_static_selectorELNS0_4arch9wavefront6targetE0EEEvSY_.has_indirect_call, 0
	.section	.AMDGPU.csdata,"",@progbits
; Kernel info:
; codeLenInByte = 0
; TotalNumSgprs: 0
; NumVgprs: 0
; ScratchSize: 0
; MemoryBound: 0
; FloatMode: 240
; IeeeMode: 1
; LDSByteSize: 0 bytes/workgroup (compile time only)
; SGPRBlocks: 0
; VGPRBlocks: 0
; NumSGPRsForWavesPerEU: 1
; NumVGPRsForWavesPerEU: 1
; Occupancy: 16
; WaveLimiterHint : 0
; COMPUTE_PGM_RSRC2:SCRATCH_EN: 0
; COMPUTE_PGM_RSRC2:USER_SGPR: 6
; COMPUTE_PGM_RSRC2:TRAP_HANDLER: 0
; COMPUTE_PGM_RSRC2:TGID_X_EN: 1
; COMPUTE_PGM_RSRC2:TGID_Y_EN: 0
; COMPUTE_PGM_RSRC2:TGID_Z_EN: 0
; COMPUTE_PGM_RSRC2:TIDIG_COMP_CNT: 0
	.section	.text._ZN7rocprim17ROCPRIM_400000_NS6detail17trampoline_kernelINS0_13select_configILj256ELj13ELNS0_17block_load_methodE3ELS4_3ELS4_3ELNS0_20block_scan_algorithmE0ELj4294967295EEENS1_25partition_config_selectorILNS1_17partition_subalgoE3EjNS0_10empty_typeEbEEZZNS1_14partition_implILS8_3ELb0ES6_jNS0_17counting_iteratorIjlEEPS9_SE_NS0_5tupleIJPjSE_EEENSF_IJSE_SE_EEES9_SG_JZNS1_25segmented_radix_sort_implINS0_14default_configELb1EPKhPhPKlPlN2at6native12_GLOBAL__N_18offset_tEEE10hipError_tPvRmT1_PNSt15iterator_traitsISY_E10value_typeET2_T3_PNSZ_IS14_E10value_typeET4_jRbjT5_S1A_jjP12ihipStream_tbEUljE_EEESV_SW_SX_S14_S18_S1A_T6_T7_T9_mT8_S1C_bDpT10_ENKUlT_T0_E_clISt17integral_constantIbLb1EES1O_IbLb0EEEEDaS1K_S1L_EUlS1K_E_NS1_11comp_targetILNS1_3genE10ELNS1_11target_archE1200ELNS1_3gpuE4ELNS1_3repE0EEENS1_30default_config_static_selectorELNS0_4arch9wavefront6targetE0EEEvSY_,"axG",@progbits,_ZN7rocprim17ROCPRIM_400000_NS6detail17trampoline_kernelINS0_13select_configILj256ELj13ELNS0_17block_load_methodE3ELS4_3ELS4_3ELNS0_20block_scan_algorithmE0ELj4294967295EEENS1_25partition_config_selectorILNS1_17partition_subalgoE3EjNS0_10empty_typeEbEEZZNS1_14partition_implILS8_3ELb0ES6_jNS0_17counting_iteratorIjlEEPS9_SE_NS0_5tupleIJPjSE_EEENSF_IJSE_SE_EEES9_SG_JZNS1_25segmented_radix_sort_implINS0_14default_configELb1EPKhPhPKlPlN2at6native12_GLOBAL__N_18offset_tEEE10hipError_tPvRmT1_PNSt15iterator_traitsISY_E10value_typeET2_T3_PNSZ_IS14_E10value_typeET4_jRbjT5_S1A_jjP12ihipStream_tbEUljE_EEESV_SW_SX_S14_S18_S1A_T6_T7_T9_mT8_S1C_bDpT10_ENKUlT_T0_E_clISt17integral_constantIbLb1EES1O_IbLb0EEEEDaS1K_S1L_EUlS1K_E_NS1_11comp_targetILNS1_3genE10ELNS1_11target_archE1200ELNS1_3gpuE4ELNS1_3repE0EEENS1_30default_config_static_selectorELNS0_4arch9wavefront6targetE0EEEvSY_,comdat
	.globl	_ZN7rocprim17ROCPRIM_400000_NS6detail17trampoline_kernelINS0_13select_configILj256ELj13ELNS0_17block_load_methodE3ELS4_3ELS4_3ELNS0_20block_scan_algorithmE0ELj4294967295EEENS1_25partition_config_selectorILNS1_17partition_subalgoE3EjNS0_10empty_typeEbEEZZNS1_14partition_implILS8_3ELb0ES6_jNS0_17counting_iteratorIjlEEPS9_SE_NS0_5tupleIJPjSE_EEENSF_IJSE_SE_EEES9_SG_JZNS1_25segmented_radix_sort_implINS0_14default_configELb1EPKhPhPKlPlN2at6native12_GLOBAL__N_18offset_tEEE10hipError_tPvRmT1_PNSt15iterator_traitsISY_E10value_typeET2_T3_PNSZ_IS14_E10value_typeET4_jRbjT5_S1A_jjP12ihipStream_tbEUljE_EEESV_SW_SX_S14_S18_S1A_T6_T7_T9_mT8_S1C_bDpT10_ENKUlT_T0_E_clISt17integral_constantIbLb1EES1O_IbLb0EEEEDaS1K_S1L_EUlS1K_E_NS1_11comp_targetILNS1_3genE10ELNS1_11target_archE1200ELNS1_3gpuE4ELNS1_3repE0EEENS1_30default_config_static_selectorELNS0_4arch9wavefront6targetE0EEEvSY_ ; -- Begin function _ZN7rocprim17ROCPRIM_400000_NS6detail17trampoline_kernelINS0_13select_configILj256ELj13ELNS0_17block_load_methodE3ELS4_3ELS4_3ELNS0_20block_scan_algorithmE0ELj4294967295EEENS1_25partition_config_selectorILNS1_17partition_subalgoE3EjNS0_10empty_typeEbEEZZNS1_14partition_implILS8_3ELb0ES6_jNS0_17counting_iteratorIjlEEPS9_SE_NS0_5tupleIJPjSE_EEENSF_IJSE_SE_EEES9_SG_JZNS1_25segmented_radix_sort_implINS0_14default_configELb1EPKhPhPKlPlN2at6native12_GLOBAL__N_18offset_tEEE10hipError_tPvRmT1_PNSt15iterator_traitsISY_E10value_typeET2_T3_PNSZ_IS14_E10value_typeET4_jRbjT5_S1A_jjP12ihipStream_tbEUljE_EEESV_SW_SX_S14_S18_S1A_T6_T7_T9_mT8_S1C_bDpT10_ENKUlT_T0_E_clISt17integral_constantIbLb1EES1O_IbLb0EEEEDaS1K_S1L_EUlS1K_E_NS1_11comp_targetILNS1_3genE10ELNS1_11target_archE1200ELNS1_3gpuE4ELNS1_3repE0EEENS1_30default_config_static_selectorELNS0_4arch9wavefront6targetE0EEEvSY_
	.p2align	8
	.type	_ZN7rocprim17ROCPRIM_400000_NS6detail17trampoline_kernelINS0_13select_configILj256ELj13ELNS0_17block_load_methodE3ELS4_3ELS4_3ELNS0_20block_scan_algorithmE0ELj4294967295EEENS1_25partition_config_selectorILNS1_17partition_subalgoE3EjNS0_10empty_typeEbEEZZNS1_14partition_implILS8_3ELb0ES6_jNS0_17counting_iteratorIjlEEPS9_SE_NS0_5tupleIJPjSE_EEENSF_IJSE_SE_EEES9_SG_JZNS1_25segmented_radix_sort_implINS0_14default_configELb1EPKhPhPKlPlN2at6native12_GLOBAL__N_18offset_tEEE10hipError_tPvRmT1_PNSt15iterator_traitsISY_E10value_typeET2_T3_PNSZ_IS14_E10value_typeET4_jRbjT5_S1A_jjP12ihipStream_tbEUljE_EEESV_SW_SX_S14_S18_S1A_T6_T7_T9_mT8_S1C_bDpT10_ENKUlT_T0_E_clISt17integral_constantIbLb1EES1O_IbLb0EEEEDaS1K_S1L_EUlS1K_E_NS1_11comp_targetILNS1_3genE10ELNS1_11target_archE1200ELNS1_3gpuE4ELNS1_3repE0EEENS1_30default_config_static_selectorELNS0_4arch9wavefront6targetE0EEEvSY_,@function
_ZN7rocprim17ROCPRIM_400000_NS6detail17trampoline_kernelINS0_13select_configILj256ELj13ELNS0_17block_load_methodE3ELS4_3ELS4_3ELNS0_20block_scan_algorithmE0ELj4294967295EEENS1_25partition_config_selectorILNS1_17partition_subalgoE3EjNS0_10empty_typeEbEEZZNS1_14partition_implILS8_3ELb0ES6_jNS0_17counting_iteratorIjlEEPS9_SE_NS0_5tupleIJPjSE_EEENSF_IJSE_SE_EEES9_SG_JZNS1_25segmented_radix_sort_implINS0_14default_configELb1EPKhPhPKlPlN2at6native12_GLOBAL__N_18offset_tEEE10hipError_tPvRmT1_PNSt15iterator_traitsISY_E10value_typeET2_T3_PNSZ_IS14_E10value_typeET4_jRbjT5_S1A_jjP12ihipStream_tbEUljE_EEESV_SW_SX_S14_S18_S1A_T6_T7_T9_mT8_S1C_bDpT10_ENKUlT_T0_E_clISt17integral_constantIbLb1EES1O_IbLb0EEEEDaS1K_S1L_EUlS1K_E_NS1_11comp_targetILNS1_3genE10ELNS1_11target_archE1200ELNS1_3gpuE4ELNS1_3repE0EEENS1_30default_config_static_selectorELNS0_4arch9wavefront6targetE0EEEvSY_: ; @_ZN7rocprim17ROCPRIM_400000_NS6detail17trampoline_kernelINS0_13select_configILj256ELj13ELNS0_17block_load_methodE3ELS4_3ELS4_3ELNS0_20block_scan_algorithmE0ELj4294967295EEENS1_25partition_config_selectorILNS1_17partition_subalgoE3EjNS0_10empty_typeEbEEZZNS1_14partition_implILS8_3ELb0ES6_jNS0_17counting_iteratorIjlEEPS9_SE_NS0_5tupleIJPjSE_EEENSF_IJSE_SE_EEES9_SG_JZNS1_25segmented_radix_sort_implINS0_14default_configELb1EPKhPhPKlPlN2at6native12_GLOBAL__N_18offset_tEEE10hipError_tPvRmT1_PNSt15iterator_traitsISY_E10value_typeET2_T3_PNSZ_IS14_E10value_typeET4_jRbjT5_S1A_jjP12ihipStream_tbEUljE_EEESV_SW_SX_S14_S18_S1A_T6_T7_T9_mT8_S1C_bDpT10_ENKUlT_T0_E_clISt17integral_constantIbLb1EES1O_IbLb0EEEEDaS1K_S1L_EUlS1K_E_NS1_11comp_targetILNS1_3genE10ELNS1_11target_archE1200ELNS1_3gpuE4ELNS1_3repE0EEENS1_30default_config_static_selectorELNS0_4arch9wavefront6targetE0EEEvSY_
; %bb.0:
	.section	.rodata,"a",@progbits
	.p2align	6, 0x0
	.amdhsa_kernel _ZN7rocprim17ROCPRIM_400000_NS6detail17trampoline_kernelINS0_13select_configILj256ELj13ELNS0_17block_load_methodE3ELS4_3ELS4_3ELNS0_20block_scan_algorithmE0ELj4294967295EEENS1_25partition_config_selectorILNS1_17partition_subalgoE3EjNS0_10empty_typeEbEEZZNS1_14partition_implILS8_3ELb0ES6_jNS0_17counting_iteratorIjlEEPS9_SE_NS0_5tupleIJPjSE_EEENSF_IJSE_SE_EEES9_SG_JZNS1_25segmented_radix_sort_implINS0_14default_configELb1EPKhPhPKlPlN2at6native12_GLOBAL__N_18offset_tEEE10hipError_tPvRmT1_PNSt15iterator_traitsISY_E10value_typeET2_T3_PNSZ_IS14_E10value_typeET4_jRbjT5_S1A_jjP12ihipStream_tbEUljE_EEESV_SW_SX_S14_S18_S1A_T6_T7_T9_mT8_S1C_bDpT10_ENKUlT_T0_E_clISt17integral_constantIbLb1EES1O_IbLb0EEEEDaS1K_S1L_EUlS1K_E_NS1_11comp_targetILNS1_3genE10ELNS1_11target_archE1200ELNS1_3gpuE4ELNS1_3repE0EEENS1_30default_config_static_selectorELNS0_4arch9wavefront6targetE0EEEvSY_
		.amdhsa_group_segment_fixed_size 0
		.amdhsa_private_segment_fixed_size 0
		.amdhsa_kernarg_size 144
		.amdhsa_user_sgpr_count 6
		.amdhsa_user_sgpr_private_segment_buffer 1
		.amdhsa_user_sgpr_dispatch_ptr 0
		.amdhsa_user_sgpr_queue_ptr 0
		.amdhsa_user_sgpr_kernarg_segment_ptr 1
		.amdhsa_user_sgpr_dispatch_id 0
		.amdhsa_user_sgpr_flat_scratch_init 0
		.amdhsa_user_sgpr_private_segment_size 0
		.amdhsa_wavefront_size32 1
		.amdhsa_uses_dynamic_stack 0
		.amdhsa_system_sgpr_private_segment_wavefront_offset 0
		.amdhsa_system_sgpr_workgroup_id_x 1
		.amdhsa_system_sgpr_workgroup_id_y 0
		.amdhsa_system_sgpr_workgroup_id_z 0
		.amdhsa_system_sgpr_workgroup_info 0
		.amdhsa_system_vgpr_workitem_id 0
		.amdhsa_next_free_vgpr 1
		.amdhsa_next_free_sgpr 1
		.amdhsa_reserve_vcc 0
		.amdhsa_reserve_flat_scratch 0
		.amdhsa_float_round_mode_32 0
		.amdhsa_float_round_mode_16_64 0
		.amdhsa_float_denorm_mode_32 3
		.amdhsa_float_denorm_mode_16_64 3
		.amdhsa_dx10_clamp 1
		.amdhsa_ieee_mode 1
		.amdhsa_fp16_overflow 0
		.amdhsa_workgroup_processor_mode 1
		.amdhsa_memory_ordered 1
		.amdhsa_forward_progress 1
		.amdhsa_shared_vgpr_count 0
		.amdhsa_exception_fp_ieee_invalid_op 0
		.amdhsa_exception_fp_denorm_src 0
		.amdhsa_exception_fp_ieee_div_zero 0
		.amdhsa_exception_fp_ieee_overflow 0
		.amdhsa_exception_fp_ieee_underflow 0
		.amdhsa_exception_fp_ieee_inexact 0
		.amdhsa_exception_int_div_zero 0
	.end_amdhsa_kernel
	.section	.text._ZN7rocprim17ROCPRIM_400000_NS6detail17trampoline_kernelINS0_13select_configILj256ELj13ELNS0_17block_load_methodE3ELS4_3ELS4_3ELNS0_20block_scan_algorithmE0ELj4294967295EEENS1_25partition_config_selectorILNS1_17partition_subalgoE3EjNS0_10empty_typeEbEEZZNS1_14partition_implILS8_3ELb0ES6_jNS0_17counting_iteratorIjlEEPS9_SE_NS0_5tupleIJPjSE_EEENSF_IJSE_SE_EEES9_SG_JZNS1_25segmented_radix_sort_implINS0_14default_configELb1EPKhPhPKlPlN2at6native12_GLOBAL__N_18offset_tEEE10hipError_tPvRmT1_PNSt15iterator_traitsISY_E10value_typeET2_T3_PNSZ_IS14_E10value_typeET4_jRbjT5_S1A_jjP12ihipStream_tbEUljE_EEESV_SW_SX_S14_S18_S1A_T6_T7_T9_mT8_S1C_bDpT10_ENKUlT_T0_E_clISt17integral_constantIbLb1EES1O_IbLb0EEEEDaS1K_S1L_EUlS1K_E_NS1_11comp_targetILNS1_3genE10ELNS1_11target_archE1200ELNS1_3gpuE4ELNS1_3repE0EEENS1_30default_config_static_selectorELNS0_4arch9wavefront6targetE0EEEvSY_,"axG",@progbits,_ZN7rocprim17ROCPRIM_400000_NS6detail17trampoline_kernelINS0_13select_configILj256ELj13ELNS0_17block_load_methodE3ELS4_3ELS4_3ELNS0_20block_scan_algorithmE0ELj4294967295EEENS1_25partition_config_selectorILNS1_17partition_subalgoE3EjNS0_10empty_typeEbEEZZNS1_14partition_implILS8_3ELb0ES6_jNS0_17counting_iteratorIjlEEPS9_SE_NS0_5tupleIJPjSE_EEENSF_IJSE_SE_EEES9_SG_JZNS1_25segmented_radix_sort_implINS0_14default_configELb1EPKhPhPKlPlN2at6native12_GLOBAL__N_18offset_tEEE10hipError_tPvRmT1_PNSt15iterator_traitsISY_E10value_typeET2_T3_PNSZ_IS14_E10value_typeET4_jRbjT5_S1A_jjP12ihipStream_tbEUljE_EEESV_SW_SX_S14_S18_S1A_T6_T7_T9_mT8_S1C_bDpT10_ENKUlT_T0_E_clISt17integral_constantIbLb1EES1O_IbLb0EEEEDaS1K_S1L_EUlS1K_E_NS1_11comp_targetILNS1_3genE10ELNS1_11target_archE1200ELNS1_3gpuE4ELNS1_3repE0EEENS1_30default_config_static_selectorELNS0_4arch9wavefront6targetE0EEEvSY_,comdat
.Lfunc_end71:
	.size	_ZN7rocprim17ROCPRIM_400000_NS6detail17trampoline_kernelINS0_13select_configILj256ELj13ELNS0_17block_load_methodE3ELS4_3ELS4_3ELNS0_20block_scan_algorithmE0ELj4294967295EEENS1_25partition_config_selectorILNS1_17partition_subalgoE3EjNS0_10empty_typeEbEEZZNS1_14partition_implILS8_3ELb0ES6_jNS0_17counting_iteratorIjlEEPS9_SE_NS0_5tupleIJPjSE_EEENSF_IJSE_SE_EEES9_SG_JZNS1_25segmented_radix_sort_implINS0_14default_configELb1EPKhPhPKlPlN2at6native12_GLOBAL__N_18offset_tEEE10hipError_tPvRmT1_PNSt15iterator_traitsISY_E10value_typeET2_T3_PNSZ_IS14_E10value_typeET4_jRbjT5_S1A_jjP12ihipStream_tbEUljE_EEESV_SW_SX_S14_S18_S1A_T6_T7_T9_mT8_S1C_bDpT10_ENKUlT_T0_E_clISt17integral_constantIbLb1EES1O_IbLb0EEEEDaS1K_S1L_EUlS1K_E_NS1_11comp_targetILNS1_3genE10ELNS1_11target_archE1200ELNS1_3gpuE4ELNS1_3repE0EEENS1_30default_config_static_selectorELNS0_4arch9wavefront6targetE0EEEvSY_, .Lfunc_end71-_ZN7rocprim17ROCPRIM_400000_NS6detail17trampoline_kernelINS0_13select_configILj256ELj13ELNS0_17block_load_methodE3ELS4_3ELS4_3ELNS0_20block_scan_algorithmE0ELj4294967295EEENS1_25partition_config_selectorILNS1_17partition_subalgoE3EjNS0_10empty_typeEbEEZZNS1_14partition_implILS8_3ELb0ES6_jNS0_17counting_iteratorIjlEEPS9_SE_NS0_5tupleIJPjSE_EEENSF_IJSE_SE_EEES9_SG_JZNS1_25segmented_radix_sort_implINS0_14default_configELb1EPKhPhPKlPlN2at6native12_GLOBAL__N_18offset_tEEE10hipError_tPvRmT1_PNSt15iterator_traitsISY_E10value_typeET2_T3_PNSZ_IS14_E10value_typeET4_jRbjT5_S1A_jjP12ihipStream_tbEUljE_EEESV_SW_SX_S14_S18_S1A_T6_T7_T9_mT8_S1C_bDpT10_ENKUlT_T0_E_clISt17integral_constantIbLb1EES1O_IbLb0EEEEDaS1K_S1L_EUlS1K_E_NS1_11comp_targetILNS1_3genE10ELNS1_11target_archE1200ELNS1_3gpuE4ELNS1_3repE0EEENS1_30default_config_static_selectorELNS0_4arch9wavefront6targetE0EEEvSY_
                                        ; -- End function
	.set _ZN7rocprim17ROCPRIM_400000_NS6detail17trampoline_kernelINS0_13select_configILj256ELj13ELNS0_17block_load_methodE3ELS4_3ELS4_3ELNS0_20block_scan_algorithmE0ELj4294967295EEENS1_25partition_config_selectorILNS1_17partition_subalgoE3EjNS0_10empty_typeEbEEZZNS1_14partition_implILS8_3ELb0ES6_jNS0_17counting_iteratorIjlEEPS9_SE_NS0_5tupleIJPjSE_EEENSF_IJSE_SE_EEES9_SG_JZNS1_25segmented_radix_sort_implINS0_14default_configELb1EPKhPhPKlPlN2at6native12_GLOBAL__N_18offset_tEEE10hipError_tPvRmT1_PNSt15iterator_traitsISY_E10value_typeET2_T3_PNSZ_IS14_E10value_typeET4_jRbjT5_S1A_jjP12ihipStream_tbEUljE_EEESV_SW_SX_S14_S18_S1A_T6_T7_T9_mT8_S1C_bDpT10_ENKUlT_T0_E_clISt17integral_constantIbLb1EES1O_IbLb0EEEEDaS1K_S1L_EUlS1K_E_NS1_11comp_targetILNS1_3genE10ELNS1_11target_archE1200ELNS1_3gpuE4ELNS1_3repE0EEENS1_30default_config_static_selectorELNS0_4arch9wavefront6targetE0EEEvSY_.num_vgpr, 0
	.set _ZN7rocprim17ROCPRIM_400000_NS6detail17trampoline_kernelINS0_13select_configILj256ELj13ELNS0_17block_load_methodE3ELS4_3ELS4_3ELNS0_20block_scan_algorithmE0ELj4294967295EEENS1_25partition_config_selectorILNS1_17partition_subalgoE3EjNS0_10empty_typeEbEEZZNS1_14partition_implILS8_3ELb0ES6_jNS0_17counting_iteratorIjlEEPS9_SE_NS0_5tupleIJPjSE_EEENSF_IJSE_SE_EEES9_SG_JZNS1_25segmented_radix_sort_implINS0_14default_configELb1EPKhPhPKlPlN2at6native12_GLOBAL__N_18offset_tEEE10hipError_tPvRmT1_PNSt15iterator_traitsISY_E10value_typeET2_T3_PNSZ_IS14_E10value_typeET4_jRbjT5_S1A_jjP12ihipStream_tbEUljE_EEESV_SW_SX_S14_S18_S1A_T6_T7_T9_mT8_S1C_bDpT10_ENKUlT_T0_E_clISt17integral_constantIbLb1EES1O_IbLb0EEEEDaS1K_S1L_EUlS1K_E_NS1_11comp_targetILNS1_3genE10ELNS1_11target_archE1200ELNS1_3gpuE4ELNS1_3repE0EEENS1_30default_config_static_selectorELNS0_4arch9wavefront6targetE0EEEvSY_.num_agpr, 0
	.set _ZN7rocprim17ROCPRIM_400000_NS6detail17trampoline_kernelINS0_13select_configILj256ELj13ELNS0_17block_load_methodE3ELS4_3ELS4_3ELNS0_20block_scan_algorithmE0ELj4294967295EEENS1_25partition_config_selectorILNS1_17partition_subalgoE3EjNS0_10empty_typeEbEEZZNS1_14partition_implILS8_3ELb0ES6_jNS0_17counting_iteratorIjlEEPS9_SE_NS0_5tupleIJPjSE_EEENSF_IJSE_SE_EEES9_SG_JZNS1_25segmented_radix_sort_implINS0_14default_configELb1EPKhPhPKlPlN2at6native12_GLOBAL__N_18offset_tEEE10hipError_tPvRmT1_PNSt15iterator_traitsISY_E10value_typeET2_T3_PNSZ_IS14_E10value_typeET4_jRbjT5_S1A_jjP12ihipStream_tbEUljE_EEESV_SW_SX_S14_S18_S1A_T6_T7_T9_mT8_S1C_bDpT10_ENKUlT_T0_E_clISt17integral_constantIbLb1EES1O_IbLb0EEEEDaS1K_S1L_EUlS1K_E_NS1_11comp_targetILNS1_3genE10ELNS1_11target_archE1200ELNS1_3gpuE4ELNS1_3repE0EEENS1_30default_config_static_selectorELNS0_4arch9wavefront6targetE0EEEvSY_.numbered_sgpr, 0
	.set _ZN7rocprim17ROCPRIM_400000_NS6detail17trampoline_kernelINS0_13select_configILj256ELj13ELNS0_17block_load_methodE3ELS4_3ELS4_3ELNS0_20block_scan_algorithmE0ELj4294967295EEENS1_25partition_config_selectorILNS1_17partition_subalgoE3EjNS0_10empty_typeEbEEZZNS1_14partition_implILS8_3ELb0ES6_jNS0_17counting_iteratorIjlEEPS9_SE_NS0_5tupleIJPjSE_EEENSF_IJSE_SE_EEES9_SG_JZNS1_25segmented_radix_sort_implINS0_14default_configELb1EPKhPhPKlPlN2at6native12_GLOBAL__N_18offset_tEEE10hipError_tPvRmT1_PNSt15iterator_traitsISY_E10value_typeET2_T3_PNSZ_IS14_E10value_typeET4_jRbjT5_S1A_jjP12ihipStream_tbEUljE_EEESV_SW_SX_S14_S18_S1A_T6_T7_T9_mT8_S1C_bDpT10_ENKUlT_T0_E_clISt17integral_constantIbLb1EES1O_IbLb0EEEEDaS1K_S1L_EUlS1K_E_NS1_11comp_targetILNS1_3genE10ELNS1_11target_archE1200ELNS1_3gpuE4ELNS1_3repE0EEENS1_30default_config_static_selectorELNS0_4arch9wavefront6targetE0EEEvSY_.num_named_barrier, 0
	.set _ZN7rocprim17ROCPRIM_400000_NS6detail17trampoline_kernelINS0_13select_configILj256ELj13ELNS0_17block_load_methodE3ELS4_3ELS4_3ELNS0_20block_scan_algorithmE0ELj4294967295EEENS1_25partition_config_selectorILNS1_17partition_subalgoE3EjNS0_10empty_typeEbEEZZNS1_14partition_implILS8_3ELb0ES6_jNS0_17counting_iteratorIjlEEPS9_SE_NS0_5tupleIJPjSE_EEENSF_IJSE_SE_EEES9_SG_JZNS1_25segmented_radix_sort_implINS0_14default_configELb1EPKhPhPKlPlN2at6native12_GLOBAL__N_18offset_tEEE10hipError_tPvRmT1_PNSt15iterator_traitsISY_E10value_typeET2_T3_PNSZ_IS14_E10value_typeET4_jRbjT5_S1A_jjP12ihipStream_tbEUljE_EEESV_SW_SX_S14_S18_S1A_T6_T7_T9_mT8_S1C_bDpT10_ENKUlT_T0_E_clISt17integral_constantIbLb1EES1O_IbLb0EEEEDaS1K_S1L_EUlS1K_E_NS1_11comp_targetILNS1_3genE10ELNS1_11target_archE1200ELNS1_3gpuE4ELNS1_3repE0EEENS1_30default_config_static_selectorELNS0_4arch9wavefront6targetE0EEEvSY_.private_seg_size, 0
	.set _ZN7rocprim17ROCPRIM_400000_NS6detail17trampoline_kernelINS0_13select_configILj256ELj13ELNS0_17block_load_methodE3ELS4_3ELS4_3ELNS0_20block_scan_algorithmE0ELj4294967295EEENS1_25partition_config_selectorILNS1_17partition_subalgoE3EjNS0_10empty_typeEbEEZZNS1_14partition_implILS8_3ELb0ES6_jNS0_17counting_iteratorIjlEEPS9_SE_NS0_5tupleIJPjSE_EEENSF_IJSE_SE_EEES9_SG_JZNS1_25segmented_radix_sort_implINS0_14default_configELb1EPKhPhPKlPlN2at6native12_GLOBAL__N_18offset_tEEE10hipError_tPvRmT1_PNSt15iterator_traitsISY_E10value_typeET2_T3_PNSZ_IS14_E10value_typeET4_jRbjT5_S1A_jjP12ihipStream_tbEUljE_EEESV_SW_SX_S14_S18_S1A_T6_T7_T9_mT8_S1C_bDpT10_ENKUlT_T0_E_clISt17integral_constantIbLb1EES1O_IbLb0EEEEDaS1K_S1L_EUlS1K_E_NS1_11comp_targetILNS1_3genE10ELNS1_11target_archE1200ELNS1_3gpuE4ELNS1_3repE0EEENS1_30default_config_static_selectorELNS0_4arch9wavefront6targetE0EEEvSY_.uses_vcc, 0
	.set _ZN7rocprim17ROCPRIM_400000_NS6detail17trampoline_kernelINS0_13select_configILj256ELj13ELNS0_17block_load_methodE3ELS4_3ELS4_3ELNS0_20block_scan_algorithmE0ELj4294967295EEENS1_25partition_config_selectorILNS1_17partition_subalgoE3EjNS0_10empty_typeEbEEZZNS1_14partition_implILS8_3ELb0ES6_jNS0_17counting_iteratorIjlEEPS9_SE_NS0_5tupleIJPjSE_EEENSF_IJSE_SE_EEES9_SG_JZNS1_25segmented_radix_sort_implINS0_14default_configELb1EPKhPhPKlPlN2at6native12_GLOBAL__N_18offset_tEEE10hipError_tPvRmT1_PNSt15iterator_traitsISY_E10value_typeET2_T3_PNSZ_IS14_E10value_typeET4_jRbjT5_S1A_jjP12ihipStream_tbEUljE_EEESV_SW_SX_S14_S18_S1A_T6_T7_T9_mT8_S1C_bDpT10_ENKUlT_T0_E_clISt17integral_constantIbLb1EES1O_IbLb0EEEEDaS1K_S1L_EUlS1K_E_NS1_11comp_targetILNS1_3genE10ELNS1_11target_archE1200ELNS1_3gpuE4ELNS1_3repE0EEENS1_30default_config_static_selectorELNS0_4arch9wavefront6targetE0EEEvSY_.uses_flat_scratch, 0
	.set _ZN7rocprim17ROCPRIM_400000_NS6detail17trampoline_kernelINS0_13select_configILj256ELj13ELNS0_17block_load_methodE3ELS4_3ELS4_3ELNS0_20block_scan_algorithmE0ELj4294967295EEENS1_25partition_config_selectorILNS1_17partition_subalgoE3EjNS0_10empty_typeEbEEZZNS1_14partition_implILS8_3ELb0ES6_jNS0_17counting_iteratorIjlEEPS9_SE_NS0_5tupleIJPjSE_EEENSF_IJSE_SE_EEES9_SG_JZNS1_25segmented_radix_sort_implINS0_14default_configELb1EPKhPhPKlPlN2at6native12_GLOBAL__N_18offset_tEEE10hipError_tPvRmT1_PNSt15iterator_traitsISY_E10value_typeET2_T3_PNSZ_IS14_E10value_typeET4_jRbjT5_S1A_jjP12ihipStream_tbEUljE_EEESV_SW_SX_S14_S18_S1A_T6_T7_T9_mT8_S1C_bDpT10_ENKUlT_T0_E_clISt17integral_constantIbLb1EES1O_IbLb0EEEEDaS1K_S1L_EUlS1K_E_NS1_11comp_targetILNS1_3genE10ELNS1_11target_archE1200ELNS1_3gpuE4ELNS1_3repE0EEENS1_30default_config_static_selectorELNS0_4arch9wavefront6targetE0EEEvSY_.has_dyn_sized_stack, 0
	.set _ZN7rocprim17ROCPRIM_400000_NS6detail17trampoline_kernelINS0_13select_configILj256ELj13ELNS0_17block_load_methodE3ELS4_3ELS4_3ELNS0_20block_scan_algorithmE0ELj4294967295EEENS1_25partition_config_selectorILNS1_17partition_subalgoE3EjNS0_10empty_typeEbEEZZNS1_14partition_implILS8_3ELb0ES6_jNS0_17counting_iteratorIjlEEPS9_SE_NS0_5tupleIJPjSE_EEENSF_IJSE_SE_EEES9_SG_JZNS1_25segmented_radix_sort_implINS0_14default_configELb1EPKhPhPKlPlN2at6native12_GLOBAL__N_18offset_tEEE10hipError_tPvRmT1_PNSt15iterator_traitsISY_E10value_typeET2_T3_PNSZ_IS14_E10value_typeET4_jRbjT5_S1A_jjP12ihipStream_tbEUljE_EEESV_SW_SX_S14_S18_S1A_T6_T7_T9_mT8_S1C_bDpT10_ENKUlT_T0_E_clISt17integral_constantIbLb1EES1O_IbLb0EEEEDaS1K_S1L_EUlS1K_E_NS1_11comp_targetILNS1_3genE10ELNS1_11target_archE1200ELNS1_3gpuE4ELNS1_3repE0EEENS1_30default_config_static_selectorELNS0_4arch9wavefront6targetE0EEEvSY_.has_recursion, 0
	.set _ZN7rocprim17ROCPRIM_400000_NS6detail17trampoline_kernelINS0_13select_configILj256ELj13ELNS0_17block_load_methodE3ELS4_3ELS4_3ELNS0_20block_scan_algorithmE0ELj4294967295EEENS1_25partition_config_selectorILNS1_17partition_subalgoE3EjNS0_10empty_typeEbEEZZNS1_14partition_implILS8_3ELb0ES6_jNS0_17counting_iteratorIjlEEPS9_SE_NS0_5tupleIJPjSE_EEENSF_IJSE_SE_EEES9_SG_JZNS1_25segmented_radix_sort_implINS0_14default_configELb1EPKhPhPKlPlN2at6native12_GLOBAL__N_18offset_tEEE10hipError_tPvRmT1_PNSt15iterator_traitsISY_E10value_typeET2_T3_PNSZ_IS14_E10value_typeET4_jRbjT5_S1A_jjP12ihipStream_tbEUljE_EEESV_SW_SX_S14_S18_S1A_T6_T7_T9_mT8_S1C_bDpT10_ENKUlT_T0_E_clISt17integral_constantIbLb1EES1O_IbLb0EEEEDaS1K_S1L_EUlS1K_E_NS1_11comp_targetILNS1_3genE10ELNS1_11target_archE1200ELNS1_3gpuE4ELNS1_3repE0EEENS1_30default_config_static_selectorELNS0_4arch9wavefront6targetE0EEEvSY_.has_indirect_call, 0
	.section	.AMDGPU.csdata,"",@progbits
; Kernel info:
; codeLenInByte = 0
; TotalNumSgprs: 0
; NumVgprs: 0
; ScratchSize: 0
; MemoryBound: 0
; FloatMode: 240
; IeeeMode: 1
; LDSByteSize: 0 bytes/workgroup (compile time only)
; SGPRBlocks: 0
; VGPRBlocks: 0
; NumSGPRsForWavesPerEU: 1
; NumVGPRsForWavesPerEU: 1
; Occupancy: 16
; WaveLimiterHint : 0
; COMPUTE_PGM_RSRC2:SCRATCH_EN: 0
; COMPUTE_PGM_RSRC2:USER_SGPR: 6
; COMPUTE_PGM_RSRC2:TRAP_HANDLER: 0
; COMPUTE_PGM_RSRC2:TGID_X_EN: 1
; COMPUTE_PGM_RSRC2:TGID_Y_EN: 0
; COMPUTE_PGM_RSRC2:TGID_Z_EN: 0
; COMPUTE_PGM_RSRC2:TIDIG_COMP_CNT: 0
	.section	.text._ZN7rocprim17ROCPRIM_400000_NS6detail17trampoline_kernelINS0_13select_configILj256ELj13ELNS0_17block_load_methodE3ELS4_3ELS4_3ELNS0_20block_scan_algorithmE0ELj4294967295EEENS1_25partition_config_selectorILNS1_17partition_subalgoE3EjNS0_10empty_typeEbEEZZNS1_14partition_implILS8_3ELb0ES6_jNS0_17counting_iteratorIjlEEPS9_SE_NS0_5tupleIJPjSE_EEENSF_IJSE_SE_EEES9_SG_JZNS1_25segmented_radix_sort_implINS0_14default_configELb1EPKhPhPKlPlN2at6native12_GLOBAL__N_18offset_tEEE10hipError_tPvRmT1_PNSt15iterator_traitsISY_E10value_typeET2_T3_PNSZ_IS14_E10value_typeET4_jRbjT5_S1A_jjP12ihipStream_tbEUljE_EEESV_SW_SX_S14_S18_S1A_T6_T7_T9_mT8_S1C_bDpT10_ENKUlT_T0_E_clISt17integral_constantIbLb1EES1O_IbLb0EEEEDaS1K_S1L_EUlS1K_E_NS1_11comp_targetILNS1_3genE9ELNS1_11target_archE1100ELNS1_3gpuE3ELNS1_3repE0EEENS1_30default_config_static_selectorELNS0_4arch9wavefront6targetE0EEEvSY_,"axG",@progbits,_ZN7rocprim17ROCPRIM_400000_NS6detail17trampoline_kernelINS0_13select_configILj256ELj13ELNS0_17block_load_methodE3ELS4_3ELS4_3ELNS0_20block_scan_algorithmE0ELj4294967295EEENS1_25partition_config_selectorILNS1_17partition_subalgoE3EjNS0_10empty_typeEbEEZZNS1_14partition_implILS8_3ELb0ES6_jNS0_17counting_iteratorIjlEEPS9_SE_NS0_5tupleIJPjSE_EEENSF_IJSE_SE_EEES9_SG_JZNS1_25segmented_radix_sort_implINS0_14default_configELb1EPKhPhPKlPlN2at6native12_GLOBAL__N_18offset_tEEE10hipError_tPvRmT1_PNSt15iterator_traitsISY_E10value_typeET2_T3_PNSZ_IS14_E10value_typeET4_jRbjT5_S1A_jjP12ihipStream_tbEUljE_EEESV_SW_SX_S14_S18_S1A_T6_T7_T9_mT8_S1C_bDpT10_ENKUlT_T0_E_clISt17integral_constantIbLb1EES1O_IbLb0EEEEDaS1K_S1L_EUlS1K_E_NS1_11comp_targetILNS1_3genE9ELNS1_11target_archE1100ELNS1_3gpuE3ELNS1_3repE0EEENS1_30default_config_static_selectorELNS0_4arch9wavefront6targetE0EEEvSY_,comdat
	.globl	_ZN7rocprim17ROCPRIM_400000_NS6detail17trampoline_kernelINS0_13select_configILj256ELj13ELNS0_17block_load_methodE3ELS4_3ELS4_3ELNS0_20block_scan_algorithmE0ELj4294967295EEENS1_25partition_config_selectorILNS1_17partition_subalgoE3EjNS0_10empty_typeEbEEZZNS1_14partition_implILS8_3ELb0ES6_jNS0_17counting_iteratorIjlEEPS9_SE_NS0_5tupleIJPjSE_EEENSF_IJSE_SE_EEES9_SG_JZNS1_25segmented_radix_sort_implINS0_14default_configELb1EPKhPhPKlPlN2at6native12_GLOBAL__N_18offset_tEEE10hipError_tPvRmT1_PNSt15iterator_traitsISY_E10value_typeET2_T3_PNSZ_IS14_E10value_typeET4_jRbjT5_S1A_jjP12ihipStream_tbEUljE_EEESV_SW_SX_S14_S18_S1A_T6_T7_T9_mT8_S1C_bDpT10_ENKUlT_T0_E_clISt17integral_constantIbLb1EES1O_IbLb0EEEEDaS1K_S1L_EUlS1K_E_NS1_11comp_targetILNS1_3genE9ELNS1_11target_archE1100ELNS1_3gpuE3ELNS1_3repE0EEENS1_30default_config_static_selectorELNS0_4arch9wavefront6targetE0EEEvSY_ ; -- Begin function _ZN7rocprim17ROCPRIM_400000_NS6detail17trampoline_kernelINS0_13select_configILj256ELj13ELNS0_17block_load_methodE3ELS4_3ELS4_3ELNS0_20block_scan_algorithmE0ELj4294967295EEENS1_25partition_config_selectorILNS1_17partition_subalgoE3EjNS0_10empty_typeEbEEZZNS1_14partition_implILS8_3ELb0ES6_jNS0_17counting_iteratorIjlEEPS9_SE_NS0_5tupleIJPjSE_EEENSF_IJSE_SE_EEES9_SG_JZNS1_25segmented_radix_sort_implINS0_14default_configELb1EPKhPhPKlPlN2at6native12_GLOBAL__N_18offset_tEEE10hipError_tPvRmT1_PNSt15iterator_traitsISY_E10value_typeET2_T3_PNSZ_IS14_E10value_typeET4_jRbjT5_S1A_jjP12ihipStream_tbEUljE_EEESV_SW_SX_S14_S18_S1A_T6_T7_T9_mT8_S1C_bDpT10_ENKUlT_T0_E_clISt17integral_constantIbLb1EES1O_IbLb0EEEEDaS1K_S1L_EUlS1K_E_NS1_11comp_targetILNS1_3genE9ELNS1_11target_archE1100ELNS1_3gpuE3ELNS1_3repE0EEENS1_30default_config_static_selectorELNS0_4arch9wavefront6targetE0EEEvSY_
	.p2align	8
	.type	_ZN7rocprim17ROCPRIM_400000_NS6detail17trampoline_kernelINS0_13select_configILj256ELj13ELNS0_17block_load_methodE3ELS4_3ELS4_3ELNS0_20block_scan_algorithmE0ELj4294967295EEENS1_25partition_config_selectorILNS1_17partition_subalgoE3EjNS0_10empty_typeEbEEZZNS1_14partition_implILS8_3ELb0ES6_jNS0_17counting_iteratorIjlEEPS9_SE_NS0_5tupleIJPjSE_EEENSF_IJSE_SE_EEES9_SG_JZNS1_25segmented_radix_sort_implINS0_14default_configELb1EPKhPhPKlPlN2at6native12_GLOBAL__N_18offset_tEEE10hipError_tPvRmT1_PNSt15iterator_traitsISY_E10value_typeET2_T3_PNSZ_IS14_E10value_typeET4_jRbjT5_S1A_jjP12ihipStream_tbEUljE_EEESV_SW_SX_S14_S18_S1A_T6_T7_T9_mT8_S1C_bDpT10_ENKUlT_T0_E_clISt17integral_constantIbLb1EES1O_IbLb0EEEEDaS1K_S1L_EUlS1K_E_NS1_11comp_targetILNS1_3genE9ELNS1_11target_archE1100ELNS1_3gpuE3ELNS1_3repE0EEENS1_30default_config_static_selectorELNS0_4arch9wavefront6targetE0EEEvSY_,@function
_ZN7rocprim17ROCPRIM_400000_NS6detail17trampoline_kernelINS0_13select_configILj256ELj13ELNS0_17block_load_methodE3ELS4_3ELS4_3ELNS0_20block_scan_algorithmE0ELj4294967295EEENS1_25partition_config_selectorILNS1_17partition_subalgoE3EjNS0_10empty_typeEbEEZZNS1_14partition_implILS8_3ELb0ES6_jNS0_17counting_iteratorIjlEEPS9_SE_NS0_5tupleIJPjSE_EEENSF_IJSE_SE_EEES9_SG_JZNS1_25segmented_radix_sort_implINS0_14default_configELb1EPKhPhPKlPlN2at6native12_GLOBAL__N_18offset_tEEE10hipError_tPvRmT1_PNSt15iterator_traitsISY_E10value_typeET2_T3_PNSZ_IS14_E10value_typeET4_jRbjT5_S1A_jjP12ihipStream_tbEUljE_EEESV_SW_SX_S14_S18_S1A_T6_T7_T9_mT8_S1C_bDpT10_ENKUlT_T0_E_clISt17integral_constantIbLb1EES1O_IbLb0EEEEDaS1K_S1L_EUlS1K_E_NS1_11comp_targetILNS1_3genE9ELNS1_11target_archE1100ELNS1_3gpuE3ELNS1_3repE0EEENS1_30default_config_static_selectorELNS0_4arch9wavefront6targetE0EEEvSY_: ; @_ZN7rocprim17ROCPRIM_400000_NS6detail17trampoline_kernelINS0_13select_configILj256ELj13ELNS0_17block_load_methodE3ELS4_3ELS4_3ELNS0_20block_scan_algorithmE0ELj4294967295EEENS1_25partition_config_selectorILNS1_17partition_subalgoE3EjNS0_10empty_typeEbEEZZNS1_14partition_implILS8_3ELb0ES6_jNS0_17counting_iteratorIjlEEPS9_SE_NS0_5tupleIJPjSE_EEENSF_IJSE_SE_EEES9_SG_JZNS1_25segmented_radix_sort_implINS0_14default_configELb1EPKhPhPKlPlN2at6native12_GLOBAL__N_18offset_tEEE10hipError_tPvRmT1_PNSt15iterator_traitsISY_E10value_typeET2_T3_PNSZ_IS14_E10value_typeET4_jRbjT5_S1A_jjP12ihipStream_tbEUljE_EEESV_SW_SX_S14_S18_S1A_T6_T7_T9_mT8_S1C_bDpT10_ENKUlT_T0_E_clISt17integral_constantIbLb1EES1O_IbLb0EEEEDaS1K_S1L_EUlS1K_E_NS1_11comp_targetILNS1_3genE9ELNS1_11target_archE1100ELNS1_3gpuE3ELNS1_3repE0EEENS1_30default_config_static_selectorELNS0_4arch9wavefront6targetE0EEEvSY_
; %bb.0:
	.section	.rodata,"a",@progbits
	.p2align	6, 0x0
	.amdhsa_kernel _ZN7rocprim17ROCPRIM_400000_NS6detail17trampoline_kernelINS0_13select_configILj256ELj13ELNS0_17block_load_methodE3ELS4_3ELS4_3ELNS0_20block_scan_algorithmE0ELj4294967295EEENS1_25partition_config_selectorILNS1_17partition_subalgoE3EjNS0_10empty_typeEbEEZZNS1_14partition_implILS8_3ELb0ES6_jNS0_17counting_iteratorIjlEEPS9_SE_NS0_5tupleIJPjSE_EEENSF_IJSE_SE_EEES9_SG_JZNS1_25segmented_radix_sort_implINS0_14default_configELb1EPKhPhPKlPlN2at6native12_GLOBAL__N_18offset_tEEE10hipError_tPvRmT1_PNSt15iterator_traitsISY_E10value_typeET2_T3_PNSZ_IS14_E10value_typeET4_jRbjT5_S1A_jjP12ihipStream_tbEUljE_EEESV_SW_SX_S14_S18_S1A_T6_T7_T9_mT8_S1C_bDpT10_ENKUlT_T0_E_clISt17integral_constantIbLb1EES1O_IbLb0EEEEDaS1K_S1L_EUlS1K_E_NS1_11comp_targetILNS1_3genE9ELNS1_11target_archE1100ELNS1_3gpuE3ELNS1_3repE0EEENS1_30default_config_static_selectorELNS0_4arch9wavefront6targetE0EEEvSY_
		.amdhsa_group_segment_fixed_size 0
		.amdhsa_private_segment_fixed_size 0
		.amdhsa_kernarg_size 144
		.amdhsa_user_sgpr_count 6
		.amdhsa_user_sgpr_private_segment_buffer 1
		.amdhsa_user_sgpr_dispatch_ptr 0
		.amdhsa_user_sgpr_queue_ptr 0
		.amdhsa_user_sgpr_kernarg_segment_ptr 1
		.amdhsa_user_sgpr_dispatch_id 0
		.amdhsa_user_sgpr_flat_scratch_init 0
		.amdhsa_user_sgpr_private_segment_size 0
		.amdhsa_wavefront_size32 1
		.amdhsa_uses_dynamic_stack 0
		.amdhsa_system_sgpr_private_segment_wavefront_offset 0
		.amdhsa_system_sgpr_workgroup_id_x 1
		.amdhsa_system_sgpr_workgroup_id_y 0
		.amdhsa_system_sgpr_workgroup_id_z 0
		.amdhsa_system_sgpr_workgroup_info 0
		.amdhsa_system_vgpr_workitem_id 0
		.amdhsa_next_free_vgpr 1
		.amdhsa_next_free_sgpr 1
		.amdhsa_reserve_vcc 0
		.amdhsa_reserve_flat_scratch 0
		.amdhsa_float_round_mode_32 0
		.amdhsa_float_round_mode_16_64 0
		.amdhsa_float_denorm_mode_32 3
		.amdhsa_float_denorm_mode_16_64 3
		.amdhsa_dx10_clamp 1
		.amdhsa_ieee_mode 1
		.amdhsa_fp16_overflow 0
		.amdhsa_workgroup_processor_mode 1
		.amdhsa_memory_ordered 1
		.amdhsa_forward_progress 1
		.amdhsa_shared_vgpr_count 0
		.amdhsa_exception_fp_ieee_invalid_op 0
		.amdhsa_exception_fp_denorm_src 0
		.amdhsa_exception_fp_ieee_div_zero 0
		.amdhsa_exception_fp_ieee_overflow 0
		.amdhsa_exception_fp_ieee_underflow 0
		.amdhsa_exception_fp_ieee_inexact 0
		.amdhsa_exception_int_div_zero 0
	.end_amdhsa_kernel
	.section	.text._ZN7rocprim17ROCPRIM_400000_NS6detail17trampoline_kernelINS0_13select_configILj256ELj13ELNS0_17block_load_methodE3ELS4_3ELS4_3ELNS0_20block_scan_algorithmE0ELj4294967295EEENS1_25partition_config_selectorILNS1_17partition_subalgoE3EjNS0_10empty_typeEbEEZZNS1_14partition_implILS8_3ELb0ES6_jNS0_17counting_iteratorIjlEEPS9_SE_NS0_5tupleIJPjSE_EEENSF_IJSE_SE_EEES9_SG_JZNS1_25segmented_radix_sort_implINS0_14default_configELb1EPKhPhPKlPlN2at6native12_GLOBAL__N_18offset_tEEE10hipError_tPvRmT1_PNSt15iterator_traitsISY_E10value_typeET2_T3_PNSZ_IS14_E10value_typeET4_jRbjT5_S1A_jjP12ihipStream_tbEUljE_EEESV_SW_SX_S14_S18_S1A_T6_T7_T9_mT8_S1C_bDpT10_ENKUlT_T0_E_clISt17integral_constantIbLb1EES1O_IbLb0EEEEDaS1K_S1L_EUlS1K_E_NS1_11comp_targetILNS1_3genE9ELNS1_11target_archE1100ELNS1_3gpuE3ELNS1_3repE0EEENS1_30default_config_static_selectorELNS0_4arch9wavefront6targetE0EEEvSY_,"axG",@progbits,_ZN7rocprim17ROCPRIM_400000_NS6detail17trampoline_kernelINS0_13select_configILj256ELj13ELNS0_17block_load_methodE3ELS4_3ELS4_3ELNS0_20block_scan_algorithmE0ELj4294967295EEENS1_25partition_config_selectorILNS1_17partition_subalgoE3EjNS0_10empty_typeEbEEZZNS1_14partition_implILS8_3ELb0ES6_jNS0_17counting_iteratorIjlEEPS9_SE_NS0_5tupleIJPjSE_EEENSF_IJSE_SE_EEES9_SG_JZNS1_25segmented_radix_sort_implINS0_14default_configELb1EPKhPhPKlPlN2at6native12_GLOBAL__N_18offset_tEEE10hipError_tPvRmT1_PNSt15iterator_traitsISY_E10value_typeET2_T3_PNSZ_IS14_E10value_typeET4_jRbjT5_S1A_jjP12ihipStream_tbEUljE_EEESV_SW_SX_S14_S18_S1A_T6_T7_T9_mT8_S1C_bDpT10_ENKUlT_T0_E_clISt17integral_constantIbLb1EES1O_IbLb0EEEEDaS1K_S1L_EUlS1K_E_NS1_11comp_targetILNS1_3genE9ELNS1_11target_archE1100ELNS1_3gpuE3ELNS1_3repE0EEENS1_30default_config_static_selectorELNS0_4arch9wavefront6targetE0EEEvSY_,comdat
.Lfunc_end72:
	.size	_ZN7rocprim17ROCPRIM_400000_NS6detail17trampoline_kernelINS0_13select_configILj256ELj13ELNS0_17block_load_methodE3ELS4_3ELS4_3ELNS0_20block_scan_algorithmE0ELj4294967295EEENS1_25partition_config_selectorILNS1_17partition_subalgoE3EjNS0_10empty_typeEbEEZZNS1_14partition_implILS8_3ELb0ES6_jNS0_17counting_iteratorIjlEEPS9_SE_NS0_5tupleIJPjSE_EEENSF_IJSE_SE_EEES9_SG_JZNS1_25segmented_radix_sort_implINS0_14default_configELb1EPKhPhPKlPlN2at6native12_GLOBAL__N_18offset_tEEE10hipError_tPvRmT1_PNSt15iterator_traitsISY_E10value_typeET2_T3_PNSZ_IS14_E10value_typeET4_jRbjT5_S1A_jjP12ihipStream_tbEUljE_EEESV_SW_SX_S14_S18_S1A_T6_T7_T9_mT8_S1C_bDpT10_ENKUlT_T0_E_clISt17integral_constantIbLb1EES1O_IbLb0EEEEDaS1K_S1L_EUlS1K_E_NS1_11comp_targetILNS1_3genE9ELNS1_11target_archE1100ELNS1_3gpuE3ELNS1_3repE0EEENS1_30default_config_static_selectorELNS0_4arch9wavefront6targetE0EEEvSY_, .Lfunc_end72-_ZN7rocprim17ROCPRIM_400000_NS6detail17trampoline_kernelINS0_13select_configILj256ELj13ELNS0_17block_load_methodE3ELS4_3ELS4_3ELNS0_20block_scan_algorithmE0ELj4294967295EEENS1_25partition_config_selectorILNS1_17partition_subalgoE3EjNS0_10empty_typeEbEEZZNS1_14partition_implILS8_3ELb0ES6_jNS0_17counting_iteratorIjlEEPS9_SE_NS0_5tupleIJPjSE_EEENSF_IJSE_SE_EEES9_SG_JZNS1_25segmented_radix_sort_implINS0_14default_configELb1EPKhPhPKlPlN2at6native12_GLOBAL__N_18offset_tEEE10hipError_tPvRmT1_PNSt15iterator_traitsISY_E10value_typeET2_T3_PNSZ_IS14_E10value_typeET4_jRbjT5_S1A_jjP12ihipStream_tbEUljE_EEESV_SW_SX_S14_S18_S1A_T6_T7_T9_mT8_S1C_bDpT10_ENKUlT_T0_E_clISt17integral_constantIbLb1EES1O_IbLb0EEEEDaS1K_S1L_EUlS1K_E_NS1_11comp_targetILNS1_3genE9ELNS1_11target_archE1100ELNS1_3gpuE3ELNS1_3repE0EEENS1_30default_config_static_selectorELNS0_4arch9wavefront6targetE0EEEvSY_
                                        ; -- End function
	.set _ZN7rocprim17ROCPRIM_400000_NS6detail17trampoline_kernelINS0_13select_configILj256ELj13ELNS0_17block_load_methodE3ELS4_3ELS4_3ELNS0_20block_scan_algorithmE0ELj4294967295EEENS1_25partition_config_selectorILNS1_17partition_subalgoE3EjNS0_10empty_typeEbEEZZNS1_14partition_implILS8_3ELb0ES6_jNS0_17counting_iteratorIjlEEPS9_SE_NS0_5tupleIJPjSE_EEENSF_IJSE_SE_EEES9_SG_JZNS1_25segmented_radix_sort_implINS0_14default_configELb1EPKhPhPKlPlN2at6native12_GLOBAL__N_18offset_tEEE10hipError_tPvRmT1_PNSt15iterator_traitsISY_E10value_typeET2_T3_PNSZ_IS14_E10value_typeET4_jRbjT5_S1A_jjP12ihipStream_tbEUljE_EEESV_SW_SX_S14_S18_S1A_T6_T7_T9_mT8_S1C_bDpT10_ENKUlT_T0_E_clISt17integral_constantIbLb1EES1O_IbLb0EEEEDaS1K_S1L_EUlS1K_E_NS1_11comp_targetILNS1_3genE9ELNS1_11target_archE1100ELNS1_3gpuE3ELNS1_3repE0EEENS1_30default_config_static_selectorELNS0_4arch9wavefront6targetE0EEEvSY_.num_vgpr, 0
	.set _ZN7rocprim17ROCPRIM_400000_NS6detail17trampoline_kernelINS0_13select_configILj256ELj13ELNS0_17block_load_methodE3ELS4_3ELS4_3ELNS0_20block_scan_algorithmE0ELj4294967295EEENS1_25partition_config_selectorILNS1_17partition_subalgoE3EjNS0_10empty_typeEbEEZZNS1_14partition_implILS8_3ELb0ES6_jNS0_17counting_iteratorIjlEEPS9_SE_NS0_5tupleIJPjSE_EEENSF_IJSE_SE_EEES9_SG_JZNS1_25segmented_radix_sort_implINS0_14default_configELb1EPKhPhPKlPlN2at6native12_GLOBAL__N_18offset_tEEE10hipError_tPvRmT1_PNSt15iterator_traitsISY_E10value_typeET2_T3_PNSZ_IS14_E10value_typeET4_jRbjT5_S1A_jjP12ihipStream_tbEUljE_EEESV_SW_SX_S14_S18_S1A_T6_T7_T9_mT8_S1C_bDpT10_ENKUlT_T0_E_clISt17integral_constantIbLb1EES1O_IbLb0EEEEDaS1K_S1L_EUlS1K_E_NS1_11comp_targetILNS1_3genE9ELNS1_11target_archE1100ELNS1_3gpuE3ELNS1_3repE0EEENS1_30default_config_static_selectorELNS0_4arch9wavefront6targetE0EEEvSY_.num_agpr, 0
	.set _ZN7rocprim17ROCPRIM_400000_NS6detail17trampoline_kernelINS0_13select_configILj256ELj13ELNS0_17block_load_methodE3ELS4_3ELS4_3ELNS0_20block_scan_algorithmE0ELj4294967295EEENS1_25partition_config_selectorILNS1_17partition_subalgoE3EjNS0_10empty_typeEbEEZZNS1_14partition_implILS8_3ELb0ES6_jNS0_17counting_iteratorIjlEEPS9_SE_NS0_5tupleIJPjSE_EEENSF_IJSE_SE_EEES9_SG_JZNS1_25segmented_radix_sort_implINS0_14default_configELb1EPKhPhPKlPlN2at6native12_GLOBAL__N_18offset_tEEE10hipError_tPvRmT1_PNSt15iterator_traitsISY_E10value_typeET2_T3_PNSZ_IS14_E10value_typeET4_jRbjT5_S1A_jjP12ihipStream_tbEUljE_EEESV_SW_SX_S14_S18_S1A_T6_T7_T9_mT8_S1C_bDpT10_ENKUlT_T0_E_clISt17integral_constantIbLb1EES1O_IbLb0EEEEDaS1K_S1L_EUlS1K_E_NS1_11comp_targetILNS1_3genE9ELNS1_11target_archE1100ELNS1_3gpuE3ELNS1_3repE0EEENS1_30default_config_static_selectorELNS0_4arch9wavefront6targetE0EEEvSY_.numbered_sgpr, 0
	.set _ZN7rocprim17ROCPRIM_400000_NS6detail17trampoline_kernelINS0_13select_configILj256ELj13ELNS0_17block_load_methodE3ELS4_3ELS4_3ELNS0_20block_scan_algorithmE0ELj4294967295EEENS1_25partition_config_selectorILNS1_17partition_subalgoE3EjNS0_10empty_typeEbEEZZNS1_14partition_implILS8_3ELb0ES6_jNS0_17counting_iteratorIjlEEPS9_SE_NS0_5tupleIJPjSE_EEENSF_IJSE_SE_EEES9_SG_JZNS1_25segmented_radix_sort_implINS0_14default_configELb1EPKhPhPKlPlN2at6native12_GLOBAL__N_18offset_tEEE10hipError_tPvRmT1_PNSt15iterator_traitsISY_E10value_typeET2_T3_PNSZ_IS14_E10value_typeET4_jRbjT5_S1A_jjP12ihipStream_tbEUljE_EEESV_SW_SX_S14_S18_S1A_T6_T7_T9_mT8_S1C_bDpT10_ENKUlT_T0_E_clISt17integral_constantIbLb1EES1O_IbLb0EEEEDaS1K_S1L_EUlS1K_E_NS1_11comp_targetILNS1_3genE9ELNS1_11target_archE1100ELNS1_3gpuE3ELNS1_3repE0EEENS1_30default_config_static_selectorELNS0_4arch9wavefront6targetE0EEEvSY_.num_named_barrier, 0
	.set _ZN7rocprim17ROCPRIM_400000_NS6detail17trampoline_kernelINS0_13select_configILj256ELj13ELNS0_17block_load_methodE3ELS4_3ELS4_3ELNS0_20block_scan_algorithmE0ELj4294967295EEENS1_25partition_config_selectorILNS1_17partition_subalgoE3EjNS0_10empty_typeEbEEZZNS1_14partition_implILS8_3ELb0ES6_jNS0_17counting_iteratorIjlEEPS9_SE_NS0_5tupleIJPjSE_EEENSF_IJSE_SE_EEES9_SG_JZNS1_25segmented_radix_sort_implINS0_14default_configELb1EPKhPhPKlPlN2at6native12_GLOBAL__N_18offset_tEEE10hipError_tPvRmT1_PNSt15iterator_traitsISY_E10value_typeET2_T3_PNSZ_IS14_E10value_typeET4_jRbjT5_S1A_jjP12ihipStream_tbEUljE_EEESV_SW_SX_S14_S18_S1A_T6_T7_T9_mT8_S1C_bDpT10_ENKUlT_T0_E_clISt17integral_constantIbLb1EES1O_IbLb0EEEEDaS1K_S1L_EUlS1K_E_NS1_11comp_targetILNS1_3genE9ELNS1_11target_archE1100ELNS1_3gpuE3ELNS1_3repE0EEENS1_30default_config_static_selectorELNS0_4arch9wavefront6targetE0EEEvSY_.private_seg_size, 0
	.set _ZN7rocprim17ROCPRIM_400000_NS6detail17trampoline_kernelINS0_13select_configILj256ELj13ELNS0_17block_load_methodE3ELS4_3ELS4_3ELNS0_20block_scan_algorithmE0ELj4294967295EEENS1_25partition_config_selectorILNS1_17partition_subalgoE3EjNS0_10empty_typeEbEEZZNS1_14partition_implILS8_3ELb0ES6_jNS0_17counting_iteratorIjlEEPS9_SE_NS0_5tupleIJPjSE_EEENSF_IJSE_SE_EEES9_SG_JZNS1_25segmented_radix_sort_implINS0_14default_configELb1EPKhPhPKlPlN2at6native12_GLOBAL__N_18offset_tEEE10hipError_tPvRmT1_PNSt15iterator_traitsISY_E10value_typeET2_T3_PNSZ_IS14_E10value_typeET4_jRbjT5_S1A_jjP12ihipStream_tbEUljE_EEESV_SW_SX_S14_S18_S1A_T6_T7_T9_mT8_S1C_bDpT10_ENKUlT_T0_E_clISt17integral_constantIbLb1EES1O_IbLb0EEEEDaS1K_S1L_EUlS1K_E_NS1_11comp_targetILNS1_3genE9ELNS1_11target_archE1100ELNS1_3gpuE3ELNS1_3repE0EEENS1_30default_config_static_selectorELNS0_4arch9wavefront6targetE0EEEvSY_.uses_vcc, 0
	.set _ZN7rocprim17ROCPRIM_400000_NS6detail17trampoline_kernelINS0_13select_configILj256ELj13ELNS0_17block_load_methodE3ELS4_3ELS4_3ELNS0_20block_scan_algorithmE0ELj4294967295EEENS1_25partition_config_selectorILNS1_17partition_subalgoE3EjNS0_10empty_typeEbEEZZNS1_14partition_implILS8_3ELb0ES6_jNS0_17counting_iteratorIjlEEPS9_SE_NS0_5tupleIJPjSE_EEENSF_IJSE_SE_EEES9_SG_JZNS1_25segmented_radix_sort_implINS0_14default_configELb1EPKhPhPKlPlN2at6native12_GLOBAL__N_18offset_tEEE10hipError_tPvRmT1_PNSt15iterator_traitsISY_E10value_typeET2_T3_PNSZ_IS14_E10value_typeET4_jRbjT5_S1A_jjP12ihipStream_tbEUljE_EEESV_SW_SX_S14_S18_S1A_T6_T7_T9_mT8_S1C_bDpT10_ENKUlT_T0_E_clISt17integral_constantIbLb1EES1O_IbLb0EEEEDaS1K_S1L_EUlS1K_E_NS1_11comp_targetILNS1_3genE9ELNS1_11target_archE1100ELNS1_3gpuE3ELNS1_3repE0EEENS1_30default_config_static_selectorELNS0_4arch9wavefront6targetE0EEEvSY_.uses_flat_scratch, 0
	.set _ZN7rocprim17ROCPRIM_400000_NS6detail17trampoline_kernelINS0_13select_configILj256ELj13ELNS0_17block_load_methodE3ELS4_3ELS4_3ELNS0_20block_scan_algorithmE0ELj4294967295EEENS1_25partition_config_selectorILNS1_17partition_subalgoE3EjNS0_10empty_typeEbEEZZNS1_14partition_implILS8_3ELb0ES6_jNS0_17counting_iteratorIjlEEPS9_SE_NS0_5tupleIJPjSE_EEENSF_IJSE_SE_EEES9_SG_JZNS1_25segmented_radix_sort_implINS0_14default_configELb1EPKhPhPKlPlN2at6native12_GLOBAL__N_18offset_tEEE10hipError_tPvRmT1_PNSt15iterator_traitsISY_E10value_typeET2_T3_PNSZ_IS14_E10value_typeET4_jRbjT5_S1A_jjP12ihipStream_tbEUljE_EEESV_SW_SX_S14_S18_S1A_T6_T7_T9_mT8_S1C_bDpT10_ENKUlT_T0_E_clISt17integral_constantIbLb1EES1O_IbLb0EEEEDaS1K_S1L_EUlS1K_E_NS1_11comp_targetILNS1_3genE9ELNS1_11target_archE1100ELNS1_3gpuE3ELNS1_3repE0EEENS1_30default_config_static_selectorELNS0_4arch9wavefront6targetE0EEEvSY_.has_dyn_sized_stack, 0
	.set _ZN7rocprim17ROCPRIM_400000_NS6detail17trampoline_kernelINS0_13select_configILj256ELj13ELNS0_17block_load_methodE3ELS4_3ELS4_3ELNS0_20block_scan_algorithmE0ELj4294967295EEENS1_25partition_config_selectorILNS1_17partition_subalgoE3EjNS0_10empty_typeEbEEZZNS1_14partition_implILS8_3ELb0ES6_jNS0_17counting_iteratorIjlEEPS9_SE_NS0_5tupleIJPjSE_EEENSF_IJSE_SE_EEES9_SG_JZNS1_25segmented_radix_sort_implINS0_14default_configELb1EPKhPhPKlPlN2at6native12_GLOBAL__N_18offset_tEEE10hipError_tPvRmT1_PNSt15iterator_traitsISY_E10value_typeET2_T3_PNSZ_IS14_E10value_typeET4_jRbjT5_S1A_jjP12ihipStream_tbEUljE_EEESV_SW_SX_S14_S18_S1A_T6_T7_T9_mT8_S1C_bDpT10_ENKUlT_T0_E_clISt17integral_constantIbLb1EES1O_IbLb0EEEEDaS1K_S1L_EUlS1K_E_NS1_11comp_targetILNS1_3genE9ELNS1_11target_archE1100ELNS1_3gpuE3ELNS1_3repE0EEENS1_30default_config_static_selectorELNS0_4arch9wavefront6targetE0EEEvSY_.has_recursion, 0
	.set _ZN7rocprim17ROCPRIM_400000_NS6detail17trampoline_kernelINS0_13select_configILj256ELj13ELNS0_17block_load_methodE3ELS4_3ELS4_3ELNS0_20block_scan_algorithmE0ELj4294967295EEENS1_25partition_config_selectorILNS1_17partition_subalgoE3EjNS0_10empty_typeEbEEZZNS1_14partition_implILS8_3ELb0ES6_jNS0_17counting_iteratorIjlEEPS9_SE_NS0_5tupleIJPjSE_EEENSF_IJSE_SE_EEES9_SG_JZNS1_25segmented_radix_sort_implINS0_14default_configELb1EPKhPhPKlPlN2at6native12_GLOBAL__N_18offset_tEEE10hipError_tPvRmT1_PNSt15iterator_traitsISY_E10value_typeET2_T3_PNSZ_IS14_E10value_typeET4_jRbjT5_S1A_jjP12ihipStream_tbEUljE_EEESV_SW_SX_S14_S18_S1A_T6_T7_T9_mT8_S1C_bDpT10_ENKUlT_T0_E_clISt17integral_constantIbLb1EES1O_IbLb0EEEEDaS1K_S1L_EUlS1K_E_NS1_11comp_targetILNS1_3genE9ELNS1_11target_archE1100ELNS1_3gpuE3ELNS1_3repE0EEENS1_30default_config_static_selectorELNS0_4arch9wavefront6targetE0EEEvSY_.has_indirect_call, 0
	.section	.AMDGPU.csdata,"",@progbits
; Kernel info:
; codeLenInByte = 0
; TotalNumSgprs: 0
; NumVgprs: 0
; ScratchSize: 0
; MemoryBound: 0
; FloatMode: 240
; IeeeMode: 1
; LDSByteSize: 0 bytes/workgroup (compile time only)
; SGPRBlocks: 0
; VGPRBlocks: 0
; NumSGPRsForWavesPerEU: 1
; NumVGPRsForWavesPerEU: 1
; Occupancy: 16
; WaveLimiterHint : 0
; COMPUTE_PGM_RSRC2:SCRATCH_EN: 0
; COMPUTE_PGM_RSRC2:USER_SGPR: 6
; COMPUTE_PGM_RSRC2:TRAP_HANDLER: 0
; COMPUTE_PGM_RSRC2:TGID_X_EN: 1
; COMPUTE_PGM_RSRC2:TGID_Y_EN: 0
; COMPUTE_PGM_RSRC2:TGID_Z_EN: 0
; COMPUTE_PGM_RSRC2:TIDIG_COMP_CNT: 0
	.section	.text._ZN7rocprim17ROCPRIM_400000_NS6detail17trampoline_kernelINS0_13select_configILj256ELj13ELNS0_17block_load_methodE3ELS4_3ELS4_3ELNS0_20block_scan_algorithmE0ELj4294967295EEENS1_25partition_config_selectorILNS1_17partition_subalgoE3EjNS0_10empty_typeEbEEZZNS1_14partition_implILS8_3ELb0ES6_jNS0_17counting_iteratorIjlEEPS9_SE_NS0_5tupleIJPjSE_EEENSF_IJSE_SE_EEES9_SG_JZNS1_25segmented_radix_sort_implINS0_14default_configELb1EPKhPhPKlPlN2at6native12_GLOBAL__N_18offset_tEEE10hipError_tPvRmT1_PNSt15iterator_traitsISY_E10value_typeET2_T3_PNSZ_IS14_E10value_typeET4_jRbjT5_S1A_jjP12ihipStream_tbEUljE_EEESV_SW_SX_S14_S18_S1A_T6_T7_T9_mT8_S1C_bDpT10_ENKUlT_T0_E_clISt17integral_constantIbLb1EES1O_IbLb0EEEEDaS1K_S1L_EUlS1K_E_NS1_11comp_targetILNS1_3genE8ELNS1_11target_archE1030ELNS1_3gpuE2ELNS1_3repE0EEENS1_30default_config_static_selectorELNS0_4arch9wavefront6targetE0EEEvSY_,"axG",@progbits,_ZN7rocprim17ROCPRIM_400000_NS6detail17trampoline_kernelINS0_13select_configILj256ELj13ELNS0_17block_load_methodE3ELS4_3ELS4_3ELNS0_20block_scan_algorithmE0ELj4294967295EEENS1_25partition_config_selectorILNS1_17partition_subalgoE3EjNS0_10empty_typeEbEEZZNS1_14partition_implILS8_3ELb0ES6_jNS0_17counting_iteratorIjlEEPS9_SE_NS0_5tupleIJPjSE_EEENSF_IJSE_SE_EEES9_SG_JZNS1_25segmented_radix_sort_implINS0_14default_configELb1EPKhPhPKlPlN2at6native12_GLOBAL__N_18offset_tEEE10hipError_tPvRmT1_PNSt15iterator_traitsISY_E10value_typeET2_T3_PNSZ_IS14_E10value_typeET4_jRbjT5_S1A_jjP12ihipStream_tbEUljE_EEESV_SW_SX_S14_S18_S1A_T6_T7_T9_mT8_S1C_bDpT10_ENKUlT_T0_E_clISt17integral_constantIbLb1EES1O_IbLb0EEEEDaS1K_S1L_EUlS1K_E_NS1_11comp_targetILNS1_3genE8ELNS1_11target_archE1030ELNS1_3gpuE2ELNS1_3repE0EEENS1_30default_config_static_selectorELNS0_4arch9wavefront6targetE0EEEvSY_,comdat
	.globl	_ZN7rocprim17ROCPRIM_400000_NS6detail17trampoline_kernelINS0_13select_configILj256ELj13ELNS0_17block_load_methodE3ELS4_3ELS4_3ELNS0_20block_scan_algorithmE0ELj4294967295EEENS1_25partition_config_selectorILNS1_17partition_subalgoE3EjNS0_10empty_typeEbEEZZNS1_14partition_implILS8_3ELb0ES6_jNS0_17counting_iteratorIjlEEPS9_SE_NS0_5tupleIJPjSE_EEENSF_IJSE_SE_EEES9_SG_JZNS1_25segmented_radix_sort_implINS0_14default_configELb1EPKhPhPKlPlN2at6native12_GLOBAL__N_18offset_tEEE10hipError_tPvRmT1_PNSt15iterator_traitsISY_E10value_typeET2_T3_PNSZ_IS14_E10value_typeET4_jRbjT5_S1A_jjP12ihipStream_tbEUljE_EEESV_SW_SX_S14_S18_S1A_T6_T7_T9_mT8_S1C_bDpT10_ENKUlT_T0_E_clISt17integral_constantIbLb1EES1O_IbLb0EEEEDaS1K_S1L_EUlS1K_E_NS1_11comp_targetILNS1_3genE8ELNS1_11target_archE1030ELNS1_3gpuE2ELNS1_3repE0EEENS1_30default_config_static_selectorELNS0_4arch9wavefront6targetE0EEEvSY_ ; -- Begin function _ZN7rocprim17ROCPRIM_400000_NS6detail17trampoline_kernelINS0_13select_configILj256ELj13ELNS0_17block_load_methodE3ELS4_3ELS4_3ELNS0_20block_scan_algorithmE0ELj4294967295EEENS1_25partition_config_selectorILNS1_17partition_subalgoE3EjNS0_10empty_typeEbEEZZNS1_14partition_implILS8_3ELb0ES6_jNS0_17counting_iteratorIjlEEPS9_SE_NS0_5tupleIJPjSE_EEENSF_IJSE_SE_EEES9_SG_JZNS1_25segmented_radix_sort_implINS0_14default_configELb1EPKhPhPKlPlN2at6native12_GLOBAL__N_18offset_tEEE10hipError_tPvRmT1_PNSt15iterator_traitsISY_E10value_typeET2_T3_PNSZ_IS14_E10value_typeET4_jRbjT5_S1A_jjP12ihipStream_tbEUljE_EEESV_SW_SX_S14_S18_S1A_T6_T7_T9_mT8_S1C_bDpT10_ENKUlT_T0_E_clISt17integral_constantIbLb1EES1O_IbLb0EEEEDaS1K_S1L_EUlS1K_E_NS1_11comp_targetILNS1_3genE8ELNS1_11target_archE1030ELNS1_3gpuE2ELNS1_3repE0EEENS1_30default_config_static_selectorELNS0_4arch9wavefront6targetE0EEEvSY_
	.p2align	8
	.type	_ZN7rocprim17ROCPRIM_400000_NS6detail17trampoline_kernelINS0_13select_configILj256ELj13ELNS0_17block_load_methodE3ELS4_3ELS4_3ELNS0_20block_scan_algorithmE0ELj4294967295EEENS1_25partition_config_selectorILNS1_17partition_subalgoE3EjNS0_10empty_typeEbEEZZNS1_14partition_implILS8_3ELb0ES6_jNS0_17counting_iteratorIjlEEPS9_SE_NS0_5tupleIJPjSE_EEENSF_IJSE_SE_EEES9_SG_JZNS1_25segmented_radix_sort_implINS0_14default_configELb1EPKhPhPKlPlN2at6native12_GLOBAL__N_18offset_tEEE10hipError_tPvRmT1_PNSt15iterator_traitsISY_E10value_typeET2_T3_PNSZ_IS14_E10value_typeET4_jRbjT5_S1A_jjP12ihipStream_tbEUljE_EEESV_SW_SX_S14_S18_S1A_T6_T7_T9_mT8_S1C_bDpT10_ENKUlT_T0_E_clISt17integral_constantIbLb1EES1O_IbLb0EEEEDaS1K_S1L_EUlS1K_E_NS1_11comp_targetILNS1_3genE8ELNS1_11target_archE1030ELNS1_3gpuE2ELNS1_3repE0EEENS1_30default_config_static_selectorELNS0_4arch9wavefront6targetE0EEEvSY_,@function
_ZN7rocprim17ROCPRIM_400000_NS6detail17trampoline_kernelINS0_13select_configILj256ELj13ELNS0_17block_load_methodE3ELS4_3ELS4_3ELNS0_20block_scan_algorithmE0ELj4294967295EEENS1_25partition_config_selectorILNS1_17partition_subalgoE3EjNS0_10empty_typeEbEEZZNS1_14partition_implILS8_3ELb0ES6_jNS0_17counting_iteratorIjlEEPS9_SE_NS0_5tupleIJPjSE_EEENSF_IJSE_SE_EEES9_SG_JZNS1_25segmented_radix_sort_implINS0_14default_configELb1EPKhPhPKlPlN2at6native12_GLOBAL__N_18offset_tEEE10hipError_tPvRmT1_PNSt15iterator_traitsISY_E10value_typeET2_T3_PNSZ_IS14_E10value_typeET4_jRbjT5_S1A_jjP12ihipStream_tbEUljE_EEESV_SW_SX_S14_S18_S1A_T6_T7_T9_mT8_S1C_bDpT10_ENKUlT_T0_E_clISt17integral_constantIbLb1EES1O_IbLb0EEEEDaS1K_S1L_EUlS1K_E_NS1_11comp_targetILNS1_3genE8ELNS1_11target_archE1030ELNS1_3gpuE2ELNS1_3repE0EEENS1_30default_config_static_selectorELNS0_4arch9wavefront6targetE0EEEvSY_: ; @_ZN7rocprim17ROCPRIM_400000_NS6detail17trampoline_kernelINS0_13select_configILj256ELj13ELNS0_17block_load_methodE3ELS4_3ELS4_3ELNS0_20block_scan_algorithmE0ELj4294967295EEENS1_25partition_config_selectorILNS1_17partition_subalgoE3EjNS0_10empty_typeEbEEZZNS1_14partition_implILS8_3ELb0ES6_jNS0_17counting_iteratorIjlEEPS9_SE_NS0_5tupleIJPjSE_EEENSF_IJSE_SE_EEES9_SG_JZNS1_25segmented_radix_sort_implINS0_14default_configELb1EPKhPhPKlPlN2at6native12_GLOBAL__N_18offset_tEEE10hipError_tPvRmT1_PNSt15iterator_traitsISY_E10value_typeET2_T3_PNSZ_IS14_E10value_typeET4_jRbjT5_S1A_jjP12ihipStream_tbEUljE_EEESV_SW_SX_S14_S18_S1A_T6_T7_T9_mT8_S1C_bDpT10_ENKUlT_T0_E_clISt17integral_constantIbLb1EES1O_IbLb0EEEEDaS1K_S1L_EUlS1K_E_NS1_11comp_targetILNS1_3genE8ELNS1_11target_archE1030ELNS1_3gpuE2ELNS1_3repE0EEENS1_30default_config_static_selectorELNS0_4arch9wavefront6targetE0EEEvSY_
; %bb.0:
	s_endpgm
	.section	.rodata,"a",@progbits
	.p2align	6, 0x0
	.amdhsa_kernel _ZN7rocprim17ROCPRIM_400000_NS6detail17trampoline_kernelINS0_13select_configILj256ELj13ELNS0_17block_load_methodE3ELS4_3ELS4_3ELNS0_20block_scan_algorithmE0ELj4294967295EEENS1_25partition_config_selectorILNS1_17partition_subalgoE3EjNS0_10empty_typeEbEEZZNS1_14partition_implILS8_3ELb0ES6_jNS0_17counting_iteratorIjlEEPS9_SE_NS0_5tupleIJPjSE_EEENSF_IJSE_SE_EEES9_SG_JZNS1_25segmented_radix_sort_implINS0_14default_configELb1EPKhPhPKlPlN2at6native12_GLOBAL__N_18offset_tEEE10hipError_tPvRmT1_PNSt15iterator_traitsISY_E10value_typeET2_T3_PNSZ_IS14_E10value_typeET4_jRbjT5_S1A_jjP12ihipStream_tbEUljE_EEESV_SW_SX_S14_S18_S1A_T6_T7_T9_mT8_S1C_bDpT10_ENKUlT_T0_E_clISt17integral_constantIbLb1EES1O_IbLb0EEEEDaS1K_S1L_EUlS1K_E_NS1_11comp_targetILNS1_3genE8ELNS1_11target_archE1030ELNS1_3gpuE2ELNS1_3repE0EEENS1_30default_config_static_selectorELNS0_4arch9wavefront6targetE0EEEvSY_
		.amdhsa_group_segment_fixed_size 0
		.amdhsa_private_segment_fixed_size 0
		.amdhsa_kernarg_size 144
		.amdhsa_user_sgpr_count 6
		.amdhsa_user_sgpr_private_segment_buffer 1
		.amdhsa_user_sgpr_dispatch_ptr 0
		.amdhsa_user_sgpr_queue_ptr 0
		.amdhsa_user_sgpr_kernarg_segment_ptr 1
		.amdhsa_user_sgpr_dispatch_id 0
		.amdhsa_user_sgpr_flat_scratch_init 0
		.amdhsa_user_sgpr_private_segment_size 0
		.amdhsa_wavefront_size32 1
		.amdhsa_uses_dynamic_stack 0
		.amdhsa_system_sgpr_private_segment_wavefront_offset 0
		.amdhsa_system_sgpr_workgroup_id_x 1
		.amdhsa_system_sgpr_workgroup_id_y 0
		.amdhsa_system_sgpr_workgroup_id_z 0
		.amdhsa_system_sgpr_workgroup_info 0
		.amdhsa_system_vgpr_workitem_id 0
		.amdhsa_next_free_vgpr 1
		.amdhsa_next_free_sgpr 1
		.amdhsa_reserve_vcc 0
		.amdhsa_reserve_flat_scratch 0
		.amdhsa_float_round_mode_32 0
		.amdhsa_float_round_mode_16_64 0
		.amdhsa_float_denorm_mode_32 3
		.amdhsa_float_denorm_mode_16_64 3
		.amdhsa_dx10_clamp 1
		.amdhsa_ieee_mode 1
		.amdhsa_fp16_overflow 0
		.amdhsa_workgroup_processor_mode 1
		.amdhsa_memory_ordered 1
		.amdhsa_forward_progress 1
		.amdhsa_shared_vgpr_count 0
		.amdhsa_exception_fp_ieee_invalid_op 0
		.amdhsa_exception_fp_denorm_src 0
		.amdhsa_exception_fp_ieee_div_zero 0
		.amdhsa_exception_fp_ieee_overflow 0
		.amdhsa_exception_fp_ieee_underflow 0
		.amdhsa_exception_fp_ieee_inexact 0
		.amdhsa_exception_int_div_zero 0
	.end_amdhsa_kernel
	.section	.text._ZN7rocprim17ROCPRIM_400000_NS6detail17trampoline_kernelINS0_13select_configILj256ELj13ELNS0_17block_load_methodE3ELS4_3ELS4_3ELNS0_20block_scan_algorithmE0ELj4294967295EEENS1_25partition_config_selectorILNS1_17partition_subalgoE3EjNS0_10empty_typeEbEEZZNS1_14partition_implILS8_3ELb0ES6_jNS0_17counting_iteratorIjlEEPS9_SE_NS0_5tupleIJPjSE_EEENSF_IJSE_SE_EEES9_SG_JZNS1_25segmented_radix_sort_implINS0_14default_configELb1EPKhPhPKlPlN2at6native12_GLOBAL__N_18offset_tEEE10hipError_tPvRmT1_PNSt15iterator_traitsISY_E10value_typeET2_T3_PNSZ_IS14_E10value_typeET4_jRbjT5_S1A_jjP12ihipStream_tbEUljE_EEESV_SW_SX_S14_S18_S1A_T6_T7_T9_mT8_S1C_bDpT10_ENKUlT_T0_E_clISt17integral_constantIbLb1EES1O_IbLb0EEEEDaS1K_S1L_EUlS1K_E_NS1_11comp_targetILNS1_3genE8ELNS1_11target_archE1030ELNS1_3gpuE2ELNS1_3repE0EEENS1_30default_config_static_selectorELNS0_4arch9wavefront6targetE0EEEvSY_,"axG",@progbits,_ZN7rocprim17ROCPRIM_400000_NS6detail17trampoline_kernelINS0_13select_configILj256ELj13ELNS0_17block_load_methodE3ELS4_3ELS4_3ELNS0_20block_scan_algorithmE0ELj4294967295EEENS1_25partition_config_selectorILNS1_17partition_subalgoE3EjNS0_10empty_typeEbEEZZNS1_14partition_implILS8_3ELb0ES6_jNS0_17counting_iteratorIjlEEPS9_SE_NS0_5tupleIJPjSE_EEENSF_IJSE_SE_EEES9_SG_JZNS1_25segmented_radix_sort_implINS0_14default_configELb1EPKhPhPKlPlN2at6native12_GLOBAL__N_18offset_tEEE10hipError_tPvRmT1_PNSt15iterator_traitsISY_E10value_typeET2_T3_PNSZ_IS14_E10value_typeET4_jRbjT5_S1A_jjP12ihipStream_tbEUljE_EEESV_SW_SX_S14_S18_S1A_T6_T7_T9_mT8_S1C_bDpT10_ENKUlT_T0_E_clISt17integral_constantIbLb1EES1O_IbLb0EEEEDaS1K_S1L_EUlS1K_E_NS1_11comp_targetILNS1_3genE8ELNS1_11target_archE1030ELNS1_3gpuE2ELNS1_3repE0EEENS1_30default_config_static_selectorELNS0_4arch9wavefront6targetE0EEEvSY_,comdat
.Lfunc_end73:
	.size	_ZN7rocprim17ROCPRIM_400000_NS6detail17trampoline_kernelINS0_13select_configILj256ELj13ELNS0_17block_load_methodE3ELS4_3ELS4_3ELNS0_20block_scan_algorithmE0ELj4294967295EEENS1_25partition_config_selectorILNS1_17partition_subalgoE3EjNS0_10empty_typeEbEEZZNS1_14partition_implILS8_3ELb0ES6_jNS0_17counting_iteratorIjlEEPS9_SE_NS0_5tupleIJPjSE_EEENSF_IJSE_SE_EEES9_SG_JZNS1_25segmented_radix_sort_implINS0_14default_configELb1EPKhPhPKlPlN2at6native12_GLOBAL__N_18offset_tEEE10hipError_tPvRmT1_PNSt15iterator_traitsISY_E10value_typeET2_T3_PNSZ_IS14_E10value_typeET4_jRbjT5_S1A_jjP12ihipStream_tbEUljE_EEESV_SW_SX_S14_S18_S1A_T6_T7_T9_mT8_S1C_bDpT10_ENKUlT_T0_E_clISt17integral_constantIbLb1EES1O_IbLb0EEEEDaS1K_S1L_EUlS1K_E_NS1_11comp_targetILNS1_3genE8ELNS1_11target_archE1030ELNS1_3gpuE2ELNS1_3repE0EEENS1_30default_config_static_selectorELNS0_4arch9wavefront6targetE0EEEvSY_, .Lfunc_end73-_ZN7rocprim17ROCPRIM_400000_NS6detail17trampoline_kernelINS0_13select_configILj256ELj13ELNS0_17block_load_methodE3ELS4_3ELS4_3ELNS0_20block_scan_algorithmE0ELj4294967295EEENS1_25partition_config_selectorILNS1_17partition_subalgoE3EjNS0_10empty_typeEbEEZZNS1_14partition_implILS8_3ELb0ES6_jNS0_17counting_iteratorIjlEEPS9_SE_NS0_5tupleIJPjSE_EEENSF_IJSE_SE_EEES9_SG_JZNS1_25segmented_radix_sort_implINS0_14default_configELb1EPKhPhPKlPlN2at6native12_GLOBAL__N_18offset_tEEE10hipError_tPvRmT1_PNSt15iterator_traitsISY_E10value_typeET2_T3_PNSZ_IS14_E10value_typeET4_jRbjT5_S1A_jjP12ihipStream_tbEUljE_EEESV_SW_SX_S14_S18_S1A_T6_T7_T9_mT8_S1C_bDpT10_ENKUlT_T0_E_clISt17integral_constantIbLb1EES1O_IbLb0EEEEDaS1K_S1L_EUlS1K_E_NS1_11comp_targetILNS1_3genE8ELNS1_11target_archE1030ELNS1_3gpuE2ELNS1_3repE0EEENS1_30default_config_static_selectorELNS0_4arch9wavefront6targetE0EEEvSY_
                                        ; -- End function
	.set _ZN7rocprim17ROCPRIM_400000_NS6detail17trampoline_kernelINS0_13select_configILj256ELj13ELNS0_17block_load_methodE3ELS4_3ELS4_3ELNS0_20block_scan_algorithmE0ELj4294967295EEENS1_25partition_config_selectorILNS1_17partition_subalgoE3EjNS0_10empty_typeEbEEZZNS1_14partition_implILS8_3ELb0ES6_jNS0_17counting_iteratorIjlEEPS9_SE_NS0_5tupleIJPjSE_EEENSF_IJSE_SE_EEES9_SG_JZNS1_25segmented_radix_sort_implINS0_14default_configELb1EPKhPhPKlPlN2at6native12_GLOBAL__N_18offset_tEEE10hipError_tPvRmT1_PNSt15iterator_traitsISY_E10value_typeET2_T3_PNSZ_IS14_E10value_typeET4_jRbjT5_S1A_jjP12ihipStream_tbEUljE_EEESV_SW_SX_S14_S18_S1A_T6_T7_T9_mT8_S1C_bDpT10_ENKUlT_T0_E_clISt17integral_constantIbLb1EES1O_IbLb0EEEEDaS1K_S1L_EUlS1K_E_NS1_11comp_targetILNS1_3genE8ELNS1_11target_archE1030ELNS1_3gpuE2ELNS1_3repE0EEENS1_30default_config_static_selectorELNS0_4arch9wavefront6targetE0EEEvSY_.num_vgpr, 0
	.set _ZN7rocprim17ROCPRIM_400000_NS6detail17trampoline_kernelINS0_13select_configILj256ELj13ELNS0_17block_load_methodE3ELS4_3ELS4_3ELNS0_20block_scan_algorithmE0ELj4294967295EEENS1_25partition_config_selectorILNS1_17partition_subalgoE3EjNS0_10empty_typeEbEEZZNS1_14partition_implILS8_3ELb0ES6_jNS0_17counting_iteratorIjlEEPS9_SE_NS0_5tupleIJPjSE_EEENSF_IJSE_SE_EEES9_SG_JZNS1_25segmented_radix_sort_implINS0_14default_configELb1EPKhPhPKlPlN2at6native12_GLOBAL__N_18offset_tEEE10hipError_tPvRmT1_PNSt15iterator_traitsISY_E10value_typeET2_T3_PNSZ_IS14_E10value_typeET4_jRbjT5_S1A_jjP12ihipStream_tbEUljE_EEESV_SW_SX_S14_S18_S1A_T6_T7_T9_mT8_S1C_bDpT10_ENKUlT_T0_E_clISt17integral_constantIbLb1EES1O_IbLb0EEEEDaS1K_S1L_EUlS1K_E_NS1_11comp_targetILNS1_3genE8ELNS1_11target_archE1030ELNS1_3gpuE2ELNS1_3repE0EEENS1_30default_config_static_selectorELNS0_4arch9wavefront6targetE0EEEvSY_.num_agpr, 0
	.set _ZN7rocprim17ROCPRIM_400000_NS6detail17trampoline_kernelINS0_13select_configILj256ELj13ELNS0_17block_load_methodE3ELS4_3ELS4_3ELNS0_20block_scan_algorithmE0ELj4294967295EEENS1_25partition_config_selectorILNS1_17partition_subalgoE3EjNS0_10empty_typeEbEEZZNS1_14partition_implILS8_3ELb0ES6_jNS0_17counting_iteratorIjlEEPS9_SE_NS0_5tupleIJPjSE_EEENSF_IJSE_SE_EEES9_SG_JZNS1_25segmented_radix_sort_implINS0_14default_configELb1EPKhPhPKlPlN2at6native12_GLOBAL__N_18offset_tEEE10hipError_tPvRmT1_PNSt15iterator_traitsISY_E10value_typeET2_T3_PNSZ_IS14_E10value_typeET4_jRbjT5_S1A_jjP12ihipStream_tbEUljE_EEESV_SW_SX_S14_S18_S1A_T6_T7_T9_mT8_S1C_bDpT10_ENKUlT_T0_E_clISt17integral_constantIbLb1EES1O_IbLb0EEEEDaS1K_S1L_EUlS1K_E_NS1_11comp_targetILNS1_3genE8ELNS1_11target_archE1030ELNS1_3gpuE2ELNS1_3repE0EEENS1_30default_config_static_selectorELNS0_4arch9wavefront6targetE0EEEvSY_.numbered_sgpr, 0
	.set _ZN7rocprim17ROCPRIM_400000_NS6detail17trampoline_kernelINS0_13select_configILj256ELj13ELNS0_17block_load_methodE3ELS4_3ELS4_3ELNS0_20block_scan_algorithmE0ELj4294967295EEENS1_25partition_config_selectorILNS1_17partition_subalgoE3EjNS0_10empty_typeEbEEZZNS1_14partition_implILS8_3ELb0ES6_jNS0_17counting_iteratorIjlEEPS9_SE_NS0_5tupleIJPjSE_EEENSF_IJSE_SE_EEES9_SG_JZNS1_25segmented_radix_sort_implINS0_14default_configELb1EPKhPhPKlPlN2at6native12_GLOBAL__N_18offset_tEEE10hipError_tPvRmT1_PNSt15iterator_traitsISY_E10value_typeET2_T3_PNSZ_IS14_E10value_typeET4_jRbjT5_S1A_jjP12ihipStream_tbEUljE_EEESV_SW_SX_S14_S18_S1A_T6_T7_T9_mT8_S1C_bDpT10_ENKUlT_T0_E_clISt17integral_constantIbLb1EES1O_IbLb0EEEEDaS1K_S1L_EUlS1K_E_NS1_11comp_targetILNS1_3genE8ELNS1_11target_archE1030ELNS1_3gpuE2ELNS1_3repE0EEENS1_30default_config_static_selectorELNS0_4arch9wavefront6targetE0EEEvSY_.num_named_barrier, 0
	.set _ZN7rocprim17ROCPRIM_400000_NS6detail17trampoline_kernelINS0_13select_configILj256ELj13ELNS0_17block_load_methodE3ELS4_3ELS4_3ELNS0_20block_scan_algorithmE0ELj4294967295EEENS1_25partition_config_selectorILNS1_17partition_subalgoE3EjNS0_10empty_typeEbEEZZNS1_14partition_implILS8_3ELb0ES6_jNS0_17counting_iteratorIjlEEPS9_SE_NS0_5tupleIJPjSE_EEENSF_IJSE_SE_EEES9_SG_JZNS1_25segmented_radix_sort_implINS0_14default_configELb1EPKhPhPKlPlN2at6native12_GLOBAL__N_18offset_tEEE10hipError_tPvRmT1_PNSt15iterator_traitsISY_E10value_typeET2_T3_PNSZ_IS14_E10value_typeET4_jRbjT5_S1A_jjP12ihipStream_tbEUljE_EEESV_SW_SX_S14_S18_S1A_T6_T7_T9_mT8_S1C_bDpT10_ENKUlT_T0_E_clISt17integral_constantIbLb1EES1O_IbLb0EEEEDaS1K_S1L_EUlS1K_E_NS1_11comp_targetILNS1_3genE8ELNS1_11target_archE1030ELNS1_3gpuE2ELNS1_3repE0EEENS1_30default_config_static_selectorELNS0_4arch9wavefront6targetE0EEEvSY_.private_seg_size, 0
	.set _ZN7rocprim17ROCPRIM_400000_NS6detail17trampoline_kernelINS0_13select_configILj256ELj13ELNS0_17block_load_methodE3ELS4_3ELS4_3ELNS0_20block_scan_algorithmE0ELj4294967295EEENS1_25partition_config_selectorILNS1_17partition_subalgoE3EjNS0_10empty_typeEbEEZZNS1_14partition_implILS8_3ELb0ES6_jNS0_17counting_iteratorIjlEEPS9_SE_NS0_5tupleIJPjSE_EEENSF_IJSE_SE_EEES9_SG_JZNS1_25segmented_radix_sort_implINS0_14default_configELb1EPKhPhPKlPlN2at6native12_GLOBAL__N_18offset_tEEE10hipError_tPvRmT1_PNSt15iterator_traitsISY_E10value_typeET2_T3_PNSZ_IS14_E10value_typeET4_jRbjT5_S1A_jjP12ihipStream_tbEUljE_EEESV_SW_SX_S14_S18_S1A_T6_T7_T9_mT8_S1C_bDpT10_ENKUlT_T0_E_clISt17integral_constantIbLb1EES1O_IbLb0EEEEDaS1K_S1L_EUlS1K_E_NS1_11comp_targetILNS1_3genE8ELNS1_11target_archE1030ELNS1_3gpuE2ELNS1_3repE0EEENS1_30default_config_static_selectorELNS0_4arch9wavefront6targetE0EEEvSY_.uses_vcc, 0
	.set _ZN7rocprim17ROCPRIM_400000_NS6detail17trampoline_kernelINS0_13select_configILj256ELj13ELNS0_17block_load_methodE3ELS4_3ELS4_3ELNS0_20block_scan_algorithmE0ELj4294967295EEENS1_25partition_config_selectorILNS1_17partition_subalgoE3EjNS0_10empty_typeEbEEZZNS1_14partition_implILS8_3ELb0ES6_jNS0_17counting_iteratorIjlEEPS9_SE_NS0_5tupleIJPjSE_EEENSF_IJSE_SE_EEES9_SG_JZNS1_25segmented_radix_sort_implINS0_14default_configELb1EPKhPhPKlPlN2at6native12_GLOBAL__N_18offset_tEEE10hipError_tPvRmT1_PNSt15iterator_traitsISY_E10value_typeET2_T3_PNSZ_IS14_E10value_typeET4_jRbjT5_S1A_jjP12ihipStream_tbEUljE_EEESV_SW_SX_S14_S18_S1A_T6_T7_T9_mT8_S1C_bDpT10_ENKUlT_T0_E_clISt17integral_constantIbLb1EES1O_IbLb0EEEEDaS1K_S1L_EUlS1K_E_NS1_11comp_targetILNS1_3genE8ELNS1_11target_archE1030ELNS1_3gpuE2ELNS1_3repE0EEENS1_30default_config_static_selectorELNS0_4arch9wavefront6targetE0EEEvSY_.uses_flat_scratch, 0
	.set _ZN7rocprim17ROCPRIM_400000_NS6detail17trampoline_kernelINS0_13select_configILj256ELj13ELNS0_17block_load_methodE3ELS4_3ELS4_3ELNS0_20block_scan_algorithmE0ELj4294967295EEENS1_25partition_config_selectorILNS1_17partition_subalgoE3EjNS0_10empty_typeEbEEZZNS1_14partition_implILS8_3ELb0ES6_jNS0_17counting_iteratorIjlEEPS9_SE_NS0_5tupleIJPjSE_EEENSF_IJSE_SE_EEES9_SG_JZNS1_25segmented_radix_sort_implINS0_14default_configELb1EPKhPhPKlPlN2at6native12_GLOBAL__N_18offset_tEEE10hipError_tPvRmT1_PNSt15iterator_traitsISY_E10value_typeET2_T3_PNSZ_IS14_E10value_typeET4_jRbjT5_S1A_jjP12ihipStream_tbEUljE_EEESV_SW_SX_S14_S18_S1A_T6_T7_T9_mT8_S1C_bDpT10_ENKUlT_T0_E_clISt17integral_constantIbLb1EES1O_IbLb0EEEEDaS1K_S1L_EUlS1K_E_NS1_11comp_targetILNS1_3genE8ELNS1_11target_archE1030ELNS1_3gpuE2ELNS1_3repE0EEENS1_30default_config_static_selectorELNS0_4arch9wavefront6targetE0EEEvSY_.has_dyn_sized_stack, 0
	.set _ZN7rocprim17ROCPRIM_400000_NS6detail17trampoline_kernelINS0_13select_configILj256ELj13ELNS0_17block_load_methodE3ELS4_3ELS4_3ELNS0_20block_scan_algorithmE0ELj4294967295EEENS1_25partition_config_selectorILNS1_17partition_subalgoE3EjNS0_10empty_typeEbEEZZNS1_14partition_implILS8_3ELb0ES6_jNS0_17counting_iteratorIjlEEPS9_SE_NS0_5tupleIJPjSE_EEENSF_IJSE_SE_EEES9_SG_JZNS1_25segmented_radix_sort_implINS0_14default_configELb1EPKhPhPKlPlN2at6native12_GLOBAL__N_18offset_tEEE10hipError_tPvRmT1_PNSt15iterator_traitsISY_E10value_typeET2_T3_PNSZ_IS14_E10value_typeET4_jRbjT5_S1A_jjP12ihipStream_tbEUljE_EEESV_SW_SX_S14_S18_S1A_T6_T7_T9_mT8_S1C_bDpT10_ENKUlT_T0_E_clISt17integral_constantIbLb1EES1O_IbLb0EEEEDaS1K_S1L_EUlS1K_E_NS1_11comp_targetILNS1_3genE8ELNS1_11target_archE1030ELNS1_3gpuE2ELNS1_3repE0EEENS1_30default_config_static_selectorELNS0_4arch9wavefront6targetE0EEEvSY_.has_recursion, 0
	.set _ZN7rocprim17ROCPRIM_400000_NS6detail17trampoline_kernelINS0_13select_configILj256ELj13ELNS0_17block_load_methodE3ELS4_3ELS4_3ELNS0_20block_scan_algorithmE0ELj4294967295EEENS1_25partition_config_selectorILNS1_17partition_subalgoE3EjNS0_10empty_typeEbEEZZNS1_14partition_implILS8_3ELb0ES6_jNS0_17counting_iteratorIjlEEPS9_SE_NS0_5tupleIJPjSE_EEENSF_IJSE_SE_EEES9_SG_JZNS1_25segmented_radix_sort_implINS0_14default_configELb1EPKhPhPKlPlN2at6native12_GLOBAL__N_18offset_tEEE10hipError_tPvRmT1_PNSt15iterator_traitsISY_E10value_typeET2_T3_PNSZ_IS14_E10value_typeET4_jRbjT5_S1A_jjP12ihipStream_tbEUljE_EEESV_SW_SX_S14_S18_S1A_T6_T7_T9_mT8_S1C_bDpT10_ENKUlT_T0_E_clISt17integral_constantIbLb1EES1O_IbLb0EEEEDaS1K_S1L_EUlS1K_E_NS1_11comp_targetILNS1_3genE8ELNS1_11target_archE1030ELNS1_3gpuE2ELNS1_3repE0EEENS1_30default_config_static_selectorELNS0_4arch9wavefront6targetE0EEEvSY_.has_indirect_call, 0
	.section	.AMDGPU.csdata,"",@progbits
; Kernel info:
; codeLenInByte = 4
; TotalNumSgprs: 0
; NumVgprs: 0
; ScratchSize: 0
; MemoryBound: 0
; FloatMode: 240
; IeeeMode: 1
; LDSByteSize: 0 bytes/workgroup (compile time only)
; SGPRBlocks: 0
; VGPRBlocks: 0
; NumSGPRsForWavesPerEU: 1
; NumVGPRsForWavesPerEU: 1
; Occupancy: 16
; WaveLimiterHint : 0
; COMPUTE_PGM_RSRC2:SCRATCH_EN: 0
; COMPUTE_PGM_RSRC2:USER_SGPR: 6
; COMPUTE_PGM_RSRC2:TRAP_HANDLER: 0
; COMPUTE_PGM_RSRC2:TGID_X_EN: 1
; COMPUTE_PGM_RSRC2:TGID_Y_EN: 0
; COMPUTE_PGM_RSRC2:TGID_Z_EN: 0
; COMPUTE_PGM_RSRC2:TIDIG_COMP_CNT: 0
	.section	.text._ZN7rocprim17ROCPRIM_400000_NS6detail31init_lookback_scan_state_kernelINS1_19lookback_scan_stateIjLb0ELb1EEENS1_16block_id_wrapperIjLb1EEEEEvT_jT0_jPNS7_10value_typeE,"axG",@progbits,_ZN7rocprim17ROCPRIM_400000_NS6detail31init_lookback_scan_state_kernelINS1_19lookback_scan_stateIjLb0ELb1EEENS1_16block_id_wrapperIjLb1EEEEEvT_jT0_jPNS7_10value_typeE,comdat
	.protected	_ZN7rocprim17ROCPRIM_400000_NS6detail31init_lookback_scan_state_kernelINS1_19lookback_scan_stateIjLb0ELb1EEENS1_16block_id_wrapperIjLb1EEEEEvT_jT0_jPNS7_10value_typeE ; -- Begin function _ZN7rocprim17ROCPRIM_400000_NS6detail31init_lookback_scan_state_kernelINS1_19lookback_scan_stateIjLb0ELb1EEENS1_16block_id_wrapperIjLb1EEEEEvT_jT0_jPNS7_10value_typeE
	.globl	_ZN7rocprim17ROCPRIM_400000_NS6detail31init_lookback_scan_state_kernelINS1_19lookback_scan_stateIjLb0ELb1EEENS1_16block_id_wrapperIjLb1EEEEEvT_jT0_jPNS7_10value_typeE
	.p2align	8
	.type	_ZN7rocprim17ROCPRIM_400000_NS6detail31init_lookback_scan_state_kernelINS1_19lookback_scan_stateIjLb0ELb1EEENS1_16block_id_wrapperIjLb1EEEEEvT_jT0_jPNS7_10value_typeE,@function
_ZN7rocprim17ROCPRIM_400000_NS6detail31init_lookback_scan_state_kernelINS1_19lookback_scan_stateIjLb0ELb1EEENS1_16block_id_wrapperIjLb1EEEEEvT_jT0_jPNS7_10value_typeE: ; @_ZN7rocprim17ROCPRIM_400000_NS6detail31init_lookback_scan_state_kernelINS1_19lookback_scan_stateIjLb0ELb1EEENS1_16block_id_wrapperIjLb1EEEEEvT_jT0_jPNS7_10value_typeE
; %bb.0:
	s_clause 0x3
	s_load_dword s7, s[4:5], 0x34
	s_load_dwordx2 s[2:3], s[4:5], 0x20
	s_load_dwordx2 s[0:1], s[4:5], 0x0
	s_load_dword s8, s[4:5], 0x8
	s_waitcnt lgkmcnt(0)
	s_and_b32 s7, s7, 0xffff
	s_cmp_eq_u64 s[2:3], 0
	v_mad_u64_u32 v[0:1], null, s6, s7, v[0:1]
	s_cbranch_scc1 .LBB74_6
; %bb.1:
	s_load_dword s6, s[4:5], 0x18
	s_waitcnt lgkmcnt(0)
	s_cmp_lt_u32 s6, s8
	s_cselect_b32 s7, s6, 0
	v_cmp_eq_u32_e32 vcc_lo, s7, v0
	s_mov_b32 s7, 0
	s_and_saveexec_b32 s9, vcc_lo
	s_cbranch_execz .LBB74_5
; %bb.2:
	s_add_i32 s6, s6, 32
	v_mov_b32_e32 v3, 0
	s_lshl_b64 s[6:7], s[6:7], 3
	s_add_u32 s6, s0, s6
	s_addc_u32 s7, s1, s7
	global_load_dwordx2 v[1:2], v3, s[6:7] glc dlc
	s_waitcnt vmcnt(0)
	v_and_b32_e32 v4, 0xff, v2
	v_cmp_ne_u64_e32 vcc_lo, 0, v[3:4]
	s_cbranch_vccnz .LBB74_4
.LBB74_3:                               ; =>This Inner Loop Header: Depth=1
	global_load_dwordx2 v[1:2], v3, s[6:7] glc dlc
	s_waitcnt vmcnt(0)
	v_and_b32_e32 v4, 0xff, v2
	v_cmp_eq_u64_e32 vcc_lo, 0, v[3:4]
	s_cbranch_vccnz .LBB74_3
.LBB74_4:
	v_mov_b32_e32 v2, 0
	global_store_dword v2, v1, s[2:3]
.LBB74_5:
	s_or_b32 exec_lo, exec_lo, s9
.LBB74_6:
	s_mov_b32 s2, exec_lo
	v_cmpx_eq_u32_e32 0, v0
	s_cbranch_execz .LBB74_8
; %bb.7:
	s_load_dwordx2 s[4:5], s[4:5], 0x10
	v_mov_b32_e32 v1, 0
	s_waitcnt lgkmcnt(0)
	global_store_dword v1, v1, s[4:5]
.LBB74_8:
	s_or_b32 exec_lo, exec_lo, s2
	s_mov_b32 s2, exec_lo
	v_cmpx_gt_u32_e64 s8, v0
	s_cbranch_execz .LBB74_10
; %bb.9:
	v_add_nc_u32_e32 v1, 32, v0
	v_mov_b32_e32 v2, 0
	v_lshlrev_b64 v[3:4], 3, v[1:2]
	v_mov_b32_e32 v1, v2
	v_add_co_u32 v3, vcc_lo, s0, v3
	v_add_co_ci_u32_e64 v4, null, s1, v4, vcc_lo
	global_store_dwordx2 v[3:4], v[1:2], off
.LBB74_10:
	s_or_b32 exec_lo, exec_lo, s2
	s_mov_b32 s2, exec_lo
	v_cmpx_gt_u32_e32 32, v0
	s_cbranch_execz .LBB74_12
; %bb.11:
	v_mov_b32_e32 v1, 0
	v_mov_b32_e32 v4, 0xff
	v_lshlrev_b64 v[2:3], 3, v[0:1]
	v_add_co_u32 v5, vcc_lo, s0, v2
	v_add_co_ci_u32_e64 v6, null, s1, v3, vcc_lo
	v_mov_b32_e32 v3, v1
	global_store_dwordx2 v[5:6], v[3:4], off
.LBB74_12:
	s_endpgm
	.section	.rodata,"a",@progbits
	.p2align	6, 0x0
	.amdhsa_kernel _ZN7rocprim17ROCPRIM_400000_NS6detail31init_lookback_scan_state_kernelINS1_19lookback_scan_stateIjLb0ELb1EEENS1_16block_id_wrapperIjLb1EEEEEvT_jT0_jPNS7_10value_typeE
		.amdhsa_group_segment_fixed_size 0
		.amdhsa_private_segment_fixed_size 0
		.amdhsa_kernarg_size 296
		.amdhsa_user_sgpr_count 6
		.amdhsa_user_sgpr_private_segment_buffer 1
		.amdhsa_user_sgpr_dispatch_ptr 0
		.amdhsa_user_sgpr_queue_ptr 0
		.amdhsa_user_sgpr_kernarg_segment_ptr 1
		.amdhsa_user_sgpr_dispatch_id 0
		.amdhsa_user_sgpr_flat_scratch_init 0
		.amdhsa_user_sgpr_private_segment_size 0
		.amdhsa_wavefront_size32 1
		.amdhsa_uses_dynamic_stack 0
		.amdhsa_system_sgpr_private_segment_wavefront_offset 0
		.amdhsa_system_sgpr_workgroup_id_x 1
		.amdhsa_system_sgpr_workgroup_id_y 0
		.amdhsa_system_sgpr_workgroup_id_z 0
		.amdhsa_system_sgpr_workgroup_info 0
		.amdhsa_system_vgpr_workitem_id 0
		.amdhsa_next_free_vgpr 7
		.amdhsa_next_free_sgpr 10
		.amdhsa_reserve_vcc 1
		.amdhsa_reserve_flat_scratch 0
		.amdhsa_float_round_mode_32 0
		.amdhsa_float_round_mode_16_64 0
		.amdhsa_float_denorm_mode_32 3
		.amdhsa_float_denorm_mode_16_64 3
		.amdhsa_dx10_clamp 1
		.amdhsa_ieee_mode 1
		.amdhsa_fp16_overflow 0
		.amdhsa_workgroup_processor_mode 1
		.amdhsa_memory_ordered 1
		.amdhsa_forward_progress 1
		.amdhsa_shared_vgpr_count 0
		.amdhsa_exception_fp_ieee_invalid_op 0
		.amdhsa_exception_fp_denorm_src 0
		.amdhsa_exception_fp_ieee_div_zero 0
		.amdhsa_exception_fp_ieee_overflow 0
		.amdhsa_exception_fp_ieee_underflow 0
		.amdhsa_exception_fp_ieee_inexact 0
		.amdhsa_exception_int_div_zero 0
	.end_amdhsa_kernel
	.section	.text._ZN7rocprim17ROCPRIM_400000_NS6detail31init_lookback_scan_state_kernelINS1_19lookback_scan_stateIjLb0ELb1EEENS1_16block_id_wrapperIjLb1EEEEEvT_jT0_jPNS7_10value_typeE,"axG",@progbits,_ZN7rocprim17ROCPRIM_400000_NS6detail31init_lookback_scan_state_kernelINS1_19lookback_scan_stateIjLb0ELb1EEENS1_16block_id_wrapperIjLb1EEEEEvT_jT0_jPNS7_10value_typeE,comdat
.Lfunc_end74:
	.size	_ZN7rocprim17ROCPRIM_400000_NS6detail31init_lookback_scan_state_kernelINS1_19lookback_scan_stateIjLb0ELb1EEENS1_16block_id_wrapperIjLb1EEEEEvT_jT0_jPNS7_10value_typeE, .Lfunc_end74-_ZN7rocprim17ROCPRIM_400000_NS6detail31init_lookback_scan_state_kernelINS1_19lookback_scan_stateIjLb0ELb1EEENS1_16block_id_wrapperIjLb1EEEEEvT_jT0_jPNS7_10value_typeE
                                        ; -- End function
	.set _ZN7rocprim17ROCPRIM_400000_NS6detail31init_lookback_scan_state_kernelINS1_19lookback_scan_stateIjLb0ELb1EEENS1_16block_id_wrapperIjLb1EEEEEvT_jT0_jPNS7_10value_typeE.num_vgpr, 7
	.set _ZN7rocprim17ROCPRIM_400000_NS6detail31init_lookback_scan_state_kernelINS1_19lookback_scan_stateIjLb0ELb1EEENS1_16block_id_wrapperIjLb1EEEEEvT_jT0_jPNS7_10value_typeE.num_agpr, 0
	.set _ZN7rocprim17ROCPRIM_400000_NS6detail31init_lookback_scan_state_kernelINS1_19lookback_scan_stateIjLb0ELb1EEENS1_16block_id_wrapperIjLb1EEEEEvT_jT0_jPNS7_10value_typeE.numbered_sgpr, 10
	.set _ZN7rocprim17ROCPRIM_400000_NS6detail31init_lookback_scan_state_kernelINS1_19lookback_scan_stateIjLb0ELb1EEENS1_16block_id_wrapperIjLb1EEEEEvT_jT0_jPNS7_10value_typeE.num_named_barrier, 0
	.set _ZN7rocprim17ROCPRIM_400000_NS6detail31init_lookback_scan_state_kernelINS1_19lookback_scan_stateIjLb0ELb1EEENS1_16block_id_wrapperIjLb1EEEEEvT_jT0_jPNS7_10value_typeE.private_seg_size, 0
	.set _ZN7rocprim17ROCPRIM_400000_NS6detail31init_lookback_scan_state_kernelINS1_19lookback_scan_stateIjLb0ELb1EEENS1_16block_id_wrapperIjLb1EEEEEvT_jT0_jPNS7_10value_typeE.uses_vcc, 1
	.set _ZN7rocprim17ROCPRIM_400000_NS6detail31init_lookback_scan_state_kernelINS1_19lookback_scan_stateIjLb0ELb1EEENS1_16block_id_wrapperIjLb1EEEEEvT_jT0_jPNS7_10value_typeE.uses_flat_scratch, 0
	.set _ZN7rocprim17ROCPRIM_400000_NS6detail31init_lookback_scan_state_kernelINS1_19lookback_scan_stateIjLb0ELb1EEENS1_16block_id_wrapperIjLb1EEEEEvT_jT0_jPNS7_10value_typeE.has_dyn_sized_stack, 0
	.set _ZN7rocprim17ROCPRIM_400000_NS6detail31init_lookback_scan_state_kernelINS1_19lookback_scan_stateIjLb0ELb1EEENS1_16block_id_wrapperIjLb1EEEEEvT_jT0_jPNS7_10value_typeE.has_recursion, 0
	.set _ZN7rocprim17ROCPRIM_400000_NS6detail31init_lookback_scan_state_kernelINS1_19lookback_scan_stateIjLb0ELb1EEENS1_16block_id_wrapperIjLb1EEEEEvT_jT0_jPNS7_10value_typeE.has_indirect_call, 0
	.section	.AMDGPU.csdata,"",@progbits
; Kernel info:
; codeLenInByte = 360
; TotalNumSgprs: 12
; NumVgprs: 7
; ScratchSize: 0
; MemoryBound: 0
; FloatMode: 240
; IeeeMode: 1
; LDSByteSize: 0 bytes/workgroup (compile time only)
; SGPRBlocks: 0
; VGPRBlocks: 0
; NumSGPRsForWavesPerEU: 12
; NumVGPRsForWavesPerEU: 7
; Occupancy: 16
; WaveLimiterHint : 0
; COMPUTE_PGM_RSRC2:SCRATCH_EN: 0
; COMPUTE_PGM_RSRC2:USER_SGPR: 6
; COMPUTE_PGM_RSRC2:TRAP_HANDLER: 0
; COMPUTE_PGM_RSRC2:TGID_X_EN: 1
; COMPUTE_PGM_RSRC2:TGID_Y_EN: 0
; COMPUTE_PGM_RSRC2:TGID_Z_EN: 0
; COMPUTE_PGM_RSRC2:TIDIG_COMP_CNT: 0
	.section	.text._ZN7rocprim17ROCPRIM_400000_NS6detail17trampoline_kernelINS0_13select_configILj256ELj13ELNS0_17block_load_methodE3ELS4_3ELS4_3ELNS0_20block_scan_algorithmE0ELj4294967295EEENS1_25partition_config_selectorILNS1_17partition_subalgoE3EjNS0_10empty_typeEbEEZZNS1_14partition_implILS8_3ELb0ES6_jNS0_17counting_iteratorIjlEEPS9_SE_NS0_5tupleIJPjSE_EEENSF_IJSE_SE_EEES9_SG_JZNS1_25segmented_radix_sort_implINS0_14default_configELb1EPKhPhPKlPlN2at6native12_GLOBAL__N_18offset_tEEE10hipError_tPvRmT1_PNSt15iterator_traitsISY_E10value_typeET2_T3_PNSZ_IS14_E10value_typeET4_jRbjT5_S1A_jjP12ihipStream_tbEUljE_EEESV_SW_SX_S14_S18_S1A_T6_T7_T9_mT8_S1C_bDpT10_ENKUlT_T0_E_clISt17integral_constantIbLb0EES1O_IbLb1EEEEDaS1K_S1L_EUlS1K_E_NS1_11comp_targetILNS1_3genE0ELNS1_11target_archE4294967295ELNS1_3gpuE0ELNS1_3repE0EEENS1_30default_config_static_selectorELNS0_4arch9wavefront6targetE0EEEvSY_,"axG",@progbits,_ZN7rocprim17ROCPRIM_400000_NS6detail17trampoline_kernelINS0_13select_configILj256ELj13ELNS0_17block_load_methodE3ELS4_3ELS4_3ELNS0_20block_scan_algorithmE0ELj4294967295EEENS1_25partition_config_selectorILNS1_17partition_subalgoE3EjNS0_10empty_typeEbEEZZNS1_14partition_implILS8_3ELb0ES6_jNS0_17counting_iteratorIjlEEPS9_SE_NS0_5tupleIJPjSE_EEENSF_IJSE_SE_EEES9_SG_JZNS1_25segmented_radix_sort_implINS0_14default_configELb1EPKhPhPKlPlN2at6native12_GLOBAL__N_18offset_tEEE10hipError_tPvRmT1_PNSt15iterator_traitsISY_E10value_typeET2_T3_PNSZ_IS14_E10value_typeET4_jRbjT5_S1A_jjP12ihipStream_tbEUljE_EEESV_SW_SX_S14_S18_S1A_T6_T7_T9_mT8_S1C_bDpT10_ENKUlT_T0_E_clISt17integral_constantIbLb0EES1O_IbLb1EEEEDaS1K_S1L_EUlS1K_E_NS1_11comp_targetILNS1_3genE0ELNS1_11target_archE4294967295ELNS1_3gpuE0ELNS1_3repE0EEENS1_30default_config_static_selectorELNS0_4arch9wavefront6targetE0EEEvSY_,comdat
	.globl	_ZN7rocprim17ROCPRIM_400000_NS6detail17trampoline_kernelINS0_13select_configILj256ELj13ELNS0_17block_load_methodE3ELS4_3ELS4_3ELNS0_20block_scan_algorithmE0ELj4294967295EEENS1_25partition_config_selectorILNS1_17partition_subalgoE3EjNS0_10empty_typeEbEEZZNS1_14partition_implILS8_3ELb0ES6_jNS0_17counting_iteratorIjlEEPS9_SE_NS0_5tupleIJPjSE_EEENSF_IJSE_SE_EEES9_SG_JZNS1_25segmented_radix_sort_implINS0_14default_configELb1EPKhPhPKlPlN2at6native12_GLOBAL__N_18offset_tEEE10hipError_tPvRmT1_PNSt15iterator_traitsISY_E10value_typeET2_T3_PNSZ_IS14_E10value_typeET4_jRbjT5_S1A_jjP12ihipStream_tbEUljE_EEESV_SW_SX_S14_S18_S1A_T6_T7_T9_mT8_S1C_bDpT10_ENKUlT_T0_E_clISt17integral_constantIbLb0EES1O_IbLb1EEEEDaS1K_S1L_EUlS1K_E_NS1_11comp_targetILNS1_3genE0ELNS1_11target_archE4294967295ELNS1_3gpuE0ELNS1_3repE0EEENS1_30default_config_static_selectorELNS0_4arch9wavefront6targetE0EEEvSY_ ; -- Begin function _ZN7rocprim17ROCPRIM_400000_NS6detail17trampoline_kernelINS0_13select_configILj256ELj13ELNS0_17block_load_methodE3ELS4_3ELS4_3ELNS0_20block_scan_algorithmE0ELj4294967295EEENS1_25partition_config_selectorILNS1_17partition_subalgoE3EjNS0_10empty_typeEbEEZZNS1_14partition_implILS8_3ELb0ES6_jNS0_17counting_iteratorIjlEEPS9_SE_NS0_5tupleIJPjSE_EEENSF_IJSE_SE_EEES9_SG_JZNS1_25segmented_radix_sort_implINS0_14default_configELb1EPKhPhPKlPlN2at6native12_GLOBAL__N_18offset_tEEE10hipError_tPvRmT1_PNSt15iterator_traitsISY_E10value_typeET2_T3_PNSZ_IS14_E10value_typeET4_jRbjT5_S1A_jjP12ihipStream_tbEUljE_EEESV_SW_SX_S14_S18_S1A_T6_T7_T9_mT8_S1C_bDpT10_ENKUlT_T0_E_clISt17integral_constantIbLb0EES1O_IbLb1EEEEDaS1K_S1L_EUlS1K_E_NS1_11comp_targetILNS1_3genE0ELNS1_11target_archE4294967295ELNS1_3gpuE0ELNS1_3repE0EEENS1_30default_config_static_selectorELNS0_4arch9wavefront6targetE0EEEvSY_
	.p2align	8
	.type	_ZN7rocprim17ROCPRIM_400000_NS6detail17trampoline_kernelINS0_13select_configILj256ELj13ELNS0_17block_load_methodE3ELS4_3ELS4_3ELNS0_20block_scan_algorithmE0ELj4294967295EEENS1_25partition_config_selectorILNS1_17partition_subalgoE3EjNS0_10empty_typeEbEEZZNS1_14partition_implILS8_3ELb0ES6_jNS0_17counting_iteratorIjlEEPS9_SE_NS0_5tupleIJPjSE_EEENSF_IJSE_SE_EEES9_SG_JZNS1_25segmented_radix_sort_implINS0_14default_configELb1EPKhPhPKlPlN2at6native12_GLOBAL__N_18offset_tEEE10hipError_tPvRmT1_PNSt15iterator_traitsISY_E10value_typeET2_T3_PNSZ_IS14_E10value_typeET4_jRbjT5_S1A_jjP12ihipStream_tbEUljE_EEESV_SW_SX_S14_S18_S1A_T6_T7_T9_mT8_S1C_bDpT10_ENKUlT_T0_E_clISt17integral_constantIbLb0EES1O_IbLb1EEEEDaS1K_S1L_EUlS1K_E_NS1_11comp_targetILNS1_3genE0ELNS1_11target_archE4294967295ELNS1_3gpuE0ELNS1_3repE0EEENS1_30default_config_static_selectorELNS0_4arch9wavefront6targetE0EEEvSY_,@function
_ZN7rocprim17ROCPRIM_400000_NS6detail17trampoline_kernelINS0_13select_configILj256ELj13ELNS0_17block_load_methodE3ELS4_3ELS4_3ELNS0_20block_scan_algorithmE0ELj4294967295EEENS1_25partition_config_selectorILNS1_17partition_subalgoE3EjNS0_10empty_typeEbEEZZNS1_14partition_implILS8_3ELb0ES6_jNS0_17counting_iteratorIjlEEPS9_SE_NS0_5tupleIJPjSE_EEENSF_IJSE_SE_EEES9_SG_JZNS1_25segmented_radix_sort_implINS0_14default_configELb1EPKhPhPKlPlN2at6native12_GLOBAL__N_18offset_tEEE10hipError_tPvRmT1_PNSt15iterator_traitsISY_E10value_typeET2_T3_PNSZ_IS14_E10value_typeET4_jRbjT5_S1A_jjP12ihipStream_tbEUljE_EEESV_SW_SX_S14_S18_S1A_T6_T7_T9_mT8_S1C_bDpT10_ENKUlT_T0_E_clISt17integral_constantIbLb0EES1O_IbLb1EEEEDaS1K_S1L_EUlS1K_E_NS1_11comp_targetILNS1_3genE0ELNS1_11target_archE4294967295ELNS1_3gpuE0ELNS1_3repE0EEENS1_30default_config_static_selectorELNS0_4arch9wavefront6targetE0EEEvSY_: ; @_ZN7rocprim17ROCPRIM_400000_NS6detail17trampoline_kernelINS0_13select_configILj256ELj13ELNS0_17block_load_methodE3ELS4_3ELS4_3ELNS0_20block_scan_algorithmE0ELj4294967295EEENS1_25partition_config_selectorILNS1_17partition_subalgoE3EjNS0_10empty_typeEbEEZZNS1_14partition_implILS8_3ELb0ES6_jNS0_17counting_iteratorIjlEEPS9_SE_NS0_5tupleIJPjSE_EEENSF_IJSE_SE_EEES9_SG_JZNS1_25segmented_radix_sort_implINS0_14default_configELb1EPKhPhPKlPlN2at6native12_GLOBAL__N_18offset_tEEE10hipError_tPvRmT1_PNSt15iterator_traitsISY_E10value_typeET2_T3_PNSZ_IS14_E10value_typeET4_jRbjT5_S1A_jjP12ihipStream_tbEUljE_EEESV_SW_SX_S14_S18_S1A_T6_T7_T9_mT8_S1C_bDpT10_ENKUlT_T0_E_clISt17integral_constantIbLb0EES1O_IbLb1EEEEDaS1K_S1L_EUlS1K_E_NS1_11comp_targetILNS1_3genE0ELNS1_11target_archE4294967295ELNS1_3gpuE0ELNS1_3repE0EEENS1_30default_config_static_selectorELNS0_4arch9wavefront6targetE0EEEvSY_
; %bb.0:
	.section	.rodata,"a",@progbits
	.p2align	6, 0x0
	.amdhsa_kernel _ZN7rocprim17ROCPRIM_400000_NS6detail17trampoline_kernelINS0_13select_configILj256ELj13ELNS0_17block_load_methodE3ELS4_3ELS4_3ELNS0_20block_scan_algorithmE0ELj4294967295EEENS1_25partition_config_selectorILNS1_17partition_subalgoE3EjNS0_10empty_typeEbEEZZNS1_14partition_implILS8_3ELb0ES6_jNS0_17counting_iteratorIjlEEPS9_SE_NS0_5tupleIJPjSE_EEENSF_IJSE_SE_EEES9_SG_JZNS1_25segmented_radix_sort_implINS0_14default_configELb1EPKhPhPKlPlN2at6native12_GLOBAL__N_18offset_tEEE10hipError_tPvRmT1_PNSt15iterator_traitsISY_E10value_typeET2_T3_PNSZ_IS14_E10value_typeET4_jRbjT5_S1A_jjP12ihipStream_tbEUljE_EEESV_SW_SX_S14_S18_S1A_T6_T7_T9_mT8_S1C_bDpT10_ENKUlT_T0_E_clISt17integral_constantIbLb0EES1O_IbLb1EEEEDaS1K_S1L_EUlS1K_E_NS1_11comp_targetILNS1_3genE0ELNS1_11target_archE4294967295ELNS1_3gpuE0ELNS1_3repE0EEENS1_30default_config_static_selectorELNS0_4arch9wavefront6targetE0EEEvSY_
		.amdhsa_group_segment_fixed_size 0
		.amdhsa_private_segment_fixed_size 0
		.amdhsa_kernarg_size 152
		.amdhsa_user_sgpr_count 6
		.amdhsa_user_sgpr_private_segment_buffer 1
		.amdhsa_user_sgpr_dispatch_ptr 0
		.amdhsa_user_sgpr_queue_ptr 0
		.amdhsa_user_sgpr_kernarg_segment_ptr 1
		.amdhsa_user_sgpr_dispatch_id 0
		.amdhsa_user_sgpr_flat_scratch_init 0
		.amdhsa_user_sgpr_private_segment_size 0
		.amdhsa_wavefront_size32 1
		.amdhsa_uses_dynamic_stack 0
		.amdhsa_system_sgpr_private_segment_wavefront_offset 0
		.amdhsa_system_sgpr_workgroup_id_x 1
		.amdhsa_system_sgpr_workgroup_id_y 0
		.amdhsa_system_sgpr_workgroup_id_z 0
		.amdhsa_system_sgpr_workgroup_info 0
		.amdhsa_system_vgpr_workitem_id 0
		.amdhsa_next_free_vgpr 1
		.amdhsa_next_free_sgpr 1
		.amdhsa_reserve_vcc 0
		.amdhsa_reserve_flat_scratch 0
		.amdhsa_float_round_mode_32 0
		.amdhsa_float_round_mode_16_64 0
		.amdhsa_float_denorm_mode_32 3
		.amdhsa_float_denorm_mode_16_64 3
		.amdhsa_dx10_clamp 1
		.amdhsa_ieee_mode 1
		.amdhsa_fp16_overflow 0
		.amdhsa_workgroup_processor_mode 1
		.amdhsa_memory_ordered 1
		.amdhsa_forward_progress 1
		.amdhsa_shared_vgpr_count 0
		.amdhsa_exception_fp_ieee_invalid_op 0
		.amdhsa_exception_fp_denorm_src 0
		.amdhsa_exception_fp_ieee_div_zero 0
		.amdhsa_exception_fp_ieee_overflow 0
		.amdhsa_exception_fp_ieee_underflow 0
		.amdhsa_exception_fp_ieee_inexact 0
		.amdhsa_exception_int_div_zero 0
	.end_amdhsa_kernel
	.section	.text._ZN7rocprim17ROCPRIM_400000_NS6detail17trampoline_kernelINS0_13select_configILj256ELj13ELNS0_17block_load_methodE3ELS4_3ELS4_3ELNS0_20block_scan_algorithmE0ELj4294967295EEENS1_25partition_config_selectorILNS1_17partition_subalgoE3EjNS0_10empty_typeEbEEZZNS1_14partition_implILS8_3ELb0ES6_jNS0_17counting_iteratorIjlEEPS9_SE_NS0_5tupleIJPjSE_EEENSF_IJSE_SE_EEES9_SG_JZNS1_25segmented_radix_sort_implINS0_14default_configELb1EPKhPhPKlPlN2at6native12_GLOBAL__N_18offset_tEEE10hipError_tPvRmT1_PNSt15iterator_traitsISY_E10value_typeET2_T3_PNSZ_IS14_E10value_typeET4_jRbjT5_S1A_jjP12ihipStream_tbEUljE_EEESV_SW_SX_S14_S18_S1A_T6_T7_T9_mT8_S1C_bDpT10_ENKUlT_T0_E_clISt17integral_constantIbLb0EES1O_IbLb1EEEEDaS1K_S1L_EUlS1K_E_NS1_11comp_targetILNS1_3genE0ELNS1_11target_archE4294967295ELNS1_3gpuE0ELNS1_3repE0EEENS1_30default_config_static_selectorELNS0_4arch9wavefront6targetE0EEEvSY_,"axG",@progbits,_ZN7rocprim17ROCPRIM_400000_NS6detail17trampoline_kernelINS0_13select_configILj256ELj13ELNS0_17block_load_methodE3ELS4_3ELS4_3ELNS0_20block_scan_algorithmE0ELj4294967295EEENS1_25partition_config_selectorILNS1_17partition_subalgoE3EjNS0_10empty_typeEbEEZZNS1_14partition_implILS8_3ELb0ES6_jNS0_17counting_iteratorIjlEEPS9_SE_NS0_5tupleIJPjSE_EEENSF_IJSE_SE_EEES9_SG_JZNS1_25segmented_radix_sort_implINS0_14default_configELb1EPKhPhPKlPlN2at6native12_GLOBAL__N_18offset_tEEE10hipError_tPvRmT1_PNSt15iterator_traitsISY_E10value_typeET2_T3_PNSZ_IS14_E10value_typeET4_jRbjT5_S1A_jjP12ihipStream_tbEUljE_EEESV_SW_SX_S14_S18_S1A_T6_T7_T9_mT8_S1C_bDpT10_ENKUlT_T0_E_clISt17integral_constantIbLb0EES1O_IbLb1EEEEDaS1K_S1L_EUlS1K_E_NS1_11comp_targetILNS1_3genE0ELNS1_11target_archE4294967295ELNS1_3gpuE0ELNS1_3repE0EEENS1_30default_config_static_selectorELNS0_4arch9wavefront6targetE0EEEvSY_,comdat
.Lfunc_end75:
	.size	_ZN7rocprim17ROCPRIM_400000_NS6detail17trampoline_kernelINS0_13select_configILj256ELj13ELNS0_17block_load_methodE3ELS4_3ELS4_3ELNS0_20block_scan_algorithmE0ELj4294967295EEENS1_25partition_config_selectorILNS1_17partition_subalgoE3EjNS0_10empty_typeEbEEZZNS1_14partition_implILS8_3ELb0ES6_jNS0_17counting_iteratorIjlEEPS9_SE_NS0_5tupleIJPjSE_EEENSF_IJSE_SE_EEES9_SG_JZNS1_25segmented_radix_sort_implINS0_14default_configELb1EPKhPhPKlPlN2at6native12_GLOBAL__N_18offset_tEEE10hipError_tPvRmT1_PNSt15iterator_traitsISY_E10value_typeET2_T3_PNSZ_IS14_E10value_typeET4_jRbjT5_S1A_jjP12ihipStream_tbEUljE_EEESV_SW_SX_S14_S18_S1A_T6_T7_T9_mT8_S1C_bDpT10_ENKUlT_T0_E_clISt17integral_constantIbLb0EES1O_IbLb1EEEEDaS1K_S1L_EUlS1K_E_NS1_11comp_targetILNS1_3genE0ELNS1_11target_archE4294967295ELNS1_3gpuE0ELNS1_3repE0EEENS1_30default_config_static_selectorELNS0_4arch9wavefront6targetE0EEEvSY_, .Lfunc_end75-_ZN7rocprim17ROCPRIM_400000_NS6detail17trampoline_kernelINS0_13select_configILj256ELj13ELNS0_17block_load_methodE3ELS4_3ELS4_3ELNS0_20block_scan_algorithmE0ELj4294967295EEENS1_25partition_config_selectorILNS1_17partition_subalgoE3EjNS0_10empty_typeEbEEZZNS1_14partition_implILS8_3ELb0ES6_jNS0_17counting_iteratorIjlEEPS9_SE_NS0_5tupleIJPjSE_EEENSF_IJSE_SE_EEES9_SG_JZNS1_25segmented_radix_sort_implINS0_14default_configELb1EPKhPhPKlPlN2at6native12_GLOBAL__N_18offset_tEEE10hipError_tPvRmT1_PNSt15iterator_traitsISY_E10value_typeET2_T3_PNSZ_IS14_E10value_typeET4_jRbjT5_S1A_jjP12ihipStream_tbEUljE_EEESV_SW_SX_S14_S18_S1A_T6_T7_T9_mT8_S1C_bDpT10_ENKUlT_T0_E_clISt17integral_constantIbLb0EES1O_IbLb1EEEEDaS1K_S1L_EUlS1K_E_NS1_11comp_targetILNS1_3genE0ELNS1_11target_archE4294967295ELNS1_3gpuE0ELNS1_3repE0EEENS1_30default_config_static_selectorELNS0_4arch9wavefront6targetE0EEEvSY_
                                        ; -- End function
	.set _ZN7rocprim17ROCPRIM_400000_NS6detail17trampoline_kernelINS0_13select_configILj256ELj13ELNS0_17block_load_methodE3ELS4_3ELS4_3ELNS0_20block_scan_algorithmE0ELj4294967295EEENS1_25partition_config_selectorILNS1_17partition_subalgoE3EjNS0_10empty_typeEbEEZZNS1_14partition_implILS8_3ELb0ES6_jNS0_17counting_iteratorIjlEEPS9_SE_NS0_5tupleIJPjSE_EEENSF_IJSE_SE_EEES9_SG_JZNS1_25segmented_radix_sort_implINS0_14default_configELb1EPKhPhPKlPlN2at6native12_GLOBAL__N_18offset_tEEE10hipError_tPvRmT1_PNSt15iterator_traitsISY_E10value_typeET2_T3_PNSZ_IS14_E10value_typeET4_jRbjT5_S1A_jjP12ihipStream_tbEUljE_EEESV_SW_SX_S14_S18_S1A_T6_T7_T9_mT8_S1C_bDpT10_ENKUlT_T0_E_clISt17integral_constantIbLb0EES1O_IbLb1EEEEDaS1K_S1L_EUlS1K_E_NS1_11comp_targetILNS1_3genE0ELNS1_11target_archE4294967295ELNS1_3gpuE0ELNS1_3repE0EEENS1_30default_config_static_selectorELNS0_4arch9wavefront6targetE0EEEvSY_.num_vgpr, 0
	.set _ZN7rocprim17ROCPRIM_400000_NS6detail17trampoline_kernelINS0_13select_configILj256ELj13ELNS0_17block_load_methodE3ELS4_3ELS4_3ELNS0_20block_scan_algorithmE0ELj4294967295EEENS1_25partition_config_selectorILNS1_17partition_subalgoE3EjNS0_10empty_typeEbEEZZNS1_14partition_implILS8_3ELb0ES6_jNS0_17counting_iteratorIjlEEPS9_SE_NS0_5tupleIJPjSE_EEENSF_IJSE_SE_EEES9_SG_JZNS1_25segmented_radix_sort_implINS0_14default_configELb1EPKhPhPKlPlN2at6native12_GLOBAL__N_18offset_tEEE10hipError_tPvRmT1_PNSt15iterator_traitsISY_E10value_typeET2_T3_PNSZ_IS14_E10value_typeET4_jRbjT5_S1A_jjP12ihipStream_tbEUljE_EEESV_SW_SX_S14_S18_S1A_T6_T7_T9_mT8_S1C_bDpT10_ENKUlT_T0_E_clISt17integral_constantIbLb0EES1O_IbLb1EEEEDaS1K_S1L_EUlS1K_E_NS1_11comp_targetILNS1_3genE0ELNS1_11target_archE4294967295ELNS1_3gpuE0ELNS1_3repE0EEENS1_30default_config_static_selectorELNS0_4arch9wavefront6targetE0EEEvSY_.num_agpr, 0
	.set _ZN7rocprim17ROCPRIM_400000_NS6detail17trampoline_kernelINS0_13select_configILj256ELj13ELNS0_17block_load_methodE3ELS4_3ELS4_3ELNS0_20block_scan_algorithmE0ELj4294967295EEENS1_25partition_config_selectorILNS1_17partition_subalgoE3EjNS0_10empty_typeEbEEZZNS1_14partition_implILS8_3ELb0ES6_jNS0_17counting_iteratorIjlEEPS9_SE_NS0_5tupleIJPjSE_EEENSF_IJSE_SE_EEES9_SG_JZNS1_25segmented_radix_sort_implINS0_14default_configELb1EPKhPhPKlPlN2at6native12_GLOBAL__N_18offset_tEEE10hipError_tPvRmT1_PNSt15iterator_traitsISY_E10value_typeET2_T3_PNSZ_IS14_E10value_typeET4_jRbjT5_S1A_jjP12ihipStream_tbEUljE_EEESV_SW_SX_S14_S18_S1A_T6_T7_T9_mT8_S1C_bDpT10_ENKUlT_T0_E_clISt17integral_constantIbLb0EES1O_IbLb1EEEEDaS1K_S1L_EUlS1K_E_NS1_11comp_targetILNS1_3genE0ELNS1_11target_archE4294967295ELNS1_3gpuE0ELNS1_3repE0EEENS1_30default_config_static_selectorELNS0_4arch9wavefront6targetE0EEEvSY_.numbered_sgpr, 0
	.set _ZN7rocprim17ROCPRIM_400000_NS6detail17trampoline_kernelINS0_13select_configILj256ELj13ELNS0_17block_load_methodE3ELS4_3ELS4_3ELNS0_20block_scan_algorithmE0ELj4294967295EEENS1_25partition_config_selectorILNS1_17partition_subalgoE3EjNS0_10empty_typeEbEEZZNS1_14partition_implILS8_3ELb0ES6_jNS0_17counting_iteratorIjlEEPS9_SE_NS0_5tupleIJPjSE_EEENSF_IJSE_SE_EEES9_SG_JZNS1_25segmented_radix_sort_implINS0_14default_configELb1EPKhPhPKlPlN2at6native12_GLOBAL__N_18offset_tEEE10hipError_tPvRmT1_PNSt15iterator_traitsISY_E10value_typeET2_T3_PNSZ_IS14_E10value_typeET4_jRbjT5_S1A_jjP12ihipStream_tbEUljE_EEESV_SW_SX_S14_S18_S1A_T6_T7_T9_mT8_S1C_bDpT10_ENKUlT_T0_E_clISt17integral_constantIbLb0EES1O_IbLb1EEEEDaS1K_S1L_EUlS1K_E_NS1_11comp_targetILNS1_3genE0ELNS1_11target_archE4294967295ELNS1_3gpuE0ELNS1_3repE0EEENS1_30default_config_static_selectorELNS0_4arch9wavefront6targetE0EEEvSY_.num_named_barrier, 0
	.set _ZN7rocprim17ROCPRIM_400000_NS6detail17trampoline_kernelINS0_13select_configILj256ELj13ELNS0_17block_load_methodE3ELS4_3ELS4_3ELNS0_20block_scan_algorithmE0ELj4294967295EEENS1_25partition_config_selectorILNS1_17partition_subalgoE3EjNS0_10empty_typeEbEEZZNS1_14partition_implILS8_3ELb0ES6_jNS0_17counting_iteratorIjlEEPS9_SE_NS0_5tupleIJPjSE_EEENSF_IJSE_SE_EEES9_SG_JZNS1_25segmented_radix_sort_implINS0_14default_configELb1EPKhPhPKlPlN2at6native12_GLOBAL__N_18offset_tEEE10hipError_tPvRmT1_PNSt15iterator_traitsISY_E10value_typeET2_T3_PNSZ_IS14_E10value_typeET4_jRbjT5_S1A_jjP12ihipStream_tbEUljE_EEESV_SW_SX_S14_S18_S1A_T6_T7_T9_mT8_S1C_bDpT10_ENKUlT_T0_E_clISt17integral_constantIbLb0EES1O_IbLb1EEEEDaS1K_S1L_EUlS1K_E_NS1_11comp_targetILNS1_3genE0ELNS1_11target_archE4294967295ELNS1_3gpuE0ELNS1_3repE0EEENS1_30default_config_static_selectorELNS0_4arch9wavefront6targetE0EEEvSY_.private_seg_size, 0
	.set _ZN7rocprim17ROCPRIM_400000_NS6detail17trampoline_kernelINS0_13select_configILj256ELj13ELNS0_17block_load_methodE3ELS4_3ELS4_3ELNS0_20block_scan_algorithmE0ELj4294967295EEENS1_25partition_config_selectorILNS1_17partition_subalgoE3EjNS0_10empty_typeEbEEZZNS1_14partition_implILS8_3ELb0ES6_jNS0_17counting_iteratorIjlEEPS9_SE_NS0_5tupleIJPjSE_EEENSF_IJSE_SE_EEES9_SG_JZNS1_25segmented_radix_sort_implINS0_14default_configELb1EPKhPhPKlPlN2at6native12_GLOBAL__N_18offset_tEEE10hipError_tPvRmT1_PNSt15iterator_traitsISY_E10value_typeET2_T3_PNSZ_IS14_E10value_typeET4_jRbjT5_S1A_jjP12ihipStream_tbEUljE_EEESV_SW_SX_S14_S18_S1A_T6_T7_T9_mT8_S1C_bDpT10_ENKUlT_T0_E_clISt17integral_constantIbLb0EES1O_IbLb1EEEEDaS1K_S1L_EUlS1K_E_NS1_11comp_targetILNS1_3genE0ELNS1_11target_archE4294967295ELNS1_3gpuE0ELNS1_3repE0EEENS1_30default_config_static_selectorELNS0_4arch9wavefront6targetE0EEEvSY_.uses_vcc, 0
	.set _ZN7rocprim17ROCPRIM_400000_NS6detail17trampoline_kernelINS0_13select_configILj256ELj13ELNS0_17block_load_methodE3ELS4_3ELS4_3ELNS0_20block_scan_algorithmE0ELj4294967295EEENS1_25partition_config_selectorILNS1_17partition_subalgoE3EjNS0_10empty_typeEbEEZZNS1_14partition_implILS8_3ELb0ES6_jNS0_17counting_iteratorIjlEEPS9_SE_NS0_5tupleIJPjSE_EEENSF_IJSE_SE_EEES9_SG_JZNS1_25segmented_radix_sort_implINS0_14default_configELb1EPKhPhPKlPlN2at6native12_GLOBAL__N_18offset_tEEE10hipError_tPvRmT1_PNSt15iterator_traitsISY_E10value_typeET2_T3_PNSZ_IS14_E10value_typeET4_jRbjT5_S1A_jjP12ihipStream_tbEUljE_EEESV_SW_SX_S14_S18_S1A_T6_T7_T9_mT8_S1C_bDpT10_ENKUlT_T0_E_clISt17integral_constantIbLb0EES1O_IbLb1EEEEDaS1K_S1L_EUlS1K_E_NS1_11comp_targetILNS1_3genE0ELNS1_11target_archE4294967295ELNS1_3gpuE0ELNS1_3repE0EEENS1_30default_config_static_selectorELNS0_4arch9wavefront6targetE0EEEvSY_.uses_flat_scratch, 0
	.set _ZN7rocprim17ROCPRIM_400000_NS6detail17trampoline_kernelINS0_13select_configILj256ELj13ELNS0_17block_load_methodE3ELS4_3ELS4_3ELNS0_20block_scan_algorithmE0ELj4294967295EEENS1_25partition_config_selectorILNS1_17partition_subalgoE3EjNS0_10empty_typeEbEEZZNS1_14partition_implILS8_3ELb0ES6_jNS0_17counting_iteratorIjlEEPS9_SE_NS0_5tupleIJPjSE_EEENSF_IJSE_SE_EEES9_SG_JZNS1_25segmented_radix_sort_implINS0_14default_configELb1EPKhPhPKlPlN2at6native12_GLOBAL__N_18offset_tEEE10hipError_tPvRmT1_PNSt15iterator_traitsISY_E10value_typeET2_T3_PNSZ_IS14_E10value_typeET4_jRbjT5_S1A_jjP12ihipStream_tbEUljE_EEESV_SW_SX_S14_S18_S1A_T6_T7_T9_mT8_S1C_bDpT10_ENKUlT_T0_E_clISt17integral_constantIbLb0EES1O_IbLb1EEEEDaS1K_S1L_EUlS1K_E_NS1_11comp_targetILNS1_3genE0ELNS1_11target_archE4294967295ELNS1_3gpuE0ELNS1_3repE0EEENS1_30default_config_static_selectorELNS0_4arch9wavefront6targetE0EEEvSY_.has_dyn_sized_stack, 0
	.set _ZN7rocprim17ROCPRIM_400000_NS6detail17trampoline_kernelINS0_13select_configILj256ELj13ELNS0_17block_load_methodE3ELS4_3ELS4_3ELNS0_20block_scan_algorithmE0ELj4294967295EEENS1_25partition_config_selectorILNS1_17partition_subalgoE3EjNS0_10empty_typeEbEEZZNS1_14partition_implILS8_3ELb0ES6_jNS0_17counting_iteratorIjlEEPS9_SE_NS0_5tupleIJPjSE_EEENSF_IJSE_SE_EEES9_SG_JZNS1_25segmented_radix_sort_implINS0_14default_configELb1EPKhPhPKlPlN2at6native12_GLOBAL__N_18offset_tEEE10hipError_tPvRmT1_PNSt15iterator_traitsISY_E10value_typeET2_T3_PNSZ_IS14_E10value_typeET4_jRbjT5_S1A_jjP12ihipStream_tbEUljE_EEESV_SW_SX_S14_S18_S1A_T6_T7_T9_mT8_S1C_bDpT10_ENKUlT_T0_E_clISt17integral_constantIbLb0EES1O_IbLb1EEEEDaS1K_S1L_EUlS1K_E_NS1_11comp_targetILNS1_3genE0ELNS1_11target_archE4294967295ELNS1_3gpuE0ELNS1_3repE0EEENS1_30default_config_static_selectorELNS0_4arch9wavefront6targetE0EEEvSY_.has_recursion, 0
	.set _ZN7rocprim17ROCPRIM_400000_NS6detail17trampoline_kernelINS0_13select_configILj256ELj13ELNS0_17block_load_methodE3ELS4_3ELS4_3ELNS0_20block_scan_algorithmE0ELj4294967295EEENS1_25partition_config_selectorILNS1_17partition_subalgoE3EjNS0_10empty_typeEbEEZZNS1_14partition_implILS8_3ELb0ES6_jNS0_17counting_iteratorIjlEEPS9_SE_NS0_5tupleIJPjSE_EEENSF_IJSE_SE_EEES9_SG_JZNS1_25segmented_radix_sort_implINS0_14default_configELb1EPKhPhPKlPlN2at6native12_GLOBAL__N_18offset_tEEE10hipError_tPvRmT1_PNSt15iterator_traitsISY_E10value_typeET2_T3_PNSZ_IS14_E10value_typeET4_jRbjT5_S1A_jjP12ihipStream_tbEUljE_EEESV_SW_SX_S14_S18_S1A_T6_T7_T9_mT8_S1C_bDpT10_ENKUlT_T0_E_clISt17integral_constantIbLb0EES1O_IbLb1EEEEDaS1K_S1L_EUlS1K_E_NS1_11comp_targetILNS1_3genE0ELNS1_11target_archE4294967295ELNS1_3gpuE0ELNS1_3repE0EEENS1_30default_config_static_selectorELNS0_4arch9wavefront6targetE0EEEvSY_.has_indirect_call, 0
	.section	.AMDGPU.csdata,"",@progbits
; Kernel info:
; codeLenInByte = 0
; TotalNumSgprs: 0
; NumVgprs: 0
; ScratchSize: 0
; MemoryBound: 0
; FloatMode: 240
; IeeeMode: 1
; LDSByteSize: 0 bytes/workgroup (compile time only)
; SGPRBlocks: 0
; VGPRBlocks: 0
; NumSGPRsForWavesPerEU: 1
; NumVGPRsForWavesPerEU: 1
; Occupancy: 16
; WaveLimiterHint : 0
; COMPUTE_PGM_RSRC2:SCRATCH_EN: 0
; COMPUTE_PGM_RSRC2:USER_SGPR: 6
; COMPUTE_PGM_RSRC2:TRAP_HANDLER: 0
; COMPUTE_PGM_RSRC2:TGID_X_EN: 1
; COMPUTE_PGM_RSRC2:TGID_Y_EN: 0
; COMPUTE_PGM_RSRC2:TGID_Z_EN: 0
; COMPUTE_PGM_RSRC2:TIDIG_COMP_CNT: 0
	.section	.text._ZN7rocprim17ROCPRIM_400000_NS6detail17trampoline_kernelINS0_13select_configILj256ELj13ELNS0_17block_load_methodE3ELS4_3ELS4_3ELNS0_20block_scan_algorithmE0ELj4294967295EEENS1_25partition_config_selectorILNS1_17partition_subalgoE3EjNS0_10empty_typeEbEEZZNS1_14partition_implILS8_3ELb0ES6_jNS0_17counting_iteratorIjlEEPS9_SE_NS0_5tupleIJPjSE_EEENSF_IJSE_SE_EEES9_SG_JZNS1_25segmented_radix_sort_implINS0_14default_configELb1EPKhPhPKlPlN2at6native12_GLOBAL__N_18offset_tEEE10hipError_tPvRmT1_PNSt15iterator_traitsISY_E10value_typeET2_T3_PNSZ_IS14_E10value_typeET4_jRbjT5_S1A_jjP12ihipStream_tbEUljE_EEESV_SW_SX_S14_S18_S1A_T6_T7_T9_mT8_S1C_bDpT10_ENKUlT_T0_E_clISt17integral_constantIbLb0EES1O_IbLb1EEEEDaS1K_S1L_EUlS1K_E_NS1_11comp_targetILNS1_3genE5ELNS1_11target_archE942ELNS1_3gpuE9ELNS1_3repE0EEENS1_30default_config_static_selectorELNS0_4arch9wavefront6targetE0EEEvSY_,"axG",@progbits,_ZN7rocprim17ROCPRIM_400000_NS6detail17trampoline_kernelINS0_13select_configILj256ELj13ELNS0_17block_load_methodE3ELS4_3ELS4_3ELNS0_20block_scan_algorithmE0ELj4294967295EEENS1_25partition_config_selectorILNS1_17partition_subalgoE3EjNS0_10empty_typeEbEEZZNS1_14partition_implILS8_3ELb0ES6_jNS0_17counting_iteratorIjlEEPS9_SE_NS0_5tupleIJPjSE_EEENSF_IJSE_SE_EEES9_SG_JZNS1_25segmented_radix_sort_implINS0_14default_configELb1EPKhPhPKlPlN2at6native12_GLOBAL__N_18offset_tEEE10hipError_tPvRmT1_PNSt15iterator_traitsISY_E10value_typeET2_T3_PNSZ_IS14_E10value_typeET4_jRbjT5_S1A_jjP12ihipStream_tbEUljE_EEESV_SW_SX_S14_S18_S1A_T6_T7_T9_mT8_S1C_bDpT10_ENKUlT_T0_E_clISt17integral_constantIbLb0EES1O_IbLb1EEEEDaS1K_S1L_EUlS1K_E_NS1_11comp_targetILNS1_3genE5ELNS1_11target_archE942ELNS1_3gpuE9ELNS1_3repE0EEENS1_30default_config_static_selectorELNS0_4arch9wavefront6targetE0EEEvSY_,comdat
	.globl	_ZN7rocprim17ROCPRIM_400000_NS6detail17trampoline_kernelINS0_13select_configILj256ELj13ELNS0_17block_load_methodE3ELS4_3ELS4_3ELNS0_20block_scan_algorithmE0ELj4294967295EEENS1_25partition_config_selectorILNS1_17partition_subalgoE3EjNS0_10empty_typeEbEEZZNS1_14partition_implILS8_3ELb0ES6_jNS0_17counting_iteratorIjlEEPS9_SE_NS0_5tupleIJPjSE_EEENSF_IJSE_SE_EEES9_SG_JZNS1_25segmented_radix_sort_implINS0_14default_configELb1EPKhPhPKlPlN2at6native12_GLOBAL__N_18offset_tEEE10hipError_tPvRmT1_PNSt15iterator_traitsISY_E10value_typeET2_T3_PNSZ_IS14_E10value_typeET4_jRbjT5_S1A_jjP12ihipStream_tbEUljE_EEESV_SW_SX_S14_S18_S1A_T6_T7_T9_mT8_S1C_bDpT10_ENKUlT_T0_E_clISt17integral_constantIbLb0EES1O_IbLb1EEEEDaS1K_S1L_EUlS1K_E_NS1_11comp_targetILNS1_3genE5ELNS1_11target_archE942ELNS1_3gpuE9ELNS1_3repE0EEENS1_30default_config_static_selectorELNS0_4arch9wavefront6targetE0EEEvSY_ ; -- Begin function _ZN7rocprim17ROCPRIM_400000_NS6detail17trampoline_kernelINS0_13select_configILj256ELj13ELNS0_17block_load_methodE3ELS4_3ELS4_3ELNS0_20block_scan_algorithmE0ELj4294967295EEENS1_25partition_config_selectorILNS1_17partition_subalgoE3EjNS0_10empty_typeEbEEZZNS1_14partition_implILS8_3ELb0ES6_jNS0_17counting_iteratorIjlEEPS9_SE_NS0_5tupleIJPjSE_EEENSF_IJSE_SE_EEES9_SG_JZNS1_25segmented_radix_sort_implINS0_14default_configELb1EPKhPhPKlPlN2at6native12_GLOBAL__N_18offset_tEEE10hipError_tPvRmT1_PNSt15iterator_traitsISY_E10value_typeET2_T3_PNSZ_IS14_E10value_typeET4_jRbjT5_S1A_jjP12ihipStream_tbEUljE_EEESV_SW_SX_S14_S18_S1A_T6_T7_T9_mT8_S1C_bDpT10_ENKUlT_T0_E_clISt17integral_constantIbLb0EES1O_IbLb1EEEEDaS1K_S1L_EUlS1K_E_NS1_11comp_targetILNS1_3genE5ELNS1_11target_archE942ELNS1_3gpuE9ELNS1_3repE0EEENS1_30default_config_static_selectorELNS0_4arch9wavefront6targetE0EEEvSY_
	.p2align	8
	.type	_ZN7rocprim17ROCPRIM_400000_NS6detail17trampoline_kernelINS0_13select_configILj256ELj13ELNS0_17block_load_methodE3ELS4_3ELS4_3ELNS0_20block_scan_algorithmE0ELj4294967295EEENS1_25partition_config_selectorILNS1_17partition_subalgoE3EjNS0_10empty_typeEbEEZZNS1_14partition_implILS8_3ELb0ES6_jNS0_17counting_iteratorIjlEEPS9_SE_NS0_5tupleIJPjSE_EEENSF_IJSE_SE_EEES9_SG_JZNS1_25segmented_radix_sort_implINS0_14default_configELb1EPKhPhPKlPlN2at6native12_GLOBAL__N_18offset_tEEE10hipError_tPvRmT1_PNSt15iterator_traitsISY_E10value_typeET2_T3_PNSZ_IS14_E10value_typeET4_jRbjT5_S1A_jjP12ihipStream_tbEUljE_EEESV_SW_SX_S14_S18_S1A_T6_T7_T9_mT8_S1C_bDpT10_ENKUlT_T0_E_clISt17integral_constantIbLb0EES1O_IbLb1EEEEDaS1K_S1L_EUlS1K_E_NS1_11comp_targetILNS1_3genE5ELNS1_11target_archE942ELNS1_3gpuE9ELNS1_3repE0EEENS1_30default_config_static_selectorELNS0_4arch9wavefront6targetE0EEEvSY_,@function
_ZN7rocprim17ROCPRIM_400000_NS6detail17trampoline_kernelINS0_13select_configILj256ELj13ELNS0_17block_load_methodE3ELS4_3ELS4_3ELNS0_20block_scan_algorithmE0ELj4294967295EEENS1_25partition_config_selectorILNS1_17partition_subalgoE3EjNS0_10empty_typeEbEEZZNS1_14partition_implILS8_3ELb0ES6_jNS0_17counting_iteratorIjlEEPS9_SE_NS0_5tupleIJPjSE_EEENSF_IJSE_SE_EEES9_SG_JZNS1_25segmented_radix_sort_implINS0_14default_configELb1EPKhPhPKlPlN2at6native12_GLOBAL__N_18offset_tEEE10hipError_tPvRmT1_PNSt15iterator_traitsISY_E10value_typeET2_T3_PNSZ_IS14_E10value_typeET4_jRbjT5_S1A_jjP12ihipStream_tbEUljE_EEESV_SW_SX_S14_S18_S1A_T6_T7_T9_mT8_S1C_bDpT10_ENKUlT_T0_E_clISt17integral_constantIbLb0EES1O_IbLb1EEEEDaS1K_S1L_EUlS1K_E_NS1_11comp_targetILNS1_3genE5ELNS1_11target_archE942ELNS1_3gpuE9ELNS1_3repE0EEENS1_30default_config_static_selectorELNS0_4arch9wavefront6targetE0EEEvSY_: ; @_ZN7rocprim17ROCPRIM_400000_NS6detail17trampoline_kernelINS0_13select_configILj256ELj13ELNS0_17block_load_methodE3ELS4_3ELS4_3ELNS0_20block_scan_algorithmE0ELj4294967295EEENS1_25partition_config_selectorILNS1_17partition_subalgoE3EjNS0_10empty_typeEbEEZZNS1_14partition_implILS8_3ELb0ES6_jNS0_17counting_iteratorIjlEEPS9_SE_NS0_5tupleIJPjSE_EEENSF_IJSE_SE_EEES9_SG_JZNS1_25segmented_radix_sort_implINS0_14default_configELb1EPKhPhPKlPlN2at6native12_GLOBAL__N_18offset_tEEE10hipError_tPvRmT1_PNSt15iterator_traitsISY_E10value_typeET2_T3_PNSZ_IS14_E10value_typeET4_jRbjT5_S1A_jjP12ihipStream_tbEUljE_EEESV_SW_SX_S14_S18_S1A_T6_T7_T9_mT8_S1C_bDpT10_ENKUlT_T0_E_clISt17integral_constantIbLb0EES1O_IbLb1EEEEDaS1K_S1L_EUlS1K_E_NS1_11comp_targetILNS1_3genE5ELNS1_11target_archE942ELNS1_3gpuE9ELNS1_3repE0EEENS1_30default_config_static_selectorELNS0_4arch9wavefront6targetE0EEEvSY_
; %bb.0:
	.section	.rodata,"a",@progbits
	.p2align	6, 0x0
	.amdhsa_kernel _ZN7rocprim17ROCPRIM_400000_NS6detail17trampoline_kernelINS0_13select_configILj256ELj13ELNS0_17block_load_methodE3ELS4_3ELS4_3ELNS0_20block_scan_algorithmE0ELj4294967295EEENS1_25partition_config_selectorILNS1_17partition_subalgoE3EjNS0_10empty_typeEbEEZZNS1_14partition_implILS8_3ELb0ES6_jNS0_17counting_iteratorIjlEEPS9_SE_NS0_5tupleIJPjSE_EEENSF_IJSE_SE_EEES9_SG_JZNS1_25segmented_radix_sort_implINS0_14default_configELb1EPKhPhPKlPlN2at6native12_GLOBAL__N_18offset_tEEE10hipError_tPvRmT1_PNSt15iterator_traitsISY_E10value_typeET2_T3_PNSZ_IS14_E10value_typeET4_jRbjT5_S1A_jjP12ihipStream_tbEUljE_EEESV_SW_SX_S14_S18_S1A_T6_T7_T9_mT8_S1C_bDpT10_ENKUlT_T0_E_clISt17integral_constantIbLb0EES1O_IbLb1EEEEDaS1K_S1L_EUlS1K_E_NS1_11comp_targetILNS1_3genE5ELNS1_11target_archE942ELNS1_3gpuE9ELNS1_3repE0EEENS1_30default_config_static_selectorELNS0_4arch9wavefront6targetE0EEEvSY_
		.amdhsa_group_segment_fixed_size 0
		.amdhsa_private_segment_fixed_size 0
		.amdhsa_kernarg_size 152
		.amdhsa_user_sgpr_count 6
		.amdhsa_user_sgpr_private_segment_buffer 1
		.amdhsa_user_sgpr_dispatch_ptr 0
		.amdhsa_user_sgpr_queue_ptr 0
		.amdhsa_user_sgpr_kernarg_segment_ptr 1
		.amdhsa_user_sgpr_dispatch_id 0
		.amdhsa_user_sgpr_flat_scratch_init 0
		.amdhsa_user_sgpr_private_segment_size 0
		.amdhsa_wavefront_size32 1
		.amdhsa_uses_dynamic_stack 0
		.amdhsa_system_sgpr_private_segment_wavefront_offset 0
		.amdhsa_system_sgpr_workgroup_id_x 1
		.amdhsa_system_sgpr_workgroup_id_y 0
		.amdhsa_system_sgpr_workgroup_id_z 0
		.amdhsa_system_sgpr_workgroup_info 0
		.amdhsa_system_vgpr_workitem_id 0
		.amdhsa_next_free_vgpr 1
		.amdhsa_next_free_sgpr 1
		.amdhsa_reserve_vcc 0
		.amdhsa_reserve_flat_scratch 0
		.amdhsa_float_round_mode_32 0
		.amdhsa_float_round_mode_16_64 0
		.amdhsa_float_denorm_mode_32 3
		.amdhsa_float_denorm_mode_16_64 3
		.amdhsa_dx10_clamp 1
		.amdhsa_ieee_mode 1
		.amdhsa_fp16_overflow 0
		.amdhsa_workgroup_processor_mode 1
		.amdhsa_memory_ordered 1
		.amdhsa_forward_progress 1
		.amdhsa_shared_vgpr_count 0
		.amdhsa_exception_fp_ieee_invalid_op 0
		.amdhsa_exception_fp_denorm_src 0
		.amdhsa_exception_fp_ieee_div_zero 0
		.amdhsa_exception_fp_ieee_overflow 0
		.amdhsa_exception_fp_ieee_underflow 0
		.amdhsa_exception_fp_ieee_inexact 0
		.amdhsa_exception_int_div_zero 0
	.end_amdhsa_kernel
	.section	.text._ZN7rocprim17ROCPRIM_400000_NS6detail17trampoline_kernelINS0_13select_configILj256ELj13ELNS0_17block_load_methodE3ELS4_3ELS4_3ELNS0_20block_scan_algorithmE0ELj4294967295EEENS1_25partition_config_selectorILNS1_17partition_subalgoE3EjNS0_10empty_typeEbEEZZNS1_14partition_implILS8_3ELb0ES6_jNS0_17counting_iteratorIjlEEPS9_SE_NS0_5tupleIJPjSE_EEENSF_IJSE_SE_EEES9_SG_JZNS1_25segmented_radix_sort_implINS0_14default_configELb1EPKhPhPKlPlN2at6native12_GLOBAL__N_18offset_tEEE10hipError_tPvRmT1_PNSt15iterator_traitsISY_E10value_typeET2_T3_PNSZ_IS14_E10value_typeET4_jRbjT5_S1A_jjP12ihipStream_tbEUljE_EEESV_SW_SX_S14_S18_S1A_T6_T7_T9_mT8_S1C_bDpT10_ENKUlT_T0_E_clISt17integral_constantIbLb0EES1O_IbLb1EEEEDaS1K_S1L_EUlS1K_E_NS1_11comp_targetILNS1_3genE5ELNS1_11target_archE942ELNS1_3gpuE9ELNS1_3repE0EEENS1_30default_config_static_selectorELNS0_4arch9wavefront6targetE0EEEvSY_,"axG",@progbits,_ZN7rocprim17ROCPRIM_400000_NS6detail17trampoline_kernelINS0_13select_configILj256ELj13ELNS0_17block_load_methodE3ELS4_3ELS4_3ELNS0_20block_scan_algorithmE0ELj4294967295EEENS1_25partition_config_selectorILNS1_17partition_subalgoE3EjNS0_10empty_typeEbEEZZNS1_14partition_implILS8_3ELb0ES6_jNS0_17counting_iteratorIjlEEPS9_SE_NS0_5tupleIJPjSE_EEENSF_IJSE_SE_EEES9_SG_JZNS1_25segmented_radix_sort_implINS0_14default_configELb1EPKhPhPKlPlN2at6native12_GLOBAL__N_18offset_tEEE10hipError_tPvRmT1_PNSt15iterator_traitsISY_E10value_typeET2_T3_PNSZ_IS14_E10value_typeET4_jRbjT5_S1A_jjP12ihipStream_tbEUljE_EEESV_SW_SX_S14_S18_S1A_T6_T7_T9_mT8_S1C_bDpT10_ENKUlT_T0_E_clISt17integral_constantIbLb0EES1O_IbLb1EEEEDaS1K_S1L_EUlS1K_E_NS1_11comp_targetILNS1_3genE5ELNS1_11target_archE942ELNS1_3gpuE9ELNS1_3repE0EEENS1_30default_config_static_selectorELNS0_4arch9wavefront6targetE0EEEvSY_,comdat
.Lfunc_end76:
	.size	_ZN7rocprim17ROCPRIM_400000_NS6detail17trampoline_kernelINS0_13select_configILj256ELj13ELNS0_17block_load_methodE3ELS4_3ELS4_3ELNS0_20block_scan_algorithmE0ELj4294967295EEENS1_25partition_config_selectorILNS1_17partition_subalgoE3EjNS0_10empty_typeEbEEZZNS1_14partition_implILS8_3ELb0ES6_jNS0_17counting_iteratorIjlEEPS9_SE_NS0_5tupleIJPjSE_EEENSF_IJSE_SE_EEES9_SG_JZNS1_25segmented_radix_sort_implINS0_14default_configELb1EPKhPhPKlPlN2at6native12_GLOBAL__N_18offset_tEEE10hipError_tPvRmT1_PNSt15iterator_traitsISY_E10value_typeET2_T3_PNSZ_IS14_E10value_typeET4_jRbjT5_S1A_jjP12ihipStream_tbEUljE_EEESV_SW_SX_S14_S18_S1A_T6_T7_T9_mT8_S1C_bDpT10_ENKUlT_T0_E_clISt17integral_constantIbLb0EES1O_IbLb1EEEEDaS1K_S1L_EUlS1K_E_NS1_11comp_targetILNS1_3genE5ELNS1_11target_archE942ELNS1_3gpuE9ELNS1_3repE0EEENS1_30default_config_static_selectorELNS0_4arch9wavefront6targetE0EEEvSY_, .Lfunc_end76-_ZN7rocprim17ROCPRIM_400000_NS6detail17trampoline_kernelINS0_13select_configILj256ELj13ELNS0_17block_load_methodE3ELS4_3ELS4_3ELNS0_20block_scan_algorithmE0ELj4294967295EEENS1_25partition_config_selectorILNS1_17partition_subalgoE3EjNS0_10empty_typeEbEEZZNS1_14partition_implILS8_3ELb0ES6_jNS0_17counting_iteratorIjlEEPS9_SE_NS0_5tupleIJPjSE_EEENSF_IJSE_SE_EEES9_SG_JZNS1_25segmented_radix_sort_implINS0_14default_configELb1EPKhPhPKlPlN2at6native12_GLOBAL__N_18offset_tEEE10hipError_tPvRmT1_PNSt15iterator_traitsISY_E10value_typeET2_T3_PNSZ_IS14_E10value_typeET4_jRbjT5_S1A_jjP12ihipStream_tbEUljE_EEESV_SW_SX_S14_S18_S1A_T6_T7_T9_mT8_S1C_bDpT10_ENKUlT_T0_E_clISt17integral_constantIbLb0EES1O_IbLb1EEEEDaS1K_S1L_EUlS1K_E_NS1_11comp_targetILNS1_3genE5ELNS1_11target_archE942ELNS1_3gpuE9ELNS1_3repE0EEENS1_30default_config_static_selectorELNS0_4arch9wavefront6targetE0EEEvSY_
                                        ; -- End function
	.set _ZN7rocprim17ROCPRIM_400000_NS6detail17trampoline_kernelINS0_13select_configILj256ELj13ELNS0_17block_load_methodE3ELS4_3ELS4_3ELNS0_20block_scan_algorithmE0ELj4294967295EEENS1_25partition_config_selectorILNS1_17partition_subalgoE3EjNS0_10empty_typeEbEEZZNS1_14partition_implILS8_3ELb0ES6_jNS0_17counting_iteratorIjlEEPS9_SE_NS0_5tupleIJPjSE_EEENSF_IJSE_SE_EEES9_SG_JZNS1_25segmented_radix_sort_implINS0_14default_configELb1EPKhPhPKlPlN2at6native12_GLOBAL__N_18offset_tEEE10hipError_tPvRmT1_PNSt15iterator_traitsISY_E10value_typeET2_T3_PNSZ_IS14_E10value_typeET4_jRbjT5_S1A_jjP12ihipStream_tbEUljE_EEESV_SW_SX_S14_S18_S1A_T6_T7_T9_mT8_S1C_bDpT10_ENKUlT_T0_E_clISt17integral_constantIbLb0EES1O_IbLb1EEEEDaS1K_S1L_EUlS1K_E_NS1_11comp_targetILNS1_3genE5ELNS1_11target_archE942ELNS1_3gpuE9ELNS1_3repE0EEENS1_30default_config_static_selectorELNS0_4arch9wavefront6targetE0EEEvSY_.num_vgpr, 0
	.set _ZN7rocprim17ROCPRIM_400000_NS6detail17trampoline_kernelINS0_13select_configILj256ELj13ELNS0_17block_load_methodE3ELS4_3ELS4_3ELNS0_20block_scan_algorithmE0ELj4294967295EEENS1_25partition_config_selectorILNS1_17partition_subalgoE3EjNS0_10empty_typeEbEEZZNS1_14partition_implILS8_3ELb0ES6_jNS0_17counting_iteratorIjlEEPS9_SE_NS0_5tupleIJPjSE_EEENSF_IJSE_SE_EEES9_SG_JZNS1_25segmented_radix_sort_implINS0_14default_configELb1EPKhPhPKlPlN2at6native12_GLOBAL__N_18offset_tEEE10hipError_tPvRmT1_PNSt15iterator_traitsISY_E10value_typeET2_T3_PNSZ_IS14_E10value_typeET4_jRbjT5_S1A_jjP12ihipStream_tbEUljE_EEESV_SW_SX_S14_S18_S1A_T6_T7_T9_mT8_S1C_bDpT10_ENKUlT_T0_E_clISt17integral_constantIbLb0EES1O_IbLb1EEEEDaS1K_S1L_EUlS1K_E_NS1_11comp_targetILNS1_3genE5ELNS1_11target_archE942ELNS1_3gpuE9ELNS1_3repE0EEENS1_30default_config_static_selectorELNS0_4arch9wavefront6targetE0EEEvSY_.num_agpr, 0
	.set _ZN7rocprim17ROCPRIM_400000_NS6detail17trampoline_kernelINS0_13select_configILj256ELj13ELNS0_17block_load_methodE3ELS4_3ELS4_3ELNS0_20block_scan_algorithmE0ELj4294967295EEENS1_25partition_config_selectorILNS1_17partition_subalgoE3EjNS0_10empty_typeEbEEZZNS1_14partition_implILS8_3ELb0ES6_jNS0_17counting_iteratorIjlEEPS9_SE_NS0_5tupleIJPjSE_EEENSF_IJSE_SE_EEES9_SG_JZNS1_25segmented_radix_sort_implINS0_14default_configELb1EPKhPhPKlPlN2at6native12_GLOBAL__N_18offset_tEEE10hipError_tPvRmT1_PNSt15iterator_traitsISY_E10value_typeET2_T3_PNSZ_IS14_E10value_typeET4_jRbjT5_S1A_jjP12ihipStream_tbEUljE_EEESV_SW_SX_S14_S18_S1A_T6_T7_T9_mT8_S1C_bDpT10_ENKUlT_T0_E_clISt17integral_constantIbLb0EES1O_IbLb1EEEEDaS1K_S1L_EUlS1K_E_NS1_11comp_targetILNS1_3genE5ELNS1_11target_archE942ELNS1_3gpuE9ELNS1_3repE0EEENS1_30default_config_static_selectorELNS0_4arch9wavefront6targetE0EEEvSY_.numbered_sgpr, 0
	.set _ZN7rocprim17ROCPRIM_400000_NS6detail17trampoline_kernelINS0_13select_configILj256ELj13ELNS0_17block_load_methodE3ELS4_3ELS4_3ELNS0_20block_scan_algorithmE0ELj4294967295EEENS1_25partition_config_selectorILNS1_17partition_subalgoE3EjNS0_10empty_typeEbEEZZNS1_14partition_implILS8_3ELb0ES6_jNS0_17counting_iteratorIjlEEPS9_SE_NS0_5tupleIJPjSE_EEENSF_IJSE_SE_EEES9_SG_JZNS1_25segmented_radix_sort_implINS0_14default_configELb1EPKhPhPKlPlN2at6native12_GLOBAL__N_18offset_tEEE10hipError_tPvRmT1_PNSt15iterator_traitsISY_E10value_typeET2_T3_PNSZ_IS14_E10value_typeET4_jRbjT5_S1A_jjP12ihipStream_tbEUljE_EEESV_SW_SX_S14_S18_S1A_T6_T7_T9_mT8_S1C_bDpT10_ENKUlT_T0_E_clISt17integral_constantIbLb0EES1O_IbLb1EEEEDaS1K_S1L_EUlS1K_E_NS1_11comp_targetILNS1_3genE5ELNS1_11target_archE942ELNS1_3gpuE9ELNS1_3repE0EEENS1_30default_config_static_selectorELNS0_4arch9wavefront6targetE0EEEvSY_.num_named_barrier, 0
	.set _ZN7rocprim17ROCPRIM_400000_NS6detail17trampoline_kernelINS0_13select_configILj256ELj13ELNS0_17block_load_methodE3ELS4_3ELS4_3ELNS0_20block_scan_algorithmE0ELj4294967295EEENS1_25partition_config_selectorILNS1_17partition_subalgoE3EjNS0_10empty_typeEbEEZZNS1_14partition_implILS8_3ELb0ES6_jNS0_17counting_iteratorIjlEEPS9_SE_NS0_5tupleIJPjSE_EEENSF_IJSE_SE_EEES9_SG_JZNS1_25segmented_radix_sort_implINS0_14default_configELb1EPKhPhPKlPlN2at6native12_GLOBAL__N_18offset_tEEE10hipError_tPvRmT1_PNSt15iterator_traitsISY_E10value_typeET2_T3_PNSZ_IS14_E10value_typeET4_jRbjT5_S1A_jjP12ihipStream_tbEUljE_EEESV_SW_SX_S14_S18_S1A_T6_T7_T9_mT8_S1C_bDpT10_ENKUlT_T0_E_clISt17integral_constantIbLb0EES1O_IbLb1EEEEDaS1K_S1L_EUlS1K_E_NS1_11comp_targetILNS1_3genE5ELNS1_11target_archE942ELNS1_3gpuE9ELNS1_3repE0EEENS1_30default_config_static_selectorELNS0_4arch9wavefront6targetE0EEEvSY_.private_seg_size, 0
	.set _ZN7rocprim17ROCPRIM_400000_NS6detail17trampoline_kernelINS0_13select_configILj256ELj13ELNS0_17block_load_methodE3ELS4_3ELS4_3ELNS0_20block_scan_algorithmE0ELj4294967295EEENS1_25partition_config_selectorILNS1_17partition_subalgoE3EjNS0_10empty_typeEbEEZZNS1_14partition_implILS8_3ELb0ES6_jNS0_17counting_iteratorIjlEEPS9_SE_NS0_5tupleIJPjSE_EEENSF_IJSE_SE_EEES9_SG_JZNS1_25segmented_radix_sort_implINS0_14default_configELb1EPKhPhPKlPlN2at6native12_GLOBAL__N_18offset_tEEE10hipError_tPvRmT1_PNSt15iterator_traitsISY_E10value_typeET2_T3_PNSZ_IS14_E10value_typeET4_jRbjT5_S1A_jjP12ihipStream_tbEUljE_EEESV_SW_SX_S14_S18_S1A_T6_T7_T9_mT8_S1C_bDpT10_ENKUlT_T0_E_clISt17integral_constantIbLb0EES1O_IbLb1EEEEDaS1K_S1L_EUlS1K_E_NS1_11comp_targetILNS1_3genE5ELNS1_11target_archE942ELNS1_3gpuE9ELNS1_3repE0EEENS1_30default_config_static_selectorELNS0_4arch9wavefront6targetE0EEEvSY_.uses_vcc, 0
	.set _ZN7rocprim17ROCPRIM_400000_NS6detail17trampoline_kernelINS0_13select_configILj256ELj13ELNS0_17block_load_methodE3ELS4_3ELS4_3ELNS0_20block_scan_algorithmE0ELj4294967295EEENS1_25partition_config_selectorILNS1_17partition_subalgoE3EjNS0_10empty_typeEbEEZZNS1_14partition_implILS8_3ELb0ES6_jNS0_17counting_iteratorIjlEEPS9_SE_NS0_5tupleIJPjSE_EEENSF_IJSE_SE_EEES9_SG_JZNS1_25segmented_radix_sort_implINS0_14default_configELb1EPKhPhPKlPlN2at6native12_GLOBAL__N_18offset_tEEE10hipError_tPvRmT1_PNSt15iterator_traitsISY_E10value_typeET2_T3_PNSZ_IS14_E10value_typeET4_jRbjT5_S1A_jjP12ihipStream_tbEUljE_EEESV_SW_SX_S14_S18_S1A_T6_T7_T9_mT8_S1C_bDpT10_ENKUlT_T0_E_clISt17integral_constantIbLb0EES1O_IbLb1EEEEDaS1K_S1L_EUlS1K_E_NS1_11comp_targetILNS1_3genE5ELNS1_11target_archE942ELNS1_3gpuE9ELNS1_3repE0EEENS1_30default_config_static_selectorELNS0_4arch9wavefront6targetE0EEEvSY_.uses_flat_scratch, 0
	.set _ZN7rocprim17ROCPRIM_400000_NS6detail17trampoline_kernelINS0_13select_configILj256ELj13ELNS0_17block_load_methodE3ELS4_3ELS4_3ELNS0_20block_scan_algorithmE0ELj4294967295EEENS1_25partition_config_selectorILNS1_17partition_subalgoE3EjNS0_10empty_typeEbEEZZNS1_14partition_implILS8_3ELb0ES6_jNS0_17counting_iteratorIjlEEPS9_SE_NS0_5tupleIJPjSE_EEENSF_IJSE_SE_EEES9_SG_JZNS1_25segmented_radix_sort_implINS0_14default_configELb1EPKhPhPKlPlN2at6native12_GLOBAL__N_18offset_tEEE10hipError_tPvRmT1_PNSt15iterator_traitsISY_E10value_typeET2_T3_PNSZ_IS14_E10value_typeET4_jRbjT5_S1A_jjP12ihipStream_tbEUljE_EEESV_SW_SX_S14_S18_S1A_T6_T7_T9_mT8_S1C_bDpT10_ENKUlT_T0_E_clISt17integral_constantIbLb0EES1O_IbLb1EEEEDaS1K_S1L_EUlS1K_E_NS1_11comp_targetILNS1_3genE5ELNS1_11target_archE942ELNS1_3gpuE9ELNS1_3repE0EEENS1_30default_config_static_selectorELNS0_4arch9wavefront6targetE0EEEvSY_.has_dyn_sized_stack, 0
	.set _ZN7rocprim17ROCPRIM_400000_NS6detail17trampoline_kernelINS0_13select_configILj256ELj13ELNS0_17block_load_methodE3ELS4_3ELS4_3ELNS0_20block_scan_algorithmE0ELj4294967295EEENS1_25partition_config_selectorILNS1_17partition_subalgoE3EjNS0_10empty_typeEbEEZZNS1_14partition_implILS8_3ELb0ES6_jNS0_17counting_iteratorIjlEEPS9_SE_NS0_5tupleIJPjSE_EEENSF_IJSE_SE_EEES9_SG_JZNS1_25segmented_radix_sort_implINS0_14default_configELb1EPKhPhPKlPlN2at6native12_GLOBAL__N_18offset_tEEE10hipError_tPvRmT1_PNSt15iterator_traitsISY_E10value_typeET2_T3_PNSZ_IS14_E10value_typeET4_jRbjT5_S1A_jjP12ihipStream_tbEUljE_EEESV_SW_SX_S14_S18_S1A_T6_T7_T9_mT8_S1C_bDpT10_ENKUlT_T0_E_clISt17integral_constantIbLb0EES1O_IbLb1EEEEDaS1K_S1L_EUlS1K_E_NS1_11comp_targetILNS1_3genE5ELNS1_11target_archE942ELNS1_3gpuE9ELNS1_3repE0EEENS1_30default_config_static_selectorELNS0_4arch9wavefront6targetE0EEEvSY_.has_recursion, 0
	.set _ZN7rocprim17ROCPRIM_400000_NS6detail17trampoline_kernelINS0_13select_configILj256ELj13ELNS0_17block_load_methodE3ELS4_3ELS4_3ELNS0_20block_scan_algorithmE0ELj4294967295EEENS1_25partition_config_selectorILNS1_17partition_subalgoE3EjNS0_10empty_typeEbEEZZNS1_14partition_implILS8_3ELb0ES6_jNS0_17counting_iteratorIjlEEPS9_SE_NS0_5tupleIJPjSE_EEENSF_IJSE_SE_EEES9_SG_JZNS1_25segmented_radix_sort_implINS0_14default_configELb1EPKhPhPKlPlN2at6native12_GLOBAL__N_18offset_tEEE10hipError_tPvRmT1_PNSt15iterator_traitsISY_E10value_typeET2_T3_PNSZ_IS14_E10value_typeET4_jRbjT5_S1A_jjP12ihipStream_tbEUljE_EEESV_SW_SX_S14_S18_S1A_T6_T7_T9_mT8_S1C_bDpT10_ENKUlT_T0_E_clISt17integral_constantIbLb0EES1O_IbLb1EEEEDaS1K_S1L_EUlS1K_E_NS1_11comp_targetILNS1_3genE5ELNS1_11target_archE942ELNS1_3gpuE9ELNS1_3repE0EEENS1_30default_config_static_selectorELNS0_4arch9wavefront6targetE0EEEvSY_.has_indirect_call, 0
	.section	.AMDGPU.csdata,"",@progbits
; Kernel info:
; codeLenInByte = 0
; TotalNumSgprs: 0
; NumVgprs: 0
; ScratchSize: 0
; MemoryBound: 0
; FloatMode: 240
; IeeeMode: 1
; LDSByteSize: 0 bytes/workgroup (compile time only)
; SGPRBlocks: 0
; VGPRBlocks: 0
; NumSGPRsForWavesPerEU: 1
; NumVGPRsForWavesPerEU: 1
; Occupancy: 16
; WaveLimiterHint : 0
; COMPUTE_PGM_RSRC2:SCRATCH_EN: 0
; COMPUTE_PGM_RSRC2:USER_SGPR: 6
; COMPUTE_PGM_RSRC2:TRAP_HANDLER: 0
; COMPUTE_PGM_RSRC2:TGID_X_EN: 1
; COMPUTE_PGM_RSRC2:TGID_Y_EN: 0
; COMPUTE_PGM_RSRC2:TGID_Z_EN: 0
; COMPUTE_PGM_RSRC2:TIDIG_COMP_CNT: 0
	.section	.text._ZN7rocprim17ROCPRIM_400000_NS6detail17trampoline_kernelINS0_13select_configILj256ELj13ELNS0_17block_load_methodE3ELS4_3ELS4_3ELNS0_20block_scan_algorithmE0ELj4294967295EEENS1_25partition_config_selectorILNS1_17partition_subalgoE3EjNS0_10empty_typeEbEEZZNS1_14partition_implILS8_3ELb0ES6_jNS0_17counting_iteratorIjlEEPS9_SE_NS0_5tupleIJPjSE_EEENSF_IJSE_SE_EEES9_SG_JZNS1_25segmented_radix_sort_implINS0_14default_configELb1EPKhPhPKlPlN2at6native12_GLOBAL__N_18offset_tEEE10hipError_tPvRmT1_PNSt15iterator_traitsISY_E10value_typeET2_T3_PNSZ_IS14_E10value_typeET4_jRbjT5_S1A_jjP12ihipStream_tbEUljE_EEESV_SW_SX_S14_S18_S1A_T6_T7_T9_mT8_S1C_bDpT10_ENKUlT_T0_E_clISt17integral_constantIbLb0EES1O_IbLb1EEEEDaS1K_S1L_EUlS1K_E_NS1_11comp_targetILNS1_3genE4ELNS1_11target_archE910ELNS1_3gpuE8ELNS1_3repE0EEENS1_30default_config_static_selectorELNS0_4arch9wavefront6targetE0EEEvSY_,"axG",@progbits,_ZN7rocprim17ROCPRIM_400000_NS6detail17trampoline_kernelINS0_13select_configILj256ELj13ELNS0_17block_load_methodE3ELS4_3ELS4_3ELNS0_20block_scan_algorithmE0ELj4294967295EEENS1_25partition_config_selectorILNS1_17partition_subalgoE3EjNS0_10empty_typeEbEEZZNS1_14partition_implILS8_3ELb0ES6_jNS0_17counting_iteratorIjlEEPS9_SE_NS0_5tupleIJPjSE_EEENSF_IJSE_SE_EEES9_SG_JZNS1_25segmented_radix_sort_implINS0_14default_configELb1EPKhPhPKlPlN2at6native12_GLOBAL__N_18offset_tEEE10hipError_tPvRmT1_PNSt15iterator_traitsISY_E10value_typeET2_T3_PNSZ_IS14_E10value_typeET4_jRbjT5_S1A_jjP12ihipStream_tbEUljE_EEESV_SW_SX_S14_S18_S1A_T6_T7_T9_mT8_S1C_bDpT10_ENKUlT_T0_E_clISt17integral_constantIbLb0EES1O_IbLb1EEEEDaS1K_S1L_EUlS1K_E_NS1_11comp_targetILNS1_3genE4ELNS1_11target_archE910ELNS1_3gpuE8ELNS1_3repE0EEENS1_30default_config_static_selectorELNS0_4arch9wavefront6targetE0EEEvSY_,comdat
	.globl	_ZN7rocprim17ROCPRIM_400000_NS6detail17trampoline_kernelINS0_13select_configILj256ELj13ELNS0_17block_load_methodE3ELS4_3ELS4_3ELNS0_20block_scan_algorithmE0ELj4294967295EEENS1_25partition_config_selectorILNS1_17partition_subalgoE3EjNS0_10empty_typeEbEEZZNS1_14partition_implILS8_3ELb0ES6_jNS0_17counting_iteratorIjlEEPS9_SE_NS0_5tupleIJPjSE_EEENSF_IJSE_SE_EEES9_SG_JZNS1_25segmented_radix_sort_implINS0_14default_configELb1EPKhPhPKlPlN2at6native12_GLOBAL__N_18offset_tEEE10hipError_tPvRmT1_PNSt15iterator_traitsISY_E10value_typeET2_T3_PNSZ_IS14_E10value_typeET4_jRbjT5_S1A_jjP12ihipStream_tbEUljE_EEESV_SW_SX_S14_S18_S1A_T6_T7_T9_mT8_S1C_bDpT10_ENKUlT_T0_E_clISt17integral_constantIbLb0EES1O_IbLb1EEEEDaS1K_S1L_EUlS1K_E_NS1_11comp_targetILNS1_3genE4ELNS1_11target_archE910ELNS1_3gpuE8ELNS1_3repE0EEENS1_30default_config_static_selectorELNS0_4arch9wavefront6targetE0EEEvSY_ ; -- Begin function _ZN7rocprim17ROCPRIM_400000_NS6detail17trampoline_kernelINS0_13select_configILj256ELj13ELNS0_17block_load_methodE3ELS4_3ELS4_3ELNS0_20block_scan_algorithmE0ELj4294967295EEENS1_25partition_config_selectorILNS1_17partition_subalgoE3EjNS0_10empty_typeEbEEZZNS1_14partition_implILS8_3ELb0ES6_jNS0_17counting_iteratorIjlEEPS9_SE_NS0_5tupleIJPjSE_EEENSF_IJSE_SE_EEES9_SG_JZNS1_25segmented_radix_sort_implINS0_14default_configELb1EPKhPhPKlPlN2at6native12_GLOBAL__N_18offset_tEEE10hipError_tPvRmT1_PNSt15iterator_traitsISY_E10value_typeET2_T3_PNSZ_IS14_E10value_typeET4_jRbjT5_S1A_jjP12ihipStream_tbEUljE_EEESV_SW_SX_S14_S18_S1A_T6_T7_T9_mT8_S1C_bDpT10_ENKUlT_T0_E_clISt17integral_constantIbLb0EES1O_IbLb1EEEEDaS1K_S1L_EUlS1K_E_NS1_11comp_targetILNS1_3genE4ELNS1_11target_archE910ELNS1_3gpuE8ELNS1_3repE0EEENS1_30default_config_static_selectorELNS0_4arch9wavefront6targetE0EEEvSY_
	.p2align	8
	.type	_ZN7rocprim17ROCPRIM_400000_NS6detail17trampoline_kernelINS0_13select_configILj256ELj13ELNS0_17block_load_methodE3ELS4_3ELS4_3ELNS0_20block_scan_algorithmE0ELj4294967295EEENS1_25partition_config_selectorILNS1_17partition_subalgoE3EjNS0_10empty_typeEbEEZZNS1_14partition_implILS8_3ELb0ES6_jNS0_17counting_iteratorIjlEEPS9_SE_NS0_5tupleIJPjSE_EEENSF_IJSE_SE_EEES9_SG_JZNS1_25segmented_radix_sort_implINS0_14default_configELb1EPKhPhPKlPlN2at6native12_GLOBAL__N_18offset_tEEE10hipError_tPvRmT1_PNSt15iterator_traitsISY_E10value_typeET2_T3_PNSZ_IS14_E10value_typeET4_jRbjT5_S1A_jjP12ihipStream_tbEUljE_EEESV_SW_SX_S14_S18_S1A_T6_T7_T9_mT8_S1C_bDpT10_ENKUlT_T0_E_clISt17integral_constantIbLb0EES1O_IbLb1EEEEDaS1K_S1L_EUlS1K_E_NS1_11comp_targetILNS1_3genE4ELNS1_11target_archE910ELNS1_3gpuE8ELNS1_3repE0EEENS1_30default_config_static_selectorELNS0_4arch9wavefront6targetE0EEEvSY_,@function
_ZN7rocprim17ROCPRIM_400000_NS6detail17trampoline_kernelINS0_13select_configILj256ELj13ELNS0_17block_load_methodE3ELS4_3ELS4_3ELNS0_20block_scan_algorithmE0ELj4294967295EEENS1_25partition_config_selectorILNS1_17partition_subalgoE3EjNS0_10empty_typeEbEEZZNS1_14partition_implILS8_3ELb0ES6_jNS0_17counting_iteratorIjlEEPS9_SE_NS0_5tupleIJPjSE_EEENSF_IJSE_SE_EEES9_SG_JZNS1_25segmented_radix_sort_implINS0_14default_configELb1EPKhPhPKlPlN2at6native12_GLOBAL__N_18offset_tEEE10hipError_tPvRmT1_PNSt15iterator_traitsISY_E10value_typeET2_T3_PNSZ_IS14_E10value_typeET4_jRbjT5_S1A_jjP12ihipStream_tbEUljE_EEESV_SW_SX_S14_S18_S1A_T6_T7_T9_mT8_S1C_bDpT10_ENKUlT_T0_E_clISt17integral_constantIbLb0EES1O_IbLb1EEEEDaS1K_S1L_EUlS1K_E_NS1_11comp_targetILNS1_3genE4ELNS1_11target_archE910ELNS1_3gpuE8ELNS1_3repE0EEENS1_30default_config_static_selectorELNS0_4arch9wavefront6targetE0EEEvSY_: ; @_ZN7rocprim17ROCPRIM_400000_NS6detail17trampoline_kernelINS0_13select_configILj256ELj13ELNS0_17block_load_methodE3ELS4_3ELS4_3ELNS0_20block_scan_algorithmE0ELj4294967295EEENS1_25partition_config_selectorILNS1_17partition_subalgoE3EjNS0_10empty_typeEbEEZZNS1_14partition_implILS8_3ELb0ES6_jNS0_17counting_iteratorIjlEEPS9_SE_NS0_5tupleIJPjSE_EEENSF_IJSE_SE_EEES9_SG_JZNS1_25segmented_radix_sort_implINS0_14default_configELb1EPKhPhPKlPlN2at6native12_GLOBAL__N_18offset_tEEE10hipError_tPvRmT1_PNSt15iterator_traitsISY_E10value_typeET2_T3_PNSZ_IS14_E10value_typeET4_jRbjT5_S1A_jjP12ihipStream_tbEUljE_EEESV_SW_SX_S14_S18_S1A_T6_T7_T9_mT8_S1C_bDpT10_ENKUlT_T0_E_clISt17integral_constantIbLb0EES1O_IbLb1EEEEDaS1K_S1L_EUlS1K_E_NS1_11comp_targetILNS1_3genE4ELNS1_11target_archE910ELNS1_3gpuE8ELNS1_3repE0EEENS1_30default_config_static_selectorELNS0_4arch9wavefront6targetE0EEEvSY_
; %bb.0:
	.section	.rodata,"a",@progbits
	.p2align	6, 0x0
	.amdhsa_kernel _ZN7rocprim17ROCPRIM_400000_NS6detail17trampoline_kernelINS0_13select_configILj256ELj13ELNS0_17block_load_methodE3ELS4_3ELS4_3ELNS0_20block_scan_algorithmE0ELj4294967295EEENS1_25partition_config_selectorILNS1_17partition_subalgoE3EjNS0_10empty_typeEbEEZZNS1_14partition_implILS8_3ELb0ES6_jNS0_17counting_iteratorIjlEEPS9_SE_NS0_5tupleIJPjSE_EEENSF_IJSE_SE_EEES9_SG_JZNS1_25segmented_radix_sort_implINS0_14default_configELb1EPKhPhPKlPlN2at6native12_GLOBAL__N_18offset_tEEE10hipError_tPvRmT1_PNSt15iterator_traitsISY_E10value_typeET2_T3_PNSZ_IS14_E10value_typeET4_jRbjT5_S1A_jjP12ihipStream_tbEUljE_EEESV_SW_SX_S14_S18_S1A_T6_T7_T9_mT8_S1C_bDpT10_ENKUlT_T0_E_clISt17integral_constantIbLb0EES1O_IbLb1EEEEDaS1K_S1L_EUlS1K_E_NS1_11comp_targetILNS1_3genE4ELNS1_11target_archE910ELNS1_3gpuE8ELNS1_3repE0EEENS1_30default_config_static_selectorELNS0_4arch9wavefront6targetE0EEEvSY_
		.amdhsa_group_segment_fixed_size 0
		.amdhsa_private_segment_fixed_size 0
		.amdhsa_kernarg_size 152
		.amdhsa_user_sgpr_count 6
		.amdhsa_user_sgpr_private_segment_buffer 1
		.amdhsa_user_sgpr_dispatch_ptr 0
		.amdhsa_user_sgpr_queue_ptr 0
		.amdhsa_user_sgpr_kernarg_segment_ptr 1
		.amdhsa_user_sgpr_dispatch_id 0
		.amdhsa_user_sgpr_flat_scratch_init 0
		.amdhsa_user_sgpr_private_segment_size 0
		.amdhsa_wavefront_size32 1
		.amdhsa_uses_dynamic_stack 0
		.amdhsa_system_sgpr_private_segment_wavefront_offset 0
		.amdhsa_system_sgpr_workgroup_id_x 1
		.amdhsa_system_sgpr_workgroup_id_y 0
		.amdhsa_system_sgpr_workgroup_id_z 0
		.amdhsa_system_sgpr_workgroup_info 0
		.amdhsa_system_vgpr_workitem_id 0
		.amdhsa_next_free_vgpr 1
		.amdhsa_next_free_sgpr 1
		.amdhsa_reserve_vcc 0
		.amdhsa_reserve_flat_scratch 0
		.amdhsa_float_round_mode_32 0
		.amdhsa_float_round_mode_16_64 0
		.amdhsa_float_denorm_mode_32 3
		.amdhsa_float_denorm_mode_16_64 3
		.amdhsa_dx10_clamp 1
		.amdhsa_ieee_mode 1
		.amdhsa_fp16_overflow 0
		.amdhsa_workgroup_processor_mode 1
		.amdhsa_memory_ordered 1
		.amdhsa_forward_progress 1
		.amdhsa_shared_vgpr_count 0
		.amdhsa_exception_fp_ieee_invalid_op 0
		.amdhsa_exception_fp_denorm_src 0
		.amdhsa_exception_fp_ieee_div_zero 0
		.amdhsa_exception_fp_ieee_overflow 0
		.amdhsa_exception_fp_ieee_underflow 0
		.amdhsa_exception_fp_ieee_inexact 0
		.amdhsa_exception_int_div_zero 0
	.end_amdhsa_kernel
	.section	.text._ZN7rocprim17ROCPRIM_400000_NS6detail17trampoline_kernelINS0_13select_configILj256ELj13ELNS0_17block_load_methodE3ELS4_3ELS4_3ELNS0_20block_scan_algorithmE0ELj4294967295EEENS1_25partition_config_selectorILNS1_17partition_subalgoE3EjNS0_10empty_typeEbEEZZNS1_14partition_implILS8_3ELb0ES6_jNS0_17counting_iteratorIjlEEPS9_SE_NS0_5tupleIJPjSE_EEENSF_IJSE_SE_EEES9_SG_JZNS1_25segmented_radix_sort_implINS0_14default_configELb1EPKhPhPKlPlN2at6native12_GLOBAL__N_18offset_tEEE10hipError_tPvRmT1_PNSt15iterator_traitsISY_E10value_typeET2_T3_PNSZ_IS14_E10value_typeET4_jRbjT5_S1A_jjP12ihipStream_tbEUljE_EEESV_SW_SX_S14_S18_S1A_T6_T7_T9_mT8_S1C_bDpT10_ENKUlT_T0_E_clISt17integral_constantIbLb0EES1O_IbLb1EEEEDaS1K_S1L_EUlS1K_E_NS1_11comp_targetILNS1_3genE4ELNS1_11target_archE910ELNS1_3gpuE8ELNS1_3repE0EEENS1_30default_config_static_selectorELNS0_4arch9wavefront6targetE0EEEvSY_,"axG",@progbits,_ZN7rocprim17ROCPRIM_400000_NS6detail17trampoline_kernelINS0_13select_configILj256ELj13ELNS0_17block_load_methodE3ELS4_3ELS4_3ELNS0_20block_scan_algorithmE0ELj4294967295EEENS1_25partition_config_selectorILNS1_17partition_subalgoE3EjNS0_10empty_typeEbEEZZNS1_14partition_implILS8_3ELb0ES6_jNS0_17counting_iteratorIjlEEPS9_SE_NS0_5tupleIJPjSE_EEENSF_IJSE_SE_EEES9_SG_JZNS1_25segmented_radix_sort_implINS0_14default_configELb1EPKhPhPKlPlN2at6native12_GLOBAL__N_18offset_tEEE10hipError_tPvRmT1_PNSt15iterator_traitsISY_E10value_typeET2_T3_PNSZ_IS14_E10value_typeET4_jRbjT5_S1A_jjP12ihipStream_tbEUljE_EEESV_SW_SX_S14_S18_S1A_T6_T7_T9_mT8_S1C_bDpT10_ENKUlT_T0_E_clISt17integral_constantIbLb0EES1O_IbLb1EEEEDaS1K_S1L_EUlS1K_E_NS1_11comp_targetILNS1_3genE4ELNS1_11target_archE910ELNS1_3gpuE8ELNS1_3repE0EEENS1_30default_config_static_selectorELNS0_4arch9wavefront6targetE0EEEvSY_,comdat
.Lfunc_end77:
	.size	_ZN7rocprim17ROCPRIM_400000_NS6detail17trampoline_kernelINS0_13select_configILj256ELj13ELNS0_17block_load_methodE3ELS4_3ELS4_3ELNS0_20block_scan_algorithmE0ELj4294967295EEENS1_25partition_config_selectorILNS1_17partition_subalgoE3EjNS0_10empty_typeEbEEZZNS1_14partition_implILS8_3ELb0ES6_jNS0_17counting_iteratorIjlEEPS9_SE_NS0_5tupleIJPjSE_EEENSF_IJSE_SE_EEES9_SG_JZNS1_25segmented_radix_sort_implINS0_14default_configELb1EPKhPhPKlPlN2at6native12_GLOBAL__N_18offset_tEEE10hipError_tPvRmT1_PNSt15iterator_traitsISY_E10value_typeET2_T3_PNSZ_IS14_E10value_typeET4_jRbjT5_S1A_jjP12ihipStream_tbEUljE_EEESV_SW_SX_S14_S18_S1A_T6_T7_T9_mT8_S1C_bDpT10_ENKUlT_T0_E_clISt17integral_constantIbLb0EES1O_IbLb1EEEEDaS1K_S1L_EUlS1K_E_NS1_11comp_targetILNS1_3genE4ELNS1_11target_archE910ELNS1_3gpuE8ELNS1_3repE0EEENS1_30default_config_static_selectorELNS0_4arch9wavefront6targetE0EEEvSY_, .Lfunc_end77-_ZN7rocprim17ROCPRIM_400000_NS6detail17trampoline_kernelINS0_13select_configILj256ELj13ELNS0_17block_load_methodE3ELS4_3ELS4_3ELNS0_20block_scan_algorithmE0ELj4294967295EEENS1_25partition_config_selectorILNS1_17partition_subalgoE3EjNS0_10empty_typeEbEEZZNS1_14partition_implILS8_3ELb0ES6_jNS0_17counting_iteratorIjlEEPS9_SE_NS0_5tupleIJPjSE_EEENSF_IJSE_SE_EEES9_SG_JZNS1_25segmented_radix_sort_implINS0_14default_configELb1EPKhPhPKlPlN2at6native12_GLOBAL__N_18offset_tEEE10hipError_tPvRmT1_PNSt15iterator_traitsISY_E10value_typeET2_T3_PNSZ_IS14_E10value_typeET4_jRbjT5_S1A_jjP12ihipStream_tbEUljE_EEESV_SW_SX_S14_S18_S1A_T6_T7_T9_mT8_S1C_bDpT10_ENKUlT_T0_E_clISt17integral_constantIbLb0EES1O_IbLb1EEEEDaS1K_S1L_EUlS1K_E_NS1_11comp_targetILNS1_3genE4ELNS1_11target_archE910ELNS1_3gpuE8ELNS1_3repE0EEENS1_30default_config_static_selectorELNS0_4arch9wavefront6targetE0EEEvSY_
                                        ; -- End function
	.set _ZN7rocprim17ROCPRIM_400000_NS6detail17trampoline_kernelINS0_13select_configILj256ELj13ELNS0_17block_load_methodE3ELS4_3ELS4_3ELNS0_20block_scan_algorithmE0ELj4294967295EEENS1_25partition_config_selectorILNS1_17partition_subalgoE3EjNS0_10empty_typeEbEEZZNS1_14partition_implILS8_3ELb0ES6_jNS0_17counting_iteratorIjlEEPS9_SE_NS0_5tupleIJPjSE_EEENSF_IJSE_SE_EEES9_SG_JZNS1_25segmented_radix_sort_implINS0_14default_configELb1EPKhPhPKlPlN2at6native12_GLOBAL__N_18offset_tEEE10hipError_tPvRmT1_PNSt15iterator_traitsISY_E10value_typeET2_T3_PNSZ_IS14_E10value_typeET4_jRbjT5_S1A_jjP12ihipStream_tbEUljE_EEESV_SW_SX_S14_S18_S1A_T6_T7_T9_mT8_S1C_bDpT10_ENKUlT_T0_E_clISt17integral_constantIbLb0EES1O_IbLb1EEEEDaS1K_S1L_EUlS1K_E_NS1_11comp_targetILNS1_3genE4ELNS1_11target_archE910ELNS1_3gpuE8ELNS1_3repE0EEENS1_30default_config_static_selectorELNS0_4arch9wavefront6targetE0EEEvSY_.num_vgpr, 0
	.set _ZN7rocprim17ROCPRIM_400000_NS6detail17trampoline_kernelINS0_13select_configILj256ELj13ELNS0_17block_load_methodE3ELS4_3ELS4_3ELNS0_20block_scan_algorithmE0ELj4294967295EEENS1_25partition_config_selectorILNS1_17partition_subalgoE3EjNS0_10empty_typeEbEEZZNS1_14partition_implILS8_3ELb0ES6_jNS0_17counting_iteratorIjlEEPS9_SE_NS0_5tupleIJPjSE_EEENSF_IJSE_SE_EEES9_SG_JZNS1_25segmented_radix_sort_implINS0_14default_configELb1EPKhPhPKlPlN2at6native12_GLOBAL__N_18offset_tEEE10hipError_tPvRmT1_PNSt15iterator_traitsISY_E10value_typeET2_T3_PNSZ_IS14_E10value_typeET4_jRbjT5_S1A_jjP12ihipStream_tbEUljE_EEESV_SW_SX_S14_S18_S1A_T6_T7_T9_mT8_S1C_bDpT10_ENKUlT_T0_E_clISt17integral_constantIbLb0EES1O_IbLb1EEEEDaS1K_S1L_EUlS1K_E_NS1_11comp_targetILNS1_3genE4ELNS1_11target_archE910ELNS1_3gpuE8ELNS1_3repE0EEENS1_30default_config_static_selectorELNS0_4arch9wavefront6targetE0EEEvSY_.num_agpr, 0
	.set _ZN7rocprim17ROCPRIM_400000_NS6detail17trampoline_kernelINS0_13select_configILj256ELj13ELNS0_17block_load_methodE3ELS4_3ELS4_3ELNS0_20block_scan_algorithmE0ELj4294967295EEENS1_25partition_config_selectorILNS1_17partition_subalgoE3EjNS0_10empty_typeEbEEZZNS1_14partition_implILS8_3ELb0ES6_jNS0_17counting_iteratorIjlEEPS9_SE_NS0_5tupleIJPjSE_EEENSF_IJSE_SE_EEES9_SG_JZNS1_25segmented_radix_sort_implINS0_14default_configELb1EPKhPhPKlPlN2at6native12_GLOBAL__N_18offset_tEEE10hipError_tPvRmT1_PNSt15iterator_traitsISY_E10value_typeET2_T3_PNSZ_IS14_E10value_typeET4_jRbjT5_S1A_jjP12ihipStream_tbEUljE_EEESV_SW_SX_S14_S18_S1A_T6_T7_T9_mT8_S1C_bDpT10_ENKUlT_T0_E_clISt17integral_constantIbLb0EES1O_IbLb1EEEEDaS1K_S1L_EUlS1K_E_NS1_11comp_targetILNS1_3genE4ELNS1_11target_archE910ELNS1_3gpuE8ELNS1_3repE0EEENS1_30default_config_static_selectorELNS0_4arch9wavefront6targetE0EEEvSY_.numbered_sgpr, 0
	.set _ZN7rocprim17ROCPRIM_400000_NS6detail17trampoline_kernelINS0_13select_configILj256ELj13ELNS0_17block_load_methodE3ELS4_3ELS4_3ELNS0_20block_scan_algorithmE0ELj4294967295EEENS1_25partition_config_selectorILNS1_17partition_subalgoE3EjNS0_10empty_typeEbEEZZNS1_14partition_implILS8_3ELb0ES6_jNS0_17counting_iteratorIjlEEPS9_SE_NS0_5tupleIJPjSE_EEENSF_IJSE_SE_EEES9_SG_JZNS1_25segmented_radix_sort_implINS0_14default_configELb1EPKhPhPKlPlN2at6native12_GLOBAL__N_18offset_tEEE10hipError_tPvRmT1_PNSt15iterator_traitsISY_E10value_typeET2_T3_PNSZ_IS14_E10value_typeET4_jRbjT5_S1A_jjP12ihipStream_tbEUljE_EEESV_SW_SX_S14_S18_S1A_T6_T7_T9_mT8_S1C_bDpT10_ENKUlT_T0_E_clISt17integral_constantIbLb0EES1O_IbLb1EEEEDaS1K_S1L_EUlS1K_E_NS1_11comp_targetILNS1_3genE4ELNS1_11target_archE910ELNS1_3gpuE8ELNS1_3repE0EEENS1_30default_config_static_selectorELNS0_4arch9wavefront6targetE0EEEvSY_.num_named_barrier, 0
	.set _ZN7rocprim17ROCPRIM_400000_NS6detail17trampoline_kernelINS0_13select_configILj256ELj13ELNS0_17block_load_methodE3ELS4_3ELS4_3ELNS0_20block_scan_algorithmE0ELj4294967295EEENS1_25partition_config_selectorILNS1_17partition_subalgoE3EjNS0_10empty_typeEbEEZZNS1_14partition_implILS8_3ELb0ES6_jNS0_17counting_iteratorIjlEEPS9_SE_NS0_5tupleIJPjSE_EEENSF_IJSE_SE_EEES9_SG_JZNS1_25segmented_radix_sort_implINS0_14default_configELb1EPKhPhPKlPlN2at6native12_GLOBAL__N_18offset_tEEE10hipError_tPvRmT1_PNSt15iterator_traitsISY_E10value_typeET2_T3_PNSZ_IS14_E10value_typeET4_jRbjT5_S1A_jjP12ihipStream_tbEUljE_EEESV_SW_SX_S14_S18_S1A_T6_T7_T9_mT8_S1C_bDpT10_ENKUlT_T0_E_clISt17integral_constantIbLb0EES1O_IbLb1EEEEDaS1K_S1L_EUlS1K_E_NS1_11comp_targetILNS1_3genE4ELNS1_11target_archE910ELNS1_3gpuE8ELNS1_3repE0EEENS1_30default_config_static_selectorELNS0_4arch9wavefront6targetE0EEEvSY_.private_seg_size, 0
	.set _ZN7rocprim17ROCPRIM_400000_NS6detail17trampoline_kernelINS0_13select_configILj256ELj13ELNS0_17block_load_methodE3ELS4_3ELS4_3ELNS0_20block_scan_algorithmE0ELj4294967295EEENS1_25partition_config_selectorILNS1_17partition_subalgoE3EjNS0_10empty_typeEbEEZZNS1_14partition_implILS8_3ELb0ES6_jNS0_17counting_iteratorIjlEEPS9_SE_NS0_5tupleIJPjSE_EEENSF_IJSE_SE_EEES9_SG_JZNS1_25segmented_radix_sort_implINS0_14default_configELb1EPKhPhPKlPlN2at6native12_GLOBAL__N_18offset_tEEE10hipError_tPvRmT1_PNSt15iterator_traitsISY_E10value_typeET2_T3_PNSZ_IS14_E10value_typeET4_jRbjT5_S1A_jjP12ihipStream_tbEUljE_EEESV_SW_SX_S14_S18_S1A_T6_T7_T9_mT8_S1C_bDpT10_ENKUlT_T0_E_clISt17integral_constantIbLb0EES1O_IbLb1EEEEDaS1K_S1L_EUlS1K_E_NS1_11comp_targetILNS1_3genE4ELNS1_11target_archE910ELNS1_3gpuE8ELNS1_3repE0EEENS1_30default_config_static_selectorELNS0_4arch9wavefront6targetE0EEEvSY_.uses_vcc, 0
	.set _ZN7rocprim17ROCPRIM_400000_NS6detail17trampoline_kernelINS0_13select_configILj256ELj13ELNS0_17block_load_methodE3ELS4_3ELS4_3ELNS0_20block_scan_algorithmE0ELj4294967295EEENS1_25partition_config_selectorILNS1_17partition_subalgoE3EjNS0_10empty_typeEbEEZZNS1_14partition_implILS8_3ELb0ES6_jNS0_17counting_iteratorIjlEEPS9_SE_NS0_5tupleIJPjSE_EEENSF_IJSE_SE_EEES9_SG_JZNS1_25segmented_radix_sort_implINS0_14default_configELb1EPKhPhPKlPlN2at6native12_GLOBAL__N_18offset_tEEE10hipError_tPvRmT1_PNSt15iterator_traitsISY_E10value_typeET2_T3_PNSZ_IS14_E10value_typeET4_jRbjT5_S1A_jjP12ihipStream_tbEUljE_EEESV_SW_SX_S14_S18_S1A_T6_T7_T9_mT8_S1C_bDpT10_ENKUlT_T0_E_clISt17integral_constantIbLb0EES1O_IbLb1EEEEDaS1K_S1L_EUlS1K_E_NS1_11comp_targetILNS1_3genE4ELNS1_11target_archE910ELNS1_3gpuE8ELNS1_3repE0EEENS1_30default_config_static_selectorELNS0_4arch9wavefront6targetE0EEEvSY_.uses_flat_scratch, 0
	.set _ZN7rocprim17ROCPRIM_400000_NS6detail17trampoline_kernelINS0_13select_configILj256ELj13ELNS0_17block_load_methodE3ELS4_3ELS4_3ELNS0_20block_scan_algorithmE0ELj4294967295EEENS1_25partition_config_selectorILNS1_17partition_subalgoE3EjNS0_10empty_typeEbEEZZNS1_14partition_implILS8_3ELb0ES6_jNS0_17counting_iteratorIjlEEPS9_SE_NS0_5tupleIJPjSE_EEENSF_IJSE_SE_EEES9_SG_JZNS1_25segmented_radix_sort_implINS0_14default_configELb1EPKhPhPKlPlN2at6native12_GLOBAL__N_18offset_tEEE10hipError_tPvRmT1_PNSt15iterator_traitsISY_E10value_typeET2_T3_PNSZ_IS14_E10value_typeET4_jRbjT5_S1A_jjP12ihipStream_tbEUljE_EEESV_SW_SX_S14_S18_S1A_T6_T7_T9_mT8_S1C_bDpT10_ENKUlT_T0_E_clISt17integral_constantIbLb0EES1O_IbLb1EEEEDaS1K_S1L_EUlS1K_E_NS1_11comp_targetILNS1_3genE4ELNS1_11target_archE910ELNS1_3gpuE8ELNS1_3repE0EEENS1_30default_config_static_selectorELNS0_4arch9wavefront6targetE0EEEvSY_.has_dyn_sized_stack, 0
	.set _ZN7rocprim17ROCPRIM_400000_NS6detail17trampoline_kernelINS0_13select_configILj256ELj13ELNS0_17block_load_methodE3ELS4_3ELS4_3ELNS0_20block_scan_algorithmE0ELj4294967295EEENS1_25partition_config_selectorILNS1_17partition_subalgoE3EjNS0_10empty_typeEbEEZZNS1_14partition_implILS8_3ELb0ES6_jNS0_17counting_iteratorIjlEEPS9_SE_NS0_5tupleIJPjSE_EEENSF_IJSE_SE_EEES9_SG_JZNS1_25segmented_radix_sort_implINS0_14default_configELb1EPKhPhPKlPlN2at6native12_GLOBAL__N_18offset_tEEE10hipError_tPvRmT1_PNSt15iterator_traitsISY_E10value_typeET2_T3_PNSZ_IS14_E10value_typeET4_jRbjT5_S1A_jjP12ihipStream_tbEUljE_EEESV_SW_SX_S14_S18_S1A_T6_T7_T9_mT8_S1C_bDpT10_ENKUlT_T0_E_clISt17integral_constantIbLb0EES1O_IbLb1EEEEDaS1K_S1L_EUlS1K_E_NS1_11comp_targetILNS1_3genE4ELNS1_11target_archE910ELNS1_3gpuE8ELNS1_3repE0EEENS1_30default_config_static_selectorELNS0_4arch9wavefront6targetE0EEEvSY_.has_recursion, 0
	.set _ZN7rocprim17ROCPRIM_400000_NS6detail17trampoline_kernelINS0_13select_configILj256ELj13ELNS0_17block_load_methodE3ELS4_3ELS4_3ELNS0_20block_scan_algorithmE0ELj4294967295EEENS1_25partition_config_selectorILNS1_17partition_subalgoE3EjNS0_10empty_typeEbEEZZNS1_14partition_implILS8_3ELb0ES6_jNS0_17counting_iteratorIjlEEPS9_SE_NS0_5tupleIJPjSE_EEENSF_IJSE_SE_EEES9_SG_JZNS1_25segmented_radix_sort_implINS0_14default_configELb1EPKhPhPKlPlN2at6native12_GLOBAL__N_18offset_tEEE10hipError_tPvRmT1_PNSt15iterator_traitsISY_E10value_typeET2_T3_PNSZ_IS14_E10value_typeET4_jRbjT5_S1A_jjP12ihipStream_tbEUljE_EEESV_SW_SX_S14_S18_S1A_T6_T7_T9_mT8_S1C_bDpT10_ENKUlT_T0_E_clISt17integral_constantIbLb0EES1O_IbLb1EEEEDaS1K_S1L_EUlS1K_E_NS1_11comp_targetILNS1_3genE4ELNS1_11target_archE910ELNS1_3gpuE8ELNS1_3repE0EEENS1_30default_config_static_selectorELNS0_4arch9wavefront6targetE0EEEvSY_.has_indirect_call, 0
	.section	.AMDGPU.csdata,"",@progbits
; Kernel info:
; codeLenInByte = 0
; TotalNumSgprs: 0
; NumVgprs: 0
; ScratchSize: 0
; MemoryBound: 0
; FloatMode: 240
; IeeeMode: 1
; LDSByteSize: 0 bytes/workgroup (compile time only)
; SGPRBlocks: 0
; VGPRBlocks: 0
; NumSGPRsForWavesPerEU: 1
; NumVGPRsForWavesPerEU: 1
; Occupancy: 16
; WaveLimiterHint : 0
; COMPUTE_PGM_RSRC2:SCRATCH_EN: 0
; COMPUTE_PGM_RSRC2:USER_SGPR: 6
; COMPUTE_PGM_RSRC2:TRAP_HANDLER: 0
; COMPUTE_PGM_RSRC2:TGID_X_EN: 1
; COMPUTE_PGM_RSRC2:TGID_Y_EN: 0
; COMPUTE_PGM_RSRC2:TGID_Z_EN: 0
; COMPUTE_PGM_RSRC2:TIDIG_COMP_CNT: 0
	.section	.text._ZN7rocprim17ROCPRIM_400000_NS6detail17trampoline_kernelINS0_13select_configILj256ELj13ELNS0_17block_load_methodE3ELS4_3ELS4_3ELNS0_20block_scan_algorithmE0ELj4294967295EEENS1_25partition_config_selectorILNS1_17partition_subalgoE3EjNS0_10empty_typeEbEEZZNS1_14partition_implILS8_3ELb0ES6_jNS0_17counting_iteratorIjlEEPS9_SE_NS0_5tupleIJPjSE_EEENSF_IJSE_SE_EEES9_SG_JZNS1_25segmented_radix_sort_implINS0_14default_configELb1EPKhPhPKlPlN2at6native12_GLOBAL__N_18offset_tEEE10hipError_tPvRmT1_PNSt15iterator_traitsISY_E10value_typeET2_T3_PNSZ_IS14_E10value_typeET4_jRbjT5_S1A_jjP12ihipStream_tbEUljE_EEESV_SW_SX_S14_S18_S1A_T6_T7_T9_mT8_S1C_bDpT10_ENKUlT_T0_E_clISt17integral_constantIbLb0EES1O_IbLb1EEEEDaS1K_S1L_EUlS1K_E_NS1_11comp_targetILNS1_3genE3ELNS1_11target_archE908ELNS1_3gpuE7ELNS1_3repE0EEENS1_30default_config_static_selectorELNS0_4arch9wavefront6targetE0EEEvSY_,"axG",@progbits,_ZN7rocprim17ROCPRIM_400000_NS6detail17trampoline_kernelINS0_13select_configILj256ELj13ELNS0_17block_load_methodE3ELS4_3ELS4_3ELNS0_20block_scan_algorithmE0ELj4294967295EEENS1_25partition_config_selectorILNS1_17partition_subalgoE3EjNS0_10empty_typeEbEEZZNS1_14partition_implILS8_3ELb0ES6_jNS0_17counting_iteratorIjlEEPS9_SE_NS0_5tupleIJPjSE_EEENSF_IJSE_SE_EEES9_SG_JZNS1_25segmented_radix_sort_implINS0_14default_configELb1EPKhPhPKlPlN2at6native12_GLOBAL__N_18offset_tEEE10hipError_tPvRmT1_PNSt15iterator_traitsISY_E10value_typeET2_T3_PNSZ_IS14_E10value_typeET4_jRbjT5_S1A_jjP12ihipStream_tbEUljE_EEESV_SW_SX_S14_S18_S1A_T6_T7_T9_mT8_S1C_bDpT10_ENKUlT_T0_E_clISt17integral_constantIbLb0EES1O_IbLb1EEEEDaS1K_S1L_EUlS1K_E_NS1_11comp_targetILNS1_3genE3ELNS1_11target_archE908ELNS1_3gpuE7ELNS1_3repE0EEENS1_30default_config_static_selectorELNS0_4arch9wavefront6targetE0EEEvSY_,comdat
	.globl	_ZN7rocprim17ROCPRIM_400000_NS6detail17trampoline_kernelINS0_13select_configILj256ELj13ELNS0_17block_load_methodE3ELS4_3ELS4_3ELNS0_20block_scan_algorithmE0ELj4294967295EEENS1_25partition_config_selectorILNS1_17partition_subalgoE3EjNS0_10empty_typeEbEEZZNS1_14partition_implILS8_3ELb0ES6_jNS0_17counting_iteratorIjlEEPS9_SE_NS0_5tupleIJPjSE_EEENSF_IJSE_SE_EEES9_SG_JZNS1_25segmented_radix_sort_implINS0_14default_configELb1EPKhPhPKlPlN2at6native12_GLOBAL__N_18offset_tEEE10hipError_tPvRmT1_PNSt15iterator_traitsISY_E10value_typeET2_T3_PNSZ_IS14_E10value_typeET4_jRbjT5_S1A_jjP12ihipStream_tbEUljE_EEESV_SW_SX_S14_S18_S1A_T6_T7_T9_mT8_S1C_bDpT10_ENKUlT_T0_E_clISt17integral_constantIbLb0EES1O_IbLb1EEEEDaS1K_S1L_EUlS1K_E_NS1_11comp_targetILNS1_3genE3ELNS1_11target_archE908ELNS1_3gpuE7ELNS1_3repE0EEENS1_30default_config_static_selectorELNS0_4arch9wavefront6targetE0EEEvSY_ ; -- Begin function _ZN7rocprim17ROCPRIM_400000_NS6detail17trampoline_kernelINS0_13select_configILj256ELj13ELNS0_17block_load_methodE3ELS4_3ELS4_3ELNS0_20block_scan_algorithmE0ELj4294967295EEENS1_25partition_config_selectorILNS1_17partition_subalgoE3EjNS0_10empty_typeEbEEZZNS1_14partition_implILS8_3ELb0ES6_jNS0_17counting_iteratorIjlEEPS9_SE_NS0_5tupleIJPjSE_EEENSF_IJSE_SE_EEES9_SG_JZNS1_25segmented_radix_sort_implINS0_14default_configELb1EPKhPhPKlPlN2at6native12_GLOBAL__N_18offset_tEEE10hipError_tPvRmT1_PNSt15iterator_traitsISY_E10value_typeET2_T3_PNSZ_IS14_E10value_typeET4_jRbjT5_S1A_jjP12ihipStream_tbEUljE_EEESV_SW_SX_S14_S18_S1A_T6_T7_T9_mT8_S1C_bDpT10_ENKUlT_T0_E_clISt17integral_constantIbLb0EES1O_IbLb1EEEEDaS1K_S1L_EUlS1K_E_NS1_11comp_targetILNS1_3genE3ELNS1_11target_archE908ELNS1_3gpuE7ELNS1_3repE0EEENS1_30default_config_static_selectorELNS0_4arch9wavefront6targetE0EEEvSY_
	.p2align	8
	.type	_ZN7rocprim17ROCPRIM_400000_NS6detail17trampoline_kernelINS0_13select_configILj256ELj13ELNS0_17block_load_methodE3ELS4_3ELS4_3ELNS0_20block_scan_algorithmE0ELj4294967295EEENS1_25partition_config_selectorILNS1_17partition_subalgoE3EjNS0_10empty_typeEbEEZZNS1_14partition_implILS8_3ELb0ES6_jNS0_17counting_iteratorIjlEEPS9_SE_NS0_5tupleIJPjSE_EEENSF_IJSE_SE_EEES9_SG_JZNS1_25segmented_radix_sort_implINS0_14default_configELb1EPKhPhPKlPlN2at6native12_GLOBAL__N_18offset_tEEE10hipError_tPvRmT1_PNSt15iterator_traitsISY_E10value_typeET2_T3_PNSZ_IS14_E10value_typeET4_jRbjT5_S1A_jjP12ihipStream_tbEUljE_EEESV_SW_SX_S14_S18_S1A_T6_T7_T9_mT8_S1C_bDpT10_ENKUlT_T0_E_clISt17integral_constantIbLb0EES1O_IbLb1EEEEDaS1K_S1L_EUlS1K_E_NS1_11comp_targetILNS1_3genE3ELNS1_11target_archE908ELNS1_3gpuE7ELNS1_3repE0EEENS1_30default_config_static_selectorELNS0_4arch9wavefront6targetE0EEEvSY_,@function
_ZN7rocprim17ROCPRIM_400000_NS6detail17trampoline_kernelINS0_13select_configILj256ELj13ELNS0_17block_load_methodE3ELS4_3ELS4_3ELNS0_20block_scan_algorithmE0ELj4294967295EEENS1_25partition_config_selectorILNS1_17partition_subalgoE3EjNS0_10empty_typeEbEEZZNS1_14partition_implILS8_3ELb0ES6_jNS0_17counting_iteratorIjlEEPS9_SE_NS0_5tupleIJPjSE_EEENSF_IJSE_SE_EEES9_SG_JZNS1_25segmented_radix_sort_implINS0_14default_configELb1EPKhPhPKlPlN2at6native12_GLOBAL__N_18offset_tEEE10hipError_tPvRmT1_PNSt15iterator_traitsISY_E10value_typeET2_T3_PNSZ_IS14_E10value_typeET4_jRbjT5_S1A_jjP12ihipStream_tbEUljE_EEESV_SW_SX_S14_S18_S1A_T6_T7_T9_mT8_S1C_bDpT10_ENKUlT_T0_E_clISt17integral_constantIbLb0EES1O_IbLb1EEEEDaS1K_S1L_EUlS1K_E_NS1_11comp_targetILNS1_3genE3ELNS1_11target_archE908ELNS1_3gpuE7ELNS1_3repE0EEENS1_30default_config_static_selectorELNS0_4arch9wavefront6targetE0EEEvSY_: ; @_ZN7rocprim17ROCPRIM_400000_NS6detail17trampoline_kernelINS0_13select_configILj256ELj13ELNS0_17block_load_methodE3ELS4_3ELS4_3ELNS0_20block_scan_algorithmE0ELj4294967295EEENS1_25partition_config_selectorILNS1_17partition_subalgoE3EjNS0_10empty_typeEbEEZZNS1_14partition_implILS8_3ELb0ES6_jNS0_17counting_iteratorIjlEEPS9_SE_NS0_5tupleIJPjSE_EEENSF_IJSE_SE_EEES9_SG_JZNS1_25segmented_radix_sort_implINS0_14default_configELb1EPKhPhPKlPlN2at6native12_GLOBAL__N_18offset_tEEE10hipError_tPvRmT1_PNSt15iterator_traitsISY_E10value_typeET2_T3_PNSZ_IS14_E10value_typeET4_jRbjT5_S1A_jjP12ihipStream_tbEUljE_EEESV_SW_SX_S14_S18_S1A_T6_T7_T9_mT8_S1C_bDpT10_ENKUlT_T0_E_clISt17integral_constantIbLb0EES1O_IbLb1EEEEDaS1K_S1L_EUlS1K_E_NS1_11comp_targetILNS1_3genE3ELNS1_11target_archE908ELNS1_3gpuE7ELNS1_3repE0EEENS1_30default_config_static_selectorELNS0_4arch9wavefront6targetE0EEEvSY_
; %bb.0:
	.section	.rodata,"a",@progbits
	.p2align	6, 0x0
	.amdhsa_kernel _ZN7rocprim17ROCPRIM_400000_NS6detail17trampoline_kernelINS0_13select_configILj256ELj13ELNS0_17block_load_methodE3ELS4_3ELS4_3ELNS0_20block_scan_algorithmE0ELj4294967295EEENS1_25partition_config_selectorILNS1_17partition_subalgoE3EjNS0_10empty_typeEbEEZZNS1_14partition_implILS8_3ELb0ES6_jNS0_17counting_iteratorIjlEEPS9_SE_NS0_5tupleIJPjSE_EEENSF_IJSE_SE_EEES9_SG_JZNS1_25segmented_radix_sort_implINS0_14default_configELb1EPKhPhPKlPlN2at6native12_GLOBAL__N_18offset_tEEE10hipError_tPvRmT1_PNSt15iterator_traitsISY_E10value_typeET2_T3_PNSZ_IS14_E10value_typeET4_jRbjT5_S1A_jjP12ihipStream_tbEUljE_EEESV_SW_SX_S14_S18_S1A_T6_T7_T9_mT8_S1C_bDpT10_ENKUlT_T0_E_clISt17integral_constantIbLb0EES1O_IbLb1EEEEDaS1K_S1L_EUlS1K_E_NS1_11comp_targetILNS1_3genE3ELNS1_11target_archE908ELNS1_3gpuE7ELNS1_3repE0EEENS1_30default_config_static_selectorELNS0_4arch9wavefront6targetE0EEEvSY_
		.amdhsa_group_segment_fixed_size 0
		.amdhsa_private_segment_fixed_size 0
		.amdhsa_kernarg_size 152
		.amdhsa_user_sgpr_count 6
		.amdhsa_user_sgpr_private_segment_buffer 1
		.amdhsa_user_sgpr_dispatch_ptr 0
		.amdhsa_user_sgpr_queue_ptr 0
		.amdhsa_user_sgpr_kernarg_segment_ptr 1
		.amdhsa_user_sgpr_dispatch_id 0
		.amdhsa_user_sgpr_flat_scratch_init 0
		.amdhsa_user_sgpr_private_segment_size 0
		.amdhsa_wavefront_size32 1
		.amdhsa_uses_dynamic_stack 0
		.amdhsa_system_sgpr_private_segment_wavefront_offset 0
		.amdhsa_system_sgpr_workgroup_id_x 1
		.amdhsa_system_sgpr_workgroup_id_y 0
		.amdhsa_system_sgpr_workgroup_id_z 0
		.amdhsa_system_sgpr_workgroup_info 0
		.amdhsa_system_vgpr_workitem_id 0
		.amdhsa_next_free_vgpr 1
		.amdhsa_next_free_sgpr 1
		.amdhsa_reserve_vcc 0
		.amdhsa_reserve_flat_scratch 0
		.amdhsa_float_round_mode_32 0
		.amdhsa_float_round_mode_16_64 0
		.amdhsa_float_denorm_mode_32 3
		.amdhsa_float_denorm_mode_16_64 3
		.amdhsa_dx10_clamp 1
		.amdhsa_ieee_mode 1
		.amdhsa_fp16_overflow 0
		.amdhsa_workgroup_processor_mode 1
		.amdhsa_memory_ordered 1
		.amdhsa_forward_progress 1
		.amdhsa_shared_vgpr_count 0
		.amdhsa_exception_fp_ieee_invalid_op 0
		.amdhsa_exception_fp_denorm_src 0
		.amdhsa_exception_fp_ieee_div_zero 0
		.amdhsa_exception_fp_ieee_overflow 0
		.amdhsa_exception_fp_ieee_underflow 0
		.amdhsa_exception_fp_ieee_inexact 0
		.amdhsa_exception_int_div_zero 0
	.end_amdhsa_kernel
	.section	.text._ZN7rocprim17ROCPRIM_400000_NS6detail17trampoline_kernelINS0_13select_configILj256ELj13ELNS0_17block_load_methodE3ELS4_3ELS4_3ELNS0_20block_scan_algorithmE0ELj4294967295EEENS1_25partition_config_selectorILNS1_17partition_subalgoE3EjNS0_10empty_typeEbEEZZNS1_14partition_implILS8_3ELb0ES6_jNS0_17counting_iteratorIjlEEPS9_SE_NS0_5tupleIJPjSE_EEENSF_IJSE_SE_EEES9_SG_JZNS1_25segmented_radix_sort_implINS0_14default_configELb1EPKhPhPKlPlN2at6native12_GLOBAL__N_18offset_tEEE10hipError_tPvRmT1_PNSt15iterator_traitsISY_E10value_typeET2_T3_PNSZ_IS14_E10value_typeET4_jRbjT5_S1A_jjP12ihipStream_tbEUljE_EEESV_SW_SX_S14_S18_S1A_T6_T7_T9_mT8_S1C_bDpT10_ENKUlT_T0_E_clISt17integral_constantIbLb0EES1O_IbLb1EEEEDaS1K_S1L_EUlS1K_E_NS1_11comp_targetILNS1_3genE3ELNS1_11target_archE908ELNS1_3gpuE7ELNS1_3repE0EEENS1_30default_config_static_selectorELNS0_4arch9wavefront6targetE0EEEvSY_,"axG",@progbits,_ZN7rocprim17ROCPRIM_400000_NS6detail17trampoline_kernelINS0_13select_configILj256ELj13ELNS0_17block_load_methodE3ELS4_3ELS4_3ELNS0_20block_scan_algorithmE0ELj4294967295EEENS1_25partition_config_selectorILNS1_17partition_subalgoE3EjNS0_10empty_typeEbEEZZNS1_14partition_implILS8_3ELb0ES6_jNS0_17counting_iteratorIjlEEPS9_SE_NS0_5tupleIJPjSE_EEENSF_IJSE_SE_EEES9_SG_JZNS1_25segmented_radix_sort_implINS0_14default_configELb1EPKhPhPKlPlN2at6native12_GLOBAL__N_18offset_tEEE10hipError_tPvRmT1_PNSt15iterator_traitsISY_E10value_typeET2_T3_PNSZ_IS14_E10value_typeET4_jRbjT5_S1A_jjP12ihipStream_tbEUljE_EEESV_SW_SX_S14_S18_S1A_T6_T7_T9_mT8_S1C_bDpT10_ENKUlT_T0_E_clISt17integral_constantIbLb0EES1O_IbLb1EEEEDaS1K_S1L_EUlS1K_E_NS1_11comp_targetILNS1_3genE3ELNS1_11target_archE908ELNS1_3gpuE7ELNS1_3repE0EEENS1_30default_config_static_selectorELNS0_4arch9wavefront6targetE0EEEvSY_,comdat
.Lfunc_end78:
	.size	_ZN7rocprim17ROCPRIM_400000_NS6detail17trampoline_kernelINS0_13select_configILj256ELj13ELNS0_17block_load_methodE3ELS4_3ELS4_3ELNS0_20block_scan_algorithmE0ELj4294967295EEENS1_25partition_config_selectorILNS1_17partition_subalgoE3EjNS0_10empty_typeEbEEZZNS1_14partition_implILS8_3ELb0ES6_jNS0_17counting_iteratorIjlEEPS9_SE_NS0_5tupleIJPjSE_EEENSF_IJSE_SE_EEES9_SG_JZNS1_25segmented_radix_sort_implINS0_14default_configELb1EPKhPhPKlPlN2at6native12_GLOBAL__N_18offset_tEEE10hipError_tPvRmT1_PNSt15iterator_traitsISY_E10value_typeET2_T3_PNSZ_IS14_E10value_typeET4_jRbjT5_S1A_jjP12ihipStream_tbEUljE_EEESV_SW_SX_S14_S18_S1A_T6_T7_T9_mT8_S1C_bDpT10_ENKUlT_T0_E_clISt17integral_constantIbLb0EES1O_IbLb1EEEEDaS1K_S1L_EUlS1K_E_NS1_11comp_targetILNS1_3genE3ELNS1_11target_archE908ELNS1_3gpuE7ELNS1_3repE0EEENS1_30default_config_static_selectorELNS0_4arch9wavefront6targetE0EEEvSY_, .Lfunc_end78-_ZN7rocprim17ROCPRIM_400000_NS6detail17trampoline_kernelINS0_13select_configILj256ELj13ELNS0_17block_load_methodE3ELS4_3ELS4_3ELNS0_20block_scan_algorithmE0ELj4294967295EEENS1_25partition_config_selectorILNS1_17partition_subalgoE3EjNS0_10empty_typeEbEEZZNS1_14partition_implILS8_3ELb0ES6_jNS0_17counting_iteratorIjlEEPS9_SE_NS0_5tupleIJPjSE_EEENSF_IJSE_SE_EEES9_SG_JZNS1_25segmented_radix_sort_implINS0_14default_configELb1EPKhPhPKlPlN2at6native12_GLOBAL__N_18offset_tEEE10hipError_tPvRmT1_PNSt15iterator_traitsISY_E10value_typeET2_T3_PNSZ_IS14_E10value_typeET4_jRbjT5_S1A_jjP12ihipStream_tbEUljE_EEESV_SW_SX_S14_S18_S1A_T6_T7_T9_mT8_S1C_bDpT10_ENKUlT_T0_E_clISt17integral_constantIbLb0EES1O_IbLb1EEEEDaS1K_S1L_EUlS1K_E_NS1_11comp_targetILNS1_3genE3ELNS1_11target_archE908ELNS1_3gpuE7ELNS1_3repE0EEENS1_30default_config_static_selectorELNS0_4arch9wavefront6targetE0EEEvSY_
                                        ; -- End function
	.set _ZN7rocprim17ROCPRIM_400000_NS6detail17trampoline_kernelINS0_13select_configILj256ELj13ELNS0_17block_load_methodE3ELS4_3ELS4_3ELNS0_20block_scan_algorithmE0ELj4294967295EEENS1_25partition_config_selectorILNS1_17partition_subalgoE3EjNS0_10empty_typeEbEEZZNS1_14partition_implILS8_3ELb0ES6_jNS0_17counting_iteratorIjlEEPS9_SE_NS0_5tupleIJPjSE_EEENSF_IJSE_SE_EEES9_SG_JZNS1_25segmented_radix_sort_implINS0_14default_configELb1EPKhPhPKlPlN2at6native12_GLOBAL__N_18offset_tEEE10hipError_tPvRmT1_PNSt15iterator_traitsISY_E10value_typeET2_T3_PNSZ_IS14_E10value_typeET4_jRbjT5_S1A_jjP12ihipStream_tbEUljE_EEESV_SW_SX_S14_S18_S1A_T6_T7_T9_mT8_S1C_bDpT10_ENKUlT_T0_E_clISt17integral_constantIbLb0EES1O_IbLb1EEEEDaS1K_S1L_EUlS1K_E_NS1_11comp_targetILNS1_3genE3ELNS1_11target_archE908ELNS1_3gpuE7ELNS1_3repE0EEENS1_30default_config_static_selectorELNS0_4arch9wavefront6targetE0EEEvSY_.num_vgpr, 0
	.set _ZN7rocprim17ROCPRIM_400000_NS6detail17trampoline_kernelINS0_13select_configILj256ELj13ELNS0_17block_load_methodE3ELS4_3ELS4_3ELNS0_20block_scan_algorithmE0ELj4294967295EEENS1_25partition_config_selectorILNS1_17partition_subalgoE3EjNS0_10empty_typeEbEEZZNS1_14partition_implILS8_3ELb0ES6_jNS0_17counting_iteratorIjlEEPS9_SE_NS0_5tupleIJPjSE_EEENSF_IJSE_SE_EEES9_SG_JZNS1_25segmented_radix_sort_implINS0_14default_configELb1EPKhPhPKlPlN2at6native12_GLOBAL__N_18offset_tEEE10hipError_tPvRmT1_PNSt15iterator_traitsISY_E10value_typeET2_T3_PNSZ_IS14_E10value_typeET4_jRbjT5_S1A_jjP12ihipStream_tbEUljE_EEESV_SW_SX_S14_S18_S1A_T6_T7_T9_mT8_S1C_bDpT10_ENKUlT_T0_E_clISt17integral_constantIbLb0EES1O_IbLb1EEEEDaS1K_S1L_EUlS1K_E_NS1_11comp_targetILNS1_3genE3ELNS1_11target_archE908ELNS1_3gpuE7ELNS1_3repE0EEENS1_30default_config_static_selectorELNS0_4arch9wavefront6targetE0EEEvSY_.num_agpr, 0
	.set _ZN7rocprim17ROCPRIM_400000_NS6detail17trampoline_kernelINS0_13select_configILj256ELj13ELNS0_17block_load_methodE3ELS4_3ELS4_3ELNS0_20block_scan_algorithmE0ELj4294967295EEENS1_25partition_config_selectorILNS1_17partition_subalgoE3EjNS0_10empty_typeEbEEZZNS1_14partition_implILS8_3ELb0ES6_jNS0_17counting_iteratorIjlEEPS9_SE_NS0_5tupleIJPjSE_EEENSF_IJSE_SE_EEES9_SG_JZNS1_25segmented_radix_sort_implINS0_14default_configELb1EPKhPhPKlPlN2at6native12_GLOBAL__N_18offset_tEEE10hipError_tPvRmT1_PNSt15iterator_traitsISY_E10value_typeET2_T3_PNSZ_IS14_E10value_typeET4_jRbjT5_S1A_jjP12ihipStream_tbEUljE_EEESV_SW_SX_S14_S18_S1A_T6_T7_T9_mT8_S1C_bDpT10_ENKUlT_T0_E_clISt17integral_constantIbLb0EES1O_IbLb1EEEEDaS1K_S1L_EUlS1K_E_NS1_11comp_targetILNS1_3genE3ELNS1_11target_archE908ELNS1_3gpuE7ELNS1_3repE0EEENS1_30default_config_static_selectorELNS0_4arch9wavefront6targetE0EEEvSY_.numbered_sgpr, 0
	.set _ZN7rocprim17ROCPRIM_400000_NS6detail17trampoline_kernelINS0_13select_configILj256ELj13ELNS0_17block_load_methodE3ELS4_3ELS4_3ELNS0_20block_scan_algorithmE0ELj4294967295EEENS1_25partition_config_selectorILNS1_17partition_subalgoE3EjNS0_10empty_typeEbEEZZNS1_14partition_implILS8_3ELb0ES6_jNS0_17counting_iteratorIjlEEPS9_SE_NS0_5tupleIJPjSE_EEENSF_IJSE_SE_EEES9_SG_JZNS1_25segmented_radix_sort_implINS0_14default_configELb1EPKhPhPKlPlN2at6native12_GLOBAL__N_18offset_tEEE10hipError_tPvRmT1_PNSt15iterator_traitsISY_E10value_typeET2_T3_PNSZ_IS14_E10value_typeET4_jRbjT5_S1A_jjP12ihipStream_tbEUljE_EEESV_SW_SX_S14_S18_S1A_T6_T7_T9_mT8_S1C_bDpT10_ENKUlT_T0_E_clISt17integral_constantIbLb0EES1O_IbLb1EEEEDaS1K_S1L_EUlS1K_E_NS1_11comp_targetILNS1_3genE3ELNS1_11target_archE908ELNS1_3gpuE7ELNS1_3repE0EEENS1_30default_config_static_selectorELNS0_4arch9wavefront6targetE0EEEvSY_.num_named_barrier, 0
	.set _ZN7rocprim17ROCPRIM_400000_NS6detail17trampoline_kernelINS0_13select_configILj256ELj13ELNS0_17block_load_methodE3ELS4_3ELS4_3ELNS0_20block_scan_algorithmE0ELj4294967295EEENS1_25partition_config_selectorILNS1_17partition_subalgoE3EjNS0_10empty_typeEbEEZZNS1_14partition_implILS8_3ELb0ES6_jNS0_17counting_iteratorIjlEEPS9_SE_NS0_5tupleIJPjSE_EEENSF_IJSE_SE_EEES9_SG_JZNS1_25segmented_radix_sort_implINS0_14default_configELb1EPKhPhPKlPlN2at6native12_GLOBAL__N_18offset_tEEE10hipError_tPvRmT1_PNSt15iterator_traitsISY_E10value_typeET2_T3_PNSZ_IS14_E10value_typeET4_jRbjT5_S1A_jjP12ihipStream_tbEUljE_EEESV_SW_SX_S14_S18_S1A_T6_T7_T9_mT8_S1C_bDpT10_ENKUlT_T0_E_clISt17integral_constantIbLb0EES1O_IbLb1EEEEDaS1K_S1L_EUlS1K_E_NS1_11comp_targetILNS1_3genE3ELNS1_11target_archE908ELNS1_3gpuE7ELNS1_3repE0EEENS1_30default_config_static_selectorELNS0_4arch9wavefront6targetE0EEEvSY_.private_seg_size, 0
	.set _ZN7rocprim17ROCPRIM_400000_NS6detail17trampoline_kernelINS0_13select_configILj256ELj13ELNS0_17block_load_methodE3ELS4_3ELS4_3ELNS0_20block_scan_algorithmE0ELj4294967295EEENS1_25partition_config_selectorILNS1_17partition_subalgoE3EjNS0_10empty_typeEbEEZZNS1_14partition_implILS8_3ELb0ES6_jNS0_17counting_iteratorIjlEEPS9_SE_NS0_5tupleIJPjSE_EEENSF_IJSE_SE_EEES9_SG_JZNS1_25segmented_radix_sort_implINS0_14default_configELb1EPKhPhPKlPlN2at6native12_GLOBAL__N_18offset_tEEE10hipError_tPvRmT1_PNSt15iterator_traitsISY_E10value_typeET2_T3_PNSZ_IS14_E10value_typeET4_jRbjT5_S1A_jjP12ihipStream_tbEUljE_EEESV_SW_SX_S14_S18_S1A_T6_T7_T9_mT8_S1C_bDpT10_ENKUlT_T0_E_clISt17integral_constantIbLb0EES1O_IbLb1EEEEDaS1K_S1L_EUlS1K_E_NS1_11comp_targetILNS1_3genE3ELNS1_11target_archE908ELNS1_3gpuE7ELNS1_3repE0EEENS1_30default_config_static_selectorELNS0_4arch9wavefront6targetE0EEEvSY_.uses_vcc, 0
	.set _ZN7rocprim17ROCPRIM_400000_NS6detail17trampoline_kernelINS0_13select_configILj256ELj13ELNS0_17block_load_methodE3ELS4_3ELS4_3ELNS0_20block_scan_algorithmE0ELj4294967295EEENS1_25partition_config_selectorILNS1_17partition_subalgoE3EjNS0_10empty_typeEbEEZZNS1_14partition_implILS8_3ELb0ES6_jNS0_17counting_iteratorIjlEEPS9_SE_NS0_5tupleIJPjSE_EEENSF_IJSE_SE_EEES9_SG_JZNS1_25segmented_radix_sort_implINS0_14default_configELb1EPKhPhPKlPlN2at6native12_GLOBAL__N_18offset_tEEE10hipError_tPvRmT1_PNSt15iterator_traitsISY_E10value_typeET2_T3_PNSZ_IS14_E10value_typeET4_jRbjT5_S1A_jjP12ihipStream_tbEUljE_EEESV_SW_SX_S14_S18_S1A_T6_T7_T9_mT8_S1C_bDpT10_ENKUlT_T0_E_clISt17integral_constantIbLb0EES1O_IbLb1EEEEDaS1K_S1L_EUlS1K_E_NS1_11comp_targetILNS1_3genE3ELNS1_11target_archE908ELNS1_3gpuE7ELNS1_3repE0EEENS1_30default_config_static_selectorELNS0_4arch9wavefront6targetE0EEEvSY_.uses_flat_scratch, 0
	.set _ZN7rocprim17ROCPRIM_400000_NS6detail17trampoline_kernelINS0_13select_configILj256ELj13ELNS0_17block_load_methodE3ELS4_3ELS4_3ELNS0_20block_scan_algorithmE0ELj4294967295EEENS1_25partition_config_selectorILNS1_17partition_subalgoE3EjNS0_10empty_typeEbEEZZNS1_14partition_implILS8_3ELb0ES6_jNS0_17counting_iteratorIjlEEPS9_SE_NS0_5tupleIJPjSE_EEENSF_IJSE_SE_EEES9_SG_JZNS1_25segmented_radix_sort_implINS0_14default_configELb1EPKhPhPKlPlN2at6native12_GLOBAL__N_18offset_tEEE10hipError_tPvRmT1_PNSt15iterator_traitsISY_E10value_typeET2_T3_PNSZ_IS14_E10value_typeET4_jRbjT5_S1A_jjP12ihipStream_tbEUljE_EEESV_SW_SX_S14_S18_S1A_T6_T7_T9_mT8_S1C_bDpT10_ENKUlT_T0_E_clISt17integral_constantIbLb0EES1O_IbLb1EEEEDaS1K_S1L_EUlS1K_E_NS1_11comp_targetILNS1_3genE3ELNS1_11target_archE908ELNS1_3gpuE7ELNS1_3repE0EEENS1_30default_config_static_selectorELNS0_4arch9wavefront6targetE0EEEvSY_.has_dyn_sized_stack, 0
	.set _ZN7rocprim17ROCPRIM_400000_NS6detail17trampoline_kernelINS0_13select_configILj256ELj13ELNS0_17block_load_methodE3ELS4_3ELS4_3ELNS0_20block_scan_algorithmE0ELj4294967295EEENS1_25partition_config_selectorILNS1_17partition_subalgoE3EjNS0_10empty_typeEbEEZZNS1_14partition_implILS8_3ELb0ES6_jNS0_17counting_iteratorIjlEEPS9_SE_NS0_5tupleIJPjSE_EEENSF_IJSE_SE_EEES9_SG_JZNS1_25segmented_radix_sort_implINS0_14default_configELb1EPKhPhPKlPlN2at6native12_GLOBAL__N_18offset_tEEE10hipError_tPvRmT1_PNSt15iterator_traitsISY_E10value_typeET2_T3_PNSZ_IS14_E10value_typeET4_jRbjT5_S1A_jjP12ihipStream_tbEUljE_EEESV_SW_SX_S14_S18_S1A_T6_T7_T9_mT8_S1C_bDpT10_ENKUlT_T0_E_clISt17integral_constantIbLb0EES1O_IbLb1EEEEDaS1K_S1L_EUlS1K_E_NS1_11comp_targetILNS1_3genE3ELNS1_11target_archE908ELNS1_3gpuE7ELNS1_3repE0EEENS1_30default_config_static_selectorELNS0_4arch9wavefront6targetE0EEEvSY_.has_recursion, 0
	.set _ZN7rocprim17ROCPRIM_400000_NS6detail17trampoline_kernelINS0_13select_configILj256ELj13ELNS0_17block_load_methodE3ELS4_3ELS4_3ELNS0_20block_scan_algorithmE0ELj4294967295EEENS1_25partition_config_selectorILNS1_17partition_subalgoE3EjNS0_10empty_typeEbEEZZNS1_14partition_implILS8_3ELb0ES6_jNS0_17counting_iteratorIjlEEPS9_SE_NS0_5tupleIJPjSE_EEENSF_IJSE_SE_EEES9_SG_JZNS1_25segmented_radix_sort_implINS0_14default_configELb1EPKhPhPKlPlN2at6native12_GLOBAL__N_18offset_tEEE10hipError_tPvRmT1_PNSt15iterator_traitsISY_E10value_typeET2_T3_PNSZ_IS14_E10value_typeET4_jRbjT5_S1A_jjP12ihipStream_tbEUljE_EEESV_SW_SX_S14_S18_S1A_T6_T7_T9_mT8_S1C_bDpT10_ENKUlT_T0_E_clISt17integral_constantIbLb0EES1O_IbLb1EEEEDaS1K_S1L_EUlS1K_E_NS1_11comp_targetILNS1_3genE3ELNS1_11target_archE908ELNS1_3gpuE7ELNS1_3repE0EEENS1_30default_config_static_selectorELNS0_4arch9wavefront6targetE0EEEvSY_.has_indirect_call, 0
	.section	.AMDGPU.csdata,"",@progbits
; Kernel info:
; codeLenInByte = 0
; TotalNumSgprs: 0
; NumVgprs: 0
; ScratchSize: 0
; MemoryBound: 0
; FloatMode: 240
; IeeeMode: 1
; LDSByteSize: 0 bytes/workgroup (compile time only)
; SGPRBlocks: 0
; VGPRBlocks: 0
; NumSGPRsForWavesPerEU: 1
; NumVGPRsForWavesPerEU: 1
; Occupancy: 16
; WaveLimiterHint : 0
; COMPUTE_PGM_RSRC2:SCRATCH_EN: 0
; COMPUTE_PGM_RSRC2:USER_SGPR: 6
; COMPUTE_PGM_RSRC2:TRAP_HANDLER: 0
; COMPUTE_PGM_RSRC2:TGID_X_EN: 1
; COMPUTE_PGM_RSRC2:TGID_Y_EN: 0
; COMPUTE_PGM_RSRC2:TGID_Z_EN: 0
; COMPUTE_PGM_RSRC2:TIDIG_COMP_CNT: 0
	.section	.text._ZN7rocprim17ROCPRIM_400000_NS6detail17trampoline_kernelINS0_13select_configILj256ELj13ELNS0_17block_load_methodE3ELS4_3ELS4_3ELNS0_20block_scan_algorithmE0ELj4294967295EEENS1_25partition_config_selectorILNS1_17partition_subalgoE3EjNS0_10empty_typeEbEEZZNS1_14partition_implILS8_3ELb0ES6_jNS0_17counting_iteratorIjlEEPS9_SE_NS0_5tupleIJPjSE_EEENSF_IJSE_SE_EEES9_SG_JZNS1_25segmented_radix_sort_implINS0_14default_configELb1EPKhPhPKlPlN2at6native12_GLOBAL__N_18offset_tEEE10hipError_tPvRmT1_PNSt15iterator_traitsISY_E10value_typeET2_T3_PNSZ_IS14_E10value_typeET4_jRbjT5_S1A_jjP12ihipStream_tbEUljE_EEESV_SW_SX_S14_S18_S1A_T6_T7_T9_mT8_S1C_bDpT10_ENKUlT_T0_E_clISt17integral_constantIbLb0EES1O_IbLb1EEEEDaS1K_S1L_EUlS1K_E_NS1_11comp_targetILNS1_3genE2ELNS1_11target_archE906ELNS1_3gpuE6ELNS1_3repE0EEENS1_30default_config_static_selectorELNS0_4arch9wavefront6targetE0EEEvSY_,"axG",@progbits,_ZN7rocprim17ROCPRIM_400000_NS6detail17trampoline_kernelINS0_13select_configILj256ELj13ELNS0_17block_load_methodE3ELS4_3ELS4_3ELNS0_20block_scan_algorithmE0ELj4294967295EEENS1_25partition_config_selectorILNS1_17partition_subalgoE3EjNS0_10empty_typeEbEEZZNS1_14partition_implILS8_3ELb0ES6_jNS0_17counting_iteratorIjlEEPS9_SE_NS0_5tupleIJPjSE_EEENSF_IJSE_SE_EEES9_SG_JZNS1_25segmented_radix_sort_implINS0_14default_configELb1EPKhPhPKlPlN2at6native12_GLOBAL__N_18offset_tEEE10hipError_tPvRmT1_PNSt15iterator_traitsISY_E10value_typeET2_T3_PNSZ_IS14_E10value_typeET4_jRbjT5_S1A_jjP12ihipStream_tbEUljE_EEESV_SW_SX_S14_S18_S1A_T6_T7_T9_mT8_S1C_bDpT10_ENKUlT_T0_E_clISt17integral_constantIbLb0EES1O_IbLb1EEEEDaS1K_S1L_EUlS1K_E_NS1_11comp_targetILNS1_3genE2ELNS1_11target_archE906ELNS1_3gpuE6ELNS1_3repE0EEENS1_30default_config_static_selectorELNS0_4arch9wavefront6targetE0EEEvSY_,comdat
	.globl	_ZN7rocprim17ROCPRIM_400000_NS6detail17trampoline_kernelINS0_13select_configILj256ELj13ELNS0_17block_load_methodE3ELS4_3ELS4_3ELNS0_20block_scan_algorithmE0ELj4294967295EEENS1_25partition_config_selectorILNS1_17partition_subalgoE3EjNS0_10empty_typeEbEEZZNS1_14partition_implILS8_3ELb0ES6_jNS0_17counting_iteratorIjlEEPS9_SE_NS0_5tupleIJPjSE_EEENSF_IJSE_SE_EEES9_SG_JZNS1_25segmented_radix_sort_implINS0_14default_configELb1EPKhPhPKlPlN2at6native12_GLOBAL__N_18offset_tEEE10hipError_tPvRmT1_PNSt15iterator_traitsISY_E10value_typeET2_T3_PNSZ_IS14_E10value_typeET4_jRbjT5_S1A_jjP12ihipStream_tbEUljE_EEESV_SW_SX_S14_S18_S1A_T6_T7_T9_mT8_S1C_bDpT10_ENKUlT_T0_E_clISt17integral_constantIbLb0EES1O_IbLb1EEEEDaS1K_S1L_EUlS1K_E_NS1_11comp_targetILNS1_3genE2ELNS1_11target_archE906ELNS1_3gpuE6ELNS1_3repE0EEENS1_30default_config_static_selectorELNS0_4arch9wavefront6targetE0EEEvSY_ ; -- Begin function _ZN7rocprim17ROCPRIM_400000_NS6detail17trampoline_kernelINS0_13select_configILj256ELj13ELNS0_17block_load_methodE3ELS4_3ELS4_3ELNS0_20block_scan_algorithmE0ELj4294967295EEENS1_25partition_config_selectorILNS1_17partition_subalgoE3EjNS0_10empty_typeEbEEZZNS1_14partition_implILS8_3ELb0ES6_jNS0_17counting_iteratorIjlEEPS9_SE_NS0_5tupleIJPjSE_EEENSF_IJSE_SE_EEES9_SG_JZNS1_25segmented_radix_sort_implINS0_14default_configELb1EPKhPhPKlPlN2at6native12_GLOBAL__N_18offset_tEEE10hipError_tPvRmT1_PNSt15iterator_traitsISY_E10value_typeET2_T3_PNSZ_IS14_E10value_typeET4_jRbjT5_S1A_jjP12ihipStream_tbEUljE_EEESV_SW_SX_S14_S18_S1A_T6_T7_T9_mT8_S1C_bDpT10_ENKUlT_T0_E_clISt17integral_constantIbLb0EES1O_IbLb1EEEEDaS1K_S1L_EUlS1K_E_NS1_11comp_targetILNS1_3genE2ELNS1_11target_archE906ELNS1_3gpuE6ELNS1_3repE0EEENS1_30default_config_static_selectorELNS0_4arch9wavefront6targetE0EEEvSY_
	.p2align	8
	.type	_ZN7rocprim17ROCPRIM_400000_NS6detail17trampoline_kernelINS0_13select_configILj256ELj13ELNS0_17block_load_methodE3ELS4_3ELS4_3ELNS0_20block_scan_algorithmE0ELj4294967295EEENS1_25partition_config_selectorILNS1_17partition_subalgoE3EjNS0_10empty_typeEbEEZZNS1_14partition_implILS8_3ELb0ES6_jNS0_17counting_iteratorIjlEEPS9_SE_NS0_5tupleIJPjSE_EEENSF_IJSE_SE_EEES9_SG_JZNS1_25segmented_radix_sort_implINS0_14default_configELb1EPKhPhPKlPlN2at6native12_GLOBAL__N_18offset_tEEE10hipError_tPvRmT1_PNSt15iterator_traitsISY_E10value_typeET2_T3_PNSZ_IS14_E10value_typeET4_jRbjT5_S1A_jjP12ihipStream_tbEUljE_EEESV_SW_SX_S14_S18_S1A_T6_T7_T9_mT8_S1C_bDpT10_ENKUlT_T0_E_clISt17integral_constantIbLb0EES1O_IbLb1EEEEDaS1K_S1L_EUlS1K_E_NS1_11comp_targetILNS1_3genE2ELNS1_11target_archE906ELNS1_3gpuE6ELNS1_3repE0EEENS1_30default_config_static_selectorELNS0_4arch9wavefront6targetE0EEEvSY_,@function
_ZN7rocprim17ROCPRIM_400000_NS6detail17trampoline_kernelINS0_13select_configILj256ELj13ELNS0_17block_load_methodE3ELS4_3ELS4_3ELNS0_20block_scan_algorithmE0ELj4294967295EEENS1_25partition_config_selectorILNS1_17partition_subalgoE3EjNS0_10empty_typeEbEEZZNS1_14partition_implILS8_3ELb0ES6_jNS0_17counting_iteratorIjlEEPS9_SE_NS0_5tupleIJPjSE_EEENSF_IJSE_SE_EEES9_SG_JZNS1_25segmented_radix_sort_implINS0_14default_configELb1EPKhPhPKlPlN2at6native12_GLOBAL__N_18offset_tEEE10hipError_tPvRmT1_PNSt15iterator_traitsISY_E10value_typeET2_T3_PNSZ_IS14_E10value_typeET4_jRbjT5_S1A_jjP12ihipStream_tbEUljE_EEESV_SW_SX_S14_S18_S1A_T6_T7_T9_mT8_S1C_bDpT10_ENKUlT_T0_E_clISt17integral_constantIbLb0EES1O_IbLb1EEEEDaS1K_S1L_EUlS1K_E_NS1_11comp_targetILNS1_3genE2ELNS1_11target_archE906ELNS1_3gpuE6ELNS1_3repE0EEENS1_30default_config_static_selectorELNS0_4arch9wavefront6targetE0EEEvSY_: ; @_ZN7rocprim17ROCPRIM_400000_NS6detail17trampoline_kernelINS0_13select_configILj256ELj13ELNS0_17block_load_methodE3ELS4_3ELS4_3ELNS0_20block_scan_algorithmE0ELj4294967295EEENS1_25partition_config_selectorILNS1_17partition_subalgoE3EjNS0_10empty_typeEbEEZZNS1_14partition_implILS8_3ELb0ES6_jNS0_17counting_iteratorIjlEEPS9_SE_NS0_5tupleIJPjSE_EEENSF_IJSE_SE_EEES9_SG_JZNS1_25segmented_radix_sort_implINS0_14default_configELb1EPKhPhPKlPlN2at6native12_GLOBAL__N_18offset_tEEE10hipError_tPvRmT1_PNSt15iterator_traitsISY_E10value_typeET2_T3_PNSZ_IS14_E10value_typeET4_jRbjT5_S1A_jjP12ihipStream_tbEUljE_EEESV_SW_SX_S14_S18_S1A_T6_T7_T9_mT8_S1C_bDpT10_ENKUlT_T0_E_clISt17integral_constantIbLb0EES1O_IbLb1EEEEDaS1K_S1L_EUlS1K_E_NS1_11comp_targetILNS1_3genE2ELNS1_11target_archE906ELNS1_3gpuE6ELNS1_3repE0EEENS1_30default_config_static_selectorELNS0_4arch9wavefront6targetE0EEEvSY_
; %bb.0:
	.section	.rodata,"a",@progbits
	.p2align	6, 0x0
	.amdhsa_kernel _ZN7rocprim17ROCPRIM_400000_NS6detail17trampoline_kernelINS0_13select_configILj256ELj13ELNS0_17block_load_methodE3ELS4_3ELS4_3ELNS0_20block_scan_algorithmE0ELj4294967295EEENS1_25partition_config_selectorILNS1_17partition_subalgoE3EjNS0_10empty_typeEbEEZZNS1_14partition_implILS8_3ELb0ES6_jNS0_17counting_iteratorIjlEEPS9_SE_NS0_5tupleIJPjSE_EEENSF_IJSE_SE_EEES9_SG_JZNS1_25segmented_radix_sort_implINS0_14default_configELb1EPKhPhPKlPlN2at6native12_GLOBAL__N_18offset_tEEE10hipError_tPvRmT1_PNSt15iterator_traitsISY_E10value_typeET2_T3_PNSZ_IS14_E10value_typeET4_jRbjT5_S1A_jjP12ihipStream_tbEUljE_EEESV_SW_SX_S14_S18_S1A_T6_T7_T9_mT8_S1C_bDpT10_ENKUlT_T0_E_clISt17integral_constantIbLb0EES1O_IbLb1EEEEDaS1K_S1L_EUlS1K_E_NS1_11comp_targetILNS1_3genE2ELNS1_11target_archE906ELNS1_3gpuE6ELNS1_3repE0EEENS1_30default_config_static_selectorELNS0_4arch9wavefront6targetE0EEEvSY_
		.amdhsa_group_segment_fixed_size 0
		.amdhsa_private_segment_fixed_size 0
		.amdhsa_kernarg_size 152
		.amdhsa_user_sgpr_count 6
		.amdhsa_user_sgpr_private_segment_buffer 1
		.amdhsa_user_sgpr_dispatch_ptr 0
		.amdhsa_user_sgpr_queue_ptr 0
		.amdhsa_user_sgpr_kernarg_segment_ptr 1
		.amdhsa_user_sgpr_dispatch_id 0
		.amdhsa_user_sgpr_flat_scratch_init 0
		.amdhsa_user_sgpr_private_segment_size 0
		.amdhsa_wavefront_size32 1
		.amdhsa_uses_dynamic_stack 0
		.amdhsa_system_sgpr_private_segment_wavefront_offset 0
		.amdhsa_system_sgpr_workgroup_id_x 1
		.amdhsa_system_sgpr_workgroup_id_y 0
		.amdhsa_system_sgpr_workgroup_id_z 0
		.amdhsa_system_sgpr_workgroup_info 0
		.amdhsa_system_vgpr_workitem_id 0
		.amdhsa_next_free_vgpr 1
		.amdhsa_next_free_sgpr 1
		.amdhsa_reserve_vcc 0
		.amdhsa_reserve_flat_scratch 0
		.amdhsa_float_round_mode_32 0
		.amdhsa_float_round_mode_16_64 0
		.amdhsa_float_denorm_mode_32 3
		.amdhsa_float_denorm_mode_16_64 3
		.amdhsa_dx10_clamp 1
		.amdhsa_ieee_mode 1
		.amdhsa_fp16_overflow 0
		.amdhsa_workgroup_processor_mode 1
		.amdhsa_memory_ordered 1
		.amdhsa_forward_progress 1
		.amdhsa_shared_vgpr_count 0
		.amdhsa_exception_fp_ieee_invalid_op 0
		.amdhsa_exception_fp_denorm_src 0
		.amdhsa_exception_fp_ieee_div_zero 0
		.amdhsa_exception_fp_ieee_overflow 0
		.amdhsa_exception_fp_ieee_underflow 0
		.amdhsa_exception_fp_ieee_inexact 0
		.amdhsa_exception_int_div_zero 0
	.end_amdhsa_kernel
	.section	.text._ZN7rocprim17ROCPRIM_400000_NS6detail17trampoline_kernelINS0_13select_configILj256ELj13ELNS0_17block_load_methodE3ELS4_3ELS4_3ELNS0_20block_scan_algorithmE0ELj4294967295EEENS1_25partition_config_selectorILNS1_17partition_subalgoE3EjNS0_10empty_typeEbEEZZNS1_14partition_implILS8_3ELb0ES6_jNS0_17counting_iteratorIjlEEPS9_SE_NS0_5tupleIJPjSE_EEENSF_IJSE_SE_EEES9_SG_JZNS1_25segmented_radix_sort_implINS0_14default_configELb1EPKhPhPKlPlN2at6native12_GLOBAL__N_18offset_tEEE10hipError_tPvRmT1_PNSt15iterator_traitsISY_E10value_typeET2_T3_PNSZ_IS14_E10value_typeET4_jRbjT5_S1A_jjP12ihipStream_tbEUljE_EEESV_SW_SX_S14_S18_S1A_T6_T7_T9_mT8_S1C_bDpT10_ENKUlT_T0_E_clISt17integral_constantIbLb0EES1O_IbLb1EEEEDaS1K_S1L_EUlS1K_E_NS1_11comp_targetILNS1_3genE2ELNS1_11target_archE906ELNS1_3gpuE6ELNS1_3repE0EEENS1_30default_config_static_selectorELNS0_4arch9wavefront6targetE0EEEvSY_,"axG",@progbits,_ZN7rocprim17ROCPRIM_400000_NS6detail17trampoline_kernelINS0_13select_configILj256ELj13ELNS0_17block_load_methodE3ELS4_3ELS4_3ELNS0_20block_scan_algorithmE0ELj4294967295EEENS1_25partition_config_selectorILNS1_17partition_subalgoE3EjNS0_10empty_typeEbEEZZNS1_14partition_implILS8_3ELb0ES6_jNS0_17counting_iteratorIjlEEPS9_SE_NS0_5tupleIJPjSE_EEENSF_IJSE_SE_EEES9_SG_JZNS1_25segmented_radix_sort_implINS0_14default_configELb1EPKhPhPKlPlN2at6native12_GLOBAL__N_18offset_tEEE10hipError_tPvRmT1_PNSt15iterator_traitsISY_E10value_typeET2_T3_PNSZ_IS14_E10value_typeET4_jRbjT5_S1A_jjP12ihipStream_tbEUljE_EEESV_SW_SX_S14_S18_S1A_T6_T7_T9_mT8_S1C_bDpT10_ENKUlT_T0_E_clISt17integral_constantIbLb0EES1O_IbLb1EEEEDaS1K_S1L_EUlS1K_E_NS1_11comp_targetILNS1_3genE2ELNS1_11target_archE906ELNS1_3gpuE6ELNS1_3repE0EEENS1_30default_config_static_selectorELNS0_4arch9wavefront6targetE0EEEvSY_,comdat
.Lfunc_end79:
	.size	_ZN7rocprim17ROCPRIM_400000_NS6detail17trampoline_kernelINS0_13select_configILj256ELj13ELNS0_17block_load_methodE3ELS4_3ELS4_3ELNS0_20block_scan_algorithmE0ELj4294967295EEENS1_25partition_config_selectorILNS1_17partition_subalgoE3EjNS0_10empty_typeEbEEZZNS1_14partition_implILS8_3ELb0ES6_jNS0_17counting_iteratorIjlEEPS9_SE_NS0_5tupleIJPjSE_EEENSF_IJSE_SE_EEES9_SG_JZNS1_25segmented_radix_sort_implINS0_14default_configELb1EPKhPhPKlPlN2at6native12_GLOBAL__N_18offset_tEEE10hipError_tPvRmT1_PNSt15iterator_traitsISY_E10value_typeET2_T3_PNSZ_IS14_E10value_typeET4_jRbjT5_S1A_jjP12ihipStream_tbEUljE_EEESV_SW_SX_S14_S18_S1A_T6_T7_T9_mT8_S1C_bDpT10_ENKUlT_T0_E_clISt17integral_constantIbLb0EES1O_IbLb1EEEEDaS1K_S1L_EUlS1K_E_NS1_11comp_targetILNS1_3genE2ELNS1_11target_archE906ELNS1_3gpuE6ELNS1_3repE0EEENS1_30default_config_static_selectorELNS0_4arch9wavefront6targetE0EEEvSY_, .Lfunc_end79-_ZN7rocprim17ROCPRIM_400000_NS6detail17trampoline_kernelINS0_13select_configILj256ELj13ELNS0_17block_load_methodE3ELS4_3ELS4_3ELNS0_20block_scan_algorithmE0ELj4294967295EEENS1_25partition_config_selectorILNS1_17partition_subalgoE3EjNS0_10empty_typeEbEEZZNS1_14partition_implILS8_3ELb0ES6_jNS0_17counting_iteratorIjlEEPS9_SE_NS0_5tupleIJPjSE_EEENSF_IJSE_SE_EEES9_SG_JZNS1_25segmented_radix_sort_implINS0_14default_configELb1EPKhPhPKlPlN2at6native12_GLOBAL__N_18offset_tEEE10hipError_tPvRmT1_PNSt15iterator_traitsISY_E10value_typeET2_T3_PNSZ_IS14_E10value_typeET4_jRbjT5_S1A_jjP12ihipStream_tbEUljE_EEESV_SW_SX_S14_S18_S1A_T6_T7_T9_mT8_S1C_bDpT10_ENKUlT_T0_E_clISt17integral_constantIbLb0EES1O_IbLb1EEEEDaS1K_S1L_EUlS1K_E_NS1_11comp_targetILNS1_3genE2ELNS1_11target_archE906ELNS1_3gpuE6ELNS1_3repE0EEENS1_30default_config_static_selectorELNS0_4arch9wavefront6targetE0EEEvSY_
                                        ; -- End function
	.set _ZN7rocprim17ROCPRIM_400000_NS6detail17trampoline_kernelINS0_13select_configILj256ELj13ELNS0_17block_load_methodE3ELS4_3ELS4_3ELNS0_20block_scan_algorithmE0ELj4294967295EEENS1_25partition_config_selectorILNS1_17partition_subalgoE3EjNS0_10empty_typeEbEEZZNS1_14partition_implILS8_3ELb0ES6_jNS0_17counting_iteratorIjlEEPS9_SE_NS0_5tupleIJPjSE_EEENSF_IJSE_SE_EEES9_SG_JZNS1_25segmented_radix_sort_implINS0_14default_configELb1EPKhPhPKlPlN2at6native12_GLOBAL__N_18offset_tEEE10hipError_tPvRmT1_PNSt15iterator_traitsISY_E10value_typeET2_T3_PNSZ_IS14_E10value_typeET4_jRbjT5_S1A_jjP12ihipStream_tbEUljE_EEESV_SW_SX_S14_S18_S1A_T6_T7_T9_mT8_S1C_bDpT10_ENKUlT_T0_E_clISt17integral_constantIbLb0EES1O_IbLb1EEEEDaS1K_S1L_EUlS1K_E_NS1_11comp_targetILNS1_3genE2ELNS1_11target_archE906ELNS1_3gpuE6ELNS1_3repE0EEENS1_30default_config_static_selectorELNS0_4arch9wavefront6targetE0EEEvSY_.num_vgpr, 0
	.set _ZN7rocprim17ROCPRIM_400000_NS6detail17trampoline_kernelINS0_13select_configILj256ELj13ELNS0_17block_load_methodE3ELS4_3ELS4_3ELNS0_20block_scan_algorithmE0ELj4294967295EEENS1_25partition_config_selectorILNS1_17partition_subalgoE3EjNS0_10empty_typeEbEEZZNS1_14partition_implILS8_3ELb0ES6_jNS0_17counting_iteratorIjlEEPS9_SE_NS0_5tupleIJPjSE_EEENSF_IJSE_SE_EEES9_SG_JZNS1_25segmented_radix_sort_implINS0_14default_configELb1EPKhPhPKlPlN2at6native12_GLOBAL__N_18offset_tEEE10hipError_tPvRmT1_PNSt15iterator_traitsISY_E10value_typeET2_T3_PNSZ_IS14_E10value_typeET4_jRbjT5_S1A_jjP12ihipStream_tbEUljE_EEESV_SW_SX_S14_S18_S1A_T6_T7_T9_mT8_S1C_bDpT10_ENKUlT_T0_E_clISt17integral_constantIbLb0EES1O_IbLb1EEEEDaS1K_S1L_EUlS1K_E_NS1_11comp_targetILNS1_3genE2ELNS1_11target_archE906ELNS1_3gpuE6ELNS1_3repE0EEENS1_30default_config_static_selectorELNS0_4arch9wavefront6targetE0EEEvSY_.num_agpr, 0
	.set _ZN7rocprim17ROCPRIM_400000_NS6detail17trampoline_kernelINS0_13select_configILj256ELj13ELNS0_17block_load_methodE3ELS4_3ELS4_3ELNS0_20block_scan_algorithmE0ELj4294967295EEENS1_25partition_config_selectorILNS1_17partition_subalgoE3EjNS0_10empty_typeEbEEZZNS1_14partition_implILS8_3ELb0ES6_jNS0_17counting_iteratorIjlEEPS9_SE_NS0_5tupleIJPjSE_EEENSF_IJSE_SE_EEES9_SG_JZNS1_25segmented_radix_sort_implINS0_14default_configELb1EPKhPhPKlPlN2at6native12_GLOBAL__N_18offset_tEEE10hipError_tPvRmT1_PNSt15iterator_traitsISY_E10value_typeET2_T3_PNSZ_IS14_E10value_typeET4_jRbjT5_S1A_jjP12ihipStream_tbEUljE_EEESV_SW_SX_S14_S18_S1A_T6_T7_T9_mT8_S1C_bDpT10_ENKUlT_T0_E_clISt17integral_constantIbLb0EES1O_IbLb1EEEEDaS1K_S1L_EUlS1K_E_NS1_11comp_targetILNS1_3genE2ELNS1_11target_archE906ELNS1_3gpuE6ELNS1_3repE0EEENS1_30default_config_static_selectorELNS0_4arch9wavefront6targetE0EEEvSY_.numbered_sgpr, 0
	.set _ZN7rocprim17ROCPRIM_400000_NS6detail17trampoline_kernelINS0_13select_configILj256ELj13ELNS0_17block_load_methodE3ELS4_3ELS4_3ELNS0_20block_scan_algorithmE0ELj4294967295EEENS1_25partition_config_selectorILNS1_17partition_subalgoE3EjNS0_10empty_typeEbEEZZNS1_14partition_implILS8_3ELb0ES6_jNS0_17counting_iteratorIjlEEPS9_SE_NS0_5tupleIJPjSE_EEENSF_IJSE_SE_EEES9_SG_JZNS1_25segmented_radix_sort_implINS0_14default_configELb1EPKhPhPKlPlN2at6native12_GLOBAL__N_18offset_tEEE10hipError_tPvRmT1_PNSt15iterator_traitsISY_E10value_typeET2_T3_PNSZ_IS14_E10value_typeET4_jRbjT5_S1A_jjP12ihipStream_tbEUljE_EEESV_SW_SX_S14_S18_S1A_T6_T7_T9_mT8_S1C_bDpT10_ENKUlT_T0_E_clISt17integral_constantIbLb0EES1O_IbLb1EEEEDaS1K_S1L_EUlS1K_E_NS1_11comp_targetILNS1_3genE2ELNS1_11target_archE906ELNS1_3gpuE6ELNS1_3repE0EEENS1_30default_config_static_selectorELNS0_4arch9wavefront6targetE0EEEvSY_.num_named_barrier, 0
	.set _ZN7rocprim17ROCPRIM_400000_NS6detail17trampoline_kernelINS0_13select_configILj256ELj13ELNS0_17block_load_methodE3ELS4_3ELS4_3ELNS0_20block_scan_algorithmE0ELj4294967295EEENS1_25partition_config_selectorILNS1_17partition_subalgoE3EjNS0_10empty_typeEbEEZZNS1_14partition_implILS8_3ELb0ES6_jNS0_17counting_iteratorIjlEEPS9_SE_NS0_5tupleIJPjSE_EEENSF_IJSE_SE_EEES9_SG_JZNS1_25segmented_radix_sort_implINS0_14default_configELb1EPKhPhPKlPlN2at6native12_GLOBAL__N_18offset_tEEE10hipError_tPvRmT1_PNSt15iterator_traitsISY_E10value_typeET2_T3_PNSZ_IS14_E10value_typeET4_jRbjT5_S1A_jjP12ihipStream_tbEUljE_EEESV_SW_SX_S14_S18_S1A_T6_T7_T9_mT8_S1C_bDpT10_ENKUlT_T0_E_clISt17integral_constantIbLb0EES1O_IbLb1EEEEDaS1K_S1L_EUlS1K_E_NS1_11comp_targetILNS1_3genE2ELNS1_11target_archE906ELNS1_3gpuE6ELNS1_3repE0EEENS1_30default_config_static_selectorELNS0_4arch9wavefront6targetE0EEEvSY_.private_seg_size, 0
	.set _ZN7rocprim17ROCPRIM_400000_NS6detail17trampoline_kernelINS0_13select_configILj256ELj13ELNS0_17block_load_methodE3ELS4_3ELS4_3ELNS0_20block_scan_algorithmE0ELj4294967295EEENS1_25partition_config_selectorILNS1_17partition_subalgoE3EjNS0_10empty_typeEbEEZZNS1_14partition_implILS8_3ELb0ES6_jNS0_17counting_iteratorIjlEEPS9_SE_NS0_5tupleIJPjSE_EEENSF_IJSE_SE_EEES9_SG_JZNS1_25segmented_radix_sort_implINS0_14default_configELb1EPKhPhPKlPlN2at6native12_GLOBAL__N_18offset_tEEE10hipError_tPvRmT1_PNSt15iterator_traitsISY_E10value_typeET2_T3_PNSZ_IS14_E10value_typeET4_jRbjT5_S1A_jjP12ihipStream_tbEUljE_EEESV_SW_SX_S14_S18_S1A_T6_T7_T9_mT8_S1C_bDpT10_ENKUlT_T0_E_clISt17integral_constantIbLb0EES1O_IbLb1EEEEDaS1K_S1L_EUlS1K_E_NS1_11comp_targetILNS1_3genE2ELNS1_11target_archE906ELNS1_3gpuE6ELNS1_3repE0EEENS1_30default_config_static_selectorELNS0_4arch9wavefront6targetE0EEEvSY_.uses_vcc, 0
	.set _ZN7rocprim17ROCPRIM_400000_NS6detail17trampoline_kernelINS0_13select_configILj256ELj13ELNS0_17block_load_methodE3ELS4_3ELS4_3ELNS0_20block_scan_algorithmE0ELj4294967295EEENS1_25partition_config_selectorILNS1_17partition_subalgoE3EjNS0_10empty_typeEbEEZZNS1_14partition_implILS8_3ELb0ES6_jNS0_17counting_iteratorIjlEEPS9_SE_NS0_5tupleIJPjSE_EEENSF_IJSE_SE_EEES9_SG_JZNS1_25segmented_radix_sort_implINS0_14default_configELb1EPKhPhPKlPlN2at6native12_GLOBAL__N_18offset_tEEE10hipError_tPvRmT1_PNSt15iterator_traitsISY_E10value_typeET2_T3_PNSZ_IS14_E10value_typeET4_jRbjT5_S1A_jjP12ihipStream_tbEUljE_EEESV_SW_SX_S14_S18_S1A_T6_T7_T9_mT8_S1C_bDpT10_ENKUlT_T0_E_clISt17integral_constantIbLb0EES1O_IbLb1EEEEDaS1K_S1L_EUlS1K_E_NS1_11comp_targetILNS1_3genE2ELNS1_11target_archE906ELNS1_3gpuE6ELNS1_3repE0EEENS1_30default_config_static_selectorELNS0_4arch9wavefront6targetE0EEEvSY_.uses_flat_scratch, 0
	.set _ZN7rocprim17ROCPRIM_400000_NS6detail17trampoline_kernelINS0_13select_configILj256ELj13ELNS0_17block_load_methodE3ELS4_3ELS4_3ELNS0_20block_scan_algorithmE0ELj4294967295EEENS1_25partition_config_selectorILNS1_17partition_subalgoE3EjNS0_10empty_typeEbEEZZNS1_14partition_implILS8_3ELb0ES6_jNS0_17counting_iteratorIjlEEPS9_SE_NS0_5tupleIJPjSE_EEENSF_IJSE_SE_EEES9_SG_JZNS1_25segmented_radix_sort_implINS0_14default_configELb1EPKhPhPKlPlN2at6native12_GLOBAL__N_18offset_tEEE10hipError_tPvRmT1_PNSt15iterator_traitsISY_E10value_typeET2_T3_PNSZ_IS14_E10value_typeET4_jRbjT5_S1A_jjP12ihipStream_tbEUljE_EEESV_SW_SX_S14_S18_S1A_T6_T7_T9_mT8_S1C_bDpT10_ENKUlT_T0_E_clISt17integral_constantIbLb0EES1O_IbLb1EEEEDaS1K_S1L_EUlS1K_E_NS1_11comp_targetILNS1_3genE2ELNS1_11target_archE906ELNS1_3gpuE6ELNS1_3repE0EEENS1_30default_config_static_selectorELNS0_4arch9wavefront6targetE0EEEvSY_.has_dyn_sized_stack, 0
	.set _ZN7rocprim17ROCPRIM_400000_NS6detail17trampoline_kernelINS0_13select_configILj256ELj13ELNS0_17block_load_methodE3ELS4_3ELS4_3ELNS0_20block_scan_algorithmE0ELj4294967295EEENS1_25partition_config_selectorILNS1_17partition_subalgoE3EjNS0_10empty_typeEbEEZZNS1_14partition_implILS8_3ELb0ES6_jNS0_17counting_iteratorIjlEEPS9_SE_NS0_5tupleIJPjSE_EEENSF_IJSE_SE_EEES9_SG_JZNS1_25segmented_radix_sort_implINS0_14default_configELb1EPKhPhPKlPlN2at6native12_GLOBAL__N_18offset_tEEE10hipError_tPvRmT1_PNSt15iterator_traitsISY_E10value_typeET2_T3_PNSZ_IS14_E10value_typeET4_jRbjT5_S1A_jjP12ihipStream_tbEUljE_EEESV_SW_SX_S14_S18_S1A_T6_T7_T9_mT8_S1C_bDpT10_ENKUlT_T0_E_clISt17integral_constantIbLb0EES1O_IbLb1EEEEDaS1K_S1L_EUlS1K_E_NS1_11comp_targetILNS1_3genE2ELNS1_11target_archE906ELNS1_3gpuE6ELNS1_3repE0EEENS1_30default_config_static_selectorELNS0_4arch9wavefront6targetE0EEEvSY_.has_recursion, 0
	.set _ZN7rocprim17ROCPRIM_400000_NS6detail17trampoline_kernelINS0_13select_configILj256ELj13ELNS0_17block_load_methodE3ELS4_3ELS4_3ELNS0_20block_scan_algorithmE0ELj4294967295EEENS1_25partition_config_selectorILNS1_17partition_subalgoE3EjNS0_10empty_typeEbEEZZNS1_14partition_implILS8_3ELb0ES6_jNS0_17counting_iteratorIjlEEPS9_SE_NS0_5tupleIJPjSE_EEENSF_IJSE_SE_EEES9_SG_JZNS1_25segmented_radix_sort_implINS0_14default_configELb1EPKhPhPKlPlN2at6native12_GLOBAL__N_18offset_tEEE10hipError_tPvRmT1_PNSt15iterator_traitsISY_E10value_typeET2_T3_PNSZ_IS14_E10value_typeET4_jRbjT5_S1A_jjP12ihipStream_tbEUljE_EEESV_SW_SX_S14_S18_S1A_T6_T7_T9_mT8_S1C_bDpT10_ENKUlT_T0_E_clISt17integral_constantIbLb0EES1O_IbLb1EEEEDaS1K_S1L_EUlS1K_E_NS1_11comp_targetILNS1_3genE2ELNS1_11target_archE906ELNS1_3gpuE6ELNS1_3repE0EEENS1_30default_config_static_selectorELNS0_4arch9wavefront6targetE0EEEvSY_.has_indirect_call, 0
	.section	.AMDGPU.csdata,"",@progbits
; Kernel info:
; codeLenInByte = 0
; TotalNumSgprs: 0
; NumVgprs: 0
; ScratchSize: 0
; MemoryBound: 0
; FloatMode: 240
; IeeeMode: 1
; LDSByteSize: 0 bytes/workgroup (compile time only)
; SGPRBlocks: 0
; VGPRBlocks: 0
; NumSGPRsForWavesPerEU: 1
; NumVGPRsForWavesPerEU: 1
; Occupancy: 16
; WaveLimiterHint : 0
; COMPUTE_PGM_RSRC2:SCRATCH_EN: 0
; COMPUTE_PGM_RSRC2:USER_SGPR: 6
; COMPUTE_PGM_RSRC2:TRAP_HANDLER: 0
; COMPUTE_PGM_RSRC2:TGID_X_EN: 1
; COMPUTE_PGM_RSRC2:TGID_Y_EN: 0
; COMPUTE_PGM_RSRC2:TGID_Z_EN: 0
; COMPUTE_PGM_RSRC2:TIDIG_COMP_CNT: 0
	.section	.text._ZN7rocprim17ROCPRIM_400000_NS6detail17trampoline_kernelINS0_13select_configILj256ELj13ELNS0_17block_load_methodE3ELS4_3ELS4_3ELNS0_20block_scan_algorithmE0ELj4294967295EEENS1_25partition_config_selectorILNS1_17partition_subalgoE3EjNS0_10empty_typeEbEEZZNS1_14partition_implILS8_3ELb0ES6_jNS0_17counting_iteratorIjlEEPS9_SE_NS0_5tupleIJPjSE_EEENSF_IJSE_SE_EEES9_SG_JZNS1_25segmented_radix_sort_implINS0_14default_configELb1EPKhPhPKlPlN2at6native12_GLOBAL__N_18offset_tEEE10hipError_tPvRmT1_PNSt15iterator_traitsISY_E10value_typeET2_T3_PNSZ_IS14_E10value_typeET4_jRbjT5_S1A_jjP12ihipStream_tbEUljE_EEESV_SW_SX_S14_S18_S1A_T6_T7_T9_mT8_S1C_bDpT10_ENKUlT_T0_E_clISt17integral_constantIbLb0EES1O_IbLb1EEEEDaS1K_S1L_EUlS1K_E_NS1_11comp_targetILNS1_3genE10ELNS1_11target_archE1200ELNS1_3gpuE4ELNS1_3repE0EEENS1_30default_config_static_selectorELNS0_4arch9wavefront6targetE0EEEvSY_,"axG",@progbits,_ZN7rocprim17ROCPRIM_400000_NS6detail17trampoline_kernelINS0_13select_configILj256ELj13ELNS0_17block_load_methodE3ELS4_3ELS4_3ELNS0_20block_scan_algorithmE0ELj4294967295EEENS1_25partition_config_selectorILNS1_17partition_subalgoE3EjNS0_10empty_typeEbEEZZNS1_14partition_implILS8_3ELb0ES6_jNS0_17counting_iteratorIjlEEPS9_SE_NS0_5tupleIJPjSE_EEENSF_IJSE_SE_EEES9_SG_JZNS1_25segmented_radix_sort_implINS0_14default_configELb1EPKhPhPKlPlN2at6native12_GLOBAL__N_18offset_tEEE10hipError_tPvRmT1_PNSt15iterator_traitsISY_E10value_typeET2_T3_PNSZ_IS14_E10value_typeET4_jRbjT5_S1A_jjP12ihipStream_tbEUljE_EEESV_SW_SX_S14_S18_S1A_T6_T7_T9_mT8_S1C_bDpT10_ENKUlT_T0_E_clISt17integral_constantIbLb0EES1O_IbLb1EEEEDaS1K_S1L_EUlS1K_E_NS1_11comp_targetILNS1_3genE10ELNS1_11target_archE1200ELNS1_3gpuE4ELNS1_3repE0EEENS1_30default_config_static_selectorELNS0_4arch9wavefront6targetE0EEEvSY_,comdat
	.globl	_ZN7rocprim17ROCPRIM_400000_NS6detail17trampoline_kernelINS0_13select_configILj256ELj13ELNS0_17block_load_methodE3ELS4_3ELS4_3ELNS0_20block_scan_algorithmE0ELj4294967295EEENS1_25partition_config_selectorILNS1_17partition_subalgoE3EjNS0_10empty_typeEbEEZZNS1_14partition_implILS8_3ELb0ES6_jNS0_17counting_iteratorIjlEEPS9_SE_NS0_5tupleIJPjSE_EEENSF_IJSE_SE_EEES9_SG_JZNS1_25segmented_radix_sort_implINS0_14default_configELb1EPKhPhPKlPlN2at6native12_GLOBAL__N_18offset_tEEE10hipError_tPvRmT1_PNSt15iterator_traitsISY_E10value_typeET2_T3_PNSZ_IS14_E10value_typeET4_jRbjT5_S1A_jjP12ihipStream_tbEUljE_EEESV_SW_SX_S14_S18_S1A_T6_T7_T9_mT8_S1C_bDpT10_ENKUlT_T0_E_clISt17integral_constantIbLb0EES1O_IbLb1EEEEDaS1K_S1L_EUlS1K_E_NS1_11comp_targetILNS1_3genE10ELNS1_11target_archE1200ELNS1_3gpuE4ELNS1_3repE0EEENS1_30default_config_static_selectorELNS0_4arch9wavefront6targetE0EEEvSY_ ; -- Begin function _ZN7rocprim17ROCPRIM_400000_NS6detail17trampoline_kernelINS0_13select_configILj256ELj13ELNS0_17block_load_methodE3ELS4_3ELS4_3ELNS0_20block_scan_algorithmE0ELj4294967295EEENS1_25partition_config_selectorILNS1_17partition_subalgoE3EjNS0_10empty_typeEbEEZZNS1_14partition_implILS8_3ELb0ES6_jNS0_17counting_iteratorIjlEEPS9_SE_NS0_5tupleIJPjSE_EEENSF_IJSE_SE_EEES9_SG_JZNS1_25segmented_radix_sort_implINS0_14default_configELb1EPKhPhPKlPlN2at6native12_GLOBAL__N_18offset_tEEE10hipError_tPvRmT1_PNSt15iterator_traitsISY_E10value_typeET2_T3_PNSZ_IS14_E10value_typeET4_jRbjT5_S1A_jjP12ihipStream_tbEUljE_EEESV_SW_SX_S14_S18_S1A_T6_T7_T9_mT8_S1C_bDpT10_ENKUlT_T0_E_clISt17integral_constantIbLb0EES1O_IbLb1EEEEDaS1K_S1L_EUlS1K_E_NS1_11comp_targetILNS1_3genE10ELNS1_11target_archE1200ELNS1_3gpuE4ELNS1_3repE0EEENS1_30default_config_static_selectorELNS0_4arch9wavefront6targetE0EEEvSY_
	.p2align	8
	.type	_ZN7rocprim17ROCPRIM_400000_NS6detail17trampoline_kernelINS0_13select_configILj256ELj13ELNS0_17block_load_methodE3ELS4_3ELS4_3ELNS0_20block_scan_algorithmE0ELj4294967295EEENS1_25partition_config_selectorILNS1_17partition_subalgoE3EjNS0_10empty_typeEbEEZZNS1_14partition_implILS8_3ELb0ES6_jNS0_17counting_iteratorIjlEEPS9_SE_NS0_5tupleIJPjSE_EEENSF_IJSE_SE_EEES9_SG_JZNS1_25segmented_radix_sort_implINS0_14default_configELb1EPKhPhPKlPlN2at6native12_GLOBAL__N_18offset_tEEE10hipError_tPvRmT1_PNSt15iterator_traitsISY_E10value_typeET2_T3_PNSZ_IS14_E10value_typeET4_jRbjT5_S1A_jjP12ihipStream_tbEUljE_EEESV_SW_SX_S14_S18_S1A_T6_T7_T9_mT8_S1C_bDpT10_ENKUlT_T0_E_clISt17integral_constantIbLb0EES1O_IbLb1EEEEDaS1K_S1L_EUlS1K_E_NS1_11comp_targetILNS1_3genE10ELNS1_11target_archE1200ELNS1_3gpuE4ELNS1_3repE0EEENS1_30default_config_static_selectorELNS0_4arch9wavefront6targetE0EEEvSY_,@function
_ZN7rocprim17ROCPRIM_400000_NS6detail17trampoline_kernelINS0_13select_configILj256ELj13ELNS0_17block_load_methodE3ELS4_3ELS4_3ELNS0_20block_scan_algorithmE0ELj4294967295EEENS1_25partition_config_selectorILNS1_17partition_subalgoE3EjNS0_10empty_typeEbEEZZNS1_14partition_implILS8_3ELb0ES6_jNS0_17counting_iteratorIjlEEPS9_SE_NS0_5tupleIJPjSE_EEENSF_IJSE_SE_EEES9_SG_JZNS1_25segmented_radix_sort_implINS0_14default_configELb1EPKhPhPKlPlN2at6native12_GLOBAL__N_18offset_tEEE10hipError_tPvRmT1_PNSt15iterator_traitsISY_E10value_typeET2_T3_PNSZ_IS14_E10value_typeET4_jRbjT5_S1A_jjP12ihipStream_tbEUljE_EEESV_SW_SX_S14_S18_S1A_T6_T7_T9_mT8_S1C_bDpT10_ENKUlT_T0_E_clISt17integral_constantIbLb0EES1O_IbLb1EEEEDaS1K_S1L_EUlS1K_E_NS1_11comp_targetILNS1_3genE10ELNS1_11target_archE1200ELNS1_3gpuE4ELNS1_3repE0EEENS1_30default_config_static_selectorELNS0_4arch9wavefront6targetE0EEEvSY_: ; @_ZN7rocprim17ROCPRIM_400000_NS6detail17trampoline_kernelINS0_13select_configILj256ELj13ELNS0_17block_load_methodE3ELS4_3ELS4_3ELNS0_20block_scan_algorithmE0ELj4294967295EEENS1_25partition_config_selectorILNS1_17partition_subalgoE3EjNS0_10empty_typeEbEEZZNS1_14partition_implILS8_3ELb0ES6_jNS0_17counting_iteratorIjlEEPS9_SE_NS0_5tupleIJPjSE_EEENSF_IJSE_SE_EEES9_SG_JZNS1_25segmented_radix_sort_implINS0_14default_configELb1EPKhPhPKlPlN2at6native12_GLOBAL__N_18offset_tEEE10hipError_tPvRmT1_PNSt15iterator_traitsISY_E10value_typeET2_T3_PNSZ_IS14_E10value_typeET4_jRbjT5_S1A_jjP12ihipStream_tbEUljE_EEESV_SW_SX_S14_S18_S1A_T6_T7_T9_mT8_S1C_bDpT10_ENKUlT_T0_E_clISt17integral_constantIbLb0EES1O_IbLb1EEEEDaS1K_S1L_EUlS1K_E_NS1_11comp_targetILNS1_3genE10ELNS1_11target_archE1200ELNS1_3gpuE4ELNS1_3repE0EEENS1_30default_config_static_selectorELNS0_4arch9wavefront6targetE0EEEvSY_
; %bb.0:
	.section	.rodata,"a",@progbits
	.p2align	6, 0x0
	.amdhsa_kernel _ZN7rocprim17ROCPRIM_400000_NS6detail17trampoline_kernelINS0_13select_configILj256ELj13ELNS0_17block_load_methodE3ELS4_3ELS4_3ELNS0_20block_scan_algorithmE0ELj4294967295EEENS1_25partition_config_selectorILNS1_17partition_subalgoE3EjNS0_10empty_typeEbEEZZNS1_14partition_implILS8_3ELb0ES6_jNS0_17counting_iteratorIjlEEPS9_SE_NS0_5tupleIJPjSE_EEENSF_IJSE_SE_EEES9_SG_JZNS1_25segmented_radix_sort_implINS0_14default_configELb1EPKhPhPKlPlN2at6native12_GLOBAL__N_18offset_tEEE10hipError_tPvRmT1_PNSt15iterator_traitsISY_E10value_typeET2_T3_PNSZ_IS14_E10value_typeET4_jRbjT5_S1A_jjP12ihipStream_tbEUljE_EEESV_SW_SX_S14_S18_S1A_T6_T7_T9_mT8_S1C_bDpT10_ENKUlT_T0_E_clISt17integral_constantIbLb0EES1O_IbLb1EEEEDaS1K_S1L_EUlS1K_E_NS1_11comp_targetILNS1_3genE10ELNS1_11target_archE1200ELNS1_3gpuE4ELNS1_3repE0EEENS1_30default_config_static_selectorELNS0_4arch9wavefront6targetE0EEEvSY_
		.amdhsa_group_segment_fixed_size 0
		.amdhsa_private_segment_fixed_size 0
		.amdhsa_kernarg_size 152
		.amdhsa_user_sgpr_count 6
		.amdhsa_user_sgpr_private_segment_buffer 1
		.amdhsa_user_sgpr_dispatch_ptr 0
		.amdhsa_user_sgpr_queue_ptr 0
		.amdhsa_user_sgpr_kernarg_segment_ptr 1
		.amdhsa_user_sgpr_dispatch_id 0
		.amdhsa_user_sgpr_flat_scratch_init 0
		.amdhsa_user_sgpr_private_segment_size 0
		.amdhsa_wavefront_size32 1
		.amdhsa_uses_dynamic_stack 0
		.amdhsa_system_sgpr_private_segment_wavefront_offset 0
		.amdhsa_system_sgpr_workgroup_id_x 1
		.amdhsa_system_sgpr_workgroup_id_y 0
		.amdhsa_system_sgpr_workgroup_id_z 0
		.amdhsa_system_sgpr_workgroup_info 0
		.amdhsa_system_vgpr_workitem_id 0
		.amdhsa_next_free_vgpr 1
		.amdhsa_next_free_sgpr 1
		.amdhsa_reserve_vcc 0
		.amdhsa_reserve_flat_scratch 0
		.amdhsa_float_round_mode_32 0
		.amdhsa_float_round_mode_16_64 0
		.amdhsa_float_denorm_mode_32 3
		.amdhsa_float_denorm_mode_16_64 3
		.amdhsa_dx10_clamp 1
		.amdhsa_ieee_mode 1
		.amdhsa_fp16_overflow 0
		.amdhsa_workgroup_processor_mode 1
		.amdhsa_memory_ordered 1
		.amdhsa_forward_progress 1
		.amdhsa_shared_vgpr_count 0
		.amdhsa_exception_fp_ieee_invalid_op 0
		.amdhsa_exception_fp_denorm_src 0
		.amdhsa_exception_fp_ieee_div_zero 0
		.amdhsa_exception_fp_ieee_overflow 0
		.amdhsa_exception_fp_ieee_underflow 0
		.amdhsa_exception_fp_ieee_inexact 0
		.amdhsa_exception_int_div_zero 0
	.end_amdhsa_kernel
	.section	.text._ZN7rocprim17ROCPRIM_400000_NS6detail17trampoline_kernelINS0_13select_configILj256ELj13ELNS0_17block_load_methodE3ELS4_3ELS4_3ELNS0_20block_scan_algorithmE0ELj4294967295EEENS1_25partition_config_selectorILNS1_17partition_subalgoE3EjNS0_10empty_typeEbEEZZNS1_14partition_implILS8_3ELb0ES6_jNS0_17counting_iteratorIjlEEPS9_SE_NS0_5tupleIJPjSE_EEENSF_IJSE_SE_EEES9_SG_JZNS1_25segmented_radix_sort_implINS0_14default_configELb1EPKhPhPKlPlN2at6native12_GLOBAL__N_18offset_tEEE10hipError_tPvRmT1_PNSt15iterator_traitsISY_E10value_typeET2_T3_PNSZ_IS14_E10value_typeET4_jRbjT5_S1A_jjP12ihipStream_tbEUljE_EEESV_SW_SX_S14_S18_S1A_T6_T7_T9_mT8_S1C_bDpT10_ENKUlT_T0_E_clISt17integral_constantIbLb0EES1O_IbLb1EEEEDaS1K_S1L_EUlS1K_E_NS1_11comp_targetILNS1_3genE10ELNS1_11target_archE1200ELNS1_3gpuE4ELNS1_3repE0EEENS1_30default_config_static_selectorELNS0_4arch9wavefront6targetE0EEEvSY_,"axG",@progbits,_ZN7rocprim17ROCPRIM_400000_NS6detail17trampoline_kernelINS0_13select_configILj256ELj13ELNS0_17block_load_methodE3ELS4_3ELS4_3ELNS0_20block_scan_algorithmE0ELj4294967295EEENS1_25partition_config_selectorILNS1_17partition_subalgoE3EjNS0_10empty_typeEbEEZZNS1_14partition_implILS8_3ELb0ES6_jNS0_17counting_iteratorIjlEEPS9_SE_NS0_5tupleIJPjSE_EEENSF_IJSE_SE_EEES9_SG_JZNS1_25segmented_radix_sort_implINS0_14default_configELb1EPKhPhPKlPlN2at6native12_GLOBAL__N_18offset_tEEE10hipError_tPvRmT1_PNSt15iterator_traitsISY_E10value_typeET2_T3_PNSZ_IS14_E10value_typeET4_jRbjT5_S1A_jjP12ihipStream_tbEUljE_EEESV_SW_SX_S14_S18_S1A_T6_T7_T9_mT8_S1C_bDpT10_ENKUlT_T0_E_clISt17integral_constantIbLb0EES1O_IbLb1EEEEDaS1K_S1L_EUlS1K_E_NS1_11comp_targetILNS1_3genE10ELNS1_11target_archE1200ELNS1_3gpuE4ELNS1_3repE0EEENS1_30default_config_static_selectorELNS0_4arch9wavefront6targetE0EEEvSY_,comdat
.Lfunc_end80:
	.size	_ZN7rocprim17ROCPRIM_400000_NS6detail17trampoline_kernelINS0_13select_configILj256ELj13ELNS0_17block_load_methodE3ELS4_3ELS4_3ELNS0_20block_scan_algorithmE0ELj4294967295EEENS1_25partition_config_selectorILNS1_17partition_subalgoE3EjNS0_10empty_typeEbEEZZNS1_14partition_implILS8_3ELb0ES6_jNS0_17counting_iteratorIjlEEPS9_SE_NS0_5tupleIJPjSE_EEENSF_IJSE_SE_EEES9_SG_JZNS1_25segmented_radix_sort_implINS0_14default_configELb1EPKhPhPKlPlN2at6native12_GLOBAL__N_18offset_tEEE10hipError_tPvRmT1_PNSt15iterator_traitsISY_E10value_typeET2_T3_PNSZ_IS14_E10value_typeET4_jRbjT5_S1A_jjP12ihipStream_tbEUljE_EEESV_SW_SX_S14_S18_S1A_T6_T7_T9_mT8_S1C_bDpT10_ENKUlT_T0_E_clISt17integral_constantIbLb0EES1O_IbLb1EEEEDaS1K_S1L_EUlS1K_E_NS1_11comp_targetILNS1_3genE10ELNS1_11target_archE1200ELNS1_3gpuE4ELNS1_3repE0EEENS1_30default_config_static_selectorELNS0_4arch9wavefront6targetE0EEEvSY_, .Lfunc_end80-_ZN7rocprim17ROCPRIM_400000_NS6detail17trampoline_kernelINS0_13select_configILj256ELj13ELNS0_17block_load_methodE3ELS4_3ELS4_3ELNS0_20block_scan_algorithmE0ELj4294967295EEENS1_25partition_config_selectorILNS1_17partition_subalgoE3EjNS0_10empty_typeEbEEZZNS1_14partition_implILS8_3ELb0ES6_jNS0_17counting_iteratorIjlEEPS9_SE_NS0_5tupleIJPjSE_EEENSF_IJSE_SE_EEES9_SG_JZNS1_25segmented_radix_sort_implINS0_14default_configELb1EPKhPhPKlPlN2at6native12_GLOBAL__N_18offset_tEEE10hipError_tPvRmT1_PNSt15iterator_traitsISY_E10value_typeET2_T3_PNSZ_IS14_E10value_typeET4_jRbjT5_S1A_jjP12ihipStream_tbEUljE_EEESV_SW_SX_S14_S18_S1A_T6_T7_T9_mT8_S1C_bDpT10_ENKUlT_T0_E_clISt17integral_constantIbLb0EES1O_IbLb1EEEEDaS1K_S1L_EUlS1K_E_NS1_11comp_targetILNS1_3genE10ELNS1_11target_archE1200ELNS1_3gpuE4ELNS1_3repE0EEENS1_30default_config_static_selectorELNS0_4arch9wavefront6targetE0EEEvSY_
                                        ; -- End function
	.set _ZN7rocprim17ROCPRIM_400000_NS6detail17trampoline_kernelINS0_13select_configILj256ELj13ELNS0_17block_load_methodE3ELS4_3ELS4_3ELNS0_20block_scan_algorithmE0ELj4294967295EEENS1_25partition_config_selectorILNS1_17partition_subalgoE3EjNS0_10empty_typeEbEEZZNS1_14partition_implILS8_3ELb0ES6_jNS0_17counting_iteratorIjlEEPS9_SE_NS0_5tupleIJPjSE_EEENSF_IJSE_SE_EEES9_SG_JZNS1_25segmented_radix_sort_implINS0_14default_configELb1EPKhPhPKlPlN2at6native12_GLOBAL__N_18offset_tEEE10hipError_tPvRmT1_PNSt15iterator_traitsISY_E10value_typeET2_T3_PNSZ_IS14_E10value_typeET4_jRbjT5_S1A_jjP12ihipStream_tbEUljE_EEESV_SW_SX_S14_S18_S1A_T6_T7_T9_mT8_S1C_bDpT10_ENKUlT_T0_E_clISt17integral_constantIbLb0EES1O_IbLb1EEEEDaS1K_S1L_EUlS1K_E_NS1_11comp_targetILNS1_3genE10ELNS1_11target_archE1200ELNS1_3gpuE4ELNS1_3repE0EEENS1_30default_config_static_selectorELNS0_4arch9wavefront6targetE0EEEvSY_.num_vgpr, 0
	.set _ZN7rocprim17ROCPRIM_400000_NS6detail17trampoline_kernelINS0_13select_configILj256ELj13ELNS0_17block_load_methodE3ELS4_3ELS4_3ELNS0_20block_scan_algorithmE0ELj4294967295EEENS1_25partition_config_selectorILNS1_17partition_subalgoE3EjNS0_10empty_typeEbEEZZNS1_14partition_implILS8_3ELb0ES6_jNS0_17counting_iteratorIjlEEPS9_SE_NS0_5tupleIJPjSE_EEENSF_IJSE_SE_EEES9_SG_JZNS1_25segmented_radix_sort_implINS0_14default_configELb1EPKhPhPKlPlN2at6native12_GLOBAL__N_18offset_tEEE10hipError_tPvRmT1_PNSt15iterator_traitsISY_E10value_typeET2_T3_PNSZ_IS14_E10value_typeET4_jRbjT5_S1A_jjP12ihipStream_tbEUljE_EEESV_SW_SX_S14_S18_S1A_T6_T7_T9_mT8_S1C_bDpT10_ENKUlT_T0_E_clISt17integral_constantIbLb0EES1O_IbLb1EEEEDaS1K_S1L_EUlS1K_E_NS1_11comp_targetILNS1_3genE10ELNS1_11target_archE1200ELNS1_3gpuE4ELNS1_3repE0EEENS1_30default_config_static_selectorELNS0_4arch9wavefront6targetE0EEEvSY_.num_agpr, 0
	.set _ZN7rocprim17ROCPRIM_400000_NS6detail17trampoline_kernelINS0_13select_configILj256ELj13ELNS0_17block_load_methodE3ELS4_3ELS4_3ELNS0_20block_scan_algorithmE0ELj4294967295EEENS1_25partition_config_selectorILNS1_17partition_subalgoE3EjNS0_10empty_typeEbEEZZNS1_14partition_implILS8_3ELb0ES6_jNS0_17counting_iteratorIjlEEPS9_SE_NS0_5tupleIJPjSE_EEENSF_IJSE_SE_EEES9_SG_JZNS1_25segmented_radix_sort_implINS0_14default_configELb1EPKhPhPKlPlN2at6native12_GLOBAL__N_18offset_tEEE10hipError_tPvRmT1_PNSt15iterator_traitsISY_E10value_typeET2_T3_PNSZ_IS14_E10value_typeET4_jRbjT5_S1A_jjP12ihipStream_tbEUljE_EEESV_SW_SX_S14_S18_S1A_T6_T7_T9_mT8_S1C_bDpT10_ENKUlT_T0_E_clISt17integral_constantIbLb0EES1O_IbLb1EEEEDaS1K_S1L_EUlS1K_E_NS1_11comp_targetILNS1_3genE10ELNS1_11target_archE1200ELNS1_3gpuE4ELNS1_3repE0EEENS1_30default_config_static_selectorELNS0_4arch9wavefront6targetE0EEEvSY_.numbered_sgpr, 0
	.set _ZN7rocprim17ROCPRIM_400000_NS6detail17trampoline_kernelINS0_13select_configILj256ELj13ELNS0_17block_load_methodE3ELS4_3ELS4_3ELNS0_20block_scan_algorithmE0ELj4294967295EEENS1_25partition_config_selectorILNS1_17partition_subalgoE3EjNS0_10empty_typeEbEEZZNS1_14partition_implILS8_3ELb0ES6_jNS0_17counting_iteratorIjlEEPS9_SE_NS0_5tupleIJPjSE_EEENSF_IJSE_SE_EEES9_SG_JZNS1_25segmented_radix_sort_implINS0_14default_configELb1EPKhPhPKlPlN2at6native12_GLOBAL__N_18offset_tEEE10hipError_tPvRmT1_PNSt15iterator_traitsISY_E10value_typeET2_T3_PNSZ_IS14_E10value_typeET4_jRbjT5_S1A_jjP12ihipStream_tbEUljE_EEESV_SW_SX_S14_S18_S1A_T6_T7_T9_mT8_S1C_bDpT10_ENKUlT_T0_E_clISt17integral_constantIbLb0EES1O_IbLb1EEEEDaS1K_S1L_EUlS1K_E_NS1_11comp_targetILNS1_3genE10ELNS1_11target_archE1200ELNS1_3gpuE4ELNS1_3repE0EEENS1_30default_config_static_selectorELNS0_4arch9wavefront6targetE0EEEvSY_.num_named_barrier, 0
	.set _ZN7rocprim17ROCPRIM_400000_NS6detail17trampoline_kernelINS0_13select_configILj256ELj13ELNS0_17block_load_methodE3ELS4_3ELS4_3ELNS0_20block_scan_algorithmE0ELj4294967295EEENS1_25partition_config_selectorILNS1_17partition_subalgoE3EjNS0_10empty_typeEbEEZZNS1_14partition_implILS8_3ELb0ES6_jNS0_17counting_iteratorIjlEEPS9_SE_NS0_5tupleIJPjSE_EEENSF_IJSE_SE_EEES9_SG_JZNS1_25segmented_radix_sort_implINS0_14default_configELb1EPKhPhPKlPlN2at6native12_GLOBAL__N_18offset_tEEE10hipError_tPvRmT1_PNSt15iterator_traitsISY_E10value_typeET2_T3_PNSZ_IS14_E10value_typeET4_jRbjT5_S1A_jjP12ihipStream_tbEUljE_EEESV_SW_SX_S14_S18_S1A_T6_T7_T9_mT8_S1C_bDpT10_ENKUlT_T0_E_clISt17integral_constantIbLb0EES1O_IbLb1EEEEDaS1K_S1L_EUlS1K_E_NS1_11comp_targetILNS1_3genE10ELNS1_11target_archE1200ELNS1_3gpuE4ELNS1_3repE0EEENS1_30default_config_static_selectorELNS0_4arch9wavefront6targetE0EEEvSY_.private_seg_size, 0
	.set _ZN7rocprim17ROCPRIM_400000_NS6detail17trampoline_kernelINS0_13select_configILj256ELj13ELNS0_17block_load_methodE3ELS4_3ELS4_3ELNS0_20block_scan_algorithmE0ELj4294967295EEENS1_25partition_config_selectorILNS1_17partition_subalgoE3EjNS0_10empty_typeEbEEZZNS1_14partition_implILS8_3ELb0ES6_jNS0_17counting_iteratorIjlEEPS9_SE_NS0_5tupleIJPjSE_EEENSF_IJSE_SE_EEES9_SG_JZNS1_25segmented_radix_sort_implINS0_14default_configELb1EPKhPhPKlPlN2at6native12_GLOBAL__N_18offset_tEEE10hipError_tPvRmT1_PNSt15iterator_traitsISY_E10value_typeET2_T3_PNSZ_IS14_E10value_typeET4_jRbjT5_S1A_jjP12ihipStream_tbEUljE_EEESV_SW_SX_S14_S18_S1A_T6_T7_T9_mT8_S1C_bDpT10_ENKUlT_T0_E_clISt17integral_constantIbLb0EES1O_IbLb1EEEEDaS1K_S1L_EUlS1K_E_NS1_11comp_targetILNS1_3genE10ELNS1_11target_archE1200ELNS1_3gpuE4ELNS1_3repE0EEENS1_30default_config_static_selectorELNS0_4arch9wavefront6targetE0EEEvSY_.uses_vcc, 0
	.set _ZN7rocprim17ROCPRIM_400000_NS6detail17trampoline_kernelINS0_13select_configILj256ELj13ELNS0_17block_load_methodE3ELS4_3ELS4_3ELNS0_20block_scan_algorithmE0ELj4294967295EEENS1_25partition_config_selectorILNS1_17partition_subalgoE3EjNS0_10empty_typeEbEEZZNS1_14partition_implILS8_3ELb0ES6_jNS0_17counting_iteratorIjlEEPS9_SE_NS0_5tupleIJPjSE_EEENSF_IJSE_SE_EEES9_SG_JZNS1_25segmented_radix_sort_implINS0_14default_configELb1EPKhPhPKlPlN2at6native12_GLOBAL__N_18offset_tEEE10hipError_tPvRmT1_PNSt15iterator_traitsISY_E10value_typeET2_T3_PNSZ_IS14_E10value_typeET4_jRbjT5_S1A_jjP12ihipStream_tbEUljE_EEESV_SW_SX_S14_S18_S1A_T6_T7_T9_mT8_S1C_bDpT10_ENKUlT_T0_E_clISt17integral_constantIbLb0EES1O_IbLb1EEEEDaS1K_S1L_EUlS1K_E_NS1_11comp_targetILNS1_3genE10ELNS1_11target_archE1200ELNS1_3gpuE4ELNS1_3repE0EEENS1_30default_config_static_selectorELNS0_4arch9wavefront6targetE0EEEvSY_.uses_flat_scratch, 0
	.set _ZN7rocprim17ROCPRIM_400000_NS6detail17trampoline_kernelINS0_13select_configILj256ELj13ELNS0_17block_load_methodE3ELS4_3ELS4_3ELNS0_20block_scan_algorithmE0ELj4294967295EEENS1_25partition_config_selectorILNS1_17partition_subalgoE3EjNS0_10empty_typeEbEEZZNS1_14partition_implILS8_3ELb0ES6_jNS0_17counting_iteratorIjlEEPS9_SE_NS0_5tupleIJPjSE_EEENSF_IJSE_SE_EEES9_SG_JZNS1_25segmented_radix_sort_implINS0_14default_configELb1EPKhPhPKlPlN2at6native12_GLOBAL__N_18offset_tEEE10hipError_tPvRmT1_PNSt15iterator_traitsISY_E10value_typeET2_T3_PNSZ_IS14_E10value_typeET4_jRbjT5_S1A_jjP12ihipStream_tbEUljE_EEESV_SW_SX_S14_S18_S1A_T6_T7_T9_mT8_S1C_bDpT10_ENKUlT_T0_E_clISt17integral_constantIbLb0EES1O_IbLb1EEEEDaS1K_S1L_EUlS1K_E_NS1_11comp_targetILNS1_3genE10ELNS1_11target_archE1200ELNS1_3gpuE4ELNS1_3repE0EEENS1_30default_config_static_selectorELNS0_4arch9wavefront6targetE0EEEvSY_.has_dyn_sized_stack, 0
	.set _ZN7rocprim17ROCPRIM_400000_NS6detail17trampoline_kernelINS0_13select_configILj256ELj13ELNS0_17block_load_methodE3ELS4_3ELS4_3ELNS0_20block_scan_algorithmE0ELj4294967295EEENS1_25partition_config_selectorILNS1_17partition_subalgoE3EjNS0_10empty_typeEbEEZZNS1_14partition_implILS8_3ELb0ES6_jNS0_17counting_iteratorIjlEEPS9_SE_NS0_5tupleIJPjSE_EEENSF_IJSE_SE_EEES9_SG_JZNS1_25segmented_radix_sort_implINS0_14default_configELb1EPKhPhPKlPlN2at6native12_GLOBAL__N_18offset_tEEE10hipError_tPvRmT1_PNSt15iterator_traitsISY_E10value_typeET2_T3_PNSZ_IS14_E10value_typeET4_jRbjT5_S1A_jjP12ihipStream_tbEUljE_EEESV_SW_SX_S14_S18_S1A_T6_T7_T9_mT8_S1C_bDpT10_ENKUlT_T0_E_clISt17integral_constantIbLb0EES1O_IbLb1EEEEDaS1K_S1L_EUlS1K_E_NS1_11comp_targetILNS1_3genE10ELNS1_11target_archE1200ELNS1_3gpuE4ELNS1_3repE0EEENS1_30default_config_static_selectorELNS0_4arch9wavefront6targetE0EEEvSY_.has_recursion, 0
	.set _ZN7rocprim17ROCPRIM_400000_NS6detail17trampoline_kernelINS0_13select_configILj256ELj13ELNS0_17block_load_methodE3ELS4_3ELS4_3ELNS0_20block_scan_algorithmE0ELj4294967295EEENS1_25partition_config_selectorILNS1_17partition_subalgoE3EjNS0_10empty_typeEbEEZZNS1_14partition_implILS8_3ELb0ES6_jNS0_17counting_iteratorIjlEEPS9_SE_NS0_5tupleIJPjSE_EEENSF_IJSE_SE_EEES9_SG_JZNS1_25segmented_radix_sort_implINS0_14default_configELb1EPKhPhPKlPlN2at6native12_GLOBAL__N_18offset_tEEE10hipError_tPvRmT1_PNSt15iterator_traitsISY_E10value_typeET2_T3_PNSZ_IS14_E10value_typeET4_jRbjT5_S1A_jjP12ihipStream_tbEUljE_EEESV_SW_SX_S14_S18_S1A_T6_T7_T9_mT8_S1C_bDpT10_ENKUlT_T0_E_clISt17integral_constantIbLb0EES1O_IbLb1EEEEDaS1K_S1L_EUlS1K_E_NS1_11comp_targetILNS1_3genE10ELNS1_11target_archE1200ELNS1_3gpuE4ELNS1_3repE0EEENS1_30default_config_static_selectorELNS0_4arch9wavefront6targetE0EEEvSY_.has_indirect_call, 0
	.section	.AMDGPU.csdata,"",@progbits
; Kernel info:
; codeLenInByte = 0
; TotalNumSgprs: 0
; NumVgprs: 0
; ScratchSize: 0
; MemoryBound: 0
; FloatMode: 240
; IeeeMode: 1
; LDSByteSize: 0 bytes/workgroup (compile time only)
; SGPRBlocks: 0
; VGPRBlocks: 0
; NumSGPRsForWavesPerEU: 1
; NumVGPRsForWavesPerEU: 1
; Occupancy: 16
; WaveLimiterHint : 0
; COMPUTE_PGM_RSRC2:SCRATCH_EN: 0
; COMPUTE_PGM_RSRC2:USER_SGPR: 6
; COMPUTE_PGM_RSRC2:TRAP_HANDLER: 0
; COMPUTE_PGM_RSRC2:TGID_X_EN: 1
; COMPUTE_PGM_RSRC2:TGID_Y_EN: 0
; COMPUTE_PGM_RSRC2:TGID_Z_EN: 0
; COMPUTE_PGM_RSRC2:TIDIG_COMP_CNT: 0
	.section	.text._ZN7rocprim17ROCPRIM_400000_NS6detail17trampoline_kernelINS0_13select_configILj256ELj13ELNS0_17block_load_methodE3ELS4_3ELS4_3ELNS0_20block_scan_algorithmE0ELj4294967295EEENS1_25partition_config_selectorILNS1_17partition_subalgoE3EjNS0_10empty_typeEbEEZZNS1_14partition_implILS8_3ELb0ES6_jNS0_17counting_iteratorIjlEEPS9_SE_NS0_5tupleIJPjSE_EEENSF_IJSE_SE_EEES9_SG_JZNS1_25segmented_radix_sort_implINS0_14default_configELb1EPKhPhPKlPlN2at6native12_GLOBAL__N_18offset_tEEE10hipError_tPvRmT1_PNSt15iterator_traitsISY_E10value_typeET2_T3_PNSZ_IS14_E10value_typeET4_jRbjT5_S1A_jjP12ihipStream_tbEUljE_EEESV_SW_SX_S14_S18_S1A_T6_T7_T9_mT8_S1C_bDpT10_ENKUlT_T0_E_clISt17integral_constantIbLb0EES1O_IbLb1EEEEDaS1K_S1L_EUlS1K_E_NS1_11comp_targetILNS1_3genE9ELNS1_11target_archE1100ELNS1_3gpuE3ELNS1_3repE0EEENS1_30default_config_static_selectorELNS0_4arch9wavefront6targetE0EEEvSY_,"axG",@progbits,_ZN7rocprim17ROCPRIM_400000_NS6detail17trampoline_kernelINS0_13select_configILj256ELj13ELNS0_17block_load_methodE3ELS4_3ELS4_3ELNS0_20block_scan_algorithmE0ELj4294967295EEENS1_25partition_config_selectorILNS1_17partition_subalgoE3EjNS0_10empty_typeEbEEZZNS1_14partition_implILS8_3ELb0ES6_jNS0_17counting_iteratorIjlEEPS9_SE_NS0_5tupleIJPjSE_EEENSF_IJSE_SE_EEES9_SG_JZNS1_25segmented_radix_sort_implINS0_14default_configELb1EPKhPhPKlPlN2at6native12_GLOBAL__N_18offset_tEEE10hipError_tPvRmT1_PNSt15iterator_traitsISY_E10value_typeET2_T3_PNSZ_IS14_E10value_typeET4_jRbjT5_S1A_jjP12ihipStream_tbEUljE_EEESV_SW_SX_S14_S18_S1A_T6_T7_T9_mT8_S1C_bDpT10_ENKUlT_T0_E_clISt17integral_constantIbLb0EES1O_IbLb1EEEEDaS1K_S1L_EUlS1K_E_NS1_11comp_targetILNS1_3genE9ELNS1_11target_archE1100ELNS1_3gpuE3ELNS1_3repE0EEENS1_30default_config_static_selectorELNS0_4arch9wavefront6targetE0EEEvSY_,comdat
	.globl	_ZN7rocprim17ROCPRIM_400000_NS6detail17trampoline_kernelINS0_13select_configILj256ELj13ELNS0_17block_load_methodE3ELS4_3ELS4_3ELNS0_20block_scan_algorithmE0ELj4294967295EEENS1_25partition_config_selectorILNS1_17partition_subalgoE3EjNS0_10empty_typeEbEEZZNS1_14partition_implILS8_3ELb0ES6_jNS0_17counting_iteratorIjlEEPS9_SE_NS0_5tupleIJPjSE_EEENSF_IJSE_SE_EEES9_SG_JZNS1_25segmented_radix_sort_implINS0_14default_configELb1EPKhPhPKlPlN2at6native12_GLOBAL__N_18offset_tEEE10hipError_tPvRmT1_PNSt15iterator_traitsISY_E10value_typeET2_T3_PNSZ_IS14_E10value_typeET4_jRbjT5_S1A_jjP12ihipStream_tbEUljE_EEESV_SW_SX_S14_S18_S1A_T6_T7_T9_mT8_S1C_bDpT10_ENKUlT_T0_E_clISt17integral_constantIbLb0EES1O_IbLb1EEEEDaS1K_S1L_EUlS1K_E_NS1_11comp_targetILNS1_3genE9ELNS1_11target_archE1100ELNS1_3gpuE3ELNS1_3repE0EEENS1_30default_config_static_selectorELNS0_4arch9wavefront6targetE0EEEvSY_ ; -- Begin function _ZN7rocprim17ROCPRIM_400000_NS6detail17trampoline_kernelINS0_13select_configILj256ELj13ELNS0_17block_load_methodE3ELS4_3ELS4_3ELNS0_20block_scan_algorithmE0ELj4294967295EEENS1_25partition_config_selectorILNS1_17partition_subalgoE3EjNS0_10empty_typeEbEEZZNS1_14partition_implILS8_3ELb0ES6_jNS0_17counting_iteratorIjlEEPS9_SE_NS0_5tupleIJPjSE_EEENSF_IJSE_SE_EEES9_SG_JZNS1_25segmented_radix_sort_implINS0_14default_configELb1EPKhPhPKlPlN2at6native12_GLOBAL__N_18offset_tEEE10hipError_tPvRmT1_PNSt15iterator_traitsISY_E10value_typeET2_T3_PNSZ_IS14_E10value_typeET4_jRbjT5_S1A_jjP12ihipStream_tbEUljE_EEESV_SW_SX_S14_S18_S1A_T6_T7_T9_mT8_S1C_bDpT10_ENKUlT_T0_E_clISt17integral_constantIbLb0EES1O_IbLb1EEEEDaS1K_S1L_EUlS1K_E_NS1_11comp_targetILNS1_3genE9ELNS1_11target_archE1100ELNS1_3gpuE3ELNS1_3repE0EEENS1_30default_config_static_selectorELNS0_4arch9wavefront6targetE0EEEvSY_
	.p2align	8
	.type	_ZN7rocprim17ROCPRIM_400000_NS6detail17trampoline_kernelINS0_13select_configILj256ELj13ELNS0_17block_load_methodE3ELS4_3ELS4_3ELNS0_20block_scan_algorithmE0ELj4294967295EEENS1_25partition_config_selectorILNS1_17partition_subalgoE3EjNS0_10empty_typeEbEEZZNS1_14partition_implILS8_3ELb0ES6_jNS0_17counting_iteratorIjlEEPS9_SE_NS0_5tupleIJPjSE_EEENSF_IJSE_SE_EEES9_SG_JZNS1_25segmented_radix_sort_implINS0_14default_configELb1EPKhPhPKlPlN2at6native12_GLOBAL__N_18offset_tEEE10hipError_tPvRmT1_PNSt15iterator_traitsISY_E10value_typeET2_T3_PNSZ_IS14_E10value_typeET4_jRbjT5_S1A_jjP12ihipStream_tbEUljE_EEESV_SW_SX_S14_S18_S1A_T6_T7_T9_mT8_S1C_bDpT10_ENKUlT_T0_E_clISt17integral_constantIbLb0EES1O_IbLb1EEEEDaS1K_S1L_EUlS1K_E_NS1_11comp_targetILNS1_3genE9ELNS1_11target_archE1100ELNS1_3gpuE3ELNS1_3repE0EEENS1_30default_config_static_selectorELNS0_4arch9wavefront6targetE0EEEvSY_,@function
_ZN7rocprim17ROCPRIM_400000_NS6detail17trampoline_kernelINS0_13select_configILj256ELj13ELNS0_17block_load_methodE3ELS4_3ELS4_3ELNS0_20block_scan_algorithmE0ELj4294967295EEENS1_25partition_config_selectorILNS1_17partition_subalgoE3EjNS0_10empty_typeEbEEZZNS1_14partition_implILS8_3ELb0ES6_jNS0_17counting_iteratorIjlEEPS9_SE_NS0_5tupleIJPjSE_EEENSF_IJSE_SE_EEES9_SG_JZNS1_25segmented_radix_sort_implINS0_14default_configELb1EPKhPhPKlPlN2at6native12_GLOBAL__N_18offset_tEEE10hipError_tPvRmT1_PNSt15iterator_traitsISY_E10value_typeET2_T3_PNSZ_IS14_E10value_typeET4_jRbjT5_S1A_jjP12ihipStream_tbEUljE_EEESV_SW_SX_S14_S18_S1A_T6_T7_T9_mT8_S1C_bDpT10_ENKUlT_T0_E_clISt17integral_constantIbLb0EES1O_IbLb1EEEEDaS1K_S1L_EUlS1K_E_NS1_11comp_targetILNS1_3genE9ELNS1_11target_archE1100ELNS1_3gpuE3ELNS1_3repE0EEENS1_30default_config_static_selectorELNS0_4arch9wavefront6targetE0EEEvSY_: ; @_ZN7rocprim17ROCPRIM_400000_NS6detail17trampoline_kernelINS0_13select_configILj256ELj13ELNS0_17block_load_methodE3ELS4_3ELS4_3ELNS0_20block_scan_algorithmE0ELj4294967295EEENS1_25partition_config_selectorILNS1_17partition_subalgoE3EjNS0_10empty_typeEbEEZZNS1_14partition_implILS8_3ELb0ES6_jNS0_17counting_iteratorIjlEEPS9_SE_NS0_5tupleIJPjSE_EEENSF_IJSE_SE_EEES9_SG_JZNS1_25segmented_radix_sort_implINS0_14default_configELb1EPKhPhPKlPlN2at6native12_GLOBAL__N_18offset_tEEE10hipError_tPvRmT1_PNSt15iterator_traitsISY_E10value_typeET2_T3_PNSZ_IS14_E10value_typeET4_jRbjT5_S1A_jjP12ihipStream_tbEUljE_EEESV_SW_SX_S14_S18_S1A_T6_T7_T9_mT8_S1C_bDpT10_ENKUlT_T0_E_clISt17integral_constantIbLb0EES1O_IbLb1EEEEDaS1K_S1L_EUlS1K_E_NS1_11comp_targetILNS1_3genE9ELNS1_11target_archE1100ELNS1_3gpuE3ELNS1_3repE0EEENS1_30default_config_static_selectorELNS0_4arch9wavefront6targetE0EEEvSY_
; %bb.0:
	.section	.rodata,"a",@progbits
	.p2align	6, 0x0
	.amdhsa_kernel _ZN7rocprim17ROCPRIM_400000_NS6detail17trampoline_kernelINS0_13select_configILj256ELj13ELNS0_17block_load_methodE3ELS4_3ELS4_3ELNS0_20block_scan_algorithmE0ELj4294967295EEENS1_25partition_config_selectorILNS1_17partition_subalgoE3EjNS0_10empty_typeEbEEZZNS1_14partition_implILS8_3ELb0ES6_jNS0_17counting_iteratorIjlEEPS9_SE_NS0_5tupleIJPjSE_EEENSF_IJSE_SE_EEES9_SG_JZNS1_25segmented_radix_sort_implINS0_14default_configELb1EPKhPhPKlPlN2at6native12_GLOBAL__N_18offset_tEEE10hipError_tPvRmT1_PNSt15iterator_traitsISY_E10value_typeET2_T3_PNSZ_IS14_E10value_typeET4_jRbjT5_S1A_jjP12ihipStream_tbEUljE_EEESV_SW_SX_S14_S18_S1A_T6_T7_T9_mT8_S1C_bDpT10_ENKUlT_T0_E_clISt17integral_constantIbLb0EES1O_IbLb1EEEEDaS1K_S1L_EUlS1K_E_NS1_11comp_targetILNS1_3genE9ELNS1_11target_archE1100ELNS1_3gpuE3ELNS1_3repE0EEENS1_30default_config_static_selectorELNS0_4arch9wavefront6targetE0EEEvSY_
		.amdhsa_group_segment_fixed_size 0
		.amdhsa_private_segment_fixed_size 0
		.amdhsa_kernarg_size 152
		.amdhsa_user_sgpr_count 6
		.amdhsa_user_sgpr_private_segment_buffer 1
		.amdhsa_user_sgpr_dispatch_ptr 0
		.amdhsa_user_sgpr_queue_ptr 0
		.amdhsa_user_sgpr_kernarg_segment_ptr 1
		.amdhsa_user_sgpr_dispatch_id 0
		.amdhsa_user_sgpr_flat_scratch_init 0
		.amdhsa_user_sgpr_private_segment_size 0
		.amdhsa_wavefront_size32 1
		.amdhsa_uses_dynamic_stack 0
		.amdhsa_system_sgpr_private_segment_wavefront_offset 0
		.amdhsa_system_sgpr_workgroup_id_x 1
		.amdhsa_system_sgpr_workgroup_id_y 0
		.amdhsa_system_sgpr_workgroup_id_z 0
		.amdhsa_system_sgpr_workgroup_info 0
		.amdhsa_system_vgpr_workitem_id 0
		.amdhsa_next_free_vgpr 1
		.amdhsa_next_free_sgpr 1
		.amdhsa_reserve_vcc 0
		.amdhsa_reserve_flat_scratch 0
		.amdhsa_float_round_mode_32 0
		.amdhsa_float_round_mode_16_64 0
		.amdhsa_float_denorm_mode_32 3
		.amdhsa_float_denorm_mode_16_64 3
		.amdhsa_dx10_clamp 1
		.amdhsa_ieee_mode 1
		.amdhsa_fp16_overflow 0
		.amdhsa_workgroup_processor_mode 1
		.amdhsa_memory_ordered 1
		.amdhsa_forward_progress 1
		.amdhsa_shared_vgpr_count 0
		.amdhsa_exception_fp_ieee_invalid_op 0
		.amdhsa_exception_fp_denorm_src 0
		.amdhsa_exception_fp_ieee_div_zero 0
		.amdhsa_exception_fp_ieee_overflow 0
		.amdhsa_exception_fp_ieee_underflow 0
		.amdhsa_exception_fp_ieee_inexact 0
		.amdhsa_exception_int_div_zero 0
	.end_amdhsa_kernel
	.section	.text._ZN7rocprim17ROCPRIM_400000_NS6detail17trampoline_kernelINS0_13select_configILj256ELj13ELNS0_17block_load_methodE3ELS4_3ELS4_3ELNS0_20block_scan_algorithmE0ELj4294967295EEENS1_25partition_config_selectorILNS1_17partition_subalgoE3EjNS0_10empty_typeEbEEZZNS1_14partition_implILS8_3ELb0ES6_jNS0_17counting_iteratorIjlEEPS9_SE_NS0_5tupleIJPjSE_EEENSF_IJSE_SE_EEES9_SG_JZNS1_25segmented_radix_sort_implINS0_14default_configELb1EPKhPhPKlPlN2at6native12_GLOBAL__N_18offset_tEEE10hipError_tPvRmT1_PNSt15iterator_traitsISY_E10value_typeET2_T3_PNSZ_IS14_E10value_typeET4_jRbjT5_S1A_jjP12ihipStream_tbEUljE_EEESV_SW_SX_S14_S18_S1A_T6_T7_T9_mT8_S1C_bDpT10_ENKUlT_T0_E_clISt17integral_constantIbLb0EES1O_IbLb1EEEEDaS1K_S1L_EUlS1K_E_NS1_11comp_targetILNS1_3genE9ELNS1_11target_archE1100ELNS1_3gpuE3ELNS1_3repE0EEENS1_30default_config_static_selectorELNS0_4arch9wavefront6targetE0EEEvSY_,"axG",@progbits,_ZN7rocprim17ROCPRIM_400000_NS6detail17trampoline_kernelINS0_13select_configILj256ELj13ELNS0_17block_load_methodE3ELS4_3ELS4_3ELNS0_20block_scan_algorithmE0ELj4294967295EEENS1_25partition_config_selectorILNS1_17partition_subalgoE3EjNS0_10empty_typeEbEEZZNS1_14partition_implILS8_3ELb0ES6_jNS0_17counting_iteratorIjlEEPS9_SE_NS0_5tupleIJPjSE_EEENSF_IJSE_SE_EEES9_SG_JZNS1_25segmented_radix_sort_implINS0_14default_configELb1EPKhPhPKlPlN2at6native12_GLOBAL__N_18offset_tEEE10hipError_tPvRmT1_PNSt15iterator_traitsISY_E10value_typeET2_T3_PNSZ_IS14_E10value_typeET4_jRbjT5_S1A_jjP12ihipStream_tbEUljE_EEESV_SW_SX_S14_S18_S1A_T6_T7_T9_mT8_S1C_bDpT10_ENKUlT_T0_E_clISt17integral_constantIbLb0EES1O_IbLb1EEEEDaS1K_S1L_EUlS1K_E_NS1_11comp_targetILNS1_3genE9ELNS1_11target_archE1100ELNS1_3gpuE3ELNS1_3repE0EEENS1_30default_config_static_selectorELNS0_4arch9wavefront6targetE0EEEvSY_,comdat
.Lfunc_end81:
	.size	_ZN7rocprim17ROCPRIM_400000_NS6detail17trampoline_kernelINS0_13select_configILj256ELj13ELNS0_17block_load_methodE3ELS4_3ELS4_3ELNS0_20block_scan_algorithmE0ELj4294967295EEENS1_25partition_config_selectorILNS1_17partition_subalgoE3EjNS0_10empty_typeEbEEZZNS1_14partition_implILS8_3ELb0ES6_jNS0_17counting_iteratorIjlEEPS9_SE_NS0_5tupleIJPjSE_EEENSF_IJSE_SE_EEES9_SG_JZNS1_25segmented_radix_sort_implINS0_14default_configELb1EPKhPhPKlPlN2at6native12_GLOBAL__N_18offset_tEEE10hipError_tPvRmT1_PNSt15iterator_traitsISY_E10value_typeET2_T3_PNSZ_IS14_E10value_typeET4_jRbjT5_S1A_jjP12ihipStream_tbEUljE_EEESV_SW_SX_S14_S18_S1A_T6_T7_T9_mT8_S1C_bDpT10_ENKUlT_T0_E_clISt17integral_constantIbLb0EES1O_IbLb1EEEEDaS1K_S1L_EUlS1K_E_NS1_11comp_targetILNS1_3genE9ELNS1_11target_archE1100ELNS1_3gpuE3ELNS1_3repE0EEENS1_30default_config_static_selectorELNS0_4arch9wavefront6targetE0EEEvSY_, .Lfunc_end81-_ZN7rocprim17ROCPRIM_400000_NS6detail17trampoline_kernelINS0_13select_configILj256ELj13ELNS0_17block_load_methodE3ELS4_3ELS4_3ELNS0_20block_scan_algorithmE0ELj4294967295EEENS1_25partition_config_selectorILNS1_17partition_subalgoE3EjNS0_10empty_typeEbEEZZNS1_14partition_implILS8_3ELb0ES6_jNS0_17counting_iteratorIjlEEPS9_SE_NS0_5tupleIJPjSE_EEENSF_IJSE_SE_EEES9_SG_JZNS1_25segmented_radix_sort_implINS0_14default_configELb1EPKhPhPKlPlN2at6native12_GLOBAL__N_18offset_tEEE10hipError_tPvRmT1_PNSt15iterator_traitsISY_E10value_typeET2_T3_PNSZ_IS14_E10value_typeET4_jRbjT5_S1A_jjP12ihipStream_tbEUljE_EEESV_SW_SX_S14_S18_S1A_T6_T7_T9_mT8_S1C_bDpT10_ENKUlT_T0_E_clISt17integral_constantIbLb0EES1O_IbLb1EEEEDaS1K_S1L_EUlS1K_E_NS1_11comp_targetILNS1_3genE9ELNS1_11target_archE1100ELNS1_3gpuE3ELNS1_3repE0EEENS1_30default_config_static_selectorELNS0_4arch9wavefront6targetE0EEEvSY_
                                        ; -- End function
	.set _ZN7rocprim17ROCPRIM_400000_NS6detail17trampoline_kernelINS0_13select_configILj256ELj13ELNS0_17block_load_methodE3ELS4_3ELS4_3ELNS0_20block_scan_algorithmE0ELj4294967295EEENS1_25partition_config_selectorILNS1_17partition_subalgoE3EjNS0_10empty_typeEbEEZZNS1_14partition_implILS8_3ELb0ES6_jNS0_17counting_iteratorIjlEEPS9_SE_NS0_5tupleIJPjSE_EEENSF_IJSE_SE_EEES9_SG_JZNS1_25segmented_radix_sort_implINS0_14default_configELb1EPKhPhPKlPlN2at6native12_GLOBAL__N_18offset_tEEE10hipError_tPvRmT1_PNSt15iterator_traitsISY_E10value_typeET2_T3_PNSZ_IS14_E10value_typeET4_jRbjT5_S1A_jjP12ihipStream_tbEUljE_EEESV_SW_SX_S14_S18_S1A_T6_T7_T9_mT8_S1C_bDpT10_ENKUlT_T0_E_clISt17integral_constantIbLb0EES1O_IbLb1EEEEDaS1K_S1L_EUlS1K_E_NS1_11comp_targetILNS1_3genE9ELNS1_11target_archE1100ELNS1_3gpuE3ELNS1_3repE0EEENS1_30default_config_static_selectorELNS0_4arch9wavefront6targetE0EEEvSY_.num_vgpr, 0
	.set _ZN7rocprim17ROCPRIM_400000_NS6detail17trampoline_kernelINS0_13select_configILj256ELj13ELNS0_17block_load_methodE3ELS4_3ELS4_3ELNS0_20block_scan_algorithmE0ELj4294967295EEENS1_25partition_config_selectorILNS1_17partition_subalgoE3EjNS0_10empty_typeEbEEZZNS1_14partition_implILS8_3ELb0ES6_jNS0_17counting_iteratorIjlEEPS9_SE_NS0_5tupleIJPjSE_EEENSF_IJSE_SE_EEES9_SG_JZNS1_25segmented_radix_sort_implINS0_14default_configELb1EPKhPhPKlPlN2at6native12_GLOBAL__N_18offset_tEEE10hipError_tPvRmT1_PNSt15iterator_traitsISY_E10value_typeET2_T3_PNSZ_IS14_E10value_typeET4_jRbjT5_S1A_jjP12ihipStream_tbEUljE_EEESV_SW_SX_S14_S18_S1A_T6_T7_T9_mT8_S1C_bDpT10_ENKUlT_T0_E_clISt17integral_constantIbLb0EES1O_IbLb1EEEEDaS1K_S1L_EUlS1K_E_NS1_11comp_targetILNS1_3genE9ELNS1_11target_archE1100ELNS1_3gpuE3ELNS1_3repE0EEENS1_30default_config_static_selectorELNS0_4arch9wavefront6targetE0EEEvSY_.num_agpr, 0
	.set _ZN7rocprim17ROCPRIM_400000_NS6detail17trampoline_kernelINS0_13select_configILj256ELj13ELNS0_17block_load_methodE3ELS4_3ELS4_3ELNS0_20block_scan_algorithmE0ELj4294967295EEENS1_25partition_config_selectorILNS1_17partition_subalgoE3EjNS0_10empty_typeEbEEZZNS1_14partition_implILS8_3ELb0ES6_jNS0_17counting_iteratorIjlEEPS9_SE_NS0_5tupleIJPjSE_EEENSF_IJSE_SE_EEES9_SG_JZNS1_25segmented_radix_sort_implINS0_14default_configELb1EPKhPhPKlPlN2at6native12_GLOBAL__N_18offset_tEEE10hipError_tPvRmT1_PNSt15iterator_traitsISY_E10value_typeET2_T3_PNSZ_IS14_E10value_typeET4_jRbjT5_S1A_jjP12ihipStream_tbEUljE_EEESV_SW_SX_S14_S18_S1A_T6_T7_T9_mT8_S1C_bDpT10_ENKUlT_T0_E_clISt17integral_constantIbLb0EES1O_IbLb1EEEEDaS1K_S1L_EUlS1K_E_NS1_11comp_targetILNS1_3genE9ELNS1_11target_archE1100ELNS1_3gpuE3ELNS1_3repE0EEENS1_30default_config_static_selectorELNS0_4arch9wavefront6targetE0EEEvSY_.numbered_sgpr, 0
	.set _ZN7rocprim17ROCPRIM_400000_NS6detail17trampoline_kernelINS0_13select_configILj256ELj13ELNS0_17block_load_methodE3ELS4_3ELS4_3ELNS0_20block_scan_algorithmE0ELj4294967295EEENS1_25partition_config_selectorILNS1_17partition_subalgoE3EjNS0_10empty_typeEbEEZZNS1_14partition_implILS8_3ELb0ES6_jNS0_17counting_iteratorIjlEEPS9_SE_NS0_5tupleIJPjSE_EEENSF_IJSE_SE_EEES9_SG_JZNS1_25segmented_radix_sort_implINS0_14default_configELb1EPKhPhPKlPlN2at6native12_GLOBAL__N_18offset_tEEE10hipError_tPvRmT1_PNSt15iterator_traitsISY_E10value_typeET2_T3_PNSZ_IS14_E10value_typeET4_jRbjT5_S1A_jjP12ihipStream_tbEUljE_EEESV_SW_SX_S14_S18_S1A_T6_T7_T9_mT8_S1C_bDpT10_ENKUlT_T0_E_clISt17integral_constantIbLb0EES1O_IbLb1EEEEDaS1K_S1L_EUlS1K_E_NS1_11comp_targetILNS1_3genE9ELNS1_11target_archE1100ELNS1_3gpuE3ELNS1_3repE0EEENS1_30default_config_static_selectorELNS0_4arch9wavefront6targetE0EEEvSY_.num_named_barrier, 0
	.set _ZN7rocprim17ROCPRIM_400000_NS6detail17trampoline_kernelINS0_13select_configILj256ELj13ELNS0_17block_load_methodE3ELS4_3ELS4_3ELNS0_20block_scan_algorithmE0ELj4294967295EEENS1_25partition_config_selectorILNS1_17partition_subalgoE3EjNS0_10empty_typeEbEEZZNS1_14partition_implILS8_3ELb0ES6_jNS0_17counting_iteratorIjlEEPS9_SE_NS0_5tupleIJPjSE_EEENSF_IJSE_SE_EEES9_SG_JZNS1_25segmented_radix_sort_implINS0_14default_configELb1EPKhPhPKlPlN2at6native12_GLOBAL__N_18offset_tEEE10hipError_tPvRmT1_PNSt15iterator_traitsISY_E10value_typeET2_T3_PNSZ_IS14_E10value_typeET4_jRbjT5_S1A_jjP12ihipStream_tbEUljE_EEESV_SW_SX_S14_S18_S1A_T6_T7_T9_mT8_S1C_bDpT10_ENKUlT_T0_E_clISt17integral_constantIbLb0EES1O_IbLb1EEEEDaS1K_S1L_EUlS1K_E_NS1_11comp_targetILNS1_3genE9ELNS1_11target_archE1100ELNS1_3gpuE3ELNS1_3repE0EEENS1_30default_config_static_selectorELNS0_4arch9wavefront6targetE0EEEvSY_.private_seg_size, 0
	.set _ZN7rocprim17ROCPRIM_400000_NS6detail17trampoline_kernelINS0_13select_configILj256ELj13ELNS0_17block_load_methodE3ELS4_3ELS4_3ELNS0_20block_scan_algorithmE0ELj4294967295EEENS1_25partition_config_selectorILNS1_17partition_subalgoE3EjNS0_10empty_typeEbEEZZNS1_14partition_implILS8_3ELb0ES6_jNS0_17counting_iteratorIjlEEPS9_SE_NS0_5tupleIJPjSE_EEENSF_IJSE_SE_EEES9_SG_JZNS1_25segmented_radix_sort_implINS0_14default_configELb1EPKhPhPKlPlN2at6native12_GLOBAL__N_18offset_tEEE10hipError_tPvRmT1_PNSt15iterator_traitsISY_E10value_typeET2_T3_PNSZ_IS14_E10value_typeET4_jRbjT5_S1A_jjP12ihipStream_tbEUljE_EEESV_SW_SX_S14_S18_S1A_T6_T7_T9_mT8_S1C_bDpT10_ENKUlT_T0_E_clISt17integral_constantIbLb0EES1O_IbLb1EEEEDaS1K_S1L_EUlS1K_E_NS1_11comp_targetILNS1_3genE9ELNS1_11target_archE1100ELNS1_3gpuE3ELNS1_3repE0EEENS1_30default_config_static_selectorELNS0_4arch9wavefront6targetE0EEEvSY_.uses_vcc, 0
	.set _ZN7rocprim17ROCPRIM_400000_NS6detail17trampoline_kernelINS0_13select_configILj256ELj13ELNS0_17block_load_methodE3ELS4_3ELS4_3ELNS0_20block_scan_algorithmE0ELj4294967295EEENS1_25partition_config_selectorILNS1_17partition_subalgoE3EjNS0_10empty_typeEbEEZZNS1_14partition_implILS8_3ELb0ES6_jNS0_17counting_iteratorIjlEEPS9_SE_NS0_5tupleIJPjSE_EEENSF_IJSE_SE_EEES9_SG_JZNS1_25segmented_radix_sort_implINS0_14default_configELb1EPKhPhPKlPlN2at6native12_GLOBAL__N_18offset_tEEE10hipError_tPvRmT1_PNSt15iterator_traitsISY_E10value_typeET2_T3_PNSZ_IS14_E10value_typeET4_jRbjT5_S1A_jjP12ihipStream_tbEUljE_EEESV_SW_SX_S14_S18_S1A_T6_T7_T9_mT8_S1C_bDpT10_ENKUlT_T0_E_clISt17integral_constantIbLb0EES1O_IbLb1EEEEDaS1K_S1L_EUlS1K_E_NS1_11comp_targetILNS1_3genE9ELNS1_11target_archE1100ELNS1_3gpuE3ELNS1_3repE0EEENS1_30default_config_static_selectorELNS0_4arch9wavefront6targetE0EEEvSY_.uses_flat_scratch, 0
	.set _ZN7rocprim17ROCPRIM_400000_NS6detail17trampoline_kernelINS0_13select_configILj256ELj13ELNS0_17block_load_methodE3ELS4_3ELS4_3ELNS0_20block_scan_algorithmE0ELj4294967295EEENS1_25partition_config_selectorILNS1_17partition_subalgoE3EjNS0_10empty_typeEbEEZZNS1_14partition_implILS8_3ELb0ES6_jNS0_17counting_iteratorIjlEEPS9_SE_NS0_5tupleIJPjSE_EEENSF_IJSE_SE_EEES9_SG_JZNS1_25segmented_radix_sort_implINS0_14default_configELb1EPKhPhPKlPlN2at6native12_GLOBAL__N_18offset_tEEE10hipError_tPvRmT1_PNSt15iterator_traitsISY_E10value_typeET2_T3_PNSZ_IS14_E10value_typeET4_jRbjT5_S1A_jjP12ihipStream_tbEUljE_EEESV_SW_SX_S14_S18_S1A_T6_T7_T9_mT8_S1C_bDpT10_ENKUlT_T0_E_clISt17integral_constantIbLb0EES1O_IbLb1EEEEDaS1K_S1L_EUlS1K_E_NS1_11comp_targetILNS1_3genE9ELNS1_11target_archE1100ELNS1_3gpuE3ELNS1_3repE0EEENS1_30default_config_static_selectorELNS0_4arch9wavefront6targetE0EEEvSY_.has_dyn_sized_stack, 0
	.set _ZN7rocprim17ROCPRIM_400000_NS6detail17trampoline_kernelINS0_13select_configILj256ELj13ELNS0_17block_load_methodE3ELS4_3ELS4_3ELNS0_20block_scan_algorithmE0ELj4294967295EEENS1_25partition_config_selectorILNS1_17partition_subalgoE3EjNS0_10empty_typeEbEEZZNS1_14partition_implILS8_3ELb0ES6_jNS0_17counting_iteratorIjlEEPS9_SE_NS0_5tupleIJPjSE_EEENSF_IJSE_SE_EEES9_SG_JZNS1_25segmented_radix_sort_implINS0_14default_configELb1EPKhPhPKlPlN2at6native12_GLOBAL__N_18offset_tEEE10hipError_tPvRmT1_PNSt15iterator_traitsISY_E10value_typeET2_T3_PNSZ_IS14_E10value_typeET4_jRbjT5_S1A_jjP12ihipStream_tbEUljE_EEESV_SW_SX_S14_S18_S1A_T6_T7_T9_mT8_S1C_bDpT10_ENKUlT_T0_E_clISt17integral_constantIbLb0EES1O_IbLb1EEEEDaS1K_S1L_EUlS1K_E_NS1_11comp_targetILNS1_3genE9ELNS1_11target_archE1100ELNS1_3gpuE3ELNS1_3repE0EEENS1_30default_config_static_selectorELNS0_4arch9wavefront6targetE0EEEvSY_.has_recursion, 0
	.set _ZN7rocprim17ROCPRIM_400000_NS6detail17trampoline_kernelINS0_13select_configILj256ELj13ELNS0_17block_load_methodE3ELS4_3ELS4_3ELNS0_20block_scan_algorithmE0ELj4294967295EEENS1_25partition_config_selectorILNS1_17partition_subalgoE3EjNS0_10empty_typeEbEEZZNS1_14partition_implILS8_3ELb0ES6_jNS0_17counting_iteratorIjlEEPS9_SE_NS0_5tupleIJPjSE_EEENSF_IJSE_SE_EEES9_SG_JZNS1_25segmented_radix_sort_implINS0_14default_configELb1EPKhPhPKlPlN2at6native12_GLOBAL__N_18offset_tEEE10hipError_tPvRmT1_PNSt15iterator_traitsISY_E10value_typeET2_T3_PNSZ_IS14_E10value_typeET4_jRbjT5_S1A_jjP12ihipStream_tbEUljE_EEESV_SW_SX_S14_S18_S1A_T6_T7_T9_mT8_S1C_bDpT10_ENKUlT_T0_E_clISt17integral_constantIbLb0EES1O_IbLb1EEEEDaS1K_S1L_EUlS1K_E_NS1_11comp_targetILNS1_3genE9ELNS1_11target_archE1100ELNS1_3gpuE3ELNS1_3repE0EEENS1_30default_config_static_selectorELNS0_4arch9wavefront6targetE0EEEvSY_.has_indirect_call, 0
	.section	.AMDGPU.csdata,"",@progbits
; Kernel info:
; codeLenInByte = 0
; TotalNumSgprs: 0
; NumVgprs: 0
; ScratchSize: 0
; MemoryBound: 0
; FloatMode: 240
; IeeeMode: 1
; LDSByteSize: 0 bytes/workgroup (compile time only)
; SGPRBlocks: 0
; VGPRBlocks: 0
; NumSGPRsForWavesPerEU: 1
; NumVGPRsForWavesPerEU: 1
; Occupancy: 16
; WaveLimiterHint : 0
; COMPUTE_PGM_RSRC2:SCRATCH_EN: 0
; COMPUTE_PGM_RSRC2:USER_SGPR: 6
; COMPUTE_PGM_RSRC2:TRAP_HANDLER: 0
; COMPUTE_PGM_RSRC2:TGID_X_EN: 1
; COMPUTE_PGM_RSRC2:TGID_Y_EN: 0
; COMPUTE_PGM_RSRC2:TGID_Z_EN: 0
; COMPUTE_PGM_RSRC2:TIDIG_COMP_CNT: 0
	.section	.text._ZN7rocprim17ROCPRIM_400000_NS6detail17trampoline_kernelINS0_13select_configILj256ELj13ELNS0_17block_load_methodE3ELS4_3ELS4_3ELNS0_20block_scan_algorithmE0ELj4294967295EEENS1_25partition_config_selectorILNS1_17partition_subalgoE3EjNS0_10empty_typeEbEEZZNS1_14partition_implILS8_3ELb0ES6_jNS0_17counting_iteratorIjlEEPS9_SE_NS0_5tupleIJPjSE_EEENSF_IJSE_SE_EEES9_SG_JZNS1_25segmented_radix_sort_implINS0_14default_configELb1EPKhPhPKlPlN2at6native12_GLOBAL__N_18offset_tEEE10hipError_tPvRmT1_PNSt15iterator_traitsISY_E10value_typeET2_T3_PNSZ_IS14_E10value_typeET4_jRbjT5_S1A_jjP12ihipStream_tbEUljE_EEESV_SW_SX_S14_S18_S1A_T6_T7_T9_mT8_S1C_bDpT10_ENKUlT_T0_E_clISt17integral_constantIbLb0EES1O_IbLb1EEEEDaS1K_S1L_EUlS1K_E_NS1_11comp_targetILNS1_3genE8ELNS1_11target_archE1030ELNS1_3gpuE2ELNS1_3repE0EEENS1_30default_config_static_selectorELNS0_4arch9wavefront6targetE0EEEvSY_,"axG",@progbits,_ZN7rocprim17ROCPRIM_400000_NS6detail17trampoline_kernelINS0_13select_configILj256ELj13ELNS0_17block_load_methodE3ELS4_3ELS4_3ELNS0_20block_scan_algorithmE0ELj4294967295EEENS1_25partition_config_selectorILNS1_17partition_subalgoE3EjNS0_10empty_typeEbEEZZNS1_14partition_implILS8_3ELb0ES6_jNS0_17counting_iteratorIjlEEPS9_SE_NS0_5tupleIJPjSE_EEENSF_IJSE_SE_EEES9_SG_JZNS1_25segmented_radix_sort_implINS0_14default_configELb1EPKhPhPKlPlN2at6native12_GLOBAL__N_18offset_tEEE10hipError_tPvRmT1_PNSt15iterator_traitsISY_E10value_typeET2_T3_PNSZ_IS14_E10value_typeET4_jRbjT5_S1A_jjP12ihipStream_tbEUljE_EEESV_SW_SX_S14_S18_S1A_T6_T7_T9_mT8_S1C_bDpT10_ENKUlT_T0_E_clISt17integral_constantIbLb0EES1O_IbLb1EEEEDaS1K_S1L_EUlS1K_E_NS1_11comp_targetILNS1_3genE8ELNS1_11target_archE1030ELNS1_3gpuE2ELNS1_3repE0EEENS1_30default_config_static_selectorELNS0_4arch9wavefront6targetE0EEEvSY_,comdat
	.globl	_ZN7rocprim17ROCPRIM_400000_NS6detail17trampoline_kernelINS0_13select_configILj256ELj13ELNS0_17block_load_methodE3ELS4_3ELS4_3ELNS0_20block_scan_algorithmE0ELj4294967295EEENS1_25partition_config_selectorILNS1_17partition_subalgoE3EjNS0_10empty_typeEbEEZZNS1_14partition_implILS8_3ELb0ES6_jNS0_17counting_iteratorIjlEEPS9_SE_NS0_5tupleIJPjSE_EEENSF_IJSE_SE_EEES9_SG_JZNS1_25segmented_radix_sort_implINS0_14default_configELb1EPKhPhPKlPlN2at6native12_GLOBAL__N_18offset_tEEE10hipError_tPvRmT1_PNSt15iterator_traitsISY_E10value_typeET2_T3_PNSZ_IS14_E10value_typeET4_jRbjT5_S1A_jjP12ihipStream_tbEUljE_EEESV_SW_SX_S14_S18_S1A_T6_T7_T9_mT8_S1C_bDpT10_ENKUlT_T0_E_clISt17integral_constantIbLb0EES1O_IbLb1EEEEDaS1K_S1L_EUlS1K_E_NS1_11comp_targetILNS1_3genE8ELNS1_11target_archE1030ELNS1_3gpuE2ELNS1_3repE0EEENS1_30default_config_static_selectorELNS0_4arch9wavefront6targetE0EEEvSY_ ; -- Begin function _ZN7rocprim17ROCPRIM_400000_NS6detail17trampoline_kernelINS0_13select_configILj256ELj13ELNS0_17block_load_methodE3ELS4_3ELS4_3ELNS0_20block_scan_algorithmE0ELj4294967295EEENS1_25partition_config_selectorILNS1_17partition_subalgoE3EjNS0_10empty_typeEbEEZZNS1_14partition_implILS8_3ELb0ES6_jNS0_17counting_iteratorIjlEEPS9_SE_NS0_5tupleIJPjSE_EEENSF_IJSE_SE_EEES9_SG_JZNS1_25segmented_radix_sort_implINS0_14default_configELb1EPKhPhPKlPlN2at6native12_GLOBAL__N_18offset_tEEE10hipError_tPvRmT1_PNSt15iterator_traitsISY_E10value_typeET2_T3_PNSZ_IS14_E10value_typeET4_jRbjT5_S1A_jjP12ihipStream_tbEUljE_EEESV_SW_SX_S14_S18_S1A_T6_T7_T9_mT8_S1C_bDpT10_ENKUlT_T0_E_clISt17integral_constantIbLb0EES1O_IbLb1EEEEDaS1K_S1L_EUlS1K_E_NS1_11comp_targetILNS1_3genE8ELNS1_11target_archE1030ELNS1_3gpuE2ELNS1_3repE0EEENS1_30default_config_static_selectorELNS0_4arch9wavefront6targetE0EEEvSY_
	.p2align	8
	.type	_ZN7rocprim17ROCPRIM_400000_NS6detail17trampoline_kernelINS0_13select_configILj256ELj13ELNS0_17block_load_methodE3ELS4_3ELS4_3ELNS0_20block_scan_algorithmE0ELj4294967295EEENS1_25partition_config_selectorILNS1_17partition_subalgoE3EjNS0_10empty_typeEbEEZZNS1_14partition_implILS8_3ELb0ES6_jNS0_17counting_iteratorIjlEEPS9_SE_NS0_5tupleIJPjSE_EEENSF_IJSE_SE_EEES9_SG_JZNS1_25segmented_radix_sort_implINS0_14default_configELb1EPKhPhPKlPlN2at6native12_GLOBAL__N_18offset_tEEE10hipError_tPvRmT1_PNSt15iterator_traitsISY_E10value_typeET2_T3_PNSZ_IS14_E10value_typeET4_jRbjT5_S1A_jjP12ihipStream_tbEUljE_EEESV_SW_SX_S14_S18_S1A_T6_T7_T9_mT8_S1C_bDpT10_ENKUlT_T0_E_clISt17integral_constantIbLb0EES1O_IbLb1EEEEDaS1K_S1L_EUlS1K_E_NS1_11comp_targetILNS1_3genE8ELNS1_11target_archE1030ELNS1_3gpuE2ELNS1_3repE0EEENS1_30default_config_static_selectorELNS0_4arch9wavefront6targetE0EEEvSY_,@function
_ZN7rocprim17ROCPRIM_400000_NS6detail17trampoline_kernelINS0_13select_configILj256ELj13ELNS0_17block_load_methodE3ELS4_3ELS4_3ELNS0_20block_scan_algorithmE0ELj4294967295EEENS1_25partition_config_selectorILNS1_17partition_subalgoE3EjNS0_10empty_typeEbEEZZNS1_14partition_implILS8_3ELb0ES6_jNS0_17counting_iteratorIjlEEPS9_SE_NS0_5tupleIJPjSE_EEENSF_IJSE_SE_EEES9_SG_JZNS1_25segmented_radix_sort_implINS0_14default_configELb1EPKhPhPKlPlN2at6native12_GLOBAL__N_18offset_tEEE10hipError_tPvRmT1_PNSt15iterator_traitsISY_E10value_typeET2_T3_PNSZ_IS14_E10value_typeET4_jRbjT5_S1A_jjP12ihipStream_tbEUljE_EEESV_SW_SX_S14_S18_S1A_T6_T7_T9_mT8_S1C_bDpT10_ENKUlT_T0_E_clISt17integral_constantIbLb0EES1O_IbLb1EEEEDaS1K_S1L_EUlS1K_E_NS1_11comp_targetILNS1_3genE8ELNS1_11target_archE1030ELNS1_3gpuE2ELNS1_3repE0EEENS1_30default_config_static_selectorELNS0_4arch9wavefront6targetE0EEEvSY_: ; @_ZN7rocprim17ROCPRIM_400000_NS6detail17trampoline_kernelINS0_13select_configILj256ELj13ELNS0_17block_load_methodE3ELS4_3ELS4_3ELNS0_20block_scan_algorithmE0ELj4294967295EEENS1_25partition_config_selectorILNS1_17partition_subalgoE3EjNS0_10empty_typeEbEEZZNS1_14partition_implILS8_3ELb0ES6_jNS0_17counting_iteratorIjlEEPS9_SE_NS0_5tupleIJPjSE_EEENSF_IJSE_SE_EEES9_SG_JZNS1_25segmented_radix_sort_implINS0_14default_configELb1EPKhPhPKlPlN2at6native12_GLOBAL__N_18offset_tEEE10hipError_tPvRmT1_PNSt15iterator_traitsISY_E10value_typeET2_T3_PNSZ_IS14_E10value_typeET4_jRbjT5_S1A_jjP12ihipStream_tbEUljE_EEESV_SW_SX_S14_S18_S1A_T6_T7_T9_mT8_S1C_bDpT10_ENKUlT_T0_E_clISt17integral_constantIbLb0EES1O_IbLb1EEEEDaS1K_S1L_EUlS1K_E_NS1_11comp_targetILNS1_3genE8ELNS1_11target_archE1030ELNS1_3gpuE2ELNS1_3repE0EEENS1_30default_config_static_selectorELNS0_4arch9wavefront6targetE0EEEvSY_
; %bb.0:
	s_clause 0x6
	s_load_dwordx2 s[18:19], s[4:5], 0x10
	s_load_dwordx2 s[16:17], s[4:5], 0x28
	;; [unrolled: 1-line block ×3, first 2 shown]
	s_load_dwordx4 s[12:15], s[4:5], 0x48
	s_load_dword s2, s[4:5], 0x90
	s_load_dwordx2 s[22:23], s[4:5], 0x68
	s_load_dwordx4 s[8:11], s[4:5], 0x80
	v_cmp_eq_u32_e64 s0, 0, v0
	s_and_saveexec_b32 s1, s0
	s_cbranch_execz .LBB82_4
; %bb.1:
	s_mov_b32 s6, exec_lo
	s_mov_b32 s3, exec_lo
	v_mbcnt_lo_u32_b32 v1, s6, 0
                                        ; implicit-def: $vgpr2
	v_cmpx_eq_u32_e32 0, v1
	s_cbranch_execz .LBB82_3
; %bb.2:
	s_load_dwordx2 s[24:25], s[4:5], 0x78
	s_bcnt1_i32_b32 s6, s6
	v_mov_b32_e32 v2, 0
	v_mov_b32_e32 v3, s6
	s_waitcnt lgkmcnt(0)
	global_atomic_add v2, v2, v3, s[24:25] glc
.LBB82_3:
	s_or_b32 exec_lo, exec_lo, s3
	s_waitcnt vmcnt(0)
	v_readfirstlane_b32 s3, v2
	v_mov_b32_e32 v2, 0
	v_add_nc_u32_e32 v1, s3, v1
	ds_write_b32 v2, v1
.LBB82_4:
	s_or_b32 exec_lo, exec_lo, s1
	v_mov_b32_e32 v1, 0
	s_clause 0x1
	s_load_dword s3, s[4:5], 0x8
	s_load_dword s1, s[4:5], 0x70
	s_waitcnt lgkmcnt(0)
	s_barrier
	buffer_gl0_inv
	ds_read_b32 v2, v1
	s_waitcnt lgkmcnt(0)
	s_barrier
	buffer_gl0_inv
	global_load_dwordx2 v[18:19], v1, s[14:15]
	v_lshlrev_b32_e32 v44, 2, v0
	s_add_i32 s4, s3, s18
	s_mul_i32 s5, s1, 0xd00
	s_add_i32 s1, s1, -1
	s_add_i32 s3, s5, s18
	s_sub_i32 s15, s20, s3
	v_readfirstlane_b32 s25, v2
	s_addk_i32 s15, 0xd00
	s_add_u32 s6, s18, s5
	s_addc_u32 s7, s19, 0
	v_cmp_ne_u32_e32 vcc_lo, s1, v2
	v_cmp_gt_u64_e64 s3, s[20:21], s[6:7]
	s_cmp_eq_u32 s25, s1
	s_mul_i32 s24, s25, 0xd00
	s_cselect_b32 s14, -1, 0
	s_mov_b32 s5, -1
	s_or_b32 s3, s3, vcc_lo
	s_and_b32 vcc_lo, exec_lo, s3
	s_cbranch_vccz .LBB82_6
; %bb.5:
	v_add3_u32 v1, s24, s4, v0
	s_mov_b32 s5, 0
	v_add_nc_u32_e32 v2, 0x100, v1
	v_add_nc_u32_e32 v3, 0x200, v1
	;; [unrolled: 1-line block ×12, first 2 shown]
	ds_write2st64_b32 v44, v1, v2 offset1:4
	ds_write2st64_b32 v44, v3, v4 offset0:8 offset1:12
	ds_write2st64_b32 v44, v5, v6 offset0:16 offset1:20
	;; [unrolled: 1-line block ×5, first 2 shown]
	ds_write_b32 v44, v13 offset:12288
	s_waitcnt vmcnt(0) lgkmcnt(0)
	s_barrier
.LBB82_6:
	v_cmp_gt_u32_e64 s1, s15, v0
	v_or_b32_e32 v43, 0x100, v0
	v_or_b32_e32 v42, 0x200, v0
	;; [unrolled: 1-line block ×12, first 2 shown]
	s_andn2_b32 vcc_lo, exec_lo, s5
	s_cbranch_vccnz .LBB82_8
; %bb.7:
	s_add_i32 s4, s24, s4
	v_cmp_gt_u32_e32 vcc_lo, s15, v43
	v_add_nc_u32_e32 v2, s4, v43
	v_add_nc_u32_e32 v3, s4, v42
	;; [unrolled: 1-line block ×5, first 2 shown]
	v_cndmask_b32_e32 v2, 0, v2, vcc_lo
	v_cmp_gt_u32_e32 vcc_lo, s15, v42
	v_add_nc_u32_e32 v7, s4, v38
	v_add_nc_u32_e32 v8, s4, v37
	;; [unrolled: 1-line block ×4, first 2 shown]
	v_cndmask_b32_e32 v3, 0, v3, vcc_lo
	v_cmp_gt_u32_e32 vcc_lo, s15, v41
	v_add_nc_u32_e32 v11, s4, v34
	v_add_nc_u32_e32 v1, s4, v0
	;; [unrolled: 1-line block ×4, first 2 shown]
	v_cndmask_b32_e32 v4, 0, v4, vcc_lo
	v_cmp_gt_u32_e32 vcc_lo, s15, v40
	v_cndmask_b32_e64 v1, 0, v1, s1
	v_cndmask_b32_e32 v5, 0, v5, vcc_lo
	v_cmp_gt_u32_e32 vcc_lo, s15, v39
	v_cndmask_b32_e32 v6, 0, v6, vcc_lo
	v_cmp_gt_u32_e32 vcc_lo, s15, v38
	;; [unrolled: 2-line block ×8, first 2 shown]
	v_cndmask_b32_e32 v13, 0, v13, vcc_lo
	ds_write2st64_b32 v44, v1, v2 offset1:4
	ds_write2st64_b32 v44, v3, v4 offset0:8 offset1:12
	ds_write2st64_b32 v44, v5, v6 offset0:16 offset1:20
	;; [unrolled: 1-line block ×5, first 2 shown]
	ds_write_b32 v44, v13 offset:12288
	s_waitcnt vmcnt(0) lgkmcnt(0)
	s_barrier
.LBB82_8:
	v_mul_u32_u24_e32 v47, 13, v0
	s_waitcnt vmcnt(0)
	buffer_gl0_inv
	v_cndmask_b32_e64 v45, 0, 1, s3
	s_andn2_b32 vcc_lo, exec_lo, s3
	v_lshlrev_b32_e32 v1, 2, v47
	ds_read2_b32 v[28:29], v1 offset0:2 offset1:3
	ds_read2_b32 v[24:25], v1 offset0:6 offset1:7
	;; [unrolled: 1-line block ×3, first 2 shown]
	ds_read2_b32 v[30:31], v1 offset1:1
	ds_read2_b32 v[20:21], v1 offset0:10 offset1:11
	ds_read_b32 v46, v1 offset:48
	ds_read2_b32 v[22:23], v1 offset0:8 offset1:9
	s_waitcnt lgkmcnt(0)
	s_barrier
	buffer_gl0_inv
	s_cbranch_vccnz .LBB82_10
; %bb.9:
	v_add_nc_u32_e32 v1, s9, v29
	v_add_nc_u32_e32 v4, s9, v28
	;; [unrolled: 1-line block ×6, first 2 shown]
	v_mul_lo_u32 v4, v4, s8
	v_mul_lo_u32 v1, v1, s8
	;; [unrolled: 1-line block ×4, first 2 shown]
	v_add_nc_u32_e32 v3, s9, v30
	v_add_nc_u32_e32 v7, s11, v30
	v_mul_lo_u32 v2, v2, s8
	v_mul_lo_u32 v6, v6, s10
	v_add_nc_u32_e32 v10, s11, v27
	v_mul_lo_u32 v3, v3, s8
	v_mul_lo_u32 v7, v7, s10
	v_sub_nc_u32_e32 v1, v1, v5
	v_sub_nc_u32_e32 v4, v4, v8
	v_add_nc_u32_e32 v5, s9, v25
	v_add_nc_u32_e32 v8, s11, v25
	v_sub_nc_u32_e32 v2, v2, v6
	v_add_nc_u32_e32 v6, s9, v27
	v_add_nc_u32_e32 v9, s9, v24
	v_mul_lo_u32 v5, v5, s8
	v_mul_lo_u32 v8, v8, s10
	v_sub_nc_u32_e32 v3, v3, v7
	v_add_nc_u32_e32 v7, s9, v26
	v_add_nc_u32_e32 v11, s11, v24
	v_mul_lo_u32 v6, v6, s8
	v_mul_lo_u32 v10, v10, s10
	v_add_nc_u32_e32 v12, s11, v26
	v_mul_lo_u32 v9, v9, s8
	v_mul_lo_u32 v7, v7, s8
	;; [unrolled: 1-line block ×3, first 2 shown]
	v_sub_nc_u32_e32 v5, v5, v8
	v_mul_lo_u32 v8, v12, s10
	v_cmp_lt_u32_e32 vcc_lo, s2, v1
	v_sub_nc_u32_e32 v6, v6, v10
	v_add_nc_u32_e32 v10, s9, v21
	v_add_nc_u32_e32 v14, s11, v21
	;; [unrolled: 1-line block ×3, first 2 shown]
	v_cndmask_b32_e64 v1, 0, 1, vcc_lo
	v_cmp_lt_u32_e32 vcc_lo, s2, v2
	v_sub_nc_u32_e32 v7, v7, v8
	v_sub_nc_u32_e32 v8, v9, v11
	v_add_nc_u32_e32 v11, s9, v23
	v_mul_lo_u32 v10, v10, s8
	v_mul_lo_u32 v14, v14, s10
	v_cndmask_b32_e64 v2, 0, 1, vcc_lo
	v_cmp_lt_u32_e32 vcc_lo, s2, v5
	v_mul_lo_u32 v11, v11, s8
	v_mul_lo_u32 v15, v15, s10
	v_mov_b32_e32 v9, 8
	v_lshlrev_b16 v2, 8, v2
	v_cndmask_b32_e64 v5, 0, 1, vcc_lo
	v_cmp_lt_u32_e32 vcc_lo, s2, v6
	v_sub_nc_u32_e32 v10, v10, v14
	v_add_nc_u32_e32 v12, s9, v22
	v_add_nc_u32_e32 v16, s11, v22
	v_sub_nc_u32_e32 v11, v11, v15
	v_cndmask_b32_e64 v6, 0, 1, vcc_lo
	v_cmp_lt_u32_e32 vcc_lo, s2, v10
	v_lshrrev_b32_sdwa v2, v9, v2 dst_sel:BYTE_1 dst_unused:UNUSED_PAD src0_sel:DWORD src1_sel:DWORD
	v_add_nc_u32_e32 v13, s9, v20
	v_add_nc_u32_e32 v17, s11, v20
	v_mul_lo_u32 v12, v12, s8
	v_cndmask_b32_e64 v10, 0, 1, vcc_lo
	v_cmp_lt_u32_e32 vcc_lo, s2, v11
	v_mul_lo_u32 v16, v16, s10
	v_mul_lo_u32 v13, v13, s8
	;; [unrolled: 1-line block ×3, first 2 shown]
	v_add_nc_u32_e32 v14, s9, v46
	v_cndmask_b32_e64 v11, 0, 1, vcc_lo
	v_cmp_lt_u32_e32 vcc_lo, s2, v3
	v_add_nc_u32_e32 v15, s11, v46
	v_lshlrev_b16 v1, 8, v1
	v_sub_nc_u32_e32 v12, v12, v16
	v_lshlrev_b16 v11, 8, v11
	v_cndmask_b32_e64 v3, 0, 1, vcc_lo
	v_cmp_lt_u32_e32 vcc_lo, s2, v4
	v_sub_nc_u32_e32 v13, v13, v17
	v_mul_lo_u32 v14, v14, s8
	v_mul_lo_u32 v15, v15, s10
	v_or_b32_e32 v2, v3, v2
	v_cndmask_b32_e64 v3, 0, 1, vcc_lo
	v_cmp_lt_u32_e32 vcc_lo, s2, v7
	v_lshlrev_b16 v6, 8, v6
	v_lshlrev_b16 v10, 8, v10
	;; [unrolled: 1-line block ×3, first 2 shown]
	v_lshrrev_b32_sdwa v1, v9, v1 dst_sel:BYTE_1 dst_unused:UNUSED_PAD src0_sel:DWORD src1_sel:DWORD
	v_cndmask_b32_e64 v4, 0, 1, vcc_lo
	v_cmp_lt_u32_e32 vcc_lo, s2, v8
	v_lshrrev_b32_sdwa v8, v9, v11 dst_sel:BYTE_1 dst_unused:UNUSED_PAD src0_sel:DWORD src1_sel:DWORD
	v_lshrrev_b32_sdwa v6, v9, v6 dst_sel:BYTE_1 dst_unused:UNUSED_PAD src0_sel:DWORD src1_sel:DWORD
	v_sub_nc_u32_e32 v14, v14, v15
	v_lshrrev_b32_sdwa v9, v9, v10 dst_sel:BYTE_1 dst_unused:UNUSED_PAD src0_sel:DWORD src1_sel:DWORD
	v_cndmask_b32_e64 v7, 0, 1, vcc_lo
	v_cmp_lt_u32_e32 vcc_lo, s2, v12
	v_or_b32_sdwa v1, v3, v1 dst_sel:WORD_1 dst_unused:UNUSED_PAD src0_sel:DWORD src1_sel:DWORD
	v_or_b32_e32 v3, v4, v6
	v_or_b32_sdwa v4, v7, v5 dst_sel:WORD_1 dst_unused:UNUSED_PAD src0_sel:DWORD src1_sel:DWORD
	v_cndmask_b32_e64 v11, 0, 1, vcc_lo
	v_cmp_lt_u32_e32 vcc_lo, s2, v13
	v_or_b32_sdwa v52, v2, v1 dst_sel:DWORD dst_unused:UNUSED_PAD src0_sel:WORD_0 src1_sel:DWORD
	v_or_b32_sdwa v50, v3, v4 dst_sel:DWORD dst_unused:UNUSED_PAD src0_sel:WORD_0 src1_sel:DWORD
	v_or_b32_e32 v5, v11, v8
	v_cndmask_b32_e64 v10, 0, 1, vcc_lo
	v_cmp_lt_u32_e32 vcc_lo, s2, v14
	v_or_b32_sdwa v6, v10, v9 dst_sel:WORD_1 dst_unused:UNUSED_PAD src0_sel:DWORD src1_sel:DWORD
	v_cndmask_b32_e64 v48, 0, 1, vcc_lo
	v_or_b32_sdwa v49, v5, v6 dst_sel:DWORD dst_unused:UNUSED_PAD src0_sel:WORD_0 src1_sel:DWORD
	s_cbranch_execz .LBB82_11
	s_branch .LBB82_38
.LBB82_10:
                                        ; implicit-def: $vgpr48
                                        ; implicit-def: $vgpr49
                                        ; implicit-def: $vgpr50
                                        ; implicit-def: $vgpr52
.LBB82_11:
	v_mov_b32_e32 v2, 0
	v_mov_b32_e32 v1, 0
	s_mov_b32 s1, exec_lo
	v_cmpx_gt_u32_e64 s15, v47
	s_cbranch_execz .LBB82_13
; %bb.12:
	v_add_nc_u32_e32 v1, s9, v30
	v_add_nc_u32_e32 v3, s11, v30
	v_mul_lo_u32 v1, v1, s8
	v_mul_lo_u32 v3, v3, s10
	v_sub_nc_u32_e32 v1, v1, v3
	v_cmp_lt_u32_e32 vcc_lo, s2, v1
	v_cndmask_b32_e64 v1, 0, 1, vcc_lo
.LBB82_13:
	s_or_b32 exec_lo, exec_lo, s1
	v_add_nc_u32_e32 v3, 1, v47
	s_mov_b32 s1, exec_lo
	v_cmpx_gt_u32_e64 s15, v3
	s_cbranch_execz .LBB82_15
; %bb.14:
	v_add_nc_u32_e32 v2, s9, v31
	v_add_nc_u32_e32 v3, s11, v31
	v_mul_lo_u32 v2, v2, s8
	v_mul_lo_u32 v3, v3, s10
	v_sub_nc_u32_e32 v2, v2, v3
	v_cmp_lt_u32_e32 vcc_lo, s2, v2
	v_cndmask_b32_e64 v2, 0, 1, vcc_lo
.LBB82_15:
	s_or_b32 exec_lo, exec_lo, s1
	v_add_nc_u32_e32 v3, 2, v47
	v_mov_b32_e32 v4, 0
	v_cmp_gt_u32_e32 vcc_lo, s15, v3
	v_mov_b32_e32 v3, 0
	s_and_saveexec_b32 s1, vcc_lo
	s_cbranch_execz .LBB82_17
; %bb.16:
	v_add_nc_u32_e32 v3, s9, v28
	v_add_nc_u32_e32 v5, s11, v28
	v_mul_lo_u32 v3, v3, s8
	v_mul_lo_u32 v5, v5, s10
	v_sub_nc_u32_e32 v3, v3, v5
	v_cmp_lt_u32_e32 vcc_lo, s2, v3
	v_cndmask_b32_e64 v3, 0, 1, vcc_lo
.LBB82_17:
	s_or_b32 exec_lo, exec_lo, s1
	v_add_nc_u32_e32 v5, 3, v47
	s_mov_b32 s1, exec_lo
	v_cmpx_gt_u32_e64 s15, v5
	s_cbranch_execz .LBB82_19
; %bb.18:
	v_add_nc_u32_e32 v4, s9, v29
	v_add_nc_u32_e32 v5, s11, v29
	v_mul_lo_u32 v4, v4, s8
	v_mul_lo_u32 v5, v5, s10
	v_sub_nc_u32_e32 v4, v4, v5
	v_cmp_lt_u32_e32 vcc_lo, s2, v4
	v_cndmask_b32_e64 v4, 0, 1, vcc_lo
.LBB82_19:
	s_or_b32 exec_lo, exec_lo, s1
	v_add_nc_u32_e32 v5, 4, v47
	v_mov_b32_e32 v6, 0
	v_cmp_gt_u32_e32 vcc_lo, s15, v5
	v_mov_b32_e32 v5, 0
	s_and_saveexec_b32 s1, vcc_lo
	;; [unrolled: 30-line block ×5, first 2 shown]
	s_cbranch_execz .LBB82_33
; %bb.32:
	v_add_nc_u32_e32 v11, s9, v20
	v_add_nc_u32_e32 v13, s11, v20
	v_mul_lo_u32 v11, v11, s8
	v_mul_lo_u32 v13, v13, s10
	v_sub_nc_u32_e32 v11, v11, v13
	v_cmp_lt_u32_e32 vcc_lo, s2, v11
	v_cndmask_b32_e64 v11, 0, 1, vcc_lo
.LBB82_33:
	s_or_b32 exec_lo, exec_lo, s1
	v_add_nc_u32_e32 v13, 11, v47
	s_mov_b32 s1, exec_lo
	v_cmpx_gt_u32_e64 s15, v13
	s_cbranch_execz .LBB82_35
; %bb.34:
	v_add_nc_u32_e32 v12, s9, v21
	v_add_nc_u32_e32 v13, s11, v21
	v_mul_lo_u32 v12, v12, s8
	v_mul_lo_u32 v13, v13, s10
	v_sub_nc_u32_e32 v12, v12, v13
	v_cmp_lt_u32_e32 vcc_lo, s2, v12
	v_cndmask_b32_e64 v12, 0, 1, vcc_lo
.LBB82_35:
	s_or_b32 exec_lo, exec_lo, s1
	v_add_nc_u32_e32 v13, 12, v47
	v_mov_b32_e32 v48, 0
	s_mov_b32 s1, exec_lo
	v_cmpx_gt_u32_e64 s15, v13
	s_cbranch_execz .LBB82_37
; %bb.36:
	v_add_nc_u32_e32 v13, s9, v46
	v_add_nc_u32_e32 v14, s11, v46
	v_mul_lo_u32 v13, v13, s8
	v_mul_lo_u32 v14, v14, s10
	v_sub_nc_u32_e32 v13, v13, v14
	v_cmp_lt_u32_e32 vcc_lo, s2, v13
	v_cndmask_b32_e64 v48, 0, 1, vcc_lo
.LBB82_37:
	s_or_b32 exec_lo, exec_lo, s1
	v_lshlrev_b16 v2, 8, v2
	v_lshlrev_b16 v4, 8, v4
	;; [unrolled: 1-line block ×5, first 2 shown]
	v_or_b32_e32 v1, v1, v2
	v_lshlrev_b16 v2, 8, v12
	v_or_b32_sdwa v3, v3, v4 dst_sel:WORD_1 dst_unused:UNUSED_PAD src0_sel:DWORD src1_sel:DWORD
	v_or_b32_e32 v4, v5, v6
	v_or_b32_sdwa v5, v7, v8 dst_sel:WORD_1 dst_unused:UNUSED_PAD src0_sel:DWORD src1_sel:DWORD
	v_or_b32_e32 v6, v9, v10
	v_or_b32_sdwa v2, v11, v2 dst_sel:WORD_1 dst_unused:UNUSED_PAD src0_sel:DWORD src1_sel:DWORD
	v_or_b32_sdwa v52, v1, v3 dst_sel:DWORD dst_unused:UNUSED_PAD src0_sel:WORD_0 src1_sel:DWORD
	v_or_b32_sdwa v50, v4, v5 dst_sel:DWORD dst_unused:UNUSED_PAD src0_sel:WORD_0 src1_sel:DWORD
	;; [unrolled: 1-line block ×3, first 2 shown]
.LBB82_38:
	v_and_b32_e32 v55, 0xff, v52
	v_bfe_u32 v56, v52, 8, 8
	v_bfe_u32 v57, v52, 16, 8
	v_lshrrev_b32_e32 v54, 24, v52
	v_and_b32_e32 v58, 0xff, v50
	v_bfe_u32 v59, v50, 8, 8
	v_bfe_u32 v60, v50, 16, 8
	v_add3_u32 v1, v56, v55, v57
	v_lshrrev_b32_e32 v53, 24, v50
	v_and_b32_e32 v61, 0xff, v49
	v_bfe_u32 v62, v49, 8, 8
	v_mbcnt_lo_u32_b32 v64, -1, 0
	v_add3_u32 v1, v1, v54, v58
	v_bfe_u32 v63, v49, 16, 8
	v_lshrrev_b32_e32 v51, 24, v49
	v_and_b32_e32 v2, 0xff, v48
	v_and_b32_e32 v3, 15, v64
	v_add3_u32 v1, v1, v59, v60
	v_or_b32_e32 v4, 31, v0
	v_and_b32_e32 v5, 16, v64
	v_lshrrev_b32_e32 v65, 5, v0
	v_cmp_eq_u32_e64 s6, 0, v3
	v_add3_u32 v1, v1, v53, v61
	v_cmp_lt_u32_e64 s5, 1, v3
	v_cmp_lt_u32_e64 s4, 3, v3
	;; [unrolled: 1-line block ×3, first 2 shown]
	v_cmp_eq_u32_e64 s2, 0, v5
	v_add3_u32 v1, v1, v62, v63
	v_cmp_eq_u32_e64 s1, v0, v4
	s_cmp_lg_u32 s25, 0
	s_mov_b32 s7, -1
	v_add3_u32 v66, v1, v51, v2
	s_cbranch_scc0 .LBB82_60
; %bb.39:
	v_mov_b32_dpp v1, v66 row_shr:1 row_mask:0xf bank_mask:0xf
	v_cndmask_b32_e64 v1, v1, 0, s6
	v_add_nc_u32_e32 v1, v1, v66
	v_mov_b32_dpp v2, v1 row_shr:2 row_mask:0xf bank_mask:0xf
	v_cndmask_b32_e64 v2, 0, v2, s5
	v_add_nc_u32_e32 v1, v1, v2
	;; [unrolled: 3-line block ×4, first 2 shown]
	ds_swizzle_b32 v2, v1 offset:swizzle(BROADCAST,32,15)
	s_waitcnt lgkmcnt(0)
	v_cndmask_b32_e64 v2, v2, 0, s2
	v_add_nc_u32_e32 v1, v1, v2
	s_and_saveexec_b32 s7, s1
; %bb.40:
	v_lshlrev_b32_e32 v2, 2, v65
	ds_write_b32 v2, v1
; %bb.41:
	s_or_b32 exec_lo, exec_lo, s7
	s_mov_b32 s7, exec_lo
	s_waitcnt lgkmcnt(0)
	s_barrier
	buffer_gl0_inv
	v_cmpx_gt_u32_e32 8, v0
	s_cbranch_execz .LBB82_43
; %bb.42:
	ds_read_b32 v2, v44
	v_and_b32_e32 v3, 7, v64
	v_cmp_ne_u32_e32 vcc_lo, 0, v3
	s_waitcnt lgkmcnt(0)
	v_mov_b32_dpp v4, v2 row_shr:1 row_mask:0xf bank_mask:0xf
	v_cndmask_b32_e32 v4, 0, v4, vcc_lo
	v_cmp_lt_u32_e32 vcc_lo, 1, v3
	v_add_nc_u32_e32 v2, v4, v2
	v_mov_b32_dpp v4, v2 row_shr:2 row_mask:0xf bank_mask:0xf
	v_cndmask_b32_e32 v4, 0, v4, vcc_lo
	v_cmp_lt_u32_e32 vcc_lo, 3, v3
	v_add_nc_u32_e32 v2, v2, v4
	v_mov_b32_dpp v4, v2 row_shr:4 row_mask:0xf bank_mask:0xf
	v_cndmask_b32_e32 v3, 0, v4, vcc_lo
	v_add_nc_u32_e32 v2, v2, v3
	ds_write_b32 v44, v2
.LBB82_43:
	s_or_b32 exec_lo, exec_lo, s7
	s_mov_b32 s8, exec_lo
	v_cmp_gt_u32_e32 vcc_lo, 32, v0
	s_waitcnt lgkmcnt(0)
	s_barrier
	buffer_gl0_inv
                                        ; implicit-def: $vgpr10
	v_cmpx_lt_u32_e32 31, v0
	s_cbranch_execz .LBB82_45
; %bb.44:
	v_lshl_add_u32 v2, v65, 2, -4
	ds_read_b32 v10, v2
	s_waitcnt lgkmcnt(0)
	v_add_nc_u32_e32 v1, v10, v1
.LBB82_45:
	s_or_b32 exec_lo, exec_lo, s8
	v_sub_co_u32 v2, s7, v64, 1
	v_cmp_gt_i32_e64 s8, 0, v2
	v_cndmask_b32_e64 v2, v2, v64, s8
	v_lshlrev_b32_e32 v2, 2, v2
	ds_bpermute_b32 v11, v2, v1
	s_and_saveexec_b32 s8, vcc_lo
	s_cbranch_execz .LBB82_65
; %bb.46:
	v_mov_b32_e32 v7, 0
	ds_read_b32 v1, v7 offset:28
	s_and_saveexec_b32 s9, s7
	s_cbranch_execz .LBB82_48
; %bb.47:
	s_add_i32 s10, s25, 32
	s_mov_b32 s11, 0
	v_mov_b32_e32 v2, 1
	s_lshl_b64 s[10:11], s[10:11], 3
	s_add_u32 s10, s22, s10
	s_addc_u32 s11, s23, s11
	s_waitcnt lgkmcnt(0)
	global_store_dwordx2 v7, v[1:2], s[10:11]
.LBB82_48:
	s_or_b32 exec_lo, exec_lo, s9
	v_xad_u32 v3, v64, -1, s25
	s_mov_b32 s10, 0
	v_add_nc_u32_e32 v6, 32, v3
	v_lshlrev_b64 v[4:5], 3, v[6:7]
	v_add_co_u32 v8, vcc_lo, s22, v4
	v_add_co_ci_u32_e64 v9, null, s23, v5, vcc_lo
	global_load_dwordx2 v[5:6], v[8:9], off glc dlc
	s_waitcnt vmcnt(0)
	v_cmp_eq_u16_sdwa s11, v6, v7 src0_sel:BYTE_0 src1_sel:DWORD
	s_and_saveexec_b32 s9, s11
	s_cbranch_execz .LBB82_52
; %bb.49:
	v_mov_b32_e32 v2, 0
.LBB82_50:                              ; =>This Inner Loop Header: Depth=1
	global_load_dwordx2 v[5:6], v[8:9], off glc dlc
	s_waitcnt vmcnt(0)
	v_cmp_ne_u16_sdwa s11, v6, v2 src0_sel:BYTE_0 src1_sel:DWORD
	s_or_b32 s10, s11, s10
	s_andn2_b32 exec_lo, exec_lo, s10
	s_cbranch_execnz .LBB82_50
; %bb.51:
	s_or_b32 exec_lo, exec_lo, s10
.LBB82_52:
	s_or_b32 exec_lo, exec_lo, s9
	v_cmp_ne_u32_e32 vcc_lo, 31, v64
	v_mov_b32_e32 v12, 2
	v_lshlrev_b32_e64 v13, v64, -1
	v_add_nc_u32_e32 v15, 2, v64
	v_add_nc_u32_e32 v17, 4, v64
	v_add_co_ci_u32_e64 v2, null, 0, v64, vcc_lo
	v_cmp_eq_u16_sdwa s9, v6, v12 src0_sel:BYTE_0 src1_sel:DWORD
	v_cmp_gt_u32_e32 vcc_lo, 30, v64
	v_add_nc_u32_e32 v68, 8, v64
	v_lshlrev_b32_e32 v9, 2, v2
	v_lshl_or_b32 v69, v64, 2, 64
	v_and_or_b32 v4, s9, v13, 0x80000000
	v_cndmask_b32_e64 v7, 0, 2, vcc_lo
	v_add_nc_u32_e32 v70, 16, v64
	ds_bpermute_b32 v2, v9, v5
	v_ffbl_b32_e32 v4, v4
	v_add_lshl_u32 v14, v7, v64, 2
	v_cmp_lt_u32_e32 vcc_lo, v64, v4
	s_waitcnt lgkmcnt(0)
	v_cndmask_b32_e32 v2, 0, v2, vcc_lo
	v_cmp_gt_u32_e32 vcc_lo, 28, v64
	v_add_nc_u32_e32 v2, v2, v5
	v_cndmask_b32_e64 v7, 0, 4, vcc_lo
	v_cmp_le_u32_e32 vcc_lo, v15, v4
	ds_bpermute_b32 v5, v14, v2
	v_add_lshl_u32 v16, v7, v64, 2
	s_waitcnt lgkmcnt(0)
	v_cndmask_b32_e32 v5, 0, v5, vcc_lo
	v_cmp_gt_u32_e32 vcc_lo, 24, v64
	v_add_nc_u32_e32 v2, v2, v5
	v_cndmask_b32_e64 v7, 0, 8, vcc_lo
	v_cmp_le_u32_e32 vcc_lo, v17, v4
	ds_bpermute_b32 v5, v16, v2
	v_add_lshl_u32 v67, v7, v64, 2
	s_waitcnt lgkmcnt(0)
	v_cndmask_b32_e32 v5, 0, v5, vcc_lo
	v_cmp_le_u32_e32 vcc_lo, v68, v4
	v_add_nc_u32_e32 v2, v2, v5
	ds_bpermute_b32 v5, v67, v2
	s_waitcnt lgkmcnt(0)
	v_cndmask_b32_e32 v5, 0, v5, vcc_lo
	v_cmp_le_u32_e32 vcc_lo, v70, v4
	v_add_nc_u32_e32 v2, v2, v5
	ds_bpermute_b32 v5, v69, v2
	s_waitcnt lgkmcnt(0)
	v_cndmask_b32_e32 v4, 0, v5, vcc_lo
	v_add_nc_u32_e32 v5, v2, v4
	v_mov_b32_e32 v4, 0
	s_branch .LBB82_56
.LBB82_53:                              ;   in Loop: Header=BB82_56 Depth=1
	s_or_b32 exec_lo, exec_lo, s10
.LBB82_54:                              ;   in Loop: Header=BB82_56 Depth=1
	s_or_b32 exec_lo, exec_lo, s9
	ds_bpermute_b32 v7, v9, v5
	v_cmp_eq_u16_sdwa s9, v6, v12 src0_sel:BYTE_0 src1_sel:DWORD
	v_subrev_nc_u32_e32 v3, 32, v3
	v_and_or_b32 v8, s9, v13, 0x80000000
	s_mov_b32 s9, 0
	v_ffbl_b32_e32 v8, v8
	v_cmp_lt_u32_e32 vcc_lo, v64, v8
	s_waitcnt lgkmcnt(0)
	v_cndmask_b32_e32 v7, 0, v7, vcc_lo
	v_cmp_le_u32_e32 vcc_lo, v15, v8
	v_add_nc_u32_e32 v5, v7, v5
	ds_bpermute_b32 v7, v14, v5
	s_waitcnt lgkmcnt(0)
	v_cndmask_b32_e32 v7, 0, v7, vcc_lo
	v_cmp_le_u32_e32 vcc_lo, v17, v8
	v_add_nc_u32_e32 v5, v5, v7
	ds_bpermute_b32 v7, v16, v5
	;; [unrolled: 5-line block ×4, first 2 shown]
	s_waitcnt lgkmcnt(0)
	v_cndmask_b32_e32 v7, 0, v7, vcc_lo
	v_add3_u32 v5, v7, v2, v5
.LBB82_55:                              ;   in Loop: Header=BB82_56 Depth=1
	s_and_b32 vcc_lo, exec_lo, s9
	s_cbranch_vccnz .LBB82_61
.LBB82_56:                              ; =>This Loop Header: Depth=1
                                        ;     Child Loop BB82_59 Depth 2
	v_cmp_ne_u16_sdwa s9, v6, v12 src0_sel:BYTE_0 src1_sel:DWORD
	v_mov_b32_e32 v2, v5
                                        ; implicit-def: $vgpr5
                                        ; implicit-def: $vgpr6
	s_cmp_lg_u32 s9, exec_lo
	s_mov_b32 s9, -1
	s_cbranch_scc1 .LBB82_55
; %bb.57:                               ;   in Loop: Header=BB82_56 Depth=1
	v_lshlrev_b64 v[5:6], 3, v[3:4]
	v_add_co_u32 v7, vcc_lo, s22, v5
	v_add_co_ci_u32_e64 v8, null, s23, v6, vcc_lo
	global_load_dwordx2 v[5:6], v[7:8], off glc dlc
	s_waitcnt vmcnt(0)
	v_cmp_eq_u16_sdwa s10, v6, v4 src0_sel:BYTE_0 src1_sel:DWORD
	s_and_saveexec_b32 s9, s10
	s_cbranch_execz .LBB82_54
; %bb.58:                               ;   in Loop: Header=BB82_56 Depth=1
	s_mov_b32 s10, 0
.LBB82_59:                              ;   Parent Loop BB82_56 Depth=1
                                        ; =>  This Inner Loop Header: Depth=2
	global_load_dwordx2 v[5:6], v[7:8], off glc dlc
	s_waitcnt vmcnt(0)
	v_cmp_ne_u16_sdwa s11, v6, v4 src0_sel:BYTE_0 src1_sel:DWORD
	s_or_b32 s10, s11, s10
	s_andn2_b32 exec_lo, exec_lo, s10
	s_cbranch_execnz .LBB82_59
	s_branch .LBB82_53
.LBB82_60:
                                        ; implicit-def: $vgpr17
                                        ; implicit-def: $vgpr1_vgpr2_vgpr3_vgpr4_vgpr5_vgpr6_vgpr7_vgpr8_vgpr9_vgpr10_vgpr11_vgpr12_vgpr13_vgpr14_vgpr15_vgpr16
	s_and_b32 vcc_lo, exec_lo, s7
	s_cbranch_vccnz .LBB82_66
	s_branch .LBB82_75
.LBB82_61:
	s_and_saveexec_b32 s9, s7
	s_cbranch_execz .LBB82_63
; %bb.62:
	s_add_i32 s10, s25, 32
	s_mov_b32 s11, 0
	v_add_nc_u32_e32 v3, v2, v1
	v_mov_b32_e32 v4, 2
	s_lshl_b64 s[10:11], s[10:11], 3
	v_mov_b32_e32 v5, 0
	s_add_u32 s10, s22, s10
	s_addc_u32 s11, s23, s11
	global_store_dwordx2 v5, v[3:4], s[10:11]
	ds_write_b64 v5, v[1:2] offset:13312
.LBB82_63:
	s_or_b32 exec_lo, exec_lo, s9
	s_and_b32 exec_lo, exec_lo, s0
; %bb.64:
	v_mov_b32_e32 v1, 0
	ds_write_b32 v1, v2 offset:28
.LBB82_65:
	s_or_b32 exec_lo, exec_lo, s8
	v_mov_b32_e32 v12, 0
	s_waitcnt lgkmcnt(0)
	s_waitcnt_vscnt null, 0x0
	s_barrier
	buffer_gl0_inv
	v_cndmask_b32_e64 v2, v11, v10, s7
	ds_read_b32 v1, v12 offset:28
	s_waitcnt lgkmcnt(0)
	s_barrier
	buffer_gl0_inv
	v_cndmask_b32_e64 v2, v2, 0, s0
	ds_read_b64 v[16:17], v12 offset:13312
	v_add_nc_u32_e32 v1, v1, v2
	v_add_nc_u32_e32 v2, v1, v55
	;; [unrolled: 1-line block ×13, first 2 shown]
	s_branch .LBB82_75
.LBB82_66:
	v_mov_b32_dpp v1, v66 row_shr:1 row_mask:0xf bank_mask:0xf
	v_cndmask_b32_e64 v1, v1, 0, s6
	v_add_nc_u32_e32 v1, v1, v66
	v_mov_b32_dpp v2, v1 row_shr:2 row_mask:0xf bank_mask:0xf
	v_cndmask_b32_e64 v2, 0, v2, s5
	v_add_nc_u32_e32 v1, v1, v2
	;; [unrolled: 3-line block ×4, first 2 shown]
	ds_swizzle_b32 v2, v1 offset:swizzle(BROADCAST,32,15)
	s_waitcnt lgkmcnt(0)
	v_cndmask_b32_e64 v2, v2, 0, s2
	v_add_nc_u32_e32 v1, v1, v2
	s_and_saveexec_b32 s2, s1
; %bb.67:
	v_lshlrev_b32_e32 v2, 2, v65
	ds_write_b32 v2, v1
; %bb.68:
	s_or_b32 exec_lo, exec_lo, s2
	s_mov_b32 s1, exec_lo
	s_waitcnt lgkmcnt(0)
	s_barrier
	buffer_gl0_inv
	v_cmpx_gt_u32_e32 8, v0
	s_cbranch_execz .LBB82_70
; %bb.69:
	ds_read_b32 v2, v44
	v_and_b32_e32 v3, 7, v64
	v_cmp_ne_u32_e32 vcc_lo, 0, v3
	s_waitcnt lgkmcnt(0)
	v_mov_b32_dpp v4, v2 row_shr:1 row_mask:0xf bank_mask:0xf
	v_cndmask_b32_e32 v4, 0, v4, vcc_lo
	v_cmp_lt_u32_e32 vcc_lo, 1, v3
	v_add_nc_u32_e32 v2, v4, v2
	v_mov_b32_dpp v4, v2 row_shr:2 row_mask:0xf bank_mask:0xf
	v_cndmask_b32_e32 v4, 0, v4, vcc_lo
	v_cmp_lt_u32_e32 vcc_lo, 3, v3
	v_add_nc_u32_e32 v2, v2, v4
	v_mov_b32_dpp v4, v2 row_shr:4 row_mask:0xf bank_mask:0xf
	v_cndmask_b32_e32 v3, 0, v4, vcc_lo
	v_add_nc_u32_e32 v2, v2, v3
	ds_write_b32 v44, v2
.LBB82_70:
	s_or_b32 exec_lo, exec_lo, s1
	v_mov_b32_e32 v3, 0
	v_mov_b32_e32 v2, 0
	s_mov_b32 s1, exec_lo
	s_waitcnt lgkmcnt(0)
	s_barrier
	buffer_gl0_inv
	v_cmpx_lt_u32_e32 31, v0
; %bb.71:
	v_lshl_add_u32 v2, v65, 2, -4
	ds_read_b32 v2, v2
; %bb.72:
	s_or_b32 exec_lo, exec_lo, s1
	v_sub_co_u32 v4, vcc_lo, v64, 1
	s_waitcnt lgkmcnt(0)
	v_add_nc_u32_e32 v1, v2, v1
	ds_read_b32 v16, v3 offset:28
	v_cmp_gt_i32_e64 s1, 0, v4
	v_cndmask_b32_e64 v4, v4, v64, s1
	v_lshlrev_b32_e32 v4, 2, v4
	ds_bpermute_b32 v1, v4, v1
	s_and_saveexec_b32 s1, s0
	s_cbranch_execz .LBB82_74
; %bb.73:
	v_mov_b32_e32 v3, 0
	v_mov_b32_e32 v17, 2
	s_waitcnt lgkmcnt(1)
	global_store_dwordx2 v3, v[16:17], s[22:23] offset:256
.LBB82_74:
	s_or_b32 exec_lo, exec_lo, s1
	s_waitcnt lgkmcnt(0)
	v_cndmask_b32_e32 v1, v1, v2, vcc_lo
	v_mov_b32_e32 v17, 0
	s_waitcnt_vscnt null, 0x0
	s_barrier
	buffer_gl0_inv
	v_cndmask_b32_e64 v1, v1, 0, s0
	v_add_nc_u32_e32 v2, v1, v55
	v_add_nc_u32_e32 v3, v2, v56
	;; [unrolled: 1-line block ×12, first 2 shown]
.LBB82_75:
	s_waitcnt lgkmcnt(0)
	v_add_nc_u32_e32 v47, v16, v47
	v_sub_nc_u32_e32 v1, v1, v17
	v_and_b32_e32 v56, 1, v52
	v_lshrrev_b32_e32 v55, 8, v52
	v_sub_nc_u32_e32 v2, v2, v17
	v_sub_nc_u32_e32 v3, v3, v17
	;; [unrolled: 1-line block ×3, first 2 shown]
	v_cmp_eq_u32_e32 vcc_lo, 1, v56
	v_and_b32_e32 v55, 1, v55
	v_mov_b32_e32 v58, 1
	v_sub_nc_u32_e32 v56, v47, v2
	v_sub_nc_u32_e32 v4, v4, v17
	v_cndmask_b32_e32 v1, v57, v1, vcc_lo
	v_sub_nc_u32_e32 v57, v47, v3
	v_and_b32_sdwa v52, v58, v52 dst_sel:DWORD dst_unused:UNUSED_PAD src0_sel:DWORD src1_sel:WORD_1
	v_add_nc_u32_e32 v56, 1, v56
	v_cmp_eq_u32_e32 vcc_lo, 1, v55
	v_lshlrev_b32_e32 v1, 2, v1
	v_and_b32_e32 v54, 1, v54
	v_sub_nc_u32_e32 v59, v47, v4
	v_add_nc_u32_e32 v57, 2, v57
	v_lshrrev_b32_e32 v15, 8, v50
	ds_write_b32 v1, v30
	v_cndmask_b32_e32 v1, v56, v2, vcc_lo
	v_cmp_eq_u32_e32 vcc_lo, 1, v52
	v_add_nc_u32_e32 v59, 3, v59
	v_lshrrev_b32_e32 v14, 8, v49
	v_lshlrev_b32_e32 v1, 2, v1
	v_cndmask_b32_e32 v2, v57, v3, vcc_lo
	v_cmp_eq_u32_e32 vcc_lo, 1, v54
	ds_write_b32 v1, v31
	v_lshlrev_b32_e32 v2, 2, v2
	v_cndmask_b32_e32 v3, v59, v4, vcc_lo
	v_sub_nc_u32_e32 v4, v5, v17
	v_sub_nc_u32_e32 v5, v6, v17
	v_lshlrev_b32_e32 v3, 2, v3
	v_sub_nc_u32_e32 v1, v47, v4
	v_sub_nc_u32_e32 v6, v47, v5
	ds_write_b32 v2, v28
	ds_write_b32 v3, v29
	v_and_b32_e32 v2, 1, v50
	v_add_nc_u32_e32 v1, 4, v1
	v_add_nc_u32_e32 v3, 5, v6
	v_sub_nc_u32_e32 v6, v7, v17
	v_and_b32_e32 v7, 1, v15
	v_cmp_eq_u32_e32 vcc_lo, 1, v2
	v_sub_nc_u32_e32 v2, v8, v17
	v_and_b32_e32 v8, 1, v53
	v_add_co_u32 v15, s1, v18, v17
	v_cndmask_b32_e32 v1, v1, v4, vcc_lo
	v_sub_nc_u32_e32 v4, v47, v6
	v_cmp_eq_u32_e32 vcc_lo, 1, v7
	v_and_b32_sdwa v7, v58, v50 dst_sel:DWORD dst_unused:UNUSED_PAD src0_sel:DWORD src1_sel:WORD_1
	v_lshlrev_b32_e32 v1, 2, v1
	v_add_nc_u32_e32 v4, 6, v4
	v_cndmask_b32_e32 v3, v3, v5, vcc_lo
	v_sub_nc_u32_e32 v5, v47, v2
	v_cmp_eq_u32_e32 vcc_lo, 1, v7
	v_sub_nc_u32_e32 v7, v13, v17
	v_lshlrev_b32_e32 v3, 2, v3
	v_add_nc_u32_e32 v5, 7, v5
	v_cndmask_b32_e32 v4, v4, v6, vcc_lo
	v_cmp_eq_u32_e32 vcc_lo, 1, v8
	v_sub_nc_u32_e32 v6, v9, v17
	ds_write_b32 v1, v26
	ds_write_b32 v3, v27
	v_lshlrev_b32_e32 v3, 2, v4
	v_cndmask_b32_e32 v2, v5, v2, vcc_lo
	v_sub_nc_u32_e32 v1, v47, v6
	v_and_b32_e32 v5, 1, v49
	v_sub_nc_u32_e32 v4, v10, v17
	v_and_b32_e32 v10, 1, v51
	v_lshlrev_b32_e32 v2, 2, v2
	v_add_nc_u32_e32 v1, 8, v1
	ds_write_b32 v3, v24
	ds_write_b32 v2, v25
	v_cmp_eq_u32_e32 vcc_lo, 1, v5
	v_sub_nc_u32_e32 v3, v11, v17
	v_sub_nc_u32_e32 v2, v47, v4
	;; [unrolled: 1-line block ×3, first 2 shown]
	v_and_b32_e32 v11, 1, v48
	v_cndmask_b32_e32 v1, v1, v6, vcc_lo
	v_and_b32_e32 v6, 1, v14
	v_sub_nc_u32_e32 v8, v47, v3
	v_add_nc_u32_e32 v2, 9, v2
	v_sub_nc_u32_e32 v9, v47, v5
	v_lshlrev_b32_e32 v1, 2, v1
	v_cmp_eq_u32_e32 vcc_lo, 1, v6
	v_add_nc_u32_e32 v6, 10, v8
	v_and_b32_sdwa v8, v58, v49 dst_sel:DWORD dst_unused:UNUSED_PAD src0_sel:DWORD src1_sel:WORD_1
	v_add_nc_u32_e32 v9, 11, v9
	v_add_co_ci_u32_e64 v17, null, 0, v19, s1
	v_cndmask_b32_e32 v2, v2, v4, vcc_lo
	v_cmp_eq_u32_e32 vcc_lo, 1, v8
	v_sub_nc_u32_e32 v4, v47, v7
	v_lshlrev_b32_e32 v2, 2, v2
	v_cndmask_b32_e32 v3, v6, v3, vcc_lo
	v_cmp_eq_u32_e32 vcc_lo, 1, v10
	v_add_nc_u32_e32 v4, 12, v4
	v_lshlrev_b32_e32 v3, 2, v3
	v_cndmask_b32_e32 v5, v9, v5, vcc_lo
	v_cmp_eq_u32_e32 vcc_lo, 1, v11
	v_lshlrev_b32_e32 v5, 2, v5
	v_cndmask_b32_e32 v4, v4, v7, vcc_lo
	v_cmp_ne_u32_e32 vcc_lo, 1, v45
	v_lshlrev_b32_e32 v4, 2, v4
	ds_write_b32 v1, v22
	ds_write_b32 v2, v23
	;; [unrolled: 1-line block ×5, first 2 shown]
	s_waitcnt lgkmcnt(0)
	s_barrier
	buffer_gl0_inv
	ds_read2st64_b32 v[11:12], v44 offset1:4
	ds_read2st64_b32 v[9:10], v44 offset0:8 offset1:12
	ds_read2st64_b32 v[7:8], v44 offset0:16 offset1:20
	;; [unrolled: 1-line block ×5, first 2 shown]
	ds_read_b32 v20, v44 offset:12288
	s_cbranch_vccnz .LBB82_132
; %bb.76:
	s_sub_u32 s1, s20, s24
	v_sub_co_u32 v13, vcc_lo, v15, s18
	s_subb_u32 s2, s21, 0
	v_add_co_u32 v18, s1, s1, v16
	v_subrev_co_ci_u32_e64 v14, null, s19, v17, vcc_lo
	v_add_co_ci_u32_e64 v19, null, s2, 0, s1
	v_add_co_u32 v18, vcc_lo, v18, v13
	s_mov_b32 s1, exec_lo
	v_add_co_ci_u32_e64 v19, null, v19, v14, vcc_lo
                                        ; implicit-def: $vgpr13_vgpr14
	v_cmpx_ge_u32_e64 v0, v16
	s_xor_b32 s1, exec_lo, s1
; %bb.77:
	v_not_b32_e32 v13, v0
	v_ashrrev_i32_e32 v14, 31, v13
	v_add_co_u32 v13, vcc_lo, v18, v13
	v_add_co_ci_u32_e64 v14, null, v19, v14, vcc_lo
; %bb.78:
	s_andn2_saveexec_b32 s1, s1
; %bb.79:
	v_add_co_u32 v13, vcc_lo, v15, v0
	v_add_co_ci_u32_e64 v14, null, 0, v17, vcc_lo
; %bb.80:
	s_or_b32 exec_lo, exec_lo, s1
	v_lshlrev_b64 v[13:14], 2, v[13:14]
	s_mov_b32 s1, exec_lo
	v_add_co_u32 v13, vcc_lo, s16, v13
	v_add_co_ci_u32_e64 v14, null, s17, v14, vcc_lo
	s_waitcnt lgkmcnt(6)
	global_store_dword v[13:14], v11, off
                                        ; implicit-def: $vgpr13_vgpr14
	v_cmpx_ge_u32_e64 v43, v16
	s_xor_b32 s1, exec_lo, s1
; %bb.81:
	v_xor_b32_e32 v13, 0xfffffeff, v0
	v_ashrrev_i32_e32 v14, 31, v13
	v_add_co_u32 v13, vcc_lo, v18, v13
	v_add_co_ci_u32_e64 v14, null, v19, v14, vcc_lo
; %bb.82:
	s_andn2_saveexec_b32 s1, s1
; %bb.83:
	v_add_co_u32 v13, vcc_lo, v15, v43
	v_add_co_ci_u32_e64 v14, null, 0, v17, vcc_lo
; %bb.84:
	s_or_b32 exec_lo, exec_lo, s1
	v_lshlrev_b64 v[13:14], 2, v[13:14]
	s_mov_b32 s1, exec_lo
	v_add_co_u32 v13, vcc_lo, s16, v13
	v_add_co_ci_u32_e64 v14, null, s17, v14, vcc_lo
	global_store_dword v[13:14], v12, off
                                        ; implicit-def: $vgpr13_vgpr14
	v_cmpx_ge_u32_e64 v42, v16
	s_xor_b32 s1, exec_lo, s1
; %bb.85:
	v_xor_b32_e32 v13, 0xfffffdff, v0
	v_ashrrev_i32_e32 v14, 31, v13
	v_add_co_u32 v13, vcc_lo, v18, v13
	v_add_co_ci_u32_e64 v14, null, v19, v14, vcc_lo
; %bb.86:
	s_andn2_saveexec_b32 s1, s1
; %bb.87:
	v_add_co_u32 v13, vcc_lo, v15, v42
	v_add_co_ci_u32_e64 v14, null, 0, v17, vcc_lo
; %bb.88:
	s_or_b32 exec_lo, exec_lo, s1
	v_lshlrev_b64 v[13:14], 2, v[13:14]
	s_mov_b32 s1, exec_lo
	v_add_co_u32 v13, vcc_lo, s16, v13
	v_add_co_ci_u32_e64 v14, null, s17, v14, vcc_lo
	s_waitcnt lgkmcnt(5)
	global_store_dword v[13:14], v9, off
                                        ; implicit-def: $vgpr13_vgpr14
	v_cmpx_ge_u32_e64 v41, v16
	s_xor_b32 s1, exec_lo, s1
; %bb.89:
	v_xor_b32_e32 v13, 0xfffffcff, v0
	v_ashrrev_i32_e32 v14, 31, v13
	v_add_co_u32 v13, vcc_lo, v18, v13
	v_add_co_ci_u32_e64 v14, null, v19, v14, vcc_lo
; %bb.90:
	s_andn2_saveexec_b32 s1, s1
; %bb.91:
	v_add_co_u32 v13, vcc_lo, v15, v41
	v_add_co_ci_u32_e64 v14, null, 0, v17, vcc_lo
; %bb.92:
	s_or_b32 exec_lo, exec_lo, s1
	v_lshlrev_b64 v[13:14], 2, v[13:14]
	s_mov_b32 s1, exec_lo
	v_add_co_u32 v13, vcc_lo, s16, v13
	v_add_co_ci_u32_e64 v14, null, s17, v14, vcc_lo
	global_store_dword v[13:14], v10, off
                                        ; implicit-def: $vgpr13_vgpr14
	v_cmpx_ge_u32_e64 v40, v16
	s_xor_b32 s1, exec_lo, s1
; %bb.93:
	v_xor_b32_e32 v13, 0xfffffbff, v0
	;; [unrolled: 41-line block ×6, first 2 shown]
	v_ashrrev_i32_e32 v14, 31, v13
	v_add_co_u32 v13, vcc_lo, v18, v13
	v_add_co_ci_u32_e64 v14, null, v19, v14, vcc_lo
; %bb.126:
	s_andn2_saveexec_b32 s1, s1
; %bb.127:
	v_add_co_u32 v13, vcc_lo, v15, v32
	v_add_co_ci_u32_e64 v14, null, 0, v17, vcc_lo
; %bb.128:
	s_or_b32 exec_lo, exec_lo, s1
	s_mov_b32 s1, -1
.LBB82_129:
	s_and_saveexec_b32 s2, s1
	s_cbranch_execz .LBB82_212
.LBB82_130:
	s_waitcnt lgkmcnt(1)
	v_lshlrev_b64 v[0:1], 2, v[13:14]
	v_add_co_u32 v0, vcc_lo, s16, v0
	v_add_co_ci_u32_e64 v1, null, s17, v1, vcc_lo
	s_waitcnt lgkmcnt(0)
	global_store_dword v[0:1], v20, off
	s_or_b32 exec_lo, exec_lo, s2
	s_and_b32 s0, s0, s14
	s_and_saveexec_b32 s1, s0
	s_cbranch_execnz .LBB82_213
.LBB82_131:
	s_endpgm
.LBB82_132:
	s_mov_b32 s1, 0
                                        ; implicit-def: $vgpr13_vgpr14
	s_cbranch_execz .LBB82_129
; %bb.133:
	s_add_u32 s2, s18, s24
	s_addc_u32 s3, s19, 0
	s_sub_u32 s2, s20, s2
	s_subb_u32 s3, s21, s3
	v_add_co_u32 v13, s2, s2, v16
	v_add_co_ci_u32_e64 v14, null, s3, 0, s2
	s_mov_b32 s2, exec_lo
	v_add_co_u32 v18, vcc_lo, v13, v15
	v_add_co_ci_u32_e64 v19, null, v14, v17, vcc_lo
	v_cmpx_gt_u32_e64 s15, v0
	s_cbranch_execz .LBB82_169
; %bb.134:
	s_mov_b32 s3, exec_lo
                                        ; implicit-def: $vgpr13_vgpr14
	v_cmpx_ge_u32_e64 v0, v16
	s_xor_b32 s3, exec_lo, s3
; %bb.135:
	v_not_b32_e32 v13, v0
	v_ashrrev_i32_e32 v14, 31, v13
	v_add_co_u32 v13, vcc_lo, v18, v13
	v_add_co_ci_u32_e64 v14, null, v19, v14, vcc_lo
; %bb.136:
	s_andn2_saveexec_b32 s3, s3
; %bb.137:
	v_add_co_u32 v13, vcc_lo, v15, v0
	v_add_co_ci_u32_e64 v14, null, 0, v17, vcc_lo
; %bb.138:
	s_or_b32 exec_lo, exec_lo, s3
	v_lshlrev_b64 v[13:14], 2, v[13:14]
	v_add_co_u32 v13, vcc_lo, s16, v13
	v_add_co_ci_u32_e64 v14, null, s17, v14, vcc_lo
	s_waitcnt lgkmcnt(6)
	global_store_dword v[13:14], v11, off
	s_or_b32 exec_lo, exec_lo, s2
	s_mov_b32 s2, exec_lo
	v_cmpx_gt_u32_e64 s15, v43
	s_cbranch_execnz .LBB82_170
.LBB82_139:
	s_or_b32 exec_lo, exec_lo, s2
	s_mov_b32 s2, exec_lo
	v_cmpx_gt_u32_e64 s15, v42
	s_cbranch_execz .LBB82_175
.LBB82_140:
	s_mov_b32 s3, exec_lo
                                        ; implicit-def: $vgpr11_vgpr12
	v_cmpx_ge_u32_e64 v42, v16
	s_xor_b32 s3, exec_lo, s3
	s_cbranch_execz .LBB82_142
; %bb.141:
	s_waitcnt lgkmcnt(6)
	v_xor_b32_e32 v11, 0xfffffdff, v0
                                        ; implicit-def: $vgpr42
	v_ashrrev_i32_e32 v12, 31, v11
	v_add_co_u32 v11, vcc_lo, v18, v11
	v_add_co_ci_u32_e64 v12, null, v19, v12, vcc_lo
.LBB82_142:
	s_andn2_saveexec_b32 s3, s3
	s_cbranch_execz .LBB82_144
; %bb.143:
	s_waitcnt lgkmcnt(6)
	v_add_co_u32 v11, vcc_lo, v15, v42
	v_add_co_ci_u32_e64 v12, null, 0, v17, vcc_lo
.LBB82_144:
	s_or_b32 exec_lo, exec_lo, s3
	s_waitcnt lgkmcnt(6)
	v_lshlrev_b64 v[11:12], 2, v[11:12]
	v_add_co_u32 v11, vcc_lo, s16, v11
	v_add_co_ci_u32_e64 v12, null, s17, v12, vcc_lo
	s_waitcnt lgkmcnt(5)
	global_store_dword v[11:12], v9, off
	s_or_b32 exec_lo, exec_lo, s2
	s_mov_b32 s2, exec_lo
	v_cmpx_gt_u32_e64 s15, v41
	s_cbranch_execnz .LBB82_176
.LBB82_145:
	s_or_b32 exec_lo, exec_lo, s2
	s_mov_b32 s2, exec_lo
	v_cmpx_gt_u32_e64 s15, v40
	s_cbranch_execz .LBB82_181
.LBB82_146:
	s_mov_b32 s3, exec_lo
                                        ; implicit-def: $vgpr9_vgpr10
	v_cmpx_ge_u32_e64 v40, v16
	s_xor_b32 s3, exec_lo, s3
	s_cbranch_execz .LBB82_148
; %bb.147:
	s_waitcnt lgkmcnt(5)
	v_xor_b32_e32 v9, 0xfffffbff, v0
                                        ; implicit-def: $vgpr40
	v_ashrrev_i32_e32 v10, 31, v9
	v_add_co_u32 v9, vcc_lo, v18, v9
	v_add_co_ci_u32_e64 v10, null, v19, v10, vcc_lo
.LBB82_148:
	s_andn2_saveexec_b32 s3, s3
	s_cbranch_execz .LBB82_150
; %bb.149:
	s_waitcnt lgkmcnt(5)
	v_add_co_u32 v9, vcc_lo, v15, v40
	v_add_co_ci_u32_e64 v10, null, 0, v17, vcc_lo
.LBB82_150:
	s_or_b32 exec_lo, exec_lo, s3
	s_waitcnt lgkmcnt(5)
	v_lshlrev_b64 v[9:10], 2, v[9:10]
	v_add_co_u32 v9, vcc_lo, s16, v9
	v_add_co_ci_u32_e64 v10, null, s17, v10, vcc_lo
	s_waitcnt lgkmcnt(4)
	global_store_dword v[9:10], v7, off
	s_or_b32 exec_lo, exec_lo, s2
	s_mov_b32 s2, exec_lo
	v_cmpx_gt_u32_e64 s15, v39
	s_cbranch_execnz .LBB82_182
.LBB82_151:
	s_or_b32 exec_lo, exec_lo, s2
	s_mov_b32 s2, exec_lo
	v_cmpx_gt_u32_e64 s15, v38
	s_cbranch_execz .LBB82_187
.LBB82_152:
	s_mov_b32 s3, exec_lo
                                        ; implicit-def: $vgpr7_vgpr8
	v_cmpx_ge_u32_e64 v38, v16
	s_xor_b32 s3, exec_lo, s3
	s_cbranch_execz .LBB82_154
; %bb.153:
	s_waitcnt lgkmcnt(4)
	v_xor_b32_e32 v7, 0xfffff9ff, v0
                                        ; implicit-def: $vgpr38
	v_ashrrev_i32_e32 v8, 31, v7
	v_add_co_u32 v7, vcc_lo, v18, v7
	v_add_co_ci_u32_e64 v8, null, v19, v8, vcc_lo
.LBB82_154:
	s_andn2_saveexec_b32 s3, s3
	s_cbranch_execz .LBB82_156
; %bb.155:
	s_waitcnt lgkmcnt(4)
	v_add_co_u32 v7, vcc_lo, v15, v38
	v_add_co_ci_u32_e64 v8, null, 0, v17, vcc_lo
.LBB82_156:
	s_or_b32 exec_lo, exec_lo, s3
	s_waitcnt lgkmcnt(4)
	v_lshlrev_b64 v[7:8], 2, v[7:8]
	v_add_co_u32 v7, vcc_lo, s16, v7
	v_add_co_ci_u32_e64 v8, null, s17, v8, vcc_lo
	s_waitcnt lgkmcnt(3)
	global_store_dword v[7:8], v5, off
	s_or_b32 exec_lo, exec_lo, s2
	s_mov_b32 s2, exec_lo
	v_cmpx_gt_u32_e64 s15, v37
	s_cbranch_execnz .LBB82_188
.LBB82_157:
	s_or_b32 exec_lo, exec_lo, s2
	s_mov_b32 s2, exec_lo
	v_cmpx_gt_u32_e64 s15, v36
	s_cbranch_execz .LBB82_193
.LBB82_158:
	s_mov_b32 s3, exec_lo
                                        ; implicit-def: $vgpr5_vgpr6
	v_cmpx_ge_u32_e64 v36, v16
	s_xor_b32 s3, exec_lo, s3
	s_cbranch_execz .LBB82_160
; %bb.159:
	s_waitcnt lgkmcnt(3)
	v_xor_b32_e32 v5, 0xfffff7ff, v0
                                        ; implicit-def: $vgpr36
	v_ashrrev_i32_e32 v6, 31, v5
	v_add_co_u32 v5, vcc_lo, v18, v5
	v_add_co_ci_u32_e64 v6, null, v19, v6, vcc_lo
.LBB82_160:
	s_andn2_saveexec_b32 s3, s3
	s_cbranch_execz .LBB82_162
; %bb.161:
	s_waitcnt lgkmcnt(3)
	v_add_co_u32 v5, vcc_lo, v15, v36
	v_add_co_ci_u32_e64 v6, null, 0, v17, vcc_lo
.LBB82_162:
	s_or_b32 exec_lo, exec_lo, s3
	s_waitcnt lgkmcnt(3)
	v_lshlrev_b64 v[5:6], 2, v[5:6]
	v_add_co_u32 v5, vcc_lo, s16, v5
	v_add_co_ci_u32_e64 v6, null, s17, v6, vcc_lo
	s_waitcnt lgkmcnt(2)
	global_store_dword v[5:6], v3, off
	s_or_b32 exec_lo, exec_lo, s2
	s_mov_b32 s2, exec_lo
	v_cmpx_gt_u32_e64 s15, v35
	s_cbranch_execnz .LBB82_194
.LBB82_163:
	s_or_b32 exec_lo, exec_lo, s2
	s_mov_b32 s2, exec_lo
	v_cmpx_gt_u32_e64 s15, v34
	s_cbranch_execz .LBB82_199
.LBB82_164:
	s_mov_b32 s3, exec_lo
                                        ; implicit-def: $vgpr3_vgpr4
	v_cmpx_ge_u32_e64 v34, v16
	s_xor_b32 s3, exec_lo, s3
	s_cbranch_execz .LBB82_166
; %bb.165:
	s_waitcnt lgkmcnt(2)
	v_xor_b32_e32 v3, 0xfffff5ff, v0
                                        ; implicit-def: $vgpr34
	v_ashrrev_i32_e32 v4, 31, v3
	v_add_co_u32 v3, vcc_lo, v18, v3
	v_add_co_ci_u32_e64 v4, null, v19, v4, vcc_lo
.LBB82_166:
	s_andn2_saveexec_b32 s3, s3
	s_cbranch_execz .LBB82_168
; %bb.167:
	s_waitcnt lgkmcnt(2)
	v_add_co_u32 v3, vcc_lo, v15, v34
	v_add_co_ci_u32_e64 v4, null, 0, v17, vcc_lo
.LBB82_168:
	s_or_b32 exec_lo, exec_lo, s3
	s_waitcnt lgkmcnt(2)
	v_lshlrev_b64 v[3:4], 2, v[3:4]
	v_add_co_u32 v3, vcc_lo, s16, v3
	v_add_co_ci_u32_e64 v4, null, s17, v4, vcc_lo
	s_waitcnt lgkmcnt(1)
	global_store_dword v[3:4], v1, off
	s_or_b32 exec_lo, exec_lo, s2
	s_mov_b32 s2, exec_lo
	v_cmpx_gt_u32_e64 s15, v33
	s_cbranch_execz .LBB82_205
	s_branch .LBB82_200
.LBB82_169:
	s_or_b32 exec_lo, exec_lo, s2
	s_mov_b32 s2, exec_lo
	v_cmpx_gt_u32_e64 s15, v43
	s_cbranch_execz .LBB82_139
.LBB82_170:
	s_mov_b32 s3, exec_lo
                                        ; implicit-def: $vgpr13_vgpr14
	v_cmpx_ge_u32_e64 v43, v16
	s_xor_b32 s3, exec_lo, s3
	s_cbranch_execz .LBB82_172
; %bb.171:
	s_waitcnt lgkmcnt(6)
	v_xor_b32_e32 v11, 0xfffffeff, v0
                                        ; implicit-def: $vgpr43
	v_ashrrev_i32_e32 v14, 31, v11
	v_add_co_u32 v13, vcc_lo, v18, v11
	v_add_co_ci_u32_e64 v14, null, v19, v14, vcc_lo
.LBB82_172:
	s_andn2_saveexec_b32 s3, s3
; %bb.173:
	v_add_co_u32 v13, vcc_lo, v15, v43
	v_add_co_ci_u32_e64 v14, null, 0, v17, vcc_lo
; %bb.174:
	s_or_b32 exec_lo, exec_lo, s3
	v_lshlrev_b64 v[13:14], 2, v[13:14]
	v_add_co_u32 v13, vcc_lo, s16, v13
	v_add_co_ci_u32_e64 v14, null, s17, v14, vcc_lo
	s_waitcnt lgkmcnt(6)
	global_store_dword v[13:14], v12, off
	s_or_b32 exec_lo, exec_lo, s2
	s_mov_b32 s2, exec_lo
	v_cmpx_gt_u32_e64 s15, v42
	s_cbranch_execnz .LBB82_140
.LBB82_175:
	s_or_b32 exec_lo, exec_lo, s2
	s_mov_b32 s2, exec_lo
	v_cmpx_gt_u32_e64 s15, v41
	s_cbranch_execz .LBB82_145
.LBB82_176:
	s_mov_b32 s3, exec_lo
                                        ; implicit-def: $vgpr11_vgpr12
	v_cmpx_ge_u32_e64 v41, v16
	s_xor_b32 s3, exec_lo, s3
	s_cbranch_execz .LBB82_178
; %bb.177:
	s_waitcnt lgkmcnt(5)
	v_xor_b32_e32 v9, 0xfffffcff, v0
                                        ; implicit-def: $vgpr41
	v_ashrrev_i32_e32 v12, 31, v9
	v_add_co_u32 v11, vcc_lo, v18, v9
	v_add_co_ci_u32_e64 v12, null, v19, v12, vcc_lo
.LBB82_178:
	s_andn2_saveexec_b32 s3, s3
	s_cbranch_execz .LBB82_180
; %bb.179:
	s_waitcnt lgkmcnt(6)
	v_add_co_u32 v11, vcc_lo, v15, v41
	v_add_co_ci_u32_e64 v12, null, 0, v17, vcc_lo
.LBB82_180:
	s_or_b32 exec_lo, exec_lo, s3
	s_waitcnt lgkmcnt(6)
	v_lshlrev_b64 v[11:12], 2, v[11:12]
	v_add_co_u32 v11, vcc_lo, s16, v11
	v_add_co_ci_u32_e64 v12, null, s17, v12, vcc_lo
	s_waitcnt lgkmcnt(5)
	global_store_dword v[11:12], v10, off
	s_or_b32 exec_lo, exec_lo, s2
	s_mov_b32 s2, exec_lo
	v_cmpx_gt_u32_e64 s15, v40
	s_cbranch_execnz .LBB82_146
.LBB82_181:
	s_or_b32 exec_lo, exec_lo, s2
	s_mov_b32 s2, exec_lo
	v_cmpx_gt_u32_e64 s15, v39
	s_cbranch_execz .LBB82_151
.LBB82_182:
	s_mov_b32 s3, exec_lo
                                        ; implicit-def: $vgpr9_vgpr10
	v_cmpx_ge_u32_e64 v39, v16
	s_xor_b32 s3, exec_lo, s3
	s_cbranch_execz .LBB82_184
; %bb.183:
	s_waitcnt lgkmcnt(4)
	v_xor_b32_e32 v7, 0xfffffaff, v0
                                        ; implicit-def: $vgpr39
	v_ashrrev_i32_e32 v10, 31, v7
	v_add_co_u32 v9, vcc_lo, v18, v7
	v_add_co_ci_u32_e64 v10, null, v19, v10, vcc_lo
.LBB82_184:
	s_andn2_saveexec_b32 s3, s3
	s_cbranch_execz .LBB82_186
; %bb.185:
	s_waitcnt lgkmcnt(5)
	v_add_co_u32 v9, vcc_lo, v15, v39
	v_add_co_ci_u32_e64 v10, null, 0, v17, vcc_lo
.LBB82_186:
	s_or_b32 exec_lo, exec_lo, s3
	s_waitcnt lgkmcnt(5)
	v_lshlrev_b64 v[9:10], 2, v[9:10]
	v_add_co_u32 v9, vcc_lo, s16, v9
	v_add_co_ci_u32_e64 v10, null, s17, v10, vcc_lo
	s_waitcnt lgkmcnt(4)
	global_store_dword v[9:10], v8, off
	s_or_b32 exec_lo, exec_lo, s2
	s_mov_b32 s2, exec_lo
	v_cmpx_gt_u32_e64 s15, v38
	s_cbranch_execnz .LBB82_152
.LBB82_187:
	s_or_b32 exec_lo, exec_lo, s2
	s_mov_b32 s2, exec_lo
	v_cmpx_gt_u32_e64 s15, v37
	s_cbranch_execz .LBB82_157
.LBB82_188:
	s_mov_b32 s3, exec_lo
                                        ; implicit-def: $vgpr7_vgpr8
	v_cmpx_ge_u32_e64 v37, v16
	s_xor_b32 s3, exec_lo, s3
	s_cbranch_execz .LBB82_190
; %bb.189:
	s_waitcnt lgkmcnt(3)
	v_xor_b32_e32 v5, 0xfffff8ff, v0
                                        ; implicit-def: $vgpr37
	v_ashrrev_i32_e32 v8, 31, v5
	v_add_co_u32 v7, vcc_lo, v18, v5
	v_add_co_ci_u32_e64 v8, null, v19, v8, vcc_lo
.LBB82_190:
	s_andn2_saveexec_b32 s3, s3
	s_cbranch_execz .LBB82_192
; %bb.191:
	s_waitcnt lgkmcnt(4)
	v_add_co_u32 v7, vcc_lo, v15, v37
	v_add_co_ci_u32_e64 v8, null, 0, v17, vcc_lo
.LBB82_192:
	s_or_b32 exec_lo, exec_lo, s3
	s_waitcnt lgkmcnt(4)
	v_lshlrev_b64 v[7:8], 2, v[7:8]
	v_add_co_u32 v7, vcc_lo, s16, v7
	v_add_co_ci_u32_e64 v8, null, s17, v8, vcc_lo
	s_waitcnt lgkmcnt(3)
	global_store_dword v[7:8], v6, off
	s_or_b32 exec_lo, exec_lo, s2
	s_mov_b32 s2, exec_lo
	v_cmpx_gt_u32_e64 s15, v36
	s_cbranch_execnz .LBB82_158
.LBB82_193:
	s_or_b32 exec_lo, exec_lo, s2
	s_mov_b32 s2, exec_lo
	v_cmpx_gt_u32_e64 s15, v35
	s_cbranch_execz .LBB82_163
.LBB82_194:
	s_mov_b32 s3, exec_lo
                                        ; implicit-def: $vgpr5_vgpr6
	v_cmpx_ge_u32_e64 v35, v16
	s_xor_b32 s3, exec_lo, s3
	s_cbranch_execz .LBB82_196
; %bb.195:
	s_waitcnt lgkmcnt(2)
	v_xor_b32_e32 v3, 0xfffff6ff, v0
                                        ; implicit-def: $vgpr35
	v_ashrrev_i32_e32 v6, 31, v3
	v_add_co_u32 v5, vcc_lo, v18, v3
	v_add_co_ci_u32_e64 v6, null, v19, v6, vcc_lo
.LBB82_196:
	s_andn2_saveexec_b32 s3, s3
	s_cbranch_execz .LBB82_198
; %bb.197:
	s_waitcnt lgkmcnt(3)
	v_add_co_u32 v5, vcc_lo, v15, v35
	v_add_co_ci_u32_e64 v6, null, 0, v17, vcc_lo
.LBB82_198:
	s_or_b32 exec_lo, exec_lo, s3
	s_waitcnt lgkmcnt(3)
	v_lshlrev_b64 v[5:6], 2, v[5:6]
	v_add_co_u32 v5, vcc_lo, s16, v5
	v_add_co_ci_u32_e64 v6, null, s17, v6, vcc_lo
	s_waitcnt lgkmcnt(2)
	global_store_dword v[5:6], v4, off
	s_or_b32 exec_lo, exec_lo, s2
	s_mov_b32 s2, exec_lo
	v_cmpx_gt_u32_e64 s15, v34
	s_cbranch_execnz .LBB82_164
.LBB82_199:
	s_or_b32 exec_lo, exec_lo, s2
	s_mov_b32 s2, exec_lo
	v_cmpx_gt_u32_e64 s15, v33
	s_cbranch_execz .LBB82_205
.LBB82_200:
	s_mov_b32 s3, exec_lo
                                        ; implicit-def: $vgpr3_vgpr4
	v_cmpx_ge_u32_e64 v33, v16
	s_xor_b32 s3, exec_lo, s3
	s_cbranch_execz .LBB82_202
; %bb.201:
	s_waitcnt lgkmcnt(1)
	v_xor_b32_e32 v1, 0xfffff4ff, v0
                                        ; implicit-def: $vgpr33
	v_ashrrev_i32_e32 v4, 31, v1
	v_add_co_u32 v3, vcc_lo, v18, v1
	v_add_co_ci_u32_e64 v4, null, v19, v4, vcc_lo
.LBB82_202:
	s_andn2_saveexec_b32 s3, s3
	s_cbranch_execz .LBB82_204
; %bb.203:
	s_waitcnt lgkmcnt(2)
	v_add_co_u32 v3, vcc_lo, v15, v33
	v_add_co_ci_u32_e64 v4, null, 0, v17, vcc_lo
.LBB82_204:
	s_or_b32 exec_lo, exec_lo, s3
	s_waitcnt lgkmcnt(2)
	v_lshlrev_b64 v[3:4], 2, v[3:4]
	v_add_co_u32 v3, vcc_lo, s16, v3
	v_add_co_ci_u32_e64 v4, null, s17, v4, vcc_lo
	s_waitcnt lgkmcnt(1)
	global_store_dword v[3:4], v2, off
.LBB82_205:
	s_or_b32 exec_lo, exec_lo, s2
	s_mov_b32 s2, exec_lo
                                        ; implicit-def: $vgpr13_vgpr14
	v_cmpx_gt_u32_e64 s15, v32
	s_cbranch_execz .LBB82_211
; %bb.206:
	s_mov_b32 s3, exec_lo
                                        ; implicit-def: $vgpr13_vgpr14
	v_cmpx_ge_u32_e64 v32, v16
	s_xor_b32 s3, exec_lo, s3
	s_cbranch_execz .LBB82_208
; %bb.207:
	v_xor_b32_e32 v0, 0xfffff3ff, v0
                                        ; implicit-def: $vgpr32
	s_waitcnt lgkmcnt(1)
	v_ashrrev_i32_e32 v1, 31, v0
	v_add_co_u32 v13, vcc_lo, v18, v0
	v_add_co_ci_u32_e64 v14, null, v19, v1, vcc_lo
.LBB82_208:
	s_andn2_saveexec_b32 s3, s3
; %bb.209:
	v_add_co_u32 v13, vcc_lo, v15, v32
	v_add_co_ci_u32_e64 v14, null, 0, v17, vcc_lo
; %bb.210:
	s_or_b32 exec_lo, exec_lo, s3
	s_or_b32 s1, s1, exec_lo
.LBB82_211:
	s_or_b32 exec_lo, exec_lo, s2
	s_and_saveexec_b32 s2, s1
	s_cbranch_execnz .LBB82_130
.LBB82_212:
	s_or_b32 exec_lo, exec_lo, s2
	s_and_b32 s0, s0, s14
	s_and_saveexec_b32 s1, s0
	s_cbranch_execz .LBB82_131
.LBB82_213:
	v_add_co_u32 v0, vcc_lo, v15, v16
	s_waitcnt lgkmcnt(1)
	v_mov_b32_e32 v2, 0
	v_add_co_ci_u32_e64 v1, null, 0, v17, vcc_lo
	global_store_dwordx2 v2, v[0:1], s[12:13]
	s_endpgm
	.section	.rodata,"a",@progbits
	.p2align	6, 0x0
	.amdhsa_kernel _ZN7rocprim17ROCPRIM_400000_NS6detail17trampoline_kernelINS0_13select_configILj256ELj13ELNS0_17block_load_methodE3ELS4_3ELS4_3ELNS0_20block_scan_algorithmE0ELj4294967295EEENS1_25partition_config_selectorILNS1_17partition_subalgoE3EjNS0_10empty_typeEbEEZZNS1_14partition_implILS8_3ELb0ES6_jNS0_17counting_iteratorIjlEEPS9_SE_NS0_5tupleIJPjSE_EEENSF_IJSE_SE_EEES9_SG_JZNS1_25segmented_radix_sort_implINS0_14default_configELb1EPKhPhPKlPlN2at6native12_GLOBAL__N_18offset_tEEE10hipError_tPvRmT1_PNSt15iterator_traitsISY_E10value_typeET2_T3_PNSZ_IS14_E10value_typeET4_jRbjT5_S1A_jjP12ihipStream_tbEUljE_EEESV_SW_SX_S14_S18_S1A_T6_T7_T9_mT8_S1C_bDpT10_ENKUlT_T0_E_clISt17integral_constantIbLb0EES1O_IbLb1EEEEDaS1K_S1L_EUlS1K_E_NS1_11comp_targetILNS1_3genE8ELNS1_11target_archE1030ELNS1_3gpuE2ELNS1_3repE0EEENS1_30default_config_static_selectorELNS0_4arch9wavefront6targetE0EEEvSY_
		.amdhsa_group_segment_fixed_size 13320
		.amdhsa_private_segment_fixed_size 0
		.amdhsa_kernarg_size 152
		.amdhsa_user_sgpr_count 6
		.amdhsa_user_sgpr_private_segment_buffer 1
		.amdhsa_user_sgpr_dispatch_ptr 0
		.amdhsa_user_sgpr_queue_ptr 0
		.amdhsa_user_sgpr_kernarg_segment_ptr 1
		.amdhsa_user_sgpr_dispatch_id 0
		.amdhsa_user_sgpr_flat_scratch_init 0
		.amdhsa_user_sgpr_private_segment_size 0
		.amdhsa_wavefront_size32 1
		.amdhsa_uses_dynamic_stack 0
		.amdhsa_system_sgpr_private_segment_wavefront_offset 0
		.amdhsa_system_sgpr_workgroup_id_x 1
		.amdhsa_system_sgpr_workgroup_id_y 0
		.amdhsa_system_sgpr_workgroup_id_z 0
		.amdhsa_system_sgpr_workgroup_info 0
		.amdhsa_system_vgpr_workitem_id 0
		.amdhsa_next_free_vgpr 71
		.amdhsa_next_free_sgpr 26
		.amdhsa_reserve_vcc 1
		.amdhsa_reserve_flat_scratch 0
		.amdhsa_float_round_mode_32 0
		.amdhsa_float_round_mode_16_64 0
		.amdhsa_float_denorm_mode_32 3
		.amdhsa_float_denorm_mode_16_64 3
		.amdhsa_dx10_clamp 1
		.amdhsa_ieee_mode 1
		.amdhsa_fp16_overflow 0
		.amdhsa_workgroup_processor_mode 1
		.amdhsa_memory_ordered 1
		.amdhsa_forward_progress 1
		.amdhsa_shared_vgpr_count 0
		.amdhsa_exception_fp_ieee_invalid_op 0
		.amdhsa_exception_fp_denorm_src 0
		.amdhsa_exception_fp_ieee_div_zero 0
		.amdhsa_exception_fp_ieee_overflow 0
		.amdhsa_exception_fp_ieee_underflow 0
		.amdhsa_exception_fp_ieee_inexact 0
		.amdhsa_exception_int_div_zero 0
	.end_amdhsa_kernel
	.section	.text._ZN7rocprim17ROCPRIM_400000_NS6detail17trampoline_kernelINS0_13select_configILj256ELj13ELNS0_17block_load_methodE3ELS4_3ELS4_3ELNS0_20block_scan_algorithmE0ELj4294967295EEENS1_25partition_config_selectorILNS1_17partition_subalgoE3EjNS0_10empty_typeEbEEZZNS1_14partition_implILS8_3ELb0ES6_jNS0_17counting_iteratorIjlEEPS9_SE_NS0_5tupleIJPjSE_EEENSF_IJSE_SE_EEES9_SG_JZNS1_25segmented_radix_sort_implINS0_14default_configELb1EPKhPhPKlPlN2at6native12_GLOBAL__N_18offset_tEEE10hipError_tPvRmT1_PNSt15iterator_traitsISY_E10value_typeET2_T3_PNSZ_IS14_E10value_typeET4_jRbjT5_S1A_jjP12ihipStream_tbEUljE_EEESV_SW_SX_S14_S18_S1A_T6_T7_T9_mT8_S1C_bDpT10_ENKUlT_T0_E_clISt17integral_constantIbLb0EES1O_IbLb1EEEEDaS1K_S1L_EUlS1K_E_NS1_11comp_targetILNS1_3genE8ELNS1_11target_archE1030ELNS1_3gpuE2ELNS1_3repE0EEENS1_30default_config_static_selectorELNS0_4arch9wavefront6targetE0EEEvSY_,"axG",@progbits,_ZN7rocprim17ROCPRIM_400000_NS6detail17trampoline_kernelINS0_13select_configILj256ELj13ELNS0_17block_load_methodE3ELS4_3ELS4_3ELNS0_20block_scan_algorithmE0ELj4294967295EEENS1_25partition_config_selectorILNS1_17partition_subalgoE3EjNS0_10empty_typeEbEEZZNS1_14partition_implILS8_3ELb0ES6_jNS0_17counting_iteratorIjlEEPS9_SE_NS0_5tupleIJPjSE_EEENSF_IJSE_SE_EEES9_SG_JZNS1_25segmented_radix_sort_implINS0_14default_configELb1EPKhPhPKlPlN2at6native12_GLOBAL__N_18offset_tEEE10hipError_tPvRmT1_PNSt15iterator_traitsISY_E10value_typeET2_T3_PNSZ_IS14_E10value_typeET4_jRbjT5_S1A_jjP12ihipStream_tbEUljE_EEESV_SW_SX_S14_S18_S1A_T6_T7_T9_mT8_S1C_bDpT10_ENKUlT_T0_E_clISt17integral_constantIbLb0EES1O_IbLb1EEEEDaS1K_S1L_EUlS1K_E_NS1_11comp_targetILNS1_3genE8ELNS1_11target_archE1030ELNS1_3gpuE2ELNS1_3repE0EEENS1_30default_config_static_selectorELNS0_4arch9wavefront6targetE0EEEvSY_,comdat
.Lfunc_end82:
	.size	_ZN7rocprim17ROCPRIM_400000_NS6detail17trampoline_kernelINS0_13select_configILj256ELj13ELNS0_17block_load_methodE3ELS4_3ELS4_3ELNS0_20block_scan_algorithmE0ELj4294967295EEENS1_25partition_config_selectorILNS1_17partition_subalgoE3EjNS0_10empty_typeEbEEZZNS1_14partition_implILS8_3ELb0ES6_jNS0_17counting_iteratorIjlEEPS9_SE_NS0_5tupleIJPjSE_EEENSF_IJSE_SE_EEES9_SG_JZNS1_25segmented_radix_sort_implINS0_14default_configELb1EPKhPhPKlPlN2at6native12_GLOBAL__N_18offset_tEEE10hipError_tPvRmT1_PNSt15iterator_traitsISY_E10value_typeET2_T3_PNSZ_IS14_E10value_typeET4_jRbjT5_S1A_jjP12ihipStream_tbEUljE_EEESV_SW_SX_S14_S18_S1A_T6_T7_T9_mT8_S1C_bDpT10_ENKUlT_T0_E_clISt17integral_constantIbLb0EES1O_IbLb1EEEEDaS1K_S1L_EUlS1K_E_NS1_11comp_targetILNS1_3genE8ELNS1_11target_archE1030ELNS1_3gpuE2ELNS1_3repE0EEENS1_30default_config_static_selectorELNS0_4arch9wavefront6targetE0EEEvSY_, .Lfunc_end82-_ZN7rocprim17ROCPRIM_400000_NS6detail17trampoline_kernelINS0_13select_configILj256ELj13ELNS0_17block_load_methodE3ELS4_3ELS4_3ELNS0_20block_scan_algorithmE0ELj4294967295EEENS1_25partition_config_selectorILNS1_17partition_subalgoE3EjNS0_10empty_typeEbEEZZNS1_14partition_implILS8_3ELb0ES6_jNS0_17counting_iteratorIjlEEPS9_SE_NS0_5tupleIJPjSE_EEENSF_IJSE_SE_EEES9_SG_JZNS1_25segmented_radix_sort_implINS0_14default_configELb1EPKhPhPKlPlN2at6native12_GLOBAL__N_18offset_tEEE10hipError_tPvRmT1_PNSt15iterator_traitsISY_E10value_typeET2_T3_PNSZ_IS14_E10value_typeET4_jRbjT5_S1A_jjP12ihipStream_tbEUljE_EEESV_SW_SX_S14_S18_S1A_T6_T7_T9_mT8_S1C_bDpT10_ENKUlT_T0_E_clISt17integral_constantIbLb0EES1O_IbLb1EEEEDaS1K_S1L_EUlS1K_E_NS1_11comp_targetILNS1_3genE8ELNS1_11target_archE1030ELNS1_3gpuE2ELNS1_3repE0EEENS1_30default_config_static_selectorELNS0_4arch9wavefront6targetE0EEEvSY_
                                        ; -- End function
	.set _ZN7rocprim17ROCPRIM_400000_NS6detail17trampoline_kernelINS0_13select_configILj256ELj13ELNS0_17block_load_methodE3ELS4_3ELS4_3ELNS0_20block_scan_algorithmE0ELj4294967295EEENS1_25partition_config_selectorILNS1_17partition_subalgoE3EjNS0_10empty_typeEbEEZZNS1_14partition_implILS8_3ELb0ES6_jNS0_17counting_iteratorIjlEEPS9_SE_NS0_5tupleIJPjSE_EEENSF_IJSE_SE_EEES9_SG_JZNS1_25segmented_radix_sort_implINS0_14default_configELb1EPKhPhPKlPlN2at6native12_GLOBAL__N_18offset_tEEE10hipError_tPvRmT1_PNSt15iterator_traitsISY_E10value_typeET2_T3_PNSZ_IS14_E10value_typeET4_jRbjT5_S1A_jjP12ihipStream_tbEUljE_EEESV_SW_SX_S14_S18_S1A_T6_T7_T9_mT8_S1C_bDpT10_ENKUlT_T0_E_clISt17integral_constantIbLb0EES1O_IbLb1EEEEDaS1K_S1L_EUlS1K_E_NS1_11comp_targetILNS1_3genE8ELNS1_11target_archE1030ELNS1_3gpuE2ELNS1_3repE0EEENS1_30default_config_static_selectorELNS0_4arch9wavefront6targetE0EEEvSY_.num_vgpr, 71
	.set _ZN7rocprim17ROCPRIM_400000_NS6detail17trampoline_kernelINS0_13select_configILj256ELj13ELNS0_17block_load_methodE3ELS4_3ELS4_3ELNS0_20block_scan_algorithmE0ELj4294967295EEENS1_25partition_config_selectorILNS1_17partition_subalgoE3EjNS0_10empty_typeEbEEZZNS1_14partition_implILS8_3ELb0ES6_jNS0_17counting_iteratorIjlEEPS9_SE_NS0_5tupleIJPjSE_EEENSF_IJSE_SE_EEES9_SG_JZNS1_25segmented_radix_sort_implINS0_14default_configELb1EPKhPhPKlPlN2at6native12_GLOBAL__N_18offset_tEEE10hipError_tPvRmT1_PNSt15iterator_traitsISY_E10value_typeET2_T3_PNSZ_IS14_E10value_typeET4_jRbjT5_S1A_jjP12ihipStream_tbEUljE_EEESV_SW_SX_S14_S18_S1A_T6_T7_T9_mT8_S1C_bDpT10_ENKUlT_T0_E_clISt17integral_constantIbLb0EES1O_IbLb1EEEEDaS1K_S1L_EUlS1K_E_NS1_11comp_targetILNS1_3genE8ELNS1_11target_archE1030ELNS1_3gpuE2ELNS1_3repE0EEENS1_30default_config_static_selectorELNS0_4arch9wavefront6targetE0EEEvSY_.num_agpr, 0
	.set _ZN7rocprim17ROCPRIM_400000_NS6detail17trampoline_kernelINS0_13select_configILj256ELj13ELNS0_17block_load_methodE3ELS4_3ELS4_3ELNS0_20block_scan_algorithmE0ELj4294967295EEENS1_25partition_config_selectorILNS1_17partition_subalgoE3EjNS0_10empty_typeEbEEZZNS1_14partition_implILS8_3ELb0ES6_jNS0_17counting_iteratorIjlEEPS9_SE_NS0_5tupleIJPjSE_EEENSF_IJSE_SE_EEES9_SG_JZNS1_25segmented_radix_sort_implINS0_14default_configELb1EPKhPhPKlPlN2at6native12_GLOBAL__N_18offset_tEEE10hipError_tPvRmT1_PNSt15iterator_traitsISY_E10value_typeET2_T3_PNSZ_IS14_E10value_typeET4_jRbjT5_S1A_jjP12ihipStream_tbEUljE_EEESV_SW_SX_S14_S18_S1A_T6_T7_T9_mT8_S1C_bDpT10_ENKUlT_T0_E_clISt17integral_constantIbLb0EES1O_IbLb1EEEEDaS1K_S1L_EUlS1K_E_NS1_11comp_targetILNS1_3genE8ELNS1_11target_archE1030ELNS1_3gpuE2ELNS1_3repE0EEENS1_30default_config_static_selectorELNS0_4arch9wavefront6targetE0EEEvSY_.numbered_sgpr, 26
	.set _ZN7rocprim17ROCPRIM_400000_NS6detail17trampoline_kernelINS0_13select_configILj256ELj13ELNS0_17block_load_methodE3ELS4_3ELS4_3ELNS0_20block_scan_algorithmE0ELj4294967295EEENS1_25partition_config_selectorILNS1_17partition_subalgoE3EjNS0_10empty_typeEbEEZZNS1_14partition_implILS8_3ELb0ES6_jNS0_17counting_iteratorIjlEEPS9_SE_NS0_5tupleIJPjSE_EEENSF_IJSE_SE_EEES9_SG_JZNS1_25segmented_radix_sort_implINS0_14default_configELb1EPKhPhPKlPlN2at6native12_GLOBAL__N_18offset_tEEE10hipError_tPvRmT1_PNSt15iterator_traitsISY_E10value_typeET2_T3_PNSZ_IS14_E10value_typeET4_jRbjT5_S1A_jjP12ihipStream_tbEUljE_EEESV_SW_SX_S14_S18_S1A_T6_T7_T9_mT8_S1C_bDpT10_ENKUlT_T0_E_clISt17integral_constantIbLb0EES1O_IbLb1EEEEDaS1K_S1L_EUlS1K_E_NS1_11comp_targetILNS1_3genE8ELNS1_11target_archE1030ELNS1_3gpuE2ELNS1_3repE0EEENS1_30default_config_static_selectorELNS0_4arch9wavefront6targetE0EEEvSY_.num_named_barrier, 0
	.set _ZN7rocprim17ROCPRIM_400000_NS6detail17trampoline_kernelINS0_13select_configILj256ELj13ELNS0_17block_load_methodE3ELS4_3ELS4_3ELNS0_20block_scan_algorithmE0ELj4294967295EEENS1_25partition_config_selectorILNS1_17partition_subalgoE3EjNS0_10empty_typeEbEEZZNS1_14partition_implILS8_3ELb0ES6_jNS0_17counting_iteratorIjlEEPS9_SE_NS0_5tupleIJPjSE_EEENSF_IJSE_SE_EEES9_SG_JZNS1_25segmented_radix_sort_implINS0_14default_configELb1EPKhPhPKlPlN2at6native12_GLOBAL__N_18offset_tEEE10hipError_tPvRmT1_PNSt15iterator_traitsISY_E10value_typeET2_T3_PNSZ_IS14_E10value_typeET4_jRbjT5_S1A_jjP12ihipStream_tbEUljE_EEESV_SW_SX_S14_S18_S1A_T6_T7_T9_mT8_S1C_bDpT10_ENKUlT_T0_E_clISt17integral_constantIbLb0EES1O_IbLb1EEEEDaS1K_S1L_EUlS1K_E_NS1_11comp_targetILNS1_3genE8ELNS1_11target_archE1030ELNS1_3gpuE2ELNS1_3repE0EEENS1_30default_config_static_selectorELNS0_4arch9wavefront6targetE0EEEvSY_.private_seg_size, 0
	.set _ZN7rocprim17ROCPRIM_400000_NS6detail17trampoline_kernelINS0_13select_configILj256ELj13ELNS0_17block_load_methodE3ELS4_3ELS4_3ELNS0_20block_scan_algorithmE0ELj4294967295EEENS1_25partition_config_selectorILNS1_17partition_subalgoE3EjNS0_10empty_typeEbEEZZNS1_14partition_implILS8_3ELb0ES6_jNS0_17counting_iteratorIjlEEPS9_SE_NS0_5tupleIJPjSE_EEENSF_IJSE_SE_EEES9_SG_JZNS1_25segmented_radix_sort_implINS0_14default_configELb1EPKhPhPKlPlN2at6native12_GLOBAL__N_18offset_tEEE10hipError_tPvRmT1_PNSt15iterator_traitsISY_E10value_typeET2_T3_PNSZ_IS14_E10value_typeET4_jRbjT5_S1A_jjP12ihipStream_tbEUljE_EEESV_SW_SX_S14_S18_S1A_T6_T7_T9_mT8_S1C_bDpT10_ENKUlT_T0_E_clISt17integral_constantIbLb0EES1O_IbLb1EEEEDaS1K_S1L_EUlS1K_E_NS1_11comp_targetILNS1_3genE8ELNS1_11target_archE1030ELNS1_3gpuE2ELNS1_3repE0EEENS1_30default_config_static_selectorELNS0_4arch9wavefront6targetE0EEEvSY_.uses_vcc, 1
	.set _ZN7rocprim17ROCPRIM_400000_NS6detail17trampoline_kernelINS0_13select_configILj256ELj13ELNS0_17block_load_methodE3ELS4_3ELS4_3ELNS0_20block_scan_algorithmE0ELj4294967295EEENS1_25partition_config_selectorILNS1_17partition_subalgoE3EjNS0_10empty_typeEbEEZZNS1_14partition_implILS8_3ELb0ES6_jNS0_17counting_iteratorIjlEEPS9_SE_NS0_5tupleIJPjSE_EEENSF_IJSE_SE_EEES9_SG_JZNS1_25segmented_radix_sort_implINS0_14default_configELb1EPKhPhPKlPlN2at6native12_GLOBAL__N_18offset_tEEE10hipError_tPvRmT1_PNSt15iterator_traitsISY_E10value_typeET2_T3_PNSZ_IS14_E10value_typeET4_jRbjT5_S1A_jjP12ihipStream_tbEUljE_EEESV_SW_SX_S14_S18_S1A_T6_T7_T9_mT8_S1C_bDpT10_ENKUlT_T0_E_clISt17integral_constantIbLb0EES1O_IbLb1EEEEDaS1K_S1L_EUlS1K_E_NS1_11comp_targetILNS1_3genE8ELNS1_11target_archE1030ELNS1_3gpuE2ELNS1_3repE0EEENS1_30default_config_static_selectorELNS0_4arch9wavefront6targetE0EEEvSY_.uses_flat_scratch, 0
	.set _ZN7rocprim17ROCPRIM_400000_NS6detail17trampoline_kernelINS0_13select_configILj256ELj13ELNS0_17block_load_methodE3ELS4_3ELS4_3ELNS0_20block_scan_algorithmE0ELj4294967295EEENS1_25partition_config_selectorILNS1_17partition_subalgoE3EjNS0_10empty_typeEbEEZZNS1_14partition_implILS8_3ELb0ES6_jNS0_17counting_iteratorIjlEEPS9_SE_NS0_5tupleIJPjSE_EEENSF_IJSE_SE_EEES9_SG_JZNS1_25segmented_radix_sort_implINS0_14default_configELb1EPKhPhPKlPlN2at6native12_GLOBAL__N_18offset_tEEE10hipError_tPvRmT1_PNSt15iterator_traitsISY_E10value_typeET2_T3_PNSZ_IS14_E10value_typeET4_jRbjT5_S1A_jjP12ihipStream_tbEUljE_EEESV_SW_SX_S14_S18_S1A_T6_T7_T9_mT8_S1C_bDpT10_ENKUlT_T0_E_clISt17integral_constantIbLb0EES1O_IbLb1EEEEDaS1K_S1L_EUlS1K_E_NS1_11comp_targetILNS1_3genE8ELNS1_11target_archE1030ELNS1_3gpuE2ELNS1_3repE0EEENS1_30default_config_static_selectorELNS0_4arch9wavefront6targetE0EEEvSY_.has_dyn_sized_stack, 0
	.set _ZN7rocprim17ROCPRIM_400000_NS6detail17trampoline_kernelINS0_13select_configILj256ELj13ELNS0_17block_load_methodE3ELS4_3ELS4_3ELNS0_20block_scan_algorithmE0ELj4294967295EEENS1_25partition_config_selectorILNS1_17partition_subalgoE3EjNS0_10empty_typeEbEEZZNS1_14partition_implILS8_3ELb0ES6_jNS0_17counting_iteratorIjlEEPS9_SE_NS0_5tupleIJPjSE_EEENSF_IJSE_SE_EEES9_SG_JZNS1_25segmented_radix_sort_implINS0_14default_configELb1EPKhPhPKlPlN2at6native12_GLOBAL__N_18offset_tEEE10hipError_tPvRmT1_PNSt15iterator_traitsISY_E10value_typeET2_T3_PNSZ_IS14_E10value_typeET4_jRbjT5_S1A_jjP12ihipStream_tbEUljE_EEESV_SW_SX_S14_S18_S1A_T6_T7_T9_mT8_S1C_bDpT10_ENKUlT_T0_E_clISt17integral_constantIbLb0EES1O_IbLb1EEEEDaS1K_S1L_EUlS1K_E_NS1_11comp_targetILNS1_3genE8ELNS1_11target_archE1030ELNS1_3gpuE2ELNS1_3repE0EEENS1_30default_config_static_selectorELNS0_4arch9wavefront6targetE0EEEvSY_.has_recursion, 0
	.set _ZN7rocprim17ROCPRIM_400000_NS6detail17trampoline_kernelINS0_13select_configILj256ELj13ELNS0_17block_load_methodE3ELS4_3ELS4_3ELNS0_20block_scan_algorithmE0ELj4294967295EEENS1_25partition_config_selectorILNS1_17partition_subalgoE3EjNS0_10empty_typeEbEEZZNS1_14partition_implILS8_3ELb0ES6_jNS0_17counting_iteratorIjlEEPS9_SE_NS0_5tupleIJPjSE_EEENSF_IJSE_SE_EEES9_SG_JZNS1_25segmented_radix_sort_implINS0_14default_configELb1EPKhPhPKlPlN2at6native12_GLOBAL__N_18offset_tEEE10hipError_tPvRmT1_PNSt15iterator_traitsISY_E10value_typeET2_T3_PNSZ_IS14_E10value_typeET4_jRbjT5_S1A_jjP12ihipStream_tbEUljE_EEESV_SW_SX_S14_S18_S1A_T6_T7_T9_mT8_S1C_bDpT10_ENKUlT_T0_E_clISt17integral_constantIbLb0EES1O_IbLb1EEEEDaS1K_S1L_EUlS1K_E_NS1_11comp_targetILNS1_3genE8ELNS1_11target_archE1030ELNS1_3gpuE2ELNS1_3repE0EEENS1_30default_config_static_selectorELNS0_4arch9wavefront6targetE0EEEvSY_.has_indirect_call, 0
	.section	.AMDGPU.csdata,"",@progbits
; Kernel info:
; codeLenInByte = 8704
; TotalNumSgprs: 28
; NumVgprs: 71
; ScratchSize: 0
; MemoryBound: 0
; FloatMode: 240
; IeeeMode: 1
; LDSByteSize: 13320 bytes/workgroup (compile time only)
; SGPRBlocks: 0
; VGPRBlocks: 8
; NumSGPRsForWavesPerEU: 28
; NumVGPRsForWavesPerEU: 71
; Occupancy: 12
; WaveLimiterHint : 0
; COMPUTE_PGM_RSRC2:SCRATCH_EN: 0
; COMPUTE_PGM_RSRC2:USER_SGPR: 6
; COMPUTE_PGM_RSRC2:TRAP_HANDLER: 0
; COMPUTE_PGM_RSRC2:TGID_X_EN: 1
; COMPUTE_PGM_RSRC2:TGID_Y_EN: 0
; COMPUTE_PGM_RSRC2:TGID_Z_EN: 0
; COMPUTE_PGM_RSRC2:TIDIG_COMP_CNT: 0
	.section	.text._ZN7rocprim17ROCPRIM_400000_NS6detail17trampoline_kernelINS0_14default_configENS1_36segmented_radix_sort_config_selectorIhlEEZNS1_25segmented_radix_sort_implIS3_Lb1EPKhPhPKlPlN2at6native12_GLOBAL__N_18offset_tEEE10hipError_tPvRmT1_PNSt15iterator_traitsISK_E10value_typeET2_T3_PNSL_ISQ_E10value_typeET4_jRbjT5_SW_jjP12ihipStream_tbEUlT_E_NS1_11comp_targetILNS1_3genE0ELNS1_11target_archE4294967295ELNS1_3gpuE0ELNS1_3repE0EEENS1_30default_config_static_selectorELNS0_4arch9wavefront6targetE0EEEvSK_,"axG",@progbits,_ZN7rocprim17ROCPRIM_400000_NS6detail17trampoline_kernelINS0_14default_configENS1_36segmented_radix_sort_config_selectorIhlEEZNS1_25segmented_radix_sort_implIS3_Lb1EPKhPhPKlPlN2at6native12_GLOBAL__N_18offset_tEEE10hipError_tPvRmT1_PNSt15iterator_traitsISK_E10value_typeET2_T3_PNSL_ISQ_E10value_typeET4_jRbjT5_SW_jjP12ihipStream_tbEUlT_E_NS1_11comp_targetILNS1_3genE0ELNS1_11target_archE4294967295ELNS1_3gpuE0ELNS1_3repE0EEENS1_30default_config_static_selectorELNS0_4arch9wavefront6targetE0EEEvSK_,comdat
	.globl	_ZN7rocprim17ROCPRIM_400000_NS6detail17trampoline_kernelINS0_14default_configENS1_36segmented_radix_sort_config_selectorIhlEEZNS1_25segmented_radix_sort_implIS3_Lb1EPKhPhPKlPlN2at6native12_GLOBAL__N_18offset_tEEE10hipError_tPvRmT1_PNSt15iterator_traitsISK_E10value_typeET2_T3_PNSL_ISQ_E10value_typeET4_jRbjT5_SW_jjP12ihipStream_tbEUlT_E_NS1_11comp_targetILNS1_3genE0ELNS1_11target_archE4294967295ELNS1_3gpuE0ELNS1_3repE0EEENS1_30default_config_static_selectorELNS0_4arch9wavefront6targetE0EEEvSK_ ; -- Begin function _ZN7rocprim17ROCPRIM_400000_NS6detail17trampoline_kernelINS0_14default_configENS1_36segmented_radix_sort_config_selectorIhlEEZNS1_25segmented_radix_sort_implIS3_Lb1EPKhPhPKlPlN2at6native12_GLOBAL__N_18offset_tEEE10hipError_tPvRmT1_PNSt15iterator_traitsISK_E10value_typeET2_T3_PNSL_ISQ_E10value_typeET4_jRbjT5_SW_jjP12ihipStream_tbEUlT_E_NS1_11comp_targetILNS1_3genE0ELNS1_11target_archE4294967295ELNS1_3gpuE0ELNS1_3repE0EEENS1_30default_config_static_selectorELNS0_4arch9wavefront6targetE0EEEvSK_
	.p2align	8
	.type	_ZN7rocprim17ROCPRIM_400000_NS6detail17trampoline_kernelINS0_14default_configENS1_36segmented_radix_sort_config_selectorIhlEEZNS1_25segmented_radix_sort_implIS3_Lb1EPKhPhPKlPlN2at6native12_GLOBAL__N_18offset_tEEE10hipError_tPvRmT1_PNSt15iterator_traitsISK_E10value_typeET2_T3_PNSL_ISQ_E10value_typeET4_jRbjT5_SW_jjP12ihipStream_tbEUlT_E_NS1_11comp_targetILNS1_3genE0ELNS1_11target_archE4294967295ELNS1_3gpuE0ELNS1_3repE0EEENS1_30default_config_static_selectorELNS0_4arch9wavefront6targetE0EEEvSK_,@function
_ZN7rocprim17ROCPRIM_400000_NS6detail17trampoline_kernelINS0_14default_configENS1_36segmented_radix_sort_config_selectorIhlEEZNS1_25segmented_radix_sort_implIS3_Lb1EPKhPhPKlPlN2at6native12_GLOBAL__N_18offset_tEEE10hipError_tPvRmT1_PNSt15iterator_traitsISK_E10value_typeET2_T3_PNSL_ISQ_E10value_typeET4_jRbjT5_SW_jjP12ihipStream_tbEUlT_E_NS1_11comp_targetILNS1_3genE0ELNS1_11target_archE4294967295ELNS1_3gpuE0ELNS1_3repE0EEENS1_30default_config_static_selectorELNS0_4arch9wavefront6targetE0EEEvSK_: ; @_ZN7rocprim17ROCPRIM_400000_NS6detail17trampoline_kernelINS0_14default_configENS1_36segmented_radix_sort_config_selectorIhlEEZNS1_25segmented_radix_sort_implIS3_Lb1EPKhPhPKlPlN2at6native12_GLOBAL__N_18offset_tEEE10hipError_tPvRmT1_PNSt15iterator_traitsISK_E10value_typeET2_T3_PNSL_ISQ_E10value_typeET4_jRbjT5_SW_jjP12ihipStream_tbEUlT_E_NS1_11comp_targetILNS1_3genE0ELNS1_11target_archE4294967295ELNS1_3gpuE0ELNS1_3repE0EEENS1_30default_config_static_selectorELNS0_4arch9wavefront6targetE0EEEvSK_
; %bb.0:
	.section	.rodata,"a",@progbits
	.p2align	6, 0x0
	.amdhsa_kernel _ZN7rocprim17ROCPRIM_400000_NS6detail17trampoline_kernelINS0_14default_configENS1_36segmented_radix_sort_config_selectorIhlEEZNS1_25segmented_radix_sort_implIS3_Lb1EPKhPhPKlPlN2at6native12_GLOBAL__N_18offset_tEEE10hipError_tPvRmT1_PNSt15iterator_traitsISK_E10value_typeET2_T3_PNSL_ISQ_E10value_typeET4_jRbjT5_SW_jjP12ihipStream_tbEUlT_E_NS1_11comp_targetILNS1_3genE0ELNS1_11target_archE4294967295ELNS1_3gpuE0ELNS1_3repE0EEENS1_30default_config_static_selectorELNS0_4arch9wavefront6targetE0EEEvSK_
		.amdhsa_group_segment_fixed_size 0
		.amdhsa_private_segment_fixed_size 0
		.amdhsa_kernarg_size 96
		.amdhsa_user_sgpr_count 6
		.amdhsa_user_sgpr_private_segment_buffer 1
		.amdhsa_user_sgpr_dispatch_ptr 0
		.amdhsa_user_sgpr_queue_ptr 0
		.amdhsa_user_sgpr_kernarg_segment_ptr 1
		.amdhsa_user_sgpr_dispatch_id 0
		.amdhsa_user_sgpr_flat_scratch_init 0
		.amdhsa_user_sgpr_private_segment_size 0
		.amdhsa_wavefront_size32 1
		.amdhsa_uses_dynamic_stack 0
		.amdhsa_system_sgpr_private_segment_wavefront_offset 0
		.amdhsa_system_sgpr_workgroup_id_x 1
		.amdhsa_system_sgpr_workgroup_id_y 0
		.amdhsa_system_sgpr_workgroup_id_z 0
		.amdhsa_system_sgpr_workgroup_info 0
		.amdhsa_system_vgpr_workitem_id 0
		.amdhsa_next_free_vgpr 1
		.amdhsa_next_free_sgpr 1
		.amdhsa_reserve_vcc 0
		.amdhsa_reserve_flat_scratch 0
		.amdhsa_float_round_mode_32 0
		.amdhsa_float_round_mode_16_64 0
		.amdhsa_float_denorm_mode_32 3
		.amdhsa_float_denorm_mode_16_64 3
		.amdhsa_dx10_clamp 1
		.amdhsa_ieee_mode 1
		.amdhsa_fp16_overflow 0
		.amdhsa_workgroup_processor_mode 1
		.amdhsa_memory_ordered 1
		.amdhsa_forward_progress 1
		.amdhsa_shared_vgpr_count 0
		.amdhsa_exception_fp_ieee_invalid_op 0
		.amdhsa_exception_fp_denorm_src 0
		.amdhsa_exception_fp_ieee_div_zero 0
		.amdhsa_exception_fp_ieee_overflow 0
		.amdhsa_exception_fp_ieee_underflow 0
		.amdhsa_exception_fp_ieee_inexact 0
		.amdhsa_exception_int_div_zero 0
	.end_amdhsa_kernel
	.section	.text._ZN7rocprim17ROCPRIM_400000_NS6detail17trampoline_kernelINS0_14default_configENS1_36segmented_radix_sort_config_selectorIhlEEZNS1_25segmented_radix_sort_implIS3_Lb1EPKhPhPKlPlN2at6native12_GLOBAL__N_18offset_tEEE10hipError_tPvRmT1_PNSt15iterator_traitsISK_E10value_typeET2_T3_PNSL_ISQ_E10value_typeET4_jRbjT5_SW_jjP12ihipStream_tbEUlT_E_NS1_11comp_targetILNS1_3genE0ELNS1_11target_archE4294967295ELNS1_3gpuE0ELNS1_3repE0EEENS1_30default_config_static_selectorELNS0_4arch9wavefront6targetE0EEEvSK_,"axG",@progbits,_ZN7rocprim17ROCPRIM_400000_NS6detail17trampoline_kernelINS0_14default_configENS1_36segmented_radix_sort_config_selectorIhlEEZNS1_25segmented_radix_sort_implIS3_Lb1EPKhPhPKlPlN2at6native12_GLOBAL__N_18offset_tEEE10hipError_tPvRmT1_PNSt15iterator_traitsISK_E10value_typeET2_T3_PNSL_ISQ_E10value_typeET4_jRbjT5_SW_jjP12ihipStream_tbEUlT_E_NS1_11comp_targetILNS1_3genE0ELNS1_11target_archE4294967295ELNS1_3gpuE0ELNS1_3repE0EEENS1_30default_config_static_selectorELNS0_4arch9wavefront6targetE0EEEvSK_,comdat
.Lfunc_end83:
	.size	_ZN7rocprim17ROCPRIM_400000_NS6detail17trampoline_kernelINS0_14default_configENS1_36segmented_radix_sort_config_selectorIhlEEZNS1_25segmented_radix_sort_implIS3_Lb1EPKhPhPKlPlN2at6native12_GLOBAL__N_18offset_tEEE10hipError_tPvRmT1_PNSt15iterator_traitsISK_E10value_typeET2_T3_PNSL_ISQ_E10value_typeET4_jRbjT5_SW_jjP12ihipStream_tbEUlT_E_NS1_11comp_targetILNS1_3genE0ELNS1_11target_archE4294967295ELNS1_3gpuE0ELNS1_3repE0EEENS1_30default_config_static_selectorELNS0_4arch9wavefront6targetE0EEEvSK_, .Lfunc_end83-_ZN7rocprim17ROCPRIM_400000_NS6detail17trampoline_kernelINS0_14default_configENS1_36segmented_radix_sort_config_selectorIhlEEZNS1_25segmented_radix_sort_implIS3_Lb1EPKhPhPKlPlN2at6native12_GLOBAL__N_18offset_tEEE10hipError_tPvRmT1_PNSt15iterator_traitsISK_E10value_typeET2_T3_PNSL_ISQ_E10value_typeET4_jRbjT5_SW_jjP12ihipStream_tbEUlT_E_NS1_11comp_targetILNS1_3genE0ELNS1_11target_archE4294967295ELNS1_3gpuE0ELNS1_3repE0EEENS1_30default_config_static_selectorELNS0_4arch9wavefront6targetE0EEEvSK_
                                        ; -- End function
	.set _ZN7rocprim17ROCPRIM_400000_NS6detail17trampoline_kernelINS0_14default_configENS1_36segmented_radix_sort_config_selectorIhlEEZNS1_25segmented_radix_sort_implIS3_Lb1EPKhPhPKlPlN2at6native12_GLOBAL__N_18offset_tEEE10hipError_tPvRmT1_PNSt15iterator_traitsISK_E10value_typeET2_T3_PNSL_ISQ_E10value_typeET4_jRbjT5_SW_jjP12ihipStream_tbEUlT_E_NS1_11comp_targetILNS1_3genE0ELNS1_11target_archE4294967295ELNS1_3gpuE0ELNS1_3repE0EEENS1_30default_config_static_selectorELNS0_4arch9wavefront6targetE0EEEvSK_.num_vgpr, 0
	.set _ZN7rocprim17ROCPRIM_400000_NS6detail17trampoline_kernelINS0_14default_configENS1_36segmented_radix_sort_config_selectorIhlEEZNS1_25segmented_radix_sort_implIS3_Lb1EPKhPhPKlPlN2at6native12_GLOBAL__N_18offset_tEEE10hipError_tPvRmT1_PNSt15iterator_traitsISK_E10value_typeET2_T3_PNSL_ISQ_E10value_typeET4_jRbjT5_SW_jjP12ihipStream_tbEUlT_E_NS1_11comp_targetILNS1_3genE0ELNS1_11target_archE4294967295ELNS1_3gpuE0ELNS1_3repE0EEENS1_30default_config_static_selectorELNS0_4arch9wavefront6targetE0EEEvSK_.num_agpr, 0
	.set _ZN7rocprim17ROCPRIM_400000_NS6detail17trampoline_kernelINS0_14default_configENS1_36segmented_radix_sort_config_selectorIhlEEZNS1_25segmented_radix_sort_implIS3_Lb1EPKhPhPKlPlN2at6native12_GLOBAL__N_18offset_tEEE10hipError_tPvRmT1_PNSt15iterator_traitsISK_E10value_typeET2_T3_PNSL_ISQ_E10value_typeET4_jRbjT5_SW_jjP12ihipStream_tbEUlT_E_NS1_11comp_targetILNS1_3genE0ELNS1_11target_archE4294967295ELNS1_3gpuE0ELNS1_3repE0EEENS1_30default_config_static_selectorELNS0_4arch9wavefront6targetE0EEEvSK_.numbered_sgpr, 0
	.set _ZN7rocprim17ROCPRIM_400000_NS6detail17trampoline_kernelINS0_14default_configENS1_36segmented_radix_sort_config_selectorIhlEEZNS1_25segmented_radix_sort_implIS3_Lb1EPKhPhPKlPlN2at6native12_GLOBAL__N_18offset_tEEE10hipError_tPvRmT1_PNSt15iterator_traitsISK_E10value_typeET2_T3_PNSL_ISQ_E10value_typeET4_jRbjT5_SW_jjP12ihipStream_tbEUlT_E_NS1_11comp_targetILNS1_3genE0ELNS1_11target_archE4294967295ELNS1_3gpuE0ELNS1_3repE0EEENS1_30default_config_static_selectorELNS0_4arch9wavefront6targetE0EEEvSK_.num_named_barrier, 0
	.set _ZN7rocprim17ROCPRIM_400000_NS6detail17trampoline_kernelINS0_14default_configENS1_36segmented_radix_sort_config_selectorIhlEEZNS1_25segmented_radix_sort_implIS3_Lb1EPKhPhPKlPlN2at6native12_GLOBAL__N_18offset_tEEE10hipError_tPvRmT1_PNSt15iterator_traitsISK_E10value_typeET2_T3_PNSL_ISQ_E10value_typeET4_jRbjT5_SW_jjP12ihipStream_tbEUlT_E_NS1_11comp_targetILNS1_3genE0ELNS1_11target_archE4294967295ELNS1_3gpuE0ELNS1_3repE0EEENS1_30default_config_static_selectorELNS0_4arch9wavefront6targetE0EEEvSK_.private_seg_size, 0
	.set _ZN7rocprim17ROCPRIM_400000_NS6detail17trampoline_kernelINS0_14default_configENS1_36segmented_radix_sort_config_selectorIhlEEZNS1_25segmented_radix_sort_implIS3_Lb1EPKhPhPKlPlN2at6native12_GLOBAL__N_18offset_tEEE10hipError_tPvRmT1_PNSt15iterator_traitsISK_E10value_typeET2_T3_PNSL_ISQ_E10value_typeET4_jRbjT5_SW_jjP12ihipStream_tbEUlT_E_NS1_11comp_targetILNS1_3genE0ELNS1_11target_archE4294967295ELNS1_3gpuE0ELNS1_3repE0EEENS1_30default_config_static_selectorELNS0_4arch9wavefront6targetE0EEEvSK_.uses_vcc, 0
	.set _ZN7rocprim17ROCPRIM_400000_NS6detail17trampoline_kernelINS0_14default_configENS1_36segmented_radix_sort_config_selectorIhlEEZNS1_25segmented_radix_sort_implIS3_Lb1EPKhPhPKlPlN2at6native12_GLOBAL__N_18offset_tEEE10hipError_tPvRmT1_PNSt15iterator_traitsISK_E10value_typeET2_T3_PNSL_ISQ_E10value_typeET4_jRbjT5_SW_jjP12ihipStream_tbEUlT_E_NS1_11comp_targetILNS1_3genE0ELNS1_11target_archE4294967295ELNS1_3gpuE0ELNS1_3repE0EEENS1_30default_config_static_selectorELNS0_4arch9wavefront6targetE0EEEvSK_.uses_flat_scratch, 0
	.set _ZN7rocprim17ROCPRIM_400000_NS6detail17trampoline_kernelINS0_14default_configENS1_36segmented_radix_sort_config_selectorIhlEEZNS1_25segmented_radix_sort_implIS3_Lb1EPKhPhPKlPlN2at6native12_GLOBAL__N_18offset_tEEE10hipError_tPvRmT1_PNSt15iterator_traitsISK_E10value_typeET2_T3_PNSL_ISQ_E10value_typeET4_jRbjT5_SW_jjP12ihipStream_tbEUlT_E_NS1_11comp_targetILNS1_3genE0ELNS1_11target_archE4294967295ELNS1_3gpuE0ELNS1_3repE0EEENS1_30default_config_static_selectorELNS0_4arch9wavefront6targetE0EEEvSK_.has_dyn_sized_stack, 0
	.set _ZN7rocprim17ROCPRIM_400000_NS6detail17trampoline_kernelINS0_14default_configENS1_36segmented_radix_sort_config_selectorIhlEEZNS1_25segmented_radix_sort_implIS3_Lb1EPKhPhPKlPlN2at6native12_GLOBAL__N_18offset_tEEE10hipError_tPvRmT1_PNSt15iterator_traitsISK_E10value_typeET2_T3_PNSL_ISQ_E10value_typeET4_jRbjT5_SW_jjP12ihipStream_tbEUlT_E_NS1_11comp_targetILNS1_3genE0ELNS1_11target_archE4294967295ELNS1_3gpuE0ELNS1_3repE0EEENS1_30default_config_static_selectorELNS0_4arch9wavefront6targetE0EEEvSK_.has_recursion, 0
	.set _ZN7rocprim17ROCPRIM_400000_NS6detail17trampoline_kernelINS0_14default_configENS1_36segmented_radix_sort_config_selectorIhlEEZNS1_25segmented_radix_sort_implIS3_Lb1EPKhPhPKlPlN2at6native12_GLOBAL__N_18offset_tEEE10hipError_tPvRmT1_PNSt15iterator_traitsISK_E10value_typeET2_T3_PNSL_ISQ_E10value_typeET4_jRbjT5_SW_jjP12ihipStream_tbEUlT_E_NS1_11comp_targetILNS1_3genE0ELNS1_11target_archE4294967295ELNS1_3gpuE0ELNS1_3repE0EEENS1_30default_config_static_selectorELNS0_4arch9wavefront6targetE0EEEvSK_.has_indirect_call, 0
	.section	.AMDGPU.csdata,"",@progbits
; Kernel info:
; codeLenInByte = 0
; TotalNumSgprs: 0
; NumVgprs: 0
; ScratchSize: 0
; MemoryBound: 0
; FloatMode: 240
; IeeeMode: 1
; LDSByteSize: 0 bytes/workgroup (compile time only)
; SGPRBlocks: 0
; VGPRBlocks: 0
; NumSGPRsForWavesPerEU: 1
; NumVGPRsForWavesPerEU: 1
; Occupancy: 16
; WaveLimiterHint : 0
; COMPUTE_PGM_RSRC2:SCRATCH_EN: 0
; COMPUTE_PGM_RSRC2:USER_SGPR: 6
; COMPUTE_PGM_RSRC2:TRAP_HANDLER: 0
; COMPUTE_PGM_RSRC2:TGID_X_EN: 1
; COMPUTE_PGM_RSRC2:TGID_Y_EN: 0
; COMPUTE_PGM_RSRC2:TGID_Z_EN: 0
; COMPUTE_PGM_RSRC2:TIDIG_COMP_CNT: 0
	.section	.text._ZN7rocprim17ROCPRIM_400000_NS6detail17trampoline_kernelINS0_14default_configENS1_36segmented_radix_sort_config_selectorIhlEEZNS1_25segmented_radix_sort_implIS3_Lb1EPKhPhPKlPlN2at6native12_GLOBAL__N_18offset_tEEE10hipError_tPvRmT1_PNSt15iterator_traitsISK_E10value_typeET2_T3_PNSL_ISQ_E10value_typeET4_jRbjT5_SW_jjP12ihipStream_tbEUlT_E_NS1_11comp_targetILNS1_3genE5ELNS1_11target_archE942ELNS1_3gpuE9ELNS1_3repE0EEENS1_30default_config_static_selectorELNS0_4arch9wavefront6targetE0EEEvSK_,"axG",@progbits,_ZN7rocprim17ROCPRIM_400000_NS6detail17trampoline_kernelINS0_14default_configENS1_36segmented_radix_sort_config_selectorIhlEEZNS1_25segmented_radix_sort_implIS3_Lb1EPKhPhPKlPlN2at6native12_GLOBAL__N_18offset_tEEE10hipError_tPvRmT1_PNSt15iterator_traitsISK_E10value_typeET2_T3_PNSL_ISQ_E10value_typeET4_jRbjT5_SW_jjP12ihipStream_tbEUlT_E_NS1_11comp_targetILNS1_3genE5ELNS1_11target_archE942ELNS1_3gpuE9ELNS1_3repE0EEENS1_30default_config_static_selectorELNS0_4arch9wavefront6targetE0EEEvSK_,comdat
	.globl	_ZN7rocprim17ROCPRIM_400000_NS6detail17trampoline_kernelINS0_14default_configENS1_36segmented_radix_sort_config_selectorIhlEEZNS1_25segmented_radix_sort_implIS3_Lb1EPKhPhPKlPlN2at6native12_GLOBAL__N_18offset_tEEE10hipError_tPvRmT1_PNSt15iterator_traitsISK_E10value_typeET2_T3_PNSL_ISQ_E10value_typeET4_jRbjT5_SW_jjP12ihipStream_tbEUlT_E_NS1_11comp_targetILNS1_3genE5ELNS1_11target_archE942ELNS1_3gpuE9ELNS1_3repE0EEENS1_30default_config_static_selectorELNS0_4arch9wavefront6targetE0EEEvSK_ ; -- Begin function _ZN7rocprim17ROCPRIM_400000_NS6detail17trampoline_kernelINS0_14default_configENS1_36segmented_radix_sort_config_selectorIhlEEZNS1_25segmented_radix_sort_implIS3_Lb1EPKhPhPKlPlN2at6native12_GLOBAL__N_18offset_tEEE10hipError_tPvRmT1_PNSt15iterator_traitsISK_E10value_typeET2_T3_PNSL_ISQ_E10value_typeET4_jRbjT5_SW_jjP12ihipStream_tbEUlT_E_NS1_11comp_targetILNS1_3genE5ELNS1_11target_archE942ELNS1_3gpuE9ELNS1_3repE0EEENS1_30default_config_static_selectorELNS0_4arch9wavefront6targetE0EEEvSK_
	.p2align	8
	.type	_ZN7rocprim17ROCPRIM_400000_NS6detail17trampoline_kernelINS0_14default_configENS1_36segmented_radix_sort_config_selectorIhlEEZNS1_25segmented_radix_sort_implIS3_Lb1EPKhPhPKlPlN2at6native12_GLOBAL__N_18offset_tEEE10hipError_tPvRmT1_PNSt15iterator_traitsISK_E10value_typeET2_T3_PNSL_ISQ_E10value_typeET4_jRbjT5_SW_jjP12ihipStream_tbEUlT_E_NS1_11comp_targetILNS1_3genE5ELNS1_11target_archE942ELNS1_3gpuE9ELNS1_3repE0EEENS1_30default_config_static_selectorELNS0_4arch9wavefront6targetE0EEEvSK_,@function
_ZN7rocprim17ROCPRIM_400000_NS6detail17trampoline_kernelINS0_14default_configENS1_36segmented_radix_sort_config_selectorIhlEEZNS1_25segmented_radix_sort_implIS3_Lb1EPKhPhPKlPlN2at6native12_GLOBAL__N_18offset_tEEE10hipError_tPvRmT1_PNSt15iterator_traitsISK_E10value_typeET2_T3_PNSL_ISQ_E10value_typeET4_jRbjT5_SW_jjP12ihipStream_tbEUlT_E_NS1_11comp_targetILNS1_3genE5ELNS1_11target_archE942ELNS1_3gpuE9ELNS1_3repE0EEENS1_30default_config_static_selectorELNS0_4arch9wavefront6targetE0EEEvSK_: ; @_ZN7rocprim17ROCPRIM_400000_NS6detail17trampoline_kernelINS0_14default_configENS1_36segmented_radix_sort_config_selectorIhlEEZNS1_25segmented_radix_sort_implIS3_Lb1EPKhPhPKlPlN2at6native12_GLOBAL__N_18offset_tEEE10hipError_tPvRmT1_PNSt15iterator_traitsISK_E10value_typeET2_T3_PNSL_ISQ_E10value_typeET4_jRbjT5_SW_jjP12ihipStream_tbEUlT_E_NS1_11comp_targetILNS1_3genE5ELNS1_11target_archE942ELNS1_3gpuE9ELNS1_3repE0EEENS1_30default_config_static_selectorELNS0_4arch9wavefront6targetE0EEEvSK_
; %bb.0:
	.section	.rodata,"a",@progbits
	.p2align	6, 0x0
	.amdhsa_kernel _ZN7rocprim17ROCPRIM_400000_NS6detail17trampoline_kernelINS0_14default_configENS1_36segmented_radix_sort_config_selectorIhlEEZNS1_25segmented_radix_sort_implIS3_Lb1EPKhPhPKlPlN2at6native12_GLOBAL__N_18offset_tEEE10hipError_tPvRmT1_PNSt15iterator_traitsISK_E10value_typeET2_T3_PNSL_ISQ_E10value_typeET4_jRbjT5_SW_jjP12ihipStream_tbEUlT_E_NS1_11comp_targetILNS1_3genE5ELNS1_11target_archE942ELNS1_3gpuE9ELNS1_3repE0EEENS1_30default_config_static_selectorELNS0_4arch9wavefront6targetE0EEEvSK_
		.amdhsa_group_segment_fixed_size 0
		.amdhsa_private_segment_fixed_size 0
		.amdhsa_kernarg_size 96
		.amdhsa_user_sgpr_count 6
		.amdhsa_user_sgpr_private_segment_buffer 1
		.amdhsa_user_sgpr_dispatch_ptr 0
		.amdhsa_user_sgpr_queue_ptr 0
		.amdhsa_user_sgpr_kernarg_segment_ptr 1
		.amdhsa_user_sgpr_dispatch_id 0
		.amdhsa_user_sgpr_flat_scratch_init 0
		.amdhsa_user_sgpr_private_segment_size 0
		.amdhsa_wavefront_size32 1
		.amdhsa_uses_dynamic_stack 0
		.amdhsa_system_sgpr_private_segment_wavefront_offset 0
		.amdhsa_system_sgpr_workgroup_id_x 1
		.amdhsa_system_sgpr_workgroup_id_y 0
		.amdhsa_system_sgpr_workgroup_id_z 0
		.amdhsa_system_sgpr_workgroup_info 0
		.amdhsa_system_vgpr_workitem_id 0
		.amdhsa_next_free_vgpr 1
		.amdhsa_next_free_sgpr 1
		.amdhsa_reserve_vcc 0
		.amdhsa_reserve_flat_scratch 0
		.amdhsa_float_round_mode_32 0
		.amdhsa_float_round_mode_16_64 0
		.amdhsa_float_denorm_mode_32 3
		.amdhsa_float_denorm_mode_16_64 3
		.amdhsa_dx10_clamp 1
		.amdhsa_ieee_mode 1
		.amdhsa_fp16_overflow 0
		.amdhsa_workgroup_processor_mode 1
		.amdhsa_memory_ordered 1
		.amdhsa_forward_progress 1
		.amdhsa_shared_vgpr_count 0
		.amdhsa_exception_fp_ieee_invalid_op 0
		.amdhsa_exception_fp_denorm_src 0
		.amdhsa_exception_fp_ieee_div_zero 0
		.amdhsa_exception_fp_ieee_overflow 0
		.amdhsa_exception_fp_ieee_underflow 0
		.amdhsa_exception_fp_ieee_inexact 0
		.amdhsa_exception_int_div_zero 0
	.end_amdhsa_kernel
	.section	.text._ZN7rocprim17ROCPRIM_400000_NS6detail17trampoline_kernelINS0_14default_configENS1_36segmented_radix_sort_config_selectorIhlEEZNS1_25segmented_radix_sort_implIS3_Lb1EPKhPhPKlPlN2at6native12_GLOBAL__N_18offset_tEEE10hipError_tPvRmT1_PNSt15iterator_traitsISK_E10value_typeET2_T3_PNSL_ISQ_E10value_typeET4_jRbjT5_SW_jjP12ihipStream_tbEUlT_E_NS1_11comp_targetILNS1_3genE5ELNS1_11target_archE942ELNS1_3gpuE9ELNS1_3repE0EEENS1_30default_config_static_selectorELNS0_4arch9wavefront6targetE0EEEvSK_,"axG",@progbits,_ZN7rocprim17ROCPRIM_400000_NS6detail17trampoline_kernelINS0_14default_configENS1_36segmented_radix_sort_config_selectorIhlEEZNS1_25segmented_radix_sort_implIS3_Lb1EPKhPhPKlPlN2at6native12_GLOBAL__N_18offset_tEEE10hipError_tPvRmT1_PNSt15iterator_traitsISK_E10value_typeET2_T3_PNSL_ISQ_E10value_typeET4_jRbjT5_SW_jjP12ihipStream_tbEUlT_E_NS1_11comp_targetILNS1_3genE5ELNS1_11target_archE942ELNS1_3gpuE9ELNS1_3repE0EEENS1_30default_config_static_selectorELNS0_4arch9wavefront6targetE0EEEvSK_,comdat
.Lfunc_end84:
	.size	_ZN7rocprim17ROCPRIM_400000_NS6detail17trampoline_kernelINS0_14default_configENS1_36segmented_radix_sort_config_selectorIhlEEZNS1_25segmented_radix_sort_implIS3_Lb1EPKhPhPKlPlN2at6native12_GLOBAL__N_18offset_tEEE10hipError_tPvRmT1_PNSt15iterator_traitsISK_E10value_typeET2_T3_PNSL_ISQ_E10value_typeET4_jRbjT5_SW_jjP12ihipStream_tbEUlT_E_NS1_11comp_targetILNS1_3genE5ELNS1_11target_archE942ELNS1_3gpuE9ELNS1_3repE0EEENS1_30default_config_static_selectorELNS0_4arch9wavefront6targetE0EEEvSK_, .Lfunc_end84-_ZN7rocprim17ROCPRIM_400000_NS6detail17trampoline_kernelINS0_14default_configENS1_36segmented_radix_sort_config_selectorIhlEEZNS1_25segmented_radix_sort_implIS3_Lb1EPKhPhPKlPlN2at6native12_GLOBAL__N_18offset_tEEE10hipError_tPvRmT1_PNSt15iterator_traitsISK_E10value_typeET2_T3_PNSL_ISQ_E10value_typeET4_jRbjT5_SW_jjP12ihipStream_tbEUlT_E_NS1_11comp_targetILNS1_3genE5ELNS1_11target_archE942ELNS1_3gpuE9ELNS1_3repE0EEENS1_30default_config_static_selectorELNS0_4arch9wavefront6targetE0EEEvSK_
                                        ; -- End function
	.set _ZN7rocprim17ROCPRIM_400000_NS6detail17trampoline_kernelINS0_14default_configENS1_36segmented_radix_sort_config_selectorIhlEEZNS1_25segmented_radix_sort_implIS3_Lb1EPKhPhPKlPlN2at6native12_GLOBAL__N_18offset_tEEE10hipError_tPvRmT1_PNSt15iterator_traitsISK_E10value_typeET2_T3_PNSL_ISQ_E10value_typeET4_jRbjT5_SW_jjP12ihipStream_tbEUlT_E_NS1_11comp_targetILNS1_3genE5ELNS1_11target_archE942ELNS1_3gpuE9ELNS1_3repE0EEENS1_30default_config_static_selectorELNS0_4arch9wavefront6targetE0EEEvSK_.num_vgpr, 0
	.set _ZN7rocprim17ROCPRIM_400000_NS6detail17trampoline_kernelINS0_14default_configENS1_36segmented_radix_sort_config_selectorIhlEEZNS1_25segmented_radix_sort_implIS3_Lb1EPKhPhPKlPlN2at6native12_GLOBAL__N_18offset_tEEE10hipError_tPvRmT1_PNSt15iterator_traitsISK_E10value_typeET2_T3_PNSL_ISQ_E10value_typeET4_jRbjT5_SW_jjP12ihipStream_tbEUlT_E_NS1_11comp_targetILNS1_3genE5ELNS1_11target_archE942ELNS1_3gpuE9ELNS1_3repE0EEENS1_30default_config_static_selectorELNS0_4arch9wavefront6targetE0EEEvSK_.num_agpr, 0
	.set _ZN7rocprim17ROCPRIM_400000_NS6detail17trampoline_kernelINS0_14default_configENS1_36segmented_radix_sort_config_selectorIhlEEZNS1_25segmented_radix_sort_implIS3_Lb1EPKhPhPKlPlN2at6native12_GLOBAL__N_18offset_tEEE10hipError_tPvRmT1_PNSt15iterator_traitsISK_E10value_typeET2_T3_PNSL_ISQ_E10value_typeET4_jRbjT5_SW_jjP12ihipStream_tbEUlT_E_NS1_11comp_targetILNS1_3genE5ELNS1_11target_archE942ELNS1_3gpuE9ELNS1_3repE0EEENS1_30default_config_static_selectorELNS0_4arch9wavefront6targetE0EEEvSK_.numbered_sgpr, 0
	.set _ZN7rocprim17ROCPRIM_400000_NS6detail17trampoline_kernelINS0_14default_configENS1_36segmented_radix_sort_config_selectorIhlEEZNS1_25segmented_radix_sort_implIS3_Lb1EPKhPhPKlPlN2at6native12_GLOBAL__N_18offset_tEEE10hipError_tPvRmT1_PNSt15iterator_traitsISK_E10value_typeET2_T3_PNSL_ISQ_E10value_typeET4_jRbjT5_SW_jjP12ihipStream_tbEUlT_E_NS1_11comp_targetILNS1_3genE5ELNS1_11target_archE942ELNS1_3gpuE9ELNS1_3repE0EEENS1_30default_config_static_selectorELNS0_4arch9wavefront6targetE0EEEvSK_.num_named_barrier, 0
	.set _ZN7rocprim17ROCPRIM_400000_NS6detail17trampoline_kernelINS0_14default_configENS1_36segmented_radix_sort_config_selectorIhlEEZNS1_25segmented_radix_sort_implIS3_Lb1EPKhPhPKlPlN2at6native12_GLOBAL__N_18offset_tEEE10hipError_tPvRmT1_PNSt15iterator_traitsISK_E10value_typeET2_T3_PNSL_ISQ_E10value_typeET4_jRbjT5_SW_jjP12ihipStream_tbEUlT_E_NS1_11comp_targetILNS1_3genE5ELNS1_11target_archE942ELNS1_3gpuE9ELNS1_3repE0EEENS1_30default_config_static_selectorELNS0_4arch9wavefront6targetE0EEEvSK_.private_seg_size, 0
	.set _ZN7rocprim17ROCPRIM_400000_NS6detail17trampoline_kernelINS0_14default_configENS1_36segmented_radix_sort_config_selectorIhlEEZNS1_25segmented_radix_sort_implIS3_Lb1EPKhPhPKlPlN2at6native12_GLOBAL__N_18offset_tEEE10hipError_tPvRmT1_PNSt15iterator_traitsISK_E10value_typeET2_T3_PNSL_ISQ_E10value_typeET4_jRbjT5_SW_jjP12ihipStream_tbEUlT_E_NS1_11comp_targetILNS1_3genE5ELNS1_11target_archE942ELNS1_3gpuE9ELNS1_3repE0EEENS1_30default_config_static_selectorELNS0_4arch9wavefront6targetE0EEEvSK_.uses_vcc, 0
	.set _ZN7rocprim17ROCPRIM_400000_NS6detail17trampoline_kernelINS0_14default_configENS1_36segmented_radix_sort_config_selectorIhlEEZNS1_25segmented_radix_sort_implIS3_Lb1EPKhPhPKlPlN2at6native12_GLOBAL__N_18offset_tEEE10hipError_tPvRmT1_PNSt15iterator_traitsISK_E10value_typeET2_T3_PNSL_ISQ_E10value_typeET4_jRbjT5_SW_jjP12ihipStream_tbEUlT_E_NS1_11comp_targetILNS1_3genE5ELNS1_11target_archE942ELNS1_3gpuE9ELNS1_3repE0EEENS1_30default_config_static_selectorELNS0_4arch9wavefront6targetE0EEEvSK_.uses_flat_scratch, 0
	.set _ZN7rocprim17ROCPRIM_400000_NS6detail17trampoline_kernelINS0_14default_configENS1_36segmented_radix_sort_config_selectorIhlEEZNS1_25segmented_radix_sort_implIS3_Lb1EPKhPhPKlPlN2at6native12_GLOBAL__N_18offset_tEEE10hipError_tPvRmT1_PNSt15iterator_traitsISK_E10value_typeET2_T3_PNSL_ISQ_E10value_typeET4_jRbjT5_SW_jjP12ihipStream_tbEUlT_E_NS1_11comp_targetILNS1_3genE5ELNS1_11target_archE942ELNS1_3gpuE9ELNS1_3repE0EEENS1_30default_config_static_selectorELNS0_4arch9wavefront6targetE0EEEvSK_.has_dyn_sized_stack, 0
	.set _ZN7rocprim17ROCPRIM_400000_NS6detail17trampoline_kernelINS0_14default_configENS1_36segmented_radix_sort_config_selectorIhlEEZNS1_25segmented_radix_sort_implIS3_Lb1EPKhPhPKlPlN2at6native12_GLOBAL__N_18offset_tEEE10hipError_tPvRmT1_PNSt15iterator_traitsISK_E10value_typeET2_T3_PNSL_ISQ_E10value_typeET4_jRbjT5_SW_jjP12ihipStream_tbEUlT_E_NS1_11comp_targetILNS1_3genE5ELNS1_11target_archE942ELNS1_3gpuE9ELNS1_3repE0EEENS1_30default_config_static_selectorELNS0_4arch9wavefront6targetE0EEEvSK_.has_recursion, 0
	.set _ZN7rocprim17ROCPRIM_400000_NS6detail17trampoline_kernelINS0_14default_configENS1_36segmented_radix_sort_config_selectorIhlEEZNS1_25segmented_radix_sort_implIS3_Lb1EPKhPhPKlPlN2at6native12_GLOBAL__N_18offset_tEEE10hipError_tPvRmT1_PNSt15iterator_traitsISK_E10value_typeET2_T3_PNSL_ISQ_E10value_typeET4_jRbjT5_SW_jjP12ihipStream_tbEUlT_E_NS1_11comp_targetILNS1_3genE5ELNS1_11target_archE942ELNS1_3gpuE9ELNS1_3repE0EEENS1_30default_config_static_selectorELNS0_4arch9wavefront6targetE0EEEvSK_.has_indirect_call, 0
	.section	.AMDGPU.csdata,"",@progbits
; Kernel info:
; codeLenInByte = 0
; TotalNumSgprs: 0
; NumVgprs: 0
; ScratchSize: 0
; MemoryBound: 0
; FloatMode: 240
; IeeeMode: 1
; LDSByteSize: 0 bytes/workgroup (compile time only)
; SGPRBlocks: 0
; VGPRBlocks: 0
; NumSGPRsForWavesPerEU: 1
; NumVGPRsForWavesPerEU: 1
; Occupancy: 16
; WaveLimiterHint : 0
; COMPUTE_PGM_RSRC2:SCRATCH_EN: 0
; COMPUTE_PGM_RSRC2:USER_SGPR: 6
; COMPUTE_PGM_RSRC2:TRAP_HANDLER: 0
; COMPUTE_PGM_RSRC2:TGID_X_EN: 1
; COMPUTE_PGM_RSRC2:TGID_Y_EN: 0
; COMPUTE_PGM_RSRC2:TGID_Z_EN: 0
; COMPUTE_PGM_RSRC2:TIDIG_COMP_CNT: 0
	.section	.text._ZN7rocprim17ROCPRIM_400000_NS6detail17trampoline_kernelINS0_14default_configENS1_36segmented_radix_sort_config_selectorIhlEEZNS1_25segmented_radix_sort_implIS3_Lb1EPKhPhPKlPlN2at6native12_GLOBAL__N_18offset_tEEE10hipError_tPvRmT1_PNSt15iterator_traitsISK_E10value_typeET2_T3_PNSL_ISQ_E10value_typeET4_jRbjT5_SW_jjP12ihipStream_tbEUlT_E_NS1_11comp_targetILNS1_3genE4ELNS1_11target_archE910ELNS1_3gpuE8ELNS1_3repE0EEENS1_30default_config_static_selectorELNS0_4arch9wavefront6targetE0EEEvSK_,"axG",@progbits,_ZN7rocprim17ROCPRIM_400000_NS6detail17trampoline_kernelINS0_14default_configENS1_36segmented_radix_sort_config_selectorIhlEEZNS1_25segmented_radix_sort_implIS3_Lb1EPKhPhPKlPlN2at6native12_GLOBAL__N_18offset_tEEE10hipError_tPvRmT1_PNSt15iterator_traitsISK_E10value_typeET2_T3_PNSL_ISQ_E10value_typeET4_jRbjT5_SW_jjP12ihipStream_tbEUlT_E_NS1_11comp_targetILNS1_3genE4ELNS1_11target_archE910ELNS1_3gpuE8ELNS1_3repE0EEENS1_30default_config_static_selectorELNS0_4arch9wavefront6targetE0EEEvSK_,comdat
	.globl	_ZN7rocprim17ROCPRIM_400000_NS6detail17trampoline_kernelINS0_14default_configENS1_36segmented_radix_sort_config_selectorIhlEEZNS1_25segmented_radix_sort_implIS3_Lb1EPKhPhPKlPlN2at6native12_GLOBAL__N_18offset_tEEE10hipError_tPvRmT1_PNSt15iterator_traitsISK_E10value_typeET2_T3_PNSL_ISQ_E10value_typeET4_jRbjT5_SW_jjP12ihipStream_tbEUlT_E_NS1_11comp_targetILNS1_3genE4ELNS1_11target_archE910ELNS1_3gpuE8ELNS1_3repE0EEENS1_30default_config_static_selectorELNS0_4arch9wavefront6targetE0EEEvSK_ ; -- Begin function _ZN7rocprim17ROCPRIM_400000_NS6detail17trampoline_kernelINS0_14default_configENS1_36segmented_radix_sort_config_selectorIhlEEZNS1_25segmented_radix_sort_implIS3_Lb1EPKhPhPKlPlN2at6native12_GLOBAL__N_18offset_tEEE10hipError_tPvRmT1_PNSt15iterator_traitsISK_E10value_typeET2_T3_PNSL_ISQ_E10value_typeET4_jRbjT5_SW_jjP12ihipStream_tbEUlT_E_NS1_11comp_targetILNS1_3genE4ELNS1_11target_archE910ELNS1_3gpuE8ELNS1_3repE0EEENS1_30default_config_static_selectorELNS0_4arch9wavefront6targetE0EEEvSK_
	.p2align	8
	.type	_ZN7rocprim17ROCPRIM_400000_NS6detail17trampoline_kernelINS0_14default_configENS1_36segmented_radix_sort_config_selectorIhlEEZNS1_25segmented_radix_sort_implIS3_Lb1EPKhPhPKlPlN2at6native12_GLOBAL__N_18offset_tEEE10hipError_tPvRmT1_PNSt15iterator_traitsISK_E10value_typeET2_T3_PNSL_ISQ_E10value_typeET4_jRbjT5_SW_jjP12ihipStream_tbEUlT_E_NS1_11comp_targetILNS1_3genE4ELNS1_11target_archE910ELNS1_3gpuE8ELNS1_3repE0EEENS1_30default_config_static_selectorELNS0_4arch9wavefront6targetE0EEEvSK_,@function
_ZN7rocprim17ROCPRIM_400000_NS6detail17trampoline_kernelINS0_14default_configENS1_36segmented_radix_sort_config_selectorIhlEEZNS1_25segmented_radix_sort_implIS3_Lb1EPKhPhPKlPlN2at6native12_GLOBAL__N_18offset_tEEE10hipError_tPvRmT1_PNSt15iterator_traitsISK_E10value_typeET2_T3_PNSL_ISQ_E10value_typeET4_jRbjT5_SW_jjP12ihipStream_tbEUlT_E_NS1_11comp_targetILNS1_3genE4ELNS1_11target_archE910ELNS1_3gpuE8ELNS1_3repE0EEENS1_30default_config_static_selectorELNS0_4arch9wavefront6targetE0EEEvSK_: ; @_ZN7rocprim17ROCPRIM_400000_NS6detail17trampoline_kernelINS0_14default_configENS1_36segmented_radix_sort_config_selectorIhlEEZNS1_25segmented_radix_sort_implIS3_Lb1EPKhPhPKlPlN2at6native12_GLOBAL__N_18offset_tEEE10hipError_tPvRmT1_PNSt15iterator_traitsISK_E10value_typeET2_T3_PNSL_ISQ_E10value_typeET4_jRbjT5_SW_jjP12ihipStream_tbEUlT_E_NS1_11comp_targetILNS1_3genE4ELNS1_11target_archE910ELNS1_3gpuE8ELNS1_3repE0EEENS1_30default_config_static_selectorELNS0_4arch9wavefront6targetE0EEEvSK_
; %bb.0:
	.section	.rodata,"a",@progbits
	.p2align	6, 0x0
	.amdhsa_kernel _ZN7rocprim17ROCPRIM_400000_NS6detail17trampoline_kernelINS0_14default_configENS1_36segmented_radix_sort_config_selectorIhlEEZNS1_25segmented_radix_sort_implIS3_Lb1EPKhPhPKlPlN2at6native12_GLOBAL__N_18offset_tEEE10hipError_tPvRmT1_PNSt15iterator_traitsISK_E10value_typeET2_T3_PNSL_ISQ_E10value_typeET4_jRbjT5_SW_jjP12ihipStream_tbEUlT_E_NS1_11comp_targetILNS1_3genE4ELNS1_11target_archE910ELNS1_3gpuE8ELNS1_3repE0EEENS1_30default_config_static_selectorELNS0_4arch9wavefront6targetE0EEEvSK_
		.amdhsa_group_segment_fixed_size 0
		.amdhsa_private_segment_fixed_size 0
		.amdhsa_kernarg_size 96
		.amdhsa_user_sgpr_count 6
		.amdhsa_user_sgpr_private_segment_buffer 1
		.amdhsa_user_sgpr_dispatch_ptr 0
		.amdhsa_user_sgpr_queue_ptr 0
		.amdhsa_user_sgpr_kernarg_segment_ptr 1
		.amdhsa_user_sgpr_dispatch_id 0
		.amdhsa_user_sgpr_flat_scratch_init 0
		.amdhsa_user_sgpr_private_segment_size 0
		.amdhsa_wavefront_size32 1
		.amdhsa_uses_dynamic_stack 0
		.amdhsa_system_sgpr_private_segment_wavefront_offset 0
		.amdhsa_system_sgpr_workgroup_id_x 1
		.amdhsa_system_sgpr_workgroup_id_y 0
		.amdhsa_system_sgpr_workgroup_id_z 0
		.amdhsa_system_sgpr_workgroup_info 0
		.amdhsa_system_vgpr_workitem_id 0
		.amdhsa_next_free_vgpr 1
		.amdhsa_next_free_sgpr 1
		.amdhsa_reserve_vcc 0
		.amdhsa_reserve_flat_scratch 0
		.amdhsa_float_round_mode_32 0
		.amdhsa_float_round_mode_16_64 0
		.amdhsa_float_denorm_mode_32 3
		.amdhsa_float_denorm_mode_16_64 3
		.amdhsa_dx10_clamp 1
		.amdhsa_ieee_mode 1
		.amdhsa_fp16_overflow 0
		.amdhsa_workgroup_processor_mode 1
		.amdhsa_memory_ordered 1
		.amdhsa_forward_progress 1
		.amdhsa_shared_vgpr_count 0
		.amdhsa_exception_fp_ieee_invalid_op 0
		.amdhsa_exception_fp_denorm_src 0
		.amdhsa_exception_fp_ieee_div_zero 0
		.amdhsa_exception_fp_ieee_overflow 0
		.amdhsa_exception_fp_ieee_underflow 0
		.amdhsa_exception_fp_ieee_inexact 0
		.amdhsa_exception_int_div_zero 0
	.end_amdhsa_kernel
	.section	.text._ZN7rocprim17ROCPRIM_400000_NS6detail17trampoline_kernelINS0_14default_configENS1_36segmented_radix_sort_config_selectorIhlEEZNS1_25segmented_radix_sort_implIS3_Lb1EPKhPhPKlPlN2at6native12_GLOBAL__N_18offset_tEEE10hipError_tPvRmT1_PNSt15iterator_traitsISK_E10value_typeET2_T3_PNSL_ISQ_E10value_typeET4_jRbjT5_SW_jjP12ihipStream_tbEUlT_E_NS1_11comp_targetILNS1_3genE4ELNS1_11target_archE910ELNS1_3gpuE8ELNS1_3repE0EEENS1_30default_config_static_selectorELNS0_4arch9wavefront6targetE0EEEvSK_,"axG",@progbits,_ZN7rocprim17ROCPRIM_400000_NS6detail17trampoline_kernelINS0_14default_configENS1_36segmented_radix_sort_config_selectorIhlEEZNS1_25segmented_radix_sort_implIS3_Lb1EPKhPhPKlPlN2at6native12_GLOBAL__N_18offset_tEEE10hipError_tPvRmT1_PNSt15iterator_traitsISK_E10value_typeET2_T3_PNSL_ISQ_E10value_typeET4_jRbjT5_SW_jjP12ihipStream_tbEUlT_E_NS1_11comp_targetILNS1_3genE4ELNS1_11target_archE910ELNS1_3gpuE8ELNS1_3repE0EEENS1_30default_config_static_selectorELNS0_4arch9wavefront6targetE0EEEvSK_,comdat
.Lfunc_end85:
	.size	_ZN7rocprim17ROCPRIM_400000_NS6detail17trampoline_kernelINS0_14default_configENS1_36segmented_radix_sort_config_selectorIhlEEZNS1_25segmented_radix_sort_implIS3_Lb1EPKhPhPKlPlN2at6native12_GLOBAL__N_18offset_tEEE10hipError_tPvRmT1_PNSt15iterator_traitsISK_E10value_typeET2_T3_PNSL_ISQ_E10value_typeET4_jRbjT5_SW_jjP12ihipStream_tbEUlT_E_NS1_11comp_targetILNS1_3genE4ELNS1_11target_archE910ELNS1_3gpuE8ELNS1_3repE0EEENS1_30default_config_static_selectorELNS0_4arch9wavefront6targetE0EEEvSK_, .Lfunc_end85-_ZN7rocprim17ROCPRIM_400000_NS6detail17trampoline_kernelINS0_14default_configENS1_36segmented_radix_sort_config_selectorIhlEEZNS1_25segmented_radix_sort_implIS3_Lb1EPKhPhPKlPlN2at6native12_GLOBAL__N_18offset_tEEE10hipError_tPvRmT1_PNSt15iterator_traitsISK_E10value_typeET2_T3_PNSL_ISQ_E10value_typeET4_jRbjT5_SW_jjP12ihipStream_tbEUlT_E_NS1_11comp_targetILNS1_3genE4ELNS1_11target_archE910ELNS1_3gpuE8ELNS1_3repE0EEENS1_30default_config_static_selectorELNS0_4arch9wavefront6targetE0EEEvSK_
                                        ; -- End function
	.set _ZN7rocprim17ROCPRIM_400000_NS6detail17trampoline_kernelINS0_14default_configENS1_36segmented_radix_sort_config_selectorIhlEEZNS1_25segmented_radix_sort_implIS3_Lb1EPKhPhPKlPlN2at6native12_GLOBAL__N_18offset_tEEE10hipError_tPvRmT1_PNSt15iterator_traitsISK_E10value_typeET2_T3_PNSL_ISQ_E10value_typeET4_jRbjT5_SW_jjP12ihipStream_tbEUlT_E_NS1_11comp_targetILNS1_3genE4ELNS1_11target_archE910ELNS1_3gpuE8ELNS1_3repE0EEENS1_30default_config_static_selectorELNS0_4arch9wavefront6targetE0EEEvSK_.num_vgpr, 0
	.set _ZN7rocprim17ROCPRIM_400000_NS6detail17trampoline_kernelINS0_14default_configENS1_36segmented_radix_sort_config_selectorIhlEEZNS1_25segmented_radix_sort_implIS3_Lb1EPKhPhPKlPlN2at6native12_GLOBAL__N_18offset_tEEE10hipError_tPvRmT1_PNSt15iterator_traitsISK_E10value_typeET2_T3_PNSL_ISQ_E10value_typeET4_jRbjT5_SW_jjP12ihipStream_tbEUlT_E_NS1_11comp_targetILNS1_3genE4ELNS1_11target_archE910ELNS1_3gpuE8ELNS1_3repE0EEENS1_30default_config_static_selectorELNS0_4arch9wavefront6targetE0EEEvSK_.num_agpr, 0
	.set _ZN7rocprim17ROCPRIM_400000_NS6detail17trampoline_kernelINS0_14default_configENS1_36segmented_radix_sort_config_selectorIhlEEZNS1_25segmented_radix_sort_implIS3_Lb1EPKhPhPKlPlN2at6native12_GLOBAL__N_18offset_tEEE10hipError_tPvRmT1_PNSt15iterator_traitsISK_E10value_typeET2_T3_PNSL_ISQ_E10value_typeET4_jRbjT5_SW_jjP12ihipStream_tbEUlT_E_NS1_11comp_targetILNS1_3genE4ELNS1_11target_archE910ELNS1_3gpuE8ELNS1_3repE0EEENS1_30default_config_static_selectorELNS0_4arch9wavefront6targetE0EEEvSK_.numbered_sgpr, 0
	.set _ZN7rocprim17ROCPRIM_400000_NS6detail17trampoline_kernelINS0_14default_configENS1_36segmented_radix_sort_config_selectorIhlEEZNS1_25segmented_radix_sort_implIS3_Lb1EPKhPhPKlPlN2at6native12_GLOBAL__N_18offset_tEEE10hipError_tPvRmT1_PNSt15iterator_traitsISK_E10value_typeET2_T3_PNSL_ISQ_E10value_typeET4_jRbjT5_SW_jjP12ihipStream_tbEUlT_E_NS1_11comp_targetILNS1_3genE4ELNS1_11target_archE910ELNS1_3gpuE8ELNS1_3repE0EEENS1_30default_config_static_selectorELNS0_4arch9wavefront6targetE0EEEvSK_.num_named_barrier, 0
	.set _ZN7rocprim17ROCPRIM_400000_NS6detail17trampoline_kernelINS0_14default_configENS1_36segmented_radix_sort_config_selectorIhlEEZNS1_25segmented_radix_sort_implIS3_Lb1EPKhPhPKlPlN2at6native12_GLOBAL__N_18offset_tEEE10hipError_tPvRmT1_PNSt15iterator_traitsISK_E10value_typeET2_T3_PNSL_ISQ_E10value_typeET4_jRbjT5_SW_jjP12ihipStream_tbEUlT_E_NS1_11comp_targetILNS1_3genE4ELNS1_11target_archE910ELNS1_3gpuE8ELNS1_3repE0EEENS1_30default_config_static_selectorELNS0_4arch9wavefront6targetE0EEEvSK_.private_seg_size, 0
	.set _ZN7rocprim17ROCPRIM_400000_NS6detail17trampoline_kernelINS0_14default_configENS1_36segmented_radix_sort_config_selectorIhlEEZNS1_25segmented_radix_sort_implIS3_Lb1EPKhPhPKlPlN2at6native12_GLOBAL__N_18offset_tEEE10hipError_tPvRmT1_PNSt15iterator_traitsISK_E10value_typeET2_T3_PNSL_ISQ_E10value_typeET4_jRbjT5_SW_jjP12ihipStream_tbEUlT_E_NS1_11comp_targetILNS1_3genE4ELNS1_11target_archE910ELNS1_3gpuE8ELNS1_3repE0EEENS1_30default_config_static_selectorELNS0_4arch9wavefront6targetE0EEEvSK_.uses_vcc, 0
	.set _ZN7rocprim17ROCPRIM_400000_NS6detail17trampoline_kernelINS0_14default_configENS1_36segmented_radix_sort_config_selectorIhlEEZNS1_25segmented_radix_sort_implIS3_Lb1EPKhPhPKlPlN2at6native12_GLOBAL__N_18offset_tEEE10hipError_tPvRmT1_PNSt15iterator_traitsISK_E10value_typeET2_T3_PNSL_ISQ_E10value_typeET4_jRbjT5_SW_jjP12ihipStream_tbEUlT_E_NS1_11comp_targetILNS1_3genE4ELNS1_11target_archE910ELNS1_3gpuE8ELNS1_3repE0EEENS1_30default_config_static_selectorELNS0_4arch9wavefront6targetE0EEEvSK_.uses_flat_scratch, 0
	.set _ZN7rocprim17ROCPRIM_400000_NS6detail17trampoline_kernelINS0_14default_configENS1_36segmented_radix_sort_config_selectorIhlEEZNS1_25segmented_radix_sort_implIS3_Lb1EPKhPhPKlPlN2at6native12_GLOBAL__N_18offset_tEEE10hipError_tPvRmT1_PNSt15iterator_traitsISK_E10value_typeET2_T3_PNSL_ISQ_E10value_typeET4_jRbjT5_SW_jjP12ihipStream_tbEUlT_E_NS1_11comp_targetILNS1_3genE4ELNS1_11target_archE910ELNS1_3gpuE8ELNS1_3repE0EEENS1_30default_config_static_selectorELNS0_4arch9wavefront6targetE0EEEvSK_.has_dyn_sized_stack, 0
	.set _ZN7rocprim17ROCPRIM_400000_NS6detail17trampoline_kernelINS0_14default_configENS1_36segmented_radix_sort_config_selectorIhlEEZNS1_25segmented_radix_sort_implIS3_Lb1EPKhPhPKlPlN2at6native12_GLOBAL__N_18offset_tEEE10hipError_tPvRmT1_PNSt15iterator_traitsISK_E10value_typeET2_T3_PNSL_ISQ_E10value_typeET4_jRbjT5_SW_jjP12ihipStream_tbEUlT_E_NS1_11comp_targetILNS1_3genE4ELNS1_11target_archE910ELNS1_3gpuE8ELNS1_3repE0EEENS1_30default_config_static_selectorELNS0_4arch9wavefront6targetE0EEEvSK_.has_recursion, 0
	.set _ZN7rocprim17ROCPRIM_400000_NS6detail17trampoline_kernelINS0_14default_configENS1_36segmented_radix_sort_config_selectorIhlEEZNS1_25segmented_radix_sort_implIS3_Lb1EPKhPhPKlPlN2at6native12_GLOBAL__N_18offset_tEEE10hipError_tPvRmT1_PNSt15iterator_traitsISK_E10value_typeET2_T3_PNSL_ISQ_E10value_typeET4_jRbjT5_SW_jjP12ihipStream_tbEUlT_E_NS1_11comp_targetILNS1_3genE4ELNS1_11target_archE910ELNS1_3gpuE8ELNS1_3repE0EEENS1_30default_config_static_selectorELNS0_4arch9wavefront6targetE0EEEvSK_.has_indirect_call, 0
	.section	.AMDGPU.csdata,"",@progbits
; Kernel info:
; codeLenInByte = 0
; TotalNumSgprs: 0
; NumVgprs: 0
; ScratchSize: 0
; MemoryBound: 0
; FloatMode: 240
; IeeeMode: 1
; LDSByteSize: 0 bytes/workgroup (compile time only)
; SGPRBlocks: 0
; VGPRBlocks: 0
; NumSGPRsForWavesPerEU: 1
; NumVGPRsForWavesPerEU: 1
; Occupancy: 16
; WaveLimiterHint : 0
; COMPUTE_PGM_RSRC2:SCRATCH_EN: 0
; COMPUTE_PGM_RSRC2:USER_SGPR: 6
; COMPUTE_PGM_RSRC2:TRAP_HANDLER: 0
; COMPUTE_PGM_RSRC2:TGID_X_EN: 1
; COMPUTE_PGM_RSRC2:TGID_Y_EN: 0
; COMPUTE_PGM_RSRC2:TGID_Z_EN: 0
; COMPUTE_PGM_RSRC2:TIDIG_COMP_CNT: 0
	.section	.text._ZN7rocprim17ROCPRIM_400000_NS6detail17trampoline_kernelINS0_14default_configENS1_36segmented_radix_sort_config_selectorIhlEEZNS1_25segmented_radix_sort_implIS3_Lb1EPKhPhPKlPlN2at6native12_GLOBAL__N_18offset_tEEE10hipError_tPvRmT1_PNSt15iterator_traitsISK_E10value_typeET2_T3_PNSL_ISQ_E10value_typeET4_jRbjT5_SW_jjP12ihipStream_tbEUlT_E_NS1_11comp_targetILNS1_3genE3ELNS1_11target_archE908ELNS1_3gpuE7ELNS1_3repE0EEENS1_30default_config_static_selectorELNS0_4arch9wavefront6targetE0EEEvSK_,"axG",@progbits,_ZN7rocprim17ROCPRIM_400000_NS6detail17trampoline_kernelINS0_14default_configENS1_36segmented_radix_sort_config_selectorIhlEEZNS1_25segmented_radix_sort_implIS3_Lb1EPKhPhPKlPlN2at6native12_GLOBAL__N_18offset_tEEE10hipError_tPvRmT1_PNSt15iterator_traitsISK_E10value_typeET2_T3_PNSL_ISQ_E10value_typeET4_jRbjT5_SW_jjP12ihipStream_tbEUlT_E_NS1_11comp_targetILNS1_3genE3ELNS1_11target_archE908ELNS1_3gpuE7ELNS1_3repE0EEENS1_30default_config_static_selectorELNS0_4arch9wavefront6targetE0EEEvSK_,comdat
	.globl	_ZN7rocprim17ROCPRIM_400000_NS6detail17trampoline_kernelINS0_14default_configENS1_36segmented_radix_sort_config_selectorIhlEEZNS1_25segmented_radix_sort_implIS3_Lb1EPKhPhPKlPlN2at6native12_GLOBAL__N_18offset_tEEE10hipError_tPvRmT1_PNSt15iterator_traitsISK_E10value_typeET2_T3_PNSL_ISQ_E10value_typeET4_jRbjT5_SW_jjP12ihipStream_tbEUlT_E_NS1_11comp_targetILNS1_3genE3ELNS1_11target_archE908ELNS1_3gpuE7ELNS1_3repE0EEENS1_30default_config_static_selectorELNS0_4arch9wavefront6targetE0EEEvSK_ ; -- Begin function _ZN7rocprim17ROCPRIM_400000_NS6detail17trampoline_kernelINS0_14default_configENS1_36segmented_radix_sort_config_selectorIhlEEZNS1_25segmented_radix_sort_implIS3_Lb1EPKhPhPKlPlN2at6native12_GLOBAL__N_18offset_tEEE10hipError_tPvRmT1_PNSt15iterator_traitsISK_E10value_typeET2_T3_PNSL_ISQ_E10value_typeET4_jRbjT5_SW_jjP12ihipStream_tbEUlT_E_NS1_11comp_targetILNS1_3genE3ELNS1_11target_archE908ELNS1_3gpuE7ELNS1_3repE0EEENS1_30default_config_static_selectorELNS0_4arch9wavefront6targetE0EEEvSK_
	.p2align	8
	.type	_ZN7rocprim17ROCPRIM_400000_NS6detail17trampoline_kernelINS0_14default_configENS1_36segmented_radix_sort_config_selectorIhlEEZNS1_25segmented_radix_sort_implIS3_Lb1EPKhPhPKlPlN2at6native12_GLOBAL__N_18offset_tEEE10hipError_tPvRmT1_PNSt15iterator_traitsISK_E10value_typeET2_T3_PNSL_ISQ_E10value_typeET4_jRbjT5_SW_jjP12ihipStream_tbEUlT_E_NS1_11comp_targetILNS1_3genE3ELNS1_11target_archE908ELNS1_3gpuE7ELNS1_3repE0EEENS1_30default_config_static_selectorELNS0_4arch9wavefront6targetE0EEEvSK_,@function
_ZN7rocprim17ROCPRIM_400000_NS6detail17trampoline_kernelINS0_14default_configENS1_36segmented_radix_sort_config_selectorIhlEEZNS1_25segmented_radix_sort_implIS3_Lb1EPKhPhPKlPlN2at6native12_GLOBAL__N_18offset_tEEE10hipError_tPvRmT1_PNSt15iterator_traitsISK_E10value_typeET2_T3_PNSL_ISQ_E10value_typeET4_jRbjT5_SW_jjP12ihipStream_tbEUlT_E_NS1_11comp_targetILNS1_3genE3ELNS1_11target_archE908ELNS1_3gpuE7ELNS1_3repE0EEENS1_30default_config_static_selectorELNS0_4arch9wavefront6targetE0EEEvSK_: ; @_ZN7rocprim17ROCPRIM_400000_NS6detail17trampoline_kernelINS0_14default_configENS1_36segmented_radix_sort_config_selectorIhlEEZNS1_25segmented_radix_sort_implIS3_Lb1EPKhPhPKlPlN2at6native12_GLOBAL__N_18offset_tEEE10hipError_tPvRmT1_PNSt15iterator_traitsISK_E10value_typeET2_T3_PNSL_ISQ_E10value_typeET4_jRbjT5_SW_jjP12ihipStream_tbEUlT_E_NS1_11comp_targetILNS1_3genE3ELNS1_11target_archE908ELNS1_3gpuE7ELNS1_3repE0EEENS1_30default_config_static_selectorELNS0_4arch9wavefront6targetE0EEEvSK_
; %bb.0:
	.section	.rodata,"a",@progbits
	.p2align	6, 0x0
	.amdhsa_kernel _ZN7rocprim17ROCPRIM_400000_NS6detail17trampoline_kernelINS0_14default_configENS1_36segmented_radix_sort_config_selectorIhlEEZNS1_25segmented_radix_sort_implIS3_Lb1EPKhPhPKlPlN2at6native12_GLOBAL__N_18offset_tEEE10hipError_tPvRmT1_PNSt15iterator_traitsISK_E10value_typeET2_T3_PNSL_ISQ_E10value_typeET4_jRbjT5_SW_jjP12ihipStream_tbEUlT_E_NS1_11comp_targetILNS1_3genE3ELNS1_11target_archE908ELNS1_3gpuE7ELNS1_3repE0EEENS1_30default_config_static_selectorELNS0_4arch9wavefront6targetE0EEEvSK_
		.amdhsa_group_segment_fixed_size 0
		.amdhsa_private_segment_fixed_size 0
		.amdhsa_kernarg_size 96
		.amdhsa_user_sgpr_count 6
		.amdhsa_user_sgpr_private_segment_buffer 1
		.amdhsa_user_sgpr_dispatch_ptr 0
		.amdhsa_user_sgpr_queue_ptr 0
		.amdhsa_user_sgpr_kernarg_segment_ptr 1
		.amdhsa_user_sgpr_dispatch_id 0
		.amdhsa_user_sgpr_flat_scratch_init 0
		.amdhsa_user_sgpr_private_segment_size 0
		.amdhsa_wavefront_size32 1
		.amdhsa_uses_dynamic_stack 0
		.amdhsa_system_sgpr_private_segment_wavefront_offset 0
		.amdhsa_system_sgpr_workgroup_id_x 1
		.amdhsa_system_sgpr_workgroup_id_y 0
		.amdhsa_system_sgpr_workgroup_id_z 0
		.amdhsa_system_sgpr_workgroup_info 0
		.amdhsa_system_vgpr_workitem_id 0
		.amdhsa_next_free_vgpr 1
		.amdhsa_next_free_sgpr 1
		.amdhsa_reserve_vcc 0
		.amdhsa_reserve_flat_scratch 0
		.amdhsa_float_round_mode_32 0
		.amdhsa_float_round_mode_16_64 0
		.amdhsa_float_denorm_mode_32 3
		.amdhsa_float_denorm_mode_16_64 3
		.amdhsa_dx10_clamp 1
		.amdhsa_ieee_mode 1
		.amdhsa_fp16_overflow 0
		.amdhsa_workgroup_processor_mode 1
		.amdhsa_memory_ordered 1
		.amdhsa_forward_progress 1
		.amdhsa_shared_vgpr_count 0
		.amdhsa_exception_fp_ieee_invalid_op 0
		.amdhsa_exception_fp_denorm_src 0
		.amdhsa_exception_fp_ieee_div_zero 0
		.amdhsa_exception_fp_ieee_overflow 0
		.amdhsa_exception_fp_ieee_underflow 0
		.amdhsa_exception_fp_ieee_inexact 0
		.amdhsa_exception_int_div_zero 0
	.end_amdhsa_kernel
	.section	.text._ZN7rocprim17ROCPRIM_400000_NS6detail17trampoline_kernelINS0_14default_configENS1_36segmented_radix_sort_config_selectorIhlEEZNS1_25segmented_radix_sort_implIS3_Lb1EPKhPhPKlPlN2at6native12_GLOBAL__N_18offset_tEEE10hipError_tPvRmT1_PNSt15iterator_traitsISK_E10value_typeET2_T3_PNSL_ISQ_E10value_typeET4_jRbjT5_SW_jjP12ihipStream_tbEUlT_E_NS1_11comp_targetILNS1_3genE3ELNS1_11target_archE908ELNS1_3gpuE7ELNS1_3repE0EEENS1_30default_config_static_selectorELNS0_4arch9wavefront6targetE0EEEvSK_,"axG",@progbits,_ZN7rocprim17ROCPRIM_400000_NS6detail17trampoline_kernelINS0_14default_configENS1_36segmented_radix_sort_config_selectorIhlEEZNS1_25segmented_radix_sort_implIS3_Lb1EPKhPhPKlPlN2at6native12_GLOBAL__N_18offset_tEEE10hipError_tPvRmT1_PNSt15iterator_traitsISK_E10value_typeET2_T3_PNSL_ISQ_E10value_typeET4_jRbjT5_SW_jjP12ihipStream_tbEUlT_E_NS1_11comp_targetILNS1_3genE3ELNS1_11target_archE908ELNS1_3gpuE7ELNS1_3repE0EEENS1_30default_config_static_selectorELNS0_4arch9wavefront6targetE0EEEvSK_,comdat
.Lfunc_end86:
	.size	_ZN7rocprim17ROCPRIM_400000_NS6detail17trampoline_kernelINS0_14default_configENS1_36segmented_radix_sort_config_selectorIhlEEZNS1_25segmented_radix_sort_implIS3_Lb1EPKhPhPKlPlN2at6native12_GLOBAL__N_18offset_tEEE10hipError_tPvRmT1_PNSt15iterator_traitsISK_E10value_typeET2_T3_PNSL_ISQ_E10value_typeET4_jRbjT5_SW_jjP12ihipStream_tbEUlT_E_NS1_11comp_targetILNS1_3genE3ELNS1_11target_archE908ELNS1_3gpuE7ELNS1_3repE0EEENS1_30default_config_static_selectorELNS0_4arch9wavefront6targetE0EEEvSK_, .Lfunc_end86-_ZN7rocprim17ROCPRIM_400000_NS6detail17trampoline_kernelINS0_14default_configENS1_36segmented_radix_sort_config_selectorIhlEEZNS1_25segmented_radix_sort_implIS3_Lb1EPKhPhPKlPlN2at6native12_GLOBAL__N_18offset_tEEE10hipError_tPvRmT1_PNSt15iterator_traitsISK_E10value_typeET2_T3_PNSL_ISQ_E10value_typeET4_jRbjT5_SW_jjP12ihipStream_tbEUlT_E_NS1_11comp_targetILNS1_3genE3ELNS1_11target_archE908ELNS1_3gpuE7ELNS1_3repE0EEENS1_30default_config_static_selectorELNS0_4arch9wavefront6targetE0EEEvSK_
                                        ; -- End function
	.set _ZN7rocprim17ROCPRIM_400000_NS6detail17trampoline_kernelINS0_14default_configENS1_36segmented_radix_sort_config_selectorIhlEEZNS1_25segmented_radix_sort_implIS3_Lb1EPKhPhPKlPlN2at6native12_GLOBAL__N_18offset_tEEE10hipError_tPvRmT1_PNSt15iterator_traitsISK_E10value_typeET2_T3_PNSL_ISQ_E10value_typeET4_jRbjT5_SW_jjP12ihipStream_tbEUlT_E_NS1_11comp_targetILNS1_3genE3ELNS1_11target_archE908ELNS1_3gpuE7ELNS1_3repE0EEENS1_30default_config_static_selectorELNS0_4arch9wavefront6targetE0EEEvSK_.num_vgpr, 0
	.set _ZN7rocprim17ROCPRIM_400000_NS6detail17trampoline_kernelINS0_14default_configENS1_36segmented_radix_sort_config_selectorIhlEEZNS1_25segmented_radix_sort_implIS3_Lb1EPKhPhPKlPlN2at6native12_GLOBAL__N_18offset_tEEE10hipError_tPvRmT1_PNSt15iterator_traitsISK_E10value_typeET2_T3_PNSL_ISQ_E10value_typeET4_jRbjT5_SW_jjP12ihipStream_tbEUlT_E_NS1_11comp_targetILNS1_3genE3ELNS1_11target_archE908ELNS1_3gpuE7ELNS1_3repE0EEENS1_30default_config_static_selectorELNS0_4arch9wavefront6targetE0EEEvSK_.num_agpr, 0
	.set _ZN7rocprim17ROCPRIM_400000_NS6detail17trampoline_kernelINS0_14default_configENS1_36segmented_radix_sort_config_selectorIhlEEZNS1_25segmented_radix_sort_implIS3_Lb1EPKhPhPKlPlN2at6native12_GLOBAL__N_18offset_tEEE10hipError_tPvRmT1_PNSt15iterator_traitsISK_E10value_typeET2_T3_PNSL_ISQ_E10value_typeET4_jRbjT5_SW_jjP12ihipStream_tbEUlT_E_NS1_11comp_targetILNS1_3genE3ELNS1_11target_archE908ELNS1_3gpuE7ELNS1_3repE0EEENS1_30default_config_static_selectorELNS0_4arch9wavefront6targetE0EEEvSK_.numbered_sgpr, 0
	.set _ZN7rocprim17ROCPRIM_400000_NS6detail17trampoline_kernelINS0_14default_configENS1_36segmented_radix_sort_config_selectorIhlEEZNS1_25segmented_radix_sort_implIS3_Lb1EPKhPhPKlPlN2at6native12_GLOBAL__N_18offset_tEEE10hipError_tPvRmT1_PNSt15iterator_traitsISK_E10value_typeET2_T3_PNSL_ISQ_E10value_typeET4_jRbjT5_SW_jjP12ihipStream_tbEUlT_E_NS1_11comp_targetILNS1_3genE3ELNS1_11target_archE908ELNS1_3gpuE7ELNS1_3repE0EEENS1_30default_config_static_selectorELNS0_4arch9wavefront6targetE0EEEvSK_.num_named_barrier, 0
	.set _ZN7rocprim17ROCPRIM_400000_NS6detail17trampoline_kernelINS0_14default_configENS1_36segmented_radix_sort_config_selectorIhlEEZNS1_25segmented_radix_sort_implIS3_Lb1EPKhPhPKlPlN2at6native12_GLOBAL__N_18offset_tEEE10hipError_tPvRmT1_PNSt15iterator_traitsISK_E10value_typeET2_T3_PNSL_ISQ_E10value_typeET4_jRbjT5_SW_jjP12ihipStream_tbEUlT_E_NS1_11comp_targetILNS1_3genE3ELNS1_11target_archE908ELNS1_3gpuE7ELNS1_3repE0EEENS1_30default_config_static_selectorELNS0_4arch9wavefront6targetE0EEEvSK_.private_seg_size, 0
	.set _ZN7rocprim17ROCPRIM_400000_NS6detail17trampoline_kernelINS0_14default_configENS1_36segmented_radix_sort_config_selectorIhlEEZNS1_25segmented_radix_sort_implIS3_Lb1EPKhPhPKlPlN2at6native12_GLOBAL__N_18offset_tEEE10hipError_tPvRmT1_PNSt15iterator_traitsISK_E10value_typeET2_T3_PNSL_ISQ_E10value_typeET4_jRbjT5_SW_jjP12ihipStream_tbEUlT_E_NS1_11comp_targetILNS1_3genE3ELNS1_11target_archE908ELNS1_3gpuE7ELNS1_3repE0EEENS1_30default_config_static_selectorELNS0_4arch9wavefront6targetE0EEEvSK_.uses_vcc, 0
	.set _ZN7rocprim17ROCPRIM_400000_NS6detail17trampoline_kernelINS0_14default_configENS1_36segmented_radix_sort_config_selectorIhlEEZNS1_25segmented_radix_sort_implIS3_Lb1EPKhPhPKlPlN2at6native12_GLOBAL__N_18offset_tEEE10hipError_tPvRmT1_PNSt15iterator_traitsISK_E10value_typeET2_T3_PNSL_ISQ_E10value_typeET4_jRbjT5_SW_jjP12ihipStream_tbEUlT_E_NS1_11comp_targetILNS1_3genE3ELNS1_11target_archE908ELNS1_3gpuE7ELNS1_3repE0EEENS1_30default_config_static_selectorELNS0_4arch9wavefront6targetE0EEEvSK_.uses_flat_scratch, 0
	.set _ZN7rocprim17ROCPRIM_400000_NS6detail17trampoline_kernelINS0_14default_configENS1_36segmented_radix_sort_config_selectorIhlEEZNS1_25segmented_radix_sort_implIS3_Lb1EPKhPhPKlPlN2at6native12_GLOBAL__N_18offset_tEEE10hipError_tPvRmT1_PNSt15iterator_traitsISK_E10value_typeET2_T3_PNSL_ISQ_E10value_typeET4_jRbjT5_SW_jjP12ihipStream_tbEUlT_E_NS1_11comp_targetILNS1_3genE3ELNS1_11target_archE908ELNS1_3gpuE7ELNS1_3repE0EEENS1_30default_config_static_selectorELNS0_4arch9wavefront6targetE0EEEvSK_.has_dyn_sized_stack, 0
	.set _ZN7rocprim17ROCPRIM_400000_NS6detail17trampoline_kernelINS0_14default_configENS1_36segmented_radix_sort_config_selectorIhlEEZNS1_25segmented_radix_sort_implIS3_Lb1EPKhPhPKlPlN2at6native12_GLOBAL__N_18offset_tEEE10hipError_tPvRmT1_PNSt15iterator_traitsISK_E10value_typeET2_T3_PNSL_ISQ_E10value_typeET4_jRbjT5_SW_jjP12ihipStream_tbEUlT_E_NS1_11comp_targetILNS1_3genE3ELNS1_11target_archE908ELNS1_3gpuE7ELNS1_3repE0EEENS1_30default_config_static_selectorELNS0_4arch9wavefront6targetE0EEEvSK_.has_recursion, 0
	.set _ZN7rocprim17ROCPRIM_400000_NS6detail17trampoline_kernelINS0_14default_configENS1_36segmented_radix_sort_config_selectorIhlEEZNS1_25segmented_radix_sort_implIS3_Lb1EPKhPhPKlPlN2at6native12_GLOBAL__N_18offset_tEEE10hipError_tPvRmT1_PNSt15iterator_traitsISK_E10value_typeET2_T3_PNSL_ISQ_E10value_typeET4_jRbjT5_SW_jjP12ihipStream_tbEUlT_E_NS1_11comp_targetILNS1_3genE3ELNS1_11target_archE908ELNS1_3gpuE7ELNS1_3repE0EEENS1_30default_config_static_selectorELNS0_4arch9wavefront6targetE0EEEvSK_.has_indirect_call, 0
	.section	.AMDGPU.csdata,"",@progbits
; Kernel info:
; codeLenInByte = 0
; TotalNumSgprs: 0
; NumVgprs: 0
; ScratchSize: 0
; MemoryBound: 0
; FloatMode: 240
; IeeeMode: 1
; LDSByteSize: 0 bytes/workgroup (compile time only)
; SGPRBlocks: 0
; VGPRBlocks: 0
; NumSGPRsForWavesPerEU: 1
; NumVGPRsForWavesPerEU: 1
; Occupancy: 16
; WaveLimiterHint : 0
; COMPUTE_PGM_RSRC2:SCRATCH_EN: 0
; COMPUTE_PGM_RSRC2:USER_SGPR: 6
; COMPUTE_PGM_RSRC2:TRAP_HANDLER: 0
; COMPUTE_PGM_RSRC2:TGID_X_EN: 1
; COMPUTE_PGM_RSRC2:TGID_Y_EN: 0
; COMPUTE_PGM_RSRC2:TGID_Z_EN: 0
; COMPUTE_PGM_RSRC2:TIDIG_COMP_CNT: 0
	.section	.text._ZN7rocprim17ROCPRIM_400000_NS6detail17trampoline_kernelINS0_14default_configENS1_36segmented_radix_sort_config_selectorIhlEEZNS1_25segmented_radix_sort_implIS3_Lb1EPKhPhPKlPlN2at6native12_GLOBAL__N_18offset_tEEE10hipError_tPvRmT1_PNSt15iterator_traitsISK_E10value_typeET2_T3_PNSL_ISQ_E10value_typeET4_jRbjT5_SW_jjP12ihipStream_tbEUlT_E_NS1_11comp_targetILNS1_3genE2ELNS1_11target_archE906ELNS1_3gpuE6ELNS1_3repE0EEENS1_30default_config_static_selectorELNS0_4arch9wavefront6targetE0EEEvSK_,"axG",@progbits,_ZN7rocprim17ROCPRIM_400000_NS6detail17trampoline_kernelINS0_14default_configENS1_36segmented_radix_sort_config_selectorIhlEEZNS1_25segmented_radix_sort_implIS3_Lb1EPKhPhPKlPlN2at6native12_GLOBAL__N_18offset_tEEE10hipError_tPvRmT1_PNSt15iterator_traitsISK_E10value_typeET2_T3_PNSL_ISQ_E10value_typeET4_jRbjT5_SW_jjP12ihipStream_tbEUlT_E_NS1_11comp_targetILNS1_3genE2ELNS1_11target_archE906ELNS1_3gpuE6ELNS1_3repE0EEENS1_30default_config_static_selectorELNS0_4arch9wavefront6targetE0EEEvSK_,comdat
	.globl	_ZN7rocprim17ROCPRIM_400000_NS6detail17trampoline_kernelINS0_14default_configENS1_36segmented_radix_sort_config_selectorIhlEEZNS1_25segmented_radix_sort_implIS3_Lb1EPKhPhPKlPlN2at6native12_GLOBAL__N_18offset_tEEE10hipError_tPvRmT1_PNSt15iterator_traitsISK_E10value_typeET2_T3_PNSL_ISQ_E10value_typeET4_jRbjT5_SW_jjP12ihipStream_tbEUlT_E_NS1_11comp_targetILNS1_3genE2ELNS1_11target_archE906ELNS1_3gpuE6ELNS1_3repE0EEENS1_30default_config_static_selectorELNS0_4arch9wavefront6targetE0EEEvSK_ ; -- Begin function _ZN7rocprim17ROCPRIM_400000_NS6detail17trampoline_kernelINS0_14default_configENS1_36segmented_radix_sort_config_selectorIhlEEZNS1_25segmented_radix_sort_implIS3_Lb1EPKhPhPKlPlN2at6native12_GLOBAL__N_18offset_tEEE10hipError_tPvRmT1_PNSt15iterator_traitsISK_E10value_typeET2_T3_PNSL_ISQ_E10value_typeET4_jRbjT5_SW_jjP12ihipStream_tbEUlT_E_NS1_11comp_targetILNS1_3genE2ELNS1_11target_archE906ELNS1_3gpuE6ELNS1_3repE0EEENS1_30default_config_static_selectorELNS0_4arch9wavefront6targetE0EEEvSK_
	.p2align	8
	.type	_ZN7rocprim17ROCPRIM_400000_NS6detail17trampoline_kernelINS0_14default_configENS1_36segmented_radix_sort_config_selectorIhlEEZNS1_25segmented_radix_sort_implIS3_Lb1EPKhPhPKlPlN2at6native12_GLOBAL__N_18offset_tEEE10hipError_tPvRmT1_PNSt15iterator_traitsISK_E10value_typeET2_T3_PNSL_ISQ_E10value_typeET4_jRbjT5_SW_jjP12ihipStream_tbEUlT_E_NS1_11comp_targetILNS1_3genE2ELNS1_11target_archE906ELNS1_3gpuE6ELNS1_3repE0EEENS1_30default_config_static_selectorELNS0_4arch9wavefront6targetE0EEEvSK_,@function
_ZN7rocprim17ROCPRIM_400000_NS6detail17trampoline_kernelINS0_14default_configENS1_36segmented_radix_sort_config_selectorIhlEEZNS1_25segmented_radix_sort_implIS3_Lb1EPKhPhPKlPlN2at6native12_GLOBAL__N_18offset_tEEE10hipError_tPvRmT1_PNSt15iterator_traitsISK_E10value_typeET2_T3_PNSL_ISQ_E10value_typeET4_jRbjT5_SW_jjP12ihipStream_tbEUlT_E_NS1_11comp_targetILNS1_3genE2ELNS1_11target_archE906ELNS1_3gpuE6ELNS1_3repE0EEENS1_30default_config_static_selectorELNS0_4arch9wavefront6targetE0EEEvSK_: ; @_ZN7rocprim17ROCPRIM_400000_NS6detail17trampoline_kernelINS0_14default_configENS1_36segmented_radix_sort_config_selectorIhlEEZNS1_25segmented_radix_sort_implIS3_Lb1EPKhPhPKlPlN2at6native12_GLOBAL__N_18offset_tEEE10hipError_tPvRmT1_PNSt15iterator_traitsISK_E10value_typeET2_T3_PNSL_ISQ_E10value_typeET4_jRbjT5_SW_jjP12ihipStream_tbEUlT_E_NS1_11comp_targetILNS1_3genE2ELNS1_11target_archE906ELNS1_3gpuE6ELNS1_3repE0EEENS1_30default_config_static_selectorELNS0_4arch9wavefront6targetE0EEEvSK_
; %bb.0:
	.section	.rodata,"a",@progbits
	.p2align	6, 0x0
	.amdhsa_kernel _ZN7rocprim17ROCPRIM_400000_NS6detail17trampoline_kernelINS0_14default_configENS1_36segmented_radix_sort_config_selectorIhlEEZNS1_25segmented_radix_sort_implIS3_Lb1EPKhPhPKlPlN2at6native12_GLOBAL__N_18offset_tEEE10hipError_tPvRmT1_PNSt15iterator_traitsISK_E10value_typeET2_T3_PNSL_ISQ_E10value_typeET4_jRbjT5_SW_jjP12ihipStream_tbEUlT_E_NS1_11comp_targetILNS1_3genE2ELNS1_11target_archE906ELNS1_3gpuE6ELNS1_3repE0EEENS1_30default_config_static_selectorELNS0_4arch9wavefront6targetE0EEEvSK_
		.amdhsa_group_segment_fixed_size 0
		.amdhsa_private_segment_fixed_size 0
		.amdhsa_kernarg_size 96
		.amdhsa_user_sgpr_count 6
		.amdhsa_user_sgpr_private_segment_buffer 1
		.amdhsa_user_sgpr_dispatch_ptr 0
		.amdhsa_user_sgpr_queue_ptr 0
		.amdhsa_user_sgpr_kernarg_segment_ptr 1
		.amdhsa_user_sgpr_dispatch_id 0
		.amdhsa_user_sgpr_flat_scratch_init 0
		.amdhsa_user_sgpr_private_segment_size 0
		.amdhsa_wavefront_size32 1
		.amdhsa_uses_dynamic_stack 0
		.amdhsa_system_sgpr_private_segment_wavefront_offset 0
		.amdhsa_system_sgpr_workgroup_id_x 1
		.amdhsa_system_sgpr_workgroup_id_y 0
		.amdhsa_system_sgpr_workgroup_id_z 0
		.amdhsa_system_sgpr_workgroup_info 0
		.amdhsa_system_vgpr_workitem_id 0
		.amdhsa_next_free_vgpr 1
		.amdhsa_next_free_sgpr 1
		.amdhsa_reserve_vcc 0
		.amdhsa_reserve_flat_scratch 0
		.amdhsa_float_round_mode_32 0
		.amdhsa_float_round_mode_16_64 0
		.amdhsa_float_denorm_mode_32 3
		.amdhsa_float_denorm_mode_16_64 3
		.amdhsa_dx10_clamp 1
		.amdhsa_ieee_mode 1
		.amdhsa_fp16_overflow 0
		.amdhsa_workgroup_processor_mode 1
		.amdhsa_memory_ordered 1
		.amdhsa_forward_progress 1
		.amdhsa_shared_vgpr_count 0
		.amdhsa_exception_fp_ieee_invalid_op 0
		.amdhsa_exception_fp_denorm_src 0
		.amdhsa_exception_fp_ieee_div_zero 0
		.amdhsa_exception_fp_ieee_overflow 0
		.amdhsa_exception_fp_ieee_underflow 0
		.amdhsa_exception_fp_ieee_inexact 0
		.amdhsa_exception_int_div_zero 0
	.end_amdhsa_kernel
	.section	.text._ZN7rocprim17ROCPRIM_400000_NS6detail17trampoline_kernelINS0_14default_configENS1_36segmented_radix_sort_config_selectorIhlEEZNS1_25segmented_radix_sort_implIS3_Lb1EPKhPhPKlPlN2at6native12_GLOBAL__N_18offset_tEEE10hipError_tPvRmT1_PNSt15iterator_traitsISK_E10value_typeET2_T3_PNSL_ISQ_E10value_typeET4_jRbjT5_SW_jjP12ihipStream_tbEUlT_E_NS1_11comp_targetILNS1_3genE2ELNS1_11target_archE906ELNS1_3gpuE6ELNS1_3repE0EEENS1_30default_config_static_selectorELNS0_4arch9wavefront6targetE0EEEvSK_,"axG",@progbits,_ZN7rocprim17ROCPRIM_400000_NS6detail17trampoline_kernelINS0_14default_configENS1_36segmented_radix_sort_config_selectorIhlEEZNS1_25segmented_radix_sort_implIS3_Lb1EPKhPhPKlPlN2at6native12_GLOBAL__N_18offset_tEEE10hipError_tPvRmT1_PNSt15iterator_traitsISK_E10value_typeET2_T3_PNSL_ISQ_E10value_typeET4_jRbjT5_SW_jjP12ihipStream_tbEUlT_E_NS1_11comp_targetILNS1_3genE2ELNS1_11target_archE906ELNS1_3gpuE6ELNS1_3repE0EEENS1_30default_config_static_selectorELNS0_4arch9wavefront6targetE0EEEvSK_,comdat
.Lfunc_end87:
	.size	_ZN7rocprim17ROCPRIM_400000_NS6detail17trampoline_kernelINS0_14default_configENS1_36segmented_radix_sort_config_selectorIhlEEZNS1_25segmented_radix_sort_implIS3_Lb1EPKhPhPKlPlN2at6native12_GLOBAL__N_18offset_tEEE10hipError_tPvRmT1_PNSt15iterator_traitsISK_E10value_typeET2_T3_PNSL_ISQ_E10value_typeET4_jRbjT5_SW_jjP12ihipStream_tbEUlT_E_NS1_11comp_targetILNS1_3genE2ELNS1_11target_archE906ELNS1_3gpuE6ELNS1_3repE0EEENS1_30default_config_static_selectorELNS0_4arch9wavefront6targetE0EEEvSK_, .Lfunc_end87-_ZN7rocprim17ROCPRIM_400000_NS6detail17trampoline_kernelINS0_14default_configENS1_36segmented_radix_sort_config_selectorIhlEEZNS1_25segmented_radix_sort_implIS3_Lb1EPKhPhPKlPlN2at6native12_GLOBAL__N_18offset_tEEE10hipError_tPvRmT1_PNSt15iterator_traitsISK_E10value_typeET2_T3_PNSL_ISQ_E10value_typeET4_jRbjT5_SW_jjP12ihipStream_tbEUlT_E_NS1_11comp_targetILNS1_3genE2ELNS1_11target_archE906ELNS1_3gpuE6ELNS1_3repE0EEENS1_30default_config_static_selectorELNS0_4arch9wavefront6targetE0EEEvSK_
                                        ; -- End function
	.set _ZN7rocprim17ROCPRIM_400000_NS6detail17trampoline_kernelINS0_14default_configENS1_36segmented_radix_sort_config_selectorIhlEEZNS1_25segmented_radix_sort_implIS3_Lb1EPKhPhPKlPlN2at6native12_GLOBAL__N_18offset_tEEE10hipError_tPvRmT1_PNSt15iterator_traitsISK_E10value_typeET2_T3_PNSL_ISQ_E10value_typeET4_jRbjT5_SW_jjP12ihipStream_tbEUlT_E_NS1_11comp_targetILNS1_3genE2ELNS1_11target_archE906ELNS1_3gpuE6ELNS1_3repE0EEENS1_30default_config_static_selectorELNS0_4arch9wavefront6targetE0EEEvSK_.num_vgpr, 0
	.set _ZN7rocprim17ROCPRIM_400000_NS6detail17trampoline_kernelINS0_14default_configENS1_36segmented_radix_sort_config_selectorIhlEEZNS1_25segmented_radix_sort_implIS3_Lb1EPKhPhPKlPlN2at6native12_GLOBAL__N_18offset_tEEE10hipError_tPvRmT1_PNSt15iterator_traitsISK_E10value_typeET2_T3_PNSL_ISQ_E10value_typeET4_jRbjT5_SW_jjP12ihipStream_tbEUlT_E_NS1_11comp_targetILNS1_3genE2ELNS1_11target_archE906ELNS1_3gpuE6ELNS1_3repE0EEENS1_30default_config_static_selectorELNS0_4arch9wavefront6targetE0EEEvSK_.num_agpr, 0
	.set _ZN7rocprim17ROCPRIM_400000_NS6detail17trampoline_kernelINS0_14default_configENS1_36segmented_radix_sort_config_selectorIhlEEZNS1_25segmented_radix_sort_implIS3_Lb1EPKhPhPKlPlN2at6native12_GLOBAL__N_18offset_tEEE10hipError_tPvRmT1_PNSt15iterator_traitsISK_E10value_typeET2_T3_PNSL_ISQ_E10value_typeET4_jRbjT5_SW_jjP12ihipStream_tbEUlT_E_NS1_11comp_targetILNS1_3genE2ELNS1_11target_archE906ELNS1_3gpuE6ELNS1_3repE0EEENS1_30default_config_static_selectorELNS0_4arch9wavefront6targetE0EEEvSK_.numbered_sgpr, 0
	.set _ZN7rocprim17ROCPRIM_400000_NS6detail17trampoline_kernelINS0_14default_configENS1_36segmented_radix_sort_config_selectorIhlEEZNS1_25segmented_radix_sort_implIS3_Lb1EPKhPhPKlPlN2at6native12_GLOBAL__N_18offset_tEEE10hipError_tPvRmT1_PNSt15iterator_traitsISK_E10value_typeET2_T3_PNSL_ISQ_E10value_typeET4_jRbjT5_SW_jjP12ihipStream_tbEUlT_E_NS1_11comp_targetILNS1_3genE2ELNS1_11target_archE906ELNS1_3gpuE6ELNS1_3repE0EEENS1_30default_config_static_selectorELNS0_4arch9wavefront6targetE0EEEvSK_.num_named_barrier, 0
	.set _ZN7rocprim17ROCPRIM_400000_NS6detail17trampoline_kernelINS0_14default_configENS1_36segmented_radix_sort_config_selectorIhlEEZNS1_25segmented_radix_sort_implIS3_Lb1EPKhPhPKlPlN2at6native12_GLOBAL__N_18offset_tEEE10hipError_tPvRmT1_PNSt15iterator_traitsISK_E10value_typeET2_T3_PNSL_ISQ_E10value_typeET4_jRbjT5_SW_jjP12ihipStream_tbEUlT_E_NS1_11comp_targetILNS1_3genE2ELNS1_11target_archE906ELNS1_3gpuE6ELNS1_3repE0EEENS1_30default_config_static_selectorELNS0_4arch9wavefront6targetE0EEEvSK_.private_seg_size, 0
	.set _ZN7rocprim17ROCPRIM_400000_NS6detail17trampoline_kernelINS0_14default_configENS1_36segmented_radix_sort_config_selectorIhlEEZNS1_25segmented_radix_sort_implIS3_Lb1EPKhPhPKlPlN2at6native12_GLOBAL__N_18offset_tEEE10hipError_tPvRmT1_PNSt15iterator_traitsISK_E10value_typeET2_T3_PNSL_ISQ_E10value_typeET4_jRbjT5_SW_jjP12ihipStream_tbEUlT_E_NS1_11comp_targetILNS1_3genE2ELNS1_11target_archE906ELNS1_3gpuE6ELNS1_3repE0EEENS1_30default_config_static_selectorELNS0_4arch9wavefront6targetE0EEEvSK_.uses_vcc, 0
	.set _ZN7rocprim17ROCPRIM_400000_NS6detail17trampoline_kernelINS0_14default_configENS1_36segmented_radix_sort_config_selectorIhlEEZNS1_25segmented_radix_sort_implIS3_Lb1EPKhPhPKlPlN2at6native12_GLOBAL__N_18offset_tEEE10hipError_tPvRmT1_PNSt15iterator_traitsISK_E10value_typeET2_T3_PNSL_ISQ_E10value_typeET4_jRbjT5_SW_jjP12ihipStream_tbEUlT_E_NS1_11comp_targetILNS1_3genE2ELNS1_11target_archE906ELNS1_3gpuE6ELNS1_3repE0EEENS1_30default_config_static_selectorELNS0_4arch9wavefront6targetE0EEEvSK_.uses_flat_scratch, 0
	.set _ZN7rocprim17ROCPRIM_400000_NS6detail17trampoline_kernelINS0_14default_configENS1_36segmented_radix_sort_config_selectorIhlEEZNS1_25segmented_radix_sort_implIS3_Lb1EPKhPhPKlPlN2at6native12_GLOBAL__N_18offset_tEEE10hipError_tPvRmT1_PNSt15iterator_traitsISK_E10value_typeET2_T3_PNSL_ISQ_E10value_typeET4_jRbjT5_SW_jjP12ihipStream_tbEUlT_E_NS1_11comp_targetILNS1_3genE2ELNS1_11target_archE906ELNS1_3gpuE6ELNS1_3repE0EEENS1_30default_config_static_selectorELNS0_4arch9wavefront6targetE0EEEvSK_.has_dyn_sized_stack, 0
	.set _ZN7rocprim17ROCPRIM_400000_NS6detail17trampoline_kernelINS0_14default_configENS1_36segmented_radix_sort_config_selectorIhlEEZNS1_25segmented_radix_sort_implIS3_Lb1EPKhPhPKlPlN2at6native12_GLOBAL__N_18offset_tEEE10hipError_tPvRmT1_PNSt15iterator_traitsISK_E10value_typeET2_T3_PNSL_ISQ_E10value_typeET4_jRbjT5_SW_jjP12ihipStream_tbEUlT_E_NS1_11comp_targetILNS1_3genE2ELNS1_11target_archE906ELNS1_3gpuE6ELNS1_3repE0EEENS1_30default_config_static_selectorELNS0_4arch9wavefront6targetE0EEEvSK_.has_recursion, 0
	.set _ZN7rocprim17ROCPRIM_400000_NS6detail17trampoline_kernelINS0_14default_configENS1_36segmented_radix_sort_config_selectorIhlEEZNS1_25segmented_radix_sort_implIS3_Lb1EPKhPhPKlPlN2at6native12_GLOBAL__N_18offset_tEEE10hipError_tPvRmT1_PNSt15iterator_traitsISK_E10value_typeET2_T3_PNSL_ISQ_E10value_typeET4_jRbjT5_SW_jjP12ihipStream_tbEUlT_E_NS1_11comp_targetILNS1_3genE2ELNS1_11target_archE906ELNS1_3gpuE6ELNS1_3repE0EEENS1_30default_config_static_selectorELNS0_4arch9wavefront6targetE0EEEvSK_.has_indirect_call, 0
	.section	.AMDGPU.csdata,"",@progbits
; Kernel info:
; codeLenInByte = 0
; TotalNumSgprs: 0
; NumVgprs: 0
; ScratchSize: 0
; MemoryBound: 0
; FloatMode: 240
; IeeeMode: 1
; LDSByteSize: 0 bytes/workgroup (compile time only)
; SGPRBlocks: 0
; VGPRBlocks: 0
; NumSGPRsForWavesPerEU: 1
; NumVGPRsForWavesPerEU: 1
; Occupancy: 16
; WaveLimiterHint : 0
; COMPUTE_PGM_RSRC2:SCRATCH_EN: 0
; COMPUTE_PGM_RSRC2:USER_SGPR: 6
; COMPUTE_PGM_RSRC2:TRAP_HANDLER: 0
; COMPUTE_PGM_RSRC2:TGID_X_EN: 1
; COMPUTE_PGM_RSRC2:TGID_Y_EN: 0
; COMPUTE_PGM_RSRC2:TGID_Z_EN: 0
; COMPUTE_PGM_RSRC2:TIDIG_COMP_CNT: 0
	.section	.text._ZN7rocprim17ROCPRIM_400000_NS6detail17trampoline_kernelINS0_14default_configENS1_36segmented_radix_sort_config_selectorIhlEEZNS1_25segmented_radix_sort_implIS3_Lb1EPKhPhPKlPlN2at6native12_GLOBAL__N_18offset_tEEE10hipError_tPvRmT1_PNSt15iterator_traitsISK_E10value_typeET2_T3_PNSL_ISQ_E10value_typeET4_jRbjT5_SW_jjP12ihipStream_tbEUlT_E_NS1_11comp_targetILNS1_3genE10ELNS1_11target_archE1201ELNS1_3gpuE5ELNS1_3repE0EEENS1_30default_config_static_selectorELNS0_4arch9wavefront6targetE0EEEvSK_,"axG",@progbits,_ZN7rocprim17ROCPRIM_400000_NS6detail17trampoline_kernelINS0_14default_configENS1_36segmented_radix_sort_config_selectorIhlEEZNS1_25segmented_radix_sort_implIS3_Lb1EPKhPhPKlPlN2at6native12_GLOBAL__N_18offset_tEEE10hipError_tPvRmT1_PNSt15iterator_traitsISK_E10value_typeET2_T3_PNSL_ISQ_E10value_typeET4_jRbjT5_SW_jjP12ihipStream_tbEUlT_E_NS1_11comp_targetILNS1_3genE10ELNS1_11target_archE1201ELNS1_3gpuE5ELNS1_3repE0EEENS1_30default_config_static_selectorELNS0_4arch9wavefront6targetE0EEEvSK_,comdat
	.globl	_ZN7rocprim17ROCPRIM_400000_NS6detail17trampoline_kernelINS0_14default_configENS1_36segmented_radix_sort_config_selectorIhlEEZNS1_25segmented_radix_sort_implIS3_Lb1EPKhPhPKlPlN2at6native12_GLOBAL__N_18offset_tEEE10hipError_tPvRmT1_PNSt15iterator_traitsISK_E10value_typeET2_T3_PNSL_ISQ_E10value_typeET4_jRbjT5_SW_jjP12ihipStream_tbEUlT_E_NS1_11comp_targetILNS1_3genE10ELNS1_11target_archE1201ELNS1_3gpuE5ELNS1_3repE0EEENS1_30default_config_static_selectorELNS0_4arch9wavefront6targetE0EEEvSK_ ; -- Begin function _ZN7rocprim17ROCPRIM_400000_NS6detail17trampoline_kernelINS0_14default_configENS1_36segmented_radix_sort_config_selectorIhlEEZNS1_25segmented_radix_sort_implIS3_Lb1EPKhPhPKlPlN2at6native12_GLOBAL__N_18offset_tEEE10hipError_tPvRmT1_PNSt15iterator_traitsISK_E10value_typeET2_T3_PNSL_ISQ_E10value_typeET4_jRbjT5_SW_jjP12ihipStream_tbEUlT_E_NS1_11comp_targetILNS1_3genE10ELNS1_11target_archE1201ELNS1_3gpuE5ELNS1_3repE0EEENS1_30default_config_static_selectorELNS0_4arch9wavefront6targetE0EEEvSK_
	.p2align	8
	.type	_ZN7rocprim17ROCPRIM_400000_NS6detail17trampoline_kernelINS0_14default_configENS1_36segmented_radix_sort_config_selectorIhlEEZNS1_25segmented_radix_sort_implIS3_Lb1EPKhPhPKlPlN2at6native12_GLOBAL__N_18offset_tEEE10hipError_tPvRmT1_PNSt15iterator_traitsISK_E10value_typeET2_T3_PNSL_ISQ_E10value_typeET4_jRbjT5_SW_jjP12ihipStream_tbEUlT_E_NS1_11comp_targetILNS1_3genE10ELNS1_11target_archE1201ELNS1_3gpuE5ELNS1_3repE0EEENS1_30default_config_static_selectorELNS0_4arch9wavefront6targetE0EEEvSK_,@function
_ZN7rocprim17ROCPRIM_400000_NS6detail17trampoline_kernelINS0_14default_configENS1_36segmented_radix_sort_config_selectorIhlEEZNS1_25segmented_radix_sort_implIS3_Lb1EPKhPhPKlPlN2at6native12_GLOBAL__N_18offset_tEEE10hipError_tPvRmT1_PNSt15iterator_traitsISK_E10value_typeET2_T3_PNSL_ISQ_E10value_typeET4_jRbjT5_SW_jjP12ihipStream_tbEUlT_E_NS1_11comp_targetILNS1_3genE10ELNS1_11target_archE1201ELNS1_3gpuE5ELNS1_3repE0EEENS1_30default_config_static_selectorELNS0_4arch9wavefront6targetE0EEEvSK_: ; @_ZN7rocprim17ROCPRIM_400000_NS6detail17trampoline_kernelINS0_14default_configENS1_36segmented_radix_sort_config_selectorIhlEEZNS1_25segmented_radix_sort_implIS3_Lb1EPKhPhPKlPlN2at6native12_GLOBAL__N_18offset_tEEE10hipError_tPvRmT1_PNSt15iterator_traitsISK_E10value_typeET2_T3_PNSL_ISQ_E10value_typeET4_jRbjT5_SW_jjP12ihipStream_tbEUlT_E_NS1_11comp_targetILNS1_3genE10ELNS1_11target_archE1201ELNS1_3gpuE5ELNS1_3repE0EEENS1_30default_config_static_selectorELNS0_4arch9wavefront6targetE0EEEvSK_
; %bb.0:
	.section	.rodata,"a",@progbits
	.p2align	6, 0x0
	.amdhsa_kernel _ZN7rocprim17ROCPRIM_400000_NS6detail17trampoline_kernelINS0_14default_configENS1_36segmented_radix_sort_config_selectorIhlEEZNS1_25segmented_radix_sort_implIS3_Lb1EPKhPhPKlPlN2at6native12_GLOBAL__N_18offset_tEEE10hipError_tPvRmT1_PNSt15iterator_traitsISK_E10value_typeET2_T3_PNSL_ISQ_E10value_typeET4_jRbjT5_SW_jjP12ihipStream_tbEUlT_E_NS1_11comp_targetILNS1_3genE10ELNS1_11target_archE1201ELNS1_3gpuE5ELNS1_3repE0EEENS1_30default_config_static_selectorELNS0_4arch9wavefront6targetE0EEEvSK_
		.amdhsa_group_segment_fixed_size 0
		.amdhsa_private_segment_fixed_size 0
		.amdhsa_kernarg_size 96
		.amdhsa_user_sgpr_count 6
		.amdhsa_user_sgpr_private_segment_buffer 1
		.amdhsa_user_sgpr_dispatch_ptr 0
		.amdhsa_user_sgpr_queue_ptr 0
		.amdhsa_user_sgpr_kernarg_segment_ptr 1
		.amdhsa_user_sgpr_dispatch_id 0
		.amdhsa_user_sgpr_flat_scratch_init 0
		.amdhsa_user_sgpr_private_segment_size 0
		.amdhsa_wavefront_size32 1
		.amdhsa_uses_dynamic_stack 0
		.amdhsa_system_sgpr_private_segment_wavefront_offset 0
		.amdhsa_system_sgpr_workgroup_id_x 1
		.amdhsa_system_sgpr_workgroup_id_y 0
		.amdhsa_system_sgpr_workgroup_id_z 0
		.amdhsa_system_sgpr_workgroup_info 0
		.amdhsa_system_vgpr_workitem_id 0
		.amdhsa_next_free_vgpr 1
		.amdhsa_next_free_sgpr 1
		.amdhsa_reserve_vcc 0
		.amdhsa_reserve_flat_scratch 0
		.amdhsa_float_round_mode_32 0
		.amdhsa_float_round_mode_16_64 0
		.amdhsa_float_denorm_mode_32 3
		.amdhsa_float_denorm_mode_16_64 3
		.amdhsa_dx10_clamp 1
		.amdhsa_ieee_mode 1
		.amdhsa_fp16_overflow 0
		.amdhsa_workgroup_processor_mode 1
		.amdhsa_memory_ordered 1
		.amdhsa_forward_progress 1
		.amdhsa_shared_vgpr_count 0
		.amdhsa_exception_fp_ieee_invalid_op 0
		.amdhsa_exception_fp_denorm_src 0
		.amdhsa_exception_fp_ieee_div_zero 0
		.amdhsa_exception_fp_ieee_overflow 0
		.amdhsa_exception_fp_ieee_underflow 0
		.amdhsa_exception_fp_ieee_inexact 0
		.amdhsa_exception_int_div_zero 0
	.end_amdhsa_kernel
	.section	.text._ZN7rocprim17ROCPRIM_400000_NS6detail17trampoline_kernelINS0_14default_configENS1_36segmented_radix_sort_config_selectorIhlEEZNS1_25segmented_radix_sort_implIS3_Lb1EPKhPhPKlPlN2at6native12_GLOBAL__N_18offset_tEEE10hipError_tPvRmT1_PNSt15iterator_traitsISK_E10value_typeET2_T3_PNSL_ISQ_E10value_typeET4_jRbjT5_SW_jjP12ihipStream_tbEUlT_E_NS1_11comp_targetILNS1_3genE10ELNS1_11target_archE1201ELNS1_3gpuE5ELNS1_3repE0EEENS1_30default_config_static_selectorELNS0_4arch9wavefront6targetE0EEEvSK_,"axG",@progbits,_ZN7rocprim17ROCPRIM_400000_NS6detail17trampoline_kernelINS0_14default_configENS1_36segmented_radix_sort_config_selectorIhlEEZNS1_25segmented_radix_sort_implIS3_Lb1EPKhPhPKlPlN2at6native12_GLOBAL__N_18offset_tEEE10hipError_tPvRmT1_PNSt15iterator_traitsISK_E10value_typeET2_T3_PNSL_ISQ_E10value_typeET4_jRbjT5_SW_jjP12ihipStream_tbEUlT_E_NS1_11comp_targetILNS1_3genE10ELNS1_11target_archE1201ELNS1_3gpuE5ELNS1_3repE0EEENS1_30default_config_static_selectorELNS0_4arch9wavefront6targetE0EEEvSK_,comdat
.Lfunc_end88:
	.size	_ZN7rocprim17ROCPRIM_400000_NS6detail17trampoline_kernelINS0_14default_configENS1_36segmented_radix_sort_config_selectorIhlEEZNS1_25segmented_radix_sort_implIS3_Lb1EPKhPhPKlPlN2at6native12_GLOBAL__N_18offset_tEEE10hipError_tPvRmT1_PNSt15iterator_traitsISK_E10value_typeET2_T3_PNSL_ISQ_E10value_typeET4_jRbjT5_SW_jjP12ihipStream_tbEUlT_E_NS1_11comp_targetILNS1_3genE10ELNS1_11target_archE1201ELNS1_3gpuE5ELNS1_3repE0EEENS1_30default_config_static_selectorELNS0_4arch9wavefront6targetE0EEEvSK_, .Lfunc_end88-_ZN7rocprim17ROCPRIM_400000_NS6detail17trampoline_kernelINS0_14default_configENS1_36segmented_radix_sort_config_selectorIhlEEZNS1_25segmented_radix_sort_implIS3_Lb1EPKhPhPKlPlN2at6native12_GLOBAL__N_18offset_tEEE10hipError_tPvRmT1_PNSt15iterator_traitsISK_E10value_typeET2_T3_PNSL_ISQ_E10value_typeET4_jRbjT5_SW_jjP12ihipStream_tbEUlT_E_NS1_11comp_targetILNS1_3genE10ELNS1_11target_archE1201ELNS1_3gpuE5ELNS1_3repE0EEENS1_30default_config_static_selectorELNS0_4arch9wavefront6targetE0EEEvSK_
                                        ; -- End function
	.set _ZN7rocprim17ROCPRIM_400000_NS6detail17trampoline_kernelINS0_14default_configENS1_36segmented_radix_sort_config_selectorIhlEEZNS1_25segmented_radix_sort_implIS3_Lb1EPKhPhPKlPlN2at6native12_GLOBAL__N_18offset_tEEE10hipError_tPvRmT1_PNSt15iterator_traitsISK_E10value_typeET2_T3_PNSL_ISQ_E10value_typeET4_jRbjT5_SW_jjP12ihipStream_tbEUlT_E_NS1_11comp_targetILNS1_3genE10ELNS1_11target_archE1201ELNS1_3gpuE5ELNS1_3repE0EEENS1_30default_config_static_selectorELNS0_4arch9wavefront6targetE0EEEvSK_.num_vgpr, 0
	.set _ZN7rocprim17ROCPRIM_400000_NS6detail17trampoline_kernelINS0_14default_configENS1_36segmented_radix_sort_config_selectorIhlEEZNS1_25segmented_radix_sort_implIS3_Lb1EPKhPhPKlPlN2at6native12_GLOBAL__N_18offset_tEEE10hipError_tPvRmT1_PNSt15iterator_traitsISK_E10value_typeET2_T3_PNSL_ISQ_E10value_typeET4_jRbjT5_SW_jjP12ihipStream_tbEUlT_E_NS1_11comp_targetILNS1_3genE10ELNS1_11target_archE1201ELNS1_3gpuE5ELNS1_3repE0EEENS1_30default_config_static_selectorELNS0_4arch9wavefront6targetE0EEEvSK_.num_agpr, 0
	.set _ZN7rocprim17ROCPRIM_400000_NS6detail17trampoline_kernelINS0_14default_configENS1_36segmented_radix_sort_config_selectorIhlEEZNS1_25segmented_radix_sort_implIS3_Lb1EPKhPhPKlPlN2at6native12_GLOBAL__N_18offset_tEEE10hipError_tPvRmT1_PNSt15iterator_traitsISK_E10value_typeET2_T3_PNSL_ISQ_E10value_typeET4_jRbjT5_SW_jjP12ihipStream_tbEUlT_E_NS1_11comp_targetILNS1_3genE10ELNS1_11target_archE1201ELNS1_3gpuE5ELNS1_3repE0EEENS1_30default_config_static_selectorELNS0_4arch9wavefront6targetE0EEEvSK_.numbered_sgpr, 0
	.set _ZN7rocprim17ROCPRIM_400000_NS6detail17trampoline_kernelINS0_14default_configENS1_36segmented_radix_sort_config_selectorIhlEEZNS1_25segmented_radix_sort_implIS3_Lb1EPKhPhPKlPlN2at6native12_GLOBAL__N_18offset_tEEE10hipError_tPvRmT1_PNSt15iterator_traitsISK_E10value_typeET2_T3_PNSL_ISQ_E10value_typeET4_jRbjT5_SW_jjP12ihipStream_tbEUlT_E_NS1_11comp_targetILNS1_3genE10ELNS1_11target_archE1201ELNS1_3gpuE5ELNS1_3repE0EEENS1_30default_config_static_selectorELNS0_4arch9wavefront6targetE0EEEvSK_.num_named_barrier, 0
	.set _ZN7rocprim17ROCPRIM_400000_NS6detail17trampoline_kernelINS0_14default_configENS1_36segmented_radix_sort_config_selectorIhlEEZNS1_25segmented_radix_sort_implIS3_Lb1EPKhPhPKlPlN2at6native12_GLOBAL__N_18offset_tEEE10hipError_tPvRmT1_PNSt15iterator_traitsISK_E10value_typeET2_T3_PNSL_ISQ_E10value_typeET4_jRbjT5_SW_jjP12ihipStream_tbEUlT_E_NS1_11comp_targetILNS1_3genE10ELNS1_11target_archE1201ELNS1_3gpuE5ELNS1_3repE0EEENS1_30default_config_static_selectorELNS0_4arch9wavefront6targetE0EEEvSK_.private_seg_size, 0
	.set _ZN7rocprim17ROCPRIM_400000_NS6detail17trampoline_kernelINS0_14default_configENS1_36segmented_radix_sort_config_selectorIhlEEZNS1_25segmented_radix_sort_implIS3_Lb1EPKhPhPKlPlN2at6native12_GLOBAL__N_18offset_tEEE10hipError_tPvRmT1_PNSt15iterator_traitsISK_E10value_typeET2_T3_PNSL_ISQ_E10value_typeET4_jRbjT5_SW_jjP12ihipStream_tbEUlT_E_NS1_11comp_targetILNS1_3genE10ELNS1_11target_archE1201ELNS1_3gpuE5ELNS1_3repE0EEENS1_30default_config_static_selectorELNS0_4arch9wavefront6targetE0EEEvSK_.uses_vcc, 0
	.set _ZN7rocprim17ROCPRIM_400000_NS6detail17trampoline_kernelINS0_14default_configENS1_36segmented_radix_sort_config_selectorIhlEEZNS1_25segmented_radix_sort_implIS3_Lb1EPKhPhPKlPlN2at6native12_GLOBAL__N_18offset_tEEE10hipError_tPvRmT1_PNSt15iterator_traitsISK_E10value_typeET2_T3_PNSL_ISQ_E10value_typeET4_jRbjT5_SW_jjP12ihipStream_tbEUlT_E_NS1_11comp_targetILNS1_3genE10ELNS1_11target_archE1201ELNS1_3gpuE5ELNS1_3repE0EEENS1_30default_config_static_selectorELNS0_4arch9wavefront6targetE0EEEvSK_.uses_flat_scratch, 0
	.set _ZN7rocprim17ROCPRIM_400000_NS6detail17trampoline_kernelINS0_14default_configENS1_36segmented_radix_sort_config_selectorIhlEEZNS1_25segmented_radix_sort_implIS3_Lb1EPKhPhPKlPlN2at6native12_GLOBAL__N_18offset_tEEE10hipError_tPvRmT1_PNSt15iterator_traitsISK_E10value_typeET2_T3_PNSL_ISQ_E10value_typeET4_jRbjT5_SW_jjP12ihipStream_tbEUlT_E_NS1_11comp_targetILNS1_3genE10ELNS1_11target_archE1201ELNS1_3gpuE5ELNS1_3repE0EEENS1_30default_config_static_selectorELNS0_4arch9wavefront6targetE0EEEvSK_.has_dyn_sized_stack, 0
	.set _ZN7rocprim17ROCPRIM_400000_NS6detail17trampoline_kernelINS0_14default_configENS1_36segmented_radix_sort_config_selectorIhlEEZNS1_25segmented_radix_sort_implIS3_Lb1EPKhPhPKlPlN2at6native12_GLOBAL__N_18offset_tEEE10hipError_tPvRmT1_PNSt15iterator_traitsISK_E10value_typeET2_T3_PNSL_ISQ_E10value_typeET4_jRbjT5_SW_jjP12ihipStream_tbEUlT_E_NS1_11comp_targetILNS1_3genE10ELNS1_11target_archE1201ELNS1_3gpuE5ELNS1_3repE0EEENS1_30default_config_static_selectorELNS0_4arch9wavefront6targetE0EEEvSK_.has_recursion, 0
	.set _ZN7rocprim17ROCPRIM_400000_NS6detail17trampoline_kernelINS0_14default_configENS1_36segmented_radix_sort_config_selectorIhlEEZNS1_25segmented_radix_sort_implIS3_Lb1EPKhPhPKlPlN2at6native12_GLOBAL__N_18offset_tEEE10hipError_tPvRmT1_PNSt15iterator_traitsISK_E10value_typeET2_T3_PNSL_ISQ_E10value_typeET4_jRbjT5_SW_jjP12ihipStream_tbEUlT_E_NS1_11comp_targetILNS1_3genE10ELNS1_11target_archE1201ELNS1_3gpuE5ELNS1_3repE0EEENS1_30default_config_static_selectorELNS0_4arch9wavefront6targetE0EEEvSK_.has_indirect_call, 0
	.section	.AMDGPU.csdata,"",@progbits
; Kernel info:
; codeLenInByte = 0
; TotalNumSgprs: 0
; NumVgprs: 0
; ScratchSize: 0
; MemoryBound: 0
; FloatMode: 240
; IeeeMode: 1
; LDSByteSize: 0 bytes/workgroup (compile time only)
; SGPRBlocks: 0
; VGPRBlocks: 0
; NumSGPRsForWavesPerEU: 1
; NumVGPRsForWavesPerEU: 1
; Occupancy: 16
; WaveLimiterHint : 0
; COMPUTE_PGM_RSRC2:SCRATCH_EN: 0
; COMPUTE_PGM_RSRC2:USER_SGPR: 6
; COMPUTE_PGM_RSRC2:TRAP_HANDLER: 0
; COMPUTE_PGM_RSRC2:TGID_X_EN: 1
; COMPUTE_PGM_RSRC2:TGID_Y_EN: 0
; COMPUTE_PGM_RSRC2:TGID_Z_EN: 0
; COMPUTE_PGM_RSRC2:TIDIG_COMP_CNT: 0
	.section	.text._ZN7rocprim17ROCPRIM_400000_NS6detail17trampoline_kernelINS0_14default_configENS1_36segmented_radix_sort_config_selectorIhlEEZNS1_25segmented_radix_sort_implIS3_Lb1EPKhPhPKlPlN2at6native12_GLOBAL__N_18offset_tEEE10hipError_tPvRmT1_PNSt15iterator_traitsISK_E10value_typeET2_T3_PNSL_ISQ_E10value_typeET4_jRbjT5_SW_jjP12ihipStream_tbEUlT_E_NS1_11comp_targetILNS1_3genE10ELNS1_11target_archE1200ELNS1_3gpuE4ELNS1_3repE0EEENS1_30default_config_static_selectorELNS0_4arch9wavefront6targetE0EEEvSK_,"axG",@progbits,_ZN7rocprim17ROCPRIM_400000_NS6detail17trampoline_kernelINS0_14default_configENS1_36segmented_radix_sort_config_selectorIhlEEZNS1_25segmented_radix_sort_implIS3_Lb1EPKhPhPKlPlN2at6native12_GLOBAL__N_18offset_tEEE10hipError_tPvRmT1_PNSt15iterator_traitsISK_E10value_typeET2_T3_PNSL_ISQ_E10value_typeET4_jRbjT5_SW_jjP12ihipStream_tbEUlT_E_NS1_11comp_targetILNS1_3genE10ELNS1_11target_archE1200ELNS1_3gpuE4ELNS1_3repE0EEENS1_30default_config_static_selectorELNS0_4arch9wavefront6targetE0EEEvSK_,comdat
	.globl	_ZN7rocprim17ROCPRIM_400000_NS6detail17trampoline_kernelINS0_14default_configENS1_36segmented_radix_sort_config_selectorIhlEEZNS1_25segmented_radix_sort_implIS3_Lb1EPKhPhPKlPlN2at6native12_GLOBAL__N_18offset_tEEE10hipError_tPvRmT1_PNSt15iterator_traitsISK_E10value_typeET2_T3_PNSL_ISQ_E10value_typeET4_jRbjT5_SW_jjP12ihipStream_tbEUlT_E_NS1_11comp_targetILNS1_3genE10ELNS1_11target_archE1200ELNS1_3gpuE4ELNS1_3repE0EEENS1_30default_config_static_selectorELNS0_4arch9wavefront6targetE0EEEvSK_ ; -- Begin function _ZN7rocprim17ROCPRIM_400000_NS6detail17trampoline_kernelINS0_14default_configENS1_36segmented_radix_sort_config_selectorIhlEEZNS1_25segmented_radix_sort_implIS3_Lb1EPKhPhPKlPlN2at6native12_GLOBAL__N_18offset_tEEE10hipError_tPvRmT1_PNSt15iterator_traitsISK_E10value_typeET2_T3_PNSL_ISQ_E10value_typeET4_jRbjT5_SW_jjP12ihipStream_tbEUlT_E_NS1_11comp_targetILNS1_3genE10ELNS1_11target_archE1200ELNS1_3gpuE4ELNS1_3repE0EEENS1_30default_config_static_selectorELNS0_4arch9wavefront6targetE0EEEvSK_
	.p2align	8
	.type	_ZN7rocprim17ROCPRIM_400000_NS6detail17trampoline_kernelINS0_14default_configENS1_36segmented_radix_sort_config_selectorIhlEEZNS1_25segmented_radix_sort_implIS3_Lb1EPKhPhPKlPlN2at6native12_GLOBAL__N_18offset_tEEE10hipError_tPvRmT1_PNSt15iterator_traitsISK_E10value_typeET2_T3_PNSL_ISQ_E10value_typeET4_jRbjT5_SW_jjP12ihipStream_tbEUlT_E_NS1_11comp_targetILNS1_3genE10ELNS1_11target_archE1200ELNS1_3gpuE4ELNS1_3repE0EEENS1_30default_config_static_selectorELNS0_4arch9wavefront6targetE0EEEvSK_,@function
_ZN7rocprim17ROCPRIM_400000_NS6detail17trampoline_kernelINS0_14default_configENS1_36segmented_radix_sort_config_selectorIhlEEZNS1_25segmented_radix_sort_implIS3_Lb1EPKhPhPKlPlN2at6native12_GLOBAL__N_18offset_tEEE10hipError_tPvRmT1_PNSt15iterator_traitsISK_E10value_typeET2_T3_PNSL_ISQ_E10value_typeET4_jRbjT5_SW_jjP12ihipStream_tbEUlT_E_NS1_11comp_targetILNS1_3genE10ELNS1_11target_archE1200ELNS1_3gpuE4ELNS1_3repE0EEENS1_30default_config_static_selectorELNS0_4arch9wavefront6targetE0EEEvSK_: ; @_ZN7rocprim17ROCPRIM_400000_NS6detail17trampoline_kernelINS0_14default_configENS1_36segmented_radix_sort_config_selectorIhlEEZNS1_25segmented_radix_sort_implIS3_Lb1EPKhPhPKlPlN2at6native12_GLOBAL__N_18offset_tEEE10hipError_tPvRmT1_PNSt15iterator_traitsISK_E10value_typeET2_T3_PNSL_ISQ_E10value_typeET4_jRbjT5_SW_jjP12ihipStream_tbEUlT_E_NS1_11comp_targetILNS1_3genE10ELNS1_11target_archE1200ELNS1_3gpuE4ELNS1_3repE0EEENS1_30default_config_static_selectorELNS0_4arch9wavefront6targetE0EEEvSK_
; %bb.0:
	.section	.rodata,"a",@progbits
	.p2align	6, 0x0
	.amdhsa_kernel _ZN7rocprim17ROCPRIM_400000_NS6detail17trampoline_kernelINS0_14default_configENS1_36segmented_radix_sort_config_selectorIhlEEZNS1_25segmented_radix_sort_implIS3_Lb1EPKhPhPKlPlN2at6native12_GLOBAL__N_18offset_tEEE10hipError_tPvRmT1_PNSt15iterator_traitsISK_E10value_typeET2_T3_PNSL_ISQ_E10value_typeET4_jRbjT5_SW_jjP12ihipStream_tbEUlT_E_NS1_11comp_targetILNS1_3genE10ELNS1_11target_archE1200ELNS1_3gpuE4ELNS1_3repE0EEENS1_30default_config_static_selectorELNS0_4arch9wavefront6targetE0EEEvSK_
		.amdhsa_group_segment_fixed_size 0
		.amdhsa_private_segment_fixed_size 0
		.amdhsa_kernarg_size 96
		.amdhsa_user_sgpr_count 6
		.amdhsa_user_sgpr_private_segment_buffer 1
		.amdhsa_user_sgpr_dispatch_ptr 0
		.amdhsa_user_sgpr_queue_ptr 0
		.amdhsa_user_sgpr_kernarg_segment_ptr 1
		.amdhsa_user_sgpr_dispatch_id 0
		.amdhsa_user_sgpr_flat_scratch_init 0
		.amdhsa_user_sgpr_private_segment_size 0
		.amdhsa_wavefront_size32 1
		.amdhsa_uses_dynamic_stack 0
		.amdhsa_system_sgpr_private_segment_wavefront_offset 0
		.amdhsa_system_sgpr_workgroup_id_x 1
		.amdhsa_system_sgpr_workgroup_id_y 0
		.amdhsa_system_sgpr_workgroup_id_z 0
		.amdhsa_system_sgpr_workgroup_info 0
		.amdhsa_system_vgpr_workitem_id 0
		.amdhsa_next_free_vgpr 1
		.amdhsa_next_free_sgpr 1
		.amdhsa_reserve_vcc 0
		.amdhsa_reserve_flat_scratch 0
		.amdhsa_float_round_mode_32 0
		.amdhsa_float_round_mode_16_64 0
		.amdhsa_float_denorm_mode_32 3
		.amdhsa_float_denorm_mode_16_64 3
		.amdhsa_dx10_clamp 1
		.amdhsa_ieee_mode 1
		.amdhsa_fp16_overflow 0
		.amdhsa_workgroup_processor_mode 1
		.amdhsa_memory_ordered 1
		.amdhsa_forward_progress 1
		.amdhsa_shared_vgpr_count 0
		.amdhsa_exception_fp_ieee_invalid_op 0
		.amdhsa_exception_fp_denorm_src 0
		.amdhsa_exception_fp_ieee_div_zero 0
		.amdhsa_exception_fp_ieee_overflow 0
		.amdhsa_exception_fp_ieee_underflow 0
		.amdhsa_exception_fp_ieee_inexact 0
		.amdhsa_exception_int_div_zero 0
	.end_amdhsa_kernel
	.section	.text._ZN7rocprim17ROCPRIM_400000_NS6detail17trampoline_kernelINS0_14default_configENS1_36segmented_radix_sort_config_selectorIhlEEZNS1_25segmented_radix_sort_implIS3_Lb1EPKhPhPKlPlN2at6native12_GLOBAL__N_18offset_tEEE10hipError_tPvRmT1_PNSt15iterator_traitsISK_E10value_typeET2_T3_PNSL_ISQ_E10value_typeET4_jRbjT5_SW_jjP12ihipStream_tbEUlT_E_NS1_11comp_targetILNS1_3genE10ELNS1_11target_archE1200ELNS1_3gpuE4ELNS1_3repE0EEENS1_30default_config_static_selectorELNS0_4arch9wavefront6targetE0EEEvSK_,"axG",@progbits,_ZN7rocprim17ROCPRIM_400000_NS6detail17trampoline_kernelINS0_14default_configENS1_36segmented_radix_sort_config_selectorIhlEEZNS1_25segmented_radix_sort_implIS3_Lb1EPKhPhPKlPlN2at6native12_GLOBAL__N_18offset_tEEE10hipError_tPvRmT1_PNSt15iterator_traitsISK_E10value_typeET2_T3_PNSL_ISQ_E10value_typeET4_jRbjT5_SW_jjP12ihipStream_tbEUlT_E_NS1_11comp_targetILNS1_3genE10ELNS1_11target_archE1200ELNS1_3gpuE4ELNS1_3repE0EEENS1_30default_config_static_selectorELNS0_4arch9wavefront6targetE0EEEvSK_,comdat
.Lfunc_end89:
	.size	_ZN7rocprim17ROCPRIM_400000_NS6detail17trampoline_kernelINS0_14default_configENS1_36segmented_radix_sort_config_selectorIhlEEZNS1_25segmented_radix_sort_implIS3_Lb1EPKhPhPKlPlN2at6native12_GLOBAL__N_18offset_tEEE10hipError_tPvRmT1_PNSt15iterator_traitsISK_E10value_typeET2_T3_PNSL_ISQ_E10value_typeET4_jRbjT5_SW_jjP12ihipStream_tbEUlT_E_NS1_11comp_targetILNS1_3genE10ELNS1_11target_archE1200ELNS1_3gpuE4ELNS1_3repE0EEENS1_30default_config_static_selectorELNS0_4arch9wavefront6targetE0EEEvSK_, .Lfunc_end89-_ZN7rocprim17ROCPRIM_400000_NS6detail17trampoline_kernelINS0_14default_configENS1_36segmented_radix_sort_config_selectorIhlEEZNS1_25segmented_radix_sort_implIS3_Lb1EPKhPhPKlPlN2at6native12_GLOBAL__N_18offset_tEEE10hipError_tPvRmT1_PNSt15iterator_traitsISK_E10value_typeET2_T3_PNSL_ISQ_E10value_typeET4_jRbjT5_SW_jjP12ihipStream_tbEUlT_E_NS1_11comp_targetILNS1_3genE10ELNS1_11target_archE1200ELNS1_3gpuE4ELNS1_3repE0EEENS1_30default_config_static_selectorELNS0_4arch9wavefront6targetE0EEEvSK_
                                        ; -- End function
	.set _ZN7rocprim17ROCPRIM_400000_NS6detail17trampoline_kernelINS0_14default_configENS1_36segmented_radix_sort_config_selectorIhlEEZNS1_25segmented_radix_sort_implIS3_Lb1EPKhPhPKlPlN2at6native12_GLOBAL__N_18offset_tEEE10hipError_tPvRmT1_PNSt15iterator_traitsISK_E10value_typeET2_T3_PNSL_ISQ_E10value_typeET4_jRbjT5_SW_jjP12ihipStream_tbEUlT_E_NS1_11comp_targetILNS1_3genE10ELNS1_11target_archE1200ELNS1_3gpuE4ELNS1_3repE0EEENS1_30default_config_static_selectorELNS0_4arch9wavefront6targetE0EEEvSK_.num_vgpr, 0
	.set _ZN7rocprim17ROCPRIM_400000_NS6detail17trampoline_kernelINS0_14default_configENS1_36segmented_radix_sort_config_selectorIhlEEZNS1_25segmented_radix_sort_implIS3_Lb1EPKhPhPKlPlN2at6native12_GLOBAL__N_18offset_tEEE10hipError_tPvRmT1_PNSt15iterator_traitsISK_E10value_typeET2_T3_PNSL_ISQ_E10value_typeET4_jRbjT5_SW_jjP12ihipStream_tbEUlT_E_NS1_11comp_targetILNS1_3genE10ELNS1_11target_archE1200ELNS1_3gpuE4ELNS1_3repE0EEENS1_30default_config_static_selectorELNS0_4arch9wavefront6targetE0EEEvSK_.num_agpr, 0
	.set _ZN7rocprim17ROCPRIM_400000_NS6detail17trampoline_kernelINS0_14default_configENS1_36segmented_radix_sort_config_selectorIhlEEZNS1_25segmented_radix_sort_implIS3_Lb1EPKhPhPKlPlN2at6native12_GLOBAL__N_18offset_tEEE10hipError_tPvRmT1_PNSt15iterator_traitsISK_E10value_typeET2_T3_PNSL_ISQ_E10value_typeET4_jRbjT5_SW_jjP12ihipStream_tbEUlT_E_NS1_11comp_targetILNS1_3genE10ELNS1_11target_archE1200ELNS1_3gpuE4ELNS1_3repE0EEENS1_30default_config_static_selectorELNS0_4arch9wavefront6targetE0EEEvSK_.numbered_sgpr, 0
	.set _ZN7rocprim17ROCPRIM_400000_NS6detail17trampoline_kernelINS0_14default_configENS1_36segmented_radix_sort_config_selectorIhlEEZNS1_25segmented_radix_sort_implIS3_Lb1EPKhPhPKlPlN2at6native12_GLOBAL__N_18offset_tEEE10hipError_tPvRmT1_PNSt15iterator_traitsISK_E10value_typeET2_T3_PNSL_ISQ_E10value_typeET4_jRbjT5_SW_jjP12ihipStream_tbEUlT_E_NS1_11comp_targetILNS1_3genE10ELNS1_11target_archE1200ELNS1_3gpuE4ELNS1_3repE0EEENS1_30default_config_static_selectorELNS0_4arch9wavefront6targetE0EEEvSK_.num_named_barrier, 0
	.set _ZN7rocprim17ROCPRIM_400000_NS6detail17trampoline_kernelINS0_14default_configENS1_36segmented_radix_sort_config_selectorIhlEEZNS1_25segmented_radix_sort_implIS3_Lb1EPKhPhPKlPlN2at6native12_GLOBAL__N_18offset_tEEE10hipError_tPvRmT1_PNSt15iterator_traitsISK_E10value_typeET2_T3_PNSL_ISQ_E10value_typeET4_jRbjT5_SW_jjP12ihipStream_tbEUlT_E_NS1_11comp_targetILNS1_3genE10ELNS1_11target_archE1200ELNS1_3gpuE4ELNS1_3repE0EEENS1_30default_config_static_selectorELNS0_4arch9wavefront6targetE0EEEvSK_.private_seg_size, 0
	.set _ZN7rocprim17ROCPRIM_400000_NS6detail17trampoline_kernelINS0_14default_configENS1_36segmented_radix_sort_config_selectorIhlEEZNS1_25segmented_radix_sort_implIS3_Lb1EPKhPhPKlPlN2at6native12_GLOBAL__N_18offset_tEEE10hipError_tPvRmT1_PNSt15iterator_traitsISK_E10value_typeET2_T3_PNSL_ISQ_E10value_typeET4_jRbjT5_SW_jjP12ihipStream_tbEUlT_E_NS1_11comp_targetILNS1_3genE10ELNS1_11target_archE1200ELNS1_3gpuE4ELNS1_3repE0EEENS1_30default_config_static_selectorELNS0_4arch9wavefront6targetE0EEEvSK_.uses_vcc, 0
	.set _ZN7rocprim17ROCPRIM_400000_NS6detail17trampoline_kernelINS0_14default_configENS1_36segmented_radix_sort_config_selectorIhlEEZNS1_25segmented_radix_sort_implIS3_Lb1EPKhPhPKlPlN2at6native12_GLOBAL__N_18offset_tEEE10hipError_tPvRmT1_PNSt15iterator_traitsISK_E10value_typeET2_T3_PNSL_ISQ_E10value_typeET4_jRbjT5_SW_jjP12ihipStream_tbEUlT_E_NS1_11comp_targetILNS1_3genE10ELNS1_11target_archE1200ELNS1_3gpuE4ELNS1_3repE0EEENS1_30default_config_static_selectorELNS0_4arch9wavefront6targetE0EEEvSK_.uses_flat_scratch, 0
	.set _ZN7rocprim17ROCPRIM_400000_NS6detail17trampoline_kernelINS0_14default_configENS1_36segmented_radix_sort_config_selectorIhlEEZNS1_25segmented_radix_sort_implIS3_Lb1EPKhPhPKlPlN2at6native12_GLOBAL__N_18offset_tEEE10hipError_tPvRmT1_PNSt15iterator_traitsISK_E10value_typeET2_T3_PNSL_ISQ_E10value_typeET4_jRbjT5_SW_jjP12ihipStream_tbEUlT_E_NS1_11comp_targetILNS1_3genE10ELNS1_11target_archE1200ELNS1_3gpuE4ELNS1_3repE0EEENS1_30default_config_static_selectorELNS0_4arch9wavefront6targetE0EEEvSK_.has_dyn_sized_stack, 0
	.set _ZN7rocprim17ROCPRIM_400000_NS6detail17trampoline_kernelINS0_14default_configENS1_36segmented_radix_sort_config_selectorIhlEEZNS1_25segmented_radix_sort_implIS3_Lb1EPKhPhPKlPlN2at6native12_GLOBAL__N_18offset_tEEE10hipError_tPvRmT1_PNSt15iterator_traitsISK_E10value_typeET2_T3_PNSL_ISQ_E10value_typeET4_jRbjT5_SW_jjP12ihipStream_tbEUlT_E_NS1_11comp_targetILNS1_3genE10ELNS1_11target_archE1200ELNS1_3gpuE4ELNS1_3repE0EEENS1_30default_config_static_selectorELNS0_4arch9wavefront6targetE0EEEvSK_.has_recursion, 0
	.set _ZN7rocprim17ROCPRIM_400000_NS6detail17trampoline_kernelINS0_14default_configENS1_36segmented_radix_sort_config_selectorIhlEEZNS1_25segmented_radix_sort_implIS3_Lb1EPKhPhPKlPlN2at6native12_GLOBAL__N_18offset_tEEE10hipError_tPvRmT1_PNSt15iterator_traitsISK_E10value_typeET2_T3_PNSL_ISQ_E10value_typeET4_jRbjT5_SW_jjP12ihipStream_tbEUlT_E_NS1_11comp_targetILNS1_3genE10ELNS1_11target_archE1200ELNS1_3gpuE4ELNS1_3repE0EEENS1_30default_config_static_selectorELNS0_4arch9wavefront6targetE0EEEvSK_.has_indirect_call, 0
	.section	.AMDGPU.csdata,"",@progbits
; Kernel info:
; codeLenInByte = 0
; TotalNumSgprs: 0
; NumVgprs: 0
; ScratchSize: 0
; MemoryBound: 0
; FloatMode: 240
; IeeeMode: 1
; LDSByteSize: 0 bytes/workgroup (compile time only)
; SGPRBlocks: 0
; VGPRBlocks: 0
; NumSGPRsForWavesPerEU: 1
; NumVGPRsForWavesPerEU: 1
; Occupancy: 16
; WaveLimiterHint : 0
; COMPUTE_PGM_RSRC2:SCRATCH_EN: 0
; COMPUTE_PGM_RSRC2:USER_SGPR: 6
; COMPUTE_PGM_RSRC2:TRAP_HANDLER: 0
; COMPUTE_PGM_RSRC2:TGID_X_EN: 1
; COMPUTE_PGM_RSRC2:TGID_Y_EN: 0
; COMPUTE_PGM_RSRC2:TGID_Z_EN: 0
; COMPUTE_PGM_RSRC2:TIDIG_COMP_CNT: 0
	.section	.text._ZN7rocprim17ROCPRIM_400000_NS6detail17trampoline_kernelINS0_14default_configENS1_36segmented_radix_sort_config_selectorIhlEEZNS1_25segmented_radix_sort_implIS3_Lb1EPKhPhPKlPlN2at6native12_GLOBAL__N_18offset_tEEE10hipError_tPvRmT1_PNSt15iterator_traitsISK_E10value_typeET2_T3_PNSL_ISQ_E10value_typeET4_jRbjT5_SW_jjP12ihipStream_tbEUlT_E_NS1_11comp_targetILNS1_3genE9ELNS1_11target_archE1100ELNS1_3gpuE3ELNS1_3repE0EEENS1_30default_config_static_selectorELNS0_4arch9wavefront6targetE0EEEvSK_,"axG",@progbits,_ZN7rocprim17ROCPRIM_400000_NS6detail17trampoline_kernelINS0_14default_configENS1_36segmented_radix_sort_config_selectorIhlEEZNS1_25segmented_radix_sort_implIS3_Lb1EPKhPhPKlPlN2at6native12_GLOBAL__N_18offset_tEEE10hipError_tPvRmT1_PNSt15iterator_traitsISK_E10value_typeET2_T3_PNSL_ISQ_E10value_typeET4_jRbjT5_SW_jjP12ihipStream_tbEUlT_E_NS1_11comp_targetILNS1_3genE9ELNS1_11target_archE1100ELNS1_3gpuE3ELNS1_3repE0EEENS1_30default_config_static_selectorELNS0_4arch9wavefront6targetE0EEEvSK_,comdat
	.globl	_ZN7rocprim17ROCPRIM_400000_NS6detail17trampoline_kernelINS0_14default_configENS1_36segmented_radix_sort_config_selectorIhlEEZNS1_25segmented_radix_sort_implIS3_Lb1EPKhPhPKlPlN2at6native12_GLOBAL__N_18offset_tEEE10hipError_tPvRmT1_PNSt15iterator_traitsISK_E10value_typeET2_T3_PNSL_ISQ_E10value_typeET4_jRbjT5_SW_jjP12ihipStream_tbEUlT_E_NS1_11comp_targetILNS1_3genE9ELNS1_11target_archE1100ELNS1_3gpuE3ELNS1_3repE0EEENS1_30default_config_static_selectorELNS0_4arch9wavefront6targetE0EEEvSK_ ; -- Begin function _ZN7rocprim17ROCPRIM_400000_NS6detail17trampoline_kernelINS0_14default_configENS1_36segmented_radix_sort_config_selectorIhlEEZNS1_25segmented_radix_sort_implIS3_Lb1EPKhPhPKlPlN2at6native12_GLOBAL__N_18offset_tEEE10hipError_tPvRmT1_PNSt15iterator_traitsISK_E10value_typeET2_T3_PNSL_ISQ_E10value_typeET4_jRbjT5_SW_jjP12ihipStream_tbEUlT_E_NS1_11comp_targetILNS1_3genE9ELNS1_11target_archE1100ELNS1_3gpuE3ELNS1_3repE0EEENS1_30default_config_static_selectorELNS0_4arch9wavefront6targetE0EEEvSK_
	.p2align	8
	.type	_ZN7rocprim17ROCPRIM_400000_NS6detail17trampoline_kernelINS0_14default_configENS1_36segmented_radix_sort_config_selectorIhlEEZNS1_25segmented_radix_sort_implIS3_Lb1EPKhPhPKlPlN2at6native12_GLOBAL__N_18offset_tEEE10hipError_tPvRmT1_PNSt15iterator_traitsISK_E10value_typeET2_T3_PNSL_ISQ_E10value_typeET4_jRbjT5_SW_jjP12ihipStream_tbEUlT_E_NS1_11comp_targetILNS1_3genE9ELNS1_11target_archE1100ELNS1_3gpuE3ELNS1_3repE0EEENS1_30default_config_static_selectorELNS0_4arch9wavefront6targetE0EEEvSK_,@function
_ZN7rocprim17ROCPRIM_400000_NS6detail17trampoline_kernelINS0_14default_configENS1_36segmented_radix_sort_config_selectorIhlEEZNS1_25segmented_radix_sort_implIS3_Lb1EPKhPhPKlPlN2at6native12_GLOBAL__N_18offset_tEEE10hipError_tPvRmT1_PNSt15iterator_traitsISK_E10value_typeET2_T3_PNSL_ISQ_E10value_typeET4_jRbjT5_SW_jjP12ihipStream_tbEUlT_E_NS1_11comp_targetILNS1_3genE9ELNS1_11target_archE1100ELNS1_3gpuE3ELNS1_3repE0EEENS1_30default_config_static_selectorELNS0_4arch9wavefront6targetE0EEEvSK_: ; @_ZN7rocprim17ROCPRIM_400000_NS6detail17trampoline_kernelINS0_14default_configENS1_36segmented_radix_sort_config_selectorIhlEEZNS1_25segmented_radix_sort_implIS3_Lb1EPKhPhPKlPlN2at6native12_GLOBAL__N_18offset_tEEE10hipError_tPvRmT1_PNSt15iterator_traitsISK_E10value_typeET2_T3_PNSL_ISQ_E10value_typeET4_jRbjT5_SW_jjP12ihipStream_tbEUlT_E_NS1_11comp_targetILNS1_3genE9ELNS1_11target_archE1100ELNS1_3gpuE3ELNS1_3repE0EEENS1_30default_config_static_selectorELNS0_4arch9wavefront6targetE0EEEvSK_
; %bb.0:
	.section	.rodata,"a",@progbits
	.p2align	6, 0x0
	.amdhsa_kernel _ZN7rocprim17ROCPRIM_400000_NS6detail17trampoline_kernelINS0_14default_configENS1_36segmented_radix_sort_config_selectorIhlEEZNS1_25segmented_radix_sort_implIS3_Lb1EPKhPhPKlPlN2at6native12_GLOBAL__N_18offset_tEEE10hipError_tPvRmT1_PNSt15iterator_traitsISK_E10value_typeET2_T3_PNSL_ISQ_E10value_typeET4_jRbjT5_SW_jjP12ihipStream_tbEUlT_E_NS1_11comp_targetILNS1_3genE9ELNS1_11target_archE1100ELNS1_3gpuE3ELNS1_3repE0EEENS1_30default_config_static_selectorELNS0_4arch9wavefront6targetE0EEEvSK_
		.amdhsa_group_segment_fixed_size 0
		.amdhsa_private_segment_fixed_size 0
		.amdhsa_kernarg_size 96
		.amdhsa_user_sgpr_count 6
		.amdhsa_user_sgpr_private_segment_buffer 1
		.amdhsa_user_sgpr_dispatch_ptr 0
		.amdhsa_user_sgpr_queue_ptr 0
		.amdhsa_user_sgpr_kernarg_segment_ptr 1
		.amdhsa_user_sgpr_dispatch_id 0
		.amdhsa_user_sgpr_flat_scratch_init 0
		.amdhsa_user_sgpr_private_segment_size 0
		.amdhsa_wavefront_size32 1
		.amdhsa_uses_dynamic_stack 0
		.amdhsa_system_sgpr_private_segment_wavefront_offset 0
		.amdhsa_system_sgpr_workgroup_id_x 1
		.amdhsa_system_sgpr_workgroup_id_y 0
		.amdhsa_system_sgpr_workgroup_id_z 0
		.amdhsa_system_sgpr_workgroup_info 0
		.amdhsa_system_vgpr_workitem_id 0
		.amdhsa_next_free_vgpr 1
		.amdhsa_next_free_sgpr 1
		.amdhsa_reserve_vcc 0
		.amdhsa_reserve_flat_scratch 0
		.amdhsa_float_round_mode_32 0
		.amdhsa_float_round_mode_16_64 0
		.amdhsa_float_denorm_mode_32 3
		.amdhsa_float_denorm_mode_16_64 3
		.amdhsa_dx10_clamp 1
		.amdhsa_ieee_mode 1
		.amdhsa_fp16_overflow 0
		.amdhsa_workgroup_processor_mode 1
		.amdhsa_memory_ordered 1
		.amdhsa_forward_progress 1
		.amdhsa_shared_vgpr_count 0
		.amdhsa_exception_fp_ieee_invalid_op 0
		.amdhsa_exception_fp_denorm_src 0
		.amdhsa_exception_fp_ieee_div_zero 0
		.amdhsa_exception_fp_ieee_overflow 0
		.amdhsa_exception_fp_ieee_underflow 0
		.amdhsa_exception_fp_ieee_inexact 0
		.amdhsa_exception_int_div_zero 0
	.end_amdhsa_kernel
	.section	.text._ZN7rocprim17ROCPRIM_400000_NS6detail17trampoline_kernelINS0_14default_configENS1_36segmented_radix_sort_config_selectorIhlEEZNS1_25segmented_radix_sort_implIS3_Lb1EPKhPhPKlPlN2at6native12_GLOBAL__N_18offset_tEEE10hipError_tPvRmT1_PNSt15iterator_traitsISK_E10value_typeET2_T3_PNSL_ISQ_E10value_typeET4_jRbjT5_SW_jjP12ihipStream_tbEUlT_E_NS1_11comp_targetILNS1_3genE9ELNS1_11target_archE1100ELNS1_3gpuE3ELNS1_3repE0EEENS1_30default_config_static_selectorELNS0_4arch9wavefront6targetE0EEEvSK_,"axG",@progbits,_ZN7rocprim17ROCPRIM_400000_NS6detail17trampoline_kernelINS0_14default_configENS1_36segmented_radix_sort_config_selectorIhlEEZNS1_25segmented_radix_sort_implIS3_Lb1EPKhPhPKlPlN2at6native12_GLOBAL__N_18offset_tEEE10hipError_tPvRmT1_PNSt15iterator_traitsISK_E10value_typeET2_T3_PNSL_ISQ_E10value_typeET4_jRbjT5_SW_jjP12ihipStream_tbEUlT_E_NS1_11comp_targetILNS1_3genE9ELNS1_11target_archE1100ELNS1_3gpuE3ELNS1_3repE0EEENS1_30default_config_static_selectorELNS0_4arch9wavefront6targetE0EEEvSK_,comdat
.Lfunc_end90:
	.size	_ZN7rocprim17ROCPRIM_400000_NS6detail17trampoline_kernelINS0_14default_configENS1_36segmented_radix_sort_config_selectorIhlEEZNS1_25segmented_radix_sort_implIS3_Lb1EPKhPhPKlPlN2at6native12_GLOBAL__N_18offset_tEEE10hipError_tPvRmT1_PNSt15iterator_traitsISK_E10value_typeET2_T3_PNSL_ISQ_E10value_typeET4_jRbjT5_SW_jjP12ihipStream_tbEUlT_E_NS1_11comp_targetILNS1_3genE9ELNS1_11target_archE1100ELNS1_3gpuE3ELNS1_3repE0EEENS1_30default_config_static_selectorELNS0_4arch9wavefront6targetE0EEEvSK_, .Lfunc_end90-_ZN7rocprim17ROCPRIM_400000_NS6detail17trampoline_kernelINS0_14default_configENS1_36segmented_radix_sort_config_selectorIhlEEZNS1_25segmented_radix_sort_implIS3_Lb1EPKhPhPKlPlN2at6native12_GLOBAL__N_18offset_tEEE10hipError_tPvRmT1_PNSt15iterator_traitsISK_E10value_typeET2_T3_PNSL_ISQ_E10value_typeET4_jRbjT5_SW_jjP12ihipStream_tbEUlT_E_NS1_11comp_targetILNS1_3genE9ELNS1_11target_archE1100ELNS1_3gpuE3ELNS1_3repE0EEENS1_30default_config_static_selectorELNS0_4arch9wavefront6targetE0EEEvSK_
                                        ; -- End function
	.set _ZN7rocprim17ROCPRIM_400000_NS6detail17trampoline_kernelINS0_14default_configENS1_36segmented_radix_sort_config_selectorIhlEEZNS1_25segmented_radix_sort_implIS3_Lb1EPKhPhPKlPlN2at6native12_GLOBAL__N_18offset_tEEE10hipError_tPvRmT1_PNSt15iterator_traitsISK_E10value_typeET2_T3_PNSL_ISQ_E10value_typeET4_jRbjT5_SW_jjP12ihipStream_tbEUlT_E_NS1_11comp_targetILNS1_3genE9ELNS1_11target_archE1100ELNS1_3gpuE3ELNS1_3repE0EEENS1_30default_config_static_selectorELNS0_4arch9wavefront6targetE0EEEvSK_.num_vgpr, 0
	.set _ZN7rocprim17ROCPRIM_400000_NS6detail17trampoline_kernelINS0_14default_configENS1_36segmented_radix_sort_config_selectorIhlEEZNS1_25segmented_radix_sort_implIS3_Lb1EPKhPhPKlPlN2at6native12_GLOBAL__N_18offset_tEEE10hipError_tPvRmT1_PNSt15iterator_traitsISK_E10value_typeET2_T3_PNSL_ISQ_E10value_typeET4_jRbjT5_SW_jjP12ihipStream_tbEUlT_E_NS1_11comp_targetILNS1_3genE9ELNS1_11target_archE1100ELNS1_3gpuE3ELNS1_3repE0EEENS1_30default_config_static_selectorELNS0_4arch9wavefront6targetE0EEEvSK_.num_agpr, 0
	.set _ZN7rocprim17ROCPRIM_400000_NS6detail17trampoline_kernelINS0_14default_configENS1_36segmented_radix_sort_config_selectorIhlEEZNS1_25segmented_radix_sort_implIS3_Lb1EPKhPhPKlPlN2at6native12_GLOBAL__N_18offset_tEEE10hipError_tPvRmT1_PNSt15iterator_traitsISK_E10value_typeET2_T3_PNSL_ISQ_E10value_typeET4_jRbjT5_SW_jjP12ihipStream_tbEUlT_E_NS1_11comp_targetILNS1_3genE9ELNS1_11target_archE1100ELNS1_3gpuE3ELNS1_3repE0EEENS1_30default_config_static_selectorELNS0_4arch9wavefront6targetE0EEEvSK_.numbered_sgpr, 0
	.set _ZN7rocprim17ROCPRIM_400000_NS6detail17trampoline_kernelINS0_14default_configENS1_36segmented_radix_sort_config_selectorIhlEEZNS1_25segmented_radix_sort_implIS3_Lb1EPKhPhPKlPlN2at6native12_GLOBAL__N_18offset_tEEE10hipError_tPvRmT1_PNSt15iterator_traitsISK_E10value_typeET2_T3_PNSL_ISQ_E10value_typeET4_jRbjT5_SW_jjP12ihipStream_tbEUlT_E_NS1_11comp_targetILNS1_3genE9ELNS1_11target_archE1100ELNS1_3gpuE3ELNS1_3repE0EEENS1_30default_config_static_selectorELNS0_4arch9wavefront6targetE0EEEvSK_.num_named_barrier, 0
	.set _ZN7rocprim17ROCPRIM_400000_NS6detail17trampoline_kernelINS0_14default_configENS1_36segmented_radix_sort_config_selectorIhlEEZNS1_25segmented_radix_sort_implIS3_Lb1EPKhPhPKlPlN2at6native12_GLOBAL__N_18offset_tEEE10hipError_tPvRmT1_PNSt15iterator_traitsISK_E10value_typeET2_T3_PNSL_ISQ_E10value_typeET4_jRbjT5_SW_jjP12ihipStream_tbEUlT_E_NS1_11comp_targetILNS1_3genE9ELNS1_11target_archE1100ELNS1_3gpuE3ELNS1_3repE0EEENS1_30default_config_static_selectorELNS0_4arch9wavefront6targetE0EEEvSK_.private_seg_size, 0
	.set _ZN7rocprim17ROCPRIM_400000_NS6detail17trampoline_kernelINS0_14default_configENS1_36segmented_radix_sort_config_selectorIhlEEZNS1_25segmented_radix_sort_implIS3_Lb1EPKhPhPKlPlN2at6native12_GLOBAL__N_18offset_tEEE10hipError_tPvRmT1_PNSt15iterator_traitsISK_E10value_typeET2_T3_PNSL_ISQ_E10value_typeET4_jRbjT5_SW_jjP12ihipStream_tbEUlT_E_NS1_11comp_targetILNS1_3genE9ELNS1_11target_archE1100ELNS1_3gpuE3ELNS1_3repE0EEENS1_30default_config_static_selectorELNS0_4arch9wavefront6targetE0EEEvSK_.uses_vcc, 0
	.set _ZN7rocprim17ROCPRIM_400000_NS6detail17trampoline_kernelINS0_14default_configENS1_36segmented_radix_sort_config_selectorIhlEEZNS1_25segmented_radix_sort_implIS3_Lb1EPKhPhPKlPlN2at6native12_GLOBAL__N_18offset_tEEE10hipError_tPvRmT1_PNSt15iterator_traitsISK_E10value_typeET2_T3_PNSL_ISQ_E10value_typeET4_jRbjT5_SW_jjP12ihipStream_tbEUlT_E_NS1_11comp_targetILNS1_3genE9ELNS1_11target_archE1100ELNS1_3gpuE3ELNS1_3repE0EEENS1_30default_config_static_selectorELNS0_4arch9wavefront6targetE0EEEvSK_.uses_flat_scratch, 0
	.set _ZN7rocprim17ROCPRIM_400000_NS6detail17trampoline_kernelINS0_14default_configENS1_36segmented_radix_sort_config_selectorIhlEEZNS1_25segmented_radix_sort_implIS3_Lb1EPKhPhPKlPlN2at6native12_GLOBAL__N_18offset_tEEE10hipError_tPvRmT1_PNSt15iterator_traitsISK_E10value_typeET2_T3_PNSL_ISQ_E10value_typeET4_jRbjT5_SW_jjP12ihipStream_tbEUlT_E_NS1_11comp_targetILNS1_3genE9ELNS1_11target_archE1100ELNS1_3gpuE3ELNS1_3repE0EEENS1_30default_config_static_selectorELNS0_4arch9wavefront6targetE0EEEvSK_.has_dyn_sized_stack, 0
	.set _ZN7rocprim17ROCPRIM_400000_NS6detail17trampoline_kernelINS0_14default_configENS1_36segmented_radix_sort_config_selectorIhlEEZNS1_25segmented_radix_sort_implIS3_Lb1EPKhPhPKlPlN2at6native12_GLOBAL__N_18offset_tEEE10hipError_tPvRmT1_PNSt15iterator_traitsISK_E10value_typeET2_T3_PNSL_ISQ_E10value_typeET4_jRbjT5_SW_jjP12ihipStream_tbEUlT_E_NS1_11comp_targetILNS1_3genE9ELNS1_11target_archE1100ELNS1_3gpuE3ELNS1_3repE0EEENS1_30default_config_static_selectorELNS0_4arch9wavefront6targetE0EEEvSK_.has_recursion, 0
	.set _ZN7rocprim17ROCPRIM_400000_NS6detail17trampoline_kernelINS0_14default_configENS1_36segmented_radix_sort_config_selectorIhlEEZNS1_25segmented_radix_sort_implIS3_Lb1EPKhPhPKlPlN2at6native12_GLOBAL__N_18offset_tEEE10hipError_tPvRmT1_PNSt15iterator_traitsISK_E10value_typeET2_T3_PNSL_ISQ_E10value_typeET4_jRbjT5_SW_jjP12ihipStream_tbEUlT_E_NS1_11comp_targetILNS1_3genE9ELNS1_11target_archE1100ELNS1_3gpuE3ELNS1_3repE0EEENS1_30default_config_static_selectorELNS0_4arch9wavefront6targetE0EEEvSK_.has_indirect_call, 0
	.section	.AMDGPU.csdata,"",@progbits
; Kernel info:
; codeLenInByte = 0
; TotalNumSgprs: 0
; NumVgprs: 0
; ScratchSize: 0
; MemoryBound: 0
; FloatMode: 240
; IeeeMode: 1
; LDSByteSize: 0 bytes/workgroup (compile time only)
; SGPRBlocks: 0
; VGPRBlocks: 0
; NumSGPRsForWavesPerEU: 1
; NumVGPRsForWavesPerEU: 1
; Occupancy: 16
; WaveLimiterHint : 0
; COMPUTE_PGM_RSRC2:SCRATCH_EN: 0
; COMPUTE_PGM_RSRC2:USER_SGPR: 6
; COMPUTE_PGM_RSRC2:TRAP_HANDLER: 0
; COMPUTE_PGM_RSRC2:TGID_X_EN: 1
; COMPUTE_PGM_RSRC2:TGID_Y_EN: 0
; COMPUTE_PGM_RSRC2:TGID_Z_EN: 0
; COMPUTE_PGM_RSRC2:TIDIG_COMP_CNT: 0
	.text
	.p2align	2                               ; -- Begin function _ZN7rocprim17ROCPRIM_400000_NS6detail40segmented_radix_sort_single_block_helperIhlLj256ELj17ELb1EE4sortIPKhPhPKlPlEEbT_T0_T1_T2_jjjjRNS3_12storage_typeE
	.type	_ZN7rocprim17ROCPRIM_400000_NS6detail40segmented_radix_sort_single_block_helperIhlLj256ELj17ELb1EE4sortIPKhPhPKlPlEEbT_T0_T1_T2_jjjjRNS3_12storage_typeE,@function
_ZN7rocprim17ROCPRIM_400000_NS6detail40segmented_radix_sort_single_block_helperIhlLj256ELj17ELb1EE4sortIPKhPhPKlPlEEbT_T0_T1_T2_jjjjRNS3_12storage_typeE: ; @_ZN7rocprim17ROCPRIM_400000_NS6detail40segmented_radix_sort_single_block_helperIhlLj256ELj17ELb1EE4sortIPKhPhPKlPlEEbT_T0_T1_T2_jjjjRNS3_12storage_typeE
; %bb.0:
	s_waitcnt vmcnt(0) expcnt(0) lgkmcnt(0)
	buffer_store_dword v40, off, s[0:3], s32 offset:232 ; 4-byte Folded Spill
	buffer_store_dword v41, off, s[0:3], s32 offset:228 ; 4-byte Folded Spill
	;; [unrolled: 1-line block ×58, first 2 shown]
	buffer_store_dword v154, off, s[0:3], s32 ; 4-byte Folded Spill
	v_sub_nc_u32_e32 v226, v9, v8
	s_mov_b32 s25, exec_lo
	v_cmpx_gt_u32_e32 0x1101, v226
	s_cbranch_execz .LBB91_382
; %bb.1:
	v_bfe_u32 v15, v31, 10, 10
	v_bfe_u32 v16, v31, 20, 10
	v_and_b32_e32 v14, 0x3ff, v31
	v_mbcnt_lo_u32_b32 v30, -1, 0
	s_mov_b32 s4, exec_lo
	v_cmpx_lt_u32_e32 0x800, v226
	s_xor_b32 s26, exec_lo, s4
	s_cbranch_execz .LBB91_151
; %bb.2:
	s_load_dwordx2 s[4:5], s[8:9], 0x0
	v_mov_b32_e32 v9, 0
	v_add_co_u32 v0, vcc_lo, v0, v8
	v_add_co_ci_u32_e64 v1, null, 0, v1, vcc_lo
	v_mov_b32_e32 v20, v9
	v_mov_b32_e32 v22, v9
	;; [unrolled: 1-line block ×14, first 2 shown]
	s_waitcnt lgkmcnt(0)
	s_cmp_lt_u32 s13, s5
	s_cselect_b32 s5, 14, 20
	s_add_u32 s6, s8, s5
	s_addc_u32 s7, s9, 0
	s_cmp_lt_u32 s12, s4
	global_load_ushort v17, v9, s[6:7]
	s_cselect_b32 s4, 12, 18
	s_add_u32 s4, s8, s4
	s_addc_u32 s5, s9, 0
	global_load_ushort v18, v9, s[4:5]
	s_waitcnt vmcnt(1)
	v_mad_u32_u24 v15, v16, v17, v15
	v_add_co_u32 v17, vcc_lo, v0, v30
	v_add_co_ci_u32_e64 v29, null, 0, v1, vcc_lo
	v_mov_b32_e32 v16, v9
	s_waitcnt vmcnt(0)
	v_mad_u64_u32 v[0:1], null, v15, v18, v[14:15]
	v_mov_b32_e32 v1, v9
	v_and_b32_e32 v15, 0xffffffe0, v0
	v_lshl_add_u32 v15, v15, 4, v15
	v_or_b32_e32 v36, v15, v30
	v_add_co_u32 v17, vcc_lo, v17, v15
	v_add_co_ci_u32_e64 v18, null, 0, v29, vcc_lo
	v_cmp_lt_u32_e32 vcc_lo, v36, v226
	v_mov_b32_e32 v29, v9
	s_and_saveexec_b32 s4, vcc_lo
	s_cbranch_execz .LBB91_4
; %bb.3:
	flat_load_ubyte v20, v[17:18]
	v_mov_b32_e32 v22, v9
	v_mov_b32_e32 v1, v9
	;; [unrolled: 1-line block ×15, first 2 shown]
.LBB91_4:
	s_or_b32 exec_lo, exec_lo, s4
	v_add_nc_u32_e32 v35, 32, v36
	v_cmp_lt_u32_e64 s4, v35, v226
	v_mov_b32_e32 v35, v9
	s_and_saveexec_b32 s5, s4
	s_cbranch_execz .LBB91_6
; %bb.5:
	flat_load_ubyte v35, v[17:18] offset:32
.LBB91_6:
	s_or_b32 exec_lo, exec_lo, s5
	v_add_nc_u32_e32 v37, 64, v36
	v_cmp_lt_u32_e64 s5, v37, v226
	s_and_saveexec_b32 s6, s5
	s_cbranch_execz .LBB91_8
; %bb.7:
	flat_load_ubyte v22, v[17:18] offset:64
.LBB91_8:
	s_or_b32 exec_lo, exec_lo, s6
	v_add_nc_u32_e32 v37, 0x60, v36
	v_cmp_lt_u32_e64 s6, v37, v226
	s_and_saveexec_b32 s7, s6
	s_cbranch_execz .LBB91_10
; %bb.9:
	flat_load_ubyte v1, v[17:18] offset:96
.LBB91_10:
	s_or_b32 exec_lo, exec_lo, s7
	v_add_nc_u32_e32 v37, 0x80, v36
	v_cmp_lt_u32_e64 s7, v37, v226
	s_and_saveexec_b32 s10, s7
	s_cbranch_execz .LBB91_12
; %bb.11:
	flat_load_ubyte v21, v[17:18] offset:128
.LBB91_12:
	s_or_b32 exec_lo, exec_lo, s10
	v_add_nc_u32_e32 v37, 0xa0, v36
	v_cmp_lt_u32_e64 s10, v37, v226
	s_and_saveexec_b32 s11, s10
	s_cbranch_execz .LBB91_14
; %bb.13:
	flat_load_ubyte v25, v[17:18] offset:160
.LBB91_14:
	s_or_b32 exec_lo, exec_lo, s11
	v_add_nc_u32_e32 v37, 0xc0, v36
	v_cmp_lt_u32_e64 s11, v37, v226
	s_and_saveexec_b32 s14, s11
	s_cbranch_execz .LBB91_16
; %bb.15:
	flat_load_ubyte v33, v[17:18] offset:192
.LBB91_16:
	s_or_b32 exec_lo, exec_lo, s14
	v_add_nc_u32_e32 v37, 0xe0, v36
	v_cmp_lt_u32_e64 s14, v37, v226
	s_and_saveexec_b32 s15, s14
	s_cbranch_execz .LBB91_18
; %bb.17:
	flat_load_ubyte v23, v[17:18] offset:224
.LBB91_18:
	s_or_b32 exec_lo, exec_lo, s15
	v_add_nc_u32_e32 v37, 0x100, v36
	v_cmp_lt_u32_e64 s15, v37, v226
	s_and_saveexec_b32 s16, s15
	s_cbranch_execz .LBB91_20
; %bb.19:
	flat_load_ubyte v24, v[17:18] offset:256
.LBB91_20:
	s_or_b32 exec_lo, exec_lo, s16
	v_add_nc_u32_e32 v37, 0x120, v36
	v_cmp_lt_u32_e64 s16, v37, v226
	s_and_saveexec_b32 s17, s16
	s_cbranch_execz .LBB91_22
; %bb.21:
	flat_load_ubyte v27, v[17:18] offset:288
.LBB91_22:
	s_or_b32 exec_lo, exec_lo, s17
	v_add_nc_u32_e32 v37, 0x140, v36
	v_cmp_lt_u32_e64 s17, v37, v226
	s_and_saveexec_b32 s18, s17
	s_cbranch_execz .LBB91_24
; %bb.23:
	flat_load_ubyte v26, v[17:18] offset:320
.LBB91_24:
	s_or_b32 exec_lo, exec_lo, s18
	v_add_nc_u32_e32 v37, 0x160, v36
	v_cmp_lt_u32_e64 s18, v37, v226
	s_and_saveexec_b32 s19, s18
	s_cbranch_execz .LBB91_26
; %bb.25:
	flat_load_ubyte v28, v[17:18] offset:352
.LBB91_26:
	s_or_b32 exec_lo, exec_lo, s19
	v_add_nc_u32_e32 v37, 0x180, v36
	v_cmp_lt_u32_e64 s19, v37, v226
	s_and_saveexec_b32 s20, s19
	s_cbranch_execz .LBB91_28
; %bb.27:
	flat_load_ubyte v19, v[17:18] offset:384
.LBB91_28:
	s_or_b32 exec_lo, exec_lo, s20
	v_add_nc_u32_e32 v37, 0x1a0, v36
	v_cmp_lt_u32_e64 s20, v37, v226
	s_and_saveexec_b32 s21, s20
	s_cbranch_execz .LBB91_30
; %bb.29:
	flat_load_ubyte v31, v[17:18] offset:416
.LBB91_30:
	s_or_b32 exec_lo, exec_lo, s21
	v_add_nc_u32_e32 v37, 0x1c0, v36
	v_cmp_lt_u32_e64 s21, v37, v226
	s_and_saveexec_b32 s22, s21
	s_cbranch_execz .LBB91_32
; %bb.31:
	flat_load_ubyte v32, v[17:18] offset:448
.LBB91_32:
	s_or_b32 exec_lo, exec_lo, s22
	v_add_nc_u32_e32 v37, 0x1e0, v36
	v_cmp_lt_u32_e64 s22, v37, v226
	s_and_saveexec_b32 s23, s22
	s_cbranch_execz .LBB91_34
; %bb.33:
	flat_load_ubyte v34, v[17:18] offset:480
.LBB91_34:
	s_or_b32 exec_lo, exec_lo, s23
	v_add_nc_u32_e32 v36, 0x200, v36
	v_cmp_lt_u32_e64 s23, v36, v226
	s_and_saveexec_b32 s24, s23
	s_cbranch_execz .LBB91_36
; %bb.35:
	flat_load_ubyte v29, v[17:18] offset:512
.LBB91_36:
	s_or_b32 exec_lo, exec_lo, s24
	v_lshlrev_b64 v[37:38], 3, v[8:9]
	v_lshlrev_b32_e32 v9, 3, v30
                                        ; implicit-def: $vgpr82_vgpr83
	v_add_co_u32 v17, s24, v4, v37
	v_add_co_ci_u32_e64 v18, null, v5, v38, s24
	v_lshlrev_b64 v[4:5], 3, v[15:16]
	v_add_co_u32 v9, s24, v17, v9
	v_add_co_ci_u32_e64 v15, null, 0, v18, s24
	v_add_co_u32 v4, s24, v9, v4
	v_add_co_ci_u32_e64 v5, null, v15, v5, s24
	s_and_saveexec_b32 s24, vcc_lo
	s_cbranch_execnz .LBB91_204
; %bb.37:
	s_or_b32 exec_lo, exec_lo, s24
                                        ; implicit-def: $vgpr84_vgpr85
	s_and_saveexec_b32 s24, s4
	s_cbranch_execnz .LBB91_205
.LBB91_38:
	s_or_b32 exec_lo, exec_lo, s24
                                        ; implicit-def: $vgpr86_vgpr87
	s_and_saveexec_b32 s4, s5
	s_cbranch_execnz .LBB91_206
.LBB91_39:
	s_or_b32 exec_lo, exec_lo, s4
                                        ; implicit-def: $vgpr96_vgpr97
	s_and_saveexec_b32 s4, s6
	s_cbranch_execnz .LBB91_207
.LBB91_40:
	s_or_b32 exec_lo, exec_lo, s4
                                        ; implicit-def: $vgpr98_vgpr99
	s_and_saveexec_b32 s4, s7
	s_cbranch_execnz .LBB91_208
.LBB91_41:
	s_or_b32 exec_lo, exec_lo, s4
                                        ; implicit-def: $vgpr100_vgpr101
	s_and_saveexec_b32 s4, s10
	s_cbranch_execnz .LBB91_209
.LBB91_42:
	s_or_b32 exec_lo, exec_lo, s4
                                        ; implicit-def: $vgpr102_vgpr103
	s_and_saveexec_b32 s4, s11
	s_cbranch_execnz .LBB91_210
.LBB91_43:
	s_or_b32 exec_lo, exec_lo, s4
                                        ; implicit-def: $vgpr112_vgpr113
	s_and_saveexec_b32 s4, s14
	s_cbranch_execnz .LBB91_211
.LBB91_44:
	s_or_b32 exec_lo, exec_lo, s4
                                        ; implicit-def: $vgpr114_vgpr115
	s_and_saveexec_b32 s4, s15
	s_cbranch_execnz .LBB91_212
.LBB91_45:
	s_or_b32 exec_lo, exec_lo, s4
                                        ; implicit-def: $vgpr116_vgpr117
	s_and_saveexec_b32 s4, s16
	s_cbranch_execnz .LBB91_213
.LBB91_46:
	s_or_b32 exec_lo, exec_lo, s4
                                        ; implicit-def: $vgpr130_vgpr131
	s_and_saveexec_b32 s4, s17
	s_cbranch_execnz .LBB91_214
.LBB91_47:
	s_or_b32 exec_lo, exec_lo, s4
                                        ; implicit-def: $vgpr134_vgpr135
	s_and_saveexec_b32 s4, s18
	s_cbranch_execnz .LBB91_215
.LBB91_48:
	s_or_b32 exec_lo, exec_lo, s4
                                        ; implicit-def: $vgpr146_vgpr147
	s_and_saveexec_b32 s4, s19
	s_cbranch_execnz .LBB91_216
.LBB91_49:
	s_or_b32 exec_lo, exec_lo, s4
                                        ; implicit-def: $vgpr118_vgpr119
	s_and_saveexec_b32 s4, s20
	s_cbranch_execnz .LBB91_217
.LBB91_50:
	s_or_b32 exec_lo, exec_lo, s4
                                        ; implicit-def: $vgpr128_vgpr129
	s_and_saveexec_b32 s4, s21
	s_cbranch_execnz .LBB91_218
.LBB91_51:
	s_or_b32 exec_lo, exec_lo, s4
                                        ; implicit-def: $vgpr132_vgpr133
	s_and_saveexec_b32 s4, s22
	s_cbranch_execnz .LBB91_219
.LBB91_52:
	s_or_b32 exec_lo, exec_lo, s4
                                        ; implicit-def: $vgpr144_vgpr145
	s_and_saveexec_b32 s4, s23
	s_cbranch_execz .LBB91_54
.LBB91_53:
	v_add_co_u32 v4, vcc_lo, 0x1000, v4
	v_add_co_ci_u32_e64 v5, null, 0, v5, vcc_lo
	flat_load_dwordx2 v[144:145], v[4:5]
.LBB91_54:
	s_or_b32 exec_lo, exec_lo, s4
	v_mov_b32_e32 v4, -1
	s_waitcnt vmcnt(0) lgkmcnt(0)
	v_xor_b32_e32 v17, -1, v20
	v_xor_b32_e32 v18, -1, v22
	;; [unrolled: 1-line block ×3, first 2 shown]
	v_mov_b32_e32 v22, 8
	v_xor_b32_sdwa v5, v25, v4 dst_sel:BYTE_1 dst_unused:UNUSED_PAD src0_sel:DWORD src1_sel:DWORD
	v_xor_b32_sdwa v25, v35, v4 dst_sel:BYTE_1 dst_unused:UNUSED_PAD src0_sel:DWORD src1_sel:DWORD
	;; [unrolled: 1-line block ×8, first 2 shown]
	v_lshl_add_u32 v4, v14, 5, v12
	v_lshrrev_b32_sdwa v35, v22, v5 dst_sel:BYTE_1 dst_unused:UNUSED_PAD src0_sel:DWORD src1_sel:DWORD
	v_xor_b32_e32 v90, -1, v29
	v_lshrrev_b32_sdwa v34, v22, v1 dst_sel:BYTE_1 dst_unused:UNUSED_PAD src0_sel:DWORD src1_sel:DWORD
	v_and_b32_e32 v5, 15, v30
	v_add_nc_u32_e32 v1, 32, v4
	v_add_nc_u32_e32 v9, 36, v4
	;; [unrolled: 1-line block ×8, first 2 shown]
	v_and_b32_e32 v4, 0x3e0, v14
	v_sub_co_u32 v29, s6, v30, 1
	s_getpc_b64 s[4:5]
	s_add_u32 s4, s4, _ZN7rocprim17ROCPRIM_400000_NS16block_radix_sortIhLj256ELj17ElLj1ELj1ELj8ELNS0_26block_radix_rank_algorithmE2ELNS0_18block_padding_hintE2ELNS0_4arch9wavefront6targetE0EE19radix_bits_per_passE@rel32@lo+4
	s_addc_u32 s5, s5, _ZN7rocprim17ROCPRIM_400000_NS16block_radix_sortIhLj256ELj17ElLj1ELj1ELj8ELNS0_26block_radix_rank_algorithmE2ELNS0_18block_padding_hintE2ELNS0_4arch9wavefront6targetE0EE19radix_bits_per_passE@rel32@hi+12
	v_cmp_eq_u32_e32 vcc_lo, 0, v5
	v_min_u32_e32 v15, 0xe0, v4
	s_load_dword s22, s[4:5], 0x0
	v_cmp_lt_u32_e64 s4, 1, v5
	v_cmp_lt_u32_e64 s5, 3, v5
	v_and_b32_e32 v16, 16, v30
	v_cmp_lt_u32_e64 s7, 7, v5
	v_or_b32_e32 v5, 31, v15
	v_lshrrev_b32_e32 v15, 3, v14
	v_cmp_gt_i32_e64 s11, 0, v29
	v_mul_u32_u24_e32 v4, 17, v4
	v_cmp_eq_u32_e64 s10, 0, v16
	v_xor_b32_e32 v24, -1, v24
	v_xor_b32_e32 v21, -1, v21
	v_cndmask_b32_e64 v16, v29, v30, s11
	v_cmp_eq_u32_e64 s11, v14, v5
	v_and_b32_e32 v5, 0x7c, v15
	v_or_b32_e32 v15, v30, v4
	v_xor_b32_e32 v26, -1, v26
	v_lshlrev_b32_e32 v240, 2, v16
	v_xor_b32_e32 v32, -1, v32
	v_add_nc_u32_e32 v241, v12, v5
	v_add_co_u32 v4, s17, v12, v15
	v_add_co_ci_u32_e64 v5, null, 0, v13, s17
	v_xor_b32_e32 v19, -1, v19
	v_and_b32_e32 v29, 7, v30
	v_or_b32_sdwa v21, v21, v35 dst_sel:DWORD dst_unused:UNUSED_PAD src0_sel:BYTE_0 src1_sel:DWORD
	v_mad_u64_u32 v[15:16], null, v15, 7, v[4:5]
	v_lshrrev_b32_sdwa v16, v22, v25 dst_sel:BYTE_1 dst_unused:UNUSED_PAD src0_sel:DWORD src1_sel:DWORD
	v_lshrrev_b32_sdwa v22, v22, v27 dst_sel:BYTE_1 dst_unused:UNUSED_PAD src0_sel:DWORD src1_sel:DWORD
	v_or_b32_sdwa v20, v20, v23 dst_sel:WORD_1 dst_unused:UNUSED_PAD src0_sel:BYTE_0 src1_sel:DWORD
	v_or_b32_sdwa v19, v19, v34 dst_sel:DWORD dst_unused:UNUSED_PAD src0_sel:BYTE_0 src1_sel:DWORD
	v_or_b32_sdwa v23, v32, v31 dst_sel:WORD_1 dst_unused:UNUSED_PAD src0_sel:BYTE_0 src1_sel:DWORD
	v_or_b32_sdwa v16, v17, v16 dst_sel:DWORD dst_unused:UNUSED_PAD src0_sel:BYTE_0 src1_sel:DWORD
	v_perm_b32 v17, v18, v33, 0xc0c0104
	v_or_b32_sdwa v18, v24, v22 dst_sel:DWORD dst_unused:UNUSED_PAD src0_sel:BYTE_0 src1_sel:DWORD
	v_perm_b32 v22, v26, v28, 0xc0c0104
	v_lshrrev_b32_e32 v231, 5, v0
	v_and_b32_e32 v16, 0xffff, v16
	v_cmp_gt_u32_e64 s14, 8, v14
	v_and_b32_e32 v18, 0xffff, v18
	v_cmp_lt_u32_e64 s15, 31, v14
	v_cmp_eq_u32_e64 s16, 0, v14
	v_mov_b32_e32 v242, 0
	v_lshl_add_u32 v243, v14, 2, v12
	v_cmp_eq_u32_e64 s17, 0, v29
	v_cmp_lt_u32_e64 s18, 1, v29
	v_cmp_lt_u32_e64 s19, 3, v29
	v_add_nc_u32_e32 v5, 0x180, v4
	v_add_nc_u32_e32 v244, 0x1a0, v4
	;; [unrolled: 1-line block ×21, first 2 shown]
	v_lshl_or_b32 v16, v17, 16, v16
	v_or_b32_sdwa v125, v21, v20 dst_sel:DWORD dst_unused:UNUSED_PAD src0_sel:WORD_0 src1_sel:DWORD
	v_lshl_or_b32 v126, v22, 16, v18
	v_or_b32_sdwa v127, v19, v23 dst_sel:DWORD dst_unused:UNUSED_PAD src0_sel:WORD_0 src1_sel:DWORD
	v_sub_nc_u32_e32 v72, v11, v10
	s_mov_b32 s23, 0
	s_waitcnt lgkmcnt(0)
	s_waitcnt_vscnt null, 0x0
	s_barrier
	buffer_gl0_inv
	s_branch .LBB91_56
.LBB91_55:                              ;   in Loop: Header=BB91_56 Depth=1
	s_or_b32 exec_lo, exec_lo, s21
	s_and_b32 s20, exec_lo, s24
	s_or_b32 s23, s20, s23
	s_andn2_b32 exec_lo, exec_lo, s23
	s_cbranch_execz .LBB91_98
.LBB91_56:                              ; =>This Inner Loop Header: Depth=1
	v_min_u32_e32 v17, s22, v72
	v_lshrrev_b32_sdwa v19, v10, v16 dst_sel:DWORD dst_unused:UNUSED_PAD src0_sel:DWORD src1_sel:BYTE_0
	v_mov_b32_e32 v52, v82
	v_mov_b32_e32 v53, v83
	;; [unrolled: 1-line block ×3, first 2 shown]
	v_lshlrev_b32_e64 v18, v17, -1
	v_mov_b32_e32 v51, v85
	v_mov_b32_e32 v54, v86
	;; [unrolled: 1-line block ×4, first 2 shown]
	v_not_b32_e32 v148, v18
	v_mov_b32_e32 v26, v100
	v_mov_b32_e32 v34, v102
	;; [unrolled: 1-line block ×4, first 2 shown]
	v_and_b32_e32 v82, v19, v148
	v_mov_b32_e32 v18, v116
	v_mov_b32_e32 v24, v130
	;; [unrolled: 1-line block ×4, first 2 shown]
	v_and_b32_e32 v48, 1, v82
	v_lshlrev_b32_e32 v66, 30, v82
	v_lshlrev_b32_e32 v69, 29, v82
	;; [unrolled: 1-line block ×4, first 2 shown]
	v_add_co_u32 v67, s20, v48, -1
	v_cndmask_b32_e64 v68, 0, 1, s20
	v_not_b32_e32 v71, v66
	v_cmp_gt_i32_e64 s21, 0, v66
	v_not_b32_e32 v66, v69
	v_not_b32_e32 v85, v81
	v_cmp_ne_u32_e64 s20, 0, v68
	v_ashrrev_i32_e32 v71, 31, v71
	v_lshlrev_b32_e32 v68, 27, v82
	v_ashrrev_i32_e32 v66, 31, v66
	v_ashrrev_i32_e32 v85, 31, v85
	v_xor_b32_e32 v67, s20, v67
	v_cmp_gt_i32_e64 s20, 0, v69
	v_not_b32_e32 v69, v70
	v_xor_b32_e32 v71, s21, v71
	v_cmp_gt_i32_e64 s21, 0, v70
	v_and_b32_e32 v67, exec_lo, v67
	v_not_b32_e32 v70, v68
	v_ashrrev_i32_e32 v69, 31, v69
	v_xor_b32_e32 v66, s20, v66
	v_cmp_gt_i32_e64 s20, 0, v68
	v_and_b32_e32 v67, v67, v71
	v_lshlrev_b32_e32 v71, 26, v82
	v_ashrrev_i32_e32 v68, 31, v70
	v_xor_b32_e32 v69, s21, v69
	v_lshlrev_b32_e32 v70, 25, v82
	v_and_b32_e32 v66, v67, v66
	v_not_b32_e32 v67, v71
	v_cmp_gt_i32_e64 s21, 0, v71
	v_xor_b32_e32 v68, s20, v68
	v_not_b32_e32 v80, v70
	v_and_b32_e32 v69, v66, v69
	v_ashrrev_i32_e32 v71, 31, v67
	v_cmp_gt_i32_e64 s20, 0, v70
	v_lshlrev_b32_e32 v82, 3, v82
	v_ashrrev_i32_e32 v80, 31, v80
	v_and_b32_e32 v83, v69, v68
	v_xor_b32_e32 v84, s21, v71
	v_mov_b32_e32 v48, v146
	v_mov_b32_e32 v66, v118
	v_mov_b32_e32 v68, v128
	v_mov_b32_e32 v70, v132
	v_and_b32_e32 v83, v83, v84
	v_xor_b32_e32 v84, s20, v80
	v_cmp_gt_i32_e64 s20, 0, v81
	v_mov_b32_e32 v80, v144
	v_mov_b32_e32 v65, v127
	;; [unrolled: 1-line block ×3, first 2 shown]
	v_and_b32_e32 v83, v83, v84
	v_xor_b32_e32 v84, s20, v85
	v_mov_b32_e32 v17, v125
	v_mov_b32_e32 v55, v87
	;; [unrolled: 1-line block ×4, first 2 shown]
	v_and_b32_e32 v84, v83, v84
	v_add_lshl_u32 v83, v82, v231, 2
	v_mov_b32_e32 v27, v101
	v_mov_b32_e32 v35, v103
	;; [unrolled: 1-line block ×3, first 2 shown]
	v_mbcnt_lo_u32_b32 v82, v84, 0
	v_add_co_u32 v83, null, v12, v83
	v_cmp_ne_u32_e64 s21, 0, v84
	v_mov_b32_e32 v21, v115
	v_cmp_eq_u32_e64 s20, 0, v82
	v_mov_b32_e32 v19, v117
	v_mov_b32_e32 v25, v131
	;; [unrolled: 1-line block ×8, first 2 shown]
	v_add_co_u32 v83, null, v83, 32
	s_and_b32 s21, s21, s20
	ds_write_b32 v1, v242
	ds_write_b32 v9, v242
	;; [unrolled: 1-line block ×8, first 2 shown]
	s_waitcnt lgkmcnt(0)
	s_barrier
	buffer_gl0_inv
	; wave barrier
	s_and_saveexec_b32 s20, s21
; %bb.57:                               ;   in Loop: Header=BB91_56 Depth=1
	v_bcnt_u32_b32 v84, v84, 0
	ds_write_b32 v83, v84
; %bb.58:                               ;   in Loop: Header=BB91_56 Depth=1
	s_or_b32 exec_lo, exec_lo, s20
	v_lshrrev_b32_sdwa v84, v10, v16 dst_sel:DWORD dst_unused:UNUSED_PAD src0_sel:DWORD src1_sel:BYTE_1
	; wave barrier
	v_and_b32_e32 v84, v84, v148
	v_and_b32_e32 v85, 1, v84
	v_lshlrev_b32_e32 v86, 30, v84
	v_lshlrev_b32_e32 v87, 29, v84
	;; [unrolled: 1-line block ×4, first 2 shown]
	v_add_co_u32 v85, s20, v85, -1
	v_cndmask_b32_e64 v97, 0, 1, s20
	v_not_b32_e32 v101, v86
	v_cmp_gt_i32_e64 s21, 0, v86
	v_not_b32_e32 v86, v87
	v_lshlrev_b32_e32 v99, 26, v84
	v_cmp_ne_u32_e64 s20, 0, v97
	v_ashrrev_i32_e32 v101, 31, v101
	v_lshlrev_b32_e32 v100, 25, v84
	v_ashrrev_i32_e32 v86, 31, v86
	v_lshlrev_b32_e32 v97, 24, v84
	v_xor_b32_e32 v85, s20, v85
	v_cmp_gt_i32_e64 s20, 0, v87
	v_not_b32_e32 v87, v96
	v_xor_b32_e32 v101, s21, v101
	v_cmp_gt_i32_e64 s21, 0, v96
	v_and_b32_e32 v85, exec_lo, v85
	v_not_b32_e32 v96, v98
	v_ashrrev_i32_e32 v87, 31, v87
	v_xor_b32_e32 v86, s20, v86
	v_cmp_gt_i32_e64 s20, 0, v98
	v_and_b32_e32 v85, v85, v101
	v_not_b32_e32 v98, v99
	v_ashrrev_i32_e32 v96, 31, v96
	v_xor_b32_e32 v87, s21, v87
	v_cmp_gt_i32_e64 s21, 0, v99
	v_and_b32_e32 v85, v85, v86
	;; [unrolled: 5-line block ×3, first 2 shown]
	v_not_b32_e32 v87, v97
	v_ashrrev_i32_e32 v86, 31, v86
	v_xor_b32_e32 v98, s21, v98
	v_lshl_add_u32 v84, v84, 3, v231
	v_and_b32_e32 v85, v85, v96
	v_cmp_gt_i32_e64 s21, 0, v97
	v_ashrrev_i32_e32 v87, 31, v87
	v_xor_b32_e32 v86, s20, v86
	v_lshl_add_u32 v96, v84, 2, v12
	v_and_b32_e32 v85, v85, v98
	v_xor_b32_e32 v87, s21, v87
	ds_read_b32 v84, v96 offset:32
	v_and_b32_e32 v85, v85, v86
	v_add_nc_u32_e32 v86, 32, v96
	; wave barrier
	v_and_b32_e32 v87, v85, v87
	v_mbcnt_lo_u32_b32 v85, v87, 0
	v_cmp_ne_u32_e64 s21, 0, v87
	v_cmp_eq_u32_e64 s20, 0, v85
	s_and_b32 s21, s21, s20
	s_and_saveexec_b32 s20, s21
	s_cbranch_execz .LBB91_60
; %bb.59:                               ;   in Loop: Header=BB91_56 Depth=1
	s_waitcnt lgkmcnt(0)
	v_bcnt_u32_b32 v87, v87, v84
	ds_write_b32 v86, v87
.LBB91_60:                              ;   in Loop: Header=BB91_56 Depth=1
	s_or_b32 exec_lo, exec_lo, s20
	v_lshrrev_b32_sdwa v87, v10, v16 dst_sel:DWORD dst_unused:UNUSED_PAD src0_sel:DWORD src1_sel:BYTE_2
	; wave barrier
	v_and_b32_e32 v87, v87, v148
	v_and_b32_e32 v96, 1, v87
	v_lshlrev_b32_e32 v97, 30, v87
	v_lshlrev_b32_e32 v98, 29, v87
	v_lshlrev_b32_e32 v99, 28, v87
	v_lshlrev_b32_e32 v101, 27, v87
	v_add_co_u32 v96, s20, v96, -1
	v_cndmask_b32_e64 v100, 0, 1, s20
	v_not_b32_e32 v112, v97
	v_cmp_gt_i32_e64 s21, 0, v97
	v_not_b32_e32 v97, v98
	v_lshlrev_b32_e32 v102, 26, v87
	v_cmp_ne_u32_e64 s20, 0, v100
	v_ashrrev_i32_e32 v112, 31, v112
	v_lshlrev_b32_e32 v103, 25, v87
	v_ashrrev_i32_e32 v97, 31, v97
	v_lshlrev_b32_e32 v100, 24, v87
	v_xor_b32_e32 v96, s20, v96
	v_cmp_gt_i32_e64 s20, 0, v98
	v_not_b32_e32 v98, v99
	v_xor_b32_e32 v112, s21, v112
	v_cmp_gt_i32_e64 s21, 0, v99
	v_and_b32_e32 v96, exec_lo, v96
	v_not_b32_e32 v99, v101
	v_ashrrev_i32_e32 v98, 31, v98
	v_xor_b32_e32 v97, s20, v97
	v_cmp_gt_i32_e64 s20, 0, v101
	v_and_b32_e32 v96, v96, v112
	v_not_b32_e32 v101, v102
	v_ashrrev_i32_e32 v99, 31, v99
	v_xor_b32_e32 v98, s21, v98
	v_cmp_gt_i32_e64 s21, 0, v102
	v_and_b32_e32 v96, v96, v97
	v_not_b32_e32 v97, v103
	v_ashrrev_i32_e32 v101, 31, v101
	v_xor_b32_e32 v99, s20, v99
	v_cmp_gt_i32_e64 s20, 0, v103
	v_and_b32_e32 v96, v96, v98
	v_not_b32_e32 v98, v100
	v_ashrrev_i32_e32 v97, 31, v97
	v_xor_b32_e32 v101, s21, v101
	v_lshl_add_u32 v87, v87, 3, v231
	v_and_b32_e32 v96, v96, v99
	v_cmp_gt_i32_e64 s21, 0, v100
	v_ashrrev_i32_e32 v98, 31, v98
	v_xor_b32_e32 v97, s20, v97
	v_lshl_add_u32 v99, v87, 2, v12
	v_and_b32_e32 v96, v96, v101
	v_xor_b32_e32 v98, s21, v98
	ds_read_b32 v87, v99 offset:32
	v_and_b32_e32 v96, v96, v97
	v_add_nc_u32_e32 v97, 32, v99
	; wave barrier
	v_and_b32_e32 v98, v96, v98
	v_mbcnt_lo_u32_b32 v96, v98, 0
	v_cmp_ne_u32_e64 s21, 0, v98
	v_cmp_eq_u32_e64 s20, 0, v96
	s_and_b32 s21, s21, s20
	s_and_saveexec_b32 s20, s21
	s_cbranch_execz .LBB91_62
; %bb.61:                               ;   in Loop: Header=BB91_56 Depth=1
	s_waitcnt lgkmcnt(0)
	v_bcnt_u32_b32 v98, v98, v87
	ds_write_b32 v97, v98
.LBB91_62:                              ;   in Loop: Header=BB91_56 Depth=1
	s_or_b32 exec_lo, exec_lo, s20
	v_alignbit_b32 v98, v17, v16, 24
	; wave barrier
	v_lshrrev_b32_sdwa v98, v10, v98 dst_sel:DWORD dst_unused:UNUSED_PAD src0_sel:DWORD src1_sel:BYTE_0
	v_and_b32_e32 v98, v98, v148
	v_and_b32_e32 v99, 1, v98
	v_lshlrev_b32_e32 v100, 30, v98
	v_lshlrev_b32_e32 v101, 29, v98
	v_lshlrev_b32_e32 v102, 28, v98
	v_lshlrev_b32_e32 v112, 27, v98
	v_add_co_u32 v99, s20, v99, -1
	v_cndmask_b32_e64 v103, 0, 1, s20
	v_not_b32_e32 v115, v100
	v_cmp_gt_i32_e64 s21, 0, v100
	v_not_b32_e32 v100, v101
	v_lshlrev_b32_e32 v113, 26, v98
	v_cmp_ne_u32_e64 s20, 0, v103
	v_ashrrev_i32_e32 v115, 31, v115
	v_lshlrev_b32_e32 v114, 25, v98
	v_ashrrev_i32_e32 v100, 31, v100
	v_lshlrev_b32_e32 v103, 24, v98
	v_xor_b32_e32 v99, s20, v99
	v_cmp_gt_i32_e64 s20, 0, v101
	v_not_b32_e32 v101, v102
	v_xor_b32_e32 v115, s21, v115
	v_cmp_gt_i32_e64 s21, 0, v102
	v_and_b32_e32 v99, exec_lo, v99
	v_not_b32_e32 v102, v112
	v_ashrrev_i32_e32 v101, 31, v101
	v_xor_b32_e32 v100, s20, v100
	v_cmp_gt_i32_e64 s20, 0, v112
	v_and_b32_e32 v99, v99, v115
	v_not_b32_e32 v112, v113
	v_ashrrev_i32_e32 v102, 31, v102
	v_xor_b32_e32 v101, s21, v101
	v_cmp_gt_i32_e64 s21, 0, v113
	v_and_b32_e32 v99, v99, v100
	;; [unrolled: 5-line block ×3, first 2 shown]
	v_not_b32_e32 v101, v103
	v_ashrrev_i32_e32 v100, 31, v100
	v_xor_b32_e32 v112, s21, v112
	v_lshl_add_u32 v98, v98, 3, v231
	v_and_b32_e32 v99, v99, v102
	v_cmp_gt_i32_e64 s21, 0, v103
	v_ashrrev_i32_e32 v101, 31, v101
	v_xor_b32_e32 v100, s20, v100
	v_lshl_add_u32 v102, v98, 2, v12
	v_and_b32_e32 v99, v99, v112
	v_xor_b32_e32 v101, s21, v101
	ds_read_b32 v98, v102 offset:32
	v_and_b32_e32 v99, v99, v100
	v_add_nc_u32_e32 v100, 32, v102
	; wave barrier
	v_and_b32_e32 v101, v99, v101
	v_mbcnt_lo_u32_b32 v99, v101, 0
	v_cmp_ne_u32_e64 s21, 0, v101
	v_cmp_eq_u32_e64 s20, 0, v99
	s_and_b32 s21, s21, s20
	s_and_saveexec_b32 s20, s21
	s_cbranch_execz .LBB91_64
; %bb.63:                               ;   in Loop: Header=BB91_56 Depth=1
	s_waitcnt lgkmcnt(0)
	v_bcnt_u32_b32 v101, v101, v98
	ds_write_b32 v100, v101
.LBB91_64:                              ;   in Loop: Header=BB91_56 Depth=1
	s_or_b32 exec_lo, exec_lo, s20
	v_lshrrev_b32_sdwa v101, v10, v17 dst_sel:DWORD dst_unused:UNUSED_PAD src0_sel:DWORD src1_sel:BYTE_0
	; wave barrier
	v_and_b32_e32 v101, v101, v148
	v_and_b32_e32 v102, 1, v101
	v_lshlrev_b32_e32 v103, 30, v101
	v_lshlrev_b32_e32 v112, 29, v101
	;; [unrolled: 1-line block ×4, first 2 shown]
	v_add_co_u32 v102, s20, v102, -1
	v_cndmask_b32_e64 v114, 0, 1, s20
	v_not_b32_e32 v118, v103
	v_cmp_gt_i32_e64 s21, 0, v103
	v_not_b32_e32 v103, v112
	v_lshlrev_b32_e32 v116, 26, v101
	v_cmp_ne_u32_e64 s20, 0, v114
	v_ashrrev_i32_e32 v118, 31, v118
	v_lshlrev_b32_e32 v117, 25, v101
	v_ashrrev_i32_e32 v103, 31, v103
	v_lshlrev_b32_e32 v114, 24, v101
	v_xor_b32_e32 v102, s20, v102
	v_cmp_gt_i32_e64 s20, 0, v112
	v_not_b32_e32 v112, v113
	v_xor_b32_e32 v118, s21, v118
	v_cmp_gt_i32_e64 s21, 0, v113
	v_and_b32_e32 v102, exec_lo, v102
	v_not_b32_e32 v113, v115
	v_ashrrev_i32_e32 v112, 31, v112
	v_xor_b32_e32 v103, s20, v103
	v_cmp_gt_i32_e64 s20, 0, v115
	v_and_b32_e32 v102, v102, v118
	v_not_b32_e32 v115, v116
	v_ashrrev_i32_e32 v113, 31, v113
	v_xor_b32_e32 v112, s21, v112
	v_cmp_gt_i32_e64 s21, 0, v116
	v_and_b32_e32 v102, v102, v103
	;; [unrolled: 5-line block ×3, first 2 shown]
	v_not_b32_e32 v112, v114
	v_ashrrev_i32_e32 v103, 31, v103
	v_xor_b32_e32 v115, s21, v115
	v_lshl_add_u32 v101, v101, 3, v231
	v_and_b32_e32 v102, v102, v113
	v_cmp_gt_i32_e64 s21, 0, v114
	v_ashrrev_i32_e32 v112, 31, v112
	v_xor_b32_e32 v103, s20, v103
	v_lshl_add_u32 v113, v101, 2, v12
	v_and_b32_e32 v102, v102, v115
	v_xor_b32_e32 v112, s21, v112
	ds_read_b32 v101, v113 offset:32
	v_and_b32_e32 v102, v102, v103
	v_add_nc_u32_e32 v103, 32, v113
	; wave barrier
	v_and_b32_e32 v112, v102, v112
	v_mbcnt_lo_u32_b32 v102, v112, 0
	v_cmp_ne_u32_e64 s21, 0, v112
	v_cmp_eq_u32_e64 s20, 0, v102
	s_and_b32 s21, s21, s20
	s_and_saveexec_b32 s20, s21
	s_cbranch_execz .LBB91_66
; %bb.65:                               ;   in Loop: Header=BB91_56 Depth=1
	s_waitcnt lgkmcnt(0)
	v_bcnt_u32_b32 v112, v112, v101
	ds_write_b32 v103, v112
.LBB91_66:                              ;   in Loop: Header=BB91_56 Depth=1
	s_or_b32 exec_lo, exec_lo, s20
	v_lshrrev_b32_sdwa v112, v10, v17 dst_sel:DWORD dst_unused:UNUSED_PAD src0_sel:DWORD src1_sel:BYTE_1
	; wave barrier
	v_and_b32_e32 v112, v112, v148
	v_and_b32_e32 v113, 1, v112
	v_lshlrev_b32_e32 v114, 30, v112
	v_lshlrev_b32_e32 v115, 29, v112
	;; [unrolled: 1-line block ×4, first 2 shown]
	v_add_co_u32 v113, s20, v113, -1
	v_cndmask_b32_e64 v117, 0, 1, s20
	v_not_b32_e32 v129, v114
	v_cmp_gt_i32_e64 s21, 0, v114
	v_not_b32_e32 v114, v115
	v_lshlrev_b32_e32 v119, 26, v112
	v_cmp_ne_u32_e64 s20, 0, v117
	v_ashrrev_i32_e32 v129, 31, v129
	v_lshlrev_b32_e32 v128, 25, v112
	v_ashrrev_i32_e32 v114, 31, v114
	v_lshlrev_b32_e32 v117, 24, v112
	v_xor_b32_e32 v113, s20, v113
	v_cmp_gt_i32_e64 s20, 0, v115
	v_not_b32_e32 v115, v116
	v_xor_b32_e32 v129, s21, v129
	v_cmp_gt_i32_e64 s21, 0, v116
	v_and_b32_e32 v113, exec_lo, v113
	v_not_b32_e32 v116, v118
	v_ashrrev_i32_e32 v115, 31, v115
	v_xor_b32_e32 v114, s20, v114
	v_cmp_gt_i32_e64 s20, 0, v118
	v_and_b32_e32 v113, v113, v129
	v_not_b32_e32 v118, v119
	v_ashrrev_i32_e32 v116, 31, v116
	v_xor_b32_e32 v115, s21, v115
	v_cmp_gt_i32_e64 s21, 0, v119
	v_and_b32_e32 v113, v113, v114
	v_not_b32_e32 v114, v128
	v_ashrrev_i32_e32 v118, 31, v118
	v_xor_b32_e32 v116, s20, v116
	v_cmp_gt_i32_e64 s20, 0, v128
	v_and_b32_e32 v113, v113, v115
	v_not_b32_e32 v115, v117
	v_ashrrev_i32_e32 v114, 31, v114
	v_xor_b32_e32 v118, s21, v118
	v_lshl_add_u32 v112, v112, 3, v231
	v_and_b32_e32 v113, v113, v116
	v_cmp_gt_i32_e64 s21, 0, v117
	v_ashrrev_i32_e32 v115, 31, v115
	v_xor_b32_e32 v114, s20, v114
	v_lshl_add_u32 v116, v112, 2, v12
	v_and_b32_e32 v113, v113, v118
	v_xor_b32_e32 v115, s21, v115
	ds_read_b32 v112, v116 offset:32
	v_and_b32_e32 v113, v113, v114
	v_add_nc_u32_e32 v114, 32, v116
	; wave barrier
	v_and_b32_e32 v115, v113, v115
	v_mbcnt_lo_u32_b32 v113, v115, 0
	v_cmp_ne_u32_e64 s21, 0, v115
	v_cmp_eq_u32_e64 s20, 0, v113
	s_and_b32 s21, s21, s20
	s_and_saveexec_b32 s20, s21
	s_cbranch_execz .LBB91_68
; %bb.67:                               ;   in Loop: Header=BB91_56 Depth=1
	s_waitcnt lgkmcnt(0)
	v_bcnt_u32_b32 v115, v115, v112
	ds_write_b32 v114, v115
.LBB91_68:                              ;   in Loop: Header=BB91_56 Depth=1
	s_or_b32 exec_lo, exec_lo, s20
	v_lshrrev_b32_sdwa v115, v10, v17 dst_sel:DWORD dst_unused:UNUSED_PAD src0_sel:DWORD src1_sel:BYTE_2
	; wave barrier
	v_and_b32_e32 v115, v115, v148
	v_and_b32_e32 v116, 1, v115
	v_lshlrev_b32_e32 v117, 30, v115
	v_lshlrev_b32_e32 v118, 29, v115
	;; [unrolled: 1-line block ×4, first 2 shown]
	v_add_co_u32 v116, s20, v116, -1
	v_cndmask_b32_e64 v128, 0, 1, s20
	v_not_b32_e32 v132, v117
	v_cmp_gt_i32_e64 s21, 0, v117
	v_not_b32_e32 v117, v118
	v_lshlrev_b32_e32 v130, 26, v115
	v_cmp_ne_u32_e64 s20, 0, v128
	v_ashrrev_i32_e32 v132, 31, v132
	v_lshlrev_b32_e32 v131, 25, v115
	v_ashrrev_i32_e32 v117, 31, v117
	v_lshlrev_b32_e32 v128, 24, v115
	v_xor_b32_e32 v116, s20, v116
	v_cmp_gt_i32_e64 s20, 0, v118
	v_not_b32_e32 v118, v119
	v_xor_b32_e32 v132, s21, v132
	v_cmp_gt_i32_e64 s21, 0, v119
	v_and_b32_e32 v116, exec_lo, v116
	v_not_b32_e32 v119, v129
	v_ashrrev_i32_e32 v118, 31, v118
	v_xor_b32_e32 v117, s20, v117
	v_cmp_gt_i32_e64 s20, 0, v129
	v_and_b32_e32 v116, v116, v132
	v_not_b32_e32 v129, v130
	v_ashrrev_i32_e32 v119, 31, v119
	v_xor_b32_e32 v118, s21, v118
	v_cmp_gt_i32_e64 s21, 0, v130
	v_and_b32_e32 v116, v116, v117
	;; [unrolled: 5-line block ×3, first 2 shown]
	v_not_b32_e32 v118, v128
	v_ashrrev_i32_e32 v117, 31, v117
	v_xor_b32_e32 v129, s21, v129
	v_lshl_add_u32 v115, v115, 3, v231
	v_and_b32_e32 v116, v116, v119
	v_cmp_gt_i32_e64 s21, 0, v128
	v_ashrrev_i32_e32 v118, 31, v118
	v_xor_b32_e32 v117, s20, v117
	v_lshl_add_u32 v119, v115, 2, v12
	v_and_b32_e32 v116, v116, v129
	v_xor_b32_e32 v118, s21, v118
	ds_read_b32 v115, v119 offset:32
	v_and_b32_e32 v116, v116, v117
	v_add_nc_u32_e32 v117, 32, v119
	; wave barrier
	v_and_b32_e32 v118, v116, v118
	v_mbcnt_lo_u32_b32 v116, v118, 0
	v_cmp_ne_u32_e64 s21, 0, v118
	v_cmp_eq_u32_e64 s20, 0, v116
	s_and_b32 s21, s21, s20
	s_and_saveexec_b32 s20, s21
	s_cbranch_execz .LBB91_70
; %bb.69:                               ;   in Loop: Header=BB91_56 Depth=1
	s_waitcnt lgkmcnt(0)
	v_bcnt_u32_b32 v118, v118, v115
	ds_write_b32 v117, v118
.LBB91_70:                              ;   in Loop: Header=BB91_56 Depth=1
	s_or_b32 exec_lo, exec_lo, s20
	v_lshrrev_b32_e32 v74, 24, v17
	; wave barrier
	v_lshrrev_b32_e32 v118, v10, v74
	v_and_b32_e32 v118, v118, v148
	v_and_b32_e32 v119, 1, v118
	v_lshlrev_b32_e32 v128, 30, v118
	v_lshlrev_b32_e32 v129, 29, v118
	;; [unrolled: 1-line block ×4, first 2 shown]
	v_add_co_u32 v119, s20, v119, -1
	v_cndmask_b32_e64 v131, 0, 1, s20
	v_not_b32_e32 v135, v128
	v_cmp_gt_i32_e64 s21, 0, v128
	v_not_b32_e32 v128, v129
	v_lshlrev_b32_e32 v133, 26, v118
	v_cmp_ne_u32_e64 s20, 0, v131
	v_ashrrev_i32_e32 v135, 31, v135
	v_lshlrev_b32_e32 v134, 25, v118
	v_ashrrev_i32_e32 v128, 31, v128
	v_lshlrev_b32_e32 v131, 24, v118
	v_xor_b32_e32 v119, s20, v119
	v_cmp_gt_i32_e64 s20, 0, v129
	v_not_b32_e32 v129, v130
	v_xor_b32_e32 v135, s21, v135
	v_cmp_gt_i32_e64 s21, 0, v130
	v_and_b32_e32 v119, exec_lo, v119
	v_not_b32_e32 v130, v132
	v_ashrrev_i32_e32 v129, 31, v129
	v_xor_b32_e32 v128, s20, v128
	v_cmp_gt_i32_e64 s20, 0, v132
	v_and_b32_e32 v119, v119, v135
	v_not_b32_e32 v132, v133
	v_ashrrev_i32_e32 v130, 31, v130
	v_xor_b32_e32 v129, s21, v129
	v_cmp_gt_i32_e64 s21, 0, v133
	v_and_b32_e32 v119, v119, v128
	;; [unrolled: 5-line block ×3, first 2 shown]
	v_not_b32_e32 v129, v131
	v_ashrrev_i32_e32 v128, 31, v128
	v_xor_b32_e32 v132, s21, v132
	v_lshl_add_u32 v118, v118, 3, v231
	v_and_b32_e32 v119, v119, v130
	v_cmp_gt_i32_e64 s21, 0, v131
	v_ashrrev_i32_e32 v129, 31, v129
	v_xor_b32_e32 v128, s20, v128
	v_lshl_add_u32 v130, v118, 2, v12
	v_and_b32_e32 v119, v119, v132
	v_xor_b32_e32 v129, s21, v129
	ds_read_b32 v118, v130 offset:32
	v_and_b32_e32 v119, v119, v128
	v_add_nc_u32_e32 v128, 32, v130
	; wave barrier
	v_and_b32_e32 v129, v119, v129
	v_mbcnt_lo_u32_b32 v119, v129, 0
	v_cmp_ne_u32_e64 s21, 0, v129
	v_cmp_eq_u32_e64 s20, 0, v119
	s_and_b32 s21, s21, s20
	s_and_saveexec_b32 s20, s21
	s_cbranch_execz .LBB91_72
; %bb.71:                               ;   in Loop: Header=BB91_56 Depth=1
	s_waitcnt lgkmcnt(0)
	v_bcnt_u32_b32 v129, v129, v118
	ds_write_b32 v128, v129
.LBB91_72:                              ;   in Loop: Header=BB91_56 Depth=1
	s_or_b32 exec_lo, exec_lo, s20
	v_lshrrev_b32_sdwa v129, v10, v64 dst_sel:DWORD dst_unused:UNUSED_PAD src0_sel:DWORD src1_sel:BYTE_0
	; wave barrier
	v_and_b32_e32 v129, v129, v148
	v_and_b32_e32 v130, 1, v129
	v_lshlrev_b32_e32 v131, 30, v129
	v_lshlrev_b32_e32 v132, 29, v129
	v_lshlrev_b32_e32 v133, 28, v129
	v_lshlrev_b32_e32 v135, 27, v129
	v_add_co_u32 v130, s20, v130, -1
	v_cndmask_b32_e64 v134, 0, 1, s20
	v_not_b32_e32 v146, v131
	v_cmp_gt_i32_e64 s21, 0, v131
	v_not_b32_e32 v131, v132
	v_lshlrev_b32_e32 v144, 26, v129
	v_cmp_ne_u32_e64 s20, 0, v134
	v_ashrrev_i32_e32 v146, 31, v146
	v_lshlrev_b32_e32 v145, 25, v129
	v_ashrrev_i32_e32 v131, 31, v131
	v_lshlrev_b32_e32 v134, 24, v129
	v_xor_b32_e32 v130, s20, v130
	v_cmp_gt_i32_e64 s20, 0, v132
	v_not_b32_e32 v132, v133
	v_xor_b32_e32 v146, s21, v146
	v_cmp_gt_i32_e64 s21, 0, v133
	v_and_b32_e32 v130, exec_lo, v130
	v_not_b32_e32 v133, v135
	v_ashrrev_i32_e32 v132, 31, v132
	v_xor_b32_e32 v131, s20, v131
	v_cmp_gt_i32_e64 s20, 0, v135
	v_and_b32_e32 v130, v130, v146
	v_not_b32_e32 v135, v144
	v_ashrrev_i32_e32 v133, 31, v133
	v_xor_b32_e32 v132, s21, v132
	v_cmp_gt_i32_e64 s21, 0, v144
	v_and_b32_e32 v130, v130, v131
	v_not_b32_e32 v131, v145
	v_ashrrev_i32_e32 v135, 31, v135
	v_xor_b32_e32 v133, s20, v133
	v_cmp_gt_i32_e64 s20, 0, v145
	v_and_b32_e32 v130, v130, v132
	v_not_b32_e32 v132, v134
	v_ashrrev_i32_e32 v131, 31, v131
	v_xor_b32_e32 v135, s21, v135
	v_lshl_add_u32 v129, v129, 3, v231
	v_and_b32_e32 v130, v130, v133
	v_cmp_gt_i32_e64 s21, 0, v134
	v_ashrrev_i32_e32 v132, 31, v132
	v_xor_b32_e32 v131, s20, v131
	v_lshl_add_u32 v133, v129, 2, v12
	v_and_b32_e32 v130, v130, v135
	v_xor_b32_e32 v132, s21, v132
	ds_read_b32 v129, v133 offset:32
	v_and_b32_e32 v130, v130, v131
	v_add_nc_u32_e32 v131, 32, v133
	; wave barrier
	v_and_b32_e32 v132, v130, v132
	v_mbcnt_lo_u32_b32 v130, v132, 0
	v_cmp_ne_u32_e64 s21, 0, v132
	v_cmp_eq_u32_e64 s20, 0, v130
	s_and_b32 s21, s21, s20
	s_and_saveexec_b32 s20, s21
	s_cbranch_execz .LBB91_74
; %bb.73:                               ;   in Loop: Header=BB91_56 Depth=1
	s_waitcnt lgkmcnt(0)
	v_bcnt_u32_b32 v132, v132, v129
	ds_write_b32 v131, v132
.LBB91_74:                              ;   in Loop: Header=BB91_56 Depth=1
	s_or_b32 exec_lo, exec_lo, s20
	v_lshrrev_b32_sdwa v132, v10, v64 dst_sel:DWORD dst_unused:UNUSED_PAD src0_sel:DWORD src1_sel:BYTE_1
	; wave barrier
	v_and_b32_e32 v132, v132, v148
	v_and_b32_e32 v133, 1, v132
	v_lshlrev_b32_e32 v134, 30, v132
	v_lshlrev_b32_e32 v135, 29, v132
	;; [unrolled: 1-line block ×4, first 2 shown]
	v_add_co_u32 v133, s20, v133, -1
	v_cndmask_b32_e64 v145, 0, 1, s20
	v_not_b32_e32 v150, v134
	v_cmp_gt_i32_e64 s21, 0, v134
	v_not_b32_e32 v134, v135
	v_lshlrev_b32_e32 v147, 26, v132
	v_cmp_ne_u32_e64 s20, 0, v145
	v_ashrrev_i32_e32 v150, 31, v150
	v_lshlrev_b32_e32 v149, 25, v132
	v_ashrrev_i32_e32 v134, 31, v134
	v_lshlrev_b32_e32 v145, 24, v132
	v_xor_b32_e32 v133, s20, v133
	v_cmp_gt_i32_e64 s20, 0, v135
	v_not_b32_e32 v135, v144
	v_xor_b32_e32 v150, s21, v150
	v_cmp_gt_i32_e64 s21, 0, v144
	v_and_b32_e32 v133, exec_lo, v133
	v_not_b32_e32 v144, v146
	v_ashrrev_i32_e32 v135, 31, v135
	v_xor_b32_e32 v134, s20, v134
	v_cmp_gt_i32_e64 s20, 0, v146
	v_and_b32_e32 v133, v133, v150
	v_not_b32_e32 v146, v147
	v_ashrrev_i32_e32 v144, 31, v144
	v_xor_b32_e32 v135, s21, v135
	v_cmp_gt_i32_e64 s21, 0, v147
	v_and_b32_e32 v133, v133, v134
	v_not_b32_e32 v134, v149
	v_ashrrev_i32_e32 v146, 31, v146
	v_xor_b32_e32 v144, s20, v144
	v_cmp_gt_i32_e64 s20, 0, v149
	v_and_b32_e32 v133, v133, v135
	v_not_b32_e32 v135, v145
	v_ashrrev_i32_e32 v134, 31, v134
	v_xor_b32_e32 v146, s21, v146
	v_lshl_add_u32 v132, v132, 3, v231
	v_and_b32_e32 v133, v133, v144
	v_cmp_gt_i32_e64 s21, 0, v145
	v_ashrrev_i32_e32 v135, 31, v135
	v_xor_b32_e32 v134, s20, v134
	v_lshl_add_u32 v144, v132, 2, v12
	v_and_b32_e32 v133, v133, v146
	v_xor_b32_e32 v135, s21, v135
	ds_read_b32 v132, v144 offset:32
	v_and_b32_e32 v133, v133, v134
	v_add_nc_u32_e32 v134, 32, v144
	; wave barrier
	v_and_b32_e32 v135, v133, v135
	v_mbcnt_lo_u32_b32 v133, v135, 0
	v_cmp_ne_u32_e64 s21, 0, v135
	v_cmp_eq_u32_e64 s20, 0, v133
	s_and_b32 s21, s21, s20
	s_and_saveexec_b32 s20, s21
	s_cbranch_execz .LBB91_76
; %bb.75:                               ;   in Loop: Header=BB91_56 Depth=1
	s_waitcnt lgkmcnt(0)
	v_bcnt_u32_b32 v135, v135, v132
	ds_write_b32 v134, v135
.LBB91_76:                              ;   in Loop: Header=BB91_56 Depth=1
	s_or_b32 exec_lo, exec_lo, s20
	v_lshrrev_b32_sdwa v135, v10, v64 dst_sel:DWORD dst_unused:UNUSED_PAD src0_sel:DWORD src1_sel:BYTE_2
	; wave barrier
	v_and_b32_e32 v135, v135, v148
	v_and_b32_e32 v144, 1, v135
	v_lshlrev_b32_e32 v145, 30, v135
	v_lshlrev_b32_e32 v146, 29, v135
	;; [unrolled: 1-line block ×4, first 2 shown]
	v_add_co_u32 v144, s20, v144, -1
	v_cndmask_b32_e64 v149, 0, 1, s20
	v_not_b32_e32 v161, v145
	v_cmp_gt_i32_e64 s21, 0, v145
	v_not_b32_e32 v145, v146
	v_lshlrev_b32_e32 v151, 26, v135
	v_cmp_ne_u32_e64 s20, 0, v149
	v_ashrrev_i32_e32 v161, 31, v161
	v_lshlrev_b32_e32 v160, 25, v135
	v_ashrrev_i32_e32 v145, 31, v145
	v_lshlrev_b32_e32 v149, 24, v135
	v_xor_b32_e32 v144, s20, v144
	v_cmp_gt_i32_e64 s20, 0, v146
	v_not_b32_e32 v146, v147
	v_xor_b32_e32 v161, s21, v161
	v_cmp_gt_i32_e64 s21, 0, v147
	v_and_b32_e32 v144, exec_lo, v144
	v_not_b32_e32 v147, v150
	v_ashrrev_i32_e32 v146, 31, v146
	v_xor_b32_e32 v145, s20, v145
	v_cmp_gt_i32_e64 s20, 0, v150
	v_and_b32_e32 v144, v144, v161
	v_not_b32_e32 v150, v151
	v_ashrrev_i32_e32 v147, 31, v147
	v_xor_b32_e32 v146, s21, v146
	v_cmp_gt_i32_e64 s21, 0, v151
	v_and_b32_e32 v144, v144, v145
	;; [unrolled: 5-line block ×3, first 2 shown]
	v_not_b32_e32 v146, v149
	v_ashrrev_i32_e32 v145, 31, v145
	v_xor_b32_e32 v150, s21, v150
	v_lshl_add_u32 v135, v135, 3, v231
	v_and_b32_e32 v144, v144, v147
	v_cmp_gt_i32_e64 s21, 0, v149
	v_ashrrev_i32_e32 v146, 31, v146
	v_xor_b32_e32 v145, s20, v145
	v_lshl_add_u32 v147, v135, 2, v12
	v_and_b32_e32 v144, v144, v150
	v_xor_b32_e32 v146, s21, v146
	ds_read_b32 v135, v147 offset:32
	v_and_b32_e32 v144, v144, v145
	v_add_nc_u32_e32 v145, 32, v147
	; wave barrier
	v_and_b32_e32 v146, v144, v146
	v_mbcnt_lo_u32_b32 v144, v146, 0
	v_cmp_ne_u32_e64 s21, 0, v146
	v_cmp_eq_u32_e64 s20, 0, v144
	s_and_b32 s21, s21, s20
	s_and_saveexec_b32 s20, s21
	s_cbranch_execz .LBB91_78
; %bb.77:                               ;   in Loop: Header=BB91_56 Depth=1
	s_waitcnt lgkmcnt(0)
	v_bcnt_u32_b32 v146, v146, v135
	ds_write_b32 v145, v146
.LBB91_78:                              ;   in Loop: Header=BB91_56 Depth=1
	s_or_b32 exec_lo, exec_lo, s20
	v_alignbit_b32 v146, v65, v64, 24
	; wave barrier
	v_lshrrev_b32_sdwa v146, v10, v146 dst_sel:DWORD dst_unused:UNUSED_PAD src0_sel:DWORD src1_sel:BYTE_0
	v_and_b32_e32 v146, v146, v148
	v_and_b32_e32 v147, 1, v146
	v_lshlrev_b32_e32 v149, 30, v146
	v_lshlrev_b32_e32 v150, 29, v146
	;; [unrolled: 1-line block ×4, first 2 shown]
	v_add_co_u32 v147, s20, v147, -1
	v_cndmask_b32_e64 v160, 0, 1, s20
	v_not_b32_e32 v164, v149
	v_cmp_gt_i32_e64 s21, 0, v149
	v_not_b32_e32 v149, v150
	v_lshlrev_b32_e32 v162, 26, v146
	v_cmp_ne_u32_e64 s20, 0, v160
	v_ashrrev_i32_e32 v164, 31, v164
	v_lshlrev_b32_e32 v163, 25, v146
	v_ashrrev_i32_e32 v149, 31, v149
	v_lshlrev_b32_e32 v160, 24, v146
	v_xor_b32_e32 v147, s20, v147
	v_cmp_gt_i32_e64 s20, 0, v150
	v_not_b32_e32 v150, v151
	v_xor_b32_e32 v164, s21, v164
	v_cmp_gt_i32_e64 s21, 0, v151
	v_and_b32_e32 v147, exec_lo, v147
	v_not_b32_e32 v151, v161
	v_ashrrev_i32_e32 v150, 31, v150
	v_xor_b32_e32 v149, s20, v149
	v_cmp_gt_i32_e64 s20, 0, v161
	v_and_b32_e32 v147, v147, v164
	v_not_b32_e32 v161, v162
	v_ashrrev_i32_e32 v151, 31, v151
	v_xor_b32_e32 v150, s21, v150
	v_cmp_gt_i32_e64 s21, 0, v162
	v_and_b32_e32 v147, v147, v149
	;; [unrolled: 5-line block ×3, first 2 shown]
	v_not_b32_e32 v150, v160
	v_ashrrev_i32_e32 v149, 31, v149
	v_xor_b32_e32 v161, s21, v161
	v_lshl_add_u32 v146, v146, 3, v231
	v_and_b32_e32 v147, v147, v151
	v_cmp_gt_i32_e64 s21, 0, v160
	v_ashrrev_i32_e32 v150, 31, v150
	v_xor_b32_e32 v149, s20, v149
	v_lshl_add_u32 v151, v146, 2, v12
	v_and_b32_e32 v147, v147, v161
	v_xor_b32_e32 v150, s21, v150
	ds_read_b32 v146, v151 offset:32
	v_and_b32_e32 v147, v147, v149
	v_add_nc_u32_e32 v160, 32, v151
	; wave barrier
	v_and_b32_e32 v149, v147, v150
	v_mbcnt_lo_u32_b32 v147, v149, 0
	v_cmp_ne_u32_e64 s21, 0, v149
	v_cmp_eq_u32_e64 s20, 0, v147
	s_and_b32 s21, s21, s20
	s_and_saveexec_b32 s20, s21
	s_cbranch_execz .LBB91_80
; %bb.79:                               ;   in Loop: Header=BB91_56 Depth=1
	s_waitcnt lgkmcnt(0)
	v_bcnt_u32_b32 v149, v149, v146
	ds_write_b32 v160, v149
.LBB91_80:                              ;   in Loop: Header=BB91_56 Depth=1
	s_or_b32 exec_lo, exec_lo, s20
	v_lshrrev_b32_sdwa v149, v10, v65 dst_sel:DWORD dst_unused:UNUSED_PAD src0_sel:DWORD src1_sel:BYTE_0
	; wave barrier
	v_and_b32_e32 v149, v149, v148
	v_and_b32_e32 v150, 1, v149
	v_lshlrev_b32_e32 v151, 30, v149
	v_lshlrev_b32_e32 v161, 29, v149
	;; [unrolled: 1-line block ×4, first 2 shown]
	v_add_co_u32 v150, s20, v150, -1
	v_cndmask_b32_e64 v163, 0, 1, s20
	v_not_b32_e32 v167, v151
	v_cmp_gt_i32_e64 s21, 0, v151
	v_not_b32_e32 v151, v161
	v_lshlrev_b32_e32 v165, 26, v149
	v_cmp_ne_u32_e64 s20, 0, v163
	v_ashrrev_i32_e32 v167, 31, v167
	v_lshlrev_b32_e32 v166, 25, v149
	v_ashrrev_i32_e32 v151, 31, v151
	v_lshlrev_b32_e32 v163, 24, v149
	v_xor_b32_e32 v150, s20, v150
	v_cmp_gt_i32_e64 s20, 0, v161
	v_not_b32_e32 v161, v162
	v_xor_b32_e32 v167, s21, v167
	v_cmp_gt_i32_e64 s21, 0, v162
	v_and_b32_e32 v150, exec_lo, v150
	v_not_b32_e32 v162, v164
	v_ashrrev_i32_e32 v161, 31, v161
	v_xor_b32_e32 v151, s20, v151
	v_cmp_gt_i32_e64 s20, 0, v164
	v_and_b32_e32 v150, v150, v167
	v_not_b32_e32 v164, v165
	v_ashrrev_i32_e32 v162, 31, v162
	v_xor_b32_e32 v161, s21, v161
	v_cmp_gt_i32_e64 s21, 0, v165
	v_and_b32_e32 v150, v150, v151
	;; [unrolled: 5-line block ×3, first 2 shown]
	v_not_b32_e32 v161, v163
	v_ashrrev_i32_e32 v151, 31, v151
	v_xor_b32_e32 v164, s21, v164
	v_lshl_add_u32 v149, v149, 3, v231
	v_and_b32_e32 v150, v150, v162
	v_cmp_gt_i32_e64 s21, 0, v163
	v_ashrrev_i32_e32 v161, 31, v161
	v_xor_b32_e32 v151, s20, v151
	v_lshl_add_u32 v163, v149, 2, v12
	v_and_b32_e32 v150, v150, v164
	v_xor_b32_e32 v149, s21, v161
	ds_read_b32 v161, v163 offset:32
	v_and_b32_e32 v150, v150, v151
	v_add_nc_u32_e32 v163, 32, v163
	; wave barrier
	v_and_b32_e32 v149, v150, v149
	v_mbcnt_lo_u32_b32 v162, v149, 0
	v_cmp_ne_u32_e64 s21, 0, v149
	v_cmp_eq_u32_e64 s20, 0, v162
	s_and_b32 s21, s21, s20
	s_and_saveexec_b32 s20, s21
	s_cbranch_execz .LBB91_82
; %bb.81:                               ;   in Loop: Header=BB91_56 Depth=1
	s_waitcnt lgkmcnt(0)
	v_bcnt_u32_b32 v149, v149, v161
	ds_write_b32 v163, v149
.LBB91_82:                              ;   in Loop: Header=BB91_56 Depth=1
	s_or_b32 exec_lo, exec_lo, s20
	v_lshrrev_b32_sdwa v149, v10, v65 dst_sel:DWORD dst_unused:UNUSED_PAD src0_sel:DWORD src1_sel:BYTE_1
	; wave barrier
	v_and_b32_e32 v149, v149, v148
	v_and_b32_e32 v150, 1, v149
	v_lshlrev_b32_e32 v151, 30, v149
	v_lshlrev_b32_e32 v164, 29, v149
	v_lshlrev_b32_e32 v165, 28, v149
	v_lshlrev_b32_e32 v167, 27, v149
	v_add_co_u32 v150, s20, v150, -1
	v_cndmask_b32_e64 v166, 0, 1, s20
	v_not_b32_e32 v178, v151
	v_cmp_gt_i32_e64 s21, 0, v151
	v_not_b32_e32 v151, v164
	v_lshlrev_b32_e32 v176, 26, v149
	v_cmp_ne_u32_e64 s20, 0, v166
	v_ashrrev_i32_e32 v178, 31, v178
	v_lshlrev_b32_e32 v177, 25, v149
	v_ashrrev_i32_e32 v151, 31, v151
	v_lshlrev_b32_e32 v166, 24, v149
	v_xor_b32_e32 v150, s20, v150
	v_cmp_gt_i32_e64 s20, 0, v164
	v_not_b32_e32 v164, v165
	v_xor_b32_e32 v178, s21, v178
	v_cmp_gt_i32_e64 s21, 0, v165
	v_and_b32_e32 v150, exec_lo, v150
	v_not_b32_e32 v165, v167
	v_ashrrev_i32_e32 v164, 31, v164
	v_xor_b32_e32 v151, s20, v151
	v_cmp_gt_i32_e64 s20, 0, v167
	v_and_b32_e32 v150, v150, v178
	v_not_b32_e32 v167, v176
	v_ashrrev_i32_e32 v165, 31, v165
	v_xor_b32_e32 v164, s21, v164
	v_cmp_gt_i32_e64 s21, 0, v176
	v_and_b32_e32 v150, v150, v151
	;; [unrolled: 5-line block ×3, first 2 shown]
	v_not_b32_e32 v164, v166
	v_ashrrev_i32_e32 v151, 31, v151
	v_xor_b32_e32 v167, s21, v167
	v_lshl_add_u32 v149, v149, 3, v231
	v_and_b32_e32 v150, v150, v165
	v_cmp_gt_i32_e64 s21, 0, v166
	v_ashrrev_i32_e32 v164, 31, v164
	v_xor_b32_e32 v151, s20, v151
	v_lshl_add_u32 v166, v149, 2, v12
	v_and_b32_e32 v150, v150, v167
	v_xor_b32_e32 v149, s21, v164
	ds_read_b32 v164, v166 offset:32
	v_and_b32_e32 v150, v150, v151
	v_add_nc_u32_e32 v166, 32, v166
	; wave barrier
	v_and_b32_e32 v149, v150, v149
	v_mbcnt_lo_u32_b32 v165, v149, 0
	v_cmp_ne_u32_e64 s21, 0, v149
	v_cmp_eq_u32_e64 s20, 0, v165
	s_and_b32 s21, s21, s20
	s_and_saveexec_b32 s20, s21
	s_cbranch_execz .LBB91_84
; %bb.83:                               ;   in Loop: Header=BB91_56 Depth=1
	s_waitcnt lgkmcnt(0)
	v_bcnt_u32_b32 v149, v149, v164
	ds_write_b32 v166, v149
.LBB91_84:                              ;   in Loop: Header=BB91_56 Depth=1
	s_or_b32 exec_lo, exec_lo, s20
	v_lshrrev_b32_sdwa v149, v10, v65 dst_sel:DWORD dst_unused:UNUSED_PAD src0_sel:DWORD src1_sel:BYTE_2
	; wave barrier
	v_and_b32_e32 v149, v149, v148
	v_and_b32_e32 v150, 1, v149
	v_lshlrev_b32_e32 v151, 30, v149
	v_lshlrev_b32_e32 v167, 29, v149
	;; [unrolled: 1-line block ×4, first 2 shown]
	v_add_co_u32 v150, s20, v150, -1
	v_cndmask_b32_e64 v177, 0, 1, s20
	v_not_b32_e32 v181, v151
	v_cmp_gt_i32_e64 s21, 0, v151
	v_not_b32_e32 v151, v167
	v_lshlrev_b32_e32 v179, 26, v149
	v_cmp_ne_u32_e64 s20, 0, v177
	v_ashrrev_i32_e32 v181, 31, v181
	v_lshlrev_b32_e32 v180, 25, v149
	v_ashrrev_i32_e32 v151, 31, v151
	v_lshlrev_b32_e32 v177, 24, v149
	v_xor_b32_e32 v150, s20, v150
	v_cmp_gt_i32_e64 s20, 0, v167
	v_not_b32_e32 v167, v176
	v_xor_b32_e32 v181, s21, v181
	v_cmp_gt_i32_e64 s21, 0, v176
	v_and_b32_e32 v150, exec_lo, v150
	v_not_b32_e32 v176, v178
	v_ashrrev_i32_e32 v167, 31, v167
	v_xor_b32_e32 v151, s20, v151
	v_cmp_gt_i32_e64 s20, 0, v178
	v_and_b32_e32 v150, v150, v181
	v_not_b32_e32 v178, v179
	v_ashrrev_i32_e32 v176, 31, v176
	v_xor_b32_e32 v167, s21, v167
	v_cmp_gt_i32_e64 s21, 0, v179
	v_and_b32_e32 v150, v150, v151
	v_not_b32_e32 v151, v180
	v_ashrrev_i32_e32 v178, 31, v178
	v_xor_b32_e32 v176, s20, v176
	v_cmp_gt_i32_e64 s20, 0, v180
	v_and_b32_e32 v150, v150, v167
	v_not_b32_e32 v167, v177
	v_ashrrev_i32_e32 v151, 31, v151
	v_xor_b32_e32 v178, s21, v178
	v_lshl_add_u32 v149, v149, 3, v231
	v_and_b32_e32 v150, v150, v176
	v_cmp_gt_i32_e64 s21, 0, v177
	v_ashrrev_i32_e32 v167, 31, v167
	v_xor_b32_e32 v151, s20, v151
	v_lshl_add_u32 v177, v149, 2, v12
	v_and_b32_e32 v150, v150, v178
	v_xor_b32_e32 v149, s21, v167
	ds_read_b32 v167, v177 offset:32
	v_and_b32_e32 v150, v150, v151
	v_add_nc_u32_e32 v177, 32, v177
	; wave barrier
	v_and_b32_e32 v149, v150, v149
	v_mbcnt_lo_u32_b32 v176, v149, 0
	v_cmp_ne_u32_e64 s21, 0, v149
	v_cmp_eq_u32_e64 s20, 0, v176
	s_and_b32 s21, s21, s20
	s_and_saveexec_b32 s20, s21
	s_cbranch_execz .LBB91_86
; %bb.85:                               ;   in Loop: Header=BB91_56 Depth=1
	s_waitcnt lgkmcnt(0)
	v_bcnt_u32_b32 v149, v149, v167
	ds_write_b32 v177, v149
.LBB91_86:                              ;   in Loop: Header=BB91_56 Depth=1
	s_or_b32 exec_lo, exec_lo, s20
	v_lshrrev_b32_e32 v75, 24, v65
	; wave barrier
	v_lshrrev_b32_e32 v149, v10, v75
	v_and_b32_e32 v149, v149, v148
	v_and_b32_e32 v150, 1, v149
	v_lshlrev_b32_e32 v151, 30, v149
	v_lshlrev_b32_e32 v178, 29, v149
	;; [unrolled: 1-line block ×4, first 2 shown]
	v_add_co_u32 v150, s20, v150, -1
	v_cndmask_b32_e64 v180, 0, 1, s20
	v_not_b32_e32 v192, v151
	v_cmp_gt_i32_e64 s21, 0, v151
	v_not_b32_e32 v151, v178
	v_lshlrev_b32_e32 v182, 26, v149
	v_cmp_ne_u32_e64 s20, 0, v180
	v_ashrrev_i32_e32 v192, 31, v192
	v_lshlrev_b32_e32 v183, 25, v149
	v_ashrrev_i32_e32 v151, 31, v151
	v_lshlrev_b32_e32 v180, 24, v149
	v_xor_b32_e32 v150, s20, v150
	v_cmp_gt_i32_e64 s20, 0, v178
	v_not_b32_e32 v178, v179
	v_xor_b32_e32 v192, s21, v192
	v_cmp_gt_i32_e64 s21, 0, v179
	v_and_b32_e32 v150, exec_lo, v150
	v_not_b32_e32 v179, v181
	v_ashrrev_i32_e32 v178, 31, v178
	v_xor_b32_e32 v151, s20, v151
	v_cmp_gt_i32_e64 s20, 0, v181
	v_and_b32_e32 v150, v150, v192
	v_not_b32_e32 v181, v182
	v_ashrrev_i32_e32 v179, 31, v179
	v_xor_b32_e32 v178, s21, v178
	v_cmp_gt_i32_e64 s21, 0, v182
	v_and_b32_e32 v150, v150, v151
	;; [unrolled: 5-line block ×3, first 2 shown]
	v_not_b32_e32 v178, v180
	v_ashrrev_i32_e32 v151, 31, v151
	v_xor_b32_e32 v181, s21, v181
	v_lshl_add_u32 v149, v149, 3, v231
	v_and_b32_e32 v150, v150, v179
	v_cmp_gt_i32_e64 s21, 0, v180
	v_ashrrev_i32_e32 v178, 31, v178
	v_xor_b32_e32 v151, s20, v151
	v_lshl_add_u32 v180, v149, 2, v12
	v_and_b32_e32 v150, v150, v181
	v_xor_b32_e32 v149, s21, v178
	ds_read_b32 v178, v180 offset:32
	v_and_b32_e32 v150, v150, v151
	v_add_nc_u32_e32 v180, 32, v180
	; wave barrier
	v_and_b32_e32 v149, v150, v149
	v_mbcnt_lo_u32_b32 v179, v149, 0
	v_cmp_ne_u32_e64 s21, 0, v149
	v_cmp_eq_u32_e64 s20, 0, v179
	s_and_b32 s21, s21, s20
	s_and_saveexec_b32 s20, s21
	s_cbranch_execz .LBB91_88
; %bb.87:                               ;   in Loop: Header=BB91_56 Depth=1
	s_waitcnt lgkmcnt(0)
	v_bcnt_u32_b32 v149, v149, v178
	ds_write_b32 v180, v149
.LBB91_88:                              ;   in Loop: Header=BB91_56 Depth=1
	s_or_b32 exec_lo, exec_lo, s20
	v_lshrrev_b32_sdwa v149, v10, v73 dst_sel:DWORD dst_unused:UNUSED_PAD src0_sel:DWORD src1_sel:BYTE_0
	; wave barrier
	v_and_b32_e32 v148, v149, v148
	v_and_b32_e32 v149, 1, v148
	v_lshlrev_b32_e32 v150, 30, v148
	v_lshlrev_b32_e32 v151, 29, v148
	;; [unrolled: 1-line block ×4, first 2 shown]
	v_add_co_u32 v149, s20, v149, -1
	v_cndmask_b32_e64 v182, 0, 1, s20
	v_not_b32_e32 v194, v150
	v_cmp_gt_i32_e64 s21, 0, v150
	v_not_b32_e32 v150, v151
	v_lshlrev_b32_e32 v192, 26, v148
	v_cmp_ne_u32_e64 s20, 0, v182
	v_ashrrev_i32_e32 v194, 31, v194
	v_lshlrev_b32_e32 v193, 25, v148
	v_ashrrev_i32_e32 v150, 31, v150
	v_lshlrev_b32_e32 v182, 24, v148
	v_xor_b32_e32 v149, s20, v149
	v_cmp_gt_i32_e64 s20, 0, v151
	v_not_b32_e32 v151, v181
	v_xor_b32_e32 v194, s21, v194
	v_cmp_gt_i32_e64 s21, 0, v181
	v_and_b32_e32 v149, exec_lo, v149
	v_not_b32_e32 v181, v183
	v_ashrrev_i32_e32 v151, 31, v151
	v_xor_b32_e32 v150, s20, v150
	v_cmp_gt_i32_e64 s20, 0, v183
	v_and_b32_e32 v149, v149, v194
	v_not_b32_e32 v183, v192
	v_ashrrev_i32_e32 v181, 31, v181
	v_xor_b32_e32 v151, s21, v151
	v_cmp_gt_i32_e64 s21, 0, v192
	v_and_b32_e32 v149, v149, v150
	;; [unrolled: 5-line block ×3, first 2 shown]
	v_not_b32_e32 v151, v182
	v_ashrrev_i32_e32 v150, 31, v150
	v_xor_b32_e32 v183, s21, v183
	v_lshl_add_u32 v148, v148, 3, v231
	v_and_b32_e32 v149, v149, v181
	v_cmp_gt_i32_e64 s21, 0, v182
	v_ashrrev_i32_e32 v151, 31, v151
	v_xor_b32_e32 v150, s20, v150
	v_and_b32_e32 v149, v149, v183
	v_lshl_add_u32 v183, v148, 2, v12
	v_xor_b32_e32 v148, s21, v151
	v_and_b32_e32 v149, v149, v150
	ds_read_b32 v181, v183 offset:32
	v_add_nc_u32_e32 v183, 32, v183
	; wave barrier
	v_and_b32_e32 v148, v149, v148
	v_mbcnt_lo_u32_b32 v182, v148, 0
	v_cmp_ne_u32_e64 s21, 0, v148
	v_cmp_eq_u32_e64 s20, 0, v182
	s_and_b32 s21, s21, s20
	s_and_saveexec_b32 s20, s21
	s_cbranch_execz .LBB91_90
; %bb.89:                               ;   in Loop: Header=BB91_56 Depth=1
	s_waitcnt lgkmcnt(0)
	v_bcnt_u32_b32 v148, v148, v181
	ds_write_b32 v183, v148
.LBB91_90:                              ;   in Loop: Header=BB91_56 Depth=1
	s_or_b32 exec_lo, exec_lo, s20
	; wave barrier
	s_waitcnt lgkmcnt(0)
	s_barrier
	buffer_gl0_inv
	ds_read_b32 v150, v1
	ds_read_b32 v151, v9
	;; [unrolled: 1-line block ×8, first 2 shown]
	s_waitcnt lgkmcnt(6)
	v_add_nc_u32_e32 v196, v151, v150
	s_waitcnt lgkmcnt(4)
	v_add3_u32 v196, v196, v194, v149
	s_waitcnt lgkmcnt(2)
	v_add3_u32 v196, v196, v148, v193
	;; [unrolled: 2-line block ×3, first 2 shown]
	v_mov_b32_dpp v196, v195 row_shr:1 row_mask:0xf bank_mask:0xf
	v_cndmask_b32_e64 v196, v196, 0, vcc_lo
	v_add_nc_u32_e32 v195, v196, v195
	v_mov_b32_dpp v196, v195 row_shr:2 row_mask:0xf bank_mask:0xf
	v_cndmask_b32_e64 v196, 0, v196, s4
	v_add_nc_u32_e32 v195, v195, v196
	v_mov_b32_dpp v196, v195 row_shr:4 row_mask:0xf bank_mask:0xf
	v_cndmask_b32_e64 v196, 0, v196, s5
	;; [unrolled: 3-line block ×3, first 2 shown]
	v_add_nc_u32_e32 v195, v195, v196
	ds_swizzle_b32 v196, v195 offset:swizzle(BROADCAST,32,15)
	s_waitcnt lgkmcnt(0)
	v_cndmask_b32_e64 v196, v196, 0, s10
	v_add_nc_u32_e32 v195, v195, v196
	s_and_saveexec_b32 s20, s11
; %bb.91:                               ;   in Loop: Header=BB91_56 Depth=1
	ds_write_b32 v241, v195
; %bb.92:                               ;   in Loop: Header=BB91_56 Depth=1
	s_or_b32 exec_lo, exec_lo, s20
	s_waitcnt lgkmcnt(0)
	s_barrier
	buffer_gl0_inv
	s_and_saveexec_b32 s20, s14
	s_cbranch_execz .LBB91_94
; %bb.93:                               ;   in Loop: Header=BB91_56 Depth=1
	ds_read_b32 v196, v243
	s_waitcnt lgkmcnt(0)
	v_mov_b32_dpp v197, v196 row_shr:1 row_mask:0xf bank_mask:0xf
	v_cndmask_b32_e64 v197, v197, 0, s17
	v_add_nc_u32_e32 v196, v197, v196
	v_mov_b32_dpp v197, v196 row_shr:2 row_mask:0xf bank_mask:0xf
	v_cndmask_b32_e64 v197, 0, v197, s18
	v_add_nc_u32_e32 v196, v196, v197
	;; [unrolled: 3-line block ×3, first 2 shown]
	ds_write_b32 v243, v196
.LBB91_94:                              ;   in Loop: Header=BB91_56 Depth=1
	s_or_b32 exec_lo, exec_lo, s20
	v_mov_b32_e32 v196, 0
	s_waitcnt lgkmcnt(0)
	s_barrier
	buffer_gl0_inv
	s_and_saveexec_b32 s20, s15
; %bb.95:                               ;   in Loop: Header=BB91_56 Depth=1
	v_add_nc_u32_e32 v196, -4, v241
	ds_read_b32 v196, v196
; %bb.96:                               ;   in Loop: Header=BB91_56 Depth=1
	s_or_b32 exec_lo, exec_lo, s20
	s_waitcnt lgkmcnt(0)
	v_add_nc_u32_e32 v195, v196, v195
	v_add_nc_u32_e32 v10, 8, v10
	v_mov_b32_e32 v77, v16
	v_lshrrev_b32_e32 v79, 8, v16
	v_lshrrev_b32_e32 v88, 16, v16
	ds_bpermute_b32 v195, v240, v195
	v_lshrrev_b32_e32 v78, 8, v17
	v_lshrrev_b32_e32 v89, 16, v17
	;; [unrolled: 1-line block ×5, first 2 shown]
	v_cmp_lt_u32_e64 s20, v10, v11
	s_mov_b32 s24, -1
                                        ; implicit-def: $vgpr90
                                        ; implicit-def: $vgpr127
                                        ; implicit-def: $vgpr126
                                        ; implicit-def: $vgpr125
	s_waitcnt lgkmcnt(0)
	v_cndmask_b32_e64 v195, v195, v196, s6
	v_cndmask_b32_e64 v195, v195, 0, s16
	v_add_nc_u32_e32 v196, v195, v150
	v_add_nc_u32_e32 v197, v196, v151
	v_lshrrev_b64 v[150:151], 24, v[16:17]
	v_lshrrev_b32_e32 v151, 8, v64
	ds_write_b32 v1, v195
	ds_write_b32 v9, v196
	;; [unrolled: 1-line block ×3, first 2 shown]
	v_add_nc_u32_e32 v194, v197, v194
	v_add_nc_u32_e32 v198, v194, v149
	;; [unrolled: 1-line block ×3, first 2 shown]
	v_lshrrev_b64 v[148:149], 24, v[64:65]
	v_add_nc_u32_e32 v149, v199, v193
	v_add_nc_u32_e32 v192, v149, v192
	ds_write_b32 v39, v194
	ds_write_b32 v227, v198
	;; [unrolled: 1-line block ×5, first 2 shown]
	s_waitcnt lgkmcnt(0)
	s_barrier
	buffer_gl0_inv
	ds_read_b32 v83, v83
	ds_read_b32 v86, v86
	ds_read_b32 v97, v97
	ds_read_b32 v100, v100
	ds_read_b32 v103, v103
	ds_read_b32 v114, v114
	ds_read_b32 v117, v117
	ds_read_b32 v128, v128
	ds_read_b32 v131, v131
	ds_read_b32 v134, v134
	ds_read_b32 v145, v145
	ds_read_b32 v149, v160
	ds_read_b32 v160, v163
	ds_read_b32 v163, v166
	ds_read_b32 v166, v177
	ds_read_b32 v177, v180
	ds_read_b32 v180, v183
	s_waitcnt lgkmcnt(0)
	v_add_nc_u32_e32 v122, v83, v82
	v_add3_u32 v121, v85, v84, v86
	v_add3_u32 v120, v96, v87, v97
	;; [unrolled: 1-line block ×12, first 2 shown]
	v_add_co_u32 v160, s21, v12, v122
	v_add_co_ci_u32_e64 v161, null, 0, v13, s21
	v_add_co_u32 v162, s21, v12, v121
	v_add3_u32 v93, v165, v164, v163
	v_add_co_ci_u32_e64 v163, null, 0, v13, s21
	v_add_co_u32 v164, s21, v12, v120
	v_add3_u32 v92, v176, v167, v166
	v_add_co_ci_u32_e64 v165, null, 0, v13, s21
	v_add_co_u32 v166, s21, v12, v111
	v_add_co_ci_u32_e64 v167, null, 0, v13, s21
	v_add_co_u32 v176, s21, v12, v110
	v_add3_u32 v91, v179, v178, v177
	v_add_co_ci_u32_e64 v177, null, 0, v13, s21
	v_add_co_u32 v178, s21, v12, v109
	v_add3_u32 v149, v182, v181, v180
	v_add_co_ci_u32_e64 v179, null, 0, v13, s21
	v_add_co_u32 v180, s21, v12, v108
	v_add_co_ci_u32_e64 v181, null, 0, v13, s21
	v_add_co_u32 v182, s21, v12, v107
	;; [unrolled: 2-line block ×11, first 2 shown]
	v_add_co_ci_u32_e64 v215, null, 0, v13, s21
                                        ; implicit-def: $vgpr82_vgpr83
                                        ; implicit-def: $vgpr84_vgpr85
                                        ; implicit-def: $vgpr86_vgpr87
                                        ; implicit-def: $vgpr96_vgpr97
                                        ; implicit-def: $vgpr98_vgpr99
                                        ; implicit-def: $vgpr100_vgpr101
                                        ; implicit-def: $vgpr102_vgpr103
                                        ; implicit-def: $vgpr112_vgpr113
                                        ; implicit-def: $vgpr114_vgpr115
                                        ; implicit-def: $vgpr116_vgpr117
                                        ; implicit-def: $vgpr130_vgpr131
                                        ; implicit-def: $vgpr134_vgpr135
                                        ; implicit-def: $vgpr146_vgpr147
                                        ; implicit-def: $vgpr118_vgpr119
                                        ; implicit-def: $vgpr128_vgpr129
                                        ; implicit-def: $vgpr132_vgpr133
                                        ; implicit-def: $vgpr144_vgpr145
	s_and_saveexec_b32 s21, s20
	s_cbranch_execz .LBB91_55
; %bb.97:                               ;   in Loop: Header=BB91_56 Depth=1
	v_add_nc_u32_e32 v82, 64, v4
	s_barrier
	buffer_gl0_inv
	ds_write_b8 v160, v16
	ds_write_b8 v162, v79
	;; [unrolled: 1-line block ×17, first 2 shown]
	v_add_nc_u32_e32 v16, 0x60, v4
	v_add_nc_u32_e32 v83, 32, v4
	s_waitcnt lgkmcnt(0)
	s_barrier
	buffer_gl0_inv
	ds_read_u8 v90, v247
	ds_read_u8 v16, v16
	;; [unrolled: 1-line block ×3, first 2 shown]
	v_add_nc_u32_e32 v82, 0xe0, v4
	v_add_nc_u32_e32 v84, 0xc0, v4
	;; [unrolled: 1-line block ×3, first 2 shown]
	ds_read_u8 v126, v83
	ds_read_u8 v127, v4
	;; [unrolled: 1-line block ×5, first 2 shown]
	v_add_nc_u32_e32 v82, 0x80, v4
	v_add_nc_u32_e32 v83, 0x160, v4
	;; [unrolled: 1-line block ×5, first 2 shown]
	ds_read_u8 v139, v82
	ds_read_u8 v140, v83
	;; [unrolled: 1-line block ×5, first 2 shown]
	v_mad_u64_u32 v[82:83], null, v122, 7, v[160:161]
	ds_read_u8 v161, v246
	ds_read_u8 v152, v245
	ds_read_u8 v153, v244
	ds_read_u8 v154, v5
	s_waitcnt lgkmcnt(0)
	s_barrier
	buffer_gl0_inv
	v_mad_u64_u32 v[96:97], null, v108, 7, v[180:181]
	ds_write_b64 v82, v[52:53]
	v_mad_u64_u32 v[82:83], null, v121, 7, v[162:163]
	v_mad_u64_u32 v[83:84], null, v120, 7, v[164:165]
	;; [unrolled: 1-line block ×7, first 2 shown]
	ds_write_b64 v82, v[50:51]
	ds_write_b64 v83, v[54:55]
	;; [unrolled: 1-line block ×8, first 2 shown]
	v_mad_u64_u32 v[82:83], null, v105, 7, v[194:195]
	v_mad_u64_u32 v[83:84], null, v104, 7, v[196:197]
	;; [unrolled: 1-line block ×8, first 2 shown]
	ds_write_b64 v82, v[18:19]
	ds_write_b64 v83, v[24:25]
	;; [unrolled: 1-line block ×8, first 2 shown]
	s_waitcnt lgkmcnt(0)
	s_barrier
	buffer_gl0_inv
	ds_read_b64 v[82:83], v15
	ds_read_b64 v[84:85], v40
	;; [unrolled: 1-line block ×17, first 2 shown]
	v_perm_b32 v163, v127, v126, 0xc0c0004
	v_perm_b32 v16, v125, v16, 0xc0c0004
	;; [unrolled: 1-line block ×8, first 2 shown]
	v_lshl_or_b32 v16, v16, 16, v163
	v_lshl_or_b32 v125, v167, 16, v165
	;; [unrolled: 1-line block ×3, first 2 shown]
	v_add_nc_u32_e32 v72, -8, v72
	v_lshl_or_b32 v127, v161, 16, v181
	s_xor_b32 s24, exec_lo, -1
	s_waitcnt lgkmcnt(0)
	s_barrier
	buffer_gl0_inv
	s_branch .LBB91_55
.LBB91_98:
	s_or_b32 exec_lo, exec_lo, s23
	v_add_nc_u32_e32 v1, v12, v14
	v_lshl_add_u32 v4, v122, 3, v12
	v_lshl_add_u32 v5, v121, 3, v12
	;; [unrolled: 1-line block ×3, first 2 shown]
	s_barrier
	buffer_gl0_inv
	ds_write_b8 v160, v77
	ds_write_b8 v162, v79
	;; [unrolled: 1-line block ×17, first 2 shown]
	s_waitcnt lgkmcnt(0)
	s_barrier
	buffer_gl0_inv
	ds_read_u8 v103, v1
	ds_read_u8 v102, v1 offset:256
	ds_read_u8 v101, v1 offset:512
	;; [unrolled: 1-line block ×16, first 2 shown]
	s_waitcnt lgkmcnt(0)
	s_barrier
	buffer_gl0_inv
	ds_write_b64 v4, v[52:53]
	ds_write_b64 v5, v[50:51]
	ds_write_b64 v9, v[54:55]
	v_lshl_add_u32 v4, v111, 3, v12
	v_lshl_add_u32 v5, v110, 3, v12
	;; [unrolled: 1-line block ×5, first 2 shown]
	ds_write_b64 v4, v[30:31]
	ds_write_b64 v5, v[28:29]
	;; [unrolled: 1-line block ×5, first 2 shown]
	v_lshl_add_u32 v4, v106, 3, v12
	v_lshl_add_u32 v5, v105, 3, v12
	;; [unrolled: 1-line block ×5, first 2 shown]
	ds_write_b64 v4, v[20:21]
	ds_write_b64 v5, v[18:19]
	ds_write_b64 v9, v[24:25]
	ds_write_b64 v10, v[22:23]
	ds_write_b64 v11, v[48:49]
	v_mul_u32_u24_e32 v10, 7, v14
	v_lshl_add_u32 v4, v93, 3, v12
	v_lshl_add_u32 v11, v149, 3, v12
	;; [unrolled: 1-line block ×4, first 2 shown]
	v_add_nc_u32_e32 v1, v1, v10
	ds_write_b64 v4, v[66:67]
	ds_write_b64 v5, v[68:69]
	;; [unrolled: 1-line block ×4, first 2 shown]
	s_waitcnt lgkmcnt(0)
	s_barrier
	buffer_gl0_inv
	ds_read2st64_b64 v[48:51], v1 offset1:4
	ds_read2st64_b64 v[33:36], v1 offset0:8 offset1:12
	ds_read2st64_b64 v[29:32], v1 offset0:16 offset1:20
	;; [unrolled: 1-line block ×7, first 2 shown]
	ds_read_b64 v[4:5], v1 offset:32768
	v_add_co_u32 v2, vcc_lo, v2, v8
	v_add_co_ci_u32_e64 v3, null, 0, v3, vcc_lo
	v_mov_b32_e32 v1, 0
	v_add_co_u32 v2, vcc_lo, v2, v0
	v_add_co_ci_u32_e64 v3, null, 0, v3, vcc_lo
	v_cmp_lt_u32_e64 s4, v0, v226
	s_waitcnt lgkmcnt(0)
	s_barrier
	buffer_gl0_inv
	s_and_saveexec_b32 s5, s4
	s_cbranch_execz .LBB91_100
; %bb.99:
	v_xor_b32_e32 v8, -1, v103
	flat_store_byte v[2:3], v8
.LBB91_100:
	s_or_b32 exec_lo, exec_lo, s5
	v_add_nc_u32_e32 v8, 0x100, v0
	v_cmp_lt_u32_e64 s17, v8, v226
	s_and_saveexec_b32 s5, s17
	s_cbranch_execz .LBB91_102
; %bb.101:
	v_xor_b32_e32 v8, -1, v102
	flat_store_byte v[2:3], v8 offset:256
.LBB91_102:
	s_or_b32 exec_lo, exec_lo, s5
	v_add_nc_u32_e32 v8, 0x200, v0
	v_cmp_lt_u32_e64 s15, v8, v226
	s_and_saveexec_b32 s5, s15
	s_cbranch_execz .LBB91_104
; %bb.103:
	v_xor_b32_e32 v8, -1, v101
	flat_store_byte v[2:3], v8 offset:512
.LBB91_104:
	;; [unrolled: 9-line block ×7, first 2 shown]
	s_or_b32 exec_lo, exec_lo, s10
	v_add_nc_u32_e32 v8, 0x800, v0
	v_cmp_lt_u32_e32 vcc_lo, v8, v226
	s_and_saveexec_b32 s16, vcc_lo
	s_cbranch_execz .LBB91_116
; %bb.115:
	v_add_co_u32 v52, s10, 0x800, v2
	v_xor_b32_e32 v8, -1, v87
	v_add_co_ci_u32_e64 v53, null, 0, v3, s10
	flat_store_byte v[52:53], v8
.LBB91_116:
	s_or_b32 exec_lo, exec_lo, s16
	v_add_nc_u32_e32 v8, 0x900, v0
	v_cmp_lt_u32_e64 s10, v8, v226
	s_and_saveexec_b32 s18, s10
	s_cbranch_execz .LBB91_118
; %bb.117:
	v_add_co_u32 v52, s16, 0x800, v2
	v_xor_b32_e32 v8, -1, v86
	v_add_co_ci_u32_e64 v53, null, 0, v3, s16
	flat_store_byte v[52:53], v8 offset:256
.LBB91_118:
	s_or_b32 exec_lo, exec_lo, s18
	v_add_nc_u32_e32 v8, 0xa00, v0
	v_cmp_lt_u32_e64 s16, v8, v226
	s_and_saveexec_b32 s19, s16
	s_cbranch_execz .LBB91_120
; %bb.119:
	v_add_co_u32 v52, s18, 0x800, v2
	v_xor_b32_e32 v8, -1, v85
	v_add_co_ci_u32_e64 v53, null, 0, v3, s18
	flat_store_byte v[52:53], v8 offset:512
.LBB91_120:
	;; [unrolled: 11-line block ×7, first 2 shown]
	s_or_b32 exec_lo, exec_lo, s24
	v_add_nc_u32_e32 v8, 0x1000, v0
	v_cmp_lt_u32_e64 s23, v8, v226
	s_and_saveexec_b32 s27, s23
	s_cbranch_execz .LBB91_132
; %bb.131:
	v_add_co_u32 v2, s24, 0x1000, v2
	v_xor_b32_e32 v8, -1, v39
	v_add_co_ci_u32_e64 v3, null, 0, v3, s24
	flat_store_byte v[2:3], v8
.LBB91_132:
	s_or_b32 exec_lo, exec_lo, s27
	v_lshlrev_b64 v[0:1], 3, v[0:1]
	v_add_co_u32 v2, s24, v6, v37
	v_add_co_ci_u32_e64 v3, null, v7, v38, s24
	v_add_co_u32 v0, s24, v2, v0
	v_add_co_ci_u32_e64 v1, null, v3, v1, s24
	s_and_saveexec_b32 s24, s4
	s_cbranch_execnz .LBB91_220
; %bb.133:
	s_or_b32 exec_lo, exec_lo, s24
	s_and_saveexec_b32 s24, s17
	s_cbranch_execnz .LBB91_221
.LBB91_134:
	s_or_b32 exec_lo, exec_lo, s24
	s_and_saveexec_b32 s17, s15
	s_cbranch_execnz .LBB91_222
.LBB91_135:
	s_or_b32 exec_lo, exec_lo, s17
	s_and_saveexec_b32 s15, s14
	s_cbranch_execnz .LBB91_223
.LBB91_136:
	s_or_b32 exec_lo, exec_lo, s15
	s_and_saveexec_b32 s14, s11
	s_cbranch_execnz .LBB91_224
.LBB91_137:
	s_or_b32 exec_lo, exec_lo, s14
	s_and_saveexec_b32 s11, s7
	s_cbranch_execnz .LBB91_225
.LBB91_138:
	s_or_b32 exec_lo, exec_lo, s11
	s_and_saveexec_b32 s7, s6
	s_cbranch_execnz .LBB91_226
.LBB91_139:
	s_or_b32 exec_lo, exec_lo, s7
	s_and_saveexec_b32 s6, s5
	s_cbranch_execnz .LBB91_227
.LBB91_140:
	s_or_b32 exec_lo, exec_lo, s6
	s_and_saveexec_b32 s4, vcc_lo
	s_cbranch_execnz .LBB91_228
.LBB91_141:
	s_or_b32 exec_lo, exec_lo, s4
	s_and_saveexec_b32 s4, s10
	s_cbranch_execnz .LBB91_229
.LBB91_142:
	s_or_b32 exec_lo, exec_lo, s4
	s_and_saveexec_b32 s4, s16
	s_cbranch_execnz .LBB91_230
.LBB91_143:
	s_or_b32 exec_lo, exec_lo, s4
	s_and_saveexec_b32 s4, s18
	s_cbranch_execnz .LBB91_231
.LBB91_144:
	s_or_b32 exec_lo, exec_lo, s4
	s_and_saveexec_b32 s4, s19
	s_cbranch_execnz .LBB91_232
.LBB91_145:
	s_or_b32 exec_lo, exec_lo, s4
	s_and_saveexec_b32 s4, s20
	s_cbranch_execnz .LBB91_233
.LBB91_146:
	s_or_b32 exec_lo, exec_lo, s4
	s_and_saveexec_b32 s4, s21
	s_cbranch_execnz .LBB91_234
.LBB91_147:
	s_or_b32 exec_lo, exec_lo, s4
	s_and_saveexec_b32 s4, s22
	s_cbranch_execnz .LBB91_235
.LBB91_148:
	s_or_b32 exec_lo, exec_lo, s4
	s_and_saveexec_b32 s4, s23
	s_cbranch_execz .LBB91_150
.LBB91_149:
	v_add_co_u32 v0, vcc_lo, 0x8000, v0
	v_add_co_ci_u32_e64 v1, null, 0, v1, vcc_lo
	flat_store_dwordx2 v[0:1], v[4:5]
.LBB91_150:
	s_or_b32 exec_lo, exec_lo, s4
                                        ; implicit-def: $vgpr226
                                        ; implicit-def: $vgpr0
                                        ; implicit-def: $vgpr1
                                        ; implicit-def: $vgpr2
                                        ; implicit-def: $vgpr3
                                        ; implicit-def: $vgpr4
                                        ; implicit-def: $vgpr5
                                        ; implicit-def: $vgpr6
                                        ; implicit-def: $vgpr7
                                        ; implicit-def: $vgpr8
                                        ; implicit-def: $vgpr10
                                        ; implicit-def: $vgpr11
                                        ; implicit-def: $vgpr12
                                        ; implicit-def: $vgpr13
                                        ; implicit-def: $vgpr15
                                        ; implicit-def: $vgpr16
                                        ; implicit-def: $vgpr14
                                        ; implicit-def: $vgpr30
.LBB91_151:
	s_andn2_saveexec_b32 s4, s26
	s_cbranch_execz .LBB91_382
; %bb.152:
	s_mov_b32 s4, exec_lo
	v_cmpx_lt_u32_e32 0x400, v226
	s_xor_b32 s22, exec_lo, s4
	s_cbranch_execz .LBB91_262
; %bb.153:
	s_load_dwordx2 s[4:5], s[8:9], 0x0
	v_mov_b32_e32 v9, 0
	v_add_co_u32 v0, vcc_lo, v0, v8
	v_add_co_ci_u32_e64 v1, null, 0, v1, vcc_lo
	v_mov_b32_e32 v19, v9
	v_add_co_u32 v0, vcc_lo, v0, v30
	v_add_co_ci_u32_e64 v1, null, 0, v1, vcc_lo
	v_mov_b32_e32 v21, v9
	v_mov_b32_e32 v20, v9
	;; [unrolled: 1-line block ×4, first 2 shown]
	s_waitcnt lgkmcnt(0)
	s_cmp_lt_u32 s13, s5
	s_cselect_b32 s5, 14, 20
	s_add_u32 s6, s8, s5
	s_addc_u32 s7, s9, 0
	s_cmp_lt_u32 s12, s4
	global_load_ushort v17, v9, s[6:7]
	s_cselect_b32 s4, 12, 18
	s_add_u32 s4, s8, s4
	s_addc_u32 s5, s9, 0
	global_load_ushort v18, v9, s[4:5]
	s_waitcnt vmcnt(1)
	v_mad_u32_u24 v15, v16, v17, v15
	v_mov_b32_e32 v16, v9
	v_mov_b32_e32 v17, v9
	s_waitcnt vmcnt(0)
	v_mad_u64_u32 v[25:26], null, v15, v18, v[14:15]
	v_mov_b32_e32 v18, v9
	v_lshlrev_b32_e32 v15, 3, v25
	v_and_b32_e32 v15, 0xffffff00, v15
	v_or_b32_e32 v26, v15, v30
	v_add_co_u32 v0, vcc_lo, v0, v15
	v_add_co_ci_u32_e64 v1, null, 0, v1, vcc_lo
	v_cmp_lt_u32_e32 vcc_lo, v26, v226
	s_and_saveexec_b32 s4, vcc_lo
	s_cbranch_execz .LBB91_155
; %bb.154:
	flat_load_ubyte v19, v[0:1]
	v_mov_b32_e32 v17, v9
	v_mov_b32_e32 v18, v9
	;; [unrolled: 1-line block ×6, first 2 shown]
.LBB91_155:
	s_or_b32 exec_lo, exec_lo, s4
	v_or_b32_e32 v24, 32, v26
	v_cmp_lt_u32_e64 s4, v24, v226
	v_mov_b32_e32 v24, v9
	s_and_saveexec_b32 s5, s4
	s_cbranch_execz .LBB91_157
; %bb.156:
	flat_load_ubyte v24, v[0:1] offset:32
.LBB91_157:
	s_or_b32 exec_lo, exec_lo, s5
	v_or_b32_e32 v27, 64, v26
	v_cmp_lt_u32_e64 s5, v27, v226
	s_and_saveexec_b32 s6, s5
	s_cbranch_execz .LBB91_159
; %bb.158:
	flat_load_ubyte v17, v[0:1] offset:64
.LBB91_159:
	s_or_b32 exec_lo, exec_lo, s6
	v_or_b32_e32 v27, 0x60, v26
	v_cmp_lt_u32_e64 s6, v27, v226
	;; [unrolled: 8-line block ×6, first 2 shown]
	s_and_saveexec_b32 s15, s14
	s_cbranch_execz .LBB91_169
; %bb.168:
	flat_load_ubyte v23, v[0:1] offset:224
.LBB91_169:
	s_or_b32 exec_lo, exec_lo, s15
	v_lshlrev_b64 v[0:1], 3, v[8:9]
	v_lshlrev_b32_e32 v9, 3, v30
                                        ; implicit-def: $vgpr34_vgpr35
	v_add_co_u32 v26, s15, v4, v0
	v_add_co_ci_u32_e64 v27, null, v5, v1, s15
	v_lshlrev_b64 v[4:5], 3, v[15:16]
	v_add_co_u32 v9, s15, v26, v9
	v_add_co_ci_u32_e64 v15, null, 0, v27, s15
	v_add_co_u32 v4, s15, v9, v4
	v_add_co_ci_u32_e64 v5, null, v15, v5, s15
	s_and_saveexec_b32 s15, vcc_lo
	s_cbranch_execnz .LBB91_295
; %bb.170:
	s_or_b32 exec_lo, exec_lo, s15
                                        ; implicit-def: $vgpr38_vgpr39
	s_and_saveexec_b32 s15, s4
	s_cbranch_execnz .LBB91_296
.LBB91_171:
	s_or_b32 exec_lo, exec_lo, s15
                                        ; implicit-def: $vgpr48_vgpr49
	s_and_saveexec_b32 s4, s5
	s_cbranch_execnz .LBB91_297
.LBB91_172:
	s_or_b32 exec_lo, exec_lo, s4
                                        ; implicit-def: $vgpr50_vgpr51
	s_and_saveexec_b32 s4, s6
	s_cbranch_execnz .LBB91_298
.LBB91_173:
	s_or_b32 exec_lo, exec_lo, s4
                                        ; implicit-def: $vgpr52_vgpr53
	s_and_saveexec_b32 s4, s7
	s_cbranch_execnz .LBB91_299
.LBB91_174:
	s_or_b32 exec_lo, exec_lo, s4
                                        ; implicit-def: $vgpr54_vgpr55
	s_and_saveexec_b32 s4, s10
	s_cbranch_execnz .LBB91_300
.LBB91_175:
	s_or_b32 exec_lo, exec_lo, s4
                                        ; implicit-def: $vgpr32_vgpr33
	s_and_saveexec_b32 s4, s11
	s_cbranch_execnz .LBB91_301
.LBB91_176:
	s_or_b32 exec_lo, exec_lo, s4
                                        ; implicit-def: $vgpr36_vgpr37
	s_and_saveexec_b32 s4, s14
	s_cbranch_execz .LBB91_178
.LBB91_177:
	flat_load_dwordx2 v[36:37], v[4:5] offset:1792
.LBB91_178:
	s_or_b32 exec_lo, exec_lo, s4
	v_mov_b32_e32 v4, -1
	v_mov_b32_e32 v5, 8
	s_waitcnt vmcnt(0) lgkmcnt(0)
	v_xor_b32_e32 v15, -1, v22
	v_xor_b32_e32 v16, -1, v21
	v_sub_co_u32 v27, s6, v30, 1
	v_xor_b32_sdwa v9, v23, v4 dst_sel:BYTE_1 dst_unused:UNUSED_PAD src0_sel:DWORD src1_sel:DWORD
	v_lshl_add_u32 v23, v14, 5, v12
	v_xor_b32_sdwa v20, v20, v4 dst_sel:BYTE_1 dst_unused:UNUSED_PAD src0_sel:DWORD src1_sel:DWORD
	v_xor_b32_sdwa v21, v24, v4 dst_sel:BYTE_1 dst_unused:UNUSED_PAD src0_sel:DWORD src1_sel:DWORD
	;; [unrolled: 1-line block ×3, first 2 shown]
	v_lshrrev_b32_sdwa v22, v5, v9 dst_sel:BYTE_1 dst_unused:UNUSED_PAD src0_sel:DWORD src1_sel:DWORD
	v_add_nc_u32_e32 v9, 32, v23
	v_add_nc_u32_e32 v98, 36, v23
	;; [unrolled: 1-line block ×8, first 2 shown]
	v_and_b32_e32 v23, 0x3e0, v14
	v_lshlrev_b32_e32 v18, 3, v14
	v_and_b32_e32 v24, 15, v30
	s_getpc_b64 s[4:5]
	s_add_u32 s4, s4, _ZN7rocprim17ROCPRIM_400000_NS16block_radix_sortIhLj256ELj8ElLj1ELj1ELj8ELNS0_26block_radix_rank_algorithmE2ELNS0_18block_padding_hintE2ELNS0_4arch9wavefront6targetE0EE19radix_bits_per_passE@rel32@lo+4
	s_addc_u32 s5, s5, _ZN7rocprim17ROCPRIM_400000_NS16block_radix_sortIhLj256ELj8ElLj1ELj1ELj8ELNS0_26block_radix_rank_algorithmE2ELNS0_18block_padding_hintE2ELNS0_4arch9wavefront6targetE0EE19radix_bits_per_passE@rel32@hi+12
	v_xor_b32_e32 v19, -1, v19
	v_min_u32_e32 v23, 0xe0, v23
	v_lshrrev_b32_sdwa v20, v5, v20 dst_sel:BYTE_1 dst_unused:UNUSED_PAD src0_sel:DWORD src1_sel:DWORD
	s_load_dword s23, s[4:5], 0x0
	v_cmp_eq_u32_e32 vcc_lo, 0, v24
	v_cmp_lt_u32_e64 s4, 1, v24
	v_cmp_lt_u32_e64 s5, 3, v24
	v_and_b32_e32 v26, 16, v30
	v_cmp_lt_u32_e64 s7, 7, v24
	v_or_b32_e32 v23, 31, v23
	v_lshrrev_b32_e32 v24, 3, v14
	v_cmp_gt_i32_e64 s11, 0, v27
	v_and_or_b32 v18, 0x1f00, v18, v30
	v_lshrrev_b32_sdwa v5, v5, v21 dst_sel:BYTE_1 dst_unused:UNUSED_PAD src0_sel:DWORD src1_sel:DWORD
	v_xor_b32_e32 v17, -1, v17
	v_cmp_eq_u32_e64 s10, 0, v26
	v_cndmask_b32_e64 v26, v27, v30, s11
	v_cmp_eq_u32_e64 s11, v14, v23
	v_and_b32_e32 v23, 0x7c, v24
	v_add_nc_u32_e32 v118, v12, v18
	v_mul_u32_u24_e32 v18, 7, v18
	v_or_b32_sdwa v5, v19, v5 dst_sel:DWORD dst_unused:UNUSED_PAD src0_sel:BYTE_0 src1_sel:DWORD
	v_and_b32_e32 v24, 7, v30
	v_add_nc_u32_e32 v115, v12, v23
	v_perm_b32 v4, v17, v4, 0xc0c0104
	v_add_nc_u32_e32 v132, v118, v18
	v_and_b32_e32 v5, 0xffff, v5
	v_or_b32_sdwa v16, v16, v20 dst_sel:DWORD dst_unused:UNUSED_PAD src0_sel:BYTE_0 src1_sel:DWORD
	v_or_b32_sdwa v15, v15, v22 dst_sel:WORD_1 dst_unused:UNUSED_PAD src0_sel:BYTE_0 src1_sel:DWORD
	v_lshrrev_b32_e32 v113, 5, v25
	v_cmp_gt_u32_e64 s14, 8, v14
	v_cmp_lt_u32_e64 s15, 31, v14
	v_lshlrev_b32_e32 v114, 2, v26
	v_cmp_eq_u32_e64 s16, 0, v14
	v_mov_b32_e32 v116, 0
	v_lshl_add_u32 v117, v14, 2, v12
	v_cmp_eq_u32_e64 s17, 0, v24
	v_cmp_lt_u32_e64 s18, 1, v24
	v_cmp_lt_u32_e64 s19, 3, v24
	v_add_nc_u32_e32 v119, -4, v115
	v_add_nc_u32_e32 v128, 32, v118
	v_add_nc_u32_e32 v129, 64, v118
	;; [unrolled: 1-line block ×14, first 2 shown]
	v_lshl_or_b32 v4, v4, 16, v5
	v_or_b32_sdwa v87, v16, v15 dst_sel:DWORD dst_unused:UNUSED_PAD src0_sel:WORD_0 src1_sel:DWORD
	v_sub_nc_u32_e32 v151, v11, v10
	s_mov_b32 s24, 0
	s_waitcnt lgkmcnt(0)
	s_waitcnt_vscnt null, 0x0
	s_barrier
	buffer_gl0_inv
	s_branch .LBB91_180
.LBB91_179:                             ;   in Loop: Header=BB91_180 Depth=1
	s_or_b32 exec_lo, exec_lo, s21
	s_and_b32 s20, exec_lo, s26
	s_or_b32 s24, s20, s24
	s_andn2_b32 exec_lo, exec_lo, s24
	s_cbranch_execz .LBB91_236
.LBB91_180:                             ; =>This Inner Loop Header: Depth=1
	v_min_u32_e32 v5, s23, v151
	v_lshrrev_b32_sdwa v15, v10, v4 dst_sel:DWORD dst_unused:UNUSED_PAD src0_sel:DWORD src1_sel:BYTE_0
	v_mov_b32_e32 v26, v34
	v_mov_b32_e32 v27, v35
	;; [unrolled: 1-line block ×3, first 2 shown]
	v_lshlrev_b32_e64 v5, v5, -1
	v_mov_b32_e32 v22, v49
	v_mov_b32_e32 v23, v38
	;; [unrolled: 1-line block ×4, first 2 shown]
	v_not_b32_e32 v64, v5
	v_mov_b32_e32 v17, v52
	v_mov_b32_e32 v20, v51
	;; [unrolled: 1-line block ×3, first 2 shown]
	ds_write_b32 v9, v116
	ds_write_b32 v98, v116
	v_and_b32_e32 v5, v15, v64
	v_mov_b32_e32 v15, v54
	v_mov_b32_e32 v16, v55
	ds_write_b32 v99, v116
	ds_write_b32 v100, v116
	;; [unrolled: 1-line block ×3, first 2 shown]
	v_and_b32_e32 v28, 1, v5
	v_lshlrev_b32_e32 v29, 30, v5
	v_lshlrev_b32_e32 v30, 29, v5
	;; [unrolled: 1-line block ×4, first 2 shown]
	v_add_co_u32 v28, s20, v28, -1
	v_cndmask_b32_e64 v34, 0, 1, s20
	v_not_b32_e32 v48, v29
	v_cmp_gt_i32_e64 s21, 0, v29
	v_not_b32_e32 v29, v30
	v_lshlrev_b32_e32 v38, 26, v5
	v_cmp_ne_u32_e64 s20, 0, v34
	v_ashrrev_i32_e32 v48, 31, v48
	v_lshlrev_b32_e32 v39, 25, v5
	v_ashrrev_i32_e32 v29, 31, v29
	v_lshlrev_b32_e32 v34, 24, v5
	v_xor_b32_e32 v28, s20, v28
	v_cmp_gt_i32_e64 s20, 0, v30
	v_not_b32_e32 v30, v31
	v_xor_b32_e32 v48, s21, v48
	v_cmp_gt_i32_e64 s21, 0, v31
	v_and_b32_e32 v28, exec_lo, v28
	v_not_b32_e32 v31, v35
	v_ashrrev_i32_e32 v30, 31, v30
	v_xor_b32_e32 v29, s20, v29
	v_cmp_gt_i32_e64 s20, 0, v35
	v_and_b32_e32 v28, v28, v48
	v_not_b32_e32 v35, v38
	v_ashrrev_i32_e32 v31, 31, v31
	v_xor_b32_e32 v30, s21, v30
	v_cmp_gt_i32_e64 s21, 0, v38
	v_and_b32_e32 v28, v28, v29
	;; [unrolled: 5-line block ×4, first 2 shown]
	v_mov_b32_e32 v28, v32
	v_mov_b32_e32 v29, v33
	v_ashrrev_i32_e32 v32, 31, v30
	v_xor_b32_e32 v33, s20, v38
	v_and_b32_e32 v34, v31, v35
	v_mov_b32_e32 v30, v36
	v_mov_b32_e32 v31, v37
	v_xor_b32_e32 v32, s21, v32
	ds_write_b32 v102, v116
	ds_write_b32 v103, v116
	v_and_b32_e32 v33, v34, v33
	v_lshlrev_b32_e32 v34, 3, v5
	ds_write_b32 v112, v116
	s_waitcnt lgkmcnt(0)
	s_barrier
	v_and_b32_e32 v5, v33, v32
	v_add_lshl_u32 v33, v34, v113, 2
	buffer_gl0_inv
	; wave barrier
	v_mbcnt_lo_u32_b32 v32, v5, 0
	v_add_co_u32 v33, null, v12, v33
	v_cmp_ne_u32_e64 s21, 0, v5
	v_cmp_eq_u32_e64 s20, 0, v32
	v_add_co_u32 v33, null, v33, 32
	s_and_b32 s21, s21, s20
	s_and_saveexec_b32 s20, s21
; %bb.181:                              ;   in Loop: Header=BB91_180 Depth=1
	v_bcnt_u32_b32 v5, v5, 0
	ds_write_b32 v33, v5
; %bb.182:                              ;   in Loop: Header=BB91_180 Depth=1
	s_or_b32 exec_lo, exec_lo, s20
	v_lshrrev_b32_sdwa v5, v10, v4 dst_sel:DWORD dst_unused:UNUSED_PAD src0_sel:DWORD src1_sel:BYTE_1
	; wave barrier
	v_and_b32_e32 v5, v5, v64
	v_and_b32_e32 v34, 1, v5
	v_lshlrev_b32_e32 v35, 30, v5
	v_lshlrev_b32_e32 v36, 29, v5
	;; [unrolled: 1-line block ×4, first 2 shown]
	v_add_co_u32 v34, s20, v34, -1
	v_cndmask_b32_e64 v38, 0, 1, s20
	v_not_b32_e32 v50, v35
	v_cmp_gt_i32_e64 s21, 0, v35
	v_not_b32_e32 v35, v36
	v_lshlrev_b32_e32 v48, 26, v5
	v_cmp_ne_u32_e64 s20, 0, v38
	v_ashrrev_i32_e32 v50, 31, v50
	v_lshlrev_b32_e32 v49, 25, v5
	v_ashrrev_i32_e32 v35, 31, v35
	v_lshlrev_b32_e32 v38, 24, v5
	v_xor_b32_e32 v34, s20, v34
	v_cmp_gt_i32_e64 s20, 0, v36
	v_not_b32_e32 v36, v37
	v_xor_b32_e32 v50, s21, v50
	v_cmp_gt_i32_e64 s21, 0, v37
	v_and_b32_e32 v34, exec_lo, v34
	v_not_b32_e32 v37, v39
	v_ashrrev_i32_e32 v36, 31, v36
	v_xor_b32_e32 v35, s20, v35
	v_cmp_gt_i32_e64 s20, 0, v39
	v_and_b32_e32 v34, v34, v50
	v_not_b32_e32 v39, v48
	v_ashrrev_i32_e32 v37, 31, v37
	v_xor_b32_e32 v36, s21, v36
	v_cmp_gt_i32_e64 s21, 0, v48
	v_and_b32_e32 v34, v34, v35
	v_not_b32_e32 v35, v49
	v_ashrrev_i32_e32 v39, 31, v39
	v_xor_b32_e32 v37, s20, v37
	v_cmp_gt_i32_e64 s20, 0, v49
	v_and_b32_e32 v34, v34, v36
	v_not_b32_e32 v36, v38
	v_ashrrev_i32_e32 v35, 31, v35
	v_xor_b32_e32 v39, s21, v39
	v_lshl_add_u32 v5, v5, 3, v113
	v_and_b32_e32 v34, v34, v37
	v_cmp_gt_i32_e64 s21, 0, v38
	v_ashrrev_i32_e32 v36, 31, v36
	v_xor_b32_e32 v35, s20, v35
	v_lshl_add_u32 v38, v5, 2, v12
	v_and_b32_e32 v34, v34, v39
	v_xor_b32_e32 v5, s21, v36
	v_add_nc_u32_e32 v36, 32, v38
	v_and_b32_e32 v35, v34, v35
	ds_read_b32 v34, v38 offset:32
	; wave barrier
	v_and_b32_e32 v37, v35, v5
	v_mov_b32_e32 v5, v87
	v_mbcnt_lo_u32_b32 v35, v37, 0
	v_cmp_ne_u32_e64 s21, 0, v37
	v_cmp_eq_u32_e64 s20, 0, v35
	s_and_b32 s21, s21, s20
	s_and_saveexec_b32 s20, s21
	s_cbranch_execz .LBB91_184
; %bb.183:                              ;   in Loop: Header=BB91_180 Depth=1
	s_waitcnt lgkmcnt(0)
	v_bcnt_u32_b32 v37, v37, v34
	ds_write_b32 v36, v37
.LBB91_184:                             ;   in Loop: Header=BB91_180 Depth=1
	s_or_b32 exec_lo, exec_lo, s20
	v_lshrrev_b32_sdwa v37, v10, v4 dst_sel:DWORD dst_unused:UNUSED_PAD src0_sel:DWORD src1_sel:BYTE_2
	; wave barrier
	v_and_b32_e32 v37, v37, v64
	v_and_b32_e32 v38, 1, v37
	v_lshlrev_b32_e32 v39, 30, v37
	v_lshlrev_b32_e32 v48, 29, v37
	;; [unrolled: 1-line block ×4, first 2 shown]
	v_add_co_u32 v38, s20, v38, -1
	v_cndmask_b32_e64 v50, 0, 1, s20
	v_not_b32_e32 v54, v39
	v_cmp_gt_i32_e64 s21, 0, v39
	v_not_b32_e32 v39, v48
	v_lshlrev_b32_e32 v52, 26, v37
	v_cmp_ne_u32_e64 s20, 0, v50
	v_ashrrev_i32_e32 v54, 31, v54
	v_lshlrev_b32_e32 v53, 25, v37
	v_ashrrev_i32_e32 v39, 31, v39
	v_lshlrev_b32_e32 v50, 24, v37
	v_xor_b32_e32 v38, s20, v38
	v_cmp_gt_i32_e64 s20, 0, v48
	v_not_b32_e32 v48, v49
	v_xor_b32_e32 v54, s21, v54
	v_cmp_gt_i32_e64 s21, 0, v49
	v_and_b32_e32 v38, exec_lo, v38
	v_not_b32_e32 v49, v51
	v_ashrrev_i32_e32 v48, 31, v48
	v_xor_b32_e32 v39, s20, v39
	v_cmp_gt_i32_e64 s20, 0, v51
	v_and_b32_e32 v38, v38, v54
	v_not_b32_e32 v51, v52
	v_ashrrev_i32_e32 v49, 31, v49
	v_xor_b32_e32 v48, s21, v48
	v_cmp_gt_i32_e64 s21, 0, v52
	v_and_b32_e32 v38, v38, v39
	;; [unrolled: 5-line block ×3, first 2 shown]
	v_not_b32_e32 v48, v50
	v_ashrrev_i32_e32 v39, 31, v39
	v_xor_b32_e32 v51, s21, v51
	v_lshl_add_u32 v37, v37, 3, v113
	v_and_b32_e32 v38, v38, v49
	v_cmp_gt_i32_e64 s21, 0, v50
	v_ashrrev_i32_e32 v48, 31, v48
	v_xor_b32_e32 v39, s20, v39
	v_lshl_add_u32 v49, v37, 2, v12
	v_and_b32_e32 v38, v38, v51
	v_xor_b32_e32 v48, s21, v48
	ds_read_b32 v37, v49 offset:32
	v_and_b32_e32 v38, v38, v39
	v_add_nc_u32_e32 v39, 32, v49
	; wave barrier
	v_and_b32_e32 v48, v38, v48
	v_mbcnt_lo_u32_b32 v38, v48, 0
	v_cmp_ne_u32_e64 s21, 0, v48
	v_cmp_eq_u32_e64 s20, 0, v38
	s_and_b32 s21, s21, s20
	s_and_saveexec_b32 s20, s21
	s_cbranch_execz .LBB91_186
; %bb.185:                              ;   in Loop: Header=BB91_180 Depth=1
	s_waitcnt lgkmcnt(0)
	v_bcnt_u32_b32 v48, v48, v37
	ds_write_b32 v39, v48
.LBB91_186:                             ;   in Loop: Header=BB91_180 Depth=1
	s_or_b32 exec_lo, exec_lo, s20
	v_alignbit_b32 v48, v5, v4, 24
	; wave barrier
	v_lshrrev_b32_sdwa v48, v10, v48 dst_sel:DWORD dst_unused:UNUSED_PAD src0_sel:DWORD src1_sel:BYTE_0
	v_and_b32_e32 v48, v48, v64
	v_and_b32_e32 v49, 1, v48
	v_lshlrev_b32_e32 v50, 30, v48
	v_lshlrev_b32_e32 v51, 29, v48
	;; [unrolled: 1-line block ×4, first 2 shown]
	v_add_co_u32 v49, s20, v49, -1
	v_cndmask_b32_e64 v53, 0, 1, s20
	v_not_b32_e32 v66, v50
	v_cmp_gt_i32_e64 s21, 0, v50
	v_not_b32_e32 v50, v51
	v_lshlrev_b32_e32 v55, 26, v48
	v_cmp_ne_u32_e64 s20, 0, v53
	v_ashrrev_i32_e32 v66, 31, v66
	v_lshlrev_b32_e32 v65, 25, v48
	v_ashrrev_i32_e32 v50, 31, v50
	v_lshlrev_b32_e32 v53, 24, v48
	v_xor_b32_e32 v49, s20, v49
	v_cmp_gt_i32_e64 s20, 0, v51
	v_not_b32_e32 v51, v52
	v_xor_b32_e32 v66, s21, v66
	v_cmp_gt_i32_e64 s21, 0, v52
	v_and_b32_e32 v49, exec_lo, v49
	v_not_b32_e32 v52, v54
	v_ashrrev_i32_e32 v51, 31, v51
	v_xor_b32_e32 v50, s20, v50
	v_cmp_gt_i32_e64 s20, 0, v54
	v_and_b32_e32 v49, v49, v66
	v_not_b32_e32 v54, v55
	v_ashrrev_i32_e32 v52, 31, v52
	v_xor_b32_e32 v51, s21, v51
	v_cmp_gt_i32_e64 s21, 0, v55
	v_and_b32_e32 v49, v49, v50
	;; [unrolled: 5-line block ×3, first 2 shown]
	v_not_b32_e32 v51, v53
	v_ashrrev_i32_e32 v50, 31, v50
	v_xor_b32_e32 v54, s21, v54
	v_lshl_add_u32 v48, v48, 3, v113
	v_and_b32_e32 v49, v49, v52
	v_cmp_gt_i32_e64 s21, 0, v53
	v_ashrrev_i32_e32 v51, 31, v51
	v_xor_b32_e32 v50, s20, v50
	v_lshl_add_u32 v52, v48, 2, v12
	v_and_b32_e32 v49, v49, v54
	v_xor_b32_e32 v51, s21, v51
	ds_read_b32 v48, v52 offset:32
	v_and_b32_e32 v49, v49, v50
	v_add_nc_u32_e32 v50, 32, v52
	; wave barrier
	v_and_b32_e32 v51, v49, v51
	v_mbcnt_lo_u32_b32 v49, v51, 0
	v_cmp_ne_u32_e64 s21, 0, v51
	v_cmp_eq_u32_e64 s20, 0, v49
	s_and_b32 s21, s21, s20
	s_and_saveexec_b32 s20, s21
	s_cbranch_execz .LBB91_188
; %bb.187:                              ;   in Loop: Header=BB91_180 Depth=1
	s_waitcnt lgkmcnt(0)
	v_bcnt_u32_b32 v51, v51, v48
	ds_write_b32 v50, v51
.LBB91_188:                             ;   in Loop: Header=BB91_180 Depth=1
	s_or_b32 exec_lo, exec_lo, s20
	v_lshrrev_b32_sdwa v51, v10, v5 dst_sel:DWORD dst_unused:UNUSED_PAD src0_sel:DWORD src1_sel:BYTE_0
	; wave barrier
	v_and_b32_e32 v51, v51, v64
	v_and_b32_e32 v52, 1, v51
	v_lshlrev_b32_e32 v53, 30, v51
	v_lshlrev_b32_e32 v54, 29, v51
	;; [unrolled: 1-line block ×4, first 2 shown]
	v_add_co_u32 v52, s20, v52, -1
	v_cndmask_b32_e64 v65, 0, 1, s20
	v_not_b32_e32 v69, v53
	v_cmp_gt_i32_e64 s21, 0, v53
	v_not_b32_e32 v53, v54
	v_lshlrev_b32_e32 v67, 26, v51
	v_cmp_ne_u32_e64 s20, 0, v65
	v_ashrrev_i32_e32 v69, 31, v69
	v_lshlrev_b32_e32 v68, 25, v51
	v_ashrrev_i32_e32 v53, 31, v53
	v_lshlrev_b32_e32 v65, 24, v51
	v_xor_b32_e32 v52, s20, v52
	v_cmp_gt_i32_e64 s20, 0, v54
	v_not_b32_e32 v54, v55
	v_xor_b32_e32 v69, s21, v69
	v_cmp_gt_i32_e64 s21, 0, v55
	v_and_b32_e32 v52, exec_lo, v52
	v_not_b32_e32 v55, v66
	v_ashrrev_i32_e32 v54, 31, v54
	v_xor_b32_e32 v53, s20, v53
	v_cmp_gt_i32_e64 s20, 0, v66
	v_and_b32_e32 v52, v52, v69
	v_not_b32_e32 v66, v67
	v_ashrrev_i32_e32 v55, 31, v55
	v_xor_b32_e32 v54, s21, v54
	v_cmp_gt_i32_e64 s21, 0, v67
	v_and_b32_e32 v52, v52, v53
	;; [unrolled: 5-line block ×3, first 2 shown]
	v_not_b32_e32 v54, v65
	v_ashrrev_i32_e32 v53, 31, v53
	v_xor_b32_e32 v66, s21, v66
	v_lshl_add_u32 v51, v51, 3, v113
	v_and_b32_e32 v52, v52, v55
	v_cmp_gt_i32_e64 s21, 0, v65
	v_ashrrev_i32_e32 v54, 31, v54
	v_xor_b32_e32 v53, s20, v53
	v_lshl_add_u32 v55, v51, 2, v12
	v_and_b32_e32 v52, v52, v66
	v_xor_b32_e32 v54, s21, v54
	ds_read_b32 v51, v55 offset:32
	v_and_b32_e32 v52, v52, v53
	v_add_nc_u32_e32 v53, 32, v55
	; wave barrier
	v_and_b32_e32 v54, v52, v54
	v_mbcnt_lo_u32_b32 v52, v54, 0
	v_cmp_ne_u32_e64 s21, 0, v54
	v_cmp_eq_u32_e64 s20, 0, v52
	s_and_b32 s21, s21, s20
	s_and_saveexec_b32 s20, s21
	s_cbranch_execz .LBB91_190
; %bb.189:                              ;   in Loop: Header=BB91_180 Depth=1
	s_waitcnt lgkmcnt(0)
	v_bcnt_u32_b32 v54, v54, v51
	ds_write_b32 v53, v54
.LBB91_190:                             ;   in Loop: Header=BB91_180 Depth=1
	s_or_b32 exec_lo, exec_lo, s20
	v_lshrrev_b32_sdwa v54, v10, v5 dst_sel:DWORD dst_unused:UNUSED_PAD src0_sel:DWORD src1_sel:BYTE_1
	; wave barrier
	v_and_b32_e32 v54, v54, v64
	v_and_b32_e32 v55, 1, v54
	v_lshlrev_b32_e32 v65, 30, v54
	v_lshlrev_b32_e32 v66, 29, v54
	;; [unrolled: 1-line block ×4, first 2 shown]
	v_add_co_u32 v55, s20, v55, -1
	v_cndmask_b32_e64 v68, 0, 1, s20
	v_not_b32_e32 v80, v65
	v_cmp_gt_i32_e64 s21, 0, v65
	v_not_b32_e32 v65, v66
	v_lshlrev_b32_e32 v70, 26, v54
	v_cmp_ne_u32_e64 s20, 0, v68
	v_ashrrev_i32_e32 v80, 31, v80
	v_lshlrev_b32_e32 v71, 25, v54
	v_ashrrev_i32_e32 v65, 31, v65
	v_lshlrev_b32_e32 v68, 24, v54
	v_xor_b32_e32 v55, s20, v55
	v_cmp_gt_i32_e64 s20, 0, v66
	v_not_b32_e32 v66, v67
	v_xor_b32_e32 v80, s21, v80
	v_cmp_gt_i32_e64 s21, 0, v67
	v_and_b32_e32 v55, exec_lo, v55
	v_not_b32_e32 v67, v69
	v_ashrrev_i32_e32 v66, 31, v66
	v_xor_b32_e32 v65, s20, v65
	v_cmp_gt_i32_e64 s20, 0, v69
	v_and_b32_e32 v55, v55, v80
	v_not_b32_e32 v69, v70
	v_ashrrev_i32_e32 v67, 31, v67
	v_xor_b32_e32 v66, s21, v66
	v_cmp_gt_i32_e64 s21, 0, v70
	v_and_b32_e32 v55, v55, v65
	;; [unrolled: 5-line block ×3, first 2 shown]
	v_not_b32_e32 v66, v68
	v_ashrrev_i32_e32 v65, 31, v65
	v_xor_b32_e32 v69, s21, v69
	v_lshl_add_u32 v54, v54, 3, v113
	v_and_b32_e32 v55, v55, v67
	v_cmp_gt_i32_e64 s21, 0, v68
	v_ashrrev_i32_e32 v66, 31, v66
	v_xor_b32_e32 v65, s20, v65
	v_lshl_add_u32 v67, v54, 2, v12
	v_and_b32_e32 v55, v55, v69
	v_xor_b32_e32 v66, s21, v66
	ds_read_b32 v54, v67 offset:32
	v_and_b32_e32 v55, v55, v65
	v_add_nc_u32_e32 v65, 32, v67
	; wave barrier
	v_and_b32_e32 v66, v55, v66
	v_mbcnt_lo_u32_b32 v55, v66, 0
	v_cmp_ne_u32_e64 s21, 0, v66
	v_cmp_eq_u32_e64 s20, 0, v55
	s_and_b32 s21, s21, s20
	s_and_saveexec_b32 s20, s21
	s_cbranch_execz .LBB91_192
; %bb.191:                              ;   in Loop: Header=BB91_180 Depth=1
	s_waitcnt lgkmcnt(0)
	v_bcnt_u32_b32 v66, v66, v54
	ds_write_b32 v65, v66
.LBB91_192:                             ;   in Loop: Header=BB91_180 Depth=1
	s_or_b32 exec_lo, exec_lo, s20
	v_lshrrev_b32_sdwa v66, v10, v5 dst_sel:DWORD dst_unused:UNUSED_PAD src0_sel:DWORD src1_sel:BYTE_2
	; wave barrier
	v_and_b32_e32 v66, v66, v64
	v_and_b32_e32 v67, 1, v66
	v_lshlrev_b32_e32 v68, 30, v66
	v_lshlrev_b32_e32 v69, 29, v66
	;; [unrolled: 1-line block ×4, first 2 shown]
	v_add_co_u32 v67, s20, v67, -1
	v_cndmask_b32_e64 v71, 0, 1, s20
	v_not_b32_e32 v83, v68
	v_cmp_gt_i32_e64 s21, 0, v68
	v_not_b32_e32 v68, v69
	v_lshlrev_b32_e32 v81, 26, v66
	v_cmp_ne_u32_e64 s20, 0, v71
	v_ashrrev_i32_e32 v83, 31, v83
	v_lshlrev_b32_e32 v82, 25, v66
	v_ashrrev_i32_e32 v68, 31, v68
	v_lshlrev_b32_e32 v71, 24, v66
	v_xor_b32_e32 v67, s20, v67
	v_cmp_gt_i32_e64 s20, 0, v69
	v_not_b32_e32 v69, v70
	v_xor_b32_e32 v83, s21, v83
	v_cmp_gt_i32_e64 s21, 0, v70
	v_and_b32_e32 v67, exec_lo, v67
	v_not_b32_e32 v70, v80
	v_ashrrev_i32_e32 v69, 31, v69
	v_xor_b32_e32 v68, s20, v68
	v_cmp_gt_i32_e64 s20, 0, v80
	v_and_b32_e32 v67, v67, v83
	v_not_b32_e32 v80, v81
	v_ashrrev_i32_e32 v70, 31, v70
	v_xor_b32_e32 v69, s21, v69
	v_cmp_gt_i32_e64 s21, 0, v81
	v_and_b32_e32 v67, v67, v68
	;; [unrolled: 5-line block ×3, first 2 shown]
	v_not_b32_e32 v69, v71
	v_ashrrev_i32_e32 v68, 31, v68
	v_xor_b32_e32 v80, s21, v80
	v_lshl_add_u32 v66, v66, 3, v113
	v_and_b32_e32 v67, v67, v70
	v_cmp_gt_i32_e64 s21, 0, v71
	v_ashrrev_i32_e32 v69, 31, v69
	v_xor_b32_e32 v68, s20, v68
	v_lshl_add_u32 v70, v66, 2, v12
	v_and_b32_e32 v67, v67, v80
	v_xor_b32_e32 v69, s21, v69
	ds_read_b32 v66, v70 offset:32
	v_and_b32_e32 v67, v67, v68
	v_add_nc_u32_e32 v68, 32, v70
	; wave barrier
	v_and_b32_e32 v69, v67, v69
	v_mbcnt_lo_u32_b32 v67, v69, 0
	v_cmp_ne_u32_e64 s21, 0, v69
	v_cmp_eq_u32_e64 s20, 0, v67
	s_and_b32 s21, s21, s20
	s_and_saveexec_b32 s20, s21
	s_cbranch_execz .LBB91_194
; %bb.193:                              ;   in Loop: Header=BB91_180 Depth=1
	s_waitcnt lgkmcnt(0)
	v_bcnt_u32_b32 v69, v69, v66
	ds_write_b32 v68, v69
.LBB91_194:                             ;   in Loop: Header=BB91_180 Depth=1
	s_or_b32 exec_lo, exec_lo, s20
	v_lshrrev_b32_e32 v160, 24, v5
	; wave barrier
	v_lshrrev_b32_e32 v69, v10, v160
	v_and_b32_e32 v64, v69, v64
	v_and_b32_e32 v69, 1, v64
	v_lshlrev_b32_e32 v70, 30, v64
	v_lshlrev_b32_e32 v71, 29, v64
	;; [unrolled: 1-line block ×4, first 2 shown]
	v_add_co_u32 v69, s20, v69, -1
	v_cndmask_b32_e64 v81, 0, 1, s20
	v_not_b32_e32 v85, v70
	v_cmp_gt_i32_e64 s21, 0, v70
	v_not_b32_e32 v70, v71
	v_lshlrev_b32_e32 v83, 26, v64
	v_cmp_ne_u32_e64 s20, 0, v81
	v_ashrrev_i32_e32 v85, 31, v85
	v_lshlrev_b32_e32 v84, 25, v64
	v_ashrrev_i32_e32 v70, 31, v70
	v_lshlrev_b32_e32 v81, 24, v64
	v_xor_b32_e32 v69, s20, v69
	v_cmp_gt_i32_e64 s20, 0, v71
	v_not_b32_e32 v71, v80
	v_xor_b32_e32 v85, s21, v85
	v_cmp_gt_i32_e64 s21, 0, v80
	v_and_b32_e32 v69, exec_lo, v69
	v_not_b32_e32 v80, v82
	v_ashrrev_i32_e32 v71, 31, v71
	v_xor_b32_e32 v70, s20, v70
	v_cmp_gt_i32_e64 s20, 0, v82
	v_and_b32_e32 v69, v69, v85
	v_not_b32_e32 v82, v83
	v_ashrrev_i32_e32 v80, 31, v80
	v_xor_b32_e32 v71, s21, v71
	v_cmp_gt_i32_e64 s21, 0, v83
	v_and_b32_e32 v69, v69, v70
	;; [unrolled: 5-line block ×3, first 2 shown]
	v_not_b32_e32 v71, v81
	v_ashrrev_i32_e32 v70, 31, v70
	v_xor_b32_e32 v82, s21, v82
	v_lshl_add_u32 v64, v64, 3, v113
	v_and_b32_e32 v69, v69, v80
	v_cmp_gt_i32_e64 s21, 0, v81
	v_ashrrev_i32_e32 v71, 31, v71
	v_xor_b32_e32 v70, s20, v70
	v_lshl_add_u32 v80, v64, 2, v12
	v_and_b32_e32 v69, v69, v82
	v_xor_b32_e32 v71, s21, v71
	ds_read_b32 v64, v80 offset:32
	v_and_b32_e32 v69, v69, v70
	v_add_nc_u32_e32 v70, 32, v80
	; wave barrier
	v_and_b32_e32 v71, v69, v71
	v_mbcnt_lo_u32_b32 v69, v71, 0
	v_cmp_ne_u32_e64 s21, 0, v71
	v_cmp_eq_u32_e64 s20, 0, v69
	s_and_b32 s21, s21, s20
	s_and_saveexec_b32 s20, s21
	s_cbranch_execz .LBB91_196
; %bb.195:                              ;   in Loop: Header=BB91_180 Depth=1
	s_waitcnt lgkmcnt(0)
	v_bcnt_u32_b32 v71, v71, v64
	ds_write_b32 v70, v71
.LBB91_196:                             ;   in Loop: Header=BB91_180 Depth=1
	s_or_b32 exec_lo, exec_lo, s20
	; wave barrier
	s_waitcnt lgkmcnt(0)
	s_barrier
	buffer_gl0_inv
	ds_read_b32 v80, v9
	ds_read_b32 v81, v98
	;; [unrolled: 1-line block ×8, first 2 shown]
	s_waitcnt lgkmcnt(6)
	v_add_nc_u32_e32 v87, v81, v80
	s_waitcnt lgkmcnt(4)
	v_add3_u32 v87, v87, v82, v83
	s_waitcnt lgkmcnt(2)
	v_add3_u32 v87, v87, v84, v85
	;; [unrolled: 2-line block ×3, first 2 shown]
	v_mov_b32_dpp v87, v86 row_shr:1 row_mask:0xf bank_mask:0xf
	v_cndmask_b32_e64 v87, v87, 0, vcc_lo
	v_add_nc_u32_e32 v86, v87, v86
	v_mov_b32_dpp v87, v86 row_shr:2 row_mask:0xf bank_mask:0xf
	v_cndmask_b32_e64 v87, 0, v87, s4
	v_add_nc_u32_e32 v86, v86, v87
	v_mov_b32_dpp v87, v86 row_shr:4 row_mask:0xf bank_mask:0xf
	v_cndmask_b32_e64 v87, 0, v87, s5
	;; [unrolled: 3-line block ×3, first 2 shown]
	v_add_nc_u32_e32 v86, v86, v87
	ds_swizzle_b32 v87, v86 offset:swizzle(BROADCAST,32,15)
	s_waitcnt lgkmcnt(0)
	v_cndmask_b32_e64 v87, v87, 0, s10
	v_add_nc_u32_e32 v86, v86, v87
	s_and_saveexec_b32 s20, s11
; %bb.197:                              ;   in Loop: Header=BB91_180 Depth=1
	ds_write_b32 v115, v86
; %bb.198:                              ;   in Loop: Header=BB91_180 Depth=1
	s_or_b32 exec_lo, exec_lo, s20
	s_waitcnt lgkmcnt(0)
	s_barrier
	buffer_gl0_inv
	s_and_saveexec_b32 s20, s14
	s_cbranch_execz .LBB91_200
; %bb.199:                              ;   in Loop: Header=BB91_180 Depth=1
	ds_read_b32 v87, v117
	s_waitcnt lgkmcnt(0)
	v_mov_b32_dpp v96, v87 row_shr:1 row_mask:0xf bank_mask:0xf
	v_cndmask_b32_e64 v96, v96, 0, s17
	v_add_nc_u32_e32 v87, v96, v87
	v_mov_b32_dpp v96, v87 row_shr:2 row_mask:0xf bank_mask:0xf
	v_cndmask_b32_e64 v96, 0, v96, s18
	v_add_nc_u32_e32 v87, v87, v96
	;; [unrolled: 3-line block ×3, first 2 shown]
	ds_write_b32 v117, v87
.LBB91_200:                             ;   in Loop: Header=BB91_180 Depth=1
	s_or_b32 exec_lo, exec_lo, s20
	v_mov_b32_e32 v87, 0
	s_waitcnt lgkmcnt(0)
	s_barrier
	buffer_gl0_inv
	s_and_saveexec_b32 s20, s15
; %bb.201:                              ;   in Loop: Header=BB91_180 Depth=1
	ds_read_b32 v87, v119
; %bb.202:                              ;   in Loop: Header=BB91_180 Depth=1
	s_or_b32 exec_lo, exec_lo, s20
	s_waitcnt lgkmcnt(0)
	v_add_nc_u32_e32 v86, v87, v86
	v_add_nc_u32_e32 v10, 8, v10
	v_mov_b32_e32 v177, v4
	v_lshrrev_b32_e32 v178, 8, v4
	v_lshrrev_b32_e32 v181, 16, v4
	ds_bpermute_b32 v86, v114, v86
	v_lshrrev_b32_e32 v179, 8, v5
	v_lshrrev_b32_e32 v180, 16, v5
	v_cmp_lt_u32_e64 s20, v10, v11
	s_mov_b32 s26, -1
	s_waitcnt lgkmcnt(0)
	v_cndmask_b32_e64 v86, v86, v87, s6
	v_cndmask_b32_e64 v86, v86, 0, s16
	v_add_nc_u32_e32 v80, v86, v80
	v_add_nc_u32_e32 v81, v80, v81
	ds_write_b32 v9, v86
	ds_write_b32 v98, v80
	;; [unrolled: 1-line block ×3, first 2 shown]
	v_lshrrev_b64 v[86:87], 24, v[4:5]
	v_add_nc_u32_e32 v82, v81, v82
                                        ; implicit-def: $vgpr87
	v_add_nc_u32_e32 v83, v82, v83
	v_add_nc_u32_e32 v84, v83, v84
	;; [unrolled: 1-line block ×4, first 2 shown]
	ds_write_b32 v100, v82
	ds_write_b32 v101, v83
	;; [unrolled: 1-line block ×5, first 2 shown]
	s_waitcnt lgkmcnt(0)
	s_barrier
	buffer_gl0_inv
	ds_read_b32 v33, v33
	ds_read_b32 v36, v36
	;; [unrolled: 1-line block ×8, first 2 shown]
	s_waitcnt lgkmcnt(0)
	v_add_nc_u32_e32 v176, v33, v32
	v_add3_u32 v167, v35, v34, v36
	v_add3_u32 v166, v38, v37, v39
	;; [unrolled: 1-line block ×6, first 2 shown]
	v_add_co_u32 v68, s21, v12, v176
	v_add3_u32 v161, v69, v64, v70
	v_add_co_ci_u32_e64 v69, null, 0, v13, s21
	v_add_co_u32 v80, s21, v12, v167
	v_add_co_ci_u32_e64 v81, null, 0, v13, s21
	v_add_co_u32 v64, s21, v12, v166
	;; [unrolled: 2-line block ×7, first 2 shown]
	v_add_co_ci_u32_e64 v97, null, 0, v13, s21
                                        ; implicit-def: $vgpr34_vgpr35
                                        ; implicit-def: $vgpr38_vgpr39
                                        ; implicit-def: $vgpr48_vgpr49
                                        ; implicit-def: $vgpr50_vgpr51
                                        ; implicit-def: $vgpr52_vgpr53
                                        ; implicit-def: $vgpr54_vgpr55
                                        ; implicit-def: $vgpr32_vgpr33
                                        ; implicit-def: $vgpr36_vgpr37
	s_and_saveexec_b32 s21, s20
	s_cbranch_execz .LBB91_179
; %bb.203:                              ;   in Loop: Header=BB91_180 Depth=1
	v_mad_u64_u32 v[32:33], null, v176, 7, v[68:69]
	v_mad_u64_u32 v[33:34], null, v167, 7, v[80:81]
	;; [unrolled: 1-line block ×4, first 2 shown]
	s_barrier
	buffer_gl0_inv
	ds_write_b8 v68, v4
	ds_write_b8 v80, v178
	;; [unrolled: 1-line block ×8, first 2 shown]
	s_waitcnt lgkmcnt(0)
	s_barrier
	buffer_gl0_inv
	ds_read_u8 v4, v130
	ds_read_u8 v87, v129
	;; [unrolled: 1-line block ×8, first 2 shown]
	v_mad_u64_u32 v[36:37], null, v164, 7, v[70:71]
	v_mad_u64_u32 v[37:38], null, v163, 7, v[82:83]
	v_mad_u64_u32 v[38:39], null, v162, 7, v[84:85]
	v_mad_u64_u32 v[48:49], null, v161, 7, v[96:97]
	s_waitcnt lgkmcnt(0)
	s_barrier
	buffer_gl0_inv
	ds_write_b64 v32, v[26:27]
	ds_write_b64 v33, v[23:24]
	;; [unrolled: 1-line block ×8, first 2 shown]
	s_waitcnt lgkmcnt(0)
	s_barrier
	buffer_gl0_inv
	ds_read_b64 v[34:35], v132
	ds_read_b64 v[38:39], v144
	;; [unrolled: 1-line block ×8, first 2 shown]
	v_perm_b32 v182, v183, v182, 0xc0c0004
	v_perm_b32 v4, v87, v4, 0xc0c0004
	;; [unrolled: 1-line block ×4, first 2 shown]
	v_add_nc_u32_e32 v151, -8, v151
	s_xor_b32 s26, exec_lo, -1
	v_lshl_or_b32 v4, v4, 16, v182
	s_waitcnt lgkmcnt(0)
	v_lshl_or_b32 v87, v183, 16, v87
	s_barrier
	buffer_gl0_inv
	s_branch .LBB91_179
.LBB91_204:
	flat_load_dwordx2 v[82:83], v[4:5]
	s_or_b32 exec_lo, exec_lo, s24
                                        ; implicit-def: $vgpr84_vgpr85
	s_and_saveexec_b32 s24, s4
	s_cbranch_execz .LBB91_38
.LBB91_205:
	flat_load_dwordx2 v[84:85], v[4:5] offset:256
	s_or_b32 exec_lo, exec_lo, s24
                                        ; implicit-def: $vgpr86_vgpr87
	s_and_saveexec_b32 s4, s5
	s_cbranch_execz .LBB91_39
.LBB91_206:
	flat_load_dwordx2 v[86:87], v[4:5] offset:512
	s_or_b32 exec_lo, exec_lo, s4
                                        ; implicit-def: $vgpr96_vgpr97
	s_and_saveexec_b32 s4, s6
	s_cbranch_execz .LBB91_40
.LBB91_207:
	flat_load_dwordx2 v[96:97], v[4:5] offset:768
	s_or_b32 exec_lo, exec_lo, s4
                                        ; implicit-def: $vgpr98_vgpr99
	s_and_saveexec_b32 s4, s7
	s_cbranch_execz .LBB91_41
.LBB91_208:
	flat_load_dwordx2 v[98:99], v[4:5] offset:1024
	s_or_b32 exec_lo, exec_lo, s4
                                        ; implicit-def: $vgpr100_vgpr101
	s_and_saveexec_b32 s4, s10
	s_cbranch_execz .LBB91_42
.LBB91_209:
	flat_load_dwordx2 v[100:101], v[4:5] offset:1280
	s_or_b32 exec_lo, exec_lo, s4
                                        ; implicit-def: $vgpr102_vgpr103
	s_and_saveexec_b32 s4, s11
	s_cbranch_execz .LBB91_43
.LBB91_210:
	flat_load_dwordx2 v[102:103], v[4:5] offset:1536
	s_or_b32 exec_lo, exec_lo, s4
                                        ; implicit-def: $vgpr112_vgpr113
	s_and_saveexec_b32 s4, s14
	s_cbranch_execz .LBB91_44
.LBB91_211:
	flat_load_dwordx2 v[112:113], v[4:5] offset:1792
	s_or_b32 exec_lo, exec_lo, s4
                                        ; implicit-def: $vgpr114_vgpr115
	s_and_saveexec_b32 s4, s15
	s_cbranch_execz .LBB91_45
.LBB91_212:
	v_add_co_u32 v15, vcc_lo, 0x800, v4
	v_add_co_ci_u32_e64 v16, null, 0, v5, vcc_lo
	flat_load_dwordx2 v[114:115], v[15:16]
	s_or_b32 exec_lo, exec_lo, s4
                                        ; implicit-def: $vgpr116_vgpr117
	s_and_saveexec_b32 s4, s16
	s_cbranch_execz .LBB91_46
.LBB91_213:
	v_add_co_u32 v15, vcc_lo, 0x800, v4
	v_add_co_ci_u32_e64 v16, null, 0, v5, vcc_lo
	flat_load_dwordx2 v[116:117], v[15:16] offset:256
	s_or_b32 exec_lo, exec_lo, s4
                                        ; implicit-def: $vgpr130_vgpr131
	s_and_saveexec_b32 s4, s17
	s_cbranch_execz .LBB91_47
.LBB91_214:
	v_add_co_u32 v15, vcc_lo, 0x800, v4
	v_add_co_ci_u32_e64 v16, null, 0, v5, vcc_lo
	flat_load_dwordx2 v[130:131], v[15:16] offset:512
	s_or_b32 exec_lo, exec_lo, s4
                                        ; implicit-def: $vgpr134_vgpr135
	s_and_saveexec_b32 s4, s18
	s_cbranch_execz .LBB91_48
.LBB91_215:
	v_add_co_u32 v15, vcc_lo, 0x800, v4
	v_add_co_ci_u32_e64 v16, null, 0, v5, vcc_lo
	flat_load_dwordx2 v[134:135], v[15:16] offset:768
	s_or_b32 exec_lo, exec_lo, s4
                                        ; implicit-def: $vgpr146_vgpr147
	s_and_saveexec_b32 s4, s19
	s_cbranch_execz .LBB91_49
.LBB91_216:
	v_add_co_u32 v15, vcc_lo, 0x800, v4
	v_add_co_ci_u32_e64 v16, null, 0, v5, vcc_lo
	flat_load_dwordx2 v[146:147], v[15:16] offset:1024
	s_or_b32 exec_lo, exec_lo, s4
                                        ; implicit-def: $vgpr118_vgpr119
	s_and_saveexec_b32 s4, s20
	s_cbranch_execz .LBB91_50
.LBB91_217:
	v_add_co_u32 v15, vcc_lo, 0x800, v4
	v_add_co_ci_u32_e64 v16, null, 0, v5, vcc_lo
	flat_load_dwordx2 v[118:119], v[15:16] offset:1280
	s_or_b32 exec_lo, exec_lo, s4
                                        ; implicit-def: $vgpr128_vgpr129
	s_and_saveexec_b32 s4, s21
	s_cbranch_execz .LBB91_51
.LBB91_218:
	v_add_co_u32 v15, vcc_lo, 0x800, v4
	v_add_co_ci_u32_e64 v16, null, 0, v5, vcc_lo
	flat_load_dwordx2 v[128:129], v[15:16] offset:1536
	s_or_b32 exec_lo, exec_lo, s4
                                        ; implicit-def: $vgpr132_vgpr133
	s_and_saveexec_b32 s4, s22
	s_cbranch_execz .LBB91_52
.LBB91_219:
	v_add_co_u32 v15, vcc_lo, 0x800, v4
	v_add_co_ci_u32_e64 v16, null, 0, v5, vcc_lo
	flat_load_dwordx2 v[132:133], v[15:16] offset:1792
	s_or_b32 exec_lo, exec_lo, s4
                                        ; implicit-def: $vgpr144_vgpr145
	s_and_saveexec_b32 s4, s23
	s_cbranch_execnz .LBB91_53
	s_branch .LBB91_54
.LBB91_220:
	flat_store_dwordx2 v[0:1], v[48:49]
	s_or_b32 exec_lo, exec_lo, s24
	s_and_saveexec_b32 s24, s17
	s_cbranch_execz .LBB91_134
.LBB91_221:
	v_add_co_u32 v2, s4, 0x800, v0
	v_add_co_ci_u32_e64 v3, null, 0, v1, s4
	flat_store_dwordx2 v[2:3], v[50:51]
	s_or_b32 exec_lo, exec_lo, s24
	s_and_saveexec_b32 s17, s15
	s_cbranch_execz .LBB91_135
.LBB91_222:
	v_add_co_u32 v2, s4, 0x1000, v0
	v_add_co_ci_u32_e64 v3, null, 0, v1, s4
	flat_store_dwordx2 v[2:3], v[33:34]
	s_or_b32 exec_lo, exec_lo, s17
	s_and_saveexec_b32 s15, s14
	s_cbranch_execz .LBB91_136
.LBB91_223:
	v_add_co_u32 v2, s4, 0x1800, v0
	v_add_co_ci_u32_e64 v3, null, 0, v1, s4
	flat_store_dwordx2 v[2:3], v[35:36]
	s_or_b32 exec_lo, exec_lo, s15
	s_and_saveexec_b32 s14, s11
	s_cbranch_execz .LBB91_137
.LBB91_224:
	v_add_co_u32 v2, s4, 0x2000, v0
	v_add_co_ci_u32_e64 v3, null, 0, v1, s4
	flat_store_dwordx2 v[2:3], v[29:30]
	s_or_b32 exec_lo, exec_lo, s14
	s_and_saveexec_b32 s11, s7
	s_cbranch_execz .LBB91_138
.LBB91_225:
	v_add_co_u32 v2, s4, 0x2800, v0
	v_add_co_ci_u32_e64 v3, null, 0, v1, s4
	flat_store_dwordx2 v[2:3], v[31:32]
	s_or_b32 exec_lo, exec_lo, s11
	s_and_saveexec_b32 s7, s6
	s_cbranch_execz .LBB91_139
.LBB91_226:
	v_add_co_u32 v2, s4, 0x3000, v0
	v_add_co_ci_u32_e64 v3, null, 0, v1, s4
	flat_store_dwordx2 v[2:3], v[25:26]
	s_or_b32 exec_lo, exec_lo, s7
	s_and_saveexec_b32 s6, s5
	s_cbranch_execz .LBB91_140
.LBB91_227:
	v_add_co_u32 v2, s4, 0x3800, v0
	v_add_co_ci_u32_e64 v3, null, 0, v1, s4
	flat_store_dwordx2 v[2:3], v[27:28]
	s_or_b32 exec_lo, exec_lo, s6
	s_and_saveexec_b32 s4, vcc_lo
	s_cbranch_execz .LBB91_141
.LBB91_228:
	v_add_co_u32 v2, vcc_lo, 0x4000, v0
	v_add_co_ci_u32_e64 v3, null, 0, v1, vcc_lo
	flat_store_dwordx2 v[2:3], v[21:22]
	s_or_b32 exec_lo, exec_lo, s4
	s_and_saveexec_b32 s4, s10
	s_cbranch_execz .LBB91_142
.LBB91_229:
	v_add_co_u32 v2, vcc_lo, 0x4800, v0
	v_add_co_ci_u32_e64 v3, null, 0, v1, vcc_lo
	flat_store_dwordx2 v[2:3], v[23:24]
	s_or_b32 exec_lo, exec_lo, s4
	s_and_saveexec_b32 s4, s16
	s_cbranch_execz .LBB91_143
.LBB91_230:
	v_add_co_u32 v2, vcc_lo, 0x5000, v0
	v_add_co_ci_u32_e64 v3, null, 0, v1, vcc_lo
	flat_store_dwordx2 v[2:3], v[17:18]
	s_or_b32 exec_lo, exec_lo, s4
	s_and_saveexec_b32 s4, s18
	s_cbranch_execz .LBB91_144
.LBB91_231:
	v_add_co_u32 v2, vcc_lo, 0x5800, v0
	v_add_co_ci_u32_e64 v3, null, 0, v1, vcc_lo
	flat_store_dwordx2 v[2:3], v[19:20]
	s_or_b32 exec_lo, exec_lo, s4
	s_and_saveexec_b32 s4, s19
	s_cbranch_execz .LBB91_145
.LBB91_232:
	v_add_co_u32 v2, vcc_lo, 0x6000, v0
	v_add_co_ci_u32_e64 v3, null, 0, v1, vcc_lo
	flat_store_dwordx2 v[2:3], v[13:14]
	s_or_b32 exec_lo, exec_lo, s4
	s_and_saveexec_b32 s4, s20
	s_cbranch_execz .LBB91_146
.LBB91_233:
	v_add_co_u32 v2, vcc_lo, 0x6800, v0
	v_add_co_ci_u32_e64 v3, null, 0, v1, vcc_lo
	flat_store_dwordx2 v[2:3], v[15:16]
	s_or_b32 exec_lo, exec_lo, s4
	s_and_saveexec_b32 s4, s21
	s_cbranch_execz .LBB91_147
.LBB91_234:
	v_add_co_u32 v2, vcc_lo, 0x7000, v0
	v_add_co_ci_u32_e64 v3, null, 0, v1, vcc_lo
	flat_store_dwordx2 v[2:3], v[9:10]
	s_or_b32 exec_lo, exec_lo, s4
	s_and_saveexec_b32 s4, s22
	s_cbranch_execz .LBB91_148
.LBB91_235:
	v_add_co_u32 v2, vcc_lo, 0x7800, v0
	v_add_co_ci_u32_e64 v3, null, 0, v1, vcc_lo
	flat_store_dwordx2 v[2:3], v[11:12]
	s_or_b32 exec_lo, exec_lo, s4
	s_and_saveexec_b32 s4, s23
	s_cbranch_execnz .LBB91_149
	s_branch .LBB91_150
.LBB91_236:
	s_or_b32 exec_lo, exec_lo, s24
	v_mad_u64_u32 v[9:10], null, v176, 7, v[68:69]
	v_mad_u64_u32 v[10:11], null, v167, 7, v[80:81]
	v_add_nc_u32_e32 v38, v12, v14
	s_barrier
	buffer_gl0_inv
	ds_write_b8 v68, v177
	ds_write_b8 v80, v178
	;; [unrolled: 1-line block ×8, first 2 shown]
	s_waitcnt lgkmcnt(0)
	s_barrier
	buffer_gl0_inv
	ds_read_u8 v37, v38
	ds_read_u8 v36, v38 offset:256
	ds_read_u8 v35, v38 offset:512
	;; [unrolled: 1-line block ×7, first 2 shown]
	s_waitcnt lgkmcnt(0)
	s_barrier
	buffer_gl0_inv
	ds_write_b64 v9, v[26:27]
	ds_write_b64 v10, v[23:24]
	v_mad_u64_u32 v[9:10], null, v166, 7, v[64:65]
	v_mad_u64_u32 v[10:11], null, v165, 7, v[66:67]
	v_mad_u64_u32 v[26:27], null, v161, 7, v[96:97]
	v_mad_u64_u32 v[11:12], null, v164, 7, v[70:71]
	ds_write_b64 v9, v[21:22]
	v_mul_u32_u24_e32 v9, 7, v14
	v_mad_u64_u32 v[12:13], null, v163, 7, v[82:83]
	v_mad_u64_u32 v[23:24], null, v162, 7, v[84:85]
	v_add_nc_u32_e32 v9, v38, v9
	ds_write_b64 v10, v[19:20]
	ds_write_b64 v11, v[17:18]
	;; [unrolled: 1-line block ×5, first 2 shown]
	s_waitcnt lgkmcnt(0)
	s_barrier
	buffer_gl0_inv
	ds_read2st64_b64 v[21:24], v9 offset1:4
	ds_read2st64_b64 v[17:20], v9 offset0:8 offset1:12
	ds_read2st64_b64 v[13:16], v9 offset0:16 offset1:20
	;; [unrolled: 1-line block ×3, first 2 shown]
	v_add_co_u32 v2, vcc_lo, v2, v8
	v_add_co_ci_u32_e64 v3, null, 0, v3, vcc_lo
	v_mov_b32_e32 v26, 0
	v_add_co_u32 v2, vcc_lo, v2, v25
	v_add_co_ci_u32_e64 v3, null, 0, v3, vcc_lo
	v_cmp_lt_u32_e32 vcc_lo, v25, v226
	s_waitcnt lgkmcnt(0)
	s_barrier
	buffer_gl0_inv
	s_and_saveexec_b32 s4, vcc_lo
	s_cbranch_execz .LBB91_238
; %bb.237:
	v_xor_b32_e32 v8, -1, v37
	flat_store_byte v[2:3], v8
.LBB91_238:
	s_or_b32 exec_lo, exec_lo, s4
	v_add_nc_u32_e32 v8, 0x100, v25
	v_cmp_lt_u32_e64 s14, v8, v226
	s_and_saveexec_b32 s4, s14
	s_cbranch_execz .LBB91_240
; %bb.239:
	v_xor_b32_e32 v8, -1, v36
	flat_store_byte v[2:3], v8 offset:256
.LBB91_240:
	s_or_b32 exec_lo, exec_lo, s4
	v_add_nc_u32_e32 v8, 0x200, v25
	v_cmp_lt_u32_e64 s11, v8, v226
	s_and_saveexec_b32 s4, s11
	s_cbranch_execz .LBB91_242
; %bb.241:
	v_xor_b32_e32 v8, -1, v35
	flat_store_byte v[2:3], v8 offset:512
.LBB91_242:
	;; [unrolled: 9-line block ×7, first 2 shown]
	s_or_b32 exec_lo, exec_lo, s15
	v_lshlrev_b64 v[2:3], 3, v[25:26]
	v_add_co_u32 v0, s15, v6, v0
	v_add_co_ci_u32_e64 v1, null, v7, v1, s15
	v_add_co_u32 v0, s15, v0, v2
	v_add_co_ci_u32_e64 v1, null, v1, v3, s15
	s_and_saveexec_b32 s15, vcc_lo
	s_cbranch_execnz .LBB91_302
; %bb.253:
	s_or_b32 exec_lo, exec_lo, s15
	s_and_saveexec_b32 s15, s14
	s_cbranch_execnz .LBB91_303
.LBB91_254:
	s_or_b32 exec_lo, exec_lo, s15
	s_and_saveexec_b32 s14, s11
	s_cbranch_execnz .LBB91_304
.LBB91_255:
	s_or_b32 exec_lo, exec_lo, s14
	s_and_saveexec_b32 s11, s10
	s_cbranch_execnz .LBB91_305
.LBB91_256:
	s_or_b32 exec_lo, exec_lo, s11
	s_and_saveexec_b32 s10, s7
	s_cbranch_execnz .LBB91_306
.LBB91_257:
	s_or_b32 exec_lo, exec_lo, s10
	s_and_saveexec_b32 s7, s6
	s_cbranch_execnz .LBB91_307
.LBB91_258:
	s_or_b32 exec_lo, exec_lo, s7
	s_and_saveexec_b32 s6, s5
	s_cbranch_execnz .LBB91_308
.LBB91_259:
	s_or_b32 exec_lo, exec_lo, s6
	s_and_saveexec_b32 s5, s4
	s_cbranch_execz .LBB91_261
.LBB91_260:
	v_add_co_u32 v0, vcc_lo, 0x3800, v0
	v_add_co_ci_u32_e64 v1, null, 0, v1, vcc_lo
	flat_store_dwordx2 v[0:1], v[11:12]
.LBB91_261:
	s_or_b32 exec_lo, exec_lo, s5
                                        ; implicit-def: $vgpr226
                                        ; implicit-def: $vgpr0
                                        ; implicit-def: $vgpr1
                                        ; implicit-def: $vgpr2
                                        ; implicit-def: $vgpr3
                                        ; implicit-def: $vgpr4
                                        ; implicit-def: $vgpr5
                                        ; implicit-def: $vgpr6
                                        ; implicit-def: $vgpr7
                                        ; implicit-def: $vgpr8
                                        ; implicit-def: $vgpr10
                                        ; implicit-def: $vgpr11
                                        ; implicit-def: $vgpr12
                                        ; implicit-def: $vgpr13
                                        ; implicit-def: $vgpr15
                                        ; implicit-def: $vgpr16
                                        ; implicit-def: $vgpr14
                                        ; implicit-def: $vgpr30
.LBB91_262:
	s_andn2_saveexec_b32 s4, s22
	s_cbranch_execz .LBB91_382
; %bb.263:
	s_mov_b32 s4, exec_lo
	v_cmpx_lt_u32_e32 0x200, v226
	s_xor_b32 s22, exec_lo, s4
	s_cbranch_execz .LBB91_323
; %bb.264:
	s_load_dwordx2 s[4:5], s[8:9], 0x0
	v_mov_b32_e32 v9, 0
	v_add_co_u32 v0, vcc_lo, v0, v8
	v_add_co_ci_u32_e64 v1, null, 0, v1, vcc_lo
	v_mov_b32_e32 v20, v9
	v_add_co_u32 v0, vcc_lo, v0, v30
	v_add_co_ci_u32_e64 v1, null, 0, v1, vcc_lo
	v_mov_b32_e32 v19, v9
	s_waitcnt lgkmcnt(0)
	s_cmp_lt_u32 s13, s5
	s_cselect_b32 s5, 14, 20
	s_add_u32 s6, s8, s5
	s_addc_u32 s7, s9, 0
	s_cmp_lt_u32 s12, s4
	global_load_ushort v17, v9, s[6:7]
	s_cselect_b32 s4, 12, 18
	s_add_u32 s4, s8, s4
	s_addc_u32 s5, s9, 0
	global_load_ushort v18, v9, s[4:5]
	s_waitcnt vmcnt(1)
	v_mad_u32_u24 v15, v16, v17, v15
	v_mov_b32_e32 v16, v9
	s_waitcnt vmcnt(0)
	v_mad_u64_u32 v[17:18], null, v15, v18, v[14:15]
	v_mov_b32_e32 v18, v9
	v_lshlrev_b32_e32 v15, 2, v17
	v_and_b32_e32 v15, 0xffffff80, v15
	v_or_b32_e32 v22, v15, v30
	v_add_co_u32 v0, vcc_lo, v0, v15
	v_add_co_ci_u32_e64 v1, null, 0, v1, vcc_lo
	v_cmp_lt_u32_e32 vcc_lo, v22, v226
	s_and_saveexec_b32 s4, vcc_lo
	s_cbranch_execz .LBB91_266
; %bb.265:
	flat_load_ubyte v18, v[0:1]
	v_mov_b32_e32 v20, v9
	v_mov_b32_e32 v19, v9
.LBB91_266:
	s_or_b32 exec_lo, exec_lo, s4
	v_or_b32_e32 v21, 32, v22
	v_cmp_lt_u32_e64 s4, v21, v226
	v_mov_b32_e32 v21, v9
	s_and_saveexec_b32 s5, s4
	s_cbranch_execz .LBB91_268
; %bb.267:
	flat_load_ubyte v21, v[0:1] offset:32
.LBB91_268:
	s_or_b32 exec_lo, exec_lo, s5
	v_or_b32_e32 v23, 64, v22
	v_cmp_lt_u32_e64 s5, v23, v226
	s_and_saveexec_b32 s6, s5
	s_cbranch_execz .LBB91_270
; %bb.269:
	flat_load_ubyte v20, v[0:1] offset:64
.LBB91_270:
	s_or_b32 exec_lo, exec_lo, s6
	v_or_b32_e32 v22, 0x60, v22
	v_cmp_lt_u32_e64 s6, v22, v226
	s_and_saveexec_b32 s7, s6
	s_cbranch_execz .LBB91_272
; %bb.271:
	flat_load_ubyte v19, v[0:1] offset:96
.LBB91_272:
	s_or_b32 exec_lo, exec_lo, s7
	v_lshlrev_b64 v[0:1], 3, v[8:9]
	v_lshlrev_b32_e32 v9, 3, v30
                                        ; implicit-def: $vgpr26_vgpr27
	v_add_co_u32 v22, s7, v4, v0
	v_add_co_ci_u32_e64 v23, null, v5, v1, s7
	v_lshlrev_b64 v[4:5], 3, v[15:16]
	v_add_co_u32 v9, s7, v22, v9
	v_add_co_ci_u32_e64 v15, null, 0, v23, s7
	v_add_co_u32 v4, s7, v9, v4
	v_add_co_ci_u32_e64 v5, null, v15, v5, s7
	s_and_saveexec_b32 s7, vcc_lo
	s_cbranch_execnz .LBB91_347
; %bb.273:
	s_or_b32 exec_lo, exec_lo, s7
                                        ; implicit-def: $vgpr28_vgpr29
	s_and_saveexec_b32 s7, s4
	s_cbranch_execnz .LBB91_348
.LBB91_274:
	s_or_b32 exec_lo, exec_lo, s7
                                        ; implicit-def: $vgpr22_vgpr23
	s_and_saveexec_b32 s4, s5
	s_cbranch_execnz .LBB91_349
.LBB91_275:
	s_or_b32 exec_lo, exec_lo, s4
                                        ; implicit-def: $vgpr24_vgpr25
	s_and_saveexec_b32 s4, s6
	s_cbranch_execz .LBB91_277
.LBB91_276:
	flat_load_dwordx2 v[24:25], v[4:5] offset:768
.LBB91_277:
	s_or_b32 exec_lo, exec_lo, s4
	v_mov_b32_e32 v4, -1
	s_waitcnt vmcnt(0) lgkmcnt(0)
	v_xor_b32_e32 v5, -1, v18
	v_xor_b32_e32 v15, -1, v20
	v_lshl_add_u32 v16, v14, 5, v12
	s_getpc_b64 s[4:5]
	s_add_u32 s4, s4, _ZN7rocprim17ROCPRIM_400000_NS16block_radix_sortIhLj256ELj4ElLj1ELj1ELj8ELNS0_26block_radix_rank_algorithmE2ELNS0_18block_padding_hintE2ELNS0_4arch9wavefront6targetE0EE19radix_bits_per_passE@rel32@lo+4
	s_addc_u32 s5, s5, _ZN7rocprim17ROCPRIM_400000_NS16block_radix_sortIhLj256ELj4ElLj1ELj1ELj8ELNS0_26block_radix_rank_algorithmE2ELNS0_18block_padding_hintE2ELNS0_4arch9wavefront6targetE0EE19radix_bits_per_passE@rel32@hi+12
	v_xor_b32_sdwa v18, v21, v4 dst_sel:BYTE_1 dst_unused:UNUSED_PAD src0_sel:DWORD src1_sel:DWORD
	v_xor_b32_sdwa v4, v19, v4 dst_sel:BYTE_1 dst_unused:UNUSED_PAD src0_sel:DWORD src1_sel:DWORD
	s_load_dword s23, s[4:5], 0x0
	v_add_nc_u32_e32 v9, 32, v16
	v_add_nc_u32_e32 v48, 36, v16
	v_or_b32_sdwa v5, v5, v18 dst_sel:DWORD dst_unused:UNUSED_PAD src0_sel:BYTE_0 src1_sel:DWORD
	v_or_b32_sdwa v4, v15, v4 dst_sel:WORD_1 dst_unused:UNUSED_PAD src0_sel:BYTE_0 src1_sel:DWORD
	v_add_nc_u32_e32 v49, 40, v16
	v_add_nc_u32_e32 v50, 44, v16
	;; [unrolled: 1-line block ×4, first 2 shown]
	v_or_b32_sdwa v64, v5, v4 dst_sel:DWORD dst_unused:UNUSED_PAD src0_sel:WORD_0 src1_sel:DWORD
	v_and_b32_e32 v4, 0x3e0, v14
	v_add_nc_u32_e32 v53, 56, v16
	v_add_nc_u32_e32 v54, 60, v16
	v_sub_co_u32 v16, s6, v30, 1
	v_and_b32_e32 v5, 15, v30
	v_min_u32_e32 v4, 0xe0, v4
	v_and_b32_e32 v15, 16, v30
	v_cmp_gt_i32_e64 s14, 0, v16
	v_lshrrev_b32_e32 v55, 5, v17
	v_cmp_eq_u32_e32 vcc_lo, 0, v5
	v_cmp_lt_u32_e64 s4, 1, v5
	v_cmp_lt_u32_e64 s5, 3, v5
	v_or_b32_e32 v4, 31, v4
	v_cmp_lt_u32_e64 s7, 7, v5
	v_cmp_eq_u32_e64 s10, 0, v15
	v_cndmask_b32_e64 v5, v16, v30, s14
	v_lshlrev_b32_e32 v15, 2, v14
	v_cmp_eq_u32_e64 s11, v14, v4
	v_lshrrev_b32_e32 v4, 3, v14
	v_cmp_gt_u32_e64 s14, 8, v14
	v_lshlrev_b32_e32 v65, 2, v5
	v_and_or_b32 v5, 0xf80, v15, v30
	v_cmp_lt_u32_e64 s15, 31, v14
	v_and_b32_e32 v4, 0x7c, v4
	v_cmp_eq_u32_e64 s16, 0, v14
	v_mov_b32_e32 v67, 0
	v_add_nc_u32_e32 v68, v12, v5
	v_mul_u32_u24_e32 v5, 7, v5
	v_add_nc_u32_e32 v66, v12, v4
	v_and_b32_e32 v4, 7, v30
	v_add_nc_u32_e32 v69, v12, v15
	v_add_nc_u32_e32 v80, 32, v68
	;; [unrolled: 1-line block ×3, first 2 shown]
	v_add_nc_u32_e32 v71, -4, v66
	v_cmp_eq_u32_e64 s17, 0, v4
	v_cmp_lt_u32_e64 s18, 1, v4
	v_cmp_lt_u32_e64 s19, 3, v4
	v_add_nc_u32_e32 v81, 64, v68
	v_add_nc_u32_e32 v82, 0x60, v68
	;; [unrolled: 1-line block ×5, first 2 shown]
	v_sub_nc_u32_e32 v86, v11, v10
	s_mov_b32 s24, 0
	s_waitcnt lgkmcnt(0)
	s_waitcnt_vscnt null, 0x0
	s_barrier
	buffer_gl0_inv
	s_branch .LBB91_279
.LBB91_278:                             ;   in Loop: Header=BB91_279 Depth=1
	s_or_b32 exec_lo, exec_lo, s21
	s_and_b32 s20, exec_lo, s26
	s_or_b32 s24, s20, s24
	s_andn2_b32 exec_lo, exec_lo, s24
	s_cbranch_execz .LBB91_309
.LBB91_279:                             ; =>This Inner Loop Header: Depth=1
	v_min_u32_e32 v4, s23, v86
	v_lshrrev_b32_sdwa v5, v10, v64 dst_sel:DWORD dst_unused:UNUSED_PAD src0_sel:DWORD src1_sel:BYTE_0
	v_mov_b32_e32 v15, v26
	v_mov_b32_e32 v16, v27
	ds_write_b32 v9, v67
	ds_write_b32 v48, v67
	v_lshlrev_b32_e64 v4, v4, -1
	ds_write_b32 v49, v67
	ds_write_b32 v50, v67
	;; [unrolled: 1-line block ×6, first 2 shown]
	v_not_b32_e32 v30, v4
	s_waitcnt lgkmcnt(0)
	s_barrier
	buffer_gl0_inv
	v_and_b32_e32 v31, v5, v30
	v_mov_b32_e32 v4, v28
	v_mov_b32_e32 v5, v29
	; wave barrier
	v_and_b32_e32 v18, 1, v31
	v_lshlrev_b32_e32 v19, 30, v31
	v_lshlrev_b32_e32 v20, 29, v31
	;; [unrolled: 1-line block ×4, first 2 shown]
	v_add_co_u32 v18, s20, v18, -1
	v_cndmask_b32_e64 v26, 0, 1, s20
	v_not_b32_e32 v32, v19
	v_cmp_gt_i32_e64 s21, 0, v19
	v_not_b32_e32 v19, v20
	v_lshlrev_b32_e32 v28, 26, v31
	v_cmp_ne_u32_e64 s20, 0, v26
	v_ashrrev_i32_e32 v32, 31, v32
	v_lshlrev_b32_e32 v29, 25, v31
	v_ashrrev_i32_e32 v19, 31, v19
	v_lshlrev_b32_e32 v26, 24, v31
	v_xor_b32_e32 v18, s20, v18
	v_cmp_gt_i32_e64 s20, 0, v20
	v_not_b32_e32 v20, v21
	v_xor_b32_e32 v32, s21, v32
	v_cmp_gt_i32_e64 s21, 0, v21
	v_and_b32_e32 v18, exec_lo, v18
	v_not_b32_e32 v21, v27
	v_ashrrev_i32_e32 v20, 31, v20
	v_xor_b32_e32 v19, s20, v19
	v_cmp_gt_i32_e64 s20, 0, v27
	v_and_b32_e32 v18, v18, v32
	v_not_b32_e32 v27, v28
	v_ashrrev_i32_e32 v21, 31, v21
	v_xor_b32_e32 v20, s21, v20
	v_cmp_gt_i32_e64 s21, 0, v28
	v_and_b32_e32 v18, v18, v19
	;; [unrolled: 5-line block ×4, first 2 shown]
	v_mov_b32_e32 v18, v22
	v_mov_b32_e32 v19, v23
	v_ashrrev_i32_e32 v22, 31, v20
	v_xor_b32_e32 v23, s20, v28
	v_and_b32_e32 v26, v21, v27
	v_mov_b32_e32 v20, v24
	v_mov_b32_e32 v21, v25
	v_xor_b32_e32 v22, s21, v22
	v_lshlrev_b32_e32 v25, 3, v31
	v_and_b32_e32 v23, v26, v23
	v_and_b32_e32 v24, v23, v22
	v_add_lshl_u32 v23, v25, v55, 2
	v_mbcnt_lo_u32_b32 v22, v24, 0
	v_add_co_u32 v23, null, v12, v23
	v_cmp_ne_u32_e64 s21, 0, v24
	v_cmp_eq_u32_e64 s20, 0, v22
	v_add_co_u32 v23, null, v23, 32
	s_and_b32 s21, s21, s20
	s_and_saveexec_b32 s20, s21
; %bb.280:                              ;   in Loop: Header=BB91_279 Depth=1
	v_bcnt_u32_b32 v24, v24, 0
	ds_write_b32 v23, v24
; %bb.281:                              ;   in Loop: Header=BB91_279 Depth=1
	s_or_b32 exec_lo, exec_lo, s20
	v_lshrrev_b32_sdwa v24, v10, v64 dst_sel:DWORD dst_unused:UNUSED_PAD src0_sel:DWORD src1_sel:BYTE_1
	; wave barrier
	v_and_b32_e32 v24, v24, v30
	v_and_b32_e32 v25, 1, v24
	v_lshlrev_b32_e32 v26, 30, v24
	v_lshlrev_b32_e32 v27, 29, v24
	v_lshlrev_b32_e32 v28, 28, v24
	v_lshlrev_b32_e32 v31, 27, v24
	v_add_co_u32 v25, s20, v25, -1
	v_cndmask_b32_e64 v29, 0, 1, s20
	v_not_b32_e32 v34, v26
	v_cmp_gt_i32_e64 s21, 0, v26
	v_not_b32_e32 v26, v27
	v_lshlrev_b32_e32 v32, 26, v24
	v_cmp_ne_u32_e64 s20, 0, v29
	v_ashrrev_i32_e32 v34, 31, v34
	v_lshlrev_b32_e32 v33, 25, v24
	v_ashrrev_i32_e32 v26, 31, v26
	v_lshlrev_b32_e32 v29, 24, v24
	v_xor_b32_e32 v25, s20, v25
	v_cmp_gt_i32_e64 s20, 0, v27
	v_not_b32_e32 v27, v28
	v_xor_b32_e32 v34, s21, v34
	v_cmp_gt_i32_e64 s21, 0, v28
	v_and_b32_e32 v25, exec_lo, v25
	v_not_b32_e32 v28, v31
	v_ashrrev_i32_e32 v27, 31, v27
	v_xor_b32_e32 v26, s20, v26
	v_cmp_gt_i32_e64 s20, 0, v31
	v_and_b32_e32 v25, v25, v34
	v_not_b32_e32 v31, v32
	v_ashrrev_i32_e32 v28, 31, v28
	v_xor_b32_e32 v27, s21, v27
	v_cmp_gt_i32_e64 s21, 0, v32
	v_and_b32_e32 v25, v25, v26
	;; [unrolled: 5-line block ×3, first 2 shown]
	v_not_b32_e32 v27, v29
	v_ashrrev_i32_e32 v26, 31, v26
	v_xor_b32_e32 v31, s21, v31
	v_lshl_add_u32 v24, v24, 3, v55
	v_and_b32_e32 v25, v25, v28
	v_cmp_gt_i32_e64 s21, 0, v29
	v_ashrrev_i32_e32 v27, 31, v27
	v_xor_b32_e32 v26, s20, v26
	v_lshl_add_u32 v28, v24, 2, v12
	v_and_b32_e32 v25, v25, v31
	v_xor_b32_e32 v27, s21, v27
	ds_read_b32 v24, v28 offset:32
	v_and_b32_e32 v25, v25, v26
	v_add_nc_u32_e32 v26, 32, v28
	; wave barrier
	v_and_b32_e32 v27, v25, v27
	v_mbcnt_lo_u32_b32 v25, v27, 0
	v_cmp_ne_u32_e64 s21, 0, v27
	v_cmp_eq_u32_e64 s20, 0, v25
	s_and_b32 s21, s21, s20
	s_and_saveexec_b32 s20, s21
	s_cbranch_execz .LBB91_283
; %bb.282:                              ;   in Loop: Header=BB91_279 Depth=1
	s_waitcnt lgkmcnt(0)
	v_bcnt_u32_b32 v27, v27, v24
	ds_write_b32 v26, v27
.LBB91_283:                             ;   in Loop: Header=BB91_279 Depth=1
	s_or_b32 exec_lo, exec_lo, s20
	v_lshrrev_b32_sdwa v27, v10, v64 dst_sel:DWORD dst_unused:UNUSED_PAD src0_sel:DWORD src1_sel:BYTE_2
	; wave barrier
	v_and_b32_e32 v27, v27, v30
	v_and_b32_e32 v28, 1, v27
	v_lshlrev_b32_e32 v29, 30, v27
	v_lshlrev_b32_e32 v31, 29, v27
	;; [unrolled: 1-line block ×4, first 2 shown]
	v_add_co_u32 v28, s20, v28, -1
	v_cndmask_b32_e64 v33, 0, 1, s20
	v_not_b32_e32 v37, v29
	v_cmp_gt_i32_e64 s21, 0, v29
	v_not_b32_e32 v29, v31
	v_lshlrev_b32_e32 v35, 26, v27
	v_cmp_ne_u32_e64 s20, 0, v33
	v_ashrrev_i32_e32 v37, 31, v37
	v_lshlrev_b32_e32 v36, 25, v27
	v_ashrrev_i32_e32 v29, 31, v29
	v_lshlrev_b32_e32 v33, 24, v27
	v_xor_b32_e32 v28, s20, v28
	v_cmp_gt_i32_e64 s20, 0, v31
	v_not_b32_e32 v31, v32
	v_xor_b32_e32 v37, s21, v37
	v_cmp_gt_i32_e64 s21, 0, v32
	v_and_b32_e32 v28, exec_lo, v28
	v_not_b32_e32 v32, v34
	v_ashrrev_i32_e32 v31, 31, v31
	v_xor_b32_e32 v29, s20, v29
	v_cmp_gt_i32_e64 s20, 0, v34
	v_and_b32_e32 v28, v28, v37
	v_not_b32_e32 v34, v35
	v_ashrrev_i32_e32 v32, 31, v32
	v_xor_b32_e32 v31, s21, v31
	v_cmp_gt_i32_e64 s21, 0, v35
	v_and_b32_e32 v28, v28, v29
	;; [unrolled: 5-line block ×3, first 2 shown]
	v_not_b32_e32 v31, v33
	v_ashrrev_i32_e32 v29, 31, v29
	v_xor_b32_e32 v34, s21, v34
	v_lshl_add_u32 v27, v27, 3, v55
	v_and_b32_e32 v28, v28, v32
	v_cmp_gt_i32_e64 s21, 0, v33
	v_ashrrev_i32_e32 v31, 31, v31
	v_xor_b32_e32 v29, s20, v29
	v_lshl_add_u32 v32, v27, 2, v12
	v_and_b32_e32 v28, v28, v34
	v_xor_b32_e32 v31, s21, v31
	ds_read_b32 v27, v32 offset:32
	v_and_b32_e32 v28, v28, v29
	v_add_nc_u32_e32 v29, 32, v32
	; wave barrier
	v_and_b32_e32 v31, v28, v31
	v_mbcnt_lo_u32_b32 v28, v31, 0
	v_cmp_ne_u32_e64 s21, 0, v31
	v_cmp_eq_u32_e64 s20, 0, v28
	s_and_b32 s21, s21, s20
	s_and_saveexec_b32 s20, s21
	s_cbranch_execz .LBB91_285
; %bb.284:                              ;   in Loop: Header=BB91_279 Depth=1
	s_waitcnt lgkmcnt(0)
	v_bcnt_u32_b32 v31, v31, v27
	ds_write_b32 v29, v31
.LBB91_285:                             ;   in Loop: Header=BB91_279 Depth=1
	s_or_b32 exec_lo, exec_lo, s20
	v_lshrrev_b32_e32 v87, 24, v64
	; wave barrier
	v_lshrrev_b32_e32 v31, v10, v87
	v_and_b32_e32 v30, v31, v30
	v_and_b32_e32 v31, 1, v30
	v_lshlrev_b32_e32 v32, 30, v30
	v_lshlrev_b32_e32 v33, 29, v30
	;; [unrolled: 1-line block ×4, first 2 shown]
	v_add_co_u32 v31, s20, v31, -1
	v_cndmask_b32_e64 v35, 0, 1, s20
	v_not_b32_e32 v39, v32
	v_cmp_gt_i32_e64 s21, 0, v32
	v_not_b32_e32 v32, v33
	v_lshlrev_b32_e32 v37, 26, v30
	v_cmp_ne_u32_e64 s20, 0, v35
	v_ashrrev_i32_e32 v39, 31, v39
	v_lshlrev_b32_e32 v38, 25, v30
	v_ashrrev_i32_e32 v32, 31, v32
	v_lshlrev_b32_e32 v35, 24, v30
	v_xor_b32_e32 v31, s20, v31
	v_cmp_gt_i32_e64 s20, 0, v33
	v_not_b32_e32 v33, v34
	v_xor_b32_e32 v39, s21, v39
	v_cmp_gt_i32_e64 s21, 0, v34
	v_and_b32_e32 v31, exec_lo, v31
	v_not_b32_e32 v34, v36
	v_ashrrev_i32_e32 v33, 31, v33
	v_xor_b32_e32 v32, s20, v32
	v_cmp_gt_i32_e64 s20, 0, v36
	v_and_b32_e32 v31, v31, v39
	v_not_b32_e32 v36, v37
	v_ashrrev_i32_e32 v34, 31, v34
	v_xor_b32_e32 v33, s21, v33
	v_cmp_gt_i32_e64 s21, 0, v37
	v_and_b32_e32 v31, v31, v32
	;; [unrolled: 5-line block ×3, first 2 shown]
	v_not_b32_e32 v33, v35
	v_ashrrev_i32_e32 v32, 31, v32
	v_xor_b32_e32 v36, s21, v36
	v_lshl_add_u32 v30, v30, 3, v55
	v_and_b32_e32 v31, v31, v34
	v_cmp_gt_i32_e64 s21, 0, v35
	v_ashrrev_i32_e32 v33, 31, v33
	v_xor_b32_e32 v32, s20, v32
	v_lshl_add_u32 v34, v30, 2, v12
	v_and_b32_e32 v31, v31, v36
	v_xor_b32_e32 v33, s21, v33
	ds_read_b32 v30, v34 offset:32
	v_and_b32_e32 v31, v31, v32
	v_add_nc_u32_e32 v32, 32, v34
	; wave barrier
	v_and_b32_e32 v33, v31, v33
	v_mbcnt_lo_u32_b32 v31, v33, 0
	v_cmp_ne_u32_e64 s21, 0, v33
	v_cmp_eq_u32_e64 s20, 0, v31
	s_and_b32 s21, s21, s20
	s_and_saveexec_b32 s20, s21
	s_cbranch_execz .LBB91_287
; %bb.286:                              ;   in Loop: Header=BB91_279 Depth=1
	s_waitcnt lgkmcnt(0)
	v_bcnt_u32_b32 v33, v33, v30
	ds_write_b32 v32, v33
.LBB91_287:                             ;   in Loop: Header=BB91_279 Depth=1
	s_or_b32 exec_lo, exec_lo, s20
	; wave barrier
	s_waitcnt lgkmcnt(0)
	s_barrier
	buffer_gl0_inv
	ds_read_b32 v34, v9
	ds_read_b32 v35, v48
	;; [unrolled: 1-line block ×8, first 2 shown]
	s_waitcnt lgkmcnt(6)
	v_add_nc_u32_e32 v97, v35, v34
	s_waitcnt lgkmcnt(4)
	v_add3_u32 v97, v97, v36, v37
	s_waitcnt lgkmcnt(2)
	v_add3_u32 v97, v97, v38, v39
	s_waitcnt lgkmcnt(0)
	v_add3_u32 v96, v97, v33, v96
	v_mov_b32_dpp v97, v96 row_shr:1 row_mask:0xf bank_mask:0xf
	v_cndmask_b32_e64 v97, v97, 0, vcc_lo
	v_add_nc_u32_e32 v96, v97, v96
	v_mov_b32_dpp v97, v96 row_shr:2 row_mask:0xf bank_mask:0xf
	v_cndmask_b32_e64 v97, 0, v97, s4
	v_add_nc_u32_e32 v96, v96, v97
	v_mov_b32_dpp v97, v96 row_shr:4 row_mask:0xf bank_mask:0xf
	v_cndmask_b32_e64 v97, 0, v97, s5
	;; [unrolled: 3-line block ×3, first 2 shown]
	v_add_nc_u32_e32 v96, v96, v97
	ds_swizzle_b32 v97, v96 offset:swizzle(BROADCAST,32,15)
	s_waitcnt lgkmcnt(0)
	v_cndmask_b32_e64 v97, v97, 0, s10
	v_add_nc_u32_e32 v96, v96, v97
	s_and_saveexec_b32 s20, s11
; %bb.288:                              ;   in Loop: Header=BB91_279 Depth=1
	ds_write_b32 v66, v96
; %bb.289:                              ;   in Loop: Header=BB91_279 Depth=1
	s_or_b32 exec_lo, exec_lo, s20
	s_waitcnt lgkmcnt(0)
	s_barrier
	buffer_gl0_inv
	s_and_saveexec_b32 s20, s14
	s_cbranch_execz .LBB91_291
; %bb.290:                              ;   in Loop: Header=BB91_279 Depth=1
	ds_read_b32 v97, v69
	s_waitcnt lgkmcnt(0)
	v_mov_b32_dpp v98, v97 row_shr:1 row_mask:0xf bank_mask:0xf
	v_cndmask_b32_e64 v98, v98, 0, s17
	v_add_nc_u32_e32 v97, v98, v97
	v_mov_b32_dpp v98, v97 row_shr:2 row_mask:0xf bank_mask:0xf
	v_cndmask_b32_e64 v98, 0, v98, s18
	v_add_nc_u32_e32 v97, v97, v98
	;; [unrolled: 3-line block ×3, first 2 shown]
	ds_write_b32 v69, v97
.LBB91_291:                             ;   in Loop: Header=BB91_279 Depth=1
	s_or_b32 exec_lo, exec_lo, s20
	v_mov_b32_e32 v97, 0
	s_waitcnt lgkmcnt(0)
	s_barrier
	buffer_gl0_inv
	s_and_saveexec_b32 s20, s15
; %bb.292:                              ;   in Loop: Header=BB91_279 Depth=1
	ds_read_b32 v97, v71
; %bb.293:                              ;   in Loop: Header=BB91_279 Depth=1
	s_or_b32 exec_lo, exec_lo, s20
	s_waitcnt lgkmcnt(0)
	v_add_nc_u32_e32 v96, v97, v96
	v_add_nc_u32_e32 v10, 8, v10
	v_mov_b32_e32 v99, v64
	v_lshrrev_b32_e32 v100, 8, v64
	v_lshrrev_b32_e32 v101, 16, v64
	ds_bpermute_b32 v96, v65, v96
	s_mov_b32 s26, -1
	s_waitcnt lgkmcnt(0)
	v_cndmask_b32_e64 v96, v96, v97, s6
	v_cndmask_b32_e64 v96, v96, 0, s16
	v_add_nc_u32_e32 v34, v96, v34
	v_add_nc_u32_e32 v35, v34, v35
	ds_write_b32 v9, v96
	ds_write_b32 v48, v34
	;; [unrolled: 1-line block ×3, first 2 shown]
	v_add_nc_u32_e32 v36, v35, v36
	v_add_nc_u32_e32 v37, v36, v37
	;; [unrolled: 1-line block ×5, first 2 shown]
	ds_write_b32 v50, v36
	ds_write_b32 v51, v37
	;; [unrolled: 1-line block ×5, first 2 shown]
	s_waitcnt lgkmcnt(0)
	s_barrier
	buffer_gl0_inv
	ds_read_b32 v23, v23
	ds_read_b32 v26, v26
	;; [unrolled: 1-line block ×4, first 2 shown]
	s_waitcnt lgkmcnt(0)
	v_add_nc_u32_e32 v22, v23, v22
	v_add3_u32 v98, v25, v24, v26
	v_add3_u32 v97, v28, v27, v29
	;; [unrolled: 1-line block ×3, first 2 shown]
                                        ; implicit-def: $vgpr26_vgpr27
                                        ; implicit-def: $vgpr28_vgpr29
                                        ; implicit-def: $vgpr24_vgpr25
	v_add_co_u32 v38, s21, v12, v22
	v_add_co_ci_u32_e64 v39, null, 0, v13, s21
	v_add_co_u32 v30, s21, v12, v98
	v_add_co_ci_u32_e64 v31, null, 0, v13, s21
	v_add_co_u32 v34, s21, v12, v97
	v_mad_u64_u32 v[32:33], null, v22, 7, v[38:39]
	v_add_co_ci_u32_e64 v35, null, 0, v13, s21
	v_add_co_u32 v36, s21, v12, v96
	v_add_co_ci_u32_e64 v37, null, 0, v13, s21
	s_mov_b32 s21, exec_lo
                                        ; implicit-def: $vgpr22_vgpr23
	v_cmpx_lt_u32_e64 v10, v11
	s_cbranch_execz .LBB91_278
; %bb.294:                              ;   in Loop: Header=BB91_279 Depth=1
	s_barrier
	buffer_gl0_inv
	ds_write_b8 v38, v64
	ds_write_b8 v30, v100
	;; [unrolled: 1-line block ×4, first 2 shown]
	s_waitcnt lgkmcnt(0)
	s_barrier
	buffer_gl0_inv
	ds_read_u8 v33, v80
	ds_read_u8 v39, v68
	;; [unrolled: 1-line block ×4, first 2 shown]
	v_mad_u64_u32 v[22:23], null, v98, 7, v[30:31]
	v_mad_u64_u32 v[23:24], null, v97, 7, v[34:35]
	;; [unrolled: 1-line block ×3, first 2 shown]
	s_waitcnt lgkmcnt(0)
	s_barrier
	buffer_gl0_inv
	ds_write_b64 v32, v[15:16]
	ds_write_b64 v22, v[4:5]
	;; [unrolled: 1-line block ×4, first 2 shown]
	s_waitcnt lgkmcnt(0)
	s_barrier
	buffer_gl0_inv
	ds_read_b64 v[26:27], v70
	ds_read_b64 v[28:29], v83
	ds_read_b64 v[22:23], v84
	ds_read_b64 v[24:25], v85
	v_add_nc_u32_e32 v86, -8, v86
	s_xor_b32 s26, exec_lo, -1
	s_waitcnt lgkmcnt(0)
	v_perm_b32 v33, v39, v33, 0xc0c0004
	s_barrier
	v_perm_b32 v39, v102, v64, 0xc0c0004
	buffer_gl0_inv
	v_lshl_or_b32 v64, v39, 16, v33
	s_branch .LBB91_278
.LBB91_295:
	flat_load_dwordx2 v[34:35], v[4:5]
	s_or_b32 exec_lo, exec_lo, s15
                                        ; implicit-def: $vgpr38_vgpr39
	s_and_saveexec_b32 s15, s4
	s_cbranch_execz .LBB91_171
.LBB91_296:
	flat_load_dwordx2 v[38:39], v[4:5] offset:256
	s_or_b32 exec_lo, exec_lo, s15
                                        ; implicit-def: $vgpr48_vgpr49
	s_and_saveexec_b32 s4, s5
	s_cbranch_execz .LBB91_172
.LBB91_297:
	flat_load_dwordx2 v[48:49], v[4:5] offset:512
	s_or_b32 exec_lo, exec_lo, s4
                                        ; implicit-def: $vgpr50_vgpr51
	s_and_saveexec_b32 s4, s6
	s_cbranch_execz .LBB91_173
.LBB91_298:
	flat_load_dwordx2 v[50:51], v[4:5] offset:768
	s_or_b32 exec_lo, exec_lo, s4
                                        ; implicit-def: $vgpr52_vgpr53
	s_and_saveexec_b32 s4, s7
	s_cbranch_execz .LBB91_174
.LBB91_299:
	flat_load_dwordx2 v[52:53], v[4:5] offset:1024
	s_or_b32 exec_lo, exec_lo, s4
                                        ; implicit-def: $vgpr54_vgpr55
	s_and_saveexec_b32 s4, s10
	s_cbranch_execz .LBB91_175
.LBB91_300:
	flat_load_dwordx2 v[54:55], v[4:5] offset:1280
	s_or_b32 exec_lo, exec_lo, s4
                                        ; implicit-def: $vgpr32_vgpr33
	s_and_saveexec_b32 s4, s11
	s_cbranch_execz .LBB91_176
.LBB91_301:
	flat_load_dwordx2 v[32:33], v[4:5] offset:1536
	s_or_b32 exec_lo, exec_lo, s4
                                        ; implicit-def: $vgpr36_vgpr37
	s_and_saveexec_b32 s4, s14
	s_cbranch_execnz .LBB91_177
	s_branch .LBB91_178
.LBB91_302:
	flat_store_dwordx2 v[0:1], v[21:22]
	s_or_b32 exec_lo, exec_lo, s15
	s_and_saveexec_b32 s15, s14
	s_cbranch_execz .LBB91_254
.LBB91_303:
	v_add_co_u32 v2, vcc_lo, 0x800, v0
	v_add_co_ci_u32_e64 v3, null, 0, v1, vcc_lo
	flat_store_dwordx2 v[2:3], v[23:24]
	s_or_b32 exec_lo, exec_lo, s15
	s_and_saveexec_b32 s14, s11
	s_cbranch_execz .LBB91_255
.LBB91_304:
	v_add_co_u32 v2, vcc_lo, 0x1000, v0
	v_add_co_ci_u32_e64 v3, null, 0, v1, vcc_lo
	flat_store_dwordx2 v[2:3], v[17:18]
	s_or_b32 exec_lo, exec_lo, s14
	s_and_saveexec_b32 s11, s10
	s_cbranch_execz .LBB91_256
.LBB91_305:
	v_add_co_u32 v2, vcc_lo, 0x1800, v0
	v_add_co_ci_u32_e64 v3, null, 0, v1, vcc_lo
	flat_store_dwordx2 v[2:3], v[19:20]
	s_or_b32 exec_lo, exec_lo, s11
	s_and_saveexec_b32 s10, s7
	s_cbranch_execz .LBB91_257
.LBB91_306:
	v_add_co_u32 v2, vcc_lo, 0x2000, v0
	v_add_co_ci_u32_e64 v3, null, 0, v1, vcc_lo
	flat_store_dwordx2 v[2:3], v[13:14]
	s_or_b32 exec_lo, exec_lo, s10
	s_and_saveexec_b32 s7, s6
	s_cbranch_execz .LBB91_258
.LBB91_307:
	v_add_co_u32 v2, vcc_lo, 0x2800, v0
	v_add_co_ci_u32_e64 v3, null, 0, v1, vcc_lo
	flat_store_dwordx2 v[2:3], v[15:16]
	s_or_b32 exec_lo, exec_lo, s7
	s_and_saveexec_b32 s6, s5
	s_cbranch_execz .LBB91_259
.LBB91_308:
	v_add_co_u32 v2, vcc_lo, 0x3000, v0
	v_add_co_ci_u32_e64 v3, null, 0, v1, vcc_lo
	flat_store_dwordx2 v[2:3], v[9:10]
	s_or_b32 exec_lo, exec_lo, s6
	s_and_saveexec_b32 s5, s4
	s_cbranch_execnz .LBB91_260
	s_branch .LBB91_261
.LBB91_309:
	s_or_b32 exec_lo, exec_lo, s24
	v_mad_u64_u32 v[9:10], null, v98, 7, v[30:31]
	v_mad_u64_u32 v[10:11], null, v97, 7, v[34:35]
	v_add_nc_u32_e32 v13, v12, v14
	v_mad_u64_u32 v[11:12], null, v96, 7, v[36:37]
	v_mul_u32_u24_e32 v12, 7, v14
	s_barrier
	buffer_gl0_inv
	ds_write_b8 v38, v99
	ds_write_b8 v30, v100
	;; [unrolled: 1-line block ×4, first 2 shown]
	s_waitcnt lgkmcnt(0)
	s_barrier
	buffer_gl0_inv
	ds_read_u8 v25, v13
	ds_read_u8 v24, v13 offset:256
	ds_read_u8 v23, v13 offset:512
	;; [unrolled: 1-line block ×3, first 2 shown]
	s_waitcnt lgkmcnt(0)
	s_barrier
	buffer_gl0_inv
	ds_write_b64 v32, v[15:16]
	ds_write_b64 v9, v[4:5]
	;; [unrolled: 1-line block ×3, first 2 shown]
	v_add_nc_u32_e32 v4, v13, v12
	ds_write_b64 v11, v[20:21]
	s_waitcnt lgkmcnt(0)
	s_barrier
	buffer_gl0_inv
	ds_read2st64_b64 v[13:16], v4 offset1:4
	ds_read2st64_b64 v[9:12], v4 offset0:8 offset1:12
	v_add_co_u32 v2, vcc_lo, v2, v8
	v_add_co_ci_u32_e64 v3, null, 0, v3, vcc_lo
	v_mov_b32_e32 v18, 0
	v_add_co_u32 v2, vcc_lo, v2, v17
	v_add_co_ci_u32_e64 v3, null, 0, v3, vcc_lo
	v_cmp_lt_u32_e32 vcc_lo, v17, v226
	s_waitcnt lgkmcnt(0)
	s_barrier
	buffer_gl0_inv
	s_and_saveexec_b32 s4, vcc_lo
	s_cbranch_execz .LBB91_311
; %bb.310:
	v_xor_b32_e32 v4, -1, v25
	flat_store_byte v[2:3], v4
.LBB91_311:
	s_or_b32 exec_lo, exec_lo, s4
	v_add_nc_u32_e32 v4, 0x100, v17
	v_cmp_lt_u32_e64 s6, v4, v226
	s_and_saveexec_b32 s4, s6
	s_cbranch_execz .LBB91_313
; %bb.312:
	v_xor_b32_e32 v4, -1, v24
	flat_store_byte v[2:3], v4 offset:256
.LBB91_313:
	s_or_b32 exec_lo, exec_lo, s4
	v_add_nc_u32_e32 v4, 0x200, v17
	v_cmp_lt_u32_e64 s5, v4, v226
	s_and_saveexec_b32 s4, s5
	s_cbranch_execz .LBB91_315
; %bb.314:
	v_xor_b32_e32 v4, -1, v23
	flat_store_byte v[2:3], v4 offset:512
.LBB91_315:
	;; [unrolled: 9-line block ×3, first 2 shown]
	s_or_b32 exec_lo, exec_lo, s7
	v_lshlrev_b64 v[2:3], 3, v[17:18]
	v_add_co_u32 v0, s7, v6, v0
	v_add_co_ci_u32_e64 v1, null, v7, v1, s7
	v_add_co_u32 v0, s7, v0, v2
	v_add_co_ci_u32_e64 v1, null, v1, v3, s7
	s_and_saveexec_b32 s7, vcc_lo
	s_cbranch_execnz .LBB91_350
; %bb.318:
	s_or_b32 exec_lo, exec_lo, s7
	s_and_saveexec_b32 s7, s6
	s_cbranch_execnz .LBB91_351
.LBB91_319:
	s_or_b32 exec_lo, exec_lo, s7
	s_and_saveexec_b32 s6, s5
	s_cbranch_execnz .LBB91_352
.LBB91_320:
	s_or_b32 exec_lo, exec_lo, s6
	s_and_saveexec_b32 s5, s4
	s_cbranch_execz .LBB91_322
.LBB91_321:
	v_add_co_u32 v0, vcc_lo, 0x1800, v0
	v_add_co_ci_u32_e64 v1, null, 0, v1, vcc_lo
	flat_store_dwordx2 v[0:1], v[11:12]
.LBB91_322:
	s_or_b32 exec_lo, exec_lo, s5
                                        ; implicit-def: $vgpr226
                                        ; implicit-def: $vgpr0
                                        ; implicit-def: $vgpr1
                                        ; implicit-def: $vgpr2
                                        ; implicit-def: $vgpr3
                                        ; implicit-def: $vgpr4
                                        ; implicit-def: $vgpr5
                                        ; implicit-def: $vgpr6
                                        ; implicit-def: $vgpr7
                                        ; implicit-def: $vgpr8
                                        ; implicit-def: $vgpr10
                                        ; implicit-def: $vgpr11
                                        ; implicit-def: $vgpr12
                                        ; implicit-def: $vgpr13
                                        ; implicit-def: $vgpr15
                                        ; implicit-def: $vgpr16
                                        ; implicit-def: $vgpr14
                                        ; implicit-def: $vgpr30
.LBB91_323:
	s_andn2_saveexec_b32 s4, s22
	s_cbranch_execz .LBB91_382
; %bb.324:
	s_load_dwordx2 s[4:5], s[8:9], 0x0
	v_mov_b32_e32 v9, 0
	s_waitcnt lgkmcnt(0)
	s_cmp_lt_u32 s13, s5
	s_cselect_b32 s5, 14, 20
	s_add_u32 s6, s8, s5
	s_addc_u32 s7, s9, 0
	s_cmp_lt_u32 s12, s4
	global_load_ushort v17, v9, s[6:7]
	s_cselect_b32 s4, 12, 18
	s_add_u32 s4, s8, s4
	s_addc_u32 s5, s9, 0
	global_load_ushort v18, v9, s[4:5]
	s_mov_b32 s4, exec_lo
	s_waitcnt vmcnt(1)
	v_mad_u32_u24 v15, v16, v17, v15
	s_waitcnt vmcnt(0)
	v_mad_u64_u32 v[15:16], null, v15, v18, v[14:15]
	v_cmpx_lt_u32_e32 0x100, v226
	s_xor_b32 s18, exec_lo, s4
	s_cbranch_execz .LBB91_362
; %bb.325:
	v_lshlrev_b32_e32 v16, 1, v15
	v_add_co_u32 v0, vcc_lo, v0, v8
	v_add_co_ci_u32_e64 v1, null, 0, v1, vcc_lo
	v_and_b32_e32 v16, 0xffffffc0, v16
	v_add_co_u32 v0, vcc_lo, v0, v30
	v_add_co_ci_u32_e64 v1, null, 0, v1, vcc_lo
	v_or_b32_e32 v18, v30, v16
	v_add_co_u32 v0, vcc_lo, v0, v16
	v_mov_b32_e32 v17, v9
	v_add_co_ci_u32_e64 v1, null, 0, v1, vcc_lo
	v_cmp_lt_u32_e32 vcc_lo, v18, v226
	v_mov_b32_e32 v22, v9
	s_and_saveexec_b32 s4, vcc_lo
	s_cbranch_execz .LBB91_327
; %bb.326:
	flat_load_ubyte v22, v[0:1]
.LBB91_327:
	s_or_b32 exec_lo, exec_lo, s4
	v_or_b32_e32 v18, 32, v18
	v_mov_b32_e32 v23, v9
	v_cmp_lt_u32_e64 s4, v18, v226
	s_and_saveexec_b32 s5, s4
	s_cbranch_execz .LBB91_329
; %bb.328:
	flat_load_ubyte v23, v[0:1] offset:32
.LBB91_329:
	s_or_b32 exec_lo, exec_lo, s5
	v_lshlrev_b64 v[0:1], 3, v[8:9]
	v_lshlrev_b32_e32 v9, 3, v30
	v_lshlrev_b64 v[16:17], 3, v[16:17]
	v_mov_b32_e32 v20, 0
	v_mov_b32_e32 v18, 0
	v_mov_b32_e32 v21, 0
	v_add_co_u32 v4, s5, v4, v0
	v_add_co_ci_u32_e64 v5, null, v5, v1, s5
	v_mov_b32_e32 v19, 0
	v_add_co_u32 v4, s5, v4, v9
	v_add_co_ci_u32_e64 v5, null, 0, v5, s5
	v_add_co_u32 v4, s5, v4, v16
	v_add_co_ci_u32_e64 v5, null, v5, v17, s5
	s_and_saveexec_b32 s5, vcc_lo
	s_cbranch_execz .LBB91_331
; %bb.330:
	flat_load_dwordx2 v[18:19], v[4:5]
.LBB91_331:
	s_or_b32 exec_lo, exec_lo, s5
	s_and_saveexec_b32 s5, s4
	s_cbranch_execz .LBB91_333
; %bb.332:
	flat_load_dwordx2 v[20:21], v[4:5] offset:256
.LBB91_333:
	s_or_b32 exec_lo, exec_lo, s5
	v_mov_b32_e32 v4, -1
	s_waitcnt vmcnt(0) lgkmcnt(0)
	v_xor_b32_e32 v5, -1, v22
	v_and_b32_e32 v22, 0x3e0, v14
	v_lshl_add_u32 v16, v14, 5, v12
	s_getpc_b64 s[4:5]
	s_add_u32 s4, s4, _ZN7rocprim17ROCPRIM_400000_NS16block_radix_sortIhLj256ELj2ElLj1ELj1ELj8ELNS0_26block_radix_rank_algorithmE2ELNS0_18block_padding_hintE2ELNS0_4arch9wavefront6targetE0EE19radix_bits_per_passE@rel32@lo+4
	s_addc_u32 s5, s5, _ZN7rocprim17ROCPRIM_400000_NS16block_radix_sortIhLj256ELj2ElLj1ELj1ELj8ELNS0_26block_radix_rank_algorithmE2ELNS0_18block_padding_hintE2ELNS0_4arch9wavefront6targetE0EE19radix_bits_per_passE@rel32@hi+12
	v_xor_b32_sdwa v4, v23, v4 dst_sel:BYTE_1 dst_unused:UNUSED_PAD src0_sel:DWORD src1_sel:DWORD
	s_load_dword s19, s[4:5], 0x0
	v_and_b32_e32 v17, 15, v30
	v_add_nc_u32_e32 v9, 32, v16
	v_add_nc_u32_e32 v31, 36, v16
	v_or_b32_sdwa v4, v5, v4 dst_sel:DWORD dst_unused:UNUSED_PAD src0_sel:BYTE_0 src1_sel:DWORD
	v_add_nc_u32_e32 v32, 40, v16
	v_add_nc_u32_e32 v33, 44, v16
	;; [unrolled: 1-line block ×4, first 2 shown]
	v_and_b32_e32 v39, 0xffff, v4
	v_min_u32_e32 v4, 0xe0, v22
	v_add_nc_u32_e32 v36, 56, v16
	v_add_nc_u32_e32 v37, 60, v16
	v_sub_co_u32 v16, s6, v30, 1
	v_or_b32_e32 v4, 31, v4
	v_and_b32_e32 v5, 16, v30
	v_lshrrev_b32_e32 v38, 5, v15
	v_cmp_gt_i32_e64 s10, 0, v16
	v_cmp_lt_u32_e64 s4, 1, v17
	v_cmp_eq_u32_e64 s9, v14, v4
	v_lshlrev_b32_e32 v4, 1, v14
	v_cmp_eq_u32_e64 s8, 0, v5
	v_cndmask_b32_e64 v5, v16, v30, s10
	v_lshrrev_b32_e32 v16, 3, v14
	v_cmp_lt_u32_e64 s5, 3, v17
	v_and_or_b32 v4, 0x7c0, v4, v30
	v_cmp_lt_u32_e64 s7, 7, v17
	v_lshlrev_b32_e32 v48, 2, v5
	v_and_b32_e32 v5, 0x7c, v16
	v_and_b32_e32 v16, 7, v30
	v_add_nc_u32_e32 v30, v12, v4
	v_mul_u32_u24_e32 v4, 7, v4
	v_cmp_gt_u32_e64 s10, 8, v14
	v_add_nc_u32_e32 v49, v12, v5
	v_cmp_lt_u32_e64 s11, 31, v14
	v_cmp_eq_u32_e64 s12, 0, v14
	v_add_nc_u32_e32 v52, v30, v4
	v_mov_b32_e32 v50, 0
	v_lshl_add_u32 v51, v14, 2, v12
	v_cmp_eq_u32_e64 s13, 0, v16
	v_cmp_lt_u32_e64 s14, 1, v16
	v_cmp_lt_u32_e64 s15, 3, v16
	v_add_nc_u32_e32 v53, -4, v49
	v_add_nc_u32_e32 v54, 32, v30
	v_add_nc_u32_e32 v55, 0x100, v52
	v_sub_nc_u32_e32 v64, v11, v10
	s_mov_b32 s20, 0
	v_cmp_eq_u32_e32 vcc_lo, 0, v17
	s_waitcnt lgkmcnt(0)
	s_waitcnt_vscnt null, 0x0
	s_barrier
	buffer_gl0_inv
	s_branch .LBB91_335
.LBB91_334:                             ;   in Loop: Header=BB91_335 Depth=1
	s_or_b32 exec_lo, exec_lo, s17
	s_and_b32 s16, exec_lo, s21
	s_or_b32 s20, s16, s20
	s_andn2_b32 exec_lo, exec_lo, s20
	s_cbranch_execz .LBB91_353
.LBB91_335:                             ; =>This Inner Loop Header: Depth=1
	v_min_u32_e32 v4, s19, v64
	v_lshrrev_b32_sdwa v5, v10, v39 dst_sel:DWORD dst_unused:UNUSED_PAD src0_sel:DWORD src1_sel:BYTE_0
	ds_write_b32 v9, v50
	ds_write_b32 v31, v50
	;; [unrolled: 1-line block ×5, first 2 shown]
	v_lshlrev_b32_e64 v4, v4, -1
	ds_write_b32 v35, v50
	ds_write_b32 v36, v50
	;; [unrolled: 1-line block ×3, first 2 shown]
	s_waitcnt lgkmcnt(0)
	s_barrier
	v_not_b32_e32 v22, v4
	buffer_gl0_inv
	; wave barrier
	v_and_b32_e32 v23, v5, v22
	v_and_b32_e32 v4, 1, v23
	v_lshlrev_b32_e32 v5, 30, v23
	v_lshlrev_b32_e32 v16, 29, v23
	;; [unrolled: 1-line block ×4, first 2 shown]
	v_add_co_u32 v4, s16, v4, -1
	v_cndmask_b32_e64 v24, 0, 1, s16
	v_not_b32_e32 v28, v5
	v_cmp_gt_i32_e64 s17, 0, v5
	v_not_b32_e32 v5, v16
	v_lshlrev_b32_e32 v26, 26, v23
	v_cmp_ne_u32_e64 s16, 0, v24
	v_ashrrev_i32_e32 v28, 31, v28
	v_lshlrev_b32_e32 v27, 25, v23
	v_ashrrev_i32_e32 v5, 31, v5
	v_lshlrev_b32_e32 v24, 24, v23
	v_xor_b32_e32 v4, s16, v4
	v_cmp_gt_i32_e64 s16, 0, v16
	v_not_b32_e32 v16, v17
	v_xor_b32_e32 v28, s17, v28
	v_cmp_gt_i32_e64 s17, 0, v17
	v_and_b32_e32 v4, exec_lo, v4
	v_not_b32_e32 v17, v25
	v_ashrrev_i32_e32 v16, 31, v16
	v_xor_b32_e32 v5, s16, v5
	v_cmp_gt_i32_e64 s16, 0, v25
	v_and_b32_e32 v4, v4, v28
	v_not_b32_e32 v25, v26
	v_ashrrev_i32_e32 v17, 31, v17
	v_xor_b32_e32 v16, s17, v16
	v_cmp_gt_i32_e64 s17, 0, v26
	v_and_b32_e32 v4, v4, v5
	;; [unrolled: 5-line block ×4, first 2 shown]
	v_mov_b32_e32 v4, v20
	v_mov_b32_e32 v5, v21
	v_ashrrev_i32_e32 v20, 31, v16
	v_xor_b32_e32 v21, s16, v26
	v_and_b32_e32 v24, v17, v25
	v_mov_b32_e32 v16, v18
	v_mov_b32_e32 v17, v19
	v_xor_b32_e32 v18, s17, v20
	v_and_b32_e32 v19, v24, v21
	v_lshlrev_b32_e32 v21, 3, v23
	v_and_b32_e32 v20, v19, v18
	v_add_lshl_u32 v19, v21, v38, 2
	v_mbcnt_lo_u32_b32 v18, v20, 0
	v_add_co_u32 v19, null, v12, v19
	v_cmp_ne_u32_e64 s17, 0, v20
	v_cmp_eq_u32_e64 s16, 0, v18
	v_add_co_u32 v19, null, v19, 32
	s_and_b32 s17, s17, s16
	s_and_saveexec_b32 s16, s17
; %bb.336:                              ;   in Loop: Header=BB91_335 Depth=1
	v_bcnt_u32_b32 v20, v20, 0
	ds_write_b32 v19, v20
; %bb.337:                              ;   in Loop: Header=BB91_335 Depth=1
	s_or_b32 exec_lo, exec_lo, s16
	v_lshrrev_b16 v65, 8, v39
	; wave barrier
	v_lshrrev_b32_sdwa v20, v10, v65 dst_sel:DWORD dst_unused:UNUSED_PAD src0_sel:DWORD src1_sel:WORD_0
	v_and_b32_e32 v20, v20, v22
	v_and_b32_e32 v21, 1, v20
	v_lshlrev_b32_e32 v22, 30, v20
	v_lshlrev_b32_e32 v23, 29, v20
	;; [unrolled: 1-line block ×4, first 2 shown]
	v_add_co_u32 v21, s16, v21, -1
	v_cndmask_b32_e64 v25, 0, 1, s16
	v_not_b32_e32 v29, v22
	v_cmp_gt_i32_e64 s17, 0, v22
	v_not_b32_e32 v22, v23
	v_lshlrev_b32_e32 v27, 26, v20
	v_cmp_ne_u32_e64 s16, 0, v25
	v_ashrrev_i32_e32 v29, 31, v29
	v_lshlrev_b32_e32 v28, 25, v20
	v_ashrrev_i32_e32 v22, 31, v22
	v_lshlrev_b32_e32 v25, 24, v20
	v_xor_b32_e32 v21, s16, v21
	v_cmp_gt_i32_e64 s16, 0, v23
	v_not_b32_e32 v23, v24
	v_xor_b32_e32 v29, s17, v29
	v_cmp_gt_i32_e64 s17, 0, v24
	v_and_b32_e32 v21, exec_lo, v21
	v_not_b32_e32 v24, v26
	v_ashrrev_i32_e32 v23, 31, v23
	v_xor_b32_e32 v22, s16, v22
	v_cmp_gt_i32_e64 s16, 0, v26
	v_and_b32_e32 v21, v21, v29
	v_not_b32_e32 v26, v27
	v_ashrrev_i32_e32 v24, 31, v24
	v_xor_b32_e32 v23, s17, v23
	v_cmp_gt_i32_e64 s17, 0, v27
	v_and_b32_e32 v21, v21, v22
	;; [unrolled: 5-line block ×3, first 2 shown]
	v_not_b32_e32 v23, v25
	v_ashrrev_i32_e32 v22, 31, v22
	v_xor_b32_e32 v26, s17, v26
	v_lshl_add_u32 v20, v20, 3, v38
	v_and_b32_e32 v21, v21, v24
	v_cmp_gt_i32_e64 s17, 0, v25
	v_ashrrev_i32_e32 v23, 31, v23
	v_xor_b32_e32 v22, s16, v22
	v_lshl_add_u32 v24, v20, 2, v12
	v_and_b32_e32 v21, v21, v26
	v_xor_b32_e32 v23, s17, v23
	ds_read_b32 v20, v24 offset:32
	v_and_b32_e32 v21, v21, v22
	v_add_nc_u32_e32 v22, 32, v24
	; wave barrier
	v_and_b32_e32 v23, v21, v23
	v_mbcnt_lo_u32_b32 v21, v23, 0
	v_cmp_ne_u32_e64 s17, 0, v23
	v_cmp_eq_u32_e64 s16, 0, v21
	s_and_b32 s17, s17, s16
	s_and_saveexec_b32 s16, s17
	s_cbranch_execz .LBB91_339
; %bb.338:                              ;   in Loop: Header=BB91_335 Depth=1
	s_waitcnt lgkmcnt(0)
	v_bcnt_u32_b32 v23, v23, v20
	ds_write_b32 v22, v23
.LBB91_339:                             ;   in Loop: Header=BB91_335 Depth=1
	s_or_b32 exec_lo, exec_lo, s16
	; wave barrier
	s_waitcnt lgkmcnt(0)
	s_barrier
	buffer_gl0_inv
	ds_read_b32 v24, v9
	ds_read_b32 v25, v31
	ds_read_b32 v26, v32
	ds_read_b32 v27, v33
	ds_read_b32 v28, v34
	ds_read_b32 v29, v35
	ds_read_b32 v23, v36
	ds_read_b32 v66, v37
	s_waitcnt lgkmcnt(6)
	v_add_nc_u32_e32 v67, v25, v24
	s_waitcnt lgkmcnt(4)
	v_add3_u32 v67, v67, v26, v27
	s_waitcnt lgkmcnt(2)
	v_add3_u32 v67, v67, v28, v29
	;; [unrolled: 2-line block ×3, first 2 shown]
	v_mov_b32_dpp v67, v66 row_shr:1 row_mask:0xf bank_mask:0xf
	v_cndmask_b32_e64 v67, v67, 0, vcc_lo
	v_add_nc_u32_e32 v66, v67, v66
	v_mov_b32_dpp v67, v66 row_shr:2 row_mask:0xf bank_mask:0xf
	v_cndmask_b32_e64 v67, 0, v67, s4
	v_add_nc_u32_e32 v66, v66, v67
	v_mov_b32_dpp v67, v66 row_shr:4 row_mask:0xf bank_mask:0xf
	v_cndmask_b32_e64 v67, 0, v67, s5
	;; [unrolled: 3-line block ×3, first 2 shown]
	v_add_nc_u32_e32 v66, v66, v67
	ds_swizzle_b32 v67, v66 offset:swizzle(BROADCAST,32,15)
	s_waitcnt lgkmcnt(0)
	v_cndmask_b32_e64 v67, v67, 0, s8
	v_add_nc_u32_e32 v66, v66, v67
	s_and_saveexec_b32 s16, s9
; %bb.340:                              ;   in Loop: Header=BB91_335 Depth=1
	ds_write_b32 v49, v66
; %bb.341:                              ;   in Loop: Header=BB91_335 Depth=1
	s_or_b32 exec_lo, exec_lo, s16
	s_waitcnt lgkmcnt(0)
	s_barrier
	buffer_gl0_inv
	s_and_saveexec_b32 s16, s10
	s_cbranch_execz .LBB91_343
; %bb.342:                              ;   in Loop: Header=BB91_335 Depth=1
	ds_read_b32 v67, v51
	s_waitcnt lgkmcnt(0)
	v_mov_b32_dpp v68, v67 row_shr:1 row_mask:0xf bank_mask:0xf
	v_cndmask_b32_e64 v68, v68, 0, s13
	v_add_nc_u32_e32 v67, v68, v67
	v_mov_b32_dpp v68, v67 row_shr:2 row_mask:0xf bank_mask:0xf
	v_cndmask_b32_e64 v68, 0, v68, s14
	v_add_nc_u32_e32 v67, v67, v68
	;; [unrolled: 3-line block ×3, first 2 shown]
	ds_write_b32 v51, v67
.LBB91_343:                             ;   in Loop: Header=BB91_335 Depth=1
	s_or_b32 exec_lo, exec_lo, s16
	v_mov_b32_e32 v67, 0
	s_waitcnt lgkmcnt(0)
	s_barrier
	buffer_gl0_inv
	s_and_saveexec_b32 s16, s11
; %bb.344:                              ;   in Loop: Header=BB91_335 Depth=1
	ds_read_b32 v67, v53
; %bb.345:                              ;   in Loop: Header=BB91_335 Depth=1
	s_or_b32 exec_lo, exec_lo, s16
	s_waitcnt lgkmcnt(0)
	v_add_nc_u32_e32 v66, v67, v66
	v_add_nc_u32_e32 v10, 8, v10
	s_mov_b32 s21, -1
	s_mov_b32 s17, exec_lo
	ds_bpermute_b32 v66, v48, v66
	s_waitcnt lgkmcnt(0)
	v_cndmask_b32_e64 v66, v66, v67, s6
	v_cndmask_b32_e64 v66, v66, 0, s12
	v_add_nc_u32_e32 v24, v66, v24
	v_add_nc_u32_e32 v25, v24, v25
	ds_write_b32 v9, v66
	ds_write_b32 v31, v24
	ds_write_b32 v32, v25
	v_add_nc_u32_e32 v26, v25, v26
	v_add_nc_u32_e32 v27, v26, v27
	v_add_nc_u32_e32 v28, v27, v28
	v_add_nc_u32_e32 v29, v28, v29
	v_add_nc_u32_e32 v23, v29, v23
	ds_write_b32 v33, v26
	ds_write_b32 v34, v27
	;; [unrolled: 1-line block ×5, first 2 shown]
	s_waitcnt lgkmcnt(0)
	s_barrier
	buffer_gl0_inv
	ds_read_b32 v19, v19
	ds_read_b32 v22, v22
	s_waitcnt lgkmcnt(0)
	v_add_nc_u32_e32 v18, v19, v18
	v_add3_u32 v19, v21, v20, v22
                                        ; implicit-def: $vgpr20_vgpr21
	v_add_co_u32 v28, s16, v12, v18
	v_add_co_ci_u32_e64 v29, null, 0, v13, s16
	v_add_co_u32 v26, s16, v12, v19
	v_add_co_ci_u32_e64 v27, null, 0, v13, s16
	v_mad_u64_u32 v[24:25], null, v18, 7, v[28:29]
	v_mad_u64_u32 v[22:23], null, v19, 7, v[26:27]
	v_mov_b32_e32 v23, v39
                                        ; implicit-def: $vgpr18_vgpr19
	v_cmpx_lt_u32_e64 v10, v11
	s_cbranch_execz .LBB91_334
; %bb.346:                              ;   in Loop: Header=BB91_335 Depth=1
	s_barrier
	buffer_gl0_inv
	ds_write_b8 v28, v39
	ds_write_b8 v26, v65
	s_waitcnt lgkmcnt(0)
	s_barrier
	buffer_gl0_inv
	ds_read_u8 v25, v54
	ds_read_u8 v27, v30
	s_waitcnt lgkmcnt(0)
	s_barrier
	buffer_gl0_inv
	ds_write_b64 v24, v[16:17]
	ds_write_b64 v22, v[4:5]
	s_waitcnt lgkmcnt(0)
	s_barrier
	buffer_gl0_inv
	ds_read_b64 v[18:19], v52
	ds_read_b64 v[20:21], v55
	v_add_nc_u32_e32 v64, -8, v64
	s_xor_b32 s21, exec_lo, -1
	s_waitcnt lgkmcnt(0)
	s_barrier
	buffer_gl0_inv
	v_perm_b32 v39, v27, v25, 0xc0c0004
	s_branch .LBB91_334
.LBB91_347:
	flat_load_dwordx2 v[26:27], v[4:5]
	s_or_b32 exec_lo, exec_lo, s7
                                        ; implicit-def: $vgpr28_vgpr29
	s_and_saveexec_b32 s7, s4
	s_cbranch_execz .LBB91_274
.LBB91_348:
	flat_load_dwordx2 v[28:29], v[4:5] offset:256
	s_or_b32 exec_lo, exec_lo, s7
                                        ; implicit-def: $vgpr22_vgpr23
	s_and_saveexec_b32 s4, s5
	s_cbranch_execz .LBB91_275
.LBB91_349:
	flat_load_dwordx2 v[22:23], v[4:5] offset:512
	s_or_b32 exec_lo, exec_lo, s4
                                        ; implicit-def: $vgpr24_vgpr25
	s_and_saveexec_b32 s4, s6
	s_cbranch_execnz .LBB91_276
	s_branch .LBB91_277
.LBB91_350:
	flat_store_dwordx2 v[0:1], v[13:14]
	s_or_b32 exec_lo, exec_lo, s7
	s_and_saveexec_b32 s7, s6
	s_cbranch_execz .LBB91_319
.LBB91_351:
	v_add_co_u32 v2, vcc_lo, 0x800, v0
	v_add_co_ci_u32_e64 v3, null, 0, v1, vcc_lo
	flat_store_dwordx2 v[2:3], v[15:16]
	s_or_b32 exec_lo, exec_lo, s7
	s_and_saveexec_b32 s6, s5
	s_cbranch_execz .LBB91_320
.LBB91_352:
	v_add_co_u32 v2, vcc_lo, 0x1000, v0
	v_add_co_ci_u32_e64 v3, null, 0, v1, vcc_lo
	flat_store_dwordx2 v[2:3], v[9:10]
	s_or_b32 exec_lo, exec_lo, s6
	s_and_saveexec_b32 s5, s4
	s_cbranch_execnz .LBB91_321
	s_branch .LBB91_322
.LBB91_353:
	s_or_b32 exec_lo, exec_lo, s20
	v_add_nc_u32_e32 v9, v12, v14
	v_mul_u32_u24_e32 v10, 7, v14
	s_barrier
	buffer_gl0_inv
	ds_write_b8 v28, v23
	ds_write_b8 v26, v65
	s_waitcnt lgkmcnt(0)
	s_barrier
	buffer_gl0_inv
	ds_read_u8 v18, v9
	ds_read_u8 v13, v9 offset:256
	v_add_nc_u32_e32 v9, v9, v10
	s_waitcnt lgkmcnt(0)
	s_barrier
	buffer_gl0_inv
	ds_write_b64 v24, v[16:17]
	ds_write_b64 v22, v[4:5]
	s_waitcnt lgkmcnt(0)
	s_barrier
	buffer_gl0_inv
	ds_read2st64_b64 v[9:12], v9 offset1:4
	v_add_co_u32 v2, vcc_lo, v2, v8
	v_add_co_ci_u32_e64 v3, null, 0, v3, vcc_lo
	v_mov_b32_e32 v16, 0
	v_add_co_u32 v2, vcc_lo, v2, v15
	v_add_co_ci_u32_e64 v3, null, 0, v3, vcc_lo
	v_cmp_lt_u32_e32 vcc_lo, v15, v226
	s_waitcnt lgkmcnt(0)
	s_barrier
	buffer_gl0_inv
	s_and_saveexec_b32 s4, vcc_lo
	s_cbranch_execz .LBB91_355
; %bb.354:
	v_xor_b32_e32 v4, -1, v18
	flat_store_byte v[2:3], v4
.LBB91_355:
	s_or_b32 exec_lo, exec_lo, s4
	v_add_nc_u32_e32 v4, 0x100, v15
	v_cmp_lt_u32_e64 s4, v4, v226
	s_and_saveexec_b32 s5, s4
	s_cbranch_execz .LBB91_357
; %bb.356:
	v_xor_b32_e32 v4, -1, v13
	flat_store_byte v[2:3], v4 offset:256
.LBB91_357:
	s_or_b32 exec_lo, exec_lo, s5
	v_lshlrev_b64 v[2:3], 3, v[15:16]
	v_add_co_u32 v0, s5, v6, v0
	v_add_co_ci_u32_e64 v1, null, v7, v1, s5
	v_add_co_u32 v0, s5, v0, v2
	v_add_co_ci_u32_e64 v1, null, v1, v3, s5
	s_and_saveexec_b32 s5, vcc_lo
	s_cbranch_execz .LBB91_359
; %bb.358:
	flat_store_dwordx2 v[0:1], v[9:10]
.LBB91_359:
	s_or_b32 exec_lo, exec_lo, s5
	s_and_saveexec_b32 s5, s4
	s_cbranch_execz .LBB91_361
; %bb.360:
	v_add_co_u32 v0, vcc_lo, 0x800, v0
	v_add_co_ci_u32_e64 v1, null, 0, v1, vcc_lo
	flat_store_dwordx2 v[0:1], v[11:12]
.LBB91_361:
	s_or_b32 exec_lo, exec_lo, s5
                                        ; implicit-def: $vgpr15_vgpr16
                                        ; implicit-def: $vgpr8_vgpr9
                                        ; implicit-def: $vgpr226
                                        ; implicit-def: $vgpr0
                                        ; implicit-def: $vgpr1
                                        ; implicit-def: $vgpr2
                                        ; implicit-def: $vgpr3
                                        ; implicit-def: $vgpr4
                                        ; implicit-def: $vgpr5
                                        ; implicit-def: $vgpr6
                                        ; implicit-def: $vgpr7
                                        ; implicit-def: $vgpr10
                                        ; implicit-def: $vgpr11
                                        ; implicit-def: $vgpr12
                                        ; implicit-def: $vgpr13
                                        ; implicit-def: $vgpr14
                                        ; implicit-def: $vgpr30
.LBB91_362:
	s_andn2_saveexec_b32 s4, s18
	s_cbranch_execz .LBB91_382
; %bb.363:
	v_and_b32_e32 v18, 0xffffffe0, v15
	v_mov_b32_e32 v37, 0xff
	v_or_b32_e32 v16, v30, v18
	v_cmp_lt_u32_e32 vcc_lo, v16, v226
	s_and_saveexec_b32 s5, vcc_lo
	s_cbranch_execz .LBB91_365
; %bb.364:
	v_add_co_u32 v0, s4, v0, v8
	v_add_co_ci_u32_e64 v1, null, 0, v1, s4
	v_add_co_u32 v0, s4, v0, v30
	v_add_co_ci_u32_e64 v1, null, 0, v1, s4
	;; [unrolled: 2-line block ×3, first 2 shown]
	flat_load_ubyte v0, v[0:1]
	s_waitcnt vmcnt(0) lgkmcnt(0)
	v_xor_b32_e32 v37, -1, v0
.LBB91_365:
	s_or_b32 exec_lo, exec_lo, s5
	v_lshlrev_b64 v[0:1], 3, v[8:9]
                                        ; implicit-def: $vgpr16_vgpr17
	s_and_saveexec_b32 s4, vcc_lo
	s_cbranch_execz .LBB91_367
; %bb.366:
	v_mov_b32_e32 v19, 0
	v_lshlrev_b32_e32 v9, 3, v30
	v_add_co_u32 v16, vcc_lo, v4, v0
	v_add_co_ci_u32_e64 v17, null, v5, v1, vcc_lo
	v_lshlrev_b64 v[4:5], 3, v[18:19]
	v_add_co_u32 v9, vcc_lo, v16, v9
	v_add_co_ci_u32_e64 v16, null, 0, v17, vcc_lo
	v_add_co_u32 v4, vcc_lo, v9, v4
	v_add_co_ci_u32_e64 v5, null, v16, v5, vcc_lo
	flat_load_dwordx2 v[16:17], v[4:5]
.LBB91_367:
	s_or_b32 exec_lo, exec_lo, s4
	v_lshl_add_u32 v4, v14, 5, v12
	v_and_b32_e32 v5, 15, v30
	v_sub_co_u32 v28, s6, v30, 1
	s_getpc_b64 s[4:5]
	s_add_u32 s4, s4, _ZN7rocprim17ROCPRIM_400000_NS16block_radix_sortIhLj256ELj1ElLj1ELj1ELj8ELNS0_26block_radix_rank_algorithmE2ELNS0_18block_padding_hintE2ELNS0_4arch9wavefront6targetE0EE19radix_bits_per_passE@rel32@lo+4
	s_addc_u32 s5, s5, _ZN7rocprim17ROCPRIM_400000_NS16block_radix_sortIhLj256ELj1ElLj1ELj1ELj8ELNS0_26block_radix_rank_algorithmE2ELNS0_18block_padding_hintE2ELNS0_4arch9wavefront6targetE0EE19radix_bits_per_passE@rel32@hi+12
	v_add_nc_u32_e32 v9, 32, v4
	v_add_nc_u32_e32 v20, 36, v4
	;; [unrolled: 1-line block ×8, first 2 shown]
	v_and_b32_e32 v4, 0x3e0, v14
	s_load_dword s18, s[4:5], 0x0
	v_cmp_eq_u32_e32 vcc_lo, 0, v5
	v_cmp_lt_u32_e64 s4, 1, v5
	v_cmp_lt_u32_e64 s5, 3, v5
	v_min_u32_e32 v18, 0xe0, v4
	v_and_b32_e32 v19, 16, v30
	v_cmp_lt_u32_e64 s7, 7, v5
	v_cmp_gt_i32_e64 s9, 0, v28
	v_or_b32_e32 v4, v30, v4
	v_or_b32_e32 v5, 31, v18
	v_lshrrev_b32_e32 v18, 3, v14
	v_cmp_eq_u32_e64 s8, 0, v19
	v_cndmask_b32_e64 v19, v28, v30, s9
	v_add_nc_u32_e32 v32, v12, v4
	v_cmp_eq_u32_e64 s9, v14, v5
	v_and_b32_e32 v5, 0x7c, v18
	v_mul_u32_u24_e32 v4, 7, v4
	v_lshrrev_b32_e32 v27, 5, v15
	v_cmp_gt_u32_e64 s10, 8, v14
	v_cmp_lt_u32_e64 s11, 31, v14
	v_add_nc_u32_e32 v29, v12, v5
	v_and_b32_e32 v5, 7, v30
	v_lshlrev_b32_e32 v28, 2, v19
	v_cmp_eq_u32_e64 s12, 0, v14
	v_mov_b32_e32 v30, 0
	v_lshl_add_u32 v31, v14, 2, v12
	v_cmp_eq_u32_e64 s13, 0, v5
	v_cmp_lt_u32_e64 s14, 1, v5
	v_cmp_lt_u32_e64 s15, 3, v5
	v_add_nc_u32_e32 v33, -4, v29
	v_add_nc_u32_e32 v34, v32, v4
	v_sub_nc_u32_e32 v35, v11, v10
	s_mov_b32 s19, 0
	s_waitcnt vmcnt(0) lgkmcnt(0)
	s_waitcnt_vscnt null, 0x0
	s_barrier
	buffer_gl0_inv
	s_branch .LBB91_369
.LBB91_368:                             ;   in Loop: Header=BB91_369 Depth=1
	s_or_b32 exec_lo, exec_lo, s17
	s_and_b32 s16, exec_lo, s20
	s_or_b32 s19, s16, s19
	s_andn2_b32 exec_lo, exec_lo, s19
	s_cbranch_execz .LBB91_379
.LBB91_369:                             ; =>This Inner Loop Header: Depth=1
	v_mov_b32_e32 v36, v37
	v_min_u32_e32 v4, s18, v35
	ds_write_b32 v9, v30
	ds_write_b32 v20, v30
	;; [unrolled: 1-line block ×5, first 2 shown]
	v_lshrrev_b32_sdwa v5, v10, v36 dst_sel:DWORD dst_unused:UNUSED_PAD src0_sel:DWORD src1_sel:BYTE_0
	ds_write_b32 v24, v30
	ds_write_b32 v25, v30
	;; [unrolled: 1-line block ×3, first 2 shown]
	s_waitcnt lgkmcnt(0)
	s_barrier
	v_bfe_u32 v18, v5, 0, v4
	buffer_gl0_inv
	; wave barrier
	v_and_b32_e32 v4, 1, v18
	v_lshlrev_b32_e32 v5, 30, v18
	v_lshlrev_b32_e32 v19, 29, v18
	;; [unrolled: 1-line block ×4, first 2 shown]
	v_add_co_u32 v4, s16, v4, -1
	v_cndmask_b32_e64 v38, 0, 1, s16
	v_not_b32_e32 v50, v5
	v_cmp_gt_i32_e64 s17, 0, v5
	v_not_b32_e32 v5, v19
	v_lshlrev_b32_e32 v48, 26, v18
	v_cmp_ne_u32_e64 s16, 0, v38
	v_ashrrev_i32_e32 v50, 31, v50
	v_lshlrev_b32_e32 v49, 25, v18
	v_ashrrev_i32_e32 v5, 31, v5
	v_lshlrev_b32_e32 v38, 24, v18
	v_xor_b32_e32 v4, s16, v4
	v_cmp_gt_i32_e64 s16, 0, v19
	v_not_b32_e32 v19, v37
	v_xor_b32_e32 v50, s17, v50
	v_cmp_gt_i32_e64 s17, 0, v37
	v_and_b32_e32 v4, exec_lo, v4
	v_not_b32_e32 v37, v39
	v_ashrrev_i32_e32 v19, 31, v19
	v_xor_b32_e32 v5, s16, v5
	v_cmp_gt_i32_e64 s16, 0, v39
	v_and_b32_e32 v4, v4, v50
	v_not_b32_e32 v39, v48
	v_ashrrev_i32_e32 v37, 31, v37
	v_xor_b32_e32 v19, s17, v19
	v_cmp_gt_i32_e64 s17, 0, v48
	v_and_b32_e32 v4, v4, v5
	;; [unrolled: 5-line block ×4, first 2 shown]
	v_ashrrev_i32_e32 v19, 31, v19
	v_xor_b32_e32 v37, s16, v5
	v_and_b32_e32 v38, v4, v39
	v_mov_b32_e32 v4, v16
	v_mov_b32_e32 v5, v17
	v_xor_b32_e32 v16, s17, v19
	v_lshlrev_b32_e32 v19, 3, v18
	v_and_b32_e32 v17, v38, v37
	v_and_b32_e32 v18, v17, v16
	v_add_lshl_u32 v17, v19, v27, 2
	v_mbcnt_lo_u32_b32 v16, v18, 0
	v_add_co_u32 v17, null, v12, v17
	v_cmp_ne_u32_e64 s17, 0, v18
	v_cmp_eq_u32_e64 s16, 0, v16
	v_add_co_u32 v17, null, v17, 32
	s_and_b32 s17, s17, s16
	s_and_saveexec_b32 s16, s17
; %bb.370:                              ;   in Loop: Header=BB91_369 Depth=1
	v_bcnt_u32_b32 v18, v18, 0
	ds_write_b32 v17, v18
; %bb.371:                              ;   in Loop: Header=BB91_369 Depth=1
	s_or_b32 exec_lo, exec_lo, s16
	; wave barrier
	s_waitcnt lgkmcnt(0)
	s_barrier
	buffer_gl0_inv
	ds_read_b32 v19, v9
	ds_read_b32 v37, v20
	;; [unrolled: 1-line block ×8, first 2 shown]
	s_waitcnt lgkmcnt(6)
	v_add_nc_u32_e32 v51, v37, v19
	s_waitcnt lgkmcnt(4)
	v_add3_u32 v51, v51, v38, v39
	s_waitcnt lgkmcnt(2)
	v_add3_u32 v51, v51, v48, v49
	;; [unrolled: 2-line block ×3, first 2 shown]
	v_mov_b32_dpp v51, v50 row_shr:1 row_mask:0xf bank_mask:0xf
	v_cndmask_b32_e64 v51, v51, 0, vcc_lo
	v_add_nc_u32_e32 v50, v51, v50
	v_mov_b32_dpp v51, v50 row_shr:2 row_mask:0xf bank_mask:0xf
	v_cndmask_b32_e64 v51, 0, v51, s4
	v_add_nc_u32_e32 v50, v50, v51
	v_mov_b32_dpp v51, v50 row_shr:4 row_mask:0xf bank_mask:0xf
	v_cndmask_b32_e64 v51, 0, v51, s5
	;; [unrolled: 3-line block ×3, first 2 shown]
	v_add_nc_u32_e32 v50, v50, v51
	ds_swizzle_b32 v51, v50 offset:swizzle(BROADCAST,32,15)
	s_waitcnt lgkmcnt(0)
	v_cndmask_b32_e64 v51, v51, 0, s8
	v_add_nc_u32_e32 v50, v50, v51
	s_and_saveexec_b32 s16, s9
; %bb.372:                              ;   in Loop: Header=BB91_369 Depth=1
	ds_write_b32 v29, v50
; %bb.373:                              ;   in Loop: Header=BB91_369 Depth=1
	s_or_b32 exec_lo, exec_lo, s16
	s_waitcnt lgkmcnt(0)
	s_barrier
	buffer_gl0_inv
	s_and_saveexec_b32 s16, s10
	s_cbranch_execz .LBB91_375
; %bb.374:                              ;   in Loop: Header=BB91_369 Depth=1
	ds_read_b32 v51, v31
	s_waitcnt lgkmcnt(0)
	v_mov_b32_dpp v52, v51 row_shr:1 row_mask:0xf bank_mask:0xf
	v_cndmask_b32_e64 v52, v52, 0, s13
	v_add_nc_u32_e32 v51, v52, v51
	v_mov_b32_dpp v52, v51 row_shr:2 row_mask:0xf bank_mask:0xf
	v_cndmask_b32_e64 v52, 0, v52, s14
	v_add_nc_u32_e32 v51, v51, v52
	;; [unrolled: 3-line block ×3, first 2 shown]
	ds_write_b32 v31, v51
.LBB91_375:                             ;   in Loop: Header=BB91_369 Depth=1
	s_or_b32 exec_lo, exec_lo, s16
	v_mov_b32_e32 v51, 0
	s_waitcnt lgkmcnt(0)
	s_barrier
	buffer_gl0_inv
	s_and_saveexec_b32 s16, s11
; %bb.376:                              ;   in Loop: Header=BB91_369 Depth=1
	ds_read_b32 v51, v33
; %bb.377:                              ;   in Loop: Header=BB91_369 Depth=1
	s_or_b32 exec_lo, exec_lo, s16
	s_waitcnt lgkmcnt(0)
	v_add_nc_u32_e32 v50, v51, v50
	v_add_nc_u32_e32 v10, 8, v10
	s_mov_b32 s20, -1
	ds_bpermute_b32 v50, v28, v50
	s_waitcnt lgkmcnt(0)
	v_cndmask_b32_e64 v50, v50, v51, s6
	v_cndmask_b32_e64 v50, v50, 0, s12
	v_add_nc_u32_e32 v19, v50, v19
	v_add_nc_u32_e32 v37, v19, v37
	ds_write_b32 v9, v50
	ds_write_b32 v20, v19
	;; [unrolled: 1-line block ×3, first 2 shown]
	v_add_nc_u32_e32 v38, v37, v38
                                        ; implicit-def: $vgpr37
	v_add_nc_u32_e32 v39, v38, v39
	v_add_nc_u32_e32 v48, v39, v48
	;; [unrolled: 1-line block ×4, first 2 shown]
	ds_write_b32 v22, v38
	ds_write_b32 v23, v39
	;; [unrolled: 1-line block ×5, first 2 shown]
	s_waitcnt lgkmcnt(0)
	s_barrier
	buffer_gl0_inv
	ds_read_b32 v17, v17
	s_waitcnt lgkmcnt(0)
	v_add_nc_u32_e32 v38, v17, v16
                                        ; implicit-def: $vgpr16_vgpr17
	v_add_co_u32 v18, s17, v12, v38
	v_add_co_ci_u32_e64 v19, null, 0, v13, s17
	s_mov_b32 s17, exec_lo
	v_cmpx_lt_u32_e64 v10, v11
	s_cbranch_execz .LBB91_368
; %bb.378:                              ;   in Loop: Header=BB91_369 Depth=1
	v_mad_u64_u32 v[16:17], null, v38, 7, v[18:19]
	s_barrier
	buffer_gl0_inv
	ds_write_b8 v18, v36
	s_waitcnt lgkmcnt(0)
	s_barrier
	buffer_gl0_inv
	ds_read_u8 v37, v32
	s_waitcnt lgkmcnt(0)
	s_barrier
	buffer_gl0_inv
	ds_write_b64 v16, v[4:5]
	s_waitcnt lgkmcnt(0)
	s_barrier
	buffer_gl0_inv
	ds_read_b64 v[16:17], v34
	v_add_nc_u32_e32 v35, -8, v35
	s_xor_b32 s20, exec_lo, -1
	s_waitcnt lgkmcnt(0)
	s_barrier
	buffer_gl0_inv
	s_branch .LBB91_368
.LBB91_379:
	s_or_b32 exec_lo, exec_lo, s19
	v_mad_u64_u32 v[10:11], null, v38, 7, v[18:19]
	v_add_nc_u32_e32 v12, v12, v14
	v_mul_u32_u24_e32 v11, 7, v14
	s_barrier
	buffer_gl0_inv
	ds_write_b8 v18, v36
	s_waitcnt lgkmcnt(0)
	v_add_nc_u32_e32 v11, v12, v11
	s_barrier
	buffer_gl0_inv
	ds_read_u8 v9, v12
	s_waitcnt lgkmcnt(0)
	s_barrier
	buffer_gl0_inv
	ds_write_b64 v10, v[4:5]
	s_waitcnt lgkmcnt(0)
	s_barrier
	buffer_gl0_inv
	ds_read_b64 v[4:5], v11
	s_mov_b32 s4, exec_lo
	s_waitcnt lgkmcnt(0)
	s_barrier
	buffer_gl0_inv
	v_cmpx_lt_u32_e64 v15, v226
	s_cbranch_execz .LBB91_381
; %bb.380:
	v_add_co_u32 v2, vcc_lo, v2, v8
	v_mov_b32_e32 v16, 0
	v_add_co_ci_u32_e64 v3, null, 0, v3, vcc_lo
	v_add_co_u32 v2, vcc_lo, v2, v15
	v_lshlrev_b64 v[10:11], 3, v[15:16]
	v_add_co_ci_u32_e64 v3, null, 0, v3, vcc_lo
	v_add_co_u32 v0, vcc_lo, v6, v0
	v_add_co_ci_u32_e64 v1, null, v7, v1, vcc_lo
	v_xor_b32_e32 v6, -1, v9
	v_add_co_u32 v0, vcc_lo, v0, v10
	v_add_co_ci_u32_e64 v1, null, v1, v11, vcc_lo
	flat_store_byte v[2:3], v6
	flat_store_dwordx2 v[0:1], v[4:5]
.LBB91_381:
	s_or_b32 exec_lo, exec_lo, s4
.LBB91_382:
	s_or_b32 exec_lo, exec_lo, s25
	s_clause 0x3a
	buffer_load_dword v154, off, s[0:3], s32
	buffer_load_dword v153, off, s[0:3], s32 offset:4
	buffer_load_dword v152, off, s[0:3], s32 offset:8
	;; [unrolled: 1-line block ×58, first 2 shown]
	s_waitcnt vmcnt(0) lgkmcnt(0)
	s_setpc_b64 s[30:31]
.Lfunc_end91:
	.size	_ZN7rocprim17ROCPRIM_400000_NS6detail40segmented_radix_sort_single_block_helperIhlLj256ELj17ELb1EE4sortIPKhPhPKlPlEEbT_T0_T1_T2_jjjjRNS3_12storage_typeE, .Lfunc_end91-_ZN7rocprim17ROCPRIM_400000_NS6detail40segmented_radix_sort_single_block_helperIhlLj256ELj17ELb1EE4sortIPKhPhPKlPlEEbT_T0_T1_T2_jjjjRNS3_12storage_typeE
                                        ; -- End function
	.set .L_ZN7rocprim17ROCPRIM_400000_NS6detail40segmented_radix_sort_single_block_helperIhlLj256ELj17ELb1EE4sortIPKhPhPKlPlEEbT_T0_T1_T2_jjjjRNS3_12storage_typeE.num_vgpr, 248
	.set .L_ZN7rocprim17ROCPRIM_400000_NS6detail40segmented_radix_sort_single_block_helperIhlLj256ELj17ELb1EE4sortIPKhPhPKlPlEEbT_T0_T1_T2_jjjjRNS3_12storage_typeE.num_agpr, 0
	.set .L_ZN7rocprim17ROCPRIM_400000_NS6detail40segmented_radix_sort_single_block_helperIhlLj256ELj17ELb1EE4sortIPKhPhPKlPlEEbT_T0_T1_T2_jjjjRNS3_12storage_typeE.numbered_sgpr, 33
	.set .L_ZN7rocprim17ROCPRIM_400000_NS6detail40segmented_radix_sort_single_block_helperIhlLj256ELj17ELb1EE4sortIPKhPhPKlPlEEbT_T0_T1_T2_jjjjRNS3_12storage_typeE.num_named_barrier, 0
	.set .L_ZN7rocprim17ROCPRIM_400000_NS6detail40segmented_radix_sort_single_block_helperIhlLj256ELj17ELb1EE4sortIPKhPhPKlPlEEbT_T0_T1_T2_jjjjRNS3_12storage_typeE.private_seg_size, 240
	.set .L_ZN7rocprim17ROCPRIM_400000_NS6detail40segmented_radix_sort_single_block_helperIhlLj256ELj17ELb1EE4sortIPKhPhPKlPlEEbT_T0_T1_T2_jjjjRNS3_12storage_typeE.uses_vcc, 1
	.set .L_ZN7rocprim17ROCPRIM_400000_NS6detail40segmented_radix_sort_single_block_helperIhlLj256ELj17ELb1EE4sortIPKhPhPKlPlEEbT_T0_T1_T2_jjjjRNS3_12storage_typeE.uses_flat_scratch, 0
	.set .L_ZN7rocprim17ROCPRIM_400000_NS6detail40segmented_radix_sort_single_block_helperIhlLj256ELj17ELb1EE4sortIPKhPhPKlPlEEbT_T0_T1_T2_jjjjRNS3_12storage_typeE.has_dyn_sized_stack, 0
	.set .L_ZN7rocprim17ROCPRIM_400000_NS6detail40segmented_radix_sort_single_block_helperIhlLj256ELj17ELb1EE4sortIPKhPhPKlPlEEbT_T0_T1_T2_jjjjRNS3_12storage_typeE.has_recursion, 0
	.set .L_ZN7rocprim17ROCPRIM_400000_NS6detail40segmented_radix_sort_single_block_helperIhlLj256ELj17ELb1EE4sortIPKhPhPKlPlEEbT_T0_T1_T2_jjjjRNS3_12storage_typeE.has_indirect_call, 0
	.section	.AMDGPU.csdata,"",@progbits
; Function info:
; codeLenInByte = 29284
; TotalNumSgprs: 35
; NumVgprs: 248
; ScratchSize: 240
; MemoryBound: 1
	.section	.text._ZN7rocprim17ROCPRIM_400000_NS6detail17trampoline_kernelINS0_14default_configENS1_36segmented_radix_sort_config_selectorIhlEEZNS1_25segmented_radix_sort_implIS3_Lb1EPKhPhPKlPlN2at6native12_GLOBAL__N_18offset_tEEE10hipError_tPvRmT1_PNSt15iterator_traitsISK_E10value_typeET2_T3_PNSL_ISQ_E10value_typeET4_jRbjT5_SW_jjP12ihipStream_tbEUlT_E_NS1_11comp_targetILNS1_3genE8ELNS1_11target_archE1030ELNS1_3gpuE2ELNS1_3repE0EEENS1_30default_config_static_selectorELNS0_4arch9wavefront6targetE0EEEvSK_,"axG",@progbits,_ZN7rocprim17ROCPRIM_400000_NS6detail17trampoline_kernelINS0_14default_configENS1_36segmented_radix_sort_config_selectorIhlEEZNS1_25segmented_radix_sort_implIS3_Lb1EPKhPhPKlPlN2at6native12_GLOBAL__N_18offset_tEEE10hipError_tPvRmT1_PNSt15iterator_traitsISK_E10value_typeET2_T3_PNSL_ISQ_E10value_typeET4_jRbjT5_SW_jjP12ihipStream_tbEUlT_E_NS1_11comp_targetILNS1_3genE8ELNS1_11target_archE1030ELNS1_3gpuE2ELNS1_3repE0EEENS1_30default_config_static_selectorELNS0_4arch9wavefront6targetE0EEEvSK_,comdat
	.globl	_ZN7rocprim17ROCPRIM_400000_NS6detail17trampoline_kernelINS0_14default_configENS1_36segmented_radix_sort_config_selectorIhlEEZNS1_25segmented_radix_sort_implIS3_Lb1EPKhPhPKlPlN2at6native12_GLOBAL__N_18offset_tEEE10hipError_tPvRmT1_PNSt15iterator_traitsISK_E10value_typeET2_T3_PNSL_ISQ_E10value_typeET4_jRbjT5_SW_jjP12ihipStream_tbEUlT_E_NS1_11comp_targetILNS1_3genE8ELNS1_11target_archE1030ELNS1_3gpuE2ELNS1_3repE0EEENS1_30default_config_static_selectorELNS0_4arch9wavefront6targetE0EEEvSK_ ; -- Begin function _ZN7rocprim17ROCPRIM_400000_NS6detail17trampoline_kernelINS0_14default_configENS1_36segmented_radix_sort_config_selectorIhlEEZNS1_25segmented_radix_sort_implIS3_Lb1EPKhPhPKlPlN2at6native12_GLOBAL__N_18offset_tEEE10hipError_tPvRmT1_PNSt15iterator_traitsISK_E10value_typeET2_T3_PNSL_ISQ_E10value_typeET4_jRbjT5_SW_jjP12ihipStream_tbEUlT_E_NS1_11comp_targetILNS1_3genE8ELNS1_11target_archE1030ELNS1_3gpuE2ELNS1_3repE0EEENS1_30default_config_static_selectorELNS0_4arch9wavefront6targetE0EEEvSK_
	.p2align	8
	.type	_ZN7rocprim17ROCPRIM_400000_NS6detail17trampoline_kernelINS0_14default_configENS1_36segmented_radix_sort_config_selectorIhlEEZNS1_25segmented_radix_sort_implIS3_Lb1EPKhPhPKlPlN2at6native12_GLOBAL__N_18offset_tEEE10hipError_tPvRmT1_PNSt15iterator_traitsISK_E10value_typeET2_T3_PNSL_ISQ_E10value_typeET4_jRbjT5_SW_jjP12ihipStream_tbEUlT_E_NS1_11comp_targetILNS1_3genE8ELNS1_11target_archE1030ELNS1_3gpuE2ELNS1_3repE0EEENS1_30default_config_static_selectorELNS0_4arch9wavefront6targetE0EEEvSK_,@function
_ZN7rocprim17ROCPRIM_400000_NS6detail17trampoline_kernelINS0_14default_configENS1_36segmented_radix_sort_config_selectorIhlEEZNS1_25segmented_radix_sort_implIS3_Lb1EPKhPhPKlPlN2at6native12_GLOBAL__N_18offset_tEEE10hipError_tPvRmT1_PNSt15iterator_traitsISK_E10value_typeET2_T3_PNSL_ISQ_E10value_typeET4_jRbjT5_SW_jjP12ihipStream_tbEUlT_E_NS1_11comp_targetILNS1_3genE8ELNS1_11target_archE1030ELNS1_3gpuE2ELNS1_3repE0EEENS1_30default_config_static_selectorELNS0_4arch9wavefront6targetE0EEEvSK_: ; @_ZN7rocprim17ROCPRIM_400000_NS6detail17trampoline_kernelINS0_14default_configENS1_36segmented_radix_sort_config_selectorIhlEEZNS1_25segmented_radix_sort_implIS3_Lb1EPKhPhPKlPlN2at6native12_GLOBAL__N_18offset_tEEE10hipError_tPvRmT1_PNSt15iterator_traitsISK_E10value_typeET2_T3_PNSL_ISQ_E10value_typeET4_jRbjT5_SW_jjP12ihipStream_tbEUlT_E_NS1_11comp_targetILNS1_3genE8ELNS1_11target_archE1030ELNS1_3gpuE2ELNS1_3repE0EEENS1_30default_config_static_selectorELNS0_4arch9wavefront6targetE0EEEvSK_
; %bb.0:
	s_load_dwordx2 s[12:13], s[4:5], 0x38
	s_mov_b32 s28, s7
	s_mov_b32 s7, 0
	s_add_u32 s0, s0, s8
	s_addc_u32 s1, s1, 0
	s_lshl_b64 s[14:15], s[6:7], 2
	s_load_dwordx4 s[8:11], s[4:5], 0x40
	s_mov_b32 s32, 0
	s_waitcnt lgkmcnt(0)
	s_add_u32 s12, s12, s14
	s_addc_u32 s13, s13, s15
	s_load_dword s7, s[12:13], 0x0
	s_waitcnt lgkmcnt(0)
	s_add_i32 s58, s7, s9
	s_add_i32 s59, s7, s11
	s_mul_i32 s58, s58, s8
	s_mul_i32 s59, s59, s10
	s_cmp_le_u32 s59, s58
	s_cbranch_scc1 .LBB92_1254
; %bb.1:
	s_clause 0x3
	s_load_dword s7, s[4:5], 0x30
	s_load_dwordx4 s[52:55], s[4:5], 0x20
	s_load_dwordx4 s[40:43], s[4:5], 0x50
	s_load_dwordx8 s[44:51], s[4:5], 0x0
	s_waitcnt lgkmcnt(0)
	s_bitcmp1_b32 s7, 0
	s_mov_b32 s7, -1
	s_cselect_b32 s43, -1, 0
	s_sub_i32 s60, s59, s58
	s_cmpk_lt_u32 s60, 0x1101
	s_cbranch_scc0 .LBB92_7
; %bb.2:
	v_cndmask_b32_e64 v3, 0, 1, s43
	s_and_b32 s7, s40, 1
	v_lshlrev_b32_e32 v41, 20, v2
	v_lshlrev_b32_e32 v42, 10, v1
	v_cmp_ne_u32_e32 vcc_lo, s7, v3
	s_mov_b32 s7, -1
	s_cbranch_vccnz .LBB92_4
; %bb.3:
	s_mov_b64 s[10:11], src_shared_base
	v_or3_b32 v31, v0, v42, v41
	v_mov_b32_e32 v40, v0
	v_mov_b32_e32 v0, s44
	;; [unrolled: 1-line block ×17, first 2 shown]
	s_add_u32 s8, s4, 0x60
	s_addc_u32 s9, s5, 0
	s_getpc_b64 s[14:15]
	s_add_u32 s14, s14, _ZN7rocprim17ROCPRIM_400000_NS6detail40segmented_radix_sort_single_block_helperIhlLj256ELj17ELb1EE4sortIPKhPhPKlPlEEbT_T0_T1_T2_jjjjRNS3_12storage_typeE@rel32@lo+4
	s_addc_u32 s15, s15, _ZN7rocprim17ROCPRIM_400000_NS6detail40segmented_radix_sort_single_block_helperIhlLj256ELj17ELb1EE4sortIPKhPhPKlPlEEbT_T0_T1_T2_jjjjRNS3_12storage_typeE@rel32@hi+12
	s_mov_b32 s12, s6
	s_mov_b32 s13, s28
	;; [unrolled: 1-line block ×3, first 2 shown]
	s_mov_b64 s[36:37], s[4:5]
	s_swappc_b64 s[30:31], s[14:15]
	v_mov_b32_e32 v1, v43
	v_mov_b32_e32 v2, v44
	;; [unrolled: 1-line block ×3, first 2 shown]
	s_mov_b64 s[4:5], s[36:37]
	s_mov_b32 s6, s34
	s_mov_b32 s7, 0
.LBB92_4:
	s_andn2_b32 vcc_lo, exec_lo, s7
	s_cbranch_vccnz .LBB92_6
; %bb.5:
	s_mov_b64 s[10:11], src_shared_base
	v_or3_b32 v31, v0, v42, v41
	v_mov_b32_e32 v40, v0
	v_mov_b32_e32 v0, s44
	;; [unrolled: 1-line block ×17, first 2 shown]
	s_add_u32 s8, s4, 0x60
	s_addc_u32 s9, s5, 0
	s_getpc_b64 s[14:15]
	s_add_u32 s14, s14, _ZN7rocprim17ROCPRIM_400000_NS6detail40segmented_radix_sort_single_block_helperIhlLj256ELj17ELb1EE4sortIPKhPhPKlPlEEbT_T0_T1_T2_jjjjRNS3_12storage_typeE@rel32@lo+4
	s_addc_u32 s15, s15, _ZN7rocprim17ROCPRIM_400000_NS6detail40segmented_radix_sort_single_block_helperIhlLj256ELj17ELb1EE4sortIPKhPhPKlPlEEbT_T0_T1_T2_jjjjRNS3_12storage_typeE@rel32@hi+12
	s_mov_b32 s12, s6
	s_mov_b32 s13, s28
	;; [unrolled: 1-line block ×3, first 2 shown]
	s_mov_b64 s[36:37], s[4:5]
	s_swappc_b64 s[30:31], s[14:15]
	v_mov_b32_e32 v1, v41
	v_mov_b32_e32 v2, v42
	;; [unrolled: 1-line block ×3, first 2 shown]
	s_mov_b64 s[4:5], s[36:37]
	s_mov_b32 s6, s34
.LBB92_6:
	s_mov_b32 s7, 0
.LBB92_7:
	s_andn2_b32 vcc_lo, exec_lo, s7
	s_cbranch_vccnz .LBB92_1254
; %bb.8:
	s_cmp_ge_u32 s41, s42
	s_cbranch_scc1 .LBB92_1254
; %bb.9:
	v_lshlrev_b32_e32 v43, 2, v0
	v_and_b32_e32 v3, 3, v0
	v_and_b32_e32 v5, 0xe0, v0
	s_add_u32 s56, s4, 0x60
	v_lshrrev_b32_e32 v7, 3, v0
	v_mad_u32_u24 v64, v0, 12, v43
	v_lshlrev_b32_e32 v63, 2, v3
	v_min_u32_e32 v6, 0x60, v5
	v_or_b32_e32 v3, 31, v5
	v_mul_u32_u24_e32 v68, 17, v5
	v_add_nc_u32_e32 v69, v64, v43
	v_lshlrev_b32_e32 v5, 4, v0
	v_or_b32_e32 v6, 31, v6
	v_cmp_eq_u32_e64 s4, v0, v3
	v_add_nc_u32_e32 v3, 1, v0
	v_mbcnt_lo_u32_b32 v86, -1, 0
	v_sub_nc_u32_e32 v70, v69, v5
	v_lshlrev_b32_e32 v5, 3, v68
	v_cmp_eq_u32_e64 s8, v0, v6
	v_mul_u32_u24_e32 v71, 36, v3
	v_cmp_ne_u32_e64 s13, 0x80, v3
	v_and_b32_e32 v62, 28, v7
	v_add_co_u32 v73, s14, s54, v5
	v_add_co_ci_u32_e64 v74, null, s55, 0, s14
	v_add_co_u32 v3, s14, s48, v68
	v_add_co_ci_u32_e64 v6, null, s49, 0, s14
	v_add_co_u32 v76, s14, s46, v0
	v_add_co_ci_u32_e64 v77, null, s47, 0, s14
	v_add_co_u32 v78, s14, s52, v5
	v_add_co_ci_u32_e64 v79, null, s53, 0, s14
	v_add_co_u32 v80, s14, s46, v68
	v_add_co_ci_u32_e64 v81, null, s47, 0, s14
	v_add_co_u32 v82, s14, s44, v0
	v_add_co_ci_u32_e64 v83, null, s45, 0, s14
	v_add_co_u32 v84, s14, s50, v5
	v_add_co_u32 v45, s7, s48, v0
	v_add_co_ci_u32_e64 v85, null, s51, 0, s14
	v_add_co_u32 v87, s14, s44, v68
	v_add_co_u32 v90, vcc_lo, v3, v86
	v_mov_b32_e32 v4, 0
	v_or_b32_e32 v44, 0x100, v0
	v_add_co_ci_u32_e64 v46, null, s49, 0, s7
	v_or_b32_e32 v47, 0x200, v0
	v_or_b32_e32 v48, 0x300, v0
	;; [unrolled: 1-line block ×15, first 2 shown]
	v_cmp_gt_u32_e64 s7, 0x80, v0
	v_or_b32_e32 v65, 0x8a00, v62
	v_cmp_gt_u32_e64 s9, 4, v0
	v_add_nc_u32_e32 v66, 0x8a00, v43
	v_cmp_lt_u32_e64 s10, 31, v0
	v_add_nc_u32_e32 v67, 0x89fc, v62
	v_cmp_gt_u32_e64 s11, 8, v0
	v_cmp_eq_u32_e64 s12, 0, v0
	v_lshlrev_b32_e32 v72, 5, v0
	v_mul_u32_u24_e32 v75, 7, v0
	v_add_co_ci_u32_e64 v88, null, s45, 0, s14
	v_mov_b32_e32 v89, 1
	v_add_co_ci_u32_e64 v91, null, 0, v6, vcc_lo
	v_mov_b32_e32 v92, 0xffff
	v_mov_b32_e32 v93, -1
	s_addc_u32 s57, s5, 0
	s_mov_b32 s51, 0
	s_mov_b32 s61, s41
	s_branch .LBB92_12
.LBB92_10:                              ;   in Loop: Header=BB92_12 Depth=1
	s_waitcnt lgkmcnt(0)
	s_barrier
.LBB92_11:                              ;   in Loop: Header=BB92_12 Depth=1
	s_add_i32 s61, s61, 7
	buffer_gl0_inv
	s_cmp_ge_u32 s61, s42
	s_cbranch_scc1 .LBB92_1254
.LBB92_12:                              ; =>This Loop Header: Depth=1
                                        ;     Child Loop BB92_16 Depth 2
                                        ;     Child Loop BB92_100 Depth 2
                                        ;     Child Loop BB92_326 Depth 2
                                        ;     Child Loop BB92_410 Depth 2
                                        ;     Child Loop BB92_638 Depth 2
                                        ;     Child Loop BB92_722 Depth 2
                                        ;     Child Loop BB92_948 Depth 2
                                        ;     Child Loop BB92_1032 Depth 2
	s_sub_i32 s5, s42, s61
	s_xor_b32 s43, s43, -1
	s_min_u32 s5, s5, 7
	ds_write2st64_b32 v43, v4, v4 offset1:4
	s_lshl_b32 s5, -1, s5
	s_waitcnt lgkmcnt(0)
	s_waitcnt_vscnt null, 0x0
	s_not_b32 s62, s5
	s_cmp_lg_u32 s61, s41
	s_mov_b32 s5, -1
	s_cbranch_scc0 .LBB92_634
; %bb.13:                               ;   in Loop: Header=BB92_12 Depth=1
	s_and_b32 vcc_lo, exec_lo, s43
	s_cbranch_vccz .LBB92_323
; %bb.14:                               ;   in Loop: Header=BB92_12 Depth=1
	v_mov_b32_e32 v17, 0
	v_mov_b32_e32 v20, 0
	;; [unrolled: 1-line block ×17, first 2 shown]
	s_mov_b32 s5, s60
	s_mov_b32 s16, s58
	s_barrier
	buffer_gl0_inv
	s_branch .LBB92_16
.LBB92_15:                              ;   in Loop: Header=BB92_16 Depth=2
	s_or_b32 exec_lo, exec_lo, s15
	s_addk_i32 s5, 0xef00
	s_cmp_ge_u32 s14, s59
	s_mov_b32 s16, s14
	s_cbranch_scc1 .LBB92_88
.LBB92_16:                              ;   Parent Loop BB92_12 Depth=1
                                        ; =>  This Inner Loop Header: Depth=2
	s_add_i32 s14, s16, 0x1100
	s_mov_b32 s15, -1
	s_cmp_gt_u32 s14, s59
                                        ; implicit-def: $vgpr21
                                        ; implicit-def: $vgpr22
                                        ; implicit-def: $vgpr23
                                        ; implicit-def: $vgpr24
                                        ; implicit-def: $vgpr25
                                        ; implicit-def: $vgpr26
                                        ; implicit-def: $vgpr27
                                        ; implicit-def: $vgpr28
                                        ; implicit-def: $vgpr29
                                        ; implicit-def: $vgpr30
                                        ; implicit-def: $vgpr31
                                        ; implicit-def: $vgpr32
                                        ; implicit-def: $vgpr33
                                        ; implicit-def: $vgpr34
                                        ; implicit-def: $vgpr35
                                        ; implicit-def: $vgpr36
                                        ; implicit-def: $vgpr37
	s_cbranch_scc1 .LBB92_18
; %bb.17:                               ;   in Loop: Header=BB92_16 Depth=2
	v_add_co_u32 v38, vcc_lo, v45, s16
	v_add_co_ci_u32_e64 v39, null, 0, v46, vcc_lo
	s_mov_b32 s15, 0
	v_add_co_u32 v21, vcc_lo, 0x800, v38
	v_add_co_ci_u32_e64 v22, null, 0, v39, vcc_lo
	v_add_co_u32 v23, vcc_lo, 0x1000, v38
	v_add_co_ci_u32_e64 v24, null, 0, v39, vcc_lo
	s_clause 0x10
	global_load_ubyte v36, v[21:22], off offset:1792
	global_load_ubyte v37, v[23:24], off
	global_load_ubyte v35, v[21:22], off offset:1536
	global_load_ubyte v34, v[21:22], off offset:1280
	;; [unrolled: 1-line block ×6, first 2 shown]
	global_load_ubyte v29, v[21:22], off
	global_load_ubyte v28, v[38:39], off offset:1792
	global_load_ubyte v27, v[38:39], off offset:1536
	;; [unrolled: 1-line block ×7, first 2 shown]
	global_load_ubyte v21, v[38:39], off
.LBB92_18:                              ;   in Loop: Header=BB92_16 Depth=2
	s_andn2_b32 vcc_lo, exec_lo, s15
	s_movk_i32 s15, 0x1100
	s_cbranch_vccnz .LBB92_38
; %bb.19:                               ;   in Loop: Header=BB92_16 Depth=2
	s_add_u32 s15, s48, s16
	s_addc_u32 s16, s49, 0
	s_mov_b32 s17, exec_lo
	v_cmpx_gt_u32_e64 s5, v0
	s_cbranch_execnz .LBB92_72
; %bb.20:                               ;   in Loop: Header=BB92_16 Depth=2
	s_or_b32 exec_lo, exec_lo, s17
	s_mov_b32 s17, exec_lo
	v_cmpx_gt_u32_e64 s5, v44
	s_cbranch_execnz .LBB92_73
.LBB92_21:                              ;   in Loop: Header=BB92_16 Depth=2
	s_or_b32 exec_lo, exec_lo, s17
	s_mov_b32 s17, exec_lo
	v_cmpx_gt_u32_e64 s5, v47
	s_cbranch_execnz .LBB92_74
.LBB92_22:                              ;   in Loop: Header=BB92_16 Depth=2
	s_or_b32 exec_lo, exec_lo, s17
	s_mov_b32 s17, exec_lo
	v_cmpx_gt_u32_e64 s5, v48
	s_cbranch_execnz .LBB92_75
.LBB92_23:                              ;   in Loop: Header=BB92_16 Depth=2
	s_or_b32 exec_lo, exec_lo, s17
	s_mov_b32 s17, exec_lo
	v_cmpx_gt_u32_e64 s5, v49
	s_cbranch_execnz .LBB92_76
.LBB92_24:                              ;   in Loop: Header=BB92_16 Depth=2
	s_or_b32 exec_lo, exec_lo, s17
	s_mov_b32 s17, exec_lo
	v_cmpx_gt_u32_e64 s5, v50
	s_cbranch_execnz .LBB92_77
.LBB92_25:                              ;   in Loop: Header=BB92_16 Depth=2
	s_or_b32 exec_lo, exec_lo, s17
	s_mov_b32 s17, exec_lo
	v_cmpx_gt_u32_e64 s5, v51
	s_cbranch_execnz .LBB92_78
.LBB92_26:                              ;   in Loop: Header=BB92_16 Depth=2
	s_or_b32 exec_lo, exec_lo, s17
	s_mov_b32 s17, exec_lo
	v_cmpx_gt_u32_e64 s5, v52
	s_cbranch_execnz .LBB92_79
.LBB92_27:                              ;   in Loop: Header=BB92_16 Depth=2
	s_or_b32 exec_lo, exec_lo, s17
	s_mov_b32 s17, exec_lo
	v_cmpx_gt_u32_e64 s5, v53
	s_cbranch_execnz .LBB92_80
.LBB92_28:                              ;   in Loop: Header=BB92_16 Depth=2
	s_or_b32 exec_lo, exec_lo, s17
	s_mov_b32 s17, exec_lo
	v_cmpx_gt_u32_e64 s5, v54
	s_cbranch_execnz .LBB92_81
.LBB92_29:                              ;   in Loop: Header=BB92_16 Depth=2
	s_or_b32 exec_lo, exec_lo, s17
	s_mov_b32 s17, exec_lo
	v_cmpx_gt_u32_e64 s5, v55
	s_cbranch_execnz .LBB92_82
.LBB92_30:                              ;   in Loop: Header=BB92_16 Depth=2
	s_or_b32 exec_lo, exec_lo, s17
	s_mov_b32 s17, exec_lo
	v_cmpx_gt_u32_e64 s5, v56
	s_cbranch_execnz .LBB92_83
.LBB92_31:                              ;   in Loop: Header=BB92_16 Depth=2
	s_or_b32 exec_lo, exec_lo, s17
	s_mov_b32 s17, exec_lo
	v_cmpx_gt_u32_e64 s5, v57
	s_cbranch_execnz .LBB92_84
.LBB92_32:                              ;   in Loop: Header=BB92_16 Depth=2
	s_or_b32 exec_lo, exec_lo, s17
	s_mov_b32 s17, exec_lo
	v_cmpx_gt_u32_e64 s5, v58
	s_cbranch_execnz .LBB92_85
.LBB92_33:                              ;   in Loop: Header=BB92_16 Depth=2
	s_or_b32 exec_lo, exec_lo, s17
	s_mov_b32 s17, exec_lo
	v_cmpx_gt_u32_e64 s5, v59
	s_cbranch_execnz .LBB92_86
.LBB92_34:                              ;   in Loop: Header=BB92_16 Depth=2
	s_or_b32 exec_lo, exec_lo, s17
	s_mov_b32 s17, exec_lo
	v_cmpx_gt_u32_e64 s5, v60
	s_cbranch_execnz .LBB92_87
.LBB92_35:                              ;   in Loop: Header=BB92_16 Depth=2
	s_or_b32 exec_lo, exec_lo, s17
	s_mov_b32 s17, exec_lo
	v_cmpx_gt_u32_e64 s5, v61
	s_cbranch_execz .LBB92_37
.LBB92_36:                              ;   in Loop: Header=BB92_16 Depth=2
	s_waitcnt vmcnt(0)
	v_add_co_u32 v21, s15, s15, v61
	v_add_co_ci_u32_e64 v22, null, s16, 0, s15
	global_load_ubyte v3, v[21:22], off
.LBB92_37:                              ;   in Loop: Header=BB92_16 Depth=2
	s_or_b32 exec_lo, exec_lo, s17
	s_waitcnt vmcnt(0)
	v_mov_b32_e32 v21, v17
	v_mov_b32_e32 v22, v20
	v_mov_b32_e32 v23, v19
	v_mov_b32_e32 v24, v18
	v_mov_b32_e32 v25, v16
	v_mov_b32_e32 v26, v15
	v_mov_b32_e32 v27, v14
	v_mov_b32_e32 v28, v13
	v_mov_b32_e32 v29, v12
	v_mov_b32_e32 v30, v11
	v_mov_b32_e32 v31, v10
	v_mov_b32_e32 v32, v9
	v_mov_b32_e32 v33, v8
	v_mov_b32_e32 v34, v7
	v_mov_b32_e32 v35, v6
	v_mov_b32_e32 v36, v5
	v_mov_b32_e32 v37, v3
	s_mov_b32 s15, s5
.LBB92_38:                              ;   in Loop: Header=BB92_16 Depth=2
	s_waitcnt vmcnt(15)
	v_mov_b32_e32 v3, v37
	v_mov_b32_e32 v5, v36
	s_waitcnt vmcnt(14)
	v_mov_b32_e32 v6, v35
	s_waitcnt vmcnt(13)
	;; [unrolled: 2-line block ×15, first 2 shown]
	v_mov_b32_e32 v17, v21
	s_mov_b32 s16, exec_lo
	v_cmpx_gt_u32_e64 s15, v0
	s_cbranch_execnz .LBB92_55
; %bb.39:                               ;   in Loop: Header=BB92_16 Depth=2
	s_or_b32 exec_lo, exec_lo, s16
	s_mov_b32 s16, exec_lo
	v_cmpx_gt_u32_e64 s15, v44
	s_cbranch_execnz .LBB92_56
.LBB92_40:                              ;   in Loop: Header=BB92_16 Depth=2
	s_or_b32 exec_lo, exec_lo, s16
	s_mov_b32 s16, exec_lo
	v_cmpx_gt_u32_e64 s15, v47
	s_cbranch_execnz .LBB92_57
.LBB92_41:                              ;   in Loop: Header=BB92_16 Depth=2
	s_or_b32 exec_lo, exec_lo, s16
	s_mov_b32 s16, exec_lo
	v_cmpx_gt_u32_e64 s15, v48
	s_cbranch_execnz .LBB92_58
.LBB92_42:                              ;   in Loop: Header=BB92_16 Depth=2
	s_or_b32 exec_lo, exec_lo, s16
	s_mov_b32 s16, exec_lo
	v_cmpx_gt_u32_e64 s15, v49
	s_cbranch_execnz .LBB92_59
.LBB92_43:                              ;   in Loop: Header=BB92_16 Depth=2
	s_or_b32 exec_lo, exec_lo, s16
	s_mov_b32 s16, exec_lo
	v_cmpx_gt_u32_e64 s15, v50
	s_cbranch_execnz .LBB92_60
.LBB92_44:                              ;   in Loop: Header=BB92_16 Depth=2
	s_or_b32 exec_lo, exec_lo, s16
	s_mov_b32 s16, exec_lo
	v_cmpx_gt_u32_e64 s15, v51
	s_cbranch_execnz .LBB92_61
.LBB92_45:                              ;   in Loop: Header=BB92_16 Depth=2
	s_or_b32 exec_lo, exec_lo, s16
	s_mov_b32 s16, exec_lo
	v_cmpx_gt_u32_e64 s15, v52
	s_cbranch_execnz .LBB92_62
.LBB92_46:                              ;   in Loop: Header=BB92_16 Depth=2
	s_or_b32 exec_lo, exec_lo, s16
	s_mov_b32 s16, exec_lo
	v_cmpx_gt_u32_e64 s15, v53
	s_cbranch_execnz .LBB92_63
.LBB92_47:                              ;   in Loop: Header=BB92_16 Depth=2
	s_or_b32 exec_lo, exec_lo, s16
	s_mov_b32 s16, exec_lo
	v_cmpx_gt_u32_e64 s15, v54
	s_cbranch_execnz .LBB92_64
.LBB92_48:                              ;   in Loop: Header=BB92_16 Depth=2
	s_or_b32 exec_lo, exec_lo, s16
	s_mov_b32 s16, exec_lo
	v_cmpx_gt_u32_e64 s15, v55
	s_cbranch_execnz .LBB92_65
.LBB92_49:                              ;   in Loop: Header=BB92_16 Depth=2
	s_or_b32 exec_lo, exec_lo, s16
	s_mov_b32 s16, exec_lo
	v_cmpx_gt_u32_e64 s15, v56
	s_cbranch_execnz .LBB92_66
.LBB92_50:                              ;   in Loop: Header=BB92_16 Depth=2
	s_or_b32 exec_lo, exec_lo, s16
	s_mov_b32 s16, exec_lo
	v_cmpx_gt_u32_e64 s15, v57
	s_cbranch_execnz .LBB92_67
.LBB92_51:                              ;   in Loop: Header=BB92_16 Depth=2
	s_or_b32 exec_lo, exec_lo, s16
	s_mov_b32 s16, exec_lo
	v_cmpx_gt_u32_e64 s15, v58
	s_cbranch_execnz .LBB92_68
.LBB92_52:                              ;   in Loop: Header=BB92_16 Depth=2
	s_or_b32 exec_lo, exec_lo, s16
	s_mov_b32 s16, exec_lo
	v_cmpx_gt_u32_e64 s15, v59
	s_cbranch_execnz .LBB92_69
.LBB92_53:                              ;   in Loop: Header=BB92_16 Depth=2
	s_or_b32 exec_lo, exec_lo, s16
	s_mov_b32 s16, exec_lo
	v_cmpx_gt_u32_e64 s15, v60
	s_cbranch_execnz .LBB92_70
.LBB92_54:                              ;   in Loop: Header=BB92_16 Depth=2
	s_or_b32 exec_lo, exec_lo, s16
	v_cmp_gt_u32_e32 vcc_lo, s15, v61
	s_and_saveexec_b32 s15, vcc_lo
	s_cbranch_execz .LBB92_15
	s_branch .LBB92_71
.LBB92_55:                              ;   in Loop: Header=BB92_16 Depth=2
	v_xor_b32_e32 v21, -1, v17
	v_lshrrev_b32_sdwa v21, s61, v21 dst_sel:DWORD dst_unused:UNUSED_PAD src0_sel:DWORD src1_sel:BYTE_0
	v_and_b32_e32 v21, s62, v21
	v_lshl_or_b32 v21, v21, 4, v63
	ds_add_u32 v21, v89
	s_or_b32 exec_lo, exec_lo, s16
	s_mov_b32 s16, exec_lo
	v_cmpx_gt_u32_e64 s15, v44
	s_cbranch_execz .LBB92_40
.LBB92_56:                              ;   in Loop: Header=BB92_16 Depth=2
	v_xor_b32_e32 v21, -1, v20
	v_lshrrev_b32_sdwa v21, s61, v21 dst_sel:DWORD dst_unused:UNUSED_PAD src0_sel:DWORD src1_sel:BYTE_0
	v_and_b32_e32 v21, s62, v21
	v_lshl_or_b32 v21, v21, 4, v63
	ds_add_u32 v21, v89
	s_or_b32 exec_lo, exec_lo, s16
	s_mov_b32 s16, exec_lo
	v_cmpx_gt_u32_e64 s15, v47
	s_cbranch_execz .LBB92_41
.LBB92_57:                              ;   in Loop: Header=BB92_16 Depth=2
	v_xor_b32_e32 v21, -1, v19
	v_lshrrev_b32_sdwa v21, s61, v21 dst_sel:DWORD dst_unused:UNUSED_PAD src0_sel:DWORD src1_sel:BYTE_0
	v_and_b32_e32 v21, s62, v21
	v_lshl_or_b32 v21, v21, 4, v63
	ds_add_u32 v21, v89
	s_or_b32 exec_lo, exec_lo, s16
	s_mov_b32 s16, exec_lo
	v_cmpx_gt_u32_e64 s15, v48
	s_cbranch_execz .LBB92_42
.LBB92_58:                              ;   in Loop: Header=BB92_16 Depth=2
	v_xor_b32_e32 v21, -1, v18
	v_lshrrev_b32_sdwa v21, s61, v21 dst_sel:DWORD dst_unused:UNUSED_PAD src0_sel:DWORD src1_sel:BYTE_0
	v_and_b32_e32 v21, s62, v21
	v_lshl_or_b32 v21, v21, 4, v63
	ds_add_u32 v21, v89
	s_or_b32 exec_lo, exec_lo, s16
	s_mov_b32 s16, exec_lo
	v_cmpx_gt_u32_e64 s15, v49
	s_cbranch_execz .LBB92_43
.LBB92_59:                              ;   in Loop: Header=BB92_16 Depth=2
	v_xor_b32_e32 v21, -1, v16
	v_lshrrev_b32_sdwa v21, s61, v21 dst_sel:DWORD dst_unused:UNUSED_PAD src0_sel:DWORD src1_sel:BYTE_0
	v_and_b32_e32 v21, s62, v21
	v_lshl_or_b32 v21, v21, 4, v63
	ds_add_u32 v21, v89
	s_or_b32 exec_lo, exec_lo, s16
	s_mov_b32 s16, exec_lo
	v_cmpx_gt_u32_e64 s15, v50
	s_cbranch_execz .LBB92_44
.LBB92_60:                              ;   in Loop: Header=BB92_16 Depth=2
	v_xor_b32_e32 v21, -1, v15
	v_lshrrev_b32_sdwa v21, s61, v21 dst_sel:DWORD dst_unused:UNUSED_PAD src0_sel:DWORD src1_sel:BYTE_0
	v_and_b32_e32 v21, s62, v21
	v_lshl_or_b32 v21, v21, 4, v63
	ds_add_u32 v21, v89
	s_or_b32 exec_lo, exec_lo, s16
	s_mov_b32 s16, exec_lo
	v_cmpx_gt_u32_e64 s15, v51
	s_cbranch_execz .LBB92_45
.LBB92_61:                              ;   in Loop: Header=BB92_16 Depth=2
	v_xor_b32_e32 v21, -1, v14
	v_lshrrev_b32_sdwa v21, s61, v21 dst_sel:DWORD dst_unused:UNUSED_PAD src0_sel:DWORD src1_sel:BYTE_0
	v_and_b32_e32 v21, s62, v21
	v_lshl_or_b32 v21, v21, 4, v63
	ds_add_u32 v21, v89
	s_or_b32 exec_lo, exec_lo, s16
	s_mov_b32 s16, exec_lo
	v_cmpx_gt_u32_e64 s15, v52
	s_cbranch_execz .LBB92_46
.LBB92_62:                              ;   in Loop: Header=BB92_16 Depth=2
	v_xor_b32_e32 v21, -1, v13
	v_lshrrev_b32_sdwa v21, s61, v21 dst_sel:DWORD dst_unused:UNUSED_PAD src0_sel:DWORD src1_sel:BYTE_0
	v_and_b32_e32 v21, s62, v21
	v_lshl_or_b32 v21, v21, 4, v63
	ds_add_u32 v21, v89
	s_or_b32 exec_lo, exec_lo, s16
	s_mov_b32 s16, exec_lo
	v_cmpx_gt_u32_e64 s15, v53
	s_cbranch_execz .LBB92_47
.LBB92_63:                              ;   in Loop: Header=BB92_16 Depth=2
	v_xor_b32_e32 v21, -1, v12
	v_lshrrev_b32_sdwa v21, s61, v21 dst_sel:DWORD dst_unused:UNUSED_PAD src0_sel:DWORD src1_sel:BYTE_0
	v_and_b32_e32 v21, s62, v21
	v_lshl_or_b32 v21, v21, 4, v63
	ds_add_u32 v21, v89
	s_or_b32 exec_lo, exec_lo, s16
	s_mov_b32 s16, exec_lo
	v_cmpx_gt_u32_e64 s15, v54
	s_cbranch_execz .LBB92_48
.LBB92_64:                              ;   in Loop: Header=BB92_16 Depth=2
	v_xor_b32_e32 v21, -1, v11
	v_lshrrev_b32_sdwa v21, s61, v21 dst_sel:DWORD dst_unused:UNUSED_PAD src0_sel:DWORD src1_sel:BYTE_0
	v_and_b32_e32 v21, s62, v21
	v_lshl_or_b32 v21, v21, 4, v63
	ds_add_u32 v21, v89
	s_or_b32 exec_lo, exec_lo, s16
	s_mov_b32 s16, exec_lo
	v_cmpx_gt_u32_e64 s15, v55
	s_cbranch_execz .LBB92_49
.LBB92_65:                              ;   in Loop: Header=BB92_16 Depth=2
	v_xor_b32_e32 v21, -1, v10
	v_lshrrev_b32_sdwa v21, s61, v21 dst_sel:DWORD dst_unused:UNUSED_PAD src0_sel:DWORD src1_sel:BYTE_0
	v_and_b32_e32 v21, s62, v21
	v_lshl_or_b32 v21, v21, 4, v63
	ds_add_u32 v21, v89
	s_or_b32 exec_lo, exec_lo, s16
	s_mov_b32 s16, exec_lo
	v_cmpx_gt_u32_e64 s15, v56
	s_cbranch_execz .LBB92_50
.LBB92_66:                              ;   in Loop: Header=BB92_16 Depth=2
	v_xor_b32_e32 v21, -1, v9
	v_lshrrev_b32_sdwa v21, s61, v21 dst_sel:DWORD dst_unused:UNUSED_PAD src0_sel:DWORD src1_sel:BYTE_0
	v_and_b32_e32 v21, s62, v21
	v_lshl_or_b32 v21, v21, 4, v63
	ds_add_u32 v21, v89
	s_or_b32 exec_lo, exec_lo, s16
	s_mov_b32 s16, exec_lo
	v_cmpx_gt_u32_e64 s15, v57
	s_cbranch_execz .LBB92_51
.LBB92_67:                              ;   in Loop: Header=BB92_16 Depth=2
	v_xor_b32_e32 v21, -1, v8
	v_lshrrev_b32_sdwa v21, s61, v21 dst_sel:DWORD dst_unused:UNUSED_PAD src0_sel:DWORD src1_sel:BYTE_0
	v_and_b32_e32 v21, s62, v21
	v_lshl_or_b32 v21, v21, 4, v63
	ds_add_u32 v21, v89
	s_or_b32 exec_lo, exec_lo, s16
	s_mov_b32 s16, exec_lo
	v_cmpx_gt_u32_e64 s15, v58
	s_cbranch_execz .LBB92_52
.LBB92_68:                              ;   in Loop: Header=BB92_16 Depth=2
	v_xor_b32_e32 v21, -1, v7
	v_lshrrev_b32_sdwa v21, s61, v21 dst_sel:DWORD dst_unused:UNUSED_PAD src0_sel:DWORD src1_sel:BYTE_0
	v_and_b32_e32 v21, s62, v21
	v_lshl_or_b32 v21, v21, 4, v63
	ds_add_u32 v21, v89
	s_or_b32 exec_lo, exec_lo, s16
	s_mov_b32 s16, exec_lo
	v_cmpx_gt_u32_e64 s15, v59
	s_cbranch_execz .LBB92_53
.LBB92_69:                              ;   in Loop: Header=BB92_16 Depth=2
	v_xor_b32_e32 v21, -1, v6
	v_lshrrev_b32_sdwa v21, s61, v21 dst_sel:DWORD dst_unused:UNUSED_PAD src0_sel:DWORD src1_sel:BYTE_0
	v_and_b32_e32 v21, s62, v21
	v_lshl_or_b32 v21, v21, 4, v63
	ds_add_u32 v21, v89
	s_or_b32 exec_lo, exec_lo, s16
	s_mov_b32 s16, exec_lo
	v_cmpx_gt_u32_e64 s15, v60
	s_cbranch_execz .LBB92_54
.LBB92_70:                              ;   in Loop: Header=BB92_16 Depth=2
	v_xor_b32_e32 v21, -1, v5
	v_lshrrev_b32_sdwa v21, s61, v21 dst_sel:DWORD dst_unused:UNUSED_PAD src0_sel:DWORD src1_sel:BYTE_0
	v_and_b32_e32 v21, s62, v21
	v_lshl_or_b32 v21, v21, 4, v63
	ds_add_u32 v21, v89
	s_or_b32 exec_lo, exec_lo, s16
	v_cmp_gt_u32_e32 vcc_lo, s15, v61
	s_and_saveexec_b32 s15, vcc_lo
	s_cbranch_execz .LBB92_15
.LBB92_71:                              ;   in Loop: Header=BB92_16 Depth=2
	v_xor_b32_e32 v21, -1, v3
	v_lshrrev_b32_sdwa v21, s61, v21 dst_sel:DWORD dst_unused:UNUSED_PAD src0_sel:DWORD src1_sel:BYTE_0
	v_and_b32_e32 v21, s62, v21
	v_lshl_or_b32 v21, v21, 4, v63
	ds_add_u32 v21, v89
	s_branch .LBB92_15
.LBB92_72:                              ;   in Loop: Header=BB92_16 Depth=2
	s_waitcnt vmcnt(0)
	v_add_co_u32 v21, s18, s15, v0
	v_add_co_ci_u32_e64 v22, null, s16, 0, s18
	global_load_ubyte v17, v[21:22], off
	s_or_b32 exec_lo, exec_lo, s17
	s_mov_b32 s17, exec_lo
	v_cmpx_gt_u32_e64 s5, v44
	s_cbranch_execz .LBB92_21
.LBB92_73:                              ;   in Loop: Header=BB92_16 Depth=2
	v_add_co_u32 v20, s18, s15, v0
	s_waitcnt vmcnt(0)
	v_add_co_ci_u32_e64 v21, null, s16, 0, s18
	global_load_ubyte v20, v[20:21], off offset:256
	s_or_b32 exec_lo, exec_lo, s17
	s_mov_b32 s17, exec_lo
	v_cmpx_gt_u32_e64 s5, v47
	s_cbranch_execz .LBB92_22
.LBB92_74:                              ;   in Loop: Header=BB92_16 Depth=2
	s_waitcnt vmcnt(0)
	v_add_co_u32 v21, s18, s15, v0
	v_add_co_ci_u32_e64 v22, null, s16, 0, s18
	global_load_ubyte v19, v[21:22], off offset:512
	s_or_b32 exec_lo, exec_lo, s17
	s_mov_b32 s17, exec_lo
	v_cmpx_gt_u32_e64 s5, v48
	s_cbranch_execz .LBB92_23
.LBB92_75:                              ;   in Loop: Header=BB92_16 Depth=2
	s_waitcnt vmcnt(0)
	v_add_co_u32 v21, s18, s15, v0
	v_add_co_ci_u32_e64 v22, null, s16, 0, s18
	global_load_ubyte v18, v[21:22], off offset:768
	s_or_b32 exec_lo, exec_lo, s17
	s_mov_b32 s17, exec_lo
	v_cmpx_gt_u32_e64 s5, v49
	s_cbranch_execz .LBB92_24
.LBB92_76:                              ;   in Loop: Header=BB92_16 Depth=2
	s_waitcnt vmcnt(0)
	v_add_co_u32 v21, s18, s15, v0
	v_add_co_ci_u32_e64 v22, null, s16, 0, s18
	global_load_ubyte v16, v[21:22], off offset:1024
	s_or_b32 exec_lo, exec_lo, s17
	s_mov_b32 s17, exec_lo
	v_cmpx_gt_u32_e64 s5, v50
	s_cbranch_execz .LBB92_25
.LBB92_77:                              ;   in Loop: Header=BB92_16 Depth=2
	s_waitcnt vmcnt(0)
	v_add_co_u32 v21, s18, s15, v0
	v_add_co_ci_u32_e64 v22, null, s16, 0, s18
	global_load_ubyte v15, v[21:22], off offset:1280
	s_or_b32 exec_lo, exec_lo, s17
	s_mov_b32 s17, exec_lo
	v_cmpx_gt_u32_e64 s5, v51
	s_cbranch_execz .LBB92_26
.LBB92_78:                              ;   in Loop: Header=BB92_16 Depth=2
	s_waitcnt vmcnt(0)
	v_add_co_u32 v21, s18, s15, v0
	v_add_co_ci_u32_e64 v22, null, s16, 0, s18
	global_load_ubyte v14, v[21:22], off offset:1536
	s_or_b32 exec_lo, exec_lo, s17
	s_mov_b32 s17, exec_lo
	v_cmpx_gt_u32_e64 s5, v52
	s_cbranch_execz .LBB92_27
.LBB92_79:                              ;   in Loop: Header=BB92_16 Depth=2
	s_waitcnt vmcnt(0)
	v_add_co_u32 v21, s18, s15, v0
	v_add_co_ci_u32_e64 v22, null, s16, 0, s18
	global_load_ubyte v13, v[21:22], off offset:1792
	s_or_b32 exec_lo, exec_lo, s17
	s_mov_b32 s17, exec_lo
	v_cmpx_gt_u32_e64 s5, v53
	s_cbranch_execz .LBB92_28
.LBB92_80:                              ;   in Loop: Header=BB92_16 Depth=2
	s_waitcnt vmcnt(0)
	v_add_co_u32 v21, s18, s15, v53
	v_add_co_ci_u32_e64 v22, null, s16, 0, s18
	global_load_ubyte v12, v[21:22], off
	s_or_b32 exec_lo, exec_lo, s17
	s_mov_b32 s17, exec_lo
	v_cmpx_gt_u32_e64 s5, v54
	s_cbranch_execz .LBB92_29
.LBB92_81:                              ;   in Loop: Header=BB92_16 Depth=2
	s_waitcnt vmcnt(0)
	v_add_co_u32 v21, s18, s15, v54
	v_add_co_ci_u32_e64 v22, null, s16, 0, s18
	global_load_ubyte v11, v[21:22], off
	s_or_b32 exec_lo, exec_lo, s17
	s_mov_b32 s17, exec_lo
	v_cmpx_gt_u32_e64 s5, v55
	s_cbranch_execz .LBB92_30
.LBB92_82:                              ;   in Loop: Header=BB92_16 Depth=2
	s_waitcnt vmcnt(0)
	v_add_co_u32 v21, s18, s15, v55
	v_add_co_ci_u32_e64 v22, null, s16, 0, s18
	global_load_ubyte v10, v[21:22], off
	s_or_b32 exec_lo, exec_lo, s17
	s_mov_b32 s17, exec_lo
	v_cmpx_gt_u32_e64 s5, v56
	s_cbranch_execz .LBB92_31
.LBB92_83:                              ;   in Loop: Header=BB92_16 Depth=2
	s_waitcnt vmcnt(0)
	v_add_co_u32 v21, s18, s15, v56
	v_add_co_ci_u32_e64 v22, null, s16, 0, s18
	global_load_ubyte v9, v[21:22], off
	s_or_b32 exec_lo, exec_lo, s17
	s_mov_b32 s17, exec_lo
	v_cmpx_gt_u32_e64 s5, v57
	s_cbranch_execz .LBB92_32
.LBB92_84:                              ;   in Loop: Header=BB92_16 Depth=2
	s_waitcnt vmcnt(0)
	v_add_co_u32 v21, s18, s15, v57
	v_add_co_ci_u32_e64 v22, null, s16, 0, s18
	global_load_ubyte v8, v[21:22], off
	s_or_b32 exec_lo, exec_lo, s17
	s_mov_b32 s17, exec_lo
	v_cmpx_gt_u32_e64 s5, v58
	s_cbranch_execz .LBB92_33
.LBB92_85:                              ;   in Loop: Header=BB92_16 Depth=2
	s_waitcnt vmcnt(0)
	v_add_co_u32 v21, s18, s15, v58
	v_add_co_ci_u32_e64 v22, null, s16, 0, s18
	global_load_ubyte v7, v[21:22], off
	s_or_b32 exec_lo, exec_lo, s17
	s_mov_b32 s17, exec_lo
	v_cmpx_gt_u32_e64 s5, v59
	s_cbranch_execz .LBB92_34
.LBB92_86:                              ;   in Loop: Header=BB92_16 Depth=2
	s_waitcnt vmcnt(0)
	v_add_co_u32 v21, s18, s15, v59
	v_add_co_ci_u32_e64 v22, null, s16, 0, s18
	global_load_ubyte v6, v[21:22], off
	s_or_b32 exec_lo, exec_lo, s17
	s_mov_b32 s17, exec_lo
	v_cmpx_gt_u32_e64 s5, v60
	s_cbranch_execz .LBB92_35
.LBB92_87:                              ;   in Loop: Header=BB92_16 Depth=2
	s_waitcnt vmcnt(0)
	v_add_co_u32 v21, s18, s15, v60
	v_add_co_ci_u32_e64 v22, null, s16, 0, s18
	global_load_ubyte v5, v[21:22], off
	s_or_b32 exec_lo, exec_lo, s17
	s_mov_b32 s17, exec_lo
	v_cmpx_gt_u32_e64 s5, v61
	s_cbranch_execnz .LBB92_36
	s_branch .LBB92_37
.LBB92_88:                              ;   in Loop: Header=BB92_12 Depth=1
	v_mov_b32_e32 v3, 0
	s_waitcnt lgkmcnt(0)
	s_barrier
	buffer_gl0_inv
	s_and_saveexec_b32 s5, s7
	s_cbranch_execz .LBB92_90
; %bb.89:                               ;   in Loop: Header=BB92_12 Depth=1
	ds_read2_b64 v[5:8], v64 offset1:1
	s_waitcnt lgkmcnt(0)
	v_add_nc_u32_e32 v3, v6, v5
	v_add3_u32 v3, v3, v7, v8
.LBB92_90:                              ;   in Loop: Header=BB92_12 Depth=1
	s_or_b32 exec_lo, exec_lo, s5
	v_and_b32_e32 v5, 15, v86
	v_mov_b32_dpp v6, v3 row_shr:1 row_mask:0xf bank_mask:0xf
	v_and_b32_e32 v7, 16, v86
	v_cmp_eq_u32_e64 s5, 0, v5
	v_cmp_lt_u32_e64 s14, 1, v5
	v_cmp_lt_u32_e64 s15, 3, v5
	;; [unrolled: 1-line block ×3, first 2 shown]
	v_cmp_eq_u32_e64 s17, 0, v7
	v_cndmask_b32_e64 v6, v6, 0, s5
	v_add_nc_u32_e32 v3, v6, v3
	v_mov_b32_dpp v6, v3 row_shr:2 row_mask:0xf bank_mask:0xf
	v_cndmask_b32_e64 v6, 0, v6, s14
	v_add_nc_u32_e32 v3, v3, v6
	v_mov_b32_dpp v6, v3 row_shr:4 row_mask:0xf bank_mask:0xf
	;; [unrolled: 3-line block ×3, first 2 shown]
	v_cndmask_b32_e64 v5, 0, v6, s16
	v_bfe_i32 v6, v86, 4, 1
	v_add_nc_u32_e32 v3, v3, v5
	ds_swizzle_b32 v5, v3 offset:swizzle(BROADCAST,32,15)
	s_waitcnt lgkmcnt(0)
	v_and_b32_e32 v5, v6, v5
	v_add_nc_u32_e32 v3, v3, v5
	s_and_saveexec_b32 s18, s8
; %bb.91:                               ;   in Loop: Header=BB92_12 Depth=1
	ds_write_b32 v65, v3
; %bb.92:                               ;   in Loop: Header=BB92_12 Depth=1
	s_or_b32 exec_lo, exec_lo, s18
	s_waitcnt lgkmcnt(0)
	s_barrier
	buffer_gl0_inv
	s_and_saveexec_b32 s18, s9
	s_cbranch_execz .LBB92_94
; %bb.93:                               ;   in Loop: Header=BB92_12 Depth=1
	ds_read_b32 v5, v66
	v_and_b32_e32 v6, 3, v86
	v_cmp_ne_u32_e32 vcc_lo, 0, v6
	s_waitcnt lgkmcnt(0)
	v_mov_b32_dpp v7, v5 row_shr:1 row_mask:0xf bank_mask:0xf
	v_cndmask_b32_e32 v7, 0, v7, vcc_lo
	v_cmp_lt_u32_e32 vcc_lo, 1, v6
	v_add_nc_u32_e32 v5, v7, v5
	v_mov_b32_dpp v7, v5 row_shr:2 row_mask:0xf bank_mask:0xf
	v_cndmask_b32_e32 v6, 0, v7, vcc_lo
	v_add_nc_u32_e32 v5, v5, v6
	ds_write_b32 v66, v5
.LBB92_94:                              ;   in Loop: Header=BB92_12 Depth=1
	s_or_b32 exec_lo, exec_lo, s18
	v_mov_b32_e32 v5, 0
	s_waitcnt lgkmcnt(0)
	s_barrier
	buffer_gl0_inv
	s_and_saveexec_b32 s18, s10
; %bb.95:                               ;   in Loop: Header=BB92_12 Depth=1
	ds_read_b32 v5, v67
; %bb.96:                               ;   in Loop: Header=BB92_12 Depth=1
	s_or_b32 exec_lo, exec_lo, s18
	v_sub_co_u32 v6, s18, v86, 1
	s_waitcnt lgkmcnt(0)
	v_add_nc_u32_e32 v3, v5, v3
	s_barrier
	v_cmp_gt_i32_e32 vcc_lo, 0, v6
	buffer_gl0_inv
	v_cndmask_b32_e32 v6, v6, v86, vcc_lo
	v_lshlrev_b32_e32 v94, 2, v6
	ds_bpermute_b32 v3, v94, v3
	s_and_saveexec_b32 s19, s7
	s_cbranch_execz .LBB92_98
; %bb.97:                               ;   in Loop: Header=BB92_12 Depth=1
	s_waitcnt lgkmcnt(0)
	v_cndmask_b32_e64 v3, v3, v5, s18
	v_add_nc_u32_e32 v3, s58, v3
	ds_write_b32 v43, v3
.LBB92_98:                              ;   in Loop: Header=BB92_12 Depth=1
	s_or_b32 exec_lo, exec_lo, s19
	s_clause 0x1
	s_load_dword s19, s[56:57], 0x4
	s_load_dword s22, s[56:57], 0xc
	v_and_b32_e32 v5, 7, v86
	v_lshlrev_b32_e32 v6, 3, v86
	v_or_b32_e32 v95, v86, v68
	v_mov_b32_e32 v127, 0
	s_mov_b32 s63, s60
	s_mov_b32 s50, s58
	v_add_co_u32 v96, vcc_lo, v73, v6
	v_add_co_ci_u32_e64 v97, null, 0, v74, vcc_lo
	v_add_nc_u32_e32 v98, 32, v95
	v_add_nc_u32_e32 v99, 64, v95
	v_add_nc_u32_e32 v100, 0x60, v95
	v_add_nc_u32_e32 v101, 0x80, v95
	v_add_nc_u32_e32 v102, 0xa0, v95
	v_add_nc_u32_e32 v103, 0xc0, v95
	v_add_nc_u32_e32 v104, 0xe0, v95
	v_add_nc_u32_e32 v105, 0x100, v95
	s_waitcnt lgkmcnt(0)
	s_cmp_lt_u32 s28, s19
	v_add_nc_u32_e32 v106, 0x120, v95
	s_cselect_b32 s19, 14, 20
	v_add_nc_u32_e32 v107, 0x140, v95
	s_add_u32 s20, s56, s19
	s_addc_u32 s21, s57, 0
	s_and_b32 s22, s22, 0xffff
	global_load_ushort v3, v4, s[20:21]
	v_cmp_eq_u32_e64 s19, 0, v5
	v_cmp_lt_u32_e64 s20, 1, v5
	v_cmp_lt_u32_e64 s21, 3, v5
	v_add_nc_u32_e32 v108, 0x160, v95
	v_add_nc_u32_e32 v109, 0x180, v95
	;; [unrolled: 1-line block ×6, first 2 shown]
                                        ; implicit-def: $vgpr7_vgpr8
                                        ; implicit-def: $vgpr9_vgpr10
                                        ; implicit-def: $vgpr11_vgpr12
                                        ; implicit-def: $vgpr13_vgpr14
                                        ; implicit-def: $vgpr15_vgpr16
                                        ; implicit-def: $vgpr19_vgpr20
                                        ; implicit-def: $vgpr23_vgpr24
                                        ; implicit-def: $vgpr27_vgpr28
                                        ; implicit-def: $vgpr17_vgpr18
                                        ; implicit-def: $vgpr21_vgpr22
                                        ; implicit-def: $vgpr25_vgpr26
                                        ; implicit-def: $vgpr29_vgpr30
                                        ; implicit-def: $vgpr31_vgpr32
                                        ; implicit-def: $vgpr33_vgpr34
                                        ; implicit-def: $vgpr35_vgpr36
                                        ; implicit-def: $vgpr37_vgpr38
                                        ; implicit-def: $vgpr115
                                        ; implicit-def: $vgpr116
                                        ; implicit-def: $vgpr117
                                        ; implicit-def: $vgpr118
                                        ; implicit-def: $vgpr119
                                        ; implicit-def: $vgpr120
                                        ; implicit-def: $vgpr121
                                        ; implicit-def: $vgpr122
                                        ; implicit-def: $vgpr123
                                        ; implicit-def: $vgpr124
                                        ; implicit-def: $vgpr125
                                        ; implicit-def: $vgpr126
                                        ; implicit-def: $vgpr128
                                        ; implicit-def: $vgpr129
                                        ; implicit-def: $vgpr130
                                        ; implicit-def: $vgpr131
                                        ; implicit-def: $vgpr132
                                        ; implicit-def: $vgpr133
                                        ; implicit-def: $vgpr134
	s_waitcnt vmcnt(0)
	v_mad_u32_u24 v3, v2, v3, v1
	v_mad_u64_u32 v[5:6], null, v3, s22, v[0:1]
	v_lshrrev_b32_e32 v3, 3, v5
                                        ; implicit-def: $vgpr5_vgpr6
	v_and_b32_e32 v114, 0x1ffffffc, v3
	s_branch .LBB92_100
.LBB92_99:                              ;   in Loop: Header=BB92_100 Depth=2
	s_or_b32 exec_lo, exec_lo, s22
	s_addk_i32 s63, 0xef00
	s_cmp_lt_u32 s64, s59
	s_mov_b32 s50, s64
	s_cbranch_scc0 .LBB92_322
.LBB92_100:                             ;   Parent Loop BB92_12 Depth=1
                                        ; =>  This Inner Loop Header: Depth=2
	s_add_i32 s64, s50, 0x1100
	s_cmp_gt_u32 s64, s59
	s_cbranch_scc1 .LBB92_102
; %bb.101:                              ;   in Loop: Header=BB92_100 Depth=2
	v_add_co_u32 v39, vcc_lo, v90, s50
	v_add_co_ci_u32_e64 v40, null, 0, v91, vcc_lo
	s_mov_b32 s22, -1
	s_clause 0xf
	global_load_ubyte v42, v[39:40], off offset:480
	global_load_ubyte v41, v[39:40], off offset:448
	;; [unrolled: 1-line block ×15, first 2 shown]
	global_load_ubyte v144, v[39:40], off
	s_movk_i32 s23, 0x1100
	s_cbranch_execz .LBB92_103
	s_branch .LBB92_122
.LBB92_102:                             ;   in Loop: Header=BB92_100 Depth=2
	s_mov_b32 s22, 0
                                        ; implicit-def: $vgpr144
                                        ; implicit-def: $vgpr149
                                        ; implicit-def: $vgpr145
                                        ; implicit-def: $vgpr146
                                        ; implicit-def: $vgpr148
                                        ; implicit-def: $vgpr141
                                        ; implicit-def: $vgpr142
                                        ; implicit-def: $vgpr143
                                        ; implicit-def: $vgpr140
                                        ; implicit-def: $vgpr137
                                        ; implicit-def: $vgpr138
                                        ; implicit-def: $vgpr139
                                        ; implicit-def: $vgpr135
                                        ; implicit-def: $vgpr3
                                        ; implicit-def: $vgpr41
                                        ; implicit-def: $vgpr42
                                        ; implicit-def: $vgpr127
	s_movk_i32 s23, 0x1100
.LBB92_103:                             ;   in Loop: Header=BB92_100 Depth=2
	v_add_co_u32 v39, vcc_lo, v90, s50
	v_add_co_ci_u32_e64 v40, null, 0, v91, vcc_lo
	s_waitcnt vmcnt(2)
	v_mov_b32_e32 v145, 0
	s_waitcnt vmcnt(0)
	v_mov_b32_e32 v144, 0
	v_mov_b32_e32 v146, 0
	;; [unrolled: 1-line block ×15, first 2 shown]
	s_mov_b32 s22, exec_lo
	v_cmpx_gt_u32_e64 s63, v95
	s_cbranch_execz .LBB92_105
; %bb.104:                              ;   in Loop: Header=BB92_100 Depth=2
	global_load_ubyte v144, v[39:40], off
	v_mov_b32_e32 v146, 0
	v_mov_b32_e32 v148, 0
	;; [unrolled: 1-line block ×14, first 2 shown]
.LBB92_105:                             ;   in Loop: Header=BB92_100 Depth=2
	s_or_b32 exec_lo, exec_lo, s22
	v_mov_b32_e32 v149, v145
	s_mov_b32 s22, exec_lo
	v_cmpx_gt_u32_e64 s63, v98
	s_cbranch_execnz .LBB92_308
; %bb.106:                              ;   in Loop: Header=BB92_100 Depth=2
	s_or_b32 exec_lo, exec_lo, s22
	s_mov_b32 s22, exec_lo
	v_cmpx_gt_u32_e64 s63, v99
	s_cbranch_execnz .LBB92_309
.LBB92_107:                             ;   in Loop: Header=BB92_100 Depth=2
	s_or_b32 exec_lo, exec_lo, s22
	s_mov_b32 s22, exec_lo
	v_cmpx_gt_u32_e64 s63, v100
	s_cbranch_execnz .LBB92_310
.LBB92_108:                             ;   in Loop: Header=BB92_100 Depth=2
	s_or_b32 exec_lo, exec_lo, s22
	s_mov_b32 s22, exec_lo
	v_cmpx_gt_u32_e64 s63, v101
	s_cbranch_execnz .LBB92_311
.LBB92_109:                             ;   in Loop: Header=BB92_100 Depth=2
	s_or_b32 exec_lo, exec_lo, s22
	s_mov_b32 s22, exec_lo
	v_cmpx_gt_u32_e64 s63, v102
	s_cbranch_execnz .LBB92_312
.LBB92_110:                             ;   in Loop: Header=BB92_100 Depth=2
	s_or_b32 exec_lo, exec_lo, s22
	s_mov_b32 s22, exec_lo
	v_cmpx_gt_u32_e64 s63, v103
	s_cbranch_execnz .LBB92_313
.LBB92_111:                             ;   in Loop: Header=BB92_100 Depth=2
	s_or_b32 exec_lo, exec_lo, s22
	s_mov_b32 s22, exec_lo
	v_cmpx_gt_u32_e64 s63, v104
	s_cbranch_execnz .LBB92_314
.LBB92_112:                             ;   in Loop: Header=BB92_100 Depth=2
	s_or_b32 exec_lo, exec_lo, s22
	s_mov_b32 s22, exec_lo
	v_cmpx_gt_u32_e64 s63, v105
	s_cbranch_execnz .LBB92_315
.LBB92_113:                             ;   in Loop: Header=BB92_100 Depth=2
	s_or_b32 exec_lo, exec_lo, s22
	s_mov_b32 s22, exec_lo
	v_cmpx_gt_u32_e64 s63, v106
	s_cbranch_execnz .LBB92_316
.LBB92_114:                             ;   in Loop: Header=BB92_100 Depth=2
	s_or_b32 exec_lo, exec_lo, s22
	s_mov_b32 s22, exec_lo
	v_cmpx_gt_u32_e64 s63, v107
	s_cbranch_execnz .LBB92_317
.LBB92_115:                             ;   in Loop: Header=BB92_100 Depth=2
	s_or_b32 exec_lo, exec_lo, s22
	s_mov_b32 s22, exec_lo
	v_cmpx_gt_u32_e64 s63, v108
	s_cbranch_execnz .LBB92_318
.LBB92_116:                             ;   in Loop: Header=BB92_100 Depth=2
	s_or_b32 exec_lo, exec_lo, s22
	s_mov_b32 s22, exec_lo
	v_cmpx_gt_u32_e64 s63, v109
	s_cbranch_execnz .LBB92_319
.LBB92_117:                             ;   in Loop: Header=BB92_100 Depth=2
	s_or_b32 exec_lo, exec_lo, s22
	s_mov_b32 s22, exec_lo
	v_cmpx_gt_u32_e64 s63, v110
	s_cbranch_execnz .LBB92_320
.LBB92_118:                             ;   in Loop: Header=BB92_100 Depth=2
	s_or_b32 exec_lo, exec_lo, s22
	s_mov_b32 s22, exec_lo
	v_cmpx_gt_u32_e64 s63, v111
	s_cbranch_execnz .LBB92_321
.LBB92_119:                             ;   in Loop: Header=BB92_100 Depth=2
	s_or_b32 exec_lo, exec_lo, s22
	s_mov_b32 s22, exec_lo
	v_cmpx_gt_u32_e64 s63, v112
	s_cbranch_execz .LBB92_121
.LBB92_120:                             ;   in Loop: Header=BB92_100 Depth=2
	global_load_ubyte v42, v[39:40], off offset:480
.LBB92_121:                             ;   in Loop: Header=BB92_100 Depth=2
	s_or_b32 exec_lo, exec_lo, s22
	v_cmp_gt_u32_e64 s22, s63, v113
	s_sub_i32 s23, s59, s50
.LBB92_122:                             ;   in Loop: Header=BB92_100 Depth=2
	v_mov_b32_e32 v136, s63
	s_and_saveexec_b32 s24, s22
	s_cbranch_execz .LBB92_124
; %bb.123:                              ;   in Loop: Header=BB92_100 Depth=2
	v_add_co_u32 v39, vcc_lo, v90, s50
	v_add_co_ci_u32_e64 v40, null, s51, v91, vcc_lo
	v_mov_b32_e32 v136, s23
	global_load_ubyte v127, v[39:40], off offset:512
.LBB92_124:                             ;   in Loop: Header=BB92_100 Depth=2
	s_or_b32 exec_lo, exec_lo, s24
	s_waitcnt vmcnt(0)
	v_xor_b32_e32 v39, -1, v144
	ds_write2_b32 v69, v4, v4 offset0:136 offset1:137
	ds_write2_b32 v69, v4, v4 offset0:138 offset1:139
	ds_write_b32 v69, v4 offset:560
	s_waitcnt lgkmcnt(0)
	s_barrier
	v_and_b32_sdwa v40, v92, v39 dst_sel:DWORD dst_unused:UNUSED_PAD src0_sel:DWORD src1_sel:BYTE_0
	buffer_gl0_inv
	; wave barrier
	v_lshrrev_b32_e32 v40, s61, v40
	v_and_b32_e32 v147, s62, v40
	v_and_b32_e32 v40, 1, v147
	v_lshlrev_b32_e32 v144, 30, v147
	v_lshlrev_b32_e32 v150, 29, v147
	v_lshlrev_b32_e32 v152, 28, v147
	v_lshlrev_b32_e32 v153, 27, v147
	v_add_co_u32 v40, s22, v40, -1
	v_cndmask_b32_e64 v151, 0, 1, s22
	v_not_b32_e32 v155, v144
	v_cmp_gt_i32_e64 s22, 0, v144
	v_not_b32_e32 v144, v150
	v_lshlrev_b32_e32 v154, 26, v147
	v_cmp_ne_u32_e32 vcc_lo, 0, v151
	v_ashrrev_i32_e32 v155, 31, v155
	v_lshlrev_b32_e32 v151, 25, v147
	v_ashrrev_i32_e32 v144, 31, v144
	v_mul_u32_u24_e32 v147, 36, v147
	v_xor_b32_e32 v40, vcc_lo, v40
	v_cmp_gt_i32_e32 vcc_lo, 0, v150
	v_not_b32_e32 v150, v152
	v_xor_b32_e32 v155, s22, v155
	v_cmp_gt_i32_e64 s22, 0, v152
	v_and_b32_e32 v40, exec_lo, v40
	v_not_b32_e32 v152, v153
	v_ashrrev_i32_e32 v150, 31, v150
	v_xor_b32_e32 v144, vcc_lo, v144
	v_cmp_gt_i32_e32 vcc_lo, 0, v153
	v_and_b32_e32 v40, v40, v155
	v_not_b32_e32 v153, v154
	v_ashrrev_i32_e32 v152, 31, v152
	v_xor_b32_e32 v150, s22, v150
	v_cmp_gt_i32_e64 s22, 0, v154
	v_and_b32_e32 v40, v40, v144
	v_not_b32_e32 v144, v151
	v_ashrrev_i32_e32 v153, 31, v153
	v_xor_b32_e32 v152, vcc_lo, v152
	v_cmp_gt_i32_e32 vcc_lo, 0, v151
	v_and_b32_e32 v40, v40, v150
	v_ashrrev_i32_e32 v144, 31, v144
	v_xor_b32_e32 v150, s22, v153
	v_add_nc_u32_e32 v147, v114, v147
	v_and_b32_e32 v40, v40, v152
	v_xor_b32_e32 v144, vcc_lo, v144
	v_and_b32_e32 v40, v40, v150
	v_and_b32_e32 v40, v40, v144
	v_mbcnt_lo_u32_b32 v144, v40, 0
	v_cmp_ne_u32_e64 s22, 0, v40
	v_cmp_eq_u32_e32 vcc_lo, 0, v144
	s_and_b32 s23, s22, vcc_lo
	s_and_saveexec_b32 s22, s23
; %bb.125:                              ;   in Loop: Header=BB92_100 Depth=2
	v_bcnt_u32_b32 v40, v40, 0
	ds_write_b32 v147, v40 offset:544
; %bb.126:                              ;   in Loop: Header=BB92_100 Depth=2
	s_or_b32 exec_lo, exec_lo, s22
	v_xor_b32_sdwa v40, v149, v93 dst_sel:BYTE_1 dst_unused:UNUSED_PAD src0_sel:DWORD src1_sel:DWORD
	v_xor_b32_e32 v149, -1, v145
	v_xor_b32_sdwa v146, v146, v93 dst_sel:BYTE_1 dst_unused:UNUSED_PAD src0_sel:DWORD src1_sel:DWORD
	; wave barrier
	v_or_b32_sdwa v145, v39, v40 dst_sel:DWORD dst_unused:UNUSED_PAD src0_sel:BYTE_0 src1_sel:DWORD
	v_or_b32_sdwa v39, v149, v146 dst_sel:WORD_1 dst_unused:UNUSED_PAD src0_sel:BYTE_0 src1_sel:DWORD
	v_or_b32_sdwa v146, v145, v39 dst_sel:DWORD dst_unused:UNUSED_PAD src0_sel:WORD_0 src1_sel:DWORD
	v_lshrrev_b32_sdwa v39, s61, v146 dst_sel:DWORD dst_unused:UNUSED_PAD src0_sel:DWORD src1_sel:BYTE_1
	v_and_b32_e32 v40, s62, v39
	v_and_b32_e32 v39, 1, v40
	v_lshlrev_b32_e32 v149, 30, v40
	v_lshlrev_b32_e32 v150, 29, v40
	;; [unrolled: 1-line block ×4, first 2 shown]
	v_add_co_u32 v39, s22, v39, -1
	v_cndmask_b32_e64 v151, 0, 1, s22
	v_not_b32_e32 v155, v149
	v_cmp_gt_i32_e64 s22, 0, v149
	v_not_b32_e32 v149, v150
	v_lshlrev_b32_e32 v154, 26, v40
	v_cmp_ne_u32_e32 vcc_lo, 0, v151
	v_ashrrev_i32_e32 v155, 31, v155
	v_lshlrev_b32_e32 v151, 25, v40
	v_ashrrev_i32_e32 v149, 31, v149
	v_xor_b32_e32 v39, vcc_lo, v39
	v_cmp_gt_i32_e32 vcc_lo, 0, v150
	v_not_b32_e32 v150, v152
	v_xor_b32_e32 v155, s22, v155
	v_cmp_gt_i32_e64 s22, 0, v152
	v_and_b32_e32 v39, exec_lo, v39
	v_not_b32_e32 v152, v153
	v_ashrrev_i32_e32 v150, 31, v150
	v_xor_b32_e32 v149, vcc_lo, v149
	v_cmp_gt_i32_e32 vcc_lo, 0, v153
	v_and_b32_e32 v39, v39, v155
	v_not_b32_e32 v153, v154
	v_ashrrev_i32_e32 v152, 31, v152
	v_xor_b32_e32 v150, s22, v150
	v_cmp_gt_i32_e64 s22, 0, v154
	v_and_b32_e32 v39, v39, v149
	v_not_b32_e32 v149, v151
	v_ashrrev_i32_e32 v153, 31, v153
	v_xor_b32_e32 v152, vcc_lo, v152
	v_cmp_gt_i32_e32 vcc_lo, 0, v151
	v_and_b32_e32 v39, v39, v150
	v_ashrrev_i32_e32 v149, 31, v149
	v_xor_b32_e32 v150, s22, v153
	v_mad_u32_u24 v151, v40, 36, v114
	v_mul_u32_u24_e32 v40, 36, v40
	v_and_b32_e32 v39, v39, v152
	v_xor_b32_e32 v152, vcc_lo, v149
	ds_read_b32 v149, v151 offset:544
	v_add_nc_u32_e32 v151, v114, v40
	v_and_b32_e32 v39, v39, v150
	; wave barrier
	v_and_b32_e32 v39, v39, v152
	v_mbcnt_lo_u32_b32 v150, v39, 0
	v_cmp_ne_u32_e64 s22, 0, v39
	v_cmp_eq_u32_e32 vcc_lo, 0, v150
	s_and_b32 s23, s22, vcc_lo
	s_and_saveexec_b32 s22, s23
	s_cbranch_execz .LBB92_128
; %bb.127:                              ;   in Loop: Header=BB92_100 Depth=2
	s_waitcnt lgkmcnt(0)
	v_bcnt_u32_b32 v39, v39, v149
	ds_write_b32 v151, v39 offset:544
.LBB92_128:                             ;   in Loop: Header=BB92_100 Depth=2
	s_or_b32 exec_lo, exec_lo, s22
	v_lshrrev_b32_sdwa v39, s61, v146 dst_sel:DWORD dst_unused:UNUSED_PAD src0_sel:DWORD src1_sel:BYTE_2
	; wave barrier
	v_and_b32_e32 v40, s62, v39
	v_and_b32_e32 v39, 1, v40
	v_lshlrev_b32_e32 v152, 30, v40
	v_lshlrev_b32_e32 v153, 29, v40
	;; [unrolled: 1-line block ×4, first 2 shown]
	v_add_co_u32 v39, s22, v39, -1
	v_cndmask_b32_e64 v154, 0, 1, s22
	v_not_b32_e32 v158, v152
	v_cmp_gt_i32_e64 s22, 0, v152
	v_not_b32_e32 v152, v153
	v_lshlrev_b32_e32 v157, 26, v40
	v_cmp_ne_u32_e32 vcc_lo, 0, v154
	v_ashrrev_i32_e32 v158, 31, v158
	v_lshlrev_b32_e32 v154, 25, v40
	v_ashrrev_i32_e32 v152, 31, v152
	v_xor_b32_e32 v39, vcc_lo, v39
	v_cmp_gt_i32_e32 vcc_lo, 0, v153
	v_not_b32_e32 v153, v155
	v_xor_b32_e32 v158, s22, v158
	v_cmp_gt_i32_e64 s22, 0, v155
	v_and_b32_e32 v39, exec_lo, v39
	v_not_b32_e32 v155, v156
	v_ashrrev_i32_e32 v153, 31, v153
	v_xor_b32_e32 v152, vcc_lo, v152
	v_cmp_gt_i32_e32 vcc_lo, 0, v156
	v_and_b32_e32 v39, v39, v158
	v_not_b32_e32 v156, v157
	v_ashrrev_i32_e32 v155, 31, v155
	v_xor_b32_e32 v153, s22, v153
	v_cmp_gt_i32_e64 s22, 0, v157
	v_and_b32_e32 v39, v39, v152
	v_not_b32_e32 v152, v154
	v_ashrrev_i32_e32 v156, 31, v156
	v_xor_b32_e32 v155, vcc_lo, v155
	v_cmp_gt_i32_e32 vcc_lo, 0, v154
	v_and_b32_e32 v39, v39, v153
	v_ashrrev_i32_e32 v152, 31, v152
	v_xor_b32_e32 v153, s22, v156
	v_mad_u32_u24 v154, v40, 36, v114
	v_mul_u32_u24_e32 v40, 36, v40
	v_and_b32_e32 v39, v39, v155
	v_xor_b32_e32 v155, vcc_lo, v152
	ds_read_b32 v152, v154 offset:544
	v_and_b32_e32 v39, v39, v153
	; wave barrier
	v_and_b32_e32 v39, v39, v155
	v_add_nc_u32_e32 v155, v114, v40
	v_mbcnt_lo_u32_b32 v153, v39, 0
	v_cmp_ne_u32_e64 s22, 0, v39
	v_cmp_eq_u32_e32 vcc_lo, 0, v153
	s_and_b32 s23, s22, vcc_lo
	s_and_saveexec_b32 s22, s23
	s_cbranch_execz .LBB92_130
; %bb.129:                              ;   in Loop: Header=BB92_100 Depth=2
	s_waitcnt lgkmcnt(0)
	v_bcnt_u32_b32 v39, v39, v152
	ds_write_b32 v155, v39 offset:544
.LBB92_130:                             ;   in Loop: Header=BB92_100 Depth=2
	s_or_b32 exec_lo, exec_lo, s22
	v_lshrrev_b32_e32 v154, 24, v146
	; wave barrier
	v_lshrrev_b32_e32 v39, s61, v154
	v_and_b32_e32 v40, s62, v39
	v_and_b32_e32 v39, 1, v40
	v_lshlrev_b32_e32 v156, 30, v40
	v_lshlrev_b32_e32 v157, 29, v40
	;; [unrolled: 1-line block ×4, first 2 shown]
	v_add_co_u32 v39, s22, v39, -1
	v_cndmask_b32_e64 v158, 0, 1, s22
	v_not_b32_e32 v162, v156
	v_cmp_gt_i32_e64 s22, 0, v156
	v_not_b32_e32 v156, v157
	v_lshlrev_b32_e32 v161, 26, v40
	v_cmp_ne_u32_e32 vcc_lo, 0, v158
	v_ashrrev_i32_e32 v162, 31, v162
	v_lshlrev_b32_e32 v158, 25, v40
	v_ashrrev_i32_e32 v156, 31, v156
	v_xor_b32_e32 v39, vcc_lo, v39
	v_cmp_gt_i32_e32 vcc_lo, 0, v157
	v_not_b32_e32 v157, v159
	v_xor_b32_e32 v162, s22, v162
	v_cmp_gt_i32_e64 s22, 0, v159
	v_and_b32_e32 v39, exec_lo, v39
	v_not_b32_e32 v159, v160
	v_ashrrev_i32_e32 v157, 31, v157
	v_xor_b32_e32 v156, vcc_lo, v156
	v_cmp_gt_i32_e32 vcc_lo, 0, v160
	v_and_b32_e32 v39, v39, v162
	v_not_b32_e32 v160, v161
	v_ashrrev_i32_e32 v159, 31, v159
	v_xor_b32_e32 v157, s22, v157
	v_cmp_gt_i32_e64 s22, 0, v161
	v_and_b32_e32 v39, v39, v156
	v_not_b32_e32 v156, v158
	v_ashrrev_i32_e32 v160, 31, v160
	v_xor_b32_e32 v159, vcc_lo, v159
	v_cmp_gt_i32_e32 vcc_lo, 0, v158
	v_and_b32_e32 v39, v39, v157
	v_ashrrev_i32_e32 v156, 31, v156
	v_xor_b32_e32 v157, s22, v160
	v_mad_u32_u24 v158, v40, 36, v114
	v_mul_u32_u24_e32 v40, 36, v40
	v_and_b32_e32 v39, v39, v159
	v_xor_b32_e32 v159, vcc_lo, v156
	ds_read_b32 v156, v158 offset:544
	v_add_nc_u32_e32 v158, v114, v40
	v_and_b32_e32 v39, v39, v157
	; wave barrier
	v_and_b32_e32 v39, v39, v159
	v_mbcnt_lo_u32_b32 v157, v39, 0
	v_cmp_ne_u32_e64 s22, 0, v39
	v_cmp_eq_u32_e32 vcc_lo, 0, v157
	s_and_b32 s23, s22, vcc_lo
	s_and_saveexec_b32 s22, s23
	s_cbranch_execz .LBB92_132
; %bb.131:                              ;   in Loop: Header=BB92_100 Depth=2
	s_waitcnt lgkmcnt(0)
	v_bcnt_u32_b32 v39, v39, v156
	ds_write_b32 v158, v39 offset:544
.LBB92_132:                             ;   in Loop: Header=BB92_100 Depth=2
	s_or_b32 exec_lo, exec_lo, s22
	v_xor_b32_e32 v39, -1, v148
	; wave barrier
	v_and_b32_sdwa v40, v92, v39 dst_sel:DWORD dst_unused:UNUSED_PAD src0_sel:DWORD src1_sel:BYTE_0
	v_lshrrev_b32_e32 v40, s61, v40
	v_and_b32_e32 v160, s62, v40
	v_and_b32_e32 v40, 1, v160
	v_lshlrev_b32_e32 v148, 30, v160
	v_lshlrev_b32_e32 v159, 29, v160
	;; [unrolled: 1-line block ×4, first 2 shown]
	v_add_co_u32 v40, s22, v40, -1
	v_cndmask_b32_e64 v161, 0, 1, s22
	v_not_b32_e32 v165, v148
	v_cmp_gt_i32_e64 s22, 0, v148
	v_not_b32_e32 v148, v159
	v_lshlrev_b32_e32 v164, 26, v160
	v_cmp_ne_u32_e32 vcc_lo, 0, v161
	v_ashrrev_i32_e32 v165, 31, v165
	v_lshlrev_b32_e32 v161, 25, v160
	v_ashrrev_i32_e32 v148, 31, v148
	v_xor_b32_e32 v40, vcc_lo, v40
	v_cmp_gt_i32_e32 vcc_lo, 0, v159
	v_not_b32_e32 v159, v162
	v_xor_b32_e32 v165, s22, v165
	v_cmp_gt_i32_e64 s22, 0, v162
	v_and_b32_e32 v40, exec_lo, v40
	v_not_b32_e32 v162, v163
	v_ashrrev_i32_e32 v159, 31, v159
	v_xor_b32_e32 v148, vcc_lo, v148
	v_cmp_gt_i32_e32 vcc_lo, 0, v163
	v_and_b32_e32 v40, v40, v165
	v_not_b32_e32 v163, v164
	v_ashrrev_i32_e32 v162, 31, v162
	v_xor_b32_e32 v159, s22, v159
	v_cmp_gt_i32_e64 s22, 0, v164
	v_and_b32_e32 v40, v40, v148
	v_not_b32_e32 v148, v161
	v_ashrrev_i32_e32 v163, 31, v163
	v_xor_b32_e32 v162, vcc_lo, v162
	v_cmp_gt_i32_e32 vcc_lo, 0, v161
	v_and_b32_e32 v40, v40, v159
	v_ashrrev_i32_e32 v148, 31, v148
	v_xor_b32_e32 v159, s22, v163
	v_mad_u32_u24 v161, v160, 36, v114
	v_mul_u32_u24_e32 v160, 36, v160
	v_and_b32_e32 v40, v40, v162
	v_xor_b32_e32 v162, vcc_lo, v148
	ds_read_b32 v148, v161 offset:544
	v_add_nc_u32_e32 v160, v114, v160
	v_and_b32_e32 v40, v40, v159
	; wave barrier
	v_and_b32_e32 v40, v40, v162
	v_mbcnt_lo_u32_b32 v159, v40, 0
	v_cmp_ne_u32_e64 s22, 0, v40
	v_cmp_eq_u32_e32 vcc_lo, 0, v159
	s_and_b32 s23, s22, vcc_lo
	s_and_saveexec_b32 s22, s23
	s_cbranch_execz .LBB92_134
; %bb.133:                              ;   in Loop: Header=BB92_100 Depth=2
	s_waitcnt lgkmcnt(0)
	v_bcnt_u32_b32 v40, v40, v148
	ds_write_b32 v160, v40 offset:544
.LBB92_134:                             ;   in Loop: Header=BB92_100 Depth=2
	s_or_b32 exec_lo, exec_lo, s22
	v_xor_b32_sdwa v40, v141, v93 dst_sel:BYTE_1 dst_unused:UNUSED_PAD src0_sel:DWORD src1_sel:DWORD
	v_xor_b32_e32 v142, -1, v142
	v_xor_b32_sdwa v143, v143, v93 dst_sel:BYTE_1 dst_unused:UNUSED_PAD src0_sel:DWORD src1_sel:DWORD
	; wave barrier
	v_or_b32_sdwa v141, v39, v40 dst_sel:DWORD dst_unused:UNUSED_PAD src0_sel:BYTE_0 src1_sel:DWORD
	v_or_b32_sdwa v39, v142, v143 dst_sel:WORD_1 dst_unused:UNUSED_PAD src0_sel:BYTE_0 src1_sel:DWORD
	v_or_b32_sdwa v142, v141, v39 dst_sel:DWORD dst_unused:UNUSED_PAD src0_sel:WORD_0 src1_sel:DWORD
	v_lshrrev_b32_sdwa v39, s61, v142 dst_sel:DWORD dst_unused:UNUSED_PAD src0_sel:DWORD src1_sel:BYTE_1
	v_and_b32_e32 v40, s62, v39
	v_and_b32_e32 v39, 1, v40
	v_lshlrev_b32_e32 v143, 30, v40
	v_lshlrev_b32_e32 v161, 29, v40
	;; [unrolled: 1-line block ×4, first 2 shown]
	v_add_co_u32 v39, s22, v39, -1
	v_cndmask_b32_e64 v162, 0, 1, s22
	v_not_b32_e32 v166, v143
	v_cmp_gt_i32_e64 s22, 0, v143
	v_not_b32_e32 v143, v161
	v_lshlrev_b32_e32 v165, 26, v40
	v_cmp_ne_u32_e32 vcc_lo, 0, v162
	v_ashrrev_i32_e32 v166, 31, v166
	v_lshlrev_b32_e32 v162, 25, v40
	v_ashrrev_i32_e32 v143, 31, v143
	v_xor_b32_e32 v39, vcc_lo, v39
	v_cmp_gt_i32_e32 vcc_lo, 0, v161
	v_not_b32_e32 v161, v163
	v_xor_b32_e32 v166, s22, v166
	v_cmp_gt_i32_e64 s22, 0, v163
	v_and_b32_e32 v39, exec_lo, v39
	v_not_b32_e32 v163, v164
	v_ashrrev_i32_e32 v161, 31, v161
	v_xor_b32_e32 v143, vcc_lo, v143
	v_cmp_gt_i32_e32 vcc_lo, 0, v164
	v_and_b32_e32 v39, v39, v166
	v_not_b32_e32 v164, v165
	v_ashrrev_i32_e32 v163, 31, v163
	v_xor_b32_e32 v161, s22, v161
	v_cmp_gt_i32_e64 s22, 0, v165
	v_and_b32_e32 v39, v39, v143
	v_not_b32_e32 v143, v162
	v_ashrrev_i32_e32 v164, 31, v164
	v_xor_b32_e32 v163, vcc_lo, v163
	v_cmp_gt_i32_e32 vcc_lo, 0, v162
	v_and_b32_e32 v39, v39, v161
	v_ashrrev_i32_e32 v143, 31, v143
	v_xor_b32_e32 v161, s22, v164
	v_mad_u32_u24 v162, v40, 36, v114
	v_mul_u32_u24_e32 v40, 36, v40
	v_and_b32_e32 v39, v39, v163
	v_xor_b32_e32 v163, vcc_lo, v143
	ds_read_b32 v143, v162 offset:544
	v_add_nc_u32_e32 v162, v114, v40
	v_and_b32_e32 v39, v39, v161
	; wave barrier
	v_and_b32_e32 v39, v39, v163
	v_mbcnt_lo_u32_b32 v161, v39, 0
	v_cmp_ne_u32_e64 s22, 0, v39
	v_cmp_eq_u32_e32 vcc_lo, 0, v161
	s_and_b32 s23, s22, vcc_lo
	s_and_saveexec_b32 s22, s23
	s_cbranch_execz .LBB92_136
; %bb.135:                              ;   in Loop: Header=BB92_100 Depth=2
	s_waitcnt lgkmcnt(0)
	v_bcnt_u32_b32 v39, v39, v143
	ds_write_b32 v162, v39 offset:544
.LBB92_136:                             ;   in Loop: Header=BB92_100 Depth=2
	s_or_b32 exec_lo, exec_lo, s22
	v_lshrrev_b32_sdwa v39, s61, v142 dst_sel:DWORD dst_unused:UNUSED_PAD src0_sel:DWORD src1_sel:BYTE_2
	; wave barrier
	v_and_b32_e32 v40, s62, v39
	v_and_b32_e32 v39, 1, v40
	v_lshlrev_b32_e32 v163, 30, v40
	v_lshlrev_b32_e32 v164, 29, v40
	;; [unrolled: 1-line block ×4, first 2 shown]
	v_add_co_u32 v39, s22, v39, -1
	v_cndmask_b32_e64 v165, 0, 1, s22
	v_not_b32_e32 v169, v163
	v_cmp_gt_i32_e64 s22, 0, v163
	v_not_b32_e32 v163, v164
	v_lshlrev_b32_e32 v168, 26, v40
	v_cmp_ne_u32_e32 vcc_lo, 0, v165
	v_ashrrev_i32_e32 v169, 31, v169
	v_lshlrev_b32_e32 v165, 25, v40
	v_ashrrev_i32_e32 v163, 31, v163
	v_xor_b32_e32 v39, vcc_lo, v39
	v_cmp_gt_i32_e32 vcc_lo, 0, v164
	v_not_b32_e32 v164, v166
	v_xor_b32_e32 v169, s22, v169
	v_cmp_gt_i32_e64 s22, 0, v166
	v_and_b32_e32 v39, exec_lo, v39
	v_not_b32_e32 v166, v167
	v_ashrrev_i32_e32 v164, 31, v164
	v_xor_b32_e32 v163, vcc_lo, v163
	v_cmp_gt_i32_e32 vcc_lo, 0, v167
	v_and_b32_e32 v39, v39, v169
	v_not_b32_e32 v167, v168
	v_ashrrev_i32_e32 v166, 31, v166
	v_xor_b32_e32 v164, s22, v164
	v_cmp_gt_i32_e64 s22, 0, v168
	v_and_b32_e32 v39, v39, v163
	v_not_b32_e32 v163, v165
	v_ashrrev_i32_e32 v167, 31, v167
	v_xor_b32_e32 v166, vcc_lo, v166
	v_cmp_gt_i32_e32 vcc_lo, 0, v165
	v_and_b32_e32 v39, v39, v164
	v_ashrrev_i32_e32 v163, 31, v163
	v_xor_b32_e32 v164, s22, v167
	v_mad_u32_u24 v165, v40, 36, v114
	v_mul_u32_u24_e32 v40, 36, v40
	v_and_b32_e32 v39, v39, v166
	v_xor_b32_e32 v166, vcc_lo, v163
	ds_read_b32 v163, v165 offset:544
	v_and_b32_e32 v39, v39, v164
	; wave barrier
	v_and_b32_e32 v39, v39, v166
	v_add_nc_u32_e32 v166, v114, v40
	v_mbcnt_lo_u32_b32 v164, v39, 0
	v_cmp_ne_u32_e64 s22, 0, v39
	v_cmp_eq_u32_e32 vcc_lo, 0, v164
	s_and_b32 s23, s22, vcc_lo
	s_and_saveexec_b32 s22, s23
	s_cbranch_execz .LBB92_138
; %bb.137:                              ;   in Loop: Header=BB92_100 Depth=2
	s_waitcnt lgkmcnt(0)
	v_bcnt_u32_b32 v39, v39, v163
	ds_write_b32 v166, v39 offset:544
.LBB92_138:                             ;   in Loop: Header=BB92_100 Depth=2
	s_or_b32 exec_lo, exec_lo, s22
	v_lshrrev_b32_e32 v165, 24, v142
	; wave barrier
	v_lshrrev_b32_e32 v39, s61, v165
	v_and_b32_e32 v40, s62, v39
	v_and_b32_e32 v39, 1, v40
	v_lshlrev_b32_e32 v167, 30, v40
	v_lshlrev_b32_e32 v168, 29, v40
	;; [unrolled: 1-line block ×4, first 2 shown]
	v_add_co_u32 v39, s22, v39, -1
	v_cndmask_b32_e64 v169, 0, 1, s22
	v_not_b32_e32 v173, v167
	v_cmp_gt_i32_e64 s22, 0, v167
	v_not_b32_e32 v167, v168
	v_lshlrev_b32_e32 v172, 26, v40
	v_cmp_ne_u32_e32 vcc_lo, 0, v169
	v_ashrrev_i32_e32 v173, 31, v173
	v_lshlrev_b32_e32 v169, 25, v40
	v_ashrrev_i32_e32 v167, 31, v167
	v_xor_b32_e32 v39, vcc_lo, v39
	v_cmp_gt_i32_e32 vcc_lo, 0, v168
	v_not_b32_e32 v168, v170
	v_xor_b32_e32 v173, s22, v173
	v_cmp_gt_i32_e64 s22, 0, v170
	v_and_b32_e32 v39, exec_lo, v39
	v_not_b32_e32 v170, v171
	v_ashrrev_i32_e32 v168, 31, v168
	v_xor_b32_e32 v167, vcc_lo, v167
	v_cmp_gt_i32_e32 vcc_lo, 0, v171
	v_and_b32_e32 v39, v39, v173
	v_not_b32_e32 v171, v172
	v_ashrrev_i32_e32 v170, 31, v170
	v_xor_b32_e32 v168, s22, v168
	v_cmp_gt_i32_e64 s22, 0, v172
	v_and_b32_e32 v39, v39, v167
	v_not_b32_e32 v167, v169
	v_ashrrev_i32_e32 v171, 31, v171
	v_xor_b32_e32 v170, vcc_lo, v170
	v_cmp_gt_i32_e32 vcc_lo, 0, v169
	v_and_b32_e32 v39, v39, v168
	v_ashrrev_i32_e32 v167, 31, v167
	v_xor_b32_e32 v168, s22, v171
	v_mad_u32_u24 v169, v40, 36, v114
	v_mul_u32_u24_e32 v40, 36, v40
	v_and_b32_e32 v39, v39, v170
	v_xor_b32_e32 v170, vcc_lo, v167
	ds_read_b32 v167, v169 offset:544
	v_add_nc_u32_e32 v169, v114, v40
	v_and_b32_e32 v39, v39, v168
	; wave barrier
	v_and_b32_e32 v39, v39, v170
	v_mbcnt_lo_u32_b32 v168, v39, 0
	v_cmp_ne_u32_e64 s22, 0, v39
	v_cmp_eq_u32_e32 vcc_lo, 0, v168
	s_and_b32 s23, s22, vcc_lo
	s_and_saveexec_b32 s22, s23
	s_cbranch_execz .LBB92_140
; %bb.139:                              ;   in Loop: Header=BB92_100 Depth=2
	s_waitcnt lgkmcnt(0)
	v_bcnt_u32_b32 v39, v39, v167
	ds_write_b32 v169, v39 offset:544
.LBB92_140:                             ;   in Loop: Header=BB92_100 Depth=2
	s_or_b32 exec_lo, exec_lo, s22
	v_xor_b32_e32 v39, -1, v140
	; wave barrier
	v_and_b32_sdwa v40, v92, v39 dst_sel:DWORD dst_unused:UNUSED_PAD src0_sel:DWORD src1_sel:BYTE_0
	v_lshrrev_b32_e32 v40, s61, v40
	v_and_b32_e32 v171, s62, v40
	v_and_b32_e32 v40, 1, v171
	v_lshlrev_b32_e32 v140, 30, v171
	v_lshlrev_b32_e32 v170, 29, v171
	;; [unrolled: 1-line block ×4, first 2 shown]
	v_add_co_u32 v40, s22, v40, -1
	v_cndmask_b32_e64 v172, 0, 1, s22
	v_not_b32_e32 v176, v140
	v_cmp_gt_i32_e64 s22, 0, v140
	v_not_b32_e32 v140, v170
	v_lshlrev_b32_e32 v175, 26, v171
	v_cmp_ne_u32_e32 vcc_lo, 0, v172
	v_ashrrev_i32_e32 v176, 31, v176
	v_lshlrev_b32_e32 v172, 25, v171
	v_ashrrev_i32_e32 v140, 31, v140
	v_xor_b32_e32 v40, vcc_lo, v40
	v_cmp_gt_i32_e32 vcc_lo, 0, v170
	v_not_b32_e32 v170, v173
	v_xor_b32_e32 v176, s22, v176
	v_cmp_gt_i32_e64 s22, 0, v173
	v_and_b32_e32 v40, exec_lo, v40
	v_not_b32_e32 v173, v174
	v_ashrrev_i32_e32 v170, 31, v170
	v_xor_b32_e32 v140, vcc_lo, v140
	v_cmp_gt_i32_e32 vcc_lo, 0, v174
	v_and_b32_e32 v40, v40, v176
	v_not_b32_e32 v174, v175
	v_ashrrev_i32_e32 v173, 31, v173
	v_xor_b32_e32 v170, s22, v170
	v_cmp_gt_i32_e64 s22, 0, v175
	v_and_b32_e32 v40, v40, v140
	v_not_b32_e32 v140, v172
	v_ashrrev_i32_e32 v174, 31, v174
	v_xor_b32_e32 v173, vcc_lo, v173
	v_cmp_gt_i32_e32 vcc_lo, 0, v172
	v_and_b32_e32 v40, v40, v170
	v_ashrrev_i32_e32 v140, 31, v140
	v_xor_b32_e32 v170, s22, v174
	v_mad_u32_u24 v172, v171, 36, v114
	v_mul_u32_u24_e32 v171, 36, v171
	v_and_b32_e32 v40, v40, v173
	v_xor_b32_e32 v173, vcc_lo, v140
	ds_read_b32 v140, v172 offset:544
	v_add_nc_u32_e32 v171, v114, v171
	v_and_b32_e32 v40, v40, v170
	; wave barrier
	v_and_b32_e32 v40, v40, v173
	v_mbcnt_lo_u32_b32 v170, v40, 0
	v_cmp_ne_u32_e64 s22, 0, v40
	v_cmp_eq_u32_e32 vcc_lo, 0, v170
	s_and_b32 s23, s22, vcc_lo
	s_and_saveexec_b32 s22, s23
	s_cbranch_execz .LBB92_142
; %bb.141:                              ;   in Loop: Header=BB92_100 Depth=2
	s_waitcnt lgkmcnt(0)
	v_bcnt_u32_b32 v40, v40, v140
	ds_write_b32 v171, v40 offset:544
.LBB92_142:                             ;   in Loop: Header=BB92_100 Depth=2
	s_or_b32 exec_lo, exec_lo, s22
	v_xor_b32_sdwa v40, v137, v93 dst_sel:BYTE_1 dst_unused:UNUSED_PAD src0_sel:DWORD src1_sel:DWORD
	v_xor_b32_e32 v138, -1, v138
	v_xor_b32_sdwa v139, v139, v93 dst_sel:BYTE_1 dst_unused:UNUSED_PAD src0_sel:DWORD src1_sel:DWORD
	; wave barrier
	v_or_b32_sdwa v137, v39, v40 dst_sel:DWORD dst_unused:UNUSED_PAD src0_sel:BYTE_0 src1_sel:DWORD
	v_or_b32_sdwa v39, v138, v139 dst_sel:WORD_1 dst_unused:UNUSED_PAD src0_sel:BYTE_0 src1_sel:DWORD
	v_or_b32_sdwa v138, v137, v39 dst_sel:DWORD dst_unused:UNUSED_PAD src0_sel:WORD_0 src1_sel:DWORD
	v_lshrrev_b32_sdwa v39, s61, v138 dst_sel:DWORD dst_unused:UNUSED_PAD src0_sel:DWORD src1_sel:BYTE_1
	v_and_b32_e32 v40, s62, v39
	v_and_b32_e32 v39, 1, v40
	v_lshlrev_b32_e32 v139, 30, v40
	v_lshlrev_b32_e32 v172, 29, v40
	;; [unrolled: 1-line block ×4, first 2 shown]
	v_add_co_u32 v39, s22, v39, -1
	v_cndmask_b32_e64 v173, 0, 1, s22
	v_not_b32_e32 v177, v139
	v_cmp_gt_i32_e64 s22, 0, v139
	v_not_b32_e32 v139, v172
	v_lshlrev_b32_e32 v176, 26, v40
	v_cmp_ne_u32_e32 vcc_lo, 0, v173
	v_ashrrev_i32_e32 v177, 31, v177
	v_lshlrev_b32_e32 v173, 25, v40
	v_ashrrev_i32_e32 v139, 31, v139
	v_xor_b32_e32 v39, vcc_lo, v39
	v_cmp_gt_i32_e32 vcc_lo, 0, v172
	v_not_b32_e32 v172, v174
	v_xor_b32_e32 v177, s22, v177
	v_cmp_gt_i32_e64 s22, 0, v174
	v_and_b32_e32 v39, exec_lo, v39
	v_not_b32_e32 v174, v175
	v_ashrrev_i32_e32 v172, 31, v172
	v_xor_b32_e32 v139, vcc_lo, v139
	v_cmp_gt_i32_e32 vcc_lo, 0, v175
	v_and_b32_e32 v39, v39, v177
	v_not_b32_e32 v175, v176
	v_ashrrev_i32_e32 v174, 31, v174
	v_xor_b32_e32 v172, s22, v172
	v_cmp_gt_i32_e64 s22, 0, v176
	v_and_b32_e32 v39, v39, v139
	v_not_b32_e32 v139, v173
	v_ashrrev_i32_e32 v175, 31, v175
	v_xor_b32_e32 v174, vcc_lo, v174
	v_cmp_gt_i32_e32 vcc_lo, 0, v173
	v_and_b32_e32 v39, v39, v172
	v_ashrrev_i32_e32 v139, 31, v139
	v_xor_b32_e32 v172, s22, v175
	v_mad_u32_u24 v173, v40, 36, v114
	v_mul_u32_u24_e32 v40, 36, v40
	v_and_b32_e32 v39, v39, v174
	v_xor_b32_e32 v174, vcc_lo, v139
	ds_read_b32 v139, v173 offset:544
	v_add_nc_u32_e32 v173, v114, v40
	v_and_b32_e32 v39, v39, v172
	; wave barrier
	v_and_b32_e32 v39, v39, v174
	v_mbcnt_lo_u32_b32 v172, v39, 0
	v_cmp_ne_u32_e64 s22, 0, v39
	v_cmp_eq_u32_e32 vcc_lo, 0, v172
	s_and_b32 s23, s22, vcc_lo
	s_and_saveexec_b32 s22, s23
	s_cbranch_execz .LBB92_144
; %bb.143:                              ;   in Loop: Header=BB92_100 Depth=2
	s_waitcnt lgkmcnt(0)
	v_bcnt_u32_b32 v39, v39, v139
	ds_write_b32 v173, v39 offset:544
.LBB92_144:                             ;   in Loop: Header=BB92_100 Depth=2
	s_or_b32 exec_lo, exec_lo, s22
	v_lshrrev_b32_sdwa v39, s61, v138 dst_sel:DWORD dst_unused:UNUSED_PAD src0_sel:DWORD src1_sel:BYTE_2
	; wave barrier
	v_and_b32_e32 v40, s62, v39
	v_and_b32_e32 v39, 1, v40
	v_lshlrev_b32_e32 v174, 30, v40
	v_lshlrev_b32_e32 v175, 29, v40
	;; [unrolled: 1-line block ×4, first 2 shown]
	v_add_co_u32 v39, s22, v39, -1
	v_cndmask_b32_e64 v176, 0, 1, s22
	v_not_b32_e32 v180, v174
	v_cmp_gt_i32_e64 s22, 0, v174
	v_not_b32_e32 v174, v175
	v_lshlrev_b32_e32 v179, 26, v40
	v_cmp_ne_u32_e32 vcc_lo, 0, v176
	v_ashrrev_i32_e32 v180, 31, v180
	v_lshlrev_b32_e32 v176, 25, v40
	v_ashrrev_i32_e32 v174, 31, v174
	v_xor_b32_e32 v39, vcc_lo, v39
	v_cmp_gt_i32_e32 vcc_lo, 0, v175
	v_not_b32_e32 v175, v177
	v_xor_b32_e32 v180, s22, v180
	v_cmp_gt_i32_e64 s22, 0, v177
	v_and_b32_e32 v39, exec_lo, v39
	v_not_b32_e32 v177, v178
	v_ashrrev_i32_e32 v175, 31, v175
	v_xor_b32_e32 v174, vcc_lo, v174
	v_cmp_gt_i32_e32 vcc_lo, 0, v178
	v_and_b32_e32 v39, v39, v180
	v_not_b32_e32 v178, v179
	v_ashrrev_i32_e32 v177, 31, v177
	v_xor_b32_e32 v175, s22, v175
	v_cmp_gt_i32_e64 s22, 0, v179
	v_and_b32_e32 v39, v39, v174
	v_not_b32_e32 v174, v176
	v_ashrrev_i32_e32 v178, 31, v178
	v_xor_b32_e32 v177, vcc_lo, v177
	v_cmp_gt_i32_e32 vcc_lo, 0, v176
	v_and_b32_e32 v39, v39, v175
	v_ashrrev_i32_e32 v174, 31, v174
	v_xor_b32_e32 v175, s22, v178
	v_mad_u32_u24 v176, v40, 36, v114
	v_mul_u32_u24_e32 v40, 36, v40
	v_and_b32_e32 v39, v39, v177
	v_xor_b32_e32 v177, vcc_lo, v174
	ds_read_b32 v174, v176 offset:544
	v_and_b32_e32 v39, v39, v175
	; wave barrier
	v_and_b32_e32 v39, v39, v177
	v_add_nc_u32_e32 v177, v114, v40
	v_mbcnt_lo_u32_b32 v175, v39, 0
	v_cmp_ne_u32_e64 s22, 0, v39
	v_cmp_eq_u32_e32 vcc_lo, 0, v175
	s_and_b32 s23, s22, vcc_lo
	s_and_saveexec_b32 s22, s23
	s_cbranch_execz .LBB92_146
; %bb.145:                              ;   in Loop: Header=BB92_100 Depth=2
	s_waitcnt lgkmcnt(0)
	v_bcnt_u32_b32 v39, v39, v174
	ds_write_b32 v177, v39 offset:544
.LBB92_146:                             ;   in Loop: Header=BB92_100 Depth=2
	s_or_b32 exec_lo, exec_lo, s22
	v_lshrrev_b32_e32 v176, 24, v138
	; wave barrier
	v_lshrrev_b32_e32 v39, s61, v176
	v_and_b32_e32 v40, s62, v39
	v_and_b32_e32 v39, 1, v40
	v_lshlrev_b32_e32 v178, 30, v40
	v_lshlrev_b32_e32 v179, 29, v40
	;; [unrolled: 1-line block ×4, first 2 shown]
	v_add_co_u32 v39, s22, v39, -1
	v_cndmask_b32_e64 v180, 0, 1, s22
	v_not_b32_e32 v184, v178
	v_cmp_gt_i32_e64 s22, 0, v178
	v_not_b32_e32 v178, v179
	v_lshlrev_b32_e32 v183, 26, v40
	v_cmp_ne_u32_e32 vcc_lo, 0, v180
	v_ashrrev_i32_e32 v184, 31, v184
	v_lshlrev_b32_e32 v180, 25, v40
	v_ashrrev_i32_e32 v178, 31, v178
	v_xor_b32_e32 v39, vcc_lo, v39
	v_cmp_gt_i32_e32 vcc_lo, 0, v179
	v_not_b32_e32 v179, v181
	v_xor_b32_e32 v184, s22, v184
	v_cmp_gt_i32_e64 s22, 0, v181
	v_and_b32_e32 v39, exec_lo, v39
	v_not_b32_e32 v181, v182
	v_ashrrev_i32_e32 v179, 31, v179
	v_xor_b32_e32 v178, vcc_lo, v178
	v_cmp_gt_i32_e32 vcc_lo, 0, v182
	v_and_b32_e32 v39, v39, v184
	v_not_b32_e32 v182, v183
	v_ashrrev_i32_e32 v181, 31, v181
	v_xor_b32_e32 v179, s22, v179
	v_cmp_gt_i32_e64 s22, 0, v183
	v_and_b32_e32 v39, v39, v178
	v_not_b32_e32 v178, v180
	v_ashrrev_i32_e32 v182, 31, v182
	v_xor_b32_e32 v181, vcc_lo, v181
	v_cmp_gt_i32_e32 vcc_lo, 0, v180
	v_and_b32_e32 v39, v39, v179
	v_ashrrev_i32_e32 v178, 31, v178
	v_xor_b32_e32 v179, s22, v182
	v_mad_u32_u24 v180, v40, 36, v114
	v_mul_u32_u24_e32 v40, 36, v40
	v_and_b32_e32 v39, v39, v181
	v_xor_b32_e32 v181, vcc_lo, v178
	ds_read_b32 v178, v180 offset:544
	v_add_nc_u32_e32 v180, v114, v40
	v_and_b32_e32 v39, v39, v179
	; wave barrier
	v_and_b32_e32 v39, v39, v181
	v_mbcnt_lo_u32_b32 v179, v39, 0
	v_cmp_ne_u32_e64 s22, 0, v39
	v_cmp_eq_u32_e32 vcc_lo, 0, v179
	s_and_b32 s23, s22, vcc_lo
	s_and_saveexec_b32 s22, s23
	s_cbranch_execz .LBB92_148
; %bb.147:                              ;   in Loop: Header=BB92_100 Depth=2
	s_waitcnt lgkmcnt(0)
	v_bcnt_u32_b32 v39, v39, v178
	ds_write_b32 v180, v39 offset:544
.LBB92_148:                             ;   in Loop: Header=BB92_100 Depth=2
	s_or_b32 exec_lo, exec_lo, s22
	v_xor_b32_e32 v39, -1, v135
	; wave barrier
	v_and_b32_sdwa v40, v92, v39 dst_sel:DWORD dst_unused:UNUSED_PAD src0_sel:DWORD src1_sel:BYTE_0
	v_lshrrev_b32_e32 v40, s61, v40
	v_and_b32_e32 v182, s62, v40
	v_and_b32_e32 v40, 1, v182
	v_lshlrev_b32_e32 v135, 30, v182
	v_lshlrev_b32_e32 v181, 29, v182
	;; [unrolled: 1-line block ×4, first 2 shown]
	v_add_co_u32 v40, s22, v40, -1
	v_cndmask_b32_e64 v183, 0, 1, s22
	v_not_b32_e32 v187, v135
	v_cmp_gt_i32_e64 s22, 0, v135
	v_not_b32_e32 v135, v181
	v_lshlrev_b32_e32 v186, 26, v182
	v_cmp_ne_u32_e32 vcc_lo, 0, v183
	v_ashrrev_i32_e32 v187, 31, v187
	v_lshlrev_b32_e32 v183, 25, v182
	v_ashrrev_i32_e32 v135, 31, v135
	v_xor_b32_e32 v40, vcc_lo, v40
	v_cmp_gt_i32_e32 vcc_lo, 0, v181
	v_not_b32_e32 v181, v184
	v_xor_b32_e32 v187, s22, v187
	v_cmp_gt_i32_e64 s22, 0, v184
	v_and_b32_e32 v40, exec_lo, v40
	v_not_b32_e32 v184, v185
	v_ashrrev_i32_e32 v181, 31, v181
	v_xor_b32_e32 v135, vcc_lo, v135
	v_cmp_gt_i32_e32 vcc_lo, 0, v185
	v_and_b32_e32 v40, v40, v187
	v_not_b32_e32 v185, v186
	v_ashrrev_i32_e32 v184, 31, v184
	v_xor_b32_e32 v181, s22, v181
	v_cmp_gt_i32_e64 s22, 0, v186
	v_and_b32_e32 v40, v40, v135
	v_not_b32_e32 v135, v183
	v_ashrrev_i32_e32 v185, 31, v185
	v_xor_b32_e32 v184, vcc_lo, v184
	v_cmp_gt_i32_e32 vcc_lo, 0, v183
	v_and_b32_e32 v40, v40, v181
	v_ashrrev_i32_e32 v135, 31, v135
	v_xor_b32_e32 v181, s22, v185
	v_mad_u32_u24 v183, v182, 36, v114
	v_mul_u32_u24_e32 v182, 36, v182
	v_and_b32_e32 v40, v40, v184
	v_xor_b32_e32 v184, vcc_lo, v135
	ds_read_b32 v135, v183 offset:544
	v_add_nc_u32_e32 v183, v114, v182
	v_and_b32_e32 v40, v40, v181
	; wave barrier
	v_and_b32_e32 v40, v40, v184
	v_mbcnt_lo_u32_b32 v181, v40, 0
	v_cmp_ne_u32_e64 s22, 0, v40
	v_cmp_eq_u32_e32 vcc_lo, 0, v181
	s_and_b32 s23, s22, vcc_lo
	s_and_saveexec_b32 s22, s23
	s_cbranch_execz .LBB92_150
; %bb.149:                              ;   in Loop: Header=BB92_100 Depth=2
	s_waitcnt lgkmcnt(0)
	v_bcnt_u32_b32 v40, v40, v135
	ds_write_b32 v183, v40 offset:544
.LBB92_150:                             ;   in Loop: Header=BB92_100 Depth=2
	s_or_b32 exec_lo, exec_lo, s22
	v_xor_b32_sdwa v3, v3, v93 dst_sel:BYTE_1 dst_unused:UNUSED_PAD src0_sel:DWORD src1_sel:DWORD
	v_xor_b32_e32 v40, -1, v41
	v_xor_b32_sdwa v41, v42, v93 dst_sel:BYTE_1 dst_unused:UNUSED_PAD src0_sel:DWORD src1_sel:DWORD
	; wave barrier
	v_or_b32_sdwa v182, v39, v3 dst_sel:DWORD dst_unused:UNUSED_PAD src0_sel:BYTE_0 src1_sel:DWORD
	v_or_b32_sdwa v3, v40, v41 dst_sel:WORD_1 dst_unused:UNUSED_PAD src0_sel:BYTE_0 src1_sel:DWORD
	v_or_b32_sdwa v3, v182, v3 dst_sel:DWORD dst_unused:UNUSED_PAD src0_sel:WORD_0 src1_sel:DWORD
	v_lshrrev_b32_sdwa v39, s61, v3 dst_sel:DWORD dst_unused:UNUSED_PAD src0_sel:DWORD src1_sel:BYTE_1
	v_and_b32_e32 v40, s62, v39
	v_and_b32_e32 v39, 1, v40
	v_lshlrev_b32_e32 v41, 30, v40
	v_lshlrev_b32_e32 v42, 29, v40
	;; [unrolled: 1-line block ×4, first 2 shown]
	v_add_co_u32 v39, s22, v39, -1
	v_cndmask_b32_e64 v184, 0, 1, s22
	v_not_b32_e32 v188, v41
	v_cmp_gt_i32_e64 s22, 0, v41
	v_not_b32_e32 v41, v42
	v_lshlrev_b32_e32 v187, 26, v40
	v_cmp_ne_u32_e32 vcc_lo, 0, v184
	v_ashrrev_i32_e32 v188, 31, v188
	v_lshlrev_b32_e32 v184, 25, v40
	v_ashrrev_i32_e32 v41, 31, v41
	v_xor_b32_e32 v39, vcc_lo, v39
	v_cmp_gt_i32_e32 vcc_lo, 0, v42
	v_not_b32_e32 v42, v185
	v_xor_b32_e32 v188, s22, v188
	v_cmp_gt_i32_e64 s22, 0, v185
	v_and_b32_e32 v39, exec_lo, v39
	v_not_b32_e32 v185, v186
	v_ashrrev_i32_e32 v42, 31, v42
	v_xor_b32_e32 v41, vcc_lo, v41
	v_cmp_gt_i32_e32 vcc_lo, 0, v186
	v_and_b32_e32 v39, v39, v188
	v_not_b32_e32 v186, v187
	v_ashrrev_i32_e32 v185, 31, v185
	v_xor_b32_e32 v42, s22, v42
	v_cmp_gt_i32_e64 s22, 0, v187
	v_and_b32_e32 v39, v39, v41
	v_not_b32_e32 v41, v184
	v_ashrrev_i32_e32 v186, 31, v186
	v_xor_b32_e32 v185, vcc_lo, v185
	v_cmp_gt_i32_e32 vcc_lo, 0, v184
	v_and_b32_e32 v39, v39, v42
	v_ashrrev_i32_e32 v41, 31, v41
	v_xor_b32_e32 v42, s22, v186
	v_mad_u32_u24 v184, v40, 36, v114
	v_mul_u32_u24_e32 v40, 36, v40
	v_and_b32_e32 v39, v39, v185
	v_xor_b32_e32 v41, vcc_lo, v41
	ds_read_b32 v184, v184 offset:544
	v_add_nc_u32_e32 v186, v114, v40
	v_and_b32_e32 v39, v39, v42
	; wave barrier
	v_and_b32_e32 v39, v39, v41
	v_mbcnt_lo_u32_b32 v185, v39, 0
	v_cmp_ne_u32_e64 s22, 0, v39
	v_cmp_eq_u32_e32 vcc_lo, 0, v185
	s_and_b32 s23, s22, vcc_lo
	s_and_saveexec_b32 s22, s23
	s_cbranch_execz .LBB92_152
; %bb.151:                              ;   in Loop: Header=BB92_100 Depth=2
	s_waitcnt lgkmcnt(0)
	v_bcnt_u32_b32 v39, v39, v184
	ds_write_b32 v186, v39 offset:544
.LBB92_152:                             ;   in Loop: Header=BB92_100 Depth=2
	s_or_b32 exec_lo, exec_lo, s22
	v_lshrrev_b32_sdwa v39, s61, v3 dst_sel:DWORD dst_unused:UNUSED_PAD src0_sel:DWORD src1_sel:BYTE_2
	; wave barrier
	v_and_b32_e32 v40, s62, v39
	v_and_b32_e32 v39, 1, v40
	v_lshlrev_b32_e32 v41, 30, v40
	v_lshlrev_b32_e32 v42, 29, v40
	;; [unrolled: 1-line block ×4, first 2 shown]
	v_add_co_u32 v39, s22, v39, -1
	v_cndmask_b32_e64 v187, 0, 1, s22
	v_not_b32_e32 v191, v41
	v_cmp_gt_i32_e64 s22, 0, v41
	v_not_b32_e32 v41, v42
	v_lshlrev_b32_e32 v190, 26, v40
	v_cmp_ne_u32_e32 vcc_lo, 0, v187
	v_ashrrev_i32_e32 v191, 31, v191
	v_lshlrev_b32_e32 v187, 25, v40
	v_ashrrev_i32_e32 v41, 31, v41
	v_xor_b32_e32 v39, vcc_lo, v39
	v_cmp_gt_i32_e32 vcc_lo, 0, v42
	v_not_b32_e32 v42, v188
	v_xor_b32_e32 v191, s22, v191
	v_cmp_gt_i32_e64 s22, 0, v188
	v_and_b32_e32 v39, exec_lo, v39
	v_not_b32_e32 v188, v189
	v_ashrrev_i32_e32 v42, 31, v42
	v_xor_b32_e32 v41, vcc_lo, v41
	v_cmp_gt_i32_e32 vcc_lo, 0, v189
	v_and_b32_e32 v39, v39, v191
	v_not_b32_e32 v189, v190
	v_ashrrev_i32_e32 v188, 31, v188
	v_xor_b32_e32 v42, s22, v42
	v_cmp_gt_i32_e64 s22, 0, v190
	v_and_b32_e32 v39, v39, v41
	v_not_b32_e32 v41, v187
	v_ashrrev_i32_e32 v189, 31, v189
	v_xor_b32_e32 v188, vcc_lo, v188
	v_cmp_gt_i32_e32 vcc_lo, 0, v187
	v_and_b32_e32 v39, v39, v42
	v_ashrrev_i32_e32 v41, 31, v41
	v_xor_b32_e32 v42, s22, v189
	v_mad_u32_u24 v187, v40, 36, v114
	v_mul_u32_u24_e32 v40, 36, v40
	v_and_b32_e32 v39, v39, v188
	v_xor_b32_e32 v41, vcc_lo, v41
	ds_read_b32 v187, v187 offset:544
	v_add_nc_u32_e32 v190, v114, v40
	v_and_b32_e32 v39, v39, v42
	; wave barrier
	v_and_b32_e32 v39, v39, v41
	v_mbcnt_lo_u32_b32 v188, v39, 0
	v_cmp_ne_u32_e64 s22, 0, v39
	v_cmp_eq_u32_e32 vcc_lo, 0, v188
	s_and_b32 s23, s22, vcc_lo
	s_and_saveexec_b32 s22, s23
	s_cbranch_execz .LBB92_154
; %bb.153:                              ;   in Loop: Header=BB92_100 Depth=2
	s_waitcnt lgkmcnt(0)
	v_bcnt_u32_b32 v39, v39, v187
	ds_write_b32 v190, v39 offset:544
.LBB92_154:                             ;   in Loop: Header=BB92_100 Depth=2
	s_or_b32 exec_lo, exec_lo, s22
	v_lshrrev_b32_e32 v189, 24, v3
	; wave barrier
	v_lshrrev_b32_e32 v39, s61, v189
	v_and_b32_e32 v40, s62, v39
	v_and_b32_e32 v39, 1, v40
	v_lshlrev_b32_e32 v41, 30, v40
	v_lshlrev_b32_e32 v42, 29, v40
	;; [unrolled: 1-line block ×4, first 2 shown]
	v_add_co_u32 v39, s22, v39, -1
	v_cndmask_b32_e64 v191, 0, 1, s22
	v_not_b32_e32 v195, v41
	v_cmp_gt_i32_e64 s22, 0, v41
	v_not_b32_e32 v41, v42
	v_lshlrev_b32_e32 v194, 26, v40
	v_cmp_ne_u32_e32 vcc_lo, 0, v191
	v_ashrrev_i32_e32 v195, 31, v195
	v_lshlrev_b32_e32 v191, 25, v40
	v_ashrrev_i32_e32 v41, 31, v41
	v_xor_b32_e32 v39, vcc_lo, v39
	v_cmp_gt_i32_e32 vcc_lo, 0, v42
	v_not_b32_e32 v42, v192
	v_xor_b32_e32 v195, s22, v195
	v_cmp_gt_i32_e64 s22, 0, v192
	v_and_b32_e32 v39, exec_lo, v39
	v_not_b32_e32 v192, v193
	v_ashrrev_i32_e32 v42, 31, v42
	v_xor_b32_e32 v41, vcc_lo, v41
	v_cmp_gt_i32_e32 vcc_lo, 0, v193
	v_and_b32_e32 v39, v39, v195
	v_not_b32_e32 v193, v194
	v_ashrrev_i32_e32 v192, 31, v192
	v_xor_b32_e32 v42, s22, v42
	v_cmp_gt_i32_e64 s22, 0, v194
	v_and_b32_e32 v39, v39, v41
	v_not_b32_e32 v41, v191
	v_ashrrev_i32_e32 v193, 31, v193
	v_xor_b32_e32 v192, vcc_lo, v192
	v_cmp_gt_i32_e32 vcc_lo, 0, v191
	v_and_b32_e32 v39, v39, v42
	v_ashrrev_i32_e32 v41, 31, v41
	v_xor_b32_e32 v42, s22, v193
	v_mad_u32_u24 v191, v40, 36, v114
	v_mul_u32_u24_e32 v40, 36, v40
	v_and_b32_e32 v39, v39, v192
	v_xor_b32_e32 v41, vcc_lo, v41
	ds_read_b32 v191, v191 offset:544
	v_add_nc_u32_e32 v193, v114, v40
	v_and_b32_e32 v39, v39, v42
	; wave barrier
	v_and_b32_e32 v39, v39, v41
	v_mbcnt_lo_u32_b32 v192, v39, 0
	v_cmp_ne_u32_e64 s22, 0, v39
	v_cmp_eq_u32_e32 vcc_lo, 0, v192
	s_and_b32 s23, s22, vcc_lo
	s_and_saveexec_b32 s22, s23
	s_cbranch_execz .LBB92_156
; %bb.155:                              ;   in Loop: Header=BB92_100 Depth=2
	s_waitcnt lgkmcnt(0)
	v_bcnt_u32_b32 v39, v39, v191
	ds_write_b32 v193, v39 offset:544
.LBB92_156:                             ;   in Loop: Header=BB92_100 Depth=2
	s_or_b32 exec_lo, exec_lo, s22
	v_xor_b32_e32 v127, -1, v127
	; wave barrier
	v_lshrrev_b32_sdwa v39, s61, v127 dst_sel:DWORD dst_unused:UNUSED_PAD src0_sel:DWORD src1_sel:BYTE_0
	v_and_b32_e32 v40, s62, v39
	v_and_b32_e32 v39, 1, v40
	v_lshlrev_b32_e32 v41, 30, v40
	v_lshlrev_b32_e32 v42, 29, v40
	;; [unrolled: 1-line block ×4, first 2 shown]
	v_add_co_u32 v39, s22, v39, -1
	v_cndmask_b32_e64 v194, 0, 1, s22
	v_not_b32_e32 v198, v41
	v_cmp_gt_i32_e64 s22, 0, v41
	v_not_b32_e32 v41, v42
	v_lshlrev_b32_e32 v197, 26, v40
	v_cmp_ne_u32_e32 vcc_lo, 0, v194
	v_ashrrev_i32_e32 v198, 31, v198
	v_lshlrev_b32_e32 v194, 25, v40
	v_ashrrev_i32_e32 v41, 31, v41
	v_xor_b32_e32 v39, vcc_lo, v39
	v_cmp_gt_i32_e32 vcc_lo, 0, v42
	v_not_b32_e32 v42, v195
	v_xor_b32_e32 v198, s22, v198
	v_cmp_gt_i32_e64 s22, 0, v195
	v_and_b32_e32 v39, exec_lo, v39
	v_not_b32_e32 v195, v196
	v_ashrrev_i32_e32 v42, 31, v42
	v_xor_b32_e32 v41, vcc_lo, v41
	v_cmp_gt_i32_e32 vcc_lo, 0, v196
	v_and_b32_e32 v39, v39, v198
	v_not_b32_e32 v196, v197
	v_ashrrev_i32_e32 v195, 31, v195
	v_xor_b32_e32 v42, s22, v42
	v_cmp_gt_i32_e64 s22, 0, v197
	v_and_b32_e32 v39, v39, v41
	v_not_b32_e32 v41, v194
	v_ashrrev_i32_e32 v196, 31, v196
	v_xor_b32_e32 v195, vcc_lo, v195
	v_cmp_gt_i32_e32 vcc_lo, 0, v194
	v_and_b32_e32 v39, v39, v42
	v_ashrrev_i32_e32 v41, 31, v41
	v_xor_b32_e32 v42, s22, v196
	v_mad_u32_u24 v194, v40, 36, v114
	v_mul_u32_u24_e32 v40, 36, v40
	v_and_b32_e32 v39, v39, v195
	v_xor_b32_e32 v41, vcc_lo, v41
	ds_read_b32 v194, v194 offset:544
	v_add_nc_u32_e32 v196, v114, v40
	v_and_b32_e32 v39, v39, v42
	; wave barrier
	v_and_b32_e32 v39, v39, v41
	v_mbcnt_lo_u32_b32 v195, v39, 0
	v_cmp_ne_u32_e64 s22, 0, v39
	v_cmp_eq_u32_e32 vcc_lo, 0, v195
	s_and_b32 s23, s22, vcc_lo
	s_and_saveexec_b32 s22, s23
	s_cbranch_execz .LBB92_158
; %bb.157:                              ;   in Loop: Header=BB92_100 Depth=2
	s_waitcnt lgkmcnt(0)
	v_bcnt_u32_b32 v39, v39, v194
	ds_write_b32 v196, v39 offset:544
.LBB92_158:                             ;   in Loop: Header=BB92_100 Depth=2
	s_or_b32 exec_lo, exec_lo, s22
	; wave barrier
	s_waitcnt lgkmcnt(0)
	s_barrier
	buffer_gl0_inv
	ds_read2_b32 v[41:42], v69 offset0:136 offset1:137
	ds_read2_b32 v[39:40], v69 offset0:138 offset1:139
	ds_read_b32 v197, v69 offset:560
	s_waitcnt lgkmcnt(1)
	v_add3_u32 v198, v42, v41, v39
	s_waitcnt lgkmcnt(0)
	v_add3_u32 v197, v198, v40, v197
	v_mov_b32_dpp v198, v197 row_shr:1 row_mask:0xf bank_mask:0xf
	v_cndmask_b32_e64 v198, v198, 0, s5
	v_add_nc_u32_e32 v197, v198, v197
	v_mov_b32_dpp v198, v197 row_shr:2 row_mask:0xf bank_mask:0xf
	v_cndmask_b32_e64 v198, 0, v198, s14
	v_add_nc_u32_e32 v197, v197, v198
	;; [unrolled: 3-line block ×4, first 2 shown]
	ds_swizzle_b32 v198, v197 offset:swizzle(BROADCAST,32,15)
	s_waitcnt lgkmcnt(0)
	v_cndmask_b32_e64 v198, v198, 0, s17
	v_add_nc_u32_e32 v197, v197, v198
	s_and_saveexec_b32 s22, s4
; %bb.159:                              ;   in Loop: Header=BB92_100 Depth=2
	ds_write_b32 v62, v197 offset:512
; %bb.160:                              ;   in Loop: Header=BB92_100 Depth=2
	s_or_b32 exec_lo, exec_lo, s22
	s_waitcnt lgkmcnt(0)
	s_barrier
	buffer_gl0_inv
	s_and_saveexec_b32 s22, s11
	s_cbranch_execz .LBB92_162
; %bb.161:                              ;   in Loop: Header=BB92_100 Depth=2
	ds_read_b32 v198, v70 offset:512
	s_waitcnt lgkmcnt(0)
	v_mov_b32_dpp v199, v198 row_shr:1 row_mask:0xf bank_mask:0xf
	v_cndmask_b32_e64 v199, v199, 0, s19
	v_add_nc_u32_e32 v198, v199, v198
	v_mov_b32_dpp v199, v198 row_shr:2 row_mask:0xf bank_mask:0xf
	v_cndmask_b32_e64 v199, 0, v199, s20
	v_add_nc_u32_e32 v198, v198, v199
	;; [unrolled: 3-line block ×3, first 2 shown]
	ds_write_b32 v70, v198 offset:512
.LBB92_162:                             ;   in Loop: Header=BB92_100 Depth=2
	s_or_b32 exec_lo, exec_lo, s22
	v_mov_b32_e32 v198, 0
	s_waitcnt lgkmcnt(0)
	s_barrier
	buffer_gl0_inv
	s_and_saveexec_b32 s22, s10
; %bb.163:                              ;   in Loop: Header=BB92_100 Depth=2
	ds_read_b32 v198, v62 offset:508
; %bb.164:                              ;   in Loop: Header=BB92_100 Depth=2
	s_or_b32 exec_lo, exec_lo, s22
	s_waitcnt lgkmcnt(0)
	v_add_nc_u32_e32 v197, v198, v197
	ds_bpermute_b32 v197, v94, v197
	s_waitcnt lgkmcnt(0)
	v_cndmask_b32_e64 v197, v197, v198, s18
	v_cndmask_b32_e64 v197, v197, 0, s12
	v_add_nc_u32_e32 v41, v197, v41
	v_add_nc_u32_e32 v42, v41, v42
	;; [unrolled: 1-line block ×4, first 2 shown]
	ds_write2_b32 v69, v197, v41 offset0:136 offset1:137
	ds_write2_b32 v69, v42, v39 offset0:138 offset1:139
	ds_write_b32 v69, v40 offset:560
	s_waitcnt lgkmcnt(0)
	s_barrier
	buffer_gl0_inv
	ds_read_b32 v39, v147 offset:544
	ds_read_b32 v40, v151 offset:544
	ds_read_b32 v41, v155 offset:544
	ds_read_b32 v42, v158 offset:544
	ds_read_b32 v147, v160 offset:544
	ds_read_b32 v158, v162 offset:544
	ds_read_b32 v160, v166 offset:544
	ds_read_b32 v162, v169 offset:544
	ds_read_b32 v166, v171 offset:544
	ds_read_b32 v169, v173 offset:544
	ds_read_b32 v171, v177 offset:544
	ds_read_b32 v173, v180 offset:544
	ds_read_b32 v177, v183 offset:544
	ds_read_b32 v180, v186 offset:544
	ds_read_b32 v183, v190 offset:544
	ds_read_b32 v186, v193 offset:544
	ds_read_b32 v190, v196 offset:544
	s_and_saveexec_b32 s22, s7
	s_cbranch_execz .LBB92_168
; %bb.165:                              ;   in Loop: Header=BB92_100 Depth=2
	v_add_nc_u32_e32 v133, v70, v72
	v_mov_b32_e32 v134, 0x1100
	ds_read_b32 v133, v133 offset:544
	s_and_saveexec_b32 s23, s13
; %bb.166:                              ;   in Loop: Header=BB92_100 Depth=2
	ds_read_b32 v134, v71 offset:544
; %bb.167:                              ;   in Loop: Header=BB92_100 Depth=2
	s_or_b32 exec_lo, exec_lo, s23
	s_waitcnt lgkmcnt(0)
	v_sub_nc_u32_e32 v134, v134, v133
.LBB92_168:                             ;   in Loop: Header=BB92_100 Depth=2
	s_or_b32 exec_lo, exec_lo, s22
	v_lshrrev_b32_e32 v201, 8, v146
	v_lshrrev_b32_e32 v202, 16, v146
	;; [unrolled: 1-line block ×8, first 2 shown]
	s_waitcnt lgkmcnt(0)
	s_barrier
	buffer_gl0_inv
	s_and_saveexec_b32 s22, s7
	s_cbranch_execz .LBB92_170
; %bb.169:                              ;   in Loop: Header=BB92_100 Depth=2
	ds_read_b32 v3, v43
	s_waitcnt lgkmcnt(0)
	v_sub_nc_u32_e32 v3, v3, v133
	ds_write_b32 v43, v3
.LBB92_170:                             ;   in Loop: Header=BB92_100 Depth=2
	s_or_b32 exec_lo, exec_lo, s22
	v_add_nc_u32_e32 v155, v39, v144
	v_add3_u32 v151, v150, v149, v40
	v_add3_u32 v150, v153, v152, v41
	;; [unrolled: 1-line block ×16, first 2 shown]
	v_cmp_lt_u32_e64 s39, v0, v136
	ds_write_b8 v155, v145 offset:512
	ds_write_b8 v151, v201 offset:512
	;; [unrolled: 1-line block ×17, first 2 shown]
	s_waitcnt lgkmcnt(0)
	s_barrier
	buffer_gl0_inv
	s_and_saveexec_b32 s22, s39
	s_cbranch_execnz .LBB92_243
; %bb.171:                              ;   in Loop: Header=BB92_100 Depth=2
	s_or_b32 exec_lo, exec_lo, s22
	v_cmp_lt_u32_e64 s38, v44, v136
	s_and_saveexec_b32 s22, s38
	s_cbranch_execnz .LBB92_244
.LBB92_172:                             ;   in Loop: Header=BB92_100 Depth=2
	s_or_b32 exec_lo, exec_lo, s22
	v_cmp_lt_u32_e64 s37, v47, v136
	s_and_saveexec_b32 s22, s37
	s_cbranch_execnz .LBB92_245
.LBB92_173:                             ;   in Loop: Header=BB92_100 Depth=2
	s_or_b32 exec_lo, exec_lo, s22
	v_cmp_lt_u32_e64 s36, v48, v136
	s_and_saveexec_b32 s22, s36
	s_cbranch_execnz .LBB92_246
.LBB92_174:                             ;   in Loop: Header=BB92_100 Depth=2
	s_or_b32 exec_lo, exec_lo, s22
	v_cmp_lt_u32_e64 s35, v49, v136
	s_and_saveexec_b32 s22, s35
	s_cbranch_execnz .LBB92_247
.LBB92_175:                             ;   in Loop: Header=BB92_100 Depth=2
	s_or_b32 exec_lo, exec_lo, s22
	v_cmp_lt_u32_e64 s34, v50, v136
	s_and_saveexec_b32 s22, s34
	s_cbranch_execnz .LBB92_248
.LBB92_176:                             ;   in Loop: Header=BB92_100 Depth=2
	s_or_b32 exec_lo, exec_lo, s22
	v_cmp_lt_u32_e64 s33, v51, v136
	s_and_saveexec_b32 s22, s33
	s_cbranch_execnz .LBB92_249
.LBB92_177:                             ;   in Loop: Header=BB92_100 Depth=2
	s_or_b32 exec_lo, exec_lo, s22
	v_cmp_lt_u32_e64 s31, v52, v136
	s_and_saveexec_b32 s22, s31
	s_cbranch_execnz .LBB92_250
.LBB92_178:                             ;   in Loop: Header=BB92_100 Depth=2
	s_or_b32 exec_lo, exec_lo, s22
	v_cmp_lt_u32_e64 s30, v53, v136
	s_and_saveexec_b32 s22, s30
	s_cbranch_execnz .LBB92_251
.LBB92_179:                             ;   in Loop: Header=BB92_100 Depth=2
	s_or_b32 exec_lo, exec_lo, s22
	v_cmp_lt_u32_e64 s29, v54, v136
	s_and_saveexec_b32 s22, s29
	s_cbranch_execnz .LBB92_252
.LBB92_180:                             ;   in Loop: Header=BB92_100 Depth=2
	s_or_b32 exec_lo, exec_lo, s22
	v_cmp_lt_u32_e64 s27, v55, v136
	s_and_saveexec_b32 s22, s27
	s_cbranch_execnz .LBB92_253
.LBB92_181:                             ;   in Loop: Header=BB92_100 Depth=2
	s_or_b32 exec_lo, exec_lo, s22
	v_cmp_lt_u32_e64 s26, v56, v136
	s_and_saveexec_b32 s22, s26
	s_cbranch_execnz .LBB92_254
.LBB92_182:                             ;   in Loop: Header=BB92_100 Depth=2
	s_or_b32 exec_lo, exec_lo, s22
	v_cmp_lt_u32_e64 s25, v57, v136
	s_and_saveexec_b32 s22, s25
	s_cbranch_execnz .LBB92_255
.LBB92_183:                             ;   in Loop: Header=BB92_100 Depth=2
	s_or_b32 exec_lo, exec_lo, s22
	v_cmp_lt_u32_e64 s24, v58, v136
	s_and_saveexec_b32 s22, s24
	s_cbranch_execnz .LBB92_256
.LBB92_184:                             ;   in Loop: Header=BB92_100 Depth=2
	s_or_b32 exec_lo, exec_lo, s22
	v_cmp_lt_u32_e64 s23, v59, v136
	s_and_saveexec_b32 s22, s23
	s_cbranch_execnz .LBB92_257
.LBB92_185:                             ;   in Loop: Header=BB92_100 Depth=2
	s_or_b32 exec_lo, exec_lo, s22
	v_cmp_lt_u32_e64 s22, v60, v136
	s_and_saveexec_b32 s40, s22
	s_cbranch_execnz .LBB92_258
.LBB92_186:                             ;   in Loop: Header=BB92_100 Depth=2
	s_or_b32 exec_lo, exec_lo, s40
	v_cmp_lt_u32_e32 vcc_lo, v61, v136
	s_and_saveexec_b32 s40, vcc_lo
	s_cbranch_execz .LBB92_188
.LBB92_187:                             ;   in Loop: Header=BB92_100 Depth=2
	ds_read_u8 v39, v0 offset:4608
	s_waitcnt lgkmcnt(0)
	v_lshrrev_b32_sdwa v40, s61, v39 dst_sel:DWORD dst_unused:UNUSED_PAD src0_sel:DWORD src1_sel:BYTE_0
	v_xor_b32_e32 v39, -1, v39
	v_and_b32_e32 v40, s62, v40
	v_lshlrev_b32_e32 v40, 2, v40
	ds_read_b32 v40, v40
	s_waitcnt lgkmcnt(0)
	v_add_nc_u32_e32 v40, v40, v61
	global_store_byte v40, v39, s[46:47]
.LBB92_188:                             ;   in Loop: Header=BB92_100 Depth=2
	s_or_b32 exec_lo, exec_lo, s40
	s_lshl_b64 s[66:67], s[50:51], 3
	v_add_co_u32 v39, s40, v96, s66
	v_add_co_ci_u32_e64 v40, null, s67, v97, s40
	v_cmp_lt_u32_e64 s40, v95, v136
	s_and_saveexec_b32 s50, s40
	s_xor_b32 s40, exec_lo, s50
	s_cbranch_execnz .LBB92_259
; %bb.189:                              ;   in Loop: Header=BB92_100 Depth=2
	s_or_b32 exec_lo, exec_lo, s40
	s_mov_b32 s50, exec_lo
	v_cmpx_lt_u32_e64 v98, v136
	s_cbranch_execnz .LBB92_260
.LBB92_190:                             ;   in Loop: Header=BB92_100 Depth=2
	s_or_b32 exec_lo, exec_lo, s50
	s_mov_b32 s50, exec_lo
	v_cmpx_lt_u32_e64 v99, v136
	s_cbranch_execnz .LBB92_261
.LBB92_191:                             ;   in Loop: Header=BB92_100 Depth=2
	s_or_b32 exec_lo, exec_lo, s50
	s_mov_b32 s50, exec_lo
	v_cmpx_lt_u32_e64 v100, v136
	s_cbranch_execnz .LBB92_262
.LBB92_192:                             ;   in Loop: Header=BB92_100 Depth=2
	s_or_b32 exec_lo, exec_lo, s50
	s_mov_b32 s50, exec_lo
	v_cmpx_lt_u32_e64 v101, v136
	s_cbranch_execnz .LBB92_263
.LBB92_193:                             ;   in Loop: Header=BB92_100 Depth=2
	s_or_b32 exec_lo, exec_lo, s50
	s_mov_b32 s50, exec_lo
	v_cmpx_lt_u32_e64 v102, v136
	s_cbranch_execnz .LBB92_264
.LBB92_194:                             ;   in Loop: Header=BB92_100 Depth=2
	s_or_b32 exec_lo, exec_lo, s50
	s_mov_b32 s50, exec_lo
	v_cmpx_lt_u32_e64 v103, v136
	s_cbranch_execnz .LBB92_265
.LBB92_195:                             ;   in Loop: Header=BB92_100 Depth=2
	s_or_b32 exec_lo, exec_lo, s50
	s_mov_b32 s50, exec_lo
	v_cmpx_lt_u32_e64 v104, v136
	s_cbranch_execnz .LBB92_266
.LBB92_196:                             ;   in Loop: Header=BB92_100 Depth=2
	s_or_b32 exec_lo, exec_lo, s50
	s_mov_b32 s50, exec_lo
	v_cmpx_lt_u32_e64 v105, v136
	s_cbranch_execnz .LBB92_267
.LBB92_197:                             ;   in Loop: Header=BB92_100 Depth=2
	s_or_b32 exec_lo, exec_lo, s50
	s_mov_b32 s50, exec_lo
	v_cmpx_lt_u32_e64 v106, v136
	s_cbranch_execnz .LBB92_268
.LBB92_198:                             ;   in Loop: Header=BB92_100 Depth=2
	s_or_b32 exec_lo, exec_lo, s50
	s_mov_b32 s50, exec_lo
	v_cmpx_lt_u32_e64 v107, v136
	s_cbranch_execnz .LBB92_269
.LBB92_199:                             ;   in Loop: Header=BB92_100 Depth=2
	s_or_b32 exec_lo, exec_lo, s50
	s_mov_b32 s50, exec_lo
	v_cmpx_lt_u32_e64 v108, v136
	s_cbranch_execnz .LBB92_270
.LBB92_200:                             ;   in Loop: Header=BB92_100 Depth=2
	s_or_b32 exec_lo, exec_lo, s50
	s_mov_b32 s50, exec_lo
	v_cmpx_lt_u32_e64 v109, v136
	s_cbranch_execnz .LBB92_271
.LBB92_201:                             ;   in Loop: Header=BB92_100 Depth=2
	s_or_b32 exec_lo, exec_lo, s50
	s_mov_b32 s50, exec_lo
	v_cmpx_lt_u32_e64 v110, v136
	s_cbranch_execnz .LBB92_272
.LBB92_202:                             ;   in Loop: Header=BB92_100 Depth=2
	s_or_b32 exec_lo, exec_lo, s50
	s_mov_b32 s50, exec_lo
	v_cmpx_lt_u32_e64 v111, v136
	s_cbranch_execnz .LBB92_273
.LBB92_203:                             ;   in Loop: Header=BB92_100 Depth=2
	s_or_b32 exec_lo, exec_lo, s50
	s_mov_b32 s50, exec_lo
	v_cmpx_lt_u32_e64 v112, v136
	s_cbranch_execnz .LBB92_274
.LBB92_204:                             ;   in Loop: Header=BB92_100 Depth=2
	s_or_b32 exec_lo, exec_lo, s50
	s_mov_b32 s50, exec_lo
	v_cmpx_lt_u32_e64 v113, v136
	s_cbranch_execnz .LBB92_275
.LBB92_205:                             ;   in Loop: Header=BB92_100 Depth=2
	s_or_b32 exec_lo, exec_lo, s50
	s_and_saveexec_b32 s40, s39
	s_cbranch_execnz .LBB92_276
.LBB92_206:                             ;   in Loop: Header=BB92_100 Depth=2
	s_or_b32 exec_lo, exec_lo, s40
	s_and_saveexec_b32 s40, s38
	s_cbranch_execnz .LBB92_277
.LBB92_207:                             ;   in Loop: Header=BB92_100 Depth=2
	s_or_b32 exec_lo, exec_lo, s40
	s_and_saveexec_b32 s40, s37
	s_cbranch_execnz .LBB92_278
.LBB92_208:                             ;   in Loop: Header=BB92_100 Depth=2
	s_or_b32 exec_lo, exec_lo, s40
	s_and_saveexec_b32 s40, s36
	s_cbranch_execnz .LBB92_279
.LBB92_209:                             ;   in Loop: Header=BB92_100 Depth=2
	s_or_b32 exec_lo, exec_lo, s40
	s_and_saveexec_b32 s40, s35
	s_cbranch_execnz .LBB92_280
.LBB92_210:                             ;   in Loop: Header=BB92_100 Depth=2
	s_or_b32 exec_lo, exec_lo, s40
	s_and_saveexec_b32 s40, s34
	s_cbranch_execnz .LBB92_281
.LBB92_211:                             ;   in Loop: Header=BB92_100 Depth=2
	s_or_b32 exec_lo, exec_lo, s40
	s_and_saveexec_b32 s40, s33
	s_cbranch_execnz .LBB92_282
.LBB92_212:                             ;   in Loop: Header=BB92_100 Depth=2
	s_or_b32 exec_lo, exec_lo, s40
	s_and_saveexec_b32 s40, s31
	s_cbranch_execnz .LBB92_283
.LBB92_213:                             ;   in Loop: Header=BB92_100 Depth=2
	s_or_b32 exec_lo, exec_lo, s40
	s_and_saveexec_b32 s40, s30
	s_cbranch_execnz .LBB92_284
.LBB92_214:                             ;   in Loop: Header=BB92_100 Depth=2
	s_or_b32 exec_lo, exec_lo, s40
	s_and_saveexec_b32 s40, s29
	s_cbranch_execnz .LBB92_285
.LBB92_215:                             ;   in Loop: Header=BB92_100 Depth=2
	s_or_b32 exec_lo, exec_lo, s40
	s_and_saveexec_b32 s40, s27
	s_cbranch_execnz .LBB92_286
.LBB92_216:                             ;   in Loop: Header=BB92_100 Depth=2
	s_or_b32 exec_lo, exec_lo, s40
	s_and_saveexec_b32 s40, s26
	s_cbranch_execnz .LBB92_287
.LBB92_217:                             ;   in Loop: Header=BB92_100 Depth=2
	s_or_b32 exec_lo, exec_lo, s40
	s_and_saveexec_b32 s40, s25
	s_cbranch_execnz .LBB92_288
.LBB92_218:                             ;   in Loop: Header=BB92_100 Depth=2
	s_or_b32 exec_lo, exec_lo, s40
	s_and_saveexec_b32 s40, s24
	s_cbranch_execnz .LBB92_289
.LBB92_219:                             ;   in Loop: Header=BB92_100 Depth=2
	s_or_b32 exec_lo, exec_lo, s40
	s_and_saveexec_b32 s40, s23
	s_cbranch_execnz .LBB92_290
.LBB92_220:                             ;   in Loop: Header=BB92_100 Depth=2
	s_or_b32 exec_lo, exec_lo, s40
	s_and_saveexec_b32 s40, s22
	s_cbranch_execnz .LBB92_291
.LBB92_221:                             ;   in Loop: Header=BB92_100 Depth=2
	s_or_b32 exec_lo, exec_lo, s40
	s_and_saveexec_b32 s40, vcc_lo
	s_cbranch_execz .LBB92_223
.LBB92_222:                             ;   in Loop: Header=BB92_100 Depth=2
	ds_read_u8 v39, v0 offset:4608
	s_waitcnt lgkmcnt(0)
	v_lshrrev_b32_e32 v39, s61, v39
	v_and_b32_e32 v115, s62, v39
.LBB92_223:                             ;   in Loop: Header=BB92_100 Depth=2
	s_or_b32 exec_lo, exec_lo, s40
	v_lshlrev_b32_e32 v39, 3, v155
	v_lshlrev_b32_e32 v40, 3, v151
	s_waitcnt vmcnt(0)
	s_waitcnt_vscnt null, 0x0
	s_barrier
	buffer_gl0_inv
	ds_write_b64 v39, v[37:38] offset:512
	ds_write_b64 v40, v[35:36] offset:512
	v_lshlrev_b32_e32 v39, 3, v150
	v_lshlrev_b32_e32 v40, 3, v149
	v_lshlrev_b32_e32 v136, 3, v148
	v_lshlrev_b32_e32 v137, 3, v147
	v_lshlrev_b32_e32 v141, 3, v146
	ds_write_b64 v39, v[33:34] offset:512
	ds_write_b64 v40, v[31:32] offset:512
	ds_write_b64 v136, v[29:30] offset:512
	ds_write_b64 v137, v[25:26] offset:512
	ds_write_b64 v141, v[21:22] offset:512
	v_lshlrev_b32_e32 v39, 3, v144
	v_lshlrev_b32_e32 v40, 3, v143
	v_lshlrev_b32_e32 v136, 3, v142
	v_lshlrev_b32_e32 v137, 3, v140
	v_lshlrev_b32_e32 v139, 3, v139
	ds_write_b64 v39, v[17:18] offset:512
	ds_write_b64 v40, v[27:28] offset:512
	ds_write_b64 v136, v[23:24] offset:512
	;; [unrolled: 10-line block ×3, first 2 shown]
	ds_write_b64 v41, v[7:8] offset:512
	ds_write_b64 v3, v[5:6] offset:512
	s_waitcnt lgkmcnt(0)
	s_barrier
	buffer_gl0_inv
	s_and_saveexec_b32 s40, s39
	s_cbranch_execnz .LBB92_292
; %bb.224:                              ;   in Loop: Header=BB92_100 Depth=2
	s_or_b32 exec_lo, exec_lo, s40
	s_and_saveexec_b32 s39, s38
	s_cbranch_execnz .LBB92_293
.LBB92_225:                             ;   in Loop: Header=BB92_100 Depth=2
	s_or_b32 exec_lo, exec_lo, s39
	s_and_saveexec_b32 s38, s37
	s_cbranch_execnz .LBB92_294
.LBB92_226:                             ;   in Loop: Header=BB92_100 Depth=2
	s_or_b32 exec_lo, exec_lo, s38
	s_and_saveexec_b32 s37, s36
	s_cbranch_execnz .LBB92_295
.LBB92_227:                             ;   in Loop: Header=BB92_100 Depth=2
	s_or_b32 exec_lo, exec_lo, s37
	s_and_saveexec_b32 s36, s35
	s_cbranch_execnz .LBB92_296
.LBB92_228:                             ;   in Loop: Header=BB92_100 Depth=2
	s_or_b32 exec_lo, exec_lo, s36
	s_and_saveexec_b32 s35, s34
	s_cbranch_execnz .LBB92_297
.LBB92_229:                             ;   in Loop: Header=BB92_100 Depth=2
	s_or_b32 exec_lo, exec_lo, s35
	s_and_saveexec_b32 s34, s33
	s_cbranch_execnz .LBB92_298
.LBB92_230:                             ;   in Loop: Header=BB92_100 Depth=2
	s_or_b32 exec_lo, exec_lo, s34
	s_and_saveexec_b32 s33, s31
	s_cbranch_execnz .LBB92_299
.LBB92_231:                             ;   in Loop: Header=BB92_100 Depth=2
	s_or_b32 exec_lo, exec_lo, s33
	s_and_saveexec_b32 s31, s30
	s_cbranch_execnz .LBB92_300
.LBB92_232:                             ;   in Loop: Header=BB92_100 Depth=2
	s_or_b32 exec_lo, exec_lo, s31
	s_and_saveexec_b32 s30, s29
	s_cbranch_execnz .LBB92_301
.LBB92_233:                             ;   in Loop: Header=BB92_100 Depth=2
	s_or_b32 exec_lo, exec_lo, s30
	s_and_saveexec_b32 s29, s27
	s_cbranch_execnz .LBB92_302
.LBB92_234:                             ;   in Loop: Header=BB92_100 Depth=2
	s_or_b32 exec_lo, exec_lo, s29
	s_and_saveexec_b32 s27, s26
	s_cbranch_execnz .LBB92_303
.LBB92_235:                             ;   in Loop: Header=BB92_100 Depth=2
	s_or_b32 exec_lo, exec_lo, s27
	s_and_saveexec_b32 s26, s25
	s_cbranch_execnz .LBB92_304
.LBB92_236:                             ;   in Loop: Header=BB92_100 Depth=2
	s_or_b32 exec_lo, exec_lo, s26
	s_and_saveexec_b32 s25, s24
	s_cbranch_execnz .LBB92_305
.LBB92_237:                             ;   in Loop: Header=BB92_100 Depth=2
	s_or_b32 exec_lo, exec_lo, s25
	s_and_saveexec_b32 s24, s23
	s_cbranch_execnz .LBB92_306
.LBB92_238:                             ;   in Loop: Header=BB92_100 Depth=2
	s_or_b32 exec_lo, exec_lo, s24
	s_and_saveexec_b32 s23, s22
	s_cbranch_execnz .LBB92_307
.LBB92_239:                             ;   in Loop: Header=BB92_100 Depth=2
	s_or_b32 exec_lo, exec_lo, s23
	s_and_saveexec_b32 s22, vcc_lo
	s_cbranch_execz .LBB92_241
.LBB92_240:                             ;   in Loop: Header=BB92_100 Depth=2
	v_lshlrev_b32_e32 v3, 2, v115
	v_add_nc_u32_e32 v39, v0, v75
	ds_read_b32 v3, v3
	ds_read_b64 v[39:40], v39 offset:33280
	s_waitcnt lgkmcnt(1)
	v_add_nc_u32_e32 v3, v3, v61
	v_lshlrev_b64 v[41:42], 3, v[3:4]
	v_add_co_u32 v41, vcc_lo, s52, v41
	v_add_co_ci_u32_e64 v42, null, s53, v42, vcc_lo
	s_waitcnt lgkmcnt(0)
	global_store_dwordx2 v[41:42], v[39:40], off
.LBB92_241:                             ;   in Loop: Header=BB92_100 Depth=2
	s_or_b32 exec_lo, exec_lo, s22
	s_waitcnt_vscnt null, 0x0
	s_barrier
	buffer_gl0_inv
	s_and_saveexec_b32 s22, s7
	s_cbranch_execz .LBB92_99
; %bb.242:                              ;   in Loop: Header=BB92_100 Depth=2
	ds_read_b32 v3, v43
	s_waitcnt lgkmcnt(0)
	v_add3_u32 v3, v133, v134, v3
	ds_write_b32 v43, v3
	s_branch .LBB92_99
.LBB92_243:                             ;   in Loop: Header=BB92_100 Depth=2
	ds_read_u8 v39, v0 offset:512
	s_waitcnt lgkmcnt(0)
	v_lshrrev_b32_sdwa v40, s61, v39 dst_sel:DWORD dst_unused:UNUSED_PAD src0_sel:DWORD src1_sel:BYTE_0
	v_xor_b32_e32 v39, -1, v39
	v_and_b32_e32 v40, s62, v40
	v_lshlrev_b32_e32 v40, 2, v40
	ds_read_b32 v40, v40
	s_waitcnt lgkmcnt(0)
	v_add_nc_u32_e32 v40, v40, v0
	global_store_byte v40, v39, s[46:47]
	s_or_b32 exec_lo, exec_lo, s22
	v_cmp_lt_u32_e64 s38, v44, v136
	s_and_saveexec_b32 s22, s38
	s_cbranch_execz .LBB92_172
.LBB92_244:                             ;   in Loop: Header=BB92_100 Depth=2
	ds_read_u8 v39, v0 offset:768
	s_waitcnt lgkmcnt(0)
	v_lshrrev_b32_sdwa v40, s61, v39 dst_sel:DWORD dst_unused:UNUSED_PAD src0_sel:DWORD src1_sel:BYTE_0
	v_xor_b32_e32 v39, -1, v39
	v_and_b32_e32 v40, s62, v40
	v_lshlrev_b32_e32 v40, 2, v40
	ds_read_b32 v40, v40
	s_waitcnt lgkmcnt(0)
	v_add_nc_u32_e32 v40, v40, v44
	global_store_byte v40, v39, s[46:47]
	s_or_b32 exec_lo, exec_lo, s22
	v_cmp_lt_u32_e64 s37, v47, v136
	s_and_saveexec_b32 s22, s37
	s_cbranch_execz .LBB92_173
.LBB92_245:                             ;   in Loop: Header=BB92_100 Depth=2
	ds_read_u8 v39, v0 offset:1024
	s_waitcnt lgkmcnt(0)
	v_lshrrev_b32_sdwa v40, s61, v39 dst_sel:DWORD dst_unused:UNUSED_PAD src0_sel:DWORD src1_sel:BYTE_0
	v_xor_b32_e32 v39, -1, v39
	v_and_b32_e32 v40, s62, v40
	v_lshlrev_b32_e32 v40, 2, v40
	ds_read_b32 v40, v40
	s_waitcnt lgkmcnt(0)
	v_add_nc_u32_e32 v40, v40, v47
	global_store_byte v40, v39, s[46:47]
	s_or_b32 exec_lo, exec_lo, s22
	v_cmp_lt_u32_e64 s36, v48, v136
	s_and_saveexec_b32 s22, s36
	s_cbranch_execz .LBB92_174
.LBB92_246:                             ;   in Loop: Header=BB92_100 Depth=2
	ds_read_u8 v39, v0 offset:1280
	s_waitcnt lgkmcnt(0)
	v_lshrrev_b32_sdwa v40, s61, v39 dst_sel:DWORD dst_unused:UNUSED_PAD src0_sel:DWORD src1_sel:BYTE_0
	v_xor_b32_e32 v39, -1, v39
	v_and_b32_e32 v40, s62, v40
	v_lshlrev_b32_e32 v40, 2, v40
	ds_read_b32 v40, v40
	s_waitcnt lgkmcnt(0)
	v_add_nc_u32_e32 v40, v40, v48
	global_store_byte v40, v39, s[46:47]
	s_or_b32 exec_lo, exec_lo, s22
	v_cmp_lt_u32_e64 s35, v49, v136
	s_and_saveexec_b32 s22, s35
	s_cbranch_execz .LBB92_175
.LBB92_247:                             ;   in Loop: Header=BB92_100 Depth=2
	ds_read_u8 v39, v0 offset:1536
	s_waitcnt lgkmcnt(0)
	v_lshrrev_b32_sdwa v40, s61, v39 dst_sel:DWORD dst_unused:UNUSED_PAD src0_sel:DWORD src1_sel:BYTE_0
	v_xor_b32_e32 v39, -1, v39
	v_and_b32_e32 v40, s62, v40
	v_lshlrev_b32_e32 v40, 2, v40
	ds_read_b32 v40, v40
	s_waitcnt lgkmcnt(0)
	v_add_nc_u32_e32 v40, v40, v49
	global_store_byte v40, v39, s[46:47]
	s_or_b32 exec_lo, exec_lo, s22
	v_cmp_lt_u32_e64 s34, v50, v136
	s_and_saveexec_b32 s22, s34
	s_cbranch_execz .LBB92_176
.LBB92_248:                             ;   in Loop: Header=BB92_100 Depth=2
	ds_read_u8 v39, v0 offset:1792
	s_waitcnt lgkmcnt(0)
	v_lshrrev_b32_sdwa v40, s61, v39 dst_sel:DWORD dst_unused:UNUSED_PAD src0_sel:DWORD src1_sel:BYTE_0
	v_xor_b32_e32 v39, -1, v39
	v_and_b32_e32 v40, s62, v40
	v_lshlrev_b32_e32 v40, 2, v40
	ds_read_b32 v40, v40
	s_waitcnt lgkmcnt(0)
	v_add_nc_u32_e32 v40, v40, v50
	global_store_byte v40, v39, s[46:47]
	s_or_b32 exec_lo, exec_lo, s22
	v_cmp_lt_u32_e64 s33, v51, v136
	s_and_saveexec_b32 s22, s33
	s_cbranch_execz .LBB92_177
.LBB92_249:                             ;   in Loop: Header=BB92_100 Depth=2
	ds_read_u8 v39, v0 offset:2048
	s_waitcnt lgkmcnt(0)
	v_lshrrev_b32_sdwa v40, s61, v39 dst_sel:DWORD dst_unused:UNUSED_PAD src0_sel:DWORD src1_sel:BYTE_0
	v_xor_b32_e32 v39, -1, v39
	v_and_b32_e32 v40, s62, v40
	v_lshlrev_b32_e32 v40, 2, v40
	ds_read_b32 v40, v40
	s_waitcnt lgkmcnt(0)
	v_add_nc_u32_e32 v40, v40, v51
	global_store_byte v40, v39, s[46:47]
	s_or_b32 exec_lo, exec_lo, s22
	v_cmp_lt_u32_e64 s31, v52, v136
	s_and_saveexec_b32 s22, s31
	s_cbranch_execz .LBB92_178
.LBB92_250:                             ;   in Loop: Header=BB92_100 Depth=2
	ds_read_u8 v39, v0 offset:2304
	s_waitcnt lgkmcnt(0)
	v_lshrrev_b32_sdwa v40, s61, v39 dst_sel:DWORD dst_unused:UNUSED_PAD src0_sel:DWORD src1_sel:BYTE_0
	v_xor_b32_e32 v39, -1, v39
	v_and_b32_e32 v40, s62, v40
	v_lshlrev_b32_e32 v40, 2, v40
	ds_read_b32 v40, v40
	s_waitcnt lgkmcnt(0)
	v_add_nc_u32_e32 v40, v40, v52
	global_store_byte v40, v39, s[46:47]
	s_or_b32 exec_lo, exec_lo, s22
	v_cmp_lt_u32_e64 s30, v53, v136
	s_and_saveexec_b32 s22, s30
	s_cbranch_execz .LBB92_179
.LBB92_251:                             ;   in Loop: Header=BB92_100 Depth=2
	ds_read_u8 v39, v0 offset:2560
	s_waitcnt lgkmcnt(0)
	v_lshrrev_b32_sdwa v40, s61, v39 dst_sel:DWORD dst_unused:UNUSED_PAD src0_sel:DWORD src1_sel:BYTE_0
	v_xor_b32_e32 v39, -1, v39
	v_and_b32_e32 v40, s62, v40
	v_lshlrev_b32_e32 v40, 2, v40
	ds_read_b32 v40, v40
	s_waitcnt lgkmcnt(0)
	v_add_nc_u32_e32 v40, v40, v53
	global_store_byte v40, v39, s[46:47]
	s_or_b32 exec_lo, exec_lo, s22
	v_cmp_lt_u32_e64 s29, v54, v136
	s_and_saveexec_b32 s22, s29
	s_cbranch_execz .LBB92_180
.LBB92_252:                             ;   in Loop: Header=BB92_100 Depth=2
	ds_read_u8 v39, v0 offset:2816
	s_waitcnt lgkmcnt(0)
	v_lshrrev_b32_sdwa v40, s61, v39 dst_sel:DWORD dst_unused:UNUSED_PAD src0_sel:DWORD src1_sel:BYTE_0
	v_xor_b32_e32 v39, -1, v39
	v_and_b32_e32 v40, s62, v40
	v_lshlrev_b32_e32 v40, 2, v40
	ds_read_b32 v40, v40
	s_waitcnt lgkmcnt(0)
	v_add_nc_u32_e32 v40, v40, v54
	global_store_byte v40, v39, s[46:47]
	s_or_b32 exec_lo, exec_lo, s22
	v_cmp_lt_u32_e64 s27, v55, v136
	s_and_saveexec_b32 s22, s27
	s_cbranch_execz .LBB92_181
.LBB92_253:                             ;   in Loop: Header=BB92_100 Depth=2
	ds_read_u8 v39, v0 offset:3072
	s_waitcnt lgkmcnt(0)
	v_lshrrev_b32_sdwa v40, s61, v39 dst_sel:DWORD dst_unused:UNUSED_PAD src0_sel:DWORD src1_sel:BYTE_0
	v_xor_b32_e32 v39, -1, v39
	v_and_b32_e32 v40, s62, v40
	v_lshlrev_b32_e32 v40, 2, v40
	ds_read_b32 v40, v40
	s_waitcnt lgkmcnt(0)
	v_add_nc_u32_e32 v40, v40, v55
	global_store_byte v40, v39, s[46:47]
	s_or_b32 exec_lo, exec_lo, s22
	v_cmp_lt_u32_e64 s26, v56, v136
	s_and_saveexec_b32 s22, s26
	s_cbranch_execz .LBB92_182
.LBB92_254:                             ;   in Loop: Header=BB92_100 Depth=2
	ds_read_u8 v39, v0 offset:3328
	s_waitcnt lgkmcnt(0)
	v_lshrrev_b32_sdwa v40, s61, v39 dst_sel:DWORD dst_unused:UNUSED_PAD src0_sel:DWORD src1_sel:BYTE_0
	v_xor_b32_e32 v39, -1, v39
	v_and_b32_e32 v40, s62, v40
	v_lshlrev_b32_e32 v40, 2, v40
	ds_read_b32 v40, v40
	s_waitcnt lgkmcnt(0)
	v_add_nc_u32_e32 v40, v40, v56
	global_store_byte v40, v39, s[46:47]
	s_or_b32 exec_lo, exec_lo, s22
	v_cmp_lt_u32_e64 s25, v57, v136
	s_and_saveexec_b32 s22, s25
	s_cbranch_execz .LBB92_183
.LBB92_255:                             ;   in Loop: Header=BB92_100 Depth=2
	ds_read_u8 v39, v0 offset:3584
	s_waitcnt lgkmcnt(0)
	v_lshrrev_b32_sdwa v40, s61, v39 dst_sel:DWORD dst_unused:UNUSED_PAD src0_sel:DWORD src1_sel:BYTE_0
	v_xor_b32_e32 v39, -1, v39
	v_and_b32_e32 v40, s62, v40
	v_lshlrev_b32_e32 v40, 2, v40
	ds_read_b32 v40, v40
	s_waitcnt lgkmcnt(0)
	v_add_nc_u32_e32 v40, v40, v57
	global_store_byte v40, v39, s[46:47]
	s_or_b32 exec_lo, exec_lo, s22
	v_cmp_lt_u32_e64 s24, v58, v136
	s_and_saveexec_b32 s22, s24
	s_cbranch_execz .LBB92_184
.LBB92_256:                             ;   in Loop: Header=BB92_100 Depth=2
	ds_read_u8 v39, v0 offset:3840
	s_waitcnt lgkmcnt(0)
	v_lshrrev_b32_sdwa v40, s61, v39 dst_sel:DWORD dst_unused:UNUSED_PAD src0_sel:DWORD src1_sel:BYTE_0
	v_xor_b32_e32 v39, -1, v39
	v_and_b32_e32 v40, s62, v40
	v_lshlrev_b32_e32 v40, 2, v40
	ds_read_b32 v40, v40
	s_waitcnt lgkmcnt(0)
	v_add_nc_u32_e32 v40, v40, v58
	global_store_byte v40, v39, s[46:47]
	s_or_b32 exec_lo, exec_lo, s22
	v_cmp_lt_u32_e64 s23, v59, v136
	s_and_saveexec_b32 s22, s23
	s_cbranch_execz .LBB92_185
.LBB92_257:                             ;   in Loop: Header=BB92_100 Depth=2
	ds_read_u8 v39, v0 offset:4096
	s_waitcnt lgkmcnt(0)
	v_lshrrev_b32_sdwa v40, s61, v39 dst_sel:DWORD dst_unused:UNUSED_PAD src0_sel:DWORD src1_sel:BYTE_0
	v_xor_b32_e32 v39, -1, v39
	v_and_b32_e32 v40, s62, v40
	v_lshlrev_b32_e32 v40, 2, v40
	ds_read_b32 v40, v40
	s_waitcnt lgkmcnt(0)
	v_add_nc_u32_e32 v40, v40, v59
	global_store_byte v40, v39, s[46:47]
	s_or_b32 exec_lo, exec_lo, s22
	v_cmp_lt_u32_e64 s22, v60, v136
	s_and_saveexec_b32 s40, s22
	s_cbranch_execz .LBB92_186
.LBB92_258:                             ;   in Loop: Header=BB92_100 Depth=2
	ds_read_u8 v39, v0 offset:4352
	s_waitcnt lgkmcnt(0)
	v_lshrrev_b32_sdwa v40, s61, v39 dst_sel:DWORD dst_unused:UNUSED_PAD src0_sel:DWORD src1_sel:BYTE_0
	v_xor_b32_e32 v39, -1, v39
	v_and_b32_e32 v40, s62, v40
	v_lshlrev_b32_e32 v40, 2, v40
	ds_read_b32 v40, v40
	s_waitcnt lgkmcnt(0)
	v_add_nc_u32_e32 v40, v40, v60
	global_store_byte v40, v39, s[46:47]
	s_or_b32 exec_lo, exec_lo, s40
	v_cmp_lt_u32_e32 vcc_lo, v61, v136
	s_and_saveexec_b32 s40, vcc_lo
	s_cbranch_execnz .LBB92_187
	s_branch .LBB92_188
.LBB92_259:                             ;   in Loop: Header=BB92_100 Depth=2
	global_load_dwordx2 v[37:38], v[39:40], off
	s_or_b32 exec_lo, exec_lo, s40
	s_mov_b32 s50, exec_lo
	v_cmpx_lt_u32_e64 v98, v136
	s_cbranch_execz .LBB92_190
.LBB92_260:                             ;   in Loop: Header=BB92_100 Depth=2
	global_load_dwordx2 v[35:36], v[39:40], off offset:256
	s_or_b32 exec_lo, exec_lo, s50
	s_mov_b32 s50, exec_lo
	v_cmpx_lt_u32_e64 v99, v136
	s_cbranch_execz .LBB92_191
.LBB92_261:                             ;   in Loop: Header=BB92_100 Depth=2
	global_load_dwordx2 v[33:34], v[39:40], off offset:512
	s_or_b32 exec_lo, exec_lo, s50
	s_mov_b32 s50, exec_lo
	v_cmpx_lt_u32_e64 v100, v136
	s_cbranch_execz .LBB92_192
.LBB92_262:                             ;   in Loop: Header=BB92_100 Depth=2
	global_load_dwordx2 v[31:32], v[39:40], off offset:768
	s_or_b32 exec_lo, exec_lo, s50
	s_mov_b32 s50, exec_lo
	v_cmpx_lt_u32_e64 v101, v136
	s_cbranch_execz .LBB92_193
.LBB92_263:                             ;   in Loop: Header=BB92_100 Depth=2
	global_load_dwordx2 v[29:30], v[39:40], off offset:1024
	s_or_b32 exec_lo, exec_lo, s50
	s_mov_b32 s50, exec_lo
	v_cmpx_lt_u32_e64 v102, v136
	s_cbranch_execz .LBB92_194
.LBB92_264:                             ;   in Loop: Header=BB92_100 Depth=2
	global_load_dwordx2 v[25:26], v[39:40], off offset:1280
	s_or_b32 exec_lo, exec_lo, s50
	s_mov_b32 s50, exec_lo
	v_cmpx_lt_u32_e64 v103, v136
	s_cbranch_execz .LBB92_195
.LBB92_265:                             ;   in Loop: Header=BB92_100 Depth=2
	global_load_dwordx2 v[21:22], v[39:40], off offset:1536
	s_or_b32 exec_lo, exec_lo, s50
	s_mov_b32 s50, exec_lo
	v_cmpx_lt_u32_e64 v104, v136
	s_cbranch_execz .LBB92_196
.LBB92_266:                             ;   in Loop: Header=BB92_100 Depth=2
	global_load_dwordx2 v[17:18], v[39:40], off offset:1792
	s_or_b32 exec_lo, exec_lo, s50
	s_mov_b32 s50, exec_lo
	v_cmpx_lt_u32_e64 v105, v136
	s_cbranch_execz .LBB92_197
.LBB92_267:                             ;   in Loop: Header=BB92_100 Depth=2
	v_add_co_u32 v27, s40, 0x800, v39
	v_add_co_ci_u32_e64 v28, null, 0, v40, s40
	global_load_dwordx2 v[27:28], v[27:28], off
	s_or_b32 exec_lo, exec_lo, s50
	s_mov_b32 s50, exec_lo
	v_cmpx_lt_u32_e64 v106, v136
	s_cbranch_execz .LBB92_198
.LBB92_268:                             ;   in Loop: Header=BB92_100 Depth=2
	v_add_co_u32 v23, s40, 0x800, v39
	v_add_co_ci_u32_e64 v24, null, 0, v40, s40
	global_load_dwordx2 v[23:24], v[23:24], off offset:256
	s_or_b32 exec_lo, exec_lo, s50
	s_mov_b32 s50, exec_lo
	v_cmpx_lt_u32_e64 v107, v136
	s_cbranch_execz .LBB92_199
.LBB92_269:                             ;   in Loop: Header=BB92_100 Depth=2
	v_add_co_u32 v19, s40, 0x800, v39
	v_add_co_ci_u32_e64 v20, null, 0, v40, s40
	global_load_dwordx2 v[19:20], v[19:20], off offset:512
	s_or_b32 exec_lo, exec_lo, s50
	s_mov_b32 s50, exec_lo
	v_cmpx_lt_u32_e64 v108, v136
	s_cbranch_execz .LBB92_200
.LBB92_270:                             ;   in Loop: Header=BB92_100 Depth=2
	v_add_co_u32 v15, s40, 0x800, v39
	v_add_co_ci_u32_e64 v16, null, 0, v40, s40
	global_load_dwordx2 v[15:16], v[15:16], off offset:768
	s_or_b32 exec_lo, exec_lo, s50
	s_mov_b32 s50, exec_lo
	v_cmpx_lt_u32_e64 v109, v136
	s_cbranch_execz .LBB92_201
.LBB92_271:                             ;   in Loop: Header=BB92_100 Depth=2
	v_add_co_u32 v13, s40, 0x800, v39
	v_add_co_ci_u32_e64 v14, null, 0, v40, s40
	global_load_dwordx2 v[13:14], v[13:14], off offset:1024
	s_or_b32 exec_lo, exec_lo, s50
	s_mov_b32 s50, exec_lo
	v_cmpx_lt_u32_e64 v110, v136
	s_cbranch_execz .LBB92_202
.LBB92_272:                             ;   in Loop: Header=BB92_100 Depth=2
	v_add_co_u32 v11, s40, 0x800, v39
	v_add_co_ci_u32_e64 v12, null, 0, v40, s40
	global_load_dwordx2 v[11:12], v[11:12], off offset:1280
	s_or_b32 exec_lo, exec_lo, s50
	s_mov_b32 s50, exec_lo
	v_cmpx_lt_u32_e64 v111, v136
	s_cbranch_execz .LBB92_203
.LBB92_273:                             ;   in Loop: Header=BB92_100 Depth=2
	v_add_co_u32 v9, s40, 0x800, v39
	v_add_co_ci_u32_e64 v10, null, 0, v40, s40
	global_load_dwordx2 v[9:10], v[9:10], off offset:1536
	s_or_b32 exec_lo, exec_lo, s50
	s_mov_b32 s50, exec_lo
	v_cmpx_lt_u32_e64 v112, v136
	s_cbranch_execz .LBB92_204
.LBB92_274:                             ;   in Loop: Header=BB92_100 Depth=2
	v_add_co_u32 v7, s40, 0x800, v39
	v_add_co_ci_u32_e64 v8, null, 0, v40, s40
	global_load_dwordx2 v[7:8], v[7:8], off offset:1792
	s_or_b32 exec_lo, exec_lo, s50
	s_mov_b32 s50, exec_lo
	v_cmpx_lt_u32_e64 v113, v136
	s_cbranch_execz .LBB92_205
.LBB92_275:                             ;   in Loop: Header=BB92_100 Depth=2
	v_add_co_u32 v5, s40, 0x1000, v39
	v_add_co_ci_u32_e64 v6, null, 0, v40, s40
	global_load_dwordx2 v[5:6], v[5:6], off
	s_or_b32 exec_lo, exec_lo, s50
	s_and_saveexec_b32 s40, s39
	s_cbranch_execz .LBB92_206
.LBB92_276:                             ;   in Loop: Header=BB92_100 Depth=2
	ds_read_u8 v39, v0 offset:512
	s_waitcnt lgkmcnt(0)
	v_lshrrev_b32_e32 v39, s61, v39
	v_and_b32_e32 v132, s62, v39
	s_or_b32 exec_lo, exec_lo, s40
	s_and_saveexec_b32 s40, s38
	s_cbranch_execz .LBB92_207
.LBB92_277:                             ;   in Loop: Header=BB92_100 Depth=2
	ds_read_u8 v39, v0 offset:768
	s_waitcnt lgkmcnt(0)
	v_lshrrev_b32_e32 v39, s61, v39
	v_and_b32_e32 v131, s62, v39
	s_or_b32 exec_lo, exec_lo, s40
	s_and_saveexec_b32 s40, s37
	s_cbranch_execz .LBB92_208
.LBB92_278:                             ;   in Loop: Header=BB92_100 Depth=2
	ds_read_u8 v39, v0 offset:1024
	s_waitcnt lgkmcnt(0)
	v_lshrrev_b32_e32 v39, s61, v39
	v_and_b32_e32 v130, s62, v39
	s_or_b32 exec_lo, exec_lo, s40
	s_and_saveexec_b32 s40, s36
	s_cbranch_execz .LBB92_209
.LBB92_279:                             ;   in Loop: Header=BB92_100 Depth=2
	ds_read_u8 v39, v0 offset:1280
	s_waitcnt lgkmcnt(0)
	v_lshrrev_b32_e32 v39, s61, v39
	v_and_b32_e32 v129, s62, v39
	s_or_b32 exec_lo, exec_lo, s40
	s_and_saveexec_b32 s40, s35
	s_cbranch_execz .LBB92_210
.LBB92_280:                             ;   in Loop: Header=BB92_100 Depth=2
	ds_read_u8 v39, v0 offset:1536
	s_waitcnt lgkmcnt(0)
	v_lshrrev_b32_e32 v39, s61, v39
	v_and_b32_e32 v128, s62, v39
	s_or_b32 exec_lo, exec_lo, s40
	s_and_saveexec_b32 s40, s34
	s_cbranch_execz .LBB92_211
.LBB92_281:                             ;   in Loop: Header=BB92_100 Depth=2
	ds_read_u8 v39, v0 offset:1792
	s_waitcnt lgkmcnt(0)
	v_lshrrev_b32_e32 v39, s61, v39
	v_and_b32_e32 v126, s62, v39
	s_or_b32 exec_lo, exec_lo, s40
	s_and_saveexec_b32 s40, s33
	s_cbranch_execz .LBB92_212
.LBB92_282:                             ;   in Loop: Header=BB92_100 Depth=2
	ds_read_u8 v39, v0 offset:2048
	s_waitcnt lgkmcnt(0)
	v_lshrrev_b32_e32 v39, s61, v39
	v_and_b32_e32 v125, s62, v39
	s_or_b32 exec_lo, exec_lo, s40
	s_and_saveexec_b32 s40, s31
	s_cbranch_execz .LBB92_213
.LBB92_283:                             ;   in Loop: Header=BB92_100 Depth=2
	ds_read_u8 v39, v0 offset:2304
	s_waitcnt lgkmcnt(0)
	v_lshrrev_b32_e32 v39, s61, v39
	v_and_b32_e32 v124, s62, v39
	s_or_b32 exec_lo, exec_lo, s40
	s_and_saveexec_b32 s40, s30
	s_cbranch_execz .LBB92_214
.LBB92_284:                             ;   in Loop: Header=BB92_100 Depth=2
	ds_read_u8 v39, v0 offset:2560
	s_waitcnt lgkmcnt(0)
	v_lshrrev_b32_e32 v39, s61, v39
	v_and_b32_e32 v123, s62, v39
	s_or_b32 exec_lo, exec_lo, s40
	s_and_saveexec_b32 s40, s29
	s_cbranch_execz .LBB92_215
.LBB92_285:                             ;   in Loop: Header=BB92_100 Depth=2
	ds_read_u8 v39, v0 offset:2816
	s_waitcnt lgkmcnt(0)
	v_lshrrev_b32_e32 v39, s61, v39
	v_and_b32_e32 v122, s62, v39
	s_or_b32 exec_lo, exec_lo, s40
	s_and_saveexec_b32 s40, s27
	s_cbranch_execz .LBB92_216
.LBB92_286:                             ;   in Loop: Header=BB92_100 Depth=2
	ds_read_u8 v39, v0 offset:3072
	s_waitcnt lgkmcnt(0)
	v_lshrrev_b32_e32 v39, s61, v39
	v_and_b32_e32 v121, s62, v39
	s_or_b32 exec_lo, exec_lo, s40
	s_and_saveexec_b32 s40, s26
	s_cbranch_execz .LBB92_217
.LBB92_287:                             ;   in Loop: Header=BB92_100 Depth=2
	ds_read_u8 v39, v0 offset:3328
	s_waitcnt lgkmcnt(0)
	v_lshrrev_b32_e32 v39, s61, v39
	v_and_b32_e32 v120, s62, v39
	s_or_b32 exec_lo, exec_lo, s40
	s_and_saveexec_b32 s40, s25
	s_cbranch_execz .LBB92_218
.LBB92_288:                             ;   in Loop: Header=BB92_100 Depth=2
	ds_read_u8 v39, v0 offset:3584
	s_waitcnt lgkmcnt(0)
	v_lshrrev_b32_e32 v39, s61, v39
	v_and_b32_e32 v119, s62, v39
	s_or_b32 exec_lo, exec_lo, s40
	s_and_saveexec_b32 s40, s24
	s_cbranch_execz .LBB92_219
.LBB92_289:                             ;   in Loop: Header=BB92_100 Depth=2
	ds_read_u8 v39, v0 offset:3840
	s_waitcnt lgkmcnt(0)
	v_lshrrev_b32_e32 v39, s61, v39
	v_and_b32_e32 v118, s62, v39
	s_or_b32 exec_lo, exec_lo, s40
	s_and_saveexec_b32 s40, s23
	s_cbranch_execz .LBB92_220
.LBB92_290:                             ;   in Loop: Header=BB92_100 Depth=2
	ds_read_u8 v39, v0 offset:4096
	s_waitcnt lgkmcnt(0)
	v_lshrrev_b32_e32 v39, s61, v39
	v_and_b32_e32 v117, s62, v39
	s_or_b32 exec_lo, exec_lo, s40
	s_and_saveexec_b32 s40, s22
	s_cbranch_execz .LBB92_221
.LBB92_291:                             ;   in Loop: Header=BB92_100 Depth=2
	ds_read_u8 v39, v0 offset:4352
	s_waitcnt lgkmcnt(0)
	v_lshrrev_b32_e32 v39, s61, v39
	v_and_b32_e32 v116, s62, v39
	s_or_b32 exec_lo, exec_lo, s40
	s_and_saveexec_b32 s40, vcc_lo
	s_cbranch_execnz .LBB92_222
	s_branch .LBB92_223
.LBB92_292:                             ;   in Loop: Header=BB92_100 Depth=2
	v_lshlrev_b32_e32 v3, 2, v132
	v_add_nc_u32_e32 v39, v0, v75
	ds_read_b32 v3, v3
	ds_read_b64 v[39:40], v39 offset:512
	s_waitcnt lgkmcnt(1)
	v_add_nc_u32_e32 v3, v3, v0
	v_lshlrev_b64 v[41:42], 3, v[3:4]
	v_add_co_u32 v41, s39, s52, v41
	v_add_co_ci_u32_e64 v42, null, s53, v42, s39
	s_waitcnt lgkmcnt(0)
	global_store_dwordx2 v[41:42], v[39:40], off
	s_or_b32 exec_lo, exec_lo, s40
	s_and_saveexec_b32 s39, s38
	s_cbranch_execz .LBB92_225
.LBB92_293:                             ;   in Loop: Header=BB92_100 Depth=2
	v_lshlrev_b32_e32 v3, 2, v131
	v_add_nc_u32_e32 v39, v0, v75
	ds_read_b32 v3, v3
	ds_read_b64 v[39:40], v39 offset:2560
	s_waitcnt lgkmcnt(1)
	v_add_nc_u32_e32 v3, v3, v44
	v_lshlrev_b64 v[41:42], 3, v[3:4]
	v_add_co_u32 v41, s38, s52, v41
	v_add_co_ci_u32_e64 v42, null, s53, v42, s38
	s_waitcnt lgkmcnt(0)
	global_store_dwordx2 v[41:42], v[39:40], off
	s_or_b32 exec_lo, exec_lo, s39
	s_and_saveexec_b32 s38, s37
	s_cbranch_execz .LBB92_226
.LBB92_294:                             ;   in Loop: Header=BB92_100 Depth=2
	v_lshlrev_b32_e32 v3, 2, v130
	v_add_nc_u32_e32 v39, v0, v75
	ds_read_b32 v3, v3
	ds_read_b64 v[39:40], v39 offset:4608
	s_waitcnt lgkmcnt(1)
	v_add_nc_u32_e32 v3, v3, v47
	v_lshlrev_b64 v[41:42], 3, v[3:4]
	v_add_co_u32 v41, s37, s52, v41
	v_add_co_ci_u32_e64 v42, null, s53, v42, s37
	s_waitcnt lgkmcnt(0)
	global_store_dwordx2 v[41:42], v[39:40], off
	s_or_b32 exec_lo, exec_lo, s38
	s_and_saveexec_b32 s37, s36
	s_cbranch_execz .LBB92_227
.LBB92_295:                             ;   in Loop: Header=BB92_100 Depth=2
	v_lshlrev_b32_e32 v3, 2, v129
	v_add_nc_u32_e32 v39, v0, v75
	ds_read_b32 v3, v3
	ds_read_b64 v[39:40], v39 offset:6656
	s_waitcnt lgkmcnt(1)
	v_add_nc_u32_e32 v3, v3, v48
	v_lshlrev_b64 v[41:42], 3, v[3:4]
	v_add_co_u32 v41, s36, s52, v41
	v_add_co_ci_u32_e64 v42, null, s53, v42, s36
	s_waitcnt lgkmcnt(0)
	global_store_dwordx2 v[41:42], v[39:40], off
	s_or_b32 exec_lo, exec_lo, s37
	s_and_saveexec_b32 s36, s35
	s_cbranch_execz .LBB92_228
.LBB92_296:                             ;   in Loop: Header=BB92_100 Depth=2
	v_lshlrev_b32_e32 v3, 2, v128
	v_add_nc_u32_e32 v39, v0, v75
	ds_read_b32 v3, v3
	ds_read_b64 v[39:40], v39 offset:8704
	s_waitcnt lgkmcnt(1)
	v_add_nc_u32_e32 v3, v3, v49
	v_lshlrev_b64 v[41:42], 3, v[3:4]
	v_add_co_u32 v41, s35, s52, v41
	v_add_co_ci_u32_e64 v42, null, s53, v42, s35
	s_waitcnt lgkmcnt(0)
	global_store_dwordx2 v[41:42], v[39:40], off
	s_or_b32 exec_lo, exec_lo, s36
	s_and_saveexec_b32 s35, s34
	s_cbranch_execz .LBB92_229
.LBB92_297:                             ;   in Loop: Header=BB92_100 Depth=2
	v_lshlrev_b32_e32 v3, 2, v126
	v_add_nc_u32_e32 v39, v0, v75
	ds_read_b32 v3, v3
	ds_read_b64 v[39:40], v39 offset:10752
	s_waitcnt lgkmcnt(1)
	v_add_nc_u32_e32 v3, v3, v50
	v_lshlrev_b64 v[41:42], 3, v[3:4]
	v_add_co_u32 v41, s34, s52, v41
	v_add_co_ci_u32_e64 v42, null, s53, v42, s34
	s_waitcnt lgkmcnt(0)
	global_store_dwordx2 v[41:42], v[39:40], off
	s_or_b32 exec_lo, exec_lo, s35
	s_and_saveexec_b32 s34, s33
	s_cbranch_execz .LBB92_230
.LBB92_298:                             ;   in Loop: Header=BB92_100 Depth=2
	v_lshlrev_b32_e32 v3, 2, v125
	v_add_nc_u32_e32 v39, v0, v75
	ds_read_b32 v3, v3
	ds_read_b64 v[39:40], v39 offset:12800
	s_waitcnt lgkmcnt(1)
	v_add_nc_u32_e32 v3, v3, v51
	v_lshlrev_b64 v[41:42], 3, v[3:4]
	v_add_co_u32 v41, s33, s52, v41
	v_add_co_ci_u32_e64 v42, null, s53, v42, s33
	s_waitcnt lgkmcnt(0)
	global_store_dwordx2 v[41:42], v[39:40], off
	s_or_b32 exec_lo, exec_lo, s34
	s_and_saveexec_b32 s33, s31
	s_cbranch_execz .LBB92_231
.LBB92_299:                             ;   in Loop: Header=BB92_100 Depth=2
	v_lshlrev_b32_e32 v3, 2, v124
	v_add_nc_u32_e32 v39, v0, v75
	ds_read_b32 v3, v3
	ds_read_b64 v[39:40], v39 offset:14848
	s_waitcnt lgkmcnt(1)
	v_add_nc_u32_e32 v3, v3, v52
	v_lshlrev_b64 v[41:42], 3, v[3:4]
	v_add_co_u32 v41, s31, s52, v41
	v_add_co_ci_u32_e64 v42, null, s53, v42, s31
	s_waitcnt lgkmcnt(0)
	global_store_dwordx2 v[41:42], v[39:40], off
	s_or_b32 exec_lo, exec_lo, s33
	s_and_saveexec_b32 s31, s30
	s_cbranch_execz .LBB92_232
.LBB92_300:                             ;   in Loop: Header=BB92_100 Depth=2
	v_lshlrev_b32_e32 v3, 2, v123
	v_add_nc_u32_e32 v39, v0, v75
	ds_read_b32 v3, v3
	ds_read_b64 v[39:40], v39 offset:16896
	s_waitcnt lgkmcnt(1)
	v_add_nc_u32_e32 v3, v3, v53
	v_lshlrev_b64 v[41:42], 3, v[3:4]
	v_add_co_u32 v41, s30, s52, v41
	v_add_co_ci_u32_e64 v42, null, s53, v42, s30
	s_waitcnt lgkmcnt(0)
	global_store_dwordx2 v[41:42], v[39:40], off
	s_or_b32 exec_lo, exec_lo, s31
	s_and_saveexec_b32 s30, s29
	s_cbranch_execz .LBB92_233
.LBB92_301:                             ;   in Loop: Header=BB92_100 Depth=2
	v_lshlrev_b32_e32 v3, 2, v122
	v_add_nc_u32_e32 v39, v0, v75
	ds_read_b32 v3, v3
	ds_read_b64 v[39:40], v39 offset:18944
	s_waitcnt lgkmcnt(1)
	v_add_nc_u32_e32 v3, v3, v54
	v_lshlrev_b64 v[41:42], 3, v[3:4]
	v_add_co_u32 v41, s29, s52, v41
	v_add_co_ci_u32_e64 v42, null, s53, v42, s29
	s_waitcnt lgkmcnt(0)
	global_store_dwordx2 v[41:42], v[39:40], off
	s_or_b32 exec_lo, exec_lo, s30
	s_and_saveexec_b32 s29, s27
	s_cbranch_execz .LBB92_234
.LBB92_302:                             ;   in Loop: Header=BB92_100 Depth=2
	v_lshlrev_b32_e32 v3, 2, v121
	v_add_nc_u32_e32 v39, v0, v75
	ds_read_b32 v3, v3
	ds_read_b64 v[39:40], v39 offset:20992
	s_waitcnt lgkmcnt(1)
	v_add_nc_u32_e32 v3, v3, v55
	v_lshlrev_b64 v[41:42], 3, v[3:4]
	v_add_co_u32 v41, s27, s52, v41
	v_add_co_ci_u32_e64 v42, null, s53, v42, s27
	s_waitcnt lgkmcnt(0)
	global_store_dwordx2 v[41:42], v[39:40], off
	s_or_b32 exec_lo, exec_lo, s29
	s_and_saveexec_b32 s27, s26
	s_cbranch_execz .LBB92_235
.LBB92_303:                             ;   in Loop: Header=BB92_100 Depth=2
	v_lshlrev_b32_e32 v3, 2, v120
	v_add_nc_u32_e32 v39, v0, v75
	ds_read_b32 v3, v3
	ds_read_b64 v[39:40], v39 offset:23040
	s_waitcnt lgkmcnt(1)
	v_add_nc_u32_e32 v3, v3, v56
	v_lshlrev_b64 v[41:42], 3, v[3:4]
	v_add_co_u32 v41, s26, s52, v41
	v_add_co_ci_u32_e64 v42, null, s53, v42, s26
	s_waitcnt lgkmcnt(0)
	global_store_dwordx2 v[41:42], v[39:40], off
	s_or_b32 exec_lo, exec_lo, s27
	s_and_saveexec_b32 s26, s25
	s_cbranch_execz .LBB92_236
.LBB92_304:                             ;   in Loop: Header=BB92_100 Depth=2
	v_lshlrev_b32_e32 v3, 2, v119
	v_add_nc_u32_e32 v39, v0, v75
	ds_read_b32 v3, v3
	ds_read_b64 v[39:40], v39 offset:25088
	s_waitcnt lgkmcnt(1)
	v_add_nc_u32_e32 v3, v3, v57
	v_lshlrev_b64 v[41:42], 3, v[3:4]
	v_add_co_u32 v41, s25, s52, v41
	v_add_co_ci_u32_e64 v42, null, s53, v42, s25
	s_waitcnt lgkmcnt(0)
	global_store_dwordx2 v[41:42], v[39:40], off
	s_or_b32 exec_lo, exec_lo, s26
	s_and_saveexec_b32 s25, s24
	s_cbranch_execz .LBB92_237
.LBB92_305:                             ;   in Loop: Header=BB92_100 Depth=2
	v_lshlrev_b32_e32 v3, 2, v118
	v_add_nc_u32_e32 v39, v0, v75
	ds_read_b32 v3, v3
	ds_read_b64 v[39:40], v39 offset:27136
	s_waitcnt lgkmcnt(1)
	v_add_nc_u32_e32 v3, v3, v58
	v_lshlrev_b64 v[41:42], 3, v[3:4]
	v_add_co_u32 v41, s24, s52, v41
	v_add_co_ci_u32_e64 v42, null, s53, v42, s24
	s_waitcnt lgkmcnt(0)
	global_store_dwordx2 v[41:42], v[39:40], off
	s_or_b32 exec_lo, exec_lo, s25
	s_and_saveexec_b32 s24, s23
	s_cbranch_execz .LBB92_238
.LBB92_306:                             ;   in Loop: Header=BB92_100 Depth=2
	v_lshlrev_b32_e32 v3, 2, v117
	v_add_nc_u32_e32 v39, v0, v75
	ds_read_b32 v3, v3
	ds_read_b64 v[39:40], v39 offset:29184
	s_waitcnt lgkmcnt(1)
	v_add_nc_u32_e32 v3, v3, v59
	v_lshlrev_b64 v[41:42], 3, v[3:4]
	v_add_co_u32 v41, s23, s52, v41
	v_add_co_ci_u32_e64 v42, null, s53, v42, s23
	s_waitcnt lgkmcnt(0)
	global_store_dwordx2 v[41:42], v[39:40], off
	s_or_b32 exec_lo, exec_lo, s24
	s_and_saveexec_b32 s23, s22
	s_cbranch_execz .LBB92_239
.LBB92_307:                             ;   in Loop: Header=BB92_100 Depth=2
	v_lshlrev_b32_e32 v3, 2, v116
	v_add_nc_u32_e32 v39, v0, v75
	ds_read_b32 v3, v3
	ds_read_b64 v[39:40], v39 offset:31232
	s_waitcnt lgkmcnt(1)
	v_add_nc_u32_e32 v3, v3, v60
	v_lshlrev_b64 v[41:42], 3, v[3:4]
	v_add_co_u32 v41, s22, s52, v41
	v_add_co_ci_u32_e64 v42, null, s53, v42, s22
	s_waitcnt lgkmcnt(0)
	global_store_dwordx2 v[41:42], v[39:40], off
	s_or_b32 exec_lo, exec_lo, s23
	s_and_saveexec_b32 s22, vcc_lo
	s_cbranch_execnz .LBB92_240
	s_branch .LBB92_241
.LBB92_308:                             ;   in Loop: Header=BB92_100 Depth=2
	global_load_ubyte v149, v[39:40], off offset:32
	s_or_b32 exec_lo, exec_lo, s22
	s_mov_b32 s22, exec_lo
	v_cmpx_gt_u32_e64 s63, v99
	s_cbranch_execz .LBB92_107
.LBB92_309:                             ;   in Loop: Header=BB92_100 Depth=2
	global_load_ubyte v145, v[39:40], off offset:64
	s_or_b32 exec_lo, exec_lo, s22
	s_mov_b32 s22, exec_lo
	v_cmpx_gt_u32_e64 s63, v100
	s_cbranch_execz .LBB92_108
.LBB92_310:                             ;   in Loop: Header=BB92_100 Depth=2
	global_load_ubyte v146, v[39:40], off offset:96
	s_or_b32 exec_lo, exec_lo, s22
	s_mov_b32 s22, exec_lo
	v_cmpx_gt_u32_e64 s63, v101
	s_cbranch_execz .LBB92_109
.LBB92_311:                             ;   in Loop: Header=BB92_100 Depth=2
	global_load_ubyte v148, v[39:40], off offset:128
	s_or_b32 exec_lo, exec_lo, s22
	s_mov_b32 s22, exec_lo
	v_cmpx_gt_u32_e64 s63, v102
	s_cbranch_execz .LBB92_110
.LBB92_312:                             ;   in Loop: Header=BB92_100 Depth=2
	global_load_ubyte v141, v[39:40], off offset:160
	s_or_b32 exec_lo, exec_lo, s22
	s_mov_b32 s22, exec_lo
	v_cmpx_gt_u32_e64 s63, v103
	s_cbranch_execz .LBB92_111
.LBB92_313:                             ;   in Loop: Header=BB92_100 Depth=2
	global_load_ubyte v142, v[39:40], off offset:192
	s_or_b32 exec_lo, exec_lo, s22
	s_mov_b32 s22, exec_lo
	v_cmpx_gt_u32_e64 s63, v104
	s_cbranch_execz .LBB92_112
.LBB92_314:                             ;   in Loop: Header=BB92_100 Depth=2
	global_load_ubyte v143, v[39:40], off offset:224
	s_or_b32 exec_lo, exec_lo, s22
	s_mov_b32 s22, exec_lo
	v_cmpx_gt_u32_e64 s63, v105
	s_cbranch_execz .LBB92_113
.LBB92_315:                             ;   in Loop: Header=BB92_100 Depth=2
	global_load_ubyte v140, v[39:40], off offset:256
	s_or_b32 exec_lo, exec_lo, s22
	s_mov_b32 s22, exec_lo
	v_cmpx_gt_u32_e64 s63, v106
	s_cbranch_execz .LBB92_114
.LBB92_316:                             ;   in Loop: Header=BB92_100 Depth=2
	global_load_ubyte v137, v[39:40], off offset:288
	s_or_b32 exec_lo, exec_lo, s22
	s_mov_b32 s22, exec_lo
	v_cmpx_gt_u32_e64 s63, v107
	s_cbranch_execz .LBB92_115
.LBB92_317:                             ;   in Loop: Header=BB92_100 Depth=2
	global_load_ubyte v138, v[39:40], off offset:320
	s_or_b32 exec_lo, exec_lo, s22
	s_mov_b32 s22, exec_lo
	v_cmpx_gt_u32_e64 s63, v108
	s_cbranch_execz .LBB92_116
.LBB92_318:                             ;   in Loop: Header=BB92_100 Depth=2
	global_load_ubyte v139, v[39:40], off offset:352
	s_or_b32 exec_lo, exec_lo, s22
	s_mov_b32 s22, exec_lo
	v_cmpx_gt_u32_e64 s63, v109
	s_cbranch_execz .LBB92_117
.LBB92_319:                             ;   in Loop: Header=BB92_100 Depth=2
	global_load_ubyte v135, v[39:40], off offset:384
	s_or_b32 exec_lo, exec_lo, s22
	s_mov_b32 s22, exec_lo
	v_cmpx_gt_u32_e64 s63, v110
	s_cbranch_execz .LBB92_118
.LBB92_320:                             ;   in Loop: Header=BB92_100 Depth=2
	global_load_ubyte v3, v[39:40], off offset:416
	s_or_b32 exec_lo, exec_lo, s22
	s_mov_b32 s22, exec_lo
	v_cmpx_gt_u32_e64 s63, v111
	s_cbranch_execz .LBB92_119
.LBB92_321:                             ;   in Loop: Header=BB92_100 Depth=2
	global_load_ubyte v41, v[39:40], off offset:448
	s_or_b32 exec_lo, exec_lo, s22
	s_mov_b32 s22, exec_lo
	v_cmpx_gt_u32_e64 s63, v112
	s_cbranch_execnz .LBB92_120
	s_branch .LBB92_121
.LBB92_322:                             ;   in Loop: Header=BB92_12 Depth=1
	s_waitcnt lgkmcnt(0)
	s_mov_b32 s5, 0
	s_barrier
.LBB92_323:                             ;   in Loop: Header=BB92_12 Depth=1
	s_and_b32 vcc_lo, exec_lo, s5
	s_cbranch_vccz .LBB92_633
; %bb.324:                              ;   in Loop: Header=BB92_12 Depth=1
	v_mov_b32_e32 v17, 0
	v_mov_b32_e32 v20, 0
	v_mov_b32_e32 v19, 0
	v_mov_b32_e32 v18, 0
	v_mov_b32_e32 v16, 0
	v_mov_b32_e32 v15, 0
	v_mov_b32_e32 v14, 0
	v_mov_b32_e32 v13, 0
	v_mov_b32_e32 v12, 0
	v_mov_b32_e32 v11, 0
	v_mov_b32_e32 v10, 0
	v_mov_b32_e32 v9, 0
	v_mov_b32_e32 v8, 0
	v_mov_b32_e32 v7, 0
	v_mov_b32_e32 v6, 0
	v_mov_b32_e32 v5, 0
	v_mov_b32_e32 v3, 0
	s_mov_b32 s5, s60
	s_mov_b32 s16, s58
	s_barrier
	buffer_gl0_inv
	s_branch .LBB92_326
.LBB92_325:                             ;   in Loop: Header=BB92_326 Depth=2
	s_or_b32 exec_lo, exec_lo, s15
	s_addk_i32 s5, 0xef00
	s_cmp_ge_u32 s14, s59
	s_mov_b32 s16, s14
	s_cbranch_scc1 .LBB92_398
.LBB92_326:                             ;   Parent Loop BB92_12 Depth=1
                                        ; =>  This Inner Loop Header: Depth=2
	s_add_i32 s14, s16, 0x1100
	s_mov_b32 s15, -1
	s_cmp_gt_u32 s14, s59
                                        ; implicit-def: $vgpr21
                                        ; implicit-def: $vgpr22
                                        ; implicit-def: $vgpr23
                                        ; implicit-def: $vgpr24
                                        ; implicit-def: $vgpr25
                                        ; implicit-def: $vgpr26
                                        ; implicit-def: $vgpr27
                                        ; implicit-def: $vgpr28
                                        ; implicit-def: $vgpr29
                                        ; implicit-def: $vgpr30
                                        ; implicit-def: $vgpr31
                                        ; implicit-def: $vgpr32
                                        ; implicit-def: $vgpr33
                                        ; implicit-def: $vgpr34
                                        ; implicit-def: $vgpr35
                                        ; implicit-def: $vgpr36
                                        ; implicit-def: $vgpr37
	s_cbranch_scc1 .LBB92_328
; %bb.327:                              ;   in Loop: Header=BB92_326 Depth=2
	v_add_co_u32 v38, vcc_lo, v76, s16
	v_add_co_ci_u32_e64 v39, null, 0, v77, vcc_lo
	s_mov_b32 s15, 0
	v_add_co_u32 v21, vcc_lo, 0x800, v38
	v_add_co_ci_u32_e64 v22, null, 0, v39, vcc_lo
	v_add_co_u32 v23, vcc_lo, 0x1000, v38
	v_add_co_ci_u32_e64 v24, null, 0, v39, vcc_lo
	s_clause 0x10
	global_load_ubyte v36, v[21:22], off offset:1792
	global_load_ubyte v37, v[23:24], off
	global_load_ubyte v35, v[21:22], off offset:1536
	global_load_ubyte v34, v[21:22], off offset:1280
	;; [unrolled: 1-line block ×6, first 2 shown]
	global_load_ubyte v29, v[21:22], off
	global_load_ubyte v28, v[38:39], off offset:1792
	global_load_ubyte v27, v[38:39], off offset:1536
	;; [unrolled: 1-line block ×7, first 2 shown]
	global_load_ubyte v21, v[38:39], off
.LBB92_328:                             ;   in Loop: Header=BB92_326 Depth=2
	s_andn2_b32 vcc_lo, exec_lo, s15
	s_movk_i32 s15, 0x1100
	s_cbranch_vccnz .LBB92_348
; %bb.329:                              ;   in Loop: Header=BB92_326 Depth=2
	s_add_u32 s15, s46, s16
	s_addc_u32 s16, s47, 0
	s_mov_b32 s17, exec_lo
	v_cmpx_gt_u32_e64 s5, v0
	s_cbranch_execnz .LBB92_382
; %bb.330:                              ;   in Loop: Header=BB92_326 Depth=2
	s_or_b32 exec_lo, exec_lo, s17
	s_mov_b32 s17, exec_lo
	v_cmpx_gt_u32_e64 s5, v44
	s_cbranch_execnz .LBB92_383
.LBB92_331:                             ;   in Loop: Header=BB92_326 Depth=2
	s_or_b32 exec_lo, exec_lo, s17
	s_mov_b32 s17, exec_lo
	v_cmpx_gt_u32_e64 s5, v47
	s_cbranch_execnz .LBB92_384
.LBB92_332:                             ;   in Loop: Header=BB92_326 Depth=2
	s_or_b32 exec_lo, exec_lo, s17
	s_mov_b32 s17, exec_lo
	v_cmpx_gt_u32_e64 s5, v48
	s_cbranch_execnz .LBB92_385
.LBB92_333:                             ;   in Loop: Header=BB92_326 Depth=2
	s_or_b32 exec_lo, exec_lo, s17
	s_mov_b32 s17, exec_lo
	v_cmpx_gt_u32_e64 s5, v49
	s_cbranch_execnz .LBB92_386
.LBB92_334:                             ;   in Loop: Header=BB92_326 Depth=2
	s_or_b32 exec_lo, exec_lo, s17
	s_mov_b32 s17, exec_lo
	v_cmpx_gt_u32_e64 s5, v50
	s_cbranch_execnz .LBB92_387
.LBB92_335:                             ;   in Loop: Header=BB92_326 Depth=2
	s_or_b32 exec_lo, exec_lo, s17
	s_mov_b32 s17, exec_lo
	v_cmpx_gt_u32_e64 s5, v51
	s_cbranch_execnz .LBB92_388
.LBB92_336:                             ;   in Loop: Header=BB92_326 Depth=2
	s_or_b32 exec_lo, exec_lo, s17
	s_mov_b32 s17, exec_lo
	v_cmpx_gt_u32_e64 s5, v52
	s_cbranch_execnz .LBB92_389
.LBB92_337:                             ;   in Loop: Header=BB92_326 Depth=2
	s_or_b32 exec_lo, exec_lo, s17
	s_mov_b32 s17, exec_lo
	v_cmpx_gt_u32_e64 s5, v53
	s_cbranch_execnz .LBB92_390
.LBB92_338:                             ;   in Loop: Header=BB92_326 Depth=2
	s_or_b32 exec_lo, exec_lo, s17
	s_mov_b32 s17, exec_lo
	v_cmpx_gt_u32_e64 s5, v54
	s_cbranch_execnz .LBB92_391
.LBB92_339:                             ;   in Loop: Header=BB92_326 Depth=2
	s_or_b32 exec_lo, exec_lo, s17
	s_mov_b32 s17, exec_lo
	v_cmpx_gt_u32_e64 s5, v55
	s_cbranch_execnz .LBB92_392
.LBB92_340:                             ;   in Loop: Header=BB92_326 Depth=2
	s_or_b32 exec_lo, exec_lo, s17
	s_mov_b32 s17, exec_lo
	v_cmpx_gt_u32_e64 s5, v56
	s_cbranch_execnz .LBB92_393
.LBB92_341:                             ;   in Loop: Header=BB92_326 Depth=2
	s_or_b32 exec_lo, exec_lo, s17
	s_mov_b32 s17, exec_lo
	v_cmpx_gt_u32_e64 s5, v57
	s_cbranch_execnz .LBB92_394
.LBB92_342:                             ;   in Loop: Header=BB92_326 Depth=2
	s_or_b32 exec_lo, exec_lo, s17
	s_mov_b32 s17, exec_lo
	v_cmpx_gt_u32_e64 s5, v58
	s_cbranch_execnz .LBB92_395
.LBB92_343:                             ;   in Loop: Header=BB92_326 Depth=2
	s_or_b32 exec_lo, exec_lo, s17
	s_mov_b32 s17, exec_lo
	v_cmpx_gt_u32_e64 s5, v59
	s_cbranch_execnz .LBB92_396
.LBB92_344:                             ;   in Loop: Header=BB92_326 Depth=2
	s_or_b32 exec_lo, exec_lo, s17
	s_mov_b32 s17, exec_lo
	v_cmpx_gt_u32_e64 s5, v60
	s_cbranch_execnz .LBB92_397
.LBB92_345:                             ;   in Loop: Header=BB92_326 Depth=2
	s_or_b32 exec_lo, exec_lo, s17
	s_mov_b32 s17, exec_lo
	v_cmpx_gt_u32_e64 s5, v61
	s_cbranch_execz .LBB92_347
.LBB92_346:                             ;   in Loop: Header=BB92_326 Depth=2
	s_waitcnt vmcnt(0)
	v_add_co_u32 v21, s15, s15, v61
	v_add_co_ci_u32_e64 v22, null, s16, 0, s15
	global_load_ubyte v3, v[21:22], off
.LBB92_347:                             ;   in Loop: Header=BB92_326 Depth=2
	s_or_b32 exec_lo, exec_lo, s17
	s_waitcnt vmcnt(0)
	v_mov_b32_e32 v21, v17
	v_mov_b32_e32 v22, v20
	;; [unrolled: 1-line block ×17, first 2 shown]
	s_mov_b32 s15, s5
.LBB92_348:                             ;   in Loop: Header=BB92_326 Depth=2
	s_waitcnt vmcnt(15)
	v_mov_b32_e32 v3, v37
	v_mov_b32_e32 v5, v36
	s_waitcnt vmcnt(14)
	v_mov_b32_e32 v6, v35
	s_waitcnt vmcnt(13)
	v_mov_b32_e32 v7, v34
	s_waitcnt vmcnt(12)
	v_mov_b32_e32 v8, v33
	s_waitcnt vmcnt(11)
	v_mov_b32_e32 v9, v32
	s_waitcnt vmcnt(10)
	v_mov_b32_e32 v10, v31
	s_waitcnt vmcnt(9)
	v_mov_b32_e32 v11, v30
	s_waitcnt vmcnt(8)
	v_mov_b32_e32 v12, v29
	s_waitcnt vmcnt(7)
	v_mov_b32_e32 v13, v28
	s_waitcnt vmcnt(6)
	v_mov_b32_e32 v14, v27
	s_waitcnt vmcnt(5)
	v_mov_b32_e32 v15, v26
	s_waitcnt vmcnt(4)
	v_mov_b32_e32 v16, v25
	s_waitcnt vmcnt(3)
	v_mov_b32_e32 v18, v24
	s_waitcnt vmcnt(2)
	v_mov_b32_e32 v19, v23
	s_waitcnt vmcnt(1)
	v_mov_b32_e32 v20, v22
	s_waitcnt vmcnt(0)
	v_mov_b32_e32 v17, v21
	s_mov_b32 s16, exec_lo
	v_cmpx_gt_u32_e64 s15, v0
	s_cbranch_execnz .LBB92_365
; %bb.349:                              ;   in Loop: Header=BB92_326 Depth=2
	s_or_b32 exec_lo, exec_lo, s16
	s_mov_b32 s16, exec_lo
	v_cmpx_gt_u32_e64 s15, v44
	s_cbranch_execnz .LBB92_366
.LBB92_350:                             ;   in Loop: Header=BB92_326 Depth=2
	s_or_b32 exec_lo, exec_lo, s16
	s_mov_b32 s16, exec_lo
	v_cmpx_gt_u32_e64 s15, v47
	s_cbranch_execnz .LBB92_367
.LBB92_351:                             ;   in Loop: Header=BB92_326 Depth=2
	s_or_b32 exec_lo, exec_lo, s16
	s_mov_b32 s16, exec_lo
	v_cmpx_gt_u32_e64 s15, v48
	s_cbranch_execnz .LBB92_368
.LBB92_352:                             ;   in Loop: Header=BB92_326 Depth=2
	s_or_b32 exec_lo, exec_lo, s16
	s_mov_b32 s16, exec_lo
	v_cmpx_gt_u32_e64 s15, v49
	s_cbranch_execnz .LBB92_369
.LBB92_353:                             ;   in Loop: Header=BB92_326 Depth=2
	s_or_b32 exec_lo, exec_lo, s16
	s_mov_b32 s16, exec_lo
	v_cmpx_gt_u32_e64 s15, v50
	s_cbranch_execnz .LBB92_370
.LBB92_354:                             ;   in Loop: Header=BB92_326 Depth=2
	s_or_b32 exec_lo, exec_lo, s16
	s_mov_b32 s16, exec_lo
	v_cmpx_gt_u32_e64 s15, v51
	s_cbranch_execnz .LBB92_371
.LBB92_355:                             ;   in Loop: Header=BB92_326 Depth=2
	s_or_b32 exec_lo, exec_lo, s16
	s_mov_b32 s16, exec_lo
	v_cmpx_gt_u32_e64 s15, v52
	s_cbranch_execnz .LBB92_372
.LBB92_356:                             ;   in Loop: Header=BB92_326 Depth=2
	s_or_b32 exec_lo, exec_lo, s16
	s_mov_b32 s16, exec_lo
	v_cmpx_gt_u32_e64 s15, v53
	s_cbranch_execnz .LBB92_373
.LBB92_357:                             ;   in Loop: Header=BB92_326 Depth=2
	s_or_b32 exec_lo, exec_lo, s16
	s_mov_b32 s16, exec_lo
	v_cmpx_gt_u32_e64 s15, v54
	s_cbranch_execnz .LBB92_374
.LBB92_358:                             ;   in Loop: Header=BB92_326 Depth=2
	s_or_b32 exec_lo, exec_lo, s16
	s_mov_b32 s16, exec_lo
	v_cmpx_gt_u32_e64 s15, v55
	s_cbranch_execnz .LBB92_375
.LBB92_359:                             ;   in Loop: Header=BB92_326 Depth=2
	s_or_b32 exec_lo, exec_lo, s16
	s_mov_b32 s16, exec_lo
	v_cmpx_gt_u32_e64 s15, v56
	s_cbranch_execnz .LBB92_376
.LBB92_360:                             ;   in Loop: Header=BB92_326 Depth=2
	s_or_b32 exec_lo, exec_lo, s16
	s_mov_b32 s16, exec_lo
	v_cmpx_gt_u32_e64 s15, v57
	s_cbranch_execnz .LBB92_377
.LBB92_361:                             ;   in Loop: Header=BB92_326 Depth=2
	s_or_b32 exec_lo, exec_lo, s16
	s_mov_b32 s16, exec_lo
	v_cmpx_gt_u32_e64 s15, v58
	s_cbranch_execnz .LBB92_378
.LBB92_362:                             ;   in Loop: Header=BB92_326 Depth=2
	s_or_b32 exec_lo, exec_lo, s16
	s_mov_b32 s16, exec_lo
	v_cmpx_gt_u32_e64 s15, v59
	s_cbranch_execnz .LBB92_379
.LBB92_363:                             ;   in Loop: Header=BB92_326 Depth=2
	s_or_b32 exec_lo, exec_lo, s16
	s_mov_b32 s16, exec_lo
	v_cmpx_gt_u32_e64 s15, v60
	s_cbranch_execnz .LBB92_380
.LBB92_364:                             ;   in Loop: Header=BB92_326 Depth=2
	s_or_b32 exec_lo, exec_lo, s16
	v_cmp_gt_u32_e32 vcc_lo, s15, v61
	s_and_saveexec_b32 s15, vcc_lo
	s_cbranch_execz .LBB92_325
	s_branch .LBB92_381
.LBB92_365:                             ;   in Loop: Header=BB92_326 Depth=2
	v_xor_b32_e32 v21, -1, v17
	v_lshrrev_b32_sdwa v21, s61, v21 dst_sel:DWORD dst_unused:UNUSED_PAD src0_sel:DWORD src1_sel:BYTE_0
	v_and_b32_e32 v21, s62, v21
	v_lshl_or_b32 v21, v21, 4, v63
	ds_add_u32 v21, v89
	s_or_b32 exec_lo, exec_lo, s16
	s_mov_b32 s16, exec_lo
	v_cmpx_gt_u32_e64 s15, v44
	s_cbranch_execz .LBB92_350
.LBB92_366:                             ;   in Loop: Header=BB92_326 Depth=2
	v_xor_b32_e32 v21, -1, v20
	v_lshrrev_b32_sdwa v21, s61, v21 dst_sel:DWORD dst_unused:UNUSED_PAD src0_sel:DWORD src1_sel:BYTE_0
	v_and_b32_e32 v21, s62, v21
	v_lshl_or_b32 v21, v21, 4, v63
	ds_add_u32 v21, v89
	s_or_b32 exec_lo, exec_lo, s16
	s_mov_b32 s16, exec_lo
	v_cmpx_gt_u32_e64 s15, v47
	s_cbranch_execz .LBB92_351
.LBB92_367:                             ;   in Loop: Header=BB92_326 Depth=2
	v_xor_b32_e32 v21, -1, v19
	v_lshrrev_b32_sdwa v21, s61, v21 dst_sel:DWORD dst_unused:UNUSED_PAD src0_sel:DWORD src1_sel:BYTE_0
	v_and_b32_e32 v21, s62, v21
	v_lshl_or_b32 v21, v21, 4, v63
	ds_add_u32 v21, v89
	s_or_b32 exec_lo, exec_lo, s16
	s_mov_b32 s16, exec_lo
	v_cmpx_gt_u32_e64 s15, v48
	s_cbranch_execz .LBB92_352
.LBB92_368:                             ;   in Loop: Header=BB92_326 Depth=2
	v_xor_b32_e32 v21, -1, v18
	v_lshrrev_b32_sdwa v21, s61, v21 dst_sel:DWORD dst_unused:UNUSED_PAD src0_sel:DWORD src1_sel:BYTE_0
	v_and_b32_e32 v21, s62, v21
	v_lshl_or_b32 v21, v21, 4, v63
	ds_add_u32 v21, v89
	s_or_b32 exec_lo, exec_lo, s16
	s_mov_b32 s16, exec_lo
	v_cmpx_gt_u32_e64 s15, v49
	s_cbranch_execz .LBB92_353
.LBB92_369:                             ;   in Loop: Header=BB92_326 Depth=2
	v_xor_b32_e32 v21, -1, v16
	v_lshrrev_b32_sdwa v21, s61, v21 dst_sel:DWORD dst_unused:UNUSED_PAD src0_sel:DWORD src1_sel:BYTE_0
	v_and_b32_e32 v21, s62, v21
	v_lshl_or_b32 v21, v21, 4, v63
	ds_add_u32 v21, v89
	s_or_b32 exec_lo, exec_lo, s16
	s_mov_b32 s16, exec_lo
	v_cmpx_gt_u32_e64 s15, v50
	s_cbranch_execz .LBB92_354
.LBB92_370:                             ;   in Loop: Header=BB92_326 Depth=2
	v_xor_b32_e32 v21, -1, v15
	v_lshrrev_b32_sdwa v21, s61, v21 dst_sel:DWORD dst_unused:UNUSED_PAD src0_sel:DWORD src1_sel:BYTE_0
	v_and_b32_e32 v21, s62, v21
	v_lshl_or_b32 v21, v21, 4, v63
	ds_add_u32 v21, v89
	s_or_b32 exec_lo, exec_lo, s16
	s_mov_b32 s16, exec_lo
	v_cmpx_gt_u32_e64 s15, v51
	s_cbranch_execz .LBB92_355
.LBB92_371:                             ;   in Loop: Header=BB92_326 Depth=2
	v_xor_b32_e32 v21, -1, v14
	v_lshrrev_b32_sdwa v21, s61, v21 dst_sel:DWORD dst_unused:UNUSED_PAD src0_sel:DWORD src1_sel:BYTE_0
	v_and_b32_e32 v21, s62, v21
	v_lshl_or_b32 v21, v21, 4, v63
	ds_add_u32 v21, v89
	s_or_b32 exec_lo, exec_lo, s16
	s_mov_b32 s16, exec_lo
	v_cmpx_gt_u32_e64 s15, v52
	s_cbranch_execz .LBB92_356
.LBB92_372:                             ;   in Loop: Header=BB92_326 Depth=2
	v_xor_b32_e32 v21, -1, v13
	v_lshrrev_b32_sdwa v21, s61, v21 dst_sel:DWORD dst_unused:UNUSED_PAD src0_sel:DWORD src1_sel:BYTE_0
	v_and_b32_e32 v21, s62, v21
	v_lshl_or_b32 v21, v21, 4, v63
	ds_add_u32 v21, v89
	s_or_b32 exec_lo, exec_lo, s16
	s_mov_b32 s16, exec_lo
	v_cmpx_gt_u32_e64 s15, v53
	s_cbranch_execz .LBB92_357
.LBB92_373:                             ;   in Loop: Header=BB92_326 Depth=2
	v_xor_b32_e32 v21, -1, v12
	v_lshrrev_b32_sdwa v21, s61, v21 dst_sel:DWORD dst_unused:UNUSED_PAD src0_sel:DWORD src1_sel:BYTE_0
	v_and_b32_e32 v21, s62, v21
	v_lshl_or_b32 v21, v21, 4, v63
	ds_add_u32 v21, v89
	s_or_b32 exec_lo, exec_lo, s16
	s_mov_b32 s16, exec_lo
	v_cmpx_gt_u32_e64 s15, v54
	s_cbranch_execz .LBB92_358
.LBB92_374:                             ;   in Loop: Header=BB92_326 Depth=2
	v_xor_b32_e32 v21, -1, v11
	v_lshrrev_b32_sdwa v21, s61, v21 dst_sel:DWORD dst_unused:UNUSED_PAD src0_sel:DWORD src1_sel:BYTE_0
	v_and_b32_e32 v21, s62, v21
	v_lshl_or_b32 v21, v21, 4, v63
	ds_add_u32 v21, v89
	s_or_b32 exec_lo, exec_lo, s16
	s_mov_b32 s16, exec_lo
	v_cmpx_gt_u32_e64 s15, v55
	s_cbranch_execz .LBB92_359
.LBB92_375:                             ;   in Loop: Header=BB92_326 Depth=2
	v_xor_b32_e32 v21, -1, v10
	v_lshrrev_b32_sdwa v21, s61, v21 dst_sel:DWORD dst_unused:UNUSED_PAD src0_sel:DWORD src1_sel:BYTE_0
	v_and_b32_e32 v21, s62, v21
	v_lshl_or_b32 v21, v21, 4, v63
	ds_add_u32 v21, v89
	s_or_b32 exec_lo, exec_lo, s16
	s_mov_b32 s16, exec_lo
	v_cmpx_gt_u32_e64 s15, v56
	s_cbranch_execz .LBB92_360
.LBB92_376:                             ;   in Loop: Header=BB92_326 Depth=2
	v_xor_b32_e32 v21, -1, v9
	v_lshrrev_b32_sdwa v21, s61, v21 dst_sel:DWORD dst_unused:UNUSED_PAD src0_sel:DWORD src1_sel:BYTE_0
	v_and_b32_e32 v21, s62, v21
	v_lshl_or_b32 v21, v21, 4, v63
	ds_add_u32 v21, v89
	s_or_b32 exec_lo, exec_lo, s16
	s_mov_b32 s16, exec_lo
	v_cmpx_gt_u32_e64 s15, v57
	s_cbranch_execz .LBB92_361
.LBB92_377:                             ;   in Loop: Header=BB92_326 Depth=2
	v_xor_b32_e32 v21, -1, v8
	v_lshrrev_b32_sdwa v21, s61, v21 dst_sel:DWORD dst_unused:UNUSED_PAD src0_sel:DWORD src1_sel:BYTE_0
	v_and_b32_e32 v21, s62, v21
	v_lshl_or_b32 v21, v21, 4, v63
	ds_add_u32 v21, v89
	s_or_b32 exec_lo, exec_lo, s16
	s_mov_b32 s16, exec_lo
	v_cmpx_gt_u32_e64 s15, v58
	s_cbranch_execz .LBB92_362
.LBB92_378:                             ;   in Loop: Header=BB92_326 Depth=2
	v_xor_b32_e32 v21, -1, v7
	v_lshrrev_b32_sdwa v21, s61, v21 dst_sel:DWORD dst_unused:UNUSED_PAD src0_sel:DWORD src1_sel:BYTE_0
	v_and_b32_e32 v21, s62, v21
	v_lshl_or_b32 v21, v21, 4, v63
	ds_add_u32 v21, v89
	s_or_b32 exec_lo, exec_lo, s16
	s_mov_b32 s16, exec_lo
	v_cmpx_gt_u32_e64 s15, v59
	s_cbranch_execz .LBB92_363
.LBB92_379:                             ;   in Loop: Header=BB92_326 Depth=2
	v_xor_b32_e32 v21, -1, v6
	v_lshrrev_b32_sdwa v21, s61, v21 dst_sel:DWORD dst_unused:UNUSED_PAD src0_sel:DWORD src1_sel:BYTE_0
	v_and_b32_e32 v21, s62, v21
	v_lshl_or_b32 v21, v21, 4, v63
	ds_add_u32 v21, v89
	s_or_b32 exec_lo, exec_lo, s16
	s_mov_b32 s16, exec_lo
	v_cmpx_gt_u32_e64 s15, v60
	s_cbranch_execz .LBB92_364
.LBB92_380:                             ;   in Loop: Header=BB92_326 Depth=2
	v_xor_b32_e32 v21, -1, v5
	v_lshrrev_b32_sdwa v21, s61, v21 dst_sel:DWORD dst_unused:UNUSED_PAD src0_sel:DWORD src1_sel:BYTE_0
	v_and_b32_e32 v21, s62, v21
	v_lshl_or_b32 v21, v21, 4, v63
	ds_add_u32 v21, v89
	s_or_b32 exec_lo, exec_lo, s16
	v_cmp_gt_u32_e32 vcc_lo, s15, v61
	s_and_saveexec_b32 s15, vcc_lo
	s_cbranch_execz .LBB92_325
.LBB92_381:                             ;   in Loop: Header=BB92_326 Depth=2
	v_xor_b32_e32 v21, -1, v3
	v_lshrrev_b32_sdwa v21, s61, v21 dst_sel:DWORD dst_unused:UNUSED_PAD src0_sel:DWORD src1_sel:BYTE_0
	v_and_b32_e32 v21, s62, v21
	v_lshl_or_b32 v21, v21, 4, v63
	ds_add_u32 v21, v89
	s_branch .LBB92_325
.LBB92_382:                             ;   in Loop: Header=BB92_326 Depth=2
	s_waitcnt vmcnt(0)
	v_add_co_u32 v21, s18, s15, v0
	v_add_co_ci_u32_e64 v22, null, s16, 0, s18
	global_load_ubyte v17, v[21:22], off
	s_or_b32 exec_lo, exec_lo, s17
	s_mov_b32 s17, exec_lo
	v_cmpx_gt_u32_e64 s5, v44
	s_cbranch_execz .LBB92_331
.LBB92_383:                             ;   in Loop: Header=BB92_326 Depth=2
	v_add_co_u32 v20, s18, s15, v0
	s_waitcnt vmcnt(0)
	v_add_co_ci_u32_e64 v21, null, s16, 0, s18
	global_load_ubyte v20, v[20:21], off offset:256
	s_or_b32 exec_lo, exec_lo, s17
	s_mov_b32 s17, exec_lo
	v_cmpx_gt_u32_e64 s5, v47
	s_cbranch_execz .LBB92_332
.LBB92_384:                             ;   in Loop: Header=BB92_326 Depth=2
	s_waitcnt vmcnt(0)
	v_add_co_u32 v21, s18, s15, v0
	v_add_co_ci_u32_e64 v22, null, s16, 0, s18
	global_load_ubyte v19, v[21:22], off offset:512
	s_or_b32 exec_lo, exec_lo, s17
	s_mov_b32 s17, exec_lo
	v_cmpx_gt_u32_e64 s5, v48
	s_cbranch_execz .LBB92_333
.LBB92_385:                             ;   in Loop: Header=BB92_326 Depth=2
	s_waitcnt vmcnt(0)
	v_add_co_u32 v21, s18, s15, v0
	v_add_co_ci_u32_e64 v22, null, s16, 0, s18
	global_load_ubyte v18, v[21:22], off offset:768
	s_or_b32 exec_lo, exec_lo, s17
	s_mov_b32 s17, exec_lo
	v_cmpx_gt_u32_e64 s5, v49
	s_cbranch_execz .LBB92_334
.LBB92_386:                             ;   in Loop: Header=BB92_326 Depth=2
	s_waitcnt vmcnt(0)
	v_add_co_u32 v21, s18, s15, v0
	v_add_co_ci_u32_e64 v22, null, s16, 0, s18
	global_load_ubyte v16, v[21:22], off offset:1024
	s_or_b32 exec_lo, exec_lo, s17
	s_mov_b32 s17, exec_lo
	v_cmpx_gt_u32_e64 s5, v50
	s_cbranch_execz .LBB92_335
.LBB92_387:                             ;   in Loop: Header=BB92_326 Depth=2
	s_waitcnt vmcnt(0)
	v_add_co_u32 v21, s18, s15, v0
	v_add_co_ci_u32_e64 v22, null, s16, 0, s18
	global_load_ubyte v15, v[21:22], off offset:1280
	s_or_b32 exec_lo, exec_lo, s17
	s_mov_b32 s17, exec_lo
	v_cmpx_gt_u32_e64 s5, v51
	s_cbranch_execz .LBB92_336
.LBB92_388:                             ;   in Loop: Header=BB92_326 Depth=2
	s_waitcnt vmcnt(0)
	v_add_co_u32 v21, s18, s15, v0
	v_add_co_ci_u32_e64 v22, null, s16, 0, s18
	global_load_ubyte v14, v[21:22], off offset:1536
	s_or_b32 exec_lo, exec_lo, s17
	s_mov_b32 s17, exec_lo
	v_cmpx_gt_u32_e64 s5, v52
	s_cbranch_execz .LBB92_337
.LBB92_389:                             ;   in Loop: Header=BB92_326 Depth=2
	s_waitcnt vmcnt(0)
	v_add_co_u32 v21, s18, s15, v0
	v_add_co_ci_u32_e64 v22, null, s16, 0, s18
	global_load_ubyte v13, v[21:22], off offset:1792
	s_or_b32 exec_lo, exec_lo, s17
	s_mov_b32 s17, exec_lo
	v_cmpx_gt_u32_e64 s5, v53
	s_cbranch_execz .LBB92_338
.LBB92_390:                             ;   in Loop: Header=BB92_326 Depth=2
	s_waitcnt vmcnt(0)
	v_add_co_u32 v21, s18, s15, v53
	v_add_co_ci_u32_e64 v22, null, s16, 0, s18
	global_load_ubyte v12, v[21:22], off
	s_or_b32 exec_lo, exec_lo, s17
	s_mov_b32 s17, exec_lo
	v_cmpx_gt_u32_e64 s5, v54
	s_cbranch_execz .LBB92_339
.LBB92_391:                             ;   in Loop: Header=BB92_326 Depth=2
	s_waitcnt vmcnt(0)
	v_add_co_u32 v21, s18, s15, v54
	v_add_co_ci_u32_e64 v22, null, s16, 0, s18
	global_load_ubyte v11, v[21:22], off
	s_or_b32 exec_lo, exec_lo, s17
	s_mov_b32 s17, exec_lo
	v_cmpx_gt_u32_e64 s5, v55
	s_cbranch_execz .LBB92_340
.LBB92_392:                             ;   in Loop: Header=BB92_326 Depth=2
	s_waitcnt vmcnt(0)
	v_add_co_u32 v21, s18, s15, v55
	v_add_co_ci_u32_e64 v22, null, s16, 0, s18
	global_load_ubyte v10, v[21:22], off
	s_or_b32 exec_lo, exec_lo, s17
	s_mov_b32 s17, exec_lo
	v_cmpx_gt_u32_e64 s5, v56
	s_cbranch_execz .LBB92_341
.LBB92_393:                             ;   in Loop: Header=BB92_326 Depth=2
	s_waitcnt vmcnt(0)
	v_add_co_u32 v21, s18, s15, v56
	v_add_co_ci_u32_e64 v22, null, s16, 0, s18
	global_load_ubyte v9, v[21:22], off
	s_or_b32 exec_lo, exec_lo, s17
	s_mov_b32 s17, exec_lo
	v_cmpx_gt_u32_e64 s5, v57
	s_cbranch_execz .LBB92_342
.LBB92_394:                             ;   in Loop: Header=BB92_326 Depth=2
	s_waitcnt vmcnt(0)
	v_add_co_u32 v21, s18, s15, v57
	v_add_co_ci_u32_e64 v22, null, s16, 0, s18
	global_load_ubyte v8, v[21:22], off
	s_or_b32 exec_lo, exec_lo, s17
	s_mov_b32 s17, exec_lo
	v_cmpx_gt_u32_e64 s5, v58
	s_cbranch_execz .LBB92_343
.LBB92_395:                             ;   in Loop: Header=BB92_326 Depth=2
	s_waitcnt vmcnt(0)
	v_add_co_u32 v21, s18, s15, v58
	v_add_co_ci_u32_e64 v22, null, s16, 0, s18
	global_load_ubyte v7, v[21:22], off
	s_or_b32 exec_lo, exec_lo, s17
	s_mov_b32 s17, exec_lo
	v_cmpx_gt_u32_e64 s5, v59
	s_cbranch_execz .LBB92_344
.LBB92_396:                             ;   in Loop: Header=BB92_326 Depth=2
	s_waitcnt vmcnt(0)
	v_add_co_u32 v21, s18, s15, v59
	v_add_co_ci_u32_e64 v22, null, s16, 0, s18
	global_load_ubyte v6, v[21:22], off
	s_or_b32 exec_lo, exec_lo, s17
	s_mov_b32 s17, exec_lo
	v_cmpx_gt_u32_e64 s5, v60
	s_cbranch_execz .LBB92_345
.LBB92_397:                             ;   in Loop: Header=BB92_326 Depth=2
	s_waitcnt vmcnt(0)
	v_add_co_u32 v21, s18, s15, v60
	v_add_co_ci_u32_e64 v22, null, s16, 0, s18
	global_load_ubyte v5, v[21:22], off
	s_or_b32 exec_lo, exec_lo, s17
	s_mov_b32 s17, exec_lo
	v_cmpx_gt_u32_e64 s5, v61
	s_cbranch_execnz .LBB92_346
	s_branch .LBB92_347
.LBB92_398:                             ;   in Loop: Header=BB92_12 Depth=1
	v_mov_b32_e32 v3, 0
	s_waitcnt lgkmcnt(0)
	s_barrier
	buffer_gl0_inv
	s_and_saveexec_b32 s5, s7
	s_cbranch_execz .LBB92_400
; %bb.399:                              ;   in Loop: Header=BB92_12 Depth=1
	ds_read2_b64 v[5:8], v64 offset1:1
	s_waitcnt lgkmcnt(0)
	v_add_nc_u32_e32 v3, v6, v5
	v_add3_u32 v3, v3, v7, v8
.LBB92_400:                             ;   in Loop: Header=BB92_12 Depth=1
	s_or_b32 exec_lo, exec_lo, s5
	v_and_b32_e32 v5, 15, v86
	v_mov_b32_dpp v6, v3 row_shr:1 row_mask:0xf bank_mask:0xf
	v_and_b32_e32 v7, 16, v86
	v_cmp_eq_u32_e64 s5, 0, v5
	v_cmp_lt_u32_e64 s14, 1, v5
	v_cmp_lt_u32_e64 s15, 3, v5
	;; [unrolled: 1-line block ×3, first 2 shown]
	v_cmp_eq_u32_e64 s17, 0, v7
	v_cndmask_b32_e64 v6, v6, 0, s5
	v_add_nc_u32_e32 v3, v6, v3
	v_mov_b32_dpp v6, v3 row_shr:2 row_mask:0xf bank_mask:0xf
	v_cndmask_b32_e64 v6, 0, v6, s14
	v_add_nc_u32_e32 v3, v3, v6
	v_mov_b32_dpp v6, v3 row_shr:4 row_mask:0xf bank_mask:0xf
	;; [unrolled: 3-line block ×3, first 2 shown]
	v_cndmask_b32_e64 v5, 0, v6, s16
	v_bfe_i32 v6, v86, 4, 1
	v_add_nc_u32_e32 v3, v3, v5
	ds_swizzle_b32 v5, v3 offset:swizzle(BROADCAST,32,15)
	s_waitcnt lgkmcnt(0)
	v_and_b32_e32 v5, v6, v5
	v_add_nc_u32_e32 v3, v3, v5
	s_and_saveexec_b32 s18, s8
; %bb.401:                              ;   in Loop: Header=BB92_12 Depth=1
	ds_write_b32 v65, v3
; %bb.402:                              ;   in Loop: Header=BB92_12 Depth=1
	s_or_b32 exec_lo, exec_lo, s18
	s_waitcnt lgkmcnt(0)
	s_barrier
	buffer_gl0_inv
	s_and_saveexec_b32 s18, s9
	s_cbranch_execz .LBB92_404
; %bb.403:                              ;   in Loop: Header=BB92_12 Depth=1
	ds_read_b32 v5, v66
	v_and_b32_e32 v6, 3, v86
	v_cmp_ne_u32_e32 vcc_lo, 0, v6
	s_waitcnt lgkmcnt(0)
	v_mov_b32_dpp v7, v5 row_shr:1 row_mask:0xf bank_mask:0xf
	v_cndmask_b32_e32 v7, 0, v7, vcc_lo
	v_cmp_lt_u32_e32 vcc_lo, 1, v6
	v_add_nc_u32_e32 v5, v7, v5
	v_mov_b32_dpp v7, v5 row_shr:2 row_mask:0xf bank_mask:0xf
	v_cndmask_b32_e32 v6, 0, v7, vcc_lo
	v_add_nc_u32_e32 v5, v5, v6
	ds_write_b32 v66, v5
.LBB92_404:                             ;   in Loop: Header=BB92_12 Depth=1
	s_or_b32 exec_lo, exec_lo, s18
	v_mov_b32_e32 v5, 0
	s_waitcnt lgkmcnt(0)
	s_barrier
	buffer_gl0_inv
	s_and_saveexec_b32 s18, s10
; %bb.405:                              ;   in Loop: Header=BB92_12 Depth=1
	ds_read_b32 v5, v67
; %bb.406:                              ;   in Loop: Header=BB92_12 Depth=1
	s_or_b32 exec_lo, exec_lo, s18
	v_sub_co_u32 v6, s18, v86, 1
	s_waitcnt lgkmcnt(0)
	v_add_nc_u32_e32 v3, v5, v3
	s_barrier
	v_cmp_gt_i32_e32 vcc_lo, 0, v6
	buffer_gl0_inv
	v_cndmask_b32_e32 v6, v6, v86, vcc_lo
	v_lshlrev_b32_e32 v94, 2, v6
	ds_bpermute_b32 v3, v94, v3
	s_and_saveexec_b32 s19, s7
	s_cbranch_execz .LBB92_408
; %bb.407:                              ;   in Loop: Header=BB92_12 Depth=1
	s_waitcnt lgkmcnt(0)
	v_cndmask_b32_e64 v3, v3, v5, s18
	v_add_nc_u32_e32 v3, s58, v3
	ds_write_b32 v43, v3
.LBB92_408:                             ;   in Loop: Header=BB92_12 Depth=1
	s_or_b32 exec_lo, exec_lo, s19
	s_load_dwordx2 s[20:21], s[56:57], 0x0
	v_and_b32_e32 v6, 7, v86
	v_lshlrev_b32_e32 v7, 3, v86
	v_or_b32_e32 v95, v86, v68
	v_add_co_u32 v96, vcc_lo, v80, v86
	v_add_co_ci_u32_e64 v97, null, 0, v81, vcc_lo
	v_add_co_u32 v98, vcc_lo, v78, v7
	v_add_co_ci_u32_e64 v99, null, 0, v79, vcc_lo
	v_add_nc_u32_e32 v100, 32, v95
	v_add_nc_u32_e32 v101, 64, v95
	;; [unrolled: 1-line block ×8, first 2 shown]
	s_waitcnt lgkmcnt(0)
	s_cmp_lt_u32 s28, s21
	v_add_nc_u32_e32 v108, 0x120, v95
	s_cselect_b32 s19, 14, 20
	v_add_nc_u32_e32 v109, 0x140, v95
	s_add_u32 s22, s56, s19
	s_addc_u32 s23, s57, 0
	s_cmp_lt_u32 s6, s20
	global_load_ushort v3, v4, s[22:23]
	s_cselect_b32 s19, 12, 18
	v_add_nc_u32_e32 v110, 0x160, v95
	s_add_u32 s20, s56, s19
	s_addc_u32 s21, s57, 0
	v_cmp_eq_u32_e64 s19, 0, v6
	global_load_ushort v5, v4, s[20:21]
	v_cmp_lt_u32_e64 s20, 1, v6
	v_cmp_lt_u32_e64 s21, 3, v6
	v_add_nc_u32_e32 v111, 0x180, v95
	v_add_nc_u32_e32 v112, 0x1a0, v95
	;; [unrolled: 1-line block ×5, first 2 shown]
	v_mov_b32_e32 v129, 0
	s_mov_b32 s63, s60
	s_mov_b32 s50, s58
                                        ; implicit-def: $vgpr7_vgpr8
                                        ; implicit-def: $vgpr9_vgpr10
                                        ; implicit-def: $vgpr11_vgpr12
                                        ; implicit-def: $vgpr13_vgpr14
                                        ; implicit-def: $vgpr15_vgpr16
                                        ; implicit-def: $vgpr19_vgpr20
                                        ; implicit-def: $vgpr23_vgpr24
                                        ; implicit-def: $vgpr27_vgpr28
                                        ; implicit-def: $vgpr17_vgpr18
                                        ; implicit-def: $vgpr21_vgpr22
                                        ; implicit-def: $vgpr25_vgpr26
                                        ; implicit-def: $vgpr29_vgpr30
                                        ; implicit-def: $vgpr31_vgpr32
                                        ; implicit-def: $vgpr33_vgpr34
                                        ; implicit-def: $vgpr35_vgpr36
                                        ; implicit-def: $vgpr37_vgpr38
                                        ; implicit-def: $vgpr117
                                        ; implicit-def: $vgpr118
                                        ; implicit-def: $vgpr119
                                        ; implicit-def: $vgpr120
                                        ; implicit-def: $vgpr121
                                        ; implicit-def: $vgpr122
                                        ; implicit-def: $vgpr123
                                        ; implicit-def: $vgpr124
                                        ; implicit-def: $vgpr125
                                        ; implicit-def: $vgpr126
                                        ; implicit-def: $vgpr127
                                        ; implicit-def: $vgpr128
                                        ; implicit-def: $vgpr130
                                        ; implicit-def: $vgpr131
                                        ; implicit-def: $vgpr132
                                        ; implicit-def: $vgpr133
                                        ; implicit-def: $vgpr134
                                        ; implicit-def: $vgpr135
                                        ; implicit-def: $vgpr136
	s_waitcnt vmcnt(1)
	v_mad_u32_u24 v3, v2, v3, v1
	s_waitcnt vmcnt(0)
	v_mad_u64_u32 v[5:6], null, v3, v5, v[0:1]
	v_lshrrev_b32_e32 v3, 3, v5
                                        ; implicit-def: $vgpr5_vgpr6
	v_and_b32_e32 v116, 0x1ffffffc, v3
	s_branch .LBB92_410
.LBB92_409:                             ;   in Loop: Header=BB92_410 Depth=2
	s_or_b32 exec_lo, exec_lo, s22
	s_addk_i32 s63, 0xef00
	s_cmp_lt_u32 s64, s59
	s_mov_b32 s50, s64
	s_cbranch_scc0 .LBB92_632
.LBB92_410:                             ;   Parent Loop BB92_12 Depth=1
                                        ; =>  This Inner Loop Header: Depth=2
	s_add_i32 s64, s50, 0x1100
	s_cmp_gt_u32 s64, s59
	s_cbranch_scc1 .LBB92_412
; %bb.411:                              ;   in Loop: Header=BB92_410 Depth=2
	v_add_co_u32 v39, vcc_lo, v96, s50
	v_add_co_ci_u32_e64 v40, null, 0, v97, vcc_lo
	s_mov_b32 s22, -1
	s_clause 0xf
	global_load_ubyte v42, v[39:40], off offset:480
	global_load_ubyte v41, v[39:40], off offset:448
	;; [unrolled: 1-line block ×15, first 2 shown]
	global_load_ubyte v146, v[39:40], off
	s_movk_i32 s23, 0x1100
	s_cbranch_execz .LBB92_413
	s_branch .LBB92_432
.LBB92_412:                             ;   in Loop: Header=BB92_410 Depth=2
	s_mov_b32 s22, 0
                                        ; implicit-def: $vgpr146
                                        ; implicit-def: $vgpr151
                                        ; implicit-def: $vgpr147
                                        ; implicit-def: $vgpr148
                                        ; implicit-def: $vgpr150
                                        ; implicit-def: $vgpr143
                                        ; implicit-def: $vgpr144
                                        ; implicit-def: $vgpr145
                                        ; implicit-def: $vgpr142
                                        ; implicit-def: $vgpr139
                                        ; implicit-def: $vgpr140
                                        ; implicit-def: $vgpr141
                                        ; implicit-def: $vgpr137
                                        ; implicit-def: $vgpr3
                                        ; implicit-def: $vgpr41
                                        ; implicit-def: $vgpr42
                                        ; implicit-def: $vgpr129
	s_movk_i32 s23, 0x1100
.LBB92_413:                             ;   in Loop: Header=BB92_410 Depth=2
	v_add_co_u32 v39, vcc_lo, v96, s50
	v_add_co_ci_u32_e64 v40, null, 0, v97, vcc_lo
	s_waitcnt vmcnt(2)
	v_mov_b32_e32 v147, 0
	s_waitcnt vmcnt(0)
	v_mov_b32_e32 v146, 0
	v_mov_b32_e32 v148, 0
	;; [unrolled: 1-line block ×15, first 2 shown]
	s_mov_b32 s22, exec_lo
	v_cmpx_gt_u32_e64 s63, v95
	s_cbranch_execz .LBB92_415
; %bb.414:                              ;   in Loop: Header=BB92_410 Depth=2
	global_load_ubyte v146, v[39:40], off
	v_mov_b32_e32 v148, 0
	v_mov_b32_e32 v150, 0
	;; [unrolled: 1-line block ×14, first 2 shown]
.LBB92_415:                             ;   in Loop: Header=BB92_410 Depth=2
	s_or_b32 exec_lo, exec_lo, s22
	v_mov_b32_e32 v151, v147
	s_mov_b32 s22, exec_lo
	v_cmpx_gt_u32_e64 s63, v100
	s_cbranch_execnz .LBB92_618
; %bb.416:                              ;   in Loop: Header=BB92_410 Depth=2
	s_or_b32 exec_lo, exec_lo, s22
	s_mov_b32 s22, exec_lo
	v_cmpx_gt_u32_e64 s63, v101
	s_cbranch_execnz .LBB92_619
.LBB92_417:                             ;   in Loop: Header=BB92_410 Depth=2
	s_or_b32 exec_lo, exec_lo, s22
	s_mov_b32 s22, exec_lo
	v_cmpx_gt_u32_e64 s63, v102
	s_cbranch_execnz .LBB92_620
.LBB92_418:                             ;   in Loop: Header=BB92_410 Depth=2
	s_or_b32 exec_lo, exec_lo, s22
	s_mov_b32 s22, exec_lo
	v_cmpx_gt_u32_e64 s63, v103
	s_cbranch_execnz .LBB92_621
.LBB92_419:                             ;   in Loop: Header=BB92_410 Depth=2
	s_or_b32 exec_lo, exec_lo, s22
	s_mov_b32 s22, exec_lo
	v_cmpx_gt_u32_e64 s63, v104
	s_cbranch_execnz .LBB92_622
.LBB92_420:                             ;   in Loop: Header=BB92_410 Depth=2
	s_or_b32 exec_lo, exec_lo, s22
	s_mov_b32 s22, exec_lo
	v_cmpx_gt_u32_e64 s63, v105
	s_cbranch_execnz .LBB92_623
.LBB92_421:                             ;   in Loop: Header=BB92_410 Depth=2
	s_or_b32 exec_lo, exec_lo, s22
	s_mov_b32 s22, exec_lo
	v_cmpx_gt_u32_e64 s63, v106
	s_cbranch_execnz .LBB92_624
.LBB92_422:                             ;   in Loop: Header=BB92_410 Depth=2
	s_or_b32 exec_lo, exec_lo, s22
	s_mov_b32 s22, exec_lo
	v_cmpx_gt_u32_e64 s63, v107
	s_cbranch_execnz .LBB92_625
.LBB92_423:                             ;   in Loop: Header=BB92_410 Depth=2
	s_or_b32 exec_lo, exec_lo, s22
	s_mov_b32 s22, exec_lo
	v_cmpx_gt_u32_e64 s63, v108
	s_cbranch_execnz .LBB92_626
.LBB92_424:                             ;   in Loop: Header=BB92_410 Depth=2
	s_or_b32 exec_lo, exec_lo, s22
	s_mov_b32 s22, exec_lo
	v_cmpx_gt_u32_e64 s63, v109
	s_cbranch_execnz .LBB92_627
.LBB92_425:                             ;   in Loop: Header=BB92_410 Depth=2
	s_or_b32 exec_lo, exec_lo, s22
	s_mov_b32 s22, exec_lo
	v_cmpx_gt_u32_e64 s63, v110
	s_cbranch_execnz .LBB92_628
.LBB92_426:                             ;   in Loop: Header=BB92_410 Depth=2
	s_or_b32 exec_lo, exec_lo, s22
	s_mov_b32 s22, exec_lo
	v_cmpx_gt_u32_e64 s63, v111
	s_cbranch_execnz .LBB92_629
.LBB92_427:                             ;   in Loop: Header=BB92_410 Depth=2
	s_or_b32 exec_lo, exec_lo, s22
	s_mov_b32 s22, exec_lo
	v_cmpx_gt_u32_e64 s63, v112
	s_cbranch_execnz .LBB92_630
.LBB92_428:                             ;   in Loop: Header=BB92_410 Depth=2
	s_or_b32 exec_lo, exec_lo, s22
	s_mov_b32 s22, exec_lo
	v_cmpx_gt_u32_e64 s63, v113
	s_cbranch_execnz .LBB92_631
.LBB92_429:                             ;   in Loop: Header=BB92_410 Depth=2
	s_or_b32 exec_lo, exec_lo, s22
	s_mov_b32 s22, exec_lo
	v_cmpx_gt_u32_e64 s63, v114
	s_cbranch_execz .LBB92_431
.LBB92_430:                             ;   in Loop: Header=BB92_410 Depth=2
	global_load_ubyte v42, v[39:40], off offset:480
.LBB92_431:                             ;   in Loop: Header=BB92_410 Depth=2
	s_or_b32 exec_lo, exec_lo, s22
	v_cmp_gt_u32_e64 s22, s63, v115
	s_sub_i32 s23, s59, s50
.LBB92_432:                             ;   in Loop: Header=BB92_410 Depth=2
	v_mov_b32_e32 v138, s63
	s_and_saveexec_b32 s24, s22
	s_cbranch_execz .LBB92_434
; %bb.433:                              ;   in Loop: Header=BB92_410 Depth=2
	v_add_co_u32 v39, vcc_lo, v96, s50
	v_add_co_ci_u32_e64 v40, null, s51, v97, vcc_lo
	v_mov_b32_e32 v138, s23
	global_load_ubyte v129, v[39:40], off offset:512
.LBB92_434:                             ;   in Loop: Header=BB92_410 Depth=2
	s_or_b32 exec_lo, exec_lo, s24
	s_waitcnt vmcnt(0)
	v_xor_b32_e32 v39, -1, v146
	ds_write2_b32 v69, v4, v4 offset0:136 offset1:137
	ds_write2_b32 v69, v4, v4 offset0:138 offset1:139
	ds_write_b32 v69, v4 offset:560
	s_waitcnt lgkmcnt(0)
	s_barrier
	v_and_b32_sdwa v40, v92, v39 dst_sel:DWORD dst_unused:UNUSED_PAD src0_sel:DWORD src1_sel:BYTE_0
	buffer_gl0_inv
	; wave barrier
	v_lshrrev_b32_e32 v40, s61, v40
	v_and_b32_e32 v149, s62, v40
	v_and_b32_e32 v40, 1, v149
	v_lshlrev_b32_e32 v146, 30, v149
	v_lshlrev_b32_e32 v152, 29, v149
	;; [unrolled: 1-line block ×4, first 2 shown]
	v_add_co_u32 v40, s22, v40, -1
	v_cndmask_b32_e64 v153, 0, 1, s22
	v_not_b32_e32 v157, v146
	v_cmp_gt_i32_e64 s22, 0, v146
	v_not_b32_e32 v146, v152
	v_lshlrev_b32_e32 v156, 26, v149
	v_cmp_ne_u32_e32 vcc_lo, 0, v153
	v_ashrrev_i32_e32 v157, 31, v157
	v_lshlrev_b32_e32 v153, 25, v149
	v_ashrrev_i32_e32 v146, 31, v146
	v_mul_u32_u24_e32 v149, 36, v149
	v_xor_b32_e32 v40, vcc_lo, v40
	v_cmp_gt_i32_e32 vcc_lo, 0, v152
	v_not_b32_e32 v152, v154
	v_xor_b32_e32 v157, s22, v157
	v_cmp_gt_i32_e64 s22, 0, v154
	v_and_b32_e32 v40, exec_lo, v40
	v_not_b32_e32 v154, v155
	v_ashrrev_i32_e32 v152, 31, v152
	v_xor_b32_e32 v146, vcc_lo, v146
	v_cmp_gt_i32_e32 vcc_lo, 0, v155
	v_and_b32_e32 v40, v40, v157
	v_not_b32_e32 v155, v156
	v_ashrrev_i32_e32 v154, 31, v154
	v_xor_b32_e32 v152, s22, v152
	v_cmp_gt_i32_e64 s22, 0, v156
	v_and_b32_e32 v40, v40, v146
	v_not_b32_e32 v146, v153
	v_ashrrev_i32_e32 v155, 31, v155
	v_xor_b32_e32 v154, vcc_lo, v154
	v_cmp_gt_i32_e32 vcc_lo, 0, v153
	v_and_b32_e32 v40, v40, v152
	v_ashrrev_i32_e32 v146, 31, v146
	v_xor_b32_e32 v152, s22, v155
	v_add_nc_u32_e32 v149, v116, v149
	v_and_b32_e32 v40, v40, v154
	v_xor_b32_e32 v146, vcc_lo, v146
	v_and_b32_e32 v40, v40, v152
	v_and_b32_e32 v40, v40, v146
	v_mbcnt_lo_u32_b32 v146, v40, 0
	v_cmp_ne_u32_e64 s22, 0, v40
	v_cmp_eq_u32_e32 vcc_lo, 0, v146
	s_and_b32 s23, s22, vcc_lo
	s_and_saveexec_b32 s22, s23
; %bb.435:                              ;   in Loop: Header=BB92_410 Depth=2
	v_bcnt_u32_b32 v40, v40, 0
	ds_write_b32 v149, v40 offset:544
; %bb.436:                              ;   in Loop: Header=BB92_410 Depth=2
	s_or_b32 exec_lo, exec_lo, s22
	v_xor_b32_sdwa v40, v151, v93 dst_sel:BYTE_1 dst_unused:UNUSED_PAD src0_sel:DWORD src1_sel:DWORD
	v_xor_b32_e32 v151, -1, v147
	v_xor_b32_sdwa v148, v148, v93 dst_sel:BYTE_1 dst_unused:UNUSED_PAD src0_sel:DWORD src1_sel:DWORD
	; wave barrier
	v_or_b32_sdwa v147, v39, v40 dst_sel:DWORD dst_unused:UNUSED_PAD src0_sel:BYTE_0 src1_sel:DWORD
	v_or_b32_sdwa v39, v151, v148 dst_sel:WORD_1 dst_unused:UNUSED_PAD src0_sel:BYTE_0 src1_sel:DWORD
	v_or_b32_sdwa v148, v147, v39 dst_sel:DWORD dst_unused:UNUSED_PAD src0_sel:WORD_0 src1_sel:DWORD
	v_lshrrev_b32_sdwa v39, s61, v148 dst_sel:DWORD dst_unused:UNUSED_PAD src0_sel:DWORD src1_sel:BYTE_1
	v_and_b32_e32 v40, s62, v39
	v_and_b32_e32 v39, 1, v40
	v_lshlrev_b32_e32 v151, 30, v40
	v_lshlrev_b32_e32 v152, 29, v40
	;; [unrolled: 1-line block ×4, first 2 shown]
	v_add_co_u32 v39, s22, v39, -1
	v_cndmask_b32_e64 v153, 0, 1, s22
	v_not_b32_e32 v157, v151
	v_cmp_gt_i32_e64 s22, 0, v151
	v_not_b32_e32 v151, v152
	v_lshlrev_b32_e32 v156, 26, v40
	v_cmp_ne_u32_e32 vcc_lo, 0, v153
	v_ashrrev_i32_e32 v157, 31, v157
	v_lshlrev_b32_e32 v153, 25, v40
	v_ashrrev_i32_e32 v151, 31, v151
	v_xor_b32_e32 v39, vcc_lo, v39
	v_cmp_gt_i32_e32 vcc_lo, 0, v152
	v_not_b32_e32 v152, v154
	v_xor_b32_e32 v157, s22, v157
	v_cmp_gt_i32_e64 s22, 0, v154
	v_and_b32_e32 v39, exec_lo, v39
	v_not_b32_e32 v154, v155
	v_ashrrev_i32_e32 v152, 31, v152
	v_xor_b32_e32 v151, vcc_lo, v151
	v_cmp_gt_i32_e32 vcc_lo, 0, v155
	v_and_b32_e32 v39, v39, v157
	v_not_b32_e32 v155, v156
	v_ashrrev_i32_e32 v154, 31, v154
	v_xor_b32_e32 v152, s22, v152
	v_cmp_gt_i32_e64 s22, 0, v156
	v_and_b32_e32 v39, v39, v151
	v_not_b32_e32 v151, v153
	v_ashrrev_i32_e32 v155, 31, v155
	v_xor_b32_e32 v154, vcc_lo, v154
	v_cmp_gt_i32_e32 vcc_lo, 0, v153
	v_and_b32_e32 v39, v39, v152
	v_ashrrev_i32_e32 v151, 31, v151
	v_xor_b32_e32 v152, s22, v155
	v_mad_u32_u24 v153, v40, 36, v116
	v_mul_u32_u24_e32 v40, 36, v40
	v_and_b32_e32 v39, v39, v154
	v_xor_b32_e32 v154, vcc_lo, v151
	ds_read_b32 v151, v153 offset:544
	v_add_nc_u32_e32 v153, v116, v40
	v_and_b32_e32 v39, v39, v152
	; wave barrier
	v_and_b32_e32 v39, v39, v154
	v_mbcnt_lo_u32_b32 v152, v39, 0
	v_cmp_ne_u32_e64 s22, 0, v39
	v_cmp_eq_u32_e32 vcc_lo, 0, v152
	s_and_b32 s23, s22, vcc_lo
	s_and_saveexec_b32 s22, s23
	s_cbranch_execz .LBB92_438
; %bb.437:                              ;   in Loop: Header=BB92_410 Depth=2
	s_waitcnt lgkmcnt(0)
	v_bcnt_u32_b32 v39, v39, v151
	ds_write_b32 v153, v39 offset:544
.LBB92_438:                             ;   in Loop: Header=BB92_410 Depth=2
	s_or_b32 exec_lo, exec_lo, s22
	v_lshrrev_b32_sdwa v39, s61, v148 dst_sel:DWORD dst_unused:UNUSED_PAD src0_sel:DWORD src1_sel:BYTE_2
	; wave barrier
	v_and_b32_e32 v40, s62, v39
	v_and_b32_e32 v39, 1, v40
	v_lshlrev_b32_e32 v154, 30, v40
	v_lshlrev_b32_e32 v155, 29, v40
	;; [unrolled: 1-line block ×4, first 2 shown]
	v_add_co_u32 v39, s22, v39, -1
	v_cndmask_b32_e64 v156, 0, 1, s22
	v_not_b32_e32 v160, v154
	v_cmp_gt_i32_e64 s22, 0, v154
	v_not_b32_e32 v154, v155
	v_lshlrev_b32_e32 v159, 26, v40
	v_cmp_ne_u32_e32 vcc_lo, 0, v156
	v_ashrrev_i32_e32 v160, 31, v160
	v_lshlrev_b32_e32 v156, 25, v40
	v_ashrrev_i32_e32 v154, 31, v154
	v_xor_b32_e32 v39, vcc_lo, v39
	v_cmp_gt_i32_e32 vcc_lo, 0, v155
	v_not_b32_e32 v155, v157
	v_xor_b32_e32 v160, s22, v160
	v_cmp_gt_i32_e64 s22, 0, v157
	v_and_b32_e32 v39, exec_lo, v39
	v_not_b32_e32 v157, v158
	v_ashrrev_i32_e32 v155, 31, v155
	v_xor_b32_e32 v154, vcc_lo, v154
	v_cmp_gt_i32_e32 vcc_lo, 0, v158
	v_and_b32_e32 v39, v39, v160
	v_not_b32_e32 v158, v159
	v_ashrrev_i32_e32 v157, 31, v157
	v_xor_b32_e32 v155, s22, v155
	v_cmp_gt_i32_e64 s22, 0, v159
	v_and_b32_e32 v39, v39, v154
	v_not_b32_e32 v154, v156
	v_ashrrev_i32_e32 v158, 31, v158
	v_xor_b32_e32 v157, vcc_lo, v157
	v_cmp_gt_i32_e32 vcc_lo, 0, v156
	v_and_b32_e32 v39, v39, v155
	v_ashrrev_i32_e32 v154, 31, v154
	v_xor_b32_e32 v155, s22, v158
	v_mad_u32_u24 v156, v40, 36, v116
	v_mul_u32_u24_e32 v40, 36, v40
	v_and_b32_e32 v39, v39, v157
	v_xor_b32_e32 v157, vcc_lo, v154
	ds_read_b32 v154, v156 offset:544
	v_and_b32_e32 v39, v39, v155
	; wave barrier
	v_and_b32_e32 v39, v39, v157
	v_add_nc_u32_e32 v157, v116, v40
	v_mbcnt_lo_u32_b32 v155, v39, 0
	v_cmp_ne_u32_e64 s22, 0, v39
	v_cmp_eq_u32_e32 vcc_lo, 0, v155
	s_and_b32 s23, s22, vcc_lo
	s_and_saveexec_b32 s22, s23
	s_cbranch_execz .LBB92_440
; %bb.439:                              ;   in Loop: Header=BB92_410 Depth=2
	s_waitcnt lgkmcnt(0)
	v_bcnt_u32_b32 v39, v39, v154
	ds_write_b32 v157, v39 offset:544
.LBB92_440:                             ;   in Loop: Header=BB92_410 Depth=2
	s_or_b32 exec_lo, exec_lo, s22
	v_lshrrev_b32_e32 v156, 24, v148
	; wave barrier
	v_lshrrev_b32_e32 v39, s61, v156
	v_and_b32_e32 v40, s62, v39
	v_and_b32_e32 v39, 1, v40
	v_lshlrev_b32_e32 v158, 30, v40
	v_lshlrev_b32_e32 v159, 29, v40
	;; [unrolled: 1-line block ×4, first 2 shown]
	v_add_co_u32 v39, s22, v39, -1
	v_cndmask_b32_e64 v160, 0, 1, s22
	v_not_b32_e32 v164, v158
	v_cmp_gt_i32_e64 s22, 0, v158
	v_not_b32_e32 v158, v159
	v_lshlrev_b32_e32 v163, 26, v40
	v_cmp_ne_u32_e32 vcc_lo, 0, v160
	v_ashrrev_i32_e32 v164, 31, v164
	v_lshlrev_b32_e32 v160, 25, v40
	v_ashrrev_i32_e32 v158, 31, v158
	v_xor_b32_e32 v39, vcc_lo, v39
	v_cmp_gt_i32_e32 vcc_lo, 0, v159
	v_not_b32_e32 v159, v161
	v_xor_b32_e32 v164, s22, v164
	v_cmp_gt_i32_e64 s22, 0, v161
	v_and_b32_e32 v39, exec_lo, v39
	v_not_b32_e32 v161, v162
	v_ashrrev_i32_e32 v159, 31, v159
	v_xor_b32_e32 v158, vcc_lo, v158
	v_cmp_gt_i32_e32 vcc_lo, 0, v162
	v_and_b32_e32 v39, v39, v164
	v_not_b32_e32 v162, v163
	v_ashrrev_i32_e32 v161, 31, v161
	v_xor_b32_e32 v159, s22, v159
	v_cmp_gt_i32_e64 s22, 0, v163
	v_and_b32_e32 v39, v39, v158
	v_not_b32_e32 v158, v160
	v_ashrrev_i32_e32 v162, 31, v162
	v_xor_b32_e32 v161, vcc_lo, v161
	v_cmp_gt_i32_e32 vcc_lo, 0, v160
	v_and_b32_e32 v39, v39, v159
	v_ashrrev_i32_e32 v158, 31, v158
	v_xor_b32_e32 v159, s22, v162
	v_mad_u32_u24 v160, v40, 36, v116
	v_mul_u32_u24_e32 v40, 36, v40
	v_and_b32_e32 v39, v39, v161
	v_xor_b32_e32 v161, vcc_lo, v158
	ds_read_b32 v158, v160 offset:544
	v_add_nc_u32_e32 v160, v116, v40
	v_and_b32_e32 v39, v39, v159
	; wave barrier
	v_and_b32_e32 v39, v39, v161
	v_mbcnt_lo_u32_b32 v159, v39, 0
	v_cmp_ne_u32_e64 s22, 0, v39
	v_cmp_eq_u32_e32 vcc_lo, 0, v159
	s_and_b32 s23, s22, vcc_lo
	s_and_saveexec_b32 s22, s23
	s_cbranch_execz .LBB92_442
; %bb.441:                              ;   in Loop: Header=BB92_410 Depth=2
	s_waitcnt lgkmcnt(0)
	v_bcnt_u32_b32 v39, v39, v158
	ds_write_b32 v160, v39 offset:544
.LBB92_442:                             ;   in Loop: Header=BB92_410 Depth=2
	s_or_b32 exec_lo, exec_lo, s22
	v_xor_b32_e32 v39, -1, v150
	; wave barrier
	v_and_b32_sdwa v40, v92, v39 dst_sel:DWORD dst_unused:UNUSED_PAD src0_sel:DWORD src1_sel:BYTE_0
	v_lshrrev_b32_e32 v40, s61, v40
	v_and_b32_e32 v162, s62, v40
	v_and_b32_e32 v40, 1, v162
	v_lshlrev_b32_e32 v150, 30, v162
	v_lshlrev_b32_e32 v161, 29, v162
	;; [unrolled: 1-line block ×4, first 2 shown]
	v_add_co_u32 v40, s22, v40, -1
	v_cndmask_b32_e64 v163, 0, 1, s22
	v_not_b32_e32 v167, v150
	v_cmp_gt_i32_e64 s22, 0, v150
	v_not_b32_e32 v150, v161
	v_lshlrev_b32_e32 v166, 26, v162
	v_cmp_ne_u32_e32 vcc_lo, 0, v163
	v_ashrrev_i32_e32 v167, 31, v167
	v_lshlrev_b32_e32 v163, 25, v162
	v_ashrrev_i32_e32 v150, 31, v150
	v_xor_b32_e32 v40, vcc_lo, v40
	v_cmp_gt_i32_e32 vcc_lo, 0, v161
	v_not_b32_e32 v161, v164
	v_xor_b32_e32 v167, s22, v167
	v_cmp_gt_i32_e64 s22, 0, v164
	v_and_b32_e32 v40, exec_lo, v40
	v_not_b32_e32 v164, v165
	v_ashrrev_i32_e32 v161, 31, v161
	v_xor_b32_e32 v150, vcc_lo, v150
	v_cmp_gt_i32_e32 vcc_lo, 0, v165
	v_and_b32_e32 v40, v40, v167
	v_not_b32_e32 v165, v166
	v_ashrrev_i32_e32 v164, 31, v164
	v_xor_b32_e32 v161, s22, v161
	v_cmp_gt_i32_e64 s22, 0, v166
	v_and_b32_e32 v40, v40, v150
	v_not_b32_e32 v150, v163
	v_ashrrev_i32_e32 v165, 31, v165
	v_xor_b32_e32 v164, vcc_lo, v164
	v_cmp_gt_i32_e32 vcc_lo, 0, v163
	v_and_b32_e32 v40, v40, v161
	v_ashrrev_i32_e32 v150, 31, v150
	v_xor_b32_e32 v161, s22, v165
	v_mad_u32_u24 v163, v162, 36, v116
	v_mul_u32_u24_e32 v162, 36, v162
	v_and_b32_e32 v40, v40, v164
	v_xor_b32_e32 v164, vcc_lo, v150
	ds_read_b32 v150, v163 offset:544
	v_add_nc_u32_e32 v162, v116, v162
	v_and_b32_e32 v40, v40, v161
	; wave barrier
	v_and_b32_e32 v40, v40, v164
	v_mbcnt_lo_u32_b32 v161, v40, 0
	v_cmp_ne_u32_e64 s22, 0, v40
	v_cmp_eq_u32_e32 vcc_lo, 0, v161
	s_and_b32 s23, s22, vcc_lo
	s_and_saveexec_b32 s22, s23
	s_cbranch_execz .LBB92_444
; %bb.443:                              ;   in Loop: Header=BB92_410 Depth=2
	s_waitcnt lgkmcnt(0)
	v_bcnt_u32_b32 v40, v40, v150
	ds_write_b32 v162, v40 offset:544
.LBB92_444:                             ;   in Loop: Header=BB92_410 Depth=2
	s_or_b32 exec_lo, exec_lo, s22
	v_xor_b32_sdwa v40, v143, v93 dst_sel:BYTE_1 dst_unused:UNUSED_PAD src0_sel:DWORD src1_sel:DWORD
	v_xor_b32_e32 v144, -1, v144
	v_xor_b32_sdwa v145, v145, v93 dst_sel:BYTE_1 dst_unused:UNUSED_PAD src0_sel:DWORD src1_sel:DWORD
	; wave barrier
	v_or_b32_sdwa v143, v39, v40 dst_sel:DWORD dst_unused:UNUSED_PAD src0_sel:BYTE_0 src1_sel:DWORD
	v_or_b32_sdwa v39, v144, v145 dst_sel:WORD_1 dst_unused:UNUSED_PAD src0_sel:BYTE_0 src1_sel:DWORD
	v_or_b32_sdwa v144, v143, v39 dst_sel:DWORD dst_unused:UNUSED_PAD src0_sel:WORD_0 src1_sel:DWORD
	v_lshrrev_b32_sdwa v39, s61, v144 dst_sel:DWORD dst_unused:UNUSED_PAD src0_sel:DWORD src1_sel:BYTE_1
	v_and_b32_e32 v40, s62, v39
	v_and_b32_e32 v39, 1, v40
	v_lshlrev_b32_e32 v145, 30, v40
	v_lshlrev_b32_e32 v163, 29, v40
	;; [unrolled: 1-line block ×4, first 2 shown]
	v_add_co_u32 v39, s22, v39, -1
	v_cndmask_b32_e64 v164, 0, 1, s22
	v_not_b32_e32 v168, v145
	v_cmp_gt_i32_e64 s22, 0, v145
	v_not_b32_e32 v145, v163
	v_lshlrev_b32_e32 v167, 26, v40
	v_cmp_ne_u32_e32 vcc_lo, 0, v164
	v_ashrrev_i32_e32 v168, 31, v168
	v_lshlrev_b32_e32 v164, 25, v40
	v_ashrrev_i32_e32 v145, 31, v145
	v_xor_b32_e32 v39, vcc_lo, v39
	v_cmp_gt_i32_e32 vcc_lo, 0, v163
	v_not_b32_e32 v163, v165
	v_xor_b32_e32 v168, s22, v168
	v_cmp_gt_i32_e64 s22, 0, v165
	v_and_b32_e32 v39, exec_lo, v39
	v_not_b32_e32 v165, v166
	v_ashrrev_i32_e32 v163, 31, v163
	v_xor_b32_e32 v145, vcc_lo, v145
	v_cmp_gt_i32_e32 vcc_lo, 0, v166
	v_and_b32_e32 v39, v39, v168
	v_not_b32_e32 v166, v167
	v_ashrrev_i32_e32 v165, 31, v165
	v_xor_b32_e32 v163, s22, v163
	v_cmp_gt_i32_e64 s22, 0, v167
	v_and_b32_e32 v39, v39, v145
	v_not_b32_e32 v145, v164
	v_ashrrev_i32_e32 v166, 31, v166
	v_xor_b32_e32 v165, vcc_lo, v165
	v_cmp_gt_i32_e32 vcc_lo, 0, v164
	v_and_b32_e32 v39, v39, v163
	v_ashrrev_i32_e32 v145, 31, v145
	v_xor_b32_e32 v163, s22, v166
	v_mad_u32_u24 v164, v40, 36, v116
	v_mul_u32_u24_e32 v40, 36, v40
	v_and_b32_e32 v39, v39, v165
	v_xor_b32_e32 v165, vcc_lo, v145
	ds_read_b32 v145, v164 offset:544
	v_add_nc_u32_e32 v164, v116, v40
	v_and_b32_e32 v39, v39, v163
	; wave barrier
	v_and_b32_e32 v39, v39, v165
	v_mbcnt_lo_u32_b32 v163, v39, 0
	v_cmp_ne_u32_e64 s22, 0, v39
	v_cmp_eq_u32_e32 vcc_lo, 0, v163
	s_and_b32 s23, s22, vcc_lo
	s_and_saveexec_b32 s22, s23
	s_cbranch_execz .LBB92_446
; %bb.445:                              ;   in Loop: Header=BB92_410 Depth=2
	s_waitcnt lgkmcnt(0)
	v_bcnt_u32_b32 v39, v39, v145
	ds_write_b32 v164, v39 offset:544
.LBB92_446:                             ;   in Loop: Header=BB92_410 Depth=2
	s_or_b32 exec_lo, exec_lo, s22
	v_lshrrev_b32_sdwa v39, s61, v144 dst_sel:DWORD dst_unused:UNUSED_PAD src0_sel:DWORD src1_sel:BYTE_2
	; wave barrier
	v_and_b32_e32 v40, s62, v39
	v_and_b32_e32 v39, 1, v40
	v_lshlrev_b32_e32 v165, 30, v40
	v_lshlrev_b32_e32 v166, 29, v40
	;; [unrolled: 1-line block ×4, first 2 shown]
	v_add_co_u32 v39, s22, v39, -1
	v_cndmask_b32_e64 v167, 0, 1, s22
	v_not_b32_e32 v171, v165
	v_cmp_gt_i32_e64 s22, 0, v165
	v_not_b32_e32 v165, v166
	v_lshlrev_b32_e32 v170, 26, v40
	v_cmp_ne_u32_e32 vcc_lo, 0, v167
	v_ashrrev_i32_e32 v171, 31, v171
	v_lshlrev_b32_e32 v167, 25, v40
	v_ashrrev_i32_e32 v165, 31, v165
	v_xor_b32_e32 v39, vcc_lo, v39
	v_cmp_gt_i32_e32 vcc_lo, 0, v166
	v_not_b32_e32 v166, v168
	v_xor_b32_e32 v171, s22, v171
	v_cmp_gt_i32_e64 s22, 0, v168
	v_and_b32_e32 v39, exec_lo, v39
	v_not_b32_e32 v168, v169
	v_ashrrev_i32_e32 v166, 31, v166
	v_xor_b32_e32 v165, vcc_lo, v165
	v_cmp_gt_i32_e32 vcc_lo, 0, v169
	v_and_b32_e32 v39, v39, v171
	v_not_b32_e32 v169, v170
	v_ashrrev_i32_e32 v168, 31, v168
	v_xor_b32_e32 v166, s22, v166
	v_cmp_gt_i32_e64 s22, 0, v170
	v_and_b32_e32 v39, v39, v165
	v_not_b32_e32 v165, v167
	v_ashrrev_i32_e32 v169, 31, v169
	v_xor_b32_e32 v168, vcc_lo, v168
	v_cmp_gt_i32_e32 vcc_lo, 0, v167
	v_and_b32_e32 v39, v39, v166
	v_ashrrev_i32_e32 v165, 31, v165
	v_xor_b32_e32 v166, s22, v169
	v_mad_u32_u24 v167, v40, 36, v116
	v_mul_u32_u24_e32 v40, 36, v40
	v_and_b32_e32 v39, v39, v168
	v_xor_b32_e32 v168, vcc_lo, v165
	ds_read_b32 v165, v167 offset:544
	v_and_b32_e32 v39, v39, v166
	; wave barrier
	v_and_b32_e32 v39, v39, v168
	v_add_nc_u32_e32 v168, v116, v40
	v_mbcnt_lo_u32_b32 v166, v39, 0
	v_cmp_ne_u32_e64 s22, 0, v39
	v_cmp_eq_u32_e32 vcc_lo, 0, v166
	s_and_b32 s23, s22, vcc_lo
	s_and_saveexec_b32 s22, s23
	s_cbranch_execz .LBB92_448
; %bb.447:                              ;   in Loop: Header=BB92_410 Depth=2
	s_waitcnt lgkmcnt(0)
	v_bcnt_u32_b32 v39, v39, v165
	ds_write_b32 v168, v39 offset:544
.LBB92_448:                             ;   in Loop: Header=BB92_410 Depth=2
	s_or_b32 exec_lo, exec_lo, s22
	v_lshrrev_b32_e32 v167, 24, v144
	; wave barrier
	v_lshrrev_b32_e32 v39, s61, v167
	v_and_b32_e32 v40, s62, v39
	v_and_b32_e32 v39, 1, v40
	v_lshlrev_b32_e32 v169, 30, v40
	v_lshlrev_b32_e32 v170, 29, v40
	;; [unrolled: 1-line block ×4, first 2 shown]
	v_add_co_u32 v39, s22, v39, -1
	v_cndmask_b32_e64 v171, 0, 1, s22
	v_not_b32_e32 v175, v169
	v_cmp_gt_i32_e64 s22, 0, v169
	v_not_b32_e32 v169, v170
	v_lshlrev_b32_e32 v174, 26, v40
	v_cmp_ne_u32_e32 vcc_lo, 0, v171
	v_ashrrev_i32_e32 v175, 31, v175
	v_lshlrev_b32_e32 v171, 25, v40
	v_ashrrev_i32_e32 v169, 31, v169
	v_xor_b32_e32 v39, vcc_lo, v39
	v_cmp_gt_i32_e32 vcc_lo, 0, v170
	v_not_b32_e32 v170, v172
	v_xor_b32_e32 v175, s22, v175
	v_cmp_gt_i32_e64 s22, 0, v172
	v_and_b32_e32 v39, exec_lo, v39
	v_not_b32_e32 v172, v173
	v_ashrrev_i32_e32 v170, 31, v170
	v_xor_b32_e32 v169, vcc_lo, v169
	v_cmp_gt_i32_e32 vcc_lo, 0, v173
	v_and_b32_e32 v39, v39, v175
	v_not_b32_e32 v173, v174
	v_ashrrev_i32_e32 v172, 31, v172
	v_xor_b32_e32 v170, s22, v170
	v_cmp_gt_i32_e64 s22, 0, v174
	v_and_b32_e32 v39, v39, v169
	v_not_b32_e32 v169, v171
	v_ashrrev_i32_e32 v173, 31, v173
	v_xor_b32_e32 v172, vcc_lo, v172
	v_cmp_gt_i32_e32 vcc_lo, 0, v171
	v_and_b32_e32 v39, v39, v170
	v_ashrrev_i32_e32 v169, 31, v169
	v_xor_b32_e32 v170, s22, v173
	v_mad_u32_u24 v171, v40, 36, v116
	v_mul_u32_u24_e32 v40, 36, v40
	v_and_b32_e32 v39, v39, v172
	v_xor_b32_e32 v172, vcc_lo, v169
	ds_read_b32 v169, v171 offset:544
	v_add_nc_u32_e32 v171, v116, v40
	v_and_b32_e32 v39, v39, v170
	; wave barrier
	v_and_b32_e32 v39, v39, v172
	v_mbcnt_lo_u32_b32 v170, v39, 0
	v_cmp_ne_u32_e64 s22, 0, v39
	v_cmp_eq_u32_e32 vcc_lo, 0, v170
	s_and_b32 s23, s22, vcc_lo
	s_and_saveexec_b32 s22, s23
	s_cbranch_execz .LBB92_450
; %bb.449:                              ;   in Loop: Header=BB92_410 Depth=2
	s_waitcnt lgkmcnt(0)
	v_bcnt_u32_b32 v39, v39, v169
	ds_write_b32 v171, v39 offset:544
.LBB92_450:                             ;   in Loop: Header=BB92_410 Depth=2
	s_or_b32 exec_lo, exec_lo, s22
	v_xor_b32_e32 v39, -1, v142
	; wave barrier
	v_and_b32_sdwa v40, v92, v39 dst_sel:DWORD dst_unused:UNUSED_PAD src0_sel:DWORD src1_sel:BYTE_0
	v_lshrrev_b32_e32 v40, s61, v40
	v_and_b32_e32 v173, s62, v40
	v_and_b32_e32 v40, 1, v173
	v_lshlrev_b32_e32 v142, 30, v173
	v_lshlrev_b32_e32 v172, 29, v173
	;; [unrolled: 1-line block ×4, first 2 shown]
	v_add_co_u32 v40, s22, v40, -1
	v_cndmask_b32_e64 v174, 0, 1, s22
	v_not_b32_e32 v178, v142
	v_cmp_gt_i32_e64 s22, 0, v142
	v_not_b32_e32 v142, v172
	v_lshlrev_b32_e32 v177, 26, v173
	v_cmp_ne_u32_e32 vcc_lo, 0, v174
	v_ashrrev_i32_e32 v178, 31, v178
	v_lshlrev_b32_e32 v174, 25, v173
	v_ashrrev_i32_e32 v142, 31, v142
	v_xor_b32_e32 v40, vcc_lo, v40
	v_cmp_gt_i32_e32 vcc_lo, 0, v172
	v_not_b32_e32 v172, v175
	v_xor_b32_e32 v178, s22, v178
	v_cmp_gt_i32_e64 s22, 0, v175
	v_and_b32_e32 v40, exec_lo, v40
	v_not_b32_e32 v175, v176
	v_ashrrev_i32_e32 v172, 31, v172
	v_xor_b32_e32 v142, vcc_lo, v142
	v_cmp_gt_i32_e32 vcc_lo, 0, v176
	v_and_b32_e32 v40, v40, v178
	v_not_b32_e32 v176, v177
	v_ashrrev_i32_e32 v175, 31, v175
	v_xor_b32_e32 v172, s22, v172
	v_cmp_gt_i32_e64 s22, 0, v177
	v_and_b32_e32 v40, v40, v142
	v_not_b32_e32 v142, v174
	v_ashrrev_i32_e32 v176, 31, v176
	v_xor_b32_e32 v175, vcc_lo, v175
	v_cmp_gt_i32_e32 vcc_lo, 0, v174
	v_and_b32_e32 v40, v40, v172
	v_ashrrev_i32_e32 v142, 31, v142
	v_xor_b32_e32 v172, s22, v176
	v_mad_u32_u24 v174, v173, 36, v116
	v_mul_u32_u24_e32 v173, 36, v173
	v_and_b32_e32 v40, v40, v175
	v_xor_b32_e32 v175, vcc_lo, v142
	ds_read_b32 v142, v174 offset:544
	v_add_nc_u32_e32 v173, v116, v173
	v_and_b32_e32 v40, v40, v172
	; wave barrier
	v_and_b32_e32 v40, v40, v175
	v_mbcnt_lo_u32_b32 v172, v40, 0
	v_cmp_ne_u32_e64 s22, 0, v40
	v_cmp_eq_u32_e32 vcc_lo, 0, v172
	s_and_b32 s23, s22, vcc_lo
	s_and_saveexec_b32 s22, s23
	s_cbranch_execz .LBB92_452
; %bb.451:                              ;   in Loop: Header=BB92_410 Depth=2
	s_waitcnt lgkmcnt(0)
	v_bcnt_u32_b32 v40, v40, v142
	ds_write_b32 v173, v40 offset:544
.LBB92_452:                             ;   in Loop: Header=BB92_410 Depth=2
	s_or_b32 exec_lo, exec_lo, s22
	v_xor_b32_sdwa v40, v139, v93 dst_sel:BYTE_1 dst_unused:UNUSED_PAD src0_sel:DWORD src1_sel:DWORD
	v_xor_b32_e32 v140, -1, v140
	v_xor_b32_sdwa v141, v141, v93 dst_sel:BYTE_1 dst_unused:UNUSED_PAD src0_sel:DWORD src1_sel:DWORD
	; wave barrier
	v_or_b32_sdwa v139, v39, v40 dst_sel:DWORD dst_unused:UNUSED_PAD src0_sel:BYTE_0 src1_sel:DWORD
	v_or_b32_sdwa v39, v140, v141 dst_sel:WORD_1 dst_unused:UNUSED_PAD src0_sel:BYTE_0 src1_sel:DWORD
	v_or_b32_sdwa v140, v139, v39 dst_sel:DWORD dst_unused:UNUSED_PAD src0_sel:WORD_0 src1_sel:DWORD
	v_lshrrev_b32_sdwa v39, s61, v140 dst_sel:DWORD dst_unused:UNUSED_PAD src0_sel:DWORD src1_sel:BYTE_1
	v_and_b32_e32 v40, s62, v39
	v_and_b32_e32 v39, 1, v40
	v_lshlrev_b32_e32 v141, 30, v40
	v_lshlrev_b32_e32 v174, 29, v40
	;; [unrolled: 1-line block ×4, first 2 shown]
	v_add_co_u32 v39, s22, v39, -1
	v_cndmask_b32_e64 v175, 0, 1, s22
	v_not_b32_e32 v179, v141
	v_cmp_gt_i32_e64 s22, 0, v141
	v_not_b32_e32 v141, v174
	v_lshlrev_b32_e32 v178, 26, v40
	v_cmp_ne_u32_e32 vcc_lo, 0, v175
	v_ashrrev_i32_e32 v179, 31, v179
	v_lshlrev_b32_e32 v175, 25, v40
	v_ashrrev_i32_e32 v141, 31, v141
	v_xor_b32_e32 v39, vcc_lo, v39
	v_cmp_gt_i32_e32 vcc_lo, 0, v174
	v_not_b32_e32 v174, v176
	v_xor_b32_e32 v179, s22, v179
	v_cmp_gt_i32_e64 s22, 0, v176
	v_and_b32_e32 v39, exec_lo, v39
	v_not_b32_e32 v176, v177
	v_ashrrev_i32_e32 v174, 31, v174
	v_xor_b32_e32 v141, vcc_lo, v141
	v_cmp_gt_i32_e32 vcc_lo, 0, v177
	v_and_b32_e32 v39, v39, v179
	v_not_b32_e32 v177, v178
	v_ashrrev_i32_e32 v176, 31, v176
	v_xor_b32_e32 v174, s22, v174
	v_cmp_gt_i32_e64 s22, 0, v178
	v_and_b32_e32 v39, v39, v141
	v_not_b32_e32 v141, v175
	v_ashrrev_i32_e32 v177, 31, v177
	v_xor_b32_e32 v176, vcc_lo, v176
	v_cmp_gt_i32_e32 vcc_lo, 0, v175
	v_and_b32_e32 v39, v39, v174
	v_ashrrev_i32_e32 v141, 31, v141
	v_xor_b32_e32 v174, s22, v177
	v_mad_u32_u24 v175, v40, 36, v116
	v_mul_u32_u24_e32 v40, 36, v40
	v_and_b32_e32 v39, v39, v176
	v_xor_b32_e32 v176, vcc_lo, v141
	ds_read_b32 v141, v175 offset:544
	v_add_nc_u32_e32 v175, v116, v40
	v_and_b32_e32 v39, v39, v174
	; wave barrier
	v_and_b32_e32 v39, v39, v176
	v_mbcnt_lo_u32_b32 v174, v39, 0
	v_cmp_ne_u32_e64 s22, 0, v39
	v_cmp_eq_u32_e32 vcc_lo, 0, v174
	s_and_b32 s23, s22, vcc_lo
	s_and_saveexec_b32 s22, s23
	s_cbranch_execz .LBB92_454
; %bb.453:                              ;   in Loop: Header=BB92_410 Depth=2
	s_waitcnt lgkmcnt(0)
	v_bcnt_u32_b32 v39, v39, v141
	ds_write_b32 v175, v39 offset:544
.LBB92_454:                             ;   in Loop: Header=BB92_410 Depth=2
	s_or_b32 exec_lo, exec_lo, s22
	v_lshrrev_b32_sdwa v39, s61, v140 dst_sel:DWORD dst_unused:UNUSED_PAD src0_sel:DWORD src1_sel:BYTE_2
	; wave barrier
	v_and_b32_e32 v40, s62, v39
	v_and_b32_e32 v39, 1, v40
	v_lshlrev_b32_e32 v176, 30, v40
	v_lshlrev_b32_e32 v177, 29, v40
	;; [unrolled: 1-line block ×4, first 2 shown]
	v_add_co_u32 v39, s22, v39, -1
	v_cndmask_b32_e64 v178, 0, 1, s22
	v_not_b32_e32 v182, v176
	v_cmp_gt_i32_e64 s22, 0, v176
	v_not_b32_e32 v176, v177
	v_lshlrev_b32_e32 v181, 26, v40
	v_cmp_ne_u32_e32 vcc_lo, 0, v178
	v_ashrrev_i32_e32 v182, 31, v182
	v_lshlrev_b32_e32 v178, 25, v40
	v_ashrrev_i32_e32 v176, 31, v176
	v_xor_b32_e32 v39, vcc_lo, v39
	v_cmp_gt_i32_e32 vcc_lo, 0, v177
	v_not_b32_e32 v177, v179
	v_xor_b32_e32 v182, s22, v182
	v_cmp_gt_i32_e64 s22, 0, v179
	v_and_b32_e32 v39, exec_lo, v39
	v_not_b32_e32 v179, v180
	v_ashrrev_i32_e32 v177, 31, v177
	v_xor_b32_e32 v176, vcc_lo, v176
	v_cmp_gt_i32_e32 vcc_lo, 0, v180
	v_and_b32_e32 v39, v39, v182
	v_not_b32_e32 v180, v181
	v_ashrrev_i32_e32 v179, 31, v179
	v_xor_b32_e32 v177, s22, v177
	v_cmp_gt_i32_e64 s22, 0, v181
	v_and_b32_e32 v39, v39, v176
	v_not_b32_e32 v176, v178
	v_ashrrev_i32_e32 v180, 31, v180
	v_xor_b32_e32 v179, vcc_lo, v179
	v_cmp_gt_i32_e32 vcc_lo, 0, v178
	v_and_b32_e32 v39, v39, v177
	v_ashrrev_i32_e32 v176, 31, v176
	v_xor_b32_e32 v177, s22, v180
	v_mad_u32_u24 v178, v40, 36, v116
	v_mul_u32_u24_e32 v40, 36, v40
	v_and_b32_e32 v39, v39, v179
	v_xor_b32_e32 v179, vcc_lo, v176
	ds_read_b32 v176, v178 offset:544
	v_and_b32_e32 v39, v39, v177
	; wave barrier
	v_and_b32_e32 v39, v39, v179
	v_add_nc_u32_e32 v179, v116, v40
	v_mbcnt_lo_u32_b32 v177, v39, 0
	v_cmp_ne_u32_e64 s22, 0, v39
	v_cmp_eq_u32_e32 vcc_lo, 0, v177
	s_and_b32 s23, s22, vcc_lo
	s_and_saveexec_b32 s22, s23
	s_cbranch_execz .LBB92_456
; %bb.455:                              ;   in Loop: Header=BB92_410 Depth=2
	s_waitcnt lgkmcnt(0)
	v_bcnt_u32_b32 v39, v39, v176
	ds_write_b32 v179, v39 offset:544
.LBB92_456:                             ;   in Loop: Header=BB92_410 Depth=2
	s_or_b32 exec_lo, exec_lo, s22
	v_lshrrev_b32_e32 v178, 24, v140
	; wave barrier
	v_lshrrev_b32_e32 v39, s61, v178
	v_and_b32_e32 v40, s62, v39
	v_and_b32_e32 v39, 1, v40
	v_lshlrev_b32_e32 v180, 30, v40
	v_lshlrev_b32_e32 v181, 29, v40
	;; [unrolled: 1-line block ×4, first 2 shown]
	v_add_co_u32 v39, s22, v39, -1
	v_cndmask_b32_e64 v182, 0, 1, s22
	v_not_b32_e32 v186, v180
	v_cmp_gt_i32_e64 s22, 0, v180
	v_not_b32_e32 v180, v181
	v_lshlrev_b32_e32 v185, 26, v40
	v_cmp_ne_u32_e32 vcc_lo, 0, v182
	v_ashrrev_i32_e32 v186, 31, v186
	v_lshlrev_b32_e32 v182, 25, v40
	v_ashrrev_i32_e32 v180, 31, v180
	v_xor_b32_e32 v39, vcc_lo, v39
	v_cmp_gt_i32_e32 vcc_lo, 0, v181
	v_not_b32_e32 v181, v183
	v_xor_b32_e32 v186, s22, v186
	v_cmp_gt_i32_e64 s22, 0, v183
	v_and_b32_e32 v39, exec_lo, v39
	v_not_b32_e32 v183, v184
	v_ashrrev_i32_e32 v181, 31, v181
	v_xor_b32_e32 v180, vcc_lo, v180
	v_cmp_gt_i32_e32 vcc_lo, 0, v184
	v_and_b32_e32 v39, v39, v186
	v_not_b32_e32 v184, v185
	v_ashrrev_i32_e32 v183, 31, v183
	v_xor_b32_e32 v181, s22, v181
	v_cmp_gt_i32_e64 s22, 0, v185
	v_and_b32_e32 v39, v39, v180
	v_not_b32_e32 v180, v182
	v_ashrrev_i32_e32 v184, 31, v184
	v_xor_b32_e32 v183, vcc_lo, v183
	v_cmp_gt_i32_e32 vcc_lo, 0, v182
	v_and_b32_e32 v39, v39, v181
	v_ashrrev_i32_e32 v180, 31, v180
	v_xor_b32_e32 v181, s22, v184
	v_mad_u32_u24 v182, v40, 36, v116
	v_mul_u32_u24_e32 v40, 36, v40
	v_and_b32_e32 v39, v39, v183
	v_xor_b32_e32 v183, vcc_lo, v180
	ds_read_b32 v180, v182 offset:544
	v_add_nc_u32_e32 v182, v116, v40
	v_and_b32_e32 v39, v39, v181
	; wave barrier
	v_and_b32_e32 v39, v39, v183
	v_mbcnt_lo_u32_b32 v181, v39, 0
	v_cmp_ne_u32_e64 s22, 0, v39
	v_cmp_eq_u32_e32 vcc_lo, 0, v181
	s_and_b32 s23, s22, vcc_lo
	s_and_saveexec_b32 s22, s23
	s_cbranch_execz .LBB92_458
; %bb.457:                              ;   in Loop: Header=BB92_410 Depth=2
	s_waitcnt lgkmcnt(0)
	v_bcnt_u32_b32 v39, v39, v180
	ds_write_b32 v182, v39 offset:544
.LBB92_458:                             ;   in Loop: Header=BB92_410 Depth=2
	s_or_b32 exec_lo, exec_lo, s22
	v_xor_b32_e32 v39, -1, v137
	; wave barrier
	v_and_b32_sdwa v40, v92, v39 dst_sel:DWORD dst_unused:UNUSED_PAD src0_sel:DWORD src1_sel:BYTE_0
	v_lshrrev_b32_e32 v40, s61, v40
	v_and_b32_e32 v184, s62, v40
	v_and_b32_e32 v40, 1, v184
	v_lshlrev_b32_e32 v137, 30, v184
	v_lshlrev_b32_e32 v183, 29, v184
	;; [unrolled: 1-line block ×4, first 2 shown]
	v_add_co_u32 v40, s22, v40, -1
	v_cndmask_b32_e64 v185, 0, 1, s22
	v_not_b32_e32 v189, v137
	v_cmp_gt_i32_e64 s22, 0, v137
	v_not_b32_e32 v137, v183
	v_lshlrev_b32_e32 v188, 26, v184
	v_cmp_ne_u32_e32 vcc_lo, 0, v185
	v_ashrrev_i32_e32 v189, 31, v189
	v_lshlrev_b32_e32 v185, 25, v184
	v_ashrrev_i32_e32 v137, 31, v137
	v_xor_b32_e32 v40, vcc_lo, v40
	v_cmp_gt_i32_e32 vcc_lo, 0, v183
	v_not_b32_e32 v183, v186
	v_xor_b32_e32 v189, s22, v189
	v_cmp_gt_i32_e64 s22, 0, v186
	v_and_b32_e32 v40, exec_lo, v40
	v_not_b32_e32 v186, v187
	v_ashrrev_i32_e32 v183, 31, v183
	v_xor_b32_e32 v137, vcc_lo, v137
	v_cmp_gt_i32_e32 vcc_lo, 0, v187
	v_and_b32_e32 v40, v40, v189
	v_not_b32_e32 v187, v188
	v_ashrrev_i32_e32 v186, 31, v186
	v_xor_b32_e32 v183, s22, v183
	v_cmp_gt_i32_e64 s22, 0, v188
	v_and_b32_e32 v40, v40, v137
	v_not_b32_e32 v137, v185
	v_ashrrev_i32_e32 v187, 31, v187
	v_xor_b32_e32 v186, vcc_lo, v186
	v_cmp_gt_i32_e32 vcc_lo, 0, v185
	v_and_b32_e32 v40, v40, v183
	v_ashrrev_i32_e32 v137, 31, v137
	v_xor_b32_e32 v183, s22, v187
	v_mad_u32_u24 v185, v184, 36, v116
	v_mul_u32_u24_e32 v184, 36, v184
	v_and_b32_e32 v40, v40, v186
	v_xor_b32_e32 v186, vcc_lo, v137
	ds_read_b32 v137, v185 offset:544
	v_add_nc_u32_e32 v185, v116, v184
	v_and_b32_e32 v40, v40, v183
	; wave barrier
	v_and_b32_e32 v40, v40, v186
	v_mbcnt_lo_u32_b32 v183, v40, 0
	v_cmp_ne_u32_e64 s22, 0, v40
	v_cmp_eq_u32_e32 vcc_lo, 0, v183
	s_and_b32 s23, s22, vcc_lo
	s_and_saveexec_b32 s22, s23
	s_cbranch_execz .LBB92_460
; %bb.459:                              ;   in Loop: Header=BB92_410 Depth=2
	s_waitcnt lgkmcnt(0)
	v_bcnt_u32_b32 v40, v40, v137
	ds_write_b32 v185, v40 offset:544
.LBB92_460:                             ;   in Loop: Header=BB92_410 Depth=2
	s_or_b32 exec_lo, exec_lo, s22
	v_xor_b32_sdwa v3, v3, v93 dst_sel:BYTE_1 dst_unused:UNUSED_PAD src0_sel:DWORD src1_sel:DWORD
	v_xor_b32_e32 v40, -1, v41
	v_xor_b32_sdwa v41, v42, v93 dst_sel:BYTE_1 dst_unused:UNUSED_PAD src0_sel:DWORD src1_sel:DWORD
	; wave barrier
	v_or_b32_sdwa v184, v39, v3 dst_sel:DWORD dst_unused:UNUSED_PAD src0_sel:BYTE_0 src1_sel:DWORD
	v_or_b32_sdwa v3, v40, v41 dst_sel:WORD_1 dst_unused:UNUSED_PAD src0_sel:BYTE_0 src1_sel:DWORD
	v_or_b32_sdwa v3, v184, v3 dst_sel:DWORD dst_unused:UNUSED_PAD src0_sel:WORD_0 src1_sel:DWORD
	v_lshrrev_b32_sdwa v39, s61, v3 dst_sel:DWORD dst_unused:UNUSED_PAD src0_sel:DWORD src1_sel:BYTE_1
	v_and_b32_e32 v40, s62, v39
	v_and_b32_e32 v39, 1, v40
	v_lshlrev_b32_e32 v41, 30, v40
	v_lshlrev_b32_e32 v42, 29, v40
	;; [unrolled: 1-line block ×4, first 2 shown]
	v_add_co_u32 v39, s22, v39, -1
	v_cndmask_b32_e64 v186, 0, 1, s22
	v_not_b32_e32 v190, v41
	v_cmp_gt_i32_e64 s22, 0, v41
	v_not_b32_e32 v41, v42
	v_lshlrev_b32_e32 v189, 26, v40
	v_cmp_ne_u32_e32 vcc_lo, 0, v186
	v_ashrrev_i32_e32 v190, 31, v190
	v_lshlrev_b32_e32 v186, 25, v40
	v_ashrrev_i32_e32 v41, 31, v41
	v_xor_b32_e32 v39, vcc_lo, v39
	v_cmp_gt_i32_e32 vcc_lo, 0, v42
	v_not_b32_e32 v42, v187
	v_xor_b32_e32 v190, s22, v190
	v_cmp_gt_i32_e64 s22, 0, v187
	v_and_b32_e32 v39, exec_lo, v39
	v_not_b32_e32 v187, v188
	v_ashrrev_i32_e32 v42, 31, v42
	v_xor_b32_e32 v41, vcc_lo, v41
	v_cmp_gt_i32_e32 vcc_lo, 0, v188
	v_and_b32_e32 v39, v39, v190
	v_not_b32_e32 v188, v189
	v_ashrrev_i32_e32 v187, 31, v187
	v_xor_b32_e32 v42, s22, v42
	v_cmp_gt_i32_e64 s22, 0, v189
	v_and_b32_e32 v39, v39, v41
	v_not_b32_e32 v41, v186
	v_ashrrev_i32_e32 v188, 31, v188
	v_xor_b32_e32 v187, vcc_lo, v187
	v_cmp_gt_i32_e32 vcc_lo, 0, v186
	v_and_b32_e32 v39, v39, v42
	v_ashrrev_i32_e32 v41, 31, v41
	v_xor_b32_e32 v42, s22, v188
	v_mad_u32_u24 v186, v40, 36, v116
	v_mul_u32_u24_e32 v40, 36, v40
	v_and_b32_e32 v39, v39, v187
	v_xor_b32_e32 v41, vcc_lo, v41
	ds_read_b32 v186, v186 offset:544
	v_add_nc_u32_e32 v188, v116, v40
	v_and_b32_e32 v39, v39, v42
	; wave barrier
	v_and_b32_e32 v39, v39, v41
	v_mbcnt_lo_u32_b32 v187, v39, 0
	v_cmp_ne_u32_e64 s22, 0, v39
	v_cmp_eq_u32_e32 vcc_lo, 0, v187
	s_and_b32 s23, s22, vcc_lo
	s_and_saveexec_b32 s22, s23
	s_cbranch_execz .LBB92_462
; %bb.461:                              ;   in Loop: Header=BB92_410 Depth=2
	s_waitcnt lgkmcnt(0)
	v_bcnt_u32_b32 v39, v39, v186
	ds_write_b32 v188, v39 offset:544
.LBB92_462:                             ;   in Loop: Header=BB92_410 Depth=2
	s_or_b32 exec_lo, exec_lo, s22
	v_lshrrev_b32_sdwa v39, s61, v3 dst_sel:DWORD dst_unused:UNUSED_PAD src0_sel:DWORD src1_sel:BYTE_2
	; wave barrier
	v_and_b32_e32 v40, s62, v39
	v_and_b32_e32 v39, 1, v40
	v_lshlrev_b32_e32 v41, 30, v40
	v_lshlrev_b32_e32 v42, 29, v40
	;; [unrolled: 1-line block ×4, first 2 shown]
	v_add_co_u32 v39, s22, v39, -1
	v_cndmask_b32_e64 v189, 0, 1, s22
	v_not_b32_e32 v193, v41
	v_cmp_gt_i32_e64 s22, 0, v41
	v_not_b32_e32 v41, v42
	v_lshlrev_b32_e32 v192, 26, v40
	v_cmp_ne_u32_e32 vcc_lo, 0, v189
	v_ashrrev_i32_e32 v193, 31, v193
	v_lshlrev_b32_e32 v189, 25, v40
	v_ashrrev_i32_e32 v41, 31, v41
	v_xor_b32_e32 v39, vcc_lo, v39
	v_cmp_gt_i32_e32 vcc_lo, 0, v42
	v_not_b32_e32 v42, v190
	v_xor_b32_e32 v193, s22, v193
	v_cmp_gt_i32_e64 s22, 0, v190
	v_and_b32_e32 v39, exec_lo, v39
	v_not_b32_e32 v190, v191
	v_ashrrev_i32_e32 v42, 31, v42
	v_xor_b32_e32 v41, vcc_lo, v41
	v_cmp_gt_i32_e32 vcc_lo, 0, v191
	v_and_b32_e32 v39, v39, v193
	v_not_b32_e32 v191, v192
	v_ashrrev_i32_e32 v190, 31, v190
	v_xor_b32_e32 v42, s22, v42
	v_cmp_gt_i32_e64 s22, 0, v192
	v_and_b32_e32 v39, v39, v41
	v_not_b32_e32 v41, v189
	v_ashrrev_i32_e32 v191, 31, v191
	v_xor_b32_e32 v190, vcc_lo, v190
	v_cmp_gt_i32_e32 vcc_lo, 0, v189
	v_and_b32_e32 v39, v39, v42
	v_ashrrev_i32_e32 v41, 31, v41
	v_xor_b32_e32 v42, s22, v191
	v_mad_u32_u24 v189, v40, 36, v116
	v_mul_u32_u24_e32 v40, 36, v40
	v_and_b32_e32 v39, v39, v190
	v_xor_b32_e32 v41, vcc_lo, v41
	ds_read_b32 v189, v189 offset:544
	v_add_nc_u32_e32 v192, v116, v40
	v_and_b32_e32 v39, v39, v42
	; wave barrier
	v_and_b32_e32 v39, v39, v41
	v_mbcnt_lo_u32_b32 v190, v39, 0
	v_cmp_ne_u32_e64 s22, 0, v39
	v_cmp_eq_u32_e32 vcc_lo, 0, v190
	s_and_b32 s23, s22, vcc_lo
	s_and_saveexec_b32 s22, s23
	s_cbranch_execz .LBB92_464
; %bb.463:                              ;   in Loop: Header=BB92_410 Depth=2
	s_waitcnt lgkmcnt(0)
	v_bcnt_u32_b32 v39, v39, v189
	ds_write_b32 v192, v39 offset:544
.LBB92_464:                             ;   in Loop: Header=BB92_410 Depth=2
	s_or_b32 exec_lo, exec_lo, s22
	v_lshrrev_b32_e32 v191, 24, v3
	; wave barrier
	v_lshrrev_b32_e32 v39, s61, v191
	v_and_b32_e32 v40, s62, v39
	v_and_b32_e32 v39, 1, v40
	v_lshlrev_b32_e32 v41, 30, v40
	v_lshlrev_b32_e32 v42, 29, v40
	;; [unrolled: 1-line block ×4, first 2 shown]
	v_add_co_u32 v39, s22, v39, -1
	v_cndmask_b32_e64 v193, 0, 1, s22
	v_not_b32_e32 v197, v41
	v_cmp_gt_i32_e64 s22, 0, v41
	v_not_b32_e32 v41, v42
	v_lshlrev_b32_e32 v196, 26, v40
	v_cmp_ne_u32_e32 vcc_lo, 0, v193
	v_ashrrev_i32_e32 v197, 31, v197
	v_lshlrev_b32_e32 v193, 25, v40
	v_ashrrev_i32_e32 v41, 31, v41
	v_xor_b32_e32 v39, vcc_lo, v39
	v_cmp_gt_i32_e32 vcc_lo, 0, v42
	v_not_b32_e32 v42, v194
	v_xor_b32_e32 v197, s22, v197
	v_cmp_gt_i32_e64 s22, 0, v194
	v_and_b32_e32 v39, exec_lo, v39
	v_not_b32_e32 v194, v195
	v_ashrrev_i32_e32 v42, 31, v42
	v_xor_b32_e32 v41, vcc_lo, v41
	v_cmp_gt_i32_e32 vcc_lo, 0, v195
	v_and_b32_e32 v39, v39, v197
	v_not_b32_e32 v195, v196
	v_ashrrev_i32_e32 v194, 31, v194
	v_xor_b32_e32 v42, s22, v42
	v_cmp_gt_i32_e64 s22, 0, v196
	v_and_b32_e32 v39, v39, v41
	v_not_b32_e32 v41, v193
	v_ashrrev_i32_e32 v195, 31, v195
	v_xor_b32_e32 v194, vcc_lo, v194
	v_cmp_gt_i32_e32 vcc_lo, 0, v193
	v_and_b32_e32 v39, v39, v42
	v_ashrrev_i32_e32 v41, 31, v41
	v_xor_b32_e32 v42, s22, v195
	v_mad_u32_u24 v193, v40, 36, v116
	v_mul_u32_u24_e32 v40, 36, v40
	v_and_b32_e32 v39, v39, v194
	v_xor_b32_e32 v41, vcc_lo, v41
	ds_read_b32 v193, v193 offset:544
	v_add_nc_u32_e32 v195, v116, v40
	v_and_b32_e32 v39, v39, v42
	; wave barrier
	v_and_b32_e32 v39, v39, v41
	v_mbcnt_lo_u32_b32 v194, v39, 0
	v_cmp_ne_u32_e64 s22, 0, v39
	v_cmp_eq_u32_e32 vcc_lo, 0, v194
	s_and_b32 s23, s22, vcc_lo
	s_and_saveexec_b32 s22, s23
	s_cbranch_execz .LBB92_466
; %bb.465:                              ;   in Loop: Header=BB92_410 Depth=2
	s_waitcnt lgkmcnt(0)
	v_bcnt_u32_b32 v39, v39, v193
	ds_write_b32 v195, v39 offset:544
.LBB92_466:                             ;   in Loop: Header=BB92_410 Depth=2
	s_or_b32 exec_lo, exec_lo, s22
	v_xor_b32_e32 v129, -1, v129
	; wave barrier
	v_lshrrev_b32_sdwa v39, s61, v129 dst_sel:DWORD dst_unused:UNUSED_PAD src0_sel:DWORD src1_sel:BYTE_0
	v_and_b32_e32 v40, s62, v39
	v_and_b32_e32 v39, 1, v40
	v_lshlrev_b32_e32 v41, 30, v40
	v_lshlrev_b32_e32 v42, 29, v40
	;; [unrolled: 1-line block ×4, first 2 shown]
	v_add_co_u32 v39, s22, v39, -1
	v_cndmask_b32_e64 v196, 0, 1, s22
	v_not_b32_e32 v200, v41
	v_cmp_gt_i32_e64 s22, 0, v41
	v_not_b32_e32 v41, v42
	v_lshlrev_b32_e32 v199, 26, v40
	v_cmp_ne_u32_e32 vcc_lo, 0, v196
	v_ashrrev_i32_e32 v200, 31, v200
	v_lshlrev_b32_e32 v196, 25, v40
	v_ashrrev_i32_e32 v41, 31, v41
	v_xor_b32_e32 v39, vcc_lo, v39
	v_cmp_gt_i32_e32 vcc_lo, 0, v42
	v_not_b32_e32 v42, v197
	v_xor_b32_e32 v200, s22, v200
	v_cmp_gt_i32_e64 s22, 0, v197
	v_and_b32_e32 v39, exec_lo, v39
	v_not_b32_e32 v197, v198
	v_ashrrev_i32_e32 v42, 31, v42
	v_xor_b32_e32 v41, vcc_lo, v41
	v_cmp_gt_i32_e32 vcc_lo, 0, v198
	v_and_b32_e32 v39, v39, v200
	v_not_b32_e32 v198, v199
	v_ashrrev_i32_e32 v197, 31, v197
	v_xor_b32_e32 v42, s22, v42
	v_cmp_gt_i32_e64 s22, 0, v199
	v_and_b32_e32 v39, v39, v41
	v_not_b32_e32 v41, v196
	v_ashrrev_i32_e32 v198, 31, v198
	v_xor_b32_e32 v197, vcc_lo, v197
	v_cmp_gt_i32_e32 vcc_lo, 0, v196
	v_and_b32_e32 v39, v39, v42
	v_ashrrev_i32_e32 v41, 31, v41
	v_xor_b32_e32 v42, s22, v198
	v_mad_u32_u24 v196, v40, 36, v116
	v_mul_u32_u24_e32 v40, 36, v40
	v_and_b32_e32 v39, v39, v197
	v_xor_b32_e32 v41, vcc_lo, v41
	ds_read_b32 v196, v196 offset:544
	v_add_nc_u32_e32 v198, v116, v40
	v_and_b32_e32 v39, v39, v42
	; wave barrier
	v_and_b32_e32 v39, v39, v41
	v_mbcnt_lo_u32_b32 v197, v39, 0
	v_cmp_ne_u32_e64 s22, 0, v39
	v_cmp_eq_u32_e32 vcc_lo, 0, v197
	s_and_b32 s23, s22, vcc_lo
	s_and_saveexec_b32 s22, s23
	s_cbranch_execz .LBB92_468
; %bb.467:                              ;   in Loop: Header=BB92_410 Depth=2
	s_waitcnt lgkmcnt(0)
	v_bcnt_u32_b32 v39, v39, v196
	ds_write_b32 v198, v39 offset:544
.LBB92_468:                             ;   in Loop: Header=BB92_410 Depth=2
	s_or_b32 exec_lo, exec_lo, s22
	; wave barrier
	s_waitcnt lgkmcnt(0)
	s_barrier
	buffer_gl0_inv
	ds_read2_b32 v[41:42], v69 offset0:136 offset1:137
	ds_read2_b32 v[39:40], v69 offset0:138 offset1:139
	ds_read_b32 v199, v69 offset:560
	s_waitcnt lgkmcnt(1)
	v_add3_u32 v200, v42, v41, v39
	s_waitcnt lgkmcnt(0)
	v_add3_u32 v199, v200, v40, v199
	v_mov_b32_dpp v200, v199 row_shr:1 row_mask:0xf bank_mask:0xf
	v_cndmask_b32_e64 v200, v200, 0, s5
	v_add_nc_u32_e32 v199, v200, v199
	v_mov_b32_dpp v200, v199 row_shr:2 row_mask:0xf bank_mask:0xf
	v_cndmask_b32_e64 v200, 0, v200, s14
	v_add_nc_u32_e32 v199, v199, v200
	;; [unrolled: 3-line block ×4, first 2 shown]
	ds_swizzle_b32 v200, v199 offset:swizzle(BROADCAST,32,15)
	s_waitcnt lgkmcnt(0)
	v_cndmask_b32_e64 v200, v200, 0, s17
	v_add_nc_u32_e32 v199, v199, v200
	s_and_saveexec_b32 s22, s4
; %bb.469:                              ;   in Loop: Header=BB92_410 Depth=2
	ds_write_b32 v62, v199 offset:512
; %bb.470:                              ;   in Loop: Header=BB92_410 Depth=2
	s_or_b32 exec_lo, exec_lo, s22
	s_waitcnt lgkmcnt(0)
	s_barrier
	buffer_gl0_inv
	s_and_saveexec_b32 s22, s11
	s_cbranch_execz .LBB92_472
; %bb.471:                              ;   in Loop: Header=BB92_410 Depth=2
	ds_read_b32 v200, v70 offset:512
	s_waitcnt lgkmcnt(0)
	v_mov_b32_dpp v201, v200 row_shr:1 row_mask:0xf bank_mask:0xf
	v_cndmask_b32_e64 v201, v201, 0, s19
	v_add_nc_u32_e32 v200, v201, v200
	v_mov_b32_dpp v201, v200 row_shr:2 row_mask:0xf bank_mask:0xf
	v_cndmask_b32_e64 v201, 0, v201, s20
	v_add_nc_u32_e32 v200, v200, v201
	;; [unrolled: 3-line block ×3, first 2 shown]
	ds_write_b32 v70, v200 offset:512
.LBB92_472:                             ;   in Loop: Header=BB92_410 Depth=2
	s_or_b32 exec_lo, exec_lo, s22
	v_mov_b32_e32 v200, 0
	s_waitcnt lgkmcnt(0)
	s_barrier
	buffer_gl0_inv
	s_and_saveexec_b32 s22, s10
; %bb.473:                              ;   in Loop: Header=BB92_410 Depth=2
	ds_read_b32 v200, v62 offset:508
; %bb.474:                              ;   in Loop: Header=BB92_410 Depth=2
	s_or_b32 exec_lo, exec_lo, s22
	s_waitcnt lgkmcnt(0)
	v_add_nc_u32_e32 v199, v200, v199
	ds_bpermute_b32 v199, v94, v199
	s_waitcnt lgkmcnt(0)
	v_cndmask_b32_e64 v199, v199, v200, s18
	v_cndmask_b32_e64 v199, v199, 0, s12
	v_add_nc_u32_e32 v41, v199, v41
	v_add_nc_u32_e32 v42, v41, v42
	;; [unrolled: 1-line block ×4, first 2 shown]
	ds_write2_b32 v69, v199, v41 offset0:136 offset1:137
	ds_write2_b32 v69, v42, v39 offset0:138 offset1:139
	ds_write_b32 v69, v40 offset:560
	s_waitcnt lgkmcnt(0)
	s_barrier
	buffer_gl0_inv
	ds_read_b32 v39, v149 offset:544
	ds_read_b32 v40, v153 offset:544
	;; [unrolled: 1-line block ×17, first 2 shown]
	s_and_saveexec_b32 s22, s7
	s_cbranch_execz .LBB92_478
; %bb.475:                              ;   in Loop: Header=BB92_410 Depth=2
	v_add_nc_u32_e32 v135, v70, v72
	v_mov_b32_e32 v136, 0x1100
	ds_read_b32 v135, v135 offset:544
	s_and_saveexec_b32 s23, s13
; %bb.476:                              ;   in Loop: Header=BB92_410 Depth=2
	ds_read_b32 v136, v71 offset:544
; %bb.477:                              ;   in Loop: Header=BB92_410 Depth=2
	s_or_b32 exec_lo, exec_lo, s23
	s_waitcnt lgkmcnt(0)
	v_sub_nc_u32_e32 v136, v136, v135
.LBB92_478:                             ;   in Loop: Header=BB92_410 Depth=2
	s_or_b32 exec_lo, exec_lo, s22
	v_lshrrev_b32_e32 v203, 8, v148
	v_lshrrev_b32_e32 v204, 16, v148
	;; [unrolled: 1-line block ×8, first 2 shown]
	s_waitcnt lgkmcnt(0)
	s_barrier
	buffer_gl0_inv
	s_and_saveexec_b32 s22, s7
	s_cbranch_execz .LBB92_480
; %bb.479:                              ;   in Loop: Header=BB92_410 Depth=2
	ds_read_b32 v3, v43
	s_waitcnt lgkmcnt(0)
	v_sub_nc_u32_e32 v3, v3, v135
	ds_write_b32 v43, v3
.LBB92_480:                             ;   in Loop: Header=BB92_410 Depth=2
	s_or_b32 exec_lo, exec_lo, s22
	v_add_nc_u32_e32 v157, v39, v146
	v_add3_u32 v153, v152, v151, v40
	v_add3_u32 v152, v155, v154, v41
	;; [unrolled: 1-line block ×16, first 2 shown]
	v_cmp_lt_u32_e64 s39, v0, v138
	ds_write_b8 v157, v147 offset:512
	ds_write_b8 v153, v203 offset:512
	ds_write_b8 v152, v204 offset:512
	ds_write_b8 v151, v156 offset:512
	ds_write_b8 v150, v143 offset:512
	ds_write_b8 v149, v201 offset:512
	ds_write_b8 v148, v202 offset:512
	ds_write_b8 v146, v167 offset:512
	ds_write_b8 v145, v139 offset:512
	ds_write_b8 v144, v199 offset:512
	ds_write_b8 v142, v200 offset:512
	ds_write_b8 v141, v178 offset:512
	ds_write_b8 v140, v184 offset:512
	ds_write_b8 v137, v195 offset:512
	ds_write_b8 v42, v198 offset:512
	ds_write_b8 v41, v191 offset:512
	ds_write_b8 v3, v129 offset:512
	s_waitcnt lgkmcnt(0)
	s_barrier
	buffer_gl0_inv
	s_and_saveexec_b32 s22, s39
	s_cbranch_execnz .LBB92_553
; %bb.481:                              ;   in Loop: Header=BB92_410 Depth=2
	s_or_b32 exec_lo, exec_lo, s22
	v_cmp_lt_u32_e64 s38, v44, v138
	s_and_saveexec_b32 s22, s38
	s_cbranch_execnz .LBB92_554
.LBB92_482:                             ;   in Loop: Header=BB92_410 Depth=2
	s_or_b32 exec_lo, exec_lo, s22
	v_cmp_lt_u32_e64 s37, v47, v138
	s_and_saveexec_b32 s22, s37
	s_cbranch_execnz .LBB92_555
.LBB92_483:                             ;   in Loop: Header=BB92_410 Depth=2
	s_or_b32 exec_lo, exec_lo, s22
	v_cmp_lt_u32_e64 s36, v48, v138
	s_and_saveexec_b32 s22, s36
	s_cbranch_execnz .LBB92_556
.LBB92_484:                             ;   in Loop: Header=BB92_410 Depth=2
	s_or_b32 exec_lo, exec_lo, s22
	v_cmp_lt_u32_e64 s35, v49, v138
	s_and_saveexec_b32 s22, s35
	s_cbranch_execnz .LBB92_557
.LBB92_485:                             ;   in Loop: Header=BB92_410 Depth=2
	s_or_b32 exec_lo, exec_lo, s22
	v_cmp_lt_u32_e64 s34, v50, v138
	s_and_saveexec_b32 s22, s34
	s_cbranch_execnz .LBB92_558
.LBB92_486:                             ;   in Loop: Header=BB92_410 Depth=2
	s_or_b32 exec_lo, exec_lo, s22
	v_cmp_lt_u32_e64 s33, v51, v138
	s_and_saveexec_b32 s22, s33
	s_cbranch_execnz .LBB92_559
.LBB92_487:                             ;   in Loop: Header=BB92_410 Depth=2
	s_or_b32 exec_lo, exec_lo, s22
	v_cmp_lt_u32_e64 s31, v52, v138
	s_and_saveexec_b32 s22, s31
	s_cbranch_execnz .LBB92_560
.LBB92_488:                             ;   in Loop: Header=BB92_410 Depth=2
	s_or_b32 exec_lo, exec_lo, s22
	v_cmp_lt_u32_e64 s30, v53, v138
	s_and_saveexec_b32 s22, s30
	s_cbranch_execnz .LBB92_561
.LBB92_489:                             ;   in Loop: Header=BB92_410 Depth=2
	s_or_b32 exec_lo, exec_lo, s22
	v_cmp_lt_u32_e64 s29, v54, v138
	s_and_saveexec_b32 s22, s29
	s_cbranch_execnz .LBB92_562
.LBB92_490:                             ;   in Loop: Header=BB92_410 Depth=2
	s_or_b32 exec_lo, exec_lo, s22
	v_cmp_lt_u32_e64 s27, v55, v138
	s_and_saveexec_b32 s22, s27
	s_cbranch_execnz .LBB92_563
.LBB92_491:                             ;   in Loop: Header=BB92_410 Depth=2
	s_or_b32 exec_lo, exec_lo, s22
	v_cmp_lt_u32_e64 s26, v56, v138
	s_and_saveexec_b32 s22, s26
	s_cbranch_execnz .LBB92_564
.LBB92_492:                             ;   in Loop: Header=BB92_410 Depth=2
	s_or_b32 exec_lo, exec_lo, s22
	v_cmp_lt_u32_e64 s25, v57, v138
	s_and_saveexec_b32 s22, s25
	s_cbranch_execnz .LBB92_565
.LBB92_493:                             ;   in Loop: Header=BB92_410 Depth=2
	s_or_b32 exec_lo, exec_lo, s22
	v_cmp_lt_u32_e64 s24, v58, v138
	s_and_saveexec_b32 s22, s24
	s_cbranch_execnz .LBB92_566
.LBB92_494:                             ;   in Loop: Header=BB92_410 Depth=2
	s_or_b32 exec_lo, exec_lo, s22
	v_cmp_lt_u32_e64 s23, v59, v138
	s_and_saveexec_b32 s22, s23
	s_cbranch_execnz .LBB92_567
.LBB92_495:                             ;   in Loop: Header=BB92_410 Depth=2
	s_or_b32 exec_lo, exec_lo, s22
	v_cmp_lt_u32_e64 s22, v60, v138
	s_and_saveexec_b32 s40, s22
	s_cbranch_execnz .LBB92_568
.LBB92_496:                             ;   in Loop: Header=BB92_410 Depth=2
	s_or_b32 exec_lo, exec_lo, s40
	v_cmp_lt_u32_e32 vcc_lo, v61, v138
	s_and_saveexec_b32 s40, vcc_lo
	s_cbranch_execz .LBB92_498
.LBB92_497:                             ;   in Loop: Header=BB92_410 Depth=2
	ds_read_u8 v39, v0 offset:4608
	s_waitcnt lgkmcnt(0)
	v_lshrrev_b32_sdwa v40, s61, v39 dst_sel:DWORD dst_unused:UNUSED_PAD src0_sel:DWORD src1_sel:BYTE_0
	v_xor_b32_e32 v39, -1, v39
	v_and_b32_e32 v40, s62, v40
	v_lshlrev_b32_e32 v40, 2, v40
	ds_read_b32 v40, v40
	s_waitcnt lgkmcnt(0)
	v_add_nc_u32_e32 v40, v40, v61
	global_store_byte v40, v39, s[48:49]
.LBB92_498:                             ;   in Loop: Header=BB92_410 Depth=2
	s_or_b32 exec_lo, exec_lo, s40
	s_lshl_b64 s[66:67], s[50:51], 3
	v_add_co_u32 v39, s40, v98, s66
	v_add_co_ci_u32_e64 v40, null, s67, v99, s40
	v_cmp_lt_u32_e64 s40, v95, v138
	s_and_saveexec_b32 s50, s40
	s_xor_b32 s40, exec_lo, s50
	s_cbranch_execnz .LBB92_569
; %bb.499:                              ;   in Loop: Header=BB92_410 Depth=2
	s_or_b32 exec_lo, exec_lo, s40
	s_mov_b32 s50, exec_lo
	v_cmpx_lt_u32_e64 v100, v138
	s_cbranch_execnz .LBB92_570
.LBB92_500:                             ;   in Loop: Header=BB92_410 Depth=2
	s_or_b32 exec_lo, exec_lo, s50
	s_mov_b32 s50, exec_lo
	v_cmpx_lt_u32_e64 v101, v138
	s_cbranch_execnz .LBB92_571
.LBB92_501:                             ;   in Loop: Header=BB92_410 Depth=2
	s_or_b32 exec_lo, exec_lo, s50
	s_mov_b32 s50, exec_lo
	v_cmpx_lt_u32_e64 v102, v138
	s_cbranch_execnz .LBB92_572
.LBB92_502:                             ;   in Loop: Header=BB92_410 Depth=2
	s_or_b32 exec_lo, exec_lo, s50
	s_mov_b32 s50, exec_lo
	v_cmpx_lt_u32_e64 v103, v138
	s_cbranch_execnz .LBB92_573
.LBB92_503:                             ;   in Loop: Header=BB92_410 Depth=2
	s_or_b32 exec_lo, exec_lo, s50
	s_mov_b32 s50, exec_lo
	v_cmpx_lt_u32_e64 v104, v138
	s_cbranch_execnz .LBB92_574
.LBB92_504:                             ;   in Loop: Header=BB92_410 Depth=2
	s_or_b32 exec_lo, exec_lo, s50
	s_mov_b32 s50, exec_lo
	v_cmpx_lt_u32_e64 v105, v138
	s_cbranch_execnz .LBB92_575
.LBB92_505:                             ;   in Loop: Header=BB92_410 Depth=2
	s_or_b32 exec_lo, exec_lo, s50
	s_mov_b32 s50, exec_lo
	v_cmpx_lt_u32_e64 v106, v138
	s_cbranch_execnz .LBB92_576
.LBB92_506:                             ;   in Loop: Header=BB92_410 Depth=2
	s_or_b32 exec_lo, exec_lo, s50
	s_mov_b32 s50, exec_lo
	v_cmpx_lt_u32_e64 v107, v138
	s_cbranch_execnz .LBB92_577
.LBB92_507:                             ;   in Loop: Header=BB92_410 Depth=2
	s_or_b32 exec_lo, exec_lo, s50
	s_mov_b32 s50, exec_lo
	v_cmpx_lt_u32_e64 v108, v138
	s_cbranch_execnz .LBB92_578
.LBB92_508:                             ;   in Loop: Header=BB92_410 Depth=2
	s_or_b32 exec_lo, exec_lo, s50
	s_mov_b32 s50, exec_lo
	v_cmpx_lt_u32_e64 v109, v138
	s_cbranch_execnz .LBB92_579
.LBB92_509:                             ;   in Loop: Header=BB92_410 Depth=2
	s_or_b32 exec_lo, exec_lo, s50
	s_mov_b32 s50, exec_lo
	v_cmpx_lt_u32_e64 v110, v138
	s_cbranch_execnz .LBB92_580
.LBB92_510:                             ;   in Loop: Header=BB92_410 Depth=2
	s_or_b32 exec_lo, exec_lo, s50
	s_mov_b32 s50, exec_lo
	v_cmpx_lt_u32_e64 v111, v138
	s_cbranch_execnz .LBB92_581
.LBB92_511:                             ;   in Loop: Header=BB92_410 Depth=2
	s_or_b32 exec_lo, exec_lo, s50
	s_mov_b32 s50, exec_lo
	v_cmpx_lt_u32_e64 v112, v138
	s_cbranch_execnz .LBB92_582
.LBB92_512:                             ;   in Loop: Header=BB92_410 Depth=2
	s_or_b32 exec_lo, exec_lo, s50
	s_mov_b32 s50, exec_lo
	v_cmpx_lt_u32_e64 v113, v138
	s_cbranch_execnz .LBB92_583
.LBB92_513:                             ;   in Loop: Header=BB92_410 Depth=2
	s_or_b32 exec_lo, exec_lo, s50
	s_mov_b32 s50, exec_lo
	v_cmpx_lt_u32_e64 v114, v138
	s_cbranch_execnz .LBB92_584
.LBB92_514:                             ;   in Loop: Header=BB92_410 Depth=2
	s_or_b32 exec_lo, exec_lo, s50
	s_mov_b32 s50, exec_lo
	v_cmpx_lt_u32_e64 v115, v138
	s_cbranch_execnz .LBB92_585
.LBB92_515:                             ;   in Loop: Header=BB92_410 Depth=2
	s_or_b32 exec_lo, exec_lo, s50
	s_and_saveexec_b32 s40, s39
	s_cbranch_execnz .LBB92_586
.LBB92_516:                             ;   in Loop: Header=BB92_410 Depth=2
	s_or_b32 exec_lo, exec_lo, s40
	s_and_saveexec_b32 s40, s38
	s_cbranch_execnz .LBB92_587
.LBB92_517:                             ;   in Loop: Header=BB92_410 Depth=2
	s_or_b32 exec_lo, exec_lo, s40
	s_and_saveexec_b32 s40, s37
	s_cbranch_execnz .LBB92_588
.LBB92_518:                             ;   in Loop: Header=BB92_410 Depth=2
	s_or_b32 exec_lo, exec_lo, s40
	s_and_saveexec_b32 s40, s36
	s_cbranch_execnz .LBB92_589
.LBB92_519:                             ;   in Loop: Header=BB92_410 Depth=2
	s_or_b32 exec_lo, exec_lo, s40
	s_and_saveexec_b32 s40, s35
	s_cbranch_execnz .LBB92_590
.LBB92_520:                             ;   in Loop: Header=BB92_410 Depth=2
	s_or_b32 exec_lo, exec_lo, s40
	s_and_saveexec_b32 s40, s34
	s_cbranch_execnz .LBB92_591
.LBB92_521:                             ;   in Loop: Header=BB92_410 Depth=2
	s_or_b32 exec_lo, exec_lo, s40
	s_and_saveexec_b32 s40, s33
	s_cbranch_execnz .LBB92_592
.LBB92_522:                             ;   in Loop: Header=BB92_410 Depth=2
	s_or_b32 exec_lo, exec_lo, s40
	s_and_saveexec_b32 s40, s31
	s_cbranch_execnz .LBB92_593
.LBB92_523:                             ;   in Loop: Header=BB92_410 Depth=2
	s_or_b32 exec_lo, exec_lo, s40
	s_and_saveexec_b32 s40, s30
	s_cbranch_execnz .LBB92_594
.LBB92_524:                             ;   in Loop: Header=BB92_410 Depth=2
	s_or_b32 exec_lo, exec_lo, s40
	s_and_saveexec_b32 s40, s29
	s_cbranch_execnz .LBB92_595
.LBB92_525:                             ;   in Loop: Header=BB92_410 Depth=2
	s_or_b32 exec_lo, exec_lo, s40
	s_and_saveexec_b32 s40, s27
	s_cbranch_execnz .LBB92_596
.LBB92_526:                             ;   in Loop: Header=BB92_410 Depth=2
	s_or_b32 exec_lo, exec_lo, s40
	s_and_saveexec_b32 s40, s26
	s_cbranch_execnz .LBB92_597
.LBB92_527:                             ;   in Loop: Header=BB92_410 Depth=2
	s_or_b32 exec_lo, exec_lo, s40
	s_and_saveexec_b32 s40, s25
	s_cbranch_execnz .LBB92_598
.LBB92_528:                             ;   in Loop: Header=BB92_410 Depth=2
	s_or_b32 exec_lo, exec_lo, s40
	s_and_saveexec_b32 s40, s24
	s_cbranch_execnz .LBB92_599
.LBB92_529:                             ;   in Loop: Header=BB92_410 Depth=2
	s_or_b32 exec_lo, exec_lo, s40
	s_and_saveexec_b32 s40, s23
	s_cbranch_execnz .LBB92_600
.LBB92_530:                             ;   in Loop: Header=BB92_410 Depth=2
	s_or_b32 exec_lo, exec_lo, s40
	s_and_saveexec_b32 s40, s22
	s_cbranch_execnz .LBB92_601
.LBB92_531:                             ;   in Loop: Header=BB92_410 Depth=2
	s_or_b32 exec_lo, exec_lo, s40
	s_and_saveexec_b32 s40, vcc_lo
	s_cbranch_execz .LBB92_533
.LBB92_532:                             ;   in Loop: Header=BB92_410 Depth=2
	ds_read_u8 v39, v0 offset:4608
	s_waitcnt lgkmcnt(0)
	v_lshrrev_b32_e32 v39, s61, v39
	v_and_b32_e32 v117, s62, v39
.LBB92_533:                             ;   in Loop: Header=BB92_410 Depth=2
	s_or_b32 exec_lo, exec_lo, s40
	v_lshlrev_b32_e32 v39, 3, v157
	v_lshlrev_b32_e32 v40, 3, v153
	s_waitcnt vmcnt(0)
	s_waitcnt_vscnt null, 0x0
	s_barrier
	buffer_gl0_inv
	ds_write_b64 v39, v[37:38] offset:512
	ds_write_b64 v40, v[35:36] offset:512
	v_lshlrev_b32_e32 v39, 3, v152
	v_lshlrev_b32_e32 v40, 3, v151
	v_lshlrev_b32_e32 v138, 3, v150
	v_lshlrev_b32_e32 v139, 3, v149
	v_lshlrev_b32_e32 v143, 3, v148
	ds_write_b64 v39, v[33:34] offset:512
	ds_write_b64 v40, v[31:32] offset:512
	ds_write_b64 v138, v[29:30] offset:512
	ds_write_b64 v139, v[25:26] offset:512
	ds_write_b64 v143, v[21:22] offset:512
	v_lshlrev_b32_e32 v39, 3, v146
	v_lshlrev_b32_e32 v40, 3, v145
	v_lshlrev_b32_e32 v138, 3, v144
	v_lshlrev_b32_e32 v139, 3, v142
	v_lshlrev_b32_e32 v141, 3, v141
	ds_write_b64 v39, v[17:18] offset:512
	ds_write_b64 v40, v[27:28] offset:512
	ds_write_b64 v138, v[23:24] offset:512
	;; [unrolled: 10-line block ×3, first 2 shown]
	ds_write_b64 v41, v[7:8] offset:512
	ds_write_b64 v3, v[5:6] offset:512
	s_waitcnt lgkmcnt(0)
	s_barrier
	buffer_gl0_inv
	s_and_saveexec_b32 s40, s39
	s_cbranch_execnz .LBB92_602
; %bb.534:                              ;   in Loop: Header=BB92_410 Depth=2
	s_or_b32 exec_lo, exec_lo, s40
	s_and_saveexec_b32 s39, s38
	s_cbranch_execnz .LBB92_603
.LBB92_535:                             ;   in Loop: Header=BB92_410 Depth=2
	s_or_b32 exec_lo, exec_lo, s39
	s_and_saveexec_b32 s38, s37
	s_cbranch_execnz .LBB92_604
.LBB92_536:                             ;   in Loop: Header=BB92_410 Depth=2
	s_or_b32 exec_lo, exec_lo, s38
	s_and_saveexec_b32 s37, s36
	s_cbranch_execnz .LBB92_605
.LBB92_537:                             ;   in Loop: Header=BB92_410 Depth=2
	s_or_b32 exec_lo, exec_lo, s37
	s_and_saveexec_b32 s36, s35
	s_cbranch_execnz .LBB92_606
.LBB92_538:                             ;   in Loop: Header=BB92_410 Depth=2
	s_or_b32 exec_lo, exec_lo, s36
	s_and_saveexec_b32 s35, s34
	s_cbranch_execnz .LBB92_607
.LBB92_539:                             ;   in Loop: Header=BB92_410 Depth=2
	s_or_b32 exec_lo, exec_lo, s35
	s_and_saveexec_b32 s34, s33
	s_cbranch_execnz .LBB92_608
.LBB92_540:                             ;   in Loop: Header=BB92_410 Depth=2
	s_or_b32 exec_lo, exec_lo, s34
	s_and_saveexec_b32 s33, s31
	s_cbranch_execnz .LBB92_609
.LBB92_541:                             ;   in Loop: Header=BB92_410 Depth=2
	s_or_b32 exec_lo, exec_lo, s33
	s_and_saveexec_b32 s31, s30
	s_cbranch_execnz .LBB92_610
.LBB92_542:                             ;   in Loop: Header=BB92_410 Depth=2
	s_or_b32 exec_lo, exec_lo, s31
	s_and_saveexec_b32 s30, s29
	s_cbranch_execnz .LBB92_611
.LBB92_543:                             ;   in Loop: Header=BB92_410 Depth=2
	s_or_b32 exec_lo, exec_lo, s30
	s_and_saveexec_b32 s29, s27
	s_cbranch_execnz .LBB92_612
.LBB92_544:                             ;   in Loop: Header=BB92_410 Depth=2
	s_or_b32 exec_lo, exec_lo, s29
	s_and_saveexec_b32 s27, s26
	s_cbranch_execnz .LBB92_613
.LBB92_545:                             ;   in Loop: Header=BB92_410 Depth=2
	s_or_b32 exec_lo, exec_lo, s27
	s_and_saveexec_b32 s26, s25
	s_cbranch_execnz .LBB92_614
.LBB92_546:                             ;   in Loop: Header=BB92_410 Depth=2
	s_or_b32 exec_lo, exec_lo, s26
	s_and_saveexec_b32 s25, s24
	s_cbranch_execnz .LBB92_615
.LBB92_547:                             ;   in Loop: Header=BB92_410 Depth=2
	s_or_b32 exec_lo, exec_lo, s25
	s_and_saveexec_b32 s24, s23
	s_cbranch_execnz .LBB92_616
.LBB92_548:                             ;   in Loop: Header=BB92_410 Depth=2
	s_or_b32 exec_lo, exec_lo, s24
	s_and_saveexec_b32 s23, s22
	s_cbranch_execnz .LBB92_617
.LBB92_549:                             ;   in Loop: Header=BB92_410 Depth=2
	s_or_b32 exec_lo, exec_lo, s23
	s_and_saveexec_b32 s22, vcc_lo
	s_cbranch_execz .LBB92_551
.LBB92_550:                             ;   in Loop: Header=BB92_410 Depth=2
	v_lshlrev_b32_e32 v3, 2, v117
	v_add_nc_u32_e32 v39, v0, v75
	ds_read_b32 v3, v3
	ds_read_b64 v[39:40], v39 offset:33280
	s_waitcnt lgkmcnt(1)
	v_add_nc_u32_e32 v3, v3, v61
	v_lshlrev_b64 v[41:42], 3, v[3:4]
	v_add_co_u32 v41, vcc_lo, s54, v41
	v_add_co_ci_u32_e64 v42, null, s55, v42, vcc_lo
	s_waitcnt lgkmcnt(0)
	global_store_dwordx2 v[41:42], v[39:40], off
.LBB92_551:                             ;   in Loop: Header=BB92_410 Depth=2
	s_or_b32 exec_lo, exec_lo, s22
	s_waitcnt_vscnt null, 0x0
	s_barrier
	buffer_gl0_inv
	s_and_saveexec_b32 s22, s7
	s_cbranch_execz .LBB92_409
; %bb.552:                              ;   in Loop: Header=BB92_410 Depth=2
	ds_read_b32 v3, v43
	s_waitcnt lgkmcnt(0)
	v_add3_u32 v3, v135, v136, v3
	ds_write_b32 v43, v3
	s_branch .LBB92_409
.LBB92_553:                             ;   in Loop: Header=BB92_410 Depth=2
	ds_read_u8 v39, v0 offset:512
	s_waitcnt lgkmcnt(0)
	v_lshrrev_b32_sdwa v40, s61, v39 dst_sel:DWORD dst_unused:UNUSED_PAD src0_sel:DWORD src1_sel:BYTE_0
	v_xor_b32_e32 v39, -1, v39
	v_and_b32_e32 v40, s62, v40
	v_lshlrev_b32_e32 v40, 2, v40
	ds_read_b32 v40, v40
	s_waitcnt lgkmcnt(0)
	v_add_nc_u32_e32 v40, v40, v0
	global_store_byte v40, v39, s[48:49]
	s_or_b32 exec_lo, exec_lo, s22
	v_cmp_lt_u32_e64 s38, v44, v138
	s_and_saveexec_b32 s22, s38
	s_cbranch_execz .LBB92_482
.LBB92_554:                             ;   in Loop: Header=BB92_410 Depth=2
	ds_read_u8 v39, v0 offset:768
	s_waitcnt lgkmcnt(0)
	v_lshrrev_b32_sdwa v40, s61, v39 dst_sel:DWORD dst_unused:UNUSED_PAD src0_sel:DWORD src1_sel:BYTE_0
	v_xor_b32_e32 v39, -1, v39
	v_and_b32_e32 v40, s62, v40
	v_lshlrev_b32_e32 v40, 2, v40
	ds_read_b32 v40, v40
	s_waitcnt lgkmcnt(0)
	v_add_nc_u32_e32 v40, v40, v44
	global_store_byte v40, v39, s[48:49]
	s_or_b32 exec_lo, exec_lo, s22
	v_cmp_lt_u32_e64 s37, v47, v138
	s_and_saveexec_b32 s22, s37
	s_cbranch_execz .LBB92_483
.LBB92_555:                             ;   in Loop: Header=BB92_410 Depth=2
	ds_read_u8 v39, v0 offset:1024
	s_waitcnt lgkmcnt(0)
	v_lshrrev_b32_sdwa v40, s61, v39 dst_sel:DWORD dst_unused:UNUSED_PAD src0_sel:DWORD src1_sel:BYTE_0
	v_xor_b32_e32 v39, -1, v39
	v_and_b32_e32 v40, s62, v40
	v_lshlrev_b32_e32 v40, 2, v40
	ds_read_b32 v40, v40
	s_waitcnt lgkmcnt(0)
	v_add_nc_u32_e32 v40, v40, v47
	global_store_byte v40, v39, s[48:49]
	s_or_b32 exec_lo, exec_lo, s22
	v_cmp_lt_u32_e64 s36, v48, v138
	s_and_saveexec_b32 s22, s36
	s_cbranch_execz .LBB92_484
.LBB92_556:                             ;   in Loop: Header=BB92_410 Depth=2
	ds_read_u8 v39, v0 offset:1280
	s_waitcnt lgkmcnt(0)
	v_lshrrev_b32_sdwa v40, s61, v39 dst_sel:DWORD dst_unused:UNUSED_PAD src0_sel:DWORD src1_sel:BYTE_0
	v_xor_b32_e32 v39, -1, v39
	v_and_b32_e32 v40, s62, v40
	v_lshlrev_b32_e32 v40, 2, v40
	ds_read_b32 v40, v40
	s_waitcnt lgkmcnt(0)
	v_add_nc_u32_e32 v40, v40, v48
	global_store_byte v40, v39, s[48:49]
	s_or_b32 exec_lo, exec_lo, s22
	v_cmp_lt_u32_e64 s35, v49, v138
	s_and_saveexec_b32 s22, s35
	s_cbranch_execz .LBB92_485
.LBB92_557:                             ;   in Loop: Header=BB92_410 Depth=2
	ds_read_u8 v39, v0 offset:1536
	s_waitcnt lgkmcnt(0)
	v_lshrrev_b32_sdwa v40, s61, v39 dst_sel:DWORD dst_unused:UNUSED_PAD src0_sel:DWORD src1_sel:BYTE_0
	v_xor_b32_e32 v39, -1, v39
	v_and_b32_e32 v40, s62, v40
	v_lshlrev_b32_e32 v40, 2, v40
	ds_read_b32 v40, v40
	s_waitcnt lgkmcnt(0)
	v_add_nc_u32_e32 v40, v40, v49
	global_store_byte v40, v39, s[48:49]
	s_or_b32 exec_lo, exec_lo, s22
	v_cmp_lt_u32_e64 s34, v50, v138
	s_and_saveexec_b32 s22, s34
	s_cbranch_execz .LBB92_486
.LBB92_558:                             ;   in Loop: Header=BB92_410 Depth=2
	ds_read_u8 v39, v0 offset:1792
	s_waitcnt lgkmcnt(0)
	v_lshrrev_b32_sdwa v40, s61, v39 dst_sel:DWORD dst_unused:UNUSED_PAD src0_sel:DWORD src1_sel:BYTE_0
	v_xor_b32_e32 v39, -1, v39
	v_and_b32_e32 v40, s62, v40
	v_lshlrev_b32_e32 v40, 2, v40
	ds_read_b32 v40, v40
	s_waitcnt lgkmcnt(0)
	v_add_nc_u32_e32 v40, v40, v50
	global_store_byte v40, v39, s[48:49]
	s_or_b32 exec_lo, exec_lo, s22
	v_cmp_lt_u32_e64 s33, v51, v138
	s_and_saveexec_b32 s22, s33
	s_cbranch_execz .LBB92_487
.LBB92_559:                             ;   in Loop: Header=BB92_410 Depth=2
	ds_read_u8 v39, v0 offset:2048
	s_waitcnt lgkmcnt(0)
	v_lshrrev_b32_sdwa v40, s61, v39 dst_sel:DWORD dst_unused:UNUSED_PAD src0_sel:DWORD src1_sel:BYTE_0
	v_xor_b32_e32 v39, -1, v39
	v_and_b32_e32 v40, s62, v40
	v_lshlrev_b32_e32 v40, 2, v40
	ds_read_b32 v40, v40
	s_waitcnt lgkmcnt(0)
	v_add_nc_u32_e32 v40, v40, v51
	global_store_byte v40, v39, s[48:49]
	s_or_b32 exec_lo, exec_lo, s22
	v_cmp_lt_u32_e64 s31, v52, v138
	s_and_saveexec_b32 s22, s31
	s_cbranch_execz .LBB92_488
.LBB92_560:                             ;   in Loop: Header=BB92_410 Depth=2
	ds_read_u8 v39, v0 offset:2304
	s_waitcnt lgkmcnt(0)
	v_lshrrev_b32_sdwa v40, s61, v39 dst_sel:DWORD dst_unused:UNUSED_PAD src0_sel:DWORD src1_sel:BYTE_0
	v_xor_b32_e32 v39, -1, v39
	v_and_b32_e32 v40, s62, v40
	v_lshlrev_b32_e32 v40, 2, v40
	ds_read_b32 v40, v40
	s_waitcnt lgkmcnt(0)
	v_add_nc_u32_e32 v40, v40, v52
	global_store_byte v40, v39, s[48:49]
	s_or_b32 exec_lo, exec_lo, s22
	v_cmp_lt_u32_e64 s30, v53, v138
	s_and_saveexec_b32 s22, s30
	s_cbranch_execz .LBB92_489
.LBB92_561:                             ;   in Loop: Header=BB92_410 Depth=2
	ds_read_u8 v39, v0 offset:2560
	s_waitcnt lgkmcnt(0)
	v_lshrrev_b32_sdwa v40, s61, v39 dst_sel:DWORD dst_unused:UNUSED_PAD src0_sel:DWORD src1_sel:BYTE_0
	v_xor_b32_e32 v39, -1, v39
	v_and_b32_e32 v40, s62, v40
	v_lshlrev_b32_e32 v40, 2, v40
	ds_read_b32 v40, v40
	s_waitcnt lgkmcnt(0)
	v_add_nc_u32_e32 v40, v40, v53
	global_store_byte v40, v39, s[48:49]
	s_or_b32 exec_lo, exec_lo, s22
	v_cmp_lt_u32_e64 s29, v54, v138
	s_and_saveexec_b32 s22, s29
	s_cbranch_execz .LBB92_490
.LBB92_562:                             ;   in Loop: Header=BB92_410 Depth=2
	ds_read_u8 v39, v0 offset:2816
	s_waitcnt lgkmcnt(0)
	v_lshrrev_b32_sdwa v40, s61, v39 dst_sel:DWORD dst_unused:UNUSED_PAD src0_sel:DWORD src1_sel:BYTE_0
	v_xor_b32_e32 v39, -1, v39
	v_and_b32_e32 v40, s62, v40
	v_lshlrev_b32_e32 v40, 2, v40
	ds_read_b32 v40, v40
	s_waitcnt lgkmcnt(0)
	v_add_nc_u32_e32 v40, v40, v54
	global_store_byte v40, v39, s[48:49]
	s_or_b32 exec_lo, exec_lo, s22
	v_cmp_lt_u32_e64 s27, v55, v138
	s_and_saveexec_b32 s22, s27
	s_cbranch_execz .LBB92_491
.LBB92_563:                             ;   in Loop: Header=BB92_410 Depth=2
	ds_read_u8 v39, v0 offset:3072
	s_waitcnt lgkmcnt(0)
	v_lshrrev_b32_sdwa v40, s61, v39 dst_sel:DWORD dst_unused:UNUSED_PAD src0_sel:DWORD src1_sel:BYTE_0
	v_xor_b32_e32 v39, -1, v39
	v_and_b32_e32 v40, s62, v40
	v_lshlrev_b32_e32 v40, 2, v40
	ds_read_b32 v40, v40
	s_waitcnt lgkmcnt(0)
	v_add_nc_u32_e32 v40, v40, v55
	global_store_byte v40, v39, s[48:49]
	s_or_b32 exec_lo, exec_lo, s22
	v_cmp_lt_u32_e64 s26, v56, v138
	s_and_saveexec_b32 s22, s26
	s_cbranch_execz .LBB92_492
.LBB92_564:                             ;   in Loop: Header=BB92_410 Depth=2
	ds_read_u8 v39, v0 offset:3328
	s_waitcnt lgkmcnt(0)
	v_lshrrev_b32_sdwa v40, s61, v39 dst_sel:DWORD dst_unused:UNUSED_PAD src0_sel:DWORD src1_sel:BYTE_0
	v_xor_b32_e32 v39, -1, v39
	v_and_b32_e32 v40, s62, v40
	v_lshlrev_b32_e32 v40, 2, v40
	ds_read_b32 v40, v40
	s_waitcnt lgkmcnt(0)
	v_add_nc_u32_e32 v40, v40, v56
	global_store_byte v40, v39, s[48:49]
	s_or_b32 exec_lo, exec_lo, s22
	v_cmp_lt_u32_e64 s25, v57, v138
	s_and_saveexec_b32 s22, s25
	s_cbranch_execz .LBB92_493
.LBB92_565:                             ;   in Loop: Header=BB92_410 Depth=2
	ds_read_u8 v39, v0 offset:3584
	s_waitcnt lgkmcnt(0)
	v_lshrrev_b32_sdwa v40, s61, v39 dst_sel:DWORD dst_unused:UNUSED_PAD src0_sel:DWORD src1_sel:BYTE_0
	v_xor_b32_e32 v39, -1, v39
	v_and_b32_e32 v40, s62, v40
	v_lshlrev_b32_e32 v40, 2, v40
	ds_read_b32 v40, v40
	s_waitcnt lgkmcnt(0)
	v_add_nc_u32_e32 v40, v40, v57
	global_store_byte v40, v39, s[48:49]
	s_or_b32 exec_lo, exec_lo, s22
	v_cmp_lt_u32_e64 s24, v58, v138
	s_and_saveexec_b32 s22, s24
	s_cbranch_execz .LBB92_494
.LBB92_566:                             ;   in Loop: Header=BB92_410 Depth=2
	ds_read_u8 v39, v0 offset:3840
	s_waitcnt lgkmcnt(0)
	v_lshrrev_b32_sdwa v40, s61, v39 dst_sel:DWORD dst_unused:UNUSED_PAD src0_sel:DWORD src1_sel:BYTE_0
	v_xor_b32_e32 v39, -1, v39
	v_and_b32_e32 v40, s62, v40
	v_lshlrev_b32_e32 v40, 2, v40
	ds_read_b32 v40, v40
	s_waitcnt lgkmcnt(0)
	v_add_nc_u32_e32 v40, v40, v58
	global_store_byte v40, v39, s[48:49]
	s_or_b32 exec_lo, exec_lo, s22
	v_cmp_lt_u32_e64 s23, v59, v138
	s_and_saveexec_b32 s22, s23
	s_cbranch_execz .LBB92_495
.LBB92_567:                             ;   in Loop: Header=BB92_410 Depth=2
	ds_read_u8 v39, v0 offset:4096
	s_waitcnt lgkmcnt(0)
	v_lshrrev_b32_sdwa v40, s61, v39 dst_sel:DWORD dst_unused:UNUSED_PAD src0_sel:DWORD src1_sel:BYTE_0
	v_xor_b32_e32 v39, -1, v39
	v_and_b32_e32 v40, s62, v40
	v_lshlrev_b32_e32 v40, 2, v40
	ds_read_b32 v40, v40
	s_waitcnt lgkmcnt(0)
	v_add_nc_u32_e32 v40, v40, v59
	global_store_byte v40, v39, s[48:49]
	s_or_b32 exec_lo, exec_lo, s22
	v_cmp_lt_u32_e64 s22, v60, v138
	s_and_saveexec_b32 s40, s22
	s_cbranch_execz .LBB92_496
.LBB92_568:                             ;   in Loop: Header=BB92_410 Depth=2
	ds_read_u8 v39, v0 offset:4352
	s_waitcnt lgkmcnt(0)
	v_lshrrev_b32_sdwa v40, s61, v39 dst_sel:DWORD dst_unused:UNUSED_PAD src0_sel:DWORD src1_sel:BYTE_0
	v_xor_b32_e32 v39, -1, v39
	v_and_b32_e32 v40, s62, v40
	v_lshlrev_b32_e32 v40, 2, v40
	ds_read_b32 v40, v40
	s_waitcnt lgkmcnt(0)
	v_add_nc_u32_e32 v40, v40, v60
	global_store_byte v40, v39, s[48:49]
	s_or_b32 exec_lo, exec_lo, s40
	v_cmp_lt_u32_e32 vcc_lo, v61, v138
	s_and_saveexec_b32 s40, vcc_lo
	s_cbranch_execnz .LBB92_497
	s_branch .LBB92_498
.LBB92_569:                             ;   in Loop: Header=BB92_410 Depth=2
	global_load_dwordx2 v[37:38], v[39:40], off
	s_or_b32 exec_lo, exec_lo, s40
	s_mov_b32 s50, exec_lo
	v_cmpx_lt_u32_e64 v100, v138
	s_cbranch_execz .LBB92_500
.LBB92_570:                             ;   in Loop: Header=BB92_410 Depth=2
	global_load_dwordx2 v[35:36], v[39:40], off offset:256
	s_or_b32 exec_lo, exec_lo, s50
	s_mov_b32 s50, exec_lo
	v_cmpx_lt_u32_e64 v101, v138
	s_cbranch_execz .LBB92_501
.LBB92_571:                             ;   in Loop: Header=BB92_410 Depth=2
	global_load_dwordx2 v[33:34], v[39:40], off offset:512
	s_or_b32 exec_lo, exec_lo, s50
	s_mov_b32 s50, exec_lo
	v_cmpx_lt_u32_e64 v102, v138
	s_cbranch_execz .LBB92_502
.LBB92_572:                             ;   in Loop: Header=BB92_410 Depth=2
	global_load_dwordx2 v[31:32], v[39:40], off offset:768
	s_or_b32 exec_lo, exec_lo, s50
	s_mov_b32 s50, exec_lo
	v_cmpx_lt_u32_e64 v103, v138
	s_cbranch_execz .LBB92_503
.LBB92_573:                             ;   in Loop: Header=BB92_410 Depth=2
	global_load_dwordx2 v[29:30], v[39:40], off offset:1024
	s_or_b32 exec_lo, exec_lo, s50
	s_mov_b32 s50, exec_lo
	v_cmpx_lt_u32_e64 v104, v138
	s_cbranch_execz .LBB92_504
.LBB92_574:                             ;   in Loop: Header=BB92_410 Depth=2
	global_load_dwordx2 v[25:26], v[39:40], off offset:1280
	s_or_b32 exec_lo, exec_lo, s50
	s_mov_b32 s50, exec_lo
	v_cmpx_lt_u32_e64 v105, v138
	s_cbranch_execz .LBB92_505
.LBB92_575:                             ;   in Loop: Header=BB92_410 Depth=2
	global_load_dwordx2 v[21:22], v[39:40], off offset:1536
	s_or_b32 exec_lo, exec_lo, s50
	s_mov_b32 s50, exec_lo
	v_cmpx_lt_u32_e64 v106, v138
	s_cbranch_execz .LBB92_506
.LBB92_576:                             ;   in Loop: Header=BB92_410 Depth=2
	global_load_dwordx2 v[17:18], v[39:40], off offset:1792
	s_or_b32 exec_lo, exec_lo, s50
	s_mov_b32 s50, exec_lo
	v_cmpx_lt_u32_e64 v107, v138
	s_cbranch_execz .LBB92_507
.LBB92_577:                             ;   in Loop: Header=BB92_410 Depth=2
	v_add_co_u32 v27, s40, 0x800, v39
	v_add_co_ci_u32_e64 v28, null, 0, v40, s40
	global_load_dwordx2 v[27:28], v[27:28], off
	s_or_b32 exec_lo, exec_lo, s50
	s_mov_b32 s50, exec_lo
	v_cmpx_lt_u32_e64 v108, v138
	s_cbranch_execz .LBB92_508
.LBB92_578:                             ;   in Loop: Header=BB92_410 Depth=2
	v_add_co_u32 v23, s40, 0x800, v39
	v_add_co_ci_u32_e64 v24, null, 0, v40, s40
	global_load_dwordx2 v[23:24], v[23:24], off offset:256
	s_or_b32 exec_lo, exec_lo, s50
	s_mov_b32 s50, exec_lo
	v_cmpx_lt_u32_e64 v109, v138
	s_cbranch_execz .LBB92_509
.LBB92_579:                             ;   in Loop: Header=BB92_410 Depth=2
	v_add_co_u32 v19, s40, 0x800, v39
	v_add_co_ci_u32_e64 v20, null, 0, v40, s40
	global_load_dwordx2 v[19:20], v[19:20], off offset:512
	s_or_b32 exec_lo, exec_lo, s50
	s_mov_b32 s50, exec_lo
	v_cmpx_lt_u32_e64 v110, v138
	s_cbranch_execz .LBB92_510
.LBB92_580:                             ;   in Loop: Header=BB92_410 Depth=2
	v_add_co_u32 v15, s40, 0x800, v39
	v_add_co_ci_u32_e64 v16, null, 0, v40, s40
	global_load_dwordx2 v[15:16], v[15:16], off offset:768
	s_or_b32 exec_lo, exec_lo, s50
	s_mov_b32 s50, exec_lo
	v_cmpx_lt_u32_e64 v111, v138
	s_cbranch_execz .LBB92_511
.LBB92_581:                             ;   in Loop: Header=BB92_410 Depth=2
	v_add_co_u32 v13, s40, 0x800, v39
	v_add_co_ci_u32_e64 v14, null, 0, v40, s40
	global_load_dwordx2 v[13:14], v[13:14], off offset:1024
	s_or_b32 exec_lo, exec_lo, s50
	s_mov_b32 s50, exec_lo
	v_cmpx_lt_u32_e64 v112, v138
	s_cbranch_execz .LBB92_512
.LBB92_582:                             ;   in Loop: Header=BB92_410 Depth=2
	v_add_co_u32 v11, s40, 0x800, v39
	v_add_co_ci_u32_e64 v12, null, 0, v40, s40
	global_load_dwordx2 v[11:12], v[11:12], off offset:1280
	s_or_b32 exec_lo, exec_lo, s50
	s_mov_b32 s50, exec_lo
	v_cmpx_lt_u32_e64 v113, v138
	s_cbranch_execz .LBB92_513
.LBB92_583:                             ;   in Loop: Header=BB92_410 Depth=2
	v_add_co_u32 v9, s40, 0x800, v39
	v_add_co_ci_u32_e64 v10, null, 0, v40, s40
	global_load_dwordx2 v[9:10], v[9:10], off offset:1536
	s_or_b32 exec_lo, exec_lo, s50
	s_mov_b32 s50, exec_lo
	v_cmpx_lt_u32_e64 v114, v138
	s_cbranch_execz .LBB92_514
.LBB92_584:                             ;   in Loop: Header=BB92_410 Depth=2
	v_add_co_u32 v7, s40, 0x800, v39
	v_add_co_ci_u32_e64 v8, null, 0, v40, s40
	global_load_dwordx2 v[7:8], v[7:8], off offset:1792
	s_or_b32 exec_lo, exec_lo, s50
	s_mov_b32 s50, exec_lo
	v_cmpx_lt_u32_e64 v115, v138
	s_cbranch_execz .LBB92_515
.LBB92_585:                             ;   in Loop: Header=BB92_410 Depth=2
	v_add_co_u32 v5, s40, 0x1000, v39
	v_add_co_ci_u32_e64 v6, null, 0, v40, s40
	global_load_dwordx2 v[5:6], v[5:6], off
	s_or_b32 exec_lo, exec_lo, s50
	s_and_saveexec_b32 s40, s39
	s_cbranch_execz .LBB92_516
.LBB92_586:                             ;   in Loop: Header=BB92_410 Depth=2
	ds_read_u8 v39, v0 offset:512
	s_waitcnt lgkmcnt(0)
	v_lshrrev_b32_e32 v39, s61, v39
	v_and_b32_e32 v134, s62, v39
	s_or_b32 exec_lo, exec_lo, s40
	s_and_saveexec_b32 s40, s38
	s_cbranch_execz .LBB92_517
.LBB92_587:                             ;   in Loop: Header=BB92_410 Depth=2
	ds_read_u8 v39, v0 offset:768
	s_waitcnt lgkmcnt(0)
	v_lshrrev_b32_e32 v39, s61, v39
	v_and_b32_e32 v133, s62, v39
	s_or_b32 exec_lo, exec_lo, s40
	s_and_saveexec_b32 s40, s37
	s_cbranch_execz .LBB92_518
.LBB92_588:                             ;   in Loop: Header=BB92_410 Depth=2
	ds_read_u8 v39, v0 offset:1024
	s_waitcnt lgkmcnt(0)
	v_lshrrev_b32_e32 v39, s61, v39
	v_and_b32_e32 v132, s62, v39
	s_or_b32 exec_lo, exec_lo, s40
	s_and_saveexec_b32 s40, s36
	s_cbranch_execz .LBB92_519
.LBB92_589:                             ;   in Loop: Header=BB92_410 Depth=2
	ds_read_u8 v39, v0 offset:1280
	s_waitcnt lgkmcnt(0)
	v_lshrrev_b32_e32 v39, s61, v39
	v_and_b32_e32 v131, s62, v39
	s_or_b32 exec_lo, exec_lo, s40
	s_and_saveexec_b32 s40, s35
	s_cbranch_execz .LBB92_520
.LBB92_590:                             ;   in Loop: Header=BB92_410 Depth=2
	ds_read_u8 v39, v0 offset:1536
	s_waitcnt lgkmcnt(0)
	v_lshrrev_b32_e32 v39, s61, v39
	v_and_b32_e32 v130, s62, v39
	s_or_b32 exec_lo, exec_lo, s40
	s_and_saveexec_b32 s40, s34
	s_cbranch_execz .LBB92_521
.LBB92_591:                             ;   in Loop: Header=BB92_410 Depth=2
	ds_read_u8 v39, v0 offset:1792
	s_waitcnt lgkmcnt(0)
	v_lshrrev_b32_e32 v39, s61, v39
	v_and_b32_e32 v128, s62, v39
	s_or_b32 exec_lo, exec_lo, s40
	s_and_saveexec_b32 s40, s33
	s_cbranch_execz .LBB92_522
.LBB92_592:                             ;   in Loop: Header=BB92_410 Depth=2
	ds_read_u8 v39, v0 offset:2048
	s_waitcnt lgkmcnt(0)
	v_lshrrev_b32_e32 v39, s61, v39
	v_and_b32_e32 v127, s62, v39
	s_or_b32 exec_lo, exec_lo, s40
	s_and_saveexec_b32 s40, s31
	s_cbranch_execz .LBB92_523
.LBB92_593:                             ;   in Loop: Header=BB92_410 Depth=2
	ds_read_u8 v39, v0 offset:2304
	s_waitcnt lgkmcnt(0)
	v_lshrrev_b32_e32 v39, s61, v39
	v_and_b32_e32 v126, s62, v39
	s_or_b32 exec_lo, exec_lo, s40
	s_and_saveexec_b32 s40, s30
	s_cbranch_execz .LBB92_524
.LBB92_594:                             ;   in Loop: Header=BB92_410 Depth=2
	ds_read_u8 v39, v0 offset:2560
	s_waitcnt lgkmcnt(0)
	v_lshrrev_b32_e32 v39, s61, v39
	v_and_b32_e32 v125, s62, v39
	s_or_b32 exec_lo, exec_lo, s40
	s_and_saveexec_b32 s40, s29
	s_cbranch_execz .LBB92_525
.LBB92_595:                             ;   in Loop: Header=BB92_410 Depth=2
	ds_read_u8 v39, v0 offset:2816
	s_waitcnt lgkmcnt(0)
	v_lshrrev_b32_e32 v39, s61, v39
	v_and_b32_e32 v124, s62, v39
	s_or_b32 exec_lo, exec_lo, s40
	s_and_saveexec_b32 s40, s27
	s_cbranch_execz .LBB92_526
.LBB92_596:                             ;   in Loop: Header=BB92_410 Depth=2
	ds_read_u8 v39, v0 offset:3072
	s_waitcnt lgkmcnt(0)
	v_lshrrev_b32_e32 v39, s61, v39
	v_and_b32_e32 v123, s62, v39
	s_or_b32 exec_lo, exec_lo, s40
	s_and_saveexec_b32 s40, s26
	s_cbranch_execz .LBB92_527
.LBB92_597:                             ;   in Loop: Header=BB92_410 Depth=2
	ds_read_u8 v39, v0 offset:3328
	s_waitcnt lgkmcnt(0)
	v_lshrrev_b32_e32 v39, s61, v39
	v_and_b32_e32 v122, s62, v39
	s_or_b32 exec_lo, exec_lo, s40
	s_and_saveexec_b32 s40, s25
	s_cbranch_execz .LBB92_528
.LBB92_598:                             ;   in Loop: Header=BB92_410 Depth=2
	ds_read_u8 v39, v0 offset:3584
	s_waitcnt lgkmcnt(0)
	v_lshrrev_b32_e32 v39, s61, v39
	v_and_b32_e32 v121, s62, v39
	s_or_b32 exec_lo, exec_lo, s40
	s_and_saveexec_b32 s40, s24
	s_cbranch_execz .LBB92_529
.LBB92_599:                             ;   in Loop: Header=BB92_410 Depth=2
	ds_read_u8 v39, v0 offset:3840
	s_waitcnt lgkmcnt(0)
	v_lshrrev_b32_e32 v39, s61, v39
	v_and_b32_e32 v120, s62, v39
	s_or_b32 exec_lo, exec_lo, s40
	s_and_saveexec_b32 s40, s23
	s_cbranch_execz .LBB92_530
.LBB92_600:                             ;   in Loop: Header=BB92_410 Depth=2
	ds_read_u8 v39, v0 offset:4096
	s_waitcnt lgkmcnt(0)
	v_lshrrev_b32_e32 v39, s61, v39
	v_and_b32_e32 v119, s62, v39
	s_or_b32 exec_lo, exec_lo, s40
	s_and_saveexec_b32 s40, s22
	s_cbranch_execz .LBB92_531
.LBB92_601:                             ;   in Loop: Header=BB92_410 Depth=2
	ds_read_u8 v39, v0 offset:4352
	s_waitcnt lgkmcnt(0)
	v_lshrrev_b32_e32 v39, s61, v39
	v_and_b32_e32 v118, s62, v39
	s_or_b32 exec_lo, exec_lo, s40
	s_and_saveexec_b32 s40, vcc_lo
	s_cbranch_execnz .LBB92_532
	s_branch .LBB92_533
.LBB92_602:                             ;   in Loop: Header=BB92_410 Depth=2
	v_lshlrev_b32_e32 v3, 2, v134
	v_add_nc_u32_e32 v39, v0, v75
	ds_read_b32 v3, v3
	ds_read_b64 v[39:40], v39 offset:512
	s_waitcnt lgkmcnt(1)
	v_add_nc_u32_e32 v3, v3, v0
	v_lshlrev_b64 v[41:42], 3, v[3:4]
	v_add_co_u32 v41, s39, s54, v41
	v_add_co_ci_u32_e64 v42, null, s55, v42, s39
	s_waitcnt lgkmcnt(0)
	global_store_dwordx2 v[41:42], v[39:40], off
	s_or_b32 exec_lo, exec_lo, s40
	s_and_saveexec_b32 s39, s38
	s_cbranch_execz .LBB92_535
.LBB92_603:                             ;   in Loop: Header=BB92_410 Depth=2
	v_lshlrev_b32_e32 v3, 2, v133
	v_add_nc_u32_e32 v39, v0, v75
	ds_read_b32 v3, v3
	ds_read_b64 v[39:40], v39 offset:2560
	s_waitcnt lgkmcnt(1)
	v_add_nc_u32_e32 v3, v3, v44
	v_lshlrev_b64 v[41:42], 3, v[3:4]
	v_add_co_u32 v41, s38, s54, v41
	v_add_co_ci_u32_e64 v42, null, s55, v42, s38
	s_waitcnt lgkmcnt(0)
	global_store_dwordx2 v[41:42], v[39:40], off
	s_or_b32 exec_lo, exec_lo, s39
	s_and_saveexec_b32 s38, s37
	s_cbranch_execz .LBB92_536
.LBB92_604:                             ;   in Loop: Header=BB92_410 Depth=2
	v_lshlrev_b32_e32 v3, 2, v132
	v_add_nc_u32_e32 v39, v0, v75
	ds_read_b32 v3, v3
	ds_read_b64 v[39:40], v39 offset:4608
	s_waitcnt lgkmcnt(1)
	v_add_nc_u32_e32 v3, v3, v47
	v_lshlrev_b64 v[41:42], 3, v[3:4]
	v_add_co_u32 v41, s37, s54, v41
	v_add_co_ci_u32_e64 v42, null, s55, v42, s37
	s_waitcnt lgkmcnt(0)
	global_store_dwordx2 v[41:42], v[39:40], off
	s_or_b32 exec_lo, exec_lo, s38
	s_and_saveexec_b32 s37, s36
	s_cbranch_execz .LBB92_537
.LBB92_605:                             ;   in Loop: Header=BB92_410 Depth=2
	v_lshlrev_b32_e32 v3, 2, v131
	v_add_nc_u32_e32 v39, v0, v75
	ds_read_b32 v3, v3
	ds_read_b64 v[39:40], v39 offset:6656
	s_waitcnt lgkmcnt(1)
	v_add_nc_u32_e32 v3, v3, v48
	v_lshlrev_b64 v[41:42], 3, v[3:4]
	v_add_co_u32 v41, s36, s54, v41
	v_add_co_ci_u32_e64 v42, null, s55, v42, s36
	s_waitcnt lgkmcnt(0)
	global_store_dwordx2 v[41:42], v[39:40], off
	s_or_b32 exec_lo, exec_lo, s37
	s_and_saveexec_b32 s36, s35
	s_cbranch_execz .LBB92_538
.LBB92_606:                             ;   in Loop: Header=BB92_410 Depth=2
	v_lshlrev_b32_e32 v3, 2, v130
	v_add_nc_u32_e32 v39, v0, v75
	ds_read_b32 v3, v3
	ds_read_b64 v[39:40], v39 offset:8704
	s_waitcnt lgkmcnt(1)
	v_add_nc_u32_e32 v3, v3, v49
	v_lshlrev_b64 v[41:42], 3, v[3:4]
	v_add_co_u32 v41, s35, s54, v41
	v_add_co_ci_u32_e64 v42, null, s55, v42, s35
	s_waitcnt lgkmcnt(0)
	global_store_dwordx2 v[41:42], v[39:40], off
	s_or_b32 exec_lo, exec_lo, s36
	s_and_saveexec_b32 s35, s34
	s_cbranch_execz .LBB92_539
.LBB92_607:                             ;   in Loop: Header=BB92_410 Depth=2
	v_lshlrev_b32_e32 v3, 2, v128
	v_add_nc_u32_e32 v39, v0, v75
	ds_read_b32 v3, v3
	ds_read_b64 v[39:40], v39 offset:10752
	s_waitcnt lgkmcnt(1)
	v_add_nc_u32_e32 v3, v3, v50
	v_lshlrev_b64 v[41:42], 3, v[3:4]
	v_add_co_u32 v41, s34, s54, v41
	v_add_co_ci_u32_e64 v42, null, s55, v42, s34
	s_waitcnt lgkmcnt(0)
	global_store_dwordx2 v[41:42], v[39:40], off
	s_or_b32 exec_lo, exec_lo, s35
	s_and_saveexec_b32 s34, s33
	s_cbranch_execz .LBB92_540
.LBB92_608:                             ;   in Loop: Header=BB92_410 Depth=2
	v_lshlrev_b32_e32 v3, 2, v127
	v_add_nc_u32_e32 v39, v0, v75
	ds_read_b32 v3, v3
	ds_read_b64 v[39:40], v39 offset:12800
	s_waitcnt lgkmcnt(1)
	v_add_nc_u32_e32 v3, v3, v51
	v_lshlrev_b64 v[41:42], 3, v[3:4]
	v_add_co_u32 v41, s33, s54, v41
	v_add_co_ci_u32_e64 v42, null, s55, v42, s33
	s_waitcnt lgkmcnt(0)
	global_store_dwordx2 v[41:42], v[39:40], off
	s_or_b32 exec_lo, exec_lo, s34
	s_and_saveexec_b32 s33, s31
	s_cbranch_execz .LBB92_541
.LBB92_609:                             ;   in Loop: Header=BB92_410 Depth=2
	v_lshlrev_b32_e32 v3, 2, v126
	v_add_nc_u32_e32 v39, v0, v75
	ds_read_b32 v3, v3
	ds_read_b64 v[39:40], v39 offset:14848
	s_waitcnt lgkmcnt(1)
	v_add_nc_u32_e32 v3, v3, v52
	v_lshlrev_b64 v[41:42], 3, v[3:4]
	v_add_co_u32 v41, s31, s54, v41
	v_add_co_ci_u32_e64 v42, null, s55, v42, s31
	s_waitcnt lgkmcnt(0)
	global_store_dwordx2 v[41:42], v[39:40], off
	s_or_b32 exec_lo, exec_lo, s33
	s_and_saveexec_b32 s31, s30
	s_cbranch_execz .LBB92_542
.LBB92_610:                             ;   in Loop: Header=BB92_410 Depth=2
	v_lshlrev_b32_e32 v3, 2, v125
	v_add_nc_u32_e32 v39, v0, v75
	ds_read_b32 v3, v3
	ds_read_b64 v[39:40], v39 offset:16896
	s_waitcnt lgkmcnt(1)
	v_add_nc_u32_e32 v3, v3, v53
	v_lshlrev_b64 v[41:42], 3, v[3:4]
	v_add_co_u32 v41, s30, s54, v41
	v_add_co_ci_u32_e64 v42, null, s55, v42, s30
	s_waitcnt lgkmcnt(0)
	global_store_dwordx2 v[41:42], v[39:40], off
	s_or_b32 exec_lo, exec_lo, s31
	s_and_saveexec_b32 s30, s29
	s_cbranch_execz .LBB92_543
.LBB92_611:                             ;   in Loop: Header=BB92_410 Depth=2
	v_lshlrev_b32_e32 v3, 2, v124
	v_add_nc_u32_e32 v39, v0, v75
	ds_read_b32 v3, v3
	ds_read_b64 v[39:40], v39 offset:18944
	s_waitcnt lgkmcnt(1)
	v_add_nc_u32_e32 v3, v3, v54
	v_lshlrev_b64 v[41:42], 3, v[3:4]
	v_add_co_u32 v41, s29, s54, v41
	v_add_co_ci_u32_e64 v42, null, s55, v42, s29
	s_waitcnt lgkmcnt(0)
	global_store_dwordx2 v[41:42], v[39:40], off
	s_or_b32 exec_lo, exec_lo, s30
	s_and_saveexec_b32 s29, s27
	s_cbranch_execz .LBB92_544
.LBB92_612:                             ;   in Loop: Header=BB92_410 Depth=2
	v_lshlrev_b32_e32 v3, 2, v123
	v_add_nc_u32_e32 v39, v0, v75
	ds_read_b32 v3, v3
	ds_read_b64 v[39:40], v39 offset:20992
	s_waitcnt lgkmcnt(1)
	v_add_nc_u32_e32 v3, v3, v55
	v_lshlrev_b64 v[41:42], 3, v[3:4]
	v_add_co_u32 v41, s27, s54, v41
	v_add_co_ci_u32_e64 v42, null, s55, v42, s27
	s_waitcnt lgkmcnt(0)
	global_store_dwordx2 v[41:42], v[39:40], off
	s_or_b32 exec_lo, exec_lo, s29
	s_and_saveexec_b32 s27, s26
	s_cbranch_execz .LBB92_545
.LBB92_613:                             ;   in Loop: Header=BB92_410 Depth=2
	v_lshlrev_b32_e32 v3, 2, v122
	v_add_nc_u32_e32 v39, v0, v75
	ds_read_b32 v3, v3
	ds_read_b64 v[39:40], v39 offset:23040
	s_waitcnt lgkmcnt(1)
	v_add_nc_u32_e32 v3, v3, v56
	v_lshlrev_b64 v[41:42], 3, v[3:4]
	v_add_co_u32 v41, s26, s54, v41
	v_add_co_ci_u32_e64 v42, null, s55, v42, s26
	s_waitcnt lgkmcnt(0)
	global_store_dwordx2 v[41:42], v[39:40], off
	s_or_b32 exec_lo, exec_lo, s27
	s_and_saveexec_b32 s26, s25
	s_cbranch_execz .LBB92_546
.LBB92_614:                             ;   in Loop: Header=BB92_410 Depth=2
	v_lshlrev_b32_e32 v3, 2, v121
	v_add_nc_u32_e32 v39, v0, v75
	ds_read_b32 v3, v3
	ds_read_b64 v[39:40], v39 offset:25088
	s_waitcnt lgkmcnt(1)
	v_add_nc_u32_e32 v3, v3, v57
	v_lshlrev_b64 v[41:42], 3, v[3:4]
	v_add_co_u32 v41, s25, s54, v41
	v_add_co_ci_u32_e64 v42, null, s55, v42, s25
	s_waitcnt lgkmcnt(0)
	global_store_dwordx2 v[41:42], v[39:40], off
	s_or_b32 exec_lo, exec_lo, s26
	s_and_saveexec_b32 s25, s24
	s_cbranch_execz .LBB92_547
.LBB92_615:                             ;   in Loop: Header=BB92_410 Depth=2
	v_lshlrev_b32_e32 v3, 2, v120
	v_add_nc_u32_e32 v39, v0, v75
	ds_read_b32 v3, v3
	ds_read_b64 v[39:40], v39 offset:27136
	s_waitcnt lgkmcnt(1)
	v_add_nc_u32_e32 v3, v3, v58
	v_lshlrev_b64 v[41:42], 3, v[3:4]
	v_add_co_u32 v41, s24, s54, v41
	v_add_co_ci_u32_e64 v42, null, s55, v42, s24
	s_waitcnt lgkmcnt(0)
	global_store_dwordx2 v[41:42], v[39:40], off
	s_or_b32 exec_lo, exec_lo, s25
	s_and_saveexec_b32 s24, s23
	s_cbranch_execz .LBB92_548
.LBB92_616:                             ;   in Loop: Header=BB92_410 Depth=2
	v_lshlrev_b32_e32 v3, 2, v119
	v_add_nc_u32_e32 v39, v0, v75
	ds_read_b32 v3, v3
	ds_read_b64 v[39:40], v39 offset:29184
	s_waitcnt lgkmcnt(1)
	v_add_nc_u32_e32 v3, v3, v59
	v_lshlrev_b64 v[41:42], 3, v[3:4]
	v_add_co_u32 v41, s23, s54, v41
	v_add_co_ci_u32_e64 v42, null, s55, v42, s23
	s_waitcnt lgkmcnt(0)
	global_store_dwordx2 v[41:42], v[39:40], off
	s_or_b32 exec_lo, exec_lo, s24
	s_and_saveexec_b32 s23, s22
	s_cbranch_execz .LBB92_549
.LBB92_617:                             ;   in Loop: Header=BB92_410 Depth=2
	v_lshlrev_b32_e32 v3, 2, v118
	v_add_nc_u32_e32 v39, v0, v75
	ds_read_b32 v3, v3
	ds_read_b64 v[39:40], v39 offset:31232
	s_waitcnt lgkmcnt(1)
	v_add_nc_u32_e32 v3, v3, v60
	v_lshlrev_b64 v[41:42], 3, v[3:4]
	v_add_co_u32 v41, s22, s54, v41
	v_add_co_ci_u32_e64 v42, null, s55, v42, s22
	s_waitcnt lgkmcnt(0)
	global_store_dwordx2 v[41:42], v[39:40], off
	s_or_b32 exec_lo, exec_lo, s23
	s_and_saveexec_b32 s22, vcc_lo
	s_cbranch_execnz .LBB92_550
	s_branch .LBB92_551
.LBB92_618:                             ;   in Loop: Header=BB92_410 Depth=2
	global_load_ubyte v151, v[39:40], off offset:32
	s_or_b32 exec_lo, exec_lo, s22
	s_mov_b32 s22, exec_lo
	v_cmpx_gt_u32_e64 s63, v101
	s_cbranch_execz .LBB92_417
.LBB92_619:                             ;   in Loop: Header=BB92_410 Depth=2
	global_load_ubyte v147, v[39:40], off offset:64
	s_or_b32 exec_lo, exec_lo, s22
	s_mov_b32 s22, exec_lo
	v_cmpx_gt_u32_e64 s63, v102
	s_cbranch_execz .LBB92_418
.LBB92_620:                             ;   in Loop: Header=BB92_410 Depth=2
	global_load_ubyte v148, v[39:40], off offset:96
	s_or_b32 exec_lo, exec_lo, s22
	s_mov_b32 s22, exec_lo
	v_cmpx_gt_u32_e64 s63, v103
	s_cbranch_execz .LBB92_419
.LBB92_621:                             ;   in Loop: Header=BB92_410 Depth=2
	global_load_ubyte v150, v[39:40], off offset:128
	s_or_b32 exec_lo, exec_lo, s22
	s_mov_b32 s22, exec_lo
	v_cmpx_gt_u32_e64 s63, v104
	s_cbranch_execz .LBB92_420
.LBB92_622:                             ;   in Loop: Header=BB92_410 Depth=2
	global_load_ubyte v143, v[39:40], off offset:160
	s_or_b32 exec_lo, exec_lo, s22
	s_mov_b32 s22, exec_lo
	v_cmpx_gt_u32_e64 s63, v105
	s_cbranch_execz .LBB92_421
.LBB92_623:                             ;   in Loop: Header=BB92_410 Depth=2
	global_load_ubyte v144, v[39:40], off offset:192
	s_or_b32 exec_lo, exec_lo, s22
	s_mov_b32 s22, exec_lo
	v_cmpx_gt_u32_e64 s63, v106
	s_cbranch_execz .LBB92_422
.LBB92_624:                             ;   in Loop: Header=BB92_410 Depth=2
	global_load_ubyte v145, v[39:40], off offset:224
	s_or_b32 exec_lo, exec_lo, s22
	s_mov_b32 s22, exec_lo
	v_cmpx_gt_u32_e64 s63, v107
	s_cbranch_execz .LBB92_423
.LBB92_625:                             ;   in Loop: Header=BB92_410 Depth=2
	global_load_ubyte v142, v[39:40], off offset:256
	s_or_b32 exec_lo, exec_lo, s22
	s_mov_b32 s22, exec_lo
	v_cmpx_gt_u32_e64 s63, v108
	s_cbranch_execz .LBB92_424
.LBB92_626:                             ;   in Loop: Header=BB92_410 Depth=2
	global_load_ubyte v139, v[39:40], off offset:288
	s_or_b32 exec_lo, exec_lo, s22
	s_mov_b32 s22, exec_lo
	v_cmpx_gt_u32_e64 s63, v109
	s_cbranch_execz .LBB92_425
.LBB92_627:                             ;   in Loop: Header=BB92_410 Depth=2
	global_load_ubyte v140, v[39:40], off offset:320
	s_or_b32 exec_lo, exec_lo, s22
	s_mov_b32 s22, exec_lo
	v_cmpx_gt_u32_e64 s63, v110
	s_cbranch_execz .LBB92_426
.LBB92_628:                             ;   in Loop: Header=BB92_410 Depth=2
	global_load_ubyte v141, v[39:40], off offset:352
	s_or_b32 exec_lo, exec_lo, s22
	s_mov_b32 s22, exec_lo
	v_cmpx_gt_u32_e64 s63, v111
	s_cbranch_execz .LBB92_427
.LBB92_629:                             ;   in Loop: Header=BB92_410 Depth=2
	global_load_ubyte v137, v[39:40], off offset:384
	s_or_b32 exec_lo, exec_lo, s22
	s_mov_b32 s22, exec_lo
	v_cmpx_gt_u32_e64 s63, v112
	s_cbranch_execz .LBB92_428
.LBB92_630:                             ;   in Loop: Header=BB92_410 Depth=2
	global_load_ubyte v3, v[39:40], off offset:416
	s_or_b32 exec_lo, exec_lo, s22
	s_mov_b32 s22, exec_lo
	v_cmpx_gt_u32_e64 s63, v113
	s_cbranch_execz .LBB92_429
.LBB92_631:                             ;   in Loop: Header=BB92_410 Depth=2
	global_load_ubyte v41, v[39:40], off offset:448
	s_or_b32 exec_lo, exec_lo, s22
	s_mov_b32 s22, exec_lo
	v_cmpx_gt_u32_e64 s63, v114
	s_cbranch_execnz .LBB92_430
	s_branch .LBB92_431
.LBB92_632:                             ;   in Loop: Header=BB92_12 Depth=1
	s_waitcnt lgkmcnt(0)
	s_barrier
.LBB92_633:                             ;   in Loop: Header=BB92_12 Depth=1
	s_mov_b32 s5, 0
.LBB92_634:                             ;   in Loop: Header=BB92_12 Depth=1
	s_andn2_b32 vcc_lo, exec_lo, s5
	s_cbranch_vccnz .LBB92_11
; %bb.635:                              ;   in Loop: Header=BB92_12 Depth=1
	s_and_b32 vcc_lo, exec_lo, s43
	s_mov_b32 s5, -1
	s_cbranch_vccz .LBB92_945
; %bb.636:                              ;   in Loop: Header=BB92_12 Depth=1
	v_mov_b32_e32 v17, 0
	v_mov_b32_e32 v20, 0
	v_mov_b32_e32 v19, 0
	v_mov_b32_e32 v18, 0
	v_mov_b32_e32 v16, 0
	v_mov_b32_e32 v15, 0
	v_mov_b32_e32 v14, 0
	v_mov_b32_e32 v13, 0
	v_mov_b32_e32 v12, 0
	v_mov_b32_e32 v11, 0
	v_mov_b32_e32 v10, 0
	v_mov_b32_e32 v9, 0
	v_mov_b32_e32 v8, 0
	v_mov_b32_e32 v7, 0
	v_mov_b32_e32 v6, 0
	v_mov_b32_e32 v5, 0
	v_mov_b32_e32 v3, 0
	s_mov_b32 s5, s60
	s_mov_b32 s16, s58
	s_barrier
	buffer_gl0_inv
	s_branch .LBB92_638
.LBB92_637:                             ;   in Loop: Header=BB92_638 Depth=2
	s_or_b32 exec_lo, exec_lo, s15
	s_addk_i32 s5, 0xef00
	s_cmp_ge_u32 s14, s59
	s_mov_b32 s16, s14
	s_cbranch_scc1 .LBB92_710
.LBB92_638:                             ;   Parent Loop BB92_12 Depth=1
                                        ; =>  This Inner Loop Header: Depth=2
	s_add_i32 s14, s16, 0x1100
	s_mov_b32 s15, -1
	s_cmp_gt_u32 s14, s59
                                        ; implicit-def: $vgpr21
                                        ; implicit-def: $vgpr22
                                        ; implicit-def: $vgpr23
                                        ; implicit-def: $vgpr24
                                        ; implicit-def: $vgpr25
                                        ; implicit-def: $vgpr26
                                        ; implicit-def: $vgpr27
                                        ; implicit-def: $vgpr28
                                        ; implicit-def: $vgpr29
                                        ; implicit-def: $vgpr30
                                        ; implicit-def: $vgpr31
                                        ; implicit-def: $vgpr32
                                        ; implicit-def: $vgpr33
                                        ; implicit-def: $vgpr34
                                        ; implicit-def: $vgpr35
                                        ; implicit-def: $vgpr36
                                        ; implicit-def: $vgpr37
	s_cbranch_scc1 .LBB92_640
; %bb.639:                              ;   in Loop: Header=BB92_638 Depth=2
	v_add_co_u32 v38, vcc_lo, v82, s16
	v_add_co_ci_u32_e64 v39, null, 0, v83, vcc_lo
	s_mov_b32 s15, 0
	v_add_co_u32 v21, vcc_lo, 0x800, v38
	v_add_co_ci_u32_e64 v22, null, 0, v39, vcc_lo
	v_add_co_u32 v23, vcc_lo, 0x1000, v38
	v_add_co_ci_u32_e64 v24, null, 0, v39, vcc_lo
	s_clause 0x10
	global_load_ubyte v36, v[21:22], off offset:1792
	global_load_ubyte v37, v[23:24], off
	global_load_ubyte v35, v[21:22], off offset:1536
	global_load_ubyte v34, v[21:22], off offset:1280
	;; [unrolled: 1-line block ×6, first 2 shown]
	global_load_ubyte v29, v[21:22], off
	global_load_ubyte v28, v[38:39], off offset:1792
	global_load_ubyte v27, v[38:39], off offset:1536
	;; [unrolled: 1-line block ×7, first 2 shown]
	global_load_ubyte v21, v[38:39], off
.LBB92_640:                             ;   in Loop: Header=BB92_638 Depth=2
	s_andn2_b32 vcc_lo, exec_lo, s15
	s_movk_i32 s15, 0x1100
	s_cbranch_vccnz .LBB92_660
; %bb.641:                              ;   in Loop: Header=BB92_638 Depth=2
	s_add_u32 s15, s44, s16
	s_addc_u32 s16, s45, 0
	s_mov_b32 s17, exec_lo
	v_cmpx_gt_u32_e64 s5, v0
	s_cbranch_execnz .LBB92_694
; %bb.642:                              ;   in Loop: Header=BB92_638 Depth=2
	s_or_b32 exec_lo, exec_lo, s17
	s_mov_b32 s17, exec_lo
	v_cmpx_gt_u32_e64 s5, v44
	s_cbranch_execnz .LBB92_695
.LBB92_643:                             ;   in Loop: Header=BB92_638 Depth=2
	s_or_b32 exec_lo, exec_lo, s17
	s_mov_b32 s17, exec_lo
	v_cmpx_gt_u32_e64 s5, v47
	s_cbranch_execnz .LBB92_696
.LBB92_644:                             ;   in Loop: Header=BB92_638 Depth=2
	s_or_b32 exec_lo, exec_lo, s17
	s_mov_b32 s17, exec_lo
	v_cmpx_gt_u32_e64 s5, v48
	s_cbranch_execnz .LBB92_697
.LBB92_645:                             ;   in Loop: Header=BB92_638 Depth=2
	s_or_b32 exec_lo, exec_lo, s17
	s_mov_b32 s17, exec_lo
	v_cmpx_gt_u32_e64 s5, v49
	s_cbranch_execnz .LBB92_698
.LBB92_646:                             ;   in Loop: Header=BB92_638 Depth=2
	s_or_b32 exec_lo, exec_lo, s17
	s_mov_b32 s17, exec_lo
	v_cmpx_gt_u32_e64 s5, v50
	s_cbranch_execnz .LBB92_699
.LBB92_647:                             ;   in Loop: Header=BB92_638 Depth=2
	s_or_b32 exec_lo, exec_lo, s17
	s_mov_b32 s17, exec_lo
	v_cmpx_gt_u32_e64 s5, v51
	s_cbranch_execnz .LBB92_700
.LBB92_648:                             ;   in Loop: Header=BB92_638 Depth=2
	s_or_b32 exec_lo, exec_lo, s17
	s_mov_b32 s17, exec_lo
	v_cmpx_gt_u32_e64 s5, v52
	s_cbranch_execnz .LBB92_701
.LBB92_649:                             ;   in Loop: Header=BB92_638 Depth=2
	s_or_b32 exec_lo, exec_lo, s17
	s_mov_b32 s17, exec_lo
	v_cmpx_gt_u32_e64 s5, v53
	s_cbranch_execnz .LBB92_702
.LBB92_650:                             ;   in Loop: Header=BB92_638 Depth=2
	s_or_b32 exec_lo, exec_lo, s17
	s_mov_b32 s17, exec_lo
	v_cmpx_gt_u32_e64 s5, v54
	s_cbranch_execnz .LBB92_703
.LBB92_651:                             ;   in Loop: Header=BB92_638 Depth=2
	s_or_b32 exec_lo, exec_lo, s17
	s_mov_b32 s17, exec_lo
	v_cmpx_gt_u32_e64 s5, v55
	s_cbranch_execnz .LBB92_704
.LBB92_652:                             ;   in Loop: Header=BB92_638 Depth=2
	s_or_b32 exec_lo, exec_lo, s17
	s_mov_b32 s17, exec_lo
	v_cmpx_gt_u32_e64 s5, v56
	s_cbranch_execnz .LBB92_705
.LBB92_653:                             ;   in Loop: Header=BB92_638 Depth=2
	s_or_b32 exec_lo, exec_lo, s17
	s_mov_b32 s17, exec_lo
	v_cmpx_gt_u32_e64 s5, v57
	s_cbranch_execnz .LBB92_706
.LBB92_654:                             ;   in Loop: Header=BB92_638 Depth=2
	s_or_b32 exec_lo, exec_lo, s17
	s_mov_b32 s17, exec_lo
	v_cmpx_gt_u32_e64 s5, v58
	s_cbranch_execnz .LBB92_707
.LBB92_655:                             ;   in Loop: Header=BB92_638 Depth=2
	s_or_b32 exec_lo, exec_lo, s17
	s_mov_b32 s17, exec_lo
	v_cmpx_gt_u32_e64 s5, v59
	s_cbranch_execnz .LBB92_708
.LBB92_656:                             ;   in Loop: Header=BB92_638 Depth=2
	s_or_b32 exec_lo, exec_lo, s17
	s_mov_b32 s17, exec_lo
	v_cmpx_gt_u32_e64 s5, v60
	s_cbranch_execnz .LBB92_709
.LBB92_657:                             ;   in Loop: Header=BB92_638 Depth=2
	s_or_b32 exec_lo, exec_lo, s17
	s_mov_b32 s17, exec_lo
	v_cmpx_gt_u32_e64 s5, v61
	s_cbranch_execz .LBB92_659
.LBB92_658:                             ;   in Loop: Header=BB92_638 Depth=2
	s_waitcnt vmcnt(0)
	v_add_co_u32 v21, s15, s15, v61
	v_add_co_ci_u32_e64 v22, null, s16, 0, s15
	global_load_ubyte v3, v[21:22], off
.LBB92_659:                             ;   in Loop: Header=BB92_638 Depth=2
	s_or_b32 exec_lo, exec_lo, s17
	s_waitcnt vmcnt(0)
	v_mov_b32_e32 v21, v17
	v_mov_b32_e32 v22, v20
	;; [unrolled: 1-line block ×17, first 2 shown]
	s_mov_b32 s15, s5
.LBB92_660:                             ;   in Loop: Header=BB92_638 Depth=2
	s_waitcnt vmcnt(15)
	v_mov_b32_e32 v3, v37
	v_mov_b32_e32 v5, v36
	s_waitcnt vmcnt(14)
	v_mov_b32_e32 v6, v35
	s_waitcnt vmcnt(13)
	;; [unrolled: 2-line block ×15, first 2 shown]
	v_mov_b32_e32 v17, v21
	s_mov_b32 s16, exec_lo
	v_cmpx_gt_u32_e64 s15, v0
	s_cbranch_execnz .LBB92_677
; %bb.661:                              ;   in Loop: Header=BB92_638 Depth=2
	s_or_b32 exec_lo, exec_lo, s16
	s_mov_b32 s16, exec_lo
	v_cmpx_gt_u32_e64 s15, v44
	s_cbranch_execnz .LBB92_678
.LBB92_662:                             ;   in Loop: Header=BB92_638 Depth=2
	s_or_b32 exec_lo, exec_lo, s16
	s_mov_b32 s16, exec_lo
	v_cmpx_gt_u32_e64 s15, v47
	s_cbranch_execnz .LBB92_679
.LBB92_663:                             ;   in Loop: Header=BB92_638 Depth=2
	s_or_b32 exec_lo, exec_lo, s16
	s_mov_b32 s16, exec_lo
	v_cmpx_gt_u32_e64 s15, v48
	s_cbranch_execnz .LBB92_680
.LBB92_664:                             ;   in Loop: Header=BB92_638 Depth=2
	s_or_b32 exec_lo, exec_lo, s16
	s_mov_b32 s16, exec_lo
	v_cmpx_gt_u32_e64 s15, v49
	s_cbranch_execnz .LBB92_681
.LBB92_665:                             ;   in Loop: Header=BB92_638 Depth=2
	s_or_b32 exec_lo, exec_lo, s16
	s_mov_b32 s16, exec_lo
	v_cmpx_gt_u32_e64 s15, v50
	s_cbranch_execnz .LBB92_682
.LBB92_666:                             ;   in Loop: Header=BB92_638 Depth=2
	s_or_b32 exec_lo, exec_lo, s16
	s_mov_b32 s16, exec_lo
	v_cmpx_gt_u32_e64 s15, v51
	s_cbranch_execnz .LBB92_683
.LBB92_667:                             ;   in Loop: Header=BB92_638 Depth=2
	s_or_b32 exec_lo, exec_lo, s16
	s_mov_b32 s16, exec_lo
	v_cmpx_gt_u32_e64 s15, v52
	s_cbranch_execnz .LBB92_684
.LBB92_668:                             ;   in Loop: Header=BB92_638 Depth=2
	s_or_b32 exec_lo, exec_lo, s16
	s_mov_b32 s16, exec_lo
	v_cmpx_gt_u32_e64 s15, v53
	s_cbranch_execnz .LBB92_685
.LBB92_669:                             ;   in Loop: Header=BB92_638 Depth=2
	s_or_b32 exec_lo, exec_lo, s16
	s_mov_b32 s16, exec_lo
	v_cmpx_gt_u32_e64 s15, v54
	s_cbranch_execnz .LBB92_686
.LBB92_670:                             ;   in Loop: Header=BB92_638 Depth=2
	s_or_b32 exec_lo, exec_lo, s16
	s_mov_b32 s16, exec_lo
	v_cmpx_gt_u32_e64 s15, v55
	s_cbranch_execnz .LBB92_687
.LBB92_671:                             ;   in Loop: Header=BB92_638 Depth=2
	s_or_b32 exec_lo, exec_lo, s16
	s_mov_b32 s16, exec_lo
	v_cmpx_gt_u32_e64 s15, v56
	s_cbranch_execnz .LBB92_688
.LBB92_672:                             ;   in Loop: Header=BB92_638 Depth=2
	s_or_b32 exec_lo, exec_lo, s16
	s_mov_b32 s16, exec_lo
	v_cmpx_gt_u32_e64 s15, v57
	s_cbranch_execnz .LBB92_689
.LBB92_673:                             ;   in Loop: Header=BB92_638 Depth=2
	s_or_b32 exec_lo, exec_lo, s16
	s_mov_b32 s16, exec_lo
	v_cmpx_gt_u32_e64 s15, v58
	s_cbranch_execnz .LBB92_690
.LBB92_674:                             ;   in Loop: Header=BB92_638 Depth=2
	s_or_b32 exec_lo, exec_lo, s16
	s_mov_b32 s16, exec_lo
	v_cmpx_gt_u32_e64 s15, v59
	s_cbranch_execnz .LBB92_691
.LBB92_675:                             ;   in Loop: Header=BB92_638 Depth=2
	s_or_b32 exec_lo, exec_lo, s16
	s_mov_b32 s16, exec_lo
	v_cmpx_gt_u32_e64 s15, v60
	s_cbranch_execnz .LBB92_692
.LBB92_676:                             ;   in Loop: Header=BB92_638 Depth=2
	s_or_b32 exec_lo, exec_lo, s16
	v_cmp_gt_u32_e32 vcc_lo, s15, v61
	s_and_saveexec_b32 s15, vcc_lo
	s_cbranch_execz .LBB92_637
	s_branch .LBB92_693
.LBB92_677:                             ;   in Loop: Header=BB92_638 Depth=2
	v_xor_b32_e32 v21, -1, v17
	v_lshrrev_b32_sdwa v21, s41, v21 dst_sel:DWORD dst_unused:UNUSED_PAD src0_sel:DWORD src1_sel:BYTE_0
	v_and_b32_e32 v21, s62, v21
	v_lshl_or_b32 v21, v21, 4, v63
	ds_add_u32 v21, v89
	s_or_b32 exec_lo, exec_lo, s16
	s_mov_b32 s16, exec_lo
	v_cmpx_gt_u32_e64 s15, v44
	s_cbranch_execz .LBB92_662
.LBB92_678:                             ;   in Loop: Header=BB92_638 Depth=2
	v_xor_b32_e32 v21, -1, v20
	v_lshrrev_b32_sdwa v21, s41, v21 dst_sel:DWORD dst_unused:UNUSED_PAD src0_sel:DWORD src1_sel:BYTE_0
	v_and_b32_e32 v21, s62, v21
	v_lshl_or_b32 v21, v21, 4, v63
	ds_add_u32 v21, v89
	s_or_b32 exec_lo, exec_lo, s16
	s_mov_b32 s16, exec_lo
	v_cmpx_gt_u32_e64 s15, v47
	s_cbranch_execz .LBB92_663
.LBB92_679:                             ;   in Loop: Header=BB92_638 Depth=2
	v_xor_b32_e32 v21, -1, v19
	v_lshrrev_b32_sdwa v21, s41, v21 dst_sel:DWORD dst_unused:UNUSED_PAD src0_sel:DWORD src1_sel:BYTE_0
	v_and_b32_e32 v21, s62, v21
	v_lshl_or_b32 v21, v21, 4, v63
	ds_add_u32 v21, v89
	s_or_b32 exec_lo, exec_lo, s16
	s_mov_b32 s16, exec_lo
	v_cmpx_gt_u32_e64 s15, v48
	s_cbranch_execz .LBB92_664
.LBB92_680:                             ;   in Loop: Header=BB92_638 Depth=2
	v_xor_b32_e32 v21, -1, v18
	v_lshrrev_b32_sdwa v21, s41, v21 dst_sel:DWORD dst_unused:UNUSED_PAD src0_sel:DWORD src1_sel:BYTE_0
	v_and_b32_e32 v21, s62, v21
	v_lshl_or_b32 v21, v21, 4, v63
	ds_add_u32 v21, v89
	s_or_b32 exec_lo, exec_lo, s16
	s_mov_b32 s16, exec_lo
	v_cmpx_gt_u32_e64 s15, v49
	s_cbranch_execz .LBB92_665
.LBB92_681:                             ;   in Loop: Header=BB92_638 Depth=2
	v_xor_b32_e32 v21, -1, v16
	v_lshrrev_b32_sdwa v21, s41, v21 dst_sel:DWORD dst_unused:UNUSED_PAD src0_sel:DWORD src1_sel:BYTE_0
	v_and_b32_e32 v21, s62, v21
	v_lshl_or_b32 v21, v21, 4, v63
	ds_add_u32 v21, v89
	s_or_b32 exec_lo, exec_lo, s16
	s_mov_b32 s16, exec_lo
	v_cmpx_gt_u32_e64 s15, v50
	s_cbranch_execz .LBB92_666
.LBB92_682:                             ;   in Loop: Header=BB92_638 Depth=2
	v_xor_b32_e32 v21, -1, v15
	v_lshrrev_b32_sdwa v21, s41, v21 dst_sel:DWORD dst_unused:UNUSED_PAD src0_sel:DWORD src1_sel:BYTE_0
	v_and_b32_e32 v21, s62, v21
	v_lshl_or_b32 v21, v21, 4, v63
	ds_add_u32 v21, v89
	s_or_b32 exec_lo, exec_lo, s16
	s_mov_b32 s16, exec_lo
	v_cmpx_gt_u32_e64 s15, v51
	s_cbranch_execz .LBB92_667
.LBB92_683:                             ;   in Loop: Header=BB92_638 Depth=2
	v_xor_b32_e32 v21, -1, v14
	v_lshrrev_b32_sdwa v21, s41, v21 dst_sel:DWORD dst_unused:UNUSED_PAD src0_sel:DWORD src1_sel:BYTE_0
	v_and_b32_e32 v21, s62, v21
	v_lshl_or_b32 v21, v21, 4, v63
	ds_add_u32 v21, v89
	s_or_b32 exec_lo, exec_lo, s16
	s_mov_b32 s16, exec_lo
	v_cmpx_gt_u32_e64 s15, v52
	s_cbranch_execz .LBB92_668
.LBB92_684:                             ;   in Loop: Header=BB92_638 Depth=2
	v_xor_b32_e32 v21, -1, v13
	v_lshrrev_b32_sdwa v21, s41, v21 dst_sel:DWORD dst_unused:UNUSED_PAD src0_sel:DWORD src1_sel:BYTE_0
	v_and_b32_e32 v21, s62, v21
	v_lshl_or_b32 v21, v21, 4, v63
	ds_add_u32 v21, v89
	s_or_b32 exec_lo, exec_lo, s16
	s_mov_b32 s16, exec_lo
	v_cmpx_gt_u32_e64 s15, v53
	s_cbranch_execz .LBB92_669
.LBB92_685:                             ;   in Loop: Header=BB92_638 Depth=2
	v_xor_b32_e32 v21, -1, v12
	v_lshrrev_b32_sdwa v21, s41, v21 dst_sel:DWORD dst_unused:UNUSED_PAD src0_sel:DWORD src1_sel:BYTE_0
	v_and_b32_e32 v21, s62, v21
	v_lshl_or_b32 v21, v21, 4, v63
	ds_add_u32 v21, v89
	s_or_b32 exec_lo, exec_lo, s16
	s_mov_b32 s16, exec_lo
	v_cmpx_gt_u32_e64 s15, v54
	s_cbranch_execz .LBB92_670
.LBB92_686:                             ;   in Loop: Header=BB92_638 Depth=2
	v_xor_b32_e32 v21, -1, v11
	v_lshrrev_b32_sdwa v21, s41, v21 dst_sel:DWORD dst_unused:UNUSED_PAD src0_sel:DWORD src1_sel:BYTE_0
	v_and_b32_e32 v21, s62, v21
	v_lshl_or_b32 v21, v21, 4, v63
	ds_add_u32 v21, v89
	s_or_b32 exec_lo, exec_lo, s16
	s_mov_b32 s16, exec_lo
	v_cmpx_gt_u32_e64 s15, v55
	s_cbranch_execz .LBB92_671
.LBB92_687:                             ;   in Loop: Header=BB92_638 Depth=2
	v_xor_b32_e32 v21, -1, v10
	v_lshrrev_b32_sdwa v21, s41, v21 dst_sel:DWORD dst_unused:UNUSED_PAD src0_sel:DWORD src1_sel:BYTE_0
	v_and_b32_e32 v21, s62, v21
	v_lshl_or_b32 v21, v21, 4, v63
	ds_add_u32 v21, v89
	s_or_b32 exec_lo, exec_lo, s16
	s_mov_b32 s16, exec_lo
	v_cmpx_gt_u32_e64 s15, v56
	s_cbranch_execz .LBB92_672
.LBB92_688:                             ;   in Loop: Header=BB92_638 Depth=2
	v_xor_b32_e32 v21, -1, v9
	v_lshrrev_b32_sdwa v21, s41, v21 dst_sel:DWORD dst_unused:UNUSED_PAD src0_sel:DWORD src1_sel:BYTE_0
	v_and_b32_e32 v21, s62, v21
	v_lshl_or_b32 v21, v21, 4, v63
	ds_add_u32 v21, v89
	s_or_b32 exec_lo, exec_lo, s16
	s_mov_b32 s16, exec_lo
	v_cmpx_gt_u32_e64 s15, v57
	s_cbranch_execz .LBB92_673
.LBB92_689:                             ;   in Loop: Header=BB92_638 Depth=2
	v_xor_b32_e32 v21, -1, v8
	v_lshrrev_b32_sdwa v21, s41, v21 dst_sel:DWORD dst_unused:UNUSED_PAD src0_sel:DWORD src1_sel:BYTE_0
	v_and_b32_e32 v21, s62, v21
	v_lshl_or_b32 v21, v21, 4, v63
	ds_add_u32 v21, v89
	s_or_b32 exec_lo, exec_lo, s16
	s_mov_b32 s16, exec_lo
	v_cmpx_gt_u32_e64 s15, v58
	s_cbranch_execz .LBB92_674
.LBB92_690:                             ;   in Loop: Header=BB92_638 Depth=2
	v_xor_b32_e32 v21, -1, v7
	v_lshrrev_b32_sdwa v21, s41, v21 dst_sel:DWORD dst_unused:UNUSED_PAD src0_sel:DWORD src1_sel:BYTE_0
	v_and_b32_e32 v21, s62, v21
	v_lshl_or_b32 v21, v21, 4, v63
	ds_add_u32 v21, v89
	s_or_b32 exec_lo, exec_lo, s16
	s_mov_b32 s16, exec_lo
	v_cmpx_gt_u32_e64 s15, v59
	s_cbranch_execz .LBB92_675
.LBB92_691:                             ;   in Loop: Header=BB92_638 Depth=2
	v_xor_b32_e32 v21, -1, v6
	v_lshrrev_b32_sdwa v21, s41, v21 dst_sel:DWORD dst_unused:UNUSED_PAD src0_sel:DWORD src1_sel:BYTE_0
	v_and_b32_e32 v21, s62, v21
	v_lshl_or_b32 v21, v21, 4, v63
	ds_add_u32 v21, v89
	s_or_b32 exec_lo, exec_lo, s16
	s_mov_b32 s16, exec_lo
	v_cmpx_gt_u32_e64 s15, v60
	s_cbranch_execz .LBB92_676
.LBB92_692:                             ;   in Loop: Header=BB92_638 Depth=2
	v_xor_b32_e32 v21, -1, v5
	v_lshrrev_b32_sdwa v21, s41, v21 dst_sel:DWORD dst_unused:UNUSED_PAD src0_sel:DWORD src1_sel:BYTE_0
	v_and_b32_e32 v21, s62, v21
	v_lshl_or_b32 v21, v21, 4, v63
	ds_add_u32 v21, v89
	s_or_b32 exec_lo, exec_lo, s16
	v_cmp_gt_u32_e32 vcc_lo, s15, v61
	s_and_saveexec_b32 s15, vcc_lo
	s_cbranch_execz .LBB92_637
.LBB92_693:                             ;   in Loop: Header=BB92_638 Depth=2
	v_xor_b32_e32 v21, -1, v3
	v_lshrrev_b32_sdwa v21, s41, v21 dst_sel:DWORD dst_unused:UNUSED_PAD src0_sel:DWORD src1_sel:BYTE_0
	v_and_b32_e32 v21, s62, v21
	v_lshl_or_b32 v21, v21, 4, v63
	ds_add_u32 v21, v89
	s_branch .LBB92_637
.LBB92_694:                             ;   in Loop: Header=BB92_638 Depth=2
	s_waitcnt vmcnt(0)
	v_add_co_u32 v21, s18, s15, v0
	v_add_co_ci_u32_e64 v22, null, s16, 0, s18
	global_load_ubyte v17, v[21:22], off
	s_or_b32 exec_lo, exec_lo, s17
	s_mov_b32 s17, exec_lo
	v_cmpx_gt_u32_e64 s5, v44
	s_cbranch_execz .LBB92_643
.LBB92_695:                             ;   in Loop: Header=BB92_638 Depth=2
	v_add_co_u32 v20, s18, s15, v0
	s_waitcnt vmcnt(0)
	v_add_co_ci_u32_e64 v21, null, s16, 0, s18
	global_load_ubyte v20, v[20:21], off offset:256
	s_or_b32 exec_lo, exec_lo, s17
	s_mov_b32 s17, exec_lo
	v_cmpx_gt_u32_e64 s5, v47
	s_cbranch_execz .LBB92_644
.LBB92_696:                             ;   in Loop: Header=BB92_638 Depth=2
	s_waitcnt vmcnt(0)
	v_add_co_u32 v21, s18, s15, v0
	v_add_co_ci_u32_e64 v22, null, s16, 0, s18
	global_load_ubyte v19, v[21:22], off offset:512
	s_or_b32 exec_lo, exec_lo, s17
	s_mov_b32 s17, exec_lo
	v_cmpx_gt_u32_e64 s5, v48
	s_cbranch_execz .LBB92_645
.LBB92_697:                             ;   in Loop: Header=BB92_638 Depth=2
	s_waitcnt vmcnt(0)
	v_add_co_u32 v21, s18, s15, v0
	v_add_co_ci_u32_e64 v22, null, s16, 0, s18
	global_load_ubyte v18, v[21:22], off offset:768
	s_or_b32 exec_lo, exec_lo, s17
	s_mov_b32 s17, exec_lo
	v_cmpx_gt_u32_e64 s5, v49
	s_cbranch_execz .LBB92_646
.LBB92_698:                             ;   in Loop: Header=BB92_638 Depth=2
	s_waitcnt vmcnt(0)
	v_add_co_u32 v21, s18, s15, v0
	v_add_co_ci_u32_e64 v22, null, s16, 0, s18
	global_load_ubyte v16, v[21:22], off offset:1024
	s_or_b32 exec_lo, exec_lo, s17
	s_mov_b32 s17, exec_lo
	v_cmpx_gt_u32_e64 s5, v50
	s_cbranch_execz .LBB92_647
.LBB92_699:                             ;   in Loop: Header=BB92_638 Depth=2
	s_waitcnt vmcnt(0)
	v_add_co_u32 v21, s18, s15, v0
	v_add_co_ci_u32_e64 v22, null, s16, 0, s18
	global_load_ubyte v15, v[21:22], off offset:1280
	s_or_b32 exec_lo, exec_lo, s17
	s_mov_b32 s17, exec_lo
	v_cmpx_gt_u32_e64 s5, v51
	s_cbranch_execz .LBB92_648
.LBB92_700:                             ;   in Loop: Header=BB92_638 Depth=2
	s_waitcnt vmcnt(0)
	v_add_co_u32 v21, s18, s15, v0
	v_add_co_ci_u32_e64 v22, null, s16, 0, s18
	global_load_ubyte v14, v[21:22], off offset:1536
	s_or_b32 exec_lo, exec_lo, s17
	s_mov_b32 s17, exec_lo
	v_cmpx_gt_u32_e64 s5, v52
	s_cbranch_execz .LBB92_649
.LBB92_701:                             ;   in Loop: Header=BB92_638 Depth=2
	s_waitcnt vmcnt(0)
	v_add_co_u32 v21, s18, s15, v0
	v_add_co_ci_u32_e64 v22, null, s16, 0, s18
	global_load_ubyte v13, v[21:22], off offset:1792
	s_or_b32 exec_lo, exec_lo, s17
	s_mov_b32 s17, exec_lo
	v_cmpx_gt_u32_e64 s5, v53
	s_cbranch_execz .LBB92_650
.LBB92_702:                             ;   in Loop: Header=BB92_638 Depth=2
	s_waitcnt vmcnt(0)
	v_add_co_u32 v21, s18, s15, v53
	v_add_co_ci_u32_e64 v22, null, s16, 0, s18
	global_load_ubyte v12, v[21:22], off
	s_or_b32 exec_lo, exec_lo, s17
	s_mov_b32 s17, exec_lo
	v_cmpx_gt_u32_e64 s5, v54
	s_cbranch_execz .LBB92_651
.LBB92_703:                             ;   in Loop: Header=BB92_638 Depth=2
	s_waitcnt vmcnt(0)
	v_add_co_u32 v21, s18, s15, v54
	v_add_co_ci_u32_e64 v22, null, s16, 0, s18
	global_load_ubyte v11, v[21:22], off
	s_or_b32 exec_lo, exec_lo, s17
	s_mov_b32 s17, exec_lo
	v_cmpx_gt_u32_e64 s5, v55
	s_cbranch_execz .LBB92_652
.LBB92_704:                             ;   in Loop: Header=BB92_638 Depth=2
	s_waitcnt vmcnt(0)
	v_add_co_u32 v21, s18, s15, v55
	v_add_co_ci_u32_e64 v22, null, s16, 0, s18
	global_load_ubyte v10, v[21:22], off
	s_or_b32 exec_lo, exec_lo, s17
	s_mov_b32 s17, exec_lo
	v_cmpx_gt_u32_e64 s5, v56
	s_cbranch_execz .LBB92_653
.LBB92_705:                             ;   in Loop: Header=BB92_638 Depth=2
	s_waitcnt vmcnt(0)
	v_add_co_u32 v21, s18, s15, v56
	v_add_co_ci_u32_e64 v22, null, s16, 0, s18
	global_load_ubyte v9, v[21:22], off
	s_or_b32 exec_lo, exec_lo, s17
	s_mov_b32 s17, exec_lo
	v_cmpx_gt_u32_e64 s5, v57
	s_cbranch_execz .LBB92_654
.LBB92_706:                             ;   in Loop: Header=BB92_638 Depth=2
	s_waitcnt vmcnt(0)
	v_add_co_u32 v21, s18, s15, v57
	v_add_co_ci_u32_e64 v22, null, s16, 0, s18
	global_load_ubyte v8, v[21:22], off
	s_or_b32 exec_lo, exec_lo, s17
	s_mov_b32 s17, exec_lo
	v_cmpx_gt_u32_e64 s5, v58
	s_cbranch_execz .LBB92_655
.LBB92_707:                             ;   in Loop: Header=BB92_638 Depth=2
	s_waitcnt vmcnt(0)
	v_add_co_u32 v21, s18, s15, v58
	v_add_co_ci_u32_e64 v22, null, s16, 0, s18
	global_load_ubyte v7, v[21:22], off
	s_or_b32 exec_lo, exec_lo, s17
	s_mov_b32 s17, exec_lo
	v_cmpx_gt_u32_e64 s5, v59
	s_cbranch_execz .LBB92_656
.LBB92_708:                             ;   in Loop: Header=BB92_638 Depth=2
	s_waitcnt vmcnt(0)
	v_add_co_u32 v21, s18, s15, v59
	v_add_co_ci_u32_e64 v22, null, s16, 0, s18
	global_load_ubyte v6, v[21:22], off
	s_or_b32 exec_lo, exec_lo, s17
	s_mov_b32 s17, exec_lo
	v_cmpx_gt_u32_e64 s5, v60
	s_cbranch_execz .LBB92_657
.LBB92_709:                             ;   in Loop: Header=BB92_638 Depth=2
	s_waitcnt vmcnt(0)
	v_add_co_u32 v21, s18, s15, v60
	v_add_co_ci_u32_e64 v22, null, s16, 0, s18
	global_load_ubyte v5, v[21:22], off
	s_or_b32 exec_lo, exec_lo, s17
	s_mov_b32 s17, exec_lo
	v_cmpx_gt_u32_e64 s5, v61
	s_cbranch_execnz .LBB92_658
	s_branch .LBB92_659
.LBB92_710:                             ;   in Loop: Header=BB92_12 Depth=1
	v_mov_b32_e32 v3, 0
	s_waitcnt lgkmcnt(0)
	s_barrier
	buffer_gl0_inv
	s_and_saveexec_b32 s5, s7
	s_cbranch_execz .LBB92_712
; %bb.711:                              ;   in Loop: Header=BB92_12 Depth=1
	ds_read2_b64 v[5:8], v64 offset1:1
	s_waitcnt lgkmcnt(0)
	v_add_nc_u32_e32 v3, v6, v5
	v_add3_u32 v3, v3, v7, v8
.LBB92_712:                             ;   in Loop: Header=BB92_12 Depth=1
	s_or_b32 exec_lo, exec_lo, s5
	v_and_b32_e32 v5, 15, v86
	v_mov_b32_dpp v6, v3 row_shr:1 row_mask:0xf bank_mask:0xf
	v_and_b32_e32 v7, 16, v86
	v_cmp_eq_u32_e64 s5, 0, v5
	v_cmp_lt_u32_e64 s14, 1, v5
	v_cmp_lt_u32_e64 s15, 3, v5
	;; [unrolled: 1-line block ×3, first 2 shown]
	v_cmp_eq_u32_e64 s17, 0, v7
	v_cndmask_b32_e64 v6, v6, 0, s5
	v_add_nc_u32_e32 v3, v6, v3
	v_mov_b32_dpp v6, v3 row_shr:2 row_mask:0xf bank_mask:0xf
	v_cndmask_b32_e64 v6, 0, v6, s14
	v_add_nc_u32_e32 v3, v3, v6
	v_mov_b32_dpp v6, v3 row_shr:4 row_mask:0xf bank_mask:0xf
	;; [unrolled: 3-line block ×3, first 2 shown]
	v_cndmask_b32_e64 v5, 0, v6, s16
	v_bfe_i32 v6, v86, 4, 1
	v_add_nc_u32_e32 v3, v3, v5
	ds_swizzle_b32 v5, v3 offset:swizzle(BROADCAST,32,15)
	s_waitcnt lgkmcnt(0)
	v_and_b32_e32 v5, v6, v5
	v_add_nc_u32_e32 v3, v3, v5
	s_and_saveexec_b32 s18, s8
; %bb.713:                              ;   in Loop: Header=BB92_12 Depth=1
	ds_write_b32 v65, v3
; %bb.714:                              ;   in Loop: Header=BB92_12 Depth=1
	s_or_b32 exec_lo, exec_lo, s18
	s_waitcnt lgkmcnt(0)
	s_barrier
	buffer_gl0_inv
	s_and_saveexec_b32 s18, s9
	s_cbranch_execz .LBB92_716
; %bb.715:                              ;   in Loop: Header=BB92_12 Depth=1
	ds_read_b32 v5, v66
	v_and_b32_e32 v6, 3, v86
	v_cmp_ne_u32_e32 vcc_lo, 0, v6
	s_waitcnt lgkmcnt(0)
	v_mov_b32_dpp v7, v5 row_shr:1 row_mask:0xf bank_mask:0xf
	v_cndmask_b32_e32 v7, 0, v7, vcc_lo
	v_cmp_lt_u32_e32 vcc_lo, 1, v6
	v_add_nc_u32_e32 v5, v7, v5
	v_mov_b32_dpp v7, v5 row_shr:2 row_mask:0xf bank_mask:0xf
	v_cndmask_b32_e32 v6, 0, v7, vcc_lo
	v_add_nc_u32_e32 v5, v5, v6
	ds_write_b32 v66, v5
.LBB92_716:                             ;   in Loop: Header=BB92_12 Depth=1
	s_or_b32 exec_lo, exec_lo, s18
	v_mov_b32_e32 v5, 0
	s_waitcnt lgkmcnt(0)
	s_barrier
	buffer_gl0_inv
	s_and_saveexec_b32 s18, s10
; %bb.717:                              ;   in Loop: Header=BB92_12 Depth=1
	ds_read_b32 v5, v67
; %bb.718:                              ;   in Loop: Header=BB92_12 Depth=1
	s_or_b32 exec_lo, exec_lo, s18
	v_sub_co_u32 v6, s18, v86, 1
	s_waitcnt lgkmcnt(0)
	v_add_nc_u32_e32 v3, v5, v3
	s_barrier
	v_cmp_gt_i32_e32 vcc_lo, 0, v6
	buffer_gl0_inv
	v_cndmask_b32_e32 v6, v6, v86, vcc_lo
	v_lshlrev_b32_e32 v94, 2, v6
	ds_bpermute_b32 v3, v94, v3
	s_and_saveexec_b32 s19, s7
	s_cbranch_execz .LBB92_720
; %bb.719:                              ;   in Loop: Header=BB92_12 Depth=1
	s_waitcnt lgkmcnt(0)
	v_cndmask_b32_e64 v3, v3, v5, s18
	v_add_nc_u32_e32 v3, s58, v3
	ds_write_b32 v43, v3
.LBB92_720:                             ;   in Loop: Header=BB92_12 Depth=1
	s_or_b32 exec_lo, exec_lo, s19
	s_load_dwordx2 s[20:21], s[56:57], 0x0
	v_and_b32_e32 v6, 7, v86
	v_lshlrev_b32_e32 v7, 3, v86
	v_or_b32_e32 v95, v86, v68
	v_add_co_u32 v96, vcc_lo, v87, v86
	v_add_co_ci_u32_e64 v97, null, 0, v88, vcc_lo
	v_add_co_u32 v98, vcc_lo, v84, v7
	v_add_co_ci_u32_e64 v99, null, 0, v85, vcc_lo
	v_add_nc_u32_e32 v100, 32, v95
	v_add_nc_u32_e32 v101, 64, v95
	;; [unrolled: 1-line block ×8, first 2 shown]
	s_waitcnt lgkmcnt(0)
	s_cmp_lt_u32 s28, s21
	v_add_nc_u32_e32 v108, 0x120, v95
	s_cselect_b32 s19, 14, 20
	v_add_nc_u32_e32 v109, 0x140, v95
	s_add_u32 s22, s56, s19
	s_addc_u32 s23, s57, 0
	s_cmp_lt_u32 s6, s20
	global_load_ushort v3, v4, s[22:23]
	s_cselect_b32 s19, 12, 18
	v_add_nc_u32_e32 v110, 0x160, v95
	s_add_u32 s20, s56, s19
	s_addc_u32 s21, s57, 0
	v_cmp_eq_u32_e64 s19, 0, v6
	global_load_ushort v5, v4, s[20:21]
	v_cmp_lt_u32_e64 s20, 1, v6
	v_cmp_lt_u32_e64 s21, 3, v6
	v_add_nc_u32_e32 v111, 0x180, v95
	v_add_nc_u32_e32 v112, 0x1a0, v95
	;; [unrolled: 1-line block ×5, first 2 shown]
	v_mov_b32_e32 v129, 0
	s_mov_b32 s63, s60
	s_mov_b32 s50, s58
                                        ; implicit-def: $vgpr7_vgpr8
                                        ; implicit-def: $vgpr9_vgpr10
                                        ; implicit-def: $vgpr11_vgpr12
                                        ; implicit-def: $vgpr13_vgpr14
                                        ; implicit-def: $vgpr15_vgpr16
                                        ; implicit-def: $vgpr19_vgpr20
                                        ; implicit-def: $vgpr23_vgpr24
                                        ; implicit-def: $vgpr27_vgpr28
                                        ; implicit-def: $vgpr17_vgpr18
                                        ; implicit-def: $vgpr21_vgpr22
                                        ; implicit-def: $vgpr25_vgpr26
                                        ; implicit-def: $vgpr29_vgpr30
                                        ; implicit-def: $vgpr31_vgpr32
                                        ; implicit-def: $vgpr33_vgpr34
                                        ; implicit-def: $vgpr35_vgpr36
                                        ; implicit-def: $vgpr37_vgpr38
                                        ; implicit-def: $vgpr117
                                        ; implicit-def: $vgpr118
                                        ; implicit-def: $vgpr119
                                        ; implicit-def: $vgpr120
                                        ; implicit-def: $vgpr121
                                        ; implicit-def: $vgpr122
                                        ; implicit-def: $vgpr123
                                        ; implicit-def: $vgpr124
                                        ; implicit-def: $vgpr125
                                        ; implicit-def: $vgpr126
                                        ; implicit-def: $vgpr127
                                        ; implicit-def: $vgpr128
                                        ; implicit-def: $vgpr130
                                        ; implicit-def: $vgpr131
                                        ; implicit-def: $vgpr132
                                        ; implicit-def: $vgpr133
                                        ; implicit-def: $vgpr134
                                        ; implicit-def: $vgpr135
                                        ; implicit-def: $vgpr136
	s_waitcnt vmcnt(1)
	v_mad_u32_u24 v3, v2, v3, v1
	s_waitcnt vmcnt(0)
	v_mad_u64_u32 v[5:6], null, v3, v5, v[0:1]
	v_lshrrev_b32_e32 v3, 3, v5
                                        ; implicit-def: $vgpr5_vgpr6
	v_and_b32_e32 v116, 0x1ffffffc, v3
	s_branch .LBB92_722
.LBB92_721:                             ;   in Loop: Header=BB92_722 Depth=2
	s_or_b32 exec_lo, exec_lo, s22
	s_addk_i32 s63, 0xef00
	s_cmp_lt_u32 s64, s59
	s_mov_b32 s50, s64
	s_cbranch_scc0 .LBB92_944
.LBB92_722:                             ;   Parent Loop BB92_12 Depth=1
                                        ; =>  This Inner Loop Header: Depth=2
	s_add_i32 s64, s50, 0x1100
	s_cmp_gt_u32 s64, s59
	s_cbranch_scc1 .LBB92_724
; %bb.723:                              ;   in Loop: Header=BB92_722 Depth=2
	v_add_co_u32 v39, vcc_lo, v96, s50
	v_add_co_ci_u32_e64 v40, null, 0, v97, vcc_lo
	s_mov_b32 s22, -1
	s_clause 0xf
	global_load_ubyte v42, v[39:40], off offset:480
	global_load_ubyte v41, v[39:40], off offset:448
	global_load_ubyte v3, v[39:40], off offset:416
	global_load_ubyte v137, v[39:40], off offset:384
	global_load_ubyte v141, v[39:40], off offset:352
	global_load_ubyte v140, v[39:40], off offset:320
	global_load_ubyte v139, v[39:40], off offset:288
	global_load_ubyte v142, v[39:40], off offset:256
	global_load_ubyte v145, v[39:40], off offset:224
	global_load_ubyte v144, v[39:40], off offset:192
	global_load_ubyte v143, v[39:40], off offset:160
	global_load_ubyte v150, v[39:40], off offset:128
	global_load_ubyte v148, v[39:40], off offset:96
	global_load_ubyte v147, v[39:40], off offset:64
	global_load_ubyte v151, v[39:40], off offset:32
	global_load_ubyte v146, v[39:40], off
	s_movk_i32 s23, 0x1100
	s_cbranch_execz .LBB92_725
	s_branch .LBB92_744
.LBB92_724:                             ;   in Loop: Header=BB92_722 Depth=2
	s_mov_b32 s22, 0
                                        ; implicit-def: $vgpr146
                                        ; implicit-def: $vgpr151
                                        ; implicit-def: $vgpr147
                                        ; implicit-def: $vgpr148
                                        ; implicit-def: $vgpr150
                                        ; implicit-def: $vgpr143
                                        ; implicit-def: $vgpr144
                                        ; implicit-def: $vgpr145
                                        ; implicit-def: $vgpr142
                                        ; implicit-def: $vgpr139
                                        ; implicit-def: $vgpr140
                                        ; implicit-def: $vgpr141
                                        ; implicit-def: $vgpr137
                                        ; implicit-def: $vgpr3
                                        ; implicit-def: $vgpr41
                                        ; implicit-def: $vgpr42
                                        ; implicit-def: $vgpr129
	s_movk_i32 s23, 0x1100
.LBB92_725:                             ;   in Loop: Header=BB92_722 Depth=2
	v_add_co_u32 v39, vcc_lo, v96, s50
	v_add_co_ci_u32_e64 v40, null, 0, v97, vcc_lo
	s_waitcnt vmcnt(2)
	v_mov_b32_e32 v147, 0
	s_waitcnt vmcnt(0)
	v_mov_b32_e32 v146, 0
	v_mov_b32_e32 v148, 0
	;; [unrolled: 1-line block ×15, first 2 shown]
	s_mov_b32 s22, exec_lo
	v_cmpx_gt_u32_e64 s63, v95
	s_cbranch_execz .LBB92_727
; %bb.726:                              ;   in Loop: Header=BB92_722 Depth=2
	global_load_ubyte v146, v[39:40], off
	v_mov_b32_e32 v148, 0
	v_mov_b32_e32 v150, 0
	;; [unrolled: 1-line block ×14, first 2 shown]
.LBB92_727:                             ;   in Loop: Header=BB92_722 Depth=2
	s_or_b32 exec_lo, exec_lo, s22
	v_mov_b32_e32 v151, v147
	s_mov_b32 s22, exec_lo
	v_cmpx_gt_u32_e64 s63, v100
	s_cbranch_execnz .LBB92_930
; %bb.728:                              ;   in Loop: Header=BB92_722 Depth=2
	s_or_b32 exec_lo, exec_lo, s22
	s_mov_b32 s22, exec_lo
	v_cmpx_gt_u32_e64 s63, v101
	s_cbranch_execnz .LBB92_931
.LBB92_729:                             ;   in Loop: Header=BB92_722 Depth=2
	s_or_b32 exec_lo, exec_lo, s22
	s_mov_b32 s22, exec_lo
	v_cmpx_gt_u32_e64 s63, v102
	s_cbranch_execnz .LBB92_932
.LBB92_730:                             ;   in Loop: Header=BB92_722 Depth=2
	s_or_b32 exec_lo, exec_lo, s22
	s_mov_b32 s22, exec_lo
	v_cmpx_gt_u32_e64 s63, v103
	s_cbranch_execnz .LBB92_933
.LBB92_731:                             ;   in Loop: Header=BB92_722 Depth=2
	s_or_b32 exec_lo, exec_lo, s22
	s_mov_b32 s22, exec_lo
	v_cmpx_gt_u32_e64 s63, v104
	s_cbranch_execnz .LBB92_934
.LBB92_732:                             ;   in Loop: Header=BB92_722 Depth=2
	s_or_b32 exec_lo, exec_lo, s22
	s_mov_b32 s22, exec_lo
	v_cmpx_gt_u32_e64 s63, v105
	s_cbranch_execnz .LBB92_935
.LBB92_733:                             ;   in Loop: Header=BB92_722 Depth=2
	s_or_b32 exec_lo, exec_lo, s22
	s_mov_b32 s22, exec_lo
	v_cmpx_gt_u32_e64 s63, v106
	s_cbranch_execnz .LBB92_936
.LBB92_734:                             ;   in Loop: Header=BB92_722 Depth=2
	s_or_b32 exec_lo, exec_lo, s22
	s_mov_b32 s22, exec_lo
	v_cmpx_gt_u32_e64 s63, v107
	s_cbranch_execnz .LBB92_937
.LBB92_735:                             ;   in Loop: Header=BB92_722 Depth=2
	s_or_b32 exec_lo, exec_lo, s22
	s_mov_b32 s22, exec_lo
	v_cmpx_gt_u32_e64 s63, v108
	s_cbranch_execnz .LBB92_938
.LBB92_736:                             ;   in Loop: Header=BB92_722 Depth=2
	s_or_b32 exec_lo, exec_lo, s22
	s_mov_b32 s22, exec_lo
	v_cmpx_gt_u32_e64 s63, v109
	s_cbranch_execnz .LBB92_939
.LBB92_737:                             ;   in Loop: Header=BB92_722 Depth=2
	s_or_b32 exec_lo, exec_lo, s22
	s_mov_b32 s22, exec_lo
	v_cmpx_gt_u32_e64 s63, v110
	s_cbranch_execnz .LBB92_940
.LBB92_738:                             ;   in Loop: Header=BB92_722 Depth=2
	s_or_b32 exec_lo, exec_lo, s22
	s_mov_b32 s22, exec_lo
	v_cmpx_gt_u32_e64 s63, v111
	s_cbranch_execnz .LBB92_941
.LBB92_739:                             ;   in Loop: Header=BB92_722 Depth=2
	s_or_b32 exec_lo, exec_lo, s22
	s_mov_b32 s22, exec_lo
	v_cmpx_gt_u32_e64 s63, v112
	s_cbranch_execnz .LBB92_942
.LBB92_740:                             ;   in Loop: Header=BB92_722 Depth=2
	s_or_b32 exec_lo, exec_lo, s22
	s_mov_b32 s22, exec_lo
	v_cmpx_gt_u32_e64 s63, v113
	s_cbranch_execnz .LBB92_943
.LBB92_741:                             ;   in Loop: Header=BB92_722 Depth=2
	s_or_b32 exec_lo, exec_lo, s22
	s_mov_b32 s22, exec_lo
	v_cmpx_gt_u32_e64 s63, v114
	s_cbranch_execz .LBB92_743
.LBB92_742:                             ;   in Loop: Header=BB92_722 Depth=2
	global_load_ubyte v42, v[39:40], off offset:480
.LBB92_743:                             ;   in Loop: Header=BB92_722 Depth=2
	s_or_b32 exec_lo, exec_lo, s22
	v_cmp_gt_u32_e64 s22, s63, v115
	s_sub_i32 s23, s59, s50
.LBB92_744:                             ;   in Loop: Header=BB92_722 Depth=2
	v_mov_b32_e32 v138, s63
	s_and_saveexec_b32 s24, s22
	s_cbranch_execz .LBB92_746
; %bb.745:                              ;   in Loop: Header=BB92_722 Depth=2
	v_add_co_u32 v39, vcc_lo, v96, s50
	v_add_co_ci_u32_e64 v40, null, s51, v97, vcc_lo
	v_mov_b32_e32 v138, s23
	global_load_ubyte v129, v[39:40], off offset:512
.LBB92_746:                             ;   in Loop: Header=BB92_722 Depth=2
	s_or_b32 exec_lo, exec_lo, s24
	s_waitcnt vmcnt(0)
	v_xor_b32_e32 v39, -1, v146
	ds_write2_b32 v69, v4, v4 offset0:136 offset1:137
	ds_write2_b32 v69, v4, v4 offset0:138 offset1:139
	ds_write_b32 v69, v4 offset:560
	s_waitcnt lgkmcnt(0)
	s_barrier
	v_and_b32_sdwa v40, v92, v39 dst_sel:DWORD dst_unused:UNUSED_PAD src0_sel:DWORD src1_sel:BYTE_0
	buffer_gl0_inv
	; wave barrier
	v_lshrrev_b32_e32 v40, s41, v40
	v_and_b32_e32 v149, s62, v40
	v_and_b32_e32 v40, 1, v149
	v_lshlrev_b32_e32 v146, 30, v149
	v_lshlrev_b32_e32 v152, 29, v149
	;; [unrolled: 1-line block ×4, first 2 shown]
	v_add_co_u32 v40, s22, v40, -1
	v_cndmask_b32_e64 v153, 0, 1, s22
	v_not_b32_e32 v157, v146
	v_cmp_gt_i32_e64 s22, 0, v146
	v_not_b32_e32 v146, v152
	v_lshlrev_b32_e32 v156, 26, v149
	v_cmp_ne_u32_e32 vcc_lo, 0, v153
	v_ashrrev_i32_e32 v157, 31, v157
	v_lshlrev_b32_e32 v153, 25, v149
	v_ashrrev_i32_e32 v146, 31, v146
	v_mul_u32_u24_e32 v149, 36, v149
	v_xor_b32_e32 v40, vcc_lo, v40
	v_cmp_gt_i32_e32 vcc_lo, 0, v152
	v_not_b32_e32 v152, v154
	v_xor_b32_e32 v157, s22, v157
	v_cmp_gt_i32_e64 s22, 0, v154
	v_and_b32_e32 v40, exec_lo, v40
	v_not_b32_e32 v154, v155
	v_ashrrev_i32_e32 v152, 31, v152
	v_xor_b32_e32 v146, vcc_lo, v146
	v_cmp_gt_i32_e32 vcc_lo, 0, v155
	v_and_b32_e32 v40, v40, v157
	v_not_b32_e32 v155, v156
	v_ashrrev_i32_e32 v154, 31, v154
	v_xor_b32_e32 v152, s22, v152
	v_cmp_gt_i32_e64 s22, 0, v156
	v_and_b32_e32 v40, v40, v146
	v_not_b32_e32 v146, v153
	v_ashrrev_i32_e32 v155, 31, v155
	v_xor_b32_e32 v154, vcc_lo, v154
	v_cmp_gt_i32_e32 vcc_lo, 0, v153
	v_and_b32_e32 v40, v40, v152
	v_ashrrev_i32_e32 v146, 31, v146
	v_xor_b32_e32 v152, s22, v155
	v_add_nc_u32_e32 v149, v116, v149
	v_and_b32_e32 v40, v40, v154
	v_xor_b32_e32 v146, vcc_lo, v146
	v_and_b32_e32 v40, v40, v152
	v_and_b32_e32 v40, v40, v146
	v_mbcnt_lo_u32_b32 v146, v40, 0
	v_cmp_ne_u32_e64 s22, 0, v40
	v_cmp_eq_u32_e32 vcc_lo, 0, v146
	s_and_b32 s23, s22, vcc_lo
	s_and_saveexec_b32 s22, s23
; %bb.747:                              ;   in Loop: Header=BB92_722 Depth=2
	v_bcnt_u32_b32 v40, v40, 0
	ds_write_b32 v149, v40 offset:544
; %bb.748:                              ;   in Loop: Header=BB92_722 Depth=2
	s_or_b32 exec_lo, exec_lo, s22
	v_xor_b32_sdwa v40, v151, v93 dst_sel:BYTE_1 dst_unused:UNUSED_PAD src0_sel:DWORD src1_sel:DWORD
	v_xor_b32_e32 v151, -1, v147
	v_xor_b32_sdwa v148, v148, v93 dst_sel:BYTE_1 dst_unused:UNUSED_PAD src0_sel:DWORD src1_sel:DWORD
	; wave barrier
	v_or_b32_sdwa v147, v39, v40 dst_sel:DWORD dst_unused:UNUSED_PAD src0_sel:BYTE_0 src1_sel:DWORD
	v_or_b32_sdwa v39, v151, v148 dst_sel:WORD_1 dst_unused:UNUSED_PAD src0_sel:BYTE_0 src1_sel:DWORD
	v_or_b32_sdwa v148, v147, v39 dst_sel:DWORD dst_unused:UNUSED_PAD src0_sel:WORD_0 src1_sel:DWORD
	v_lshrrev_b32_sdwa v39, s41, v148 dst_sel:DWORD dst_unused:UNUSED_PAD src0_sel:DWORD src1_sel:BYTE_1
	v_and_b32_e32 v40, s62, v39
	v_and_b32_e32 v39, 1, v40
	v_lshlrev_b32_e32 v151, 30, v40
	v_lshlrev_b32_e32 v152, 29, v40
	;; [unrolled: 1-line block ×4, first 2 shown]
	v_add_co_u32 v39, s22, v39, -1
	v_cndmask_b32_e64 v153, 0, 1, s22
	v_not_b32_e32 v157, v151
	v_cmp_gt_i32_e64 s22, 0, v151
	v_not_b32_e32 v151, v152
	v_lshlrev_b32_e32 v156, 26, v40
	v_cmp_ne_u32_e32 vcc_lo, 0, v153
	v_ashrrev_i32_e32 v157, 31, v157
	v_lshlrev_b32_e32 v153, 25, v40
	v_ashrrev_i32_e32 v151, 31, v151
	v_xor_b32_e32 v39, vcc_lo, v39
	v_cmp_gt_i32_e32 vcc_lo, 0, v152
	v_not_b32_e32 v152, v154
	v_xor_b32_e32 v157, s22, v157
	v_cmp_gt_i32_e64 s22, 0, v154
	v_and_b32_e32 v39, exec_lo, v39
	v_not_b32_e32 v154, v155
	v_ashrrev_i32_e32 v152, 31, v152
	v_xor_b32_e32 v151, vcc_lo, v151
	v_cmp_gt_i32_e32 vcc_lo, 0, v155
	v_and_b32_e32 v39, v39, v157
	v_not_b32_e32 v155, v156
	v_ashrrev_i32_e32 v154, 31, v154
	v_xor_b32_e32 v152, s22, v152
	v_cmp_gt_i32_e64 s22, 0, v156
	v_and_b32_e32 v39, v39, v151
	v_not_b32_e32 v151, v153
	v_ashrrev_i32_e32 v155, 31, v155
	v_xor_b32_e32 v154, vcc_lo, v154
	v_cmp_gt_i32_e32 vcc_lo, 0, v153
	v_and_b32_e32 v39, v39, v152
	v_ashrrev_i32_e32 v151, 31, v151
	v_xor_b32_e32 v152, s22, v155
	v_mad_u32_u24 v153, v40, 36, v116
	v_mul_u32_u24_e32 v40, 36, v40
	v_and_b32_e32 v39, v39, v154
	v_xor_b32_e32 v154, vcc_lo, v151
	ds_read_b32 v151, v153 offset:544
	v_add_nc_u32_e32 v153, v116, v40
	v_and_b32_e32 v39, v39, v152
	; wave barrier
	v_and_b32_e32 v39, v39, v154
	v_mbcnt_lo_u32_b32 v152, v39, 0
	v_cmp_ne_u32_e64 s22, 0, v39
	v_cmp_eq_u32_e32 vcc_lo, 0, v152
	s_and_b32 s23, s22, vcc_lo
	s_and_saveexec_b32 s22, s23
	s_cbranch_execz .LBB92_750
; %bb.749:                              ;   in Loop: Header=BB92_722 Depth=2
	s_waitcnt lgkmcnt(0)
	v_bcnt_u32_b32 v39, v39, v151
	ds_write_b32 v153, v39 offset:544
.LBB92_750:                             ;   in Loop: Header=BB92_722 Depth=2
	s_or_b32 exec_lo, exec_lo, s22
	v_lshrrev_b32_sdwa v39, s41, v148 dst_sel:DWORD dst_unused:UNUSED_PAD src0_sel:DWORD src1_sel:BYTE_2
	; wave barrier
	v_and_b32_e32 v40, s62, v39
	v_and_b32_e32 v39, 1, v40
	v_lshlrev_b32_e32 v154, 30, v40
	v_lshlrev_b32_e32 v155, 29, v40
	;; [unrolled: 1-line block ×4, first 2 shown]
	v_add_co_u32 v39, s22, v39, -1
	v_cndmask_b32_e64 v156, 0, 1, s22
	v_not_b32_e32 v160, v154
	v_cmp_gt_i32_e64 s22, 0, v154
	v_not_b32_e32 v154, v155
	v_lshlrev_b32_e32 v159, 26, v40
	v_cmp_ne_u32_e32 vcc_lo, 0, v156
	v_ashrrev_i32_e32 v160, 31, v160
	v_lshlrev_b32_e32 v156, 25, v40
	v_ashrrev_i32_e32 v154, 31, v154
	v_xor_b32_e32 v39, vcc_lo, v39
	v_cmp_gt_i32_e32 vcc_lo, 0, v155
	v_not_b32_e32 v155, v157
	v_xor_b32_e32 v160, s22, v160
	v_cmp_gt_i32_e64 s22, 0, v157
	v_and_b32_e32 v39, exec_lo, v39
	v_not_b32_e32 v157, v158
	v_ashrrev_i32_e32 v155, 31, v155
	v_xor_b32_e32 v154, vcc_lo, v154
	v_cmp_gt_i32_e32 vcc_lo, 0, v158
	v_and_b32_e32 v39, v39, v160
	v_not_b32_e32 v158, v159
	v_ashrrev_i32_e32 v157, 31, v157
	v_xor_b32_e32 v155, s22, v155
	v_cmp_gt_i32_e64 s22, 0, v159
	v_and_b32_e32 v39, v39, v154
	v_not_b32_e32 v154, v156
	v_ashrrev_i32_e32 v158, 31, v158
	v_xor_b32_e32 v157, vcc_lo, v157
	v_cmp_gt_i32_e32 vcc_lo, 0, v156
	v_and_b32_e32 v39, v39, v155
	v_ashrrev_i32_e32 v154, 31, v154
	v_xor_b32_e32 v155, s22, v158
	v_mad_u32_u24 v156, v40, 36, v116
	v_mul_u32_u24_e32 v40, 36, v40
	v_and_b32_e32 v39, v39, v157
	v_xor_b32_e32 v157, vcc_lo, v154
	ds_read_b32 v154, v156 offset:544
	v_and_b32_e32 v39, v39, v155
	; wave barrier
	v_and_b32_e32 v39, v39, v157
	v_add_nc_u32_e32 v157, v116, v40
	v_mbcnt_lo_u32_b32 v155, v39, 0
	v_cmp_ne_u32_e64 s22, 0, v39
	v_cmp_eq_u32_e32 vcc_lo, 0, v155
	s_and_b32 s23, s22, vcc_lo
	s_and_saveexec_b32 s22, s23
	s_cbranch_execz .LBB92_752
; %bb.751:                              ;   in Loop: Header=BB92_722 Depth=2
	s_waitcnt lgkmcnt(0)
	v_bcnt_u32_b32 v39, v39, v154
	ds_write_b32 v157, v39 offset:544
.LBB92_752:                             ;   in Loop: Header=BB92_722 Depth=2
	s_or_b32 exec_lo, exec_lo, s22
	v_lshrrev_b32_e32 v156, 24, v148
	; wave barrier
	v_lshrrev_b32_e32 v39, s41, v156
	v_and_b32_e32 v40, s62, v39
	v_and_b32_e32 v39, 1, v40
	v_lshlrev_b32_e32 v158, 30, v40
	v_lshlrev_b32_e32 v159, 29, v40
	;; [unrolled: 1-line block ×4, first 2 shown]
	v_add_co_u32 v39, s22, v39, -1
	v_cndmask_b32_e64 v160, 0, 1, s22
	v_not_b32_e32 v164, v158
	v_cmp_gt_i32_e64 s22, 0, v158
	v_not_b32_e32 v158, v159
	v_lshlrev_b32_e32 v163, 26, v40
	v_cmp_ne_u32_e32 vcc_lo, 0, v160
	v_ashrrev_i32_e32 v164, 31, v164
	v_lshlrev_b32_e32 v160, 25, v40
	v_ashrrev_i32_e32 v158, 31, v158
	v_xor_b32_e32 v39, vcc_lo, v39
	v_cmp_gt_i32_e32 vcc_lo, 0, v159
	v_not_b32_e32 v159, v161
	v_xor_b32_e32 v164, s22, v164
	v_cmp_gt_i32_e64 s22, 0, v161
	v_and_b32_e32 v39, exec_lo, v39
	v_not_b32_e32 v161, v162
	v_ashrrev_i32_e32 v159, 31, v159
	v_xor_b32_e32 v158, vcc_lo, v158
	v_cmp_gt_i32_e32 vcc_lo, 0, v162
	v_and_b32_e32 v39, v39, v164
	v_not_b32_e32 v162, v163
	v_ashrrev_i32_e32 v161, 31, v161
	v_xor_b32_e32 v159, s22, v159
	v_cmp_gt_i32_e64 s22, 0, v163
	v_and_b32_e32 v39, v39, v158
	v_not_b32_e32 v158, v160
	v_ashrrev_i32_e32 v162, 31, v162
	v_xor_b32_e32 v161, vcc_lo, v161
	v_cmp_gt_i32_e32 vcc_lo, 0, v160
	v_and_b32_e32 v39, v39, v159
	v_ashrrev_i32_e32 v158, 31, v158
	v_xor_b32_e32 v159, s22, v162
	v_mad_u32_u24 v160, v40, 36, v116
	v_mul_u32_u24_e32 v40, 36, v40
	v_and_b32_e32 v39, v39, v161
	v_xor_b32_e32 v161, vcc_lo, v158
	ds_read_b32 v158, v160 offset:544
	v_add_nc_u32_e32 v160, v116, v40
	v_and_b32_e32 v39, v39, v159
	; wave barrier
	v_and_b32_e32 v39, v39, v161
	v_mbcnt_lo_u32_b32 v159, v39, 0
	v_cmp_ne_u32_e64 s22, 0, v39
	v_cmp_eq_u32_e32 vcc_lo, 0, v159
	s_and_b32 s23, s22, vcc_lo
	s_and_saveexec_b32 s22, s23
	s_cbranch_execz .LBB92_754
; %bb.753:                              ;   in Loop: Header=BB92_722 Depth=2
	s_waitcnt lgkmcnt(0)
	v_bcnt_u32_b32 v39, v39, v158
	ds_write_b32 v160, v39 offset:544
.LBB92_754:                             ;   in Loop: Header=BB92_722 Depth=2
	s_or_b32 exec_lo, exec_lo, s22
	v_xor_b32_e32 v39, -1, v150
	; wave barrier
	v_and_b32_sdwa v40, v92, v39 dst_sel:DWORD dst_unused:UNUSED_PAD src0_sel:DWORD src1_sel:BYTE_0
	v_lshrrev_b32_e32 v40, s41, v40
	v_and_b32_e32 v162, s62, v40
	v_and_b32_e32 v40, 1, v162
	v_lshlrev_b32_e32 v150, 30, v162
	v_lshlrev_b32_e32 v161, 29, v162
	;; [unrolled: 1-line block ×4, first 2 shown]
	v_add_co_u32 v40, s22, v40, -1
	v_cndmask_b32_e64 v163, 0, 1, s22
	v_not_b32_e32 v167, v150
	v_cmp_gt_i32_e64 s22, 0, v150
	v_not_b32_e32 v150, v161
	v_lshlrev_b32_e32 v166, 26, v162
	v_cmp_ne_u32_e32 vcc_lo, 0, v163
	v_ashrrev_i32_e32 v167, 31, v167
	v_lshlrev_b32_e32 v163, 25, v162
	v_ashrrev_i32_e32 v150, 31, v150
	v_xor_b32_e32 v40, vcc_lo, v40
	v_cmp_gt_i32_e32 vcc_lo, 0, v161
	v_not_b32_e32 v161, v164
	v_xor_b32_e32 v167, s22, v167
	v_cmp_gt_i32_e64 s22, 0, v164
	v_and_b32_e32 v40, exec_lo, v40
	v_not_b32_e32 v164, v165
	v_ashrrev_i32_e32 v161, 31, v161
	v_xor_b32_e32 v150, vcc_lo, v150
	v_cmp_gt_i32_e32 vcc_lo, 0, v165
	v_and_b32_e32 v40, v40, v167
	v_not_b32_e32 v165, v166
	v_ashrrev_i32_e32 v164, 31, v164
	v_xor_b32_e32 v161, s22, v161
	v_cmp_gt_i32_e64 s22, 0, v166
	v_and_b32_e32 v40, v40, v150
	v_not_b32_e32 v150, v163
	v_ashrrev_i32_e32 v165, 31, v165
	v_xor_b32_e32 v164, vcc_lo, v164
	v_cmp_gt_i32_e32 vcc_lo, 0, v163
	v_and_b32_e32 v40, v40, v161
	v_ashrrev_i32_e32 v150, 31, v150
	v_xor_b32_e32 v161, s22, v165
	v_mad_u32_u24 v163, v162, 36, v116
	v_mul_u32_u24_e32 v162, 36, v162
	v_and_b32_e32 v40, v40, v164
	v_xor_b32_e32 v164, vcc_lo, v150
	ds_read_b32 v150, v163 offset:544
	v_add_nc_u32_e32 v162, v116, v162
	v_and_b32_e32 v40, v40, v161
	; wave barrier
	v_and_b32_e32 v40, v40, v164
	v_mbcnt_lo_u32_b32 v161, v40, 0
	v_cmp_ne_u32_e64 s22, 0, v40
	v_cmp_eq_u32_e32 vcc_lo, 0, v161
	s_and_b32 s23, s22, vcc_lo
	s_and_saveexec_b32 s22, s23
	s_cbranch_execz .LBB92_756
; %bb.755:                              ;   in Loop: Header=BB92_722 Depth=2
	s_waitcnt lgkmcnt(0)
	v_bcnt_u32_b32 v40, v40, v150
	ds_write_b32 v162, v40 offset:544
.LBB92_756:                             ;   in Loop: Header=BB92_722 Depth=2
	s_or_b32 exec_lo, exec_lo, s22
	v_xor_b32_sdwa v40, v143, v93 dst_sel:BYTE_1 dst_unused:UNUSED_PAD src0_sel:DWORD src1_sel:DWORD
	v_xor_b32_e32 v144, -1, v144
	v_xor_b32_sdwa v145, v145, v93 dst_sel:BYTE_1 dst_unused:UNUSED_PAD src0_sel:DWORD src1_sel:DWORD
	; wave barrier
	v_or_b32_sdwa v143, v39, v40 dst_sel:DWORD dst_unused:UNUSED_PAD src0_sel:BYTE_0 src1_sel:DWORD
	v_or_b32_sdwa v39, v144, v145 dst_sel:WORD_1 dst_unused:UNUSED_PAD src0_sel:BYTE_0 src1_sel:DWORD
	v_or_b32_sdwa v144, v143, v39 dst_sel:DWORD dst_unused:UNUSED_PAD src0_sel:WORD_0 src1_sel:DWORD
	v_lshrrev_b32_sdwa v39, s41, v144 dst_sel:DWORD dst_unused:UNUSED_PAD src0_sel:DWORD src1_sel:BYTE_1
	v_and_b32_e32 v40, s62, v39
	v_and_b32_e32 v39, 1, v40
	v_lshlrev_b32_e32 v145, 30, v40
	v_lshlrev_b32_e32 v163, 29, v40
	;; [unrolled: 1-line block ×4, first 2 shown]
	v_add_co_u32 v39, s22, v39, -1
	v_cndmask_b32_e64 v164, 0, 1, s22
	v_not_b32_e32 v168, v145
	v_cmp_gt_i32_e64 s22, 0, v145
	v_not_b32_e32 v145, v163
	v_lshlrev_b32_e32 v167, 26, v40
	v_cmp_ne_u32_e32 vcc_lo, 0, v164
	v_ashrrev_i32_e32 v168, 31, v168
	v_lshlrev_b32_e32 v164, 25, v40
	v_ashrrev_i32_e32 v145, 31, v145
	v_xor_b32_e32 v39, vcc_lo, v39
	v_cmp_gt_i32_e32 vcc_lo, 0, v163
	v_not_b32_e32 v163, v165
	v_xor_b32_e32 v168, s22, v168
	v_cmp_gt_i32_e64 s22, 0, v165
	v_and_b32_e32 v39, exec_lo, v39
	v_not_b32_e32 v165, v166
	v_ashrrev_i32_e32 v163, 31, v163
	v_xor_b32_e32 v145, vcc_lo, v145
	v_cmp_gt_i32_e32 vcc_lo, 0, v166
	v_and_b32_e32 v39, v39, v168
	v_not_b32_e32 v166, v167
	v_ashrrev_i32_e32 v165, 31, v165
	v_xor_b32_e32 v163, s22, v163
	v_cmp_gt_i32_e64 s22, 0, v167
	v_and_b32_e32 v39, v39, v145
	v_not_b32_e32 v145, v164
	v_ashrrev_i32_e32 v166, 31, v166
	v_xor_b32_e32 v165, vcc_lo, v165
	v_cmp_gt_i32_e32 vcc_lo, 0, v164
	v_and_b32_e32 v39, v39, v163
	v_ashrrev_i32_e32 v145, 31, v145
	v_xor_b32_e32 v163, s22, v166
	v_mad_u32_u24 v164, v40, 36, v116
	v_mul_u32_u24_e32 v40, 36, v40
	v_and_b32_e32 v39, v39, v165
	v_xor_b32_e32 v165, vcc_lo, v145
	ds_read_b32 v145, v164 offset:544
	v_add_nc_u32_e32 v164, v116, v40
	v_and_b32_e32 v39, v39, v163
	; wave barrier
	v_and_b32_e32 v39, v39, v165
	v_mbcnt_lo_u32_b32 v163, v39, 0
	v_cmp_ne_u32_e64 s22, 0, v39
	v_cmp_eq_u32_e32 vcc_lo, 0, v163
	s_and_b32 s23, s22, vcc_lo
	s_and_saveexec_b32 s22, s23
	s_cbranch_execz .LBB92_758
; %bb.757:                              ;   in Loop: Header=BB92_722 Depth=2
	s_waitcnt lgkmcnt(0)
	v_bcnt_u32_b32 v39, v39, v145
	ds_write_b32 v164, v39 offset:544
.LBB92_758:                             ;   in Loop: Header=BB92_722 Depth=2
	s_or_b32 exec_lo, exec_lo, s22
	v_lshrrev_b32_sdwa v39, s41, v144 dst_sel:DWORD dst_unused:UNUSED_PAD src0_sel:DWORD src1_sel:BYTE_2
	; wave barrier
	v_and_b32_e32 v40, s62, v39
	v_and_b32_e32 v39, 1, v40
	v_lshlrev_b32_e32 v165, 30, v40
	v_lshlrev_b32_e32 v166, 29, v40
	;; [unrolled: 1-line block ×4, first 2 shown]
	v_add_co_u32 v39, s22, v39, -1
	v_cndmask_b32_e64 v167, 0, 1, s22
	v_not_b32_e32 v171, v165
	v_cmp_gt_i32_e64 s22, 0, v165
	v_not_b32_e32 v165, v166
	v_lshlrev_b32_e32 v170, 26, v40
	v_cmp_ne_u32_e32 vcc_lo, 0, v167
	v_ashrrev_i32_e32 v171, 31, v171
	v_lshlrev_b32_e32 v167, 25, v40
	v_ashrrev_i32_e32 v165, 31, v165
	v_xor_b32_e32 v39, vcc_lo, v39
	v_cmp_gt_i32_e32 vcc_lo, 0, v166
	v_not_b32_e32 v166, v168
	v_xor_b32_e32 v171, s22, v171
	v_cmp_gt_i32_e64 s22, 0, v168
	v_and_b32_e32 v39, exec_lo, v39
	v_not_b32_e32 v168, v169
	v_ashrrev_i32_e32 v166, 31, v166
	v_xor_b32_e32 v165, vcc_lo, v165
	v_cmp_gt_i32_e32 vcc_lo, 0, v169
	v_and_b32_e32 v39, v39, v171
	v_not_b32_e32 v169, v170
	v_ashrrev_i32_e32 v168, 31, v168
	v_xor_b32_e32 v166, s22, v166
	v_cmp_gt_i32_e64 s22, 0, v170
	v_and_b32_e32 v39, v39, v165
	v_not_b32_e32 v165, v167
	v_ashrrev_i32_e32 v169, 31, v169
	v_xor_b32_e32 v168, vcc_lo, v168
	v_cmp_gt_i32_e32 vcc_lo, 0, v167
	v_and_b32_e32 v39, v39, v166
	v_ashrrev_i32_e32 v165, 31, v165
	v_xor_b32_e32 v166, s22, v169
	v_mad_u32_u24 v167, v40, 36, v116
	v_mul_u32_u24_e32 v40, 36, v40
	v_and_b32_e32 v39, v39, v168
	v_xor_b32_e32 v168, vcc_lo, v165
	ds_read_b32 v165, v167 offset:544
	v_and_b32_e32 v39, v39, v166
	; wave barrier
	v_and_b32_e32 v39, v39, v168
	v_add_nc_u32_e32 v168, v116, v40
	v_mbcnt_lo_u32_b32 v166, v39, 0
	v_cmp_ne_u32_e64 s22, 0, v39
	v_cmp_eq_u32_e32 vcc_lo, 0, v166
	s_and_b32 s23, s22, vcc_lo
	s_and_saveexec_b32 s22, s23
	s_cbranch_execz .LBB92_760
; %bb.759:                              ;   in Loop: Header=BB92_722 Depth=2
	s_waitcnt lgkmcnt(0)
	v_bcnt_u32_b32 v39, v39, v165
	ds_write_b32 v168, v39 offset:544
.LBB92_760:                             ;   in Loop: Header=BB92_722 Depth=2
	s_or_b32 exec_lo, exec_lo, s22
	v_lshrrev_b32_e32 v167, 24, v144
	; wave barrier
	v_lshrrev_b32_e32 v39, s41, v167
	v_and_b32_e32 v40, s62, v39
	v_and_b32_e32 v39, 1, v40
	v_lshlrev_b32_e32 v169, 30, v40
	v_lshlrev_b32_e32 v170, 29, v40
	;; [unrolled: 1-line block ×4, first 2 shown]
	v_add_co_u32 v39, s22, v39, -1
	v_cndmask_b32_e64 v171, 0, 1, s22
	v_not_b32_e32 v175, v169
	v_cmp_gt_i32_e64 s22, 0, v169
	v_not_b32_e32 v169, v170
	v_lshlrev_b32_e32 v174, 26, v40
	v_cmp_ne_u32_e32 vcc_lo, 0, v171
	v_ashrrev_i32_e32 v175, 31, v175
	v_lshlrev_b32_e32 v171, 25, v40
	v_ashrrev_i32_e32 v169, 31, v169
	v_xor_b32_e32 v39, vcc_lo, v39
	v_cmp_gt_i32_e32 vcc_lo, 0, v170
	v_not_b32_e32 v170, v172
	v_xor_b32_e32 v175, s22, v175
	v_cmp_gt_i32_e64 s22, 0, v172
	v_and_b32_e32 v39, exec_lo, v39
	v_not_b32_e32 v172, v173
	v_ashrrev_i32_e32 v170, 31, v170
	v_xor_b32_e32 v169, vcc_lo, v169
	v_cmp_gt_i32_e32 vcc_lo, 0, v173
	v_and_b32_e32 v39, v39, v175
	v_not_b32_e32 v173, v174
	v_ashrrev_i32_e32 v172, 31, v172
	v_xor_b32_e32 v170, s22, v170
	v_cmp_gt_i32_e64 s22, 0, v174
	v_and_b32_e32 v39, v39, v169
	v_not_b32_e32 v169, v171
	v_ashrrev_i32_e32 v173, 31, v173
	v_xor_b32_e32 v172, vcc_lo, v172
	v_cmp_gt_i32_e32 vcc_lo, 0, v171
	v_and_b32_e32 v39, v39, v170
	v_ashrrev_i32_e32 v169, 31, v169
	v_xor_b32_e32 v170, s22, v173
	v_mad_u32_u24 v171, v40, 36, v116
	v_mul_u32_u24_e32 v40, 36, v40
	v_and_b32_e32 v39, v39, v172
	v_xor_b32_e32 v172, vcc_lo, v169
	ds_read_b32 v169, v171 offset:544
	v_add_nc_u32_e32 v171, v116, v40
	v_and_b32_e32 v39, v39, v170
	; wave barrier
	v_and_b32_e32 v39, v39, v172
	v_mbcnt_lo_u32_b32 v170, v39, 0
	v_cmp_ne_u32_e64 s22, 0, v39
	v_cmp_eq_u32_e32 vcc_lo, 0, v170
	s_and_b32 s23, s22, vcc_lo
	s_and_saveexec_b32 s22, s23
	s_cbranch_execz .LBB92_762
; %bb.761:                              ;   in Loop: Header=BB92_722 Depth=2
	s_waitcnt lgkmcnt(0)
	v_bcnt_u32_b32 v39, v39, v169
	ds_write_b32 v171, v39 offset:544
.LBB92_762:                             ;   in Loop: Header=BB92_722 Depth=2
	s_or_b32 exec_lo, exec_lo, s22
	v_xor_b32_e32 v39, -1, v142
	; wave barrier
	v_and_b32_sdwa v40, v92, v39 dst_sel:DWORD dst_unused:UNUSED_PAD src0_sel:DWORD src1_sel:BYTE_0
	v_lshrrev_b32_e32 v40, s41, v40
	v_and_b32_e32 v173, s62, v40
	v_and_b32_e32 v40, 1, v173
	v_lshlrev_b32_e32 v142, 30, v173
	v_lshlrev_b32_e32 v172, 29, v173
	v_lshlrev_b32_e32 v175, 28, v173
	v_lshlrev_b32_e32 v176, 27, v173
	v_add_co_u32 v40, s22, v40, -1
	v_cndmask_b32_e64 v174, 0, 1, s22
	v_not_b32_e32 v178, v142
	v_cmp_gt_i32_e64 s22, 0, v142
	v_not_b32_e32 v142, v172
	v_lshlrev_b32_e32 v177, 26, v173
	v_cmp_ne_u32_e32 vcc_lo, 0, v174
	v_ashrrev_i32_e32 v178, 31, v178
	v_lshlrev_b32_e32 v174, 25, v173
	v_ashrrev_i32_e32 v142, 31, v142
	v_xor_b32_e32 v40, vcc_lo, v40
	v_cmp_gt_i32_e32 vcc_lo, 0, v172
	v_not_b32_e32 v172, v175
	v_xor_b32_e32 v178, s22, v178
	v_cmp_gt_i32_e64 s22, 0, v175
	v_and_b32_e32 v40, exec_lo, v40
	v_not_b32_e32 v175, v176
	v_ashrrev_i32_e32 v172, 31, v172
	v_xor_b32_e32 v142, vcc_lo, v142
	v_cmp_gt_i32_e32 vcc_lo, 0, v176
	v_and_b32_e32 v40, v40, v178
	v_not_b32_e32 v176, v177
	v_ashrrev_i32_e32 v175, 31, v175
	v_xor_b32_e32 v172, s22, v172
	v_cmp_gt_i32_e64 s22, 0, v177
	v_and_b32_e32 v40, v40, v142
	v_not_b32_e32 v142, v174
	v_ashrrev_i32_e32 v176, 31, v176
	v_xor_b32_e32 v175, vcc_lo, v175
	v_cmp_gt_i32_e32 vcc_lo, 0, v174
	v_and_b32_e32 v40, v40, v172
	v_ashrrev_i32_e32 v142, 31, v142
	v_xor_b32_e32 v172, s22, v176
	v_mad_u32_u24 v174, v173, 36, v116
	v_mul_u32_u24_e32 v173, 36, v173
	v_and_b32_e32 v40, v40, v175
	v_xor_b32_e32 v175, vcc_lo, v142
	ds_read_b32 v142, v174 offset:544
	v_add_nc_u32_e32 v173, v116, v173
	v_and_b32_e32 v40, v40, v172
	; wave barrier
	v_and_b32_e32 v40, v40, v175
	v_mbcnt_lo_u32_b32 v172, v40, 0
	v_cmp_ne_u32_e64 s22, 0, v40
	v_cmp_eq_u32_e32 vcc_lo, 0, v172
	s_and_b32 s23, s22, vcc_lo
	s_and_saveexec_b32 s22, s23
	s_cbranch_execz .LBB92_764
; %bb.763:                              ;   in Loop: Header=BB92_722 Depth=2
	s_waitcnt lgkmcnt(0)
	v_bcnt_u32_b32 v40, v40, v142
	ds_write_b32 v173, v40 offset:544
.LBB92_764:                             ;   in Loop: Header=BB92_722 Depth=2
	s_or_b32 exec_lo, exec_lo, s22
	v_xor_b32_sdwa v40, v139, v93 dst_sel:BYTE_1 dst_unused:UNUSED_PAD src0_sel:DWORD src1_sel:DWORD
	v_xor_b32_e32 v140, -1, v140
	v_xor_b32_sdwa v141, v141, v93 dst_sel:BYTE_1 dst_unused:UNUSED_PAD src0_sel:DWORD src1_sel:DWORD
	; wave barrier
	v_or_b32_sdwa v139, v39, v40 dst_sel:DWORD dst_unused:UNUSED_PAD src0_sel:BYTE_0 src1_sel:DWORD
	v_or_b32_sdwa v39, v140, v141 dst_sel:WORD_1 dst_unused:UNUSED_PAD src0_sel:BYTE_0 src1_sel:DWORD
	v_or_b32_sdwa v140, v139, v39 dst_sel:DWORD dst_unused:UNUSED_PAD src0_sel:WORD_0 src1_sel:DWORD
	v_lshrrev_b32_sdwa v39, s41, v140 dst_sel:DWORD dst_unused:UNUSED_PAD src0_sel:DWORD src1_sel:BYTE_1
	v_and_b32_e32 v40, s62, v39
	v_and_b32_e32 v39, 1, v40
	v_lshlrev_b32_e32 v141, 30, v40
	v_lshlrev_b32_e32 v174, 29, v40
	;; [unrolled: 1-line block ×4, first 2 shown]
	v_add_co_u32 v39, s22, v39, -1
	v_cndmask_b32_e64 v175, 0, 1, s22
	v_not_b32_e32 v179, v141
	v_cmp_gt_i32_e64 s22, 0, v141
	v_not_b32_e32 v141, v174
	v_lshlrev_b32_e32 v178, 26, v40
	v_cmp_ne_u32_e32 vcc_lo, 0, v175
	v_ashrrev_i32_e32 v179, 31, v179
	v_lshlrev_b32_e32 v175, 25, v40
	v_ashrrev_i32_e32 v141, 31, v141
	v_xor_b32_e32 v39, vcc_lo, v39
	v_cmp_gt_i32_e32 vcc_lo, 0, v174
	v_not_b32_e32 v174, v176
	v_xor_b32_e32 v179, s22, v179
	v_cmp_gt_i32_e64 s22, 0, v176
	v_and_b32_e32 v39, exec_lo, v39
	v_not_b32_e32 v176, v177
	v_ashrrev_i32_e32 v174, 31, v174
	v_xor_b32_e32 v141, vcc_lo, v141
	v_cmp_gt_i32_e32 vcc_lo, 0, v177
	v_and_b32_e32 v39, v39, v179
	v_not_b32_e32 v177, v178
	v_ashrrev_i32_e32 v176, 31, v176
	v_xor_b32_e32 v174, s22, v174
	v_cmp_gt_i32_e64 s22, 0, v178
	v_and_b32_e32 v39, v39, v141
	v_not_b32_e32 v141, v175
	v_ashrrev_i32_e32 v177, 31, v177
	v_xor_b32_e32 v176, vcc_lo, v176
	v_cmp_gt_i32_e32 vcc_lo, 0, v175
	v_and_b32_e32 v39, v39, v174
	v_ashrrev_i32_e32 v141, 31, v141
	v_xor_b32_e32 v174, s22, v177
	v_mad_u32_u24 v175, v40, 36, v116
	v_mul_u32_u24_e32 v40, 36, v40
	v_and_b32_e32 v39, v39, v176
	v_xor_b32_e32 v176, vcc_lo, v141
	ds_read_b32 v141, v175 offset:544
	v_add_nc_u32_e32 v175, v116, v40
	v_and_b32_e32 v39, v39, v174
	; wave barrier
	v_and_b32_e32 v39, v39, v176
	v_mbcnt_lo_u32_b32 v174, v39, 0
	v_cmp_ne_u32_e64 s22, 0, v39
	v_cmp_eq_u32_e32 vcc_lo, 0, v174
	s_and_b32 s23, s22, vcc_lo
	s_and_saveexec_b32 s22, s23
	s_cbranch_execz .LBB92_766
; %bb.765:                              ;   in Loop: Header=BB92_722 Depth=2
	s_waitcnt lgkmcnt(0)
	v_bcnt_u32_b32 v39, v39, v141
	ds_write_b32 v175, v39 offset:544
.LBB92_766:                             ;   in Loop: Header=BB92_722 Depth=2
	s_or_b32 exec_lo, exec_lo, s22
	v_lshrrev_b32_sdwa v39, s41, v140 dst_sel:DWORD dst_unused:UNUSED_PAD src0_sel:DWORD src1_sel:BYTE_2
	; wave barrier
	v_and_b32_e32 v40, s62, v39
	v_and_b32_e32 v39, 1, v40
	v_lshlrev_b32_e32 v176, 30, v40
	v_lshlrev_b32_e32 v177, 29, v40
	;; [unrolled: 1-line block ×4, first 2 shown]
	v_add_co_u32 v39, s22, v39, -1
	v_cndmask_b32_e64 v178, 0, 1, s22
	v_not_b32_e32 v182, v176
	v_cmp_gt_i32_e64 s22, 0, v176
	v_not_b32_e32 v176, v177
	v_lshlrev_b32_e32 v181, 26, v40
	v_cmp_ne_u32_e32 vcc_lo, 0, v178
	v_ashrrev_i32_e32 v182, 31, v182
	v_lshlrev_b32_e32 v178, 25, v40
	v_ashrrev_i32_e32 v176, 31, v176
	v_xor_b32_e32 v39, vcc_lo, v39
	v_cmp_gt_i32_e32 vcc_lo, 0, v177
	v_not_b32_e32 v177, v179
	v_xor_b32_e32 v182, s22, v182
	v_cmp_gt_i32_e64 s22, 0, v179
	v_and_b32_e32 v39, exec_lo, v39
	v_not_b32_e32 v179, v180
	v_ashrrev_i32_e32 v177, 31, v177
	v_xor_b32_e32 v176, vcc_lo, v176
	v_cmp_gt_i32_e32 vcc_lo, 0, v180
	v_and_b32_e32 v39, v39, v182
	v_not_b32_e32 v180, v181
	v_ashrrev_i32_e32 v179, 31, v179
	v_xor_b32_e32 v177, s22, v177
	v_cmp_gt_i32_e64 s22, 0, v181
	v_and_b32_e32 v39, v39, v176
	v_not_b32_e32 v176, v178
	v_ashrrev_i32_e32 v180, 31, v180
	v_xor_b32_e32 v179, vcc_lo, v179
	v_cmp_gt_i32_e32 vcc_lo, 0, v178
	v_and_b32_e32 v39, v39, v177
	v_ashrrev_i32_e32 v176, 31, v176
	v_xor_b32_e32 v177, s22, v180
	v_mad_u32_u24 v178, v40, 36, v116
	v_mul_u32_u24_e32 v40, 36, v40
	v_and_b32_e32 v39, v39, v179
	v_xor_b32_e32 v179, vcc_lo, v176
	ds_read_b32 v176, v178 offset:544
	v_and_b32_e32 v39, v39, v177
	; wave barrier
	v_and_b32_e32 v39, v39, v179
	v_add_nc_u32_e32 v179, v116, v40
	v_mbcnt_lo_u32_b32 v177, v39, 0
	v_cmp_ne_u32_e64 s22, 0, v39
	v_cmp_eq_u32_e32 vcc_lo, 0, v177
	s_and_b32 s23, s22, vcc_lo
	s_and_saveexec_b32 s22, s23
	s_cbranch_execz .LBB92_768
; %bb.767:                              ;   in Loop: Header=BB92_722 Depth=2
	s_waitcnt lgkmcnt(0)
	v_bcnt_u32_b32 v39, v39, v176
	ds_write_b32 v179, v39 offset:544
.LBB92_768:                             ;   in Loop: Header=BB92_722 Depth=2
	s_or_b32 exec_lo, exec_lo, s22
	v_lshrrev_b32_e32 v178, 24, v140
	; wave barrier
	v_lshrrev_b32_e32 v39, s41, v178
	v_and_b32_e32 v40, s62, v39
	v_and_b32_e32 v39, 1, v40
	v_lshlrev_b32_e32 v180, 30, v40
	v_lshlrev_b32_e32 v181, 29, v40
	;; [unrolled: 1-line block ×4, first 2 shown]
	v_add_co_u32 v39, s22, v39, -1
	v_cndmask_b32_e64 v182, 0, 1, s22
	v_not_b32_e32 v186, v180
	v_cmp_gt_i32_e64 s22, 0, v180
	v_not_b32_e32 v180, v181
	v_lshlrev_b32_e32 v185, 26, v40
	v_cmp_ne_u32_e32 vcc_lo, 0, v182
	v_ashrrev_i32_e32 v186, 31, v186
	v_lshlrev_b32_e32 v182, 25, v40
	v_ashrrev_i32_e32 v180, 31, v180
	v_xor_b32_e32 v39, vcc_lo, v39
	v_cmp_gt_i32_e32 vcc_lo, 0, v181
	v_not_b32_e32 v181, v183
	v_xor_b32_e32 v186, s22, v186
	v_cmp_gt_i32_e64 s22, 0, v183
	v_and_b32_e32 v39, exec_lo, v39
	v_not_b32_e32 v183, v184
	v_ashrrev_i32_e32 v181, 31, v181
	v_xor_b32_e32 v180, vcc_lo, v180
	v_cmp_gt_i32_e32 vcc_lo, 0, v184
	v_and_b32_e32 v39, v39, v186
	v_not_b32_e32 v184, v185
	v_ashrrev_i32_e32 v183, 31, v183
	v_xor_b32_e32 v181, s22, v181
	v_cmp_gt_i32_e64 s22, 0, v185
	v_and_b32_e32 v39, v39, v180
	v_not_b32_e32 v180, v182
	v_ashrrev_i32_e32 v184, 31, v184
	v_xor_b32_e32 v183, vcc_lo, v183
	v_cmp_gt_i32_e32 vcc_lo, 0, v182
	v_and_b32_e32 v39, v39, v181
	v_ashrrev_i32_e32 v180, 31, v180
	v_xor_b32_e32 v181, s22, v184
	v_mad_u32_u24 v182, v40, 36, v116
	v_mul_u32_u24_e32 v40, 36, v40
	v_and_b32_e32 v39, v39, v183
	v_xor_b32_e32 v183, vcc_lo, v180
	ds_read_b32 v180, v182 offset:544
	v_add_nc_u32_e32 v182, v116, v40
	v_and_b32_e32 v39, v39, v181
	; wave barrier
	v_and_b32_e32 v39, v39, v183
	v_mbcnt_lo_u32_b32 v181, v39, 0
	v_cmp_ne_u32_e64 s22, 0, v39
	v_cmp_eq_u32_e32 vcc_lo, 0, v181
	s_and_b32 s23, s22, vcc_lo
	s_and_saveexec_b32 s22, s23
	s_cbranch_execz .LBB92_770
; %bb.769:                              ;   in Loop: Header=BB92_722 Depth=2
	s_waitcnt lgkmcnt(0)
	v_bcnt_u32_b32 v39, v39, v180
	ds_write_b32 v182, v39 offset:544
.LBB92_770:                             ;   in Loop: Header=BB92_722 Depth=2
	s_or_b32 exec_lo, exec_lo, s22
	v_xor_b32_e32 v39, -1, v137
	; wave barrier
	v_and_b32_sdwa v40, v92, v39 dst_sel:DWORD dst_unused:UNUSED_PAD src0_sel:DWORD src1_sel:BYTE_0
	v_lshrrev_b32_e32 v40, s41, v40
	v_and_b32_e32 v184, s62, v40
	v_and_b32_e32 v40, 1, v184
	v_lshlrev_b32_e32 v137, 30, v184
	v_lshlrev_b32_e32 v183, 29, v184
	;; [unrolled: 1-line block ×4, first 2 shown]
	v_add_co_u32 v40, s22, v40, -1
	v_cndmask_b32_e64 v185, 0, 1, s22
	v_not_b32_e32 v189, v137
	v_cmp_gt_i32_e64 s22, 0, v137
	v_not_b32_e32 v137, v183
	v_lshlrev_b32_e32 v188, 26, v184
	v_cmp_ne_u32_e32 vcc_lo, 0, v185
	v_ashrrev_i32_e32 v189, 31, v189
	v_lshlrev_b32_e32 v185, 25, v184
	v_ashrrev_i32_e32 v137, 31, v137
	v_xor_b32_e32 v40, vcc_lo, v40
	v_cmp_gt_i32_e32 vcc_lo, 0, v183
	v_not_b32_e32 v183, v186
	v_xor_b32_e32 v189, s22, v189
	v_cmp_gt_i32_e64 s22, 0, v186
	v_and_b32_e32 v40, exec_lo, v40
	v_not_b32_e32 v186, v187
	v_ashrrev_i32_e32 v183, 31, v183
	v_xor_b32_e32 v137, vcc_lo, v137
	v_cmp_gt_i32_e32 vcc_lo, 0, v187
	v_and_b32_e32 v40, v40, v189
	v_not_b32_e32 v187, v188
	v_ashrrev_i32_e32 v186, 31, v186
	v_xor_b32_e32 v183, s22, v183
	v_cmp_gt_i32_e64 s22, 0, v188
	v_and_b32_e32 v40, v40, v137
	v_not_b32_e32 v137, v185
	v_ashrrev_i32_e32 v187, 31, v187
	v_xor_b32_e32 v186, vcc_lo, v186
	v_cmp_gt_i32_e32 vcc_lo, 0, v185
	v_and_b32_e32 v40, v40, v183
	v_ashrrev_i32_e32 v137, 31, v137
	v_xor_b32_e32 v183, s22, v187
	v_mad_u32_u24 v185, v184, 36, v116
	v_mul_u32_u24_e32 v184, 36, v184
	v_and_b32_e32 v40, v40, v186
	v_xor_b32_e32 v186, vcc_lo, v137
	ds_read_b32 v137, v185 offset:544
	v_add_nc_u32_e32 v185, v116, v184
	v_and_b32_e32 v40, v40, v183
	; wave barrier
	v_and_b32_e32 v40, v40, v186
	v_mbcnt_lo_u32_b32 v183, v40, 0
	v_cmp_ne_u32_e64 s22, 0, v40
	v_cmp_eq_u32_e32 vcc_lo, 0, v183
	s_and_b32 s23, s22, vcc_lo
	s_and_saveexec_b32 s22, s23
	s_cbranch_execz .LBB92_772
; %bb.771:                              ;   in Loop: Header=BB92_722 Depth=2
	s_waitcnt lgkmcnt(0)
	v_bcnt_u32_b32 v40, v40, v137
	ds_write_b32 v185, v40 offset:544
.LBB92_772:                             ;   in Loop: Header=BB92_722 Depth=2
	s_or_b32 exec_lo, exec_lo, s22
	v_xor_b32_sdwa v3, v3, v93 dst_sel:BYTE_1 dst_unused:UNUSED_PAD src0_sel:DWORD src1_sel:DWORD
	v_xor_b32_e32 v40, -1, v41
	v_xor_b32_sdwa v41, v42, v93 dst_sel:BYTE_1 dst_unused:UNUSED_PAD src0_sel:DWORD src1_sel:DWORD
	; wave barrier
	v_or_b32_sdwa v184, v39, v3 dst_sel:DWORD dst_unused:UNUSED_PAD src0_sel:BYTE_0 src1_sel:DWORD
	v_or_b32_sdwa v3, v40, v41 dst_sel:WORD_1 dst_unused:UNUSED_PAD src0_sel:BYTE_0 src1_sel:DWORD
	v_or_b32_sdwa v3, v184, v3 dst_sel:DWORD dst_unused:UNUSED_PAD src0_sel:WORD_0 src1_sel:DWORD
	v_lshrrev_b32_sdwa v39, s41, v3 dst_sel:DWORD dst_unused:UNUSED_PAD src0_sel:DWORD src1_sel:BYTE_1
	v_and_b32_e32 v40, s62, v39
	v_and_b32_e32 v39, 1, v40
	v_lshlrev_b32_e32 v41, 30, v40
	v_lshlrev_b32_e32 v42, 29, v40
	;; [unrolled: 1-line block ×4, first 2 shown]
	v_add_co_u32 v39, s22, v39, -1
	v_cndmask_b32_e64 v186, 0, 1, s22
	v_not_b32_e32 v190, v41
	v_cmp_gt_i32_e64 s22, 0, v41
	v_not_b32_e32 v41, v42
	v_lshlrev_b32_e32 v189, 26, v40
	v_cmp_ne_u32_e32 vcc_lo, 0, v186
	v_ashrrev_i32_e32 v190, 31, v190
	v_lshlrev_b32_e32 v186, 25, v40
	v_ashrrev_i32_e32 v41, 31, v41
	v_xor_b32_e32 v39, vcc_lo, v39
	v_cmp_gt_i32_e32 vcc_lo, 0, v42
	v_not_b32_e32 v42, v187
	v_xor_b32_e32 v190, s22, v190
	v_cmp_gt_i32_e64 s22, 0, v187
	v_and_b32_e32 v39, exec_lo, v39
	v_not_b32_e32 v187, v188
	v_ashrrev_i32_e32 v42, 31, v42
	v_xor_b32_e32 v41, vcc_lo, v41
	v_cmp_gt_i32_e32 vcc_lo, 0, v188
	v_and_b32_e32 v39, v39, v190
	v_not_b32_e32 v188, v189
	v_ashrrev_i32_e32 v187, 31, v187
	v_xor_b32_e32 v42, s22, v42
	v_cmp_gt_i32_e64 s22, 0, v189
	v_and_b32_e32 v39, v39, v41
	v_not_b32_e32 v41, v186
	v_ashrrev_i32_e32 v188, 31, v188
	v_xor_b32_e32 v187, vcc_lo, v187
	v_cmp_gt_i32_e32 vcc_lo, 0, v186
	v_and_b32_e32 v39, v39, v42
	v_ashrrev_i32_e32 v41, 31, v41
	v_xor_b32_e32 v42, s22, v188
	v_mad_u32_u24 v186, v40, 36, v116
	v_mul_u32_u24_e32 v40, 36, v40
	v_and_b32_e32 v39, v39, v187
	v_xor_b32_e32 v41, vcc_lo, v41
	ds_read_b32 v186, v186 offset:544
	v_add_nc_u32_e32 v188, v116, v40
	v_and_b32_e32 v39, v39, v42
	; wave barrier
	v_and_b32_e32 v39, v39, v41
	v_mbcnt_lo_u32_b32 v187, v39, 0
	v_cmp_ne_u32_e64 s22, 0, v39
	v_cmp_eq_u32_e32 vcc_lo, 0, v187
	s_and_b32 s23, s22, vcc_lo
	s_and_saveexec_b32 s22, s23
	s_cbranch_execz .LBB92_774
; %bb.773:                              ;   in Loop: Header=BB92_722 Depth=2
	s_waitcnt lgkmcnt(0)
	v_bcnt_u32_b32 v39, v39, v186
	ds_write_b32 v188, v39 offset:544
.LBB92_774:                             ;   in Loop: Header=BB92_722 Depth=2
	s_or_b32 exec_lo, exec_lo, s22
	v_lshrrev_b32_sdwa v39, s41, v3 dst_sel:DWORD dst_unused:UNUSED_PAD src0_sel:DWORD src1_sel:BYTE_2
	; wave barrier
	v_and_b32_e32 v40, s62, v39
	v_and_b32_e32 v39, 1, v40
	v_lshlrev_b32_e32 v41, 30, v40
	v_lshlrev_b32_e32 v42, 29, v40
	;; [unrolled: 1-line block ×4, first 2 shown]
	v_add_co_u32 v39, s22, v39, -1
	v_cndmask_b32_e64 v189, 0, 1, s22
	v_not_b32_e32 v193, v41
	v_cmp_gt_i32_e64 s22, 0, v41
	v_not_b32_e32 v41, v42
	v_lshlrev_b32_e32 v192, 26, v40
	v_cmp_ne_u32_e32 vcc_lo, 0, v189
	v_ashrrev_i32_e32 v193, 31, v193
	v_lshlrev_b32_e32 v189, 25, v40
	v_ashrrev_i32_e32 v41, 31, v41
	v_xor_b32_e32 v39, vcc_lo, v39
	v_cmp_gt_i32_e32 vcc_lo, 0, v42
	v_not_b32_e32 v42, v190
	v_xor_b32_e32 v193, s22, v193
	v_cmp_gt_i32_e64 s22, 0, v190
	v_and_b32_e32 v39, exec_lo, v39
	v_not_b32_e32 v190, v191
	v_ashrrev_i32_e32 v42, 31, v42
	v_xor_b32_e32 v41, vcc_lo, v41
	v_cmp_gt_i32_e32 vcc_lo, 0, v191
	v_and_b32_e32 v39, v39, v193
	v_not_b32_e32 v191, v192
	v_ashrrev_i32_e32 v190, 31, v190
	v_xor_b32_e32 v42, s22, v42
	v_cmp_gt_i32_e64 s22, 0, v192
	v_and_b32_e32 v39, v39, v41
	v_not_b32_e32 v41, v189
	v_ashrrev_i32_e32 v191, 31, v191
	v_xor_b32_e32 v190, vcc_lo, v190
	v_cmp_gt_i32_e32 vcc_lo, 0, v189
	v_and_b32_e32 v39, v39, v42
	v_ashrrev_i32_e32 v41, 31, v41
	v_xor_b32_e32 v42, s22, v191
	v_mad_u32_u24 v189, v40, 36, v116
	v_mul_u32_u24_e32 v40, 36, v40
	v_and_b32_e32 v39, v39, v190
	v_xor_b32_e32 v41, vcc_lo, v41
	ds_read_b32 v189, v189 offset:544
	v_add_nc_u32_e32 v192, v116, v40
	v_and_b32_e32 v39, v39, v42
	; wave barrier
	v_and_b32_e32 v39, v39, v41
	v_mbcnt_lo_u32_b32 v190, v39, 0
	v_cmp_ne_u32_e64 s22, 0, v39
	v_cmp_eq_u32_e32 vcc_lo, 0, v190
	s_and_b32 s23, s22, vcc_lo
	s_and_saveexec_b32 s22, s23
	s_cbranch_execz .LBB92_776
; %bb.775:                              ;   in Loop: Header=BB92_722 Depth=2
	s_waitcnt lgkmcnt(0)
	v_bcnt_u32_b32 v39, v39, v189
	ds_write_b32 v192, v39 offset:544
.LBB92_776:                             ;   in Loop: Header=BB92_722 Depth=2
	s_or_b32 exec_lo, exec_lo, s22
	v_lshrrev_b32_e32 v191, 24, v3
	; wave barrier
	v_lshrrev_b32_e32 v39, s41, v191
	v_and_b32_e32 v40, s62, v39
	v_and_b32_e32 v39, 1, v40
	v_lshlrev_b32_e32 v41, 30, v40
	v_lshlrev_b32_e32 v42, 29, v40
	;; [unrolled: 1-line block ×4, first 2 shown]
	v_add_co_u32 v39, s22, v39, -1
	v_cndmask_b32_e64 v193, 0, 1, s22
	v_not_b32_e32 v197, v41
	v_cmp_gt_i32_e64 s22, 0, v41
	v_not_b32_e32 v41, v42
	v_lshlrev_b32_e32 v196, 26, v40
	v_cmp_ne_u32_e32 vcc_lo, 0, v193
	v_ashrrev_i32_e32 v197, 31, v197
	v_lshlrev_b32_e32 v193, 25, v40
	v_ashrrev_i32_e32 v41, 31, v41
	v_xor_b32_e32 v39, vcc_lo, v39
	v_cmp_gt_i32_e32 vcc_lo, 0, v42
	v_not_b32_e32 v42, v194
	v_xor_b32_e32 v197, s22, v197
	v_cmp_gt_i32_e64 s22, 0, v194
	v_and_b32_e32 v39, exec_lo, v39
	v_not_b32_e32 v194, v195
	v_ashrrev_i32_e32 v42, 31, v42
	v_xor_b32_e32 v41, vcc_lo, v41
	v_cmp_gt_i32_e32 vcc_lo, 0, v195
	v_and_b32_e32 v39, v39, v197
	v_not_b32_e32 v195, v196
	v_ashrrev_i32_e32 v194, 31, v194
	v_xor_b32_e32 v42, s22, v42
	v_cmp_gt_i32_e64 s22, 0, v196
	v_and_b32_e32 v39, v39, v41
	v_not_b32_e32 v41, v193
	v_ashrrev_i32_e32 v195, 31, v195
	v_xor_b32_e32 v194, vcc_lo, v194
	v_cmp_gt_i32_e32 vcc_lo, 0, v193
	v_and_b32_e32 v39, v39, v42
	v_ashrrev_i32_e32 v41, 31, v41
	v_xor_b32_e32 v42, s22, v195
	v_mad_u32_u24 v193, v40, 36, v116
	v_mul_u32_u24_e32 v40, 36, v40
	v_and_b32_e32 v39, v39, v194
	v_xor_b32_e32 v41, vcc_lo, v41
	ds_read_b32 v193, v193 offset:544
	v_add_nc_u32_e32 v195, v116, v40
	v_and_b32_e32 v39, v39, v42
	; wave barrier
	v_and_b32_e32 v39, v39, v41
	v_mbcnt_lo_u32_b32 v194, v39, 0
	v_cmp_ne_u32_e64 s22, 0, v39
	v_cmp_eq_u32_e32 vcc_lo, 0, v194
	s_and_b32 s23, s22, vcc_lo
	s_and_saveexec_b32 s22, s23
	s_cbranch_execz .LBB92_778
; %bb.777:                              ;   in Loop: Header=BB92_722 Depth=2
	s_waitcnt lgkmcnt(0)
	v_bcnt_u32_b32 v39, v39, v193
	ds_write_b32 v195, v39 offset:544
.LBB92_778:                             ;   in Loop: Header=BB92_722 Depth=2
	s_or_b32 exec_lo, exec_lo, s22
	v_xor_b32_e32 v129, -1, v129
	; wave barrier
	v_lshrrev_b32_sdwa v39, s41, v129 dst_sel:DWORD dst_unused:UNUSED_PAD src0_sel:DWORD src1_sel:BYTE_0
	v_and_b32_e32 v40, s62, v39
	v_and_b32_e32 v39, 1, v40
	v_lshlrev_b32_e32 v41, 30, v40
	v_lshlrev_b32_e32 v42, 29, v40
	;; [unrolled: 1-line block ×4, first 2 shown]
	v_add_co_u32 v39, s22, v39, -1
	v_cndmask_b32_e64 v196, 0, 1, s22
	v_not_b32_e32 v200, v41
	v_cmp_gt_i32_e64 s22, 0, v41
	v_not_b32_e32 v41, v42
	v_lshlrev_b32_e32 v199, 26, v40
	v_cmp_ne_u32_e32 vcc_lo, 0, v196
	v_ashrrev_i32_e32 v200, 31, v200
	v_lshlrev_b32_e32 v196, 25, v40
	v_ashrrev_i32_e32 v41, 31, v41
	v_xor_b32_e32 v39, vcc_lo, v39
	v_cmp_gt_i32_e32 vcc_lo, 0, v42
	v_not_b32_e32 v42, v197
	v_xor_b32_e32 v200, s22, v200
	v_cmp_gt_i32_e64 s22, 0, v197
	v_and_b32_e32 v39, exec_lo, v39
	v_not_b32_e32 v197, v198
	v_ashrrev_i32_e32 v42, 31, v42
	v_xor_b32_e32 v41, vcc_lo, v41
	v_cmp_gt_i32_e32 vcc_lo, 0, v198
	v_and_b32_e32 v39, v39, v200
	v_not_b32_e32 v198, v199
	v_ashrrev_i32_e32 v197, 31, v197
	v_xor_b32_e32 v42, s22, v42
	v_cmp_gt_i32_e64 s22, 0, v199
	v_and_b32_e32 v39, v39, v41
	v_not_b32_e32 v41, v196
	v_ashrrev_i32_e32 v198, 31, v198
	v_xor_b32_e32 v197, vcc_lo, v197
	v_cmp_gt_i32_e32 vcc_lo, 0, v196
	v_and_b32_e32 v39, v39, v42
	v_ashrrev_i32_e32 v41, 31, v41
	v_xor_b32_e32 v42, s22, v198
	v_mad_u32_u24 v196, v40, 36, v116
	v_mul_u32_u24_e32 v40, 36, v40
	v_and_b32_e32 v39, v39, v197
	v_xor_b32_e32 v41, vcc_lo, v41
	ds_read_b32 v196, v196 offset:544
	v_add_nc_u32_e32 v198, v116, v40
	v_and_b32_e32 v39, v39, v42
	; wave barrier
	v_and_b32_e32 v39, v39, v41
	v_mbcnt_lo_u32_b32 v197, v39, 0
	v_cmp_ne_u32_e64 s22, 0, v39
	v_cmp_eq_u32_e32 vcc_lo, 0, v197
	s_and_b32 s23, s22, vcc_lo
	s_and_saveexec_b32 s22, s23
	s_cbranch_execz .LBB92_780
; %bb.779:                              ;   in Loop: Header=BB92_722 Depth=2
	s_waitcnt lgkmcnt(0)
	v_bcnt_u32_b32 v39, v39, v196
	ds_write_b32 v198, v39 offset:544
.LBB92_780:                             ;   in Loop: Header=BB92_722 Depth=2
	s_or_b32 exec_lo, exec_lo, s22
	; wave barrier
	s_waitcnt lgkmcnt(0)
	s_barrier
	buffer_gl0_inv
	ds_read2_b32 v[41:42], v69 offset0:136 offset1:137
	ds_read2_b32 v[39:40], v69 offset0:138 offset1:139
	ds_read_b32 v199, v69 offset:560
	s_waitcnt lgkmcnt(1)
	v_add3_u32 v200, v42, v41, v39
	s_waitcnt lgkmcnt(0)
	v_add3_u32 v199, v200, v40, v199
	v_mov_b32_dpp v200, v199 row_shr:1 row_mask:0xf bank_mask:0xf
	v_cndmask_b32_e64 v200, v200, 0, s5
	v_add_nc_u32_e32 v199, v200, v199
	v_mov_b32_dpp v200, v199 row_shr:2 row_mask:0xf bank_mask:0xf
	v_cndmask_b32_e64 v200, 0, v200, s14
	v_add_nc_u32_e32 v199, v199, v200
	;; [unrolled: 3-line block ×4, first 2 shown]
	ds_swizzle_b32 v200, v199 offset:swizzle(BROADCAST,32,15)
	s_waitcnt lgkmcnt(0)
	v_cndmask_b32_e64 v200, v200, 0, s17
	v_add_nc_u32_e32 v199, v199, v200
	s_and_saveexec_b32 s22, s4
; %bb.781:                              ;   in Loop: Header=BB92_722 Depth=2
	ds_write_b32 v62, v199 offset:512
; %bb.782:                              ;   in Loop: Header=BB92_722 Depth=2
	s_or_b32 exec_lo, exec_lo, s22
	s_waitcnt lgkmcnt(0)
	s_barrier
	buffer_gl0_inv
	s_and_saveexec_b32 s22, s11
	s_cbranch_execz .LBB92_784
; %bb.783:                              ;   in Loop: Header=BB92_722 Depth=2
	ds_read_b32 v200, v70 offset:512
	s_waitcnt lgkmcnt(0)
	v_mov_b32_dpp v201, v200 row_shr:1 row_mask:0xf bank_mask:0xf
	v_cndmask_b32_e64 v201, v201, 0, s19
	v_add_nc_u32_e32 v200, v201, v200
	v_mov_b32_dpp v201, v200 row_shr:2 row_mask:0xf bank_mask:0xf
	v_cndmask_b32_e64 v201, 0, v201, s20
	v_add_nc_u32_e32 v200, v200, v201
	;; [unrolled: 3-line block ×3, first 2 shown]
	ds_write_b32 v70, v200 offset:512
.LBB92_784:                             ;   in Loop: Header=BB92_722 Depth=2
	s_or_b32 exec_lo, exec_lo, s22
	v_mov_b32_e32 v200, 0
	s_waitcnt lgkmcnt(0)
	s_barrier
	buffer_gl0_inv
	s_and_saveexec_b32 s22, s10
; %bb.785:                              ;   in Loop: Header=BB92_722 Depth=2
	ds_read_b32 v200, v62 offset:508
; %bb.786:                              ;   in Loop: Header=BB92_722 Depth=2
	s_or_b32 exec_lo, exec_lo, s22
	s_waitcnt lgkmcnt(0)
	v_add_nc_u32_e32 v199, v200, v199
	ds_bpermute_b32 v199, v94, v199
	s_waitcnt lgkmcnt(0)
	v_cndmask_b32_e64 v199, v199, v200, s18
	v_cndmask_b32_e64 v199, v199, 0, s12
	v_add_nc_u32_e32 v41, v199, v41
	v_add_nc_u32_e32 v42, v41, v42
	;; [unrolled: 1-line block ×4, first 2 shown]
	ds_write2_b32 v69, v199, v41 offset0:136 offset1:137
	ds_write2_b32 v69, v42, v39 offset0:138 offset1:139
	ds_write_b32 v69, v40 offset:560
	s_waitcnt lgkmcnt(0)
	s_barrier
	buffer_gl0_inv
	ds_read_b32 v39, v149 offset:544
	ds_read_b32 v40, v153 offset:544
	;; [unrolled: 1-line block ×17, first 2 shown]
	s_and_saveexec_b32 s22, s7
	s_cbranch_execz .LBB92_790
; %bb.787:                              ;   in Loop: Header=BB92_722 Depth=2
	v_add_nc_u32_e32 v135, v70, v72
	v_mov_b32_e32 v136, 0x1100
	ds_read_b32 v135, v135 offset:544
	s_and_saveexec_b32 s23, s13
; %bb.788:                              ;   in Loop: Header=BB92_722 Depth=2
	ds_read_b32 v136, v71 offset:544
; %bb.789:                              ;   in Loop: Header=BB92_722 Depth=2
	s_or_b32 exec_lo, exec_lo, s23
	s_waitcnt lgkmcnt(0)
	v_sub_nc_u32_e32 v136, v136, v135
.LBB92_790:                             ;   in Loop: Header=BB92_722 Depth=2
	s_or_b32 exec_lo, exec_lo, s22
	v_lshrrev_b32_e32 v203, 8, v148
	v_lshrrev_b32_e32 v204, 16, v148
	;; [unrolled: 1-line block ×8, first 2 shown]
	s_waitcnt lgkmcnt(0)
	s_barrier
	buffer_gl0_inv
	s_and_saveexec_b32 s22, s7
	s_cbranch_execz .LBB92_792
; %bb.791:                              ;   in Loop: Header=BB92_722 Depth=2
	ds_read_b32 v3, v43
	s_waitcnt lgkmcnt(0)
	v_sub_nc_u32_e32 v3, v3, v135
	ds_write_b32 v43, v3
.LBB92_792:                             ;   in Loop: Header=BB92_722 Depth=2
	s_or_b32 exec_lo, exec_lo, s22
	v_add_nc_u32_e32 v157, v39, v146
	v_add3_u32 v153, v152, v151, v40
	v_add3_u32 v152, v155, v154, v41
	;; [unrolled: 1-line block ×16, first 2 shown]
	v_cmp_lt_u32_e64 s39, v0, v138
	ds_write_b8 v157, v147 offset:512
	ds_write_b8 v153, v203 offset:512
	;; [unrolled: 1-line block ×17, first 2 shown]
	s_waitcnt lgkmcnt(0)
	s_barrier
	buffer_gl0_inv
	s_and_saveexec_b32 s22, s39
	s_cbranch_execnz .LBB92_865
; %bb.793:                              ;   in Loop: Header=BB92_722 Depth=2
	s_or_b32 exec_lo, exec_lo, s22
	v_cmp_lt_u32_e64 s38, v44, v138
	s_and_saveexec_b32 s22, s38
	s_cbranch_execnz .LBB92_866
.LBB92_794:                             ;   in Loop: Header=BB92_722 Depth=2
	s_or_b32 exec_lo, exec_lo, s22
	v_cmp_lt_u32_e64 s37, v47, v138
	s_and_saveexec_b32 s22, s37
	s_cbranch_execnz .LBB92_867
.LBB92_795:                             ;   in Loop: Header=BB92_722 Depth=2
	s_or_b32 exec_lo, exec_lo, s22
	v_cmp_lt_u32_e64 s36, v48, v138
	s_and_saveexec_b32 s22, s36
	s_cbranch_execnz .LBB92_868
.LBB92_796:                             ;   in Loop: Header=BB92_722 Depth=2
	s_or_b32 exec_lo, exec_lo, s22
	v_cmp_lt_u32_e64 s35, v49, v138
	s_and_saveexec_b32 s22, s35
	s_cbranch_execnz .LBB92_869
.LBB92_797:                             ;   in Loop: Header=BB92_722 Depth=2
	s_or_b32 exec_lo, exec_lo, s22
	v_cmp_lt_u32_e64 s34, v50, v138
	s_and_saveexec_b32 s22, s34
	s_cbranch_execnz .LBB92_870
.LBB92_798:                             ;   in Loop: Header=BB92_722 Depth=2
	s_or_b32 exec_lo, exec_lo, s22
	v_cmp_lt_u32_e64 s33, v51, v138
	s_and_saveexec_b32 s22, s33
	s_cbranch_execnz .LBB92_871
.LBB92_799:                             ;   in Loop: Header=BB92_722 Depth=2
	s_or_b32 exec_lo, exec_lo, s22
	v_cmp_lt_u32_e64 s31, v52, v138
	s_and_saveexec_b32 s22, s31
	s_cbranch_execnz .LBB92_872
.LBB92_800:                             ;   in Loop: Header=BB92_722 Depth=2
	s_or_b32 exec_lo, exec_lo, s22
	v_cmp_lt_u32_e64 s30, v53, v138
	s_and_saveexec_b32 s22, s30
	s_cbranch_execnz .LBB92_873
.LBB92_801:                             ;   in Loop: Header=BB92_722 Depth=2
	s_or_b32 exec_lo, exec_lo, s22
	v_cmp_lt_u32_e64 s29, v54, v138
	s_and_saveexec_b32 s22, s29
	s_cbranch_execnz .LBB92_874
.LBB92_802:                             ;   in Loop: Header=BB92_722 Depth=2
	s_or_b32 exec_lo, exec_lo, s22
	v_cmp_lt_u32_e64 s27, v55, v138
	s_and_saveexec_b32 s22, s27
	s_cbranch_execnz .LBB92_875
.LBB92_803:                             ;   in Loop: Header=BB92_722 Depth=2
	s_or_b32 exec_lo, exec_lo, s22
	v_cmp_lt_u32_e64 s26, v56, v138
	s_and_saveexec_b32 s22, s26
	s_cbranch_execnz .LBB92_876
.LBB92_804:                             ;   in Loop: Header=BB92_722 Depth=2
	s_or_b32 exec_lo, exec_lo, s22
	v_cmp_lt_u32_e64 s25, v57, v138
	s_and_saveexec_b32 s22, s25
	s_cbranch_execnz .LBB92_877
.LBB92_805:                             ;   in Loop: Header=BB92_722 Depth=2
	s_or_b32 exec_lo, exec_lo, s22
	v_cmp_lt_u32_e64 s24, v58, v138
	s_and_saveexec_b32 s22, s24
	s_cbranch_execnz .LBB92_878
.LBB92_806:                             ;   in Loop: Header=BB92_722 Depth=2
	s_or_b32 exec_lo, exec_lo, s22
	v_cmp_lt_u32_e64 s23, v59, v138
	s_and_saveexec_b32 s22, s23
	s_cbranch_execnz .LBB92_879
.LBB92_807:                             ;   in Loop: Header=BB92_722 Depth=2
	s_or_b32 exec_lo, exec_lo, s22
	v_cmp_lt_u32_e64 s22, v60, v138
	s_and_saveexec_b32 s40, s22
	s_cbranch_execnz .LBB92_880
.LBB92_808:                             ;   in Loop: Header=BB92_722 Depth=2
	s_or_b32 exec_lo, exec_lo, s40
	v_cmp_lt_u32_e32 vcc_lo, v61, v138
	s_and_saveexec_b32 s40, vcc_lo
	s_cbranch_execz .LBB92_810
.LBB92_809:                             ;   in Loop: Header=BB92_722 Depth=2
	ds_read_u8 v39, v0 offset:4608
	s_waitcnt lgkmcnt(0)
	v_lshrrev_b32_sdwa v40, s41, v39 dst_sel:DWORD dst_unused:UNUSED_PAD src0_sel:DWORD src1_sel:BYTE_0
	v_xor_b32_e32 v39, -1, v39
	v_and_b32_e32 v40, s62, v40
	v_lshlrev_b32_e32 v40, 2, v40
	ds_read_b32 v40, v40
	s_waitcnt lgkmcnt(0)
	v_add_nc_u32_e32 v40, v40, v61
	global_store_byte v40, v39, s[46:47]
.LBB92_810:                             ;   in Loop: Header=BB92_722 Depth=2
	s_or_b32 exec_lo, exec_lo, s40
	s_lshl_b64 s[66:67], s[50:51], 3
	v_add_co_u32 v39, s40, v98, s66
	v_add_co_ci_u32_e64 v40, null, s67, v99, s40
	v_cmp_lt_u32_e64 s40, v95, v138
	s_and_saveexec_b32 s50, s40
	s_xor_b32 s40, exec_lo, s50
	s_cbranch_execnz .LBB92_881
; %bb.811:                              ;   in Loop: Header=BB92_722 Depth=2
	s_or_b32 exec_lo, exec_lo, s40
	s_mov_b32 s50, exec_lo
	v_cmpx_lt_u32_e64 v100, v138
	s_cbranch_execnz .LBB92_882
.LBB92_812:                             ;   in Loop: Header=BB92_722 Depth=2
	s_or_b32 exec_lo, exec_lo, s50
	s_mov_b32 s50, exec_lo
	v_cmpx_lt_u32_e64 v101, v138
	s_cbranch_execnz .LBB92_883
.LBB92_813:                             ;   in Loop: Header=BB92_722 Depth=2
	s_or_b32 exec_lo, exec_lo, s50
	s_mov_b32 s50, exec_lo
	v_cmpx_lt_u32_e64 v102, v138
	s_cbranch_execnz .LBB92_884
.LBB92_814:                             ;   in Loop: Header=BB92_722 Depth=2
	s_or_b32 exec_lo, exec_lo, s50
	s_mov_b32 s50, exec_lo
	v_cmpx_lt_u32_e64 v103, v138
	s_cbranch_execnz .LBB92_885
.LBB92_815:                             ;   in Loop: Header=BB92_722 Depth=2
	s_or_b32 exec_lo, exec_lo, s50
	s_mov_b32 s50, exec_lo
	v_cmpx_lt_u32_e64 v104, v138
	s_cbranch_execnz .LBB92_886
.LBB92_816:                             ;   in Loop: Header=BB92_722 Depth=2
	s_or_b32 exec_lo, exec_lo, s50
	s_mov_b32 s50, exec_lo
	v_cmpx_lt_u32_e64 v105, v138
	s_cbranch_execnz .LBB92_887
.LBB92_817:                             ;   in Loop: Header=BB92_722 Depth=2
	s_or_b32 exec_lo, exec_lo, s50
	s_mov_b32 s50, exec_lo
	v_cmpx_lt_u32_e64 v106, v138
	s_cbranch_execnz .LBB92_888
.LBB92_818:                             ;   in Loop: Header=BB92_722 Depth=2
	s_or_b32 exec_lo, exec_lo, s50
	s_mov_b32 s50, exec_lo
	v_cmpx_lt_u32_e64 v107, v138
	s_cbranch_execnz .LBB92_889
.LBB92_819:                             ;   in Loop: Header=BB92_722 Depth=2
	s_or_b32 exec_lo, exec_lo, s50
	s_mov_b32 s50, exec_lo
	v_cmpx_lt_u32_e64 v108, v138
	s_cbranch_execnz .LBB92_890
.LBB92_820:                             ;   in Loop: Header=BB92_722 Depth=2
	s_or_b32 exec_lo, exec_lo, s50
	s_mov_b32 s50, exec_lo
	v_cmpx_lt_u32_e64 v109, v138
	s_cbranch_execnz .LBB92_891
.LBB92_821:                             ;   in Loop: Header=BB92_722 Depth=2
	s_or_b32 exec_lo, exec_lo, s50
	s_mov_b32 s50, exec_lo
	v_cmpx_lt_u32_e64 v110, v138
	s_cbranch_execnz .LBB92_892
.LBB92_822:                             ;   in Loop: Header=BB92_722 Depth=2
	s_or_b32 exec_lo, exec_lo, s50
	s_mov_b32 s50, exec_lo
	v_cmpx_lt_u32_e64 v111, v138
	s_cbranch_execnz .LBB92_893
.LBB92_823:                             ;   in Loop: Header=BB92_722 Depth=2
	s_or_b32 exec_lo, exec_lo, s50
	s_mov_b32 s50, exec_lo
	v_cmpx_lt_u32_e64 v112, v138
	s_cbranch_execnz .LBB92_894
.LBB92_824:                             ;   in Loop: Header=BB92_722 Depth=2
	s_or_b32 exec_lo, exec_lo, s50
	s_mov_b32 s50, exec_lo
	v_cmpx_lt_u32_e64 v113, v138
	s_cbranch_execnz .LBB92_895
.LBB92_825:                             ;   in Loop: Header=BB92_722 Depth=2
	s_or_b32 exec_lo, exec_lo, s50
	s_mov_b32 s50, exec_lo
	v_cmpx_lt_u32_e64 v114, v138
	s_cbranch_execnz .LBB92_896
.LBB92_826:                             ;   in Loop: Header=BB92_722 Depth=2
	s_or_b32 exec_lo, exec_lo, s50
	s_mov_b32 s50, exec_lo
	v_cmpx_lt_u32_e64 v115, v138
	s_cbranch_execnz .LBB92_897
.LBB92_827:                             ;   in Loop: Header=BB92_722 Depth=2
	s_or_b32 exec_lo, exec_lo, s50
	s_and_saveexec_b32 s40, s39
	s_cbranch_execnz .LBB92_898
.LBB92_828:                             ;   in Loop: Header=BB92_722 Depth=2
	s_or_b32 exec_lo, exec_lo, s40
	s_and_saveexec_b32 s40, s38
	s_cbranch_execnz .LBB92_899
.LBB92_829:                             ;   in Loop: Header=BB92_722 Depth=2
	s_or_b32 exec_lo, exec_lo, s40
	s_and_saveexec_b32 s40, s37
	s_cbranch_execnz .LBB92_900
.LBB92_830:                             ;   in Loop: Header=BB92_722 Depth=2
	s_or_b32 exec_lo, exec_lo, s40
	s_and_saveexec_b32 s40, s36
	s_cbranch_execnz .LBB92_901
.LBB92_831:                             ;   in Loop: Header=BB92_722 Depth=2
	s_or_b32 exec_lo, exec_lo, s40
	s_and_saveexec_b32 s40, s35
	s_cbranch_execnz .LBB92_902
.LBB92_832:                             ;   in Loop: Header=BB92_722 Depth=2
	s_or_b32 exec_lo, exec_lo, s40
	s_and_saveexec_b32 s40, s34
	s_cbranch_execnz .LBB92_903
.LBB92_833:                             ;   in Loop: Header=BB92_722 Depth=2
	s_or_b32 exec_lo, exec_lo, s40
	s_and_saveexec_b32 s40, s33
	s_cbranch_execnz .LBB92_904
.LBB92_834:                             ;   in Loop: Header=BB92_722 Depth=2
	s_or_b32 exec_lo, exec_lo, s40
	s_and_saveexec_b32 s40, s31
	s_cbranch_execnz .LBB92_905
.LBB92_835:                             ;   in Loop: Header=BB92_722 Depth=2
	s_or_b32 exec_lo, exec_lo, s40
	s_and_saveexec_b32 s40, s30
	s_cbranch_execnz .LBB92_906
.LBB92_836:                             ;   in Loop: Header=BB92_722 Depth=2
	s_or_b32 exec_lo, exec_lo, s40
	s_and_saveexec_b32 s40, s29
	s_cbranch_execnz .LBB92_907
.LBB92_837:                             ;   in Loop: Header=BB92_722 Depth=2
	s_or_b32 exec_lo, exec_lo, s40
	s_and_saveexec_b32 s40, s27
	s_cbranch_execnz .LBB92_908
.LBB92_838:                             ;   in Loop: Header=BB92_722 Depth=2
	s_or_b32 exec_lo, exec_lo, s40
	s_and_saveexec_b32 s40, s26
	s_cbranch_execnz .LBB92_909
.LBB92_839:                             ;   in Loop: Header=BB92_722 Depth=2
	s_or_b32 exec_lo, exec_lo, s40
	s_and_saveexec_b32 s40, s25
	s_cbranch_execnz .LBB92_910
.LBB92_840:                             ;   in Loop: Header=BB92_722 Depth=2
	s_or_b32 exec_lo, exec_lo, s40
	s_and_saveexec_b32 s40, s24
	s_cbranch_execnz .LBB92_911
.LBB92_841:                             ;   in Loop: Header=BB92_722 Depth=2
	s_or_b32 exec_lo, exec_lo, s40
	s_and_saveexec_b32 s40, s23
	s_cbranch_execnz .LBB92_912
.LBB92_842:                             ;   in Loop: Header=BB92_722 Depth=2
	s_or_b32 exec_lo, exec_lo, s40
	s_and_saveexec_b32 s40, s22
	s_cbranch_execnz .LBB92_913
.LBB92_843:                             ;   in Loop: Header=BB92_722 Depth=2
	s_or_b32 exec_lo, exec_lo, s40
	s_and_saveexec_b32 s40, vcc_lo
	s_cbranch_execz .LBB92_845
.LBB92_844:                             ;   in Loop: Header=BB92_722 Depth=2
	ds_read_u8 v39, v0 offset:4608
	s_waitcnt lgkmcnt(0)
	v_lshrrev_b32_e32 v39, s41, v39
	v_and_b32_e32 v117, s62, v39
.LBB92_845:                             ;   in Loop: Header=BB92_722 Depth=2
	s_or_b32 exec_lo, exec_lo, s40
	v_lshlrev_b32_e32 v39, 3, v157
	v_lshlrev_b32_e32 v40, 3, v153
	s_waitcnt vmcnt(0)
	s_waitcnt_vscnt null, 0x0
	s_barrier
	buffer_gl0_inv
	ds_write_b64 v39, v[37:38] offset:512
	ds_write_b64 v40, v[35:36] offset:512
	v_lshlrev_b32_e32 v39, 3, v152
	v_lshlrev_b32_e32 v40, 3, v151
	v_lshlrev_b32_e32 v138, 3, v150
	v_lshlrev_b32_e32 v139, 3, v149
	v_lshlrev_b32_e32 v143, 3, v148
	ds_write_b64 v39, v[33:34] offset:512
	ds_write_b64 v40, v[31:32] offset:512
	ds_write_b64 v138, v[29:30] offset:512
	ds_write_b64 v139, v[25:26] offset:512
	ds_write_b64 v143, v[21:22] offset:512
	v_lshlrev_b32_e32 v39, 3, v146
	v_lshlrev_b32_e32 v40, 3, v145
	v_lshlrev_b32_e32 v138, 3, v144
	v_lshlrev_b32_e32 v139, 3, v142
	v_lshlrev_b32_e32 v141, 3, v141
	ds_write_b64 v39, v[17:18] offset:512
	ds_write_b64 v40, v[27:28] offset:512
	ds_write_b64 v138, v[23:24] offset:512
	;; [unrolled: 10-line block ×3, first 2 shown]
	ds_write_b64 v41, v[7:8] offset:512
	ds_write_b64 v3, v[5:6] offset:512
	s_waitcnt lgkmcnt(0)
	s_barrier
	buffer_gl0_inv
	s_and_saveexec_b32 s40, s39
	s_cbranch_execnz .LBB92_914
; %bb.846:                              ;   in Loop: Header=BB92_722 Depth=2
	s_or_b32 exec_lo, exec_lo, s40
	s_and_saveexec_b32 s39, s38
	s_cbranch_execnz .LBB92_915
.LBB92_847:                             ;   in Loop: Header=BB92_722 Depth=2
	s_or_b32 exec_lo, exec_lo, s39
	s_and_saveexec_b32 s38, s37
	s_cbranch_execnz .LBB92_916
.LBB92_848:                             ;   in Loop: Header=BB92_722 Depth=2
	s_or_b32 exec_lo, exec_lo, s38
	s_and_saveexec_b32 s37, s36
	s_cbranch_execnz .LBB92_917
.LBB92_849:                             ;   in Loop: Header=BB92_722 Depth=2
	s_or_b32 exec_lo, exec_lo, s37
	s_and_saveexec_b32 s36, s35
	s_cbranch_execnz .LBB92_918
.LBB92_850:                             ;   in Loop: Header=BB92_722 Depth=2
	s_or_b32 exec_lo, exec_lo, s36
	s_and_saveexec_b32 s35, s34
	s_cbranch_execnz .LBB92_919
.LBB92_851:                             ;   in Loop: Header=BB92_722 Depth=2
	s_or_b32 exec_lo, exec_lo, s35
	s_and_saveexec_b32 s34, s33
	s_cbranch_execnz .LBB92_920
.LBB92_852:                             ;   in Loop: Header=BB92_722 Depth=2
	s_or_b32 exec_lo, exec_lo, s34
	s_and_saveexec_b32 s33, s31
	s_cbranch_execnz .LBB92_921
.LBB92_853:                             ;   in Loop: Header=BB92_722 Depth=2
	s_or_b32 exec_lo, exec_lo, s33
	s_and_saveexec_b32 s31, s30
	s_cbranch_execnz .LBB92_922
.LBB92_854:                             ;   in Loop: Header=BB92_722 Depth=2
	s_or_b32 exec_lo, exec_lo, s31
	s_and_saveexec_b32 s30, s29
	s_cbranch_execnz .LBB92_923
.LBB92_855:                             ;   in Loop: Header=BB92_722 Depth=2
	s_or_b32 exec_lo, exec_lo, s30
	s_and_saveexec_b32 s29, s27
	s_cbranch_execnz .LBB92_924
.LBB92_856:                             ;   in Loop: Header=BB92_722 Depth=2
	s_or_b32 exec_lo, exec_lo, s29
	s_and_saveexec_b32 s27, s26
	s_cbranch_execnz .LBB92_925
.LBB92_857:                             ;   in Loop: Header=BB92_722 Depth=2
	s_or_b32 exec_lo, exec_lo, s27
	s_and_saveexec_b32 s26, s25
	s_cbranch_execnz .LBB92_926
.LBB92_858:                             ;   in Loop: Header=BB92_722 Depth=2
	s_or_b32 exec_lo, exec_lo, s26
	s_and_saveexec_b32 s25, s24
	s_cbranch_execnz .LBB92_927
.LBB92_859:                             ;   in Loop: Header=BB92_722 Depth=2
	s_or_b32 exec_lo, exec_lo, s25
	s_and_saveexec_b32 s24, s23
	s_cbranch_execnz .LBB92_928
.LBB92_860:                             ;   in Loop: Header=BB92_722 Depth=2
	s_or_b32 exec_lo, exec_lo, s24
	s_and_saveexec_b32 s23, s22
	s_cbranch_execnz .LBB92_929
.LBB92_861:                             ;   in Loop: Header=BB92_722 Depth=2
	s_or_b32 exec_lo, exec_lo, s23
	s_and_saveexec_b32 s22, vcc_lo
	s_cbranch_execz .LBB92_863
.LBB92_862:                             ;   in Loop: Header=BB92_722 Depth=2
	v_lshlrev_b32_e32 v3, 2, v117
	v_add_nc_u32_e32 v39, v0, v75
	ds_read_b32 v3, v3
	ds_read_b64 v[39:40], v39 offset:33280
	s_waitcnt lgkmcnt(1)
	v_add_nc_u32_e32 v3, v3, v61
	v_lshlrev_b64 v[41:42], 3, v[3:4]
	v_add_co_u32 v41, vcc_lo, s52, v41
	v_add_co_ci_u32_e64 v42, null, s53, v42, vcc_lo
	s_waitcnt lgkmcnt(0)
	global_store_dwordx2 v[41:42], v[39:40], off
.LBB92_863:                             ;   in Loop: Header=BB92_722 Depth=2
	s_or_b32 exec_lo, exec_lo, s22
	s_waitcnt_vscnt null, 0x0
	s_barrier
	buffer_gl0_inv
	s_and_saveexec_b32 s22, s7
	s_cbranch_execz .LBB92_721
; %bb.864:                              ;   in Loop: Header=BB92_722 Depth=2
	ds_read_b32 v3, v43
	s_waitcnt lgkmcnt(0)
	v_add3_u32 v3, v135, v136, v3
	ds_write_b32 v43, v3
	s_branch .LBB92_721
.LBB92_865:                             ;   in Loop: Header=BB92_722 Depth=2
	ds_read_u8 v39, v0 offset:512
	s_waitcnt lgkmcnt(0)
	v_lshrrev_b32_sdwa v40, s41, v39 dst_sel:DWORD dst_unused:UNUSED_PAD src0_sel:DWORD src1_sel:BYTE_0
	v_xor_b32_e32 v39, -1, v39
	v_and_b32_e32 v40, s62, v40
	v_lshlrev_b32_e32 v40, 2, v40
	ds_read_b32 v40, v40
	s_waitcnt lgkmcnt(0)
	v_add_nc_u32_e32 v40, v40, v0
	global_store_byte v40, v39, s[46:47]
	s_or_b32 exec_lo, exec_lo, s22
	v_cmp_lt_u32_e64 s38, v44, v138
	s_and_saveexec_b32 s22, s38
	s_cbranch_execz .LBB92_794
.LBB92_866:                             ;   in Loop: Header=BB92_722 Depth=2
	ds_read_u8 v39, v0 offset:768
	s_waitcnt lgkmcnt(0)
	v_lshrrev_b32_sdwa v40, s41, v39 dst_sel:DWORD dst_unused:UNUSED_PAD src0_sel:DWORD src1_sel:BYTE_0
	v_xor_b32_e32 v39, -1, v39
	v_and_b32_e32 v40, s62, v40
	v_lshlrev_b32_e32 v40, 2, v40
	ds_read_b32 v40, v40
	s_waitcnt lgkmcnt(0)
	v_add_nc_u32_e32 v40, v40, v44
	global_store_byte v40, v39, s[46:47]
	s_or_b32 exec_lo, exec_lo, s22
	v_cmp_lt_u32_e64 s37, v47, v138
	s_and_saveexec_b32 s22, s37
	s_cbranch_execz .LBB92_795
.LBB92_867:                             ;   in Loop: Header=BB92_722 Depth=2
	ds_read_u8 v39, v0 offset:1024
	s_waitcnt lgkmcnt(0)
	v_lshrrev_b32_sdwa v40, s41, v39 dst_sel:DWORD dst_unused:UNUSED_PAD src0_sel:DWORD src1_sel:BYTE_0
	v_xor_b32_e32 v39, -1, v39
	v_and_b32_e32 v40, s62, v40
	v_lshlrev_b32_e32 v40, 2, v40
	ds_read_b32 v40, v40
	s_waitcnt lgkmcnt(0)
	v_add_nc_u32_e32 v40, v40, v47
	global_store_byte v40, v39, s[46:47]
	s_or_b32 exec_lo, exec_lo, s22
	v_cmp_lt_u32_e64 s36, v48, v138
	s_and_saveexec_b32 s22, s36
	s_cbranch_execz .LBB92_796
.LBB92_868:                             ;   in Loop: Header=BB92_722 Depth=2
	ds_read_u8 v39, v0 offset:1280
	s_waitcnt lgkmcnt(0)
	v_lshrrev_b32_sdwa v40, s41, v39 dst_sel:DWORD dst_unused:UNUSED_PAD src0_sel:DWORD src1_sel:BYTE_0
	v_xor_b32_e32 v39, -1, v39
	v_and_b32_e32 v40, s62, v40
	v_lshlrev_b32_e32 v40, 2, v40
	ds_read_b32 v40, v40
	s_waitcnt lgkmcnt(0)
	v_add_nc_u32_e32 v40, v40, v48
	global_store_byte v40, v39, s[46:47]
	s_or_b32 exec_lo, exec_lo, s22
	v_cmp_lt_u32_e64 s35, v49, v138
	s_and_saveexec_b32 s22, s35
	s_cbranch_execz .LBB92_797
.LBB92_869:                             ;   in Loop: Header=BB92_722 Depth=2
	ds_read_u8 v39, v0 offset:1536
	s_waitcnt lgkmcnt(0)
	v_lshrrev_b32_sdwa v40, s41, v39 dst_sel:DWORD dst_unused:UNUSED_PAD src0_sel:DWORD src1_sel:BYTE_0
	v_xor_b32_e32 v39, -1, v39
	v_and_b32_e32 v40, s62, v40
	v_lshlrev_b32_e32 v40, 2, v40
	ds_read_b32 v40, v40
	s_waitcnt lgkmcnt(0)
	v_add_nc_u32_e32 v40, v40, v49
	global_store_byte v40, v39, s[46:47]
	s_or_b32 exec_lo, exec_lo, s22
	v_cmp_lt_u32_e64 s34, v50, v138
	s_and_saveexec_b32 s22, s34
	s_cbranch_execz .LBB92_798
.LBB92_870:                             ;   in Loop: Header=BB92_722 Depth=2
	ds_read_u8 v39, v0 offset:1792
	s_waitcnt lgkmcnt(0)
	v_lshrrev_b32_sdwa v40, s41, v39 dst_sel:DWORD dst_unused:UNUSED_PAD src0_sel:DWORD src1_sel:BYTE_0
	v_xor_b32_e32 v39, -1, v39
	v_and_b32_e32 v40, s62, v40
	v_lshlrev_b32_e32 v40, 2, v40
	ds_read_b32 v40, v40
	s_waitcnt lgkmcnt(0)
	v_add_nc_u32_e32 v40, v40, v50
	global_store_byte v40, v39, s[46:47]
	s_or_b32 exec_lo, exec_lo, s22
	v_cmp_lt_u32_e64 s33, v51, v138
	s_and_saveexec_b32 s22, s33
	s_cbranch_execz .LBB92_799
.LBB92_871:                             ;   in Loop: Header=BB92_722 Depth=2
	ds_read_u8 v39, v0 offset:2048
	s_waitcnt lgkmcnt(0)
	v_lshrrev_b32_sdwa v40, s41, v39 dst_sel:DWORD dst_unused:UNUSED_PAD src0_sel:DWORD src1_sel:BYTE_0
	v_xor_b32_e32 v39, -1, v39
	v_and_b32_e32 v40, s62, v40
	v_lshlrev_b32_e32 v40, 2, v40
	ds_read_b32 v40, v40
	s_waitcnt lgkmcnt(0)
	v_add_nc_u32_e32 v40, v40, v51
	global_store_byte v40, v39, s[46:47]
	s_or_b32 exec_lo, exec_lo, s22
	v_cmp_lt_u32_e64 s31, v52, v138
	s_and_saveexec_b32 s22, s31
	s_cbranch_execz .LBB92_800
.LBB92_872:                             ;   in Loop: Header=BB92_722 Depth=2
	ds_read_u8 v39, v0 offset:2304
	s_waitcnt lgkmcnt(0)
	v_lshrrev_b32_sdwa v40, s41, v39 dst_sel:DWORD dst_unused:UNUSED_PAD src0_sel:DWORD src1_sel:BYTE_0
	v_xor_b32_e32 v39, -1, v39
	v_and_b32_e32 v40, s62, v40
	v_lshlrev_b32_e32 v40, 2, v40
	ds_read_b32 v40, v40
	s_waitcnt lgkmcnt(0)
	v_add_nc_u32_e32 v40, v40, v52
	global_store_byte v40, v39, s[46:47]
	s_or_b32 exec_lo, exec_lo, s22
	v_cmp_lt_u32_e64 s30, v53, v138
	s_and_saveexec_b32 s22, s30
	s_cbranch_execz .LBB92_801
.LBB92_873:                             ;   in Loop: Header=BB92_722 Depth=2
	ds_read_u8 v39, v0 offset:2560
	s_waitcnt lgkmcnt(0)
	v_lshrrev_b32_sdwa v40, s41, v39 dst_sel:DWORD dst_unused:UNUSED_PAD src0_sel:DWORD src1_sel:BYTE_0
	v_xor_b32_e32 v39, -1, v39
	v_and_b32_e32 v40, s62, v40
	v_lshlrev_b32_e32 v40, 2, v40
	ds_read_b32 v40, v40
	s_waitcnt lgkmcnt(0)
	v_add_nc_u32_e32 v40, v40, v53
	global_store_byte v40, v39, s[46:47]
	s_or_b32 exec_lo, exec_lo, s22
	v_cmp_lt_u32_e64 s29, v54, v138
	s_and_saveexec_b32 s22, s29
	s_cbranch_execz .LBB92_802
.LBB92_874:                             ;   in Loop: Header=BB92_722 Depth=2
	ds_read_u8 v39, v0 offset:2816
	s_waitcnt lgkmcnt(0)
	v_lshrrev_b32_sdwa v40, s41, v39 dst_sel:DWORD dst_unused:UNUSED_PAD src0_sel:DWORD src1_sel:BYTE_0
	v_xor_b32_e32 v39, -1, v39
	v_and_b32_e32 v40, s62, v40
	v_lshlrev_b32_e32 v40, 2, v40
	ds_read_b32 v40, v40
	s_waitcnt lgkmcnt(0)
	v_add_nc_u32_e32 v40, v40, v54
	global_store_byte v40, v39, s[46:47]
	s_or_b32 exec_lo, exec_lo, s22
	v_cmp_lt_u32_e64 s27, v55, v138
	s_and_saveexec_b32 s22, s27
	s_cbranch_execz .LBB92_803
.LBB92_875:                             ;   in Loop: Header=BB92_722 Depth=2
	ds_read_u8 v39, v0 offset:3072
	s_waitcnt lgkmcnt(0)
	v_lshrrev_b32_sdwa v40, s41, v39 dst_sel:DWORD dst_unused:UNUSED_PAD src0_sel:DWORD src1_sel:BYTE_0
	v_xor_b32_e32 v39, -1, v39
	v_and_b32_e32 v40, s62, v40
	v_lshlrev_b32_e32 v40, 2, v40
	ds_read_b32 v40, v40
	s_waitcnt lgkmcnt(0)
	v_add_nc_u32_e32 v40, v40, v55
	global_store_byte v40, v39, s[46:47]
	s_or_b32 exec_lo, exec_lo, s22
	v_cmp_lt_u32_e64 s26, v56, v138
	s_and_saveexec_b32 s22, s26
	s_cbranch_execz .LBB92_804
.LBB92_876:                             ;   in Loop: Header=BB92_722 Depth=2
	ds_read_u8 v39, v0 offset:3328
	s_waitcnt lgkmcnt(0)
	v_lshrrev_b32_sdwa v40, s41, v39 dst_sel:DWORD dst_unused:UNUSED_PAD src0_sel:DWORD src1_sel:BYTE_0
	v_xor_b32_e32 v39, -1, v39
	v_and_b32_e32 v40, s62, v40
	v_lshlrev_b32_e32 v40, 2, v40
	ds_read_b32 v40, v40
	s_waitcnt lgkmcnt(0)
	v_add_nc_u32_e32 v40, v40, v56
	global_store_byte v40, v39, s[46:47]
	s_or_b32 exec_lo, exec_lo, s22
	v_cmp_lt_u32_e64 s25, v57, v138
	s_and_saveexec_b32 s22, s25
	s_cbranch_execz .LBB92_805
.LBB92_877:                             ;   in Loop: Header=BB92_722 Depth=2
	ds_read_u8 v39, v0 offset:3584
	s_waitcnt lgkmcnt(0)
	v_lshrrev_b32_sdwa v40, s41, v39 dst_sel:DWORD dst_unused:UNUSED_PAD src0_sel:DWORD src1_sel:BYTE_0
	v_xor_b32_e32 v39, -1, v39
	v_and_b32_e32 v40, s62, v40
	v_lshlrev_b32_e32 v40, 2, v40
	ds_read_b32 v40, v40
	s_waitcnt lgkmcnt(0)
	v_add_nc_u32_e32 v40, v40, v57
	global_store_byte v40, v39, s[46:47]
	s_or_b32 exec_lo, exec_lo, s22
	v_cmp_lt_u32_e64 s24, v58, v138
	s_and_saveexec_b32 s22, s24
	s_cbranch_execz .LBB92_806
.LBB92_878:                             ;   in Loop: Header=BB92_722 Depth=2
	ds_read_u8 v39, v0 offset:3840
	s_waitcnt lgkmcnt(0)
	v_lshrrev_b32_sdwa v40, s41, v39 dst_sel:DWORD dst_unused:UNUSED_PAD src0_sel:DWORD src1_sel:BYTE_0
	v_xor_b32_e32 v39, -1, v39
	v_and_b32_e32 v40, s62, v40
	v_lshlrev_b32_e32 v40, 2, v40
	ds_read_b32 v40, v40
	s_waitcnt lgkmcnt(0)
	v_add_nc_u32_e32 v40, v40, v58
	global_store_byte v40, v39, s[46:47]
	s_or_b32 exec_lo, exec_lo, s22
	v_cmp_lt_u32_e64 s23, v59, v138
	s_and_saveexec_b32 s22, s23
	s_cbranch_execz .LBB92_807
.LBB92_879:                             ;   in Loop: Header=BB92_722 Depth=2
	ds_read_u8 v39, v0 offset:4096
	s_waitcnt lgkmcnt(0)
	v_lshrrev_b32_sdwa v40, s41, v39 dst_sel:DWORD dst_unused:UNUSED_PAD src0_sel:DWORD src1_sel:BYTE_0
	v_xor_b32_e32 v39, -1, v39
	v_and_b32_e32 v40, s62, v40
	v_lshlrev_b32_e32 v40, 2, v40
	ds_read_b32 v40, v40
	s_waitcnt lgkmcnt(0)
	v_add_nc_u32_e32 v40, v40, v59
	global_store_byte v40, v39, s[46:47]
	s_or_b32 exec_lo, exec_lo, s22
	v_cmp_lt_u32_e64 s22, v60, v138
	s_and_saveexec_b32 s40, s22
	s_cbranch_execz .LBB92_808
.LBB92_880:                             ;   in Loop: Header=BB92_722 Depth=2
	ds_read_u8 v39, v0 offset:4352
	s_waitcnt lgkmcnt(0)
	v_lshrrev_b32_sdwa v40, s41, v39 dst_sel:DWORD dst_unused:UNUSED_PAD src0_sel:DWORD src1_sel:BYTE_0
	v_xor_b32_e32 v39, -1, v39
	v_and_b32_e32 v40, s62, v40
	v_lshlrev_b32_e32 v40, 2, v40
	ds_read_b32 v40, v40
	s_waitcnt lgkmcnt(0)
	v_add_nc_u32_e32 v40, v40, v60
	global_store_byte v40, v39, s[46:47]
	s_or_b32 exec_lo, exec_lo, s40
	v_cmp_lt_u32_e32 vcc_lo, v61, v138
	s_and_saveexec_b32 s40, vcc_lo
	s_cbranch_execnz .LBB92_809
	s_branch .LBB92_810
.LBB92_881:                             ;   in Loop: Header=BB92_722 Depth=2
	global_load_dwordx2 v[37:38], v[39:40], off
	s_or_b32 exec_lo, exec_lo, s40
	s_mov_b32 s50, exec_lo
	v_cmpx_lt_u32_e64 v100, v138
	s_cbranch_execz .LBB92_812
.LBB92_882:                             ;   in Loop: Header=BB92_722 Depth=2
	global_load_dwordx2 v[35:36], v[39:40], off offset:256
	s_or_b32 exec_lo, exec_lo, s50
	s_mov_b32 s50, exec_lo
	v_cmpx_lt_u32_e64 v101, v138
	s_cbranch_execz .LBB92_813
.LBB92_883:                             ;   in Loop: Header=BB92_722 Depth=2
	global_load_dwordx2 v[33:34], v[39:40], off offset:512
	s_or_b32 exec_lo, exec_lo, s50
	s_mov_b32 s50, exec_lo
	v_cmpx_lt_u32_e64 v102, v138
	s_cbranch_execz .LBB92_814
.LBB92_884:                             ;   in Loop: Header=BB92_722 Depth=2
	global_load_dwordx2 v[31:32], v[39:40], off offset:768
	s_or_b32 exec_lo, exec_lo, s50
	s_mov_b32 s50, exec_lo
	v_cmpx_lt_u32_e64 v103, v138
	s_cbranch_execz .LBB92_815
.LBB92_885:                             ;   in Loop: Header=BB92_722 Depth=2
	global_load_dwordx2 v[29:30], v[39:40], off offset:1024
	s_or_b32 exec_lo, exec_lo, s50
	s_mov_b32 s50, exec_lo
	v_cmpx_lt_u32_e64 v104, v138
	s_cbranch_execz .LBB92_816
.LBB92_886:                             ;   in Loop: Header=BB92_722 Depth=2
	global_load_dwordx2 v[25:26], v[39:40], off offset:1280
	s_or_b32 exec_lo, exec_lo, s50
	s_mov_b32 s50, exec_lo
	v_cmpx_lt_u32_e64 v105, v138
	s_cbranch_execz .LBB92_817
.LBB92_887:                             ;   in Loop: Header=BB92_722 Depth=2
	global_load_dwordx2 v[21:22], v[39:40], off offset:1536
	s_or_b32 exec_lo, exec_lo, s50
	s_mov_b32 s50, exec_lo
	v_cmpx_lt_u32_e64 v106, v138
	s_cbranch_execz .LBB92_818
.LBB92_888:                             ;   in Loop: Header=BB92_722 Depth=2
	global_load_dwordx2 v[17:18], v[39:40], off offset:1792
	s_or_b32 exec_lo, exec_lo, s50
	s_mov_b32 s50, exec_lo
	v_cmpx_lt_u32_e64 v107, v138
	s_cbranch_execz .LBB92_819
.LBB92_889:                             ;   in Loop: Header=BB92_722 Depth=2
	v_add_co_u32 v27, s40, 0x800, v39
	v_add_co_ci_u32_e64 v28, null, 0, v40, s40
	global_load_dwordx2 v[27:28], v[27:28], off
	s_or_b32 exec_lo, exec_lo, s50
	s_mov_b32 s50, exec_lo
	v_cmpx_lt_u32_e64 v108, v138
	s_cbranch_execz .LBB92_820
.LBB92_890:                             ;   in Loop: Header=BB92_722 Depth=2
	v_add_co_u32 v23, s40, 0x800, v39
	v_add_co_ci_u32_e64 v24, null, 0, v40, s40
	global_load_dwordx2 v[23:24], v[23:24], off offset:256
	s_or_b32 exec_lo, exec_lo, s50
	s_mov_b32 s50, exec_lo
	v_cmpx_lt_u32_e64 v109, v138
	s_cbranch_execz .LBB92_821
.LBB92_891:                             ;   in Loop: Header=BB92_722 Depth=2
	v_add_co_u32 v19, s40, 0x800, v39
	v_add_co_ci_u32_e64 v20, null, 0, v40, s40
	global_load_dwordx2 v[19:20], v[19:20], off offset:512
	s_or_b32 exec_lo, exec_lo, s50
	s_mov_b32 s50, exec_lo
	v_cmpx_lt_u32_e64 v110, v138
	s_cbranch_execz .LBB92_822
.LBB92_892:                             ;   in Loop: Header=BB92_722 Depth=2
	v_add_co_u32 v15, s40, 0x800, v39
	v_add_co_ci_u32_e64 v16, null, 0, v40, s40
	global_load_dwordx2 v[15:16], v[15:16], off offset:768
	s_or_b32 exec_lo, exec_lo, s50
	s_mov_b32 s50, exec_lo
	v_cmpx_lt_u32_e64 v111, v138
	s_cbranch_execz .LBB92_823
.LBB92_893:                             ;   in Loop: Header=BB92_722 Depth=2
	v_add_co_u32 v13, s40, 0x800, v39
	v_add_co_ci_u32_e64 v14, null, 0, v40, s40
	global_load_dwordx2 v[13:14], v[13:14], off offset:1024
	s_or_b32 exec_lo, exec_lo, s50
	s_mov_b32 s50, exec_lo
	v_cmpx_lt_u32_e64 v112, v138
	s_cbranch_execz .LBB92_824
.LBB92_894:                             ;   in Loop: Header=BB92_722 Depth=2
	v_add_co_u32 v11, s40, 0x800, v39
	v_add_co_ci_u32_e64 v12, null, 0, v40, s40
	global_load_dwordx2 v[11:12], v[11:12], off offset:1280
	s_or_b32 exec_lo, exec_lo, s50
	s_mov_b32 s50, exec_lo
	v_cmpx_lt_u32_e64 v113, v138
	s_cbranch_execz .LBB92_825
.LBB92_895:                             ;   in Loop: Header=BB92_722 Depth=2
	v_add_co_u32 v9, s40, 0x800, v39
	v_add_co_ci_u32_e64 v10, null, 0, v40, s40
	global_load_dwordx2 v[9:10], v[9:10], off offset:1536
	s_or_b32 exec_lo, exec_lo, s50
	s_mov_b32 s50, exec_lo
	v_cmpx_lt_u32_e64 v114, v138
	s_cbranch_execz .LBB92_826
.LBB92_896:                             ;   in Loop: Header=BB92_722 Depth=2
	v_add_co_u32 v7, s40, 0x800, v39
	v_add_co_ci_u32_e64 v8, null, 0, v40, s40
	global_load_dwordx2 v[7:8], v[7:8], off offset:1792
	s_or_b32 exec_lo, exec_lo, s50
	s_mov_b32 s50, exec_lo
	v_cmpx_lt_u32_e64 v115, v138
	s_cbranch_execz .LBB92_827
.LBB92_897:                             ;   in Loop: Header=BB92_722 Depth=2
	v_add_co_u32 v5, s40, 0x1000, v39
	v_add_co_ci_u32_e64 v6, null, 0, v40, s40
	global_load_dwordx2 v[5:6], v[5:6], off
	s_or_b32 exec_lo, exec_lo, s50
	s_and_saveexec_b32 s40, s39
	s_cbranch_execz .LBB92_828
.LBB92_898:                             ;   in Loop: Header=BB92_722 Depth=2
	ds_read_u8 v39, v0 offset:512
	s_waitcnt lgkmcnt(0)
	v_lshrrev_b32_e32 v39, s41, v39
	v_and_b32_e32 v134, s62, v39
	s_or_b32 exec_lo, exec_lo, s40
	s_and_saveexec_b32 s40, s38
	s_cbranch_execz .LBB92_829
.LBB92_899:                             ;   in Loop: Header=BB92_722 Depth=2
	ds_read_u8 v39, v0 offset:768
	s_waitcnt lgkmcnt(0)
	v_lshrrev_b32_e32 v39, s41, v39
	v_and_b32_e32 v133, s62, v39
	s_or_b32 exec_lo, exec_lo, s40
	s_and_saveexec_b32 s40, s37
	s_cbranch_execz .LBB92_830
.LBB92_900:                             ;   in Loop: Header=BB92_722 Depth=2
	ds_read_u8 v39, v0 offset:1024
	s_waitcnt lgkmcnt(0)
	v_lshrrev_b32_e32 v39, s41, v39
	v_and_b32_e32 v132, s62, v39
	s_or_b32 exec_lo, exec_lo, s40
	s_and_saveexec_b32 s40, s36
	s_cbranch_execz .LBB92_831
.LBB92_901:                             ;   in Loop: Header=BB92_722 Depth=2
	ds_read_u8 v39, v0 offset:1280
	s_waitcnt lgkmcnt(0)
	v_lshrrev_b32_e32 v39, s41, v39
	v_and_b32_e32 v131, s62, v39
	s_or_b32 exec_lo, exec_lo, s40
	s_and_saveexec_b32 s40, s35
	s_cbranch_execz .LBB92_832
.LBB92_902:                             ;   in Loop: Header=BB92_722 Depth=2
	ds_read_u8 v39, v0 offset:1536
	s_waitcnt lgkmcnt(0)
	v_lshrrev_b32_e32 v39, s41, v39
	v_and_b32_e32 v130, s62, v39
	s_or_b32 exec_lo, exec_lo, s40
	s_and_saveexec_b32 s40, s34
	s_cbranch_execz .LBB92_833
.LBB92_903:                             ;   in Loop: Header=BB92_722 Depth=2
	ds_read_u8 v39, v0 offset:1792
	s_waitcnt lgkmcnt(0)
	v_lshrrev_b32_e32 v39, s41, v39
	v_and_b32_e32 v128, s62, v39
	s_or_b32 exec_lo, exec_lo, s40
	s_and_saveexec_b32 s40, s33
	s_cbranch_execz .LBB92_834
.LBB92_904:                             ;   in Loop: Header=BB92_722 Depth=2
	ds_read_u8 v39, v0 offset:2048
	s_waitcnt lgkmcnt(0)
	v_lshrrev_b32_e32 v39, s41, v39
	v_and_b32_e32 v127, s62, v39
	s_or_b32 exec_lo, exec_lo, s40
	s_and_saveexec_b32 s40, s31
	s_cbranch_execz .LBB92_835
.LBB92_905:                             ;   in Loop: Header=BB92_722 Depth=2
	ds_read_u8 v39, v0 offset:2304
	s_waitcnt lgkmcnt(0)
	v_lshrrev_b32_e32 v39, s41, v39
	v_and_b32_e32 v126, s62, v39
	s_or_b32 exec_lo, exec_lo, s40
	s_and_saveexec_b32 s40, s30
	s_cbranch_execz .LBB92_836
.LBB92_906:                             ;   in Loop: Header=BB92_722 Depth=2
	ds_read_u8 v39, v0 offset:2560
	s_waitcnt lgkmcnt(0)
	v_lshrrev_b32_e32 v39, s41, v39
	v_and_b32_e32 v125, s62, v39
	s_or_b32 exec_lo, exec_lo, s40
	s_and_saveexec_b32 s40, s29
	s_cbranch_execz .LBB92_837
.LBB92_907:                             ;   in Loop: Header=BB92_722 Depth=2
	ds_read_u8 v39, v0 offset:2816
	s_waitcnt lgkmcnt(0)
	v_lshrrev_b32_e32 v39, s41, v39
	v_and_b32_e32 v124, s62, v39
	s_or_b32 exec_lo, exec_lo, s40
	s_and_saveexec_b32 s40, s27
	s_cbranch_execz .LBB92_838
.LBB92_908:                             ;   in Loop: Header=BB92_722 Depth=2
	ds_read_u8 v39, v0 offset:3072
	s_waitcnt lgkmcnt(0)
	v_lshrrev_b32_e32 v39, s41, v39
	v_and_b32_e32 v123, s62, v39
	s_or_b32 exec_lo, exec_lo, s40
	s_and_saveexec_b32 s40, s26
	s_cbranch_execz .LBB92_839
.LBB92_909:                             ;   in Loop: Header=BB92_722 Depth=2
	ds_read_u8 v39, v0 offset:3328
	s_waitcnt lgkmcnt(0)
	v_lshrrev_b32_e32 v39, s41, v39
	v_and_b32_e32 v122, s62, v39
	s_or_b32 exec_lo, exec_lo, s40
	s_and_saveexec_b32 s40, s25
	s_cbranch_execz .LBB92_840
.LBB92_910:                             ;   in Loop: Header=BB92_722 Depth=2
	ds_read_u8 v39, v0 offset:3584
	s_waitcnt lgkmcnt(0)
	v_lshrrev_b32_e32 v39, s41, v39
	v_and_b32_e32 v121, s62, v39
	s_or_b32 exec_lo, exec_lo, s40
	s_and_saveexec_b32 s40, s24
	s_cbranch_execz .LBB92_841
.LBB92_911:                             ;   in Loop: Header=BB92_722 Depth=2
	ds_read_u8 v39, v0 offset:3840
	s_waitcnt lgkmcnt(0)
	v_lshrrev_b32_e32 v39, s41, v39
	v_and_b32_e32 v120, s62, v39
	s_or_b32 exec_lo, exec_lo, s40
	s_and_saveexec_b32 s40, s23
	s_cbranch_execz .LBB92_842
.LBB92_912:                             ;   in Loop: Header=BB92_722 Depth=2
	ds_read_u8 v39, v0 offset:4096
	s_waitcnt lgkmcnt(0)
	v_lshrrev_b32_e32 v39, s41, v39
	v_and_b32_e32 v119, s62, v39
	s_or_b32 exec_lo, exec_lo, s40
	s_and_saveexec_b32 s40, s22
	s_cbranch_execz .LBB92_843
.LBB92_913:                             ;   in Loop: Header=BB92_722 Depth=2
	ds_read_u8 v39, v0 offset:4352
	s_waitcnt lgkmcnt(0)
	v_lshrrev_b32_e32 v39, s41, v39
	v_and_b32_e32 v118, s62, v39
	s_or_b32 exec_lo, exec_lo, s40
	s_and_saveexec_b32 s40, vcc_lo
	s_cbranch_execnz .LBB92_844
	s_branch .LBB92_845
.LBB92_914:                             ;   in Loop: Header=BB92_722 Depth=2
	v_lshlrev_b32_e32 v3, 2, v134
	v_add_nc_u32_e32 v39, v0, v75
	ds_read_b32 v3, v3
	ds_read_b64 v[39:40], v39 offset:512
	s_waitcnt lgkmcnt(1)
	v_add_nc_u32_e32 v3, v3, v0
	v_lshlrev_b64 v[41:42], 3, v[3:4]
	v_add_co_u32 v41, s39, s52, v41
	v_add_co_ci_u32_e64 v42, null, s53, v42, s39
	s_waitcnt lgkmcnt(0)
	global_store_dwordx2 v[41:42], v[39:40], off
	s_or_b32 exec_lo, exec_lo, s40
	s_and_saveexec_b32 s39, s38
	s_cbranch_execz .LBB92_847
.LBB92_915:                             ;   in Loop: Header=BB92_722 Depth=2
	v_lshlrev_b32_e32 v3, 2, v133
	v_add_nc_u32_e32 v39, v0, v75
	ds_read_b32 v3, v3
	ds_read_b64 v[39:40], v39 offset:2560
	s_waitcnt lgkmcnt(1)
	v_add_nc_u32_e32 v3, v3, v44
	v_lshlrev_b64 v[41:42], 3, v[3:4]
	v_add_co_u32 v41, s38, s52, v41
	v_add_co_ci_u32_e64 v42, null, s53, v42, s38
	s_waitcnt lgkmcnt(0)
	global_store_dwordx2 v[41:42], v[39:40], off
	s_or_b32 exec_lo, exec_lo, s39
	s_and_saveexec_b32 s38, s37
	s_cbranch_execz .LBB92_848
.LBB92_916:                             ;   in Loop: Header=BB92_722 Depth=2
	v_lshlrev_b32_e32 v3, 2, v132
	v_add_nc_u32_e32 v39, v0, v75
	ds_read_b32 v3, v3
	ds_read_b64 v[39:40], v39 offset:4608
	s_waitcnt lgkmcnt(1)
	v_add_nc_u32_e32 v3, v3, v47
	v_lshlrev_b64 v[41:42], 3, v[3:4]
	v_add_co_u32 v41, s37, s52, v41
	v_add_co_ci_u32_e64 v42, null, s53, v42, s37
	s_waitcnt lgkmcnt(0)
	global_store_dwordx2 v[41:42], v[39:40], off
	s_or_b32 exec_lo, exec_lo, s38
	s_and_saveexec_b32 s37, s36
	s_cbranch_execz .LBB92_849
.LBB92_917:                             ;   in Loop: Header=BB92_722 Depth=2
	v_lshlrev_b32_e32 v3, 2, v131
	v_add_nc_u32_e32 v39, v0, v75
	ds_read_b32 v3, v3
	ds_read_b64 v[39:40], v39 offset:6656
	s_waitcnt lgkmcnt(1)
	v_add_nc_u32_e32 v3, v3, v48
	v_lshlrev_b64 v[41:42], 3, v[3:4]
	v_add_co_u32 v41, s36, s52, v41
	v_add_co_ci_u32_e64 v42, null, s53, v42, s36
	s_waitcnt lgkmcnt(0)
	global_store_dwordx2 v[41:42], v[39:40], off
	s_or_b32 exec_lo, exec_lo, s37
	s_and_saveexec_b32 s36, s35
	s_cbranch_execz .LBB92_850
.LBB92_918:                             ;   in Loop: Header=BB92_722 Depth=2
	v_lshlrev_b32_e32 v3, 2, v130
	v_add_nc_u32_e32 v39, v0, v75
	ds_read_b32 v3, v3
	ds_read_b64 v[39:40], v39 offset:8704
	s_waitcnt lgkmcnt(1)
	v_add_nc_u32_e32 v3, v3, v49
	v_lshlrev_b64 v[41:42], 3, v[3:4]
	v_add_co_u32 v41, s35, s52, v41
	v_add_co_ci_u32_e64 v42, null, s53, v42, s35
	s_waitcnt lgkmcnt(0)
	global_store_dwordx2 v[41:42], v[39:40], off
	s_or_b32 exec_lo, exec_lo, s36
	s_and_saveexec_b32 s35, s34
	s_cbranch_execz .LBB92_851
.LBB92_919:                             ;   in Loop: Header=BB92_722 Depth=2
	v_lshlrev_b32_e32 v3, 2, v128
	v_add_nc_u32_e32 v39, v0, v75
	ds_read_b32 v3, v3
	ds_read_b64 v[39:40], v39 offset:10752
	s_waitcnt lgkmcnt(1)
	v_add_nc_u32_e32 v3, v3, v50
	v_lshlrev_b64 v[41:42], 3, v[3:4]
	v_add_co_u32 v41, s34, s52, v41
	v_add_co_ci_u32_e64 v42, null, s53, v42, s34
	s_waitcnt lgkmcnt(0)
	global_store_dwordx2 v[41:42], v[39:40], off
	s_or_b32 exec_lo, exec_lo, s35
	s_and_saveexec_b32 s34, s33
	s_cbranch_execz .LBB92_852
.LBB92_920:                             ;   in Loop: Header=BB92_722 Depth=2
	v_lshlrev_b32_e32 v3, 2, v127
	v_add_nc_u32_e32 v39, v0, v75
	ds_read_b32 v3, v3
	ds_read_b64 v[39:40], v39 offset:12800
	s_waitcnt lgkmcnt(1)
	v_add_nc_u32_e32 v3, v3, v51
	v_lshlrev_b64 v[41:42], 3, v[3:4]
	v_add_co_u32 v41, s33, s52, v41
	v_add_co_ci_u32_e64 v42, null, s53, v42, s33
	s_waitcnt lgkmcnt(0)
	global_store_dwordx2 v[41:42], v[39:40], off
	s_or_b32 exec_lo, exec_lo, s34
	s_and_saveexec_b32 s33, s31
	s_cbranch_execz .LBB92_853
.LBB92_921:                             ;   in Loop: Header=BB92_722 Depth=2
	v_lshlrev_b32_e32 v3, 2, v126
	v_add_nc_u32_e32 v39, v0, v75
	ds_read_b32 v3, v3
	ds_read_b64 v[39:40], v39 offset:14848
	s_waitcnt lgkmcnt(1)
	v_add_nc_u32_e32 v3, v3, v52
	v_lshlrev_b64 v[41:42], 3, v[3:4]
	v_add_co_u32 v41, s31, s52, v41
	v_add_co_ci_u32_e64 v42, null, s53, v42, s31
	s_waitcnt lgkmcnt(0)
	global_store_dwordx2 v[41:42], v[39:40], off
	s_or_b32 exec_lo, exec_lo, s33
	s_and_saveexec_b32 s31, s30
	s_cbranch_execz .LBB92_854
.LBB92_922:                             ;   in Loop: Header=BB92_722 Depth=2
	v_lshlrev_b32_e32 v3, 2, v125
	v_add_nc_u32_e32 v39, v0, v75
	ds_read_b32 v3, v3
	ds_read_b64 v[39:40], v39 offset:16896
	s_waitcnt lgkmcnt(1)
	v_add_nc_u32_e32 v3, v3, v53
	v_lshlrev_b64 v[41:42], 3, v[3:4]
	v_add_co_u32 v41, s30, s52, v41
	v_add_co_ci_u32_e64 v42, null, s53, v42, s30
	s_waitcnt lgkmcnt(0)
	global_store_dwordx2 v[41:42], v[39:40], off
	s_or_b32 exec_lo, exec_lo, s31
	s_and_saveexec_b32 s30, s29
	s_cbranch_execz .LBB92_855
.LBB92_923:                             ;   in Loop: Header=BB92_722 Depth=2
	v_lshlrev_b32_e32 v3, 2, v124
	v_add_nc_u32_e32 v39, v0, v75
	ds_read_b32 v3, v3
	ds_read_b64 v[39:40], v39 offset:18944
	s_waitcnt lgkmcnt(1)
	v_add_nc_u32_e32 v3, v3, v54
	v_lshlrev_b64 v[41:42], 3, v[3:4]
	v_add_co_u32 v41, s29, s52, v41
	v_add_co_ci_u32_e64 v42, null, s53, v42, s29
	s_waitcnt lgkmcnt(0)
	global_store_dwordx2 v[41:42], v[39:40], off
	s_or_b32 exec_lo, exec_lo, s30
	s_and_saveexec_b32 s29, s27
	s_cbranch_execz .LBB92_856
.LBB92_924:                             ;   in Loop: Header=BB92_722 Depth=2
	v_lshlrev_b32_e32 v3, 2, v123
	v_add_nc_u32_e32 v39, v0, v75
	ds_read_b32 v3, v3
	ds_read_b64 v[39:40], v39 offset:20992
	s_waitcnt lgkmcnt(1)
	v_add_nc_u32_e32 v3, v3, v55
	v_lshlrev_b64 v[41:42], 3, v[3:4]
	v_add_co_u32 v41, s27, s52, v41
	v_add_co_ci_u32_e64 v42, null, s53, v42, s27
	s_waitcnt lgkmcnt(0)
	global_store_dwordx2 v[41:42], v[39:40], off
	s_or_b32 exec_lo, exec_lo, s29
	s_and_saveexec_b32 s27, s26
	s_cbranch_execz .LBB92_857
.LBB92_925:                             ;   in Loop: Header=BB92_722 Depth=2
	v_lshlrev_b32_e32 v3, 2, v122
	v_add_nc_u32_e32 v39, v0, v75
	ds_read_b32 v3, v3
	ds_read_b64 v[39:40], v39 offset:23040
	s_waitcnt lgkmcnt(1)
	v_add_nc_u32_e32 v3, v3, v56
	v_lshlrev_b64 v[41:42], 3, v[3:4]
	v_add_co_u32 v41, s26, s52, v41
	v_add_co_ci_u32_e64 v42, null, s53, v42, s26
	s_waitcnt lgkmcnt(0)
	global_store_dwordx2 v[41:42], v[39:40], off
	s_or_b32 exec_lo, exec_lo, s27
	s_and_saveexec_b32 s26, s25
	s_cbranch_execz .LBB92_858
.LBB92_926:                             ;   in Loop: Header=BB92_722 Depth=2
	v_lshlrev_b32_e32 v3, 2, v121
	v_add_nc_u32_e32 v39, v0, v75
	ds_read_b32 v3, v3
	ds_read_b64 v[39:40], v39 offset:25088
	s_waitcnt lgkmcnt(1)
	v_add_nc_u32_e32 v3, v3, v57
	v_lshlrev_b64 v[41:42], 3, v[3:4]
	v_add_co_u32 v41, s25, s52, v41
	v_add_co_ci_u32_e64 v42, null, s53, v42, s25
	s_waitcnt lgkmcnt(0)
	global_store_dwordx2 v[41:42], v[39:40], off
	s_or_b32 exec_lo, exec_lo, s26
	s_and_saveexec_b32 s25, s24
	s_cbranch_execz .LBB92_859
.LBB92_927:                             ;   in Loop: Header=BB92_722 Depth=2
	v_lshlrev_b32_e32 v3, 2, v120
	v_add_nc_u32_e32 v39, v0, v75
	ds_read_b32 v3, v3
	ds_read_b64 v[39:40], v39 offset:27136
	s_waitcnt lgkmcnt(1)
	v_add_nc_u32_e32 v3, v3, v58
	v_lshlrev_b64 v[41:42], 3, v[3:4]
	v_add_co_u32 v41, s24, s52, v41
	v_add_co_ci_u32_e64 v42, null, s53, v42, s24
	s_waitcnt lgkmcnt(0)
	global_store_dwordx2 v[41:42], v[39:40], off
	s_or_b32 exec_lo, exec_lo, s25
	s_and_saveexec_b32 s24, s23
	s_cbranch_execz .LBB92_860
.LBB92_928:                             ;   in Loop: Header=BB92_722 Depth=2
	v_lshlrev_b32_e32 v3, 2, v119
	v_add_nc_u32_e32 v39, v0, v75
	ds_read_b32 v3, v3
	ds_read_b64 v[39:40], v39 offset:29184
	s_waitcnt lgkmcnt(1)
	v_add_nc_u32_e32 v3, v3, v59
	v_lshlrev_b64 v[41:42], 3, v[3:4]
	v_add_co_u32 v41, s23, s52, v41
	v_add_co_ci_u32_e64 v42, null, s53, v42, s23
	s_waitcnt lgkmcnt(0)
	global_store_dwordx2 v[41:42], v[39:40], off
	s_or_b32 exec_lo, exec_lo, s24
	s_and_saveexec_b32 s23, s22
	s_cbranch_execz .LBB92_861
.LBB92_929:                             ;   in Loop: Header=BB92_722 Depth=2
	v_lshlrev_b32_e32 v3, 2, v118
	v_add_nc_u32_e32 v39, v0, v75
	ds_read_b32 v3, v3
	ds_read_b64 v[39:40], v39 offset:31232
	s_waitcnt lgkmcnt(1)
	v_add_nc_u32_e32 v3, v3, v60
	v_lshlrev_b64 v[41:42], 3, v[3:4]
	v_add_co_u32 v41, s22, s52, v41
	v_add_co_ci_u32_e64 v42, null, s53, v42, s22
	s_waitcnt lgkmcnt(0)
	global_store_dwordx2 v[41:42], v[39:40], off
	s_or_b32 exec_lo, exec_lo, s23
	s_and_saveexec_b32 s22, vcc_lo
	s_cbranch_execnz .LBB92_862
	s_branch .LBB92_863
.LBB92_930:                             ;   in Loop: Header=BB92_722 Depth=2
	global_load_ubyte v151, v[39:40], off offset:32
	s_or_b32 exec_lo, exec_lo, s22
	s_mov_b32 s22, exec_lo
	v_cmpx_gt_u32_e64 s63, v101
	s_cbranch_execz .LBB92_729
.LBB92_931:                             ;   in Loop: Header=BB92_722 Depth=2
	global_load_ubyte v147, v[39:40], off offset:64
	s_or_b32 exec_lo, exec_lo, s22
	s_mov_b32 s22, exec_lo
	v_cmpx_gt_u32_e64 s63, v102
	s_cbranch_execz .LBB92_730
.LBB92_932:                             ;   in Loop: Header=BB92_722 Depth=2
	global_load_ubyte v148, v[39:40], off offset:96
	s_or_b32 exec_lo, exec_lo, s22
	s_mov_b32 s22, exec_lo
	v_cmpx_gt_u32_e64 s63, v103
	s_cbranch_execz .LBB92_731
.LBB92_933:                             ;   in Loop: Header=BB92_722 Depth=2
	global_load_ubyte v150, v[39:40], off offset:128
	s_or_b32 exec_lo, exec_lo, s22
	s_mov_b32 s22, exec_lo
	v_cmpx_gt_u32_e64 s63, v104
	s_cbranch_execz .LBB92_732
.LBB92_934:                             ;   in Loop: Header=BB92_722 Depth=2
	global_load_ubyte v143, v[39:40], off offset:160
	s_or_b32 exec_lo, exec_lo, s22
	s_mov_b32 s22, exec_lo
	v_cmpx_gt_u32_e64 s63, v105
	s_cbranch_execz .LBB92_733
.LBB92_935:                             ;   in Loop: Header=BB92_722 Depth=2
	global_load_ubyte v144, v[39:40], off offset:192
	s_or_b32 exec_lo, exec_lo, s22
	s_mov_b32 s22, exec_lo
	v_cmpx_gt_u32_e64 s63, v106
	s_cbranch_execz .LBB92_734
.LBB92_936:                             ;   in Loop: Header=BB92_722 Depth=2
	global_load_ubyte v145, v[39:40], off offset:224
	s_or_b32 exec_lo, exec_lo, s22
	s_mov_b32 s22, exec_lo
	v_cmpx_gt_u32_e64 s63, v107
	s_cbranch_execz .LBB92_735
.LBB92_937:                             ;   in Loop: Header=BB92_722 Depth=2
	global_load_ubyte v142, v[39:40], off offset:256
	s_or_b32 exec_lo, exec_lo, s22
	s_mov_b32 s22, exec_lo
	v_cmpx_gt_u32_e64 s63, v108
	s_cbranch_execz .LBB92_736
.LBB92_938:                             ;   in Loop: Header=BB92_722 Depth=2
	global_load_ubyte v139, v[39:40], off offset:288
	s_or_b32 exec_lo, exec_lo, s22
	s_mov_b32 s22, exec_lo
	v_cmpx_gt_u32_e64 s63, v109
	s_cbranch_execz .LBB92_737
.LBB92_939:                             ;   in Loop: Header=BB92_722 Depth=2
	global_load_ubyte v140, v[39:40], off offset:320
	s_or_b32 exec_lo, exec_lo, s22
	s_mov_b32 s22, exec_lo
	v_cmpx_gt_u32_e64 s63, v110
	s_cbranch_execz .LBB92_738
.LBB92_940:                             ;   in Loop: Header=BB92_722 Depth=2
	global_load_ubyte v141, v[39:40], off offset:352
	s_or_b32 exec_lo, exec_lo, s22
	s_mov_b32 s22, exec_lo
	v_cmpx_gt_u32_e64 s63, v111
	s_cbranch_execz .LBB92_739
.LBB92_941:                             ;   in Loop: Header=BB92_722 Depth=2
	global_load_ubyte v137, v[39:40], off offset:384
	s_or_b32 exec_lo, exec_lo, s22
	s_mov_b32 s22, exec_lo
	v_cmpx_gt_u32_e64 s63, v112
	s_cbranch_execz .LBB92_740
.LBB92_942:                             ;   in Loop: Header=BB92_722 Depth=2
	global_load_ubyte v3, v[39:40], off offset:416
	s_or_b32 exec_lo, exec_lo, s22
	s_mov_b32 s22, exec_lo
	v_cmpx_gt_u32_e64 s63, v113
	s_cbranch_execz .LBB92_741
.LBB92_943:                             ;   in Loop: Header=BB92_722 Depth=2
	global_load_ubyte v41, v[39:40], off offset:448
	s_or_b32 exec_lo, exec_lo, s22
	s_mov_b32 s22, exec_lo
	v_cmpx_gt_u32_e64 s63, v114
	s_cbranch_execnz .LBB92_742
	s_branch .LBB92_743
.LBB92_944:                             ;   in Loop: Header=BB92_12 Depth=1
	s_waitcnt lgkmcnt(0)
	s_mov_b32 s5, 0
	s_barrier
.LBB92_945:                             ;   in Loop: Header=BB92_12 Depth=1
	s_and_b32 vcc_lo, exec_lo, s5
	s_cbranch_vccz .LBB92_11
; %bb.946:                              ;   in Loop: Header=BB92_12 Depth=1
	v_mov_b32_e32 v17, 0
	v_mov_b32_e32 v20, 0
	;; [unrolled: 1-line block ×17, first 2 shown]
	s_mov_b32 s5, s60
	s_mov_b32 s16, s58
	s_barrier
	buffer_gl0_inv
	s_branch .LBB92_948
.LBB92_947:                             ;   in Loop: Header=BB92_948 Depth=2
	s_or_b32 exec_lo, exec_lo, s15
	s_addk_i32 s5, 0xef00
	s_cmp_ge_u32 s14, s59
	s_mov_b32 s16, s14
	s_cbranch_scc1 .LBB92_1020
.LBB92_948:                             ;   Parent Loop BB92_12 Depth=1
                                        ; =>  This Inner Loop Header: Depth=2
	s_add_i32 s14, s16, 0x1100
	s_mov_b32 s15, -1
	s_cmp_gt_u32 s14, s59
                                        ; implicit-def: $vgpr21
                                        ; implicit-def: $vgpr22
                                        ; implicit-def: $vgpr23
                                        ; implicit-def: $vgpr24
                                        ; implicit-def: $vgpr25
                                        ; implicit-def: $vgpr26
                                        ; implicit-def: $vgpr27
                                        ; implicit-def: $vgpr28
                                        ; implicit-def: $vgpr29
                                        ; implicit-def: $vgpr30
                                        ; implicit-def: $vgpr31
                                        ; implicit-def: $vgpr32
                                        ; implicit-def: $vgpr33
                                        ; implicit-def: $vgpr34
                                        ; implicit-def: $vgpr35
                                        ; implicit-def: $vgpr36
                                        ; implicit-def: $vgpr37
	s_cbranch_scc1 .LBB92_950
; %bb.949:                              ;   in Loop: Header=BB92_948 Depth=2
	v_add_co_u32 v38, vcc_lo, v82, s16
	v_add_co_ci_u32_e64 v39, null, 0, v83, vcc_lo
	s_mov_b32 s15, 0
	v_add_co_u32 v21, vcc_lo, 0x800, v38
	v_add_co_ci_u32_e64 v22, null, 0, v39, vcc_lo
	v_add_co_u32 v23, vcc_lo, 0x1000, v38
	v_add_co_ci_u32_e64 v24, null, 0, v39, vcc_lo
	s_clause 0x10
	global_load_ubyte v36, v[21:22], off offset:1792
	global_load_ubyte v37, v[23:24], off
	global_load_ubyte v35, v[21:22], off offset:1536
	global_load_ubyte v34, v[21:22], off offset:1280
	;; [unrolled: 1-line block ×6, first 2 shown]
	global_load_ubyte v29, v[21:22], off
	global_load_ubyte v28, v[38:39], off offset:1792
	global_load_ubyte v27, v[38:39], off offset:1536
	;; [unrolled: 1-line block ×7, first 2 shown]
	global_load_ubyte v21, v[38:39], off
.LBB92_950:                             ;   in Loop: Header=BB92_948 Depth=2
	s_andn2_b32 vcc_lo, exec_lo, s15
	s_movk_i32 s15, 0x1100
	s_cbranch_vccnz .LBB92_970
; %bb.951:                              ;   in Loop: Header=BB92_948 Depth=2
	s_add_u32 s15, s44, s16
	s_addc_u32 s16, s45, 0
	s_mov_b32 s17, exec_lo
	v_cmpx_gt_u32_e64 s5, v0
	s_cbranch_execnz .LBB92_1004
; %bb.952:                              ;   in Loop: Header=BB92_948 Depth=2
	s_or_b32 exec_lo, exec_lo, s17
	s_mov_b32 s17, exec_lo
	v_cmpx_gt_u32_e64 s5, v44
	s_cbranch_execnz .LBB92_1005
.LBB92_953:                             ;   in Loop: Header=BB92_948 Depth=2
	s_or_b32 exec_lo, exec_lo, s17
	s_mov_b32 s17, exec_lo
	v_cmpx_gt_u32_e64 s5, v47
	s_cbranch_execnz .LBB92_1006
.LBB92_954:                             ;   in Loop: Header=BB92_948 Depth=2
	s_or_b32 exec_lo, exec_lo, s17
	s_mov_b32 s17, exec_lo
	v_cmpx_gt_u32_e64 s5, v48
	s_cbranch_execnz .LBB92_1007
.LBB92_955:                             ;   in Loop: Header=BB92_948 Depth=2
	s_or_b32 exec_lo, exec_lo, s17
	s_mov_b32 s17, exec_lo
	v_cmpx_gt_u32_e64 s5, v49
	s_cbranch_execnz .LBB92_1008
.LBB92_956:                             ;   in Loop: Header=BB92_948 Depth=2
	s_or_b32 exec_lo, exec_lo, s17
	s_mov_b32 s17, exec_lo
	v_cmpx_gt_u32_e64 s5, v50
	s_cbranch_execnz .LBB92_1009
.LBB92_957:                             ;   in Loop: Header=BB92_948 Depth=2
	s_or_b32 exec_lo, exec_lo, s17
	s_mov_b32 s17, exec_lo
	v_cmpx_gt_u32_e64 s5, v51
	s_cbranch_execnz .LBB92_1010
.LBB92_958:                             ;   in Loop: Header=BB92_948 Depth=2
	s_or_b32 exec_lo, exec_lo, s17
	s_mov_b32 s17, exec_lo
	v_cmpx_gt_u32_e64 s5, v52
	s_cbranch_execnz .LBB92_1011
.LBB92_959:                             ;   in Loop: Header=BB92_948 Depth=2
	s_or_b32 exec_lo, exec_lo, s17
	s_mov_b32 s17, exec_lo
	v_cmpx_gt_u32_e64 s5, v53
	s_cbranch_execnz .LBB92_1012
.LBB92_960:                             ;   in Loop: Header=BB92_948 Depth=2
	s_or_b32 exec_lo, exec_lo, s17
	s_mov_b32 s17, exec_lo
	v_cmpx_gt_u32_e64 s5, v54
	s_cbranch_execnz .LBB92_1013
.LBB92_961:                             ;   in Loop: Header=BB92_948 Depth=2
	s_or_b32 exec_lo, exec_lo, s17
	s_mov_b32 s17, exec_lo
	v_cmpx_gt_u32_e64 s5, v55
	s_cbranch_execnz .LBB92_1014
.LBB92_962:                             ;   in Loop: Header=BB92_948 Depth=2
	s_or_b32 exec_lo, exec_lo, s17
	s_mov_b32 s17, exec_lo
	v_cmpx_gt_u32_e64 s5, v56
	s_cbranch_execnz .LBB92_1015
.LBB92_963:                             ;   in Loop: Header=BB92_948 Depth=2
	s_or_b32 exec_lo, exec_lo, s17
	s_mov_b32 s17, exec_lo
	v_cmpx_gt_u32_e64 s5, v57
	s_cbranch_execnz .LBB92_1016
.LBB92_964:                             ;   in Loop: Header=BB92_948 Depth=2
	s_or_b32 exec_lo, exec_lo, s17
	s_mov_b32 s17, exec_lo
	v_cmpx_gt_u32_e64 s5, v58
	s_cbranch_execnz .LBB92_1017
.LBB92_965:                             ;   in Loop: Header=BB92_948 Depth=2
	s_or_b32 exec_lo, exec_lo, s17
	s_mov_b32 s17, exec_lo
	v_cmpx_gt_u32_e64 s5, v59
	s_cbranch_execnz .LBB92_1018
.LBB92_966:                             ;   in Loop: Header=BB92_948 Depth=2
	s_or_b32 exec_lo, exec_lo, s17
	s_mov_b32 s17, exec_lo
	v_cmpx_gt_u32_e64 s5, v60
	s_cbranch_execnz .LBB92_1019
.LBB92_967:                             ;   in Loop: Header=BB92_948 Depth=2
	s_or_b32 exec_lo, exec_lo, s17
	s_mov_b32 s17, exec_lo
	v_cmpx_gt_u32_e64 s5, v61
	s_cbranch_execz .LBB92_969
.LBB92_968:                             ;   in Loop: Header=BB92_948 Depth=2
	s_waitcnt vmcnt(0)
	v_add_co_u32 v21, s15, s15, v61
	v_add_co_ci_u32_e64 v22, null, s16, 0, s15
	global_load_ubyte v3, v[21:22], off
.LBB92_969:                             ;   in Loop: Header=BB92_948 Depth=2
	s_or_b32 exec_lo, exec_lo, s17
	s_waitcnt vmcnt(0)
	v_mov_b32_e32 v21, v17
	v_mov_b32_e32 v22, v20
	;; [unrolled: 1-line block ×17, first 2 shown]
	s_mov_b32 s15, s5
.LBB92_970:                             ;   in Loop: Header=BB92_948 Depth=2
	s_waitcnt vmcnt(15)
	v_mov_b32_e32 v3, v37
	v_mov_b32_e32 v5, v36
	s_waitcnt vmcnt(14)
	v_mov_b32_e32 v6, v35
	s_waitcnt vmcnt(13)
	;; [unrolled: 2-line block ×15, first 2 shown]
	v_mov_b32_e32 v17, v21
	s_mov_b32 s16, exec_lo
	v_cmpx_gt_u32_e64 s15, v0
	s_cbranch_execnz .LBB92_987
; %bb.971:                              ;   in Loop: Header=BB92_948 Depth=2
	s_or_b32 exec_lo, exec_lo, s16
	s_mov_b32 s16, exec_lo
	v_cmpx_gt_u32_e64 s15, v44
	s_cbranch_execnz .LBB92_988
.LBB92_972:                             ;   in Loop: Header=BB92_948 Depth=2
	s_or_b32 exec_lo, exec_lo, s16
	s_mov_b32 s16, exec_lo
	v_cmpx_gt_u32_e64 s15, v47
	s_cbranch_execnz .LBB92_989
.LBB92_973:                             ;   in Loop: Header=BB92_948 Depth=2
	s_or_b32 exec_lo, exec_lo, s16
	s_mov_b32 s16, exec_lo
	v_cmpx_gt_u32_e64 s15, v48
	s_cbranch_execnz .LBB92_990
.LBB92_974:                             ;   in Loop: Header=BB92_948 Depth=2
	s_or_b32 exec_lo, exec_lo, s16
	s_mov_b32 s16, exec_lo
	v_cmpx_gt_u32_e64 s15, v49
	s_cbranch_execnz .LBB92_991
.LBB92_975:                             ;   in Loop: Header=BB92_948 Depth=2
	s_or_b32 exec_lo, exec_lo, s16
	s_mov_b32 s16, exec_lo
	v_cmpx_gt_u32_e64 s15, v50
	s_cbranch_execnz .LBB92_992
.LBB92_976:                             ;   in Loop: Header=BB92_948 Depth=2
	s_or_b32 exec_lo, exec_lo, s16
	s_mov_b32 s16, exec_lo
	v_cmpx_gt_u32_e64 s15, v51
	s_cbranch_execnz .LBB92_993
.LBB92_977:                             ;   in Loop: Header=BB92_948 Depth=2
	s_or_b32 exec_lo, exec_lo, s16
	s_mov_b32 s16, exec_lo
	v_cmpx_gt_u32_e64 s15, v52
	s_cbranch_execnz .LBB92_994
.LBB92_978:                             ;   in Loop: Header=BB92_948 Depth=2
	s_or_b32 exec_lo, exec_lo, s16
	s_mov_b32 s16, exec_lo
	v_cmpx_gt_u32_e64 s15, v53
	s_cbranch_execnz .LBB92_995
.LBB92_979:                             ;   in Loop: Header=BB92_948 Depth=2
	s_or_b32 exec_lo, exec_lo, s16
	s_mov_b32 s16, exec_lo
	v_cmpx_gt_u32_e64 s15, v54
	s_cbranch_execnz .LBB92_996
.LBB92_980:                             ;   in Loop: Header=BB92_948 Depth=2
	s_or_b32 exec_lo, exec_lo, s16
	s_mov_b32 s16, exec_lo
	v_cmpx_gt_u32_e64 s15, v55
	s_cbranch_execnz .LBB92_997
.LBB92_981:                             ;   in Loop: Header=BB92_948 Depth=2
	s_or_b32 exec_lo, exec_lo, s16
	s_mov_b32 s16, exec_lo
	v_cmpx_gt_u32_e64 s15, v56
	s_cbranch_execnz .LBB92_998
.LBB92_982:                             ;   in Loop: Header=BB92_948 Depth=2
	s_or_b32 exec_lo, exec_lo, s16
	s_mov_b32 s16, exec_lo
	v_cmpx_gt_u32_e64 s15, v57
	s_cbranch_execnz .LBB92_999
.LBB92_983:                             ;   in Loop: Header=BB92_948 Depth=2
	s_or_b32 exec_lo, exec_lo, s16
	s_mov_b32 s16, exec_lo
	v_cmpx_gt_u32_e64 s15, v58
	s_cbranch_execnz .LBB92_1000
.LBB92_984:                             ;   in Loop: Header=BB92_948 Depth=2
	s_or_b32 exec_lo, exec_lo, s16
	s_mov_b32 s16, exec_lo
	v_cmpx_gt_u32_e64 s15, v59
	s_cbranch_execnz .LBB92_1001
.LBB92_985:                             ;   in Loop: Header=BB92_948 Depth=2
	s_or_b32 exec_lo, exec_lo, s16
	s_mov_b32 s16, exec_lo
	v_cmpx_gt_u32_e64 s15, v60
	s_cbranch_execnz .LBB92_1002
.LBB92_986:                             ;   in Loop: Header=BB92_948 Depth=2
	s_or_b32 exec_lo, exec_lo, s16
	v_cmp_gt_u32_e32 vcc_lo, s15, v61
	s_and_saveexec_b32 s15, vcc_lo
	s_cbranch_execz .LBB92_947
	s_branch .LBB92_1003
.LBB92_987:                             ;   in Loop: Header=BB92_948 Depth=2
	v_xor_b32_e32 v21, -1, v17
	v_lshrrev_b32_sdwa v21, s41, v21 dst_sel:DWORD dst_unused:UNUSED_PAD src0_sel:DWORD src1_sel:BYTE_0
	v_and_b32_e32 v21, s62, v21
	v_lshl_or_b32 v21, v21, 4, v63
	ds_add_u32 v21, v89
	s_or_b32 exec_lo, exec_lo, s16
	s_mov_b32 s16, exec_lo
	v_cmpx_gt_u32_e64 s15, v44
	s_cbranch_execz .LBB92_972
.LBB92_988:                             ;   in Loop: Header=BB92_948 Depth=2
	v_xor_b32_e32 v21, -1, v20
	v_lshrrev_b32_sdwa v21, s41, v21 dst_sel:DWORD dst_unused:UNUSED_PAD src0_sel:DWORD src1_sel:BYTE_0
	v_and_b32_e32 v21, s62, v21
	v_lshl_or_b32 v21, v21, 4, v63
	ds_add_u32 v21, v89
	s_or_b32 exec_lo, exec_lo, s16
	s_mov_b32 s16, exec_lo
	v_cmpx_gt_u32_e64 s15, v47
	s_cbranch_execz .LBB92_973
.LBB92_989:                             ;   in Loop: Header=BB92_948 Depth=2
	v_xor_b32_e32 v21, -1, v19
	v_lshrrev_b32_sdwa v21, s41, v21 dst_sel:DWORD dst_unused:UNUSED_PAD src0_sel:DWORD src1_sel:BYTE_0
	v_and_b32_e32 v21, s62, v21
	v_lshl_or_b32 v21, v21, 4, v63
	ds_add_u32 v21, v89
	s_or_b32 exec_lo, exec_lo, s16
	s_mov_b32 s16, exec_lo
	v_cmpx_gt_u32_e64 s15, v48
	s_cbranch_execz .LBB92_974
.LBB92_990:                             ;   in Loop: Header=BB92_948 Depth=2
	v_xor_b32_e32 v21, -1, v18
	v_lshrrev_b32_sdwa v21, s41, v21 dst_sel:DWORD dst_unused:UNUSED_PAD src0_sel:DWORD src1_sel:BYTE_0
	v_and_b32_e32 v21, s62, v21
	v_lshl_or_b32 v21, v21, 4, v63
	ds_add_u32 v21, v89
	s_or_b32 exec_lo, exec_lo, s16
	s_mov_b32 s16, exec_lo
	v_cmpx_gt_u32_e64 s15, v49
	s_cbranch_execz .LBB92_975
.LBB92_991:                             ;   in Loop: Header=BB92_948 Depth=2
	v_xor_b32_e32 v21, -1, v16
	v_lshrrev_b32_sdwa v21, s41, v21 dst_sel:DWORD dst_unused:UNUSED_PAD src0_sel:DWORD src1_sel:BYTE_0
	v_and_b32_e32 v21, s62, v21
	v_lshl_or_b32 v21, v21, 4, v63
	ds_add_u32 v21, v89
	s_or_b32 exec_lo, exec_lo, s16
	s_mov_b32 s16, exec_lo
	v_cmpx_gt_u32_e64 s15, v50
	s_cbranch_execz .LBB92_976
.LBB92_992:                             ;   in Loop: Header=BB92_948 Depth=2
	v_xor_b32_e32 v21, -1, v15
	v_lshrrev_b32_sdwa v21, s41, v21 dst_sel:DWORD dst_unused:UNUSED_PAD src0_sel:DWORD src1_sel:BYTE_0
	v_and_b32_e32 v21, s62, v21
	v_lshl_or_b32 v21, v21, 4, v63
	ds_add_u32 v21, v89
	s_or_b32 exec_lo, exec_lo, s16
	s_mov_b32 s16, exec_lo
	v_cmpx_gt_u32_e64 s15, v51
	s_cbranch_execz .LBB92_977
.LBB92_993:                             ;   in Loop: Header=BB92_948 Depth=2
	v_xor_b32_e32 v21, -1, v14
	v_lshrrev_b32_sdwa v21, s41, v21 dst_sel:DWORD dst_unused:UNUSED_PAD src0_sel:DWORD src1_sel:BYTE_0
	v_and_b32_e32 v21, s62, v21
	v_lshl_or_b32 v21, v21, 4, v63
	ds_add_u32 v21, v89
	s_or_b32 exec_lo, exec_lo, s16
	s_mov_b32 s16, exec_lo
	v_cmpx_gt_u32_e64 s15, v52
	s_cbranch_execz .LBB92_978
.LBB92_994:                             ;   in Loop: Header=BB92_948 Depth=2
	v_xor_b32_e32 v21, -1, v13
	v_lshrrev_b32_sdwa v21, s41, v21 dst_sel:DWORD dst_unused:UNUSED_PAD src0_sel:DWORD src1_sel:BYTE_0
	v_and_b32_e32 v21, s62, v21
	v_lshl_or_b32 v21, v21, 4, v63
	ds_add_u32 v21, v89
	s_or_b32 exec_lo, exec_lo, s16
	s_mov_b32 s16, exec_lo
	v_cmpx_gt_u32_e64 s15, v53
	s_cbranch_execz .LBB92_979
.LBB92_995:                             ;   in Loop: Header=BB92_948 Depth=2
	v_xor_b32_e32 v21, -1, v12
	v_lshrrev_b32_sdwa v21, s41, v21 dst_sel:DWORD dst_unused:UNUSED_PAD src0_sel:DWORD src1_sel:BYTE_0
	v_and_b32_e32 v21, s62, v21
	v_lshl_or_b32 v21, v21, 4, v63
	ds_add_u32 v21, v89
	s_or_b32 exec_lo, exec_lo, s16
	s_mov_b32 s16, exec_lo
	v_cmpx_gt_u32_e64 s15, v54
	s_cbranch_execz .LBB92_980
.LBB92_996:                             ;   in Loop: Header=BB92_948 Depth=2
	v_xor_b32_e32 v21, -1, v11
	v_lshrrev_b32_sdwa v21, s41, v21 dst_sel:DWORD dst_unused:UNUSED_PAD src0_sel:DWORD src1_sel:BYTE_0
	v_and_b32_e32 v21, s62, v21
	v_lshl_or_b32 v21, v21, 4, v63
	ds_add_u32 v21, v89
	s_or_b32 exec_lo, exec_lo, s16
	s_mov_b32 s16, exec_lo
	v_cmpx_gt_u32_e64 s15, v55
	s_cbranch_execz .LBB92_981
.LBB92_997:                             ;   in Loop: Header=BB92_948 Depth=2
	v_xor_b32_e32 v21, -1, v10
	v_lshrrev_b32_sdwa v21, s41, v21 dst_sel:DWORD dst_unused:UNUSED_PAD src0_sel:DWORD src1_sel:BYTE_0
	v_and_b32_e32 v21, s62, v21
	v_lshl_or_b32 v21, v21, 4, v63
	ds_add_u32 v21, v89
	s_or_b32 exec_lo, exec_lo, s16
	s_mov_b32 s16, exec_lo
	v_cmpx_gt_u32_e64 s15, v56
	s_cbranch_execz .LBB92_982
.LBB92_998:                             ;   in Loop: Header=BB92_948 Depth=2
	v_xor_b32_e32 v21, -1, v9
	v_lshrrev_b32_sdwa v21, s41, v21 dst_sel:DWORD dst_unused:UNUSED_PAD src0_sel:DWORD src1_sel:BYTE_0
	v_and_b32_e32 v21, s62, v21
	v_lshl_or_b32 v21, v21, 4, v63
	ds_add_u32 v21, v89
	s_or_b32 exec_lo, exec_lo, s16
	s_mov_b32 s16, exec_lo
	v_cmpx_gt_u32_e64 s15, v57
	s_cbranch_execz .LBB92_983
.LBB92_999:                             ;   in Loop: Header=BB92_948 Depth=2
	v_xor_b32_e32 v21, -1, v8
	v_lshrrev_b32_sdwa v21, s41, v21 dst_sel:DWORD dst_unused:UNUSED_PAD src0_sel:DWORD src1_sel:BYTE_0
	v_and_b32_e32 v21, s62, v21
	v_lshl_or_b32 v21, v21, 4, v63
	ds_add_u32 v21, v89
	s_or_b32 exec_lo, exec_lo, s16
	s_mov_b32 s16, exec_lo
	v_cmpx_gt_u32_e64 s15, v58
	s_cbranch_execz .LBB92_984
.LBB92_1000:                            ;   in Loop: Header=BB92_948 Depth=2
	v_xor_b32_e32 v21, -1, v7
	v_lshrrev_b32_sdwa v21, s41, v21 dst_sel:DWORD dst_unused:UNUSED_PAD src0_sel:DWORD src1_sel:BYTE_0
	v_and_b32_e32 v21, s62, v21
	v_lshl_or_b32 v21, v21, 4, v63
	ds_add_u32 v21, v89
	s_or_b32 exec_lo, exec_lo, s16
	s_mov_b32 s16, exec_lo
	v_cmpx_gt_u32_e64 s15, v59
	s_cbranch_execz .LBB92_985
.LBB92_1001:                            ;   in Loop: Header=BB92_948 Depth=2
	v_xor_b32_e32 v21, -1, v6
	v_lshrrev_b32_sdwa v21, s41, v21 dst_sel:DWORD dst_unused:UNUSED_PAD src0_sel:DWORD src1_sel:BYTE_0
	v_and_b32_e32 v21, s62, v21
	v_lshl_or_b32 v21, v21, 4, v63
	ds_add_u32 v21, v89
	s_or_b32 exec_lo, exec_lo, s16
	s_mov_b32 s16, exec_lo
	v_cmpx_gt_u32_e64 s15, v60
	s_cbranch_execz .LBB92_986
.LBB92_1002:                            ;   in Loop: Header=BB92_948 Depth=2
	v_xor_b32_e32 v21, -1, v5
	v_lshrrev_b32_sdwa v21, s41, v21 dst_sel:DWORD dst_unused:UNUSED_PAD src0_sel:DWORD src1_sel:BYTE_0
	v_and_b32_e32 v21, s62, v21
	v_lshl_or_b32 v21, v21, 4, v63
	ds_add_u32 v21, v89
	s_or_b32 exec_lo, exec_lo, s16
	v_cmp_gt_u32_e32 vcc_lo, s15, v61
	s_and_saveexec_b32 s15, vcc_lo
	s_cbranch_execz .LBB92_947
.LBB92_1003:                            ;   in Loop: Header=BB92_948 Depth=2
	v_xor_b32_e32 v21, -1, v3
	v_lshrrev_b32_sdwa v21, s41, v21 dst_sel:DWORD dst_unused:UNUSED_PAD src0_sel:DWORD src1_sel:BYTE_0
	v_and_b32_e32 v21, s62, v21
	v_lshl_or_b32 v21, v21, 4, v63
	ds_add_u32 v21, v89
	s_branch .LBB92_947
.LBB92_1004:                            ;   in Loop: Header=BB92_948 Depth=2
	s_waitcnt vmcnt(0)
	v_add_co_u32 v21, s18, s15, v0
	v_add_co_ci_u32_e64 v22, null, s16, 0, s18
	global_load_ubyte v17, v[21:22], off
	s_or_b32 exec_lo, exec_lo, s17
	s_mov_b32 s17, exec_lo
	v_cmpx_gt_u32_e64 s5, v44
	s_cbranch_execz .LBB92_953
.LBB92_1005:                            ;   in Loop: Header=BB92_948 Depth=2
	v_add_co_u32 v20, s18, s15, v0
	s_waitcnt vmcnt(0)
	v_add_co_ci_u32_e64 v21, null, s16, 0, s18
	global_load_ubyte v20, v[20:21], off offset:256
	s_or_b32 exec_lo, exec_lo, s17
	s_mov_b32 s17, exec_lo
	v_cmpx_gt_u32_e64 s5, v47
	s_cbranch_execz .LBB92_954
.LBB92_1006:                            ;   in Loop: Header=BB92_948 Depth=2
	s_waitcnt vmcnt(0)
	v_add_co_u32 v21, s18, s15, v0
	v_add_co_ci_u32_e64 v22, null, s16, 0, s18
	global_load_ubyte v19, v[21:22], off offset:512
	s_or_b32 exec_lo, exec_lo, s17
	s_mov_b32 s17, exec_lo
	v_cmpx_gt_u32_e64 s5, v48
	s_cbranch_execz .LBB92_955
.LBB92_1007:                            ;   in Loop: Header=BB92_948 Depth=2
	s_waitcnt vmcnt(0)
	v_add_co_u32 v21, s18, s15, v0
	v_add_co_ci_u32_e64 v22, null, s16, 0, s18
	global_load_ubyte v18, v[21:22], off offset:768
	s_or_b32 exec_lo, exec_lo, s17
	s_mov_b32 s17, exec_lo
	v_cmpx_gt_u32_e64 s5, v49
	s_cbranch_execz .LBB92_956
.LBB92_1008:                            ;   in Loop: Header=BB92_948 Depth=2
	s_waitcnt vmcnt(0)
	v_add_co_u32 v21, s18, s15, v0
	v_add_co_ci_u32_e64 v22, null, s16, 0, s18
	global_load_ubyte v16, v[21:22], off offset:1024
	s_or_b32 exec_lo, exec_lo, s17
	s_mov_b32 s17, exec_lo
	v_cmpx_gt_u32_e64 s5, v50
	s_cbranch_execz .LBB92_957
.LBB92_1009:                            ;   in Loop: Header=BB92_948 Depth=2
	s_waitcnt vmcnt(0)
	v_add_co_u32 v21, s18, s15, v0
	v_add_co_ci_u32_e64 v22, null, s16, 0, s18
	global_load_ubyte v15, v[21:22], off offset:1280
	s_or_b32 exec_lo, exec_lo, s17
	s_mov_b32 s17, exec_lo
	v_cmpx_gt_u32_e64 s5, v51
	s_cbranch_execz .LBB92_958
.LBB92_1010:                            ;   in Loop: Header=BB92_948 Depth=2
	s_waitcnt vmcnt(0)
	v_add_co_u32 v21, s18, s15, v0
	v_add_co_ci_u32_e64 v22, null, s16, 0, s18
	global_load_ubyte v14, v[21:22], off offset:1536
	s_or_b32 exec_lo, exec_lo, s17
	s_mov_b32 s17, exec_lo
	v_cmpx_gt_u32_e64 s5, v52
	s_cbranch_execz .LBB92_959
.LBB92_1011:                            ;   in Loop: Header=BB92_948 Depth=2
	s_waitcnt vmcnt(0)
	v_add_co_u32 v21, s18, s15, v0
	v_add_co_ci_u32_e64 v22, null, s16, 0, s18
	global_load_ubyte v13, v[21:22], off offset:1792
	s_or_b32 exec_lo, exec_lo, s17
	s_mov_b32 s17, exec_lo
	v_cmpx_gt_u32_e64 s5, v53
	s_cbranch_execz .LBB92_960
.LBB92_1012:                            ;   in Loop: Header=BB92_948 Depth=2
	s_waitcnt vmcnt(0)
	v_add_co_u32 v21, s18, s15, v53
	v_add_co_ci_u32_e64 v22, null, s16, 0, s18
	global_load_ubyte v12, v[21:22], off
	s_or_b32 exec_lo, exec_lo, s17
	s_mov_b32 s17, exec_lo
	v_cmpx_gt_u32_e64 s5, v54
	s_cbranch_execz .LBB92_961
.LBB92_1013:                            ;   in Loop: Header=BB92_948 Depth=2
	s_waitcnt vmcnt(0)
	v_add_co_u32 v21, s18, s15, v54
	v_add_co_ci_u32_e64 v22, null, s16, 0, s18
	global_load_ubyte v11, v[21:22], off
	s_or_b32 exec_lo, exec_lo, s17
	s_mov_b32 s17, exec_lo
	v_cmpx_gt_u32_e64 s5, v55
	s_cbranch_execz .LBB92_962
.LBB92_1014:                            ;   in Loop: Header=BB92_948 Depth=2
	s_waitcnt vmcnt(0)
	v_add_co_u32 v21, s18, s15, v55
	v_add_co_ci_u32_e64 v22, null, s16, 0, s18
	global_load_ubyte v10, v[21:22], off
	s_or_b32 exec_lo, exec_lo, s17
	s_mov_b32 s17, exec_lo
	v_cmpx_gt_u32_e64 s5, v56
	s_cbranch_execz .LBB92_963
.LBB92_1015:                            ;   in Loop: Header=BB92_948 Depth=2
	s_waitcnt vmcnt(0)
	v_add_co_u32 v21, s18, s15, v56
	v_add_co_ci_u32_e64 v22, null, s16, 0, s18
	global_load_ubyte v9, v[21:22], off
	s_or_b32 exec_lo, exec_lo, s17
	s_mov_b32 s17, exec_lo
	v_cmpx_gt_u32_e64 s5, v57
	s_cbranch_execz .LBB92_964
.LBB92_1016:                            ;   in Loop: Header=BB92_948 Depth=2
	s_waitcnt vmcnt(0)
	v_add_co_u32 v21, s18, s15, v57
	v_add_co_ci_u32_e64 v22, null, s16, 0, s18
	global_load_ubyte v8, v[21:22], off
	s_or_b32 exec_lo, exec_lo, s17
	s_mov_b32 s17, exec_lo
	v_cmpx_gt_u32_e64 s5, v58
	s_cbranch_execz .LBB92_965
.LBB92_1017:                            ;   in Loop: Header=BB92_948 Depth=2
	s_waitcnt vmcnt(0)
	v_add_co_u32 v21, s18, s15, v58
	v_add_co_ci_u32_e64 v22, null, s16, 0, s18
	global_load_ubyte v7, v[21:22], off
	s_or_b32 exec_lo, exec_lo, s17
	s_mov_b32 s17, exec_lo
	v_cmpx_gt_u32_e64 s5, v59
	s_cbranch_execz .LBB92_966
.LBB92_1018:                            ;   in Loop: Header=BB92_948 Depth=2
	s_waitcnt vmcnt(0)
	v_add_co_u32 v21, s18, s15, v59
	v_add_co_ci_u32_e64 v22, null, s16, 0, s18
	global_load_ubyte v6, v[21:22], off
	s_or_b32 exec_lo, exec_lo, s17
	s_mov_b32 s17, exec_lo
	v_cmpx_gt_u32_e64 s5, v60
	s_cbranch_execz .LBB92_967
.LBB92_1019:                            ;   in Loop: Header=BB92_948 Depth=2
	s_waitcnt vmcnt(0)
	v_add_co_u32 v21, s18, s15, v60
	v_add_co_ci_u32_e64 v22, null, s16, 0, s18
	global_load_ubyte v5, v[21:22], off
	s_or_b32 exec_lo, exec_lo, s17
	s_mov_b32 s17, exec_lo
	v_cmpx_gt_u32_e64 s5, v61
	s_cbranch_execnz .LBB92_968
	s_branch .LBB92_969
.LBB92_1020:                            ;   in Loop: Header=BB92_12 Depth=1
	v_mov_b32_e32 v3, 0
	s_waitcnt lgkmcnt(0)
	s_barrier
	buffer_gl0_inv
	s_and_saveexec_b32 s5, s7
	s_cbranch_execz .LBB92_1022
; %bb.1021:                             ;   in Loop: Header=BB92_12 Depth=1
	ds_read2_b64 v[5:8], v64 offset1:1
	s_waitcnt lgkmcnt(0)
	v_add_nc_u32_e32 v3, v6, v5
	v_add3_u32 v3, v3, v7, v8
.LBB92_1022:                            ;   in Loop: Header=BB92_12 Depth=1
	s_or_b32 exec_lo, exec_lo, s5
	v_and_b32_e32 v5, 15, v86
	v_mov_b32_dpp v6, v3 row_shr:1 row_mask:0xf bank_mask:0xf
	v_and_b32_e32 v7, 16, v86
	v_cmp_eq_u32_e64 s5, 0, v5
	v_cmp_lt_u32_e64 s14, 1, v5
	v_cmp_lt_u32_e64 s15, 3, v5
	;; [unrolled: 1-line block ×3, first 2 shown]
	v_cmp_eq_u32_e64 s17, 0, v7
	v_cndmask_b32_e64 v6, v6, 0, s5
	v_add_nc_u32_e32 v3, v6, v3
	v_mov_b32_dpp v6, v3 row_shr:2 row_mask:0xf bank_mask:0xf
	v_cndmask_b32_e64 v6, 0, v6, s14
	v_add_nc_u32_e32 v3, v3, v6
	v_mov_b32_dpp v6, v3 row_shr:4 row_mask:0xf bank_mask:0xf
	;; [unrolled: 3-line block ×3, first 2 shown]
	v_cndmask_b32_e64 v5, 0, v6, s16
	v_bfe_i32 v6, v86, 4, 1
	v_add_nc_u32_e32 v3, v3, v5
	ds_swizzle_b32 v5, v3 offset:swizzle(BROADCAST,32,15)
	s_waitcnt lgkmcnt(0)
	v_and_b32_e32 v5, v6, v5
	v_add_nc_u32_e32 v3, v3, v5
	s_and_saveexec_b32 s18, s8
; %bb.1023:                             ;   in Loop: Header=BB92_12 Depth=1
	ds_write_b32 v65, v3
; %bb.1024:                             ;   in Loop: Header=BB92_12 Depth=1
	s_or_b32 exec_lo, exec_lo, s18
	s_waitcnt lgkmcnt(0)
	s_barrier
	buffer_gl0_inv
	s_and_saveexec_b32 s18, s9
	s_cbranch_execz .LBB92_1026
; %bb.1025:                             ;   in Loop: Header=BB92_12 Depth=1
	ds_read_b32 v5, v66
	v_and_b32_e32 v6, 3, v86
	v_cmp_ne_u32_e32 vcc_lo, 0, v6
	s_waitcnt lgkmcnt(0)
	v_mov_b32_dpp v7, v5 row_shr:1 row_mask:0xf bank_mask:0xf
	v_cndmask_b32_e32 v7, 0, v7, vcc_lo
	v_cmp_lt_u32_e32 vcc_lo, 1, v6
	v_add_nc_u32_e32 v5, v7, v5
	v_mov_b32_dpp v7, v5 row_shr:2 row_mask:0xf bank_mask:0xf
	v_cndmask_b32_e32 v6, 0, v7, vcc_lo
	v_add_nc_u32_e32 v5, v5, v6
	ds_write_b32 v66, v5
.LBB92_1026:                            ;   in Loop: Header=BB92_12 Depth=1
	s_or_b32 exec_lo, exec_lo, s18
	v_mov_b32_e32 v5, 0
	s_waitcnt lgkmcnt(0)
	s_barrier
	buffer_gl0_inv
	s_and_saveexec_b32 s18, s10
; %bb.1027:                             ;   in Loop: Header=BB92_12 Depth=1
	ds_read_b32 v5, v67
; %bb.1028:                             ;   in Loop: Header=BB92_12 Depth=1
	s_or_b32 exec_lo, exec_lo, s18
	v_sub_co_u32 v6, s18, v86, 1
	s_waitcnt lgkmcnt(0)
	v_add_nc_u32_e32 v3, v5, v3
	s_barrier
	v_cmp_gt_i32_e32 vcc_lo, 0, v6
	buffer_gl0_inv
	v_cndmask_b32_e32 v6, v6, v86, vcc_lo
	v_lshlrev_b32_e32 v94, 2, v6
	ds_bpermute_b32 v3, v94, v3
	s_and_saveexec_b32 s19, s7
	s_cbranch_execz .LBB92_1030
; %bb.1029:                             ;   in Loop: Header=BB92_12 Depth=1
	s_waitcnt lgkmcnt(0)
	v_cndmask_b32_e64 v3, v3, v5, s18
	v_add_nc_u32_e32 v3, s58, v3
	ds_write_b32 v43, v3
.LBB92_1030:                            ;   in Loop: Header=BB92_12 Depth=1
	s_or_b32 exec_lo, exec_lo, s19
	s_load_dwordx2 s[20:21], s[56:57], 0x0
	v_and_b32_e32 v6, 7, v86
	v_lshlrev_b32_e32 v7, 3, v86
	v_or_b32_e32 v95, v86, v68
	v_add_co_u32 v96, vcc_lo, v87, v86
	v_add_co_ci_u32_e64 v97, null, 0, v88, vcc_lo
	v_add_co_u32 v98, vcc_lo, v84, v7
	v_add_co_ci_u32_e64 v99, null, 0, v85, vcc_lo
	v_add_nc_u32_e32 v100, 32, v95
	v_add_nc_u32_e32 v101, 64, v95
	v_add_nc_u32_e32 v102, 0x60, v95
	v_add_nc_u32_e32 v103, 0x80, v95
	v_add_nc_u32_e32 v104, 0xa0, v95
	v_add_nc_u32_e32 v105, 0xc0, v95
	v_add_nc_u32_e32 v106, 0xe0, v95
	v_add_nc_u32_e32 v107, 0x100, v95
	s_waitcnt lgkmcnt(0)
	s_cmp_lt_u32 s28, s21
	v_add_nc_u32_e32 v108, 0x120, v95
	s_cselect_b32 s19, 14, 20
	v_add_nc_u32_e32 v109, 0x140, v95
	s_add_u32 s22, s56, s19
	s_addc_u32 s23, s57, 0
	s_cmp_lt_u32 s6, s20
	global_load_ushort v3, v4, s[22:23]
	s_cselect_b32 s19, 12, 18
	v_add_nc_u32_e32 v110, 0x160, v95
	s_add_u32 s20, s56, s19
	s_addc_u32 s21, s57, 0
	v_cmp_eq_u32_e64 s19, 0, v6
	global_load_ushort v5, v4, s[20:21]
	v_cmp_lt_u32_e64 s20, 1, v6
	v_cmp_lt_u32_e64 s21, 3, v6
	v_add_nc_u32_e32 v111, 0x180, v95
	v_add_nc_u32_e32 v112, 0x1a0, v95
	;; [unrolled: 1-line block ×5, first 2 shown]
	v_mov_b32_e32 v129, 0
	s_mov_b32 s63, s60
	s_mov_b32 s50, s58
                                        ; implicit-def: $vgpr7_vgpr8
                                        ; implicit-def: $vgpr9_vgpr10
                                        ; implicit-def: $vgpr11_vgpr12
                                        ; implicit-def: $vgpr13_vgpr14
                                        ; implicit-def: $vgpr15_vgpr16
                                        ; implicit-def: $vgpr19_vgpr20
                                        ; implicit-def: $vgpr23_vgpr24
                                        ; implicit-def: $vgpr27_vgpr28
                                        ; implicit-def: $vgpr17_vgpr18
                                        ; implicit-def: $vgpr21_vgpr22
                                        ; implicit-def: $vgpr25_vgpr26
                                        ; implicit-def: $vgpr29_vgpr30
                                        ; implicit-def: $vgpr31_vgpr32
                                        ; implicit-def: $vgpr33_vgpr34
                                        ; implicit-def: $vgpr35_vgpr36
                                        ; implicit-def: $vgpr37_vgpr38
                                        ; implicit-def: $vgpr117
                                        ; implicit-def: $vgpr118
                                        ; implicit-def: $vgpr119
                                        ; implicit-def: $vgpr120
                                        ; implicit-def: $vgpr121
                                        ; implicit-def: $vgpr122
                                        ; implicit-def: $vgpr123
                                        ; implicit-def: $vgpr124
                                        ; implicit-def: $vgpr125
                                        ; implicit-def: $vgpr126
                                        ; implicit-def: $vgpr127
                                        ; implicit-def: $vgpr128
                                        ; implicit-def: $vgpr130
                                        ; implicit-def: $vgpr131
                                        ; implicit-def: $vgpr132
                                        ; implicit-def: $vgpr133
                                        ; implicit-def: $vgpr134
                                        ; implicit-def: $vgpr135
                                        ; implicit-def: $vgpr136
	s_waitcnt vmcnt(1)
	v_mad_u32_u24 v3, v2, v3, v1
	s_waitcnt vmcnt(0)
	v_mad_u64_u32 v[5:6], null, v3, v5, v[0:1]
	v_lshrrev_b32_e32 v3, 3, v5
                                        ; implicit-def: $vgpr5_vgpr6
	v_and_b32_e32 v116, 0x1ffffffc, v3
	s_branch .LBB92_1032
.LBB92_1031:                            ;   in Loop: Header=BB92_1032 Depth=2
	s_or_b32 exec_lo, exec_lo, s22
	s_addk_i32 s63, 0xef00
	s_cmp_lt_u32 s64, s59
	s_mov_b32 s50, s64
	s_cbranch_scc0 .LBB92_10
.LBB92_1032:                            ;   Parent Loop BB92_12 Depth=1
                                        ; =>  This Inner Loop Header: Depth=2
	s_add_i32 s64, s50, 0x1100
	s_cmp_gt_u32 s64, s59
	s_cbranch_scc1 .LBB92_1034
; %bb.1033:                             ;   in Loop: Header=BB92_1032 Depth=2
	v_add_co_u32 v39, vcc_lo, v96, s50
	v_add_co_ci_u32_e64 v40, null, 0, v97, vcc_lo
	s_mov_b32 s22, -1
	s_clause 0xf
	global_load_ubyte v42, v[39:40], off offset:480
	global_load_ubyte v41, v[39:40], off offset:448
	;; [unrolled: 1-line block ×15, first 2 shown]
	global_load_ubyte v146, v[39:40], off
	s_movk_i32 s23, 0x1100
	s_cbranch_execz .LBB92_1035
	s_branch .LBB92_1054
.LBB92_1034:                            ;   in Loop: Header=BB92_1032 Depth=2
	s_mov_b32 s22, 0
                                        ; implicit-def: $vgpr146
                                        ; implicit-def: $vgpr151
                                        ; implicit-def: $vgpr147
                                        ; implicit-def: $vgpr148
                                        ; implicit-def: $vgpr150
                                        ; implicit-def: $vgpr143
                                        ; implicit-def: $vgpr144
                                        ; implicit-def: $vgpr145
                                        ; implicit-def: $vgpr142
                                        ; implicit-def: $vgpr139
                                        ; implicit-def: $vgpr140
                                        ; implicit-def: $vgpr141
                                        ; implicit-def: $vgpr137
                                        ; implicit-def: $vgpr3
                                        ; implicit-def: $vgpr41
                                        ; implicit-def: $vgpr42
                                        ; implicit-def: $vgpr129
	s_movk_i32 s23, 0x1100
.LBB92_1035:                            ;   in Loop: Header=BB92_1032 Depth=2
	v_add_co_u32 v39, vcc_lo, v96, s50
	v_add_co_ci_u32_e64 v40, null, 0, v97, vcc_lo
	s_waitcnt vmcnt(2)
	v_mov_b32_e32 v147, 0
	s_waitcnt vmcnt(0)
	v_mov_b32_e32 v146, 0
	v_mov_b32_e32 v148, 0
	v_mov_b32_e32 v150, 0
	v_mov_b32_e32 v143, 0
	v_mov_b32_e32 v144, 0
	v_mov_b32_e32 v145, 0
	v_mov_b32_e32 v142, 0
	v_mov_b32_e32 v139, 0
	v_mov_b32_e32 v140, 0
	v_mov_b32_e32 v141, 0
	v_mov_b32_e32 v137, 0
	v_mov_b32_e32 v3, 0
	v_mov_b32_e32 v41, 0
	v_mov_b32_e32 v42, 0
	v_mov_b32_e32 v129, 0
	s_mov_b32 s22, exec_lo
	v_cmpx_gt_u32_e64 s63, v95
	s_cbranch_execz .LBB92_1037
; %bb.1036:                             ;   in Loop: Header=BB92_1032 Depth=2
	global_load_ubyte v146, v[39:40], off
	v_mov_b32_e32 v148, 0
	v_mov_b32_e32 v150, 0
	;; [unrolled: 1-line block ×14, first 2 shown]
.LBB92_1037:                            ;   in Loop: Header=BB92_1032 Depth=2
	s_or_b32 exec_lo, exec_lo, s22
	v_mov_b32_e32 v151, v147
	s_mov_b32 s22, exec_lo
	v_cmpx_gt_u32_e64 s63, v100
	s_cbranch_execnz .LBB92_1240
; %bb.1038:                             ;   in Loop: Header=BB92_1032 Depth=2
	s_or_b32 exec_lo, exec_lo, s22
	s_mov_b32 s22, exec_lo
	v_cmpx_gt_u32_e64 s63, v101
	s_cbranch_execnz .LBB92_1241
.LBB92_1039:                            ;   in Loop: Header=BB92_1032 Depth=2
	s_or_b32 exec_lo, exec_lo, s22
	s_mov_b32 s22, exec_lo
	v_cmpx_gt_u32_e64 s63, v102
	s_cbranch_execnz .LBB92_1242
.LBB92_1040:                            ;   in Loop: Header=BB92_1032 Depth=2
	s_or_b32 exec_lo, exec_lo, s22
	s_mov_b32 s22, exec_lo
	v_cmpx_gt_u32_e64 s63, v103
	s_cbranch_execnz .LBB92_1243
.LBB92_1041:                            ;   in Loop: Header=BB92_1032 Depth=2
	s_or_b32 exec_lo, exec_lo, s22
	s_mov_b32 s22, exec_lo
	v_cmpx_gt_u32_e64 s63, v104
	s_cbranch_execnz .LBB92_1244
.LBB92_1042:                            ;   in Loop: Header=BB92_1032 Depth=2
	s_or_b32 exec_lo, exec_lo, s22
	s_mov_b32 s22, exec_lo
	v_cmpx_gt_u32_e64 s63, v105
	s_cbranch_execnz .LBB92_1245
.LBB92_1043:                            ;   in Loop: Header=BB92_1032 Depth=2
	s_or_b32 exec_lo, exec_lo, s22
	s_mov_b32 s22, exec_lo
	v_cmpx_gt_u32_e64 s63, v106
	s_cbranch_execnz .LBB92_1246
.LBB92_1044:                            ;   in Loop: Header=BB92_1032 Depth=2
	s_or_b32 exec_lo, exec_lo, s22
	s_mov_b32 s22, exec_lo
	v_cmpx_gt_u32_e64 s63, v107
	s_cbranch_execnz .LBB92_1247
.LBB92_1045:                            ;   in Loop: Header=BB92_1032 Depth=2
	s_or_b32 exec_lo, exec_lo, s22
	s_mov_b32 s22, exec_lo
	v_cmpx_gt_u32_e64 s63, v108
	s_cbranch_execnz .LBB92_1248
.LBB92_1046:                            ;   in Loop: Header=BB92_1032 Depth=2
	s_or_b32 exec_lo, exec_lo, s22
	s_mov_b32 s22, exec_lo
	v_cmpx_gt_u32_e64 s63, v109
	s_cbranch_execnz .LBB92_1249
.LBB92_1047:                            ;   in Loop: Header=BB92_1032 Depth=2
	s_or_b32 exec_lo, exec_lo, s22
	s_mov_b32 s22, exec_lo
	v_cmpx_gt_u32_e64 s63, v110
	s_cbranch_execnz .LBB92_1250
.LBB92_1048:                            ;   in Loop: Header=BB92_1032 Depth=2
	s_or_b32 exec_lo, exec_lo, s22
	s_mov_b32 s22, exec_lo
	v_cmpx_gt_u32_e64 s63, v111
	s_cbranch_execnz .LBB92_1251
.LBB92_1049:                            ;   in Loop: Header=BB92_1032 Depth=2
	s_or_b32 exec_lo, exec_lo, s22
	s_mov_b32 s22, exec_lo
	v_cmpx_gt_u32_e64 s63, v112
	s_cbranch_execnz .LBB92_1252
.LBB92_1050:                            ;   in Loop: Header=BB92_1032 Depth=2
	s_or_b32 exec_lo, exec_lo, s22
	s_mov_b32 s22, exec_lo
	v_cmpx_gt_u32_e64 s63, v113
	s_cbranch_execnz .LBB92_1253
.LBB92_1051:                            ;   in Loop: Header=BB92_1032 Depth=2
	s_or_b32 exec_lo, exec_lo, s22
	s_mov_b32 s22, exec_lo
	v_cmpx_gt_u32_e64 s63, v114
	s_cbranch_execz .LBB92_1053
.LBB92_1052:                            ;   in Loop: Header=BB92_1032 Depth=2
	global_load_ubyte v42, v[39:40], off offset:480
.LBB92_1053:                            ;   in Loop: Header=BB92_1032 Depth=2
	s_or_b32 exec_lo, exec_lo, s22
	v_cmp_gt_u32_e64 s22, s63, v115
	s_sub_i32 s23, s59, s50
.LBB92_1054:                            ;   in Loop: Header=BB92_1032 Depth=2
	v_mov_b32_e32 v138, s63
	s_and_saveexec_b32 s24, s22
	s_cbranch_execz .LBB92_1056
; %bb.1055:                             ;   in Loop: Header=BB92_1032 Depth=2
	v_add_co_u32 v39, vcc_lo, v96, s50
	v_add_co_ci_u32_e64 v40, null, s51, v97, vcc_lo
	v_mov_b32_e32 v138, s23
	global_load_ubyte v129, v[39:40], off offset:512
.LBB92_1056:                            ;   in Loop: Header=BB92_1032 Depth=2
	s_or_b32 exec_lo, exec_lo, s24
	s_waitcnt vmcnt(0)
	v_xor_b32_e32 v39, -1, v146
	ds_write2_b32 v69, v4, v4 offset0:136 offset1:137
	ds_write2_b32 v69, v4, v4 offset0:138 offset1:139
	ds_write_b32 v69, v4 offset:560
	s_waitcnt lgkmcnt(0)
	s_barrier
	v_and_b32_sdwa v40, v92, v39 dst_sel:DWORD dst_unused:UNUSED_PAD src0_sel:DWORD src1_sel:BYTE_0
	buffer_gl0_inv
	; wave barrier
	v_lshrrev_b32_e32 v40, s41, v40
	v_and_b32_e32 v149, s62, v40
	v_and_b32_e32 v40, 1, v149
	v_lshlrev_b32_e32 v146, 30, v149
	v_lshlrev_b32_e32 v152, 29, v149
	v_lshlrev_b32_e32 v154, 28, v149
	v_lshlrev_b32_e32 v155, 27, v149
	v_add_co_u32 v40, s22, v40, -1
	v_cndmask_b32_e64 v153, 0, 1, s22
	v_not_b32_e32 v157, v146
	v_cmp_gt_i32_e64 s22, 0, v146
	v_not_b32_e32 v146, v152
	v_lshlrev_b32_e32 v156, 26, v149
	v_cmp_ne_u32_e32 vcc_lo, 0, v153
	v_ashrrev_i32_e32 v157, 31, v157
	v_lshlrev_b32_e32 v153, 25, v149
	v_ashrrev_i32_e32 v146, 31, v146
	v_mul_u32_u24_e32 v149, 36, v149
	v_xor_b32_e32 v40, vcc_lo, v40
	v_cmp_gt_i32_e32 vcc_lo, 0, v152
	v_not_b32_e32 v152, v154
	v_xor_b32_e32 v157, s22, v157
	v_cmp_gt_i32_e64 s22, 0, v154
	v_and_b32_e32 v40, exec_lo, v40
	v_not_b32_e32 v154, v155
	v_ashrrev_i32_e32 v152, 31, v152
	v_xor_b32_e32 v146, vcc_lo, v146
	v_cmp_gt_i32_e32 vcc_lo, 0, v155
	v_and_b32_e32 v40, v40, v157
	v_not_b32_e32 v155, v156
	v_ashrrev_i32_e32 v154, 31, v154
	v_xor_b32_e32 v152, s22, v152
	v_cmp_gt_i32_e64 s22, 0, v156
	v_and_b32_e32 v40, v40, v146
	v_not_b32_e32 v146, v153
	v_ashrrev_i32_e32 v155, 31, v155
	v_xor_b32_e32 v154, vcc_lo, v154
	v_cmp_gt_i32_e32 vcc_lo, 0, v153
	v_and_b32_e32 v40, v40, v152
	v_ashrrev_i32_e32 v146, 31, v146
	v_xor_b32_e32 v152, s22, v155
	v_add_nc_u32_e32 v149, v116, v149
	v_and_b32_e32 v40, v40, v154
	v_xor_b32_e32 v146, vcc_lo, v146
	v_and_b32_e32 v40, v40, v152
	v_and_b32_e32 v40, v40, v146
	v_mbcnt_lo_u32_b32 v146, v40, 0
	v_cmp_ne_u32_e64 s22, 0, v40
	v_cmp_eq_u32_e32 vcc_lo, 0, v146
	s_and_b32 s23, s22, vcc_lo
	s_and_saveexec_b32 s22, s23
; %bb.1057:                             ;   in Loop: Header=BB92_1032 Depth=2
	v_bcnt_u32_b32 v40, v40, 0
	ds_write_b32 v149, v40 offset:544
; %bb.1058:                             ;   in Loop: Header=BB92_1032 Depth=2
	s_or_b32 exec_lo, exec_lo, s22
	v_xor_b32_sdwa v40, v151, v93 dst_sel:BYTE_1 dst_unused:UNUSED_PAD src0_sel:DWORD src1_sel:DWORD
	v_xor_b32_e32 v151, -1, v147
	v_xor_b32_sdwa v148, v148, v93 dst_sel:BYTE_1 dst_unused:UNUSED_PAD src0_sel:DWORD src1_sel:DWORD
	; wave barrier
	v_or_b32_sdwa v147, v39, v40 dst_sel:DWORD dst_unused:UNUSED_PAD src0_sel:BYTE_0 src1_sel:DWORD
	v_or_b32_sdwa v39, v151, v148 dst_sel:WORD_1 dst_unused:UNUSED_PAD src0_sel:BYTE_0 src1_sel:DWORD
	v_or_b32_sdwa v148, v147, v39 dst_sel:DWORD dst_unused:UNUSED_PAD src0_sel:WORD_0 src1_sel:DWORD
	v_lshrrev_b32_sdwa v39, s41, v148 dst_sel:DWORD dst_unused:UNUSED_PAD src0_sel:DWORD src1_sel:BYTE_1
	v_and_b32_e32 v40, s62, v39
	v_and_b32_e32 v39, 1, v40
	v_lshlrev_b32_e32 v151, 30, v40
	v_lshlrev_b32_e32 v152, 29, v40
	;; [unrolled: 1-line block ×4, first 2 shown]
	v_add_co_u32 v39, s22, v39, -1
	v_cndmask_b32_e64 v153, 0, 1, s22
	v_not_b32_e32 v157, v151
	v_cmp_gt_i32_e64 s22, 0, v151
	v_not_b32_e32 v151, v152
	v_lshlrev_b32_e32 v156, 26, v40
	v_cmp_ne_u32_e32 vcc_lo, 0, v153
	v_ashrrev_i32_e32 v157, 31, v157
	v_lshlrev_b32_e32 v153, 25, v40
	v_ashrrev_i32_e32 v151, 31, v151
	v_xor_b32_e32 v39, vcc_lo, v39
	v_cmp_gt_i32_e32 vcc_lo, 0, v152
	v_not_b32_e32 v152, v154
	v_xor_b32_e32 v157, s22, v157
	v_cmp_gt_i32_e64 s22, 0, v154
	v_and_b32_e32 v39, exec_lo, v39
	v_not_b32_e32 v154, v155
	v_ashrrev_i32_e32 v152, 31, v152
	v_xor_b32_e32 v151, vcc_lo, v151
	v_cmp_gt_i32_e32 vcc_lo, 0, v155
	v_and_b32_e32 v39, v39, v157
	v_not_b32_e32 v155, v156
	v_ashrrev_i32_e32 v154, 31, v154
	v_xor_b32_e32 v152, s22, v152
	v_cmp_gt_i32_e64 s22, 0, v156
	v_and_b32_e32 v39, v39, v151
	v_not_b32_e32 v151, v153
	v_ashrrev_i32_e32 v155, 31, v155
	v_xor_b32_e32 v154, vcc_lo, v154
	v_cmp_gt_i32_e32 vcc_lo, 0, v153
	v_and_b32_e32 v39, v39, v152
	v_ashrrev_i32_e32 v151, 31, v151
	v_xor_b32_e32 v152, s22, v155
	v_mad_u32_u24 v153, v40, 36, v116
	v_mul_u32_u24_e32 v40, 36, v40
	v_and_b32_e32 v39, v39, v154
	v_xor_b32_e32 v154, vcc_lo, v151
	ds_read_b32 v151, v153 offset:544
	v_add_nc_u32_e32 v153, v116, v40
	v_and_b32_e32 v39, v39, v152
	; wave barrier
	v_and_b32_e32 v39, v39, v154
	v_mbcnt_lo_u32_b32 v152, v39, 0
	v_cmp_ne_u32_e64 s22, 0, v39
	v_cmp_eq_u32_e32 vcc_lo, 0, v152
	s_and_b32 s23, s22, vcc_lo
	s_and_saveexec_b32 s22, s23
	s_cbranch_execz .LBB92_1060
; %bb.1059:                             ;   in Loop: Header=BB92_1032 Depth=2
	s_waitcnt lgkmcnt(0)
	v_bcnt_u32_b32 v39, v39, v151
	ds_write_b32 v153, v39 offset:544
.LBB92_1060:                            ;   in Loop: Header=BB92_1032 Depth=2
	s_or_b32 exec_lo, exec_lo, s22
	v_lshrrev_b32_sdwa v39, s41, v148 dst_sel:DWORD dst_unused:UNUSED_PAD src0_sel:DWORD src1_sel:BYTE_2
	; wave barrier
	v_and_b32_e32 v40, s62, v39
	v_and_b32_e32 v39, 1, v40
	v_lshlrev_b32_e32 v154, 30, v40
	v_lshlrev_b32_e32 v155, 29, v40
	;; [unrolled: 1-line block ×4, first 2 shown]
	v_add_co_u32 v39, s22, v39, -1
	v_cndmask_b32_e64 v156, 0, 1, s22
	v_not_b32_e32 v160, v154
	v_cmp_gt_i32_e64 s22, 0, v154
	v_not_b32_e32 v154, v155
	v_lshlrev_b32_e32 v159, 26, v40
	v_cmp_ne_u32_e32 vcc_lo, 0, v156
	v_ashrrev_i32_e32 v160, 31, v160
	v_lshlrev_b32_e32 v156, 25, v40
	v_ashrrev_i32_e32 v154, 31, v154
	v_xor_b32_e32 v39, vcc_lo, v39
	v_cmp_gt_i32_e32 vcc_lo, 0, v155
	v_not_b32_e32 v155, v157
	v_xor_b32_e32 v160, s22, v160
	v_cmp_gt_i32_e64 s22, 0, v157
	v_and_b32_e32 v39, exec_lo, v39
	v_not_b32_e32 v157, v158
	v_ashrrev_i32_e32 v155, 31, v155
	v_xor_b32_e32 v154, vcc_lo, v154
	v_cmp_gt_i32_e32 vcc_lo, 0, v158
	v_and_b32_e32 v39, v39, v160
	v_not_b32_e32 v158, v159
	v_ashrrev_i32_e32 v157, 31, v157
	v_xor_b32_e32 v155, s22, v155
	v_cmp_gt_i32_e64 s22, 0, v159
	v_and_b32_e32 v39, v39, v154
	v_not_b32_e32 v154, v156
	v_ashrrev_i32_e32 v158, 31, v158
	v_xor_b32_e32 v157, vcc_lo, v157
	v_cmp_gt_i32_e32 vcc_lo, 0, v156
	v_and_b32_e32 v39, v39, v155
	v_ashrrev_i32_e32 v154, 31, v154
	v_xor_b32_e32 v155, s22, v158
	v_mad_u32_u24 v156, v40, 36, v116
	v_mul_u32_u24_e32 v40, 36, v40
	v_and_b32_e32 v39, v39, v157
	v_xor_b32_e32 v157, vcc_lo, v154
	ds_read_b32 v154, v156 offset:544
	v_and_b32_e32 v39, v39, v155
	; wave barrier
	v_and_b32_e32 v39, v39, v157
	v_add_nc_u32_e32 v157, v116, v40
	v_mbcnt_lo_u32_b32 v155, v39, 0
	v_cmp_ne_u32_e64 s22, 0, v39
	v_cmp_eq_u32_e32 vcc_lo, 0, v155
	s_and_b32 s23, s22, vcc_lo
	s_and_saveexec_b32 s22, s23
	s_cbranch_execz .LBB92_1062
; %bb.1061:                             ;   in Loop: Header=BB92_1032 Depth=2
	s_waitcnt lgkmcnt(0)
	v_bcnt_u32_b32 v39, v39, v154
	ds_write_b32 v157, v39 offset:544
.LBB92_1062:                            ;   in Loop: Header=BB92_1032 Depth=2
	s_or_b32 exec_lo, exec_lo, s22
	v_lshrrev_b32_e32 v156, 24, v148
	; wave barrier
	v_lshrrev_b32_e32 v39, s41, v156
	v_and_b32_e32 v40, s62, v39
	v_and_b32_e32 v39, 1, v40
	v_lshlrev_b32_e32 v158, 30, v40
	v_lshlrev_b32_e32 v159, 29, v40
	;; [unrolled: 1-line block ×4, first 2 shown]
	v_add_co_u32 v39, s22, v39, -1
	v_cndmask_b32_e64 v160, 0, 1, s22
	v_not_b32_e32 v164, v158
	v_cmp_gt_i32_e64 s22, 0, v158
	v_not_b32_e32 v158, v159
	v_lshlrev_b32_e32 v163, 26, v40
	v_cmp_ne_u32_e32 vcc_lo, 0, v160
	v_ashrrev_i32_e32 v164, 31, v164
	v_lshlrev_b32_e32 v160, 25, v40
	v_ashrrev_i32_e32 v158, 31, v158
	v_xor_b32_e32 v39, vcc_lo, v39
	v_cmp_gt_i32_e32 vcc_lo, 0, v159
	v_not_b32_e32 v159, v161
	v_xor_b32_e32 v164, s22, v164
	v_cmp_gt_i32_e64 s22, 0, v161
	v_and_b32_e32 v39, exec_lo, v39
	v_not_b32_e32 v161, v162
	v_ashrrev_i32_e32 v159, 31, v159
	v_xor_b32_e32 v158, vcc_lo, v158
	v_cmp_gt_i32_e32 vcc_lo, 0, v162
	v_and_b32_e32 v39, v39, v164
	v_not_b32_e32 v162, v163
	v_ashrrev_i32_e32 v161, 31, v161
	v_xor_b32_e32 v159, s22, v159
	v_cmp_gt_i32_e64 s22, 0, v163
	v_and_b32_e32 v39, v39, v158
	v_not_b32_e32 v158, v160
	v_ashrrev_i32_e32 v162, 31, v162
	v_xor_b32_e32 v161, vcc_lo, v161
	v_cmp_gt_i32_e32 vcc_lo, 0, v160
	v_and_b32_e32 v39, v39, v159
	v_ashrrev_i32_e32 v158, 31, v158
	v_xor_b32_e32 v159, s22, v162
	v_mad_u32_u24 v160, v40, 36, v116
	v_mul_u32_u24_e32 v40, 36, v40
	v_and_b32_e32 v39, v39, v161
	v_xor_b32_e32 v161, vcc_lo, v158
	ds_read_b32 v158, v160 offset:544
	v_add_nc_u32_e32 v160, v116, v40
	v_and_b32_e32 v39, v39, v159
	; wave barrier
	v_and_b32_e32 v39, v39, v161
	v_mbcnt_lo_u32_b32 v159, v39, 0
	v_cmp_ne_u32_e64 s22, 0, v39
	v_cmp_eq_u32_e32 vcc_lo, 0, v159
	s_and_b32 s23, s22, vcc_lo
	s_and_saveexec_b32 s22, s23
	s_cbranch_execz .LBB92_1064
; %bb.1063:                             ;   in Loop: Header=BB92_1032 Depth=2
	s_waitcnt lgkmcnt(0)
	v_bcnt_u32_b32 v39, v39, v158
	ds_write_b32 v160, v39 offset:544
.LBB92_1064:                            ;   in Loop: Header=BB92_1032 Depth=2
	s_or_b32 exec_lo, exec_lo, s22
	v_xor_b32_e32 v39, -1, v150
	; wave barrier
	v_and_b32_sdwa v40, v92, v39 dst_sel:DWORD dst_unused:UNUSED_PAD src0_sel:DWORD src1_sel:BYTE_0
	v_lshrrev_b32_e32 v40, s41, v40
	v_and_b32_e32 v162, s62, v40
	v_and_b32_e32 v40, 1, v162
	v_lshlrev_b32_e32 v150, 30, v162
	v_lshlrev_b32_e32 v161, 29, v162
	;; [unrolled: 1-line block ×4, first 2 shown]
	v_add_co_u32 v40, s22, v40, -1
	v_cndmask_b32_e64 v163, 0, 1, s22
	v_not_b32_e32 v167, v150
	v_cmp_gt_i32_e64 s22, 0, v150
	v_not_b32_e32 v150, v161
	v_lshlrev_b32_e32 v166, 26, v162
	v_cmp_ne_u32_e32 vcc_lo, 0, v163
	v_ashrrev_i32_e32 v167, 31, v167
	v_lshlrev_b32_e32 v163, 25, v162
	v_ashrrev_i32_e32 v150, 31, v150
	v_xor_b32_e32 v40, vcc_lo, v40
	v_cmp_gt_i32_e32 vcc_lo, 0, v161
	v_not_b32_e32 v161, v164
	v_xor_b32_e32 v167, s22, v167
	v_cmp_gt_i32_e64 s22, 0, v164
	v_and_b32_e32 v40, exec_lo, v40
	v_not_b32_e32 v164, v165
	v_ashrrev_i32_e32 v161, 31, v161
	v_xor_b32_e32 v150, vcc_lo, v150
	v_cmp_gt_i32_e32 vcc_lo, 0, v165
	v_and_b32_e32 v40, v40, v167
	v_not_b32_e32 v165, v166
	v_ashrrev_i32_e32 v164, 31, v164
	v_xor_b32_e32 v161, s22, v161
	v_cmp_gt_i32_e64 s22, 0, v166
	v_and_b32_e32 v40, v40, v150
	v_not_b32_e32 v150, v163
	v_ashrrev_i32_e32 v165, 31, v165
	v_xor_b32_e32 v164, vcc_lo, v164
	v_cmp_gt_i32_e32 vcc_lo, 0, v163
	v_and_b32_e32 v40, v40, v161
	v_ashrrev_i32_e32 v150, 31, v150
	v_xor_b32_e32 v161, s22, v165
	v_mad_u32_u24 v163, v162, 36, v116
	v_mul_u32_u24_e32 v162, 36, v162
	v_and_b32_e32 v40, v40, v164
	v_xor_b32_e32 v164, vcc_lo, v150
	ds_read_b32 v150, v163 offset:544
	v_add_nc_u32_e32 v162, v116, v162
	v_and_b32_e32 v40, v40, v161
	; wave barrier
	v_and_b32_e32 v40, v40, v164
	v_mbcnt_lo_u32_b32 v161, v40, 0
	v_cmp_ne_u32_e64 s22, 0, v40
	v_cmp_eq_u32_e32 vcc_lo, 0, v161
	s_and_b32 s23, s22, vcc_lo
	s_and_saveexec_b32 s22, s23
	s_cbranch_execz .LBB92_1066
; %bb.1065:                             ;   in Loop: Header=BB92_1032 Depth=2
	s_waitcnt lgkmcnt(0)
	v_bcnt_u32_b32 v40, v40, v150
	ds_write_b32 v162, v40 offset:544
.LBB92_1066:                            ;   in Loop: Header=BB92_1032 Depth=2
	s_or_b32 exec_lo, exec_lo, s22
	v_xor_b32_sdwa v40, v143, v93 dst_sel:BYTE_1 dst_unused:UNUSED_PAD src0_sel:DWORD src1_sel:DWORD
	v_xor_b32_e32 v144, -1, v144
	v_xor_b32_sdwa v145, v145, v93 dst_sel:BYTE_1 dst_unused:UNUSED_PAD src0_sel:DWORD src1_sel:DWORD
	; wave barrier
	v_or_b32_sdwa v143, v39, v40 dst_sel:DWORD dst_unused:UNUSED_PAD src0_sel:BYTE_0 src1_sel:DWORD
	v_or_b32_sdwa v39, v144, v145 dst_sel:WORD_1 dst_unused:UNUSED_PAD src0_sel:BYTE_0 src1_sel:DWORD
	v_or_b32_sdwa v144, v143, v39 dst_sel:DWORD dst_unused:UNUSED_PAD src0_sel:WORD_0 src1_sel:DWORD
	v_lshrrev_b32_sdwa v39, s41, v144 dst_sel:DWORD dst_unused:UNUSED_PAD src0_sel:DWORD src1_sel:BYTE_1
	v_and_b32_e32 v40, s62, v39
	v_and_b32_e32 v39, 1, v40
	v_lshlrev_b32_e32 v145, 30, v40
	v_lshlrev_b32_e32 v163, 29, v40
	;; [unrolled: 1-line block ×4, first 2 shown]
	v_add_co_u32 v39, s22, v39, -1
	v_cndmask_b32_e64 v164, 0, 1, s22
	v_not_b32_e32 v168, v145
	v_cmp_gt_i32_e64 s22, 0, v145
	v_not_b32_e32 v145, v163
	v_lshlrev_b32_e32 v167, 26, v40
	v_cmp_ne_u32_e32 vcc_lo, 0, v164
	v_ashrrev_i32_e32 v168, 31, v168
	v_lshlrev_b32_e32 v164, 25, v40
	v_ashrrev_i32_e32 v145, 31, v145
	v_xor_b32_e32 v39, vcc_lo, v39
	v_cmp_gt_i32_e32 vcc_lo, 0, v163
	v_not_b32_e32 v163, v165
	v_xor_b32_e32 v168, s22, v168
	v_cmp_gt_i32_e64 s22, 0, v165
	v_and_b32_e32 v39, exec_lo, v39
	v_not_b32_e32 v165, v166
	v_ashrrev_i32_e32 v163, 31, v163
	v_xor_b32_e32 v145, vcc_lo, v145
	v_cmp_gt_i32_e32 vcc_lo, 0, v166
	v_and_b32_e32 v39, v39, v168
	v_not_b32_e32 v166, v167
	v_ashrrev_i32_e32 v165, 31, v165
	v_xor_b32_e32 v163, s22, v163
	v_cmp_gt_i32_e64 s22, 0, v167
	v_and_b32_e32 v39, v39, v145
	v_not_b32_e32 v145, v164
	v_ashrrev_i32_e32 v166, 31, v166
	v_xor_b32_e32 v165, vcc_lo, v165
	v_cmp_gt_i32_e32 vcc_lo, 0, v164
	v_and_b32_e32 v39, v39, v163
	v_ashrrev_i32_e32 v145, 31, v145
	v_xor_b32_e32 v163, s22, v166
	v_mad_u32_u24 v164, v40, 36, v116
	v_mul_u32_u24_e32 v40, 36, v40
	v_and_b32_e32 v39, v39, v165
	v_xor_b32_e32 v165, vcc_lo, v145
	ds_read_b32 v145, v164 offset:544
	v_add_nc_u32_e32 v164, v116, v40
	v_and_b32_e32 v39, v39, v163
	; wave barrier
	v_and_b32_e32 v39, v39, v165
	v_mbcnt_lo_u32_b32 v163, v39, 0
	v_cmp_ne_u32_e64 s22, 0, v39
	v_cmp_eq_u32_e32 vcc_lo, 0, v163
	s_and_b32 s23, s22, vcc_lo
	s_and_saveexec_b32 s22, s23
	s_cbranch_execz .LBB92_1068
; %bb.1067:                             ;   in Loop: Header=BB92_1032 Depth=2
	s_waitcnt lgkmcnt(0)
	v_bcnt_u32_b32 v39, v39, v145
	ds_write_b32 v164, v39 offset:544
.LBB92_1068:                            ;   in Loop: Header=BB92_1032 Depth=2
	s_or_b32 exec_lo, exec_lo, s22
	v_lshrrev_b32_sdwa v39, s41, v144 dst_sel:DWORD dst_unused:UNUSED_PAD src0_sel:DWORD src1_sel:BYTE_2
	; wave barrier
	v_and_b32_e32 v40, s62, v39
	v_and_b32_e32 v39, 1, v40
	v_lshlrev_b32_e32 v165, 30, v40
	v_lshlrev_b32_e32 v166, 29, v40
	;; [unrolled: 1-line block ×4, first 2 shown]
	v_add_co_u32 v39, s22, v39, -1
	v_cndmask_b32_e64 v167, 0, 1, s22
	v_not_b32_e32 v171, v165
	v_cmp_gt_i32_e64 s22, 0, v165
	v_not_b32_e32 v165, v166
	v_lshlrev_b32_e32 v170, 26, v40
	v_cmp_ne_u32_e32 vcc_lo, 0, v167
	v_ashrrev_i32_e32 v171, 31, v171
	v_lshlrev_b32_e32 v167, 25, v40
	v_ashrrev_i32_e32 v165, 31, v165
	v_xor_b32_e32 v39, vcc_lo, v39
	v_cmp_gt_i32_e32 vcc_lo, 0, v166
	v_not_b32_e32 v166, v168
	v_xor_b32_e32 v171, s22, v171
	v_cmp_gt_i32_e64 s22, 0, v168
	v_and_b32_e32 v39, exec_lo, v39
	v_not_b32_e32 v168, v169
	v_ashrrev_i32_e32 v166, 31, v166
	v_xor_b32_e32 v165, vcc_lo, v165
	v_cmp_gt_i32_e32 vcc_lo, 0, v169
	v_and_b32_e32 v39, v39, v171
	v_not_b32_e32 v169, v170
	v_ashrrev_i32_e32 v168, 31, v168
	v_xor_b32_e32 v166, s22, v166
	v_cmp_gt_i32_e64 s22, 0, v170
	v_and_b32_e32 v39, v39, v165
	v_not_b32_e32 v165, v167
	v_ashrrev_i32_e32 v169, 31, v169
	v_xor_b32_e32 v168, vcc_lo, v168
	v_cmp_gt_i32_e32 vcc_lo, 0, v167
	v_and_b32_e32 v39, v39, v166
	v_ashrrev_i32_e32 v165, 31, v165
	v_xor_b32_e32 v166, s22, v169
	v_mad_u32_u24 v167, v40, 36, v116
	v_mul_u32_u24_e32 v40, 36, v40
	v_and_b32_e32 v39, v39, v168
	v_xor_b32_e32 v168, vcc_lo, v165
	ds_read_b32 v165, v167 offset:544
	v_and_b32_e32 v39, v39, v166
	; wave barrier
	v_and_b32_e32 v39, v39, v168
	v_add_nc_u32_e32 v168, v116, v40
	v_mbcnt_lo_u32_b32 v166, v39, 0
	v_cmp_ne_u32_e64 s22, 0, v39
	v_cmp_eq_u32_e32 vcc_lo, 0, v166
	s_and_b32 s23, s22, vcc_lo
	s_and_saveexec_b32 s22, s23
	s_cbranch_execz .LBB92_1070
; %bb.1069:                             ;   in Loop: Header=BB92_1032 Depth=2
	s_waitcnt lgkmcnt(0)
	v_bcnt_u32_b32 v39, v39, v165
	ds_write_b32 v168, v39 offset:544
.LBB92_1070:                            ;   in Loop: Header=BB92_1032 Depth=2
	s_or_b32 exec_lo, exec_lo, s22
	v_lshrrev_b32_e32 v167, 24, v144
	; wave barrier
	v_lshrrev_b32_e32 v39, s41, v167
	v_and_b32_e32 v40, s62, v39
	v_and_b32_e32 v39, 1, v40
	v_lshlrev_b32_e32 v169, 30, v40
	v_lshlrev_b32_e32 v170, 29, v40
	;; [unrolled: 1-line block ×4, first 2 shown]
	v_add_co_u32 v39, s22, v39, -1
	v_cndmask_b32_e64 v171, 0, 1, s22
	v_not_b32_e32 v175, v169
	v_cmp_gt_i32_e64 s22, 0, v169
	v_not_b32_e32 v169, v170
	v_lshlrev_b32_e32 v174, 26, v40
	v_cmp_ne_u32_e32 vcc_lo, 0, v171
	v_ashrrev_i32_e32 v175, 31, v175
	v_lshlrev_b32_e32 v171, 25, v40
	v_ashrrev_i32_e32 v169, 31, v169
	v_xor_b32_e32 v39, vcc_lo, v39
	v_cmp_gt_i32_e32 vcc_lo, 0, v170
	v_not_b32_e32 v170, v172
	v_xor_b32_e32 v175, s22, v175
	v_cmp_gt_i32_e64 s22, 0, v172
	v_and_b32_e32 v39, exec_lo, v39
	v_not_b32_e32 v172, v173
	v_ashrrev_i32_e32 v170, 31, v170
	v_xor_b32_e32 v169, vcc_lo, v169
	v_cmp_gt_i32_e32 vcc_lo, 0, v173
	v_and_b32_e32 v39, v39, v175
	v_not_b32_e32 v173, v174
	v_ashrrev_i32_e32 v172, 31, v172
	v_xor_b32_e32 v170, s22, v170
	v_cmp_gt_i32_e64 s22, 0, v174
	v_and_b32_e32 v39, v39, v169
	v_not_b32_e32 v169, v171
	v_ashrrev_i32_e32 v173, 31, v173
	v_xor_b32_e32 v172, vcc_lo, v172
	v_cmp_gt_i32_e32 vcc_lo, 0, v171
	v_and_b32_e32 v39, v39, v170
	v_ashrrev_i32_e32 v169, 31, v169
	v_xor_b32_e32 v170, s22, v173
	v_mad_u32_u24 v171, v40, 36, v116
	v_mul_u32_u24_e32 v40, 36, v40
	v_and_b32_e32 v39, v39, v172
	v_xor_b32_e32 v172, vcc_lo, v169
	ds_read_b32 v169, v171 offset:544
	v_add_nc_u32_e32 v171, v116, v40
	v_and_b32_e32 v39, v39, v170
	; wave barrier
	v_and_b32_e32 v39, v39, v172
	v_mbcnt_lo_u32_b32 v170, v39, 0
	v_cmp_ne_u32_e64 s22, 0, v39
	v_cmp_eq_u32_e32 vcc_lo, 0, v170
	s_and_b32 s23, s22, vcc_lo
	s_and_saveexec_b32 s22, s23
	s_cbranch_execz .LBB92_1072
; %bb.1071:                             ;   in Loop: Header=BB92_1032 Depth=2
	s_waitcnt lgkmcnt(0)
	v_bcnt_u32_b32 v39, v39, v169
	ds_write_b32 v171, v39 offset:544
.LBB92_1072:                            ;   in Loop: Header=BB92_1032 Depth=2
	s_or_b32 exec_lo, exec_lo, s22
	v_xor_b32_e32 v39, -1, v142
	; wave barrier
	v_and_b32_sdwa v40, v92, v39 dst_sel:DWORD dst_unused:UNUSED_PAD src0_sel:DWORD src1_sel:BYTE_0
	v_lshrrev_b32_e32 v40, s41, v40
	v_and_b32_e32 v173, s62, v40
	v_and_b32_e32 v40, 1, v173
	v_lshlrev_b32_e32 v142, 30, v173
	v_lshlrev_b32_e32 v172, 29, v173
	;; [unrolled: 1-line block ×4, first 2 shown]
	v_add_co_u32 v40, s22, v40, -1
	v_cndmask_b32_e64 v174, 0, 1, s22
	v_not_b32_e32 v178, v142
	v_cmp_gt_i32_e64 s22, 0, v142
	v_not_b32_e32 v142, v172
	v_lshlrev_b32_e32 v177, 26, v173
	v_cmp_ne_u32_e32 vcc_lo, 0, v174
	v_ashrrev_i32_e32 v178, 31, v178
	v_lshlrev_b32_e32 v174, 25, v173
	v_ashrrev_i32_e32 v142, 31, v142
	v_xor_b32_e32 v40, vcc_lo, v40
	v_cmp_gt_i32_e32 vcc_lo, 0, v172
	v_not_b32_e32 v172, v175
	v_xor_b32_e32 v178, s22, v178
	v_cmp_gt_i32_e64 s22, 0, v175
	v_and_b32_e32 v40, exec_lo, v40
	v_not_b32_e32 v175, v176
	v_ashrrev_i32_e32 v172, 31, v172
	v_xor_b32_e32 v142, vcc_lo, v142
	v_cmp_gt_i32_e32 vcc_lo, 0, v176
	v_and_b32_e32 v40, v40, v178
	v_not_b32_e32 v176, v177
	v_ashrrev_i32_e32 v175, 31, v175
	v_xor_b32_e32 v172, s22, v172
	v_cmp_gt_i32_e64 s22, 0, v177
	v_and_b32_e32 v40, v40, v142
	v_not_b32_e32 v142, v174
	v_ashrrev_i32_e32 v176, 31, v176
	v_xor_b32_e32 v175, vcc_lo, v175
	v_cmp_gt_i32_e32 vcc_lo, 0, v174
	v_and_b32_e32 v40, v40, v172
	v_ashrrev_i32_e32 v142, 31, v142
	v_xor_b32_e32 v172, s22, v176
	v_mad_u32_u24 v174, v173, 36, v116
	v_mul_u32_u24_e32 v173, 36, v173
	v_and_b32_e32 v40, v40, v175
	v_xor_b32_e32 v175, vcc_lo, v142
	ds_read_b32 v142, v174 offset:544
	v_add_nc_u32_e32 v173, v116, v173
	v_and_b32_e32 v40, v40, v172
	; wave barrier
	v_and_b32_e32 v40, v40, v175
	v_mbcnt_lo_u32_b32 v172, v40, 0
	v_cmp_ne_u32_e64 s22, 0, v40
	v_cmp_eq_u32_e32 vcc_lo, 0, v172
	s_and_b32 s23, s22, vcc_lo
	s_and_saveexec_b32 s22, s23
	s_cbranch_execz .LBB92_1074
; %bb.1073:                             ;   in Loop: Header=BB92_1032 Depth=2
	s_waitcnt lgkmcnt(0)
	v_bcnt_u32_b32 v40, v40, v142
	ds_write_b32 v173, v40 offset:544
.LBB92_1074:                            ;   in Loop: Header=BB92_1032 Depth=2
	s_or_b32 exec_lo, exec_lo, s22
	v_xor_b32_sdwa v40, v139, v93 dst_sel:BYTE_1 dst_unused:UNUSED_PAD src0_sel:DWORD src1_sel:DWORD
	v_xor_b32_e32 v140, -1, v140
	v_xor_b32_sdwa v141, v141, v93 dst_sel:BYTE_1 dst_unused:UNUSED_PAD src0_sel:DWORD src1_sel:DWORD
	; wave barrier
	v_or_b32_sdwa v139, v39, v40 dst_sel:DWORD dst_unused:UNUSED_PAD src0_sel:BYTE_0 src1_sel:DWORD
	v_or_b32_sdwa v39, v140, v141 dst_sel:WORD_1 dst_unused:UNUSED_PAD src0_sel:BYTE_0 src1_sel:DWORD
	v_or_b32_sdwa v140, v139, v39 dst_sel:DWORD dst_unused:UNUSED_PAD src0_sel:WORD_0 src1_sel:DWORD
	v_lshrrev_b32_sdwa v39, s41, v140 dst_sel:DWORD dst_unused:UNUSED_PAD src0_sel:DWORD src1_sel:BYTE_1
	v_and_b32_e32 v40, s62, v39
	v_and_b32_e32 v39, 1, v40
	v_lshlrev_b32_e32 v141, 30, v40
	v_lshlrev_b32_e32 v174, 29, v40
	;; [unrolled: 1-line block ×4, first 2 shown]
	v_add_co_u32 v39, s22, v39, -1
	v_cndmask_b32_e64 v175, 0, 1, s22
	v_not_b32_e32 v179, v141
	v_cmp_gt_i32_e64 s22, 0, v141
	v_not_b32_e32 v141, v174
	v_lshlrev_b32_e32 v178, 26, v40
	v_cmp_ne_u32_e32 vcc_lo, 0, v175
	v_ashrrev_i32_e32 v179, 31, v179
	v_lshlrev_b32_e32 v175, 25, v40
	v_ashrrev_i32_e32 v141, 31, v141
	v_xor_b32_e32 v39, vcc_lo, v39
	v_cmp_gt_i32_e32 vcc_lo, 0, v174
	v_not_b32_e32 v174, v176
	v_xor_b32_e32 v179, s22, v179
	v_cmp_gt_i32_e64 s22, 0, v176
	v_and_b32_e32 v39, exec_lo, v39
	v_not_b32_e32 v176, v177
	v_ashrrev_i32_e32 v174, 31, v174
	v_xor_b32_e32 v141, vcc_lo, v141
	v_cmp_gt_i32_e32 vcc_lo, 0, v177
	v_and_b32_e32 v39, v39, v179
	v_not_b32_e32 v177, v178
	v_ashrrev_i32_e32 v176, 31, v176
	v_xor_b32_e32 v174, s22, v174
	v_cmp_gt_i32_e64 s22, 0, v178
	v_and_b32_e32 v39, v39, v141
	v_not_b32_e32 v141, v175
	v_ashrrev_i32_e32 v177, 31, v177
	v_xor_b32_e32 v176, vcc_lo, v176
	v_cmp_gt_i32_e32 vcc_lo, 0, v175
	v_and_b32_e32 v39, v39, v174
	v_ashrrev_i32_e32 v141, 31, v141
	v_xor_b32_e32 v174, s22, v177
	v_mad_u32_u24 v175, v40, 36, v116
	v_mul_u32_u24_e32 v40, 36, v40
	v_and_b32_e32 v39, v39, v176
	v_xor_b32_e32 v176, vcc_lo, v141
	ds_read_b32 v141, v175 offset:544
	v_add_nc_u32_e32 v175, v116, v40
	v_and_b32_e32 v39, v39, v174
	; wave barrier
	v_and_b32_e32 v39, v39, v176
	v_mbcnt_lo_u32_b32 v174, v39, 0
	v_cmp_ne_u32_e64 s22, 0, v39
	v_cmp_eq_u32_e32 vcc_lo, 0, v174
	s_and_b32 s23, s22, vcc_lo
	s_and_saveexec_b32 s22, s23
	s_cbranch_execz .LBB92_1076
; %bb.1075:                             ;   in Loop: Header=BB92_1032 Depth=2
	s_waitcnt lgkmcnt(0)
	v_bcnt_u32_b32 v39, v39, v141
	ds_write_b32 v175, v39 offset:544
.LBB92_1076:                            ;   in Loop: Header=BB92_1032 Depth=2
	s_or_b32 exec_lo, exec_lo, s22
	v_lshrrev_b32_sdwa v39, s41, v140 dst_sel:DWORD dst_unused:UNUSED_PAD src0_sel:DWORD src1_sel:BYTE_2
	; wave barrier
	v_and_b32_e32 v40, s62, v39
	v_and_b32_e32 v39, 1, v40
	v_lshlrev_b32_e32 v176, 30, v40
	v_lshlrev_b32_e32 v177, 29, v40
	v_lshlrev_b32_e32 v179, 28, v40
	v_lshlrev_b32_e32 v180, 27, v40
	v_add_co_u32 v39, s22, v39, -1
	v_cndmask_b32_e64 v178, 0, 1, s22
	v_not_b32_e32 v182, v176
	v_cmp_gt_i32_e64 s22, 0, v176
	v_not_b32_e32 v176, v177
	v_lshlrev_b32_e32 v181, 26, v40
	v_cmp_ne_u32_e32 vcc_lo, 0, v178
	v_ashrrev_i32_e32 v182, 31, v182
	v_lshlrev_b32_e32 v178, 25, v40
	v_ashrrev_i32_e32 v176, 31, v176
	v_xor_b32_e32 v39, vcc_lo, v39
	v_cmp_gt_i32_e32 vcc_lo, 0, v177
	v_not_b32_e32 v177, v179
	v_xor_b32_e32 v182, s22, v182
	v_cmp_gt_i32_e64 s22, 0, v179
	v_and_b32_e32 v39, exec_lo, v39
	v_not_b32_e32 v179, v180
	v_ashrrev_i32_e32 v177, 31, v177
	v_xor_b32_e32 v176, vcc_lo, v176
	v_cmp_gt_i32_e32 vcc_lo, 0, v180
	v_and_b32_e32 v39, v39, v182
	v_not_b32_e32 v180, v181
	v_ashrrev_i32_e32 v179, 31, v179
	v_xor_b32_e32 v177, s22, v177
	v_cmp_gt_i32_e64 s22, 0, v181
	v_and_b32_e32 v39, v39, v176
	v_not_b32_e32 v176, v178
	v_ashrrev_i32_e32 v180, 31, v180
	v_xor_b32_e32 v179, vcc_lo, v179
	v_cmp_gt_i32_e32 vcc_lo, 0, v178
	v_and_b32_e32 v39, v39, v177
	v_ashrrev_i32_e32 v176, 31, v176
	v_xor_b32_e32 v177, s22, v180
	v_mad_u32_u24 v178, v40, 36, v116
	v_mul_u32_u24_e32 v40, 36, v40
	v_and_b32_e32 v39, v39, v179
	v_xor_b32_e32 v179, vcc_lo, v176
	ds_read_b32 v176, v178 offset:544
	v_and_b32_e32 v39, v39, v177
	; wave barrier
	v_and_b32_e32 v39, v39, v179
	v_add_nc_u32_e32 v179, v116, v40
	v_mbcnt_lo_u32_b32 v177, v39, 0
	v_cmp_ne_u32_e64 s22, 0, v39
	v_cmp_eq_u32_e32 vcc_lo, 0, v177
	s_and_b32 s23, s22, vcc_lo
	s_and_saveexec_b32 s22, s23
	s_cbranch_execz .LBB92_1078
; %bb.1077:                             ;   in Loop: Header=BB92_1032 Depth=2
	s_waitcnt lgkmcnt(0)
	v_bcnt_u32_b32 v39, v39, v176
	ds_write_b32 v179, v39 offset:544
.LBB92_1078:                            ;   in Loop: Header=BB92_1032 Depth=2
	s_or_b32 exec_lo, exec_lo, s22
	v_lshrrev_b32_e32 v178, 24, v140
	; wave barrier
	v_lshrrev_b32_e32 v39, s41, v178
	v_and_b32_e32 v40, s62, v39
	v_and_b32_e32 v39, 1, v40
	v_lshlrev_b32_e32 v180, 30, v40
	v_lshlrev_b32_e32 v181, 29, v40
	;; [unrolled: 1-line block ×4, first 2 shown]
	v_add_co_u32 v39, s22, v39, -1
	v_cndmask_b32_e64 v182, 0, 1, s22
	v_not_b32_e32 v186, v180
	v_cmp_gt_i32_e64 s22, 0, v180
	v_not_b32_e32 v180, v181
	v_lshlrev_b32_e32 v185, 26, v40
	v_cmp_ne_u32_e32 vcc_lo, 0, v182
	v_ashrrev_i32_e32 v186, 31, v186
	v_lshlrev_b32_e32 v182, 25, v40
	v_ashrrev_i32_e32 v180, 31, v180
	v_xor_b32_e32 v39, vcc_lo, v39
	v_cmp_gt_i32_e32 vcc_lo, 0, v181
	v_not_b32_e32 v181, v183
	v_xor_b32_e32 v186, s22, v186
	v_cmp_gt_i32_e64 s22, 0, v183
	v_and_b32_e32 v39, exec_lo, v39
	v_not_b32_e32 v183, v184
	v_ashrrev_i32_e32 v181, 31, v181
	v_xor_b32_e32 v180, vcc_lo, v180
	v_cmp_gt_i32_e32 vcc_lo, 0, v184
	v_and_b32_e32 v39, v39, v186
	v_not_b32_e32 v184, v185
	v_ashrrev_i32_e32 v183, 31, v183
	v_xor_b32_e32 v181, s22, v181
	v_cmp_gt_i32_e64 s22, 0, v185
	v_and_b32_e32 v39, v39, v180
	v_not_b32_e32 v180, v182
	v_ashrrev_i32_e32 v184, 31, v184
	v_xor_b32_e32 v183, vcc_lo, v183
	v_cmp_gt_i32_e32 vcc_lo, 0, v182
	v_and_b32_e32 v39, v39, v181
	v_ashrrev_i32_e32 v180, 31, v180
	v_xor_b32_e32 v181, s22, v184
	v_mad_u32_u24 v182, v40, 36, v116
	v_mul_u32_u24_e32 v40, 36, v40
	v_and_b32_e32 v39, v39, v183
	v_xor_b32_e32 v183, vcc_lo, v180
	ds_read_b32 v180, v182 offset:544
	v_add_nc_u32_e32 v182, v116, v40
	v_and_b32_e32 v39, v39, v181
	; wave barrier
	v_and_b32_e32 v39, v39, v183
	v_mbcnt_lo_u32_b32 v181, v39, 0
	v_cmp_ne_u32_e64 s22, 0, v39
	v_cmp_eq_u32_e32 vcc_lo, 0, v181
	s_and_b32 s23, s22, vcc_lo
	s_and_saveexec_b32 s22, s23
	s_cbranch_execz .LBB92_1080
; %bb.1079:                             ;   in Loop: Header=BB92_1032 Depth=2
	s_waitcnt lgkmcnt(0)
	v_bcnt_u32_b32 v39, v39, v180
	ds_write_b32 v182, v39 offset:544
.LBB92_1080:                            ;   in Loop: Header=BB92_1032 Depth=2
	s_or_b32 exec_lo, exec_lo, s22
	v_xor_b32_e32 v39, -1, v137
	; wave barrier
	v_and_b32_sdwa v40, v92, v39 dst_sel:DWORD dst_unused:UNUSED_PAD src0_sel:DWORD src1_sel:BYTE_0
	v_lshrrev_b32_e32 v40, s41, v40
	v_and_b32_e32 v184, s62, v40
	v_and_b32_e32 v40, 1, v184
	v_lshlrev_b32_e32 v137, 30, v184
	v_lshlrev_b32_e32 v183, 29, v184
	;; [unrolled: 1-line block ×4, first 2 shown]
	v_add_co_u32 v40, s22, v40, -1
	v_cndmask_b32_e64 v185, 0, 1, s22
	v_not_b32_e32 v189, v137
	v_cmp_gt_i32_e64 s22, 0, v137
	v_not_b32_e32 v137, v183
	v_lshlrev_b32_e32 v188, 26, v184
	v_cmp_ne_u32_e32 vcc_lo, 0, v185
	v_ashrrev_i32_e32 v189, 31, v189
	v_lshlrev_b32_e32 v185, 25, v184
	v_ashrrev_i32_e32 v137, 31, v137
	v_xor_b32_e32 v40, vcc_lo, v40
	v_cmp_gt_i32_e32 vcc_lo, 0, v183
	v_not_b32_e32 v183, v186
	v_xor_b32_e32 v189, s22, v189
	v_cmp_gt_i32_e64 s22, 0, v186
	v_and_b32_e32 v40, exec_lo, v40
	v_not_b32_e32 v186, v187
	v_ashrrev_i32_e32 v183, 31, v183
	v_xor_b32_e32 v137, vcc_lo, v137
	v_cmp_gt_i32_e32 vcc_lo, 0, v187
	v_and_b32_e32 v40, v40, v189
	v_not_b32_e32 v187, v188
	v_ashrrev_i32_e32 v186, 31, v186
	v_xor_b32_e32 v183, s22, v183
	v_cmp_gt_i32_e64 s22, 0, v188
	v_and_b32_e32 v40, v40, v137
	v_not_b32_e32 v137, v185
	v_ashrrev_i32_e32 v187, 31, v187
	v_xor_b32_e32 v186, vcc_lo, v186
	v_cmp_gt_i32_e32 vcc_lo, 0, v185
	v_and_b32_e32 v40, v40, v183
	v_ashrrev_i32_e32 v137, 31, v137
	v_xor_b32_e32 v183, s22, v187
	v_mad_u32_u24 v185, v184, 36, v116
	v_mul_u32_u24_e32 v184, 36, v184
	v_and_b32_e32 v40, v40, v186
	v_xor_b32_e32 v186, vcc_lo, v137
	ds_read_b32 v137, v185 offset:544
	v_add_nc_u32_e32 v185, v116, v184
	v_and_b32_e32 v40, v40, v183
	; wave barrier
	v_and_b32_e32 v40, v40, v186
	v_mbcnt_lo_u32_b32 v183, v40, 0
	v_cmp_ne_u32_e64 s22, 0, v40
	v_cmp_eq_u32_e32 vcc_lo, 0, v183
	s_and_b32 s23, s22, vcc_lo
	s_and_saveexec_b32 s22, s23
	s_cbranch_execz .LBB92_1082
; %bb.1081:                             ;   in Loop: Header=BB92_1032 Depth=2
	s_waitcnt lgkmcnt(0)
	v_bcnt_u32_b32 v40, v40, v137
	ds_write_b32 v185, v40 offset:544
.LBB92_1082:                            ;   in Loop: Header=BB92_1032 Depth=2
	s_or_b32 exec_lo, exec_lo, s22
	v_xor_b32_sdwa v3, v3, v93 dst_sel:BYTE_1 dst_unused:UNUSED_PAD src0_sel:DWORD src1_sel:DWORD
	v_xor_b32_e32 v40, -1, v41
	v_xor_b32_sdwa v41, v42, v93 dst_sel:BYTE_1 dst_unused:UNUSED_PAD src0_sel:DWORD src1_sel:DWORD
	; wave barrier
	v_or_b32_sdwa v184, v39, v3 dst_sel:DWORD dst_unused:UNUSED_PAD src0_sel:BYTE_0 src1_sel:DWORD
	v_or_b32_sdwa v3, v40, v41 dst_sel:WORD_1 dst_unused:UNUSED_PAD src0_sel:BYTE_0 src1_sel:DWORD
	v_or_b32_sdwa v3, v184, v3 dst_sel:DWORD dst_unused:UNUSED_PAD src0_sel:WORD_0 src1_sel:DWORD
	v_lshrrev_b32_sdwa v39, s41, v3 dst_sel:DWORD dst_unused:UNUSED_PAD src0_sel:DWORD src1_sel:BYTE_1
	v_and_b32_e32 v40, s62, v39
	v_and_b32_e32 v39, 1, v40
	v_lshlrev_b32_e32 v41, 30, v40
	v_lshlrev_b32_e32 v42, 29, v40
	;; [unrolled: 1-line block ×4, first 2 shown]
	v_add_co_u32 v39, s22, v39, -1
	v_cndmask_b32_e64 v186, 0, 1, s22
	v_not_b32_e32 v190, v41
	v_cmp_gt_i32_e64 s22, 0, v41
	v_not_b32_e32 v41, v42
	v_lshlrev_b32_e32 v189, 26, v40
	v_cmp_ne_u32_e32 vcc_lo, 0, v186
	v_ashrrev_i32_e32 v190, 31, v190
	v_lshlrev_b32_e32 v186, 25, v40
	v_ashrrev_i32_e32 v41, 31, v41
	v_xor_b32_e32 v39, vcc_lo, v39
	v_cmp_gt_i32_e32 vcc_lo, 0, v42
	v_not_b32_e32 v42, v187
	v_xor_b32_e32 v190, s22, v190
	v_cmp_gt_i32_e64 s22, 0, v187
	v_and_b32_e32 v39, exec_lo, v39
	v_not_b32_e32 v187, v188
	v_ashrrev_i32_e32 v42, 31, v42
	v_xor_b32_e32 v41, vcc_lo, v41
	v_cmp_gt_i32_e32 vcc_lo, 0, v188
	v_and_b32_e32 v39, v39, v190
	v_not_b32_e32 v188, v189
	v_ashrrev_i32_e32 v187, 31, v187
	v_xor_b32_e32 v42, s22, v42
	v_cmp_gt_i32_e64 s22, 0, v189
	v_and_b32_e32 v39, v39, v41
	v_not_b32_e32 v41, v186
	v_ashrrev_i32_e32 v188, 31, v188
	v_xor_b32_e32 v187, vcc_lo, v187
	v_cmp_gt_i32_e32 vcc_lo, 0, v186
	v_and_b32_e32 v39, v39, v42
	v_ashrrev_i32_e32 v41, 31, v41
	v_xor_b32_e32 v42, s22, v188
	v_mad_u32_u24 v186, v40, 36, v116
	v_mul_u32_u24_e32 v40, 36, v40
	v_and_b32_e32 v39, v39, v187
	v_xor_b32_e32 v41, vcc_lo, v41
	ds_read_b32 v186, v186 offset:544
	v_add_nc_u32_e32 v188, v116, v40
	v_and_b32_e32 v39, v39, v42
	; wave barrier
	v_and_b32_e32 v39, v39, v41
	v_mbcnt_lo_u32_b32 v187, v39, 0
	v_cmp_ne_u32_e64 s22, 0, v39
	v_cmp_eq_u32_e32 vcc_lo, 0, v187
	s_and_b32 s23, s22, vcc_lo
	s_and_saveexec_b32 s22, s23
	s_cbranch_execz .LBB92_1084
; %bb.1083:                             ;   in Loop: Header=BB92_1032 Depth=2
	s_waitcnt lgkmcnt(0)
	v_bcnt_u32_b32 v39, v39, v186
	ds_write_b32 v188, v39 offset:544
.LBB92_1084:                            ;   in Loop: Header=BB92_1032 Depth=2
	s_or_b32 exec_lo, exec_lo, s22
	v_lshrrev_b32_sdwa v39, s41, v3 dst_sel:DWORD dst_unused:UNUSED_PAD src0_sel:DWORD src1_sel:BYTE_2
	; wave barrier
	v_and_b32_e32 v40, s62, v39
	v_and_b32_e32 v39, 1, v40
	v_lshlrev_b32_e32 v41, 30, v40
	v_lshlrev_b32_e32 v42, 29, v40
	;; [unrolled: 1-line block ×4, first 2 shown]
	v_add_co_u32 v39, s22, v39, -1
	v_cndmask_b32_e64 v189, 0, 1, s22
	v_not_b32_e32 v193, v41
	v_cmp_gt_i32_e64 s22, 0, v41
	v_not_b32_e32 v41, v42
	v_lshlrev_b32_e32 v192, 26, v40
	v_cmp_ne_u32_e32 vcc_lo, 0, v189
	v_ashrrev_i32_e32 v193, 31, v193
	v_lshlrev_b32_e32 v189, 25, v40
	v_ashrrev_i32_e32 v41, 31, v41
	v_xor_b32_e32 v39, vcc_lo, v39
	v_cmp_gt_i32_e32 vcc_lo, 0, v42
	v_not_b32_e32 v42, v190
	v_xor_b32_e32 v193, s22, v193
	v_cmp_gt_i32_e64 s22, 0, v190
	v_and_b32_e32 v39, exec_lo, v39
	v_not_b32_e32 v190, v191
	v_ashrrev_i32_e32 v42, 31, v42
	v_xor_b32_e32 v41, vcc_lo, v41
	v_cmp_gt_i32_e32 vcc_lo, 0, v191
	v_and_b32_e32 v39, v39, v193
	v_not_b32_e32 v191, v192
	v_ashrrev_i32_e32 v190, 31, v190
	v_xor_b32_e32 v42, s22, v42
	v_cmp_gt_i32_e64 s22, 0, v192
	v_and_b32_e32 v39, v39, v41
	v_not_b32_e32 v41, v189
	v_ashrrev_i32_e32 v191, 31, v191
	v_xor_b32_e32 v190, vcc_lo, v190
	v_cmp_gt_i32_e32 vcc_lo, 0, v189
	v_and_b32_e32 v39, v39, v42
	v_ashrrev_i32_e32 v41, 31, v41
	v_xor_b32_e32 v42, s22, v191
	v_mad_u32_u24 v189, v40, 36, v116
	v_mul_u32_u24_e32 v40, 36, v40
	v_and_b32_e32 v39, v39, v190
	v_xor_b32_e32 v41, vcc_lo, v41
	ds_read_b32 v189, v189 offset:544
	v_add_nc_u32_e32 v192, v116, v40
	v_and_b32_e32 v39, v39, v42
	; wave barrier
	v_and_b32_e32 v39, v39, v41
	v_mbcnt_lo_u32_b32 v190, v39, 0
	v_cmp_ne_u32_e64 s22, 0, v39
	v_cmp_eq_u32_e32 vcc_lo, 0, v190
	s_and_b32 s23, s22, vcc_lo
	s_and_saveexec_b32 s22, s23
	s_cbranch_execz .LBB92_1086
; %bb.1085:                             ;   in Loop: Header=BB92_1032 Depth=2
	s_waitcnt lgkmcnt(0)
	v_bcnt_u32_b32 v39, v39, v189
	ds_write_b32 v192, v39 offset:544
.LBB92_1086:                            ;   in Loop: Header=BB92_1032 Depth=2
	s_or_b32 exec_lo, exec_lo, s22
	v_lshrrev_b32_e32 v191, 24, v3
	; wave barrier
	v_lshrrev_b32_e32 v39, s41, v191
	v_and_b32_e32 v40, s62, v39
	v_and_b32_e32 v39, 1, v40
	v_lshlrev_b32_e32 v41, 30, v40
	v_lshlrev_b32_e32 v42, 29, v40
	;; [unrolled: 1-line block ×4, first 2 shown]
	v_add_co_u32 v39, s22, v39, -1
	v_cndmask_b32_e64 v193, 0, 1, s22
	v_not_b32_e32 v197, v41
	v_cmp_gt_i32_e64 s22, 0, v41
	v_not_b32_e32 v41, v42
	v_lshlrev_b32_e32 v196, 26, v40
	v_cmp_ne_u32_e32 vcc_lo, 0, v193
	v_ashrrev_i32_e32 v197, 31, v197
	v_lshlrev_b32_e32 v193, 25, v40
	v_ashrrev_i32_e32 v41, 31, v41
	v_xor_b32_e32 v39, vcc_lo, v39
	v_cmp_gt_i32_e32 vcc_lo, 0, v42
	v_not_b32_e32 v42, v194
	v_xor_b32_e32 v197, s22, v197
	v_cmp_gt_i32_e64 s22, 0, v194
	v_and_b32_e32 v39, exec_lo, v39
	v_not_b32_e32 v194, v195
	v_ashrrev_i32_e32 v42, 31, v42
	v_xor_b32_e32 v41, vcc_lo, v41
	v_cmp_gt_i32_e32 vcc_lo, 0, v195
	v_and_b32_e32 v39, v39, v197
	v_not_b32_e32 v195, v196
	v_ashrrev_i32_e32 v194, 31, v194
	v_xor_b32_e32 v42, s22, v42
	v_cmp_gt_i32_e64 s22, 0, v196
	v_and_b32_e32 v39, v39, v41
	v_not_b32_e32 v41, v193
	v_ashrrev_i32_e32 v195, 31, v195
	v_xor_b32_e32 v194, vcc_lo, v194
	v_cmp_gt_i32_e32 vcc_lo, 0, v193
	v_and_b32_e32 v39, v39, v42
	v_ashrrev_i32_e32 v41, 31, v41
	v_xor_b32_e32 v42, s22, v195
	v_mad_u32_u24 v193, v40, 36, v116
	v_mul_u32_u24_e32 v40, 36, v40
	v_and_b32_e32 v39, v39, v194
	v_xor_b32_e32 v41, vcc_lo, v41
	ds_read_b32 v193, v193 offset:544
	v_add_nc_u32_e32 v195, v116, v40
	v_and_b32_e32 v39, v39, v42
	; wave barrier
	v_and_b32_e32 v39, v39, v41
	v_mbcnt_lo_u32_b32 v194, v39, 0
	v_cmp_ne_u32_e64 s22, 0, v39
	v_cmp_eq_u32_e32 vcc_lo, 0, v194
	s_and_b32 s23, s22, vcc_lo
	s_and_saveexec_b32 s22, s23
	s_cbranch_execz .LBB92_1088
; %bb.1087:                             ;   in Loop: Header=BB92_1032 Depth=2
	s_waitcnt lgkmcnt(0)
	v_bcnt_u32_b32 v39, v39, v193
	ds_write_b32 v195, v39 offset:544
.LBB92_1088:                            ;   in Loop: Header=BB92_1032 Depth=2
	s_or_b32 exec_lo, exec_lo, s22
	v_xor_b32_e32 v129, -1, v129
	; wave barrier
	v_lshrrev_b32_sdwa v39, s41, v129 dst_sel:DWORD dst_unused:UNUSED_PAD src0_sel:DWORD src1_sel:BYTE_0
	v_and_b32_e32 v40, s62, v39
	v_and_b32_e32 v39, 1, v40
	v_lshlrev_b32_e32 v41, 30, v40
	v_lshlrev_b32_e32 v42, 29, v40
	;; [unrolled: 1-line block ×4, first 2 shown]
	v_add_co_u32 v39, s22, v39, -1
	v_cndmask_b32_e64 v196, 0, 1, s22
	v_not_b32_e32 v200, v41
	v_cmp_gt_i32_e64 s22, 0, v41
	v_not_b32_e32 v41, v42
	v_lshlrev_b32_e32 v199, 26, v40
	v_cmp_ne_u32_e32 vcc_lo, 0, v196
	v_ashrrev_i32_e32 v200, 31, v200
	v_lshlrev_b32_e32 v196, 25, v40
	v_ashrrev_i32_e32 v41, 31, v41
	v_xor_b32_e32 v39, vcc_lo, v39
	v_cmp_gt_i32_e32 vcc_lo, 0, v42
	v_not_b32_e32 v42, v197
	v_xor_b32_e32 v200, s22, v200
	v_cmp_gt_i32_e64 s22, 0, v197
	v_and_b32_e32 v39, exec_lo, v39
	v_not_b32_e32 v197, v198
	v_ashrrev_i32_e32 v42, 31, v42
	v_xor_b32_e32 v41, vcc_lo, v41
	v_cmp_gt_i32_e32 vcc_lo, 0, v198
	v_and_b32_e32 v39, v39, v200
	v_not_b32_e32 v198, v199
	v_ashrrev_i32_e32 v197, 31, v197
	v_xor_b32_e32 v42, s22, v42
	v_cmp_gt_i32_e64 s22, 0, v199
	v_and_b32_e32 v39, v39, v41
	v_not_b32_e32 v41, v196
	v_ashrrev_i32_e32 v198, 31, v198
	v_xor_b32_e32 v197, vcc_lo, v197
	v_cmp_gt_i32_e32 vcc_lo, 0, v196
	v_and_b32_e32 v39, v39, v42
	v_ashrrev_i32_e32 v41, 31, v41
	v_xor_b32_e32 v42, s22, v198
	v_mad_u32_u24 v196, v40, 36, v116
	v_mul_u32_u24_e32 v40, 36, v40
	v_and_b32_e32 v39, v39, v197
	v_xor_b32_e32 v41, vcc_lo, v41
	ds_read_b32 v196, v196 offset:544
	v_add_nc_u32_e32 v198, v116, v40
	v_and_b32_e32 v39, v39, v42
	; wave barrier
	v_and_b32_e32 v39, v39, v41
	v_mbcnt_lo_u32_b32 v197, v39, 0
	v_cmp_ne_u32_e64 s22, 0, v39
	v_cmp_eq_u32_e32 vcc_lo, 0, v197
	s_and_b32 s23, s22, vcc_lo
	s_and_saveexec_b32 s22, s23
	s_cbranch_execz .LBB92_1090
; %bb.1089:                             ;   in Loop: Header=BB92_1032 Depth=2
	s_waitcnt lgkmcnt(0)
	v_bcnt_u32_b32 v39, v39, v196
	ds_write_b32 v198, v39 offset:544
.LBB92_1090:                            ;   in Loop: Header=BB92_1032 Depth=2
	s_or_b32 exec_lo, exec_lo, s22
	; wave barrier
	s_waitcnt lgkmcnt(0)
	s_barrier
	buffer_gl0_inv
	ds_read2_b32 v[41:42], v69 offset0:136 offset1:137
	ds_read2_b32 v[39:40], v69 offset0:138 offset1:139
	ds_read_b32 v199, v69 offset:560
	s_waitcnt lgkmcnt(1)
	v_add3_u32 v200, v42, v41, v39
	s_waitcnt lgkmcnt(0)
	v_add3_u32 v199, v200, v40, v199
	v_mov_b32_dpp v200, v199 row_shr:1 row_mask:0xf bank_mask:0xf
	v_cndmask_b32_e64 v200, v200, 0, s5
	v_add_nc_u32_e32 v199, v200, v199
	v_mov_b32_dpp v200, v199 row_shr:2 row_mask:0xf bank_mask:0xf
	v_cndmask_b32_e64 v200, 0, v200, s14
	v_add_nc_u32_e32 v199, v199, v200
	;; [unrolled: 3-line block ×4, first 2 shown]
	ds_swizzle_b32 v200, v199 offset:swizzle(BROADCAST,32,15)
	s_waitcnt lgkmcnt(0)
	v_cndmask_b32_e64 v200, v200, 0, s17
	v_add_nc_u32_e32 v199, v199, v200
	s_and_saveexec_b32 s22, s4
; %bb.1091:                             ;   in Loop: Header=BB92_1032 Depth=2
	ds_write_b32 v62, v199 offset:512
; %bb.1092:                             ;   in Loop: Header=BB92_1032 Depth=2
	s_or_b32 exec_lo, exec_lo, s22
	s_waitcnt lgkmcnt(0)
	s_barrier
	buffer_gl0_inv
	s_and_saveexec_b32 s22, s11
	s_cbranch_execz .LBB92_1094
; %bb.1093:                             ;   in Loop: Header=BB92_1032 Depth=2
	ds_read_b32 v200, v70 offset:512
	s_waitcnt lgkmcnt(0)
	v_mov_b32_dpp v201, v200 row_shr:1 row_mask:0xf bank_mask:0xf
	v_cndmask_b32_e64 v201, v201, 0, s19
	v_add_nc_u32_e32 v200, v201, v200
	v_mov_b32_dpp v201, v200 row_shr:2 row_mask:0xf bank_mask:0xf
	v_cndmask_b32_e64 v201, 0, v201, s20
	v_add_nc_u32_e32 v200, v200, v201
	;; [unrolled: 3-line block ×3, first 2 shown]
	ds_write_b32 v70, v200 offset:512
.LBB92_1094:                            ;   in Loop: Header=BB92_1032 Depth=2
	s_or_b32 exec_lo, exec_lo, s22
	v_mov_b32_e32 v200, 0
	s_waitcnt lgkmcnt(0)
	s_barrier
	buffer_gl0_inv
	s_and_saveexec_b32 s22, s10
; %bb.1095:                             ;   in Loop: Header=BB92_1032 Depth=2
	ds_read_b32 v200, v62 offset:508
; %bb.1096:                             ;   in Loop: Header=BB92_1032 Depth=2
	s_or_b32 exec_lo, exec_lo, s22
	s_waitcnt lgkmcnt(0)
	v_add_nc_u32_e32 v199, v200, v199
	ds_bpermute_b32 v199, v94, v199
	s_waitcnt lgkmcnt(0)
	v_cndmask_b32_e64 v199, v199, v200, s18
	v_cndmask_b32_e64 v199, v199, 0, s12
	v_add_nc_u32_e32 v41, v199, v41
	v_add_nc_u32_e32 v42, v41, v42
	;; [unrolled: 1-line block ×4, first 2 shown]
	ds_write2_b32 v69, v199, v41 offset0:136 offset1:137
	ds_write2_b32 v69, v42, v39 offset0:138 offset1:139
	ds_write_b32 v69, v40 offset:560
	s_waitcnt lgkmcnt(0)
	s_barrier
	buffer_gl0_inv
	ds_read_b32 v39, v149 offset:544
	ds_read_b32 v40, v153 offset:544
	;; [unrolled: 1-line block ×17, first 2 shown]
	s_and_saveexec_b32 s22, s7
	s_cbranch_execz .LBB92_1100
; %bb.1097:                             ;   in Loop: Header=BB92_1032 Depth=2
	v_add_nc_u32_e32 v135, v70, v72
	v_mov_b32_e32 v136, 0x1100
	ds_read_b32 v135, v135 offset:544
	s_and_saveexec_b32 s23, s13
; %bb.1098:                             ;   in Loop: Header=BB92_1032 Depth=2
	ds_read_b32 v136, v71 offset:544
; %bb.1099:                             ;   in Loop: Header=BB92_1032 Depth=2
	s_or_b32 exec_lo, exec_lo, s23
	s_waitcnt lgkmcnt(0)
	v_sub_nc_u32_e32 v136, v136, v135
.LBB92_1100:                            ;   in Loop: Header=BB92_1032 Depth=2
	s_or_b32 exec_lo, exec_lo, s22
	v_lshrrev_b32_e32 v203, 8, v148
	v_lshrrev_b32_e32 v204, 16, v148
	;; [unrolled: 1-line block ×8, first 2 shown]
	s_waitcnt lgkmcnt(0)
	s_barrier
	buffer_gl0_inv
	s_and_saveexec_b32 s22, s7
	s_cbranch_execz .LBB92_1102
; %bb.1101:                             ;   in Loop: Header=BB92_1032 Depth=2
	ds_read_b32 v3, v43
	s_waitcnt lgkmcnt(0)
	v_sub_nc_u32_e32 v3, v3, v135
	ds_write_b32 v43, v3
.LBB92_1102:                            ;   in Loop: Header=BB92_1032 Depth=2
	s_or_b32 exec_lo, exec_lo, s22
	v_add_nc_u32_e32 v157, v39, v146
	v_add3_u32 v153, v152, v151, v40
	v_add3_u32 v152, v155, v154, v41
	;; [unrolled: 1-line block ×16, first 2 shown]
	v_cmp_lt_u32_e64 s38, v0, v138
	ds_write_b8 v157, v147 offset:512
	ds_write_b8 v153, v203 offset:512
	;; [unrolled: 1-line block ×17, first 2 shown]
	s_waitcnt lgkmcnt(0)
	s_barrier
	buffer_gl0_inv
	s_and_saveexec_b32 s22, s38
	s_cbranch_execnz .LBB92_1175
; %bb.1103:                             ;   in Loop: Header=BB92_1032 Depth=2
	s_or_b32 exec_lo, exec_lo, s22
	v_cmp_lt_u32_e64 s39, v44, v138
	s_and_saveexec_b32 s22, s39
	s_cbranch_execnz .LBB92_1176
.LBB92_1104:                            ;   in Loop: Header=BB92_1032 Depth=2
	s_or_b32 exec_lo, exec_lo, s22
	v_cmp_lt_u32_e64 s37, v47, v138
	s_and_saveexec_b32 s22, s37
	s_cbranch_execnz .LBB92_1177
.LBB92_1105:                            ;   in Loop: Header=BB92_1032 Depth=2
	s_or_b32 exec_lo, exec_lo, s22
	v_cmp_lt_u32_e64 s36, v48, v138
	s_and_saveexec_b32 s22, s36
	s_cbranch_execnz .LBB92_1178
.LBB92_1106:                            ;   in Loop: Header=BB92_1032 Depth=2
	s_or_b32 exec_lo, exec_lo, s22
	v_cmp_lt_u32_e64 s35, v49, v138
	s_and_saveexec_b32 s22, s35
	s_cbranch_execnz .LBB92_1179
.LBB92_1107:                            ;   in Loop: Header=BB92_1032 Depth=2
	s_or_b32 exec_lo, exec_lo, s22
	v_cmp_lt_u32_e64 s34, v50, v138
	s_and_saveexec_b32 s22, s34
	s_cbranch_execnz .LBB92_1180
.LBB92_1108:                            ;   in Loop: Header=BB92_1032 Depth=2
	s_or_b32 exec_lo, exec_lo, s22
	v_cmp_lt_u32_e64 s33, v51, v138
	s_and_saveexec_b32 s22, s33
	s_cbranch_execnz .LBB92_1181
.LBB92_1109:                            ;   in Loop: Header=BB92_1032 Depth=2
	s_or_b32 exec_lo, exec_lo, s22
	v_cmp_lt_u32_e64 s31, v52, v138
	s_and_saveexec_b32 s22, s31
	s_cbranch_execnz .LBB92_1182
.LBB92_1110:                            ;   in Loop: Header=BB92_1032 Depth=2
	s_or_b32 exec_lo, exec_lo, s22
	v_cmp_lt_u32_e64 s30, v53, v138
	s_and_saveexec_b32 s22, s30
	s_cbranch_execnz .LBB92_1183
.LBB92_1111:                            ;   in Loop: Header=BB92_1032 Depth=2
	s_or_b32 exec_lo, exec_lo, s22
	v_cmp_lt_u32_e64 s29, v54, v138
	s_and_saveexec_b32 s22, s29
	s_cbranch_execnz .LBB92_1184
.LBB92_1112:                            ;   in Loop: Header=BB92_1032 Depth=2
	s_or_b32 exec_lo, exec_lo, s22
	v_cmp_lt_u32_e64 s27, v55, v138
	s_and_saveexec_b32 s22, s27
	s_cbranch_execnz .LBB92_1185
.LBB92_1113:                            ;   in Loop: Header=BB92_1032 Depth=2
	s_or_b32 exec_lo, exec_lo, s22
	v_cmp_lt_u32_e64 s26, v56, v138
	s_and_saveexec_b32 s22, s26
	s_cbranch_execnz .LBB92_1186
.LBB92_1114:                            ;   in Loop: Header=BB92_1032 Depth=2
	s_or_b32 exec_lo, exec_lo, s22
	v_cmp_lt_u32_e64 s25, v57, v138
	s_and_saveexec_b32 s22, s25
	s_cbranch_execnz .LBB92_1187
.LBB92_1115:                            ;   in Loop: Header=BB92_1032 Depth=2
	s_or_b32 exec_lo, exec_lo, s22
	v_cmp_lt_u32_e64 s24, v58, v138
	s_and_saveexec_b32 s22, s24
	s_cbranch_execnz .LBB92_1188
.LBB92_1116:                            ;   in Loop: Header=BB92_1032 Depth=2
	s_or_b32 exec_lo, exec_lo, s22
	v_cmp_lt_u32_e64 s23, v59, v138
	s_and_saveexec_b32 s22, s23
	s_cbranch_execnz .LBB92_1189
.LBB92_1117:                            ;   in Loop: Header=BB92_1032 Depth=2
	s_or_b32 exec_lo, exec_lo, s22
	v_cmp_lt_u32_e64 s22, v60, v138
	s_and_saveexec_b32 s40, s22
	s_cbranch_execnz .LBB92_1190
.LBB92_1118:                            ;   in Loop: Header=BB92_1032 Depth=2
	s_or_b32 exec_lo, exec_lo, s40
	v_cmp_lt_u32_e32 vcc_lo, v61, v138
	s_and_saveexec_b32 s40, vcc_lo
	s_cbranch_execz .LBB92_1120
.LBB92_1119:                            ;   in Loop: Header=BB92_1032 Depth=2
	ds_read_u8 v39, v0 offset:4608
	s_waitcnt lgkmcnt(0)
	v_lshrrev_b32_sdwa v40, s41, v39 dst_sel:DWORD dst_unused:UNUSED_PAD src0_sel:DWORD src1_sel:BYTE_0
	v_xor_b32_e32 v39, -1, v39
	v_and_b32_e32 v40, s62, v40
	v_lshlrev_b32_e32 v40, 2, v40
	ds_read_b32 v40, v40
	s_waitcnt lgkmcnt(0)
	v_add_nc_u32_e32 v40, v40, v61
	global_store_byte v40, v39, s[48:49]
.LBB92_1120:                            ;   in Loop: Header=BB92_1032 Depth=2
	s_or_b32 exec_lo, exec_lo, s40
	s_lshl_b64 s[66:67], s[50:51], 3
	v_add_co_u32 v39, s40, v98, s66
	v_add_co_ci_u32_e64 v40, null, s67, v99, s40
	v_cmp_lt_u32_e64 s40, v95, v138
	s_and_saveexec_b32 s50, s40
	s_xor_b32 s40, exec_lo, s50
	s_cbranch_execnz .LBB92_1191
; %bb.1121:                             ;   in Loop: Header=BB92_1032 Depth=2
	s_or_b32 exec_lo, exec_lo, s40
	s_mov_b32 s50, exec_lo
	v_cmpx_lt_u32_e64 v100, v138
	s_cbranch_execnz .LBB92_1192
.LBB92_1122:                            ;   in Loop: Header=BB92_1032 Depth=2
	s_or_b32 exec_lo, exec_lo, s50
	s_mov_b32 s50, exec_lo
	v_cmpx_lt_u32_e64 v101, v138
	s_cbranch_execnz .LBB92_1193
.LBB92_1123:                            ;   in Loop: Header=BB92_1032 Depth=2
	s_or_b32 exec_lo, exec_lo, s50
	s_mov_b32 s50, exec_lo
	v_cmpx_lt_u32_e64 v102, v138
	s_cbranch_execnz .LBB92_1194
.LBB92_1124:                            ;   in Loop: Header=BB92_1032 Depth=2
	s_or_b32 exec_lo, exec_lo, s50
	s_mov_b32 s50, exec_lo
	v_cmpx_lt_u32_e64 v103, v138
	s_cbranch_execnz .LBB92_1195
.LBB92_1125:                            ;   in Loop: Header=BB92_1032 Depth=2
	s_or_b32 exec_lo, exec_lo, s50
	s_mov_b32 s50, exec_lo
	v_cmpx_lt_u32_e64 v104, v138
	s_cbranch_execnz .LBB92_1196
.LBB92_1126:                            ;   in Loop: Header=BB92_1032 Depth=2
	s_or_b32 exec_lo, exec_lo, s50
	s_mov_b32 s50, exec_lo
	v_cmpx_lt_u32_e64 v105, v138
	s_cbranch_execnz .LBB92_1197
.LBB92_1127:                            ;   in Loop: Header=BB92_1032 Depth=2
	s_or_b32 exec_lo, exec_lo, s50
	s_mov_b32 s50, exec_lo
	v_cmpx_lt_u32_e64 v106, v138
	s_cbranch_execnz .LBB92_1198
.LBB92_1128:                            ;   in Loop: Header=BB92_1032 Depth=2
	s_or_b32 exec_lo, exec_lo, s50
	s_mov_b32 s50, exec_lo
	v_cmpx_lt_u32_e64 v107, v138
	s_cbranch_execnz .LBB92_1199
.LBB92_1129:                            ;   in Loop: Header=BB92_1032 Depth=2
	s_or_b32 exec_lo, exec_lo, s50
	s_mov_b32 s50, exec_lo
	v_cmpx_lt_u32_e64 v108, v138
	s_cbranch_execnz .LBB92_1200
.LBB92_1130:                            ;   in Loop: Header=BB92_1032 Depth=2
	s_or_b32 exec_lo, exec_lo, s50
	s_mov_b32 s50, exec_lo
	v_cmpx_lt_u32_e64 v109, v138
	s_cbranch_execnz .LBB92_1201
.LBB92_1131:                            ;   in Loop: Header=BB92_1032 Depth=2
	s_or_b32 exec_lo, exec_lo, s50
	s_mov_b32 s50, exec_lo
	v_cmpx_lt_u32_e64 v110, v138
	s_cbranch_execnz .LBB92_1202
.LBB92_1132:                            ;   in Loop: Header=BB92_1032 Depth=2
	s_or_b32 exec_lo, exec_lo, s50
	s_mov_b32 s50, exec_lo
	v_cmpx_lt_u32_e64 v111, v138
	s_cbranch_execnz .LBB92_1203
.LBB92_1133:                            ;   in Loop: Header=BB92_1032 Depth=2
	s_or_b32 exec_lo, exec_lo, s50
	s_mov_b32 s50, exec_lo
	v_cmpx_lt_u32_e64 v112, v138
	s_cbranch_execnz .LBB92_1204
.LBB92_1134:                            ;   in Loop: Header=BB92_1032 Depth=2
	s_or_b32 exec_lo, exec_lo, s50
	s_mov_b32 s50, exec_lo
	v_cmpx_lt_u32_e64 v113, v138
	s_cbranch_execnz .LBB92_1205
.LBB92_1135:                            ;   in Loop: Header=BB92_1032 Depth=2
	s_or_b32 exec_lo, exec_lo, s50
	s_mov_b32 s50, exec_lo
	v_cmpx_lt_u32_e64 v114, v138
	s_cbranch_execnz .LBB92_1206
.LBB92_1136:                            ;   in Loop: Header=BB92_1032 Depth=2
	s_or_b32 exec_lo, exec_lo, s50
	s_mov_b32 s50, exec_lo
	v_cmpx_lt_u32_e64 v115, v138
	s_cbranch_execnz .LBB92_1207
.LBB92_1137:                            ;   in Loop: Header=BB92_1032 Depth=2
	s_or_b32 exec_lo, exec_lo, s50
	s_and_saveexec_b32 s40, s38
	s_cbranch_execnz .LBB92_1208
.LBB92_1138:                            ;   in Loop: Header=BB92_1032 Depth=2
	s_or_b32 exec_lo, exec_lo, s40
	s_and_saveexec_b32 s40, s39
	s_cbranch_execnz .LBB92_1209
.LBB92_1139:                            ;   in Loop: Header=BB92_1032 Depth=2
	s_or_b32 exec_lo, exec_lo, s40
	s_and_saveexec_b32 s40, s37
	s_cbranch_execnz .LBB92_1210
.LBB92_1140:                            ;   in Loop: Header=BB92_1032 Depth=2
	s_or_b32 exec_lo, exec_lo, s40
	s_and_saveexec_b32 s40, s36
	s_cbranch_execnz .LBB92_1211
.LBB92_1141:                            ;   in Loop: Header=BB92_1032 Depth=2
	s_or_b32 exec_lo, exec_lo, s40
	s_and_saveexec_b32 s40, s35
	s_cbranch_execnz .LBB92_1212
.LBB92_1142:                            ;   in Loop: Header=BB92_1032 Depth=2
	s_or_b32 exec_lo, exec_lo, s40
	s_and_saveexec_b32 s40, s34
	s_cbranch_execnz .LBB92_1213
.LBB92_1143:                            ;   in Loop: Header=BB92_1032 Depth=2
	s_or_b32 exec_lo, exec_lo, s40
	s_and_saveexec_b32 s40, s33
	s_cbranch_execnz .LBB92_1214
.LBB92_1144:                            ;   in Loop: Header=BB92_1032 Depth=2
	s_or_b32 exec_lo, exec_lo, s40
	s_and_saveexec_b32 s40, s31
	s_cbranch_execnz .LBB92_1215
.LBB92_1145:                            ;   in Loop: Header=BB92_1032 Depth=2
	s_or_b32 exec_lo, exec_lo, s40
	s_and_saveexec_b32 s40, s30
	s_cbranch_execnz .LBB92_1216
.LBB92_1146:                            ;   in Loop: Header=BB92_1032 Depth=2
	s_or_b32 exec_lo, exec_lo, s40
	s_and_saveexec_b32 s40, s29
	s_cbranch_execnz .LBB92_1217
.LBB92_1147:                            ;   in Loop: Header=BB92_1032 Depth=2
	s_or_b32 exec_lo, exec_lo, s40
	s_and_saveexec_b32 s40, s27
	s_cbranch_execnz .LBB92_1218
.LBB92_1148:                            ;   in Loop: Header=BB92_1032 Depth=2
	s_or_b32 exec_lo, exec_lo, s40
	s_and_saveexec_b32 s40, s26
	s_cbranch_execnz .LBB92_1219
.LBB92_1149:                            ;   in Loop: Header=BB92_1032 Depth=2
	s_or_b32 exec_lo, exec_lo, s40
	s_and_saveexec_b32 s40, s25
	s_cbranch_execnz .LBB92_1220
.LBB92_1150:                            ;   in Loop: Header=BB92_1032 Depth=2
	s_or_b32 exec_lo, exec_lo, s40
	s_and_saveexec_b32 s40, s24
	s_cbranch_execnz .LBB92_1221
.LBB92_1151:                            ;   in Loop: Header=BB92_1032 Depth=2
	s_or_b32 exec_lo, exec_lo, s40
	s_and_saveexec_b32 s40, s23
	s_cbranch_execnz .LBB92_1222
.LBB92_1152:                            ;   in Loop: Header=BB92_1032 Depth=2
	s_or_b32 exec_lo, exec_lo, s40
	s_and_saveexec_b32 s40, s22
	s_cbranch_execnz .LBB92_1223
.LBB92_1153:                            ;   in Loop: Header=BB92_1032 Depth=2
	s_or_b32 exec_lo, exec_lo, s40
	s_and_saveexec_b32 s40, vcc_lo
	s_cbranch_execz .LBB92_1155
.LBB92_1154:                            ;   in Loop: Header=BB92_1032 Depth=2
	ds_read_u8 v39, v0 offset:4608
	s_waitcnt lgkmcnt(0)
	v_lshrrev_b32_e32 v39, s41, v39
	v_and_b32_e32 v117, s62, v39
.LBB92_1155:                            ;   in Loop: Header=BB92_1032 Depth=2
	s_or_b32 exec_lo, exec_lo, s40
	v_lshlrev_b32_e32 v39, 3, v157
	s_waitcnt vmcnt(0)
	s_waitcnt_vscnt null, 0x0
	v_lshlrev_b32_e32 v40, 3, v153
	s_barrier
	buffer_gl0_inv
	ds_write_b64 v39, v[37:38] offset:512
	v_lshlrev_b32_e32 v39, 3, v152
	ds_write_b64 v40, v[35:36] offset:512
	v_lshlrev_b32_e32 v40, 3, v151
	v_lshlrev_b32_e32 v138, 3, v150
	;; [unrolled: 1-line block ×3, first 2 shown]
	ds_write_b64 v39, v[33:34] offset:512
	v_lshlrev_b32_e32 v39, 3, v148
	ds_write_b64 v40, v[31:32] offset:512
	ds_write_b64 v138, v[29:30] offset:512
	;; [unrolled: 1-line block ×3, first 2 shown]
	v_lshlrev_b32_e32 v40, 3, v146
	v_lshlrev_b32_e32 v138, 3, v144
	;; [unrolled: 1-line block ×3, first 2 shown]
	ds_write_b64 v39, v[21:22] offset:512
	v_lshlrev_b32_e32 v39, 3, v145
	ds_write_b64 v40, v[17:18] offset:512
	v_lshlrev_b32_e32 v40, 3, v141
	ds_write_b64 v39, v[27:28] offset:512
	ds_write_b64 v138, v[23:24] offset:512
	;; [unrolled: 1-line block ×3, first 2 shown]
	v_lshlrev_b32_e32 v39, 3, v140
	ds_write_b64 v40, v[15:16] offset:512
	v_lshlrev_b32_e32 v40, 3, v137
	v_lshlrev_b32_e32 v3, 3, v3
	;; [unrolled: 1-line block ×3, first 2 shown]
	ds_write_b64 v39, v[13:14] offset:512
	v_add_nc_u32_e32 v39, v0, v75
	v_lshlrev_b32_e32 v41, 3, v41
	ds_write_b64 v40, v[11:12] offset:512
	ds_write_b64 v42, v[9:10] offset:512
	;; [unrolled: 1-line block ×4, first 2 shown]
	s_waitcnt lgkmcnt(0)
	s_barrier
	buffer_gl0_inv
	s_and_saveexec_b32 s40, s38
	s_cbranch_execnz .LBB92_1224
; %bb.1156:                             ;   in Loop: Header=BB92_1032 Depth=2
	s_or_b32 exec_lo, exec_lo, s40
	s_and_saveexec_b32 s40, s39
	s_cbranch_execnz .LBB92_1225
.LBB92_1157:                            ;   in Loop: Header=BB92_1032 Depth=2
	s_or_b32 exec_lo, exec_lo, s40
	s_and_saveexec_b32 s38, s37
	s_cbranch_execnz .LBB92_1226
.LBB92_1158:                            ;   in Loop: Header=BB92_1032 Depth=2
	s_or_b32 exec_lo, exec_lo, s38
	s_and_saveexec_b32 s37, s36
	s_cbranch_execnz .LBB92_1227
.LBB92_1159:                            ;   in Loop: Header=BB92_1032 Depth=2
	s_or_b32 exec_lo, exec_lo, s37
	s_and_saveexec_b32 s36, s35
	s_cbranch_execnz .LBB92_1228
.LBB92_1160:                            ;   in Loop: Header=BB92_1032 Depth=2
	s_or_b32 exec_lo, exec_lo, s36
	s_and_saveexec_b32 s35, s34
	s_cbranch_execnz .LBB92_1229
.LBB92_1161:                            ;   in Loop: Header=BB92_1032 Depth=2
	s_or_b32 exec_lo, exec_lo, s35
	s_and_saveexec_b32 s34, s33
	s_cbranch_execnz .LBB92_1230
.LBB92_1162:                            ;   in Loop: Header=BB92_1032 Depth=2
	s_or_b32 exec_lo, exec_lo, s34
	s_and_saveexec_b32 s33, s31
	s_cbranch_execnz .LBB92_1231
.LBB92_1163:                            ;   in Loop: Header=BB92_1032 Depth=2
	s_or_b32 exec_lo, exec_lo, s33
	s_and_saveexec_b32 s31, s30
	s_cbranch_execnz .LBB92_1232
.LBB92_1164:                            ;   in Loop: Header=BB92_1032 Depth=2
	s_or_b32 exec_lo, exec_lo, s31
	s_and_saveexec_b32 s30, s29
	s_cbranch_execnz .LBB92_1233
.LBB92_1165:                            ;   in Loop: Header=BB92_1032 Depth=2
	s_or_b32 exec_lo, exec_lo, s30
	s_and_saveexec_b32 s29, s27
	s_cbranch_execnz .LBB92_1234
.LBB92_1166:                            ;   in Loop: Header=BB92_1032 Depth=2
	s_or_b32 exec_lo, exec_lo, s29
	s_and_saveexec_b32 s27, s26
	s_cbranch_execnz .LBB92_1235
.LBB92_1167:                            ;   in Loop: Header=BB92_1032 Depth=2
	s_or_b32 exec_lo, exec_lo, s27
	s_and_saveexec_b32 s26, s25
	s_cbranch_execnz .LBB92_1236
.LBB92_1168:                            ;   in Loop: Header=BB92_1032 Depth=2
	s_or_b32 exec_lo, exec_lo, s26
	s_and_saveexec_b32 s25, s24
	s_cbranch_execnz .LBB92_1237
.LBB92_1169:                            ;   in Loop: Header=BB92_1032 Depth=2
	s_or_b32 exec_lo, exec_lo, s25
	s_and_saveexec_b32 s24, s23
	s_cbranch_execnz .LBB92_1238
.LBB92_1170:                            ;   in Loop: Header=BB92_1032 Depth=2
	s_or_b32 exec_lo, exec_lo, s24
	s_and_saveexec_b32 s23, s22
	s_cbranch_execnz .LBB92_1239
.LBB92_1171:                            ;   in Loop: Header=BB92_1032 Depth=2
	s_or_b32 exec_lo, exec_lo, s23
	s_and_saveexec_b32 s22, vcc_lo
	s_cbranch_execz .LBB92_1173
.LBB92_1172:                            ;   in Loop: Header=BB92_1032 Depth=2
	v_lshlrev_b32_e32 v3, 2, v117
	ds_read_b32 v3, v3
	ds_read_b64 v[39:40], v39 offset:33280
	s_waitcnt lgkmcnt(1)
	v_add_nc_u32_e32 v3, v3, v61
	v_lshlrev_b64 v[41:42], 3, v[3:4]
	v_add_co_u32 v41, vcc_lo, s54, v41
	v_add_co_ci_u32_e64 v42, null, s55, v42, vcc_lo
	s_waitcnt lgkmcnt(0)
	global_store_dwordx2 v[41:42], v[39:40], off
.LBB92_1173:                            ;   in Loop: Header=BB92_1032 Depth=2
	s_or_b32 exec_lo, exec_lo, s22
	s_waitcnt_vscnt null, 0x0
	s_barrier
	buffer_gl0_inv
	s_and_saveexec_b32 s22, s7
	s_cbranch_execz .LBB92_1031
; %bb.1174:                             ;   in Loop: Header=BB92_1032 Depth=2
	ds_read_b32 v3, v43
	s_waitcnt lgkmcnt(0)
	v_add3_u32 v3, v135, v136, v3
	ds_write_b32 v43, v3
	s_branch .LBB92_1031
.LBB92_1175:                            ;   in Loop: Header=BB92_1032 Depth=2
	ds_read_u8 v39, v0 offset:512
	s_waitcnt lgkmcnt(0)
	v_lshrrev_b32_sdwa v40, s41, v39 dst_sel:DWORD dst_unused:UNUSED_PAD src0_sel:DWORD src1_sel:BYTE_0
	v_xor_b32_e32 v39, -1, v39
	v_and_b32_e32 v40, s62, v40
	v_lshlrev_b32_e32 v40, 2, v40
	ds_read_b32 v40, v40
	s_waitcnt lgkmcnt(0)
	v_add_nc_u32_e32 v40, v40, v0
	global_store_byte v40, v39, s[48:49]
	s_or_b32 exec_lo, exec_lo, s22
	v_cmp_lt_u32_e64 s39, v44, v138
	s_and_saveexec_b32 s22, s39
	s_cbranch_execz .LBB92_1104
.LBB92_1176:                            ;   in Loop: Header=BB92_1032 Depth=2
	ds_read_u8 v39, v0 offset:768
	s_waitcnt lgkmcnt(0)
	v_lshrrev_b32_sdwa v40, s41, v39 dst_sel:DWORD dst_unused:UNUSED_PAD src0_sel:DWORD src1_sel:BYTE_0
	v_xor_b32_e32 v39, -1, v39
	v_and_b32_e32 v40, s62, v40
	v_lshlrev_b32_e32 v40, 2, v40
	ds_read_b32 v40, v40
	s_waitcnt lgkmcnt(0)
	v_add_nc_u32_e32 v40, v40, v44
	global_store_byte v40, v39, s[48:49]
	s_or_b32 exec_lo, exec_lo, s22
	v_cmp_lt_u32_e64 s37, v47, v138
	s_and_saveexec_b32 s22, s37
	s_cbranch_execz .LBB92_1105
.LBB92_1177:                            ;   in Loop: Header=BB92_1032 Depth=2
	ds_read_u8 v39, v0 offset:1024
	s_waitcnt lgkmcnt(0)
	v_lshrrev_b32_sdwa v40, s41, v39 dst_sel:DWORD dst_unused:UNUSED_PAD src0_sel:DWORD src1_sel:BYTE_0
	v_xor_b32_e32 v39, -1, v39
	v_and_b32_e32 v40, s62, v40
	v_lshlrev_b32_e32 v40, 2, v40
	ds_read_b32 v40, v40
	s_waitcnt lgkmcnt(0)
	v_add_nc_u32_e32 v40, v40, v47
	global_store_byte v40, v39, s[48:49]
	s_or_b32 exec_lo, exec_lo, s22
	v_cmp_lt_u32_e64 s36, v48, v138
	s_and_saveexec_b32 s22, s36
	s_cbranch_execz .LBB92_1106
.LBB92_1178:                            ;   in Loop: Header=BB92_1032 Depth=2
	ds_read_u8 v39, v0 offset:1280
	s_waitcnt lgkmcnt(0)
	v_lshrrev_b32_sdwa v40, s41, v39 dst_sel:DWORD dst_unused:UNUSED_PAD src0_sel:DWORD src1_sel:BYTE_0
	v_xor_b32_e32 v39, -1, v39
	v_and_b32_e32 v40, s62, v40
	v_lshlrev_b32_e32 v40, 2, v40
	ds_read_b32 v40, v40
	s_waitcnt lgkmcnt(0)
	v_add_nc_u32_e32 v40, v40, v48
	global_store_byte v40, v39, s[48:49]
	s_or_b32 exec_lo, exec_lo, s22
	v_cmp_lt_u32_e64 s35, v49, v138
	s_and_saveexec_b32 s22, s35
	s_cbranch_execz .LBB92_1107
.LBB92_1179:                            ;   in Loop: Header=BB92_1032 Depth=2
	ds_read_u8 v39, v0 offset:1536
	s_waitcnt lgkmcnt(0)
	v_lshrrev_b32_sdwa v40, s41, v39 dst_sel:DWORD dst_unused:UNUSED_PAD src0_sel:DWORD src1_sel:BYTE_0
	v_xor_b32_e32 v39, -1, v39
	v_and_b32_e32 v40, s62, v40
	v_lshlrev_b32_e32 v40, 2, v40
	ds_read_b32 v40, v40
	s_waitcnt lgkmcnt(0)
	v_add_nc_u32_e32 v40, v40, v49
	global_store_byte v40, v39, s[48:49]
	s_or_b32 exec_lo, exec_lo, s22
	v_cmp_lt_u32_e64 s34, v50, v138
	s_and_saveexec_b32 s22, s34
	s_cbranch_execz .LBB92_1108
.LBB92_1180:                            ;   in Loop: Header=BB92_1032 Depth=2
	ds_read_u8 v39, v0 offset:1792
	s_waitcnt lgkmcnt(0)
	v_lshrrev_b32_sdwa v40, s41, v39 dst_sel:DWORD dst_unused:UNUSED_PAD src0_sel:DWORD src1_sel:BYTE_0
	v_xor_b32_e32 v39, -1, v39
	v_and_b32_e32 v40, s62, v40
	v_lshlrev_b32_e32 v40, 2, v40
	ds_read_b32 v40, v40
	s_waitcnt lgkmcnt(0)
	v_add_nc_u32_e32 v40, v40, v50
	global_store_byte v40, v39, s[48:49]
	s_or_b32 exec_lo, exec_lo, s22
	v_cmp_lt_u32_e64 s33, v51, v138
	s_and_saveexec_b32 s22, s33
	s_cbranch_execz .LBB92_1109
.LBB92_1181:                            ;   in Loop: Header=BB92_1032 Depth=2
	ds_read_u8 v39, v0 offset:2048
	s_waitcnt lgkmcnt(0)
	v_lshrrev_b32_sdwa v40, s41, v39 dst_sel:DWORD dst_unused:UNUSED_PAD src0_sel:DWORD src1_sel:BYTE_0
	v_xor_b32_e32 v39, -1, v39
	v_and_b32_e32 v40, s62, v40
	v_lshlrev_b32_e32 v40, 2, v40
	ds_read_b32 v40, v40
	s_waitcnt lgkmcnt(0)
	v_add_nc_u32_e32 v40, v40, v51
	global_store_byte v40, v39, s[48:49]
	s_or_b32 exec_lo, exec_lo, s22
	v_cmp_lt_u32_e64 s31, v52, v138
	s_and_saveexec_b32 s22, s31
	s_cbranch_execz .LBB92_1110
.LBB92_1182:                            ;   in Loop: Header=BB92_1032 Depth=2
	ds_read_u8 v39, v0 offset:2304
	s_waitcnt lgkmcnt(0)
	v_lshrrev_b32_sdwa v40, s41, v39 dst_sel:DWORD dst_unused:UNUSED_PAD src0_sel:DWORD src1_sel:BYTE_0
	v_xor_b32_e32 v39, -1, v39
	v_and_b32_e32 v40, s62, v40
	v_lshlrev_b32_e32 v40, 2, v40
	ds_read_b32 v40, v40
	s_waitcnt lgkmcnt(0)
	v_add_nc_u32_e32 v40, v40, v52
	global_store_byte v40, v39, s[48:49]
	s_or_b32 exec_lo, exec_lo, s22
	v_cmp_lt_u32_e64 s30, v53, v138
	s_and_saveexec_b32 s22, s30
	s_cbranch_execz .LBB92_1111
.LBB92_1183:                            ;   in Loop: Header=BB92_1032 Depth=2
	ds_read_u8 v39, v0 offset:2560
	s_waitcnt lgkmcnt(0)
	v_lshrrev_b32_sdwa v40, s41, v39 dst_sel:DWORD dst_unused:UNUSED_PAD src0_sel:DWORD src1_sel:BYTE_0
	v_xor_b32_e32 v39, -1, v39
	v_and_b32_e32 v40, s62, v40
	v_lshlrev_b32_e32 v40, 2, v40
	ds_read_b32 v40, v40
	s_waitcnt lgkmcnt(0)
	v_add_nc_u32_e32 v40, v40, v53
	global_store_byte v40, v39, s[48:49]
	s_or_b32 exec_lo, exec_lo, s22
	v_cmp_lt_u32_e64 s29, v54, v138
	s_and_saveexec_b32 s22, s29
	s_cbranch_execz .LBB92_1112
.LBB92_1184:                            ;   in Loop: Header=BB92_1032 Depth=2
	ds_read_u8 v39, v0 offset:2816
	s_waitcnt lgkmcnt(0)
	v_lshrrev_b32_sdwa v40, s41, v39 dst_sel:DWORD dst_unused:UNUSED_PAD src0_sel:DWORD src1_sel:BYTE_0
	v_xor_b32_e32 v39, -1, v39
	v_and_b32_e32 v40, s62, v40
	v_lshlrev_b32_e32 v40, 2, v40
	ds_read_b32 v40, v40
	s_waitcnt lgkmcnt(0)
	v_add_nc_u32_e32 v40, v40, v54
	global_store_byte v40, v39, s[48:49]
	s_or_b32 exec_lo, exec_lo, s22
	v_cmp_lt_u32_e64 s27, v55, v138
	s_and_saveexec_b32 s22, s27
	s_cbranch_execz .LBB92_1113
.LBB92_1185:                            ;   in Loop: Header=BB92_1032 Depth=2
	ds_read_u8 v39, v0 offset:3072
	s_waitcnt lgkmcnt(0)
	v_lshrrev_b32_sdwa v40, s41, v39 dst_sel:DWORD dst_unused:UNUSED_PAD src0_sel:DWORD src1_sel:BYTE_0
	v_xor_b32_e32 v39, -1, v39
	v_and_b32_e32 v40, s62, v40
	v_lshlrev_b32_e32 v40, 2, v40
	ds_read_b32 v40, v40
	s_waitcnt lgkmcnt(0)
	v_add_nc_u32_e32 v40, v40, v55
	global_store_byte v40, v39, s[48:49]
	s_or_b32 exec_lo, exec_lo, s22
	v_cmp_lt_u32_e64 s26, v56, v138
	s_and_saveexec_b32 s22, s26
	s_cbranch_execz .LBB92_1114
.LBB92_1186:                            ;   in Loop: Header=BB92_1032 Depth=2
	ds_read_u8 v39, v0 offset:3328
	s_waitcnt lgkmcnt(0)
	v_lshrrev_b32_sdwa v40, s41, v39 dst_sel:DWORD dst_unused:UNUSED_PAD src0_sel:DWORD src1_sel:BYTE_0
	v_xor_b32_e32 v39, -1, v39
	v_and_b32_e32 v40, s62, v40
	v_lshlrev_b32_e32 v40, 2, v40
	ds_read_b32 v40, v40
	s_waitcnt lgkmcnt(0)
	v_add_nc_u32_e32 v40, v40, v56
	global_store_byte v40, v39, s[48:49]
	s_or_b32 exec_lo, exec_lo, s22
	v_cmp_lt_u32_e64 s25, v57, v138
	s_and_saveexec_b32 s22, s25
	s_cbranch_execz .LBB92_1115
.LBB92_1187:                            ;   in Loop: Header=BB92_1032 Depth=2
	ds_read_u8 v39, v0 offset:3584
	s_waitcnt lgkmcnt(0)
	v_lshrrev_b32_sdwa v40, s41, v39 dst_sel:DWORD dst_unused:UNUSED_PAD src0_sel:DWORD src1_sel:BYTE_0
	v_xor_b32_e32 v39, -1, v39
	v_and_b32_e32 v40, s62, v40
	v_lshlrev_b32_e32 v40, 2, v40
	ds_read_b32 v40, v40
	s_waitcnt lgkmcnt(0)
	v_add_nc_u32_e32 v40, v40, v57
	global_store_byte v40, v39, s[48:49]
	s_or_b32 exec_lo, exec_lo, s22
	v_cmp_lt_u32_e64 s24, v58, v138
	s_and_saveexec_b32 s22, s24
	s_cbranch_execz .LBB92_1116
.LBB92_1188:                            ;   in Loop: Header=BB92_1032 Depth=2
	ds_read_u8 v39, v0 offset:3840
	s_waitcnt lgkmcnt(0)
	v_lshrrev_b32_sdwa v40, s41, v39 dst_sel:DWORD dst_unused:UNUSED_PAD src0_sel:DWORD src1_sel:BYTE_0
	v_xor_b32_e32 v39, -1, v39
	v_and_b32_e32 v40, s62, v40
	v_lshlrev_b32_e32 v40, 2, v40
	ds_read_b32 v40, v40
	s_waitcnt lgkmcnt(0)
	v_add_nc_u32_e32 v40, v40, v58
	global_store_byte v40, v39, s[48:49]
	s_or_b32 exec_lo, exec_lo, s22
	v_cmp_lt_u32_e64 s23, v59, v138
	s_and_saveexec_b32 s22, s23
	s_cbranch_execz .LBB92_1117
.LBB92_1189:                            ;   in Loop: Header=BB92_1032 Depth=2
	ds_read_u8 v39, v0 offset:4096
	s_waitcnt lgkmcnt(0)
	v_lshrrev_b32_sdwa v40, s41, v39 dst_sel:DWORD dst_unused:UNUSED_PAD src0_sel:DWORD src1_sel:BYTE_0
	v_xor_b32_e32 v39, -1, v39
	v_and_b32_e32 v40, s62, v40
	v_lshlrev_b32_e32 v40, 2, v40
	ds_read_b32 v40, v40
	s_waitcnt lgkmcnt(0)
	v_add_nc_u32_e32 v40, v40, v59
	global_store_byte v40, v39, s[48:49]
	s_or_b32 exec_lo, exec_lo, s22
	v_cmp_lt_u32_e64 s22, v60, v138
	s_and_saveexec_b32 s40, s22
	s_cbranch_execz .LBB92_1118
.LBB92_1190:                            ;   in Loop: Header=BB92_1032 Depth=2
	ds_read_u8 v39, v0 offset:4352
	s_waitcnt lgkmcnt(0)
	v_lshrrev_b32_sdwa v40, s41, v39 dst_sel:DWORD dst_unused:UNUSED_PAD src0_sel:DWORD src1_sel:BYTE_0
	v_xor_b32_e32 v39, -1, v39
	v_and_b32_e32 v40, s62, v40
	v_lshlrev_b32_e32 v40, 2, v40
	ds_read_b32 v40, v40
	s_waitcnt lgkmcnt(0)
	v_add_nc_u32_e32 v40, v40, v60
	global_store_byte v40, v39, s[48:49]
	s_or_b32 exec_lo, exec_lo, s40
	v_cmp_lt_u32_e32 vcc_lo, v61, v138
	s_and_saveexec_b32 s40, vcc_lo
	s_cbranch_execnz .LBB92_1119
	s_branch .LBB92_1120
.LBB92_1191:                            ;   in Loop: Header=BB92_1032 Depth=2
	global_load_dwordx2 v[37:38], v[39:40], off
	s_or_b32 exec_lo, exec_lo, s40
	s_mov_b32 s50, exec_lo
	v_cmpx_lt_u32_e64 v100, v138
	s_cbranch_execz .LBB92_1122
.LBB92_1192:                            ;   in Loop: Header=BB92_1032 Depth=2
	global_load_dwordx2 v[35:36], v[39:40], off offset:256
	s_or_b32 exec_lo, exec_lo, s50
	s_mov_b32 s50, exec_lo
	v_cmpx_lt_u32_e64 v101, v138
	s_cbranch_execz .LBB92_1123
.LBB92_1193:                            ;   in Loop: Header=BB92_1032 Depth=2
	global_load_dwordx2 v[33:34], v[39:40], off offset:512
	s_or_b32 exec_lo, exec_lo, s50
	s_mov_b32 s50, exec_lo
	v_cmpx_lt_u32_e64 v102, v138
	s_cbranch_execz .LBB92_1124
.LBB92_1194:                            ;   in Loop: Header=BB92_1032 Depth=2
	global_load_dwordx2 v[31:32], v[39:40], off offset:768
	s_or_b32 exec_lo, exec_lo, s50
	s_mov_b32 s50, exec_lo
	v_cmpx_lt_u32_e64 v103, v138
	s_cbranch_execz .LBB92_1125
.LBB92_1195:                            ;   in Loop: Header=BB92_1032 Depth=2
	global_load_dwordx2 v[29:30], v[39:40], off offset:1024
	s_or_b32 exec_lo, exec_lo, s50
	s_mov_b32 s50, exec_lo
	v_cmpx_lt_u32_e64 v104, v138
	s_cbranch_execz .LBB92_1126
.LBB92_1196:                            ;   in Loop: Header=BB92_1032 Depth=2
	global_load_dwordx2 v[25:26], v[39:40], off offset:1280
	s_or_b32 exec_lo, exec_lo, s50
	s_mov_b32 s50, exec_lo
	v_cmpx_lt_u32_e64 v105, v138
	s_cbranch_execz .LBB92_1127
.LBB92_1197:                            ;   in Loop: Header=BB92_1032 Depth=2
	global_load_dwordx2 v[21:22], v[39:40], off offset:1536
	s_or_b32 exec_lo, exec_lo, s50
	s_mov_b32 s50, exec_lo
	v_cmpx_lt_u32_e64 v106, v138
	s_cbranch_execz .LBB92_1128
.LBB92_1198:                            ;   in Loop: Header=BB92_1032 Depth=2
	global_load_dwordx2 v[17:18], v[39:40], off offset:1792
	s_or_b32 exec_lo, exec_lo, s50
	s_mov_b32 s50, exec_lo
	v_cmpx_lt_u32_e64 v107, v138
	s_cbranch_execz .LBB92_1129
.LBB92_1199:                            ;   in Loop: Header=BB92_1032 Depth=2
	v_add_co_u32 v27, s40, 0x800, v39
	v_add_co_ci_u32_e64 v28, null, 0, v40, s40
	global_load_dwordx2 v[27:28], v[27:28], off
	s_or_b32 exec_lo, exec_lo, s50
	s_mov_b32 s50, exec_lo
	v_cmpx_lt_u32_e64 v108, v138
	s_cbranch_execz .LBB92_1130
.LBB92_1200:                            ;   in Loop: Header=BB92_1032 Depth=2
	v_add_co_u32 v23, s40, 0x800, v39
	v_add_co_ci_u32_e64 v24, null, 0, v40, s40
	global_load_dwordx2 v[23:24], v[23:24], off offset:256
	s_or_b32 exec_lo, exec_lo, s50
	s_mov_b32 s50, exec_lo
	v_cmpx_lt_u32_e64 v109, v138
	s_cbranch_execz .LBB92_1131
.LBB92_1201:                            ;   in Loop: Header=BB92_1032 Depth=2
	v_add_co_u32 v19, s40, 0x800, v39
	v_add_co_ci_u32_e64 v20, null, 0, v40, s40
	global_load_dwordx2 v[19:20], v[19:20], off offset:512
	s_or_b32 exec_lo, exec_lo, s50
	s_mov_b32 s50, exec_lo
	v_cmpx_lt_u32_e64 v110, v138
	s_cbranch_execz .LBB92_1132
.LBB92_1202:                            ;   in Loop: Header=BB92_1032 Depth=2
	v_add_co_u32 v15, s40, 0x800, v39
	v_add_co_ci_u32_e64 v16, null, 0, v40, s40
	global_load_dwordx2 v[15:16], v[15:16], off offset:768
	s_or_b32 exec_lo, exec_lo, s50
	s_mov_b32 s50, exec_lo
	v_cmpx_lt_u32_e64 v111, v138
	s_cbranch_execz .LBB92_1133
.LBB92_1203:                            ;   in Loop: Header=BB92_1032 Depth=2
	v_add_co_u32 v13, s40, 0x800, v39
	v_add_co_ci_u32_e64 v14, null, 0, v40, s40
	global_load_dwordx2 v[13:14], v[13:14], off offset:1024
	s_or_b32 exec_lo, exec_lo, s50
	s_mov_b32 s50, exec_lo
	v_cmpx_lt_u32_e64 v112, v138
	s_cbranch_execz .LBB92_1134
.LBB92_1204:                            ;   in Loop: Header=BB92_1032 Depth=2
	v_add_co_u32 v11, s40, 0x800, v39
	v_add_co_ci_u32_e64 v12, null, 0, v40, s40
	global_load_dwordx2 v[11:12], v[11:12], off offset:1280
	s_or_b32 exec_lo, exec_lo, s50
	s_mov_b32 s50, exec_lo
	v_cmpx_lt_u32_e64 v113, v138
	s_cbranch_execz .LBB92_1135
.LBB92_1205:                            ;   in Loop: Header=BB92_1032 Depth=2
	v_add_co_u32 v9, s40, 0x800, v39
	v_add_co_ci_u32_e64 v10, null, 0, v40, s40
	global_load_dwordx2 v[9:10], v[9:10], off offset:1536
	s_or_b32 exec_lo, exec_lo, s50
	s_mov_b32 s50, exec_lo
	v_cmpx_lt_u32_e64 v114, v138
	s_cbranch_execz .LBB92_1136
.LBB92_1206:                            ;   in Loop: Header=BB92_1032 Depth=2
	v_add_co_u32 v7, s40, 0x800, v39
	v_add_co_ci_u32_e64 v8, null, 0, v40, s40
	global_load_dwordx2 v[7:8], v[7:8], off offset:1792
	s_or_b32 exec_lo, exec_lo, s50
	s_mov_b32 s50, exec_lo
	v_cmpx_lt_u32_e64 v115, v138
	s_cbranch_execz .LBB92_1137
.LBB92_1207:                            ;   in Loop: Header=BB92_1032 Depth=2
	v_add_co_u32 v5, s40, 0x1000, v39
	v_add_co_ci_u32_e64 v6, null, 0, v40, s40
	global_load_dwordx2 v[5:6], v[5:6], off
	s_or_b32 exec_lo, exec_lo, s50
	s_and_saveexec_b32 s40, s38
	s_cbranch_execz .LBB92_1138
.LBB92_1208:                            ;   in Loop: Header=BB92_1032 Depth=2
	ds_read_u8 v39, v0 offset:512
	s_waitcnt lgkmcnt(0)
	v_lshrrev_b32_e32 v39, s41, v39
	v_and_b32_e32 v134, s62, v39
	s_or_b32 exec_lo, exec_lo, s40
	s_and_saveexec_b32 s40, s39
	s_cbranch_execz .LBB92_1139
.LBB92_1209:                            ;   in Loop: Header=BB92_1032 Depth=2
	ds_read_u8 v39, v0 offset:768
	s_waitcnt lgkmcnt(0)
	v_lshrrev_b32_e32 v39, s41, v39
	v_and_b32_e32 v133, s62, v39
	s_or_b32 exec_lo, exec_lo, s40
	s_and_saveexec_b32 s40, s37
	s_cbranch_execz .LBB92_1140
.LBB92_1210:                            ;   in Loop: Header=BB92_1032 Depth=2
	ds_read_u8 v39, v0 offset:1024
	s_waitcnt lgkmcnt(0)
	v_lshrrev_b32_e32 v39, s41, v39
	v_and_b32_e32 v132, s62, v39
	s_or_b32 exec_lo, exec_lo, s40
	s_and_saveexec_b32 s40, s36
	s_cbranch_execz .LBB92_1141
.LBB92_1211:                            ;   in Loop: Header=BB92_1032 Depth=2
	ds_read_u8 v39, v0 offset:1280
	s_waitcnt lgkmcnt(0)
	v_lshrrev_b32_e32 v39, s41, v39
	v_and_b32_e32 v131, s62, v39
	s_or_b32 exec_lo, exec_lo, s40
	s_and_saveexec_b32 s40, s35
	s_cbranch_execz .LBB92_1142
.LBB92_1212:                            ;   in Loop: Header=BB92_1032 Depth=2
	ds_read_u8 v39, v0 offset:1536
	s_waitcnt lgkmcnt(0)
	v_lshrrev_b32_e32 v39, s41, v39
	v_and_b32_e32 v130, s62, v39
	s_or_b32 exec_lo, exec_lo, s40
	s_and_saveexec_b32 s40, s34
	s_cbranch_execz .LBB92_1143
.LBB92_1213:                            ;   in Loop: Header=BB92_1032 Depth=2
	ds_read_u8 v39, v0 offset:1792
	s_waitcnt lgkmcnt(0)
	v_lshrrev_b32_e32 v39, s41, v39
	v_and_b32_e32 v128, s62, v39
	s_or_b32 exec_lo, exec_lo, s40
	s_and_saveexec_b32 s40, s33
	s_cbranch_execz .LBB92_1144
.LBB92_1214:                            ;   in Loop: Header=BB92_1032 Depth=2
	ds_read_u8 v39, v0 offset:2048
	s_waitcnt lgkmcnt(0)
	v_lshrrev_b32_e32 v39, s41, v39
	v_and_b32_e32 v127, s62, v39
	s_or_b32 exec_lo, exec_lo, s40
	s_and_saveexec_b32 s40, s31
	s_cbranch_execz .LBB92_1145
.LBB92_1215:                            ;   in Loop: Header=BB92_1032 Depth=2
	ds_read_u8 v39, v0 offset:2304
	s_waitcnt lgkmcnt(0)
	v_lshrrev_b32_e32 v39, s41, v39
	v_and_b32_e32 v126, s62, v39
	s_or_b32 exec_lo, exec_lo, s40
	s_and_saveexec_b32 s40, s30
	s_cbranch_execz .LBB92_1146
.LBB92_1216:                            ;   in Loop: Header=BB92_1032 Depth=2
	ds_read_u8 v39, v0 offset:2560
	s_waitcnt lgkmcnt(0)
	v_lshrrev_b32_e32 v39, s41, v39
	v_and_b32_e32 v125, s62, v39
	s_or_b32 exec_lo, exec_lo, s40
	s_and_saveexec_b32 s40, s29
	s_cbranch_execz .LBB92_1147
.LBB92_1217:                            ;   in Loop: Header=BB92_1032 Depth=2
	ds_read_u8 v39, v0 offset:2816
	s_waitcnt lgkmcnt(0)
	v_lshrrev_b32_e32 v39, s41, v39
	v_and_b32_e32 v124, s62, v39
	s_or_b32 exec_lo, exec_lo, s40
	s_and_saveexec_b32 s40, s27
	s_cbranch_execz .LBB92_1148
.LBB92_1218:                            ;   in Loop: Header=BB92_1032 Depth=2
	ds_read_u8 v39, v0 offset:3072
	s_waitcnt lgkmcnt(0)
	v_lshrrev_b32_e32 v39, s41, v39
	v_and_b32_e32 v123, s62, v39
	s_or_b32 exec_lo, exec_lo, s40
	s_and_saveexec_b32 s40, s26
	s_cbranch_execz .LBB92_1149
.LBB92_1219:                            ;   in Loop: Header=BB92_1032 Depth=2
	ds_read_u8 v39, v0 offset:3328
	s_waitcnt lgkmcnt(0)
	v_lshrrev_b32_e32 v39, s41, v39
	v_and_b32_e32 v122, s62, v39
	s_or_b32 exec_lo, exec_lo, s40
	s_and_saveexec_b32 s40, s25
	s_cbranch_execz .LBB92_1150
.LBB92_1220:                            ;   in Loop: Header=BB92_1032 Depth=2
	ds_read_u8 v39, v0 offset:3584
	s_waitcnt lgkmcnt(0)
	v_lshrrev_b32_e32 v39, s41, v39
	v_and_b32_e32 v121, s62, v39
	s_or_b32 exec_lo, exec_lo, s40
	s_and_saveexec_b32 s40, s24
	s_cbranch_execz .LBB92_1151
.LBB92_1221:                            ;   in Loop: Header=BB92_1032 Depth=2
	ds_read_u8 v39, v0 offset:3840
	s_waitcnt lgkmcnt(0)
	v_lshrrev_b32_e32 v39, s41, v39
	v_and_b32_e32 v120, s62, v39
	s_or_b32 exec_lo, exec_lo, s40
	s_and_saveexec_b32 s40, s23
	s_cbranch_execz .LBB92_1152
.LBB92_1222:                            ;   in Loop: Header=BB92_1032 Depth=2
	ds_read_u8 v39, v0 offset:4096
	s_waitcnt lgkmcnt(0)
	v_lshrrev_b32_e32 v39, s41, v39
	v_and_b32_e32 v119, s62, v39
	s_or_b32 exec_lo, exec_lo, s40
	s_and_saveexec_b32 s40, s22
	s_cbranch_execz .LBB92_1153
.LBB92_1223:                            ;   in Loop: Header=BB92_1032 Depth=2
	ds_read_u8 v39, v0 offset:4352
	s_waitcnt lgkmcnt(0)
	v_lshrrev_b32_e32 v39, s41, v39
	v_and_b32_e32 v118, s62, v39
	s_or_b32 exec_lo, exec_lo, s40
	s_and_saveexec_b32 s40, vcc_lo
	s_cbranch_execnz .LBB92_1154
	s_branch .LBB92_1155
.LBB92_1224:                            ;   in Loop: Header=BB92_1032 Depth=2
	v_lshlrev_b32_e32 v3, 2, v134
	ds_read_b32 v3, v3
	ds_read_b64 v[40:41], v39 offset:512
	s_waitcnt lgkmcnt(1)
	v_add_nc_u32_e32 v3, v3, v0
	v_lshlrev_b64 v[137:138], 3, v[3:4]
	v_add_co_u32 v137, s38, s54, v137
	v_add_co_ci_u32_e64 v138, null, s55, v138, s38
	s_waitcnt lgkmcnt(0)
	global_store_dwordx2 v[137:138], v[40:41], off
	s_or_b32 exec_lo, exec_lo, s40
	s_and_saveexec_b32 s40, s39
	s_cbranch_execz .LBB92_1157
.LBB92_1225:                            ;   in Loop: Header=BB92_1032 Depth=2
	v_lshlrev_b32_e32 v3, 2, v133
	ds_read_b32 v3, v3
	ds_read_b64 v[40:41], v39 offset:2560
	s_waitcnt lgkmcnt(1)
	v_add_nc_u32_e32 v3, v3, v44
	v_lshlrev_b64 v[137:138], 3, v[3:4]
	v_add_co_u32 v137, s38, s54, v137
	v_add_co_ci_u32_e64 v138, null, s55, v138, s38
	s_waitcnt lgkmcnt(0)
	global_store_dwordx2 v[137:138], v[40:41], off
	s_or_b32 exec_lo, exec_lo, s40
	s_and_saveexec_b32 s38, s37
	s_cbranch_execz .LBB92_1158
.LBB92_1226:                            ;   in Loop: Header=BB92_1032 Depth=2
	v_lshlrev_b32_e32 v3, 2, v132
	ds_read_b32 v3, v3
	ds_read_b64 v[40:41], v39 offset:4608
	s_waitcnt lgkmcnt(1)
	v_add_nc_u32_e32 v3, v3, v47
	v_lshlrev_b64 v[137:138], 3, v[3:4]
	v_add_co_u32 v137, s37, s54, v137
	v_add_co_ci_u32_e64 v138, null, s55, v138, s37
	s_waitcnt lgkmcnt(0)
	global_store_dwordx2 v[137:138], v[40:41], off
	s_or_b32 exec_lo, exec_lo, s38
	s_and_saveexec_b32 s37, s36
	s_cbranch_execz .LBB92_1159
.LBB92_1227:                            ;   in Loop: Header=BB92_1032 Depth=2
	v_lshlrev_b32_e32 v3, 2, v131
	ds_read_b32 v3, v3
	ds_read_b64 v[40:41], v39 offset:6656
	s_waitcnt lgkmcnt(1)
	v_add_nc_u32_e32 v3, v3, v48
	v_lshlrev_b64 v[137:138], 3, v[3:4]
	v_add_co_u32 v137, s36, s54, v137
	v_add_co_ci_u32_e64 v138, null, s55, v138, s36
	s_waitcnt lgkmcnt(0)
	global_store_dwordx2 v[137:138], v[40:41], off
	s_or_b32 exec_lo, exec_lo, s37
	s_and_saveexec_b32 s36, s35
	s_cbranch_execz .LBB92_1160
.LBB92_1228:                            ;   in Loop: Header=BB92_1032 Depth=2
	v_lshlrev_b32_e32 v3, 2, v130
	ds_read_b32 v3, v3
	ds_read_b64 v[40:41], v39 offset:8704
	s_waitcnt lgkmcnt(1)
	v_add_nc_u32_e32 v3, v3, v49
	v_lshlrev_b64 v[137:138], 3, v[3:4]
	v_add_co_u32 v137, s35, s54, v137
	v_add_co_ci_u32_e64 v138, null, s55, v138, s35
	s_waitcnt lgkmcnt(0)
	global_store_dwordx2 v[137:138], v[40:41], off
	s_or_b32 exec_lo, exec_lo, s36
	s_and_saveexec_b32 s35, s34
	s_cbranch_execz .LBB92_1161
.LBB92_1229:                            ;   in Loop: Header=BB92_1032 Depth=2
	v_lshlrev_b32_e32 v3, 2, v128
	ds_read_b32 v3, v3
	ds_read_b64 v[40:41], v39 offset:10752
	s_waitcnt lgkmcnt(1)
	v_add_nc_u32_e32 v3, v3, v50
	v_lshlrev_b64 v[137:138], 3, v[3:4]
	v_add_co_u32 v137, s34, s54, v137
	v_add_co_ci_u32_e64 v138, null, s55, v138, s34
	s_waitcnt lgkmcnt(0)
	global_store_dwordx2 v[137:138], v[40:41], off
	s_or_b32 exec_lo, exec_lo, s35
	s_and_saveexec_b32 s34, s33
	s_cbranch_execz .LBB92_1162
.LBB92_1230:                            ;   in Loop: Header=BB92_1032 Depth=2
	v_lshlrev_b32_e32 v3, 2, v127
	ds_read_b32 v3, v3
	ds_read_b64 v[40:41], v39 offset:12800
	s_waitcnt lgkmcnt(1)
	v_add_nc_u32_e32 v3, v3, v51
	v_lshlrev_b64 v[137:138], 3, v[3:4]
	v_add_co_u32 v137, s33, s54, v137
	v_add_co_ci_u32_e64 v138, null, s55, v138, s33
	s_waitcnt lgkmcnt(0)
	global_store_dwordx2 v[137:138], v[40:41], off
	s_or_b32 exec_lo, exec_lo, s34
	s_and_saveexec_b32 s33, s31
	s_cbranch_execz .LBB92_1163
.LBB92_1231:                            ;   in Loop: Header=BB92_1032 Depth=2
	v_lshlrev_b32_e32 v3, 2, v126
	ds_read_b32 v3, v3
	ds_read_b64 v[40:41], v39 offset:14848
	s_waitcnt lgkmcnt(1)
	v_add_nc_u32_e32 v3, v3, v52
	v_lshlrev_b64 v[137:138], 3, v[3:4]
	v_add_co_u32 v137, s31, s54, v137
	v_add_co_ci_u32_e64 v138, null, s55, v138, s31
	s_waitcnt lgkmcnt(0)
	global_store_dwordx2 v[137:138], v[40:41], off
	s_or_b32 exec_lo, exec_lo, s33
	s_and_saveexec_b32 s31, s30
	s_cbranch_execz .LBB92_1164
.LBB92_1232:                            ;   in Loop: Header=BB92_1032 Depth=2
	v_lshlrev_b32_e32 v3, 2, v125
	ds_read_b32 v3, v3
	ds_read_b64 v[40:41], v39 offset:16896
	s_waitcnt lgkmcnt(1)
	v_add_nc_u32_e32 v3, v3, v53
	v_lshlrev_b64 v[137:138], 3, v[3:4]
	v_add_co_u32 v137, s30, s54, v137
	v_add_co_ci_u32_e64 v138, null, s55, v138, s30
	s_waitcnt lgkmcnt(0)
	global_store_dwordx2 v[137:138], v[40:41], off
	s_or_b32 exec_lo, exec_lo, s31
	s_and_saveexec_b32 s30, s29
	s_cbranch_execz .LBB92_1165
.LBB92_1233:                            ;   in Loop: Header=BB92_1032 Depth=2
	v_lshlrev_b32_e32 v3, 2, v124
	ds_read_b32 v3, v3
	ds_read_b64 v[40:41], v39 offset:18944
	s_waitcnt lgkmcnt(1)
	v_add_nc_u32_e32 v3, v3, v54
	v_lshlrev_b64 v[137:138], 3, v[3:4]
	v_add_co_u32 v137, s29, s54, v137
	v_add_co_ci_u32_e64 v138, null, s55, v138, s29
	s_waitcnt lgkmcnt(0)
	global_store_dwordx2 v[137:138], v[40:41], off
	s_or_b32 exec_lo, exec_lo, s30
	s_and_saveexec_b32 s29, s27
	s_cbranch_execz .LBB92_1166
.LBB92_1234:                            ;   in Loop: Header=BB92_1032 Depth=2
	v_lshlrev_b32_e32 v3, 2, v123
	ds_read_b32 v3, v3
	ds_read_b64 v[40:41], v39 offset:20992
	s_waitcnt lgkmcnt(1)
	v_add_nc_u32_e32 v3, v3, v55
	v_lshlrev_b64 v[137:138], 3, v[3:4]
	v_add_co_u32 v137, s27, s54, v137
	v_add_co_ci_u32_e64 v138, null, s55, v138, s27
	s_waitcnt lgkmcnt(0)
	global_store_dwordx2 v[137:138], v[40:41], off
	s_or_b32 exec_lo, exec_lo, s29
	s_and_saveexec_b32 s27, s26
	s_cbranch_execz .LBB92_1167
.LBB92_1235:                            ;   in Loop: Header=BB92_1032 Depth=2
	v_lshlrev_b32_e32 v3, 2, v122
	ds_read_b32 v3, v3
	ds_read_b64 v[40:41], v39 offset:23040
	s_waitcnt lgkmcnt(1)
	v_add_nc_u32_e32 v3, v3, v56
	v_lshlrev_b64 v[137:138], 3, v[3:4]
	v_add_co_u32 v137, s26, s54, v137
	v_add_co_ci_u32_e64 v138, null, s55, v138, s26
	s_waitcnt lgkmcnt(0)
	global_store_dwordx2 v[137:138], v[40:41], off
	s_or_b32 exec_lo, exec_lo, s27
	s_and_saveexec_b32 s26, s25
	s_cbranch_execz .LBB92_1168
.LBB92_1236:                            ;   in Loop: Header=BB92_1032 Depth=2
	v_lshlrev_b32_e32 v3, 2, v121
	ds_read_b32 v3, v3
	ds_read_b64 v[40:41], v39 offset:25088
	s_waitcnt lgkmcnt(1)
	v_add_nc_u32_e32 v3, v3, v57
	v_lshlrev_b64 v[137:138], 3, v[3:4]
	v_add_co_u32 v137, s25, s54, v137
	v_add_co_ci_u32_e64 v138, null, s55, v138, s25
	s_waitcnt lgkmcnt(0)
	global_store_dwordx2 v[137:138], v[40:41], off
	s_or_b32 exec_lo, exec_lo, s26
	s_and_saveexec_b32 s25, s24
	s_cbranch_execz .LBB92_1169
.LBB92_1237:                            ;   in Loop: Header=BB92_1032 Depth=2
	v_lshlrev_b32_e32 v3, 2, v120
	ds_read_b32 v3, v3
	ds_read_b64 v[40:41], v39 offset:27136
	s_waitcnt lgkmcnt(1)
	v_add_nc_u32_e32 v3, v3, v58
	v_lshlrev_b64 v[137:138], 3, v[3:4]
	v_add_co_u32 v137, s24, s54, v137
	v_add_co_ci_u32_e64 v138, null, s55, v138, s24
	s_waitcnt lgkmcnt(0)
	global_store_dwordx2 v[137:138], v[40:41], off
	s_or_b32 exec_lo, exec_lo, s25
	s_and_saveexec_b32 s24, s23
	s_cbranch_execz .LBB92_1170
.LBB92_1238:                            ;   in Loop: Header=BB92_1032 Depth=2
	v_lshlrev_b32_e32 v3, 2, v119
	ds_read_b32 v3, v3
	ds_read_b64 v[40:41], v39 offset:29184
	s_waitcnt lgkmcnt(1)
	v_add_nc_u32_e32 v3, v3, v59
	v_lshlrev_b64 v[137:138], 3, v[3:4]
	v_add_co_u32 v137, s23, s54, v137
	v_add_co_ci_u32_e64 v138, null, s55, v138, s23
	s_waitcnt lgkmcnt(0)
	global_store_dwordx2 v[137:138], v[40:41], off
	s_or_b32 exec_lo, exec_lo, s24
	s_and_saveexec_b32 s23, s22
	s_cbranch_execz .LBB92_1171
.LBB92_1239:                            ;   in Loop: Header=BB92_1032 Depth=2
	v_lshlrev_b32_e32 v3, 2, v118
	ds_read_b32 v3, v3
	ds_read_b64 v[40:41], v39 offset:31232
	s_waitcnt lgkmcnt(1)
	v_add_nc_u32_e32 v3, v3, v60
	v_lshlrev_b64 v[137:138], 3, v[3:4]
	v_add_co_u32 v137, s22, s54, v137
	v_add_co_ci_u32_e64 v138, null, s55, v138, s22
	s_waitcnt lgkmcnt(0)
	global_store_dwordx2 v[137:138], v[40:41], off
	s_or_b32 exec_lo, exec_lo, s23
	s_and_saveexec_b32 s22, vcc_lo
	s_cbranch_execnz .LBB92_1172
	s_branch .LBB92_1173
.LBB92_1240:                            ;   in Loop: Header=BB92_1032 Depth=2
	global_load_ubyte v151, v[39:40], off offset:32
	s_or_b32 exec_lo, exec_lo, s22
	s_mov_b32 s22, exec_lo
	v_cmpx_gt_u32_e64 s63, v101
	s_cbranch_execz .LBB92_1039
.LBB92_1241:                            ;   in Loop: Header=BB92_1032 Depth=2
	global_load_ubyte v147, v[39:40], off offset:64
	s_or_b32 exec_lo, exec_lo, s22
	s_mov_b32 s22, exec_lo
	v_cmpx_gt_u32_e64 s63, v102
	s_cbranch_execz .LBB92_1040
.LBB92_1242:                            ;   in Loop: Header=BB92_1032 Depth=2
	global_load_ubyte v148, v[39:40], off offset:96
	s_or_b32 exec_lo, exec_lo, s22
	s_mov_b32 s22, exec_lo
	v_cmpx_gt_u32_e64 s63, v103
	s_cbranch_execz .LBB92_1041
.LBB92_1243:                            ;   in Loop: Header=BB92_1032 Depth=2
	global_load_ubyte v150, v[39:40], off offset:128
	s_or_b32 exec_lo, exec_lo, s22
	s_mov_b32 s22, exec_lo
	v_cmpx_gt_u32_e64 s63, v104
	s_cbranch_execz .LBB92_1042
.LBB92_1244:                            ;   in Loop: Header=BB92_1032 Depth=2
	global_load_ubyte v143, v[39:40], off offset:160
	s_or_b32 exec_lo, exec_lo, s22
	s_mov_b32 s22, exec_lo
	v_cmpx_gt_u32_e64 s63, v105
	s_cbranch_execz .LBB92_1043
.LBB92_1245:                            ;   in Loop: Header=BB92_1032 Depth=2
	global_load_ubyte v144, v[39:40], off offset:192
	s_or_b32 exec_lo, exec_lo, s22
	s_mov_b32 s22, exec_lo
	v_cmpx_gt_u32_e64 s63, v106
	s_cbranch_execz .LBB92_1044
.LBB92_1246:                            ;   in Loop: Header=BB92_1032 Depth=2
	global_load_ubyte v145, v[39:40], off offset:224
	s_or_b32 exec_lo, exec_lo, s22
	s_mov_b32 s22, exec_lo
	v_cmpx_gt_u32_e64 s63, v107
	s_cbranch_execz .LBB92_1045
.LBB92_1247:                            ;   in Loop: Header=BB92_1032 Depth=2
	global_load_ubyte v142, v[39:40], off offset:256
	s_or_b32 exec_lo, exec_lo, s22
	s_mov_b32 s22, exec_lo
	v_cmpx_gt_u32_e64 s63, v108
	s_cbranch_execz .LBB92_1046
.LBB92_1248:                            ;   in Loop: Header=BB92_1032 Depth=2
	global_load_ubyte v139, v[39:40], off offset:288
	s_or_b32 exec_lo, exec_lo, s22
	s_mov_b32 s22, exec_lo
	v_cmpx_gt_u32_e64 s63, v109
	s_cbranch_execz .LBB92_1047
.LBB92_1249:                            ;   in Loop: Header=BB92_1032 Depth=2
	global_load_ubyte v140, v[39:40], off offset:320
	s_or_b32 exec_lo, exec_lo, s22
	s_mov_b32 s22, exec_lo
	v_cmpx_gt_u32_e64 s63, v110
	s_cbranch_execz .LBB92_1048
.LBB92_1250:                            ;   in Loop: Header=BB92_1032 Depth=2
	global_load_ubyte v141, v[39:40], off offset:352
	s_or_b32 exec_lo, exec_lo, s22
	s_mov_b32 s22, exec_lo
	v_cmpx_gt_u32_e64 s63, v111
	s_cbranch_execz .LBB92_1049
.LBB92_1251:                            ;   in Loop: Header=BB92_1032 Depth=2
	global_load_ubyte v137, v[39:40], off offset:384
	s_or_b32 exec_lo, exec_lo, s22
	s_mov_b32 s22, exec_lo
	v_cmpx_gt_u32_e64 s63, v112
	s_cbranch_execz .LBB92_1050
.LBB92_1252:                            ;   in Loop: Header=BB92_1032 Depth=2
	global_load_ubyte v3, v[39:40], off offset:416
	s_or_b32 exec_lo, exec_lo, s22
	s_mov_b32 s22, exec_lo
	v_cmpx_gt_u32_e64 s63, v113
	s_cbranch_execz .LBB92_1051
.LBB92_1253:                            ;   in Loop: Header=BB92_1032 Depth=2
	global_load_ubyte v41, v[39:40], off offset:448
	s_or_b32 exec_lo, exec_lo, s22
	s_mov_b32 s22, exec_lo
	v_cmpx_gt_u32_e64 s63, v114
	s_cbranch_execnz .LBB92_1052
	s_branch .LBB92_1053
.LBB92_1254:
	s_endpgm
	.section	.rodata,"a",@progbits
	.p2align	6, 0x0
	.amdhsa_kernel _ZN7rocprim17ROCPRIM_400000_NS6detail17trampoline_kernelINS0_14default_configENS1_36segmented_radix_sort_config_selectorIhlEEZNS1_25segmented_radix_sort_implIS3_Lb1EPKhPhPKlPlN2at6native12_GLOBAL__N_18offset_tEEE10hipError_tPvRmT1_PNSt15iterator_traitsISK_E10value_typeET2_T3_PNSL_ISQ_E10value_typeET4_jRbjT5_SW_jjP12ihipStream_tbEUlT_E_NS1_11comp_targetILNS1_3genE8ELNS1_11target_archE1030ELNS1_3gpuE2ELNS1_3repE0EEENS1_30default_config_static_selectorELNS0_4arch9wavefront6targetE0EEEvSK_
		.amdhsa_group_segment_fixed_size 35344
		.amdhsa_private_segment_fixed_size 240
		.amdhsa_kernarg_size 352
		.amdhsa_user_sgpr_count 6
		.amdhsa_user_sgpr_private_segment_buffer 1
		.amdhsa_user_sgpr_dispatch_ptr 0
		.amdhsa_user_sgpr_queue_ptr 0
		.amdhsa_user_sgpr_kernarg_segment_ptr 1
		.amdhsa_user_sgpr_dispatch_id 0
		.amdhsa_user_sgpr_flat_scratch_init 0
		.amdhsa_user_sgpr_private_segment_size 0
		.amdhsa_wavefront_size32 1
		.amdhsa_uses_dynamic_stack 0
		.amdhsa_system_sgpr_private_segment_wavefront_offset 1
		.amdhsa_system_sgpr_workgroup_id_x 1
		.amdhsa_system_sgpr_workgroup_id_y 1
		.amdhsa_system_sgpr_workgroup_id_z 0
		.amdhsa_system_sgpr_workgroup_info 0
		.amdhsa_system_vgpr_workitem_id 2
		.amdhsa_next_free_vgpr 248
		.amdhsa_next_free_sgpr 68
		.amdhsa_reserve_vcc 1
		.amdhsa_reserve_flat_scratch 0
		.amdhsa_float_round_mode_32 0
		.amdhsa_float_round_mode_16_64 0
		.amdhsa_float_denorm_mode_32 3
		.amdhsa_float_denorm_mode_16_64 3
		.amdhsa_dx10_clamp 1
		.amdhsa_ieee_mode 1
		.amdhsa_fp16_overflow 0
		.amdhsa_workgroup_processor_mode 1
		.amdhsa_memory_ordered 1
		.amdhsa_forward_progress 1
		.amdhsa_shared_vgpr_count 0
		.amdhsa_exception_fp_ieee_invalid_op 0
		.amdhsa_exception_fp_denorm_src 0
		.amdhsa_exception_fp_ieee_div_zero 0
		.amdhsa_exception_fp_ieee_overflow 0
		.amdhsa_exception_fp_ieee_underflow 0
		.amdhsa_exception_fp_ieee_inexact 0
		.amdhsa_exception_int_div_zero 0
	.end_amdhsa_kernel
	.section	.text._ZN7rocprim17ROCPRIM_400000_NS6detail17trampoline_kernelINS0_14default_configENS1_36segmented_radix_sort_config_selectorIhlEEZNS1_25segmented_radix_sort_implIS3_Lb1EPKhPhPKlPlN2at6native12_GLOBAL__N_18offset_tEEE10hipError_tPvRmT1_PNSt15iterator_traitsISK_E10value_typeET2_T3_PNSL_ISQ_E10value_typeET4_jRbjT5_SW_jjP12ihipStream_tbEUlT_E_NS1_11comp_targetILNS1_3genE8ELNS1_11target_archE1030ELNS1_3gpuE2ELNS1_3repE0EEENS1_30default_config_static_selectorELNS0_4arch9wavefront6targetE0EEEvSK_,"axG",@progbits,_ZN7rocprim17ROCPRIM_400000_NS6detail17trampoline_kernelINS0_14default_configENS1_36segmented_radix_sort_config_selectorIhlEEZNS1_25segmented_radix_sort_implIS3_Lb1EPKhPhPKlPlN2at6native12_GLOBAL__N_18offset_tEEE10hipError_tPvRmT1_PNSt15iterator_traitsISK_E10value_typeET2_T3_PNSL_ISQ_E10value_typeET4_jRbjT5_SW_jjP12ihipStream_tbEUlT_E_NS1_11comp_targetILNS1_3genE8ELNS1_11target_archE1030ELNS1_3gpuE2ELNS1_3repE0EEENS1_30default_config_static_selectorELNS0_4arch9wavefront6targetE0EEEvSK_,comdat
.Lfunc_end92:
	.size	_ZN7rocprim17ROCPRIM_400000_NS6detail17trampoline_kernelINS0_14default_configENS1_36segmented_radix_sort_config_selectorIhlEEZNS1_25segmented_radix_sort_implIS3_Lb1EPKhPhPKlPlN2at6native12_GLOBAL__N_18offset_tEEE10hipError_tPvRmT1_PNSt15iterator_traitsISK_E10value_typeET2_T3_PNSL_ISQ_E10value_typeET4_jRbjT5_SW_jjP12ihipStream_tbEUlT_E_NS1_11comp_targetILNS1_3genE8ELNS1_11target_archE1030ELNS1_3gpuE2ELNS1_3repE0EEENS1_30default_config_static_selectorELNS0_4arch9wavefront6targetE0EEEvSK_, .Lfunc_end92-_ZN7rocprim17ROCPRIM_400000_NS6detail17trampoline_kernelINS0_14default_configENS1_36segmented_radix_sort_config_selectorIhlEEZNS1_25segmented_radix_sort_implIS3_Lb1EPKhPhPKlPlN2at6native12_GLOBAL__N_18offset_tEEE10hipError_tPvRmT1_PNSt15iterator_traitsISK_E10value_typeET2_T3_PNSL_ISQ_E10value_typeET4_jRbjT5_SW_jjP12ihipStream_tbEUlT_E_NS1_11comp_targetILNS1_3genE8ELNS1_11target_archE1030ELNS1_3gpuE2ELNS1_3repE0EEENS1_30default_config_static_selectorELNS0_4arch9wavefront6targetE0EEEvSK_
                                        ; -- End function
	.set _ZN7rocprim17ROCPRIM_400000_NS6detail17trampoline_kernelINS0_14default_configENS1_36segmented_radix_sort_config_selectorIhlEEZNS1_25segmented_radix_sort_implIS3_Lb1EPKhPhPKlPlN2at6native12_GLOBAL__N_18offset_tEEE10hipError_tPvRmT1_PNSt15iterator_traitsISK_E10value_typeET2_T3_PNSL_ISQ_E10value_typeET4_jRbjT5_SW_jjP12ihipStream_tbEUlT_E_NS1_11comp_targetILNS1_3genE8ELNS1_11target_archE1030ELNS1_3gpuE2ELNS1_3repE0EEENS1_30default_config_static_selectorELNS0_4arch9wavefront6targetE0EEEvSK_.num_vgpr, max(205, .L_ZN7rocprim17ROCPRIM_400000_NS6detail40segmented_radix_sort_single_block_helperIhlLj256ELj17ELb1EE4sortIPKhPhPKlPlEEbT_T0_T1_T2_jjjjRNS3_12storage_typeE.num_vgpr)
	.set _ZN7rocprim17ROCPRIM_400000_NS6detail17trampoline_kernelINS0_14default_configENS1_36segmented_radix_sort_config_selectorIhlEEZNS1_25segmented_radix_sort_implIS3_Lb1EPKhPhPKlPlN2at6native12_GLOBAL__N_18offset_tEEE10hipError_tPvRmT1_PNSt15iterator_traitsISK_E10value_typeET2_T3_PNSL_ISQ_E10value_typeET4_jRbjT5_SW_jjP12ihipStream_tbEUlT_E_NS1_11comp_targetILNS1_3genE8ELNS1_11target_archE1030ELNS1_3gpuE2ELNS1_3repE0EEENS1_30default_config_static_selectorELNS0_4arch9wavefront6targetE0EEEvSK_.num_agpr, max(0, .L_ZN7rocprim17ROCPRIM_400000_NS6detail40segmented_radix_sort_single_block_helperIhlLj256ELj17ELb1EE4sortIPKhPhPKlPlEEbT_T0_T1_T2_jjjjRNS3_12storage_typeE.num_agpr)
	.set _ZN7rocprim17ROCPRIM_400000_NS6detail17trampoline_kernelINS0_14default_configENS1_36segmented_radix_sort_config_selectorIhlEEZNS1_25segmented_radix_sort_implIS3_Lb1EPKhPhPKlPlN2at6native12_GLOBAL__N_18offset_tEEE10hipError_tPvRmT1_PNSt15iterator_traitsISK_E10value_typeET2_T3_PNSL_ISQ_E10value_typeET4_jRbjT5_SW_jjP12ihipStream_tbEUlT_E_NS1_11comp_targetILNS1_3genE8ELNS1_11target_archE1030ELNS1_3gpuE2ELNS1_3repE0EEENS1_30default_config_static_selectorELNS0_4arch9wavefront6targetE0EEEvSK_.numbered_sgpr, max(68, .L_ZN7rocprim17ROCPRIM_400000_NS6detail40segmented_radix_sort_single_block_helperIhlLj256ELj17ELb1EE4sortIPKhPhPKlPlEEbT_T0_T1_T2_jjjjRNS3_12storage_typeE.numbered_sgpr)
	.set _ZN7rocprim17ROCPRIM_400000_NS6detail17trampoline_kernelINS0_14default_configENS1_36segmented_radix_sort_config_selectorIhlEEZNS1_25segmented_radix_sort_implIS3_Lb1EPKhPhPKlPlN2at6native12_GLOBAL__N_18offset_tEEE10hipError_tPvRmT1_PNSt15iterator_traitsISK_E10value_typeET2_T3_PNSL_ISQ_E10value_typeET4_jRbjT5_SW_jjP12ihipStream_tbEUlT_E_NS1_11comp_targetILNS1_3genE8ELNS1_11target_archE1030ELNS1_3gpuE2ELNS1_3repE0EEENS1_30default_config_static_selectorELNS0_4arch9wavefront6targetE0EEEvSK_.num_named_barrier, max(0, .L_ZN7rocprim17ROCPRIM_400000_NS6detail40segmented_radix_sort_single_block_helperIhlLj256ELj17ELb1EE4sortIPKhPhPKlPlEEbT_T0_T1_T2_jjjjRNS3_12storage_typeE.num_named_barrier)
	.set _ZN7rocprim17ROCPRIM_400000_NS6detail17trampoline_kernelINS0_14default_configENS1_36segmented_radix_sort_config_selectorIhlEEZNS1_25segmented_radix_sort_implIS3_Lb1EPKhPhPKlPlN2at6native12_GLOBAL__N_18offset_tEEE10hipError_tPvRmT1_PNSt15iterator_traitsISK_E10value_typeET2_T3_PNSL_ISQ_E10value_typeET4_jRbjT5_SW_jjP12ihipStream_tbEUlT_E_NS1_11comp_targetILNS1_3genE8ELNS1_11target_archE1030ELNS1_3gpuE2ELNS1_3repE0EEENS1_30default_config_static_selectorELNS0_4arch9wavefront6targetE0EEEvSK_.private_seg_size, 0+max(.L_ZN7rocprim17ROCPRIM_400000_NS6detail40segmented_radix_sort_single_block_helperIhlLj256ELj17ELb1EE4sortIPKhPhPKlPlEEbT_T0_T1_T2_jjjjRNS3_12storage_typeE.private_seg_size)
	.set _ZN7rocprim17ROCPRIM_400000_NS6detail17trampoline_kernelINS0_14default_configENS1_36segmented_radix_sort_config_selectorIhlEEZNS1_25segmented_radix_sort_implIS3_Lb1EPKhPhPKlPlN2at6native12_GLOBAL__N_18offset_tEEE10hipError_tPvRmT1_PNSt15iterator_traitsISK_E10value_typeET2_T3_PNSL_ISQ_E10value_typeET4_jRbjT5_SW_jjP12ihipStream_tbEUlT_E_NS1_11comp_targetILNS1_3genE8ELNS1_11target_archE1030ELNS1_3gpuE2ELNS1_3repE0EEENS1_30default_config_static_selectorELNS0_4arch9wavefront6targetE0EEEvSK_.uses_vcc, or(1, .L_ZN7rocprim17ROCPRIM_400000_NS6detail40segmented_radix_sort_single_block_helperIhlLj256ELj17ELb1EE4sortIPKhPhPKlPlEEbT_T0_T1_T2_jjjjRNS3_12storage_typeE.uses_vcc)
	.set _ZN7rocprim17ROCPRIM_400000_NS6detail17trampoline_kernelINS0_14default_configENS1_36segmented_radix_sort_config_selectorIhlEEZNS1_25segmented_radix_sort_implIS3_Lb1EPKhPhPKlPlN2at6native12_GLOBAL__N_18offset_tEEE10hipError_tPvRmT1_PNSt15iterator_traitsISK_E10value_typeET2_T3_PNSL_ISQ_E10value_typeET4_jRbjT5_SW_jjP12ihipStream_tbEUlT_E_NS1_11comp_targetILNS1_3genE8ELNS1_11target_archE1030ELNS1_3gpuE2ELNS1_3repE0EEENS1_30default_config_static_selectorELNS0_4arch9wavefront6targetE0EEEvSK_.uses_flat_scratch, or(0, .L_ZN7rocprim17ROCPRIM_400000_NS6detail40segmented_radix_sort_single_block_helperIhlLj256ELj17ELb1EE4sortIPKhPhPKlPlEEbT_T0_T1_T2_jjjjRNS3_12storage_typeE.uses_flat_scratch)
	.set _ZN7rocprim17ROCPRIM_400000_NS6detail17trampoline_kernelINS0_14default_configENS1_36segmented_radix_sort_config_selectorIhlEEZNS1_25segmented_radix_sort_implIS3_Lb1EPKhPhPKlPlN2at6native12_GLOBAL__N_18offset_tEEE10hipError_tPvRmT1_PNSt15iterator_traitsISK_E10value_typeET2_T3_PNSL_ISQ_E10value_typeET4_jRbjT5_SW_jjP12ihipStream_tbEUlT_E_NS1_11comp_targetILNS1_3genE8ELNS1_11target_archE1030ELNS1_3gpuE2ELNS1_3repE0EEENS1_30default_config_static_selectorELNS0_4arch9wavefront6targetE0EEEvSK_.has_dyn_sized_stack, or(0, .L_ZN7rocprim17ROCPRIM_400000_NS6detail40segmented_radix_sort_single_block_helperIhlLj256ELj17ELb1EE4sortIPKhPhPKlPlEEbT_T0_T1_T2_jjjjRNS3_12storage_typeE.has_dyn_sized_stack)
	.set _ZN7rocprim17ROCPRIM_400000_NS6detail17trampoline_kernelINS0_14default_configENS1_36segmented_radix_sort_config_selectorIhlEEZNS1_25segmented_radix_sort_implIS3_Lb1EPKhPhPKlPlN2at6native12_GLOBAL__N_18offset_tEEE10hipError_tPvRmT1_PNSt15iterator_traitsISK_E10value_typeET2_T3_PNSL_ISQ_E10value_typeET4_jRbjT5_SW_jjP12ihipStream_tbEUlT_E_NS1_11comp_targetILNS1_3genE8ELNS1_11target_archE1030ELNS1_3gpuE2ELNS1_3repE0EEENS1_30default_config_static_selectorELNS0_4arch9wavefront6targetE0EEEvSK_.has_recursion, or(0, .L_ZN7rocprim17ROCPRIM_400000_NS6detail40segmented_radix_sort_single_block_helperIhlLj256ELj17ELb1EE4sortIPKhPhPKlPlEEbT_T0_T1_T2_jjjjRNS3_12storage_typeE.has_recursion)
	.set _ZN7rocprim17ROCPRIM_400000_NS6detail17trampoline_kernelINS0_14default_configENS1_36segmented_radix_sort_config_selectorIhlEEZNS1_25segmented_radix_sort_implIS3_Lb1EPKhPhPKlPlN2at6native12_GLOBAL__N_18offset_tEEE10hipError_tPvRmT1_PNSt15iterator_traitsISK_E10value_typeET2_T3_PNSL_ISQ_E10value_typeET4_jRbjT5_SW_jjP12ihipStream_tbEUlT_E_NS1_11comp_targetILNS1_3genE8ELNS1_11target_archE1030ELNS1_3gpuE2ELNS1_3repE0EEENS1_30default_config_static_selectorELNS0_4arch9wavefront6targetE0EEEvSK_.has_indirect_call, or(0, .L_ZN7rocprim17ROCPRIM_400000_NS6detail40segmented_radix_sort_single_block_helperIhlLj256ELj17ELb1EE4sortIPKhPhPKlPlEEbT_T0_T1_T2_jjjjRNS3_12storage_typeE.has_indirect_call)
	.section	.AMDGPU.csdata,"",@progbits
; Kernel info:
; codeLenInByte = 64988
; TotalNumSgprs: 70
; NumVgprs: 248
; ScratchSize: 240
; MemoryBound: 0
; FloatMode: 240
; IeeeMode: 1
; LDSByteSize: 35344 bytes/workgroup (compile time only)
; SGPRBlocks: 0
; VGPRBlocks: 30
; NumSGPRsForWavesPerEU: 70
; NumVGPRsForWavesPerEU: 248
; Occupancy: 4
; WaveLimiterHint : 1
; COMPUTE_PGM_RSRC2:SCRATCH_EN: 1
; COMPUTE_PGM_RSRC2:USER_SGPR: 6
; COMPUTE_PGM_RSRC2:TRAP_HANDLER: 0
; COMPUTE_PGM_RSRC2:TGID_X_EN: 1
; COMPUTE_PGM_RSRC2:TGID_Y_EN: 1
; COMPUTE_PGM_RSRC2:TGID_Z_EN: 0
; COMPUTE_PGM_RSRC2:TIDIG_COMP_CNT: 2
	.section	.text._ZN7rocprim17ROCPRIM_400000_NS6detail17trampoline_kernelINS0_14default_configENS1_36segmented_radix_sort_config_selectorIhlEEZNS1_25segmented_radix_sort_implIS3_Lb1EPKhPhPKlPlN2at6native12_GLOBAL__N_18offset_tEEE10hipError_tPvRmT1_PNSt15iterator_traitsISK_E10value_typeET2_T3_PNSL_ISQ_E10value_typeET4_jRbjT5_SW_jjP12ihipStream_tbEUlT_E0_NS1_11comp_targetILNS1_3genE0ELNS1_11target_archE4294967295ELNS1_3gpuE0ELNS1_3repE0EEENS1_60segmented_radix_sort_warp_sort_medium_config_static_selectorELNS0_4arch9wavefront6targetE0EEEvSK_,"axG",@progbits,_ZN7rocprim17ROCPRIM_400000_NS6detail17trampoline_kernelINS0_14default_configENS1_36segmented_radix_sort_config_selectorIhlEEZNS1_25segmented_radix_sort_implIS3_Lb1EPKhPhPKlPlN2at6native12_GLOBAL__N_18offset_tEEE10hipError_tPvRmT1_PNSt15iterator_traitsISK_E10value_typeET2_T3_PNSL_ISQ_E10value_typeET4_jRbjT5_SW_jjP12ihipStream_tbEUlT_E0_NS1_11comp_targetILNS1_3genE0ELNS1_11target_archE4294967295ELNS1_3gpuE0ELNS1_3repE0EEENS1_60segmented_radix_sort_warp_sort_medium_config_static_selectorELNS0_4arch9wavefront6targetE0EEEvSK_,comdat
	.globl	_ZN7rocprim17ROCPRIM_400000_NS6detail17trampoline_kernelINS0_14default_configENS1_36segmented_radix_sort_config_selectorIhlEEZNS1_25segmented_radix_sort_implIS3_Lb1EPKhPhPKlPlN2at6native12_GLOBAL__N_18offset_tEEE10hipError_tPvRmT1_PNSt15iterator_traitsISK_E10value_typeET2_T3_PNSL_ISQ_E10value_typeET4_jRbjT5_SW_jjP12ihipStream_tbEUlT_E0_NS1_11comp_targetILNS1_3genE0ELNS1_11target_archE4294967295ELNS1_3gpuE0ELNS1_3repE0EEENS1_60segmented_radix_sort_warp_sort_medium_config_static_selectorELNS0_4arch9wavefront6targetE0EEEvSK_ ; -- Begin function _ZN7rocprim17ROCPRIM_400000_NS6detail17trampoline_kernelINS0_14default_configENS1_36segmented_radix_sort_config_selectorIhlEEZNS1_25segmented_radix_sort_implIS3_Lb1EPKhPhPKlPlN2at6native12_GLOBAL__N_18offset_tEEE10hipError_tPvRmT1_PNSt15iterator_traitsISK_E10value_typeET2_T3_PNSL_ISQ_E10value_typeET4_jRbjT5_SW_jjP12ihipStream_tbEUlT_E0_NS1_11comp_targetILNS1_3genE0ELNS1_11target_archE4294967295ELNS1_3gpuE0ELNS1_3repE0EEENS1_60segmented_radix_sort_warp_sort_medium_config_static_selectorELNS0_4arch9wavefront6targetE0EEEvSK_
	.p2align	8
	.type	_ZN7rocprim17ROCPRIM_400000_NS6detail17trampoline_kernelINS0_14default_configENS1_36segmented_radix_sort_config_selectorIhlEEZNS1_25segmented_radix_sort_implIS3_Lb1EPKhPhPKlPlN2at6native12_GLOBAL__N_18offset_tEEE10hipError_tPvRmT1_PNSt15iterator_traitsISK_E10value_typeET2_T3_PNSL_ISQ_E10value_typeET4_jRbjT5_SW_jjP12ihipStream_tbEUlT_E0_NS1_11comp_targetILNS1_3genE0ELNS1_11target_archE4294967295ELNS1_3gpuE0ELNS1_3repE0EEENS1_60segmented_radix_sort_warp_sort_medium_config_static_selectorELNS0_4arch9wavefront6targetE0EEEvSK_,@function
_ZN7rocprim17ROCPRIM_400000_NS6detail17trampoline_kernelINS0_14default_configENS1_36segmented_radix_sort_config_selectorIhlEEZNS1_25segmented_radix_sort_implIS3_Lb1EPKhPhPKlPlN2at6native12_GLOBAL__N_18offset_tEEE10hipError_tPvRmT1_PNSt15iterator_traitsISK_E10value_typeET2_T3_PNSL_ISQ_E10value_typeET4_jRbjT5_SW_jjP12ihipStream_tbEUlT_E0_NS1_11comp_targetILNS1_3genE0ELNS1_11target_archE4294967295ELNS1_3gpuE0ELNS1_3repE0EEENS1_60segmented_radix_sort_warp_sort_medium_config_static_selectorELNS0_4arch9wavefront6targetE0EEEvSK_: ; @_ZN7rocprim17ROCPRIM_400000_NS6detail17trampoline_kernelINS0_14default_configENS1_36segmented_radix_sort_config_selectorIhlEEZNS1_25segmented_radix_sort_implIS3_Lb1EPKhPhPKlPlN2at6native12_GLOBAL__N_18offset_tEEE10hipError_tPvRmT1_PNSt15iterator_traitsISK_E10value_typeET2_T3_PNSL_ISQ_E10value_typeET4_jRbjT5_SW_jjP12ihipStream_tbEUlT_E0_NS1_11comp_targetILNS1_3genE0ELNS1_11target_archE4294967295ELNS1_3gpuE0ELNS1_3repE0EEENS1_60segmented_radix_sort_warp_sort_medium_config_static_selectorELNS0_4arch9wavefront6targetE0EEEvSK_
; %bb.0:
	.section	.rodata,"a",@progbits
	.p2align	6, 0x0
	.amdhsa_kernel _ZN7rocprim17ROCPRIM_400000_NS6detail17trampoline_kernelINS0_14default_configENS1_36segmented_radix_sort_config_selectorIhlEEZNS1_25segmented_radix_sort_implIS3_Lb1EPKhPhPKlPlN2at6native12_GLOBAL__N_18offset_tEEE10hipError_tPvRmT1_PNSt15iterator_traitsISK_E10value_typeET2_T3_PNSL_ISQ_E10value_typeET4_jRbjT5_SW_jjP12ihipStream_tbEUlT_E0_NS1_11comp_targetILNS1_3genE0ELNS1_11target_archE4294967295ELNS1_3gpuE0ELNS1_3repE0EEENS1_60segmented_radix_sort_warp_sort_medium_config_static_selectorELNS0_4arch9wavefront6targetE0EEEvSK_
		.amdhsa_group_segment_fixed_size 0
		.amdhsa_private_segment_fixed_size 0
		.amdhsa_kernarg_size 88
		.amdhsa_user_sgpr_count 6
		.amdhsa_user_sgpr_private_segment_buffer 1
		.amdhsa_user_sgpr_dispatch_ptr 0
		.amdhsa_user_sgpr_queue_ptr 0
		.amdhsa_user_sgpr_kernarg_segment_ptr 1
		.amdhsa_user_sgpr_dispatch_id 0
		.amdhsa_user_sgpr_flat_scratch_init 0
		.amdhsa_user_sgpr_private_segment_size 0
		.amdhsa_wavefront_size32 1
		.amdhsa_uses_dynamic_stack 0
		.amdhsa_system_sgpr_private_segment_wavefront_offset 0
		.amdhsa_system_sgpr_workgroup_id_x 1
		.amdhsa_system_sgpr_workgroup_id_y 0
		.amdhsa_system_sgpr_workgroup_id_z 0
		.amdhsa_system_sgpr_workgroup_info 0
		.amdhsa_system_vgpr_workitem_id 0
		.amdhsa_next_free_vgpr 1
		.amdhsa_next_free_sgpr 1
		.amdhsa_reserve_vcc 0
		.amdhsa_reserve_flat_scratch 0
		.amdhsa_float_round_mode_32 0
		.amdhsa_float_round_mode_16_64 0
		.amdhsa_float_denorm_mode_32 3
		.amdhsa_float_denorm_mode_16_64 3
		.amdhsa_dx10_clamp 1
		.amdhsa_ieee_mode 1
		.amdhsa_fp16_overflow 0
		.amdhsa_workgroup_processor_mode 1
		.amdhsa_memory_ordered 1
		.amdhsa_forward_progress 1
		.amdhsa_shared_vgpr_count 0
		.amdhsa_exception_fp_ieee_invalid_op 0
		.amdhsa_exception_fp_denorm_src 0
		.amdhsa_exception_fp_ieee_div_zero 0
		.amdhsa_exception_fp_ieee_overflow 0
		.amdhsa_exception_fp_ieee_underflow 0
		.amdhsa_exception_fp_ieee_inexact 0
		.amdhsa_exception_int_div_zero 0
	.end_amdhsa_kernel
	.section	.text._ZN7rocprim17ROCPRIM_400000_NS6detail17trampoline_kernelINS0_14default_configENS1_36segmented_radix_sort_config_selectorIhlEEZNS1_25segmented_radix_sort_implIS3_Lb1EPKhPhPKlPlN2at6native12_GLOBAL__N_18offset_tEEE10hipError_tPvRmT1_PNSt15iterator_traitsISK_E10value_typeET2_T3_PNSL_ISQ_E10value_typeET4_jRbjT5_SW_jjP12ihipStream_tbEUlT_E0_NS1_11comp_targetILNS1_3genE0ELNS1_11target_archE4294967295ELNS1_3gpuE0ELNS1_3repE0EEENS1_60segmented_radix_sort_warp_sort_medium_config_static_selectorELNS0_4arch9wavefront6targetE0EEEvSK_,"axG",@progbits,_ZN7rocprim17ROCPRIM_400000_NS6detail17trampoline_kernelINS0_14default_configENS1_36segmented_radix_sort_config_selectorIhlEEZNS1_25segmented_radix_sort_implIS3_Lb1EPKhPhPKlPlN2at6native12_GLOBAL__N_18offset_tEEE10hipError_tPvRmT1_PNSt15iterator_traitsISK_E10value_typeET2_T3_PNSL_ISQ_E10value_typeET4_jRbjT5_SW_jjP12ihipStream_tbEUlT_E0_NS1_11comp_targetILNS1_3genE0ELNS1_11target_archE4294967295ELNS1_3gpuE0ELNS1_3repE0EEENS1_60segmented_radix_sort_warp_sort_medium_config_static_selectorELNS0_4arch9wavefront6targetE0EEEvSK_,comdat
.Lfunc_end93:
	.size	_ZN7rocprim17ROCPRIM_400000_NS6detail17trampoline_kernelINS0_14default_configENS1_36segmented_radix_sort_config_selectorIhlEEZNS1_25segmented_radix_sort_implIS3_Lb1EPKhPhPKlPlN2at6native12_GLOBAL__N_18offset_tEEE10hipError_tPvRmT1_PNSt15iterator_traitsISK_E10value_typeET2_T3_PNSL_ISQ_E10value_typeET4_jRbjT5_SW_jjP12ihipStream_tbEUlT_E0_NS1_11comp_targetILNS1_3genE0ELNS1_11target_archE4294967295ELNS1_3gpuE0ELNS1_3repE0EEENS1_60segmented_radix_sort_warp_sort_medium_config_static_selectorELNS0_4arch9wavefront6targetE0EEEvSK_, .Lfunc_end93-_ZN7rocprim17ROCPRIM_400000_NS6detail17trampoline_kernelINS0_14default_configENS1_36segmented_radix_sort_config_selectorIhlEEZNS1_25segmented_radix_sort_implIS3_Lb1EPKhPhPKlPlN2at6native12_GLOBAL__N_18offset_tEEE10hipError_tPvRmT1_PNSt15iterator_traitsISK_E10value_typeET2_T3_PNSL_ISQ_E10value_typeET4_jRbjT5_SW_jjP12ihipStream_tbEUlT_E0_NS1_11comp_targetILNS1_3genE0ELNS1_11target_archE4294967295ELNS1_3gpuE0ELNS1_3repE0EEENS1_60segmented_radix_sort_warp_sort_medium_config_static_selectorELNS0_4arch9wavefront6targetE0EEEvSK_
                                        ; -- End function
	.set _ZN7rocprim17ROCPRIM_400000_NS6detail17trampoline_kernelINS0_14default_configENS1_36segmented_radix_sort_config_selectorIhlEEZNS1_25segmented_radix_sort_implIS3_Lb1EPKhPhPKlPlN2at6native12_GLOBAL__N_18offset_tEEE10hipError_tPvRmT1_PNSt15iterator_traitsISK_E10value_typeET2_T3_PNSL_ISQ_E10value_typeET4_jRbjT5_SW_jjP12ihipStream_tbEUlT_E0_NS1_11comp_targetILNS1_3genE0ELNS1_11target_archE4294967295ELNS1_3gpuE0ELNS1_3repE0EEENS1_60segmented_radix_sort_warp_sort_medium_config_static_selectorELNS0_4arch9wavefront6targetE0EEEvSK_.num_vgpr, 0
	.set _ZN7rocprim17ROCPRIM_400000_NS6detail17trampoline_kernelINS0_14default_configENS1_36segmented_radix_sort_config_selectorIhlEEZNS1_25segmented_radix_sort_implIS3_Lb1EPKhPhPKlPlN2at6native12_GLOBAL__N_18offset_tEEE10hipError_tPvRmT1_PNSt15iterator_traitsISK_E10value_typeET2_T3_PNSL_ISQ_E10value_typeET4_jRbjT5_SW_jjP12ihipStream_tbEUlT_E0_NS1_11comp_targetILNS1_3genE0ELNS1_11target_archE4294967295ELNS1_3gpuE0ELNS1_3repE0EEENS1_60segmented_radix_sort_warp_sort_medium_config_static_selectorELNS0_4arch9wavefront6targetE0EEEvSK_.num_agpr, 0
	.set _ZN7rocprim17ROCPRIM_400000_NS6detail17trampoline_kernelINS0_14default_configENS1_36segmented_radix_sort_config_selectorIhlEEZNS1_25segmented_radix_sort_implIS3_Lb1EPKhPhPKlPlN2at6native12_GLOBAL__N_18offset_tEEE10hipError_tPvRmT1_PNSt15iterator_traitsISK_E10value_typeET2_T3_PNSL_ISQ_E10value_typeET4_jRbjT5_SW_jjP12ihipStream_tbEUlT_E0_NS1_11comp_targetILNS1_3genE0ELNS1_11target_archE4294967295ELNS1_3gpuE0ELNS1_3repE0EEENS1_60segmented_radix_sort_warp_sort_medium_config_static_selectorELNS0_4arch9wavefront6targetE0EEEvSK_.numbered_sgpr, 0
	.set _ZN7rocprim17ROCPRIM_400000_NS6detail17trampoline_kernelINS0_14default_configENS1_36segmented_radix_sort_config_selectorIhlEEZNS1_25segmented_radix_sort_implIS3_Lb1EPKhPhPKlPlN2at6native12_GLOBAL__N_18offset_tEEE10hipError_tPvRmT1_PNSt15iterator_traitsISK_E10value_typeET2_T3_PNSL_ISQ_E10value_typeET4_jRbjT5_SW_jjP12ihipStream_tbEUlT_E0_NS1_11comp_targetILNS1_3genE0ELNS1_11target_archE4294967295ELNS1_3gpuE0ELNS1_3repE0EEENS1_60segmented_radix_sort_warp_sort_medium_config_static_selectorELNS0_4arch9wavefront6targetE0EEEvSK_.num_named_barrier, 0
	.set _ZN7rocprim17ROCPRIM_400000_NS6detail17trampoline_kernelINS0_14default_configENS1_36segmented_radix_sort_config_selectorIhlEEZNS1_25segmented_radix_sort_implIS3_Lb1EPKhPhPKlPlN2at6native12_GLOBAL__N_18offset_tEEE10hipError_tPvRmT1_PNSt15iterator_traitsISK_E10value_typeET2_T3_PNSL_ISQ_E10value_typeET4_jRbjT5_SW_jjP12ihipStream_tbEUlT_E0_NS1_11comp_targetILNS1_3genE0ELNS1_11target_archE4294967295ELNS1_3gpuE0ELNS1_3repE0EEENS1_60segmented_radix_sort_warp_sort_medium_config_static_selectorELNS0_4arch9wavefront6targetE0EEEvSK_.private_seg_size, 0
	.set _ZN7rocprim17ROCPRIM_400000_NS6detail17trampoline_kernelINS0_14default_configENS1_36segmented_radix_sort_config_selectorIhlEEZNS1_25segmented_radix_sort_implIS3_Lb1EPKhPhPKlPlN2at6native12_GLOBAL__N_18offset_tEEE10hipError_tPvRmT1_PNSt15iterator_traitsISK_E10value_typeET2_T3_PNSL_ISQ_E10value_typeET4_jRbjT5_SW_jjP12ihipStream_tbEUlT_E0_NS1_11comp_targetILNS1_3genE0ELNS1_11target_archE4294967295ELNS1_3gpuE0ELNS1_3repE0EEENS1_60segmented_radix_sort_warp_sort_medium_config_static_selectorELNS0_4arch9wavefront6targetE0EEEvSK_.uses_vcc, 0
	.set _ZN7rocprim17ROCPRIM_400000_NS6detail17trampoline_kernelINS0_14default_configENS1_36segmented_radix_sort_config_selectorIhlEEZNS1_25segmented_radix_sort_implIS3_Lb1EPKhPhPKlPlN2at6native12_GLOBAL__N_18offset_tEEE10hipError_tPvRmT1_PNSt15iterator_traitsISK_E10value_typeET2_T3_PNSL_ISQ_E10value_typeET4_jRbjT5_SW_jjP12ihipStream_tbEUlT_E0_NS1_11comp_targetILNS1_3genE0ELNS1_11target_archE4294967295ELNS1_3gpuE0ELNS1_3repE0EEENS1_60segmented_radix_sort_warp_sort_medium_config_static_selectorELNS0_4arch9wavefront6targetE0EEEvSK_.uses_flat_scratch, 0
	.set _ZN7rocprim17ROCPRIM_400000_NS6detail17trampoline_kernelINS0_14default_configENS1_36segmented_radix_sort_config_selectorIhlEEZNS1_25segmented_radix_sort_implIS3_Lb1EPKhPhPKlPlN2at6native12_GLOBAL__N_18offset_tEEE10hipError_tPvRmT1_PNSt15iterator_traitsISK_E10value_typeET2_T3_PNSL_ISQ_E10value_typeET4_jRbjT5_SW_jjP12ihipStream_tbEUlT_E0_NS1_11comp_targetILNS1_3genE0ELNS1_11target_archE4294967295ELNS1_3gpuE0ELNS1_3repE0EEENS1_60segmented_radix_sort_warp_sort_medium_config_static_selectorELNS0_4arch9wavefront6targetE0EEEvSK_.has_dyn_sized_stack, 0
	.set _ZN7rocprim17ROCPRIM_400000_NS6detail17trampoline_kernelINS0_14default_configENS1_36segmented_radix_sort_config_selectorIhlEEZNS1_25segmented_radix_sort_implIS3_Lb1EPKhPhPKlPlN2at6native12_GLOBAL__N_18offset_tEEE10hipError_tPvRmT1_PNSt15iterator_traitsISK_E10value_typeET2_T3_PNSL_ISQ_E10value_typeET4_jRbjT5_SW_jjP12ihipStream_tbEUlT_E0_NS1_11comp_targetILNS1_3genE0ELNS1_11target_archE4294967295ELNS1_3gpuE0ELNS1_3repE0EEENS1_60segmented_radix_sort_warp_sort_medium_config_static_selectorELNS0_4arch9wavefront6targetE0EEEvSK_.has_recursion, 0
	.set _ZN7rocprim17ROCPRIM_400000_NS6detail17trampoline_kernelINS0_14default_configENS1_36segmented_radix_sort_config_selectorIhlEEZNS1_25segmented_radix_sort_implIS3_Lb1EPKhPhPKlPlN2at6native12_GLOBAL__N_18offset_tEEE10hipError_tPvRmT1_PNSt15iterator_traitsISK_E10value_typeET2_T3_PNSL_ISQ_E10value_typeET4_jRbjT5_SW_jjP12ihipStream_tbEUlT_E0_NS1_11comp_targetILNS1_3genE0ELNS1_11target_archE4294967295ELNS1_3gpuE0ELNS1_3repE0EEENS1_60segmented_radix_sort_warp_sort_medium_config_static_selectorELNS0_4arch9wavefront6targetE0EEEvSK_.has_indirect_call, 0
	.section	.AMDGPU.csdata,"",@progbits
; Kernel info:
; codeLenInByte = 0
; TotalNumSgprs: 0
; NumVgprs: 0
; ScratchSize: 0
; MemoryBound: 0
; FloatMode: 240
; IeeeMode: 1
; LDSByteSize: 0 bytes/workgroup (compile time only)
; SGPRBlocks: 0
; VGPRBlocks: 0
; NumSGPRsForWavesPerEU: 1
; NumVGPRsForWavesPerEU: 1
; Occupancy: 16
; WaveLimiterHint : 0
; COMPUTE_PGM_RSRC2:SCRATCH_EN: 0
; COMPUTE_PGM_RSRC2:USER_SGPR: 6
; COMPUTE_PGM_RSRC2:TRAP_HANDLER: 0
; COMPUTE_PGM_RSRC2:TGID_X_EN: 1
; COMPUTE_PGM_RSRC2:TGID_Y_EN: 0
; COMPUTE_PGM_RSRC2:TGID_Z_EN: 0
; COMPUTE_PGM_RSRC2:TIDIG_COMP_CNT: 0
	.section	.text._ZN7rocprim17ROCPRIM_400000_NS6detail17trampoline_kernelINS0_14default_configENS1_36segmented_radix_sort_config_selectorIhlEEZNS1_25segmented_radix_sort_implIS3_Lb1EPKhPhPKlPlN2at6native12_GLOBAL__N_18offset_tEEE10hipError_tPvRmT1_PNSt15iterator_traitsISK_E10value_typeET2_T3_PNSL_ISQ_E10value_typeET4_jRbjT5_SW_jjP12ihipStream_tbEUlT_E0_NS1_11comp_targetILNS1_3genE5ELNS1_11target_archE942ELNS1_3gpuE9ELNS1_3repE0EEENS1_60segmented_radix_sort_warp_sort_medium_config_static_selectorELNS0_4arch9wavefront6targetE0EEEvSK_,"axG",@progbits,_ZN7rocprim17ROCPRIM_400000_NS6detail17trampoline_kernelINS0_14default_configENS1_36segmented_radix_sort_config_selectorIhlEEZNS1_25segmented_radix_sort_implIS3_Lb1EPKhPhPKlPlN2at6native12_GLOBAL__N_18offset_tEEE10hipError_tPvRmT1_PNSt15iterator_traitsISK_E10value_typeET2_T3_PNSL_ISQ_E10value_typeET4_jRbjT5_SW_jjP12ihipStream_tbEUlT_E0_NS1_11comp_targetILNS1_3genE5ELNS1_11target_archE942ELNS1_3gpuE9ELNS1_3repE0EEENS1_60segmented_radix_sort_warp_sort_medium_config_static_selectorELNS0_4arch9wavefront6targetE0EEEvSK_,comdat
	.globl	_ZN7rocprim17ROCPRIM_400000_NS6detail17trampoline_kernelINS0_14default_configENS1_36segmented_radix_sort_config_selectorIhlEEZNS1_25segmented_radix_sort_implIS3_Lb1EPKhPhPKlPlN2at6native12_GLOBAL__N_18offset_tEEE10hipError_tPvRmT1_PNSt15iterator_traitsISK_E10value_typeET2_T3_PNSL_ISQ_E10value_typeET4_jRbjT5_SW_jjP12ihipStream_tbEUlT_E0_NS1_11comp_targetILNS1_3genE5ELNS1_11target_archE942ELNS1_3gpuE9ELNS1_3repE0EEENS1_60segmented_radix_sort_warp_sort_medium_config_static_selectorELNS0_4arch9wavefront6targetE0EEEvSK_ ; -- Begin function _ZN7rocprim17ROCPRIM_400000_NS6detail17trampoline_kernelINS0_14default_configENS1_36segmented_radix_sort_config_selectorIhlEEZNS1_25segmented_radix_sort_implIS3_Lb1EPKhPhPKlPlN2at6native12_GLOBAL__N_18offset_tEEE10hipError_tPvRmT1_PNSt15iterator_traitsISK_E10value_typeET2_T3_PNSL_ISQ_E10value_typeET4_jRbjT5_SW_jjP12ihipStream_tbEUlT_E0_NS1_11comp_targetILNS1_3genE5ELNS1_11target_archE942ELNS1_3gpuE9ELNS1_3repE0EEENS1_60segmented_radix_sort_warp_sort_medium_config_static_selectorELNS0_4arch9wavefront6targetE0EEEvSK_
	.p2align	8
	.type	_ZN7rocprim17ROCPRIM_400000_NS6detail17trampoline_kernelINS0_14default_configENS1_36segmented_radix_sort_config_selectorIhlEEZNS1_25segmented_radix_sort_implIS3_Lb1EPKhPhPKlPlN2at6native12_GLOBAL__N_18offset_tEEE10hipError_tPvRmT1_PNSt15iterator_traitsISK_E10value_typeET2_T3_PNSL_ISQ_E10value_typeET4_jRbjT5_SW_jjP12ihipStream_tbEUlT_E0_NS1_11comp_targetILNS1_3genE5ELNS1_11target_archE942ELNS1_3gpuE9ELNS1_3repE0EEENS1_60segmented_radix_sort_warp_sort_medium_config_static_selectorELNS0_4arch9wavefront6targetE0EEEvSK_,@function
_ZN7rocprim17ROCPRIM_400000_NS6detail17trampoline_kernelINS0_14default_configENS1_36segmented_radix_sort_config_selectorIhlEEZNS1_25segmented_radix_sort_implIS3_Lb1EPKhPhPKlPlN2at6native12_GLOBAL__N_18offset_tEEE10hipError_tPvRmT1_PNSt15iterator_traitsISK_E10value_typeET2_T3_PNSL_ISQ_E10value_typeET4_jRbjT5_SW_jjP12ihipStream_tbEUlT_E0_NS1_11comp_targetILNS1_3genE5ELNS1_11target_archE942ELNS1_3gpuE9ELNS1_3repE0EEENS1_60segmented_radix_sort_warp_sort_medium_config_static_selectorELNS0_4arch9wavefront6targetE0EEEvSK_: ; @_ZN7rocprim17ROCPRIM_400000_NS6detail17trampoline_kernelINS0_14default_configENS1_36segmented_radix_sort_config_selectorIhlEEZNS1_25segmented_radix_sort_implIS3_Lb1EPKhPhPKlPlN2at6native12_GLOBAL__N_18offset_tEEE10hipError_tPvRmT1_PNSt15iterator_traitsISK_E10value_typeET2_T3_PNSL_ISQ_E10value_typeET4_jRbjT5_SW_jjP12ihipStream_tbEUlT_E0_NS1_11comp_targetILNS1_3genE5ELNS1_11target_archE942ELNS1_3gpuE9ELNS1_3repE0EEENS1_60segmented_radix_sort_warp_sort_medium_config_static_selectorELNS0_4arch9wavefront6targetE0EEEvSK_
; %bb.0:
	.section	.rodata,"a",@progbits
	.p2align	6, 0x0
	.amdhsa_kernel _ZN7rocprim17ROCPRIM_400000_NS6detail17trampoline_kernelINS0_14default_configENS1_36segmented_radix_sort_config_selectorIhlEEZNS1_25segmented_radix_sort_implIS3_Lb1EPKhPhPKlPlN2at6native12_GLOBAL__N_18offset_tEEE10hipError_tPvRmT1_PNSt15iterator_traitsISK_E10value_typeET2_T3_PNSL_ISQ_E10value_typeET4_jRbjT5_SW_jjP12ihipStream_tbEUlT_E0_NS1_11comp_targetILNS1_3genE5ELNS1_11target_archE942ELNS1_3gpuE9ELNS1_3repE0EEENS1_60segmented_radix_sort_warp_sort_medium_config_static_selectorELNS0_4arch9wavefront6targetE0EEEvSK_
		.amdhsa_group_segment_fixed_size 0
		.amdhsa_private_segment_fixed_size 0
		.amdhsa_kernarg_size 88
		.amdhsa_user_sgpr_count 6
		.amdhsa_user_sgpr_private_segment_buffer 1
		.amdhsa_user_sgpr_dispatch_ptr 0
		.amdhsa_user_sgpr_queue_ptr 0
		.amdhsa_user_sgpr_kernarg_segment_ptr 1
		.amdhsa_user_sgpr_dispatch_id 0
		.amdhsa_user_sgpr_flat_scratch_init 0
		.amdhsa_user_sgpr_private_segment_size 0
		.amdhsa_wavefront_size32 1
		.amdhsa_uses_dynamic_stack 0
		.amdhsa_system_sgpr_private_segment_wavefront_offset 0
		.amdhsa_system_sgpr_workgroup_id_x 1
		.amdhsa_system_sgpr_workgroup_id_y 0
		.amdhsa_system_sgpr_workgroup_id_z 0
		.amdhsa_system_sgpr_workgroup_info 0
		.amdhsa_system_vgpr_workitem_id 0
		.amdhsa_next_free_vgpr 1
		.amdhsa_next_free_sgpr 1
		.amdhsa_reserve_vcc 0
		.amdhsa_reserve_flat_scratch 0
		.amdhsa_float_round_mode_32 0
		.amdhsa_float_round_mode_16_64 0
		.amdhsa_float_denorm_mode_32 3
		.amdhsa_float_denorm_mode_16_64 3
		.amdhsa_dx10_clamp 1
		.amdhsa_ieee_mode 1
		.amdhsa_fp16_overflow 0
		.amdhsa_workgroup_processor_mode 1
		.amdhsa_memory_ordered 1
		.amdhsa_forward_progress 1
		.amdhsa_shared_vgpr_count 0
		.amdhsa_exception_fp_ieee_invalid_op 0
		.amdhsa_exception_fp_denorm_src 0
		.amdhsa_exception_fp_ieee_div_zero 0
		.amdhsa_exception_fp_ieee_overflow 0
		.amdhsa_exception_fp_ieee_underflow 0
		.amdhsa_exception_fp_ieee_inexact 0
		.amdhsa_exception_int_div_zero 0
	.end_amdhsa_kernel
	.section	.text._ZN7rocprim17ROCPRIM_400000_NS6detail17trampoline_kernelINS0_14default_configENS1_36segmented_radix_sort_config_selectorIhlEEZNS1_25segmented_radix_sort_implIS3_Lb1EPKhPhPKlPlN2at6native12_GLOBAL__N_18offset_tEEE10hipError_tPvRmT1_PNSt15iterator_traitsISK_E10value_typeET2_T3_PNSL_ISQ_E10value_typeET4_jRbjT5_SW_jjP12ihipStream_tbEUlT_E0_NS1_11comp_targetILNS1_3genE5ELNS1_11target_archE942ELNS1_3gpuE9ELNS1_3repE0EEENS1_60segmented_radix_sort_warp_sort_medium_config_static_selectorELNS0_4arch9wavefront6targetE0EEEvSK_,"axG",@progbits,_ZN7rocprim17ROCPRIM_400000_NS6detail17trampoline_kernelINS0_14default_configENS1_36segmented_radix_sort_config_selectorIhlEEZNS1_25segmented_radix_sort_implIS3_Lb1EPKhPhPKlPlN2at6native12_GLOBAL__N_18offset_tEEE10hipError_tPvRmT1_PNSt15iterator_traitsISK_E10value_typeET2_T3_PNSL_ISQ_E10value_typeET4_jRbjT5_SW_jjP12ihipStream_tbEUlT_E0_NS1_11comp_targetILNS1_3genE5ELNS1_11target_archE942ELNS1_3gpuE9ELNS1_3repE0EEENS1_60segmented_radix_sort_warp_sort_medium_config_static_selectorELNS0_4arch9wavefront6targetE0EEEvSK_,comdat
.Lfunc_end94:
	.size	_ZN7rocprim17ROCPRIM_400000_NS6detail17trampoline_kernelINS0_14default_configENS1_36segmented_radix_sort_config_selectorIhlEEZNS1_25segmented_radix_sort_implIS3_Lb1EPKhPhPKlPlN2at6native12_GLOBAL__N_18offset_tEEE10hipError_tPvRmT1_PNSt15iterator_traitsISK_E10value_typeET2_T3_PNSL_ISQ_E10value_typeET4_jRbjT5_SW_jjP12ihipStream_tbEUlT_E0_NS1_11comp_targetILNS1_3genE5ELNS1_11target_archE942ELNS1_3gpuE9ELNS1_3repE0EEENS1_60segmented_radix_sort_warp_sort_medium_config_static_selectorELNS0_4arch9wavefront6targetE0EEEvSK_, .Lfunc_end94-_ZN7rocprim17ROCPRIM_400000_NS6detail17trampoline_kernelINS0_14default_configENS1_36segmented_radix_sort_config_selectorIhlEEZNS1_25segmented_radix_sort_implIS3_Lb1EPKhPhPKlPlN2at6native12_GLOBAL__N_18offset_tEEE10hipError_tPvRmT1_PNSt15iterator_traitsISK_E10value_typeET2_T3_PNSL_ISQ_E10value_typeET4_jRbjT5_SW_jjP12ihipStream_tbEUlT_E0_NS1_11comp_targetILNS1_3genE5ELNS1_11target_archE942ELNS1_3gpuE9ELNS1_3repE0EEENS1_60segmented_radix_sort_warp_sort_medium_config_static_selectorELNS0_4arch9wavefront6targetE0EEEvSK_
                                        ; -- End function
	.set _ZN7rocprim17ROCPRIM_400000_NS6detail17trampoline_kernelINS0_14default_configENS1_36segmented_radix_sort_config_selectorIhlEEZNS1_25segmented_radix_sort_implIS3_Lb1EPKhPhPKlPlN2at6native12_GLOBAL__N_18offset_tEEE10hipError_tPvRmT1_PNSt15iterator_traitsISK_E10value_typeET2_T3_PNSL_ISQ_E10value_typeET4_jRbjT5_SW_jjP12ihipStream_tbEUlT_E0_NS1_11comp_targetILNS1_3genE5ELNS1_11target_archE942ELNS1_3gpuE9ELNS1_3repE0EEENS1_60segmented_radix_sort_warp_sort_medium_config_static_selectorELNS0_4arch9wavefront6targetE0EEEvSK_.num_vgpr, 0
	.set _ZN7rocprim17ROCPRIM_400000_NS6detail17trampoline_kernelINS0_14default_configENS1_36segmented_radix_sort_config_selectorIhlEEZNS1_25segmented_radix_sort_implIS3_Lb1EPKhPhPKlPlN2at6native12_GLOBAL__N_18offset_tEEE10hipError_tPvRmT1_PNSt15iterator_traitsISK_E10value_typeET2_T3_PNSL_ISQ_E10value_typeET4_jRbjT5_SW_jjP12ihipStream_tbEUlT_E0_NS1_11comp_targetILNS1_3genE5ELNS1_11target_archE942ELNS1_3gpuE9ELNS1_3repE0EEENS1_60segmented_radix_sort_warp_sort_medium_config_static_selectorELNS0_4arch9wavefront6targetE0EEEvSK_.num_agpr, 0
	.set _ZN7rocprim17ROCPRIM_400000_NS6detail17trampoline_kernelINS0_14default_configENS1_36segmented_radix_sort_config_selectorIhlEEZNS1_25segmented_radix_sort_implIS3_Lb1EPKhPhPKlPlN2at6native12_GLOBAL__N_18offset_tEEE10hipError_tPvRmT1_PNSt15iterator_traitsISK_E10value_typeET2_T3_PNSL_ISQ_E10value_typeET4_jRbjT5_SW_jjP12ihipStream_tbEUlT_E0_NS1_11comp_targetILNS1_3genE5ELNS1_11target_archE942ELNS1_3gpuE9ELNS1_3repE0EEENS1_60segmented_radix_sort_warp_sort_medium_config_static_selectorELNS0_4arch9wavefront6targetE0EEEvSK_.numbered_sgpr, 0
	.set _ZN7rocprim17ROCPRIM_400000_NS6detail17trampoline_kernelINS0_14default_configENS1_36segmented_radix_sort_config_selectorIhlEEZNS1_25segmented_radix_sort_implIS3_Lb1EPKhPhPKlPlN2at6native12_GLOBAL__N_18offset_tEEE10hipError_tPvRmT1_PNSt15iterator_traitsISK_E10value_typeET2_T3_PNSL_ISQ_E10value_typeET4_jRbjT5_SW_jjP12ihipStream_tbEUlT_E0_NS1_11comp_targetILNS1_3genE5ELNS1_11target_archE942ELNS1_3gpuE9ELNS1_3repE0EEENS1_60segmented_radix_sort_warp_sort_medium_config_static_selectorELNS0_4arch9wavefront6targetE0EEEvSK_.num_named_barrier, 0
	.set _ZN7rocprim17ROCPRIM_400000_NS6detail17trampoline_kernelINS0_14default_configENS1_36segmented_radix_sort_config_selectorIhlEEZNS1_25segmented_radix_sort_implIS3_Lb1EPKhPhPKlPlN2at6native12_GLOBAL__N_18offset_tEEE10hipError_tPvRmT1_PNSt15iterator_traitsISK_E10value_typeET2_T3_PNSL_ISQ_E10value_typeET4_jRbjT5_SW_jjP12ihipStream_tbEUlT_E0_NS1_11comp_targetILNS1_3genE5ELNS1_11target_archE942ELNS1_3gpuE9ELNS1_3repE0EEENS1_60segmented_radix_sort_warp_sort_medium_config_static_selectorELNS0_4arch9wavefront6targetE0EEEvSK_.private_seg_size, 0
	.set _ZN7rocprim17ROCPRIM_400000_NS6detail17trampoline_kernelINS0_14default_configENS1_36segmented_radix_sort_config_selectorIhlEEZNS1_25segmented_radix_sort_implIS3_Lb1EPKhPhPKlPlN2at6native12_GLOBAL__N_18offset_tEEE10hipError_tPvRmT1_PNSt15iterator_traitsISK_E10value_typeET2_T3_PNSL_ISQ_E10value_typeET4_jRbjT5_SW_jjP12ihipStream_tbEUlT_E0_NS1_11comp_targetILNS1_3genE5ELNS1_11target_archE942ELNS1_3gpuE9ELNS1_3repE0EEENS1_60segmented_radix_sort_warp_sort_medium_config_static_selectorELNS0_4arch9wavefront6targetE0EEEvSK_.uses_vcc, 0
	.set _ZN7rocprim17ROCPRIM_400000_NS6detail17trampoline_kernelINS0_14default_configENS1_36segmented_radix_sort_config_selectorIhlEEZNS1_25segmented_radix_sort_implIS3_Lb1EPKhPhPKlPlN2at6native12_GLOBAL__N_18offset_tEEE10hipError_tPvRmT1_PNSt15iterator_traitsISK_E10value_typeET2_T3_PNSL_ISQ_E10value_typeET4_jRbjT5_SW_jjP12ihipStream_tbEUlT_E0_NS1_11comp_targetILNS1_3genE5ELNS1_11target_archE942ELNS1_3gpuE9ELNS1_3repE0EEENS1_60segmented_radix_sort_warp_sort_medium_config_static_selectorELNS0_4arch9wavefront6targetE0EEEvSK_.uses_flat_scratch, 0
	.set _ZN7rocprim17ROCPRIM_400000_NS6detail17trampoline_kernelINS0_14default_configENS1_36segmented_radix_sort_config_selectorIhlEEZNS1_25segmented_radix_sort_implIS3_Lb1EPKhPhPKlPlN2at6native12_GLOBAL__N_18offset_tEEE10hipError_tPvRmT1_PNSt15iterator_traitsISK_E10value_typeET2_T3_PNSL_ISQ_E10value_typeET4_jRbjT5_SW_jjP12ihipStream_tbEUlT_E0_NS1_11comp_targetILNS1_3genE5ELNS1_11target_archE942ELNS1_3gpuE9ELNS1_3repE0EEENS1_60segmented_radix_sort_warp_sort_medium_config_static_selectorELNS0_4arch9wavefront6targetE0EEEvSK_.has_dyn_sized_stack, 0
	.set _ZN7rocprim17ROCPRIM_400000_NS6detail17trampoline_kernelINS0_14default_configENS1_36segmented_radix_sort_config_selectorIhlEEZNS1_25segmented_radix_sort_implIS3_Lb1EPKhPhPKlPlN2at6native12_GLOBAL__N_18offset_tEEE10hipError_tPvRmT1_PNSt15iterator_traitsISK_E10value_typeET2_T3_PNSL_ISQ_E10value_typeET4_jRbjT5_SW_jjP12ihipStream_tbEUlT_E0_NS1_11comp_targetILNS1_3genE5ELNS1_11target_archE942ELNS1_3gpuE9ELNS1_3repE0EEENS1_60segmented_radix_sort_warp_sort_medium_config_static_selectorELNS0_4arch9wavefront6targetE0EEEvSK_.has_recursion, 0
	.set _ZN7rocprim17ROCPRIM_400000_NS6detail17trampoline_kernelINS0_14default_configENS1_36segmented_radix_sort_config_selectorIhlEEZNS1_25segmented_radix_sort_implIS3_Lb1EPKhPhPKlPlN2at6native12_GLOBAL__N_18offset_tEEE10hipError_tPvRmT1_PNSt15iterator_traitsISK_E10value_typeET2_T3_PNSL_ISQ_E10value_typeET4_jRbjT5_SW_jjP12ihipStream_tbEUlT_E0_NS1_11comp_targetILNS1_3genE5ELNS1_11target_archE942ELNS1_3gpuE9ELNS1_3repE0EEENS1_60segmented_radix_sort_warp_sort_medium_config_static_selectorELNS0_4arch9wavefront6targetE0EEEvSK_.has_indirect_call, 0
	.section	.AMDGPU.csdata,"",@progbits
; Kernel info:
; codeLenInByte = 0
; TotalNumSgprs: 0
; NumVgprs: 0
; ScratchSize: 0
; MemoryBound: 0
; FloatMode: 240
; IeeeMode: 1
; LDSByteSize: 0 bytes/workgroup (compile time only)
; SGPRBlocks: 0
; VGPRBlocks: 0
; NumSGPRsForWavesPerEU: 1
; NumVGPRsForWavesPerEU: 1
; Occupancy: 16
; WaveLimiterHint : 0
; COMPUTE_PGM_RSRC2:SCRATCH_EN: 0
; COMPUTE_PGM_RSRC2:USER_SGPR: 6
; COMPUTE_PGM_RSRC2:TRAP_HANDLER: 0
; COMPUTE_PGM_RSRC2:TGID_X_EN: 1
; COMPUTE_PGM_RSRC2:TGID_Y_EN: 0
; COMPUTE_PGM_RSRC2:TGID_Z_EN: 0
; COMPUTE_PGM_RSRC2:TIDIG_COMP_CNT: 0
	.section	.text._ZN7rocprim17ROCPRIM_400000_NS6detail17trampoline_kernelINS0_14default_configENS1_36segmented_radix_sort_config_selectorIhlEEZNS1_25segmented_radix_sort_implIS3_Lb1EPKhPhPKlPlN2at6native12_GLOBAL__N_18offset_tEEE10hipError_tPvRmT1_PNSt15iterator_traitsISK_E10value_typeET2_T3_PNSL_ISQ_E10value_typeET4_jRbjT5_SW_jjP12ihipStream_tbEUlT_E0_NS1_11comp_targetILNS1_3genE4ELNS1_11target_archE910ELNS1_3gpuE8ELNS1_3repE0EEENS1_60segmented_radix_sort_warp_sort_medium_config_static_selectorELNS0_4arch9wavefront6targetE0EEEvSK_,"axG",@progbits,_ZN7rocprim17ROCPRIM_400000_NS6detail17trampoline_kernelINS0_14default_configENS1_36segmented_radix_sort_config_selectorIhlEEZNS1_25segmented_radix_sort_implIS3_Lb1EPKhPhPKlPlN2at6native12_GLOBAL__N_18offset_tEEE10hipError_tPvRmT1_PNSt15iterator_traitsISK_E10value_typeET2_T3_PNSL_ISQ_E10value_typeET4_jRbjT5_SW_jjP12ihipStream_tbEUlT_E0_NS1_11comp_targetILNS1_3genE4ELNS1_11target_archE910ELNS1_3gpuE8ELNS1_3repE0EEENS1_60segmented_radix_sort_warp_sort_medium_config_static_selectorELNS0_4arch9wavefront6targetE0EEEvSK_,comdat
	.globl	_ZN7rocprim17ROCPRIM_400000_NS6detail17trampoline_kernelINS0_14default_configENS1_36segmented_radix_sort_config_selectorIhlEEZNS1_25segmented_radix_sort_implIS3_Lb1EPKhPhPKlPlN2at6native12_GLOBAL__N_18offset_tEEE10hipError_tPvRmT1_PNSt15iterator_traitsISK_E10value_typeET2_T3_PNSL_ISQ_E10value_typeET4_jRbjT5_SW_jjP12ihipStream_tbEUlT_E0_NS1_11comp_targetILNS1_3genE4ELNS1_11target_archE910ELNS1_3gpuE8ELNS1_3repE0EEENS1_60segmented_radix_sort_warp_sort_medium_config_static_selectorELNS0_4arch9wavefront6targetE0EEEvSK_ ; -- Begin function _ZN7rocprim17ROCPRIM_400000_NS6detail17trampoline_kernelINS0_14default_configENS1_36segmented_radix_sort_config_selectorIhlEEZNS1_25segmented_radix_sort_implIS3_Lb1EPKhPhPKlPlN2at6native12_GLOBAL__N_18offset_tEEE10hipError_tPvRmT1_PNSt15iterator_traitsISK_E10value_typeET2_T3_PNSL_ISQ_E10value_typeET4_jRbjT5_SW_jjP12ihipStream_tbEUlT_E0_NS1_11comp_targetILNS1_3genE4ELNS1_11target_archE910ELNS1_3gpuE8ELNS1_3repE0EEENS1_60segmented_radix_sort_warp_sort_medium_config_static_selectorELNS0_4arch9wavefront6targetE0EEEvSK_
	.p2align	8
	.type	_ZN7rocprim17ROCPRIM_400000_NS6detail17trampoline_kernelINS0_14default_configENS1_36segmented_radix_sort_config_selectorIhlEEZNS1_25segmented_radix_sort_implIS3_Lb1EPKhPhPKlPlN2at6native12_GLOBAL__N_18offset_tEEE10hipError_tPvRmT1_PNSt15iterator_traitsISK_E10value_typeET2_T3_PNSL_ISQ_E10value_typeET4_jRbjT5_SW_jjP12ihipStream_tbEUlT_E0_NS1_11comp_targetILNS1_3genE4ELNS1_11target_archE910ELNS1_3gpuE8ELNS1_3repE0EEENS1_60segmented_radix_sort_warp_sort_medium_config_static_selectorELNS0_4arch9wavefront6targetE0EEEvSK_,@function
_ZN7rocprim17ROCPRIM_400000_NS6detail17trampoline_kernelINS0_14default_configENS1_36segmented_radix_sort_config_selectorIhlEEZNS1_25segmented_radix_sort_implIS3_Lb1EPKhPhPKlPlN2at6native12_GLOBAL__N_18offset_tEEE10hipError_tPvRmT1_PNSt15iterator_traitsISK_E10value_typeET2_T3_PNSL_ISQ_E10value_typeET4_jRbjT5_SW_jjP12ihipStream_tbEUlT_E0_NS1_11comp_targetILNS1_3genE4ELNS1_11target_archE910ELNS1_3gpuE8ELNS1_3repE0EEENS1_60segmented_radix_sort_warp_sort_medium_config_static_selectorELNS0_4arch9wavefront6targetE0EEEvSK_: ; @_ZN7rocprim17ROCPRIM_400000_NS6detail17trampoline_kernelINS0_14default_configENS1_36segmented_radix_sort_config_selectorIhlEEZNS1_25segmented_radix_sort_implIS3_Lb1EPKhPhPKlPlN2at6native12_GLOBAL__N_18offset_tEEE10hipError_tPvRmT1_PNSt15iterator_traitsISK_E10value_typeET2_T3_PNSL_ISQ_E10value_typeET4_jRbjT5_SW_jjP12ihipStream_tbEUlT_E0_NS1_11comp_targetILNS1_3genE4ELNS1_11target_archE910ELNS1_3gpuE8ELNS1_3repE0EEENS1_60segmented_radix_sort_warp_sort_medium_config_static_selectorELNS0_4arch9wavefront6targetE0EEEvSK_
; %bb.0:
	.section	.rodata,"a",@progbits
	.p2align	6, 0x0
	.amdhsa_kernel _ZN7rocprim17ROCPRIM_400000_NS6detail17trampoline_kernelINS0_14default_configENS1_36segmented_radix_sort_config_selectorIhlEEZNS1_25segmented_radix_sort_implIS3_Lb1EPKhPhPKlPlN2at6native12_GLOBAL__N_18offset_tEEE10hipError_tPvRmT1_PNSt15iterator_traitsISK_E10value_typeET2_T3_PNSL_ISQ_E10value_typeET4_jRbjT5_SW_jjP12ihipStream_tbEUlT_E0_NS1_11comp_targetILNS1_3genE4ELNS1_11target_archE910ELNS1_3gpuE8ELNS1_3repE0EEENS1_60segmented_radix_sort_warp_sort_medium_config_static_selectorELNS0_4arch9wavefront6targetE0EEEvSK_
		.amdhsa_group_segment_fixed_size 0
		.amdhsa_private_segment_fixed_size 0
		.amdhsa_kernarg_size 88
		.amdhsa_user_sgpr_count 6
		.amdhsa_user_sgpr_private_segment_buffer 1
		.amdhsa_user_sgpr_dispatch_ptr 0
		.amdhsa_user_sgpr_queue_ptr 0
		.amdhsa_user_sgpr_kernarg_segment_ptr 1
		.amdhsa_user_sgpr_dispatch_id 0
		.amdhsa_user_sgpr_flat_scratch_init 0
		.amdhsa_user_sgpr_private_segment_size 0
		.amdhsa_wavefront_size32 1
		.amdhsa_uses_dynamic_stack 0
		.amdhsa_system_sgpr_private_segment_wavefront_offset 0
		.amdhsa_system_sgpr_workgroup_id_x 1
		.amdhsa_system_sgpr_workgroup_id_y 0
		.amdhsa_system_sgpr_workgroup_id_z 0
		.amdhsa_system_sgpr_workgroup_info 0
		.amdhsa_system_vgpr_workitem_id 0
		.amdhsa_next_free_vgpr 1
		.amdhsa_next_free_sgpr 1
		.amdhsa_reserve_vcc 0
		.amdhsa_reserve_flat_scratch 0
		.amdhsa_float_round_mode_32 0
		.amdhsa_float_round_mode_16_64 0
		.amdhsa_float_denorm_mode_32 3
		.amdhsa_float_denorm_mode_16_64 3
		.amdhsa_dx10_clamp 1
		.amdhsa_ieee_mode 1
		.amdhsa_fp16_overflow 0
		.amdhsa_workgroup_processor_mode 1
		.amdhsa_memory_ordered 1
		.amdhsa_forward_progress 1
		.amdhsa_shared_vgpr_count 0
		.amdhsa_exception_fp_ieee_invalid_op 0
		.amdhsa_exception_fp_denorm_src 0
		.amdhsa_exception_fp_ieee_div_zero 0
		.amdhsa_exception_fp_ieee_overflow 0
		.amdhsa_exception_fp_ieee_underflow 0
		.amdhsa_exception_fp_ieee_inexact 0
		.amdhsa_exception_int_div_zero 0
	.end_amdhsa_kernel
	.section	.text._ZN7rocprim17ROCPRIM_400000_NS6detail17trampoline_kernelINS0_14default_configENS1_36segmented_radix_sort_config_selectorIhlEEZNS1_25segmented_radix_sort_implIS3_Lb1EPKhPhPKlPlN2at6native12_GLOBAL__N_18offset_tEEE10hipError_tPvRmT1_PNSt15iterator_traitsISK_E10value_typeET2_T3_PNSL_ISQ_E10value_typeET4_jRbjT5_SW_jjP12ihipStream_tbEUlT_E0_NS1_11comp_targetILNS1_3genE4ELNS1_11target_archE910ELNS1_3gpuE8ELNS1_3repE0EEENS1_60segmented_radix_sort_warp_sort_medium_config_static_selectorELNS0_4arch9wavefront6targetE0EEEvSK_,"axG",@progbits,_ZN7rocprim17ROCPRIM_400000_NS6detail17trampoline_kernelINS0_14default_configENS1_36segmented_radix_sort_config_selectorIhlEEZNS1_25segmented_radix_sort_implIS3_Lb1EPKhPhPKlPlN2at6native12_GLOBAL__N_18offset_tEEE10hipError_tPvRmT1_PNSt15iterator_traitsISK_E10value_typeET2_T3_PNSL_ISQ_E10value_typeET4_jRbjT5_SW_jjP12ihipStream_tbEUlT_E0_NS1_11comp_targetILNS1_3genE4ELNS1_11target_archE910ELNS1_3gpuE8ELNS1_3repE0EEENS1_60segmented_radix_sort_warp_sort_medium_config_static_selectorELNS0_4arch9wavefront6targetE0EEEvSK_,comdat
.Lfunc_end95:
	.size	_ZN7rocprim17ROCPRIM_400000_NS6detail17trampoline_kernelINS0_14default_configENS1_36segmented_radix_sort_config_selectorIhlEEZNS1_25segmented_radix_sort_implIS3_Lb1EPKhPhPKlPlN2at6native12_GLOBAL__N_18offset_tEEE10hipError_tPvRmT1_PNSt15iterator_traitsISK_E10value_typeET2_T3_PNSL_ISQ_E10value_typeET4_jRbjT5_SW_jjP12ihipStream_tbEUlT_E0_NS1_11comp_targetILNS1_3genE4ELNS1_11target_archE910ELNS1_3gpuE8ELNS1_3repE0EEENS1_60segmented_radix_sort_warp_sort_medium_config_static_selectorELNS0_4arch9wavefront6targetE0EEEvSK_, .Lfunc_end95-_ZN7rocprim17ROCPRIM_400000_NS6detail17trampoline_kernelINS0_14default_configENS1_36segmented_radix_sort_config_selectorIhlEEZNS1_25segmented_radix_sort_implIS3_Lb1EPKhPhPKlPlN2at6native12_GLOBAL__N_18offset_tEEE10hipError_tPvRmT1_PNSt15iterator_traitsISK_E10value_typeET2_T3_PNSL_ISQ_E10value_typeET4_jRbjT5_SW_jjP12ihipStream_tbEUlT_E0_NS1_11comp_targetILNS1_3genE4ELNS1_11target_archE910ELNS1_3gpuE8ELNS1_3repE0EEENS1_60segmented_radix_sort_warp_sort_medium_config_static_selectorELNS0_4arch9wavefront6targetE0EEEvSK_
                                        ; -- End function
	.set _ZN7rocprim17ROCPRIM_400000_NS6detail17trampoline_kernelINS0_14default_configENS1_36segmented_radix_sort_config_selectorIhlEEZNS1_25segmented_radix_sort_implIS3_Lb1EPKhPhPKlPlN2at6native12_GLOBAL__N_18offset_tEEE10hipError_tPvRmT1_PNSt15iterator_traitsISK_E10value_typeET2_T3_PNSL_ISQ_E10value_typeET4_jRbjT5_SW_jjP12ihipStream_tbEUlT_E0_NS1_11comp_targetILNS1_3genE4ELNS1_11target_archE910ELNS1_3gpuE8ELNS1_3repE0EEENS1_60segmented_radix_sort_warp_sort_medium_config_static_selectorELNS0_4arch9wavefront6targetE0EEEvSK_.num_vgpr, 0
	.set _ZN7rocprim17ROCPRIM_400000_NS6detail17trampoline_kernelINS0_14default_configENS1_36segmented_radix_sort_config_selectorIhlEEZNS1_25segmented_radix_sort_implIS3_Lb1EPKhPhPKlPlN2at6native12_GLOBAL__N_18offset_tEEE10hipError_tPvRmT1_PNSt15iterator_traitsISK_E10value_typeET2_T3_PNSL_ISQ_E10value_typeET4_jRbjT5_SW_jjP12ihipStream_tbEUlT_E0_NS1_11comp_targetILNS1_3genE4ELNS1_11target_archE910ELNS1_3gpuE8ELNS1_3repE0EEENS1_60segmented_radix_sort_warp_sort_medium_config_static_selectorELNS0_4arch9wavefront6targetE0EEEvSK_.num_agpr, 0
	.set _ZN7rocprim17ROCPRIM_400000_NS6detail17trampoline_kernelINS0_14default_configENS1_36segmented_radix_sort_config_selectorIhlEEZNS1_25segmented_radix_sort_implIS3_Lb1EPKhPhPKlPlN2at6native12_GLOBAL__N_18offset_tEEE10hipError_tPvRmT1_PNSt15iterator_traitsISK_E10value_typeET2_T3_PNSL_ISQ_E10value_typeET4_jRbjT5_SW_jjP12ihipStream_tbEUlT_E0_NS1_11comp_targetILNS1_3genE4ELNS1_11target_archE910ELNS1_3gpuE8ELNS1_3repE0EEENS1_60segmented_radix_sort_warp_sort_medium_config_static_selectorELNS0_4arch9wavefront6targetE0EEEvSK_.numbered_sgpr, 0
	.set _ZN7rocprim17ROCPRIM_400000_NS6detail17trampoline_kernelINS0_14default_configENS1_36segmented_radix_sort_config_selectorIhlEEZNS1_25segmented_radix_sort_implIS3_Lb1EPKhPhPKlPlN2at6native12_GLOBAL__N_18offset_tEEE10hipError_tPvRmT1_PNSt15iterator_traitsISK_E10value_typeET2_T3_PNSL_ISQ_E10value_typeET4_jRbjT5_SW_jjP12ihipStream_tbEUlT_E0_NS1_11comp_targetILNS1_3genE4ELNS1_11target_archE910ELNS1_3gpuE8ELNS1_3repE0EEENS1_60segmented_radix_sort_warp_sort_medium_config_static_selectorELNS0_4arch9wavefront6targetE0EEEvSK_.num_named_barrier, 0
	.set _ZN7rocprim17ROCPRIM_400000_NS6detail17trampoline_kernelINS0_14default_configENS1_36segmented_radix_sort_config_selectorIhlEEZNS1_25segmented_radix_sort_implIS3_Lb1EPKhPhPKlPlN2at6native12_GLOBAL__N_18offset_tEEE10hipError_tPvRmT1_PNSt15iterator_traitsISK_E10value_typeET2_T3_PNSL_ISQ_E10value_typeET4_jRbjT5_SW_jjP12ihipStream_tbEUlT_E0_NS1_11comp_targetILNS1_3genE4ELNS1_11target_archE910ELNS1_3gpuE8ELNS1_3repE0EEENS1_60segmented_radix_sort_warp_sort_medium_config_static_selectorELNS0_4arch9wavefront6targetE0EEEvSK_.private_seg_size, 0
	.set _ZN7rocprim17ROCPRIM_400000_NS6detail17trampoline_kernelINS0_14default_configENS1_36segmented_radix_sort_config_selectorIhlEEZNS1_25segmented_radix_sort_implIS3_Lb1EPKhPhPKlPlN2at6native12_GLOBAL__N_18offset_tEEE10hipError_tPvRmT1_PNSt15iterator_traitsISK_E10value_typeET2_T3_PNSL_ISQ_E10value_typeET4_jRbjT5_SW_jjP12ihipStream_tbEUlT_E0_NS1_11comp_targetILNS1_3genE4ELNS1_11target_archE910ELNS1_3gpuE8ELNS1_3repE0EEENS1_60segmented_radix_sort_warp_sort_medium_config_static_selectorELNS0_4arch9wavefront6targetE0EEEvSK_.uses_vcc, 0
	.set _ZN7rocprim17ROCPRIM_400000_NS6detail17trampoline_kernelINS0_14default_configENS1_36segmented_radix_sort_config_selectorIhlEEZNS1_25segmented_radix_sort_implIS3_Lb1EPKhPhPKlPlN2at6native12_GLOBAL__N_18offset_tEEE10hipError_tPvRmT1_PNSt15iterator_traitsISK_E10value_typeET2_T3_PNSL_ISQ_E10value_typeET4_jRbjT5_SW_jjP12ihipStream_tbEUlT_E0_NS1_11comp_targetILNS1_3genE4ELNS1_11target_archE910ELNS1_3gpuE8ELNS1_3repE0EEENS1_60segmented_radix_sort_warp_sort_medium_config_static_selectorELNS0_4arch9wavefront6targetE0EEEvSK_.uses_flat_scratch, 0
	.set _ZN7rocprim17ROCPRIM_400000_NS6detail17trampoline_kernelINS0_14default_configENS1_36segmented_radix_sort_config_selectorIhlEEZNS1_25segmented_radix_sort_implIS3_Lb1EPKhPhPKlPlN2at6native12_GLOBAL__N_18offset_tEEE10hipError_tPvRmT1_PNSt15iterator_traitsISK_E10value_typeET2_T3_PNSL_ISQ_E10value_typeET4_jRbjT5_SW_jjP12ihipStream_tbEUlT_E0_NS1_11comp_targetILNS1_3genE4ELNS1_11target_archE910ELNS1_3gpuE8ELNS1_3repE0EEENS1_60segmented_radix_sort_warp_sort_medium_config_static_selectorELNS0_4arch9wavefront6targetE0EEEvSK_.has_dyn_sized_stack, 0
	.set _ZN7rocprim17ROCPRIM_400000_NS6detail17trampoline_kernelINS0_14default_configENS1_36segmented_radix_sort_config_selectorIhlEEZNS1_25segmented_radix_sort_implIS3_Lb1EPKhPhPKlPlN2at6native12_GLOBAL__N_18offset_tEEE10hipError_tPvRmT1_PNSt15iterator_traitsISK_E10value_typeET2_T3_PNSL_ISQ_E10value_typeET4_jRbjT5_SW_jjP12ihipStream_tbEUlT_E0_NS1_11comp_targetILNS1_3genE4ELNS1_11target_archE910ELNS1_3gpuE8ELNS1_3repE0EEENS1_60segmented_radix_sort_warp_sort_medium_config_static_selectorELNS0_4arch9wavefront6targetE0EEEvSK_.has_recursion, 0
	.set _ZN7rocprim17ROCPRIM_400000_NS6detail17trampoline_kernelINS0_14default_configENS1_36segmented_radix_sort_config_selectorIhlEEZNS1_25segmented_radix_sort_implIS3_Lb1EPKhPhPKlPlN2at6native12_GLOBAL__N_18offset_tEEE10hipError_tPvRmT1_PNSt15iterator_traitsISK_E10value_typeET2_T3_PNSL_ISQ_E10value_typeET4_jRbjT5_SW_jjP12ihipStream_tbEUlT_E0_NS1_11comp_targetILNS1_3genE4ELNS1_11target_archE910ELNS1_3gpuE8ELNS1_3repE0EEENS1_60segmented_radix_sort_warp_sort_medium_config_static_selectorELNS0_4arch9wavefront6targetE0EEEvSK_.has_indirect_call, 0
	.section	.AMDGPU.csdata,"",@progbits
; Kernel info:
; codeLenInByte = 0
; TotalNumSgprs: 0
; NumVgprs: 0
; ScratchSize: 0
; MemoryBound: 0
; FloatMode: 240
; IeeeMode: 1
; LDSByteSize: 0 bytes/workgroup (compile time only)
; SGPRBlocks: 0
; VGPRBlocks: 0
; NumSGPRsForWavesPerEU: 1
; NumVGPRsForWavesPerEU: 1
; Occupancy: 16
; WaveLimiterHint : 0
; COMPUTE_PGM_RSRC2:SCRATCH_EN: 0
; COMPUTE_PGM_RSRC2:USER_SGPR: 6
; COMPUTE_PGM_RSRC2:TRAP_HANDLER: 0
; COMPUTE_PGM_RSRC2:TGID_X_EN: 1
; COMPUTE_PGM_RSRC2:TGID_Y_EN: 0
; COMPUTE_PGM_RSRC2:TGID_Z_EN: 0
; COMPUTE_PGM_RSRC2:TIDIG_COMP_CNT: 0
	.section	.text._ZN7rocprim17ROCPRIM_400000_NS6detail17trampoline_kernelINS0_14default_configENS1_36segmented_radix_sort_config_selectorIhlEEZNS1_25segmented_radix_sort_implIS3_Lb1EPKhPhPKlPlN2at6native12_GLOBAL__N_18offset_tEEE10hipError_tPvRmT1_PNSt15iterator_traitsISK_E10value_typeET2_T3_PNSL_ISQ_E10value_typeET4_jRbjT5_SW_jjP12ihipStream_tbEUlT_E0_NS1_11comp_targetILNS1_3genE3ELNS1_11target_archE908ELNS1_3gpuE7ELNS1_3repE0EEENS1_60segmented_radix_sort_warp_sort_medium_config_static_selectorELNS0_4arch9wavefront6targetE0EEEvSK_,"axG",@progbits,_ZN7rocprim17ROCPRIM_400000_NS6detail17trampoline_kernelINS0_14default_configENS1_36segmented_radix_sort_config_selectorIhlEEZNS1_25segmented_radix_sort_implIS3_Lb1EPKhPhPKlPlN2at6native12_GLOBAL__N_18offset_tEEE10hipError_tPvRmT1_PNSt15iterator_traitsISK_E10value_typeET2_T3_PNSL_ISQ_E10value_typeET4_jRbjT5_SW_jjP12ihipStream_tbEUlT_E0_NS1_11comp_targetILNS1_3genE3ELNS1_11target_archE908ELNS1_3gpuE7ELNS1_3repE0EEENS1_60segmented_radix_sort_warp_sort_medium_config_static_selectorELNS0_4arch9wavefront6targetE0EEEvSK_,comdat
	.globl	_ZN7rocprim17ROCPRIM_400000_NS6detail17trampoline_kernelINS0_14default_configENS1_36segmented_radix_sort_config_selectorIhlEEZNS1_25segmented_radix_sort_implIS3_Lb1EPKhPhPKlPlN2at6native12_GLOBAL__N_18offset_tEEE10hipError_tPvRmT1_PNSt15iterator_traitsISK_E10value_typeET2_T3_PNSL_ISQ_E10value_typeET4_jRbjT5_SW_jjP12ihipStream_tbEUlT_E0_NS1_11comp_targetILNS1_3genE3ELNS1_11target_archE908ELNS1_3gpuE7ELNS1_3repE0EEENS1_60segmented_radix_sort_warp_sort_medium_config_static_selectorELNS0_4arch9wavefront6targetE0EEEvSK_ ; -- Begin function _ZN7rocprim17ROCPRIM_400000_NS6detail17trampoline_kernelINS0_14default_configENS1_36segmented_radix_sort_config_selectorIhlEEZNS1_25segmented_radix_sort_implIS3_Lb1EPKhPhPKlPlN2at6native12_GLOBAL__N_18offset_tEEE10hipError_tPvRmT1_PNSt15iterator_traitsISK_E10value_typeET2_T3_PNSL_ISQ_E10value_typeET4_jRbjT5_SW_jjP12ihipStream_tbEUlT_E0_NS1_11comp_targetILNS1_3genE3ELNS1_11target_archE908ELNS1_3gpuE7ELNS1_3repE0EEENS1_60segmented_radix_sort_warp_sort_medium_config_static_selectorELNS0_4arch9wavefront6targetE0EEEvSK_
	.p2align	8
	.type	_ZN7rocprim17ROCPRIM_400000_NS6detail17trampoline_kernelINS0_14default_configENS1_36segmented_radix_sort_config_selectorIhlEEZNS1_25segmented_radix_sort_implIS3_Lb1EPKhPhPKlPlN2at6native12_GLOBAL__N_18offset_tEEE10hipError_tPvRmT1_PNSt15iterator_traitsISK_E10value_typeET2_T3_PNSL_ISQ_E10value_typeET4_jRbjT5_SW_jjP12ihipStream_tbEUlT_E0_NS1_11comp_targetILNS1_3genE3ELNS1_11target_archE908ELNS1_3gpuE7ELNS1_3repE0EEENS1_60segmented_radix_sort_warp_sort_medium_config_static_selectorELNS0_4arch9wavefront6targetE0EEEvSK_,@function
_ZN7rocprim17ROCPRIM_400000_NS6detail17trampoline_kernelINS0_14default_configENS1_36segmented_radix_sort_config_selectorIhlEEZNS1_25segmented_radix_sort_implIS3_Lb1EPKhPhPKlPlN2at6native12_GLOBAL__N_18offset_tEEE10hipError_tPvRmT1_PNSt15iterator_traitsISK_E10value_typeET2_T3_PNSL_ISQ_E10value_typeET4_jRbjT5_SW_jjP12ihipStream_tbEUlT_E0_NS1_11comp_targetILNS1_3genE3ELNS1_11target_archE908ELNS1_3gpuE7ELNS1_3repE0EEENS1_60segmented_radix_sort_warp_sort_medium_config_static_selectorELNS0_4arch9wavefront6targetE0EEEvSK_: ; @_ZN7rocprim17ROCPRIM_400000_NS6detail17trampoline_kernelINS0_14default_configENS1_36segmented_radix_sort_config_selectorIhlEEZNS1_25segmented_radix_sort_implIS3_Lb1EPKhPhPKlPlN2at6native12_GLOBAL__N_18offset_tEEE10hipError_tPvRmT1_PNSt15iterator_traitsISK_E10value_typeET2_T3_PNSL_ISQ_E10value_typeET4_jRbjT5_SW_jjP12ihipStream_tbEUlT_E0_NS1_11comp_targetILNS1_3genE3ELNS1_11target_archE908ELNS1_3gpuE7ELNS1_3repE0EEENS1_60segmented_radix_sort_warp_sort_medium_config_static_selectorELNS0_4arch9wavefront6targetE0EEEvSK_
; %bb.0:
	.section	.rodata,"a",@progbits
	.p2align	6, 0x0
	.amdhsa_kernel _ZN7rocprim17ROCPRIM_400000_NS6detail17trampoline_kernelINS0_14default_configENS1_36segmented_radix_sort_config_selectorIhlEEZNS1_25segmented_radix_sort_implIS3_Lb1EPKhPhPKlPlN2at6native12_GLOBAL__N_18offset_tEEE10hipError_tPvRmT1_PNSt15iterator_traitsISK_E10value_typeET2_T3_PNSL_ISQ_E10value_typeET4_jRbjT5_SW_jjP12ihipStream_tbEUlT_E0_NS1_11comp_targetILNS1_3genE3ELNS1_11target_archE908ELNS1_3gpuE7ELNS1_3repE0EEENS1_60segmented_radix_sort_warp_sort_medium_config_static_selectorELNS0_4arch9wavefront6targetE0EEEvSK_
		.amdhsa_group_segment_fixed_size 0
		.amdhsa_private_segment_fixed_size 0
		.amdhsa_kernarg_size 88
		.amdhsa_user_sgpr_count 6
		.amdhsa_user_sgpr_private_segment_buffer 1
		.amdhsa_user_sgpr_dispatch_ptr 0
		.amdhsa_user_sgpr_queue_ptr 0
		.amdhsa_user_sgpr_kernarg_segment_ptr 1
		.amdhsa_user_sgpr_dispatch_id 0
		.amdhsa_user_sgpr_flat_scratch_init 0
		.amdhsa_user_sgpr_private_segment_size 0
		.amdhsa_wavefront_size32 1
		.amdhsa_uses_dynamic_stack 0
		.amdhsa_system_sgpr_private_segment_wavefront_offset 0
		.amdhsa_system_sgpr_workgroup_id_x 1
		.amdhsa_system_sgpr_workgroup_id_y 0
		.amdhsa_system_sgpr_workgroup_id_z 0
		.amdhsa_system_sgpr_workgroup_info 0
		.amdhsa_system_vgpr_workitem_id 0
		.amdhsa_next_free_vgpr 1
		.amdhsa_next_free_sgpr 1
		.amdhsa_reserve_vcc 0
		.amdhsa_reserve_flat_scratch 0
		.amdhsa_float_round_mode_32 0
		.amdhsa_float_round_mode_16_64 0
		.amdhsa_float_denorm_mode_32 3
		.amdhsa_float_denorm_mode_16_64 3
		.amdhsa_dx10_clamp 1
		.amdhsa_ieee_mode 1
		.amdhsa_fp16_overflow 0
		.amdhsa_workgroup_processor_mode 1
		.amdhsa_memory_ordered 1
		.amdhsa_forward_progress 1
		.amdhsa_shared_vgpr_count 0
		.amdhsa_exception_fp_ieee_invalid_op 0
		.amdhsa_exception_fp_denorm_src 0
		.amdhsa_exception_fp_ieee_div_zero 0
		.amdhsa_exception_fp_ieee_overflow 0
		.amdhsa_exception_fp_ieee_underflow 0
		.amdhsa_exception_fp_ieee_inexact 0
		.amdhsa_exception_int_div_zero 0
	.end_amdhsa_kernel
	.section	.text._ZN7rocprim17ROCPRIM_400000_NS6detail17trampoline_kernelINS0_14default_configENS1_36segmented_radix_sort_config_selectorIhlEEZNS1_25segmented_radix_sort_implIS3_Lb1EPKhPhPKlPlN2at6native12_GLOBAL__N_18offset_tEEE10hipError_tPvRmT1_PNSt15iterator_traitsISK_E10value_typeET2_T3_PNSL_ISQ_E10value_typeET4_jRbjT5_SW_jjP12ihipStream_tbEUlT_E0_NS1_11comp_targetILNS1_3genE3ELNS1_11target_archE908ELNS1_3gpuE7ELNS1_3repE0EEENS1_60segmented_radix_sort_warp_sort_medium_config_static_selectorELNS0_4arch9wavefront6targetE0EEEvSK_,"axG",@progbits,_ZN7rocprim17ROCPRIM_400000_NS6detail17trampoline_kernelINS0_14default_configENS1_36segmented_radix_sort_config_selectorIhlEEZNS1_25segmented_radix_sort_implIS3_Lb1EPKhPhPKlPlN2at6native12_GLOBAL__N_18offset_tEEE10hipError_tPvRmT1_PNSt15iterator_traitsISK_E10value_typeET2_T3_PNSL_ISQ_E10value_typeET4_jRbjT5_SW_jjP12ihipStream_tbEUlT_E0_NS1_11comp_targetILNS1_3genE3ELNS1_11target_archE908ELNS1_3gpuE7ELNS1_3repE0EEENS1_60segmented_radix_sort_warp_sort_medium_config_static_selectorELNS0_4arch9wavefront6targetE0EEEvSK_,comdat
.Lfunc_end96:
	.size	_ZN7rocprim17ROCPRIM_400000_NS6detail17trampoline_kernelINS0_14default_configENS1_36segmented_radix_sort_config_selectorIhlEEZNS1_25segmented_radix_sort_implIS3_Lb1EPKhPhPKlPlN2at6native12_GLOBAL__N_18offset_tEEE10hipError_tPvRmT1_PNSt15iterator_traitsISK_E10value_typeET2_T3_PNSL_ISQ_E10value_typeET4_jRbjT5_SW_jjP12ihipStream_tbEUlT_E0_NS1_11comp_targetILNS1_3genE3ELNS1_11target_archE908ELNS1_3gpuE7ELNS1_3repE0EEENS1_60segmented_radix_sort_warp_sort_medium_config_static_selectorELNS0_4arch9wavefront6targetE0EEEvSK_, .Lfunc_end96-_ZN7rocprim17ROCPRIM_400000_NS6detail17trampoline_kernelINS0_14default_configENS1_36segmented_radix_sort_config_selectorIhlEEZNS1_25segmented_radix_sort_implIS3_Lb1EPKhPhPKlPlN2at6native12_GLOBAL__N_18offset_tEEE10hipError_tPvRmT1_PNSt15iterator_traitsISK_E10value_typeET2_T3_PNSL_ISQ_E10value_typeET4_jRbjT5_SW_jjP12ihipStream_tbEUlT_E0_NS1_11comp_targetILNS1_3genE3ELNS1_11target_archE908ELNS1_3gpuE7ELNS1_3repE0EEENS1_60segmented_radix_sort_warp_sort_medium_config_static_selectorELNS0_4arch9wavefront6targetE0EEEvSK_
                                        ; -- End function
	.set _ZN7rocprim17ROCPRIM_400000_NS6detail17trampoline_kernelINS0_14default_configENS1_36segmented_radix_sort_config_selectorIhlEEZNS1_25segmented_radix_sort_implIS3_Lb1EPKhPhPKlPlN2at6native12_GLOBAL__N_18offset_tEEE10hipError_tPvRmT1_PNSt15iterator_traitsISK_E10value_typeET2_T3_PNSL_ISQ_E10value_typeET4_jRbjT5_SW_jjP12ihipStream_tbEUlT_E0_NS1_11comp_targetILNS1_3genE3ELNS1_11target_archE908ELNS1_3gpuE7ELNS1_3repE0EEENS1_60segmented_radix_sort_warp_sort_medium_config_static_selectorELNS0_4arch9wavefront6targetE0EEEvSK_.num_vgpr, 0
	.set _ZN7rocprim17ROCPRIM_400000_NS6detail17trampoline_kernelINS0_14default_configENS1_36segmented_radix_sort_config_selectorIhlEEZNS1_25segmented_radix_sort_implIS3_Lb1EPKhPhPKlPlN2at6native12_GLOBAL__N_18offset_tEEE10hipError_tPvRmT1_PNSt15iterator_traitsISK_E10value_typeET2_T3_PNSL_ISQ_E10value_typeET4_jRbjT5_SW_jjP12ihipStream_tbEUlT_E0_NS1_11comp_targetILNS1_3genE3ELNS1_11target_archE908ELNS1_3gpuE7ELNS1_3repE0EEENS1_60segmented_radix_sort_warp_sort_medium_config_static_selectorELNS0_4arch9wavefront6targetE0EEEvSK_.num_agpr, 0
	.set _ZN7rocprim17ROCPRIM_400000_NS6detail17trampoline_kernelINS0_14default_configENS1_36segmented_radix_sort_config_selectorIhlEEZNS1_25segmented_radix_sort_implIS3_Lb1EPKhPhPKlPlN2at6native12_GLOBAL__N_18offset_tEEE10hipError_tPvRmT1_PNSt15iterator_traitsISK_E10value_typeET2_T3_PNSL_ISQ_E10value_typeET4_jRbjT5_SW_jjP12ihipStream_tbEUlT_E0_NS1_11comp_targetILNS1_3genE3ELNS1_11target_archE908ELNS1_3gpuE7ELNS1_3repE0EEENS1_60segmented_radix_sort_warp_sort_medium_config_static_selectorELNS0_4arch9wavefront6targetE0EEEvSK_.numbered_sgpr, 0
	.set _ZN7rocprim17ROCPRIM_400000_NS6detail17trampoline_kernelINS0_14default_configENS1_36segmented_radix_sort_config_selectorIhlEEZNS1_25segmented_radix_sort_implIS3_Lb1EPKhPhPKlPlN2at6native12_GLOBAL__N_18offset_tEEE10hipError_tPvRmT1_PNSt15iterator_traitsISK_E10value_typeET2_T3_PNSL_ISQ_E10value_typeET4_jRbjT5_SW_jjP12ihipStream_tbEUlT_E0_NS1_11comp_targetILNS1_3genE3ELNS1_11target_archE908ELNS1_3gpuE7ELNS1_3repE0EEENS1_60segmented_radix_sort_warp_sort_medium_config_static_selectorELNS0_4arch9wavefront6targetE0EEEvSK_.num_named_barrier, 0
	.set _ZN7rocprim17ROCPRIM_400000_NS6detail17trampoline_kernelINS0_14default_configENS1_36segmented_radix_sort_config_selectorIhlEEZNS1_25segmented_radix_sort_implIS3_Lb1EPKhPhPKlPlN2at6native12_GLOBAL__N_18offset_tEEE10hipError_tPvRmT1_PNSt15iterator_traitsISK_E10value_typeET2_T3_PNSL_ISQ_E10value_typeET4_jRbjT5_SW_jjP12ihipStream_tbEUlT_E0_NS1_11comp_targetILNS1_3genE3ELNS1_11target_archE908ELNS1_3gpuE7ELNS1_3repE0EEENS1_60segmented_radix_sort_warp_sort_medium_config_static_selectorELNS0_4arch9wavefront6targetE0EEEvSK_.private_seg_size, 0
	.set _ZN7rocprim17ROCPRIM_400000_NS6detail17trampoline_kernelINS0_14default_configENS1_36segmented_radix_sort_config_selectorIhlEEZNS1_25segmented_radix_sort_implIS3_Lb1EPKhPhPKlPlN2at6native12_GLOBAL__N_18offset_tEEE10hipError_tPvRmT1_PNSt15iterator_traitsISK_E10value_typeET2_T3_PNSL_ISQ_E10value_typeET4_jRbjT5_SW_jjP12ihipStream_tbEUlT_E0_NS1_11comp_targetILNS1_3genE3ELNS1_11target_archE908ELNS1_3gpuE7ELNS1_3repE0EEENS1_60segmented_radix_sort_warp_sort_medium_config_static_selectorELNS0_4arch9wavefront6targetE0EEEvSK_.uses_vcc, 0
	.set _ZN7rocprim17ROCPRIM_400000_NS6detail17trampoline_kernelINS0_14default_configENS1_36segmented_radix_sort_config_selectorIhlEEZNS1_25segmented_radix_sort_implIS3_Lb1EPKhPhPKlPlN2at6native12_GLOBAL__N_18offset_tEEE10hipError_tPvRmT1_PNSt15iterator_traitsISK_E10value_typeET2_T3_PNSL_ISQ_E10value_typeET4_jRbjT5_SW_jjP12ihipStream_tbEUlT_E0_NS1_11comp_targetILNS1_3genE3ELNS1_11target_archE908ELNS1_3gpuE7ELNS1_3repE0EEENS1_60segmented_radix_sort_warp_sort_medium_config_static_selectorELNS0_4arch9wavefront6targetE0EEEvSK_.uses_flat_scratch, 0
	.set _ZN7rocprim17ROCPRIM_400000_NS6detail17trampoline_kernelINS0_14default_configENS1_36segmented_radix_sort_config_selectorIhlEEZNS1_25segmented_radix_sort_implIS3_Lb1EPKhPhPKlPlN2at6native12_GLOBAL__N_18offset_tEEE10hipError_tPvRmT1_PNSt15iterator_traitsISK_E10value_typeET2_T3_PNSL_ISQ_E10value_typeET4_jRbjT5_SW_jjP12ihipStream_tbEUlT_E0_NS1_11comp_targetILNS1_3genE3ELNS1_11target_archE908ELNS1_3gpuE7ELNS1_3repE0EEENS1_60segmented_radix_sort_warp_sort_medium_config_static_selectorELNS0_4arch9wavefront6targetE0EEEvSK_.has_dyn_sized_stack, 0
	.set _ZN7rocprim17ROCPRIM_400000_NS6detail17trampoline_kernelINS0_14default_configENS1_36segmented_radix_sort_config_selectorIhlEEZNS1_25segmented_radix_sort_implIS3_Lb1EPKhPhPKlPlN2at6native12_GLOBAL__N_18offset_tEEE10hipError_tPvRmT1_PNSt15iterator_traitsISK_E10value_typeET2_T3_PNSL_ISQ_E10value_typeET4_jRbjT5_SW_jjP12ihipStream_tbEUlT_E0_NS1_11comp_targetILNS1_3genE3ELNS1_11target_archE908ELNS1_3gpuE7ELNS1_3repE0EEENS1_60segmented_radix_sort_warp_sort_medium_config_static_selectorELNS0_4arch9wavefront6targetE0EEEvSK_.has_recursion, 0
	.set _ZN7rocprim17ROCPRIM_400000_NS6detail17trampoline_kernelINS0_14default_configENS1_36segmented_radix_sort_config_selectorIhlEEZNS1_25segmented_radix_sort_implIS3_Lb1EPKhPhPKlPlN2at6native12_GLOBAL__N_18offset_tEEE10hipError_tPvRmT1_PNSt15iterator_traitsISK_E10value_typeET2_T3_PNSL_ISQ_E10value_typeET4_jRbjT5_SW_jjP12ihipStream_tbEUlT_E0_NS1_11comp_targetILNS1_3genE3ELNS1_11target_archE908ELNS1_3gpuE7ELNS1_3repE0EEENS1_60segmented_radix_sort_warp_sort_medium_config_static_selectorELNS0_4arch9wavefront6targetE0EEEvSK_.has_indirect_call, 0
	.section	.AMDGPU.csdata,"",@progbits
; Kernel info:
; codeLenInByte = 0
; TotalNumSgprs: 0
; NumVgprs: 0
; ScratchSize: 0
; MemoryBound: 0
; FloatMode: 240
; IeeeMode: 1
; LDSByteSize: 0 bytes/workgroup (compile time only)
; SGPRBlocks: 0
; VGPRBlocks: 0
; NumSGPRsForWavesPerEU: 1
; NumVGPRsForWavesPerEU: 1
; Occupancy: 16
; WaveLimiterHint : 0
; COMPUTE_PGM_RSRC2:SCRATCH_EN: 0
; COMPUTE_PGM_RSRC2:USER_SGPR: 6
; COMPUTE_PGM_RSRC2:TRAP_HANDLER: 0
; COMPUTE_PGM_RSRC2:TGID_X_EN: 1
; COMPUTE_PGM_RSRC2:TGID_Y_EN: 0
; COMPUTE_PGM_RSRC2:TGID_Z_EN: 0
; COMPUTE_PGM_RSRC2:TIDIG_COMP_CNT: 0
	.section	.text._ZN7rocprim17ROCPRIM_400000_NS6detail17trampoline_kernelINS0_14default_configENS1_36segmented_radix_sort_config_selectorIhlEEZNS1_25segmented_radix_sort_implIS3_Lb1EPKhPhPKlPlN2at6native12_GLOBAL__N_18offset_tEEE10hipError_tPvRmT1_PNSt15iterator_traitsISK_E10value_typeET2_T3_PNSL_ISQ_E10value_typeET4_jRbjT5_SW_jjP12ihipStream_tbEUlT_E0_NS1_11comp_targetILNS1_3genE2ELNS1_11target_archE906ELNS1_3gpuE6ELNS1_3repE0EEENS1_60segmented_radix_sort_warp_sort_medium_config_static_selectorELNS0_4arch9wavefront6targetE0EEEvSK_,"axG",@progbits,_ZN7rocprim17ROCPRIM_400000_NS6detail17trampoline_kernelINS0_14default_configENS1_36segmented_radix_sort_config_selectorIhlEEZNS1_25segmented_radix_sort_implIS3_Lb1EPKhPhPKlPlN2at6native12_GLOBAL__N_18offset_tEEE10hipError_tPvRmT1_PNSt15iterator_traitsISK_E10value_typeET2_T3_PNSL_ISQ_E10value_typeET4_jRbjT5_SW_jjP12ihipStream_tbEUlT_E0_NS1_11comp_targetILNS1_3genE2ELNS1_11target_archE906ELNS1_3gpuE6ELNS1_3repE0EEENS1_60segmented_radix_sort_warp_sort_medium_config_static_selectorELNS0_4arch9wavefront6targetE0EEEvSK_,comdat
	.globl	_ZN7rocprim17ROCPRIM_400000_NS6detail17trampoline_kernelINS0_14default_configENS1_36segmented_radix_sort_config_selectorIhlEEZNS1_25segmented_radix_sort_implIS3_Lb1EPKhPhPKlPlN2at6native12_GLOBAL__N_18offset_tEEE10hipError_tPvRmT1_PNSt15iterator_traitsISK_E10value_typeET2_T3_PNSL_ISQ_E10value_typeET4_jRbjT5_SW_jjP12ihipStream_tbEUlT_E0_NS1_11comp_targetILNS1_3genE2ELNS1_11target_archE906ELNS1_3gpuE6ELNS1_3repE0EEENS1_60segmented_radix_sort_warp_sort_medium_config_static_selectorELNS0_4arch9wavefront6targetE0EEEvSK_ ; -- Begin function _ZN7rocprim17ROCPRIM_400000_NS6detail17trampoline_kernelINS0_14default_configENS1_36segmented_radix_sort_config_selectorIhlEEZNS1_25segmented_radix_sort_implIS3_Lb1EPKhPhPKlPlN2at6native12_GLOBAL__N_18offset_tEEE10hipError_tPvRmT1_PNSt15iterator_traitsISK_E10value_typeET2_T3_PNSL_ISQ_E10value_typeET4_jRbjT5_SW_jjP12ihipStream_tbEUlT_E0_NS1_11comp_targetILNS1_3genE2ELNS1_11target_archE906ELNS1_3gpuE6ELNS1_3repE0EEENS1_60segmented_radix_sort_warp_sort_medium_config_static_selectorELNS0_4arch9wavefront6targetE0EEEvSK_
	.p2align	8
	.type	_ZN7rocprim17ROCPRIM_400000_NS6detail17trampoline_kernelINS0_14default_configENS1_36segmented_radix_sort_config_selectorIhlEEZNS1_25segmented_radix_sort_implIS3_Lb1EPKhPhPKlPlN2at6native12_GLOBAL__N_18offset_tEEE10hipError_tPvRmT1_PNSt15iterator_traitsISK_E10value_typeET2_T3_PNSL_ISQ_E10value_typeET4_jRbjT5_SW_jjP12ihipStream_tbEUlT_E0_NS1_11comp_targetILNS1_3genE2ELNS1_11target_archE906ELNS1_3gpuE6ELNS1_3repE0EEENS1_60segmented_radix_sort_warp_sort_medium_config_static_selectorELNS0_4arch9wavefront6targetE0EEEvSK_,@function
_ZN7rocprim17ROCPRIM_400000_NS6detail17trampoline_kernelINS0_14default_configENS1_36segmented_radix_sort_config_selectorIhlEEZNS1_25segmented_radix_sort_implIS3_Lb1EPKhPhPKlPlN2at6native12_GLOBAL__N_18offset_tEEE10hipError_tPvRmT1_PNSt15iterator_traitsISK_E10value_typeET2_T3_PNSL_ISQ_E10value_typeET4_jRbjT5_SW_jjP12ihipStream_tbEUlT_E0_NS1_11comp_targetILNS1_3genE2ELNS1_11target_archE906ELNS1_3gpuE6ELNS1_3repE0EEENS1_60segmented_radix_sort_warp_sort_medium_config_static_selectorELNS0_4arch9wavefront6targetE0EEEvSK_: ; @_ZN7rocprim17ROCPRIM_400000_NS6detail17trampoline_kernelINS0_14default_configENS1_36segmented_radix_sort_config_selectorIhlEEZNS1_25segmented_radix_sort_implIS3_Lb1EPKhPhPKlPlN2at6native12_GLOBAL__N_18offset_tEEE10hipError_tPvRmT1_PNSt15iterator_traitsISK_E10value_typeET2_T3_PNSL_ISQ_E10value_typeET4_jRbjT5_SW_jjP12ihipStream_tbEUlT_E0_NS1_11comp_targetILNS1_3genE2ELNS1_11target_archE906ELNS1_3gpuE6ELNS1_3repE0EEENS1_60segmented_radix_sort_warp_sort_medium_config_static_selectorELNS0_4arch9wavefront6targetE0EEEvSK_
; %bb.0:
	.section	.rodata,"a",@progbits
	.p2align	6, 0x0
	.amdhsa_kernel _ZN7rocprim17ROCPRIM_400000_NS6detail17trampoline_kernelINS0_14default_configENS1_36segmented_radix_sort_config_selectorIhlEEZNS1_25segmented_radix_sort_implIS3_Lb1EPKhPhPKlPlN2at6native12_GLOBAL__N_18offset_tEEE10hipError_tPvRmT1_PNSt15iterator_traitsISK_E10value_typeET2_T3_PNSL_ISQ_E10value_typeET4_jRbjT5_SW_jjP12ihipStream_tbEUlT_E0_NS1_11comp_targetILNS1_3genE2ELNS1_11target_archE906ELNS1_3gpuE6ELNS1_3repE0EEENS1_60segmented_radix_sort_warp_sort_medium_config_static_selectorELNS0_4arch9wavefront6targetE0EEEvSK_
		.amdhsa_group_segment_fixed_size 0
		.amdhsa_private_segment_fixed_size 0
		.amdhsa_kernarg_size 88
		.amdhsa_user_sgpr_count 6
		.amdhsa_user_sgpr_private_segment_buffer 1
		.amdhsa_user_sgpr_dispatch_ptr 0
		.amdhsa_user_sgpr_queue_ptr 0
		.amdhsa_user_sgpr_kernarg_segment_ptr 1
		.amdhsa_user_sgpr_dispatch_id 0
		.amdhsa_user_sgpr_flat_scratch_init 0
		.amdhsa_user_sgpr_private_segment_size 0
		.amdhsa_wavefront_size32 1
		.amdhsa_uses_dynamic_stack 0
		.amdhsa_system_sgpr_private_segment_wavefront_offset 0
		.amdhsa_system_sgpr_workgroup_id_x 1
		.amdhsa_system_sgpr_workgroup_id_y 0
		.amdhsa_system_sgpr_workgroup_id_z 0
		.amdhsa_system_sgpr_workgroup_info 0
		.amdhsa_system_vgpr_workitem_id 0
		.amdhsa_next_free_vgpr 1
		.amdhsa_next_free_sgpr 1
		.amdhsa_reserve_vcc 0
		.amdhsa_reserve_flat_scratch 0
		.amdhsa_float_round_mode_32 0
		.amdhsa_float_round_mode_16_64 0
		.amdhsa_float_denorm_mode_32 3
		.amdhsa_float_denorm_mode_16_64 3
		.amdhsa_dx10_clamp 1
		.amdhsa_ieee_mode 1
		.amdhsa_fp16_overflow 0
		.amdhsa_workgroup_processor_mode 1
		.amdhsa_memory_ordered 1
		.amdhsa_forward_progress 1
		.amdhsa_shared_vgpr_count 0
		.amdhsa_exception_fp_ieee_invalid_op 0
		.amdhsa_exception_fp_denorm_src 0
		.amdhsa_exception_fp_ieee_div_zero 0
		.amdhsa_exception_fp_ieee_overflow 0
		.amdhsa_exception_fp_ieee_underflow 0
		.amdhsa_exception_fp_ieee_inexact 0
		.amdhsa_exception_int_div_zero 0
	.end_amdhsa_kernel
	.section	.text._ZN7rocprim17ROCPRIM_400000_NS6detail17trampoline_kernelINS0_14default_configENS1_36segmented_radix_sort_config_selectorIhlEEZNS1_25segmented_radix_sort_implIS3_Lb1EPKhPhPKlPlN2at6native12_GLOBAL__N_18offset_tEEE10hipError_tPvRmT1_PNSt15iterator_traitsISK_E10value_typeET2_T3_PNSL_ISQ_E10value_typeET4_jRbjT5_SW_jjP12ihipStream_tbEUlT_E0_NS1_11comp_targetILNS1_3genE2ELNS1_11target_archE906ELNS1_3gpuE6ELNS1_3repE0EEENS1_60segmented_radix_sort_warp_sort_medium_config_static_selectorELNS0_4arch9wavefront6targetE0EEEvSK_,"axG",@progbits,_ZN7rocprim17ROCPRIM_400000_NS6detail17trampoline_kernelINS0_14default_configENS1_36segmented_radix_sort_config_selectorIhlEEZNS1_25segmented_radix_sort_implIS3_Lb1EPKhPhPKlPlN2at6native12_GLOBAL__N_18offset_tEEE10hipError_tPvRmT1_PNSt15iterator_traitsISK_E10value_typeET2_T3_PNSL_ISQ_E10value_typeET4_jRbjT5_SW_jjP12ihipStream_tbEUlT_E0_NS1_11comp_targetILNS1_3genE2ELNS1_11target_archE906ELNS1_3gpuE6ELNS1_3repE0EEENS1_60segmented_radix_sort_warp_sort_medium_config_static_selectorELNS0_4arch9wavefront6targetE0EEEvSK_,comdat
.Lfunc_end97:
	.size	_ZN7rocprim17ROCPRIM_400000_NS6detail17trampoline_kernelINS0_14default_configENS1_36segmented_radix_sort_config_selectorIhlEEZNS1_25segmented_radix_sort_implIS3_Lb1EPKhPhPKlPlN2at6native12_GLOBAL__N_18offset_tEEE10hipError_tPvRmT1_PNSt15iterator_traitsISK_E10value_typeET2_T3_PNSL_ISQ_E10value_typeET4_jRbjT5_SW_jjP12ihipStream_tbEUlT_E0_NS1_11comp_targetILNS1_3genE2ELNS1_11target_archE906ELNS1_3gpuE6ELNS1_3repE0EEENS1_60segmented_radix_sort_warp_sort_medium_config_static_selectorELNS0_4arch9wavefront6targetE0EEEvSK_, .Lfunc_end97-_ZN7rocprim17ROCPRIM_400000_NS6detail17trampoline_kernelINS0_14default_configENS1_36segmented_radix_sort_config_selectorIhlEEZNS1_25segmented_radix_sort_implIS3_Lb1EPKhPhPKlPlN2at6native12_GLOBAL__N_18offset_tEEE10hipError_tPvRmT1_PNSt15iterator_traitsISK_E10value_typeET2_T3_PNSL_ISQ_E10value_typeET4_jRbjT5_SW_jjP12ihipStream_tbEUlT_E0_NS1_11comp_targetILNS1_3genE2ELNS1_11target_archE906ELNS1_3gpuE6ELNS1_3repE0EEENS1_60segmented_radix_sort_warp_sort_medium_config_static_selectorELNS0_4arch9wavefront6targetE0EEEvSK_
                                        ; -- End function
	.set _ZN7rocprim17ROCPRIM_400000_NS6detail17trampoline_kernelINS0_14default_configENS1_36segmented_radix_sort_config_selectorIhlEEZNS1_25segmented_radix_sort_implIS3_Lb1EPKhPhPKlPlN2at6native12_GLOBAL__N_18offset_tEEE10hipError_tPvRmT1_PNSt15iterator_traitsISK_E10value_typeET2_T3_PNSL_ISQ_E10value_typeET4_jRbjT5_SW_jjP12ihipStream_tbEUlT_E0_NS1_11comp_targetILNS1_3genE2ELNS1_11target_archE906ELNS1_3gpuE6ELNS1_3repE0EEENS1_60segmented_radix_sort_warp_sort_medium_config_static_selectorELNS0_4arch9wavefront6targetE0EEEvSK_.num_vgpr, 0
	.set _ZN7rocprim17ROCPRIM_400000_NS6detail17trampoline_kernelINS0_14default_configENS1_36segmented_radix_sort_config_selectorIhlEEZNS1_25segmented_radix_sort_implIS3_Lb1EPKhPhPKlPlN2at6native12_GLOBAL__N_18offset_tEEE10hipError_tPvRmT1_PNSt15iterator_traitsISK_E10value_typeET2_T3_PNSL_ISQ_E10value_typeET4_jRbjT5_SW_jjP12ihipStream_tbEUlT_E0_NS1_11comp_targetILNS1_3genE2ELNS1_11target_archE906ELNS1_3gpuE6ELNS1_3repE0EEENS1_60segmented_radix_sort_warp_sort_medium_config_static_selectorELNS0_4arch9wavefront6targetE0EEEvSK_.num_agpr, 0
	.set _ZN7rocprim17ROCPRIM_400000_NS6detail17trampoline_kernelINS0_14default_configENS1_36segmented_radix_sort_config_selectorIhlEEZNS1_25segmented_radix_sort_implIS3_Lb1EPKhPhPKlPlN2at6native12_GLOBAL__N_18offset_tEEE10hipError_tPvRmT1_PNSt15iterator_traitsISK_E10value_typeET2_T3_PNSL_ISQ_E10value_typeET4_jRbjT5_SW_jjP12ihipStream_tbEUlT_E0_NS1_11comp_targetILNS1_3genE2ELNS1_11target_archE906ELNS1_3gpuE6ELNS1_3repE0EEENS1_60segmented_radix_sort_warp_sort_medium_config_static_selectorELNS0_4arch9wavefront6targetE0EEEvSK_.numbered_sgpr, 0
	.set _ZN7rocprim17ROCPRIM_400000_NS6detail17trampoline_kernelINS0_14default_configENS1_36segmented_radix_sort_config_selectorIhlEEZNS1_25segmented_radix_sort_implIS3_Lb1EPKhPhPKlPlN2at6native12_GLOBAL__N_18offset_tEEE10hipError_tPvRmT1_PNSt15iterator_traitsISK_E10value_typeET2_T3_PNSL_ISQ_E10value_typeET4_jRbjT5_SW_jjP12ihipStream_tbEUlT_E0_NS1_11comp_targetILNS1_3genE2ELNS1_11target_archE906ELNS1_3gpuE6ELNS1_3repE0EEENS1_60segmented_radix_sort_warp_sort_medium_config_static_selectorELNS0_4arch9wavefront6targetE0EEEvSK_.num_named_barrier, 0
	.set _ZN7rocprim17ROCPRIM_400000_NS6detail17trampoline_kernelINS0_14default_configENS1_36segmented_radix_sort_config_selectorIhlEEZNS1_25segmented_radix_sort_implIS3_Lb1EPKhPhPKlPlN2at6native12_GLOBAL__N_18offset_tEEE10hipError_tPvRmT1_PNSt15iterator_traitsISK_E10value_typeET2_T3_PNSL_ISQ_E10value_typeET4_jRbjT5_SW_jjP12ihipStream_tbEUlT_E0_NS1_11comp_targetILNS1_3genE2ELNS1_11target_archE906ELNS1_3gpuE6ELNS1_3repE0EEENS1_60segmented_radix_sort_warp_sort_medium_config_static_selectorELNS0_4arch9wavefront6targetE0EEEvSK_.private_seg_size, 0
	.set _ZN7rocprim17ROCPRIM_400000_NS6detail17trampoline_kernelINS0_14default_configENS1_36segmented_radix_sort_config_selectorIhlEEZNS1_25segmented_radix_sort_implIS3_Lb1EPKhPhPKlPlN2at6native12_GLOBAL__N_18offset_tEEE10hipError_tPvRmT1_PNSt15iterator_traitsISK_E10value_typeET2_T3_PNSL_ISQ_E10value_typeET4_jRbjT5_SW_jjP12ihipStream_tbEUlT_E0_NS1_11comp_targetILNS1_3genE2ELNS1_11target_archE906ELNS1_3gpuE6ELNS1_3repE0EEENS1_60segmented_radix_sort_warp_sort_medium_config_static_selectorELNS0_4arch9wavefront6targetE0EEEvSK_.uses_vcc, 0
	.set _ZN7rocprim17ROCPRIM_400000_NS6detail17trampoline_kernelINS0_14default_configENS1_36segmented_radix_sort_config_selectorIhlEEZNS1_25segmented_radix_sort_implIS3_Lb1EPKhPhPKlPlN2at6native12_GLOBAL__N_18offset_tEEE10hipError_tPvRmT1_PNSt15iterator_traitsISK_E10value_typeET2_T3_PNSL_ISQ_E10value_typeET4_jRbjT5_SW_jjP12ihipStream_tbEUlT_E0_NS1_11comp_targetILNS1_3genE2ELNS1_11target_archE906ELNS1_3gpuE6ELNS1_3repE0EEENS1_60segmented_radix_sort_warp_sort_medium_config_static_selectorELNS0_4arch9wavefront6targetE0EEEvSK_.uses_flat_scratch, 0
	.set _ZN7rocprim17ROCPRIM_400000_NS6detail17trampoline_kernelINS0_14default_configENS1_36segmented_radix_sort_config_selectorIhlEEZNS1_25segmented_radix_sort_implIS3_Lb1EPKhPhPKlPlN2at6native12_GLOBAL__N_18offset_tEEE10hipError_tPvRmT1_PNSt15iterator_traitsISK_E10value_typeET2_T3_PNSL_ISQ_E10value_typeET4_jRbjT5_SW_jjP12ihipStream_tbEUlT_E0_NS1_11comp_targetILNS1_3genE2ELNS1_11target_archE906ELNS1_3gpuE6ELNS1_3repE0EEENS1_60segmented_radix_sort_warp_sort_medium_config_static_selectorELNS0_4arch9wavefront6targetE0EEEvSK_.has_dyn_sized_stack, 0
	.set _ZN7rocprim17ROCPRIM_400000_NS6detail17trampoline_kernelINS0_14default_configENS1_36segmented_radix_sort_config_selectorIhlEEZNS1_25segmented_radix_sort_implIS3_Lb1EPKhPhPKlPlN2at6native12_GLOBAL__N_18offset_tEEE10hipError_tPvRmT1_PNSt15iterator_traitsISK_E10value_typeET2_T3_PNSL_ISQ_E10value_typeET4_jRbjT5_SW_jjP12ihipStream_tbEUlT_E0_NS1_11comp_targetILNS1_3genE2ELNS1_11target_archE906ELNS1_3gpuE6ELNS1_3repE0EEENS1_60segmented_radix_sort_warp_sort_medium_config_static_selectorELNS0_4arch9wavefront6targetE0EEEvSK_.has_recursion, 0
	.set _ZN7rocprim17ROCPRIM_400000_NS6detail17trampoline_kernelINS0_14default_configENS1_36segmented_radix_sort_config_selectorIhlEEZNS1_25segmented_radix_sort_implIS3_Lb1EPKhPhPKlPlN2at6native12_GLOBAL__N_18offset_tEEE10hipError_tPvRmT1_PNSt15iterator_traitsISK_E10value_typeET2_T3_PNSL_ISQ_E10value_typeET4_jRbjT5_SW_jjP12ihipStream_tbEUlT_E0_NS1_11comp_targetILNS1_3genE2ELNS1_11target_archE906ELNS1_3gpuE6ELNS1_3repE0EEENS1_60segmented_radix_sort_warp_sort_medium_config_static_selectorELNS0_4arch9wavefront6targetE0EEEvSK_.has_indirect_call, 0
	.section	.AMDGPU.csdata,"",@progbits
; Kernel info:
; codeLenInByte = 0
; TotalNumSgprs: 0
; NumVgprs: 0
; ScratchSize: 0
; MemoryBound: 0
; FloatMode: 240
; IeeeMode: 1
; LDSByteSize: 0 bytes/workgroup (compile time only)
; SGPRBlocks: 0
; VGPRBlocks: 0
; NumSGPRsForWavesPerEU: 1
; NumVGPRsForWavesPerEU: 1
; Occupancy: 16
; WaveLimiterHint : 0
; COMPUTE_PGM_RSRC2:SCRATCH_EN: 0
; COMPUTE_PGM_RSRC2:USER_SGPR: 6
; COMPUTE_PGM_RSRC2:TRAP_HANDLER: 0
; COMPUTE_PGM_RSRC2:TGID_X_EN: 1
; COMPUTE_PGM_RSRC2:TGID_Y_EN: 0
; COMPUTE_PGM_RSRC2:TGID_Z_EN: 0
; COMPUTE_PGM_RSRC2:TIDIG_COMP_CNT: 0
	.section	.text._ZN7rocprim17ROCPRIM_400000_NS6detail17trampoline_kernelINS0_14default_configENS1_36segmented_radix_sort_config_selectorIhlEEZNS1_25segmented_radix_sort_implIS3_Lb1EPKhPhPKlPlN2at6native12_GLOBAL__N_18offset_tEEE10hipError_tPvRmT1_PNSt15iterator_traitsISK_E10value_typeET2_T3_PNSL_ISQ_E10value_typeET4_jRbjT5_SW_jjP12ihipStream_tbEUlT_E0_NS1_11comp_targetILNS1_3genE10ELNS1_11target_archE1201ELNS1_3gpuE5ELNS1_3repE0EEENS1_60segmented_radix_sort_warp_sort_medium_config_static_selectorELNS0_4arch9wavefront6targetE0EEEvSK_,"axG",@progbits,_ZN7rocprim17ROCPRIM_400000_NS6detail17trampoline_kernelINS0_14default_configENS1_36segmented_radix_sort_config_selectorIhlEEZNS1_25segmented_radix_sort_implIS3_Lb1EPKhPhPKlPlN2at6native12_GLOBAL__N_18offset_tEEE10hipError_tPvRmT1_PNSt15iterator_traitsISK_E10value_typeET2_T3_PNSL_ISQ_E10value_typeET4_jRbjT5_SW_jjP12ihipStream_tbEUlT_E0_NS1_11comp_targetILNS1_3genE10ELNS1_11target_archE1201ELNS1_3gpuE5ELNS1_3repE0EEENS1_60segmented_radix_sort_warp_sort_medium_config_static_selectorELNS0_4arch9wavefront6targetE0EEEvSK_,comdat
	.globl	_ZN7rocprim17ROCPRIM_400000_NS6detail17trampoline_kernelINS0_14default_configENS1_36segmented_radix_sort_config_selectorIhlEEZNS1_25segmented_radix_sort_implIS3_Lb1EPKhPhPKlPlN2at6native12_GLOBAL__N_18offset_tEEE10hipError_tPvRmT1_PNSt15iterator_traitsISK_E10value_typeET2_T3_PNSL_ISQ_E10value_typeET4_jRbjT5_SW_jjP12ihipStream_tbEUlT_E0_NS1_11comp_targetILNS1_3genE10ELNS1_11target_archE1201ELNS1_3gpuE5ELNS1_3repE0EEENS1_60segmented_radix_sort_warp_sort_medium_config_static_selectorELNS0_4arch9wavefront6targetE0EEEvSK_ ; -- Begin function _ZN7rocprim17ROCPRIM_400000_NS6detail17trampoline_kernelINS0_14default_configENS1_36segmented_radix_sort_config_selectorIhlEEZNS1_25segmented_radix_sort_implIS3_Lb1EPKhPhPKlPlN2at6native12_GLOBAL__N_18offset_tEEE10hipError_tPvRmT1_PNSt15iterator_traitsISK_E10value_typeET2_T3_PNSL_ISQ_E10value_typeET4_jRbjT5_SW_jjP12ihipStream_tbEUlT_E0_NS1_11comp_targetILNS1_3genE10ELNS1_11target_archE1201ELNS1_3gpuE5ELNS1_3repE0EEENS1_60segmented_radix_sort_warp_sort_medium_config_static_selectorELNS0_4arch9wavefront6targetE0EEEvSK_
	.p2align	8
	.type	_ZN7rocprim17ROCPRIM_400000_NS6detail17trampoline_kernelINS0_14default_configENS1_36segmented_radix_sort_config_selectorIhlEEZNS1_25segmented_radix_sort_implIS3_Lb1EPKhPhPKlPlN2at6native12_GLOBAL__N_18offset_tEEE10hipError_tPvRmT1_PNSt15iterator_traitsISK_E10value_typeET2_T3_PNSL_ISQ_E10value_typeET4_jRbjT5_SW_jjP12ihipStream_tbEUlT_E0_NS1_11comp_targetILNS1_3genE10ELNS1_11target_archE1201ELNS1_3gpuE5ELNS1_3repE0EEENS1_60segmented_radix_sort_warp_sort_medium_config_static_selectorELNS0_4arch9wavefront6targetE0EEEvSK_,@function
_ZN7rocprim17ROCPRIM_400000_NS6detail17trampoline_kernelINS0_14default_configENS1_36segmented_radix_sort_config_selectorIhlEEZNS1_25segmented_radix_sort_implIS3_Lb1EPKhPhPKlPlN2at6native12_GLOBAL__N_18offset_tEEE10hipError_tPvRmT1_PNSt15iterator_traitsISK_E10value_typeET2_T3_PNSL_ISQ_E10value_typeET4_jRbjT5_SW_jjP12ihipStream_tbEUlT_E0_NS1_11comp_targetILNS1_3genE10ELNS1_11target_archE1201ELNS1_3gpuE5ELNS1_3repE0EEENS1_60segmented_radix_sort_warp_sort_medium_config_static_selectorELNS0_4arch9wavefront6targetE0EEEvSK_: ; @_ZN7rocprim17ROCPRIM_400000_NS6detail17trampoline_kernelINS0_14default_configENS1_36segmented_radix_sort_config_selectorIhlEEZNS1_25segmented_radix_sort_implIS3_Lb1EPKhPhPKlPlN2at6native12_GLOBAL__N_18offset_tEEE10hipError_tPvRmT1_PNSt15iterator_traitsISK_E10value_typeET2_T3_PNSL_ISQ_E10value_typeET4_jRbjT5_SW_jjP12ihipStream_tbEUlT_E0_NS1_11comp_targetILNS1_3genE10ELNS1_11target_archE1201ELNS1_3gpuE5ELNS1_3repE0EEENS1_60segmented_radix_sort_warp_sort_medium_config_static_selectorELNS0_4arch9wavefront6targetE0EEEvSK_
; %bb.0:
	.section	.rodata,"a",@progbits
	.p2align	6, 0x0
	.amdhsa_kernel _ZN7rocprim17ROCPRIM_400000_NS6detail17trampoline_kernelINS0_14default_configENS1_36segmented_radix_sort_config_selectorIhlEEZNS1_25segmented_radix_sort_implIS3_Lb1EPKhPhPKlPlN2at6native12_GLOBAL__N_18offset_tEEE10hipError_tPvRmT1_PNSt15iterator_traitsISK_E10value_typeET2_T3_PNSL_ISQ_E10value_typeET4_jRbjT5_SW_jjP12ihipStream_tbEUlT_E0_NS1_11comp_targetILNS1_3genE10ELNS1_11target_archE1201ELNS1_3gpuE5ELNS1_3repE0EEENS1_60segmented_radix_sort_warp_sort_medium_config_static_selectorELNS0_4arch9wavefront6targetE0EEEvSK_
		.amdhsa_group_segment_fixed_size 0
		.amdhsa_private_segment_fixed_size 0
		.amdhsa_kernarg_size 88
		.amdhsa_user_sgpr_count 6
		.amdhsa_user_sgpr_private_segment_buffer 1
		.amdhsa_user_sgpr_dispatch_ptr 0
		.amdhsa_user_sgpr_queue_ptr 0
		.amdhsa_user_sgpr_kernarg_segment_ptr 1
		.amdhsa_user_sgpr_dispatch_id 0
		.amdhsa_user_sgpr_flat_scratch_init 0
		.amdhsa_user_sgpr_private_segment_size 0
		.amdhsa_wavefront_size32 1
		.amdhsa_uses_dynamic_stack 0
		.amdhsa_system_sgpr_private_segment_wavefront_offset 0
		.amdhsa_system_sgpr_workgroup_id_x 1
		.amdhsa_system_sgpr_workgroup_id_y 0
		.amdhsa_system_sgpr_workgroup_id_z 0
		.amdhsa_system_sgpr_workgroup_info 0
		.amdhsa_system_vgpr_workitem_id 0
		.amdhsa_next_free_vgpr 1
		.amdhsa_next_free_sgpr 1
		.amdhsa_reserve_vcc 0
		.amdhsa_reserve_flat_scratch 0
		.amdhsa_float_round_mode_32 0
		.amdhsa_float_round_mode_16_64 0
		.amdhsa_float_denorm_mode_32 3
		.amdhsa_float_denorm_mode_16_64 3
		.amdhsa_dx10_clamp 1
		.amdhsa_ieee_mode 1
		.amdhsa_fp16_overflow 0
		.amdhsa_workgroup_processor_mode 1
		.amdhsa_memory_ordered 1
		.amdhsa_forward_progress 1
		.amdhsa_shared_vgpr_count 0
		.amdhsa_exception_fp_ieee_invalid_op 0
		.amdhsa_exception_fp_denorm_src 0
		.amdhsa_exception_fp_ieee_div_zero 0
		.amdhsa_exception_fp_ieee_overflow 0
		.amdhsa_exception_fp_ieee_underflow 0
		.amdhsa_exception_fp_ieee_inexact 0
		.amdhsa_exception_int_div_zero 0
	.end_amdhsa_kernel
	.section	.text._ZN7rocprim17ROCPRIM_400000_NS6detail17trampoline_kernelINS0_14default_configENS1_36segmented_radix_sort_config_selectorIhlEEZNS1_25segmented_radix_sort_implIS3_Lb1EPKhPhPKlPlN2at6native12_GLOBAL__N_18offset_tEEE10hipError_tPvRmT1_PNSt15iterator_traitsISK_E10value_typeET2_T3_PNSL_ISQ_E10value_typeET4_jRbjT5_SW_jjP12ihipStream_tbEUlT_E0_NS1_11comp_targetILNS1_3genE10ELNS1_11target_archE1201ELNS1_3gpuE5ELNS1_3repE0EEENS1_60segmented_radix_sort_warp_sort_medium_config_static_selectorELNS0_4arch9wavefront6targetE0EEEvSK_,"axG",@progbits,_ZN7rocprim17ROCPRIM_400000_NS6detail17trampoline_kernelINS0_14default_configENS1_36segmented_radix_sort_config_selectorIhlEEZNS1_25segmented_radix_sort_implIS3_Lb1EPKhPhPKlPlN2at6native12_GLOBAL__N_18offset_tEEE10hipError_tPvRmT1_PNSt15iterator_traitsISK_E10value_typeET2_T3_PNSL_ISQ_E10value_typeET4_jRbjT5_SW_jjP12ihipStream_tbEUlT_E0_NS1_11comp_targetILNS1_3genE10ELNS1_11target_archE1201ELNS1_3gpuE5ELNS1_3repE0EEENS1_60segmented_radix_sort_warp_sort_medium_config_static_selectorELNS0_4arch9wavefront6targetE0EEEvSK_,comdat
.Lfunc_end98:
	.size	_ZN7rocprim17ROCPRIM_400000_NS6detail17trampoline_kernelINS0_14default_configENS1_36segmented_radix_sort_config_selectorIhlEEZNS1_25segmented_radix_sort_implIS3_Lb1EPKhPhPKlPlN2at6native12_GLOBAL__N_18offset_tEEE10hipError_tPvRmT1_PNSt15iterator_traitsISK_E10value_typeET2_T3_PNSL_ISQ_E10value_typeET4_jRbjT5_SW_jjP12ihipStream_tbEUlT_E0_NS1_11comp_targetILNS1_3genE10ELNS1_11target_archE1201ELNS1_3gpuE5ELNS1_3repE0EEENS1_60segmented_radix_sort_warp_sort_medium_config_static_selectorELNS0_4arch9wavefront6targetE0EEEvSK_, .Lfunc_end98-_ZN7rocprim17ROCPRIM_400000_NS6detail17trampoline_kernelINS0_14default_configENS1_36segmented_radix_sort_config_selectorIhlEEZNS1_25segmented_radix_sort_implIS3_Lb1EPKhPhPKlPlN2at6native12_GLOBAL__N_18offset_tEEE10hipError_tPvRmT1_PNSt15iterator_traitsISK_E10value_typeET2_T3_PNSL_ISQ_E10value_typeET4_jRbjT5_SW_jjP12ihipStream_tbEUlT_E0_NS1_11comp_targetILNS1_3genE10ELNS1_11target_archE1201ELNS1_3gpuE5ELNS1_3repE0EEENS1_60segmented_radix_sort_warp_sort_medium_config_static_selectorELNS0_4arch9wavefront6targetE0EEEvSK_
                                        ; -- End function
	.set _ZN7rocprim17ROCPRIM_400000_NS6detail17trampoline_kernelINS0_14default_configENS1_36segmented_radix_sort_config_selectorIhlEEZNS1_25segmented_radix_sort_implIS3_Lb1EPKhPhPKlPlN2at6native12_GLOBAL__N_18offset_tEEE10hipError_tPvRmT1_PNSt15iterator_traitsISK_E10value_typeET2_T3_PNSL_ISQ_E10value_typeET4_jRbjT5_SW_jjP12ihipStream_tbEUlT_E0_NS1_11comp_targetILNS1_3genE10ELNS1_11target_archE1201ELNS1_3gpuE5ELNS1_3repE0EEENS1_60segmented_radix_sort_warp_sort_medium_config_static_selectorELNS0_4arch9wavefront6targetE0EEEvSK_.num_vgpr, 0
	.set _ZN7rocprim17ROCPRIM_400000_NS6detail17trampoline_kernelINS0_14default_configENS1_36segmented_radix_sort_config_selectorIhlEEZNS1_25segmented_radix_sort_implIS3_Lb1EPKhPhPKlPlN2at6native12_GLOBAL__N_18offset_tEEE10hipError_tPvRmT1_PNSt15iterator_traitsISK_E10value_typeET2_T3_PNSL_ISQ_E10value_typeET4_jRbjT5_SW_jjP12ihipStream_tbEUlT_E0_NS1_11comp_targetILNS1_3genE10ELNS1_11target_archE1201ELNS1_3gpuE5ELNS1_3repE0EEENS1_60segmented_radix_sort_warp_sort_medium_config_static_selectorELNS0_4arch9wavefront6targetE0EEEvSK_.num_agpr, 0
	.set _ZN7rocprim17ROCPRIM_400000_NS6detail17trampoline_kernelINS0_14default_configENS1_36segmented_radix_sort_config_selectorIhlEEZNS1_25segmented_radix_sort_implIS3_Lb1EPKhPhPKlPlN2at6native12_GLOBAL__N_18offset_tEEE10hipError_tPvRmT1_PNSt15iterator_traitsISK_E10value_typeET2_T3_PNSL_ISQ_E10value_typeET4_jRbjT5_SW_jjP12ihipStream_tbEUlT_E0_NS1_11comp_targetILNS1_3genE10ELNS1_11target_archE1201ELNS1_3gpuE5ELNS1_3repE0EEENS1_60segmented_radix_sort_warp_sort_medium_config_static_selectorELNS0_4arch9wavefront6targetE0EEEvSK_.numbered_sgpr, 0
	.set _ZN7rocprim17ROCPRIM_400000_NS6detail17trampoline_kernelINS0_14default_configENS1_36segmented_radix_sort_config_selectorIhlEEZNS1_25segmented_radix_sort_implIS3_Lb1EPKhPhPKlPlN2at6native12_GLOBAL__N_18offset_tEEE10hipError_tPvRmT1_PNSt15iterator_traitsISK_E10value_typeET2_T3_PNSL_ISQ_E10value_typeET4_jRbjT5_SW_jjP12ihipStream_tbEUlT_E0_NS1_11comp_targetILNS1_3genE10ELNS1_11target_archE1201ELNS1_3gpuE5ELNS1_3repE0EEENS1_60segmented_radix_sort_warp_sort_medium_config_static_selectorELNS0_4arch9wavefront6targetE0EEEvSK_.num_named_barrier, 0
	.set _ZN7rocprim17ROCPRIM_400000_NS6detail17trampoline_kernelINS0_14default_configENS1_36segmented_radix_sort_config_selectorIhlEEZNS1_25segmented_radix_sort_implIS3_Lb1EPKhPhPKlPlN2at6native12_GLOBAL__N_18offset_tEEE10hipError_tPvRmT1_PNSt15iterator_traitsISK_E10value_typeET2_T3_PNSL_ISQ_E10value_typeET4_jRbjT5_SW_jjP12ihipStream_tbEUlT_E0_NS1_11comp_targetILNS1_3genE10ELNS1_11target_archE1201ELNS1_3gpuE5ELNS1_3repE0EEENS1_60segmented_radix_sort_warp_sort_medium_config_static_selectorELNS0_4arch9wavefront6targetE0EEEvSK_.private_seg_size, 0
	.set _ZN7rocprim17ROCPRIM_400000_NS6detail17trampoline_kernelINS0_14default_configENS1_36segmented_radix_sort_config_selectorIhlEEZNS1_25segmented_radix_sort_implIS3_Lb1EPKhPhPKlPlN2at6native12_GLOBAL__N_18offset_tEEE10hipError_tPvRmT1_PNSt15iterator_traitsISK_E10value_typeET2_T3_PNSL_ISQ_E10value_typeET4_jRbjT5_SW_jjP12ihipStream_tbEUlT_E0_NS1_11comp_targetILNS1_3genE10ELNS1_11target_archE1201ELNS1_3gpuE5ELNS1_3repE0EEENS1_60segmented_radix_sort_warp_sort_medium_config_static_selectorELNS0_4arch9wavefront6targetE0EEEvSK_.uses_vcc, 0
	.set _ZN7rocprim17ROCPRIM_400000_NS6detail17trampoline_kernelINS0_14default_configENS1_36segmented_radix_sort_config_selectorIhlEEZNS1_25segmented_radix_sort_implIS3_Lb1EPKhPhPKlPlN2at6native12_GLOBAL__N_18offset_tEEE10hipError_tPvRmT1_PNSt15iterator_traitsISK_E10value_typeET2_T3_PNSL_ISQ_E10value_typeET4_jRbjT5_SW_jjP12ihipStream_tbEUlT_E0_NS1_11comp_targetILNS1_3genE10ELNS1_11target_archE1201ELNS1_3gpuE5ELNS1_3repE0EEENS1_60segmented_radix_sort_warp_sort_medium_config_static_selectorELNS0_4arch9wavefront6targetE0EEEvSK_.uses_flat_scratch, 0
	.set _ZN7rocprim17ROCPRIM_400000_NS6detail17trampoline_kernelINS0_14default_configENS1_36segmented_radix_sort_config_selectorIhlEEZNS1_25segmented_radix_sort_implIS3_Lb1EPKhPhPKlPlN2at6native12_GLOBAL__N_18offset_tEEE10hipError_tPvRmT1_PNSt15iterator_traitsISK_E10value_typeET2_T3_PNSL_ISQ_E10value_typeET4_jRbjT5_SW_jjP12ihipStream_tbEUlT_E0_NS1_11comp_targetILNS1_3genE10ELNS1_11target_archE1201ELNS1_3gpuE5ELNS1_3repE0EEENS1_60segmented_radix_sort_warp_sort_medium_config_static_selectorELNS0_4arch9wavefront6targetE0EEEvSK_.has_dyn_sized_stack, 0
	.set _ZN7rocprim17ROCPRIM_400000_NS6detail17trampoline_kernelINS0_14default_configENS1_36segmented_radix_sort_config_selectorIhlEEZNS1_25segmented_radix_sort_implIS3_Lb1EPKhPhPKlPlN2at6native12_GLOBAL__N_18offset_tEEE10hipError_tPvRmT1_PNSt15iterator_traitsISK_E10value_typeET2_T3_PNSL_ISQ_E10value_typeET4_jRbjT5_SW_jjP12ihipStream_tbEUlT_E0_NS1_11comp_targetILNS1_3genE10ELNS1_11target_archE1201ELNS1_3gpuE5ELNS1_3repE0EEENS1_60segmented_radix_sort_warp_sort_medium_config_static_selectorELNS0_4arch9wavefront6targetE0EEEvSK_.has_recursion, 0
	.set _ZN7rocprim17ROCPRIM_400000_NS6detail17trampoline_kernelINS0_14default_configENS1_36segmented_radix_sort_config_selectorIhlEEZNS1_25segmented_radix_sort_implIS3_Lb1EPKhPhPKlPlN2at6native12_GLOBAL__N_18offset_tEEE10hipError_tPvRmT1_PNSt15iterator_traitsISK_E10value_typeET2_T3_PNSL_ISQ_E10value_typeET4_jRbjT5_SW_jjP12ihipStream_tbEUlT_E0_NS1_11comp_targetILNS1_3genE10ELNS1_11target_archE1201ELNS1_3gpuE5ELNS1_3repE0EEENS1_60segmented_radix_sort_warp_sort_medium_config_static_selectorELNS0_4arch9wavefront6targetE0EEEvSK_.has_indirect_call, 0
	.section	.AMDGPU.csdata,"",@progbits
; Kernel info:
; codeLenInByte = 0
; TotalNumSgprs: 0
; NumVgprs: 0
; ScratchSize: 0
; MemoryBound: 0
; FloatMode: 240
; IeeeMode: 1
; LDSByteSize: 0 bytes/workgroup (compile time only)
; SGPRBlocks: 0
; VGPRBlocks: 0
; NumSGPRsForWavesPerEU: 1
; NumVGPRsForWavesPerEU: 1
; Occupancy: 16
; WaveLimiterHint : 0
; COMPUTE_PGM_RSRC2:SCRATCH_EN: 0
; COMPUTE_PGM_RSRC2:USER_SGPR: 6
; COMPUTE_PGM_RSRC2:TRAP_HANDLER: 0
; COMPUTE_PGM_RSRC2:TGID_X_EN: 1
; COMPUTE_PGM_RSRC2:TGID_Y_EN: 0
; COMPUTE_PGM_RSRC2:TGID_Z_EN: 0
; COMPUTE_PGM_RSRC2:TIDIG_COMP_CNT: 0
	.section	.text._ZN7rocprim17ROCPRIM_400000_NS6detail17trampoline_kernelINS0_14default_configENS1_36segmented_radix_sort_config_selectorIhlEEZNS1_25segmented_radix_sort_implIS3_Lb1EPKhPhPKlPlN2at6native12_GLOBAL__N_18offset_tEEE10hipError_tPvRmT1_PNSt15iterator_traitsISK_E10value_typeET2_T3_PNSL_ISQ_E10value_typeET4_jRbjT5_SW_jjP12ihipStream_tbEUlT_E0_NS1_11comp_targetILNS1_3genE10ELNS1_11target_archE1200ELNS1_3gpuE4ELNS1_3repE0EEENS1_60segmented_radix_sort_warp_sort_medium_config_static_selectorELNS0_4arch9wavefront6targetE0EEEvSK_,"axG",@progbits,_ZN7rocprim17ROCPRIM_400000_NS6detail17trampoline_kernelINS0_14default_configENS1_36segmented_radix_sort_config_selectorIhlEEZNS1_25segmented_radix_sort_implIS3_Lb1EPKhPhPKlPlN2at6native12_GLOBAL__N_18offset_tEEE10hipError_tPvRmT1_PNSt15iterator_traitsISK_E10value_typeET2_T3_PNSL_ISQ_E10value_typeET4_jRbjT5_SW_jjP12ihipStream_tbEUlT_E0_NS1_11comp_targetILNS1_3genE10ELNS1_11target_archE1200ELNS1_3gpuE4ELNS1_3repE0EEENS1_60segmented_radix_sort_warp_sort_medium_config_static_selectorELNS0_4arch9wavefront6targetE0EEEvSK_,comdat
	.globl	_ZN7rocprim17ROCPRIM_400000_NS6detail17trampoline_kernelINS0_14default_configENS1_36segmented_radix_sort_config_selectorIhlEEZNS1_25segmented_radix_sort_implIS3_Lb1EPKhPhPKlPlN2at6native12_GLOBAL__N_18offset_tEEE10hipError_tPvRmT1_PNSt15iterator_traitsISK_E10value_typeET2_T3_PNSL_ISQ_E10value_typeET4_jRbjT5_SW_jjP12ihipStream_tbEUlT_E0_NS1_11comp_targetILNS1_3genE10ELNS1_11target_archE1200ELNS1_3gpuE4ELNS1_3repE0EEENS1_60segmented_radix_sort_warp_sort_medium_config_static_selectorELNS0_4arch9wavefront6targetE0EEEvSK_ ; -- Begin function _ZN7rocprim17ROCPRIM_400000_NS6detail17trampoline_kernelINS0_14default_configENS1_36segmented_radix_sort_config_selectorIhlEEZNS1_25segmented_radix_sort_implIS3_Lb1EPKhPhPKlPlN2at6native12_GLOBAL__N_18offset_tEEE10hipError_tPvRmT1_PNSt15iterator_traitsISK_E10value_typeET2_T3_PNSL_ISQ_E10value_typeET4_jRbjT5_SW_jjP12ihipStream_tbEUlT_E0_NS1_11comp_targetILNS1_3genE10ELNS1_11target_archE1200ELNS1_3gpuE4ELNS1_3repE0EEENS1_60segmented_radix_sort_warp_sort_medium_config_static_selectorELNS0_4arch9wavefront6targetE0EEEvSK_
	.p2align	8
	.type	_ZN7rocprim17ROCPRIM_400000_NS6detail17trampoline_kernelINS0_14default_configENS1_36segmented_radix_sort_config_selectorIhlEEZNS1_25segmented_radix_sort_implIS3_Lb1EPKhPhPKlPlN2at6native12_GLOBAL__N_18offset_tEEE10hipError_tPvRmT1_PNSt15iterator_traitsISK_E10value_typeET2_T3_PNSL_ISQ_E10value_typeET4_jRbjT5_SW_jjP12ihipStream_tbEUlT_E0_NS1_11comp_targetILNS1_3genE10ELNS1_11target_archE1200ELNS1_3gpuE4ELNS1_3repE0EEENS1_60segmented_radix_sort_warp_sort_medium_config_static_selectorELNS0_4arch9wavefront6targetE0EEEvSK_,@function
_ZN7rocprim17ROCPRIM_400000_NS6detail17trampoline_kernelINS0_14default_configENS1_36segmented_radix_sort_config_selectorIhlEEZNS1_25segmented_radix_sort_implIS3_Lb1EPKhPhPKlPlN2at6native12_GLOBAL__N_18offset_tEEE10hipError_tPvRmT1_PNSt15iterator_traitsISK_E10value_typeET2_T3_PNSL_ISQ_E10value_typeET4_jRbjT5_SW_jjP12ihipStream_tbEUlT_E0_NS1_11comp_targetILNS1_3genE10ELNS1_11target_archE1200ELNS1_3gpuE4ELNS1_3repE0EEENS1_60segmented_radix_sort_warp_sort_medium_config_static_selectorELNS0_4arch9wavefront6targetE0EEEvSK_: ; @_ZN7rocprim17ROCPRIM_400000_NS6detail17trampoline_kernelINS0_14default_configENS1_36segmented_radix_sort_config_selectorIhlEEZNS1_25segmented_radix_sort_implIS3_Lb1EPKhPhPKlPlN2at6native12_GLOBAL__N_18offset_tEEE10hipError_tPvRmT1_PNSt15iterator_traitsISK_E10value_typeET2_T3_PNSL_ISQ_E10value_typeET4_jRbjT5_SW_jjP12ihipStream_tbEUlT_E0_NS1_11comp_targetILNS1_3genE10ELNS1_11target_archE1200ELNS1_3gpuE4ELNS1_3repE0EEENS1_60segmented_radix_sort_warp_sort_medium_config_static_selectorELNS0_4arch9wavefront6targetE0EEEvSK_
; %bb.0:
	.section	.rodata,"a",@progbits
	.p2align	6, 0x0
	.amdhsa_kernel _ZN7rocprim17ROCPRIM_400000_NS6detail17trampoline_kernelINS0_14default_configENS1_36segmented_radix_sort_config_selectorIhlEEZNS1_25segmented_radix_sort_implIS3_Lb1EPKhPhPKlPlN2at6native12_GLOBAL__N_18offset_tEEE10hipError_tPvRmT1_PNSt15iterator_traitsISK_E10value_typeET2_T3_PNSL_ISQ_E10value_typeET4_jRbjT5_SW_jjP12ihipStream_tbEUlT_E0_NS1_11comp_targetILNS1_3genE10ELNS1_11target_archE1200ELNS1_3gpuE4ELNS1_3repE0EEENS1_60segmented_radix_sort_warp_sort_medium_config_static_selectorELNS0_4arch9wavefront6targetE0EEEvSK_
		.amdhsa_group_segment_fixed_size 0
		.amdhsa_private_segment_fixed_size 0
		.amdhsa_kernarg_size 88
		.amdhsa_user_sgpr_count 6
		.amdhsa_user_sgpr_private_segment_buffer 1
		.amdhsa_user_sgpr_dispatch_ptr 0
		.amdhsa_user_sgpr_queue_ptr 0
		.amdhsa_user_sgpr_kernarg_segment_ptr 1
		.amdhsa_user_sgpr_dispatch_id 0
		.amdhsa_user_sgpr_flat_scratch_init 0
		.amdhsa_user_sgpr_private_segment_size 0
		.amdhsa_wavefront_size32 1
		.amdhsa_uses_dynamic_stack 0
		.amdhsa_system_sgpr_private_segment_wavefront_offset 0
		.amdhsa_system_sgpr_workgroup_id_x 1
		.amdhsa_system_sgpr_workgroup_id_y 0
		.amdhsa_system_sgpr_workgroup_id_z 0
		.amdhsa_system_sgpr_workgroup_info 0
		.amdhsa_system_vgpr_workitem_id 0
		.amdhsa_next_free_vgpr 1
		.amdhsa_next_free_sgpr 1
		.amdhsa_reserve_vcc 0
		.amdhsa_reserve_flat_scratch 0
		.amdhsa_float_round_mode_32 0
		.amdhsa_float_round_mode_16_64 0
		.amdhsa_float_denorm_mode_32 3
		.amdhsa_float_denorm_mode_16_64 3
		.amdhsa_dx10_clamp 1
		.amdhsa_ieee_mode 1
		.amdhsa_fp16_overflow 0
		.amdhsa_workgroup_processor_mode 1
		.amdhsa_memory_ordered 1
		.amdhsa_forward_progress 1
		.amdhsa_shared_vgpr_count 0
		.amdhsa_exception_fp_ieee_invalid_op 0
		.amdhsa_exception_fp_denorm_src 0
		.amdhsa_exception_fp_ieee_div_zero 0
		.amdhsa_exception_fp_ieee_overflow 0
		.amdhsa_exception_fp_ieee_underflow 0
		.amdhsa_exception_fp_ieee_inexact 0
		.amdhsa_exception_int_div_zero 0
	.end_amdhsa_kernel
	.section	.text._ZN7rocprim17ROCPRIM_400000_NS6detail17trampoline_kernelINS0_14default_configENS1_36segmented_radix_sort_config_selectorIhlEEZNS1_25segmented_radix_sort_implIS3_Lb1EPKhPhPKlPlN2at6native12_GLOBAL__N_18offset_tEEE10hipError_tPvRmT1_PNSt15iterator_traitsISK_E10value_typeET2_T3_PNSL_ISQ_E10value_typeET4_jRbjT5_SW_jjP12ihipStream_tbEUlT_E0_NS1_11comp_targetILNS1_3genE10ELNS1_11target_archE1200ELNS1_3gpuE4ELNS1_3repE0EEENS1_60segmented_radix_sort_warp_sort_medium_config_static_selectorELNS0_4arch9wavefront6targetE0EEEvSK_,"axG",@progbits,_ZN7rocprim17ROCPRIM_400000_NS6detail17trampoline_kernelINS0_14default_configENS1_36segmented_radix_sort_config_selectorIhlEEZNS1_25segmented_radix_sort_implIS3_Lb1EPKhPhPKlPlN2at6native12_GLOBAL__N_18offset_tEEE10hipError_tPvRmT1_PNSt15iterator_traitsISK_E10value_typeET2_T3_PNSL_ISQ_E10value_typeET4_jRbjT5_SW_jjP12ihipStream_tbEUlT_E0_NS1_11comp_targetILNS1_3genE10ELNS1_11target_archE1200ELNS1_3gpuE4ELNS1_3repE0EEENS1_60segmented_radix_sort_warp_sort_medium_config_static_selectorELNS0_4arch9wavefront6targetE0EEEvSK_,comdat
.Lfunc_end99:
	.size	_ZN7rocprim17ROCPRIM_400000_NS6detail17trampoline_kernelINS0_14default_configENS1_36segmented_radix_sort_config_selectorIhlEEZNS1_25segmented_radix_sort_implIS3_Lb1EPKhPhPKlPlN2at6native12_GLOBAL__N_18offset_tEEE10hipError_tPvRmT1_PNSt15iterator_traitsISK_E10value_typeET2_T3_PNSL_ISQ_E10value_typeET4_jRbjT5_SW_jjP12ihipStream_tbEUlT_E0_NS1_11comp_targetILNS1_3genE10ELNS1_11target_archE1200ELNS1_3gpuE4ELNS1_3repE0EEENS1_60segmented_radix_sort_warp_sort_medium_config_static_selectorELNS0_4arch9wavefront6targetE0EEEvSK_, .Lfunc_end99-_ZN7rocprim17ROCPRIM_400000_NS6detail17trampoline_kernelINS0_14default_configENS1_36segmented_radix_sort_config_selectorIhlEEZNS1_25segmented_radix_sort_implIS3_Lb1EPKhPhPKlPlN2at6native12_GLOBAL__N_18offset_tEEE10hipError_tPvRmT1_PNSt15iterator_traitsISK_E10value_typeET2_T3_PNSL_ISQ_E10value_typeET4_jRbjT5_SW_jjP12ihipStream_tbEUlT_E0_NS1_11comp_targetILNS1_3genE10ELNS1_11target_archE1200ELNS1_3gpuE4ELNS1_3repE0EEENS1_60segmented_radix_sort_warp_sort_medium_config_static_selectorELNS0_4arch9wavefront6targetE0EEEvSK_
                                        ; -- End function
	.set _ZN7rocprim17ROCPRIM_400000_NS6detail17trampoline_kernelINS0_14default_configENS1_36segmented_radix_sort_config_selectorIhlEEZNS1_25segmented_radix_sort_implIS3_Lb1EPKhPhPKlPlN2at6native12_GLOBAL__N_18offset_tEEE10hipError_tPvRmT1_PNSt15iterator_traitsISK_E10value_typeET2_T3_PNSL_ISQ_E10value_typeET4_jRbjT5_SW_jjP12ihipStream_tbEUlT_E0_NS1_11comp_targetILNS1_3genE10ELNS1_11target_archE1200ELNS1_3gpuE4ELNS1_3repE0EEENS1_60segmented_radix_sort_warp_sort_medium_config_static_selectorELNS0_4arch9wavefront6targetE0EEEvSK_.num_vgpr, 0
	.set _ZN7rocprim17ROCPRIM_400000_NS6detail17trampoline_kernelINS0_14default_configENS1_36segmented_radix_sort_config_selectorIhlEEZNS1_25segmented_radix_sort_implIS3_Lb1EPKhPhPKlPlN2at6native12_GLOBAL__N_18offset_tEEE10hipError_tPvRmT1_PNSt15iterator_traitsISK_E10value_typeET2_T3_PNSL_ISQ_E10value_typeET4_jRbjT5_SW_jjP12ihipStream_tbEUlT_E0_NS1_11comp_targetILNS1_3genE10ELNS1_11target_archE1200ELNS1_3gpuE4ELNS1_3repE0EEENS1_60segmented_radix_sort_warp_sort_medium_config_static_selectorELNS0_4arch9wavefront6targetE0EEEvSK_.num_agpr, 0
	.set _ZN7rocprim17ROCPRIM_400000_NS6detail17trampoline_kernelINS0_14default_configENS1_36segmented_radix_sort_config_selectorIhlEEZNS1_25segmented_radix_sort_implIS3_Lb1EPKhPhPKlPlN2at6native12_GLOBAL__N_18offset_tEEE10hipError_tPvRmT1_PNSt15iterator_traitsISK_E10value_typeET2_T3_PNSL_ISQ_E10value_typeET4_jRbjT5_SW_jjP12ihipStream_tbEUlT_E0_NS1_11comp_targetILNS1_3genE10ELNS1_11target_archE1200ELNS1_3gpuE4ELNS1_3repE0EEENS1_60segmented_radix_sort_warp_sort_medium_config_static_selectorELNS0_4arch9wavefront6targetE0EEEvSK_.numbered_sgpr, 0
	.set _ZN7rocprim17ROCPRIM_400000_NS6detail17trampoline_kernelINS0_14default_configENS1_36segmented_radix_sort_config_selectorIhlEEZNS1_25segmented_radix_sort_implIS3_Lb1EPKhPhPKlPlN2at6native12_GLOBAL__N_18offset_tEEE10hipError_tPvRmT1_PNSt15iterator_traitsISK_E10value_typeET2_T3_PNSL_ISQ_E10value_typeET4_jRbjT5_SW_jjP12ihipStream_tbEUlT_E0_NS1_11comp_targetILNS1_3genE10ELNS1_11target_archE1200ELNS1_3gpuE4ELNS1_3repE0EEENS1_60segmented_radix_sort_warp_sort_medium_config_static_selectorELNS0_4arch9wavefront6targetE0EEEvSK_.num_named_barrier, 0
	.set _ZN7rocprim17ROCPRIM_400000_NS6detail17trampoline_kernelINS0_14default_configENS1_36segmented_radix_sort_config_selectorIhlEEZNS1_25segmented_radix_sort_implIS3_Lb1EPKhPhPKlPlN2at6native12_GLOBAL__N_18offset_tEEE10hipError_tPvRmT1_PNSt15iterator_traitsISK_E10value_typeET2_T3_PNSL_ISQ_E10value_typeET4_jRbjT5_SW_jjP12ihipStream_tbEUlT_E0_NS1_11comp_targetILNS1_3genE10ELNS1_11target_archE1200ELNS1_3gpuE4ELNS1_3repE0EEENS1_60segmented_radix_sort_warp_sort_medium_config_static_selectorELNS0_4arch9wavefront6targetE0EEEvSK_.private_seg_size, 0
	.set _ZN7rocprim17ROCPRIM_400000_NS6detail17trampoline_kernelINS0_14default_configENS1_36segmented_radix_sort_config_selectorIhlEEZNS1_25segmented_radix_sort_implIS3_Lb1EPKhPhPKlPlN2at6native12_GLOBAL__N_18offset_tEEE10hipError_tPvRmT1_PNSt15iterator_traitsISK_E10value_typeET2_T3_PNSL_ISQ_E10value_typeET4_jRbjT5_SW_jjP12ihipStream_tbEUlT_E0_NS1_11comp_targetILNS1_3genE10ELNS1_11target_archE1200ELNS1_3gpuE4ELNS1_3repE0EEENS1_60segmented_radix_sort_warp_sort_medium_config_static_selectorELNS0_4arch9wavefront6targetE0EEEvSK_.uses_vcc, 0
	.set _ZN7rocprim17ROCPRIM_400000_NS6detail17trampoline_kernelINS0_14default_configENS1_36segmented_radix_sort_config_selectorIhlEEZNS1_25segmented_radix_sort_implIS3_Lb1EPKhPhPKlPlN2at6native12_GLOBAL__N_18offset_tEEE10hipError_tPvRmT1_PNSt15iterator_traitsISK_E10value_typeET2_T3_PNSL_ISQ_E10value_typeET4_jRbjT5_SW_jjP12ihipStream_tbEUlT_E0_NS1_11comp_targetILNS1_3genE10ELNS1_11target_archE1200ELNS1_3gpuE4ELNS1_3repE0EEENS1_60segmented_radix_sort_warp_sort_medium_config_static_selectorELNS0_4arch9wavefront6targetE0EEEvSK_.uses_flat_scratch, 0
	.set _ZN7rocprim17ROCPRIM_400000_NS6detail17trampoline_kernelINS0_14default_configENS1_36segmented_radix_sort_config_selectorIhlEEZNS1_25segmented_radix_sort_implIS3_Lb1EPKhPhPKlPlN2at6native12_GLOBAL__N_18offset_tEEE10hipError_tPvRmT1_PNSt15iterator_traitsISK_E10value_typeET2_T3_PNSL_ISQ_E10value_typeET4_jRbjT5_SW_jjP12ihipStream_tbEUlT_E0_NS1_11comp_targetILNS1_3genE10ELNS1_11target_archE1200ELNS1_3gpuE4ELNS1_3repE0EEENS1_60segmented_radix_sort_warp_sort_medium_config_static_selectorELNS0_4arch9wavefront6targetE0EEEvSK_.has_dyn_sized_stack, 0
	.set _ZN7rocprim17ROCPRIM_400000_NS6detail17trampoline_kernelINS0_14default_configENS1_36segmented_radix_sort_config_selectorIhlEEZNS1_25segmented_radix_sort_implIS3_Lb1EPKhPhPKlPlN2at6native12_GLOBAL__N_18offset_tEEE10hipError_tPvRmT1_PNSt15iterator_traitsISK_E10value_typeET2_T3_PNSL_ISQ_E10value_typeET4_jRbjT5_SW_jjP12ihipStream_tbEUlT_E0_NS1_11comp_targetILNS1_3genE10ELNS1_11target_archE1200ELNS1_3gpuE4ELNS1_3repE0EEENS1_60segmented_radix_sort_warp_sort_medium_config_static_selectorELNS0_4arch9wavefront6targetE0EEEvSK_.has_recursion, 0
	.set _ZN7rocprim17ROCPRIM_400000_NS6detail17trampoline_kernelINS0_14default_configENS1_36segmented_radix_sort_config_selectorIhlEEZNS1_25segmented_radix_sort_implIS3_Lb1EPKhPhPKlPlN2at6native12_GLOBAL__N_18offset_tEEE10hipError_tPvRmT1_PNSt15iterator_traitsISK_E10value_typeET2_T3_PNSL_ISQ_E10value_typeET4_jRbjT5_SW_jjP12ihipStream_tbEUlT_E0_NS1_11comp_targetILNS1_3genE10ELNS1_11target_archE1200ELNS1_3gpuE4ELNS1_3repE0EEENS1_60segmented_radix_sort_warp_sort_medium_config_static_selectorELNS0_4arch9wavefront6targetE0EEEvSK_.has_indirect_call, 0
	.section	.AMDGPU.csdata,"",@progbits
; Kernel info:
; codeLenInByte = 0
; TotalNumSgprs: 0
; NumVgprs: 0
; ScratchSize: 0
; MemoryBound: 0
; FloatMode: 240
; IeeeMode: 1
; LDSByteSize: 0 bytes/workgroup (compile time only)
; SGPRBlocks: 0
; VGPRBlocks: 0
; NumSGPRsForWavesPerEU: 1
; NumVGPRsForWavesPerEU: 1
; Occupancy: 16
; WaveLimiterHint : 0
; COMPUTE_PGM_RSRC2:SCRATCH_EN: 0
; COMPUTE_PGM_RSRC2:USER_SGPR: 6
; COMPUTE_PGM_RSRC2:TRAP_HANDLER: 0
; COMPUTE_PGM_RSRC2:TGID_X_EN: 1
; COMPUTE_PGM_RSRC2:TGID_Y_EN: 0
; COMPUTE_PGM_RSRC2:TGID_Z_EN: 0
; COMPUTE_PGM_RSRC2:TIDIG_COMP_CNT: 0
	.section	.text._ZN7rocprim17ROCPRIM_400000_NS6detail17trampoline_kernelINS0_14default_configENS1_36segmented_radix_sort_config_selectorIhlEEZNS1_25segmented_radix_sort_implIS3_Lb1EPKhPhPKlPlN2at6native12_GLOBAL__N_18offset_tEEE10hipError_tPvRmT1_PNSt15iterator_traitsISK_E10value_typeET2_T3_PNSL_ISQ_E10value_typeET4_jRbjT5_SW_jjP12ihipStream_tbEUlT_E0_NS1_11comp_targetILNS1_3genE9ELNS1_11target_archE1100ELNS1_3gpuE3ELNS1_3repE0EEENS1_60segmented_radix_sort_warp_sort_medium_config_static_selectorELNS0_4arch9wavefront6targetE0EEEvSK_,"axG",@progbits,_ZN7rocprim17ROCPRIM_400000_NS6detail17trampoline_kernelINS0_14default_configENS1_36segmented_radix_sort_config_selectorIhlEEZNS1_25segmented_radix_sort_implIS3_Lb1EPKhPhPKlPlN2at6native12_GLOBAL__N_18offset_tEEE10hipError_tPvRmT1_PNSt15iterator_traitsISK_E10value_typeET2_T3_PNSL_ISQ_E10value_typeET4_jRbjT5_SW_jjP12ihipStream_tbEUlT_E0_NS1_11comp_targetILNS1_3genE9ELNS1_11target_archE1100ELNS1_3gpuE3ELNS1_3repE0EEENS1_60segmented_radix_sort_warp_sort_medium_config_static_selectorELNS0_4arch9wavefront6targetE0EEEvSK_,comdat
	.globl	_ZN7rocprim17ROCPRIM_400000_NS6detail17trampoline_kernelINS0_14default_configENS1_36segmented_radix_sort_config_selectorIhlEEZNS1_25segmented_radix_sort_implIS3_Lb1EPKhPhPKlPlN2at6native12_GLOBAL__N_18offset_tEEE10hipError_tPvRmT1_PNSt15iterator_traitsISK_E10value_typeET2_T3_PNSL_ISQ_E10value_typeET4_jRbjT5_SW_jjP12ihipStream_tbEUlT_E0_NS1_11comp_targetILNS1_3genE9ELNS1_11target_archE1100ELNS1_3gpuE3ELNS1_3repE0EEENS1_60segmented_radix_sort_warp_sort_medium_config_static_selectorELNS0_4arch9wavefront6targetE0EEEvSK_ ; -- Begin function _ZN7rocprim17ROCPRIM_400000_NS6detail17trampoline_kernelINS0_14default_configENS1_36segmented_radix_sort_config_selectorIhlEEZNS1_25segmented_radix_sort_implIS3_Lb1EPKhPhPKlPlN2at6native12_GLOBAL__N_18offset_tEEE10hipError_tPvRmT1_PNSt15iterator_traitsISK_E10value_typeET2_T3_PNSL_ISQ_E10value_typeET4_jRbjT5_SW_jjP12ihipStream_tbEUlT_E0_NS1_11comp_targetILNS1_3genE9ELNS1_11target_archE1100ELNS1_3gpuE3ELNS1_3repE0EEENS1_60segmented_radix_sort_warp_sort_medium_config_static_selectorELNS0_4arch9wavefront6targetE0EEEvSK_
	.p2align	8
	.type	_ZN7rocprim17ROCPRIM_400000_NS6detail17trampoline_kernelINS0_14default_configENS1_36segmented_radix_sort_config_selectorIhlEEZNS1_25segmented_radix_sort_implIS3_Lb1EPKhPhPKlPlN2at6native12_GLOBAL__N_18offset_tEEE10hipError_tPvRmT1_PNSt15iterator_traitsISK_E10value_typeET2_T3_PNSL_ISQ_E10value_typeET4_jRbjT5_SW_jjP12ihipStream_tbEUlT_E0_NS1_11comp_targetILNS1_3genE9ELNS1_11target_archE1100ELNS1_3gpuE3ELNS1_3repE0EEENS1_60segmented_radix_sort_warp_sort_medium_config_static_selectorELNS0_4arch9wavefront6targetE0EEEvSK_,@function
_ZN7rocprim17ROCPRIM_400000_NS6detail17trampoline_kernelINS0_14default_configENS1_36segmented_radix_sort_config_selectorIhlEEZNS1_25segmented_radix_sort_implIS3_Lb1EPKhPhPKlPlN2at6native12_GLOBAL__N_18offset_tEEE10hipError_tPvRmT1_PNSt15iterator_traitsISK_E10value_typeET2_T3_PNSL_ISQ_E10value_typeET4_jRbjT5_SW_jjP12ihipStream_tbEUlT_E0_NS1_11comp_targetILNS1_3genE9ELNS1_11target_archE1100ELNS1_3gpuE3ELNS1_3repE0EEENS1_60segmented_radix_sort_warp_sort_medium_config_static_selectorELNS0_4arch9wavefront6targetE0EEEvSK_: ; @_ZN7rocprim17ROCPRIM_400000_NS6detail17trampoline_kernelINS0_14default_configENS1_36segmented_radix_sort_config_selectorIhlEEZNS1_25segmented_radix_sort_implIS3_Lb1EPKhPhPKlPlN2at6native12_GLOBAL__N_18offset_tEEE10hipError_tPvRmT1_PNSt15iterator_traitsISK_E10value_typeET2_T3_PNSL_ISQ_E10value_typeET4_jRbjT5_SW_jjP12ihipStream_tbEUlT_E0_NS1_11comp_targetILNS1_3genE9ELNS1_11target_archE1100ELNS1_3gpuE3ELNS1_3repE0EEENS1_60segmented_radix_sort_warp_sort_medium_config_static_selectorELNS0_4arch9wavefront6targetE0EEEvSK_
; %bb.0:
	.section	.rodata,"a",@progbits
	.p2align	6, 0x0
	.amdhsa_kernel _ZN7rocprim17ROCPRIM_400000_NS6detail17trampoline_kernelINS0_14default_configENS1_36segmented_radix_sort_config_selectorIhlEEZNS1_25segmented_radix_sort_implIS3_Lb1EPKhPhPKlPlN2at6native12_GLOBAL__N_18offset_tEEE10hipError_tPvRmT1_PNSt15iterator_traitsISK_E10value_typeET2_T3_PNSL_ISQ_E10value_typeET4_jRbjT5_SW_jjP12ihipStream_tbEUlT_E0_NS1_11comp_targetILNS1_3genE9ELNS1_11target_archE1100ELNS1_3gpuE3ELNS1_3repE0EEENS1_60segmented_radix_sort_warp_sort_medium_config_static_selectorELNS0_4arch9wavefront6targetE0EEEvSK_
		.amdhsa_group_segment_fixed_size 0
		.amdhsa_private_segment_fixed_size 0
		.amdhsa_kernarg_size 88
		.amdhsa_user_sgpr_count 6
		.amdhsa_user_sgpr_private_segment_buffer 1
		.amdhsa_user_sgpr_dispatch_ptr 0
		.amdhsa_user_sgpr_queue_ptr 0
		.amdhsa_user_sgpr_kernarg_segment_ptr 1
		.amdhsa_user_sgpr_dispatch_id 0
		.amdhsa_user_sgpr_flat_scratch_init 0
		.amdhsa_user_sgpr_private_segment_size 0
		.amdhsa_wavefront_size32 1
		.amdhsa_uses_dynamic_stack 0
		.amdhsa_system_sgpr_private_segment_wavefront_offset 0
		.amdhsa_system_sgpr_workgroup_id_x 1
		.amdhsa_system_sgpr_workgroup_id_y 0
		.amdhsa_system_sgpr_workgroup_id_z 0
		.amdhsa_system_sgpr_workgroup_info 0
		.amdhsa_system_vgpr_workitem_id 0
		.amdhsa_next_free_vgpr 1
		.amdhsa_next_free_sgpr 1
		.amdhsa_reserve_vcc 0
		.amdhsa_reserve_flat_scratch 0
		.amdhsa_float_round_mode_32 0
		.amdhsa_float_round_mode_16_64 0
		.amdhsa_float_denorm_mode_32 3
		.amdhsa_float_denorm_mode_16_64 3
		.amdhsa_dx10_clamp 1
		.amdhsa_ieee_mode 1
		.amdhsa_fp16_overflow 0
		.amdhsa_workgroup_processor_mode 1
		.amdhsa_memory_ordered 1
		.amdhsa_forward_progress 1
		.amdhsa_shared_vgpr_count 0
		.amdhsa_exception_fp_ieee_invalid_op 0
		.amdhsa_exception_fp_denorm_src 0
		.amdhsa_exception_fp_ieee_div_zero 0
		.amdhsa_exception_fp_ieee_overflow 0
		.amdhsa_exception_fp_ieee_underflow 0
		.amdhsa_exception_fp_ieee_inexact 0
		.amdhsa_exception_int_div_zero 0
	.end_amdhsa_kernel
	.section	.text._ZN7rocprim17ROCPRIM_400000_NS6detail17trampoline_kernelINS0_14default_configENS1_36segmented_radix_sort_config_selectorIhlEEZNS1_25segmented_radix_sort_implIS3_Lb1EPKhPhPKlPlN2at6native12_GLOBAL__N_18offset_tEEE10hipError_tPvRmT1_PNSt15iterator_traitsISK_E10value_typeET2_T3_PNSL_ISQ_E10value_typeET4_jRbjT5_SW_jjP12ihipStream_tbEUlT_E0_NS1_11comp_targetILNS1_3genE9ELNS1_11target_archE1100ELNS1_3gpuE3ELNS1_3repE0EEENS1_60segmented_radix_sort_warp_sort_medium_config_static_selectorELNS0_4arch9wavefront6targetE0EEEvSK_,"axG",@progbits,_ZN7rocprim17ROCPRIM_400000_NS6detail17trampoline_kernelINS0_14default_configENS1_36segmented_radix_sort_config_selectorIhlEEZNS1_25segmented_radix_sort_implIS3_Lb1EPKhPhPKlPlN2at6native12_GLOBAL__N_18offset_tEEE10hipError_tPvRmT1_PNSt15iterator_traitsISK_E10value_typeET2_T3_PNSL_ISQ_E10value_typeET4_jRbjT5_SW_jjP12ihipStream_tbEUlT_E0_NS1_11comp_targetILNS1_3genE9ELNS1_11target_archE1100ELNS1_3gpuE3ELNS1_3repE0EEENS1_60segmented_radix_sort_warp_sort_medium_config_static_selectorELNS0_4arch9wavefront6targetE0EEEvSK_,comdat
.Lfunc_end100:
	.size	_ZN7rocprim17ROCPRIM_400000_NS6detail17trampoline_kernelINS0_14default_configENS1_36segmented_radix_sort_config_selectorIhlEEZNS1_25segmented_radix_sort_implIS3_Lb1EPKhPhPKlPlN2at6native12_GLOBAL__N_18offset_tEEE10hipError_tPvRmT1_PNSt15iterator_traitsISK_E10value_typeET2_T3_PNSL_ISQ_E10value_typeET4_jRbjT5_SW_jjP12ihipStream_tbEUlT_E0_NS1_11comp_targetILNS1_3genE9ELNS1_11target_archE1100ELNS1_3gpuE3ELNS1_3repE0EEENS1_60segmented_radix_sort_warp_sort_medium_config_static_selectorELNS0_4arch9wavefront6targetE0EEEvSK_, .Lfunc_end100-_ZN7rocprim17ROCPRIM_400000_NS6detail17trampoline_kernelINS0_14default_configENS1_36segmented_radix_sort_config_selectorIhlEEZNS1_25segmented_radix_sort_implIS3_Lb1EPKhPhPKlPlN2at6native12_GLOBAL__N_18offset_tEEE10hipError_tPvRmT1_PNSt15iterator_traitsISK_E10value_typeET2_T3_PNSL_ISQ_E10value_typeET4_jRbjT5_SW_jjP12ihipStream_tbEUlT_E0_NS1_11comp_targetILNS1_3genE9ELNS1_11target_archE1100ELNS1_3gpuE3ELNS1_3repE0EEENS1_60segmented_radix_sort_warp_sort_medium_config_static_selectorELNS0_4arch9wavefront6targetE0EEEvSK_
                                        ; -- End function
	.set _ZN7rocprim17ROCPRIM_400000_NS6detail17trampoline_kernelINS0_14default_configENS1_36segmented_radix_sort_config_selectorIhlEEZNS1_25segmented_radix_sort_implIS3_Lb1EPKhPhPKlPlN2at6native12_GLOBAL__N_18offset_tEEE10hipError_tPvRmT1_PNSt15iterator_traitsISK_E10value_typeET2_T3_PNSL_ISQ_E10value_typeET4_jRbjT5_SW_jjP12ihipStream_tbEUlT_E0_NS1_11comp_targetILNS1_3genE9ELNS1_11target_archE1100ELNS1_3gpuE3ELNS1_3repE0EEENS1_60segmented_radix_sort_warp_sort_medium_config_static_selectorELNS0_4arch9wavefront6targetE0EEEvSK_.num_vgpr, 0
	.set _ZN7rocprim17ROCPRIM_400000_NS6detail17trampoline_kernelINS0_14default_configENS1_36segmented_radix_sort_config_selectorIhlEEZNS1_25segmented_radix_sort_implIS3_Lb1EPKhPhPKlPlN2at6native12_GLOBAL__N_18offset_tEEE10hipError_tPvRmT1_PNSt15iterator_traitsISK_E10value_typeET2_T3_PNSL_ISQ_E10value_typeET4_jRbjT5_SW_jjP12ihipStream_tbEUlT_E0_NS1_11comp_targetILNS1_3genE9ELNS1_11target_archE1100ELNS1_3gpuE3ELNS1_3repE0EEENS1_60segmented_radix_sort_warp_sort_medium_config_static_selectorELNS0_4arch9wavefront6targetE0EEEvSK_.num_agpr, 0
	.set _ZN7rocprim17ROCPRIM_400000_NS6detail17trampoline_kernelINS0_14default_configENS1_36segmented_radix_sort_config_selectorIhlEEZNS1_25segmented_radix_sort_implIS3_Lb1EPKhPhPKlPlN2at6native12_GLOBAL__N_18offset_tEEE10hipError_tPvRmT1_PNSt15iterator_traitsISK_E10value_typeET2_T3_PNSL_ISQ_E10value_typeET4_jRbjT5_SW_jjP12ihipStream_tbEUlT_E0_NS1_11comp_targetILNS1_3genE9ELNS1_11target_archE1100ELNS1_3gpuE3ELNS1_3repE0EEENS1_60segmented_radix_sort_warp_sort_medium_config_static_selectorELNS0_4arch9wavefront6targetE0EEEvSK_.numbered_sgpr, 0
	.set _ZN7rocprim17ROCPRIM_400000_NS6detail17trampoline_kernelINS0_14default_configENS1_36segmented_radix_sort_config_selectorIhlEEZNS1_25segmented_radix_sort_implIS3_Lb1EPKhPhPKlPlN2at6native12_GLOBAL__N_18offset_tEEE10hipError_tPvRmT1_PNSt15iterator_traitsISK_E10value_typeET2_T3_PNSL_ISQ_E10value_typeET4_jRbjT5_SW_jjP12ihipStream_tbEUlT_E0_NS1_11comp_targetILNS1_3genE9ELNS1_11target_archE1100ELNS1_3gpuE3ELNS1_3repE0EEENS1_60segmented_radix_sort_warp_sort_medium_config_static_selectorELNS0_4arch9wavefront6targetE0EEEvSK_.num_named_barrier, 0
	.set _ZN7rocprim17ROCPRIM_400000_NS6detail17trampoline_kernelINS0_14default_configENS1_36segmented_radix_sort_config_selectorIhlEEZNS1_25segmented_radix_sort_implIS3_Lb1EPKhPhPKlPlN2at6native12_GLOBAL__N_18offset_tEEE10hipError_tPvRmT1_PNSt15iterator_traitsISK_E10value_typeET2_T3_PNSL_ISQ_E10value_typeET4_jRbjT5_SW_jjP12ihipStream_tbEUlT_E0_NS1_11comp_targetILNS1_3genE9ELNS1_11target_archE1100ELNS1_3gpuE3ELNS1_3repE0EEENS1_60segmented_radix_sort_warp_sort_medium_config_static_selectorELNS0_4arch9wavefront6targetE0EEEvSK_.private_seg_size, 0
	.set _ZN7rocprim17ROCPRIM_400000_NS6detail17trampoline_kernelINS0_14default_configENS1_36segmented_radix_sort_config_selectorIhlEEZNS1_25segmented_radix_sort_implIS3_Lb1EPKhPhPKlPlN2at6native12_GLOBAL__N_18offset_tEEE10hipError_tPvRmT1_PNSt15iterator_traitsISK_E10value_typeET2_T3_PNSL_ISQ_E10value_typeET4_jRbjT5_SW_jjP12ihipStream_tbEUlT_E0_NS1_11comp_targetILNS1_3genE9ELNS1_11target_archE1100ELNS1_3gpuE3ELNS1_3repE0EEENS1_60segmented_radix_sort_warp_sort_medium_config_static_selectorELNS0_4arch9wavefront6targetE0EEEvSK_.uses_vcc, 0
	.set _ZN7rocprim17ROCPRIM_400000_NS6detail17trampoline_kernelINS0_14default_configENS1_36segmented_radix_sort_config_selectorIhlEEZNS1_25segmented_radix_sort_implIS3_Lb1EPKhPhPKlPlN2at6native12_GLOBAL__N_18offset_tEEE10hipError_tPvRmT1_PNSt15iterator_traitsISK_E10value_typeET2_T3_PNSL_ISQ_E10value_typeET4_jRbjT5_SW_jjP12ihipStream_tbEUlT_E0_NS1_11comp_targetILNS1_3genE9ELNS1_11target_archE1100ELNS1_3gpuE3ELNS1_3repE0EEENS1_60segmented_radix_sort_warp_sort_medium_config_static_selectorELNS0_4arch9wavefront6targetE0EEEvSK_.uses_flat_scratch, 0
	.set _ZN7rocprim17ROCPRIM_400000_NS6detail17trampoline_kernelINS0_14default_configENS1_36segmented_radix_sort_config_selectorIhlEEZNS1_25segmented_radix_sort_implIS3_Lb1EPKhPhPKlPlN2at6native12_GLOBAL__N_18offset_tEEE10hipError_tPvRmT1_PNSt15iterator_traitsISK_E10value_typeET2_T3_PNSL_ISQ_E10value_typeET4_jRbjT5_SW_jjP12ihipStream_tbEUlT_E0_NS1_11comp_targetILNS1_3genE9ELNS1_11target_archE1100ELNS1_3gpuE3ELNS1_3repE0EEENS1_60segmented_radix_sort_warp_sort_medium_config_static_selectorELNS0_4arch9wavefront6targetE0EEEvSK_.has_dyn_sized_stack, 0
	.set _ZN7rocprim17ROCPRIM_400000_NS6detail17trampoline_kernelINS0_14default_configENS1_36segmented_radix_sort_config_selectorIhlEEZNS1_25segmented_radix_sort_implIS3_Lb1EPKhPhPKlPlN2at6native12_GLOBAL__N_18offset_tEEE10hipError_tPvRmT1_PNSt15iterator_traitsISK_E10value_typeET2_T3_PNSL_ISQ_E10value_typeET4_jRbjT5_SW_jjP12ihipStream_tbEUlT_E0_NS1_11comp_targetILNS1_3genE9ELNS1_11target_archE1100ELNS1_3gpuE3ELNS1_3repE0EEENS1_60segmented_radix_sort_warp_sort_medium_config_static_selectorELNS0_4arch9wavefront6targetE0EEEvSK_.has_recursion, 0
	.set _ZN7rocprim17ROCPRIM_400000_NS6detail17trampoline_kernelINS0_14default_configENS1_36segmented_radix_sort_config_selectorIhlEEZNS1_25segmented_radix_sort_implIS3_Lb1EPKhPhPKlPlN2at6native12_GLOBAL__N_18offset_tEEE10hipError_tPvRmT1_PNSt15iterator_traitsISK_E10value_typeET2_T3_PNSL_ISQ_E10value_typeET4_jRbjT5_SW_jjP12ihipStream_tbEUlT_E0_NS1_11comp_targetILNS1_3genE9ELNS1_11target_archE1100ELNS1_3gpuE3ELNS1_3repE0EEENS1_60segmented_radix_sort_warp_sort_medium_config_static_selectorELNS0_4arch9wavefront6targetE0EEEvSK_.has_indirect_call, 0
	.section	.AMDGPU.csdata,"",@progbits
; Kernel info:
; codeLenInByte = 0
; TotalNumSgprs: 0
; NumVgprs: 0
; ScratchSize: 0
; MemoryBound: 0
; FloatMode: 240
; IeeeMode: 1
; LDSByteSize: 0 bytes/workgroup (compile time only)
; SGPRBlocks: 0
; VGPRBlocks: 0
; NumSGPRsForWavesPerEU: 1
; NumVGPRsForWavesPerEU: 1
; Occupancy: 16
; WaveLimiterHint : 0
; COMPUTE_PGM_RSRC2:SCRATCH_EN: 0
; COMPUTE_PGM_RSRC2:USER_SGPR: 6
; COMPUTE_PGM_RSRC2:TRAP_HANDLER: 0
; COMPUTE_PGM_RSRC2:TGID_X_EN: 1
; COMPUTE_PGM_RSRC2:TGID_Y_EN: 0
; COMPUTE_PGM_RSRC2:TGID_Z_EN: 0
; COMPUTE_PGM_RSRC2:TIDIG_COMP_CNT: 0
	.text
	.p2align	2                               ; -- Begin function _ZN7rocprim17ROCPRIM_400000_NS6detail26segmented_warp_sort_helperINS1_20WarpSortHelperConfigILj32ELj4ELj256EEEhlLi256ELb1EvE4sortIPKhPhPKlPlEEvT_T0_T1_T2_jjjjRNS5_12storage_typeE
	.type	_ZN7rocprim17ROCPRIM_400000_NS6detail26segmented_warp_sort_helperINS1_20WarpSortHelperConfigILj32ELj4ELj256EEEhlLi256ELb1EvE4sortIPKhPhPKlPlEEvT_T0_T1_T2_jjjjRNS5_12storage_typeE,@function
_ZN7rocprim17ROCPRIM_400000_NS6detail26segmented_warp_sort_helperINS1_20WarpSortHelperConfigILj32ELj4ELj256EEEhlLi256ELb1EvE4sortIPKhPhPKlPlEEvT_T0_T1_T2_jjjjRNS5_12storage_typeE: ; @_ZN7rocprim17ROCPRIM_400000_NS6detail26segmented_warp_sort_helperINS1_20WarpSortHelperConfigILj32ELj4ELj256EEEhlLi256ELb1EvE4sortIPKhPhPKlPlEEvT_T0_T1_T2_jjjjRNS5_12storage_typeE
; %bb.0:
	s_waitcnt vmcnt(0) expcnt(0) lgkmcnt(0)
	v_mbcnt_lo_u32_b32 v15, -1, 0
	v_add_co_u32 v0, vcc_lo, v0, v8
	v_sub_nc_u32_e32 v14, v9, v8
	v_add_co_ci_u32_e64 v1, null, 0, v1, vcc_lo
	v_lshlrev_b32_e32 v22, 2, v15
	v_mov_b32_e32 v9, 0
	v_add_co_u32 v0, vcc_lo, v0, v22
	v_add_co_ci_u32_e64 v1, null, 0, v1, vcc_lo
	v_cmp_lt_u32_e32 vcc_lo, v22, v14
	v_mov_b32_e32 v24, v9
	s_and_saveexec_b32 s4, vcc_lo
	s_cbranch_execz .LBB101_2
; %bb.1:
	flat_load_ubyte v24, v[0:1]
.LBB101_2:
	s_or_b32 exec_lo, exec_lo, s4
	v_or_b32_e32 v15, 1, v22
	v_cmp_lt_u32_e64 s4, v15, v14
	s_and_saveexec_b32 s5, s4
	s_cbranch_execz .LBB101_4
; %bb.3:
	flat_load_ubyte v15, v[0:1] offset:1
	s_waitcnt vmcnt(0) lgkmcnt(0)
	v_lshlrev_b16 v15, 8, v15
	v_or_b32_e32 v15, v24, v15
	v_and_b32_e32 v24, 0xffff, v15
.LBB101_4:
	s_or_b32 exec_lo, exec_lo, s5
	v_or_b32_e32 v15, 2, v22
	v_cmp_lt_u32_e64 s5, v15, v14
	s_and_saveexec_b32 s6, s5
	s_cbranch_execz .LBB101_6
; %bb.5:
	flat_load_ubyte v15, v[0:1] offset:2
	s_waitcnt vmcnt(0) lgkmcnt(0)
	v_lshl_or_b32 v24, v15, 16, v24
.LBB101_6:
	s_or_b32 exec_lo, exec_lo, s6
	v_or_b32_e32 v15, 3, v22
	v_cmp_lt_u32_e64 s6, v15, v14
	s_and_saveexec_b32 s7, s6
	s_cbranch_execz .LBB101_8
; %bb.7:
	flat_load_ubyte v0, v[0:1] offset:3
	s_waitcnt vmcnt(0) lgkmcnt(0)
	v_lshlrev_b16 v0, 8, v0
	v_or_b32_sdwa v0, v24, v0 dst_sel:WORD_1 dst_unused:UNUSED_PAD src0_sel:WORD_1 src1_sel:DWORD
	v_and_or_b32 v24, 0xffff, v24, v0
.LBB101_8:
	s_or_b32 exec_lo, exec_lo, s7
	v_lshlrev_b64 v[0:1], 3, v[8:9]
	v_lshlrev_b32_e32 v23, 3, v22
	; wave barrier
	v_add_co_u32 v4, s7, v4, v0
	v_add_co_ci_u32_e64 v5, null, v5, v1, s7
	v_add_co_u32 v20, s7, v4, v23
	v_add_co_ci_u32_e64 v21, null, 0, v5, s7
                                        ; implicit-def: $vgpr4_vgpr5
	s_and_saveexec_b32 s7, vcc_lo
	s_cbranch_execnz .LBB101_147
; %bb.9:
	s_or_b32 exec_lo, exec_lo, s7
                                        ; implicit-def: $vgpr14_vgpr15
	s_and_saveexec_b32 s7, s4
	s_cbranch_execnz .LBB101_148
.LBB101_10:
	s_or_b32 exec_lo, exec_lo, s7
                                        ; implicit-def: $vgpr18_vgpr19
	s_and_saveexec_b32 s7, s5
	s_cbranch_execnz .LBB101_149
.LBB101_11:
	s_or_b32 exec_lo, exec_lo, s7
                                        ; implicit-def: $vgpr16_vgpr17
	s_and_saveexec_b32 s7, s6
	s_cbranch_execz .LBB101_13
.LBB101_12:
	flat_load_dwordx2 v[16:17], v[20:21] offset:24
.LBB101_13:
	s_or_b32 exec_lo, exec_lo, s7
	v_cmp_ne_u32_e64 s7, 0, v10
	v_cmp_ne_u32_e64 s10, 8, v11
	v_bfe_u32 v20, v31, 10, 10
	v_bfe_u32 v21, v31, 20, 10
	v_and_b32_e32 v9, 0x3ff, v31
	s_or_b32 s7, s7, s10
	; wave barrier
	s_and_saveexec_b32 s10, s7
	s_xor_b32 s16, exec_lo, s10
	s_cbranch_execz .LBB101_75
; %bb.14:
	s_load_dwordx2 s[10:11], s[8:9], 0x0
	v_mov_b32_e32 v25, 0
	v_lshlrev_b32_e64 v10, v10, -1
	s_waitcnt lgkmcnt(0)
	s_cmp_lt_u32 s13, s11
	s_cselect_b32 s7, 14, 20
	s_add_u32 s14, s8, s7
	s_addc_u32 s15, s9, 0
	s_cmp_lt_u32 s12, s10
	global_load_ushort v26, v25, s[14:15]
	s_cselect_b32 s7, 12, 18
	s_add_u32 s10, s8, s7
	s_addc_u32 s11, s9, 0
	global_load_ushort v25, v25, s[10:11]
	s_mov_b32 s11, exec_lo
	s_waitcnt vmcnt(1)
	v_mad_u32_u24 v20, v21, v26, v20
	v_lshlrev_b32_e64 v21, v11, -1
	s_waitcnt vmcnt(0)
	v_mul_lo_u32 v20, v20, v25
	v_xor_b32_e32 v25, v21, v10
	v_add_lshl_u32 v11, v20, v9, 2
	v_cmpx_gt_u32_e32 0x400, v11
	s_cbranch_execz .LBB101_24
; %bb.15:
	v_lshrrev_b32_e32 v9, 8, v24
	v_and_b32_e32 v10, v24, v25
	v_perm_b32 v20, v24, v24, 0x7060405
	v_and_b32_e32 v9, v9, v25
	v_cmp_gt_u16_sdwa s7, v9, v10 src0_sel:BYTE_0 src1_sel:BYTE_0
	v_mov_b32_e32 v9, v18
	v_mov_b32_e32 v10, v19
	v_cndmask_b32_e64 v24, v24, v20, s7
	v_lshrrev_b32_e32 v20, 24, v24
	v_lshrrev_b32_e32 v26, 16, v24
	;; [unrolled: 1-line block ×3, first 2 shown]
	v_and_b32_e32 v21, v20, v25
	v_and_b32_e32 v30, v26, v25
	v_mov_b32_e32 v28, v20
	v_cmp_gt_u16_sdwa s14, v21, v30 src0_sel:DWORD src1_sel:BYTE_0
	s_and_saveexec_b32 s10, s14
	s_cbranch_execz .LBB101_17
; %bb.16:
	v_mov_b32_e32 v9, v16
	v_mov_b32_e32 v10, v17
	;; [unrolled: 1-line block ×7, first 2 shown]
.LBB101_17:
	s_or_b32 exec_lo, exec_lo, s10
	v_cndmask_b32_e64 v20, v14, v4, s7
	v_cndmask_b32_e64 v21, v15, v5, s7
	v_and_b32_e32 v29, v27, v25
	v_mov_b32_e32 v18, v20
	v_mov_b32_e32 v19, v21
	v_cmp_gt_u16_sdwa s10, v30, v29 src0_sel:BYTE_0 src1_sel:BYTE_0
	s_and_saveexec_b32 s14, s10
	s_xor_b32 s10, exec_lo, s14
	s_cbranch_execz .LBB101_19
; %bb.18:
	v_mov_b32_e32 v30, v27
	v_mov_b32_e32 v19, v10
	;; [unrolled: 1-line block ×4, first 2 shown]
	v_and_b32_e32 v29, v26, v25
	v_mov_b32_e32 v10, v21
	v_mov_b32_e32 v27, v26
	;; [unrolled: 1-line block ×3, first 2 shown]
.LBB101_19:
	s_or_b32 exec_lo, exec_lo, s10
	v_perm_b32 v20, v26, v28, 0xc0c0004
	v_perm_b32 v21, v27, v24, 0xc0c0004
	;; [unrolled: 1-line block ×3, first 2 shown]
	v_and_b32_e32 v24, v24, v25
	v_lshlrev_b32_e32 v20, 16, v20
	v_cmp_gt_u16_sdwa s10, v29, v24 src0_sel:BYTE_0 src1_sel:BYTE_0
	v_or_b32_e32 v21, v21, v20
	v_or_b32_e32 v20, v26, v20
	v_cndmask_b32_e64 v24, v20, v21, s10
	v_mov_b32_e32 v21, v10
	v_mov_b32_e32 v20, v9
	v_lshrrev_b32_e32 v28, 24, v24
	v_lshrrev_b32_e32 v26, 16, v24
	v_and_b32_e32 v29, v28, v25
	v_and_b32_e32 v27, v26, v25
	v_cmp_gt_u16_sdwa s15, v29, v27 src0_sel:DWORD src1_sel:BYTE_0
	s_and_saveexec_b32 s14, s15
	s_cbranch_execz .LBB101_21
; %bb.20:
	v_mov_b32_e32 v21, v17
	v_mov_b32_e32 v20, v16
	;; [unrolled: 1-line block ×3, first 2 shown]
	v_perm_b32 v24, v24, v24, 0x6070504
	v_mov_b32_e32 v16, v9
	v_mov_b32_e32 v27, v29
	v_mov_b32_e32 v26, v28
.LBB101_21:
	s_or_b32 exec_lo, exec_lo, s14
	v_lshrrev_b32_e32 v9, 8, v24
	v_cndmask_b32_e64 v10, v5, v15, s7
	v_cndmask_b32_e64 v14, v4, v14, s7
	v_and_b32_e32 v9, v9, v25
	v_cndmask_b32_e64 v5, v10, v19, s10
	v_cndmask_b32_e64 v4, v14, v18, s10
	;; [unrolled: 1-line block ×4, first 2 shown]
	v_mov_b32_e32 v18, v20
	v_cmp_gt_u16_sdwa s10, v27, v9 src0_sel:BYTE_0 src1_sel:BYTE_0
	v_mov_b32_e32 v19, v21
	s_and_saveexec_b32 s7, s10
; %bb.22:
	v_mov_b32_e32 v19, v15
	v_mov_b32_e32 v18, v14
	;; [unrolled: 1-line block ×3, first 2 shown]
	v_perm_b32 v24, v24, v26, 0x7050004
	v_mov_b32_e32 v15, v21
; %bb.23:
	s_or_b32 exec_lo, exec_lo, s7
.LBB101_24:
	s_or_b32 exec_lo, exec_lo, s11
	v_and_b32_e32 v9, 0xffffff80, v11
	v_or_b32_e32 v10, 4, v22
	v_and_b32_e32 v29, 0x78, v22
	s_mov_b32 s10, exec_lo
	v_sub_nc_u32_e64 v20, 0x400, v9 clamp
	v_add_co_u32 v11, s7, v12, v9
	v_add_co_ci_u32_e64 v12, null, 0, v13, s7
	v_min_u32_e32 v27, v20, v10
	v_and_b32_e32 v13, 4, v22
	v_add_nc_u32_e32 v10, 4, v27
	v_min_u32_e32 v30, v20, v13
	v_min_u32_e32 v28, v20, v10
	v_mad_u64_u32 v[9:10], null, v9, 7, v[11:12]
	v_sub_nc_u32_e32 v10, v27, v29
	v_sub_nc_u32_e32 v21, v28, v27
	v_min_u32_e32 v13, v30, v10
	v_lshl_add_u32 v12, v22, 3, v9
	v_sub_nc_u32_e64 v31, v30, v21 clamp
	v_add_co_u32 v10, null, v11, v22
	ds_write2_b64 v12, v[4:5], v[14:15] offset0:128 offset1:129
	ds_write_b64 v12, v[18:19] offset:1040
	ds_write_b32 v10, v24
	ds_write_b64 v12, v[16:17] offset:1048
	; wave barrier
	v_cmpx_lt_u32_e64 v31, v13
	s_cbranch_execz .LBB101_28
; %bb.25:
	v_add_co_u32 v21, null, v11, v29
	v_add_co_u32 v26, null, v11, v27
	s_mov_b32 s11, 0
	.p2align	6
.LBB101_26:                             ; =>This Inner Loop Header: Depth=1
	v_add_nc_u32_e32 v32, v13, v31
	v_lshrrev_b32_e32 v32, 1, v32
	v_not_b32_e32 v33, v32
	v_add_nc_u32_e32 v34, v21, v32
	v_add_nc_u32_e32 v35, 1, v32
	v_add3_u32 v33, v30, v33, v26
	ds_read_u8 v34, v34
	ds_read_u8 v33, v33
	s_waitcnt lgkmcnt(1)
	v_and_b32_e32 v34, v34, v25
	s_waitcnt lgkmcnt(0)
	v_and_b32_e32 v33, v33, v25
	v_cmp_gt_u16_sdwa s7, v33, v34 src0_sel:BYTE_0 src1_sel:BYTE_0
	v_cndmask_b32_e64 v13, v13, v32, s7
	v_cndmask_b32_e64 v31, v35, v31, s7
	v_cmp_ge_u32_e64 s7, v31, v13
	s_or_b32 s11, s7, s11
	s_andn2_b32 exec_lo, exec_lo, s11
	s_cbranch_execnz .LBB101_26
; %bb.27:
	s_or_b32 exec_lo, exec_lo, s11
.LBB101_28:
	s_or_b32 exec_lo, exec_lo, s10
	v_add_nc_u32_e32 v30, v27, v30
	v_add_nc_u32_e32 v35, v31, v29
	;; [unrolled: 1-line block ×5, first 2 shown]
	v_sub_nc_u32_e32 v34, v30, v31
	v_cmp_le_u32_e64 s7, v35, v27
	v_add_nc_u32_e32 v12, 0x418, v12
	v_lshrrev_b32_e32 v32, 16, v24
	v_lshrrev_b32_e32 v30, 8, v24
	v_cmp_le_u32_e64 s10, v34, v28
	v_lshrrev_b32_e32 v31, 24, v24
	v_mov_b32_e32 v33, v24
	s_or_b32 s7, s7, s10
	s_and_saveexec_b32 s17, s7
	s_cbranch_execz .LBB101_34
; %bb.29:
	v_cmp_lt_u32_e64 s7, v35, v27
                                        ; implicit-def: $vgpr24
	s_and_saveexec_b32 s10, s7
; %bb.30:
	v_add_nc_u32_e32 v4, v11, v35
	ds_read_u8 v24, v4
; %bb.31:
	s_or_b32 exec_lo, exec_lo, s10
	v_cmp_ge_u32_e64 s10, v34, v28
	s_mov_b32 s14, exec_lo
                                        ; implicit-def: $vgpr29
	v_cmpx_lt_u32_e64 v34, v28
; %bb.32:
	v_add_nc_u32_e32 v4, v11, v34
	ds_read_u8 v29, v4
; %bb.33:
	s_or_b32 exec_lo, exec_lo, s14
	s_waitcnt lgkmcnt(0)
	v_and_b32_e32 v4, v29, v25
	v_and_b32_e32 v5, v24, v25
	v_cmp_le_u16_sdwa s11, v4, v5 src0_sel:BYTE_0 src1_sel:BYTE_0
	s_and_b32 s7, s7, s11
	s_or_b32 s7, s10, s7
	v_cndmask_b32_e64 v4, v34, v35, s7
	v_cndmask_b32_e64 v5, v28, v27, s7
	v_add_nc_u32_e32 v14, 1, v4
	v_add_nc_u32_e32 v5, -1, v5
	v_lshl_add_u32 v4, v4, 3, v9
	v_min_u32_e32 v5, v14, v5
	v_add_nc_u32_e32 v5, v11, v5
	ds_read_u8 v5, v5
	s_waitcnt lgkmcnt(0)
	v_cndmask_b32_e64 v15, v5, v29, s7
	v_cndmask_b32_e64 v16, v24, v5, s7
	;; [unrolled: 1-line block ×4, first 2 shown]
	v_and_b32_e32 v17, v15, v25
	v_and_b32_e32 v18, v16, v25
	v_cmp_lt_u32_e64 s10, v5, v27
	v_cmp_ge_u32_e64 s11, v14, v28
	v_cmp_le_u16_sdwa s14, v17, v18 src0_sel:BYTE_0 src1_sel:BYTE_0
	s_and_b32 s10, s10, s14
	s_or_b32 s10, s11, s10
	v_cndmask_b32_e64 v17, v14, v5, s10
	v_cndmask_b32_e64 v18, v28, v27, s10
	v_add_nc_u32_e32 v19, 1, v17
	v_add_nc_u32_e32 v18, -1, v18
	v_lshl_add_u32 v17, v17, 3, v9
	v_cndmask_b32_e64 v5, v5, v19, s10
	v_min_u32_e32 v18, v19, v18
	v_cndmask_b32_e64 v14, v19, v14, s10
	v_cmp_lt_u32_e64 s11, v5, v27
	v_add_nc_u32_e32 v18, v11, v18
	v_cmp_ge_u32_e64 s14, v14, v28
	ds_read_u8 v18, v18
	s_waitcnt lgkmcnt(0)
	v_cndmask_b32_e64 v32, v18, v15, s10
	v_cndmask_b32_e64 v34, v16, v18, s10
	v_and_b32_e32 v18, v32, v25
	v_and_b32_e32 v30, v34, v25
	v_cmp_le_u16_sdwa s15, v18, v30 src0_sel:BYTE_0 src1_sel:BYTE_0
	s_and_b32 s11, s11, s15
	s_or_b32 s11, s14, s11
	v_cndmask_b32_e64 v18, v14, v5, s11
	v_cndmask_b32_e64 v19, v28, v27, s11
	v_add_nc_u32_e32 v30, 1, v18
	v_add_nc_u32_e32 v19, -1, v19
	v_lshl_add_u32 v18, v18, 3, v9
	v_cndmask_b32_e64 v5, v5, v30, s11
	v_min_u32_e32 v19, v30, v19
	v_cndmask_b32_e64 v14, v30, v14, s11
	v_cndmask_b32_e64 v30, v15, v16, s10
	v_cmp_lt_u32_e64 s14, v5, v27
	v_add_nc_u32_e32 v19, v11, v19
	v_cmp_ge_u32_e64 s15, v14, v28
	ds_read_u8 v19, v19
	s_waitcnt lgkmcnt(0)
	v_cndmask_b32_e64 v31, v19, v32, s11
	v_cndmask_b32_e64 v33, v34, v19, s11
	;; [unrolled: 1-line block ×3, first 2 shown]
	v_and_b32_e32 v19, v31, v25
	v_and_b32_e32 v35, v33, v25
	v_cmp_le_u16_sdwa s18, v19, v35 src0_sel:BYTE_0 src1_sel:BYTE_0
	s_and_b32 s14, s14, s18
	s_or_b32 s14, s15, s14
	v_cndmask_b32_e64 v14, v14, v5, s14
	ds_read_b64 v[4:5], v4 offset:1024
	v_cndmask_b32_e64 v31, v31, v33, s14
	v_cndmask_b32_e64 v33, v29, v24, s7
	v_lshl_add_u32 v27, v14, 3, v9
	ds_read_b64 v[14:15], v17 offset:1024
	ds_read_b64 v[18:19], v18 offset:1024
	v_lshlrev_b16 v24, 8, v31
	ds_read_b64 v[16:17], v27 offset:1024
	v_lshlrev_b16 v27, 8, v30
	v_or_b32_sdwa v24, v32, v24 dst_sel:WORD_1 dst_unused:UNUSED_PAD src0_sel:BYTE_0 src1_sel:DWORD
	v_or_b32_sdwa v27, v33, v27 dst_sel:DWORD dst_unused:UNUSED_PAD src0_sel:BYTE_0 src1_sel:DWORD
	v_or_b32_sdwa v24, v27, v24 dst_sel:DWORD dst_unused:UNUSED_PAD src0_sel:WORD_0 src1_sel:DWORD
.LBB101_34:
	s_or_b32 exec_lo, exec_lo, s17
	v_and_b32_e32 v36, 0x70, v22
	v_and_b32_e32 v28, 12, v22
	s_mov_b32 s10, exec_lo
	; wave barrier
	v_or_b32_e32 v27, 8, v36
	v_min_u32_e32 v37, v20, v28
	ds_write_b8 v10, v33
	s_waitcnt lgkmcnt(4)
	ds_write_b64 v26, v[4:5]
	ds_write_b8 v10, v30 offset:1
	s_waitcnt lgkmcnt(5)
	ds_write_b64 v21, v[14:15]
	ds_write_b8 v10, v32 offset:2
	;; [unrolled: 3-line block ×3, first 2 shown]
	s_waitcnt lgkmcnt(7)
	ds_write_b64 v12, v[16:17]
	v_min_u32_e32 v34, v20, v27
	; wave barrier
	v_add_nc_u32_e32 v27, 8, v34
	v_sub_nc_u32_e32 v28, v34, v36
	v_min_u32_e32 v35, v20, v27
	v_sub_nc_u32_e32 v27, v35, v34
	v_sub_nc_u32_e64 v38, v37, v27 clamp
	v_min_u32_e32 v27, v37, v28
	v_cmpx_lt_u32_e64 v38, v27
	s_cbranch_execz .LBB101_38
; %bb.35:
	v_add_co_u32 v28, null, v11, v36
	v_add_co_u32 v29, null, v11, v34
	s_mov_b32 s11, 0
	.p2align	6
.LBB101_36:                             ; =>This Inner Loop Header: Depth=1
	v_add_nc_u32_e32 v39, v27, v38
	v_lshrrev_b32_e32 v39, 1, v39
	v_not_b32_e32 v48, v39
	v_add_nc_u32_e32 v49, v28, v39
	v_add_nc_u32_e32 v50, 1, v39
	v_add3_u32 v48, v37, v48, v29
	ds_read_u8 v49, v49
	ds_read_u8 v48, v48
	s_waitcnt lgkmcnt(1)
	v_and_b32_e32 v49, v49, v25
	s_waitcnt lgkmcnt(0)
	v_and_b32_e32 v48, v48, v25
	v_cmp_gt_u16_sdwa s7, v48, v49 src0_sel:BYTE_0 src1_sel:BYTE_0
	v_cndmask_b32_e64 v27, v27, v39, s7
	v_cndmask_b32_e64 v38, v50, v38, s7
	v_cmp_ge_u32_e64 s7, v38, v27
	s_or_b32 s11, s7, s11
	s_andn2_b32 exec_lo, exec_lo, s11
	s_cbranch_execnz .LBB101_36
; %bb.37:
	s_or_b32 exec_lo, exec_lo, s11
.LBB101_38:
	s_or_b32 exec_lo, exec_lo, s10
	v_add_nc_u32_e32 v39, v34, v37
	v_add_nc_u32_e32 v37, v38, v36
	;; [unrolled: 1-line block ×5, first 2 shown]
	v_sub_nc_u32_e32 v36, v39, v38
	v_cmp_le_u32_e64 s7, v37, v34
	v_cmp_le_u32_e64 s10, v36, v35
	s_or_b32 s7, s7, s10
	s_and_saveexec_b32 s17, s7
	s_cbranch_execz .LBB101_44
; %bb.39:
	v_cmp_lt_u32_e64 s7, v37, v34
                                        ; implicit-def: $vgpr24
	s_and_saveexec_b32 s10, s7
; %bb.40:
	v_add_nc_u32_e32 v4, v11, v37
	ds_read_u8 v24, v4
; %bb.41:
	s_or_b32 exec_lo, exec_lo, s10
	v_cmp_ge_u32_e64 s10, v36, v35
	s_mov_b32 s14, exec_lo
                                        ; implicit-def: $vgpr32
	v_cmpx_lt_u32_e64 v36, v35
; %bb.42:
	v_add_nc_u32_e32 v4, v11, v36
	ds_read_u8 v32, v4
; %bb.43:
	s_or_b32 exec_lo, exec_lo, s14
	s_waitcnt lgkmcnt(0)
	v_and_b32_e32 v4, v32, v25
	v_and_b32_e32 v5, v24, v25
	v_cmp_le_u16_sdwa s11, v4, v5 src0_sel:BYTE_0 src1_sel:BYTE_0
	s_and_b32 s7, s7, s11
	s_or_b32 s7, s10, s7
	v_cndmask_b32_e64 v4, v36, v37, s7
	v_cndmask_b32_e64 v5, v35, v34, s7
	v_add_nc_u32_e32 v14, 1, v4
	v_add_nc_u32_e32 v5, -1, v5
	v_lshl_add_u32 v4, v4, 3, v9
	v_min_u32_e32 v5, v14, v5
	v_add_nc_u32_e32 v5, v11, v5
	ds_read_u8 v5, v5
	s_waitcnt lgkmcnt(0)
	v_cndmask_b32_e64 v15, v5, v32, s7
	v_cndmask_b32_e64 v16, v24, v5, s7
	;; [unrolled: 1-line block ×4, first 2 shown]
	v_and_b32_e32 v17, v15, v25
	v_and_b32_e32 v18, v16, v25
	v_cmp_lt_u32_e64 s10, v5, v34
	v_cmp_ge_u32_e64 s11, v14, v35
	v_cmp_le_u16_sdwa s14, v17, v18 src0_sel:BYTE_0 src1_sel:BYTE_0
	s_and_b32 s10, s10, s14
	s_or_b32 s10, s11, s10
	v_cndmask_b32_e64 v17, v14, v5, s10
	v_cndmask_b32_e64 v18, v35, v34, s10
	v_add_nc_u32_e32 v19, 1, v17
	v_add_nc_u32_e32 v18, -1, v18
	v_lshl_add_u32 v17, v17, 3, v9
	v_cndmask_b32_e64 v5, v5, v19, s10
	v_min_u32_e32 v18, v19, v18
	v_cndmask_b32_e64 v14, v19, v14, s10
	v_cmp_lt_u32_e64 s11, v5, v34
	v_add_nc_u32_e32 v18, v11, v18
	v_cmp_ge_u32_e64 s14, v14, v35
	ds_read_u8 v18, v18
	s_waitcnt lgkmcnt(0)
	v_cndmask_b32_e64 v36, v18, v15, s10
	v_cndmask_b32_e64 v37, v16, v18, s10
	v_and_b32_e32 v18, v36, v25
	v_and_b32_e32 v30, v37, v25
	v_cmp_le_u16_sdwa s15, v18, v30 src0_sel:BYTE_0 src1_sel:BYTE_0
	s_and_b32 s11, s11, s15
	s_or_b32 s11, s14, s11
	v_cndmask_b32_e64 v18, v14, v5, s11
	v_cndmask_b32_e64 v19, v35, v34, s11
	v_add_nc_u32_e32 v30, 1, v18
	v_add_nc_u32_e32 v19, -1, v19
	v_lshl_add_u32 v18, v18, 3, v9
	v_cndmask_b32_e64 v5, v5, v30, s11
	v_min_u32_e32 v19, v30, v19
	v_cndmask_b32_e64 v14, v30, v14, s11
	v_cndmask_b32_e64 v30, v15, v16, s10
	v_cmp_lt_u32_e64 s14, v5, v34
	v_add_nc_u32_e32 v19, v11, v19
	v_cmp_ge_u32_e64 s15, v14, v35
	ds_read_u8 v19, v19
	s_waitcnt lgkmcnt(0)
	v_cndmask_b32_e64 v31, v19, v36, s11
	v_cndmask_b32_e64 v33, v37, v19, s11
	v_and_b32_e32 v19, v31, v25
	v_and_b32_e32 v38, v33, v25
	v_cmp_le_u16_sdwa s18, v19, v38 src0_sel:BYTE_0 src1_sel:BYTE_0
	s_and_b32 s14, s14, s18
	s_or_b32 s14, s15, s14
	v_cndmask_b32_e64 v14, v14, v5, s14
	ds_read_b64 v[4:5], v4 offset:1024
	v_cndmask_b32_e64 v31, v31, v33, s14
	v_cndmask_b32_e64 v33, v32, v24, s7
	v_cndmask_b32_e64 v32, v36, v37, s11
	v_lshl_add_u32 v34, v14, 3, v9
	ds_read_b64 v[14:15], v17 offset:1024
	ds_read_b64 v[18:19], v18 offset:1024
	v_lshlrev_b16 v24, 8, v31
	ds_read_b64 v[16:17], v34 offset:1024
	v_lshlrev_b16 v34, 8, v30
	v_or_b32_sdwa v24, v32, v24 dst_sel:WORD_1 dst_unused:UNUSED_PAD src0_sel:BYTE_0 src1_sel:DWORD
	v_or_b32_sdwa v34, v33, v34 dst_sel:DWORD dst_unused:UNUSED_PAD src0_sel:BYTE_0 src1_sel:DWORD
	v_or_b32_sdwa v24, v34, v24 dst_sel:DWORD dst_unused:UNUSED_PAD src0_sel:WORD_0 src1_sel:DWORD
.LBB101_44:
	s_or_b32 exec_lo, exec_lo, s17
	v_and_b32_e32 v36, 0x60, v22
	v_and_b32_e32 v37, 28, v22
	s_mov_b32 s10, exec_lo
	; wave barrier
	v_or_b32_e32 v34, 16, v36
	v_min_u32_e32 v37, v20, v37
	ds_write_b8 v10, v33
	s_waitcnt lgkmcnt(4)
	ds_write_b64 v26, v[4:5]
	ds_write_b8 v29, v30
	s_waitcnt lgkmcnt(5)
	ds_write_b64 v21, v[14:15]
	;; [unrolled: 3-line block ×4, first 2 shown]
	v_min_u32_e32 v34, v20, v34
	; wave barrier
	v_add_nc_u32_e32 v35, 16, v34
	v_sub_nc_u32_e32 v39, v34, v36
	v_min_u32_e32 v35, v20, v35
	v_min_u32_e32 v39, v37, v39
	v_sub_nc_u32_e32 v38, v35, v34
	v_sub_nc_u32_e64 v38, v37, v38 clamp
	v_cmpx_lt_u32_e64 v38, v39
	s_cbranch_execz .LBB101_48
; %bb.45:
	v_add_co_u32 v48, null, v11, v36
	v_add_co_u32 v49, null, v11, v34
	s_mov_b32 s11, 0
	.p2align	6
.LBB101_46:                             ; =>This Inner Loop Header: Depth=1
	v_add_nc_u32_e32 v50, v39, v38
	v_lshrrev_b32_e32 v50, 1, v50
	v_not_b32_e32 v51, v50
	v_add_nc_u32_e32 v52, v48, v50
	v_add_nc_u32_e32 v53, 1, v50
	v_add3_u32 v51, v37, v51, v49
	ds_read_u8 v52, v52
	ds_read_u8 v51, v51
	s_waitcnt lgkmcnt(1)
	v_and_b32_e32 v52, v52, v25
	s_waitcnt lgkmcnt(0)
	v_and_b32_e32 v51, v51, v25
	v_cmp_gt_u16_sdwa s7, v51, v52 src0_sel:BYTE_0 src1_sel:BYTE_0
	v_cndmask_b32_e64 v39, v39, v50, s7
	v_cndmask_b32_e64 v38, v53, v38, s7
	v_cmp_ge_u32_e64 s7, v38, v39
	s_or_b32 s11, s7, s11
	s_andn2_b32 exec_lo, exec_lo, s11
	s_cbranch_execnz .LBB101_46
; %bb.47:
	s_or_b32 exec_lo, exec_lo, s11
.LBB101_48:
	s_or_b32 exec_lo, exec_lo, s10
	v_add_nc_u32_e32 v39, v34, v37
	v_add_nc_u32_e32 v37, v38, v36
	v_sub_nc_u32_e32 v36, v39, v38
	v_cmp_le_u32_e64 s7, v37, v34
	v_cmp_le_u32_e64 s10, v36, v35
	s_or_b32 s7, s7, s10
	s_and_saveexec_b32 s17, s7
	s_cbranch_execz .LBB101_54
; %bb.49:
	v_cmp_lt_u32_e64 s7, v37, v34
                                        ; implicit-def: $vgpr24
	s_and_saveexec_b32 s10, s7
; %bb.50:
	v_add_nc_u32_e32 v4, v11, v37
	ds_read_u8 v24, v4
; %bb.51:
	s_or_b32 exec_lo, exec_lo, s10
	v_cmp_ge_u32_e64 s10, v36, v35
	s_mov_b32 s14, exec_lo
                                        ; implicit-def: $vgpr32
	v_cmpx_lt_u32_e64 v36, v35
; %bb.52:
	v_add_nc_u32_e32 v4, v11, v36
	ds_read_u8 v32, v4
; %bb.53:
	s_or_b32 exec_lo, exec_lo, s14
	s_waitcnt lgkmcnt(0)
	v_and_b32_e32 v4, v32, v25
	v_and_b32_e32 v5, v24, v25
	v_cmp_le_u16_sdwa s11, v4, v5 src0_sel:BYTE_0 src1_sel:BYTE_0
	s_and_b32 s7, s7, s11
	s_or_b32 s7, s10, s7
	v_cndmask_b32_e64 v4, v36, v37, s7
	v_cndmask_b32_e64 v5, v35, v34, s7
	v_add_nc_u32_e32 v14, 1, v4
	v_add_nc_u32_e32 v5, -1, v5
	v_lshl_add_u32 v4, v4, 3, v9
	v_min_u32_e32 v5, v14, v5
	v_add_nc_u32_e32 v5, v11, v5
	ds_read_u8 v5, v5
	s_waitcnt lgkmcnt(0)
	v_cndmask_b32_e64 v15, v5, v32, s7
	v_cndmask_b32_e64 v16, v24, v5, s7
	;; [unrolled: 1-line block ×4, first 2 shown]
	v_and_b32_e32 v17, v15, v25
	v_and_b32_e32 v18, v16, v25
	v_cmp_lt_u32_e64 s10, v5, v34
	v_cmp_ge_u32_e64 s11, v14, v35
	v_cmp_le_u16_sdwa s14, v17, v18 src0_sel:BYTE_0 src1_sel:BYTE_0
	s_and_b32 s10, s10, s14
	s_or_b32 s10, s11, s10
	v_cndmask_b32_e64 v17, v14, v5, s10
	v_cndmask_b32_e64 v18, v35, v34, s10
	v_add_nc_u32_e32 v19, 1, v17
	v_add_nc_u32_e32 v18, -1, v18
	v_lshl_add_u32 v17, v17, 3, v9
	v_cndmask_b32_e64 v5, v5, v19, s10
	v_min_u32_e32 v18, v19, v18
	v_cndmask_b32_e64 v14, v19, v14, s10
	v_cmp_lt_u32_e64 s11, v5, v34
	v_add_nc_u32_e32 v18, v11, v18
	v_cmp_ge_u32_e64 s14, v14, v35
	ds_read_u8 v18, v18
	s_waitcnt lgkmcnt(0)
	v_cndmask_b32_e64 v36, v18, v15, s10
	v_cndmask_b32_e64 v37, v16, v18, s10
	v_and_b32_e32 v18, v36, v25
	v_and_b32_e32 v30, v37, v25
	v_cmp_le_u16_sdwa s15, v18, v30 src0_sel:BYTE_0 src1_sel:BYTE_0
	s_and_b32 s11, s11, s15
	s_or_b32 s11, s14, s11
	v_cndmask_b32_e64 v18, v14, v5, s11
	v_cndmask_b32_e64 v19, v35, v34, s11
	v_add_nc_u32_e32 v30, 1, v18
	v_add_nc_u32_e32 v19, -1, v19
	v_lshl_add_u32 v18, v18, 3, v9
	v_cndmask_b32_e64 v5, v5, v30, s11
	v_min_u32_e32 v19, v30, v19
	v_cndmask_b32_e64 v14, v30, v14, s11
	v_cndmask_b32_e64 v30, v15, v16, s10
	v_cmp_lt_u32_e64 s14, v5, v34
	v_add_nc_u32_e32 v19, v11, v19
	v_cmp_ge_u32_e64 s15, v14, v35
	ds_read_u8 v19, v19
	s_waitcnt lgkmcnt(0)
	v_cndmask_b32_e64 v31, v19, v36, s11
	v_cndmask_b32_e64 v33, v37, v19, s11
	v_and_b32_e32 v19, v31, v25
	v_and_b32_e32 v38, v33, v25
	v_cmp_le_u16_sdwa s18, v19, v38 src0_sel:BYTE_0 src1_sel:BYTE_0
	s_and_b32 s14, s14, s18
	s_or_b32 s14, s15, s14
	v_cndmask_b32_e64 v14, v14, v5, s14
	ds_read_b64 v[4:5], v4 offset:1024
	v_cndmask_b32_e64 v31, v31, v33, s14
	v_cndmask_b32_e64 v33, v32, v24, s7
	;; [unrolled: 1-line block ×3, first 2 shown]
	v_lshl_add_u32 v34, v14, 3, v9
	ds_read_b64 v[14:15], v17 offset:1024
	ds_read_b64 v[18:19], v18 offset:1024
	v_lshlrev_b16 v24, 8, v31
	ds_read_b64 v[16:17], v34 offset:1024
	v_lshlrev_b16 v34, 8, v30
	v_or_b32_sdwa v24, v32, v24 dst_sel:WORD_1 dst_unused:UNUSED_PAD src0_sel:BYTE_0 src1_sel:DWORD
	v_or_b32_sdwa v34, v33, v34 dst_sel:DWORD dst_unused:UNUSED_PAD src0_sel:BYTE_0 src1_sel:DWORD
	v_or_b32_sdwa v24, v34, v24 dst_sel:DWORD dst_unused:UNUSED_PAD src0_sel:WORD_0 src1_sel:DWORD
.LBB101_54:
	s_or_b32 exec_lo, exec_lo, s17
	v_and_b32_e32 v36, 64, v22
	v_and_b32_e32 v37, 60, v22
	s_mov_b32 s10, exec_lo
	; wave barrier
	v_or_b32_e32 v34, 32, v36
	v_min_u32_e32 v37, v20, v37
	ds_write_b8 v10, v33
	s_waitcnt lgkmcnt(4)
	ds_write_b64 v26, v[4:5]
	ds_write_b8 v29, v30
	s_waitcnt lgkmcnt(5)
	ds_write_b64 v21, v[14:15]
	;; [unrolled: 3-line block ×4, first 2 shown]
	v_min_u32_e32 v34, v20, v34
	; wave barrier
	v_add_nc_u32_e32 v35, 32, v34
	v_sub_nc_u32_e32 v39, v34, v36
	v_min_u32_e32 v35, v20, v35
	v_min_u32_e32 v39, v37, v39
	v_sub_nc_u32_e32 v38, v35, v34
	v_sub_nc_u32_e64 v38, v37, v38 clamp
	v_cmpx_lt_u32_e64 v38, v39
	s_cbranch_execz .LBB101_58
; %bb.55:
	v_add_co_u32 v48, null, v11, v36
	v_add_co_u32 v49, null, v11, v34
	s_mov_b32 s11, 0
	.p2align	6
.LBB101_56:                             ; =>This Inner Loop Header: Depth=1
	v_add_nc_u32_e32 v50, v39, v38
	v_lshrrev_b32_e32 v50, 1, v50
	v_not_b32_e32 v51, v50
	v_add_nc_u32_e32 v52, v48, v50
	v_add_nc_u32_e32 v53, 1, v50
	v_add3_u32 v51, v37, v51, v49
	ds_read_u8 v52, v52
	ds_read_u8 v51, v51
	s_waitcnt lgkmcnt(1)
	v_and_b32_e32 v52, v52, v25
	s_waitcnt lgkmcnt(0)
	v_and_b32_e32 v51, v51, v25
	v_cmp_gt_u16_sdwa s7, v51, v52 src0_sel:BYTE_0 src1_sel:BYTE_0
	v_cndmask_b32_e64 v39, v39, v50, s7
	v_cndmask_b32_e64 v38, v53, v38, s7
	v_cmp_ge_u32_e64 s7, v38, v39
	s_or_b32 s11, s7, s11
	s_andn2_b32 exec_lo, exec_lo, s11
	s_cbranch_execnz .LBB101_56
; %bb.57:
	s_or_b32 exec_lo, exec_lo, s11
.LBB101_58:
	s_or_b32 exec_lo, exec_lo, s10
	v_add_nc_u32_e32 v39, v34, v37
	v_add_nc_u32_e32 v37, v38, v36
	v_sub_nc_u32_e32 v36, v39, v38
	v_cmp_le_u32_e64 s7, v37, v34
	v_cmp_le_u32_e64 s10, v36, v35
	s_or_b32 s7, s7, s10
	s_and_saveexec_b32 s17, s7
	s_cbranch_execz .LBB101_64
; %bb.59:
	v_cmp_lt_u32_e64 s7, v37, v34
                                        ; implicit-def: $vgpr24
	s_and_saveexec_b32 s10, s7
; %bb.60:
	v_add_nc_u32_e32 v4, v11, v37
	ds_read_u8 v24, v4
; %bb.61:
	s_or_b32 exec_lo, exec_lo, s10
	v_cmp_ge_u32_e64 s10, v36, v35
	s_mov_b32 s14, exec_lo
                                        ; implicit-def: $vgpr32
	v_cmpx_lt_u32_e64 v36, v35
; %bb.62:
	v_add_nc_u32_e32 v4, v11, v36
	ds_read_u8 v32, v4
; %bb.63:
	s_or_b32 exec_lo, exec_lo, s14
	s_waitcnt lgkmcnt(0)
	v_and_b32_e32 v4, v32, v25
	v_and_b32_e32 v5, v24, v25
	v_cmp_le_u16_sdwa s11, v4, v5 src0_sel:BYTE_0 src1_sel:BYTE_0
	s_and_b32 s7, s7, s11
	s_or_b32 s7, s10, s7
	v_cndmask_b32_e64 v4, v36, v37, s7
	v_cndmask_b32_e64 v5, v35, v34, s7
	v_add_nc_u32_e32 v14, 1, v4
	v_add_nc_u32_e32 v5, -1, v5
	v_lshl_add_u32 v4, v4, 3, v9
	v_min_u32_e32 v5, v14, v5
	v_add_nc_u32_e32 v5, v11, v5
	ds_read_u8 v5, v5
	s_waitcnt lgkmcnt(0)
	v_cndmask_b32_e64 v15, v5, v32, s7
	v_cndmask_b32_e64 v16, v24, v5, s7
	;; [unrolled: 1-line block ×4, first 2 shown]
	v_and_b32_e32 v17, v15, v25
	v_and_b32_e32 v18, v16, v25
	v_cmp_lt_u32_e64 s10, v5, v34
	v_cmp_ge_u32_e64 s11, v14, v35
	v_cmp_le_u16_sdwa s14, v17, v18 src0_sel:BYTE_0 src1_sel:BYTE_0
	s_and_b32 s10, s10, s14
	s_or_b32 s10, s11, s10
	v_cndmask_b32_e64 v17, v14, v5, s10
	v_cndmask_b32_e64 v18, v35, v34, s10
	v_add_nc_u32_e32 v19, 1, v17
	v_add_nc_u32_e32 v18, -1, v18
	v_lshl_add_u32 v17, v17, 3, v9
	v_cndmask_b32_e64 v5, v5, v19, s10
	v_min_u32_e32 v18, v19, v18
	v_cndmask_b32_e64 v14, v19, v14, s10
	v_cmp_lt_u32_e64 s11, v5, v34
	v_add_nc_u32_e32 v18, v11, v18
	v_cmp_ge_u32_e64 s14, v14, v35
	ds_read_u8 v18, v18
	s_waitcnt lgkmcnt(0)
	v_cndmask_b32_e64 v36, v18, v15, s10
	v_cndmask_b32_e64 v37, v16, v18, s10
	v_and_b32_e32 v18, v36, v25
	v_and_b32_e32 v30, v37, v25
	v_cmp_le_u16_sdwa s15, v18, v30 src0_sel:BYTE_0 src1_sel:BYTE_0
	s_and_b32 s11, s11, s15
	s_or_b32 s11, s14, s11
	v_cndmask_b32_e64 v18, v14, v5, s11
	v_cndmask_b32_e64 v19, v35, v34, s11
	v_add_nc_u32_e32 v30, 1, v18
	v_add_nc_u32_e32 v19, -1, v19
	v_lshl_add_u32 v18, v18, 3, v9
	v_cndmask_b32_e64 v5, v5, v30, s11
	v_min_u32_e32 v19, v30, v19
	v_cndmask_b32_e64 v14, v30, v14, s11
	v_cndmask_b32_e64 v30, v15, v16, s10
	v_cmp_lt_u32_e64 s14, v5, v34
	v_add_nc_u32_e32 v19, v11, v19
	v_cmp_ge_u32_e64 s15, v14, v35
	ds_read_u8 v19, v19
	s_waitcnt lgkmcnt(0)
	v_cndmask_b32_e64 v31, v19, v36, s11
	v_cndmask_b32_e64 v33, v37, v19, s11
	v_and_b32_e32 v19, v31, v25
	v_and_b32_e32 v38, v33, v25
	v_cmp_le_u16_sdwa s18, v19, v38 src0_sel:BYTE_0 src1_sel:BYTE_0
	s_and_b32 s14, s14, s18
	s_or_b32 s14, s15, s14
	v_cndmask_b32_e64 v14, v14, v5, s14
	ds_read_b64 v[4:5], v4 offset:1024
	v_cndmask_b32_e64 v31, v31, v33, s14
	v_cndmask_b32_e64 v33, v32, v24, s7
	;; [unrolled: 1-line block ×3, first 2 shown]
	v_lshl_add_u32 v34, v14, 3, v9
	ds_read_b64 v[14:15], v17 offset:1024
	ds_read_b64 v[18:19], v18 offset:1024
	v_lshlrev_b16 v24, 8, v31
	ds_read_b64 v[16:17], v34 offset:1024
	v_lshlrev_b16 v34, 8, v30
	v_or_b32_sdwa v24, v32, v24 dst_sel:WORD_1 dst_unused:UNUSED_PAD src0_sel:BYTE_0 src1_sel:DWORD
	v_or_b32_sdwa v34, v33, v34 dst_sel:DWORD dst_unused:UNUSED_PAD src0_sel:BYTE_0 src1_sel:DWORD
	v_or_b32_sdwa v24, v34, v24 dst_sel:DWORD dst_unused:UNUSED_PAD src0_sel:WORD_0 src1_sel:DWORD
.LBB101_64:
	s_or_b32 exec_lo, exec_lo, s17
	v_min_u32_e32 v34, 64, v20
	; wave barrier
	ds_write_b8 v10, v33
	s_waitcnt lgkmcnt(4)
	ds_write_b64 v26, v[4:5]
	s_mov_b32 s10, exec_lo
	v_add_nc_u32_e32 v35, 64, v34
	ds_write_b8 v29, v30
	s_waitcnt lgkmcnt(5)
	ds_write_b64 v21, v[14:15]
	ds_write_b8 v28, v32
	s_waitcnt lgkmcnt(6)
	ds_write_b64 v13, v[18:19]
	;; [unrolled: 3-line block ×3, first 2 shown]
	; wave barrier
	v_min_u32_e32 v35, v20, v35
	v_min_u32_e32 v20, v20, v22
	v_sub_nc_u32_e32 v36, v35, v34
	v_min_u32_e32 v26, v20, v34
	v_sub_nc_u32_e64 v10, v20, v36 clamp
	v_cmpx_lt_u32_e64 v10, v26
	s_cbranch_execz .LBB101_68
; %bb.65:
	v_add_co_u32 v12, null, v11, v34
	s_mov_b32 s11, 0
	.p2align	6
.LBB101_66:                             ; =>This Inner Loop Header: Depth=1
	v_add_nc_u32_e32 v13, v26, v10
	v_lshrrev_b32_e32 v13, 1, v13
	v_not_b32_e32 v21, v13
	v_add_nc_u32_e32 v27, v11, v13
	v_add_nc_u32_e32 v28, 1, v13
	v_add3_u32 v21, v20, v21, v12
	ds_read_u8 v27, v27
	ds_read_u8 v21, v21
	s_waitcnt lgkmcnt(1)
	v_and_b32_e32 v27, v27, v25
	s_waitcnt lgkmcnt(0)
	v_and_b32_e32 v21, v21, v25
	v_cmp_gt_u16_sdwa s7, v21, v27 src0_sel:BYTE_0 src1_sel:BYTE_0
	v_cndmask_b32_e64 v26, v26, v13, s7
	v_cndmask_b32_e64 v10, v28, v10, s7
	v_cmp_ge_u32_e64 s7, v10, v26
	s_or_b32 s11, s7, s11
	s_andn2_b32 exec_lo, exec_lo, s11
	s_cbranch_execnz .LBB101_66
; %bb.67:
	s_or_b32 exec_lo, exec_lo, s11
.LBB101_68:
	s_or_b32 exec_lo, exec_lo, s10
	v_add_nc_u32_e32 v12, v34, v20
	v_cmp_le_u32_e64 s7, v10, v34
	v_sub_nc_u32_e32 v20, v12, v10
	v_cmp_le_u32_e64 s10, v20, v35
	s_or_b32 s7, s7, s10
	s_and_saveexec_b32 s17, s7
	s_cbranch_execz .LBB101_74
; %bb.69:
	v_cmp_lt_u32_e64 s7, v10, v34
                                        ; implicit-def: $vgpr12
	s_and_saveexec_b32 s10, s7
; %bb.70:
	v_add_nc_u32_e32 v4, v11, v10
	ds_read_u8 v12, v4
; %bb.71:
	s_or_b32 exec_lo, exec_lo, s10
	v_cmp_ge_u32_e64 s10, v20, v35
	s_mov_b32 s14, exec_lo
                                        ; implicit-def: $vgpr13
	v_cmpx_lt_u32_e64 v20, v35
; %bb.72:
	v_add_nc_u32_e32 v4, v11, v20
	ds_read_u8 v13, v4
; %bb.73:
	s_or_b32 exec_lo, exec_lo, s14
	s_waitcnt lgkmcnt(0)
	v_and_b32_e32 v4, v13, v25
	v_and_b32_e32 v5, v12, v25
	v_cmp_le_u16_sdwa s11, v4, v5 src0_sel:BYTE_0 src1_sel:BYTE_0
	s_and_b32 s7, s7, s11
	s_or_b32 s7, s10, s7
	v_cndmask_b32_e64 v4, v20, v10, s7
	v_cndmask_b32_e64 v5, v35, v34, s7
	v_add_nc_u32_e32 v14, 1, v4
	v_add_nc_u32_e32 v5, -1, v5
	v_lshl_add_u32 v4, v4, 3, v9
	v_min_u32_e32 v5, v14, v5
	v_add_nc_u32_e32 v5, v11, v5
	ds_read_u8 v5, v5
	s_waitcnt lgkmcnt(0)
	v_cndmask_b32_e64 v15, v5, v13, s7
	v_cndmask_b32_e64 v16, v12, v5, s7
	;; [unrolled: 1-line block ×4, first 2 shown]
	v_and_b32_e32 v10, v15, v25
	v_and_b32_e32 v17, v16, v25
	v_cmp_lt_u32_e64 s10, v5, v34
	v_cmp_ge_u32_e64 s11, v14, v35
	v_cmp_le_u16_sdwa s14, v10, v17 src0_sel:BYTE_0 src1_sel:BYTE_0
	s_and_b32 s10, s10, s14
	s_or_b32 s10, s11, s10
	v_cndmask_b32_e64 v10, v14, v5, s10
	v_cndmask_b32_e64 v17, v35, v34, s10
	v_add_nc_u32_e32 v18, 1, v10
	v_add_nc_u32_e32 v17, -1, v17
	v_lshl_add_u32 v10, v10, 3, v9
	v_cndmask_b32_e64 v5, v5, v18, s10
	v_min_u32_e32 v17, v18, v17
	v_cndmask_b32_e64 v14, v18, v14, s10
	v_cmp_lt_u32_e64 s11, v5, v34
	v_add_nc_u32_e32 v17, v11, v17
	v_cmp_ge_u32_e64 s14, v14, v35
	ds_read_u8 v17, v17
	s_waitcnt lgkmcnt(0)
	v_cndmask_b32_e64 v20, v17, v15, s10
	v_cndmask_b32_e64 v21, v16, v17, s10
	v_and_b32_e32 v17, v20, v25
	v_and_b32_e32 v19, v21, v25
	v_cmp_le_u16_sdwa s15, v17, v19 src0_sel:BYTE_0 src1_sel:BYTE_0
	s_and_b32 s11, s11, s15
	s_or_b32 s11, s14, s11
	v_cndmask_b32_e64 v17, v14, v5, s11
	v_cndmask_b32_e64 v18, v35, v34, s11
	v_add_nc_u32_e32 v19, 1, v17
	v_add_nc_u32_e32 v18, -1, v18
	v_lshl_add_u32 v17, v17, 3, v9
	v_cndmask_b32_e64 v5, v5, v19, s11
	v_min_u32_e32 v18, v19, v18
	v_cndmask_b32_e64 v14, v19, v14, s11
	v_cmp_lt_u32_e64 s14, v5, v34
	v_add_nc_u32_e32 v11, v11, v18
	v_cmp_ge_u32_e64 s15, v14, v35
	ds_read_u8 v11, v11
	s_waitcnt lgkmcnt(0)
	v_cndmask_b32_e64 v24, v11, v20, s11
	v_cndmask_b32_e64 v11, v21, v11, s11
	v_and_b32_e32 v18, v24, v25
	v_and_b32_e32 v25, v11, v25
	v_cmp_le_u16_sdwa s18, v18, v25 src0_sel:BYTE_0 src1_sel:BYTE_0
	v_cndmask_b32_e64 v25, v15, v16, s10
	s_and_b32 s14, s14, s18
	s_or_b32 s14, s15, s14
	v_cndmask_b32_e64 v14, v14, v5, s14
	ds_read_b64 v[4:5], v4 offset:1024
	v_lshl_add_u32 v9, v14, 3, v9
	ds_read_b64 v[14:15], v10 offset:1024
	ds_read_b64 v[18:19], v17 offset:1024
	v_cndmask_b32_e64 v10, v24, v11, s14
	v_cndmask_b32_e64 v11, v20, v21, s11
	ds_read_b64 v[16:17], v9 offset:1024
	v_cndmask_b32_e64 v9, v13, v12, s7
	v_lshlrev_b16 v10, 8, v10
	v_lshlrev_b16 v12, 8, v25
	v_or_b32_sdwa v10, v11, v10 dst_sel:WORD_1 dst_unused:UNUSED_PAD src0_sel:BYTE_0 src1_sel:DWORD
	v_or_b32_sdwa v9, v9, v12 dst_sel:DWORD dst_unused:UNUSED_PAD src0_sel:BYTE_0 src1_sel:DWORD
	v_or_b32_sdwa v24, v9, v10 dst_sel:DWORD dst_unused:UNUSED_PAD src0_sel:WORD_0 src1_sel:DWORD
.LBB101_74:
	s_or_b32 exec_lo, exec_lo, s17
	; wave barrier
	s_waitcnt lgkmcnt(0)
	s_waitcnt_vscnt null, 0x0
	s_barrier
                                        ; implicit-def: $vgpr12
                                        ; implicit-def: $vgpr13
                                        ; implicit-def: $vgpr20
                                        ; implicit-def: $vgpr21
                                        ; implicit-def: $vgpr9
.LBB101_75:
	s_andn2_saveexec_b32 s14, s16
	s_cbranch_execz .LBB101_137
; %bb.76:
	s_load_dwordx2 s[10:11], s[8:9], 0x0
	v_mov_b32_e32 v10, 0
	s_waitcnt lgkmcnt(0)
	s_cmp_lt_u32 s13, s11
	s_cselect_b32 s7, 14, 20
	s_add_u32 s16, s8, s7
	s_addc_u32 s17, s9, 0
	s_cmp_lt_u32 s12, s10
	global_load_ushort v11, v10, s[16:17]
	s_cselect_b32 s7, 12, 18
	s_add_u32 s8, s8, s7
	s_addc_u32 s9, s9, 0
	global_load_ushort v10, v10, s[8:9]
	s_mov_b32 s9, exec_lo
	s_waitcnt vmcnt(1)
	v_mad_u32_u24 v11, v21, v11, v20
	s_waitcnt vmcnt(0)
	v_mul_lo_u32 v10, v11, v10
	v_add_lshl_u32 v11, v10, v9, 2
	v_cmpx_gt_u32_e32 0x400, v11
	s_cbranch_execz .LBB101_86
; %bb.77:
	v_lshrrev_b32_e32 v9, 8, v24
	v_perm_b32 v10, v24, v24, 0x7060405
	v_cmp_gt_u16_sdwa s7, v9, v24 src0_sel:BYTE_0 src1_sel:BYTE_0
	v_cndmask_b32_e64 v24, v24, v10, s7
	v_mov_b32_e32 v9, v18
	v_mov_b32_e32 v10, v19
	v_lshrrev_b32_e32 v26, 16, v24
	v_lshrrev_b32_e32 v20, 24, v24
	;; [unrolled: 1-line block ×3, first 2 shown]
	v_cmp_gt_u16_sdwa s10, v20, v26 src0_sel:DWORD src1_sel:BYTE_0
	v_mov_b32_e32 v27, v20
	s_and_saveexec_b32 s8, s10
; %bb.78:
	v_mov_b32_e32 v9, v16
	v_mov_b32_e32 v10, v17
	;; [unrolled: 1-line block ×6, first 2 shown]
; %bb.79:
	s_or_b32 exec_lo, exec_lo, s8
	v_cndmask_b32_e64 v20, v14, v4, s7
	v_cndmask_b32_e64 v21, v15, v5, s7
	v_cmp_gt_u16_sdwa s8, v26, v25 src0_sel:BYTE_0 src1_sel:BYTE_0
	v_mov_b32_e32 v18, v20
	v_mov_b32_e32 v19, v21
	s_and_saveexec_b32 s10, s8
	s_xor_b32 s8, exec_lo, s10
; %bb.80:
	v_mov_b32_e32 v19, v10
	v_mov_b32_e32 v28, v25
	;; [unrolled: 1-line block ×4, first 2 shown]
	v_swap_b32 v25, v26
	v_mov_b32_e32 v10, v21
; %bb.81:
	s_or_b32 exec_lo, exec_lo, s8
	v_perm_b32 v20, v26, v27, 0xc0c0004
	v_perm_b32 v21, v25, v24, 0xc0c0004
	;; [unrolled: 1-line block ×3, first 2 shown]
	v_cmp_gt_u16_sdwa s8, v25, v24 src0_sel:BYTE_0 src1_sel:BYTE_0
	v_lshlrev_b32_e32 v20, 16, v20
	v_or_b32_e32 v21, v21, v20
	v_or_b32_e32 v20, v26, v20
	v_cndmask_b32_e64 v24, v20, v21, s8
	v_mov_b32_e32 v21, v10
	v_mov_b32_e32 v20, v9
	v_lshrrev_b32_e32 v25, 16, v24
	v_lshrrev_b32_e32 v26, 24, v24
	v_cmp_gt_u16_sdwa s11, v26, v25 src0_sel:DWORD src1_sel:BYTE_0
	s_and_saveexec_b32 s10, s11
; %bb.82:
	v_mov_b32_e32 v21, v17
	v_mov_b32_e32 v20, v16
	;; [unrolled: 1-line block ×3, first 2 shown]
	v_perm_b32 v24, v24, v24, 0x6070504
	v_mov_b32_e32 v16, v9
	v_mov_b32_e32 v25, v26
; %bb.83:
	s_or_b32 exec_lo, exec_lo, s10
	v_cndmask_b32_e64 v9, v5, v15, s7
	v_cndmask_b32_e64 v10, v4, v14, s7
	v_lshrrev_b32_e32 v26, 8, v24
	v_cndmask_b32_e64 v5, v9, v19, s8
	v_cndmask_b32_e64 v4, v10, v18, s8
	;; [unrolled: 1-line block ×4, first 2 shown]
	v_mov_b32_e32 v18, v20
	v_cmp_gt_u16_sdwa s8, v25, v26 src0_sel:BYTE_0 src1_sel:BYTE_0
	v_mov_b32_e32 v19, v21
	s_and_saveexec_b32 s7, s8
; %bb.84:
	v_mov_b32_e32 v19, v15
	v_mov_b32_e32 v18, v14
	;; [unrolled: 1-line block ×3, first 2 shown]
	v_perm_b32 v24, v24, v25, 0x7050004
	v_mov_b32_e32 v15, v21
; %bb.85:
	s_or_b32 exec_lo, exec_lo, s7
.LBB101_86:
	s_or_b32 exec_lo, exec_lo, s9
	v_and_b32_e32 v9, 0xffffff80, v11
	v_or_b32_e32 v10, 4, v22
	v_and_b32_e32 v28, 0x78, v22
	s_mov_b32 s8, exec_lo
	v_sub_nc_u32_e64 v20, 0x400, v9 clamp
	v_add_co_u32 v11, s7, v12, v9
	v_add_co_ci_u32_e64 v12, null, 0, v13, s7
	v_min_u32_e32 v26, v20, v10
	v_and_b32_e32 v13, 4, v22
	v_add_nc_u32_e32 v10, 4, v26
	v_min_u32_e32 v29, v20, v13
	v_min_u32_e32 v27, v20, v10
	v_mad_u64_u32 v[9:10], null, v9, 7, v[11:12]
	v_sub_nc_u32_e32 v10, v26, v28
	v_sub_nc_u32_e32 v21, v27, v26
	v_min_u32_e32 v13, v29, v10
	v_lshl_add_u32 v12, v22, 3, v9
	v_sub_nc_u32_e64 v30, v29, v21 clamp
	v_add_co_u32 v10, null, v11, v22
	ds_write2_b64 v12, v[4:5], v[14:15] offset0:128 offset1:129
	ds_write_b64 v12, v[18:19] offset:1040
	ds_write_b32 v10, v24
	ds_write_b64 v12, v[16:17] offset:1048
	; wave barrier
	v_cmpx_lt_u32_e64 v30, v13
	s_cbranch_execz .LBB101_90
; %bb.87:
	v_add_co_u32 v21, null, v11, v28
	v_add_co_u32 v25, null, v11, v26
	s_mov_b32 s9, 0
	.p2align	6
.LBB101_88:                             ; =>This Inner Loop Header: Depth=1
	v_add_nc_u32_e32 v31, v13, v30
	v_lshrrev_b32_e32 v31, 1, v31
	v_not_b32_e32 v32, v31
	v_add_nc_u32_e32 v33, v21, v31
	v_add_nc_u32_e32 v34, 1, v31
	v_add3_u32 v32, v29, v32, v25
	ds_read_u8 v33, v33
	ds_read_u8 v32, v32
	s_waitcnt lgkmcnt(0)
	v_cmp_gt_u16_e64 s7, v32, v33
	v_cndmask_b32_e64 v13, v13, v31, s7
	v_cndmask_b32_e64 v30, v34, v30, s7
	v_cmp_ge_u32_e64 s7, v30, v13
	s_or_b32 s9, s7, s9
	s_andn2_b32 exec_lo, exec_lo, s9
	s_cbranch_execnz .LBB101_88
; %bb.89:
	s_or_b32 exec_lo, exec_lo, s9
.LBB101_90:
	s_or_b32 exec_lo, exec_lo, s8
	v_add_nc_u32_e32 v29, v26, v29
	v_add_nc_u32_e32 v34, v30, v28
	;; [unrolled: 1-line block ×5, first 2 shown]
	v_sub_nc_u32_e32 v33, v29, v30
	v_cmp_le_u32_e64 s7, v34, v26
	v_add_nc_u32_e32 v12, 0x418, v12
	v_lshrrev_b32_e32 v31, 16, v24
	v_lshrrev_b32_e32 v29, 8, v24
	v_cmp_le_u32_e64 s8, v33, v27
	v_lshrrev_b32_e32 v30, 24, v24
	v_mov_b32_e32 v32, v24
	s_or_b32 s7, s7, s8
	s_and_saveexec_b32 s12, s7
	s_cbranch_execz .LBB101_96
; %bb.91:
	v_cmp_lt_u32_e64 s7, v34, v26
                                        ; implicit-def: $vgpr24
	s_and_saveexec_b32 s8, s7
; %bb.92:
	v_add_nc_u32_e32 v4, v11, v34
	ds_read_u8 v24, v4
; %bb.93:
	s_or_b32 exec_lo, exec_lo, s8
	v_cmp_ge_u32_e64 s8, v33, v27
	s_mov_b32 s10, exec_lo
                                        ; implicit-def: $vgpr28
	v_cmpx_lt_u32_e64 v33, v27
; %bb.94:
	v_add_nc_u32_e32 v4, v11, v33
	ds_read_u8 v28, v4
; %bb.95:
	s_or_b32 exec_lo, exec_lo, s10
	s_waitcnt lgkmcnt(0)
	v_cmp_le_u16_sdwa s9, v28, v24 src0_sel:BYTE_0 src1_sel:BYTE_0
	s_and_b32 s7, s7, s9
	s_or_b32 s7, s8, s7
	v_cndmask_b32_e64 v4, v33, v34, s7
	v_cndmask_b32_e64 v5, v27, v26, s7
	v_add_nc_u32_e32 v14, 1, v4
	v_add_nc_u32_e32 v5, -1, v5
	v_lshl_add_u32 v4, v4, 3, v9
	v_cndmask_b32_e64 v15, v34, v14, s7
	v_min_u32_e32 v5, v14, v5
	v_cmp_lt_u32_e64 s8, v15, v26
	v_add_nc_u32_e32 v5, v11, v5
	ds_read_u8 v5, v5
	s_waitcnt lgkmcnt(0)
	v_cndmask_b32_e64 v16, v5, v28, s7
	v_cndmask_b32_e64 v17, v24, v5, s7
	;; [unrolled: 1-line block ×3, first 2 shown]
	v_cmp_le_u16_sdwa s10, v16, v17 src0_sel:BYTE_0 src1_sel:BYTE_0
	v_cmp_ge_u32_e64 s9, v5, v27
	s_and_b32 s8, s8, s10
	s_or_b32 s8, s9, s8
	v_cndmask_b32_e64 v14, v5, v15, s8
	v_cndmask_b32_e64 v18, v27, v26, s8
	v_add_nc_u32_e32 v19, 1, v14
	v_add_nc_u32_e32 v18, -1, v18
	v_lshl_add_u32 v14, v14, 3, v9
	v_cndmask_b32_e64 v15, v15, v19, s8
	v_min_u32_e32 v18, v19, v18
	v_cndmask_b32_e64 v5, v19, v5, s8
	v_cmp_lt_u32_e64 s9, v15, v26
	v_add_nc_u32_e32 v18, v11, v18
	v_cmp_ge_u32_e64 s10, v5, v27
	ds_read_u8 v18, v18
	s_waitcnt lgkmcnt(0)
	v_cndmask_b32_e64 v31, v18, v16, s8
	v_cndmask_b32_e64 v33, v17, v18, s8
	v_cmp_le_u16_sdwa s11, v31, v33 src0_sel:BYTE_0 src1_sel:BYTE_0
	s_and_b32 s9, s9, s11
	s_or_b32 s9, s10, s9
	v_cndmask_b32_e64 v18, v5, v15, s9
	v_cndmask_b32_e64 v19, v27, v26, s9
	v_add_nc_u32_e32 v29, 1, v18
	v_add_nc_u32_e32 v19, -1, v19
	v_lshl_add_u32 v18, v18, 3, v9
	v_cndmask_b32_e64 v15, v15, v29, s9
	v_min_u32_e32 v19, v29, v19
	v_cndmask_b32_e64 v5, v29, v5, s9
	v_cndmask_b32_e64 v29, v16, v17, s8
	v_cmp_lt_u32_e64 s10, v15, v26
	v_add_nc_u32_e32 v19, v11, v19
	v_cmp_ge_u32_e64 s11, v5, v27
	ds_read_u8 v19, v19
	s_waitcnt lgkmcnt(0)
	v_cndmask_b32_e64 v30, v19, v31, s9
	v_cndmask_b32_e64 v32, v33, v19, s9
	;; [unrolled: 1-line block ×3, first 2 shown]
	v_cmp_le_u16_sdwa s13, v30, v32 src0_sel:BYTE_0 src1_sel:BYTE_0
	s_and_b32 s10, s10, s13
	s_or_b32 s10, s11, s10
	v_cndmask_b32_e64 v15, v5, v15, s10
	ds_read_b64 v[4:5], v4 offset:1024
	v_cndmask_b32_e64 v30, v30, v32, s10
	v_cndmask_b32_e64 v32, v28, v24, s7
	v_lshl_add_u32 v26, v15, 3, v9
	ds_read_b64 v[14:15], v14 offset:1024
	ds_read_b64 v[18:19], v18 offset:1024
	v_lshlrev_b16 v24, 8, v30
	ds_read_b64 v[16:17], v26 offset:1024
	v_lshlrev_b16 v26, 8, v29
	v_or_b32_sdwa v24, v31, v24 dst_sel:WORD_1 dst_unused:UNUSED_PAD src0_sel:BYTE_0 src1_sel:DWORD
	v_or_b32_sdwa v26, v32, v26 dst_sel:DWORD dst_unused:UNUSED_PAD src0_sel:BYTE_0 src1_sel:DWORD
	v_or_b32_sdwa v24, v26, v24 dst_sel:DWORD dst_unused:UNUSED_PAD src0_sel:WORD_0 src1_sel:DWORD
.LBB101_96:
	s_or_b32 exec_lo, exec_lo, s12
	v_and_b32_e32 v35, 0x70, v22
	v_and_b32_e32 v27, 12, v22
	s_mov_b32 s8, exec_lo
	; wave barrier
	v_or_b32_e32 v26, 8, v35
	v_min_u32_e32 v36, v20, v27
	ds_write_b8 v10, v32
	s_waitcnt lgkmcnt(4)
	ds_write_b64 v25, v[4:5]
	ds_write_b8 v10, v29 offset:1
	s_waitcnt lgkmcnt(5)
	ds_write_b64 v21, v[14:15]
	ds_write_b8 v10, v31 offset:2
	;; [unrolled: 3-line block ×3, first 2 shown]
	s_waitcnt lgkmcnt(7)
	ds_write_b64 v12, v[16:17]
	v_min_u32_e32 v33, v20, v26
	; wave barrier
	v_add_nc_u32_e32 v26, 8, v33
	v_sub_nc_u32_e32 v27, v33, v35
	v_min_u32_e32 v34, v20, v26
	v_sub_nc_u32_e32 v26, v34, v33
	v_sub_nc_u32_e64 v37, v36, v26 clamp
	v_min_u32_e32 v26, v36, v27
	v_cmpx_lt_u32_e64 v37, v26
	s_cbranch_execz .LBB101_100
; %bb.97:
	v_add_co_u32 v27, null, v11, v35
	v_add_co_u32 v28, null, v11, v33
	s_mov_b32 s9, 0
	.p2align	6
.LBB101_98:                             ; =>This Inner Loop Header: Depth=1
	v_add_nc_u32_e32 v38, v26, v37
	v_lshrrev_b32_e32 v38, 1, v38
	v_not_b32_e32 v39, v38
	v_add_nc_u32_e32 v48, v27, v38
	v_add_nc_u32_e32 v49, 1, v38
	v_add3_u32 v39, v36, v39, v28
	ds_read_u8 v48, v48
	ds_read_u8 v39, v39
	s_waitcnt lgkmcnt(0)
	v_cmp_gt_u16_e64 s7, v39, v48
	v_cndmask_b32_e64 v26, v26, v38, s7
	v_cndmask_b32_e64 v37, v49, v37, s7
	v_cmp_ge_u32_e64 s7, v37, v26
	s_or_b32 s9, s7, s9
	s_andn2_b32 exec_lo, exec_lo, s9
	s_cbranch_execnz .LBB101_98
; %bb.99:
	s_or_b32 exec_lo, exec_lo, s9
.LBB101_100:
	s_or_b32 exec_lo, exec_lo, s8
	v_add_nc_u32_e32 v38, v33, v36
	v_add_nc_u32_e32 v36, v37, v35
	;; [unrolled: 1-line block ×5, first 2 shown]
	v_sub_nc_u32_e32 v35, v38, v37
	v_cmp_le_u32_e64 s7, v36, v33
	v_cmp_le_u32_e64 s8, v35, v34
	s_or_b32 s7, s7, s8
	s_and_saveexec_b32 s12, s7
	s_cbranch_execz .LBB101_106
; %bb.101:
	v_cmp_lt_u32_e64 s7, v36, v33
                                        ; implicit-def: $vgpr24
	s_and_saveexec_b32 s8, s7
; %bb.102:
	v_add_nc_u32_e32 v4, v11, v36
	ds_read_u8 v24, v4
; %bb.103:
	s_or_b32 exec_lo, exec_lo, s8
	v_cmp_ge_u32_e64 s8, v35, v34
	s_mov_b32 s10, exec_lo
                                        ; implicit-def: $vgpr31
	v_cmpx_lt_u32_e64 v35, v34
; %bb.104:
	v_add_nc_u32_e32 v4, v11, v35
	ds_read_u8 v31, v4
; %bb.105:
	s_or_b32 exec_lo, exec_lo, s10
	s_waitcnt lgkmcnt(0)
	v_cmp_le_u16_sdwa s9, v31, v24 src0_sel:BYTE_0 src1_sel:BYTE_0
	s_and_b32 s7, s7, s9
	s_or_b32 s7, s8, s7
	v_cndmask_b32_e64 v4, v35, v36, s7
	v_cndmask_b32_e64 v5, v34, v33, s7
	v_add_nc_u32_e32 v14, 1, v4
	v_add_nc_u32_e32 v5, -1, v5
	v_lshl_add_u32 v4, v4, 3, v9
	v_cndmask_b32_e64 v15, v36, v14, s7
	v_min_u32_e32 v5, v14, v5
	v_cmp_lt_u32_e64 s8, v15, v33
	v_add_nc_u32_e32 v5, v11, v5
	ds_read_u8 v5, v5
	s_waitcnt lgkmcnt(0)
	v_cndmask_b32_e64 v16, v5, v31, s7
	v_cndmask_b32_e64 v17, v24, v5, s7
	;; [unrolled: 1-line block ×3, first 2 shown]
	v_cmp_le_u16_sdwa s10, v16, v17 src0_sel:BYTE_0 src1_sel:BYTE_0
	v_cmp_ge_u32_e64 s9, v5, v34
	s_and_b32 s8, s8, s10
	s_or_b32 s8, s9, s8
	v_cndmask_b32_e64 v14, v5, v15, s8
	v_cndmask_b32_e64 v18, v34, v33, s8
	v_add_nc_u32_e32 v19, 1, v14
	v_add_nc_u32_e32 v18, -1, v18
	v_lshl_add_u32 v14, v14, 3, v9
	v_cndmask_b32_e64 v15, v15, v19, s8
	v_min_u32_e32 v18, v19, v18
	v_cndmask_b32_e64 v5, v19, v5, s8
	v_cmp_lt_u32_e64 s9, v15, v33
	v_add_nc_u32_e32 v18, v11, v18
	v_cmp_ge_u32_e64 s10, v5, v34
	ds_read_u8 v18, v18
	s_waitcnt lgkmcnt(0)
	v_cndmask_b32_e64 v35, v18, v16, s8
	v_cndmask_b32_e64 v36, v17, v18, s8
	v_cmp_le_u16_sdwa s11, v35, v36 src0_sel:BYTE_0 src1_sel:BYTE_0
	s_and_b32 s9, s9, s11
	s_or_b32 s9, s10, s9
	v_cndmask_b32_e64 v18, v5, v15, s9
	v_cndmask_b32_e64 v19, v34, v33, s9
	v_add_nc_u32_e32 v29, 1, v18
	v_add_nc_u32_e32 v19, -1, v19
	v_lshl_add_u32 v18, v18, 3, v9
	v_cndmask_b32_e64 v15, v15, v29, s9
	v_min_u32_e32 v19, v29, v19
	v_cndmask_b32_e64 v5, v29, v5, s9
	v_cndmask_b32_e64 v29, v16, v17, s8
	v_cmp_lt_u32_e64 s10, v15, v33
	v_add_nc_u32_e32 v19, v11, v19
	v_cmp_ge_u32_e64 s11, v5, v34
	ds_read_u8 v19, v19
	s_waitcnt lgkmcnt(0)
	v_cndmask_b32_e64 v30, v19, v35, s9
	v_cndmask_b32_e64 v32, v36, v19, s9
	v_cmp_le_u16_sdwa s13, v30, v32 src0_sel:BYTE_0 src1_sel:BYTE_0
	s_and_b32 s10, s10, s13
	s_or_b32 s10, s11, s10
	v_cndmask_b32_e64 v15, v5, v15, s10
	ds_read_b64 v[4:5], v4 offset:1024
	v_cndmask_b32_e64 v30, v30, v32, s10
	v_cndmask_b32_e64 v32, v31, v24, s7
	;; [unrolled: 1-line block ×3, first 2 shown]
	v_lshl_add_u32 v33, v15, 3, v9
	ds_read_b64 v[14:15], v14 offset:1024
	ds_read_b64 v[18:19], v18 offset:1024
	v_lshlrev_b16 v24, 8, v30
	ds_read_b64 v[16:17], v33 offset:1024
	v_lshlrev_b16 v33, 8, v29
	v_or_b32_sdwa v24, v31, v24 dst_sel:WORD_1 dst_unused:UNUSED_PAD src0_sel:BYTE_0 src1_sel:DWORD
	v_or_b32_sdwa v33, v32, v33 dst_sel:DWORD dst_unused:UNUSED_PAD src0_sel:BYTE_0 src1_sel:DWORD
	v_or_b32_sdwa v24, v33, v24 dst_sel:DWORD dst_unused:UNUSED_PAD src0_sel:WORD_0 src1_sel:DWORD
.LBB101_106:
	s_or_b32 exec_lo, exec_lo, s12
	v_and_b32_e32 v35, 0x60, v22
	v_and_b32_e32 v36, 28, v22
	s_mov_b32 s8, exec_lo
	; wave barrier
	v_or_b32_e32 v33, 16, v35
	v_min_u32_e32 v36, v20, v36
	ds_write_b8 v10, v32
	s_waitcnt lgkmcnt(4)
	ds_write_b64 v25, v[4:5]
	ds_write_b8 v28, v29
	s_waitcnt lgkmcnt(5)
	ds_write_b64 v21, v[14:15]
	;; [unrolled: 3-line block ×4, first 2 shown]
	v_min_u32_e32 v33, v20, v33
	; wave barrier
	v_add_nc_u32_e32 v34, 16, v33
	v_sub_nc_u32_e32 v38, v33, v35
	v_min_u32_e32 v34, v20, v34
	v_min_u32_e32 v38, v36, v38
	v_sub_nc_u32_e32 v37, v34, v33
	v_sub_nc_u32_e64 v37, v36, v37 clamp
	v_cmpx_lt_u32_e64 v37, v38
	s_cbranch_execz .LBB101_110
; %bb.107:
	v_add_co_u32 v39, null, v11, v35
	v_add_co_u32 v48, null, v11, v33
	s_mov_b32 s9, 0
	.p2align	6
.LBB101_108:                            ; =>This Inner Loop Header: Depth=1
	v_add_nc_u32_e32 v49, v38, v37
	v_lshrrev_b32_e32 v49, 1, v49
	v_not_b32_e32 v50, v49
	v_add_nc_u32_e32 v51, v39, v49
	v_add_nc_u32_e32 v52, 1, v49
	v_add3_u32 v50, v36, v50, v48
	ds_read_u8 v51, v51
	ds_read_u8 v50, v50
	s_waitcnt lgkmcnt(0)
	v_cmp_gt_u16_e64 s7, v50, v51
	v_cndmask_b32_e64 v38, v38, v49, s7
	v_cndmask_b32_e64 v37, v52, v37, s7
	v_cmp_ge_u32_e64 s7, v37, v38
	s_or_b32 s9, s7, s9
	s_andn2_b32 exec_lo, exec_lo, s9
	s_cbranch_execnz .LBB101_108
; %bb.109:
	s_or_b32 exec_lo, exec_lo, s9
.LBB101_110:
	s_or_b32 exec_lo, exec_lo, s8
	v_add_nc_u32_e32 v38, v33, v36
	v_add_nc_u32_e32 v36, v37, v35
	v_sub_nc_u32_e32 v35, v38, v37
	v_cmp_le_u32_e64 s7, v36, v33
	v_cmp_le_u32_e64 s8, v35, v34
	s_or_b32 s7, s7, s8
	s_and_saveexec_b32 s12, s7
	s_cbranch_execz .LBB101_116
; %bb.111:
	v_cmp_lt_u32_e64 s7, v36, v33
                                        ; implicit-def: $vgpr24
	s_and_saveexec_b32 s8, s7
; %bb.112:
	v_add_nc_u32_e32 v4, v11, v36
	ds_read_u8 v24, v4
; %bb.113:
	s_or_b32 exec_lo, exec_lo, s8
	v_cmp_ge_u32_e64 s8, v35, v34
	s_mov_b32 s10, exec_lo
                                        ; implicit-def: $vgpr31
	v_cmpx_lt_u32_e64 v35, v34
; %bb.114:
	v_add_nc_u32_e32 v4, v11, v35
	ds_read_u8 v31, v4
; %bb.115:
	s_or_b32 exec_lo, exec_lo, s10
	s_waitcnt lgkmcnt(0)
	v_cmp_le_u16_sdwa s9, v31, v24 src0_sel:BYTE_0 src1_sel:BYTE_0
	s_and_b32 s7, s7, s9
	s_or_b32 s7, s8, s7
	v_cndmask_b32_e64 v4, v35, v36, s7
	v_cndmask_b32_e64 v5, v34, v33, s7
	v_add_nc_u32_e32 v14, 1, v4
	v_add_nc_u32_e32 v5, -1, v5
	v_lshl_add_u32 v4, v4, 3, v9
	v_cndmask_b32_e64 v15, v36, v14, s7
	v_min_u32_e32 v5, v14, v5
	v_cmp_lt_u32_e64 s8, v15, v33
	v_add_nc_u32_e32 v5, v11, v5
	ds_read_u8 v5, v5
	s_waitcnt lgkmcnt(0)
	v_cndmask_b32_e64 v16, v5, v31, s7
	v_cndmask_b32_e64 v17, v24, v5, s7
	;; [unrolled: 1-line block ×3, first 2 shown]
	v_cmp_le_u16_sdwa s10, v16, v17 src0_sel:BYTE_0 src1_sel:BYTE_0
	v_cmp_ge_u32_e64 s9, v5, v34
	s_and_b32 s8, s8, s10
	s_or_b32 s8, s9, s8
	v_cndmask_b32_e64 v14, v5, v15, s8
	v_cndmask_b32_e64 v18, v34, v33, s8
	v_add_nc_u32_e32 v19, 1, v14
	v_add_nc_u32_e32 v18, -1, v18
	v_lshl_add_u32 v14, v14, 3, v9
	v_cndmask_b32_e64 v15, v15, v19, s8
	v_min_u32_e32 v18, v19, v18
	v_cndmask_b32_e64 v5, v19, v5, s8
	v_cmp_lt_u32_e64 s9, v15, v33
	v_add_nc_u32_e32 v18, v11, v18
	v_cmp_ge_u32_e64 s10, v5, v34
	ds_read_u8 v18, v18
	s_waitcnt lgkmcnt(0)
	v_cndmask_b32_e64 v35, v18, v16, s8
	v_cndmask_b32_e64 v36, v17, v18, s8
	v_cmp_le_u16_sdwa s11, v35, v36 src0_sel:BYTE_0 src1_sel:BYTE_0
	s_and_b32 s9, s9, s11
	s_or_b32 s9, s10, s9
	v_cndmask_b32_e64 v18, v5, v15, s9
	v_cndmask_b32_e64 v19, v34, v33, s9
	v_add_nc_u32_e32 v29, 1, v18
	v_add_nc_u32_e32 v19, -1, v19
	v_lshl_add_u32 v18, v18, 3, v9
	v_cndmask_b32_e64 v15, v15, v29, s9
	v_min_u32_e32 v19, v29, v19
	v_cndmask_b32_e64 v5, v29, v5, s9
	v_cndmask_b32_e64 v29, v16, v17, s8
	v_cmp_lt_u32_e64 s10, v15, v33
	v_add_nc_u32_e32 v19, v11, v19
	v_cmp_ge_u32_e64 s11, v5, v34
	ds_read_u8 v19, v19
	s_waitcnt lgkmcnt(0)
	v_cndmask_b32_e64 v30, v19, v35, s9
	v_cndmask_b32_e64 v32, v36, v19, s9
	v_cmp_le_u16_sdwa s13, v30, v32 src0_sel:BYTE_0 src1_sel:BYTE_0
	s_and_b32 s10, s10, s13
	s_or_b32 s10, s11, s10
	v_cndmask_b32_e64 v15, v5, v15, s10
	ds_read_b64 v[4:5], v4 offset:1024
	v_cndmask_b32_e64 v30, v30, v32, s10
	v_cndmask_b32_e64 v32, v31, v24, s7
	;; [unrolled: 1-line block ×3, first 2 shown]
	v_lshl_add_u32 v33, v15, 3, v9
	ds_read_b64 v[14:15], v14 offset:1024
	ds_read_b64 v[18:19], v18 offset:1024
	v_lshlrev_b16 v24, 8, v30
	ds_read_b64 v[16:17], v33 offset:1024
	v_lshlrev_b16 v33, 8, v29
	v_or_b32_sdwa v24, v31, v24 dst_sel:WORD_1 dst_unused:UNUSED_PAD src0_sel:BYTE_0 src1_sel:DWORD
	v_or_b32_sdwa v33, v32, v33 dst_sel:DWORD dst_unused:UNUSED_PAD src0_sel:BYTE_0 src1_sel:DWORD
	v_or_b32_sdwa v24, v33, v24 dst_sel:DWORD dst_unused:UNUSED_PAD src0_sel:WORD_0 src1_sel:DWORD
.LBB101_116:
	s_or_b32 exec_lo, exec_lo, s12
	v_and_b32_e32 v35, 64, v22
	v_and_b32_e32 v36, 60, v22
	s_mov_b32 s8, exec_lo
	; wave barrier
	v_or_b32_e32 v33, 32, v35
	v_min_u32_e32 v36, v20, v36
	ds_write_b8 v10, v32
	s_waitcnt lgkmcnt(4)
	ds_write_b64 v25, v[4:5]
	ds_write_b8 v28, v29
	s_waitcnt lgkmcnt(5)
	ds_write_b64 v21, v[14:15]
	;; [unrolled: 3-line block ×4, first 2 shown]
	v_min_u32_e32 v33, v20, v33
	; wave barrier
	v_add_nc_u32_e32 v34, 32, v33
	v_sub_nc_u32_e32 v38, v33, v35
	v_min_u32_e32 v34, v20, v34
	v_min_u32_e32 v38, v36, v38
	v_sub_nc_u32_e32 v37, v34, v33
	v_sub_nc_u32_e64 v37, v36, v37 clamp
	v_cmpx_lt_u32_e64 v37, v38
	s_cbranch_execz .LBB101_120
; %bb.117:
	v_add_co_u32 v39, null, v11, v35
	v_add_co_u32 v48, null, v11, v33
	s_mov_b32 s9, 0
	.p2align	6
.LBB101_118:                            ; =>This Inner Loop Header: Depth=1
	v_add_nc_u32_e32 v49, v38, v37
	v_lshrrev_b32_e32 v49, 1, v49
	v_not_b32_e32 v50, v49
	v_add_nc_u32_e32 v51, v39, v49
	v_add_nc_u32_e32 v52, 1, v49
	v_add3_u32 v50, v36, v50, v48
	ds_read_u8 v51, v51
	ds_read_u8 v50, v50
	s_waitcnt lgkmcnt(0)
	v_cmp_gt_u16_e64 s7, v50, v51
	v_cndmask_b32_e64 v38, v38, v49, s7
	v_cndmask_b32_e64 v37, v52, v37, s7
	v_cmp_ge_u32_e64 s7, v37, v38
	s_or_b32 s9, s7, s9
	s_andn2_b32 exec_lo, exec_lo, s9
	s_cbranch_execnz .LBB101_118
; %bb.119:
	s_or_b32 exec_lo, exec_lo, s9
.LBB101_120:
	s_or_b32 exec_lo, exec_lo, s8
	v_add_nc_u32_e32 v38, v33, v36
	v_add_nc_u32_e32 v36, v37, v35
	v_sub_nc_u32_e32 v35, v38, v37
	v_cmp_le_u32_e64 s7, v36, v33
	v_cmp_le_u32_e64 s8, v35, v34
	s_or_b32 s7, s7, s8
	s_and_saveexec_b32 s12, s7
	s_cbranch_execz .LBB101_126
; %bb.121:
	v_cmp_lt_u32_e64 s7, v36, v33
                                        ; implicit-def: $vgpr24
	s_and_saveexec_b32 s8, s7
; %bb.122:
	v_add_nc_u32_e32 v4, v11, v36
	ds_read_u8 v24, v4
; %bb.123:
	s_or_b32 exec_lo, exec_lo, s8
	v_cmp_ge_u32_e64 s8, v35, v34
	s_mov_b32 s10, exec_lo
                                        ; implicit-def: $vgpr31
	v_cmpx_lt_u32_e64 v35, v34
; %bb.124:
	v_add_nc_u32_e32 v4, v11, v35
	ds_read_u8 v31, v4
; %bb.125:
	s_or_b32 exec_lo, exec_lo, s10
	s_waitcnt lgkmcnt(0)
	v_cmp_le_u16_sdwa s9, v31, v24 src0_sel:BYTE_0 src1_sel:BYTE_0
	s_and_b32 s7, s7, s9
	s_or_b32 s7, s8, s7
	v_cndmask_b32_e64 v4, v35, v36, s7
	v_cndmask_b32_e64 v5, v34, v33, s7
	v_add_nc_u32_e32 v14, 1, v4
	v_add_nc_u32_e32 v5, -1, v5
	v_lshl_add_u32 v4, v4, 3, v9
	v_cndmask_b32_e64 v15, v36, v14, s7
	v_min_u32_e32 v5, v14, v5
	v_cmp_lt_u32_e64 s8, v15, v33
	v_add_nc_u32_e32 v5, v11, v5
	ds_read_u8 v5, v5
	s_waitcnt lgkmcnt(0)
	v_cndmask_b32_e64 v16, v5, v31, s7
	v_cndmask_b32_e64 v17, v24, v5, s7
	;; [unrolled: 1-line block ×3, first 2 shown]
	v_cmp_le_u16_sdwa s10, v16, v17 src0_sel:BYTE_0 src1_sel:BYTE_0
	v_cmp_ge_u32_e64 s9, v5, v34
	s_and_b32 s8, s8, s10
	s_or_b32 s8, s9, s8
	v_cndmask_b32_e64 v14, v5, v15, s8
	v_cndmask_b32_e64 v18, v34, v33, s8
	v_add_nc_u32_e32 v19, 1, v14
	v_add_nc_u32_e32 v18, -1, v18
	v_lshl_add_u32 v14, v14, 3, v9
	v_cndmask_b32_e64 v15, v15, v19, s8
	v_min_u32_e32 v18, v19, v18
	v_cndmask_b32_e64 v5, v19, v5, s8
	v_cmp_lt_u32_e64 s9, v15, v33
	v_add_nc_u32_e32 v18, v11, v18
	v_cmp_ge_u32_e64 s10, v5, v34
	ds_read_u8 v18, v18
	s_waitcnt lgkmcnt(0)
	v_cndmask_b32_e64 v35, v18, v16, s8
	v_cndmask_b32_e64 v36, v17, v18, s8
	v_cmp_le_u16_sdwa s11, v35, v36 src0_sel:BYTE_0 src1_sel:BYTE_0
	s_and_b32 s9, s9, s11
	s_or_b32 s9, s10, s9
	v_cndmask_b32_e64 v18, v5, v15, s9
	v_cndmask_b32_e64 v19, v34, v33, s9
	v_add_nc_u32_e32 v29, 1, v18
	v_add_nc_u32_e32 v19, -1, v19
	v_lshl_add_u32 v18, v18, 3, v9
	v_cndmask_b32_e64 v15, v15, v29, s9
	v_min_u32_e32 v19, v29, v19
	v_cndmask_b32_e64 v5, v29, v5, s9
	v_cndmask_b32_e64 v29, v16, v17, s8
	v_cmp_lt_u32_e64 s10, v15, v33
	v_add_nc_u32_e32 v19, v11, v19
	v_cmp_ge_u32_e64 s11, v5, v34
	ds_read_u8 v19, v19
	s_waitcnt lgkmcnt(0)
	v_cndmask_b32_e64 v30, v19, v35, s9
	v_cndmask_b32_e64 v32, v36, v19, s9
	v_cmp_le_u16_sdwa s13, v30, v32 src0_sel:BYTE_0 src1_sel:BYTE_0
	s_and_b32 s10, s10, s13
	s_or_b32 s10, s11, s10
	v_cndmask_b32_e64 v15, v5, v15, s10
	ds_read_b64 v[4:5], v4 offset:1024
	v_cndmask_b32_e64 v30, v30, v32, s10
	v_cndmask_b32_e64 v32, v31, v24, s7
	;; [unrolled: 1-line block ×3, first 2 shown]
	v_lshl_add_u32 v33, v15, 3, v9
	ds_read_b64 v[14:15], v14 offset:1024
	ds_read_b64 v[18:19], v18 offset:1024
	v_lshlrev_b16 v24, 8, v30
	ds_read_b64 v[16:17], v33 offset:1024
	v_lshlrev_b16 v33, 8, v29
	v_or_b32_sdwa v24, v31, v24 dst_sel:WORD_1 dst_unused:UNUSED_PAD src0_sel:BYTE_0 src1_sel:DWORD
	v_or_b32_sdwa v33, v32, v33 dst_sel:DWORD dst_unused:UNUSED_PAD src0_sel:BYTE_0 src1_sel:DWORD
	v_or_b32_sdwa v24, v33, v24 dst_sel:DWORD dst_unused:UNUSED_PAD src0_sel:WORD_0 src1_sel:DWORD
.LBB101_126:
	s_or_b32 exec_lo, exec_lo, s12
	v_min_u32_e32 v33, 64, v20
	; wave barrier
	ds_write_b8 v10, v32
	s_waitcnt lgkmcnt(4)
	ds_write_b64 v25, v[4:5]
	s_mov_b32 s8, exec_lo
	v_add_nc_u32_e32 v34, 64, v33
	ds_write_b8 v28, v29
	s_waitcnt lgkmcnt(5)
	ds_write_b64 v21, v[14:15]
	ds_write_b8 v27, v31
	s_waitcnt lgkmcnt(6)
	ds_write_b64 v13, v[18:19]
	;; [unrolled: 3-line block ×3, first 2 shown]
	; wave barrier
	v_min_u32_e32 v34, v20, v34
	v_min_u32_e32 v20, v20, v22
	v_sub_nc_u32_e32 v35, v34, v33
	v_min_u32_e32 v25, v20, v33
	v_sub_nc_u32_e64 v10, v20, v35 clamp
	v_cmpx_lt_u32_e64 v10, v25
	s_cbranch_execz .LBB101_130
; %bb.127:
	v_add_co_u32 v12, null, v11, v33
	s_mov_b32 s9, 0
	.p2align	6
.LBB101_128:                            ; =>This Inner Loop Header: Depth=1
	v_add_nc_u32_e32 v13, v25, v10
	v_lshrrev_b32_e32 v13, 1, v13
	v_not_b32_e32 v21, v13
	v_add_nc_u32_e32 v26, v11, v13
	v_add_nc_u32_e32 v27, 1, v13
	v_add3_u32 v21, v20, v21, v12
	ds_read_u8 v26, v26
	ds_read_u8 v21, v21
	s_waitcnt lgkmcnt(0)
	v_cmp_gt_u16_e64 s7, v21, v26
	v_cndmask_b32_e64 v25, v25, v13, s7
	v_cndmask_b32_e64 v10, v27, v10, s7
	v_cmp_ge_u32_e64 s7, v10, v25
	s_or_b32 s9, s7, s9
	s_andn2_b32 exec_lo, exec_lo, s9
	s_cbranch_execnz .LBB101_128
; %bb.129:
	s_or_b32 exec_lo, exec_lo, s9
.LBB101_130:
	s_or_b32 exec_lo, exec_lo, s8
	v_add_nc_u32_e32 v12, v33, v20
	v_cmp_le_u32_e64 s7, v10, v33
	v_sub_nc_u32_e32 v20, v12, v10
	v_cmp_le_u32_e64 s8, v20, v34
	s_or_b32 s7, s7, s8
	s_and_saveexec_b32 s12, s7
	s_cbranch_execz .LBB101_136
; %bb.131:
	v_cmp_lt_u32_e64 s7, v10, v33
                                        ; implicit-def: $vgpr12
	s_and_saveexec_b32 s8, s7
; %bb.132:
	v_add_nc_u32_e32 v4, v11, v10
	ds_read_u8 v12, v4
; %bb.133:
	s_or_b32 exec_lo, exec_lo, s8
	v_cmp_ge_u32_e64 s8, v20, v34
	s_mov_b32 s10, exec_lo
                                        ; implicit-def: $vgpr13
	v_cmpx_lt_u32_e64 v20, v34
; %bb.134:
	v_add_nc_u32_e32 v4, v11, v20
	ds_read_u8 v13, v4
; %bb.135:
	s_or_b32 exec_lo, exec_lo, s10
	s_waitcnt lgkmcnt(0)
	v_cmp_le_u16_sdwa s9, v13, v12 src0_sel:BYTE_0 src1_sel:BYTE_0
	s_and_b32 s7, s7, s9
	s_or_b32 s7, s8, s7
	v_cndmask_b32_e64 v4, v20, v10, s7
	v_cndmask_b32_e64 v5, v34, v33, s7
	v_add_nc_u32_e32 v14, 1, v4
	v_add_nc_u32_e32 v5, -1, v5
	v_lshl_add_u32 v4, v4, 3, v9
	v_cndmask_b32_e64 v10, v10, v14, s7
	v_min_u32_e32 v5, v14, v5
	v_cmp_lt_u32_e64 s8, v10, v33
	v_add_nc_u32_e32 v5, v11, v5
	ds_read_u8 v5, v5
	s_waitcnt lgkmcnt(0)
	v_cndmask_b32_e64 v15, v5, v13, s7
	v_cndmask_b32_e64 v16, v12, v5, s7
	v_cndmask_b32_e64 v5, v14, v20, s7
	v_cmp_le_u16_sdwa s10, v15, v16 src0_sel:BYTE_0 src1_sel:BYTE_0
	v_cmp_ge_u32_e64 s9, v5, v34
	s_and_b32 s8, s8, s10
	s_or_b32 s8, s9, s8
	v_cndmask_b32_e64 v14, v5, v10, s8
	v_cndmask_b32_e64 v17, v34, v33, s8
	v_add_nc_u32_e32 v18, 1, v14
	v_add_nc_u32_e32 v17, -1, v17
	v_lshl_add_u32 v14, v14, 3, v9
	v_cndmask_b32_e64 v10, v10, v18, s8
	v_min_u32_e32 v17, v18, v17
	v_cndmask_b32_e64 v5, v18, v5, s8
	v_cmp_lt_u32_e64 s9, v10, v33
	v_add_nc_u32_e32 v17, v11, v17
	v_cmp_ge_u32_e64 s10, v5, v34
	ds_read_u8 v17, v17
	s_waitcnt lgkmcnt(0)
	v_cndmask_b32_e64 v20, v17, v15, s8
	v_cndmask_b32_e64 v21, v16, v17, s8
	v_cmp_le_u16_sdwa s11, v20, v21 src0_sel:BYTE_0 src1_sel:BYTE_0
	s_and_b32 s9, s9, s11
	s_or_b32 s9, s10, s9
	v_cndmask_b32_e64 v17, v5, v10, s9
	v_cndmask_b32_e64 v18, v34, v33, s9
	v_add_nc_u32_e32 v19, 1, v17
	v_add_nc_u32_e32 v18, -1, v18
	v_lshl_add_u32 v17, v17, 3, v9
	v_cndmask_b32_e64 v10, v10, v19, s9
	v_min_u32_e32 v18, v19, v18
	v_cndmask_b32_e64 v5, v19, v5, s9
	v_cmp_lt_u32_e64 s10, v10, v33
	v_add_nc_u32_e32 v11, v11, v18
	v_cmp_ge_u32_e64 s11, v5, v34
	ds_read_u8 v11, v11
	s_waitcnt lgkmcnt(0)
	v_cndmask_b32_e64 v24, v11, v20, s9
	v_cndmask_b32_e64 v11, v21, v11, s9
	v_cmp_le_u16_sdwa s13, v24, v11 src0_sel:BYTE_0 src1_sel:BYTE_0
	s_and_b32 s10, s10, s13
	s_or_b32 s10, s11, s10
	v_cndmask_b32_e64 v10, v5, v10, s10
	ds_read_b64 v[4:5], v4 offset:1024
	v_cndmask_b32_e64 v11, v24, v11, s10
	v_lshl_add_u32 v9, v10, 3, v9
	v_cndmask_b32_e64 v10, v15, v16, s8
	ds_read_b64 v[14:15], v14 offset:1024
	ds_read_b64 v[18:19], v17 offset:1024
	v_lshlrev_b16 v11, 8, v11
	ds_read_b64 v[16:17], v9 offset:1024
	v_cndmask_b32_e64 v9, v13, v12, s7
	v_cndmask_b32_e64 v12, v20, v21, s9
	v_lshlrev_b16 v10, 8, v10
	v_or_b32_sdwa v11, v12, v11 dst_sel:WORD_1 dst_unused:UNUSED_PAD src0_sel:BYTE_0 src1_sel:DWORD
	v_or_b32_sdwa v9, v9, v10 dst_sel:DWORD dst_unused:UNUSED_PAD src0_sel:BYTE_0 src1_sel:DWORD
	v_or_b32_sdwa v24, v9, v11 dst_sel:DWORD dst_unused:UNUSED_PAD src0_sel:WORD_0 src1_sel:DWORD
.LBB101_136:
	s_or_b32 exec_lo, exec_lo, s12
	; wave barrier
	s_waitcnt lgkmcnt(0)
	s_waitcnt_vscnt null, 0x0
	s_barrier
.LBB101_137:
	s_or_b32 exec_lo, exec_lo, s14
	v_add_co_u32 v2, s7, v2, v8
	v_add_co_ci_u32_e64 v3, null, 0, v3, s7
	s_waitcnt vmcnt(0) lgkmcnt(0)
	s_waitcnt_vscnt null, 0x0
	buffer_gl0_inv
	v_add_co_u32 v2, s7, v2, v22
	v_add_co_ci_u32_e64 v3, null, 0, v3, s7
	; wave barrier
	s_and_saveexec_b32 s7, vcc_lo
	s_cbranch_execnz .LBB101_150
; %bb.138:
	s_or_b32 exec_lo, exec_lo, s7
	s_and_saveexec_b32 s7, s4
	s_cbranch_execnz .LBB101_151
.LBB101_139:
	s_or_b32 exec_lo, exec_lo, s7
	s_and_saveexec_b32 s7, s5
	s_cbranch_execnz .LBB101_152
.LBB101_140:
	s_or_b32 exec_lo, exec_lo, s7
	s_and_saveexec_b32 s7, s6
	s_cbranch_execz .LBB101_142
.LBB101_141:
	v_lshrrev_b32_e32 v8, 24, v24
	flat_store_byte v[2:3], v8 offset:3
.LBB101_142:
	s_or_b32 exec_lo, exec_lo, s7
	v_add_co_u32 v0, s7, v6, v0
	v_add_co_ci_u32_e64 v1, null, v7, v1, s7
	v_add_co_u32 v0, s7, v0, v23
	v_add_co_ci_u32_e64 v1, null, 0, v1, s7
	; wave barrier
	s_and_saveexec_b32 s7, vcc_lo
	s_cbranch_execnz .LBB101_153
; %bb.143:
	s_or_b32 exec_lo, exec_lo, s7
	s_and_saveexec_b32 s7, s4
	s_cbranch_execnz .LBB101_154
.LBB101_144:
	s_or_b32 exec_lo, exec_lo, s7
	s_and_saveexec_b32 s4, s5
	s_cbranch_execnz .LBB101_155
.LBB101_145:
	s_or_b32 exec_lo, exec_lo, s4
	s_and_saveexec_b32 s4, s6
	s_cbranch_execnz .LBB101_156
.LBB101_146:
	s_or_b32 exec_lo, exec_lo, s4
	s_waitcnt lgkmcnt(0)
	s_setpc_b64 s[30:31]
.LBB101_147:
	flat_load_dwordx2 v[4:5], v[20:21]
	s_or_b32 exec_lo, exec_lo, s7
                                        ; implicit-def: $vgpr14_vgpr15
	s_and_saveexec_b32 s7, s4
	s_cbranch_execz .LBB101_10
.LBB101_148:
	flat_load_dwordx2 v[14:15], v[20:21] offset:8
	s_or_b32 exec_lo, exec_lo, s7
                                        ; implicit-def: $vgpr18_vgpr19
	s_and_saveexec_b32 s7, s5
	s_cbranch_execz .LBB101_11
.LBB101_149:
	flat_load_dwordx2 v[18:19], v[20:21] offset:16
	s_or_b32 exec_lo, exec_lo, s7
                                        ; implicit-def: $vgpr16_vgpr17
	s_and_saveexec_b32 s7, s6
	s_cbranch_execnz .LBB101_12
	s_branch .LBB101_13
.LBB101_150:
	flat_store_byte v[2:3], v24
	s_or_b32 exec_lo, exec_lo, s7
	s_and_saveexec_b32 s7, s4
	s_cbranch_execz .LBB101_139
.LBB101_151:
	v_lshrrev_b32_e32 v8, 8, v24
	flat_store_byte v[2:3], v8 offset:1
	s_or_b32 exec_lo, exec_lo, s7
	s_and_saveexec_b32 s7, s5
	s_cbranch_execz .LBB101_140
.LBB101_152:
	flat_store_byte_d16_hi v[2:3], v24 offset:2
	s_or_b32 exec_lo, exec_lo, s7
	s_and_saveexec_b32 s7, s6
	s_cbranch_execnz .LBB101_141
	s_branch .LBB101_142
.LBB101_153:
	flat_store_dwordx2 v[0:1], v[4:5]
	s_or_b32 exec_lo, exec_lo, s7
	s_and_saveexec_b32 s7, s4
	s_cbranch_execz .LBB101_144
.LBB101_154:
	flat_store_dwordx2 v[0:1], v[14:15] offset:8
	s_or_b32 exec_lo, exec_lo, s7
	s_and_saveexec_b32 s4, s5
	s_cbranch_execz .LBB101_145
.LBB101_155:
	flat_store_dwordx2 v[0:1], v[18:19] offset:16
	s_or_b32 exec_lo, exec_lo, s4
	s_and_saveexec_b32 s4, s6
	s_cbranch_execz .LBB101_146
.LBB101_156:
	flat_store_dwordx2 v[0:1], v[16:17] offset:24
	s_or_b32 exec_lo, exec_lo, s4
	s_waitcnt lgkmcnt(0)
	s_setpc_b64 s[30:31]
.Lfunc_end101:
	.size	_ZN7rocprim17ROCPRIM_400000_NS6detail26segmented_warp_sort_helperINS1_20WarpSortHelperConfigILj32ELj4ELj256EEEhlLi256ELb1EvE4sortIPKhPhPKlPlEEvT_T0_T1_T2_jjjjRNS5_12storage_typeE, .Lfunc_end101-_ZN7rocprim17ROCPRIM_400000_NS6detail26segmented_warp_sort_helperINS1_20WarpSortHelperConfigILj32ELj4ELj256EEEhlLi256ELb1EvE4sortIPKhPhPKlPlEEvT_T0_T1_T2_jjjjRNS5_12storage_typeE
                                        ; -- End function
	.set .L_ZN7rocprim17ROCPRIM_400000_NS6detail26segmented_warp_sort_helperINS1_20WarpSortHelperConfigILj32ELj4ELj256EEEhlLi256ELb1EvE4sortIPKhPhPKlPlEEvT_T0_T1_T2_jjjjRNS5_12storage_typeE.num_vgpr, 54
	.set .L_ZN7rocprim17ROCPRIM_400000_NS6detail26segmented_warp_sort_helperINS1_20WarpSortHelperConfigILj32ELj4ELj256EEEhlLi256ELb1EvE4sortIPKhPhPKlPlEEvT_T0_T1_T2_jjjjRNS5_12storage_typeE.num_agpr, 0
	.set .L_ZN7rocprim17ROCPRIM_400000_NS6detail26segmented_warp_sort_helperINS1_20WarpSortHelperConfigILj32ELj4ELj256EEEhlLi256ELb1EvE4sortIPKhPhPKlPlEEvT_T0_T1_T2_jjjjRNS5_12storage_typeE.numbered_sgpr, 32
	.set .L_ZN7rocprim17ROCPRIM_400000_NS6detail26segmented_warp_sort_helperINS1_20WarpSortHelperConfigILj32ELj4ELj256EEEhlLi256ELb1EvE4sortIPKhPhPKlPlEEvT_T0_T1_T2_jjjjRNS5_12storage_typeE.num_named_barrier, 0
	.set .L_ZN7rocprim17ROCPRIM_400000_NS6detail26segmented_warp_sort_helperINS1_20WarpSortHelperConfigILj32ELj4ELj256EEEhlLi256ELb1EvE4sortIPKhPhPKlPlEEvT_T0_T1_T2_jjjjRNS5_12storage_typeE.private_seg_size, 0
	.set .L_ZN7rocprim17ROCPRIM_400000_NS6detail26segmented_warp_sort_helperINS1_20WarpSortHelperConfigILj32ELj4ELj256EEEhlLi256ELb1EvE4sortIPKhPhPKlPlEEvT_T0_T1_T2_jjjjRNS5_12storage_typeE.uses_vcc, 1
	.set .L_ZN7rocprim17ROCPRIM_400000_NS6detail26segmented_warp_sort_helperINS1_20WarpSortHelperConfigILj32ELj4ELj256EEEhlLi256ELb1EvE4sortIPKhPhPKlPlEEvT_T0_T1_T2_jjjjRNS5_12storage_typeE.uses_flat_scratch, 0
	.set .L_ZN7rocprim17ROCPRIM_400000_NS6detail26segmented_warp_sort_helperINS1_20WarpSortHelperConfigILj32ELj4ELj256EEEhlLi256ELb1EvE4sortIPKhPhPKlPlEEvT_T0_T1_T2_jjjjRNS5_12storage_typeE.has_dyn_sized_stack, 0
	.set .L_ZN7rocprim17ROCPRIM_400000_NS6detail26segmented_warp_sort_helperINS1_20WarpSortHelperConfigILj32ELj4ELj256EEEhlLi256ELb1EvE4sortIPKhPhPKlPlEEvT_T0_T1_T2_jjjjRNS5_12storage_typeE.has_recursion, 0
	.set .L_ZN7rocprim17ROCPRIM_400000_NS6detail26segmented_warp_sort_helperINS1_20WarpSortHelperConfigILj32ELj4ELj256EEEhlLi256ELb1EvE4sortIPKhPhPKlPlEEvT_T0_T1_T2_jjjjRNS5_12storage_typeE.has_indirect_call, 0
	.section	.AMDGPU.csdata,"",@progbits
; Function info:
; codeLenInByte = 11228
; TotalNumSgprs: 34
; NumVgprs: 54
; ScratchSize: 0
; MemoryBound: 0
	.section	.text._ZN7rocprim17ROCPRIM_400000_NS6detail17trampoline_kernelINS0_14default_configENS1_36segmented_radix_sort_config_selectorIhlEEZNS1_25segmented_radix_sort_implIS3_Lb1EPKhPhPKlPlN2at6native12_GLOBAL__N_18offset_tEEE10hipError_tPvRmT1_PNSt15iterator_traitsISK_E10value_typeET2_T3_PNSL_ISQ_E10value_typeET4_jRbjT5_SW_jjP12ihipStream_tbEUlT_E0_NS1_11comp_targetILNS1_3genE8ELNS1_11target_archE1030ELNS1_3gpuE2ELNS1_3repE0EEENS1_60segmented_radix_sort_warp_sort_medium_config_static_selectorELNS0_4arch9wavefront6targetE0EEEvSK_,"axG",@progbits,_ZN7rocprim17ROCPRIM_400000_NS6detail17trampoline_kernelINS0_14default_configENS1_36segmented_radix_sort_config_selectorIhlEEZNS1_25segmented_radix_sort_implIS3_Lb1EPKhPhPKlPlN2at6native12_GLOBAL__N_18offset_tEEE10hipError_tPvRmT1_PNSt15iterator_traitsISK_E10value_typeET2_T3_PNSL_ISQ_E10value_typeET4_jRbjT5_SW_jjP12ihipStream_tbEUlT_E0_NS1_11comp_targetILNS1_3genE8ELNS1_11target_archE1030ELNS1_3gpuE2ELNS1_3repE0EEENS1_60segmented_radix_sort_warp_sort_medium_config_static_selectorELNS0_4arch9wavefront6targetE0EEEvSK_,comdat
	.globl	_ZN7rocprim17ROCPRIM_400000_NS6detail17trampoline_kernelINS0_14default_configENS1_36segmented_radix_sort_config_selectorIhlEEZNS1_25segmented_radix_sort_implIS3_Lb1EPKhPhPKlPlN2at6native12_GLOBAL__N_18offset_tEEE10hipError_tPvRmT1_PNSt15iterator_traitsISK_E10value_typeET2_T3_PNSL_ISQ_E10value_typeET4_jRbjT5_SW_jjP12ihipStream_tbEUlT_E0_NS1_11comp_targetILNS1_3genE8ELNS1_11target_archE1030ELNS1_3gpuE2ELNS1_3repE0EEENS1_60segmented_radix_sort_warp_sort_medium_config_static_selectorELNS0_4arch9wavefront6targetE0EEEvSK_ ; -- Begin function _ZN7rocprim17ROCPRIM_400000_NS6detail17trampoline_kernelINS0_14default_configENS1_36segmented_radix_sort_config_selectorIhlEEZNS1_25segmented_radix_sort_implIS3_Lb1EPKhPhPKlPlN2at6native12_GLOBAL__N_18offset_tEEE10hipError_tPvRmT1_PNSt15iterator_traitsISK_E10value_typeET2_T3_PNSL_ISQ_E10value_typeET4_jRbjT5_SW_jjP12ihipStream_tbEUlT_E0_NS1_11comp_targetILNS1_3genE8ELNS1_11target_archE1030ELNS1_3gpuE2ELNS1_3repE0EEENS1_60segmented_radix_sort_warp_sort_medium_config_static_selectorELNS0_4arch9wavefront6targetE0EEEvSK_
	.p2align	8
	.type	_ZN7rocprim17ROCPRIM_400000_NS6detail17trampoline_kernelINS0_14default_configENS1_36segmented_radix_sort_config_selectorIhlEEZNS1_25segmented_radix_sort_implIS3_Lb1EPKhPhPKlPlN2at6native12_GLOBAL__N_18offset_tEEE10hipError_tPvRmT1_PNSt15iterator_traitsISK_E10value_typeET2_T3_PNSL_ISQ_E10value_typeET4_jRbjT5_SW_jjP12ihipStream_tbEUlT_E0_NS1_11comp_targetILNS1_3genE8ELNS1_11target_archE1030ELNS1_3gpuE2ELNS1_3repE0EEENS1_60segmented_radix_sort_warp_sort_medium_config_static_selectorELNS0_4arch9wavefront6targetE0EEEvSK_,@function
_ZN7rocprim17ROCPRIM_400000_NS6detail17trampoline_kernelINS0_14default_configENS1_36segmented_radix_sort_config_selectorIhlEEZNS1_25segmented_radix_sort_implIS3_Lb1EPKhPhPKlPlN2at6native12_GLOBAL__N_18offset_tEEE10hipError_tPvRmT1_PNSt15iterator_traitsISK_E10value_typeET2_T3_PNSL_ISQ_E10value_typeET4_jRbjT5_SW_jjP12ihipStream_tbEUlT_E0_NS1_11comp_targetILNS1_3genE8ELNS1_11target_archE1030ELNS1_3gpuE2ELNS1_3repE0EEENS1_60segmented_radix_sort_warp_sort_medium_config_static_selectorELNS0_4arch9wavefront6targetE0EEEvSK_: ; @_ZN7rocprim17ROCPRIM_400000_NS6detail17trampoline_kernelINS0_14default_configENS1_36segmented_radix_sort_config_selectorIhlEEZNS1_25segmented_radix_sort_implIS3_Lb1EPKhPhPKlPlN2at6native12_GLOBAL__N_18offset_tEEE10hipError_tPvRmT1_PNSt15iterator_traitsISK_E10value_typeET2_T3_PNSL_ISQ_E10value_typeET4_jRbjT5_SW_jjP12ihipStream_tbEUlT_E0_NS1_11comp_targetILNS1_3genE8ELNS1_11target_archE1030ELNS1_3gpuE2ELNS1_3repE0EEENS1_60segmented_radix_sort_warp_sort_medium_config_static_selectorELNS0_4arch9wavefront6targetE0EEEvSK_
; %bb.0:
	s_add_u32 s0, s0, s8
	s_load_dword s8, s[4:5], 0x64
	s_addc_u32 s1, s1, 0
	s_mov_b32 s32, 0
	s_waitcnt lgkmcnt(0)
	s_lshr_b32 s9, s8, 16
	s_and_b32 s8, s8, 0xffff
	v_mad_u32_u24 v3, v2, s9, v1
	s_load_dword s9, s[4:5], 0x34
	v_mad_u64_u32 v[3:4], null, v3, s8, v[0:1]
	s_mov_b32 s8, exec_lo
	v_lshrrev_b32_e32 v3, 5, v3
	v_lshl_add_u32 v3, s6, 3, v3
	s_waitcnt lgkmcnt(0)
	v_cmpx_gt_u32_e64 s9, v3
	s_cbranch_execz .LBB102_6
; %bb.1:
	s_clause 0x1
	s_load_dwordx2 s[12:13], s[4:5], 0x38
	s_load_dwordx4 s[8:11], s[4:5], 0x40
	v_mov_b32_e32 v4, 0
	v_lshlrev_b64 v[3:4], 2, v[3:4]
	s_waitcnt lgkmcnt(0)
	v_add_co_u32 v3, vcc_lo, s12, v3
	v_add_co_ci_u32_e64 v4, null, s13, v4, vcc_lo
	global_load_dword v3, v[3:4], off
	s_waitcnt vmcnt(0)
	v_add_nc_u32_e32 v4, s9, v3
	v_add_nc_u32_e32 v3, s11, v3
	v_mul_lo_u32 v40, v4, s8
	v_mul_lo_u32 v41, v3, s10
	v_cmp_gt_u32_e32 vcc_lo, v41, v40
	s_and_b32 exec_lo, exec_lo, vcc_lo
	s_cbranch_execz .LBB102_6
; %bb.2:
	s_clause 0x3
	s_load_dword s8, s[4:5], 0x30
	s_load_dwordx4 s[36:39], s[4:5], 0x20
	s_load_dwordx8 s[20:27], s[4:5], 0x0
	s_load_dwordx2 s[28:29], s[4:5], 0x50
	v_lshlrev_b32_e32 v43, 20, v2
	v_lshlrev_b32_e32 v44, 10, v1
	s_waitcnt lgkmcnt(0)
	s_bitcmp0_b32 s8, 0
	s_mov_b32 s8, -1
	s_cbranch_scc0 .LBB102_4
; %bb.3:
	s_mov_b64 s[10:11], src_shared_base
	v_or3_b32 v31, v0, v44, v43
	v_mov_b32_e32 v42, v0
	v_mov_b32_e32 v0, s20
	;; [unrolled: 1-line block ×15, first 2 shown]
	s_add_u32 s8, s4, 0x58
	s_addc_u32 s9, s5, 0
	s_getpc_b64 s[14:15]
	s_add_u32 s14, s14, _ZN7rocprim17ROCPRIM_400000_NS6detail26segmented_warp_sort_helperINS1_20WarpSortHelperConfigILj32ELj4ELj256EEEhlLi256ELb1EvE4sortIPKhPhPKlPlEEvT_T0_T1_T2_jjjjRNS5_12storage_typeE@rel32@lo+4
	s_addc_u32 s15, s15, _ZN7rocprim17ROCPRIM_400000_NS6detail26segmented_warp_sort_helperINS1_20WarpSortHelperConfigILj32ELj4ELj256EEEhlLi256ELb1EvE4sortIPKhPhPKlPlEEvT_T0_T1_T2_jjjjRNS5_12storage_typeE@rel32@hi+12
	s_mov_b32 s12, s6
	s_mov_b32 s13, s7
	s_mov_b64 s[22:23], s[4:5]
	s_mov_b32 s19, s7
	s_mov_b32 s33, s6
	s_swappc_b64 s[30:31], s[14:15]
	v_mov_b32_e32 v0, v42
	s_mov_b32 s6, s33
	s_mov_b32 s7, s19
	s_mov_b64 s[4:5], s[22:23]
	s_mov_b32 s8, 0
.LBB102_4:
	s_andn2_b32 vcc_lo, exec_lo, s8
	s_cbranch_vccnz .LBB102_6
; %bb.5:
	s_mov_b64 s[10:11], src_shared_base
	v_or3_b32 v31, v0, v44, v43
	v_mov_b32_e32 v0, s20
	v_mov_b32_e32 v1, s21
	;; [unrolled: 1-line block ×14, first 2 shown]
	s_add_u32 s8, s4, 0x58
	s_addc_u32 s9, s5, 0
	s_getpc_b64 s[4:5]
	s_add_u32 s4, s4, _ZN7rocprim17ROCPRIM_400000_NS6detail26segmented_warp_sort_helperINS1_20WarpSortHelperConfigILj32ELj4ELj256EEEhlLi256ELb1EvE4sortIPKhPhPKlPlEEvT_T0_T1_T2_jjjjRNS5_12storage_typeE@rel32@lo+4
	s_addc_u32 s5, s5, _ZN7rocprim17ROCPRIM_400000_NS6detail26segmented_warp_sort_helperINS1_20WarpSortHelperConfigILj32ELj4ELj256EEEhlLi256ELb1EvE4sortIPKhPhPKlPlEEvT_T0_T1_T2_jjjjRNS5_12storage_typeE@rel32@hi+12
	s_mov_b32 s12, s6
	s_mov_b32 s13, s7
	s_swappc_b64 s[30:31], s[4:5]
.LBB102_6:
	s_endpgm
	.section	.rodata,"a",@progbits
	.p2align	6, 0x0
	.amdhsa_kernel _ZN7rocprim17ROCPRIM_400000_NS6detail17trampoline_kernelINS0_14default_configENS1_36segmented_radix_sort_config_selectorIhlEEZNS1_25segmented_radix_sort_implIS3_Lb1EPKhPhPKlPlN2at6native12_GLOBAL__N_18offset_tEEE10hipError_tPvRmT1_PNSt15iterator_traitsISK_E10value_typeET2_T3_PNSL_ISQ_E10value_typeET4_jRbjT5_SW_jjP12ihipStream_tbEUlT_E0_NS1_11comp_targetILNS1_3genE8ELNS1_11target_archE1030ELNS1_3gpuE2ELNS1_3repE0EEENS1_60segmented_radix_sort_warp_sort_medium_config_static_selectorELNS0_4arch9wavefront6targetE0EEEvSK_
		.amdhsa_group_segment_fixed_size 9216
		.amdhsa_private_segment_fixed_size 0
		.amdhsa_kernarg_size 344
		.amdhsa_user_sgpr_count 6
		.amdhsa_user_sgpr_private_segment_buffer 1
		.amdhsa_user_sgpr_dispatch_ptr 0
		.amdhsa_user_sgpr_queue_ptr 0
		.amdhsa_user_sgpr_kernarg_segment_ptr 1
		.amdhsa_user_sgpr_dispatch_id 0
		.amdhsa_user_sgpr_flat_scratch_init 0
		.amdhsa_user_sgpr_private_segment_size 0
		.amdhsa_wavefront_size32 1
		.amdhsa_uses_dynamic_stack 0
		.amdhsa_system_sgpr_private_segment_wavefront_offset 0
		.amdhsa_system_sgpr_workgroup_id_x 1
		.amdhsa_system_sgpr_workgroup_id_y 1
		.amdhsa_system_sgpr_workgroup_id_z 0
		.amdhsa_system_sgpr_workgroup_info 0
		.amdhsa_system_vgpr_workitem_id 2
		.amdhsa_next_free_vgpr 54
		.amdhsa_next_free_sgpr 40
		.amdhsa_reserve_vcc 1
		.amdhsa_reserve_flat_scratch 0
		.amdhsa_float_round_mode_32 0
		.amdhsa_float_round_mode_16_64 0
		.amdhsa_float_denorm_mode_32 3
		.amdhsa_float_denorm_mode_16_64 3
		.amdhsa_dx10_clamp 1
		.amdhsa_ieee_mode 1
		.amdhsa_fp16_overflow 0
		.amdhsa_workgroup_processor_mode 1
		.amdhsa_memory_ordered 1
		.amdhsa_forward_progress 1
		.amdhsa_shared_vgpr_count 0
		.amdhsa_exception_fp_ieee_invalid_op 0
		.amdhsa_exception_fp_denorm_src 0
		.amdhsa_exception_fp_ieee_div_zero 0
		.amdhsa_exception_fp_ieee_overflow 0
		.amdhsa_exception_fp_ieee_underflow 0
		.amdhsa_exception_fp_ieee_inexact 0
		.amdhsa_exception_int_div_zero 0
	.end_amdhsa_kernel
	.section	.text._ZN7rocprim17ROCPRIM_400000_NS6detail17trampoline_kernelINS0_14default_configENS1_36segmented_radix_sort_config_selectorIhlEEZNS1_25segmented_radix_sort_implIS3_Lb1EPKhPhPKlPlN2at6native12_GLOBAL__N_18offset_tEEE10hipError_tPvRmT1_PNSt15iterator_traitsISK_E10value_typeET2_T3_PNSL_ISQ_E10value_typeET4_jRbjT5_SW_jjP12ihipStream_tbEUlT_E0_NS1_11comp_targetILNS1_3genE8ELNS1_11target_archE1030ELNS1_3gpuE2ELNS1_3repE0EEENS1_60segmented_radix_sort_warp_sort_medium_config_static_selectorELNS0_4arch9wavefront6targetE0EEEvSK_,"axG",@progbits,_ZN7rocprim17ROCPRIM_400000_NS6detail17trampoline_kernelINS0_14default_configENS1_36segmented_radix_sort_config_selectorIhlEEZNS1_25segmented_radix_sort_implIS3_Lb1EPKhPhPKlPlN2at6native12_GLOBAL__N_18offset_tEEE10hipError_tPvRmT1_PNSt15iterator_traitsISK_E10value_typeET2_T3_PNSL_ISQ_E10value_typeET4_jRbjT5_SW_jjP12ihipStream_tbEUlT_E0_NS1_11comp_targetILNS1_3genE8ELNS1_11target_archE1030ELNS1_3gpuE2ELNS1_3repE0EEENS1_60segmented_radix_sort_warp_sort_medium_config_static_selectorELNS0_4arch9wavefront6targetE0EEEvSK_,comdat
.Lfunc_end102:
	.size	_ZN7rocprim17ROCPRIM_400000_NS6detail17trampoline_kernelINS0_14default_configENS1_36segmented_radix_sort_config_selectorIhlEEZNS1_25segmented_radix_sort_implIS3_Lb1EPKhPhPKlPlN2at6native12_GLOBAL__N_18offset_tEEE10hipError_tPvRmT1_PNSt15iterator_traitsISK_E10value_typeET2_T3_PNSL_ISQ_E10value_typeET4_jRbjT5_SW_jjP12ihipStream_tbEUlT_E0_NS1_11comp_targetILNS1_3genE8ELNS1_11target_archE1030ELNS1_3gpuE2ELNS1_3repE0EEENS1_60segmented_radix_sort_warp_sort_medium_config_static_selectorELNS0_4arch9wavefront6targetE0EEEvSK_, .Lfunc_end102-_ZN7rocprim17ROCPRIM_400000_NS6detail17trampoline_kernelINS0_14default_configENS1_36segmented_radix_sort_config_selectorIhlEEZNS1_25segmented_radix_sort_implIS3_Lb1EPKhPhPKlPlN2at6native12_GLOBAL__N_18offset_tEEE10hipError_tPvRmT1_PNSt15iterator_traitsISK_E10value_typeET2_T3_PNSL_ISQ_E10value_typeET4_jRbjT5_SW_jjP12ihipStream_tbEUlT_E0_NS1_11comp_targetILNS1_3genE8ELNS1_11target_archE1030ELNS1_3gpuE2ELNS1_3repE0EEENS1_60segmented_radix_sort_warp_sort_medium_config_static_selectorELNS0_4arch9wavefront6targetE0EEEvSK_
                                        ; -- End function
	.set _ZN7rocprim17ROCPRIM_400000_NS6detail17trampoline_kernelINS0_14default_configENS1_36segmented_radix_sort_config_selectorIhlEEZNS1_25segmented_radix_sort_implIS3_Lb1EPKhPhPKlPlN2at6native12_GLOBAL__N_18offset_tEEE10hipError_tPvRmT1_PNSt15iterator_traitsISK_E10value_typeET2_T3_PNSL_ISQ_E10value_typeET4_jRbjT5_SW_jjP12ihipStream_tbEUlT_E0_NS1_11comp_targetILNS1_3genE8ELNS1_11target_archE1030ELNS1_3gpuE2ELNS1_3repE0EEENS1_60segmented_radix_sort_warp_sort_medium_config_static_selectorELNS0_4arch9wavefront6targetE0EEEvSK_.num_vgpr, max(45, .L_ZN7rocprim17ROCPRIM_400000_NS6detail26segmented_warp_sort_helperINS1_20WarpSortHelperConfigILj32ELj4ELj256EEEhlLi256ELb1EvE4sortIPKhPhPKlPlEEvT_T0_T1_T2_jjjjRNS5_12storage_typeE.num_vgpr)
	.set _ZN7rocprim17ROCPRIM_400000_NS6detail17trampoline_kernelINS0_14default_configENS1_36segmented_radix_sort_config_selectorIhlEEZNS1_25segmented_radix_sort_implIS3_Lb1EPKhPhPKlPlN2at6native12_GLOBAL__N_18offset_tEEE10hipError_tPvRmT1_PNSt15iterator_traitsISK_E10value_typeET2_T3_PNSL_ISQ_E10value_typeET4_jRbjT5_SW_jjP12ihipStream_tbEUlT_E0_NS1_11comp_targetILNS1_3genE8ELNS1_11target_archE1030ELNS1_3gpuE2ELNS1_3repE0EEENS1_60segmented_radix_sort_warp_sort_medium_config_static_selectorELNS0_4arch9wavefront6targetE0EEEvSK_.num_agpr, max(0, .L_ZN7rocprim17ROCPRIM_400000_NS6detail26segmented_warp_sort_helperINS1_20WarpSortHelperConfigILj32ELj4ELj256EEEhlLi256ELb1EvE4sortIPKhPhPKlPlEEvT_T0_T1_T2_jjjjRNS5_12storage_typeE.num_agpr)
	.set _ZN7rocprim17ROCPRIM_400000_NS6detail17trampoline_kernelINS0_14default_configENS1_36segmented_radix_sort_config_selectorIhlEEZNS1_25segmented_radix_sort_implIS3_Lb1EPKhPhPKlPlN2at6native12_GLOBAL__N_18offset_tEEE10hipError_tPvRmT1_PNSt15iterator_traitsISK_E10value_typeET2_T3_PNSL_ISQ_E10value_typeET4_jRbjT5_SW_jjP12ihipStream_tbEUlT_E0_NS1_11comp_targetILNS1_3genE8ELNS1_11target_archE1030ELNS1_3gpuE2ELNS1_3repE0EEENS1_60segmented_radix_sort_warp_sort_medium_config_static_selectorELNS0_4arch9wavefront6targetE0EEEvSK_.numbered_sgpr, max(40, .L_ZN7rocprim17ROCPRIM_400000_NS6detail26segmented_warp_sort_helperINS1_20WarpSortHelperConfigILj32ELj4ELj256EEEhlLi256ELb1EvE4sortIPKhPhPKlPlEEvT_T0_T1_T2_jjjjRNS5_12storage_typeE.numbered_sgpr)
	.set _ZN7rocprim17ROCPRIM_400000_NS6detail17trampoline_kernelINS0_14default_configENS1_36segmented_radix_sort_config_selectorIhlEEZNS1_25segmented_radix_sort_implIS3_Lb1EPKhPhPKlPlN2at6native12_GLOBAL__N_18offset_tEEE10hipError_tPvRmT1_PNSt15iterator_traitsISK_E10value_typeET2_T3_PNSL_ISQ_E10value_typeET4_jRbjT5_SW_jjP12ihipStream_tbEUlT_E0_NS1_11comp_targetILNS1_3genE8ELNS1_11target_archE1030ELNS1_3gpuE2ELNS1_3repE0EEENS1_60segmented_radix_sort_warp_sort_medium_config_static_selectorELNS0_4arch9wavefront6targetE0EEEvSK_.num_named_barrier, max(0, .L_ZN7rocprim17ROCPRIM_400000_NS6detail26segmented_warp_sort_helperINS1_20WarpSortHelperConfigILj32ELj4ELj256EEEhlLi256ELb1EvE4sortIPKhPhPKlPlEEvT_T0_T1_T2_jjjjRNS5_12storage_typeE.num_named_barrier)
	.set _ZN7rocprim17ROCPRIM_400000_NS6detail17trampoline_kernelINS0_14default_configENS1_36segmented_radix_sort_config_selectorIhlEEZNS1_25segmented_radix_sort_implIS3_Lb1EPKhPhPKlPlN2at6native12_GLOBAL__N_18offset_tEEE10hipError_tPvRmT1_PNSt15iterator_traitsISK_E10value_typeET2_T3_PNSL_ISQ_E10value_typeET4_jRbjT5_SW_jjP12ihipStream_tbEUlT_E0_NS1_11comp_targetILNS1_3genE8ELNS1_11target_archE1030ELNS1_3gpuE2ELNS1_3repE0EEENS1_60segmented_radix_sort_warp_sort_medium_config_static_selectorELNS0_4arch9wavefront6targetE0EEEvSK_.private_seg_size, 0+max(.L_ZN7rocprim17ROCPRIM_400000_NS6detail26segmented_warp_sort_helperINS1_20WarpSortHelperConfigILj32ELj4ELj256EEEhlLi256ELb1EvE4sortIPKhPhPKlPlEEvT_T0_T1_T2_jjjjRNS5_12storage_typeE.private_seg_size)
	.set _ZN7rocprim17ROCPRIM_400000_NS6detail17trampoline_kernelINS0_14default_configENS1_36segmented_radix_sort_config_selectorIhlEEZNS1_25segmented_radix_sort_implIS3_Lb1EPKhPhPKlPlN2at6native12_GLOBAL__N_18offset_tEEE10hipError_tPvRmT1_PNSt15iterator_traitsISK_E10value_typeET2_T3_PNSL_ISQ_E10value_typeET4_jRbjT5_SW_jjP12ihipStream_tbEUlT_E0_NS1_11comp_targetILNS1_3genE8ELNS1_11target_archE1030ELNS1_3gpuE2ELNS1_3repE0EEENS1_60segmented_radix_sort_warp_sort_medium_config_static_selectorELNS0_4arch9wavefront6targetE0EEEvSK_.uses_vcc, or(1, .L_ZN7rocprim17ROCPRIM_400000_NS6detail26segmented_warp_sort_helperINS1_20WarpSortHelperConfigILj32ELj4ELj256EEEhlLi256ELb1EvE4sortIPKhPhPKlPlEEvT_T0_T1_T2_jjjjRNS5_12storage_typeE.uses_vcc)
	.set _ZN7rocprim17ROCPRIM_400000_NS6detail17trampoline_kernelINS0_14default_configENS1_36segmented_radix_sort_config_selectorIhlEEZNS1_25segmented_radix_sort_implIS3_Lb1EPKhPhPKlPlN2at6native12_GLOBAL__N_18offset_tEEE10hipError_tPvRmT1_PNSt15iterator_traitsISK_E10value_typeET2_T3_PNSL_ISQ_E10value_typeET4_jRbjT5_SW_jjP12ihipStream_tbEUlT_E0_NS1_11comp_targetILNS1_3genE8ELNS1_11target_archE1030ELNS1_3gpuE2ELNS1_3repE0EEENS1_60segmented_radix_sort_warp_sort_medium_config_static_selectorELNS0_4arch9wavefront6targetE0EEEvSK_.uses_flat_scratch, or(0, .L_ZN7rocprim17ROCPRIM_400000_NS6detail26segmented_warp_sort_helperINS1_20WarpSortHelperConfigILj32ELj4ELj256EEEhlLi256ELb1EvE4sortIPKhPhPKlPlEEvT_T0_T1_T2_jjjjRNS5_12storage_typeE.uses_flat_scratch)
	.set _ZN7rocprim17ROCPRIM_400000_NS6detail17trampoline_kernelINS0_14default_configENS1_36segmented_radix_sort_config_selectorIhlEEZNS1_25segmented_radix_sort_implIS3_Lb1EPKhPhPKlPlN2at6native12_GLOBAL__N_18offset_tEEE10hipError_tPvRmT1_PNSt15iterator_traitsISK_E10value_typeET2_T3_PNSL_ISQ_E10value_typeET4_jRbjT5_SW_jjP12ihipStream_tbEUlT_E0_NS1_11comp_targetILNS1_3genE8ELNS1_11target_archE1030ELNS1_3gpuE2ELNS1_3repE0EEENS1_60segmented_radix_sort_warp_sort_medium_config_static_selectorELNS0_4arch9wavefront6targetE0EEEvSK_.has_dyn_sized_stack, or(0, .L_ZN7rocprim17ROCPRIM_400000_NS6detail26segmented_warp_sort_helperINS1_20WarpSortHelperConfigILj32ELj4ELj256EEEhlLi256ELb1EvE4sortIPKhPhPKlPlEEvT_T0_T1_T2_jjjjRNS5_12storage_typeE.has_dyn_sized_stack)
	.set _ZN7rocprim17ROCPRIM_400000_NS6detail17trampoline_kernelINS0_14default_configENS1_36segmented_radix_sort_config_selectorIhlEEZNS1_25segmented_radix_sort_implIS3_Lb1EPKhPhPKlPlN2at6native12_GLOBAL__N_18offset_tEEE10hipError_tPvRmT1_PNSt15iterator_traitsISK_E10value_typeET2_T3_PNSL_ISQ_E10value_typeET4_jRbjT5_SW_jjP12ihipStream_tbEUlT_E0_NS1_11comp_targetILNS1_3genE8ELNS1_11target_archE1030ELNS1_3gpuE2ELNS1_3repE0EEENS1_60segmented_radix_sort_warp_sort_medium_config_static_selectorELNS0_4arch9wavefront6targetE0EEEvSK_.has_recursion, or(0, .L_ZN7rocprim17ROCPRIM_400000_NS6detail26segmented_warp_sort_helperINS1_20WarpSortHelperConfigILj32ELj4ELj256EEEhlLi256ELb1EvE4sortIPKhPhPKlPlEEvT_T0_T1_T2_jjjjRNS5_12storage_typeE.has_recursion)
	.set _ZN7rocprim17ROCPRIM_400000_NS6detail17trampoline_kernelINS0_14default_configENS1_36segmented_radix_sort_config_selectorIhlEEZNS1_25segmented_radix_sort_implIS3_Lb1EPKhPhPKlPlN2at6native12_GLOBAL__N_18offset_tEEE10hipError_tPvRmT1_PNSt15iterator_traitsISK_E10value_typeET2_T3_PNSL_ISQ_E10value_typeET4_jRbjT5_SW_jjP12ihipStream_tbEUlT_E0_NS1_11comp_targetILNS1_3genE8ELNS1_11target_archE1030ELNS1_3gpuE2ELNS1_3repE0EEENS1_60segmented_radix_sort_warp_sort_medium_config_static_selectorELNS0_4arch9wavefront6targetE0EEEvSK_.has_indirect_call, or(0, .L_ZN7rocprim17ROCPRIM_400000_NS6detail26segmented_warp_sort_helperINS1_20WarpSortHelperConfigILj32ELj4ELj256EEEhlLi256ELb1EvE4sortIPKhPhPKlPlEEvT_T0_T1_T2_jjjjRNS5_12storage_typeE.has_indirect_call)
	.section	.AMDGPU.csdata,"",@progbits
; Kernel info:
; codeLenInByte = 524
; TotalNumSgprs: 42
; NumVgprs: 54
; ScratchSize: 0
; MemoryBound: 0
; FloatMode: 240
; IeeeMode: 1
; LDSByteSize: 9216 bytes/workgroup (compile time only)
; SGPRBlocks: 0
; VGPRBlocks: 6
; NumSGPRsForWavesPerEU: 42
; NumVGPRsForWavesPerEU: 54
; Occupancy: 16
; WaveLimiterHint : 0
; COMPUTE_PGM_RSRC2:SCRATCH_EN: 0
; COMPUTE_PGM_RSRC2:USER_SGPR: 6
; COMPUTE_PGM_RSRC2:TRAP_HANDLER: 0
; COMPUTE_PGM_RSRC2:TGID_X_EN: 1
; COMPUTE_PGM_RSRC2:TGID_Y_EN: 1
; COMPUTE_PGM_RSRC2:TGID_Z_EN: 0
; COMPUTE_PGM_RSRC2:TIDIG_COMP_CNT: 2
	.section	.text._ZN7rocprim17ROCPRIM_400000_NS6detail17trampoline_kernelINS0_14default_configENS1_36segmented_radix_sort_config_selectorIhlEEZNS1_25segmented_radix_sort_implIS3_Lb1EPKhPhPKlPlN2at6native12_GLOBAL__N_18offset_tEEE10hipError_tPvRmT1_PNSt15iterator_traitsISK_E10value_typeET2_T3_PNSL_ISQ_E10value_typeET4_jRbjT5_SW_jjP12ihipStream_tbEUlT_E1_NS1_11comp_targetILNS1_3genE0ELNS1_11target_archE4294967295ELNS1_3gpuE0ELNS1_3repE0EEENS1_59segmented_radix_sort_warp_sort_small_config_static_selectorELNS0_4arch9wavefront6targetE0EEEvSK_,"axG",@progbits,_ZN7rocprim17ROCPRIM_400000_NS6detail17trampoline_kernelINS0_14default_configENS1_36segmented_radix_sort_config_selectorIhlEEZNS1_25segmented_radix_sort_implIS3_Lb1EPKhPhPKlPlN2at6native12_GLOBAL__N_18offset_tEEE10hipError_tPvRmT1_PNSt15iterator_traitsISK_E10value_typeET2_T3_PNSL_ISQ_E10value_typeET4_jRbjT5_SW_jjP12ihipStream_tbEUlT_E1_NS1_11comp_targetILNS1_3genE0ELNS1_11target_archE4294967295ELNS1_3gpuE0ELNS1_3repE0EEENS1_59segmented_radix_sort_warp_sort_small_config_static_selectorELNS0_4arch9wavefront6targetE0EEEvSK_,comdat
	.globl	_ZN7rocprim17ROCPRIM_400000_NS6detail17trampoline_kernelINS0_14default_configENS1_36segmented_radix_sort_config_selectorIhlEEZNS1_25segmented_radix_sort_implIS3_Lb1EPKhPhPKlPlN2at6native12_GLOBAL__N_18offset_tEEE10hipError_tPvRmT1_PNSt15iterator_traitsISK_E10value_typeET2_T3_PNSL_ISQ_E10value_typeET4_jRbjT5_SW_jjP12ihipStream_tbEUlT_E1_NS1_11comp_targetILNS1_3genE0ELNS1_11target_archE4294967295ELNS1_3gpuE0ELNS1_3repE0EEENS1_59segmented_radix_sort_warp_sort_small_config_static_selectorELNS0_4arch9wavefront6targetE0EEEvSK_ ; -- Begin function _ZN7rocprim17ROCPRIM_400000_NS6detail17trampoline_kernelINS0_14default_configENS1_36segmented_radix_sort_config_selectorIhlEEZNS1_25segmented_radix_sort_implIS3_Lb1EPKhPhPKlPlN2at6native12_GLOBAL__N_18offset_tEEE10hipError_tPvRmT1_PNSt15iterator_traitsISK_E10value_typeET2_T3_PNSL_ISQ_E10value_typeET4_jRbjT5_SW_jjP12ihipStream_tbEUlT_E1_NS1_11comp_targetILNS1_3genE0ELNS1_11target_archE4294967295ELNS1_3gpuE0ELNS1_3repE0EEENS1_59segmented_radix_sort_warp_sort_small_config_static_selectorELNS0_4arch9wavefront6targetE0EEEvSK_
	.p2align	8
	.type	_ZN7rocprim17ROCPRIM_400000_NS6detail17trampoline_kernelINS0_14default_configENS1_36segmented_radix_sort_config_selectorIhlEEZNS1_25segmented_radix_sort_implIS3_Lb1EPKhPhPKlPlN2at6native12_GLOBAL__N_18offset_tEEE10hipError_tPvRmT1_PNSt15iterator_traitsISK_E10value_typeET2_T3_PNSL_ISQ_E10value_typeET4_jRbjT5_SW_jjP12ihipStream_tbEUlT_E1_NS1_11comp_targetILNS1_3genE0ELNS1_11target_archE4294967295ELNS1_3gpuE0ELNS1_3repE0EEENS1_59segmented_radix_sort_warp_sort_small_config_static_selectorELNS0_4arch9wavefront6targetE0EEEvSK_,@function
_ZN7rocprim17ROCPRIM_400000_NS6detail17trampoline_kernelINS0_14default_configENS1_36segmented_radix_sort_config_selectorIhlEEZNS1_25segmented_radix_sort_implIS3_Lb1EPKhPhPKlPlN2at6native12_GLOBAL__N_18offset_tEEE10hipError_tPvRmT1_PNSt15iterator_traitsISK_E10value_typeET2_T3_PNSL_ISQ_E10value_typeET4_jRbjT5_SW_jjP12ihipStream_tbEUlT_E1_NS1_11comp_targetILNS1_3genE0ELNS1_11target_archE4294967295ELNS1_3gpuE0ELNS1_3repE0EEENS1_59segmented_radix_sort_warp_sort_small_config_static_selectorELNS0_4arch9wavefront6targetE0EEEvSK_: ; @_ZN7rocprim17ROCPRIM_400000_NS6detail17trampoline_kernelINS0_14default_configENS1_36segmented_radix_sort_config_selectorIhlEEZNS1_25segmented_radix_sort_implIS3_Lb1EPKhPhPKlPlN2at6native12_GLOBAL__N_18offset_tEEE10hipError_tPvRmT1_PNSt15iterator_traitsISK_E10value_typeET2_T3_PNSL_ISQ_E10value_typeET4_jRbjT5_SW_jjP12ihipStream_tbEUlT_E1_NS1_11comp_targetILNS1_3genE0ELNS1_11target_archE4294967295ELNS1_3gpuE0ELNS1_3repE0EEENS1_59segmented_radix_sort_warp_sort_small_config_static_selectorELNS0_4arch9wavefront6targetE0EEEvSK_
; %bb.0:
	.section	.rodata,"a",@progbits
	.p2align	6, 0x0
	.amdhsa_kernel _ZN7rocprim17ROCPRIM_400000_NS6detail17trampoline_kernelINS0_14default_configENS1_36segmented_radix_sort_config_selectorIhlEEZNS1_25segmented_radix_sort_implIS3_Lb1EPKhPhPKlPlN2at6native12_GLOBAL__N_18offset_tEEE10hipError_tPvRmT1_PNSt15iterator_traitsISK_E10value_typeET2_T3_PNSL_ISQ_E10value_typeET4_jRbjT5_SW_jjP12ihipStream_tbEUlT_E1_NS1_11comp_targetILNS1_3genE0ELNS1_11target_archE4294967295ELNS1_3gpuE0ELNS1_3repE0EEENS1_59segmented_radix_sort_warp_sort_small_config_static_selectorELNS0_4arch9wavefront6targetE0EEEvSK_
		.amdhsa_group_segment_fixed_size 0
		.amdhsa_private_segment_fixed_size 0
		.amdhsa_kernarg_size 88
		.amdhsa_user_sgpr_count 6
		.amdhsa_user_sgpr_private_segment_buffer 1
		.amdhsa_user_sgpr_dispatch_ptr 0
		.amdhsa_user_sgpr_queue_ptr 0
		.amdhsa_user_sgpr_kernarg_segment_ptr 1
		.amdhsa_user_sgpr_dispatch_id 0
		.amdhsa_user_sgpr_flat_scratch_init 0
		.amdhsa_user_sgpr_private_segment_size 0
		.amdhsa_wavefront_size32 1
		.amdhsa_uses_dynamic_stack 0
		.amdhsa_system_sgpr_private_segment_wavefront_offset 0
		.amdhsa_system_sgpr_workgroup_id_x 1
		.amdhsa_system_sgpr_workgroup_id_y 0
		.amdhsa_system_sgpr_workgroup_id_z 0
		.amdhsa_system_sgpr_workgroup_info 0
		.amdhsa_system_vgpr_workitem_id 0
		.amdhsa_next_free_vgpr 1
		.amdhsa_next_free_sgpr 1
		.amdhsa_reserve_vcc 0
		.amdhsa_reserve_flat_scratch 0
		.amdhsa_float_round_mode_32 0
		.amdhsa_float_round_mode_16_64 0
		.amdhsa_float_denorm_mode_32 3
		.amdhsa_float_denorm_mode_16_64 3
		.amdhsa_dx10_clamp 1
		.amdhsa_ieee_mode 1
		.amdhsa_fp16_overflow 0
		.amdhsa_workgroup_processor_mode 1
		.amdhsa_memory_ordered 1
		.amdhsa_forward_progress 1
		.amdhsa_shared_vgpr_count 0
		.amdhsa_exception_fp_ieee_invalid_op 0
		.amdhsa_exception_fp_denorm_src 0
		.amdhsa_exception_fp_ieee_div_zero 0
		.amdhsa_exception_fp_ieee_overflow 0
		.amdhsa_exception_fp_ieee_underflow 0
		.amdhsa_exception_fp_ieee_inexact 0
		.amdhsa_exception_int_div_zero 0
	.end_amdhsa_kernel
	.section	.text._ZN7rocprim17ROCPRIM_400000_NS6detail17trampoline_kernelINS0_14default_configENS1_36segmented_radix_sort_config_selectorIhlEEZNS1_25segmented_radix_sort_implIS3_Lb1EPKhPhPKlPlN2at6native12_GLOBAL__N_18offset_tEEE10hipError_tPvRmT1_PNSt15iterator_traitsISK_E10value_typeET2_T3_PNSL_ISQ_E10value_typeET4_jRbjT5_SW_jjP12ihipStream_tbEUlT_E1_NS1_11comp_targetILNS1_3genE0ELNS1_11target_archE4294967295ELNS1_3gpuE0ELNS1_3repE0EEENS1_59segmented_radix_sort_warp_sort_small_config_static_selectorELNS0_4arch9wavefront6targetE0EEEvSK_,"axG",@progbits,_ZN7rocprim17ROCPRIM_400000_NS6detail17trampoline_kernelINS0_14default_configENS1_36segmented_radix_sort_config_selectorIhlEEZNS1_25segmented_radix_sort_implIS3_Lb1EPKhPhPKlPlN2at6native12_GLOBAL__N_18offset_tEEE10hipError_tPvRmT1_PNSt15iterator_traitsISK_E10value_typeET2_T3_PNSL_ISQ_E10value_typeET4_jRbjT5_SW_jjP12ihipStream_tbEUlT_E1_NS1_11comp_targetILNS1_3genE0ELNS1_11target_archE4294967295ELNS1_3gpuE0ELNS1_3repE0EEENS1_59segmented_radix_sort_warp_sort_small_config_static_selectorELNS0_4arch9wavefront6targetE0EEEvSK_,comdat
.Lfunc_end103:
	.size	_ZN7rocprim17ROCPRIM_400000_NS6detail17trampoline_kernelINS0_14default_configENS1_36segmented_radix_sort_config_selectorIhlEEZNS1_25segmented_radix_sort_implIS3_Lb1EPKhPhPKlPlN2at6native12_GLOBAL__N_18offset_tEEE10hipError_tPvRmT1_PNSt15iterator_traitsISK_E10value_typeET2_T3_PNSL_ISQ_E10value_typeET4_jRbjT5_SW_jjP12ihipStream_tbEUlT_E1_NS1_11comp_targetILNS1_3genE0ELNS1_11target_archE4294967295ELNS1_3gpuE0ELNS1_3repE0EEENS1_59segmented_radix_sort_warp_sort_small_config_static_selectorELNS0_4arch9wavefront6targetE0EEEvSK_, .Lfunc_end103-_ZN7rocprim17ROCPRIM_400000_NS6detail17trampoline_kernelINS0_14default_configENS1_36segmented_radix_sort_config_selectorIhlEEZNS1_25segmented_radix_sort_implIS3_Lb1EPKhPhPKlPlN2at6native12_GLOBAL__N_18offset_tEEE10hipError_tPvRmT1_PNSt15iterator_traitsISK_E10value_typeET2_T3_PNSL_ISQ_E10value_typeET4_jRbjT5_SW_jjP12ihipStream_tbEUlT_E1_NS1_11comp_targetILNS1_3genE0ELNS1_11target_archE4294967295ELNS1_3gpuE0ELNS1_3repE0EEENS1_59segmented_radix_sort_warp_sort_small_config_static_selectorELNS0_4arch9wavefront6targetE0EEEvSK_
                                        ; -- End function
	.set _ZN7rocprim17ROCPRIM_400000_NS6detail17trampoline_kernelINS0_14default_configENS1_36segmented_radix_sort_config_selectorIhlEEZNS1_25segmented_radix_sort_implIS3_Lb1EPKhPhPKlPlN2at6native12_GLOBAL__N_18offset_tEEE10hipError_tPvRmT1_PNSt15iterator_traitsISK_E10value_typeET2_T3_PNSL_ISQ_E10value_typeET4_jRbjT5_SW_jjP12ihipStream_tbEUlT_E1_NS1_11comp_targetILNS1_3genE0ELNS1_11target_archE4294967295ELNS1_3gpuE0ELNS1_3repE0EEENS1_59segmented_radix_sort_warp_sort_small_config_static_selectorELNS0_4arch9wavefront6targetE0EEEvSK_.num_vgpr, 0
	.set _ZN7rocprim17ROCPRIM_400000_NS6detail17trampoline_kernelINS0_14default_configENS1_36segmented_radix_sort_config_selectorIhlEEZNS1_25segmented_radix_sort_implIS3_Lb1EPKhPhPKlPlN2at6native12_GLOBAL__N_18offset_tEEE10hipError_tPvRmT1_PNSt15iterator_traitsISK_E10value_typeET2_T3_PNSL_ISQ_E10value_typeET4_jRbjT5_SW_jjP12ihipStream_tbEUlT_E1_NS1_11comp_targetILNS1_3genE0ELNS1_11target_archE4294967295ELNS1_3gpuE0ELNS1_3repE0EEENS1_59segmented_radix_sort_warp_sort_small_config_static_selectorELNS0_4arch9wavefront6targetE0EEEvSK_.num_agpr, 0
	.set _ZN7rocprim17ROCPRIM_400000_NS6detail17trampoline_kernelINS0_14default_configENS1_36segmented_radix_sort_config_selectorIhlEEZNS1_25segmented_radix_sort_implIS3_Lb1EPKhPhPKlPlN2at6native12_GLOBAL__N_18offset_tEEE10hipError_tPvRmT1_PNSt15iterator_traitsISK_E10value_typeET2_T3_PNSL_ISQ_E10value_typeET4_jRbjT5_SW_jjP12ihipStream_tbEUlT_E1_NS1_11comp_targetILNS1_3genE0ELNS1_11target_archE4294967295ELNS1_3gpuE0ELNS1_3repE0EEENS1_59segmented_radix_sort_warp_sort_small_config_static_selectorELNS0_4arch9wavefront6targetE0EEEvSK_.numbered_sgpr, 0
	.set _ZN7rocprim17ROCPRIM_400000_NS6detail17trampoline_kernelINS0_14default_configENS1_36segmented_radix_sort_config_selectorIhlEEZNS1_25segmented_radix_sort_implIS3_Lb1EPKhPhPKlPlN2at6native12_GLOBAL__N_18offset_tEEE10hipError_tPvRmT1_PNSt15iterator_traitsISK_E10value_typeET2_T3_PNSL_ISQ_E10value_typeET4_jRbjT5_SW_jjP12ihipStream_tbEUlT_E1_NS1_11comp_targetILNS1_3genE0ELNS1_11target_archE4294967295ELNS1_3gpuE0ELNS1_3repE0EEENS1_59segmented_radix_sort_warp_sort_small_config_static_selectorELNS0_4arch9wavefront6targetE0EEEvSK_.num_named_barrier, 0
	.set _ZN7rocprim17ROCPRIM_400000_NS6detail17trampoline_kernelINS0_14default_configENS1_36segmented_radix_sort_config_selectorIhlEEZNS1_25segmented_radix_sort_implIS3_Lb1EPKhPhPKlPlN2at6native12_GLOBAL__N_18offset_tEEE10hipError_tPvRmT1_PNSt15iterator_traitsISK_E10value_typeET2_T3_PNSL_ISQ_E10value_typeET4_jRbjT5_SW_jjP12ihipStream_tbEUlT_E1_NS1_11comp_targetILNS1_3genE0ELNS1_11target_archE4294967295ELNS1_3gpuE0ELNS1_3repE0EEENS1_59segmented_radix_sort_warp_sort_small_config_static_selectorELNS0_4arch9wavefront6targetE0EEEvSK_.private_seg_size, 0
	.set _ZN7rocprim17ROCPRIM_400000_NS6detail17trampoline_kernelINS0_14default_configENS1_36segmented_radix_sort_config_selectorIhlEEZNS1_25segmented_radix_sort_implIS3_Lb1EPKhPhPKlPlN2at6native12_GLOBAL__N_18offset_tEEE10hipError_tPvRmT1_PNSt15iterator_traitsISK_E10value_typeET2_T3_PNSL_ISQ_E10value_typeET4_jRbjT5_SW_jjP12ihipStream_tbEUlT_E1_NS1_11comp_targetILNS1_3genE0ELNS1_11target_archE4294967295ELNS1_3gpuE0ELNS1_3repE0EEENS1_59segmented_radix_sort_warp_sort_small_config_static_selectorELNS0_4arch9wavefront6targetE0EEEvSK_.uses_vcc, 0
	.set _ZN7rocprim17ROCPRIM_400000_NS6detail17trampoline_kernelINS0_14default_configENS1_36segmented_radix_sort_config_selectorIhlEEZNS1_25segmented_radix_sort_implIS3_Lb1EPKhPhPKlPlN2at6native12_GLOBAL__N_18offset_tEEE10hipError_tPvRmT1_PNSt15iterator_traitsISK_E10value_typeET2_T3_PNSL_ISQ_E10value_typeET4_jRbjT5_SW_jjP12ihipStream_tbEUlT_E1_NS1_11comp_targetILNS1_3genE0ELNS1_11target_archE4294967295ELNS1_3gpuE0ELNS1_3repE0EEENS1_59segmented_radix_sort_warp_sort_small_config_static_selectorELNS0_4arch9wavefront6targetE0EEEvSK_.uses_flat_scratch, 0
	.set _ZN7rocprim17ROCPRIM_400000_NS6detail17trampoline_kernelINS0_14default_configENS1_36segmented_radix_sort_config_selectorIhlEEZNS1_25segmented_radix_sort_implIS3_Lb1EPKhPhPKlPlN2at6native12_GLOBAL__N_18offset_tEEE10hipError_tPvRmT1_PNSt15iterator_traitsISK_E10value_typeET2_T3_PNSL_ISQ_E10value_typeET4_jRbjT5_SW_jjP12ihipStream_tbEUlT_E1_NS1_11comp_targetILNS1_3genE0ELNS1_11target_archE4294967295ELNS1_3gpuE0ELNS1_3repE0EEENS1_59segmented_radix_sort_warp_sort_small_config_static_selectorELNS0_4arch9wavefront6targetE0EEEvSK_.has_dyn_sized_stack, 0
	.set _ZN7rocprim17ROCPRIM_400000_NS6detail17trampoline_kernelINS0_14default_configENS1_36segmented_radix_sort_config_selectorIhlEEZNS1_25segmented_radix_sort_implIS3_Lb1EPKhPhPKlPlN2at6native12_GLOBAL__N_18offset_tEEE10hipError_tPvRmT1_PNSt15iterator_traitsISK_E10value_typeET2_T3_PNSL_ISQ_E10value_typeET4_jRbjT5_SW_jjP12ihipStream_tbEUlT_E1_NS1_11comp_targetILNS1_3genE0ELNS1_11target_archE4294967295ELNS1_3gpuE0ELNS1_3repE0EEENS1_59segmented_radix_sort_warp_sort_small_config_static_selectorELNS0_4arch9wavefront6targetE0EEEvSK_.has_recursion, 0
	.set _ZN7rocprim17ROCPRIM_400000_NS6detail17trampoline_kernelINS0_14default_configENS1_36segmented_radix_sort_config_selectorIhlEEZNS1_25segmented_radix_sort_implIS3_Lb1EPKhPhPKlPlN2at6native12_GLOBAL__N_18offset_tEEE10hipError_tPvRmT1_PNSt15iterator_traitsISK_E10value_typeET2_T3_PNSL_ISQ_E10value_typeET4_jRbjT5_SW_jjP12ihipStream_tbEUlT_E1_NS1_11comp_targetILNS1_3genE0ELNS1_11target_archE4294967295ELNS1_3gpuE0ELNS1_3repE0EEENS1_59segmented_radix_sort_warp_sort_small_config_static_selectorELNS0_4arch9wavefront6targetE0EEEvSK_.has_indirect_call, 0
	.section	.AMDGPU.csdata,"",@progbits
; Kernel info:
; codeLenInByte = 0
; TotalNumSgprs: 0
; NumVgprs: 0
; ScratchSize: 0
; MemoryBound: 0
; FloatMode: 240
; IeeeMode: 1
; LDSByteSize: 0 bytes/workgroup (compile time only)
; SGPRBlocks: 0
; VGPRBlocks: 0
; NumSGPRsForWavesPerEU: 1
; NumVGPRsForWavesPerEU: 1
; Occupancy: 16
; WaveLimiterHint : 0
; COMPUTE_PGM_RSRC2:SCRATCH_EN: 0
; COMPUTE_PGM_RSRC2:USER_SGPR: 6
; COMPUTE_PGM_RSRC2:TRAP_HANDLER: 0
; COMPUTE_PGM_RSRC2:TGID_X_EN: 1
; COMPUTE_PGM_RSRC2:TGID_Y_EN: 0
; COMPUTE_PGM_RSRC2:TGID_Z_EN: 0
; COMPUTE_PGM_RSRC2:TIDIG_COMP_CNT: 0
	.section	.text._ZN7rocprim17ROCPRIM_400000_NS6detail17trampoline_kernelINS0_14default_configENS1_36segmented_radix_sort_config_selectorIhlEEZNS1_25segmented_radix_sort_implIS3_Lb1EPKhPhPKlPlN2at6native12_GLOBAL__N_18offset_tEEE10hipError_tPvRmT1_PNSt15iterator_traitsISK_E10value_typeET2_T3_PNSL_ISQ_E10value_typeET4_jRbjT5_SW_jjP12ihipStream_tbEUlT_E1_NS1_11comp_targetILNS1_3genE5ELNS1_11target_archE942ELNS1_3gpuE9ELNS1_3repE0EEENS1_59segmented_radix_sort_warp_sort_small_config_static_selectorELNS0_4arch9wavefront6targetE0EEEvSK_,"axG",@progbits,_ZN7rocprim17ROCPRIM_400000_NS6detail17trampoline_kernelINS0_14default_configENS1_36segmented_radix_sort_config_selectorIhlEEZNS1_25segmented_radix_sort_implIS3_Lb1EPKhPhPKlPlN2at6native12_GLOBAL__N_18offset_tEEE10hipError_tPvRmT1_PNSt15iterator_traitsISK_E10value_typeET2_T3_PNSL_ISQ_E10value_typeET4_jRbjT5_SW_jjP12ihipStream_tbEUlT_E1_NS1_11comp_targetILNS1_3genE5ELNS1_11target_archE942ELNS1_3gpuE9ELNS1_3repE0EEENS1_59segmented_radix_sort_warp_sort_small_config_static_selectorELNS0_4arch9wavefront6targetE0EEEvSK_,comdat
	.globl	_ZN7rocprim17ROCPRIM_400000_NS6detail17trampoline_kernelINS0_14default_configENS1_36segmented_radix_sort_config_selectorIhlEEZNS1_25segmented_radix_sort_implIS3_Lb1EPKhPhPKlPlN2at6native12_GLOBAL__N_18offset_tEEE10hipError_tPvRmT1_PNSt15iterator_traitsISK_E10value_typeET2_T3_PNSL_ISQ_E10value_typeET4_jRbjT5_SW_jjP12ihipStream_tbEUlT_E1_NS1_11comp_targetILNS1_3genE5ELNS1_11target_archE942ELNS1_3gpuE9ELNS1_3repE0EEENS1_59segmented_radix_sort_warp_sort_small_config_static_selectorELNS0_4arch9wavefront6targetE0EEEvSK_ ; -- Begin function _ZN7rocprim17ROCPRIM_400000_NS6detail17trampoline_kernelINS0_14default_configENS1_36segmented_radix_sort_config_selectorIhlEEZNS1_25segmented_radix_sort_implIS3_Lb1EPKhPhPKlPlN2at6native12_GLOBAL__N_18offset_tEEE10hipError_tPvRmT1_PNSt15iterator_traitsISK_E10value_typeET2_T3_PNSL_ISQ_E10value_typeET4_jRbjT5_SW_jjP12ihipStream_tbEUlT_E1_NS1_11comp_targetILNS1_3genE5ELNS1_11target_archE942ELNS1_3gpuE9ELNS1_3repE0EEENS1_59segmented_radix_sort_warp_sort_small_config_static_selectorELNS0_4arch9wavefront6targetE0EEEvSK_
	.p2align	8
	.type	_ZN7rocprim17ROCPRIM_400000_NS6detail17trampoline_kernelINS0_14default_configENS1_36segmented_radix_sort_config_selectorIhlEEZNS1_25segmented_radix_sort_implIS3_Lb1EPKhPhPKlPlN2at6native12_GLOBAL__N_18offset_tEEE10hipError_tPvRmT1_PNSt15iterator_traitsISK_E10value_typeET2_T3_PNSL_ISQ_E10value_typeET4_jRbjT5_SW_jjP12ihipStream_tbEUlT_E1_NS1_11comp_targetILNS1_3genE5ELNS1_11target_archE942ELNS1_3gpuE9ELNS1_3repE0EEENS1_59segmented_radix_sort_warp_sort_small_config_static_selectorELNS0_4arch9wavefront6targetE0EEEvSK_,@function
_ZN7rocprim17ROCPRIM_400000_NS6detail17trampoline_kernelINS0_14default_configENS1_36segmented_radix_sort_config_selectorIhlEEZNS1_25segmented_radix_sort_implIS3_Lb1EPKhPhPKlPlN2at6native12_GLOBAL__N_18offset_tEEE10hipError_tPvRmT1_PNSt15iterator_traitsISK_E10value_typeET2_T3_PNSL_ISQ_E10value_typeET4_jRbjT5_SW_jjP12ihipStream_tbEUlT_E1_NS1_11comp_targetILNS1_3genE5ELNS1_11target_archE942ELNS1_3gpuE9ELNS1_3repE0EEENS1_59segmented_radix_sort_warp_sort_small_config_static_selectorELNS0_4arch9wavefront6targetE0EEEvSK_: ; @_ZN7rocprim17ROCPRIM_400000_NS6detail17trampoline_kernelINS0_14default_configENS1_36segmented_radix_sort_config_selectorIhlEEZNS1_25segmented_radix_sort_implIS3_Lb1EPKhPhPKlPlN2at6native12_GLOBAL__N_18offset_tEEE10hipError_tPvRmT1_PNSt15iterator_traitsISK_E10value_typeET2_T3_PNSL_ISQ_E10value_typeET4_jRbjT5_SW_jjP12ihipStream_tbEUlT_E1_NS1_11comp_targetILNS1_3genE5ELNS1_11target_archE942ELNS1_3gpuE9ELNS1_3repE0EEENS1_59segmented_radix_sort_warp_sort_small_config_static_selectorELNS0_4arch9wavefront6targetE0EEEvSK_
; %bb.0:
	.section	.rodata,"a",@progbits
	.p2align	6, 0x0
	.amdhsa_kernel _ZN7rocprim17ROCPRIM_400000_NS6detail17trampoline_kernelINS0_14default_configENS1_36segmented_radix_sort_config_selectorIhlEEZNS1_25segmented_radix_sort_implIS3_Lb1EPKhPhPKlPlN2at6native12_GLOBAL__N_18offset_tEEE10hipError_tPvRmT1_PNSt15iterator_traitsISK_E10value_typeET2_T3_PNSL_ISQ_E10value_typeET4_jRbjT5_SW_jjP12ihipStream_tbEUlT_E1_NS1_11comp_targetILNS1_3genE5ELNS1_11target_archE942ELNS1_3gpuE9ELNS1_3repE0EEENS1_59segmented_radix_sort_warp_sort_small_config_static_selectorELNS0_4arch9wavefront6targetE0EEEvSK_
		.amdhsa_group_segment_fixed_size 0
		.amdhsa_private_segment_fixed_size 0
		.amdhsa_kernarg_size 88
		.amdhsa_user_sgpr_count 6
		.amdhsa_user_sgpr_private_segment_buffer 1
		.amdhsa_user_sgpr_dispatch_ptr 0
		.amdhsa_user_sgpr_queue_ptr 0
		.amdhsa_user_sgpr_kernarg_segment_ptr 1
		.amdhsa_user_sgpr_dispatch_id 0
		.amdhsa_user_sgpr_flat_scratch_init 0
		.amdhsa_user_sgpr_private_segment_size 0
		.amdhsa_wavefront_size32 1
		.amdhsa_uses_dynamic_stack 0
		.amdhsa_system_sgpr_private_segment_wavefront_offset 0
		.amdhsa_system_sgpr_workgroup_id_x 1
		.amdhsa_system_sgpr_workgroup_id_y 0
		.amdhsa_system_sgpr_workgroup_id_z 0
		.amdhsa_system_sgpr_workgroup_info 0
		.amdhsa_system_vgpr_workitem_id 0
		.amdhsa_next_free_vgpr 1
		.amdhsa_next_free_sgpr 1
		.amdhsa_reserve_vcc 0
		.amdhsa_reserve_flat_scratch 0
		.amdhsa_float_round_mode_32 0
		.amdhsa_float_round_mode_16_64 0
		.amdhsa_float_denorm_mode_32 3
		.amdhsa_float_denorm_mode_16_64 3
		.amdhsa_dx10_clamp 1
		.amdhsa_ieee_mode 1
		.amdhsa_fp16_overflow 0
		.amdhsa_workgroup_processor_mode 1
		.amdhsa_memory_ordered 1
		.amdhsa_forward_progress 1
		.amdhsa_shared_vgpr_count 0
		.amdhsa_exception_fp_ieee_invalid_op 0
		.amdhsa_exception_fp_denorm_src 0
		.amdhsa_exception_fp_ieee_div_zero 0
		.amdhsa_exception_fp_ieee_overflow 0
		.amdhsa_exception_fp_ieee_underflow 0
		.amdhsa_exception_fp_ieee_inexact 0
		.amdhsa_exception_int_div_zero 0
	.end_amdhsa_kernel
	.section	.text._ZN7rocprim17ROCPRIM_400000_NS6detail17trampoline_kernelINS0_14default_configENS1_36segmented_radix_sort_config_selectorIhlEEZNS1_25segmented_radix_sort_implIS3_Lb1EPKhPhPKlPlN2at6native12_GLOBAL__N_18offset_tEEE10hipError_tPvRmT1_PNSt15iterator_traitsISK_E10value_typeET2_T3_PNSL_ISQ_E10value_typeET4_jRbjT5_SW_jjP12ihipStream_tbEUlT_E1_NS1_11comp_targetILNS1_3genE5ELNS1_11target_archE942ELNS1_3gpuE9ELNS1_3repE0EEENS1_59segmented_radix_sort_warp_sort_small_config_static_selectorELNS0_4arch9wavefront6targetE0EEEvSK_,"axG",@progbits,_ZN7rocprim17ROCPRIM_400000_NS6detail17trampoline_kernelINS0_14default_configENS1_36segmented_radix_sort_config_selectorIhlEEZNS1_25segmented_radix_sort_implIS3_Lb1EPKhPhPKlPlN2at6native12_GLOBAL__N_18offset_tEEE10hipError_tPvRmT1_PNSt15iterator_traitsISK_E10value_typeET2_T3_PNSL_ISQ_E10value_typeET4_jRbjT5_SW_jjP12ihipStream_tbEUlT_E1_NS1_11comp_targetILNS1_3genE5ELNS1_11target_archE942ELNS1_3gpuE9ELNS1_3repE0EEENS1_59segmented_radix_sort_warp_sort_small_config_static_selectorELNS0_4arch9wavefront6targetE0EEEvSK_,comdat
.Lfunc_end104:
	.size	_ZN7rocprim17ROCPRIM_400000_NS6detail17trampoline_kernelINS0_14default_configENS1_36segmented_radix_sort_config_selectorIhlEEZNS1_25segmented_radix_sort_implIS3_Lb1EPKhPhPKlPlN2at6native12_GLOBAL__N_18offset_tEEE10hipError_tPvRmT1_PNSt15iterator_traitsISK_E10value_typeET2_T3_PNSL_ISQ_E10value_typeET4_jRbjT5_SW_jjP12ihipStream_tbEUlT_E1_NS1_11comp_targetILNS1_3genE5ELNS1_11target_archE942ELNS1_3gpuE9ELNS1_3repE0EEENS1_59segmented_radix_sort_warp_sort_small_config_static_selectorELNS0_4arch9wavefront6targetE0EEEvSK_, .Lfunc_end104-_ZN7rocprim17ROCPRIM_400000_NS6detail17trampoline_kernelINS0_14default_configENS1_36segmented_radix_sort_config_selectorIhlEEZNS1_25segmented_radix_sort_implIS3_Lb1EPKhPhPKlPlN2at6native12_GLOBAL__N_18offset_tEEE10hipError_tPvRmT1_PNSt15iterator_traitsISK_E10value_typeET2_T3_PNSL_ISQ_E10value_typeET4_jRbjT5_SW_jjP12ihipStream_tbEUlT_E1_NS1_11comp_targetILNS1_3genE5ELNS1_11target_archE942ELNS1_3gpuE9ELNS1_3repE0EEENS1_59segmented_radix_sort_warp_sort_small_config_static_selectorELNS0_4arch9wavefront6targetE0EEEvSK_
                                        ; -- End function
	.set _ZN7rocprim17ROCPRIM_400000_NS6detail17trampoline_kernelINS0_14default_configENS1_36segmented_radix_sort_config_selectorIhlEEZNS1_25segmented_radix_sort_implIS3_Lb1EPKhPhPKlPlN2at6native12_GLOBAL__N_18offset_tEEE10hipError_tPvRmT1_PNSt15iterator_traitsISK_E10value_typeET2_T3_PNSL_ISQ_E10value_typeET4_jRbjT5_SW_jjP12ihipStream_tbEUlT_E1_NS1_11comp_targetILNS1_3genE5ELNS1_11target_archE942ELNS1_3gpuE9ELNS1_3repE0EEENS1_59segmented_radix_sort_warp_sort_small_config_static_selectorELNS0_4arch9wavefront6targetE0EEEvSK_.num_vgpr, 0
	.set _ZN7rocprim17ROCPRIM_400000_NS6detail17trampoline_kernelINS0_14default_configENS1_36segmented_radix_sort_config_selectorIhlEEZNS1_25segmented_radix_sort_implIS3_Lb1EPKhPhPKlPlN2at6native12_GLOBAL__N_18offset_tEEE10hipError_tPvRmT1_PNSt15iterator_traitsISK_E10value_typeET2_T3_PNSL_ISQ_E10value_typeET4_jRbjT5_SW_jjP12ihipStream_tbEUlT_E1_NS1_11comp_targetILNS1_3genE5ELNS1_11target_archE942ELNS1_3gpuE9ELNS1_3repE0EEENS1_59segmented_radix_sort_warp_sort_small_config_static_selectorELNS0_4arch9wavefront6targetE0EEEvSK_.num_agpr, 0
	.set _ZN7rocprim17ROCPRIM_400000_NS6detail17trampoline_kernelINS0_14default_configENS1_36segmented_radix_sort_config_selectorIhlEEZNS1_25segmented_radix_sort_implIS3_Lb1EPKhPhPKlPlN2at6native12_GLOBAL__N_18offset_tEEE10hipError_tPvRmT1_PNSt15iterator_traitsISK_E10value_typeET2_T3_PNSL_ISQ_E10value_typeET4_jRbjT5_SW_jjP12ihipStream_tbEUlT_E1_NS1_11comp_targetILNS1_3genE5ELNS1_11target_archE942ELNS1_3gpuE9ELNS1_3repE0EEENS1_59segmented_radix_sort_warp_sort_small_config_static_selectorELNS0_4arch9wavefront6targetE0EEEvSK_.numbered_sgpr, 0
	.set _ZN7rocprim17ROCPRIM_400000_NS6detail17trampoline_kernelINS0_14default_configENS1_36segmented_radix_sort_config_selectorIhlEEZNS1_25segmented_radix_sort_implIS3_Lb1EPKhPhPKlPlN2at6native12_GLOBAL__N_18offset_tEEE10hipError_tPvRmT1_PNSt15iterator_traitsISK_E10value_typeET2_T3_PNSL_ISQ_E10value_typeET4_jRbjT5_SW_jjP12ihipStream_tbEUlT_E1_NS1_11comp_targetILNS1_3genE5ELNS1_11target_archE942ELNS1_3gpuE9ELNS1_3repE0EEENS1_59segmented_radix_sort_warp_sort_small_config_static_selectorELNS0_4arch9wavefront6targetE0EEEvSK_.num_named_barrier, 0
	.set _ZN7rocprim17ROCPRIM_400000_NS6detail17trampoline_kernelINS0_14default_configENS1_36segmented_radix_sort_config_selectorIhlEEZNS1_25segmented_radix_sort_implIS3_Lb1EPKhPhPKlPlN2at6native12_GLOBAL__N_18offset_tEEE10hipError_tPvRmT1_PNSt15iterator_traitsISK_E10value_typeET2_T3_PNSL_ISQ_E10value_typeET4_jRbjT5_SW_jjP12ihipStream_tbEUlT_E1_NS1_11comp_targetILNS1_3genE5ELNS1_11target_archE942ELNS1_3gpuE9ELNS1_3repE0EEENS1_59segmented_radix_sort_warp_sort_small_config_static_selectorELNS0_4arch9wavefront6targetE0EEEvSK_.private_seg_size, 0
	.set _ZN7rocprim17ROCPRIM_400000_NS6detail17trampoline_kernelINS0_14default_configENS1_36segmented_radix_sort_config_selectorIhlEEZNS1_25segmented_radix_sort_implIS3_Lb1EPKhPhPKlPlN2at6native12_GLOBAL__N_18offset_tEEE10hipError_tPvRmT1_PNSt15iterator_traitsISK_E10value_typeET2_T3_PNSL_ISQ_E10value_typeET4_jRbjT5_SW_jjP12ihipStream_tbEUlT_E1_NS1_11comp_targetILNS1_3genE5ELNS1_11target_archE942ELNS1_3gpuE9ELNS1_3repE0EEENS1_59segmented_radix_sort_warp_sort_small_config_static_selectorELNS0_4arch9wavefront6targetE0EEEvSK_.uses_vcc, 0
	.set _ZN7rocprim17ROCPRIM_400000_NS6detail17trampoline_kernelINS0_14default_configENS1_36segmented_radix_sort_config_selectorIhlEEZNS1_25segmented_radix_sort_implIS3_Lb1EPKhPhPKlPlN2at6native12_GLOBAL__N_18offset_tEEE10hipError_tPvRmT1_PNSt15iterator_traitsISK_E10value_typeET2_T3_PNSL_ISQ_E10value_typeET4_jRbjT5_SW_jjP12ihipStream_tbEUlT_E1_NS1_11comp_targetILNS1_3genE5ELNS1_11target_archE942ELNS1_3gpuE9ELNS1_3repE0EEENS1_59segmented_radix_sort_warp_sort_small_config_static_selectorELNS0_4arch9wavefront6targetE0EEEvSK_.uses_flat_scratch, 0
	.set _ZN7rocprim17ROCPRIM_400000_NS6detail17trampoline_kernelINS0_14default_configENS1_36segmented_radix_sort_config_selectorIhlEEZNS1_25segmented_radix_sort_implIS3_Lb1EPKhPhPKlPlN2at6native12_GLOBAL__N_18offset_tEEE10hipError_tPvRmT1_PNSt15iterator_traitsISK_E10value_typeET2_T3_PNSL_ISQ_E10value_typeET4_jRbjT5_SW_jjP12ihipStream_tbEUlT_E1_NS1_11comp_targetILNS1_3genE5ELNS1_11target_archE942ELNS1_3gpuE9ELNS1_3repE0EEENS1_59segmented_radix_sort_warp_sort_small_config_static_selectorELNS0_4arch9wavefront6targetE0EEEvSK_.has_dyn_sized_stack, 0
	.set _ZN7rocprim17ROCPRIM_400000_NS6detail17trampoline_kernelINS0_14default_configENS1_36segmented_radix_sort_config_selectorIhlEEZNS1_25segmented_radix_sort_implIS3_Lb1EPKhPhPKlPlN2at6native12_GLOBAL__N_18offset_tEEE10hipError_tPvRmT1_PNSt15iterator_traitsISK_E10value_typeET2_T3_PNSL_ISQ_E10value_typeET4_jRbjT5_SW_jjP12ihipStream_tbEUlT_E1_NS1_11comp_targetILNS1_3genE5ELNS1_11target_archE942ELNS1_3gpuE9ELNS1_3repE0EEENS1_59segmented_radix_sort_warp_sort_small_config_static_selectorELNS0_4arch9wavefront6targetE0EEEvSK_.has_recursion, 0
	.set _ZN7rocprim17ROCPRIM_400000_NS6detail17trampoline_kernelINS0_14default_configENS1_36segmented_radix_sort_config_selectorIhlEEZNS1_25segmented_radix_sort_implIS3_Lb1EPKhPhPKlPlN2at6native12_GLOBAL__N_18offset_tEEE10hipError_tPvRmT1_PNSt15iterator_traitsISK_E10value_typeET2_T3_PNSL_ISQ_E10value_typeET4_jRbjT5_SW_jjP12ihipStream_tbEUlT_E1_NS1_11comp_targetILNS1_3genE5ELNS1_11target_archE942ELNS1_3gpuE9ELNS1_3repE0EEENS1_59segmented_radix_sort_warp_sort_small_config_static_selectorELNS0_4arch9wavefront6targetE0EEEvSK_.has_indirect_call, 0
	.section	.AMDGPU.csdata,"",@progbits
; Kernel info:
; codeLenInByte = 0
; TotalNumSgprs: 0
; NumVgprs: 0
; ScratchSize: 0
; MemoryBound: 0
; FloatMode: 240
; IeeeMode: 1
; LDSByteSize: 0 bytes/workgroup (compile time only)
; SGPRBlocks: 0
; VGPRBlocks: 0
; NumSGPRsForWavesPerEU: 1
; NumVGPRsForWavesPerEU: 1
; Occupancy: 16
; WaveLimiterHint : 0
; COMPUTE_PGM_RSRC2:SCRATCH_EN: 0
; COMPUTE_PGM_RSRC2:USER_SGPR: 6
; COMPUTE_PGM_RSRC2:TRAP_HANDLER: 0
; COMPUTE_PGM_RSRC2:TGID_X_EN: 1
; COMPUTE_PGM_RSRC2:TGID_Y_EN: 0
; COMPUTE_PGM_RSRC2:TGID_Z_EN: 0
; COMPUTE_PGM_RSRC2:TIDIG_COMP_CNT: 0
	.section	.text._ZN7rocprim17ROCPRIM_400000_NS6detail17trampoline_kernelINS0_14default_configENS1_36segmented_radix_sort_config_selectorIhlEEZNS1_25segmented_radix_sort_implIS3_Lb1EPKhPhPKlPlN2at6native12_GLOBAL__N_18offset_tEEE10hipError_tPvRmT1_PNSt15iterator_traitsISK_E10value_typeET2_T3_PNSL_ISQ_E10value_typeET4_jRbjT5_SW_jjP12ihipStream_tbEUlT_E1_NS1_11comp_targetILNS1_3genE4ELNS1_11target_archE910ELNS1_3gpuE8ELNS1_3repE0EEENS1_59segmented_radix_sort_warp_sort_small_config_static_selectorELNS0_4arch9wavefront6targetE0EEEvSK_,"axG",@progbits,_ZN7rocprim17ROCPRIM_400000_NS6detail17trampoline_kernelINS0_14default_configENS1_36segmented_radix_sort_config_selectorIhlEEZNS1_25segmented_radix_sort_implIS3_Lb1EPKhPhPKlPlN2at6native12_GLOBAL__N_18offset_tEEE10hipError_tPvRmT1_PNSt15iterator_traitsISK_E10value_typeET2_T3_PNSL_ISQ_E10value_typeET4_jRbjT5_SW_jjP12ihipStream_tbEUlT_E1_NS1_11comp_targetILNS1_3genE4ELNS1_11target_archE910ELNS1_3gpuE8ELNS1_3repE0EEENS1_59segmented_radix_sort_warp_sort_small_config_static_selectorELNS0_4arch9wavefront6targetE0EEEvSK_,comdat
	.globl	_ZN7rocprim17ROCPRIM_400000_NS6detail17trampoline_kernelINS0_14default_configENS1_36segmented_radix_sort_config_selectorIhlEEZNS1_25segmented_radix_sort_implIS3_Lb1EPKhPhPKlPlN2at6native12_GLOBAL__N_18offset_tEEE10hipError_tPvRmT1_PNSt15iterator_traitsISK_E10value_typeET2_T3_PNSL_ISQ_E10value_typeET4_jRbjT5_SW_jjP12ihipStream_tbEUlT_E1_NS1_11comp_targetILNS1_3genE4ELNS1_11target_archE910ELNS1_3gpuE8ELNS1_3repE0EEENS1_59segmented_radix_sort_warp_sort_small_config_static_selectorELNS0_4arch9wavefront6targetE0EEEvSK_ ; -- Begin function _ZN7rocprim17ROCPRIM_400000_NS6detail17trampoline_kernelINS0_14default_configENS1_36segmented_radix_sort_config_selectorIhlEEZNS1_25segmented_radix_sort_implIS3_Lb1EPKhPhPKlPlN2at6native12_GLOBAL__N_18offset_tEEE10hipError_tPvRmT1_PNSt15iterator_traitsISK_E10value_typeET2_T3_PNSL_ISQ_E10value_typeET4_jRbjT5_SW_jjP12ihipStream_tbEUlT_E1_NS1_11comp_targetILNS1_3genE4ELNS1_11target_archE910ELNS1_3gpuE8ELNS1_3repE0EEENS1_59segmented_radix_sort_warp_sort_small_config_static_selectorELNS0_4arch9wavefront6targetE0EEEvSK_
	.p2align	8
	.type	_ZN7rocprim17ROCPRIM_400000_NS6detail17trampoline_kernelINS0_14default_configENS1_36segmented_radix_sort_config_selectorIhlEEZNS1_25segmented_radix_sort_implIS3_Lb1EPKhPhPKlPlN2at6native12_GLOBAL__N_18offset_tEEE10hipError_tPvRmT1_PNSt15iterator_traitsISK_E10value_typeET2_T3_PNSL_ISQ_E10value_typeET4_jRbjT5_SW_jjP12ihipStream_tbEUlT_E1_NS1_11comp_targetILNS1_3genE4ELNS1_11target_archE910ELNS1_3gpuE8ELNS1_3repE0EEENS1_59segmented_radix_sort_warp_sort_small_config_static_selectorELNS0_4arch9wavefront6targetE0EEEvSK_,@function
_ZN7rocprim17ROCPRIM_400000_NS6detail17trampoline_kernelINS0_14default_configENS1_36segmented_radix_sort_config_selectorIhlEEZNS1_25segmented_radix_sort_implIS3_Lb1EPKhPhPKlPlN2at6native12_GLOBAL__N_18offset_tEEE10hipError_tPvRmT1_PNSt15iterator_traitsISK_E10value_typeET2_T3_PNSL_ISQ_E10value_typeET4_jRbjT5_SW_jjP12ihipStream_tbEUlT_E1_NS1_11comp_targetILNS1_3genE4ELNS1_11target_archE910ELNS1_3gpuE8ELNS1_3repE0EEENS1_59segmented_radix_sort_warp_sort_small_config_static_selectorELNS0_4arch9wavefront6targetE0EEEvSK_: ; @_ZN7rocprim17ROCPRIM_400000_NS6detail17trampoline_kernelINS0_14default_configENS1_36segmented_radix_sort_config_selectorIhlEEZNS1_25segmented_radix_sort_implIS3_Lb1EPKhPhPKlPlN2at6native12_GLOBAL__N_18offset_tEEE10hipError_tPvRmT1_PNSt15iterator_traitsISK_E10value_typeET2_T3_PNSL_ISQ_E10value_typeET4_jRbjT5_SW_jjP12ihipStream_tbEUlT_E1_NS1_11comp_targetILNS1_3genE4ELNS1_11target_archE910ELNS1_3gpuE8ELNS1_3repE0EEENS1_59segmented_radix_sort_warp_sort_small_config_static_selectorELNS0_4arch9wavefront6targetE0EEEvSK_
; %bb.0:
	.section	.rodata,"a",@progbits
	.p2align	6, 0x0
	.amdhsa_kernel _ZN7rocprim17ROCPRIM_400000_NS6detail17trampoline_kernelINS0_14default_configENS1_36segmented_radix_sort_config_selectorIhlEEZNS1_25segmented_radix_sort_implIS3_Lb1EPKhPhPKlPlN2at6native12_GLOBAL__N_18offset_tEEE10hipError_tPvRmT1_PNSt15iterator_traitsISK_E10value_typeET2_T3_PNSL_ISQ_E10value_typeET4_jRbjT5_SW_jjP12ihipStream_tbEUlT_E1_NS1_11comp_targetILNS1_3genE4ELNS1_11target_archE910ELNS1_3gpuE8ELNS1_3repE0EEENS1_59segmented_radix_sort_warp_sort_small_config_static_selectorELNS0_4arch9wavefront6targetE0EEEvSK_
		.amdhsa_group_segment_fixed_size 0
		.amdhsa_private_segment_fixed_size 0
		.amdhsa_kernarg_size 88
		.amdhsa_user_sgpr_count 6
		.amdhsa_user_sgpr_private_segment_buffer 1
		.amdhsa_user_sgpr_dispatch_ptr 0
		.amdhsa_user_sgpr_queue_ptr 0
		.amdhsa_user_sgpr_kernarg_segment_ptr 1
		.amdhsa_user_sgpr_dispatch_id 0
		.amdhsa_user_sgpr_flat_scratch_init 0
		.amdhsa_user_sgpr_private_segment_size 0
		.amdhsa_wavefront_size32 1
		.amdhsa_uses_dynamic_stack 0
		.amdhsa_system_sgpr_private_segment_wavefront_offset 0
		.amdhsa_system_sgpr_workgroup_id_x 1
		.amdhsa_system_sgpr_workgroup_id_y 0
		.amdhsa_system_sgpr_workgroup_id_z 0
		.amdhsa_system_sgpr_workgroup_info 0
		.amdhsa_system_vgpr_workitem_id 0
		.amdhsa_next_free_vgpr 1
		.amdhsa_next_free_sgpr 1
		.amdhsa_reserve_vcc 0
		.amdhsa_reserve_flat_scratch 0
		.amdhsa_float_round_mode_32 0
		.amdhsa_float_round_mode_16_64 0
		.amdhsa_float_denorm_mode_32 3
		.amdhsa_float_denorm_mode_16_64 3
		.amdhsa_dx10_clamp 1
		.amdhsa_ieee_mode 1
		.amdhsa_fp16_overflow 0
		.amdhsa_workgroup_processor_mode 1
		.amdhsa_memory_ordered 1
		.amdhsa_forward_progress 1
		.amdhsa_shared_vgpr_count 0
		.amdhsa_exception_fp_ieee_invalid_op 0
		.amdhsa_exception_fp_denorm_src 0
		.amdhsa_exception_fp_ieee_div_zero 0
		.amdhsa_exception_fp_ieee_overflow 0
		.amdhsa_exception_fp_ieee_underflow 0
		.amdhsa_exception_fp_ieee_inexact 0
		.amdhsa_exception_int_div_zero 0
	.end_amdhsa_kernel
	.section	.text._ZN7rocprim17ROCPRIM_400000_NS6detail17trampoline_kernelINS0_14default_configENS1_36segmented_radix_sort_config_selectorIhlEEZNS1_25segmented_radix_sort_implIS3_Lb1EPKhPhPKlPlN2at6native12_GLOBAL__N_18offset_tEEE10hipError_tPvRmT1_PNSt15iterator_traitsISK_E10value_typeET2_T3_PNSL_ISQ_E10value_typeET4_jRbjT5_SW_jjP12ihipStream_tbEUlT_E1_NS1_11comp_targetILNS1_3genE4ELNS1_11target_archE910ELNS1_3gpuE8ELNS1_3repE0EEENS1_59segmented_radix_sort_warp_sort_small_config_static_selectorELNS0_4arch9wavefront6targetE0EEEvSK_,"axG",@progbits,_ZN7rocprim17ROCPRIM_400000_NS6detail17trampoline_kernelINS0_14default_configENS1_36segmented_radix_sort_config_selectorIhlEEZNS1_25segmented_radix_sort_implIS3_Lb1EPKhPhPKlPlN2at6native12_GLOBAL__N_18offset_tEEE10hipError_tPvRmT1_PNSt15iterator_traitsISK_E10value_typeET2_T3_PNSL_ISQ_E10value_typeET4_jRbjT5_SW_jjP12ihipStream_tbEUlT_E1_NS1_11comp_targetILNS1_3genE4ELNS1_11target_archE910ELNS1_3gpuE8ELNS1_3repE0EEENS1_59segmented_radix_sort_warp_sort_small_config_static_selectorELNS0_4arch9wavefront6targetE0EEEvSK_,comdat
.Lfunc_end105:
	.size	_ZN7rocprim17ROCPRIM_400000_NS6detail17trampoline_kernelINS0_14default_configENS1_36segmented_radix_sort_config_selectorIhlEEZNS1_25segmented_radix_sort_implIS3_Lb1EPKhPhPKlPlN2at6native12_GLOBAL__N_18offset_tEEE10hipError_tPvRmT1_PNSt15iterator_traitsISK_E10value_typeET2_T3_PNSL_ISQ_E10value_typeET4_jRbjT5_SW_jjP12ihipStream_tbEUlT_E1_NS1_11comp_targetILNS1_3genE4ELNS1_11target_archE910ELNS1_3gpuE8ELNS1_3repE0EEENS1_59segmented_radix_sort_warp_sort_small_config_static_selectorELNS0_4arch9wavefront6targetE0EEEvSK_, .Lfunc_end105-_ZN7rocprim17ROCPRIM_400000_NS6detail17trampoline_kernelINS0_14default_configENS1_36segmented_radix_sort_config_selectorIhlEEZNS1_25segmented_radix_sort_implIS3_Lb1EPKhPhPKlPlN2at6native12_GLOBAL__N_18offset_tEEE10hipError_tPvRmT1_PNSt15iterator_traitsISK_E10value_typeET2_T3_PNSL_ISQ_E10value_typeET4_jRbjT5_SW_jjP12ihipStream_tbEUlT_E1_NS1_11comp_targetILNS1_3genE4ELNS1_11target_archE910ELNS1_3gpuE8ELNS1_3repE0EEENS1_59segmented_radix_sort_warp_sort_small_config_static_selectorELNS0_4arch9wavefront6targetE0EEEvSK_
                                        ; -- End function
	.set _ZN7rocprim17ROCPRIM_400000_NS6detail17trampoline_kernelINS0_14default_configENS1_36segmented_radix_sort_config_selectorIhlEEZNS1_25segmented_radix_sort_implIS3_Lb1EPKhPhPKlPlN2at6native12_GLOBAL__N_18offset_tEEE10hipError_tPvRmT1_PNSt15iterator_traitsISK_E10value_typeET2_T3_PNSL_ISQ_E10value_typeET4_jRbjT5_SW_jjP12ihipStream_tbEUlT_E1_NS1_11comp_targetILNS1_3genE4ELNS1_11target_archE910ELNS1_3gpuE8ELNS1_3repE0EEENS1_59segmented_radix_sort_warp_sort_small_config_static_selectorELNS0_4arch9wavefront6targetE0EEEvSK_.num_vgpr, 0
	.set _ZN7rocprim17ROCPRIM_400000_NS6detail17trampoline_kernelINS0_14default_configENS1_36segmented_radix_sort_config_selectorIhlEEZNS1_25segmented_radix_sort_implIS3_Lb1EPKhPhPKlPlN2at6native12_GLOBAL__N_18offset_tEEE10hipError_tPvRmT1_PNSt15iterator_traitsISK_E10value_typeET2_T3_PNSL_ISQ_E10value_typeET4_jRbjT5_SW_jjP12ihipStream_tbEUlT_E1_NS1_11comp_targetILNS1_3genE4ELNS1_11target_archE910ELNS1_3gpuE8ELNS1_3repE0EEENS1_59segmented_radix_sort_warp_sort_small_config_static_selectorELNS0_4arch9wavefront6targetE0EEEvSK_.num_agpr, 0
	.set _ZN7rocprim17ROCPRIM_400000_NS6detail17trampoline_kernelINS0_14default_configENS1_36segmented_radix_sort_config_selectorIhlEEZNS1_25segmented_radix_sort_implIS3_Lb1EPKhPhPKlPlN2at6native12_GLOBAL__N_18offset_tEEE10hipError_tPvRmT1_PNSt15iterator_traitsISK_E10value_typeET2_T3_PNSL_ISQ_E10value_typeET4_jRbjT5_SW_jjP12ihipStream_tbEUlT_E1_NS1_11comp_targetILNS1_3genE4ELNS1_11target_archE910ELNS1_3gpuE8ELNS1_3repE0EEENS1_59segmented_radix_sort_warp_sort_small_config_static_selectorELNS0_4arch9wavefront6targetE0EEEvSK_.numbered_sgpr, 0
	.set _ZN7rocprim17ROCPRIM_400000_NS6detail17trampoline_kernelINS0_14default_configENS1_36segmented_radix_sort_config_selectorIhlEEZNS1_25segmented_radix_sort_implIS3_Lb1EPKhPhPKlPlN2at6native12_GLOBAL__N_18offset_tEEE10hipError_tPvRmT1_PNSt15iterator_traitsISK_E10value_typeET2_T3_PNSL_ISQ_E10value_typeET4_jRbjT5_SW_jjP12ihipStream_tbEUlT_E1_NS1_11comp_targetILNS1_3genE4ELNS1_11target_archE910ELNS1_3gpuE8ELNS1_3repE0EEENS1_59segmented_radix_sort_warp_sort_small_config_static_selectorELNS0_4arch9wavefront6targetE0EEEvSK_.num_named_barrier, 0
	.set _ZN7rocprim17ROCPRIM_400000_NS6detail17trampoline_kernelINS0_14default_configENS1_36segmented_radix_sort_config_selectorIhlEEZNS1_25segmented_radix_sort_implIS3_Lb1EPKhPhPKlPlN2at6native12_GLOBAL__N_18offset_tEEE10hipError_tPvRmT1_PNSt15iterator_traitsISK_E10value_typeET2_T3_PNSL_ISQ_E10value_typeET4_jRbjT5_SW_jjP12ihipStream_tbEUlT_E1_NS1_11comp_targetILNS1_3genE4ELNS1_11target_archE910ELNS1_3gpuE8ELNS1_3repE0EEENS1_59segmented_radix_sort_warp_sort_small_config_static_selectorELNS0_4arch9wavefront6targetE0EEEvSK_.private_seg_size, 0
	.set _ZN7rocprim17ROCPRIM_400000_NS6detail17trampoline_kernelINS0_14default_configENS1_36segmented_radix_sort_config_selectorIhlEEZNS1_25segmented_radix_sort_implIS3_Lb1EPKhPhPKlPlN2at6native12_GLOBAL__N_18offset_tEEE10hipError_tPvRmT1_PNSt15iterator_traitsISK_E10value_typeET2_T3_PNSL_ISQ_E10value_typeET4_jRbjT5_SW_jjP12ihipStream_tbEUlT_E1_NS1_11comp_targetILNS1_3genE4ELNS1_11target_archE910ELNS1_3gpuE8ELNS1_3repE0EEENS1_59segmented_radix_sort_warp_sort_small_config_static_selectorELNS0_4arch9wavefront6targetE0EEEvSK_.uses_vcc, 0
	.set _ZN7rocprim17ROCPRIM_400000_NS6detail17trampoline_kernelINS0_14default_configENS1_36segmented_radix_sort_config_selectorIhlEEZNS1_25segmented_radix_sort_implIS3_Lb1EPKhPhPKlPlN2at6native12_GLOBAL__N_18offset_tEEE10hipError_tPvRmT1_PNSt15iterator_traitsISK_E10value_typeET2_T3_PNSL_ISQ_E10value_typeET4_jRbjT5_SW_jjP12ihipStream_tbEUlT_E1_NS1_11comp_targetILNS1_3genE4ELNS1_11target_archE910ELNS1_3gpuE8ELNS1_3repE0EEENS1_59segmented_radix_sort_warp_sort_small_config_static_selectorELNS0_4arch9wavefront6targetE0EEEvSK_.uses_flat_scratch, 0
	.set _ZN7rocprim17ROCPRIM_400000_NS6detail17trampoline_kernelINS0_14default_configENS1_36segmented_radix_sort_config_selectorIhlEEZNS1_25segmented_radix_sort_implIS3_Lb1EPKhPhPKlPlN2at6native12_GLOBAL__N_18offset_tEEE10hipError_tPvRmT1_PNSt15iterator_traitsISK_E10value_typeET2_T3_PNSL_ISQ_E10value_typeET4_jRbjT5_SW_jjP12ihipStream_tbEUlT_E1_NS1_11comp_targetILNS1_3genE4ELNS1_11target_archE910ELNS1_3gpuE8ELNS1_3repE0EEENS1_59segmented_radix_sort_warp_sort_small_config_static_selectorELNS0_4arch9wavefront6targetE0EEEvSK_.has_dyn_sized_stack, 0
	.set _ZN7rocprim17ROCPRIM_400000_NS6detail17trampoline_kernelINS0_14default_configENS1_36segmented_radix_sort_config_selectorIhlEEZNS1_25segmented_radix_sort_implIS3_Lb1EPKhPhPKlPlN2at6native12_GLOBAL__N_18offset_tEEE10hipError_tPvRmT1_PNSt15iterator_traitsISK_E10value_typeET2_T3_PNSL_ISQ_E10value_typeET4_jRbjT5_SW_jjP12ihipStream_tbEUlT_E1_NS1_11comp_targetILNS1_3genE4ELNS1_11target_archE910ELNS1_3gpuE8ELNS1_3repE0EEENS1_59segmented_radix_sort_warp_sort_small_config_static_selectorELNS0_4arch9wavefront6targetE0EEEvSK_.has_recursion, 0
	.set _ZN7rocprim17ROCPRIM_400000_NS6detail17trampoline_kernelINS0_14default_configENS1_36segmented_radix_sort_config_selectorIhlEEZNS1_25segmented_radix_sort_implIS3_Lb1EPKhPhPKlPlN2at6native12_GLOBAL__N_18offset_tEEE10hipError_tPvRmT1_PNSt15iterator_traitsISK_E10value_typeET2_T3_PNSL_ISQ_E10value_typeET4_jRbjT5_SW_jjP12ihipStream_tbEUlT_E1_NS1_11comp_targetILNS1_3genE4ELNS1_11target_archE910ELNS1_3gpuE8ELNS1_3repE0EEENS1_59segmented_radix_sort_warp_sort_small_config_static_selectorELNS0_4arch9wavefront6targetE0EEEvSK_.has_indirect_call, 0
	.section	.AMDGPU.csdata,"",@progbits
; Kernel info:
; codeLenInByte = 0
; TotalNumSgprs: 0
; NumVgprs: 0
; ScratchSize: 0
; MemoryBound: 0
; FloatMode: 240
; IeeeMode: 1
; LDSByteSize: 0 bytes/workgroup (compile time only)
; SGPRBlocks: 0
; VGPRBlocks: 0
; NumSGPRsForWavesPerEU: 1
; NumVGPRsForWavesPerEU: 1
; Occupancy: 16
; WaveLimiterHint : 0
; COMPUTE_PGM_RSRC2:SCRATCH_EN: 0
; COMPUTE_PGM_RSRC2:USER_SGPR: 6
; COMPUTE_PGM_RSRC2:TRAP_HANDLER: 0
; COMPUTE_PGM_RSRC2:TGID_X_EN: 1
; COMPUTE_PGM_RSRC2:TGID_Y_EN: 0
; COMPUTE_PGM_RSRC2:TGID_Z_EN: 0
; COMPUTE_PGM_RSRC2:TIDIG_COMP_CNT: 0
	.section	.text._ZN7rocprim17ROCPRIM_400000_NS6detail17trampoline_kernelINS0_14default_configENS1_36segmented_radix_sort_config_selectorIhlEEZNS1_25segmented_radix_sort_implIS3_Lb1EPKhPhPKlPlN2at6native12_GLOBAL__N_18offset_tEEE10hipError_tPvRmT1_PNSt15iterator_traitsISK_E10value_typeET2_T3_PNSL_ISQ_E10value_typeET4_jRbjT5_SW_jjP12ihipStream_tbEUlT_E1_NS1_11comp_targetILNS1_3genE3ELNS1_11target_archE908ELNS1_3gpuE7ELNS1_3repE0EEENS1_59segmented_radix_sort_warp_sort_small_config_static_selectorELNS0_4arch9wavefront6targetE0EEEvSK_,"axG",@progbits,_ZN7rocprim17ROCPRIM_400000_NS6detail17trampoline_kernelINS0_14default_configENS1_36segmented_radix_sort_config_selectorIhlEEZNS1_25segmented_radix_sort_implIS3_Lb1EPKhPhPKlPlN2at6native12_GLOBAL__N_18offset_tEEE10hipError_tPvRmT1_PNSt15iterator_traitsISK_E10value_typeET2_T3_PNSL_ISQ_E10value_typeET4_jRbjT5_SW_jjP12ihipStream_tbEUlT_E1_NS1_11comp_targetILNS1_3genE3ELNS1_11target_archE908ELNS1_3gpuE7ELNS1_3repE0EEENS1_59segmented_radix_sort_warp_sort_small_config_static_selectorELNS0_4arch9wavefront6targetE0EEEvSK_,comdat
	.globl	_ZN7rocprim17ROCPRIM_400000_NS6detail17trampoline_kernelINS0_14default_configENS1_36segmented_radix_sort_config_selectorIhlEEZNS1_25segmented_radix_sort_implIS3_Lb1EPKhPhPKlPlN2at6native12_GLOBAL__N_18offset_tEEE10hipError_tPvRmT1_PNSt15iterator_traitsISK_E10value_typeET2_T3_PNSL_ISQ_E10value_typeET4_jRbjT5_SW_jjP12ihipStream_tbEUlT_E1_NS1_11comp_targetILNS1_3genE3ELNS1_11target_archE908ELNS1_3gpuE7ELNS1_3repE0EEENS1_59segmented_radix_sort_warp_sort_small_config_static_selectorELNS0_4arch9wavefront6targetE0EEEvSK_ ; -- Begin function _ZN7rocprim17ROCPRIM_400000_NS6detail17trampoline_kernelINS0_14default_configENS1_36segmented_radix_sort_config_selectorIhlEEZNS1_25segmented_radix_sort_implIS3_Lb1EPKhPhPKlPlN2at6native12_GLOBAL__N_18offset_tEEE10hipError_tPvRmT1_PNSt15iterator_traitsISK_E10value_typeET2_T3_PNSL_ISQ_E10value_typeET4_jRbjT5_SW_jjP12ihipStream_tbEUlT_E1_NS1_11comp_targetILNS1_3genE3ELNS1_11target_archE908ELNS1_3gpuE7ELNS1_3repE0EEENS1_59segmented_radix_sort_warp_sort_small_config_static_selectorELNS0_4arch9wavefront6targetE0EEEvSK_
	.p2align	8
	.type	_ZN7rocprim17ROCPRIM_400000_NS6detail17trampoline_kernelINS0_14default_configENS1_36segmented_radix_sort_config_selectorIhlEEZNS1_25segmented_radix_sort_implIS3_Lb1EPKhPhPKlPlN2at6native12_GLOBAL__N_18offset_tEEE10hipError_tPvRmT1_PNSt15iterator_traitsISK_E10value_typeET2_T3_PNSL_ISQ_E10value_typeET4_jRbjT5_SW_jjP12ihipStream_tbEUlT_E1_NS1_11comp_targetILNS1_3genE3ELNS1_11target_archE908ELNS1_3gpuE7ELNS1_3repE0EEENS1_59segmented_radix_sort_warp_sort_small_config_static_selectorELNS0_4arch9wavefront6targetE0EEEvSK_,@function
_ZN7rocprim17ROCPRIM_400000_NS6detail17trampoline_kernelINS0_14default_configENS1_36segmented_radix_sort_config_selectorIhlEEZNS1_25segmented_radix_sort_implIS3_Lb1EPKhPhPKlPlN2at6native12_GLOBAL__N_18offset_tEEE10hipError_tPvRmT1_PNSt15iterator_traitsISK_E10value_typeET2_T3_PNSL_ISQ_E10value_typeET4_jRbjT5_SW_jjP12ihipStream_tbEUlT_E1_NS1_11comp_targetILNS1_3genE3ELNS1_11target_archE908ELNS1_3gpuE7ELNS1_3repE0EEENS1_59segmented_radix_sort_warp_sort_small_config_static_selectorELNS0_4arch9wavefront6targetE0EEEvSK_: ; @_ZN7rocprim17ROCPRIM_400000_NS6detail17trampoline_kernelINS0_14default_configENS1_36segmented_radix_sort_config_selectorIhlEEZNS1_25segmented_radix_sort_implIS3_Lb1EPKhPhPKlPlN2at6native12_GLOBAL__N_18offset_tEEE10hipError_tPvRmT1_PNSt15iterator_traitsISK_E10value_typeET2_T3_PNSL_ISQ_E10value_typeET4_jRbjT5_SW_jjP12ihipStream_tbEUlT_E1_NS1_11comp_targetILNS1_3genE3ELNS1_11target_archE908ELNS1_3gpuE7ELNS1_3repE0EEENS1_59segmented_radix_sort_warp_sort_small_config_static_selectorELNS0_4arch9wavefront6targetE0EEEvSK_
; %bb.0:
	.section	.rodata,"a",@progbits
	.p2align	6, 0x0
	.amdhsa_kernel _ZN7rocprim17ROCPRIM_400000_NS6detail17trampoline_kernelINS0_14default_configENS1_36segmented_radix_sort_config_selectorIhlEEZNS1_25segmented_radix_sort_implIS3_Lb1EPKhPhPKlPlN2at6native12_GLOBAL__N_18offset_tEEE10hipError_tPvRmT1_PNSt15iterator_traitsISK_E10value_typeET2_T3_PNSL_ISQ_E10value_typeET4_jRbjT5_SW_jjP12ihipStream_tbEUlT_E1_NS1_11comp_targetILNS1_3genE3ELNS1_11target_archE908ELNS1_3gpuE7ELNS1_3repE0EEENS1_59segmented_radix_sort_warp_sort_small_config_static_selectorELNS0_4arch9wavefront6targetE0EEEvSK_
		.amdhsa_group_segment_fixed_size 0
		.amdhsa_private_segment_fixed_size 0
		.amdhsa_kernarg_size 88
		.amdhsa_user_sgpr_count 6
		.amdhsa_user_sgpr_private_segment_buffer 1
		.amdhsa_user_sgpr_dispatch_ptr 0
		.amdhsa_user_sgpr_queue_ptr 0
		.amdhsa_user_sgpr_kernarg_segment_ptr 1
		.amdhsa_user_sgpr_dispatch_id 0
		.amdhsa_user_sgpr_flat_scratch_init 0
		.amdhsa_user_sgpr_private_segment_size 0
		.amdhsa_wavefront_size32 1
		.amdhsa_uses_dynamic_stack 0
		.amdhsa_system_sgpr_private_segment_wavefront_offset 0
		.amdhsa_system_sgpr_workgroup_id_x 1
		.amdhsa_system_sgpr_workgroup_id_y 0
		.amdhsa_system_sgpr_workgroup_id_z 0
		.amdhsa_system_sgpr_workgroup_info 0
		.amdhsa_system_vgpr_workitem_id 0
		.amdhsa_next_free_vgpr 1
		.amdhsa_next_free_sgpr 1
		.amdhsa_reserve_vcc 0
		.amdhsa_reserve_flat_scratch 0
		.amdhsa_float_round_mode_32 0
		.amdhsa_float_round_mode_16_64 0
		.amdhsa_float_denorm_mode_32 3
		.amdhsa_float_denorm_mode_16_64 3
		.amdhsa_dx10_clamp 1
		.amdhsa_ieee_mode 1
		.amdhsa_fp16_overflow 0
		.amdhsa_workgroup_processor_mode 1
		.amdhsa_memory_ordered 1
		.amdhsa_forward_progress 1
		.amdhsa_shared_vgpr_count 0
		.amdhsa_exception_fp_ieee_invalid_op 0
		.amdhsa_exception_fp_denorm_src 0
		.amdhsa_exception_fp_ieee_div_zero 0
		.amdhsa_exception_fp_ieee_overflow 0
		.amdhsa_exception_fp_ieee_underflow 0
		.amdhsa_exception_fp_ieee_inexact 0
		.amdhsa_exception_int_div_zero 0
	.end_amdhsa_kernel
	.section	.text._ZN7rocprim17ROCPRIM_400000_NS6detail17trampoline_kernelINS0_14default_configENS1_36segmented_radix_sort_config_selectorIhlEEZNS1_25segmented_radix_sort_implIS3_Lb1EPKhPhPKlPlN2at6native12_GLOBAL__N_18offset_tEEE10hipError_tPvRmT1_PNSt15iterator_traitsISK_E10value_typeET2_T3_PNSL_ISQ_E10value_typeET4_jRbjT5_SW_jjP12ihipStream_tbEUlT_E1_NS1_11comp_targetILNS1_3genE3ELNS1_11target_archE908ELNS1_3gpuE7ELNS1_3repE0EEENS1_59segmented_radix_sort_warp_sort_small_config_static_selectorELNS0_4arch9wavefront6targetE0EEEvSK_,"axG",@progbits,_ZN7rocprim17ROCPRIM_400000_NS6detail17trampoline_kernelINS0_14default_configENS1_36segmented_radix_sort_config_selectorIhlEEZNS1_25segmented_radix_sort_implIS3_Lb1EPKhPhPKlPlN2at6native12_GLOBAL__N_18offset_tEEE10hipError_tPvRmT1_PNSt15iterator_traitsISK_E10value_typeET2_T3_PNSL_ISQ_E10value_typeET4_jRbjT5_SW_jjP12ihipStream_tbEUlT_E1_NS1_11comp_targetILNS1_3genE3ELNS1_11target_archE908ELNS1_3gpuE7ELNS1_3repE0EEENS1_59segmented_radix_sort_warp_sort_small_config_static_selectorELNS0_4arch9wavefront6targetE0EEEvSK_,comdat
.Lfunc_end106:
	.size	_ZN7rocprim17ROCPRIM_400000_NS6detail17trampoline_kernelINS0_14default_configENS1_36segmented_radix_sort_config_selectorIhlEEZNS1_25segmented_radix_sort_implIS3_Lb1EPKhPhPKlPlN2at6native12_GLOBAL__N_18offset_tEEE10hipError_tPvRmT1_PNSt15iterator_traitsISK_E10value_typeET2_T3_PNSL_ISQ_E10value_typeET4_jRbjT5_SW_jjP12ihipStream_tbEUlT_E1_NS1_11comp_targetILNS1_3genE3ELNS1_11target_archE908ELNS1_3gpuE7ELNS1_3repE0EEENS1_59segmented_radix_sort_warp_sort_small_config_static_selectorELNS0_4arch9wavefront6targetE0EEEvSK_, .Lfunc_end106-_ZN7rocprim17ROCPRIM_400000_NS6detail17trampoline_kernelINS0_14default_configENS1_36segmented_radix_sort_config_selectorIhlEEZNS1_25segmented_radix_sort_implIS3_Lb1EPKhPhPKlPlN2at6native12_GLOBAL__N_18offset_tEEE10hipError_tPvRmT1_PNSt15iterator_traitsISK_E10value_typeET2_T3_PNSL_ISQ_E10value_typeET4_jRbjT5_SW_jjP12ihipStream_tbEUlT_E1_NS1_11comp_targetILNS1_3genE3ELNS1_11target_archE908ELNS1_3gpuE7ELNS1_3repE0EEENS1_59segmented_radix_sort_warp_sort_small_config_static_selectorELNS0_4arch9wavefront6targetE0EEEvSK_
                                        ; -- End function
	.set _ZN7rocprim17ROCPRIM_400000_NS6detail17trampoline_kernelINS0_14default_configENS1_36segmented_radix_sort_config_selectorIhlEEZNS1_25segmented_radix_sort_implIS3_Lb1EPKhPhPKlPlN2at6native12_GLOBAL__N_18offset_tEEE10hipError_tPvRmT1_PNSt15iterator_traitsISK_E10value_typeET2_T3_PNSL_ISQ_E10value_typeET4_jRbjT5_SW_jjP12ihipStream_tbEUlT_E1_NS1_11comp_targetILNS1_3genE3ELNS1_11target_archE908ELNS1_3gpuE7ELNS1_3repE0EEENS1_59segmented_radix_sort_warp_sort_small_config_static_selectorELNS0_4arch9wavefront6targetE0EEEvSK_.num_vgpr, 0
	.set _ZN7rocprim17ROCPRIM_400000_NS6detail17trampoline_kernelINS0_14default_configENS1_36segmented_radix_sort_config_selectorIhlEEZNS1_25segmented_radix_sort_implIS3_Lb1EPKhPhPKlPlN2at6native12_GLOBAL__N_18offset_tEEE10hipError_tPvRmT1_PNSt15iterator_traitsISK_E10value_typeET2_T3_PNSL_ISQ_E10value_typeET4_jRbjT5_SW_jjP12ihipStream_tbEUlT_E1_NS1_11comp_targetILNS1_3genE3ELNS1_11target_archE908ELNS1_3gpuE7ELNS1_3repE0EEENS1_59segmented_radix_sort_warp_sort_small_config_static_selectorELNS0_4arch9wavefront6targetE0EEEvSK_.num_agpr, 0
	.set _ZN7rocprim17ROCPRIM_400000_NS6detail17trampoline_kernelINS0_14default_configENS1_36segmented_radix_sort_config_selectorIhlEEZNS1_25segmented_radix_sort_implIS3_Lb1EPKhPhPKlPlN2at6native12_GLOBAL__N_18offset_tEEE10hipError_tPvRmT1_PNSt15iterator_traitsISK_E10value_typeET2_T3_PNSL_ISQ_E10value_typeET4_jRbjT5_SW_jjP12ihipStream_tbEUlT_E1_NS1_11comp_targetILNS1_3genE3ELNS1_11target_archE908ELNS1_3gpuE7ELNS1_3repE0EEENS1_59segmented_radix_sort_warp_sort_small_config_static_selectorELNS0_4arch9wavefront6targetE0EEEvSK_.numbered_sgpr, 0
	.set _ZN7rocprim17ROCPRIM_400000_NS6detail17trampoline_kernelINS0_14default_configENS1_36segmented_radix_sort_config_selectorIhlEEZNS1_25segmented_radix_sort_implIS3_Lb1EPKhPhPKlPlN2at6native12_GLOBAL__N_18offset_tEEE10hipError_tPvRmT1_PNSt15iterator_traitsISK_E10value_typeET2_T3_PNSL_ISQ_E10value_typeET4_jRbjT5_SW_jjP12ihipStream_tbEUlT_E1_NS1_11comp_targetILNS1_3genE3ELNS1_11target_archE908ELNS1_3gpuE7ELNS1_3repE0EEENS1_59segmented_radix_sort_warp_sort_small_config_static_selectorELNS0_4arch9wavefront6targetE0EEEvSK_.num_named_barrier, 0
	.set _ZN7rocprim17ROCPRIM_400000_NS6detail17trampoline_kernelINS0_14default_configENS1_36segmented_radix_sort_config_selectorIhlEEZNS1_25segmented_radix_sort_implIS3_Lb1EPKhPhPKlPlN2at6native12_GLOBAL__N_18offset_tEEE10hipError_tPvRmT1_PNSt15iterator_traitsISK_E10value_typeET2_T3_PNSL_ISQ_E10value_typeET4_jRbjT5_SW_jjP12ihipStream_tbEUlT_E1_NS1_11comp_targetILNS1_3genE3ELNS1_11target_archE908ELNS1_3gpuE7ELNS1_3repE0EEENS1_59segmented_radix_sort_warp_sort_small_config_static_selectorELNS0_4arch9wavefront6targetE0EEEvSK_.private_seg_size, 0
	.set _ZN7rocprim17ROCPRIM_400000_NS6detail17trampoline_kernelINS0_14default_configENS1_36segmented_radix_sort_config_selectorIhlEEZNS1_25segmented_radix_sort_implIS3_Lb1EPKhPhPKlPlN2at6native12_GLOBAL__N_18offset_tEEE10hipError_tPvRmT1_PNSt15iterator_traitsISK_E10value_typeET2_T3_PNSL_ISQ_E10value_typeET4_jRbjT5_SW_jjP12ihipStream_tbEUlT_E1_NS1_11comp_targetILNS1_3genE3ELNS1_11target_archE908ELNS1_3gpuE7ELNS1_3repE0EEENS1_59segmented_radix_sort_warp_sort_small_config_static_selectorELNS0_4arch9wavefront6targetE0EEEvSK_.uses_vcc, 0
	.set _ZN7rocprim17ROCPRIM_400000_NS6detail17trampoline_kernelINS0_14default_configENS1_36segmented_radix_sort_config_selectorIhlEEZNS1_25segmented_radix_sort_implIS3_Lb1EPKhPhPKlPlN2at6native12_GLOBAL__N_18offset_tEEE10hipError_tPvRmT1_PNSt15iterator_traitsISK_E10value_typeET2_T3_PNSL_ISQ_E10value_typeET4_jRbjT5_SW_jjP12ihipStream_tbEUlT_E1_NS1_11comp_targetILNS1_3genE3ELNS1_11target_archE908ELNS1_3gpuE7ELNS1_3repE0EEENS1_59segmented_radix_sort_warp_sort_small_config_static_selectorELNS0_4arch9wavefront6targetE0EEEvSK_.uses_flat_scratch, 0
	.set _ZN7rocprim17ROCPRIM_400000_NS6detail17trampoline_kernelINS0_14default_configENS1_36segmented_radix_sort_config_selectorIhlEEZNS1_25segmented_radix_sort_implIS3_Lb1EPKhPhPKlPlN2at6native12_GLOBAL__N_18offset_tEEE10hipError_tPvRmT1_PNSt15iterator_traitsISK_E10value_typeET2_T3_PNSL_ISQ_E10value_typeET4_jRbjT5_SW_jjP12ihipStream_tbEUlT_E1_NS1_11comp_targetILNS1_3genE3ELNS1_11target_archE908ELNS1_3gpuE7ELNS1_3repE0EEENS1_59segmented_radix_sort_warp_sort_small_config_static_selectorELNS0_4arch9wavefront6targetE0EEEvSK_.has_dyn_sized_stack, 0
	.set _ZN7rocprim17ROCPRIM_400000_NS6detail17trampoline_kernelINS0_14default_configENS1_36segmented_radix_sort_config_selectorIhlEEZNS1_25segmented_radix_sort_implIS3_Lb1EPKhPhPKlPlN2at6native12_GLOBAL__N_18offset_tEEE10hipError_tPvRmT1_PNSt15iterator_traitsISK_E10value_typeET2_T3_PNSL_ISQ_E10value_typeET4_jRbjT5_SW_jjP12ihipStream_tbEUlT_E1_NS1_11comp_targetILNS1_3genE3ELNS1_11target_archE908ELNS1_3gpuE7ELNS1_3repE0EEENS1_59segmented_radix_sort_warp_sort_small_config_static_selectorELNS0_4arch9wavefront6targetE0EEEvSK_.has_recursion, 0
	.set _ZN7rocprim17ROCPRIM_400000_NS6detail17trampoline_kernelINS0_14default_configENS1_36segmented_radix_sort_config_selectorIhlEEZNS1_25segmented_radix_sort_implIS3_Lb1EPKhPhPKlPlN2at6native12_GLOBAL__N_18offset_tEEE10hipError_tPvRmT1_PNSt15iterator_traitsISK_E10value_typeET2_T3_PNSL_ISQ_E10value_typeET4_jRbjT5_SW_jjP12ihipStream_tbEUlT_E1_NS1_11comp_targetILNS1_3genE3ELNS1_11target_archE908ELNS1_3gpuE7ELNS1_3repE0EEENS1_59segmented_radix_sort_warp_sort_small_config_static_selectorELNS0_4arch9wavefront6targetE0EEEvSK_.has_indirect_call, 0
	.section	.AMDGPU.csdata,"",@progbits
; Kernel info:
; codeLenInByte = 0
; TotalNumSgprs: 0
; NumVgprs: 0
; ScratchSize: 0
; MemoryBound: 0
; FloatMode: 240
; IeeeMode: 1
; LDSByteSize: 0 bytes/workgroup (compile time only)
; SGPRBlocks: 0
; VGPRBlocks: 0
; NumSGPRsForWavesPerEU: 1
; NumVGPRsForWavesPerEU: 1
; Occupancy: 16
; WaveLimiterHint : 0
; COMPUTE_PGM_RSRC2:SCRATCH_EN: 0
; COMPUTE_PGM_RSRC2:USER_SGPR: 6
; COMPUTE_PGM_RSRC2:TRAP_HANDLER: 0
; COMPUTE_PGM_RSRC2:TGID_X_EN: 1
; COMPUTE_PGM_RSRC2:TGID_Y_EN: 0
; COMPUTE_PGM_RSRC2:TGID_Z_EN: 0
; COMPUTE_PGM_RSRC2:TIDIG_COMP_CNT: 0
	.section	.text._ZN7rocprim17ROCPRIM_400000_NS6detail17trampoline_kernelINS0_14default_configENS1_36segmented_radix_sort_config_selectorIhlEEZNS1_25segmented_radix_sort_implIS3_Lb1EPKhPhPKlPlN2at6native12_GLOBAL__N_18offset_tEEE10hipError_tPvRmT1_PNSt15iterator_traitsISK_E10value_typeET2_T3_PNSL_ISQ_E10value_typeET4_jRbjT5_SW_jjP12ihipStream_tbEUlT_E1_NS1_11comp_targetILNS1_3genE2ELNS1_11target_archE906ELNS1_3gpuE6ELNS1_3repE0EEENS1_59segmented_radix_sort_warp_sort_small_config_static_selectorELNS0_4arch9wavefront6targetE0EEEvSK_,"axG",@progbits,_ZN7rocprim17ROCPRIM_400000_NS6detail17trampoline_kernelINS0_14default_configENS1_36segmented_radix_sort_config_selectorIhlEEZNS1_25segmented_radix_sort_implIS3_Lb1EPKhPhPKlPlN2at6native12_GLOBAL__N_18offset_tEEE10hipError_tPvRmT1_PNSt15iterator_traitsISK_E10value_typeET2_T3_PNSL_ISQ_E10value_typeET4_jRbjT5_SW_jjP12ihipStream_tbEUlT_E1_NS1_11comp_targetILNS1_3genE2ELNS1_11target_archE906ELNS1_3gpuE6ELNS1_3repE0EEENS1_59segmented_radix_sort_warp_sort_small_config_static_selectorELNS0_4arch9wavefront6targetE0EEEvSK_,comdat
	.globl	_ZN7rocprim17ROCPRIM_400000_NS6detail17trampoline_kernelINS0_14default_configENS1_36segmented_radix_sort_config_selectorIhlEEZNS1_25segmented_radix_sort_implIS3_Lb1EPKhPhPKlPlN2at6native12_GLOBAL__N_18offset_tEEE10hipError_tPvRmT1_PNSt15iterator_traitsISK_E10value_typeET2_T3_PNSL_ISQ_E10value_typeET4_jRbjT5_SW_jjP12ihipStream_tbEUlT_E1_NS1_11comp_targetILNS1_3genE2ELNS1_11target_archE906ELNS1_3gpuE6ELNS1_3repE0EEENS1_59segmented_radix_sort_warp_sort_small_config_static_selectorELNS0_4arch9wavefront6targetE0EEEvSK_ ; -- Begin function _ZN7rocprim17ROCPRIM_400000_NS6detail17trampoline_kernelINS0_14default_configENS1_36segmented_radix_sort_config_selectorIhlEEZNS1_25segmented_radix_sort_implIS3_Lb1EPKhPhPKlPlN2at6native12_GLOBAL__N_18offset_tEEE10hipError_tPvRmT1_PNSt15iterator_traitsISK_E10value_typeET2_T3_PNSL_ISQ_E10value_typeET4_jRbjT5_SW_jjP12ihipStream_tbEUlT_E1_NS1_11comp_targetILNS1_3genE2ELNS1_11target_archE906ELNS1_3gpuE6ELNS1_3repE0EEENS1_59segmented_radix_sort_warp_sort_small_config_static_selectorELNS0_4arch9wavefront6targetE0EEEvSK_
	.p2align	8
	.type	_ZN7rocprim17ROCPRIM_400000_NS6detail17trampoline_kernelINS0_14default_configENS1_36segmented_radix_sort_config_selectorIhlEEZNS1_25segmented_radix_sort_implIS3_Lb1EPKhPhPKlPlN2at6native12_GLOBAL__N_18offset_tEEE10hipError_tPvRmT1_PNSt15iterator_traitsISK_E10value_typeET2_T3_PNSL_ISQ_E10value_typeET4_jRbjT5_SW_jjP12ihipStream_tbEUlT_E1_NS1_11comp_targetILNS1_3genE2ELNS1_11target_archE906ELNS1_3gpuE6ELNS1_3repE0EEENS1_59segmented_radix_sort_warp_sort_small_config_static_selectorELNS0_4arch9wavefront6targetE0EEEvSK_,@function
_ZN7rocprim17ROCPRIM_400000_NS6detail17trampoline_kernelINS0_14default_configENS1_36segmented_radix_sort_config_selectorIhlEEZNS1_25segmented_radix_sort_implIS3_Lb1EPKhPhPKlPlN2at6native12_GLOBAL__N_18offset_tEEE10hipError_tPvRmT1_PNSt15iterator_traitsISK_E10value_typeET2_T3_PNSL_ISQ_E10value_typeET4_jRbjT5_SW_jjP12ihipStream_tbEUlT_E1_NS1_11comp_targetILNS1_3genE2ELNS1_11target_archE906ELNS1_3gpuE6ELNS1_3repE0EEENS1_59segmented_radix_sort_warp_sort_small_config_static_selectorELNS0_4arch9wavefront6targetE0EEEvSK_: ; @_ZN7rocprim17ROCPRIM_400000_NS6detail17trampoline_kernelINS0_14default_configENS1_36segmented_radix_sort_config_selectorIhlEEZNS1_25segmented_radix_sort_implIS3_Lb1EPKhPhPKlPlN2at6native12_GLOBAL__N_18offset_tEEE10hipError_tPvRmT1_PNSt15iterator_traitsISK_E10value_typeET2_T3_PNSL_ISQ_E10value_typeET4_jRbjT5_SW_jjP12ihipStream_tbEUlT_E1_NS1_11comp_targetILNS1_3genE2ELNS1_11target_archE906ELNS1_3gpuE6ELNS1_3repE0EEENS1_59segmented_radix_sort_warp_sort_small_config_static_selectorELNS0_4arch9wavefront6targetE0EEEvSK_
; %bb.0:
	.section	.rodata,"a",@progbits
	.p2align	6, 0x0
	.amdhsa_kernel _ZN7rocprim17ROCPRIM_400000_NS6detail17trampoline_kernelINS0_14default_configENS1_36segmented_radix_sort_config_selectorIhlEEZNS1_25segmented_radix_sort_implIS3_Lb1EPKhPhPKlPlN2at6native12_GLOBAL__N_18offset_tEEE10hipError_tPvRmT1_PNSt15iterator_traitsISK_E10value_typeET2_T3_PNSL_ISQ_E10value_typeET4_jRbjT5_SW_jjP12ihipStream_tbEUlT_E1_NS1_11comp_targetILNS1_3genE2ELNS1_11target_archE906ELNS1_3gpuE6ELNS1_3repE0EEENS1_59segmented_radix_sort_warp_sort_small_config_static_selectorELNS0_4arch9wavefront6targetE0EEEvSK_
		.amdhsa_group_segment_fixed_size 0
		.amdhsa_private_segment_fixed_size 0
		.amdhsa_kernarg_size 88
		.amdhsa_user_sgpr_count 6
		.amdhsa_user_sgpr_private_segment_buffer 1
		.amdhsa_user_sgpr_dispatch_ptr 0
		.amdhsa_user_sgpr_queue_ptr 0
		.amdhsa_user_sgpr_kernarg_segment_ptr 1
		.amdhsa_user_sgpr_dispatch_id 0
		.amdhsa_user_sgpr_flat_scratch_init 0
		.amdhsa_user_sgpr_private_segment_size 0
		.amdhsa_wavefront_size32 1
		.amdhsa_uses_dynamic_stack 0
		.amdhsa_system_sgpr_private_segment_wavefront_offset 0
		.amdhsa_system_sgpr_workgroup_id_x 1
		.amdhsa_system_sgpr_workgroup_id_y 0
		.amdhsa_system_sgpr_workgroup_id_z 0
		.amdhsa_system_sgpr_workgroup_info 0
		.amdhsa_system_vgpr_workitem_id 0
		.amdhsa_next_free_vgpr 1
		.amdhsa_next_free_sgpr 1
		.amdhsa_reserve_vcc 0
		.amdhsa_reserve_flat_scratch 0
		.amdhsa_float_round_mode_32 0
		.amdhsa_float_round_mode_16_64 0
		.amdhsa_float_denorm_mode_32 3
		.amdhsa_float_denorm_mode_16_64 3
		.amdhsa_dx10_clamp 1
		.amdhsa_ieee_mode 1
		.amdhsa_fp16_overflow 0
		.amdhsa_workgroup_processor_mode 1
		.amdhsa_memory_ordered 1
		.amdhsa_forward_progress 1
		.amdhsa_shared_vgpr_count 0
		.amdhsa_exception_fp_ieee_invalid_op 0
		.amdhsa_exception_fp_denorm_src 0
		.amdhsa_exception_fp_ieee_div_zero 0
		.amdhsa_exception_fp_ieee_overflow 0
		.amdhsa_exception_fp_ieee_underflow 0
		.amdhsa_exception_fp_ieee_inexact 0
		.amdhsa_exception_int_div_zero 0
	.end_amdhsa_kernel
	.section	.text._ZN7rocprim17ROCPRIM_400000_NS6detail17trampoline_kernelINS0_14default_configENS1_36segmented_radix_sort_config_selectorIhlEEZNS1_25segmented_radix_sort_implIS3_Lb1EPKhPhPKlPlN2at6native12_GLOBAL__N_18offset_tEEE10hipError_tPvRmT1_PNSt15iterator_traitsISK_E10value_typeET2_T3_PNSL_ISQ_E10value_typeET4_jRbjT5_SW_jjP12ihipStream_tbEUlT_E1_NS1_11comp_targetILNS1_3genE2ELNS1_11target_archE906ELNS1_3gpuE6ELNS1_3repE0EEENS1_59segmented_radix_sort_warp_sort_small_config_static_selectorELNS0_4arch9wavefront6targetE0EEEvSK_,"axG",@progbits,_ZN7rocprim17ROCPRIM_400000_NS6detail17trampoline_kernelINS0_14default_configENS1_36segmented_radix_sort_config_selectorIhlEEZNS1_25segmented_radix_sort_implIS3_Lb1EPKhPhPKlPlN2at6native12_GLOBAL__N_18offset_tEEE10hipError_tPvRmT1_PNSt15iterator_traitsISK_E10value_typeET2_T3_PNSL_ISQ_E10value_typeET4_jRbjT5_SW_jjP12ihipStream_tbEUlT_E1_NS1_11comp_targetILNS1_3genE2ELNS1_11target_archE906ELNS1_3gpuE6ELNS1_3repE0EEENS1_59segmented_radix_sort_warp_sort_small_config_static_selectorELNS0_4arch9wavefront6targetE0EEEvSK_,comdat
.Lfunc_end107:
	.size	_ZN7rocprim17ROCPRIM_400000_NS6detail17trampoline_kernelINS0_14default_configENS1_36segmented_radix_sort_config_selectorIhlEEZNS1_25segmented_radix_sort_implIS3_Lb1EPKhPhPKlPlN2at6native12_GLOBAL__N_18offset_tEEE10hipError_tPvRmT1_PNSt15iterator_traitsISK_E10value_typeET2_T3_PNSL_ISQ_E10value_typeET4_jRbjT5_SW_jjP12ihipStream_tbEUlT_E1_NS1_11comp_targetILNS1_3genE2ELNS1_11target_archE906ELNS1_3gpuE6ELNS1_3repE0EEENS1_59segmented_radix_sort_warp_sort_small_config_static_selectorELNS0_4arch9wavefront6targetE0EEEvSK_, .Lfunc_end107-_ZN7rocprim17ROCPRIM_400000_NS6detail17trampoline_kernelINS0_14default_configENS1_36segmented_radix_sort_config_selectorIhlEEZNS1_25segmented_radix_sort_implIS3_Lb1EPKhPhPKlPlN2at6native12_GLOBAL__N_18offset_tEEE10hipError_tPvRmT1_PNSt15iterator_traitsISK_E10value_typeET2_T3_PNSL_ISQ_E10value_typeET4_jRbjT5_SW_jjP12ihipStream_tbEUlT_E1_NS1_11comp_targetILNS1_3genE2ELNS1_11target_archE906ELNS1_3gpuE6ELNS1_3repE0EEENS1_59segmented_radix_sort_warp_sort_small_config_static_selectorELNS0_4arch9wavefront6targetE0EEEvSK_
                                        ; -- End function
	.set _ZN7rocprim17ROCPRIM_400000_NS6detail17trampoline_kernelINS0_14default_configENS1_36segmented_radix_sort_config_selectorIhlEEZNS1_25segmented_radix_sort_implIS3_Lb1EPKhPhPKlPlN2at6native12_GLOBAL__N_18offset_tEEE10hipError_tPvRmT1_PNSt15iterator_traitsISK_E10value_typeET2_T3_PNSL_ISQ_E10value_typeET4_jRbjT5_SW_jjP12ihipStream_tbEUlT_E1_NS1_11comp_targetILNS1_3genE2ELNS1_11target_archE906ELNS1_3gpuE6ELNS1_3repE0EEENS1_59segmented_radix_sort_warp_sort_small_config_static_selectorELNS0_4arch9wavefront6targetE0EEEvSK_.num_vgpr, 0
	.set _ZN7rocprim17ROCPRIM_400000_NS6detail17trampoline_kernelINS0_14default_configENS1_36segmented_radix_sort_config_selectorIhlEEZNS1_25segmented_radix_sort_implIS3_Lb1EPKhPhPKlPlN2at6native12_GLOBAL__N_18offset_tEEE10hipError_tPvRmT1_PNSt15iterator_traitsISK_E10value_typeET2_T3_PNSL_ISQ_E10value_typeET4_jRbjT5_SW_jjP12ihipStream_tbEUlT_E1_NS1_11comp_targetILNS1_3genE2ELNS1_11target_archE906ELNS1_3gpuE6ELNS1_3repE0EEENS1_59segmented_radix_sort_warp_sort_small_config_static_selectorELNS0_4arch9wavefront6targetE0EEEvSK_.num_agpr, 0
	.set _ZN7rocprim17ROCPRIM_400000_NS6detail17trampoline_kernelINS0_14default_configENS1_36segmented_radix_sort_config_selectorIhlEEZNS1_25segmented_radix_sort_implIS3_Lb1EPKhPhPKlPlN2at6native12_GLOBAL__N_18offset_tEEE10hipError_tPvRmT1_PNSt15iterator_traitsISK_E10value_typeET2_T3_PNSL_ISQ_E10value_typeET4_jRbjT5_SW_jjP12ihipStream_tbEUlT_E1_NS1_11comp_targetILNS1_3genE2ELNS1_11target_archE906ELNS1_3gpuE6ELNS1_3repE0EEENS1_59segmented_radix_sort_warp_sort_small_config_static_selectorELNS0_4arch9wavefront6targetE0EEEvSK_.numbered_sgpr, 0
	.set _ZN7rocprim17ROCPRIM_400000_NS6detail17trampoline_kernelINS0_14default_configENS1_36segmented_radix_sort_config_selectorIhlEEZNS1_25segmented_radix_sort_implIS3_Lb1EPKhPhPKlPlN2at6native12_GLOBAL__N_18offset_tEEE10hipError_tPvRmT1_PNSt15iterator_traitsISK_E10value_typeET2_T3_PNSL_ISQ_E10value_typeET4_jRbjT5_SW_jjP12ihipStream_tbEUlT_E1_NS1_11comp_targetILNS1_3genE2ELNS1_11target_archE906ELNS1_3gpuE6ELNS1_3repE0EEENS1_59segmented_radix_sort_warp_sort_small_config_static_selectorELNS0_4arch9wavefront6targetE0EEEvSK_.num_named_barrier, 0
	.set _ZN7rocprim17ROCPRIM_400000_NS6detail17trampoline_kernelINS0_14default_configENS1_36segmented_radix_sort_config_selectorIhlEEZNS1_25segmented_radix_sort_implIS3_Lb1EPKhPhPKlPlN2at6native12_GLOBAL__N_18offset_tEEE10hipError_tPvRmT1_PNSt15iterator_traitsISK_E10value_typeET2_T3_PNSL_ISQ_E10value_typeET4_jRbjT5_SW_jjP12ihipStream_tbEUlT_E1_NS1_11comp_targetILNS1_3genE2ELNS1_11target_archE906ELNS1_3gpuE6ELNS1_3repE0EEENS1_59segmented_radix_sort_warp_sort_small_config_static_selectorELNS0_4arch9wavefront6targetE0EEEvSK_.private_seg_size, 0
	.set _ZN7rocprim17ROCPRIM_400000_NS6detail17trampoline_kernelINS0_14default_configENS1_36segmented_radix_sort_config_selectorIhlEEZNS1_25segmented_radix_sort_implIS3_Lb1EPKhPhPKlPlN2at6native12_GLOBAL__N_18offset_tEEE10hipError_tPvRmT1_PNSt15iterator_traitsISK_E10value_typeET2_T3_PNSL_ISQ_E10value_typeET4_jRbjT5_SW_jjP12ihipStream_tbEUlT_E1_NS1_11comp_targetILNS1_3genE2ELNS1_11target_archE906ELNS1_3gpuE6ELNS1_3repE0EEENS1_59segmented_radix_sort_warp_sort_small_config_static_selectorELNS0_4arch9wavefront6targetE0EEEvSK_.uses_vcc, 0
	.set _ZN7rocprim17ROCPRIM_400000_NS6detail17trampoline_kernelINS0_14default_configENS1_36segmented_radix_sort_config_selectorIhlEEZNS1_25segmented_radix_sort_implIS3_Lb1EPKhPhPKlPlN2at6native12_GLOBAL__N_18offset_tEEE10hipError_tPvRmT1_PNSt15iterator_traitsISK_E10value_typeET2_T3_PNSL_ISQ_E10value_typeET4_jRbjT5_SW_jjP12ihipStream_tbEUlT_E1_NS1_11comp_targetILNS1_3genE2ELNS1_11target_archE906ELNS1_3gpuE6ELNS1_3repE0EEENS1_59segmented_radix_sort_warp_sort_small_config_static_selectorELNS0_4arch9wavefront6targetE0EEEvSK_.uses_flat_scratch, 0
	.set _ZN7rocprim17ROCPRIM_400000_NS6detail17trampoline_kernelINS0_14default_configENS1_36segmented_radix_sort_config_selectorIhlEEZNS1_25segmented_radix_sort_implIS3_Lb1EPKhPhPKlPlN2at6native12_GLOBAL__N_18offset_tEEE10hipError_tPvRmT1_PNSt15iterator_traitsISK_E10value_typeET2_T3_PNSL_ISQ_E10value_typeET4_jRbjT5_SW_jjP12ihipStream_tbEUlT_E1_NS1_11comp_targetILNS1_3genE2ELNS1_11target_archE906ELNS1_3gpuE6ELNS1_3repE0EEENS1_59segmented_radix_sort_warp_sort_small_config_static_selectorELNS0_4arch9wavefront6targetE0EEEvSK_.has_dyn_sized_stack, 0
	.set _ZN7rocprim17ROCPRIM_400000_NS6detail17trampoline_kernelINS0_14default_configENS1_36segmented_radix_sort_config_selectorIhlEEZNS1_25segmented_radix_sort_implIS3_Lb1EPKhPhPKlPlN2at6native12_GLOBAL__N_18offset_tEEE10hipError_tPvRmT1_PNSt15iterator_traitsISK_E10value_typeET2_T3_PNSL_ISQ_E10value_typeET4_jRbjT5_SW_jjP12ihipStream_tbEUlT_E1_NS1_11comp_targetILNS1_3genE2ELNS1_11target_archE906ELNS1_3gpuE6ELNS1_3repE0EEENS1_59segmented_radix_sort_warp_sort_small_config_static_selectorELNS0_4arch9wavefront6targetE0EEEvSK_.has_recursion, 0
	.set _ZN7rocprim17ROCPRIM_400000_NS6detail17trampoline_kernelINS0_14default_configENS1_36segmented_radix_sort_config_selectorIhlEEZNS1_25segmented_radix_sort_implIS3_Lb1EPKhPhPKlPlN2at6native12_GLOBAL__N_18offset_tEEE10hipError_tPvRmT1_PNSt15iterator_traitsISK_E10value_typeET2_T3_PNSL_ISQ_E10value_typeET4_jRbjT5_SW_jjP12ihipStream_tbEUlT_E1_NS1_11comp_targetILNS1_3genE2ELNS1_11target_archE906ELNS1_3gpuE6ELNS1_3repE0EEENS1_59segmented_radix_sort_warp_sort_small_config_static_selectorELNS0_4arch9wavefront6targetE0EEEvSK_.has_indirect_call, 0
	.section	.AMDGPU.csdata,"",@progbits
; Kernel info:
; codeLenInByte = 0
; TotalNumSgprs: 0
; NumVgprs: 0
; ScratchSize: 0
; MemoryBound: 0
; FloatMode: 240
; IeeeMode: 1
; LDSByteSize: 0 bytes/workgroup (compile time only)
; SGPRBlocks: 0
; VGPRBlocks: 0
; NumSGPRsForWavesPerEU: 1
; NumVGPRsForWavesPerEU: 1
; Occupancy: 16
; WaveLimiterHint : 0
; COMPUTE_PGM_RSRC2:SCRATCH_EN: 0
; COMPUTE_PGM_RSRC2:USER_SGPR: 6
; COMPUTE_PGM_RSRC2:TRAP_HANDLER: 0
; COMPUTE_PGM_RSRC2:TGID_X_EN: 1
; COMPUTE_PGM_RSRC2:TGID_Y_EN: 0
; COMPUTE_PGM_RSRC2:TGID_Z_EN: 0
; COMPUTE_PGM_RSRC2:TIDIG_COMP_CNT: 0
	.section	.text._ZN7rocprim17ROCPRIM_400000_NS6detail17trampoline_kernelINS0_14default_configENS1_36segmented_radix_sort_config_selectorIhlEEZNS1_25segmented_radix_sort_implIS3_Lb1EPKhPhPKlPlN2at6native12_GLOBAL__N_18offset_tEEE10hipError_tPvRmT1_PNSt15iterator_traitsISK_E10value_typeET2_T3_PNSL_ISQ_E10value_typeET4_jRbjT5_SW_jjP12ihipStream_tbEUlT_E1_NS1_11comp_targetILNS1_3genE10ELNS1_11target_archE1201ELNS1_3gpuE5ELNS1_3repE0EEENS1_59segmented_radix_sort_warp_sort_small_config_static_selectorELNS0_4arch9wavefront6targetE0EEEvSK_,"axG",@progbits,_ZN7rocprim17ROCPRIM_400000_NS6detail17trampoline_kernelINS0_14default_configENS1_36segmented_radix_sort_config_selectorIhlEEZNS1_25segmented_radix_sort_implIS3_Lb1EPKhPhPKlPlN2at6native12_GLOBAL__N_18offset_tEEE10hipError_tPvRmT1_PNSt15iterator_traitsISK_E10value_typeET2_T3_PNSL_ISQ_E10value_typeET4_jRbjT5_SW_jjP12ihipStream_tbEUlT_E1_NS1_11comp_targetILNS1_3genE10ELNS1_11target_archE1201ELNS1_3gpuE5ELNS1_3repE0EEENS1_59segmented_radix_sort_warp_sort_small_config_static_selectorELNS0_4arch9wavefront6targetE0EEEvSK_,comdat
	.globl	_ZN7rocprim17ROCPRIM_400000_NS6detail17trampoline_kernelINS0_14default_configENS1_36segmented_radix_sort_config_selectorIhlEEZNS1_25segmented_radix_sort_implIS3_Lb1EPKhPhPKlPlN2at6native12_GLOBAL__N_18offset_tEEE10hipError_tPvRmT1_PNSt15iterator_traitsISK_E10value_typeET2_T3_PNSL_ISQ_E10value_typeET4_jRbjT5_SW_jjP12ihipStream_tbEUlT_E1_NS1_11comp_targetILNS1_3genE10ELNS1_11target_archE1201ELNS1_3gpuE5ELNS1_3repE0EEENS1_59segmented_radix_sort_warp_sort_small_config_static_selectorELNS0_4arch9wavefront6targetE0EEEvSK_ ; -- Begin function _ZN7rocprim17ROCPRIM_400000_NS6detail17trampoline_kernelINS0_14default_configENS1_36segmented_radix_sort_config_selectorIhlEEZNS1_25segmented_radix_sort_implIS3_Lb1EPKhPhPKlPlN2at6native12_GLOBAL__N_18offset_tEEE10hipError_tPvRmT1_PNSt15iterator_traitsISK_E10value_typeET2_T3_PNSL_ISQ_E10value_typeET4_jRbjT5_SW_jjP12ihipStream_tbEUlT_E1_NS1_11comp_targetILNS1_3genE10ELNS1_11target_archE1201ELNS1_3gpuE5ELNS1_3repE0EEENS1_59segmented_radix_sort_warp_sort_small_config_static_selectorELNS0_4arch9wavefront6targetE0EEEvSK_
	.p2align	8
	.type	_ZN7rocprim17ROCPRIM_400000_NS6detail17trampoline_kernelINS0_14default_configENS1_36segmented_radix_sort_config_selectorIhlEEZNS1_25segmented_radix_sort_implIS3_Lb1EPKhPhPKlPlN2at6native12_GLOBAL__N_18offset_tEEE10hipError_tPvRmT1_PNSt15iterator_traitsISK_E10value_typeET2_T3_PNSL_ISQ_E10value_typeET4_jRbjT5_SW_jjP12ihipStream_tbEUlT_E1_NS1_11comp_targetILNS1_3genE10ELNS1_11target_archE1201ELNS1_3gpuE5ELNS1_3repE0EEENS1_59segmented_radix_sort_warp_sort_small_config_static_selectorELNS0_4arch9wavefront6targetE0EEEvSK_,@function
_ZN7rocprim17ROCPRIM_400000_NS6detail17trampoline_kernelINS0_14default_configENS1_36segmented_radix_sort_config_selectorIhlEEZNS1_25segmented_radix_sort_implIS3_Lb1EPKhPhPKlPlN2at6native12_GLOBAL__N_18offset_tEEE10hipError_tPvRmT1_PNSt15iterator_traitsISK_E10value_typeET2_T3_PNSL_ISQ_E10value_typeET4_jRbjT5_SW_jjP12ihipStream_tbEUlT_E1_NS1_11comp_targetILNS1_3genE10ELNS1_11target_archE1201ELNS1_3gpuE5ELNS1_3repE0EEENS1_59segmented_radix_sort_warp_sort_small_config_static_selectorELNS0_4arch9wavefront6targetE0EEEvSK_: ; @_ZN7rocprim17ROCPRIM_400000_NS6detail17trampoline_kernelINS0_14default_configENS1_36segmented_radix_sort_config_selectorIhlEEZNS1_25segmented_radix_sort_implIS3_Lb1EPKhPhPKlPlN2at6native12_GLOBAL__N_18offset_tEEE10hipError_tPvRmT1_PNSt15iterator_traitsISK_E10value_typeET2_T3_PNSL_ISQ_E10value_typeET4_jRbjT5_SW_jjP12ihipStream_tbEUlT_E1_NS1_11comp_targetILNS1_3genE10ELNS1_11target_archE1201ELNS1_3gpuE5ELNS1_3repE0EEENS1_59segmented_radix_sort_warp_sort_small_config_static_selectorELNS0_4arch9wavefront6targetE0EEEvSK_
; %bb.0:
	.section	.rodata,"a",@progbits
	.p2align	6, 0x0
	.amdhsa_kernel _ZN7rocprim17ROCPRIM_400000_NS6detail17trampoline_kernelINS0_14default_configENS1_36segmented_radix_sort_config_selectorIhlEEZNS1_25segmented_radix_sort_implIS3_Lb1EPKhPhPKlPlN2at6native12_GLOBAL__N_18offset_tEEE10hipError_tPvRmT1_PNSt15iterator_traitsISK_E10value_typeET2_T3_PNSL_ISQ_E10value_typeET4_jRbjT5_SW_jjP12ihipStream_tbEUlT_E1_NS1_11comp_targetILNS1_3genE10ELNS1_11target_archE1201ELNS1_3gpuE5ELNS1_3repE0EEENS1_59segmented_radix_sort_warp_sort_small_config_static_selectorELNS0_4arch9wavefront6targetE0EEEvSK_
		.amdhsa_group_segment_fixed_size 0
		.amdhsa_private_segment_fixed_size 0
		.amdhsa_kernarg_size 88
		.amdhsa_user_sgpr_count 6
		.amdhsa_user_sgpr_private_segment_buffer 1
		.amdhsa_user_sgpr_dispatch_ptr 0
		.amdhsa_user_sgpr_queue_ptr 0
		.amdhsa_user_sgpr_kernarg_segment_ptr 1
		.amdhsa_user_sgpr_dispatch_id 0
		.amdhsa_user_sgpr_flat_scratch_init 0
		.amdhsa_user_sgpr_private_segment_size 0
		.amdhsa_wavefront_size32 1
		.amdhsa_uses_dynamic_stack 0
		.amdhsa_system_sgpr_private_segment_wavefront_offset 0
		.amdhsa_system_sgpr_workgroup_id_x 1
		.amdhsa_system_sgpr_workgroup_id_y 0
		.amdhsa_system_sgpr_workgroup_id_z 0
		.amdhsa_system_sgpr_workgroup_info 0
		.amdhsa_system_vgpr_workitem_id 0
		.amdhsa_next_free_vgpr 1
		.amdhsa_next_free_sgpr 1
		.amdhsa_reserve_vcc 0
		.amdhsa_reserve_flat_scratch 0
		.amdhsa_float_round_mode_32 0
		.amdhsa_float_round_mode_16_64 0
		.amdhsa_float_denorm_mode_32 3
		.amdhsa_float_denorm_mode_16_64 3
		.amdhsa_dx10_clamp 1
		.amdhsa_ieee_mode 1
		.amdhsa_fp16_overflow 0
		.amdhsa_workgroup_processor_mode 1
		.amdhsa_memory_ordered 1
		.amdhsa_forward_progress 1
		.amdhsa_shared_vgpr_count 0
		.amdhsa_exception_fp_ieee_invalid_op 0
		.amdhsa_exception_fp_denorm_src 0
		.amdhsa_exception_fp_ieee_div_zero 0
		.amdhsa_exception_fp_ieee_overflow 0
		.amdhsa_exception_fp_ieee_underflow 0
		.amdhsa_exception_fp_ieee_inexact 0
		.amdhsa_exception_int_div_zero 0
	.end_amdhsa_kernel
	.section	.text._ZN7rocprim17ROCPRIM_400000_NS6detail17trampoline_kernelINS0_14default_configENS1_36segmented_radix_sort_config_selectorIhlEEZNS1_25segmented_radix_sort_implIS3_Lb1EPKhPhPKlPlN2at6native12_GLOBAL__N_18offset_tEEE10hipError_tPvRmT1_PNSt15iterator_traitsISK_E10value_typeET2_T3_PNSL_ISQ_E10value_typeET4_jRbjT5_SW_jjP12ihipStream_tbEUlT_E1_NS1_11comp_targetILNS1_3genE10ELNS1_11target_archE1201ELNS1_3gpuE5ELNS1_3repE0EEENS1_59segmented_radix_sort_warp_sort_small_config_static_selectorELNS0_4arch9wavefront6targetE0EEEvSK_,"axG",@progbits,_ZN7rocprim17ROCPRIM_400000_NS6detail17trampoline_kernelINS0_14default_configENS1_36segmented_radix_sort_config_selectorIhlEEZNS1_25segmented_radix_sort_implIS3_Lb1EPKhPhPKlPlN2at6native12_GLOBAL__N_18offset_tEEE10hipError_tPvRmT1_PNSt15iterator_traitsISK_E10value_typeET2_T3_PNSL_ISQ_E10value_typeET4_jRbjT5_SW_jjP12ihipStream_tbEUlT_E1_NS1_11comp_targetILNS1_3genE10ELNS1_11target_archE1201ELNS1_3gpuE5ELNS1_3repE0EEENS1_59segmented_radix_sort_warp_sort_small_config_static_selectorELNS0_4arch9wavefront6targetE0EEEvSK_,comdat
.Lfunc_end108:
	.size	_ZN7rocprim17ROCPRIM_400000_NS6detail17trampoline_kernelINS0_14default_configENS1_36segmented_radix_sort_config_selectorIhlEEZNS1_25segmented_radix_sort_implIS3_Lb1EPKhPhPKlPlN2at6native12_GLOBAL__N_18offset_tEEE10hipError_tPvRmT1_PNSt15iterator_traitsISK_E10value_typeET2_T3_PNSL_ISQ_E10value_typeET4_jRbjT5_SW_jjP12ihipStream_tbEUlT_E1_NS1_11comp_targetILNS1_3genE10ELNS1_11target_archE1201ELNS1_3gpuE5ELNS1_3repE0EEENS1_59segmented_radix_sort_warp_sort_small_config_static_selectorELNS0_4arch9wavefront6targetE0EEEvSK_, .Lfunc_end108-_ZN7rocprim17ROCPRIM_400000_NS6detail17trampoline_kernelINS0_14default_configENS1_36segmented_radix_sort_config_selectorIhlEEZNS1_25segmented_radix_sort_implIS3_Lb1EPKhPhPKlPlN2at6native12_GLOBAL__N_18offset_tEEE10hipError_tPvRmT1_PNSt15iterator_traitsISK_E10value_typeET2_T3_PNSL_ISQ_E10value_typeET4_jRbjT5_SW_jjP12ihipStream_tbEUlT_E1_NS1_11comp_targetILNS1_3genE10ELNS1_11target_archE1201ELNS1_3gpuE5ELNS1_3repE0EEENS1_59segmented_radix_sort_warp_sort_small_config_static_selectorELNS0_4arch9wavefront6targetE0EEEvSK_
                                        ; -- End function
	.set _ZN7rocprim17ROCPRIM_400000_NS6detail17trampoline_kernelINS0_14default_configENS1_36segmented_radix_sort_config_selectorIhlEEZNS1_25segmented_radix_sort_implIS3_Lb1EPKhPhPKlPlN2at6native12_GLOBAL__N_18offset_tEEE10hipError_tPvRmT1_PNSt15iterator_traitsISK_E10value_typeET2_T3_PNSL_ISQ_E10value_typeET4_jRbjT5_SW_jjP12ihipStream_tbEUlT_E1_NS1_11comp_targetILNS1_3genE10ELNS1_11target_archE1201ELNS1_3gpuE5ELNS1_3repE0EEENS1_59segmented_radix_sort_warp_sort_small_config_static_selectorELNS0_4arch9wavefront6targetE0EEEvSK_.num_vgpr, 0
	.set _ZN7rocprim17ROCPRIM_400000_NS6detail17trampoline_kernelINS0_14default_configENS1_36segmented_radix_sort_config_selectorIhlEEZNS1_25segmented_radix_sort_implIS3_Lb1EPKhPhPKlPlN2at6native12_GLOBAL__N_18offset_tEEE10hipError_tPvRmT1_PNSt15iterator_traitsISK_E10value_typeET2_T3_PNSL_ISQ_E10value_typeET4_jRbjT5_SW_jjP12ihipStream_tbEUlT_E1_NS1_11comp_targetILNS1_3genE10ELNS1_11target_archE1201ELNS1_3gpuE5ELNS1_3repE0EEENS1_59segmented_radix_sort_warp_sort_small_config_static_selectorELNS0_4arch9wavefront6targetE0EEEvSK_.num_agpr, 0
	.set _ZN7rocprim17ROCPRIM_400000_NS6detail17trampoline_kernelINS0_14default_configENS1_36segmented_radix_sort_config_selectorIhlEEZNS1_25segmented_radix_sort_implIS3_Lb1EPKhPhPKlPlN2at6native12_GLOBAL__N_18offset_tEEE10hipError_tPvRmT1_PNSt15iterator_traitsISK_E10value_typeET2_T3_PNSL_ISQ_E10value_typeET4_jRbjT5_SW_jjP12ihipStream_tbEUlT_E1_NS1_11comp_targetILNS1_3genE10ELNS1_11target_archE1201ELNS1_3gpuE5ELNS1_3repE0EEENS1_59segmented_radix_sort_warp_sort_small_config_static_selectorELNS0_4arch9wavefront6targetE0EEEvSK_.numbered_sgpr, 0
	.set _ZN7rocprim17ROCPRIM_400000_NS6detail17trampoline_kernelINS0_14default_configENS1_36segmented_radix_sort_config_selectorIhlEEZNS1_25segmented_radix_sort_implIS3_Lb1EPKhPhPKlPlN2at6native12_GLOBAL__N_18offset_tEEE10hipError_tPvRmT1_PNSt15iterator_traitsISK_E10value_typeET2_T3_PNSL_ISQ_E10value_typeET4_jRbjT5_SW_jjP12ihipStream_tbEUlT_E1_NS1_11comp_targetILNS1_3genE10ELNS1_11target_archE1201ELNS1_3gpuE5ELNS1_3repE0EEENS1_59segmented_radix_sort_warp_sort_small_config_static_selectorELNS0_4arch9wavefront6targetE0EEEvSK_.num_named_barrier, 0
	.set _ZN7rocprim17ROCPRIM_400000_NS6detail17trampoline_kernelINS0_14default_configENS1_36segmented_radix_sort_config_selectorIhlEEZNS1_25segmented_radix_sort_implIS3_Lb1EPKhPhPKlPlN2at6native12_GLOBAL__N_18offset_tEEE10hipError_tPvRmT1_PNSt15iterator_traitsISK_E10value_typeET2_T3_PNSL_ISQ_E10value_typeET4_jRbjT5_SW_jjP12ihipStream_tbEUlT_E1_NS1_11comp_targetILNS1_3genE10ELNS1_11target_archE1201ELNS1_3gpuE5ELNS1_3repE0EEENS1_59segmented_radix_sort_warp_sort_small_config_static_selectorELNS0_4arch9wavefront6targetE0EEEvSK_.private_seg_size, 0
	.set _ZN7rocprim17ROCPRIM_400000_NS6detail17trampoline_kernelINS0_14default_configENS1_36segmented_radix_sort_config_selectorIhlEEZNS1_25segmented_radix_sort_implIS3_Lb1EPKhPhPKlPlN2at6native12_GLOBAL__N_18offset_tEEE10hipError_tPvRmT1_PNSt15iterator_traitsISK_E10value_typeET2_T3_PNSL_ISQ_E10value_typeET4_jRbjT5_SW_jjP12ihipStream_tbEUlT_E1_NS1_11comp_targetILNS1_3genE10ELNS1_11target_archE1201ELNS1_3gpuE5ELNS1_3repE0EEENS1_59segmented_radix_sort_warp_sort_small_config_static_selectorELNS0_4arch9wavefront6targetE0EEEvSK_.uses_vcc, 0
	.set _ZN7rocprim17ROCPRIM_400000_NS6detail17trampoline_kernelINS0_14default_configENS1_36segmented_radix_sort_config_selectorIhlEEZNS1_25segmented_radix_sort_implIS3_Lb1EPKhPhPKlPlN2at6native12_GLOBAL__N_18offset_tEEE10hipError_tPvRmT1_PNSt15iterator_traitsISK_E10value_typeET2_T3_PNSL_ISQ_E10value_typeET4_jRbjT5_SW_jjP12ihipStream_tbEUlT_E1_NS1_11comp_targetILNS1_3genE10ELNS1_11target_archE1201ELNS1_3gpuE5ELNS1_3repE0EEENS1_59segmented_radix_sort_warp_sort_small_config_static_selectorELNS0_4arch9wavefront6targetE0EEEvSK_.uses_flat_scratch, 0
	.set _ZN7rocprim17ROCPRIM_400000_NS6detail17trampoline_kernelINS0_14default_configENS1_36segmented_radix_sort_config_selectorIhlEEZNS1_25segmented_radix_sort_implIS3_Lb1EPKhPhPKlPlN2at6native12_GLOBAL__N_18offset_tEEE10hipError_tPvRmT1_PNSt15iterator_traitsISK_E10value_typeET2_T3_PNSL_ISQ_E10value_typeET4_jRbjT5_SW_jjP12ihipStream_tbEUlT_E1_NS1_11comp_targetILNS1_3genE10ELNS1_11target_archE1201ELNS1_3gpuE5ELNS1_3repE0EEENS1_59segmented_radix_sort_warp_sort_small_config_static_selectorELNS0_4arch9wavefront6targetE0EEEvSK_.has_dyn_sized_stack, 0
	.set _ZN7rocprim17ROCPRIM_400000_NS6detail17trampoline_kernelINS0_14default_configENS1_36segmented_radix_sort_config_selectorIhlEEZNS1_25segmented_radix_sort_implIS3_Lb1EPKhPhPKlPlN2at6native12_GLOBAL__N_18offset_tEEE10hipError_tPvRmT1_PNSt15iterator_traitsISK_E10value_typeET2_T3_PNSL_ISQ_E10value_typeET4_jRbjT5_SW_jjP12ihipStream_tbEUlT_E1_NS1_11comp_targetILNS1_3genE10ELNS1_11target_archE1201ELNS1_3gpuE5ELNS1_3repE0EEENS1_59segmented_radix_sort_warp_sort_small_config_static_selectorELNS0_4arch9wavefront6targetE0EEEvSK_.has_recursion, 0
	.set _ZN7rocprim17ROCPRIM_400000_NS6detail17trampoline_kernelINS0_14default_configENS1_36segmented_radix_sort_config_selectorIhlEEZNS1_25segmented_radix_sort_implIS3_Lb1EPKhPhPKlPlN2at6native12_GLOBAL__N_18offset_tEEE10hipError_tPvRmT1_PNSt15iterator_traitsISK_E10value_typeET2_T3_PNSL_ISQ_E10value_typeET4_jRbjT5_SW_jjP12ihipStream_tbEUlT_E1_NS1_11comp_targetILNS1_3genE10ELNS1_11target_archE1201ELNS1_3gpuE5ELNS1_3repE0EEENS1_59segmented_radix_sort_warp_sort_small_config_static_selectorELNS0_4arch9wavefront6targetE0EEEvSK_.has_indirect_call, 0
	.section	.AMDGPU.csdata,"",@progbits
; Kernel info:
; codeLenInByte = 0
; TotalNumSgprs: 0
; NumVgprs: 0
; ScratchSize: 0
; MemoryBound: 0
; FloatMode: 240
; IeeeMode: 1
; LDSByteSize: 0 bytes/workgroup (compile time only)
; SGPRBlocks: 0
; VGPRBlocks: 0
; NumSGPRsForWavesPerEU: 1
; NumVGPRsForWavesPerEU: 1
; Occupancy: 16
; WaveLimiterHint : 0
; COMPUTE_PGM_RSRC2:SCRATCH_EN: 0
; COMPUTE_PGM_RSRC2:USER_SGPR: 6
; COMPUTE_PGM_RSRC2:TRAP_HANDLER: 0
; COMPUTE_PGM_RSRC2:TGID_X_EN: 1
; COMPUTE_PGM_RSRC2:TGID_Y_EN: 0
; COMPUTE_PGM_RSRC2:TGID_Z_EN: 0
; COMPUTE_PGM_RSRC2:TIDIG_COMP_CNT: 0
	.section	.text._ZN7rocprim17ROCPRIM_400000_NS6detail17trampoline_kernelINS0_14default_configENS1_36segmented_radix_sort_config_selectorIhlEEZNS1_25segmented_radix_sort_implIS3_Lb1EPKhPhPKlPlN2at6native12_GLOBAL__N_18offset_tEEE10hipError_tPvRmT1_PNSt15iterator_traitsISK_E10value_typeET2_T3_PNSL_ISQ_E10value_typeET4_jRbjT5_SW_jjP12ihipStream_tbEUlT_E1_NS1_11comp_targetILNS1_3genE10ELNS1_11target_archE1200ELNS1_3gpuE4ELNS1_3repE0EEENS1_59segmented_radix_sort_warp_sort_small_config_static_selectorELNS0_4arch9wavefront6targetE0EEEvSK_,"axG",@progbits,_ZN7rocprim17ROCPRIM_400000_NS6detail17trampoline_kernelINS0_14default_configENS1_36segmented_radix_sort_config_selectorIhlEEZNS1_25segmented_radix_sort_implIS3_Lb1EPKhPhPKlPlN2at6native12_GLOBAL__N_18offset_tEEE10hipError_tPvRmT1_PNSt15iterator_traitsISK_E10value_typeET2_T3_PNSL_ISQ_E10value_typeET4_jRbjT5_SW_jjP12ihipStream_tbEUlT_E1_NS1_11comp_targetILNS1_3genE10ELNS1_11target_archE1200ELNS1_3gpuE4ELNS1_3repE0EEENS1_59segmented_radix_sort_warp_sort_small_config_static_selectorELNS0_4arch9wavefront6targetE0EEEvSK_,comdat
	.globl	_ZN7rocprim17ROCPRIM_400000_NS6detail17trampoline_kernelINS0_14default_configENS1_36segmented_radix_sort_config_selectorIhlEEZNS1_25segmented_radix_sort_implIS3_Lb1EPKhPhPKlPlN2at6native12_GLOBAL__N_18offset_tEEE10hipError_tPvRmT1_PNSt15iterator_traitsISK_E10value_typeET2_T3_PNSL_ISQ_E10value_typeET4_jRbjT5_SW_jjP12ihipStream_tbEUlT_E1_NS1_11comp_targetILNS1_3genE10ELNS1_11target_archE1200ELNS1_3gpuE4ELNS1_3repE0EEENS1_59segmented_radix_sort_warp_sort_small_config_static_selectorELNS0_4arch9wavefront6targetE0EEEvSK_ ; -- Begin function _ZN7rocprim17ROCPRIM_400000_NS6detail17trampoline_kernelINS0_14default_configENS1_36segmented_radix_sort_config_selectorIhlEEZNS1_25segmented_radix_sort_implIS3_Lb1EPKhPhPKlPlN2at6native12_GLOBAL__N_18offset_tEEE10hipError_tPvRmT1_PNSt15iterator_traitsISK_E10value_typeET2_T3_PNSL_ISQ_E10value_typeET4_jRbjT5_SW_jjP12ihipStream_tbEUlT_E1_NS1_11comp_targetILNS1_3genE10ELNS1_11target_archE1200ELNS1_3gpuE4ELNS1_3repE0EEENS1_59segmented_radix_sort_warp_sort_small_config_static_selectorELNS0_4arch9wavefront6targetE0EEEvSK_
	.p2align	8
	.type	_ZN7rocprim17ROCPRIM_400000_NS6detail17trampoline_kernelINS0_14default_configENS1_36segmented_radix_sort_config_selectorIhlEEZNS1_25segmented_radix_sort_implIS3_Lb1EPKhPhPKlPlN2at6native12_GLOBAL__N_18offset_tEEE10hipError_tPvRmT1_PNSt15iterator_traitsISK_E10value_typeET2_T3_PNSL_ISQ_E10value_typeET4_jRbjT5_SW_jjP12ihipStream_tbEUlT_E1_NS1_11comp_targetILNS1_3genE10ELNS1_11target_archE1200ELNS1_3gpuE4ELNS1_3repE0EEENS1_59segmented_radix_sort_warp_sort_small_config_static_selectorELNS0_4arch9wavefront6targetE0EEEvSK_,@function
_ZN7rocprim17ROCPRIM_400000_NS6detail17trampoline_kernelINS0_14default_configENS1_36segmented_radix_sort_config_selectorIhlEEZNS1_25segmented_radix_sort_implIS3_Lb1EPKhPhPKlPlN2at6native12_GLOBAL__N_18offset_tEEE10hipError_tPvRmT1_PNSt15iterator_traitsISK_E10value_typeET2_T3_PNSL_ISQ_E10value_typeET4_jRbjT5_SW_jjP12ihipStream_tbEUlT_E1_NS1_11comp_targetILNS1_3genE10ELNS1_11target_archE1200ELNS1_3gpuE4ELNS1_3repE0EEENS1_59segmented_radix_sort_warp_sort_small_config_static_selectorELNS0_4arch9wavefront6targetE0EEEvSK_: ; @_ZN7rocprim17ROCPRIM_400000_NS6detail17trampoline_kernelINS0_14default_configENS1_36segmented_radix_sort_config_selectorIhlEEZNS1_25segmented_radix_sort_implIS3_Lb1EPKhPhPKlPlN2at6native12_GLOBAL__N_18offset_tEEE10hipError_tPvRmT1_PNSt15iterator_traitsISK_E10value_typeET2_T3_PNSL_ISQ_E10value_typeET4_jRbjT5_SW_jjP12ihipStream_tbEUlT_E1_NS1_11comp_targetILNS1_3genE10ELNS1_11target_archE1200ELNS1_3gpuE4ELNS1_3repE0EEENS1_59segmented_radix_sort_warp_sort_small_config_static_selectorELNS0_4arch9wavefront6targetE0EEEvSK_
; %bb.0:
	.section	.rodata,"a",@progbits
	.p2align	6, 0x0
	.amdhsa_kernel _ZN7rocprim17ROCPRIM_400000_NS6detail17trampoline_kernelINS0_14default_configENS1_36segmented_radix_sort_config_selectorIhlEEZNS1_25segmented_radix_sort_implIS3_Lb1EPKhPhPKlPlN2at6native12_GLOBAL__N_18offset_tEEE10hipError_tPvRmT1_PNSt15iterator_traitsISK_E10value_typeET2_T3_PNSL_ISQ_E10value_typeET4_jRbjT5_SW_jjP12ihipStream_tbEUlT_E1_NS1_11comp_targetILNS1_3genE10ELNS1_11target_archE1200ELNS1_3gpuE4ELNS1_3repE0EEENS1_59segmented_radix_sort_warp_sort_small_config_static_selectorELNS0_4arch9wavefront6targetE0EEEvSK_
		.amdhsa_group_segment_fixed_size 0
		.amdhsa_private_segment_fixed_size 0
		.amdhsa_kernarg_size 88
		.amdhsa_user_sgpr_count 6
		.amdhsa_user_sgpr_private_segment_buffer 1
		.amdhsa_user_sgpr_dispatch_ptr 0
		.amdhsa_user_sgpr_queue_ptr 0
		.amdhsa_user_sgpr_kernarg_segment_ptr 1
		.amdhsa_user_sgpr_dispatch_id 0
		.amdhsa_user_sgpr_flat_scratch_init 0
		.amdhsa_user_sgpr_private_segment_size 0
		.amdhsa_wavefront_size32 1
		.amdhsa_uses_dynamic_stack 0
		.amdhsa_system_sgpr_private_segment_wavefront_offset 0
		.amdhsa_system_sgpr_workgroup_id_x 1
		.amdhsa_system_sgpr_workgroup_id_y 0
		.amdhsa_system_sgpr_workgroup_id_z 0
		.amdhsa_system_sgpr_workgroup_info 0
		.amdhsa_system_vgpr_workitem_id 0
		.amdhsa_next_free_vgpr 1
		.amdhsa_next_free_sgpr 1
		.amdhsa_reserve_vcc 0
		.amdhsa_reserve_flat_scratch 0
		.amdhsa_float_round_mode_32 0
		.amdhsa_float_round_mode_16_64 0
		.amdhsa_float_denorm_mode_32 3
		.amdhsa_float_denorm_mode_16_64 3
		.amdhsa_dx10_clamp 1
		.amdhsa_ieee_mode 1
		.amdhsa_fp16_overflow 0
		.amdhsa_workgroup_processor_mode 1
		.amdhsa_memory_ordered 1
		.amdhsa_forward_progress 1
		.amdhsa_shared_vgpr_count 0
		.amdhsa_exception_fp_ieee_invalid_op 0
		.amdhsa_exception_fp_denorm_src 0
		.amdhsa_exception_fp_ieee_div_zero 0
		.amdhsa_exception_fp_ieee_overflow 0
		.amdhsa_exception_fp_ieee_underflow 0
		.amdhsa_exception_fp_ieee_inexact 0
		.amdhsa_exception_int_div_zero 0
	.end_amdhsa_kernel
	.section	.text._ZN7rocprim17ROCPRIM_400000_NS6detail17trampoline_kernelINS0_14default_configENS1_36segmented_radix_sort_config_selectorIhlEEZNS1_25segmented_radix_sort_implIS3_Lb1EPKhPhPKlPlN2at6native12_GLOBAL__N_18offset_tEEE10hipError_tPvRmT1_PNSt15iterator_traitsISK_E10value_typeET2_T3_PNSL_ISQ_E10value_typeET4_jRbjT5_SW_jjP12ihipStream_tbEUlT_E1_NS1_11comp_targetILNS1_3genE10ELNS1_11target_archE1200ELNS1_3gpuE4ELNS1_3repE0EEENS1_59segmented_radix_sort_warp_sort_small_config_static_selectorELNS0_4arch9wavefront6targetE0EEEvSK_,"axG",@progbits,_ZN7rocprim17ROCPRIM_400000_NS6detail17trampoline_kernelINS0_14default_configENS1_36segmented_radix_sort_config_selectorIhlEEZNS1_25segmented_radix_sort_implIS3_Lb1EPKhPhPKlPlN2at6native12_GLOBAL__N_18offset_tEEE10hipError_tPvRmT1_PNSt15iterator_traitsISK_E10value_typeET2_T3_PNSL_ISQ_E10value_typeET4_jRbjT5_SW_jjP12ihipStream_tbEUlT_E1_NS1_11comp_targetILNS1_3genE10ELNS1_11target_archE1200ELNS1_3gpuE4ELNS1_3repE0EEENS1_59segmented_radix_sort_warp_sort_small_config_static_selectorELNS0_4arch9wavefront6targetE0EEEvSK_,comdat
.Lfunc_end109:
	.size	_ZN7rocprim17ROCPRIM_400000_NS6detail17trampoline_kernelINS0_14default_configENS1_36segmented_radix_sort_config_selectorIhlEEZNS1_25segmented_radix_sort_implIS3_Lb1EPKhPhPKlPlN2at6native12_GLOBAL__N_18offset_tEEE10hipError_tPvRmT1_PNSt15iterator_traitsISK_E10value_typeET2_T3_PNSL_ISQ_E10value_typeET4_jRbjT5_SW_jjP12ihipStream_tbEUlT_E1_NS1_11comp_targetILNS1_3genE10ELNS1_11target_archE1200ELNS1_3gpuE4ELNS1_3repE0EEENS1_59segmented_radix_sort_warp_sort_small_config_static_selectorELNS0_4arch9wavefront6targetE0EEEvSK_, .Lfunc_end109-_ZN7rocprim17ROCPRIM_400000_NS6detail17trampoline_kernelINS0_14default_configENS1_36segmented_radix_sort_config_selectorIhlEEZNS1_25segmented_radix_sort_implIS3_Lb1EPKhPhPKlPlN2at6native12_GLOBAL__N_18offset_tEEE10hipError_tPvRmT1_PNSt15iterator_traitsISK_E10value_typeET2_T3_PNSL_ISQ_E10value_typeET4_jRbjT5_SW_jjP12ihipStream_tbEUlT_E1_NS1_11comp_targetILNS1_3genE10ELNS1_11target_archE1200ELNS1_3gpuE4ELNS1_3repE0EEENS1_59segmented_radix_sort_warp_sort_small_config_static_selectorELNS0_4arch9wavefront6targetE0EEEvSK_
                                        ; -- End function
	.set _ZN7rocprim17ROCPRIM_400000_NS6detail17trampoline_kernelINS0_14default_configENS1_36segmented_radix_sort_config_selectorIhlEEZNS1_25segmented_radix_sort_implIS3_Lb1EPKhPhPKlPlN2at6native12_GLOBAL__N_18offset_tEEE10hipError_tPvRmT1_PNSt15iterator_traitsISK_E10value_typeET2_T3_PNSL_ISQ_E10value_typeET4_jRbjT5_SW_jjP12ihipStream_tbEUlT_E1_NS1_11comp_targetILNS1_3genE10ELNS1_11target_archE1200ELNS1_3gpuE4ELNS1_3repE0EEENS1_59segmented_radix_sort_warp_sort_small_config_static_selectorELNS0_4arch9wavefront6targetE0EEEvSK_.num_vgpr, 0
	.set _ZN7rocprim17ROCPRIM_400000_NS6detail17trampoline_kernelINS0_14default_configENS1_36segmented_radix_sort_config_selectorIhlEEZNS1_25segmented_radix_sort_implIS3_Lb1EPKhPhPKlPlN2at6native12_GLOBAL__N_18offset_tEEE10hipError_tPvRmT1_PNSt15iterator_traitsISK_E10value_typeET2_T3_PNSL_ISQ_E10value_typeET4_jRbjT5_SW_jjP12ihipStream_tbEUlT_E1_NS1_11comp_targetILNS1_3genE10ELNS1_11target_archE1200ELNS1_3gpuE4ELNS1_3repE0EEENS1_59segmented_radix_sort_warp_sort_small_config_static_selectorELNS0_4arch9wavefront6targetE0EEEvSK_.num_agpr, 0
	.set _ZN7rocprim17ROCPRIM_400000_NS6detail17trampoline_kernelINS0_14default_configENS1_36segmented_radix_sort_config_selectorIhlEEZNS1_25segmented_radix_sort_implIS3_Lb1EPKhPhPKlPlN2at6native12_GLOBAL__N_18offset_tEEE10hipError_tPvRmT1_PNSt15iterator_traitsISK_E10value_typeET2_T3_PNSL_ISQ_E10value_typeET4_jRbjT5_SW_jjP12ihipStream_tbEUlT_E1_NS1_11comp_targetILNS1_3genE10ELNS1_11target_archE1200ELNS1_3gpuE4ELNS1_3repE0EEENS1_59segmented_radix_sort_warp_sort_small_config_static_selectorELNS0_4arch9wavefront6targetE0EEEvSK_.numbered_sgpr, 0
	.set _ZN7rocprim17ROCPRIM_400000_NS6detail17trampoline_kernelINS0_14default_configENS1_36segmented_radix_sort_config_selectorIhlEEZNS1_25segmented_radix_sort_implIS3_Lb1EPKhPhPKlPlN2at6native12_GLOBAL__N_18offset_tEEE10hipError_tPvRmT1_PNSt15iterator_traitsISK_E10value_typeET2_T3_PNSL_ISQ_E10value_typeET4_jRbjT5_SW_jjP12ihipStream_tbEUlT_E1_NS1_11comp_targetILNS1_3genE10ELNS1_11target_archE1200ELNS1_3gpuE4ELNS1_3repE0EEENS1_59segmented_radix_sort_warp_sort_small_config_static_selectorELNS0_4arch9wavefront6targetE0EEEvSK_.num_named_barrier, 0
	.set _ZN7rocprim17ROCPRIM_400000_NS6detail17trampoline_kernelINS0_14default_configENS1_36segmented_radix_sort_config_selectorIhlEEZNS1_25segmented_radix_sort_implIS3_Lb1EPKhPhPKlPlN2at6native12_GLOBAL__N_18offset_tEEE10hipError_tPvRmT1_PNSt15iterator_traitsISK_E10value_typeET2_T3_PNSL_ISQ_E10value_typeET4_jRbjT5_SW_jjP12ihipStream_tbEUlT_E1_NS1_11comp_targetILNS1_3genE10ELNS1_11target_archE1200ELNS1_3gpuE4ELNS1_3repE0EEENS1_59segmented_radix_sort_warp_sort_small_config_static_selectorELNS0_4arch9wavefront6targetE0EEEvSK_.private_seg_size, 0
	.set _ZN7rocprim17ROCPRIM_400000_NS6detail17trampoline_kernelINS0_14default_configENS1_36segmented_radix_sort_config_selectorIhlEEZNS1_25segmented_radix_sort_implIS3_Lb1EPKhPhPKlPlN2at6native12_GLOBAL__N_18offset_tEEE10hipError_tPvRmT1_PNSt15iterator_traitsISK_E10value_typeET2_T3_PNSL_ISQ_E10value_typeET4_jRbjT5_SW_jjP12ihipStream_tbEUlT_E1_NS1_11comp_targetILNS1_3genE10ELNS1_11target_archE1200ELNS1_3gpuE4ELNS1_3repE0EEENS1_59segmented_radix_sort_warp_sort_small_config_static_selectorELNS0_4arch9wavefront6targetE0EEEvSK_.uses_vcc, 0
	.set _ZN7rocprim17ROCPRIM_400000_NS6detail17trampoline_kernelINS0_14default_configENS1_36segmented_radix_sort_config_selectorIhlEEZNS1_25segmented_radix_sort_implIS3_Lb1EPKhPhPKlPlN2at6native12_GLOBAL__N_18offset_tEEE10hipError_tPvRmT1_PNSt15iterator_traitsISK_E10value_typeET2_T3_PNSL_ISQ_E10value_typeET4_jRbjT5_SW_jjP12ihipStream_tbEUlT_E1_NS1_11comp_targetILNS1_3genE10ELNS1_11target_archE1200ELNS1_3gpuE4ELNS1_3repE0EEENS1_59segmented_radix_sort_warp_sort_small_config_static_selectorELNS0_4arch9wavefront6targetE0EEEvSK_.uses_flat_scratch, 0
	.set _ZN7rocprim17ROCPRIM_400000_NS6detail17trampoline_kernelINS0_14default_configENS1_36segmented_radix_sort_config_selectorIhlEEZNS1_25segmented_radix_sort_implIS3_Lb1EPKhPhPKlPlN2at6native12_GLOBAL__N_18offset_tEEE10hipError_tPvRmT1_PNSt15iterator_traitsISK_E10value_typeET2_T3_PNSL_ISQ_E10value_typeET4_jRbjT5_SW_jjP12ihipStream_tbEUlT_E1_NS1_11comp_targetILNS1_3genE10ELNS1_11target_archE1200ELNS1_3gpuE4ELNS1_3repE0EEENS1_59segmented_radix_sort_warp_sort_small_config_static_selectorELNS0_4arch9wavefront6targetE0EEEvSK_.has_dyn_sized_stack, 0
	.set _ZN7rocprim17ROCPRIM_400000_NS6detail17trampoline_kernelINS0_14default_configENS1_36segmented_radix_sort_config_selectorIhlEEZNS1_25segmented_radix_sort_implIS3_Lb1EPKhPhPKlPlN2at6native12_GLOBAL__N_18offset_tEEE10hipError_tPvRmT1_PNSt15iterator_traitsISK_E10value_typeET2_T3_PNSL_ISQ_E10value_typeET4_jRbjT5_SW_jjP12ihipStream_tbEUlT_E1_NS1_11comp_targetILNS1_3genE10ELNS1_11target_archE1200ELNS1_3gpuE4ELNS1_3repE0EEENS1_59segmented_radix_sort_warp_sort_small_config_static_selectorELNS0_4arch9wavefront6targetE0EEEvSK_.has_recursion, 0
	.set _ZN7rocprim17ROCPRIM_400000_NS6detail17trampoline_kernelINS0_14default_configENS1_36segmented_radix_sort_config_selectorIhlEEZNS1_25segmented_radix_sort_implIS3_Lb1EPKhPhPKlPlN2at6native12_GLOBAL__N_18offset_tEEE10hipError_tPvRmT1_PNSt15iterator_traitsISK_E10value_typeET2_T3_PNSL_ISQ_E10value_typeET4_jRbjT5_SW_jjP12ihipStream_tbEUlT_E1_NS1_11comp_targetILNS1_3genE10ELNS1_11target_archE1200ELNS1_3gpuE4ELNS1_3repE0EEENS1_59segmented_radix_sort_warp_sort_small_config_static_selectorELNS0_4arch9wavefront6targetE0EEEvSK_.has_indirect_call, 0
	.section	.AMDGPU.csdata,"",@progbits
; Kernel info:
; codeLenInByte = 0
; TotalNumSgprs: 0
; NumVgprs: 0
; ScratchSize: 0
; MemoryBound: 0
; FloatMode: 240
; IeeeMode: 1
; LDSByteSize: 0 bytes/workgroup (compile time only)
; SGPRBlocks: 0
; VGPRBlocks: 0
; NumSGPRsForWavesPerEU: 1
; NumVGPRsForWavesPerEU: 1
; Occupancy: 16
; WaveLimiterHint : 0
; COMPUTE_PGM_RSRC2:SCRATCH_EN: 0
; COMPUTE_PGM_RSRC2:USER_SGPR: 6
; COMPUTE_PGM_RSRC2:TRAP_HANDLER: 0
; COMPUTE_PGM_RSRC2:TGID_X_EN: 1
; COMPUTE_PGM_RSRC2:TGID_Y_EN: 0
; COMPUTE_PGM_RSRC2:TGID_Z_EN: 0
; COMPUTE_PGM_RSRC2:TIDIG_COMP_CNT: 0
	.section	.text._ZN7rocprim17ROCPRIM_400000_NS6detail17trampoline_kernelINS0_14default_configENS1_36segmented_radix_sort_config_selectorIhlEEZNS1_25segmented_radix_sort_implIS3_Lb1EPKhPhPKlPlN2at6native12_GLOBAL__N_18offset_tEEE10hipError_tPvRmT1_PNSt15iterator_traitsISK_E10value_typeET2_T3_PNSL_ISQ_E10value_typeET4_jRbjT5_SW_jjP12ihipStream_tbEUlT_E1_NS1_11comp_targetILNS1_3genE9ELNS1_11target_archE1100ELNS1_3gpuE3ELNS1_3repE0EEENS1_59segmented_radix_sort_warp_sort_small_config_static_selectorELNS0_4arch9wavefront6targetE0EEEvSK_,"axG",@progbits,_ZN7rocprim17ROCPRIM_400000_NS6detail17trampoline_kernelINS0_14default_configENS1_36segmented_radix_sort_config_selectorIhlEEZNS1_25segmented_radix_sort_implIS3_Lb1EPKhPhPKlPlN2at6native12_GLOBAL__N_18offset_tEEE10hipError_tPvRmT1_PNSt15iterator_traitsISK_E10value_typeET2_T3_PNSL_ISQ_E10value_typeET4_jRbjT5_SW_jjP12ihipStream_tbEUlT_E1_NS1_11comp_targetILNS1_3genE9ELNS1_11target_archE1100ELNS1_3gpuE3ELNS1_3repE0EEENS1_59segmented_radix_sort_warp_sort_small_config_static_selectorELNS0_4arch9wavefront6targetE0EEEvSK_,comdat
	.globl	_ZN7rocprim17ROCPRIM_400000_NS6detail17trampoline_kernelINS0_14default_configENS1_36segmented_radix_sort_config_selectorIhlEEZNS1_25segmented_radix_sort_implIS3_Lb1EPKhPhPKlPlN2at6native12_GLOBAL__N_18offset_tEEE10hipError_tPvRmT1_PNSt15iterator_traitsISK_E10value_typeET2_T3_PNSL_ISQ_E10value_typeET4_jRbjT5_SW_jjP12ihipStream_tbEUlT_E1_NS1_11comp_targetILNS1_3genE9ELNS1_11target_archE1100ELNS1_3gpuE3ELNS1_3repE0EEENS1_59segmented_radix_sort_warp_sort_small_config_static_selectorELNS0_4arch9wavefront6targetE0EEEvSK_ ; -- Begin function _ZN7rocprim17ROCPRIM_400000_NS6detail17trampoline_kernelINS0_14default_configENS1_36segmented_radix_sort_config_selectorIhlEEZNS1_25segmented_radix_sort_implIS3_Lb1EPKhPhPKlPlN2at6native12_GLOBAL__N_18offset_tEEE10hipError_tPvRmT1_PNSt15iterator_traitsISK_E10value_typeET2_T3_PNSL_ISQ_E10value_typeET4_jRbjT5_SW_jjP12ihipStream_tbEUlT_E1_NS1_11comp_targetILNS1_3genE9ELNS1_11target_archE1100ELNS1_3gpuE3ELNS1_3repE0EEENS1_59segmented_radix_sort_warp_sort_small_config_static_selectorELNS0_4arch9wavefront6targetE0EEEvSK_
	.p2align	8
	.type	_ZN7rocprim17ROCPRIM_400000_NS6detail17trampoline_kernelINS0_14default_configENS1_36segmented_radix_sort_config_selectorIhlEEZNS1_25segmented_radix_sort_implIS3_Lb1EPKhPhPKlPlN2at6native12_GLOBAL__N_18offset_tEEE10hipError_tPvRmT1_PNSt15iterator_traitsISK_E10value_typeET2_T3_PNSL_ISQ_E10value_typeET4_jRbjT5_SW_jjP12ihipStream_tbEUlT_E1_NS1_11comp_targetILNS1_3genE9ELNS1_11target_archE1100ELNS1_3gpuE3ELNS1_3repE0EEENS1_59segmented_radix_sort_warp_sort_small_config_static_selectorELNS0_4arch9wavefront6targetE0EEEvSK_,@function
_ZN7rocprim17ROCPRIM_400000_NS6detail17trampoline_kernelINS0_14default_configENS1_36segmented_radix_sort_config_selectorIhlEEZNS1_25segmented_radix_sort_implIS3_Lb1EPKhPhPKlPlN2at6native12_GLOBAL__N_18offset_tEEE10hipError_tPvRmT1_PNSt15iterator_traitsISK_E10value_typeET2_T3_PNSL_ISQ_E10value_typeET4_jRbjT5_SW_jjP12ihipStream_tbEUlT_E1_NS1_11comp_targetILNS1_3genE9ELNS1_11target_archE1100ELNS1_3gpuE3ELNS1_3repE0EEENS1_59segmented_radix_sort_warp_sort_small_config_static_selectorELNS0_4arch9wavefront6targetE0EEEvSK_: ; @_ZN7rocprim17ROCPRIM_400000_NS6detail17trampoline_kernelINS0_14default_configENS1_36segmented_radix_sort_config_selectorIhlEEZNS1_25segmented_radix_sort_implIS3_Lb1EPKhPhPKlPlN2at6native12_GLOBAL__N_18offset_tEEE10hipError_tPvRmT1_PNSt15iterator_traitsISK_E10value_typeET2_T3_PNSL_ISQ_E10value_typeET4_jRbjT5_SW_jjP12ihipStream_tbEUlT_E1_NS1_11comp_targetILNS1_3genE9ELNS1_11target_archE1100ELNS1_3gpuE3ELNS1_3repE0EEENS1_59segmented_radix_sort_warp_sort_small_config_static_selectorELNS0_4arch9wavefront6targetE0EEEvSK_
; %bb.0:
	.section	.rodata,"a",@progbits
	.p2align	6, 0x0
	.amdhsa_kernel _ZN7rocprim17ROCPRIM_400000_NS6detail17trampoline_kernelINS0_14default_configENS1_36segmented_radix_sort_config_selectorIhlEEZNS1_25segmented_radix_sort_implIS3_Lb1EPKhPhPKlPlN2at6native12_GLOBAL__N_18offset_tEEE10hipError_tPvRmT1_PNSt15iterator_traitsISK_E10value_typeET2_T3_PNSL_ISQ_E10value_typeET4_jRbjT5_SW_jjP12ihipStream_tbEUlT_E1_NS1_11comp_targetILNS1_3genE9ELNS1_11target_archE1100ELNS1_3gpuE3ELNS1_3repE0EEENS1_59segmented_radix_sort_warp_sort_small_config_static_selectorELNS0_4arch9wavefront6targetE0EEEvSK_
		.amdhsa_group_segment_fixed_size 0
		.amdhsa_private_segment_fixed_size 0
		.amdhsa_kernarg_size 88
		.amdhsa_user_sgpr_count 6
		.amdhsa_user_sgpr_private_segment_buffer 1
		.amdhsa_user_sgpr_dispatch_ptr 0
		.amdhsa_user_sgpr_queue_ptr 0
		.amdhsa_user_sgpr_kernarg_segment_ptr 1
		.amdhsa_user_sgpr_dispatch_id 0
		.amdhsa_user_sgpr_flat_scratch_init 0
		.amdhsa_user_sgpr_private_segment_size 0
		.amdhsa_wavefront_size32 1
		.amdhsa_uses_dynamic_stack 0
		.amdhsa_system_sgpr_private_segment_wavefront_offset 0
		.amdhsa_system_sgpr_workgroup_id_x 1
		.amdhsa_system_sgpr_workgroup_id_y 0
		.amdhsa_system_sgpr_workgroup_id_z 0
		.amdhsa_system_sgpr_workgroup_info 0
		.amdhsa_system_vgpr_workitem_id 0
		.amdhsa_next_free_vgpr 1
		.amdhsa_next_free_sgpr 1
		.amdhsa_reserve_vcc 0
		.amdhsa_reserve_flat_scratch 0
		.amdhsa_float_round_mode_32 0
		.amdhsa_float_round_mode_16_64 0
		.amdhsa_float_denorm_mode_32 3
		.amdhsa_float_denorm_mode_16_64 3
		.amdhsa_dx10_clamp 1
		.amdhsa_ieee_mode 1
		.amdhsa_fp16_overflow 0
		.amdhsa_workgroup_processor_mode 1
		.amdhsa_memory_ordered 1
		.amdhsa_forward_progress 1
		.amdhsa_shared_vgpr_count 0
		.amdhsa_exception_fp_ieee_invalid_op 0
		.amdhsa_exception_fp_denorm_src 0
		.amdhsa_exception_fp_ieee_div_zero 0
		.amdhsa_exception_fp_ieee_overflow 0
		.amdhsa_exception_fp_ieee_underflow 0
		.amdhsa_exception_fp_ieee_inexact 0
		.amdhsa_exception_int_div_zero 0
	.end_amdhsa_kernel
	.section	.text._ZN7rocprim17ROCPRIM_400000_NS6detail17trampoline_kernelINS0_14default_configENS1_36segmented_radix_sort_config_selectorIhlEEZNS1_25segmented_radix_sort_implIS3_Lb1EPKhPhPKlPlN2at6native12_GLOBAL__N_18offset_tEEE10hipError_tPvRmT1_PNSt15iterator_traitsISK_E10value_typeET2_T3_PNSL_ISQ_E10value_typeET4_jRbjT5_SW_jjP12ihipStream_tbEUlT_E1_NS1_11comp_targetILNS1_3genE9ELNS1_11target_archE1100ELNS1_3gpuE3ELNS1_3repE0EEENS1_59segmented_radix_sort_warp_sort_small_config_static_selectorELNS0_4arch9wavefront6targetE0EEEvSK_,"axG",@progbits,_ZN7rocprim17ROCPRIM_400000_NS6detail17trampoline_kernelINS0_14default_configENS1_36segmented_radix_sort_config_selectorIhlEEZNS1_25segmented_radix_sort_implIS3_Lb1EPKhPhPKlPlN2at6native12_GLOBAL__N_18offset_tEEE10hipError_tPvRmT1_PNSt15iterator_traitsISK_E10value_typeET2_T3_PNSL_ISQ_E10value_typeET4_jRbjT5_SW_jjP12ihipStream_tbEUlT_E1_NS1_11comp_targetILNS1_3genE9ELNS1_11target_archE1100ELNS1_3gpuE3ELNS1_3repE0EEENS1_59segmented_radix_sort_warp_sort_small_config_static_selectorELNS0_4arch9wavefront6targetE0EEEvSK_,comdat
.Lfunc_end110:
	.size	_ZN7rocprim17ROCPRIM_400000_NS6detail17trampoline_kernelINS0_14default_configENS1_36segmented_radix_sort_config_selectorIhlEEZNS1_25segmented_radix_sort_implIS3_Lb1EPKhPhPKlPlN2at6native12_GLOBAL__N_18offset_tEEE10hipError_tPvRmT1_PNSt15iterator_traitsISK_E10value_typeET2_T3_PNSL_ISQ_E10value_typeET4_jRbjT5_SW_jjP12ihipStream_tbEUlT_E1_NS1_11comp_targetILNS1_3genE9ELNS1_11target_archE1100ELNS1_3gpuE3ELNS1_3repE0EEENS1_59segmented_radix_sort_warp_sort_small_config_static_selectorELNS0_4arch9wavefront6targetE0EEEvSK_, .Lfunc_end110-_ZN7rocprim17ROCPRIM_400000_NS6detail17trampoline_kernelINS0_14default_configENS1_36segmented_radix_sort_config_selectorIhlEEZNS1_25segmented_radix_sort_implIS3_Lb1EPKhPhPKlPlN2at6native12_GLOBAL__N_18offset_tEEE10hipError_tPvRmT1_PNSt15iterator_traitsISK_E10value_typeET2_T3_PNSL_ISQ_E10value_typeET4_jRbjT5_SW_jjP12ihipStream_tbEUlT_E1_NS1_11comp_targetILNS1_3genE9ELNS1_11target_archE1100ELNS1_3gpuE3ELNS1_3repE0EEENS1_59segmented_radix_sort_warp_sort_small_config_static_selectorELNS0_4arch9wavefront6targetE0EEEvSK_
                                        ; -- End function
	.set _ZN7rocprim17ROCPRIM_400000_NS6detail17trampoline_kernelINS0_14default_configENS1_36segmented_radix_sort_config_selectorIhlEEZNS1_25segmented_radix_sort_implIS3_Lb1EPKhPhPKlPlN2at6native12_GLOBAL__N_18offset_tEEE10hipError_tPvRmT1_PNSt15iterator_traitsISK_E10value_typeET2_T3_PNSL_ISQ_E10value_typeET4_jRbjT5_SW_jjP12ihipStream_tbEUlT_E1_NS1_11comp_targetILNS1_3genE9ELNS1_11target_archE1100ELNS1_3gpuE3ELNS1_3repE0EEENS1_59segmented_radix_sort_warp_sort_small_config_static_selectorELNS0_4arch9wavefront6targetE0EEEvSK_.num_vgpr, 0
	.set _ZN7rocprim17ROCPRIM_400000_NS6detail17trampoline_kernelINS0_14default_configENS1_36segmented_radix_sort_config_selectorIhlEEZNS1_25segmented_radix_sort_implIS3_Lb1EPKhPhPKlPlN2at6native12_GLOBAL__N_18offset_tEEE10hipError_tPvRmT1_PNSt15iterator_traitsISK_E10value_typeET2_T3_PNSL_ISQ_E10value_typeET4_jRbjT5_SW_jjP12ihipStream_tbEUlT_E1_NS1_11comp_targetILNS1_3genE9ELNS1_11target_archE1100ELNS1_3gpuE3ELNS1_3repE0EEENS1_59segmented_radix_sort_warp_sort_small_config_static_selectorELNS0_4arch9wavefront6targetE0EEEvSK_.num_agpr, 0
	.set _ZN7rocprim17ROCPRIM_400000_NS6detail17trampoline_kernelINS0_14default_configENS1_36segmented_radix_sort_config_selectorIhlEEZNS1_25segmented_radix_sort_implIS3_Lb1EPKhPhPKlPlN2at6native12_GLOBAL__N_18offset_tEEE10hipError_tPvRmT1_PNSt15iterator_traitsISK_E10value_typeET2_T3_PNSL_ISQ_E10value_typeET4_jRbjT5_SW_jjP12ihipStream_tbEUlT_E1_NS1_11comp_targetILNS1_3genE9ELNS1_11target_archE1100ELNS1_3gpuE3ELNS1_3repE0EEENS1_59segmented_radix_sort_warp_sort_small_config_static_selectorELNS0_4arch9wavefront6targetE0EEEvSK_.numbered_sgpr, 0
	.set _ZN7rocprim17ROCPRIM_400000_NS6detail17trampoline_kernelINS0_14default_configENS1_36segmented_radix_sort_config_selectorIhlEEZNS1_25segmented_radix_sort_implIS3_Lb1EPKhPhPKlPlN2at6native12_GLOBAL__N_18offset_tEEE10hipError_tPvRmT1_PNSt15iterator_traitsISK_E10value_typeET2_T3_PNSL_ISQ_E10value_typeET4_jRbjT5_SW_jjP12ihipStream_tbEUlT_E1_NS1_11comp_targetILNS1_3genE9ELNS1_11target_archE1100ELNS1_3gpuE3ELNS1_3repE0EEENS1_59segmented_radix_sort_warp_sort_small_config_static_selectorELNS0_4arch9wavefront6targetE0EEEvSK_.num_named_barrier, 0
	.set _ZN7rocprim17ROCPRIM_400000_NS6detail17trampoline_kernelINS0_14default_configENS1_36segmented_radix_sort_config_selectorIhlEEZNS1_25segmented_radix_sort_implIS3_Lb1EPKhPhPKlPlN2at6native12_GLOBAL__N_18offset_tEEE10hipError_tPvRmT1_PNSt15iterator_traitsISK_E10value_typeET2_T3_PNSL_ISQ_E10value_typeET4_jRbjT5_SW_jjP12ihipStream_tbEUlT_E1_NS1_11comp_targetILNS1_3genE9ELNS1_11target_archE1100ELNS1_3gpuE3ELNS1_3repE0EEENS1_59segmented_radix_sort_warp_sort_small_config_static_selectorELNS0_4arch9wavefront6targetE0EEEvSK_.private_seg_size, 0
	.set _ZN7rocprim17ROCPRIM_400000_NS6detail17trampoline_kernelINS0_14default_configENS1_36segmented_radix_sort_config_selectorIhlEEZNS1_25segmented_radix_sort_implIS3_Lb1EPKhPhPKlPlN2at6native12_GLOBAL__N_18offset_tEEE10hipError_tPvRmT1_PNSt15iterator_traitsISK_E10value_typeET2_T3_PNSL_ISQ_E10value_typeET4_jRbjT5_SW_jjP12ihipStream_tbEUlT_E1_NS1_11comp_targetILNS1_3genE9ELNS1_11target_archE1100ELNS1_3gpuE3ELNS1_3repE0EEENS1_59segmented_radix_sort_warp_sort_small_config_static_selectorELNS0_4arch9wavefront6targetE0EEEvSK_.uses_vcc, 0
	.set _ZN7rocprim17ROCPRIM_400000_NS6detail17trampoline_kernelINS0_14default_configENS1_36segmented_radix_sort_config_selectorIhlEEZNS1_25segmented_radix_sort_implIS3_Lb1EPKhPhPKlPlN2at6native12_GLOBAL__N_18offset_tEEE10hipError_tPvRmT1_PNSt15iterator_traitsISK_E10value_typeET2_T3_PNSL_ISQ_E10value_typeET4_jRbjT5_SW_jjP12ihipStream_tbEUlT_E1_NS1_11comp_targetILNS1_3genE9ELNS1_11target_archE1100ELNS1_3gpuE3ELNS1_3repE0EEENS1_59segmented_radix_sort_warp_sort_small_config_static_selectorELNS0_4arch9wavefront6targetE0EEEvSK_.uses_flat_scratch, 0
	.set _ZN7rocprim17ROCPRIM_400000_NS6detail17trampoline_kernelINS0_14default_configENS1_36segmented_radix_sort_config_selectorIhlEEZNS1_25segmented_radix_sort_implIS3_Lb1EPKhPhPKlPlN2at6native12_GLOBAL__N_18offset_tEEE10hipError_tPvRmT1_PNSt15iterator_traitsISK_E10value_typeET2_T3_PNSL_ISQ_E10value_typeET4_jRbjT5_SW_jjP12ihipStream_tbEUlT_E1_NS1_11comp_targetILNS1_3genE9ELNS1_11target_archE1100ELNS1_3gpuE3ELNS1_3repE0EEENS1_59segmented_radix_sort_warp_sort_small_config_static_selectorELNS0_4arch9wavefront6targetE0EEEvSK_.has_dyn_sized_stack, 0
	.set _ZN7rocprim17ROCPRIM_400000_NS6detail17trampoline_kernelINS0_14default_configENS1_36segmented_radix_sort_config_selectorIhlEEZNS1_25segmented_radix_sort_implIS3_Lb1EPKhPhPKlPlN2at6native12_GLOBAL__N_18offset_tEEE10hipError_tPvRmT1_PNSt15iterator_traitsISK_E10value_typeET2_T3_PNSL_ISQ_E10value_typeET4_jRbjT5_SW_jjP12ihipStream_tbEUlT_E1_NS1_11comp_targetILNS1_3genE9ELNS1_11target_archE1100ELNS1_3gpuE3ELNS1_3repE0EEENS1_59segmented_radix_sort_warp_sort_small_config_static_selectorELNS0_4arch9wavefront6targetE0EEEvSK_.has_recursion, 0
	.set _ZN7rocprim17ROCPRIM_400000_NS6detail17trampoline_kernelINS0_14default_configENS1_36segmented_radix_sort_config_selectorIhlEEZNS1_25segmented_radix_sort_implIS3_Lb1EPKhPhPKlPlN2at6native12_GLOBAL__N_18offset_tEEE10hipError_tPvRmT1_PNSt15iterator_traitsISK_E10value_typeET2_T3_PNSL_ISQ_E10value_typeET4_jRbjT5_SW_jjP12ihipStream_tbEUlT_E1_NS1_11comp_targetILNS1_3genE9ELNS1_11target_archE1100ELNS1_3gpuE3ELNS1_3repE0EEENS1_59segmented_radix_sort_warp_sort_small_config_static_selectorELNS0_4arch9wavefront6targetE0EEEvSK_.has_indirect_call, 0
	.section	.AMDGPU.csdata,"",@progbits
; Kernel info:
; codeLenInByte = 0
; TotalNumSgprs: 0
; NumVgprs: 0
; ScratchSize: 0
; MemoryBound: 0
; FloatMode: 240
; IeeeMode: 1
; LDSByteSize: 0 bytes/workgroup (compile time only)
; SGPRBlocks: 0
; VGPRBlocks: 0
; NumSGPRsForWavesPerEU: 1
; NumVGPRsForWavesPerEU: 1
; Occupancy: 16
; WaveLimiterHint : 0
; COMPUTE_PGM_RSRC2:SCRATCH_EN: 0
; COMPUTE_PGM_RSRC2:USER_SGPR: 6
; COMPUTE_PGM_RSRC2:TRAP_HANDLER: 0
; COMPUTE_PGM_RSRC2:TGID_X_EN: 1
; COMPUTE_PGM_RSRC2:TGID_Y_EN: 0
; COMPUTE_PGM_RSRC2:TGID_Z_EN: 0
; COMPUTE_PGM_RSRC2:TIDIG_COMP_CNT: 0
	.section	.text._ZN7rocprim17ROCPRIM_400000_NS6detail17trampoline_kernelINS0_14default_configENS1_36segmented_radix_sort_config_selectorIhlEEZNS1_25segmented_radix_sort_implIS3_Lb1EPKhPhPKlPlN2at6native12_GLOBAL__N_18offset_tEEE10hipError_tPvRmT1_PNSt15iterator_traitsISK_E10value_typeET2_T3_PNSL_ISQ_E10value_typeET4_jRbjT5_SW_jjP12ihipStream_tbEUlT_E1_NS1_11comp_targetILNS1_3genE8ELNS1_11target_archE1030ELNS1_3gpuE2ELNS1_3repE0EEENS1_59segmented_radix_sort_warp_sort_small_config_static_selectorELNS0_4arch9wavefront6targetE0EEEvSK_,"axG",@progbits,_ZN7rocprim17ROCPRIM_400000_NS6detail17trampoline_kernelINS0_14default_configENS1_36segmented_radix_sort_config_selectorIhlEEZNS1_25segmented_radix_sort_implIS3_Lb1EPKhPhPKlPlN2at6native12_GLOBAL__N_18offset_tEEE10hipError_tPvRmT1_PNSt15iterator_traitsISK_E10value_typeET2_T3_PNSL_ISQ_E10value_typeET4_jRbjT5_SW_jjP12ihipStream_tbEUlT_E1_NS1_11comp_targetILNS1_3genE8ELNS1_11target_archE1030ELNS1_3gpuE2ELNS1_3repE0EEENS1_59segmented_radix_sort_warp_sort_small_config_static_selectorELNS0_4arch9wavefront6targetE0EEEvSK_,comdat
	.globl	_ZN7rocprim17ROCPRIM_400000_NS6detail17trampoline_kernelINS0_14default_configENS1_36segmented_radix_sort_config_selectorIhlEEZNS1_25segmented_radix_sort_implIS3_Lb1EPKhPhPKlPlN2at6native12_GLOBAL__N_18offset_tEEE10hipError_tPvRmT1_PNSt15iterator_traitsISK_E10value_typeET2_T3_PNSL_ISQ_E10value_typeET4_jRbjT5_SW_jjP12ihipStream_tbEUlT_E1_NS1_11comp_targetILNS1_3genE8ELNS1_11target_archE1030ELNS1_3gpuE2ELNS1_3repE0EEENS1_59segmented_radix_sort_warp_sort_small_config_static_selectorELNS0_4arch9wavefront6targetE0EEEvSK_ ; -- Begin function _ZN7rocprim17ROCPRIM_400000_NS6detail17trampoline_kernelINS0_14default_configENS1_36segmented_radix_sort_config_selectorIhlEEZNS1_25segmented_radix_sort_implIS3_Lb1EPKhPhPKlPlN2at6native12_GLOBAL__N_18offset_tEEE10hipError_tPvRmT1_PNSt15iterator_traitsISK_E10value_typeET2_T3_PNSL_ISQ_E10value_typeET4_jRbjT5_SW_jjP12ihipStream_tbEUlT_E1_NS1_11comp_targetILNS1_3genE8ELNS1_11target_archE1030ELNS1_3gpuE2ELNS1_3repE0EEENS1_59segmented_radix_sort_warp_sort_small_config_static_selectorELNS0_4arch9wavefront6targetE0EEEvSK_
	.p2align	8
	.type	_ZN7rocprim17ROCPRIM_400000_NS6detail17trampoline_kernelINS0_14default_configENS1_36segmented_radix_sort_config_selectorIhlEEZNS1_25segmented_radix_sort_implIS3_Lb1EPKhPhPKlPlN2at6native12_GLOBAL__N_18offset_tEEE10hipError_tPvRmT1_PNSt15iterator_traitsISK_E10value_typeET2_T3_PNSL_ISQ_E10value_typeET4_jRbjT5_SW_jjP12ihipStream_tbEUlT_E1_NS1_11comp_targetILNS1_3genE8ELNS1_11target_archE1030ELNS1_3gpuE2ELNS1_3repE0EEENS1_59segmented_radix_sort_warp_sort_small_config_static_selectorELNS0_4arch9wavefront6targetE0EEEvSK_,@function
_ZN7rocprim17ROCPRIM_400000_NS6detail17trampoline_kernelINS0_14default_configENS1_36segmented_radix_sort_config_selectorIhlEEZNS1_25segmented_radix_sort_implIS3_Lb1EPKhPhPKlPlN2at6native12_GLOBAL__N_18offset_tEEE10hipError_tPvRmT1_PNSt15iterator_traitsISK_E10value_typeET2_T3_PNSL_ISQ_E10value_typeET4_jRbjT5_SW_jjP12ihipStream_tbEUlT_E1_NS1_11comp_targetILNS1_3genE8ELNS1_11target_archE1030ELNS1_3gpuE2ELNS1_3repE0EEENS1_59segmented_radix_sort_warp_sort_small_config_static_selectorELNS0_4arch9wavefront6targetE0EEEvSK_: ; @_ZN7rocprim17ROCPRIM_400000_NS6detail17trampoline_kernelINS0_14default_configENS1_36segmented_radix_sort_config_selectorIhlEEZNS1_25segmented_radix_sort_implIS3_Lb1EPKhPhPKlPlN2at6native12_GLOBAL__N_18offset_tEEE10hipError_tPvRmT1_PNSt15iterator_traitsISK_E10value_typeET2_T3_PNSL_ISQ_E10value_typeET4_jRbjT5_SW_jjP12ihipStream_tbEUlT_E1_NS1_11comp_targetILNS1_3genE8ELNS1_11target_archE1030ELNS1_3gpuE2ELNS1_3repE0EEENS1_59segmented_radix_sort_warp_sort_small_config_static_selectorELNS0_4arch9wavefront6targetE0EEEvSK_
; %bb.0:
	s_add_u32 s0, s0, s8
	s_load_dword s8, s[4:5], 0x64
	s_addc_u32 s1, s1, 0
	s_mov_b32 s32, 0
	s_waitcnt lgkmcnt(0)
	s_lshr_b32 s9, s8, 16
	s_and_b32 s8, s8, 0xffff
	v_mad_u32_u24 v3, v2, s9, v1
	s_load_dword s9, s[4:5], 0x34
	v_mad_u64_u32 v[3:4], null, v3, s8, v[0:1]
	s_mov_b32 s8, exec_lo
	v_lshrrev_b32_e32 v3, 5, v3
	v_lshl_add_u32 v3, s6, 3, v3
	s_waitcnt lgkmcnt(0)
	v_cmpx_gt_u32_e64 s9, v3
	s_cbranch_execz .LBB111_6
; %bb.1:
	s_clause 0x1
	s_load_dwordx2 s[12:13], s[4:5], 0x38
	s_load_dwordx4 s[8:11], s[4:5], 0x40
	v_mov_b32_e32 v4, 0
	v_lshlrev_b64 v[3:4], 2, v[3:4]
	s_waitcnt lgkmcnt(0)
	v_sub_co_u32 v3, vcc_lo, s12, v3
	v_sub_co_ci_u32_e64 v4, null, s13, v4, vcc_lo
	global_load_dword v3, v[3:4], off offset:-4
	s_waitcnt vmcnt(0)
	v_add_nc_u32_e32 v4, s9, v3
	v_add_nc_u32_e32 v3, s11, v3
	v_mul_lo_u32 v40, v4, s8
	v_mul_lo_u32 v41, v3, s10
	v_cmp_gt_u32_e32 vcc_lo, v41, v40
	s_and_b32 exec_lo, exec_lo, vcc_lo
	s_cbranch_execz .LBB111_6
; %bb.2:
	s_clause 0x3
	s_load_dword s8, s[4:5], 0x30
	s_load_dwordx4 s[36:39], s[4:5], 0x20
	s_load_dwordx8 s[20:27], s[4:5], 0x0
	s_load_dwordx2 s[28:29], s[4:5], 0x50
	v_lshlrev_b32_e32 v43, 20, v2
	v_lshlrev_b32_e32 v44, 10, v1
	s_waitcnt lgkmcnt(0)
	s_bitcmp0_b32 s8, 0
	s_mov_b32 s8, -1
	s_cbranch_scc0 .LBB111_4
; %bb.3:
	s_mov_b64 s[10:11], src_shared_base
	v_or3_b32 v31, v0, v44, v43
	v_mov_b32_e32 v42, v0
	v_mov_b32_e32 v0, s20
	;; [unrolled: 1-line block ×15, first 2 shown]
	s_add_u32 s8, s4, 0x58
	s_addc_u32 s9, s5, 0
	s_getpc_b64 s[14:15]
	s_add_u32 s14, s14, _ZN7rocprim17ROCPRIM_400000_NS6detail26segmented_warp_sort_helperINS1_20WarpSortHelperConfigILj32ELj4ELj256EEEhlLi256ELb1EvE4sortIPKhPhPKlPlEEvT_T0_T1_T2_jjjjRNS5_12storage_typeE@rel32@lo+4
	s_addc_u32 s15, s15, _ZN7rocprim17ROCPRIM_400000_NS6detail26segmented_warp_sort_helperINS1_20WarpSortHelperConfigILj32ELj4ELj256EEEhlLi256ELb1EvE4sortIPKhPhPKlPlEEvT_T0_T1_T2_jjjjRNS5_12storage_typeE@rel32@hi+12
	s_mov_b32 s12, s6
	s_mov_b32 s13, s7
	s_mov_b64 s[22:23], s[4:5]
	s_mov_b32 s19, s7
	s_mov_b32 s33, s6
	s_swappc_b64 s[30:31], s[14:15]
	v_mov_b32_e32 v0, v42
	s_mov_b32 s6, s33
	s_mov_b32 s7, s19
	s_mov_b64 s[4:5], s[22:23]
	s_mov_b32 s8, 0
.LBB111_4:
	s_andn2_b32 vcc_lo, exec_lo, s8
	s_cbranch_vccnz .LBB111_6
; %bb.5:
	s_mov_b64 s[10:11], src_shared_base
	v_or3_b32 v31, v0, v44, v43
	v_mov_b32_e32 v0, s20
	v_mov_b32_e32 v1, s21
	v_mov_b32_e32 v2, s24
	v_mov_b32_e32 v3, s25
	v_mov_b32_e32 v4, s26
	v_mov_b32_e32 v5, s27
	v_mov_b32_e32 v6, s38
	v_mov_b32_e32 v7, s39
	v_mov_b32_e32 v8, v40
	v_mov_b32_e32 v9, v41
	v_mov_b32_e32 v10, s28
	v_mov_b32_e32 v11, s29
	v_mov_b32_e32 v12, 0
	v_mov_b32_e32 v13, s11
	s_add_u32 s8, s4, 0x58
	s_addc_u32 s9, s5, 0
	s_getpc_b64 s[4:5]
	s_add_u32 s4, s4, _ZN7rocprim17ROCPRIM_400000_NS6detail26segmented_warp_sort_helperINS1_20WarpSortHelperConfigILj32ELj4ELj256EEEhlLi256ELb1EvE4sortIPKhPhPKlPlEEvT_T0_T1_T2_jjjjRNS5_12storage_typeE@rel32@lo+4
	s_addc_u32 s5, s5, _ZN7rocprim17ROCPRIM_400000_NS6detail26segmented_warp_sort_helperINS1_20WarpSortHelperConfigILj32ELj4ELj256EEEhlLi256ELb1EvE4sortIPKhPhPKlPlEEvT_T0_T1_T2_jjjjRNS5_12storage_typeE@rel32@hi+12
	s_mov_b32 s12, s6
	s_mov_b32 s13, s7
	s_swappc_b64 s[30:31], s[4:5]
.LBB111_6:
	s_endpgm
	.section	.rodata,"a",@progbits
	.p2align	6, 0x0
	.amdhsa_kernel _ZN7rocprim17ROCPRIM_400000_NS6detail17trampoline_kernelINS0_14default_configENS1_36segmented_radix_sort_config_selectorIhlEEZNS1_25segmented_radix_sort_implIS3_Lb1EPKhPhPKlPlN2at6native12_GLOBAL__N_18offset_tEEE10hipError_tPvRmT1_PNSt15iterator_traitsISK_E10value_typeET2_T3_PNSL_ISQ_E10value_typeET4_jRbjT5_SW_jjP12ihipStream_tbEUlT_E1_NS1_11comp_targetILNS1_3genE8ELNS1_11target_archE1030ELNS1_3gpuE2ELNS1_3repE0EEENS1_59segmented_radix_sort_warp_sort_small_config_static_selectorELNS0_4arch9wavefront6targetE0EEEvSK_
		.amdhsa_group_segment_fixed_size 9216
		.amdhsa_private_segment_fixed_size 0
		.amdhsa_kernarg_size 344
		.amdhsa_user_sgpr_count 6
		.amdhsa_user_sgpr_private_segment_buffer 1
		.amdhsa_user_sgpr_dispatch_ptr 0
		.amdhsa_user_sgpr_queue_ptr 0
		.amdhsa_user_sgpr_kernarg_segment_ptr 1
		.amdhsa_user_sgpr_dispatch_id 0
		.amdhsa_user_sgpr_flat_scratch_init 0
		.amdhsa_user_sgpr_private_segment_size 0
		.amdhsa_wavefront_size32 1
		.amdhsa_uses_dynamic_stack 0
		.amdhsa_system_sgpr_private_segment_wavefront_offset 0
		.amdhsa_system_sgpr_workgroup_id_x 1
		.amdhsa_system_sgpr_workgroup_id_y 1
		.amdhsa_system_sgpr_workgroup_id_z 0
		.amdhsa_system_sgpr_workgroup_info 0
		.amdhsa_system_vgpr_workitem_id 2
		.amdhsa_next_free_vgpr 54
		.amdhsa_next_free_sgpr 40
		.amdhsa_reserve_vcc 1
		.amdhsa_reserve_flat_scratch 0
		.amdhsa_float_round_mode_32 0
		.amdhsa_float_round_mode_16_64 0
		.amdhsa_float_denorm_mode_32 3
		.amdhsa_float_denorm_mode_16_64 3
		.amdhsa_dx10_clamp 1
		.amdhsa_ieee_mode 1
		.amdhsa_fp16_overflow 0
		.amdhsa_workgroup_processor_mode 1
		.amdhsa_memory_ordered 1
		.amdhsa_forward_progress 1
		.amdhsa_shared_vgpr_count 0
		.amdhsa_exception_fp_ieee_invalid_op 0
		.amdhsa_exception_fp_denorm_src 0
		.amdhsa_exception_fp_ieee_div_zero 0
		.amdhsa_exception_fp_ieee_overflow 0
		.amdhsa_exception_fp_ieee_underflow 0
		.amdhsa_exception_fp_ieee_inexact 0
		.amdhsa_exception_int_div_zero 0
	.end_amdhsa_kernel
	.section	.text._ZN7rocprim17ROCPRIM_400000_NS6detail17trampoline_kernelINS0_14default_configENS1_36segmented_radix_sort_config_selectorIhlEEZNS1_25segmented_radix_sort_implIS3_Lb1EPKhPhPKlPlN2at6native12_GLOBAL__N_18offset_tEEE10hipError_tPvRmT1_PNSt15iterator_traitsISK_E10value_typeET2_T3_PNSL_ISQ_E10value_typeET4_jRbjT5_SW_jjP12ihipStream_tbEUlT_E1_NS1_11comp_targetILNS1_3genE8ELNS1_11target_archE1030ELNS1_3gpuE2ELNS1_3repE0EEENS1_59segmented_radix_sort_warp_sort_small_config_static_selectorELNS0_4arch9wavefront6targetE0EEEvSK_,"axG",@progbits,_ZN7rocprim17ROCPRIM_400000_NS6detail17trampoline_kernelINS0_14default_configENS1_36segmented_radix_sort_config_selectorIhlEEZNS1_25segmented_radix_sort_implIS3_Lb1EPKhPhPKlPlN2at6native12_GLOBAL__N_18offset_tEEE10hipError_tPvRmT1_PNSt15iterator_traitsISK_E10value_typeET2_T3_PNSL_ISQ_E10value_typeET4_jRbjT5_SW_jjP12ihipStream_tbEUlT_E1_NS1_11comp_targetILNS1_3genE8ELNS1_11target_archE1030ELNS1_3gpuE2ELNS1_3repE0EEENS1_59segmented_radix_sort_warp_sort_small_config_static_selectorELNS0_4arch9wavefront6targetE0EEEvSK_,comdat
.Lfunc_end111:
	.size	_ZN7rocprim17ROCPRIM_400000_NS6detail17trampoline_kernelINS0_14default_configENS1_36segmented_radix_sort_config_selectorIhlEEZNS1_25segmented_radix_sort_implIS3_Lb1EPKhPhPKlPlN2at6native12_GLOBAL__N_18offset_tEEE10hipError_tPvRmT1_PNSt15iterator_traitsISK_E10value_typeET2_T3_PNSL_ISQ_E10value_typeET4_jRbjT5_SW_jjP12ihipStream_tbEUlT_E1_NS1_11comp_targetILNS1_3genE8ELNS1_11target_archE1030ELNS1_3gpuE2ELNS1_3repE0EEENS1_59segmented_radix_sort_warp_sort_small_config_static_selectorELNS0_4arch9wavefront6targetE0EEEvSK_, .Lfunc_end111-_ZN7rocprim17ROCPRIM_400000_NS6detail17trampoline_kernelINS0_14default_configENS1_36segmented_radix_sort_config_selectorIhlEEZNS1_25segmented_radix_sort_implIS3_Lb1EPKhPhPKlPlN2at6native12_GLOBAL__N_18offset_tEEE10hipError_tPvRmT1_PNSt15iterator_traitsISK_E10value_typeET2_T3_PNSL_ISQ_E10value_typeET4_jRbjT5_SW_jjP12ihipStream_tbEUlT_E1_NS1_11comp_targetILNS1_3genE8ELNS1_11target_archE1030ELNS1_3gpuE2ELNS1_3repE0EEENS1_59segmented_radix_sort_warp_sort_small_config_static_selectorELNS0_4arch9wavefront6targetE0EEEvSK_
                                        ; -- End function
	.set _ZN7rocprim17ROCPRIM_400000_NS6detail17trampoline_kernelINS0_14default_configENS1_36segmented_radix_sort_config_selectorIhlEEZNS1_25segmented_radix_sort_implIS3_Lb1EPKhPhPKlPlN2at6native12_GLOBAL__N_18offset_tEEE10hipError_tPvRmT1_PNSt15iterator_traitsISK_E10value_typeET2_T3_PNSL_ISQ_E10value_typeET4_jRbjT5_SW_jjP12ihipStream_tbEUlT_E1_NS1_11comp_targetILNS1_3genE8ELNS1_11target_archE1030ELNS1_3gpuE2ELNS1_3repE0EEENS1_59segmented_radix_sort_warp_sort_small_config_static_selectorELNS0_4arch9wavefront6targetE0EEEvSK_.num_vgpr, max(45, .L_ZN7rocprim17ROCPRIM_400000_NS6detail26segmented_warp_sort_helperINS1_20WarpSortHelperConfigILj32ELj4ELj256EEEhlLi256ELb1EvE4sortIPKhPhPKlPlEEvT_T0_T1_T2_jjjjRNS5_12storage_typeE.num_vgpr)
	.set _ZN7rocprim17ROCPRIM_400000_NS6detail17trampoline_kernelINS0_14default_configENS1_36segmented_radix_sort_config_selectorIhlEEZNS1_25segmented_radix_sort_implIS3_Lb1EPKhPhPKlPlN2at6native12_GLOBAL__N_18offset_tEEE10hipError_tPvRmT1_PNSt15iterator_traitsISK_E10value_typeET2_T3_PNSL_ISQ_E10value_typeET4_jRbjT5_SW_jjP12ihipStream_tbEUlT_E1_NS1_11comp_targetILNS1_3genE8ELNS1_11target_archE1030ELNS1_3gpuE2ELNS1_3repE0EEENS1_59segmented_radix_sort_warp_sort_small_config_static_selectorELNS0_4arch9wavefront6targetE0EEEvSK_.num_agpr, max(0, .L_ZN7rocprim17ROCPRIM_400000_NS6detail26segmented_warp_sort_helperINS1_20WarpSortHelperConfigILj32ELj4ELj256EEEhlLi256ELb1EvE4sortIPKhPhPKlPlEEvT_T0_T1_T2_jjjjRNS5_12storage_typeE.num_agpr)
	.set _ZN7rocprim17ROCPRIM_400000_NS6detail17trampoline_kernelINS0_14default_configENS1_36segmented_radix_sort_config_selectorIhlEEZNS1_25segmented_radix_sort_implIS3_Lb1EPKhPhPKlPlN2at6native12_GLOBAL__N_18offset_tEEE10hipError_tPvRmT1_PNSt15iterator_traitsISK_E10value_typeET2_T3_PNSL_ISQ_E10value_typeET4_jRbjT5_SW_jjP12ihipStream_tbEUlT_E1_NS1_11comp_targetILNS1_3genE8ELNS1_11target_archE1030ELNS1_3gpuE2ELNS1_3repE0EEENS1_59segmented_radix_sort_warp_sort_small_config_static_selectorELNS0_4arch9wavefront6targetE0EEEvSK_.numbered_sgpr, max(40, .L_ZN7rocprim17ROCPRIM_400000_NS6detail26segmented_warp_sort_helperINS1_20WarpSortHelperConfigILj32ELj4ELj256EEEhlLi256ELb1EvE4sortIPKhPhPKlPlEEvT_T0_T1_T2_jjjjRNS5_12storage_typeE.numbered_sgpr)
	.set _ZN7rocprim17ROCPRIM_400000_NS6detail17trampoline_kernelINS0_14default_configENS1_36segmented_radix_sort_config_selectorIhlEEZNS1_25segmented_radix_sort_implIS3_Lb1EPKhPhPKlPlN2at6native12_GLOBAL__N_18offset_tEEE10hipError_tPvRmT1_PNSt15iterator_traitsISK_E10value_typeET2_T3_PNSL_ISQ_E10value_typeET4_jRbjT5_SW_jjP12ihipStream_tbEUlT_E1_NS1_11comp_targetILNS1_3genE8ELNS1_11target_archE1030ELNS1_3gpuE2ELNS1_3repE0EEENS1_59segmented_radix_sort_warp_sort_small_config_static_selectorELNS0_4arch9wavefront6targetE0EEEvSK_.num_named_barrier, max(0, .L_ZN7rocprim17ROCPRIM_400000_NS6detail26segmented_warp_sort_helperINS1_20WarpSortHelperConfigILj32ELj4ELj256EEEhlLi256ELb1EvE4sortIPKhPhPKlPlEEvT_T0_T1_T2_jjjjRNS5_12storage_typeE.num_named_barrier)
	.set _ZN7rocprim17ROCPRIM_400000_NS6detail17trampoline_kernelINS0_14default_configENS1_36segmented_radix_sort_config_selectorIhlEEZNS1_25segmented_radix_sort_implIS3_Lb1EPKhPhPKlPlN2at6native12_GLOBAL__N_18offset_tEEE10hipError_tPvRmT1_PNSt15iterator_traitsISK_E10value_typeET2_T3_PNSL_ISQ_E10value_typeET4_jRbjT5_SW_jjP12ihipStream_tbEUlT_E1_NS1_11comp_targetILNS1_3genE8ELNS1_11target_archE1030ELNS1_3gpuE2ELNS1_3repE0EEENS1_59segmented_radix_sort_warp_sort_small_config_static_selectorELNS0_4arch9wavefront6targetE0EEEvSK_.private_seg_size, 0+max(.L_ZN7rocprim17ROCPRIM_400000_NS6detail26segmented_warp_sort_helperINS1_20WarpSortHelperConfigILj32ELj4ELj256EEEhlLi256ELb1EvE4sortIPKhPhPKlPlEEvT_T0_T1_T2_jjjjRNS5_12storage_typeE.private_seg_size)
	.set _ZN7rocprim17ROCPRIM_400000_NS6detail17trampoline_kernelINS0_14default_configENS1_36segmented_radix_sort_config_selectorIhlEEZNS1_25segmented_radix_sort_implIS3_Lb1EPKhPhPKlPlN2at6native12_GLOBAL__N_18offset_tEEE10hipError_tPvRmT1_PNSt15iterator_traitsISK_E10value_typeET2_T3_PNSL_ISQ_E10value_typeET4_jRbjT5_SW_jjP12ihipStream_tbEUlT_E1_NS1_11comp_targetILNS1_3genE8ELNS1_11target_archE1030ELNS1_3gpuE2ELNS1_3repE0EEENS1_59segmented_radix_sort_warp_sort_small_config_static_selectorELNS0_4arch9wavefront6targetE0EEEvSK_.uses_vcc, or(1, .L_ZN7rocprim17ROCPRIM_400000_NS6detail26segmented_warp_sort_helperINS1_20WarpSortHelperConfigILj32ELj4ELj256EEEhlLi256ELb1EvE4sortIPKhPhPKlPlEEvT_T0_T1_T2_jjjjRNS5_12storage_typeE.uses_vcc)
	.set _ZN7rocprim17ROCPRIM_400000_NS6detail17trampoline_kernelINS0_14default_configENS1_36segmented_radix_sort_config_selectorIhlEEZNS1_25segmented_radix_sort_implIS3_Lb1EPKhPhPKlPlN2at6native12_GLOBAL__N_18offset_tEEE10hipError_tPvRmT1_PNSt15iterator_traitsISK_E10value_typeET2_T3_PNSL_ISQ_E10value_typeET4_jRbjT5_SW_jjP12ihipStream_tbEUlT_E1_NS1_11comp_targetILNS1_3genE8ELNS1_11target_archE1030ELNS1_3gpuE2ELNS1_3repE0EEENS1_59segmented_radix_sort_warp_sort_small_config_static_selectorELNS0_4arch9wavefront6targetE0EEEvSK_.uses_flat_scratch, or(0, .L_ZN7rocprim17ROCPRIM_400000_NS6detail26segmented_warp_sort_helperINS1_20WarpSortHelperConfigILj32ELj4ELj256EEEhlLi256ELb1EvE4sortIPKhPhPKlPlEEvT_T0_T1_T2_jjjjRNS5_12storage_typeE.uses_flat_scratch)
	.set _ZN7rocprim17ROCPRIM_400000_NS6detail17trampoline_kernelINS0_14default_configENS1_36segmented_radix_sort_config_selectorIhlEEZNS1_25segmented_radix_sort_implIS3_Lb1EPKhPhPKlPlN2at6native12_GLOBAL__N_18offset_tEEE10hipError_tPvRmT1_PNSt15iterator_traitsISK_E10value_typeET2_T3_PNSL_ISQ_E10value_typeET4_jRbjT5_SW_jjP12ihipStream_tbEUlT_E1_NS1_11comp_targetILNS1_3genE8ELNS1_11target_archE1030ELNS1_3gpuE2ELNS1_3repE0EEENS1_59segmented_radix_sort_warp_sort_small_config_static_selectorELNS0_4arch9wavefront6targetE0EEEvSK_.has_dyn_sized_stack, or(0, .L_ZN7rocprim17ROCPRIM_400000_NS6detail26segmented_warp_sort_helperINS1_20WarpSortHelperConfigILj32ELj4ELj256EEEhlLi256ELb1EvE4sortIPKhPhPKlPlEEvT_T0_T1_T2_jjjjRNS5_12storage_typeE.has_dyn_sized_stack)
	.set _ZN7rocprim17ROCPRIM_400000_NS6detail17trampoline_kernelINS0_14default_configENS1_36segmented_radix_sort_config_selectorIhlEEZNS1_25segmented_radix_sort_implIS3_Lb1EPKhPhPKlPlN2at6native12_GLOBAL__N_18offset_tEEE10hipError_tPvRmT1_PNSt15iterator_traitsISK_E10value_typeET2_T3_PNSL_ISQ_E10value_typeET4_jRbjT5_SW_jjP12ihipStream_tbEUlT_E1_NS1_11comp_targetILNS1_3genE8ELNS1_11target_archE1030ELNS1_3gpuE2ELNS1_3repE0EEENS1_59segmented_radix_sort_warp_sort_small_config_static_selectorELNS0_4arch9wavefront6targetE0EEEvSK_.has_recursion, or(0, .L_ZN7rocprim17ROCPRIM_400000_NS6detail26segmented_warp_sort_helperINS1_20WarpSortHelperConfigILj32ELj4ELj256EEEhlLi256ELb1EvE4sortIPKhPhPKlPlEEvT_T0_T1_T2_jjjjRNS5_12storage_typeE.has_recursion)
	.set _ZN7rocprim17ROCPRIM_400000_NS6detail17trampoline_kernelINS0_14default_configENS1_36segmented_radix_sort_config_selectorIhlEEZNS1_25segmented_radix_sort_implIS3_Lb1EPKhPhPKlPlN2at6native12_GLOBAL__N_18offset_tEEE10hipError_tPvRmT1_PNSt15iterator_traitsISK_E10value_typeET2_T3_PNSL_ISQ_E10value_typeET4_jRbjT5_SW_jjP12ihipStream_tbEUlT_E1_NS1_11comp_targetILNS1_3genE8ELNS1_11target_archE1030ELNS1_3gpuE2ELNS1_3repE0EEENS1_59segmented_radix_sort_warp_sort_small_config_static_selectorELNS0_4arch9wavefront6targetE0EEEvSK_.has_indirect_call, or(0, .L_ZN7rocprim17ROCPRIM_400000_NS6detail26segmented_warp_sort_helperINS1_20WarpSortHelperConfigILj32ELj4ELj256EEEhlLi256ELb1EvE4sortIPKhPhPKlPlEEvT_T0_T1_T2_jjjjRNS5_12storage_typeE.has_indirect_call)
	.section	.AMDGPU.csdata,"",@progbits
; Kernel info:
; codeLenInByte = 524
; TotalNumSgprs: 42
; NumVgprs: 54
; ScratchSize: 0
; MemoryBound: 0
; FloatMode: 240
; IeeeMode: 1
; LDSByteSize: 9216 bytes/workgroup (compile time only)
; SGPRBlocks: 0
; VGPRBlocks: 6
; NumSGPRsForWavesPerEU: 42
; NumVGPRsForWavesPerEU: 54
; Occupancy: 16
; WaveLimiterHint : 0
; COMPUTE_PGM_RSRC2:SCRATCH_EN: 0
; COMPUTE_PGM_RSRC2:USER_SGPR: 6
; COMPUTE_PGM_RSRC2:TRAP_HANDLER: 0
; COMPUTE_PGM_RSRC2:TGID_X_EN: 1
; COMPUTE_PGM_RSRC2:TGID_Y_EN: 1
; COMPUTE_PGM_RSRC2:TGID_Z_EN: 0
; COMPUTE_PGM_RSRC2:TIDIG_COMP_CNT: 2
	.section	.text._ZN7rocprim17ROCPRIM_400000_NS6detail17trampoline_kernelINS0_14default_configENS1_36segmented_radix_sort_config_selectorIhlEEZNS1_25segmented_radix_sort_implIS3_Lb1EPKhPhPKlPlN2at6native12_GLOBAL__N_18offset_tEEE10hipError_tPvRmT1_PNSt15iterator_traitsISK_E10value_typeET2_T3_PNSL_ISQ_E10value_typeET4_jRbjT5_SW_jjP12ihipStream_tbEUlT_E2_NS1_11comp_targetILNS1_3genE0ELNS1_11target_archE4294967295ELNS1_3gpuE0ELNS1_3repE0EEENS1_30default_config_static_selectorELNS0_4arch9wavefront6targetE0EEEvSK_,"axG",@progbits,_ZN7rocprim17ROCPRIM_400000_NS6detail17trampoline_kernelINS0_14default_configENS1_36segmented_radix_sort_config_selectorIhlEEZNS1_25segmented_radix_sort_implIS3_Lb1EPKhPhPKlPlN2at6native12_GLOBAL__N_18offset_tEEE10hipError_tPvRmT1_PNSt15iterator_traitsISK_E10value_typeET2_T3_PNSL_ISQ_E10value_typeET4_jRbjT5_SW_jjP12ihipStream_tbEUlT_E2_NS1_11comp_targetILNS1_3genE0ELNS1_11target_archE4294967295ELNS1_3gpuE0ELNS1_3repE0EEENS1_30default_config_static_selectorELNS0_4arch9wavefront6targetE0EEEvSK_,comdat
	.globl	_ZN7rocprim17ROCPRIM_400000_NS6detail17trampoline_kernelINS0_14default_configENS1_36segmented_radix_sort_config_selectorIhlEEZNS1_25segmented_radix_sort_implIS3_Lb1EPKhPhPKlPlN2at6native12_GLOBAL__N_18offset_tEEE10hipError_tPvRmT1_PNSt15iterator_traitsISK_E10value_typeET2_T3_PNSL_ISQ_E10value_typeET4_jRbjT5_SW_jjP12ihipStream_tbEUlT_E2_NS1_11comp_targetILNS1_3genE0ELNS1_11target_archE4294967295ELNS1_3gpuE0ELNS1_3repE0EEENS1_30default_config_static_selectorELNS0_4arch9wavefront6targetE0EEEvSK_ ; -- Begin function _ZN7rocprim17ROCPRIM_400000_NS6detail17trampoline_kernelINS0_14default_configENS1_36segmented_radix_sort_config_selectorIhlEEZNS1_25segmented_radix_sort_implIS3_Lb1EPKhPhPKlPlN2at6native12_GLOBAL__N_18offset_tEEE10hipError_tPvRmT1_PNSt15iterator_traitsISK_E10value_typeET2_T3_PNSL_ISQ_E10value_typeET4_jRbjT5_SW_jjP12ihipStream_tbEUlT_E2_NS1_11comp_targetILNS1_3genE0ELNS1_11target_archE4294967295ELNS1_3gpuE0ELNS1_3repE0EEENS1_30default_config_static_selectorELNS0_4arch9wavefront6targetE0EEEvSK_
	.p2align	8
	.type	_ZN7rocprim17ROCPRIM_400000_NS6detail17trampoline_kernelINS0_14default_configENS1_36segmented_radix_sort_config_selectorIhlEEZNS1_25segmented_radix_sort_implIS3_Lb1EPKhPhPKlPlN2at6native12_GLOBAL__N_18offset_tEEE10hipError_tPvRmT1_PNSt15iterator_traitsISK_E10value_typeET2_T3_PNSL_ISQ_E10value_typeET4_jRbjT5_SW_jjP12ihipStream_tbEUlT_E2_NS1_11comp_targetILNS1_3genE0ELNS1_11target_archE4294967295ELNS1_3gpuE0ELNS1_3repE0EEENS1_30default_config_static_selectorELNS0_4arch9wavefront6targetE0EEEvSK_,@function
_ZN7rocprim17ROCPRIM_400000_NS6detail17trampoline_kernelINS0_14default_configENS1_36segmented_radix_sort_config_selectorIhlEEZNS1_25segmented_radix_sort_implIS3_Lb1EPKhPhPKlPlN2at6native12_GLOBAL__N_18offset_tEEE10hipError_tPvRmT1_PNSt15iterator_traitsISK_E10value_typeET2_T3_PNSL_ISQ_E10value_typeET4_jRbjT5_SW_jjP12ihipStream_tbEUlT_E2_NS1_11comp_targetILNS1_3genE0ELNS1_11target_archE4294967295ELNS1_3gpuE0ELNS1_3repE0EEENS1_30default_config_static_selectorELNS0_4arch9wavefront6targetE0EEEvSK_: ; @_ZN7rocprim17ROCPRIM_400000_NS6detail17trampoline_kernelINS0_14default_configENS1_36segmented_radix_sort_config_selectorIhlEEZNS1_25segmented_radix_sort_implIS3_Lb1EPKhPhPKlPlN2at6native12_GLOBAL__N_18offset_tEEE10hipError_tPvRmT1_PNSt15iterator_traitsISK_E10value_typeET2_T3_PNSL_ISQ_E10value_typeET4_jRbjT5_SW_jjP12ihipStream_tbEUlT_E2_NS1_11comp_targetILNS1_3genE0ELNS1_11target_archE4294967295ELNS1_3gpuE0ELNS1_3repE0EEENS1_30default_config_static_selectorELNS0_4arch9wavefront6targetE0EEEvSK_
; %bb.0:
	.section	.rodata,"a",@progbits
	.p2align	6, 0x0
	.amdhsa_kernel _ZN7rocprim17ROCPRIM_400000_NS6detail17trampoline_kernelINS0_14default_configENS1_36segmented_radix_sort_config_selectorIhlEEZNS1_25segmented_radix_sort_implIS3_Lb1EPKhPhPKlPlN2at6native12_GLOBAL__N_18offset_tEEE10hipError_tPvRmT1_PNSt15iterator_traitsISK_E10value_typeET2_T3_PNSL_ISQ_E10value_typeET4_jRbjT5_SW_jjP12ihipStream_tbEUlT_E2_NS1_11comp_targetILNS1_3genE0ELNS1_11target_archE4294967295ELNS1_3gpuE0ELNS1_3repE0EEENS1_30default_config_static_selectorELNS0_4arch9wavefront6targetE0EEEvSK_
		.amdhsa_group_segment_fixed_size 0
		.amdhsa_private_segment_fixed_size 0
		.amdhsa_kernarg_size 80
		.amdhsa_user_sgpr_count 6
		.amdhsa_user_sgpr_private_segment_buffer 1
		.amdhsa_user_sgpr_dispatch_ptr 0
		.amdhsa_user_sgpr_queue_ptr 0
		.amdhsa_user_sgpr_kernarg_segment_ptr 1
		.amdhsa_user_sgpr_dispatch_id 0
		.amdhsa_user_sgpr_flat_scratch_init 0
		.amdhsa_user_sgpr_private_segment_size 0
		.amdhsa_wavefront_size32 1
		.amdhsa_uses_dynamic_stack 0
		.amdhsa_system_sgpr_private_segment_wavefront_offset 0
		.amdhsa_system_sgpr_workgroup_id_x 1
		.amdhsa_system_sgpr_workgroup_id_y 0
		.amdhsa_system_sgpr_workgroup_id_z 0
		.amdhsa_system_sgpr_workgroup_info 0
		.amdhsa_system_vgpr_workitem_id 0
		.amdhsa_next_free_vgpr 1
		.amdhsa_next_free_sgpr 1
		.amdhsa_reserve_vcc 0
		.amdhsa_reserve_flat_scratch 0
		.amdhsa_float_round_mode_32 0
		.amdhsa_float_round_mode_16_64 0
		.amdhsa_float_denorm_mode_32 3
		.amdhsa_float_denorm_mode_16_64 3
		.amdhsa_dx10_clamp 1
		.amdhsa_ieee_mode 1
		.amdhsa_fp16_overflow 0
		.amdhsa_workgroup_processor_mode 1
		.amdhsa_memory_ordered 1
		.amdhsa_forward_progress 1
		.amdhsa_shared_vgpr_count 0
		.amdhsa_exception_fp_ieee_invalid_op 0
		.amdhsa_exception_fp_denorm_src 0
		.amdhsa_exception_fp_ieee_div_zero 0
		.amdhsa_exception_fp_ieee_overflow 0
		.amdhsa_exception_fp_ieee_underflow 0
		.amdhsa_exception_fp_ieee_inexact 0
		.amdhsa_exception_int_div_zero 0
	.end_amdhsa_kernel
	.section	.text._ZN7rocprim17ROCPRIM_400000_NS6detail17trampoline_kernelINS0_14default_configENS1_36segmented_radix_sort_config_selectorIhlEEZNS1_25segmented_radix_sort_implIS3_Lb1EPKhPhPKlPlN2at6native12_GLOBAL__N_18offset_tEEE10hipError_tPvRmT1_PNSt15iterator_traitsISK_E10value_typeET2_T3_PNSL_ISQ_E10value_typeET4_jRbjT5_SW_jjP12ihipStream_tbEUlT_E2_NS1_11comp_targetILNS1_3genE0ELNS1_11target_archE4294967295ELNS1_3gpuE0ELNS1_3repE0EEENS1_30default_config_static_selectorELNS0_4arch9wavefront6targetE0EEEvSK_,"axG",@progbits,_ZN7rocprim17ROCPRIM_400000_NS6detail17trampoline_kernelINS0_14default_configENS1_36segmented_radix_sort_config_selectorIhlEEZNS1_25segmented_radix_sort_implIS3_Lb1EPKhPhPKlPlN2at6native12_GLOBAL__N_18offset_tEEE10hipError_tPvRmT1_PNSt15iterator_traitsISK_E10value_typeET2_T3_PNSL_ISQ_E10value_typeET4_jRbjT5_SW_jjP12ihipStream_tbEUlT_E2_NS1_11comp_targetILNS1_3genE0ELNS1_11target_archE4294967295ELNS1_3gpuE0ELNS1_3repE0EEENS1_30default_config_static_selectorELNS0_4arch9wavefront6targetE0EEEvSK_,comdat
.Lfunc_end112:
	.size	_ZN7rocprim17ROCPRIM_400000_NS6detail17trampoline_kernelINS0_14default_configENS1_36segmented_radix_sort_config_selectorIhlEEZNS1_25segmented_radix_sort_implIS3_Lb1EPKhPhPKlPlN2at6native12_GLOBAL__N_18offset_tEEE10hipError_tPvRmT1_PNSt15iterator_traitsISK_E10value_typeET2_T3_PNSL_ISQ_E10value_typeET4_jRbjT5_SW_jjP12ihipStream_tbEUlT_E2_NS1_11comp_targetILNS1_3genE0ELNS1_11target_archE4294967295ELNS1_3gpuE0ELNS1_3repE0EEENS1_30default_config_static_selectorELNS0_4arch9wavefront6targetE0EEEvSK_, .Lfunc_end112-_ZN7rocprim17ROCPRIM_400000_NS6detail17trampoline_kernelINS0_14default_configENS1_36segmented_radix_sort_config_selectorIhlEEZNS1_25segmented_radix_sort_implIS3_Lb1EPKhPhPKlPlN2at6native12_GLOBAL__N_18offset_tEEE10hipError_tPvRmT1_PNSt15iterator_traitsISK_E10value_typeET2_T3_PNSL_ISQ_E10value_typeET4_jRbjT5_SW_jjP12ihipStream_tbEUlT_E2_NS1_11comp_targetILNS1_3genE0ELNS1_11target_archE4294967295ELNS1_3gpuE0ELNS1_3repE0EEENS1_30default_config_static_selectorELNS0_4arch9wavefront6targetE0EEEvSK_
                                        ; -- End function
	.set _ZN7rocprim17ROCPRIM_400000_NS6detail17trampoline_kernelINS0_14default_configENS1_36segmented_radix_sort_config_selectorIhlEEZNS1_25segmented_radix_sort_implIS3_Lb1EPKhPhPKlPlN2at6native12_GLOBAL__N_18offset_tEEE10hipError_tPvRmT1_PNSt15iterator_traitsISK_E10value_typeET2_T3_PNSL_ISQ_E10value_typeET4_jRbjT5_SW_jjP12ihipStream_tbEUlT_E2_NS1_11comp_targetILNS1_3genE0ELNS1_11target_archE4294967295ELNS1_3gpuE0ELNS1_3repE0EEENS1_30default_config_static_selectorELNS0_4arch9wavefront6targetE0EEEvSK_.num_vgpr, 0
	.set _ZN7rocprim17ROCPRIM_400000_NS6detail17trampoline_kernelINS0_14default_configENS1_36segmented_radix_sort_config_selectorIhlEEZNS1_25segmented_radix_sort_implIS3_Lb1EPKhPhPKlPlN2at6native12_GLOBAL__N_18offset_tEEE10hipError_tPvRmT1_PNSt15iterator_traitsISK_E10value_typeET2_T3_PNSL_ISQ_E10value_typeET4_jRbjT5_SW_jjP12ihipStream_tbEUlT_E2_NS1_11comp_targetILNS1_3genE0ELNS1_11target_archE4294967295ELNS1_3gpuE0ELNS1_3repE0EEENS1_30default_config_static_selectorELNS0_4arch9wavefront6targetE0EEEvSK_.num_agpr, 0
	.set _ZN7rocprim17ROCPRIM_400000_NS6detail17trampoline_kernelINS0_14default_configENS1_36segmented_radix_sort_config_selectorIhlEEZNS1_25segmented_radix_sort_implIS3_Lb1EPKhPhPKlPlN2at6native12_GLOBAL__N_18offset_tEEE10hipError_tPvRmT1_PNSt15iterator_traitsISK_E10value_typeET2_T3_PNSL_ISQ_E10value_typeET4_jRbjT5_SW_jjP12ihipStream_tbEUlT_E2_NS1_11comp_targetILNS1_3genE0ELNS1_11target_archE4294967295ELNS1_3gpuE0ELNS1_3repE0EEENS1_30default_config_static_selectorELNS0_4arch9wavefront6targetE0EEEvSK_.numbered_sgpr, 0
	.set _ZN7rocprim17ROCPRIM_400000_NS6detail17trampoline_kernelINS0_14default_configENS1_36segmented_radix_sort_config_selectorIhlEEZNS1_25segmented_radix_sort_implIS3_Lb1EPKhPhPKlPlN2at6native12_GLOBAL__N_18offset_tEEE10hipError_tPvRmT1_PNSt15iterator_traitsISK_E10value_typeET2_T3_PNSL_ISQ_E10value_typeET4_jRbjT5_SW_jjP12ihipStream_tbEUlT_E2_NS1_11comp_targetILNS1_3genE0ELNS1_11target_archE4294967295ELNS1_3gpuE0ELNS1_3repE0EEENS1_30default_config_static_selectorELNS0_4arch9wavefront6targetE0EEEvSK_.num_named_barrier, 0
	.set _ZN7rocprim17ROCPRIM_400000_NS6detail17trampoline_kernelINS0_14default_configENS1_36segmented_radix_sort_config_selectorIhlEEZNS1_25segmented_radix_sort_implIS3_Lb1EPKhPhPKlPlN2at6native12_GLOBAL__N_18offset_tEEE10hipError_tPvRmT1_PNSt15iterator_traitsISK_E10value_typeET2_T3_PNSL_ISQ_E10value_typeET4_jRbjT5_SW_jjP12ihipStream_tbEUlT_E2_NS1_11comp_targetILNS1_3genE0ELNS1_11target_archE4294967295ELNS1_3gpuE0ELNS1_3repE0EEENS1_30default_config_static_selectorELNS0_4arch9wavefront6targetE0EEEvSK_.private_seg_size, 0
	.set _ZN7rocprim17ROCPRIM_400000_NS6detail17trampoline_kernelINS0_14default_configENS1_36segmented_radix_sort_config_selectorIhlEEZNS1_25segmented_radix_sort_implIS3_Lb1EPKhPhPKlPlN2at6native12_GLOBAL__N_18offset_tEEE10hipError_tPvRmT1_PNSt15iterator_traitsISK_E10value_typeET2_T3_PNSL_ISQ_E10value_typeET4_jRbjT5_SW_jjP12ihipStream_tbEUlT_E2_NS1_11comp_targetILNS1_3genE0ELNS1_11target_archE4294967295ELNS1_3gpuE0ELNS1_3repE0EEENS1_30default_config_static_selectorELNS0_4arch9wavefront6targetE0EEEvSK_.uses_vcc, 0
	.set _ZN7rocprim17ROCPRIM_400000_NS6detail17trampoline_kernelINS0_14default_configENS1_36segmented_radix_sort_config_selectorIhlEEZNS1_25segmented_radix_sort_implIS3_Lb1EPKhPhPKlPlN2at6native12_GLOBAL__N_18offset_tEEE10hipError_tPvRmT1_PNSt15iterator_traitsISK_E10value_typeET2_T3_PNSL_ISQ_E10value_typeET4_jRbjT5_SW_jjP12ihipStream_tbEUlT_E2_NS1_11comp_targetILNS1_3genE0ELNS1_11target_archE4294967295ELNS1_3gpuE0ELNS1_3repE0EEENS1_30default_config_static_selectorELNS0_4arch9wavefront6targetE0EEEvSK_.uses_flat_scratch, 0
	.set _ZN7rocprim17ROCPRIM_400000_NS6detail17trampoline_kernelINS0_14default_configENS1_36segmented_radix_sort_config_selectorIhlEEZNS1_25segmented_radix_sort_implIS3_Lb1EPKhPhPKlPlN2at6native12_GLOBAL__N_18offset_tEEE10hipError_tPvRmT1_PNSt15iterator_traitsISK_E10value_typeET2_T3_PNSL_ISQ_E10value_typeET4_jRbjT5_SW_jjP12ihipStream_tbEUlT_E2_NS1_11comp_targetILNS1_3genE0ELNS1_11target_archE4294967295ELNS1_3gpuE0ELNS1_3repE0EEENS1_30default_config_static_selectorELNS0_4arch9wavefront6targetE0EEEvSK_.has_dyn_sized_stack, 0
	.set _ZN7rocprim17ROCPRIM_400000_NS6detail17trampoline_kernelINS0_14default_configENS1_36segmented_radix_sort_config_selectorIhlEEZNS1_25segmented_radix_sort_implIS3_Lb1EPKhPhPKlPlN2at6native12_GLOBAL__N_18offset_tEEE10hipError_tPvRmT1_PNSt15iterator_traitsISK_E10value_typeET2_T3_PNSL_ISQ_E10value_typeET4_jRbjT5_SW_jjP12ihipStream_tbEUlT_E2_NS1_11comp_targetILNS1_3genE0ELNS1_11target_archE4294967295ELNS1_3gpuE0ELNS1_3repE0EEENS1_30default_config_static_selectorELNS0_4arch9wavefront6targetE0EEEvSK_.has_recursion, 0
	.set _ZN7rocprim17ROCPRIM_400000_NS6detail17trampoline_kernelINS0_14default_configENS1_36segmented_radix_sort_config_selectorIhlEEZNS1_25segmented_radix_sort_implIS3_Lb1EPKhPhPKlPlN2at6native12_GLOBAL__N_18offset_tEEE10hipError_tPvRmT1_PNSt15iterator_traitsISK_E10value_typeET2_T3_PNSL_ISQ_E10value_typeET4_jRbjT5_SW_jjP12ihipStream_tbEUlT_E2_NS1_11comp_targetILNS1_3genE0ELNS1_11target_archE4294967295ELNS1_3gpuE0ELNS1_3repE0EEENS1_30default_config_static_selectorELNS0_4arch9wavefront6targetE0EEEvSK_.has_indirect_call, 0
	.section	.AMDGPU.csdata,"",@progbits
; Kernel info:
; codeLenInByte = 0
; TotalNumSgprs: 0
; NumVgprs: 0
; ScratchSize: 0
; MemoryBound: 0
; FloatMode: 240
; IeeeMode: 1
; LDSByteSize: 0 bytes/workgroup (compile time only)
; SGPRBlocks: 0
; VGPRBlocks: 0
; NumSGPRsForWavesPerEU: 1
; NumVGPRsForWavesPerEU: 1
; Occupancy: 16
; WaveLimiterHint : 0
; COMPUTE_PGM_RSRC2:SCRATCH_EN: 0
; COMPUTE_PGM_RSRC2:USER_SGPR: 6
; COMPUTE_PGM_RSRC2:TRAP_HANDLER: 0
; COMPUTE_PGM_RSRC2:TGID_X_EN: 1
; COMPUTE_PGM_RSRC2:TGID_Y_EN: 0
; COMPUTE_PGM_RSRC2:TGID_Z_EN: 0
; COMPUTE_PGM_RSRC2:TIDIG_COMP_CNT: 0
	.section	.text._ZN7rocprim17ROCPRIM_400000_NS6detail17trampoline_kernelINS0_14default_configENS1_36segmented_radix_sort_config_selectorIhlEEZNS1_25segmented_radix_sort_implIS3_Lb1EPKhPhPKlPlN2at6native12_GLOBAL__N_18offset_tEEE10hipError_tPvRmT1_PNSt15iterator_traitsISK_E10value_typeET2_T3_PNSL_ISQ_E10value_typeET4_jRbjT5_SW_jjP12ihipStream_tbEUlT_E2_NS1_11comp_targetILNS1_3genE5ELNS1_11target_archE942ELNS1_3gpuE9ELNS1_3repE0EEENS1_30default_config_static_selectorELNS0_4arch9wavefront6targetE0EEEvSK_,"axG",@progbits,_ZN7rocprim17ROCPRIM_400000_NS6detail17trampoline_kernelINS0_14default_configENS1_36segmented_radix_sort_config_selectorIhlEEZNS1_25segmented_radix_sort_implIS3_Lb1EPKhPhPKlPlN2at6native12_GLOBAL__N_18offset_tEEE10hipError_tPvRmT1_PNSt15iterator_traitsISK_E10value_typeET2_T3_PNSL_ISQ_E10value_typeET4_jRbjT5_SW_jjP12ihipStream_tbEUlT_E2_NS1_11comp_targetILNS1_3genE5ELNS1_11target_archE942ELNS1_3gpuE9ELNS1_3repE0EEENS1_30default_config_static_selectorELNS0_4arch9wavefront6targetE0EEEvSK_,comdat
	.globl	_ZN7rocprim17ROCPRIM_400000_NS6detail17trampoline_kernelINS0_14default_configENS1_36segmented_radix_sort_config_selectorIhlEEZNS1_25segmented_radix_sort_implIS3_Lb1EPKhPhPKlPlN2at6native12_GLOBAL__N_18offset_tEEE10hipError_tPvRmT1_PNSt15iterator_traitsISK_E10value_typeET2_T3_PNSL_ISQ_E10value_typeET4_jRbjT5_SW_jjP12ihipStream_tbEUlT_E2_NS1_11comp_targetILNS1_3genE5ELNS1_11target_archE942ELNS1_3gpuE9ELNS1_3repE0EEENS1_30default_config_static_selectorELNS0_4arch9wavefront6targetE0EEEvSK_ ; -- Begin function _ZN7rocprim17ROCPRIM_400000_NS6detail17trampoline_kernelINS0_14default_configENS1_36segmented_radix_sort_config_selectorIhlEEZNS1_25segmented_radix_sort_implIS3_Lb1EPKhPhPKlPlN2at6native12_GLOBAL__N_18offset_tEEE10hipError_tPvRmT1_PNSt15iterator_traitsISK_E10value_typeET2_T3_PNSL_ISQ_E10value_typeET4_jRbjT5_SW_jjP12ihipStream_tbEUlT_E2_NS1_11comp_targetILNS1_3genE5ELNS1_11target_archE942ELNS1_3gpuE9ELNS1_3repE0EEENS1_30default_config_static_selectorELNS0_4arch9wavefront6targetE0EEEvSK_
	.p2align	8
	.type	_ZN7rocprim17ROCPRIM_400000_NS6detail17trampoline_kernelINS0_14default_configENS1_36segmented_radix_sort_config_selectorIhlEEZNS1_25segmented_radix_sort_implIS3_Lb1EPKhPhPKlPlN2at6native12_GLOBAL__N_18offset_tEEE10hipError_tPvRmT1_PNSt15iterator_traitsISK_E10value_typeET2_T3_PNSL_ISQ_E10value_typeET4_jRbjT5_SW_jjP12ihipStream_tbEUlT_E2_NS1_11comp_targetILNS1_3genE5ELNS1_11target_archE942ELNS1_3gpuE9ELNS1_3repE0EEENS1_30default_config_static_selectorELNS0_4arch9wavefront6targetE0EEEvSK_,@function
_ZN7rocprim17ROCPRIM_400000_NS6detail17trampoline_kernelINS0_14default_configENS1_36segmented_radix_sort_config_selectorIhlEEZNS1_25segmented_radix_sort_implIS3_Lb1EPKhPhPKlPlN2at6native12_GLOBAL__N_18offset_tEEE10hipError_tPvRmT1_PNSt15iterator_traitsISK_E10value_typeET2_T3_PNSL_ISQ_E10value_typeET4_jRbjT5_SW_jjP12ihipStream_tbEUlT_E2_NS1_11comp_targetILNS1_3genE5ELNS1_11target_archE942ELNS1_3gpuE9ELNS1_3repE0EEENS1_30default_config_static_selectorELNS0_4arch9wavefront6targetE0EEEvSK_: ; @_ZN7rocprim17ROCPRIM_400000_NS6detail17trampoline_kernelINS0_14default_configENS1_36segmented_radix_sort_config_selectorIhlEEZNS1_25segmented_radix_sort_implIS3_Lb1EPKhPhPKlPlN2at6native12_GLOBAL__N_18offset_tEEE10hipError_tPvRmT1_PNSt15iterator_traitsISK_E10value_typeET2_T3_PNSL_ISQ_E10value_typeET4_jRbjT5_SW_jjP12ihipStream_tbEUlT_E2_NS1_11comp_targetILNS1_3genE5ELNS1_11target_archE942ELNS1_3gpuE9ELNS1_3repE0EEENS1_30default_config_static_selectorELNS0_4arch9wavefront6targetE0EEEvSK_
; %bb.0:
	.section	.rodata,"a",@progbits
	.p2align	6, 0x0
	.amdhsa_kernel _ZN7rocprim17ROCPRIM_400000_NS6detail17trampoline_kernelINS0_14default_configENS1_36segmented_radix_sort_config_selectorIhlEEZNS1_25segmented_radix_sort_implIS3_Lb1EPKhPhPKlPlN2at6native12_GLOBAL__N_18offset_tEEE10hipError_tPvRmT1_PNSt15iterator_traitsISK_E10value_typeET2_T3_PNSL_ISQ_E10value_typeET4_jRbjT5_SW_jjP12ihipStream_tbEUlT_E2_NS1_11comp_targetILNS1_3genE5ELNS1_11target_archE942ELNS1_3gpuE9ELNS1_3repE0EEENS1_30default_config_static_selectorELNS0_4arch9wavefront6targetE0EEEvSK_
		.amdhsa_group_segment_fixed_size 0
		.amdhsa_private_segment_fixed_size 0
		.amdhsa_kernarg_size 80
		.amdhsa_user_sgpr_count 6
		.amdhsa_user_sgpr_private_segment_buffer 1
		.amdhsa_user_sgpr_dispatch_ptr 0
		.amdhsa_user_sgpr_queue_ptr 0
		.amdhsa_user_sgpr_kernarg_segment_ptr 1
		.amdhsa_user_sgpr_dispatch_id 0
		.amdhsa_user_sgpr_flat_scratch_init 0
		.amdhsa_user_sgpr_private_segment_size 0
		.amdhsa_wavefront_size32 1
		.amdhsa_uses_dynamic_stack 0
		.amdhsa_system_sgpr_private_segment_wavefront_offset 0
		.amdhsa_system_sgpr_workgroup_id_x 1
		.amdhsa_system_sgpr_workgroup_id_y 0
		.amdhsa_system_sgpr_workgroup_id_z 0
		.amdhsa_system_sgpr_workgroup_info 0
		.amdhsa_system_vgpr_workitem_id 0
		.amdhsa_next_free_vgpr 1
		.amdhsa_next_free_sgpr 1
		.amdhsa_reserve_vcc 0
		.amdhsa_reserve_flat_scratch 0
		.amdhsa_float_round_mode_32 0
		.amdhsa_float_round_mode_16_64 0
		.amdhsa_float_denorm_mode_32 3
		.amdhsa_float_denorm_mode_16_64 3
		.amdhsa_dx10_clamp 1
		.amdhsa_ieee_mode 1
		.amdhsa_fp16_overflow 0
		.amdhsa_workgroup_processor_mode 1
		.amdhsa_memory_ordered 1
		.amdhsa_forward_progress 1
		.amdhsa_shared_vgpr_count 0
		.amdhsa_exception_fp_ieee_invalid_op 0
		.amdhsa_exception_fp_denorm_src 0
		.amdhsa_exception_fp_ieee_div_zero 0
		.amdhsa_exception_fp_ieee_overflow 0
		.amdhsa_exception_fp_ieee_underflow 0
		.amdhsa_exception_fp_ieee_inexact 0
		.amdhsa_exception_int_div_zero 0
	.end_amdhsa_kernel
	.section	.text._ZN7rocprim17ROCPRIM_400000_NS6detail17trampoline_kernelINS0_14default_configENS1_36segmented_radix_sort_config_selectorIhlEEZNS1_25segmented_radix_sort_implIS3_Lb1EPKhPhPKlPlN2at6native12_GLOBAL__N_18offset_tEEE10hipError_tPvRmT1_PNSt15iterator_traitsISK_E10value_typeET2_T3_PNSL_ISQ_E10value_typeET4_jRbjT5_SW_jjP12ihipStream_tbEUlT_E2_NS1_11comp_targetILNS1_3genE5ELNS1_11target_archE942ELNS1_3gpuE9ELNS1_3repE0EEENS1_30default_config_static_selectorELNS0_4arch9wavefront6targetE0EEEvSK_,"axG",@progbits,_ZN7rocprim17ROCPRIM_400000_NS6detail17trampoline_kernelINS0_14default_configENS1_36segmented_radix_sort_config_selectorIhlEEZNS1_25segmented_radix_sort_implIS3_Lb1EPKhPhPKlPlN2at6native12_GLOBAL__N_18offset_tEEE10hipError_tPvRmT1_PNSt15iterator_traitsISK_E10value_typeET2_T3_PNSL_ISQ_E10value_typeET4_jRbjT5_SW_jjP12ihipStream_tbEUlT_E2_NS1_11comp_targetILNS1_3genE5ELNS1_11target_archE942ELNS1_3gpuE9ELNS1_3repE0EEENS1_30default_config_static_selectorELNS0_4arch9wavefront6targetE0EEEvSK_,comdat
.Lfunc_end113:
	.size	_ZN7rocprim17ROCPRIM_400000_NS6detail17trampoline_kernelINS0_14default_configENS1_36segmented_radix_sort_config_selectorIhlEEZNS1_25segmented_radix_sort_implIS3_Lb1EPKhPhPKlPlN2at6native12_GLOBAL__N_18offset_tEEE10hipError_tPvRmT1_PNSt15iterator_traitsISK_E10value_typeET2_T3_PNSL_ISQ_E10value_typeET4_jRbjT5_SW_jjP12ihipStream_tbEUlT_E2_NS1_11comp_targetILNS1_3genE5ELNS1_11target_archE942ELNS1_3gpuE9ELNS1_3repE0EEENS1_30default_config_static_selectorELNS0_4arch9wavefront6targetE0EEEvSK_, .Lfunc_end113-_ZN7rocprim17ROCPRIM_400000_NS6detail17trampoline_kernelINS0_14default_configENS1_36segmented_radix_sort_config_selectorIhlEEZNS1_25segmented_radix_sort_implIS3_Lb1EPKhPhPKlPlN2at6native12_GLOBAL__N_18offset_tEEE10hipError_tPvRmT1_PNSt15iterator_traitsISK_E10value_typeET2_T3_PNSL_ISQ_E10value_typeET4_jRbjT5_SW_jjP12ihipStream_tbEUlT_E2_NS1_11comp_targetILNS1_3genE5ELNS1_11target_archE942ELNS1_3gpuE9ELNS1_3repE0EEENS1_30default_config_static_selectorELNS0_4arch9wavefront6targetE0EEEvSK_
                                        ; -- End function
	.set _ZN7rocprim17ROCPRIM_400000_NS6detail17trampoline_kernelINS0_14default_configENS1_36segmented_radix_sort_config_selectorIhlEEZNS1_25segmented_radix_sort_implIS3_Lb1EPKhPhPKlPlN2at6native12_GLOBAL__N_18offset_tEEE10hipError_tPvRmT1_PNSt15iterator_traitsISK_E10value_typeET2_T3_PNSL_ISQ_E10value_typeET4_jRbjT5_SW_jjP12ihipStream_tbEUlT_E2_NS1_11comp_targetILNS1_3genE5ELNS1_11target_archE942ELNS1_3gpuE9ELNS1_3repE0EEENS1_30default_config_static_selectorELNS0_4arch9wavefront6targetE0EEEvSK_.num_vgpr, 0
	.set _ZN7rocprim17ROCPRIM_400000_NS6detail17trampoline_kernelINS0_14default_configENS1_36segmented_radix_sort_config_selectorIhlEEZNS1_25segmented_radix_sort_implIS3_Lb1EPKhPhPKlPlN2at6native12_GLOBAL__N_18offset_tEEE10hipError_tPvRmT1_PNSt15iterator_traitsISK_E10value_typeET2_T3_PNSL_ISQ_E10value_typeET4_jRbjT5_SW_jjP12ihipStream_tbEUlT_E2_NS1_11comp_targetILNS1_3genE5ELNS1_11target_archE942ELNS1_3gpuE9ELNS1_3repE0EEENS1_30default_config_static_selectorELNS0_4arch9wavefront6targetE0EEEvSK_.num_agpr, 0
	.set _ZN7rocprim17ROCPRIM_400000_NS6detail17trampoline_kernelINS0_14default_configENS1_36segmented_radix_sort_config_selectorIhlEEZNS1_25segmented_radix_sort_implIS3_Lb1EPKhPhPKlPlN2at6native12_GLOBAL__N_18offset_tEEE10hipError_tPvRmT1_PNSt15iterator_traitsISK_E10value_typeET2_T3_PNSL_ISQ_E10value_typeET4_jRbjT5_SW_jjP12ihipStream_tbEUlT_E2_NS1_11comp_targetILNS1_3genE5ELNS1_11target_archE942ELNS1_3gpuE9ELNS1_3repE0EEENS1_30default_config_static_selectorELNS0_4arch9wavefront6targetE0EEEvSK_.numbered_sgpr, 0
	.set _ZN7rocprim17ROCPRIM_400000_NS6detail17trampoline_kernelINS0_14default_configENS1_36segmented_radix_sort_config_selectorIhlEEZNS1_25segmented_radix_sort_implIS3_Lb1EPKhPhPKlPlN2at6native12_GLOBAL__N_18offset_tEEE10hipError_tPvRmT1_PNSt15iterator_traitsISK_E10value_typeET2_T3_PNSL_ISQ_E10value_typeET4_jRbjT5_SW_jjP12ihipStream_tbEUlT_E2_NS1_11comp_targetILNS1_3genE5ELNS1_11target_archE942ELNS1_3gpuE9ELNS1_3repE0EEENS1_30default_config_static_selectorELNS0_4arch9wavefront6targetE0EEEvSK_.num_named_barrier, 0
	.set _ZN7rocprim17ROCPRIM_400000_NS6detail17trampoline_kernelINS0_14default_configENS1_36segmented_radix_sort_config_selectorIhlEEZNS1_25segmented_radix_sort_implIS3_Lb1EPKhPhPKlPlN2at6native12_GLOBAL__N_18offset_tEEE10hipError_tPvRmT1_PNSt15iterator_traitsISK_E10value_typeET2_T3_PNSL_ISQ_E10value_typeET4_jRbjT5_SW_jjP12ihipStream_tbEUlT_E2_NS1_11comp_targetILNS1_3genE5ELNS1_11target_archE942ELNS1_3gpuE9ELNS1_3repE0EEENS1_30default_config_static_selectorELNS0_4arch9wavefront6targetE0EEEvSK_.private_seg_size, 0
	.set _ZN7rocprim17ROCPRIM_400000_NS6detail17trampoline_kernelINS0_14default_configENS1_36segmented_radix_sort_config_selectorIhlEEZNS1_25segmented_radix_sort_implIS3_Lb1EPKhPhPKlPlN2at6native12_GLOBAL__N_18offset_tEEE10hipError_tPvRmT1_PNSt15iterator_traitsISK_E10value_typeET2_T3_PNSL_ISQ_E10value_typeET4_jRbjT5_SW_jjP12ihipStream_tbEUlT_E2_NS1_11comp_targetILNS1_3genE5ELNS1_11target_archE942ELNS1_3gpuE9ELNS1_3repE0EEENS1_30default_config_static_selectorELNS0_4arch9wavefront6targetE0EEEvSK_.uses_vcc, 0
	.set _ZN7rocprim17ROCPRIM_400000_NS6detail17trampoline_kernelINS0_14default_configENS1_36segmented_radix_sort_config_selectorIhlEEZNS1_25segmented_radix_sort_implIS3_Lb1EPKhPhPKlPlN2at6native12_GLOBAL__N_18offset_tEEE10hipError_tPvRmT1_PNSt15iterator_traitsISK_E10value_typeET2_T3_PNSL_ISQ_E10value_typeET4_jRbjT5_SW_jjP12ihipStream_tbEUlT_E2_NS1_11comp_targetILNS1_3genE5ELNS1_11target_archE942ELNS1_3gpuE9ELNS1_3repE0EEENS1_30default_config_static_selectorELNS0_4arch9wavefront6targetE0EEEvSK_.uses_flat_scratch, 0
	.set _ZN7rocprim17ROCPRIM_400000_NS6detail17trampoline_kernelINS0_14default_configENS1_36segmented_radix_sort_config_selectorIhlEEZNS1_25segmented_radix_sort_implIS3_Lb1EPKhPhPKlPlN2at6native12_GLOBAL__N_18offset_tEEE10hipError_tPvRmT1_PNSt15iterator_traitsISK_E10value_typeET2_T3_PNSL_ISQ_E10value_typeET4_jRbjT5_SW_jjP12ihipStream_tbEUlT_E2_NS1_11comp_targetILNS1_3genE5ELNS1_11target_archE942ELNS1_3gpuE9ELNS1_3repE0EEENS1_30default_config_static_selectorELNS0_4arch9wavefront6targetE0EEEvSK_.has_dyn_sized_stack, 0
	.set _ZN7rocprim17ROCPRIM_400000_NS6detail17trampoline_kernelINS0_14default_configENS1_36segmented_radix_sort_config_selectorIhlEEZNS1_25segmented_radix_sort_implIS3_Lb1EPKhPhPKlPlN2at6native12_GLOBAL__N_18offset_tEEE10hipError_tPvRmT1_PNSt15iterator_traitsISK_E10value_typeET2_T3_PNSL_ISQ_E10value_typeET4_jRbjT5_SW_jjP12ihipStream_tbEUlT_E2_NS1_11comp_targetILNS1_3genE5ELNS1_11target_archE942ELNS1_3gpuE9ELNS1_3repE0EEENS1_30default_config_static_selectorELNS0_4arch9wavefront6targetE0EEEvSK_.has_recursion, 0
	.set _ZN7rocprim17ROCPRIM_400000_NS6detail17trampoline_kernelINS0_14default_configENS1_36segmented_radix_sort_config_selectorIhlEEZNS1_25segmented_radix_sort_implIS3_Lb1EPKhPhPKlPlN2at6native12_GLOBAL__N_18offset_tEEE10hipError_tPvRmT1_PNSt15iterator_traitsISK_E10value_typeET2_T3_PNSL_ISQ_E10value_typeET4_jRbjT5_SW_jjP12ihipStream_tbEUlT_E2_NS1_11comp_targetILNS1_3genE5ELNS1_11target_archE942ELNS1_3gpuE9ELNS1_3repE0EEENS1_30default_config_static_selectorELNS0_4arch9wavefront6targetE0EEEvSK_.has_indirect_call, 0
	.section	.AMDGPU.csdata,"",@progbits
; Kernel info:
; codeLenInByte = 0
; TotalNumSgprs: 0
; NumVgprs: 0
; ScratchSize: 0
; MemoryBound: 0
; FloatMode: 240
; IeeeMode: 1
; LDSByteSize: 0 bytes/workgroup (compile time only)
; SGPRBlocks: 0
; VGPRBlocks: 0
; NumSGPRsForWavesPerEU: 1
; NumVGPRsForWavesPerEU: 1
; Occupancy: 16
; WaveLimiterHint : 0
; COMPUTE_PGM_RSRC2:SCRATCH_EN: 0
; COMPUTE_PGM_RSRC2:USER_SGPR: 6
; COMPUTE_PGM_RSRC2:TRAP_HANDLER: 0
; COMPUTE_PGM_RSRC2:TGID_X_EN: 1
; COMPUTE_PGM_RSRC2:TGID_Y_EN: 0
; COMPUTE_PGM_RSRC2:TGID_Z_EN: 0
; COMPUTE_PGM_RSRC2:TIDIG_COMP_CNT: 0
	.section	.text._ZN7rocprim17ROCPRIM_400000_NS6detail17trampoline_kernelINS0_14default_configENS1_36segmented_radix_sort_config_selectorIhlEEZNS1_25segmented_radix_sort_implIS3_Lb1EPKhPhPKlPlN2at6native12_GLOBAL__N_18offset_tEEE10hipError_tPvRmT1_PNSt15iterator_traitsISK_E10value_typeET2_T3_PNSL_ISQ_E10value_typeET4_jRbjT5_SW_jjP12ihipStream_tbEUlT_E2_NS1_11comp_targetILNS1_3genE4ELNS1_11target_archE910ELNS1_3gpuE8ELNS1_3repE0EEENS1_30default_config_static_selectorELNS0_4arch9wavefront6targetE0EEEvSK_,"axG",@progbits,_ZN7rocprim17ROCPRIM_400000_NS6detail17trampoline_kernelINS0_14default_configENS1_36segmented_radix_sort_config_selectorIhlEEZNS1_25segmented_radix_sort_implIS3_Lb1EPKhPhPKlPlN2at6native12_GLOBAL__N_18offset_tEEE10hipError_tPvRmT1_PNSt15iterator_traitsISK_E10value_typeET2_T3_PNSL_ISQ_E10value_typeET4_jRbjT5_SW_jjP12ihipStream_tbEUlT_E2_NS1_11comp_targetILNS1_3genE4ELNS1_11target_archE910ELNS1_3gpuE8ELNS1_3repE0EEENS1_30default_config_static_selectorELNS0_4arch9wavefront6targetE0EEEvSK_,comdat
	.globl	_ZN7rocprim17ROCPRIM_400000_NS6detail17trampoline_kernelINS0_14default_configENS1_36segmented_radix_sort_config_selectorIhlEEZNS1_25segmented_radix_sort_implIS3_Lb1EPKhPhPKlPlN2at6native12_GLOBAL__N_18offset_tEEE10hipError_tPvRmT1_PNSt15iterator_traitsISK_E10value_typeET2_T3_PNSL_ISQ_E10value_typeET4_jRbjT5_SW_jjP12ihipStream_tbEUlT_E2_NS1_11comp_targetILNS1_3genE4ELNS1_11target_archE910ELNS1_3gpuE8ELNS1_3repE0EEENS1_30default_config_static_selectorELNS0_4arch9wavefront6targetE0EEEvSK_ ; -- Begin function _ZN7rocprim17ROCPRIM_400000_NS6detail17trampoline_kernelINS0_14default_configENS1_36segmented_radix_sort_config_selectorIhlEEZNS1_25segmented_radix_sort_implIS3_Lb1EPKhPhPKlPlN2at6native12_GLOBAL__N_18offset_tEEE10hipError_tPvRmT1_PNSt15iterator_traitsISK_E10value_typeET2_T3_PNSL_ISQ_E10value_typeET4_jRbjT5_SW_jjP12ihipStream_tbEUlT_E2_NS1_11comp_targetILNS1_3genE4ELNS1_11target_archE910ELNS1_3gpuE8ELNS1_3repE0EEENS1_30default_config_static_selectorELNS0_4arch9wavefront6targetE0EEEvSK_
	.p2align	8
	.type	_ZN7rocprim17ROCPRIM_400000_NS6detail17trampoline_kernelINS0_14default_configENS1_36segmented_radix_sort_config_selectorIhlEEZNS1_25segmented_radix_sort_implIS3_Lb1EPKhPhPKlPlN2at6native12_GLOBAL__N_18offset_tEEE10hipError_tPvRmT1_PNSt15iterator_traitsISK_E10value_typeET2_T3_PNSL_ISQ_E10value_typeET4_jRbjT5_SW_jjP12ihipStream_tbEUlT_E2_NS1_11comp_targetILNS1_3genE4ELNS1_11target_archE910ELNS1_3gpuE8ELNS1_3repE0EEENS1_30default_config_static_selectorELNS0_4arch9wavefront6targetE0EEEvSK_,@function
_ZN7rocprim17ROCPRIM_400000_NS6detail17trampoline_kernelINS0_14default_configENS1_36segmented_radix_sort_config_selectorIhlEEZNS1_25segmented_radix_sort_implIS3_Lb1EPKhPhPKlPlN2at6native12_GLOBAL__N_18offset_tEEE10hipError_tPvRmT1_PNSt15iterator_traitsISK_E10value_typeET2_T3_PNSL_ISQ_E10value_typeET4_jRbjT5_SW_jjP12ihipStream_tbEUlT_E2_NS1_11comp_targetILNS1_3genE4ELNS1_11target_archE910ELNS1_3gpuE8ELNS1_3repE0EEENS1_30default_config_static_selectorELNS0_4arch9wavefront6targetE0EEEvSK_: ; @_ZN7rocprim17ROCPRIM_400000_NS6detail17trampoline_kernelINS0_14default_configENS1_36segmented_radix_sort_config_selectorIhlEEZNS1_25segmented_radix_sort_implIS3_Lb1EPKhPhPKlPlN2at6native12_GLOBAL__N_18offset_tEEE10hipError_tPvRmT1_PNSt15iterator_traitsISK_E10value_typeET2_T3_PNSL_ISQ_E10value_typeET4_jRbjT5_SW_jjP12ihipStream_tbEUlT_E2_NS1_11comp_targetILNS1_3genE4ELNS1_11target_archE910ELNS1_3gpuE8ELNS1_3repE0EEENS1_30default_config_static_selectorELNS0_4arch9wavefront6targetE0EEEvSK_
; %bb.0:
	.section	.rodata,"a",@progbits
	.p2align	6, 0x0
	.amdhsa_kernel _ZN7rocprim17ROCPRIM_400000_NS6detail17trampoline_kernelINS0_14default_configENS1_36segmented_radix_sort_config_selectorIhlEEZNS1_25segmented_radix_sort_implIS3_Lb1EPKhPhPKlPlN2at6native12_GLOBAL__N_18offset_tEEE10hipError_tPvRmT1_PNSt15iterator_traitsISK_E10value_typeET2_T3_PNSL_ISQ_E10value_typeET4_jRbjT5_SW_jjP12ihipStream_tbEUlT_E2_NS1_11comp_targetILNS1_3genE4ELNS1_11target_archE910ELNS1_3gpuE8ELNS1_3repE0EEENS1_30default_config_static_selectorELNS0_4arch9wavefront6targetE0EEEvSK_
		.amdhsa_group_segment_fixed_size 0
		.amdhsa_private_segment_fixed_size 0
		.amdhsa_kernarg_size 80
		.amdhsa_user_sgpr_count 6
		.amdhsa_user_sgpr_private_segment_buffer 1
		.amdhsa_user_sgpr_dispatch_ptr 0
		.amdhsa_user_sgpr_queue_ptr 0
		.amdhsa_user_sgpr_kernarg_segment_ptr 1
		.amdhsa_user_sgpr_dispatch_id 0
		.amdhsa_user_sgpr_flat_scratch_init 0
		.amdhsa_user_sgpr_private_segment_size 0
		.amdhsa_wavefront_size32 1
		.amdhsa_uses_dynamic_stack 0
		.amdhsa_system_sgpr_private_segment_wavefront_offset 0
		.amdhsa_system_sgpr_workgroup_id_x 1
		.amdhsa_system_sgpr_workgroup_id_y 0
		.amdhsa_system_sgpr_workgroup_id_z 0
		.amdhsa_system_sgpr_workgroup_info 0
		.amdhsa_system_vgpr_workitem_id 0
		.amdhsa_next_free_vgpr 1
		.amdhsa_next_free_sgpr 1
		.amdhsa_reserve_vcc 0
		.amdhsa_reserve_flat_scratch 0
		.amdhsa_float_round_mode_32 0
		.amdhsa_float_round_mode_16_64 0
		.amdhsa_float_denorm_mode_32 3
		.amdhsa_float_denorm_mode_16_64 3
		.amdhsa_dx10_clamp 1
		.amdhsa_ieee_mode 1
		.amdhsa_fp16_overflow 0
		.amdhsa_workgroup_processor_mode 1
		.amdhsa_memory_ordered 1
		.amdhsa_forward_progress 1
		.amdhsa_shared_vgpr_count 0
		.amdhsa_exception_fp_ieee_invalid_op 0
		.amdhsa_exception_fp_denorm_src 0
		.amdhsa_exception_fp_ieee_div_zero 0
		.amdhsa_exception_fp_ieee_overflow 0
		.amdhsa_exception_fp_ieee_underflow 0
		.amdhsa_exception_fp_ieee_inexact 0
		.amdhsa_exception_int_div_zero 0
	.end_amdhsa_kernel
	.section	.text._ZN7rocprim17ROCPRIM_400000_NS6detail17trampoline_kernelINS0_14default_configENS1_36segmented_radix_sort_config_selectorIhlEEZNS1_25segmented_radix_sort_implIS3_Lb1EPKhPhPKlPlN2at6native12_GLOBAL__N_18offset_tEEE10hipError_tPvRmT1_PNSt15iterator_traitsISK_E10value_typeET2_T3_PNSL_ISQ_E10value_typeET4_jRbjT5_SW_jjP12ihipStream_tbEUlT_E2_NS1_11comp_targetILNS1_3genE4ELNS1_11target_archE910ELNS1_3gpuE8ELNS1_3repE0EEENS1_30default_config_static_selectorELNS0_4arch9wavefront6targetE0EEEvSK_,"axG",@progbits,_ZN7rocprim17ROCPRIM_400000_NS6detail17trampoline_kernelINS0_14default_configENS1_36segmented_radix_sort_config_selectorIhlEEZNS1_25segmented_radix_sort_implIS3_Lb1EPKhPhPKlPlN2at6native12_GLOBAL__N_18offset_tEEE10hipError_tPvRmT1_PNSt15iterator_traitsISK_E10value_typeET2_T3_PNSL_ISQ_E10value_typeET4_jRbjT5_SW_jjP12ihipStream_tbEUlT_E2_NS1_11comp_targetILNS1_3genE4ELNS1_11target_archE910ELNS1_3gpuE8ELNS1_3repE0EEENS1_30default_config_static_selectorELNS0_4arch9wavefront6targetE0EEEvSK_,comdat
.Lfunc_end114:
	.size	_ZN7rocprim17ROCPRIM_400000_NS6detail17trampoline_kernelINS0_14default_configENS1_36segmented_radix_sort_config_selectorIhlEEZNS1_25segmented_radix_sort_implIS3_Lb1EPKhPhPKlPlN2at6native12_GLOBAL__N_18offset_tEEE10hipError_tPvRmT1_PNSt15iterator_traitsISK_E10value_typeET2_T3_PNSL_ISQ_E10value_typeET4_jRbjT5_SW_jjP12ihipStream_tbEUlT_E2_NS1_11comp_targetILNS1_3genE4ELNS1_11target_archE910ELNS1_3gpuE8ELNS1_3repE0EEENS1_30default_config_static_selectorELNS0_4arch9wavefront6targetE0EEEvSK_, .Lfunc_end114-_ZN7rocprim17ROCPRIM_400000_NS6detail17trampoline_kernelINS0_14default_configENS1_36segmented_radix_sort_config_selectorIhlEEZNS1_25segmented_radix_sort_implIS3_Lb1EPKhPhPKlPlN2at6native12_GLOBAL__N_18offset_tEEE10hipError_tPvRmT1_PNSt15iterator_traitsISK_E10value_typeET2_T3_PNSL_ISQ_E10value_typeET4_jRbjT5_SW_jjP12ihipStream_tbEUlT_E2_NS1_11comp_targetILNS1_3genE4ELNS1_11target_archE910ELNS1_3gpuE8ELNS1_3repE0EEENS1_30default_config_static_selectorELNS0_4arch9wavefront6targetE0EEEvSK_
                                        ; -- End function
	.set _ZN7rocprim17ROCPRIM_400000_NS6detail17trampoline_kernelINS0_14default_configENS1_36segmented_radix_sort_config_selectorIhlEEZNS1_25segmented_radix_sort_implIS3_Lb1EPKhPhPKlPlN2at6native12_GLOBAL__N_18offset_tEEE10hipError_tPvRmT1_PNSt15iterator_traitsISK_E10value_typeET2_T3_PNSL_ISQ_E10value_typeET4_jRbjT5_SW_jjP12ihipStream_tbEUlT_E2_NS1_11comp_targetILNS1_3genE4ELNS1_11target_archE910ELNS1_3gpuE8ELNS1_3repE0EEENS1_30default_config_static_selectorELNS0_4arch9wavefront6targetE0EEEvSK_.num_vgpr, 0
	.set _ZN7rocprim17ROCPRIM_400000_NS6detail17trampoline_kernelINS0_14default_configENS1_36segmented_radix_sort_config_selectorIhlEEZNS1_25segmented_radix_sort_implIS3_Lb1EPKhPhPKlPlN2at6native12_GLOBAL__N_18offset_tEEE10hipError_tPvRmT1_PNSt15iterator_traitsISK_E10value_typeET2_T3_PNSL_ISQ_E10value_typeET4_jRbjT5_SW_jjP12ihipStream_tbEUlT_E2_NS1_11comp_targetILNS1_3genE4ELNS1_11target_archE910ELNS1_3gpuE8ELNS1_3repE0EEENS1_30default_config_static_selectorELNS0_4arch9wavefront6targetE0EEEvSK_.num_agpr, 0
	.set _ZN7rocprim17ROCPRIM_400000_NS6detail17trampoline_kernelINS0_14default_configENS1_36segmented_radix_sort_config_selectorIhlEEZNS1_25segmented_radix_sort_implIS3_Lb1EPKhPhPKlPlN2at6native12_GLOBAL__N_18offset_tEEE10hipError_tPvRmT1_PNSt15iterator_traitsISK_E10value_typeET2_T3_PNSL_ISQ_E10value_typeET4_jRbjT5_SW_jjP12ihipStream_tbEUlT_E2_NS1_11comp_targetILNS1_3genE4ELNS1_11target_archE910ELNS1_3gpuE8ELNS1_3repE0EEENS1_30default_config_static_selectorELNS0_4arch9wavefront6targetE0EEEvSK_.numbered_sgpr, 0
	.set _ZN7rocprim17ROCPRIM_400000_NS6detail17trampoline_kernelINS0_14default_configENS1_36segmented_radix_sort_config_selectorIhlEEZNS1_25segmented_radix_sort_implIS3_Lb1EPKhPhPKlPlN2at6native12_GLOBAL__N_18offset_tEEE10hipError_tPvRmT1_PNSt15iterator_traitsISK_E10value_typeET2_T3_PNSL_ISQ_E10value_typeET4_jRbjT5_SW_jjP12ihipStream_tbEUlT_E2_NS1_11comp_targetILNS1_3genE4ELNS1_11target_archE910ELNS1_3gpuE8ELNS1_3repE0EEENS1_30default_config_static_selectorELNS0_4arch9wavefront6targetE0EEEvSK_.num_named_barrier, 0
	.set _ZN7rocprim17ROCPRIM_400000_NS6detail17trampoline_kernelINS0_14default_configENS1_36segmented_radix_sort_config_selectorIhlEEZNS1_25segmented_radix_sort_implIS3_Lb1EPKhPhPKlPlN2at6native12_GLOBAL__N_18offset_tEEE10hipError_tPvRmT1_PNSt15iterator_traitsISK_E10value_typeET2_T3_PNSL_ISQ_E10value_typeET4_jRbjT5_SW_jjP12ihipStream_tbEUlT_E2_NS1_11comp_targetILNS1_3genE4ELNS1_11target_archE910ELNS1_3gpuE8ELNS1_3repE0EEENS1_30default_config_static_selectorELNS0_4arch9wavefront6targetE0EEEvSK_.private_seg_size, 0
	.set _ZN7rocprim17ROCPRIM_400000_NS6detail17trampoline_kernelINS0_14default_configENS1_36segmented_radix_sort_config_selectorIhlEEZNS1_25segmented_radix_sort_implIS3_Lb1EPKhPhPKlPlN2at6native12_GLOBAL__N_18offset_tEEE10hipError_tPvRmT1_PNSt15iterator_traitsISK_E10value_typeET2_T3_PNSL_ISQ_E10value_typeET4_jRbjT5_SW_jjP12ihipStream_tbEUlT_E2_NS1_11comp_targetILNS1_3genE4ELNS1_11target_archE910ELNS1_3gpuE8ELNS1_3repE0EEENS1_30default_config_static_selectorELNS0_4arch9wavefront6targetE0EEEvSK_.uses_vcc, 0
	.set _ZN7rocprim17ROCPRIM_400000_NS6detail17trampoline_kernelINS0_14default_configENS1_36segmented_radix_sort_config_selectorIhlEEZNS1_25segmented_radix_sort_implIS3_Lb1EPKhPhPKlPlN2at6native12_GLOBAL__N_18offset_tEEE10hipError_tPvRmT1_PNSt15iterator_traitsISK_E10value_typeET2_T3_PNSL_ISQ_E10value_typeET4_jRbjT5_SW_jjP12ihipStream_tbEUlT_E2_NS1_11comp_targetILNS1_3genE4ELNS1_11target_archE910ELNS1_3gpuE8ELNS1_3repE0EEENS1_30default_config_static_selectorELNS0_4arch9wavefront6targetE0EEEvSK_.uses_flat_scratch, 0
	.set _ZN7rocprim17ROCPRIM_400000_NS6detail17trampoline_kernelINS0_14default_configENS1_36segmented_radix_sort_config_selectorIhlEEZNS1_25segmented_radix_sort_implIS3_Lb1EPKhPhPKlPlN2at6native12_GLOBAL__N_18offset_tEEE10hipError_tPvRmT1_PNSt15iterator_traitsISK_E10value_typeET2_T3_PNSL_ISQ_E10value_typeET4_jRbjT5_SW_jjP12ihipStream_tbEUlT_E2_NS1_11comp_targetILNS1_3genE4ELNS1_11target_archE910ELNS1_3gpuE8ELNS1_3repE0EEENS1_30default_config_static_selectorELNS0_4arch9wavefront6targetE0EEEvSK_.has_dyn_sized_stack, 0
	.set _ZN7rocprim17ROCPRIM_400000_NS6detail17trampoline_kernelINS0_14default_configENS1_36segmented_radix_sort_config_selectorIhlEEZNS1_25segmented_radix_sort_implIS3_Lb1EPKhPhPKlPlN2at6native12_GLOBAL__N_18offset_tEEE10hipError_tPvRmT1_PNSt15iterator_traitsISK_E10value_typeET2_T3_PNSL_ISQ_E10value_typeET4_jRbjT5_SW_jjP12ihipStream_tbEUlT_E2_NS1_11comp_targetILNS1_3genE4ELNS1_11target_archE910ELNS1_3gpuE8ELNS1_3repE0EEENS1_30default_config_static_selectorELNS0_4arch9wavefront6targetE0EEEvSK_.has_recursion, 0
	.set _ZN7rocprim17ROCPRIM_400000_NS6detail17trampoline_kernelINS0_14default_configENS1_36segmented_radix_sort_config_selectorIhlEEZNS1_25segmented_radix_sort_implIS3_Lb1EPKhPhPKlPlN2at6native12_GLOBAL__N_18offset_tEEE10hipError_tPvRmT1_PNSt15iterator_traitsISK_E10value_typeET2_T3_PNSL_ISQ_E10value_typeET4_jRbjT5_SW_jjP12ihipStream_tbEUlT_E2_NS1_11comp_targetILNS1_3genE4ELNS1_11target_archE910ELNS1_3gpuE8ELNS1_3repE0EEENS1_30default_config_static_selectorELNS0_4arch9wavefront6targetE0EEEvSK_.has_indirect_call, 0
	.section	.AMDGPU.csdata,"",@progbits
; Kernel info:
; codeLenInByte = 0
; TotalNumSgprs: 0
; NumVgprs: 0
; ScratchSize: 0
; MemoryBound: 0
; FloatMode: 240
; IeeeMode: 1
; LDSByteSize: 0 bytes/workgroup (compile time only)
; SGPRBlocks: 0
; VGPRBlocks: 0
; NumSGPRsForWavesPerEU: 1
; NumVGPRsForWavesPerEU: 1
; Occupancy: 16
; WaveLimiterHint : 0
; COMPUTE_PGM_RSRC2:SCRATCH_EN: 0
; COMPUTE_PGM_RSRC2:USER_SGPR: 6
; COMPUTE_PGM_RSRC2:TRAP_HANDLER: 0
; COMPUTE_PGM_RSRC2:TGID_X_EN: 1
; COMPUTE_PGM_RSRC2:TGID_Y_EN: 0
; COMPUTE_PGM_RSRC2:TGID_Z_EN: 0
; COMPUTE_PGM_RSRC2:TIDIG_COMP_CNT: 0
	.section	.text._ZN7rocprim17ROCPRIM_400000_NS6detail17trampoline_kernelINS0_14default_configENS1_36segmented_radix_sort_config_selectorIhlEEZNS1_25segmented_radix_sort_implIS3_Lb1EPKhPhPKlPlN2at6native12_GLOBAL__N_18offset_tEEE10hipError_tPvRmT1_PNSt15iterator_traitsISK_E10value_typeET2_T3_PNSL_ISQ_E10value_typeET4_jRbjT5_SW_jjP12ihipStream_tbEUlT_E2_NS1_11comp_targetILNS1_3genE3ELNS1_11target_archE908ELNS1_3gpuE7ELNS1_3repE0EEENS1_30default_config_static_selectorELNS0_4arch9wavefront6targetE0EEEvSK_,"axG",@progbits,_ZN7rocprim17ROCPRIM_400000_NS6detail17trampoline_kernelINS0_14default_configENS1_36segmented_radix_sort_config_selectorIhlEEZNS1_25segmented_radix_sort_implIS3_Lb1EPKhPhPKlPlN2at6native12_GLOBAL__N_18offset_tEEE10hipError_tPvRmT1_PNSt15iterator_traitsISK_E10value_typeET2_T3_PNSL_ISQ_E10value_typeET4_jRbjT5_SW_jjP12ihipStream_tbEUlT_E2_NS1_11comp_targetILNS1_3genE3ELNS1_11target_archE908ELNS1_3gpuE7ELNS1_3repE0EEENS1_30default_config_static_selectorELNS0_4arch9wavefront6targetE0EEEvSK_,comdat
	.globl	_ZN7rocprim17ROCPRIM_400000_NS6detail17trampoline_kernelINS0_14default_configENS1_36segmented_radix_sort_config_selectorIhlEEZNS1_25segmented_radix_sort_implIS3_Lb1EPKhPhPKlPlN2at6native12_GLOBAL__N_18offset_tEEE10hipError_tPvRmT1_PNSt15iterator_traitsISK_E10value_typeET2_T3_PNSL_ISQ_E10value_typeET4_jRbjT5_SW_jjP12ihipStream_tbEUlT_E2_NS1_11comp_targetILNS1_3genE3ELNS1_11target_archE908ELNS1_3gpuE7ELNS1_3repE0EEENS1_30default_config_static_selectorELNS0_4arch9wavefront6targetE0EEEvSK_ ; -- Begin function _ZN7rocprim17ROCPRIM_400000_NS6detail17trampoline_kernelINS0_14default_configENS1_36segmented_radix_sort_config_selectorIhlEEZNS1_25segmented_radix_sort_implIS3_Lb1EPKhPhPKlPlN2at6native12_GLOBAL__N_18offset_tEEE10hipError_tPvRmT1_PNSt15iterator_traitsISK_E10value_typeET2_T3_PNSL_ISQ_E10value_typeET4_jRbjT5_SW_jjP12ihipStream_tbEUlT_E2_NS1_11comp_targetILNS1_3genE3ELNS1_11target_archE908ELNS1_3gpuE7ELNS1_3repE0EEENS1_30default_config_static_selectorELNS0_4arch9wavefront6targetE0EEEvSK_
	.p2align	8
	.type	_ZN7rocprim17ROCPRIM_400000_NS6detail17trampoline_kernelINS0_14default_configENS1_36segmented_radix_sort_config_selectorIhlEEZNS1_25segmented_radix_sort_implIS3_Lb1EPKhPhPKlPlN2at6native12_GLOBAL__N_18offset_tEEE10hipError_tPvRmT1_PNSt15iterator_traitsISK_E10value_typeET2_T3_PNSL_ISQ_E10value_typeET4_jRbjT5_SW_jjP12ihipStream_tbEUlT_E2_NS1_11comp_targetILNS1_3genE3ELNS1_11target_archE908ELNS1_3gpuE7ELNS1_3repE0EEENS1_30default_config_static_selectorELNS0_4arch9wavefront6targetE0EEEvSK_,@function
_ZN7rocprim17ROCPRIM_400000_NS6detail17trampoline_kernelINS0_14default_configENS1_36segmented_radix_sort_config_selectorIhlEEZNS1_25segmented_radix_sort_implIS3_Lb1EPKhPhPKlPlN2at6native12_GLOBAL__N_18offset_tEEE10hipError_tPvRmT1_PNSt15iterator_traitsISK_E10value_typeET2_T3_PNSL_ISQ_E10value_typeET4_jRbjT5_SW_jjP12ihipStream_tbEUlT_E2_NS1_11comp_targetILNS1_3genE3ELNS1_11target_archE908ELNS1_3gpuE7ELNS1_3repE0EEENS1_30default_config_static_selectorELNS0_4arch9wavefront6targetE0EEEvSK_: ; @_ZN7rocprim17ROCPRIM_400000_NS6detail17trampoline_kernelINS0_14default_configENS1_36segmented_radix_sort_config_selectorIhlEEZNS1_25segmented_radix_sort_implIS3_Lb1EPKhPhPKlPlN2at6native12_GLOBAL__N_18offset_tEEE10hipError_tPvRmT1_PNSt15iterator_traitsISK_E10value_typeET2_T3_PNSL_ISQ_E10value_typeET4_jRbjT5_SW_jjP12ihipStream_tbEUlT_E2_NS1_11comp_targetILNS1_3genE3ELNS1_11target_archE908ELNS1_3gpuE7ELNS1_3repE0EEENS1_30default_config_static_selectorELNS0_4arch9wavefront6targetE0EEEvSK_
; %bb.0:
	.section	.rodata,"a",@progbits
	.p2align	6, 0x0
	.amdhsa_kernel _ZN7rocprim17ROCPRIM_400000_NS6detail17trampoline_kernelINS0_14default_configENS1_36segmented_radix_sort_config_selectorIhlEEZNS1_25segmented_radix_sort_implIS3_Lb1EPKhPhPKlPlN2at6native12_GLOBAL__N_18offset_tEEE10hipError_tPvRmT1_PNSt15iterator_traitsISK_E10value_typeET2_T3_PNSL_ISQ_E10value_typeET4_jRbjT5_SW_jjP12ihipStream_tbEUlT_E2_NS1_11comp_targetILNS1_3genE3ELNS1_11target_archE908ELNS1_3gpuE7ELNS1_3repE0EEENS1_30default_config_static_selectorELNS0_4arch9wavefront6targetE0EEEvSK_
		.amdhsa_group_segment_fixed_size 0
		.amdhsa_private_segment_fixed_size 0
		.amdhsa_kernarg_size 80
		.amdhsa_user_sgpr_count 6
		.amdhsa_user_sgpr_private_segment_buffer 1
		.amdhsa_user_sgpr_dispatch_ptr 0
		.amdhsa_user_sgpr_queue_ptr 0
		.amdhsa_user_sgpr_kernarg_segment_ptr 1
		.amdhsa_user_sgpr_dispatch_id 0
		.amdhsa_user_sgpr_flat_scratch_init 0
		.amdhsa_user_sgpr_private_segment_size 0
		.amdhsa_wavefront_size32 1
		.amdhsa_uses_dynamic_stack 0
		.amdhsa_system_sgpr_private_segment_wavefront_offset 0
		.amdhsa_system_sgpr_workgroup_id_x 1
		.amdhsa_system_sgpr_workgroup_id_y 0
		.amdhsa_system_sgpr_workgroup_id_z 0
		.amdhsa_system_sgpr_workgroup_info 0
		.amdhsa_system_vgpr_workitem_id 0
		.amdhsa_next_free_vgpr 1
		.amdhsa_next_free_sgpr 1
		.amdhsa_reserve_vcc 0
		.amdhsa_reserve_flat_scratch 0
		.amdhsa_float_round_mode_32 0
		.amdhsa_float_round_mode_16_64 0
		.amdhsa_float_denorm_mode_32 3
		.amdhsa_float_denorm_mode_16_64 3
		.amdhsa_dx10_clamp 1
		.amdhsa_ieee_mode 1
		.amdhsa_fp16_overflow 0
		.amdhsa_workgroup_processor_mode 1
		.amdhsa_memory_ordered 1
		.amdhsa_forward_progress 1
		.amdhsa_shared_vgpr_count 0
		.amdhsa_exception_fp_ieee_invalid_op 0
		.amdhsa_exception_fp_denorm_src 0
		.amdhsa_exception_fp_ieee_div_zero 0
		.amdhsa_exception_fp_ieee_overflow 0
		.amdhsa_exception_fp_ieee_underflow 0
		.amdhsa_exception_fp_ieee_inexact 0
		.amdhsa_exception_int_div_zero 0
	.end_amdhsa_kernel
	.section	.text._ZN7rocprim17ROCPRIM_400000_NS6detail17trampoline_kernelINS0_14default_configENS1_36segmented_radix_sort_config_selectorIhlEEZNS1_25segmented_radix_sort_implIS3_Lb1EPKhPhPKlPlN2at6native12_GLOBAL__N_18offset_tEEE10hipError_tPvRmT1_PNSt15iterator_traitsISK_E10value_typeET2_T3_PNSL_ISQ_E10value_typeET4_jRbjT5_SW_jjP12ihipStream_tbEUlT_E2_NS1_11comp_targetILNS1_3genE3ELNS1_11target_archE908ELNS1_3gpuE7ELNS1_3repE0EEENS1_30default_config_static_selectorELNS0_4arch9wavefront6targetE0EEEvSK_,"axG",@progbits,_ZN7rocprim17ROCPRIM_400000_NS6detail17trampoline_kernelINS0_14default_configENS1_36segmented_radix_sort_config_selectorIhlEEZNS1_25segmented_radix_sort_implIS3_Lb1EPKhPhPKlPlN2at6native12_GLOBAL__N_18offset_tEEE10hipError_tPvRmT1_PNSt15iterator_traitsISK_E10value_typeET2_T3_PNSL_ISQ_E10value_typeET4_jRbjT5_SW_jjP12ihipStream_tbEUlT_E2_NS1_11comp_targetILNS1_3genE3ELNS1_11target_archE908ELNS1_3gpuE7ELNS1_3repE0EEENS1_30default_config_static_selectorELNS0_4arch9wavefront6targetE0EEEvSK_,comdat
.Lfunc_end115:
	.size	_ZN7rocprim17ROCPRIM_400000_NS6detail17trampoline_kernelINS0_14default_configENS1_36segmented_radix_sort_config_selectorIhlEEZNS1_25segmented_radix_sort_implIS3_Lb1EPKhPhPKlPlN2at6native12_GLOBAL__N_18offset_tEEE10hipError_tPvRmT1_PNSt15iterator_traitsISK_E10value_typeET2_T3_PNSL_ISQ_E10value_typeET4_jRbjT5_SW_jjP12ihipStream_tbEUlT_E2_NS1_11comp_targetILNS1_3genE3ELNS1_11target_archE908ELNS1_3gpuE7ELNS1_3repE0EEENS1_30default_config_static_selectorELNS0_4arch9wavefront6targetE0EEEvSK_, .Lfunc_end115-_ZN7rocprim17ROCPRIM_400000_NS6detail17trampoline_kernelINS0_14default_configENS1_36segmented_radix_sort_config_selectorIhlEEZNS1_25segmented_radix_sort_implIS3_Lb1EPKhPhPKlPlN2at6native12_GLOBAL__N_18offset_tEEE10hipError_tPvRmT1_PNSt15iterator_traitsISK_E10value_typeET2_T3_PNSL_ISQ_E10value_typeET4_jRbjT5_SW_jjP12ihipStream_tbEUlT_E2_NS1_11comp_targetILNS1_3genE3ELNS1_11target_archE908ELNS1_3gpuE7ELNS1_3repE0EEENS1_30default_config_static_selectorELNS0_4arch9wavefront6targetE0EEEvSK_
                                        ; -- End function
	.set _ZN7rocprim17ROCPRIM_400000_NS6detail17trampoline_kernelINS0_14default_configENS1_36segmented_radix_sort_config_selectorIhlEEZNS1_25segmented_radix_sort_implIS3_Lb1EPKhPhPKlPlN2at6native12_GLOBAL__N_18offset_tEEE10hipError_tPvRmT1_PNSt15iterator_traitsISK_E10value_typeET2_T3_PNSL_ISQ_E10value_typeET4_jRbjT5_SW_jjP12ihipStream_tbEUlT_E2_NS1_11comp_targetILNS1_3genE3ELNS1_11target_archE908ELNS1_3gpuE7ELNS1_3repE0EEENS1_30default_config_static_selectorELNS0_4arch9wavefront6targetE0EEEvSK_.num_vgpr, 0
	.set _ZN7rocprim17ROCPRIM_400000_NS6detail17trampoline_kernelINS0_14default_configENS1_36segmented_radix_sort_config_selectorIhlEEZNS1_25segmented_radix_sort_implIS3_Lb1EPKhPhPKlPlN2at6native12_GLOBAL__N_18offset_tEEE10hipError_tPvRmT1_PNSt15iterator_traitsISK_E10value_typeET2_T3_PNSL_ISQ_E10value_typeET4_jRbjT5_SW_jjP12ihipStream_tbEUlT_E2_NS1_11comp_targetILNS1_3genE3ELNS1_11target_archE908ELNS1_3gpuE7ELNS1_3repE0EEENS1_30default_config_static_selectorELNS0_4arch9wavefront6targetE0EEEvSK_.num_agpr, 0
	.set _ZN7rocprim17ROCPRIM_400000_NS6detail17trampoline_kernelINS0_14default_configENS1_36segmented_radix_sort_config_selectorIhlEEZNS1_25segmented_radix_sort_implIS3_Lb1EPKhPhPKlPlN2at6native12_GLOBAL__N_18offset_tEEE10hipError_tPvRmT1_PNSt15iterator_traitsISK_E10value_typeET2_T3_PNSL_ISQ_E10value_typeET4_jRbjT5_SW_jjP12ihipStream_tbEUlT_E2_NS1_11comp_targetILNS1_3genE3ELNS1_11target_archE908ELNS1_3gpuE7ELNS1_3repE0EEENS1_30default_config_static_selectorELNS0_4arch9wavefront6targetE0EEEvSK_.numbered_sgpr, 0
	.set _ZN7rocprim17ROCPRIM_400000_NS6detail17trampoline_kernelINS0_14default_configENS1_36segmented_radix_sort_config_selectorIhlEEZNS1_25segmented_radix_sort_implIS3_Lb1EPKhPhPKlPlN2at6native12_GLOBAL__N_18offset_tEEE10hipError_tPvRmT1_PNSt15iterator_traitsISK_E10value_typeET2_T3_PNSL_ISQ_E10value_typeET4_jRbjT5_SW_jjP12ihipStream_tbEUlT_E2_NS1_11comp_targetILNS1_3genE3ELNS1_11target_archE908ELNS1_3gpuE7ELNS1_3repE0EEENS1_30default_config_static_selectorELNS0_4arch9wavefront6targetE0EEEvSK_.num_named_barrier, 0
	.set _ZN7rocprim17ROCPRIM_400000_NS6detail17trampoline_kernelINS0_14default_configENS1_36segmented_radix_sort_config_selectorIhlEEZNS1_25segmented_radix_sort_implIS3_Lb1EPKhPhPKlPlN2at6native12_GLOBAL__N_18offset_tEEE10hipError_tPvRmT1_PNSt15iterator_traitsISK_E10value_typeET2_T3_PNSL_ISQ_E10value_typeET4_jRbjT5_SW_jjP12ihipStream_tbEUlT_E2_NS1_11comp_targetILNS1_3genE3ELNS1_11target_archE908ELNS1_3gpuE7ELNS1_3repE0EEENS1_30default_config_static_selectorELNS0_4arch9wavefront6targetE0EEEvSK_.private_seg_size, 0
	.set _ZN7rocprim17ROCPRIM_400000_NS6detail17trampoline_kernelINS0_14default_configENS1_36segmented_radix_sort_config_selectorIhlEEZNS1_25segmented_radix_sort_implIS3_Lb1EPKhPhPKlPlN2at6native12_GLOBAL__N_18offset_tEEE10hipError_tPvRmT1_PNSt15iterator_traitsISK_E10value_typeET2_T3_PNSL_ISQ_E10value_typeET4_jRbjT5_SW_jjP12ihipStream_tbEUlT_E2_NS1_11comp_targetILNS1_3genE3ELNS1_11target_archE908ELNS1_3gpuE7ELNS1_3repE0EEENS1_30default_config_static_selectorELNS0_4arch9wavefront6targetE0EEEvSK_.uses_vcc, 0
	.set _ZN7rocprim17ROCPRIM_400000_NS6detail17trampoline_kernelINS0_14default_configENS1_36segmented_radix_sort_config_selectorIhlEEZNS1_25segmented_radix_sort_implIS3_Lb1EPKhPhPKlPlN2at6native12_GLOBAL__N_18offset_tEEE10hipError_tPvRmT1_PNSt15iterator_traitsISK_E10value_typeET2_T3_PNSL_ISQ_E10value_typeET4_jRbjT5_SW_jjP12ihipStream_tbEUlT_E2_NS1_11comp_targetILNS1_3genE3ELNS1_11target_archE908ELNS1_3gpuE7ELNS1_3repE0EEENS1_30default_config_static_selectorELNS0_4arch9wavefront6targetE0EEEvSK_.uses_flat_scratch, 0
	.set _ZN7rocprim17ROCPRIM_400000_NS6detail17trampoline_kernelINS0_14default_configENS1_36segmented_radix_sort_config_selectorIhlEEZNS1_25segmented_radix_sort_implIS3_Lb1EPKhPhPKlPlN2at6native12_GLOBAL__N_18offset_tEEE10hipError_tPvRmT1_PNSt15iterator_traitsISK_E10value_typeET2_T3_PNSL_ISQ_E10value_typeET4_jRbjT5_SW_jjP12ihipStream_tbEUlT_E2_NS1_11comp_targetILNS1_3genE3ELNS1_11target_archE908ELNS1_3gpuE7ELNS1_3repE0EEENS1_30default_config_static_selectorELNS0_4arch9wavefront6targetE0EEEvSK_.has_dyn_sized_stack, 0
	.set _ZN7rocprim17ROCPRIM_400000_NS6detail17trampoline_kernelINS0_14default_configENS1_36segmented_radix_sort_config_selectorIhlEEZNS1_25segmented_radix_sort_implIS3_Lb1EPKhPhPKlPlN2at6native12_GLOBAL__N_18offset_tEEE10hipError_tPvRmT1_PNSt15iterator_traitsISK_E10value_typeET2_T3_PNSL_ISQ_E10value_typeET4_jRbjT5_SW_jjP12ihipStream_tbEUlT_E2_NS1_11comp_targetILNS1_3genE3ELNS1_11target_archE908ELNS1_3gpuE7ELNS1_3repE0EEENS1_30default_config_static_selectorELNS0_4arch9wavefront6targetE0EEEvSK_.has_recursion, 0
	.set _ZN7rocprim17ROCPRIM_400000_NS6detail17trampoline_kernelINS0_14default_configENS1_36segmented_radix_sort_config_selectorIhlEEZNS1_25segmented_radix_sort_implIS3_Lb1EPKhPhPKlPlN2at6native12_GLOBAL__N_18offset_tEEE10hipError_tPvRmT1_PNSt15iterator_traitsISK_E10value_typeET2_T3_PNSL_ISQ_E10value_typeET4_jRbjT5_SW_jjP12ihipStream_tbEUlT_E2_NS1_11comp_targetILNS1_3genE3ELNS1_11target_archE908ELNS1_3gpuE7ELNS1_3repE0EEENS1_30default_config_static_selectorELNS0_4arch9wavefront6targetE0EEEvSK_.has_indirect_call, 0
	.section	.AMDGPU.csdata,"",@progbits
; Kernel info:
; codeLenInByte = 0
; TotalNumSgprs: 0
; NumVgprs: 0
; ScratchSize: 0
; MemoryBound: 0
; FloatMode: 240
; IeeeMode: 1
; LDSByteSize: 0 bytes/workgroup (compile time only)
; SGPRBlocks: 0
; VGPRBlocks: 0
; NumSGPRsForWavesPerEU: 1
; NumVGPRsForWavesPerEU: 1
; Occupancy: 16
; WaveLimiterHint : 0
; COMPUTE_PGM_RSRC2:SCRATCH_EN: 0
; COMPUTE_PGM_RSRC2:USER_SGPR: 6
; COMPUTE_PGM_RSRC2:TRAP_HANDLER: 0
; COMPUTE_PGM_RSRC2:TGID_X_EN: 1
; COMPUTE_PGM_RSRC2:TGID_Y_EN: 0
; COMPUTE_PGM_RSRC2:TGID_Z_EN: 0
; COMPUTE_PGM_RSRC2:TIDIG_COMP_CNT: 0
	.section	.text._ZN7rocprim17ROCPRIM_400000_NS6detail17trampoline_kernelINS0_14default_configENS1_36segmented_radix_sort_config_selectorIhlEEZNS1_25segmented_radix_sort_implIS3_Lb1EPKhPhPKlPlN2at6native12_GLOBAL__N_18offset_tEEE10hipError_tPvRmT1_PNSt15iterator_traitsISK_E10value_typeET2_T3_PNSL_ISQ_E10value_typeET4_jRbjT5_SW_jjP12ihipStream_tbEUlT_E2_NS1_11comp_targetILNS1_3genE2ELNS1_11target_archE906ELNS1_3gpuE6ELNS1_3repE0EEENS1_30default_config_static_selectorELNS0_4arch9wavefront6targetE0EEEvSK_,"axG",@progbits,_ZN7rocprim17ROCPRIM_400000_NS6detail17trampoline_kernelINS0_14default_configENS1_36segmented_radix_sort_config_selectorIhlEEZNS1_25segmented_radix_sort_implIS3_Lb1EPKhPhPKlPlN2at6native12_GLOBAL__N_18offset_tEEE10hipError_tPvRmT1_PNSt15iterator_traitsISK_E10value_typeET2_T3_PNSL_ISQ_E10value_typeET4_jRbjT5_SW_jjP12ihipStream_tbEUlT_E2_NS1_11comp_targetILNS1_3genE2ELNS1_11target_archE906ELNS1_3gpuE6ELNS1_3repE0EEENS1_30default_config_static_selectorELNS0_4arch9wavefront6targetE0EEEvSK_,comdat
	.globl	_ZN7rocprim17ROCPRIM_400000_NS6detail17trampoline_kernelINS0_14default_configENS1_36segmented_radix_sort_config_selectorIhlEEZNS1_25segmented_radix_sort_implIS3_Lb1EPKhPhPKlPlN2at6native12_GLOBAL__N_18offset_tEEE10hipError_tPvRmT1_PNSt15iterator_traitsISK_E10value_typeET2_T3_PNSL_ISQ_E10value_typeET4_jRbjT5_SW_jjP12ihipStream_tbEUlT_E2_NS1_11comp_targetILNS1_3genE2ELNS1_11target_archE906ELNS1_3gpuE6ELNS1_3repE0EEENS1_30default_config_static_selectorELNS0_4arch9wavefront6targetE0EEEvSK_ ; -- Begin function _ZN7rocprim17ROCPRIM_400000_NS6detail17trampoline_kernelINS0_14default_configENS1_36segmented_radix_sort_config_selectorIhlEEZNS1_25segmented_radix_sort_implIS3_Lb1EPKhPhPKlPlN2at6native12_GLOBAL__N_18offset_tEEE10hipError_tPvRmT1_PNSt15iterator_traitsISK_E10value_typeET2_T3_PNSL_ISQ_E10value_typeET4_jRbjT5_SW_jjP12ihipStream_tbEUlT_E2_NS1_11comp_targetILNS1_3genE2ELNS1_11target_archE906ELNS1_3gpuE6ELNS1_3repE0EEENS1_30default_config_static_selectorELNS0_4arch9wavefront6targetE0EEEvSK_
	.p2align	8
	.type	_ZN7rocprim17ROCPRIM_400000_NS6detail17trampoline_kernelINS0_14default_configENS1_36segmented_radix_sort_config_selectorIhlEEZNS1_25segmented_radix_sort_implIS3_Lb1EPKhPhPKlPlN2at6native12_GLOBAL__N_18offset_tEEE10hipError_tPvRmT1_PNSt15iterator_traitsISK_E10value_typeET2_T3_PNSL_ISQ_E10value_typeET4_jRbjT5_SW_jjP12ihipStream_tbEUlT_E2_NS1_11comp_targetILNS1_3genE2ELNS1_11target_archE906ELNS1_3gpuE6ELNS1_3repE0EEENS1_30default_config_static_selectorELNS0_4arch9wavefront6targetE0EEEvSK_,@function
_ZN7rocprim17ROCPRIM_400000_NS6detail17trampoline_kernelINS0_14default_configENS1_36segmented_radix_sort_config_selectorIhlEEZNS1_25segmented_radix_sort_implIS3_Lb1EPKhPhPKlPlN2at6native12_GLOBAL__N_18offset_tEEE10hipError_tPvRmT1_PNSt15iterator_traitsISK_E10value_typeET2_T3_PNSL_ISQ_E10value_typeET4_jRbjT5_SW_jjP12ihipStream_tbEUlT_E2_NS1_11comp_targetILNS1_3genE2ELNS1_11target_archE906ELNS1_3gpuE6ELNS1_3repE0EEENS1_30default_config_static_selectorELNS0_4arch9wavefront6targetE0EEEvSK_: ; @_ZN7rocprim17ROCPRIM_400000_NS6detail17trampoline_kernelINS0_14default_configENS1_36segmented_radix_sort_config_selectorIhlEEZNS1_25segmented_radix_sort_implIS3_Lb1EPKhPhPKlPlN2at6native12_GLOBAL__N_18offset_tEEE10hipError_tPvRmT1_PNSt15iterator_traitsISK_E10value_typeET2_T3_PNSL_ISQ_E10value_typeET4_jRbjT5_SW_jjP12ihipStream_tbEUlT_E2_NS1_11comp_targetILNS1_3genE2ELNS1_11target_archE906ELNS1_3gpuE6ELNS1_3repE0EEENS1_30default_config_static_selectorELNS0_4arch9wavefront6targetE0EEEvSK_
; %bb.0:
	.section	.rodata,"a",@progbits
	.p2align	6, 0x0
	.amdhsa_kernel _ZN7rocprim17ROCPRIM_400000_NS6detail17trampoline_kernelINS0_14default_configENS1_36segmented_radix_sort_config_selectorIhlEEZNS1_25segmented_radix_sort_implIS3_Lb1EPKhPhPKlPlN2at6native12_GLOBAL__N_18offset_tEEE10hipError_tPvRmT1_PNSt15iterator_traitsISK_E10value_typeET2_T3_PNSL_ISQ_E10value_typeET4_jRbjT5_SW_jjP12ihipStream_tbEUlT_E2_NS1_11comp_targetILNS1_3genE2ELNS1_11target_archE906ELNS1_3gpuE6ELNS1_3repE0EEENS1_30default_config_static_selectorELNS0_4arch9wavefront6targetE0EEEvSK_
		.amdhsa_group_segment_fixed_size 0
		.amdhsa_private_segment_fixed_size 0
		.amdhsa_kernarg_size 80
		.amdhsa_user_sgpr_count 6
		.amdhsa_user_sgpr_private_segment_buffer 1
		.amdhsa_user_sgpr_dispatch_ptr 0
		.amdhsa_user_sgpr_queue_ptr 0
		.amdhsa_user_sgpr_kernarg_segment_ptr 1
		.amdhsa_user_sgpr_dispatch_id 0
		.amdhsa_user_sgpr_flat_scratch_init 0
		.amdhsa_user_sgpr_private_segment_size 0
		.amdhsa_wavefront_size32 1
		.amdhsa_uses_dynamic_stack 0
		.amdhsa_system_sgpr_private_segment_wavefront_offset 0
		.amdhsa_system_sgpr_workgroup_id_x 1
		.amdhsa_system_sgpr_workgroup_id_y 0
		.amdhsa_system_sgpr_workgroup_id_z 0
		.amdhsa_system_sgpr_workgroup_info 0
		.amdhsa_system_vgpr_workitem_id 0
		.amdhsa_next_free_vgpr 1
		.amdhsa_next_free_sgpr 1
		.amdhsa_reserve_vcc 0
		.amdhsa_reserve_flat_scratch 0
		.amdhsa_float_round_mode_32 0
		.amdhsa_float_round_mode_16_64 0
		.amdhsa_float_denorm_mode_32 3
		.amdhsa_float_denorm_mode_16_64 3
		.amdhsa_dx10_clamp 1
		.amdhsa_ieee_mode 1
		.amdhsa_fp16_overflow 0
		.amdhsa_workgroup_processor_mode 1
		.amdhsa_memory_ordered 1
		.amdhsa_forward_progress 1
		.amdhsa_shared_vgpr_count 0
		.amdhsa_exception_fp_ieee_invalid_op 0
		.amdhsa_exception_fp_denorm_src 0
		.amdhsa_exception_fp_ieee_div_zero 0
		.amdhsa_exception_fp_ieee_overflow 0
		.amdhsa_exception_fp_ieee_underflow 0
		.amdhsa_exception_fp_ieee_inexact 0
		.amdhsa_exception_int_div_zero 0
	.end_amdhsa_kernel
	.section	.text._ZN7rocprim17ROCPRIM_400000_NS6detail17trampoline_kernelINS0_14default_configENS1_36segmented_radix_sort_config_selectorIhlEEZNS1_25segmented_radix_sort_implIS3_Lb1EPKhPhPKlPlN2at6native12_GLOBAL__N_18offset_tEEE10hipError_tPvRmT1_PNSt15iterator_traitsISK_E10value_typeET2_T3_PNSL_ISQ_E10value_typeET4_jRbjT5_SW_jjP12ihipStream_tbEUlT_E2_NS1_11comp_targetILNS1_3genE2ELNS1_11target_archE906ELNS1_3gpuE6ELNS1_3repE0EEENS1_30default_config_static_selectorELNS0_4arch9wavefront6targetE0EEEvSK_,"axG",@progbits,_ZN7rocprim17ROCPRIM_400000_NS6detail17trampoline_kernelINS0_14default_configENS1_36segmented_radix_sort_config_selectorIhlEEZNS1_25segmented_radix_sort_implIS3_Lb1EPKhPhPKlPlN2at6native12_GLOBAL__N_18offset_tEEE10hipError_tPvRmT1_PNSt15iterator_traitsISK_E10value_typeET2_T3_PNSL_ISQ_E10value_typeET4_jRbjT5_SW_jjP12ihipStream_tbEUlT_E2_NS1_11comp_targetILNS1_3genE2ELNS1_11target_archE906ELNS1_3gpuE6ELNS1_3repE0EEENS1_30default_config_static_selectorELNS0_4arch9wavefront6targetE0EEEvSK_,comdat
.Lfunc_end116:
	.size	_ZN7rocprim17ROCPRIM_400000_NS6detail17trampoline_kernelINS0_14default_configENS1_36segmented_radix_sort_config_selectorIhlEEZNS1_25segmented_radix_sort_implIS3_Lb1EPKhPhPKlPlN2at6native12_GLOBAL__N_18offset_tEEE10hipError_tPvRmT1_PNSt15iterator_traitsISK_E10value_typeET2_T3_PNSL_ISQ_E10value_typeET4_jRbjT5_SW_jjP12ihipStream_tbEUlT_E2_NS1_11comp_targetILNS1_3genE2ELNS1_11target_archE906ELNS1_3gpuE6ELNS1_3repE0EEENS1_30default_config_static_selectorELNS0_4arch9wavefront6targetE0EEEvSK_, .Lfunc_end116-_ZN7rocprim17ROCPRIM_400000_NS6detail17trampoline_kernelINS0_14default_configENS1_36segmented_radix_sort_config_selectorIhlEEZNS1_25segmented_radix_sort_implIS3_Lb1EPKhPhPKlPlN2at6native12_GLOBAL__N_18offset_tEEE10hipError_tPvRmT1_PNSt15iterator_traitsISK_E10value_typeET2_T3_PNSL_ISQ_E10value_typeET4_jRbjT5_SW_jjP12ihipStream_tbEUlT_E2_NS1_11comp_targetILNS1_3genE2ELNS1_11target_archE906ELNS1_3gpuE6ELNS1_3repE0EEENS1_30default_config_static_selectorELNS0_4arch9wavefront6targetE0EEEvSK_
                                        ; -- End function
	.set _ZN7rocprim17ROCPRIM_400000_NS6detail17trampoline_kernelINS0_14default_configENS1_36segmented_radix_sort_config_selectorIhlEEZNS1_25segmented_radix_sort_implIS3_Lb1EPKhPhPKlPlN2at6native12_GLOBAL__N_18offset_tEEE10hipError_tPvRmT1_PNSt15iterator_traitsISK_E10value_typeET2_T3_PNSL_ISQ_E10value_typeET4_jRbjT5_SW_jjP12ihipStream_tbEUlT_E2_NS1_11comp_targetILNS1_3genE2ELNS1_11target_archE906ELNS1_3gpuE6ELNS1_3repE0EEENS1_30default_config_static_selectorELNS0_4arch9wavefront6targetE0EEEvSK_.num_vgpr, 0
	.set _ZN7rocprim17ROCPRIM_400000_NS6detail17trampoline_kernelINS0_14default_configENS1_36segmented_radix_sort_config_selectorIhlEEZNS1_25segmented_radix_sort_implIS3_Lb1EPKhPhPKlPlN2at6native12_GLOBAL__N_18offset_tEEE10hipError_tPvRmT1_PNSt15iterator_traitsISK_E10value_typeET2_T3_PNSL_ISQ_E10value_typeET4_jRbjT5_SW_jjP12ihipStream_tbEUlT_E2_NS1_11comp_targetILNS1_3genE2ELNS1_11target_archE906ELNS1_3gpuE6ELNS1_3repE0EEENS1_30default_config_static_selectorELNS0_4arch9wavefront6targetE0EEEvSK_.num_agpr, 0
	.set _ZN7rocprim17ROCPRIM_400000_NS6detail17trampoline_kernelINS0_14default_configENS1_36segmented_radix_sort_config_selectorIhlEEZNS1_25segmented_radix_sort_implIS3_Lb1EPKhPhPKlPlN2at6native12_GLOBAL__N_18offset_tEEE10hipError_tPvRmT1_PNSt15iterator_traitsISK_E10value_typeET2_T3_PNSL_ISQ_E10value_typeET4_jRbjT5_SW_jjP12ihipStream_tbEUlT_E2_NS1_11comp_targetILNS1_3genE2ELNS1_11target_archE906ELNS1_3gpuE6ELNS1_3repE0EEENS1_30default_config_static_selectorELNS0_4arch9wavefront6targetE0EEEvSK_.numbered_sgpr, 0
	.set _ZN7rocprim17ROCPRIM_400000_NS6detail17trampoline_kernelINS0_14default_configENS1_36segmented_radix_sort_config_selectorIhlEEZNS1_25segmented_radix_sort_implIS3_Lb1EPKhPhPKlPlN2at6native12_GLOBAL__N_18offset_tEEE10hipError_tPvRmT1_PNSt15iterator_traitsISK_E10value_typeET2_T3_PNSL_ISQ_E10value_typeET4_jRbjT5_SW_jjP12ihipStream_tbEUlT_E2_NS1_11comp_targetILNS1_3genE2ELNS1_11target_archE906ELNS1_3gpuE6ELNS1_3repE0EEENS1_30default_config_static_selectorELNS0_4arch9wavefront6targetE0EEEvSK_.num_named_barrier, 0
	.set _ZN7rocprim17ROCPRIM_400000_NS6detail17trampoline_kernelINS0_14default_configENS1_36segmented_radix_sort_config_selectorIhlEEZNS1_25segmented_radix_sort_implIS3_Lb1EPKhPhPKlPlN2at6native12_GLOBAL__N_18offset_tEEE10hipError_tPvRmT1_PNSt15iterator_traitsISK_E10value_typeET2_T3_PNSL_ISQ_E10value_typeET4_jRbjT5_SW_jjP12ihipStream_tbEUlT_E2_NS1_11comp_targetILNS1_3genE2ELNS1_11target_archE906ELNS1_3gpuE6ELNS1_3repE0EEENS1_30default_config_static_selectorELNS0_4arch9wavefront6targetE0EEEvSK_.private_seg_size, 0
	.set _ZN7rocprim17ROCPRIM_400000_NS6detail17trampoline_kernelINS0_14default_configENS1_36segmented_radix_sort_config_selectorIhlEEZNS1_25segmented_radix_sort_implIS3_Lb1EPKhPhPKlPlN2at6native12_GLOBAL__N_18offset_tEEE10hipError_tPvRmT1_PNSt15iterator_traitsISK_E10value_typeET2_T3_PNSL_ISQ_E10value_typeET4_jRbjT5_SW_jjP12ihipStream_tbEUlT_E2_NS1_11comp_targetILNS1_3genE2ELNS1_11target_archE906ELNS1_3gpuE6ELNS1_3repE0EEENS1_30default_config_static_selectorELNS0_4arch9wavefront6targetE0EEEvSK_.uses_vcc, 0
	.set _ZN7rocprim17ROCPRIM_400000_NS6detail17trampoline_kernelINS0_14default_configENS1_36segmented_radix_sort_config_selectorIhlEEZNS1_25segmented_radix_sort_implIS3_Lb1EPKhPhPKlPlN2at6native12_GLOBAL__N_18offset_tEEE10hipError_tPvRmT1_PNSt15iterator_traitsISK_E10value_typeET2_T3_PNSL_ISQ_E10value_typeET4_jRbjT5_SW_jjP12ihipStream_tbEUlT_E2_NS1_11comp_targetILNS1_3genE2ELNS1_11target_archE906ELNS1_3gpuE6ELNS1_3repE0EEENS1_30default_config_static_selectorELNS0_4arch9wavefront6targetE0EEEvSK_.uses_flat_scratch, 0
	.set _ZN7rocprim17ROCPRIM_400000_NS6detail17trampoline_kernelINS0_14default_configENS1_36segmented_radix_sort_config_selectorIhlEEZNS1_25segmented_radix_sort_implIS3_Lb1EPKhPhPKlPlN2at6native12_GLOBAL__N_18offset_tEEE10hipError_tPvRmT1_PNSt15iterator_traitsISK_E10value_typeET2_T3_PNSL_ISQ_E10value_typeET4_jRbjT5_SW_jjP12ihipStream_tbEUlT_E2_NS1_11comp_targetILNS1_3genE2ELNS1_11target_archE906ELNS1_3gpuE6ELNS1_3repE0EEENS1_30default_config_static_selectorELNS0_4arch9wavefront6targetE0EEEvSK_.has_dyn_sized_stack, 0
	.set _ZN7rocprim17ROCPRIM_400000_NS6detail17trampoline_kernelINS0_14default_configENS1_36segmented_radix_sort_config_selectorIhlEEZNS1_25segmented_radix_sort_implIS3_Lb1EPKhPhPKlPlN2at6native12_GLOBAL__N_18offset_tEEE10hipError_tPvRmT1_PNSt15iterator_traitsISK_E10value_typeET2_T3_PNSL_ISQ_E10value_typeET4_jRbjT5_SW_jjP12ihipStream_tbEUlT_E2_NS1_11comp_targetILNS1_3genE2ELNS1_11target_archE906ELNS1_3gpuE6ELNS1_3repE0EEENS1_30default_config_static_selectorELNS0_4arch9wavefront6targetE0EEEvSK_.has_recursion, 0
	.set _ZN7rocprim17ROCPRIM_400000_NS6detail17trampoline_kernelINS0_14default_configENS1_36segmented_radix_sort_config_selectorIhlEEZNS1_25segmented_radix_sort_implIS3_Lb1EPKhPhPKlPlN2at6native12_GLOBAL__N_18offset_tEEE10hipError_tPvRmT1_PNSt15iterator_traitsISK_E10value_typeET2_T3_PNSL_ISQ_E10value_typeET4_jRbjT5_SW_jjP12ihipStream_tbEUlT_E2_NS1_11comp_targetILNS1_3genE2ELNS1_11target_archE906ELNS1_3gpuE6ELNS1_3repE0EEENS1_30default_config_static_selectorELNS0_4arch9wavefront6targetE0EEEvSK_.has_indirect_call, 0
	.section	.AMDGPU.csdata,"",@progbits
; Kernel info:
; codeLenInByte = 0
; TotalNumSgprs: 0
; NumVgprs: 0
; ScratchSize: 0
; MemoryBound: 0
; FloatMode: 240
; IeeeMode: 1
; LDSByteSize: 0 bytes/workgroup (compile time only)
; SGPRBlocks: 0
; VGPRBlocks: 0
; NumSGPRsForWavesPerEU: 1
; NumVGPRsForWavesPerEU: 1
; Occupancy: 16
; WaveLimiterHint : 0
; COMPUTE_PGM_RSRC2:SCRATCH_EN: 0
; COMPUTE_PGM_RSRC2:USER_SGPR: 6
; COMPUTE_PGM_RSRC2:TRAP_HANDLER: 0
; COMPUTE_PGM_RSRC2:TGID_X_EN: 1
; COMPUTE_PGM_RSRC2:TGID_Y_EN: 0
; COMPUTE_PGM_RSRC2:TGID_Z_EN: 0
; COMPUTE_PGM_RSRC2:TIDIG_COMP_CNT: 0
	.section	.text._ZN7rocprim17ROCPRIM_400000_NS6detail17trampoline_kernelINS0_14default_configENS1_36segmented_radix_sort_config_selectorIhlEEZNS1_25segmented_radix_sort_implIS3_Lb1EPKhPhPKlPlN2at6native12_GLOBAL__N_18offset_tEEE10hipError_tPvRmT1_PNSt15iterator_traitsISK_E10value_typeET2_T3_PNSL_ISQ_E10value_typeET4_jRbjT5_SW_jjP12ihipStream_tbEUlT_E2_NS1_11comp_targetILNS1_3genE10ELNS1_11target_archE1201ELNS1_3gpuE5ELNS1_3repE0EEENS1_30default_config_static_selectorELNS0_4arch9wavefront6targetE0EEEvSK_,"axG",@progbits,_ZN7rocprim17ROCPRIM_400000_NS6detail17trampoline_kernelINS0_14default_configENS1_36segmented_radix_sort_config_selectorIhlEEZNS1_25segmented_radix_sort_implIS3_Lb1EPKhPhPKlPlN2at6native12_GLOBAL__N_18offset_tEEE10hipError_tPvRmT1_PNSt15iterator_traitsISK_E10value_typeET2_T3_PNSL_ISQ_E10value_typeET4_jRbjT5_SW_jjP12ihipStream_tbEUlT_E2_NS1_11comp_targetILNS1_3genE10ELNS1_11target_archE1201ELNS1_3gpuE5ELNS1_3repE0EEENS1_30default_config_static_selectorELNS0_4arch9wavefront6targetE0EEEvSK_,comdat
	.globl	_ZN7rocprim17ROCPRIM_400000_NS6detail17trampoline_kernelINS0_14default_configENS1_36segmented_radix_sort_config_selectorIhlEEZNS1_25segmented_radix_sort_implIS3_Lb1EPKhPhPKlPlN2at6native12_GLOBAL__N_18offset_tEEE10hipError_tPvRmT1_PNSt15iterator_traitsISK_E10value_typeET2_T3_PNSL_ISQ_E10value_typeET4_jRbjT5_SW_jjP12ihipStream_tbEUlT_E2_NS1_11comp_targetILNS1_3genE10ELNS1_11target_archE1201ELNS1_3gpuE5ELNS1_3repE0EEENS1_30default_config_static_selectorELNS0_4arch9wavefront6targetE0EEEvSK_ ; -- Begin function _ZN7rocprim17ROCPRIM_400000_NS6detail17trampoline_kernelINS0_14default_configENS1_36segmented_radix_sort_config_selectorIhlEEZNS1_25segmented_radix_sort_implIS3_Lb1EPKhPhPKlPlN2at6native12_GLOBAL__N_18offset_tEEE10hipError_tPvRmT1_PNSt15iterator_traitsISK_E10value_typeET2_T3_PNSL_ISQ_E10value_typeET4_jRbjT5_SW_jjP12ihipStream_tbEUlT_E2_NS1_11comp_targetILNS1_3genE10ELNS1_11target_archE1201ELNS1_3gpuE5ELNS1_3repE0EEENS1_30default_config_static_selectorELNS0_4arch9wavefront6targetE0EEEvSK_
	.p2align	8
	.type	_ZN7rocprim17ROCPRIM_400000_NS6detail17trampoline_kernelINS0_14default_configENS1_36segmented_radix_sort_config_selectorIhlEEZNS1_25segmented_radix_sort_implIS3_Lb1EPKhPhPKlPlN2at6native12_GLOBAL__N_18offset_tEEE10hipError_tPvRmT1_PNSt15iterator_traitsISK_E10value_typeET2_T3_PNSL_ISQ_E10value_typeET4_jRbjT5_SW_jjP12ihipStream_tbEUlT_E2_NS1_11comp_targetILNS1_3genE10ELNS1_11target_archE1201ELNS1_3gpuE5ELNS1_3repE0EEENS1_30default_config_static_selectorELNS0_4arch9wavefront6targetE0EEEvSK_,@function
_ZN7rocprim17ROCPRIM_400000_NS6detail17trampoline_kernelINS0_14default_configENS1_36segmented_radix_sort_config_selectorIhlEEZNS1_25segmented_radix_sort_implIS3_Lb1EPKhPhPKlPlN2at6native12_GLOBAL__N_18offset_tEEE10hipError_tPvRmT1_PNSt15iterator_traitsISK_E10value_typeET2_T3_PNSL_ISQ_E10value_typeET4_jRbjT5_SW_jjP12ihipStream_tbEUlT_E2_NS1_11comp_targetILNS1_3genE10ELNS1_11target_archE1201ELNS1_3gpuE5ELNS1_3repE0EEENS1_30default_config_static_selectorELNS0_4arch9wavefront6targetE0EEEvSK_: ; @_ZN7rocprim17ROCPRIM_400000_NS6detail17trampoline_kernelINS0_14default_configENS1_36segmented_radix_sort_config_selectorIhlEEZNS1_25segmented_radix_sort_implIS3_Lb1EPKhPhPKlPlN2at6native12_GLOBAL__N_18offset_tEEE10hipError_tPvRmT1_PNSt15iterator_traitsISK_E10value_typeET2_T3_PNSL_ISQ_E10value_typeET4_jRbjT5_SW_jjP12ihipStream_tbEUlT_E2_NS1_11comp_targetILNS1_3genE10ELNS1_11target_archE1201ELNS1_3gpuE5ELNS1_3repE0EEENS1_30default_config_static_selectorELNS0_4arch9wavefront6targetE0EEEvSK_
; %bb.0:
	.section	.rodata,"a",@progbits
	.p2align	6, 0x0
	.amdhsa_kernel _ZN7rocprim17ROCPRIM_400000_NS6detail17trampoline_kernelINS0_14default_configENS1_36segmented_radix_sort_config_selectorIhlEEZNS1_25segmented_radix_sort_implIS3_Lb1EPKhPhPKlPlN2at6native12_GLOBAL__N_18offset_tEEE10hipError_tPvRmT1_PNSt15iterator_traitsISK_E10value_typeET2_T3_PNSL_ISQ_E10value_typeET4_jRbjT5_SW_jjP12ihipStream_tbEUlT_E2_NS1_11comp_targetILNS1_3genE10ELNS1_11target_archE1201ELNS1_3gpuE5ELNS1_3repE0EEENS1_30default_config_static_selectorELNS0_4arch9wavefront6targetE0EEEvSK_
		.amdhsa_group_segment_fixed_size 0
		.amdhsa_private_segment_fixed_size 0
		.amdhsa_kernarg_size 80
		.amdhsa_user_sgpr_count 6
		.amdhsa_user_sgpr_private_segment_buffer 1
		.amdhsa_user_sgpr_dispatch_ptr 0
		.amdhsa_user_sgpr_queue_ptr 0
		.amdhsa_user_sgpr_kernarg_segment_ptr 1
		.amdhsa_user_sgpr_dispatch_id 0
		.amdhsa_user_sgpr_flat_scratch_init 0
		.amdhsa_user_sgpr_private_segment_size 0
		.amdhsa_wavefront_size32 1
		.amdhsa_uses_dynamic_stack 0
		.amdhsa_system_sgpr_private_segment_wavefront_offset 0
		.amdhsa_system_sgpr_workgroup_id_x 1
		.amdhsa_system_sgpr_workgroup_id_y 0
		.amdhsa_system_sgpr_workgroup_id_z 0
		.amdhsa_system_sgpr_workgroup_info 0
		.amdhsa_system_vgpr_workitem_id 0
		.amdhsa_next_free_vgpr 1
		.amdhsa_next_free_sgpr 1
		.amdhsa_reserve_vcc 0
		.amdhsa_reserve_flat_scratch 0
		.amdhsa_float_round_mode_32 0
		.amdhsa_float_round_mode_16_64 0
		.amdhsa_float_denorm_mode_32 3
		.amdhsa_float_denorm_mode_16_64 3
		.amdhsa_dx10_clamp 1
		.amdhsa_ieee_mode 1
		.amdhsa_fp16_overflow 0
		.amdhsa_workgroup_processor_mode 1
		.amdhsa_memory_ordered 1
		.amdhsa_forward_progress 1
		.amdhsa_shared_vgpr_count 0
		.amdhsa_exception_fp_ieee_invalid_op 0
		.amdhsa_exception_fp_denorm_src 0
		.amdhsa_exception_fp_ieee_div_zero 0
		.amdhsa_exception_fp_ieee_overflow 0
		.amdhsa_exception_fp_ieee_underflow 0
		.amdhsa_exception_fp_ieee_inexact 0
		.amdhsa_exception_int_div_zero 0
	.end_amdhsa_kernel
	.section	.text._ZN7rocprim17ROCPRIM_400000_NS6detail17trampoline_kernelINS0_14default_configENS1_36segmented_radix_sort_config_selectorIhlEEZNS1_25segmented_radix_sort_implIS3_Lb1EPKhPhPKlPlN2at6native12_GLOBAL__N_18offset_tEEE10hipError_tPvRmT1_PNSt15iterator_traitsISK_E10value_typeET2_T3_PNSL_ISQ_E10value_typeET4_jRbjT5_SW_jjP12ihipStream_tbEUlT_E2_NS1_11comp_targetILNS1_3genE10ELNS1_11target_archE1201ELNS1_3gpuE5ELNS1_3repE0EEENS1_30default_config_static_selectorELNS0_4arch9wavefront6targetE0EEEvSK_,"axG",@progbits,_ZN7rocprim17ROCPRIM_400000_NS6detail17trampoline_kernelINS0_14default_configENS1_36segmented_radix_sort_config_selectorIhlEEZNS1_25segmented_radix_sort_implIS3_Lb1EPKhPhPKlPlN2at6native12_GLOBAL__N_18offset_tEEE10hipError_tPvRmT1_PNSt15iterator_traitsISK_E10value_typeET2_T3_PNSL_ISQ_E10value_typeET4_jRbjT5_SW_jjP12ihipStream_tbEUlT_E2_NS1_11comp_targetILNS1_3genE10ELNS1_11target_archE1201ELNS1_3gpuE5ELNS1_3repE0EEENS1_30default_config_static_selectorELNS0_4arch9wavefront6targetE0EEEvSK_,comdat
.Lfunc_end117:
	.size	_ZN7rocprim17ROCPRIM_400000_NS6detail17trampoline_kernelINS0_14default_configENS1_36segmented_radix_sort_config_selectorIhlEEZNS1_25segmented_radix_sort_implIS3_Lb1EPKhPhPKlPlN2at6native12_GLOBAL__N_18offset_tEEE10hipError_tPvRmT1_PNSt15iterator_traitsISK_E10value_typeET2_T3_PNSL_ISQ_E10value_typeET4_jRbjT5_SW_jjP12ihipStream_tbEUlT_E2_NS1_11comp_targetILNS1_3genE10ELNS1_11target_archE1201ELNS1_3gpuE5ELNS1_3repE0EEENS1_30default_config_static_selectorELNS0_4arch9wavefront6targetE0EEEvSK_, .Lfunc_end117-_ZN7rocprim17ROCPRIM_400000_NS6detail17trampoline_kernelINS0_14default_configENS1_36segmented_radix_sort_config_selectorIhlEEZNS1_25segmented_radix_sort_implIS3_Lb1EPKhPhPKlPlN2at6native12_GLOBAL__N_18offset_tEEE10hipError_tPvRmT1_PNSt15iterator_traitsISK_E10value_typeET2_T3_PNSL_ISQ_E10value_typeET4_jRbjT5_SW_jjP12ihipStream_tbEUlT_E2_NS1_11comp_targetILNS1_3genE10ELNS1_11target_archE1201ELNS1_3gpuE5ELNS1_3repE0EEENS1_30default_config_static_selectorELNS0_4arch9wavefront6targetE0EEEvSK_
                                        ; -- End function
	.set _ZN7rocprim17ROCPRIM_400000_NS6detail17trampoline_kernelINS0_14default_configENS1_36segmented_radix_sort_config_selectorIhlEEZNS1_25segmented_radix_sort_implIS3_Lb1EPKhPhPKlPlN2at6native12_GLOBAL__N_18offset_tEEE10hipError_tPvRmT1_PNSt15iterator_traitsISK_E10value_typeET2_T3_PNSL_ISQ_E10value_typeET4_jRbjT5_SW_jjP12ihipStream_tbEUlT_E2_NS1_11comp_targetILNS1_3genE10ELNS1_11target_archE1201ELNS1_3gpuE5ELNS1_3repE0EEENS1_30default_config_static_selectorELNS0_4arch9wavefront6targetE0EEEvSK_.num_vgpr, 0
	.set _ZN7rocprim17ROCPRIM_400000_NS6detail17trampoline_kernelINS0_14default_configENS1_36segmented_radix_sort_config_selectorIhlEEZNS1_25segmented_radix_sort_implIS3_Lb1EPKhPhPKlPlN2at6native12_GLOBAL__N_18offset_tEEE10hipError_tPvRmT1_PNSt15iterator_traitsISK_E10value_typeET2_T3_PNSL_ISQ_E10value_typeET4_jRbjT5_SW_jjP12ihipStream_tbEUlT_E2_NS1_11comp_targetILNS1_3genE10ELNS1_11target_archE1201ELNS1_3gpuE5ELNS1_3repE0EEENS1_30default_config_static_selectorELNS0_4arch9wavefront6targetE0EEEvSK_.num_agpr, 0
	.set _ZN7rocprim17ROCPRIM_400000_NS6detail17trampoline_kernelINS0_14default_configENS1_36segmented_radix_sort_config_selectorIhlEEZNS1_25segmented_radix_sort_implIS3_Lb1EPKhPhPKlPlN2at6native12_GLOBAL__N_18offset_tEEE10hipError_tPvRmT1_PNSt15iterator_traitsISK_E10value_typeET2_T3_PNSL_ISQ_E10value_typeET4_jRbjT5_SW_jjP12ihipStream_tbEUlT_E2_NS1_11comp_targetILNS1_3genE10ELNS1_11target_archE1201ELNS1_3gpuE5ELNS1_3repE0EEENS1_30default_config_static_selectorELNS0_4arch9wavefront6targetE0EEEvSK_.numbered_sgpr, 0
	.set _ZN7rocprim17ROCPRIM_400000_NS6detail17trampoline_kernelINS0_14default_configENS1_36segmented_radix_sort_config_selectorIhlEEZNS1_25segmented_radix_sort_implIS3_Lb1EPKhPhPKlPlN2at6native12_GLOBAL__N_18offset_tEEE10hipError_tPvRmT1_PNSt15iterator_traitsISK_E10value_typeET2_T3_PNSL_ISQ_E10value_typeET4_jRbjT5_SW_jjP12ihipStream_tbEUlT_E2_NS1_11comp_targetILNS1_3genE10ELNS1_11target_archE1201ELNS1_3gpuE5ELNS1_3repE0EEENS1_30default_config_static_selectorELNS0_4arch9wavefront6targetE0EEEvSK_.num_named_barrier, 0
	.set _ZN7rocprim17ROCPRIM_400000_NS6detail17trampoline_kernelINS0_14default_configENS1_36segmented_radix_sort_config_selectorIhlEEZNS1_25segmented_radix_sort_implIS3_Lb1EPKhPhPKlPlN2at6native12_GLOBAL__N_18offset_tEEE10hipError_tPvRmT1_PNSt15iterator_traitsISK_E10value_typeET2_T3_PNSL_ISQ_E10value_typeET4_jRbjT5_SW_jjP12ihipStream_tbEUlT_E2_NS1_11comp_targetILNS1_3genE10ELNS1_11target_archE1201ELNS1_3gpuE5ELNS1_3repE0EEENS1_30default_config_static_selectorELNS0_4arch9wavefront6targetE0EEEvSK_.private_seg_size, 0
	.set _ZN7rocprim17ROCPRIM_400000_NS6detail17trampoline_kernelINS0_14default_configENS1_36segmented_radix_sort_config_selectorIhlEEZNS1_25segmented_radix_sort_implIS3_Lb1EPKhPhPKlPlN2at6native12_GLOBAL__N_18offset_tEEE10hipError_tPvRmT1_PNSt15iterator_traitsISK_E10value_typeET2_T3_PNSL_ISQ_E10value_typeET4_jRbjT5_SW_jjP12ihipStream_tbEUlT_E2_NS1_11comp_targetILNS1_3genE10ELNS1_11target_archE1201ELNS1_3gpuE5ELNS1_3repE0EEENS1_30default_config_static_selectorELNS0_4arch9wavefront6targetE0EEEvSK_.uses_vcc, 0
	.set _ZN7rocprim17ROCPRIM_400000_NS6detail17trampoline_kernelINS0_14default_configENS1_36segmented_radix_sort_config_selectorIhlEEZNS1_25segmented_radix_sort_implIS3_Lb1EPKhPhPKlPlN2at6native12_GLOBAL__N_18offset_tEEE10hipError_tPvRmT1_PNSt15iterator_traitsISK_E10value_typeET2_T3_PNSL_ISQ_E10value_typeET4_jRbjT5_SW_jjP12ihipStream_tbEUlT_E2_NS1_11comp_targetILNS1_3genE10ELNS1_11target_archE1201ELNS1_3gpuE5ELNS1_3repE0EEENS1_30default_config_static_selectorELNS0_4arch9wavefront6targetE0EEEvSK_.uses_flat_scratch, 0
	.set _ZN7rocprim17ROCPRIM_400000_NS6detail17trampoline_kernelINS0_14default_configENS1_36segmented_radix_sort_config_selectorIhlEEZNS1_25segmented_radix_sort_implIS3_Lb1EPKhPhPKlPlN2at6native12_GLOBAL__N_18offset_tEEE10hipError_tPvRmT1_PNSt15iterator_traitsISK_E10value_typeET2_T3_PNSL_ISQ_E10value_typeET4_jRbjT5_SW_jjP12ihipStream_tbEUlT_E2_NS1_11comp_targetILNS1_3genE10ELNS1_11target_archE1201ELNS1_3gpuE5ELNS1_3repE0EEENS1_30default_config_static_selectorELNS0_4arch9wavefront6targetE0EEEvSK_.has_dyn_sized_stack, 0
	.set _ZN7rocprim17ROCPRIM_400000_NS6detail17trampoline_kernelINS0_14default_configENS1_36segmented_radix_sort_config_selectorIhlEEZNS1_25segmented_radix_sort_implIS3_Lb1EPKhPhPKlPlN2at6native12_GLOBAL__N_18offset_tEEE10hipError_tPvRmT1_PNSt15iterator_traitsISK_E10value_typeET2_T3_PNSL_ISQ_E10value_typeET4_jRbjT5_SW_jjP12ihipStream_tbEUlT_E2_NS1_11comp_targetILNS1_3genE10ELNS1_11target_archE1201ELNS1_3gpuE5ELNS1_3repE0EEENS1_30default_config_static_selectorELNS0_4arch9wavefront6targetE0EEEvSK_.has_recursion, 0
	.set _ZN7rocprim17ROCPRIM_400000_NS6detail17trampoline_kernelINS0_14default_configENS1_36segmented_radix_sort_config_selectorIhlEEZNS1_25segmented_radix_sort_implIS3_Lb1EPKhPhPKlPlN2at6native12_GLOBAL__N_18offset_tEEE10hipError_tPvRmT1_PNSt15iterator_traitsISK_E10value_typeET2_T3_PNSL_ISQ_E10value_typeET4_jRbjT5_SW_jjP12ihipStream_tbEUlT_E2_NS1_11comp_targetILNS1_3genE10ELNS1_11target_archE1201ELNS1_3gpuE5ELNS1_3repE0EEENS1_30default_config_static_selectorELNS0_4arch9wavefront6targetE0EEEvSK_.has_indirect_call, 0
	.section	.AMDGPU.csdata,"",@progbits
; Kernel info:
; codeLenInByte = 0
; TotalNumSgprs: 0
; NumVgprs: 0
; ScratchSize: 0
; MemoryBound: 0
; FloatMode: 240
; IeeeMode: 1
; LDSByteSize: 0 bytes/workgroup (compile time only)
; SGPRBlocks: 0
; VGPRBlocks: 0
; NumSGPRsForWavesPerEU: 1
; NumVGPRsForWavesPerEU: 1
; Occupancy: 16
; WaveLimiterHint : 0
; COMPUTE_PGM_RSRC2:SCRATCH_EN: 0
; COMPUTE_PGM_RSRC2:USER_SGPR: 6
; COMPUTE_PGM_RSRC2:TRAP_HANDLER: 0
; COMPUTE_PGM_RSRC2:TGID_X_EN: 1
; COMPUTE_PGM_RSRC2:TGID_Y_EN: 0
; COMPUTE_PGM_RSRC2:TGID_Z_EN: 0
; COMPUTE_PGM_RSRC2:TIDIG_COMP_CNT: 0
	.section	.text._ZN7rocprim17ROCPRIM_400000_NS6detail17trampoline_kernelINS0_14default_configENS1_36segmented_radix_sort_config_selectorIhlEEZNS1_25segmented_radix_sort_implIS3_Lb1EPKhPhPKlPlN2at6native12_GLOBAL__N_18offset_tEEE10hipError_tPvRmT1_PNSt15iterator_traitsISK_E10value_typeET2_T3_PNSL_ISQ_E10value_typeET4_jRbjT5_SW_jjP12ihipStream_tbEUlT_E2_NS1_11comp_targetILNS1_3genE10ELNS1_11target_archE1200ELNS1_3gpuE4ELNS1_3repE0EEENS1_30default_config_static_selectorELNS0_4arch9wavefront6targetE0EEEvSK_,"axG",@progbits,_ZN7rocprim17ROCPRIM_400000_NS6detail17trampoline_kernelINS0_14default_configENS1_36segmented_radix_sort_config_selectorIhlEEZNS1_25segmented_radix_sort_implIS3_Lb1EPKhPhPKlPlN2at6native12_GLOBAL__N_18offset_tEEE10hipError_tPvRmT1_PNSt15iterator_traitsISK_E10value_typeET2_T3_PNSL_ISQ_E10value_typeET4_jRbjT5_SW_jjP12ihipStream_tbEUlT_E2_NS1_11comp_targetILNS1_3genE10ELNS1_11target_archE1200ELNS1_3gpuE4ELNS1_3repE0EEENS1_30default_config_static_selectorELNS0_4arch9wavefront6targetE0EEEvSK_,comdat
	.globl	_ZN7rocprim17ROCPRIM_400000_NS6detail17trampoline_kernelINS0_14default_configENS1_36segmented_radix_sort_config_selectorIhlEEZNS1_25segmented_radix_sort_implIS3_Lb1EPKhPhPKlPlN2at6native12_GLOBAL__N_18offset_tEEE10hipError_tPvRmT1_PNSt15iterator_traitsISK_E10value_typeET2_T3_PNSL_ISQ_E10value_typeET4_jRbjT5_SW_jjP12ihipStream_tbEUlT_E2_NS1_11comp_targetILNS1_3genE10ELNS1_11target_archE1200ELNS1_3gpuE4ELNS1_3repE0EEENS1_30default_config_static_selectorELNS0_4arch9wavefront6targetE0EEEvSK_ ; -- Begin function _ZN7rocprim17ROCPRIM_400000_NS6detail17trampoline_kernelINS0_14default_configENS1_36segmented_radix_sort_config_selectorIhlEEZNS1_25segmented_radix_sort_implIS3_Lb1EPKhPhPKlPlN2at6native12_GLOBAL__N_18offset_tEEE10hipError_tPvRmT1_PNSt15iterator_traitsISK_E10value_typeET2_T3_PNSL_ISQ_E10value_typeET4_jRbjT5_SW_jjP12ihipStream_tbEUlT_E2_NS1_11comp_targetILNS1_3genE10ELNS1_11target_archE1200ELNS1_3gpuE4ELNS1_3repE0EEENS1_30default_config_static_selectorELNS0_4arch9wavefront6targetE0EEEvSK_
	.p2align	8
	.type	_ZN7rocprim17ROCPRIM_400000_NS6detail17trampoline_kernelINS0_14default_configENS1_36segmented_radix_sort_config_selectorIhlEEZNS1_25segmented_radix_sort_implIS3_Lb1EPKhPhPKlPlN2at6native12_GLOBAL__N_18offset_tEEE10hipError_tPvRmT1_PNSt15iterator_traitsISK_E10value_typeET2_T3_PNSL_ISQ_E10value_typeET4_jRbjT5_SW_jjP12ihipStream_tbEUlT_E2_NS1_11comp_targetILNS1_3genE10ELNS1_11target_archE1200ELNS1_3gpuE4ELNS1_3repE0EEENS1_30default_config_static_selectorELNS0_4arch9wavefront6targetE0EEEvSK_,@function
_ZN7rocprim17ROCPRIM_400000_NS6detail17trampoline_kernelINS0_14default_configENS1_36segmented_radix_sort_config_selectorIhlEEZNS1_25segmented_radix_sort_implIS3_Lb1EPKhPhPKlPlN2at6native12_GLOBAL__N_18offset_tEEE10hipError_tPvRmT1_PNSt15iterator_traitsISK_E10value_typeET2_T3_PNSL_ISQ_E10value_typeET4_jRbjT5_SW_jjP12ihipStream_tbEUlT_E2_NS1_11comp_targetILNS1_3genE10ELNS1_11target_archE1200ELNS1_3gpuE4ELNS1_3repE0EEENS1_30default_config_static_selectorELNS0_4arch9wavefront6targetE0EEEvSK_: ; @_ZN7rocprim17ROCPRIM_400000_NS6detail17trampoline_kernelINS0_14default_configENS1_36segmented_radix_sort_config_selectorIhlEEZNS1_25segmented_radix_sort_implIS3_Lb1EPKhPhPKlPlN2at6native12_GLOBAL__N_18offset_tEEE10hipError_tPvRmT1_PNSt15iterator_traitsISK_E10value_typeET2_T3_PNSL_ISQ_E10value_typeET4_jRbjT5_SW_jjP12ihipStream_tbEUlT_E2_NS1_11comp_targetILNS1_3genE10ELNS1_11target_archE1200ELNS1_3gpuE4ELNS1_3repE0EEENS1_30default_config_static_selectorELNS0_4arch9wavefront6targetE0EEEvSK_
; %bb.0:
	.section	.rodata,"a",@progbits
	.p2align	6, 0x0
	.amdhsa_kernel _ZN7rocprim17ROCPRIM_400000_NS6detail17trampoline_kernelINS0_14default_configENS1_36segmented_radix_sort_config_selectorIhlEEZNS1_25segmented_radix_sort_implIS3_Lb1EPKhPhPKlPlN2at6native12_GLOBAL__N_18offset_tEEE10hipError_tPvRmT1_PNSt15iterator_traitsISK_E10value_typeET2_T3_PNSL_ISQ_E10value_typeET4_jRbjT5_SW_jjP12ihipStream_tbEUlT_E2_NS1_11comp_targetILNS1_3genE10ELNS1_11target_archE1200ELNS1_3gpuE4ELNS1_3repE0EEENS1_30default_config_static_selectorELNS0_4arch9wavefront6targetE0EEEvSK_
		.amdhsa_group_segment_fixed_size 0
		.amdhsa_private_segment_fixed_size 0
		.amdhsa_kernarg_size 80
		.amdhsa_user_sgpr_count 6
		.amdhsa_user_sgpr_private_segment_buffer 1
		.amdhsa_user_sgpr_dispatch_ptr 0
		.amdhsa_user_sgpr_queue_ptr 0
		.amdhsa_user_sgpr_kernarg_segment_ptr 1
		.amdhsa_user_sgpr_dispatch_id 0
		.amdhsa_user_sgpr_flat_scratch_init 0
		.amdhsa_user_sgpr_private_segment_size 0
		.amdhsa_wavefront_size32 1
		.amdhsa_uses_dynamic_stack 0
		.amdhsa_system_sgpr_private_segment_wavefront_offset 0
		.amdhsa_system_sgpr_workgroup_id_x 1
		.amdhsa_system_sgpr_workgroup_id_y 0
		.amdhsa_system_sgpr_workgroup_id_z 0
		.amdhsa_system_sgpr_workgroup_info 0
		.amdhsa_system_vgpr_workitem_id 0
		.amdhsa_next_free_vgpr 1
		.amdhsa_next_free_sgpr 1
		.amdhsa_reserve_vcc 0
		.amdhsa_reserve_flat_scratch 0
		.amdhsa_float_round_mode_32 0
		.amdhsa_float_round_mode_16_64 0
		.amdhsa_float_denorm_mode_32 3
		.amdhsa_float_denorm_mode_16_64 3
		.amdhsa_dx10_clamp 1
		.amdhsa_ieee_mode 1
		.amdhsa_fp16_overflow 0
		.amdhsa_workgroup_processor_mode 1
		.amdhsa_memory_ordered 1
		.amdhsa_forward_progress 1
		.amdhsa_shared_vgpr_count 0
		.amdhsa_exception_fp_ieee_invalid_op 0
		.amdhsa_exception_fp_denorm_src 0
		.amdhsa_exception_fp_ieee_div_zero 0
		.amdhsa_exception_fp_ieee_overflow 0
		.amdhsa_exception_fp_ieee_underflow 0
		.amdhsa_exception_fp_ieee_inexact 0
		.amdhsa_exception_int_div_zero 0
	.end_amdhsa_kernel
	.section	.text._ZN7rocprim17ROCPRIM_400000_NS6detail17trampoline_kernelINS0_14default_configENS1_36segmented_radix_sort_config_selectorIhlEEZNS1_25segmented_radix_sort_implIS3_Lb1EPKhPhPKlPlN2at6native12_GLOBAL__N_18offset_tEEE10hipError_tPvRmT1_PNSt15iterator_traitsISK_E10value_typeET2_T3_PNSL_ISQ_E10value_typeET4_jRbjT5_SW_jjP12ihipStream_tbEUlT_E2_NS1_11comp_targetILNS1_3genE10ELNS1_11target_archE1200ELNS1_3gpuE4ELNS1_3repE0EEENS1_30default_config_static_selectorELNS0_4arch9wavefront6targetE0EEEvSK_,"axG",@progbits,_ZN7rocprim17ROCPRIM_400000_NS6detail17trampoline_kernelINS0_14default_configENS1_36segmented_radix_sort_config_selectorIhlEEZNS1_25segmented_radix_sort_implIS3_Lb1EPKhPhPKlPlN2at6native12_GLOBAL__N_18offset_tEEE10hipError_tPvRmT1_PNSt15iterator_traitsISK_E10value_typeET2_T3_PNSL_ISQ_E10value_typeET4_jRbjT5_SW_jjP12ihipStream_tbEUlT_E2_NS1_11comp_targetILNS1_3genE10ELNS1_11target_archE1200ELNS1_3gpuE4ELNS1_3repE0EEENS1_30default_config_static_selectorELNS0_4arch9wavefront6targetE0EEEvSK_,comdat
.Lfunc_end118:
	.size	_ZN7rocprim17ROCPRIM_400000_NS6detail17trampoline_kernelINS0_14default_configENS1_36segmented_radix_sort_config_selectorIhlEEZNS1_25segmented_radix_sort_implIS3_Lb1EPKhPhPKlPlN2at6native12_GLOBAL__N_18offset_tEEE10hipError_tPvRmT1_PNSt15iterator_traitsISK_E10value_typeET2_T3_PNSL_ISQ_E10value_typeET4_jRbjT5_SW_jjP12ihipStream_tbEUlT_E2_NS1_11comp_targetILNS1_3genE10ELNS1_11target_archE1200ELNS1_3gpuE4ELNS1_3repE0EEENS1_30default_config_static_selectorELNS0_4arch9wavefront6targetE0EEEvSK_, .Lfunc_end118-_ZN7rocprim17ROCPRIM_400000_NS6detail17trampoline_kernelINS0_14default_configENS1_36segmented_radix_sort_config_selectorIhlEEZNS1_25segmented_radix_sort_implIS3_Lb1EPKhPhPKlPlN2at6native12_GLOBAL__N_18offset_tEEE10hipError_tPvRmT1_PNSt15iterator_traitsISK_E10value_typeET2_T3_PNSL_ISQ_E10value_typeET4_jRbjT5_SW_jjP12ihipStream_tbEUlT_E2_NS1_11comp_targetILNS1_3genE10ELNS1_11target_archE1200ELNS1_3gpuE4ELNS1_3repE0EEENS1_30default_config_static_selectorELNS0_4arch9wavefront6targetE0EEEvSK_
                                        ; -- End function
	.set _ZN7rocprim17ROCPRIM_400000_NS6detail17trampoline_kernelINS0_14default_configENS1_36segmented_radix_sort_config_selectorIhlEEZNS1_25segmented_radix_sort_implIS3_Lb1EPKhPhPKlPlN2at6native12_GLOBAL__N_18offset_tEEE10hipError_tPvRmT1_PNSt15iterator_traitsISK_E10value_typeET2_T3_PNSL_ISQ_E10value_typeET4_jRbjT5_SW_jjP12ihipStream_tbEUlT_E2_NS1_11comp_targetILNS1_3genE10ELNS1_11target_archE1200ELNS1_3gpuE4ELNS1_3repE0EEENS1_30default_config_static_selectorELNS0_4arch9wavefront6targetE0EEEvSK_.num_vgpr, 0
	.set _ZN7rocprim17ROCPRIM_400000_NS6detail17trampoline_kernelINS0_14default_configENS1_36segmented_radix_sort_config_selectorIhlEEZNS1_25segmented_radix_sort_implIS3_Lb1EPKhPhPKlPlN2at6native12_GLOBAL__N_18offset_tEEE10hipError_tPvRmT1_PNSt15iterator_traitsISK_E10value_typeET2_T3_PNSL_ISQ_E10value_typeET4_jRbjT5_SW_jjP12ihipStream_tbEUlT_E2_NS1_11comp_targetILNS1_3genE10ELNS1_11target_archE1200ELNS1_3gpuE4ELNS1_3repE0EEENS1_30default_config_static_selectorELNS0_4arch9wavefront6targetE0EEEvSK_.num_agpr, 0
	.set _ZN7rocprim17ROCPRIM_400000_NS6detail17trampoline_kernelINS0_14default_configENS1_36segmented_radix_sort_config_selectorIhlEEZNS1_25segmented_radix_sort_implIS3_Lb1EPKhPhPKlPlN2at6native12_GLOBAL__N_18offset_tEEE10hipError_tPvRmT1_PNSt15iterator_traitsISK_E10value_typeET2_T3_PNSL_ISQ_E10value_typeET4_jRbjT5_SW_jjP12ihipStream_tbEUlT_E2_NS1_11comp_targetILNS1_3genE10ELNS1_11target_archE1200ELNS1_3gpuE4ELNS1_3repE0EEENS1_30default_config_static_selectorELNS0_4arch9wavefront6targetE0EEEvSK_.numbered_sgpr, 0
	.set _ZN7rocprim17ROCPRIM_400000_NS6detail17trampoline_kernelINS0_14default_configENS1_36segmented_radix_sort_config_selectorIhlEEZNS1_25segmented_radix_sort_implIS3_Lb1EPKhPhPKlPlN2at6native12_GLOBAL__N_18offset_tEEE10hipError_tPvRmT1_PNSt15iterator_traitsISK_E10value_typeET2_T3_PNSL_ISQ_E10value_typeET4_jRbjT5_SW_jjP12ihipStream_tbEUlT_E2_NS1_11comp_targetILNS1_3genE10ELNS1_11target_archE1200ELNS1_3gpuE4ELNS1_3repE0EEENS1_30default_config_static_selectorELNS0_4arch9wavefront6targetE0EEEvSK_.num_named_barrier, 0
	.set _ZN7rocprim17ROCPRIM_400000_NS6detail17trampoline_kernelINS0_14default_configENS1_36segmented_radix_sort_config_selectorIhlEEZNS1_25segmented_radix_sort_implIS3_Lb1EPKhPhPKlPlN2at6native12_GLOBAL__N_18offset_tEEE10hipError_tPvRmT1_PNSt15iterator_traitsISK_E10value_typeET2_T3_PNSL_ISQ_E10value_typeET4_jRbjT5_SW_jjP12ihipStream_tbEUlT_E2_NS1_11comp_targetILNS1_3genE10ELNS1_11target_archE1200ELNS1_3gpuE4ELNS1_3repE0EEENS1_30default_config_static_selectorELNS0_4arch9wavefront6targetE0EEEvSK_.private_seg_size, 0
	.set _ZN7rocprim17ROCPRIM_400000_NS6detail17trampoline_kernelINS0_14default_configENS1_36segmented_radix_sort_config_selectorIhlEEZNS1_25segmented_radix_sort_implIS3_Lb1EPKhPhPKlPlN2at6native12_GLOBAL__N_18offset_tEEE10hipError_tPvRmT1_PNSt15iterator_traitsISK_E10value_typeET2_T3_PNSL_ISQ_E10value_typeET4_jRbjT5_SW_jjP12ihipStream_tbEUlT_E2_NS1_11comp_targetILNS1_3genE10ELNS1_11target_archE1200ELNS1_3gpuE4ELNS1_3repE0EEENS1_30default_config_static_selectorELNS0_4arch9wavefront6targetE0EEEvSK_.uses_vcc, 0
	.set _ZN7rocprim17ROCPRIM_400000_NS6detail17trampoline_kernelINS0_14default_configENS1_36segmented_radix_sort_config_selectorIhlEEZNS1_25segmented_radix_sort_implIS3_Lb1EPKhPhPKlPlN2at6native12_GLOBAL__N_18offset_tEEE10hipError_tPvRmT1_PNSt15iterator_traitsISK_E10value_typeET2_T3_PNSL_ISQ_E10value_typeET4_jRbjT5_SW_jjP12ihipStream_tbEUlT_E2_NS1_11comp_targetILNS1_3genE10ELNS1_11target_archE1200ELNS1_3gpuE4ELNS1_3repE0EEENS1_30default_config_static_selectorELNS0_4arch9wavefront6targetE0EEEvSK_.uses_flat_scratch, 0
	.set _ZN7rocprim17ROCPRIM_400000_NS6detail17trampoline_kernelINS0_14default_configENS1_36segmented_radix_sort_config_selectorIhlEEZNS1_25segmented_radix_sort_implIS3_Lb1EPKhPhPKlPlN2at6native12_GLOBAL__N_18offset_tEEE10hipError_tPvRmT1_PNSt15iterator_traitsISK_E10value_typeET2_T3_PNSL_ISQ_E10value_typeET4_jRbjT5_SW_jjP12ihipStream_tbEUlT_E2_NS1_11comp_targetILNS1_3genE10ELNS1_11target_archE1200ELNS1_3gpuE4ELNS1_3repE0EEENS1_30default_config_static_selectorELNS0_4arch9wavefront6targetE0EEEvSK_.has_dyn_sized_stack, 0
	.set _ZN7rocprim17ROCPRIM_400000_NS6detail17trampoline_kernelINS0_14default_configENS1_36segmented_radix_sort_config_selectorIhlEEZNS1_25segmented_radix_sort_implIS3_Lb1EPKhPhPKlPlN2at6native12_GLOBAL__N_18offset_tEEE10hipError_tPvRmT1_PNSt15iterator_traitsISK_E10value_typeET2_T3_PNSL_ISQ_E10value_typeET4_jRbjT5_SW_jjP12ihipStream_tbEUlT_E2_NS1_11comp_targetILNS1_3genE10ELNS1_11target_archE1200ELNS1_3gpuE4ELNS1_3repE0EEENS1_30default_config_static_selectorELNS0_4arch9wavefront6targetE0EEEvSK_.has_recursion, 0
	.set _ZN7rocprim17ROCPRIM_400000_NS6detail17trampoline_kernelINS0_14default_configENS1_36segmented_radix_sort_config_selectorIhlEEZNS1_25segmented_radix_sort_implIS3_Lb1EPKhPhPKlPlN2at6native12_GLOBAL__N_18offset_tEEE10hipError_tPvRmT1_PNSt15iterator_traitsISK_E10value_typeET2_T3_PNSL_ISQ_E10value_typeET4_jRbjT5_SW_jjP12ihipStream_tbEUlT_E2_NS1_11comp_targetILNS1_3genE10ELNS1_11target_archE1200ELNS1_3gpuE4ELNS1_3repE0EEENS1_30default_config_static_selectorELNS0_4arch9wavefront6targetE0EEEvSK_.has_indirect_call, 0
	.section	.AMDGPU.csdata,"",@progbits
; Kernel info:
; codeLenInByte = 0
; TotalNumSgprs: 0
; NumVgprs: 0
; ScratchSize: 0
; MemoryBound: 0
; FloatMode: 240
; IeeeMode: 1
; LDSByteSize: 0 bytes/workgroup (compile time only)
; SGPRBlocks: 0
; VGPRBlocks: 0
; NumSGPRsForWavesPerEU: 1
; NumVGPRsForWavesPerEU: 1
; Occupancy: 16
; WaveLimiterHint : 0
; COMPUTE_PGM_RSRC2:SCRATCH_EN: 0
; COMPUTE_PGM_RSRC2:USER_SGPR: 6
; COMPUTE_PGM_RSRC2:TRAP_HANDLER: 0
; COMPUTE_PGM_RSRC2:TGID_X_EN: 1
; COMPUTE_PGM_RSRC2:TGID_Y_EN: 0
; COMPUTE_PGM_RSRC2:TGID_Z_EN: 0
; COMPUTE_PGM_RSRC2:TIDIG_COMP_CNT: 0
	.section	.text._ZN7rocprim17ROCPRIM_400000_NS6detail17trampoline_kernelINS0_14default_configENS1_36segmented_radix_sort_config_selectorIhlEEZNS1_25segmented_radix_sort_implIS3_Lb1EPKhPhPKlPlN2at6native12_GLOBAL__N_18offset_tEEE10hipError_tPvRmT1_PNSt15iterator_traitsISK_E10value_typeET2_T3_PNSL_ISQ_E10value_typeET4_jRbjT5_SW_jjP12ihipStream_tbEUlT_E2_NS1_11comp_targetILNS1_3genE9ELNS1_11target_archE1100ELNS1_3gpuE3ELNS1_3repE0EEENS1_30default_config_static_selectorELNS0_4arch9wavefront6targetE0EEEvSK_,"axG",@progbits,_ZN7rocprim17ROCPRIM_400000_NS6detail17trampoline_kernelINS0_14default_configENS1_36segmented_radix_sort_config_selectorIhlEEZNS1_25segmented_radix_sort_implIS3_Lb1EPKhPhPKlPlN2at6native12_GLOBAL__N_18offset_tEEE10hipError_tPvRmT1_PNSt15iterator_traitsISK_E10value_typeET2_T3_PNSL_ISQ_E10value_typeET4_jRbjT5_SW_jjP12ihipStream_tbEUlT_E2_NS1_11comp_targetILNS1_3genE9ELNS1_11target_archE1100ELNS1_3gpuE3ELNS1_3repE0EEENS1_30default_config_static_selectorELNS0_4arch9wavefront6targetE0EEEvSK_,comdat
	.globl	_ZN7rocprim17ROCPRIM_400000_NS6detail17trampoline_kernelINS0_14default_configENS1_36segmented_radix_sort_config_selectorIhlEEZNS1_25segmented_radix_sort_implIS3_Lb1EPKhPhPKlPlN2at6native12_GLOBAL__N_18offset_tEEE10hipError_tPvRmT1_PNSt15iterator_traitsISK_E10value_typeET2_T3_PNSL_ISQ_E10value_typeET4_jRbjT5_SW_jjP12ihipStream_tbEUlT_E2_NS1_11comp_targetILNS1_3genE9ELNS1_11target_archE1100ELNS1_3gpuE3ELNS1_3repE0EEENS1_30default_config_static_selectorELNS0_4arch9wavefront6targetE0EEEvSK_ ; -- Begin function _ZN7rocprim17ROCPRIM_400000_NS6detail17trampoline_kernelINS0_14default_configENS1_36segmented_radix_sort_config_selectorIhlEEZNS1_25segmented_radix_sort_implIS3_Lb1EPKhPhPKlPlN2at6native12_GLOBAL__N_18offset_tEEE10hipError_tPvRmT1_PNSt15iterator_traitsISK_E10value_typeET2_T3_PNSL_ISQ_E10value_typeET4_jRbjT5_SW_jjP12ihipStream_tbEUlT_E2_NS1_11comp_targetILNS1_3genE9ELNS1_11target_archE1100ELNS1_3gpuE3ELNS1_3repE0EEENS1_30default_config_static_selectorELNS0_4arch9wavefront6targetE0EEEvSK_
	.p2align	8
	.type	_ZN7rocprim17ROCPRIM_400000_NS6detail17trampoline_kernelINS0_14default_configENS1_36segmented_radix_sort_config_selectorIhlEEZNS1_25segmented_radix_sort_implIS3_Lb1EPKhPhPKlPlN2at6native12_GLOBAL__N_18offset_tEEE10hipError_tPvRmT1_PNSt15iterator_traitsISK_E10value_typeET2_T3_PNSL_ISQ_E10value_typeET4_jRbjT5_SW_jjP12ihipStream_tbEUlT_E2_NS1_11comp_targetILNS1_3genE9ELNS1_11target_archE1100ELNS1_3gpuE3ELNS1_3repE0EEENS1_30default_config_static_selectorELNS0_4arch9wavefront6targetE0EEEvSK_,@function
_ZN7rocprim17ROCPRIM_400000_NS6detail17trampoline_kernelINS0_14default_configENS1_36segmented_radix_sort_config_selectorIhlEEZNS1_25segmented_radix_sort_implIS3_Lb1EPKhPhPKlPlN2at6native12_GLOBAL__N_18offset_tEEE10hipError_tPvRmT1_PNSt15iterator_traitsISK_E10value_typeET2_T3_PNSL_ISQ_E10value_typeET4_jRbjT5_SW_jjP12ihipStream_tbEUlT_E2_NS1_11comp_targetILNS1_3genE9ELNS1_11target_archE1100ELNS1_3gpuE3ELNS1_3repE0EEENS1_30default_config_static_selectorELNS0_4arch9wavefront6targetE0EEEvSK_: ; @_ZN7rocprim17ROCPRIM_400000_NS6detail17trampoline_kernelINS0_14default_configENS1_36segmented_radix_sort_config_selectorIhlEEZNS1_25segmented_radix_sort_implIS3_Lb1EPKhPhPKlPlN2at6native12_GLOBAL__N_18offset_tEEE10hipError_tPvRmT1_PNSt15iterator_traitsISK_E10value_typeET2_T3_PNSL_ISQ_E10value_typeET4_jRbjT5_SW_jjP12ihipStream_tbEUlT_E2_NS1_11comp_targetILNS1_3genE9ELNS1_11target_archE1100ELNS1_3gpuE3ELNS1_3repE0EEENS1_30default_config_static_selectorELNS0_4arch9wavefront6targetE0EEEvSK_
; %bb.0:
	.section	.rodata,"a",@progbits
	.p2align	6, 0x0
	.amdhsa_kernel _ZN7rocprim17ROCPRIM_400000_NS6detail17trampoline_kernelINS0_14default_configENS1_36segmented_radix_sort_config_selectorIhlEEZNS1_25segmented_radix_sort_implIS3_Lb1EPKhPhPKlPlN2at6native12_GLOBAL__N_18offset_tEEE10hipError_tPvRmT1_PNSt15iterator_traitsISK_E10value_typeET2_T3_PNSL_ISQ_E10value_typeET4_jRbjT5_SW_jjP12ihipStream_tbEUlT_E2_NS1_11comp_targetILNS1_3genE9ELNS1_11target_archE1100ELNS1_3gpuE3ELNS1_3repE0EEENS1_30default_config_static_selectorELNS0_4arch9wavefront6targetE0EEEvSK_
		.amdhsa_group_segment_fixed_size 0
		.amdhsa_private_segment_fixed_size 0
		.amdhsa_kernarg_size 80
		.amdhsa_user_sgpr_count 6
		.amdhsa_user_sgpr_private_segment_buffer 1
		.amdhsa_user_sgpr_dispatch_ptr 0
		.amdhsa_user_sgpr_queue_ptr 0
		.amdhsa_user_sgpr_kernarg_segment_ptr 1
		.amdhsa_user_sgpr_dispatch_id 0
		.amdhsa_user_sgpr_flat_scratch_init 0
		.amdhsa_user_sgpr_private_segment_size 0
		.amdhsa_wavefront_size32 1
		.amdhsa_uses_dynamic_stack 0
		.amdhsa_system_sgpr_private_segment_wavefront_offset 0
		.amdhsa_system_sgpr_workgroup_id_x 1
		.amdhsa_system_sgpr_workgroup_id_y 0
		.amdhsa_system_sgpr_workgroup_id_z 0
		.amdhsa_system_sgpr_workgroup_info 0
		.amdhsa_system_vgpr_workitem_id 0
		.amdhsa_next_free_vgpr 1
		.amdhsa_next_free_sgpr 1
		.amdhsa_reserve_vcc 0
		.amdhsa_reserve_flat_scratch 0
		.amdhsa_float_round_mode_32 0
		.amdhsa_float_round_mode_16_64 0
		.amdhsa_float_denorm_mode_32 3
		.amdhsa_float_denorm_mode_16_64 3
		.amdhsa_dx10_clamp 1
		.amdhsa_ieee_mode 1
		.amdhsa_fp16_overflow 0
		.amdhsa_workgroup_processor_mode 1
		.amdhsa_memory_ordered 1
		.amdhsa_forward_progress 1
		.amdhsa_shared_vgpr_count 0
		.amdhsa_exception_fp_ieee_invalid_op 0
		.amdhsa_exception_fp_denorm_src 0
		.amdhsa_exception_fp_ieee_div_zero 0
		.amdhsa_exception_fp_ieee_overflow 0
		.amdhsa_exception_fp_ieee_underflow 0
		.amdhsa_exception_fp_ieee_inexact 0
		.amdhsa_exception_int_div_zero 0
	.end_amdhsa_kernel
	.section	.text._ZN7rocprim17ROCPRIM_400000_NS6detail17trampoline_kernelINS0_14default_configENS1_36segmented_radix_sort_config_selectorIhlEEZNS1_25segmented_radix_sort_implIS3_Lb1EPKhPhPKlPlN2at6native12_GLOBAL__N_18offset_tEEE10hipError_tPvRmT1_PNSt15iterator_traitsISK_E10value_typeET2_T3_PNSL_ISQ_E10value_typeET4_jRbjT5_SW_jjP12ihipStream_tbEUlT_E2_NS1_11comp_targetILNS1_3genE9ELNS1_11target_archE1100ELNS1_3gpuE3ELNS1_3repE0EEENS1_30default_config_static_selectorELNS0_4arch9wavefront6targetE0EEEvSK_,"axG",@progbits,_ZN7rocprim17ROCPRIM_400000_NS6detail17trampoline_kernelINS0_14default_configENS1_36segmented_radix_sort_config_selectorIhlEEZNS1_25segmented_radix_sort_implIS3_Lb1EPKhPhPKlPlN2at6native12_GLOBAL__N_18offset_tEEE10hipError_tPvRmT1_PNSt15iterator_traitsISK_E10value_typeET2_T3_PNSL_ISQ_E10value_typeET4_jRbjT5_SW_jjP12ihipStream_tbEUlT_E2_NS1_11comp_targetILNS1_3genE9ELNS1_11target_archE1100ELNS1_3gpuE3ELNS1_3repE0EEENS1_30default_config_static_selectorELNS0_4arch9wavefront6targetE0EEEvSK_,comdat
.Lfunc_end119:
	.size	_ZN7rocprim17ROCPRIM_400000_NS6detail17trampoline_kernelINS0_14default_configENS1_36segmented_radix_sort_config_selectorIhlEEZNS1_25segmented_radix_sort_implIS3_Lb1EPKhPhPKlPlN2at6native12_GLOBAL__N_18offset_tEEE10hipError_tPvRmT1_PNSt15iterator_traitsISK_E10value_typeET2_T3_PNSL_ISQ_E10value_typeET4_jRbjT5_SW_jjP12ihipStream_tbEUlT_E2_NS1_11comp_targetILNS1_3genE9ELNS1_11target_archE1100ELNS1_3gpuE3ELNS1_3repE0EEENS1_30default_config_static_selectorELNS0_4arch9wavefront6targetE0EEEvSK_, .Lfunc_end119-_ZN7rocprim17ROCPRIM_400000_NS6detail17trampoline_kernelINS0_14default_configENS1_36segmented_radix_sort_config_selectorIhlEEZNS1_25segmented_radix_sort_implIS3_Lb1EPKhPhPKlPlN2at6native12_GLOBAL__N_18offset_tEEE10hipError_tPvRmT1_PNSt15iterator_traitsISK_E10value_typeET2_T3_PNSL_ISQ_E10value_typeET4_jRbjT5_SW_jjP12ihipStream_tbEUlT_E2_NS1_11comp_targetILNS1_3genE9ELNS1_11target_archE1100ELNS1_3gpuE3ELNS1_3repE0EEENS1_30default_config_static_selectorELNS0_4arch9wavefront6targetE0EEEvSK_
                                        ; -- End function
	.set _ZN7rocprim17ROCPRIM_400000_NS6detail17trampoline_kernelINS0_14default_configENS1_36segmented_radix_sort_config_selectorIhlEEZNS1_25segmented_radix_sort_implIS3_Lb1EPKhPhPKlPlN2at6native12_GLOBAL__N_18offset_tEEE10hipError_tPvRmT1_PNSt15iterator_traitsISK_E10value_typeET2_T3_PNSL_ISQ_E10value_typeET4_jRbjT5_SW_jjP12ihipStream_tbEUlT_E2_NS1_11comp_targetILNS1_3genE9ELNS1_11target_archE1100ELNS1_3gpuE3ELNS1_3repE0EEENS1_30default_config_static_selectorELNS0_4arch9wavefront6targetE0EEEvSK_.num_vgpr, 0
	.set _ZN7rocprim17ROCPRIM_400000_NS6detail17trampoline_kernelINS0_14default_configENS1_36segmented_radix_sort_config_selectorIhlEEZNS1_25segmented_radix_sort_implIS3_Lb1EPKhPhPKlPlN2at6native12_GLOBAL__N_18offset_tEEE10hipError_tPvRmT1_PNSt15iterator_traitsISK_E10value_typeET2_T3_PNSL_ISQ_E10value_typeET4_jRbjT5_SW_jjP12ihipStream_tbEUlT_E2_NS1_11comp_targetILNS1_3genE9ELNS1_11target_archE1100ELNS1_3gpuE3ELNS1_3repE0EEENS1_30default_config_static_selectorELNS0_4arch9wavefront6targetE0EEEvSK_.num_agpr, 0
	.set _ZN7rocprim17ROCPRIM_400000_NS6detail17trampoline_kernelINS0_14default_configENS1_36segmented_radix_sort_config_selectorIhlEEZNS1_25segmented_radix_sort_implIS3_Lb1EPKhPhPKlPlN2at6native12_GLOBAL__N_18offset_tEEE10hipError_tPvRmT1_PNSt15iterator_traitsISK_E10value_typeET2_T3_PNSL_ISQ_E10value_typeET4_jRbjT5_SW_jjP12ihipStream_tbEUlT_E2_NS1_11comp_targetILNS1_3genE9ELNS1_11target_archE1100ELNS1_3gpuE3ELNS1_3repE0EEENS1_30default_config_static_selectorELNS0_4arch9wavefront6targetE0EEEvSK_.numbered_sgpr, 0
	.set _ZN7rocprim17ROCPRIM_400000_NS6detail17trampoline_kernelINS0_14default_configENS1_36segmented_radix_sort_config_selectorIhlEEZNS1_25segmented_radix_sort_implIS3_Lb1EPKhPhPKlPlN2at6native12_GLOBAL__N_18offset_tEEE10hipError_tPvRmT1_PNSt15iterator_traitsISK_E10value_typeET2_T3_PNSL_ISQ_E10value_typeET4_jRbjT5_SW_jjP12ihipStream_tbEUlT_E2_NS1_11comp_targetILNS1_3genE9ELNS1_11target_archE1100ELNS1_3gpuE3ELNS1_3repE0EEENS1_30default_config_static_selectorELNS0_4arch9wavefront6targetE0EEEvSK_.num_named_barrier, 0
	.set _ZN7rocprim17ROCPRIM_400000_NS6detail17trampoline_kernelINS0_14default_configENS1_36segmented_radix_sort_config_selectorIhlEEZNS1_25segmented_radix_sort_implIS3_Lb1EPKhPhPKlPlN2at6native12_GLOBAL__N_18offset_tEEE10hipError_tPvRmT1_PNSt15iterator_traitsISK_E10value_typeET2_T3_PNSL_ISQ_E10value_typeET4_jRbjT5_SW_jjP12ihipStream_tbEUlT_E2_NS1_11comp_targetILNS1_3genE9ELNS1_11target_archE1100ELNS1_3gpuE3ELNS1_3repE0EEENS1_30default_config_static_selectorELNS0_4arch9wavefront6targetE0EEEvSK_.private_seg_size, 0
	.set _ZN7rocprim17ROCPRIM_400000_NS6detail17trampoline_kernelINS0_14default_configENS1_36segmented_radix_sort_config_selectorIhlEEZNS1_25segmented_radix_sort_implIS3_Lb1EPKhPhPKlPlN2at6native12_GLOBAL__N_18offset_tEEE10hipError_tPvRmT1_PNSt15iterator_traitsISK_E10value_typeET2_T3_PNSL_ISQ_E10value_typeET4_jRbjT5_SW_jjP12ihipStream_tbEUlT_E2_NS1_11comp_targetILNS1_3genE9ELNS1_11target_archE1100ELNS1_3gpuE3ELNS1_3repE0EEENS1_30default_config_static_selectorELNS0_4arch9wavefront6targetE0EEEvSK_.uses_vcc, 0
	.set _ZN7rocprim17ROCPRIM_400000_NS6detail17trampoline_kernelINS0_14default_configENS1_36segmented_radix_sort_config_selectorIhlEEZNS1_25segmented_radix_sort_implIS3_Lb1EPKhPhPKlPlN2at6native12_GLOBAL__N_18offset_tEEE10hipError_tPvRmT1_PNSt15iterator_traitsISK_E10value_typeET2_T3_PNSL_ISQ_E10value_typeET4_jRbjT5_SW_jjP12ihipStream_tbEUlT_E2_NS1_11comp_targetILNS1_3genE9ELNS1_11target_archE1100ELNS1_3gpuE3ELNS1_3repE0EEENS1_30default_config_static_selectorELNS0_4arch9wavefront6targetE0EEEvSK_.uses_flat_scratch, 0
	.set _ZN7rocprim17ROCPRIM_400000_NS6detail17trampoline_kernelINS0_14default_configENS1_36segmented_radix_sort_config_selectorIhlEEZNS1_25segmented_radix_sort_implIS3_Lb1EPKhPhPKlPlN2at6native12_GLOBAL__N_18offset_tEEE10hipError_tPvRmT1_PNSt15iterator_traitsISK_E10value_typeET2_T3_PNSL_ISQ_E10value_typeET4_jRbjT5_SW_jjP12ihipStream_tbEUlT_E2_NS1_11comp_targetILNS1_3genE9ELNS1_11target_archE1100ELNS1_3gpuE3ELNS1_3repE0EEENS1_30default_config_static_selectorELNS0_4arch9wavefront6targetE0EEEvSK_.has_dyn_sized_stack, 0
	.set _ZN7rocprim17ROCPRIM_400000_NS6detail17trampoline_kernelINS0_14default_configENS1_36segmented_radix_sort_config_selectorIhlEEZNS1_25segmented_radix_sort_implIS3_Lb1EPKhPhPKlPlN2at6native12_GLOBAL__N_18offset_tEEE10hipError_tPvRmT1_PNSt15iterator_traitsISK_E10value_typeET2_T3_PNSL_ISQ_E10value_typeET4_jRbjT5_SW_jjP12ihipStream_tbEUlT_E2_NS1_11comp_targetILNS1_3genE9ELNS1_11target_archE1100ELNS1_3gpuE3ELNS1_3repE0EEENS1_30default_config_static_selectorELNS0_4arch9wavefront6targetE0EEEvSK_.has_recursion, 0
	.set _ZN7rocprim17ROCPRIM_400000_NS6detail17trampoline_kernelINS0_14default_configENS1_36segmented_radix_sort_config_selectorIhlEEZNS1_25segmented_radix_sort_implIS3_Lb1EPKhPhPKlPlN2at6native12_GLOBAL__N_18offset_tEEE10hipError_tPvRmT1_PNSt15iterator_traitsISK_E10value_typeET2_T3_PNSL_ISQ_E10value_typeET4_jRbjT5_SW_jjP12ihipStream_tbEUlT_E2_NS1_11comp_targetILNS1_3genE9ELNS1_11target_archE1100ELNS1_3gpuE3ELNS1_3repE0EEENS1_30default_config_static_selectorELNS0_4arch9wavefront6targetE0EEEvSK_.has_indirect_call, 0
	.section	.AMDGPU.csdata,"",@progbits
; Kernel info:
; codeLenInByte = 0
; TotalNumSgprs: 0
; NumVgprs: 0
; ScratchSize: 0
; MemoryBound: 0
; FloatMode: 240
; IeeeMode: 1
; LDSByteSize: 0 bytes/workgroup (compile time only)
; SGPRBlocks: 0
; VGPRBlocks: 0
; NumSGPRsForWavesPerEU: 1
; NumVGPRsForWavesPerEU: 1
; Occupancy: 16
; WaveLimiterHint : 0
; COMPUTE_PGM_RSRC2:SCRATCH_EN: 0
; COMPUTE_PGM_RSRC2:USER_SGPR: 6
; COMPUTE_PGM_RSRC2:TRAP_HANDLER: 0
; COMPUTE_PGM_RSRC2:TGID_X_EN: 1
; COMPUTE_PGM_RSRC2:TGID_Y_EN: 0
; COMPUTE_PGM_RSRC2:TGID_Z_EN: 0
; COMPUTE_PGM_RSRC2:TIDIG_COMP_CNT: 0
	.section	.text._ZN7rocprim17ROCPRIM_400000_NS6detail17trampoline_kernelINS0_14default_configENS1_36segmented_radix_sort_config_selectorIhlEEZNS1_25segmented_radix_sort_implIS3_Lb1EPKhPhPKlPlN2at6native12_GLOBAL__N_18offset_tEEE10hipError_tPvRmT1_PNSt15iterator_traitsISK_E10value_typeET2_T3_PNSL_ISQ_E10value_typeET4_jRbjT5_SW_jjP12ihipStream_tbEUlT_E2_NS1_11comp_targetILNS1_3genE8ELNS1_11target_archE1030ELNS1_3gpuE2ELNS1_3repE0EEENS1_30default_config_static_selectorELNS0_4arch9wavefront6targetE0EEEvSK_,"axG",@progbits,_ZN7rocprim17ROCPRIM_400000_NS6detail17trampoline_kernelINS0_14default_configENS1_36segmented_radix_sort_config_selectorIhlEEZNS1_25segmented_radix_sort_implIS3_Lb1EPKhPhPKlPlN2at6native12_GLOBAL__N_18offset_tEEE10hipError_tPvRmT1_PNSt15iterator_traitsISK_E10value_typeET2_T3_PNSL_ISQ_E10value_typeET4_jRbjT5_SW_jjP12ihipStream_tbEUlT_E2_NS1_11comp_targetILNS1_3genE8ELNS1_11target_archE1030ELNS1_3gpuE2ELNS1_3repE0EEENS1_30default_config_static_selectorELNS0_4arch9wavefront6targetE0EEEvSK_,comdat
	.globl	_ZN7rocprim17ROCPRIM_400000_NS6detail17trampoline_kernelINS0_14default_configENS1_36segmented_radix_sort_config_selectorIhlEEZNS1_25segmented_radix_sort_implIS3_Lb1EPKhPhPKlPlN2at6native12_GLOBAL__N_18offset_tEEE10hipError_tPvRmT1_PNSt15iterator_traitsISK_E10value_typeET2_T3_PNSL_ISQ_E10value_typeET4_jRbjT5_SW_jjP12ihipStream_tbEUlT_E2_NS1_11comp_targetILNS1_3genE8ELNS1_11target_archE1030ELNS1_3gpuE2ELNS1_3repE0EEENS1_30default_config_static_selectorELNS0_4arch9wavefront6targetE0EEEvSK_ ; -- Begin function _ZN7rocprim17ROCPRIM_400000_NS6detail17trampoline_kernelINS0_14default_configENS1_36segmented_radix_sort_config_selectorIhlEEZNS1_25segmented_radix_sort_implIS3_Lb1EPKhPhPKlPlN2at6native12_GLOBAL__N_18offset_tEEE10hipError_tPvRmT1_PNSt15iterator_traitsISK_E10value_typeET2_T3_PNSL_ISQ_E10value_typeET4_jRbjT5_SW_jjP12ihipStream_tbEUlT_E2_NS1_11comp_targetILNS1_3genE8ELNS1_11target_archE1030ELNS1_3gpuE2ELNS1_3repE0EEENS1_30default_config_static_selectorELNS0_4arch9wavefront6targetE0EEEvSK_
	.p2align	8
	.type	_ZN7rocprim17ROCPRIM_400000_NS6detail17trampoline_kernelINS0_14default_configENS1_36segmented_radix_sort_config_selectorIhlEEZNS1_25segmented_radix_sort_implIS3_Lb1EPKhPhPKlPlN2at6native12_GLOBAL__N_18offset_tEEE10hipError_tPvRmT1_PNSt15iterator_traitsISK_E10value_typeET2_T3_PNSL_ISQ_E10value_typeET4_jRbjT5_SW_jjP12ihipStream_tbEUlT_E2_NS1_11comp_targetILNS1_3genE8ELNS1_11target_archE1030ELNS1_3gpuE2ELNS1_3repE0EEENS1_30default_config_static_selectorELNS0_4arch9wavefront6targetE0EEEvSK_,@function
_ZN7rocprim17ROCPRIM_400000_NS6detail17trampoline_kernelINS0_14default_configENS1_36segmented_radix_sort_config_selectorIhlEEZNS1_25segmented_radix_sort_implIS3_Lb1EPKhPhPKlPlN2at6native12_GLOBAL__N_18offset_tEEE10hipError_tPvRmT1_PNSt15iterator_traitsISK_E10value_typeET2_T3_PNSL_ISQ_E10value_typeET4_jRbjT5_SW_jjP12ihipStream_tbEUlT_E2_NS1_11comp_targetILNS1_3genE8ELNS1_11target_archE1030ELNS1_3gpuE2ELNS1_3repE0EEENS1_30default_config_static_selectorELNS0_4arch9wavefront6targetE0EEEvSK_: ; @_ZN7rocprim17ROCPRIM_400000_NS6detail17trampoline_kernelINS0_14default_configENS1_36segmented_radix_sort_config_selectorIhlEEZNS1_25segmented_radix_sort_implIS3_Lb1EPKhPhPKlPlN2at6native12_GLOBAL__N_18offset_tEEE10hipError_tPvRmT1_PNSt15iterator_traitsISK_E10value_typeET2_T3_PNSL_ISQ_E10value_typeET4_jRbjT5_SW_jjP12ihipStream_tbEUlT_E2_NS1_11comp_targetILNS1_3genE8ELNS1_11target_archE1030ELNS1_3gpuE2ELNS1_3repE0EEENS1_30default_config_static_selectorELNS0_4arch9wavefront6targetE0EEEvSK_
; %bb.0:
	s_add_u32 s0, s0, s8
	s_load_dwordx4 s[8:11], s[4:5], 0x34
	s_addc_u32 s1, s1, 0
	s_mov_b32 s32, 0
	s_waitcnt lgkmcnt(0)
	s_add_i32 s58, s9, s6
	s_add_i32 s59, s11, s6
	s_mul_i32 s58, s58, s8
	s_mul_i32 s59, s59, s10
	s_cmp_le_u32 s59, s58
	s_cbranch_scc1 .LBB120_1262
; %bb.1:
	s_clause 0x3
	s_load_dword s8, s[4:5], 0x30
	s_load_dwordx4 s[52:55], s[4:5], 0x20
	s_load_dwordx4 s[40:43], s[4:5], 0x44
	s_load_dwordx8 s[44:51], s[4:5], 0x0
	s_waitcnt lgkmcnt(0)
	s_bitcmp1_b32 s8, 0
	s_mov_b32 s8, -1
	s_cselect_b32 s43, -1, 0
	s_sub_i32 s60, s59, s58
	s_cmpk_lt_u32 s60, 0x1101
	s_cbranch_scc0 .LBB120_15
; %bb.2:
	s_cmpk_lt_u32 s60, 0x81
	s_cbranch_scc0 .LBB120_9
; %bb.3:
	s_load_dword s8, s[4:5], 0x5c
	s_mov_b32 s19, exec_lo
	s_waitcnt lgkmcnt(0)
	s_lshr_b32 s9, s8, 16
	s_and_b32 s8, s8, 0xffff
	v_mad_u32_u24 v3, v2, s9, v1
	v_mad_u64_u32 v[3:4], null, v3, s8, v[0:1]
	v_cmpx_gt_u32_e32 32, v3
	s_cbranch_execz .LBB120_8
; %bb.4:
	v_cndmask_b32_e64 v3, 0, 1, s43
	s_and_b32 s8, s40, 1
	v_cmp_ne_u32_e32 vcc_lo, s8, v3
	s_mov_b32 s8, -1
	s_cbranch_vccnz .LBB120_6
; %bb.5:
	v_lshlrev_b32_e32 v3, 20, v2
	v_lshlrev_b32_e32 v4, 10, v1
	s_mov_b64 s[10:11], src_shared_base
	v_mov_b32_e32 v40, v0
	v_mov_b32_e32 v41, v1
	;; [unrolled: 1-line block ×3, first 2 shown]
	v_or3_b32 v31, v0, v4, v3
	v_mov_b32_e32 v0, s44
	v_mov_b32_e32 v42, v2
	;; [unrolled: 1-line block ×14, first 2 shown]
	s_add_u32 s8, s4, 0x50
	s_addc_u32 s9, s5, 0
	s_getpc_b64 s[14:15]
	s_add_u32 s14, s14, _ZN7rocprim17ROCPRIM_400000_NS6detail26segmented_warp_sort_helperINS1_20WarpSortHelperConfigILj32ELj4ELj256EEEhlLi256ELb1EvE4sortIPKhPhPKlPlEEvT_T0_T1_T2_jjjjRNS5_12storage_typeE@rel32@lo+4
	s_addc_u32 s15, s15, _ZN7rocprim17ROCPRIM_400000_NS6detail26segmented_warp_sort_helperINS1_20WarpSortHelperConfigILj32ELj4ELj256EEEhlLi256ELb1EvE4sortIPKhPhPKlPlEEvT_T0_T1_T2_jjjjRNS5_12storage_typeE@rel32@hi+12
	s_mov_b32 s12, s6
	s_mov_b32 s13, s7
	s_mov_b64 s[20:21], s[4:5]
	s_mov_b32 s22, s7
	s_mov_b32 s23, s6
	s_swappc_b64 s[30:31], s[14:15]
	v_mov_b32_e32 v1, v41
	v_mov_b32_e32 v2, v42
	;; [unrolled: 1-line block ×3, first 2 shown]
	s_mov_b32 s6, s23
	s_mov_b32 s7, s22
	s_mov_b64 s[4:5], s[20:21]
	s_mov_b32 s8, 0
.LBB120_6:
	s_andn2_b32 vcc_lo, exec_lo, s8
	s_cbranch_vccnz .LBB120_8
; %bb.7:
	v_lshlrev_b32_e32 v3, 20, v2
	v_lshlrev_b32_e32 v4, 10, v1
	s_mov_b64 s[10:11], src_shared_base
	v_mov_b32_e32 v40, v0
	v_mov_b32_e32 v41, v1
	;; [unrolled: 1-line block ×3, first 2 shown]
	v_or3_b32 v31, v0, v4, v3
	v_mov_b32_e32 v0, s44
	v_mov_b32_e32 v42, v2
	;; [unrolled: 1-line block ×14, first 2 shown]
	s_add_u32 s8, s4, 0x50
	s_addc_u32 s9, s5, 0
	s_getpc_b64 s[14:15]
	s_add_u32 s14, s14, _ZN7rocprim17ROCPRIM_400000_NS6detail26segmented_warp_sort_helperINS1_20WarpSortHelperConfigILj32ELj4ELj256EEEhlLi256ELb1EvE4sortIPKhPhPKlPlEEvT_T0_T1_T2_jjjjRNS5_12storage_typeE@rel32@lo+4
	s_addc_u32 s15, s15, _ZN7rocprim17ROCPRIM_400000_NS6detail26segmented_warp_sort_helperINS1_20WarpSortHelperConfigILj32ELj4ELj256EEEhlLi256ELb1EvE4sortIPKhPhPKlPlEEvT_T0_T1_T2_jjjjRNS5_12storage_typeE@rel32@hi+12
	s_mov_b32 s12, s6
	s_mov_b32 s13, s7
	s_mov_b64 s[20:21], s[4:5]
	s_mov_b32 s23, s7
	s_mov_b32 s22, s6
	s_swappc_b64 s[30:31], s[14:15]
	v_mov_b32_e32 v1, v41
	v_mov_b32_e32 v2, v42
	;; [unrolled: 1-line block ×3, first 2 shown]
	s_mov_b32 s6, s22
	s_mov_b32 s7, s23
	s_mov_b64 s[4:5], s[20:21]
.LBB120_8:
	s_or_b32 exec_lo, exec_lo, s19
	s_mov_b32 s8, 0
.LBB120_9:
	s_andn2_b32 vcc_lo, exec_lo, s8
	s_cbranch_vccnz .LBB120_14
; %bb.10:
	v_cndmask_b32_e64 v3, 0, 1, s43
	s_and_b32 s8, s40, 1
	v_lshlrev_b32_e32 v41, 20, v2
	v_lshlrev_b32_e32 v42, 10, v1
	v_cmp_ne_u32_e32 vcc_lo, s8, v3
	s_mov_b32 s8, -1
	s_cbranch_vccnz .LBB120_12
; %bb.11:
	s_mov_b64 s[10:11], src_shared_base
	v_or3_b32 v31, v0, v42, v41
	v_mov_b32_e32 v40, v0
	v_mov_b32_e32 v0, s44
	;; [unrolled: 1-line block ×17, first 2 shown]
	s_add_u32 s8, s4, 0x50
	s_addc_u32 s9, s5, 0
	s_getpc_b64 s[14:15]
	s_add_u32 s14, s14, _ZN7rocprim17ROCPRIM_400000_NS6detail40segmented_radix_sort_single_block_helperIhlLj256ELj17ELb1EE4sortIPKhPhPKlPlEEbT_T0_T1_T2_jjjjRNS3_12storage_typeE@rel32@lo+4
	s_addc_u32 s15, s15, _ZN7rocprim17ROCPRIM_400000_NS6detail40segmented_radix_sort_single_block_helperIhlLj256ELj17ELb1EE4sortIPKhPhPKlPlEEbT_T0_T1_T2_jjjjRNS3_12storage_typeE@rel32@hi+12
	s_mov_b32 s12, s6
	s_mov_b32 s13, s7
	s_mov_b64 s[28:29], s[4:5]
	s_mov_b32 s33, s7
	s_mov_b32 s34, s6
	s_swappc_b64 s[30:31], s[14:15]
	v_mov_b32_e32 v1, v43
	v_mov_b32_e32 v2, v44
	;; [unrolled: 1-line block ×3, first 2 shown]
	s_mov_b32 s6, s34
	s_mov_b32 s7, s33
	s_mov_b64 s[4:5], s[28:29]
	s_mov_b32 s8, 0
.LBB120_12:
	s_andn2_b32 vcc_lo, exec_lo, s8
	s_cbranch_vccnz .LBB120_14
; %bb.13:
	s_mov_b64 s[10:11], src_shared_base
	v_or3_b32 v31, v0, v42, v41
	v_mov_b32_e32 v40, v0
	v_mov_b32_e32 v0, s44
	;; [unrolled: 1-line block ×17, first 2 shown]
	s_add_u32 s8, s4, 0x50
	s_addc_u32 s9, s5, 0
	s_getpc_b64 s[14:15]
	s_add_u32 s14, s14, _ZN7rocprim17ROCPRIM_400000_NS6detail40segmented_radix_sort_single_block_helperIhlLj256ELj17ELb1EE4sortIPKhPhPKlPlEEbT_T0_T1_T2_jjjjRNS3_12storage_typeE@rel32@lo+4
	s_addc_u32 s15, s15, _ZN7rocprim17ROCPRIM_400000_NS6detail40segmented_radix_sort_single_block_helperIhlLj256ELj17ELb1EE4sortIPKhPhPKlPlEEbT_T0_T1_T2_jjjjRNS3_12storage_typeE@rel32@hi+12
	s_mov_b32 s12, s6
	s_mov_b32 s13, s7
	s_mov_b64 s[28:29], s[4:5]
	s_mov_b32 s34, s7
	s_mov_b32 s33, s6
	s_swappc_b64 s[30:31], s[14:15]
	v_mov_b32_e32 v1, v41
	v_mov_b32_e32 v2, v42
	;; [unrolled: 1-line block ×3, first 2 shown]
	s_mov_b32 s6, s33
	s_mov_b32 s7, s34
	s_mov_b64 s[4:5], s[28:29]
.LBB120_14:
	s_mov_b32 s8, 0
.LBB120_15:
	s_andn2_b32 vcc_lo, exec_lo, s8
	s_cbranch_vccnz .LBB120_1262
; %bb.16:
	s_cmp_ge_u32 s41, s42
	s_cbranch_scc1 .LBB120_1262
; %bb.17:
	v_lshlrev_b32_e32 v43, 2, v0
	v_and_b32_e32 v3, 3, v0
	v_and_b32_e32 v5, 0xe0, v0
	s_add_u32 s56, s4, 0x50
	v_lshrrev_b32_e32 v7, 3, v0
	v_mad_u32_u24 v64, v0, 12, v43
	v_lshlrev_b32_e32 v63, 2, v3
	v_min_u32_e32 v6, 0x60, v5
	v_or_b32_e32 v3, 31, v5
	v_mul_u32_u24_e32 v68, 17, v5
	v_add_nc_u32_e32 v69, v64, v43
	v_lshlrev_b32_e32 v5, 4, v0
	v_or_b32_e32 v6, 31, v6
	v_cmp_eq_u32_e64 s4, v0, v3
	v_add_nc_u32_e32 v3, 1, v0
	v_mbcnt_lo_u32_b32 v86, -1, 0
	v_sub_nc_u32_e32 v70, v69, v5
	v_lshlrev_b32_e32 v5, 3, v68
	v_cmp_eq_u32_e64 s9, v0, v6
	v_mul_u32_u24_e32 v71, 36, v3
	v_cmp_ne_u32_e64 s14, 0x80, v3
	v_and_b32_e32 v62, 28, v7
	v_add_co_u32 v73, s15, s54, v5
	v_add_co_ci_u32_e64 v74, null, s55, 0, s15
	v_add_co_u32 v3, s15, s48, v68
	v_add_co_ci_u32_e64 v6, null, s49, 0, s15
	;; [unrolled: 2-line block ×6, first 2 shown]
	v_add_co_u32 v84, s15, s50, v5
	v_add_co_u32 v45, s8, s48, v0
	v_add_co_ci_u32_e64 v85, null, s51, 0, s15
	v_add_co_u32 v87, s15, s44, v68
	v_add_co_u32 v90, vcc_lo, v3, v86
	v_mov_b32_e32 v4, 0
	v_or_b32_e32 v44, 0x100, v0
	v_add_co_ci_u32_e64 v46, null, s49, 0, s8
	v_or_b32_e32 v47, 0x200, v0
	v_or_b32_e32 v48, 0x300, v0
	;; [unrolled: 1-line block ×15, first 2 shown]
	v_cmp_gt_u32_e64 s8, 0x80, v0
	v_or_b32_e32 v65, 0x8a00, v62
	v_cmp_gt_u32_e64 s10, 4, v0
	v_add_nc_u32_e32 v66, 0x8a00, v43
	v_cmp_lt_u32_e64 s11, 31, v0
	v_add_nc_u32_e32 v67, 0x89fc, v62
	v_cmp_gt_u32_e64 s12, 8, v0
	v_cmp_eq_u32_e64 s13, 0, v0
	v_lshlrev_b32_e32 v72, 5, v0
	v_mul_u32_u24_e32 v75, 7, v0
	v_add_co_ci_u32_e64 v88, null, s45, 0, s15
	v_mov_b32_e32 v89, 1
	v_add_co_ci_u32_e64 v91, null, 0, v6, vcc_lo
	v_mov_b32_e32 v92, 0xffff
	v_mov_b32_e32 v93, -1
	s_addc_u32 s57, s5, 0
	s_mov_b32 s51, 0
	s_mov_b32 s61, s41
	s_branch .LBB120_20
.LBB120_18:                             ;   in Loop: Header=BB120_20 Depth=1
	s_waitcnt lgkmcnt(0)
	s_barrier
.LBB120_19:                             ;   in Loop: Header=BB120_20 Depth=1
	s_add_i32 s61, s61, 7
	buffer_gl0_inv
	s_cmp_ge_u32 s61, s42
	s_cbranch_scc1 .LBB120_1262
.LBB120_20:                             ; =>This Loop Header: Depth=1
                                        ;     Child Loop BB120_24 Depth 2
                                        ;     Child Loop BB120_108 Depth 2
	;; [unrolled: 1-line block ×8, first 2 shown]
	s_sub_i32 s5, s42, s61
	s_xor_b32 s43, s43, -1
	s_min_u32 s5, s5, 7
	ds_write2st64_b32 v43, v4, v4 offset1:4
	s_lshl_b32 s5, -1, s5
	s_waitcnt lgkmcnt(0)
	s_waitcnt_vscnt null, 0x0
	s_not_b32 s62, s5
	s_cmp_lg_u32 s61, s41
	s_mov_b32 s5, -1
	s_cbranch_scc0 .LBB120_642
; %bb.21:                               ;   in Loop: Header=BB120_20 Depth=1
	s_and_b32 vcc_lo, exec_lo, s43
	s_cbranch_vccz .LBB120_331
; %bb.22:                               ;   in Loop: Header=BB120_20 Depth=1
	v_mov_b32_e32 v17, 0
	v_mov_b32_e32 v20, 0
	;; [unrolled: 1-line block ×17, first 2 shown]
	s_mov_b32 s5, s60
	s_mov_b32 s17, s58
	s_barrier
	buffer_gl0_inv
	s_branch .LBB120_24
.LBB120_23:                             ;   in Loop: Header=BB120_24 Depth=2
	s_or_b32 exec_lo, exec_lo, s16
	s_addk_i32 s5, 0xef00
	s_cmp_ge_u32 s15, s59
	s_mov_b32 s17, s15
	s_cbranch_scc1 .LBB120_96
.LBB120_24:                             ;   Parent Loop BB120_20 Depth=1
                                        ; =>  This Inner Loop Header: Depth=2
	s_add_i32 s15, s17, 0x1100
	s_mov_b32 s16, -1
	s_cmp_gt_u32 s15, s59
                                        ; implicit-def: $vgpr21
                                        ; implicit-def: $vgpr22
                                        ; implicit-def: $vgpr23
                                        ; implicit-def: $vgpr24
                                        ; implicit-def: $vgpr25
                                        ; implicit-def: $vgpr26
                                        ; implicit-def: $vgpr27
                                        ; implicit-def: $vgpr28
                                        ; implicit-def: $vgpr29
                                        ; implicit-def: $vgpr30
                                        ; implicit-def: $vgpr31
                                        ; implicit-def: $vgpr32
                                        ; implicit-def: $vgpr33
                                        ; implicit-def: $vgpr34
                                        ; implicit-def: $vgpr35
                                        ; implicit-def: $vgpr36
                                        ; implicit-def: $vgpr37
	s_cbranch_scc1 .LBB120_26
; %bb.25:                               ;   in Loop: Header=BB120_24 Depth=2
	v_add_co_u32 v38, vcc_lo, v45, s17
	v_add_co_ci_u32_e64 v39, null, 0, v46, vcc_lo
	s_mov_b32 s16, 0
	v_add_co_u32 v21, vcc_lo, 0x800, v38
	v_add_co_ci_u32_e64 v22, null, 0, v39, vcc_lo
	v_add_co_u32 v23, vcc_lo, 0x1000, v38
	v_add_co_ci_u32_e64 v24, null, 0, v39, vcc_lo
	s_clause 0x10
	global_load_ubyte v36, v[21:22], off offset:1792
	global_load_ubyte v37, v[23:24], off
	global_load_ubyte v35, v[21:22], off offset:1536
	global_load_ubyte v34, v[21:22], off offset:1280
	;; [unrolled: 1-line block ×6, first 2 shown]
	global_load_ubyte v29, v[21:22], off
	global_load_ubyte v28, v[38:39], off offset:1792
	global_load_ubyte v27, v[38:39], off offset:1536
	;; [unrolled: 1-line block ×7, first 2 shown]
	global_load_ubyte v21, v[38:39], off
.LBB120_26:                             ;   in Loop: Header=BB120_24 Depth=2
	s_andn2_b32 vcc_lo, exec_lo, s16
	s_movk_i32 s16, 0x1100
	s_cbranch_vccnz .LBB120_46
; %bb.27:                               ;   in Loop: Header=BB120_24 Depth=2
	s_add_u32 s16, s48, s17
	s_addc_u32 s17, s49, 0
	s_mov_b32 s18, exec_lo
	v_cmpx_gt_u32_e64 s5, v0
	s_cbranch_execnz .LBB120_80
; %bb.28:                               ;   in Loop: Header=BB120_24 Depth=2
	s_or_b32 exec_lo, exec_lo, s18
	s_mov_b32 s18, exec_lo
	v_cmpx_gt_u32_e64 s5, v44
	s_cbranch_execnz .LBB120_81
.LBB120_29:                             ;   in Loop: Header=BB120_24 Depth=2
	s_or_b32 exec_lo, exec_lo, s18
	s_mov_b32 s18, exec_lo
	v_cmpx_gt_u32_e64 s5, v47
	s_cbranch_execnz .LBB120_82
.LBB120_30:                             ;   in Loop: Header=BB120_24 Depth=2
	s_or_b32 exec_lo, exec_lo, s18
	s_mov_b32 s18, exec_lo
	v_cmpx_gt_u32_e64 s5, v48
	s_cbranch_execnz .LBB120_83
.LBB120_31:                             ;   in Loop: Header=BB120_24 Depth=2
	s_or_b32 exec_lo, exec_lo, s18
	s_mov_b32 s18, exec_lo
	v_cmpx_gt_u32_e64 s5, v49
	s_cbranch_execnz .LBB120_84
.LBB120_32:                             ;   in Loop: Header=BB120_24 Depth=2
	s_or_b32 exec_lo, exec_lo, s18
	s_mov_b32 s18, exec_lo
	v_cmpx_gt_u32_e64 s5, v50
	s_cbranch_execnz .LBB120_85
.LBB120_33:                             ;   in Loop: Header=BB120_24 Depth=2
	s_or_b32 exec_lo, exec_lo, s18
	s_mov_b32 s18, exec_lo
	v_cmpx_gt_u32_e64 s5, v51
	s_cbranch_execnz .LBB120_86
.LBB120_34:                             ;   in Loop: Header=BB120_24 Depth=2
	s_or_b32 exec_lo, exec_lo, s18
	s_mov_b32 s18, exec_lo
	v_cmpx_gt_u32_e64 s5, v52
	s_cbranch_execnz .LBB120_87
.LBB120_35:                             ;   in Loop: Header=BB120_24 Depth=2
	s_or_b32 exec_lo, exec_lo, s18
	s_mov_b32 s18, exec_lo
	v_cmpx_gt_u32_e64 s5, v53
	s_cbranch_execnz .LBB120_88
.LBB120_36:                             ;   in Loop: Header=BB120_24 Depth=2
	s_or_b32 exec_lo, exec_lo, s18
	s_mov_b32 s18, exec_lo
	v_cmpx_gt_u32_e64 s5, v54
	s_cbranch_execnz .LBB120_89
.LBB120_37:                             ;   in Loop: Header=BB120_24 Depth=2
	s_or_b32 exec_lo, exec_lo, s18
	s_mov_b32 s18, exec_lo
	v_cmpx_gt_u32_e64 s5, v55
	s_cbranch_execnz .LBB120_90
.LBB120_38:                             ;   in Loop: Header=BB120_24 Depth=2
	s_or_b32 exec_lo, exec_lo, s18
	s_mov_b32 s18, exec_lo
	v_cmpx_gt_u32_e64 s5, v56
	s_cbranch_execnz .LBB120_91
.LBB120_39:                             ;   in Loop: Header=BB120_24 Depth=2
	s_or_b32 exec_lo, exec_lo, s18
	s_mov_b32 s18, exec_lo
	v_cmpx_gt_u32_e64 s5, v57
	s_cbranch_execnz .LBB120_92
.LBB120_40:                             ;   in Loop: Header=BB120_24 Depth=2
	s_or_b32 exec_lo, exec_lo, s18
	s_mov_b32 s18, exec_lo
	v_cmpx_gt_u32_e64 s5, v58
	s_cbranch_execnz .LBB120_93
.LBB120_41:                             ;   in Loop: Header=BB120_24 Depth=2
	s_or_b32 exec_lo, exec_lo, s18
	s_mov_b32 s18, exec_lo
	v_cmpx_gt_u32_e64 s5, v59
	s_cbranch_execnz .LBB120_94
.LBB120_42:                             ;   in Loop: Header=BB120_24 Depth=2
	s_or_b32 exec_lo, exec_lo, s18
	s_mov_b32 s18, exec_lo
	v_cmpx_gt_u32_e64 s5, v60
	s_cbranch_execnz .LBB120_95
.LBB120_43:                             ;   in Loop: Header=BB120_24 Depth=2
	s_or_b32 exec_lo, exec_lo, s18
	s_mov_b32 s18, exec_lo
	v_cmpx_gt_u32_e64 s5, v61
	s_cbranch_execz .LBB120_45
.LBB120_44:                             ;   in Loop: Header=BB120_24 Depth=2
	s_waitcnt vmcnt(0)
	v_add_co_u32 v21, s16, s16, v61
	v_add_co_ci_u32_e64 v22, null, s17, 0, s16
	global_load_ubyte v3, v[21:22], off
.LBB120_45:                             ;   in Loop: Header=BB120_24 Depth=2
	s_or_b32 exec_lo, exec_lo, s18
	s_waitcnt vmcnt(0)
	v_mov_b32_e32 v21, v17
	v_mov_b32_e32 v22, v20
	;; [unrolled: 1-line block ×17, first 2 shown]
	s_mov_b32 s16, s5
.LBB120_46:                             ;   in Loop: Header=BB120_24 Depth=2
	s_waitcnt vmcnt(15)
	v_mov_b32_e32 v3, v37
	v_mov_b32_e32 v5, v36
	s_waitcnt vmcnt(14)
	v_mov_b32_e32 v6, v35
	s_waitcnt vmcnt(13)
	;; [unrolled: 2-line block ×15, first 2 shown]
	v_mov_b32_e32 v17, v21
	s_mov_b32 s17, exec_lo
	v_cmpx_gt_u32_e64 s16, v0
	s_cbranch_execnz .LBB120_63
; %bb.47:                               ;   in Loop: Header=BB120_24 Depth=2
	s_or_b32 exec_lo, exec_lo, s17
	s_mov_b32 s17, exec_lo
	v_cmpx_gt_u32_e64 s16, v44
	s_cbranch_execnz .LBB120_64
.LBB120_48:                             ;   in Loop: Header=BB120_24 Depth=2
	s_or_b32 exec_lo, exec_lo, s17
	s_mov_b32 s17, exec_lo
	v_cmpx_gt_u32_e64 s16, v47
	s_cbranch_execnz .LBB120_65
.LBB120_49:                             ;   in Loop: Header=BB120_24 Depth=2
	s_or_b32 exec_lo, exec_lo, s17
	s_mov_b32 s17, exec_lo
	v_cmpx_gt_u32_e64 s16, v48
	s_cbranch_execnz .LBB120_66
.LBB120_50:                             ;   in Loop: Header=BB120_24 Depth=2
	s_or_b32 exec_lo, exec_lo, s17
	s_mov_b32 s17, exec_lo
	v_cmpx_gt_u32_e64 s16, v49
	s_cbranch_execnz .LBB120_67
.LBB120_51:                             ;   in Loop: Header=BB120_24 Depth=2
	s_or_b32 exec_lo, exec_lo, s17
	s_mov_b32 s17, exec_lo
	v_cmpx_gt_u32_e64 s16, v50
	s_cbranch_execnz .LBB120_68
.LBB120_52:                             ;   in Loop: Header=BB120_24 Depth=2
	s_or_b32 exec_lo, exec_lo, s17
	s_mov_b32 s17, exec_lo
	v_cmpx_gt_u32_e64 s16, v51
	s_cbranch_execnz .LBB120_69
.LBB120_53:                             ;   in Loop: Header=BB120_24 Depth=2
	s_or_b32 exec_lo, exec_lo, s17
	s_mov_b32 s17, exec_lo
	v_cmpx_gt_u32_e64 s16, v52
	s_cbranch_execnz .LBB120_70
.LBB120_54:                             ;   in Loop: Header=BB120_24 Depth=2
	s_or_b32 exec_lo, exec_lo, s17
	s_mov_b32 s17, exec_lo
	v_cmpx_gt_u32_e64 s16, v53
	s_cbranch_execnz .LBB120_71
.LBB120_55:                             ;   in Loop: Header=BB120_24 Depth=2
	s_or_b32 exec_lo, exec_lo, s17
	s_mov_b32 s17, exec_lo
	v_cmpx_gt_u32_e64 s16, v54
	s_cbranch_execnz .LBB120_72
.LBB120_56:                             ;   in Loop: Header=BB120_24 Depth=2
	s_or_b32 exec_lo, exec_lo, s17
	s_mov_b32 s17, exec_lo
	v_cmpx_gt_u32_e64 s16, v55
	s_cbranch_execnz .LBB120_73
.LBB120_57:                             ;   in Loop: Header=BB120_24 Depth=2
	s_or_b32 exec_lo, exec_lo, s17
	s_mov_b32 s17, exec_lo
	v_cmpx_gt_u32_e64 s16, v56
	s_cbranch_execnz .LBB120_74
.LBB120_58:                             ;   in Loop: Header=BB120_24 Depth=2
	s_or_b32 exec_lo, exec_lo, s17
	s_mov_b32 s17, exec_lo
	v_cmpx_gt_u32_e64 s16, v57
	s_cbranch_execnz .LBB120_75
.LBB120_59:                             ;   in Loop: Header=BB120_24 Depth=2
	s_or_b32 exec_lo, exec_lo, s17
	s_mov_b32 s17, exec_lo
	v_cmpx_gt_u32_e64 s16, v58
	s_cbranch_execnz .LBB120_76
.LBB120_60:                             ;   in Loop: Header=BB120_24 Depth=2
	s_or_b32 exec_lo, exec_lo, s17
	s_mov_b32 s17, exec_lo
	v_cmpx_gt_u32_e64 s16, v59
	s_cbranch_execnz .LBB120_77
.LBB120_61:                             ;   in Loop: Header=BB120_24 Depth=2
	s_or_b32 exec_lo, exec_lo, s17
	s_mov_b32 s17, exec_lo
	v_cmpx_gt_u32_e64 s16, v60
	s_cbranch_execnz .LBB120_78
.LBB120_62:                             ;   in Loop: Header=BB120_24 Depth=2
	s_or_b32 exec_lo, exec_lo, s17
	v_cmp_gt_u32_e32 vcc_lo, s16, v61
	s_and_saveexec_b32 s16, vcc_lo
	s_cbranch_execz .LBB120_23
	s_branch .LBB120_79
.LBB120_63:                             ;   in Loop: Header=BB120_24 Depth=2
	v_xor_b32_e32 v21, -1, v17
	v_lshrrev_b32_sdwa v21, s61, v21 dst_sel:DWORD dst_unused:UNUSED_PAD src0_sel:DWORD src1_sel:BYTE_0
	v_and_b32_e32 v21, s62, v21
	v_lshl_or_b32 v21, v21, 4, v63
	ds_add_u32 v21, v89
	s_or_b32 exec_lo, exec_lo, s17
	s_mov_b32 s17, exec_lo
	v_cmpx_gt_u32_e64 s16, v44
	s_cbranch_execz .LBB120_48
.LBB120_64:                             ;   in Loop: Header=BB120_24 Depth=2
	v_xor_b32_e32 v21, -1, v20
	v_lshrrev_b32_sdwa v21, s61, v21 dst_sel:DWORD dst_unused:UNUSED_PAD src0_sel:DWORD src1_sel:BYTE_0
	v_and_b32_e32 v21, s62, v21
	v_lshl_or_b32 v21, v21, 4, v63
	ds_add_u32 v21, v89
	s_or_b32 exec_lo, exec_lo, s17
	s_mov_b32 s17, exec_lo
	v_cmpx_gt_u32_e64 s16, v47
	s_cbranch_execz .LBB120_49
.LBB120_65:                             ;   in Loop: Header=BB120_24 Depth=2
	v_xor_b32_e32 v21, -1, v19
	v_lshrrev_b32_sdwa v21, s61, v21 dst_sel:DWORD dst_unused:UNUSED_PAD src0_sel:DWORD src1_sel:BYTE_0
	v_and_b32_e32 v21, s62, v21
	v_lshl_or_b32 v21, v21, 4, v63
	ds_add_u32 v21, v89
	s_or_b32 exec_lo, exec_lo, s17
	s_mov_b32 s17, exec_lo
	v_cmpx_gt_u32_e64 s16, v48
	s_cbranch_execz .LBB120_50
.LBB120_66:                             ;   in Loop: Header=BB120_24 Depth=2
	v_xor_b32_e32 v21, -1, v18
	v_lshrrev_b32_sdwa v21, s61, v21 dst_sel:DWORD dst_unused:UNUSED_PAD src0_sel:DWORD src1_sel:BYTE_0
	v_and_b32_e32 v21, s62, v21
	v_lshl_or_b32 v21, v21, 4, v63
	ds_add_u32 v21, v89
	s_or_b32 exec_lo, exec_lo, s17
	s_mov_b32 s17, exec_lo
	v_cmpx_gt_u32_e64 s16, v49
	s_cbranch_execz .LBB120_51
.LBB120_67:                             ;   in Loop: Header=BB120_24 Depth=2
	v_xor_b32_e32 v21, -1, v16
	v_lshrrev_b32_sdwa v21, s61, v21 dst_sel:DWORD dst_unused:UNUSED_PAD src0_sel:DWORD src1_sel:BYTE_0
	v_and_b32_e32 v21, s62, v21
	v_lshl_or_b32 v21, v21, 4, v63
	ds_add_u32 v21, v89
	s_or_b32 exec_lo, exec_lo, s17
	s_mov_b32 s17, exec_lo
	v_cmpx_gt_u32_e64 s16, v50
	s_cbranch_execz .LBB120_52
.LBB120_68:                             ;   in Loop: Header=BB120_24 Depth=2
	v_xor_b32_e32 v21, -1, v15
	v_lshrrev_b32_sdwa v21, s61, v21 dst_sel:DWORD dst_unused:UNUSED_PAD src0_sel:DWORD src1_sel:BYTE_0
	v_and_b32_e32 v21, s62, v21
	v_lshl_or_b32 v21, v21, 4, v63
	ds_add_u32 v21, v89
	s_or_b32 exec_lo, exec_lo, s17
	s_mov_b32 s17, exec_lo
	v_cmpx_gt_u32_e64 s16, v51
	s_cbranch_execz .LBB120_53
.LBB120_69:                             ;   in Loop: Header=BB120_24 Depth=2
	v_xor_b32_e32 v21, -1, v14
	v_lshrrev_b32_sdwa v21, s61, v21 dst_sel:DWORD dst_unused:UNUSED_PAD src0_sel:DWORD src1_sel:BYTE_0
	v_and_b32_e32 v21, s62, v21
	v_lshl_or_b32 v21, v21, 4, v63
	ds_add_u32 v21, v89
	s_or_b32 exec_lo, exec_lo, s17
	s_mov_b32 s17, exec_lo
	v_cmpx_gt_u32_e64 s16, v52
	s_cbranch_execz .LBB120_54
.LBB120_70:                             ;   in Loop: Header=BB120_24 Depth=2
	v_xor_b32_e32 v21, -1, v13
	v_lshrrev_b32_sdwa v21, s61, v21 dst_sel:DWORD dst_unused:UNUSED_PAD src0_sel:DWORD src1_sel:BYTE_0
	v_and_b32_e32 v21, s62, v21
	v_lshl_or_b32 v21, v21, 4, v63
	ds_add_u32 v21, v89
	s_or_b32 exec_lo, exec_lo, s17
	s_mov_b32 s17, exec_lo
	v_cmpx_gt_u32_e64 s16, v53
	s_cbranch_execz .LBB120_55
.LBB120_71:                             ;   in Loop: Header=BB120_24 Depth=2
	v_xor_b32_e32 v21, -1, v12
	v_lshrrev_b32_sdwa v21, s61, v21 dst_sel:DWORD dst_unused:UNUSED_PAD src0_sel:DWORD src1_sel:BYTE_0
	v_and_b32_e32 v21, s62, v21
	v_lshl_or_b32 v21, v21, 4, v63
	ds_add_u32 v21, v89
	s_or_b32 exec_lo, exec_lo, s17
	s_mov_b32 s17, exec_lo
	v_cmpx_gt_u32_e64 s16, v54
	s_cbranch_execz .LBB120_56
.LBB120_72:                             ;   in Loop: Header=BB120_24 Depth=2
	v_xor_b32_e32 v21, -1, v11
	v_lshrrev_b32_sdwa v21, s61, v21 dst_sel:DWORD dst_unused:UNUSED_PAD src0_sel:DWORD src1_sel:BYTE_0
	v_and_b32_e32 v21, s62, v21
	v_lshl_or_b32 v21, v21, 4, v63
	ds_add_u32 v21, v89
	s_or_b32 exec_lo, exec_lo, s17
	s_mov_b32 s17, exec_lo
	v_cmpx_gt_u32_e64 s16, v55
	s_cbranch_execz .LBB120_57
.LBB120_73:                             ;   in Loop: Header=BB120_24 Depth=2
	v_xor_b32_e32 v21, -1, v10
	v_lshrrev_b32_sdwa v21, s61, v21 dst_sel:DWORD dst_unused:UNUSED_PAD src0_sel:DWORD src1_sel:BYTE_0
	v_and_b32_e32 v21, s62, v21
	v_lshl_or_b32 v21, v21, 4, v63
	ds_add_u32 v21, v89
	s_or_b32 exec_lo, exec_lo, s17
	s_mov_b32 s17, exec_lo
	v_cmpx_gt_u32_e64 s16, v56
	s_cbranch_execz .LBB120_58
.LBB120_74:                             ;   in Loop: Header=BB120_24 Depth=2
	v_xor_b32_e32 v21, -1, v9
	v_lshrrev_b32_sdwa v21, s61, v21 dst_sel:DWORD dst_unused:UNUSED_PAD src0_sel:DWORD src1_sel:BYTE_0
	v_and_b32_e32 v21, s62, v21
	v_lshl_or_b32 v21, v21, 4, v63
	ds_add_u32 v21, v89
	s_or_b32 exec_lo, exec_lo, s17
	s_mov_b32 s17, exec_lo
	v_cmpx_gt_u32_e64 s16, v57
	s_cbranch_execz .LBB120_59
.LBB120_75:                             ;   in Loop: Header=BB120_24 Depth=2
	v_xor_b32_e32 v21, -1, v8
	v_lshrrev_b32_sdwa v21, s61, v21 dst_sel:DWORD dst_unused:UNUSED_PAD src0_sel:DWORD src1_sel:BYTE_0
	v_and_b32_e32 v21, s62, v21
	v_lshl_or_b32 v21, v21, 4, v63
	ds_add_u32 v21, v89
	s_or_b32 exec_lo, exec_lo, s17
	s_mov_b32 s17, exec_lo
	v_cmpx_gt_u32_e64 s16, v58
	s_cbranch_execz .LBB120_60
.LBB120_76:                             ;   in Loop: Header=BB120_24 Depth=2
	v_xor_b32_e32 v21, -1, v7
	v_lshrrev_b32_sdwa v21, s61, v21 dst_sel:DWORD dst_unused:UNUSED_PAD src0_sel:DWORD src1_sel:BYTE_0
	v_and_b32_e32 v21, s62, v21
	v_lshl_or_b32 v21, v21, 4, v63
	ds_add_u32 v21, v89
	s_or_b32 exec_lo, exec_lo, s17
	s_mov_b32 s17, exec_lo
	v_cmpx_gt_u32_e64 s16, v59
	s_cbranch_execz .LBB120_61
.LBB120_77:                             ;   in Loop: Header=BB120_24 Depth=2
	v_xor_b32_e32 v21, -1, v6
	v_lshrrev_b32_sdwa v21, s61, v21 dst_sel:DWORD dst_unused:UNUSED_PAD src0_sel:DWORD src1_sel:BYTE_0
	v_and_b32_e32 v21, s62, v21
	v_lshl_or_b32 v21, v21, 4, v63
	ds_add_u32 v21, v89
	s_or_b32 exec_lo, exec_lo, s17
	s_mov_b32 s17, exec_lo
	v_cmpx_gt_u32_e64 s16, v60
	s_cbranch_execz .LBB120_62
.LBB120_78:                             ;   in Loop: Header=BB120_24 Depth=2
	v_xor_b32_e32 v21, -1, v5
	v_lshrrev_b32_sdwa v21, s61, v21 dst_sel:DWORD dst_unused:UNUSED_PAD src0_sel:DWORD src1_sel:BYTE_0
	v_and_b32_e32 v21, s62, v21
	v_lshl_or_b32 v21, v21, 4, v63
	ds_add_u32 v21, v89
	s_or_b32 exec_lo, exec_lo, s17
	v_cmp_gt_u32_e32 vcc_lo, s16, v61
	s_and_saveexec_b32 s16, vcc_lo
	s_cbranch_execz .LBB120_23
.LBB120_79:                             ;   in Loop: Header=BB120_24 Depth=2
	v_xor_b32_e32 v21, -1, v3
	v_lshrrev_b32_sdwa v21, s61, v21 dst_sel:DWORD dst_unused:UNUSED_PAD src0_sel:DWORD src1_sel:BYTE_0
	v_and_b32_e32 v21, s62, v21
	v_lshl_or_b32 v21, v21, 4, v63
	ds_add_u32 v21, v89
	s_branch .LBB120_23
.LBB120_80:                             ;   in Loop: Header=BB120_24 Depth=2
	s_waitcnt vmcnt(0)
	v_add_co_u32 v21, s19, s16, v0
	v_add_co_ci_u32_e64 v22, null, s17, 0, s19
	global_load_ubyte v17, v[21:22], off
	s_or_b32 exec_lo, exec_lo, s18
	s_mov_b32 s18, exec_lo
	v_cmpx_gt_u32_e64 s5, v44
	s_cbranch_execz .LBB120_29
.LBB120_81:                             ;   in Loop: Header=BB120_24 Depth=2
	v_add_co_u32 v20, s19, s16, v0
	s_waitcnt vmcnt(0)
	v_add_co_ci_u32_e64 v21, null, s17, 0, s19
	global_load_ubyte v20, v[20:21], off offset:256
	s_or_b32 exec_lo, exec_lo, s18
	s_mov_b32 s18, exec_lo
	v_cmpx_gt_u32_e64 s5, v47
	s_cbranch_execz .LBB120_30
.LBB120_82:                             ;   in Loop: Header=BB120_24 Depth=2
	s_waitcnt vmcnt(0)
	v_add_co_u32 v21, s19, s16, v0
	v_add_co_ci_u32_e64 v22, null, s17, 0, s19
	global_load_ubyte v19, v[21:22], off offset:512
	s_or_b32 exec_lo, exec_lo, s18
	s_mov_b32 s18, exec_lo
	v_cmpx_gt_u32_e64 s5, v48
	s_cbranch_execz .LBB120_31
.LBB120_83:                             ;   in Loop: Header=BB120_24 Depth=2
	s_waitcnt vmcnt(0)
	v_add_co_u32 v21, s19, s16, v0
	v_add_co_ci_u32_e64 v22, null, s17, 0, s19
	global_load_ubyte v18, v[21:22], off offset:768
	s_or_b32 exec_lo, exec_lo, s18
	s_mov_b32 s18, exec_lo
	v_cmpx_gt_u32_e64 s5, v49
	s_cbranch_execz .LBB120_32
.LBB120_84:                             ;   in Loop: Header=BB120_24 Depth=2
	s_waitcnt vmcnt(0)
	v_add_co_u32 v21, s19, s16, v0
	v_add_co_ci_u32_e64 v22, null, s17, 0, s19
	global_load_ubyte v16, v[21:22], off offset:1024
	s_or_b32 exec_lo, exec_lo, s18
	s_mov_b32 s18, exec_lo
	v_cmpx_gt_u32_e64 s5, v50
	s_cbranch_execz .LBB120_33
.LBB120_85:                             ;   in Loop: Header=BB120_24 Depth=2
	s_waitcnt vmcnt(0)
	v_add_co_u32 v21, s19, s16, v0
	v_add_co_ci_u32_e64 v22, null, s17, 0, s19
	global_load_ubyte v15, v[21:22], off offset:1280
	s_or_b32 exec_lo, exec_lo, s18
	s_mov_b32 s18, exec_lo
	v_cmpx_gt_u32_e64 s5, v51
	s_cbranch_execz .LBB120_34
.LBB120_86:                             ;   in Loop: Header=BB120_24 Depth=2
	s_waitcnt vmcnt(0)
	v_add_co_u32 v21, s19, s16, v0
	v_add_co_ci_u32_e64 v22, null, s17, 0, s19
	global_load_ubyte v14, v[21:22], off offset:1536
	s_or_b32 exec_lo, exec_lo, s18
	s_mov_b32 s18, exec_lo
	v_cmpx_gt_u32_e64 s5, v52
	s_cbranch_execz .LBB120_35
.LBB120_87:                             ;   in Loop: Header=BB120_24 Depth=2
	s_waitcnt vmcnt(0)
	v_add_co_u32 v21, s19, s16, v0
	v_add_co_ci_u32_e64 v22, null, s17, 0, s19
	global_load_ubyte v13, v[21:22], off offset:1792
	s_or_b32 exec_lo, exec_lo, s18
	s_mov_b32 s18, exec_lo
	v_cmpx_gt_u32_e64 s5, v53
	s_cbranch_execz .LBB120_36
.LBB120_88:                             ;   in Loop: Header=BB120_24 Depth=2
	s_waitcnt vmcnt(0)
	v_add_co_u32 v21, s19, s16, v53
	v_add_co_ci_u32_e64 v22, null, s17, 0, s19
	global_load_ubyte v12, v[21:22], off
	s_or_b32 exec_lo, exec_lo, s18
	s_mov_b32 s18, exec_lo
	v_cmpx_gt_u32_e64 s5, v54
	s_cbranch_execz .LBB120_37
.LBB120_89:                             ;   in Loop: Header=BB120_24 Depth=2
	s_waitcnt vmcnt(0)
	v_add_co_u32 v21, s19, s16, v54
	v_add_co_ci_u32_e64 v22, null, s17, 0, s19
	global_load_ubyte v11, v[21:22], off
	s_or_b32 exec_lo, exec_lo, s18
	s_mov_b32 s18, exec_lo
	v_cmpx_gt_u32_e64 s5, v55
	s_cbranch_execz .LBB120_38
.LBB120_90:                             ;   in Loop: Header=BB120_24 Depth=2
	s_waitcnt vmcnt(0)
	v_add_co_u32 v21, s19, s16, v55
	v_add_co_ci_u32_e64 v22, null, s17, 0, s19
	global_load_ubyte v10, v[21:22], off
	s_or_b32 exec_lo, exec_lo, s18
	s_mov_b32 s18, exec_lo
	v_cmpx_gt_u32_e64 s5, v56
	s_cbranch_execz .LBB120_39
.LBB120_91:                             ;   in Loop: Header=BB120_24 Depth=2
	s_waitcnt vmcnt(0)
	v_add_co_u32 v21, s19, s16, v56
	v_add_co_ci_u32_e64 v22, null, s17, 0, s19
	global_load_ubyte v9, v[21:22], off
	s_or_b32 exec_lo, exec_lo, s18
	s_mov_b32 s18, exec_lo
	v_cmpx_gt_u32_e64 s5, v57
	s_cbranch_execz .LBB120_40
.LBB120_92:                             ;   in Loop: Header=BB120_24 Depth=2
	s_waitcnt vmcnt(0)
	v_add_co_u32 v21, s19, s16, v57
	v_add_co_ci_u32_e64 v22, null, s17, 0, s19
	global_load_ubyte v8, v[21:22], off
	s_or_b32 exec_lo, exec_lo, s18
	s_mov_b32 s18, exec_lo
	v_cmpx_gt_u32_e64 s5, v58
	s_cbranch_execz .LBB120_41
.LBB120_93:                             ;   in Loop: Header=BB120_24 Depth=2
	s_waitcnt vmcnt(0)
	v_add_co_u32 v21, s19, s16, v58
	v_add_co_ci_u32_e64 v22, null, s17, 0, s19
	global_load_ubyte v7, v[21:22], off
	s_or_b32 exec_lo, exec_lo, s18
	s_mov_b32 s18, exec_lo
	v_cmpx_gt_u32_e64 s5, v59
	s_cbranch_execz .LBB120_42
.LBB120_94:                             ;   in Loop: Header=BB120_24 Depth=2
	s_waitcnt vmcnt(0)
	v_add_co_u32 v21, s19, s16, v59
	v_add_co_ci_u32_e64 v22, null, s17, 0, s19
	global_load_ubyte v6, v[21:22], off
	s_or_b32 exec_lo, exec_lo, s18
	s_mov_b32 s18, exec_lo
	v_cmpx_gt_u32_e64 s5, v60
	s_cbranch_execz .LBB120_43
.LBB120_95:                             ;   in Loop: Header=BB120_24 Depth=2
	s_waitcnt vmcnt(0)
	v_add_co_u32 v21, s19, s16, v60
	v_add_co_ci_u32_e64 v22, null, s17, 0, s19
	global_load_ubyte v5, v[21:22], off
	s_or_b32 exec_lo, exec_lo, s18
	s_mov_b32 s18, exec_lo
	v_cmpx_gt_u32_e64 s5, v61
	s_cbranch_execnz .LBB120_44
	s_branch .LBB120_45
.LBB120_96:                             ;   in Loop: Header=BB120_20 Depth=1
	v_mov_b32_e32 v3, 0
	s_waitcnt lgkmcnt(0)
	s_barrier
	buffer_gl0_inv
	s_and_saveexec_b32 s5, s8
	s_cbranch_execz .LBB120_98
; %bb.97:                               ;   in Loop: Header=BB120_20 Depth=1
	ds_read2_b64 v[5:8], v64 offset1:1
	s_waitcnt lgkmcnt(0)
	v_add_nc_u32_e32 v3, v6, v5
	v_add3_u32 v3, v3, v7, v8
.LBB120_98:                             ;   in Loop: Header=BB120_20 Depth=1
	s_or_b32 exec_lo, exec_lo, s5
	v_and_b32_e32 v5, 15, v86
	v_mov_b32_dpp v6, v3 row_shr:1 row_mask:0xf bank_mask:0xf
	v_and_b32_e32 v7, 16, v86
	v_cmp_eq_u32_e64 s5, 0, v5
	v_cmp_lt_u32_e64 s15, 1, v5
	v_cmp_lt_u32_e64 s16, 3, v5
	v_cmp_lt_u32_e64 s17, 7, v5
	v_cmp_eq_u32_e64 s18, 0, v7
	v_cndmask_b32_e64 v6, v6, 0, s5
	v_add_nc_u32_e32 v3, v6, v3
	v_mov_b32_dpp v6, v3 row_shr:2 row_mask:0xf bank_mask:0xf
	v_cndmask_b32_e64 v6, 0, v6, s15
	v_add_nc_u32_e32 v3, v3, v6
	v_mov_b32_dpp v6, v3 row_shr:4 row_mask:0xf bank_mask:0xf
	;; [unrolled: 3-line block ×3, first 2 shown]
	v_cndmask_b32_e64 v5, 0, v6, s17
	v_bfe_i32 v6, v86, 4, 1
	v_add_nc_u32_e32 v3, v3, v5
	ds_swizzle_b32 v5, v3 offset:swizzle(BROADCAST,32,15)
	s_waitcnt lgkmcnt(0)
	v_and_b32_e32 v5, v6, v5
	v_add_nc_u32_e32 v3, v3, v5
	s_and_saveexec_b32 s19, s9
; %bb.99:                               ;   in Loop: Header=BB120_20 Depth=1
	ds_write_b32 v65, v3
; %bb.100:                              ;   in Loop: Header=BB120_20 Depth=1
	s_or_b32 exec_lo, exec_lo, s19
	s_waitcnt lgkmcnt(0)
	s_barrier
	buffer_gl0_inv
	s_and_saveexec_b32 s19, s10
	s_cbranch_execz .LBB120_102
; %bb.101:                              ;   in Loop: Header=BB120_20 Depth=1
	ds_read_b32 v5, v66
	v_and_b32_e32 v6, 3, v86
	v_cmp_ne_u32_e32 vcc_lo, 0, v6
	s_waitcnt lgkmcnt(0)
	v_mov_b32_dpp v7, v5 row_shr:1 row_mask:0xf bank_mask:0xf
	v_cndmask_b32_e32 v7, 0, v7, vcc_lo
	v_cmp_lt_u32_e32 vcc_lo, 1, v6
	v_add_nc_u32_e32 v5, v7, v5
	v_mov_b32_dpp v7, v5 row_shr:2 row_mask:0xf bank_mask:0xf
	v_cndmask_b32_e32 v6, 0, v7, vcc_lo
	v_add_nc_u32_e32 v5, v5, v6
	ds_write_b32 v66, v5
.LBB120_102:                            ;   in Loop: Header=BB120_20 Depth=1
	s_or_b32 exec_lo, exec_lo, s19
	v_mov_b32_e32 v5, 0
	s_waitcnt lgkmcnt(0)
	s_barrier
	buffer_gl0_inv
	s_and_saveexec_b32 s19, s11
; %bb.103:                              ;   in Loop: Header=BB120_20 Depth=1
	ds_read_b32 v5, v67
; %bb.104:                              ;   in Loop: Header=BB120_20 Depth=1
	s_or_b32 exec_lo, exec_lo, s19
	v_sub_co_u32 v6, s19, v86, 1
	s_waitcnt lgkmcnt(0)
	v_add_nc_u32_e32 v3, v5, v3
	s_barrier
	v_cmp_gt_i32_e32 vcc_lo, 0, v6
	buffer_gl0_inv
	v_cndmask_b32_e32 v6, v6, v86, vcc_lo
	v_lshlrev_b32_e32 v94, 2, v6
	ds_bpermute_b32 v3, v94, v3
	s_and_saveexec_b32 s20, s8
	s_cbranch_execz .LBB120_106
; %bb.105:                              ;   in Loop: Header=BB120_20 Depth=1
	s_waitcnt lgkmcnt(0)
	v_cndmask_b32_e64 v3, v3, v5, s19
	v_add_nc_u32_e32 v3, s58, v3
	ds_write_b32 v43, v3
.LBB120_106:                            ;   in Loop: Header=BB120_20 Depth=1
	s_or_b32 exec_lo, exec_lo, s20
	s_clause 0x1
	s_load_dword s20, s[56:57], 0x4
	s_load_dword s23, s[56:57], 0xc
	v_and_b32_e32 v5, 7, v86
	v_lshlrev_b32_e32 v6, 3, v86
	v_or_b32_e32 v95, v86, v68
	v_mov_b32_e32 v127, 0
	s_mov_b32 s63, s60
	v_cmp_lt_u32_e64 s22, 3, v5
	v_add_co_u32 v96, vcc_lo, v73, v6
	v_add_co_ci_u32_e64 v97, null, 0, v74, vcc_lo
	v_add_nc_u32_e32 v98, 32, v95
	v_add_nc_u32_e32 v99, 64, v95
	;; [unrolled: 1-line block ×8, first 2 shown]
	s_waitcnt lgkmcnt(0)
	s_cmp_lt_u32 s7, s20
	v_add_nc_u32_e32 v106, 0x120, v95
	s_cselect_b32 s20, 14, 20
	v_add_nc_u32_e32 v107, 0x140, v95
	s_add_u32 s20, s56, s20
	s_addc_u32 s21, s57, 0
	s_and_b32 s23, s23, 0xffff
	global_load_ushort v3, v4, s[20:21]
	v_cmp_eq_u32_e64 s20, 0, v5
	v_cmp_lt_u32_e64 s21, 1, v5
	v_add_nc_u32_e32 v108, 0x160, v95
	v_add_nc_u32_e32 v109, 0x180, v95
	;; [unrolled: 1-line block ×6, first 2 shown]
	s_mov_b32 s50, s58
                                        ; implicit-def: $vgpr7_vgpr8
                                        ; implicit-def: $vgpr9_vgpr10
                                        ; implicit-def: $vgpr11_vgpr12
                                        ; implicit-def: $vgpr13_vgpr14
                                        ; implicit-def: $vgpr15_vgpr16
                                        ; implicit-def: $vgpr19_vgpr20
                                        ; implicit-def: $vgpr23_vgpr24
                                        ; implicit-def: $vgpr27_vgpr28
                                        ; implicit-def: $vgpr17_vgpr18
                                        ; implicit-def: $vgpr21_vgpr22
                                        ; implicit-def: $vgpr25_vgpr26
                                        ; implicit-def: $vgpr29_vgpr30
                                        ; implicit-def: $vgpr31_vgpr32
                                        ; implicit-def: $vgpr33_vgpr34
                                        ; implicit-def: $vgpr35_vgpr36
                                        ; implicit-def: $vgpr37_vgpr38
                                        ; implicit-def: $vgpr115
                                        ; implicit-def: $vgpr116
                                        ; implicit-def: $vgpr117
                                        ; implicit-def: $vgpr118
                                        ; implicit-def: $vgpr119
                                        ; implicit-def: $vgpr120
                                        ; implicit-def: $vgpr121
                                        ; implicit-def: $vgpr122
                                        ; implicit-def: $vgpr123
                                        ; implicit-def: $vgpr124
                                        ; implicit-def: $vgpr125
                                        ; implicit-def: $vgpr126
                                        ; implicit-def: $vgpr128
                                        ; implicit-def: $vgpr129
                                        ; implicit-def: $vgpr130
                                        ; implicit-def: $vgpr131
                                        ; implicit-def: $vgpr132
                                        ; implicit-def: $vgpr133
                                        ; implicit-def: $vgpr134
	s_waitcnt vmcnt(0)
	v_mad_u32_u24 v3, v2, v3, v1
	v_mad_u64_u32 v[5:6], null, v3, s23, v[0:1]
	v_lshrrev_b32_e32 v3, 3, v5
                                        ; implicit-def: $vgpr5_vgpr6
	v_and_b32_e32 v114, 0x1ffffffc, v3
	s_branch .LBB120_108
.LBB120_107:                            ;   in Loop: Header=BB120_108 Depth=2
	s_or_b32 exec_lo, exec_lo, s23
	s_addk_i32 s63, 0xef00
	s_cmp_lt_u32 s64, s59
	s_mov_b32 s50, s64
	s_cbranch_scc0 .LBB120_330
.LBB120_108:                            ;   Parent Loop BB120_20 Depth=1
                                        ; =>  This Inner Loop Header: Depth=2
	s_add_i32 s64, s50, 0x1100
	s_cmp_gt_u32 s64, s59
	s_cbranch_scc1 .LBB120_110
; %bb.109:                              ;   in Loop: Header=BB120_108 Depth=2
	v_add_co_u32 v39, vcc_lo, v90, s50
	v_add_co_ci_u32_e64 v40, null, 0, v91, vcc_lo
	s_mov_b32 s23, -1
	s_clause 0xf
	global_load_ubyte v42, v[39:40], off offset:480
	global_load_ubyte v41, v[39:40], off offset:448
	;; [unrolled: 1-line block ×15, first 2 shown]
	global_load_ubyte v144, v[39:40], off
	s_movk_i32 s24, 0x1100
	s_cbranch_execz .LBB120_111
	s_branch .LBB120_130
.LBB120_110:                            ;   in Loop: Header=BB120_108 Depth=2
	s_mov_b32 s23, 0
                                        ; implicit-def: $vgpr144
                                        ; implicit-def: $vgpr149
                                        ; implicit-def: $vgpr145
                                        ; implicit-def: $vgpr146
                                        ; implicit-def: $vgpr148
                                        ; implicit-def: $vgpr141
                                        ; implicit-def: $vgpr142
                                        ; implicit-def: $vgpr143
                                        ; implicit-def: $vgpr140
                                        ; implicit-def: $vgpr137
                                        ; implicit-def: $vgpr138
                                        ; implicit-def: $vgpr139
                                        ; implicit-def: $vgpr135
                                        ; implicit-def: $vgpr3
                                        ; implicit-def: $vgpr41
                                        ; implicit-def: $vgpr42
                                        ; implicit-def: $vgpr127
	s_movk_i32 s24, 0x1100
.LBB120_111:                            ;   in Loop: Header=BB120_108 Depth=2
	v_add_co_u32 v39, vcc_lo, v90, s50
	v_add_co_ci_u32_e64 v40, null, 0, v91, vcc_lo
	s_waitcnt vmcnt(2)
	v_mov_b32_e32 v145, 0
	s_waitcnt vmcnt(0)
	v_mov_b32_e32 v144, 0
	v_mov_b32_e32 v146, 0
	;; [unrolled: 1-line block ×15, first 2 shown]
	s_mov_b32 s23, exec_lo
	v_cmpx_gt_u32_e64 s63, v95
	s_cbranch_execz .LBB120_113
; %bb.112:                              ;   in Loop: Header=BB120_108 Depth=2
	global_load_ubyte v144, v[39:40], off
	v_mov_b32_e32 v146, 0
	v_mov_b32_e32 v148, 0
	;; [unrolled: 1-line block ×14, first 2 shown]
.LBB120_113:                            ;   in Loop: Header=BB120_108 Depth=2
	s_or_b32 exec_lo, exec_lo, s23
	v_mov_b32_e32 v149, v145
	s_mov_b32 s23, exec_lo
	v_cmpx_gt_u32_e64 s63, v98
	s_cbranch_execnz .LBB120_316
; %bb.114:                              ;   in Loop: Header=BB120_108 Depth=2
	s_or_b32 exec_lo, exec_lo, s23
	s_mov_b32 s23, exec_lo
	v_cmpx_gt_u32_e64 s63, v99
	s_cbranch_execnz .LBB120_317
.LBB120_115:                            ;   in Loop: Header=BB120_108 Depth=2
	s_or_b32 exec_lo, exec_lo, s23
	s_mov_b32 s23, exec_lo
	v_cmpx_gt_u32_e64 s63, v100
	s_cbranch_execnz .LBB120_318
.LBB120_116:                            ;   in Loop: Header=BB120_108 Depth=2
	s_or_b32 exec_lo, exec_lo, s23
	s_mov_b32 s23, exec_lo
	v_cmpx_gt_u32_e64 s63, v101
	s_cbranch_execnz .LBB120_319
.LBB120_117:                            ;   in Loop: Header=BB120_108 Depth=2
	s_or_b32 exec_lo, exec_lo, s23
	s_mov_b32 s23, exec_lo
	v_cmpx_gt_u32_e64 s63, v102
	s_cbranch_execnz .LBB120_320
.LBB120_118:                            ;   in Loop: Header=BB120_108 Depth=2
	s_or_b32 exec_lo, exec_lo, s23
	s_mov_b32 s23, exec_lo
	v_cmpx_gt_u32_e64 s63, v103
	s_cbranch_execnz .LBB120_321
.LBB120_119:                            ;   in Loop: Header=BB120_108 Depth=2
	s_or_b32 exec_lo, exec_lo, s23
	s_mov_b32 s23, exec_lo
	v_cmpx_gt_u32_e64 s63, v104
	s_cbranch_execnz .LBB120_322
.LBB120_120:                            ;   in Loop: Header=BB120_108 Depth=2
	s_or_b32 exec_lo, exec_lo, s23
	s_mov_b32 s23, exec_lo
	v_cmpx_gt_u32_e64 s63, v105
	s_cbranch_execnz .LBB120_323
.LBB120_121:                            ;   in Loop: Header=BB120_108 Depth=2
	s_or_b32 exec_lo, exec_lo, s23
	s_mov_b32 s23, exec_lo
	v_cmpx_gt_u32_e64 s63, v106
	s_cbranch_execnz .LBB120_324
.LBB120_122:                            ;   in Loop: Header=BB120_108 Depth=2
	s_or_b32 exec_lo, exec_lo, s23
	s_mov_b32 s23, exec_lo
	v_cmpx_gt_u32_e64 s63, v107
	s_cbranch_execnz .LBB120_325
.LBB120_123:                            ;   in Loop: Header=BB120_108 Depth=2
	s_or_b32 exec_lo, exec_lo, s23
	s_mov_b32 s23, exec_lo
	v_cmpx_gt_u32_e64 s63, v108
	s_cbranch_execnz .LBB120_326
.LBB120_124:                            ;   in Loop: Header=BB120_108 Depth=2
	s_or_b32 exec_lo, exec_lo, s23
	s_mov_b32 s23, exec_lo
	v_cmpx_gt_u32_e64 s63, v109
	s_cbranch_execnz .LBB120_327
.LBB120_125:                            ;   in Loop: Header=BB120_108 Depth=2
	s_or_b32 exec_lo, exec_lo, s23
	s_mov_b32 s23, exec_lo
	v_cmpx_gt_u32_e64 s63, v110
	s_cbranch_execnz .LBB120_328
.LBB120_126:                            ;   in Loop: Header=BB120_108 Depth=2
	s_or_b32 exec_lo, exec_lo, s23
	s_mov_b32 s23, exec_lo
	v_cmpx_gt_u32_e64 s63, v111
	s_cbranch_execnz .LBB120_329
.LBB120_127:                            ;   in Loop: Header=BB120_108 Depth=2
	s_or_b32 exec_lo, exec_lo, s23
	s_mov_b32 s23, exec_lo
	v_cmpx_gt_u32_e64 s63, v112
	s_cbranch_execz .LBB120_129
.LBB120_128:                            ;   in Loop: Header=BB120_108 Depth=2
	global_load_ubyte v42, v[39:40], off offset:480
.LBB120_129:                            ;   in Loop: Header=BB120_108 Depth=2
	s_or_b32 exec_lo, exec_lo, s23
	v_cmp_gt_u32_e64 s23, s63, v113
	s_sub_i32 s24, s59, s50
.LBB120_130:                            ;   in Loop: Header=BB120_108 Depth=2
	v_mov_b32_e32 v136, s63
	s_and_saveexec_b32 s25, s23
	s_cbranch_execz .LBB120_132
; %bb.131:                              ;   in Loop: Header=BB120_108 Depth=2
	v_add_co_u32 v39, vcc_lo, v90, s50
	v_add_co_ci_u32_e64 v40, null, s51, v91, vcc_lo
	v_mov_b32_e32 v136, s24
	global_load_ubyte v127, v[39:40], off offset:512
.LBB120_132:                            ;   in Loop: Header=BB120_108 Depth=2
	s_or_b32 exec_lo, exec_lo, s25
	s_waitcnt vmcnt(0)
	v_xor_b32_e32 v39, -1, v144
	ds_write2_b32 v69, v4, v4 offset0:136 offset1:137
	ds_write2_b32 v69, v4, v4 offset0:138 offset1:139
	ds_write_b32 v69, v4 offset:560
	s_waitcnt lgkmcnt(0)
	s_barrier
	v_and_b32_sdwa v40, v92, v39 dst_sel:DWORD dst_unused:UNUSED_PAD src0_sel:DWORD src1_sel:BYTE_0
	buffer_gl0_inv
	; wave barrier
	v_lshrrev_b32_e32 v40, s61, v40
	v_and_b32_e32 v147, s62, v40
	v_and_b32_e32 v40, 1, v147
	v_lshlrev_b32_e32 v144, 30, v147
	v_lshlrev_b32_e32 v150, 29, v147
	;; [unrolled: 1-line block ×4, first 2 shown]
	v_add_co_u32 v40, s23, v40, -1
	v_cndmask_b32_e64 v151, 0, 1, s23
	v_not_b32_e32 v155, v144
	v_cmp_gt_i32_e64 s23, 0, v144
	v_not_b32_e32 v144, v150
	v_lshlrev_b32_e32 v154, 26, v147
	v_cmp_ne_u32_e32 vcc_lo, 0, v151
	v_ashrrev_i32_e32 v155, 31, v155
	v_lshlrev_b32_e32 v151, 25, v147
	v_ashrrev_i32_e32 v144, 31, v144
	v_mul_u32_u24_e32 v147, 36, v147
	v_xor_b32_e32 v40, vcc_lo, v40
	v_cmp_gt_i32_e32 vcc_lo, 0, v150
	v_not_b32_e32 v150, v152
	v_xor_b32_e32 v155, s23, v155
	v_cmp_gt_i32_e64 s23, 0, v152
	v_and_b32_e32 v40, exec_lo, v40
	v_not_b32_e32 v152, v153
	v_ashrrev_i32_e32 v150, 31, v150
	v_xor_b32_e32 v144, vcc_lo, v144
	v_cmp_gt_i32_e32 vcc_lo, 0, v153
	v_and_b32_e32 v40, v40, v155
	v_not_b32_e32 v153, v154
	v_ashrrev_i32_e32 v152, 31, v152
	v_xor_b32_e32 v150, s23, v150
	v_cmp_gt_i32_e64 s23, 0, v154
	v_and_b32_e32 v40, v40, v144
	v_not_b32_e32 v144, v151
	v_ashrrev_i32_e32 v153, 31, v153
	v_xor_b32_e32 v152, vcc_lo, v152
	v_cmp_gt_i32_e32 vcc_lo, 0, v151
	v_and_b32_e32 v40, v40, v150
	v_ashrrev_i32_e32 v144, 31, v144
	v_xor_b32_e32 v150, s23, v153
	v_add_nc_u32_e32 v147, v114, v147
	v_and_b32_e32 v40, v40, v152
	v_xor_b32_e32 v144, vcc_lo, v144
	v_and_b32_e32 v40, v40, v150
	v_and_b32_e32 v40, v40, v144
	v_mbcnt_lo_u32_b32 v144, v40, 0
	v_cmp_ne_u32_e64 s23, 0, v40
	v_cmp_eq_u32_e32 vcc_lo, 0, v144
	s_and_b32 s24, s23, vcc_lo
	s_and_saveexec_b32 s23, s24
; %bb.133:                              ;   in Loop: Header=BB120_108 Depth=2
	v_bcnt_u32_b32 v40, v40, 0
	ds_write_b32 v147, v40 offset:544
; %bb.134:                              ;   in Loop: Header=BB120_108 Depth=2
	s_or_b32 exec_lo, exec_lo, s23
	v_xor_b32_sdwa v40, v149, v93 dst_sel:BYTE_1 dst_unused:UNUSED_PAD src0_sel:DWORD src1_sel:DWORD
	v_xor_b32_e32 v149, -1, v145
	v_xor_b32_sdwa v146, v146, v93 dst_sel:BYTE_1 dst_unused:UNUSED_PAD src0_sel:DWORD src1_sel:DWORD
	; wave barrier
	v_or_b32_sdwa v145, v39, v40 dst_sel:DWORD dst_unused:UNUSED_PAD src0_sel:BYTE_0 src1_sel:DWORD
	v_or_b32_sdwa v39, v149, v146 dst_sel:WORD_1 dst_unused:UNUSED_PAD src0_sel:BYTE_0 src1_sel:DWORD
	v_or_b32_sdwa v146, v145, v39 dst_sel:DWORD dst_unused:UNUSED_PAD src0_sel:WORD_0 src1_sel:DWORD
	v_lshrrev_b32_sdwa v39, s61, v146 dst_sel:DWORD dst_unused:UNUSED_PAD src0_sel:DWORD src1_sel:BYTE_1
	v_and_b32_e32 v40, s62, v39
	v_and_b32_e32 v39, 1, v40
	v_lshlrev_b32_e32 v149, 30, v40
	v_lshlrev_b32_e32 v150, 29, v40
	;; [unrolled: 1-line block ×4, first 2 shown]
	v_add_co_u32 v39, s23, v39, -1
	v_cndmask_b32_e64 v151, 0, 1, s23
	v_not_b32_e32 v155, v149
	v_cmp_gt_i32_e64 s23, 0, v149
	v_not_b32_e32 v149, v150
	v_lshlrev_b32_e32 v154, 26, v40
	v_cmp_ne_u32_e32 vcc_lo, 0, v151
	v_ashrrev_i32_e32 v155, 31, v155
	v_lshlrev_b32_e32 v151, 25, v40
	v_ashrrev_i32_e32 v149, 31, v149
	v_xor_b32_e32 v39, vcc_lo, v39
	v_cmp_gt_i32_e32 vcc_lo, 0, v150
	v_not_b32_e32 v150, v152
	v_xor_b32_e32 v155, s23, v155
	v_cmp_gt_i32_e64 s23, 0, v152
	v_and_b32_e32 v39, exec_lo, v39
	v_not_b32_e32 v152, v153
	v_ashrrev_i32_e32 v150, 31, v150
	v_xor_b32_e32 v149, vcc_lo, v149
	v_cmp_gt_i32_e32 vcc_lo, 0, v153
	v_and_b32_e32 v39, v39, v155
	v_not_b32_e32 v153, v154
	v_ashrrev_i32_e32 v152, 31, v152
	v_xor_b32_e32 v150, s23, v150
	v_cmp_gt_i32_e64 s23, 0, v154
	v_and_b32_e32 v39, v39, v149
	v_not_b32_e32 v149, v151
	v_ashrrev_i32_e32 v153, 31, v153
	v_xor_b32_e32 v152, vcc_lo, v152
	v_cmp_gt_i32_e32 vcc_lo, 0, v151
	v_and_b32_e32 v39, v39, v150
	v_ashrrev_i32_e32 v149, 31, v149
	v_xor_b32_e32 v150, s23, v153
	v_mad_u32_u24 v151, v40, 36, v114
	v_mul_u32_u24_e32 v40, 36, v40
	v_and_b32_e32 v39, v39, v152
	v_xor_b32_e32 v152, vcc_lo, v149
	ds_read_b32 v149, v151 offset:544
	v_add_nc_u32_e32 v151, v114, v40
	v_and_b32_e32 v39, v39, v150
	; wave barrier
	v_and_b32_e32 v39, v39, v152
	v_mbcnt_lo_u32_b32 v150, v39, 0
	v_cmp_ne_u32_e64 s23, 0, v39
	v_cmp_eq_u32_e32 vcc_lo, 0, v150
	s_and_b32 s24, s23, vcc_lo
	s_and_saveexec_b32 s23, s24
	s_cbranch_execz .LBB120_136
; %bb.135:                              ;   in Loop: Header=BB120_108 Depth=2
	s_waitcnt lgkmcnt(0)
	v_bcnt_u32_b32 v39, v39, v149
	ds_write_b32 v151, v39 offset:544
.LBB120_136:                            ;   in Loop: Header=BB120_108 Depth=2
	s_or_b32 exec_lo, exec_lo, s23
	v_lshrrev_b32_sdwa v39, s61, v146 dst_sel:DWORD dst_unused:UNUSED_PAD src0_sel:DWORD src1_sel:BYTE_2
	; wave barrier
	v_and_b32_e32 v40, s62, v39
	v_and_b32_e32 v39, 1, v40
	v_lshlrev_b32_e32 v152, 30, v40
	v_lshlrev_b32_e32 v153, 29, v40
	v_lshlrev_b32_e32 v155, 28, v40
	v_lshlrev_b32_e32 v156, 27, v40
	v_add_co_u32 v39, s23, v39, -1
	v_cndmask_b32_e64 v154, 0, 1, s23
	v_not_b32_e32 v158, v152
	v_cmp_gt_i32_e64 s23, 0, v152
	v_not_b32_e32 v152, v153
	v_lshlrev_b32_e32 v157, 26, v40
	v_cmp_ne_u32_e32 vcc_lo, 0, v154
	v_ashrrev_i32_e32 v158, 31, v158
	v_lshlrev_b32_e32 v154, 25, v40
	v_ashrrev_i32_e32 v152, 31, v152
	v_xor_b32_e32 v39, vcc_lo, v39
	v_cmp_gt_i32_e32 vcc_lo, 0, v153
	v_not_b32_e32 v153, v155
	v_xor_b32_e32 v158, s23, v158
	v_cmp_gt_i32_e64 s23, 0, v155
	v_and_b32_e32 v39, exec_lo, v39
	v_not_b32_e32 v155, v156
	v_ashrrev_i32_e32 v153, 31, v153
	v_xor_b32_e32 v152, vcc_lo, v152
	v_cmp_gt_i32_e32 vcc_lo, 0, v156
	v_and_b32_e32 v39, v39, v158
	v_not_b32_e32 v156, v157
	v_ashrrev_i32_e32 v155, 31, v155
	v_xor_b32_e32 v153, s23, v153
	v_cmp_gt_i32_e64 s23, 0, v157
	v_and_b32_e32 v39, v39, v152
	v_not_b32_e32 v152, v154
	v_ashrrev_i32_e32 v156, 31, v156
	v_xor_b32_e32 v155, vcc_lo, v155
	v_cmp_gt_i32_e32 vcc_lo, 0, v154
	v_and_b32_e32 v39, v39, v153
	v_ashrrev_i32_e32 v152, 31, v152
	v_xor_b32_e32 v153, s23, v156
	v_mad_u32_u24 v154, v40, 36, v114
	v_mul_u32_u24_e32 v40, 36, v40
	v_and_b32_e32 v39, v39, v155
	v_xor_b32_e32 v155, vcc_lo, v152
	ds_read_b32 v152, v154 offset:544
	v_and_b32_e32 v39, v39, v153
	; wave barrier
	v_and_b32_e32 v39, v39, v155
	v_add_nc_u32_e32 v155, v114, v40
	v_mbcnt_lo_u32_b32 v153, v39, 0
	v_cmp_ne_u32_e64 s23, 0, v39
	v_cmp_eq_u32_e32 vcc_lo, 0, v153
	s_and_b32 s24, s23, vcc_lo
	s_and_saveexec_b32 s23, s24
	s_cbranch_execz .LBB120_138
; %bb.137:                              ;   in Loop: Header=BB120_108 Depth=2
	s_waitcnt lgkmcnt(0)
	v_bcnt_u32_b32 v39, v39, v152
	ds_write_b32 v155, v39 offset:544
.LBB120_138:                            ;   in Loop: Header=BB120_108 Depth=2
	s_or_b32 exec_lo, exec_lo, s23
	v_lshrrev_b32_e32 v154, 24, v146
	; wave barrier
	v_lshrrev_b32_e32 v39, s61, v154
	v_and_b32_e32 v40, s62, v39
	v_and_b32_e32 v39, 1, v40
	v_lshlrev_b32_e32 v156, 30, v40
	v_lshlrev_b32_e32 v157, 29, v40
	;; [unrolled: 1-line block ×4, first 2 shown]
	v_add_co_u32 v39, s23, v39, -1
	v_cndmask_b32_e64 v158, 0, 1, s23
	v_not_b32_e32 v162, v156
	v_cmp_gt_i32_e64 s23, 0, v156
	v_not_b32_e32 v156, v157
	v_lshlrev_b32_e32 v161, 26, v40
	v_cmp_ne_u32_e32 vcc_lo, 0, v158
	v_ashrrev_i32_e32 v162, 31, v162
	v_lshlrev_b32_e32 v158, 25, v40
	v_ashrrev_i32_e32 v156, 31, v156
	v_xor_b32_e32 v39, vcc_lo, v39
	v_cmp_gt_i32_e32 vcc_lo, 0, v157
	v_not_b32_e32 v157, v159
	v_xor_b32_e32 v162, s23, v162
	v_cmp_gt_i32_e64 s23, 0, v159
	v_and_b32_e32 v39, exec_lo, v39
	v_not_b32_e32 v159, v160
	v_ashrrev_i32_e32 v157, 31, v157
	v_xor_b32_e32 v156, vcc_lo, v156
	v_cmp_gt_i32_e32 vcc_lo, 0, v160
	v_and_b32_e32 v39, v39, v162
	v_not_b32_e32 v160, v161
	v_ashrrev_i32_e32 v159, 31, v159
	v_xor_b32_e32 v157, s23, v157
	v_cmp_gt_i32_e64 s23, 0, v161
	v_and_b32_e32 v39, v39, v156
	v_not_b32_e32 v156, v158
	v_ashrrev_i32_e32 v160, 31, v160
	v_xor_b32_e32 v159, vcc_lo, v159
	v_cmp_gt_i32_e32 vcc_lo, 0, v158
	v_and_b32_e32 v39, v39, v157
	v_ashrrev_i32_e32 v156, 31, v156
	v_xor_b32_e32 v157, s23, v160
	v_mad_u32_u24 v158, v40, 36, v114
	v_mul_u32_u24_e32 v40, 36, v40
	v_and_b32_e32 v39, v39, v159
	v_xor_b32_e32 v159, vcc_lo, v156
	ds_read_b32 v156, v158 offset:544
	v_add_nc_u32_e32 v158, v114, v40
	v_and_b32_e32 v39, v39, v157
	; wave barrier
	v_and_b32_e32 v39, v39, v159
	v_mbcnt_lo_u32_b32 v157, v39, 0
	v_cmp_ne_u32_e64 s23, 0, v39
	v_cmp_eq_u32_e32 vcc_lo, 0, v157
	s_and_b32 s24, s23, vcc_lo
	s_and_saveexec_b32 s23, s24
	s_cbranch_execz .LBB120_140
; %bb.139:                              ;   in Loop: Header=BB120_108 Depth=2
	s_waitcnt lgkmcnt(0)
	v_bcnt_u32_b32 v39, v39, v156
	ds_write_b32 v158, v39 offset:544
.LBB120_140:                            ;   in Loop: Header=BB120_108 Depth=2
	s_or_b32 exec_lo, exec_lo, s23
	v_xor_b32_e32 v39, -1, v148
	; wave barrier
	v_and_b32_sdwa v40, v92, v39 dst_sel:DWORD dst_unused:UNUSED_PAD src0_sel:DWORD src1_sel:BYTE_0
	v_lshrrev_b32_e32 v40, s61, v40
	v_and_b32_e32 v160, s62, v40
	v_and_b32_e32 v40, 1, v160
	v_lshlrev_b32_e32 v148, 30, v160
	v_lshlrev_b32_e32 v159, 29, v160
	v_lshlrev_b32_e32 v162, 28, v160
	v_lshlrev_b32_e32 v163, 27, v160
	v_add_co_u32 v40, s23, v40, -1
	v_cndmask_b32_e64 v161, 0, 1, s23
	v_not_b32_e32 v165, v148
	v_cmp_gt_i32_e64 s23, 0, v148
	v_not_b32_e32 v148, v159
	v_lshlrev_b32_e32 v164, 26, v160
	v_cmp_ne_u32_e32 vcc_lo, 0, v161
	v_ashrrev_i32_e32 v165, 31, v165
	v_lshlrev_b32_e32 v161, 25, v160
	v_ashrrev_i32_e32 v148, 31, v148
	v_xor_b32_e32 v40, vcc_lo, v40
	v_cmp_gt_i32_e32 vcc_lo, 0, v159
	v_not_b32_e32 v159, v162
	v_xor_b32_e32 v165, s23, v165
	v_cmp_gt_i32_e64 s23, 0, v162
	v_and_b32_e32 v40, exec_lo, v40
	v_not_b32_e32 v162, v163
	v_ashrrev_i32_e32 v159, 31, v159
	v_xor_b32_e32 v148, vcc_lo, v148
	v_cmp_gt_i32_e32 vcc_lo, 0, v163
	v_and_b32_e32 v40, v40, v165
	v_not_b32_e32 v163, v164
	v_ashrrev_i32_e32 v162, 31, v162
	v_xor_b32_e32 v159, s23, v159
	v_cmp_gt_i32_e64 s23, 0, v164
	v_and_b32_e32 v40, v40, v148
	v_not_b32_e32 v148, v161
	v_ashrrev_i32_e32 v163, 31, v163
	v_xor_b32_e32 v162, vcc_lo, v162
	v_cmp_gt_i32_e32 vcc_lo, 0, v161
	v_and_b32_e32 v40, v40, v159
	v_ashrrev_i32_e32 v148, 31, v148
	v_xor_b32_e32 v159, s23, v163
	v_mad_u32_u24 v161, v160, 36, v114
	v_mul_u32_u24_e32 v160, 36, v160
	v_and_b32_e32 v40, v40, v162
	v_xor_b32_e32 v162, vcc_lo, v148
	ds_read_b32 v148, v161 offset:544
	v_add_nc_u32_e32 v160, v114, v160
	v_and_b32_e32 v40, v40, v159
	; wave barrier
	v_and_b32_e32 v40, v40, v162
	v_mbcnt_lo_u32_b32 v159, v40, 0
	v_cmp_ne_u32_e64 s23, 0, v40
	v_cmp_eq_u32_e32 vcc_lo, 0, v159
	s_and_b32 s24, s23, vcc_lo
	s_and_saveexec_b32 s23, s24
	s_cbranch_execz .LBB120_142
; %bb.141:                              ;   in Loop: Header=BB120_108 Depth=2
	s_waitcnt lgkmcnt(0)
	v_bcnt_u32_b32 v40, v40, v148
	ds_write_b32 v160, v40 offset:544
.LBB120_142:                            ;   in Loop: Header=BB120_108 Depth=2
	s_or_b32 exec_lo, exec_lo, s23
	v_xor_b32_sdwa v40, v141, v93 dst_sel:BYTE_1 dst_unused:UNUSED_PAD src0_sel:DWORD src1_sel:DWORD
	v_xor_b32_e32 v142, -1, v142
	v_xor_b32_sdwa v143, v143, v93 dst_sel:BYTE_1 dst_unused:UNUSED_PAD src0_sel:DWORD src1_sel:DWORD
	; wave barrier
	v_or_b32_sdwa v141, v39, v40 dst_sel:DWORD dst_unused:UNUSED_PAD src0_sel:BYTE_0 src1_sel:DWORD
	v_or_b32_sdwa v39, v142, v143 dst_sel:WORD_1 dst_unused:UNUSED_PAD src0_sel:BYTE_0 src1_sel:DWORD
	v_or_b32_sdwa v142, v141, v39 dst_sel:DWORD dst_unused:UNUSED_PAD src0_sel:WORD_0 src1_sel:DWORD
	v_lshrrev_b32_sdwa v39, s61, v142 dst_sel:DWORD dst_unused:UNUSED_PAD src0_sel:DWORD src1_sel:BYTE_1
	v_and_b32_e32 v40, s62, v39
	v_and_b32_e32 v39, 1, v40
	v_lshlrev_b32_e32 v143, 30, v40
	v_lshlrev_b32_e32 v161, 29, v40
	;; [unrolled: 1-line block ×4, first 2 shown]
	v_add_co_u32 v39, s23, v39, -1
	v_cndmask_b32_e64 v162, 0, 1, s23
	v_not_b32_e32 v166, v143
	v_cmp_gt_i32_e64 s23, 0, v143
	v_not_b32_e32 v143, v161
	v_lshlrev_b32_e32 v165, 26, v40
	v_cmp_ne_u32_e32 vcc_lo, 0, v162
	v_ashrrev_i32_e32 v166, 31, v166
	v_lshlrev_b32_e32 v162, 25, v40
	v_ashrrev_i32_e32 v143, 31, v143
	v_xor_b32_e32 v39, vcc_lo, v39
	v_cmp_gt_i32_e32 vcc_lo, 0, v161
	v_not_b32_e32 v161, v163
	v_xor_b32_e32 v166, s23, v166
	v_cmp_gt_i32_e64 s23, 0, v163
	v_and_b32_e32 v39, exec_lo, v39
	v_not_b32_e32 v163, v164
	v_ashrrev_i32_e32 v161, 31, v161
	v_xor_b32_e32 v143, vcc_lo, v143
	v_cmp_gt_i32_e32 vcc_lo, 0, v164
	v_and_b32_e32 v39, v39, v166
	v_not_b32_e32 v164, v165
	v_ashrrev_i32_e32 v163, 31, v163
	v_xor_b32_e32 v161, s23, v161
	v_cmp_gt_i32_e64 s23, 0, v165
	v_and_b32_e32 v39, v39, v143
	v_not_b32_e32 v143, v162
	v_ashrrev_i32_e32 v164, 31, v164
	v_xor_b32_e32 v163, vcc_lo, v163
	v_cmp_gt_i32_e32 vcc_lo, 0, v162
	v_and_b32_e32 v39, v39, v161
	v_ashrrev_i32_e32 v143, 31, v143
	v_xor_b32_e32 v161, s23, v164
	v_mad_u32_u24 v162, v40, 36, v114
	v_mul_u32_u24_e32 v40, 36, v40
	v_and_b32_e32 v39, v39, v163
	v_xor_b32_e32 v163, vcc_lo, v143
	ds_read_b32 v143, v162 offset:544
	v_add_nc_u32_e32 v162, v114, v40
	v_and_b32_e32 v39, v39, v161
	; wave barrier
	v_and_b32_e32 v39, v39, v163
	v_mbcnt_lo_u32_b32 v161, v39, 0
	v_cmp_ne_u32_e64 s23, 0, v39
	v_cmp_eq_u32_e32 vcc_lo, 0, v161
	s_and_b32 s24, s23, vcc_lo
	s_and_saveexec_b32 s23, s24
	s_cbranch_execz .LBB120_144
; %bb.143:                              ;   in Loop: Header=BB120_108 Depth=2
	s_waitcnt lgkmcnt(0)
	v_bcnt_u32_b32 v39, v39, v143
	ds_write_b32 v162, v39 offset:544
.LBB120_144:                            ;   in Loop: Header=BB120_108 Depth=2
	s_or_b32 exec_lo, exec_lo, s23
	v_lshrrev_b32_sdwa v39, s61, v142 dst_sel:DWORD dst_unused:UNUSED_PAD src0_sel:DWORD src1_sel:BYTE_2
	; wave barrier
	v_and_b32_e32 v40, s62, v39
	v_and_b32_e32 v39, 1, v40
	v_lshlrev_b32_e32 v163, 30, v40
	v_lshlrev_b32_e32 v164, 29, v40
	;; [unrolled: 1-line block ×4, first 2 shown]
	v_add_co_u32 v39, s23, v39, -1
	v_cndmask_b32_e64 v165, 0, 1, s23
	v_not_b32_e32 v169, v163
	v_cmp_gt_i32_e64 s23, 0, v163
	v_not_b32_e32 v163, v164
	v_lshlrev_b32_e32 v168, 26, v40
	v_cmp_ne_u32_e32 vcc_lo, 0, v165
	v_ashrrev_i32_e32 v169, 31, v169
	v_lshlrev_b32_e32 v165, 25, v40
	v_ashrrev_i32_e32 v163, 31, v163
	v_xor_b32_e32 v39, vcc_lo, v39
	v_cmp_gt_i32_e32 vcc_lo, 0, v164
	v_not_b32_e32 v164, v166
	v_xor_b32_e32 v169, s23, v169
	v_cmp_gt_i32_e64 s23, 0, v166
	v_and_b32_e32 v39, exec_lo, v39
	v_not_b32_e32 v166, v167
	v_ashrrev_i32_e32 v164, 31, v164
	v_xor_b32_e32 v163, vcc_lo, v163
	v_cmp_gt_i32_e32 vcc_lo, 0, v167
	v_and_b32_e32 v39, v39, v169
	v_not_b32_e32 v167, v168
	v_ashrrev_i32_e32 v166, 31, v166
	v_xor_b32_e32 v164, s23, v164
	v_cmp_gt_i32_e64 s23, 0, v168
	v_and_b32_e32 v39, v39, v163
	v_not_b32_e32 v163, v165
	v_ashrrev_i32_e32 v167, 31, v167
	v_xor_b32_e32 v166, vcc_lo, v166
	v_cmp_gt_i32_e32 vcc_lo, 0, v165
	v_and_b32_e32 v39, v39, v164
	v_ashrrev_i32_e32 v163, 31, v163
	v_xor_b32_e32 v164, s23, v167
	v_mad_u32_u24 v165, v40, 36, v114
	v_mul_u32_u24_e32 v40, 36, v40
	v_and_b32_e32 v39, v39, v166
	v_xor_b32_e32 v166, vcc_lo, v163
	ds_read_b32 v163, v165 offset:544
	v_and_b32_e32 v39, v39, v164
	; wave barrier
	v_and_b32_e32 v39, v39, v166
	v_add_nc_u32_e32 v166, v114, v40
	v_mbcnt_lo_u32_b32 v164, v39, 0
	v_cmp_ne_u32_e64 s23, 0, v39
	v_cmp_eq_u32_e32 vcc_lo, 0, v164
	s_and_b32 s24, s23, vcc_lo
	s_and_saveexec_b32 s23, s24
	s_cbranch_execz .LBB120_146
; %bb.145:                              ;   in Loop: Header=BB120_108 Depth=2
	s_waitcnt lgkmcnt(0)
	v_bcnt_u32_b32 v39, v39, v163
	ds_write_b32 v166, v39 offset:544
.LBB120_146:                            ;   in Loop: Header=BB120_108 Depth=2
	s_or_b32 exec_lo, exec_lo, s23
	v_lshrrev_b32_e32 v165, 24, v142
	; wave barrier
	v_lshrrev_b32_e32 v39, s61, v165
	v_and_b32_e32 v40, s62, v39
	v_and_b32_e32 v39, 1, v40
	v_lshlrev_b32_e32 v167, 30, v40
	v_lshlrev_b32_e32 v168, 29, v40
	;; [unrolled: 1-line block ×4, first 2 shown]
	v_add_co_u32 v39, s23, v39, -1
	v_cndmask_b32_e64 v169, 0, 1, s23
	v_not_b32_e32 v173, v167
	v_cmp_gt_i32_e64 s23, 0, v167
	v_not_b32_e32 v167, v168
	v_lshlrev_b32_e32 v172, 26, v40
	v_cmp_ne_u32_e32 vcc_lo, 0, v169
	v_ashrrev_i32_e32 v173, 31, v173
	v_lshlrev_b32_e32 v169, 25, v40
	v_ashrrev_i32_e32 v167, 31, v167
	v_xor_b32_e32 v39, vcc_lo, v39
	v_cmp_gt_i32_e32 vcc_lo, 0, v168
	v_not_b32_e32 v168, v170
	v_xor_b32_e32 v173, s23, v173
	v_cmp_gt_i32_e64 s23, 0, v170
	v_and_b32_e32 v39, exec_lo, v39
	v_not_b32_e32 v170, v171
	v_ashrrev_i32_e32 v168, 31, v168
	v_xor_b32_e32 v167, vcc_lo, v167
	v_cmp_gt_i32_e32 vcc_lo, 0, v171
	v_and_b32_e32 v39, v39, v173
	v_not_b32_e32 v171, v172
	v_ashrrev_i32_e32 v170, 31, v170
	v_xor_b32_e32 v168, s23, v168
	v_cmp_gt_i32_e64 s23, 0, v172
	v_and_b32_e32 v39, v39, v167
	v_not_b32_e32 v167, v169
	v_ashrrev_i32_e32 v171, 31, v171
	v_xor_b32_e32 v170, vcc_lo, v170
	v_cmp_gt_i32_e32 vcc_lo, 0, v169
	v_and_b32_e32 v39, v39, v168
	v_ashrrev_i32_e32 v167, 31, v167
	v_xor_b32_e32 v168, s23, v171
	v_mad_u32_u24 v169, v40, 36, v114
	v_mul_u32_u24_e32 v40, 36, v40
	v_and_b32_e32 v39, v39, v170
	v_xor_b32_e32 v170, vcc_lo, v167
	ds_read_b32 v167, v169 offset:544
	v_add_nc_u32_e32 v169, v114, v40
	v_and_b32_e32 v39, v39, v168
	; wave barrier
	v_and_b32_e32 v39, v39, v170
	v_mbcnt_lo_u32_b32 v168, v39, 0
	v_cmp_ne_u32_e64 s23, 0, v39
	v_cmp_eq_u32_e32 vcc_lo, 0, v168
	s_and_b32 s24, s23, vcc_lo
	s_and_saveexec_b32 s23, s24
	s_cbranch_execz .LBB120_148
; %bb.147:                              ;   in Loop: Header=BB120_108 Depth=2
	s_waitcnt lgkmcnt(0)
	v_bcnt_u32_b32 v39, v39, v167
	ds_write_b32 v169, v39 offset:544
.LBB120_148:                            ;   in Loop: Header=BB120_108 Depth=2
	s_or_b32 exec_lo, exec_lo, s23
	v_xor_b32_e32 v39, -1, v140
	; wave barrier
	v_and_b32_sdwa v40, v92, v39 dst_sel:DWORD dst_unused:UNUSED_PAD src0_sel:DWORD src1_sel:BYTE_0
	v_lshrrev_b32_e32 v40, s61, v40
	v_and_b32_e32 v171, s62, v40
	v_and_b32_e32 v40, 1, v171
	v_lshlrev_b32_e32 v140, 30, v171
	v_lshlrev_b32_e32 v170, 29, v171
	;; [unrolled: 1-line block ×4, first 2 shown]
	v_add_co_u32 v40, s23, v40, -1
	v_cndmask_b32_e64 v172, 0, 1, s23
	v_not_b32_e32 v176, v140
	v_cmp_gt_i32_e64 s23, 0, v140
	v_not_b32_e32 v140, v170
	v_lshlrev_b32_e32 v175, 26, v171
	v_cmp_ne_u32_e32 vcc_lo, 0, v172
	v_ashrrev_i32_e32 v176, 31, v176
	v_lshlrev_b32_e32 v172, 25, v171
	v_ashrrev_i32_e32 v140, 31, v140
	v_xor_b32_e32 v40, vcc_lo, v40
	v_cmp_gt_i32_e32 vcc_lo, 0, v170
	v_not_b32_e32 v170, v173
	v_xor_b32_e32 v176, s23, v176
	v_cmp_gt_i32_e64 s23, 0, v173
	v_and_b32_e32 v40, exec_lo, v40
	v_not_b32_e32 v173, v174
	v_ashrrev_i32_e32 v170, 31, v170
	v_xor_b32_e32 v140, vcc_lo, v140
	v_cmp_gt_i32_e32 vcc_lo, 0, v174
	v_and_b32_e32 v40, v40, v176
	v_not_b32_e32 v174, v175
	v_ashrrev_i32_e32 v173, 31, v173
	v_xor_b32_e32 v170, s23, v170
	v_cmp_gt_i32_e64 s23, 0, v175
	v_and_b32_e32 v40, v40, v140
	v_not_b32_e32 v140, v172
	v_ashrrev_i32_e32 v174, 31, v174
	v_xor_b32_e32 v173, vcc_lo, v173
	v_cmp_gt_i32_e32 vcc_lo, 0, v172
	v_and_b32_e32 v40, v40, v170
	v_ashrrev_i32_e32 v140, 31, v140
	v_xor_b32_e32 v170, s23, v174
	v_mad_u32_u24 v172, v171, 36, v114
	v_mul_u32_u24_e32 v171, 36, v171
	v_and_b32_e32 v40, v40, v173
	v_xor_b32_e32 v173, vcc_lo, v140
	ds_read_b32 v140, v172 offset:544
	v_add_nc_u32_e32 v171, v114, v171
	v_and_b32_e32 v40, v40, v170
	; wave barrier
	v_and_b32_e32 v40, v40, v173
	v_mbcnt_lo_u32_b32 v170, v40, 0
	v_cmp_ne_u32_e64 s23, 0, v40
	v_cmp_eq_u32_e32 vcc_lo, 0, v170
	s_and_b32 s24, s23, vcc_lo
	s_and_saveexec_b32 s23, s24
	s_cbranch_execz .LBB120_150
; %bb.149:                              ;   in Loop: Header=BB120_108 Depth=2
	s_waitcnt lgkmcnt(0)
	v_bcnt_u32_b32 v40, v40, v140
	ds_write_b32 v171, v40 offset:544
.LBB120_150:                            ;   in Loop: Header=BB120_108 Depth=2
	s_or_b32 exec_lo, exec_lo, s23
	v_xor_b32_sdwa v40, v137, v93 dst_sel:BYTE_1 dst_unused:UNUSED_PAD src0_sel:DWORD src1_sel:DWORD
	v_xor_b32_e32 v138, -1, v138
	v_xor_b32_sdwa v139, v139, v93 dst_sel:BYTE_1 dst_unused:UNUSED_PAD src0_sel:DWORD src1_sel:DWORD
	; wave barrier
	v_or_b32_sdwa v137, v39, v40 dst_sel:DWORD dst_unused:UNUSED_PAD src0_sel:BYTE_0 src1_sel:DWORD
	v_or_b32_sdwa v39, v138, v139 dst_sel:WORD_1 dst_unused:UNUSED_PAD src0_sel:BYTE_0 src1_sel:DWORD
	v_or_b32_sdwa v138, v137, v39 dst_sel:DWORD dst_unused:UNUSED_PAD src0_sel:WORD_0 src1_sel:DWORD
	v_lshrrev_b32_sdwa v39, s61, v138 dst_sel:DWORD dst_unused:UNUSED_PAD src0_sel:DWORD src1_sel:BYTE_1
	v_and_b32_e32 v40, s62, v39
	v_and_b32_e32 v39, 1, v40
	v_lshlrev_b32_e32 v139, 30, v40
	v_lshlrev_b32_e32 v172, 29, v40
	;; [unrolled: 1-line block ×4, first 2 shown]
	v_add_co_u32 v39, s23, v39, -1
	v_cndmask_b32_e64 v173, 0, 1, s23
	v_not_b32_e32 v177, v139
	v_cmp_gt_i32_e64 s23, 0, v139
	v_not_b32_e32 v139, v172
	v_lshlrev_b32_e32 v176, 26, v40
	v_cmp_ne_u32_e32 vcc_lo, 0, v173
	v_ashrrev_i32_e32 v177, 31, v177
	v_lshlrev_b32_e32 v173, 25, v40
	v_ashrrev_i32_e32 v139, 31, v139
	v_xor_b32_e32 v39, vcc_lo, v39
	v_cmp_gt_i32_e32 vcc_lo, 0, v172
	v_not_b32_e32 v172, v174
	v_xor_b32_e32 v177, s23, v177
	v_cmp_gt_i32_e64 s23, 0, v174
	v_and_b32_e32 v39, exec_lo, v39
	v_not_b32_e32 v174, v175
	v_ashrrev_i32_e32 v172, 31, v172
	v_xor_b32_e32 v139, vcc_lo, v139
	v_cmp_gt_i32_e32 vcc_lo, 0, v175
	v_and_b32_e32 v39, v39, v177
	v_not_b32_e32 v175, v176
	v_ashrrev_i32_e32 v174, 31, v174
	v_xor_b32_e32 v172, s23, v172
	v_cmp_gt_i32_e64 s23, 0, v176
	v_and_b32_e32 v39, v39, v139
	v_not_b32_e32 v139, v173
	v_ashrrev_i32_e32 v175, 31, v175
	v_xor_b32_e32 v174, vcc_lo, v174
	v_cmp_gt_i32_e32 vcc_lo, 0, v173
	v_and_b32_e32 v39, v39, v172
	v_ashrrev_i32_e32 v139, 31, v139
	v_xor_b32_e32 v172, s23, v175
	v_mad_u32_u24 v173, v40, 36, v114
	v_mul_u32_u24_e32 v40, 36, v40
	v_and_b32_e32 v39, v39, v174
	v_xor_b32_e32 v174, vcc_lo, v139
	ds_read_b32 v139, v173 offset:544
	v_add_nc_u32_e32 v173, v114, v40
	v_and_b32_e32 v39, v39, v172
	; wave barrier
	v_and_b32_e32 v39, v39, v174
	v_mbcnt_lo_u32_b32 v172, v39, 0
	v_cmp_ne_u32_e64 s23, 0, v39
	v_cmp_eq_u32_e32 vcc_lo, 0, v172
	s_and_b32 s24, s23, vcc_lo
	s_and_saveexec_b32 s23, s24
	s_cbranch_execz .LBB120_152
; %bb.151:                              ;   in Loop: Header=BB120_108 Depth=2
	s_waitcnt lgkmcnt(0)
	v_bcnt_u32_b32 v39, v39, v139
	ds_write_b32 v173, v39 offset:544
.LBB120_152:                            ;   in Loop: Header=BB120_108 Depth=2
	s_or_b32 exec_lo, exec_lo, s23
	v_lshrrev_b32_sdwa v39, s61, v138 dst_sel:DWORD dst_unused:UNUSED_PAD src0_sel:DWORD src1_sel:BYTE_2
	; wave barrier
	v_and_b32_e32 v40, s62, v39
	v_and_b32_e32 v39, 1, v40
	v_lshlrev_b32_e32 v174, 30, v40
	v_lshlrev_b32_e32 v175, 29, v40
	;; [unrolled: 1-line block ×4, first 2 shown]
	v_add_co_u32 v39, s23, v39, -1
	v_cndmask_b32_e64 v176, 0, 1, s23
	v_not_b32_e32 v180, v174
	v_cmp_gt_i32_e64 s23, 0, v174
	v_not_b32_e32 v174, v175
	v_lshlrev_b32_e32 v179, 26, v40
	v_cmp_ne_u32_e32 vcc_lo, 0, v176
	v_ashrrev_i32_e32 v180, 31, v180
	v_lshlrev_b32_e32 v176, 25, v40
	v_ashrrev_i32_e32 v174, 31, v174
	v_xor_b32_e32 v39, vcc_lo, v39
	v_cmp_gt_i32_e32 vcc_lo, 0, v175
	v_not_b32_e32 v175, v177
	v_xor_b32_e32 v180, s23, v180
	v_cmp_gt_i32_e64 s23, 0, v177
	v_and_b32_e32 v39, exec_lo, v39
	v_not_b32_e32 v177, v178
	v_ashrrev_i32_e32 v175, 31, v175
	v_xor_b32_e32 v174, vcc_lo, v174
	v_cmp_gt_i32_e32 vcc_lo, 0, v178
	v_and_b32_e32 v39, v39, v180
	v_not_b32_e32 v178, v179
	v_ashrrev_i32_e32 v177, 31, v177
	v_xor_b32_e32 v175, s23, v175
	v_cmp_gt_i32_e64 s23, 0, v179
	v_and_b32_e32 v39, v39, v174
	v_not_b32_e32 v174, v176
	v_ashrrev_i32_e32 v178, 31, v178
	v_xor_b32_e32 v177, vcc_lo, v177
	v_cmp_gt_i32_e32 vcc_lo, 0, v176
	v_and_b32_e32 v39, v39, v175
	v_ashrrev_i32_e32 v174, 31, v174
	v_xor_b32_e32 v175, s23, v178
	v_mad_u32_u24 v176, v40, 36, v114
	v_mul_u32_u24_e32 v40, 36, v40
	v_and_b32_e32 v39, v39, v177
	v_xor_b32_e32 v177, vcc_lo, v174
	ds_read_b32 v174, v176 offset:544
	v_and_b32_e32 v39, v39, v175
	; wave barrier
	v_and_b32_e32 v39, v39, v177
	v_add_nc_u32_e32 v177, v114, v40
	v_mbcnt_lo_u32_b32 v175, v39, 0
	v_cmp_ne_u32_e64 s23, 0, v39
	v_cmp_eq_u32_e32 vcc_lo, 0, v175
	s_and_b32 s24, s23, vcc_lo
	s_and_saveexec_b32 s23, s24
	s_cbranch_execz .LBB120_154
; %bb.153:                              ;   in Loop: Header=BB120_108 Depth=2
	s_waitcnt lgkmcnt(0)
	v_bcnt_u32_b32 v39, v39, v174
	ds_write_b32 v177, v39 offset:544
.LBB120_154:                            ;   in Loop: Header=BB120_108 Depth=2
	s_or_b32 exec_lo, exec_lo, s23
	v_lshrrev_b32_e32 v176, 24, v138
	; wave barrier
	v_lshrrev_b32_e32 v39, s61, v176
	v_and_b32_e32 v40, s62, v39
	v_and_b32_e32 v39, 1, v40
	v_lshlrev_b32_e32 v178, 30, v40
	v_lshlrev_b32_e32 v179, 29, v40
	;; [unrolled: 1-line block ×4, first 2 shown]
	v_add_co_u32 v39, s23, v39, -1
	v_cndmask_b32_e64 v180, 0, 1, s23
	v_not_b32_e32 v184, v178
	v_cmp_gt_i32_e64 s23, 0, v178
	v_not_b32_e32 v178, v179
	v_lshlrev_b32_e32 v183, 26, v40
	v_cmp_ne_u32_e32 vcc_lo, 0, v180
	v_ashrrev_i32_e32 v184, 31, v184
	v_lshlrev_b32_e32 v180, 25, v40
	v_ashrrev_i32_e32 v178, 31, v178
	v_xor_b32_e32 v39, vcc_lo, v39
	v_cmp_gt_i32_e32 vcc_lo, 0, v179
	v_not_b32_e32 v179, v181
	v_xor_b32_e32 v184, s23, v184
	v_cmp_gt_i32_e64 s23, 0, v181
	v_and_b32_e32 v39, exec_lo, v39
	v_not_b32_e32 v181, v182
	v_ashrrev_i32_e32 v179, 31, v179
	v_xor_b32_e32 v178, vcc_lo, v178
	v_cmp_gt_i32_e32 vcc_lo, 0, v182
	v_and_b32_e32 v39, v39, v184
	v_not_b32_e32 v182, v183
	v_ashrrev_i32_e32 v181, 31, v181
	v_xor_b32_e32 v179, s23, v179
	v_cmp_gt_i32_e64 s23, 0, v183
	v_and_b32_e32 v39, v39, v178
	v_not_b32_e32 v178, v180
	v_ashrrev_i32_e32 v182, 31, v182
	v_xor_b32_e32 v181, vcc_lo, v181
	v_cmp_gt_i32_e32 vcc_lo, 0, v180
	v_and_b32_e32 v39, v39, v179
	v_ashrrev_i32_e32 v178, 31, v178
	v_xor_b32_e32 v179, s23, v182
	v_mad_u32_u24 v180, v40, 36, v114
	v_mul_u32_u24_e32 v40, 36, v40
	v_and_b32_e32 v39, v39, v181
	v_xor_b32_e32 v181, vcc_lo, v178
	ds_read_b32 v178, v180 offset:544
	v_add_nc_u32_e32 v180, v114, v40
	v_and_b32_e32 v39, v39, v179
	; wave barrier
	v_and_b32_e32 v39, v39, v181
	v_mbcnt_lo_u32_b32 v179, v39, 0
	v_cmp_ne_u32_e64 s23, 0, v39
	v_cmp_eq_u32_e32 vcc_lo, 0, v179
	s_and_b32 s24, s23, vcc_lo
	s_and_saveexec_b32 s23, s24
	s_cbranch_execz .LBB120_156
; %bb.155:                              ;   in Loop: Header=BB120_108 Depth=2
	s_waitcnt lgkmcnt(0)
	v_bcnt_u32_b32 v39, v39, v178
	ds_write_b32 v180, v39 offset:544
.LBB120_156:                            ;   in Loop: Header=BB120_108 Depth=2
	s_or_b32 exec_lo, exec_lo, s23
	v_xor_b32_e32 v39, -1, v135
	; wave barrier
	v_and_b32_sdwa v40, v92, v39 dst_sel:DWORD dst_unused:UNUSED_PAD src0_sel:DWORD src1_sel:BYTE_0
	v_lshrrev_b32_e32 v40, s61, v40
	v_and_b32_e32 v182, s62, v40
	v_and_b32_e32 v40, 1, v182
	v_lshlrev_b32_e32 v135, 30, v182
	v_lshlrev_b32_e32 v181, 29, v182
	;; [unrolled: 1-line block ×4, first 2 shown]
	v_add_co_u32 v40, s23, v40, -1
	v_cndmask_b32_e64 v183, 0, 1, s23
	v_not_b32_e32 v187, v135
	v_cmp_gt_i32_e64 s23, 0, v135
	v_not_b32_e32 v135, v181
	v_lshlrev_b32_e32 v186, 26, v182
	v_cmp_ne_u32_e32 vcc_lo, 0, v183
	v_ashrrev_i32_e32 v187, 31, v187
	v_lshlrev_b32_e32 v183, 25, v182
	v_ashrrev_i32_e32 v135, 31, v135
	v_xor_b32_e32 v40, vcc_lo, v40
	v_cmp_gt_i32_e32 vcc_lo, 0, v181
	v_not_b32_e32 v181, v184
	v_xor_b32_e32 v187, s23, v187
	v_cmp_gt_i32_e64 s23, 0, v184
	v_and_b32_e32 v40, exec_lo, v40
	v_not_b32_e32 v184, v185
	v_ashrrev_i32_e32 v181, 31, v181
	v_xor_b32_e32 v135, vcc_lo, v135
	v_cmp_gt_i32_e32 vcc_lo, 0, v185
	v_and_b32_e32 v40, v40, v187
	v_not_b32_e32 v185, v186
	v_ashrrev_i32_e32 v184, 31, v184
	v_xor_b32_e32 v181, s23, v181
	v_cmp_gt_i32_e64 s23, 0, v186
	v_and_b32_e32 v40, v40, v135
	v_not_b32_e32 v135, v183
	v_ashrrev_i32_e32 v185, 31, v185
	v_xor_b32_e32 v184, vcc_lo, v184
	v_cmp_gt_i32_e32 vcc_lo, 0, v183
	v_and_b32_e32 v40, v40, v181
	v_ashrrev_i32_e32 v135, 31, v135
	v_xor_b32_e32 v181, s23, v185
	v_mad_u32_u24 v183, v182, 36, v114
	v_mul_u32_u24_e32 v182, 36, v182
	v_and_b32_e32 v40, v40, v184
	v_xor_b32_e32 v184, vcc_lo, v135
	ds_read_b32 v135, v183 offset:544
	v_add_nc_u32_e32 v183, v114, v182
	v_and_b32_e32 v40, v40, v181
	; wave barrier
	v_and_b32_e32 v40, v40, v184
	v_mbcnt_lo_u32_b32 v181, v40, 0
	v_cmp_ne_u32_e64 s23, 0, v40
	v_cmp_eq_u32_e32 vcc_lo, 0, v181
	s_and_b32 s24, s23, vcc_lo
	s_and_saveexec_b32 s23, s24
	s_cbranch_execz .LBB120_158
; %bb.157:                              ;   in Loop: Header=BB120_108 Depth=2
	s_waitcnt lgkmcnt(0)
	v_bcnt_u32_b32 v40, v40, v135
	ds_write_b32 v183, v40 offset:544
.LBB120_158:                            ;   in Loop: Header=BB120_108 Depth=2
	s_or_b32 exec_lo, exec_lo, s23
	v_xor_b32_sdwa v3, v3, v93 dst_sel:BYTE_1 dst_unused:UNUSED_PAD src0_sel:DWORD src1_sel:DWORD
	v_xor_b32_e32 v40, -1, v41
	v_xor_b32_sdwa v41, v42, v93 dst_sel:BYTE_1 dst_unused:UNUSED_PAD src0_sel:DWORD src1_sel:DWORD
	; wave barrier
	v_or_b32_sdwa v182, v39, v3 dst_sel:DWORD dst_unused:UNUSED_PAD src0_sel:BYTE_0 src1_sel:DWORD
	v_or_b32_sdwa v3, v40, v41 dst_sel:WORD_1 dst_unused:UNUSED_PAD src0_sel:BYTE_0 src1_sel:DWORD
	v_or_b32_sdwa v3, v182, v3 dst_sel:DWORD dst_unused:UNUSED_PAD src0_sel:WORD_0 src1_sel:DWORD
	v_lshrrev_b32_sdwa v39, s61, v3 dst_sel:DWORD dst_unused:UNUSED_PAD src0_sel:DWORD src1_sel:BYTE_1
	v_and_b32_e32 v40, s62, v39
	v_and_b32_e32 v39, 1, v40
	v_lshlrev_b32_e32 v41, 30, v40
	v_lshlrev_b32_e32 v42, 29, v40
	;; [unrolled: 1-line block ×4, first 2 shown]
	v_add_co_u32 v39, s23, v39, -1
	v_cndmask_b32_e64 v184, 0, 1, s23
	v_not_b32_e32 v188, v41
	v_cmp_gt_i32_e64 s23, 0, v41
	v_not_b32_e32 v41, v42
	v_lshlrev_b32_e32 v187, 26, v40
	v_cmp_ne_u32_e32 vcc_lo, 0, v184
	v_ashrrev_i32_e32 v188, 31, v188
	v_lshlrev_b32_e32 v184, 25, v40
	v_ashrrev_i32_e32 v41, 31, v41
	v_xor_b32_e32 v39, vcc_lo, v39
	v_cmp_gt_i32_e32 vcc_lo, 0, v42
	v_not_b32_e32 v42, v185
	v_xor_b32_e32 v188, s23, v188
	v_cmp_gt_i32_e64 s23, 0, v185
	v_and_b32_e32 v39, exec_lo, v39
	v_not_b32_e32 v185, v186
	v_ashrrev_i32_e32 v42, 31, v42
	v_xor_b32_e32 v41, vcc_lo, v41
	v_cmp_gt_i32_e32 vcc_lo, 0, v186
	v_and_b32_e32 v39, v39, v188
	v_not_b32_e32 v186, v187
	v_ashrrev_i32_e32 v185, 31, v185
	v_xor_b32_e32 v42, s23, v42
	v_cmp_gt_i32_e64 s23, 0, v187
	v_and_b32_e32 v39, v39, v41
	v_not_b32_e32 v41, v184
	v_ashrrev_i32_e32 v186, 31, v186
	v_xor_b32_e32 v185, vcc_lo, v185
	v_cmp_gt_i32_e32 vcc_lo, 0, v184
	v_and_b32_e32 v39, v39, v42
	v_ashrrev_i32_e32 v41, 31, v41
	v_xor_b32_e32 v42, s23, v186
	v_mad_u32_u24 v184, v40, 36, v114
	v_mul_u32_u24_e32 v40, 36, v40
	v_and_b32_e32 v39, v39, v185
	v_xor_b32_e32 v41, vcc_lo, v41
	ds_read_b32 v184, v184 offset:544
	v_add_nc_u32_e32 v186, v114, v40
	v_and_b32_e32 v39, v39, v42
	; wave barrier
	v_and_b32_e32 v39, v39, v41
	v_mbcnt_lo_u32_b32 v185, v39, 0
	v_cmp_ne_u32_e64 s23, 0, v39
	v_cmp_eq_u32_e32 vcc_lo, 0, v185
	s_and_b32 s24, s23, vcc_lo
	s_and_saveexec_b32 s23, s24
	s_cbranch_execz .LBB120_160
; %bb.159:                              ;   in Loop: Header=BB120_108 Depth=2
	s_waitcnt lgkmcnt(0)
	v_bcnt_u32_b32 v39, v39, v184
	ds_write_b32 v186, v39 offset:544
.LBB120_160:                            ;   in Loop: Header=BB120_108 Depth=2
	s_or_b32 exec_lo, exec_lo, s23
	v_lshrrev_b32_sdwa v39, s61, v3 dst_sel:DWORD dst_unused:UNUSED_PAD src0_sel:DWORD src1_sel:BYTE_2
	; wave barrier
	v_and_b32_e32 v40, s62, v39
	v_and_b32_e32 v39, 1, v40
	v_lshlrev_b32_e32 v41, 30, v40
	v_lshlrev_b32_e32 v42, 29, v40
	;; [unrolled: 1-line block ×4, first 2 shown]
	v_add_co_u32 v39, s23, v39, -1
	v_cndmask_b32_e64 v187, 0, 1, s23
	v_not_b32_e32 v191, v41
	v_cmp_gt_i32_e64 s23, 0, v41
	v_not_b32_e32 v41, v42
	v_lshlrev_b32_e32 v190, 26, v40
	v_cmp_ne_u32_e32 vcc_lo, 0, v187
	v_ashrrev_i32_e32 v191, 31, v191
	v_lshlrev_b32_e32 v187, 25, v40
	v_ashrrev_i32_e32 v41, 31, v41
	v_xor_b32_e32 v39, vcc_lo, v39
	v_cmp_gt_i32_e32 vcc_lo, 0, v42
	v_not_b32_e32 v42, v188
	v_xor_b32_e32 v191, s23, v191
	v_cmp_gt_i32_e64 s23, 0, v188
	v_and_b32_e32 v39, exec_lo, v39
	v_not_b32_e32 v188, v189
	v_ashrrev_i32_e32 v42, 31, v42
	v_xor_b32_e32 v41, vcc_lo, v41
	v_cmp_gt_i32_e32 vcc_lo, 0, v189
	v_and_b32_e32 v39, v39, v191
	v_not_b32_e32 v189, v190
	v_ashrrev_i32_e32 v188, 31, v188
	v_xor_b32_e32 v42, s23, v42
	v_cmp_gt_i32_e64 s23, 0, v190
	v_and_b32_e32 v39, v39, v41
	v_not_b32_e32 v41, v187
	v_ashrrev_i32_e32 v189, 31, v189
	v_xor_b32_e32 v188, vcc_lo, v188
	v_cmp_gt_i32_e32 vcc_lo, 0, v187
	v_and_b32_e32 v39, v39, v42
	v_ashrrev_i32_e32 v41, 31, v41
	v_xor_b32_e32 v42, s23, v189
	v_mad_u32_u24 v187, v40, 36, v114
	v_mul_u32_u24_e32 v40, 36, v40
	v_and_b32_e32 v39, v39, v188
	v_xor_b32_e32 v41, vcc_lo, v41
	ds_read_b32 v187, v187 offset:544
	v_add_nc_u32_e32 v190, v114, v40
	v_and_b32_e32 v39, v39, v42
	; wave barrier
	v_and_b32_e32 v39, v39, v41
	v_mbcnt_lo_u32_b32 v188, v39, 0
	v_cmp_ne_u32_e64 s23, 0, v39
	v_cmp_eq_u32_e32 vcc_lo, 0, v188
	s_and_b32 s24, s23, vcc_lo
	s_and_saveexec_b32 s23, s24
	s_cbranch_execz .LBB120_162
; %bb.161:                              ;   in Loop: Header=BB120_108 Depth=2
	s_waitcnt lgkmcnt(0)
	v_bcnt_u32_b32 v39, v39, v187
	ds_write_b32 v190, v39 offset:544
.LBB120_162:                            ;   in Loop: Header=BB120_108 Depth=2
	s_or_b32 exec_lo, exec_lo, s23
	v_lshrrev_b32_e32 v189, 24, v3
	; wave barrier
	v_lshrrev_b32_e32 v39, s61, v189
	v_and_b32_e32 v40, s62, v39
	v_and_b32_e32 v39, 1, v40
	v_lshlrev_b32_e32 v41, 30, v40
	v_lshlrev_b32_e32 v42, 29, v40
	v_lshlrev_b32_e32 v192, 28, v40
	v_lshlrev_b32_e32 v193, 27, v40
	v_add_co_u32 v39, s23, v39, -1
	v_cndmask_b32_e64 v191, 0, 1, s23
	v_not_b32_e32 v195, v41
	v_cmp_gt_i32_e64 s23, 0, v41
	v_not_b32_e32 v41, v42
	v_lshlrev_b32_e32 v194, 26, v40
	v_cmp_ne_u32_e32 vcc_lo, 0, v191
	v_ashrrev_i32_e32 v195, 31, v195
	v_lshlrev_b32_e32 v191, 25, v40
	v_ashrrev_i32_e32 v41, 31, v41
	v_xor_b32_e32 v39, vcc_lo, v39
	v_cmp_gt_i32_e32 vcc_lo, 0, v42
	v_not_b32_e32 v42, v192
	v_xor_b32_e32 v195, s23, v195
	v_cmp_gt_i32_e64 s23, 0, v192
	v_and_b32_e32 v39, exec_lo, v39
	v_not_b32_e32 v192, v193
	v_ashrrev_i32_e32 v42, 31, v42
	v_xor_b32_e32 v41, vcc_lo, v41
	v_cmp_gt_i32_e32 vcc_lo, 0, v193
	v_and_b32_e32 v39, v39, v195
	v_not_b32_e32 v193, v194
	v_ashrrev_i32_e32 v192, 31, v192
	v_xor_b32_e32 v42, s23, v42
	v_cmp_gt_i32_e64 s23, 0, v194
	v_and_b32_e32 v39, v39, v41
	v_not_b32_e32 v41, v191
	v_ashrrev_i32_e32 v193, 31, v193
	v_xor_b32_e32 v192, vcc_lo, v192
	v_cmp_gt_i32_e32 vcc_lo, 0, v191
	v_and_b32_e32 v39, v39, v42
	v_ashrrev_i32_e32 v41, 31, v41
	v_xor_b32_e32 v42, s23, v193
	v_mad_u32_u24 v191, v40, 36, v114
	v_mul_u32_u24_e32 v40, 36, v40
	v_and_b32_e32 v39, v39, v192
	v_xor_b32_e32 v41, vcc_lo, v41
	ds_read_b32 v191, v191 offset:544
	v_add_nc_u32_e32 v193, v114, v40
	v_and_b32_e32 v39, v39, v42
	; wave barrier
	v_and_b32_e32 v39, v39, v41
	v_mbcnt_lo_u32_b32 v192, v39, 0
	v_cmp_ne_u32_e64 s23, 0, v39
	v_cmp_eq_u32_e32 vcc_lo, 0, v192
	s_and_b32 s24, s23, vcc_lo
	s_and_saveexec_b32 s23, s24
	s_cbranch_execz .LBB120_164
; %bb.163:                              ;   in Loop: Header=BB120_108 Depth=2
	s_waitcnt lgkmcnt(0)
	v_bcnt_u32_b32 v39, v39, v191
	ds_write_b32 v193, v39 offset:544
.LBB120_164:                            ;   in Loop: Header=BB120_108 Depth=2
	s_or_b32 exec_lo, exec_lo, s23
	v_xor_b32_e32 v127, -1, v127
	; wave barrier
	v_lshrrev_b32_sdwa v39, s61, v127 dst_sel:DWORD dst_unused:UNUSED_PAD src0_sel:DWORD src1_sel:BYTE_0
	v_and_b32_e32 v40, s62, v39
	v_and_b32_e32 v39, 1, v40
	v_lshlrev_b32_e32 v41, 30, v40
	v_lshlrev_b32_e32 v42, 29, v40
	;; [unrolled: 1-line block ×4, first 2 shown]
	v_add_co_u32 v39, s23, v39, -1
	v_cndmask_b32_e64 v194, 0, 1, s23
	v_not_b32_e32 v198, v41
	v_cmp_gt_i32_e64 s23, 0, v41
	v_not_b32_e32 v41, v42
	v_lshlrev_b32_e32 v197, 26, v40
	v_cmp_ne_u32_e32 vcc_lo, 0, v194
	v_ashrrev_i32_e32 v198, 31, v198
	v_lshlrev_b32_e32 v194, 25, v40
	v_ashrrev_i32_e32 v41, 31, v41
	v_xor_b32_e32 v39, vcc_lo, v39
	v_cmp_gt_i32_e32 vcc_lo, 0, v42
	v_not_b32_e32 v42, v195
	v_xor_b32_e32 v198, s23, v198
	v_cmp_gt_i32_e64 s23, 0, v195
	v_and_b32_e32 v39, exec_lo, v39
	v_not_b32_e32 v195, v196
	v_ashrrev_i32_e32 v42, 31, v42
	v_xor_b32_e32 v41, vcc_lo, v41
	v_cmp_gt_i32_e32 vcc_lo, 0, v196
	v_and_b32_e32 v39, v39, v198
	v_not_b32_e32 v196, v197
	v_ashrrev_i32_e32 v195, 31, v195
	v_xor_b32_e32 v42, s23, v42
	v_cmp_gt_i32_e64 s23, 0, v197
	v_and_b32_e32 v39, v39, v41
	v_not_b32_e32 v41, v194
	v_ashrrev_i32_e32 v196, 31, v196
	v_xor_b32_e32 v195, vcc_lo, v195
	v_cmp_gt_i32_e32 vcc_lo, 0, v194
	v_and_b32_e32 v39, v39, v42
	v_ashrrev_i32_e32 v41, 31, v41
	v_xor_b32_e32 v42, s23, v196
	v_mad_u32_u24 v194, v40, 36, v114
	v_mul_u32_u24_e32 v40, 36, v40
	v_and_b32_e32 v39, v39, v195
	v_xor_b32_e32 v41, vcc_lo, v41
	ds_read_b32 v194, v194 offset:544
	v_add_nc_u32_e32 v196, v114, v40
	v_and_b32_e32 v39, v39, v42
	; wave barrier
	v_and_b32_e32 v39, v39, v41
	v_mbcnt_lo_u32_b32 v195, v39, 0
	v_cmp_ne_u32_e64 s23, 0, v39
	v_cmp_eq_u32_e32 vcc_lo, 0, v195
	s_and_b32 s24, s23, vcc_lo
	s_and_saveexec_b32 s23, s24
	s_cbranch_execz .LBB120_166
; %bb.165:                              ;   in Loop: Header=BB120_108 Depth=2
	s_waitcnt lgkmcnt(0)
	v_bcnt_u32_b32 v39, v39, v194
	ds_write_b32 v196, v39 offset:544
.LBB120_166:                            ;   in Loop: Header=BB120_108 Depth=2
	s_or_b32 exec_lo, exec_lo, s23
	; wave barrier
	s_waitcnt lgkmcnt(0)
	s_barrier
	buffer_gl0_inv
	ds_read2_b32 v[41:42], v69 offset0:136 offset1:137
	ds_read2_b32 v[39:40], v69 offset0:138 offset1:139
	ds_read_b32 v197, v69 offset:560
	s_waitcnt lgkmcnt(1)
	v_add3_u32 v198, v42, v41, v39
	s_waitcnt lgkmcnt(0)
	v_add3_u32 v197, v198, v40, v197
	v_mov_b32_dpp v198, v197 row_shr:1 row_mask:0xf bank_mask:0xf
	v_cndmask_b32_e64 v198, v198, 0, s5
	v_add_nc_u32_e32 v197, v198, v197
	v_mov_b32_dpp v198, v197 row_shr:2 row_mask:0xf bank_mask:0xf
	v_cndmask_b32_e64 v198, 0, v198, s15
	v_add_nc_u32_e32 v197, v197, v198
	;; [unrolled: 3-line block ×4, first 2 shown]
	ds_swizzle_b32 v198, v197 offset:swizzle(BROADCAST,32,15)
	s_waitcnt lgkmcnt(0)
	v_cndmask_b32_e64 v198, v198, 0, s18
	v_add_nc_u32_e32 v197, v197, v198
	s_and_saveexec_b32 s23, s4
; %bb.167:                              ;   in Loop: Header=BB120_108 Depth=2
	ds_write_b32 v62, v197 offset:512
; %bb.168:                              ;   in Loop: Header=BB120_108 Depth=2
	s_or_b32 exec_lo, exec_lo, s23
	s_waitcnt lgkmcnt(0)
	s_barrier
	buffer_gl0_inv
	s_and_saveexec_b32 s23, s12
	s_cbranch_execz .LBB120_170
; %bb.169:                              ;   in Loop: Header=BB120_108 Depth=2
	ds_read_b32 v198, v70 offset:512
	s_waitcnt lgkmcnt(0)
	v_mov_b32_dpp v199, v198 row_shr:1 row_mask:0xf bank_mask:0xf
	v_cndmask_b32_e64 v199, v199, 0, s20
	v_add_nc_u32_e32 v198, v199, v198
	v_mov_b32_dpp v199, v198 row_shr:2 row_mask:0xf bank_mask:0xf
	v_cndmask_b32_e64 v199, 0, v199, s21
	v_add_nc_u32_e32 v198, v198, v199
	;; [unrolled: 3-line block ×3, first 2 shown]
	ds_write_b32 v70, v198 offset:512
.LBB120_170:                            ;   in Loop: Header=BB120_108 Depth=2
	s_or_b32 exec_lo, exec_lo, s23
	v_mov_b32_e32 v198, 0
	s_waitcnt lgkmcnt(0)
	s_barrier
	buffer_gl0_inv
	s_and_saveexec_b32 s23, s11
; %bb.171:                              ;   in Loop: Header=BB120_108 Depth=2
	ds_read_b32 v198, v62 offset:508
; %bb.172:                              ;   in Loop: Header=BB120_108 Depth=2
	s_or_b32 exec_lo, exec_lo, s23
	s_waitcnt lgkmcnt(0)
	v_add_nc_u32_e32 v197, v198, v197
	ds_bpermute_b32 v197, v94, v197
	s_waitcnt lgkmcnt(0)
	v_cndmask_b32_e64 v197, v197, v198, s19
	v_cndmask_b32_e64 v197, v197, 0, s13
	v_add_nc_u32_e32 v41, v197, v41
	v_add_nc_u32_e32 v42, v41, v42
	;; [unrolled: 1-line block ×4, first 2 shown]
	ds_write2_b32 v69, v197, v41 offset0:136 offset1:137
	ds_write2_b32 v69, v42, v39 offset0:138 offset1:139
	ds_write_b32 v69, v40 offset:560
	s_waitcnt lgkmcnt(0)
	s_barrier
	buffer_gl0_inv
	ds_read_b32 v39, v147 offset:544
	ds_read_b32 v40, v151 offset:544
	;; [unrolled: 1-line block ×17, first 2 shown]
	s_and_saveexec_b32 s23, s8
	s_cbranch_execz .LBB120_176
; %bb.173:                              ;   in Loop: Header=BB120_108 Depth=2
	v_add_nc_u32_e32 v133, v70, v72
	v_mov_b32_e32 v134, 0x1100
	ds_read_b32 v133, v133 offset:544
	s_and_saveexec_b32 s24, s14
; %bb.174:                              ;   in Loop: Header=BB120_108 Depth=2
	ds_read_b32 v134, v71 offset:544
; %bb.175:                              ;   in Loop: Header=BB120_108 Depth=2
	s_or_b32 exec_lo, exec_lo, s24
	s_waitcnt lgkmcnt(0)
	v_sub_nc_u32_e32 v134, v134, v133
.LBB120_176:                            ;   in Loop: Header=BB120_108 Depth=2
	s_or_b32 exec_lo, exec_lo, s23
	v_lshrrev_b32_e32 v201, 8, v146
	v_lshrrev_b32_e32 v202, 16, v146
	;; [unrolled: 1-line block ×8, first 2 shown]
	s_waitcnt lgkmcnt(0)
	s_barrier
	buffer_gl0_inv
	s_and_saveexec_b32 s23, s8
	s_cbranch_execz .LBB120_178
; %bb.177:                              ;   in Loop: Header=BB120_108 Depth=2
	ds_read_b32 v3, v43
	s_waitcnt lgkmcnt(0)
	v_sub_nc_u32_e32 v3, v3, v133
	ds_write_b32 v43, v3
.LBB120_178:                            ;   in Loop: Header=BB120_108 Depth=2
	s_or_b32 exec_lo, exec_lo, s23
	v_add_nc_u32_e32 v155, v39, v144
	v_add3_u32 v151, v150, v149, v40
	v_add3_u32 v150, v153, v152, v41
	v_add3_u32 v149, v157, v156, v42
	v_add3_u32 v148, v159, v148, v147
	v_add3_u32 v147, v161, v143, v158
	v_add3_u32 v146, v164, v163, v160
	v_add3_u32 v144, v168, v167, v162
	v_add3_u32 v143, v170, v140, v166
	v_add3_u32 v142, v172, v139, v169
	v_add3_u32 v140, v175, v174, v171
	v_add3_u32 v139, v179, v178, v173
	v_add3_u32 v138, v181, v135, v177
	v_add3_u32 v135, v185, v184, v180
	v_add3_u32 v42, v188, v187, v183
	v_add3_u32 v41, v192, v191, v186
	v_add3_u32 v3, v195, v194, v190
	v_cmp_lt_u32_e64 s39, v0, v136
	ds_write_b8 v155, v145 offset:512
	ds_write_b8 v151, v201 offset:512
	;; [unrolled: 1-line block ×17, first 2 shown]
	s_waitcnt lgkmcnt(0)
	s_barrier
	buffer_gl0_inv
	s_and_saveexec_b32 s23, s39
	s_cbranch_execnz .LBB120_251
; %bb.179:                              ;   in Loop: Header=BB120_108 Depth=2
	s_or_b32 exec_lo, exec_lo, s23
	v_cmp_lt_u32_e64 s38, v44, v136
	s_and_saveexec_b32 s23, s38
	s_cbranch_execnz .LBB120_252
.LBB120_180:                            ;   in Loop: Header=BB120_108 Depth=2
	s_or_b32 exec_lo, exec_lo, s23
	v_cmp_lt_u32_e64 s37, v47, v136
	s_and_saveexec_b32 s23, s37
	s_cbranch_execnz .LBB120_253
.LBB120_181:                            ;   in Loop: Header=BB120_108 Depth=2
	s_or_b32 exec_lo, exec_lo, s23
	v_cmp_lt_u32_e64 s36, v48, v136
	s_and_saveexec_b32 s23, s36
	s_cbranch_execnz .LBB120_254
.LBB120_182:                            ;   in Loop: Header=BB120_108 Depth=2
	s_or_b32 exec_lo, exec_lo, s23
	v_cmp_lt_u32_e64 s35, v49, v136
	s_and_saveexec_b32 s23, s35
	s_cbranch_execnz .LBB120_255
.LBB120_183:                            ;   in Loop: Header=BB120_108 Depth=2
	s_or_b32 exec_lo, exec_lo, s23
	v_cmp_lt_u32_e64 s34, v50, v136
	s_and_saveexec_b32 s23, s34
	s_cbranch_execnz .LBB120_256
.LBB120_184:                            ;   in Loop: Header=BB120_108 Depth=2
	s_or_b32 exec_lo, exec_lo, s23
	v_cmp_lt_u32_e64 s33, v51, v136
	s_and_saveexec_b32 s23, s33
	s_cbranch_execnz .LBB120_257
.LBB120_185:                            ;   in Loop: Header=BB120_108 Depth=2
	s_or_b32 exec_lo, exec_lo, s23
	v_cmp_lt_u32_e64 s31, v52, v136
	s_and_saveexec_b32 s23, s31
	s_cbranch_execnz .LBB120_258
.LBB120_186:                            ;   in Loop: Header=BB120_108 Depth=2
	s_or_b32 exec_lo, exec_lo, s23
	v_cmp_lt_u32_e64 s30, v53, v136
	s_and_saveexec_b32 s23, s30
	s_cbranch_execnz .LBB120_259
.LBB120_187:                            ;   in Loop: Header=BB120_108 Depth=2
	s_or_b32 exec_lo, exec_lo, s23
	v_cmp_lt_u32_e64 s29, v54, v136
	s_and_saveexec_b32 s23, s29
	s_cbranch_execnz .LBB120_260
.LBB120_188:                            ;   in Loop: Header=BB120_108 Depth=2
	s_or_b32 exec_lo, exec_lo, s23
	v_cmp_lt_u32_e64 s28, v55, v136
	s_and_saveexec_b32 s23, s28
	s_cbranch_execnz .LBB120_261
.LBB120_189:                            ;   in Loop: Header=BB120_108 Depth=2
	s_or_b32 exec_lo, exec_lo, s23
	v_cmp_lt_u32_e64 s27, v56, v136
	s_and_saveexec_b32 s23, s27
	s_cbranch_execnz .LBB120_262
.LBB120_190:                            ;   in Loop: Header=BB120_108 Depth=2
	s_or_b32 exec_lo, exec_lo, s23
	v_cmp_lt_u32_e64 s26, v57, v136
	s_and_saveexec_b32 s23, s26
	s_cbranch_execnz .LBB120_263
.LBB120_191:                            ;   in Loop: Header=BB120_108 Depth=2
	s_or_b32 exec_lo, exec_lo, s23
	v_cmp_lt_u32_e64 s25, v58, v136
	s_and_saveexec_b32 s23, s25
	s_cbranch_execnz .LBB120_264
.LBB120_192:                            ;   in Loop: Header=BB120_108 Depth=2
	s_or_b32 exec_lo, exec_lo, s23
	v_cmp_lt_u32_e64 s24, v59, v136
	s_and_saveexec_b32 s23, s24
	s_cbranch_execnz .LBB120_265
.LBB120_193:                            ;   in Loop: Header=BB120_108 Depth=2
	s_or_b32 exec_lo, exec_lo, s23
	v_cmp_lt_u32_e64 s23, v60, v136
	s_and_saveexec_b32 s40, s23
	s_cbranch_execnz .LBB120_266
.LBB120_194:                            ;   in Loop: Header=BB120_108 Depth=2
	s_or_b32 exec_lo, exec_lo, s40
	v_cmp_lt_u32_e32 vcc_lo, v61, v136
	s_and_saveexec_b32 s40, vcc_lo
	s_cbranch_execz .LBB120_196
.LBB120_195:                            ;   in Loop: Header=BB120_108 Depth=2
	ds_read_u8 v39, v0 offset:4608
	s_waitcnt lgkmcnt(0)
	v_lshrrev_b32_sdwa v40, s61, v39 dst_sel:DWORD dst_unused:UNUSED_PAD src0_sel:DWORD src1_sel:BYTE_0
	v_xor_b32_e32 v39, -1, v39
	v_and_b32_e32 v40, s62, v40
	v_lshlrev_b32_e32 v40, 2, v40
	ds_read_b32 v40, v40
	s_waitcnt lgkmcnt(0)
	v_add_nc_u32_e32 v40, v40, v61
	global_store_byte v40, v39, s[46:47]
.LBB120_196:                            ;   in Loop: Header=BB120_108 Depth=2
	s_or_b32 exec_lo, exec_lo, s40
	s_lshl_b64 s[66:67], s[50:51], 3
	v_add_co_u32 v39, s40, v96, s66
	v_add_co_ci_u32_e64 v40, null, s67, v97, s40
	v_cmp_lt_u32_e64 s40, v95, v136
	s_and_saveexec_b32 s50, s40
	s_xor_b32 s40, exec_lo, s50
	s_cbranch_execnz .LBB120_267
; %bb.197:                              ;   in Loop: Header=BB120_108 Depth=2
	s_or_b32 exec_lo, exec_lo, s40
	s_mov_b32 s50, exec_lo
	v_cmpx_lt_u32_e64 v98, v136
	s_cbranch_execnz .LBB120_268
.LBB120_198:                            ;   in Loop: Header=BB120_108 Depth=2
	s_or_b32 exec_lo, exec_lo, s50
	s_mov_b32 s50, exec_lo
	v_cmpx_lt_u32_e64 v99, v136
	s_cbranch_execnz .LBB120_269
.LBB120_199:                            ;   in Loop: Header=BB120_108 Depth=2
	s_or_b32 exec_lo, exec_lo, s50
	s_mov_b32 s50, exec_lo
	v_cmpx_lt_u32_e64 v100, v136
	s_cbranch_execnz .LBB120_270
.LBB120_200:                            ;   in Loop: Header=BB120_108 Depth=2
	s_or_b32 exec_lo, exec_lo, s50
	s_mov_b32 s50, exec_lo
	v_cmpx_lt_u32_e64 v101, v136
	s_cbranch_execnz .LBB120_271
.LBB120_201:                            ;   in Loop: Header=BB120_108 Depth=2
	s_or_b32 exec_lo, exec_lo, s50
	s_mov_b32 s50, exec_lo
	v_cmpx_lt_u32_e64 v102, v136
	s_cbranch_execnz .LBB120_272
.LBB120_202:                            ;   in Loop: Header=BB120_108 Depth=2
	s_or_b32 exec_lo, exec_lo, s50
	s_mov_b32 s50, exec_lo
	v_cmpx_lt_u32_e64 v103, v136
	s_cbranch_execnz .LBB120_273
.LBB120_203:                            ;   in Loop: Header=BB120_108 Depth=2
	s_or_b32 exec_lo, exec_lo, s50
	s_mov_b32 s50, exec_lo
	v_cmpx_lt_u32_e64 v104, v136
	s_cbranch_execnz .LBB120_274
.LBB120_204:                            ;   in Loop: Header=BB120_108 Depth=2
	s_or_b32 exec_lo, exec_lo, s50
	s_mov_b32 s50, exec_lo
	v_cmpx_lt_u32_e64 v105, v136
	s_cbranch_execnz .LBB120_275
.LBB120_205:                            ;   in Loop: Header=BB120_108 Depth=2
	s_or_b32 exec_lo, exec_lo, s50
	s_mov_b32 s50, exec_lo
	v_cmpx_lt_u32_e64 v106, v136
	s_cbranch_execnz .LBB120_276
.LBB120_206:                            ;   in Loop: Header=BB120_108 Depth=2
	s_or_b32 exec_lo, exec_lo, s50
	s_mov_b32 s50, exec_lo
	v_cmpx_lt_u32_e64 v107, v136
	s_cbranch_execnz .LBB120_277
.LBB120_207:                            ;   in Loop: Header=BB120_108 Depth=2
	s_or_b32 exec_lo, exec_lo, s50
	s_mov_b32 s50, exec_lo
	v_cmpx_lt_u32_e64 v108, v136
	s_cbranch_execnz .LBB120_278
.LBB120_208:                            ;   in Loop: Header=BB120_108 Depth=2
	s_or_b32 exec_lo, exec_lo, s50
	s_mov_b32 s50, exec_lo
	v_cmpx_lt_u32_e64 v109, v136
	s_cbranch_execnz .LBB120_279
.LBB120_209:                            ;   in Loop: Header=BB120_108 Depth=2
	s_or_b32 exec_lo, exec_lo, s50
	s_mov_b32 s50, exec_lo
	v_cmpx_lt_u32_e64 v110, v136
	s_cbranch_execnz .LBB120_280
.LBB120_210:                            ;   in Loop: Header=BB120_108 Depth=2
	s_or_b32 exec_lo, exec_lo, s50
	s_mov_b32 s50, exec_lo
	v_cmpx_lt_u32_e64 v111, v136
	s_cbranch_execnz .LBB120_281
.LBB120_211:                            ;   in Loop: Header=BB120_108 Depth=2
	s_or_b32 exec_lo, exec_lo, s50
	s_mov_b32 s50, exec_lo
	v_cmpx_lt_u32_e64 v112, v136
	s_cbranch_execnz .LBB120_282
.LBB120_212:                            ;   in Loop: Header=BB120_108 Depth=2
	s_or_b32 exec_lo, exec_lo, s50
	s_mov_b32 s50, exec_lo
	v_cmpx_lt_u32_e64 v113, v136
	s_cbranch_execnz .LBB120_283
.LBB120_213:                            ;   in Loop: Header=BB120_108 Depth=2
	s_or_b32 exec_lo, exec_lo, s50
	s_and_saveexec_b32 s40, s39
	s_cbranch_execnz .LBB120_284
.LBB120_214:                            ;   in Loop: Header=BB120_108 Depth=2
	s_or_b32 exec_lo, exec_lo, s40
	s_and_saveexec_b32 s40, s38
	s_cbranch_execnz .LBB120_285
.LBB120_215:                            ;   in Loop: Header=BB120_108 Depth=2
	s_or_b32 exec_lo, exec_lo, s40
	s_and_saveexec_b32 s40, s37
	s_cbranch_execnz .LBB120_286
.LBB120_216:                            ;   in Loop: Header=BB120_108 Depth=2
	s_or_b32 exec_lo, exec_lo, s40
	s_and_saveexec_b32 s40, s36
	s_cbranch_execnz .LBB120_287
.LBB120_217:                            ;   in Loop: Header=BB120_108 Depth=2
	s_or_b32 exec_lo, exec_lo, s40
	s_and_saveexec_b32 s40, s35
	s_cbranch_execnz .LBB120_288
.LBB120_218:                            ;   in Loop: Header=BB120_108 Depth=2
	s_or_b32 exec_lo, exec_lo, s40
	s_and_saveexec_b32 s40, s34
	s_cbranch_execnz .LBB120_289
.LBB120_219:                            ;   in Loop: Header=BB120_108 Depth=2
	s_or_b32 exec_lo, exec_lo, s40
	s_and_saveexec_b32 s40, s33
	s_cbranch_execnz .LBB120_290
.LBB120_220:                            ;   in Loop: Header=BB120_108 Depth=2
	s_or_b32 exec_lo, exec_lo, s40
	s_and_saveexec_b32 s40, s31
	s_cbranch_execnz .LBB120_291
.LBB120_221:                            ;   in Loop: Header=BB120_108 Depth=2
	s_or_b32 exec_lo, exec_lo, s40
	s_and_saveexec_b32 s40, s30
	s_cbranch_execnz .LBB120_292
.LBB120_222:                            ;   in Loop: Header=BB120_108 Depth=2
	s_or_b32 exec_lo, exec_lo, s40
	s_and_saveexec_b32 s40, s29
	s_cbranch_execnz .LBB120_293
.LBB120_223:                            ;   in Loop: Header=BB120_108 Depth=2
	s_or_b32 exec_lo, exec_lo, s40
	s_and_saveexec_b32 s40, s28
	s_cbranch_execnz .LBB120_294
.LBB120_224:                            ;   in Loop: Header=BB120_108 Depth=2
	s_or_b32 exec_lo, exec_lo, s40
	s_and_saveexec_b32 s40, s27
	s_cbranch_execnz .LBB120_295
.LBB120_225:                            ;   in Loop: Header=BB120_108 Depth=2
	s_or_b32 exec_lo, exec_lo, s40
	s_and_saveexec_b32 s40, s26
	s_cbranch_execnz .LBB120_296
.LBB120_226:                            ;   in Loop: Header=BB120_108 Depth=2
	s_or_b32 exec_lo, exec_lo, s40
	s_and_saveexec_b32 s40, s25
	s_cbranch_execnz .LBB120_297
.LBB120_227:                            ;   in Loop: Header=BB120_108 Depth=2
	s_or_b32 exec_lo, exec_lo, s40
	s_and_saveexec_b32 s40, s24
	s_cbranch_execnz .LBB120_298
.LBB120_228:                            ;   in Loop: Header=BB120_108 Depth=2
	s_or_b32 exec_lo, exec_lo, s40
	s_and_saveexec_b32 s40, s23
	s_cbranch_execnz .LBB120_299
.LBB120_229:                            ;   in Loop: Header=BB120_108 Depth=2
	s_or_b32 exec_lo, exec_lo, s40
	s_and_saveexec_b32 s40, vcc_lo
	s_cbranch_execz .LBB120_231
.LBB120_230:                            ;   in Loop: Header=BB120_108 Depth=2
	ds_read_u8 v39, v0 offset:4608
	s_waitcnt lgkmcnt(0)
	v_lshrrev_b32_e32 v39, s61, v39
	v_and_b32_e32 v115, s62, v39
.LBB120_231:                            ;   in Loop: Header=BB120_108 Depth=2
	s_or_b32 exec_lo, exec_lo, s40
	v_lshlrev_b32_e32 v39, 3, v155
	v_lshlrev_b32_e32 v40, 3, v151
	s_waitcnt vmcnt(0)
	s_waitcnt_vscnt null, 0x0
	s_barrier
	buffer_gl0_inv
	ds_write_b64 v39, v[37:38] offset:512
	ds_write_b64 v40, v[35:36] offset:512
	v_lshlrev_b32_e32 v39, 3, v150
	v_lshlrev_b32_e32 v40, 3, v149
	v_lshlrev_b32_e32 v136, 3, v148
	v_lshlrev_b32_e32 v137, 3, v147
	v_lshlrev_b32_e32 v141, 3, v146
	ds_write_b64 v39, v[33:34] offset:512
	ds_write_b64 v40, v[31:32] offset:512
	ds_write_b64 v136, v[29:30] offset:512
	ds_write_b64 v137, v[25:26] offset:512
	ds_write_b64 v141, v[21:22] offset:512
	v_lshlrev_b32_e32 v39, 3, v144
	v_lshlrev_b32_e32 v40, 3, v143
	v_lshlrev_b32_e32 v136, 3, v142
	v_lshlrev_b32_e32 v137, 3, v140
	v_lshlrev_b32_e32 v139, 3, v139
	ds_write_b64 v39, v[17:18] offset:512
	ds_write_b64 v40, v[27:28] offset:512
	ds_write_b64 v136, v[23:24] offset:512
	;; [unrolled: 10-line block ×3, first 2 shown]
	ds_write_b64 v41, v[7:8] offset:512
	ds_write_b64 v3, v[5:6] offset:512
	s_waitcnt lgkmcnt(0)
	s_barrier
	buffer_gl0_inv
	s_and_saveexec_b32 s40, s39
	s_cbranch_execnz .LBB120_300
; %bb.232:                              ;   in Loop: Header=BB120_108 Depth=2
	s_or_b32 exec_lo, exec_lo, s40
	s_and_saveexec_b32 s39, s38
	s_cbranch_execnz .LBB120_301
.LBB120_233:                            ;   in Loop: Header=BB120_108 Depth=2
	s_or_b32 exec_lo, exec_lo, s39
	s_and_saveexec_b32 s38, s37
	s_cbranch_execnz .LBB120_302
.LBB120_234:                            ;   in Loop: Header=BB120_108 Depth=2
	s_or_b32 exec_lo, exec_lo, s38
	s_and_saveexec_b32 s37, s36
	s_cbranch_execnz .LBB120_303
.LBB120_235:                            ;   in Loop: Header=BB120_108 Depth=2
	s_or_b32 exec_lo, exec_lo, s37
	s_and_saveexec_b32 s36, s35
	s_cbranch_execnz .LBB120_304
.LBB120_236:                            ;   in Loop: Header=BB120_108 Depth=2
	s_or_b32 exec_lo, exec_lo, s36
	s_and_saveexec_b32 s35, s34
	s_cbranch_execnz .LBB120_305
.LBB120_237:                            ;   in Loop: Header=BB120_108 Depth=2
	s_or_b32 exec_lo, exec_lo, s35
	s_and_saveexec_b32 s34, s33
	s_cbranch_execnz .LBB120_306
.LBB120_238:                            ;   in Loop: Header=BB120_108 Depth=2
	s_or_b32 exec_lo, exec_lo, s34
	s_and_saveexec_b32 s33, s31
	s_cbranch_execnz .LBB120_307
.LBB120_239:                            ;   in Loop: Header=BB120_108 Depth=2
	s_or_b32 exec_lo, exec_lo, s33
	s_and_saveexec_b32 s31, s30
	s_cbranch_execnz .LBB120_308
.LBB120_240:                            ;   in Loop: Header=BB120_108 Depth=2
	s_or_b32 exec_lo, exec_lo, s31
	s_and_saveexec_b32 s30, s29
	s_cbranch_execnz .LBB120_309
.LBB120_241:                            ;   in Loop: Header=BB120_108 Depth=2
	s_or_b32 exec_lo, exec_lo, s30
	s_and_saveexec_b32 s29, s28
	s_cbranch_execnz .LBB120_310
.LBB120_242:                            ;   in Loop: Header=BB120_108 Depth=2
	s_or_b32 exec_lo, exec_lo, s29
	s_and_saveexec_b32 s28, s27
	s_cbranch_execnz .LBB120_311
.LBB120_243:                            ;   in Loop: Header=BB120_108 Depth=2
	s_or_b32 exec_lo, exec_lo, s28
	s_and_saveexec_b32 s27, s26
	s_cbranch_execnz .LBB120_312
.LBB120_244:                            ;   in Loop: Header=BB120_108 Depth=2
	s_or_b32 exec_lo, exec_lo, s27
	s_and_saveexec_b32 s26, s25
	s_cbranch_execnz .LBB120_313
.LBB120_245:                            ;   in Loop: Header=BB120_108 Depth=2
	s_or_b32 exec_lo, exec_lo, s26
	s_and_saveexec_b32 s25, s24
	s_cbranch_execnz .LBB120_314
.LBB120_246:                            ;   in Loop: Header=BB120_108 Depth=2
	s_or_b32 exec_lo, exec_lo, s25
	s_and_saveexec_b32 s24, s23
	s_cbranch_execnz .LBB120_315
.LBB120_247:                            ;   in Loop: Header=BB120_108 Depth=2
	s_or_b32 exec_lo, exec_lo, s24
	s_and_saveexec_b32 s23, vcc_lo
	s_cbranch_execz .LBB120_249
.LBB120_248:                            ;   in Loop: Header=BB120_108 Depth=2
	v_lshlrev_b32_e32 v3, 2, v115
	v_add_nc_u32_e32 v39, v0, v75
	ds_read_b32 v3, v3
	ds_read_b64 v[39:40], v39 offset:33280
	s_waitcnt lgkmcnt(1)
	v_add_nc_u32_e32 v3, v3, v61
	v_lshlrev_b64 v[41:42], 3, v[3:4]
	v_add_co_u32 v41, vcc_lo, s52, v41
	v_add_co_ci_u32_e64 v42, null, s53, v42, vcc_lo
	s_waitcnt lgkmcnt(0)
	global_store_dwordx2 v[41:42], v[39:40], off
.LBB120_249:                            ;   in Loop: Header=BB120_108 Depth=2
	s_or_b32 exec_lo, exec_lo, s23
	s_waitcnt_vscnt null, 0x0
	s_barrier
	buffer_gl0_inv
	s_and_saveexec_b32 s23, s8
	s_cbranch_execz .LBB120_107
; %bb.250:                              ;   in Loop: Header=BB120_108 Depth=2
	ds_read_b32 v3, v43
	s_waitcnt lgkmcnt(0)
	v_add3_u32 v3, v133, v134, v3
	ds_write_b32 v43, v3
	s_branch .LBB120_107
.LBB120_251:                            ;   in Loop: Header=BB120_108 Depth=2
	ds_read_u8 v39, v0 offset:512
	s_waitcnt lgkmcnt(0)
	v_lshrrev_b32_sdwa v40, s61, v39 dst_sel:DWORD dst_unused:UNUSED_PAD src0_sel:DWORD src1_sel:BYTE_0
	v_xor_b32_e32 v39, -1, v39
	v_and_b32_e32 v40, s62, v40
	v_lshlrev_b32_e32 v40, 2, v40
	ds_read_b32 v40, v40
	s_waitcnt lgkmcnt(0)
	v_add_nc_u32_e32 v40, v40, v0
	global_store_byte v40, v39, s[46:47]
	s_or_b32 exec_lo, exec_lo, s23
	v_cmp_lt_u32_e64 s38, v44, v136
	s_and_saveexec_b32 s23, s38
	s_cbranch_execz .LBB120_180
.LBB120_252:                            ;   in Loop: Header=BB120_108 Depth=2
	ds_read_u8 v39, v0 offset:768
	s_waitcnt lgkmcnt(0)
	v_lshrrev_b32_sdwa v40, s61, v39 dst_sel:DWORD dst_unused:UNUSED_PAD src0_sel:DWORD src1_sel:BYTE_0
	v_xor_b32_e32 v39, -1, v39
	v_and_b32_e32 v40, s62, v40
	v_lshlrev_b32_e32 v40, 2, v40
	ds_read_b32 v40, v40
	s_waitcnt lgkmcnt(0)
	v_add_nc_u32_e32 v40, v40, v44
	global_store_byte v40, v39, s[46:47]
	s_or_b32 exec_lo, exec_lo, s23
	v_cmp_lt_u32_e64 s37, v47, v136
	s_and_saveexec_b32 s23, s37
	s_cbranch_execz .LBB120_181
.LBB120_253:                            ;   in Loop: Header=BB120_108 Depth=2
	ds_read_u8 v39, v0 offset:1024
	s_waitcnt lgkmcnt(0)
	v_lshrrev_b32_sdwa v40, s61, v39 dst_sel:DWORD dst_unused:UNUSED_PAD src0_sel:DWORD src1_sel:BYTE_0
	v_xor_b32_e32 v39, -1, v39
	v_and_b32_e32 v40, s62, v40
	v_lshlrev_b32_e32 v40, 2, v40
	ds_read_b32 v40, v40
	s_waitcnt lgkmcnt(0)
	v_add_nc_u32_e32 v40, v40, v47
	global_store_byte v40, v39, s[46:47]
	s_or_b32 exec_lo, exec_lo, s23
	v_cmp_lt_u32_e64 s36, v48, v136
	s_and_saveexec_b32 s23, s36
	s_cbranch_execz .LBB120_182
.LBB120_254:                            ;   in Loop: Header=BB120_108 Depth=2
	ds_read_u8 v39, v0 offset:1280
	s_waitcnt lgkmcnt(0)
	v_lshrrev_b32_sdwa v40, s61, v39 dst_sel:DWORD dst_unused:UNUSED_PAD src0_sel:DWORD src1_sel:BYTE_0
	v_xor_b32_e32 v39, -1, v39
	v_and_b32_e32 v40, s62, v40
	v_lshlrev_b32_e32 v40, 2, v40
	ds_read_b32 v40, v40
	s_waitcnt lgkmcnt(0)
	v_add_nc_u32_e32 v40, v40, v48
	global_store_byte v40, v39, s[46:47]
	s_or_b32 exec_lo, exec_lo, s23
	v_cmp_lt_u32_e64 s35, v49, v136
	s_and_saveexec_b32 s23, s35
	s_cbranch_execz .LBB120_183
.LBB120_255:                            ;   in Loop: Header=BB120_108 Depth=2
	ds_read_u8 v39, v0 offset:1536
	s_waitcnt lgkmcnt(0)
	v_lshrrev_b32_sdwa v40, s61, v39 dst_sel:DWORD dst_unused:UNUSED_PAD src0_sel:DWORD src1_sel:BYTE_0
	v_xor_b32_e32 v39, -1, v39
	v_and_b32_e32 v40, s62, v40
	v_lshlrev_b32_e32 v40, 2, v40
	ds_read_b32 v40, v40
	s_waitcnt lgkmcnt(0)
	v_add_nc_u32_e32 v40, v40, v49
	global_store_byte v40, v39, s[46:47]
	s_or_b32 exec_lo, exec_lo, s23
	v_cmp_lt_u32_e64 s34, v50, v136
	s_and_saveexec_b32 s23, s34
	s_cbranch_execz .LBB120_184
.LBB120_256:                            ;   in Loop: Header=BB120_108 Depth=2
	ds_read_u8 v39, v0 offset:1792
	s_waitcnt lgkmcnt(0)
	v_lshrrev_b32_sdwa v40, s61, v39 dst_sel:DWORD dst_unused:UNUSED_PAD src0_sel:DWORD src1_sel:BYTE_0
	v_xor_b32_e32 v39, -1, v39
	v_and_b32_e32 v40, s62, v40
	v_lshlrev_b32_e32 v40, 2, v40
	ds_read_b32 v40, v40
	s_waitcnt lgkmcnt(0)
	v_add_nc_u32_e32 v40, v40, v50
	global_store_byte v40, v39, s[46:47]
	s_or_b32 exec_lo, exec_lo, s23
	v_cmp_lt_u32_e64 s33, v51, v136
	s_and_saveexec_b32 s23, s33
	s_cbranch_execz .LBB120_185
.LBB120_257:                            ;   in Loop: Header=BB120_108 Depth=2
	ds_read_u8 v39, v0 offset:2048
	s_waitcnt lgkmcnt(0)
	v_lshrrev_b32_sdwa v40, s61, v39 dst_sel:DWORD dst_unused:UNUSED_PAD src0_sel:DWORD src1_sel:BYTE_0
	v_xor_b32_e32 v39, -1, v39
	v_and_b32_e32 v40, s62, v40
	v_lshlrev_b32_e32 v40, 2, v40
	ds_read_b32 v40, v40
	s_waitcnt lgkmcnt(0)
	v_add_nc_u32_e32 v40, v40, v51
	global_store_byte v40, v39, s[46:47]
	s_or_b32 exec_lo, exec_lo, s23
	v_cmp_lt_u32_e64 s31, v52, v136
	s_and_saveexec_b32 s23, s31
	s_cbranch_execz .LBB120_186
.LBB120_258:                            ;   in Loop: Header=BB120_108 Depth=2
	ds_read_u8 v39, v0 offset:2304
	s_waitcnt lgkmcnt(0)
	v_lshrrev_b32_sdwa v40, s61, v39 dst_sel:DWORD dst_unused:UNUSED_PAD src0_sel:DWORD src1_sel:BYTE_0
	v_xor_b32_e32 v39, -1, v39
	v_and_b32_e32 v40, s62, v40
	v_lshlrev_b32_e32 v40, 2, v40
	ds_read_b32 v40, v40
	s_waitcnt lgkmcnt(0)
	v_add_nc_u32_e32 v40, v40, v52
	global_store_byte v40, v39, s[46:47]
	s_or_b32 exec_lo, exec_lo, s23
	v_cmp_lt_u32_e64 s30, v53, v136
	s_and_saveexec_b32 s23, s30
	s_cbranch_execz .LBB120_187
.LBB120_259:                            ;   in Loop: Header=BB120_108 Depth=2
	ds_read_u8 v39, v0 offset:2560
	s_waitcnt lgkmcnt(0)
	v_lshrrev_b32_sdwa v40, s61, v39 dst_sel:DWORD dst_unused:UNUSED_PAD src0_sel:DWORD src1_sel:BYTE_0
	v_xor_b32_e32 v39, -1, v39
	v_and_b32_e32 v40, s62, v40
	v_lshlrev_b32_e32 v40, 2, v40
	ds_read_b32 v40, v40
	s_waitcnt lgkmcnt(0)
	v_add_nc_u32_e32 v40, v40, v53
	global_store_byte v40, v39, s[46:47]
	s_or_b32 exec_lo, exec_lo, s23
	v_cmp_lt_u32_e64 s29, v54, v136
	s_and_saveexec_b32 s23, s29
	s_cbranch_execz .LBB120_188
.LBB120_260:                            ;   in Loop: Header=BB120_108 Depth=2
	ds_read_u8 v39, v0 offset:2816
	s_waitcnt lgkmcnt(0)
	v_lshrrev_b32_sdwa v40, s61, v39 dst_sel:DWORD dst_unused:UNUSED_PAD src0_sel:DWORD src1_sel:BYTE_0
	v_xor_b32_e32 v39, -1, v39
	v_and_b32_e32 v40, s62, v40
	v_lshlrev_b32_e32 v40, 2, v40
	ds_read_b32 v40, v40
	s_waitcnt lgkmcnt(0)
	v_add_nc_u32_e32 v40, v40, v54
	global_store_byte v40, v39, s[46:47]
	s_or_b32 exec_lo, exec_lo, s23
	v_cmp_lt_u32_e64 s28, v55, v136
	s_and_saveexec_b32 s23, s28
	s_cbranch_execz .LBB120_189
.LBB120_261:                            ;   in Loop: Header=BB120_108 Depth=2
	ds_read_u8 v39, v0 offset:3072
	s_waitcnt lgkmcnt(0)
	v_lshrrev_b32_sdwa v40, s61, v39 dst_sel:DWORD dst_unused:UNUSED_PAD src0_sel:DWORD src1_sel:BYTE_0
	v_xor_b32_e32 v39, -1, v39
	v_and_b32_e32 v40, s62, v40
	v_lshlrev_b32_e32 v40, 2, v40
	ds_read_b32 v40, v40
	s_waitcnt lgkmcnt(0)
	v_add_nc_u32_e32 v40, v40, v55
	global_store_byte v40, v39, s[46:47]
	s_or_b32 exec_lo, exec_lo, s23
	v_cmp_lt_u32_e64 s27, v56, v136
	s_and_saveexec_b32 s23, s27
	s_cbranch_execz .LBB120_190
.LBB120_262:                            ;   in Loop: Header=BB120_108 Depth=2
	ds_read_u8 v39, v0 offset:3328
	s_waitcnt lgkmcnt(0)
	v_lshrrev_b32_sdwa v40, s61, v39 dst_sel:DWORD dst_unused:UNUSED_PAD src0_sel:DWORD src1_sel:BYTE_0
	v_xor_b32_e32 v39, -1, v39
	v_and_b32_e32 v40, s62, v40
	v_lshlrev_b32_e32 v40, 2, v40
	ds_read_b32 v40, v40
	s_waitcnt lgkmcnt(0)
	v_add_nc_u32_e32 v40, v40, v56
	global_store_byte v40, v39, s[46:47]
	s_or_b32 exec_lo, exec_lo, s23
	v_cmp_lt_u32_e64 s26, v57, v136
	s_and_saveexec_b32 s23, s26
	s_cbranch_execz .LBB120_191
.LBB120_263:                            ;   in Loop: Header=BB120_108 Depth=2
	ds_read_u8 v39, v0 offset:3584
	s_waitcnt lgkmcnt(0)
	v_lshrrev_b32_sdwa v40, s61, v39 dst_sel:DWORD dst_unused:UNUSED_PAD src0_sel:DWORD src1_sel:BYTE_0
	v_xor_b32_e32 v39, -1, v39
	v_and_b32_e32 v40, s62, v40
	v_lshlrev_b32_e32 v40, 2, v40
	ds_read_b32 v40, v40
	s_waitcnt lgkmcnt(0)
	v_add_nc_u32_e32 v40, v40, v57
	global_store_byte v40, v39, s[46:47]
	s_or_b32 exec_lo, exec_lo, s23
	v_cmp_lt_u32_e64 s25, v58, v136
	s_and_saveexec_b32 s23, s25
	s_cbranch_execz .LBB120_192
.LBB120_264:                            ;   in Loop: Header=BB120_108 Depth=2
	ds_read_u8 v39, v0 offset:3840
	s_waitcnt lgkmcnt(0)
	v_lshrrev_b32_sdwa v40, s61, v39 dst_sel:DWORD dst_unused:UNUSED_PAD src0_sel:DWORD src1_sel:BYTE_0
	v_xor_b32_e32 v39, -1, v39
	v_and_b32_e32 v40, s62, v40
	v_lshlrev_b32_e32 v40, 2, v40
	ds_read_b32 v40, v40
	s_waitcnt lgkmcnt(0)
	v_add_nc_u32_e32 v40, v40, v58
	global_store_byte v40, v39, s[46:47]
	s_or_b32 exec_lo, exec_lo, s23
	v_cmp_lt_u32_e64 s24, v59, v136
	s_and_saveexec_b32 s23, s24
	s_cbranch_execz .LBB120_193
.LBB120_265:                            ;   in Loop: Header=BB120_108 Depth=2
	ds_read_u8 v39, v0 offset:4096
	s_waitcnt lgkmcnt(0)
	v_lshrrev_b32_sdwa v40, s61, v39 dst_sel:DWORD dst_unused:UNUSED_PAD src0_sel:DWORD src1_sel:BYTE_0
	v_xor_b32_e32 v39, -1, v39
	v_and_b32_e32 v40, s62, v40
	v_lshlrev_b32_e32 v40, 2, v40
	ds_read_b32 v40, v40
	s_waitcnt lgkmcnt(0)
	v_add_nc_u32_e32 v40, v40, v59
	global_store_byte v40, v39, s[46:47]
	s_or_b32 exec_lo, exec_lo, s23
	v_cmp_lt_u32_e64 s23, v60, v136
	s_and_saveexec_b32 s40, s23
	s_cbranch_execz .LBB120_194
.LBB120_266:                            ;   in Loop: Header=BB120_108 Depth=2
	ds_read_u8 v39, v0 offset:4352
	s_waitcnt lgkmcnt(0)
	v_lshrrev_b32_sdwa v40, s61, v39 dst_sel:DWORD dst_unused:UNUSED_PAD src0_sel:DWORD src1_sel:BYTE_0
	v_xor_b32_e32 v39, -1, v39
	v_and_b32_e32 v40, s62, v40
	v_lshlrev_b32_e32 v40, 2, v40
	ds_read_b32 v40, v40
	s_waitcnt lgkmcnt(0)
	v_add_nc_u32_e32 v40, v40, v60
	global_store_byte v40, v39, s[46:47]
	s_or_b32 exec_lo, exec_lo, s40
	v_cmp_lt_u32_e32 vcc_lo, v61, v136
	s_and_saveexec_b32 s40, vcc_lo
	s_cbranch_execnz .LBB120_195
	s_branch .LBB120_196
.LBB120_267:                            ;   in Loop: Header=BB120_108 Depth=2
	global_load_dwordx2 v[37:38], v[39:40], off
	s_or_b32 exec_lo, exec_lo, s40
	s_mov_b32 s50, exec_lo
	v_cmpx_lt_u32_e64 v98, v136
	s_cbranch_execz .LBB120_198
.LBB120_268:                            ;   in Loop: Header=BB120_108 Depth=2
	global_load_dwordx2 v[35:36], v[39:40], off offset:256
	s_or_b32 exec_lo, exec_lo, s50
	s_mov_b32 s50, exec_lo
	v_cmpx_lt_u32_e64 v99, v136
	s_cbranch_execz .LBB120_199
.LBB120_269:                            ;   in Loop: Header=BB120_108 Depth=2
	global_load_dwordx2 v[33:34], v[39:40], off offset:512
	s_or_b32 exec_lo, exec_lo, s50
	s_mov_b32 s50, exec_lo
	v_cmpx_lt_u32_e64 v100, v136
	s_cbranch_execz .LBB120_200
.LBB120_270:                            ;   in Loop: Header=BB120_108 Depth=2
	global_load_dwordx2 v[31:32], v[39:40], off offset:768
	s_or_b32 exec_lo, exec_lo, s50
	s_mov_b32 s50, exec_lo
	v_cmpx_lt_u32_e64 v101, v136
	s_cbranch_execz .LBB120_201
.LBB120_271:                            ;   in Loop: Header=BB120_108 Depth=2
	global_load_dwordx2 v[29:30], v[39:40], off offset:1024
	s_or_b32 exec_lo, exec_lo, s50
	s_mov_b32 s50, exec_lo
	v_cmpx_lt_u32_e64 v102, v136
	s_cbranch_execz .LBB120_202
.LBB120_272:                            ;   in Loop: Header=BB120_108 Depth=2
	global_load_dwordx2 v[25:26], v[39:40], off offset:1280
	s_or_b32 exec_lo, exec_lo, s50
	s_mov_b32 s50, exec_lo
	v_cmpx_lt_u32_e64 v103, v136
	s_cbranch_execz .LBB120_203
.LBB120_273:                            ;   in Loop: Header=BB120_108 Depth=2
	global_load_dwordx2 v[21:22], v[39:40], off offset:1536
	s_or_b32 exec_lo, exec_lo, s50
	s_mov_b32 s50, exec_lo
	v_cmpx_lt_u32_e64 v104, v136
	s_cbranch_execz .LBB120_204
.LBB120_274:                            ;   in Loop: Header=BB120_108 Depth=2
	global_load_dwordx2 v[17:18], v[39:40], off offset:1792
	s_or_b32 exec_lo, exec_lo, s50
	s_mov_b32 s50, exec_lo
	v_cmpx_lt_u32_e64 v105, v136
	s_cbranch_execz .LBB120_205
.LBB120_275:                            ;   in Loop: Header=BB120_108 Depth=2
	v_add_co_u32 v27, s40, 0x800, v39
	v_add_co_ci_u32_e64 v28, null, 0, v40, s40
	global_load_dwordx2 v[27:28], v[27:28], off
	s_or_b32 exec_lo, exec_lo, s50
	s_mov_b32 s50, exec_lo
	v_cmpx_lt_u32_e64 v106, v136
	s_cbranch_execz .LBB120_206
.LBB120_276:                            ;   in Loop: Header=BB120_108 Depth=2
	v_add_co_u32 v23, s40, 0x800, v39
	v_add_co_ci_u32_e64 v24, null, 0, v40, s40
	global_load_dwordx2 v[23:24], v[23:24], off offset:256
	s_or_b32 exec_lo, exec_lo, s50
	s_mov_b32 s50, exec_lo
	v_cmpx_lt_u32_e64 v107, v136
	s_cbranch_execz .LBB120_207
.LBB120_277:                            ;   in Loop: Header=BB120_108 Depth=2
	v_add_co_u32 v19, s40, 0x800, v39
	v_add_co_ci_u32_e64 v20, null, 0, v40, s40
	global_load_dwordx2 v[19:20], v[19:20], off offset:512
	s_or_b32 exec_lo, exec_lo, s50
	s_mov_b32 s50, exec_lo
	v_cmpx_lt_u32_e64 v108, v136
	s_cbranch_execz .LBB120_208
.LBB120_278:                            ;   in Loop: Header=BB120_108 Depth=2
	v_add_co_u32 v15, s40, 0x800, v39
	v_add_co_ci_u32_e64 v16, null, 0, v40, s40
	global_load_dwordx2 v[15:16], v[15:16], off offset:768
	s_or_b32 exec_lo, exec_lo, s50
	s_mov_b32 s50, exec_lo
	v_cmpx_lt_u32_e64 v109, v136
	s_cbranch_execz .LBB120_209
.LBB120_279:                            ;   in Loop: Header=BB120_108 Depth=2
	v_add_co_u32 v13, s40, 0x800, v39
	v_add_co_ci_u32_e64 v14, null, 0, v40, s40
	global_load_dwordx2 v[13:14], v[13:14], off offset:1024
	s_or_b32 exec_lo, exec_lo, s50
	s_mov_b32 s50, exec_lo
	v_cmpx_lt_u32_e64 v110, v136
	s_cbranch_execz .LBB120_210
.LBB120_280:                            ;   in Loop: Header=BB120_108 Depth=2
	v_add_co_u32 v11, s40, 0x800, v39
	v_add_co_ci_u32_e64 v12, null, 0, v40, s40
	global_load_dwordx2 v[11:12], v[11:12], off offset:1280
	s_or_b32 exec_lo, exec_lo, s50
	s_mov_b32 s50, exec_lo
	v_cmpx_lt_u32_e64 v111, v136
	s_cbranch_execz .LBB120_211
.LBB120_281:                            ;   in Loop: Header=BB120_108 Depth=2
	v_add_co_u32 v9, s40, 0x800, v39
	v_add_co_ci_u32_e64 v10, null, 0, v40, s40
	global_load_dwordx2 v[9:10], v[9:10], off offset:1536
	s_or_b32 exec_lo, exec_lo, s50
	s_mov_b32 s50, exec_lo
	v_cmpx_lt_u32_e64 v112, v136
	s_cbranch_execz .LBB120_212
.LBB120_282:                            ;   in Loop: Header=BB120_108 Depth=2
	v_add_co_u32 v7, s40, 0x800, v39
	v_add_co_ci_u32_e64 v8, null, 0, v40, s40
	global_load_dwordx2 v[7:8], v[7:8], off offset:1792
	s_or_b32 exec_lo, exec_lo, s50
	s_mov_b32 s50, exec_lo
	v_cmpx_lt_u32_e64 v113, v136
	s_cbranch_execz .LBB120_213
.LBB120_283:                            ;   in Loop: Header=BB120_108 Depth=2
	v_add_co_u32 v5, s40, 0x1000, v39
	v_add_co_ci_u32_e64 v6, null, 0, v40, s40
	global_load_dwordx2 v[5:6], v[5:6], off
	s_or_b32 exec_lo, exec_lo, s50
	s_and_saveexec_b32 s40, s39
	s_cbranch_execz .LBB120_214
.LBB120_284:                            ;   in Loop: Header=BB120_108 Depth=2
	ds_read_u8 v39, v0 offset:512
	s_waitcnt lgkmcnt(0)
	v_lshrrev_b32_e32 v39, s61, v39
	v_and_b32_e32 v132, s62, v39
	s_or_b32 exec_lo, exec_lo, s40
	s_and_saveexec_b32 s40, s38
	s_cbranch_execz .LBB120_215
.LBB120_285:                            ;   in Loop: Header=BB120_108 Depth=2
	ds_read_u8 v39, v0 offset:768
	s_waitcnt lgkmcnt(0)
	v_lshrrev_b32_e32 v39, s61, v39
	v_and_b32_e32 v131, s62, v39
	s_or_b32 exec_lo, exec_lo, s40
	s_and_saveexec_b32 s40, s37
	s_cbranch_execz .LBB120_216
.LBB120_286:                            ;   in Loop: Header=BB120_108 Depth=2
	ds_read_u8 v39, v0 offset:1024
	s_waitcnt lgkmcnt(0)
	v_lshrrev_b32_e32 v39, s61, v39
	v_and_b32_e32 v130, s62, v39
	s_or_b32 exec_lo, exec_lo, s40
	s_and_saveexec_b32 s40, s36
	s_cbranch_execz .LBB120_217
.LBB120_287:                            ;   in Loop: Header=BB120_108 Depth=2
	ds_read_u8 v39, v0 offset:1280
	s_waitcnt lgkmcnt(0)
	v_lshrrev_b32_e32 v39, s61, v39
	v_and_b32_e32 v129, s62, v39
	s_or_b32 exec_lo, exec_lo, s40
	s_and_saveexec_b32 s40, s35
	s_cbranch_execz .LBB120_218
.LBB120_288:                            ;   in Loop: Header=BB120_108 Depth=2
	ds_read_u8 v39, v0 offset:1536
	s_waitcnt lgkmcnt(0)
	v_lshrrev_b32_e32 v39, s61, v39
	v_and_b32_e32 v128, s62, v39
	s_or_b32 exec_lo, exec_lo, s40
	s_and_saveexec_b32 s40, s34
	s_cbranch_execz .LBB120_219
.LBB120_289:                            ;   in Loop: Header=BB120_108 Depth=2
	ds_read_u8 v39, v0 offset:1792
	s_waitcnt lgkmcnt(0)
	v_lshrrev_b32_e32 v39, s61, v39
	v_and_b32_e32 v126, s62, v39
	s_or_b32 exec_lo, exec_lo, s40
	s_and_saveexec_b32 s40, s33
	s_cbranch_execz .LBB120_220
.LBB120_290:                            ;   in Loop: Header=BB120_108 Depth=2
	ds_read_u8 v39, v0 offset:2048
	s_waitcnt lgkmcnt(0)
	v_lshrrev_b32_e32 v39, s61, v39
	v_and_b32_e32 v125, s62, v39
	s_or_b32 exec_lo, exec_lo, s40
	s_and_saveexec_b32 s40, s31
	s_cbranch_execz .LBB120_221
.LBB120_291:                            ;   in Loop: Header=BB120_108 Depth=2
	ds_read_u8 v39, v0 offset:2304
	s_waitcnt lgkmcnt(0)
	v_lshrrev_b32_e32 v39, s61, v39
	v_and_b32_e32 v124, s62, v39
	s_or_b32 exec_lo, exec_lo, s40
	s_and_saveexec_b32 s40, s30
	s_cbranch_execz .LBB120_222
.LBB120_292:                            ;   in Loop: Header=BB120_108 Depth=2
	ds_read_u8 v39, v0 offset:2560
	s_waitcnt lgkmcnt(0)
	v_lshrrev_b32_e32 v39, s61, v39
	v_and_b32_e32 v123, s62, v39
	s_or_b32 exec_lo, exec_lo, s40
	s_and_saveexec_b32 s40, s29
	s_cbranch_execz .LBB120_223
.LBB120_293:                            ;   in Loop: Header=BB120_108 Depth=2
	ds_read_u8 v39, v0 offset:2816
	s_waitcnt lgkmcnt(0)
	v_lshrrev_b32_e32 v39, s61, v39
	v_and_b32_e32 v122, s62, v39
	s_or_b32 exec_lo, exec_lo, s40
	s_and_saveexec_b32 s40, s28
	s_cbranch_execz .LBB120_224
.LBB120_294:                            ;   in Loop: Header=BB120_108 Depth=2
	ds_read_u8 v39, v0 offset:3072
	s_waitcnt lgkmcnt(0)
	v_lshrrev_b32_e32 v39, s61, v39
	v_and_b32_e32 v121, s62, v39
	s_or_b32 exec_lo, exec_lo, s40
	s_and_saveexec_b32 s40, s27
	s_cbranch_execz .LBB120_225
.LBB120_295:                            ;   in Loop: Header=BB120_108 Depth=2
	ds_read_u8 v39, v0 offset:3328
	s_waitcnt lgkmcnt(0)
	v_lshrrev_b32_e32 v39, s61, v39
	v_and_b32_e32 v120, s62, v39
	s_or_b32 exec_lo, exec_lo, s40
	s_and_saveexec_b32 s40, s26
	s_cbranch_execz .LBB120_226
.LBB120_296:                            ;   in Loop: Header=BB120_108 Depth=2
	ds_read_u8 v39, v0 offset:3584
	s_waitcnt lgkmcnt(0)
	v_lshrrev_b32_e32 v39, s61, v39
	v_and_b32_e32 v119, s62, v39
	s_or_b32 exec_lo, exec_lo, s40
	s_and_saveexec_b32 s40, s25
	s_cbranch_execz .LBB120_227
.LBB120_297:                            ;   in Loop: Header=BB120_108 Depth=2
	ds_read_u8 v39, v0 offset:3840
	s_waitcnt lgkmcnt(0)
	v_lshrrev_b32_e32 v39, s61, v39
	v_and_b32_e32 v118, s62, v39
	s_or_b32 exec_lo, exec_lo, s40
	s_and_saveexec_b32 s40, s24
	s_cbranch_execz .LBB120_228
.LBB120_298:                            ;   in Loop: Header=BB120_108 Depth=2
	ds_read_u8 v39, v0 offset:4096
	s_waitcnt lgkmcnt(0)
	v_lshrrev_b32_e32 v39, s61, v39
	v_and_b32_e32 v117, s62, v39
	s_or_b32 exec_lo, exec_lo, s40
	s_and_saveexec_b32 s40, s23
	s_cbranch_execz .LBB120_229
.LBB120_299:                            ;   in Loop: Header=BB120_108 Depth=2
	ds_read_u8 v39, v0 offset:4352
	s_waitcnt lgkmcnt(0)
	v_lshrrev_b32_e32 v39, s61, v39
	v_and_b32_e32 v116, s62, v39
	s_or_b32 exec_lo, exec_lo, s40
	s_and_saveexec_b32 s40, vcc_lo
	s_cbranch_execnz .LBB120_230
	s_branch .LBB120_231
.LBB120_300:                            ;   in Loop: Header=BB120_108 Depth=2
	v_lshlrev_b32_e32 v3, 2, v132
	v_add_nc_u32_e32 v39, v0, v75
	ds_read_b32 v3, v3
	ds_read_b64 v[39:40], v39 offset:512
	s_waitcnt lgkmcnt(1)
	v_add_nc_u32_e32 v3, v3, v0
	v_lshlrev_b64 v[41:42], 3, v[3:4]
	v_add_co_u32 v41, s39, s52, v41
	v_add_co_ci_u32_e64 v42, null, s53, v42, s39
	s_waitcnt lgkmcnt(0)
	global_store_dwordx2 v[41:42], v[39:40], off
	s_or_b32 exec_lo, exec_lo, s40
	s_and_saveexec_b32 s39, s38
	s_cbranch_execz .LBB120_233
.LBB120_301:                            ;   in Loop: Header=BB120_108 Depth=2
	v_lshlrev_b32_e32 v3, 2, v131
	v_add_nc_u32_e32 v39, v0, v75
	ds_read_b32 v3, v3
	ds_read_b64 v[39:40], v39 offset:2560
	s_waitcnt lgkmcnt(1)
	v_add_nc_u32_e32 v3, v3, v44
	v_lshlrev_b64 v[41:42], 3, v[3:4]
	v_add_co_u32 v41, s38, s52, v41
	v_add_co_ci_u32_e64 v42, null, s53, v42, s38
	s_waitcnt lgkmcnt(0)
	global_store_dwordx2 v[41:42], v[39:40], off
	s_or_b32 exec_lo, exec_lo, s39
	s_and_saveexec_b32 s38, s37
	s_cbranch_execz .LBB120_234
.LBB120_302:                            ;   in Loop: Header=BB120_108 Depth=2
	v_lshlrev_b32_e32 v3, 2, v130
	v_add_nc_u32_e32 v39, v0, v75
	ds_read_b32 v3, v3
	ds_read_b64 v[39:40], v39 offset:4608
	s_waitcnt lgkmcnt(1)
	v_add_nc_u32_e32 v3, v3, v47
	v_lshlrev_b64 v[41:42], 3, v[3:4]
	v_add_co_u32 v41, s37, s52, v41
	v_add_co_ci_u32_e64 v42, null, s53, v42, s37
	s_waitcnt lgkmcnt(0)
	global_store_dwordx2 v[41:42], v[39:40], off
	s_or_b32 exec_lo, exec_lo, s38
	s_and_saveexec_b32 s37, s36
	s_cbranch_execz .LBB120_235
.LBB120_303:                            ;   in Loop: Header=BB120_108 Depth=2
	v_lshlrev_b32_e32 v3, 2, v129
	v_add_nc_u32_e32 v39, v0, v75
	ds_read_b32 v3, v3
	ds_read_b64 v[39:40], v39 offset:6656
	s_waitcnt lgkmcnt(1)
	v_add_nc_u32_e32 v3, v3, v48
	v_lshlrev_b64 v[41:42], 3, v[3:4]
	v_add_co_u32 v41, s36, s52, v41
	v_add_co_ci_u32_e64 v42, null, s53, v42, s36
	s_waitcnt lgkmcnt(0)
	global_store_dwordx2 v[41:42], v[39:40], off
	s_or_b32 exec_lo, exec_lo, s37
	s_and_saveexec_b32 s36, s35
	s_cbranch_execz .LBB120_236
.LBB120_304:                            ;   in Loop: Header=BB120_108 Depth=2
	v_lshlrev_b32_e32 v3, 2, v128
	v_add_nc_u32_e32 v39, v0, v75
	ds_read_b32 v3, v3
	ds_read_b64 v[39:40], v39 offset:8704
	s_waitcnt lgkmcnt(1)
	v_add_nc_u32_e32 v3, v3, v49
	v_lshlrev_b64 v[41:42], 3, v[3:4]
	v_add_co_u32 v41, s35, s52, v41
	v_add_co_ci_u32_e64 v42, null, s53, v42, s35
	s_waitcnt lgkmcnt(0)
	global_store_dwordx2 v[41:42], v[39:40], off
	s_or_b32 exec_lo, exec_lo, s36
	s_and_saveexec_b32 s35, s34
	s_cbranch_execz .LBB120_237
.LBB120_305:                            ;   in Loop: Header=BB120_108 Depth=2
	v_lshlrev_b32_e32 v3, 2, v126
	v_add_nc_u32_e32 v39, v0, v75
	ds_read_b32 v3, v3
	ds_read_b64 v[39:40], v39 offset:10752
	s_waitcnt lgkmcnt(1)
	v_add_nc_u32_e32 v3, v3, v50
	v_lshlrev_b64 v[41:42], 3, v[3:4]
	v_add_co_u32 v41, s34, s52, v41
	v_add_co_ci_u32_e64 v42, null, s53, v42, s34
	s_waitcnt lgkmcnt(0)
	global_store_dwordx2 v[41:42], v[39:40], off
	s_or_b32 exec_lo, exec_lo, s35
	s_and_saveexec_b32 s34, s33
	s_cbranch_execz .LBB120_238
.LBB120_306:                            ;   in Loop: Header=BB120_108 Depth=2
	v_lshlrev_b32_e32 v3, 2, v125
	v_add_nc_u32_e32 v39, v0, v75
	ds_read_b32 v3, v3
	ds_read_b64 v[39:40], v39 offset:12800
	s_waitcnt lgkmcnt(1)
	v_add_nc_u32_e32 v3, v3, v51
	v_lshlrev_b64 v[41:42], 3, v[3:4]
	v_add_co_u32 v41, s33, s52, v41
	v_add_co_ci_u32_e64 v42, null, s53, v42, s33
	s_waitcnt lgkmcnt(0)
	global_store_dwordx2 v[41:42], v[39:40], off
	s_or_b32 exec_lo, exec_lo, s34
	s_and_saveexec_b32 s33, s31
	s_cbranch_execz .LBB120_239
.LBB120_307:                            ;   in Loop: Header=BB120_108 Depth=2
	v_lshlrev_b32_e32 v3, 2, v124
	v_add_nc_u32_e32 v39, v0, v75
	ds_read_b32 v3, v3
	ds_read_b64 v[39:40], v39 offset:14848
	s_waitcnt lgkmcnt(1)
	v_add_nc_u32_e32 v3, v3, v52
	v_lshlrev_b64 v[41:42], 3, v[3:4]
	v_add_co_u32 v41, s31, s52, v41
	v_add_co_ci_u32_e64 v42, null, s53, v42, s31
	s_waitcnt lgkmcnt(0)
	global_store_dwordx2 v[41:42], v[39:40], off
	s_or_b32 exec_lo, exec_lo, s33
	s_and_saveexec_b32 s31, s30
	s_cbranch_execz .LBB120_240
.LBB120_308:                            ;   in Loop: Header=BB120_108 Depth=2
	v_lshlrev_b32_e32 v3, 2, v123
	v_add_nc_u32_e32 v39, v0, v75
	ds_read_b32 v3, v3
	ds_read_b64 v[39:40], v39 offset:16896
	s_waitcnt lgkmcnt(1)
	v_add_nc_u32_e32 v3, v3, v53
	v_lshlrev_b64 v[41:42], 3, v[3:4]
	v_add_co_u32 v41, s30, s52, v41
	v_add_co_ci_u32_e64 v42, null, s53, v42, s30
	s_waitcnt lgkmcnt(0)
	global_store_dwordx2 v[41:42], v[39:40], off
	s_or_b32 exec_lo, exec_lo, s31
	s_and_saveexec_b32 s30, s29
	s_cbranch_execz .LBB120_241
.LBB120_309:                            ;   in Loop: Header=BB120_108 Depth=2
	v_lshlrev_b32_e32 v3, 2, v122
	v_add_nc_u32_e32 v39, v0, v75
	ds_read_b32 v3, v3
	ds_read_b64 v[39:40], v39 offset:18944
	s_waitcnt lgkmcnt(1)
	v_add_nc_u32_e32 v3, v3, v54
	v_lshlrev_b64 v[41:42], 3, v[3:4]
	v_add_co_u32 v41, s29, s52, v41
	v_add_co_ci_u32_e64 v42, null, s53, v42, s29
	s_waitcnt lgkmcnt(0)
	global_store_dwordx2 v[41:42], v[39:40], off
	s_or_b32 exec_lo, exec_lo, s30
	s_and_saveexec_b32 s29, s28
	s_cbranch_execz .LBB120_242
.LBB120_310:                            ;   in Loop: Header=BB120_108 Depth=2
	v_lshlrev_b32_e32 v3, 2, v121
	v_add_nc_u32_e32 v39, v0, v75
	ds_read_b32 v3, v3
	ds_read_b64 v[39:40], v39 offset:20992
	s_waitcnt lgkmcnt(1)
	v_add_nc_u32_e32 v3, v3, v55
	v_lshlrev_b64 v[41:42], 3, v[3:4]
	v_add_co_u32 v41, s28, s52, v41
	v_add_co_ci_u32_e64 v42, null, s53, v42, s28
	s_waitcnt lgkmcnt(0)
	global_store_dwordx2 v[41:42], v[39:40], off
	s_or_b32 exec_lo, exec_lo, s29
	s_and_saveexec_b32 s28, s27
	s_cbranch_execz .LBB120_243
.LBB120_311:                            ;   in Loop: Header=BB120_108 Depth=2
	v_lshlrev_b32_e32 v3, 2, v120
	v_add_nc_u32_e32 v39, v0, v75
	ds_read_b32 v3, v3
	ds_read_b64 v[39:40], v39 offset:23040
	s_waitcnt lgkmcnt(1)
	v_add_nc_u32_e32 v3, v3, v56
	v_lshlrev_b64 v[41:42], 3, v[3:4]
	v_add_co_u32 v41, s27, s52, v41
	v_add_co_ci_u32_e64 v42, null, s53, v42, s27
	s_waitcnt lgkmcnt(0)
	global_store_dwordx2 v[41:42], v[39:40], off
	s_or_b32 exec_lo, exec_lo, s28
	s_and_saveexec_b32 s27, s26
	s_cbranch_execz .LBB120_244
.LBB120_312:                            ;   in Loop: Header=BB120_108 Depth=2
	v_lshlrev_b32_e32 v3, 2, v119
	v_add_nc_u32_e32 v39, v0, v75
	ds_read_b32 v3, v3
	ds_read_b64 v[39:40], v39 offset:25088
	s_waitcnt lgkmcnt(1)
	v_add_nc_u32_e32 v3, v3, v57
	v_lshlrev_b64 v[41:42], 3, v[3:4]
	v_add_co_u32 v41, s26, s52, v41
	v_add_co_ci_u32_e64 v42, null, s53, v42, s26
	s_waitcnt lgkmcnt(0)
	global_store_dwordx2 v[41:42], v[39:40], off
	s_or_b32 exec_lo, exec_lo, s27
	s_and_saveexec_b32 s26, s25
	s_cbranch_execz .LBB120_245
.LBB120_313:                            ;   in Loop: Header=BB120_108 Depth=2
	v_lshlrev_b32_e32 v3, 2, v118
	v_add_nc_u32_e32 v39, v0, v75
	ds_read_b32 v3, v3
	ds_read_b64 v[39:40], v39 offset:27136
	s_waitcnt lgkmcnt(1)
	v_add_nc_u32_e32 v3, v3, v58
	v_lshlrev_b64 v[41:42], 3, v[3:4]
	v_add_co_u32 v41, s25, s52, v41
	v_add_co_ci_u32_e64 v42, null, s53, v42, s25
	s_waitcnt lgkmcnt(0)
	global_store_dwordx2 v[41:42], v[39:40], off
	s_or_b32 exec_lo, exec_lo, s26
	s_and_saveexec_b32 s25, s24
	s_cbranch_execz .LBB120_246
.LBB120_314:                            ;   in Loop: Header=BB120_108 Depth=2
	v_lshlrev_b32_e32 v3, 2, v117
	v_add_nc_u32_e32 v39, v0, v75
	ds_read_b32 v3, v3
	ds_read_b64 v[39:40], v39 offset:29184
	s_waitcnt lgkmcnt(1)
	v_add_nc_u32_e32 v3, v3, v59
	v_lshlrev_b64 v[41:42], 3, v[3:4]
	v_add_co_u32 v41, s24, s52, v41
	v_add_co_ci_u32_e64 v42, null, s53, v42, s24
	s_waitcnt lgkmcnt(0)
	global_store_dwordx2 v[41:42], v[39:40], off
	s_or_b32 exec_lo, exec_lo, s25
	s_and_saveexec_b32 s24, s23
	s_cbranch_execz .LBB120_247
.LBB120_315:                            ;   in Loop: Header=BB120_108 Depth=2
	v_lshlrev_b32_e32 v3, 2, v116
	v_add_nc_u32_e32 v39, v0, v75
	ds_read_b32 v3, v3
	ds_read_b64 v[39:40], v39 offset:31232
	s_waitcnt lgkmcnt(1)
	v_add_nc_u32_e32 v3, v3, v60
	v_lshlrev_b64 v[41:42], 3, v[3:4]
	v_add_co_u32 v41, s23, s52, v41
	v_add_co_ci_u32_e64 v42, null, s53, v42, s23
	s_waitcnt lgkmcnt(0)
	global_store_dwordx2 v[41:42], v[39:40], off
	s_or_b32 exec_lo, exec_lo, s24
	s_and_saveexec_b32 s23, vcc_lo
	s_cbranch_execnz .LBB120_248
	s_branch .LBB120_249
.LBB120_316:                            ;   in Loop: Header=BB120_108 Depth=2
	global_load_ubyte v149, v[39:40], off offset:32
	s_or_b32 exec_lo, exec_lo, s23
	s_mov_b32 s23, exec_lo
	v_cmpx_gt_u32_e64 s63, v99
	s_cbranch_execz .LBB120_115
.LBB120_317:                            ;   in Loop: Header=BB120_108 Depth=2
	global_load_ubyte v145, v[39:40], off offset:64
	s_or_b32 exec_lo, exec_lo, s23
	s_mov_b32 s23, exec_lo
	v_cmpx_gt_u32_e64 s63, v100
	s_cbranch_execz .LBB120_116
.LBB120_318:                            ;   in Loop: Header=BB120_108 Depth=2
	global_load_ubyte v146, v[39:40], off offset:96
	s_or_b32 exec_lo, exec_lo, s23
	s_mov_b32 s23, exec_lo
	v_cmpx_gt_u32_e64 s63, v101
	s_cbranch_execz .LBB120_117
.LBB120_319:                            ;   in Loop: Header=BB120_108 Depth=2
	global_load_ubyte v148, v[39:40], off offset:128
	s_or_b32 exec_lo, exec_lo, s23
	s_mov_b32 s23, exec_lo
	v_cmpx_gt_u32_e64 s63, v102
	s_cbranch_execz .LBB120_118
.LBB120_320:                            ;   in Loop: Header=BB120_108 Depth=2
	global_load_ubyte v141, v[39:40], off offset:160
	s_or_b32 exec_lo, exec_lo, s23
	s_mov_b32 s23, exec_lo
	v_cmpx_gt_u32_e64 s63, v103
	s_cbranch_execz .LBB120_119
.LBB120_321:                            ;   in Loop: Header=BB120_108 Depth=2
	global_load_ubyte v142, v[39:40], off offset:192
	s_or_b32 exec_lo, exec_lo, s23
	s_mov_b32 s23, exec_lo
	v_cmpx_gt_u32_e64 s63, v104
	s_cbranch_execz .LBB120_120
.LBB120_322:                            ;   in Loop: Header=BB120_108 Depth=2
	global_load_ubyte v143, v[39:40], off offset:224
	s_or_b32 exec_lo, exec_lo, s23
	s_mov_b32 s23, exec_lo
	v_cmpx_gt_u32_e64 s63, v105
	s_cbranch_execz .LBB120_121
.LBB120_323:                            ;   in Loop: Header=BB120_108 Depth=2
	global_load_ubyte v140, v[39:40], off offset:256
	s_or_b32 exec_lo, exec_lo, s23
	s_mov_b32 s23, exec_lo
	v_cmpx_gt_u32_e64 s63, v106
	s_cbranch_execz .LBB120_122
.LBB120_324:                            ;   in Loop: Header=BB120_108 Depth=2
	global_load_ubyte v137, v[39:40], off offset:288
	s_or_b32 exec_lo, exec_lo, s23
	s_mov_b32 s23, exec_lo
	v_cmpx_gt_u32_e64 s63, v107
	s_cbranch_execz .LBB120_123
.LBB120_325:                            ;   in Loop: Header=BB120_108 Depth=2
	global_load_ubyte v138, v[39:40], off offset:320
	s_or_b32 exec_lo, exec_lo, s23
	s_mov_b32 s23, exec_lo
	v_cmpx_gt_u32_e64 s63, v108
	s_cbranch_execz .LBB120_124
.LBB120_326:                            ;   in Loop: Header=BB120_108 Depth=2
	global_load_ubyte v139, v[39:40], off offset:352
	s_or_b32 exec_lo, exec_lo, s23
	s_mov_b32 s23, exec_lo
	v_cmpx_gt_u32_e64 s63, v109
	s_cbranch_execz .LBB120_125
.LBB120_327:                            ;   in Loop: Header=BB120_108 Depth=2
	global_load_ubyte v135, v[39:40], off offset:384
	s_or_b32 exec_lo, exec_lo, s23
	s_mov_b32 s23, exec_lo
	v_cmpx_gt_u32_e64 s63, v110
	s_cbranch_execz .LBB120_126
.LBB120_328:                            ;   in Loop: Header=BB120_108 Depth=2
	global_load_ubyte v3, v[39:40], off offset:416
	s_or_b32 exec_lo, exec_lo, s23
	s_mov_b32 s23, exec_lo
	v_cmpx_gt_u32_e64 s63, v111
	s_cbranch_execz .LBB120_127
.LBB120_329:                            ;   in Loop: Header=BB120_108 Depth=2
	global_load_ubyte v41, v[39:40], off offset:448
	s_or_b32 exec_lo, exec_lo, s23
	s_mov_b32 s23, exec_lo
	v_cmpx_gt_u32_e64 s63, v112
	s_cbranch_execnz .LBB120_128
	s_branch .LBB120_129
.LBB120_330:                            ;   in Loop: Header=BB120_20 Depth=1
	s_waitcnt lgkmcnt(0)
	s_mov_b32 s5, 0
	s_barrier
.LBB120_331:                            ;   in Loop: Header=BB120_20 Depth=1
	s_and_b32 vcc_lo, exec_lo, s5
	s_cbranch_vccz .LBB120_641
; %bb.332:                              ;   in Loop: Header=BB120_20 Depth=1
	v_mov_b32_e32 v17, 0
	v_mov_b32_e32 v20, 0
	;; [unrolled: 1-line block ×17, first 2 shown]
	s_mov_b32 s5, s60
	s_mov_b32 s17, s58
	s_barrier
	buffer_gl0_inv
	s_branch .LBB120_334
.LBB120_333:                            ;   in Loop: Header=BB120_334 Depth=2
	s_or_b32 exec_lo, exec_lo, s16
	s_addk_i32 s5, 0xef00
	s_cmp_ge_u32 s15, s59
	s_mov_b32 s17, s15
	s_cbranch_scc1 .LBB120_406
.LBB120_334:                            ;   Parent Loop BB120_20 Depth=1
                                        ; =>  This Inner Loop Header: Depth=2
	s_add_i32 s15, s17, 0x1100
	s_mov_b32 s16, -1
	s_cmp_gt_u32 s15, s59
                                        ; implicit-def: $vgpr21
                                        ; implicit-def: $vgpr22
                                        ; implicit-def: $vgpr23
                                        ; implicit-def: $vgpr24
                                        ; implicit-def: $vgpr25
                                        ; implicit-def: $vgpr26
                                        ; implicit-def: $vgpr27
                                        ; implicit-def: $vgpr28
                                        ; implicit-def: $vgpr29
                                        ; implicit-def: $vgpr30
                                        ; implicit-def: $vgpr31
                                        ; implicit-def: $vgpr32
                                        ; implicit-def: $vgpr33
                                        ; implicit-def: $vgpr34
                                        ; implicit-def: $vgpr35
                                        ; implicit-def: $vgpr36
                                        ; implicit-def: $vgpr37
	s_cbranch_scc1 .LBB120_336
; %bb.335:                              ;   in Loop: Header=BB120_334 Depth=2
	v_add_co_u32 v38, vcc_lo, v76, s17
	v_add_co_ci_u32_e64 v39, null, 0, v77, vcc_lo
	s_mov_b32 s16, 0
	v_add_co_u32 v21, vcc_lo, 0x800, v38
	v_add_co_ci_u32_e64 v22, null, 0, v39, vcc_lo
	v_add_co_u32 v23, vcc_lo, 0x1000, v38
	v_add_co_ci_u32_e64 v24, null, 0, v39, vcc_lo
	s_clause 0x10
	global_load_ubyte v36, v[21:22], off offset:1792
	global_load_ubyte v37, v[23:24], off
	global_load_ubyte v35, v[21:22], off offset:1536
	global_load_ubyte v34, v[21:22], off offset:1280
	;; [unrolled: 1-line block ×6, first 2 shown]
	global_load_ubyte v29, v[21:22], off
	global_load_ubyte v28, v[38:39], off offset:1792
	global_load_ubyte v27, v[38:39], off offset:1536
	;; [unrolled: 1-line block ×7, first 2 shown]
	global_load_ubyte v21, v[38:39], off
.LBB120_336:                            ;   in Loop: Header=BB120_334 Depth=2
	s_andn2_b32 vcc_lo, exec_lo, s16
	s_movk_i32 s16, 0x1100
	s_cbranch_vccnz .LBB120_356
; %bb.337:                              ;   in Loop: Header=BB120_334 Depth=2
	s_add_u32 s16, s46, s17
	s_addc_u32 s17, s47, 0
	s_mov_b32 s18, exec_lo
	v_cmpx_gt_u32_e64 s5, v0
	s_cbranch_execnz .LBB120_390
; %bb.338:                              ;   in Loop: Header=BB120_334 Depth=2
	s_or_b32 exec_lo, exec_lo, s18
	s_mov_b32 s18, exec_lo
	v_cmpx_gt_u32_e64 s5, v44
	s_cbranch_execnz .LBB120_391
.LBB120_339:                            ;   in Loop: Header=BB120_334 Depth=2
	s_or_b32 exec_lo, exec_lo, s18
	s_mov_b32 s18, exec_lo
	v_cmpx_gt_u32_e64 s5, v47
	s_cbranch_execnz .LBB120_392
.LBB120_340:                            ;   in Loop: Header=BB120_334 Depth=2
	s_or_b32 exec_lo, exec_lo, s18
	s_mov_b32 s18, exec_lo
	v_cmpx_gt_u32_e64 s5, v48
	s_cbranch_execnz .LBB120_393
.LBB120_341:                            ;   in Loop: Header=BB120_334 Depth=2
	s_or_b32 exec_lo, exec_lo, s18
	s_mov_b32 s18, exec_lo
	v_cmpx_gt_u32_e64 s5, v49
	s_cbranch_execnz .LBB120_394
.LBB120_342:                            ;   in Loop: Header=BB120_334 Depth=2
	s_or_b32 exec_lo, exec_lo, s18
	s_mov_b32 s18, exec_lo
	v_cmpx_gt_u32_e64 s5, v50
	s_cbranch_execnz .LBB120_395
.LBB120_343:                            ;   in Loop: Header=BB120_334 Depth=2
	s_or_b32 exec_lo, exec_lo, s18
	s_mov_b32 s18, exec_lo
	v_cmpx_gt_u32_e64 s5, v51
	s_cbranch_execnz .LBB120_396
.LBB120_344:                            ;   in Loop: Header=BB120_334 Depth=2
	s_or_b32 exec_lo, exec_lo, s18
	s_mov_b32 s18, exec_lo
	v_cmpx_gt_u32_e64 s5, v52
	s_cbranch_execnz .LBB120_397
.LBB120_345:                            ;   in Loop: Header=BB120_334 Depth=2
	s_or_b32 exec_lo, exec_lo, s18
	s_mov_b32 s18, exec_lo
	v_cmpx_gt_u32_e64 s5, v53
	s_cbranch_execnz .LBB120_398
.LBB120_346:                            ;   in Loop: Header=BB120_334 Depth=2
	s_or_b32 exec_lo, exec_lo, s18
	s_mov_b32 s18, exec_lo
	v_cmpx_gt_u32_e64 s5, v54
	s_cbranch_execnz .LBB120_399
.LBB120_347:                            ;   in Loop: Header=BB120_334 Depth=2
	s_or_b32 exec_lo, exec_lo, s18
	s_mov_b32 s18, exec_lo
	v_cmpx_gt_u32_e64 s5, v55
	s_cbranch_execnz .LBB120_400
.LBB120_348:                            ;   in Loop: Header=BB120_334 Depth=2
	s_or_b32 exec_lo, exec_lo, s18
	s_mov_b32 s18, exec_lo
	v_cmpx_gt_u32_e64 s5, v56
	s_cbranch_execnz .LBB120_401
.LBB120_349:                            ;   in Loop: Header=BB120_334 Depth=2
	s_or_b32 exec_lo, exec_lo, s18
	s_mov_b32 s18, exec_lo
	v_cmpx_gt_u32_e64 s5, v57
	s_cbranch_execnz .LBB120_402
.LBB120_350:                            ;   in Loop: Header=BB120_334 Depth=2
	s_or_b32 exec_lo, exec_lo, s18
	s_mov_b32 s18, exec_lo
	v_cmpx_gt_u32_e64 s5, v58
	s_cbranch_execnz .LBB120_403
.LBB120_351:                            ;   in Loop: Header=BB120_334 Depth=2
	s_or_b32 exec_lo, exec_lo, s18
	s_mov_b32 s18, exec_lo
	v_cmpx_gt_u32_e64 s5, v59
	s_cbranch_execnz .LBB120_404
.LBB120_352:                            ;   in Loop: Header=BB120_334 Depth=2
	s_or_b32 exec_lo, exec_lo, s18
	s_mov_b32 s18, exec_lo
	v_cmpx_gt_u32_e64 s5, v60
	s_cbranch_execnz .LBB120_405
.LBB120_353:                            ;   in Loop: Header=BB120_334 Depth=2
	s_or_b32 exec_lo, exec_lo, s18
	s_mov_b32 s18, exec_lo
	v_cmpx_gt_u32_e64 s5, v61
	s_cbranch_execz .LBB120_355
.LBB120_354:                            ;   in Loop: Header=BB120_334 Depth=2
	s_waitcnt vmcnt(0)
	v_add_co_u32 v21, s16, s16, v61
	v_add_co_ci_u32_e64 v22, null, s17, 0, s16
	global_load_ubyte v3, v[21:22], off
.LBB120_355:                            ;   in Loop: Header=BB120_334 Depth=2
	s_or_b32 exec_lo, exec_lo, s18
	s_waitcnt vmcnt(0)
	v_mov_b32_e32 v21, v17
	v_mov_b32_e32 v22, v20
	;; [unrolled: 1-line block ×17, first 2 shown]
	s_mov_b32 s16, s5
.LBB120_356:                            ;   in Loop: Header=BB120_334 Depth=2
	s_waitcnt vmcnt(15)
	v_mov_b32_e32 v3, v37
	v_mov_b32_e32 v5, v36
	s_waitcnt vmcnt(14)
	v_mov_b32_e32 v6, v35
	s_waitcnt vmcnt(13)
	;; [unrolled: 2-line block ×15, first 2 shown]
	v_mov_b32_e32 v17, v21
	s_mov_b32 s17, exec_lo
	v_cmpx_gt_u32_e64 s16, v0
	s_cbranch_execnz .LBB120_373
; %bb.357:                              ;   in Loop: Header=BB120_334 Depth=2
	s_or_b32 exec_lo, exec_lo, s17
	s_mov_b32 s17, exec_lo
	v_cmpx_gt_u32_e64 s16, v44
	s_cbranch_execnz .LBB120_374
.LBB120_358:                            ;   in Loop: Header=BB120_334 Depth=2
	s_or_b32 exec_lo, exec_lo, s17
	s_mov_b32 s17, exec_lo
	v_cmpx_gt_u32_e64 s16, v47
	s_cbranch_execnz .LBB120_375
.LBB120_359:                            ;   in Loop: Header=BB120_334 Depth=2
	s_or_b32 exec_lo, exec_lo, s17
	s_mov_b32 s17, exec_lo
	v_cmpx_gt_u32_e64 s16, v48
	s_cbranch_execnz .LBB120_376
.LBB120_360:                            ;   in Loop: Header=BB120_334 Depth=2
	s_or_b32 exec_lo, exec_lo, s17
	s_mov_b32 s17, exec_lo
	v_cmpx_gt_u32_e64 s16, v49
	s_cbranch_execnz .LBB120_377
.LBB120_361:                            ;   in Loop: Header=BB120_334 Depth=2
	s_or_b32 exec_lo, exec_lo, s17
	s_mov_b32 s17, exec_lo
	v_cmpx_gt_u32_e64 s16, v50
	s_cbranch_execnz .LBB120_378
.LBB120_362:                            ;   in Loop: Header=BB120_334 Depth=2
	s_or_b32 exec_lo, exec_lo, s17
	s_mov_b32 s17, exec_lo
	v_cmpx_gt_u32_e64 s16, v51
	s_cbranch_execnz .LBB120_379
.LBB120_363:                            ;   in Loop: Header=BB120_334 Depth=2
	s_or_b32 exec_lo, exec_lo, s17
	s_mov_b32 s17, exec_lo
	v_cmpx_gt_u32_e64 s16, v52
	s_cbranch_execnz .LBB120_380
.LBB120_364:                            ;   in Loop: Header=BB120_334 Depth=2
	s_or_b32 exec_lo, exec_lo, s17
	s_mov_b32 s17, exec_lo
	v_cmpx_gt_u32_e64 s16, v53
	s_cbranch_execnz .LBB120_381
.LBB120_365:                            ;   in Loop: Header=BB120_334 Depth=2
	s_or_b32 exec_lo, exec_lo, s17
	s_mov_b32 s17, exec_lo
	v_cmpx_gt_u32_e64 s16, v54
	s_cbranch_execnz .LBB120_382
.LBB120_366:                            ;   in Loop: Header=BB120_334 Depth=2
	s_or_b32 exec_lo, exec_lo, s17
	s_mov_b32 s17, exec_lo
	v_cmpx_gt_u32_e64 s16, v55
	s_cbranch_execnz .LBB120_383
.LBB120_367:                            ;   in Loop: Header=BB120_334 Depth=2
	s_or_b32 exec_lo, exec_lo, s17
	s_mov_b32 s17, exec_lo
	v_cmpx_gt_u32_e64 s16, v56
	s_cbranch_execnz .LBB120_384
.LBB120_368:                            ;   in Loop: Header=BB120_334 Depth=2
	s_or_b32 exec_lo, exec_lo, s17
	s_mov_b32 s17, exec_lo
	v_cmpx_gt_u32_e64 s16, v57
	s_cbranch_execnz .LBB120_385
.LBB120_369:                            ;   in Loop: Header=BB120_334 Depth=2
	s_or_b32 exec_lo, exec_lo, s17
	s_mov_b32 s17, exec_lo
	v_cmpx_gt_u32_e64 s16, v58
	s_cbranch_execnz .LBB120_386
.LBB120_370:                            ;   in Loop: Header=BB120_334 Depth=2
	s_or_b32 exec_lo, exec_lo, s17
	s_mov_b32 s17, exec_lo
	v_cmpx_gt_u32_e64 s16, v59
	s_cbranch_execnz .LBB120_387
.LBB120_371:                            ;   in Loop: Header=BB120_334 Depth=2
	s_or_b32 exec_lo, exec_lo, s17
	s_mov_b32 s17, exec_lo
	v_cmpx_gt_u32_e64 s16, v60
	s_cbranch_execnz .LBB120_388
.LBB120_372:                            ;   in Loop: Header=BB120_334 Depth=2
	s_or_b32 exec_lo, exec_lo, s17
	v_cmp_gt_u32_e32 vcc_lo, s16, v61
	s_and_saveexec_b32 s16, vcc_lo
	s_cbranch_execz .LBB120_333
	s_branch .LBB120_389
.LBB120_373:                            ;   in Loop: Header=BB120_334 Depth=2
	v_xor_b32_e32 v21, -1, v17
	v_lshrrev_b32_sdwa v21, s61, v21 dst_sel:DWORD dst_unused:UNUSED_PAD src0_sel:DWORD src1_sel:BYTE_0
	v_and_b32_e32 v21, s62, v21
	v_lshl_or_b32 v21, v21, 4, v63
	ds_add_u32 v21, v89
	s_or_b32 exec_lo, exec_lo, s17
	s_mov_b32 s17, exec_lo
	v_cmpx_gt_u32_e64 s16, v44
	s_cbranch_execz .LBB120_358
.LBB120_374:                            ;   in Loop: Header=BB120_334 Depth=2
	v_xor_b32_e32 v21, -1, v20
	v_lshrrev_b32_sdwa v21, s61, v21 dst_sel:DWORD dst_unused:UNUSED_PAD src0_sel:DWORD src1_sel:BYTE_0
	v_and_b32_e32 v21, s62, v21
	v_lshl_or_b32 v21, v21, 4, v63
	ds_add_u32 v21, v89
	s_or_b32 exec_lo, exec_lo, s17
	s_mov_b32 s17, exec_lo
	v_cmpx_gt_u32_e64 s16, v47
	s_cbranch_execz .LBB120_359
.LBB120_375:                            ;   in Loop: Header=BB120_334 Depth=2
	v_xor_b32_e32 v21, -1, v19
	v_lshrrev_b32_sdwa v21, s61, v21 dst_sel:DWORD dst_unused:UNUSED_PAD src0_sel:DWORD src1_sel:BYTE_0
	v_and_b32_e32 v21, s62, v21
	v_lshl_or_b32 v21, v21, 4, v63
	ds_add_u32 v21, v89
	s_or_b32 exec_lo, exec_lo, s17
	s_mov_b32 s17, exec_lo
	v_cmpx_gt_u32_e64 s16, v48
	s_cbranch_execz .LBB120_360
.LBB120_376:                            ;   in Loop: Header=BB120_334 Depth=2
	v_xor_b32_e32 v21, -1, v18
	v_lshrrev_b32_sdwa v21, s61, v21 dst_sel:DWORD dst_unused:UNUSED_PAD src0_sel:DWORD src1_sel:BYTE_0
	v_and_b32_e32 v21, s62, v21
	v_lshl_or_b32 v21, v21, 4, v63
	ds_add_u32 v21, v89
	s_or_b32 exec_lo, exec_lo, s17
	s_mov_b32 s17, exec_lo
	v_cmpx_gt_u32_e64 s16, v49
	s_cbranch_execz .LBB120_361
.LBB120_377:                            ;   in Loop: Header=BB120_334 Depth=2
	v_xor_b32_e32 v21, -1, v16
	v_lshrrev_b32_sdwa v21, s61, v21 dst_sel:DWORD dst_unused:UNUSED_PAD src0_sel:DWORD src1_sel:BYTE_0
	v_and_b32_e32 v21, s62, v21
	v_lshl_or_b32 v21, v21, 4, v63
	ds_add_u32 v21, v89
	s_or_b32 exec_lo, exec_lo, s17
	s_mov_b32 s17, exec_lo
	v_cmpx_gt_u32_e64 s16, v50
	s_cbranch_execz .LBB120_362
.LBB120_378:                            ;   in Loop: Header=BB120_334 Depth=2
	v_xor_b32_e32 v21, -1, v15
	v_lshrrev_b32_sdwa v21, s61, v21 dst_sel:DWORD dst_unused:UNUSED_PAD src0_sel:DWORD src1_sel:BYTE_0
	v_and_b32_e32 v21, s62, v21
	v_lshl_or_b32 v21, v21, 4, v63
	ds_add_u32 v21, v89
	s_or_b32 exec_lo, exec_lo, s17
	s_mov_b32 s17, exec_lo
	v_cmpx_gt_u32_e64 s16, v51
	s_cbranch_execz .LBB120_363
.LBB120_379:                            ;   in Loop: Header=BB120_334 Depth=2
	v_xor_b32_e32 v21, -1, v14
	v_lshrrev_b32_sdwa v21, s61, v21 dst_sel:DWORD dst_unused:UNUSED_PAD src0_sel:DWORD src1_sel:BYTE_0
	v_and_b32_e32 v21, s62, v21
	v_lshl_or_b32 v21, v21, 4, v63
	ds_add_u32 v21, v89
	s_or_b32 exec_lo, exec_lo, s17
	s_mov_b32 s17, exec_lo
	v_cmpx_gt_u32_e64 s16, v52
	s_cbranch_execz .LBB120_364
.LBB120_380:                            ;   in Loop: Header=BB120_334 Depth=2
	v_xor_b32_e32 v21, -1, v13
	v_lshrrev_b32_sdwa v21, s61, v21 dst_sel:DWORD dst_unused:UNUSED_PAD src0_sel:DWORD src1_sel:BYTE_0
	v_and_b32_e32 v21, s62, v21
	v_lshl_or_b32 v21, v21, 4, v63
	ds_add_u32 v21, v89
	s_or_b32 exec_lo, exec_lo, s17
	s_mov_b32 s17, exec_lo
	v_cmpx_gt_u32_e64 s16, v53
	s_cbranch_execz .LBB120_365
.LBB120_381:                            ;   in Loop: Header=BB120_334 Depth=2
	v_xor_b32_e32 v21, -1, v12
	v_lshrrev_b32_sdwa v21, s61, v21 dst_sel:DWORD dst_unused:UNUSED_PAD src0_sel:DWORD src1_sel:BYTE_0
	v_and_b32_e32 v21, s62, v21
	v_lshl_or_b32 v21, v21, 4, v63
	ds_add_u32 v21, v89
	s_or_b32 exec_lo, exec_lo, s17
	s_mov_b32 s17, exec_lo
	v_cmpx_gt_u32_e64 s16, v54
	s_cbranch_execz .LBB120_366
.LBB120_382:                            ;   in Loop: Header=BB120_334 Depth=2
	v_xor_b32_e32 v21, -1, v11
	v_lshrrev_b32_sdwa v21, s61, v21 dst_sel:DWORD dst_unused:UNUSED_PAD src0_sel:DWORD src1_sel:BYTE_0
	v_and_b32_e32 v21, s62, v21
	v_lshl_or_b32 v21, v21, 4, v63
	ds_add_u32 v21, v89
	s_or_b32 exec_lo, exec_lo, s17
	s_mov_b32 s17, exec_lo
	v_cmpx_gt_u32_e64 s16, v55
	s_cbranch_execz .LBB120_367
.LBB120_383:                            ;   in Loop: Header=BB120_334 Depth=2
	v_xor_b32_e32 v21, -1, v10
	v_lshrrev_b32_sdwa v21, s61, v21 dst_sel:DWORD dst_unused:UNUSED_PAD src0_sel:DWORD src1_sel:BYTE_0
	v_and_b32_e32 v21, s62, v21
	v_lshl_or_b32 v21, v21, 4, v63
	ds_add_u32 v21, v89
	s_or_b32 exec_lo, exec_lo, s17
	s_mov_b32 s17, exec_lo
	v_cmpx_gt_u32_e64 s16, v56
	s_cbranch_execz .LBB120_368
.LBB120_384:                            ;   in Loop: Header=BB120_334 Depth=2
	v_xor_b32_e32 v21, -1, v9
	v_lshrrev_b32_sdwa v21, s61, v21 dst_sel:DWORD dst_unused:UNUSED_PAD src0_sel:DWORD src1_sel:BYTE_0
	v_and_b32_e32 v21, s62, v21
	v_lshl_or_b32 v21, v21, 4, v63
	ds_add_u32 v21, v89
	s_or_b32 exec_lo, exec_lo, s17
	s_mov_b32 s17, exec_lo
	v_cmpx_gt_u32_e64 s16, v57
	s_cbranch_execz .LBB120_369
.LBB120_385:                            ;   in Loop: Header=BB120_334 Depth=2
	v_xor_b32_e32 v21, -1, v8
	v_lshrrev_b32_sdwa v21, s61, v21 dst_sel:DWORD dst_unused:UNUSED_PAD src0_sel:DWORD src1_sel:BYTE_0
	v_and_b32_e32 v21, s62, v21
	v_lshl_or_b32 v21, v21, 4, v63
	ds_add_u32 v21, v89
	s_or_b32 exec_lo, exec_lo, s17
	s_mov_b32 s17, exec_lo
	v_cmpx_gt_u32_e64 s16, v58
	s_cbranch_execz .LBB120_370
.LBB120_386:                            ;   in Loop: Header=BB120_334 Depth=2
	v_xor_b32_e32 v21, -1, v7
	v_lshrrev_b32_sdwa v21, s61, v21 dst_sel:DWORD dst_unused:UNUSED_PAD src0_sel:DWORD src1_sel:BYTE_0
	v_and_b32_e32 v21, s62, v21
	v_lshl_or_b32 v21, v21, 4, v63
	ds_add_u32 v21, v89
	s_or_b32 exec_lo, exec_lo, s17
	s_mov_b32 s17, exec_lo
	v_cmpx_gt_u32_e64 s16, v59
	s_cbranch_execz .LBB120_371
.LBB120_387:                            ;   in Loop: Header=BB120_334 Depth=2
	v_xor_b32_e32 v21, -1, v6
	v_lshrrev_b32_sdwa v21, s61, v21 dst_sel:DWORD dst_unused:UNUSED_PAD src0_sel:DWORD src1_sel:BYTE_0
	v_and_b32_e32 v21, s62, v21
	v_lshl_or_b32 v21, v21, 4, v63
	ds_add_u32 v21, v89
	s_or_b32 exec_lo, exec_lo, s17
	s_mov_b32 s17, exec_lo
	v_cmpx_gt_u32_e64 s16, v60
	s_cbranch_execz .LBB120_372
.LBB120_388:                            ;   in Loop: Header=BB120_334 Depth=2
	v_xor_b32_e32 v21, -1, v5
	v_lshrrev_b32_sdwa v21, s61, v21 dst_sel:DWORD dst_unused:UNUSED_PAD src0_sel:DWORD src1_sel:BYTE_0
	v_and_b32_e32 v21, s62, v21
	v_lshl_or_b32 v21, v21, 4, v63
	ds_add_u32 v21, v89
	s_or_b32 exec_lo, exec_lo, s17
	v_cmp_gt_u32_e32 vcc_lo, s16, v61
	s_and_saveexec_b32 s16, vcc_lo
	s_cbranch_execz .LBB120_333
.LBB120_389:                            ;   in Loop: Header=BB120_334 Depth=2
	v_xor_b32_e32 v21, -1, v3
	v_lshrrev_b32_sdwa v21, s61, v21 dst_sel:DWORD dst_unused:UNUSED_PAD src0_sel:DWORD src1_sel:BYTE_0
	v_and_b32_e32 v21, s62, v21
	v_lshl_or_b32 v21, v21, 4, v63
	ds_add_u32 v21, v89
	s_branch .LBB120_333
.LBB120_390:                            ;   in Loop: Header=BB120_334 Depth=2
	s_waitcnt vmcnt(0)
	v_add_co_u32 v21, s19, s16, v0
	v_add_co_ci_u32_e64 v22, null, s17, 0, s19
	global_load_ubyte v17, v[21:22], off
	s_or_b32 exec_lo, exec_lo, s18
	s_mov_b32 s18, exec_lo
	v_cmpx_gt_u32_e64 s5, v44
	s_cbranch_execz .LBB120_339
.LBB120_391:                            ;   in Loop: Header=BB120_334 Depth=2
	v_add_co_u32 v20, s19, s16, v0
	s_waitcnt vmcnt(0)
	v_add_co_ci_u32_e64 v21, null, s17, 0, s19
	global_load_ubyte v20, v[20:21], off offset:256
	s_or_b32 exec_lo, exec_lo, s18
	s_mov_b32 s18, exec_lo
	v_cmpx_gt_u32_e64 s5, v47
	s_cbranch_execz .LBB120_340
.LBB120_392:                            ;   in Loop: Header=BB120_334 Depth=2
	s_waitcnt vmcnt(0)
	v_add_co_u32 v21, s19, s16, v0
	v_add_co_ci_u32_e64 v22, null, s17, 0, s19
	global_load_ubyte v19, v[21:22], off offset:512
	s_or_b32 exec_lo, exec_lo, s18
	s_mov_b32 s18, exec_lo
	v_cmpx_gt_u32_e64 s5, v48
	s_cbranch_execz .LBB120_341
.LBB120_393:                            ;   in Loop: Header=BB120_334 Depth=2
	s_waitcnt vmcnt(0)
	v_add_co_u32 v21, s19, s16, v0
	v_add_co_ci_u32_e64 v22, null, s17, 0, s19
	global_load_ubyte v18, v[21:22], off offset:768
	s_or_b32 exec_lo, exec_lo, s18
	s_mov_b32 s18, exec_lo
	v_cmpx_gt_u32_e64 s5, v49
	s_cbranch_execz .LBB120_342
.LBB120_394:                            ;   in Loop: Header=BB120_334 Depth=2
	s_waitcnt vmcnt(0)
	v_add_co_u32 v21, s19, s16, v0
	v_add_co_ci_u32_e64 v22, null, s17, 0, s19
	global_load_ubyte v16, v[21:22], off offset:1024
	s_or_b32 exec_lo, exec_lo, s18
	s_mov_b32 s18, exec_lo
	v_cmpx_gt_u32_e64 s5, v50
	s_cbranch_execz .LBB120_343
.LBB120_395:                            ;   in Loop: Header=BB120_334 Depth=2
	s_waitcnt vmcnt(0)
	v_add_co_u32 v21, s19, s16, v0
	v_add_co_ci_u32_e64 v22, null, s17, 0, s19
	global_load_ubyte v15, v[21:22], off offset:1280
	s_or_b32 exec_lo, exec_lo, s18
	s_mov_b32 s18, exec_lo
	v_cmpx_gt_u32_e64 s5, v51
	s_cbranch_execz .LBB120_344
.LBB120_396:                            ;   in Loop: Header=BB120_334 Depth=2
	s_waitcnt vmcnt(0)
	v_add_co_u32 v21, s19, s16, v0
	v_add_co_ci_u32_e64 v22, null, s17, 0, s19
	global_load_ubyte v14, v[21:22], off offset:1536
	s_or_b32 exec_lo, exec_lo, s18
	s_mov_b32 s18, exec_lo
	v_cmpx_gt_u32_e64 s5, v52
	s_cbranch_execz .LBB120_345
.LBB120_397:                            ;   in Loop: Header=BB120_334 Depth=2
	s_waitcnt vmcnt(0)
	v_add_co_u32 v21, s19, s16, v0
	v_add_co_ci_u32_e64 v22, null, s17, 0, s19
	global_load_ubyte v13, v[21:22], off offset:1792
	s_or_b32 exec_lo, exec_lo, s18
	s_mov_b32 s18, exec_lo
	v_cmpx_gt_u32_e64 s5, v53
	s_cbranch_execz .LBB120_346
.LBB120_398:                            ;   in Loop: Header=BB120_334 Depth=2
	s_waitcnt vmcnt(0)
	v_add_co_u32 v21, s19, s16, v53
	v_add_co_ci_u32_e64 v22, null, s17, 0, s19
	global_load_ubyte v12, v[21:22], off
	s_or_b32 exec_lo, exec_lo, s18
	s_mov_b32 s18, exec_lo
	v_cmpx_gt_u32_e64 s5, v54
	s_cbranch_execz .LBB120_347
.LBB120_399:                            ;   in Loop: Header=BB120_334 Depth=2
	s_waitcnt vmcnt(0)
	v_add_co_u32 v21, s19, s16, v54
	v_add_co_ci_u32_e64 v22, null, s17, 0, s19
	global_load_ubyte v11, v[21:22], off
	s_or_b32 exec_lo, exec_lo, s18
	s_mov_b32 s18, exec_lo
	v_cmpx_gt_u32_e64 s5, v55
	s_cbranch_execz .LBB120_348
.LBB120_400:                            ;   in Loop: Header=BB120_334 Depth=2
	s_waitcnt vmcnt(0)
	v_add_co_u32 v21, s19, s16, v55
	v_add_co_ci_u32_e64 v22, null, s17, 0, s19
	global_load_ubyte v10, v[21:22], off
	s_or_b32 exec_lo, exec_lo, s18
	s_mov_b32 s18, exec_lo
	v_cmpx_gt_u32_e64 s5, v56
	s_cbranch_execz .LBB120_349
.LBB120_401:                            ;   in Loop: Header=BB120_334 Depth=2
	s_waitcnt vmcnt(0)
	v_add_co_u32 v21, s19, s16, v56
	v_add_co_ci_u32_e64 v22, null, s17, 0, s19
	global_load_ubyte v9, v[21:22], off
	s_or_b32 exec_lo, exec_lo, s18
	s_mov_b32 s18, exec_lo
	v_cmpx_gt_u32_e64 s5, v57
	s_cbranch_execz .LBB120_350
.LBB120_402:                            ;   in Loop: Header=BB120_334 Depth=2
	s_waitcnt vmcnt(0)
	v_add_co_u32 v21, s19, s16, v57
	v_add_co_ci_u32_e64 v22, null, s17, 0, s19
	global_load_ubyte v8, v[21:22], off
	s_or_b32 exec_lo, exec_lo, s18
	s_mov_b32 s18, exec_lo
	v_cmpx_gt_u32_e64 s5, v58
	s_cbranch_execz .LBB120_351
.LBB120_403:                            ;   in Loop: Header=BB120_334 Depth=2
	s_waitcnt vmcnt(0)
	v_add_co_u32 v21, s19, s16, v58
	v_add_co_ci_u32_e64 v22, null, s17, 0, s19
	global_load_ubyte v7, v[21:22], off
	s_or_b32 exec_lo, exec_lo, s18
	s_mov_b32 s18, exec_lo
	v_cmpx_gt_u32_e64 s5, v59
	s_cbranch_execz .LBB120_352
.LBB120_404:                            ;   in Loop: Header=BB120_334 Depth=2
	s_waitcnt vmcnt(0)
	v_add_co_u32 v21, s19, s16, v59
	v_add_co_ci_u32_e64 v22, null, s17, 0, s19
	global_load_ubyte v6, v[21:22], off
	s_or_b32 exec_lo, exec_lo, s18
	s_mov_b32 s18, exec_lo
	v_cmpx_gt_u32_e64 s5, v60
	s_cbranch_execz .LBB120_353
.LBB120_405:                            ;   in Loop: Header=BB120_334 Depth=2
	s_waitcnt vmcnt(0)
	v_add_co_u32 v21, s19, s16, v60
	v_add_co_ci_u32_e64 v22, null, s17, 0, s19
	global_load_ubyte v5, v[21:22], off
	s_or_b32 exec_lo, exec_lo, s18
	s_mov_b32 s18, exec_lo
	v_cmpx_gt_u32_e64 s5, v61
	s_cbranch_execnz .LBB120_354
	s_branch .LBB120_355
.LBB120_406:                            ;   in Loop: Header=BB120_20 Depth=1
	v_mov_b32_e32 v3, 0
	s_waitcnt lgkmcnt(0)
	s_barrier
	buffer_gl0_inv
	s_and_saveexec_b32 s5, s8
	s_cbranch_execz .LBB120_408
; %bb.407:                              ;   in Loop: Header=BB120_20 Depth=1
	ds_read2_b64 v[5:8], v64 offset1:1
	s_waitcnt lgkmcnt(0)
	v_add_nc_u32_e32 v3, v6, v5
	v_add3_u32 v3, v3, v7, v8
.LBB120_408:                            ;   in Loop: Header=BB120_20 Depth=1
	s_or_b32 exec_lo, exec_lo, s5
	v_and_b32_e32 v5, 15, v86
	v_mov_b32_dpp v6, v3 row_shr:1 row_mask:0xf bank_mask:0xf
	v_and_b32_e32 v7, 16, v86
	v_cmp_eq_u32_e64 s5, 0, v5
	v_cmp_lt_u32_e64 s15, 1, v5
	v_cmp_lt_u32_e64 s16, 3, v5
	;; [unrolled: 1-line block ×3, first 2 shown]
	v_cmp_eq_u32_e64 s18, 0, v7
	v_cndmask_b32_e64 v6, v6, 0, s5
	v_add_nc_u32_e32 v3, v6, v3
	v_mov_b32_dpp v6, v3 row_shr:2 row_mask:0xf bank_mask:0xf
	v_cndmask_b32_e64 v6, 0, v6, s15
	v_add_nc_u32_e32 v3, v3, v6
	v_mov_b32_dpp v6, v3 row_shr:4 row_mask:0xf bank_mask:0xf
	;; [unrolled: 3-line block ×3, first 2 shown]
	v_cndmask_b32_e64 v5, 0, v6, s17
	v_bfe_i32 v6, v86, 4, 1
	v_add_nc_u32_e32 v3, v3, v5
	ds_swizzle_b32 v5, v3 offset:swizzle(BROADCAST,32,15)
	s_waitcnt lgkmcnt(0)
	v_and_b32_e32 v5, v6, v5
	v_add_nc_u32_e32 v3, v3, v5
	s_and_saveexec_b32 s19, s9
; %bb.409:                              ;   in Loop: Header=BB120_20 Depth=1
	ds_write_b32 v65, v3
; %bb.410:                              ;   in Loop: Header=BB120_20 Depth=1
	s_or_b32 exec_lo, exec_lo, s19
	s_waitcnt lgkmcnt(0)
	s_barrier
	buffer_gl0_inv
	s_and_saveexec_b32 s19, s10
	s_cbranch_execz .LBB120_412
; %bb.411:                              ;   in Loop: Header=BB120_20 Depth=1
	ds_read_b32 v5, v66
	v_and_b32_e32 v6, 3, v86
	v_cmp_ne_u32_e32 vcc_lo, 0, v6
	s_waitcnt lgkmcnt(0)
	v_mov_b32_dpp v7, v5 row_shr:1 row_mask:0xf bank_mask:0xf
	v_cndmask_b32_e32 v7, 0, v7, vcc_lo
	v_cmp_lt_u32_e32 vcc_lo, 1, v6
	v_add_nc_u32_e32 v5, v7, v5
	v_mov_b32_dpp v7, v5 row_shr:2 row_mask:0xf bank_mask:0xf
	v_cndmask_b32_e32 v6, 0, v7, vcc_lo
	v_add_nc_u32_e32 v5, v5, v6
	ds_write_b32 v66, v5
.LBB120_412:                            ;   in Loop: Header=BB120_20 Depth=1
	s_or_b32 exec_lo, exec_lo, s19
	v_mov_b32_e32 v5, 0
	s_waitcnt lgkmcnt(0)
	s_barrier
	buffer_gl0_inv
	s_and_saveexec_b32 s19, s11
; %bb.413:                              ;   in Loop: Header=BB120_20 Depth=1
	ds_read_b32 v5, v67
; %bb.414:                              ;   in Loop: Header=BB120_20 Depth=1
	s_or_b32 exec_lo, exec_lo, s19
	v_sub_co_u32 v6, s19, v86, 1
	s_waitcnt lgkmcnt(0)
	v_add_nc_u32_e32 v3, v5, v3
	s_barrier
	v_cmp_gt_i32_e32 vcc_lo, 0, v6
	buffer_gl0_inv
	v_cndmask_b32_e32 v6, v6, v86, vcc_lo
	v_lshlrev_b32_e32 v94, 2, v6
	ds_bpermute_b32 v3, v94, v3
	s_and_saveexec_b32 s20, s8
	s_cbranch_execz .LBB120_416
; %bb.415:                              ;   in Loop: Header=BB120_20 Depth=1
	s_waitcnt lgkmcnt(0)
	v_cndmask_b32_e64 v3, v3, v5, s19
	v_add_nc_u32_e32 v3, s58, v3
	ds_write_b32 v43, v3
.LBB120_416:                            ;   in Loop: Header=BB120_20 Depth=1
	s_or_b32 exec_lo, exec_lo, s20
	s_load_dwordx2 s[20:21], s[56:57], 0x0
	v_and_b32_e32 v6, 7, v86
	v_lshlrev_b32_e32 v7, 3, v86
	v_or_b32_e32 v95, v86, v68
	v_add_co_u32 v96, vcc_lo, v80, v86
	v_add_co_ci_u32_e64 v97, null, 0, v81, vcc_lo
	v_add_co_u32 v98, vcc_lo, v78, v7
	v_add_co_ci_u32_e64 v99, null, 0, v79, vcc_lo
	v_add_nc_u32_e32 v100, 32, v95
	v_add_nc_u32_e32 v101, 64, v95
	;; [unrolled: 1-line block ×8, first 2 shown]
	s_waitcnt lgkmcnt(0)
	s_cmp_lt_u32 s7, s21
	v_add_nc_u32_e32 v108, 0x120, v95
	s_cselect_b32 s21, 14, 20
	v_add_nc_u32_e32 v109, 0x140, v95
	s_add_u32 s22, s56, s21
	s_addc_u32 s23, s57, 0
	s_cmp_lt_u32 s6, s20
	global_load_ushort v3, v4, s[22:23]
	s_cselect_b32 s20, 12, 18
	v_add_nc_u32_e32 v110, 0x160, v95
	s_add_u32 s20, s56, s20
	s_addc_u32 s21, s57, 0
	v_add_nc_u32_e32 v111, 0x180, v95
	global_load_ushort v5, v4, s[20:21]
	v_cmp_eq_u32_e64 s20, 0, v6
	v_cmp_lt_u32_e64 s21, 1, v6
	v_cmp_lt_u32_e64 s22, 3, v6
	v_add_nc_u32_e32 v112, 0x1a0, v95
	v_add_nc_u32_e32 v113, 0x1c0, v95
	;; [unrolled: 1-line block ×4, first 2 shown]
	v_mov_b32_e32 v129, 0
	s_mov_b32 s63, s60
	s_mov_b32 s50, s58
                                        ; implicit-def: $vgpr7_vgpr8
                                        ; implicit-def: $vgpr9_vgpr10
                                        ; implicit-def: $vgpr11_vgpr12
                                        ; implicit-def: $vgpr13_vgpr14
                                        ; implicit-def: $vgpr15_vgpr16
                                        ; implicit-def: $vgpr19_vgpr20
                                        ; implicit-def: $vgpr23_vgpr24
                                        ; implicit-def: $vgpr27_vgpr28
                                        ; implicit-def: $vgpr17_vgpr18
                                        ; implicit-def: $vgpr21_vgpr22
                                        ; implicit-def: $vgpr25_vgpr26
                                        ; implicit-def: $vgpr29_vgpr30
                                        ; implicit-def: $vgpr31_vgpr32
                                        ; implicit-def: $vgpr33_vgpr34
                                        ; implicit-def: $vgpr35_vgpr36
                                        ; implicit-def: $vgpr37_vgpr38
                                        ; implicit-def: $vgpr117
                                        ; implicit-def: $vgpr118
                                        ; implicit-def: $vgpr119
                                        ; implicit-def: $vgpr120
                                        ; implicit-def: $vgpr121
                                        ; implicit-def: $vgpr122
                                        ; implicit-def: $vgpr123
                                        ; implicit-def: $vgpr124
                                        ; implicit-def: $vgpr125
                                        ; implicit-def: $vgpr126
                                        ; implicit-def: $vgpr127
                                        ; implicit-def: $vgpr128
                                        ; implicit-def: $vgpr130
                                        ; implicit-def: $vgpr131
                                        ; implicit-def: $vgpr132
                                        ; implicit-def: $vgpr133
                                        ; implicit-def: $vgpr134
                                        ; implicit-def: $vgpr135
                                        ; implicit-def: $vgpr136
	s_waitcnt vmcnt(1)
	v_mad_u32_u24 v3, v2, v3, v1
	s_waitcnt vmcnt(0)
	v_mad_u64_u32 v[5:6], null, v3, v5, v[0:1]
	v_lshrrev_b32_e32 v3, 3, v5
                                        ; implicit-def: $vgpr5_vgpr6
	v_and_b32_e32 v116, 0x1ffffffc, v3
	s_branch .LBB120_418
.LBB120_417:                            ;   in Loop: Header=BB120_418 Depth=2
	s_or_b32 exec_lo, exec_lo, s23
	s_addk_i32 s63, 0xef00
	s_cmp_lt_u32 s64, s59
	s_mov_b32 s50, s64
	s_cbranch_scc0 .LBB120_640
.LBB120_418:                            ;   Parent Loop BB120_20 Depth=1
                                        ; =>  This Inner Loop Header: Depth=2
	s_add_i32 s64, s50, 0x1100
	s_cmp_gt_u32 s64, s59
	s_cbranch_scc1 .LBB120_420
; %bb.419:                              ;   in Loop: Header=BB120_418 Depth=2
	v_add_co_u32 v39, vcc_lo, v96, s50
	v_add_co_ci_u32_e64 v40, null, 0, v97, vcc_lo
	s_mov_b32 s23, -1
	s_clause 0xf
	global_load_ubyte v42, v[39:40], off offset:480
	global_load_ubyte v41, v[39:40], off offset:448
	;; [unrolled: 1-line block ×15, first 2 shown]
	global_load_ubyte v146, v[39:40], off
	s_movk_i32 s24, 0x1100
	s_cbranch_execz .LBB120_421
	s_branch .LBB120_440
.LBB120_420:                            ;   in Loop: Header=BB120_418 Depth=2
	s_mov_b32 s23, 0
                                        ; implicit-def: $vgpr146
                                        ; implicit-def: $vgpr151
                                        ; implicit-def: $vgpr147
                                        ; implicit-def: $vgpr148
                                        ; implicit-def: $vgpr150
                                        ; implicit-def: $vgpr143
                                        ; implicit-def: $vgpr144
                                        ; implicit-def: $vgpr145
                                        ; implicit-def: $vgpr142
                                        ; implicit-def: $vgpr139
                                        ; implicit-def: $vgpr140
                                        ; implicit-def: $vgpr141
                                        ; implicit-def: $vgpr137
                                        ; implicit-def: $vgpr3
                                        ; implicit-def: $vgpr41
                                        ; implicit-def: $vgpr42
                                        ; implicit-def: $vgpr129
	s_movk_i32 s24, 0x1100
.LBB120_421:                            ;   in Loop: Header=BB120_418 Depth=2
	v_add_co_u32 v39, vcc_lo, v96, s50
	v_add_co_ci_u32_e64 v40, null, 0, v97, vcc_lo
	s_waitcnt vmcnt(2)
	v_mov_b32_e32 v147, 0
	s_waitcnt vmcnt(0)
	v_mov_b32_e32 v146, 0
	v_mov_b32_e32 v148, 0
	;; [unrolled: 1-line block ×15, first 2 shown]
	s_mov_b32 s23, exec_lo
	v_cmpx_gt_u32_e64 s63, v95
	s_cbranch_execz .LBB120_423
; %bb.422:                              ;   in Loop: Header=BB120_418 Depth=2
	global_load_ubyte v146, v[39:40], off
	v_mov_b32_e32 v148, 0
	v_mov_b32_e32 v150, 0
	;; [unrolled: 1-line block ×14, first 2 shown]
.LBB120_423:                            ;   in Loop: Header=BB120_418 Depth=2
	s_or_b32 exec_lo, exec_lo, s23
	v_mov_b32_e32 v151, v147
	s_mov_b32 s23, exec_lo
	v_cmpx_gt_u32_e64 s63, v100
	s_cbranch_execnz .LBB120_626
; %bb.424:                              ;   in Loop: Header=BB120_418 Depth=2
	s_or_b32 exec_lo, exec_lo, s23
	s_mov_b32 s23, exec_lo
	v_cmpx_gt_u32_e64 s63, v101
	s_cbranch_execnz .LBB120_627
.LBB120_425:                            ;   in Loop: Header=BB120_418 Depth=2
	s_or_b32 exec_lo, exec_lo, s23
	s_mov_b32 s23, exec_lo
	v_cmpx_gt_u32_e64 s63, v102
	s_cbranch_execnz .LBB120_628
.LBB120_426:                            ;   in Loop: Header=BB120_418 Depth=2
	s_or_b32 exec_lo, exec_lo, s23
	s_mov_b32 s23, exec_lo
	v_cmpx_gt_u32_e64 s63, v103
	s_cbranch_execnz .LBB120_629
.LBB120_427:                            ;   in Loop: Header=BB120_418 Depth=2
	s_or_b32 exec_lo, exec_lo, s23
	s_mov_b32 s23, exec_lo
	v_cmpx_gt_u32_e64 s63, v104
	s_cbranch_execnz .LBB120_630
.LBB120_428:                            ;   in Loop: Header=BB120_418 Depth=2
	s_or_b32 exec_lo, exec_lo, s23
	s_mov_b32 s23, exec_lo
	v_cmpx_gt_u32_e64 s63, v105
	s_cbranch_execnz .LBB120_631
.LBB120_429:                            ;   in Loop: Header=BB120_418 Depth=2
	s_or_b32 exec_lo, exec_lo, s23
	s_mov_b32 s23, exec_lo
	v_cmpx_gt_u32_e64 s63, v106
	s_cbranch_execnz .LBB120_632
.LBB120_430:                            ;   in Loop: Header=BB120_418 Depth=2
	s_or_b32 exec_lo, exec_lo, s23
	s_mov_b32 s23, exec_lo
	v_cmpx_gt_u32_e64 s63, v107
	s_cbranch_execnz .LBB120_633
.LBB120_431:                            ;   in Loop: Header=BB120_418 Depth=2
	s_or_b32 exec_lo, exec_lo, s23
	s_mov_b32 s23, exec_lo
	v_cmpx_gt_u32_e64 s63, v108
	s_cbranch_execnz .LBB120_634
.LBB120_432:                            ;   in Loop: Header=BB120_418 Depth=2
	s_or_b32 exec_lo, exec_lo, s23
	s_mov_b32 s23, exec_lo
	v_cmpx_gt_u32_e64 s63, v109
	s_cbranch_execnz .LBB120_635
.LBB120_433:                            ;   in Loop: Header=BB120_418 Depth=2
	s_or_b32 exec_lo, exec_lo, s23
	s_mov_b32 s23, exec_lo
	v_cmpx_gt_u32_e64 s63, v110
	s_cbranch_execnz .LBB120_636
.LBB120_434:                            ;   in Loop: Header=BB120_418 Depth=2
	s_or_b32 exec_lo, exec_lo, s23
	s_mov_b32 s23, exec_lo
	v_cmpx_gt_u32_e64 s63, v111
	s_cbranch_execnz .LBB120_637
.LBB120_435:                            ;   in Loop: Header=BB120_418 Depth=2
	s_or_b32 exec_lo, exec_lo, s23
	s_mov_b32 s23, exec_lo
	v_cmpx_gt_u32_e64 s63, v112
	s_cbranch_execnz .LBB120_638
.LBB120_436:                            ;   in Loop: Header=BB120_418 Depth=2
	s_or_b32 exec_lo, exec_lo, s23
	s_mov_b32 s23, exec_lo
	v_cmpx_gt_u32_e64 s63, v113
	s_cbranch_execnz .LBB120_639
.LBB120_437:                            ;   in Loop: Header=BB120_418 Depth=2
	s_or_b32 exec_lo, exec_lo, s23
	s_mov_b32 s23, exec_lo
	v_cmpx_gt_u32_e64 s63, v114
	s_cbranch_execz .LBB120_439
.LBB120_438:                            ;   in Loop: Header=BB120_418 Depth=2
	global_load_ubyte v42, v[39:40], off offset:480
.LBB120_439:                            ;   in Loop: Header=BB120_418 Depth=2
	s_or_b32 exec_lo, exec_lo, s23
	v_cmp_gt_u32_e64 s23, s63, v115
	s_sub_i32 s24, s59, s50
.LBB120_440:                            ;   in Loop: Header=BB120_418 Depth=2
	v_mov_b32_e32 v138, s63
	s_and_saveexec_b32 s25, s23
	s_cbranch_execz .LBB120_442
; %bb.441:                              ;   in Loop: Header=BB120_418 Depth=2
	v_add_co_u32 v39, vcc_lo, v96, s50
	v_add_co_ci_u32_e64 v40, null, s51, v97, vcc_lo
	v_mov_b32_e32 v138, s24
	global_load_ubyte v129, v[39:40], off offset:512
.LBB120_442:                            ;   in Loop: Header=BB120_418 Depth=2
	s_or_b32 exec_lo, exec_lo, s25
	s_waitcnt vmcnt(0)
	v_xor_b32_e32 v39, -1, v146
	ds_write2_b32 v69, v4, v4 offset0:136 offset1:137
	ds_write2_b32 v69, v4, v4 offset0:138 offset1:139
	ds_write_b32 v69, v4 offset:560
	s_waitcnt lgkmcnt(0)
	s_barrier
	v_and_b32_sdwa v40, v92, v39 dst_sel:DWORD dst_unused:UNUSED_PAD src0_sel:DWORD src1_sel:BYTE_0
	buffer_gl0_inv
	; wave barrier
	v_lshrrev_b32_e32 v40, s61, v40
	v_and_b32_e32 v149, s62, v40
	v_and_b32_e32 v40, 1, v149
	v_lshlrev_b32_e32 v146, 30, v149
	v_lshlrev_b32_e32 v152, 29, v149
	v_lshlrev_b32_e32 v154, 28, v149
	v_lshlrev_b32_e32 v155, 27, v149
	v_add_co_u32 v40, s23, v40, -1
	v_cndmask_b32_e64 v153, 0, 1, s23
	v_not_b32_e32 v157, v146
	v_cmp_gt_i32_e64 s23, 0, v146
	v_not_b32_e32 v146, v152
	v_lshlrev_b32_e32 v156, 26, v149
	v_cmp_ne_u32_e32 vcc_lo, 0, v153
	v_ashrrev_i32_e32 v157, 31, v157
	v_lshlrev_b32_e32 v153, 25, v149
	v_ashrrev_i32_e32 v146, 31, v146
	v_mul_u32_u24_e32 v149, 36, v149
	v_xor_b32_e32 v40, vcc_lo, v40
	v_cmp_gt_i32_e32 vcc_lo, 0, v152
	v_not_b32_e32 v152, v154
	v_xor_b32_e32 v157, s23, v157
	v_cmp_gt_i32_e64 s23, 0, v154
	v_and_b32_e32 v40, exec_lo, v40
	v_not_b32_e32 v154, v155
	v_ashrrev_i32_e32 v152, 31, v152
	v_xor_b32_e32 v146, vcc_lo, v146
	v_cmp_gt_i32_e32 vcc_lo, 0, v155
	v_and_b32_e32 v40, v40, v157
	v_not_b32_e32 v155, v156
	v_ashrrev_i32_e32 v154, 31, v154
	v_xor_b32_e32 v152, s23, v152
	v_cmp_gt_i32_e64 s23, 0, v156
	v_and_b32_e32 v40, v40, v146
	v_not_b32_e32 v146, v153
	v_ashrrev_i32_e32 v155, 31, v155
	v_xor_b32_e32 v154, vcc_lo, v154
	v_cmp_gt_i32_e32 vcc_lo, 0, v153
	v_and_b32_e32 v40, v40, v152
	v_ashrrev_i32_e32 v146, 31, v146
	v_xor_b32_e32 v152, s23, v155
	v_add_nc_u32_e32 v149, v116, v149
	v_and_b32_e32 v40, v40, v154
	v_xor_b32_e32 v146, vcc_lo, v146
	v_and_b32_e32 v40, v40, v152
	v_and_b32_e32 v40, v40, v146
	v_mbcnt_lo_u32_b32 v146, v40, 0
	v_cmp_ne_u32_e64 s23, 0, v40
	v_cmp_eq_u32_e32 vcc_lo, 0, v146
	s_and_b32 s24, s23, vcc_lo
	s_and_saveexec_b32 s23, s24
; %bb.443:                              ;   in Loop: Header=BB120_418 Depth=2
	v_bcnt_u32_b32 v40, v40, 0
	ds_write_b32 v149, v40 offset:544
; %bb.444:                              ;   in Loop: Header=BB120_418 Depth=2
	s_or_b32 exec_lo, exec_lo, s23
	v_xor_b32_sdwa v40, v151, v93 dst_sel:BYTE_1 dst_unused:UNUSED_PAD src0_sel:DWORD src1_sel:DWORD
	v_xor_b32_e32 v151, -1, v147
	v_xor_b32_sdwa v148, v148, v93 dst_sel:BYTE_1 dst_unused:UNUSED_PAD src0_sel:DWORD src1_sel:DWORD
	; wave barrier
	v_or_b32_sdwa v147, v39, v40 dst_sel:DWORD dst_unused:UNUSED_PAD src0_sel:BYTE_0 src1_sel:DWORD
	v_or_b32_sdwa v39, v151, v148 dst_sel:WORD_1 dst_unused:UNUSED_PAD src0_sel:BYTE_0 src1_sel:DWORD
	v_or_b32_sdwa v148, v147, v39 dst_sel:DWORD dst_unused:UNUSED_PAD src0_sel:WORD_0 src1_sel:DWORD
	v_lshrrev_b32_sdwa v39, s61, v148 dst_sel:DWORD dst_unused:UNUSED_PAD src0_sel:DWORD src1_sel:BYTE_1
	v_and_b32_e32 v40, s62, v39
	v_and_b32_e32 v39, 1, v40
	v_lshlrev_b32_e32 v151, 30, v40
	v_lshlrev_b32_e32 v152, 29, v40
	;; [unrolled: 1-line block ×4, first 2 shown]
	v_add_co_u32 v39, s23, v39, -1
	v_cndmask_b32_e64 v153, 0, 1, s23
	v_not_b32_e32 v157, v151
	v_cmp_gt_i32_e64 s23, 0, v151
	v_not_b32_e32 v151, v152
	v_lshlrev_b32_e32 v156, 26, v40
	v_cmp_ne_u32_e32 vcc_lo, 0, v153
	v_ashrrev_i32_e32 v157, 31, v157
	v_lshlrev_b32_e32 v153, 25, v40
	v_ashrrev_i32_e32 v151, 31, v151
	v_xor_b32_e32 v39, vcc_lo, v39
	v_cmp_gt_i32_e32 vcc_lo, 0, v152
	v_not_b32_e32 v152, v154
	v_xor_b32_e32 v157, s23, v157
	v_cmp_gt_i32_e64 s23, 0, v154
	v_and_b32_e32 v39, exec_lo, v39
	v_not_b32_e32 v154, v155
	v_ashrrev_i32_e32 v152, 31, v152
	v_xor_b32_e32 v151, vcc_lo, v151
	v_cmp_gt_i32_e32 vcc_lo, 0, v155
	v_and_b32_e32 v39, v39, v157
	v_not_b32_e32 v155, v156
	v_ashrrev_i32_e32 v154, 31, v154
	v_xor_b32_e32 v152, s23, v152
	v_cmp_gt_i32_e64 s23, 0, v156
	v_and_b32_e32 v39, v39, v151
	v_not_b32_e32 v151, v153
	v_ashrrev_i32_e32 v155, 31, v155
	v_xor_b32_e32 v154, vcc_lo, v154
	v_cmp_gt_i32_e32 vcc_lo, 0, v153
	v_and_b32_e32 v39, v39, v152
	v_ashrrev_i32_e32 v151, 31, v151
	v_xor_b32_e32 v152, s23, v155
	v_mad_u32_u24 v153, v40, 36, v116
	v_mul_u32_u24_e32 v40, 36, v40
	v_and_b32_e32 v39, v39, v154
	v_xor_b32_e32 v154, vcc_lo, v151
	ds_read_b32 v151, v153 offset:544
	v_add_nc_u32_e32 v153, v116, v40
	v_and_b32_e32 v39, v39, v152
	; wave barrier
	v_and_b32_e32 v39, v39, v154
	v_mbcnt_lo_u32_b32 v152, v39, 0
	v_cmp_ne_u32_e64 s23, 0, v39
	v_cmp_eq_u32_e32 vcc_lo, 0, v152
	s_and_b32 s24, s23, vcc_lo
	s_and_saveexec_b32 s23, s24
	s_cbranch_execz .LBB120_446
; %bb.445:                              ;   in Loop: Header=BB120_418 Depth=2
	s_waitcnt lgkmcnt(0)
	v_bcnt_u32_b32 v39, v39, v151
	ds_write_b32 v153, v39 offset:544
.LBB120_446:                            ;   in Loop: Header=BB120_418 Depth=2
	s_or_b32 exec_lo, exec_lo, s23
	v_lshrrev_b32_sdwa v39, s61, v148 dst_sel:DWORD dst_unused:UNUSED_PAD src0_sel:DWORD src1_sel:BYTE_2
	; wave barrier
	v_and_b32_e32 v40, s62, v39
	v_and_b32_e32 v39, 1, v40
	v_lshlrev_b32_e32 v154, 30, v40
	v_lshlrev_b32_e32 v155, 29, v40
	;; [unrolled: 1-line block ×4, first 2 shown]
	v_add_co_u32 v39, s23, v39, -1
	v_cndmask_b32_e64 v156, 0, 1, s23
	v_not_b32_e32 v160, v154
	v_cmp_gt_i32_e64 s23, 0, v154
	v_not_b32_e32 v154, v155
	v_lshlrev_b32_e32 v159, 26, v40
	v_cmp_ne_u32_e32 vcc_lo, 0, v156
	v_ashrrev_i32_e32 v160, 31, v160
	v_lshlrev_b32_e32 v156, 25, v40
	v_ashrrev_i32_e32 v154, 31, v154
	v_xor_b32_e32 v39, vcc_lo, v39
	v_cmp_gt_i32_e32 vcc_lo, 0, v155
	v_not_b32_e32 v155, v157
	v_xor_b32_e32 v160, s23, v160
	v_cmp_gt_i32_e64 s23, 0, v157
	v_and_b32_e32 v39, exec_lo, v39
	v_not_b32_e32 v157, v158
	v_ashrrev_i32_e32 v155, 31, v155
	v_xor_b32_e32 v154, vcc_lo, v154
	v_cmp_gt_i32_e32 vcc_lo, 0, v158
	v_and_b32_e32 v39, v39, v160
	v_not_b32_e32 v158, v159
	v_ashrrev_i32_e32 v157, 31, v157
	v_xor_b32_e32 v155, s23, v155
	v_cmp_gt_i32_e64 s23, 0, v159
	v_and_b32_e32 v39, v39, v154
	v_not_b32_e32 v154, v156
	v_ashrrev_i32_e32 v158, 31, v158
	v_xor_b32_e32 v157, vcc_lo, v157
	v_cmp_gt_i32_e32 vcc_lo, 0, v156
	v_and_b32_e32 v39, v39, v155
	v_ashrrev_i32_e32 v154, 31, v154
	v_xor_b32_e32 v155, s23, v158
	v_mad_u32_u24 v156, v40, 36, v116
	v_mul_u32_u24_e32 v40, 36, v40
	v_and_b32_e32 v39, v39, v157
	v_xor_b32_e32 v157, vcc_lo, v154
	ds_read_b32 v154, v156 offset:544
	v_and_b32_e32 v39, v39, v155
	; wave barrier
	v_and_b32_e32 v39, v39, v157
	v_add_nc_u32_e32 v157, v116, v40
	v_mbcnt_lo_u32_b32 v155, v39, 0
	v_cmp_ne_u32_e64 s23, 0, v39
	v_cmp_eq_u32_e32 vcc_lo, 0, v155
	s_and_b32 s24, s23, vcc_lo
	s_and_saveexec_b32 s23, s24
	s_cbranch_execz .LBB120_448
; %bb.447:                              ;   in Loop: Header=BB120_418 Depth=2
	s_waitcnt lgkmcnt(0)
	v_bcnt_u32_b32 v39, v39, v154
	ds_write_b32 v157, v39 offset:544
.LBB120_448:                            ;   in Loop: Header=BB120_418 Depth=2
	s_or_b32 exec_lo, exec_lo, s23
	v_lshrrev_b32_e32 v156, 24, v148
	; wave barrier
	v_lshrrev_b32_e32 v39, s61, v156
	v_and_b32_e32 v40, s62, v39
	v_and_b32_e32 v39, 1, v40
	v_lshlrev_b32_e32 v158, 30, v40
	v_lshlrev_b32_e32 v159, 29, v40
	;; [unrolled: 1-line block ×4, first 2 shown]
	v_add_co_u32 v39, s23, v39, -1
	v_cndmask_b32_e64 v160, 0, 1, s23
	v_not_b32_e32 v164, v158
	v_cmp_gt_i32_e64 s23, 0, v158
	v_not_b32_e32 v158, v159
	v_lshlrev_b32_e32 v163, 26, v40
	v_cmp_ne_u32_e32 vcc_lo, 0, v160
	v_ashrrev_i32_e32 v164, 31, v164
	v_lshlrev_b32_e32 v160, 25, v40
	v_ashrrev_i32_e32 v158, 31, v158
	v_xor_b32_e32 v39, vcc_lo, v39
	v_cmp_gt_i32_e32 vcc_lo, 0, v159
	v_not_b32_e32 v159, v161
	v_xor_b32_e32 v164, s23, v164
	v_cmp_gt_i32_e64 s23, 0, v161
	v_and_b32_e32 v39, exec_lo, v39
	v_not_b32_e32 v161, v162
	v_ashrrev_i32_e32 v159, 31, v159
	v_xor_b32_e32 v158, vcc_lo, v158
	v_cmp_gt_i32_e32 vcc_lo, 0, v162
	v_and_b32_e32 v39, v39, v164
	v_not_b32_e32 v162, v163
	v_ashrrev_i32_e32 v161, 31, v161
	v_xor_b32_e32 v159, s23, v159
	v_cmp_gt_i32_e64 s23, 0, v163
	v_and_b32_e32 v39, v39, v158
	v_not_b32_e32 v158, v160
	v_ashrrev_i32_e32 v162, 31, v162
	v_xor_b32_e32 v161, vcc_lo, v161
	v_cmp_gt_i32_e32 vcc_lo, 0, v160
	v_and_b32_e32 v39, v39, v159
	v_ashrrev_i32_e32 v158, 31, v158
	v_xor_b32_e32 v159, s23, v162
	v_mad_u32_u24 v160, v40, 36, v116
	v_mul_u32_u24_e32 v40, 36, v40
	v_and_b32_e32 v39, v39, v161
	v_xor_b32_e32 v161, vcc_lo, v158
	ds_read_b32 v158, v160 offset:544
	v_add_nc_u32_e32 v160, v116, v40
	v_and_b32_e32 v39, v39, v159
	; wave barrier
	v_and_b32_e32 v39, v39, v161
	v_mbcnt_lo_u32_b32 v159, v39, 0
	v_cmp_ne_u32_e64 s23, 0, v39
	v_cmp_eq_u32_e32 vcc_lo, 0, v159
	s_and_b32 s24, s23, vcc_lo
	s_and_saveexec_b32 s23, s24
	s_cbranch_execz .LBB120_450
; %bb.449:                              ;   in Loop: Header=BB120_418 Depth=2
	s_waitcnt lgkmcnt(0)
	v_bcnt_u32_b32 v39, v39, v158
	ds_write_b32 v160, v39 offset:544
.LBB120_450:                            ;   in Loop: Header=BB120_418 Depth=2
	s_or_b32 exec_lo, exec_lo, s23
	v_xor_b32_e32 v39, -1, v150
	; wave barrier
	v_and_b32_sdwa v40, v92, v39 dst_sel:DWORD dst_unused:UNUSED_PAD src0_sel:DWORD src1_sel:BYTE_0
	v_lshrrev_b32_e32 v40, s61, v40
	v_and_b32_e32 v162, s62, v40
	v_and_b32_e32 v40, 1, v162
	v_lshlrev_b32_e32 v150, 30, v162
	v_lshlrev_b32_e32 v161, 29, v162
	;; [unrolled: 1-line block ×4, first 2 shown]
	v_add_co_u32 v40, s23, v40, -1
	v_cndmask_b32_e64 v163, 0, 1, s23
	v_not_b32_e32 v167, v150
	v_cmp_gt_i32_e64 s23, 0, v150
	v_not_b32_e32 v150, v161
	v_lshlrev_b32_e32 v166, 26, v162
	v_cmp_ne_u32_e32 vcc_lo, 0, v163
	v_ashrrev_i32_e32 v167, 31, v167
	v_lshlrev_b32_e32 v163, 25, v162
	v_ashrrev_i32_e32 v150, 31, v150
	v_xor_b32_e32 v40, vcc_lo, v40
	v_cmp_gt_i32_e32 vcc_lo, 0, v161
	v_not_b32_e32 v161, v164
	v_xor_b32_e32 v167, s23, v167
	v_cmp_gt_i32_e64 s23, 0, v164
	v_and_b32_e32 v40, exec_lo, v40
	v_not_b32_e32 v164, v165
	v_ashrrev_i32_e32 v161, 31, v161
	v_xor_b32_e32 v150, vcc_lo, v150
	v_cmp_gt_i32_e32 vcc_lo, 0, v165
	v_and_b32_e32 v40, v40, v167
	v_not_b32_e32 v165, v166
	v_ashrrev_i32_e32 v164, 31, v164
	v_xor_b32_e32 v161, s23, v161
	v_cmp_gt_i32_e64 s23, 0, v166
	v_and_b32_e32 v40, v40, v150
	v_not_b32_e32 v150, v163
	v_ashrrev_i32_e32 v165, 31, v165
	v_xor_b32_e32 v164, vcc_lo, v164
	v_cmp_gt_i32_e32 vcc_lo, 0, v163
	v_and_b32_e32 v40, v40, v161
	v_ashrrev_i32_e32 v150, 31, v150
	v_xor_b32_e32 v161, s23, v165
	v_mad_u32_u24 v163, v162, 36, v116
	v_mul_u32_u24_e32 v162, 36, v162
	v_and_b32_e32 v40, v40, v164
	v_xor_b32_e32 v164, vcc_lo, v150
	ds_read_b32 v150, v163 offset:544
	v_add_nc_u32_e32 v162, v116, v162
	v_and_b32_e32 v40, v40, v161
	; wave barrier
	v_and_b32_e32 v40, v40, v164
	v_mbcnt_lo_u32_b32 v161, v40, 0
	v_cmp_ne_u32_e64 s23, 0, v40
	v_cmp_eq_u32_e32 vcc_lo, 0, v161
	s_and_b32 s24, s23, vcc_lo
	s_and_saveexec_b32 s23, s24
	s_cbranch_execz .LBB120_452
; %bb.451:                              ;   in Loop: Header=BB120_418 Depth=2
	s_waitcnt lgkmcnt(0)
	v_bcnt_u32_b32 v40, v40, v150
	ds_write_b32 v162, v40 offset:544
.LBB120_452:                            ;   in Loop: Header=BB120_418 Depth=2
	s_or_b32 exec_lo, exec_lo, s23
	v_xor_b32_sdwa v40, v143, v93 dst_sel:BYTE_1 dst_unused:UNUSED_PAD src0_sel:DWORD src1_sel:DWORD
	v_xor_b32_e32 v144, -1, v144
	v_xor_b32_sdwa v145, v145, v93 dst_sel:BYTE_1 dst_unused:UNUSED_PAD src0_sel:DWORD src1_sel:DWORD
	; wave barrier
	v_or_b32_sdwa v143, v39, v40 dst_sel:DWORD dst_unused:UNUSED_PAD src0_sel:BYTE_0 src1_sel:DWORD
	v_or_b32_sdwa v39, v144, v145 dst_sel:WORD_1 dst_unused:UNUSED_PAD src0_sel:BYTE_0 src1_sel:DWORD
	v_or_b32_sdwa v144, v143, v39 dst_sel:DWORD dst_unused:UNUSED_PAD src0_sel:WORD_0 src1_sel:DWORD
	v_lshrrev_b32_sdwa v39, s61, v144 dst_sel:DWORD dst_unused:UNUSED_PAD src0_sel:DWORD src1_sel:BYTE_1
	v_and_b32_e32 v40, s62, v39
	v_and_b32_e32 v39, 1, v40
	v_lshlrev_b32_e32 v145, 30, v40
	v_lshlrev_b32_e32 v163, 29, v40
	;; [unrolled: 1-line block ×4, first 2 shown]
	v_add_co_u32 v39, s23, v39, -1
	v_cndmask_b32_e64 v164, 0, 1, s23
	v_not_b32_e32 v168, v145
	v_cmp_gt_i32_e64 s23, 0, v145
	v_not_b32_e32 v145, v163
	v_lshlrev_b32_e32 v167, 26, v40
	v_cmp_ne_u32_e32 vcc_lo, 0, v164
	v_ashrrev_i32_e32 v168, 31, v168
	v_lshlrev_b32_e32 v164, 25, v40
	v_ashrrev_i32_e32 v145, 31, v145
	v_xor_b32_e32 v39, vcc_lo, v39
	v_cmp_gt_i32_e32 vcc_lo, 0, v163
	v_not_b32_e32 v163, v165
	v_xor_b32_e32 v168, s23, v168
	v_cmp_gt_i32_e64 s23, 0, v165
	v_and_b32_e32 v39, exec_lo, v39
	v_not_b32_e32 v165, v166
	v_ashrrev_i32_e32 v163, 31, v163
	v_xor_b32_e32 v145, vcc_lo, v145
	v_cmp_gt_i32_e32 vcc_lo, 0, v166
	v_and_b32_e32 v39, v39, v168
	v_not_b32_e32 v166, v167
	v_ashrrev_i32_e32 v165, 31, v165
	v_xor_b32_e32 v163, s23, v163
	v_cmp_gt_i32_e64 s23, 0, v167
	v_and_b32_e32 v39, v39, v145
	v_not_b32_e32 v145, v164
	v_ashrrev_i32_e32 v166, 31, v166
	v_xor_b32_e32 v165, vcc_lo, v165
	v_cmp_gt_i32_e32 vcc_lo, 0, v164
	v_and_b32_e32 v39, v39, v163
	v_ashrrev_i32_e32 v145, 31, v145
	v_xor_b32_e32 v163, s23, v166
	v_mad_u32_u24 v164, v40, 36, v116
	v_mul_u32_u24_e32 v40, 36, v40
	v_and_b32_e32 v39, v39, v165
	v_xor_b32_e32 v165, vcc_lo, v145
	ds_read_b32 v145, v164 offset:544
	v_add_nc_u32_e32 v164, v116, v40
	v_and_b32_e32 v39, v39, v163
	; wave barrier
	v_and_b32_e32 v39, v39, v165
	v_mbcnt_lo_u32_b32 v163, v39, 0
	v_cmp_ne_u32_e64 s23, 0, v39
	v_cmp_eq_u32_e32 vcc_lo, 0, v163
	s_and_b32 s24, s23, vcc_lo
	s_and_saveexec_b32 s23, s24
	s_cbranch_execz .LBB120_454
; %bb.453:                              ;   in Loop: Header=BB120_418 Depth=2
	s_waitcnt lgkmcnt(0)
	v_bcnt_u32_b32 v39, v39, v145
	ds_write_b32 v164, v39 offset:544
.LBB120_454:                            ;   in Loop: Header=BB120_418 Depth=2
	s_or_b32 exec_lo, exec_lo, s23
	v_lshrrev_b32_sdwa v39, s61, v144 dst_sel:DWORD dst_unused:UNUSED_PAD src0_sel:DWORD src1_sel:BYTE_2
	; wave barrier
	v_and_b32_e32 v40, s62, v39
	v_and_b32_e32 v39, 1, v40
	v_lshlrev_b32_e32 v165, 30, v40
	v_lshlrev_b32_e32 v166, 29, v40
	;; [unrolled: 1-line block ×4, first 2 shown]
	v_add_co_u32 v39, s23, v39, -1
	v_cndmask_b32_e64 v167, 0, 1, s23
	v_not_b32_e32 v171, v165
	v_cmp_gt_i32_e64 s23, 0, v165
	v_not_b32_e32 v165, v166
	v_lshlrev_b32_e32 v170, 26, v40
	v_cmp_ne_u32_e32 vcc_lo, 0, v167
	v_ashrrev_i32_e32 v171, 31, v171
	v_lshlrev_b32_e32 v167, 25, v40
	v_ashrrev_i32_e32 v165, 31, v165
	v_xor_b32_e32 v39, vcc_lo, v39
	v_cmp_gt_i32_e32 vcc_lo, 0, v166
	v_not_b32_e32 v166, v168
	v_xor_b32_e32 v171, s23, v171
	v_cmp_gt_i32_e64 s23, 0, v168
	v_and_b32_e32 v39, exec_lo, v39
	v_not_b32_e32 v168, v169
	v_ashrrev_i32_e32 v166, 31, v166
	v_xor_b32_e32 v165, vcc_lo, v165
	v_cmp_gt_i32_e32 vcc_lo, 0, v169
	v_and_b32_e32 v39, v39, v171
	v_not_b32_e32 v169, v170
	v_ashrrev_i32_e32 v168, 31, v168
	v_xor_b32_e32 v166, s23, v166
	v_cmp_gt_i32_e64 s23, 0, v170
	v_and_b32_e32 v39, v39, v165
	v_not_b32_e32 v165, v167
	v_ashrrev_i32_e32 v169, 31, v169
	v_xor_b32_e32 v168, vcc_lo, v168
	v_cmp_gt_i32_e32 vcc_lo, 0, v167
	v_and_b32_e32 v39, v39, v166
	v_ashrrev_i32_e32 v165, 31, v165
	v_xor_b32_e32 v166, s23, v169
	v_mad_u32_u24 v167, v40, 36, v116
	v_mul_u32_u24_e32 v40, 36, v40
	v_and_b32_e32 v39, v39, v168
	v_xor_b32_e32 v168, vcc_lo, v165
	ds_read_b32 v165, v167 offset:544
	v_and_b32_e32 v39, v39, v166
	; wave barrier
	v_and_b32_e32 v39, v39, v168
	v_add_nc_u32_e32 v168, v116, v40
	v_mbcnt_lo_u32_b32 v166, v39, 0
	v_cmp_ne_u32_e64 s23, 0, v39
	v_cmp_eq_u32_e32 vcc_lo, 0, v166
	s_and_b32 s24, s23, vcc_lo
	s_and_saveexec_b32 s23, s24
	s_cbranch_execz .LBB120_456
; %bb.455:                              ;   in Loop: Header=BB120_418 Depth=2
	s_waitcnt lgkmcnt(0)
	v_bcnt_u32_b32 v39, v39, v165
	ds_write_b32 v168, v39 offset:544
.LBB120_456:                            ;   in Loop: Header=BB120_418 Depth=2
	s_or_b32 exec_lo, exec_lo, s23
	v_lshrrev_b32_e32 v167, 24, v144
	; wave barrier
	v_lshrrev_b32_e32 v39, s61, v167
	v_and_b32_e32 v40, s62, v39
	v_and_b32_e32 v39, 1, v40
	v_lshlrev_b32_e32 v169, 30, v40
	v_lshlrev_b32_e32 v170, 29, v40
	;; [unrolled: 1-line block ×4, first 2 shown]
	v_add_co_u32 v39, s23, v39, -1
	v_cndmask_b32_e64 v171, 0, 1, s23
	v_not_b32_e32 v175, v169
	v_cmp_gt_i32_e64 s23, 0, v169
	v_not_b32_e32 v169, v170
	v_lshlrev_b32_e32 v174, 26, v40
	v_cmp_ne_u32_e32 vcc_lo, 0, v171
	v_ashrrev_i32_e32 v175, 31, v175
	v_lshlrev_b32_e32 v171, 25, v40
	v_ashrrev_i32_e32 v169, 31, v169
	v_xor_b32_e32 v39, vcc_lo, v39
	v_cmp_gt_i32_e32 vcc_lo, 0, v170
	v_not_b32_e32 v170, v172
	v_xor_b32_e32 v175, s23, v175
	v_cmp_gt_i32_e64 s23, 0, v172
	v_and_b32_e32 v39, exec_lo, v39
	v_not_b32_e32 v172, v173
	v_ashrrev_i32_e32 v170, 31, v170
	v_xor_b32_e32 v169, vcc_lo, v169
	v_cmp_gt_i32_e32 vcc_lo, 0, v173
	v_and_b32_e32 v39, v39, v175
	v_not_b32_e32 v173, v174
	v_ashrrev_i32_e32 v172, 31, v172
	v_xor_b32_e32 v170, s23, v170
	v_cmp_gt_i32_e64 s23, 0, v174
	v_and_b32_e32 v39, v39, v169
	v_not_b32_e32 v169, v171
	v_ashrrev_i32_e32 v173, 31, v173
	v_xor_b32_e32 v172, vcc_lo, v172
	v_cmp_gt_i32_e32 vcc_lo, 0, v171
	v_and_b32_e32 v39, v39, v170
	v_ashrrev_i32_e32 v169, 31, v169
	v_xor_b32_e32 v170, s23, v173
	v_mad_u32_u24 v171, v40, 36, v116
	v_mul_u32_u24_e32 v40, 36, v40
	v_and_b32_e32 v39, v39, v172
	v_xor_b32_e32 v172, vcc_lo, v169
	ds_read_b32 v169, v171 offset:544
	v_add_nc_u32_e32 v171, v116, v40
	v_and_b32_e32 v39, v39, v170
	; wave barrier
	v_and_b32_e32 v39, v39, v172
	v_mbcnt_lo_u32_b32 v170, v39, 0
	v_cmp_ne_u32_e64 s23, 0, v39
	v_cmp_eq_u32_e32 vcc_lo, 0, v170
	s_and_b32 s24, s23, vcc_lo
	s_and_saveexec_b32 s23, s24
	s_cbranch_execz .LBB120_458
; %bb.457:                              ;   in Loop: Header=BB120_418 Depth=2
	s_waitcnt lgkmcnt(0)
	v_bcnt_u32_b32 v39, v39, v169
	ds_write_b32 v171, v39 offset:544
.LBB120_458:                            ;   in Loop: Header=BB120_418 Depth=2
	s_or_b32 exec_lo, exec_lo, s23
	v_xor_b32_e32 v39, -1, v142
	; wave barrier
	v_and_b32_sdwa v40, v92, v39 dst_sel:DWORD dst_unused:UNUSED_PAD src0_sel:DWORD src1_sel:BYTE_0
	v_lshrrev_b32_e32 v40, s61, v40
	v_and_b32_e32 v173, s62, v40
	v_and_b32_e32 v40, 1, v173
	v_lshlrev_b32_e32 v142, 30, v173
	v_lshlrev_b32_e32 v172, 29, v173
	;; [unrolled: 1-line block ×4, first 2 shown]
	v_add_co_u32 v40, s23, v40, -1
	v_cndmask_b32_e64 v174, 0, 1, s23
	v_not_b32_e32 v178, v142
	v_cmp_gt_i32_e64 s23, 0, v142
	v_not_b32_e32 v142, v172
	v_lshlrev_b32_e32 v177, 26, v173
	v_cmp_ne_u32_e32 vcc_lo, 0, v174
	v_ashrrev_i32_e32 v178, 31, v178
	v_lshlrev_b32_e32 v174, 25, v173
	v_ashrrev_i32_e32 v142, 31, v142
	v_xor_b32_e32 v40, vcc_lo, v40
	v_cmp_gt_i32_e32 vcc_lo, 0, v172
	v_not_b32_e32 v172, v175
	v_xor_b32_e32 v178, s23, v178
	v_cmp_gt_i32_e64 s23, 0, v175
	v_and_b32_e32 v40, exec_lo, v40
	v_not_b32_e32 v175, v176
	v_ashrrev_i32_e32 v172, 31, v172
	v_xor_b32_e32 v142, vcc_lo, v142
	v_cmp_gt_i32_e32 vcc_lo, 0, v176
	v_and_b32_e32 v40, v40, v178
	v_not_b32_e32 v176, v177
	v_ashrrev_i32_e32 v175, 31, v175
	v_xor_b32_e32 v172, s23, v172
	v_cmp_gt_i32_e64 s23, 0, v177
	v_and_b32_e32 v40, v40, v142
	v_not_b32_e32 v142, v174
	v_ashrrev_i32_e32 v176, 31, v176
	v_xor_b32_e32 v175, vcc_lo, v175
	v_cmp_gt_i32_e32 vcc_lo, 0, v174
	v_and_b32_e32 v40, v40, v172
	v_ashrrev_i32_e32 v142, 31, v142
	v_xor_b32_e32 v172, s23, v176
	v_mad_u32_u24 v174, v173, 36, v116
	v_mul_u32_u24_e32 v173, 36, v173
	v_and_b32_e32 v40, v40, v175
	v_xor_b32_e32 v175, vcc_lo, v142
	ds_read_b32 v142, v174 offset:544
	v_add_nc_u32_e32 v173, v116, v173
	v_and_b32_e32 v40, v40, v172
	; wave barrier
	v_and_b32_e32 v40, v40, v175
	v_mbcnt_lo_u32_b32 v172, v40, 0
	v_cmp_ne_u32_e64 s23, 0, v40
	v_cmp_eq_u32_e32 vcc_lo, 0, v172
	s_and_b32 s24, s23, vcc_lo
	s_and_saveexec_b32 s23, s24
	s_cbranch_execz .LBB120_460
; %bb.459:                              ;   in Loop: Header=BB120_418 Depth=2
	s_waitcnt lgkmcnt(0)
	v_bcnt_u32_b32 v40, v40, v142
	ds_write_b32 v173, v40 offset:544
.LBB120_460:                            ;   in Loop: Header=BB120_418 Depth=2
	s_or_b32 exec_lo, exec_lo, s23
	v_xor_b32_sdwa v40, v139, v93 dst_sel:BYTE_1 dst_unused:UNUSED_PAD src0_sel:DWORD src1_sel:DWORD
	v_xor_b32_e32 v140, -1, v140
	v_xor_b32_sdwa v141, v141, v93 dst_sel:BYTE_1 dst_unused:UNUSED_PAD src0_sel:DWORD src1_sel:DWORD
	; wave barrier
	v_or_b32_sdwa v139, v39, v40 dst_sel:DWORD dst_unused:UNUSED_PAD src0_sel:BYTE_0 src1_sel:DWORD
	v_or_b32_sdwa v39, v140, v141 dst_sel:WORD_1 dst_unused:UNUSED_PAD src0_sel:BYTE_0 src1_sel:DWORD
	v_or_b32_sdwa v140, v139, v39 dst_sel:DWORD dst_unused:UNUSED_PAD src0_sel:WORD_0 src1_sel:DWORD
	v_lshrrev_b32_sdwa v39, s61, v140 dst_sel:DWORD dst_unused:UNUSED_PAD src0_sel:DWORD src1_sel:BYTE_1
	v_and_b32_e32 v40, s62, v39
	v_and_b32_e32 v39, 1, v40
	v_lshlrev_b32_e32 v141, 30, v40
	v_lshlrev_b32_e32 v174, 29, v40
	;; [unrolled: 1-line block ×4, first 2 shown]
	v_add_co_u32 v39, s23, v39, -1
	v_cndmask_b32_e64 v175, 0, 1, s23
	v_not_b32_e32 v179, v141
	v_cmp_gt_i32_e64 s23, 0, v141
	v_not_b32_e32 v141, v174
	v_lshlrev_b32_e32 v178, 26, v40
	v_cmp_ne_u32_e32 vcc_lo, 0, v175
	v_ashrrev_i32_e32 v179, 31, v179
	v_lshlrev_b32_e32 v175, 25, v40
	v_ashrrev_i32_e32 v141, 31, v141
	v_xor_b32_e32 v39, vcc_lo, v39
	v_cmp_gt_i32_e32 vcc_lo, 0, v174
	v_not_b32_e32 v174, v176
	v_xor_b32_e32 v179, s23, v179
	v_cmp_gt_i32_e64 s23, 0, v176
	v_and_b32_e32 v39, exec_lo, v39
	v_not_b32_e32 v176, v177
	v_ashrrev_i32_e32 v174, 31, v174
	v_xor_b32_e32 v141, vcc_lo, v141
	v_cmp_gt_i32_e32 vcc_lo, 0, v177
	v_and_b32_e32 v39, v39, v179
	v_not_b32_e32 v177, v178
	v_ashrrev_i32_e32 v176, 31, v176
	v_xor_b32_e32 v174, s23, v174
	v_cmp_gt_i32_e64 s23, 0, v178
	v_and_b32_e32 v39, v39, v141
	v_not_b32_e32 v141, v175
	v_ashrrev_i32_e32 v177, 31, v177
	v_xor_b32_e32 v176, vcc_lo, v176
	v_cmp_gt_i32_e32 vcc_lo, 0, v175
	v_and_b32_e32 v39, v39, v174
	v_ashrrev_i32_e32 v141, 31, v141
	v_xor_b32_e32 v174, s23, v177
	v_mad_u32_u24 v175, v40, 36, v116
	v_mul_u32_u24_e32 v40, 36, v40
	v_and_b32_e32 v39, v39, v176
	v_xor_b32_e32 v176, vcc_lo, v141
	ds_read_b32 v141, v175 offset:544
	v_add_nc_u32_e32 v175, v116, v40
	v_and_b32_e32 v39, v39, v174
	; wave barrier
	v_and_b32_e32 v39, v39, v176
	v_mbcnt_lo_u32_b32 v174, v39, 0
	v_cmp_ne_u32_e64 s23, 0, v39
	v_cmp_eq_u32_e32 vcc_lo, 0, v174
	s_and_b32 s24, s23, vcc_lo
	s_and_saveexec_b32 s23, s24
	s_cbranch_execz .LBB120_462
; %bb.461:                              ;   in Loop: Header=BB120_418 Depth=2
	s_waitcnt lgkmcnt(0)
	v_bcnt_u32_b32 v39, v39, v141
	ds_write_b32 v175, v39 offset:544
.LBB120_462:                            ;   in Loop: Header=BB120_418 Depth=2
	s_or_b32 exec_lo, exec_lo, s23
	v_lshrrev_b32_sdwa v39, s61, v140 dst_sel:DWORD dst_unused:UNUSED_PAD src0_sel:DWORD src1_sel:BYTE_2
	; wave barrier
	v_and_b32_e32 v40, s62, v39
	v_and_b32_e32 v39, 1, v40
	v_lshlrev_b32_e32 v176, 30, v40
	v_lshlrev_b32_e32 v177, 29, v40
	;; [unrolled: 1-line block ×4, first 2 shown]
	v_add_co_u32 v39, s23, v39, -1
	v_cndmask_b32_e64 v178, 0, 1, s23
	v_not_b32_e32 v182, v176
	v_cmp_gt_i32_e64 s23, 0, v176
	v_not_b32_e32 v176, v177
	v_lshlrev_b32_e32 v181, 26, v40
	v_cmp_ne_u32_e32 vcc_lo, 0, v178
	v_ashrrev_i32_e32 v182, 31, v182
	v_lshlrev_b32_e32 v178, 25, v40
	v_ashrrev_i32_e32 v176, 31, v176
	v_xor_b32_e32 v39, vcc_lo, v39
	v_cmp_gt_i32_e32 vcc_lo, 0, v177
	v_not_b32_e32 v177, v179
	v_xor_b32_e32 v182, s23, v182
	v_cmp_gt_i32_e64 s23, 0, v179
	v_and_b32_e32 v39, exec_lo, v39
	v_not_b32_e32 v179, v180
	v_ashrrev_i32_e32 v177, 31, v177
	v_xor_b32_e32 v176, vcc_lo, v176
	v_cmp_gt_i32_e32 vcc_lo, 0, v180
	v_and_b32_e32 v39, v39, v182
	v_not_b32_e32 v180, v181
	v_ashrrev_i32_e32 v179, 31, v179
	v_xor_b32_e32 v177, s23, v177
	v_cmp_gt_i32_e64 s23, 0, v181
	v_and_b32_e32 v39, v39, v176
	v_not_b32_e32 v176, v178
	v_ashrrev_i32_e32 v180, 31, v180
	v_xor_b32_e32 v179, vcc_lo, v179
	v_cmp_gt_i32_e32 vcc_lo, 0, v178
	v_and_b32_e32 v39, v39, v177
	v_ashrrev_i32_e32 v176, 31, v176
	v_xor_b32_e32 v177, s23, v180
	v_mad_u32_u24 v178, v40, 36, v116
	v_mul_u32_u24_e32 v40, 36, v40
	v_and_b32_e32 v39, v39, v179
	v_xor_b32_e32 v179, vcc_lo, v176
	ds_read_b32 v176, v178 offset:544
	v_and_b32_e32 v39, v39, v177
	; wave barrier
	v_and_b32_e32 v39, v39, v179
	v_add_nc_u32_e32 v179, v116, v40
	v_mbcnt_lo_u32_b32 v177, v39, 0
	v_cmp_ne_u32_e64 s23, 0, v39
	v_cmp_eq_u32_e32 vcc_lo, 0, v177
	s_and_b32 s24, s23, vcc_lo
	s_and_saveexec_b32 s23, s24
	s_cbranch_execz .LBB120_464
; %bb.463:                              ;   in Loop: Header=BB120_418 Depth=2
	s_waitcnt lgkmcnt(0)
	v_bcnt_u32_b32 v39, v39, v176
	ds_write_b32 v179, v39 offset:544
.LBB120_464:                            ;   in Loop: Header=BB120_418 Depth=2
	s_or_b32 exec_lo, exec_lo, s23
	v_lshrrev_b32_e32 v178, 24, v140
	; wave barrier
	v_lshrrev_b32_e32 v39, s61, v178
	v_and_b32_e32 v40, s62, v39
	v_and_b32_e32 v39, 1, v40
	v_lshlrev_b32_e32 v180, 30, v40
	v_lshlrev_b32_e32 v181, 29, v40
	;; [unrolled: 1-line block ×4, first 2 shown]
	v_add_co_u32 v39, s23, v39, -1
	v_cndmask_b32_e64 v182, 0, 1, s23
	v_not_b32_e32 v186, v180
	v_cmp_gt_i32_e64 s23, 0, v180
	v_not_b32_e32 v180, v181
	v_lshlrev_b32_e32 v185, 26, v40
	v_cmp_ne_u32_e32 vcc_lo, 0, v182
	v_ashrrev_i32_e32 v186, 31, v186
	v_lshlrev_b32_e32 v182, 25, v40
	v_ashrrev_i32_e32 v180, 31, v180
	v_xor_b32_e32 v39, vcc_lo, v39
	v_cmp_gt_i32_e32 vcc_lo, 0, v181
	v_not_b32_e32 v181, v183
	v_xor_b32_e32 v186, s23, v186
	v_cmp_gt_i32_e64 s23, 0, v183
	v_and_b32_e32 v39, exec_lo, v39
	v_not_b32_e32 v183, v184
	v_ashrrev_i32_e32 v181, 31, v181
	v_xor_b32_e32 v180, vcc_lo, v180
	v_cmp_gt_i32_e32 vcc_lo, 0, v184
	v_and_b32_e32 v39, v39, v186
	v_not_b32_e32 v184, v185
	v_ashrrev_i32_e32 v183, 31, v183
	v_xor_b32_e32 v181, s23, v181
	v_cmp_gt_i32_e64 s23, 0, v185
	v_and_b32_e32 v39, v39, v180
	v_not_b32_e32 v180, v182
	v_ashrrev_i32_e32 v184, 31, v184
	v_xor_b32_e32 v183, vcc_lo, v183
	v_cmp_gt_i32_e32 vcc_lo, 0, v182
	v_and_b32_e32 v39, v39, v181
	v_ashrrev_i32_e32 v180, 31, v180
	v_xor_b32_e32 v181, s23, v184
	v_mad_u32_u24 v182, v40, 36, v116
	v_mul_u32_u24_e32 v40, 36, v40
	v_and_b32_e32 v39, v39, v183
	v_xor_b32_e32 v183, vcc_lo, v180
	ds_read_b32 v180, v182 offset:544
	v_add_nc_u32_e32 v182, v116, v40
	v_and_b32_e32 v39, v39, v181
	; wave barrier
	v_and_b32_e32 v39, v39, v183
	v_mbcnt_lo_u32_b32 v181, v39, 0
	v_cmp_ne_u32_e64 s23, 0, v39
	v_cmp_eq_u32_e32 vcc_lo, 0, v181
	s_and_b32 s24, s23, vcc_lo
	s_and_saveexec_b32 s23, s24
	s_cbranch_execz .LBB120_466
; %bb.465:                              ;   in Loop: Header=BB120_418 Depth=2
	s_waitcnt lgkmcnt(0)
	v_bcnt_u32_b32 v39, v39, v180
	ds_write_b32 v182, v39 offset:544
.LBB120_466:                            ;   in Loop: Header=BB120_418 Depth=2
	s_or_b32 exec_lo, exec_lo, s23
	v_xor_b32_e32 v39, -1, v137
	; wave barrier
	v_and_b32_sdwa v40, v92, v39 dst_sel:DWORD dst_unused:UNUSED_PAD src0_sel:DWORD src1_sel:BYTE_0
	v_lshrrev_b32_e32 v40, s61, v40
	v_and_b32_e32 v184, s62, v40
	v_and_b32_e32 v40, 1, v184
	v_lshlrev_b32_e32 v137, 30, v184
	v_lshlrev_b32_e32 v183, 29, v184
	;; [unrolled: 1-line block ×4, first 2 shown]
	v_add_co_u32 v40, s23, v40, -1
	v_cndmask_b32_e64 v185, 0, 1, s23
	v_not_b32_e32 v189, v137
	v_cmp_gt_i32_e64 s23, 0, v137
	v_not_b32_e32 v137, v183
	v_lshlrev_b32_e32 v188, 26, v184
	v_cmp_ne_u32_e32 vcc_lo, 0, v185
	v_ashrrev_i32_e32 v189, 31, v189
	v_lshlrev_b32_e32 v185, 25, v184
	v_ashrrev_i32_e32 v137, 31, v137
	v_xor_b32_e32 v40, vcc_lo, v40
	v_cmp_gt_i32_e32 vcc_lo, 0, v183
	v_not_b32_e32 v183, v186
	v_xor_b32_e32 v189, s23, v189
	v_cmp_gt_i32_e64 s23, 0, v186
	v_and_b32_e32 v40, exec_lo, v40
	v_not_b32_e32 v186, v187
	v_ashrrev_i32_e32 v183, 31, v183
	v_xor_b32_e32 v137, vcc_lo, v137
	v_cmp_gt_i32_e32 vcc_lo, 0, v187
	v_and_b32_e32 v40, v40, v189
	v_not_b32_e32 v187, v188
	v_ashrrev_i32_e32 v186, 31, v186
	v_xor_b32_e32 v183, s23, v183
	v_cmp_gt_i32_e64 s23, 0, v188
	v_and_b32_e32 v40, v40, v137
	v_not_b32_e32 v137, v185
	v_ashrrev_i32_e32 v187, 31, v187
	v_xor_b32_e32 v186, vcc_lo, v186
	v_cmp_gt_i32_e32 vcc_lo, 0, v185
	v_and_b32_e32 v40, v40, v183
	v_ashrrev_i32_e32 v137, 31, v137
	v_xor_b32_e32 v183, s23, v187
	v_mad_u32_u24 v185, v184, 36, v116
	v_mul_u32_u24_e32 v184, 36, v184
	v_and_b32_e32 v40, v40, v186
	v_xor_b32_e32 v186, vcc_lo, v137
	ds_read_b32 v137, v185 offset:544
	v_add_nc_u32_e32 v185, v116, v184
	v_and_b32_e32 v40, v40, v183
	; wave barrier
	v_and_b32_e32 v40, v40, v186
	v_mbcnt_lo_u32_b32 v183, v40, 0
	v_cmp_ne_u32_e64 s23, 0, v40
	v_cmp_eq_u32_e32 vcc_lo, 0, v183
	s_and_b32 s24, s23, vcc_lo
	s_and_saveexec_b32 s23, s24
	s_cbranch_execz .LBB120_468
; %bb.467:                              ;   in Loop: Header=BB120_418 Depth=2
	s_waitcnt lgkmcnt(0)
	v_bcnt_u32_b32 v40, v40, v137
	ds_write_b32 v185, v40 offset:544
.LBB120_468:                            ;   in Loop: Header=BB120_418 Depth=2
	s_or_b32 exec_lo, exec_lo, s23
	v_xor_b32_sdwa v3, v3, v93 dst_sel:BYTE_1 dst_unused:UNUSED_PAD src0_sel:DWORD src1_sel:DWORD
	v_xor_b32_e32 v40, -1, v41
	v_xor_b32_sdwa v41, v42, v93 dst_sel:BYTE_1 dst_unused:UNUSED_PAD src0_sel:DWORD src1_sel:DWORD
	; wave barrier
	v_or_b32_sdwa v184, v39, v3 dst_sel:DWORD dst_unused:UNUSED_PAD src0_sel:BYTE_0 src1_sel:DWORD
	v_or_b32_sdwa v3, v40, v41 dst_sel:WORD_1 dst_unused:UNUSED_PAD src0_sel:BYTE_0 src1_sel:DWORD
	v_or_b32_sdwa v3, v184, v3 dst_sel:DWORD dst_unused:UNUSED_PAD src0_sel:WORD_0 src1_sel:DWORD
	v_lshrrev_b32_sdwa v39, s61, v3 dst_sel:DWORD dst_unused:UNUSED_PAD src0_sel:DWORD src1_sel:BYTE_1
	v_and_b32_e32 v40, s62, v39
	v_and_b32_e32 v39, 1, v40
	v_lshlrev_b32_e32 v41, 30, v40
	v_lshlrev_b32_e32 v42, 29, v40
	;; [unrolled: 1-line block ×4, first 2 shown]
	v_add_co_u32 v39, s23, v39, -1
	v_cndmask_b32_e64 v186, 0, 1, s23
	v_not_b32_e32 v190, v41
	v_cmp_gt_i32_e64 s23, 0, v41
	v_not_b32_e32 v41, v42
	v_lshlrev_b32_e32 v189, 26, v40
	v_cmp_ne_u32_e32 vcc_lo, 0, v186
	v_ashrrev_i32_e32 v190, 31, v190
	v_lshlrev_b32_e32 v186, 25, v40
	v_ashrrev_i32_e32 v41, 31, v41
	v_xor_b32_e32 v39, vcc_lo, v39
	v_cmp_gt_i32_e32 vcc_lo, 0, v42
	v_not_b32_e32 v42, v187
	v_xor_b32_e32 v190, s23, v190
	v_cmp_gt_i32_e64 s23, 0, v187
	v_and_b32_e32 v39, exec_lo, v39
	v_not_b32_e32 v187, v188
	v_ashrrev_i32_e32 v42, 31, v42
	v_xor_b32_e32 v41, vcc_lo, v41
	v_cmp_gt_i32_e32 vcc_lo, 0, v188
	v_and_b32_e32 v39, v39, v190
	v_not_b32_e32 v188, v189
	v_ashrrev_i32_e32 v187, 31, v187
	v_xor_b32_e32 v42, s23, v42
	v_cmp_gt_i32_e64 s23, 0, v189
	v_and_b32_e32 v39, v39, v41
	v_not_b32_e32 v41, v186
	v_ashrrev_i32_e32 v188, 31, v188
	v_xor_b32_e32 v187, vcc_lo, v187
	v_cmp_gt_i32_e32 vcc_lo, 0, v186
	v_and_b32_e32 v39, v39, v42
	v_ashrrev_i32_e32 v41, 31, v41
	v_xor_b32_e32 v42, s23, v188
	v_mad_u32_u24 v186, v40, 36, v116
	v_mul_u32_u24_e32 v40, 36, v40
	v_and_b32_e32 v39, v39, v187
	v_xor_b32_e32 v41, vcc_lo, v41
	ds_read_b32 v186, v186 offset:544
	v_add_nc_u32_e32 v188, v116, v40
	v_and_b32_e32 v39, v39, v42
	; wave barrier
	v_and_b32_e32 v39, v39, v41
	v_mbcnt_lo_u32_b32 v187, v39, 0
	v_cmp_ne_u32_e64 s23, 0, v39
	v_cmp_eq_u32_e32 vcc_lo, 0, v187
	s_and_b32 s24, s23, vcc_lo
	s_and_saveexec_b32 s23, s24
	s_cbranch_execz .LBB120_470
; %bb.469:                              ;   in Loop: Header=BB120_418 Depth=2
	s_waitcnt lgkmcnt(0)
	v_bcnt_u32_b32 v39, v39, v186
	ds_write_b32 v188, v39 offset:544
.LBB120_470:                            ;   in Loop: Header=BB120_418 Depth=2
	s_or_b32 exec_lo, exec_lo, s23
	v_lshrrev_b32_sdwa v39, s61, v3 dst_sel:DWORD dst_unused:UNUSED_PAD src0_sel:DWORD src1_sel:BYTE_2
	; wave barrier
	v_and_b32_e32 v40, s62, v39
	v_and_b32_e32 v39, 1, v40
	v_lshlrev_b32_e32 v41, 30, v40
	v_lshlrev_b32_e32 v42, 29, v40
	;; [unrolled: 1-line block ×4, first 2 shown]
	v_add_co_u32 v39, s23, v39, -1
	v_cndmask_b32_e64 v189, 0, 1, s23
	v_not_b32_e32 v193, v41
	v_cmp_gt_i32_e64 s23, 0, v41
	v_not_b32_e32 v41, v42
	v_lshlrev_b32_e32 v192, 26, v40
	v_cmp_ne_u32_e32 vcc_lo, 0, v189
	v_ashrrev_i32_e32 v193, 31, v193
	v_lshlrev_b32_e32 v189, 25, v40
	v_ashrrev_i32_e32 v41, 31, v41
	v_xor_b32_e32 v39, vcc_lo, v39
	v_cmp_gt_i32_e32 vcc_lo, 0, v42
	v_not_b32_e32 v42, v190
	v_xor_b32_e32 v193, s23, v193
	v_cmp_gt_i32_e64 s23, 0, v190
	v_and_b32_e32 v39, exec_lo, v39
	v_not_b32_e32 v190, v191
	v_ashrrev_i32_e32 v42, 31, v42
	v_xor_b32_e32 v41, vcc_lo, v41
	v_cmp_gt_i32_e32 vcc_lo, 0, v191
	v_and_b32_e32 v39, v39, v193
	v_not_b32_e32 v191, v192
	v_ashrrev_i32_e32 v190, 31, v190
	v_xor_b32_e32 v42, s23, v42
	v_cmp_gt_i32_e64 s23, 0, v192
	v_and_b32_e32 v39, v39, v41
	v_not_b32_e32 v41, v189
	v_ashrrev_i32_e32 v191, 31, v191
	v_xor_b32_e32 v190, vcc_lo, v190
	v_cmp_gt_i32_e32 vcc_lo, 0, v189
	v_and_b32_e32 v39, v39, v42
	v_ashrrev_i32_e32 v41, 31, v41
	v_xor_b32_e32 v42, s23, v191
	v_mad_u32_u24 v189, v40, 36, v116
	v_mul_u32_u24_e32 v40, 36, v40
	v_and_b32_e32 v39, v39, v190
	v_xor_b32_e32 v41, vcc_lo, v41
	ds_read_b32 v189, v189 offset:544
	v_add_nc_u32_e32 v192, v116, v40
	v_and_b32_e32 v39, v39, v42
	; wave barrier
	v_and_b32_e32 v39, v39, v41
	v_mbcnt_lo_u32_b32 v190, v39, 0
	v_cmp_ne_u32_e64 s23, 0, v39
	v_cmp_eq_u32_e32 vcc_lo, 0, v190
	s_and_b32 s24, s23, vcc_lo
	s_and_saveexec_b32 s23, s24
	s_cbranch_execz .LBB120_472
; %bb.471:                              ;   in Loop: Header=BB120_418 Depth=2
	s_waitcnt lgkmcnt(0)
	v_bcnt_u32_b32 v39, v39, v189
	ds_write_b32 v192, v39 offset:544
.LBB120_472:                            ;   in Loop: Header=BB120_418 Depth=2
	s_or_b32 exec_lo, exec_lo, s23
	v_lshrrev_b32_e32 v191, 24, v3
	; wave barrier
	v_lshrrev_b32_e32 v39, s61, v191
	v_and_b32_e32 v40, s62, v39
	v_and_b32_e32 v39, 1, v40
	v_lshlrev_b32_e32 v41, 30, v40
	v_lshlrev_b32_e32 v42, 29, v40
	;; [unrolled: 1-line block ×4, first 2 shown]
	v_add_co_u32 v39, s23, v39, -1
	v_cndmask_b32_e64 v193, 0, 1, s23
	v_not_b32_e32 v197, v41
	v_cmp_gt_i32_e64 s23, 0, v41
	v_not_b32_e32 v41, v42
	v_lshlrev_b32_e32 v196, 26, v40
	v_cmp_ne_u32_e32 vcc_lo, 0, v193
	v_ashrrev_i32_e32 v197, 31, v197
	v_lshlrev_b32_e32 v193, 25, v40
	v_ashrrev_i32_e32 v41, 31, v41
	v_xor_b32_e32 v39, vcc_lo, v39
	v_cmp_gt_i32_e32 vcc_lo, 0, v42
	v_not_b32_e32 v42, v194
	v_xor_b32_e32 v197, s23, v197
	v_cmp_gt_i32_e64 s23, 0, v194
	v_and_b32_e32 v39, exec_lo, v39
	v_not_b32_e32 v194, v195
	v_ashrrev_i32_e32 v42, 31, v42
	v_xor_b32_e32 v41, vcc_lo, v41
	v_cmp_gt_i32_e32 vcc_lo, 0, v195
	v_and_b32_e32 v39, v39, v197
	v_not_b32_e32 v195, v196
	v_ashrrev_i32_e32 v194, 31, v194
	v_xor_b32_e32 v42, s23, v42
	v_cmp_gt_i32_e64 s23, 0, v196
	v_and_b32_e32 v39, v39, v41
	v_not_b32_e32 v41, v193
	v_ashrrev_i32_e32 v195, 31, v195
	v_xor_b32_e32 v194, vcc_lo, v194
	v_cmp_gt_i32_e32 vcc_lo, 0, v193
	v_and_b32_e32 v39, v39, v42
	v_ashrrev_i32_e32 v41, 31, v41
	v_xor_b32_e32 v42, s23, v195
	v_mad_u32_u24 v193, v40, 36, v116
	v_mul_u32_u24_e32 v40, 36, v40
	v_and_b32_e32 v39, v39, v194
	v_xor_b32_e32 v41, vcc_lo, v41
	ds_read_b32 v193, v193 offset:544
	v_add_nc_u32_e32 v195, v116, v40
	v_and_b32_e32 v39, v39, v42
	; wave barrier
	v_and_b32_e32 v39, v39, v41
	v_mbcnt_lo_u32_b32 v194, v39, 0
	v_cmp_ne_u32_e64 s23, 0, v39
	v_cmp_eq_u32_e32 vcc_lo, 0, v194
	s_and_b32 s24, s23, vcc_lo
	s_and_saveexec_b32 s23, s24
	s_cbranch_execz .LBB120_474
; %bb.473:                              ;   in Loop: Header=BB120_418 Depth=2
	s_waitcnt lgkmcnt(0)
	v_bcnt_u32_b32 v39, v39, v193
	ds_write_b32 v195, v39 offset:544
.LBB120_474:                            ;   in Loop: Header=BB120_418 Depth=2
	s_or_b32 exec_lo, exec_lo, s23
	v_xor_b32_e32 v129, -1, v129
	; wave barrier
	v_lshrrev_b32_sdwa v39, s61, v129 dst_sel:DWORD dst_unused:UNUSED_PAD src0_sel:DWORD src1_sel:BYTE_0
	v_and_b32_e32 v40, s62, v39
	v_and_b32_e32 v39, 1, v40
	v_lshlrev_b32_e32 v41, 30, v40
	v_lshlrev_b32_e32 v42, 29, v40
	;; [unrolled: 1-line block ×4, first 2 shown]
	v_add_co_u32 v39, s23, v39, -1
	v_cndmask_b32_e64 v196, 0, 1, s23
	v_not_b32_e32 v200, v41
	v_cmp_gt_i32_e64 s23, 0, v41
	v_not_b32_e32 v41, v42
	v_lshlrev_b32_e32 v199, 26, v40
	v_cmp_ne_u32_e32 vcc_lo, 0, v196
	v_ashrrev_i32_e32 v200, 31, v200
	v_lshlrev_b32_e32 v196, 25, v40
	v_ashrrev_i32_e32 v41, 31, v41
	v_xor_b32_e32 v39, vcc_lo, v39
	v_cmp_gt_i32_e32 vcc_lo, 0, v42
	v_not_b32_e32 v42, v197
	v_xor_b32_e32 v200, s23, v200
	v_cmp_gt_i32_e64 s23, 0, v197
	v_and_b32_e32 v39, exec_lo, v39
	v_not_b32_e32 v197, v198
	v_ashrrev_i32_e32 v42, 31, v42
	v_xor_b32_e32 v41, vcc_lo, v41
	v_cmp_gt_i32_e32 vcc_lo, 0, v198
	v_and_b32_e32 v39, v39, v200
	v_not_b32_e32 v198, v199
	v_ashrrev_i32_e32 v197, 31, v197
	v_xor_b32_e32 v42, s23, v42
	v_cmp_gt_i32_e64 s23, 0, v199
	v_and_b32_e32 v39, v39, v41
	v_not_b32_e32 v41, v196
	v_ashrrev_i32_e32 v198, 31, v198
	v_xor_b32_e32 v197, vcc_lo, v197
	v_cmp_gt_i32_e32 vcc_lo, 0, v196
	v_and_b32_e32 v39, v39, v42
	v_ashrrev_i32_e32 v41, 31, v41
	v_xor_b32_e32 v42, s23, v198
	v_mad_u32_u24 v196, v40, 36, v116
	v_mul_u32_u24_e32 v40, 36, v40
	v_and_b32_e32 v39, v39, v197
	v_xor_b32_e32 v41, vcc_lo, v41
	ds_read_b32 v196, v196 offset:544
	v_add_nc_u32_e32 v198, v116, v40
	v_and_b32_e32 v39, v39, v42
	; wave barrier
	v_and_b32_e32 v39, v39, v41
	v_mbcnt_lo_u32_b32 v197, v39, 0
	v_cmp_ne_u32_e64 s23, 0, v39
	v_cmp_eq_u32_e32 vcc_lo, 0, v197
	s_and_b32 s24, s23, vcc_lo
	s_and_saveexec_b32 s23, s24
	s_cbranch_execz .LBB120_476
; %bb.475:                              ;   in Loop: Header=BB120_418 Depth=2
	s_waitcnt lgkmcnt(0)
	v_bcnt_u32_b32 v39, v39, v196
	ds_write_b32 v198, v39 offset:544
.LBB120_476:                            ;   in Loop: Header=BB120_418 Depth=2
	s_or_b32 exec_lo, exec_lo, s23
	; wave barrier
	s_waitcnt lgkmcnt(0)
	s_barrier
	buffer_gl0_inv
	ds_read2_b32 v[41:42], v69 offset0:136 offset1:137
	ds_read2_b32 v[39:40], v69 offset0:138 offset1:139
	ds_read_b32 v199, v69 offset:560
	s_waitcnt lgkmcnt(1)
	v_add3_u32 v200, v42, v41, v39
	s_waitcnt lgkmcnt(0)
	v_add3_u32 v199, v200, v40, v199
	v_mov_b32_dpp v200, v199 row_shr:1 row_mask:0xf bank_mask:0xf
	v_cndmask_b32_e64 v200, v200, 0, s5
	v_add_nc_u32_e32 v199, v200, v199
	v_mov_b32_dpp v200, v199 row_shr:2 row_mask:0xf bank_mask:0xf
	v_cndmask_b32_e64 v200, 0, v200, s15
	v_add_nc_u32_e32 v199, v199, v200
	;; [unrolled: 3-line block ×4, first 2 shown]
	ds_swizzle_b32 v200, v199 offset:swizzle(BROADCAST,32,15)
	s_waitcnt lgkmcnt(0)
	v_cndmask_b32_e64 v200, v200, 0, s18
	v_add_nc_u32_e32 v199, v199, v200
	s_and_saveexec_b32 s23, s4
; %bb.477:                              ;   in Loop: Header=BB120_418 Depth=2
	ds_write_b32 v62, v199 offset:512
; %bb.478:                              ;   in Loop: Header=BB120_418 Depth=2
	s_or_b32 exec_lo, exec_lo, s23
	s_waitcnt lgkmcnt(0)
	s_barrier
	buffer_gl0_inv
	s_and_saveexec_b32 s23, s12
	s_cbranch_execz .LBB120_480
; %bb.479:                              ;   in Loop: Header=BB120_418 Depth=2
	ds_read_b32 v200, v70 offset:512
	s_waitcnt lgkmcnt(0)
	v_mov_b32_dpp v201, v200 row_shr:1 row_mask:0xf bank_mask:0xf
	v_cndmask_b32_e64 v201, v201, 0, s20
	v_add_nc_u32_e32 v200, v201, v200
	v_mov_b32_dpp v201, v200 row_shr:2 row_mask:0xf bank_mask:0xf
	v_cndmask_b32_e64 v201, 0, v201, s21
	v_add_nc_u32_e32 v200, v200, v201
	v_mov_b32_dpp v201, v200 row_shr:4 row_mask:0xf bank_mask:0xf
	v_cndmask_b32_e64 v201, 0, v201, s22
	v_add_nc_u32_e32 v200, v200, v201
	ds_write_b32 v70, v200 offset:512
.LBB120_480:                            ;   in Loop: Header=BB120_418 Depth=2
	s_or_b32 exec_lo, exec_lo, s23
	v_mov_b32_e32 v200, 0
	s_waitcnt lgkmcnt(0)
	s_barrier
	buffer_gl0_inv
	s_and_saveexec_b32 s23, s11
; %bb.481:                              ;   in Loop: Header=BB120_418 Depth=2
	ds_read_b32 v200, v62 offset:508
; %bb.482:                              ;   in Loop: Header=BB120_418 Depth=2
	s_or_b32 exec_lo, exec_lo, s23
	s_waitcnt lgkmcnt(0)
	v_add_nc_u32_e32 v199, v200, v199
	ds_bpermute_b32 v199, v94, v199
	s_waitcnt lgkmcnt(0)
	v_cndmask_b32_e64 v199, v199, v200, s19
	v_cndmask_b32_e64 v199, v199, 0, s13
	v_add_nc_u32_e32 v41, v199, v41
	v_add_nc_u32_e32 v42, v41, v42
	;; [unrolled: 1-line block ×4, first 2 shown]
	ds_write2_b32 v69, v199, v41 offset0:136 offset1:137
	ds_write2_b32 v69, v42, v39 offset0:138 offset1:139
	ds_write_b32 v69, v40 offset:560
	s_waitcnt lgkmcnt(0)
	s_barrier
	buffer_gl0_inv
	ds_read_b32 v39, v149 offset:544
	ds_read_b32 v40, v153 offset:544
	;; [unrolled: 1-line block ×17, first 2 shown]
	s_and_saveexec_b32 s23, s8
	s_cbranch_execz .LBB120_486
; %bb.483:                              ;   in Loop: Header=BB120_418 Depth=2
	v_add_nc_u32_e32 v135, v70, v72
	v_mov_b32_e32 v136, 0x1100
	ds_read_b32 v135, v135 offset:544
	s_and_saveexec_b32 s24, s14
; %bb.484:                              ;   in Loop: Header=BB120_418 Depth=2
	ds_read_b32 v136, v71 offset:544
; %bb.485:                              ;   in Loop: Header=BB120_418 Depth=2
	s_or_b32 exec_lo, exec_lo, s24
	s_waitcnt lgkmcnt(0)
	v_sub_nc_u32_e32 v136, v136, v135
.LBB120_486:                            ;   in Loop: Header=BB120_418 Depth=2
	s_or_b32 exec_lo, exec_lo, s23
	v_lshrrev_b32_e32 v203, 8, v148
	v_lshrrev_b32_e32 v204, 16, v148
	;; [unrolled: 1-line block ×8, first 2 shown]
	s_waitcnt lgkmcnt(0)
	s_barrier
	buffer_gl0_inv
	s_and_saveexec_b32 s23, s8
	s_cbranch_execz .LBB120_488
; %bb.487:                              ;   in Loop: Header=BB120_418 Depth=2
	ds_read_b32 v3, v43
	s_waitcnt lgkmcnt(0)
	v_sub_nc_u32_e32 v3, v3, v135
	ds_write_b32 v43, v3
.LBB120_488:                            ;   in Loop: Header=BB120_418 Depth=2
	s_or_b32 exec_lo, exec_lo, s23
	v_add_nc_u32_e32 v157, v39, v146
	v_add3_u32 v153, v152, v151, v40
	v_add3_u32 v152, v155, v154, v41
	;; [unrolled: 1-line block ×16, first 2 shown]
	v_cmp_lt_u32_e64 s39, v0, v138
	ds_write_b8 v157, v147 offset:512
	ds_write_b8 v153, v203 offset:512
	;; [unrolled: 1-line block ×17, first 2 shown]
	s_waitcnt lgkmcnt(0)
	s_barrier
	buffer_gl0_inv
	s_and_saveexec_b32 s23, s39
	s_cbranch_execnz .LBB120_561
; %bb.489:                              ;   in Loop: Header=BB120_418 Depth=2
	s_or_b32 exec_lo, exec_lo, s23
	v_cmp_lt_u32_e64 s38, v44, v138
	s_and_saveexec_b32 s23, s38
	s_cbranch_execnz .LBB120_562
.LBB120_490:                            ;   in Loop: Header=BB120_418 Depth=2
	s_or_b32 exec_lo, exec_lo, s23
	v_cmp_lt_u32_e64 s37, v47, v138
	s_and_saveexec_b32 s23, s37
	s_cbranch_execnz .LBB120_563
.LBB120_491:                            ;   in Loop: Header=BB120_418 Depth=2
	s_or_b32 exec_lo, exec_lo, s23
	v_cmp_lt_u32_e64 s36, v48, v138
	s_and_saveexec_b32 s23, s36
	s_cbranch_execnz .LBB120_564
.LBB120_492:                            ;   in Loop: Header=BB120_418 Depth=2
	s_or_b32 exec_lo, exec_lo, s23
	v_cmp_lt_u32_e64 s35, v49, v138
	s_and_saveexec_b32 s23, s35
	s_cbranch_execnz .LBB120_565
.LBB120_493:                            ;   in Loop: Header=BB120_418 Depth=2
	s_or_b32 exec_lo, exec_lo, s23
	v_cmp_lt_u32_e64 s34, v50, v138
	s_and_saveexec_b32 s23, s34
	s_cbranch_execnz .LBB120_566
.LBB120_494:                            ;   in Loop: Header=BB120_418 Depth=2
	s_or_b32 exec_lo, exec_lo, s23
	v_cmp_lt_u32_e64 s33, v51, v138
	s_and_saveexec_b32 s23, s33
	s_cbranch_execnz .LBB120_567
.LBB120_495:                            ;   in Loop: Header=BB120_418 Depth=2
	s_or_b32 exec_lo, exec_lo, s23
	v_cmp_lt_u32_e64 s31, v52, v138
	s_and_saveexec_b32 s23, s31
	s_cbranch_execnz .LBB120_568
.LBB120_496:                            ;   in Loop: Header=BB120_418 Depth=2
	s_or_b32 exec_lo, exec_lo, s23
	v_cmp_lt_u32_e64 s30, v53, v138
	s_and_saveexec_b32 s23, s30
	s_cbranch_execnz .LBB120_569
.LBB120_497:                            ;   in Loop: Header=BB120_418 Depth=2
	s_or_b32 exec_lo, exec_lo, s23
	v_cmp_lt_u32_e64 s29, v54, v138
	s_and_saveexec_b32 s23, s29
	s_cbranch_execnz .LBB120_570
.LBB120_498:                            ;   in Loop: Header=BB120_418 Depth=2
	s_or_b32 exec_lo, exec_lo, s23
	v_cmp_lt_u32_e64 s28, v55, v138
	s_and_saveexec_b32 s23, s28
	s_cbranch_execnz .LBB120_571
.LBB120_499:                            ;   in Loop: Header=BB120_418 Depth=2
	s_or_b32 exec_lo, exec_lo, s23
	v_cmp_lt_u32_e64 s27, v56, v138
	s_and_saveexec_b32 s23, s27
	s_cbranch_execnz .LBB120_572
.LBB120_500:                            ;   in Loop: Header=BB120_418 Depth=2
	s_or_b32 exec_lo, exec_lo, s23
	v_cmp_lt_u32_e64 s26, v57, v138
	s_and_saveexec_b32 s23, s26
	s_cbranch_execnz .LBB120_573
.LBB120_501:                            ;   in Loop: Header=BB120_418 Depth=2
	s_or_b32 exec_lo, exec_lo, s23
	v_cmp_lt_u32_e64 s25, v58, v138
	s_and_saveexec_b32 s23, s25
	s_cbranch_execnz .LBB120_574
.LBB120_502:                            ;   in Loop: Header=BB120_418 Depth=2
	s_or_b32 exec_lo, exec_lo, s23
	v_cmp_lt_u32_e64 s24, v59, v138
	s_and_saveexec_b32 s23, s24
	s_cbranch_execnz .LBB120_575
.LBB120_503:                            ;   in Loop: Header=BB120_418 Depth=2
	s_or_b32 exec_lo, exec_lo, s23
	v_cmp_lt_u32_e64 s23, v60, v138
	s_and_saveexec_b32 s40, s23
	s_cbranch_execnz .LBB120_576
.LBB120_504:                            ;   in Loop: Header=BB120_418 Depth=2
	s_or_b32 exec_lo, exec_lo, s40
	v_cmp_lt_u32_e32 vcc_lo, v61, v138
	s_and_saveexec_b32 s40, vcc_lo
	s_cbranch_execz .LBB120_506
.LBB120_505:                            ;   in Loop: Header=BB120_418 Depth=2
	ds_read_u8 v39, v0 offset:4608
	s_waitcnt lgkmcnt(0)
	v_lshrrev_b32_sdwa v40, s61, v39 dst_sel:DWORD dst_unused:UNUSED_PAD src0_sel:DWORD src1_sel:BYTE_0
	v_xor_b32_e32 v39, -1, v39
	v_and_b32_e32 v40, s62, v40
	v_lshlrev_b32_e32 v40, 2, v40
	ds_read_b32 v40, v40
	s_waitcnt lgkmcnt(0)
	v_add_nc_u32_e32 v40, v40, v61
	global_store_byte v40, v39, s[48:49]
.LBB120_506:                            ;   in Loop: Header=BB120_418 Depth=2
	s_or_b32 exec_lo, exec_lo, s40
	s_lshl_b64 s[66:67], s[50:51], 3
	v_add_co_u32 v39, s40, v98, s66
	v_add_co_ci_u32_e64 v40, null, s67, v99, s40
	v_cmp_lt_u32_e64 s40, v95, v138
	s_and_saveexec_b32 s50, s40
	s_xor_b32 s40, exec_lo, s50
	s_cbranch_execnz .LBB120_577
; %bb.507:                              ;   in Loop: Header=BB120_418 Depth=2
	s_or_b32 exec_lo, exec_lo, s40
	s_mov_b32 s50, exec_lo
	v_cmpx_lt_u32_e64 v100, v138
	s_cbranch_execnz .LBB120_578
.LBB120_508:                            ;   in Loop: Header=BB120_418 Depth=2
	s_or_b32 exec_lo, exec_lo, s50
	s_mov_b32 s50, exec_lo
	v_cmpx_lt_u32_e64 v101, v138
	s_cbranch_execnz .LBB120_579
.LBB120_509:                            ;   in Loop: Header=BB120_418 Depth=2
	s_or_b32 exec_lo, exec_lo, s50
	s_mov_b32 s50, exec_lo
	v_cmpx_lt_u32_e64 v102, v138
	s_cbranch_execnz .LBB120_580
.LBB120_510:                            ;   in Loop: Header=BB120_418 Depth=2
	s_or_b32 exec_lo, exec_lo, s50
	s_mov_b32 s50, exec_lo
	v_cmpx_lt_u32_e64 v103, v138
	s_cbranch_execnz .LBB120_581
.LBB120_511:                            ;   in Loop: Header=BB120_418 Depth=2
	s_or_b32 exec_lo, exec_lo, s50
	s_mov_b32 s50, exec_lo
	v_cmpx_lt_u32_e64 v104, v138
	s_cbranch_execnz .LBB120_582
.LBB120_512:                            ;   in Loop: Header=BB120_418 Depth=2
	s_or_b32 exec_lo, exec_lo, s50
	s_mov_b32 s50, exec_lo
	v_cmpx_lt_u32_e64 v105, v138
	s_cbranch_execnz .LBB120_583
.LBB120_513:                            ;   in Loop: Header=BB120_418 Depth=2
	s_or_b32 exec_lo, exec_lo, s50
	s_mov_b32 s50, exec_lo
	v_cmpx_lt_u32_e64 v106, v138
	s_cbranch_execnz .LBB120_584
.LBB120_514:                            ;   in Loop: Header=BB120_418 Depth=2
	s_or_b32 exec_lo, exec_lo, s50
	s_mov_b32 s50, exec_lo
	v_cmpx_lt_u32_e64 v107, v138
	s_cbranch_execnz .LBB120_585
.LBB120_515:                            ;   in Loop: Header=BB120_418 Depth=2
	s_or_b32 exec_lo, exec_lo, s50
	s_mov_b32 s50, exec_lo
	v_cmpx_lt_u32_e64 v108, v138
	s_cbranch_execnz .LBB120_586
.LBB120_516:                            ;   in Loop: Header=BB120_418 Depth=2
	s_or_b32 exec_lo, exec_lo, s50
	s_mov_b32 s50, exec_lo
	v_cmpx_lt_u32_e64 v109, v138
	s_cbranch_execnz .LBB120_587
.LBB120_517:                            ;   in Loop: Header=BB120_418 Depth=2
	s_or_b32 exec_lo, exec_lo, s50
	s_mov_b32 s50, exec_lo
	v_cmpx_lt_u32_e64 v110, v138
	s_cbranch_execnz .LBB120_588
.LBB120_518:                            ;   in Loop: Header=BB120_418 Depth=2
	s_or_b32 exec_lo, exec_lo, s50
	s_mov_b32 s50, exec_lo
	v_cmpx_lt_u32_e64 v111, v138
	s_cbranch_execnz .LBB120_589
.LBB120_519:                            ;   in Loop: Header=BB120_418 Depth=2
	s_or_b32 exec_lo, exec_lo, s50
	s_mov_b32 s50, exec_lo
	v_cmpx_lt_u32_e64 v112, v138
	s_cbranch_execnz .LBB120_590
.LBB120_520:                            ;   in Loop: Header=BB120_418 Depth=2
	s_or_b32 exec_lo, exec_lo, s50
	s_mov_b32 s50, exec_lo
	v_cmpx_lt_u32_e64 v113, v138
	s_cbranch_execnz .LBB120_591
.LBB120_521:                            ;   in Loop: Header=BB120_418 Depth=2
	s_or_b32 exec_lo, exec_lo, s50
	s_mov_b32 s50, exec_lo
	v_cmpx_lt_u32_e64 v114, v138
	s_cbranch_execnz .LBB120_592
.LBB120_522:                            ;   in Loop: Header=BB120_418 Depth=2
	s_or_b32 exec_lo, exec_lo, s50
	s_mov_b32 s50, exec_lo
	v_cmpx_lt_u32_e64 v115, v138
	s_cbranch_execnz .LBB120_593
.LBB120_523:                            ;   in Loop: Header=BB120_418 Depth=2
	s_or_b32 exec_lo, exec_lo, s50
	s_and_saveexec_b32 s40, s39
	s_cbranch_execnz .LBB120_594
.LBB120_524:                            ;   in Loop: Header=BB120_418 Depth=2
	s_or_b32 exec_lo, exec_lo, s40
	s_and_saveexec_b32 s40, s38
	s_cbranch_execnz .LBB120_595
.LBB120_525:                            ;   in Loop: Header=BB120_418 Depth=2
	s_or_b32 exec_lo, exec_lo, s40
	s_and_saveexec_b32 s40, s37
	s_cbranch_execnz .LBB120_596
.LBB120_526:                            ;   in Loop: Header=BB120_418 Depth=2
	s_or_b32 exec_lo, exec_lo, s40
	s_and_saveexec_b32 s40, s36
	s_cbranch_execnz .LBB120_597
.LBB120_527:                            ;   in Loop: Header=BB120_418 Depth=2
	s_or_b32 exec_lo, exec_lo, s40
	s_and_saveexec_b32 s40, s35
	s_cbranch_execnz .LBB120_598
.LBB120_528:                            ;   in Loop: Header=BB120_418 Depth=2
	s_or_b32 exec_lo, exec_lo, s40
	s_and_saveexec_b32 s40, s34
	s_cbranch_execnz .LBB120_599
.LBB120_529:                            ;   in Loop: Header=BB120_418 Depth=2
	s_or_b32 exec_lo, exec_lo, s40
	s_and_saveexec_b32 s40, s33
	s_cbranch_execnz .LBB120_600
.LBB120_530:                            ;   in Loop: Header=BB120_418 Depth=2
	s_or_b32 exec_lo, exec_lo, s40
	s_and_saveexec_b32 s40, s31
	s_cbranch_execnz .LBB120_601
.LBB120_531:                            ;   in Loop: Header=BB120_418 Depth=2
	s_or_b32 exec_lo, exec_lo, s40
	s_and_saveexec_b32 s40, s30
	s_cbranch_execnz .LBB120_602
.LBB120_532:                            ;   in Loop: Header=BB120_418 Depth=2
	s_or_b32 exec_lo, exec_lo, s40
	s_and_saveexec_b32 s40, s29
	s_cbranch_execnz .LBB120_603
.LBB120_533:                            ;   in Loop: Header=BB120_418 Depth=2
	s_or_b32 exec_lo, exec_lo, s40
	s_and_saveexec_b32 s40, s28
	s_cbranch_execnz .LBB120_604
.LBB120_534:                            ;   in Loop: Header=BB120_418 Depth=2
	s_or_b32 exec_lo, exec_lo, s40
	s_and_saveexec_b32 s40, s27
	s_cbranch_execnz .LBB120_605
.LBB120_535:                            ;   in Loop: Header=BB120_418 Depth=2
	s_or_b32 exec_lo, exec_lo, s40
	s_and_saveexec_b32 s40, s26
	s_cbranch_execnz .LBB120_606
.LBB120_536:                            ;   in Loop: Header=BB120_418 Depth=2
	s_or_b32 exec_lo, exec_lo, s40
	s_and_saveexec_b32 s40, s25
	s_cbranch_execnz .LBB120_607
.LBB120_537:                            ;   in Loop: Header=BB120_418 Depth=2
	s_or_b32 exec_lo, exec_lo, s40
	s_and_saveexec_b32 s40, s24
	s_cbranch_execnz .LBB120_608
.LBB120_538:                            ;   in Loop: Header=BB120_418 Depth=2
	s_or_b32 exec_lo, exec_lo, s40
	s_and_saveexec_b32 s40, s23
	s_cbranch_execnz .LBB120_609
.LBB120_539:                            ;   in Loop: Header=BB120_418 Depth=2
	s_or_b32 exec_lo, exec_lo, s40
	s_and_saveexec_b32 s40, vcc_lo
	s_cbranch_execz .LBB120_541
.LBB120_540:                            ;   in Loop: Header=BB120_418 Depth=2
	ds_read_u8 v39, v0 offset:4608
	s_waitcnt lgkmcnt(0)
	v_lshrrev_b32_e32 v39, s61, v39
	v_and_b32_e32 v117, s62, v39
.LBB120_541:                            ;   in Loop: Header=BB120_418 Depth=2
	s_or_b32 exec_lo, exec_lo, s40
	v_lshlrev_b32_e32 v39, 3, v157
	v_lshlrev_b32_e32 v40, 3, v153
	s_waitcnt vmcnt(0)
	s_waitcnt_vscnt null, 0x0
	s_barrier
	buffer_gl0_inv
	ds_write_b64 v39, v[37:38] offset:512
	ds_write_b64 v40, v[35:36] offset:512
	v_lshlrev_b32_e32 v39, 3, v152
	v_lshlrev_b32_e32 v40, 3, v151
	v_lshlrev_b32_e32 v138, 3, v150
	v_lshlrev_b32_e32 v139, 3, v149
	v_lshlrev_b32_e32 v143, 3, v148
	ds_write_b64 v39, v[33:34] offset:512
	ds_write_b64 v40, v[31:32] offset:512
	ds_write_b64 v138, v[29:30] offset:512
	ds_write_b64 v139, v[25:26] offset:512
	ds_write_b64 v143, v[21:22] offset:512
	v_lshlrev_b32_e32 v39, 3, v146
	v_lshlrev_b32_e32 v40, 3, v145
	v_lshlrev_b32_e32 v138, 3, v144
	v_lshlrev_b32_e32 v139, 3, v142
	v_lshlrev_b32_e32 v141, 3, v141
	ds_write_b64 v39, v[17:18] offset:512
	ds_write_b64 v40, v[27:28] offset:512
	ds_write_b64 v138, v[23:24] offset:512
	;; [unrolled: 10-line block ×3, first 2 shown]
	ds_write_b64 v41, v[7:8] offset:512
	ds_write_b64 v3, v[5:6] offset:512
	s_waitcnt lgkmcnt(0)
	s_barrier
	buffer_gl0_inv
	s_and_saveexec_b32 s40, s39
	s_cbranch_execnz .LBB120_610
; %bb.542:                              ;   in Loop: Header=BB120_418 Depth=2
	s_or_b32 exec_lo, exec_lo, s40
	s_and_saveexec_b32 s39, s38
	s_cbranch_execnz .LBB120_611
.LBB120_543:                            ;   in Loop: Header=BB120_418 Depth=2
	s_or_b32 exec_lo, exec_lo, s39
	s_and_saveexec_b32 s38, s37
	s_cbranch_execnz .LBB120_612
.LBB120_544:                            ;   in Loop: Header=BB120_418 Depth=2
	s_or_b32 exec_lo, exec_lo, s38
	s_and_saveexec_b32 s37, s36
	s_cbranch_execnz .LBB120_613
.LBB120_545:                            ;   in Loop: Header=BB120_418 Depth=2
	s_or_b32 exec_lo, exec_lo, s37
	s_and_saveexec_b32 s36, s35
	s_cbranch_execnz .LBB120_614
.LBB120_546:                            ;   in Loop: Header=BB120_418 Depth=2
	s_or_b32 exec_lo, exec_lo, s36
	s_and_saveexec_b32 s35, s34
	s_cbranch_execnz .LBB120_615
.LBB120_547:                            ;   in Loop: Header=BB120_418 Depth=2
	s_or_b32 exec_lo, exec_lo, s35
	s_and_saveexec_b32 s34, s33
	s_cbranch_execnz .LBB120_616
.LBB120_548:                            ;   in Loop: Header=BB120_418 Depth=2
	s_or_b32 exec_lo, exec_lo, s34
	s_and_saveexec_b32 s33, s31
	s_cbranch_execnz .LBB120_617
.LBB120_549:                            ;   in Loop: Header=BB120_418 Depth=2
	s_or_b32 exec_lo, exec_lo, s33
	s_and_saveexec_b32 s31, s30
	s_cbranch_execnz .LBB120_618
.LBB120_550:                            ;   in Loop: Header=BB120_418 Depth=2
	s_or_b32 exec_lo, exec_lo, s31
	s_and_saveexec_b32 s30, s29
	s_cbranch_execnz .LBB120_619
.LBB120_551:                            ;   in Loop: Header=BB120_418 Depth=2
	s_or_b32 exec_lo, exec_lo, s30
	s_and_saveexec_b32 s29, s28
	s_cbranch_execnz .LBB120_620
.LBB120_552:                            ;   in Loop: Header=BB120_418 Depth=2
	s_or_b32 exec_lo, exec_lo, s29
	s_and_saveexec_b32 s28, s27
	s_cbranch_execnz .LBB120_621
.LBB120_553:                            ;   in Loop: Header=BB120_418 Depth=2
	s_or_b32 exec_lo, exec_lo, s28
	s_and_saveexec_b32 s27, s26
	s_cbranch_execnz .LBB120_622
.LBB120_554:                            ;   in Loop: Header=BB120_418 Depth=2
	s_or_b32 exec_lo, exec_lo, s27
	s_and_saveexec_b32 s26, s25
	s_cbranch_execnz .LBB120_623
.LBB120_555:                            ;   in Loop: Header=BB120_418 Depth=2
	s_or_b32 exec_lo, exec_lo, s26
	s_and_saveexec_b32 s25, s24
	s_cbranch_execnz .LBB120_624
.LBB120_556:                            ;   in Loop: Header=BB120_418 Depth=2
	s_or_b32 exec_lo, exec_lo, s25
	s_and_saveexec_b32 s24, s23
	s_cbranch_execnz .LBB120_625
.LBB120_557:                            ;   in Loop: Header=BB120_418 Depth=2
	s_or_b32 exec_lo, exec_lo, s24
	s_and_saveexec_b32 s23, vcc_lo
	s_cbranch_execz .LBB120_559
.LBB120_558:                            ;   in Loop: Header=BB120_418 Depth=2
	v_lshlrev_b32_e32 v3, 2, v117
	v_add_nc_u32_e32 v39, v0, v75
	ds_read_b32 v3, v3
	ds_read_b64 v[39:40], v39 offset:33280
	s_waitcnt lgkmcnt(1)
	v_add_nc_u32_e32 v3, v3, v61
	v_lshlrev_b64 v[41:42], 3, v[3:4]
	v_add_co_u32 v41, vcc_lo, s54, v41
	v_add_co_ci_u32_e64 v42, null, s55, v42, vcc_lo
	s_waitcnt lgkmcnt(0)
	global_store_dwordx2 v[41:42], v[39:40], off
.LBB120_559:                            ;   in Loop: Header=BB120_418 Depth=2
	s_or_b32 exec_lo, exec_lo, s23
	s_waitcnt_vscnt null, 0x0
	s_barrier
	buffer_gl0_inv
	s_and_saveexec_b32 s23, s8
	s_cbranch_execz .LBB120_417
; %bb.560:                              ;   in Loop: Header=BB120_418 Depth=2
	ds_read_b32 v3, v43
	s_waitcnt lgkmcnt(0)
	v_add3_u32 v3, v135, v136, v3
	ds_write_b32 v43, v3
	s_branch .LBB120_417
.LBB120_561:                            ;   in Loop: Header=BB120_418 Depth=2
	ds_read_u8 v39, v0 offset:512
	s_waitcnt lgkmcnt(0)
	v_lshrrev_b32_sdwa v40, s61, v39 dst_sel:DWORD dst_unused:UNUSED_PAD src0_sel:DWORD src1_sel:BYTE_0
	v_xor_b32_e32 v39, -1, v39
	v_and_b32_e32 v40, s62, v40
	v_lshlrev_b32_e32 v40, 2, v40
	ds_read_b32 v40, v40
	s_waitcnt lgkmcnt(0)
	v_add_nc_u32_e32 v40, v40, v0
	global_store_byte v40, v39, s[48:49]
	s_or_b32 exec_lo, exec_lo, s23
	v_cmp_lt_u32_e64 s38, v44, v138
	s_and_saveexec_b32 s23, s38
	s_cbranch_execz .LBB120_490
.LBB120_562:                            ;   in Loop: Header=BB120_418 Depth=2
	ds_read_u8 v39, v0 offset:768
	s_waitcnt lgkmcnt(0)
	v_lshrrev_b32_sdwa v40, s61, v39 dst_sel:DWORD dst_unused:UNUSED_PAD src0_sel:DWORD src1_sel:BYTE_0
	v_xor_b32_e32 v39, -1, v39
	v_and_b32_e32 v40, s62, v40
	v_lshlrev_b32_e32 v40, 2, v40
	ds_read_b32 v40, v40
	s_waitcnt lgkmcnt(0)
	v_add_nc_u32_e32 v40, v40, v44
	global_store_byte v40, v39, s[48:49]
	s_or_b32 exec_lo, exec_lo, s23
	v_cmp_lt_u32_e64 s37, v47, v138
	s_and_saveexec_b32 s23, s37
	s_cbranch_execz .LBB120_491
.LBB120_563:                            ;   in Loop: Header=BB120_418 Depth=2
	ds_read_u8 v39, v0 offset:1024
	s_waitcnt lgkmcnt(0)
	v_lshrrev_b32_sdwa v40, s61, v39 dst_sel:DWORD dst_unused:UNUSED_PAD src0_sel:DWORD src1_sel:BYTE_0
	v_xor_b32_e32 v39, -1, v39
	v_and_b32_e32 v40, s62, v40
	v_lshlrev_b32_e32 v40, 2, v40
	ds_read_b32 v40, v40
	s_waitcnt lgkmcnt(0)
	v_add_nc_u32_e32 v40, v40, v47
	global_store_byte v40, v39, s[48:49]
	s_or_b32 exec_lo, exec_lo, s23
	v_cmp_lt_u32_e64 s36, v48, v138
	s_and_saveexec_b32 s23, s36
	s_cbranch_execz .LBB120_492
.LBB120_564:                            ;   in Loop: Header=BB120_418 Depth=2
	ds_read_u8 v39, v0 offset:1280
	s_waitcnt lgkmcnt(0)
	v_lshrrev_b32_sdwa v40, s61, v39 dst_sel:DWORD dst_unused:UNUSED_PAD src0_sel:DWORD src1_sel:BYTE_0
	v_xor_b32_e32 v39, -1, v39
	v_and_b32_e32 v40, s62, v40
	v_lshlrev_b32_e32 v40, 2, v40
	ds_read_b32 v40, v40
	s_waitcnt lgkmcnt(0)
	v_add_nc_u32_e32 v40, v40, v48
	global_store_byte v40, v39, s[48:49]
	s_or_b32 exec_lo, exec_lo, s23
	v_cmp_lt_u32_e64 s35, v49, v138
	s_and_saveexec_b32 s23, s35
	s_cbranch_execz .LBB120_493
.LBB120_565:                            ;   in Loop: Header=BB120_418 Depth=2
	ds_read_u8 v39, v0 offset:1536
	s_waitcnt lgkmcnt(0)
	v_lshrrev_b32_sdwa v40, s61, v39 dst_sel:DWORD dst_unused:UNUSED_PAD src0_sel:DWORD src1_sel:BYTE_0
	v_xor_b32_e32 v39, -1, v39
	v_and_b32_e32 v40, s62, v40
	v_lshlrev_b32_e32 v40, 2, v40
	ds_read_b32 v40, v40
	s_waitcnt lgkmcnt(0)
	v_add_nc_u32_e32 v40, v40, v49
	global_store_byte v40, v39, s[48:49]
	s_or_b32 exec_lo, exec_lo, s23
	v_cmp_lt_u32_e64 s34, v50, v138
	s_and_saveexec_b32 s23, s34
	s_cbranch_execz .LBB120_494
.LBB120_566:                            ;   in Loop: Header=BB120_418 Depth=2
	ds_read_u8 v39, v0 offset:1792
	s_waitcnt lgkmcnt(0)
	v_lshrrev_b32_sdwa v40, s61, v39 dst_sel:DWORD dst_unused:UNUSED_PAD src0_sel:DWORD src1_sel:BYTE_0
	v_xor_b32_e32 v39, -1, v39
	v_and_b32_e32 v40, s62, v40
	v_lshlrev_b32_e32 v40, 2, v40
	ds_read_b32 v40, v40
	s_waitcnt lgkmcnt(0)
	v_add_nc_u32_e32 v40, v40, v50
	global_store_byte v40, v39, s[48:49]
	s_or_b32 exec_lo, exec_lo, s23
	v_cmp_lt_u32_e64 s33, v51, v138
	s_and_saveexec_b32 s23, s33
	s_cbranch_execz .LBB120_495
.LBB120_567:                            ;   in Loop: Header=BB120_418 Depth=2
	ds_read_u8 v39, v0 offset:2048
	s_waitcnt lgkmcnt(0)
	v_lshrrev_b32_sdwa v40, s61, v39 dst_sel:DWORD dst_unused:UNUSED_PAD src0_sel:DWORD src1_sel:BYTE_0
	v_xor_b32_e32 v39, -1, v39
	v_and_b32_e32 v40, s62, v40
	v_lshlrev_b32_e32 v40, 2, v40
	ds_read_b32 v40, v40
	s_waitcnt lgkmcnt(0)
	v_add_nc_u32_e32 v40, v40, v51
	global_store_byte v40, v39, s[48:49]
	s_or_b32 exec_lo, exec_lo, s23
	v_cmp_lt_u32_e64 s31, v52, v138
	s_and_saveexec_b32 s23, s31
	s_cbranch_execz .LBB120_496
.LBB120_568:                            ;   in Loop: Header=BB120_418 Depth=2
	ds_read_u8 v39, v0 offset:2304
	s_waitcnt lgkmcnt(0)
	v_lshrrev_b32_sdwa v40, s61, v39 dst_sel:DWORD dst_unused:UNUSED_PAD src0_sel:DWORD src1_sel:BYTE_0
	v_xor_b32_e32 v39, -1, v39
	v_and_b32_e32 v40, s62, v40
	v_lshlrev_b32_e32 v40, 2, v40
	ds_read_b32 v40, v40
	s_waitcnt lgkmcnt(0)
	v_add_nc_u32_e32 v40, v40, v52
	global_store_byte v40, v39, s[48:49]
	s_or_b32 exec_lo, exec_lo, s23
	v_cmp_lt_u32_e64 s30, v53, v138
	s_and_saveexec_b32 s23, s30
	s_cbranch_execz .LBB120_497
.LBB120_569:                            ;   in Loop: Header=BB120_418 Depth=2
	ds_read_u8 v39, v0 offset:2560
	s_waitcnt lgkmcnt(0)
	v_lshrrev_b32_sdwa v40, s61, v39 dst_sel:DWORD dst_unused:UNUSED_PAD src0_sel:DWORD src1_sel:BYTE_0
	v_xor_b32_e32 v39, -1, v39
	v_and_b32_e32 v40, s62, v40
	v_lshlrev_b32_e32 v40, 2, v40
	ds_read_b32 v40, v40
	s_waitcnt lgkmcnt(0)
	v_add_nc_u32_e32 v40, v40, v53
	global_store_byte v40, v39, s[48:49]
	s_or_b32 exec_lo, exec_lo, s23
	v_cmp_lt_u32_e64 s29, v54, v138
	s_and_saveexec_b32 s23, s29
	s_cbranch_execz .LBB120_498
.LBB120_570:                            ;   in Loop: Header=BB120_418 Depth=2
	ds_read_u8 v39, v0 offset:2816
	s_waitcnt lgkmcnt(0)
	v_lshrrev_b32_sdwa v40, s61, v39 dst_sel:DWORD dst_unused:UNUSED_PAD src0_sel:DWORD src1_sel:BYTE_0
	v_xor_b32_e32 v39, -1, v39
	v_and_b32_e32 v40, s62, v40
	v_lshlrev_b32_e32 v40, 2, v40
	ds_read_b32 v40, v40
	s_waitcnt lgkmcnt(0)
	v_add_nc_u32_e32 v40, v40, v54
	global_store_byte v40, v39, s[48:49]
	s_or_b32 exec_lo, exec_lo, s23
	v_cmp_lt_u32_e64 s28, v55, v138
	s_and_saveexec_b32 s23, s28
	s_cbranch_execz .LBB120_499
.LBB120_571:                            ;   in Loop: Header=BB120_418 Depth=2
	ds_read_u8 v39, v0 offset:3072
	s_waitcnt lgkmcnt(0)
	v_lshrrev_b32_sdwa v40, s61, v39 dst_sel:DWORD dst_unused:UNUSED_PAD src0_sel:DWORD src1_sel:BYTE_0
	v_xor_b32_e32 v39, -1, v39
	v_and_b32_e32 v40, s62, v40
	v_lshlrev_b32_e32 v40, 2, v40
	ds_read_b32 v40, v40
	s_waitcnt lgkmcnt(0)
	v_add_nc_u32_e32 v40, v40, v55
	global_store_byte v40, v39, s[48:49]
	s_or_b32 exec_lo, exec_lo, s23
	v_cmp_lt_u32_e64 s27, v56, v138
	s_and_saveexec_b32 s23, s27
	s_cbranch_execz .LBB120_500
.LBB120_572:                            ;   in Loop: Header=BB120_418 Depth=2
	ds_read_u8 v39, v0 offset:3328
	s_waitcnt lgkmcnt(0)
	v_lshrrev_b32_sdwa v40, s61, v39 dst_sel:DWORD dst_unused:UNUSED_PAD src0_sel:DWORD src1_sel:BYTE_0
	v_xor_b32_e32 v39, -1, v39
	v_and_b32_e32 v40, s62, v40
	v_lshlrev_b32_e32 v40, 2, v40
	ds_read_b32 v40, v40
	s_waitcnt lgkmcnt(0)
	v_add_nc_u32_e32 v40, v40, v56
	global_store_byte v40, v39, s[48:49]
	s_or_b32 exec_lo, exec_lo, s23
	v_cmp_lt_u32_e64 s26, v57, v138
	s_and_saveexec_b32 s23, s26
	s_cbranch_execz .LBB120_501
.LBB120_573:                            ;   in Loop: Header=BB120_418 Depth=2
	ds_read_u8 v39, v0 offset:3584
	s_waitcnt lgkmcnt(0)
	v_lshrrev_b32_sdwa v40, s61, v39 dst_sel:DWORD dst_unused:UNUSED_PAD src0_sel:DWORD src1_sel:BYTE_0
	v_xor_b32_e32 v39, -1, v39
	v_and_b32_e32 v40, s62, v40
	v_lshlrev_b32_e32 v40, 2, v40
	ds_read_b32 v40, v40
	s_waitcnt lgkmcnt(0)
	v_add_nc_u32_e32 v40, v40, v57
	global_store_byte v40, v39, s[48:49]
	s_or_b32 exec_lo, exec_lo, s23
	v_cmp_lt_u32_e64 s25, v58, v138
	s_and_saveexec_b32 s23, s25
	s_cbranch_execz .LBB120_502
.LBB120_574:                            ;   in Loop: Header=BB120_418 Depth=2
	ds_read_u8 v39, v0 offset:3840
	s_waitcnt lgkmcnt(0)
	v_lshrrev_b32_sdwa v40, s61, v39 dst_sel:DWORD dst_unused:UNUSED_PAD src0_sel:DWORD src1_sel:BYTE_0
	v_xor_b32_e32 v39, -1, v39
	v_and_b32_e32 v40, s62, v40
	v_lshlrev_b32_e32 v40, 2, v40
	ds_read_b32 v40, v40
	s_waitcnt lgkmcnt(0)
	v_add_nc_u32_e32 v40, v40, v58
	global_store_byte v40, v39, s[48:49]
	s_or_b32 exec_lo, exec_lo, s23
	v_cmp_lt_u32_e64 s24, v59, v138
	s_and_saveexec_b32 s23, s24
	s_cbranch_execz .LBB120_503
.LBB120_575:                            ;   in Loop: Header=BB120_418 Depth=2
	ds_read_u8 v39, v0 offset:4096
	s_waitcnt lgkmcnt(0)
	v_lshrrev_b32_sdwa v40, s61, v39 dst_sel:DWORD dst_unused:UNUSED_PAD src0_sel:DWORD src1_sel:BYTE_0
	v_xor_b32_e32 v39, -1, v39
	v_and_b32_e32 v40, s62, v40
	v_lshlrev_b32_e32 v40, 2, v40
	ds_read_b32 v40, v40
	s_waitcnt lgkmcnt(0)
	v_add_nc_u32_e32 v40, v40, v59
	global_store_byte v40, v39, s[48:49]
	s_or_b32 exec_lo, exec_lo, s23
	v_cmp_lt_u32_e64 s23, v60, v138
	s_and_saveexec_b32 s40, s23
	s_cbranch_execz .LBB120_504
.LBB120_576:                            ;   in Loop: Header=BB120_418 Depth=2
	ds_read_u8 v39, v0 offset:4352
	s_waitcnt lgkmcnt(0)
	v_lshrrev_b32_sdwa v40, s61, v39 dst_sel:DWORD dst_unused:UNUSED_PAD src0_sel:DWORD src1_sel:BYTE_0
	v_xor_b32_e32 v39, -1, v39
	v_and_b32_e32 v40, s62, v40
	v_lshlrev_b32_e32 v40, 2, v40
	ds_read_b32 v40, v40
	s_waitcnt lgkmcnt(0)
	v_add_nc_u32_e32 v40, v40, v60
	global_store_byte v40, v39, s[48:49]
	s_or_b32 exec_lo, exec_lo, s40
	v_cmp_lt_u32_e32 vcc_lo, v61, v138
	s_and_saveexec_b32 s40, vcc_lo
	s_cbranch_execnz .LBB120_505
	s_branch .LBB120_506
.LBB120_577:                            ;   in Loop: Header=BB120_418 Depth=2
	global_load_dwordx2 v[37:38], v[39:40], off
	s_or_b32 exec_lo, exec_lo, s40
	s_mov_b32 s50, exec_lo
	v_cmpx_lt_u32_e64 v100, v138
	s_cbranch_execz .LBB120_508
.LBB120_578:                            ;   in Loop: Header=BB120_418 Depth=2
	global_load_dwordx2 v[35:36], v[39:40], off offset:256
	s_or_b32 exec_lo, exec_lo, s50
	s_mov_b32 s50, exec_lo
	v_cmpx_lt_u32_e64 v101, v138
	s_cbranch_execz .LBB120_509
.LBB120_579:                            ;   in Loop: Header=BB120_418 Depth=2
	global_load_dwordx2 v[33:34], v[39:40], off offset:512
	s_or_b32 exec_lo, exec_lo, s50
	s_mov_b32 s50, exec_lo
	v_cmpx_lt_u32_e64 v102, v138
	s_cbranch_execz .LBB120_510
.LBB120_580:                            ;   in Loop: Header=BB120_418 Depth=2
	global_load_dwordx2 v[31:32], v[39:40], off offset:768
	s_or_b32 exec_lo, exec_lo, s50
	s_mov_b32 s50, exec_lo
	v_cmpx_lt_u32_e64 v103, v138
	s_cbranch_execz .LBB120_511
.LBB120_581:                            ;   in Loop: Header=BB120_418 Depth=2
	global_load_dwordx2 v[29:30], v[39:40], off offset:1024
	s_or_b32 exec_lo, exec_lo, s50
	s_mov_b32 s50, exec_lo
	v_cmpx_lt_u32_e64 v104, v138
	s_cbranch_execz .LBB120_512
.LBB120_582:                            ;   in Loop: Header=BB120_418 Depth=2
	global_load_dwordx2 v[25:26], v[39:40], off offset:1280
	s_or_b32 exec_lo, exec_lo, s50
	s_mov_b32 s50, exec_lo
	v_cmpx_lt_u32_e64 v105, v138
	s_cbranch_execz .LBB120_513
.LBB120_583:                            ;   in Loop: Header=BB120_418 Depth=2
	global_load_dwordx2 v[21:22], v[39:40], off offset:1536
	s_or_b32 exec_lo, exec_lo, s50
	s_mov_b32 s50, exec_lo
	v_cmpx_lt_u32_e64 v106, v138
	s_cbranch_execz .LBB120_514
.LBB120_584:                            ;   in Loop: Header=BB120_418 Depth=2
	global_load_dwordx2 v[17:18], v[39:40], off offset:1792
	s_or_b32 exec_lo, exec_lo, s50
	s_mov_b32 s50, exec_lo
	v_cmpx_lt_u32_e64 v107, v138
	s_cbranch_execz .LBB120_515
.LBB120_585:                            ;   in Loop: Header=BB120_418 Depth=2
	v_add_co_u32 v27, s40, 0x800, v39
	v_add_co_ci_u32_e64 v28, null, 0, v40, s40
	global_load_dwordx2 v[27:28], v[27:28], off
	s_or_b32 exec_lo, exec_lo, s50
	s_mov_b32 s50, exec_lo
	v_cmpx_lt_u32_e64 v108, v138
	s_cbranch_execz .LBB120_516
.LBB120_586:                            ;   in Loop: Header=BB120_418 Depth=2
	v_add_co_u32 v23, s40, 0x800, v39
	v_add_co_ci_u32_e64 v24, null, 0, v40, s40
	global_load_dwordx2 v[23:24], v[23:24], off offset:256
	s_or_b32 exec_lo, exec_lo, s50
	s_mov_b32 s50, exec_lo
	v_cmpx_lt_u32_e64 v109, v138
	s_cbranch_execz .LBB120_517
.LBB120_587:                            ;   in Loop: Header=BB120_418 Depth=2
	v_add_co_u32 v19, s40, 0x800, v39
	v_add_co_ci_u32_e64 v20, null, 0, v40, s40
	global_load_dwordx2 v[19:20], v[19:20], off offset:512
	s_or_b32 exec_lo, exec_lo, s50
	s_mov_b32 s50, exec_lo
	v_cmpx_lt_u32_e64 v110, v138
	s_cbranch_execz .LBB120_518
.LBB120_588:                            ;   in Loop: Header=BB120_418 Depth=2
	v_add_co_u32 v15, s40, 0x800, v39
	v_add_co_ci_u32_e64 v16, null, 0, v40, s40
	global_load_dwordx2 v[15:16], v[15:16], off offset:768
	s_or_b32 exec_lo, exec_lo, s50
	s_mov_b32 s50, exec_lo
	v_cmpx_lt_u32_e64 v111, v138
	s_cbranch_execz .LBB120_519
.LBB120_589:                            ;   in Loop: Header=BB120_418 Depth=2
	v_add_co_u32 v13, s40, 0x800, v39
	v_add_co_ci_u32_e64 v14, null, 0, v40, s40
	global_load_dwordx2 v[13:14], v[13:14], off offset:1024
	s_or_b32 exec_lo, exec_lo, s50
	s_mov_b32 s50, exec_lo
	v_cmpx_lt_u32_e64 v112, v138
	s_cbranch_execz .LBB120_520
.LBB120_590:                            ;   in Loop: Header=BB120_418 Depth=2
	v_add_co_u32 v11, s40, 0x800, v39
	v_add_co_ci_u32_e64 v12, null, 0, v40, s40
	global_load_dwordx2 v[11:12], v[11:12], off offset:1280
	s_or_b32 exec_lo, exec_lo, s50
	s_mov_b32 s50, exec_lo
	v_cmpx_lt_u32_e64 v113, v138
	s_cbranch_execz .LBB120_521
.LBB120_591:                            ;   in Loop: Header=BB120_418 Depth=2
	v_add_co_u32 v9, s40, 0x800, v39
	v_add_co_ci_u32_e64 v10, null, 0, v40, s40
	global_load_dwordx2 v[9:10], v[9:10], off offset:1536
	s_or_b32 exec_lo, exec_lo, s50
	s_mov_b32 s50, exec_lo
	v_cmpx_lt_u32_e64 v114, v138
	s_cbranch_execz .LBB120_522
.LBB120_592:                            ;   in Loop: Header=BB120_418 Depth=2
	v_add_co_u32 v7, s40, 0x800, v39
	v_add_co_ci_u32_e64 v8, null, 0, v40, s40
	global_load_dwordx2 v[7:8], v[7:8], off offset:1792
	s_or_b32 exec_lo, exec_lo, s50
	s_mov_b32 s50, exec_lo
	v_cmpx_lt_u32_e64 v115, v138
	s_cbranch_execz .LBB120_523
.LBB120_593:                            ;   in Loop: Header=BB120_418 Depth=2
	v_add_co_u32 v5, s40, 0x1000, v39
	v_add_co_ci_u32_e64 v6, null, 0, v40, s40
	global_load_dwordx2 v[5:6], v[5:6], off
	s_or_b32 exec_lo, exec_lo, s50
	s_and_saveexec_b32 s40, s39
	s_cbranch_execz .LBB120_524
.LBB120_594:                            ;   in Loop: Header=BB120_418 Depth=2
	ds_read_u8 v39, v0 offset:512
	s_waitcnt lgkmcnt(0)
	v_lshrrev_b32_e32 v39, s61, v39
	v_and_b32_e32 v134, s62, v39
	s_or_b32 exec_lo, exec_lo, s40
	s_and_saveexec_b32 s40, s38
	s_cbranch_execz .LBB120_525
.LBB120_595:                            ;   in Loop: Header=BB120_418 Depth=2
	ds_read_u8 v39, v0 offset:768
	s_waitcnt lgkmcnt(0)
	v_lshrrev_b32_e32 v39, s61, v39
	v_and_b32_e32 v133, s62, v39
	s_or_b32 exec_lo, exec_lo, s40
	s_and_saveexec_b32 s40, s37
	s_cbranch_execz .LBB120_526
.LBB120_596:                            ;   in Loop: Header=BB120_418 Depth=2
	ds_read_u8 v39, v0 offset:1024
	s_waitcnt lgkmcnt(0)
	v_lshrrev_b32_e32 v39, s61, v39
	v_and_b32_e32 v132, s62, v39
	s_or_b32 exec_lo, exec_lo, s40
	s_and_saveexec_b32 s40, s36
	s_cbranch_execz .LBB120_527
.LBB120_597:                            ;   in Loop: Header=BB120_418 Depth=2
	ds_read_u8 v39, v0 offset:1280
	s_waitcnt lgkmcnt(0)
	v_lshrrev_b32_e32 v39, s61, v39
	v_and_b32_e32 v131, s62, v39
	s_or_b32 exec_lo, exec_lo, s40
	s_and_saveexec_b32 s40, s35
	s_cbranch_execz .LBB120_528
.LBB120_598:                            ;   in Loop: Header=BB120_418 Depth=2
	ds_read_u8 v39, v0 offset:1536
	s_waitcnt lgkmcnt(0)
	v_lshrrev_b32_e32 v39, s61, v39
	v_and_b32_e32 v130, s62, v39
	s_or_b32 exec_lo, exec_lo, s40
	s_and_saveexec_b32 s40, s34
	s_cbranch_execz .LBB120_529
.LBB120_599:                            ;   in Loop: Header=BB120_418 Depth=2
	ds_read_u8 v39, v0 offset:1792
	s_waitcnt lgkmcnt(0)
	v_lshrrev_b32_e32 v39, s61, v39
	v_and_b32_e32 v128, s62, v39
	s_or_b32 exec_lo, exec_lo, s40
	s_and_saveexec_b32 s40, s33
	s_cbranch_execz .LBB120_530
.LBB120_600:                            ;   in Loop: Header=BB120_418 Depth=2
	ds_read_u8 v39, v0 offset:2048
	s_waitcnt lgkmcnt(0)
	v_lshrrev_b32_e32 v39, s61, v39
	v_and_b32_e32 v127, s62, v39
	s_or_b32 exec_lo, exec_lo, s40
	s_and_saveexec_b32 s40, s31
	s_cbranch_execz .LBB120_531
.LBB120_601:                            ;   in Loop: Header=BB120_418 Depth=2
	ds_read_u8 v39, v0 offset:2304
	s_waitcnt lgkmcnt(0)
	v_lshrrev_b32_e32 v39, s61, v39
	v_and_b32_e32 v126, s62, v39
	s_or_b32 exec_lo, exec_lo, s40
	s_and_saveexec_b32 s40, s30
	s_cbranch_execz .LBB120_532
.LBB120_602:                            ;   in Loop: Header=BB120_418 Depth=2
	ds_read_u8 v39, v0 offset:2560
	s_waitcnt lgkmcnt(0)
	v_lshrrev_b32_e32 v39, s61, v39
	v_and_b32_e32 v125, s62, v39
	s_or_b32 exec_lo, exec_lo, s40
	s_and_saveexec_b32 s40, s29
	s_cbranch_execz .LBB120_533
.LBB120_603:                            ;   in Loop: Header=BB120_418 Depth=2
	ds_read_u8 v39, v0 offset:2816
	s_waitcnt lgkmcnt(0)
	v_lshrrev_b32_e32 v39, s61, v39
	v_and_b32_e32 v124, s62, v39
	s_or_b32 exec_lo, exec_lo, s40
	s_and_saveexec_b32 s40, s28
	s_cbranch_execz .LBB120_534
.LBB120_604:                            ;   in Loop: Header=BB120_418 Depth=2
	ds_read_u8 v39, v0 offset:3072
	s_waitcnt lgkmcnt(0)
	v_lshrrev_b32_e32 v39, s61, v39
	v_and_b32_e32 v123, s62, v39
	s_or_b32 exec_lo, exec_lo, s40
	s_and_saveexec_b32 s40, s27
	s_cbranch_execz .LBB120_535
.LBB120_605:                            ;   in Loop: Header=BB120_418 Depth=2
	ds_read_u8 v39, v0 offset:3328
	s_waitcnt lgkmcnt(0)
	v_lshrrev_b32_e32 v39, s61, v39
	v_and_b32_e32 v122, s62, v39
	s_or_b32 exec_lo, exec_lo, s40
	s_and_saveexec_b32 s40, s26
	s_cbranch_execz .LBB120_536
.LBB120_606:                            ;   in Loop: Header=BB120_418 Depth=2
	ds_read_u8 v39, v0 offset:3584
	s_waitcnt lgkmcnt(0)
	v_lshrrev_b32_e32 v39, s61, v39
	v_and_b32_e32 v121, s62, v39
	s_or_b32 exec_lo, exec_lo, s40
	s_and_saveexec_b32 s40, s25
	s_cbranch_execz .LBB120_537
.LBB120_607:                            ;   in Loop: Header=BB120_418 Depth=2
	ds_read_u8 v39, v0 offset:3840
	s_waitcnt lgkmcnt(0)
	v_lshrrev_b32_e32 v39, s61, v39
	v_and_b32_e32 v120, s62, v39
	s_or_b32 exec_lo, exec_lo, s40
	s_and_saveexec_b32 s40, s24
	s_cbranch_execz .LBB120_538
.LBB120_608:                            ;   in Loop: Header=BB120_418 Depth=2
	ds_read_u8 v39, v0 offset:4096
	s_waitcnt lgkmcnt(0)
	v_lshrrev_b32_e32 v39, s61, v39
	v_and_b32_e32 v119, s62, v39
	s_or_b32 exec_lo, exec_lo, s40
	s_and_saveexec_b32 s40, s23
	s_cbranch_execz .LBB120_539
.LBB120_609:                            ;   in Loop: Header=BB120_418 Depth=2
	ds_read_u8 v39, v0 offset:4352
	s_waitcnt lgkmcnt(0)
	v_lshrrev_b32_e32 v39, s61, v39
	v_and_b32_e32 v118, s62, v39
	s_or_b32 exec_lo, exec_lo, s40
	s_and_saveexec_b32 s40, vcc_lo
	s_cbranch_execnz .LBB120_540
	s_branch .LBB120_541
.LBB120_610:                            ;   in Loop: Header=BB120_418 Depth=2
	v_lshlrev_b32_e32 v3, 2, v134
	v_add_nc_u32_e32 v39, v0, v75
	ds_read_b32 v3, v3
	ds_read_b64 v[39:40], v39 offset:512
	s_waitcnt lgkmcnt(1)
	v_add_nc_u32_e32 v3, v3, v0
	v_lshlrev_b64 v[41:42], 3, v[3:4]
	v_add_co_u32 v41, s39, s54, v41
	v_add_co_ci_u32_e64 v42, null, s55, v42, s39
	s_waitcnt lgkmcnt(0)
	global_store_dwordx2 v[41:42], v[39:40], off
	s_or_b32 exec_lo, exec_lo, s40
	s_and_saveexec_b32 s39, s38
	s_cbranch_execz .LBB120_543
.LBB120_611:                            ;   in Loop: Header=BB120_418 Depth=2
	v_lshlrev_b32_e32 v3, 2, v133
	v_add_nc_u32_e32 v39, v0, v75
	ds_read_b32 v3, v3
	ds_read_b64 v[39:40], v39 offset:2560
	s_waitcnt lgkmcnt(1)
	v_add_nc_u32_e32 v3, v3, v44
	v_lshlrev_b64 v[41:42], 3, v[3:4]
	v_add_co_u32 v41, s38, s54, v41
	v_add_co_ci_u32_e64 v42, null, s55, v42, s38
	s_waitcnt lgkmcnt(0)
	global_store_dwordx2 v[41:42], v[39:40], off
	s_or_b32 exec_lo, exec_lo, s39
	s_and_saveexec_b32 s38, s37
	s_cbranch_execz .LBB120_544
.LBB120_612:                            ;   in Loop: Header=BB120_418 Depth=2
	v_lshlrev_b32_e32 v3, 2, v132
	v_add_nc_u32_e32 v39, v0, v75
	ds_read_b32 v3, v3
	ds_read_b64 v[39:40], v39 offset:4608
	s_waitcnt lgkmcnt(1)
	v_add_nc_u32_e32 v3, v3, v47
	v_lshlrev_b64 v[41:42], 3, v[3:4]
	v_add_co_u32 v41, s37, s54, v41
	v_add_co_ci_u32_e64 v42, null, s55, v42, s37
	s_waitcnt lgkmcnt(0)
	global_store_dwordx2 v[41:42], v[39:40], off
	s_or_b32 exec_lo, exec_lo, s38
	s_and_saveexec_b32 s37, s36
	s_cbranch_execz .LBB120_545
.LBB120_613:                            ;   in Loop: Header=BB120_418 Depth=2
	v_lshlrev_b32_e32 v3, 2, v131
	v_add_nc_u32_e32 v39, v0, v75
	ds_read_b32 v3, v3
	ds_read_b64 v[39:40], v39 offset:6656
	s_waitcnt lgkmcnt(1)
	v_add_nc_u32_e32 v3, v3, v48
	v_lshlrev_b64 v[41:42], 3, v[3:4]
	v_add_co_u32 v41, s36, s54, v41
	v_add_co_ci_u32_e64 v42, null, s55, v42, s36
	s_waitcnt lgkmcnt(0)
	global_store_dwordx2 v[41:42], v[39:40], off
	s_or_b32 exec_lo, exec_lo, s37
	s_and_saveexec_b32 s36, s35
	s_cbranch_execz .LBB120_546
.LBB120_614:                            ;   in Loop: Header=BB120_418 Depth=2
	v_lshlrev_b32_e32 v3, 2, v130
	v_add_nc_u32_e32 v39, v0, v75
	ds_read_b32 v3, v3
	ds_read_b64 v[39:40], v39 offset:8704
	s_waitcnt lgkmcnt(1)
	v_add_nc_u32_e32 v3, v3, v49
	v_lshlrev_b64 v[41:42], 3, v[3:4]
	v_add_co_u32 v41, s35, s54, v41
	v_add_co_ci_u32_e64 v42, null, s55, v42, s35
	s_waitcnt lgkmcnt(0)
	global_store_dwordx2 v[41:42], v[39:40], off
	s_or_b32 exec_lo, exec_lo, s36
	s_and_saveexec_b32 s35, s34
	s_cbranch_execz .LBB120_547
.LBB120_615:                            ;   in Loop: Header=BB120_418 Depth=2
	v_lshlrev_b32_e32 v3, 2, v128
	v_add_nc_u32_e32 v39, v0, v75
	ds_read_b32 v3, v3
	ds_read_b64 v[39:40], v39 offset:10752
	s_waitcnt lgkmcnt(1)
	v_add_nc_u32_e32 v3, v3, v50
	v_lshlrev_b64 v[41:42], 3, v[3:4]
	v_add_co_u32 v41, s34, s54, v41
	v_add_co_ci_u32_e64 v42, null, s55, v42, s34
	s_waitcnt lgkmcnt(0)
	global_store_dwordx2 v[41:42], v[39:40], off
	s_or_b32 exec_lo, exec_lo, s35
	s_and_saveexec_b32 s34, s33
	s_cbranch_execz .LBB120_548
.LBB120_616:                            ;   in Loop: Header=BB120_418 Depth=2
	v_lshlrev_b32_e32 v3, 2, v127
	v_add_nc_u32_e32 v39, v0, v75
	ds_read_b32 v3, v3
	ds_read_b64 v[39:40], v39 offset:12800
	s_waitcnt lgkmcnt(1)
	v_add_nc_u32_e32 v3, v3, v51
	v_lshlrev_b64 v[41:42], 3, v[3:4]
	v_add_co_u32 v41, s33, s54, v41
	v_add_co_ci_u32_e64 v42, null, s55, v42, s33
	s_waitcnt lgkmcnt(0)
	global_store_dwordx2 v[41:42], v[39:40], off
	s_or_b32 exec_lo, exec_lo, s34
	s_and_saveexec_b32 s33, s31
	s_cbranch_execz .LBB120_549
.LBB120_617:                            ;   in Loop: Header=BB120_418 Depth=2
	v_lshlrev_b32_e32 v3, 2, v126
	v_add_nc_u32_e32 v39, v0, v75
	ds_read_b32 v3, v3
	ds_read_b64 v[39:40], v39 offset:14848
	s_waitcnt lgkmcnt(1)
	v_add_nc_u32_e32 v3, v3, v52
	v_lshlrev_b64 v[41:42], 3, v[3:4]
	v_add_co_u32 v41, s31, s54, v41
	v_add_co_ci_u32_e64 v42, null, s55, v42, s31
	s_waitcnt lgkmcnt(0)
	global_store_dwordx2 v[41:42], v[39:40], off
	s_or_b32 exec_lo, exec_lo, s33
	s_and_saveexec_b32 s31, s30
	s_cbranch_execz .LBB120_550
.LBB120_618:                            ;   in Loop: Header=BB120_418 Depth=2
	v_lshlrev_b32_e32 v3, 2, v125
	v_add_nc_u32_e32 v39, v0, v75
	ds_read_b32 v3, v3
	ds_read_b64 v[39:40], v39 offset:16896
	s_waitcnt lgkmcnt(1)
	v_add_nc_u32_e32 v3, v3, v53
	v_lshlrev_b64 v[41:42], 3, v[3:4]
	v_add_co_u32 v41, s30, s54, v41
	v_add_co_ci_u32_e64 v42, null, s55, v42, s30
	s_waitcnt lgkmcnt(0)
	global_store_dwordx2 v[41:42], v[39:40], off
	s_or_b32 exec_lo, exec_lo, s31
	s_and_saveexec_b32 s30, s29
	s_cbranch_execz .LBB120_551
.LBB120_619:                            ;   in Loop: Header=BB120_418 Depth=2
	v_lshlrev_b32_e32 v3, 2, v124
	v_add_nc_u32_e32 v39, v0, v75
	ds_read_b32 v3, v3
	ds_read_b64 v[39:40], v39 offset:18944
	s_waitcnt lgkmcnt(1)
	v_add_nc_u32_e32 v3, v3, v54
	v_lshlrev_b64 v[41:42], 3, v[3:4]
	v_add_co_u32 v41, s29, s54, v41
	v_add_co_ci_u32_e64 v42, null, s55, v42, s29
	s_waitcnt lgkmcnt(0)
	global_store_dwordx2 v[41:42], v[39:40], off
	s_or_b32 exec_lo, exec_lo, s30
	s_and_saveexec_b32 s29, s28
	s_cbranch_execz .LBB120_552
.LBB120_620:                            ;   in Loop: Header=BB120_418 Depth=2
	v_lshlrev_b32_e32 v3, 2, v123
	v_add_nc_u32_e32 v39, v0, v75
	ds_read_b32 v3, v3
	ds_read_b64 v[39:40], v39 offset:20992
	s_waitcnt lgkmcnt(1)
	v_add_nc_u32_e32 v3, v3, v55
	v_lshlrev_b64 v[41:42], 3, v[3:4]
	v_add_co_u32 v41, s28, s54, v41
	v_add_co_ci_u32_e64 v42, null, s55, v42, s28
	s_waitcnt lgkmcnt(0)
	global_store_dwordx2 v[41:42], v[39:40], off
	s_or_b32 exec_lo, exec_lo, s29
	s_and_saveexec_b32 s28, s27
	s_cbranch_execz .LBB120_553
.LBB120_621:                            ;   in Loop: Header=BB120_418 Depth=2
	v_lshlrev_b32_e32 v3, 2, v122
	v_add_nc_u32_e32 v39, v0, v75
	ds_read_b32 v3, v3
	ds_read_b64 v[39:40], v39 offset:23040
	s_waitcnt lgkmcnt(1)
	v_add_nc_u32_e32 v3, v3, v56
	v_lshlrev_b64 v[41:42], 3, v[3:4]
	v_add_co_u32 v41, s27, s54, v41
	v_add_co_ci_u32_e64 v42, null, s55, v42, s27
	s_waitcnt lgkmcnt(0)
	global_store_dwordx2 v[41:42], v[39:40], off
	s_or_b32 exec_lo, exec_lo, s28
	s_and_saveexec_b32 s27, s26
	s_cbranch_execz .LBB120_554
.LBB120_622:                            ;   in Loop: Header=BB120_418 Depth=2
	v_lshlrev_b32_e32 v3, 2, v121
	v_add_nc_u32_e32 v39, v0, v75
	ds_read_b32 v3, v3
	ds_read_b64 v[39:40], v39 offset:25088
	s_waitcnt lgkmcnt(1)
	v_add_nc_u32_e32 v3, v3, v57
	v_lshlrev_b64 v[41:42], 3, v[3:4]
	v_add_co_u32 v41, s26, s54, v41
	v_add_co_ci_u32_e64 v42, null, s55, v42, s26
	s_waitcnt lgkmcnt(0)
	global_store_dwordx2 v[41:42], v[39:40], off
	s_or_b32 exec_lo, exec_lo, s27
	s_and_saveexec_b32 s26, s25
	s_cbranch_execz .LBB120_555
.LBB120_623:                            ;   in Loop: Header=BB120_418 Depth=2
	v_lshlrev_b32_e32 v3, 2, v120
	v_add_nc_u32_e32 v39, v0, v75
	ds_read_b32 v3, v3
	ds_read_b64 v[39:40], v39 offset:27136
	s_waitcnt lgkmcnt(1)
	v_add_nc_u32_e32 v3, v3, v58
	v_lshlrev_b64 v[41:42], 3, v[3:4]
	v_add_co_u32 v41, s25, s54, v41
	v_add_co_ci_u32_e64 v42, null, s55, v42, s25
	s_waitcnt lgkmcnt(0)
	global_store_dwordx2 v[41:42], v[39:40], off
	s_or_b32 exec_lo, exec_lo, s26
	s_and_saveexec_b32 s25, s24
	s_cbranch_execz .LBB120_556
.LBB120_624:                            ;   in Loop: Header=BB120_418 Depth=2
	v_lshlrev_b32_e32 v3, 2, v119
	v_add_nc_u32_e32 v39, v0, v75
	ds_read_b32 v3, v3
	ds_read_b64 v[39:40], v39 offset:29184
	s_waitcnt lgkmcnt(1)
	v_add_nc_u32_e32 v3, v3, v59
	v_lshlrev_b64 v[41:42], 3, v[3:4]
	v_add_co_u32 v41, s24, s54, v41
	v_add_co_ci_u32_e64 v42, null, s55, v42, s24
	s_waitcnt lgkmcnt(0)
	global_store_dwordx2 v[41:42], v[39:40], off
	s_or_b32 exec_lo, exec_lo, s25
	s_and_saveexec_b32 s24, s23
	s_cbranch_execz .LBB120_557
.LBB120_625:                            ;   in Loop: Header=BB120_418 Depth=2
	v_lshlrev_b32_e32 v3, 2, v118
	v_add_nc_u32_e32 v39, v0, v75
	ds_read_b32 v3, v3
	ds_read_b64 v[39:40], v39 offset:31232
	s_waitcnt lgkmcnt(1)
	v_add_nc_u32_e32 v3, v3, v60
	v_lshlrev_b64 v[41:42], 3, v[3:4]
	v_add_co_u32 v41, s23, s54, v41
	v_add_co_ci_u32_e64 v42, null, s55, v42, s23
	s_waitcnt lgkmcnt(0)
	global_store_dwordx2 v[41:42], v[39:40], off
	s_or_b32 exec_lo, exec_lo, s24
	s_and_saveexec_b32 s23, vcc_lo
	s_cbranch_execnz .LBB120_558
	s_branch .LBB120_559
.LBB120_626:                            ;   in Loop: Header=BB120_418 Depth=2
	global_load_ubyte v151, v[39:40], off offset:32
	s_or_b32 exec_lo, exec_lo, s23
	s_mov_b32 s23, exec_lo
	v_cmpx_gt_u32_e64 s63, v101
	s_cbranch_execz .LBB120_425
.LBB120_627:                            ;   in Loop: Header=BB120_418 Depth=2
	global_load_ubyte v147, v[39:40], off offset:64
	s_or_b32 exec_lo, exec_lo, s23
	s_mov_b32 s23, exec_lo
	v_cmpx_gt_u32_e64 s63, v102
	s_cbranch_execz .LBB120_426
.LBB120_628:                            ;   in Loop: Header=BB120_418 Depth=2
	global_load_ubyte v148, v[39:40], off offset:96
	s_or_b32 exec_lo, exec_lo, s23
	s_mov_b32 s23, exec_lo
	v_cmpx_gt_u32_e64 s63, v103
	s_cbranch_execz .LBB120_427
.LBB120_629:                            ;   in Loop: Header=BB120_418 Depth=2
	global_load_ubyte v150, v[39:40], off offset:128
	s_or_b32 exec_lo, exec_lo, s23
	s_mov_b32 s23, exec_lo
	v_cmpx_gt_u32_e64 s63, v104
	s_cbranch_execz .LBB120_428
.LBB120_630:                            ;   in Loop: Header=BB120_418 Depth=2
	global_load_ubyte v143, v[39:40], off offset:160
	s_or_b32 exec_lo, exec_lo, s23
	s_mov_b32 s23, exec_lo
	v_cmpx_gt_u32_e64 s63, v105
	s_cbranch_execz .LBB120_429
.LBB120_631:                            ;   in Loop: Header=BB120_418 Depth=2
	global_load_ubyte v144, v[39:40], off offset:192
	s_or_b32 exec_lo, exec_lo, s23
	s_mov_b32 s23, exec_lo
	v_cmpx_gt_u32_e64 s63, v106
	s_cbranch_execz .LBB120_430
.LBB120_632:                            ;   in Loop: Header=BB120_418 Depth=2
	global_load_ubyte v145, v[39:40], off offset:224
	s_or_b32 exec_lo, exec_lo, s23
	s_mov_b32 s23, exec_lo
	v_cmpx_gt_u32_e64 s63, v107
	s_cbranch_execz .LBB120_431
.LBB120_633:                            ;   in Loop: Header=BB120_418 Depth=2
	global_load_ubyte v142, v[39:40], off offset:256
	s_or_b32 exec_lo, exec_lo, s23
	s_mov_b32 s23, exec_lo
	v_cmpx_gt_u32_e64 s63, v108
	s_cbranch_execz .LBB120_432
.LBB120_634:                            ;   in Loop: Header=BB120_418 Depth=2
	global_load_ubyte v139, v[39:40], off offset:288
	s_or_b32 exec_lo, exec_lo, s23
	s_mov_b32 s23, exec_lo
	v_cmpx_gt_u32_e64 s63, v109
	s_cbranch_execz .LBB120_433
.LBB120_635:                            ;   in Loop: Header=BB120_418 Depth=2
	global_load_ubyte v140, v[39:40], off offset:320
	s_or_b32 exec_lo, exec_lo, s23
	s_mov_b32 s23, exec_lo
	v_cmpx_gt_u32_e64 s63, v110
	s_cbranch_execz .LBB120_434
.LBB120_636:                            ;   in Loop: Header=BB120_418 Depth=2
	global_load_ubyte v141, v[39:40], off offset:352
	s_or_b32 exec_lo, exec_lo, s23
	s_mov_b32 s23, exec_lo
	v_cmpx_gt_u32_e64 s63, v111
	s_cbranch_execz .LBB120_435
.LBB120_637:                            ;   in Loop: Header=BB120_418 Depth=2
	global_load_ubyte v137, v[39:40], off offset:384
	s_or_b32 exec_lo, exec_lo, s23
	s_mov_b32 s23, exec_lo
	v_cmpx_gt_u32_e64 s63, v112
	s_cbranch_execz .LBB120_436
.LBB120_638:                            ;   in Loop: Header=BB120_418 Depth=2
	global_load_ubyte v3, v[39:40], off offset:416
	s_or_b32 exec_lo, exec_lo, s23
	s_mov_b32 s23, exec_lo
	v_cmpx_gt_u32_e64 s63, v113
	s_cbranch_execz .LBB120_437
.LBB120_639:                            ;   in Loop: Header=BB120_418 Depth=2
	global_load_ubyte v41, v[39:40], off offset:448
	s_or_b32 exec_lo, exec_lo, s23
	s_mov_b32 s23, exec_lo
	v_cmpx_gt_u32_e64 s63, v114
	s_cbranch_execnz .LBB120_438
	s_branch .LBB120_439
.LBB120_640:                            ;   in Loop: Header=BB120_20 Depth=1
	s_waitcnt lgkmcnt(0)
	s_barrier
.LBB120_641:                            ;   in Loop: Header=BB120_20 Depth=1
	s_mov_b32 s5, 0
.LBB120_642:                            ;   in Loop: Header=BB120_20 Depth=1
	s_andn2_b32 vcc_lo, exec_lo, s5
	s_cbranch_vccnz .LBB120_19
; %bb.643:                              ;   in Loop: Header=BB120_20 Depth=1
	s_and_b32 vcc_lo, exec_lo, s43
	s_mov_b32 s5, -1
	s_cbranch_vccz .LBB120_953
; %bb.644:                              ;   in Loop: Header=BB120_20 Depth=1
	v_mov_b32_e32 v17, 0
	v_mov_b32_e32 v20, 0
	;; [unrolled: 1-line block ×17, first 2 shown]
	s_mov_b32 s5, s60
	s_mov_b32 s17, s58
	s_barrier
	buffer_gl0_inv
	s_branch .LBB120_646
.LBB120_645:                            ;   in Loop: Header=BB120_646 Depth=2
	s_or_b32 exec_lo, exec_lo, s16
	s_addk_i32 s5, 0xef00
	s_cmp_ge_u32 s15, s59
	s_mov_b32 s17, s15
	s_cbranch_scc1 .LBB120_718
.LBB120_646:                            ;   Parent Loop BB120_20 Depth=1
                                        ; =>  This Inner Loop Header: Depth=2
	s_add_i32 s15, s17, 0x1100
	s_mov_b32 s16, -1
	s_cmp_gt_u32 s15, s59
                                        ; implicit-def: $vgpr21
                                        ; implicit-def: $vgpr22
                                        ; implicit-def: $vgpr23
                                        ; implicit-def: $vgpr24
                                        ; implicit-def: $vgpr25
                                        ; implicit-def: $vgpr26
                                        ; implicit-def: $vgpr27
                                        ; implicit-def: $vgpr28
                                        ; implicit-def: $vgpr29
                                        ; implicit-def: $vgpr30
                                        ; implicit-def: $vgpr31
                                        ; implicit-def: $vgpr32
                                        ; implicit-def: $vgpr33
                                        ; implicit-def: $vgpr34
                                        ; implicit-def: $vgpr35
                                        ; implicit-def: $vgpr36
                                        ; implicit-def: $vgpr37
	s_cbranch_scc1 .LBB120_648
; %bb.647:                              ;   in Loop: Header=BB120_646 Depth=2
	v_add_co_u32 v38, vcc_lo, v82, s17
	v_add_co_ci_u32_e64 v39, null, 0, v83, vcc_lo
	s_mov_b32 s16, 0
	v_add_co_u32 v21, vcc_lo, 0x800, v38
	v_add_co_ci_u32_e64 v22, null, 0, v39, vcc_lo
	v_add_co_u32 v23, vcc_lo, 0x1000, v38
	v_add_co_ci_u32_e64 v24, null, 0, v39, vcc_lo
	s_clause 0x10
	global_load_ubyte v36, v[21:22], off offset:1792
	global_load_ubyte v37, v[23:24], off
	global_load_ubyte v35, v[21:22], off offset:1536
	global_load_ubyte v34, v[21:22], off offset:1280
	;; [unrolled: 1-line block ×6, first 2 shown]
	global_load_ubyte v29, v[21:22], off
	global_load_ubyte v28, v[38:39], off offset:1792
	global_load_ubyte v27, v[38:39], off offset:1536
	global_load_ubyte v26, v[38:39], off offset:1280
	global_load_ubyte v25, v[38:39], off offset:1024
	global_load_ubyte v24, v[38:39], off offset:768
	global_load_ubyte v23, v[38:39], off offset:512
	global_load_ubyte v22, v[38:39], off offset:256
	global_load_ubyte v21, v[38:39], off
.LBB120_648:                            ;   in Loop: Header=BB120_646 Depth=2
	s_andn2_b32 vcc_lo, exec_lo, s16
	s_movk_i32 s16, 0x1100
	s_cbranch_vccnz .LBB120_668
; %bb.649:                              ;   in Loop: Header=BB120_646 Depth=2
	s_add_u32 s16, s44, s17
	s_addc_u32 s17, s45, 0
	s_mov_b32 s18, exec_lo
	v_cmpx_gt_u32_e64 s5, v0
	s_cbranch_execnz .LBB120_702
; %bb.650:                              ;   in Loop: Header=BB120_646 Depth=2
	s_or_b32 exec_lo, exec_lo, s18
	s_mov_b32 s18, exec_lo
	v_cmpx_gt_u32_e64 s5, v44
	s_cbranch_execnz .LBB120_703
.LBB120_651:                            ;   in Loop: Header=BB120_646 Depth=2
	s_or_b32 exec_lo, exec_lo, s18
	s_mov_b32 s18, exec_lo
	v_cmpx_gt_u32_e64 s5, v47
	s_cbranch_execnz .LBB120_704
.LBB120_652:                            ;   in Loop: Header=BB120_646 Depth=2
	s_or_b32 exec_lo, exec_lo, s18
	s_mov_b32 s18, exec_lo
	v_cmpx_gt_u32_e64 s5, v48
	s_cbranch_execnz .LBB120_705
.LBB120_653:                            ;   in Loop: Header=BB120_646 Depth=2
	s_or_b32 exec_lo, exec_lo, s18
	s_mov_b32 s18, exec_lo
	v_cmpx_gt_u32_e64 s5, v49
	s_cbranch_execnz .LBB120_706
.LBB120_654:                            ;   in Loop: Header=BB120_646 Depth=2
	s_or_b32 exec_lo, exec_lo, s18
	s_mov_b32 s18, exec_lo
	v_cmpx_gt_u32_e64 s5, v50
	s_cbranch_execnz .LBB120_707
.LBB120_655:                            ;   in Loop: Header=BB120_646 Depth=2
	s_or_b32 exec_lo, exec_lo, s18
	s_mov_b32 s18, exec_lo
	v_cmpx_gt_u32_e64 s5, v51
	s_cbranch_execnz .LBB120_708
.LBB120_656:                            ;   in Loop: Header=BB120_646 Depth=2
	s_or_b32 exec_lo, exec_lo, s18
	s_mov_b32 s18, exec_lo
	v_cmpx_gt_u32_e64 s5, v52
	s_cbranch_execnz .LBB120_709
.LBB120_657:                            ;   in Loop: Header=BB120_646 Depth=2
	s_or_b32 exec_lo, exec_lo, s18
	s_mov_b32 s18, exec_lo
	v_cmpx_gt_u32_e64 s5, v53
	s_cbranch_execnz .LBB120_710
.LBB120_658:                            ;   in Loop: Header=BB120_646 Depth=2
	s_or_b32 exec_lo, exec_lo, s18
	s_mov_b32 s18, exec_lo
	v_cmpx_gt_u32_e64 s5, v54
	s_cbranch_execnz .LBB120_711
.LBB120_659:                            ;   in Loop: Header=BB120_646 Depth=2
	s_or_b32 exec_lo, exec_lo, s18
	s_mov_b32 s18, exec_lo
	v_cmpx_gt_u32_e64 s5, v55
	s_cbranch_execnz .LBB120_712
.LBB120_660:                            ;   in Loop: Header=BB120_646 Depth=2
	s_or_b32 exec_lo, exec_lo, s18
	s_mov_b32 s18, exec_lo
	v_cmpx_gt_u32_e64 s5, v56
	s_cbranch_execnz .LBB120_713
.LBB120_661:                            ;   in Loop: Header=BB120_646 Depth=2
	s_or_b32 exec_lo, exec_lo, s18
	s_mov_b32 s18, exec_lo
	v_cmpx_gt_u32_e64 s5, v57
	s_cbranch_execnz .LBB120_714
.LBB120_662:                            ;   in Loop: Header=BB120_646 Depth=2
	s_or_b32 exec_lo, exec_lo, s18
	s_mov_b32 s18, exec_lo
	v_cmpx_gt_u32_e64 s5, v58
	s_cbranch_execnz .LBB120_715
.LBB120_663:                            ;   in Loop: Header=BB120_646 Depth=2
	s_or_b32 exec_lo, exec_lo, s18
	s_mov_b32 s18, exec_lo
	v_cmpx_gt_u32_e64 s5, v59
	s_cbranch_execnz .LBB120_716
.LBB120_664:                            ;   in Loop: Header=BB120_646 Depth=2
	s_or_b32 exec_lo, exec_lo, s18
	s_mov_b32 s18, exec_lo
	v_cmpx_gt_u32_e64 s5, v60
	s_cbranch_execnz .LBB120_717
.LBB120_665:                            ;   in Loop: Header=BB120_646 Depth=2
	s_or_b32 exec_lo, exec_lo, s18
	s_mov_b32 s18, exec_lo
	v_cmpx_gt_u32_e64 s5, v61
	s_cbranch_execz .LBB120_667
.LBB120_666:                            ;   in Loop: Header=BB120_646 Depth=2
	s_waitcnt vmcnt(0)
	v_add_co_u32 v21, s16, s16, v61
	v_add_co_ci_u32_e64 v22, null, s17, 0, s16
	global_load_ubyte v3, v[21:22], off
.LBB120_667:                            ;   in Loop: Header=BB120_646 Depth=2
	s_or_b32 exec_lo, exec_lo, s18
	s_waitcnt vmcnt(0)
	v_mov_b32_e32 v21, v17
	v_mov_b32_e32 v22, v20
	;; [unrolled: 1-line block ×17, first 2 shown]
	s_mov_b32 s16, s5
.LBB120_668:                            ;   in Loop: Header=BB120_646 Depth=2
	s_waitcnt vmcnt(15)
	v_mov_b32_e32 v3, v37
	v_mov_b32_e32 v5, v36
	s_waitcnt vmcnt(14)
	v_mov_b32_e32 v6, v35
	s_waitcnt vmcnt(13)
	;; [unrolled: 2-line block ×15, first 2 shown]
	v_mov_b32_e32 v17, v21
	s_mov_b32 s17, exec_lo
	v_cmpx_gt_u32_e64 s16, v0
	s_cbranch_execnz .LBB120_685
; %bb.669:                              ;   in Loop: Header=BB120_646 Depth=2
	s_or_b32 exec_lo, exec_lo, s17
	s_mov_b32 s17, exec_lo
	v_cmpx_gt_u32_e64 s16, v44
	s_cbranch_execnz .LBB120_686
.LBB120_670:                            ;   in Loop: Header=BB120_646 Depth=2
	s_or_b32 exec_lo, exec_lo, s17
	s_mov_b32 s17, exec_lo
	v_cmpx_gt_u32_e64 s16, v47
	s_cbranch_execnz .LBB120_687
.LBB120_671:                            ;   in Loop: Header=BB120_646 Depth=2
	s_or_b32 exec_lo, exec_lo, s17
	s_mov_b32 s17, exec_lo
	v_cmpx_gt_u32_e64 s16, v48
	s_cbranch_execnz .LBB120_688
.LBB120_672:                            ;   in Loop: Header=BB120_646 Depth=2
	s_or_b32 exec_lo, exec_lo, s17
	s_mov_b32 s17, exec_lo
	v_cmpx_gt_u32_e64 s16, v49
	s_cbranch_execnz .LBB120_689
.LBB120_673:                            ;   in Loop: Header=BB120_646 Depth=2
	s_or_b32 exec_lo, exec_lo, s17
	s_mov_b32 s17, exec_lo
	v_cmpx_gt_u32_e64 s16, v50
	s_cbranch_execnz .LBB120_690
.LBB120_674:                            ;   in Loop: Header=BB120_646 Depth=2
	s_or_b32 exec_lo, exec_lo, s17
	s_mov_b32 s17, exec_lo
	v_cmpx_gt_u32_e64 s16, v51
	s_cbranch_execnz .LBB120_691
.LBB120_675:                            ;   in Loop: Header=BB120_646 Depth=2
	s_or_b32 exec_lo, exec_lo, s17
	s_mov_b32 s17, exec_lo
	v_cmpx_gt_u32_e64 s16, v52
	s_cbranch_execnz .LBB120_692
.LBB120_676:                            ;   in Loop: Header=BB120_646 Depth=2
	s_or_b32 exec_lo, exec_lo, s17
	s_mov_b32 s17, exec_lo
	v_cmpx_gt_u32_e64 s16, v53
	s_cbranch_execnz .LBB120_693
.LBB120_677:                            ;   in Loop: Header=BB120_646 Depth=2
	s_or_b32 exec_lo, exec_lo, s17
	s_mov_b32 s17, exec_lo
	v_cmpx_gt_u32_e64 s16, v54
	s_cbranch_execnz .LBB120_694
.LBB120_678:                            ;   in Loop: Header=BB120_646 Depth=2
	s_or_b32 exec_lo, exec_lo, s17
	s_mov_b32 s17, exec_lo
	v_cmpx_gt_u32_e64 s16, v55
	s_cbranch_execnz .LBB120_695
.LBB120_679:                            ;   in Loop: Header=BB120_646 Depth=2
	s_or_b32 exec_lo, exec_lo, s17
	s_mov_b32 s17, exec_lo
	v_cmpx_gt_u32_e64 s16, v56
	s_cbranch_execnz .LBB120_696
.LBB120_680:                            ;   in Loop: Header=BB120_646 Depth=2
	s_or_b32 exec_lo, exec_lo, s17
	s_mov_b32 s17, exec_lo
	v_cmpx_gt_u32_e64 s16, v57
	s_cbranch_execnz .LBB120_697
.LBB120_681:                            ;   in Loop: Header=BB120_646 Depth=2
	s_or_b32 exec_lo, exec_lo, s17
	s_mov_b32 s17, exec_lo
	v_cmpx_gt_u32_e64 s16, v58
	s_cbranch_execnz .LBB120_698
.LBB120_682:                            ;   in Loop: Header=BB120_646 Depth=2
	s_or_b32 exec_lo, exec_lo, s17
	s_mov_b32 s17, exec_lo
	v_cmpx_gt_u32_e64 s16, v59
	s_cbranch_execnz .LBB120_699
.LBB120_683:                            ;   in Loop: Header=BB120_646 Depth=2
	s_or_b32 exec_lo, exec_lo, s17
	s_mov_b32 s17, exec_lo
	v_cmpx_gt_u32_e64 s16, v60
	s_cbranch_execnz .LBB120_700
.LBB120_684:                            ;   in Loop: Header=BB120_646 Depth=2
	s_or_b32 exec_lo, exec_lo, s17
	v_cmp_gt_u32_e32 vcc_lo, s16, v61
	s_and_saveexec_b32 s16, vcc_lo
	s_cbranch_execz .LBB120_645
	s_branch .LBB120_701
.LBB120_685:                            ;   in Loop: Header=BB120_646 Depth=2
	v_xor_b32_e32 v21, -1, v17
	v_lshrrev_b32_sdwa v21, s41, v21 dst_sel:DWORD dst_unused:UNUSED_PAD src0_sel:DWORD src1_sel:BYTE_0
	v_and_b32_e32 v21, s62, v21
	v_lshl_or_b32 v21, v21, 4, v63
	ds_add_u32 v21, v89
	s_or_b32 exec_lo, exec_lo, s17
	s_mov_b32 s17, exec_lo
	v_cmpx_gt_u32_e64 s16, v44
	s_cbranch_execz .LBB120_670
.LBB120_686:                            ;   in Loop: Header=BB120_646 Depth=2
	v_xor_b32_e32 v21, -1, v20
	v_lshrrev_b32_sdwa v21, s41, v21 dst_sel:DWORD dst_unused:UNUSED_PAD src0_sel:DWORD src1_sel:BYTE_0
	v_and_b32_e32 v21, s62, v21
	v_lshl_or_b32 v21, v21, 4, v63
	ds_add_u32 v21, v89
	s_or_b32 exec_lo, exec_lo, s17
	s_mov_b32 s17, exec_lo
	v_cmpx_gt_u32_e64 s16, v47
	s_cbranch_execz .LBB120_671
.LBB120_687:                            ;   in Loop: Header=BB120_646 Depth=2
	v_xor_b32_e32 v21, -1, v19
	v_lshrrev_b32_sdwa v21, s41, v21 dst_sel:DWORD dst_unused:UNUSED_PAD src0_sel:DWORD src1_sel:BYTE_0
	v_and_b32_e32 v21, s62, v21
	v_lshl_or_b32 v21, v21, 4, v63
	ds_add_u32 v21, v89
	s_or_b32 exec_lo, exec_lo, s17
	s_mov_b32 s17, exec_lo
	v_cmpx_gt_u32_e64 s16, v48
	s_cbranch_execz .LBB120_672
.LBB120_688:                            ;   in Loop: Header=BB120_646 Depth=2
	v_xor_b32_e32 v21, -1, v18
	v_lshrrev_b32_sdwa v21, s41, v21 dst_sel:DWORD dst_unused:UNUSED_PAD src0_sel:DWORD src1_sel:BYTE_0
	v_and_b32_e32 v21, s62, v21
	v_lshl_or_b32 v21, v21, 4, v63
	ds_add_u32 v21, v89
	s_or_b32 exec_lo, exec_lo, s17
	s_mov_b32 s17, exec_lo
	v_cmpx_gt_u32_e64 s16, v49
	s_cbranch_execz .LBB120_673
.LBB120_689:                            ;   in Loop: Header=BB120_646 Depth=2
	v_xor_b32_e32 v21, -1, v16
	v_lshrrev_b32_sdwa v21, s41, v21 dst_sel:DWORD dst_unused:UNUSED_PAD src0_sel:DWORD src1_sel:BYTE_0
	v_and_b32_e32 v21, s62, v21
	v_lshl_or_b32 v21, v21, 4, v63
	ds_add_u32 v21, v89
	s_or_b32 exec_lo, exec_lo, s17
	s_mov_b32 s17, exec_lo
	v_cmpx_gt_u32_e64 s16, v50
	s_cbranch_execz .LBB120_674
.LBB120_690:                            ;   in Loop: Header=BB120_646 Depth=2
	v_xor_b32_e32 v21, -1, v15
	v_lshrrev_b32_sdwa v21, s41, v21 dst_sel:DWORD dst_unused:UNUSED_PAD src0_sel:DWORD src1_sel:BYTE_0
	v_and_b32_e32 v21, s62, v21
	v_lshl_or_b32 v21, v21, 4, v63
	ds_add_u32 v21, v89
	s_or_b32 exec_lo, exec_lo, s17
	s_mov_b32 s17, exec_lo
	v_cmpx_gt_u32_e64 s16, v51
	s_cbranch_execz .LBB120_675
.LBB120_691:                            ;   in Loop: Header=BB120_646 Depth=2
	v_xor_b32_e32 v21, -1, v14
	v_lshrrev_b32_sdwa v21, s41, v21 dst_sel:DWORD dst_unused:UNUSED_PAD src0_sel:DWORD src1_sel:BYTE_0
	v_and_b32_e32 v21, s62, v21
	v_lshl_or_b32 v21, v21, 4, v63
	ds_add_u32 v21, v89
	s_or_b32 exec_lo, exec_lo, s17
	s_mov_b32 s17, exec_lo
	v_cmpx_gt_u32_e64 s16, v52
	s_cbranch_execz .LBB120_676
.LBB120_692:                            ;   in Loop: Header=BB120_646 Depth=2
	v_xor_b32_e32 v21, -1, v13
	v_lshrrev_b32_sdwa v21, s41, v21 dst_sel:DWORD dst_unused:UNUSED_PAD src0_sel:DWORD src1_sel:BYTE_0
	v_and_b32_e32 v21, s62, v21
	v_lshl_or_b32 v21, v21, 4, v63
	ds_add_u32 v21, v89
	s_or_b32 exec_lo, exec_lo, s17
	s_mov_b32 s17, exec_lo
	v_cmpx_gt_u32_e64 s16, v53
	s_cbranch_execz .LBB120_677
.LBB120_693:                            ;   in Loop: Header=BB120_646 Depth=2
	v_xor_b32_e32 v21, -1, v12
	v_lshrrev_b32_sdwa v21, s41, v21 dst_sel:DWORD dst_unused:UNUSED_PAD src0_sel:DWORD src1_sel:BYTE_0
	v_and_b32_e32 v21, s62, v21
	v_lshl_or_b32 v21, v21, 4, v63
	ds_add_u32 v21, v89
	s_or_b32 exec_lo, exec_lo, s17
	s_mov_b32 s17, exec_lo
	v_cmpx_gt_u32_e64 s16, v54
	s_cbranch_execz .LBB120_678
.LBB120_694:                            ;   in Loop: Header=BB120_646 Depth=2
	v_xor_b32_e32 v21, -1, v11
	v_lshrrev_b32_sdwa v21, s41, v21 dst_sel:DWORD dst_unused:UNUSED_PAD src0_sel:DWORD src1_sel:BYTE_0
	v_and_b32_e32 v21, s62, v21
	v_lshl_or_b32 v21, v21, 4, v63
	ds_add_u32 v21, v89
	s_or_b32 exec_lo, exec_lo, s17
	s_mov_b32 s17, exec_lo
	v_cmpx_gt_u32_e64 s16, v55
	s_cbranch_execz .LBB120_679
.LBB120_695:                            ;   in Loop: Header=BB120_646 Depth=2
	v_xor_b32_e32 v21, -1, v10
	v_lshrrev_b32_sdwa v21, s41, v21 dst_sel:DWORD dst_unused:UNUSED_PAD src0_sel:DWORD src1_sel:BYTE_0
	v_and_b32_e32 v21, s62, v21
	v_lshl_or_b32 v21, v21, 4, v63
	ds_add_u32 v21, v89
	s_or_b32 exec_lo, exec_lo, s17
	s_mov_b32 s17, exec_lo
	v_cmpx_gt_u32_e64 s16, v56
	s_cbranch_execz .LBB120_680
.LBB120_696:                            ;   in Loop: Header=BB120_646 Depth=2
	v_xor_b32_e32 v21, -1, v9
	v_lshrrev_b32_sdwa v21, s41, v21 dst_sel:DWORD dst_unused:UNUSED_PAD src0_sel:DWORD src1_sel:BYTE_0
	v_and_b32_e32 v21, s62, v21
	v_lshl_or_b32 v21, v21, 4, v63
	ds_add_u32 v21, v89
	s_or_b32 exec_lo, exec_lo, s17
	s_mov_b32 s17, exec_lo
	v_cmpx_gt_u32_e64 s16, v57
	s_cbranch_execz .LBB120_681
.LBB120_697:                            ;   in Loop: Header=BB120_646 Depth=2
	v_xor_b32_e32 v21, -1, v8
	v_lshrrev_b32_sdwa v21, s41, v21 dst_sel:DWORD dst_unused:UNUSED_PAD src0_sel:DWORD src1_sel:BYTE_0
	v_and_b32_e32 v21, s62, v21
	v_lshl_or_b32 v21, v21, 4, v63
	ds_add_u32 v21, v89
	s_or_b32 exec_lo, exec_lo, s17
	s_mov_b32 s17, exec_lo
	v_cmpx_gt_u32_e64 s16, v58
	s_cbranch_execz .LBB120_682
.LBB120_698:                            ;   in Loop: Header=BB120_646 Depth=2
	v_xor_b32_e32 v21, -1, v7
	v_lshrrev_b32_sdwa v21, s41, v21 dst_sel:DWORD dst_unused:UNUSED_PAD src0_sel:DWORD src1_sel:BYTE_0
	v_and_b32_e32 v21, s62, v21
	v_lshl_or_b32 v21, v21, 4, v63
	ds_add_u32 v21, v89
	s_or_b32 exec_lo, exec_lo, s17
	s_mov_b32 s17, exec_lo
	v_cmpx_gt_u32_e64 s16, v59
	s_cbranch_execz .LBB120_683
.LBB120_699:                            ;   in Loop: Header=BB120_646 Depth=2
	v_xor_b32_e32 v21, -1, v6
	v_lshrrev_b32_sdwa v21, s41, v21 dst_sel:DWORD dst_unused:UNUSED_PAD src0_sel:DWORD src1_sel:BYTE_0
	v_and_b32_e32 v21, s62, v21
	v_lshl_or_b32 v21, v21, 4, v63
	ds_add_u32 v21, v89
	s_or_b32 exec_lo, exec_lo, s17
	s_mov_b32 s17, exec_lo
	v_cmpx_gt_u32_e64 s16, v60
	s_cbranch_execz .LBB120_684
.LBB120_700:                            ;   in Loop: Header=BB120_646 Depth=2
	v_xor_b32_e32 v21, -1, v5
	v_lshrrev_b32_sdwa v21, s41, v21 dst_sel:DWORD dst_unused:UNUSED_PAD src0_sel:DWORD src1_sel:BYTE_0
	v_and_b32_e32 v21, s62, v21
	v_lshl_or_b32 v21, v21, 4, v63
	ds_add_u32 v21, v89
	s_or_b32 exec_lo, exec_lo, s17
	v_cmp_gt_u32_e32 vcc_lo, s16, v61
	s_and_saveexec_b32 s16, vcc_lo
	s_cbranch_execz .LBB120_645
.LBB120_701:                            ;   in Loop: Header=BB120_646 Depth=2
	v_xor_b32_e32 v21, -1, v3
	v_lshrrev_b32_sdwa v21, s41, v21 dst_sel:DWORD dst_unused:UNUSED_PAD src0_sel:DWORD src1_sel:BYTE_0
	v_and_b32_e32 v21, s62, v21
	v_lshl_or_b32 v21, v21, 4, v63
	ds_add_u32 v21, v89
	s_branch .LBB120_645
.LBB120_702:                            ;   in Loop: Header=BB120_646 Depth=2
	s_waitcnt vmcnt(0)
	v_add_co_u32 v21, s19, s16, v0
	v_add_co_ci_u32_e64 v22, null, s17, 0, s19
	global_load_ubyte v17, v[21:22], off
	s_or_b32 exec_lo, exec_lo, s18
	s_mov_b32 s18, exec_lo
	v_cmpx_gt_u32_e64 s5, v44
	s_cbranch_execz .LBB120_651
.LBB120_703:                            ;   in Loop: Header=BB120_646 Depth=2
	v_add_co_u32 v20, s19, s16, v0
	s_waitcnt vmcnt(0)
	v_add_co_ci_u32_e64 v21, null, s17, 0, s19
	global_load_ubyte v20, v[20:21], off offset:256
	s_or_b32 exec_lo, exec_lo, s18
	s_mov_b32 s18, exec_lo
	v_cmpx_gt_u32_e64 s5, v47
	s_cbranch_execz .LBB120_652
.LBB120_704:                            ;   in Loop: Header=BB120_646 Depth=2
	s_waitcnt vmcnt(0)
	v_add_co_u32 v21, s19, s16, v0
	v_add_co_ci_u32_e64 v22, null, s17, 0, s19
	global_load_ubyte v19, v[21:22], off offset:512
	s_or_b32 exec_lo, exec_lo, s18
	s_mov_b32 s18, exec_lo
	v_cmpx_gt_u32_e64 s5, v48
	s_cbranch_execz .LBB120_653
.LBB120_705:                            ;   in Loop: Header=BB120_646 Depth=2
	s_waitcnt vmcnt(0)
	v_add_co_u32 v21, s19, s16, v0
	v_add_co_ci_u32_e64 v22, null, s17, 0, s19
	global_load_ubyte v18, v[21:22], off offset:768
	s_or_b32 exec_lo, exec_lo, s18
	s_mov_b32 s18, exec_lo
	v_cmpx_gt_u32_e64 s5, v49
	s_cbranch_execz .LBB120_654
.LBB120_706:                            ;   in Loop: Header=BB120_646 Depth=2
	s_waitcnt vmcnt(0)
	v_add_co_u32 v21, s19, s16, v0
	v_add_co_ci_u32_e64 v22, null, s17, 0, s19
	global_load_ubyte v16, v[21:22], off offset:1024
	s_or_b32 exec_lo, exec_lo, s18
	s_mov_b32 s18, exec_lo
	v_cmpx_gt_u32_e64 s5, v50
	s_cbranch_execz .LBB120_655
.LBB120_707:                            ;   in Loop: Header=BB120_646 Depth=2
	s_waitcnt vmcnt(0)
	v_add_co_u32 v21, s19, s16, v0
	v_add_co_ci_u32_e64 v22, null, s17, 0, s19
	global_load_ubyte v15, v[21:22], off offset:1280
	s_or_b32 exec_lo, exec_lo, s18
	s_mov_b32 s18, exec_lo
	v_cmpx_gt_u32_e64 s5, v51
	s_cbranch_execz .LBB120_656
.LBB120_708:                            ;   in Loop: Header=BB120_646 Depth=2
	s_waitcnt vmcnt(0)
	v_add_co_u32 v21, s19, s16, v0
	v_add_co_ci_u32_e64 v22, null, s17, 0, s19
	global_load_ubyte v14, v[21:22], off offset:1536
	s_or_b32 exec_lo, exec_lo, s18
	s_mov_b32 s18, exec_lo
	v_cmpx_gt_u32_e64 s5, v52
	s_cbranch_execz .LBB120_657
.LBB120_709:                            ;   in Loop: Header=BB120_646 Depth=2
	s_waitcnt vmcnt(0)
	v_add_co_u32 v21, s19, s16, v0
	v_add_co_ci_u32_e64 v22, null, s17, 0, s19
	global_load_ubyte v13, v[21:22], off offset:1792
	s_or_b32 exec_lo, exec_lo, s18
	s_mov_b32 s18, exec_lo
	v_cmpx_gt_u32_e64 s5, v53
	s_cbranch_execz .LBB120_658
.LBB120_710:                            ;   in Loop: Header=BB120_646 Depth=2
	s_waitcnt vmcnt(0)
	v_add_co_u32 v21, s19, s16, v53
	v_add_co_ci_u32_e64 v22, null, s17, 0, s19
	global_load_ubyte v12, v[21:22], off
	s_or_b32 exec_lo, exec_lo, s18
	s_mov_b32 s18, exec_lo
	v_cmpx_gt_u32_e64 s5, v54
	s_cbranch_execz .LBB120_659
.LBB120_711:                            ;   in Loop: Header=BB120_646 Depth=2
	s_waitcnt vmcnt(0)
	v_add_co_u32 v21, s19, s16, v54
	v_add_co_ci_u32_e64 v22, null, s17, 0, s19
	global_load_ubyte v11, v[21:22], off
	s_or_b32 exec_lo, exec_lo, s18
	s_mov_b32 s18, exec_lo
	v_cmpx_gt_u32_e64 s5, v55
	s_cbranch_execz .LBB120_660
.LBB120_712:                            ;   in Loop: Header=BB120_646 Depth=2
	s_waitcnt vmcnt(0)
	v_add_co_u32 v21, s19, s16, v55
	v_add_co_ci_u32_e64 v22, null, s17, 0, s19
	global_load_ubyte v10, v[21:22], off
	s_or_b32 exec_lo, exec_lo, s18
	s_mov_b32 s18, exec_lo
	v_cmpx_gt_u32_e64 s5, v56
	s_cbranch_execz .LBB120_661
.LBB120_713:                            ;   in Loop: Header=BB120_646 Depth=2
	s_waitcnt vmcnt(0)
	v_add_co_u32 v21, s19, s16, v56
	v_add_co_ci_u32_e64 v22, null, s17, 0, s19
	global_load_ubyte v9, v[21:22], off
	s_or_b32 exec_lo, exec_lo, s18
	s_mov_b32 s18, exec_lo
	v_cmpx_gt_u32_e64 s5, v57
	s_cbranch_execz .LBB120_662
.LBB120_714:                            ;   in Loop: Header=BB120_646 Depth=2
	s_waitcnt vmcnt(0)
	v_add_co_u32 v21, s19, s16, v57
	v_add_co_ci_u32_e64 v22, null, s17, 0, s19
	global_load_ubyte v8, v[21:22], off
	s_or_b32 exec_lo, exec_lo, s18
	s_mov_b32 s18, exec_lo
	v_cmpx_gt_u32_e64 s5, v58
	s_cbranch_execz .LBB120_663
.LBB120_715:                            ;   in Loop: Header=BB120_646 Depth=2
	s_waitcnt vmcnt(0)
	v_add_co_u32 v21, s19, s16, v58
	v_add_co_ci_u32_e64 v22, null, s17, 0, s19
	global_load_ubyte v7, v[21:22], off
	s_or_b32 exec_lo, exec_lo, s18
	s_mov_b32 s18, exec_lo
	v_cmpx_gt_u32_e64 s5, v59
	s_cbranch_execz .LBB120_664
.LBB120_716:                            ;   in Loop: Header=BB120_646 Depth=2
	s_waitcnt vmcnt(0)
	v_add_co_u32 v21, s19, s16, v59
	v_add_co_ci_u32_e64 v22, null, s17, 0, s19
	global_load_ubyte v6, v[21:22], off
	s_or_b32 exec_lo, exec_lo, s18
	s_mov_b32 s18, exec_lo
	v_cmpx_gt_u32_e64 s5, v60
	s_cbranch_execz .LBB120_665
.LBB120_717:                            ;   in Loop: Header=BB120_646 Depth=2
	s_waitcnt vmcnt(0)
	v_add_co_u32 v21, s19, s16, v60
	v_add_co_ci_u32_e64 v22, null, s17, 0, s19
	global_load_ubyte v5, v[21:22], off
	s_or_b32 exec_lo, exec_lo, s18
	s_mov_b32 s18, exec_lo
	v_cmpx_gt_u32_e64 s5, v61
	s_cbranch_execnz .LBB120_666
	s_branch .LBB120_667
.LBB120_718:                            ;   in Loop: Header=BB120_20 Depth=1
	v_mov_b32_e32 v3, 0
	s_waitcnt lgkmcnt(0)
	s_barrier
	buffer_gl0_inv
	s_and_saveexec_b32 s5, s8
	s_cbranch_execz .LBB120_720
; %bb.719:                              ;   in Loop: Header=BB120_20 Depth=1
	ds_read2_b64 v[5:8], v64 offset1:1
	s_waitcnt lgkmcnt(0)
	v_add_nc_u32_e32 v3, v6, v5
	v_add3_u32 v3, v3, v7, v8
.LBB120_720:                            ;   in Loop: Header=BB120_20 Depth=1
	s_or_b32 exec_lo, exec_lo, s5
	v_and_b32_e32 v5, 15, v86
	v_mov_b32_dpp v6, v3 row_shr:1 row_mask:0xf bank_mask:0xf
	v_and_b32_e32 v7, 16, v86
	v_cmp_eq_u32_e64 s5, 0, v5
	v_cmp_lt_u32_e64 s15, 1, v5
	v_cmp_lt_u32_e64 s16, 3, v5
	;; [unrolled: 1-line block ×3, first 2 shown]
	v_cmp_eq_u32_e64 s18, 0, v7
	v_cndmask_b32_e64 v6, v6, 0, s5
	v_add_nc_u32_e32 v3, v6, v3
	v_mov_b32_dpp v6, v3 row_shr:2 row_mask:0xf bank_mask:0xf
	v_cndmask_b32_e64 v6, 0, v6, s15
	v_add_nc_u32_e32 v3, v3, v6
	v_mov_b32_dpp v6, v3 row_shr:4 row_mask:0xf bank_mask:0xf
	;; [unrolled: 3-line block ×3, first 2 shown]
	v_cndmask_b32_e64 v5, 0, v6, s17
	v_bfe_i32 v6, v86, 4, 1
	v_add_nc_u32_e32 v3, v3, v5
	ds_swizzle_b32 v5, v3 offset:swizzle(BROADCAST,32,15)
	s_waitcnt lgkmcnt(0)
	v_and_b32_e32 v5, v6, v5
	v_add_nc_u32_e32 v3, v3, v5
	s_and_saveexec_b32 s19, s9
; %bb.721:                              ;   in Loop: Header=BB120_20 Depth=1
	ds_write_b32 v65, v3
; %bb.722:                              ;   in Loop: Header=BB120_20 Depth=1
	s_or_b32 exec_lo, exec_lo, s19
	s_waitcnt lgkmcnt(0)
	s_barrier
	buffer_gl0_inv
	s_and_saveexec_b32 s19, s10
	s_cbranch_execz .LBB120_724
; %bb.723:                              ;   in Loop: Header=BB120_20 Depth=1
	ds_read_b32 v5, v66
	v_and_b32_e32 v6, 3, v86
	v_cmp_ne_u32_e32 vcc_lo, 0, v6
	s_waitcnt lgkmcnt(0)
	v_mov_b32_dpp v7, v5 row_shr:1 row_mask:0xf bank_mask:0xf
	v_cndmask_b32_e32 v7, 0, v7, vcc_lo
	v_cmp_lt_u32_e32 vcc_lo, 1, v6
	v_add_nc_u32_e32 v5, v7, v5
	v_mov_b32_dpp v7, v5 row_shr:2 row_mask:0xf bank_mask:0xf
	v_cndmask_b32_e32 v6, 0, v7, vcc_lo
	v_add_nc_u32_e32 v5, v5, v6
	ds_write_b32 v66, v5
.LBB120_724:                            ;   in Loop: Header=BB120_20 Depth=1
	s_or_b32 exec_lo, exec_lo, s19
	v_mov_b32_e32 v5, 0
	s_waitcnt lgkmcnt(0)
	s_barrier
	buffer_gl0_inv
	s_and_saveexec_b32 s19, s11
; %bb.725:                              ;   in Loop: Header=BB120_20 Depth=1
	ds_read_b32 v5, v67
; %bb.726:                              ;   in Loop: Header=BB120_20 Depth=1
	s_or_b32 exec_lo, exec_lo, s19
	v_sub_co_u32 v6, s19, v86, 1
	s_waitcnt lgkmcnt(0)
	v_add_nc_u32_e32 v3, v5, v3
	s_barrier
	v_cmp_gt_i32_e32 vcc_lo, 0, v6
	buffer_gl0_inv
	v_cndmask_b32_e32 v6, v6, v86, vcc_lo
	v_lshlrev_b32_e32 v94, 2, v6
	ds_bpermute_b32 v3, v94, v3
	s_and_saveexec_b32 s20, s8
	s_cbranch_execz .LBB120_728
; %bb.727:                              ;   in Loop: Header=BB120_20 Depth=1
	s_waitcnt lgkmcnt(0)
	v_cndmask_b32_e64 v3, v3, v5, s19
	v_add_nc_u32_e32 v3, s58, v3
	ds_write_b32 v43, v3
.LBB120_728:                            ;   in Loop: Header=BB120_20 Depth=1
	s_or_b32 exec_lo, exec_lo, s20
	s_load_dwordx2 s[20:21], s[56:57], 0x0
	v_and_b32_e32 v6, 7, v86
	v_lshlrev_b32_e32 v7, 3, v86
	v_or_b32_e32 v95, v86, v68
	v_add_co_u32 v96, vcc_lo, v87, v86
	v_add_co_ci_u32_e64 v97, null, 0, v88, vcc_lo
	v_add_co_u32 v98, vcc_lo, v84, v7
	v_add_co_ci_u32_e64 v99, null, 0, v85, vcc_lo
	v_add_nc_u32_e32 v100, 32, v95
	v_add_nc_u32_e32 v101, 64, v95
	;; [unrolled: 1-line block ×8, first 2 shown]
	s_waitcnt lgkmcnt(0)
	s_cmp_lt_u32 s7, s21
	v_add_nc_u32_e32 v108, 0x120, v95
	s_cselect_b32 s21, 14, 20
	v_add_nc_u32_e32 v109, 0x140, v95
	s_add_u32 s22, s56, s21
	s_addc_u32 s23, s57, 0
	s_cmp_lt_u32 s6, s20
	global_load_ushort v3, v4, s[22:23]
	s_cselect_b32 s20, 12, 18
	v_add_nc_u32_e32 v110, 0x160, v95
	s_add_u32 s20, s56, s20
	s_addc_u32 s21, s57, 0
	v_add_nc_u32_e32 v111, 0x180, v95
	global_load_ushort v5, v4, s[20:21]
	v_cmp_eq_u32_e64 s20, 0, v6
	v_cmp_lt_u32_e64 s21, 1, v6
	v_cmp_lt_u32_e64 s22, 3, v6
	v_add_nc_u32_e32 v112, 0x1a0, v95
	v_add_nc_u32_e32 v113, 0x1c0, v95
	;; [unrolled: 1-line block ×4, first 2 shown]
	v_mov_b32_e32 v129, 0
	s_mov_b32 s63, s60
	s_mov_b32 s50, s58
                                        ; implicit-def: $vgpr7_vgpr8
                                        ; implicit-def: $vgpr9_vgpr10
                                        ; implicit-def: $vgpr11_vgpr12
                                        ; implicit-def: $vgpr13_vgpr14
                                        ; implicit-def: $vgpr15_vgpr16
                                        ; implicit-def: $vgpr19_vgpr20
                                        ; implicit-def: $vgpr23_vgpr24
                                        ; implicit-def: $vgpr27_vgpr28
                                        ; implicit-def: $vgpr17_vgpr18
                                        ; implicit-def: $vgpr21_vgpr22
                                        ; implicit-def: $vgpr25_vgpr26
                                        ; implicit-def: $vgpr29_vgpr30
                                        ; implicit-def: $vgpr31_vgpr32
                                        ; implicit-def: $vgpr33_vgpr34
                                        ; implicit-def: $vgpr35_vgpr36
                                        ; implicit-def: $vgpr37_vgpr38
                                        ; implicit-def: $vgpr117
                                        ; implicit-def: $vgpr118
                                        ; implicit-def: $vgpr119
                                        ; implicit-def: $vgpr120
                                        ; implicit-def: $vgpr121
                                        ; implicit-def: $vgpr122
                                        ; implicit-def: $vgpr123
                                        ; implicit-def: $vgpr124
                                        ; implicit-def: $vgpr125
                                        ; implicit-def: $vgpr126
                                        ; implicit-def: $vgpr127
                                        ; implicit-def: $vgpr128
                                        ; implicit-def: $vgpr130
                                        ; implicit-def: $vgpr131
                                        ; implicit-def: $vgpr132
                                        ; implicit-def: $vgpr133
                                        ; implicit-def: $vgpr134
                                        ; implicit-def: $vgpr135
                                        ; implicit-def: $vgpr136
	s_waitcnt vmcnt(1)
	v_mad_u32_u24 v3, v2, v3, v1
	s_waitcnt vmcnt(0)
	v_mad_u64_u32 v[5:6], null, v3, v5, v[0:1]
	v_lshrrev_b32_e32 v3, 3, v5
                                        ; implicit-def: $vgpr5_vgpr6
	v_and_b32_e32 v116, 0x1ffffffc, v3
	s_branch .LBB120_730
.LBB120_729:                            ;   in Loop: Header=BB120_730 Depth=2
	s_or_b32 exec_lo, exec_lo, s23
	s_addk_i32 s63, 0xef00
	s_cmp_lt_u32 s64, s59
	s_mov_b32 s50, s64
	s_cbranch_scc0 .LBB120_952
.LBB120_730:                            ;   Parent Loop BB120_20 Depth=1
                                        ; =>  This Inner Loop Header: Depth=2
	s_add_i32 s64, s50, 0x1100
	s_cmp_gt_u32 s64, s59
	s_cbranch_scc1 .LBB120_732
; %bb.731:                              ;   in Loop: Header=BB120_730 Depth=2
	v_add_co_u32 v39, vcc_lo, v96, s50
	v_add_co_ci_u32_e64 v40, null, 0, v97, vcc_lo
	s_mov_b32 s23, -1
	s_clause 0xf
	global_load_ubyte v42, v[39:40], off offset:480
	global_load_ubyte v41, v[39:40], off offset:448
	;; [unrolled: 1-line block ×15, first 2 shown]
	global_load_ubyte v146, v[39:40], off
	s_movk_i32 s24, 0x1100
	s_cbranch_execz .LBB120_733
	s_branch .LBB120_752
.LBB120_732:                            ;   in Loop: Header=BB120_730 Depth=2
	s_mov_b32 s23, 0
                                        ; implicit-def: $vgpr146
                                        ; implicit-def: $vgpr151
                                        ; implicit-def: $vgpr147
                                        ; implicit-def: $vgpr148
                                        ; implicit-def: $vgpr150
                                        ; implicit-def: $vgpr143
                                        ; implicit-def: $vgpr144
                                        ; implicit-def: $vgpr145
                                        ; implicit-def: $vgpr142
                                        ; implicit-def: $vgpr139
                                        ; implicit-def: $vgpr140
                                        ; implicit-def: $vgpr141
                                        ; implicit-def: $vgpr137
                                        ; implicit-def: $vgpr3
                                        ; implicit-def: $vgpr41
                                        ; implicit-def: $vgpr42
                                        ; implicit-def: $vgpr129
	s_movk_i32 s24, 0x1100
.LBB120_733:                            ;   in Loop: Header=BB120_730 Depth=2
	v_add_co_u32 v39, vcc_lo, v96, s50
	v_add_co_ci_u32_e64 v40, null, 0, v97, vcc_lo
	s_waitcnt vmcnt(2)
	v_mov_b32_e32 v147, 0
	s_waitcnt vmcnt(0)
	v_mov_b32_e32 v146, 0
	v_mov_b32_e32 v148, 0
	;; [unrolled: 1-line block ×15, first 2 shown]
	s_mov_b32 s23, exec_lo
	v_cmpx_gt_u32_e64 s63, v95
	s_cbranch_execz .LBB120_735
; %bb.734:                              ;   in Loop: Header=BB120_730 Depth=2
	global_load_ubyte v146, v[39:40], off
	v_mov_b32_e32 v148, 0
	v_mov_b32_e32 v150, 0
	;; [unrolled: 1-line block ×14, first 2 shown]
.LBB120_735:                            ;   in Loop: Header=BB120_730 Depth=2
	s_or_b32 exec_lo, exec_lo, s23
	v_mov_b32_e32 v151, v147
	s_mov_b32 s23, exec_lo
	v_cmpx_gt_u32_e64 s63, v100
	s_cbranch_execnz .LBB120_938
; %bb.736:                              ;   in Loop: Header=BB120_730 Depth=2
	s_or_b32 exec_lo, exec_lo, s23
	s_mov_b32 s23, exec_lo
	v_cmpx_gt_u32_e64 s63, v101
	s_cbranch_execnz .LBB120_939
.LBB120_737:                            ;   in Loop: Header=BB120_730 Depth=2
	s_or_b32 exec_lo, exec_lo, s23
	s_mov_b32 s23, exec_lo
	v_cmpx_gt_u32_e64 s63, v102
	s_cbranch_execnz .LBB120_940
.LBB120_738:                            ;   in Loop: Header=BB120_730 Depth=2
	s_or_b32 exec_lo, exec_lo, s23
	s_mov_b32 s23, exec_lo
	v_cmpx_gt_u32_e64 s63, v103
	s_cbranch_execnz .LBB120_941
.LBB120_739:                            ;   in Loop: Header=BB120_730 Depth=2
	s_or_b32 exec_lo, exec_lo, s23
	s_mov_b32 s23, exec_lo
	v_cmpx_gt_u32_e64 s63, v104
	s_cbranch_execnz .LBB120_942
.LBB120_740:                            ;   in Loop: Header=BB120_730 Depth=2
	s_or_b32 exec_lo, exec_lo, s23
	s_mov_b32 s23, exec_lo
	v_cmpx_gt_u32_e64 s63, v105
	s_cbranch_execnz .LBB120_943
.LBB120_741:                            ;   in Loop: Header=BB120_730 Depth=2
	s_or_b32 exec_lo, exec_lo, s23
	s_mov_b32 s23, exec_lo
	v_cmpx_gt_u32_e64 s63, v106
	s_cbranch_execnz .LBB120_944
.LBB120_742:                            ;   in Loop: Header=BB120_730 Depth=2
	s_or_b32 exec_lo, exec_lo, s23
	s_mov_b32 s23, exec_lo
	v_cmpx_gt_u32_e64 s63, v107
	s_cbranch_execnz .LBB120_945
.LBB120_743:                            ;   in Loop: Header=BB120_730 Depth=2
	s_or_b32 exec_lo, exec_lo, s23
	s_mov_b32 s23, exec_lo
	v_cmpx_gt_u32_e64 s63, v108
	s_cbranch_execnz .LBB120_946
.LBB120_744:                            ;   in Loop: Header=BB120_730 Depth=2
	s_or_b32 exec_lo, exec_lo, s23
	s_mov_b32 s23, exec_lo
	v_cmpx_gt_u32_e64 s63, v109
	s_cbranch_execnz .LBB120_947
.LBB120_745:                            ;   in Loop: Header=BB120_730 Depth=2
	s_or_b32 exec_lo, exec_lo, s23
	s_mov_b32 s23, exec_lo
	v_cmpx_gt_u32_e64 s63, v110
	s_cbranch_execnz .LBB120_948
.LBB120_746:                            ;   in Loop: Header=BB120_730 Depth=2
	s_or_b32 exec_lo, exec_lo, s23
	s_mov_b32 s23, exec_lo
	v_cmpx_gt_u32_e64 s63, v111
	s_cbranch_execnz .LBB120_949
.LBB120_747:                            ;   in Loop: Header=BB120_730 Depth=2
	s_or_b32 exec_lo, exec_lo, s23
	s_mov_b32 s23, exec_lo
	v_cmpx_gt_u32_e64 s63, v112
	s_cbranch_execnz .LBB120_950
.LBB120_748:                            ;   in Loop: Header=BB120_730 Depth=2
	s_or_b32 exec_lo, exec_lo, s23
	s_mov_b32 s23, exec_lo
	v_cmpx_gt_u32_e64 s63, v113
	s_cbranch_execnz .LBB120_951
.LBB120_749:                            ;   in Loop: Header=BB120_730 Depth=2
	s_or_b32 exec_lo, exec_lo, s23
	s_mov_b32 s23, exec_lo
	v_cmpx_gt_u32_e64 s63, v114
	s_cbranch_execz .LBB120_751
.LBB120_750:                            ;   in Loop: Header=BB120_730 Depth=2
	global_load_ubyte v42, v[39:40], off offset:480
.LBB120_751:                            ;   in Loop: Header=BB120_730 Depth=2
	s_or_b32 exec_lo, exec_lo, s23
	v_cmp_gt_u32_e64 s23, s63, v115
	s_sub_i32 s24, s59, s50
.LBB120_752:                            ;   in Loop: Header=BB120_730 Depth=2
	v_mov_b32_e32 v138, s63
	s_and_saveexec_b32 s25, s23
	s_cbranch_execz .LBB120_754
; %bb.753:                              ;   in Loop: Header=BB120_730 Depth=2
	v_add_co_u32 v39, vcc_lo, v96, s50
	v_add_co_ci_u32_e64 v40, null, s51, v97, vcc_lo
	v_mov_b32_e32 v138, s24
	global_load_ubyte v129, v[39:40], off offset:512
.LBB120_754:                            ;   in Loop: Header=BB120_730 Depth=2
	s_or_b32 exec_lo, exec_lo, s25
	s_waitcnt vmcnt(0)
	v_xor_b32_e32 v39, -1, v146
	ds_write2_b32 v69, v4, v4 offset0:136 offset1:137
	ds_write2_b32 v69, v4, v4 offset0:138 offset1:139
	ds_write_b32 v69, v4 offset:560
	s_waitcnt lgkmcnt(0)
	s_barrier
	v_and_b32_sdwa v40, v92, v39 dst_sel:DWORD dst_unused:UNUSED_PAD src0_sel:DWORD src1_sel:BYTE_0
	buffer_gl0_inv
	; wave barrier
	v_lshrrev_b32_e32 v40, s41, v40
	v_and_b32_e32 v149, s62, v40
	v_and_b32_e32 v40, 1, v149
	v_lshlrev_b32_e32 v146, 30, v149
	v_lshlrev_b32_e32 v152, 29, v149
	;; [unrolled: 1-line block ×4, first 2 shown]
	v_add_co_u32 v40, s23, v40, -1
	v_cndmask_b32_e64 v153, 0, 1, s23
	v_not_b32_e32 v157, v146
	v_cmp_gt_i32_e64 s23, 0, v146
	v_not_b32_e32 v146, v152
	v_lshlrev_b32_e32 v156, 26, v149
	v_cmp_ne_u32_e32 vcc_lo, 0, v153
	v_ashrrev_i32_e32 v157, 31, v157
	v_lshlrev_b32_e32 v153, 25, v149
	v_ashrrev_i32_e32 v146, 31, v146
	v_mul_u32_u24_e32 v149, 36, v149
	v_xor_b32_e32 v40, vcc_lo, v40
	v_cmp_gt_i32_e32 vcc_lo, 0, v152
	v_not_b32_e32 v152, v154
	v_xor_b32_e32 v157, s23, v157
	v_cmp_gt_i32_e64 s23, 0, v154
	v_and_b32_e32 v40, exec_lo, v40
	v_not_b32_e32 v154, v155
	v_ashrrev_i32_e32 v152, 31, v152
	v_xor_b32_e32 v146, vcc_lo, v146
	v_cmp_gt_i32_e32 vcc_lo, 0, v155
	v_and_b32_e32 v40, v40, v157
	v_not_b32_e32 v155, v156
	v_ashrrev_i32_e32 v154, 31, v154
	v_xor_b32_e32 v152, s23, v152
	v_cmp_gt_i32_e64 s23, 0, v156
	v_and_b32_e32 v40, v40, v146
	v_not_b32_e32 v146, v153
	v_ashrrev_i32_e32 v155, 31, v155
	v_xor_b32_e32 v154, vcc_lo, v154
	v_cmp_gt_i32_e32 vcc_lo, 0, v153
	v_and_b32_e32 v40, v40, v152
	v_ashrrev_i32_e32 v146, 31, v146
	v_xor_b32_e32 v152, s23, v155
	v_add_nc_u32_e32 v149, v116, v149
	v_and_b32_e32 v40, v40, v154
	v_xor_b32_e32 v146, vcc_lo, v146
	v_and_b32_e32 v40, v40, v152
	v_and_b32_e32 v40, v40, v146
	v_mbcnt_lo_u32_b32 v146, v40, 0
	v_cmp_ne_u32_e64 s23, 0, v40
	v_cmp_eq_u32_e32 vcc_lo, 0, v146
	s_and_b32 s24, s23, vcc_lo
	s_and_saveexec_b32 s23, s24
; %bb.755:                              ;   in Loop: Header=BB120_730 Depth=2
	v_bcnt_u32_b32 v40, v40, 0
	ds_write_b32 v149, v40 offset:544
; %bb.756:                              ;   in Loop: Header=BB120_730 Depth=2
	s_or_b32 exec_lo, exec_lo, s23
	v_xor_b32_sdwa v40, v151, v93 dst_sel:BYTE_1 dst_unused:UNUSED_PAD src0_sel:DWORD src1_sel:DWORD
	v_xor_b32_e32 v151, -1, v147
	v_xor_b32_sdwa v148, v148, v93 dst_sel:BYTE_1 dst_unused:UNUSED_PAD src0_sel:DWORD src1_sel:DWORD
	; wave barrier
	v_or_b32_sdwa v147, v39, v40 dst_sel:DWORD dst_unused:UNUSED_PAD src0_sel:BYTE_0 src1_sel:DWORD
	v_or_b32_sdwa v39, v151, v148 dst_sel:WORD_1 dst_unused:UNUSED_PAD src0_sel:BYTE_0 src1_sel:DWORD
	v_or_b32_sdwa v148, v147, v39 dst_sel:DWORD dst_unused:UNUSED_PAD src0_sel:WORD_0 src1_sel:DWORD
	v_lshrrev_b32_sdwa v39, s41, v148 dst_sel:DWORD dst_unused:UNUSED_PAD src0_sel:DWORD src1_sel:BYTE_1
	v_and_b32_e32 v40, s62, v39
	v_and_b32_e32 v39, 1, v40
	v_lshlrev_b32_e32 v151, 30, v40
	v_lshlrev_b32_e32 v152, 29, v40
	;; [unrolled: 1-line block ×4, first 2 shown]
	v_add_co_u32 v39, s23, v39, -1
	v_cndmask_b32_e64 v153, 0, 1, s23
	v_not_b32_e32 v157, v151
	v_cmp_gt_i32_e64 s23, 0, v151
	v_not_b32_e32 v151, v152
	v_lshlrev_b32_e32 v156, 26, v40
	v_cmp_ne_u32_e32 vcc_lo, 0, v153
	v_ashrrev_i32_e32 v157, 31, v157
	v_lshlrev_b32_e32 v153, 25, v40
	v_ashrrev_i32_e32 v151, 31, v151
	v_xor_b32_e32 v39, vcc_lo, v39
	v_cmp_gt_i32_e32 vcc_lo, 0, v152
	v_not_b32_e32 v152, v154
	v_xor_b32_e32 v157, s23, v157
	v_cmp_gt_i32_e64 s23, 0, v154
	v_and_b32_e32 v39, exec_lo, v39
	v_not_b32_e32 v154, v155
	v_ashrrev_i32_e32 v152, 31, v152
	v_xor_b32_e32 v151, vcc_lo, v151
	v_cmp_gt_i32_e32 vcc_lo, 0, v155
	v_and_b32_e32 v39, v39, v157
	v_not_b32_e32 v155, v156
	v_ashrrev_i32_e32 v154, 31, v154
	v_xor_b32_e32 v152, s23, v152
	v_cmp_gt_i32_e64 s23, 0, v156
	v_and_b32_e32 v39, v39, v151
	v_not_b32_e32 v151, v153
	v_ashrrev_i32_e32 v155, 31, v155
	v_xor_b32_e32 v154, vcc_lo, v154
	v_cmp_gt_i32_e32 vcc_lo, 0, v153
	v_and_b32_e32 v39, v39, v152
	v_ashrrev_i32_e32 v151, 31, v151
	v_xor_b32_e32 v152, s23, v155
	v_mad_u32_u24 v153, v40, 36, v116
	v_mul_u32_u24_e32 v40, 36, v40
	v_and_b32_e32 v39, v39, v154
	v_xor_b32_e32 v154, vcc_lo, v151
	ds_read_b32 v151, v153 offset:544
	v_add_nc_u32_e32 v153, v116, v40
	v_and_b32_e32 v39, v39, v152
	; wave barrier
	v_and_b32_e32 v39, v39, v154
	v_mbcnt_lo_u32_b32 v152, v39, 0
	v_cmp_ne_u32_e64 s23, 0, v39
	v_cmp_eq_u32_e32 vcc_lo, 0, v152
	s_and_b32 s24, s23, vcc_lo
	s_and_saveexec_b32 s23, s24
	s_cbranch_execz .LBB120_758
; %bb.757:                              ;   in Loop: Header=BB120_730 Depth=2
	s_waitcnt lgkmcnt(0)
	v_bcnt_u32_b32 v39, v39, v151
	ds_write_b32 v153, v39 offset:544
.LBB120_758:                            ;   in Loop: Header=BB120_730 Depth=2
	s_or_b32 exec_lo, exec_lo, s23
	v_lshrrev_b32_sdwa v39, s41, v148 dst_sel:DWORD dst_unused:UNUSED_PAD src0_sel:DWORD src1_sel:BYTE_2
	; wave barrier
	v_and_b32_e32 v40, s62, v39
	v_and_b32_e32 v39, 1, v40
	v_lshlrev_b32_e32 v154, 30, v40
	v_lshlrev_b32_e32 v155, 29, v40
	;; [unrolled: 1-line block ×4, first 2 shown]
	v_add_co_u32 v39, s23, v39, -1
	v_cndmask_b32_e64 v156, 0, 1, s23
	v_not_b32_e32 v160, v154
	v_cmp_gt_i32_e64 s23, 0, v154
	v_not_b32_e32 v154, v155
	v_lshlrev_b32_e32 v159, 26, v40
	v_cmp_ne_u32_e32 vcc_lo, 0, v156
	v_ashrrev_i32_e32 v160, 31, v160
	v_lshlrev_b32_e32 v156, 25, v40
	v_ashrrev_i32_e32 v154, 31, v154
	v_xor_b32_e32 v39, vcc_lo, v39
	v_cmp_gt_i32_e32 vcc_lo, 0, v155
	v_not_b32_e32 v155, v157
	v_xor_b32_e32 v160, s23, v160
	v_cmp_gt_i32_e64 s23, 0, v157
	v_and_b32_e32 v39, exec_lo, v39
	v_not_b32_e32 v157, v158
	v_ashrrev_i32_e32 v155, 31, v155
	v_xor_b32_e32 v154, vcc_lo, v154
	v_cmp_gt_i32_e32 vcc_lo, 0, v158
	v_and_b32_e32 v39, v39, v160
	v_not_b32_e32 v158, v159
	v_ashrrev_i32_e32 v157, 31, v157
	v_xor_b32_e32 v155, s23, v155
	v_cmp_gt_i32_e64 s23, 0, v159
	v_and_b32_e32 v39, v39, v154
	v_not_b32_e32 v154, v156
	v_ashrrev_i32_e32 v158, 31, v158
	v_xor_b32_e32 v157, vcc_lo, v157
	v_cmp_gt_i32_e32 vcc_lo, 0, v156
	v_and_b32_e32 v39, v39, v155
	v_ashrrev_i32_e32 v154, 31, v154
	v_xor_b32_e32 v155, s23, v158
	v_mad_u32_u24 v156, v40, 36, v116
	v_mul_u32_u24_e32 v40, 36, v40
	v_and_b32_e32 v39, v39, v157
	v_xor_b32_e32 v157, vcc_lo, v154
	ds_read_b32 v154, v156 offset:544
	v_and_b32_e32 v39, v39, v155
	; wave barrier
	v_and_b32_e32 v39, v39, v157
	v_add_nc_u32_e32 v157, v116, v40
	v_mbcnt_lo_u32_b32 v155, v39, 0
	v_cmp_ne_u32_e64 s23, 0, v39
	v_cmp_eq_u32_e32 vcc_lo, 0, v155
	s_and_b32 s24, s23, vcc_lo
	s_and_saveexec_b32 s23, s24
	s_cbranch_execz .LBB120_760
; %bb.759:                              ;   in Loop: Header=BB120_730 Depth=2
	s_waitcnt lgkmcnt(0)
	v_bcnt_u32_b32 v39, v39, v154
	ds_write_b32 v157, v39 offset:544
.LBB120_760:                            ;   in Loop: Header=BB120_730 Depth=2
	s_or_b32 exec_lo, exec_lo, s23
	v_lshrrev_b32_e32 v156, 24, v148
	; wave barrier
	v_lshrrev_b32_e32 v39, s41, v156
	v_and_b32_e32 v40, s62, v39
	v_and_b32_e32 v39, 1, v40
	v_lshlrev_b32_e32 v158, 30, v40
	v_lshlrev_b32_e32 v159, 29, v40
	;; [unrolled: 1-line block ×4, first 2 shown]
	v_add_co_u32 v39, s23, v39, -1
	v_cndmask_b32_e64 v160, 0, 1, s23
	v_not_b32_e32 v164, v158
	v_cmp_gt_i32_e64 s23, 0, v158
	v_not_b32_e32 v158, v159
	v_lshlrev_b32_e32 v163, 26, v40
	v_cmp_ne_u32_e32 vcc_lo, 0, v160
	v_ashrrev_i32_e32 v164, 31, v164
	v_lshlrev_b32_e32 v160, 25, v40
	v_ashrrev_i32_e32 v158, 31, v158
	v_xor_b32_e32 v39, vcc_lo, v39
	v_cmp_gt_i32_e32 vcc_lo, 0, v159
	v_not_b32_e32 v159, v161
	v_xor_b32_e32 v164, s23, v164
	v_cmp_gt_i32_e64 s23, 0, v161
	v_and_b32_e32 v39, exec_lo, v39
	v_not_b32_e32 v161, v162
	v_ashrrev_i32_e32 v159, 31, v159
	v_xor_b32_e32 v158, vcc_lo, v158
	v_cmp_gt_i32_e32 vcc_lo, 0, v162
	v_and_b32_e32 v39, v39, v164
	v_not_b32_e32 v162, v163
	v_ashrrev_i32_e32 v161, 31, v161
	v_xor_b32_e32 v159, s23, v159
	v_cmp_gt_i32_e64 s23, 0, v163
	v_and_b32_e32 v39, v39, v158
	v_not_b32_e32 v158, v160
	v_ashrrev_i32_e32 v162, 31, v162
	v_xor_b32_e32 v161, vcc_lo, v161
	v_cmp_gt_i32_e32 vcc_lo, 0, v160
	v_and_b32_e32 v39, v39, v159
	v_ashrrev_i32_e32 v158, 31, v158
	v_xor_b32_e32 v159, s23, v162
	v_mad_u32_u24 v160, v40, 36, v116
	v_mul_u32_u24_e32 v40, 36, v40
	v_and_b32_e32 v39, v39, v161
	v_xor_b32_e32 v161, vcc_lo, v158
	ds_read_b32 v158, v160 offset:544
	v_add_nc_u32_e32 v160, v116, v40
	v_and_b32_e32 v39, v39, v159
	; wave barrier
	v_and_b32_e32 v39, v39, v161
	v_mbcnt_lo_u32_b32 v159, v39, 0
	v_cmp_ne_u32_e64 s23, 0, v39
	v_cmp_eq_u32_e32 vcc_lo, 0, v159
	s_and_b32 s24, s23, vcc_lo
	s_and_saveexec_b32 s23, s24
	s_cbranch_execz .LBB120_762
; %bb.761:                              ;   in Loop: Header=BB120_730 Depth=2
	s_waitcnt lgkmcnt(0)
	v_bcnt_u32_b32 v39, v39, v158
	ds_write_b32 v160, v39 offset:544
.LBB120_762:                            ;   in Loop: Header=BB120_730 Depth=2
	s_or_b32 exec_lo, exec_lo, s23
	v_xor_b32_e32 v39, -1, v150
	; wave barrier
	v_and_b32_sdwa v40, v92, v39 dst_sel:DWORD dst_unused:UNUSED_PAD src0_sel:DWORD src1_sel:BYTE_0
	v_lshrrev_b32_e32 v40, s41, v40
	v_and_b32_e32 v162, s62, v40
	v_and_b32_e32 v40, 1, v162
	v_lshlrev_b32_e32 v150, 30, v162
	v_lshlrev_b32_e32 v161, 29, v162
	;; [unrolled: 1-line block ×4, first 2 shown]
	v_add_co_u32 v40, s23, v40, -1
	v_cndmask_b32_e64 v163, 0, 1, s23
	v_not_b32_e32 v167, v150
	v_cmp_gt_i32_e64 s23, 0, v150
	v_not_b32_e32 v150, v161
	v_lshlrev_b32_e32 v166, 26, v162
	v_cmp_ne_u32_e32 vcc_lo, 0, v163
	v_ashrrev_i32_e32 v167, 31, v167
	v_lshlrev_b32_e32 v163, 25, v162
	v_ashrrev_i32_e32 v150, 31, v150
	v_xor_b32_e32 v40, vcc_lo, v40
	v_cmp_gt_i32_e32 vcc_lo, 0, v161
	v_not_b32_e32 v161, v164
	v_xor_b32_e32 v167, s23, v167
	v_cmp_gt_i32_e64 s23, 0, v164
	v_and_b32_e32 v40, exec_lo, v40
	v_not_b32_e32 v164, v165
	v_ashrrev_i32_e32 v161, 31, v161
	v_xor_b32_e32 v150, vcc_lo, v150
	v_cmp_gt_i32_e32 vcc_lo, 0, v165
	v_and_b32_e32 v40, v40, v167
	v_not_b32_e32 v165, v166
	v_ashrrev_i32_e32 v164, 31, v164
	v_xor_b32_e32 v161, s23, v161
	v_cmp_gt_i32_e64 s23, 0, v166
	v_and_b32_e32 v40, v40, v150
	v_not_b32_e32 v150, v163
	v_ashrrev_i32_e32 v165, 31, v165
	v_xor_b32_e32 v164, vcc_lo, v164
	v_cmp_gt_i32_e32 vcc_lo, 0, v163
	v_and_b32_e32 v40, v40, v161
	v_ashrrev_i32_e32 v150, 31, v150
	v_xor_b32_e32 v161, s23, v165
	v_mad_u32_u24 v163, v162, 36, v116
	v_mul_u32_u24_e32 v162, 36, v162
	v_and_b32_e32 v40, v40, v164
	v_xor_b32_e32 v164, vcc_lo, v150
	ds_read_b32 v150, v163 offset:544
	v_add_nc_u32_e32 v162, v116, v162
	v_and_b32_e32 v40, v40, v161
	; wave barrier
	v_and_b32_e32 v40, v40, v164
	v_mbcnt_lo_u32_b32 v161, v40, 0
	v_cmp_ne_u32_e64 s23, 0, v40
	v_cmp_eq_u32_e32 vcc_lo, 0, v161
	s_and_b32 s24, s23, vcc_lo
	s_and_saveexec_b32 s23, s24
	s_cbranch_execz .LBB120_764
; %bb.763:                              ;   in Loop: Header=BB120_730 Depth=2
	s_waitcnt lgkmcnt(0)
	v_bcnt_u32_b32 v40, v40, v150
	ds_write_b32 v162, v40 offset:544
.LBB120_764:                            ;   in Loop: Header=BB120_730 Depth=2
	s_or_b32 exec_lo, exec_lo, s23
	v_xor_b32_sdwa v40, v143, v93 dst_sel:BYTE_1 dst_unused:UNUSED_PAD src0_sel:DWORD src1_sel:DWORD
	v_xor_b32_e32 v144, -1, v144
	v_xor_b32_sdwa v145, v145, v93 dst_sel:BYTE_1 dst_unused:UNUSED_PAD src0_sel:DWORD src1_sel:DWORD
	; wave barrier
	v_or_b32_sdwa v143, v39, v40 dst_sel:DWORD dst_unused:UNUSED_PAD src0_sel:BYTE_0 src1_sel:DWORD
	v_or_b32_sdwa v39, v144, v145 dst_sel:WORD_1 dst_unused:UNUSED_PAD src0_sel:BYTE_0 src1_sel:DWORD
	v_or_b32_sdwa v144, v143, v39 dst_sel:DWORD dst_unused:UNUSED_PAD src0_sel:WORD_0 src1_sel:DWORD
	v_lshrrev_b32_sdwa v39, s41, v144 dst_sel:DWORD dst_unused:UNUSED_PAD src0_sel:DWORD src1_sel:BYTE_1
	v_and_b32_e32 v40, s62, v39
	v_and_b32_e32 v39, 1, v40
	v_lshlrev_b32_e32 v145, 30, v40
	v_lshlrev_b32_e32 v163, 29, v40
	;; [unrolled: 1-line block ×4, first 2 shown]
	v_add_co_u32 v39, s23, v39, -1
	v_cndmask_b32_e64 v164, 0, 1, s23
	v_not_b32_e32 v168, v145
	v_cmp_gt_i32_e64 s23, 0, v145
	v_not_b32_e32 v145, v163
	v_lshlrev_b32_e32 v167, 26, v40
	v_cmp_ne_u32_e32 vcc_lo, 0, v164
	v_ashrrev_i32_e32 v168, 31, v168
	v_lshlrev_b32_e32 v164, 25, v40
	v_ashrrev_i32_e32 v145, 31, v145
	v_xor_b32_e32 v39, vcc_lo, v39
	v_cmp_gt_i32_e32 vcc_lo, 0, v163
	v_not_b32_e32 v163, v165
	v_xor_b32_e32 v168, s23, v168
	v_cmp_gt_i32_e64 s23, 0, v165
	v_and_b32_e32 v39, exec_lo, v39
	v_not_b32_e32 v165, v166
	v_ashrrev_i32_e32 v163, 31, v163
	v_xor_b32_e32 v145, vcc_lo, v145
	v_cmp_gt_i32_e32 vcc_lo, 0, v166
	v_and_b32_e32 v39, v39, v168
	v_not_b32_e32 v166, v167
	v_ashrrev_i32_e32 v165, 31, v165
	v_xor_b32_e32 v163, s23, v163
	v_cmp_gt_i32_e64 s23, 0, v167
	v_and_b32_e32 v39, v39, v145
	v_not_b32_e32 v145, v164
	v_ashrrev_i32_e32 v166, 31, v166
	v_xor_b32_e32 v165, vcc_lo, v165
	v_cmp_gt_i32_e32 vcc_lo, 0, v164
	v_and_b32_e32 v39, v39, v163
	v_ashrrev_i32_e32 v145, 31, v145
	v_xor_b32_e32 v163, s23, v166
	v_mad_u32_u24 v164, v40, 36, v116
	v_mul_u32_u24_e32 v40, 36, v40
	v_and_b32_e32 v39, v39, v165
	v_xor_b32_e32 v165, vcc_lo, v145
	ds_read_b32 v145, v164 offset:544
	v_add_nc_u32_e32 v164, v116, v40
	v_and_b32_e32 v39, v39, v163
	; wave barrier
	v_and_b32_e32 v39, v39, v165
	v_mbcnt_lo_u32_b32 v163, v39, 0
	v_cmp_ne_u32_e64 s23, 0, v39
	v_cmp_eq_u32_e32 vcc_lo, 0, v163
	s_and_b32 s24, s23, vcc_lo
	s_and_saveexec_b32 s23, s24
	s_cbranch_execz .LBB120_766
; %bb.765:                              ;   in Loop: Header=BB120_730 Depth=2
	s_waitcnt lgkmcnt(0)
	v_bcnt_u32_b32 v39, v39, v145
	ds_write_b32 v164, v39 offset:544
.LBB120_766:                            ;   in Loop: Header=BB120_730 Depth=2
	s_or_b32 exec_lo, exec_lo, s23
	v_lshrrev_b32_sdwa v39, s41, v144 dst_sel:DWORD dst_unused:UNUSED_PAD src0_sel:DWORD src1_sel:BYTE_2
	; wave barrier
	v_and_b32_e32 v40, s62, v39
	v_and_b32_e32 v39, 1, v40
	v_lshlrev_b32_e32 v165, 30, v40
	v_lshlrev_b32_e32 v166, 29, v40
	;; [unrolled: 1-line block ×4, first 2 shown]
	v_add_co_u32 v39, s23, v39, -1
	v_cndmask_b32_e64 v167, 0, 1, s23
	v_not_b32_e32 v171, v165
	v_cmp_gt_i32_e64 s23, 0, v165
	v_not_b32_e32 v165, v166
	v_lshlrev_b32_e32 v170, 26, v40
	v_cmp_ne_u32_e32 vcc_lo, 0, v167
	v_ashrrev_i32_e32 v171, 31, v171
	v_lshlrev_b32_e32 v167, 25, v40
	v_ashrrev_i32_e32 v165, 31, v165
	v_xor_b32_e32 v39, vcc_lo, v39
	v_cmp_gt_i32_e32 vcc_lo, 0, v166
	v_not_b32_e32 v166, v168
	v_xor_b32_e32 v171, s23, v171
	v_cmp_gt_i32_e64 s23, 0, v168
	v_and_b32_e32 v39, exec_lo, v39
	v_not_b32_e32 v168, v169
	v_ashrrev_i32_e32 v166, 31, v166
	v_xor_b32_e32 v165, vcc_lo, v165
	v_cmp_gt_i32_e32 vcc_lo, 0, v169
	v_and_b32_e32 v39, v39, v171
	v_not_b32_e32 v169, v170
	v_ashrrev_i32_e32 v168, 31, v168
	v_xor_b32_e32 v166, s23, v166
	v_cmp_gt_i32_e64 s23, 0, v170
	v_and_b32_e32 v39, v39, v165
	v_not_b32_e32 v165, v167
	v_ashrrev_i32_e32 v169, 31, v169
	v_xor_b32_e32 v168, vcc_lo, v168
	v_cmp_gt_i32_e32 vcc_lo, 0, v167
	v_and_b32_e32 v39, v39, v166
	v_ashrrev_i32_e32 v165, 31, v165
	v_xor_b32_e32 v166, s23, v169
	v_mad_u32_u24 v167, v40, 36, v116
	v_mul_u32_u24_e32 v40, 36, v40
	v_and_b32_e32 v39, v39, v168
	v_xor_b32_e32 v168, vcc_lo, v165
	ds_read_b32 v165, v167 offset:544
	v_and_b32_e32 v39, v39, v166
	; wave barrier
	v_and_b32_e32 v39, v39, v168
	v_add_nc_u32_e32 v168, v116, v40
	v_mbcnt_lo_u32_b32 v166, v39, 0
	v_cmp_ne_u32_e64 s23, 0, v39
	v_cmp_eq_u32_e32 vcc_lo, 0, v166
	s_and_b32 s24, s23, vcc_lo
	s_and_saveexec_b32 s23, s24
	s_cbranch_execz .LBB120_768
; %bb.767:                              ;   in Loop: Header=BB120_730 Depth=2
	s_waitcnt lgkmcnt(0)
	v_bcnt_u32_b32 v39, v39, v165
	ds_write_b32 v168, v39 offset:544
.LBB120_768:                            ;   in Loop: Header=BB120_730 Depth=2
	s_or_b32 exec_lo, exec_lo, s23
	v_lshrrev_b32_e32 v167, 24, v144
	; wave barrier
	v_lshrrev_b32_e32 v39, s41, v167
	v_and_b32_e32 v40, s62, v39
	v_and_b32_e32 v39, 1, v40
	v_lshlrev_b32_e32 v169, 30, v40
	v_lshlrev_b32_e32 v170, 29, v40
	;; [unrolled: 1-line block ×4, first 2 shown]
	v_add_co_u32 v39, s23, v39, -1
	v_cndmask_b32_e64 v171, 0, 1, s23
	v_not_b32_e32 v175, v169
	v_cmp_gt_i32_e64 s23, 0, v169
	v_not_b32_e32 v169, v170
	v_lshlrev_b32_e32 v174, 26, v40
	v_cmp_ne_u32_e32 vcc_lo, 0, v171
	v_ashrrev_i32_e32 v175, 31, v175
	v_lshlrev_b32_e32 v171, 25, v40
	v_ashrrev_i32_e32 v169, 31, v169
	v_xor_b32_e32 v39, vcc_lo, v39
	v_cmp_gt_i32_e32 vcc_lo, 0, v170
	v_not_b32_e32 v170, v172
	v_xor_b32_e32 v175, s23, v175
	v_cmp_gt_i32_e64 s23, 0, v172
	v_and_b32_e32 v39, exec_lo, v39
	v_not_b32_e32 v172, v173
	v_ashrrev_i32_e32 v170, 31, v170
	v_xor_b32_e32 v169, vcc_lo, v169
	v_cmp_gt_i32_e32 vcc_lo, 0, v173
	v_and_b32_e32 v39, v39, v175
	v_not_b32_e32 v173, v174
	v_ashrrev_i32_e32 v172, 31, v172
	v_xor_b32_e32 v170, s23, v170
	v_cmp_gt_i32_e64 s23, 0, v174
	v_and_b32_e32 v39, v39, v169
	v_not_b32_e32 v169, v171
	v_ashrrev_i32_e32 v173, 31, v173
	v_xor_b32_e32 v172, vcc_lo, v172
	v_cmp_gt_i32_e32 vcc_lo, 0, v171
	v_and_b32_e32 v39, v39, v170
	v_ashrrev_i32_e32 v169, 31, v169
	v_xor_b32_e32 v170, s23, v173
	v_mad_u32_u24 v171, v40, 36, v116
	v_mul_u32_u24_e32 v40, 36, v40
	v_and_b32_e32 v39, v39, v172
	v_xor_b32_e32 v172, vcc_lo, v169
	ds_read_b32 v169, v171 offset:544
	v_add_nc_u32_e32 v171, v116, v40
	v_and_b32_e32 v39, v39, v170
	; wave barrier
	v_and_b32_e32 v39, v39, v172
	v_mbcnt_lo_u32_b32 v170, v39, 0
	v_cmp_ne_u32_e64 s23, 0, v39
	v_cmp_eq_u32_e32 vcc_lo, 0, v170
	s_and_b32 s24, s23, vcc_lo
	s_and_saveexec_b32 s23, s24
	s_cbranch_execz .LBB120_770
; %bb.769:                              ;   in Loop: Header=BB120_730 Depth=2
	s_waitcnt lgkmcnt(0)
	v_bcnt_u32_b32 v39, v39, v169
	ds_write_b32 v171, v39 offset:544
.LBB120_770:                            ;   in Loop: Header=BB120_730 Depth=2
	s_or_b32 exec_lo, exec_lo, s23
	v_xor_b32_e32 v39, -1, v142
	; wave barrier
	v_and_b32_sdwa v40, v92, v39 dst_sel:DWORD dst_unused:UNUSED_PAD src0_sel:DWORD src1_sel:BYTE_0
	v_lshrrev_b32_e32 v40, s41, v40
	v_and_b32_e32 v173, s62, v40
	v_and_b32_e32 v40, 1, v173
	v_lshlrev_b32_e32 v142, 30, v173
	v_lshlrev_b32_e32 v172, 29, v173
	;; [unrolled: 1-line block ×4, first 2 shown]
	v_add_co_u32 v40, s23, v40, -1
	v_cndmask_b32_e64 v174, 0, 1, s23
	v_not_b32_e32 v178, v142
	v_cmp_gt_i32_e64 s23, 0, v142
	v_not_b32_e32 v142, v172
	v_lshlrev_b32_e32 v177, 26, v173
	v_cmp_ne_u32_e32 vcc_lo, 0, v174
	v_ashrrev_i32_e32 v178, 31, v178
	v_lshlrev_b32_e32 v174, 25, v173
	v_ashrrev_i32_e32 v142, 31, v142
	v_xor_b32_e32 v40, vcc_lo, v40
	v_cmp_gt_i32_e32 vcc_lo, 0, v172
	v_not_b32_e32 v172, v175
	v_xor_b32_e32 v178, s23, v178
	v_cmp_gt_i32_e64 s23, 0, v175
	v_and_b32_e32 v40, exec_lo, v40
	v_not_b32_e32 v175, v176
	v_ashrrev_i32_e32 v172, 31, v172
	v_xor_b32_e32 v142, vcc_lo, v142
	v_cmp_gt_i32_e32 vcc_lo, 0, v176
	v_and_b32_e32 v40, v40, v178
	v_not_b32_e32 v176, v177
	v_ashrrev_i32_e32 v175, 31, v175
	v_xor_b32_e32 v172, s23, v172
	v_cmp_gt_i32_e64 s23, 0, v177
	v_and_b32_e32 v40, v40, v142
	v_not_b32_e32 v142, v174
	v_ashrrev_i32_e32 v176, 31, v176
	v_xor_b32_e32 v175, vcc_lo, v175
	v_cmp_gt_i32_e32 vcc_lo, 0, v174
	v_and_b32_e32 v40, v40, v172
	v_ashrrev_i32_e32 v142, 31, v142
	v_xor_b32_e32 v172, s23, v176
	v_mad_u32_u24 v174, v173, 36, v116
	v_mul_u32_u24_e32 v173, 36, v173
	v_and_b32_e32 v40, v40, v175
	v_xor_b32_e32 v175, vcc_lo, v142
	ds_read_b32 v142, v174 offset:544
	v_add_nc_u32_e32 v173, v116, v173
	v_and_b32_e32 v40, v40, v172
	; wave barrier
	v_and_b32_e32 v40, v40, v175
	v_mbcnt_lo_u32_b32 v172, v40, 0
	v_cmp_ne_u32_e64 s23, 0, v40
	v_cmp_eq_u32_e32 vcc_lo, 0, v172
	s_and_b32 s24, s23, vcc_lo
	s_and_saveexec_b32 s23, s24
	s_cbranch_execz .LBB120_772
; %bb.771:                              ;   in Loop: Header=BB120_730 Depth=2
	s_waitcnt lgkmcnt(0)
	v_bcnt_u32_b32 v40, v40, v142
	ds_write_b32 v173, v40 offset:544
.LBB120_772:                            ;   in Loop: Header=BB120_730 Depth=2
	s_or_b32 exec_lo, exec_lo, s23
	v_xor_b32_sdwa v40, v139, v93 dst_sel:BYTE_1 dst_unused:UNUSED_PAD src0_sel:DWORD src1_sel:DWORD
	v_xor_b32_e32 v140, -1, v140
	v_xor_b32_sdwa v141, v141, v93 dst_sel:BYTE_1 dst_unused:UNUSED_PAD src0_sel:DWORD src1_sel:DWORD
	; wave barrier
	v_or_b32_sdwa v139, v39, v40 dst_sel:DWORD dst_unused:UNUSED_PAD src0_sel:BYTE_0 src1_sel:DWORD
	v_or_b32_sdwa v39, v140, v141 dst_sel:WORD_1 dst_unused:UNUSED_PAD src0_sel:BYTE_0 src1_sel:DWORD
	v_or_b32_sdwa v140, v139, v39 dst_sel:DWORD dst_unused:UNUSED_PAD src0_sel:WORD_0 src1_sel:DWORD
	v_lshrrev_b32_sdwa v39, s41, v140 dst_sel:DWORD dst_unused:UNUSED_PAD src0_sel:DWORD src1_sel:BYTE_1
	v_and_b32_e32 v40, s62, v39
	v_and_b32_e32 v39, 1, v40
	v_lshlrev_b32_e32 v141, 30, v40
	v_lshlrev_b32_e32 v174, 29, v40
	;; [unrolled: 1-line block ×4, first 2 shown]
	v_add_co_u32 v39, s23, v39, -1
	v_cndmask_b32_e64 v175, 0, 1, s23
	v_not_b32_e32 v179, v141
	v_cmp_gt_i32_e64 s23, 0, v141
	v_not_b32_e32 v141, v174
	v_lshlrev_b32_e32 v178, 26, v40
	v_cmp_ne_u32_e32 vcc_lo, 0, v175
	v_ashrrev_i32_e32 v179, 31, v179
	v_lshlrev_b32_e32 v175, 25, v40
	v_ashrrev_i32_e32 v141, 31, v141
	v_xor_b32_e32 v39, vcc_lo, v39
	v_cmp_gt_i32_e32 vcc_lo, 0, v174
	v_not_b32_e32 v174, v176
	v_xor_b32_e32 v179, s23, v179
	v_cmp_gt_i32_e64 s23, 0, v176
	v_and_b32_e32 v39, exec_lo, v39
	v_not_b32_e32 v176, v177
	v_ashrrev_i32_e32 v174, 31, v174
	v_xor_b32_e32 v141, vcc_lo, v141
	v_cmp_gt_i32_e32 vcc_lo, 0, v177
	v_and_b32_e32 v39, v39, v179
	v_not_b32_e32 v177, v178
	v_ashrrev_i32_e32 v176, 31, v176
	v_xor_b32_e32 v174, s23, v174
	v_cmp_gt_i32_e64 s23, 0, v178
	v_and_b32_e32 v39, v39, v141
	v_not_b32_e32 v141, v175
	v_ashrrev_i32_e32 v177, 31, v177
	v_xor_b32_e32 v176, vcc_lo, v176
	v_cmp_gt_i32_e32 vcc_lo, 0, v175
	v_and_b32_e32 v39, v39, v174
	v_ashrrev_i32_e32 v141, 31, v141
	v_xor_b32_e32 v174, s23, v177
	v_mad_u32_u24 v175, v40, 36, v116
	v_mul_u32_u24_e32 v40, 36, v40
	v_and_b32_e32 v39, v39, v176
	v_xor_b32_e32 v176, vcc_lo, v141
	ds_read_b32 v141, v175 offset:544
	v_add_nc_u32_e32 v175, v116, v40
	v_and_b32_e32 v39, v39, v174
	; wave barrier
	v_and_b32_e32 v39, v39, v176
	v_mbcnt_lo_u32_b32 v174, v39, 0
	v_cmp_ne_u32_e64 s23, 0, v39
	v_cmp_eq_u32_e32 vcc_lo, 0, v174
	s_and_b32 s24, s23, vcc_lo
	s_and_saveexec_b32 s23, s24
	s_cbranch_execz .LBB120_774
; %bb.773:                              ;   in Loop: Header=BB120_730 Depth=2
	s_waitcnt lgkmcnt(0)
	v_bcnt_u32_b32 v39, v39, v141
	ds_write_b32 v175, v39 offset:544
.LBB120_774:                            ;   in Loop: Header=BB120_730 Depth=2
	s_or_b32 exec_lo, exec_lo, s23
	v_lshrrev_b32_sdwa v39, s41, v140 dst_sel:DWORD dst_unused:UNUSED_PAD src0_sel:DWORD src1_sel:BYTE_2
	; wave barrier
	v_and_b32_e32 v40, s62, v39
	v_and_b32_e32 v39, 1, v40
	v_lshlrev_b32_e32 v176, 30, v40
	v_lshlrev_b32_e32 v177, 29, v40
	;; [unrolled: 1-line block ×4, first 2 shown]
	v_add_co_u32 v39, s23, v39, -1
	v_cndmask_b32_e64 v178, 0, 1, s23
	v_not_b32_e32 v182, v176
	v_cmp_gt_i32_e64 s23, 0, v176
	v_not_b32_e32 v176, v177
	v_lshlrev_b32_e32 v181, 26, v40
	v_cmp_ne_u32_e32 vcc_lo, 0, v178
	v_ashrrev_i32_e32 v182, 31, v182
	v_lshlrev_b32_e32 v178, 25, v40
	v_ashrrev_i32_e32 v176, 31, v176
	v_xor_b32_e32 v39, vcc_lo, v39
	v_cmp_gt_i32_e32 vcc_lo, 0, v177
	v_not_b32_e32 v177, v179
	v_xor_b32_e32 v182, s23, v182
	v_cmp_gt_i32_e64 s23, 0, v179
	v_and_b32_e32 v39, exec_lo, v39
	v_not_b32_e32 v179, v180
	v_ashrrev_i32_e32 v177, 31, v177
	v_xor_b32_e32 v176, vcc_lo, v176
	v_cmp_gt_i32_e32 vcc_lo, 0, v180
	v_and_b32_e32 v39, v39, v182
	v_not_b32_e32 v180, v181
	v_ashrrev_i32_e32 v179, 31, v179
	v_xor_b32_e32 v177, s23, v177
	v_cmp_gt_i32_e64 s23, 0, v181
	v_and_b32_e32 v39, v39, v176
	v_not_b32_e32 v176, v178
	v_ashrrev_i32_e32 v180, 31, v180
	v_xor_b32_e32 v179, vcc_lo, v179
	v_cmp_gt_i32_e32 vcc_lo, 0, v178
	v_and_b32_e32 v39, v39, v177
	v_ashrrev_i32_e32 v176, 31, v176
	v_xor_b32_e32 v177, s23, v180
	v_mad_u32_u24 v178, v40, 36, v116
	v_mul_u32_u24_e32 v40, 36, v40
	v_and_b32_e32 v39, v39, v179
	v_xor_b32_e32 v179, vcc_lo, v176
	ds_read_b32 v176, v178 offset:544
	v_and_b32_e32 v39, v39, v177
	; wave barrier
	v_and_b32_e32 v39, v39, v179
	v_add_nc_u32_e32 v179, v116, v40
	v_mbcnt_lo_u32_b32 v177, v39, 0
	v_cmp_ne_u32_e64 s23, 0, v39
	v_cmp_eq_u32_e32 vcc_lo, 0, v177
	s_and_b32 s24, s23, vcc_lo
	s_and_saveexec_b32 s23, s24
	s_cbranch_execz .LBB120_776
; %bb.775:                              ;   in Loop: Header=BB120_730 Depth=2
	s_waitcnt lgkmcnt(0)
	v_bcnt_u32_b32 v39, v39, v176
	ds_write_b32 v179, v39 offset:544
.LBB120_776:                            ;   in Loop: Header=BB120_730 Depth=2
	s_or_b32 exec_lo, exec_lo, s23
	v_lshrrev_b32_e32 v178, 24, v140
	; wave barrier
	v_lshrrev_b32_e32 v39, s41, v178
	v_and_b32_e32 v40, s62, v39
	v_and_b32_e32 v39, 1, v40
	v_lshlrev_b32_e32 v180, 30, v40
	v_lshlrev_b32_e32 v181, 29, v40
	;; [unrolled: 1-line block ×4, first 2 shown]
	v_add_co_u32 v39, s23, v39, -1
	v_cndmask_b32_e64 v182, 0, 1, s23
	v_not_b32_e32 v186, v180
	v_cmp_gt_i32_e64 s23, 0, v180
	v_not_b32_e32 v180, v181
	v_lshlrev_b32_e32 v185, 26, v40
	v_cmp_ne_u32_e32 vcc_lo, 0, v182
	v_ashrrev_i32_e32 v186, 31, v186
	v_lshlrev_b32_e32 v182, 25, v40
	v_ashrrev_i32_e32 v180, 31, v180
	v_xor_b32_e32 v39, vcc_lo, v39
	v_cmp_gt_i32_e32 vcc_lo, 0, v181
	v_not_b32_e32 v181, v183
	v_xor_b32_e32 v186, s23, v186
	v_cmp_gt_i32_e64 s23, 0, v183
	v_and_b32_e32 v39, exec_lo, v39
	v_not_b32_e32 v183, v184
	v_ashrrev_i32_e32 v181, 31, v181
	v_xor_b32_e32 v180, vcc_lo, v180
	v_cmp_gt_i32_e32 vcc_lo, 0, v184
	v_and_b32_e32 v39, v39, v186
	v_not_b32_e32 v184, v185
	v_ashrrev_i32_e32 v183, 31, v183
	v_xor_b32_e32 v181, s23, v181
	v_cmp_gt_i32_e64 s23, 0, v185
	v_and_b32_e32 v39, v39, v180
	v_not_b32_e32 v180, v182
	v_ashrrev_i32_e32 v184, 31, v184
	v_xor_b32_e32 v183, vcc_lo, v183
	v_cmp_gt_i32_e32 vcc_lo, 0, v182
	v_and_b32_e32 v39, v39, v181
	v_ashrrev_i32_e32 v180, 31, v180
	v_xor_b32_e32 v181, s23, v184
	v_mad_u32_u24 v182, v40, 36, v116
	v_mul_u32_u24_e32 v40, 36, v40
	v_and_b32_e32 v39, v39, v183
	v_xor_b32_e32 v183, vcc_lo, v180
	ds_read_b32 v180, v182 offset:544
	v_add_nc_u32_e32 v182, v116, v40
	v_and_b32_e32 v39, v39, v181
	; wave barrier
	v_and_b32_e32 v39, v39, v183
	v_mbcnt_lo_u32_b32 v181, v39, 0
	v_cmp_ne_u32_e64 s23, 0, v39
	v_cmp_eq_u32_e32 vcc_lo, 0, v181
	s_and_b32 s24, s23, vcc_lo
	s_and_saveexec_b32 s23, s24
	s_cbranch_execz .LBB120_778
; %bb.777:                              ;   in Loop: Header=BB120_730 Depth=2
	s_waitcnt lgkmcnt(0)
	v_bcnt_u32_b32 v39, v39, v180
	ds_write_b32 v182, v39 offset:544
.LBB120_778:                            ;   in Loop: Header=BB120_730 Depth=2
	s_or_b32 exec_lo, exec_lo, s23
	v_xor_b32_e32 v39, -1, v137
	; wave barrier
	v_and_b32_sdwa v40, v92, v39 dst_sel:DWORD dst_unused:UNUSED_PAD src0_sel:DWORD src1_sel:BYTE_0
	v_lshrrev_b32_e32 v40, s41, v40
	v_and_b32_e32 v184, s62, v40
	v_and_b32_e32 v40, 1, v184
	v_lshlrev_b32_e32 v137, 30, v184
	v_lshlrev_b32_e32 v183, 29, v184
	;; [unrolled: 1-line block ×4, first 2 shown]
	v_add_co_u32 v40, s23, v40, -1
	v_cndmask_b32_e64 v185, 0, 1, s23
	v_not_b32_e32 v189, v137
	v_cmp_gt_i32_e64 s23, 0, v137
	v_not_b32_e32 v137, v183
	v_lshlrev_b32_e32 v188, 26, v184
	v_cmp_ne_u32_e32 vcc_lo, 0, v185
	v_ashrrev_i32_e32 v189, 31, v189
	v_lshlrev_b32_e32 v185, 25, v184
	v_ashrrev_i32_e32 v137, 31, v137
	v_xor_b32_e32 v40, vcc_lo, v40
	v_cmp_gt_i32_e32 vcc_lo, 0, v183
	v_not_b32_e32 v183, v186
	v_xor_b32_e32 v189, s23, v189
	v_cmp_gt_i32_e64 s23, 0, v186
	v_and_b32_e32 v40, exec_lo, v40
	v_not_b32_e32 v186, v187
	v_ashrrev_i32_e32 v183, 31, v183
	v_xor_b32_e32 v137, vcc_lo, v137
	v_cmp_gt_i32_e32 vcc_lo, 0, v187
	v_and_b32_e32 v40, v40, v189
	v_not_b32_e32 v187, v188
	v_ashrrev_i32_e32 v186, 31, v186
	v_xor_b32_e32 v183, s23, v183
	v_cmp_gt_i32_e64 s23, 0, v188
	v_and_b32_e32 v40, v40, v137
	v_not_b32_e32 v137, v185
	v_ashrrev_i32_e32 v187, 31, v187
	v_xor_b32_e32 v186, vcc_lo, v186
	v_cmp_gt_i32_e32 vcc_lo, 0, v185
	v_and_b32_e32 v40, v40, v183
	v_ashrrev_i32_e32 v137, 31, v137
	v_xor_b32_e32 v183, s23, v187
	v_mad_u32_u24 v185, v184, 36, v116
	v_mul_u32_u24_e32 v184, 36, v184
	v_and_b32_e32 v40, v40, v186
	v_xor_b32_e32 v186, vcc_lo, v137
	ds_read_b32 v137, v185 offset:544
	v_add_nc_u32_e32 v185, v116, v184
	v_and_b32_e32 v40, v40, v183
	; wave barrier
	v_and_b32_e32 v40, v40, v186
	v_mbcnt_lo_u32_b32 v183, v40, 0
	v_cmp_ne_u32_e64 s23, 0, v40
	v_cmp_eq_u32_e32 vcc_lo, 0, v183
	s_and_b32 s24, s23, vcc_lo
	s_and_saveexec_b32 s23, s24
	s_cbranch_execz .LBB120_780
; %bb.779:                              ;   in Loop: Header=BB120_730 Depth=2
	s_waitcnt lgkmcnt(0)
	v_bcnt_u32_b32 v40, v40, v137
	ds_write_b32 v185, v40 offset:544
.LBB120_780:                            ;   in Loop: Header=BB120_730 Depth=2
	s_or_b32 exec_lo, exec_lo, s23
	v_xor_b32_sdwa v3, v3, v93 dst_sel:BYTE_1 dst_unused:UNUSED_PAD src0_sel:DWORD src1_sel:DWORD
	v_xor_b32_e32 v40, -1, v41
	v_xor_b32_sdwa v41, v42, v93 dst_sel:BYTE_1 dst_unused:UNUSED_PAD src0_sel:DWORD src1_sel:DWORD
	; wave barrier
	v_or_b32_sdwa v184, v39, v3 dst_sel:DWORD dst_unused:UNUSED_PAD src0_sel:BYTE_0 src1_sel:DWORD
	v_or_b32_sdwa v3, v40, v41 dst_sel:WORD_1 dst_unused:UNUSED_PAD src0_sel:BYTE_0 src1_sel:DWORD
	v_or_b32_sdwa v3, v184, v3 dst_sel:DWORD dst_unused:UNUSED_PAD src0_sel:WORD_0 src1_sel:DWORD
	v_lshrrev_b32_sdwa v39, s41, v3 dst_sel:DWORD dst_unused:UNUSED_PAD src0_sel:DWORD src1_sel:BYTE_1
	v_and_b32_e32 v40, s62, v39
	v_and_b32_e32 v39, 1, v40
	v_lshlrev_b32_e32 v41, 30, v40
	v_lshlrev_b32_e32 v42, 29, v40
	;; [unrolled: 1-line block ×4, first 2 shown]
	v_add_co_u32 v39, s23, v39, -1
	v_cndmask_b32_e64 v186, 0, 1, s23
	v_not_b32_e32 v190, v41
	v_cmp_gt_i32_e64 s23, 0, v41
	v_not_b32_e32 v41, v42
	v_lshlrev_b32_e32 v189, 26, v40
	v_cmp_ne_u32_e32 vcc_lo, 0, v186
	v_ashrrev_i32_e32 v190, 31, v190
	v_lshlrev_b32_e32 v186, 25, v40
	v_ashrrev_i32_e32 v41, 31, v41
	v_xor_b32_e32 v39, vcc_lo, v39
	v_cmp_gt_i32_e32 vcc_lo, 0, v42
	v_not_b32_e32 v42, v187
	v_xor_b32_e32 v190, s23, v190
	v_cmp_gt_i32_e64 s23, 0, v187
	v_and_b32_e32 v39, exec_lo, v39
	v_not_b32_e32 v187, v188
	v_ashrrev_i32_e32 v42, 31, v42
	v_xor_b32_e32 v41, vcc_lo, v41
	v_cmp_gt_i32_e32 vcc_lo, 0, v188
	v_and_b32_e32 v39, v39, v190
	v_not_b32_e32 v188, v189
	v_ashrrev_i32_e32 v187, 31, v187
	v_xor_b32_e32 v42, s23, v42
	v_cmp_gt_i32_e64 s23, 0, v189
	v_and_b32_e32 v39, v39, v41
	v_not_b32_e32 v41, v186
	v_ashrrev_i32_e32 v188, 31, v188
	v_xor_b32_e32 v187, vcc_lo, v187
	v_cmp_gt_i32_e32 vcc_lo, 0, v186
	v_and_b32_e32 v39, v39, v42
	v_ashrrev_i32_e32 v41, 31, v41
	v_xor_b32_e32 v42, s23, v188
	v_mad_u32_u24 v186, v40, 36, v116
	v_mul_u32_u24_e32 v40, 36, v40
	v_and_b32_e32 v39, v39, v187
	v_xor_b32_e32 v41, vcc_lo, v41
	ds_read_b32 v186, v186 offset:544
	v_add_nc_u32_e32 v188, v116, v40
	v_and_b32_e32 v39, v39, v42
	; wave barrier
	v_and_b32_e32 v39, v39, v41
	v_mbcnt_lo_u32_b32 v187, v39, 0
	v_cmp_ne_u32_e64 s23, 0, v39
	v_cmp_eq_u32_e32 vcc_lo, 0, v187
	s_and_b32 s24, s23, vcc_lo
	s_and_saveexec_b32 s23, s24
	s_cbranch_execz .LBB120_782
; %bb.781:                              ;   in Loop: Header=BB120_730 Depth=2
	s_waitcnt lgkmcnt(0)
	v_bcnt_u32_b32 v39, v39, v186
	ds_write_b32 v188, v39 offset:544
.LBB120_782:                            ;   in Loop: Header=BB120_730 Depth=2
	s_or_b32 exec_lo, exec_lo, s23
	v_lshrrev_b32_sdwa v39, s41, v3 dst_sel:DWORD dst_unused:UNUSED_PAD src0_sel:DWORD src1_sel:BYTE_2
	; wave barrier
	v_and_b32_e32 v40, s62, v39
	v_and_b32_e32 v39, 1, v40
	v_lshlrev_b32_e32 v41, 30, v40
	v_lshlrev_b32_e32 v42, 29, v40
	;; [unrolled: 1-line block ×4, first 2 shown]
	v_add_co_u32 v39, s23, v39, -1
	v_cndmask_b32_e64 v189, 0, 1, s23
	v_not_b32_e32 v193, v41
	v_cmp_gt_i32_e64 s23, 0, v41
	v_not_b32_e32 v41, v42
	v_lshlrev_b32_e32 v192, 26, v40
	v_cmp_ne_u32_e32 vcc_lo, 0, v189
	v_ashrrev_i32_e32 v193, 31, v193
	v_lshlrev_b32_e32 v189, 25, v40
	v_ashrrev_i32_e32 v41, 31, v41
	v_xor_b32_e32 v39, vcc_lo, v39
	v_cmp_gt_i32_e32 vcc_lo, 0, v42
	v_not_b32_e32 v42, v190
	v_xor_b32_e32 v193, s23, v193
	v_cmp_gt_i32_e64 s23, 0, v190
	v_and_b32_e32 v39, exec_lo, v39
	v_not_b32_e32 v190, v191
	v_ashrrev_i32_e32 v42, 31, v42
	v_xor_b32_e32 v41, vcc_lo, v41
	v_cmp_gt_i32_e32 vcc_lo, 0, v191
	v_and_b32_e32 v39, v39, v193
	v_not_b32_e32 v191, v192
	v_ashrrev_i32_e32 v190, 31, v190
	v_xor_b32_e32 v42, s23, v42
	v_cmp_gt_i32_e64 s23, 0, v192
	v_and_b32_e32 v39, v39, v41
	v_not_b32_e32 v41, v189
	v_ashrrev_i32_e32 v191, 31, v191
	v_xor_b32_e32 v190, vcc_lo, v190
	v_cmp_gt_i32_e32 vcc_lo, 0, v189
	v_and_b32_e32 v39, v39, v42
	v_ashrrev_i32_e32 v41, 31, v41
	v_xor_b32_e32 v42, s23, v191
	v_mad_u32_u24 v189, v40, 36, v116
	v_mul_u32_u24_e32 v40, 36, v40
	v_and_b32_e32 v39, v39, v190
	v_xor_b32_e32 v41, vcc_lo, v41
	ds_read_b32 v189, v189 offset:544
	v_add_nc_u32_e32 v192, v116, v40
	v_and_b32_e32 v39, v39, v42
	; wave barrier
	v_and_b32_e32 v39, v39, v41
	v_mbcnt_lo_u32_b32 v190, v39, 0
	v_cmp_ne_u32_e64 s23, 0, v39
	v_cmp_eq_u32_e32 vcc_lo, 0, v190
	s_and_b32 s24, s23, vcc_lo
	s_and_saveexec_b32 s23, s24
	s_cbranch_execz .LBB120_784
; %bb.783:                              ;   in Loop: Header=BB120_730 Depth=2
	s_waitcnt lgkmcnt(0)
	v_bcnt_u32_b32 v39, v39, v189
	ds_write_b32 v192, v39 offset:544
.LBB120_784:                            ;   in Loop: Header=BB120_730 Depth=2
	s_or_b32 exec_lo, exec_lo, s23
	v_lshrrev_b32_e32 v191, 24, v3
	; wave barrier
	v_lshrrev_b32_e32 v39, s41, v191
	v_and_b32_e32 v40, s62, v39
	v_and_b32_e32 v39, 1, v40
	v_lshlrev_b32_e32 v41, 30, v40
	v_lshlrev_b32_e32 v42, 29, v40
	;; [unrolled: 1-line block ×4, first 2 shown]
	v_add_co_u32 v39, s23, v39, -1
	v_cndmask_b32_e64 v193, 0, 1, s23
	v_not_b32_e32 v197, v41
	v_cmp_gt_i32_e64 s23, 0, v41
	v_not_b32_e32 v41, v42
	v_lshlrev_b32_e32 v196, 26, v40
	v_cmp_ne_u32_e32 vcc_lo, 0, v193
	v_ashrrev_i32_e32 v197, 31, v197
	v_lshlrev_b32_e32 v193, 25, v40
	v_ashrrev_i32_e32 v41, 31, v41
	v_xor_b32_e32 v39, vcc_lo, v39
	v_cmp_gt_i32_e32 vcc_lo, 0, v42
	v_not_b32_e32 v42, v194
	v_xor_b32_e32 v197, s23, v197
	v_cmp_gt_i32_e64 s23, 0, v194
	v_and_b32_e32 v39, exec_lo, v39
	v_not_b32_e32 v194, v195
	v_ashrrev_i32_e32 v42, 31, v42
	v_xor_b32_e32 v41, vcc_lo, v41
	v_cmp_gt_i32_e32 vcc_lo, 0, v195
	v_and_b32_e32 v39, v39, v197
	v_not_b32_e32 v195, v196
	v_ashrrev_i32_e32 v194, 31, v194
	v_xor_b32_e32 v42, s23, v42
	v_cmp_gt_i32_e64 s23, 0, v196
	v_and_b32_e32 v39, v39, v41
	v_not_b32_e32 v41, v193
	v_ashrrev_i32_e32 v195, 31, v195
	v_xor_b32_e32 v194, vcc_lo, v194
	v_cmp_gt_i32_e32 vcc_lo, 0, v193
	v_and_b32_e32 v39, v39, v42
	v_ashrrev_i32_e32 v41, 31, v41
	v_xor_b32_e32 v42, s23, v195
	v_mad_u32_u24 v193, v40, 36, v116
	v_mul_u32_u24_e32 v40, 36, v40
	v_and_b32_e32 v39, v39, v194
	v_xor_b32_e32 v41, vcc_lo, v41
	ds_read_b32 v193, v193 offset:544
	v_add_nc_u32_e32 v195, v116, v40
	v_and_b32_e32 v39, v39, v42
	; wave barrier
	v_and_b32_e32 v39, v39, v41
	v_mbcnt_lo_u32_b32 v194, v39, 0
	v_cmp_ne_u32_e64 s23, 0, v39
	v_cmp_eq_u32_e32 vcc_lo, 0, v194
	s_and_b32 s24, s23, vcc_lo
	s_and_saveexec_b32 s23, s24
	s_cbranch_execz .LBB120_786
; %bb.785:                              ;   in Loop: Header=BB120_730 Depth=2
	s_waitcnt lgkmcnt(0)
	v_bcnt_u32_b32 v39, v39, v193
	ds_write_b32 v195, v39 offset:544
.LBB120_786:                            ;   in Loop: Header=BB120_730 Depth=2
	s_or_b32 exec_lo, exec_lo, s23
	v_xor_b32_e32 v129, -1, v129
	; wave barrier
	v_lshrrev_b32_sdwa v39, s41, v129 dst_sel:DWORD dst_unused:UNUSED_PAD src0_sel:DWORD src1_sel:BYTE_0
	v_and_b32_e32 v40, s62, v39
	v_and_b32_e32 v39, 1, v40
	v_lshlrev_b32_e32 v41, 30, v40
	v_lshlrev_b32_e32 v42, 29, v40
	;; [unrolled: 1-line block ×4, first 2 shown]
	v_add_co_u32 v39, s23, v39, -1
	v_cndmask_b32_e64 v196, 0, 1, s23
	v_not_b32_e32 v200, v41
	v_cmp_gt_i32_e64 s23, 0, v41
	v_not_b32_e32 v41, v42
	v_lshlrev_b32_e32 v199, 26, v40
	v_cmp_ne_u32_e32 vcc_lo, 0, v196
	v_ashrrev_i32_e32 v200, 31, v200
	v_lshlrev_b32_e32 v196, 25, v40
	v_ashrrev_i32_e32 v41, 31, v41
	v_xor_b32_e32 v39, vcc_lo, v39
	v_cmp_gt_i32_e32 vcc_lo, 0, v42
	v_not_b32_e32 v42, v197
	v_xor_b32_e32 v200, s23, v200
	v_cmp_gt_i32_e64 s23, 0, v197
	v_and_b32_e32 v39, exec_lo, v39
	v_not_b32_e32 v197, v198
	v_ashrrev_i32_e32 v42, 31, v42
	v_xor_b32_e32 v41, vcc_lo, v41
	v_cmp_gt_i32_e32 vcc_lo, 0, v198
	v_and_b32_e32 v39, v39, v200
	v_not_b32_e32 v198, v199
	v_ashrrev_i32_e32 v197, 31, v197
	v_xor_b32_e32 v42, s23, v42
	v_cmp_gt_i32_e64 s23, 0, v199
	v_and_b32_e32 v39, v39, v41
	v_not_b32_e32 v41, v196
	v_ashrrev_i32_e32 v198, 31, v198
	v_xor_b32_e32 v197, vcc_lo, v197
	v_cmp_gt_i32_e32 vcc_lo, 0, v196
	v_and_b32_e32 v39, v39, v42
	v_ashrrev_i32_e32 v41, 31, v41
	v_xor_b32_e32 v42, s23, v198
	v_mad_u32_u24 v196, v40, 36, v116
	v_mul_u32_u24_e32 v40, 36, v40
	v_and_b32_e32 v39, v39, v197
	v_xor_b32_e32 v41, vcc_lo, v41
	ds_read_b32 v196, v196 offset:544
	v_add_nc_u32_e32 v198, v116, v40
	v_and_b32_e32 v39, v39, v42
	; wave barrier
	v_and_b32_e32 v39, v39, v41
	v_mbcnt_lo_u32_b32 v197, v39, 0
	v_cmp_ne_u32_e64 s23, 0, v39
	v_cmp_eq_u32_e32 vcc_lo, 0, v197
	s_and_b32 s24, s23, vcc_lo
	s_and_saveexec_b32 s23, s24
	s_cbranch_execz .LBB120_788
; %bb.787:                              ;   in Loop: Header=BB120_730 Depth=2
	s_waitcnt lgkmcnt(0)
	v_bcnt_u32_b32 v39, v39, v196
	ds_write_b32 v198, v39 offset:544
.LBB120_788:                            ;   in Loop: Header=BB120_730 Depth=2
	s_or_b32 exec_lo, exec_lo, s23
	; wave barrier
	s_waitcnt lgkmcnt(0)
	s_barrier
	buffer_gl0_inv
	ds_read2_b32 v[41:42], v69 offset0:136 offset1:137
	ds_read2_b32 v[39:40], v69 offset0:138 offset1:139
	ds_read_b32 v199, v69 offset:560
	s_waitcnt lgkmcnt(1)
	v_add3_u32 v200, v42, v41, v39
	s_waitcnt lgkmcnt(0)
	v_add3_u32 v199, v200, v40, v199
	v_mov_b32_dpp v200, v199 row_shr:1 row_mask:0xf bank_mask:0xf
	v_cndmask_b32_e64 v200, v200, 0, s5
	v_add_nc_u32_e32 v199, v200, v199
	v_mov_b32_dpp v200, v199 row_shr:2 row_mask:0xf bank_mask:0xf
	v_cndmask_b32_e64 v200, 0, v200, s15
	v_add_nc_u32_e32 v199, v199, v200
	;; [unrolled: 3-line block ×4, first 2 shown]
	ds_swizzle_b32 v200, v199 offset:swizzle(BROADCAST,32,15)
	s_waitcnt lgkmcnt(0)
	v_cndmask_b32_e64 v200, v200, 0, s18
	v_add_nc_u32_e32 v199, v199, v200
	s_and_saveexec_b32 s23, s4
; %bb.789:                              ;   in Loop: Header=BB120_730 Depth=2
	ds_write_b32 v62, v199 offset:512
; %bb.790:                              ;   in Loop: Header=BB120_730 Depth=2
	s_or_b32 exec_lo, exec_lo, s23
	s_waitcnt lgkmcnt(0)
	s_barrier
	buffer_gl0_inv
	s_and_saveexec_b32 s23, s12
	s_cbranch_execz .LBB120_792
; %bb.791:                              ;   in Loop: Header=BB120_730 Depth=2
	ds_read_b32 v200, v70 offset:512
	s_waitcnt lgkmcnt(0)
	v_mov_b32_dpp v201, v200 row_shr:1 row_mask:0xf bank_mask:0xf
	v_cndmask_b32_e64 v201, v201, 0, s20
	v_add_nc_u32_e32 v200, v201, v200
	v_mov_b32_dpp v201, v200 row_shr:2 row_mask:0xf bank_mask:0xf
	v_cndmask_b32_e64 v201, 0, v201, s21
	v_add_nc_u32_e32 v200, v200, v201
	;; [unrolled: 3-line block ×3, first 2 shown]
	ds_write_b32 v70, v200 offset:512
.LBB120_792:                            ;   in Loop: Header=BB120_730 Depth=2
	s_or_b32 exec_lo, exec_lo, s23
	v_mov_b32_e32 v200, 0
	s_waitcnt lgkmcnt(0)
	s_barrier
	buffer_gl0_inv
	s_and_saveexec_b32 s23, s11
; %bb.793:                              ;   in Loop: Header=BB120_730 Depth=2
	ds_read_b32 v200, v62 offset:508
; %bb.794:                              ;   in Loop: Header=BB120_730 Depth=2
	s_or_b32 exec_lo, exec_lo, s23
	s_waitcnt lgkmcnt(0)
	v_add_nc_u32_e32 v199, v200, v199
	ds_bpermute_b32 v199, v94, v199
	s_waitcnt lgkmcnt(0)
	v_cndmask_b32_e64 v199, v199, v200, s19
	v_cndmask_b32_e64 v199, v199, 0, s13
	v_add_nc_u32_e32 v41, v199, v41
	v_add_nc_u32_e32 v42, v41, v42
	;; [unrolled: 1-line block ×4, first 2 shown]
	ds_write2_b32 v69, v199, v41 offset0:136 offset1:137
	ds_write2_b32 v69, v42, v39 offset0:138 offset1:139
	ds_write_b32 v69, v40 offset:560
	s_waitcnt lgkmcnt(0)
	s_barrier
	buffer_gl0_inv
	ds_read_b32 v39, v149 offset:544
	ds_read_b32 v40, v153 offset:544
	;; [unrolled: 1-line block ×17, first 2 shown]
	s_and_saveexec_b32 s23, s8
	s_cbranch_execz .LBB120_798
; %bb.795:                              ;   in Loop: Header=BB120_730 Depth=2
	v_add_nc_u32_e32 v135, v70, v72
	v_mov_b32_e32 v136, 0x1100
	ds_read_b32 v135, v135 offset:544
	s_and_saveexec_b32 s24, s14
; %bb.796:                              ;   in Loop: Header=BB120_730 Depth=2
	ds_read_b32 v136, v71 offset:544
; %bb.797:                              ;   in Loop: Header=BB120_730 Depth=2
	s_or_b32 exec_lo, exec_lo, s24
	s_waitcnt lgkmcnt(0)
	v_sub_nc_u32_e32 v136, v136, v135
.LBB120_798:                            ;   in Loop: Header=BB120_730 Depth=2
	s_or_b32 exec_lo, exec_lo, s23
	v_lshrrev_b32_e32 v203, 8, v148
	v_lshrrev_b32_e32 v204, 16, v148
	;; [unrolled: 1-line block ×8, first 2 shown]
	s_waitcnt lgkmcnt(0)
	s_barrier
	buffer_gl0_inv
	s_and_saveexec_b32 s23, s8
	s_cbranch_execz .LBB120_800
; %bb.799:                              ;   in Loop: Header=BB120_730 Depth=2
	ds_read_b32 v3, v43
	s_waitcnt lgkmcnt(0)
	v_sub_nc_u32_e32 v3, v3, v135
	ds_write_b32 v43, v3
.LBB120_800:                            ;   in Loop: Header=BB120_730 Depth=2
	s_or_b32 exec_lo, exec_lo, s23
	v_add_nc_u32_e32 v157, v39, v146
	v_add3_u32 v153, v152, v151, v40
	v_add3_u32 v152, v155, v154, v41
	v_add3_u32 v151, v159, v158, v42
	v_add3_u32 v150, v161, v150, v149
	v_add3_u32 v149, v163, v145, v160
	v_add3_u32 v148, v166, v165, v162
	v_add3_u32 v146, v170, v169, v164
	v_add3_u32 v145, v172, v142, v168
	v_add3_u32 v144, v174, v141, v171
	v_add3_u32 v142, v177, v176, v173
	v_add3_u32 v141, v181, v180, v175
	v_add3_u32 v140, v183, v137, v179
	v_add3_u32 v137, v187, v186, v182
	v_add3_u32 v42, v190, v189, v185
	v_add3_u32 v41, v194, v193, v188
	v_add3_u32 v3, v197, v196, v192
	v_cmp_lt_u32_e64 s39, v0, v138
	ds_write_b8 v157, v147 offset:512
	ds_write_b8 v153, v203 offset:512
	;; [unrolled: 1-line block ×17, first 2 shown]
	s_waitcnt lgkmcnt(0)
	s_barrier
	buffer_gl0_inv
	s_and_saveexec_b32 s23, s39
	s_cbranch_execnz .LBB120_873
; %bb.801:                              ;   in Loop: Header=BB120_730 Depth=2
	s_or_b32 exec_lo, exec_lo, s23
	v_cmp_lt_u32_e64 s38, v44, v138
	s_and_saveexec_b32 s23, s38
	s_cbranch_execnz .LBB120_874
.LBB120_802:                            ;   in Loop: Header=BB120_730 Depth=2
	s_or_b32 exec_lo, exec_lo, s23
	v_cmp_lt_u32_e64 s37, v47, v138
	s_and_saveexec_b32 s23, s37
	s_cbranch_execnz .LBB120_875
.LBB120_803:                            ;   in Loop: Header=BB120_730 Depth=2
	s_or_b32 exec_lo, exec_lo, s23
	v_cmp_lt_u32_e64 s36, v48, v138
	s_and_saveexec_b32 s23, s36
	s_cbranch_execnz .LBB120_876
.LBB120_804:                            ;   in Loop: Header=BB120_730 Depth=2
	s_or_b32 exec_lo, exec_lo, s23
	v_cmp_lt_u32_e64 s35, v49, v138
	s_and_saveexec_b32 s23, s35
	s_cbranch_execnz .LBB120_877
.LBB120_805:                            ;   in Loop: Header=BB120_730 Depth=2
	s_or_b32 exec_lo, exec_lo, s23
	v_cmp_lt_u32_e64 s34, v50, v138
	s_and_saveexec_b32 s23, s34
	s_cbranch_execnz .LBB120_878
.LBB120_806:                            ;   in Loop: Header=BB120_730 Depth=2
	s_or_b32 exec_lo, exec_lo, s23
	v_cmp_lt_u32_e64 s33, v51, v138
	s_and_saveexec_b32 s23, s33
	s_cbranch_execnz .LBB120_879
.LBB120_807:                            ;   in Loop: Header=BB120_730 Depth=2
	s_or_b32 exec_lo, exec_lo, s23
	v_cmp_lt_u32_e64 s31, v52, v138
	s_and_saveexec_b32 s23, s31
	s_cbranch_execnz .LBB120_880
.LBB120_808:                            ;   in Loop: Header=BB120_730 Depth=2
	s_or_b32 exec_lo, exec_lo, s23
	v_cmp_lt_u32_e64 s30, v53, v138
	s_and_saveexec_b32 s23, s30
	s_cbranch_execnz .LBB120_881
.LBB120_809:                            ;   in Loop: Header=BB120_730 Depth=2
	s_or_b32 exec_lo, exec_lo, s23
	v_cmp_lt_u32_e64 s29, v54, v138
	s_and_saveexec_b32 s23, s29
	s_cbranch_execnz .LBB120_882
.LBB120_810:                            ;   in Loop: Header=BB120_730 Depth=2
	s_or_b32 exec_lo, exec_lo, s23
	v_cmp_lt_u32_e64 s28, v55, v138
	s_and_saveexec_b32 s23, s28
	s_cbranch_execnz .LBB120_883
.LBB120_811:                            ;   in Loop: Header=BB120_730 Depth=2
	s_or_b32 exec_lo, exec_lo, s23
	v_cmp_lt_u32_e64 s27, v56, v138
	s_and_saveexec_b32 s23, s27
	s_cbranch_execnz .LBB120_884
.LBB120_812:                            ;   in Loop: Header=BB120_730 Depth=2
	s_or_b32 exec_lo, exec_lo, s23
	v_cmp_lt_u32_e64 s26, v57, v138
	s_and_saveexec_b32 s23, s26
	s_cbranch_execnz .LBB120_885
.LBB120_813:                            ;   in Loop: Header=BB120_730 Depth=2
	s_or_b32 exec_lo, exec_lo, s23
	v_cmp_lt_u32_e64 s25, v58, v138
	s_and_saveexec_b32 s23, s25
	s_cbranch_execnz .LBB120_886
.LBB120_814:                            ;   in Loop: Header=BB120_730 Depth=2
	s_or_b32 exec_lo, exec_lo, s23
	v_cmp_lt_u32_e64 s24, v59, v138
	s_and_saveexec_b32 s23, s24
	s_cbranch_execnz .LBB120_887
.LBB120_815:                            ;   in Loop: Header=BB120_730 Depth=2
	s_or_b32 exec_lo, exec_lo, s23
	v_cmp_lt_u32_e64 s23, v60, v138
	s_and_saveexec_b32 s40, s23
	s_cbranch_execnz .LBB120_888
.LBB120_816:                            ;   in Loop: Header=BB120_730 Depth=2
	s_or_b32 exec_lo, exec_lo, s40
	v_cmp_lt_u32_e32 vcc_lo, v61, v138
	s_and_saveexec_b32 s40, vcc_lo
	s_cbranch_execz .LBB120_818
.LBB120_817:                            ;   in Loop: Header=BB120_730 Depth=2
	ds_read_u8 v39, v0 offset:4608
	s_waitcnt lgkmcnt(0)
	v_lshrrev_b32_sdwa v40, s41, v39 dst_sel:DWORD dst_unused:UNUSED_PAD src0_sel:DWORD src1_sel:BYTE_0
	v_xor_b32_e32 v39, -1, v39
	v_and_b32_e32 v40, s62, v40
	v_lshlrev_b32_e32 v40, 2, v40
	ds_read_b32 v40, v40
	s_waitcnt lgkmcnt(0)
	v_add_nc_u32_e32 v40, v40, v61
	global_store_byte v40, v39, s[46:47]
.LBB120_818:                            ;   in Loop: Header=BB120_730 Depth=2
	s_or_b32 exec_lo, exec_lo, s40
	s_lshl_b64 s[66:67], s[50:51], 3
	v_add_co_u32 v39, s40, v98, s66
	v_add_co_ci_u32_e64 v40, null, s67, v99, s40
	v_cmp_lt_u32_e64 s40, v95, v138
	s_and_saveexec_b32 s50, s40
	s_xor_b32 s40, exec_lo, s50
	s_cbranch_execnz .LBB120_889
; %bb.819:                              ;   in Loop: Header=BB120_730 Depth=2
	s_or_b32 exec_lo, exec_lo, s40
	s_mov_b32 s50, exec_lo
	v_cmpx_lt_u32_e64 v100, v138
	s_cbranch_execnz .LBB120_890
.LBB120_820:                            ;   in Loop: Header=BB120_730 Depth=2
	s_or_b32 exec_lo, exec_lo, s50
	s_mov_b32 s50, exec_lo
	v_cmpx_lt_u32_e64 v101, v138
	s_cbranch_execnz .LBB120_891
.LBB120_821:                            ;   in Loop: Header=BB120_730 Depth=2
	s_or_b32 exec_lo, exec_lo, s50
	s_mov_b32 s50, exec_lo
	v_cmpx_lt_u32_e64 v102, v138
	s_cbranch_execnz .LBB120_892
.LBB120_822:                            ;   in Loop: Header=BB120_730 Depth=2
	s_or_b32 exec_lo, exec_lo, s50
	s_mov_b32 s50, exec_lo
	v_cmpx_lt_u32_e64 v103, v138
	s_cbranch_execnz .LBB120_893
.LBB120_823:                            ;   in Loop: Header=BB120_730 Depth=2
	s_or_b32 exec_lo, exec_lo, s50
	s_mov_b32 s50, exec_lo
	v_cmpx_lt_u32_e64 v104, v138
	s_cbranch_execnz .LBB120_894
.LBB120_824:                            ;   in Loop: Header=BB120_730 Depth=2
	s_or_b32 exec_lo, exec_lo, s50
	s_mov_b32 s50, exec_lo
	v_cmpx_lt_u32_e64 v105, v138
	s_cbranch_execnz .LBB120_895
.LBB120_825:                            ;   in Loop: Header=BB120_730 Depth=2
	s_or_b32 exec_lo, exec_lo, s50
	s_mov_b32 s50, exec_lo
	v_cmpx_lt_u32_e64 v106, v138
	s_cbranch_execnz .LBB120_896
.LBB120_826:                            ;   in Loop: Header=BB120_730 Depth=2
	s_or_b32 exec_lo, exec_lo, s50
	s_mov_b32 s50, exec_lo
	v_cmpx_lt_u32_e64 v107, v138
	s_cbranch_execnz .LBB120_897
.LBB120_827:                            ;   in Loop: Header=BB120_730 Depth=2
	s_or_b32 exec_lo, exec_lo, s50
	s_mov_b32 s50, exec_lo
	v_cmpx_lt_u32_e64 v108, v138
	s_cbranch_execnz .LBB120_898
.LBB120_828:                            ;   in Loop: Header=BB120_730 Depth=2
	s_or_b32 exec_lo, exec_lo, s50
	s_mov_b32 s50, exec_lo
	v_cmpx_lt_u32_e64 v109, v138
	s_cbranch_execnz .LBB120_899
.LBB120_829:                            ;   in Loop: Header=BB120_730 Depth=2
	s_or_b32 exec_lo, exec_lo, s50
	s_mov_b32 s50, exec_lo
	v_cmpx_lt_u32_e64 v110, v138
	s_cbranch_execnz .LBB120_900
.LBB120_830:                            ;   in Loop: Header=BB120_730 Depth=2
	s_or_b32 exec_lo, exec_lo, s50
	s_mov_b32 s50, exec_lo
	v_cmpx_lt_u32_e64 v111, v138
	s_cbranch_execnz .LBB120_901
.LBB120_831:                            ;   in Loop: Header=BB120_730 Depth=2
	s_or_b32 exec_lo, exec_lo, s50
	s_mov_b32 s50, exec_lo
	v_cmpx_lt_u32_e64 v112, v138
	s_cbranch_execnz .LBB120_902
.LBB120_832:                            ;   in Loop: Header=BB120_730 Depth=2
	s_or_b32 exec_lo, exec_lo, s50
	s_mov_b32 s50, exec_lo
	v_cmpx_lt_u32_e64 v113, v138
	s_cbranch_execnz .LBB120_903
.LBB120_833:                            ;   in Loop: Header=BB120_730 Depth=2
	s_or_b32 exec_lo, exec_lo, s50
	s_mov_b32 s50, exec_lo
	v_cmpx_lt_u32_e64 v114, v138
	s_cbranch_execnz .LBB120_904
.LBB120_834:                            ;   in Loop: Header=BB120_730 Depth=2
	s_or_b32 exec_lo, exec_lo, s50
	s_mov_b32 s50, exec_lo
	v_cmpx_lt_u32_e64 v115, v138
	s_cbranch_execnz .LBB120_905
.LBB120_835:                            ;   in Loop: Header=BB120_730 Depth=2
	s_or_b32 exec_lo, exec_lo, s50
	s_and_saveexec_b32 s40, s39
	s_cbranch_execnz .LBB120_906
.LBB120_836:                            ;   in Loop: Header=BB120_730 Depth=2
	s_or_b32 exec_lo, exec_lo, s40
	s_and_saveexec_b32 s40, s38
	s_cbranch_execnz .LBB120_907
.LBB120_837:                            ;   in Loop: Header=BB120_730 Depth=2
	s_or_b32 exec_lo, exec_lo, s40
	s_and_saveexec_b32 s40, s37
	s_cbranch_execnz .LBB120_908
.LBB120_838:                            ;   in Loop: Header=BB120_730 Depth=2
	s_or_b32 exec_lo, exec_lo, s40
	s_and_saveexec_b32 s40, s36
	s_cbranch_execnz .LBB120_909
.LBB120_839:                            ;   in Loop: Header=BB120_730 Depth=2
	s_or_b32 exec_lo, exec_lo, s40
	s_and_saveexec_b32 s40, s35
	s_cbranch_execnz .LBB120_910
.LBB120_840:                            ;   in Loop: Header=BB120_730 Depth=2
	s_or_b32 exec_lo, exec_lo, s40
	s_and_saveexec_b32 s40, s34
	s_cbranch_execnz .LBB120_911
.LBB120_841:                            ;   in Loop: Header=BB120_730 Depth=2
	s_or_b32 exec_lo, exec_lo, s40
	s_and_saveexec_b32 s40, s33
	s_cbranch_execnz .LBB120_912
.LBB120_842:                            ;   in Loop: Header=BB120_730 Depth=2
	s_or_b32 exec_lo, exec_lo, s40
	s_and_saveexec_b32 s40, s31
	s_cbranch_execnz .LBB120_913
.LBB120_843:                            ;   in Loop: Header=BB120_730 Depth=2
	s_or_b32 exec_lo, exec_lo, s40
	s_and_saveexec_b32 s40, s30
	s_cbranch_execnz .LBB120_914
.LBB120_844:                            ;   in Loop: Header=BB120_730 Depth=2
	s_or_b32 exec_lo, exec_lo, s40
	s_and_saveexec_b32 s40, s29
	s_cbranch_execnz .LBB120_915
.LBB120_845:                            ;   in Loop: Header=BB120_730 Depth=2
	s_or_b32 exec_lo, exec_lo, s40
	s_and_saveexec_b32 s40, s28
	s_cbranch_execnz .LBB120_916
.LBB120_846:                            ;   in Loop: Header=BB120_730 Depth=2
	s_or_b32 exec_lo, exec_lo, s40
	s_and_saveexec_b32 s40, s27
	s_cbranch_execnz .LBB120_917
.LBB120_847:                            ;   in Loop: Header=BB120_730 Depth=2
	s_or_b32 exec_lo, exec_lo, s40
	s_and_saveexec_b32 s40, s26
	s_cbranch_execnz .LBB120_918
.LBB120_848:                            ;   in Loop: Header=BB120_730 Depth=2
	s_or_b32 exec_lo, exec_lo, s40
	s_and_saveexec_b32 s40, s25
	s_cbranch_execnz .LBB120_919
.LBB120_849:                            ;   in Loop: Header=BB120_730 Depth=2
	s_or_b32 exec_lo, exec_lo, s40
	s_and_saveexec_b32 s40, s24
	s_cbranch_execnz .LBB120_920
.LBB120_850:                            ;   in Loop: Header=BB120_730 Depth=2
	s_or_b32 exec_lo, exec_lo, s40
	s_and_saveexec_b32 s40, s23
	s_cbranch_execnz .LBB120_921
.LBB120_851:                            ;   in Loop: Header=BB120_730 Depth=2
	s_or_b32 exec_lo, exec_lo, s40
	s_and_saveexec_b32 s40, vcc_lo
	s_cbranch_execz .LBB120_853
.LBB120_852:                            ;   in Loop: Header=BB120_730 Depth=2
	ds_read_u8 v39, v0 offset:4608
	s_waitcnt lgkmcnt(0)
	v_lshrrev_b32_e32 v39, s41, v39
	v_and_b32_e32 v117, s62, v39
.LBB120_853:                            ;   in Loop: Header=BB120_730 Depth=2
	s_or_b32 exec_lo, exec_lo, s40
	v_lshlrev_b32_e32 v39, 3, v157
	v_lshlrev_b32_e32 v40, 3, v153
	s_waitcnt vmcnt(0)
	s_waitcnt_vscnt null, 0x0
	s_barrier
	buffer_gl0_inv
	ds_write_b64 v39, v[37:38] offset:512
	ds_write_b64 v40, v[35:36] offset:512
	v_lshlrev_b32_e32 v39, 3, v152
	v_lshlrev_b32_e32 v40, 3, v151
	v_lshlrev_b32_e32 v138, 3, v150
	v_lshlrev_b32_e32 v139, 3, v149
	v_lshlrev_b32_e32 v143, 3, v148
	ds_write_b64 v39, v[33:34] offset:512
	ds_write_b64 v40, v[31:32] offset:512
	ds_write_b64 v138, v[29:30] offset:512
	ds_write_b64 v139, v[25:26] offset:512
	ds_write_b64 v143, v[21:22] offset:512
	v_lshlrev_b32_e32 v39, 3, v146
	v_lshlrev_b32_e32 v40, 3, v145
	v_lshlrev_b32_e32 v138, 3, v144
	v_lshlrev_b32_e32 v139, 3, v142
	v_lshlrev_b32_e32 v141, 3, v141
	ds_write_b64 v39, v[17:18] offset:512
	ds_write_b64 v40, v[27:28] offset:512
	ds_write_b64 v138, v[23:24] offset:512
	;; [unrolled: 10-line block ×3, first 2 shown]
	ds_write_b64 v41, v[7:8] offset:512
	ds_write_b64 v3, v[5:6] offset:512
	s_waitcnt lgkmcnt(0)
	s_barrier
	buffer_gl0_inv
	s_and_saveexec_b32 s40, s39
	s_cbranch_execnz .LBB120_922
; %bb.854:                              ;   in Loop: Header=BB120_730 Depth=2
	s_or_b32 exec_lo, exec_lo, s40
	s_and_saveexec_b32 s39, s38
	s_cbranch_execnz .LBB120_923
.LBB120_855:                            ;   in Loop: Header=BB120_730 Depth=2
	s_or_b32 exec_lo, exec_lo, s39
	s_and_saveexec_b32 s38, s37
	s_cbranch_execnz .LBB120_924
.LBB120_856:                            ;   in Loop: Header=BB120_730 Depth=2
	s_or_b32 exec_lo, exec_lo, s38
	s_and_saveexec_b32 s37, s36
	s_cbranch_execnz .LBB120_925
.LBB120_857:                            ;   in Loop: Header=BB120_730 Depth=2
	s_or_b32 exec_lo, exec_lo, s37
	s_and_saveexec_b32 s36, s35
	s_cbranch_execnz .LBB120_926
.LBB120_858:                            ;   in Loop: Header=BB120_730 Depth=2
	s_or_b32 exec_lo, exec_lo, s36
	s_and_saveexec_b32 s35, s34
	s_cbranch_execnz .LBB120_927
.LBB120_859:                            ;   in Loop: Header=BB120_730 Depth=2
	s_or_b32 exec_lo, exec_lo, s35
	s_and_saveexec_b32 s34, s33
	s_cbranch_execnz .LBB120_928
.LBB120_860:                            ;   in Loop: Header=BB120_730 Depth=2
	s_or_b32 exec_lo, exec_lo, s34
	s_and_saveexec_b32 s33, s31
	s_cbranch_execnz .LBB120_929
.LBB120_861:                            ;   in Loop: Header=BB120_730 Depth=2
	s_or_b32 exec_lo, exec_lo, s33
	s_and_saveexec_b32 s31, s30
	s_cbranch_execnz .LBB120_930
.LBB120_862:                            ;   in Loop: Header=BB120_730 Depth=2
	s_or_b32 exec_lo, exec_lo, s31
	s_and_saveexec_b32 s30, s29
	s_cbranch_execnz .LBB120_931
.LBB120_863:                            ;   in Loop: Header=BB120_730 Depth=2
	s_or_b32 exec_lo, exec_lo, s30
	s_and_saveexec_b32 s29, s28
	s_cbranch_execnz .LBB120_932
.LBB120_864:                            ;   in Loop: Header=BB120_730 Depth=2
	s_or_b32 exec_lo, exec_lo, s29
	s_and_saveexec_b32 s28, s27
	s_cbranch_execnz .LBB120_933
.LBB120_865:                            ;   in Loop: Header=BB120_730 Depth=2
	s_or_b32 exec_lo, exec_lo, s28
	s_and_saveexec_b32 s27, s26
	s_cbranch_execnz .LBB120_934
.LBB120_866:                            ;   in Loop: Header=BB120_730 Depth=2
	s_or_b32 exec_lo, exec_lo, s27
	s_and_saveexec_b32 s26, s25
	s_cbranch_execnz .LBB120_935
.LBB120_867:                            ;   in Loop: Header=BB120_730 Depth=2
	s_or_b32 exec_lo, exec_lo, s26
	s_and_saveexec_b32 s25, s24
	s_cbranch_execnz .LBB120_936
.LBB120_868:                            ;   in Loop: Header=BB120_730 Depth=2
	s_or_b32 exec_lo, exec_lo, s25
	s_and_saveexec_b32 s24, s23
	s_cbranch_execnz .LBB120_937
.LBB120_869:                            ;   in Loop: Header=BB120_730 Depth=2
	s_or_b32 exec_lo, exec_lo, s24
	s_and_saveexec_b32 s23, vcc_lo
	s_cbranch_execz .LBB120_871
.LBB120_870:                            ;   in Loop: Header=BB120_730 Depth=2
	v_lshlrev_b32_e32 v3, 2, v117
	v_add_nc_u32_e32 v39, v0, v75
	ds_read_b32 v3, v3
	ds_read_b64 v[39:40], v39 offset:33280
	s_waitcnt lgkmcnt(1)
	v_add_nc_u32_e32 v3, v3, v61
	v_lshlrev_b64 v[41:42], 3, v[3:4]
	v_add_co_u32 v41, vcc_lo, s52, v41
	v_add_co_ci_u32_e64 v42, null, s53, v42, vcc_lo
	s_waitcnt lgkmcnt(0)
	global_store_dwordx2 v[41:42], v[39:40], off
.LBB120_871:                            ;   in Loop: Header=BB120_730 Depth=2
	s_or_b32 exec_lo, exec_lo, s23
	s_waitcnt_vscnt null, 0x0
	s_barrier
	buffer_gl0_inv
	s_and_saveexec_b32 s23, s8
	s_cbranch_execz .LBB120_729
; %bb.872:                              ;   in Loop: Header=BB120_730 Depth=2
	ds_read_b32 v3, v43
	s_waitcnt lgkmcnt(0)
	v_add3_u32 v3, v135, v136, v3
	ds_write_b32 v43, v3
	s_branch .LBB120_729
.LBB120_873:                            ;   in Loop: Header=BB120_730 Depth=2
	ds_read_u8 v39, v0 offset:512
	s_waitcnt lgkmcnt(0)
	v_lshrrev_b32_sdwa v40, s41, v39 dst_sel:DWORD dst_unused:UNUSED_PAD src0_sel:DWORD src1_sel:BYTE_0
	v_xor_b32_e32 v39, -1, v39
	v_and_b32_e32 v40, s62, v40
	v_lshlrev_b32_e32 v40, 2, v40
	ds_read_b32 v40, v40
	s_waitcnt lgkmcnt(0)
	v_add_nc_u32_e32 v40, v40, v0
	global_store_byte v40, v39, s[46:47]
	s_or_b32 exec_lo, exec_lo, s23
	v_cmp_lt_u32_e64 s38, v44, v138
	s_and_saveexec_b32 s23, s38
	s_cbranch_execz .LBB120_802
.LBB120_874:                            ;   in Loop: Header=BB120_730 Depth=2
	ds_read_u8 v39, v0 offset:768
	s_waitcnt lgkmcnt(0)
	v_lshrrev_b32_sdwa v40, s41, v39 dst_sel:DWORD dst_unused:UNUSED_PAD src0_sel:DWORD src1_sel:BYTE_0
	v_xor_b32_e32 v39, -1, v39
	v_and_b32_e32 v40, s62, v40
	v_lshlrev_b32_e32 v40, 2, v40
	ds_read_b32 v40, v40
	s_waitcnt lgkmcnt(0)
	v_add_nc_u32_e32 v40, v40, v44
	global_store_byte v40, v39, s[46:47]
	s_or_b32 exec_lo, exec_lo, s23
	v_cmp_lt_u32_e64 s37, v47, v138
	s_and_saveexec_b32 s23, s37
	s_cbranch_execz .LBB120_803
.LBB120_875:                            ;   in Loop: Header=BB120_730 Depth=2
	ds_read_u8 v39, v0 offset:1024
	s_waitcnt lgkmcnt(0)
	v_lshrrev_b32_sdwa v40, s41, v39 dst_sel:DWORD dst_unused:UNUSED_PAD src0_sel:DWORD src1_sel:BYTE_0
	v_xor_b32_e32 v39, -1, v39
	v_and_b32_e32 v40, s62, v40
	v_lshlrev_b32_e32 v40, 2, v40
	ds_read_b32 v40, v40
	s_waitcnt lgkmcnt(0)
	v_add_nc_u32_e32 v40, v40, v47
	global_store_byte v40, v39, s[46:47]
	s_or_b32 exec_lo, exec_lo, s23
	v_cmp_lt_u32_e64 s36, v48, v138
	s_and_saveexec_b32 s23, s36
	s_cbranch_execz .LBB120_804
.LBB120_876:                            ;   in Loop: Header=BB120_730 Depth=2
	ds_read_u8 v39, v0 offset:1280
	s_waitcnt lgkmcnt(0)
	v_lshrrev_b32_sdwa v40, s41, v39 dst_sel:DWORD dst_unused:UNUSED_PAD src0_sel:DWORD src1_sel:BYTE_0
	v_xor_b32_e32 v39, -1, v39
	v_and_b32_e32 v40, s62, v40
	v_lshlrev_b32_e32 v40, 2, v40
	ds_read_b32 v40, v40
	s_waitcnt lgkmcnt(0)
	v_add_nc_u32_e32 v40, v40, v48
	global_store_byte v40, v39, s[46:47]
	s_or_b32 exec_lo, exec_lo, s23
	v_cmp_lt_u32_e64 s35, v49, v138
	s_and_saveexec_b32 s23, s35
	s_cbranch_execz .LBB120_805
.LBB120_877:                            ;   in Loop: Header=BB120_730 Depth=2
	ds_read_u8 v39, v0 offset:1536
	s_waitcnt lgkmcnt(0)
	v_lshrrev_b32_sdwa v40, s41, v39 dst_sel:DWORD dst_unused:UNUSED_PAD src0_sel:DWORD src1_sel:BYTE_0
	v_xor_b32_e32 v39, -1, v39
	v_and_b32_e32 v40, s62, v40
	v_lshlrev_b32_e32 v40, 2, v40
	ds_read_b32 v40, v40
	s_waitcnt lgkmcnt(0)
	v_add_nc_u32_e32 v40, v40, v49
	global_store_byte v40, v39, s[46:47]
	s_or_b32 exec_lo, exec_lo, s23
	v_cmp_lt_u32_e64 s34, v50, v138
	s_and_saveexec_b32 s23, s34
	s_cbranch_execz .LBB120_806
.LBB120_878:                            ;   in Loop: Header=BB120_730 Depth=2
	ds_read_u8 v39, v0 offset:1792
	s_waitcnt lgkmcnt(0)
	v_lshrrev_b32_sdwa v40, s41, v39 dst_sel:DWORD dst_unused:UNUSED_PAD src0_sel:DWORD src1_sel:BYTE_0
	v_xor_b32_e32 v39, -1, v39
	v_and_b32_e32 v40, s62, v40
	v_lshlrev_b32_e32 v40, 2, v40
	ds_read_b32 v40, v40
	s_waitcnt lgkmcnt(0)
	v_add_nc_u32_e32 v40, v40, v50
	global_store_byte v40, v39, s[46:47]
	s_or_b32 exec_lo, exec_lo, s23
	v_cmp_lt_u32_e64 s33, v51, v138
	s_and_saveexec_b32 s23, s33
	s_cbranch_execz .LBB120_807
.LBB120_879:                            ;   in Loop: Header=BB120_730 Depth=2
	ds_read_u8 v39, v0 offset:2048
	s_waitcnt lgkmcnt(0)
	v_lshrrev_b32_sdwa v40, s41, v39 dst_sel:DWORD dst_unused:UNUSED_PAD src0_sel:DWORD src1_sel:BYTE_0
	v_xor_b32_e32 v39, -1, v39
	v_and_b32_e32 v40, s62, v40
	v_lshlrev_b32_e32 v40, 2, v40
	ds_read_b32 v40, v40
	s_waitcnt lgkmcnt(0)
	v_add_nc_u32_e32 v40, v40, v51
	global_store_byte v40, v39, s[46:47]
	s_or_b32 exec_lo, exec_lo, s23
	v_cmp_lt_u32_e64 s31, v52, v138
	s_and_saveexec_b32 s23, s31
	s_cbranch_execz .LBB120_808
.LBB120_880:                            ;   in Loop: Header=BB120_730 Depth=2
	ds_read_u8 v39, v0 offset:2304
	s_waitcnt lgkmcnt(0)
	v_lshrrev_b32_sdwa v40, s41, v39 dst_sel:DWORD dst_unused:UNUSED_PAD src0_sel:DWORD src1_sel:BYTE_0
	v_xor_b32_e32 v39, -1, v39
	v_and_b32_e32 v40, s62, v40
	v_lshlrev_b32_e32 v40, 2, v40
	ds_read_b32 v40, v40
	s_waitcnt lgkmcnt(0)
	v_add_nc_u32_e32 v40, v40, v52
	global_store_byte v40, v39, s[46:47]
	s_or_b32 exec_lo, exec_lo, s23
	v_cmp_lt_u32_e64 s30, v53, v138
	s_and_saveexec_b32 s23, s30
	s_cbranch_execz .LBB120_809
.LBB120_881:                            ;   in Loop: Header=BB120_730 Depth=2
	ds_read_u8 v39, v0 offset:2560
	s_waitcnt lgkmcnt(0)
	v_lshrrev_b32_sdwa v40, s41, v39 dst_sel:DWORD dst_unused:UNUSED_PAD src0_sel:DWORD src1_sel:BYTE_0
	v_xor_b32_e32 v39, -1, v39
	v_and_b32_e32 v40, s62, v40
	v_lshlrev_b32_e32 v40, 2, v40
	ds_read_b32 v40, v40
	s_waitcnt lgkmcnt(0)
	v_add_nc_u32_e32 v40, v40, v53
	global_store_byte v40, v39, s[46:47]
	s_or_b32 exec_lo, exec_lo, s23
	v_cmp_lt_u32_e64 s29, v54, v138
	s_and_saveexec_b32 s23, s29
	s_cbranch_execz .LBB120_810
.LBB120_882:                            ;   in Loop: Header=BB120_730 Depth=2
	ds_read_u8 v39, v0 offset:2816
	s_waitcnt lgkmcnt(0)
	v_lshrrev_b32_sdwa v40, s41, v39 dst_sel:DWORD dst_unused:UNUSED_PAD src0_sel:DWORD src1_sel:BYTE_0
	v_xor_b32_e32 v39, -1, v39
	v_and_b32_e32 v40, s62, v40
	v_lshlrev_b32_e32 v40, 2, v40
	ds_read_b32 v40, v40
	s_waitcnt lgkmcnt(0)
	v_add_nc_u32_e32 v40, v40, v54
	global_store_byte v40, v39, s[46:47]
	s_or_b32 exec_lo, exec_lo, s23
	v_cmp_lt_u32_e64 s28, v55, v138
	s_and_saveexec_b32 s23, s28
	s_cbranch_execz .LBB120_811
.LBB120_883:                            ;   in Loop: Header=BB120_730 Depth=2
	ds_read_u8 v39, v0 offset:3072
	s_waitcnt lgkmcnt(0)
	v_lshrrev_b32_sdwa v40, s41, v39 dst_sel:DWORD dst_unused:UNUSED_PAD src0_sel:DWORD src1_sel:BYTE_0
	v_xor_b32_e32 v39, -1, v39
	v_and_b32_e32 v40, s62, v40
	v_lshlrev_b32_e32 v40, 2, v40
	ds_read_b32 v40, v40
	s_waitcnt lgkmcnt(0)
	v_add_nc_u32_e32 v40, v40, v55
	global_store_byte v40, v39, s[46:47]
	s_or_b32 exec_lo, exec_lo, s23
	v_cmp_lt_u32_e64 s27, v56, v138
	s_and_saveexec_b32 s23, s27
	s_cbranch_execz .LBB120_812
.LBB120_884:                            ;   in Loop: Header=BB120_730 Depth=2
	ds_read_u8 v39, v0 offset:3328
	s_waitcnt lgkmcnt(0)
	v_lshrrev_b32_sdwa v40, s41, v39 dst_sel:DWORD dst_unused:UNUSED_PAD src0_sel:DWORD src1_sel:BYTE_0
	v_xor_b32_e32 v39, -1, v39
	v_and_b32_e32 v40, s62, v40
	v_lshlrev_b32_e32 v40, 2, v40
	ds_read_b32 v40, v40
	s_waitcnt lgkmcnt(0)
	v_add_nc_u32_e32 v40, v40, v56
	global_store_byte v40, v39, s[46:47]
	s_or_b32 exec_lo, exec_lo, s23
	v_cmp_lt_u32_e64 s26, v57, v138
	s_and_saveexec_b32 s23, s26
	s_cbranch_execz .LBB120_813
.LBB120_885:                            ;   in Loop: Header=BB120_730 Depth=2
	ds_read_u8 v39, v0 offset:3584
	s_waitcnt lgkmcnt(0)
	v_lshrrev_b32_sdwa v40, s41, v39 dst_sel:DWORD dst_unused:UNUSED_PAD src0_sel:DWORD src1_sel:BYTE_0
	v_xor_b32_e32 v39, -1, v39
	v_and_b32_e32 v40, s62, v40
	v_lshlrev_b32_e32 v40, 2, v40
	ds_read_b32 v40, v40
	s_waitcnt lgkmcnt(0)
	v_add_nc_u32_e32 v40, v40, v57
	global_store_byte v40, v39, s[46:47]
	s_or_b32 exec_lo, exec_lo, s23
	v_cmp_lt_u32_e64 s25, v58, v138
	s_and_saveexec_b32 s23, s25
	s_cbranch_execz .LBB120_814
.LBB120_886:                            ;   in Loop: Header=BB120_730 Depth=2
	ds_read_u8 v39, v0 offset:3840
	s_waitcnt lgkmcnt(0)
	v_lshrrev_b32_sdwa v40, s41, v39 dst_sel:DWORD dst_unused:UNUSED_PAD src0_sel:DWORD src1_sel:BYTE_0
	v_xor_b32_e32 v39, -1, v39
	v_and_b32_e32 v40, s62, v40
	v_lshlrev_b32_e32 v40, 2, v40
	ds_read_b32 v40, v40
	s_waitcnt lgkmcnt(0)
	v_add_nc_u32_e32 v40, v40, v58
	global_store_byte v40, v39, s[46:47]
	s_or_b32 exec_lo, exec_lo, s23
	v_cmp_lt_u32_e64 s24, v59, v138
	s_and_saveexec_b32 s23, s24
	s_cbranch_execz .LBB120_815
.LBB120_887:                            ;   in Loop: Header=BB120_730 Depth=2
	ds_read_u8 v39, v0 offset:4096
	s_waitcnt lgkmcnt(0)
	v_lshrrev_b32_sdwa v40, s41, v39 dst_sel:DWORD dst_unused:UNUSED_PAD src0_sel:DWORD src1_sel:BYTE_0
	v_xor_b32_e32 v39, -1, v39
	v_and_b32_e32 v40, s62, v40
	v_lshlrev_b32_e32 v40, 2, v40
	ds_read_b32 v40, v40
	s_waitcnt lgkmcnt(0)
	v_add_nc_u32_e32 v40, v40, v59
	global_store_byte v40, v39, s[46:47]
	s_or_b32 exec_lo, exec_lo, s23
	v_cmp_lt_u32_e64 s23, v60, v138
	s_and_saveexec_b32 s40, s23
	s_cbranch_execz .LBB120_816
.LBB120_888:                            ;   in Loop: Header=BB120_730 Depth=2
	ds_read_u8 v39, v0 offset:4352
	s_waitcnt lgkmcnt(0)
	v_lshrrev_b32_sdwa v40, s41, v39 dst_sel:DWORD dst_unused:UNUSED_PAD src0_sel:DWORD src1_sel:BYTE_0
	v_xor_b32_e32 v39, -1, v39
	v_and_b32_e32 v40, s62, v40
	v_lshlrev_b32_e32 v40, 2, v40
	ds_read_b32 v40, v40
	s_waitcnt lgkmcnt(0)
	v_add_nc_u32_e32 v40, v40, v60
	global_store_byte v40, v39, s[46:47]
	s_or_b32 exec_lo, exec_lo, s40
	v_cmp_lt_u32_e32 vcc_lo, v61, v138
	s_and_saveexec_b32 s40, vcc_lo
	s_cbranch_execnz .LBB120_817
	s_branch .LBB120_818
.LBB120_889:                            ;   in Loop: Header=BB120_730 Depth=2
	global_load_dwordx2 v[37:38], v[39:40], off
	s_or_b32 exec_lo, exec_lo, s40
	s_mov_b32 s50, exec_lo
	v_cmpx_lt_u32_e64 v100, v138
	s_cbranch_execz .LBB120_820
.LBB120_890:                            ;   in Loop: Header=BB120_730 Depth=2
	global_load_dwordx2 v[35:36], v[39:40], off offset:256
	s_or_b32 exec_lo, exec_lo, s50
	s_mov_b32 s50, exec_lo
	v_cmpx_lt_u32_e64 v101, v138
	s_cbranch_execz .LBB120_821
.LBB120_891:                            ;   in Loop: Header=BB120_730 Depth=2
	global_load_dwordx2 v[33:34], v[39:40], off offset:512
	s_or_b32 exec_lo, exec_lo, s50
	s_mov_b32 s50, exec_lo
	v_cmpx_lt_u32_e64 v102, v138
	s_cbranch_execz .LBB120_822
.LBB120_892:                            ;   in Loop: Header=BB120_730 Depth=2
	global_load_dwordx2 v[31:32], v[39:40], off offset:768
	s_or_b32 exec_lo, exec_lo, s50
	s_mov_b32 s50, exec_lo
	v_cmpx_lt_u32_e64 v103, v138
	s_cbranch_execz .LBB120_823
.LBB120_893:                            ;   in Loop: Header=BB120_730 Depth=2
	global_load_dwordx2 v[29:30], v[39:40], off offset:1024
	s_or_b32 exec_lo, exec_lo, s50
	s_mov_b32 s50, exec_lo
	v_cmpx_lt_u32_e64 v104, v138
	s_cbranch_execz .LBB120_824
.LBB120_894:                            ;   in Loop: Header=BB120_730 Depth=2
	global_load_dwordx2 v[25:26], v[39:40], off offset:1280
	s_or_b32 exec_lo, exec_lo, s50
	s_mov_b32 s50, exec_lo
	v_cmpx_lt_u32_e64 v105, v138
	s_cbranch_execz .LBB120_825
.LBB120_895:                            ;   in Loop: Header=BB120_730 Depth=2
	global_load_dwordx2 v[21:22], v[39:40], off offset:1536
	s_or_b32 exec_lo, exec_lo, s50
	s_mov_b32 s50, exec_lo
	v_cmpx_lt_u32_e64 v106, v138
	s_cbranch_execz .LBB120_826
.LBB120_896:                            ;   in Loop: Header=BB120_730 Depth=2
	global_load_dwordx2 v[17:18], v[39:40], off offset:1792
	s_or_b32 exec_lo, exec_lo, s50
	s_mov_b32 s50, exec_lo
	v_cmpx_lt_u32_e64 v107, v138
	s_cbranch_execz .LBB120_827
.LBB120_897:                            ;   in Loop: Header=BB120_730 Depth=2
	v_add_co_u32 v27, s40, 0x800, v39
	v_add_co_ci_u32_e64 v28, null, 0, v40, s40
	global_load_dwordx2 v[27:28], v[27:28], off
	s_or_b32 exec_lo, exec_lo, s50
	s_mov_b32 s50, exec_lo
	v_cmpx_lt_u32_e64 v108, v138
	s_cbranch_execz .LBB120_828
.LBB120_898:                            ;   in Loop: Header=BB120_730 Depth=2
	v_add_co_u32 v23, s40, 0x800, v39
	v_add_co_ci_u32_e64 v24, null, 0, v40, s40
	global_load_dwordx2 v[23:24], v[23:24], off offset:256
	s_or_b32 exec_lo, exec_lo, s50
	s_mov_b32 s50, exec_lo
	v_cmpx_lt_u32_e64 v109, v138
	s_cbranch_execz .LBB120_829
.LBB120_899:                            ;   in Loop: Header=BB120_730 Depth=2
	v_add_co_u32 v19, s40, 0x800, v39
	v_add_co_ci_u32_e64 v20, null, 0, v40, s40
	global_load_dwordx2 v[19:20], v[19:20], off offset:512
	s_or_b32 exec_lo, exec_lo, s50
	s_mov_b32 s50, exec_lo
	v_cmpx_lt_u32_e64 v110, v138
	s_cbranch_execz .LBB120_830
.LBB120_900:                            ;   in Loop: Header=BB120_730 Depth=2
	v_add_co_u32 v15, s40, 0x800, v39
	v_add_co_ci_u32_e64 v16, null, 0, v40, s40
	global_load_dwordx2 v[15:16], v[15:16], off offset:768
	s_or_b32 exec_lo, exec_lo, s50
	s_mov_b32 s50, exec_lo
	v_cmpx_lt_u32_e64 v111, v138
	s_cbranch_execz .LBB120_831
.LBB120_901:                            ;   in Loop: Header=BB120_730 Depth=2
	v_add_co_u32 v13, s40, 0x800, v39
	v_add_co_ci_u32_e64 v14, null, 0, v40, s40
	global_load_dwordx2 v[13:14], v[13:14], off offset:1024
	s_or_b32 exec_lo, exec_lo, s50
	s_mov_b32 s50, exec_lo
	v_cmpx_lt_u32_e64 v112, v138
	s_cbranch_execz .LBB120_832
.LBB120_902:                            ;   in Loop: Header=BB120_730 Depth=2
	v_add_co_u32 v11, s40, 0x800, v39
	v_add_co_ci_u32_e64 v12, null, 0, v40, s40
	global_load_dwordx2 v[11:12], v[11:12], off offset:1280
	s_or_b32 exec_lo, exec_lo, s50
	s_mov_b32 s50, exec_lo
	v_cmpx_lt_u32_e64 v113, v138
	s_cbranch_execz .LBB120_833
.LBB120_903:                            ;   in Loop: Header=BB120_730 Depth=2
	v_add_co_u32 v9, s40, 0x800, v39
	v_add_co_ci_u32_e64 v10, null, 0, v40, s40
	global_load_dwordx2 v[9:10], v[9:10], off offset:1536
	s_or_b32 exec_lo, exec_lo, s50
	s_mov_b32 s50, exec_lo
	v_cmpx_lt_u32_e64 v114, v138
	s_cbranch_execz .LBB120_834
.LBB120_904:                            ;   in Loop: Header=BB120_730 Depth=2
	v_add_co_u32 v7, s40, 0x800, v39
	v_add_co_ci_u32_e64 v8, null, 0, v40, s40
	global_load_dwordx2 v[7:8], v[7:8], off offset:1792
	s_or_b32 exec_lo, exec_lo, s50
	s_mov_b32 s50, exec_lo
	v_cmpx_lt_u32_e64 v115, v138
	s_cbranch_execz .LBB120_835
.LBB120_905:                            ;   in Loop: Header=BB120_730 Depth=2
	v_add_co_u32 v5, s40, 0x1000, v39
	v_add_co_ci_u32_e64 v6, null, 0, v40, s40
	global_load_dwordx2 v[5:6], v[5:6], off
	s_or_b32 exec_lo, exec_lo, s50
	s_and_saveexec_b32 s40, s39
	s_cbranch_execz .LBB120_836
.LBB120_906:                            ;   in Loop: Header=BB120_730 Depth=2
	ds_read_u8 v39, v0 offset:512
	s_waitcnt lgkmcnt(0)
	v_lshrrev_b32_e32 v39, s41, v39
	v_and_b32_e32 v134, s62, v39
	s_or_b32 exec_lo, exec_lo, s40
	s_and_saveexec_b32 s40, s38
	s_cbranch_execz .LBB120_837
.LBB120_907:                            ;   in Loop: Header=BB120_730 Depth=2
	ds_read_u8 v39, v0 offset:768
	s_waitcnt lgkmcnt(0)
	v_lshrrev_b32_e32 v39, s41, v39
	v_and_b32_e32 v133, s62, v39
	s_or_b32 exec_lo, exec_lo, s40
	s_and_saveexec_b32 s40, s37
	s_cbranch_execz .LBB120_838
.LBB120_908:                            ;   in Loop: Header=BB120_730 Depth=2
	ds_read_u8 v39, v0 offset:1024
	s_waitcnt lgkmcnt(0)
	v_lshrrev_b32_e32 v39, s41, v39
	v_and_b32_e32 v132, s62, v39
	s_or_b32 exec_lo, exec_lo, s40
	s_and_saveexec_b32 s40, s36
	s_cbranch_execz .LBB120_839
.LBB120_909:                            ;   in Loop: Header=BB120_730 Depth=2
	ds_read_u8 v39, v0 offset:1280
	s_waitcnt lgkmcnt(0)
	v_lshrrev_b32_e32 v39, s41, v39
	v_and_b32_e32 v131, s62, v39
	s_or_b32 exec_lo, exec_lo, s40
	s_and_saveexec_b32 s40, s35
	s_cbranch_execz .LBB120_840
.LBB120_910:                            ;   in Loop: Header=BB120_730 Depth=2
	ds_read_u8 v39, v0 offset:1536
	s_waitcnt lgkmcnt(0)
	v_lshrrev_b32_e32 v39, s41, v39
	v_and_b32_e32 v130, s62, v39
	s_or_b32 exec_lo, exec_lo, s40
	s_and_saveexec_b32 s40, s34
	s_cbranch_execz .LBB120_841
.LBB120_911:                            ;   in Loop: Header=BB120_730 Depth=2
	ds_read_u8 v39, v0 offset:1792
	s_waitcnt lgkmcnt(0)
	v_lshrrev_b32_e32 v39, s41, v39
	v_and_b32_e32 v128, s62, v39
	s_or_b32 exec_lo, exec_lo, s40
	s_and_saveexec_b32 s40, s33
	s_cbranch_execz .LBB120_842
.LBB120_912:                            ;   in Loop: Header=BB120_730 Depth=2
	ds_read_u8 v39, v0 offset:2048
	s_waitcnt lgkmcnt(0)
	v_lshrrev_b32_e32 v39, s41, v39
	v_and_b32_e32 v127, s62, v39
	s_or_b32 exec_lo, exec_lo, s40
	s_and_saveexec_b32 s40, s31
	s_cbranch_execz .LBB120_843
.LBB120_913:                            ;   in Loop: Header=BB120_730 Depth=2
	ds_read_u8 v39, v0 offset:2304
	s_waitcnt lgkmcnt(0)
	v_lshrrev_b32_e32 v39, s41, v39
	v_and_b32_e32 v126, s62, v39
	s_or_b32 exec_lo, exec_lo, s40
	s_and_saveexec_b32 s40, s30
	s_cbranch_execz .LBB120_844
.LBB120_914:                            ;   in Loop: Header=BB120_730 Depth=2
	ds_read_u8 v39, v0 offset:2560
	s_waitcnt lgkmcnt(0)
	v_lshrrev_b32_e32 v39, s41, v39
	v_and_b32_e32 v125, s62, v39
	s_or_b32 exec_lo, exec_lo, s40
	s_and_saveexec_b32 s40, s29
	s_cbranch_execz .LBB120_845
.LBB120_915:                            ;   in Loop: Header=BB120_730 Depth=2
	ds_read_u8 v39, v0 offset:2816
	s_waitcnt lgkmcnt(0)
	v_lshrrev_b32_e32 v39, s41, v39
	v_and_b32_e32 v124, s62, v39
	s_or_b32 exec_lo, exec_lo, s40
	s_and_saveexec_b32 s40, s28
	s_cbranch_execz .LBB120_846
.LBB120_916:                            ;   in Loop: Header=BB120_730 Depth=2
	ds_read_u8 v39, v0 offset:3072
	s_waitcnt lgkmcnt(0)
	v_lshrrev_b32_e32 v39, s41, v39
	v_and_b32_e32 v123, s62, v39
	s_or_b32 exec_lo, exec_lo, s40
	s_and_saveexec_b32 s40, s27
	s_cbranch_execz .LBB120_847
.LBB120_917:                            ;   in Loop: Header=BB120_730 Depth=2
	ds_read_u8 v39, v0 offset:3328
	s_waitcnt lgkmcnt(0)
	v_lshrrev_b32_e32 v39, s41, v39
	v_and_b32_e32 v122, s62, v39
	s_or_b32 exec_lo, exec_lo, s40
	s_and_saveexec_b32 s40, s26
	s_cbranch_execz .LBB120_848
.LBB120_918:                            ;   in Loop: Header=BB120_730 Depth=2
	ds_read_u8 v39, v0 offset:3584
	s_waitcnt lgkmcnt(0)
	v_lshrrev_b32_e32 v39, s41, v39
	v_and_b32_e32 v121, s62, v39
	s_or_b32 exec_lo, exec_lo, s40
	s_and_saveexec_b32 s40, s25
	s_cbranch_execz .LBB120_849
.LBB120_919:                            ;   in Loop: Header=BB120_730 Depth=2
	ds_read_u8 v39, v0 offset:3840
	s_waitcnt lgkmcnt(0)
	v_lshrrev_b32_e32 v39, s41, v39
	v_and_b32_e32 v120, s62, v39
	s_or_b32 exec_lo, exec_lo, s40
	s_and_saveexec_b32 s40, s24
	s_cbranch_execz .LBB120_850
.LBB120_920:                            ;   in Loop: Header=BB120_730 Depth=2
	ds_read_u8 v39, v0 offset:4096
	s_waitcnt lgkmcnt(0)
	v_lshrrev_b32_e32 v39, s41, v39
	v_and_b32_e32 v119, s62, v39
	s_or_b32 exec_lo, exec_lo, s40
	s_and_saveexec_b32 s40, s23
	s_cbranch_execz .LBB120_851
.LBB120_921:                            ;   in Loop: Header=BB120_730 Depth=2
	ds_read_u8 v39, v0 offset:4352
	s_waitcnt lgkmcnt(0)
	v_lshrrev_b32_e32 v39, s41, v39
	v_and_b32_e32 v118, s62, v39
	s_or_b32 exec_lo, exec_lo, s40
	s_and_saveexec_b32 s40, vcc_lo
	s_cbranch_execnz .LBB120_852
	s_branch .LBB120_853
.LBB120_922:                            ;   in Loop: Header=BB120_730 Depth=2
	v_lshlrev_b32_e32 v3, 2, v134
	v_add_nc_u32_e32 v39, v0, v75
	ds_read_b32 v3, v3
	ds_read_b64 v[39:40], v39 offset:512
	s_waitcnt lgkmcnt(1)
	v_add_nc_u32_e32 v3, v3, v0
	v_lshlrev_b64 v[41:42], 3, v[3:4]
	v_add_co_u32 v41, s39, s52, v41
	v_add_co_ci_u32_e64 v42, null, s53, v42, s39
	s_waitcnt lgkmcnt(0)
	global_store_dwordx2 v[41:42], v[39:40], off
	s_or_b32 exec_lo, exec_lo, s40
	s_and_saveexec_b32 s39, s38
	s_cbranch_execz .LBB120_855
.LBB120_923:                            ;   in Loop: Header=BB120_730 Depth=2
	v_lshlrev_b32_e32 v3, 2, v133
	v_add_nc_u32_e32 v39, v0, v75
	ds_read_b32 v3, v3
	ds_read_b64 v[39:40], v39 offset:2560
	s_waitcnt lgkmcnt(1)
	v_add_nc_u32_e32 v3, v3, v44
	v_lshlrev_b64 v[41:42], 3, v[3:4]
	v_add_co_u32 v41, s38, s52, v41
	v_add_co_ci_u32_e64 v42, null, s53, v42, s38
	s_waitcnt lgkmcnt(0)
	global_store_dwordx2 v[41:42], v[39:40], off
	s_or_b32 exec_lo, exec_lo, s39
	s_and_saveexec_b32 s38, s37
	s_cbranch_execz .LBB120_856
.LBB120_924:                            ;   in Loop: Header=BB120_730 Depth=2
	v_lshlrev_b32_e32 v3, 2, v132
	v_add_nc_u32_e32 v39, v0, v75
	ds_read_b32 v3, v3
	ds_read_b64 v[39:40], v39 offset:4608
	s_waitcnt lgkmcnt(1)
	v_add_nc_u32_e32 v3, v3, v47
	v_lshlrev_b64 v[41:42], 3, v[3:4]
	v_add_co_u32 v41, s37, s52, v41
	v_add_co_ci_u32_e64 v42, null, s53, v42, s37
	s_waitcnt lgkmcnt(0)
	global_store_dwordx2 v[41:42], v[39:40], off
	s_or_b32 exec_lo, exec_lo, s38
	s_and_saveexec_b32 s37, s36
	s_cbranch_execz .LBB120_857
.LBB120_925:                            ;   in Loop: Header=BB120_730 Depth=2
	v_lshlrev_b32_e32 v3, 2, v131
	v_add_nc_u32_e32 v39, v0, v75
	ds_read_b32 v3, v3
	ds_read_b64 v[39:40], v39 offset:6656
	s_waitcnt lgkmcnt(1)
	v_add_nc_u32_e32 v3, v3, v48
	v_lshlrev_b64 v[41:42], 3, v[3:4]
	v_add_co_u32 v41, s36, s52, v41
	v_add_co_ci_u32_e64 v42, null, s53, v42, s36
	s_waitcnt lgkmcnt(0)
	global_store_dwordx2 v[41:42], v[39:40], off
	s_or_b32 exec_lo, exec_lo, s37
	s_and_saveexec_b32 s36, s35
	s_cbranch_execz .LBB120_858
.LBB120_926:                            ;   in Loop: Header=BB120_730 Depth=2
	v_lshlrev_b32_e32 v3, 2, v130
	v_add_nc_u32_e32 v39, v0, v75
	ds_read_b32 v3, v3
	ds_read_b64 v[39:40], v39 offset:8704
	s_waitcnt lgkmcnt(1)
	v_add_nc_u32_e32 v3, v3, v49
	v_lshlrev_b64 v[41:42], 3, v[3:4]
	v_add_co_u32 v41, s35, s52, v41
	v_add_co_ci_u32_e64 v42, null, s53, v42, s35
	s_waitcnt lgkmcnt(0)
	global_store_dwordx2 v[41:42], v[39:40], off
	s_or_b32 exec_lo, exec_lo, s36
	s_and_saveexec_b32 s35, s34
	s_cbranch_execz .LBB120_859
.LBB120_927:                            ;   in Loop: Header=BB120_730 Depth=2
	v_lshlrev_b32_e32 v3, 2, v128
	v_add_nc_u32_e32 v39, v0, v75
	ds_read_b32 v3, v3
	ds_read_b64 v[39:40], v39 offset:10752
	s_waitcnt lgkmcnt(1)
	v_add_nc_u32_e32 v3, v3, v50
	v_lshlrev_b64 v[41:42], 3, v[3:4]
	v_add_co_u32 v41, s34, s52, v41
	v_add_co_ci_u32_e64 v42, null, s53, v42, s34
	s_waitcnt lgkmcnt(0)
	global_store_dwordx2 v[41:42], v[39:40], off
	s_or_b32 exec_lo, exec_lo, s35
	s_and_saveexec_b32 s34, s33
	s_cbranch_execz .LBB120_860
.LBB120_928:                            ;   in Loop: Header=BB120_730 Depth=2
	v_lshlrev_b32_e32 v3, 2, v127
	v_add_nc_u32_e32 v39, v0, v75
	ds_read_b32 v3, v3
	ds_read_b64 v[39:40], v39 offset:12800
	s_waitcnt lgkmcnt(1)
	v_add_nc_u32_e32 v3, v3, v51
	v_lshlrev_b64 v[41:42], 3, v[3:4]
	v_add_co_u32 v41, s33, s52, v41
	v_add_co_ci_u32_e64 v42, null, s53, v42, s33
	s_waitcnt lgkmcnt(0)
	global_store_dwordx2 v[41:42], v[39:40], off
	s_or_b32 exec_lo, exec_lo, s34
	s_and_saveexec_b32 s33, s31
	s_cbranch_execz .LBB120_861
.LBB120_929:                            ;   in Loop: Header=BB120_730 Depth=2
	v_lshlrev_b32_e32 v3, 2, v126
	v_add_nc_u32_e32 v39, v0, v75
	ds_read_b32 v3, v3
	ds_read_b64 v[39:40], v39 offset:14848
	s_waitcnt lgkmcnt(1)
	v_add_nc_u32_e32 v3, v3, v52
	v_lshlrev_b64 v[41:42], 3, v[3:4]
	v_add_co_u32 v41, s31, s52, v41
	v_add_co_ci_u32_e64 v42, null, s53, v42, s31
	s_waitcnt lgkmcnt(0)
	global_store_dwordx2 v[41:42], v[39:40], off
	s_or_b32 exec_lo, exec_lo, s33
	s_and_saveexec_b32 s31, s30
	s_cbranch_execz .LBB120_862
.LBB120_930:                            ;   in Loop: Header=BB120_730 Depth=2
	v_lshlrev_b32_e32 v3, 2, v125
	v_add_nc_u32_e32 v39, v0, v75
	ds_read_b32 v3, v3
	ds_read_b64 v[39:40], v39 offset:16896
	s_waitcnt lgkmcnt(1)
	v_add_nc_u32_e32 v3, v3, v53
	v_lshlrev_b64 v[41:42], 3, v[3:4]
	v_add_co_u32 v41, s30, s52, v41
	v_add_co_ci_u32_e64 v42, null, s53, v42, s30
	s_waitcnt lgkmcnt(0)
	global_store_dwordx2 v[41:42], v[39:40], off
	s_or_b32 exec_lo, exec_lo, s31
	s_and_saveexec_b32 s30, s29
	s_cbranch_execz .LBB120_863
.LBB120_931:                            ;   in Loop: Header=BB120_730 Depth=2
	v_lshlrev_b32_e32 v3, 2, v124
	v_add_nc_u32_e32 v39, v0, v75
	ds_read_b32 v3, v3
	ds_read_b64 v[39:40], v39 offset:18944
	s_waitcnt lgkmcnt(1)
	v_add_nc_u32_e32 v3, v3, v54
	v_lshlrev_b64 v[41:42], 3, v[3:4]
	v_add_co_u32 v41, s29, s52, v41
	v_add_co_ci_u32_e64 v42, null, s53, v42, s29
	s_waitcnt lgkmcnt(0)
	global_store_dwordx2 v[41:42], v[39:40], off
	s_or_b32 exec_lo, exec_lo, s30
	s_and_saveexec_b32 s29, s28
	s_cbranch_execz .LBB120_864
.LBB120_932:                            ;   in Loop: Header=BB120_730 Depth=2
	v_lshlrev_b32_e32 v3, 2, v123
	v_add_nc_u32_e32 v39, v0, v75
	ds_read_b32 v3, v3
	ds_read_b64 v[39:40], v39 offset:20992
	s_waitcnt lgkmcnt(1)
	v_add_nc_u32_e32 v3, v3, v55
	v_lshlrev_b64 v[41:42], 3, v[3:4]
	v_add_co_u32 v41, s28, s52, v41
	v_add_co_ci_u32_e64 v42, null, s53, v42, s28
	s_waitcnt lgkmcnt(0)
	global_store_dwordx2 v[41:42], v[39:40], off
	s_or_b32 exec_lo, exec_lo, s29
	s_and_saveexec_b32 s28, s27
	s_cbranch_execz .LBB120_865
.LBB120_933:                            ;   in Loop: Header=BB120_730 Depth=2
	v_lshlrev_b32_e32 v3, 2, v122
	v_add_nc_u32_e32 v39, v0, v75
	ds_read_b32 v3, v3
	ds_read_b64 v[39:40], v39 offset:23040
	s_waitcnt lgkmcnt(1)
	v_add_nc_u32_e32 v3, v3, v56
	v_lshlrev_b64 v[41:42], 3, v[3:4]
	v_add_co_u32 v41, s27, s52, v41
	v_add_co_ci_u32_e64 v42, null, s53, v42, s27
	s_waitcnt lgkmcnt(0)
	global_store_dwordx2 v[41:42], v[39:40], off
	s_or_b32 exec_lo, exec_lo, s28
	s_and_saveexec_b32 s27, s26
	s_cbranch_execz .LBB120_866
.LBB120_934:                            ;   in Loop: Header=BB120_730 Depth=2
	v_lshlrev_b32_e32 v3, 2, v121
	v_add_nc_u32_e32 v39, v0, v75
	ds_read_b32 v3, v3
	ds_read_b64 v[39:40], v39 offset:25088
	s_waitcnt lgkmcnt(1)
	v_add_nc_u32_e32 v3, v3, v57
	v_lshlrev_b64 v[41:42], 3, v[3:4]
	v_add_co_u32 v41, s26, s52, v41
	v_add_co_ci_u32_e64 v42, null, s53, v42, s26
	s_waitcnt lgkmcnt(0)
	global_store_dwordx2 v[41:42], v[39:40], off
	s_or_b32 exec_lo, exec_lo, s27
	s_and_saveexec_b32 s26, s25
	s_cbranch_execz .LBB120_867
.LBB120_935:                            ;   in Loop: Header=BB120_730 Depth=2
	v_lshlrev_b32_e32 v3, 2, v120
	v_add_nc_u32_e32 v39, v0, v75
	ds_read_b32 v3, v3
	ds_read_b64 v[39:40], v39 offset:27136
	s_waitcnt lgkmcnt(1)
	v_add_nc_u32_e32 v3, v3, v58
	v_lshlrev_b64 v[41:42], 3, v[3:4]
	v_add_co_u32 v41, s25, s52, v41
	v_add_co_ci_u32_e64 v42, null, s53, v42, s25
	s_waitcnt lgkmcnt(0)
	global_store_dwordx2 v[41:42], v[39:40], off
	s_or_b32 exec_lo, exec_lo, s26
	s_and_saveexec_b32 s25, s24
	s_cbranch_execz .LBB120_868
.LBB120_936:                            ;   in Loop: Header=BB120_730 Depth=2
	v_lshlrev_b32_e32 v3, 2, v119
	v_add_nc_u32_e32 v39, v0, v75
	ds_read_b32 v3, v3
	ds_read_b64 v[39:40], v39 offset:29184
	s_waitcnt lgkmcnt(1)
	v_add_nc_u32_e32 v3, v3, v59
	v_lshlrev_b64 v[41:42], 3, v[3:4]
	v_add_co_u32 v41, s24, s52, v41
	v_add_co_ci_u32_e64 v42, null, s53, v42, s24
	s_waitcnt lgkmcnt(0)
	global_store_dwordx2 v[41:42], v[39:40], off
	s_or_b32 exec_lo, exec_lo, s25
	s_and_saveexec_b32 s24, s23
	s_cbranch_execz .LBB120_869
.LBB120_937:                            ;   in Loop: Header=BB120_730 Depth=2
	v_lshlrev_b32_e32 v3, 2, v118
	v_add_nc_u32_e32 v39, v0, v75
	ds_read_b32 v3, v3
	ds_read_b64 v[39:40], v39 offset:31232
	s_waitcnt lgkmcnt(1)
	v_add_nc_u32_e32 v3, v3, v60
	v_lshlrev_b64 v[41:42], 3, v[3:4]
	v_add_co_u32 v41, s23, s52, v41
	v_add_co_ci_u32_e64 v42, null, s53, v42, s23
	s_waitcnt lgkmcnt(0)
	global_store_dwordx2 v[41:42], v[39:40], off
	s_or_b32 exec_lo, exec_lo, s24
	s_and_saveexec_b32 s23, vcc_lo
	s_cbranch_execnz .LBB120_870
	s_branch .LBB120_871
.LBB120_938:                            ;   in Loop: Header=BB120_730 Depth=2
	global_load_ubyte v151, v[39:40], off offset:32
	s_or_b32 exec_lo, exec_lo, s23
	s_mov_b32 s23, exec_lo
	v_cmpx_gt_u32_e64 s63, v101
	s_cbranch_execz .LBB120_737
.LBB120_939:                            ;   in Loop: Header=BB120_730 Depth=2
	global_load_ubyte v147, v[39:40], off offset:64
	s_or_b32 exec_lo, exec_lo, s23
	s_mov_b32 s23, exec_lo
	v_cmpx_gt_u32_e64 s63, v102
	s_cbranch_execz .LBB120_738
.LBB120_940:                            ;   in Loop: Header=BB120_730 Depth=2
	global_load_ubyte v148, v[39:40], off offset:96
	s_or_b32 exec_lo, exec_lo, s23
	s_mov_b32 s23, exec_lo
	v_cmpx_gt_u32_e64 s63, v103
	s_cbranch_execz .LBB120_739
.LBB120_941:                            ;   in Loop: Header=BB120_730 Depth=2
	global_load_ubyte v150, v[39:40], off offset:128
	s_or_b32 exec_lo, exec_lo, s23
	s_mov_b32 s23, exec_lo
	v_cmpx_gt_u32_e64 s63, v104
	s_cbranch_execz .LBB120_740
.LBB120_942:                            ;   in Loop: Header=BB120_730 Depth=2
	global_load_ubyte v143, v[39:40], off offset:160
	s_or_b32 exec_lo, exec_lo, s23
	s_mov_b32 s23, exec_lo
	v_cmpx_gt_u32_e64 s63, v105
	s_cbranch_execz .LBB120_741
.LBB120_943:                            ;   in Loop: Header=BB120_730 Depth=2
	global_load_ubyte v144, v[39:40], off offset:192
	s_or_b32 exec_lo, exec_lo, s23
	s_mov_b32 s23, exec_lo
	v_cmpx_gt_u32_e64 s63, v106
	s_cbranch_execz .LBB120_742
.LBB120_944:                            ;   in Loop: Header=BB120_730 Depth=2
	global_load_ubyte v145, v[39:40], off offset:224
	s_or_b32 exec_lo, exec_lo, s23
	s_mov_b32 s23, exec_lo
	v_cmpx_gt_u32_e64 s63, v107
	s_cbranch_execz .LBB120_743
.LBB120_945:                            ;   in Loop: Header=BB120_730 Depth=2
	global_load_ubyte v142, v[39:40], off offset:256
	s_or_b32 exec_lo, exec_lo, s23
	s_mov_b32 s23, exec_lo
	v_cmpx_gt_u32_e64 s63, v108
	s_cbranch_execz .LBB120_744
.LBB120_946:                            ;   in Loop: Header=BB120_730 Depth=2
	global_load_ubyte v139, v[39:40], off offset:288
	s_or_b32 exec_lo, exec_lo, s23
	s_mov_b32 s23, exec_lo
	v_cmpx_gt_u32_e64 s63, v109
	s_cbranch_execz .LBB120_745
.LBB120_947:                            ;   in Loop: Header=BB120_730 Depth=2
	global_load_ubyte v140, v[39:40], off offset:320
	s_or_b32 exec_lo, exec_lo, s23
	s_mov_b32 s23, exec_lo
	v_cmpx_gt_u32_e64 s63, v110
	s_cbranch_execz .LBB120_746
.LBB120_948:                            ;   in Loop: Header=BB120_730 Depth=2
	global_load_ubyte v141, v[39:40], off offset:352
	s_or_b32 exec_lo, exec_lo, s23
	s_mov_b32 s23, exec_lo
	v_cmpx_gt_u32_e64 s63, v111
	s_cbranch_execz .LBB120_747
.LBB120_949:                            ;   in Loop: Header=BB120_730 Depth=2
	global_load_ubyte v137, v[39:40], off offset:384
	s_or_b32 exec_lo, exec_lo, s23
	s_mov_b32 s23, exec_lo
	v_cmpx_gt_u32_e64 s63, v112
	s_cbranch_execz .LBB120_748
.LBB120_950:                            ;   in Loop: Header=BB120_730 Depth=2
	global_load_ubyte v3, v[39:40], off offset:416
	s_or_b32 exec_lo, exec_lo, s23
	s_mov_b32 s23, exec_lo
	v_cmpx_gt_u32_e64 s63, v113
	s_cbranch_execz .LBB120_749
.LBB120_951:                            ;   in Loop: Header=BB120_730 Depth=2
	global_load_ubyte v41, v[39:40], off offset:448
	s_or_b32 exec_lo, exec_lo, s23
	s_mov_b32 s23, exec_lo
	v_cmpx_gt_u32_e64 s63, v114
	s_cbranch_execnz .LBB120_750
	s_branch .LBB120_751
.LBB120_952:                            ;   in Loop: Header=BB120_20 Depth=1
	s_waitcnt lgkmcnt(0)
	s_mov_b32 s5, 0
	s_barrier
.LBB120_953:                            ;   in Loop: Header=BB120_20 Depth=1
	s_and_b32 vcc_lo, exec_lo, s5
	s_cbranch_vccz .LBB120_19
; %bb.954:                              ;   in Loop: Header=BB120_20 Depth=1
	v_mov_b32_e32 v17, 0
	v_mov_b32_e32 v20, 0
	v_mov_b32_e32 v19, 0
	v_mov_b32_e32 v18, 0
	v_mov_b32_e32 v16, 0
	v_mov_b32_e32 v15, 0
	v_mov_b32_e32 v14, 0
	v_mov_b32_e32 v13, 0
	v_mov_b32_e32 v12, 0
	v_mov_b32_e32 v11, 0
	v_mov_b32_e32 v10, 0
	v_mov_b32_e32 v9, 0
	v_mov_b32_e32 v8, 0
	v_mov_b32_e32 v7, 0
	v_mov_b32_e32 v6, 0
	v_mov_b32_e32 v5, 0
	v_mov_b32_e32 v3, 0
	s_mov_b32 s5, s60
	s_mov_b32 s17, s58
	s_barrier
	buffer_gl0_inv
	s_branch .LBB120_956
.LBB120_955:                            ;   in Loop: Header=BB120_956 Depth=2
	s_or_b32 exec_lo, exec_lo, s16
	s_addk_i32 s5, 0xef00
	s_cmp_ge_u32 s15, s59
	s_mov_b32 s17, s15
	s_cbranch_scc1 .LBB120_1028
.LBB120_956:                            ;   Parent Loop BB120_20 Depth=1
                                        ; =>  This Inner Loop Header: Depth=2
	s_add_i32 s15, s17, 0x1100
	s_mov_b32 s16, -1
	s_cmp_gt_u32 s15, s59
                                        ; implicit-def: $vgpr21
                                        ; implicit-def: $vgpr22
                                        ; implicit-def: $vgpr23
                                        ; implicit-def: $vgpr24
                                        ; implicit-def: $vgpr25
                                        ; implicit-def: $vgpr26
                                        ; implicit-def: $vgpr27
                                        ; implicit-def: $vgpr28
                                        ; implicit-def: $vgpr29
                                        ; implicit-def: $vgpr30
                                        ; implicit-def: $vgpr31
                                        ; implicit-def: $vgpr32
                                        ; implicit-def: $vgpr33
                                        ; implicit-def: $vgpr34
                                        ; implicit-def: $vgpr35
                                        ; implicit-def: $vgpr36
                                        ; implicit-def: $vgpr37
	s_cbranch_scc1 .LBB120_958
; %bb.957:                              ;   in Loop: Header=BB120_956 Depth=2
	v_add_co_u32 v38, vcc_lo, v82, s17
	v_add_co_ci_u32_e64 v39, null, 0, v83, vcc_lo
	s_mov_b32 s16, 0
	v_add_co_u32 v21, vcc_lo, 0x800, v38
	v_add_co_ci_u32_e64 v22, null, 0, v39, vcc_lo
	v_add_co_u32 v23, vcc_lo, 0x1000, v38
	v_add_co_ci_u32_e64 v24, null, 0, v39, vcc_lo
	s_clause 0x10
	global_load_ubyte v36, v[21:22], off offset:1792
	global_load_ubyte v37, v[23:24], off
	global_load_ubyte v35, v[21:22], off offset:1536
	global_load_ubyte v34, v[21:22], off offset:1280
	;; [unrolled: 1-line block ×6, first 2 shown]
	global_load_ubyte v29, v[21:22], off
	global_load_ubyte v28, v[38:39], off offset:1792
	global_load_ubyte v27, v[38:39], off offset:1536
	;; [unrolled: 1-line block ×7, first 2 shown]
	global_load_ubyte v21, v[38:39], off
.LBB120_958:                            ;   in Loop: Header=BB120_956 Depth=2
	s_andn2_b32 vcc_lo, exec_lo, s16
	s_movk_i32 s16, 0x1100
	s_cbranch_vccnz .LBB120_978
; %bb.959:                              ;   in Loop: Header=BB120_956 Depth=2
	s_add_u32 s16, s44, s17
	s_addc_u32 s17, s45, 0
	s_mov_b32 s18, exec_lo
	v_cmpx_gt_u32_e64 s5, v0
	s_cbranch_execnz .LBB120_1012
; %bb.960:                              ;   in Loop: Header=BB120_956 Depth=2
	s_or_b32 exec_lo, exec_lo, s18
	s_mov_b32 s18, exec_lo
	v_cmpx_gt_u32_e64 s5, v44
	s_cbranch_execnz .LBB120_1013
.LBB120_961:                            ;   in Loop: Header=BB120_956 Depth=2
	s_or_b32 exec_lo, exec_lo, s18
	s_mov_b32 s18, exec_lo
	v_cmpx_gt_u32_e64 s5, v47
	s_cbranch_execnz .LBB120_1014
.LBB120_962:                            ;   in Loop: Header=BB120_956 Depth=2
	s_or_b32 exec_lo, exec_lo, s18
	s_mov_b32 s18, exec_lo
	v_cmpx_gt_u32_e64 s5, v48
	s_cbranch_execnz .LBB120_1015
.LBB120_963:                            ;   in Loop: Header=BB120_956 Depth=2
	s_or_b32 exec_lo, exec_lo, s18
	s_mov_b32 s18, exec_lo
	v_cmpx_gt_u32_e64 s5, v49
	s_cbranch_execnz .LBB120_1016
.LBB120_964:                            ;   in Loop: Header=BB120_956 Depth=2
	s_or_b32 exec_lo, exec_lo, s18
	s_mov_b32 s18, exec_lo
	v_cmpx_gt_u32_e64 s5, v50
	s_cbranch_execnz .LBB120_1017
.LBB120_965:                            ;   in Loop: Header=BB120_956 Depth=2
	s_or_b32 exec_lo, exec_lo, s18
	s_mov_b32 s18, exec_lo
	v_cmpx_gt_u32_e64 s5, v51
	s_cbranch_execnz .LBB120_1018
.LBB120_966:                            ;   in Loop: Header=BB120_956 Depth=2
	s_or_b32 exec_lo, exec_lo, s18
	s_mov_b32 s18, exec_lo
	v_cmpx_gt_u32_e64 s5, v52
	s_cbranch_execnz .LBB120_1019
.LBB120_967:                            ;   in Loop: Header=BB120_956 Depth=2
	s_or_b32 exec_lo, exec_lo, s18
	s_mov_b32 s18, exec_lo
	v_cmpx_gt_u32_e64 s5, v53
	s_cbranch_execnz .LBB120_1020
.LBB120_968:                            ;   in Loop: Header=BB120_956 Depth=2
	s_or_b32 exec_lo, exec_lo, s18
	s_mov_b32 s18, exec_lo
	v_cmpx_gt_u32_e64 s5, v54
	s_cbranch_execnz .LBB120_1021
.LBB120_969:                            ;   in Loop: Header=BB120_956 Depth=2
	s_or_b32 exec_lo, exec_lo, s18
	s_mov_b32 s18, exec_lo
	v_cmpx_gt_u32_e64 s5, v55
	s_cbranch_execnz .LBB120_1022
.LBB120_970:                            ;   in Loop: Header=BB120_956 Depth=2
	s_or_b32 exec_lo, exec_lo, s18
	s_mov_b32 s18, exec_lo
	v_cmpx_gt_u32_e64 s5, v56
	s_cbranch_execnz .LBB120_1023
.LBB120_971:                            ;   in Loop: Header=BB120_956 Depth=2
	s_or_b32 exec_lo, exec_lo, s18
	s_mov_b32 s18, exec_lo
	v_cmpx_gt_u32_e64 s5, v57
	s_cbranch_execnz .LBB120_1024
.LBB120_972:                            ;   in Loop: Header=BB120_956 Depth=2
	s_or_b32 exec_lo, exec_lo, s18
	s_mov_b32 s18, exec_lo
	v_cmpx_gt_u32_e64 s5, v58
	s_cbranch_execnz .LBB120_1025
.LBB120_973:                            ;   in Loop: Header=BB120_956 Depth=2
	s_or_b32 exec_lo, exec_lo, s18
	s_mov_b32 s18, exec_lo
	v_cmpx_gt_u32_e64 s5, v59
	s_cbranch_execnz .LBB120_1026
.LBB120_974:                            ;   in Loop: Header=BB120_956 Depth=2
	s_or_b32 exec_lo, exec_lo, s18
	s_mov_b32 s18, exec_lo
	v_cmpx_gt_u32_e64 s5, v60
	s_cbranch_execnz .LBB120_1027
.LBB120_975:                            ;   in Loop: Header=BB120_956 Depth=2
	s_or_b32 exec_lo, exec_lo, s18
	s_mov_b32 s18, exec_lo
	v_cmpx_gt_u32_e64 s5, v61
	s_cbranch_execz .LBB120_977
.LBB120_976:                            ;   in Loop: Header=BB120_956 Depth=2
	s_waitcnt vmcnt(0)
	v_add_co_u32 v21, s16, s16, v61
	v_add_co_ci_u32_e64 v22, null, s17, 0, s16
	global_load_ubyte v3, v[21:22], off
.LBB120_977:                            ;   in Loop: Header=BB120_956 Depth=2
	s_or_b32 exec_lo, exec_lo, s18
	s_waitcnt vmcnt(0)
	v_mov_b32_e32 v21, v17
	v_mov_b32_e32 v22, v20
	;; [unrolled: 1-line block ×17, first 2 shown]
	s_mov_b32 s16, s5
.LBB120_978:                            ;   in Loop: Header=BB120_956 Depth=2
	s_waitcnt vmcnt(15)
	v_mov_b32_e32 v3, v37
	v_mov_b32_e32 v5, v36
	s_waitcnt vmcnt(14)
	v_mov_b32_e32 v6, v35
	s_waitcnt vmcnt(13)
	;; [unrolled: 2-line block ×15, first 2 shown]
	v_mov_b32_e32 v17, v21
	s_mov_b32 s17, exec_lo
	v_cmpx_gt_u32_e64 s16, v0
	s_cbranch_execnz .LBB120_995
; %bb.979:                              ;   in Loop: Header=BB120_956 Depth=2
	s_or_b32 exec_lo, exec_lo, s17
	s_mov_b32 s17, exec_lo
	v_cmpx_gt_u32_e64 s16, v44
	s_cbranch_execnz .LBB120_996
.LBB120_980:                            ;   in Loop: Header=BB120_956 Depth=2
	s_or_b32 exec_lo, exec_lo, s17
	s_mov_b32 s17, exec_lo
	v_cmpx_gt_u32_e64 s16, v47
	s_cbranch_execnz .LBB120_997
.LBB120_981:                            ;   in Loop: Header=BB120_956 Depth=2
	s_or_b32 exec_lo, exec_lo, s17
	s_mov_b32 s17, exec_lo
	v_cmpx_gt_u32_e64 s16, v48
	s_cbranch_execnz .LBB120_998
.LBB120_982:                            ;   in Loop: Header=BB120_956 Depth=2
	s_or_b32 exec_lo, exec_lo, s17
	s_mov_b32 s17, exec_lo
	v_cmpx_gt_u32_e64 s16, v49
	s_cbranch_execnz .LBB120_999
.LBB120_983:                            ;   in Loop: Header=BB120_956 Depth=2
	s_or_b32 exec_lo, exec_lo, s17
	s_mov_b32 s17, exec_lo
	v_cmpx_gt_u32_e64 s16, v50
	s_cbranch_execnz .LBB120_1000
.LBB120_984:                            ;   in Loop: Header=BB120_956 Depth=2
	s_or_b32 exec_lo, exec_lo, s17
	s_mov_b32 s17, exec_lo
	v_cmpx_gt_u32_e64 s16, v51
	s_cbranch_execnz .LBB120_1001
.LBB120_985:                            ;   in Loop: Header=BB120_956 Depth=2
	s_or_b32 exec_lo, exec_lo, s17
	s_mov_b32 s17, exec_lo
	v_cmpx_gt_u32_e64 s16, v52
	s_cbranch_execnz .LBB120_1002
.LBB120_986:                            ;   in Loop: Header=BB120_956 Depth=2
	s_or_b32 exec_lo, exec_lo, s17
	s_mov_b32 s17, exec_lo
	v_cmpx_gt_u32_e64 s16, v53
	s_cbranch_execnz .LBB120_1003
.LBB120_987:                            ;   in Loop: Header=BB120_956 Depth=2
	s_or_b32 exec_lo, exec_lo, s17
	s_mov_b32 s17, exec_lo
	v_cmpx_gt_u32_e64 s16, v54
	s_cbranch_execnz .LBB120_1004
.LBB120_988:                            ;   in Loop: Header=BB120_956 Depth=2
	s_or_b32 exec_lo, exec_lo, s17
	s_mov_b32 s17, exec_lo
	v_cmpx_gt_u32_e64 s16, v55
	s_cbranch_execnz .LBB120_1005
.LBB120_989:                            ;   in Loop: Header=BB120_956 Depth=2
	s_or_b32 exec_lo, exec_lo, s17
	s_mov_b32 s17, exec_lo
	v_cmpx_gt_u32_e64 s16, v56
	s_cbranch_execnz .LBB120_1006
.LBB120_990:                            ;   in Loop: Header=BB120_956 Depth=2
	s_or_b32 exec_lo, exec_lo, s17
	s_mov_b32 s17, exec_lo
	v_cmpx_gt_u32_e64 s16, v57
	s_cbranch_execnz .LBB120_1007
.LBB120_991:                            ;   in Loop: Header=BB120_956 Depth=2
	s_or_b32 exec_lo, exec_lo, s17
	s_mov_b32 s17, exec_lo
	v_cmpx_gt_u32_e64 s16, v58
	s_cbranch_execnz .LBB120_1008
.LBB120_992:                            ;   in Loop: Header=BB120_956 Depth=2
	s_or_b32 exec_lo, exec_lo, s17
	s_mov_b32 s17, exec_lo
	v_cmpx_gt_u32_e64 s16, v59
	s_cbranch_execnz .LBB120_1009
.LBB120_993:                            ;   in Loop: Header=BB120_956 Depth=2
	s_or_b32 exec_lo, exec_lo, s17
	s_mov_b32 s17, exec_lo
	v_cmpx_gt_u32_e64 s16, v60
	s_cbranch_execnz .LBB120_1010
.LBB120_994:                            ;   in Loop: Header=BB120_956 Depth=2
	s_or_b32 exec_lo, exec_lo, s17
	v_cmp_gt_u32_e32 vcc_lo, s16, v61
	s_and_saveexec_b32 s16, vcc_lo
	s_cbranch_execz .LBB120_955
	s_branch .LBB120_1011
.LBB120_995:                            ;   in Loop: Header=BB120_956 Depth=2
	v_xor_b32_e32 v21, -1, v17
	v_lshrrev_b32_sdwa v21, s41, v21 dst_sel:DWORD dst_unused:UNUSED_PAD src0_sel:DWORD src1_sel:BYTE_0
	v_and_b32_e32 v21, s62, v21
	v_lshl_or_b32 v21, v21, 4, v63
	ds_add_u32 v21, v89
	s_or_b32 exec_lo, exec_lo, s17
	s_mov_b32 s17, exec_lo
	v_cmpx_gt_u32_e64 s16, v44
	s_cbranch_execz .LBB120_980
.LBB120_996:                            ;   in Loop: Header=BB120_956 Depth=2
	v_xor_b32_e32 v21, -1, v20
	v_lshrrev_b32_sdwa v21, s41, v21 dst_sel:DWORD dst_unused:UNUSED_PAD src0_sel:DWORD src1_sel:BYTE_0
	v_and_b32_e32 v21, s62, v21
	v_lshl_or_b32 v21, v21, 4, v63
	ds_add_u32 v21, v89
	s_or_b32 exec_lo, exec_lo, s17
	s_mov_b32 s17, exec_lo
	v_cmpx_gt_u32_e64 s16, v47
	s_cbranch_execz .LBB120_981
.LBB120_997:                            ;   in Loop: Header=BB120_956 Depth=2
	v_xor_b32_e32 v21, -1, v19
	v_lshrrev_b32_sdwa v21, s41, v21 dst_sel:DWORD dst_unused:UNUSED_PAD src0_sel:DWORD src1_sel:BYTE_0
	v_and_b32_e32 v21, s62, v21
	v_lshl_or_b32 v21, v21, 4, v63
	ds_add_u32 v21, v89
	s_or_b32 exec_lo, exec_lo, s17
	s_mov_b32 s17, exec_lo
	v_cmpx_gt_u32_e64 s16, v48
	s_cbranch_execz .LBB120_982
.LBB120_998:                            ;   in Loop: Header=BB120_956 Depth=2
	v_xor_b32_e32 v21, -1, v18
	v_lshrrev_b32_sdwa v21, s41, v21 dst_sel:DWORD dst_unused:UNUSED_PAD src0_sel:DWORD src1_sel:BYTE_0
	v_and_b32_e32 v21, s62, v21
	v_lshl_or_b32 v21, v21, 4, v63
	ds_add_u32 v21, v89
	s_or_b32 exec_lo, exec_lo, s17
	s_mov_b32 s17, exec_lo
	v_cmpx_gt_u32_e64 s16, v49
	s_cbranch_execz .LBB120_983
.LBB120_999:                            ;   in Loop: Header=BB120_956 Depth=2
	v_xor_b32_e32 v21, -1, v16
	v_lshrrev_b32_sdwa v21, s41, v21 dst_sel:DWORD dst_unused:UNUSED_PAD src0_sel:DWORD src1_sel:BYTE_0
	v_and_b32_e32 v21, s62, v21
	v_lshl_or_b32 v21, v21, 4, v63
	ds_add_u32 v21, v89
	s_or_b32 exec_lo, exec_lo, s17
	s_mov_b32 s17, exec_lo
	v_cmpx_gt_u32_e64 s16, v50
	s_cbranch_execz .LBB120_984
.LBB120_1000:                           ;   in Loop: Header=BB120_956 Depth=2
	v_xor_b32_e32 v21, -1, v15
	v_lshrrev_b32_sdwa v21, s41, v21 dst_sel:DWORD dst_unused:UNUSED_PAD src0_sel:DWORD src1_sel:BYTE_0
	v_and_b32_e32 v21, s62, v21
	v_lshl_or_b32 v21, v21, 4, v63
	ds_add_u32 v21, v89
	s_or_b32 exec_lo, exec_lo, s17
	s_mov_b32 s17, exec_lo
	v_cmpx_gt_u32_e64 s16, v51
	s_cbranch_execz .LBB120_985
.LBB120_1001:                           ;   in Loop: Header=BB120_956 Depth=2
	v_xor_b32_e32 v21, -1, v14
	v_lshrrev_b32_sdwa v21, s41, v21 dst_sel:DWORD dst_unused:UNUSED_PAD src0_sel:DWORD src1_sel:BYTE_0
	v_and_b32_e32 v21, s62, v21
	v_lshl_or_b32 v21, v21, 4, v63
	ds_add_u32 v21, v89
	s_or_b32 exec_lo, exec_lo, s17
	s_mov_b32 s17, exec_lo
	v_cmpx_gt_u32_e64 s16, v52
	s_cbranch_execz .LBB120_986
.LBB120_1002:                           ;   in Loop: Header=BB120_956 Depth=2
	v_xor_b32_e32 v21, -1, v13
	v_lshrrev_b32_sdwa v21, s41, v21 dst_sel:DWORD dst_unused:UNUSED_PAD src0_sel:DWORD src1_sel:BYTE_0
	v_and_b32_e32 v21, s62, v21
	v_lshl_or_b32 v21, v21, 4, v63
	ds_add_u32 v21, v89
	s_or_b32 exec_lo, exec_lo, s17
	s_mov_b32 s17, exec_lo
	v_cmpx_gt_u32_e64 s16, v53
	s_cbranch_execz .LBB120_987
.LBB120_1003:                           ;   in Loop: Header=BB120_956 Depth=2
	v_xor_b32_e32 v21, -1, v12
	v_lshrrev_b32_sdwa v21, s41, v21 dst_sel:DWORD dst_unused:UNUSED_PAD src0_sel:DWORD src1_sel:BYTE_0
	v_and_b32_e32 v21, s62, v21
	v_lshl_or_b32 v21, v21, 4, v63
	ds_add_u32 v21, v89
	s_or_b32 exec_lo, exec_lo, s17
	s_mov_b32 s17, exec_lo
	v_cmpx_gt_u32_e64 s16, v54
	s_cbranch_execz .LBB120_988
.LBB120_1004:                           ;   in Loop: Header=BB120_956 Depth=2
	v_xor_b32_e32 v21, -1, v11
	v_lshrrev_b32_sdwa v21, s41, v21 dst_sel:DWORD dst_unused:UNUSED_PAD src0_sel:DWORD src1_sel:BYTE_0
	v_and_b32_e32 v21, s62, v21
	v_lshl_or_b32 v21, v21, 4, v63
	ds_add_u32 v21, v89
	s_or_b32 exec_lo, exec_lo, s17
	s_mov_b32 s17, exec_lo
	v_cmpx_gt_u32_e64 s16, v55
	s_cbranch_execz .LBB120_989
.LBB120_1005:                           ;   in Loop: Header=BB120_956 Depth=2
	v_xor_b32_e32 v21, -1, v10
	v_lshrrev_b32_sdwa v21, s41, v21 dst_sel:DWORD dst_unused:UNUSED_PAD src0_sel:DWORD src1_sel:BYTE_0
	v_and_b32_e32 v21, s62, v21
	v_lshl_or_b32 v21, v21, 4, v63
	ds_add_u32 v21, v89
	s_or_b32 exec_lo, exec_lo, s17
	s_mov_b32 s17, exec_lo
	v_cmpx_gt_u32_e64 s16, v56
	s_cbranch_execz .LBB120_990
.LBB120_1006:                           ;   in Loop: Header=BB120_956 Depth=2
	v_xor_b32_e32 v21, -1, v9
	v_lshrrev_b32_sdwa v21, s41, v21 dst_sel:DWORD dst_unused:UNUSED_PAD src0_sel:DWORD src1_sel:BYTE_0
	v_and_b32_e32 v21, s62, v21
	v_lshl_or_b32 v21, v21, 4, v63
	ds_add_u32 v21, v89
	s_or_b32 exec_lo, exec_lo, s17
	s_mov_b32 s17, exec_lo
	v_cmpx_gt_u32_e64 s16, v57
	s_cbranch_execz .LBB120_991
.LBB120_1007:                           ;   in Loop: Header=BB120_956 Depth=2
	v_xor_b32_e32 v21, -1, v8
	v_lshrrev_b32_sdwa v21, s41, v21 dst_sel:DWORD dst_unused:UNUSED_PAD src0_sel:DWORD src1_sel:BYTE_0
	v_and_b32_e32 v21, s62, v21
	v_lshl_or_b32 v21, v21, 4, v63
	ds_add_u32 v21, v89
	s_or_b32 exec_lo, exec_lo, s17
	s_mov_b32 s17, exec_lo
	v_cmpx_gt_u32_e64 s16, v58
	s_cbranch_execz .LBB120_992
.LBB120_1008:                           ;   in Loop: Header=BB120_956 Depth=2
	v_xor_b32_e32 v21, -1, v7
	v_lshrrev_b32_sdwa v21, s41, v21 dst_sel:DWORD dst_unused:UNUSED_PAD src0_sel:DWORD src1_sel:BYTE_0
	v_and_b32_e32 v21, s62, v21
	v_lshl_or_b32 v21, v21, 4, v63
	ds_add_u32 v21, v89
	s_or_b32 exec_lo, exec_lo, s17
	s_mov_b32 s17, exec_lo
	v_cmpx_gt_u32_e64 s16, v59
	s_cbranch_execz .LBB120_993
.LBB120_1009:                           ;   in Loop: Header=BB120_956 Depth=2
	v_xor_b32_e32 v21, -1, v6
	v_lshrrev_b32_sdwa v21, s41, v21 dst_sel:DWORD dst_unused:UNUSED_PAD src0_sel:DWORD src1_sel:BYTE_0
	v_and_b32_e32 v21, s62, v21
	v_lshl_or_b32 v21, v21, 4, v63
	ds_add_u32 v21, v89
	s_or_b32 exec_lo, exec_lo, s17
	s_mov_b32 s17, exec_lo
	v_cmpx_gt_u32_e64 s16, v60
	s_cbranch_execz .LBB120_994
.LBB120_1010:                           ;   in Loop: Header=BB120_956 Depth=2
	v_xor_b32_e32 v21, -1, v5
	v_lshrrev_b32_sdwa v21, s41, v21 dst_sel:DWORD dst_unused:UNUSED_PAD src0_sel:DWORD src1_sel:BYTE_0
	v_and_b32_e32 v21, s62, v21
	v_lshl_or_b32 v21, v21, 4, v63
	ds_add_u32 v21, v89
	s_or_b32 exec_lo, exec_lo, s17
	v_cmp_gt_u32_e32 vcc_lo, s16, v61
	s_and_saveexec_b32 s16, vcc_lo
	s_cbranch_execz .LBB120_955
.LBB120_1011:                           ;   in Loop: Header=BB120_956 Depth=2
	v_xor_b32_e32 v21, -1, v3
	v_lshrrev_b32_sdwa v21, s41, v21 dst_sel:DWORD dst_unused:UNUSED_PAD src0_sel:DWORD src1_sel:BYTE_0
	v_and_b32_e32 v21, s62, v21
	v_lshl_or_b32 v21, v21, 4, v63
	ds_add_u32 v21, v89
	s_branch .LBB120_955
.LBB120_1012:                           ;   in Loop: Header=BB120_956 Depth=2
	s_waitcnt vmcnt(0)
	v_add_co_u32 v21, s19, s16, v0
	v_add_co_ci_u32_e64 v22, null, s17, 0, s19
	global_load_ubyte v17, v[21:22], off
	s_or_b32 exec_lo, exec_lo, s18
	s_mov_b32 s18, exec_lo
	v_cmpx_gt_u32_e64 s5, v44
	s_cbranch_execz .LBB120_961
.LBB120_1013:                           ;   in Loop: Header=BB120_956 Depth=2
	v_add_co_u32 v20, s19, s16, v0
	s_waitcnt vmcnt(0)
	v_add_co_ci_u32_e64 v21, null, s17, 0, s19
	global_load_ubyte v20, v[20:21], off offset:256
	s_or_b32 exec_lo, exec_lo, s18
	s_mov_b32 s18, exec_lo
	v_cmpx_gt_u32_e64 s5, v47
	s_cbranch_execz .LBB120_962
.LBB120_1014:                           ;   in Loop: Header=BB120_956 Depth=2
	s_waitcnt vmcnt(0)
	v_add_co_u32 v21, s19, s16, v0
	v_add_co_ci_u32_e64 v22, null, s17, 0, s19
	global_load_ubyte v19, v[21:22], off offset:512
	s_or_b32 exec_lo, exec_lo, s18
	s_mov_b32 s18, exec_lo
	v_cmpx_gt_u32_e64 s5, v48
	s_cbranch_execz .LBB120_963
.LBB120_1015:                           ;   in Loop: Header=BB120_956 Depth=2
	s_waitcnt vmcnt(0)
	v_add_co_u32 v21, s19, s16, v0
	v_add_co_ci_u32_e64 v22, null, s17, 0, s19
	global_load_ubyte v18, v[21:22], off offset:768
	s_or_b32 exec_lo, exec_lo, s18
	s_mov_b32 s18, exec_lo
	v_cmpx_gt_u32_e64 s5, v49
	s_cbranch_execz .LBB120_964
.LBB120_1016:                           ;   in Loop: Header=BB120_956 Depth=2
	s_waitcnt vmcnt(0)
	v_add_co_u32 v21, s19, s16, v0
	v_add_co_ci_u32_e64 v22, null, s17, 0, s19
	global_load_ubyte v16, v[21:22], off offset:1024
	s_or_b32 exec_lo, exec_lo, s18
	s_mov_b32 s18, exec_lo
	v_cmpx_gt_u32_e64 s5, v50
	s_cbranch_execz .LBB120_965
.LBB120_1017:                           ;   in Loop: Header=BB120_956 Depth=2
	s_waitcnt vmcnt(0)
	v_add_co_u32 v21, s19, s16, v0
	v_add_co_ci_u32_e64 v22, null, s17, 0, s19
	global_load_ubyte v15, v[21:22], off offset:1280
	s_or_b32 exec_lo, exec_lo, s18
	s_mov_b32 s18, exec_lo
	v_cmpx_gt_u32_e64 s5, v51
	s_cbranch_execz .LBB120_966
.LBB120_1018:                           ;   in Loop: Header=BB120_956 Depth=2
	s_waitcnt vmcnt(0)
	v_add_co_u32 v21, s19, s16, v0
	v_add_co_ci_u32_e64 v22, null, s17, 0, s19
	global_load_ubyte v14, v[21:22], off offset:1536
	s_or_b32 exec_lo, exec_lo, s18
	s_mov_b32 s18, exec_lo
	v_cmpx_gt_u32_e64 s5, v52
	s_cbranch_execz .LBB120_967
.LBB120_1019:                           ;   in Loop: Header=BB120_956 Depth=2
	s_waitcnt vmcnt(0)
	v_add_co_u32 v21, s19, s16, v0
	v_add_co_ci_u32_e64 v22, null, s17, 0, s19
	global_load_ubyte v13, v[21:22], off offset:1792
	s_or_b32 exec_lo, exec_lo, s18
	s_mov_b32 s18, exec_lo
	v_cmpx_gt_u32_e64 s5, v53
	s_cbranch_execz .LBB120_968
.LBB120_1020:                           ;   in Loop: Header=BB120_956 Depth=2
	s_waitcnt vmcnt(0)
	v_add_co_u32 v21, s19, s16, v53
	v_add_co_ci_u32_e64 v22, null, s17, 0, s19
	global_load_ubyte v12, v[21:22], off
	s_or_b32 exec_lo, exec_lo, s18
	s_mov_b32 s18, exec_lo
	v_cmpx_gt_u32_e64 s5, v54
	s_cbranch_execz .LBB120_969
.LBB120_1021:                           ;   in Loop: Header=BB120_956 Depth=2
	s_waitcnt vmcnt(0)
	v_add_co_u32 v21, s19, s16, v54
	v_add_co_ci_u32_e64 v22, null, s17, 0, s19
	global_load_ubyte v11, v[21:22], off
	s_or_b32 exec_lo, exec_lo, s18
	s_mov_b32 s18, exec_lo
	v_cmpx_gt_u32_e64 s5, v55
	s_cbranch_execz .LBB120_970
.LBB120_1022:                           ;   in Loop: Header=BB120_956 Depth=2
	s_waitcnt vmcnt(0)
	v_add_co_u32 v21, s19, s16, v55
	v_add_co_ci_u32_e64 v22, null, s17, 0, s19
	global_load_ubyte v10, v[21:22], off
	s_or_b32 exec_lo, exec_lo, s18
	s_mov_b32 s18, exec_lo
	v_cmpx_gt_u32_e64 s5, v56
	s_cbranch_execz .LBB120_971
.LBB120_1023:                           ;   in Loop: Header=BB120_956 Depth=2
	s_waitcnt vmcnt(0)
	v_add_co_u32 v21, s19, s16, v56
	v_add_co_ci_u32_e64 v22, null, s17, 0, s19
	global_load_ubyte v9, v[21:22], off
	s_or_b32 exec_lo, exec_lo, s18
	s_mov_b32 s18, exec_lo
	v_cmpx_gt_u32_e64 s5, v57
	s_cbranch_execz .LBB120_972
.LBB120_1024:                           ;   in Loop: Header=BB120_956 Depth=2
	s_waitcnt vmcnt(0)
	v_add_co_u32 v21, s19, s16, v57
	v_add_co_ci_u32_e64 v22, null, s17, 0, s19
	global_load_ubyte v8, v[21:22], off
	s_or_b32 exec_lo, exec_lo, s18
	s_mov_b32 s18, exec_lo
	v_cmpx_gt_u32_e64 s5, v58
	s_cbranch_execz .LBB120_973
.LBB120_1025:                           ;   in Loop: Header=BB120_956 Depth=2
	s_waitcnt vmcnt(0)
	v_add_co_u32 v21, s19, s16, v58
	v_add_co_ci_u32_e64 v22, null, s17, 0, s19
	global_load_ubyte v7, v[21:22], off
	s_or_b32 exec_lo, exec_lo, s18
	s_mov_b32 s18, exec_lo
	v_cmpx_gt_u32_e64 s5, v59
	s_cbranch_execz .LBB120_974
.LBB120_1026:                           ;   in Loop: Header=BB120_956 Depth=2
	s_waitcnt vmcnt(0)
	v_add_co_u32 v21, s19, s16, v59
	v_add_co_ci_u32_e64 v22, null, s17, 0, s19
	global_load_ubyte v6, v[21:22], off
	s_or_b32 exec_lo, exec_lo, s18
	s_mov_b32 s18, exec_lo
	v_cmpx_gt_u32_e64 s5, v60
	s_cbranch_execz .LBB120_975
.LBB120_1027:                           ;   in Loop: Header=BB120_956 Depth=2
	s_waitcnt vmcnt(0)
	v_add_co_u32 v21, s19, s16, v60
	v_add_co_ci_u32_e64 v22, null, s17, 0, s19
	global_load_ubyte v5, v[21:22], off
	s_or_b32 exec_lo, exec_lo, s18
	s_mov_b32 s18, exec_lo
	v_cmpx_gt_u32_e64 s5, v61
	s_cbranch_execnz .LBB120_976
	s_branch .LBB120_977
.LBB120_1028:                           ;   in Loop: Header=BB120_20 Depth=1
	v_mov_b32_e32 v3, 0
	s_waitcnt lgkmcnt(0)
	s_barrier
	buffer_gl0_inv
	s_and_saveexec_b32 s5, s8
	s_cbranch_execz .LBB120_1030
; %bb.1029:                             ;   in Loop: Header=BB120_20 Depth=1
	ds_read2_b64 v[5:8], v64 offset1:1
	s_waitcnt lgkmcnt(0)
	v_add_nc_u32_e32 v3, v6, v5
	v_add3_u32 v3, v3, v7, v8
.LBB120_1030:                           ;   in Loop: Header=BB120_20 Depth=1
	s_or_b32 exec_lo, exec_lo, s5
	v_and_b32_e32 v5, 15, v86
	v_mov_b32_dpp v6, v3 row_shr:1 row_mask:0xf bank_mask:0xf
	v_and_b32_e32 v7, 16, v86
	v_cmp_eq_u32_e64 s5, 0, v5
	v_cmp_lt_u32_e64 s15, 1, v5
	v_cmp_lt_u32_e64 s16, 3, v5
	;; [unrolled: 1-line block ×3, first 2 shown]
	v_cmp_eq_u32_e64 s18, 0, v7
	v_cndmask_b32_e64 v6, v6, 0, s5
	v_add_nc_u32_e32 v3, v6, v3
	v_mov_b32_dpp v6, v3 row_shr:2 row_mask:0xf bank_mask:0xf
	v_cndmask_b32_e64 v6, 0, v6, s15
	v_add_nc_u32_e32 v3, v3, v6
	v_mov_b32_dpp v6, v3 row_shr:4 row_mask:0xf bank_mask:0xf
	;; [unrolled: 3-line block ×3, first 2 shown]
	v_cndmask_b32_e64 v5, 0, v6, s17
	v_bfe_i32 v6, v86, 4, 1
	v_add_nc_u32_e32 v3, v3, v5
	ds_swizzle_b32 v5, v3 offset:swizzle(BROADCAST,32,15)
	s_waitcnt lgkmcnt(0)
	v_and_b32_e32 v5, v6, v5
	v_add_nc_u32_e32 v3, v3, v5
	s_and_saveexec_b32 s19, s9
; %bb.1031:                             ;   in Loop: Header=BB120_20 Depth=1
	ds_write_b32 v65, v3
; %bb.1032:                             ;   in Loop: Header=BB120_20 Depth=1
	s_or_b32 exec_lo, exec_lo, s19
	s_waitcnt lgkmcnt(0)
	s_barrier
	buffer_gl0_inv
	s_and_saveexec_b32 s19, s10
	s_cbranch_execz .LBB120_1034
; %bb.1033:                             ;   in Loop: Header=BB120_20 Depth=1
	ds_read_b32 v5, v66
	v_and_b32_e32 v6, 3, v86
	v_cmp_ne_u32_e32 vcc_lo, 0, v6
	s_waitcnt lgkmcnt(0)
	v_mov_b32_dpp v7, v5 row_shr:1 row_mask:0xf bank_mask:0xf
	v_cndmask_b32_e32 v7, 0, v7, vcc_lo
	v_cmp_lt_u32_e32 vcc_lo, 1, v6
	v_add_nc_u32_e32 v5, v7, v5
	v_mov_b32_dpp v7, v5 row_shr:2 row_mask:0xf bank_mask:0xf
	v_cndmask_b32_e32 v6, 0, v7, vcc_lo
	v_add_nc_u32_e32 v5, v5, v6
	ds_write_b32 v66, v5
.LBB120_1034:                           ;   in Loop: Header=BB120_20 Depth=1
	s_or_b32 exec_lo, exec_lo, s19
	v_mov_b32_e32 v5, 0
	s_waitcnt lgkmcnt(0)
	s_barrier
	buffer_gl0_inv
	s_and_saveexec_b32 s19, s11
; %bb.1035:                             ;   in Loop: Header=BB120_20 Depth=1
	ds_read_b32 v5, v67
; %bb.1036:                             ;   in Loop: Header=BB120_20 Depth=1
	s_or_b32 exec_lo, exec_lo, s19
	v_sub_co_u32 v6, s19, v86, 1
	s_waitcnt lgkmcnt(0)
	v_add_nc_u32_e32 v3, v5, v3
	s_barrier
	v_cmp_gt_i32_e32 vcc_lo, 0, v6
	buffer_gl0_inv
	v_cndmask_b32_e32 v6, v6, v86, vcc_lo
	v_lshlrev_b32_e32 v94, 2, v6
	ds_bpermute_b32 v3, v94, v3
	s_and_saveexec_b32 s20, s8
	s_cbranch_execz .LBB120_1038
; %bb.1037:                             ;   in Loop: Header=BB120_20 Depth=1
	s_waitcnt lgkmcnt(0)
	v_cndmask_b32_e64 v3, v3, v5, s19
	v_add_nc_u32_e32 v3, s58, v3
	ds_write_b32 v43, v3
.LBB120_1038:                           ;   in Loop: Header=BB120_20 Depth=1
	s_or_b32 exec_lo, exec_lo, s20
	s_load_dwordx2 s[20:21], s[56:57], 0x0
	v_and_b32_e32 v6, 7, v86
	v_lshlrev_b32_e32 v7, 3, v86
	v_or_b32_e32 v95, v86, v68
	v_add_co_u32 v96, vcc_lo, v87, v86
	v_add_co_ci_u32_e64 v97, null, 0, v88, vcc_lo
	v_add_co_u32 v98, vcc_lo, v84, v7
	v_add_co_ci_u32_e64 v99, null, 0, v85, vcc_lo
	v_add_nc_u32_e32 v100, 32, v95
	v_add_nc_u32_e32 v101, 64, v95
	;; [unrolled: 1-line block ×8, first 2 shown]
	s_waitcnt lgkmcnt(0)
	s_cmp_lt_u32 s7, s21
	v_add_nc_u32_e32 v108, 0x120, v95
	s_cselect_b32 s21, 14, 20
	v_add_nc_u32_e32 v109, 0x140, v95
	s_add_u32 s22, s56, s21
	s_addc_u32 s23, s57, 0
	s_cmp_lt_u32 s6, s20
	global_load_ushort v3, v4, s[22:23]
	s_cselect_b32 s20, 12, 18
	v_add_nc_u32_e32 v110, 0x160, v95
	s_add_u32 s20, s56, s20
	s_addc_u32 s21, s57, 0
	v_add_nc_u32_e32 v111, 0x180, v95
	global_load_ushort v5, v4, s[20:21]
	v_cmp_eq_u32_e64 s20, 0, v6
	v_cmp_lt_u32_e64 s21, 1, v6
	v_cmp_lt_u32_e64 s22, 3, v6
	v_add_nc_u32_e32 v112, 0x1a0, v95
	v_add_nc_u32_e32 v113, 0x1c0, v95
	;; [unrolled: 1-line block ×4, first 2 shown]
	v_mov_b32_e32 v129, 0
	s_mov_b32 s63, s60
	s_mov_b32 s50, s58
                                        ; implicit-def: $vgpr7_vgpr8
                                        ; implicit-def: $vgpr9_vgpr10
                                        ; implicit-def: $vgpr11_vgpr12
                                        ; implicit-def: $vgpr13_vgpr14
                                        ; implicit-def: $vgpr15_vgpr16
                                        ; implicit-def: $vgpr19_vgpr20
                                        ; implicit-def: $vgpr23_vgpr24
                                        ; implicit-def: $vgpr27_vgpr28
                                        ; implicit-def: $vgpr17_vgpr18
                                        ; implicit-def: $vgpr21_vgpr22
                                        ; implicit-def: $vgpr25_vgpr26
                                        ; implicit-def: $vgpr29_vgpr30
                                        ; implicit-def: $vgpr31_vgpr32
                                        ; implicit-def: $vgpr33_vgpr34
                                        ; implicit-def: $vgpr35_vgpr36
                                        ; implicit-def: $vgpr37_vgpr38
                                        ; implicit-def: $vgpr117
                                        ; implicit-def: $vgpr118
                                        ; implicit-def: $vgpr119
                                        ; implicit-def: $vgpr120
                                        ; implicit-def: $vgpr121
                                        ; implicit-def: $vgpr122
                                        ; implicit-def: $vgpr123
                                        ; implicit-def: $vgpr124
                                        ; implicit-def: $vgpr125
                                        ; implicit-def: $vgpr126
                                        ; implicit-def: $vgpr127
                                        ; implicit-def: $vgpr128
                                        ; implicit-def: $vgpr130
                                        ; implicit-def: $vgpr131
                                        ; implicit-def: $vgpr132
                                        ; implicit-def: $vgpr133
                                        ; implicit-def: $vgpr134
                                        ; implicit-def: $vgpr135
                                        ; implicit-def: $vgpr136
	s_waitcnt vmcnt(1)
	v_mad_u32_u24 v3, v2, v3, v1
	s_waitcnt vmcnt(0)
	v_mad_u64_u32 v[5:6], null, v3, v5, v[0:1]
	v_lshrrev_b32_e32 v3, 3, v5
                                        ; implicit-def: $vgpr5_vgpr6
	v_and_b32_e32 v116, 0x1ffffffc, v3
	s_branch .LBB120_1040
.LBB120_1039:                           ;   in Loop: Header=BB120_1040 Depth=2
	s_or_b32 exec_lo, exec_lo, s23
	s_addk_i32 s63, 0xef00
	s_cmp_lt_u32 s64, s59
	s_mov_b32 s50, s64
	s_cbranch_scc0 .LBB120_18
.LBB120_1040:                           ;   Parent Loop BB120_20 Depth=1
                                        ; =>  This Inner Loop Header: Depth=2
	s_add_i32 s64, s50, 0x1100
	s_cmp_gt_u32 s64, s59
	s_cbranch_scc1 .LBB120_1042
; %bb.1041:                             ;   in Loop: Header=BB120_1040 Depth=2
	v_add_co_u32 v39, vcc_lo, v96, s50
	v_add_co_ci_u32_e64 v40, null, 0, v97, vcc_lo
	s_mov_b32 s23, -1
	s_clause 0xf
	global_load_ubyte v42, v[39:40], off offset:480
	global_load_ubyte v41, v[39:40], off offset:448
	;; [unrolled: 1-line block ×15, first 2 shown]
	global_load_ubyte v146, v[39:40], off
	s_movk_i32 s24, 0x1100
	s_cbranch_execz .LBB120_1043
	s_branch .LBB120_1062
.LBB120_1042:                           ;   in Loop: Header=BB120_1040 Depth=2
	s_mov_b32 s23, 0
                                        ; implicit-def: $vgpr146
                                        ; implicit-def: $vgpr151
                                        ; implicit-def: $vgpr147
                                        ; implicit-def: $vgpr148
                                        ; implicit-def: $vgpr150
                                        ; implicit-def: $vgpr143
                                        ; implicit-def: $vgpr144
                                        ; implicit-def: $vgpr145
                                        ; implicit-def: $vgpr142
                                        ; implicit-def: $vgpr139
                                        ; implicit-def: $vgpr140
                                        ; implicit-def: $vgpr141
                                        ; implicit-def: $vgpr137
                                        ; implicit-def: $vgpr3
                                        ; implicit-def: $vgpr41
                                        ; implicit-def: $vgpr42
                                        ; implicit-def: $vgpr129
	s_movk_i32 s24, 0x1100
.LBB120_1043:                           ;   in Loop: Header=BB120_1040 Depth=2
	v_add_co_u32 v39, vcc_lo, v96, s50
	v_add_co_ci_u32_e64 v40, null, 0, v97, vcc_lo
	s_waitcnt vmcnt(2)
	v_mov_b32_e32 v147, 0
	s_waitcnt vmcnt(0)
	v_mov_b32_e32 v146, 0
	v_mov_b32_e32 v148, 0
	;; [unrolled: 1-line block ×15, first 2 shown]
	s_mov_b32 s23, exec_lo
	v_cmpx_gt_u32_e64 s63, v95
	s_cbranch_execz .LBB120_1045
; %bb.1044:                             ;   in Loop: Header=BB120_1040 Depth=2
	global_load_ubyte v146, v[39:40], off
	v_mov_b32_e32 v148, 0
	v_mov_b32_e32 v150, 0
	;; [unrolled: 1-line block ×14, first 2 shown]
.LBB120_1045:                           ;   in Loop: Header=BB120_1040 Depth=2
	s_or_b32 exec_lo, exec_lo, s23
	v_mov_b32_e32 v151, v147
	s_mov_b32 s23, exec_lo
	v_cmpx_gt_u32_e64 s63, v100
	s_cbranch_execnz .LBB120_1248
; %bb.1046:                             ;   in Loop: Header=BB120_1040 Depth=2
	s_or_b32 exec_lo, exec_lo, s23
	s_mov_b32 s23, exec_lo
	v_cmpx_gt_u32_e64 s63, v101
	s_cbranch_execnz .LBB120_1249
.LBB120_1047:                           ;   in Loop: Header=BB120_1040 Depth=2
	s_or_b32 exec_lo, exec_lo, s23
	s_mov_b32 s23, exec_lo
	v_cmpx_gt_u32_e64 s63, v102
	s_cbranch_execnz .LBB120_1250
.LBB120_1048:                           ;   in Loop: Header=BB120_1040 Depth=2
	s_or_b32 exec_lo, exec_lo, s23
	s_mov_b32 s23, exec_lo
	v_cmpx_gt_u32_e64 s63, v103
	s_cbranch_execnz .LBB120_1251
.LBB120_1049:                           ;   in Loop: Header=BB120_1040 Depth=2
	s_or_b32 exec_lo, exec_lo, s23
	s_mov_b32 s23, exec_lo
	v_cmpx_gt_u32_e64 s63, v104
	s_cbranch_execnz .LBB120_1252
.LBB120_1050:                           ;   in Loop: Header=BB120_1040 Depth=2
	s_or_b32 exec_lo, exec_lo, s23
	s_mov_b32 s23, exec_lo
	v_cmpx_gt_u32_e64 s63, v105
	s_cbranch_execnz .LBB120_1253
.LBB120_1051:                           ;   in Loop: Header=BB120_1040 Depth=2
	s_or_b32 exec_lo, exec_lo, s23
	s_mov_b32 s23, exec_lo
	v_cmpx_gt_u32_e64 s63, v106
	s_cbranch_execnz .LBB120_1254
.LBB120_1052:                           ;   in Loop: Header=BB120_1040 Depth=2
	s_or_b32 exec_lo, exec_lo, s23
	s_mov_b32 s23, exec_lo
	v_cmpx_gt_u32_e64 s63, v107
	s_cbranch_execnz .LBB120_1255
.LBB120_1053:                           ;   in Loop: Header=BB120_1040 Depth=2
	s_or_b32 exec_lo, exec_lo, s23
	s_mov_b32 s23, exec_lo
	v_cmpx_gt_u32_e64 s63, v108
	s_cbranch_execnz .LBB120_1256
.LBB120_1054:                           ;   in Loop: Header=BB120_1040 Depth=2
	s_or_b32 exec_lo, exec_lo, s23
	s_mov_b32 s23, exec_lo
	v_cmpx_gt_u32_e64 s63, v109
	s_cbranch_execnz .LBB120_1257
.LBB120_1055:                           ;   in Loop: Header=BB120_1040 Depth=2
	s_or_b32 exec_lo, exec_lo, s23
	s_mov_b32 s23, exec_lo
	v_cmpx_gt_u32_e64 s63, v110
	s_cbranch_execnz .LBB120_1258
.LBB120_1056:                           ;   in Loop: Header=BB120_1040 Depth=2
	s_or_b32 exec_lo, exec_lo, s23
	s_mov_b32 s23, exec_lo
	v_cmpx_gt_u32_e64 s63, v111
	s_cbranch_execnz .LBB120_1259
.LBB120_1057:                           ;   in Loop: Header=BB120_1040 Depth=2
	s_or_b32 exec_lo, exec_lo, s23
	s_mov_b32 s23, exec_lo
	v_cmpx_gt_u32_e64 s63, v112
	s_cbranch_execnz .LBB120_1260
.LBB120_1058:                           ;   in Loop: Header=BB120_1040 Depth=2
	s_or_b32 exec_lo, exec_lo, s23
	s_mov_b32 s23, exec_lo
	v_cmpx_gt_u32_e64 s63, v113
	s_cbranch_execnz .LBB120_1261
.LBB120_1059:                           ;   in Loop: Header=BB120_1040 Depth=2
	s_or_b32 exec_lo, exec_lo, s23
	s_mov_b32 s23, exec_lo
	v_cmpx_gt_u32_e64 s63, v114
	s_cbranch_execz .LBB120_1061
.LBB120_1060:                           ;   in Loop: Header=BB120_1040 Depth=2
	global_load_ubyte v42, v[39:40], off offset:480
.LBB120_1061:                           ;   in Loop: Header=BB120_1040 Depth=2
	s_or_b32 exec_lo, exec_lo, s23
	v_cmp_gt_u32_e64 s23, s63, v115
	s_sub_i32 s24, s59, s50
.LBB120_1062:                           ;   in Loop: Header=BB120_1040 Depth=2
	v_mov_b32_e32 v138, s63
	s_and_saveexec_b32 s25, s23
	s_cbranch_execz .LBB120_1064
; %bb.1063:                             ;   in Loop: Header=BB120_1040 Depth=2
	v_add_co_u32 v39, vcc_lo, v96, s50
	v_add_co_ci_u32_e64 v40, null, s51, v97, vcc_lo
	v_mov_b32_e32 v138, s24
	global_load_ubyte v129, v[39:40], off offset:512
.LBB120_1064:                           ;   in Loop: Header=BB120_1040 Depth=2
	s_or_b32 exec_lo, exec_lo, s25
	s_waitcnt vmcnt(0)
	v_xor_b32_e32 v39, -1, v146
	ds_write2_b32 v69, v4, v4 offset0:136 offset1:137
	ds_write2_b32 v69, v4, v4 offset0:138 offset1:139
	ds_write_b32 v69, v4 offset:560
	s_waitcnt lgkmcnt(0)
	s_barrier
	v_and_b32_sdwa v40, v92, v39 dst_sel:DWORD dst_unused:UNUSED_PAD src0_sel:DWORD src1_sel:BYTE_0
	buffer_gl0_inv
	; wave barrier
	v_lshrrev_b32_e32 v40, s41, v40
	v_and_b32_e32 v149, s62, v40
	v_and_b32_e32 v40, 1, v149
	v_lshlrev_b32_e32 v146, 30, v149
	v_lshlrev_b32_e32 v152, 29, v149
	;; [unrolled: 1-line block ×4, first 2 shown]
	v_add_co_u32 v40, s23, v40, -1
	v_cndmask_b32_e64 v153, 0, 1, s23
	v_not_b32_e32 v157, v146
	v_cmp_gt_i32_e64 s23, 0, v146
	v_not_b32_e32 v146, v152
	v_lshlrev_b32_e32 v156, 26, v149
	v_cmp_ne_u32_e32 vcc_lo, 0, v153
	v_ashrrev_i32_e32 v157, 31, v157
	v_lshlrev_b32_e32 v153, 25, v149
	v_ashrrev_i32_e32 v146, 31, v146
	v_mul_u32_u24_e32 v149, 36, v149
	v_xor_b32_e32 v40, vcc_lo, v40
	v_cmp_gt_i32_e32 vcc_lo, 0, v152
	v_not_b32_e32 v152, v154
	v_xor_b32_e32 v157, s23, v157
	v_cmp_gt_i32_e64 s23, 0, v154
	v_and_b32_e32 v40, exec_lo, v40
	v_not_b32_e32 v154, v155
	v_ashrrev_i32_e32 v152, 31, v152
	v_xor_b32_e32 v146, vcc_lo, v146
	v_cmp_gt_i32_e32 vcc_lo, 0, v155
	v_and_b32_e32 v40, v40, v157
	v_not_b32_e32 v155, v156
	v_ashrrev_i32_e32 v154, 31, v154
	v_xor_b32_e32 v152, s23, v152
	v_cmp_gt_i32_e64 s23, 0, v156
	v_and_b32_e32 v40, v40, v146
	v_not_b32_e32 v146, v153
	v_ashrrev_i32_e32 v155, 31, v155
	v_xor_b32_e32 v154, vcc_lo, v154
	v_cmp_gt_i32_e32 vcc_lo, 0, v153
	v_and_b32_e32 v40, v40, v152
	v_ashrrev_i32_e32 v146, 31, v146
	v_xor_b32_e32 v152, s23, v155
	v_add_nc_u32_e32 v149, v116, v149
	v_and_b32_e32 v40, v40, v154
	v_xor_b32_e32 v146, vcc_lo, v146
	v_and_b32_e32 v40, v40, v152
	v_and_b32_e32 v40, v40, v146
	v_mbcnt_lo_u32_b32 v146, v40, 0
	v_cmp_ne_u32_e64 s23, 0, v40
	v_cmp_eq_u32_e32 vcc_lo, 0, v146
	s_and_b32 s24, s23, vcc_lo
	s_and_saveexec_b32 s23, s24
; %bb.1065:                             ;   in Loop: Header=BB120_1040 Depth=2
	v_bcnt_u32_b32 v40, v40, 0
	ds_write_b32 v149, v40 offset:544
; %bb.1066:                             ;   in Loop: Header=BB120_1040 Depth=2
	s_or_b32 exec_lo, exec_lo, s23
	v_xor_b32_sdwa v40, v151, v93 dst_sel:BYTE_1 dst_unused:UNUSED_PAD src0_sel:DWORD src1_sel:DWORD
	v_xor_b32_e32 v151, -1, v147
	v_xor_b32_sdwa v148, v148, v93 dst_sel:BYTE_1 dst_unused:UNUSED_PAD src0_sel:DWORD src1_sel:DWORD
	; wave barrier
	v_or_b32_sdwa v147, v39, v40 dst_sel:DWORD dst_unused:UNUSED_PAD src0_sel:BYTE_0 src1_sel:DWORD
	v_or_b32_sdwa v39, v151, v148 dst_sel:WORD_1 dst_unused:UNUSED_PAD src0_sel:BYTE_0 src1_sel:DWORD
	v_or_b32_sdwa v148, v147, v39 dst_sel:DWORD dst_unused:UNUSED_PAD src0_sel:WORD_0 src1_sel:DWORD
	v_lshrrev_b32_sdwa v39, s41, v148 dst_sel:DWORD dst_unused:UNUSED_PAD src0_sel:DWORD src1_sel:BYTE_1
	v_and_b32_e32 v40, s62, v39
	v_and_b32_e32 v39, 1, v40
	v_lshlrev_b32_e32 v151, 30, v40
	v_lshlrev_b32_e32 v152, 29, v40
	;; [unrolled: 1-line block ×4, first 2 shown]
	v_add_co_u32 v39, s23, v39, -1
	v_cndmask_b32_e64 v153, 0, 1, s23
	v_not_b32_e32 v157, v151
	v_cmp_gt_i32_e64 s23, 0, v151
	v_not_b32_e32 v151, v152
	v_lshlrev_b32_e32 v156, 26, v40
	v_cmp_ne_u32_e32 vcc_lo, 0, v153
	v_ashrrev_i32_e32 v157, 31, v157
	v_lshlrev_b32_e32 v153, 25, v40
	v_ashrrev_i32_e32 v151, 31, v151
	v_xor_b32_e32 v39, vcc_lo, v39
	v_cmp_gt_i32_e32 vcc_lo, 0, v152
	v_not_b32_e32 v152, v154
	v_xor_b32_e32 v157, s23, v157
	v_cmp_gt_i32_e64 s23, 0, v154
	v_and_b32_e32 v39, exec_lo, v39
	v_not_b32_e32 v154, v155
	v_ashrrev_i32_e32 v152, 31, v152
	v_xor_b32_e32 v151, vcc_lo, v151
	v_cmp_gt_i32_e32 vcc_lo, 0, v155
	v_and_b32_e32 v39, v39, v157
	v_not_b32_e32 v155, v156
	v_ashrrev_i32_e32 v154, 31, v154
	v_xor_b32_e32 v152, s23, v152
	v_cmp_gt_i32_e64 s23, 0, v156
	v_and_b32_e32 v39, v39, v151
	v_not_b32_e32 v151, v153
	v_ashrrev_i32_e32 v155, 31, v155
	v_xor_b32_e32 v154, vcc_lo, v154
	v_cmp_gt_i32_e32 vcc_lo, 0, v153
	v_and_b32_e32 v39, v39, v152
	v_ashrrev_i32_e32 v151, 31, v151
	v_xor_b32_e32 v152, s23, v155
	v_mad_u32_u24 v153, v40, 36, v116
	v_mul_u32_u24_e32 v40, 36, v40
	v_and_b32_e32 v39, v39, v154
	v_xor_b32_e32 v154, vcc_lo, v151
	ds_read_b32 v151, v153 offset:544
	v_add_nc_u32_e32 v153, v116, v40
	v_and_b32_e32 v39, v39, v152
	; wave barrier
	v_and_b32_e32 v39, v39, v154
	v_mbcnt_lo_u32_b32 v152, v39, 0
	v_cmp_ne_u32_e64 s23, 0, v39
	v_cmp_eq_u32_e32 vcc_lo, 0, v152
	s_and_b32 s24, s23, vcc_lo
	s_and_saveexec_b32 s23, s24
	s_cbranch_execz .LBB120_1068
; %bb.1067:                             ;   in Loop: Header=BB120_1040 Depth=2
	s_waitcnt lgkmcnt(0)
	v_bcnt_u32_b32 v39, v39, v151
	ds_write_b32 v153, v39 offset:544
.LBB120_1068:                           ;   in Loop: Header=BB120_1040 Depth=2
	s_or_b32 exec_lo, exec_lo, s23
	v_lshrrev_b32_sdwa v39, s41, v148 dst_sel:DWORD dst_unused:UNUSED_PAD src0_sel:DWORD src1_sel:BYTE_2
	; wave barrier
	v_and_b32_e32 v40, s62, v39
	v_and_b32_e32 v39, 1, v40
	v_lshlrev_b32_e32 v154, 30, v40
	v_lshlrev_b32_e32 v155, 29, v40
	;; [unrolled: 1-line block ×4, first 2 shown]
	v_add_co_u32 v39, s23, v39, -1
	v_cndmask_b32_e64 v156, 0, 1, s23
	v_not_b32_e32 v160, v154
	v_cmp_gt_i32_e64 s23, 0, v154
	v_not_b32_e32 v154, v155
	v_lshlrev_b32_e32 v159, 26, v40
	v_cmp_ne_u32_e32 vcc_lo, 0, v156
	v_ashrrev_i32_e32 v160, 31, v160
	v_lshlrev_b32_e32 v156, 25, v40
	v_ashrrev_i32_e32 v154, 31, v154
	v_xor_b32_e32 v39, vcc_lo, v39
	v_cmp_gt_i32_e32 vcc_lo, 0, v155
	v_not_b32_e32 v155, v157
	v_xor_b32_e32 v160, s23, v160
	v_cmp_gt_i32_e64 s23, 0, v157
	v_and_b32_e32 v39, exec_lo, v39
	v_not_b32_e32 v157, v158
	v_ashrrev_i32_e32 v155, 31, v155
	v_xor_b32_e32 v154, vcc_lo, v154
	v_cmp_gt_i32_e32 vcc_lo, 0, v158
	v_and_b32_e32 v39, v39, v160
	v_not_b32_e32 v158, v159
	v_ashrrev_i32_e32 v157, 31, v157
	v_xor_b32_e32 v155, s23, v155
	v_cmp_gt_i32_e64 s23, 0, v159
	v_and_b32_e32 v39, v39, v154
	v_not_b32_e32 v154, v156
	v_ashrrev_i32_e32 v158, 31, v158
	v_xor_b32_e32 v157, vcc_lo, v157
	v_cmp_gt_i32_e32 vcc_lo, 0, v156
	v_and_b32_e32 v39, v39, v155
	v_ashrrev_i32_e32 v154, 31, v154
	v_xor_b32_e32 v155, s23, v158
	v_mad_u32_u24 v156, v40, 36, v116
	v_mul_u32_u24_e32 v40, 36, v40
	v_and_b32_e32 v39, v39, v157
	v_xor_b32_e32 v157, vcc_lo, v154
	ds_read_b32 v154, v156 offset:544
	v_and_b32_e32 v39, v39, v155
	; wave barrier
	v_and_b32_e32 v39, v39, v157
	v_add_nc_u32_e32 v157, v116, v40
	v_mbcnt_lo_u32_b32 v155, v39, 0
	v_cmp_ne_u32_e64 s23, 0, v39
	v_cmp_eq_u32_e32 vcc_lo, 0, v155
	s_and_b32 s24, s23, vcc_lo
	s_and_saveexec_b32 s23, s24
	s_cbranch_execz .LBB120_1070
; %bb.1069:                             ;   in Loop: Header=BB120_1040 Depth=2
	s_waitcnt lgkmcnt(0)
	v_bcnt_u32_b32 v39, v39, v154
	ds_write_b32 v157, v39 offset:544
.LBB120_1070:                           ;   in Loop: Header=BB120_1040 Depth=2
	s_or_b32 exec_lo, exec_lo, s23
	v_lshrrev_b32_e32 v156, 24, v148
	; wave barrier
	v_lshrrev_b32_e32 v39, s41, v156
	v_and_b32_e32 v40, s62, v39
	v_and_b32_e32 v39, 1, v40
	v_lshlrev_b32_e32 v158, 30, v40
	v_lshlrev_b32_e32 v159, 29, v40
	;; [unrolled: 1-line block ×4, first 2 shown]
	v_add_co_u32 v39, s23, v39, -1
	v_cndmask_b32_e64 v160, 0, 1, s23
	v_not_b32_e32 v164, v158
	v_cmp_gt_i32_e64 s23, 0, v158
	v_not_b32_e32 v158, v159
	v_lshlrev_b32_e32 v163, 26, v40
	v_cmp_ne_u32_e32 vcc_lo, 0, v160
	v_ashrrev_i32_e32 v164, 31, v164
	v_lshlrev_b32_e32 v160, 25, v40
	v_ashrrev_i32_e32 v158, 31, v158
	v_xor_b32_e32 v39, vcc_lo, v39
	v_cmp_gt_i32_e32 vcc_lo, 0, v159
	v_not_b32_e32 v159, v161
	v_xor_b32_e32 v164, s23, v164
	v_cmp_gt_i32_e64 s23, 0, v161
	v_and_b32_e32 v39, exec_lo, v39
	v_not_b32_e32 v161, v162
	v_ashrrev_i32_e32 v159, 31, v159
	v_xor_b32_e32 v158, vcc_lo, v158
	v_cmp_gt_i32_e32 vcc_lo, 0, v162
	v_and_b32_e32 v39, v39, v164
	v_not_b32_e32 v162, v163
	v_ashrrev_i32_e32 v161, 31, v161
	v_xor_b32_e32 v159, s23, v159
	v_cmp_gt_i32_e64 s23, 0, v163
	v_and_b32_e32 v39, v39, v158
	v_not_b32_e32 v158, v160
	v_ashrrev_i32_e32 v162, 31, v162
	v_xor_b32_e32 v161, vcc_lo, v161
	v_cmp_gt_i32_e32 vcc_lo, 0, v160
	v_and_b32_e32 v39, v39, v159
	v_ashrrev_i32_e32 v158, 31, v158
	v_xor_b32_e32 v159, s23, v162
	v_mad_u32_u24 v160, v40, 36, v116
	v_mul_u32_u24_e32 v40, 36, v40
	v_and_b32_e32 v39, v39, v161
	v_xor_b32_e32 v161, vcc_lo, v158
	ds_read_b32 v158, v160 offset:544
	v_add_nc_u32_e32 v160, v116, v40
	v_and_b32_e32 v39, v39, v159
	; wave barrier
	v_and_b32_e32 v39, v39, v161
	v_mbcnt_lo_u32_b32 v159, v39, 0
	v_cmp_ne_u32_e64 s23, 0, v39
	v_cmp_eq_u32_e32 vcc_lo, 0, v159
	s_and_b32 s24, s23, vcc_lo
	s_and_saveexec_b32 s23, s24
	s_cbranch_execz .LBB120_1072
; %bb.1071:                             ;   in Loop: Header=BB120_1040 Depth=2
	s_waitcnt lgkmcnt(0)
	v_bcnt_u32_b32 v39, v39, v158
	ds_write_b32 v160, v39 offset:544
.LBB120_1072:                           ;   in Loop: Header=BB120_1040 Depth=2
	s_or_b32 exec_lo, exec_lo, s23
	v_xor_b32_e32 v39, -1, v150
	; wave barrier
	v_and_b32_sdwa v40, v92, v39 dst_sel:DWORD dst_unused:UNUSED_PAD src0_sel:DWORD src1_sel:BYTE_0
	v_lshrrev_b32_e32 v40, s41, v40
	v_and_b32_e32 v162, s62, v40
	v_and_b32_e32 v40, 1, v162
	v_lshlrev_b32_e32 v150, 30, v162
	v_lshlrev_b32_e32 v161, 29, v162
	;; [unrolled: 1-line block ×4, first 2 shown]
	v_add_co_u32 v40, s23, v40, -1
	v_cndmask_b32_e64 v163, 0, 1, s23
	v_not_b32_e32 v167, v150
	v_cmp_gt_i32_e64 s23, 0, v150
	v_not_b32_e32 v150, v161
	v_lshlrev_b32_e32 v166, 26, v162
	v_cmp_ne_u32_e32 vcc_lo, 0, v163
	v_ashrrev_i32_e32 v167, 31, v167
	v_lshlrev_b32_e32 v163, 25, v162
	v_ashrrev_i32_e32 v150, 31, v150
	v_xor_b32_e32 v40, vcc_lo, v40
	v_cmp_gt_i32_e32 vcc_lo, 0, v161
	v_not_b32_e32 v161, v164
	v_xor_b32_e32 v167, s23, v167
	v_cmp_gt_i32_e64 s23, 0, v164
	v_and_b32_e32 v40, exec_lo, v40
	v_not_b32_e32 v164, v165
	v_ashrrev_i32_e32 v161, 31, v161
	v_xor_b32_e32 v150, vcc_lo, v150
	v_cmp_gt_i32_e32 vcc_lo, 0, v165
	v_and_b32_e32 v40, v40, v167
	v_not_b32_e32 v165, v166
	v_ashrrev_i32_e32 v164, 31, v164
	v_xor_b32_e32 v161, s23, v161
	v_cmp_gt_i32_e64 s23, 0, v166
	v_and_b32_e32 v40, v40, v150
	v_not_b32_e32 v150, v163
	v_ashrrev_i32_e32 v165, 31, v165
	v_xor_b32_e32 v164, vcc_lo, v164
	v_cmp_gt_i32_e32 vcc_lo, 0, v163
	v_and_b32_e32 v40, v40, v161
	v_ashrrev_i32_e32 v150, 31, v150
	v_xor_b32_e32 v161, s23, v165
	v_mad_u32_u24 v163, v162, 36, v116
	v_mul_u32_u24_e32 v162, 36, v162
	v_and_b32_e32 v40, v40, v164
	v_xor_b32_e32 v164, vcc_lo, v150
	ds_read_b32 v150, v163 offset:544
	v_add_nc_u32_e32 v162, v116, v162
	v_and_b32_e32 v40, v40, v161
	; wave barrier
	v_and_b32_e32 v40, v40, v164
	v_mbcnt_lo_u32_b32 v161, v40, 0
	v_cmp_ne_u32_e64 s23, 0, v40
	v_cmp_eq_u32_e32 vcc_lo, 0, v161
	s_and_b32 s24, s23, vcc_lo
	s_and_saveexec_b32 s23, s24
	s_cbranch_execz .LBB120_1074
; %bb.1073:                             ;   in Loop: Header=BB120_1040 Depth=2
	s_waitcnt lgkmcnt(0)
	v_bcnt_u32_b32 v40, v40, v150
	ds_write_b32 v162, v40 offset:544
.LBB120_1074:                           ;   in Loop: Header=BB120_1040 Depth=2
	s_or_b32 exec_lo, exec_lo, s23
	v_xor_b32_sdwa v40, v143, v93 dst_sel:BYTE_1 dst_unused:UNUSED_PAD src0_sel:DWORD src1_sel:DWORD
	v_xor_b32_e32 v144, -1, v144
	v_xor_b32_sdwa v145, v145, v93 dst_sel:BYTE_1 dst_unused:UNUSED_PAD src0_sel:DWORD src1_sel:DWORD
	; wave barrier
	v_or_b32_sdwa v143, v39, v40 dst_sel:DWORD dst_unused:UNUSED_PAD src0_sel:BYTE_0 src1_sel:DWORD
	v_or_b32_sdwa v39, v144, v145 dst_sel:WORD_1 dst_unused:UNUSED_PAD src0_sel:BYTE_0 src1_sel:DWORD
	v_or_b32_sdwa v144, v143, v39 dst_sel:DWORD dst_unused:UNUSED_PAD src0_sel:WORD_0 src1_sel:DWORD
	v_lshrrev_b32_sdwa v39, s41, v144 dst_sel:DWORD dst_unused:UNUSED_PAD src0_sel:DWORD src1_sel:BYTE_1
	v_and_b32_e32 v40, s62, v39
	v_and_b32_e32 v39, 1, v40
	v_lshlrev_b32_e32 v145, 30, v40
	v_lshlrev_b32_e32 v163, 29, v40
	;; [unrolled: 1-line block ×4, first 2 shown]
	v_add_co_u32 v39, s23, v39, -1
	v_cndmask_b32_e64 v164, 0, 1, s23
	v_not_b32_e32 v168, v145
	v_cmp_gt_i32_e64 s23, 0, v145
	v_not_b32_e32 v145, v163
	v_lshlrev_b32_e32 v167, 26, v40
	v_cmp_ne_u32_e32 vcc_lo, 0, v164
	v_ashrrev_i32_e32 v168, 31, v168
	v_lshlrev_b32_e32 v164, 25, v40
	v_ashrrev_i32_e32 v145, 31, v145
	v_xor_b32_e32 v39, vcc_lo, v39
	v_cmp_gt_i32_e32 vcc_lo, 0, v163
	v_not_b32_e32 v163, v165
	v_xor_b32_e32 v168, s23, v168
	v_cmp_gt_i32_e64 s23, 0, v165
	v_and_b32_e32 v39, exec_lo, v39
	v_not_b32_e32 v165, v166
	v_ashrrev_i32_e32 v163, 31, v163
	v_xor_b32_e32 v145, vcc_lo, v145
	v_cmp_gt_i32_e32 vcc_lo, 0, v166
	v_and_b32_e32 v39, v39, v168
	v_not_b32_e32 v166, v167
	v_ashrrev_i32_e32 v165, 31, v165
	v_xor_b32_e32 v163, s23, v163
	v_cmp_gt_i32_e64 s23, 0, v167
	v_and_b32_e32 v39, v39, v145
	v_not_b32_e32 v145, v164
	v_ashrrev_i32_e32 v166, 31, v166
	v_xor_b32_e32 v165, vcc_lo, v165
	v_cmp_gt_i32_e32 vcc_lo, 0, v164
	v_and_b32_e32 v39, v39, v163
	v_ashrrev_i32_e32 v145, 31, v145
	v_xor_b32_e32 v163, s23, v166
	v_mad_u32_u24 v164, v40, 36, v116
	v_mul_u32_u24_e32 v40, 36, v40
	v_and_b32_e32 v39, v39, v165
	v_xor_b32_e32 v165, vcc_lo, v145
	ds_read_b32 v145, v164 offset:544
	v_add_nc_u32_e32 v164, v116, v40
	v_and_b32_e32 v39, v39, v163
	; wave barrier
	v_and_b32_e32 v39, v39, v165
	v_mbcnt_lo_u32_b32 v163, v39, 0
	v_cmp_ne_u32_e64 s23, 0, v39
	v_cmp_eq_u32_e32 vcc_lo, 0, v163
	s_and_b32 s24, s23, vcc_lo
	s_and_saveexec_b32 s23, s24
	s_cbranch_execz .LBB120_1076
; %bb.1075:                             ;   in Loop: Header=BB120_1040 Depth=2
	s_waitcnt lgkmcnt(0)
	v_bcnt_u32_b32 v39, v39, v145
	ds_write_b32 v164, v39 offset:544
.LBB120_1076:                           ;   in Loop: Header=BB120_1040 Depth=2
	s_or_b32 exec_lo, exec_lo, s23
	v_lshrrev_b32_sdwa v39, s41, v144 dst_sel:DWORD dst_unused:UNUSED_PAD src0_sel:DWORD src1_sel:BYTE_2
	; wave barrier
	v_and_b32_e32 v40, s62, v39
	v_and_b32_e32 v39, 1, v40
	v_lshlrev_b32_e32 v165, 30, v40
	v_lshlrev_b32_e32 v166, 29, v40
	;; [unrolled: 1-line block ×4, first 2 shown]
	v_add_co_u32 v39, s23, v39, -1
	v_cndmask_b32_e64 v167, 0, 1, s23
	v_not_b32_e32 v171, v165
	v_cmp_gt_i32_e64 s23, 0, v165
	v_not_b32_e32 v165, v166
	v_lshlrev_b32_e32 v170, 26, v40
	v_cmp_ne_u32_e32 vcc_lo, 0, v167
	v_ashrrev_i32_e32 v171, 31, v171
	v_lshlrev_b32_e32 v167, 25, v40
	v_ashrrev_i32_e32 v165, 31, v165
	v_xor_b32_e32 v39, vcc_lo, v39
	v_cmp_gt_i32_e32 vcc_lo, 0, v166
	v_not_b32_e32 v166, v168
	v_xor_b32_e32 v171, s23, v171
	v_cmp_gt_i32_e64 s23, 0, v168
	v_and_b32_e32 v39, exec_lo, v39
	v_not_b32_e32 v168, v169
	v_ashrrev_i32_e32 v166, 31, v166
	v_xor_b32_e32 v165, vcc_lo, v165
	v_cmp_gt_i32_e32 vcc_lo, 0, v169
	v_and_b32_e32 v39, v39, v171
	v_not_b32_e32 v169, v170
	v_ashrrev_i32_e32 v168, 31, v168
	v_xor_b32_e32 v166, s23, v166
	v_cmp_gt_i32_e64 s23, 0, v170
	v_and_b32_e32 v39, v39, v165
	v_not_b32_e32 v165, v167
	v_ashrrev_i32_e32 v169, 31, v169
	v_xor_b32_e32 v168, vcc_lo, v168
	v_cmp_gt_i32_e32 vcc_lo, 0, v167
	v_and_b32_e32 v39, v39, v166
	v_ashrrev_i32_e32 v165, 31, v165
	v_xor_b32_e32 v166, s23, v169
	v_mad_u32_u24 v167, v40, 36, v116
	v_mul_u32_u24_e32 v40, 36, v40
	v_and_b32_e32 v39, v39, v168
	v_xor_b32_e32 v168, vcc_lo, v165
	ds_read_b32 v165, v167 offset:544
	v_and_b32_e32 v39, v39, v166
	; wave barrier
	v_and_b32_e32 v39, v39, v168
	v_add_nc_u32_e32 v168, v116, v40
	v_mbcnt_lo_u32_b32 v166, v39, 0
	v_cmp_ne_u32_e64 s23, 0, v39
	v_cmp_eq_u32_e32 vcc_lo, 0, v166
	s_and_b32 s24, s23, vcc_lo
	s_and_saveexec_b32 s23, s24
	s_cbranch_execz .LBB120_1078
; %bb.1077:                             ;   in Loop: Header=BB120_1040 Depth=2
	s_waitcnt lgkmcnt(0)
	v_bcnt_u32_b32 v39, v39, v165
	ds_write_b32 v168, v39 offset:544
.LBB120_1078:                           ;   in Loop: Header=BB120_1040 Depth=2
	s_or_b32 exec_lo, exec_lo, s23
	v_lshrrev_b32_e32 v167, 24, v144
	; wave barrier
	v_lshrrev_b32_e32 v39, s41, v167
	v_and_b32_e32 v40, s62, v39
	v_and_b32_e32 v39, 1, v40
	v_lshlrev_b32_e32 v169, 30, v40
	v_lshlrev_b32_e32 v170, 29, v40
	;; [unrolled: 1-line block ×4, first 2 shown]
	v_add_co_u32 v39, s23, v39, -1
	v_cndmask_b32_e64 v171, 0, 1, s23
	v_not_b32_e32 v175, v169
	v_cmp_gt_i32_e64 s23, 0, v169
	v_not_b32_e32 v169, v170
	v_lshlrev_b32_e32 v174, 26, v40
	v_cmp_ne_u32_e32 vcc_lo, 0, v171
	v_ashrrev_i32_e32 v175, 31, v175
	v_lshlrev_b32_e32 v171, 25, v40
	v_ashrrev_i32_e32 v169, 31, v169
	v_xor_b32_e32 v39, vcc_lo, v39
	v_cmp_gt_i32_e32 vcc_lo, 0, v170
	v_not_b32_e32 v170, v172
	v_xor_b32_e32 v175, s23, v175
	v_cmp_gt_i32_e64 s23, 0, v172
	v_and_b32_e32 v39, exec_lo, v39
	v_not_b32_e32 v172, v173
	v_ashrrev_i32_e32 v170, 31, v170
	v_xor_b32_e32 v169, vcc_lo, v169
	v_cmp_gt_i32_e32 vcc_lo, 0, v173
	v_and_b32_e32 v39, v39, v175
	v_not_b32_e32 v173, v174
	v_ashrrev_i32_e32 v172, 31, v172
	v_xor_b32_e32 v170, s23, v170
	v_cmp_gt_i32_e64 s23, 0, v174
	v_and_b32_e32 v39, v39, v169
	v_not_b32_e32 v169, v171
	v_ashrrev_i32_e32 v173, 31, v173
	v_xor_b32_e32 v172, vcc_lo, v172
	v_cmp_gt_i32_e32 vcc_lo, 0, v171
	v_and_b32_e32 v39, v39, v170
	v_ashrrev_i32_e32 v169, 31, v169
	v_xor_b32_e32 v170, s23, v173
	v_mad_u32_u24 v171, v40, 36, v116
	v_mul_u32_u24_e32 v40, 36, v40
	v_and_b32_e32 v39, v39, v172
	v_xor_b32_e32 v172, vcc_lo, v169
	ds_read_b32 v169, v171 offset:544
	v_add_nc_u32_e32 v171, v116, v40
	v_and_b32_e32 v39, v39, v170
	; wave barrier
	v_and_b32_e32 v39, v39, v172
	v_mbcnt_lo_u32_b32 v170, v39, 0
	v_cmp_ne_u32_e64 s23, 0, v39
	v_cmp_eq_u32_e32 vcc_lo, 0, v170
	s_and_b32 s24, s23, vcc_lo
	s_and_saveexec_b32 s23, s24
	s_cbranch_execz .LBB120_1080
; %bb.1079:                             ;   in Loop: Header=BB120_1040 Depth=2
	s_waitcnt lgkmcnt(0)
	v_bcnt_u32_b32 v39, v39, v169
	ds_write_b32 v171, v39 offset:544
.LBB120_1080:                           ;   in Loop: Header=BB120_1040 Depth=2
	s_or_b32 exec_lo, exec_lo, s23
	v_xor_b32_e32 v39, -1, v142
	; wave barrier
	v_and_b32_sdwa v40, v92, v39 dst_sel:DWORD dst_unused:UNUSED_PAD src0_sel:DWORD src1_sel:BYTE_0
	v_lshrrev_b32_e32 v40, s41, v40
	v_and_b32_e32 v173, s62, v40
	v_and_b32_e32 v40, 1, v173
	v_lshlrev_b32_e32 v142, 30, v173
	v_lshlrev_b32_e32 v172, 29, v173
	;; [unrolled: 1-line block ×4, first 2 shown]
	v_add_co_u32 v40, s23, v40, -1
	v_cndmask_b32_e64 v174, 0, 1, s23
	v_not_b32_e32 v178, v142
	v_cmp_gt_i32_e64 s23, 0, v142
	v_not_b32_e32 v142, v172
	v_lshlrev_b32_e32 v177, 26, v173
	v_cmp_ne_u32_e32 vcc_lo, 0, v174
	v_ashrrev_i32_e32 v178, 31, v178
	v_lshlrev_b32_e32 v174, 25, v173
	v_ashrrev_i32_e32 v142, 31, v142
	v_xor_b32_e32 v40, vcc_lo, v40
	v_cmp_gt_i32_e32 vcc_lo, 0, v172
	v_not_b32_e32 v172, v175
	v_xor_b32_e32 v178, s23, v178
	v_cmp_gt_i32_e64 s23, 0, v175
	v_and_b32_e32 v40, exec_lo, v40
	v_not_b32_e32 v175, v176
	v_ashrrev_i32_e32 v172, 31, v172
	v_xor_b32_e32 v142, vcc_lo, v142
	v_cmp_gt_i32_e32 vcc_lo, 0, v176
	v_and_b32_e32 v40, v40, v178
	v_not_b32_e32 v176, v177
	v_ashrrev_i32_e32 v175, 31, v175
	v_xor_b32_e32 v172, s23, v172
	v_cmp_gt_i32_e64 s23, 0, v177
	v_and_b32_e32 v40, v40, v142
	v_not_b32_e32 v142, v174
	v_ashrrev_i32_e32 v176, 31, v176
	v_xor_b32_e32 v175, vcc_lo, v175
	v_cmp_gt_i32_e32 vcc_lo, 0, v174
	v_and_b32_e32 v40, v40, v172
	v_ashrrev_i32_e32 v142, 31, v142
	v_xor_b32_e32 v172, s23, v176
	v_mad_u32_u24 v174, v173, 36, v116
	v_mul_u32_u24_e32 v173, 36, v173
	v_and_b32_e32 v40, v40, v175
	v_xor_b32_e32 v175, vcc_lo, v142
	ds_read_b32 v142, v174 offset:544
	v_add_nc_u32_e32 v173, v116, v173
	v_and_b32_e32 v40, v40, v172
	; wave barrier
	v_and_b32_e32 v40, v40, v175
	v_mbcnt_lo_u32_b32 v172, v40, 0
	v_cmp_ne_u32_e64 s23, 0, v40
	v_cmp_eq_u32_e32 vcc_lo, 0, v172
	s_and_b32 s24, s23, vcc_lo
	s_and_saveexec_b32 s23, s24
	s_cbranch_execz .LBB120_1082
; %bb.1081:                             ;   in Loop: Header=BB120_1040 Depth=2
	s_waitcnt lgkmcnt(0)
	v_bcnt_u32_b32 v40, v40, v142
	ds_write_b32 v173, v40 offset:544
.LBB120_1082:                           ;   in Loop: Header=BB120_1040 Depth=2
	s_or_b32 exec_lo, exec_lo, s23
	v_xor_b32_sdwa v40, v139, v93 dst_sel:BYTE_1 dst_unused:UNUSED_PAD src0_sel:DWORD src1_sel:DWORD
	v_xor_b32_e32 v140, -1, v140
	v_xor_b32_sdwa v141, v141, v93 dst_sel:BYTE_1 dst_unused:UNUSED_PAD src0_sel:DWORD src1_sel:DWORD
	; wave barrier
	v_or_b32_sdwa v139, v39, v40 dst_sel:DWORD dst_unused:UNUSED_PAD src0_sel:BYTE_0 src1_sel:DWORD
	v_or_b32_sdwa v39, v140, v141 dst_sel:WORD_1 dst_unused:UNUSED_PAD src0_sel:BYTE_0 src1_sel:DWORD
	v_or_b32_sdwa v140, v139, v39 dst_sel:DWORD dst_unused:UNUSED_PAD src0_sel:WORD_0 src1_sel:DWORD
	v_lshrrev_b32_sdwa v39, s41, v140 dst_sel:DWORD dst_unused:UNUSED_PAD src0_sel:DWORD src1_sel:BYTE_1
	v_and_b32_e32 v40, s62, v39
	v_and_b32_e32 v39, 1, v40
	v_lshlrev_b32_e32 v141, 30, v40
	v_lshlrev_b32_e32 v174, 29, v40
	v_lshlrev_b32_e32 v176, 28, v40
	v_lshlrev_b32_e32 v177, 27, v40
	v_add_co_u32 v39, s23, v39, -1
	v_cndmask_b32_e64 v175, 0, 1, s23
	v_not_b32_e32 v179, v141
	v_cmp_gt_i32_e64 s23, 0, v141
	v_not_b32_e32 v141, v174
	v_lshlrev_b32_e32 v178, 26, v40
	v_cmp_ne_u32_e32 vcc_lo, 0, v175
	v_ashrrev_i32_e32 v179, 31, v179
	v_lshlrev_b32_e32 v175, 25, v40
	v_ashrrev_i32_e32 v141, 31, v141
	v_xor_b32_e32 v39, vcc_lo, v39
	v_cmp_gt_i32_e32 vcc_lo, 0, v174
	v_not_b32_e32 v174, v176
	v_xor_b32_e32 v179, s23, v179
	v_cmp_gt_i32_e64 s23, 0, v176
	v_and_b32_e32 v39, exec_lo, v39
	v_not_b32_e32 v176, v177
	v_ashrrev_i32_e32 v174, 31, v174
	v_xor_b32_e32 v141, vcc_lo, v141
	v_cmp_gt_i32_e32 vcc_lo, 0, v177
	v_and_b32_e32 v39, v39, v179
	v_not_b32_e32 v177, v178
	v_ashrrev_i32_e32 v176, 31, v176
	v_xor_b32_e32 v174, s23, v174
	v_cmp_gt_i32_e64 s23, 0, v178
	v_and_b32_e32 v39, v39, v141
	v_not_b32_e32 v141, v175
	v_ashrrev_i32_e32 v177, 31, v177
	v_xor_b32_e32 v176, vcc_lo, v176
	v_cmp_gt_i32_e32 vcc_lo, 0, v175
	v_and_b32_e32 v39, v39, v174
	v_ashrrev_i32_e32 v141, 31, v141
	v_xor_b32_e32 v174, s23, v177
	v_mad_u32_u24 v175, v40, 36, v116
	v_mul_u32_u24_e32 v40, 36, v40
	v_and_b32_e32 v39, v39, v176
	v_xor_b32_e32 v176, vcc_lo, v141
	ds_read_b32 v141, v175 offset:544
	v_add_nc_u32_e32 v175, v116, v40
	v_and_b32_e32 v39, v39, v174
	; wave barrier
	v_and_b32_e32 v39, v39, v176
	v_mbcnt_lo_u32_b32 v174, v39, 0
	v_cmp_ne_u32_e64 s23, 0, v39
	v_cmp_eq_u32_e32 vcc_lo, 0, v174
	s_and_b32 s24, s23, vcc_lo
	s_and_saveexec_b32 s23, s24
	s_cbranch_execz .LBB120_1084
; %bb.1083:                             ;   in Loop: Header=BB120_1040 Depth=2
	s_waitcnt lgkmcnt(0)
	v_bcnt_u32_b32 v39, v39, v141
	ds_write_b32 v175, v39 offset:544
.LBB120_1084:                           ;   in Loop: Header=BB120_1040 Depth=2
	s_or_b32 exec_lo, exec_lo, s23
	v_lshrrev_b32_sdwa v39, s41, v140 dst_sel:DWORD dst_unused:UNUSED_PAD src0_sel:DWORD src1_sel:BYTE_2
	; wave barrier
	v_and_b32_e32 v40, s62, v39
	v_and_b32_e32 v39, 1, v40
	v_lshlrev_b32_e32 v176, 30, v40
	v_lshlrev_b32_e32 v177, 29, v40
	;; [unrolled: 1-line block ×4, first 2 shown]
	v_add_co_u32 v39, s23, v39, -1
	v_cndmask_b32_e64 v178, 0, 1, s23
	v_not_b32_e32 v182, v176
	v_cmp_gt_i32_e64 s23, 0, v176
	v_not_b32_e32 v176, v177
	v_lshlrev_b32_e32 v181, 26, v40
	v_cmp_ne_u32_e32 vcc_lo, 0, v178
	v_ashrrev_i32_e32 v182, 31, v182
	v_lshlrev_b32_e32 v178, 25, v40
	v_ashrrev_i32_e32 v176, 31, v176
	v_xor_b32_e32 v39, vcc_lo, v39
	v_cmp_gt_i32_e32 vcc_lo, 0, v177
	v_not_b32_e32 v177, v179
	v_xor_b32_e32 v182, s23, v182
	v_cmp_gt_i32_e64 s23, 0, v179
	v_and_b32_e32 v39, exec_lo, v39
	v_not_b32_e32 v179, v180
	v_ashrrev_i32_e32 v177, 31, v177
	v_xor_b32_e32 v176, vcc_lo, v176
	v_cmp_gt_i32_e32 vcc_lo, 0, v180
	v_and_b32_e32 v39, v39, v182
	v_not_b32_e32 v180, v181
	v_ashrrev_i32_e32 v179, 31, v179
	v_xor_b32_e32 v177, s23, v177
	v_cmp_gt_i32_e64 s23, 0, v181
	v_and_b32_e32 v39, v39, v176
	v_not_b32_e32 v176, v178
	v_ashrrev_i32_e32 v180, 31, v180
	v_xor_b32_e32 v179, vcc_lo, v179
	v_cmp_gt_i32_e32 vcc_lo, 0, v178
	v_and_b32_e32 v39, v39, v177
	v_ashrrev_i32_e32 v176, 31, v176
	v_xor_b32_e32 v177, s23, v180
	v_mad_u32_u24 v178, v40, 36, v116
	v_mul_u32_u24_e32 v40, 36, v40
	v_and_b32_e32 v39, v39, v179
	v_xor_b32_e32 v179, vcc_lo, v176
	ds_read_b32 v176, v178 offset:544
	v_and_b32_e32 v39, v39, v177
	; wave barrier
	v_and_b32_e32 v39, v39, v179
	v_add_nc_u32_e32 v179, v116, v40
	v_mbcnt_lo_u32_b32 v177, v39, 0
	v_cmp_ne_u32_e64 s23, 0, v39
	v_cmp_eq_u32_e32 vcc_lo, 0, v177
	s_and_b32 s24, s23, vcc_lo
	s_and_saveexec_b32 s23, s24
	s_cbranch_execz .LBB120_1086
; %bb.1085:                             ;   in Loop: Header=BB120_1040 Depth=2
	s_waitcnt lgkmcnt(0)
	v_bcnt_u32_b32 v39, v39, v176
	ds_write_b32 v179, v39 offset:544
.LBB120_1086:                           ;   in Loop: Header=BB120_1040 Depth=2
	s_or_b32 exec_lo, exec_lo, s23
	v_lshrrev_b32_e32 v178, 24, v140
	; wave barrier
	v_lshrrev_b32_e32 v39, s41, v178
	v_and_b32_e32 v40, s62, v39
	v_and_b32_e32 v39, 1, v40
	v_lshlrev_b32_e32 v180, 30, v40
	v_lshlrev_b32_e32 v181, 29, v40
	;; [unrolled: 1-line block ×4, first 2 shown]
	v_add_co_u32 v39, s23, v39, -1
	v_cndmask_b32_e64 v182, 0, 1, s23
	v_not_b32_e32 v186, v180
	v_cmp_gt_i32_e64 s23, 0, v180
	v_not_b32_e32 v180, v181
	v_lshlrev_b32_e32 v185, 26, v40
	v_cmp_ne_u32_e32 vcc_lo, 0, v182
	v_ashrrev_i32_e32 v186, 31, v186
	v_lshlrev_b32_e32 v182, 25, v40
	v_ashrrev_i32_e32 v180, 31, v180
	v_xor_b32_e32 v39, vcc_lo, v39
	v_cmp_gt_i32_e32 vcc_lo, 0, v181
	v_not_b32_e32 v181, v183
	v_xor_b32_e32 v186, s23, v186
	v_cmp_gt_i32_e64 s23, 0, v183
	v_and_b32_e32 v39, exec_lo, v39
	v_not_b32_e32 v183, v184
	v_ashrrev_i32_e32 v181, 31, v181
	v_xor_b32_e32 v180, vcc_lo, v180
	v_cmp_gt_i32_e32 vcc_lo, 0, v184
	v_and_b32_e32 v39, v39, v186
	v_not_b32_e32 v184, v185
	v_ashrrev_i32_e32 v183, 31, v183
	v_xor_b32_e32 v181, s23, v181
	v_cmp_gt_i32_e64 s23, 0, v185
	v_and_b32_e32 v39, v39, v180
	v_not_b32_e32 v180, v182
	v_ashrrev_i32_e32 v184, 31, v184
	v_xor_b32_e32 v183, vcc_lo, v183
	v_cmp_gt_i32_e32 vcc_lo, 0, v182
	v_and_b32_e32 v39, v39, v181
	v_ashrrev_i32_e32 v180, 31, v180
	v_xor_b32_e32 v181, s23, v184
	v_mad_u32_u24 v182, v40, 36, v116
	v_mul_u32_u24_e32 v40, 36, v40
	v_and_b32_e32 v39, v39, v183
	v_xor_b32_e32 v183, vcc_lo, v180
	ds_read_b32 v180, v182 offset:544
	v_add_nc_u32_e32 v182, v116, v40
	v_and_b32_e32 v39, v39, v181
	; wave barrier
	v_and_b32_e32 v39, v39, v183
	v_mbcnt_lo_u32_b32 v181, v39, 0
	v_cmp_ne_u32_e64 s23, 0, v39
	v_cmp_eq_u32_e32 vcc_lo, 0, v181
	s_and_b32 s24, s23, vcc_lo
	s_and_saveexec_b32 s23, s24
	s_cbranch_execz .LBB120_1088
; %bb.1087:                             ;   in Loop: Header=BB120_1040 Depth=2
	s_waitcnt lgkmcnt(0)
	v_bcnt_u32_b32 v39, v39, v180
	ds_write_b32 v182, v39 offset:544
.LBB120_1088:                           ;   in Loop: Header=BB120_1040 Depth=2
	s_or_b32 exec_lo, exec_lo, s23
	v_xor_b32_e32 v39, -1, v137
	; wave barrier
	v_and_b32_sdwa v40, v92, v39 dst_sel:DWORD dst_unused:UNUSED_PAD src0_sel:DWORD src1_sel:BYTE_0
	v_lshrrev_b32_e32 v40, s41, v40
	v_and_b32_e32 v184, s62, v40
	v_and_b32_e32 v40, 1, v184
	v_lshlrev_b32_e32 v137, 30, v184
	v_lshlrev_b32_e32 v183, 29, v184
	;; [unrolled: 1-line block ×4, first 2 shown]
	v_add_co_u32 v40, s23, v40, -1
	v_cndmask_b32_e64 v185, 0, 1, s23
	v_not_b32_e32 v189, v137
	v_cmp_gt_i32_e64 s23, 0, v137
	v_not_b32_e32 v137, v183
	v_lshlrev_b32_e32 v188, 26, v184
	v_cmp_ne_u32_e32 vcc_lo, 0, v185
	v_ashrrev_i32_e32 v189, 31, v189
	v_lshlrev_b32_e32 v185, 25, v184
	v_ashrrev_i32_e32 v137, 31, v137
	v_xor_b32_e32 v40, vcc_lo, v40
	v_cmp_gt_i32_e32 vcc_lo, 0, v183
	v_not_b32_e32 v183, v186
	v_xor_b32_e32 v189, s23, v189
	v_cmp_gt_i32_e64 s23, 0, v186
	v_and_b32_e32 v40, exec_lo, v40
	v_not_b32_e32 v186, v187
	v_ashrrev_i32_e32 v183, 31, v183
	v_xor_b32_e32 v137, vcc_lo, v137
	v_cmp_gt_i32_e32 vcc_lo, 0, v187
	v_and_b32_e32 v40, v40, v189
	v_not_b32_e32 v187, v188
	v_ashrrev_i32_e32 v186, 31, v186
	v_xor_b32_e32 v183, s23, v183
	v_cmp_gt_i32_e64 s23, 0, v188
	v_and_b32_e32 v40, v40, v137
	v_not_b32_e32 v137, v185
	v_ashrrev_i32_e32 v187, 31, v187
	v_xor_b32_e32 v186, vcc_lo, v186
	v_cmp_gt_i32_e32 vcc_lo, 0, v185
	v_and_b32_e32 v40, v40, v183
	v_ashrrev_i32_e32 v137, 31, v137
	v_xor_b32_e32 v183, s23, v187
	v_mad_u32_u24 v185, v184, 36, v116
	v_mul_u32_u24_e32 v184, 36, v184
	v_and_b32_e32 v40, v40, v186
	v_xor_b32_e32 v186, vcc_lo, v137
	ds_read_b32 v137, v185 offset:544
	v_add_nc_u32_e32 v185, v116, v184
	v_and_b32_e32 v40, v40, v183
	; wave barrier
	v_and_b32_e32 v40, v40, v186
	v_mbcnt_lo_u32_b32 v183, v40, 0
	v_cmp_ne_u32_e64 s23, 0, v40
	v_cmp_eq_u32_e32 vcc_lo, 0, v183
	s_and_b32 s24, s23, vcc_lo
	s_and_saveexec_b32 s23, s24
	s_cbranch_execz .LBB120_1090
; %bb.1089:                             ;   in Loop: Header=BB120_1040 Depth=2
	s_waitcnt lgkmcnt(0)
	v_bcnt_u32_b32 v40, v40, v137
	ds_write_b32 v185, v40 offset:544
.LBB120_1090:                           ;   in Loop: Header=BB120_1040 Depth=2
	s_or_b32 exec_lo, exec_lo, s23
	v_xor_b32_sdwa v3, v3, v93 dst_sel:BYTE_1 dst_unused:UNUSED_PAD src0_sel:DWORD src1_sel:DWORD
	v_xor_b32_e32 v40, -1, v41
	v_xor_b32_sdwa v41, v42, v93 dst_sel:BYTE_1 dst_unused:UNUSED_PAD src0_sel:DWORD src1_sel:DWORD
	; wave barrier
	v_or_b32_sdwa v184, v39, v3 dst_sel:DWORD dst_unused:UNUSED_PAD src0_sel:BYTE_0 src1_sel:DWORD
	v_or_b32_sdwa v3, v40, v41 dst_sel:WORD_1 dst_unused:UNUSED_PAD src0_sel:BYTE_0 src1_sel:DWORD
	v_or_b32_sdwa v3, v184, v3 dst_sel:DWORD dst_unused:UNUSED_PAD src0_sel:WORD_0 src1_sel:DWORD
	v_lshrrev_b32_sdwa v39, s41, v3 dst_sel:DWORD dst_unused:UNUSED_PAD src0_sel:DWORD src1_sel:BYTE_1
	v_and_b32_e32 v40, s62, v39
	v_and_b32_e32 v39, 1, v40
	v_lshlrev_b32_e32 v41, 30, v40
	v_lshlrev_b32_e32 v42, 29, v40
	;; [unrolled: 1-line block ×4, first 2 shown]
	v_add_co_u32 v39, s23, v39, -1
	v_cndmask_b32_e64 v186, 0, 1, s23
	v_not_b32_e32 v190, v41
	v_cmp_gt_i32_e64 s23, 0, v41
	v_not_b32_e32 v41, v42
	v_lshlrev_b32_e32 v189, 26, v40
	v_cmp_ne_u32_e32 vcc_lo, 0, v186
	v_ashrrev_i32_e32 v190, 31, v190
	v_lshlrev_b32_e32 v186, 25, v40
	v_ashrrev_i32_e32 v41, 31, v41
	v_xor_b32_e32 v39, vcc_lo, v39
	v_cmp_gt_i32_e32 vcc_lo, 0, v42
	v_not_b32_e32 v42, v187
	v_xor_b32_e32 v190, s23, v190
	v_cmp_gt_i32_e64 s23, 0, v187
	v_and_b32_e32 v39, exec_lo, v39
	v_not_b32_e32 v187, v188
	v_ashrrev_i32_e32 v42, 31, v42
	v_xor_b32_e32 v41, vcc_lo, v41
	v_cmp_gt_i32_e32 vcc_lo, 0, v188
	v_and_b32_e32 v39, v39, v190
	v_not_b32_e32 v188, v189
	v_ashrrev_i32_e32 v187, 31, v187
	v_xor_b32_e32 v42, s23, v42
	v_cmp_gt_i32_e64 s23, 0, v189
	v_and_b32_e32 v39, v39, v41
	v_not_b32_e32 v41, v186
	v_ashrrev_i32_e32 v188, 31, v188
	v_xor_b32_e32 v187, vcc_lo, v187
	v_cmp_gt_i32_e32 vcc_lo, 0, v186
	v_and_b32_e32 v39, v39, v42
	v_ashrrev_i32_e32 v41, 31, v41
	v_xor_b32_e32 v42, s23, v188
	v_mad_u32_u24 v186, v40, 36, v116
	v_mul_u32_u24_e32 v40, 36, v40
	v_and_b32_e32 v39, v39, v187
	v_xor_b32_e32 v41, vcc_lo, v41
	ds_read_b32 v186, v186 offset:544
	v_add_nc_u32_e32 v188, v116, v40
	v_and_b32_e32 v39, v39, v42
	; wave barrier
	v_and_b32_e32 v39, v39, v41
	v_mbcnt_lo_u32_b32 v187, v39, 0
	v_cmp_ne_u32_e64 s23, 0, v39
	v_cmp_eq_u32_e32 vcc_lo, 0, v187
	s_and_b32 s24, s23, vcc_lo
	s_and_saveexec_b32 s23, s24
	s_cbranch_execz .LBB120_1092
; %bb.1091:                             ;   in Loop: Header=BB120_1040 Depth=2
	s_waitcnt lgkmcnt(0)
	v_bcnt_u32_b32 v39, v39, v186
	ds_write_b32 v188, v39 offset:544
.LBB120_1092:                           ;   in Loop: Header=BB120_1040 Depth=2
	s_or_b32 exec_lo, exec_lo, s23
	v_lshrrev_b32_sdwa v39, s41, v3 dst_sel:DWORD dst_unused:UNUSED_PAD src0_sel:DWORD src1_sel:BYTE_2
	; wave barrier
	v_and_b32_e32 v40, s62, v39
	v_and_b32_e32 v39, 1, v40
	v_lshlrev_b32_e32 v41, 30, v40
	v_lshlrev_b32_e32 v42, 29, v40
	;; [unrolled: 1-line block ×4, first 2 shown]
	v_add_co_u32 v39, s23, v39, -1
	v_cndmask_b32_e64 v189, 0, 1, s23
	v_not_b32_e32 v193, v41
	v_cmp_gt_i32_e64 s23, 0, v41
	v_not_b32_e32 v41, v42
	v_lshlrev_b32_e32 v192, 26, v40
	v_cmp_ne_u32_e32 vcc_lo, 0, v189
	v_ashrrev_i32_e32 v193, 31, v193
	v_lshlrev_b32_e32 v189, 25, v40
	v_ashrrev_i32_e32 v41, 31, v41
	v_xor_b32_e32 v39, vcc_lo, v39
	v_cmp_gt_i32_e32 vcc_lo, 0, v42
	v_not_b32_e32 v42, v190
	v_xor_b32_e32 v193, s23, v193
	v_cmp_gt_i32_e64 s23, 0, v190
	v_and_b32_e32 v39, exec_lo, v39
	v_not_b32_e32 v190, v191
	v_ashrrev_i32_e32 v42, 31, v42
	v_xor_b32_e32 v41, vcc_lo, v41
	v_cmp_gt_i32_e32 vcc_lo, 0, v191
	v_and_b32_e32 v39, v39, v193
	v_not_b32_e32 v191, v192
	v_ashrrev_i32_e32 v190, 31, v190
	v_xor_b32_e32 v42, s23, v42
	v_cmp_gt_i32_e64 s23, 0, v192
	v_and_b32_e32 v39, v39, v41
	v_not_b32_e32 v41, v189
	v_ashrrev_i32_e32 v191, 31, v191
	v_xor_b32_e32 v190, vcc_lo, v190
	v_cmp_gt_i32_e32 vcc_lo, 0, v189
	v_and_b32_e32 v39, v39, v42
	v_ashrrev_i32_e32 v41, 31, v41
	v_xor_b32_e32 v42, s23, v191
	v_mad_u32_u24 v189, v40, 36, v116
	v_mul_u32_u24_e32 v40, 36, v40
	v_and_b32_e32 v39, v39, v190
	v_xor_b32_e32 v41, vcc_lo, v41
	ds_read_b32 v189, v189 offset:544
	v_add_nc_u32_e32 v192, v116, v40
	v_and_b32_e32 v39, v39, v42
	; wave barrier
	v_and_b32_e32 v39, v39, v41
	v_mbcnt_lo_u32_b32 v190, v39, 0
	v_cmp_ne_u32_e64 s23, 0, v39
	v_cmp_eq_u32_e32 vcc_lo, 0, v190
	s_and_b32 s24, s23, vcc_lo
	s_and_saveexec_b32 s23, s24
	s_cbranch_execz .LBB120_1094
; %bb.1093:                             ;   in Loop: Header=BB120_1040 Depth=2
	s_waitcnt lgkmcnt(0)
	v_bcnt_u32_b32 v39, v39, v189
	ds_write_b32 v192, v39 offset:544
.LBB120_1094:                           ;   in Loop: Header=BB120_1040 Depth=2
	s_or_b32 exec_lo, exec_lo, s23
	v_lshrrev_b32_e32 v191, 24, v3
	; wave barrier
	v_lshrrev_b32_e32 v39, s41, v191
	v_and_b32_e32 v40, s62, v39
	v_and_b32_e32 v39, 1, v40
	v_lshlrev_b32_e32 v41, 30, v40
	v_lshlrev_b32_e32 v42, 29, v40
	;; [unrolled: 1-line block ×4, first 2 shown]
	v_add_co_u32 v39, s23, v39, -1
	v_cndmask_b32_e64 v193, 0, 1, s23
	v_not_b32_e32 v197, v41
	v_cmp_gt_i32_e64 s23, 0, v41
	v_not_b32_e32 v41, v42
	v_lshlrev_b32_e32 v196, 26, v40
	v_cmp_ne_u32_e32 vcc_lo, 0, v193
	v_ashrrev_i32_e32 v197, 31, v197
	v_lshlrev_b32_e32 v193, 25, v40
	v_ashrrev_i32_e32 v41, 31, v41
	v_xor_b32_e32 v39, vcc_lo, v39
	v_cmp_gt_i32_e32 vcc_lo, 0, v42
	v_not_b32_e32 v42, v194
	v_xor_b32_e32 v197, s23, v197
	v_cmp_gt_i32_e64 s23, 0, v194
	v_and_b32_e32 v39, exec_lo, v39
	v_not_b32_e32 v194, v195
	v_ashrrev_i32_e32 v42, 31, v42
	v_xor_b32_e32 v41, vcc_lo, v41
	v_cmp_gt_i32_e32 vcc_lo, 0, v195
	v_and_b32_e32 v39, v39, v197
	v_not_b32_e32 v195, v196
	v_ashrrev_i32_e32 v194, 31, v194
	v_xor_b32_e32 v42, s23, v42
	v_cmp_gt_i32_e64 s23, 0, v196
	v_and_b32_e32 v39, v39, v41
	v_not_b32_e32 v41, v193
	v_ashrrev_i32_e32 v195, 31, v195
	v_xor_b32_e32 v194, vcc_lo, v194
	v_cmp_gt_i32_e32 vcc_lo, 0, v193
	v_and_b32_e32 v39, v39, v42
	v_ashrrev_i32_e32 v41, 31, v41
	v_xor_b32_e32 v42, s23, v195
	v_mad_u32_u24 v193, v40, 36, v116
	v_mul_u32_u24_e32 v40, 36, v40
	v_and_b32_e32 v39, v39, v194
	v_xor_b32_e32 v41, vcc_lo, v41
	ds_read_b32 v193, v193 offset:544
	v_add_nc_u32_e32 v195, v116, v40
	v_and_b32_e32 v39, v39, v42
	; wave barrier
	v_and_b32_e32 v39, v39, v41
	v_mbcnt_lo_u32_b32 v194, v39, 0
	v_cmp_ne_u32_e64 s23, 0, v39
	v_cmp_eq_u32_e32 vcc_lo, 0, v194
	s_and_b32 s24, s23, vcc_lo
	s_and_saveexec_b32 s23, s24
	s_cbranch_execz .LBB120_1096
; %bb.1095:                             ;   in Loop: Header=BB120_1040 Depth=2
	s_waitcnt lgkmcnt(0)
	v_bcnt_u32_b32 v39, v39, v193
	ds_write_b32 v195, v39 offset:544
.LBB120_1096:                           ;   in Loop: Header=BB120_1040 Depth=2
	s_or_b32 exec_lo, exec_lo, s23
	v_xor_b32_e32 v129, -1, v129
	; wave barrier
	v_lshrrev_b32_sdwa v39, s41, v129 dst_sel:DWORD dst_unused:UNUSED_PAD src0_sel:DWORD src1_sel:BYTE_0
	v_and_b32_e32 v40, s62, v39
	v_and_b32_e32 v39, 1, v40
	v_lshlrev_b32_e32 v41, 30, v40
	v_lshlrev_b32_e32 v42, 29, v40
	;; [unrolled: 1-line block ×4, first 2 shown]
	v_add_co_u32 v39, s23, v39, -1
	v_cndmask_b32_e64 v196, 0, 1, s23
	v_not_b32_e32 v200, v41
	v_cmp_gt_i32_e64 s23, 0, v41
	v_not_b32_e32 v41, v42
	v_lshlrev_b32_e32 v199, 26, v40
	v_cmp_ne_u32_e32 vcc_lo, 0, v196
	v_ashrrev_i32_e32 v200, 31, v200
	v_lshlrev_b32_e32 v196, 25, v40
	v_ashrrev_i32_e32 v41, 31, v41
	v_xor_b32_e32 v39, vcc_lo, v39
	v_cmp_gt_i32_e32 vcc_lo, 0, v42
	v_not_b32_e32 v42, v197
	v_xor_b32_e32 v200, s23, v200
	v_cmp_gt_i32_e64 s23, 0, v197
	v_and_b32_e32 v39, exec_lo, v39
	v_not_b32_e32 v197, v198
	v_ashrrev_i32_e32 v42, 31, v42
	v_xor_b32_e32 v41, vcc_lo, v41
	v_cmp_gt_i32_e32 vcc_lo, 0, v198
	v_and_b32_e32 v39, v39, v200
	v_not_b32_e32 v198, v199
	v_ashrrev_i32_e32 v197, 31, v197
	v_xor_b32_e32 v42, s23, v42
	v_cmp_gt_i32_e64 s23, 0, v199
	v_and_b32_e32 v39, v39, v41
	v_not_b32_e32 v41, v196
	v_ashrrev_i32_e32 v198, 31, v198
	v_xor_b32_e32 v197, vcc_lo, v197
	v_cmp_gt_i32_e32 vcc_lo, 0, v196
	v_and_b32_e32 v39, v39, v42
	v_ashrrev_i32_e32 v41, 31, v41
	v_xor_b32_e32 v42, s23, v198
	v_mad_u32_u24 v196, v40, 36, v116
	v_mul_u32_u24_e32 v40, 36, v40
	v_and_b32_e32 v39, v39, v197
	v_xor_b32_e32 v41, vcc_lo, v41
	ds_read_b32 v196, v196 offset:544
	v_add_nc_u32_e32 v198, v116, v40
	v_and_b32_e32 v39, v39, v42
	; wave barrier
	v_and_b32_e32 v39, v39, v41
	v_mbcnt_lo_u32_b32 v197, v39, 0
	v_cmp_ne_u32_e64 s23, 0, v39
	v_cmp_eq_u32_e32 vcc_lo, 0, v197
	s_and_b32 s24, s23, vcc_lo
	s_and_saveexec_b32 s23, s24
	s_cbranch_execz .LBB120_1098
; %bb.1097:                             ;   in Loop: Header=BB120_1040 Depth=2
	s_waitcnt lgkmcnt(0)
	v_bcnt_u32_b32 v39, v39, v196
	ds_write_b32 v198, v39 offset:544
.LBB120_1098:                           ;   in Loop: Header=BB120_1040 Depth=2
	s_or_b32 exec_lo, exec_lo, s23
	; wave barrier
	s_waitcnt lgkmcnt(0)
	s_barrier
	buffer_gl0_inv
	ds_read2_b32 v[41:42], v69 offset0:136 offset1:137
	ds_read2_b32 v[39:40], v69 offset0:138 offset1:139
	ds_read_b32 v199, v69 offset:560
	s_waitcnt lgkmcnt(1)
	v_add3_u32 v200, v42, v41, v39
	s_waitcnt lgkmcnt(0)
	v_add3_u32 v199, v200, v40, v199
	v_mov_b32_dpp v200, v199 row_shr:1 row_mask:0xf bank_mask:0xf
	v_cndmask_b32_e64 v200, v200, 0, s5
	v_add_nc_u32_e32 v199, v200, v199
	v_mov_b32_dpp v200, v199 row_shr:2 row_mask:0xf bank_mask:0xf
	v_cndmask_b32_e64 v200, 0, v200, s15
	v_add_nc_u32_e32 v199, v199, v200
	;; [unrolled: 3-line block ×4, first 2 shown]
	ds_swizzle_b32 v200, v199 offset:swizzle(BROADCAST,32,15)
	s_waitcnt lgkmcnt(0)
	v_cndmask_b32_e64 v200, v200, 0, s18
	v_add_nc_u32_e32 v199, v199, v200
	s_and_saveexec_b32 s23, s4
; %bb.1099:                             ;   in Loop: Header=BB120_1040 Depth=2
	ds_write_b32 v62, v199 offset:512
; %bb.1100:                             ;   in Loop: Header=BB120_1040 Depth=2
	s_or_b32 exec_lo, exec_lo, s23
	s_waitcnt lgkmcnt(0)
	s_barrier
	buffer_gl0_inv
	s_and_saveexec_b32 s23, s12
	s_cbranch_execz .LBB120_1102
; %bb.1101:                             ;   in Loop: Header=BB120_1040 Depth=2
	ds_read_b32 v200, v70 offset:512
	s_waitcnt lgkmcnt(0)
	v_mov_b32_dpp v201, v200 row_shr:1 row_mask:0xf bank_mask:0xf
	v_cndmask_b32_e64 v201, v201, 0, s20
	v_add_nc_u32_e32 v200, v201, v200
	v_mov_b32_dpp v201, v200 row_shr:2 row_mask:0xf bank_mask:0xf
	v_cndmask_b32_e64 v201, 0, v201, s21
	v_add_nc_u32_e32 v200, v200, v201
	;; [unrolled: 3-line block ×3, first 2 shown]
	ds_write_b32 v70, v200 offset:512
.LBB120_1102:                           ;   in Loop: Header=BB120_1040 Depth=2
	s_or_b32 exec_lo, exec_lo, s23
	v_mov_b32_e32 v200, 0
	s_waitcnt lgkmcnt(0)
	s_barrier
	buffer_gl0_inv
	s_and_saveexec_b32 s23, s11
; %bb.1103:                             ;   in Loop: Header=BB120_1040 Depth=2
	ds_read_b32 v200, v62 offset:508
; %bb.1104:                             ;   in Loop: Header=BB120_1040 Depth=2
	s_or_b32 exec_lo, exec_lo, s23
	s_waitcnt lgkmcnt(0)
	v_add_nc_u32_e32 v199, v200, v199
	ds_bpermute_b32 v199, v94, v199
	s_waitcnt lgkmcnt(0)
	v_cndmask_b32_e64 v199, v199, v200, s19
	v_cndmask_b32_e64 v199, v199, 0, s13
	v_add_nc_u32_e32 v41, v199, v41
	v_add_nc_u32_e32 v42, v41, v42
	;; [unrolled: 1-line block ×4, first 2 shown]
	ds_write2_b32 v69, v199, v41 offset0:136 offset1:137
	ds_write2_b32 v69, v42, v39 offset0:138 offset1:139
	ds_write_b32 v69, v40 offset:560
	s_waitcnt lgkmcnt(0)
	s_barrier
	buffer_gl0_inv
	ds_read_b32 v39, v149 offset:544
	ds_read_b32 v40, v153 offset:544
	;; [unrolled: 1-line block ×17, first 2 shown]
	s_and_saveexec_b32 s23, s8
	s_cbranch_execz .LBB120_1108
; %bb.1105:                             ;   in Loop: Header=BB120_1040 Depth=2
	v_add_nc_u32_e32 v135, v70, v72
	v_mov_b32_e32 v136, 0x1100
	ds_read_b32 v135, v135 offset:544
	s_and_saveexec_b32 s24, s14
; %bb.1106:                             ;   in Loop: Header=BB120_1040 Depth=2
	ds_read_b32 v136, v71 offset:544
; %bb.1107:                             ;   in Loop: Header=BB120_1040 Depth=2
	s_or_b32 exec_lo, exec_lo, s24
	s_waitcnt lgkmcnt(0)
	v_sub_nc_u32_e32 v136, v136, v135
.LBB120_1108:                           ;   in Loop: Header=BB120_1040 Depth=2
	s_or_b32 exec_lo, exec_lo, s23
	v_lshrrev_b32_e32 v203, 8, v148
	v_lshrrev_b32_e32 v204, 16, v148
	;; [unrolled: 1-line block ×8, first 2 shown]
	s_waitcnt lgkmcnt(0)
	s_barrier
	buffer_gl0_inv
	s_and_saveexec_b32 s23, s8
	s_cbranch_execz .LBB120_1110
; %bb.1109:                             ;   in Loop: Header=BB120_1040 Depth=2
	ds_read_b32 v3, v43
	s_waitcnt lgkmcnt(0)
	v_sub_nc_u32_e32 v3, v3, v135
	ds_write_b32 v43, v3
.LBB120_1110:                           ;   in Loop: Header=BB120_1040 Depth=2
	s_or_b32 exec_lo, exec_lo, s23
	v_add_nc_u32_e32 v157, v39, v146
	v_add3_u32 v153, v152, v151, v40
	v_add3_u32 v152, v155, v154, v41
	;; [unrolled: 1-line block ×16, first 2 shown]
	v_cmp_lt_u32_e64 s38, v0, v138
	ds_write_b8 v157, v147 offset:512
	ds_write_b8 v153, v203 offset:512
	;; [unrolled: 1-line block ×17, first 2 shown]
	s_waitcnt lgkmcnt(0)
	s_barrier
	buffer_gl0_inv
	s_and_saveexec_b32 s23, s38
	s_cbranch_execnz .LBB120_1183
; %bb.1111:                             ;   in Loop: Header=BB120_1040 Depth=2
	s_or_b32 exec_lo, exec_lo, s23
	v_cmp_lt_u32_e64 s39, v44, v138
	s_and_saveexec_b32 s23, s39
	s_cbranch_execnz .LBB120_1184
.LBB120_1112:                           ;   in Loop: Header=BB120_1040 Depth=2
	s_or_b32 exec_lo, exec_lo, s23
	v_cmp_lt_u32_e64 s37, v47, v138
	s_and_saveexec_b32 s23, s37
	s_cbranch_execnz .LBB120_1185
.LBB120_1113:                           ;   in Loop: Header=BB120_1040 Depth=2
	s_or_b32 exec_lo, exec_lo, s23
	v_cmp_lt_u32_e64 s36, v48, v138
	s_and_saveexec_b32 s23, s36
	s_cbranch_execnz .LBB120_1186
.LBB120_1114:                           ;   in Loop: Header=BB120_1040 Depth=2
	s_or_b32 exec_lo, exec_lo, s23
	v_cmp_lt_u32_e64 s35, v49, v138
	s_and_saveexec_b32 s23, s35
	s_cbranch_execnz .LBB120_1187
.LBB120_1115:                           ;   in Loop: Header=BB120_1040 Depth=2
	s_or_b32 exec_lo, exec_lo, s23
	v_cmp_lt_u32_e64 s34, v50, v138
	s_and_saveexec_b32 s23, s34
	s_cbranch_execnz .LBB120_1188
.LBB120_1116:                           ;   in Loop: Header=BB120_1040 Depth=2
	s_or_b32 exec_lo, exec_lo, s23
	v_cmp_lt_u32_e64 s33, v51, v138
	s_and_saveexec_b32 s23, s33
	s_cbranch_execnz .LBB120_1189
.LBB120_1117:                           ;   in Loop: Header=BB120_1040 Depth=2
	s_or_b32 exec_lo, exec_lo, s23
	v_cmp_lt_u32_e64 s31, v52, v138
	s_and_saveexec_b32 s23, s31
	s_cbranch_execnz .LBB120_1190
.LBB120_1118:                           ;   in Loop: Header=BB120_1040 Depth=2
	s_or_b32 exec_lo, exec_lo, s23
	v_cmp_lt_u32_e64 s30, v53, v138
	s_and_saveexec_b32 s23, s30
	s_cbranch_execnz .LBB120_1191
.LBB120_1119:                           ;   in Loop: Header=BB120_1040 Depth=2
	s_or_b32 exec_lo, exec_lo, s23
	v_cmp_lt_u32_e64 s29, v54, v138
	s_and_saveexec_b32 s23, s29
	s_cbranch_execnz .LBB120_1192
.LBB120_1120:                           ;   in Loop: Header=BB120_1040 Depth=2
	s_or_b32 exec_lo, exec_lo, s23
	v_cmp_lt_u32_e64 s28, v55, v138
	s_and_saveexec_b32 s23, s28
	s_cbranch_execnz .LBB120_1193
.LBB120_1121:                           ;   in Loop: Header=BB120_1040 Depth=2
	s_or_b32 exec_lo, exec_lo, s23
	v_cmp_lt_u32_e64 s27, v56, v138
	s_and_saveexec_b32 s23, s27
	s_cbranch_execnz .LBB120_1194
.LBB120_1122:                           ;   in Loop: Header=BB120_1040 Depth=2
	s_or_b32 exec_lo, exec_lo, s23
	v_cmp_lt_u32_e64 s26, v57, v138
	s_and_saveexec_b32 s23, s26
	s_cbranch_execnz .LBB120_1195
.LBB120_1123:                           ;   in Loop: Header=BB120_1040 Depth=2
	s_or_b32 exec_lo, exec_lo, s23
	v_cmp_lt_u32_e64 s25, v58, v138
	s_and_saveexec_b32 s23, s25
	s_cbranch_execnz .LBB120_1196
.LBB120_1124:                           ;   in Loop: Header=BB120_1040 Depth=2
	s_or_b32 exec_lo, exec_lo, s23
	v_cmp_lt_u32_e64 s24, v59, v138
	s_and_saveexec_b32 s23, s24
	s_cbranch_execnz .LBB120_1197
.LBB120_1125:                           ;   in Loop: Header=BB120_1040 Depth=2
	s_or_b32 exec_lo, exec_lo, s23
	v_cmp_lt_u32_e64 s23, v60, v138
	s_and_saveexec_b32 s40, s23
	s_cbranch_execnz .LBB120_1198
.LBB120_1126:                           ;   in Loop: Header=BB120_1040 Depth=2
	s_or_b32 exec_lo, exec_lo, s40
	v_cmp_lt_u32_e32 vcc_lo, v61, v138
	s_and_saveexec_b32 s40, vcc_lo
	s_cbranch_execz .LBB120_1128
.LBB120_1127:                           ;   in Loop: Header=BB120_1040 Depth=2
	ds_read_u8 v39, v0 offset:4608
	s_waitcnt lgkmcnt(0)
	v_lshrrev_b32_sdwa v40, s41, v39 dst_sel:DWORD dst_unused:UNUSED_PAD src0_sel:DWORD src1_sel:BYTE_0
	v_xor_b32_e32 v39, -1, v39
	v_and_b32_e32 v40, s62, v40
	v_lshlrev_b32_e32 v40, 2, v40
	ds_read_b32 v40, v40
	s_waitcnt lgkmcnt(0)
	v_add_nc_u32_e32 v40, v40, v61
	global_store_byte v40, v39, s[48:49]
.LBB120_1128:                           ;   in Loop: Header=BB120_1040 Depth=2
	s_or_b32 exec_lo, exec_lo, s40
	s_lshl_b64 s[66:67], s[50:51], 3
	v_add_co_u32 v39, s40, v98, s66
	v_add_co_ci_u32_e64 v40, null, s67, v99, s40
	v_cmp_lt_u32_e64 s40, v95, v138
	s_and_saveexec_b32 s50, s40
	s_xor_b32 s40, exec_lo, s50
	s_cbranch_execnz .LBB120_1199
; %bb.1129:                             ;   in Loop: Header=BB120_1040 Depth=2
	s_or_b32 exec_lo, exec_lo, s40
	s_mov_b32 s50, exec_lo
	v_cmpx_lt_u32_e64 v100, v138
	s_cbranch_execnz .LBB120_1200
.LBB120_1130:                           ;   in Loop: Header=BB120_1040 Depth=2
	s_or_b32 exec_lo, exec_lo, s50
	s_mov_b32 s50, exec_lo
	v_cmpx_lt_u32_e64 v101, v138
	s_cbranch_execnz .LBB120_1201
.LBB120_1131:                           ;   in Loop: Header=BB120_1040 Depth=2
	s_or_b32 exec_lo, exec_lo, s50
	s_mov_b32 s50, exec_lo
	v_cmpx_lt_u32_e64 v102, v138
	s_cbranch_execnz .LBB120_1202
.LBB120_1132:                           ;   in Loop: Header=BB120_1040 Depth=2
	s_or_b32 exec_lo, exec_lo, s50
	s_mov_b32 s50, exec_lo
	v_cmpx_lt_u32_e64 v103, v138
	s_cbranch_execnz .LBB120_1203
.LBB120_1133:                           ;   in Loop: Header=BB120_1040 Depth=2
	s_or_b32 exec_lo, exec_lo, s50
	s_mov_b32 s50, exec_lo
	v_cmpx_lt_u32_e64 v104, v138
	s_cbranch_execnz .LBB120_1204
.LBB120_1134:                           ;   in Loop: Header=BB120_1040 Depth=2
	s_or_b32 exec_lo, exec_lo, s50
	s_mov_b32 s50, exec_lo
	v_cmpx_lt_u32_e64 v105, v138
	s_cbranch_execnz .LBB120_1205
.LBB120_1135:                           ;   in Loop: Header=BB120_1040 Depth=2
	s_or_b32 exec_lo, exec_lo, s50
	s_mov_b32 s50, exec_lo
	v_cmpx_lt_u32_e64 v106, v138
	s_cbranch_execnz .LBB120_1206
.LBB120_1136:                           ;   in Loop: Header=BB120_1040 Depth=2
	s_or_b32 exec_lo, exec_lo, s50
	s_mov_b32 s50, exec_lo
	v_cmpx_lt_u32_e64 v107, v138
	s_cbranch_execnz .LBB120_1207
.LBB120_1137:                           ;   in Loop: Header=BB120_1040 Depth=2
	s_or_b32 exec_lo, exec_lo, s50
	s_mov_b32 s50, exec_lo
	v_cmpx_lt_u32_e64 v108, v138
	s_cbranch_execnz .LBB120_1208
.LBB120_1138:                           ;   in Loop: Header=BB120_1040 Depth=2
	s_or_b32 exec_lo, exec_lo, s50
	s_mov_b32 s50, exec_lo
	v_cmpx_lt_u32_e64 v109, v138
	s_cbranch_execnz .LBB120_1209
.LBB120_1139:                           ;   in Loop: Header=BB120_1040 Depth=2
	s_or_b32 exec_lo, exec_lo, s50
	s_mov_b32 s50, exec_lo
	v_cmpx_lt_u32_e64 v110, v138
	s_cbranch_execnz .LBB120_1210
.LBB120_1140:                           ;   in Loop: Header=BB120_1040 Depth=2
	s_or_b32 exec_lo, exec_lo, s50
	s_mov_b32 s50, exec_lo
	v_cmpx_lt_u32_e64 v111, v138
	s_cbranch_execnz .LBB120_1211
.LBB120_1141:                           ;   in Loop: Header=BB120_1040 Depth=2
	s_or_b32 exec_lo, exec_lo, s50
	s_mov_b32 s50, exec_lo
	v_cmpx_lt_u32_e64 v112, v138
	s_cbranch_execnz .LBB120_1212
.LBB120_1142:                           ;   in Loop: Header=BB120_1040 Depth=2
	s_or_b32 exec_lo, exec_lo, s50
	s_mov_b32 s50, exec_lo
	v_cmpx_lt_u32_e64 v113, v138
	s_cbranch_execnz .LBB120_1213
.LBB120_1143:                           ;   in Loop: Header=BB120_1040 Depth=2
	s_or_b32 exec_lo, exec_lo, s50
	s_mov_b32 s50, exec_lo
	v_cmpx_lt_u32_e64 v114, v138
	s_cbranch_execnz .LBB120_1214
.LBB120_1144:                           ;   in Loop: Header=BB120_1040 Depth=2
	s_or_b32 exec_lo, exec_lo, s50
	s_mov_b32 s50, exec_lo
	v_cmpx_lt_u32_e64 v115, v138
	s_cbranch_execnz .LBB120_1215
.LBB120_1145:                           ;   in Loop: Header=BB120_1040 Depth=2
	s_or_b32 exec_lo, exec_lo, s50
	s_and_saveexec_b32 s40, s38
	s_cbranch_execnz .LBB120_1216
.LBB120_1146:                           ;   in Loop: Header=BB120_1040 Depth=2
	s_or_b32 exec_lo, exec_lo, s40
	s_and_saveexec_b32 s40, s39
	s_cbranch_execnz .LBB120_1217
.LBB120_1147:                           ;   in Loop: Header=BB120_1040 Depth=2
	s_or_b32 exec_lo, exec_lo, s40
	s_and_saveexec_b32 s40, s37
	s_cbranch_execnz .LBB120_1218
.LBB120_1148:                           ;   in Loop: Header=BB120_1040 Depth=2
	s_or_b32 exec_lo, exec_lo, s40
	s_and_saveexec_b32 s40, s36
	s_cbranch_execnz .LBB120_1219
.LBB120_1149:                           ;   in Loop: Header=BB120_1040 Depth=2
	s_or_b32 exec_lo, exec_lo, s40
	s_and_saveexec_b32 s40, s35
	s_cbranch_execnz .LBB120_1220
.LBB120_1150:                           ;   in Loop: Header=BB120_1040 Depth=2
	s_or_b32 exec_lo, exec_lo, s40
	s_and_saveexec_b32 s40, s34
	s_cbranch_execnz .LBB120_1221
.LBB120_1151:                           ;   in Loop: Header=BB120_1040 Depth=2
	s_or_b32 exec_lo, exec_lo, s40
	s_and_saveexec_b32 s40, s33
	s_cbranch_execnz .LBB120_1222
.LBB120_1152:                           ;   in Loop: Header=BB120_1040 Depth=2
	s_or_b32 exec_lo, exec_lo, s40
	s_and_saveexec_b32 s40, s31
	s_cbranch_execnz .LBB120_1223
.LBB120_1153:                           ;   in Loop: Header=BB120_1040 Depth=2
	s_or_b32 exec_lo, exec_lo, s40
	s_and_saveexec_b32 s40, s30
	s_cbranch_execnz .LBB120_1224
.LBB120_1154:                           ;   in Loop: Header=BB120_1040 Depth=2
	s_or_b32 exec_lo, exec_lo, s40
	s_and_saveexec_b32 s40, s29
	s_cbranch_execnz .LBB120_1225
.LBB120_1155:                           ;   in Loop: Header=BB120_1040 Depth=2
	s_or_b32 exec_lo, exec_lo, s40
	s_and_saveexec_b32 s40, s28
	s_cbranch_execnz .LBB120_1226
.LBB120_1156:                           ;   in Loop: Header=BB120_1040 Depth=2
	s_or_b32 exec_lo, exec_lo, s40
	s_and_saveexec_b32 s40, s27
	s_cbranch_execnz .LBB120_1227
.LBB120_1157:                           ;   in Loop: Header=BB120_1040 Depth=2
	s_or_b32 exec_lo, exec_lo, s40
	s_and_saveexec_b32 s40, s26
	s_cbranch_execnz .LBB120_1228
.LBB120_1158:                           ;   in Loop: Header=BB120_1040 Depth=2
	s_or_b32 exec_lo, exec_lo, s40
	s_and_saveexec_b32 s40, s25
	s_cbranch_execnz .LBB120_1229
.LBB120_1159:                           ;   in Loop: Header=BB120_1040 Depth=2
	s_or_b32 exec_lo, exec_lo, s40
	s_and_saveexec_b32 s40, s24
	s_cbranch_execnz .LBB120_1230
.LBB120_1160:                           ;   in Loop: Header=BB120_1040 Depth=2
	s_or_b32 exec_lo, exec_lo, s40
	s_and_saveexec_b32 s40, s23
	s_cbranch_execnz .LBB120_1231
.LBB120_1161:                           ;   in Loop: Header=BB120_1040 Depth=2
	s_or_b32 exec_lo, exec_lo, s40
	s_and_saveexec_b32 s40, vcc_lo
	s_cbranch_execz .LBB120_1163
.LBB120_1162:                           ;   in Loop: Header=BB120_1040 Depth=2
	ds_read_u8 v39, v0 offset:4608
	s_waitcnt lgkmcnt(0)
	v_lshrrev_b32_e32 v39, s41, v39
	v_and_b32_e32 v117, s62, v39
.LBB120_1163:                           ;   in Loop: Header=BB120_1040 Depth=2
	s_or_b32 exec_lo, exec_lo, s40
	v_lshlrev_b32_e32 v39, 3, v157
	s_waitcnt vmcnt(0)
	s_waitcnt_vscnt null, 0x0
	v_lshlrev_b32_e32 v40, 3, v153
	s_barrier
	buffer_gl0_inv
	ds_write_b64 v39, v[37:38] offset:512
	v_lshlrev_b32_e32 v39, 3, v152
	ds_write_b64 v40, v[35:36] offset:512
	v_lshlrev_b32_e32 v40, 3, v151
	v_lshlrev_b32_e32 v138, 3, v150
	;; [unrolled: 1-line block ×3, first 2 shown]
	ds_write_b64 v39, v[33:34] offset:512
	v_lshlrev_b32_e32 v39, 3, v148
	ds_write_b64 v40, v[31:32] offset:512
	ds_write_b64 v138, v[29:30] offset:512
	ds_write_b64 v139, v[25:26] offset:512
	v_lshlrev_b32_e32 v40, 3, v146
	v_lshlrev_b32_e32 v138, 3, v144
	;; [unrolled: 1-line block ×3, first 2 shown]
	ds_write_b64 v39, v[21:22] offset:512
	v_lshlrev_b32_e32 v39, 3, v145
	ds_write_b64 v40, v[17:18] offset:512
	v_lshlrev_b32_e32 v40, 3, v141
	ds_write_b64 v39, v[27:28] offset:512
	ds_write_b64 v138, v[23:24] offset:512
	;; [unrolled: 1-line block ×3, first 2 shown]
	v_lshlrev_b32_e32 v39, 3, v140
	ds_write_b64 v40, v[15:16] offset:512
	v_lshlrev_b32_e32 v40, 3, v137
	v_lshlrev_b32_e32 v3, 3, v3
	;; [unrolled: 1-line block ×3, first 2 shown]
	ds_write_b64 v39, v[13:14] offset:512
	v_add_nc_u32_e32 v39, v0, v75
	v_lshlrev_b32_e32 v41, 3, v41
	ds_write_b64 v40, v[11:12] offset:512
	ds_write_b64 v42, v[9:10] offset:512
	;; [unrolled: 1-line block ×4, first 2 shown]
	s_waitcnt lgkmcnt(0)
	s_barrier
	buffer_gl0_inv
	s_and_saveexec_b32 s40, s38
	s_cbranch_execnz .LBB120_1232
; %bb.1164:                             ;   in Loop: Header=BB120_1040 Depth=2
	s_or_b32 exec_lo, exec_lo, s40
	s_and_saveexec_b32 s40, s39
	s_cbranch_execnz .LBB120_1233
.LBB120_1165:                           ;   in Loop: Header=BB120_1040 Depth=2
	s_or_b32 exec_lo, exec_lo, s40
	s_and_saveexec_b32 s38, s37
	s_cbranch_execnz .LBB120_1234
.LBB120_1166:                           ;   in Loop: Header=BB120_1040 Depth=2
	s_or_b32 exec_lo, exec_lo, s38
	s_and_saveexec_b32 s37, s36
	s_cbranch_execnz .LBB120_1235
.LBB120_1167:                           ;   in Loop: Header=BB120_1040 Depth=2
	s_or_b32 exec_lo, exec_lo, s37
	s_and_saveexec_b32 s36, s35
	s_cbranch_execnz .LBB120_1236
.LBB120_1168:                           ;   in Loop: Header=BB120_1040 Depth=2
	s_or_b32 exec_lo, exec_lo, s36
	s_and_saveexec_b32 s35, s34
	s_cbranch_execnz .LBB120_1237
.LBB120_1169:                           ;   in Loop: Header=BB120_1040 Depth=2
	s_or_b32 exec_lo, exec_lo, s35
	s_and_saveexec_b32 s34, s33
	s_cbranch_execnz .LBB120_1238
.LBB120_1170:                           ;   in Loop: Header=BB120_1040 Depth=2
	s_or_b32 exec_lo, exec_lo, s34
	s_and_saveexec_b32 s33, s31
	s_cbranch_execnz .LBB120_1239
.LBB120_1171:                           ;   in Loop: Header=BB120_1040 Depth=2
	s_or_b32 exec_lo, exec_lo, s33
	s_and_saveexec_b32 s31, s30
	s_cbranch_execnz .LBB120_1240
.LBB120_1172:                           ;   in Loop: Header=BB120_1040 Depth=2
	s_or_b32 exec_lo, exec_lo, s31
	s_and_saveexec_b32 s30, s29
	s_cbranch_execnz .LBB120_1241
.LBB120_1173:                           ;   in Loop: Header=BB120_1040 Depth=2
	s_or_b32 exec_lo, exec_lo, s30
	s_and_saveexec_b32 s29, s28
	s_cbranch_execnz .LBB120_1242
.LBB120_1174:                           ;   in Loop: Header=BB120_1040 Depth=2
	s_or_b32 exec_lo, exec_lo, s29
	s_and_saveexec_b32 s28, s27
	s_cbranch_execnz .LBB120_1243
.LBB120_1175:                           ;   in Loop: Header=BB120_1040 Depth=2
	s_or_b32 exec_lo, exec_lo, s28
	s_and_saveexec_b32 s27, s26
	s_cbranch_execnz .LBB120_1244
.LBB120_1176:                           ;   in Loop: Header=BB120_1040 Depth=2
	s_or_b32 exec_lo, exec_lo, s27
	s_and_saveexec_b32 s26, s25
	s_cbranch_execnz .LBB120_1245
.LBB120_1177:                           ;   in Loop: Header=BB120_1040 Depth=2
	s_or_b32 exec_lo, exec_lo, s26
	s_and_saveexec_b32 s25, s24
	s_cbranch_execnz .LBB120_1246
.LBB120_1178:                           ;   in Loop: Header=BB120_1040 Depth=2
	s_or_b32 exec_lo, exec_lo, s25
	s_and_saveexec_b32 s24, s23
	s_cbranch_execnz .LBB120_1247
.LBB120_1179:                           ;   in Loop: Header=BB120_1040 Depth=2
	s_or_b32 exec_lo, exec_lo, s24
	s_and_saveexec_b32 s23, vcc_lo
	s_cbranch_execz .LBB120_1181
.LBB120_1180:                           ;   in Loop: Header=BB120_1040 Depth=2
	v_lshlrev_b32_e32 v3, 2, v117
	ds_read_b32 v3, v3
	ds_read_b64 v[39:40], v39 offset:33280
	s_waitcnt lgkmcnt(1)
	v_add_nc_u32_e32 v3, v3, v61
	v_lshlrev_b64 v[41:42], 3, v[3:4]
	v_add_co_u32 v41, vcc_lo, s54, v41
	v_add_co_ci_u32_e64 v42, null, s55, v42, vcc_lo
	s_waitcnt lgkmcnt(0)
	global_store_dwordx2 v[41:42], v[39:40], off
.LBB120_1181:                           ;   in Loop: Header=BB120_1040 Depth=2
	s_or_b32 exec_lo, exec_lo, s23
	s_waitcnt_vscnt null, 0x0
	s_barrier
	buffer_gl0_inv
	s_and_saveexec_b32 s23, s8
	s_cbranch_execz .LBB120_1039
; %bb.1182:                             ;   in Loop: Header=BB120_1040 Depth=2
	ds_read_b32 v3, v43
	s_waitcnt lgkmcnt(0)
	v_add3_u32 v3, v135, v136, v3
	ds_write_b32 v43, v3
	s_branch .LBB120_1039
.LBB120_1183:                           ;   in Loop: Header=BB120_1040 Depth=2
	ds_read_u8 v39, v0 offset:512
	s_waitcnt lgkmcnt(0)
	v_lshrrev_b32_sdwa v40, s41, v39 dst_sel:DWORD dst_unused:UNUSED_PAD src0_sel:DWORD src1_sel:BYTE_0
	v_xor_b32_e32 v39, -1, v39
	v_and_b32_e32 v40, s62, v40
	v_lshlrev_b32_e32 v40, 2, v40
	ds_read_b32 v40, v40
	s_waitcnt lgkmcnt(0)
	v_add_nc_u32_e32 v40, v40, v0
	global_store_byte v40, v39, s[48:49]
	s_or_b32 exec_lo, exec_lo, s23
	v_cmp_lt_u32_e64 s39, v44, v138
	s_and_saveexec_b32 s23, s39
	s_cbranch_execz .LBB120_1112
.LBB120_1184:                           ;   in Loop: Header=BB120_1040 Depth=2
	ds_read_u8 v39, v0 offset:768
	s_waitcnt lgkmcnt(0)
	v_lshrrev_b32_sdwa v40, s41, v39 dst_sel:DWORD dst_unused:UNUSED_PAD src0_sel:DWORD src1_sel:BYTE_0
	v_xor_b32_e32 v39, -1, v39
	v_and_b32_e32 v40, s62, v40
	v_lshlrev_b32_e32 v40, 2, v40
	ds_read_b32 v40, v40
	s_waitcnt lgkmcnt(0)
	v_add_nc_u32_e32 v40, v40, v44
	global_store_byte v40, v39, s[48:49]
	s_or_b32 exec_lo, exec_lo, s23
	v_cmp_lt_u32_e64 s37, v47, v138
	s_and_saveexec_b32 s23, s37
	s_cbranch_execz .LBB120_1113
.LBB120_1185:                           ;   in Loop: Header=BB120_1040 Depth=2
	ds_read_u8 v39, v0 offset:1024
	s_waitcnt lgkmcnt(0)
	v_lshrrev_b32_sdwa v40, s41, v39 dst_sel:DWORD dst_unused:UNUSED_PAD src0_sel:DWORD src1_sel:BYTE_0
	v_xor_b32_e32 v39, -1, v39
	v_and_b32_e32 v40, s62, v40
	v_lshlrev_b32_e32 v40, 2, v40
	ds_read_b32 v40, v40
	s_waitcnt lgkmcnt(0)
	v_add_nc_u32_e32 v40, v40, v47
	global_store_byte v40, v39, s[48:49]
	s_or_b32 exec_lo, exec_lo, s23
	v_cmp_lt_u32_e64 s36, v48, v138
	s_and_saveexec_b32 s23, s36
	s_cbranch_execz .LBB120_1114
.LBB120_1186:                           ;   in Loop: Header=BB120_1040 Depth=2
	ds_read_u8 v39, v0 offset:1280
	s_waitcnt lgkmcnt(0)
	v_lshrrev_b32_sdwa v40, s41, v39 dst_sel:DWORD dst_unused:UNUSED_PAD src0_sel:DWORD src1_sel:BYTE_0
	v_xor_b32_e32 v39, -1, v39
	v_and_b32_e32 v40, s62, v40
	v_lshlrev_b32_e32 v40, 2, v40
	ds_read_b32 v40, v40
	s_waitcnt lgkmcnt(0)
	v_add_nc_u32_e32 v40, v40, v48
	global_store_byte v40, v39, s[48:49]
	s_or_b32 exec_lo, exec_lo, s23
	v_cmp_lt_u32_e64 s35, v49, v138
	s_and_saveexec_b32 s23, s35
	s_cbranch_execz .LBB120_1115
.LBB120_1187:                           ;   in Loop: Header=BB120_1040 Depth=2
	ds_read_u8 v39, v0 offset:1536
	s_waitcnt lgkmcnt(0)
	v_lshrrev_b32_sdwa v40, s41, v39 dst_sel:DWORD dst_unused:UNUSED_PAD src0_sel:DWORD src1_sel:BYTE_0
	v_xor_b32_e32 v39, -1, v39
	v_and_b32_e32 v40, s62, v40
	v_lshlrev_b32_e32 v40, 2, v40
	ds_read_b32 v40, v40
	s_waitcnt lgkmcnt(0)
	v_add_nc_u32_e32 v40, v40, v49
	global_store_byte v40, v39, s[48:49]
	s_or_b32 exec_lo, exec_lo, s23
	v_cmp_lt_u32_e64 s34, v50, v138
	s_and_saveexec_b32 s23, s34
	s_cbranch_execz .LBB120_1116
.LBB120_1188:                           ;   in Loop: Header=BB120_1040 Depth=2
	ds_read_u8 v39, v0 offset:1792
	s_waitcnt lgkmcnt(0)
	v_lshrrev_b32_sdwa v40, s41, v39 dst_sel:DWORD dst_unused:UNUSED_PAD src0_sel:DWORD src1_sel:BYTE_0
	v_xor_b32_e32 v39, -1, v39
	v_and_b32_e32 v40, s62, v40
	v_lshlrev_b32_e32 v40, 2, v40
	ds_read_b32 v40, v40
	s_waitcnt lgkmcnt(0)
	v_add_nc_u32_e32 v40, v40, v50
	global_store_byte v40, v39, s[48:49]
	s_or_b32 exec_lo, exec_lo, s23
	v_cmp_lt_u32_e64 s33, v51, v138
	s_and_saveexec_b32 s23, s33
	s_cbranch_execz .LBB120_1117
.LBB120_1189:                           ;   in Loop: Header=BB120_1040 Depth=2
	ds_read_u8 v39, v0 offset:2048
	s_waitcnt lgkmcnt(0)
	v_lshrrev_b32_sdwa v40, s41, v39 dst_sel:DWORD dst_unused:UNUSED_PAD src0_sel:DWORD src1_sel:BYTE_0
	v_xor_b32_e32 v39, -1, v39
	v_and_b32_e32 v40, s62, v40
	v_lshlrev_b32_e32 v40, 2, v40
	ds_read_b32 v40, v40
	s_waitcnt lgkmcnt(0)
	v_add_nc_u32_e32 v40, v40, v51
	global_store_byte v40, v39, s[48:49]
	s_or_b32 exec_lo, exec_lo, s23
	v_cmp_lt_u32_e64 s31, v52, v138
	s_and_saveexec_b32 s23, s31
	s_cbranch_execz .LBB120_1118
.LBB120_1190:                           ;   in Loop: Header=BB120_1040 Depth=2
	ds_read_u8 v39, v0 offset:2304
	s_waitcnt lgkmcnt(0)
	v_lshrrev_b32_sdwa v40, s41, v39 dst_sel:DWORD dst_unused:UNUSED_PAD src0_sel:DWORD src1_sel:BYTE_0
	v_xor_b32_e32 v39, -1, v39
	v_and_b32_e32 v40, s62, v40
	v_lshlrev_b32_e32 v40, 2, v40
	ds_read_b32 v40, v40
	s_waitcnt lgkmcnt(0)
	v_add_nc_u32_e32 v40, v40, v52
	global_store_byte v40, v39, s[48:49]
	s_or_b32 exec_lo, exec_lo, s23
	v_cmp_lt_u32_e64 s30, v53, v138
	s_and_saveexec_b32 s23, s30
	s_cbranch_execz .LBB120_1119
.LBB120_1191:                           ;   in Loop: Header=BB120_1040 Depth=2
	ds_read_u8 v39, v0 offset:2560
	s_waitcnt lgkmcnt(0)
	v_lshrrev_b32_sdwa v40, s41, v39 dst_sel:DWORD dst_unused:UNUSED_PAD src0_sel:DWORD src1_sel:BYTE_0
	v_xor_b32_e32 v39, -1, v39
	v_and_b32_e32 v40, s62, v40
	v_lshlrev_b32_e32 v40, 2, v40
	ds_read_b32 v40, v40
	s_waitcnt lgkmcnt(0)
	v_add_nc_u32_e32 v40, v40, v53
	global_store_byte v40, v39, s[48:49]
	s_or_b32 exec_lo, exec_lo, s23
	v_cmp_lt_u32_e64 s29, v54, v138
	s_and_saveexec_b32 s23, s29
	s_cbranch_execz .LBB120_1120
.LBB120_1192:                           ;   in Loop: Header=BB120_1040 Depth=2
	ds_read_u8 v39, v0 offset:2816
	s_waitcnt lgkmcnt(0)
	v_lshrrev_b32_sdwa v40, s41, v39 dst_sel:DWORD dst_unused:UNUSED_PAD src0_sel:DWORD src1_sel:BYTE_0
	v_xor_b32_e32 v39, -1, v39
	v_and_b32_e32 v40, s62, v40
	v_lshlrev_b32_e32 v40, 2, v40
	ds_read_b32 v40, v40
	s_waitcnt lgkmcnt(0)
	v_add_nc_u32_e32 v40, v40, v54
	global_store_byte v40, v39, s[48:49]
	s_or_b32 exec_lo, exec_lo, s23
	v_cmp_lt_u32_e64 s28, v55, v138
	s_and_saveexec_b32 s23, s28
	s_cbranch_execz .LBB120_1121
.LBB120_1193:                           ;   in Loop: Header=BB120_1040 Depth=2
	ds_read_u8 v39, v0 offset:3072
	s_waitcnt lgkmcnt(0)
	v_lshrrev_b32_sdwa v40, s41, v39 dst_sel:DWORD dst_unused:UNUSED_PAD src0_sel:DWORD src1_sel:BYTE_0
	v_xor_b32_e32 v39, -1, v39
	v_and_b32_e32 v40, s62, v40
	v_lshlrev_b32_e32 v40, 2, v40
	ds_read_b32 v40, v40
	s_waitcnt lgkmcnt(0)
	v_add_nc_u32_e32 v40, v40, v55
	global_store_byte v40, v39, s[48:49]
	s_or_b32 exec_lo, exec_lo, s23
	v_cmp_lt_u32_e64 s27, v56, v138
	s_and_saveexec_b32 s23, s27
	s_cbranch_execz .LBB120_1122
.LBB120_1194:                           ;   in Loop: Header=BB120_1040 Depth=2
	ds_read_u8 v39, v0 offset:3328
	s_waitcnt lgkmcnt(0)
	v_lshrrev_b32_sdwa v40, s41, v39 dst_sel:DWORD dst_unused:UNUSED_PAD src0_sel:DWORD src1_sel:BYTE_0
	v_xor_b32_e32 v39, -1, v39
	v_and_b32_e32 v40, s62, v40
	v_lshlrev_b32_e32 v40, 2, v40
	ds_read_b32 v40, v40
	s_waitcnt lgkmcnt(0)
	v_add_nc_u32_e32 v40, v40, v56
	global_store_byte v40, v39, s[48:49]
	s_or_b32 exec_lo, exec_lo, s23
	v_cmp_lt_u32_e64 s26, v57, v138
	s_and_saveexec_b32 s23, s26
	s_cbranch_execz .LBB120_1123
.LBB120_1195:                           ;   in Loop: Header=BB120_1040 Depth=2
	ds_read_u8 v39, v0 offset:3584
	s_waitcnt lgkmcnt(0)
	v_lshrrev_b32_sdwa v40, s41, v39 dst_sel:DWORD dst_unused:UNUSED_PAD src0_sel:DWORD src1_sel:BYTE_0
	v_xor_b32_e32 v39, -1, v39
	v_and_b32_e32 v40, s62, v40
	v_lshlrev_b32_e32 v40, 2, v40
	ds_read_b32 v40, v40
	s_waitcnt lgkmcnt(0)
	v_add_nc_u32_e32 v40, v40, v57
	global_store_byte v40, v39, s[48:49]
	s_or_b32 exec_lo, exec_lo, s23
	v_cmp_lt_u32_e64 s25, v58, v138
	s_and_saveexec_b32 s23, s25
	s_cbranch_execz .LBB120_1124
.LBB120_1196:                           ;   in Loop: Header=BB120_1040 Depth=2
	ds_read_u8 v39, v0 offset:3840
	s_waitcnt lgkmcnt(0)
	v_lshrrev_b32_sdwa v40, s41, v39 dst_sel:DWORD dst_unused:UNUSED_PAD src0_sel:DWORD src1_sel:BYTE_0
	v_xor_b32_e32 v39, -1, v39
	v_and_b32_e32 v40, s62, v40
	v_lshlrev_b32_e32 v40, 2, v40
	ds_read_b32 v40, v40
	s_waitcnt lgkmcnt(0)
	v_add_nc_u32_e32 v40, v40, v58
	global_store_byte v40, v39, s[48:49]
	s_or_b32 exec_lo, exec_lo, s23
	v_cmp_lt_u32_e64 s24, v59, v138
	s_and_saveexec_b32 s23, s24
	s_cbranch_execz .LBB120_1125
.LBB120_1197:                           ;   in Loop: Header=BB120_1040 Depth=2
	ds_read_u8 v39, v0 offset:4096
	s_waitcnt lgkmcnt(0)
	v_lshrrev_b32_sdwa v40, s41, v39 dst_sel:DWORD dst_unused:UNUSED_PAD src0_sel:DWORD src1_sel:BYTE_0
	v_xor_b32_e32 v39, -1, v39
	v_and_b32_e32 v40, s62, v40
	v_lshlrev_b32_e32 v40, 2, v40
	ds_read_b32 v40, v40
	s_waitcnt lgkmcnt(0)
	v_add_nc_u32_e32 v40, v40, v59
	global_store_byte v40, v39, s[48:49]
	s_or_b32 exec_lo, exec_lo, s23
	v_cmp_lt_u32_e64 s23, v60, v138
	s_and_saveexec_b32 s40, s23
	s_cbranch_execz .LBB120_1126
.LBB120_1198:                           ;   in Loop: Header=BB120_1040 Depth=2
	ds_read_u8 v39, v0 offset:4352
	s_waitcnt lgkmcnt(0)
	v_lshrrev_b32_sdwa v40, s41, v39 dst_sel:DWORD dst_unused:UNUSED_PAD src0_sel:DWORD src1_sel:BYTE_0
	v_xor_b32_e32 v39, -1, v39
	v_and_b32_e32 v40, s62, v40
	v_lshlrev_b32_e32 v40, 2, v40
	ds_read_b32 v40, v40
	s_waitcnt lgkmcnt(0)
	v_add_nc_u32_e32 v40, v40, v60
	global_store_byte v40, v39, s[48:49]
	s_or_b32 exec_lo, exec_lo, s40
	v_cmp_lt_u32_e32 vcc_lo, v61, v138
	s_and_saveexec_b32 s40, vcc_lo
	s_cbranch_execnz .LBB120_1127
	s_branch .LBB120_1128
.LBB120_1199:                           ;   in Loop: Header=BB120_1040 Depth=2
	global_load_dwordx2 v[37:38], v[39:40], off
	s_or_b32 exec_lo, exec_lo, s40
	s_mov_b32 s50, exec_lo
	v_cmpx_lt_u32_e64 v100, v138
	s_cbranch_execz .LBB120_1130
.LBB120_1200:                           ;   in Loop: Header=BB120_1040 Depth=2
	global_load_dwordx2 v[35:36], v[39:40], off offset:256
	s_or_b32 exec_lo, exec_lo, s50
	s_mov_b32 s50, exec_lo
	v_cmpx_lt_u32_e64 v101, v138
	s_cbranch_execz .LBB120_1131
.LBB120_1201:                           ;   in Loop: Header=BB120_1040 Depth=2
	global_load_dwordx2 v[33:34], v[39:40], off offset:512
	s_or_b32 exec_lo, exec_lo, s50
	s_mov_b32 s50, exec_lo
	v_cmpx_lt_u32_e64 v102, v138
	s_cbranch_execz .LBB120_1132
.LBB120_1202:                           ;   in Loop: Header=BB120_1040 Depth=2
	global_load_dwordx2 v[31:32], v[39:40], off offset:768
	s_or_b32 exec_lo, exec_lo, s50
	s_mov_b32 s50, exec_lo
	v_cmpx_lt_u32_e64 v103, v138
	s_cbranch_execz .LBB120_1133
.LBB120_1203:                           ;   in Loop: Header=BB120_1040 Depth=2
	global_load_dwordx2 v[29:30], v[39:40], off offset:1024
	s_or_b32 exec_lo, exec_lo, s50
	s_mov_b32 s50, exec_lo
	v_cmpx_lt_u32_e64 v104, v138
	s_cbranch_execz .LBB120_1134
.LBB120_1204:                           ;   in Loop: Header=BB120_1040 Depth=2
	global_load_dwordx2 v[25:26], v[39:40], off offset:1280
	s_or_b32 exec_lo, exec_lo, s50
	s_mov_b32 s50, exec_lo
	v_cmpx_lt_u32_e64 v105, v138
	s_cbranch_execz .LBB120_1135
.LBB120_1205:                           ;   in Loop: Header=BB120_1040 Depth=2
	global_load_dwordx2 v[21:22], v[39:40], off offset:1536
	s_or_b32 exec_lo, exec_lo, s50
	s_mov_b32 s50, exec_lo
	v_cmpx_lt_u32_e64 v106, v138
	s_cbranch_execz .LBB120_1136
.LBB120_1206:                           ;   in Loop: Header=BB120_1040 Depth=2
	global_load_dwordx2 v[17:18], v[39:40], off offset:1792
	s_or_b32 exec_lo, exec_lo, s50
	s_mov_b32 s50, exec_lo
	v_cmpx_lt_u32_e64 v107, v138
	s_cbranch_execz .LBB120_1137
.LBB120_1207:                           ;   in Loop: Header=BB120_1040 Depth=2
	v_add_co_u32 v27, s40, 0x800, v39
	v_add_co_ci_u32_e64 v28, null, 0, v40, s40
	global_load_dwordx2 v[27:28], v[27:28], off
	s_or_b32 exec_lo, exec_lo, s50
	s_mov_b32 s50, exec_lo
	v_cmpx_lt_u32_e64 v108, v138
	s_cbranch_execz .LBB120_1138
.LBB120_1208:                           ;   in Loop: Header=BB120_1040 Depth=2
	v_add_co_u32 v23, s40, 0x800, v39
	v_add_co_ci_u32_e64 v24, null, 0, v40, s40
	global_load_dwordx2 v[23:24], v[23:24], off offset:256
	s_or_b32 exec_lo, exec_lo, s50
	s_mov_b32 s50, exec_lo
	v_cmpx_lt_u32_e64 v109, v138
	s_cbranch_execz .LBB120_1139
.LBB120_1209:                           ;   in Loop: Header=BB120_1040 Depth=2
	v_add_co_u32 v19, s40, 0x800, v39
	v_add_co_ci_u32_e64 v20, null, 0, v40, s40
	global_load_dwordx2 v[19:20], v[19:20], off offset:512
	s_or_b32 exec_lo, exec_lo, s50
	s_mov_b32 s50, exec_lo
	v_cmpx_lt_u32_e64 v110, v138
	s_cbranch_execz .LBB120_1140
.LBB120_1210:                           ;   in Loop: Header=BB120_1040 Depth=2
	v_add_co_u32 v15, s40, 0x800, v39
	v_add_co_ci_u32_e64 v16, null, 0, v40, s40
	global_load_dwordx2 v[15:16], v[15:16], off offset:768
	s_or_b32 exec_lo, exec_lo, s50
	s_mov_b32 s50, exec_lo
	v_cmpx_lt_u32_e64 v111, v138
	s_cbranch_execz .LBB120_1141
.LBB120_1211:                           ;   in Loop: Header=BB120_1040 Depth=2
	v_add_co_u32 v13, s40, 0x800, v39
	v_add_co_ci_u32_e64 v14, null, 0, v40, s40
	global_load_dwordx2 v[13:14], v[13:14], off offset:1024
	s_or_b32 exec_lo, exec_lo, s50
	s_mov_b32 s50, exec_lo
	v_cmpx_lt_u32_e64 v112, v138
	s_cbranch_execz .LBB120_1142
.LBB120_1212:                           ;   in Loop: Header=BB120_1040 Depth=2
	v_add_co_u32 v11, s40, 0x800, v39
	v_add_co_ci_u32_e64 v12, null, 0, v40, s40
	global_load_dwordx2 v[11:12], v[11:12], off offset:1280
	s_or_b32 exec_lo, exec_lo, s50
	s_mov_b32 s50, exec_lo
	v_cmpx_lt_u32_e64 v113, v138
	s_cbranch_execz .LBB120_1143
.LBB120_1213:                           ;   in Loop: Header=BB120_1040 Depth=2
	v_add_co_u32 v9, s40, 0x800, v39
	v_add_co_ci_u32_e64 v10, null, 0, v40, s40
	global_load_dwordx2 v[9:10], v[9:10], off offset:1536
	s_or_b32 exec_lo, exec_lo, s50
	s_mov_b32 s50, exec_lo
	v_cmpx_lt_u32_e64 v114, v138
	s_cbranch_execz .LBB120_1144
.LBB120_1214:                           ;   in Loop: Header=BB120_1040 Depth=2
	v_add_co_u32 v7, s40, 0x800, v39
	v_add_co_ci_u32_e64 v8, null, 0, v40, s40
	global_load_dwordx2 v[7:8], v[7:8], off offset:1792
	s_or_b32 exec_lo, exec_lo, s50
	s_mov_b32 s50, exec_lo
	v_cmpx_lt_u32_e64 v115, v138
	s_cbranch_execz .LBB120_1145
.LBB120_1215:                           ;   in Loop: Header=BB120_1040 Depth=2
	v_add_co_u32 v5, s40, 0x1000, v39
	v_add_co_ci_u32_e64 v6, null, 0, v40, s40
	global_load_dwordx2 v[5:6], v[5:6], off
	s_or_b32 exec_lo, exec_lo, s50
	s_and_saveexec_b32 s40, s38
	s_cbranch_execz .LBB120_1146
.LBB120_1216:                           ;   in Loop: Header=BB120_1040 Depth=2
	ds_read_u8 v39, v0 offset:512
	s_waitcnt lgkmcnt(0)
	v_lshrrev_b32_e32 v39, s41, v39
	v_and_b32_e32 v134, s62, v39
	s_or_b32 exec_lo, exec_lo, s40
	s_and_saveexec_b32 s40, s39
	s_cbranch_execz .LBB120_1147
.LBB120_1217:                           ;   in Loop: Header=BB120_1040 Depth=2
	ds_read_u8 v39, v0 offset:768
	s_waitcnt lgkmcnt(0)
	v_lshrrev_b32_e32 v39, s41, v39
	v_and_b32_e32 v133, s62, v39
	s_or_b32 exec_lo, exec_lo, s40
	s_and_saveexec_b32 s40, s37
	s_cbranch_execz .LBB120_1148
.LBB120_1218:                           ;   in Loop: Header=BB120_1040 Depth=2
	ds_read_u8 v39, v0 offset:1024
	s_waitcnt lgkmcnt(0)
	v_lshrrev_b32_e32 v39, s41, v39
	v_and_b32_e32 v132, s62, v39
	s_or_b32 exec_lo, exec_lo, s40
	s_and_saveexec_b32 s40, s36
	s_cbranch_execz .LBB120_1149
.LBB120_1219:                           ;   in Loop: Header=BB120_1040 Depth=2
	ds_read_u8 v39, v0 offset:1280
	s_waitcnt lgkmcnt(0)
	v_lshrrev_b32_e32 v39, s41, v39
	v_and_b32_e32 v131, s62, v39
	s_or_b32 exec_lo, exec_lo, s40
	s_and_saveexec_b32 s40, s35
	s_cbranch_execz .LBB120_1150
.LBB120_1220:                           ;   in Loop: Header=BB120_1040 Depth=2
	ds_read_u8 v39, v0 offset:1536
	s_waitcnt lgkmcnt(0)
	v_lshrrev_b32_e32 v39, s41, v39
	v_and_b32_e32 v130, s62, v39
	s_or_b32 exec_lo, exec_lo, s40
	s_and_saveexec_b32 s40, s34
	s_cbranch_execz .LBB120_1151
.LBB120_1221:                           ;   in Loop: Header=BB120_1040 Depth=2
	ds_read_u8 v39, v0 offset:1792
	s_waitcnt lgkmcnt(0)
	v_lshrrev_b32_e32 v39, s41, v39
	v_and_b32_e32 v128, s62, v39
	s_or_b32 exec_lo, exec_lo, s40
	s_and_saveexec_b32 s40, s33
	s_cbranch_execz .LBB120_1152
.LBB120_1222:                           ;   in Loop: Header=BB120_1040 Depth=2
	ds_read_u8 v39, v0 offset:2048
	s_waitcnt lgkmcnt(0)
	v_lshrrev_b32_e32 v39, s41, v39
	v_and_b32_e32 v127, s62, v39
	s_or_b32 exec_lo, exec_lo, s40
	s_and_saveexec_b32 s40, s31
	s_cbranch_execz .LBB120_1153
.LBB120_1223:                           ;   in Loop: Header=BB120_1040 Depth=2
	ds_read_u8 v39, v0 offset:2304
	s_waitcnt lgkmcnt(0)
	v_lshrrev_b32_e32 v39, s41, v39
	v_and_b32_e32 v126, s62, v39
	s_or_b32 exec_lo, exec_lo, s40
	s_and_saveexec_b32 s40, s30
	s_cbranch_execz .LBB120_1154
.LBB120_1224:                           ;   in Loop: Header=BB120_1040 Depth=2
	ds_read_u8 v39, v0 offset:2560
	s_waitcnt lgkmcnt(0)
	v_lshrrev_b32_e32 v39, s41, v39
	v_and_b32_e32 v125, s62, v39
	s_or_b32 exec_lo, exec_lo, s40
	s_and_saveexec_b32 s40, s29
	s_cbranch_execz .LBB120_1155
.LBB120_1225:                           ;   in Loop: Header=BB120_1040 Depth=2
	ds_read_u8 v39, v0 offset:2816
	s_waitcnt lgkmcnt(0)
	v_lshrrev_b32_e32 v39, s41, v39
	v_and_b32_e32 v124, s62, v39
	s_or_b32 exec_lo, exec_lo, s40
	s_and_saveexec_b32 s40, s28
	s_cbranch_execz .LBB120_1156
.LBB120_1226:                           ;   in Loop: Header=BB120_1040 Depth=2
	ds_read_u8 v39, v0 offset:3072
	s_waitcnt lgkmcnt(0)
	v_lshrrev_b32_e32 v39, s41, v39
	v_and_b32_e32 v123, s62, v39
	s_or_b32 exec_lo, exec_lo, s40
	s_and_saveexec_b32 s40, s27
	s_cbranch_execz .LBB120_1157
.LBB120_1227:                           ;   in Loop: Header=BB120_1040 Depth=2
	ds_read_u8 v39, v0 offset:3328
	s_waitcnt lgkmcnt(0)
	v_lshrrev_b32_e32 v39, s41, v39
	v_and_b32_e32 v122, s62, v39
	s_or_b32 exec_lo, exec_lo, s40
	s_and_saveexec_b32 s40, s26
	s_cbranch_execz .LBB120_1158
.LBB120_1228:                           ;   in Loop: Header=BB120_1040 Depth=2
	ds_read_u8 v39, v0 offset:3584
	s_waitcnt lgkmcnt(0)
	v_lshrrev_b32_e32 v39, s41, v39
	v_and_b32_e32 v121, s62, v39
	s_or_b32 exec_lo, exec_lo, s40
	s_and_saveexec_b32 s40, s25
	s_cbranch_execz .LBB120_1159
.LBB120_1229:                           ;   in Loop: Header=BB120_1040 Depth=2
	ds_read_u8 v39, v0 offset:3840
	s_waitcnt lgkmcnt(0)
	v_lshrrev_b32_e32 v39, s41, v39
	v_and_b32_e32 v120, s62, v39
	s_or_b32 exec_lo, exec_lo, s40
	s_and_saveexec_b32 s40, s24
	s_cbranch_execz .LBB120_1160
.LBB120_1230:                           ;   in Loop: Header=BB120_1040 Depth=2
	ds_read_u8 v39, v0 offset:4096
	s_waitcnt lgkmcnt(0)
	v_lshrrev_b32_e32 v39, s41, v39
	v_and_b32_e32 v119, s62, v39
	s_or_b32 exec_lo, exec_lo, s40
	s_and_saveexec_b32 s40, s23
	s_cbranch_execz .LBB120_1161
.LBB120_1231:                           ;   in Loop: Header=BB120_1040 Depth=2
	ds_read_u8 v39, v0 offset:4352
	s_waitcnt lgkmcnt(0)
	v_lshrrev_b32_e32 v39, s41, v39
	v_and_b32_e32 v118, s62, v39
	s_or_b32 exec_lo, exec_lo, s40
	s_and_saveexec_b32 s40, vcc_lo
	s_cbranch_execnz .LBB120_1162
	s_branch .LBB120_1163
.LBB120_1232:                           ;   in Loop: Header=BB120_1040 Depth=2
	v_lshlrev_b32_e32 v3, 2, v134
	ds_read_b32 v3, v3
	ds_read_b64 v[40:41], v39 offset:512
	s_waitcnt lgkmcnt(1)
	v_add_nc_u32_e32 v3, v3, v0
	v_lshlrev_b64 v[137:138], 3, v[3:4]
	v_add_co_u32 v137, s38, s54, v137
	v_add_co_ci_u32_e64 v138, null, s55, v138, s38
	s_waitcnt lgkmcnt(0)
	global_store_dwordx2 v[137:138], v[40:41], off
	s_or_b32 exec_lo, exec_lo, s40
	s_and_saveexec_b32 s40, s39
	s_cbranch_execz .LBB120_1165
.LBB120_1233:                           ;   in Loop: Header=BB120_1040 Depth=2
	v_lshlrev_b32_e32 v3, 2, v133
	ds_read_b32 v3, v3
	ds_read_b64 v[40:41], v39 offset:2560
	s_waitcnt lgkmcnt(1)
	v_add_nc_u32_e32 v3, v3, v44
	v_lshlrev_b64 v[137:138], 3, v[3:4]
	v_add_co_u32 v137, s38, s54, v137
	v_add_co_ci_u32_e64 v138, null, s55, v138, s38
	s_waitcnt lgkmcnt(0)
	global_store_dwordx2 v[137:138], v[40:41], off
	s_or_b32 exec_lo, exec_lo, s40
	s_and_saveexec_b32 s38, s37
	s_cbranch_execz .LBB120_1166
.LBB120_1234:                           ;   in Loop: Header=BB120_1040 Depth=2
	v_lshlrev_b32_e32 v3, 2, v132
	ds_read_b32 v3, v3
	ds_read_b64 v[40:41], v39 offset:4608
	s_waitcnt lgkmcnt(1)
	v_add_nc_u32_e32 v3, v3, v47
	v_lshlrev_b64 v[137:138], 3, v[3:4]
	v_add_co_u32 v137, s37, s54, v137
	v_add_co_ci_u32_e64 v138, null, s55, v138, s37
	s_waitcnt lgkmcnt(0)
	global_store_dwordx2 v[137:138], v[40:41], off
	s_or_b32 exec_lo, exec_lo, s38
	s_and_saveexec_b32 s37, s36
	s_cbranch_execz .LBB120_1167
.LBB120_1235:                           ;   in Loop: Header=BB120_1040 Depth=2
	v_lshlrev_b32_e32 v3, 2, v131
	ds_read_b32 v3, v3
	ds_read_b64 v[40:41], v39 offset:6656
	s_waitcnt lgkmcnt(1)
	v_add_nc_u32_e32 v3, v3, v48
	v_lshlrev_b64 v[137:138], 3, v[3:4]
	v_add_co_u32 v137, s36, s54, v137
	v_add_co_ci_u32_e64 v138, null, s55, v138, s36
	s_waitcnt lgkmcnt(0)
	global_store_dwordx2 v[137:138], v[40:41], off
	s_or_b32 exec_lo, exec_lo, s37
	s_and_saveexec_b32 s36, s35
	s_cbranch_execz .LBB120_1168
.LBB120_1236:                           ;   in Loop: Header=BB120_1040 Depth=2
	v_lshlrev_b32_e32 v3, 2, v130
	ds_read_b32 v3, v3
	ds_read_b64 v[40:41], v39 offset:8704
	s_waitcnt lgkmcnt(1)
	v_add_nc_u32_e32 v3, v3, v49
	v_lshlrev_b64 v[137:138], 3, v[3:4]
	v_add_co_u32 v137, s35, s54, v137
	v_add_co_ci_u32_e64 v138, null, s55, v138, s35
	s_waitcnt lgkmcnt(0)
	global_store_dwordx2 v[137:138], v[40:41], off
	s_or_b32 exec_lo, exec_lo, s36
	s_and_saveexec_b32 s35, s34
	s_cbranch_execz .LBB120_1169
.LBB120_1237:                           ;   in Loop: Header=BB120_1040 Depth=2
	v_lshlrev_b32_e32 v3, 2, v128
	ds_read_b32 v3, v3
	ds_read_b64 v[40:41], v39 offset:10752
	s_waitcnt lgkmcnt(1)
	v_add_nc_u32_e32 v3, v3, v50
	v_lshlrev_b64 v[137:138], 3, v[3:4]
	v_add_co_u32 v137, s34, s54, v137
	v_add_co_ci_u32_e64 v138, null, s55, v138, s34
	s_waitcnt lgkmcnt(0)
	global_store_dwordx2 v[137:138], v[40:41], off
	s_or_b32 exec_lo, exec_lo, s35
	s_and_saveexec_b32 s34, s33
	s_cbranch_execz .LBB120_1170
.LBB120_1238:                           ;   in Loop: Header=BB120_1040 Depth=2
	v_lshlrev_b32_e32 v3, 2, v127
	ds_read_b32 v3, v3
	ds_read_b64 v[40:41], v39 offset:12800
	s_waitcnt lgkmcnt(1)
	v_add_nc_u32_e32 v3, v3, v51
	v_lshlrev_b64 v[137:138], 3, v[3:4]
	v_add_co_u32 v137, s33, s54, v137
	v_add_co_ci_u32_e64 v138, null, s55, v138, s33
	s_waitcnt lgkmcnt(0)
	global_store_dwordx2 v[137:138], v[40:41], off
	s_or_b32 exec_lo, exec_lo, s34
	s_and_saveexec_b32 s33, s31
	s_cbranch_execz .LBB120_1171
.LBB120_1239:                           ;   in Loop: Header=BB120_1040 Depth=2
	v_lshlrev_b32_e32 v3, 2, v126
	ds_read_b32 v3, v3
	ds_read_b64 v[40:41], v39 offset:14848
	s_waitcnt lgkmcnt(1)
	v_add_nc_u32_e32 v3, v3, v52
	v_lshlrev_b64 v[137:138], 3, v[3:4]
	v_add_co_u32 v137, s31, s54, v137
	v_add_co_ci_u32_e64 v138, null, s55, v138, s31
	s_waitcnt lgkmcnt(0)
	global_store_dwordx2 v[137:138], v[40:41], off
	s_or_b32 exec_lo, exec_lo, s33
	s_and_saveexec_b32 s31, s30
	s_cbranch_execz .LBB120_1172
.LBB120_1240:                           ;   in Loop: Header=BB120_1040 Depth=2
	v_lshlrev_b32_e32 v3, 2, v125
	ds_read_b32 v3, v3
	ds_read_b64 v[40:41], v39 offset:16896
	s_waitcnt lgkmcnt(1)
	v_add_nc_u32_e32 v3, v3, v53
	v_lshlrev_b64 v[137:138], 3, v[3:4]
	v_add_co_u32 v137, s30, s54, v137
	v_add_co_ci_u32_e64 v138, null, s55, v138, s30
	s_waitcnt lgkmcnt(0)
	global_store_dwordx2 v[137:138], v[40:41], off
	s_or_b32 exec_lo, exec_lo, s31
	s_and_saveexec_b32 s30, s29
	s_cbranch_execz .LBB120_1173
.LBB120_1241:                           ;   in Loop: Header=BB120_1040 Depth=2
	v_lshlrev_b32_e32 v3, 2, v124
	ds_read_b32 v3, v3
	ds_read_b64 v[40:41], v39 offset:18944
	s_waitcnt lgkmcnt(1)
	v_add_nc_u32_e32 v3, v3, v54
	v_lshlrev_b64 v[137:138], 3, v[3:4]
	v_add_co_u32 v137, s29, s54, v137
	v_add_co_ci_u32_e64 v138, null, s55, v138, s29
	s_waitcnt lgkmcnt(0)
	global_store_dwordx2 v[137:138], v[40:41], off
	s_or_b32 exec_lo, exec_lo, s30
	s_and_saveexec_b32 s29, s28
	s_cbranch_execz .LBB120_1174
.LBB120_1242:                           ;   in Loop: Header=BB120_1040 Depth=2
	v_lshlrev_b32_e32 v3, 2, v123
	ds_read_b32 v3, v3
	ds_read_b64 v[40:41], v39 offset:20992
	s_waitcnt lgkmcnt(1)
	v_add_nc_u32_e32 v3, v3, v55
	v_lshlrev_b64 v[137:138], 3, v[3:4]
	v_add_co_u32 v137, s28, s54, v137
	v_add_co_ci_u32_e64 v138, null, s55, v138, s28
	s_waitcnt lgkmcnt(0)
	global_store_dwordx2 v[137:138], v[40:41], off
	s_or_b32 exec_lo, exec_lo, s29
	s_and_saveexec_b32 s28, s27
	s_cbranch_execz .LBB120_1175
.LBB120_1243:                           ;   in Loop: Header=BB120_1040 Depth=2
	v_lshlrev_b32_e32 v3, 2, v122
	ds_read_b32 v3, v3
	ds_read_b64 v[40:41], v39 offset:23040
	s_waitcnt lgkmcnt(1)
	v_add_nc_u32_e32 v3, v3, v56
	v_lshlrev_b64 v[137:138], 3, v[3:4]
	v_add_co_u32 v137, s27, s54, v137
	v_add_co_ci_u32_e64 v138, null, s55, v138, s27
	s_waitcnt lgkmcnt(0)
	global_store_dwordx2 v[137:138], v[40:41], off
	s_or_b32 exec_lo, exec_lo, s28
	s_and_saveexec_b32 s27, s26
	s_cbranch_execz .LBB120_1176
.LBB120_1244:                           ;   in Loop: Header=BB120_1040 Depth=2
	v_lshlrev_b32_e32 v3, 2, v121
	ds_read_b32 v3, v3
	ds_read_b64 v[40:41], v39 offset:25088
	s_waitcnt lgkmcnt(1)
	v_add_nc_u32_e32 v3, v3, v57
	v_lshlrev_b64 v[137:138], 3, v[3:4]
	v_add_co_u32 v137, s26, s54, v137
	v_add_co_ci_u32_e64 v138, null, s55, v138, s26
	s_waitcnt lgkmcnt(0)
	global_store_dwordx2 v[137:138], v[40:41], off
	s_or_b32 exec_lo, exec_lo, s27
	s_and_saveexec_b32 s26, s25
	s_cbranch_execz .LBB120_1177
.LBB120_1245:                           ;   in Loop: Header=BB120_1040 Depth=2
	v_lshlrev_b32_e32 v3, 2, v120
	ds_read_b32 v3, v3
	ds_read_b64 v[40:41], v39 offset:27136
	s_waitcnt lgkmcnt(1)
	v_add_nc_u32_e32 v3, v3, v58
	v_lshlrev_b64 v[137:138], 3, v[3:4]
	v_add_co_u32 v137, s25, s54, v137
	v_add_co_ci_u32_e64 v138, null, s55, v138, s25
	s_waitcnt lgkmcnt(0)
	global_store_dwordx2 v[137:138], v[40:41], off
	s_or_b32 exec_lo, exec_lo, s26
	s_and_saveexec_b32 s25, s24
	s_cbranch_execz .LBB120_1178
.LBB120_1246:                           ;   in Loop: Header=BB120_1040 Depth=2
	v_lshlrev_b32_e32 v3, 2, v119
	ds_read_b32 v3, v3
	ds_read_b64 v[40:41], v39 offset:29184
	s_waitcnt lgkmcnt(1)
	v_add_nc_u32_e32 v3, v3, v59
	v_lshlrev_b64 v[137:138], 3, v[3:4]
	v_add_co_u32 v137, s24, s54, v137
	v_add_co_ci_u32_e64 v138, null, s55, v138, s24
	s_waitcnt lgkmcnt(0)
	global_store_dwordx2 v[137:138], v[40:41], off
	s_or_b32 exec_lo, exec_lo, s25
	s_and_saveexec_b32 s24, s23
	s_cbranch_execz .LBB120_1179
.LBB120_1247:                           ;   in Loop: Header=BB120_1040 Depth=2
	v_lshlrev_b32_e32 v3, 2, v118
	ds_read_b32 v3, v3
	ds_read_b64 v[40:41], v39 offset:31232
	s_waitcnt lgkmcnt(1)
	v_add_nc_u32_e32 v3, v3, v60
	v_lshlrev_b64 v[137:138], 3, v[3:4]
	v_add_co_u32 v137, s23, s54, v137
	v_add_co_ci_u32_e64 v138, null, s55, v138, s23
	s_waitcnt lgkmcnt(0)
	global_store_dwordx2 v[137:138], v[40:41], off
	s_or_b32 exec_lo, exec_lo, s24
	s_and_saveexec_b32 s23, vcc_lo
	s_cbranch_execnz .LBB120_1180
	s_branch .LBB120_1181
.LBB120_1248:                           ;   in Loop: Header=BB120_1040 Depth=2
	global_load_ubyte v151, v[39:40], off offset:32
	s_or_b32 exec_lo, exec_lo, s23
	s_mov_b32 s23, exec_lo
	v_cmpx_gt_u32_e64 s63, v101
	s_cbranch_execz .LBB120_1047
.LBB120_1249:                           ;   in Loop: Header=BB120_1040 Depth=2
	global_load_ubyte v147, v[39:40], off offset:64
	s_or_b32 exec_lo, exec_lo, s23
	s_mov_b32 s23, exec_lo
	v_cmpx_gt_u32_e64 s63, v102
	s_cbranch_execz .LBB120_1048
.LBB120_1250:                           ;   in Loop: Header=BB120_1040 Depth=2
	global_load_ubyte v148, v[39:40], off offset:96
	s_or_b32 exec_lo, exec_lo, s23
	s_mov_b32 s23, exec_lo
	v_cmpx_gt_u32_e64 s63, v103
	s_cbranch_execz .LBB120_1049
.LBB120_1251:                           ;   in Loop: Header=BB120_1040 Depth=2
	global_load_ubyte v150, v[39:40], off offset:128
	s_or_b32 exec_lo, exec_lo, s23
	s_mov_b32 s23, exec_lo
	v_cmpx_gt_u32_e64 s63, v104
	s_cbranch_execz .LBB120_1050
.LBB120_1252:                           ;   in Loop: Header=BB120_1040 Depth=2
	global_load_ubyte v143, v[39:40], off offset:160
	s_or_b32 exec_lo, exec_lo, s23
	s_mov_b32 s23, exec_lo
	v_cmpx_gt_u32_e64 s63, v105
	s_cbranch_execz .LBB120_1051
.LBB120_1253:                           ;   in Loop: Header=BB120_1040 Depth=2
	global_load_ubyte v144, v[39:40], off offset:192
	s_or_b32 exec_lo, exec_lo, s23
	s_mov_b32 s23, exec_lo
	v_cmpx_gt_u32_e64 s63, v106
	s_cbranch_execz .LBB120_1052
.LBB120_1254:                           ;   in Loop: Header=BB120_1040 Depth=2
	global_load_ubyte v145, v[39:40], off offset:224
	s_or_b32 exec_lo, exec_lo, s23
	s_mov_b32 s23, exec_lo
	v_cmpx_gt_u32_e64 s63, v107
	s_cbranch_execz .LBB120_1053
.LBB120_1255:                           ;   in Loop: Header=BB120_1040 Depth=2
	global_load_ubyte v142, v[39:40], off offset:256
	s_or_b32 exec_lo, exec_lo, s23
	s_mov_b32 s23, exec_lo
	v_cmpx_gt_u32_e64 s63, v108
	s_cbranch_execz .LBB120_1054
.LBB120_1256:                           ;   in Loop: Header=BB120_1040 Depth=2
	global_load_ubyte v139, v[39:40], off offset:288
	s_or_b32 exec_lo, exec_lo, s23
	s_mov_b32 s23, exec_lo
	v_cmpx_gt_u32_e64 s63, v109
	s_cbranch_execz .LBB120_1055
.LBB120_1257:                           ;   in Loop: Header=BB120_1040 Depth=2
	global_load_ubyte v140, v[39:40], off offset:320
	s_or_b32 exec_lo, exec_lo, s23
	s_mov_b32 s23, exec_lo
	v_cmpx_gt_u32_e64 s63, v110
	s_cbranch_execz .LBB120_1056
.LBB120_1258:                           ;   in Loop: Header=BB120_1040 Depth=2
	global_load_ubyte v141, v[39:40], off offset:352
	s_or_b32 exec_lo, exec_lo, s23
	s_mov_b32 s23, exec_lo
	v_cmpx_gt_u32_e64 s63, v111
	s_cbranch_execz .LBB120_1057
.LBB120_1259:                           ;   in Loop: Header=BB120_1040 Depth=2
	global_load_ubyte v137, v[39:40], off offset:384
	s_or_b32 exec_lo, exec_lo, s23
	s_mov_b32 s23, exec_lo
	v_cmpx_gt_u32_e64 s63, v112
	s_cbranch_execz .LBB120_1058
.LBB120_1260:                           ;   in Loop: Header=BB120_1040 Depth=2
	global_load_ubyte v3, v[39:40], off offset:416
	s_or_b32 exec_lo, exec_lo, s23
	s_mov_b32 s23, exec_lo
	v_cmpx_gt_u32_e64 s63, v113
	s_cbranch_execz .LBB120_1059
.LBB120_1261:                           ;   in Loop: Header=BB120_1040 Depth=2
	global_load_ubyte v41, v[39:40], off offset:448
	s_or_b32 exec_lo, exec_lo, s23
	s_mov_b32 s23, exec_lo
	v_cmpx_gt_u32_e64 s63, v114
	s_cbranch_execnz .LBB120_1060
	s_branch .LBB120_1061
.LBB120_1262:
	s_endpgm
	.section	.rodata,"a",@progbits
	.p2align	6, 0x0
	.amdhsa_kernel _ZN7rocprim17ROCPRIM_400000_NS6detail17trampoline_kernelINS0_14default_configENS1_36segmented_radix_sort_config_selectorIhlEEZNS1_25segmented_radix_sort_implIS3_Lb1EPKhPhPKlPlN2at6native12_GLOBAL__N_18offset_tEEE10hipError_tPvRmT1_PNSt15iterator_traitsISK_E10value_typeET2_T3_PNSL_ISQ_E10value_typeET4_jRbjT5_SW_jjP12ihipStream_tbEUlT_E2_NS1_11comp_targetILNS1_3genE8ELNS1_11target_archE1030ELNS1_3gpuE2ELNS1_3repE0EEENS1_30default_config_static_selectorELNS0_4arch9wavefront6targetE0EEEvSK_
		.amdhsa_group_segment_fixed_size 35344
		.amdhsa_private_segment_fixed_size 240
		.amdhsa_kernarg_size 336
		.amdhsa_user_sgpr_count 6
		.amdhsa_user_sgpr_private_segment_buffer 1
		.amdhsa_user_sgpr_dispatch_ptr 0
		.amdhsa_user_sgpr_queue_ptr 0
		.amdhsa_user_sgpr_kernarg_segment_ptr 1
		.amdhsa_user_sgpr_dispatch_id 0
		.amdhsa_user_sgpr_flat_scratch_init 0
		.amdhsa_user_sgpr_private_segment_size 0
		.amdhsa_wavefront_size32 1
		.amdhsa_uses_dynamic_stack 0
		.amdhsa_system_sgpr_private_segment_wavefront_offset 1
		.amdhsa_system_sgpr_workgroup_id_x 1
		.amdhsa_system_sgpr_workgroup_id_y 1
		.amdhsa_system_sgpr_workgroup_id_z 0
		.amdhsa_system_sgpr_workgroup_info 0
		.amdhsa_system_vgpr_workitem_id 2
		.amdhsa_next_free_vgpr 248
		.amdhsa_next_free_sgpr 68
		.amdhsa_reserve_vcc 1
		.amdhsa_reserve_flat_scratch 0
		.amdhsa_float_round_mode_32 0
		.amdhsa_float_round_mode_16_64 0
		.amdhsa_float_denorm_mode_32 3
		.amdhsa_float_denorm_mode_16_64 3
		.amdhsa_dx10_clamp 1
		.amdhsa_ieee_mode 1
		.amdhsa_fp16_overflow 0
		.amdhsa_workgroup_processor_mode 1
		.amdhsa_memory_ordered 1
		.amdhsa_forward_progress 1
		.amdhsa_shared_vgpr_count 0
		.amdhsa_exception_fp_ieee_invalid_op 0
		.amdhsa_exception_fp_denorm_src 0
		.amdhsa_exception_fp_ieee_div_zero 0
		.amdhsa_exception_fp_ieee_overflow 0
		.amdhsa_exception_fp_ieee_underflow 0
		.amdhsa_exception_fp_ieee_inexact 0
		.amdhsa_exception_int_div_zero 0
	.end_amdhsa_kernel
	.section	.text._ZN7rocprim17ROCPRIM_400000_NS6detail17trampoline_kernelINS0_14default_configENS1_36segmented_radix_sort_config_selectorIhlEEZNS1_25segmented_radix_sort_implIS3_Lb1EPKhPhPKlPlN2at6native12_GLOBAL__N_18offset_tEEE10hipError_tPvRmT1_PNSt15iterator_traitsISK_E10value_typeET2_T3_PNSL_ISQ_E10value_typeET4_jRbjT5_SW_jjP12ihipStream_tbEUlT_E2_NS1_11comp_targetILNS1_3genE8ELNS1_11target_archE1030ELNS1_3gpuE2ELNS1_3repE0EEENS1_30default_config_static_selectorELNS0_4arch9wavefront6targetE0EEEvSK_,"axG",@progbits,_ZN7rocprim17ROCPRIM_400000_NS6detail17trampoline_kernelINS0_14default_configENS1_36segmented_radix_sort_config_selectorIhlEEZNS1_25segmented_radix_sort_implIS3_Lb1EPKhPhPKlPlN2at6native12_GLOBAL__N_18offset_tEEE10hipError_tPvRmT1_PNSt15iterator_traitsISK_E10value_typeET2_T3_PNSL_ISQ_E10value_typeET4_jRbjT5_SW_jjP12ihipStream_tbEUlT_E2_NS1_11comp_targetILNS1_3genE8ELNS1_11target_archE1030ELNS1_3gpuE2ELNS1_3repE0EEENS1_30default_config_static_selectorELNS0_4arch9wavefront6targetE0EEEvSK_,comdat
.Lfunc_end120:
	.size	_ZN7rocprim17ROCPRIM_400000_NS6detail17trampoline_kernelINS0_14default_configENS1_36segmented_radix_sort_config_selectorIhlEEZNS1_25segmented_radix_sort_implIS3_Lb1EPKhPhPKlPlN2at6native12_GLOBAL__N_18offset_tEEE10hipError_tPvRmT1_PNSt15iterator_traitsISK_E10value_typeET2_T3_PNSL_ISQ_E10value_typeET4_jRbjT5_SW_jjP12ihipStream_tbEUlT_E2_NS1_11comp_targetILNS1_3genE8ELNS1_11target_archE1030ELNS1_3gpuE2ELNS1_3repE0EEENS1_30default_config_static_selectorELNS0_4arch9wavefront6targetE0EEEvSK_, .Lfunc_end120-_ZN7rocprim17ROCPRIM_400000_NS6detail17trampoline_kernelINS0_14default_configENS1_36segmented_radix_sort_config_selectorIhlEEZNS1_25segmented_radix_sort_implIS3_Lb1EPKhPhPKlPlN2at6native12_GLOBAL__N_18offset_tEEE10hipError_tPvRmT1_PNSt15iterator_traitsISK_E10value_typeET2_T3_PNSL_ISQ_E10value_typeET4_jRbjT5_SW_jjP12ihipStream_tbEUlT_E2_NS1_11comp_targetILNS1_3genE8ELNS1_11target_archE1030ELNS1_3gpuE2ELNS1_3repE0EEENS1_30default_config_static_selectorELNS0_4arch9wavefront6targetE0EEEvSK_
                                        ; -- End function
	.set _ZN7rocprim17ROCPRIM_400000_NS6detail17trampoline_kernelINS0_14default_configENS1_36segmented_radix_sort_config_selectorIhlEEZNS1_25segmented_radix_sort_implIS3_Lb1EPKhPhPKlPlN2at6native12_GLOBAL__N_18offset_tEEE10hipError_tPvRmT1_PNSt15iterator_traitsISK_E10value_typeET2_T3_PNSL_ISQ_E10value_typeET4_jRbjT5_SW_jjP12ihipStream_tbEUlT_E2_NS1_11comp_targetILNS1_3genE8ELNS1_11target_archE1030ELNS1_3gpuE2ELNS1_3repE0EEENS1_30default_config_static_selectorELNS0_4arch9wavefront6targetE0EEEvSK_.num_vgpr, max(205, .L_ZN7rocprim17ROCPRIM_400000_NS6detail26segmented_warp_sort_helperINS1_20WarpSortHelperConfigILj32ELj4ELj256EEEhlLi256ELb1EvE4sortIPKhPhPKlPlEEvT_T0_T1_T2_jjjjRNS5_12storage_typeE.num_vgpr, .L_ZN7rocprim17ROCPRIM_400000_NS6detail40segmented_radix_sort_single_block_helperIhlLj256ELj17ELb1EE4sortIPKhPhPKlPlEEbT_T0_T1_T2_jjjjRNS3_12storage_typeE.num_vgpr)
	.set _ZN7rocprim17ROCPRIM_400000_NS6detail17trampoline_kernelINS0_14default_configENS1_36segmented_radix_sort_config_selectorIhlEEZNS1_25segmented_radix_sort_implIS3_Lb1EPKhPhPKlPlN2at6native12_GLOBAL__N_18offset_tEEE10hipError_tPvRmT1_PNSt15iterator_traitsISK_E10value_typeET2_T3_PNSL_ISQ_E10value_typeET4_jRbjT5_SW_jjP12ihipStream_tbEUlT_E2_NS1_11comp_targetILNS1_3genE8ELNS1_11target_archE1030ELNS1_3gpuE2ELNS1_3repE0EEENS1_30default_config_static_selectorELNS0_4arch9wavefront6targetE0EEEvSK_.num_agpr, max(0, .L_ZN7rocprim17ROCPRIM_400000_NS6detail26segmented_warp_sort_helperINS1_20WarpSortHelperConfigILj32ELj4ELj256EEEhlLi256ELb1EvE4sortIPKhPhPKlPlEEvT_T0_T1_T2_jjjjRNS5_12storage_typeE.num_agpr, .L_ZN7rocprim17ROCPRIM_400000_NS6detail40segmented_radix_sort_single_block_helperIhlLj256ELj17ELb1EE4sortIPKhPhPKlPlEEbT_T0_T1_T2_jjjjRNS3_12storage_typeE.num_agpr)
	.set _ZN7rocprim17ROCPRIM_400000_NS6detail17trampoline_kernelINS0_14default_configENS1_36segmented_radix_sort_config_selectorIhlEEZNS1_25segmented_radix_sort_implIS3_Lb1EPKhPhPKlPlN2at6native12_GLOBAL__N_18offset_tEEE10hipError_tPvRmT1_PNSt15iterator_traitsISK_E10value_typeET2_T3_PNSL_ISQ_E10value_typeET4_jRbjT5_SW_jjP12ihipStream_tbEUlT_E2_NS1_11comp_targetILNS1_3genE8ELNS1_11target_archE1030ELNS1_3gpuE2ELNS1_3repE0EEENS1_30default_config_static_selectorELNS0_4arch9wavefront6targetE0EEEvSK_.numbered_sgpr, max(68, .L_ZN7rocprim17ROCPRIM_400000_NS6detail26segmented_warp_sort_helperINS1_20WarpSortHelperConfigILj32ELj4ELj256EEEhlLi256ELb1EvE4sortIPKhPhPKlPlEEvT_T0_T1_T2_jjjjRNS5_12storage_typeE.numbered_sgpr, .L_ZN7rocprim17ROCPRIM_400000_NS6detail40segmented_radix_sort_single_block_helperIhlLj256ELj17ELb1EE4sortIPKhPhPKlPlEEbT_T0_T1_T2_jjjjRNS3_12storage_typeE.numbered_sgpr)
	.set _ZN7rocprim17ROCPRIM_400000_NS6detail17trampoline_kernelINS0_14default_configENS1_36segmented_radix_sort_config_selectorIhlEEZNS1_25segmented_radix_sort_implIS3_Lb1EPKhPhPKlPlN2at6native12_GLOBAL__N_18offset_tEEE10hipError_tPvRmT1_PNSt15iterator_traitsISK_E10value_typeET2_T3_PNSL_ISQ_E10value_typeET4_jRbjT5_SW_jjP12ihipStream_tbEUlT_E2_NS1_11comp_targetILNS1_3genE8ELNS1_11target_archE1030ELNS1_3gpuE2ELNS1_3repE0EEENS1_30default_config_static_selectorELNS0_4arch9wavefront6targetE0EEEvSK_.num_named_barrier, max(0, .L_ZN7rocprim17ROCPRIM_400000_NS6detail26segmented_warp_sort_helperINS1_20WarpSortHelperConfigILj32ELj4ELj256EEEhlLi256ELb1EvE4sortIPKhPhPKlPlEEvT_T0_T1_T2_jjjjRNS5_12storage_typeE.num_named_barrier, .L_ZN7rocprim17ROCPRIM_400000_NS6detail40segmented_radix_sort_single_block_helperIhlLj256ELj17ELb1EE4sortIPKhPhPKlPlEEbT_T0_T1_T2_jjjjRNS3_12storage_typeE.num_named_barrier)
	.set _ZN7rocprim17ROCPRIM_400000_NS6detail17trampoline_kernelINS0_14default_configENS1_36segmented_radix_sort_config_selectorIhlEEZNS1_25segmented_radix_sort_implIS3_Lb1EPKhPhPKlPlN2at6native12_GLOBAL__N_18offset_tEEE10hipError_tPvRmT1_PNSt15iterator_traitsISK_E10value_typeET2_T3_PNSL_ISQ_E10value_typeET4_jRbjT5_SW_jjP12ihipStream_tbEUlT_E2_NS1_11comp_targetILNS1_3genE8ELNS1_11target_archE1030ELNS1_3gpuE2ELNS1_3repE0EEENS1_30default_config_static_selectorELNS0_4arch9wavefront6targetE0EEEvSK_.private_seg_size, 0+max(.L_ZN7rocprim17ROCPRIM_400000_NS6detail26segmented_warp_sort_helperINS1_20WarpSortHelperConfigILj32ELj4ELj256EEEhlLi256ELb1EvE4sortIPKhPhPKlPlEEvT_T0_T1_T2_jjjjRNS5_12storage_typeE.private_seg_size, .L_ZN7rocprim17ROCPRIM_400000_NS6detail40segmented_radix_sort_single_block_helperIhlLj256ELj17ELb1EE4sortIPKhPhPKlPlEEbT_T0_T1_T2_jjjjRNS3_12storage_typeE.private_seg_size)
	.set _ZN7rocprim17ROCPRIM_400000_NS6detail17trampoline_kernelINS0_14default_configENS1_36segmented_radix_sort_config_selectorIhlEEZNS1_25segmented_radix_sort_implIS3_Lb1EPKhPhPKlPlN2at6native12_GLOBAL__N_18offset_tEEE10hipError_tPvRmT1_PNSt15iterator_traitsISK_E10value_typeET2_T3_PNSL_ISQ_E10value_typeET4_jRbjT5_SW_jjP12ihipStream_tbEUlT_E2_NS1_11comp_targetILNS1_3genE8ELNS1_11target_archE1030ELNS1_3gpuE2ELNS1_3repE0EEENS1_30default_config_static_selectorELNS0_4arch9wavefront6targetE0EEEvSK_.uses_vcc, or(1, .L_ZN7rocprim17ROCPRIM_400000_NS6detail26segmented_warp_sort_helperINS1_20WarpSortHelperConfigILj32ELj4ELj256EEEhlLi256ELb1EvE4sortIPKhPhPKlPlEEvT_T0_T1_T2_jjjjRNS5_12storage_typeE.uses_vcc, .L_ZN7rocprim17ROCPRIM_400000_NS6detail40segmented_radix_sort_single_block_helperIhlLj256ELj17ELb1EE4sortIPKhPhPKlPlEEbT_T0_T1_T2_jjjjRNS3_12storage_typeE.uses_vcc)
	.set _ZN7rocprim17ROCPRIM_400000_NS6detail17trampoline_kernelINS0_14default_configENS1_36segmented_radix_sort_config_selectorIhlEEZNS1_25segmented_radix_sort_implIS3_Lb1EPKhPhPKlPlN2at6native12_GLOBAL__N_18offset_tEEE10hipError_tPvRmT1_PNSt15iterator_traitsISK_E10value_typeET2_T3_PNSL_ISQ_E10value_typeET4_jRbjT5_SW_jjP12ihipStream_tbEUlT_E2_NS1_11comp_targetILNS1_3genE8ELNS1_11target_archE1030ELNS1_3gpuE2ELNS1_3repE0EEENS1_30default_config_static_selectorELNS0_4arch9wavefront6targetE0EEEvSK_.uses_flat_scratch, or(0, .L_ZN7rocprim17ROCPRIM_400000_NS6detail26segmented_warp_sort_helperINS1_20WarpSortHelperConfigILj32ELj4ELj256EEEhlLi256ELb1EvE4sortIPKhPhPKlPlEEvT_T0_T1_T2_jjjjRNS5_12storage_typeE.uses_flat_scratch, .L_ZN7rocprim17ROCPRIM_400000_NS6detail40segmented_radix_sort_single_block_helperIhlLj256ELj17ELb1EE4sortIPKhPhPKlPlEEbT_T0_T1_T2_jjjjRNS3_12storage_typeE.uses_flat_scratch)
	.set _ZN7rocprim17ROCPRIM_400000_NS6detail17trampoline_kernelINS0_14default_configENS1_36segmented_radix_sort_config_selectorIhlEEZNS1_25segmented_radix_sort_implIS3_Lb1EPKhPhPKlPlN2at6native12_GLOBAL__N_18offset_tEEE10hipError_tPvRmT1_PNSt15iterator_traitsISK_E10value_typeET2_T3_PNSL_ISQ_E10value_typeET4_jRbjT5_SW_jjP12ihipStream_tbEUlT_E2_NS1_11comp_targetILNS1_3genE8ELNS1_11target_archE1030ELNS1_3gpuE2ELNS1_3repE0EEENS1_30default_config_static_selectorELNS0_4arch9wavefront6targetE0EEEvSK_.has_dyn_sized_stack, or(0, .L_ZN7rocprim17ROCPRIM_400000_NS6detail26segmented_warp_sort_helperINS1_20WarpSortHelperConfigILj32ELj4ELj256EEEhlLi256ELb1EvE4sortIPKhPhPKlPlEEvT_T0_T1_T2_jjjjRNS5_12storage_typeE.has_dyn_sized_stack, .L_ZN7rocprim17ROCPRIM_400000_NS6detail40segmented_radix_sort_single_block_helperIhlLj256ELj17ELb1EE4sortIPKhPhPKlPlEEbT_T0_T1_T2_jjjjRNS3_12storage_typeE.has_dyn_sized_stack)
	.set _ZN7rocprim17ROCPRIM_400000_NS6detail17trampoline_kernelINS0_14default_configENS1_36segmented_radix_sort_config_selectorIhlEEZNS1_25segmented_radix_sort_implIS3_Lb1EPKhPhPKlPlN2at6native12_GLOBAL__N_18offset_tEEE10hipError_tPvRmT1_PNSt15iterator_traitsISK_E10value_typeET2_T3_PNSL_ISQ_E10value_typeET4_jRbjT5_SW_jjP12ihipStream_tbEUlT_E2_NS1_11comp_targetILNS1_3genE8ELNS1_11target_archE1030ELNS1_3gpuE2ELNS1_3repE0EEENS1_30default_config_static_selectorELNS0_4arch9wavefront6targetE0EEEvSK_.has_recursion, or(0, .L_ZN7rocprim17ROCPRIM_400000_NS6detail26segmented_warp_sort_helperINS1_20WarpSortHelperConfigILj32ELj4ELj256EEEhlLi256ELb1EvE4sortIPKhPhPKlPlEEvT_T0_T1_T2_jjjjRNS5_12storage_typeE.has_recursion, .L_ZN7rocprim17ROCPRIM_400000_NS6detail40segmented_radix_sort_single_block_helperIhlLj256ELj17ELb1EE4sortIPKhPhPKlPlEEbT_T0_T1_T2_jjjjRNS3_12storage_typeE.has_recursion)
	.set _ZN7rocprim17ROCPRIM_400000_NS6detail17trampoline_kernelINS0_14default_configENS1_36segmented_radix_sort_config_selectorIhlEEZNS1_25segmented_radix_sort_implIS3_Lb1EPKhPhPKlPlN2at6native12_GLOBAL__N_18offset_tEEE10hipError_tPvRmT1_PNSt15iterator_traitsISK_E10value_typeET2_T3_PNSL_ISQ_E10value_typeET4_jRbjT5_SW_jjP12ihipStream_tbEUlT_E2_NS1_11comp_targetILNS1_3genE8ELNS1_11target_archE1030ELNS1_3gpuE2ELNS1_3repE0EEENS1_30default_config_static_selectorELNS0_4arch9wavefront6targetE0EEEvSK_.has_indirect_call, or(0, .L_ZN7rocprim17ROCPRIM_400000_NS6detail26segmented_warp_sort_helperINS1_20WarpSortHelperConfigILj32ELj4ELj256EEEhlLi256ELb1EvE4sortIPKhPhPKlPlEEvT_T0_T1_T2_jjjjRNS5_12storage_typeE.has_indirect_call, .L_ZN7rocprim17ROCPRIM_400000_NS6detail40segmented_radix_sort_single_block_helperIhlLj256ELj17ELb1EE4sortIPKhPhPKlPlEEbT_T0_T1_T2_jjjjRNS3_12storage_typeE.has_indirect_call)
	.section	.AMDGPU.csdata,"",@progbits
; Kernel info:
; codeLenInByte = 65412
; TotalNumSgprs: 70
; NumVgprs: 248
; ScratchSize: 240
; MemoryBound: 0
; FloatMode: 240
; IeeeMode: 1
; LDSByteSize: 35344 bytes/workgroup (compile time only)
; SGPRBlocks: 0
; VGPRBlocks: 30
; NumSGPRsForWavesPerEU: 70
; NumVGPRsForWavesPerEU: 248
; Occupancy: 4
; WaveLimiterHint : 1
; COMPUTE_PGM_RSRC2:SCRATCH_EN: 1
; COMPUTE_PGM_RSRC2:USER_SGPR: 6
; COMPUTE_PGM_RSRC2:TRAP_HANDLER: 0
; COMPUTE_PGM_RSRC2:TGID_X_EN: 1
; COMPUTE_PGM_RSRC2:TGID_Y_EN: 1
; COMPUTE_PGM_RSRC2:TGID_Z_EN: 0
; COMPUTE_PGM_RSRC2:TIDIG_COMP_CNT: 2
	.section	.text._ZN7rocprim17ROCPRIM_400000_NS6detail17trampoline_kernelINS0_13select_configILj256ELj13ELNS0_17block_load_methodE3ELS4_3ELS4_3ELNS0_20block_scan_algorithmE0ELj4294967295EEENS1_25partition_config_selectorILNS1_17partition_subalgoE4EjNS0_10empty_typeEbEEZZNS1_14partition_implILS8_4ELb0ES6_15HIP_vector_typeIjLj2EENS0_17counting_iteratorIjlEEPS9_SG_NS0_5tupleIJPjSI_NS0_16reverse_iteratorISI_EEEEENSH_IJSG_SG_SG_EEES9_SI_JZNS1_25segmented_radix_sort_implINS0_14default_configELb0EPKhPhPKlPlN2at6native12_GLOBAL__N_18offset_tEEE10hipError_tPvRmT1_PNSt15iterator_traitsIS12_E10value_typeET2_T3_PNS13_IS18_E10value_typeET4_jRbjT5_S1E_jjP12ihipStream_tbEUljE_ZNSN_ISO_Lb0ESQ_SR_ST_SU_SY_EESZ_S10_S11_S12_S16_S17_S18_S1B_S1C_jS1D_jS1E_S1E_jjS1G_bEUljE0_EEESZ_S10_S11_S18_S1C_S1E_T6_T7_T9_mT8_S1G_bDpT10_ENKUlT_T0_E_clISt17integral_constantIbLb0EES1U_EEDaS1P_S1Q_EUlS1P_E_NS1_11comp_targetILNS1_3genE0ELNS1_11target_archE4294967295ELNS1_3gpuE0ELNS1_3repE0EEENS1_30default_config_static_selectorELNS0_4arch9wavefront6targetE0EEEvS12_,"axG",@progbits,_ZN7rocprim17ROCPRIM_400000_NS6detail17trampoline_kernelINS0_13select_configILj256ELj13ELNS0_17block_load_methodE3ELS4_3ELS4_3ELNS0_20block_scan_algorithmE0ELj4294967295EEENS1_25partition_config_selectorILNS1_17partition_subalgoE4EjNS0_10empty_typeEbEEZZNS1_14partition_implILS8_4ELb0ES6_15HIP_vector_typeIjLj2EENS0_17counting_iteratorIjlEEPS9_SG_NS0_5tupleIJPjSI_NS0_16reverse_iteratorISI_EEEEENSH_IJSG_SG_SG_EEES9_SI_JZNS1_25segmented_radix_sort_implINS0_14default_configELb0EPKhPhPKlPlN2at6native12_GLOBAL__N_18offset_tEEE10hipError_tPvRmT1_PNSt15iterator_traitsIS12_E10value_typeET2_T3_PNS13_IS18_E10value_typeET4_jRbjT5_S1E_jjP12ihipStream_tbEUljE_ZNSN_ISO_Lb0ESQ_SR_ST_SU_SY_EESZ_S10_S11_S12_S16_S17_S18_S1B_S1C_jS1D_jS1E_S1E_jjS1G_bEUljE0_EEESZ_S10_S11_S18_S1C_S1E_T6_T7_T9_mT8_S1G_bDpT10_ENKUlT_T0_E_clISt17integral_constantIbLb0EES1U_EEDaS1P_S1Q_EUlS1P_E_NS1_11comp_targetILNS1_3genE0ELNS1_11target_archE4294967295ELNS1_3gpuE0ELNS1_3repE0EEENS1_30default_config_static_selectorELNS0_4arch9wavefront6targetE0EEEvS12_,comdat
	.globl	_ZN7rocprim17ROCPRIM_400000_NS6detail17trampoline_kernelINS0_13select_configILj256ELj13ELNS0_17block_load_methodE3ELS4_3ELS4_3ELNS0_20block_scan_algorithmE0ELj4294967295EEENS1_25partition_config_selectorILNS1_17partition_subalgoE4EjNS0_10empty_typeEbEEZZNS1_14partition_implILS8_4ELb0ES6_15HIP_vector_typeIjLj2EENS0_17counting_iteratorIjlEEPS9_SG_NS0_5tupleIJPjSI_NS0_16reverse_iteratorISI_EEEEENSH_IJSG_SG_SG_EEES9_SI_JZNS1_25segmented_radix_sort_implINS0_14default_configELb0EPKhPhPKlPlN2at6native12_GLOBAL__N_18offset_tEEE10hipError_tPvRmT1_PNSt15iterator_traitsIS12_E10value_typeET2_T3_PNS13_IS18_E10value_typeET4_jRbjT5_S1E_jjP12ihipStream_tbEUljE_ZNSN_ISO_Lb0ESQ_SR_ST_SU_SY_EESZ_S10_S11_S12_S16_S17_S18_S1B_S1C_jS1D_jS1E_S1E_jjS1G_bEUljE0_EEESZ_S10_S11_S18_S1C_S1E_T6_T7_T9_mT8_S1G_bDpT10_ENKUlT_T0_E_clISt17integral_constantIbLb0EES1U_EEDaS1P_S1Q_EUlS1P_E_NS1_11comp_targetILNS1_3genE0ELNS1_11target_archE4294967295ELNS1_3gpuE0ELNS1_3repE0EEENS1_30default_config_static_selectorELNS0_4arch9wavefront6targetE0EEEvS12_ ; -- Begin function _ZN7rocprim17ROCPRIM_400000_NS6detail17trampoline_kernelINS0_13select_configILj256ELj13ELNS0_17block_load_methodE3ELS4_3ELS4_3ELNS0_20block_scan_algorithmE0ELj4294967295EEENS1_25partition_config_selectorILNS1_17partition_subalgoE4EjNS0_10empty_typeEbEEZZNS1_14partition_implILS8_4ELb0ES6_15HIP_vector_typeIjLj2EENS0_17counting_iteratorIjlEEPS9_SG_NS0_5tupleIJPjSI_NS0_16reverse_iteratorISI_EEEEENSH_IJSG_SG_SG_EEES9_SI_JZNS1_25segmented_radix_sort_implINS0_14default_configELb0EPKhPhPKlPlN2at6native12_GLOBAL__N_18offset_tEEE10hipError_tPvRmT1_PNSt15iterator_traitsIS12_E10value_typeET2_T3_PNS13_IS18_E10value_typeET4_jRbjT5_S1E_jjP12ihipStream_tbEUljE_ZNSN_ISO_Lb0ESQ_SR_ST_SU_SY_EESZ_S10_S11_S12_S16_S17_S18_S1B_S1C_jS1D_jS1E_S1E_jjS1G_bEUljE0_EEESZ_S10_S11_S18_S1C_S1E_T6_T7_T9_mT8_S1G_bDpT10_ENKUlT_T0_E_clISt17integral_constantIbLb0EES1U_EEDaS1P_S1Q_EUlS1P_E_NS1_11comp_targetILNS1_3genE0ELNS1_11target_archE4294967295ELNS1_3gpuE0ELNS1_3repE0EEENS1_30default_config_static_selectorELNS0_4arch9wavefront6targetE0EEEvS12_
	.p2align	8
	.type	_ZN7rocprim17ROCPRIM_400000_NS6detail17trampoline_kernelINS0_13select_configILj256ELj13ELNS0_17block_load_methodE3ELS4_3ELS4_3ELNS0_20block_scan_algorithmE0ELj4294967295EEENS1_25partition_config_selectorILNS1_17partition_subalgoE4EjNS0_10empty_typeEbEEZZNS1_14partition_implILS8_4ELb0ES6_15HIP_vector_typeIjLj2EENS0_17counting_iteratorIjlEEPS9_SG_NS0_5tupleIJPjSI_NS0_16reverse_iteratorISI_EEEEENSH_IJSG_SG_SG_EEES9_SI_JZNS1_25segmented_radix_sort_implINS0_14default_configELb0EPKhPhPKlPlN2at6native12_GLOBAL__N_18offset_tEEE10hipError_tPvRmT1_PNSt15iterator_traitsIS12_E10value_typeET2_T3_PNS13_IS18_E10value_typeET4_jRbjT5_S1E_jjP12ihipStream_tbEUljE_ZNSN_ISO_Lb0ESQ_SR_ST_SU_SY_EESZ_S10_S11_S12_S16_S17_S18_S1B_S1C_jS1D_jS1E_S1E_jjS1G_bEUljE0_EEESZ_S10_S11_S18_S1C_S1E_T6_T7_T9_mT8_S1G_bDpT10_ENKUlT_T0_E_clISt17integral_constantIbLb0EES1U_EEDaS1P_S1Q_EUlS1P_E_NS1_11comp_targetILNS1_3genE0ELNS1_11target_archE4294967295ELNS1_3gpuE0ELNS1_3repE0EEENS1_30default_config_static_selectorELNS0_4arch9wavefront6targetE0EEEvS12_,@function
_ZN7rocprim17ROCPRIM_400000_NS6detail17trampoline_kernelINS0_13select_configILj256ELj13ELNS0_17block_load_methodE3ELS4_3ELS4_3ELNS0_20block_scan_algorithmE0ELj4294967295EEENS1_25partition_config_selectorILNS1_17partition_subalgoE4EjNS0_10empty_typeEbEEZZNS1_14partition_implILS8_4ELb0ES6_15HIP_vector_typeIjLj2EENS0_17counting_iteratorIjlEEPS9_SG_NS0_5tupleIJPjSI_NS0_16reverse_iteratorISI_EEEEENSH_IJSG_SG_SG_EEES9_SI_JZNS1_25segmented_radix_sort_implINS0_14default_configELb0EPKhPhPKlPlN2at6native12_GLOBAL__N_18offset_tEEE10hipError_tPvRmT1_PNSt15iterator_traitsIS12_E10value_typeET2_T3_PNS13_IS18_E10value_typeET4_jRbjT5_S1E_jjP12ihipStream_tbEUljE_ZNSN_ISO_Lb0ESQ_SR_ST_SU_SY_EESZ_S10_S11_S12_S16_S17_S18_S1B_S1C_jS1D_jS1E_S1E_jjS1G_bEUljE0_EEESZ_S10_S11_S18_S1C_S1E_T6_T7_T9_mT8_S1G_bDpT10_ENKUlT_T0_E_clISt17integral_constantIbLb0EES1U_EEDaS1P_S1Q_EUlS1P_E_NS1_11comp_targetILNS1_3genE0ELNS1_11target_archE4294967295ELNS1_3gpuE0ELNS1_3repE0EEENS1_30default_config_static_selectorELNS0_4arch9wavefront6targetE0EEEvS12_: ; @_ZN7rocprim17ROCPRIM_400000_NS6detail17trampoline_kernelINS0_13select_configILj256ELj13ELNS0_17block_load_methodE3ELS4_3ELS4_3ELNS0_20block_scan_algorithmE0ELj4294967295EEENS1_25partition_config_selectorILNS1_17partition_subalgoE4EjNS0_10empty_typeEbEEZZNS1_14partition_implILS8_4ELb0ES6_15HIP_vector_typeIjLj2EENS0_17counting_iteratorIjlEEPS9_SG_NS0_5tupleIJPjSI_NS0_16reverse_iteratorISI_EEEEENSH_IJSG_SG_SG_EEES9_SI_JZNS1_25segmented_radix_sort_implINS0_14default_configELb0EPKhPhPKlPlN2at6native12_GLOBAL__N_18offset_tEEE10hipError_tPvRmT1_PNSt15iterator_traitsIS12_E10value_typeET2_T3_PNS13_IS18_E10value_typeET4_jRbjT5_S1E_jjP12ihipStream_tbEUljE_ZNSN_ISO_Lb0ESQ_SR_ST_SU_SY_EESZ_S10_S11_S12_S16_S17_S18_S1B_S1C_jS1D_jS1E_S1E_jjS1G_bEUljE0_EEESZ_S10_S11_S18_S1C_S1E_T6_T7_T9_mT8_S1G_bDpT10_ENKUlT_T0_E_clISt17integral_constantIbLb0EES1U_EEDaS1P_S1Q_EUlS1P_E_NS1_11comp_targetILNS1_3genE0ELNS1_11target_archE4294967295ELNS1_3gpuE0ELNS1_3repE0EEENS1_30default_config_static_selectorELNS0_4arch9wavefront6targetE0EEEvS12_
; %bb.0:
	.section	.rodata,"a",@progbits
	.p2align	6, 0x0
	.amdhsa_kernel _ZN7rocprim17ROCPRIM_400000_NS6detail17trampoline_kernelINS0_13select_configILj256ELj13ELNS0_17block_load_methodE3ELS4_3ELS4_3ELNS0_20block_scan_algorithmE0ELj4294967295EEENS1_25partition_config_selectorILNS1_17partition_subalgoE4EjNS0_10empty_typeEbEEZZNS1_14partition_implILS8_4ELb0ES6_15HIP_vector_typeIjLj2EENS0_17counting_iteratorIjlEEPS9_SG_NS0_5tupleIJPjSI_NS0_16reverse_iteratorISI_EEEEENSH_IJSG_SG_SG_EEES9_SI_JZNS1_25segmented_radix_sort_implINS0_14default_configELb0EPKhPhPKlPlN2at6native12_GLOBAL__N_18offset_tEEE10hipError_tPvRmT1_PNSt15iterator_traitsIS12_E10value_typeET2_T3_PNS13_IS18_E10value_typeET4_jRbjT5_S1E_jjP12ihipStream_tbEUljE_ZNSN_ISO_Lb0ESQ_SR_ST_SU_SY_EESZ_S10_S11_S12_S16_S17_S18_S1B_S1C_jS1D_jS1E_S1E_jjS1G_bEUljE0_EEESZ_S10_S11_S18_S1C_S1E_T6_T7_T9_mT8_S1G_bDpT10_ENKUlT_T0_E_clISt17integral_constantIbLb0EES1U_EEDaS1P_S1Q_EUlS1P_E_NS1_11comp_targetILNS1_3genE0ELNS1_11target_archE4294967295ELNS1_3gpuE0ELNS1_3repE0EEENS1_30default_config_static_selectorELNS0_4arch9wavefront6targetE0EEEvS12_
		.amdhsa_group_segment_fixed_size 0
		.amdhsa_private_segment_fixed_size 0
		.amdhsa_kernarg_size 176
		.amdhsa_user_sgpr_count 6
		.amdhsa_user_sgpr_private_segment_buffer 1
		.amdhsa_user_sgpr_dispatch_ptr 0
		.amdhsa_user_sgpr_queue_ptr 0
		.amdhsa_user_sgpr_kernarg_segment_ptr 1
		.amdhsa_user_sgpr_dispatch_id 0
		.amdhsa_user_sgpr_flat_scratch_init 0
		.amdhsa_user_sgpr_private_segment_size 0
		.amdhsa_wavefront_size32 1
		.amdhsa_uses_dynamic_stack 0
		.amdhsa_system_sgpr_private_segment_wavefront_offset 0
		.amdhsa_system_sgpr_workgroup_id_x 1
		.amdhsa_system_sgpr_workgroup_id_y 0
		.amdhsa_system_sgpr_workgroup_id_z 0
		.amdhsa_system_sgpr_workgroup_info 0
		.amdhsa_system_vgpr_workitem_id 0
		.amdhsa_next_free_vgpr 1
		.amdhsa_next_free_sgpr 1
		.amdhsa_reserve_vcc 0
		.amdhsa_reserve_flat_scratch 0
		.amdhsa_float_round_mode_32 0
		.amdhsa_float_round_mode_16_64 0
		.amdhsa_float_denorm_mode_32 3
		.amdhsa_float_denorm_mode_16_64 3
		.amdhsa_dx10_clamp 1
		.amdhsa_ieee_mode 1
		.amdhsa_fp16_overflow 0
		.amdhsa_workgroup_processor_mode 1
		.amdhsa_memory_ordered 1
		.amdhsa_forward_progress 1
		.amdhsa_shared_vgpr_count 0
		.amdhsa_exception_fp_ieee_invalid_op 0
		.amdhsa_exception_fp_denorm_src 0
		.amdhsa_exception_fp_ieee_div_zero 0
		.amdhsa_exception_fp_ieee_overflow 0
		.amdhsa_exception_fp_ieee_underflow 0
		.amdhsa_exception_fp_ieee_inexact 0
		.amdhsa_exception_int_div_zero 0
	.end_amdhsa_kernel
	.section	.text._ZN7rocprim17ROCPRIM_400000_NS6detail17trampoline_kernelINS0_13select_configILj256ELj13ELNS0_17block_load_methodE3ELS4_3ELS4_3ELNS0_20block_scan_algorithmE0ELj4294967295EEENS1_25partition_config_selectorILNS1_17partition_subalgoE4EjNS0_10empty_typeEbEEZZNS1_14partition_implILS8_4ELb0ES6_15HIP_vector_typeIjLj2EENS0_17counting_iteratorIjlEEPS9_SG_NS0_5tupleIJPjSI_NS0_16reverse_iteratorISI_EEEEENSH_IJSG_SG_SG_EEES9_SI_JZNS1_25segmented_radix_sort_implINS0_14default_configELb0EPKhPhPKlPlN2at6native12_GLOBAL__N_18offset_tEEE10hipError_tPvRmT1_PNSt15iterator_traitsIS12_E10value_typeET2_T3_PNS13_IS18_E10value_typeET4_jRbjT5_S1E_jjP12ihipStream_tbEUljE_ZNSN_ISO_Lb0ESQ_SR_ST_SU_SY_EESZ_S10_S11_S12_S16_S17_S18_S1B_S1C_jS1D_jS1E_S1E_jjS1G_bEUljE0_EEESZ_S10_S11_S18_S1C_S1E_T6_T7_T9_mT8_S1G_bDpT10_ENKUlT_T0_E_clISt17integral_constantIbLb0EES1U_EEDaS1P_S1Q_EUlS1P_E_NS1_11comp_targetILNS1_3genE0ELNS1_11target_archE4294967295ELNS1_3gpuE0ELNS1_3repE0EEENS1_30default_config_static_selectorELNS0_4arch9wavefront6targetE0EEEvS12_,"axG",@progbits,_ZN7rocprim17ROCPRIM_400000_NS6detail17trampoline_kernelINS0_13select_configILj256ELj13ELNS0_17block_load_methodE3ELS4_3ELS4_3ELNS0_20block_scan_algorithmE0ELj4294967295EEENS1_25partition_config_selectorILNS1_17partition_subalgoE4EjNS0_10empty_typeEbEEZZNS1_14partition_implILS8_4ELb0ES6_15HIP_vector_typeIjLj2EENS0_17counting_iteratorIjlEEPS9_SG_NS0_5tupleIJPjSI_NS0_16reverse_iteratorISI_EEEEENSH_IJSG_SG_SG_EEES9_SI_JZNS1_25segmented_radix_sort_implINS0_14default_configELb0EPKhPhPKlPlN2at6native12_GLOBAL__N_18offset_tEEE10hipError_tPvRmT1_PNSt15iterator_traitsIS12_E10value_typeET2_T3_PNS13_IS18_E10value_typeET4_jRbjT5_S1E_jjP12ihipStream_tbEUljE_ZNSN_ISO_Lb0ESQ_SR_ST_SU_SY_EESZ_S10_S11_S12_S16_S17_S18_S1B_S1C_jS1D_jS1E_S1E_jjS1G_bEUljE0_EEESZ_S10_S11_S18_S1C_S1E_T6_T7_T9_mT8_S1G_bDpT10_ENKUlT_T0_E_clISt17integral_constantIbLb0EES1U_EEDaS1P_S1Q_EUlS1P_E_NS1_11comp_targetILNS1_3genE0ELNS1_11target_archE4294967295ELNS1_3gpuE0ELNS1_3repE0EEENS1_30default_config_static_selectorELNS0_4arch9wavefront6targetE0EEEvS12_,comdat
.Lfunc_end121:
	.size	_ZN7rocprim17ROCPRIM_400000_NS6detail17trampoline_kernelINS0_13select_configILj256ELj13ELNS0_17block_load_methodE3ELS4_3ELS4_3ELNS0_20block_scan_algorithmE0ELj4294967295EEENS1_25partition_config_selectorILNS1_17partition_subalgoE4EjNS0_10empty_typeEbEEZZNS1_14partition_implILS8_4ELb0ES6_15HIP_vector_typeIjLj2EENS0_17counting_iteratorIjlEEPS9_SG_NS0_5tupleIJPjSI_NS0_16reverse_iteratorISI_EEEEENSH_IJSG_SG_SG_EEES9_SI_JZNS1_25segmented_radix_sort_implINS0_14default_configELb0EPKhPhPKlPlN2at6native12_GLOBAL__N_18offset_tEEE10hipError_tPvRmT1_PNSt15iterator_traitsIS12_E10value_typeET2_T3_PNS13_IS18_E10value_typeET4_jRbjT5_S1E_jjP12ihipStream_tbEUljE_ZNSN_ISO_Lb0ESQ_SR_ST_SU_SY_EESZ_S10_S11_S12_S16_S17_S18_S1B_S1C_jS1D_jS1E_S1E_jjS1G_bEUljE0_EEESZ_S10_S11_S18_S1C_S1E_T6_T7_T9_mT8_S1G_bDpT10_ENKUlT_T0_E_clISt17integral_constantIbLb0EES1U_EEDaS1P_S1Q_EUlS1P_E_NS1_11comp_targetILNS1_3genE0ELNS1_11target_archE4294967295ELNS1_3gpuE0ELNS1_3repE0EEENS1_30default_config_static_selectorELNS0_4arch9wavefront6targetE0EEEvS12_, .Lfunc_end121-_ZN7rocprim17ROCPRIM_400000_NS6detail17trampoline_kernelINS0_13select_configILj256ELj13ELNS0_17block_load_methodE3ELS4_3ELS4_3ELNS0_20block_scan_algorithmE0ELj4294967295EEENS1_25partition_config_selectorILNS1_17partition_subalgoE4EjNS0_10empty_typeEbEEZZNS1_14partition_implILS8_4ELb0ES6_15HIP_vector_typeIjLj2EENS0_17counting_iteratorIjlEEPS9_SG_NS0_5tupleIJPjSI_NS0_16reverse_iteratorISI_EEEEENSH_IJSG_SG_SG_EEES9_SI_JZNS1_25segmented_radix_sort_implINS0_14default_configELb0EPKhPhPKlPlN2at6native12_GLOBAL__N_18offset_tEEE10hipError_tPvRmT1_PNSt15iterator_traitsIS12_E10value_typeET2_T3_PNS13_IS18_E10value_typeET4_jRbjT5_S1E_jjP12ihipStream_tbEUljE_ZNSN_ISO_Lb0ESQ_SR_ST_SU_SY_EESZ_S10_S11_S12_S16_S17_S18_S1B_S1C_jS1D_jS1E_S1E_jjS1G_bEUljE0_EEESZ_S10_S11_S18_S1C_S1E_T6_T7_T9_mT8_S1G_bDpT10_ENKUlT_T0_E_clISt17integral_constantIbLb0EES1U_EEDaS1P_S1Q_EUlS1P_E_NS1_11comp_targetILNS1_3genE0ELNS1_11target_archE4294967295ELNS1_3gpuE0ELNS1_3repE0EEENS1_30default_config_static_selectorELNS0_4arch9wavefront6targetE0EEEvS12_
                                        ; -- End function
	.set _ZN7rocprim17ROCPRIM_400000_NS6detail17trampoline_kernelINS0_13select_configILj256ELj13ELNS0_17block_load_methodE3ELS4_3ELS4_3ELNS0_20block_scan_algorithmE0ELj4294967295EEENS1_25partition_config_selectorILNS1_17partition_subalgoE4EjNS0_10empty_typeEbEEZZNS1_14partition_implILS8_4ELb0ES6_15HIP_vector_typeIjLj2EENS0_17counting_iteratorIjlEEPS9_SG_NS0_5tupleIJPjSI_NS0_16reverse_iteratorISI_EEEEENSH_IJSG_SG_SG_EEES9_SI_JZNS1_25segmented_radix_sort_implINS0_14default_configELb0EPKhPhPKlPlN2at6native12_GLOBAL__N_18offset_tEEE10hipError_tPvRmT1_PNSt15iterator_traitsIS12_E10value_typeET2_T3_PNS13_IS18_E10value_typeET4_jRbjT5_S1E_jjP12ihipStream_tbEUljE_ZNSN_ISO_Lb0ESQ_SR_ST_SU_SY_EESZ_S10_S11_S12_S16_S17_S18_S1B_S1C_jS1D_jS1E_S1E_jjS1G_bEUljE0_EEESZ_S10_S11_S18_S1C_S1E_T6_T7_T9_mT8_S1G_bDpT10_ENKUlT_T0_E_clISt17integral_constantIbLb0EES1U_EEDaS1P_S1Q_EUlS1P_E_NS1_11comp_targetILNS1_3genE0ELNS1_11target_archE4294967295ELNS1_3gpuE0ELNS1_3repE0EEENS1_30default_config_static_selectorELNS0_4arch9wavefront6targetE0EEEvS12_.num_vgpr, 0
	.set _ZN7rocprim17ROCPRIM_400000_NS6detail17trampoline_kernelINS0_13select_configILj256ELj13ELNS0_17block_load_methodE3ELS4_3ELS4_3ELNS0_20block_scan_algorithmE0ELj4294967295EEENS1_25partition_config_selectorILNS1_17partition_subalgoE4EjNS0_10empty_typeEbEEZZNS1_14partition_implILS8_4ELb0ES6_15HIP_vector_typeIjLj2EENS0_17counting_iteratorIjlEEPS9_SG_NS0_5tupleIJPjSI_NS0_16reverse_iteratorISI_EEEEENSH_IJSG_SG_SG_EEES9_SI_JZNS1_25segmented_radix_sort_implINS0_14default_configELb0EPKhPhPKlPlN2at6native12_GLOBAL__N_18offset_tEEE10hipError_tPvRmT1_PNSt15iterator_traitsIS12_E10value_typeET2_T3_PNS13_IS18_E10value_typeET4_jRbjT5_S1E_jjP12ihipStream_tbEUljE_ZNSN_ISO_Lb0ESQ_SR_ST_SU_SY_EESZ_S10_S11_S12_S16_S17_S18_S1B_S1C_jS1D_jS1E_S1E_jjS1G_bEUljE0_EEESZ_S10_S11_S18_S1C_S1E_T6_T7_T9_mT8_S1G_bDpT10_ENKUlT_T0_E_clISt17integral_constantIbLb0EES1U_EEDaS1P_S1Q_EUlS1P_E_NS1_11comp_targetILNS1_3genE0ELNS1_11target_archE4294967295ELNS1_3gpuE0ELNS1_3repE0EEENS1_30default_config_static_selectorELNS0_4arch9wavefront6targetE0EEEvS12_.num_agpr, 0
	.set _ZN7rocprim17ROCPRIM_400000_NS6detail17trampoline_kernelINS0_13select_configILj256ELj13ELNS0_17block_load_methodE3ELS4_3ELS4_3ELNS0_20block_scan_algorithmE0ELj4294967295EEENS1_25partition_config_selectorILNS1_17partition_subalgoE4EjNS0_10empty_typeEbEEZZNS1_14partition_implILS8_4ELb0ES6_15HIP_vector_typeIjLj2EENS0_17counting_iteratorIjlEEPS9_SG_NS0_5tupleIJPjSI_NS0_16reverse_iteratorISI_EEEEENSH_IJSG_SG_SG_EEES9_SI_JZNS1_25segmented_radix_sort_implINS0_14default_configELb0EPKhPhPKlPlN2at6native12_GLOBAL__N_18offset_tEEE10hipError_tPvRmT1_PNSt15iterator_traitsIS12_E10value_typeET2_T3_PNS13_IS18_E10value_typeET4_jRbjT5_S1E_jjP12ihipStream_tbEUljE_ZNSN_ISO_Lb0ESQ_SR_ST_SU_SY_EESZ_S10_S11_S12_S16_S17_S18_S1B_S1C_jS1D_jS1E_S1E_jjS1G_bEUljE0_EEESZ_S10_S11_S18_S1C_S1E_T6_T7_T9_mT8_S1G_bDpT10_ENKUlT_T0_E_clISt17integral_constantIbLb0EES1U_EEDaS1P_S1Q_EUlS1P_E_NS1_11comp_targetILNS1_3genE0ELNS1_11target_archE4294967295ELNS1_3gpuE0ELNS1_3repE0EEENS1_30default_config_static_selectorELNS0_4arch9wavefront6targetE0EEEvS12_.numbered_sgpr, 0
	.set _ZN7rocprim17ROCPRIM_400000_NS6detail17trampoline_kernelINS0_13select_configILj256ELj13ELNS0_17block_load_methodE3ELS4_3ELS4_3ELNS0_20block_scan_algorithmE0ELj4294967295EEENS1_25partition_config_selectorILNS1_17partition_subalgoE4EjNS0_10empty_typeEbEEZZNS1_14partition_implILS8_4ELb0ES6_15HIP_vector_typeIjLj2EENS0_17counting_iteratorIjlEEPS9_SG_NS0_5tupleIJPjSI_NS0_16reverse_iteratorISI_EEEEENSH_IJSG_SG_SG_EEES9_SI_JZNS1_25segmented_radix_sort_implINS0_14default_configELb0EPKhPhPKlPlN2at6native12_GLOBAL__N_18offset_tEEE10hipError_tPvRmT1_PNSt15iterator_traitsIS12_E10value_typeET2_T3_PNS13_IS18_E10value_typeET4_jRbjT5_S1E_jjP12ihipStream_tbEUljE_ZNSN_ISO_Lb0ESQ_SR_ST_SU_SY_EESZ_S10_S11_S12_S16_S17_S18_S1B_S1C_jS1D_jS1E_S1E_jjS1G_bEUljE0_EEESZ_S10_S11_S18_S1C_S1E_T6_T7_T9_mT8_S1G_bDpT10_ENKUlT_T0_E_clISt17integral_constantIbLb0EES1U_EEDaS1P_S1Q_EUlS1P_E_NS1_11comp_targetILNS1_3genE0ELNS1_11target_archE4294967295ELNS1_3gpuE0ELNS1_3repE0EEENS1_30default_config_static_selectorELNS0_4arch9wavefront6targetE0EEEvS12_.num_named_barrier, 0
	.set _ZN7rocprim17ROCPRIM_400000_NS6detail17trampoline_kernelINS0_13select_configILj256ELj13ELNS0_17block_load_methodE3ELS4_3ELS4_3ELNS0_20block_scan_algorithmE0ELj4294967295EEENS1_25partition_config_selectorILNS1_17partition_subalgoE4EjNS0_10empty_typeEbEEZZNS1_14partition_implILS8_4ELb0ES6_15HIP_vector_typeIjLj2EENS0_17counting_iteratorIjlEEPS9_SG_NS0_5tupleIJPjSI_NS0_16reverse_iteratorISI_EEEEENSH_IJSG_SG_SG_EEES9_SI_JZNS1_25segmented_radix_sort_implINS0_14default_configELb0EPKhPhPKlPlN2at6native12_GLOBAL__N_18offset_tEEE10hipError_tPvRmT1_PNSt15iterator_traitsIS12_E10value_typeET2_T3_PNS13_IS18_E10value_typeET4_jRbjT5_S1E_jjP12ihipStream_tbEUljE_ZNSN_ISO_Lb0ESQ_SR_ST_SU_SY_EESZ_S10_S11_S12_S16_S17_S18_S1B_S1C_jS1D_jS1E_S1E_jjS1G_bEUljE0_EEESZ_S10_S11_S18_S1C_S1E_T6_T7_T9_mT8_S1G_bDpT10_ENKUlT_T0_E_clISt17integral_constantIbLb0EES1U_EEDaS1P_S1Q_EUlS1P_E_NS1_11comp_targetILNS1_3genE0ELNS1_11target_archE4294967295ELNS1_3gpuE0ELNS1_3repE0EEENS1_30default_config_static_selectorELNS0_4arch9wavefront6targetE0EEEvS12_.private_seg_size, 0
	.set _ZN7rocprim17ROCPRIM_400000_NS6detail17trampoline_kernelINS0_13select_configILj256ELj13ELNS0_17block_load_methodE3ELS4_3ELS4_3ELNS0_20block_scan_algorithmE0ELj4294967295EEENS1_25partition_config_selectorILNS1_17partition_subalgoE4EjNS0_10empty_typeEbEEZZNS1_14partition_implILS8_4ELb0ES6_15HIP_vector_typeIjLj2EENS0_17counting_iteratorIjlEEPS9_SG_NS0_5tupleIJPjSI_NS0_16reverse_iteratorISI_EEEEENSH_IJSG_SG_SG_EEES9_SI_JZNS1_25segmented_radix_sort_implINS0_14default_configELb0EPKhPhPKlPlN2at6native12_GLOBAL__N_18offset_tEEE10hipError_tPvRmT1_PNSt15iterator_traitsIS12_E10value_typeET2_T3_PNS13_IS18_E10value_typeET4_jRbjT5_S1E_jjP12ihipStream_tbEUljE_ZNSN_ISO_Lb0ESQ_SR_ST_SU_SY_EESZ_S10_S11_S12_S16_S17_S18_S1B_S1C_jS1D_jS1E_S1E_jjS1G_bEUljE0_EEESZ_S10_S11_S18_S1C_S1E_T6_T7_T9_mT8_S1G_bDpT10_ENKUlT_T0_E_clISt17integral_constantIbLb0EES1U_EEDaS1P_S1Q_EUlS1P_E_NS1_11comp_targetILNS1_3genE0ELNS1_11target_archE4294967295ELNS1_3gpuE0ELNS1_3repE0EEENS1_30default_config_static_selectorELNS0_4arch9wavefront6targetE0EEEvS12_.uses_vcc, 0
	.set _ZN7rocprim17ROCPRIM_400000_NS6detail17trampoline_kernelINS0_13select_configILj256ELj13ELNS0_17block_load_methodE3ELS4_3ELS4_3ELNS0_20block_scan_algorithmE0ELj4294967295EEENS1_25partition_config_selectorILNS1_17partition_subalgoE4EjNS0_10empty_typeEbEEZZNS1_14partition_implILS8_4ELb0ES6_15HIP_vector_typeIjLj2EENS0_17counting_iteratorIjlEEPS9_SG_NS0_5tupleIJPjSI_NS0_16reverse_iteratorISI_EEEEENSH_IJSG_SG_SG_EEES9_SI_JZNS1_25segmented_radix_sort_implINS0_14default_configELb0EPKhPhPKlPlN2at6native12_GLOBAL__N_18offset_tEEE10hipError_tPvRmT1_PNSt15iterator_traitsIS12_E10value_typeET2_T3_PNS13_IS18_E10value_typeET4_jRbjT5_S1E_jjP12ihipStream_tbEUljE_ZNSN_ISO_Lb0ESQ_SR_ST_SU_SY_EESZ_S10_S11_S12_S16_S17_S18_S1B_S1C_jS1D_jS1E_S1E_jjS1G_bEUljE0_EEESZ_S10_S11_S18_S1C_S1E_T6_T7_T9_mT8_S1G_bDpT10_ENKUlT_T0_E_clISt17integral_constantIbLb0EES1U_EEDaS1P_S1Q_EUlS1P_E_NS1_11comp_targetILNS1_3genE0ELNS1_11target_archE4294967295ELNS1_3gpuE0ELNS1_3repE0EEENS1_30default_config_static_selectorELNS0_4arch9wavefront6targetE0EEEvS12_.uses_flat_scratch, 0
	.set _ZN7rocprim17ROCPRIM_400000_NS6detail17trampoline_kernelINS0_13select_configILj256ELj13ELNS0_17block_load_methodE3ELS4_3ELS4_3ELNS0_20block_scan_algorithmE0ELj4294967295EEENS1_25partition_config_selectorILNS1_17partition_subalgoE4EjNS0_10empty_typeEbEEZZNS1_14partition_implILS8_4ELb0ES6_15HIP_vector_typeIjLj2EENS0_17counting_iteratorIjlEEPS9_SG_NS0_5tupleIJPjSI_NS0_16reverse_iteratorISI_EEEEENSH_IJSG_SG_SG_EEES9_SI_JZNS1_25segmented_radix_sort_implINS0_14default_configELb0EPKhPhPKlPlN2at6native12_GLOBAL__N_18offset_tEEE10hipError_tPvRmT1_PNSt15iterator_traitsIS12_E10value_typeET2_T3_PNS13_IS18_E10value_typeET4_jRbjT5_S1E_jjP12ihipStream_tbEUljE_ZNSN_ISO_Lb0ESQ_SR_ST_SU_SY_EESZ_S10_S11_S12_S16_S17_S18_S1B_S1C_jS1D_jS1E_S1E_jjS1G_bEUljE0_EEESZ_S10_S11_S18_S1C_S1E_T6_T7_T9_mT8_S1G_bDpT10_ENKUlT_T0_E_clISt17integral_constantIbLb0EES1U_EEDaS1P_S1Q_EUlS1P_E_NS1_11comp_targetILNS1_3genE0ELNS1_11target_archE4294967295ELNS1_3gpuE0ELNS1_3repE0EEENS1_30default_config_static_selectorELNS0_4arch9wavefront6targetE0EEEvS12_.has_dyn_sized_stack, 0
	.set _ZN7rocprim17ROCPRIM_400000_NS6detail17trampoline_kernelINS0_13select_configILj256ELj13ELNS0_17block_load_methodE3ELS4_3ELS4_3ELNS0_20block_scan_algorithmE0ELj4294967295EEENS1_25partition_config_selectorILNS1_17partition_subalgoE4EjNS0_10empty_typeEbEEZZNS1_14partition_implILS8_4ELb0ES6_15HIP_vector_typeIjLj2EENS0_17counting_iteratorIjlEEPS9_SG_NS0_5tupleIJPjSI_NS0_16reverse_iteratorISI_EEEEENSH_IJSG_SG_SG_EEES9_SI_JZNS1_25segmented_radix_sort_implINS0_14default_configELb0EPKhPhPKlPlN2at6native12_GLOBAL__N_18offset_tEEE10hipError_tPvRmT1_PNSt15iterator_traitsIS12_E10value_typeET2_T3_PNS13_IS18_E10value_typeET4_jRbjT5_S1E_jjP12ihipStream_tbEUljE_ZNSN_ISO_Lb0ESQ_SR_ST_SU_SY_EESZ_S10_S11_S12_S16_S17_S18_S1B_S1C_jS1D_jS1E_S1E_jjS1G_bEUljE0_EEESZ_S10_S11_S18_S1C_S1E_T6_T7_T9_mT8_S1G_bDpT10_ENKUlT_T0_E_clISt17integral_constantIbLb0EES1U_EEDaS1P_S1Q_EUlS1P_E_NS1_11comp_targetILNS1_3genE0ELNS1_11target_archE4294967295ELNS1_3gpuE0ELNS1_3repE0EEENS1_30default_config_static_selectorELNS0_4arch9wavefront6targetE0EEEvS12_.has_recursion, 0
	.set _ZN7rocprim17ROCPRIM_400000_NS6detail17trampoline_kernelINS0_13select_configILj256ELj13ELNS0_17block_load_methodE3ELS4_3ELS4_3ELNS0_20block_scan_algorithmE0ELj4294967295EEENS1_25partition_config_selectorILNS1_17partition_subalgoE4EjNS0_10empty_typeEbEEZZNS1_14partition_implILS8_4ELb0ES6_15HIP_vector_typeIjLj2EENS0_17counting_iteratorIjlEEPS9_SG_NS0_5tupleIJPjSI_NS0_16reverse_iteratorISI_EEEEENSH_IJSG_SG_SG_EEES9_SI_JZNS1_25segmented_radix_sort_implINS0_14default_configELb0EPKhPhPKlPlN2at6native12_GLOBAL__N_18offset_tEEE10hipError_tPvRmT1_PNSt15iterator_traitsIS12_E10value_typeET2_T3_PNS13_IS18_E10value_typeET4_jRbjT5_S1E_jjP12ihipStream_tbEUljE_ZNSN_ISO_Lb0ESQ_SR_ST_SU_SY_EESZ_S10_S11_S12_S16_S17_S18_S1B_S1C_jS1D_jS1E_S1E_jjS1G_bEUljE0_EEESZ_S10_S11_S18_S1C_S1E_T6_T7_T9_mT8_S1G_bDpT10_ENKUlT_T0_E_clISt17integral_constantIbLb0EES1U_EEDaS1P_S1Q_EUlS1P_E_NS1_11comp_targetILNS1_3genE0ELNS1_11target_archE4294967295ELNS1_3gpuE0ELNS1_3repE0EEENS1_30default_config_static_selectorELNS0_4arch9wavefront6targetE0EEEvS12_.has_indirect_call, 0
	.section	.AMDGPU.csdata,"",@progbits
; Kernel info:
; codeLenInByte = 0
; TotalNumSgprs: 0
; NumVgprs: 0
; ScratchSize: 0
; MemoryBound: 0
; FloatMode: 240
; IeeeMode: 1
; LDSByteSize: 0 bytes/workgroup (compile time only)
; SGPRBlocks: 0
; VGPRBlocks: 0
; NumSGPRsForWavesPerEU: 1
; NumVGPRsForWavesPerEU: 1
; Occupancy: 16
; WaveLimiterHint : 0
; COMPUTE_PGM_RSRC2:SCRATCH_EN: 0
; COMPUTE_PGM_RSRC2:USER_SGPR: 6
; COMPUTE_PGM_RSRC2:TRAP_HANDLER: 0
; COMPUTE_PGM_RSRC2:TGID_X_EN: 1
; COMPUTE_PGM_RSRC2:TGID_Y_EN: 0
; COMPUTE_PGM_RSRC2:TGID_Z_EN: 0
; COMPUTE_PGM_RSRC2:TIDIG_COMP_CNT: 0
	.section	.text._ZN7rocprim17ROCPRIM_400000_NS6detail17trampoline_kernelINS0_13select_configILj256ELj13ELNS0_17block_load_methodE3ELS4_3ELS4_3ELNS0_20block_scan_algorithmE0ELj4294967295EEENS1_25partition_config_selectorILNS1_17partition_subalgoE4EjNS0_10empty_typeEbEEZZNS1_14partition_implILS8_4ELb0ES6_15HIP_vector_typeIjLj2EENS0_17counting_iteratorIjlEEPS9_SG_NS0_5tupleIJPjSI_NS0_16reverse_iteratorISI_EEEEENSH_IJSG_SG_SG_EEES9_SI_JZNS1_25segmented_radix_sort_implINS0_14default_configELb0EPKhPhPKlPlN2at6native12_GLOBAL__N_18offset_tEEE10hipError_tPvRmT1_PNSt15iterator_traitsIS12_E10value_typeET2_T3_PNS13_IS18_E10value_typeET4_jRbjT5_S1E_jjP12ihipStream_tbEUljE_ZNSN_ISO_Lb0ESQ_SR_ST_SU_SY_EESZ_S10_S11_S12_S16_S17_S18_S1B_S1C_jS1D_jS1E_S1E_jjS1G_bEUljE0_EEESZ_S10_S11_S18_S1C_S1E_T6_T7_T9_mT8_S1G_bDpT10_ENKUlT_T0_E_clISt17integral_constantIbLb0EES1U_EEDaS1P_S1Q_EUlS1P_E_NS1_11comp_targetILNS1_3genE5ELNS1_11target_archE942ELNS1_3gpuE9ELNS1_3repE0EEENS1_30default_config_static_selectorELNS0_4arch9wavefront6targetE0EEEvS12_,"axG",@progbits,_ZN7rocprim17ROCPRIM_400000_NS6detail17trampoline_kernelINS0_13select_configILj256ELj13ELNS0_17block_load_methodE3ELS4_3ELS4_3ELNS0_20block_scan_algorithmE0ELj4294967295EEENS1_25partition_config_selectorILNS1_17partition_subalgoE4EjNS0_10empty_typeEbEEZZNS1_14partition_implILS8_4ELb0ES6_15HIP_vector_typeIjLj2EENS0_17counting_iteratorIjlEEPS9_SG_NS0_5tupleIJPjSI_NS0_16reverse_iteratorISI_EEEEENSH_IJSG_SG_SG_EEES9_SI_JZNS1_25segmented_radix_sort_implINS0_14default_configELb0EPKhPhPKlPlN2at6native12_GLOBAL__N_18offset_tEEE10hipError_tPvRmT1_PNSt15iterator_traitsIS12_E10value_typeET2_T3_PNS13_IS18_E10value_typeET4_jRbjT5_S1E_jjP12ihipStream_tbEUljE_ZNSN_ISO_Lb0ESQ_SR_ST_SU_SY_EESZ_S10_S11_S12_S16_S17_S18_S1B_S1C_jS1D_jS1E_S1E_jjS1G_bEUljE0_EEESZ_S10_S11_S18_S1C_S1E_T6_T7_T9_mT8_S1G_bDpT10_ENKUlT_T0_E_clISt17integral_constantIbLb0EES1U_EEDaS1P_S1Q_EUlS1P_E_NS1_11comp_targetILNS1_3genE5ELNS1_11target_archE942ELNS1_3gpuE9ELNS1_3repE0EEENS1_30default_config_static_selectorELNS0_4arch9wavefront6targetE0EEEvS12_,comdat
	.globl	_ZN7rocprim17ROCPRIM_400000_NS6detail17trampoline_kernelINS0_13select_configILj256ELj13ELNS0_17block_load_methodE3ELS4_3ELS4_3ELNS0_20block_scan_algorithmE0ELj4294967295EEENS1_25partition_config_selectorILNS1_17partition_subalgoE4EjNS0_10empty_typeEbEEZZNS1_14partition_implILS8_4ELb0ES6_15HIP_vector_typeIjLj2EENS0_17counting_iteratorIjlEEPS9_SG_NS0_5tupleIJPjSI_NS0_16reverse_iteratorISI_EEEEENSH_IJSG_SG_SG_EEES9_SI_JZNS1_25segmented_radix_sort_implINS0_14default_configELb0EPKhPhPKlPlN2at6native12_GLOBAL__N_18offset_tEEE10hipError_tPvRmT1_PNSt15iterator_traitsIS12_E10value_typeET2_T3_PNS13_IS18_E10value_typeET4_jRbjT5_S1E_jjP12ihipStream_tbEUljE_ZNSN_ISO_Lb0ESQ_SR_ST_SU_SY_EESZ_S10_S11_S12_S16_S17_S18_S1B_S1C_jS1D_jS1E_S1E_jjS1G_bEUljE0_EEESZ_S10_S11_S18_S1C_S1E_T6_T7_T9_mT8_S1G_bDpT10_ENKUlT_T0_E_clISt17integral_constantIbLb0EES1U_EEDaS1P_S1Q_EUlS1P_E_NS1_11comp_targetILNS1_3genE5ELNS1_11target_archE942ELNS1_3gpuE9ELNS1_3repE0EEENS1_30default_config_static_selectorELNS0_4arch9wavefront6targetE0EEEvS12_ ; -- Begin function _ZN7rocprim17ROCPRIM_400000_NS6detail17trampoline_kernelINS0_13select_configILj256ELj13ELNS0_17block_load_methodE3ELS4_3ELS4_3ELNS0_20block_scan_algorithmE0ELj4294967295EEENS1_25partition_config_selectorILNS1_17partition_subalgoE4EjNS0_10empty_typeEbEEZZNS1_14partition_implILS8_4ELb0ES6_15HIP_vector_typeIjLj2EENS0_17counting_iteratorIjlEEPS9_SG_NS0_5tupleIJPjSI_NS0_16reverse_iteratorISI_EEEEENSH_IJSG_SG_SG_EEES9_SI_JZNS1_25segmented_radix_sort_implINS0_14default_configELb0EPKhPhPKlPlN2at6native12_GLOBAL__N_18offset_tEEE10hipError_tPvRmT1_PNSt15iterator_traitsIS12_E10value_typeET2_T3_PNS13_IS18_E10value_typeET4_jRbjT5_S1E_jjP12ihipStream_tbEUljE_ZNSN_ISO_Lb0ESQ_SR_ST_SU_SY_EESZ_S10_S11_S12_S16_S17_S18_S1B_S1C_jS1D_jS1E_S1E_jjS1G_bEUljE0_EEESZ_S10_S11_S18_S1C_S1E_T6_T7_T9_mT8_S1G_bDpT10_ENKUlT_T0_E_clISt17integral_constantIbLb0EES1U_EEDaS1P_S1Q_EUlS1P_E_NS1_11comp_targetILNS1_3genE5ELNS1_11target_archE942ELNS1_3gpuE9ELNS1_3repE0EEENS1_30default_config_static_selectorELNS0_4arch9wavefront6targetE0EEEvS12_
	.p2align	8
	.type	_ZN7rocprim17ROCPRIM_400000_NS6detail17trampoline_kernelINS0_13select_configILj256ELj13ELNS0_17block_load_methodE3ELS4_3ELS4_3ELNS0_20block_scan_algorithmE0ELj4294967295EEENS1_25partition_config_selectorILNS1_17partition_subalgoE4EjNS0_10empty_typeEbEEZZNS1_14partition_implILS8_4ELb0ES6_15HIP_vector_typeIjLj2EENS0_17counting_iteratorIjlEEPS9_SG_NS0_5tupleIJPjSI_NS0_16reverse_iteratorISI_EEEEENSH_IJSG_SG_SG_EEES9_SI_JZNS1_25segmented_radix_sort_implINS0_14default_configELb0EPKhPhPKlPlN2at6native12_GLOBAL__N_18offset_tEEE10hipError_tPvRmT1_PNSt15iterator_traitsIS12_E10value_typeET2_T3_PNS13_IS18_E10value_typeET4_jRbjT5_S1E_jjP12ihipStream_tbEUljE_ZNSN_ISO_Lb0ESQ_SR_ST_SU_SY_EESZ_S10_S11_S12_S16_S17_S18_S1B_S1C_jS1D_jS1E_S1E_jjS1G_bEUljE0_EEESZ_S10_S11_S18_S1C_S1E_T6_T7_T9_mT8_S1G_bDpT10_ENKUlT_T0_E_clISt17integral_constantIbLb0EES1U_EEDaS1P_S1Q_EUlS1P_E_NS1_11comp_targetILNS1_3genE5ELNS1_11target_archE942ELNS1_3gpuE9ELNS1_3repE0EEENS1_30default_config_static_selectorELNS0_4arch9wavefront6targetE0EEEvS12_,@function
_ZN7rocprim17ROCPRIM_400000_NS6detail17trampoline_kernelINS0_13select_configILj256ELj13ELNS0_17block_load_methodE3ELS4_3ELS4_3ELNS0_20block_scan_algorithmE0ELj4294967295EEENS1_25partition_config_selectorILNS1_17partition_subalgoE4EjNS0_10empty_typeEbEEZZNS1_14partition_implILS8_4ELb0ES6_15HIP_vector_typeIjLj2EENS0_17counting_iteratorIjlEEPS9_SG_NS0_5tupleIJPjSI_NS0_16reverse_iteratorISI_EEEEENSH_IJSG_SG_SG_EEES9_SI_JZNS1_25segmented_radix_sort_implINS0_14default_configELb0EPKhPhPKlPlN2at6native12_GLOBAL__N_18offset_tEEE10hipError_tPvRmT1_PNSt15iterator_traitsIS12_E10value_typeET2_T3_PNS13_IS18_E10value_typeET4_jRbjT5_S1E_jjP12ihipStream_tbEUljE_ZNSN_ISO_Lb0ESQ_SR_ST_SU_SY_EESZ_S10_S11_S12_S16_S17_S18_S1B_S1C_jS1D_jS1E_S1E_jjS1G_bEUljE0_EEESZ_S10_S11_S18_S1C_S1E_T6_T7_T9_mT8_S1G_bDpT10_ENKUlT_T0_E_clISt17integral_constantIbLb0EES1U_EEDaS1P_S1Q_EUlS1P_E_NS1_11comp_targetILNS1_3genE5ELNS1_11target_archE942ELNS1_3gpuE9ELNS1_3repE0EEENS1_30default_config_static_selectorELNS0_4arch9wavefront6targetE0EEEvS12_: ; @_ZN7rocprim17ROCPRIM_400000_NS6detail17trampoline_kernelINS0_13select_configILj256ELj13ELNS0_17block_load_methodE3ELS4_3ELS4_3ELNS0_20block_scan_algorithmE0ELj4294967295EEENS1_25partition_config_selectorILNS1_17partition_subalgoE4EjNS0_10empty_typeEbEEZZNS1_14partition_implILS8_4ELb0ES6_15HIP_vector_typeIjLj2EENS0_17counting_iteratorIjlEEPS9_SG_NS0_5tupleIJPjSI_NS0_16reverse_iteratorISI_EEEEENSH_IJSG_SG_SG_EEES9_SI_JZNS1_25segmented_radix_sort_implINS0_14default_configELb0EPKhPhPKlPlN2at6native12_GLOBAL__N_18offset_tEEE10hipError_tPvRmT1_PNSt15iterator_traitsIS12_E10value_typeET2_T3_PNS13_IS18_E10value_typeET4_jRbjT5_S1E_jjP12ihipStream_tbEUljE_ZNSN_ISO_Lb0ESQ_SR_ST_SU_SY_EESZ_S10_S11_S12_S16_S17_S18_S1B_S1C_jS1D_jS1E_S1E_jjS1G_bEUljE0_EEESZ_S10_S11_S18_S1C_S1E_T6_T7_T9_mT8_S1G_bDpT10_ENKUlT_T0_E_clISt17integral_constantIbLb0EES1U_EEDaS1P_S1Q_EUlS1P_E_NS1_11comp_targetILNS1_3genE5ELNS1_11target_archE942ELNS1_3gpuE9ELNS1_3repE0EEENS1_30default_config_static_selectorELNS0_4arch9wavefront6targetE0EEEvS12_
; %bb.0:
	.section	.rodata,"a",@progbits
	.p2align	6, 0x0
	.amdhsa_kernel _ZN7rocprim17ROCPRIM_400000_NS6detail17trampoline_kernelINS0_13select_configILj256ELj13ELNS0_17block_load_methodE3ELS4_3ELS4_3ELNS0_20block_scan_algorithmE0ELj4294967295EEENS1_25partition_config_selectorILNS1_17partition_subalgoE4EjNS0_10empty_typeEbEEZZNS1_14partition_implILS8_4ELb0ES6_15HIP_vector_typeIjLj2EENS0_17counting_iteratorIjlEEPS9_SG_NS0_5tupleIJPjSI_NS0_16reverse_iteratorISI_EEEEENSH_IJSG_SG_SG_EEES9_SI_JZNS1_25segmented_radix_sort_implINS0_14default_configELb0EPKhPhPKlPlN2at6native12_GLOBAL__N_18offset_tEEE10hipError_tPvRmT1_PNSt15iterator_traitsIS12_E10value_typeET2_T3_PNS13_IS18_E10value_typeET4_jRbjT5_S1E_jjP12ihipStream_tbEUljE_ZNSN_ISO_Lb0ESQ_SR_ST_SU_SY_EESZ_S10_S11_S12_S16_S17_S18_S1B_S1C_jS1D_jS1E_S1E_jjS1G_bEUljE0_EEESZ_S10_S11_S18_S1C_S1E_T6_T7_T9_mT8_S1G_bDpT10_ENKUlT_T0_E_clISt17integral_constantIbLb0EES1U_EEDaS1P_S1Q_EUlS1P_E_NS1_11comp_targetILNS1_3genE5ELNS1_11target_archE942ELNS1_3gpuE9ELNS1_3repE0EEENS1_30default_config_static_selectorELNS0_4arch9wavefront6targetE0EEEvS12_
		.amdhsa_group_segment_fixed_size 0
		.amdhsa_private_segment_fixed_size 0
		.amdhsa_kernarg_size 176
		.amdhsa_user_sgpr_count 6
		.amdhsa_user_sgpr_private_segment_buffer 1
		.amdhsa_user_sgpr_dispatch_ptr 0
		.amdhsa_user_sgpr_queue_ptr 0
		.amdhsa_user_sgpr_kernarg_segment_ptr 1
		.amdhsa_user_sgpr_dispatch_id 0
		.amdhsa_user_sgpr_flat_scratch_init 0
		.amdhsa_user_sgpr_private_segment_size 0
		.amdhsa_wavefront_size32 1
		.amdhsa_uses_dynamic_stack 0
		.amdhsa_system_sgpr_private_segment_wavefront_offset 0
		.amdhsa_system_sgpr_workgroup_id_x 1
		.amdhsa_system_sgpr_workgroup_id_y 0
		.amdhsa_system_sgpr_workgroup_id_z 0
		.amdhsa_system_sgpr_workgroup_info 0
		.amdhsa_system_vgpr_workitem_id 0
		.amdhsa_next_free_vgpr 1
		.amdhsa_next_free_sgpr 1
		.amdhsa_reserve_vcc 0
		.amdhsa_reserve_flat_scratch 0
		.amdhsa_float_round_mode_32 0
		.amdhsa_float_round_mode_16_64 0
		.amdhsa_float_denorm_mode_32 3
		.amdhsa_float_denorm_mode_16_64 3
		.amdhsa_dx10_clamp 1
		.amdhsa_ieee_mode 1
		.amdhsa_fp16_overflow 0
		.amdhsa_workgroup_processor_mode 1
		.amdhsa_memory_ordered 1
		.amdhsa_forward_progress 1
		.amdhsa_shared_vgpr_count 0
		.amdhsa_exception_fp_ieee_invalid_op 0
		.amdhsa_exception_fp_denorm_src 0
		.amdhsa_exception_fp_ieee_div_zero 0
		.amdhsa_exception_fp_ieee_overflow 0
		.amdhsa_exception_fp_ieee_underflow 0
		.amdhsa_exception_fp_ieee_inexact 0
		.amdhsa_exception_int_div_zero 0
	.end_amdhsa_kernel
	.section	.text._ZN7rocprim17ROCPRIM_400000_NS6detail17trampoline_kernelINS0_13select_configILj256ELj13ELNS0_17block_load_methodE3ELS4_3ELS4_3ELNS0_20block_scan_algorithmE0ELj4294967295EEENS1_25partition_config_selectorILNS1_17partition_subalgoE4EjNS0_10empty_typeEbEEZZNS1_14partition_implILS8_4ELb0ES6_15HIP_vector_typeIjLj2EENS0_17counting_iteratorIjlEEPS9_SG_NS0_5tupleIJPjSI_NS0_16reverse_iteratorISI_EEEEENSH_IJSG_SG_SG_EEES9_SI_JZNS1_25segmented_radix_sort_implINS0_14default_configELb0EPKhPhPKlPlN2at6native12_GLOBAL__N_18offset_tEEE10hipError_tPvRmT1_PNSt15iterator_traitsIS12_E10value_typeET2_T3_PNS13_IS18_E10value_typeET4_jRbjT5_S1E_jjP12ihipStream_tbEUljE_ZNSN_ISO_Lb0ESQ_SR_ST_SU_SY_EESZ_S10_S11_S12_S16_S17_S18_S1B_S1C_jS1D_jS1E_S1E_jjS1G_bEUljE0_EEESZ_S10_S11_S18_S1C_S1E_T6_T7_T9_mT8_S1G_bDpT10_ENKUlT_T0_E_clISt17integral_constantIbLb0EES1U_EEDaS1P_S1Q_EUlS1P_E_NS1_11comp_targetILNS1_3genE5ELNS1_11target_archE942ELNS1_3gpuE9ELNS1_3repE0EEENS1_30default_config_static_selectorELNS0_4arch9wavefront6targetE0EEEvS12_,"axG",@progbits,_ZN7rocprim17ROCPRIM_400000_NS6detail17trampoline_kernelINS0_13select_configILj256ELj13ELNS0_17block_load_methodE3ELS4_3ELS4_3ELNS0_20block_scan_algorithmE0ELj4294967295EEENS1_25partition_config_selectorILNS1_17partition_subalgoE4EjNS0_10empty_typeEbEEZZNS1_14partition_implILS8_4ELb0ES6_15HIP_vector_typeIjLj2EENS0_17counting_iteratorIjlEEPS9_SG_NS0_5tupleIJPjSI_NS0_16reverse_iteratorISI_EEEEENSH_IJSG_SG_SG_EEES9_SI_JZNS1_25segmented_radix_sort_implINS0_14default_configELb0EPKhPhPKlPlN2at6native12_GLOBAL__N_18offset_tEEE10hipError_tPvRmT1_PNSt15iterator_traitsIS12_E10value_typeET2_T3_PNS13_IS18_E10value_typeET4_jRbjT5_S1E_jjP12ihipStream_tbEUljE_ZNSN_ISO_Lb0ESQ_SR_ST_SU_SY_EESZ_S10_S11_S12_S16_S17_S18_S1B_S1C_jS1D_jS1E_S1E_jjS1G_bEUljE0_EEESZ_S10_S11_S18_S1C_S1E_T6_T7_T9_mT8_S1G_bDpT10_ENKUlT_T0_E_clISt17integral_constantIbLb0EES1U_EEDaS1P_S1Q_EUlS1P_E_NS1_11comp_targetILNS1_3genE5ELNS1_11target_archE942ELNS1_3gpuE9ELNS1_3repE0EEENS1_30default_config_static_selectorELNS0_4arch9wavefront6targetE0EEEvS12_,comdat
.Lfunc_end122:
	.size	_ZN7rocprim17ROCPRIM_400000_NS6detail17trampoline_kernelINS0_13select_configILj256ELj13ELNS0_17block_load_methodE3ELS4_3ELS4_3ELNS0_20block_scan_algorithmE0ELj4294967295EEENS1_25partition_config_selectorILNS1_17partition_subalgoE4EjNS0_10empty_typeEbEEZZNS1_14partition_implILS8_4ELb0ES6_15HIP_vector_typeIjLj2EENS0_17counting_iteratorIjlEEPS9_SG_NS0_5tupleIJPjSI_NS0_16reverse_iteratorISI_EEEEENSH_IJSG_SG_SG_EEES9_SI_JZNS1_25segmented_radix_sort_implINS0_14default_configELb0EPKhPhPKlPlN2at6native12_GLOBAL__N_18offset_tEEE10hipError_tPvRmT1_PNSt15iterator_traitsIS12_E10value_typeET2_T3_PNS13_IS18_E10value_typeET4_jRbjT5_S1E_jjP12ihipStream_tbEUljE_ZNSN_ISO_Lb0ESQ_SR_ST_SU_SY_EESZ_S10_S11_S12_S16_S17_S18_S1B_S1C_jS1D_jS1E_S1E_jjS1G_bEUljE0_EEESZ_S10_S11_S18_S1C_S1E_T6_T7_T9_mT8_S1G_bDpT10_ENKUlT_T0_E_clISt17integral_constantIbLb0EES1U_EEDaS1P_S1Q_EUlS1P_E_NS1_11comp_targetILNS1_3genE5ELNS1_11target_archE942ELNS1_3gpuE9ELNS1_3repE0EEENS1_30default_config_static_selectorELNS0_4arch9wavefront6targetE0EEEvS12_, .Lfunc_end122-_ZN7rocprim17ROCPRIM_400000_NS6detail17trampoline_kernelINS0_13select_configILj256ELj13ELNS0_17block_load_methodE3ELS4_3ELS4_3ELNS0_20block_scan_algorithmE0ELj4294967295EEENS1_25partition_config_selectorILNS1_17partition_subalgoE4EjNS0_10empty_typeEbEEZZNS1_14partition_implILS8_4ELb0ES6_15HIP_vector_typeIjLj2EENS0_17counting_iteratorIjlEEPS9_SG_NS0_5tupleIJPjSI_NS0_16reverse_iteratorISI_EEEEENSH_IJSG_SG_SG_EEES9_SI_JZNS1_25segmented_radix_sort_implINS0_14default_configELb0EPKhPhPKlPlN2at6native12_GLOBAL__N_18offset_tEEE10hipError_tPvRmT1_PNSt15iterator_traitsIS12_E10value_typeET2_T3_PNS13_IS18_E10value_typeET4_jRbjT5_S1E_jjP12ihipStream_tbEUljE_ZNSN_ISO_Lb0ESQ_SR_ST_SU_SY_EESZ_S10_S11_S12_S16_S17_S18_S1B_S1C_jS1D_jS1E_S1E_jjS1G_bEUljE0_EEESZ_S10_S11_S18_S1C_S1E_T6_T7_T9_mT8_S1G_bDpT10_ENKUlT_T0_E_clISt17integral_constantIbLb0EES1U_EEDaS1P_S1Q_EUlS1P_E_NS1_11comp_targetILNS1_3genE5ELNS1_11target_archE942ELNS1_3gpuE9ELNS1_3repE0EEENS1_30default_config_static_selectorELNS0_4arch9wavefront6targetE0EEEvS12_
                                        ; -- End function
	.set _ZN7rocprim17ROCPRIM_400000_NS6detail17trampoline_kernelINS0_13select_configILj256ELj13ELNS0_17block_load_methodE3ELS4_3ELS4_3ELNS0_20block_scan_algorithmE0ELj4294967295EEENS1_25partition_config_selectorILNS1_17partition_subalgoE4EjNS0_10empty_typeEbEEZZNS1_14partition_implILS8_4ELb0ES6_15HIP_vector_typeIjLj2EENS0_17counting_iteratorIjlEEPS9_SG_NS0_5tupleIJPjSI_NS0_16reverse_iteratorISI_EEEEENSH_IJSG_SG_SG_EEES9_SI_JZNS1_25segmented_radix_sort_implINS0_14default_configELb0EPKhPhPKlPlN2at6native12_GLOBAL__N_18offset_tEEE10hipError_tPvRmT1_PNSt15iterator_traitsIS12_E10value_typeET2_T3_PNS13_IS18_E10value_typeET4_jRbjT5_S1E_jjP12ihipStream_tbEUljE_ZNSN_ISO_Lb0ESQ_SR_ST_SU_SY_EESZ_S10_S11_S12_S16_S17_S18_S1B_S1C_jS1D_jS1E_S1E_jjS1G_bEUljE0_EEESZ_S10_S11_S18_S1C_S1E_T6_T7_T9_mT8_S1G_bDpT10_ENKUlT_T0_E_clISt17integral_constantIbLb0EES1U_EEDaS1P_S1Q_EUlS1P_E_NS1_11comp_targetILNS1_3genE5ELNS1_11target_archE942ELNS1_3gpuE9ELNS1_3repE0EEENS1_30default_config_static_selectorELNS0_4arch9wavefront6targetE0EEEvS12_.num_vgpr, 0
	.set _ZN7rocprim17ROCPRIM_400000_NS6detail17trampoline_kernelINS0_13select_configILj256ELj13ELNS0_17block_load_methodE3ELS4_3ELS4_3ELNS0_20block_scan_algorithmE0ELj4294967295EEENS1_25partition_config_selectorILNS1_17partition_subalgoE4EjNS0_10empty_typeEbEEZZNS1_14partition_implILS8_4ELb0ES6_15HIP_vector_typeIjLj2EENS0_17counting_iteratorIjlEEPS9_SG_NS0_5tupleIJPjSI_NS0_16reverse_iteratorISI_EEEEENSH_IJSG_SG_SG_EEES9_SI_JZNS1_25segmented_radix_sort_implINS0_14default_configELb0EPKhPhPKlPlN2at6native12_GLOBAL__N_18offset_tEEE10hipError_tPvRmT1_PNSt15iterator_traitsIS12_E10value_typeET2_T3_PNS13_IS18_E10value_typeET4_jRbjT5_S1E_jjP12ihipStream_tbEUljE_ZNSN_ISO_Lb0ESQ_SR_ST_SU_SY_EESZ_S10_S11_S12_S16_S17_S18_S1B_S1C_jS1D_jS1E_S1E_jjS1G_bEUljE0_EEESZ_S10_S11_S18_S1C_S1E_T6_T7_T9_mT8_S1G_bDpT10_ENKUlT_T0_E_clISt17integral_constantIbLb0EES1U_EEDaS1P_S1Q_EUlS1P_E_NS1_11comp_targetILNS1_3genE5ELNS1_11target_archE942ELNS1_3gpuE9ELNS1_3repE0EEENS1_30default_config_static_selectorELNS0_4arch9wavefront6targetE0EEEvS12_.num_agpr, 0
	.set _ZN7rocprim17ROCPRIM_400000_NS6detail17trampoline_kernelINS0_13select_configILj256ELj13ELNS0_17block_load_methodE3ELS4_3ELS4_3ELNS0_20block_scan_algorithmE0ELj4294967295EEENS1_25partition_config_selectorILNS1_17partition_subalgoE4EjNS0_10empty_typeEbEEZZNS1_14partition_implILS8_4ELb0ES6_15HIP_vector_typeIjLj2EENS0_17counting_iteratorIjlEEPS9_SG_NS0_5tupleIJPjSI_NS0_16reverse_iteratorISI_EEEEENSH_IJSG_SG_SG_EEES9_SI_JZNS1_25segmented_radix_sort_implINS0_14default_configELb0EPKhPhPKlPlN2at6native12_GLOBAL__N_18offset_tEEE10hipError_tPvRmT1_PNSt15iterator_traitsIS12_E10value_typeET2_T3_PNS13_IS18_E10value_typeET4_jRbjT5_S1E_jjP12ihipStream_tbEUljE_ZNSN_ISO_Lb0ESQ_SR_ST_SU_SY_EESZ_S10_S11_S12_S16_S17_S18_S1B_S1C_jS1D_jS1E_S1E_jjS1G_bEUljE0_EEESZ_S10_S11_S18_S1C_S1E_T6_T7_T9_mT8_S1G_bDpT10_ENKUlT_T0_E_clISt17integral_constantIbLb0EES1U_EEDaS1P_S1Q_EUlS1P_E_NS1_11comp_targetILNS1_3genE5ELNS1_11target_archE942ELNS1_3gpuE9ELNS1_3repE0EEENS1_30default_config_static_selectorELNS0_4arch9wavefront6targetE0EEEvS12_.numbered_sgpr, 0
	.set _ZN7rocprim17ROCPRIM_400000_NS6detail17trampoline_kernelINS0_13select_configILj256ELj13ELNS0_17block_load_methodE3ELS4_3ELS4_3ELNS0_20block_scan_algorithmE0ELj4294967295EEENS1_25partition_config_selectorILNS1_17partition_subalgoE4EjNS0_10empty_typeEbEEZZNS1_14partition_implILS8_4ELb0ES6_15HIP_vector_typeIjLj2EENS0_17counting_iteratorIjlEEPS9_SG_NS0_5tupleIJPjSI_NS0_16reverse_iteratorISI_EEEEENSH_IJSG_SG_SG_EEES9_SI_JZNS1_25segmented_radix_sort_implINS0_14default_configELb0EPKhPhPKlPlN2at6native12_GLOBAL__N_18offset_tEEE10hipError_tPvRmT1_PNSt15iterator_traitsIS12_E10value_typeET2_T3_PNS13_IS18_E10value_typeET4_jRbjT5_S1E_jjP12ihipStream_tbEUljE_ZNSN_ISO_Lb0ESQ_SR_ST_SU_SY_EESZ_S10_S11_S12_S16_S17_S18_S1B_S1C_jS1D_jS1E_S1E_jjS1G_bEUljE0_EEESZ_S10_S11_S18_S1C_S1E_T6_T7_T9_mT8_S1G_bDpT10_ENKUlT_T0_E_clISt17integral_constantIbLb0EES1U_EEDaS1P_S1Q_EUlS1P_E_NS1_11comp_targetILNS1_3genE5ELNS1_11target_archE942ELNS1_3gpuE9ELNS1_3repE0EEENS1_30default_config_static_selectorELNS0_4arch9wavefront6targetE0EEEvS12_.num_named_barrier, 0
	.set _ZN7rocprim17ROCPRIM_400000_NS6detail17trampoline_kernelINS0_13select_configILj256ELj13ELNS0_17block_load_methodE3ELS4_3ELS4_3ELNS0_20block_scan_algorithmE0ELj4294967295EEENS1_25partition_config_selectorILNS1_17partition_subalgoE4EjNS0_10empty_typeEbEEZZNS1_14partition_implILS8_4ELb0ES6_15HIP_vector_typeIjLj2EENS0_17counting_iteratorIjlEEPS9_SG_NS0_5tupleIJPjSI_NS0_16reverse_iteratorISI_EEEEENSH_IJSG_SG_SG_EEES9_SI_JZNS1_25segmented_radix_sort_implINS0_14default_configELb0EPKhPhPKlPlN2at6native12_GLOBAL__N_18offset_tEEE10hipError_tPvRmT1_PNSt15iterator_traitsIS12_E10value_typeET2_T3_PNS13_IS18_E10value_typeET4_jRbjT5_S1E_jjP12ihipStream_tbEUljE_ZNSN_ISO_Lb0ESQ_SR_ST_SU_SY_EESZ_S10_S11_S12_S16_S17_S18_S1B_S1C_jS1D_jS1E_S1E_jjS1G_bEUljE0_EEESZ_S10_S11_S18_S1C_S1E_T6_T7_T9_mT8_S1G_bDpT10_ENKUlT_T0_E_clISt17integral_constantIbLb0EES1U_EEDaS1P_S1Q_EUlS1P_E_NS1_11comp_targetILNS1_3genE5ELNS1_11target_archE942ELNS1_3gpuE9ELNS1_3repE0EEENS1_30default_config_static_selectorELNS0_4arch9wavefront6targetE0EEEvS12_.private_seg_size, 0
	.set _ZN7rocprim17ROCPRIM_400000_NS6detail17trampoline_kernelINS0_13select_configILj256ELj13ELNS0_17block_load_methodE3ELS4_3ELS4_3ELNS0_20block_scan_algorithmE0ELj4294967295EEENS1_25partition_config_selectorILNS1_17partition_subalgoE4EjNS0_10empty_typeEbEEZZNS1_14partition_implILS8_4ELb0ES6_15HIP_vector_typeIjLj2EENS0_17counting_iteratorIjlEEPS9_SG_NS0_5tupleIJPjSI_NS0_16reverse_iteratorISI_EEEEENSH_IJSG_SG_SG_EEES9_SI_JZNS1_25segmented_radix_sort_implINS0_14default_configELb0EPKhPhPKlPlN2at6native12_GLOBAL__N_18offset_tEEE10hipError_tPvRmT1_PNSt15iterator_traitsIS12_E10value_typeET2_T3_PNS13_IS18_E10value_typeET4_jRbjT5_S1E_jjP12ihipStream_tbEUljE_ZNSN_ISO_Lb0ESQ_SR_ST_SU_SY_EESZ_S10_S11_S12_S16_S17_S18_S1B_S1C_jS1D_jS1E_S1E_jjS1G_bEUljE0_EEESZ_S10_S11_S18_S1C_S1E_T6_T7_T9_mT8_S1G_bDpT10_ENKUlT_T0_E_clISt17integral_constantIbLb0EES1U_EEDaS1P_S1Q_EUlS1P_E_NS1_11comp_targetILNS1_3genE5ELNS1_11target_archE942ELNS1_3gpuE9ELNS1_3repE0EEENS1_30default_config_static_selectorELNS0_4arch9wavefront6targetE0EEEvS12_.uses_vcc, 0
	.set _ZN7rocprim17ROCPRIM_400000_NS6detail17trampoline_kernelINS0_13select_configILj256ELj13ELNS0_17block_load_methodE3ELS4_3ELS4_3ELNS0_20block_scan_algorithmE0ELj4294967295EEENS1_25partition_config_selectorILNS1_17partition_subalgoE4EjNS0_10empty_typeEbEEZZNS1_14partition_implILS8_4ELb0ES6_15HIP_vector_typeIjLj2EENS0_17counting_iteratorIjlEEPS9_SG_NS0_5tupleIJPjSI_NS0_16reverse_iteratorISI_EEEEENSH_IJSG_SG_SG_EEES9_SI_JZNS1_25segmented_radix_sort_implINS0_14default_configELb0EPKhPhPKlPlN2at6native12_GLOBAL__N_18offset_tEEE10hipError_tPvRmT1_PNSt15iterator_traitsIS12_E10value_typeET2_T3_PNS13_IS18_E10value_typeET4_jRbjT5_S1E_jjP12ihipStream_tbEUljE_ZNSN_ISO_Lb0ESQ_SR_ST_SU_SY_EESZ_S10_S11_S12_S16_S17_S18_S1B_S1C_jS1D_jS1E_S1E_jjS1G_bEUljE0_EEESZ_S10_S11_S18_S1C_S1E_T6_T7_T9_mT8_S1G_bDpT10_ENKUlT_T0_E_clISt17integral_constantIbLb0EES1U_EEDaS1P_S1Q_EUlS1P_E_NS1_11comp_targetILNS1_3genE5ELNS1_11target_archE942ELNS1_3gpuE9ELNS1_3repE0EEENS1_30default_config_static_selectorELNS0_4arch9wavefront6targetE0EEEvS12_.uses_flat_scratch, 0
	.set _ZN7rocprim17ROCPRIM_400000_NS6detail17trampoline_kernelINS0_13select_configILj256ELj13ELNS0_17block_load_methodE3ELS4_3ELS4_3ELNS0_20block_scan_algorithmE0ELj4294967295EEENS1_25partition_config_selectorILNS1_17partition_subalgoE4EjNS0_10empty_typeEbEEZZNS1_14partition_implILS8_4ELb0ES6_15HIP_vector_typeIjLj2EENS0_17counting_iteratorIjlEEPS9_SG_NS0_5tupleIJPjSI_NS0_16reverse_iteratorISI_EEEEENSH_IJSG_SG_SG_EEES9_SI_JZNS1_25segmented_radix_sort_implINS0_14default_configELb0EPKhPhPKlPlN2at6native12_GLOBAL__N_18offset_tEEE10hipError_tPvRmT1_PNSt15iterator_traitsIS12_E10value_typeET2_T3_PNS13_IS18_E10value_typeET4_jRbjT5_S1E_jjP12ihipStream_tbEUljE_ZNSN_ISO_Lb0ESQ_SR_ST_SU_SY_EESZ_S10_S11_S12_S16_S17_S18_S1B_S1C_jS1D_jS1E_S1E_jjS1G_bEUljE0_EEESZ_S10_S11_S18_S1C_S1E_T6_T7_T9_mT8_S1G_bDpT10_ENKUlT_T0_E_clISt17integral_constantIbLb0EES1U_EEDaS1P_S1Q_EUlS1P_E_NS1_11comp_targetILNS1_3genE5ELNS1_11target_archE942ELNS1_3gpuE9ELNS1_3repE0EEENS1_30default_config_static_selectorELNS0_4arch9wavefront6targetE0EEEvS12_.has_dyn_sized_stack, 0
	.set _ZN7rocprim17ROCPRIM_400000_NS6detail17trampoline_kernelINS0_13select_configILj256ELj13ELNS0_17block_load_methodE3ELS4_3ELS4_3ELNS0_20block_scan_algorithmE0ELj4294967295EEENS1_25partition_config_selectorILNS1_17partition_subalgoE4EjNS0_10empty_typeEbEEZZNS1_14partition_implILS8_4ELb0ES6_15HIP_vector_typeIjLj2EENS0_17counting_iteratorIjlEEPS9_SG_NS0_5tupleIJPjSI_NS0_16reverse_iteratorISI_EEEEENSH_IJSG_SG_SG_EEES9_SI_JZNS1_25segmented_radix_sort_implINS0_14default_configELb0EPKhPhPKlPlN2at6native12_GLOBAL__N_18offset_tEEE10hipError_tPvRmT1_PNSt15iterator_traitsIS12_E10value_typeET2_T3_PNS13_IS18_E10value_typeET4_jRbjT5_S1E_jjP12ihipStream_tbEUljE_ZNSN_ISO_Lb0ESQ_SR_ST_SU_SY_EESZ_S10_S11_S12_S16_S17_S18_S1B_S1C_jS1D_jS1E_S1E_jjS1G_bEUljE0_EEESZ_S10_S11_S18_S1C_S1E_T6_T7_T9_mT8_S1G_bDpT10_ENKUlT_T0_E_clISt17integral_constantIbLb0EES1U_EEDaS1P_S1Q_EUlS1P_E_NS1_11comp_targetILNS1_3genE5ELNS1_11target_archE942ELNS1_3gpuE9ELNS1_3repE0EEENS1_30default_config_static_selectorELNS0_4arch9wavefront6targetE0EEEvS12_.has_recursion, 0
	.set _ZN7rocprim17ROCPRIM_400000_NS6detail17trampoline_kernelINS0_13select_configILj256ELj13ELNS0_17block_load_methodE3ELS4_3ELS4_3ELNS0_20block_scan_algorithmE0ELj4294967295EEENS1_25partition_config_selectorILNS1_17partition_subalgoE4EjNS0_10empty_typeEbEEZZNS1_14partition_implILS8_4ELb0ES6_15HIP_vector_typeIjLj2EENS0_17counting_iteratorIjlEEPS9_SG_NS0_5tupleIJPjSI_NS0_16reverse_iteratorISI_EEEEENSH_IJSG_SG_SG_EEES9_SI_JZNS1_25segmented_radix_sort_implINS0_14default_configELb0EPKhPhPKlPlN2at6native12_GLOBAL__N_18offset_tEEE10hipError_tPvRmT1_PNSt15iterator_traitsIS12_E10value_typeET2_T3_PNS13_IS18_E10value_typeET4_jRbjT5_S1E_jjP12ihipStream_tbEUljE_ZNSN_ISO_Lb0ESQ_SR_ST_SU_SY_EESZ_S10_S11_S12_S16_S17_S18_S1B_S1C_jS1D_jS1E_S1E_jjS1G_bEUljE0_EEESZ_S10_S11_S18_S1C_S1E_T6_T7_T9_mT8_S1G_bDpT10_ENKUlT_T0_E_clISt17integral_constantIbLb0EES1U_EEDaS1P_S1Q_EUlS1P_E_NS1_11comp_targetILNS1_3genE5ELNS1_11target_archE942ELNS1_3gpuE9ELNS1_3repE0EEENS1_30default_config_static_selectorELNS0_4arch9wavefront6targetE0EEEvS12_.has_indirect_call, 0
	.section	.AMDGPU.csdata,"",@progbits
; Kernel info:
; codeLenInByte = 0
; TotalNumSgprs: 0
; NumVgprs: 0
; ScratchSize: 0
; MemoryBound: 0
; FloatMode: 240
; IeeeMode: 1
; LDSByteSize: 0 bytes/workgroup (compile time only)
; SGPRBlocks: 0
; VGPRBlocks: 0
; NumSGPRsForWavesPerEU: 1
; NumVGPRsForWavesPerEU: 1
; Occupancy: 16
; WaveLimiterHint : 0
; COMPUTE_PGM_RSRC2:SCRATCH_EN: 0
; COMPUTE_PGM_RSRC2:USER_SGPR: 6
; COMPUTE_PGM_RSRC2:TRAP_HANDLER: 0
; COMPUTE_PGM_RSRC2:TGID_X_EN: 1
; COMPUTE_PGM_RSRC2:TGID_Y_EN: 0
; COMPUTE_PGM_RSRC2:TGID_Z_EN: 0
; COMPUTE_PGM_RSRC2:TIDIG_COMP_CNT: 0
	.section	.text._ZN7rocprim17ROCPRIM_400000_NS6detail17trampoline_kernelINS0_13select_configILj256ELj13ELNS0_17block_load_methodE3ELS4_3ELS4_3ELNS0_20block_scan_algorithmE0ELj4294967295EEENS1_25partition_config_selectorILNS1_17partition_subalgoE4EjNS0_10empty_typeEbEEZZNS1_14partition_implILS8_4ELb0ES6_15HIP_vector_typeIjLj2EENS0_17counting_iteratorIjlEEPS9_SG_NS0_5tupleIJPjSI_NS0_16reverse_iteratorISI_EEEEENSH_IJSG_SG_SG_EEES9_SI_JZNS1_25segmented_radix_sort_implINS0_14default_configELb0EPKhPhPKlPlN2at6native12_GLOBAL__N_18offset_tEEE10hipError_tPvRmT1_PNSt15iterator_traitsIS12_E10value_typeET2_T3_PNS13_IS18_E10value_typeET4_jRbjT5_S1E_jjP12ihipStream_tbEUljE_ZNSN_ISO_Lb0ESQ_SR_ST_SU_SY_EESZ_S10_S11_S12_S16_S17_S18_S1B_S1C_jS1D_jS1E_S1E_jjS1G_bEUljE0_EEESZ_S10_S11_S18_S1C_S1E_T6_T7_T9_mT8_S1G_bDpT10_ENKUlT_T0_E_clISt17integral_constantIbLb0EES1U_EEDaS1P_S1Q_EUlS1P_E_NS1_11comp_targetILNS1_3genE4ELNS1_11target_archE910ELNS1_3gpuE8ELNS1_3repE0EEENS1_30default_config_static_selectorELNS0_4arch9wavefront6targetE0EEEvS12_,"axG",@progbits,_ZN7rocprim17ROCPRIM_400000_NS6detail17trampoline_kernelINS0_13select_configILj256ELj13ELNS0_17block_load_methodE3ELS4_3ELS4_3ELNS0_20block_scan_algorithmE0ELj4294967295EEENS1_25partition_config_selectorILNS1_17partition_subalgoE4EjNS0_10empty_typeEbEEZZNS1_14partition_implILS8_4ELb0ES6_15HIP_vector_typeIjLj2EENS0_17counting_iteratorIjlEEPS9_SG_NS0_5tupleIJPjSI_NS0_16reverse_iteratorISI_EEEEENSH_IJSG_SG_SG_EEES9_SI_JZNS1_25segmented_radix_sort_implINS0_14default_configELb0EPKhPhPKlPlN2at6native12_GLOBAL__N_18offset_tEEE10hipError_tPvRmT1_PNSt15iterator_traitsIS12_E10value_typeET2_T3_PNS13_IS18_E10value_typeET4_jRbjT5_S1E_jjP12ihipStream_tbEUljE_ZNSN_ISO_Lb0ESQ_SR_ST_SU_SY_EESZ_S10_S11_S12_S16_S17_S18_S1B_S1C_jS1D_jS1E_S1E_jjS1G_bEUljE0_EEESZ_S10_S11_S18_S1C_S1E_T6_T7_T9_mT8_S1G_bDpT10_ENKUlT_T0_E_clISt17integral_constantIbLb0EES1U_EEDaS1P_S1Q_EUlS1P_E_NS1_11comp_targetILNS1_3genE4ELNS1_11target_archE910ELNS1_3gpuE8ELNS1_3repE0EEENS1_30default_config_static_selectorELNS0_4arch9wavefront6targetE0EEEvS12_,comdat
	.globl	_ZN7rocprim17ROCPRIM_400000_NS6detail17trampoline_kernelINS0_13select_configILj256ELj13ELNS0_17block_load_methodE3ELS4_3ELS4_3ELNS0_20block_scan_algorithmE0ELj4294967295EEENS1_25partition_config_selectorILNS1_17partition_subalgoE4EjNS0_10empty_typeEbEEZZNS1_14partition_implILS8_4ELb0ES6_15HIP_vector_typeIjLj2EENS0_17counting_iteratorIjlEEPS9_SG_NS0_5tupleIJPjSI_NS0_16reverse_iteratorISI_EEEEENSH_IJSG_SG_SG_EEES9_SI_JZNS1_25segmented_radix_sort_implINS0_14default_configELb0EPKhPhPKlPlN2at6native12_GLOBAL__N_18offset_tEEE10hipError_tPvRmT1_PNSt15iterator_traitsIS12_E10value_typeET2_T3_PNS13_IS18_E10value_typeET4_jRbjT5_S1E_jjP12ihipStream_tbEUljE_ZNSN_ISO_Lb0ESQ_SR_ST_SU_SY_EESZ_S10_S11_S12_S16_S17_S18_S1B_S1C_jS1D_jS1E_S1E_jjS1G_bEUljE0_EEESZ_S10_S11_S18_S1C_S1E_T6_T7_T9_mT8_S1G_bDpT10_ENKUlT_T0_E_clISt17integral_constantIbLb0EES1U_EEDaS1P_S1Q_EUlS1P_E_NS1_11comp_targetILNS1_3genE4ELNS1_11target_archE910ELNS1_3gpuE8ELNS1_3repE0EEENS1_30default_config_static_selectorELNS0_4arch9wavefront6targetE0EEEvS12_ ; -- Begin function _ZN7rocprim17ROCPRIM_400000_NS6detail17trampoline_kernelINS0_13select_configILj256ELj13ELNS0_17block_load_methodE3ELS4_3ELS4_3ELNS0_20block_scan_algorithmE0ELj4294967295EEENS1_25partition_config_selectorILNS1_17partition_subalgoE4EjNS0_10empty_typeEbEEZZNS1_14partition_implILS8_4ELb0ES6_15HIP_vector_typeIjLj2EENS0_17counting_iteratorIjlEEPS9_SG_NS0_5tupleIJPjSI_NS0_16reverse_iteratorISI_EEEEENSH_IJSG_SG_SG_EEES9_SI_JZNS1_25segmented_radix_sort_implINS0_14default_configELb0EPKhPhPKlPlN2at6native12_GLOBAL__N_18offset_tEEE10hipError_tPvRmT1_PNSt15iterator_traitsIS12_E10value_typeET2_T3_PNS13_IS18_E10value_typeET4_jRbjT5_S1E_jjP12ihipStream_tbEUljE_ZNSN_ISO_Lb0ESQ_SR_ST_SU_SY_EESZ_S10_S11_S12_S16_S17_S18_S1B_S1C_jS1D_jS1E_S1E_jjS1G_bEUljE0_EEESZ_S10_S11_S18_S1C_S1E_T6_T7_T9_mT8_S1G_bDpT10_ENKUlT_T0_E_clISt17integral_constantIbLb0EES1U_EEDaS1P_S1Q_EUlS1P_E_NS1_11comp_targetILNS1_3genE4ELNS1_11target_archE910ELNS1_3gpuE8ELNS1_3repE0EEENS1_30default_config_static_selectorELNS0_4arch9wavefront6targetE0EEEvS12_
	.p2align	8
	.type	_ZN7rocprim17ROCPRIM_400000_NS6detail17trampoline_kernelINS0_13select_configILj256ELj13ELNS0_17block_load_methodE3ELS4_3ELS4_3ELNS0_20block_scan_algorithmE0ELj4294967295EEENS1_25partition_config_selectorILNS1_17partition_subalgoE4EjNS0_10empty_typeEbEEZZNS1_14partition_implILS8_4ELb0ES6_15HIP_vector_typeIjLj2EENS0_17counting_iteratorIjlEEPS9_SG_NS0_5tupleIJPjSI_NS0_16reverse_iteratorISI_EEEEENSH_IJSG_SG_SG_EEES9_SI_JZNS1_25segmented_radix_sort_implINS0_14default_configELb0EPKhPhPKlPlN2at6native12_GLOBAL__N_18offset_tEEE10hipError_tPvRmT1_PNSt15iterator_traitsIS12_E10value_typeET2_T3_PNS13_IS18_E10value_typeET4_jRbjT5_S1E_jjP12ihipStream_tbEUljE_ZNSN_ISO_Lb0ESQ_SR_ST_SU_SY_EESZ_S10_S11_S12_S16_S17_S18_S1B_S1C_jS1D_jS1E_S1E_jjS1G_bEUljE0_EEESZ_S10_S11_S18_S1C_S1E_T6_T7_T9_mT8_S1G_bDpT10_ENKUlT_T0_E_clISt17integral_constantIbLb0EES1U_EEDaS1P_S1Q_EUlS1P_E_NS1_11comp_targetILNS1_3genE4ELNS1_11target_archE910ELNS1_3gpuE8ELNS1_3repE0EEENS1_30default_config_static_selectorELNS0_4arch9wavefront6targetE0EEEvS12_,@function
_ZN7rocprim17ROCPRIM_400000_NS6detail17trampoline_kernelINS0_13select_configILj256ELj13ELNS0_17block_load_methodE3ELS4_3ELS4_3ELNS0_20block_scan_algorithmE0ELj4294967295EEENS1_25partition_config_selectorILNS1_17partition_subalgoE4EjNS0_10empty_typeEbEEZZNS1_14partition_implILS8_4ELb0ES6_15HIP_vector_typeIjLj2EENS0_17counting_iteratorIjlEEPS9_SG_NS0_5tupleIJPjSI_NS0_16reverse_iteratorISI_EEEEENSH_IJSG_SG_SG_EEES9_SI_JZNS1_25segmented_radix_sort_implINS0_14default_configELb0EPKhPhPKlPlN2at6native12_GLOBAL__N_18offset_tEEE10hipError_tPvRmT1_PNSt15iterator_traitsIS12_E10value_typeET2_T3_PNS13_IS18_E10value_typeET4_jRbjT5_S1E_jjP12ihipStream_tbEUljE_ZNSN_ISO_Lb0ESQ_SR_ST_SU_SY_EESZ_S10_S11_S12_S16_S17_S18_S1B_S1C_jS1D_jS1E_S1E_jjS1G_bEUljE0_EEESZ_S10_S11_S18_S1C_S1E_T6_T7_T9_mT8_S1G_bDpT10_ENKUlT_T0_E_clISt17integral_constantIbLb0EES1U_EEDaS1P_S1Q_EUlS1P_E_NS1_11comp_targetILNS1_3genE4ELNS1_11target_archE910ELNS1_3gpuE8ELNS1_3repE0EEENS1_30default_config_static_selectorELNS0_4arch9wavefront6targetE0EEEvS12_: ; @_ZN7rocprim17ROCPRIM_400000_NS6detail17trampoline_kernelINS0_13select_configILj256ELj13ELNS0_17block_load_methodE3ELS4_3ELS4_3ELNS0_20block_scan_algorithmE0ELj4294967295EEENS1_25partition_config_selectorILNS1_17partition_subalgoE4EjNS0_10empty_typeEbEEZZNS1_14partition_implILS8_4ELb0ES6_15HIP_vector_typeIjLj2EENS0_17counting_iteratorIjlEEPS9_SG_NS0_5tupleIJPjSI_NS0_16reverse_iteratorISI_EEEEENSH_IJSG_SG_SG_EEES9_SI_JZNS1_25segmented_radix_sort_implINS0_14default_configELb0EPKhPhPKlPlN2at6native12_GLOBAL__N_18offset_tEEE10hipError_tPvRmT1_PNSt15iterator_traitsIS12_E10value_typeET2_T3_PNS13_IS18_E10value_typeET4_jRbjT5_S1E_jjP12ihipStream_tbEUljE_ZNSN_ISO_Lb0ESQ_SR_ST_SU_SY_EESZ_S10_S11_S12_S16_S17_S18_S1B_S1C_jS1D_jS1E_S1E_jjS1G_bEUljE0_EEESZ_S10_S11_S18_S1C_S1E_T6_T7_T9_mT8_S1G_bDpT10_ENKUlT_T0_E_clISt17integral_constantIbLb0EES1U_EEDaS1P_S1Q_EUlS1P_E_NS1_11comp_targetILNS1_3genE4ELNS1_11target_archE910ELNS1_3gpuE8ELNS1_3repE0EEENS1_30default_config_static_selectorELNS0_4arch9wavefront6targetE0EEEvS12_
; %bb.0:
	.section	.rodata,"a",@progbits
	.p2align	6, 0x0
	.amdhsa_kernel _ZN7rocprim17ROCPRIM_400000_NS6detail17trampoline_kernelINS0_13select_configILj256ELj13ELNS0_17block_load_methodE3ELS4_3ELS4_3ELNS0_20block_scan_algorithmE0ELj4294967295EEENS1_25partition_config_selectorILNS1_17partition_subalgoE4EjNS0_10empty_typeEbEEZZNS1_14partition_implILS8_4ELb0ES6_15HIP_vector_typeIjLj2EENS0_17counting_iteratorIjlEEPS9_SG_NS0_5tupleIJPjSI_NS0_16reverse_iteratorISI_EEEEENSH_IJSG_SG_SG_EEES9_SI_JZNS1_25segmented_radix_sort_implINS0_14default_configELb0EPKhPhPKlPlN2at6native12_GLOBAL__N_18offset_tEEE10hipError_tPvRmT1_PNSt15iterator_traitsIS12_E10value_typeET2_T3_PNS13_IS18_E10value_typeET4_jRbjT5_S1E_jjP12ihipStream_tbEUljE_ZNSN_ISO_Lb0ESQ_SR_ST_SU_SY_EESZ_S10_S11_S12_S16_S17_S18_S1B_S1C_jS1D_jS1E_S1E_jjS1G_bEUljE0_EEESZ_S10_S11_S18_S1C_S1E_T6_T7_T9_mT8_S1G_bDpT10_ENKUlT_T0_E_clISt17integral_constantIbLb0EES1U_EEDaS1P_S1Q_EUlS1P_E_NS1_11comp_targetILNS1_3genE4ELNS1_11target_archE910ELNS1_3gpuE8ELNS1_3repE0EEENS1_30default_config_static_selectorELNS0_4arch9wavefront6targetE0EEEvS12_
		.amdhsa_group_segment_fixed_size 0
		.amdhsa_private_segment_fixed_size 0
		.amdhsa_kernarg_size 176
		.amdhsa_user_sgpr_count 6
		.amdhsa_user_sgpr_private_segment_buffer 1
		.amdhsa_user_sgpr_dispatch_ptr 0
		.amdhsa_user_sgpr_queue_ptr 0
		.amdhsa_user_sgpr_kernarg_segment_ptr 1
		.amdhsa_user_sgpr_dispatch_id 0
		.amdhsa_user_sgpr_flat_scratch_init 0
		.amdhsa_user_sgpr_private_segment_size 0
		.amdhsa_wavefront_size32 1
		.amdhsa_uses_dynamic_stack 0
		.amdhsa_system_sgpr_private_segment_wavefront_offset 0
		.amdhsa_system_sgpr_workgroup_id_x 1
		.amdhsa_system_sgpr_workgroup_id_y 0
		.amdhsa_system_sgpr_workgroup_id_z 0
		.amdhsa_system_sgpr_workgroup_info 0
		.amdhsa_system_vgpr_workitem_id 0
		.amdhsa_next_free_vgpr 1
		.amdhsa_next_free_sgpr 1
		.amdhsa_reserve_vcc 0
		.amdhsa_reserve_flat_scratch 0
		.amdhsa_float_round_mode_32 0
		.amdhsa_float_round_mode_16_64 0
		.amdhsa_float_denorm_mode_32 3
		.amdhsa_float_denorm_mode_16_64 3
		.amdhsa_dx10_clamp 1
		.amdhsa_ieee_mode 1
		.amdhsa_fp16_overflow 0
		.amdhsa_workgroup_processor_mode 1
		.amdhsa_memory_ordered 1
		.amdhsa_forward_progress 1
		.amdhsa_shared_vgpr_count 0
		.amdhsa_exception_fp_ieee_invalid_op 0
		.amdhsa_exception_fp_denorm_src 0
		.amdhsa_exception_fp_ieee_div_zero 0
		.amdhsa_exception_fp_ieee_overflow 0
		.amdhsa_exception_fp_ieee_underflow 0
		.amdhsa_exception_fp_ieee_inexact 0
		.amdhsa_exception_int_div_zero 0
	.end_amdhsa_kernel
	.section	.text._ZN7rocprim17ROCPRIM_400000_NS6detail17trampoline_kernelINS0_13select_configILj256ELj13ELNS0_17block_load_methodE3ELS4_3ELS4_3ELNS0_20block_scan_algorithmE0ELj4294967295EEENS1_25partition_config_selectorILNS1_17partition_subalgoE4EjNS0_10empty_typeEbEEZZNS1_14partition_implILS8_4ELb0ES6_15HIP_vector_typeIjLj2EENS0_17counting_iteratorIjlEEPS9_SG_NS0_5tupleIJPjSI_NS0_16reverse_iteratorISI_EEEEENSH_IJSG_SG_SG_EEES9_SI_JZNS1_25segmented_radix_sort_implINS0_14default_configELb0EPKhPhPKlPlN2at6native12_GLOBAL__N_18offset_tEEE10hipError_tPvRmT1_PNSt15iterator_traitsIS12_E10value_typeET2_T3_PNS13_IS18_E10value_typeET4_jRbjT5_S1E_jjP12ihipStream_tbEUljE_ZNSN_ISO_Lb0ESQ_SR_ST_SU_SY_EESZ_S10_S11_S12_S16_S17_S18_S1B_S1C_jS1D_jS1E_S1E_jjS1G_bEUljE0_EEESZ_S10_S11_S18_S1C_S1E_T6_T7_T9_mT8_S1G_bDpT10_ENKUlT_T0_E_clISt17integral_constantIbLb0EES1U_EEDaS1P_S1Q_EUlS1P_E_NS1_11comp_targetILNS1_3genE4ELNS1_11target_archE910ELNS1_3gpuE8ELNS1_3repE0EEENS1_30default_config_static_selectorELNS0_4arch9wavefront6targetE0EEEvS12_,"axG",@progbits,_ZN7rocprim17ROCPRIM_400000_NS6detail17trampoline_kernelINS0_13select_configILj256ELj13ELNS0_17block_load_methodE3ELS4_3ELS4_3ELNS0_20block_scan_algorithmE0ELj4294967295EEENS1_25partition_config_selectorILNS1_17partition_subalgoE4EjNS0_10empty_typeEbEEZZNS1_14partition_implILS8_4ELb0ES6_15HIP_vector_typeIjLj2EENS0_17counting_iteratorIjlEEPS9_SG_NS0_5tupleIJPjSI_NS0_16reverse_iteratorISI_EEEEENSH_IJSG_SG_SG_EEES9_SI_JZNS1_25segmented_radix_sort_implINS0_14default_configELb0EPKhPhPKlPlN2at6native12_GLOBAL__N_18offset_tEEE10hipError_tPvRmT1_PNSt15iterator_traitsIS12_E10value_typeET2_T3_PNS13_IS18_E10value_typeET4_jRbjT5_S1E_jjP12ihipStream_tbEUljE_ZNSN_ISO_Lb0ESQ_SR_ST_SU_SY_EESZ_S10_S11_S12_S16_S17_S18_S1B_S1C_jS1D_jS1E_S1E_jjS1G_bEUljE0_EEESZ_S10_S11_S18_S1C_S1E_T6_T7_T9_mT8_S1G_bDpT10_ENKUlT_T0_E_clISt17integral_constantIbLb0EES1U_EEDaS1P_S1Q_EUlS1P_E_NS1_11comp_targetILNS1_3genE4ELNS1_11target_archE910ELNS1_3gpuE8ELNS1_3repE0EEENS1_30default_config_static_selectorELNS0_4arch9wavefront6targetE0EEEvS12_,comdat
.Lfunc_end123:
	.size	_ZN7rocprim17ROCPRIM_400000_NS6detail17trampoline_kernelINS0_13select_configILj256ELj13ELNS0_17block_load_methodE3ELS4_3ELS4_3ELNS0_20block_scan_algorithmE0ELj4294967295EEENS1_25partition_config_selectorILNS1_17partition_subalgoE4EjNS0_10empty_typeEbEEZZNS1_14partition_implILS8_4ELb0ES6_15HIP_vector_typeIjLj2EENS0_17counting_iteratorIjlEEPS9_SG_NS0_5tupleIJPjSI_NS0_16reverse_iteratorISI_EEEEENSH_IJSG_SG_SG_EEES9_SI_JZNS1_25segmented_radix_sort_implINS0_14default_configELb0EPKhPhPKlPlN2at6native12_GLOBAL__N_18offset_tEEE10hipError_tPvRmT1_PNSt15iterator_traitsIS12_E10value_typeET2_T3_PNS13_IS18_E10value_typeET4_jRbjT5_S1E_jjP12ihipStream_tbEUljE_ZNSN_ISO_Lb0ESQ_SR_ST_SU_SY_EESZ_S10_S11_S12_S16_S17_S18_S1B_S1C_jS1D_jS1E_S1E_jjS1G_bEUljE0_EEESZ_S10_S11_S18_S1C_S1E_T6_T7_T9_mT8_S1G_bDpT10_ENKUlT_T0_E_clISt17integral_constantIbLb0EES1U_EEDaS1P_S1Q_EUlS1P_E_NS1_11comp_targetILNS1_3genE4ELNS1_11target_archE910ELNS1_3gpuE8ELNS1_3repE0EEENS1_30default_config_static_selectorELNS0_4arch9wavefront6targetE0EEEvS12_, .Lfunc_end123-_ZN7rocprim17ROCPRIM_400000_NS6detail17trampoline_kernelINS0_13select_configILj256ELj13ELNS0_17block_load_methodE3ELS4_3ELS4_3ELNS0_20block_scan_algorithmE0ELj4294967295EEENS1_25partition_config_selectorILNS1_17partition_subalgoE4EjNS0_10empty_typeEbEEZZNS1_14partition_implILS8_4ELb0ES6_15HIP_vector_typeIjLj2EENS0_17counting_iteratorIjlEEPS9_SG_NS0_5tupleIJPjSI_NS0_16reverse_iteratorISI_EEEEENSH_IJSG_SG_SG_EEES9_SI_JZNS1_25segmented_radix_sort_implINS0_14default_configELb0EPKhPhPKlPlN2at6native12_GLOBAL__N_18offset_tEEE10hipError_tPvRmT1_PNSt15iterator_traitsIS12_E10value_typeET2_T3_PNS13_IS18_E10value_typeET4_jRbjT5_S1E_jjP12ihipStream_tbEUljE_ZNSN_ISO_Lb0ESQ_SR_ST_SU_SY_EESZ_S10_S11_S12_S16_S17_S18_S1B_S1C_jS1D_jS1E_S1E_jjS1G_bEUljE0_EEESZ_S10_S11_S18_S1C_S1E_T6_T7_T9_mT8_S1G_bDpT10_ENKUlT_T0_E_clISt17integral_constantIbLb0EES1U_EEDaS1P_S1Q_EUlS1P_E_NS1_11comp_targetILNS1_3genE4ELNS1_11target_archE910ELNS1_3gpuE8ELNS1_3repE0EEENS1_30default_config_static_selectorELNS0_4arch9wavefront6targetE0EEEvS12_
                                        ; -- End function
	.set _ZN7rocprim17ROCPRIM_400000_NS6detail17trampoline_kernelINS0_13select_configILj256ELj13ELNS0_17block_load_methodE3ELS4_3ELS4_3ELNS0_20block_scan_algorithmE0ELj4294967295EEENS1_25partition_config_selectorILNS1_17partition_subalgoE4EjNS0_10empty_typeEbEEZZNS1_14partition_implILS8_4ELb0ES6_15HIP_vector_typeIjLj2EENS0_17counting_iteratorIjlEEPS9_SG_NS0_5tupleIJPjSI_NS0_16reverse_iteratorISI_EEEEENSH_IJSG_SG_SG_EEES9_SI_JZNS1_25segmented_radix_sort_implINS0_14default_configELb0EPKhPhPKlPlN2at6native12_GLOBAL__N_18offset_tEEE10hipError_tPvRmT1_PNSt15iterator_traitsIS12_E10value_typeET2_T3_PNS13_IS18_E10value_typeET4_jRbjT5_S1E_jjP12ihipStream_tbEUljE_ZNSN_ISO_Lb0ESQ_SR_ST_SU_SY_EESZ_S10_S11_S12_S16_S17_S18_S1B_S1C_jS1D_jS1E_S1E_jjS1G_bEUljE0_EEESZ_S10_S11_S18_S1C_S1E_T6_T7_T9_mT8_S1G_bDpT10_ENKUlT_T0_E_clISt17integral_constantIbLb0EES1U_EEDaS1P_S1Q_EUlS1P_E_NS1_11comp_targetILNS1_3genE4ELNS1_11target_archE910ELNS1_3gpuE8ELNS1_3repE0EEENS1_30default_config_static_selectorELNS0_4arch9wavefront6targetE0EEEvS12_.num_vgpr, 0
	.set _ZN7rocprim17ROCPRIM_400000_NS6detail17trampoline_kernelINS0_13select_configILj256ELj13ELNS0_17block_load_methodE3ELS4_3ELS4_3ELNS0_20block_scan_algorithmE0ELj4294967295EEENS1_25partition_config_selectorILNS1_17partition_subalgoE4EjNS0_10empty_typeEbEEZZNS1_14partition_implILS8_4ELb0ES6_15HIP_vector_typeIjLj2EENS0_17counting_iteratorIjlEEPS9_SG_NS0_5tupleIJPjSI_NS0_16reverse_iteratorISI_EEEEENSH_IJSG_SG_SG_EEES9_SI_JZNS1_25segmented_radix_sort_implINS0_14default_configELb0EPKhPhPKlPlN2at6native12_GLOBAL__N_18offset_tEEE10hipError_tPvRmT1_PNSt15iterator_traitsIS12_E10value_typeET2_T3_PNS13_IS18_E10value_typeET4_jRbjT5_S1E_jjP12ihipStream_tbEUljE_ZNSN_ISO_Lb0ESQ_SR_ST_SU_SY_EESZ_S10_S11_S12_S16_S17_S18_S1B_S1C_jS1D_jS1E_S1E_jjS1G_bEUljE0_EEESZ_S10_S11_S18_S1C_S1E_T6_T7_T9_mT8_S1G_bDpT10_ENKUlT_T0_E_clISt17integral_constantIbLb0EES1U_EEDaS1P_S1Q_EUlS1P_E_NS1_11comp_targetILNS1_3genE4ELNS1_11target_archE910ELNS1_3gpuE8ELNS1_3repE0EEENS1_30default_config_static_selectorELNS0_4arch9wavefront6targetE0EEEvS12_.num_agpr, 0
	.set _ZN7rocprim17ROCPRIM_400000_NS6detail17trampoline_kernelINS0_13select_configILj256ELj13ELNS0_17block_load_methodE3ELS4_3ELS4_3ELNS0_20block_scan_algorithmE0ELj4294967295EEENS1_25partition_config_selectorILNS1_17partition_subalgoE4EjNS0_10empty_typeEbEEZZNS1_14partition_implILS8_4ELb0ES6_15HIP_vector_typeIjLj2EENS0_17counting_iteratorIjlEEPS9_SG_NS0_5tupleIJPjSI_NS0_16reverse_iteratorISI_EEEEENSH_IJSG_SG_SG_EEES9_SI_JZNS1_25segmented_radix_sort_implINS0_14default_configELb0EPKhPhPKlPlN2at6native12_GLOBAL__N_18offset_tEEE10hipError_tPvRmT1_PNSt15iterator_traitsIS12_E10value_typeET2_T3_PNS13_IS18_E10value_typeET4_jRbjT5_S1E_jjP12ihipStream_tbEUljE_ZNSN_ISO_Lb0ESQ_SR_ST_SU_SY_EESZ_S10_S11_S12_S16_S17_S18_S1B_S1C_jS1D_jS1E_S1E_jjS1G_bEUljE0_EEESZ_S10_S11_S18_S1C_S1E_T6_T7_T9_mT8_S1G_bDpT10_ENKUlT_T0_E_clISt17integral_constantIbLb0EES1U_EEDaS1P_S1Q_EUlS1P_E_NS1_11comp_targetILNS1_3genE4ELNS1_11target_archE910ELNS1_3gpuE8ELNS1_3repE0EEENS1_30default_config_static_selectorELNS0_4arch9wavefront6targetE0EEEvS12_.numbered_sgpr, 0
	.set _ZN7rocprim17ROCPRIM_400000_NS6detail17trampoline_kernelINS0_13select_configILj256ELj13ELNS0_17block_load_methodE3ELS4_3ELS4_3ELNS0_20block_scan_algorithmE0ELj4294967295EEENS1_25partition_config_selectorILNS1_17partition_subalgoE4EjNS0_10empty_typeEbEEZZNS1_14partition_implILS8_4ELb0ES6_15HIP_vector_typeIjLj2EENS0_17counting_iteratorIjlEEPS9_SG_NS0_5tupleIJPjSI_NS0_16reverse_iteratorISI_EEEEENSH_IJSG_SG_SG_EEES9_SI_JZNS1_25segmented_radix_sort_implINS0_14default_configELb0EPKhPhPKlPlN2at6native12_GLOBAL__N_18offset_tEEE10hipError_tPvRmT1_PNSt15iterator_traitsIS12_E10value_typeET2_T3_PNS13_IS18_E10value_typeET4_jRbjT5_S1E_jjP12ihipStream_tbEUljE_ZNSN_ISO_Lb0ESQ_SR_ST_SU_SY_EESZ_S10_S11_S12_S16_S17_S18_S1B_S1C_jS1D_jS1E_S1E_jjS1G_bEUljE0_EEESZ_S10_S11_S18_S1C_S1E_T6_T7_T9_mT8_S1G_bDpT10_ENKUlT_T0_E_clISt17integral_constantIbLb0EES1U_EEDaS1P_S1Q_EUlS1P_E_NS1_11comp_targetILNS1_3genE4ELNS1_11target_archE910ELNS1_3gpuE8ELNS1_3repE0EEENS1_30default_config_static_selectorELNS0_4arch9wavefront6targetE0EEEvS12_.num_named_barrier, 0
	.set _ZN7rocprim17ROCPRIM_400000_NS6detail17trampoline_kernelINS0_13select_configILj256ELj13ELNS0_17block_load_methodE3ELS4_3ELS4_3ELNS0_20block_scan_algorithmE0ELj4294967295EEENS1_25partition_config_selectorILNS1_17partition_subalgoE4EjNS0_10empty_typeEbEEZZNS1_14partition_implILS8_4ELb0ES6_15HIP_vector_typeIjLj2EENS0_17counting_iteratorIjlEEPS9_SG_NS0_5tupleIJPjSI_NS0_16reverse_iteratorISI_EEEEENSH_IJSG_SG_SG_EEES9_SI_JZNS1_25segmented_radix_sort_implINS0_14default_configELb0EPKhPhPKlPlN2at6native12_GLOBAL__N_18offset_tEEE10hipError_tPvRmT1_PNSt15iterator_traitsIS12_E10value_typeET2_T3_PNS13_IS18_E10value_typeET4_jRbjT5_S1E_jjP12ihipStream_tbEUljE_ZNSN_ISO_Lb0ESQ_SR_ST_SU_SY_EESZ_S10_S11_S12_S16_S17_S18_S1B_S1C_jS1D_jS1E_S1E_jjS1G_bEUljE0_EEESZ_S10_S11_S18_S1C_S1E_T6_T7_T9_mT8_S1G_bDpT10_ENKUlT_T0_E_clISt17integral_constantIbLb0EES1U_EEDaS1P_S1Q_EUlS1P_E_NS1_11comp_targetILNS1_3genE4ELNS1_11target_archE910ELNS1_3gpuE8ELNS1_3repE0EEENS1_30default_config_static_selectorELNS0_4arch9wavefront6targetE0EEEvS12_.private_seg_size, 0
	.set _ZN7rocprim17ROCPRIM_400000_NS6detail17trampoline_kernelINS0_13select_configILj256ELj13ELNS0_17block_load_methodE3ELS4_3ELS4_3ELNS0_20block_scan_algorithmE0ELj4294967295EEENS1_25partition_config_selectorILNS1_17partition_subalgoE4EjNS0_10empty_typeEbEEZZNS1_14partition_implILS8_4ELb0ES6_15HIP_vector_typeIjLj2EENS0_17counting_iteratorIjlEEPS9_SG_NS0_5tupleIJPjSI_NS0_16reverse_iteratorISI_EEEEENSH_IJSG_SG_SG_EEES9_SI_JZNS1_25segmented_radix_sort_implINS0_14default_configELb0EPKhPhPKlPlN2at6native12_GLOBAL__N_18offset_tEEE10hipError_tPvRmT1_PNSt15iterator_traitsIS12_E10value_typeET2_T3_PNS13_IS18_E10value_typeET4_jRbjT5_S1E_jjP12ihipStream_tbEUljE_ZNSN_ISO_Lb0ESQ_SR_ST_SU_SY_EESZ_S10_S11_S12_S16_S17_S18_S1B_S1C_jS1D_jS1E_S1E_jjS1G_bEUljE0_EEESZ_S10_S11_S18_S1C_S1E_T6_T7_T9_mT8_S1G_bDpT10_ENKUlT_T0_E_clISt17integral_constantIbLb0EES1U_EEDaS1P_S1Q_EUlS1P_E_NS1_11comp_targetILNS1_3genE4ELNS1_11target_archE910ELNS1_3gpuE8ELNS1_3repE0EEENS1_30default_config_static_selectorELNS0_4arch9wavefront6targetE0EEEvS12_.uses_vcc, 0
	.set _ZN7rocprim17ROCPRIM_400000_NS6detail17trampoline_kernelINS0_13select_configILj256ELj13ELNS0_17block_load_methodE3ELS4_3ELS4_3ELNS0_20block_scan_algorithmE0ELj4294967295EEENS1_25partition_config_selectorILNS1_17partition_subalgoE4EjNS0_10empty_typeEbEEZZNS1_14partition_implILS8_4ELb0ES6_15HIP_vector_typeIjLj2EENS0_17counting_iteratorIjlEEPS9_SG_NS0_5tupleIJPjSI_NS0_16reverse_iteratorISI_EEEEENSH_IJSG_SG_SG_EEES9_SI_JZNS1_25segmented_radix_sort_implINS0_14default_configELb0EPKhPhPKlPlN2at6native12_GLOBAL__N_18offset_tEEE10hipError_tPvRmT1_PNSt15iterator_traitsIS12_E10value_typeET2_T3_PNS13_IS18_E10value_typeET4_jRbjT5_S1E_jjP12ihipStream_tbEUljE_ZNSN_ISO_Lb0ESQ_SR_ST_SU_SY_EESZ_S10_S11_S12_S16_S17_S18_S1B_S1C_jS1D_jS1E_S1E_jjS1G_bEUljE0_EEESZ_S10_S11_S18_S1C_S1E_T6_T7_T9_mT8_S1G_bDpT10_ENKUlT_T0_E_clISt17integral_constantIbLb0EES1U_EEDaS1P_S1Q_EUlS1P_E_NS1_11comp_targetILNS1_3genE4ELNS1_11target_archE910ELNS1_3gpuE8ELNS1_3repE0EEENS1_30default_config_static_selectorELNS0_4arch9wavefront6targetE0EEEvS12_.uses_flat_scratch, 0
	.set _ZN7rocprim17ROCPRIM_400000_NS6detail17trampoline_kernelINS0_13select_configILj256ELj13ELNS0_17block_load_methodE3ELS4_3ELS4_3ELNS0_20block_scan_algorithmE0ELj4294967295EEENS1_25partition_config_selectorILNS1_17partition_subalgoE4EjNS0_10empty_typeEbEEZZNS1_14partition_implILS8_4ELb0ES6_15HIP_vector_typeIjLj2EENS0_17counting_iteratorIjlEEPS9_SG_NS0_5tupleIJPjSI_NS0_16reverse_iteratorISI_EEEEENSH_IJSG_SG_SG_EEES9_SI_JZNS1_25segmented_radix_sort_implINS0_14default_configELb0EPKhPhPKlPlN2at6native12_GLOBAL__N_18offset_tEEE10hipError_tPvRmT1_PNSt15iterator_traitsIS12_E10value_typeET2_T3_PNS13_IS18_E10value_typeET4_jRbjT5_S1E_jjP12ihipStream_tbEUljE_ZNSN_ISO_Lb0ESQ_SR_ST_SU_SY_EESZ_S10_S11_S12_S16_S17_S18_S1B_S1C_jS1D_jS1E_S1E_jjS1G_bEUljE0_EEESZ_S10_S11_S18_S1C_S1E_T6_T7_T9_mT8_S1G_bDpT10_ENKUlT_T0_E_clISt17integral_constantIbLb0EES1U_EEDaS1P_S1Q_EUlS1P_E_NS1_11comp_targetILNS1_3genE4ELNS1_11target_archE910ELNS1_3gpuE8ELNS1_3repE0EEENS1_30default_config_static_selectorELNS0_4arch9wavefront6targetE0EEEvS12_.has_dyn_sized_stack, 0
	.set _ZN7rocprim17ROCPRIM_400000_NS6detail17trampoline_kernelINS0_13select_configILj256ELj13ELNS0_17block_load_methodE3ELS4_3ELS4_3ELNS0_20block_scan_algorithmE0ELj4294967295EEENS1_25partition_config_selectorILNS1_17partition_subalgoE4EjNS0_10empty_typeEbEEZZNS1_14partition_implILS8_4ELb0ES6_15HIP_vector_typeIjLj2EENS0_17counting_iteratorIjlEEPS9_SG_NS0_5tupleIJPjSI_NS0_16reverse_iteratorISI_EEEEENSH_IJSG_SG_SG_EEES9_SI_JZNS1_25segmented_radix_sort_implINS0_14default_configELb0EPKhPhPKlPlN2at6native12_GLOBAL__N_18offset_tEEE10hipError_tPvRmT1_PNSt15iterator_traitsIS12_E10value_typeET2_T3_PNS13_IS18_E10value_typeET4_jRbjT5_S1E_jjP12ihipStream_tbEUljE_ZNSN_ISO_Lb0ESQ_SR_ST_SU_SY_EESZ_S10_S11_S12_S16_S17_S18_S1B_S1C_jS1D_jS1E_S1E_jjS1G_bEUljE0_EEESZ_S10_S11_S18_S1C_S1E_T6_T7_T9_mT8_S1G_bDpT10_ENKUlT_T0_E_clISt17integral_constantIbLb0EES1U_EEDaS1P_S1Q_EUlS1P_E_NS1_11comp_targetILNS1_3genE4ELNS1_11target_archE910ELNS1_3gpuE8ELNS1_3repE0EEENS1_30default_config_static_selectorELNS0_4arch9wavefront6targetE0EEEvS12_.has_recursion, 0
	.set _ZN7rocprim17ROCPRIM_400000_NS6detail17trampoline_kernelINS0_13select_configILj256ELj13ELNS0_17block_load_methodE3ELS4_3ELS4_3ELNS0_20block_scan_algorithmE0ELj4294967295EEENS1_25partition_config_selectorILNS1_17partition_subalgoE4EjNS0_10empty_typeEbEEZZNS1_14partition_implILS8_4ELb0ES6_15HIP_vector_typeIjLj2EENS0_17counting_iteratorIjlEEPS9_SG_NS0_5tupleIJPjSI_NS0_16reverse_iteratorISI_EEEEENSH_IJSG_SG_SG_EEES9_SI_JZNS1_25segmented_radix_sort_implINS0_14default_configELb0EPKhPhPKlPlN2at6native12_GLOBAL__N_18offset_tEEE10hipError_tPvRmT1_PNSt15iterator_traitsIS12_E10value_typeET2_T3_PNS13_IS18_E10value_typeET4_jRbjT5_S1E_jjP12ihipStream_tbEUljE_ZNSN_ISO_Lb0ESQ_SR_ST_SU_SY_EESZ_S10_S11_S12_S16_S17_S18_S1B_S1C_jS1D_jS1E_S1E_jjS1G_bEUljE0_EEESZ_S10_S11_S18_S1C_S1E_T6_T7_T9_mT8_S1G_bDpT10_ENKUlT_T0_E_clISt17integral_constantIbLb0EES1U_EEDaS1P_S1Q_EUlS1P_E_NS1_11comp_targetILNS1_3genE4ELNS1_11target_archE910ELNS1_3gpuE8ELNS1_3repE0EEENS1_30default_config_static_selectorELNS0_4arch9wavefront6targetE0EEEvS12_.has_indirect_call, 0
	.section	.AMDGPU.csdata,"",@progbits
; Kernel info:
; codeLenInByte = 0
; TotalNumSgprs: 0
; NumVgprs: 0
; ScratchSize: 0
; MemoryBound: 0
; FloatMode: 240
; IeeeMode: 1
; LDSByteSize: 0 bytes/workgroup (compile time only)
; SGPRBlocks: 0
; VGPRBlocks: 0
; NumSGPRsForWavesPerEU: 1
; NumVGPRsForWavesPerEU: 1
; Occupancy: 16
; WaveLimiterHint : 0
; COMPUTE_PGM_RSRC2:SCRATCH_EN: 0
; COMPUTE_PGM_RSRC2:USER_SGPR: 6
; COMPUTE_PGM_RSRC2:TRAP_HANDLER: 0
; COMPUTE_PGM_RSRC2:TGID_X_EN: 1
; COMPUTE_PGM_RSRC2:TGID_Y_EN: 0
; COMPUTE_PGM_RSRC2:TGID_Z_EN: 0
; COMPUTE_PGM_RSRC2:TIDIG_COMP_CNT: 0
	.section	.text._ZN7rocprim17ROCPRIM_400000_NS6detail17trampoline_kernelINS0_13select_configILj256ELj13ELNS0_17block_load_methodE3ELS4_3ELS4_3ELNS0_20block_scan_algorithmE0ELj4294967295EEENS1_25partition_config_selectorILNS1_17partition_subalgoE4EjNS0_10empty_typeEbEEZZNS1_14partition_implILS8_4ELb0ES6_15HIP_vector_typeIjLj2EENS0_17counting_iteratorIjlEEPS9_SG_NS0_5tupleIJPjSI_NS0_16reverse_iteratorISI_EEEEENSH_IJSG_SG_SG_EEES9_SI_JZNS1_25segmented_radix_sort_implINS0_14default_configELb0EPKhPhPKlPlN2at6native12_GLOBAL__N_18offset_tEEE10hipError_tPvRmT1_PNSt15iterator_traitsIS12_E10value_typeET2_T3_PNS13_IS18_E10value_typeET4_jRbjT5_S1E_jjP12ihipStream_tbEUljE_ZNSN_ISO_Lb0ESQ_SR_ST_SU_SY_EESZ_S10_S11_S12_S16_S17_S18_S1B_S1C_jS1D_jS1E_S1E_jjS1G_bEUljE0_EEESZ_S10_S11_S18_S1C_S1E_T6_T7_T9_mT8_S1G_bDpT10_ENKUlT_T0_E_clISt17integral_constantIbLb0EES1U_EEDaS1P_S1Q_EUlS1P_E_NS1_11comp_targetILNS1_3genE3ELNS1_11target_archE908ELNS1_3gpuE7ELNS1_3repE0EEENS1_30default_config_static_selectorELNS0_4arch9wavefront6targetE0EEEvS12_,"axG",@progbits,_ZN7rocprim17ROCPRIM_400000_NS6detail17trampoline_kernelINS0_13select_configILj256ELj13ELNS0_17block_load_methodE3ELS4_3ELS4_3ELNS0_20block_scan_algorithmE0ELj4294967295EEENS1_25partition_config_selectorILNS1_17partition_subalgoE4EjNS0_10empty_typeEbEEZZNS1_14partition_implILS8_4ELb0ES6_15HIP_vector_typeIjLj2EENS0_17counting_iteratorIjlEEPS9_SG_NS0_5tupleIJPjSI_NS0_16reverse_iteratorISI_EEEEENSH_IJSG_SG_SG_EEES9_SI_JZNS1_25segmented_radix_sort_implINS0_14default_configELb0EPKhPhPKlPlN2at6native12_GLOBAL__N_18offset_tEEE10hipError_tPvRmT1_PNSt15iterator_traitsIS12_E10value_typeET2_T3_PNS13_IS18_E10value_typeET4_jRbjT5_S1E_jjP12ihipStream_tbEUljE_ZNSN_ISO_Lb0ESQ_SR_ST_SU_SY_EESZ_S10_S11_S12_S16_S17_S18_S1B_S1C_jS1D_jS1E_S1E_jjS1G_bEUljE0_EEESZ_S10_S11_S18_S1C_S1E_T6_T7_T9_mT8_S1G_bDpT10_ENKUlT_T0_E_clISt17integral_constantIbLb0EES1U_EEDaS1P_S1Q_EUlS1P_E_NS1_11comp_targetILNS1_3genE3ELNS1_11target_archE908ELNS1_3gpuE7ELNS1_3repE0EEENS1_30default_config_static_selectorELNS0_4arch9wavefront6targetE0EEEvS12_,comdat
	.globl	_ZN7rocprim17ROCPRIM_400000_NS6detail17trampoline_kernelINS0_13select_configILj256ELj13ELNS0_17block_load_methodE3ELS4_3ELS4_3ELNS0_20block_scan_algorithmE0ELj4294967295EEENS1_25partition_config_selectorILNS1_17partition_subalgoE4EjNS0_10empty_typeEbEEZZNS1_14partition_implILS8_4ELb0ES6_15HIP_vector_typeIjLj2EENS0_17counting_iteratorIjlEEPS9_SG_NS0_5tupleIJPjSI_NS0_16reverse_iteratorISI_EEEEENSH_IJSG_SG_SG_EEES9_SI_JZNS1_25segmented_radix_sort_implINS0_14default_configELb0EPKhPhPKlPlN2at6native12_GLOBAL__N_18offset_tEEE10hipError_tPvRmT1_PNSt15iterator_traitsIS12_E10value_typeET2_T3_PNS13_IS18_E10value_typeET4_jRbjT5_S1E_jjP12ihipStream_tbEUljE_ZNSN_ISO_Lb0ESQ_SR_ST_SU_SY_EESZ_S10_S11_S12_S16_S17_S18_S1B_S1C_jS1D_jS1E_S1E_jjS1G_bEUljE0_EEESZ_S10_S11_S18_S1C_S1E_T6_T7_T9_mT8_S1G_bDpT10_ENKUlT_T0_E_clISt17integral_constantIbLb0EES1U_EEDaS1P_S1Q_EUlS1P_E_NS1_11comp_targetILNS1_3genE3ELNS1_11target_archE908ELNS1_3gpuE7ELNS1_3repE0EEENS1_30default_config_static_selectorELNS0_4arch9wavefront6targetE0EEEvS12_ ; -- Begin function _ZN7rocprim17ROCPRIM_400000_NS6detail17trampoline_kernelINS0_13select_configILj256ELj13ELNS0_17block_load_methodE3ELS4_3ELS4_3ELNS0_20block_scan_algorithmE0ELj4294967295EEENS1_25partition_config_selectorILNS1_17partition_subalgoE4EjNS0_10empty_typeEbEEZZNS1_14partition_implILS8_4ELb0ES6_15HIP_vector_typeIjLj2EENS0_17counting_iteratorIjlEEPS9_SG_NS0_5tupleIJPjSI_NS0_16reverse_iteratorISI_EEEEENSH_IJSG_SG_SG_EEES9_SI_JZNS1_25segmented_radix_sort_implINS0_14default_configELb0EPKhPhPKlPlN2at6native12_GLOBAL__N_18offset_tEEE10hipError_tPvRmT1_PNSt15iterator_traitsIS12_E10value_typeET2_T3_PNS13_IS18_E10value_typeET4_jRbjT5_S1E_jjP12ihipStream_tbEUljE_ZNSN_ISO_Lb0ESQ_SR_ST_SU_SY_EESZ_S10_S11_S12_S16_S17_S18_S1B_S1C_jS1D_jS1E_S1E_jjS1G_bEUljE0_EEESZ_S10_S11_S18_S1C_S1E_T6_T7_T9_mT8_S1G_bDpT10_ENKUlT_T0_E_clISt17integral_constantIbLb0EES1U_EEDaS1P_S1Q_EUlS1P_E_NS1_11comp_targetILNS1_3genE3ELNS1_11target_archE908ELNS1_3gpuE7ELNS1_3repE0EEENS1_30default_config_static_selectorELNS0_4arch9wavefront6targetE0EEEvS12_
	.p2align	8
	.type	_ZN7rocprim17ROCPRIM_400000_NS6detail17trampoline_kernelINS0_13select_configILj256ELj13ELNS0_17block_load_methodE3ELS4_3ELS4_3ELNS0_20block_scan_algorithmE0ELj4294967295EEENS1_25partition_config_selectorILNS1_17partition_subalgoE4EjNS0_10empty_typeEbEEZZNS1_14partition_implILS8_4ELb0ES6_15HIP_vector_typeIjLj2EENS0_17counting_iteratorIjlEEPS9_SG_NS0_5tupleIJPjSI_NS0_16reverse_iteratorISI_EEEEENSH_IJSG_SG_SG_EEES9_SI_JZNS1_25segmented_radix_sort_implINS0_14default_configELb0EPKhPhPKlPlN2at6native12_GLOBAL__N_18offset_tEEE10hipError_tPvRmT1_PNSt15iterator_traitsIS12_E10value_typeET2_T3_PNS13_IS18_E10value_typeET4_jRbjT5_S1E_jjP12ihipStream_tbEUljE_ZNSN_ISO_Lb0ESQ_SR_ST_SU_SY_EESZ_S10_S11_S12_S16_S17_S18_S1B_S1C_jS1D_jS1E_S1E_jjS1G_bEUljE0_EEESZ_S10_S11_S18_S1C_S1E_T6_T7_T9_mT8_S1G_bDpT10_ENKUlT_T0_E_clISt17integral_constantIbLb0EES1U_EEDaS1P_S1Q_EUlS1P_E_NS1_11comp_targetILNS1_3genE3ELNS1_11target_archE908ELNS1_3gpuE7ELNS1_3repE0EEENS1_30default_config_static_selectorELNS0_4arch9wavefront6targetE0EEEvS12_,@function
_ZN7rocprim17ROCPRIM_400000_NS6detail17trampoline_kernelINS0_13select_configILj256ELj13ELNS0_17block_load_methodE3ELS4_3ELS4_3ELNS0_20block_scan_algorithmE0ELj4294967295EEENS1_25partition_config_selectorILNS1_17partition_subalgoE4EjNS0_10empty_typeEbEEZZNS1_14partition_implILS8_4ELb0ES6_15HIP_vector_typeIjLj2EENS0_17counting_iteratorIjlEEPS9_SG_NS0_5tupleIJPjSI_NS0_16reverse_iteratorISI_EEEEENSH_IJSG_SG_SG_EEES9_SI_JZNS1_25segmented_radix_sort_implINS0_14default_configELb0EPKhPhPKlPlN2at6native12_GLOBAL__N_18offset_tEEE10hipError_tPvRmT1_PNSt15iterator_traitsIS12_E10value_typeET2_T3_PNS13_IS18_E10value_typeET4_jRbjT5_S1E_jjP12ihipStream_tbEUljE_ZNSN_ISO_Lb0ESQ_SR_ST_SU_SY_EESZ_S10_S11_S12_S16_S17_S18_S1B_S1C_jS1D_jS1E_S1E_jjS1G_bEUljE0_EEESZ_S10_S11_S18_S1C_S1E_T6_T7_T9_mT8_S1G_bDpT10_ENKUlT_T0_E_clISt17integral_constantIbLb0EES1U_EEDaS1P_S1Q_EUlS1P_E_NS1_11comp_targetILNS1_3genE3ELNS1_11target_archE908ELNS1_3gpuE7ELNS1_3repE0EEENS1_30default_config_static_selectorELNS0_4arch9wavefront6targetE0EEEvS12_: ; @_ZN7rocprim17ROCPRIM_400000_NS6detail17trampoline_kernelINS0_13select_configILj256ELj13ELNS0_17block_load_methodE3ELS4_3ELS4_3ELNS0_20block_scan_algorithmE0ELj4294967295EEENS1_25partition_config_selectorILNS1_17partition_subalgoE4EjNS0_10empty_typeEbEEZZNS1_14partition_implILS8_4ELb0ES6_15HIP_vector_typeIjLj2EENS0_17counting_iteratorIjlEEPS9_SG_NS0_5tupleIJPjSI_NS0_16reverse_iteratorISI_EEEEENSH_IJSG_SG_SG_EEES9_SI_JZNS1_25segmented_radix_sort_implINS0_14default_configELb0EPKhPhPKlPlN2at6native12_GLOBAL__N_18offset_tEEE10hipError_tPvRmT1_PNSt15iterator_traitsIS12_E10value_typeET2_T3_PNS13_IS18_E10value_typeET4_jRbjT5_S1E_jjP12ihipStream_tbEUljE_ZNSN_ISO_Lb0ESQ_SR_ST_SU_SY_EESZ_S10_S11_S12_S16_S17_S18_S1B_S1C_jS1D_jS1E_S1E_jjS1G_bEUljE0_EEESZ_S10_S11_S18_S1C_S1E_T6_T7_T9_mT8_S1G_bDpT10_ENKUlT_T0_E_clISt17integral_constantIbLb0EES1U_EEDaS1P_S1Q_EUlS1P_E_NS1_11comp_targetILNS1_3genE3ELNS1_11target_archE908ELNS1_3gpuE7ELNS1_3repE0EEENS1_30default_config_static_selectorELNS0_4arch9wavefront6targetE0EEEvS12_
; %bb.0:
	.section	.rodata,"a",@progbits
	.p2align	6, 0x0
	.amdhsa_kernel _ZN7rocprim17ROCPRIM_400000_NS6detail17trampoline_kernelINS0_13select_configILj256ELj13ELNS0_17block_load_methodE3ELS4_3ELS4_3ELNS0_20block_scan_algorithmE0ELj4294967295EEENS1_25partition_config_selectorILNS1_17partition_subalgoE4EjNS0_10empty_typeEbEEZZNS1_14partition_implILS8_4ELb0ES6_15HIP_vector_typeIjLj2EENS0_17counting_iteratorIjlEEPS9_SG_NS0_5tupleIJPjSI_NS0_16reverse_iteratorISI_EEEEENSH_IJSG_SG_SG_EEES9_SI_JZNS1_25segmented_radix_sort_implINS0_14default_configELb0EPKhPhPKlPlN2at6native12_GLOBAL__N_18offset_tEEE10hipError_tPvRmT1_PNSt15iterator_traitsIS12_E10value_typeET2_T3_PNS13_IS18_E10value_typeET4_jRbjT5_S1E_jjP12ihipStream_tbEUljE_ZNSN_ISO_Lb0ESQ_SR_ST_SU_SY_EESZ_S10_S11_S12_S16_S17_S18_S1B_S1C_jS1D_jS1E_S1E_jjS1G_bEUljE0_EEESZ_S10_S11_S18_S1C_S1E_T6_T7_T9_mT8_S1G_bDpT10_ENKUlT_T0_E_clISt17integral_constantIbLb0EES1U_EEDaS1P_S1Q_EUlS1P_E_NS1_11comp_targetILNS1_3genE3ELNS1_11target_archE908ELNS1_3gpuE7ELNS1_3repE0EEENS1_30default_config_static_selectorELNS0_4arch9wavefront6targetE0EEEvS12_
		.amdhsa_group_segment_fixed_size 0
		.amdhsa_private_segment_fixed_size 0
		.amdhsa_kernarg_size 176
		.amdhsa_user_sgpr_count 6
		.amdhsa_user_sgpr_private_segment_buffer 1
		.amdhsa_user_sgpr_dispatch_ptr 0
		.amdhsa_user_sgpr_queue_ptr 0
		.amdhsa_user_sgpr_kernarg_segment_ptr 1
		.amdhsa_user_sgpr_dispatch_id 0
		.amdhsa_user_sgpr_flat_scratch_init 0
		.amdhsa_user_sgpr_private_segment_size 0
		.amdhsa_wavefront_size32 1
		.amdhsa_uses_dynamic_stack 0
		.amdhsa_system_sgpr_private_segment_wavefront_offset 0
		.amdhsa_system_sgpr_workgroup_id_x 1
		.amdhsa_system_sgpr_workgroup_id_y 0
		.amdhsa_system_sgpr_workgroup_id_z 0
		.amdhsa_system_sgpr_workgroup_info 0
		.amdhsa_system_vgpr_workitem_id 0
		.amdhsa_next_free_vgpr 1
		.amdhsa_next_free_sgpr 1
		.amdhsa_reserve_vcc 0
		.amdhsa_reserve_flat_scratch 0
		.amdhsa_float_round_mode_32 0
		.amdhsa_float_round_mode_16_64 0
		.amdhsa_float_denorm_mode_32 3
		.amdhsa_float_denorm_mode_16_64 3
		.amdhsa_dx10_clamp 1
		.amdhsa_ieee_mode 1
		.amdhsa_fp16_overflow 0
		.amdhsa_workgroup_processor_mode 1
		.amdhsa_memory_ordered 1
		.amdhsa_forward_progress 1
		.amdhsa_shared_vgpr_count 0
		.amdhsa_exception_fp_ieee_invalid_op 0
		.amdhsa_exception_fp_denorm_src 0
		.amdhsa_exception_fp_ieee_div_zero 0
		.amdhsa_exception_fp_ieee_overflow 0
		.amdhsa_exception_fp_ieee_underflow 0
		.amdhsa_exception_fp_ieee_inexact 0
		.amdhsa_exception_int_div_zero 0
	.end_amdhsa_kernel
	.section	.text._ZN7rocprim17ROCPRIM_400000_NS6detail17trampoline_kernelINS0_13select_configILj256ELj13ELNS0_17block_load_methodE3ELS4_3ELS4_3ELNS0_20block_scan_algorithmE0ELj4294967295EEENS1_25partition_config_selectorILNS1_17partition_subalgoE4EjNS0_10empty_typeEbEEZZNS1_14partition_implILS8_4ELb0ES6_15HIP_vector_typeIjLj2EENS0_17counting_iteratorIjlEEPS9_SG_NS0_5tupleIJPjSI_NS0_16reverse_iteratorISI_EEEEENSH_IJSG_SG_SG_EEES9_SI_JZNS1_25segmented_radix_sort_implINS0_14default_configELb0EPKhPhPKlPlN2at6native12_GLOBAL__N_18offset_tEEE10hipError_tPvRmT1_PNSt15iterator_traitsIS12_E10value_typeET2_T3_PNS13_IS18_E10value_typeET4_jRbjT5_S1E_jjP12ihipStream_tbEUljE_ZNSN_ISO_Lb0ESQ_SR_ST_SU_SY_EESZ_S10_S11_S12_S16_S17_S18_S1B_S1C_jS1D_jS1E_S1E_jjS1G_bEUljE0_EEESZ_S10_S11_S18_S1C_S1E_T6_T7_T9_mT8_S1G_bDpT10_ENKUlT_T0_E_clISt17integral_constantIbLb0EES1U_EEDaS1P_S1Q_EUlS1P_E_NS1_11comp_targetILNS1_3genE3ELNS1_11target_archE908ELNS1_3gpuE7ELNS1_3repE0EEENS1_30default_config_static_selectorELNS0_4arch9wavefront6targetE0EEEvS12_,"axG",@progbits,_ZN7rocprim17ROCPRIM_400000_NS6detail17trampoline_kernelINS0_13select_configILj256ELj13ELNS0_17block_load_methodE3ELS4_3ELS4_3ELNS0_20block_scan_algorithmE0ELj4294967295EEENS1_25partition_config_selectorILNS1_17partition_subalgoE4EjNS0_10empty_typeEbEEZZNS1_14partition_implILS8_4ELb0ES6_15HIP_vector_typeIjLj2EENS0_17counting_iteratorIjlEEPS9_SG_NS0_5tupleIJPjSI_NS0_16reverse_iteratorISI_EEEEENSH_IJSG_SG_SG_EEES9_SI_JZNS1_25segmented_radix_sort_implINS0_14default_configELb0EPKhPhPKlPlN2at6native12_GLOBAL__N_18offset_tEEE10hipError_tPvRmT1_PNSt15iterator_traitsIS12_E10value_typeET2_T3_PNS13_IS18_E10value_typeET4_jRbjT5_S1E_jjP12ihipStream_tbEUljE_ZNSN_ISO_Lb0ESQ_SR_ST_SU_SY_EESZ_S10_S11_S12_S16_S17_S18_S1B_S1C_jS1D_jS1E_S1E_jjS1G_bEUljE0_EEESZ_S10_S11_S18_S1C_S1E_T6_T7_T9_mT8_S1G_bDpT10_ENKUlT_T0_E_clISt17integral_constantIbLb0EES1U_EEDaS1P_S1Q_EUlS1P_E_NS1_11comp_targetILNS1_3genE3ELNS1_11target_archE908ELNS1_3gpuE7ELNS1_3repE0EEENS1_30default_config_static_selectorELNS0_4arch9wavefront6targetE0EEEvS12_,comdat
.Lfunc_end124:
	.size	_ZN7rocprim17ROCPRIM_400000_NS6detail17trampoline_kernelINS0_13select_configILj256ELj13ELNS0_17block_load_methodE3ELS4_3ELS4_3ELNS0_20block_scan_algorithmE0ELj4294967295EEENS1_25partition_config_selectorILNS1_17partition_subalgoE4EjNS0_10empty_typeEbEEZZNS1_14partition_implILS8_4ELb0ES6_15HIP_vector_typeIjLj2EENS0_17counting_iteratorIjlEEPS9_SG_NS0_5tupleIJPjSI_NS0_16reverse_iteratorISI_EEEEENSH_IJSG_SG_SG_EEES9_SI_JZNS1_25segmented_radix_sort_implINS0_14default_configELb0EPKhPhPKlPlN2at6native12_GLOBAL__N_18offset_tEEE10hipError_tPvRmT1_PNSt15iterator_traitsIS12_E10value_typeET2_T3_PNS13_IS18_E10value_typeET4_jRbjT5_S1E_jjP12ihipStream_tbEUljE_ZNSN_ISO_Lb0ESQ_SR_ST_SU_SY_EESZ_S10_S11_S12_S16_S17_S18_S1B_S1C_jS1D_jS1E_S1E_jjS1G_bEUljE0_EEESZ_S10_S11_S18_S1C_S1E_T6_T7_T9_mT8_S1G_bDpT10_ENKUlT_T0_E_clISt17integral_constantIbLb0EES1U_EEDaS1P_S1Q_EUlS1P_E_NS1_11comp_targetILNS1_3genE3ELNS1_11target_archE908ELNS1_3gpuE7ELNS1_3repE0EEENS1_30default_config_static_selectorELNS0_4arch9wavefront6targetE0EEEvS12_, .Lfunc_end124-_ZN7rocprim17ROCPRIM_400000_NS6detail17trampoline_kernelINS0_13select_configILj256ELj13ELNS0_17block_load_methodE3ELS4_3ELS4_3ELNS0_20block_scan_algorithmE0ELj4294967295EEENS1_25partition_config_selectorILNS1_17partition_subalgoE4EjNS0_10empty_typeEbEEZZNS1_14partition_implILS8_4ELb0ES6_15HIP_vector_typeIjLj2EENS0_17counting_iteratorIjlEEPS9_SG_NS0_5tupleIJPjSI_NS0_16reverse_iteratorISI_EEEEENSH_IJSG_SG_SG_EEES9_SI_JZNS1_25segmented_radix_sort_implINS0_14default_configELb0EPKhPhPKlPlN2at6native12_GLOBAL__N_18offset_tEEE10hipError_tPvRmT1_PNSt15iterator_traitsIS12_E10value_typeET2_T3_PNS13_IS18_E10value_typeET4_jRbjT5_S1E_jjP12ihipStream_tbEUljE_ZNSN_ISO_Lb0ESQ_SR_ST_SU_SY_EESZ_S10_S11_S12_S16_S17_S18_S1B_S1C_jS1D_jS1E_S1E_jjS1G_bEUljE0_EEESZ_S10_S11_S18_S1C_S1E_T6_T7_T9_mT8_S1G_bDpT10_ENKUlT_T0_E_clISt17integral_constantIbLb0EES1U_EEDaS1P_S1Q_EUlS1P_E_NS1_11comp_targetILNS1_3genE3ELNS1_11target_archE908ELNS1_3gpuE7ELNS1_3repE0EEENS1_30default_config_static_selectorELNS0_4arch9wavefront6targetE0EEEvS12_
                                        ; -- End function
	.set _ZN7rocprim17ROCPRIM_400000_NS6detail17trampoline_kernelINS0_13select_configILj256ELj13ELNS0_17block_load_methodE3ELS4_3ELS4_3ELNS0_20block_scan_algorithmE0ELj4294967295EEENS1_25partition_config_selectorILNS1_17partition_subalgoE4EjNS0_10empty_typeEbEEZZNS1_14partition_implILS8_4ELb0ES6_15HIP_vector_typeIjLj2EENS0_17counting_iteratorIjlEEPS9_SG_NS0_5tupleIJPjSI_NS0_16reverse_iteratorISI_EEEEENSH_IJSG_SG_SG_EEES9_SI_JZNS1_25segmented_radix_sort_implINS0_14default_configELb0EPKhPhPKlPlN2at6native12_GLOBAL__N_18offset_tEEE10hipError_tPvRmT1_PNSt15iterator_traitsIS12_E10value_typeET2_T3_PNS13_IS18_E10value_typeET4_jRbjT5_S1E_jjP12ihipStream_tbEUljE_ZNSN_ISO_Lb0ESQ_SR_ST_SU_SY_EESZ_S10_S11_S12_S16_S17_S18_S1B_S1C_jS1D_jS1E_S1E_jjS1G_bEUljE0_EEESZ_S10_S11_S18_S1C_S1E_T6_T7_T9_mT8_S1G_bDpT10_ENKUlT_T0_E_clISt17integral_constantIbLb0EES1U_EEDaS1P_S1Q_EUlS1P_E_NS1_11comp_targetILNS1_3genE3ELNS1_11target_archE908ELNS1_3gpuE7ELNS1_3repE0EEENS1_30default_config_static_selectorELNS0_4arch9wavefront6targetE0EEEvS12_.num_vgpr, 0
	.set _ZN7rocprim17ROCPRIM_400000_NS6detail17trampoline_kernelINS0_13select_configILj256ELj13ELNS0_17block_load_methodE3ELS4_3ELS4_3ELNS0_20block_scan_algorithmE0ELj4294967295EEENS1_25partition_config_selectorILNS1_17partition_subalgoE4EjNS0_10empty_typeEbEEZZNS1_14partition_implILS8_4ELb0ES6_15HIP_vector_typeIjLj2EENS0_17counting_iteratorIjlEEPS9_SG_NS0_5tupleIJPjSI_NS0_16reverse_iteratorISI_EEEEENSH_IJSG_SG_SG_EEES9_SI_JZNS1_25segmented_radix_sort_implINS0_14default_configELb0EPKhPhPKlPlN2at6native12_GLOBAL__N_18offset_tEEE10hipError_tPvRmT1_PNSt15iterator_traitsIS12_E10value_typeET2_T3_PNS13_IS18_E10value_typeET4_jRbjT5_S1E_jjP12ihipStream_tbEUljE_ZNSN_ISO_Lb0ESQ_SR_ST_SU_SY_EESZ_S10_S11_S12_S16_S17_S18_S1B_S1C_jS1D_jS1E_S1E_jjS1G_bEUljE0_EEESZ_S10_S11_S18_S1C_S1E_T6_T7_T9_mT8_S1G_bDpT10_ENKUlT_T0_E_clISt17integral_constantIbLb0EES1U_EEDaS1P_S1Q_EUlS1P_E_NS1_11comp_targetILNS1_3genE3ELNS1_11target_archE908ELNS1_3gpuE7ELNS1_3repE0EEENS1_30default_config_static_selectorELNS0_4arch9wavefront6targetE0EEEvS12_.num_agpr, 0
	.set _ZN7rocprim17ROCPRIM_400000_NS6detail17trampoline_kernelINS0_13select_configILj256ELj13ELNS0_17block_load_methodE3ELS4_3ELS4_3ELNS0_20block_scan_algorithmE0ELj4294967295EEENS1_25partition_config_selectorILNS1_17partition_subalgoE4EjNS0_10empty_typeEbEEZZNS1_14partition_implILS8_4ELb0ES6_15HIP_vector_typeIjLj2EENS0_17counting_iteratorIjlEEPS9_SG_NS0_5tupleIJPjSI_NS0_16reverse_iteratorISI_EEEEENSH_IJSG_SG_SG_EEES9_SI_JZNS1_25segmented_radix_sort_implINS0_14default_configELb0EPKhPhPKlPlN2at6native12_GLOBAL__N_18offset_tEEE10hipError_tPvRmT1_PNSt15iterator_traitsIS12_E10value_typeET2_T3_PNS13_IS18_E10value_typeET4_jRbjT5_S1E_jjP12ihipStream_tbEUljE_ZNSN_ISO_Lb0ESQ_SR_ST_SU_SY_EESZ_S10_S11_S12_S16_S17_S18_S1B_S1C_jS1D_jS1E_S1E_jjS1G_bEUljE0_EEESZ_S10_S11_S18_S1C_S1E_T6_T7_T9_mT8_S1G_bDpT10_ENKUlT_T0_E_clISt17integral_constantIbLb0EES1U_EEDaS1P_S1Q_EUlS1P_E_NS1_11comp_targetILNS1_3genE3ELNS1_11target_archE908ELNS1_3gpuE7ELNS1_3repE0EEENS1_30default_config_static_selectorELNS0_4arch9wavefront6targetE0EEEvS12_.numbered_sgpr, 0
	.set _ZN7rocprim17ROCPRIM_400000_NS6detail17trampoline_kernelINS0_13select_configILj256ELj13ELNS0_17block_load_methodE3ELS4_3ELS4_3ELNS0_20block_scan_algorithmE0ELj4294967295EEENS1_25partition_config_selectorILNS1_17partition_subalgoE4EjNS0_10empty_typeEbEEZZNS1_14partition_implILS8_4ELb0ES6_15HIP_vector_typeIjLj2EENS0_17counting_iteratorIjlEEPS9_SG_NS0_5tupleIJPjSI_NS0_16reverse_iteratorISI_EEEEENSH_IJSG_SG_SG_EEES9_SI_JZNS1_25segmented_radix_sort_implINS0_14default_configELb0EPKhPhPKlPlN2at6native12_GLOBAL__N_18offset_tEEE10hipError_tPvRmT1_PNSt15iterator_traitsIS12_E10value_typeET2_T3_PNS13_IS18_E10value_typeET4_jRbjT5_S1E_jjP12ihipStream_tbEUljE_ZNSN_ISO_Lb0ESQ_SR_ST_SU_SY_EESZ_S10_S11_S12_S16_S17_S18_S1B_S1C_jS1D_jS1E_S1E_jjS1G_bEUljE0_EEESZ_S10_S11_S18_S1C_S1E_T6_T7_T9_mT8_S1G_bDpT10_ENKUlT_T0_E_clISt17integral_constantIbLb0EES1U_EEDaS1P_S1Q_EUlS1P_E_NS1_11comp_targetILNS1_3genE3ELNS1_11target_archE908ELNS1_3gpuE7ELNS1_3repE0EEENS1_30default_config_static_selectorELNS0_4arch9wavefront6targetE0EEEvS12_.num_named_barrier, 0
	.set _ZN7rocprim17ROCPRIM_400000_NS6detail17trampoline_kernelINS0_13select_configILj256ELj13ELNS0_17block_load_methodE3ELS4_3ELS4_3ELNS0_20block_scan_algorithmE0ELj4294967295EEENS1_25partition_config_selectorILNS1_17partition_subalgoE4EjNS0_10empty_typeEbEEZZNS1_14partition_implILS8_4ELb0ES6_15HIP_vector_typeIjLj2EENS0_17counting_iteratorIjlEEPS9_SG_NS0_5tupleIJPjSI_NS0_16reverse_iteratorISI_EEEEENSH_IJSG_SG_SG_EEES9_SI_JZNS1_25segmented_radix_sort_implINS0_14default_configELb0EPKhPhPKlPlN2at6native12_GLOBAL__N_18offset_tEEE10hipError_tPvRmT1_PNSt15iterator_traitsIS12_E10value_typeET2_T3_PNS13_IS18_E10value_typeET4_jRbjT5_S1E_jjP12ihipStream_tbEUljE_ZNSN_ISO_Lb0ESQ_SR_ST_SU_SY_EESZ_S10_S11_S12_S16_S17_S18_S1B_S1C_jS1D_jS1E_S1E_jjS1G_bEUljE0_EEESZ_S10_S11_S18_S1C_S1E_T6_T7_T9_mT8_S1G_bDpT10_ENKUlT_T0_E_clISt17integral_constantIbLb0EES1U_EEDaS1P_S1Q_EUlS1P_E_NS1_11comp_targetILNS1_3genE3ELNS1_11target_archE908ELNS1_3gpuE7ELNS1_3repE0EEENS1_30default_config_static_selectorELNS0_4arch9wavefront6targetE0EEEvS12_.private_seg_size, 0
	.set _ZN7rocprim17ROCPRIM_400000_NS6detail17trampoline_kernelINS0_13select_configILj256ELj13ELNS0_17block_load_methodE3ELS4_3ELS4_3ELNS0_20block_scan_algorithmE0ELj4294967295EEENS1_25partition_config_selectorILNS1_17partition_subalgoE4EjNS0_10empty_typeEbEEZZNS1_14partition_implILS8_4ELb0ES6_15HIP_vector_typeIjLj2EENS0_17counting_iteratorIjlEEPS9_SG_NS0_5tupleIJPjSI_NS0_16reverse_iteratorISI_EEEEENSH_IJSG_SG_SG_EEES9_SI_JZNS1_25segmented_radix_sort_implINS0_14default_configELb0EPKhPhPKlPlN2at6native12_GLOBAL__N_18offset_tEEE10hipError_tPvRmT1_PNSt15iterator_traitsIS12_E10value_typeET2_T3_PNS13_IS18_E10value_typeET4_jRbjT5_S1E_jjP12ihipStream_tbEUljE_ZNSN_ISO_Lb0ESQ_SR_ST_SU_SY_EESZ_S10_S11_S12_S16_S17_S18_S1B_S1C_jS1D_jS1E_S1E_jjS1G_bEUljE0_EEESZ_S10_S11_S18_S1C_S1E_T6_T7_T9_mT8_S1G_bDpT10_ENKUlT_T0_E_clISt17integral_constantIbLb0EES1U_EEDaS1P_S1Q_EUlS1P_E_NS1_11comp_targetILNS1_3genE3ELNS1_11target_archE908ELNS1_3gpuE7ELNS1_3repE0EEENS1_30default_config_static_selectorELNS0_4arch9wavefront6targetE0EEEvS12_.uses_vcc, 0
	.set _ZN7rocprim17ROCPRIM_400000_NS6detail17trampoline_kernelINS0_13select_configILj256ELj13ELNS0_17block_load_methodE3ELS4_3ELS4_3ELNS0_20block_scan_algorithmE0ELj4294967295EEENS1_25partition_config_selectorILNS1_17partition_subalgoE4EjNS0_10empty_typeEbEEZZNS1_14partition_implILS8_4ELb0ES6_15HIP_vector_typeIjLj2EENS0_17counting_iteratorIjlEEPS9_SG_NS0_5tupleIJPjSI_NS0_16reverse_iteratorISI_EEEEENSH_IJSG_SG_SG_EEES9_SI_JZNS1_25segmented_radix_sort_implINS0_14default_configELb0EPKhPhPKlPlN2at6native12_GLOBAL__N_18offset_tEEE10hipError_tPvRmT1_PNSt15iterator_traitsIS12_E10value_typeET2_T3_PNS13_IS18_E10value_typeET4_jRbjT5_S1E_jjP12ihipStream_tbEUljE_ZNSN_ISO_Lb0ESQ_SR_ST_SU_SY_EESZ_S10_S11_S12_S16_S17_S18_S1B_S1C_jS1D_jS1E_S1E_jjS1G_bEUljE0_EEESZ_S10_S11_S18_S1C_S1E_T6_T7_T9_mT8_S1G_bDpT10_ENKUlT_T0_E_clISt17integral_constantIbLb0EES1U_EEDaS1P_S1Q_EUlS1P_E_NS1_11comp_targetILNS1_3genE3ELNS1_11target_archE908ELNS1_3gpuE7ELNS1_3repE0EEENS1_30default_config_static_selectorELNS0_4arch9wavefront6targetE0EEEvS12_.uses_flat_scratch, 0
	.set _ZN7rocprim17ROCPRIM_400000_NS6detail17trampoline_kernelINS0_13select_configILj256ELj13ELNS0_17block_load_methodE3ELS4_3ELS4_3ELNS0_20block_scan_algorithmE0ELj4294967295EEENS1_25partition_config_selectorILNS1_17partition_subalgoE4EjNS0_10empty_typeEbEEZZNS1_14partition_implILS8_4ELb0ES6_15HIP_vector_typeIjLj2EENS0_17counting_iteratorIjlEEPS9_SG_NS0_5tupleIJPjSI_NS0_16reverse_iteratorISI_EEEEENSH_IJSG_SG_SG_EEES9_SI_JZNS1_25segmented_radix_sort_implINS0_14default_configELb0EPKhPhPKlPlN2at6native12_GLOBAL__N_18offset_tEEE10hipError_tPvRmT1_PNSt15iterator_traitsIS12_E10value_typeET2_T3_PNS13_IS18_E10value_typeET4_jRbjT5_S1E_jjP12ihipStream_tbEUljE_ZNSN_ISO_Lb0ESQ_SR_ST_SU_SY_EESZ_S10_S11_S12_S16_S17_S18_S1B_S1C_jS1D_jS1E_S1E_jjS1G_bEUljE0_EEESZ_S10_S11_S18_S1C_S1E_T6_T7_T9_mT8_S1G_bDpT10_ENKUlT_T0_E_clISt17integral_constantIbLb0EES1U_EEDaS1P_S1Q_EUlS1P_E_NS1_11comp_targetILNS1_3genE3ELNS1_11target_archE908ELNS1_3gpuE7ELNS1_3repE0EEENS1_30default_config_static_selectorELNS0_4arch9wavefront6targetE0EEEvS12_.has_dyn_sized_stack, 0
	.set _ZN7rocprim17ROCPRIM_400000_NS6detail17trampoline_kernelINS0_13select_configILj256ELj13ELNS0_17block_load_methodE3ELS4_3ELS4_3ELNS0_20block_scan_algorithmE0ELj4294967295EEENS1_25partition_config_selectorILNS1_17partition_subalgoE4EjNS0_10empty_typeEbEEZZNS1_14partition_implILS8_4ELb0ES6_15HIP_vector_typeIjLj2EENS0_17counting_iteratorIjlEEPS9_SG_NS0_5tupleIJPjSI_NS0_16reverse_iteratorISI_EEEEENSH_IJSG_SG_SG_EEES9_SI_JZNS1_25segmented_radix_sort_implINS0_14default_configELb0EPKhPhPKlPlN2at6native12_GLOBAL__N_18offset_tEEE10hipError_tPvRmT1_PNSt15iterator_traitsIS12_E10value_typeET2_T3_PNS13_IS18_E10value_typeET4_jRbjT5_S1E_jjP12ihipStream_tbEUljE_ZNSN_ISO_Lb0ESQ_SR_ST_SU_SY_EESZ_S10_S11_S12_S16_S17_S18_S1B_S1C_jS1D_jS1E_S1E_jjS1G_bEUljE0_EEESZ_S10_S11_S18_S1C_S1E_T6_T7_T9_mT8_S1G_bDpT10_ENKUlT_T0_E_clISt17integral_constantIbLb0EES1U_EEDaS1P_S1Q_EUlS1P_E_NS1_11comp_targetILNS1_3genE3ELNS1_11target_archE908ELNS1_3gpuE7ELNS1_3repE0EEENS1_30default_config_static_selectorELNS0_4arch9wavefront6targetE0EEEvS12_.has_recursion, 0
	.set _ZN7rocprim17ROCPRIM_400000_NS6detail17trampoline_kernelINS0_13select_configILj256ELj13ELNS0_17block_load_methodE3ELS4_3ELS4_3ELNS0_20block_scan_algorithmE0ELj4294967295EEENS1_25partition_config_selectorILNS1_17partition_subalgoE4EjNS0_10empty_typeEbEEZZNS1_14partition_implILS8_4ELb0ES6_15HIP_vector_typeIjLj2EENS0_17counting_iteratorIjlEEPS9_SG_NS0_5tupleIJPjSI_NS0_16reverse_iteratorISI_EEEEENSH_IJSG_SG_SG_EEES9_SI_JZNS1_25segmented_radix_sort_implINS0_14default_configELb0EPKhPhPKlPlN2at6native12_GLOBAL__N_18offset_tEEE10hipError_tPvRmT1_PNSt15iterator_traitsIS12_E10value_typeET2_T3_PNS13_IS18_E10value_typeET4_jRbjT5_S1E_jjP12ihipStream_tbEUljE_ZNSN_ISO_Lb0ESQ_SR_ST_SU_SY_EESZ_S10_S11_S12_S16_S17_S18_S1B_S1C_jS1D_jS1E_S1E_jjS1G_bEUljE0_EEESZ_S10_S11_S18_S1C_S1E_T6_T7_T9_mT8_S1G_bDpT10_ENKUlT_T0_E_clISt17integral_constantIbLb0EES1U_EEDaS1P_S1Q_EUlS1P_E_NS1_11comp_targetILNS1_3genE3ELNS1_11target_archE908ELNS1_3gpuE7ELNS1_3repE0EEENS1_30default_config_static_selectorELNS0_4arch9wavefront6targetE0EEEvS12_.has_indirect_call, 0
	.section	.AMDGPU.csdata,"",@progbits
; Kernel info:
; codeLenInByte = 0
; TotalNumSgprs: 0
; NumVgprs: 0
; ScratchSize: 0
; MemoryBound: 0
; FloatMode: 240
; IeeeMode: 1
; LDSByteSize: 0 bytes/workgroup (compile time only)
; SGPRBlocks: 0
; VGPRBlocks: 0
; NumSGPRsForWavesPerEU: 1
; NumVGPRsForWavesPerEU: 1
; Occupancy: 16
; WaveLimiterHint : 0
; COMPUTE_PGM_RSRC2:SCRATCH_EN: 0
; COMPUTE_PGM_RSRC2:USER_SGPR: 6
; COMPUTE_PGM_RSRC2:TRAP_HANDLER: 0
; COMPUTE_PGM_RSRC2:TGID_X_EN: 1
; COMPUTE_PGM_RSRC2:TGID_Y_EN: 0
; COMPUTE_PGM_RSRC2:TGID_Z_EN: 0
; COMPUTE_PGM_RSRC2:TIDIG_COMP_CNT: 0
	.section	.text._ZN7rocprim17ROCPRIM_400000_NS6detail17trampoline_kernelINS0_13select_configILj256ELj13ELNS0_17block_load_methodE3ELS4_3ELS4_3ELNS0_20block_scan_algorithmE0ELj4294967295EEENS1_25partition_config_selectorILNS1_17partition_subalgoE4EjNS0_10empty_typeEbEEZZNS1_14partition_implILS8_4ELb0ES6_15HIP_vector_typeIjLj2EENS0_17counting_iteratorIjlEEPS9_SG_NS0_5tupleIJPjSI_NS0_16reverse_iteratorISI_EEEEENSH_IJSG_SG_SG_EEES9_SI_JZNS1_25segmented_radix_sort_implINS0_14default_configELb0EPKhPhPKlPlN2at6native12_GLOBAL__N_18offset_tEEE10hipError_tPvRmT1_PNSt15iterator_traitsIS12_E10value_typeET2_T3_PNS13_IS18_E10value_typeET4_jRbjT5_S1E_jjP12ihipStream_tbEUljE_ZNSN_ISO_Lb0ESQ_SR_ST_SU_SY_EESZ_S10_S11_S12_S16_S17_S18_S1B_S1C_jS1D_jS1E_S1E_jjS1G_bEUljE0_EEESZ_S10_S11_S18_S1C_S1E_T6_T7_T9_mT8_S1G_bDpT10_ENKUlT_T0_E_clISt17integral_constantIbLb0EES1U_EEDaS1P_S1Q_EUlS1P_E_NS1_11comp_targetILNS1_3genE2ELNS1_11target_archE906ELNS1_3gpuE6ELNS1_3repE0EEENS1_30default_config_static_selectorELNS0_4arch9wavefront6targetE0EEEvS12_,"axG",@progbits,_ZN7rocprim17ROCPRIM_400000_NS6detail17trampoline_kernelINS0_13select_configILj256ELj13ELNS0_17block_load_methodE3ELS4_3ELS4_3ELNS0_20block_scan_algorithmE0ELj4294967295EEENS1_25partition_config_selectorILNS1_17partition_subalgoE4EjNS0_10empty_typeEbEEZZNS1_14partition_implILS8_4ELb0ES6_15HIP_vector_typeIjLj2EENS0_17counting_iteratorIjlEEPS9_SG_NS0_5tupleIJPjSI_NS0_16reverse_iteratorISI_EEEEENSH_IJSG_SG_SG_EEES9_SI_JZNS1_25segmented_radix_sort_implINS0_14default_configELb0EPKhPhPKlPlN2at6native12_GLOBAL__N_18offset_tEEE10hipError_tPvRmT1_PNSt15iterator_traitsIS12_E10value_typeET2_T3_PNS13_IS18_E10value_typeET4_jRbjT5_S1E_jjP12ihipStream_tbEUljE_ZNSN_ISO_Lb0ESQ_SR_ST_SU_SY_EESZ_S10_S11_S12_S16_S17_S18_S1B_S1C_jS1D_jS1E_S1E_jjS1G_bEUljE0_EEESZ_S10_S11_S18_S1C_S1E_T6_T7_T9_mT8_S1G_bDpT10_ENKUlT_T0_E_clISt17integral_constantIbLb0EES1U_EEDaS1P_S1Q_EUlS1P_E_NS1_11comp_targetILNS1_3genE2ELNS1_11target_archE906ELNS1_3gpuE6ELNS1_3repE0EEENS1_30default_config_static_selectorELNS0_4arch9wavefront6targetE0EEEvS12_,comdat
	.globl	_ZN7rocprim17ROCPRIM_400000_NS6detail17trampoline_kernelINS0_13select_configILj256ELj13ELNS0_17block_load_methodE3ELS4_3ELS4_3ELNS0_20block_scan_algorithmE0ELj4294967295EEENS1_25partition_config_selectorILNS1_17partition_subalgoE4EjNS0_10empty_typeEbEEZZNS1_14partition_implILS8_4ELb0ES6_15HIP_vector_typeIjLj2EENS0_17counting_iteratorIjlEEPS9_SG_NS0_5tupleIJPjSI_NS0_16reverse_iteratorISI_EEEEENSH_IJSG_SG_SG_EEES9_SI_JZNS1_25segmented_radix_sort_implINS0_14default_configELb0EPKhPhPKlPlN2at6native12_GLOBAL__N_18offset_tEEE10hipError_tPvRmT1_PNSt15iterator_traitsIS12_E10value_typeET2_T3_PNS13_IS18_E10value_typeET4_jRbjT5_S1E_jjP12ihipStream_tbEUljE_ZNSN_ISO_Lb0ESQ_SR_ST_SU_SY_EESZ_S10_S11_S12_S16_S17_S18_S1B_S1C_jS1D_jS1E_S1E_jjS1G_bEUljE0_EEESZ_S10_S11_S18_S1C_S1E_T6_T7_T9_mT8_S1G_bDpT10_ENKUlT_T0_E_clISt17integral_constantIbLb0EES1U_EEDaS1P_S1Q_EUlS1P_E_NS1_11comp_targetILNS1_3genE2ELNS1_11target_archE906ELNS1_3gpuE6ELNS1_3repE0EEENS1_30default_config_static_selectorELNS0_4arch9wavefront6targetE0EEEvS12_ ; -- Begin function _ZN7rocprim17ROCPRIM_400000_NS6detail17trampoline_kernelINS0_13select_configILj256ELj13ELNS0_17block_load_methodE3ELS4_3ELS4_3ELNS0_20block_scan_algorithmE0ELj4294967295EEENS1_25partition_config_selectorILNS1_17partition_subalgoE4EjNS0_10empty_typeEbEEZZNS1_14partition_implILS8_4ELb0ES6_15HIP_vector_typeIjLj2EENS0_17counting_iteratorIjlEEPS9_SG_NS0_5tupleIJPjSI_NS0_16reverse_iteratorISI_EEEEENSH_IJSG_SG_SG_EEES9_SI_JZNS1_25segmented_radix_sort_implINS0_14default_configELb0EPKhPhPKlPlN2at6native12_GLOBAL__N_18offset_tEEE10hipError_tPvRmT1_PNSt15iterator_traitsIS12_E10value_typeET2_T3_PNS13_IS18_E10value_typeET4_jRbjT5_S1E_jjP12ihipStream_tbEUljE_ZNSN_ISO_Lb0ESQ_SR_ST_SU_SY_EESZ_S10_S11_S12_S16_S17_S18_S1B_S1C_jS1D_jS1E_S1E_jjS1G_bEUljE0_EEESZ_S10_S11_S18_S1C_S1E_T6_T7_T9_mT8_S1G_bDpT10_ENKUlT_T0_E_clISt17integral_constantIbLb0EES1U_EEDaS1P_S1Q_EUlS1P_E_NS1_11comp_targetILNS1_3genE2ELNS1_11target_archE906ELNS1_3gpuE6ELNS1_3repE0EEENS1_30default_config_static_selectorELNS0_4arch9wavefront6targetE0EEEvS12_
	.p2align	8
	.type	_ZN7rocprim17ROCPRIM_400000_NS6detail17trampoline_kernelINS0_13select_configILj256ELj13ELNS0_17block_load_methodE3ELS4_3ELS4_3ELNS0_20block_scan_algorithmE0ELj4294967295EEENS1_25partition_config_selectorILNS1_17partition_subalgoE4EjNS0_10empty_typeEbEEZZNS1_14partition_implILS8_4ELb0ES6_15HIP_vector_typeIjLj2EENS0_17counting_iteratorIjlEEPS9_SG_NS0_5tupleIJPjSI_NS0_16reverse_iteratorISI_EEEEENSH_IJSG_SG_SG_EEES9_SI_JZNS1_25segmented_radix_sort_implINS0_14default_configELb0EPKhPhPKlPlN2at6native12_GLOBAL__N_18offset_tEEE10hipError_tPvRmT1_PNSt15iterator_traitsIS12_E10value_typeET2_T3_PNS13_IS18_E10value_typeET4_jRbjT5_S1E_jjP12ihipStream_tbEUljE_ZNSN_ISO_Lb0ESQ_SR_ST_SU_SY_EESZ_S10_S11_S12_S16_S17_S18_S1B_S1C_jS1D_jS1E_S1E_jjS1G_bEUljE0_EEESZ_S10_S11_S18_S1C_S1E_T6_T7_T9_mT8_S1G_bDpT10_ENKUlT_T0_E_clISt17integral_constantIbLb0EES1U_EEDaS1P_S1Q_EUlS1P_E_NS1_11comp_targetILNS1_3genE2ELNS1_11target_archE906ELNS1_3gpuE6ELNS1_3repE0EEENS1_30default_config_static_selectorELNS0_4arch9wavefront6targetE0EEEvS12_,@function
_ZN7rocprim17ROCPRIM_400000_NS6detail17trampoline_kernelINS0_13select_configILj256ELj13ELNS0_17block_load_methodE3ELS4_3ELS4_3ELNS0_20block_scan_algorithmE0ELj4294967295EEENS1_25partition_config_selectorILNS1_17partition_subalgoE4EjNS0_10empty_typeEbEEZZNS1_14partition_implILS8_4ELb0ES6_15HIP_vector_typeIjLj2EENS0_17counting_iteratorIjlEEPS9_SG_NS0_5tupleIJPjSI_NS0_16reverse_iteratorISI_EEEEENSH_IJSG_SG_SG_EEES9_SI_JZNS1_25segmented_radix_sort_implINS0_14default_configELb0EPKhPhPKlPlN2at6native12_GLOBAL__N_18offset_tEEE10hipError_tPvRmT1_PNSt15iterator_traitsIS12_E10value_typeET2_T3_PNS13_IS18_E10value_typeET4_jRbjT5_S1E_jjP12ihipStream_tbEUljE_ZNSN_ISO_Lb0ESQ_SR_ST_SU_SY_EESZ_S10_S11_S12_S16_S17_S18_S1B_S1C_jS1D_jS1E_S1E_jjS1G_bEUljE0_EEESZ_S10_S11_S18_S1C_S1E_T6_T7_T9_mT8_S1G_bDpT10_ENKUlT_T0_E_clISt17integral_constantIbLb0EES1U_EEDaS1P_S1Q_EUlS1P_E_NS1_11comp_targetILNS1_3genE2ELNS1_11target_archE906ELNS1_3gpuE6ELNS1_3repE0EEENS1_30default_config_static_selectorELNS0_4arch9wavefront6targetE0EEEvS12_: ; @_ZN7rocprim17ROCPRIM_400000_NS6detail17trampoline_kernelINS0_13select_configILj256ELj13ELNS0_17block_load_methodE3ELS4_3ELS4_3ELNS0_20block_scan_algorithmE0ELj4294967295EEENS1_25partition_config_selectorILNS1_17partition_subalgoE4EjNS0_10empty_typeEbEEZZNS1_14partition_implILS8_4ELb0ES6_15HIP_vector_typeIjLj2EENS0_17counting_iteratorIjlEEPS9_SG_NS0_5tupleIJPjSI_NS0_16reverse_iteratorISI_EEEEENSH_IJSG_SG_SG_EEES9_SI_JZNS1_25segmented_radix_sort_implINS0_14default_configELb0EPKhPhPKlPlN2at6native12_GLOBAL__N_18offset_tEEE10hipError_tPvRmT1_PNSt15iterator_traitsIS12_E10value_typeET2_T3_PNS13_IS18_E10value_typeET4_jRbjT5_S1E_jjP12ihipStream_tbEUljE_ZNSN_ISO_Lb0ESQ_SR_ST_SU_SY_EESZ_S10_S11_S12_S16_S17_S18_S1B_S1C_jS1D_jS1E_S1E_jjS1G_bEUljE0_EEESZ_S10_S11_S18_S1C_S1E_T6_T7_T9_mT8_S1G_bDpT10_ENKUlT_T0_E_clISt17integral_constantIbLb0EES1U_EEDaS1P_S1Q_EUlS1P_E_NS1_11comp_targetILNS1_3genE2ELNS1_11target_archE906ELNS1_3gpuE6ELNS1_3repE0EEENS1_30default_config_static_selectorELNS0_4arch9wavefront6targetE0EEEvS12_
; %bb.0:
	.section	.rodata,"a",@progbits
	.p2align	6, 0x0
	.amdhsa_kernel _ZN7rocprim17ROCPRIM_400000_NS6detail17trampoline_kernelINS0_13select_configILj256ELj13ELNS0_17block_load_methodE3ELS4_3ELS4_3ELNS0_20block_scan_algorithmE0ELj4294967295EEENS1_25partition_config_selectorILNS1_17partition_subalgoE4EjNS0_10empty_typeEbEEZZNS1_14partition_implILS8_4ELb0ES6_15HIP_vector_typeIjLj2EENS0_17counting_iteratorIjlEEPS9_SG_NS0_5tupleIJPjSI_NS0_16reverse_iteratorISI_EEEEENSH_IJSG_SG_SG_EEES9_SI_JZNS1_25segmented_radix_sort_implINS0_14default_configELb0EPKhPhPKlPlN2at6native12_GLOBAL__N_18offset_tEEE10hipError_tPvRmT1_PNSt15iterator_traitsIS12_E10value_typeET2_T3_PNS13_IS18_E10value_typeET4_jRbjT5_S1E_jjP12ihipStream_tbEUljE_ZNSN_ISO_Lb0ESQ_SR_ST_SU_SY_EESZ_S10_S11_S12_S16_S17_S18_S1B_S1C_jS1D_jS1E_S1E_jjS1G_bEUljE0_EEESZ_S10_S11_S18_S1C_S1E_T6_T7_T9_mT8_S1G_bDpT10_ENKUlT_T0_E_clISt17integral_constantIbLb0EES1U_EEDaS1P_S1Q_EUlS1P_E_NS1_11comp_targetILNS1_3genE2ELNS1_11target_archE906ELNS1_3gpuE6ELNS1_3repE0EEENS1_30default_config_static_selectorELNS0_4arch9wavefront6targetE0EEEvS12_
		.amdhsa_group_segment_fixed_size 0
		.amdhsa_private_segment_fixed_size 0
		.amdhsa_kernarg_size 176
		.amdhsa_user_sgpr_count 6
		.amdhsa_user_sgpr_private_segment_buffer 1
		.amdhsa_user_sgpr_dispatch_ptr 0
		.amdhsa_user_sgpr_queue_ptr 0
		.amdhsa_user_sgpr_kernarg_segment_ptr 1
		.amdhsa_user_sgpr_dispatch_id 0
		.amdhsa_user_sgpr_flat_scratch_init 0
		.amdhsa_user_sgpr_private_segment_size 0
		.amdhsa_wavefront_size32 1
		.amdhsa_uses_dynamic_stack 0
		.amdhsa_system_sgpr_private_segment_wavefront_offset 0
		.amdhsa_system_sgpr_workgroup_id_x 1
		.amdhsa_system_sgpr_workgroup_id_y 0
		.amdhsa_system_sgpr_workgroup_id_z 0
		.amdhsa_system_sgpr_workgroup_info 0
		.amdhsa_system_vgpr_workitem_id 0
		.amdhsa_next_free_vgpr 1
		.amdhsa_next_free_sgpr 1
		.amdhsa_reserve_vcc 0
		.amdhsa_reserve_flat_scratch 0
		.amdhsa_float_round_mode_32 0
		.amdhsa_float_round_mode_16_64 0
		.amdhsa_float_denorm_mode_32 3
		.amdhsa_float_denorm_mode_16_64 3
		.amdhsa_dx10_clamp 1
		.amdhsa_ieee_mode 1
		.amdhsa_fp16_overflow 0
		.amdhsa_workgroup_processor_mode 1
		.amdhsa_memory_ordered 1
		.amdhsa_forward_progress 1
		.amdhsa_shared_vgpr_count 0
		.amdhsa_exception_fp_ieee_invalid_op 0
		.amdhsa_exception_fp_denorm_src 0
		.amdhsa_exception_fp_ieee_div_zero 0
		.amdhsa_exception_fp_ieee_overflow 0
		.amdhsa_exception_fp_ieee_underflow 0
		.amdhsa_exception_fp_ieee_inexact 0
		.amdhsa_exception_int_div_zero 0
	.end_amdhsa_kernel
	.section	.text._ZN7rocprim17ROCPRIM_400000_NS6detail17trampoline_kernelINS0_13select_configILj256ELj13ELNS0_17block_load_methodE3ELS4_3ELS4_3ELNS0_20block_scan_algorithmE0ELj4294967295EEENS1_25partition_config_selectorILNS1_17partition_subalgoE4EjNS0_10empty_typeEbEEZZNS1_14partition_implILS8_4ELb0ES6_15HIP_vector_typeIjLj2EENS0_17counting_iteratorIjlEEPS9_SG_NS0_5tupleIJPjSI_NS0_16reverse_iteratorISI_EEEEENSH_IJSG_SG_SG_EEES9_SI_JZNS1_25segmented_radix_sort_implINS0_14default_configELb0EPKhPhPKlPlN2at6native12_GLOBAL__N_18offset_tEEE10hipError_tPvRmT1_PNSt15iterator_traitsIS12_E10value_typeET2_T3_PNS13_IS18_E10value_typeET4_jRbjT5_S1E_jjP12ihipStream_tbEUljE_ZNSN_ISO_Lb0ESQ_SR_ST_SU_SY_EESZ_S10_S11_S12_S16_S17_S18_S1B_S1C_jS1D_jS1E_S1E_jjS1G_bEUljE0_EEESZ_S10_S11_S18_S1C_S1E_T6_T7_T9_mT8_S1G_bDpT10_ENKUlT_T0_E_clISt17integral_constantIbLb0EES1U_EEDaS1P_S1Q_EUlS1P_E_NS1_11comp_targetILNS1_3genE2ELNS1_11target_archE906ELNS1_3gpuE6ELNS1_3repE0EEENS1_30default_config_static_selectorELNS0_4arch9wavefront6targetE0EEEvS12_,"axG",@progbits,_ZN7rocprim17ROCPRIM_400000_NS6detail17trampoline_kernelINS0_13select_configILj256ELj13ELNS0_17block_load_methodE3ELS4_3ELS4_3ELNS0_20block_scan_algorithmE0ELj4294967295EEENS1_25partition_config_selectorILNS1_17partition_subalgoE4EjNS0_10empty_typeEbEEZZNS1_14partition_implILS8_4ELb0ES6_15HIP_vector_typeIjLj2EENS0_17counting_iteratorIjlEEPS9_SG_NS0_5tupleIJPjSI_NS0_16reverse_iteratorISI_EEEEENSH_IJSG_SG_SG_EEES9_SI_JZNS1_25segmented_radix_sort_implINS0_14default_configELb0EPKhPhPKlPlN2at6native12_GLOBAL__N_18offset_tEEE10hipError_tPvRmT1_PNSt15iterator_traitsIS12_E10value_typeET2_T3_PNS13_IS18_E10value_typeET4_jRbjT5_S1E_jjP12ihipStream_tbEUljE_ZNSN_ISO_Lb0ESQ_SR_ST_SU_SY_EESZ_S10_S11_S12_S16_S17_S18_S1B_S1C_jS1D_jS1E_S1E_jjS1G_bEUljE0_EEESZ_S10_S11_S18_S1C_S1E_T6_T7_T9_mT8_S1G_bDpT10_ENKUlT_T0_E_clISt17integral_constantIbLb0EES1U_EEDaS1P_S1Q_EUlS1P_E_NS1_11comp_targetILNS1_3genE2ELNS1_11target_archE906ELNS1_3gpuE6ELNS1_3repE0EEENS1_30default_config_static_selectorELNS0_4arch9wavefront6targetE0EEEvS12_,comdat
.Lfunc_end125:
	.size	_ZN7rocprim17ROCPRIM_400000_NS6detail17trampoline_kernelINS0_13select_configILj256ELj13ELNS0_17block_load_methodE3ELS4_3ELS4_3ELNS0_20block_scan_algorithmE0ELj4294967295EEENS1_25partition_config_selectorILNS1_17partition_subalgoE4EjNS0_10empty_typeEbEEZZNS1_14partition_implILS8_4ELb0ES6_15HIP_vector_typeIjLj2EENS0_17counting_iteratorIjlEEPS9_SG_NS0_5tupleIJPjSI_NS0_16reverse_iteratorISI_EEEEENSH_IJSG_SG_SG_EEES9_SI_JZNS1_25segmented_radix_sort_implINS0_14default_configELb0EPKhPhPKlPlN2at6native12_GLOBAL__N_18offset_tEEE10hipError_tPvRmT1_PNSt15iterator_traitsIS12_E10value_typeET2_T3_PNS13_IS18_E10value_typeET4_jRbjT5_S1E_jjP12ihipStream_tbEUljE_ZNSN_ISO_Lb0ESQ_SR_ST_SU_SY_EESZ_S10_S11_S12_S16_S17_S18_S1B_S1C_jS1D_jS1E_S1E_jjS1G_bEUljE0_EEESZ_S10_S11_S18_S1C_S1E_T6_T7_T9_mT8_S1G_bDpT10_ENKUlT_T0_E_clISt17integral_constantIbLb0EES1U_EEDaS1P_S1Q_EUlS1P_E_NS1_11comp_targetILNS1_3genE2ELNS1_11target_archE906ELNS1_3gpuE6ELNS1_3repE0EEENS1_30default_config_static_selectorELNS0_4arch9wavefront6targetE0EEEvS12_, .Lfunc_end125-_ZN7rocprim17ROCPRIM_400000_NS6detail17trampoline_kernelINS0_13select_configILj256ELj13ELNS0_17block_load_methodE3ELS4_3ELS4_3ELNS0_20block_scan_algorithmE0ELj4294967295EEENS1_25partition_config_selectorILNS1_17partition_subalgoE4EjNS0_10empty_typeEbEEZZNS1_14partition_implILS8_4ELb0ES6_15HIP_vector_typeIjLj2EENS0_17counting_iteratorIjlEEPS9_SG_NS0_5tupleIJPjSI_NS0_16reverse_iteratorISI_EEEEENSH_IJSG_SG_SG_EEES9_SI_JZNS1_25segmented_radix_sort_implINS0_14default_configELb0EPKhPhPKlPlN2at6native12_GLOBAL__N_18offset_tEEE10hipError_tPvRmT1_PNSt15iterator_traitsIS12_E10value_typeET2_T3_PNS13_IS18_E10value_typeET4_jRbjT5_S1E_jjP12ihipStream_tbEUljE_ZNSN_ISO_Lb0ESQ_SR_ST_SU_SY_EESZ_S10_S11_S12_S16_S17_S18_S1B_S1C_jS1D_jS1E_S1E_jjS1G_bEUljE0_EEESZ_S10_S11_S18_S1C_S1E_T6_T7_T9_mT8_S1G_bDpT10_ENKUlT_T0_E_clISt17integral_constantIbLb0EES1U_EEDaS1P_S1Q_EUlS1P_E_NS1_11comp_targetILNS1_3genE2ELNS1_11target_archE906ELNS1_3gpuE6ELNS1_3repE0EEENS1_30default_config_static_selectorELNS0_4arch9wavefront6targetE0EEEvS12_
                                        ; -- End function
	.set _ZN7rocprim17ROCPRIM_400000_NS6detail17trampoline_kernelINS0_13select_configILj256ELj13ELNS0_17block_load_methodE3ELS4_3ELS4_3ELNS0_20block_scan_algorithmE0ELj4294967295EEENS1_25partition_config_selectorILNS1_17partition_subalgoE4EjNS0_10empty_typeEbEEZZNS1_14partition_implILS8_4ELb0ES6_15HIP_vector_typeIjLj2EENS0_17counting_iteratorIjlEEPS9_SG_NS0_5tupleIJPjSI_NS0_16reverse_iteratorISI_EEEEENSH_IJSG_SG_SG_EEES9_SI_JZNS1_25segmented_radix_sort_implINS0_14default_configELb0EPKhPhPKlPlN2at6native12_GLOBAL__N_18offset_tEEE10hipError_tPvRmT1_PNSt15iterator_traitsIS12_E10value_typeET2_T3_PNS13_IS18_E10value_typeET4_jRbjT5_S1E_jjP12ihipStream_tbEUljE_ZNSN_ISO_Lb0ESQ_SR_ST_SU_SY_EESZ_S10_S11_S12_S16_S17_S18_S1B_S1C_jS1D_jS1E_S1E_jjS1G_bEUljE0_EEESZ_S10_S11_S18_S1C_S1E_T6_T7_T9_mT8_S1G_bDpT10_ENKUlT_T0_E_clISt17integral_constantIbLb0EES1U_EEDaS1P_S1Q_EUlS1P_E_NS1_11comp_targetILNS1_3genE2ELNS1_11target_archE906ELNS1_3gpuE6ELNS1_3repE0EEENS1_30default_config_static_selectorELNS0_4arch9wavefront6targetE0EEEvS12_.num_vgpr, 0
	.set _ZN7rocprim17ROCPRIM_400000_NS6detail17trampoline_kernelINS0_13select_configILj256ELj13ELNS0_17block_load_methodE3ELS4_3ELS4_3ELNS0_20block_scan_algorithmE0ELj4294967295EEENS1_25partition_config_selectorILNS1_17partition_subalgoE4EjNS0_10empty_typeEbEEZZNS1_14partition_implILS8_4ELb0ES6_15HIP_vector_typeIjLj2EENS0_17counting_iteratorIjlEEPS9_SG_NS0_5tupleIJPjSI_NS0_16reverse_iteratorISI_EEEEENSH_IJSG_SG_SG_EEES9_SI_JZNS1_25segmented_radix_sort_implINS0_14default_configELb0EPKhPhPKlPlN2at6native12_GLOBAL__N_18offset_tEEE10hipError_tPvRmT1_PNSt15iterator_traitsIS12_E10value_typeET2_T3_PNS13_IS18_E10value_typeET4_jRbjT5_S1E_jjP12ihipStream_tbEUljE_ZNSN_ISO_Lb0ESQ_SR_ST_SU_SY_EESZ_S10_S11_S12_S16_S17_S18_S1B_S1C_jS1D_jS1E_S1E_jjS1G_bEUljE0_EEESZ_S10_S11_S18_S1C_S1E_T6_T7_T9_mT8_S1G_bDpT10_ENKUlT_T0_E_clISt17integral_constantIbLb0EES1U_EEDaS1P_S1Q_EUlS1P_E_NS1_11comp_targetILNS1_3genE2ELNS1_11target_archE906ELNS1_3gpuE6ELNS1_3repE0EEENS1_30default_config_static_selectorELNS0_4arch9wavefront6targetE0EEEvS12_.num_agpr, 0
	.set _ZN7rocprim17ROCPRIM_400000_NS6detail17trampoline_kernelINS0_13select_configILj256ELj13ELNS0_17block_load_methodE3ELS4_3ELS4_3ELNS0_20block_scan_algorithmE0ELj4294967295EEENS1_25partition_config_selectorILNS1_17partition_subalgoE4EjNS0_10empty_typeEbEEZZNS1_14partition_implILS8_4ELb0ES6_15HIP_vector_typeIjLj2EENS0_17counting_iteratorIjlEEPS9_SG_NS0_5tupleIJPjSI_NS0_16reverse_iteratorISI_EEEEENSH_IJSG_SG_SG_EEES9_SI_JZNS1_25segmented_radix_sort_implINS0_14default_configELb0EPKhPhPKlPlN2at6native12_GLOBAL__N_18offset_tEEE10hipError_tPvRmT1_PNSt15iterator_traitsIS12_E10value_typeET2_T3_PNS13_IS18_E10value_typeET4_jRbjT5_S1E_jjP12ihipStream_tbEUljE_ZNSN_ISO_Lb0ESQ_SR_ST_SU_SY_EESZ_S10_S11_S12_S16_S17_S18_S1B_S1C_jS1D_jS1E_S1E_jjS1G_bEUljE0_EEESZ_S10_S11_S18_S1C_S1E_T6_T7_T9_mT8_S1G_bDpT10_ENKUlT_T0_E_clISt17integral_constantIbLb0EES1U_EEDaS1P_S1Q_EUlS1P_E_NS1_11comp_targetILNS1_3genE2ELNS1_11target_archE906ELNS1_3gpuE6ELNS1_3repE0EEENS1_30default_config_static_selectorELNS0_4arch9wavefront6targetE0EEEvS12_.numbered_sgpr, 0
	.set _ZN7rocprim17ROCPRIM_400000_NS6detail17trampoline_kernelINS0_13select_configILj256ELj13ELNS0_17block_load_methodE3ELS4_3ELS4_3ELNS0_20block_scan_algorithmE0ELj4294967295EEENS1_25partition_config_selectorILNS1_17partition_subalgoE4EjNS0_10empty_typeEbEEZZNS1_14partition_implILS8_4ELb0ES6_15HIP_vector_typeIjLj2EENS0_17counting_iteratorIjlEEPS9_SG_NS0_5tupleIJPjSI_NS0_16reverse_iteratorISI_EEEEENSH_IJSG_SG_SG_EEES9_SI_JZNS1_25segmented_radix_sort_implINS0_14default_configELb0EPKhPhPKlPlN2at6native12_GLOBAL__N_18offset_tEEE10hipError_tPvRmT1_PNSt15iterator_traitsIS12_E10value_typeET2_T3_PNS13_IS18_E10value_typeET4_jRbjT5_S1E_jjP12ihipStream_tbEUljE_ZNSN_ISO_Lb0ESQ_SR_ST_SU_SY_EESZ_S10_S11_S12_S16_S17_S18_S1B_S1C_jS1D_jS1E_S1E_jjS1G_bEUljE0_EEESZ_S10_S11_S18_S1C_S1E_T6_T7_T9_mT8_S1G_bDpT10_ENKUlT_T0_E_clISt17integral_constantIbLb0EES1U_EEDaS1P_S1Q_EUlS1P_E_NS1_11comp_targetILNS1_3genE2ELNS1_11target_archE906ELNS1_3gpuE6ELNS1_3repE0EEENS1_30default_config_static_selectorELNS0_4arch9wavefront6targetE0EEEvS12_.num_named_barrier, 0
	.set _ZN7rocprim17ROCPRIM_400000_NS6detail17trampoline_kernelINS0_13select_configILj256ELj13ELNS0_17block_load_methodE3ELS4_3ELS4_3ELNS0_20block_scan_algorithmE0ELj4294967295EEENS1_25partition_config_selectorILNS1_17partition_subalgoE4EjNS0_10empty_typeEbEEZZNS1_14partition_implILS8_4ELb0ES6_15HIP_vector_typeIjLj2EENS0_17counting_iteratorIjlEEPS9_SG_NS0_5tupleIJPjSI_NS0_16reverse_iteratorISI_EEEEENSH_IJSG_SG_SG_EEES9_SI_JZNS1_25segmented_radix_sort_implINS0_14default_configELb0EPKhPhPKlPlN2at6native12_GLOBAL__N_18offset_tEEE10hipError_tPvRmT1_PNSt15iterator_traitsIS12_E10value_typeET2_T3_PNS13_IS18_E10value_typeET4_jRbjT5_S1E_jjP12ihipStream_tbEUljE_ZNSN_ISO_Lb0ESQ_SR_ST_SU_SY_EESZ_S10_S11_S12_S16_S17_S18_S1B_S1C_jS1D_jS1E_S1E_jjS1G_bEUljE0_EEESZ_S10_S11_S18_S1C_S1E_T6_T7_T9_mT8_S1G_bDpT10_ENKUlT_T0_E_clISt17integral_constantIbLb0EES1U_EEDaS1P_S1Q_EUlS1P_E_NS1_11comp_targetILNS1_3genE2ELNS1_11target_archE906ELNS1_3gpuE6ELNS1_3repE0EEENS1_30default_config_static_selectorELNS0_4arch9wavefront6targetE0EEEvS12_.private_seg_size, 0
	.set _ZN7rocprim17ROCPRIM_400000_NS6detail17trampoline_kernelINS0_13select_configILj256ELj13ELNS0_17block_load_methodE3ELS4_3ELS4_3ELNS0_20block_scan_algorithmE0ELj4294967295EEENS1_25partition_config_selectorILNS1_17partition_subalgoE4EjNS0_10empty_typeEbEEZZNS1_14partition_implILS8_4ELb0ES6_15HIP_vector_typeIjLj2EENS0_17counting_iteratorIjlEEPS9_SG_NS0_5tupleIJPjSI_NS0_16reverse_iteratorISI_EEEEENSH_IJSG_SG_SG_EEES9_SI_JZNS1_25segmented_radix_sort_implINS0_14default_configELb0EPKhPhPKlPlN2at6native12_GLOBAL__N_18offset_tEEE10hipError_tPvRmT1_PNSt15iterator_traitsIS12_E10value_typeET2_T3_PNS13_IS18_E10value_typeET4_jRbjT5_S1E_jjP12ihipStream_tbEUljE_ZNSN_ISO_Lb0ESQ_SR_ST_SU_SY_EESZ_S10_S11_S12_S16_S17_S18_S1B_S1C_jS1D_jS1E_S1E_jjS1G_bEUljE0_EEESZ_S10_S11_S18_S1C_S1E_T6_T7_T9_mT8_S1G_bDpT10_ENKUlT_T0_E_clISt17integral_constantIbLb0EES1U_EEDaS1P_S1Q_EUlS1P_E_NS1_11comp_targetILNS1_3genE2ELNS1_11target_archE906ELNS1_3gpuE6ELNS1_3repE0EEENS1_30default_config_static_selectorELNS0_4arch9wavefront6targetE0EEEvS12_.uses_vcc, 0
	.set _ZN7rocprim17ROCPRIM_400000_NS6detail17trampoline_kernelINS0_13select_configILj256ELj13ELNS0_17block_load_methodE3ELS4_3ELS4_3ELNS0_20block_scan_algorithmE0ELj4294967295EEENS1_25partition_config_selectorILNS1_17partition_subalgoE4EjNS0_10empty_typeEbEEZZNS1_14partition_implILS8_4ELb0ES6_15HIP_vector_typeIjLj2EENS0_17counting_iteratorIjlEEPS9_SG_NS0_5tupleIJPjSI_NS0_16reverse_iteratorISI_EEEEENSH_IJSG_SG_SG_EEES9_SI_JZNS1_25segmented_radix_sort_implINS0_14default_configELb0EPKhPhPKlPlN2at6native12_GLOBAL__N_18offset_tEEE10hipError_tPvRmT1_PNSt15iterator_traitsIS12_E10value_typeET2_T3_PNS13_IS18_E10value_typeET4_jRbjT5_S1E_jjP12ihipStream_tbEUljE_ZNSN_ISO_Lb0ESQ_SR_ST_SU_SY_EESZ_S10_S11_S12_S16_S17_S18_S1B_S1C_jS1D_jS1E_S1E_jjS1G_bEUljE0_EEESZ_S10_S11_S18_S1C_S1E_T6_T7_T9_mT8_S1G_bDpT10_ENKUlT_T0_E_clISt17integral_constantIbLb0EES1U_EEDaS1P_S1Q_EUlS1P_E_NS1_11comp_targetILNS1_3genE2ELNS1_11target_archE906ELNS1_3gpuE6ELNS1_3repE0EEENS1_30default_config_static_selectorELNS0_4arch9wavefront6targetE0EEEvS12_.uses_flat_scratch, 0
	.set _ZN7rocprim17ROCPRIM_400000_NS6detail17trampoline_kernelINS0_13select_configILj256ELj13ELNS0_17block_load_methodE3ELS4_3ELS4_3ELNS0_20block_scan_algorithmE0ELj4294967295EEENS1_25partition_config_selectorILNS1_17partition_subalgoE4EjNS0_10empty_typeEbEEZZNS1_14partition_implILS8_4ELb0ES6_15HIP_vector_typeIjLj2EENS0_17counting_iteratorIjlEEPS9_SG_NS0_5tupleIJPjSI_NS0_16reverse_iteratorISI_EEEEENSH_IJSG_SG_SG_EEES9_SI_JZNS1_25segmented_radix_sort_implINS0_14default_configELb0EPKhPhPKlPlN2at6native12_GLOBAL__N_18offset_tEEE10hipError_tPvRmT1_PNSt15iterator_traitsIS12_E10value_typeET2_T3_PNS13_IS18_E10value_typeET4_jRbjT5_S1E_jjP12ihipStream_tbEUljE_ZNSN_ISO_Lb0ESQ_SR_ST_SU_SY_EESZ_S10_S11_S12_S16_S17_S18_S1B_S1C_jS1D_jS1E_S1E_jjS1G_bEUljE0_EEESZ_S10_S11_S18_S1C_S1E_T6_T7_T9_mT8_S1G_bDpT10_ENKUlT_T0_E_clISt17integral_constantIbLb0EES1U_EEDaS1P_S1Q_EUlS1P_E_NS1_11comp_targetILNS1_3genE2ELNS1_11target_archE906ELNS1_3gpuE6ELNS1_3repE0EEENS1_30default_config_static_selectorELNS0_4arch9wavefront6targetE0EEEvS12_.has_dyn_sized_stack, 0
	.set _ZN7rocprim17ROCPRIM_400000_NS6detail17trampoline_kernelINS0_13select_configILj256ELj13ELNS0_17block_load_methodE3ELS4_3ELS4_3ELNS0_20block_scan_algorithmE0ELj4294967295EEENS1_25partition_config_selectorILNS1_17partition_subalgoE4EjNS0_10empty_typeEbEEZZNS1_14partition_implILS8_4ELb0ES6_15HIP_vector_typeIjLj2EENS0_17counting_iteratorIjlEEPS9_SG_NS0_5tupleIJPjSI_NS0_16reverse_iteratorISI_EEEEENSH_IJSG_SG_SG_EEES9_SI_JZNS1_25segmented_radix_sort_implINS0_14default_configELb0EPKhPhPKlPlN2at6native12_GLOBAL__N_18offset_tEEE10hipError_tPvRmT1_PNSt15iterator_traitsIS12_E10value_typeET2_T3_PNS13_IS18_E10value_typeET4_jRbjT5_S1E_jjP12ihipStream_tbEUljE_ZNSN_ISO_Lb0ESQ_SR_ST_SU_SY_EESZ_S10_S11_S12_S16_S17_S18_S1B_S1C_jS1D_jS1E_S1E_jjS1G_bEUljE0_EEESZ_S10_S11_S18_S1C_S1E_T6_T7_T9_mT8_S1G_bDpT10_ENKUlT_T0_E_clISt17integral_constantIbLb0EES1U_EEDaS1P_S1Q_EUlS1P_E_NS1_11comp_targetILNS1_3genE2ELNS1_11target_archE906ELNS1_3gpuE6ELNS1_3repE0EEENS1_30default_config_static_selectorELNS0_4arch9wavefront6targetE0EEEvS12_.has_recursion, 0
	.set _ZN7rocprim17ROCPRIM_400000_NS6detail17trampoline_kernelINS0_13select_configILj256ELj13ELNS0_17block_load_methodE3ELS4_3ELS4_3ELNS0_20block_scan_algorithmE0ELj4294967295EEENS1_25partition_config_selectorILNS1_17partition_subalgoE4EjNS0_10empty_typeEbEEZZNS1_14partition_implILS8_4ELb0ES6_15HIP_vector_typeIjLj2EENS0_17counting_iteratorIjlEEPS9_SG_NS0_5tupleIJPjSI_NS0_16reverse_iteratorISI_EEEEENSH_IJSG_SG_SG_EEES9_SI_JZNS1_25segmented_radix_sort_implINS0_14default_configELb0EPKhPhPKlPlN2at6native12_GLOBAL__N_18offset_tEEE10hipError_tPvRmT1_PNSt15iterator_traitsIS12_E10value_typeET2_T3_PNS13_IS18_E10value_typeET4_jRbjT5_S1E_jjP12ihipStream_tbEUljE_ZNSN_ISO_Lb0ESQ_SR_ST_SU_SY_EESZ_S10_S11_S12_S16_S17_S18_S1B_S1C_jS1D_jS1E_S1E_jjS1G_bEUljE0_EEESZ_S10_S11_S18_S1C_S1E_T6_T7_T9_mT8_S1G_bDpT10_ENKUlT_T0_E_clISt17integral_constantIbLb0EES1U_EEDaS1P_S1Q_EUlS1P_E_NS1_11comp_targetILNS1_3genE2ELNS1_11target_archE906ELNS1_3gpuE6ELNS1_3repE0EEENS1_30default_config_static_selectorELNS0_4arch9wavefront6targetE0EEEvS12_.has_indirect_call, 0
	.section	.AMDGPU.csdata,"",@progbits
; Kernel info:
; codeLenInByte = 0
; TotalNumSgprs: 0
; NumVgprs: 0
; ScratchSize: 0
; MemoryBound: 0
; FloatMode: 240
; IeeeMode: 1
; LDSByteSize: 0 bytes/workgroup (compile time only)
; SGPRBlocks: 0
; VGPRBlocks: 0
; NumSGPRsForWavesPerEU: 1
; NumVGPRsForWavesPerEU: 1
; Occupancy: 16
; WaveLimiterHint : 0
; COMPUTE_PGM_RSRC2:SCRATCH_EN: 0
; COMPUTE_PGM_RSRC2:USER_SGPR: 6
; COMPUTE_PGM_RSRC2:TRAP_HANDLER: 0
; COMPUTE_PGM_RSRC2:TGID_X_EN: 1
; COMPUTE_PGM_RSRC2:TGID_Y_EN: 0
; COMPUTE_PGM_RSRC2:TGID_Z_EN: 0
; COMPUTE_PGM_RSRC2:TIDIG_COMP_CNT: 0
	.section	.text._ZN7rocprim17ROCPRIM_400000_NS6detail17trampoline_kernelINS0_13select_configILj256ELj13ELNS0_17block_load_methodE3ELS4_3ELS4_3ELNS0_20block_scan_algorithmE0ELj4294967295EEENS1_25partition_config_selectorILNS1_17partition_subalgoE4EjNS0_10empty_typeEbEEZZNS1_14partition_implILS8_4ELb0ES6_15HIP_vector_typeIjLj2EENS0_17counting_iteratorIjlEEPS9_SG_NS0_5tupleIJPjSI_NS0_16reverse_iteratorISI_EEEEENSH_IJSG_SG_SG_EEES9_SI_JZNS1_25segmented_radix_sort_implINS0_14default_configELb0EPKhPhPKlPlN2at6native12_GLOBAL__N_18offset_tEEE10hipError_tPvRmT1_PNSt15iterator_traitsIS12_E10value_typeET2_T3_PNS13_IS18_E10value_typeET4_jRbjT5_S1E_jjP12ihipStream_tbEUljE_ZNSN_ISO_Lb0ESQ_SR_ST_SU_SY_EESZ_S10_S11_S12_S16_S17_S18_S1B_S1C_jS1D_jS1E_S1E_jjS1G_bEUljE0_EEESZ_S10_S11_S18_S1C_S1E_T6_T7_T9_mT8_S1G_bDpT10_ENKUlT_T0_E_clISt17integral_constantIbLb0EES1U_EEDaS1P_S1Q_EUlS1P_E_NS1_11comp_targetILNS1_3genE10ELNS1_11target_archE1200ELNS1_3gpuE4ELNS1_3repE0EEENS1_30default_config_static_selectorELNS0_4arch9wavefront6targetE0EEEvS12_,"axG",@progbits,_ZN7rocprim17ROCPRIM_400000_NS6detail17trampoline_kernelINS0_13select_configILj256ELj13ELNS0_17block_load_methodE3ELS4_3ELS4_3ELNS0_20block_scan_algorithmE0ELj4294967295EEENS1_25partition_config_selectorILNS1_17partition_subalgoE4EjNS0_10empty_typeEbEEZZNS1_14partition_implILS8_4ELb0ES6_15HIP_vector_typeIjLj2EENS0_17counting_iteratorIjlEEPS9_SG_NS0_5tupleIJPjSI_NS0_16reverse_iteratorISI_EEEEENSH_IJSG_SG_SG_EEES9_SI_JZNS1_25segmented_radix_sort_implINS0_14default_configELb0EPKhPhPKlPlN2at6native12_GLOBAL__N_18offset_tEEE10hipError_tPvRmT1_PNSt15iterator_traitsIS12_E10value_typeET2_T3_PNS13_IS18_E10value_typeET4_jRbjT5_S1E_jjP12ihipStream_tbEUljE_ZNSN_ISO_Lb0ESQ_SR_ST_SU_SY_EESZ_S10_S11_S12_S16_S17_S18_S1B_S1C_jS1D_jS1E_S1E_jjS1G_bEUljE0_EEESZ_S10_S11_S18_S1C_S1E_T6_T7_T9_mT8_S1G_bDpT10_ENKUlT_T0_E_clISt17integral_constantIbLb0EES1U_EEDaS1P_S1Q_EUlS1P_E_NS1_11comp_targetILNS1_3genE10ELNS1_11target_archE1200ELNS1_3gpuE4ELNS1_3repE0EEENS1_30default_config_static_selectorELNS0_4arch9wavefront6targetE0EEEvS12_,comdat
	.globl	_ZN7rocprim17ROCPRIM_400000_NS6detail17trampoline_kernelINS0_13select_configILj256ELj13ELNS0_17block_load_methodE3ELS4_3ELS4_3ELNS0_20block_scan_algorithmE0ELj4294967295EEENS1_25partition_config_selectorILNS1_17partition_subalgoE4EjNS0_10empty_typeEbEEZZNS1_14partition_implILS8_4ELb0ES6_15HIP_vector_typeIjLj2EENS0_17counting_iteratorIjlEEPS9_SG_NS0_5tupleIJPjSI_NS0_16reverse_iteratorISI_EEEEENSH_IJSG_SG_SG_EEES9_SI_JZNS1_25segmented_radix_sort_implINS0_14default_configELb0EPKhPhPKlPlN2at6native12_GLOBAL__N_18offset_tEEE10hipError_tPvRmT1_PNSt15iterator_traitsIS12_E10value_typeET2_T3_PNS13_IS18_E10value_typeET4_jRbjT5_S1E_jjP12ihipStream_tbEUljE_ZNSN_ISO_Lb0ESQ_SR_ST_SU_SY_EESZ_S10_S11_S12_S16_S17_S18_S1B_S1C_jS1D_jS1E_S1E_jjS1G_bEUljE0_EEESZ_S10_S11_S18_S1C_S1E_T6_T7_T9_mT8_S1G_bDpT10_ENKUlT_T0_E_clISt17integral_constantIbLb0EES1U_EEDaS1P_S1Q_EUlS1P_E_NS1_11comp_targetILNS1_3genE10ELNS1_11target_archE1200ELNS1_3gpuE4ELNS1_3repE0EEENS1_30default_config_static_selectorELNS0_4arch9wavefront6targetE0EEEvS12_ ; -- Begin function _ZN7rocprim17ROCPRIM_400000_NS6detail17trampoline_kernelINS0_13select_configILj256ELj13ELNS0_17block_load_methodE3ELS4_3ELS4_3ELNS0_20block_scan_algorithmE0ELj4294967295EEENS1_25partition_config_selectorILNS1_17partition_subalgoE4EjNS0_10empty_typeEbEEZZNS1_14partition_implILS8_4ELb0ES6_15HIP_vector_typeIjLj2EENS0_17counting_iteratorIjlEEPS9_SG_NS0_5tupleIJPjSI_NS0_16reverse_iteratorISI_EEEEENSH_IJSG_SG_SG_EEES9_SI_JZNS1_25segmented_radix_sort_implINS0_14default_configELb0EPKhPhPKlPlN2at6native12_GLOBAL__N_18offset_tEEE10hipError_tPvRmT1_PNSt15iterator_traitsIS12_E10value_typeET2_T3_PNS13_IS18_E10value_typeET4_jRbjT5_S1E_jjP12ihipStream_tbEUljE_ZNSN_ISO_Lb0ESQ_SR_ST_SU_SY_EESZ_S10_S11_S12_S16_S17_S18_S1B_S1C_jS1D_jS1E_S1E_jjS1G_bEUljE0_EEESZ_S10_S11_S18_S1C_S1E_T6_T7_T9_mT8_S1G_bDpT10_ENKUlT_T0_E_clISt17integral_constantIbLb0EES1U_EEDaS1P_S1Q_EUlS1P_E_NS1_11comp_targetILNS1_3genE10ELNS1_11target_archE1200ELNS1_3gpuE4ELNS1_3repE0EEENS1_30default_config_static_selectorELNS0_4arch9wavefront6targetE0EEEvS12_
	.p2align	8
	.type	_ZN7rocprim17ROCPRIM_400000_NS6detail17trampoline_kernelINS0_13select_configILj256ELj13ELNS0_17block_load_methodE3ELS4_3ELS4_3ELNS0_20block_scan_algorithmE0ELj4294967295EEENS1_25partition_config_selectorILNS1_17partition_subalgoE4EjNS0_10empty_typeEbEEZZNS1_14partition_implILS8_4ELb0ES6_15HIP_vector_typeIjLj2EENS0_17counting_iteratorIjlEEPS9_SG_NS0_5tupleIJPjSI_NS0_16reverse_iteratorISI_EEEEENSH_IJSG_SG_SG_EEES9_SI_JZNS1_25segmented_radix_sort_implINS0_14default_configELb0EPKhPhPKlPlN2at6native12_GLOBAL__N_18offset_tEEE10hipError_tPvRmT1_PNSt15iterator_traitsIS12_E10value_typeET2_T3_PNS13_IS18_E10value_typeET4_jRbjT5_S1E_jjP12ihipStream_tbEUljE_ZNSN_ISO_Lb0ESQ_SR_ST_SU_SY_EESZ_S10_S11_S12_S16_S17_S18_S1B_S1C_jS1D_jS1E_S1E_jjS1G_bEUljE0_EEESZ_S10_S11_S18_S1C_S1E_T6_T7_T9_mT8_S1G_bDpT10_ENKUlT_T0_E_clISt17integral_constantIbLb0EES1U_EEDaS1P_S1Q_EUlS1P_E_NS1_11comp_targetILNS1_3genE10ELNS1_11target_archE1200ELNS1_3gpuE4ELNS1_3repE0EEENS1_30default_config_static_selectorELNS0_4arch9wavefront6targetE0EEEvS12_,@function
_ZN7rocprim17ROCPRIM_400000_NS6detail17trampoline_kernelINS0_13select_configILj256ELj13ELNS0_17block_load_methodE3ELS4_3ELS4_3ELNS0_20block_scan_algorithmE0ELj4294967295EEENS1_25partition_config_selectorILNS1_17partition_subalgoE4EjNS0_10empty_typeEbEEZZNS1_14partition_implILS8_4ELb0ES6_15HIP_vector_typeIjLj2EENS0_17counting_iteratorIjlEEPS9_SG_NS0_5tupleIJPjSI_NS0_16reverse_iteratorISI_EEEEENSH_IJSG_SG_SG_EEES9_SI_JZNS1_25segmented_radix_sort_implINS0_14default_configELb0EPKhPhPKlPlN2at6native12_GLOBAL__N_18offset_tEEE10hipError_tPvRmT1_PNSt15iterator_traitsIS12_E10value_typeET2_T3_PNS13_IS18_E10value_typeET4_jRbjT5_S1E_jjP12ihipStream_tbEUljE_ZNSN_ISO_Lb0ESQ_SR_ST_SU_SY_EESZ_S10_S11_S12_S16_S17_S18_S1B_S1C_jS1D_jS1E_S1E_jjS1G_bEUljE0_EEESZ_S10_S11_S18_S1C_S1E_T6_T7_T9_mT8_S1G_bDpT10_ENKUlT_T0_E_clISt17integral_constantIbLb0EES1U_EEDaS1P_S1Q_EUlS1P_E_NS1_11comp_targetILNS1_3genE10ELNS1_11target_archE1200ELNS1_3gpuE4ELNS1_3repE0EEENS1_30default_config_static_selectorELNS0_4arch9wavefront6targetE0EEEvS12_: ; @_ZN7rocprim17ROCPRIM_400000_NS6detail17trampoline_kernelINS0_13select_configILj256ELj13ELNS0_17block_load_methodE3ELS4_3ELS4_3ELNS0_20block_scan_algorithmE0ELj4294967295EEENS1_25partition_config_selectorILNS1_17partition_subalgoE4EjNS0_10empty_typeEbEEZZNS1_14partition_implILS8_4ELb0ES6_15HIP_vector_typeIjLj2EENS0_17counting_iteratorIjlEEPS9_SG_NS0_5tupleIJPjSI_NS0_16reverse_iteratorISI_EEEEENSH_IJSG_SG_SG_EEES9_SI_JZNS1_25segmented_radix_sort_implINS0_14default_configELb0EPKhPhPKlPlN2at6native12_GLOBAL__N_18offset_tEEE10hipError_tPvRmT1_PNSt15iterator_traitsIS12_E10value_typeET2_T3_PNS13_IS18_E10value_typeET4_jRbjT5_S1E_jjP12ihipStream_tbEUljE_ZNSN_ISO_Lb0ESQ_SR_ST_SU_SY_EESZ_S10_S11_S12_S16_S17_S18_S1B_S1C_jS1D_jS1E_S1E_jjS1G_bEUljE0_EEESZ_S10_S11_S18_S1C_S1E_T6_T7_T9_mT8_S1G_bDpT10_ENKUlT_T0_E_clISt17integral_constantIbLb0EES1U_EEDaS1P_S1Q_EUlS1P_E_NS1_11comp_targetILNS1_3genE10ELNS1_11target_archE1200ELNS1_3gpuE4ELNS1_3repE0EEENS1_30default_config_static_selectorELNS0_4arch9wavefront6targetE0EEEvS12_
; %bb.0:
	.section	.rodata,"a",@progbits
	.p2align	6, 0x0
	.amdhsa_kernel _ZN7rocprim17ROCPRIM_400000_NS6detail17trampoline_kernelINS0_13select_configILj256ELj13ELNS0_17block_load_methodE3ELS4_3ELS4_3ELNS0_20block_scan_algorithmE0ELj4294967295EEENS1_25partition_config_selectorILNS1_17partition_subalgoE4EjNS0_10empty_typeEbEEZZNS1_14partition_implILS8_4ELb0ES6_15HIP_vector_typeIjLj2EENS0_17counting_iteratorIjlEEPS9_SG_NS0_5tupleIJPjSI_NS0_16reverse_iteratorISI_EEEEENSH_IJSG_SG_SG_EEES9_SI_JZNS1_25segmented_radix_sort_implINS0_14default_configELb0EPKhPhPKlPlN2at6native12_GLOBAL__N_18offset_tEEE10hipError_tPvRmT1_PNSt15iterator_traitsIS12_E10value_typeET2_T3_PNS13_IS18_E10value_typeET4_jRbjT5_S1E_jjP12ihipStream_tbEUljE_ZNSN_ISO_Lb0ESQ_SR_ST_SU_SY_EESZ_S10_S11_S12_S16_S17_S18_S1B_S1C_jS1D_jS1E_S1E_jjS1G_bEUljE0_EEESZ_S10_S11_S18_S1C_S1E_T6_T7_T9_mT8_S1G_bDpT10_ENKUlT_T0_E_clISt17integral_constantIbLb0EES1U_EEDaS1P_S1Q_EUlS1P_E_NS1_11comp_targetILNS1_3genE10ELNS1_11target_archE1200ELNS1_3gpuE4ELNS1_3repE0EEENS1_30default_config_static_selectorELNS0_4arch9wavefront6targetE0EEEvS12_
		.amdhsa_group_segment_fixed_size 0
		.amdhsa_private_segment_fixed_size 0
		.amdhsa_kernarg_size 176
		.amdhsa_user_sgpr_count 6
		.amdhsa_user_sgpr_private_segment_buffer 1
		.amdhsa_user_sgpr_dispatch_ptr 0
		.amdhsa_user_sgpr_queue_ptr 0
		.amdhsa_user_sgpr_kernarg_segment_ptr 1
		.amdhsa_user_sgpr_dispatch_id 0
		.amdhsa_user_sgpr_flat_scratch_init 0
		.amdhsa_user_sgpr_private_segment_size 0
		.amdhsa_wavefront_size32 1
		.amdhsa_uses_dynamic_stack 0
		.amdhsa_system_sgpr_private_segment_wavefront_offset 0
		.amdhsa_system_sgpr_workgroup_id_x 1
		.amdhsa_system_sgpr_workgroup_id_y 0
		.amdhsa_system_sgpr_workgroup_id_z 0
		.amdhsa_system_sgpr_workgroup_info 0
		.amdhsa_system_vgpr_workitem_id 0
		.amdhsa_next_free_vgpr 1
		.amdhsa_next_free_sgpr 1
		.amdhsa_reserve_vcc 0
		.amdhsa_reserve_flat_scratch 0
		.amdhsa_float_round_mode_32 0
		.amdhsa_float_round_mode_16_64 0
		.amdhsa_float_denorm_mode_32 3
		.amdhsa_float_denorm_mode_16_64 3
		.amdhsa_dx10_clamp 1
		.amdhsa_ieee_mode 1
		.amdhsa_fp16_overflow 0
		.amdhsa_workgroup_processor_mode 1
		.amdhsa_memory_ordered 1
		.amdhsa_forward_progress 1
		.amdhsa_shared_vgpr_count 0
		.amdhsa_exception_fp_ieee_invalid_op 0
		.amdhsa_exception_fp_denorm_src 0
		.amdhsa_exception_fp_ieee_div_zero 0
		.amdhsa_exception_fp_ieee_overflow 0
		.amdhsa_exception_fp_ieee_underflow 0
		.amdhsa_exception_fp_ieee_inexact 0
		.amdhsa_exception_int_div_zero 0
	.end_amdhsa_kernel
	.section	.text._ZN7rocprim17ROCPRIM_400000_NS6detail17trampoline_kernelINS0_13select_configILj256ELj13ELNS0_17block_load_methodE3ELS4_3ELS4_3ELNS0_20block_scan_algorithmE0ELj4294967295EEENS1_25partition_config_selectorILNS1_17partition_subalgoE4EjNS0_10empty_typeEbEEZZNS1_14partition_implILS8_4ELb0ES6_15HIP_vector_typeIjLj2EENS0_17counting_iteratorIjlEEPS9_SG_NS0_5tupleIJPjSI_NS0_16reverse_iteratorISI_EEEEENSH_IJSG_SG_SG_EEES9_SI_JZNS1_25segmented_radix_sort_implINS0_14default_configELb0EPKhPhPKlPlN2at6native12_GLOBAL__N_18offset_tEEE10hipError_tPvRmT1_PNSt15iterator_traitsIS12_E10value_typeET2_T3_PNS13_IS18_E10value_typeET4_jRbjT5_S1E_jjP12ihipStream_tbEUljE_ZNSN_ISO_Lb0ESQ_SR_ST_SU_SY_EESZ_S10_S11_S12_S16_S17_S18_S1B_S1C_jS1D_jS1E_S1E_jjS1G_bEUljE0_EEESZ_S10_S11_S18_S1C_S1E_T6_T7_T9_mT8_S1G_bDpT10_ENKUlT_T0_E_clISt17integral_constantIbLb0EES1U_EEDaS1P_S1Q_EUlS1P_E_NS1_11comp_targetILNS1_3genE10ELNS1_11target_archE1200ELNS1_3gpuE4ELNS1_3repE0EEENS1_30default_config_static_selectorELNS0_4arch9wavefront6targetE0EEEvS12_,"axG",@progbits,_ZN7rocprim17ROCPRIM_400000_NS6detail17trampoline_kernelINS0_13select_configILj256ELj13ELNS0_17block_load_methodE3ELS4_3ELS4_3ELNS0_20block_scan_algorithmE0ELj4294967295EEENS1_25partition_config_selectorILNS1_17partition_subalgoE4EjNS0_10empty_typeEbEEZZNS1_14partition_implILS8_4ELb0ES6_15HIP_vector_typeIjLj2EENS0_17counting_iteratorIjlEEPS9_SG_NS0_5tupleIJPjSI_NS0_16reverse_iteratorISI_EEEEENSH_IJSG_SG_SG_EEES9_SI_JZNS1_25segmented_radix_sort_implINS0_14default_configELb0EPKhPhPKlPlN2at6native12_GLOBAL__N_18offset_tEEE10hipError_tPvRmT1_PNSt15iterator_traitsIS12_E10value_typeET2_T3_PNS13_IS18_E10value_typeET4_jRbjT5_S1E_jjP12ihipStream_tbEUljE_ZNSN_ISO_Lb0ESQ_SR_ST_SU_SY_EESZ_S10_S11_S12_S16_S17_S18_S1B_S1C_jS1D_jS1E_S1E_jjS1G_bEUljE0_EEESZ_S10_S11_S18_S1C_S1E_T6_T7_T9_mT8_S1G_bDpT10_ENKUlT_T0_E_clISt17integral_constantIbLb0EES1U_EEDaS1P_S1Q_EUlS1P_E_NS1_11comp_targetILNS1_3genE10ELNS1_11target_archE1200ELNS1_3gpuE4ELNS1_3repE0EEENS1_30default_config_static_selectorELNS0_4arch9wavefront6targetE0EEEvS12_,comdat
.Lfunc_end126:
	.size	_ZN7rocprim17ROCPRIM_400000_NS6detail17trampoline_kernelINS0_13select_configILj256ELj13ELNS0_17block_load_methodE3ELS4_3ELS4_3ELNS0_20block_scan_algorithmE0ELj4294967295EEENS1_25partition_config_selectorILNS1_17partition_subalgoE4EjNS0_10empty_typeEbEEZZNS1_14partition_implILS8_4ELb0ES6_15HIP_vector_typeIjLj2EENS0_17counting_iteratorIjlEEPS9_SG_NS0_5tupleIJPjSI_NS0_16reverse_iteratorISI_EEEEENSH_IJSG_SG_SG_EEES9_SI_JZNS1_25segmented_radix_sort_implINS0_14default_configELb0EPKhPhPKlPlN2at6native12_GLOBAL__N_18offset_tEEE10hipError_tPvRmT1_PNSt15iterator_traitsIS12_E10value_typeET2_T3_PNS13_IS18_E10value_typeET4_jRbjT5_S1E_jjP12ihipStream_tbEUljE_ZNSN_ISO_Lb0ESQ_SR_ST_SU_SY_EESZ_S10_S11_S12_S16_S17_S18_S1B_S1C_jS1D_jS1E_S1E_jjS1G_bEUljE0_EEESZ_S10_S11_S18_S1C_S1E_T6_T7_T9_mT8_S1G_bDpT10_ENKUlT_T0_E_clISt17integral_constantIbLb0EES1U_EEDaS1P_S1Q_EUlS1P_E_NS1_11comp_targetILNS1_3genE10ELNS1_11target_archE1200ELNS1_3gpuE4ELNS1_3repE0EEENS1_30default_config_static_selectorELNS0_4arch9wavefront6targetE0EEEvS12_, .Lfunc_end126-_ZN7rocprim17ROCPRIM_400000_NS6detail17trampoline_kernelINS0_13select_configILj256ELj13ELNS0_17block_load_methodE3ELS4_3ELS4_3ELNS0_20block_scan_algorithmE0ELj4294967295EEENS1_25partition_config_selectorILNS1_17partition_subalgoE4EjNS0_10empty_typeEbEEZZNS1_14partition_implILS8_4ELb0ES6_15HIP_vector_typeIjLj2EENS0_17counting_iteratorIjlEEPS9_SG_NS0_5tupleIJPjSI_NS0_16reverse_iteratorISI_EEEEENSH_IJSG_SG_SG_EEES9_SI_JZNS1_25segmented_radix_sort_implINS0_14default_configELb0EPKhPhPKlPlN2at6native12_GLOBAL__N_18offset_tEEE10hipError_tPvRmT1_PNSt15iterator_traitsIS12_E10value_typeET2_T3_PNS13_IS18_E10value_typeET4_jRbjT5_S1E_jjP12ihipStream_tbEUljE_ZNSN_ISO_Lb0ESQ_SR_ST_SU_SY_EESZ_S10_S11_S12_S16_S17_S18_S1B_S1C_jS1D_jS1E_S1E_jjS1G_bEUljE0_EEESZ_S10_S11_S18_S1C_S1E_T6_T7_T9_mT8_S1G_bDpT10_ENKUlT_T0_E_clISt17integral_constantIbLb0EES1U_EEDaS1P_S1Q_EUlS1P_E_NS1_11comp_targetILNS1_3genE10ELNS1_11target_archE1200ELNS1_3gpuE4ELNS1_3repE0EEENS1_30default_config_static_selectorELNS0_4arch9wavefront6targetE0EEEvS12_
                                        ; -- End function
	.set _ZN7rocprim17ROCPRIM_400000_NS6detail17trampoline_kernelINS0_13select_configILj256ELj13ELNS0_17block_load_methodE3ELS4_3ELS4_3ELNS0_20block_scan_algorithmE0ELj4294967295EEENS1_25partition_config_selectorILNS1_17partition_subalgoE4EjNS0_10empty_typeEbEEZZNS1_14partition_implILS8_4ELb0ES6_15HIP_vector_typeIjLj2EENS0_17counting_iteratorIjlEEPS9_SG_NS0_5tupleIJPjSI_NS0_16reverse_iteratorISI_EEEEENSH_IJSG_SG_SG_EEES9_SI_JZNS1_25segmented_radix_sort_implINS0_14default_configELb0EPKhPhPKlPlN2at6native12_GLOBAL__N_18offset_tEEE10hipError_tPvRmT1_PNSt15iterator_traitsIS12_E10value_typeET2_T3_PNS13_IS18_E10value_typeET4_jRbjT5_S1E_jjP12ihipStream_tbEUljE_ZNSN_ISO_Lb0ESQ_SR_ST_SU_SY_EESZ_S10_S11_S12_S16_S17_S18_S1B_S1C_jS1D_jS1E_S1E_jjS1G_bEUljE0_EEESZ_S10_S11_S18_S1C_S1E_T6_T7_T9_mT8_S1G_bDpT10_ENKUlT_T0_E_clISt17integral_constantIbLb0EES1U_EEDaS1P_S1Q_EUlS1P_E_NS1_11comp_targetILNS1_3genE10ELNS1_11target_archE1200ELNS1_3gpuE4ELNS1_3repE0EEENS1_30default_config_static_selectorELNS0_4arch9wavefront6targetE0EEEvS12_.num_vgpr, 0
	.set _ZN7rocprim17ROCPRIM_400000_NS6detail17trampoline_kernelINS0_13select_configILj256ELj13ELNS0_17block_load_methodE3ELS4_3ELS4_3ELNS0_20block_scan_algorithmE0ELj4294967295EEENS1_25partition_config_selectorILNS1_17partition_subalgoE4EjNS0_10empty_typeEbEEZZNS1_14partition_implILS8_4ELb0ES6_15HIP_vector_typeIjLj2EENS0_17counting_iteratorIjlEEPS9_SG_NS0_5tupleIJPjSI_NS0_16reverse_iteratorISI_EEEEENSH_IJSG_SG_SG_EEES9_SI_JZNS1_25segmented_radix_sort_implINS0_14default_configELb0EPKhPhPKlPlN2at6native12_GLOBAL__N_18offset_tEEE10hipError_tPvRmT1_PNSt15iterator_traitsIS12_E10value_typeET2_T3_PNS13_IS18_E10value_typeET4_jRbjT5_S1E_jjP12ihipStream_tbEUljE_ZNSN_ISO_Lb0ESQ_SR_ST_SU_SY_EESZ_S10_S11_S12_S16_S17_S18_S1B_S1C_jS1D_jS1E_S1E_jjS1G_bEUljE0_EEESZ_S10_S11_S18_S1C_S1E_T6_T7_T9_mT8_S1G_bDpT10_ENKUlT_T0_E_clISt17integral_constantIbLb0EES1U_EEDaS1P_S1Q_EUlS1P_E_NS1_11comp_targetILNS1_3genE10ELNS1_11target_archE1200ELNS1_3gpuE4ELNS1_3repE0EEENS1_30default_config_static_selectorELNS0_4arch9wavefront6targetE0EEEvS12_.num_agpr, 0
	.set _ZN7rocprim17ROCPRIM_400000_NS6detail17trampoline_kernelINS0_13select_configILj256ELj13ELNS0_17block_load_methodE3ELS4_3ELS4_3ELNS0_20block_scan_algorithmE0ELj4294967295EEENS1_25partition_config_selectorILNS1_17partition_subalgoE4EjNS0_10empty_typeEbEEZZNS1_14partition_implILS8_4ELb0ES6_15HIP_vector_typeIjLj2EENS0_17counting_iteratorIjlEEPS9_SG_NS0_5tupleIJPjSI_NS0_16reverse_iteratorISI_EEEEENSH_IJSG_SG_SG_EEES9_SI_JZNS1_25segmented_radix_sort_implINS0_14default_configELb0EPKhPhPKlPlN2at6native12_GLOBAL__N_18offset_tEEE10hipError_tPvRmT1_PNSt15iterator_traitsIS12_E10value_typeET2_T3_PNS13_IS18_E10value_typeET4_jRbjT5_S1E_jjP12ihipStream_tbEUljE_ZNSN_ISO_Lb0ESQ_SR_ST_SU_SY_EESZ_S10_S11_S12_S16_S17_S18_S1B_S1C_jS1D_jS1E_S1E_jjS1G_bEUljE0_EEESZ_S10_S11_S18_S1C_S1E_T6_T7_T9_mT8_S1G_bDpT10_ENKUlT_T0_E_clISt17integral_constantIbLb0EES1U_EEDaS1P_S1Q_EUlS1P_E_NS1_11comp_targetILNS1_3genE10ELNS1_11target_archE1200ELNS1_3gpuE4ELNS1_3repE0EEENS1_30default_config_static_selectorELNS0_4arch9wavefront6targetE0EEEvS12_.numbered_sgpr, 0
	.set _ZN7rocprim17ROCPRIM_400000_NS6detail17trampoline_kernelINS0_13select_configILj256ELj13ELNS0_17block_load_methodE3ELS4_3ELS4_3ELNS0_20block_scan_algorithmE0ELj4294967295EEENS1_25partition_config_selectorILNS1_17partition_subalgoE4EjNS0_10empty_typeEbEEZZNS1_14partition_implILS8_4ELb0ES6_15HIP_vector_typeIjLj2EENS0_17counting_iteratorIjlEEPS9_SG_NS0_5tupleIJPjSI_NS0_16reverse_iteratorISI_EEEEENSH_IJSG_SG_SG_EEES9_SI_JZNS1_25segmented_radix_sort_implINS0_14default_configELb0EPKhPhPKlPlN2at6native12_GLOBAL__N_18offset_tEEE10hipError_tPvRmT1_PNSt15iterator_traitsIS12_E10value_typeET2_T3_PNS13_IS18_E10value_typeET4_jRbjT5_S1E_jjP12ihipStream_tbEUljE_ZNSN_ISO_Lb0ESQ_SR_ST_SU_SY_EESZ_S10_S11_S12_S16_S17_S18_S1B_S1C_jS1D_jS1E_S1E_jjS1G_bEUljE0_EEESZ_S10_S11_S18_S1C_S1E_T6_T7_T9_mT8_S1G_bDpT10_ENKUlT_T0_E_clISt17integral_constantIbLb0EES1U_EEDaS1P_S1Q_EUlS1P_E_NS1_11comp_targetILNS1_3genE10ELNS1_11target_archE1200ELNS1_3gpuE4ELNS1_3repE0EEENS1_30default_config_static_selectorELNS0_4arch9wavefront6targetE0EEEvS12_.num_named_barrier, 0
	.set _ZN7rocprim17ROCPRIM_400000_NS6detail17trampoline_kernelINS0_13select_configILj256ELj13ELNS0_17block_load_methodE3ELS4_3ELS4_3ELNS0_20block_scan_algorithmE0ELj4294967295EEENS1_25partition_config_selectorILNS1_17partition_subalgoE4EjNS0_10empty_typeEbEEZZNS1_14partition_implILS8_4ELb0ES6_15HIP_vector_typeIjLj2EENS0_17counting_iteratorIjlEEPS9_SG_NS0_5tupleIJPjSI_NS0_16reverse_iteratorISI_EEEEENSH_IJSG_SG_SG_EEES9_SI_JZNS1_25segmented_radix_sort_implINS0_14default_configELb0EPKhPhPKlPlN2at6native12_GLOBAL__N_18offset_tEEE10hipError_tPvRmT1_PNSt15iterator_traitsIS12_E10value_typeET2_T3_PNS13_IS18_E10value_typeET4_jRbjT5_S1E_jjP12ihipStream_tbEUljE_ZNSN_ISO_Lb0ESQ_SR_ST_SU_SY_EESZ_S10_S11_S12_S16_S17_S18_S1B_S1C_jS1D_jS1E_S1E_jjS1G_bEUljE0_EEESZ_S10_S11_S18_S1C_S1E_T6_T7_T9_mT8_S1G_bDpT10_ENKUlT_T0_E_clISt17integral_constantIbLb0EES1U_EEDaS1P_S1Q_EUlS1P_E_NS1_11comp_targetILNS1_3genE10ELNS1_11target_archE1200ELNS1_3gpuE4ELNS1_3repE0EEENS1_30default_config_static_selectorELNS0_4arch9wavefront6targetE0EEEvS12_.private_seg_size, 0
	.set _ZN7rocprim17ROCPRIM_400000_NS6detail17trampoline_kernelINS0_13select_configILj256ELj13ELNS0_17block_load_methodE3ELS4_3ELS4_3ELNS0_20block_scan_algorithmE0ELj4294967295EEENS1_25partition_config_selectorILNS1_17partition_subalgoE4EjNS0_10empty_typeEbEEZZNS1_14partition_implILS8_4ELb0ES6_15HIP_vector_typeIjLj2EENS0_17counting_iteratorIjlEEPS9_SG_NS0_5tupleIJPjSI_NS0_16reverse_iteratorISI_EEEEENSH_IJSG_SG_SG_EEES9_SI_JZNS1_25segmented_radix_sort_implINS0_14default_configELb0EPKhPhPKlPlN2at6native12_GLOBAL__N_18offset_tEEE10hipError_tPvRmT1_PNSt15iterator_traitsIS12_E10value_typeET2_T3_PNS13_IS18_E10value_typeET4_jRbjT5_S1E_jjP12ihipStream_tbEUljE_ZNSN_ISO_Lb0ESQ_SR_ST_SU_SY_EESZ_S10_S11_S12_S16_S17_S18_S1B_S1C_jS1D_jS1E_S1E_jjS1G_bEUljE0_EEESZ_S10_S11_S18_S1C_S1E_T6_T7_T9_mT8_S1G_bDpT10_ENKUlT_T0_E_clISt17integral_constantIbLb0EES1U_EEDaS1P_S1Q_EUlS1P_E_NS1_11comp_targetILNS1_3genE10ELNS1_11target_archE1200ELNS1_3gpuE4ELNS1_3repE0EEENS1_30default_config_static_selectorELNS0_4arch9wavefront6targetE0EEEvS12_.uses_vcc, 0
	.set _ZN7rocprim17ROCPRIM_400000_NS6detail17trampoline_kernelINS0_13select_configILj256ELj13ELNS0_17block_load_methodE3ELS4_3ELS4_3ELNS0_20block_scan_algorithmE0ELj4294967295EEENS1_25partition_config_selectorILNS1_17partition_subalgoE4EjNS0_10empty_typeEbEEZZNS1_14partition_implILS8_4ELb0ES6_15HIP_vector_typeIjLj2EENS0_17counting_iteratorIjlEEPS9_SG_NS0_5tupleIJPjSI_NS0_16reverse_iteratorISI_EEEEENSH_IJSG_SG_SG_EEES9_SI_JZNS1_25segmented_radix_sort_implINS0_14default_configELb0EPKhPhPKlPlN2at6native12_GLOBAL__N_18offset_tEEE10hipError_tPvRmT1_PNSt15iterator_traitsIS12_E10value_typeET2_T3_PNS13_IS18_E10value_typeET4_jRbjT5_S1E_jjP12ihipStream_tbEUljE_ZNSN_ISO_Lb0ESQ_SR_ST_SU_SY_EESZ_S10_S11_S12_S16_S17_S18_S1B_S1C_jS1D_jS1E_S1E_jjS1G_bEUljE0_EEESZ_S10_S11_S18_S1C_S1E_T6_T7_T9_mT8_S1G_bDpT10_ENKUlT_T0_E_clISt17integral_constantIbLb0EES1U_EEDaS1P_S1Q_EUlS1P_E_NS1_11comp_targetILNS1_3genE10ELNS1_11target_archE1200ELNS1_3gpuE4ELNS1_3repE0EEENS1_30default_config_static_selectorELNS0_4arch9wavefront6targetE0EEEvS12_.uses_flat_scratch, 0
	.set _ZN7rocprim17ROCPRIM_400000_NS6detail17trampoline_kernelINS0_13select_configILj256ELj13ELNS0_17block_load_methodE3ELS4_3ELS4_3ELNS0_20block_scan_algorithmE0ELj4294967295EEENS1_25partition_config_selectorILNS1_17partition_subalgoE4EjNS0_10empty_typeEbEEZZNS1_14partition_implILS8_4ELb0ES6_15HIP_vector_typeIjLj2EENS0_17counting_iteratorIjlEEPS9_SG_NS0_5tupleIJPjSI_NS0_16reverse_iteratorISI_EEEEENSH_IJSG_SG_SG_EEES9_SI_JZNS1_25segmented_radix_sort_implINS0_14default_configELb0EPKhPhPKlPlN2at6native12_GLOBAL__N_18offset_tEEE10hipError_tPvRmT1_PNSt15iterator_traitsIS12_E10value_typeET2_T3_PNS13_IS18_E10value_typeET4_jRbjT5_S1E_jjP12ihipStream_tbEUljE_ZNSN_ISO_Lb0ESQ_SR_ST_SU_SY_EESZ_S10_S11_S12_S16_S17_S18_S1B_S1C_jS1D_jS1E_S1E_jjS1G_bEUljE0_EEESZ_S10_S11_S18_S1C_S1E_T6_T7_T9_mT8_S1G_bDpT10_ENKUlT_T0_E_clISt17integral_constantIbLb0EES1U_EEDaS1P_S1Q_EUlS1P_E_NS1_11comp_targetILNS1_3genE10ELNS1_11target_archE1200ELNS1_3gpuE4ELNS1_3repE0EEENS1_30default_config_static_selectorELNS0_4arch9wavefront6targetE0EEEvS12_.has_dyn_sized_stack, 0
	.set _ZN7rocprim17ROCPRIM_400000_NS6detail17trampoline_kernelINS0_13select_configILj256ELj13ELNS0_17block_load_methodE3ELS4_3ELS4_3ELNS0_20block_scan_algorithmE0ELj4294967295EEENS1_25partition_config_selectorILNS1_17partition_subalgoE4EjNS0_10empty_typeEbEEZZNS1_14partition_implILS8_4ELb0ES6_15HIP_vector_typeIjLj2EENS0_17counting_iteratorIjlEEPS9_SG_NS0_5tupleIJPjSI_NS0_16reverse_iteratorISI_EEEEENSH_IJSG_SG_SG_EEES9_SI_JZNS1_25segmented_radix_sort_implINS0_14default_configELb0EPKhPhPKlPlN2at6native12_GLOBAL__N_18offset_tEEE10hipError_tPvRmT1_PNSt15iterator_traitsIS12_E10value_typeET2_T3_PNS13_IS18_E10value_typeET4_jRbjT5_S1E_jjP12ihipStream_tbEUljE_ZNSN_ISO_Lb0ESQ_SR_ST_SU_SY_EESZ_S10_S11_S12_S16_S17_S18_S1B_S1C_jS1D_jS1E_S1E_jjS1G_bEUljE0_EEESZ_S10_S11_S18_S1C_S1E_T6_T7_T9_mT8_S1G_bDpT10_ENKUlT_T0_E_clISt17integral_constantIbLb0EES1U_EEDaS1P_S1Q_EUlS1P_E_NS1_11comp_targetILNS1_3genE10ELNS1_11target_archE1200ELNS1_3gpuE4ELNS1_3repE0EEENS1_30default_config_static_selectorELNS0_4arch9wavefront6targetE0EEEvS12_.has_recursion, 0
	.set _ZN7rocprim17ROCPRIM_400000_NS6detail17trampoline_kernelINS0_13select_configILj256ELj13ELNS0_17block_load_methodE3ELS4_3ELS4_3ELNS0_20block_scan_algorithmE0ELj4294967295EEENS1_25partition_config_selectorILNS1_17partition_subalgoE4EjNS0_10empty_typeEbEEZZNS1_14partition_implILS8_4ELb0ES6_15HIP_vector_typeIjLj2EENS0_17counting_iteratorIjlEEPS9_SG_NS0_5tupleIJPjSI_NS0_16reverse_iteratorISI_EEEEENSH_IJSG_SG_SG_EEES9_SI_JZNS1_25segmented_radix_sort_implINS0_14default_configELb0EPKhPhPKlPlN2at6native12_GLOBAL__N_18offset_tEEE10hipError_tPvRmT1_PNSt15iterator_traitsIS12_E10value_typeET2_T3_PNS13_IS18_E10value_typeET4_jRbjT5_S1E_jjP12ihipStream_tbEUljE_ZNSN_ISO_Lb0ESQ_SR_ST_SU_SY_EESZ_S10_S11_S12_S16_S17_S18_S1B_S1C_jS1D_jS1E_S1E_jjS1G_bEUljE0_EEESZ_S10_S11_S18_S1C_S1E_T6_T7_T9_mT8_S1G_bDpT10_ENKUlT_T0_E_clISt17integral_constantIbLb0EES1U_EEDaS1P_S1Q_EUlS1P_E_NS1_11comp_targetILNS1_3genE10ELNS1_11target_archE1200ELNS1_3gpuE4ELNS1_3repE0EEENS1_30default_config_static_selectorELNS0_4arch9wavefront6targetE0EEEvS12_.has_indirect_call, 0
	.section	.AMDGPU.csdata,"",@progbits
; Kernel info:
; codeLenInByte = 0
; TotalNumSgprs: 0
; NumVgprs: 0
; ScratchSize: 0
; MemoryBound: 0
; FloatMode: 240
; IeeeMode: 1
; LDSByteSize: 0 bytes/workgroup (compile time only)
; SGPRBlocks: 0
; VGPRBlocks: 0
; NumSGPRsForWavesPerEU: 1
; NumVGPRsForWavesPerEU: 1
; Occupancy: 16
; WaveLimiterHint : 0
; COMPUTE_PGM_RSRC2:SCRATCH_EN: 0
; COMPUTE_PGM_RSRC2:USER_SGPR: 6
; COMPUTE_PGM_RSRC2:TRAP_HANDLER: 0
; COMPUTE_PGM_RSRC2:TGID_X_EN: 1
; COMPUTE_PGM_RSRC2:TGID_Y_EN: 0
; COMPUTE_PGM_RSRC2:TGID_Z_EN: 0
; COMPUTE_PGM_RSRC2:TIDIG_COMP_CNT: 0
	.section	.text._ZN7rocprim17ROCPRIM_400000_NS6detail17trampoline_kernelINS0_13select_configILj256ELj13ELNS0_17block_load_methodE3ELS4_3ELS4_3ELNS0_20block_scan_algorithmE0ELj4294967295EEENS1_25partition_config_selectorILNS1_17partition_subalgoE4EjNS0_10empty_typeEbEEZZNS1_14partition_implILS8_4ELb0ES6_15HIP_vector_typeIjLj2EENS0_17counting_iteratorIjlEEPS9_SG_NS0_5tupleIJPjSI_NS0_16reverse_iteratorISI_EEEEENSH_IJSG_SG_SG_EEES9_SI_JZNS1_25segmented_radix_sort_implINS0_14default_configELb0EPKhPhPKlPlN2at6native12_GLOBAL__N_18offset_tEEE10hipError_tPvRmT1_PNSt15iterator_traitsIS12_E10value_typeET2_T3_PNS13_IS18_E10value_typeET4_jRbjT5_S1E_jjP12ihipStream_tbEUljE_ZNSN_ISO_Lb0ESQ_SR_ST_SU_SY_EESZ_S10_S11_S12_S16_S17_S18_S1B_S1C_jS1D_jS1E_S1E_jjS1G_bEUljE0_EEESZ_S10_S11_S18_S1C_S1E_T6_T7_T9_mT8_S1G_bDpT10_ENKUlT_T0_E_clISt17integral_constantIbLb0EES1U_EEDaS1P_S1Q_EUlS1P_E_NS1_11comp_targetILNS1_3genE9ELNS1_11target_archE1100ELNS1_3gpuE3ELNS1_3repE0EEENS1_30default_config_static_selectorELNS0_4arch9wavefront6targetE0EEEvS12_,"axG",@progbits,_ZN7rocprim17ROCPRIM_400000_NS6detail17trampoline_kernelINS0_13select_configILj256ELj13ELNS0_17block_load_methodE3ELS4_3ELS4_3ELNS0_20block_scan_algorithmE0ELj4294967295EEENS1_25partition_config_selectorILNS1_17partition_subalgoE4EjNS0_10empty_typeEbEEZZNS1_14partition_implILS8_4ELb0ES6_15HIP_vector_typeIjLj2EENS0_17counting_iteratorIjlEEPS9_SG_NS0_5tupleIJPjSI_NS0_16reverse_iteratorISI_EEEEENSH_IJSG_SG_SG_EEES9_SI_JZNS1_25segmented_radix_sort_implINS0_14default_configELb0EPKhPhPKlPlN2at6native12_GLOBAL__N_18offset_tEEE10hipError_tPvRmT1_PNSt15iterator_traitsIS12_E10value_typeET2_T3_PNS13_IS18_E10value_typeET4_jRbjT5_S1E_jjP12ihipStream_tbEUljE_ZNSN_ISO_Lb0ESQ_SR_ST_SU_SY_EESZ_S10_S11_S12_S16_S17_S18_S1B_S1C_jS1D_jS1E_S1E_jjS1G_bEUljE0_EEESZ_S10_S11_S18_S1C_S1E_T6_T7_T9_mT8_S1G_bDpT10_ENKUlT_T0_E_clISt17integral_constantIbLb0EES1U_EEDaS1P_S1Q_EUlS1P_E_NS1_11comp_targetILNS1_3genE9ELNS1_11target_archE1100ELNS1_3gpuE3ELNS1_3repE0EEENS1_30default_config_static_selectorELNS0_4arch9wavefront6targetE0EEEvS12_,comdat
	.globl	_ZN7rocprim17ROCPRIM_400000_NS6detail17trampoline_kernelINS0_13select_configILj256ELj13ELNS0_17block_load_methodE3ELS4_3ELS4_3ELNS0_20block_scan_algorithmE0ELj4294967295EEENS1_25partition_config_selectorILNS1_17partition_subalgoE4EjNS0_10empty_typeEbEEZZNS1_14partition_implILS8_4ELb0ES6_15HIP_vector_typeIjLj2EENS0_17counting_iteratorIjlEEPS9_SG_NS0_5tupleIJPjSI_NS0_16reverse_iteratorISI_EEEEENSH_IJSG_SG_SG_EEES9_SI_JZNS1_25segmented_radix_sort_implINS0_14default_configELb0EPKhPhPKlPlN2at6native12_GLOBAL__N_18offset_tEEE10hipError_tPvRmT1_PNSt15iterator_traitsIS12_E10value_typeET2_T3_PNS13_IS18_E10value_typeET4_jRbjT5_S1E_jjP12ihipStream_tbEUljE_ZNSN_ISO_Lb0ESQ_SR_ST_SU_SY_EESZ_S10_S11_S12_S16_S17_S18_S1B_S1C_jS1D_jS1E_S1E_jjS1G_bEUljE0_EEESZ_S10_S11_S18_S1C_S1E_T6_T7_T9_mT8_S1G_bDpT10_ENKUlT_T0_E_clISt17integral_constantIbLb0EES1U_EEDaS1P_S1Q_EUlS1P_E_NS1_11comp_targetILNS1_3genE9ELNS1_11target_archE1100ELNS1_3gpuE3ELNS1_3repE0EEENS1_30default_config_static_selectorELNS0_4arch9wavefront6targetE0EEEvS12_ ; -- Begin function _ZN7rocprim17ROCPRIM_400000_NS6detail17trampoline_kernelINS0_13select_configILj256ELj13ELNS0_17block_load_methodE3ELS4_3ELS4_3ELNS0_20block_scan_algorithmE0ELj4294967295EEENS1_25partition_config_selectorILNS1_17partition_subalgoE4EjNS0_10empty_typeEbEEZZNS1_14partition_implILS8_4ELb0ES6_15HIP_vector_typeIjLj2EENS0_17counting_iteratorIjlEEPS9_SG_NS0_5tupleIJPjSI_NS0_16reverse_iteratorISI_EEEEENSH_IJSG_SG_SG_EEES9_SI_JZNS1_25segmented_radix_sort_implINS0_14default_configELb0EPKhPhPKlPlN2at6native12_GLOBAL__N_18offset_tEEE10hipError_tPvRmT1_PNSt15iterator_traitsIS12_E10value_typeET2_T3_PNS13_IS18_E10value_typeET4_jRbjT5_S1E_jjP12ihipStream_tbEUljE_ZNSN_ISO_Lb0ESQ_SR_ST_SU_SY_EESZ_S10_S11_S12_S16_S17_S18_S1B_S1C_jS1D_jS1E_S1E_jjS1G_bEUljE0_EEESZ_S10_S11_S18_S1C_S1E_T6_T7_T9_mT8_S1G_bDpT10_ENKUlT_T0_E_clISt17integral_constantIbLb0EES1U_EEDaS1P_S1Q_EUlS1P_E_NS1_11comp_targetILNS1_3genE9ELNS1_11target_archE1100ELNS1_3gpuE3ELNS1_3repE0EEENS1_30default_config_static_selectorELNS0_4arch9wavefront6targetE0EEEvS12_
	.p2align	8
	.type	_ZN7rocprim17ROCPRIM_400000_NS6detail17trampoline_kernelINS0_13select_configILj256ELj13ELNS0_17block_load_methodE3ELS4_3ELS4_3ELNS0_20block_scan_algorithmE0ELj4294967295EEENS1_25partition_config_selectorILNS1_17partition_subalgoE4EjNS0_10empty_typeEbEEZZNS1_14partition_implILS8_4ELb0ES6_15HIP_vector_typeIjLj2EENS0_17counting_iteratorIjlEEPS9_SG_NS0_5tupleIJPjSI_NS0_16reverse_iteratorISI_EEEEENSH_IJSG_SG_SG_EEES9_SI_JZNS1_25segmented_radix_sort_implINS0_14default_configELb0EPKhPhPKlPlN2at6native12_GLOBAL__N_18offset_tEEE10hipError_tPvRmT1_PNSt15iterator_traitsIS12_E10value_typeET2_T3_PNS13_IS18_E10value_typeET4_jRbjT5_S1E_jjP12ihipStream_tbEUljE_ZNSN_ISO_Lb0ESQ_SR_ST_SU_SY_EESZ_S10_S11_S12_S16_S17_S18_S1B_S1C_jS1D_jS1E_S1E_jjS1G_bEUljE0_EEESZ_S10_S11_S18_S1C_S1E_T6_T7_T9_mT8_S1G_bDpT10_ENKUlT_T0_E_clISt17integral_constantIbLb0EES1U_EEDaS1P_S1Q_EUlS1P_E_NS1_11comp_targetILNS1_3genE9ELNS1_11target_archE1100ELNS1_3gpuE3ELNS1_3repE0EEENS1_30default_config_static_selectorELNS0_4arch9wavefront6targetE0EEEvS12_,@function
_ZN7rocprim17ROCPRIM_400000_NS6detail17trampoline_kernelINS0_13select_configILj256ELj13ELNS0_17block_load_methodE3ELS4_3ELS4_3ELNS0_20block_scan_algorithmE0ELj4294967295EEENS1_25partition_config_selectorILNS1_17partition_subalgoE4EjNS0_10empty_typeEbEEZZNS1_14partition_implILS8_4ELb0ES6_15HIP_vector_typeIjLj2EENS0_17counting_iteratorIjlEEPS9_SG_NS0_5tupleIJPjSI_NS0_16reverse_iteratorISI_EEEEENSH_IJSG_SG_SG_EEES9_SI_JZNS1_25segmented_radix_sort_implINS0_14default_configELb0EPKhPhPKlPlN2at6native12_GLOBAL__N_18offset_tEEE10hipError_tPvRmT1_PNSt15iterator_traitsIS12_E10value_typeET2_T3_PNS13_IS18_E10value_typeET4_jRbjT5_S1E_jjP12ihipStream_tbEUljE_ZNSN_ISO_Lb0ESQ_SR_ST_SU_SY_EESZ_S10_S11_S12_S16_S17_S18_S1B_S1C_jS1D_jS1E_S1E_jjS1G_bEUljE0_EEESZ_S10_S11_S18_S1C_S1E_T6_T7_T9_mT8_S1G_bDpT10_ENKUlT_T0_E_clISt17integral_constantIbLb0EES1U_EEDaS1P_S1Q_EUlS1P_E_NS1_11comp_targetILNS1_3genE9ELNS1_11target_archE1100ELNS1_3gpuE3ELNS1_3repE0EEENS1_30default_config_static_selectorELNS0_4arch9wavefront6targetE0EEEvS12_: ; @_ZN7rocprim17ROCPRIM_400000_NS6detail17trampoline_kernelINS0_13select_configILj256ELj13ELNS0_17block_load_methodE3ELS4_3ELS4_3ELNS0_20block_scan_algorithmE0ELj4294967295EEENS1_25partition_config_selectorILNS1_17partition_subalgoE4EjNS0_10empty_typeEbEEZZNS1_14partition_implILS8_4ELb0ES6_15HIP_vector_typeIjLj2EENS0_17counting_iteratorIjlEEPS9_SG_NS0_5tupleIJPjSI_NS0_16reverse_iteratorISI_EEEEENSH_IJSG_SG_SG_EEES9_SI_JZNS1_25segmented_radix_sort_implINS0_14default_configELb0EPKhPhPKlPlN2at6native12_GLOBAL__N_18offset_tEEE10hipError_tPvRmT1_PNSt15iterator_traitsIS12_E10value_typeET2_T3_PNS13_IS18_E10value_typeET4_jRbjT5_S1E_jjP12ihipStream_tbEUljE_ZNSN_ISO_Lb0ESQ_SR_ST_SU_SY_EESZ_S10_S11_S12_S16_S17_S18_S1B_S1C_jS1D_jS1E_S1E_jjS1G_bEUljE0_EEESZ_S10_S11_S18_S1C_S1E_T6_T7_T9_mT8_S1G_bDpT10_ENKUlT_T0_E_clISt17integral_constantIbLb0EES1U_EEDaS1P_S1Q_EUlS1P_E_NS1_11comp_targetILNS1_3genE9ELNS1_11target_archE1100ELNS1_3gpuE3ELNS1_3repE0EEENS1_30default_config_static_selectorELNS0_4arch9wavefront6targetE0EEEvS12_
; %bb.0:
	.section	.rodata,"a",@progbits
	.p2align	6, 0x0
	.amdhsa_kernel _ZN7rocprim17ROCPRIM_400000_NS6detail17trampoline_kernelINS0_13select_configILj256ELj13ELNS0_17block_load_methodE3ELS4_3ELS4_3ELNS0_20block_scan_algorithmE0ELj4294967295EEENS1_25partition_config_selectorILNS1_17partition_subalgoE4EjNS0_10empty_typeEbEEZZNS1_14partition_implILS8_4ELb0ES6_15HIP_vector_typeIjLj2EENS0_17counting_iteratorIjlEEPS9_SG_NS0_5tupleIJPjSI_NS0_16reverse_iteratorISI_EEEEENSH_IJSG_SG_SG_EEES9_SI_JZNS1_25segmented_radix_sort_implINS0_14default_configELb0EPKhPhPKlPlN2at6native12_GLOBAL__N_18offset_tEEE10hipError_tPvRmT1_PNSt15iterator_traitsIS12_E10value_typeET2_T3_PNS13_IS18_E10value_typeET4_jRbjT5_S1E_jjP12ihipStream_tbEUljE_ZNSN_ISO_Lb0ESQ_SR_ST_SU_SY_EESZ_S10_S11_S12_S16_S17_S18_S1B_S1C_jS1D_jS1E_S1E_jjS1G_bEUljE0_EEESZ_S10_S11_S18_S1C_S1E_T6_T7_T9_mT8_S1G_bDpT10_ENKUlT_T0_E_clISt17integral_constantIbLb0EES1U_EEDaS1P_S1Q_EUlS1P_E_NS1_11comp_targetILNS1_3genE9ELNS1_11target_archE1100ELNS1_3gpuE3ELNS1_3repE0EEENS1_30default_config_static_selectorELNS0_4arch9wavefront6targetE0EEEvS12_
		.amdhsa_group_segment_fixed_size 0
		.amdhsa_private_segment_fixed_size 0
		.amdhsa_kernarg_size 176
		.amdhsa_user_sgpr_count 6
		.amdhsa_user_sgpr_private_segment_buffer 1
		.amdhsa_user_sgpr_dispatch_ptr 0
		.amdhsa_user_sgpr_queue_ptr 0
		.amdhsa_user_sgpr_kernarg_segment_ptr 1
		.amdhsa_user_sgpr_dispatch_id 0
		.amdhsa_user_sgpr_flat_scratch_init 0
		.amdhsa_user_sgpr_private_segment_size 0
		.amdhsa_wavefront_size32 1
		.amdhsa_uses_dynamic_stack 0
		.amdhsa_system_sgpr_private_segment_wavefront_offset 0
		.amdhsa_system_sgpr_workgroup_id_x 1
		.amdhsa_system_sgpr_workgroup_id_y 0
		.amdhsa_system_sgpr_workgroup_id_z 0
		.amdhsa_system_sgpr_workgroup_info 0
		.amdhsa_system_vgpr_workitem_id 0
		.amdhsa_next_free_vgpr 1
		.amdhsa_next_free_sgpr 1
		.amdhsa_reserve_vcc 0
		.amdhsa_reserve_flat_scratch 0
		.amdhsa_float_round_mode_32 0
		.amdhsa_float_round_mode_16_64 0
		.amdhsa_float_denorm_mode_32 3
		.amdhsa_float_denorm_mode_16_64 3
		.amdhsa_dx10_clamp 1
		.amdhsa_ieee_mode 1
		.amdhsa_fp16_overflow 0
		.amdhsa_workgroup_processor_mode 1
		.amdhsa_memory_ordered 1
		.amdhsa_forward_progress 1
		.amdhsa_shared_vgpr_count 0
		.amdhsa_exception_fp_ieee_invalid_op 0
		.amdhsa_exception_fp_denorm_src 0
		.amdhsa_exception_fp_ieee_div_zero 0
		.amdhsa_exception_fp_ieee_overflow 0
		.amdhsa_exception_fp_ieee_underflow 0
		.amdhsa_exception_fp_ieee_inexact 0
		.amdhsa_exception_int_div_zero 0
	.end_amdhsa_kernel
	.section	.text._ZN7rocprim17ROCPRIM_400000_NS6detail17trampoline_kernelINS0_13select_configILj256ELj13ELNS0_17block_load_methodE3ELS4_3ELS4_3ELNS0_20block_scan_algorithmE0ELj4294967295EEENS1_25partition_config_selectorILNS1_17partition_subalgoE4EjNS0_10empty_typeEbEEZZNS1_14partition_implILS8_4ELb0ES6_15HIP_vector_typeIjLj2EENS0_17counting_iteratorIjlEEPS9_SG_NS0_5tupleIJPjSI_NS0_16reverse_iteratorISI_EEEEENSH_IJSG_SG_SG_EEES9_SI_JZNS1_25segmented_radix_sort_implINS0_14default_configELb0EPKhPhPKlPlN2at6native12_GLOBAL__N_18offset_tEEE10hipError_tPvRmT1_PNSt15iterator_traitsIS12_E10value_typeET2_T3_PNS13_IS18_E10value_typeET4_jRbjT5_S1E_jjP12ihipStream_tbEUljE_ZNSN_ISO_Lb0ESQ_SR_ST_SU_SY_EESZ_S10_S11_S12_S16_S17_S18_S1B_S1C_jS1D_jS1E_S1E_jjS1G_bEUljE0_EEESZ_S10_S11_S18_S1C_S1E_T6_T7_T9_mT8_S1G_bDpT10_ENKUlT_T0_E_clISt17integral_constantIbLb0EES1U_EEDaS1P_S1Q_EUlS1P_E_NS1_11comp_targetILNS1_3genE9ELNS1_11target_archE1100ELNS1_3gpuE3ELNS1_3repE0EEENS1_30default_config_static_selectorELNS0_4arch9wavefront6targetE0EEEvS12_,"axG",@progbits,_ZN7rocprim17ROCPRIM_400000_NS6detail17trampoline_kernelINS0_13select_configILj256ELj13ELNS0_17block_load_methodE3ELS4_3ELS4_3ELNS0_20block_scan_algorithmE0ELj4294967295EEENS1_25partition_config_selectorILNS1_17partition_subalgoE4EjNS0_10empty_typeEbEEZZNS1_14partition_implILS8_4ELb0ES6_15HIP_vector_typeIjLj2EENS0_17counting_iteratorIjlEEPS9_SG_NS0_5tupleIJPjSI_NS0_16reverse_iteratorISI_EEEEENSH_IJSG_SG_SG_EEES9_SI_JZNS1_25segmented_radix_sort_implINS0_14default_configELb0EPKhPhPKlPlN2at6native12_GLOBAL__N_18offset_tEEE10hipError_tPvRmT1_PNSt15iterator_traitsIS12_E10value_typeET2_T3_PNS13_IS18_E10value_typeET4_jRbjT5_S1E_jjP12ihipStream_tbEUljE_ZNSN_ISO_Lb0ESQ_SR_ST_SU_SY_EESZ_S10_S11_S12_S16_S17_S18_S1B_S1C_jS1D_jS1E_S1E_jjS1G_bEUljE0_EEESZ_S10_S11_S18_S1C_S1E_T6_T7_T9_mT8_S1G_bDpT10_ENKUlT_T0_E_clISt17integral_constantIbLb0EES1U_EEDaS1P_S1Q_EUlS1P_E_NS1_11comp_targetILNS1_3genE9ELNS1_11target_archE1100ELNS1_3gpuE3ELNS1_3repE0EEENS1_30default_config_static_selectorELNS0_4arch9wavefront6targetE0EEEvS12_,comdat
.Lfunc_end127:
	.size	_ZN7rocprim17ROCPRIM_400000_NS6detail17trampoline_kernelINS0_13select_configILj256ELj13ELNS0_17block_load_methodE3ELS4_3ELS4_3ELNS0_20block_scan_algorithmE0ELj4294967295EEENS1_25partition_config_selectorILNS1_17partition_subalgoE4EjNS0_10empty_typeEbEEZZNS1_14partition_implILS8_4ELb0ES6_15HIP_vector_typeIjLj2EENS0_17counting_iteratorIjlEEPS9_SG_NS0_5tupleIJPjSI_NS0_16reverse_iteratorISI_EEEEENSH_IJSG_SG_SG_EEES9_SI_JZNS1_25segmented_radix_sort_implINS0_14default_configELb0EPKhPhPKlPlN2at6native12_GLOBAL__N_18offset_tEEE10hipError_tPvRmT1_PNSt15iterator_traitsIS12_E10value_typeET2_T3_PNS13_IS18_E10value_typeET4_jRbjT5_S1E_jjP12ihipStream_tbEUljE_ZNSN_ISO_Lb0ESQ_SR_ST_SU_SY_EESZ_S10_S11_S12_S16_S17_S18_S1B_S1C_jS1D_jS1E_S1E_jjS1G_bEUljE0_EEESZ_S10_S11_S18_S1C_S1E_T6_T7_T9_mT8_S1G_bDpT10_ENKUlT_T0_E_clISt17integral_constantIbLb0EES1U_EEDaS1P_S1Q_EUlS1P_E_NS1_11comp_targetILNS1_3genE9ELNS1_11target_archE1100ELNS1_3gpuE3ELNS1_3repE0EEENS1_30default_config_static_selectorELNS0_4arch9wavefront6targetE0EEEvS12_, .Lfunc_end127-_ZN7rocprim17ROCPRIM_400000_NS6detail17trampoline_kernelINS0_13select_configILj256ELj13ELNS0_17block_load_methodE3ELS4_3ELS4_3ELNS0_20block_scan_algorithmE0ELj4294967295EEENS1_25partition_config_selectorILNS1_17partition_subalgoE4EjNS0_10empty_typeEbEEZZNS1_14partition_implILS8_4ELb0ES6_15HIP_vector_typeIjLj2EENS0_17counting_iteratorIjlEEPS9_SG_NS0_5tupleIJPjSI_NS0_16reverse_iteratorISI_EEEEENSH_IJSG_SG_SG_EEES9_SI_JZNS1_25segmented_radix_sort_implINS0_14default_configELb0EPKhPhPKlPlN2at6native12_GLOBAL__N_18offset_tEEE10hipError_tPvRmT1_PNSt15iterator_traitsIS12_E10value_typeET2_T3_PNS13_IS18_E10value_typeET4_jRbjT5_S1E_jjP12ihipStream_tbEUljE_ZNSN_ISO_Lb0ESQ_SR_ST_SU_SY_EESZ_S10_S11_S12_S16_S17_S18_S1B_S1C_jS1D_jS1E_S1E_jjS1G_bEUljE0_EEESZ_S10_S11_S18_S1C_S1E_T6_T7_T9_mT8_S1G_bDpT10_ENKUlT_T0_E_clISt17integral_constantIbLb0EES1U_EEDaS1P_S1Q_EUlS1P_E_NS1_11comp_targetILNS1_3genE9ELNS1_11target_archE1100ELNS1_3gpuE3ELNS1_3repE0EEENS1_30default_config_static_selectorELNS0_4arch9wavefront6targetE0EEEvS12_
                                        ; -- End function
	.set _ZN7rocprim17ROCPRIM_400000_NS6detail17trampoline_kernelINS0_13select_configILj256ELj13ELNS0_17block_load_methodE3ELS4_3ELS4_3ELNS0_20block_scan_algorithmE0ELj4294967295EEENS1_25partition_config_selectorILNS1_17partition_subalgoE4EjNS0_10empty_typeEbEEZZNS1_14partition_implILS8_4ELb0ES6_15HIP_vector_typeIjLj2EENS0_17counting_iteratorIjlEEPS9_SG_NS0_5tupleIJPjSI_NS0_16reverse_iteratorISI_EEEEENSH_IJSG_SG_SG_EEES9_SI_JZNS1_25segmented_radix_sort_implINS0_14default_configELb0EPKhPhPKlPlN2at6native12_GLOBAL__N_18offset_tEEE10hipError_tPvRmT1_PNSt15iterator_traitsIS12_E10value_typeET2_T3_PNS13_IS18_E10value_typeET4_jRbjT5_S1E_jjP12ihipStream_tbEUljE_ZNSN_ISO_Lb0ESQ_SR_ST_SU_SY_EESZ_S10_S11_S12_S16_S17_S18_S1B_S1C_jS1D_jS1E_S1E_jjS1G_bEUljE0_EEESZ_S10_S11_S18_S1C_S1E_T6_T7_T9_mT8_S1G_bDpT10_ENKUlT_T0_E_clISt17integral_constantIbLb0EES1U_EEDaS1P_S1Q_EUlS1P_E_NS1_11comp_targetILNS1_3genE9ELNS1_11target_archE1100ELNS1_3gpuE3ELNS1_3repE0EEENS1_30default_config_static_selectorELNS0_4arch9wavefront6targetE0EEEvS12_.num_vgpr, 0
	.set _ZN7rocprim17ROCPRIM_400000_NS6detail17trampoline_kernelINS0_13select_configILj256ELj13ELNS0_17block_load_methodE3ELS4_3ELS4_3ELNS0_20block_scan_algorithmE0ELj4294967295EEENS1_25partition_config_selectorILNS1_17partition_subalgoE4EjNS0_10empty_typeEbEEZZNS1_14partition_implILS8_4ELb0ES6_15HIP_vector_typeIjLj2EENS0_17counting_iteratorIjlEEPS9_SG_NS0_5tupleIJPjSI_NS0_16reverse_iteratorISI_EEEEENSH_IJSG_SG_SG_EEES9_SI_JZNS1_25segmented_radix_sort_implINS0_14default_configELb0EPKhPhPKlPlN2at6native12_GLOBAL__N_18offset_tEEE10hipError_tPvRmT1_PNSt15iterator_traitsIS12_E10value_typeET2_T3_PNS13_IS18_E10value_typeET4_jRbjT5_S1E_jjP12ihipStream_tbEUljE_ZNSN_ISO_Lb0ESQ_SR_ST_SU_SY_EESZ_S10_S11_S12_S16_S17_S18_S1B_S1C_jS1D_jS1E_S1E_jjS1G_bEUljE0_EEESZ_S10_S11_S18_S1C_S1E_T6_T7_T9_mT8_S1G_bDpT10_ENKUlT_T0_E_clISt17integral_constantIbLb0EES1U_EEDaS1P_S1Q_EUlS1P_E_NS1_11comp_targetILNS1_3genE9ELNS1_11target_archE1100ELNS1_3gpuE3ELNS1_3repE0EEENS1_30default_config_static_selectorELNS0_4arch9wavefront6targetE0EEEvS12_.num_agpr, 0
	.set _ZN7rocprim17ROCPRIM_400000_NS6detail17trampoline_kernelINS0_13select_configILj256ELj13ELNS0_17block_load_methodE3ELS4_3ELS4_3ELNS0_20block_scan_algorithmE0ELj4294967295EEENS1_25partition_config_selectorILNS1_17partition_subalgoE4EjNS0_10empty_typeEbEEZZNS1_14partition_implILS8_4ELb0ES6_15HIP_vector_typeIjLj2EENS0_17counting_iteratorIjlEEPS9_SG_NS0_5tupleIJPjSI_NS0_16reverse_iteratorISI_EEEEENSH_IJSG_SG_SG_EEES9_SI_JZNS1_25segmented_radix_sort_implINS0_14default_configELb0EPKhPhPKlPlN2at6native12_GLOBAL__N_18offset_tEEE10hipError_tPvRmT1_PNSt15iterator_traitsIS12_E10value_typeET2_T3_PNS13_IS18_E10value_typeET4_jRbjT5_S1E_jjP12ihipStream_tbEUljE_ZNSN_ISO_Lb0ESQ_SR_ST_SU_SY_EESZ_S10_S11_S12_S16_S17_S18_S1B_S1C_jS1D_jS1E_S1E_jjS1G_bEUljE0_EEESZ_S10_S11_S18_S1C_S1E_T6_T7_T9_mT8_S1G_bDpT10_ENKUlT_T0_E_clISt17integral_constantIbLb0EES1U_EEDaS1P_S1Q_EUlS1P_E_NS1_11comp_targetILNS1_3genE9ELNS1_11target_archE1100ELNS1_3gpuE3ELNS1_3repE0EEENS1_30default_config_static_selectorELNS0_4arch9wavefront6targetE0EEEvS12_.numbered_sgpr, 0
	.set _ZN7rocprim17ROCPRIM_400000_NS6detail17trampoline_kernelINS0_13select_configILj256ELj13ELNS0_17block_load_methodE3ELS4_3ELS4_3ELNS0_20block_scan_algorithmE0ELj4294967295EEENS1_25partition_config_selectorILNS1_17partition_subalgoE4EjNS0_10empty_typeEbEEZZNS1_14partition_implILS8_4ELb0ES6_15HIP_vector_typeIjLj2EENS0_17counting_iteratorIjlEEPS9_SG_NS0_5tupleIJPjSI_NS0_16reverse_iteratorISI_EEEEENSH_IJSG_SG_SG_EEES9_SI_JZNS1_25segmented_radix_sort_implINS0_14default_configELb0EPKhPhPKlPlN2at6native12_GLOBAL__N_18offset_tEEE10hipError_tPvRmT1_PNSt15iterator_traitsIS12_E10value_typeET2_T3_PNS13_IS18_E10value_typeET4_jRbjT5_S1E_jjP12ihipStream_tbEUljE_ZNSN_ISO_Lb0ESQ_SR_ST_SU_SY_EESZ_S10_S11_S12_S16_S17_S18_S1B_S1C_jS1D_jS1E_S1E_jjS1G_bEUljE0_EEESZ_S10_S11_S18_S1C_S1E_T6_T7_T9_mT8_S1G_bDpT10_ENKUlT_T0_E_clISt17integral_constantIbLb0EES1U_EEDaS1P_S1Q_EUlS1P_E_NS1_11comp_targetILNS1_3genE9ELNS1_11target_archE1100ELNS1_3gpuE3ELNS1_3repE0EEENS1_30default_config_static_selectorELNS0_4arch9wavefront6targetE0EEEvS12_.num_named_barrier, 0
	.set _ZN7rocprim17ROCPRIM_400000_NS6detail17trampoline_kernelINS0_13select_configILj256ELj13ELNS0_17block_load_methodE3ELS4_3ELS4_3ELNS0_20block_scan_algorithmE0ELj4294967295EEENS1_25partition_config_selectorILNS1_17partition_subalgoE4EjNS0_10empty_typeEbEEZZNS1_14partition_implILS8_4ELb0ES6_15HIP_vector_typeIjLj2EENS0_17counting_iteratorIjlEEPS9_SG_NS0_5tupleIJPjSI_NS0_16reverse_iteratorISI_EEEEENSH_IJSG_SG_SG_EEES9_SI_JZNS1_25segmented_radix_sort_implINS0_14default_configELb0EPKhPhPKlPlN2at6native12_GLOBAL__N_18offset_tEEE10hipError_tPvRmT1_PNSt15iterator_traitsIS12_E10value_typeET2_T3_PNS13_IS18_E10value_typeET4_jRbjT5_S1E_jjP12ihipStream_tbEUljE_ZNSN_ISO_Lb0ESQ_SR_ST_SU_SY_EESZ_S10_S11_S12_S16_S17_S18_S1B_S1C_jS1D_jS1E_S1E_jjS1G_bEUljE0_EEESZ_S10_S11_S18_S1C_S1E_T6_T7_T9_mT8_S1G_bDpT10_ENKUlT_T0_E_clISt17integral_constantIbLb0EES1U_EEDaS1P_S1Q_EUlS1P_E_NS1_11comp_targetILNS1_3genE9ELNS1_11target_archE1100ELNS1_3gpuE3ELNS1_3repE0EEENS1_30default_config_static_selectorELNS0_4arch9wavefront6targetE0EEEvS12_.private_seg_size, 0
	.set _ZN7rocprim17ROCPRIM_400000_NS6detail17trampoline_kernelINS0_13select_configILj256ELj13ELNS0_17block_load_methodE3ELS4_3ELS4_3ELNS0_20block_scan_algorithmE0ELj4294967295EEENS1_25partition_config_selectorILNS1_17partition_subalgoE4EjNS0_10empty_typeEbEEZZNS1_14partition_implILS8_4ELb0ES6_15HIP_vector_typeIjLj2EENS0_17counting_iteratorIjlEEPS9_SG_NS0_5tupleIJPjSI_NS0_16reverse_iteratorISI_EEEEENSH_IJSG_SG_SG_EEES9_SI_JZNS1_25segmented_radix_sort_implINS0_14default_configELb0EPKhPhPKlPlN2at6native12_GLOBAL__N_18offset_tEEE10hipError_tPvRmT1_PNSt15iterator_traitsIS12_E10value_typeET2_T3_PNS13_IS18_E10value_typeET4_jRbjT5_S1E_jjP12ihipStream_tbEUljE_ZNSN_ISO_Lb0ESQ_SR_ST_SU_SY_EESZ_S10_S11_S12_S16_S17_S18_S1B_S1C_jS1D_jS1E_S1E_jjS1G_bEUljE0_EEESZ_S10_S11_S18_S1C_S1E_T6_T7_T9_mT8_S1G_bDpT10_ENKUlT_T0_E_clISt17integral_constantIbLb0EES1U_EEDaS1P_S1Q_EUlS1P_E_NS1_11comp_targetILNS1_3genE9ELNS1_11target_archE1100ELNS1_3gpuE3ELNS1_3repE0EEENS1_30default_config_static_selectorELNS0_4arch9wavefront6targetE0EEEvS12_.uses_vcc, 0
	.set _ZN7rocprim17ROCPRIM_400000_NS6detail17trampoline_kernelINS0_13select_configILj256ELj13ELNS0_17block_load_methodE3ELS4_3ELS4_3ELNS0_20block_scan_algorithmE0ELj4294967295EEENS1_25partition_config_selectorILNS1_17partition_subalgoE4EjNS0_10empty_typeEbEEZZNS1_14partition_implILS8_4ELb0ES6_15HIP_vector_typeIjLj2EENS0_17counting_iteratorIjlEEPS9_SG_NS0_5tupleIJPjSI_NS0_16reverse_iteratorISI_EEEEENSH_IJSG_SG_SG_EEES9_SI_JZNS1_25segmented_radix_sort_implINS0_14default_configELb0EPKhPhPKlPlN2at6native12_GLOBAL__N_18offset_tEEE10hipError_tPvRmT1_PNSt15iterator_traitsIS12_E10value_typeET2_T3_PNS13_IS18_E10value_typeET4_jRbjT5_S1E_jjP12ihipStream_tbEUljE_ZNSN_ISO_Lb0ESQ_SR_ST_SU_SY_EESZ_S10_S11_S12_S16_S17_S18_S1B_S1C_jS1D_jS1E_S1E_jjS1G_bEUljE0_EEESZ_S10_S11_S18_S1C_S1E_T6_T7_T9_mT8_S1G_bDpT10_ENKUlT_T0_E_clISt17integral_constantIbLb0EES1U_EEDaS1P_S1Q_EUlS1P_E_NS1_11comp_targetILNS1_3genE9ELNS1_11target_archE1100ELNS1_3gpuE3ELNS1_3repE0EEENS1_30default_config_static_selectorELNS0_4arch9wavefront6targetE0EEEvS12_.uses_flat_scratch, 0
	.set _ZN7rocprim17ROCPRIM_400000_NS6detail17trampoline_kernelINS0_13select_configILj256ELj13ELNS0_17block_load_methodE3ELS4_3ELS4_3ELNS0_20block_scan_algorithmE0ELj4294967295EEENS1_25partition_config_selectorILNS1_17partition_subalgoE4EjNS0_10empty_typeEbEEZZNS1_14partition_implILS8_4ELb0ES6_15HIP_vector_typeIjLj2EENS0_17counting_iteratorIjlEEPS9_SG_NS0_5tupleIJPjSI_NS0_16reverse_iteratorISI_EEEEENSH_IJSG_SG_SG_EEES9_SI_JZNS1_25segmented_radix_sort_implINS0_14default_configELb0EPKhPhPKlPlN2at6native12_GLOBAL__N_18offset_tEEE10hipError_tPvRmT1_PNSt15iterator_traitsIS12_E10value_typeET2_T3_PNS13_IS18_E10value_typeET4_jRbjT5_S1E_jjP12ihipStream_tbEUljE_ZNSN_ISO_Lb0ESQ_SR_ST_SU_SY_EESZ_S10_S11_S12_S16_S17_S18_S1B_S1C_jS1D_jS1E_S1E_jjS1G_bEUljE0_EEESZ_S10_S11_S18_S1C_S1E_T6_T7_T9_mT8_S1G_bDpT10_ENKUlT_T0_E_clISt17integral_constantIbLb0EES1U_EEDaS1P_S1Q_EUlS1P_E_NS1_11comp_targetILNS1_3genE9ELNS1_11target_archE1100ELNS1_3gpuE3ELNS1_3repE0EEENS1_30default_config_static_selectorELNS0_4arch9wavefront6targetE0EEEvS12_.has_dyn_sized_stack, 0
	.set _ZN7rocprim17ROCPRIM_400000_NS6detail17trampoline_kernelINS0_13select_configILj256ELj13ELNS0_17block_load_methodE3ELS4_3ELS4_3ELNS0_20block_scan_algorithmE0ELj4294967295EEENS1_25partition_config_selectorILNS1_17partition_subalgoE4EjNS0_10empty_typeEbEEZZNS1_14partition_implILS8_4ELb0ES6_15HIP_vector_typeIjLj2EENS0_17counting_iteratorIjlEEPS9_SG_NS0_5tupleIJPjSI_NS0_16reverse_iteratorISI_EEEEENSH_IJSG_SG_SG_EEES9_SI_JZNS1_25segmented_radix_sort_implINS0_14default_configELb0EPKhPhPKlPlN2at6native12_GLOBAL__N_18offset_tEEE10hipError_tPvRmT1_PNSt15iterator_traitsIS12_E10value_typeET2_T3_PNS13_IS18_E10value_typeET4_jRbjT5_S1E_jjP12ihipStream_tbEUljE_ZNSN_ISO_Lb0ESQ_SR_ST_SU_SY_EESZ_S10_S11_S12_S16_S17_S18_S1B_S1C_jS1D_jS1E_S1E_jjS1G_bEUljE0_EEESZ_S10_S11_S18_S1C_S1E_T6_T7_T9_mT8_S1G_bDpT10_ENKUlT_T0_E_clISt17integral_constantIbLb0EES1U_EEDaS1P_S1Q_EUlS1P_E_NS1_11comp_targetILNS1_3genE9ELNS1_11target_archE1100ELNS1_3gpuE3ELNS1_3repE0EEENS1_30default_config_static_selectorELNS0_4arch9wavefront6targetE0EEEvS12_.has_recursion, 0
	.set _ZN7rocprim17ROCPRIM_400000_NS6detail17trampoline_kernelINS0_13select_configILj256ELj13ELNS0_17block_load_methodE3ELS4_3ELS4_3ELNS0_20block_scan_algorithmE0ELj4294967295EEENS1_25partition_config_selectorILNS1_17partition_subalgoE4EjNS0_10empty_typeEbEEZZNS1_14partition_implILS8_4ELb0ES6_15HIP_vector_typeIjLj2EENS0_17counting_iteratorIjlEEPS9_SG_NS0_5tupleIJPjSI_NS0_16reverse_iteratorISI_EEEEENSH_IJSG_SG_SG_EEES9_SI_JZNS1_25segmented_radix_sort_implINS0_14default_configELb0EPKhPhPKlPlN2at6native12_GLOBAL__N_18offset_tEEE10hipError_tPvRmT1_PNSt15iterator_traitsIS12_E10value_typeET2_T3_PNS13_IS18_E10value_typeET4_jRbjT5_S1E_jjP12ihipStream_tbEUljE_ZNSN_ISO_Lb0ESQ_SR_ST_SU_SY_EESZ_S10_S11_S12_S16_S17_S18_S1B_S1C_jS1D_jS1E_S1E_jjS1G_bEUljE0_EEESZ_S10_S11_S18_S1C_S1E_T6_T7_T9_mT8_S1G_bDpT10_ENKUlT_T0_E_clISt17integral_constantIbLb0EES1U_EEDaS1P_S1Q_EUlS1P_E_NS1_11comp_targetILNS1_3genE9ELNS1_11target_archE1100ELNS1_3gpuE3ELNS1_3repE0EEENS1_30default_config_static_selectorELNS0_4arch9wavefront6targetE0EEEvS12_.has_indirect_call, 0
	.section	.AMDGPU.csdata,"",@progbits
; Kernel info:
; codeLenInByte = 0
; TotalNumSgprs: 0
; NumVgprs: 0
; ScratchSize: 0
; MemoryBound: 0
; FloatMode: 240
; IeeeMode: 1
; LDSByteSize: 0 bytes/workgroup (compile time only)
; SGPRBlocks: 0
; VGPRBlocks: 0
; NumSGPRsForWavesPerEU: 1
; NumVGPRsForWavesPerEU: 1
; Occupancy: 16
; WaveLimiterHint : 0
; COMPUTE_PGM_RSRC2:SCRATCH_EN: 0
; COMPUTE_PGM_RSRC2:USER_SGPR: 6
; COMPUTE_PGM_RSRC2:TRAP_HANDLER: 0
; COMPUTE_PGM_RSRC2:TGID_X_EN: 1
; COMPUTE_PGM_RSRC2:TGID_Y_EN: 0
; COMPUTE_PGM_RSRC2:TGID_Z_EN: 0
; COMPUTE_PGM_RSRC2:TIDIG_COMP_CNT: 0
	.section	.text._ZN7rocprim17ROCPRIM_400000_NS6detail17trampoline_kernelINS0_13select_configILj256ELj13ELNS0_17block_load_methodE3ELS4_3ELS4_3ELNS0_20block_scan_algorithmE0ELj4294967295EEENS1_25partition_config_selectorILNS1_17partition_subalgoE4EjNS0_10empty_typeEbEEZZNS1_14partition_implILS8_4ELb0ES6_15HIP_vector_typeIjLj2EENS0_17counting_iteratorIjlEEPS9_SG_NS0_5tupleIJPjSI_NS0_16reverse_iteratorISI_EEEEENSH_IJSG_SG_SG_EEES9_SI_JZNS1_25segmented_radix_sort_implINS0_14default_configELb0EPKhPhPKlPlN2at6native12_GLOBAL__N_18offset_tEEE10hipError_tPvRmT1_PNSt15iterator_traitsIS12_E10value_typeET2_T3_PNS13_IS18_E10value_typeET4_jRbjT5_S1E_jjP12ihipStream_tbEUljE_ZNSN_ISO_Lb0ESQ_SR_ST_SU_SY_EESZ_S10_S11_S12_S16_S17_S18_S1B_S1C_jS1D_jS1E_S1E_jjS1G_bEUljE0_EEESZ_S10_S11_S18_S1C_S1E_T6_T7_T9_mT8_S1G_bDpT10_ENKUlT_T0_E_clISt17integral_constantIbLb0EES1U_EEDaS1P_S1Q_EUlS1P_E_NS1_11comp_targetILNS1_3genE8ELNS1_11target_archE1030ELNS1_3gpuE2ELNS1_3repE0EEENS1_30default_config_static_selectorELNS0_4arch9wavefront6targetE0EEEvS12_,"axG",@progbits,_ZN7rocprim17ROCPRIM_400000_NS6detail17trampoline_kernelINS0_13select_configILj256ELj13ELNS0_17block_load_methodE3ELS4_3ELS4_3ELNS0_20block_scan_algorithmE0ELj4294967295EEENS1_25partition_config_selectorILNS1_17partition_subalgoE4EjNS0_10empty_typeEbEEZZNS1_14partition_implILS8_4ELb0ES6_15HIP_vector_typeIjLj2EENS0_17counting_iteratorIjlEEPS9_SG_NS0_5tupleIJPjSI_NS0_16reverse_iteratorISI_EEEEENSH_IJSG_SG_SG_EEES9_SI_JZNS1_25segmented_radix_sort_implINS0_14default_configELb0EPKhPhPKlPlN2at6native12_GLOBAL__N_18offset_tEEE10hipError_tPvRmT1_PNSt15iterator_traitsIS12_E10value_typeET2_T3_PNS13_IS18_E10value_typeET4_jRbjT5_S1E_jjP12ihipStream_tbEUljE_ZNSN_ISO_Lb0ESQ_SR_ST_SU_SY_EESZ_S10_S11_S12_S16_S17_S18_S1B_S1C_jS1D_jS1E_S1E_jjS1G_bEUljE0_EEESZ_S10_S11_S18_S1C_S1E_T6_T7_T9_mT8_S1G_bDpT10_ENKUlT_T0_E_clISt17integral_constantIbLb0EES1U_EEDaS1P_S1Q_EUlS1P_E_NS1_11comp_targetILNS1_3genE8ELNS1_11target_archE1030ELNS1_3gpuE2ELNS1_3repE0EEENS1_30default_config_static_selectorELNS0_4arch9wavefront6targetE0EEEvS12_,comdat
	.globl	_ZN7rocprim17ROCPRIM_400000_NS6detail17trampoline_kernelINS0_13select_configILj256ELj13ELNS0_17block_load_methodE3ELS4_3ELS4_3ELNS0_20block_scan_algorithmE0ELj4294967295EEENS1_25partition_config_selectorILNS1_17partition_subalgoE4EjNS0_10empty_typeEbEEZZNS1_14partition_implILS8_4ELb0ES6_15HIP_vector_typeIjLj2EENS0_17counting_iteratorIjlEEPS9_SG_NS0_5tupleIJPjSI_NS0_16reverse_iteratorISI_EEEEENSH_IJSG_SG_SG_EEES9_SI_JZNS1_25segmented_radix_sort_implINS0_14default_configELb0EPKhPhPKlPlN2at6native12_GLOBAL__N_18offset_tEEE10hipError_tPvRmT1_PNSt15iterator_traitsIS12_E10value_typeET2_T3_PNS13_IS18_E10value_typeET4_jRbjT5_S1E_jjP12ihipStream_tbEUljE_ZNSN_ISO_Lb0ESQ_SR_ST_SU_SY_EESZ_S10_S11_S12_S16_S17_S18_S1B_S1C_jS1D_jS1E_S1E_jjS1G_bEUljE0_EEESZ_S10_S11_S18_S1C_S1E_T6_T7_T9_mT8_S1G_bDpT10_ENKUlT_T0_E_clISt17integral_constantIbLb0EES1U_EEDaS1P_S1Q_EUlS1P_E_NS1_11comp_targetILNS1_3genE8ELNS1_11target_archE1030ELNS1_3gpuE2ELNS1_3repE0EEENS1_30default_config_static_selectorELNS0_4arch9wavefront6targetE0EEEvS12_ ; -- Begin function _ZN7rocprim17ROCPRIM_400000_NS6detail17trampoline_kernelINS0_13select_configILj256ELj13ELNS0_17block_load_methodE3ELS4_3ELS4_3ELNS0_20block_scan_algorithmE0ELj4294967295EEENS1_25partition_config_selectorILNS1_17partition_subalgoE4EjNS0_10empty_typeEbEEZZNS1_14partition_implILS8_4ELb0ES6_15HIP_vector_typeIjLj2EENS0_17counting_iteratorIjlEEPS9_SG_NS0_5tupleIJPjSI_NS0_16reverse_iteratorISI_EEEEENSH_IJSG_SG_SG_EEES9_SI_JZNS1_25segmented_radix_sort_implINS0_14default_configELb0EPKhPhPKlPlN2at6native12_GLOBAL__N_18offset_tEEE10hipError_tPvRmT1_PNSt15iterator_traitsIS12_E10value_typeET2_T3_PNS13_IS18_E10value_typeET4_jRbjT5_S1E_jjP12ihipStream_tbEUljE_ZNSN_ISO_Lb0ESQ_SR_ST_SU_SY_EESZ_S10_S11_S12_S16_S17_S18_S1B_S1C_jS1D_jS1E_S1E_jjS1G_bEUljE0_EEESZ_S10_S11_S18_S1C_S1E_T6_T7_T9_mT8_S1G_bDpT10_ENKUlT_T0_E_clISt17integral_constantIbLb0EES1U_EEDaS1P_S1Q_EUlS1P_E_NS1_11comp_targetILNS1_3genE8ELNS1_11target_archE1030ELNS1_3gpuE2ELNS1_3repE0EEENS1_30default_config_static_selectorELNS0_4arch9wavefront6targetE0EEEvS12_
	.p2align	8
	.type	_ZN7rocprim17ROCPRIM_400000_NS6detail17trampoline_kernelINS0_13select_configILj256ELj13ELNS0_17block_load_methodE3ELS4_3ELS4_3ELNS0_20block_scan_algorithmE0ELj4294967295EEENS1_25partition_config_selectorILNS1_17partition_subalgoE4EjNS0_10empty_typeEbEEZZNS1_14partition_implILS8_4ELb0ES6_15HIP_vector_typeIjLj2EENS0_17counting_iteratorIjlEEPS9_SG_NS0_5tupleIJPjSI_NS0_16reverse_iteratorISI_EEEEENSH_IJSG_SG_SG_EEES9_SI_JZNS1_25segmented_radix_sort_implINS0_14default_configELb0EPKhPhPKlPlN2at6native12_GLOBAL__N_18offset_tEEE10hipError_tPvRmT1_PNSt15iterator_traitsIS12_E10value_typeET2_T3_PNS13_IS18_E10value_typeET4_jRbjT5_S1E_jjP12ihipStream_tbEUljE_ZNSN_ISO_Lb0ESQ_SR_ST_SU_SY_EESZ_S10_S11_S12_S16_S17_S18_S1B_S1C_jS1D_jS1E_S1E_jjS1G_bEUljE0_EEESZ_S10_S11_S18_S1C_S1E_T6_T7_T9_mT8_S1G_bDpT10_ENKUlT_T0_E_clISt17integral_constantIbLb0EES1U_EEDaS1P_S1Q_EUlS1P_E_NS1_11comp_targetILNS1_3genE8ELNS1_11target_archE1030ELNS1_3gpuE2ELNS1_3repE0EEENS1_30default_config_static_selectorELNS0_4arch9wavefront6targetE0EEEvS12_,@function
_ZN7rocprim17ROCPRIM_400000_NS6detail17trampoline_kernelINS0_13select_configILj256ELj13ELNS0_17block_load_methodE3ELS4_3ELS4_3ELNS0_20block_scan_algorithmE0ELj4294967295EEENS1_25partition_config_selectorILNS1_17partition_subalgoE4EjNS0_10empty_typeEbEEZZNS1_14partition_implILS8_4ELb0ES6_15HIP_vector_typeIjLj2EENS0_17counting_iteratorIjlEEPS9_SG_NS0_5tupleIJPjSI_NS0_16reverse_iteratorISI_EEEEENSH_IJSG_SG_SG_EEES9_SI_JZNS1_25segmented_radix_sort_implINS0_14default_configELb0EPKhPhPKlPlN2at6native12_GLOBAL__N_18offset_tEEE10hipError_tPvRmT1_PNSt15iterator_traitsIS12_E10value_typeET2_T3_PNS13_IS18_E10value_typeET4_jRbjT5_S1E_jjP12ihipStream_tbEUljE_ZNSN_ISO_Lb0ESQ_SR_ST_SU_SY_EESZ_S10_S11_S12_S16_S17_S18_S1B_S1C_jS1D_jS1E_S1E_jjS1G_bEUljE0_EEESZ_S10_S11_S18_S1C_S1E_T6_T7_T9_mT8_S1G_bDpT10_ENKUlT_T0_E_clISt17integral_constantIbLb0EES1U_EEDaS1P_S1Q_EUlS1P_E_NS1_11comp_targetILNS1_3genE8ELNS1_11target_archE1030ELNS1_3gpuE2ELNS1_3repE0EEENS1_30default_config_static_selectorELNS0_4arch9wavefront6targetE0EEEvS12_: ; @_ZN7rocprim17ROCPRIM_400000_NS6detail17trampoline_kernelINS0_13select_configILj256ELj13ELNS0_17block_load_methodE3ELS4_3ELS4_3ELNS0_20block_scan_algorithmE0ELj4294967295EEENS1_25partition_config_selectorILNS1_17partition_subalgoE4EjNS0_10empty_typeEbEEZZNS1_14partition_implILS8_4ELb0ES6_15HIP_vector_typeIjLj2EENS0_17counting_iteratorIjlEEPS9_SG_NS0_5tupleIJPjSI_NS0_16reverse_iteratorISI_EEEEENSH_IJSG_SG_SG_EEES9_SI_JZNS1_25segmented_radix_sort_implINS0_14default_configELb0EPKhPhPKlPlN2at6native12_GLOBAL__N_18offset_tEEE10hipError_tPvRmT1_PNSt15iterator_traitsIS12_E10value_typeET2_T3_PNS13_IS18_E10value_typeET4_jRbjT5_S1E_jjP12ihipStream_tbEUljE_ZNSN_ISO_Lb0ESQ_SR_ST_SU_SY_EESZ_S10_S11_S12_S16_S17_S18_S1B_S1C_jS1D_jS1E_S1E_jjS1G_bEUljE0_EEESZ_S10_S11_S18_S1C_S1E_T6_T7_T9_mT8_S1G_bDpT10_ENKUlT_T0_E_clISt17integral_constantIbLb0EES1U_EEDaS1P_S1Q_EUlS1P_E_NS1_11comp_targetILNS1_3genE8ELNS1_11target_archE1030ELNS1_3gpuE2ELNS1_3repE0EEENS1_30default_config_static_selectorELNS0_4arch9wavefront6targetE0EEEvS12_
; %bb.0:
	s_clause 0x6
	s_load_dword s3, s[4:5], 0x80
	s_load_dwordx2 s[34:35], s[4:5], 0x10
	s_load_dwordx2 s[0:1], s[4:5], 0x68
	s_load_dword s7, s[4:5], 0x8
	s_load_dwordx4 s[24:27], s[4:5], 0x58
	s_load_dwordx2 s[40:41], s[4:5], 0xa8
	s_load_dwordx8 s[16:23], s[4:5], 0x88
	s_mul_i32 s42, s6, 0xd00
	s_waitcnt lgkmcnt(0)
	s_mul_i32 s2, s3, 0xd00
	s_add_i32 s3, s3, -1
	s_add_u32 s8, s34, s2
	s_addc_u32 s9, s35, 0
	s_load_dwordx4 s[28:31], s[26:27], 0x0
	s_cmp_eq_u32 s6, s3
	v_cmp_gt_u64_e64 s1, s[0:1], s[8:9]
	s_cselect_b32 s33, -1, 0
	s_cmp_lg_u32 s6, s3
	s_cselect_b32 s3, -1, 0
	s_add_i32 s7, s7, s42
	s_or_b32 s1, s3, s1
	s_add_i32 s7, s7, s34
	s_and_b32 vcc_lo, exec_lo, s1
	v_add_nc_u32_e32 v1, s7, v0
	s_mov_b32 s3, -1
	v_add_nc_u32_e32 v2, 0x100, v1
	v_add_nc_u32_e32 v3, 0x200, v1
	;; [unrolled: 1-line block ×12, first 2 shown]
	s_cbranch_vccz .LBB128_2
; %bb.1:
	v_lshlrev_b32_e32 v14, 2, v0
	s_mov_b32 s3, 0
	ds_write2st64_b32 v14, v1, v2 offset1:4
	ds_write2st64_b32 v14, v3, v4 offset0:8 offset1:12
	ds_write2st64_b32 v14, v5, v6 offset0:16 offset1:20
	;; [unrolled: 1-line block ×5, first 2 shown]
	ds_write_b32 v14, v13 offset:12288
	s_waitcnt lgkmcnt(0)
	s_barrier
.LBB128_2:
	s_andn2_b32 vcc_lo, exec_lo, s3
	s_add_i32 s2, s2, s34
	s_cbranch_vccnz .LBB128_4
; %bb.3:
	v_lshlrev_b32_e32 v14, 2, v0
	ds_write2st64_b32 v14, v1, v2 offset1:4
	ds_write2st64_b32 v14, v3, v4 offset0:8 offset1:12
	ds_write2st64_b32 v14, v5, v6 offset0:16 offset1:20
	;; [unrolled: 1-line block ×5, first 2 shown]
	ds_write_b32 v14, v13 offset:12288
	s_waitcnt lgkmcnt(0)
	s_barrier
.LBB128_4:
	v_mul_u32_u24_e32 v29, 13, v0
	s_clause 0x1
	s_load_dwordx4 s[36:39], s[4:5], 0x28
	s_load_dwordx2 s[26:27], s[4:5], 0x38
	s_waitcnt lgkmcnt(0)
	buffer_gl0_inv
	v_cndmask_b32_e64 v27, 0, 1, s1
	s_sub_i32 s43, s0, s2
	v_lshlrev_b32_e32 v1, 2, v29
	s_andn2_b32 vcc_lo, exec_lo, s1
	ds_read_b32 v28, v1 offset:48
	ds_read2_b32 v[9:10], v1 offset0:10 offset1:11
	ds_read2_b32 v[11:12], v1 offset0:8 offset1:9
	;; [unrolled: 1-line block ×4, first 2 shown]
	ds_read2_b32 v[19:20], v1 offset1:1
	ds_read2_b32 v[17:18], v1 offset0:2 offset1:3
	s_waitcnt lgkmcnt(0)
	s_barrier
	buffer_gl0_inv
	s_cbranch_vccnz .LBB128_32
; %bb.5:
	v_add_nc_u32_e32 v1, s17, v19
	v_add_nc_u32_e32 v2, s19, v19
	s_mov_b32 s45, 0
	s_mov_b32 s44, 0
	s_mov_b32 s1, exec_lo
	v_mul_lo_u32 v1, v1, s16
	v_mul_lo_u32 v2, v2, s18
	v_sub_nc_u32_e32 v1, v1, v2
	v_cmp_lt_u32_e32 vcc_lo, s20, v1
	v_cmpx_ge_u32_e64 s20, v1
	s_cbranch_execz .LBB128_7
; %bb.6:
	v_add_nc_u32_e32 v1, s22, v19
	v_add_nc_u32_e32 v2, s40, v19
	v_mul_lo_u32 v1, v1, s21
	v_mul_lo_u32 v2, v2, s23
	v_sub_nc_u32_e32 v1, v1, v2
	v_cmp_lt_u32_e64 s0, s41, v1
	s_and_b32 s44, s0, exec_lo
.LBB128_7:
	s_or_b32 exec_lo, exec_lo, s1
	v_add_nc_u32_e32 v1, s17, v20
	v_add_nc_u32_e32 v2, s19, v20
	s_mov_b32 s2, exec_lo
	v_mul_lo_u32 v1, v1, s16
	v_mul_lo_u32 v2, v2, s18
	v_sub_nc_u32_e32 v1, v1, v2
	v_cmp_lt_u32_e64 s0, s20, v1
	v_cmpx_ge_u32_e64 s20, v1
	s_cbranch_execz .LBB128_9
; %bb.8:
	v_add_nc_u32_e32 v1, s22, v20
	v_add_nc_u32_e32 v2, s40, v20
	v_mul_lo_u32 v1, v1, s21
	v_mul_lo_u32 v2, v2, s23
	v_sub_nc_u32_e32 v1, v1, v2
	v_cmp_lt_u32_e64 s1, s41, v1
	s_and_b32 s45, s1, exec_lo
.LBB128_9:
	s_or_b32 exec_lo, exec_lo, s2
	v_add_nc_u32_e32 v1, s17, v17
	v_add_nc_u32_e32 v2, s19, v17
	s_mov_b32 s47, 0
	s_mov_b32 s46, 0
	s_mov_b32 s3, exec_lo
	v_mul_lo_u32 v1, v1, s16
	v_mul_lo_u32 v2, v2, s18
	v_sub_nc_u32_e32 v1, v1, v2
	v_cmp_lt_u32_e64 s1, s20, v1
	v_cmpx_ge_u32_e64 s20, v1
	s_cbranch_execz .LBB128_11
; %bb.10:
	v_add_nc_u32_e32 v1, s22, v17
	v_add_nc_u32_e32 v2, s40, v17
	v_mul_lo_u32 v1, v1, s21
	v_mul_lo_u32 v2, v2, s23
	v_sub_nc_u32_e32 v1, v1, v2
	v_cmp_lt_u32_e64 s2, s41, v1
	s_and_b32 s46, s2, exec_lo
.LBB128_11:
	s_or_b32 exec_lo, exec_lo, s3
	v_add_nc_u32_e32 v1, s17, v18
	v_add_nc_u32_e32 v2, s19, v18
	s_mov_b32 s7, exec_lo
	v_mul_lo_u32 v1, v1, s16
	v_mul_lo_u32 v2, v2, s18
	v_sub_nc_u32_e32 v1, v1, v2
	v_cmp_lt_u32_e64 s2, s20, v1
	v_cmpx_ge_u32_e64 s20, v1
	s_cbranch_execz .LBB128_13
; %bb.12:
	v_add_nc_u32_e32 v1, s22, v18
	v_add_nc_u32_e32 v2, s40, v18
	v_mul_lo_u32 v1, v1, s21
	v_mul_lo_u32 v2, v2, s23
	v_sub_nc_u32_e32 v1, v1, v2
	v_cmp_lt_u32_e64 s3, s41, v1
	s_and_b32 s47, s3, exec_lo
.LBB128_13:
	s_or_b32 exec_lo, exec_lo, s7
	v_add_nc_u32_e32 v1, s17, v15
	v_add_nc_u32_e32 v2, s19, v15
	s_mov_b32 s49, 0
	s_mov_b32 s48, 0
	s_mov_b32 s8, exec_lo
	v_mul_lo_u32 v1, v1, s16
	v_mul_lo_u32 v2, v2, s18
	v_sub_nc_u32_e32 v1, v1, v2
	v_cmp_lt_u32_e64 s3, s20, v1
	v_cmpx_ge_u32_e64 s20, v1
	s_cbranch_execz .LBB128_15
; %bb.14:
	v_add_nc_u32_e32 v1, s22, v15
	v_add_nc_u32_e32 v2, s40, v15
	v_mul_lo_u32 v1, v1, s21
	v_mul_lo_u32 v2, v2, s23
	v_sub_nc_u32_e32 v1, v1, v2
	v_cmp_lt_u32_e64 s7, s41, v1
	s_and_b32 s48, s7, exec_lo
.LBB128_15:
	s_or_b32 exec_lo, exec_lo, s8
	v_add_nc_u32_e32 v1, s17, v16
	v_add_nc_u32_e32 v2, s19, v16
	s_mov_b32 s9, exec_lo
	v_mul_lo_u32 v1, v1, s16
	v_mul_lo_u32 v2, v2, s18
	v_sub_nc_u32_e32 v1, v1, v2
	v_cmp_lt_u32_e64 s7, s20, v1
	v_cmpx_ge_u32_e64 s20, v1
	s_cbranch_execz .LBB128_17
; %bb.16:
	v_add_nc_u32_e32 v1, s22, v16
	v_add_nc_u32_e32 v2, s40, v16
	v_mul_lo_u32 v1, v1, s21
	v_mul_lo_u32 v2, v2, s23
	v_sub_nc_u32_e32 v1, v1, v2
	v_cmp_lt_u32_e64 s8, s41, v1
	s_and_b32 s49, s8, exec_lo
.LBB128_17:
	s_or_b32 exec_lo, exec_lo, s9
	v_add_nc_u32_e32 v1, s17, v13
	v_add_nc_u32_e32 v2, s19, v13
	s_mov_b32 s51, 0
	s_mov_b32 s50, 0
	s_mov_b32 s10, exec_lo
	v_mul_lo_u32 v1, v1, s16
	v_mul_lo_u32 v2, v2, s18
	v_sub_nc_u32_e32 v1, v1, v2
	v_cmp_lt_u32_e64 s8, s20, v1
	v_cmpx_ge_u32_e64 s20, v1
	s_cbranch_execz .LBB128_19
; %bb.18:
	v_add_nc_u32_e32 v1, s22, v13
	v_add_nc_u32_e32 v2, s40, v13
	v_mul_lo_u32 v1, v1, s21
	v_mul_lo_u32 v2, v2, s23
	v_sub_nc_u32_e32 v1, v1, v2
	v_cmp_lt_u32_e64 s9, s41, v1
	s_and_b32 s50, s9, exec_lo
.LBB128_19:
	s_or_b32 exec_lo, exec_lo, s10
	v_add_nc_u32_e32 v1, s17, v14
	v_add_nc_u32_e32 v2, s19, v14
	s_mov_b32 s11, exec_lo
	v_mul_lo_u32 v1, v1, s16
	v_mul_lo_u32 v2, v2, s18
	v_sub_nc_u32_e32 v1, v1, v2
	v_cmp_lt_u32_e64 s9, s20, v1
	v_cmpx_ge_u32_e64 s20, v1
	s_cbranch_execz .LBB128_21
; %bb.20:
	v_add_nc_u32_e32 v1, s22, v14
	v_add_nc_u32_e32 v2, s40, v14
	v_mul_lo_u32 v1, v1, s21
	v_mul_lo_u32 v2, v2, s23
	v_sub_nc_u32_e32 v1, v1, v2
	v_cmp_lt_u32_e64 s10, s41, v1
	s_and_b32 s51, s10, exec_lo
.LBB128_21:
	s_or_b32 exec_lo, exec_lo, s11
	v_add_nc_u32_e32 v1, s17, v11
	v_add_nc_u32_e32 v2, s19, v11
	s_mov_b32 s53, 0
	s_mov_b32 s52, 0
	s_mov_b32 s12, exec_lo
	v_mul_lo_u32 v1, v1, s16
	v_mul_lo_u32 v2, v2, s18
	v_sub_nc_u32_e32 v1, v1, v2
	v_cmp_lt_u32_e64 s10, s20, v1
	v_cmpx_ge_u32_e64 s20, v1
	s_cbranch_execz .LBB128_23
; %bb.22:
	v_add_nc_u32_e32 v1, s22, v11
	v_add_nc_u32_e32 v2, s40, v11
	v_mul_lo_u32 v1, v1, s21
	v_mul_lo_u32 v2, v2, s23
	v_sub_nc_u32_e32 v1, v1, v2
	v_cmp_lt_u32_e64 s11, s41, v1
	s_and_b32 s52, s11, exec_lo
.LBB128_23:
	s_or_b32 exec_lo, exec_lo, s12
	v_add_nc_u32_e32 v1, s17, v12
	v_add_nc_u32_e32 v2, s19, v12
	s_mov_b32 s13, exec_lo
	v_mul_lo_u32 v1, v1, s16
	v_mul_lo_u32 v2, v2, s18
	v_sub_nc_u32_e32 v1, v1, v2
	v_cmp_lt_u32_e64 s11, s20, v1
	v_cmpx_ge_u32_e64 s20, v1
	s_cbranch_execz .LBB128_25
; %bb.24:
	v_add_nc_u32_e32 v1, s22, v12
	v_add_nc_u32_e32 v2, s40, v12
	v_mul_lo_u32 v1, v1, s21
	v_mul_lo_u32 v2, v2, s23
	v_sub_nc_u32_e32 v1, v1, v2
	v_cmp_lt_u32_e64 s12, s41, v1
	s_and_b32 s53, s12, exec_lo
.LBB128_25:
	s_or_b32 exec_lo, exec_lo, s13
	v_add_nc_u32_e32 v1, s17, v9
	v_add_nc_u32_e32 v2, s19, v9
	s_mov_b32 s55, 0
	s_mov_b32 s56, 0
	s_mov_b32 s14, exec_lo
	v_mul_lo_u32 v1, v1, s16
	v_mul_lo_u32 v2, v2, s18
	v_sub_nc_u32_e32 v1, v1, v2
	v_cmp_lt_u32_e64 s12, s20, v1
	v_cmpx_ge_u32_e64 s20, v1
	s_cbranch_execz .LBB128_27
; %bb.26:
	v_add_nc_u32_e32 v1, s22, v9
	v_add_nc_u32_e32 v2, s40, v9
	v_mul_lo_u32 v1, v1, s21
	v_mul_lo_u32 v2, v2, s23
	v_sub_nc_u32_e32 v1, v1, v2
	v_cmp_lt_u32_e64 s13, s41, v1
	s_and_b32 s56, s13, exec_lo
.LBB128_27:
	s_or_b32 exec_lo, exec_lo, s14
	v_add_nc_u32_e32 v1, s17, v10
	v_add_nc_u32_e32 v2, s19, v10
	s_mov_b32 s15, exec_lo
	v_mul_lo_u32 v1, v1, s16
	v_mul_lo_u32 v2, v2, s18
	v_sub_nc_u32_e32 v1, v1, v2
	v_cmp_lt_u32_e64 s13, s20, v1
	v_cmpx_ge_u32_e64 s20, v1
	s_cbranch_execz .LBB128_29
; %bb.28:
	v_add_nc_u32_e32 v1, s22, v10
	v_add_nc_u32_e32 v2, s40, v10
	v_mul_lo_u32 v1, v1, s21
	v_mul_lo_u32 v2, v2, s23
	v_sub_nc_u32_e32 v1, v1, v2
	v_cmp_lt_u32_e64 s14, s41, v1
	s_and_b32 s55, s14, exec_lo
.LBB128_29:
	s_or_b32 exec_lo, exec_lo, s15
	v_add_nc_u32_e32 v1, s17, v28
	v_add_nc_u32_e32 v2, s19, v28
	s_mov_b32 s54, 0
	s_mov_b32 s57, 0
	s_mov_b32 s58, exec_lo
	v_mul_lo_u32 v1, v1, s16
	v_mul_lo_u32 v2, v2, s18
	v_sub_nc_u32_e32 v1, v1, v2
	v_cmp_lt_u32_e64 s14, s20, v1
	v_cmpx_ge_u32_e64 s20, v1
	s_cbranch_execz .LBB128_31
; %bb.30:
	v_add_nc_u32_e32 v1, s22, v28
	v_add_nc_u32_e32 v2, s40, v28
	v_mul_lo_u32 v1, v1, s21
	v_mul_lo_u32 v2, v2, s23
	v_sub_nc_u32_e32 v1, v1, v2
	v_cmp_lt_u32_e64 s15, s41, v1
	s_and_b32 s57, s15, exec_lo
.LBB128_31:
	s_or_b32 exec_lo, exec_lo, s58
	v_cndmask_b32_e64 v2, 0, 1, s0
	v_cndmask_b32_e64 v4, 0, 1, s2
	v_cndmask_b32_e64 v1, 0, 1, vcc_lo
	v_cndmask_b32_e64 v3, 0, 1, s1
	v_cndmask_b32_e64 v6, 0, 1, s7
	v_lshlrev_b16 v2, 8, v2
	v_lshlrev_b16 v4, 8, v4
	v_cndmask_b32_e64 v8, 0, 1, s9
	v_cndmask_b32_e64 v22, 0, 1, s11
	;; [unrolled: 1-line block ×3, first 2 shown]
	v_or_b32_e32 v1, v1, v2
	v_or_b32_sdwa v2, v3, v4 dst_sel:WORD_1 dst_unused:UNUSED_PAD src0_sel:DWORD src1_sel:DWORD
	v_cndmask_b32_e64 v3, 0, 1, s44
	v_cndmask_b32_e64 v5, 0, 1, s3
	;; [unrolled: 1-line block ×11, first 2 shown]
	v_or_b32_sdwa v30, v1, v2 dst_sel:DWORD dst_unused:UNUSED_PAD src0_sel:WORD_0 src1_sel:DWORD
	v_lshlrev_b16 v1, 8, v6
	v_lshlrev_b16 v2, 8, v8
	;; [unrolled: 1-line block ×5, first 2 shown]
	v_cndmask_b32_e64 v26, 0, 1, s53
	v_cndmask_b32_e64 v32, 0, 1, s51
	;; [unrolled: 1-line block ×5, first 2 shown]
	v_or_b32_e32 v1, v5, v1
	v_or_b32_sdwa v2, v7, v2 dst_sel:WORD_1 dst_unused:UNUSED_PAD src0_sel:DWORD src1_sel:DWORD
	v_or_b32_e32 v5, v21, v6
	v_or_b32_sdwa v6, v23, v8 dst_sel:WORD_1 dst_unused:UNUSED_PAD src0_sel:DWORD src1_sel:DWORD
	v_or_b32_e32 v3, v4, v3
	v_lshlrev_b16 v4, 8, v39
	v_lshlrev_b16 v7, 8, v36
	;; [unrolled: 1-line block ×5, first 2 shown]
	v_or_b32_sdwa v4, v40, v4 dst_sel:WORD_1 dst_unused:UNUSED_PAD src0_sel:DWORD src1_sel:DWORD
	v_or_b32_e32 v7, v38, v7
	v_or_b32_sdwa v8, v35, v8 dst_sel:WORD_1 dst_unused:UNUSED_PAD src0_sel:DWORD src1_sel:DWORD
	v_or_b32_e32 v21, v32, v21
	v_or_b32_sdwa v22, v26, v22 dst_sel:WORD_1 dst_unused:UNUSED_PAD src0_sel:DWORD src1_sel:DWORD
	v_cndmask_b32_e64 v34, 0, 1, s55
	v_cndmask_b32_e64 v37, 0, 1, s57
	v_or_b32_sdwa v32, v1, v2 dst_sel:DWORD dst_unused:UNUSED_PAD src0_sel:WORD_0 src1_sel:DWORD
	v_or_b32_sdwa v35, v5, v6 dst_sel:DWORD dst_unused:UNUSED_PAD src0_sel:WORD_0 src1_sel:DWORD
	;; [unrolled: 1-line block ×5, first 2 shown]
	s_load_dwordx2 s[4:5], s[4:5], 0x78
	s_and_b32 vcc_lo, exec_lo, s54
	s_add_i32 s7, s43, 0xd00
	s_cbranch_vccnz .LBB128_33
	s_branch .LBB128_110
.LBB128_32:
                                        ; implicit-def: $vgpr37
                                        ; implicit-def: $vgpr34
                                        ; implicit-def: $vgpr33
                                        ; implicit-def: $vgpr31
                                        ; implicit-def: $vgpr36
                                        ; implicit-def: $vgpr35
                                        ; implicit-def: $vgpr32
                                        ; implicit-def: $vgpr30
	s_load_dwordx2 s[4:5], s[4:5], 0x78
	s_add_i32 s7, s43, 0xd00
	s_cbranch_execz .LBB128_110
.LBB128_33:
	v_mov_b32_e32 v2, 0
	v_mov_b32_e32 v1, 0
	s_mov_b32 s1, exec_lo
	v_cmpx_gt_u32_e64 s7, v29
	s_cbranch_execz .LBB128_37
; %bb.34:
	v_add_nc_u32_e32 v1, s17, v19
	v_add_nc_u32_e32 v2, s19, v19
	s_mov_b32 s3, 0
	s_mov_b32 s2, exec_lo
	v_mul_lo_u32 v1, v1, s16
	v_mul_lo_u32 v2, v2, s18
	v_sub_nc_u32_e32 v1, v1, v2
	v_cmp_lt_u32_e32 vcc_lo, s20, v1
	v_cmpx_ge_u32_e64 s20, v1
	s_cbranch_execz .LBB128_36
; %bb.35:
	v_add_nc_u32_e32 v1, s22, v19
	v_add_nc_u32_e32 v2, s40, v19
	v_mul_lo_u32 v1, v1, s21
	v_mul_lo_u32 v2, v2, s23
	v_sub_nc_u32_e32 v1, v1, v2
	v_cmp_lt_u32_e64 s0, s41, v1
	s_and_b32 s3, s0, exec_lo
.LBB128_36:
	s_or_b32 exec_lo, exec_lo, s2
	v_cndmask_b32_e64 v2, 0, 1, s3
	v_cndmask_b32_e64 v1, 0, 1, vcc_lo
.LBB128_37:
	s_or_b32 exec_lo, exec_lo, s1
	v_add_nc_u32_e32 v3, 1, v29
	v_lshlrev_b16 v21, 8, v2
	v_and_b32_e32 v6, 0xff, v1
	v_lshlrev_b16 v7, 8, 0
                                        ; implicit-def: $vgpr5
                                        ; implicit-def: $vgpr8
                                        ; implicit-def: $vgpr2
                                        ; implicit-def: $vgpr4
	v_cmp_le_u32_e32 vcc_lo, s7, v3
                                        ; implicit-def: $vgpr3
	s_and_saveexec_b32 s0, vcc_lo
	s_xor_b32 s0, exec_lo, s0
	s_cbranch_execz .LBB128_39
; %bb.38:
	v_mov_b32_e32 v1, 8
	v_mov_b32_e32 v2, 0xff
	;; [unrolled: 1-line block ×3, first 2 shown]
	v_and_b32_e32 v4, 0xffff, v7
	v_and_b32_e32 v3, 0xffff, v7
	v_lshrrev_b32_sdwa v1, v1, v21 dst_sel:BYTE_1 dst_unused:UNUSED_PAD src0_sel:DWORD src1_sel:WORD_0
	v_and_b32_sdwa v2, v21, v2 dst_sel:DWORD dst_unused:UNUSED_PAD src0_sel:WORD_0 src1_sel:DWORD
                                        ; implicit-def: $vgpr21
	v_or_b32_e32 v1, v2, v1
	v_and_b32_e32 v2, 0xffff, v7
                                        ; implicit-def: $vgpr7
	v_and_b32_e32 v8, 0xffff, v1
                                        ; implicit-def: $vgpr1
.LBB128_39:
	s_andn2_saveexec_b32 s1, s0
	s_cbranch_execz .LBB128_43
; %bb.40:
	v_add_nc_u32_e32 v2, s17, v20
	v_add_nc_u32_e32 v3, s19, v20
	s_mov_b32 s2, 0
	s_mov_b32 s3, exec_lo
	v_mul_lo_u32 v2, v2, s16
	v_mul_lo_u32 v3, v3, s18
	v_sub_nc_u32_e32 v2, v2, v3
	v_cmp_lt_u32_e32 vcc_lo, s20, v2
	v_cmpx_ge_u32_e64 s20, v2
	s_cbranch_execz .LBB128_42
; %bb.41:
	v_add_nc_u32_e32 v2, s22, v20
	v_add_nc_u32_e32 v3, s40, v20
	v_mul_lo_u32 v2, v2, s21
	v_mul_lo_u32 v3, v3, s23
	v_sub_nc_u32_e32 v2, v2, v3
	v_cmp_lt_u32_e64 s0, s41, v2
	s_and_b32 s2, s0, exec_lo
.LBB128_42:
	s_or_b32 exec_lo, exec_lo, s3
	v_mov_b32_e32 v2, 0xff
	v_mov_b32_e32 v3, 8
	v_cndmask_b32_e64 v4, 0, 1, vcc_lo
	v_mov_b32_e32 v5, 0
	v_and_b32_sdwa v2, v21, v2 dst_sel:DWORD dst_unused:UNUSED_PAD src0_sel:WORD_0 src1_sel:DWORD
	v_lshrrev_b32_sdwa v3, v3, v21 dst_sel:BYTE_1 dst_unused:UNUSED_PAD src0_sel:DWORD src1_sel:WORD_0
	v_lshlrev_b16 v4, 8, v4
	v_or_b32_e32 v2, v2, v3
	v_cndmask_b32_e64 v3, 0, 1, s2
	v_or_b32_sdwa v1, v1, v4 dst_sel:DWORD dst_unused:UNUSED_PAD src0_sel:BYTE_0 src1_sel:DWORD
	v_and_b32_e32 v4, 0xffff, v7
	v_and_b32_e32 v8, 0xffff, v2
	v_mov_b32_e32 v2, 0
	v_and_b32_e32 v6, 0xffff, v1
	v_lshl_or_b32 v8, v3, 16, v8
	v_and_b32_e32 v3, 0xffff, v7
.LBB128_43:
	s_or_b32 exec_lo, exec_lo, s1
	v_add_nc_u32_e32 v1, 2, v29
                                        ; implicit-def: $vgpr7
	v_cmp_le_u32_e32 vcc_lo, s7, v1
                                        ; implicit-def: $vgpr1
	s_and_saveexec_b32 s0, vcc_lo
	s_xor_b32 s0, exec_lo, s0
	s_cbranch_execz .LBB128_45
; %bb.44:
	v_lshrrev_b32_e32 v1, 24, v6
	v_mov_b32_e32 v7, 8
	v_and_b32_e32 v21, 0xff0000, v8
	v_perm_b32 v4, v4, v4, 0x3060504
	v_perm_b32 v1, v1, v6, 0x40c0100
	v_lshrrev_b32_sdwa v6, v7, v1 dst_sel:BYTE_1 dst_unused:UNUSED_PAD src0_sel:DWORD src1_sel:DWORD
	v_or_b32_sdwa v6, v1, v6 dst_sel:DWORD dst_unused:UNUSED_PAD src0_sel:BYTE_0 src1_sel:DWORD
	v_and_b32_e32 v6, 0xffff, v6
	v_and_or_b32 v7, 0xff000000, v1, v6
	v_perm_b32 v1, v8, v21, 0x3020504
                                        ; implicit-def: $vgpr6
                                        ; implicit-def: $vgpr8
.LBB128_45:
	s_andn2_saveexec_b32 s1, s0
	s_cbranch_execz .LBB128_49
; %bb.46:
	v_add_nc_u32_e32 v1, s17, v17
	v_add_nc_u32_e32 v7, s19, v17
	s_mov_b32 s2, 0
	s_mov_b32 s3, exec_lo
	v_mul_lo_u32 v1, v1, s16
	v_mul_lo_u32 v7, v7, s18
	v_sub_nc_u32_e32 v1, v1, v7
	v_cmp_lt_u32_e32 vcc_lo, s20, v1
	v_cmpx_ge_u32_e64 s20, v1
	s_cbranch_execz .LBB128_48
; %bb.47:
	v_add_nc_u32_e32 v1, s22, v17
	v_add_nc_u32_e32 v7, s40, v17
	v_mul_lo_u32 v1, v1, s21
	v_mul_lo_u32 v7, v7, s23
	v_sub_nc_u32_e32 v1, v1, v7
	v_cmp_lt_u32_e64 s0, s41, v1
	s_and_b32 s2, s0, exec_lo
.LBB128_48:
	s_or_b32 exec_lo, exec_lo, s3
	v_mov_b32_e32 v1, 8
	v_mov_b32_e32 v7, 24
	v_cndmask_b32_e64 v22, 0, 1, s2
	v_mov_b32_e32 v23, 0xff
	v_cndmask_b32_e64 v21, 0, 1, vcc_lo
	v_lshrrev_b32_sdwa v24, v1, v6 dst_sel:BYTE_1 dst_unused:UNUSED_PAD src0_sel:DWORD src1_sel:DWORD
	v_lshrrev_b32_sdwa v7, v7, v6 dst_sel:BYTE_1 dst_unused:UNUSED_PAD src0_sel:DWORD src1_sel:DWORD
	;; [unrolled: 1-line block ×3, first 2 shown]
	v_lshlrev_b16 v22, 8, v22
	v_and_b32_sdwa v23, v8, v23 dst_sel:DWORD dst_unused:UNUSED_PAD src0_sel:WORD_1 src1_sel:DWORD
	v_or_b32_sdwa v6, v6, v24 dst_sel:DWORD dst_unused:UNUSED_PAD src0_sel:BYTE_0 src1_sel:DWORD
	v_or_b32_sdwa v7, v21, v7 dst_sel:WORD_1 dst_unused:UNUSED_PAD src0_sel:DWORD src1_sel:DWORD
	v_or_b32_sdwa v1, v8, v1 dst_sel:DWORD dst_unused:UNUSED_PAD src0_sel:BYTE_0 src1_sel:DWORD
	v_or_b32_sdwa v8, v23, v22 dst_sel:WORD_1 dst_unused:UNUSED_PAD src0_sel:DWORD src1_sel:DWORD
	v_or_b32_sdwa v7, v6, v7 dst_sel:DWORD dst_unused:UNUSED_PAD src0_sel:WORD_0 src1_sel:DWORD
	v_or_b32_sdwa v1, v1, v8 dst_sel:DWORD dst_unused:UNUSED_PAD src0_sel:WORD_0 src1_sel:DWORD
.LBB128_49:
	s_or_b32 exec_lo, exec_lo, s1
	v_add_nc_u32_e32 v6, 3, v29
                                        ; implicit-def: $vgpr30
	v_cmp_le_u32_e32 vcc_lo, s7, v6
                                        ; implicit-def: $vgpr6
	s_and_saveexec_b32 s0, vcc_lo
	s_xor_b32 s0, exec_lo, s0
	s_cbranch_execz .LBB128_51
; %bb.50:
	v_mov_b32_e32 v6, 24
	v_mov_b32_e32 v8, 0xff
	;; [unrolled: 1-line block ×3, first 2 shown]
	v_and_b32_e32 v22, 0xff0000, v7
	v_perm_b32 v4, v4, v4, 0x3060504
	v_lshrrev_b32_sdwa v6, v6, v5 dst_sel:BYTE_1 dst_unused:UNUSED_PAD src0_sel:DWORD src1_sel:DWORD
	v_and_b32_sdwa v8, v5, v8 dst_sel:DWORD dst_unused:UNUSED_PAD src0_sel:WORD_1 src1_sel:DWORD
	v_lshrrev_b32_sdwa v5, v21, v5 dst_sel:BYTE_1 dst_unused:UNUSED_PAD src0_sel:DWORD src1_sel:DWORD
	v_perm_b32 v30, v7, v22, 0x3020504
	v_perm_b32 v3, v3, v3, 0x3060504
                                        ; implicit-def: $vgpr7
	v_or_b32_sdwa v6, v8, v6 dst_sel:WORD_1 dst_unused:UNUSED_PAD src0_sel:DWORD src1_sel:DWORD
	v_or_b32_sdwa v6, v5, v6 dst_sel:DWORD dst_unused:UNUSED_PAD src0_sel:WORD_0 src1_sel:DWORD
                                        ; implicit-def: $vgpr5
.LBB128_51:
	s_andn2_saveexec_b32 s1, s0
	s_cbranch_execz .LBB128_55
; %bb.52:
	v_add_nc_u32_e32 v6, s17, v18
	v_add_nc_u32_e32 v8, s19, v18
	s_mov_b32 s2, 0
	s_mov_b32 s3, exec_lo
	v_mul_lo_u32 v6, v6, s16
	v_mul_lo_u32 v8, v8, s18
	v_sub_nc_u32_e32 v6, v6, v8
	v_cmp_lt_u32_e32 vcc_lo, s20, v6
	v_cmpx_ge_u32_e64 s20, v6
	s_cbranch_execz .LBB128_54
; %bb.53:
	v_add_nc_u32_e32 v6, s22, v18
	v_add_nc_u32_e32 v8, s40, v18
	v_mul_lo_u32 v6, v6, s21
	v_mul_lo_u32 v8, v8, s23
	v_sub_nc_u32_e32 v6, v6, v8
	v_cmp_lt_u32_e64 s0, s41, v6
	s_and_b32 s2, s0, exec_lo
.LBB128_54:
	s_or_b32 exec_lo, exec_lo, s3
	v_mov_b32_e32 v6, 8
	v_cndmask_b32_e64 v8, 0, 1, vcc_lo
	v_mov_b32_e32 v21, 0xff
	v_mov_b32_e32 v22, 24
	v_cndmask_b32_e64 v23, 0, 1, s2
	v_lshrrev_b32_sdwa v24, v6, v7 dst_sel:BYTE_1 dst_unused:UNUSED_PAD src0_sel:DWORD src1_sel:DWORD
	v_lshlrev_b16 v8, 8, v8
	v_and_b32_sdwa v25, v7, v21 dst_sel:DWORD dst_unused:UNUSED_PAD src0_sel:WORD_1 src1_sel:DWORD
	v_lshrrev_b32_sdwa v22, v22, v5 dst_sel:BYTE_1 dst_unused:UNUSED_PAD src0_sel:DWORD src1_sel:DWORD
	v_and_b32_sdwa v21, v5, v21 dst_sel:DWORD dst_unused:UNUSED_PAD src0_sel:WORD_1 src1_sel:DWORD
	v_lshrrev_b32_sdwa v5, v6, v5 dst_sel:BYTE_1 dst_unused:UNUSED_PAD src0_sel:DWORD src1_sel:DWORD
	v_or_b32_sdwa v6, v7, v24 dst_sel:DWORD dst_unused:UNUSED_PAD src0_sel:BYTE_0 src1_sel:DWORD
	v_or_b32_sdwa v7, v25, v8 dst_sel:WORD_1 dst_unused:UNUSED_PAD src0_sel:DWORD src1_sel:DWORD
	v_or_b32_sdwa v8, v21, v22 dst_sel:WORD_1 dst_unused:UNUSED_PAD src0_sel:DWORD src1_sel:DWORD
	v_or_b32_e32 v5, v23, v5
	v_or_b32_sdwa v30, v6, v7 dst_sel:DWORD dst_unused:UNUSED_PAD src0_sel:WORD_0 src1_sel:DWORD
	v_or_b32_sdwa v6, v5, v8 dst_sel:DWORD dst_unused:UNUSED_PAD src0_sel:WORD_0 src1_sel:DWORD
.LBB128_55:
	s_or_b32 exec_lo, exec_lo, s1
	v_add_nc_u32_e32 v5, 4, v29
                                        ; implicit-def: $vgpr7
	v_cmp_le_u32_e32 vcc_lo, s7, v5
                                        ; implicit-def: $vgpr5
	s_and_saveexec_b32 s0, vcc_lo
	s_xor_b32 s0, exec_lo, s0
	s_cbranch_execz .LBB128_57
; %bb.56:
	v_mov_b32_e32 v5, 24
	v_mov_b32_e32 v7, 0xff
	;; [unrolled: 1-line block ×3, first 2 shown]
	v_perm_b32 v3, v3, v3, 0x3060504
	v_lshrrev_b32_sdwa v21, v5, v4 dst_sel:BYTE_1 dst_unused:UNUSED_PAD src0_sel:DWORD src1_sel:DWORD
	v_and_b32_sdwa v22, v4, v7 dst_sel:DWORD dst_unused:UNUSED_PAD src0_sel:WORD_1 src1_sel:DWORD
	v_lshrrev_b32_sdwa v5, v5, v6 dst_sel:BYTE_1 dst_unused:UNUSED_PAD src0_sel:DWORD src1_sel:DWORD
	v_and_b32_sdwa v7, v6, v7 dst_sel:DWORD dst_unused:UNUSED_PAD src0_sel:WORD_1 src1_sel:DWORD
	v_lshrrev_b32_sdwa v4, v8, v4 dst_sel:BYTE_1 dst_unused:UNUSED_PAD src0_sel:DWORD src1_sel:DWORD
	v_or_b32_sdwa v8, v22, v21 dst_sel:WORD_1 dst_unused:UNUSED_PAD src0_sel:DWORD src1_sel:DWORD
	v_or_b32_e32 v7, v7, v5
	v_or_b32_sdwa v5, v4, v8 dst_sel:DWORD dst_unused:UNUSED_PAD src0_sel:WORD_0 src1_sel:DWORD
                                        ; implicit-def: $vgpr4
	v_perm_b32 v7, v7, v6, 0x5040c00
                                        ; implicit-def: $vgpr6
.LBB128_57:
	s_andn2_saveexec_b32 s1, s0
	s_cbranch_execz .LBB128_61
; %bb.58:
	v_add_nc_u32_e32 v5, s17, v15
	v_add_nc_u32_e32 v7, s19, v15
	s_mov_b32 s2, 0
	s_mov_b32 s3, exec_lo
	v_mul_lo_u32 v5, v5, s16
	v_mul_lo_u32 v7, v7, s18
	v_sub_nc_u32_e32 v5, v5, v7
	v_cmp_lt_u32_e32 vcc_lo, s20, v5
	v_cmpx_ge_u32_e64 s20, v5
	s_cbranch_execz .LBB128_60
; %bb.59:
	v_add_nc_u32_e32 v5, s22, v15
	v_add_nc_u32_e32 v7, s40, v15
	v_mul_lo_u32 v5, v5, s21
	v_mul_lo_u32 v7, v7, s23
	v_sub_nc_u32_e32 v5, v5, v7
	v_cmp_lt_u32_e64 s0, s41, v5
	s_and_b32 s2, s0, exec_lo
.LBB128_60:
	s_or_b32 exec_lo, exec_lo, s3
	v_mov_b32_e32 v5, 24
	v_mov_b32_e32 v7, 0xff
	;; [unrolled: 1-line block ×3, first 2 shown]
	v_cndmask_b32_e64 v21, 0, 1, s2
	v_cndmask_b32_e64 v22, 0, 1, vcc_lo
	v_lshrrev_b32_sdwa v23, v5, v4 dst_sel:BYTE_1 dst_unused:UNUSED_PAD src0_sel:DWORD src1_sel:DWORD
	v_and_b32_sdwa v24, v4, v7 dst_sel:DWORD dst_unused:UNUSED_PAD src0_sel:WORD_1 src1_sel:DWORD
	v_lshrrev_b32_sdwa v4, v8, v4 dst_sel:BYTE_1 dst_unused:UNUSED_PAD src0_sel:DWORD src1_sel:DWORD
	v_lshlrev_b16 v8, 8, v21
	v_lshrrev_b32_sdwa v5, v5, v6 dst_sel:BYTE_1 dst_unused:UNUSED_PAD src0_sel:DWORD src1_sel:DWORD
	v_and_b32_sdwa v7, v6, v7 dst_sel:DWORD dst_unused:UNUSED_PAD src0_sel:WORD_1 src1_sel:DWORD
	v_or_b32_sdwa v21, v24, v23 dst_sel:WORD_1 dst_unused:UNUSED_PAD src0_sel:DWORD src1_sel:DWORD
	v_or_b32_e32 v4, v22, v4
	v_or_b32_sdwa v6, v6, v8 dst_sel:DWORD dst_unused:UNUSED_PAD src0_sel:BYTE_0 src1_sel:DWORD
	v_or_b32_sdwa v7, v7, v5 dst_sel:WORD_1 dst_unused:UNUSED_PAD src0_sel:DWORD src1_sel:DWORD
	v_or_b32_sdwa v5, v4, v21 dst_sel:DWORD dst_unused:UNUSED_PAD src0_sel:WORD_0 src1_sel:DWORD
	v_or_b32_sdwa v7, v6, v7 dst_sel:DWORD dst_unused:UNUSED_PAD src0_sel:WORD_0 src1_sel:DWORD
.LBB128_61:
	s_or_b32 exec_lo, exec_lo, s1
	v_add_nc_u32_e32 v4, 5, v29
                                        ; implicit-def: $vgpr6
	v_cmp_le_u32_e32 vcc_lo, s7, v4
                                        ; implicit-def: $vgpr4
	s_and_saveexec_b32 s0, vcc_lo
	s_xor_b32 s0, exec_lo, s0
	s_cbranch_execz .LBB128_63
; %bb.62:
	v_lshrrev_b32_e32 v4, 24, v7
	v_mov_b32_e32 v6, 8
	v_mov_b32_e32 v8, 0xff
	v_perm_b32 v3, v3, v3, 0x3060504
	v_perm_b32 v4, v4, v7, 0x40c0100
	v_mov_b32_e32 v7, 24
	v_and_b32_sdwa v8, v5, v8 dst_sel:DWORD dst_unused:UNUSED_PAD src0_sel:WORD_1 src1_sel:DWORD
	v_lshrrev_b32_sdwa v6, v6, v4 dst_sel:BYTE_1 dst_unused:UNUSED_PAD src0_sel:DWORD src1_sel:DWORD
	v_lshrrev_b32_sdwa v7, v7, v5 dst_sel:BYTE_1 dst_unused:UNUSED_PAD src0_sel:DWORD src1_sel:DWORD
	v_or_b32_sdwa v6, v4, v6 dst_sel:DWORD dst_unused:UNUSED_PAD src0_sel:BYTE_0 src1_sel:DWORD
	v_or_b32_e32 v7, v8, v7
	v_and_b32_e32 v8, 0xffff, v6
	v_perm_b32 v6, v7, v5, 0x5040c00
                                        ; implicit-def: $vgpr5
                                        ; implicit-def: $vgpr7
	v_and_or_b32 v4, 0xff000000, v4, v8
.LBB128_63:
	s_andn2_saveexec_b32 s1, s0
	s_cbranch_execz .LBB128_67
; %bb.64:
	v_add_nc_u32_e32 v4, s17, v16
	v_add_nc_u32_e32 v6, s19, v16
	s_mov_b32 s2, 0
	s_mov_b32 s3, exec_lo
	v_mul_lo_u32 v4, v4, s16
	v_mul_lo_u32 v6, v6, s18
	v_sub_nc_u32_e32 v4, v4, v6
	v_cmp_lt_u32_e32 vcc_lo, s20, v4
	v_cmpx_ge_u32_e64 s20, v4
	s_cbranch_execz .LBB128_66
; %bb.65:
	v_add_nc_u32_e32 v4, s22, v16
	v_add_nc_u32_e32 v6, s40, v16
	v_mul_lo_u32 v4, v4, s21
	v_mul_lo_u32 v6, v6, s23
	v_sub_nc_u32_e32 v4, v4, v6
	v_cmp_lt_u32_e64 s0, s41, v4
	s_and_b32 s2, s0, exec_lo
.LBB128_66:
	s_or_b32 exec_lo, exec_lo, s3
	v_cndmask_b32_e64 v4, 0, 1, vcc_lo
	v_mov_b32_e32 v6, 24
	v_mov_b32_e32 v8, 0xff
	;; [unrolled: 1-line block ×3, first 2 shown]
	v_cndmask_b32_e64 v22, 0, 1, s2
	v_lshlrev_b16 v4, 8, v4
	v_lshrrev_b32_sdwa v23, v6, v5 dst_sel:BYTE_1 dst_unused:UNUSED_PAD src0_sel:DWORD src1_sel:DWORD
	v_and_b32_sdwa v8, v5, v8 dst_sel:DWORD dst_unused:UNUSED_PAD src0_sel:WORD_1 src1_sel:DWORD
	v_lshrrev_b32_sdwa v21, v21, v7 dst_sel:BYTE_1 dst_unused:UNUSED_PAD src0_sel:DWORD src1_sel:DWORD
	v_lshrrev_b32_sdwa v6, v6, v7 dst_sel:BYTE_1 dst_unused:UNUSED_PAD src0_sel:DWORD src1_sel:DWORD
	v_or_b32_sdwa v4, v5, v4 dst_sel:DWORD dst_unused:UNUSED_PAD src0_sel:BYTE_0 src1_sel:DWORD
	v_or_b32_sdwa v5, v8, v23 dst_sel:WORD_1 dst_unused:UNUSED_PAD src0_sel:DWORD src1_sel:DWORD
	v_or_b32_sdwa v7, v7, v21 dst_sel:DWORD dst_unused:UNUSED_PAD src0_sel:BYTE_0 src1_sel:DWORD
	v_or_b32_sdwa v8, v22, v6 dst_sel:WORD_1 dst_unused:UNUSED_PAD src0_sel:DWORD src1_sel:DWORD
	v_or_b32_sdwa v6, v4, v5 dst_sel:DWORD dst_unused:UNUSED_PAD src0_sel:WORD_0 src1_sel:DWORD
	v_or_b32_sdwa v4, v7, v8 dst_sel:DWORD dst_unused:UNUSED_PAD src0_sel:WORD_0 src1_sel:DWORD
.LBB128_67:
	s_or_b32 exec_lo, exec_lo, s1
	v_add_nc_u32_e32 v5, 6, v29
                                        ; implicit-def: $vgpr31
	v_cmp_le_u32_e32 vcc_lo, s7, v5
                                        ; implicit-def: $vgpr5
	s_and_saveexec_b32 s0, vcc_lo
	s_xor_b32 s0, exec_lo, s0
	s_cbranch_execz .LBB128_69
; %bb.68:
	v_lshrrev_b32_e32 v5, 24, v6
	v_mov_b32_e32 v7, 8
	v_perm_b32 v3, v3, v3, 0x3060504
	v_perm_b32 v5, v5, v6, 0x40c0100
	v_lshrrev_b32_sdwa v6, v7, v5 dst_sel:BYTE_1 dst_unused:UNUSED_PAD src0_sel:DWORD src1_sel:DWORD
	v_and_b32_e32 v7, 0xff0000, v4
	v_or_b32_sdwa v6, v5, v6 dst_sel:DWORD dst_unused:UNUSED_PAD src0_sel:BYTE_0 src1_sel:DWORD
	v_perm_b32 v31, v4, v7, 0x3020504
                                        ; implicit-def: $vgpr4
	v_and_b32_e32 v6, 0xffff, v6
	v_and_or_b32 v5, 0xff000000, v5, v6
                                        ; implicit-def: $vgpr6
.LBB128_69:
	s_andn2_saveexec_b32 s1, s0
	s_cbranch_execz .LBB128_73
; %bb.70:
	v_add_nc_u32_e32 v5, s17, v13
	v_add_nc_u32_e32 v7, s19, v13
	s_mov_b32 s2, 0
	s_mov_b32 s3, exec_lo
	v_mul_lo_u32 v5, v5, s16
	v_mul_lo_u32 v7, v7, s18
	v_sub_nc_u32_e32 v5, v5, v7
	v_cmp_lt_u32_e32 vcc_lo, s20, v5
	v_cmpx_ge_u32_e64 s20, v5
	s_cbranch_execz .LBB128_72
; %bb.71:
	v_add_nc_u32_e32 v5, s22, v13
	v_add_nc_u32_e32 v7, s40, v13
	v_mul_lo_u32 v5, v5, s21
	v_mul_lo_u32 v7, v7, s23
	v_sub_nc_u32_e32 v5, v5, v7
	v_cmp_lt_u32_e64 s0, s41, v5
	s_and_b32 s2, s0, exec_lo
.LBB128_72:
	s_or_b32 exec_lo, exec_lo, s3
	v_mov_b32_e32 v5, 8
	v_mov_b32_e32 v7, 24
	v_cndmask_b32_e64 v21, 0, 1, s2
	v_mov_b32_e32 v22, 0xff
	v_cndmask_b32_e64 v8, 0, 1, vcc_lo
	v_lshrrev_b32_sdwa v23, v5, v6 dst_sel:BYTE_1 dst_unused:UNUSED_PAD src0_sel:DWORD src1_sel:DWORD
	v_lshrrev_b32_sdwa v7, v7, v6 dst_sel:BYTE_1 dst_unused:UNUSED_PAD src0_sel:DWORD src1_sel:DWORD
	;; [unrolled: 1-line block ×3, first 2 shown]
	v_lshlrev_b16 v21, 8, v21
	v_and_b32_sdwa v22, v4, v22 dst_sel:DWORD dst_unused:UNUSED_PAD src0_sel:WORD_1 src1_sel:DWORD
	v_or_b32_sdwa v6, v6, v23 dst_sel:DWORD dst_unused:UNUSED_PAD src0_sel:BYTE_0 src1_sel:DWORD
	v_or_b32_sdwa v7, v8, v7 dst_sel:WORD_1 dst_unused:UNUSED_PAD src0_sel:DWORD src1_sel:DWORD
	v_or_b32_sdwa v4, v4, v5 dst_sel:DWORD dst_unused:UNUSED_PAD src0_sel:BYTE_0 src1_sel:DWORD
	v_or_b32_sdwa v8, v22, v21 dst_sel:WORD_1 dst_unused:UNUSED_PAD src0_sel:DWORD src1_sel:DWORD
	v_or_b32_sdwa v5, v6, v7 dst_sel:DWORD dst_unused:UNUSED_PAD src0_sel:WORD_0 src1_sel:DWORD
	v_or_b32_sdwa v31, v4, v8 dst_sel:DWORD dst_unused:UNUSED_PAD src0_sel:WORD_0 src1_sel:DWORD
.LBB128_73:
	s_or_b32 exec_lo, exec_lo, s1
	v_add_nc_u32_e32 v4, 7, v29
                                        ; implicit-def: $vgpr32
	v_cmp_le_u32_e32 vcc_lo, s7, v4
                                        ; implicit-def: $vgpr4
	s_and_saveexec_b32 s0, vcc_lo
	s_xor_b32 s0, exec_lo, s0
	s_cbranch_execz .LBB128_75
; %bb.74:
	v_mov_b32_e32 v4, 24
	v_mov_b32_e32 v6, 0xff
	;; [unrolled: 1-line block ×3, first 2 shown]
	v_lshrrev_b32_sdwa v4, v4, v3 dst_sel:BYTE_1 dst_unused:UNUSED_PAD src0_sel:DWORD src1_sel:DWORD
	v_and_b32_sdwa v6, v3, v6 dst_sel:DWORD dst_unused:UNUSED_PAD src0_sel:WORD_1 src1_sel:DWORD
	v_lshrrev_b32_sdwa v3, v7, v3 dst_sel:BYTE_1 dst_unused:UNUSED_PAD src0_sel:DWORD src1_sel:DWORD
	v_and_b32_e32 v7, 0xff0000, v5
	v_or_b32_sdwa v4, v6, v4 dst_sel:WORD_1 dst_unused:UNUSED_PAD src0_sel:DWORD src1_sel:DWORD
	v_perm_b32 v32, v5, v7, 0x3020504
                                        ; implicit-def: $vgpr5
	v_or_b32_sdwa v4, v3, v4 dst_sel:DWORD dst_unused:UNUSED_PAD src0_sel:WORD_0 src1_sel:DWORD
                                        ; implicit-def: $vgpr3
.LBB128_75:
	s_andn2_saveexec_b32 s1, s0
	s_cbranch_execz .LBB128_79
; %bb.76:
	v_add_nc_u32_e32 v4, s17, v14
	v_add_nc_u32_e32 v6, s19, v14
	s_mov_b32 s2, 0
	s_mov_b32 s3, exec_lo
	v_mul_lo_u32 v4, v4, s16
	v_mul_lo_u32 v6, v6, s18
	v_sub_nc_u32_e32 v4, v4, v6
	v_cmp_lt_u32_e32 vcc_lo, s20, v4
	v_cmpx_ge_u32_e64 s20, v4
	s_cbranch_execz .LBB128_78
; %bb.77:
	v_add_nc_u32_e32 v4, s22, v14
	v_add_nc_u32_e32 v6, s40, v14
	v_mul_lo_u32 v4, v4, s21
	v_mul_lo_u32 v6, v6, s23
	v_sub_nc_u32_e32 v4, v4, v6
	v_cmp_lt_u32_e64 s0, s41, v4
	s_and_b32 s2, s0, exec_lo
.LBB128_78:
	s_or_b32 exec_lo, exec_lo, s3
	v_mov_b32_e32 v4, 8
	v_cndmask_b32_e64 v6, 0, 1, vcc_lo
	v_mov_b32_e32 v7, 0xff
	v_mov_b32_e32 v8, 24
	v_cndmask_b32_e64 v21, 0, 1, s2
	v_lshrrev_b32_sdwa v22, v4, v5 dst_sel:BYTE_1 dst_unused:UNUSED_PAD src0_sel:DWORD src1_sel:DWORD
	v_lshlrev_b16 v6, 8, v6
	v_and_b32_sdwa v23, v5, v7 dst_sel:DWORD dst_unused:UNUSED_PAD src0_sel:WORD_1 src1_sel:DWORD
	v_lshrrev_b32_sdwa v8, v8, v3 dst_sel:BYTE_1 dst_unused:UNUSED_PAD src0_sel:DWORD src1_sel:DWORD
	v_and_b32_sdwa v7, v3, v7 dst_sel:DWORD dst_unused:UNUSED_PAD src0_sel:WORD_1 src1_sel:DWORD
	v_lshrrev_b32_sdwa v3, v4, v3 dst_sel:BYTE_1 dst_unused:UNUSED_PAD src0_sel:DWORD src1_sel:DWORD
	v_or_b32_sdwa v4, v5, v22 dst_sel:DWORD dst_unused:UNUSED_PAD src0_sel:BYTE_0 src1_sel:DWORD
	v_or_b32_sdwa v5, v23, v6 dst_sel:WORD_1 dst_unused:UNUSED_PAD src0_sel:DWORD src1_sel:DWORD
	v_or_b32_sdwa v6, v7, v8 dst_sel:WORD_1 dst_unused:UNUSED_PAD src0_sel:DWORD src1_sel:DWORD
	v_or_b32_e32 v3, v21, v3
	v_or_b32_sdwa v32, v4, v5 dst_sel:DWORD dst_unused:UNUSED_PAD src0_sel:WORD_0 src1_sel:DWORD
	v_or_b32_sdwa v4, v3, v6 dst_sel:DWORD dst_unused:UNUSED_PAD src0_sel:WORD_0 src1_sel:DWORD
.LBB128_79:
	s_or_b32 exec_lo, exec_lo, s1
	v_add_nc_u32_e32 v3, 8, v29
                                        ; implicit-def: $vgpr5
	v_cmp_le_u32_e32 vcc_lo, s7, v3
                                        ; implicit-def: $vgpr3
	s_and_saveexec_b32 s0, vcc_lo
	s_xor_b32 s0, exec_lo, s0
	s_cbranch_execz .LBB128_81
; %bb.80:
	v_mov_b32_e32 v3, 24
	v_mov_b32_e32 v5, 0xff
	v_mov_b32_e32 v6, 8
	v_perm_b32 v1, v1, v1, 0x3060504
	v_lshrrev_b32_sdwa v7, v3, v4 dst_sel:BYTE_1 dst_unused:UNUSED_PAD src0_sel:DWORD src1_sel:DWORD
	v_lshrrev_b32_sdwa v3, v3, v2 dst_sel:BYTE_1 dst_unused:UNUSED_PAD src0_sel:DWORD src1_sel:DWORD
	v_and_b32_sdwa v8, v2, v5 dst_sel:DWORD dst_unused:UNUSED_PAD src0_sel:WORD_1 src1_sel:DWORD
	v_and_b32_sdwa v5, v4, v5 dst_sel:DWORD dst_unused:UNUSED_PAD src0_sel:WORD_1 src1_sel:DWORD
	v_lshrrev_b32_sdwa v2, v6, v2 dst_sel:BYTE_1 dst_unused:UNUSED_PAD src0_sel:DWORD src1_sel:DWORD
	v_or_b32_sdwa v3, v8, v3 dst_sel:WORD_1 dst_unused:UNUSED_PAD src0_sel:DWORD src1_sel:DWORD
	v_or_b32_e32 v5, v5, v7
	v_or_b32_sdwa v3, v2, v3 dst_sel:DWORD dst_unused:UNUSED_PAD src0_sel:WORD_0 src1_sel:DWORD
	v_perm_b32 v5, v5, v4, 0x5040c00
                                        ; implicit-def: $vgpr2
                                        ; implicit-def: $vgpr4
.LBB128_81:
	s_andn2_saveexec_b32 s1, s0
	s_cbranch_execz .LBB128_85
; %bb.82:
	v_add_nc_u32_e32 v3, s17, v11
	v_add_nc_u32_e32 v5, s19, v11
	s_mov_b32 s2, 0
	s_mov_b32 s3, exec_lo
	v_mul_lo_u32 v3, v3, s16
	v_mul_lo_u32 v5, v5, s18
	v_sub_nc_u32_e32 v3, v3, v5
	v_cmp_lt_u32_e32 vcc_lo, s20, v3
	v_cmpx_ge_u32_e64 s20, v3
	s_cbranch_execz .LBB128_84
; %bb.83:
	v_add_nc_u32_e32 v3, s22, v11
	v_add_nc_u32_e32 v5, s40, v11
	v_mul_lo_u32 v3, v3, s21
	v_mul_lo_u32 v5, v5, s23
	v_sub_nc_u32_e32 v3, v3, v5
	v_cmp_lt_u32_e64 s0, s41, v3
	s_and_b32 s2, s0, exec_lo
.LBB128_84:
	s_or_b32 exec_lo, exec_lo, s3
	v_mov_b32_e32 v3, 24
	v_mov_b32_e32 v5, 0xff
	;; [unrolled: 1-line block ×3, first 2 shown]
	v_cndmask_b32_e64 v7, 0, 1, s2
	v_cndmask_b32_e64 v8, 0, 1, vcc_lo
	v_lshrrev_b32_sdwa v21, v3, v2 dst_sel:BYTE_1 dst_unused:UNUSED_PAD src0_sel:DWORD src1_sel:DWORD
	v_and_b32_sdwa v22, v2, v5 dst_sel:DWORD dst_unused:UNUSED_PAD src0_sel:WORD_1 src1_sel:DWORD
	v_lshrrev_b32_sdwa v2, v6, v2 dst_sel:BYTE_1 dst_unused:UNUSED_PAD src0_sel:DWORD src1_sel:DWORD
	v_lshlrev_b16 v6, 8, v7
	v_lshrrev_b32_sdwa v3, v3, v4 dst_sel:BYTE_1 dst_unused:UNUSED_PAD src0_sel:DWORD src1_sel:DWORD
	v_and_b32_sdwa v5, v4, v5 dst_sel:DWORD dst_unused:UNUSED_PAD src0_sel:WORD_1 src1_sel:DWORD
	v_or_b32_sdwa v7, v22, v21 dst_sel:WORD_1 dst_unused:UNUSED_PAD src0_sel:DWORD src1_sel:DWORD
	v_or_b32_e32 v2, v8, v2
	v_or_b32_sdwa v4, v4, v6 dst_sel:DWORD dst_unused:UNUSED_PAD src0_sel:BYTE_0 src1_sel:DWORD
	v_or_b32_sdwa v5, v5, v3 dst_sel:WORD_1 dst_unused:UNUSED_PAD src0_sel:DWORD src1_sel:DWORD
	v_or_b32_sdwa v3, v2, v7 dst_sel:DWORD dst_unused:UNUSED_PAD src0_sel:WORD_0 src1_sel:DWORD
	v_or_b32_sdwa v5, v4, v5 dst_sel:DWORD dst_unused:UNUSED_PAD src0_sel:WORD_0 src1_sel:DWORD
.LBB128_85:
	s_or_b32 exec_lo, exec_lo, s1
	v_add_nc_u32_e32 v2, 9, v29
                                        ; implicit-def: $vgpr4
	v_cmp_le_u32_e32 vcc_lo, s7, v2
                                        ; implicit-def: $vgpr2
	s_and_saveexec_b32 s0, vcc_lo
	s_xor_b32 s0, exec_lo, s0
	s_cbranch_execz .LBB128_87
; %bb.86:
	v_lshrrev_b32_e32 v2, 24, v5
	v_mov_b32_e32 v4, 8
	v_mov_b32_e32 v6, 0xff
	v_perm_b32 v1, v1, v1, 0x3060504
	v_perm_b32 v2, v2, v5, 0x40c0100
	v_mov_b32_e32 v5, 24
	v_and_b32_sdwa v6, v3, v6 dst_sel:DWORD dst_unused:UNUSED_PAD src0_sel:WORD_1 src1_sel:DWORD
	v_lshrrev_b32_sdwa v4, v4, v2 dst_sel:BYTE_1 dst_unused:UNUSED_PAD src0_sel:DWORD src1_sel:DWORD
	v_lshrrev_b32_sdwa v5, v5, v3 dst_sel:BYTE_1 dst_unused:UNUSED_PAD src0_sel:DWORD src1_sel:DWORD
	v_or_b32_sdwa v4, v2, v4 dst_sel:DWORD dst_unused:UNUSED_PAD src0_sel:BYTE_0 src1_sel:DWORD
	v_or_b32_e32 v5, v6, v5
	v_and_b32_e32 v6, 0xffff, v4
	v_perm_b32 v4, v5, v3, 0x5040c00
                                        ; implicit-def: $vgpr3
                                        ; implicit-def: $vgpr5
	v_and_or_b32 v2, 0xff000000, v2, v6
.LBB128_87:
	s_andn2_saveexec_b32 s1, s0
	s_cbranch_execz .LBB128_91
; %bb.88:
	v_add_nc_u32_e32 v2, s17, v12
	v_add_nc_u32_e32 v4, s19, v12
	s_mov_b32 s2, 0
	s_mov_b32 s3, exec_lo
	v_mul_lo_u32 v2, v2, s16
	v_mul_lo_u32 v4, v4, s18
	v_sub_nc_u32_e32 v2, v2, v4
	v_cmp_lt_u32_e32 vcc_lo, s20, v2
	v_cmpx_ge_u32_e64 s20, v2
	s_cbranch_execz .LBB128_90
; %bb.89:
	v_add_nc_u32_e32 v2, s22, v12
	v_add_nc_u32_e32 v4, s40, v12
	v_mul_lo_u32 v2, v2, s21
	v_mul_lo_u32 v4, v4, s23
	v_sub_nc_u32_e32 v2, v2, v4
	v_cmp_lt_u32_e64 s0, s41, v2
	s_and_b32 s2, s0, exec_lo
.LBB128_90:
	s_or_b32 exec_lo, exec_lo, s3
	v_cndmask_b32_e64 v2, 0, 1, vcc_lo
	v_mov_b32_e32 v4, 24
	v_mov_b32_e32 v6, 0xff
	;; [unrolled: 1-line block ×3, first 2 shown]
	v_cndmask_b32_e64 v8, 0, 1, s2
	v_lshlrev_b16 v2, 8, v2
	v_lshrrev_b32_sdwa v21, v4, v3 dst_sel:BYTE_1 dst_unused:UNUSED_PAD src0_sel:DWORD src1_sel:DWORD
	v_and_b32_sdwa v6, v3, v6 dst_sel:DWORD dst_unused:UNUSED_PAD src0_sel:WORD_1 src1_sel:DWORD
	v_lshrrev_b32_sdwa v7, v7, v5 dst_sel:BYTE_1 dst_unused:UNUSED_PAD src0_sel:DWORD src1_sel:DWORD
	v_lshrrev_b32_sdwa v4, v4, v5 dst_sel:BYTE_1 dst_unused:UNUSED_PAD src0_sel:DWORD src1_sel:DWORD
	v_or_b32_sdwa v2, v3, v2 dst_sel:DWORD dst_unused:UNUSED_PAD src0_sel:BYTE_0 src1_sel:DWORD
	v_or_b32_sdwa v3, v6, v21 dst_sel:WORD_1 dst_unused:UNUSED_PAD src0_sel:DWORD src1_sel:DWORD
	v_or_b32_sdwa v5, v5, v7 dst_sel:DWORD dst_unused:UNUSED_PAD src0_sel:BYTE_0 src1_sel:DWORD
	v_or_b32_sdwa v6, v8, v4 dst_sel:WORD_1 dst_unused:UNUSED_PAD src0_sel:DWORD src1_sel:DWORD
	v_or_b32_sdwa v4, v2, v3 dst_sel:DWORD dst_unused:UNUSED_PAD src0_sel:WORD_0 src1_sel:DWORD
	v_or_b32_sdwa v2, v5, v6 dst_sel:DWORD dst_unused:UNUSED_PAD src0_sel:WORD_0 src1_sel:DWORD
.LBB128_91:
	s_or_b32 exec_lo, exec_lo, s1
	v_add_nc_u32_e32 v3, 10, v29
                                        ; implicit-def: $vgpr33
	v_cmp_le_u32_e32 vcc_lo, s7, v3
                                        ; implicit-def: $vgpr3
	s_and_saveexec_b32 s0, vcc_lo
	s_xor_b32 s0, exec_lo, s0
	s_cbranch_execz .LBB128_93
; %bb.92:
	v_lshrrev_b32_e32 v3, 24, v4
	v_mov_b32_e32 v5, 8
	v_perm_b32 v1, v1, v1, 0x3060504
	v_perm_b32 v3, v3, v4, 0x40c0100
	v_lshrrev_b32_sdwa v4, v5, v3 dst_sel:BYTE_1 dst_unused:UNUSED_PAD src0_sel:DWORD src1_sel:DWORD
	v_and_b32_e32 v5, 0xff0000, v2
	v_or_b32_sdwa v4, v3, v4 dst_sel:DWORD dst_unused:UNUSED_PAD src0_sel:BYTE_0 src1_sel:DWORD
	v_perm_b32 v33, v2, v5, 0x3020504
                                        ; implicit-def: $vgpr2
	v_and_b32_e32 v4, 0xffff, v4
	v_and_or_b32 v3, 0xff000000, v3, v4
                                        ; implicit-def: $vgpr4
.LBB128_93:
	s_andn2_saveexec_b32 s1, s0
	s_cbranch_execz .LBB128_97
; %bb.94:
	v_add_nc_u32_e32 v3, s17, v9
	v_add_nc_u32_e32 v5, s19, v9
	s_mov_b32 s2, 0
	s_mov_b32 s3, exec_lo
	v_mul_lo_u32 v3, v3, s16
	v_mul_lo_u32 v5, v5, s18
	v_sub_nc_u32_e32 v3, v3, v5
	v_cmp_lt_u32_e32 vcc_lo, s20, v3
	v_cmpx_ge_u32_e64 s20, v3
	s_cbranch_execz .LBB128_96
; %bb.95:
	v_add_nc_u32_e32 v3, s22, v9
	v_add_nc_u32_e32 v5, s40, v9
	v_mul_lo_u32 v3, v3, s21
	v_mul_lo_u32 v5, v5, s23
	v_sub_nc_u32_e32 v3, v3, v5
	v_cmp_lt_u32_e64 s0, s41, v3
	s_and_b32 s2, s0, exec_lo
.LBB128_96:
	s_or_b32 exec_lo, exec_lo, s3
	v_mov_b32_e32 v3, 8
	v_mov_b32_e32 v5, 24
	v_cndmask_b32_e64 v7, 0, 1, s2
	v_mov_b32_e32 v8, 0xff
	v_cndmask_b32_e64 v6, 0, 1, vcc_lo
	v_lshrrev_b32_sdwa v21, v3, v4 dst_sel:BYTE_1 dst_unused:UNUSED_PAD src0_sel:DWORD src1_sel:DWORD
	v_lshrrev_b32_sdwa v5, v5, v4 dst_sel:BYTE_1 dst_unused:UNUSED_PAD src0_sel:DWORD src1_sel:DWORD
	;; [unrolled: 1-line block ×3, first 2 shown]
	v_lshlrev_b16 v7, 8, v7
	v_and_b32_sdwa v8, v2, v8 dst_sel:DWORD dst_unused:UNUSED_PAD src0_sel:WORD_1 src1_sel:DWORD
	v_or_b32_sdwa v4, v4, v21 dst_sel:DWORD dst_unused:UNUSED_PAD src0_sel:BYTE_0 src1_sel:DWORD
	v_or_b32_sdwa v5, v6, v5 dst_sel:WORD_1 dst_unused:UNUSED_PAD src0_sel:DWORD src1_sel:DWORD
	v_or_b32_sdwa v2, v2, v3 dst_sel:DWORD dst_unused:UNUSED_PAD src0_sel:BYTE_0 src1_sel:DWORD
	v_or_b32_sdwa v6, v8, v7 dst_sel:WORD_1 dst_unused:UNUSED_PAD src0_sel:DWORD src1_sel:DWORD
	v_or_b32_sdwa v3, v4, v5 dst_sel:DWORD dst_unused:UNUSED_PAD src0_sel:WORD_0 src1_sel:DWORD
	v_or_b32_sdwa v33, v2, v6 dst_sel:DWORD dst_unused:UNUSED_PAD src0_sel:WORD_0 src1_sel:DWORD
.LBB128_97:
	s_or_b32 exec_lo, exec_lo, s1
	v_add_nc_u32_e32 v2, 11, v29
	v_mov_b32_e32 v34, 0
	s_mov_b32 s0, exec_lo
                                        ; implicit-def: $vgpr35
	v_cmpx_le_u32_e64 s7, v2
	s_xor_b32 s0, exec_lo, s0
; %bb.98:
	v_and_b32_e32 v2, 0xff0000, v3
	v_perm_b32 v1, v1, v1, 0x3060504
	v_perm_b32 v35, v3, v2, 0x3020504
                                        ; implicit-def: $vgpr3
; %bb.99:
	s_andn2_saveexec_b32 s1, s0
	s_cbranch_execz .LBB128_103
; %bb.100:
	v_add_nc_u32_e32 v2, s17, v10
	v_add_nc_u32_e32 v4, s19, v10
	s_mov_b32 s2, 0
	s_mov_b32 s3, exec_lo
	v_mul_lo_u32 v2, v2, s16
	v_mul_lo_u32 v4, v4, s18
	v_sub_nc_u32_e32 v2, v2, v4
	v_cmp_lt_u32_e32 vcc_lo, s20, v2
	v_cmpx_ge_u32_e64 s20, v2
	s_cbranch_execz .LBB128_102
; %bb.101:
	v_add_nc_u32_e32 v2, s22, v10
	v_add_nc_u32_e32 v4, s40, v10
	v_mul_lo_u32 v2, v2, s21
	v_mul_lo_u32 v4, v4, s23
	v_sub_nc_u32_e32 v2, v2, v4
	v_cmp_lt_u32_e64 s0, s41, v2
	s_and_b32 s2, s0, exec_lo
.LBB128_102:
	s_or_b32 exec_lo, exec_lo, s3
	v_mov_b32_e32 v2, 8
	v_cndmask_b32_e64 v4, 0, 1, vcc_lo
	v_mov_b32_e32 v5, 0xff
	v_cndmask_b32_e64 v34, 0, 1, s2
	v_lshrrev_b32_sdwa v2, v2, v3 dst_sel:BYTE_1 dst_unused:UNUSED_PAD src0_sel:DWORD src1_sel:DWORD
	v_lshlrev_b16 v4, 8, v4
	v_and_b32_sdwa v5, v3, v5 dst_sel:DWORD dst_unused:UNUSED_PAD src0_sel:WORD_1 src1_sel:DWORD
	v_or_b32_sdwa v2, v3, v2 dst_sel:DWORD dst_unused:UNUSED_PAD src0_sel:BYTE_0 src1_sel:DWORD
	v_or_b32_sdwa v3, v5, v4 dst_sel:WORD_1 dst_unused:UNUSED_PAD src0_sel:DWORD src1_sel:DWORD
	v_or_b32_sdwa v35, v2, v3 dst_sel:DWORD dst_unused:UNUSED_PAD src0_sel:WORD_0 src1_sel:DWORD
.LBB128_103:
	s_or_b32 exec_lo, exec_lo, s1
	v_add_nc_u32_e32 v2, 12, v29
	s_mov_b32 s0, exec_lo
                                        ; implicit-def: $vgpr36
	v_cmpx_le_u32_e64 s7, v2
	s_xor_b32 s0, exec_lo, s0
	s_cbranch_execz .LBB128_105
; %bb.104:
	v_mov_b32_e32 v2, 24
	v_mov_b32_e32 v3, 0xff
	;; [unrolled: 1-line block ×3, first 2 shown]
	v_lshrrev_b32_sdwa v2, v2, v1 dst_sel:BYTE_1 dst_unused:UNUSED_PAD src0_sel:DWORD src1_sel:DWORD
	v_and_b32_sdwa v3, v1, v3 dst_sel:DWORD dst_unused:UNUSED_PAD src0_sel:WORD_1 src1_sel:DWORD
	v_lshrrev_b32_sdwa v1, v4, v1 dst_sel:BYTE_1 dst_unused:UNUSED_PAD src0_sel:DWORD src1_sel:DWORD
	v_or_b32_sdwa v2, v3, v2 dst_sel:WORD_1 dst_unused:UNUSED_PAD src0_sel:DWORD src1_sel:DWORD
	v_or_b32_sdwa v36, v1, v2 dst_sel:DWORD dst_unused:UNUSED_PAD src0_sel:WORD_0 src1_sel:DWORD
                                        ; implicit-def: $vgpr1
.LBB128_105:
	s_or_saveexec_b32 s1, s0
	v_mov_b32_e32 v37, 0
	s_xor_b32 exec_lo, exec_lo, s1
	s_cbranch_execz .LBB128_109
; %bb.106:
	v_add_nc_u32_e32 v2, s17, v28
	v_add_nc_u32_e32 v3, s19, v28
	s_mov_b32 s2, 0
	s_mov_b32 s3, exec_lo
	v_mul_lo_u32 v2, v2, s16
	v_mul_lo_u32 v3, v3, s18
	v_sub_nc_u32_e32 v2, v2, v3
	v_cmp_lt_u32_e32 vcc_lo, s20, v2
	v_cmpx_ge_u32_e64 s20, v2
	s_cbranch_execz .LBB128_108
; %bb.107:
	v_add_nc_u32_e32 v2, s22, v28
	v_add_nc_u32_e32 v3, s40, v28
	v_mul_lo_u32 v2, v2, s21
	v_mul_lo_u32 v3, v3, s23
	v_sub_nc_u32_e32 v2, v2, v3
	v_cmp_lt_u32_e64 s0, s41, v2
	s_and_b32 s2, s0, exec_lo
.LBB128_108:
	s_or_b32 exec_lo, exec_lo, s3
	v_mov_b32_e32 v2, 24
	v_mov_b32_e32 v3, 0xff
	;; [unrolled: 1-line block ×3, first 2 shown]
	v_cndmask_b32_e64 v5, 0, 1, vcc_lo
	v_cndmask_b32_e64 v37, 0, 1, s2
	v_lshrrev_b32_sdwa v2, v2, v1 dst_sel:BYTE_1 dst_unused:UNUSED_PAD src0_sel:DWORD src1_sel:DWORD
	v_and_b32_sdwa v3, v1, v3 dst_sel:DWORD dst_unused:UNUSED_PAD src0_sel:WORD_1 src1_sel:DWORD
	v_lshrrev_b32_sdwa v1, v4, v1 dst_sel:BYTE_1 dst_unused:UNUSED_PAD src0_sel:DWORD src1_sel:DWORD
	v_or_b32_sdwa v2, v3, v2 dst_sel:WORD_1 dst_unused:UNUSED_PAD src0_sel:DWORD src1_sel:DWORD
	v_or_b32_e32 v1, v5, v1
	v_or_b32_sdwa v36, v1, v2 dst_sel:DWORD dst_unused:UNUSED_PAD src0_sel:WORD_0 src1_sel:DWORD
.LBB128_109:
	s_or_b32 exec_lo, exec_lo, s1
.LBB128_110:
	v_and_b32_e32 v60, 0xff, v30
	v_bfe_u32 v61, v36, 8, 8
	v_bfe_u32 v57, v30, 8, 8
	;; [unrolled: 1-line block ×4, first 2 shown]
	v_lshrrev_b32_e32 v43, 24, v36
	v_lshrrev_b32_e32 v42, 24, v30
	v_and_b32_e32 v56, 0xff, v31
	v_and_b32_e32 v54, 0xff, v32
	v_bfe_u32 v55, v31, 8, 8
	v_add3_u32 v1, v57, v60, v59
	v_add3_u32 v2, v58, v61, v43
	v_bfe_u32 v52, v32, 8, 8
	v_bfe_u32 v53, v31, 16, 8
	;; [unrolled: 1-line block ×3, first 2 shown]
	v_lshrrev_b32_e32 v41, 24, v31
	v_add3_u32 v1, v1, v42, v54
	v_add3_u32 v2, v2, v56, v55
	v_lshrrev_b32_e32 v40, 24, v32
	v_and_b32_e32 v51, 0xff, v33
	v_and_b32_e32 v49, 0xff, v35
	v_bfe_u32 v50, v33, 8, 8
	v_add3_u32 v1, v1, v52, v46
	v_add3_u32 v2, v2, v53, v41
	v_bfe_u32 v47, v35, 8, 8
	v_bfe_u32 v48, v33, 16, 8
	;; [unrolled: 1-line block ×3, first 2 shown]
	v_lshrrev_b32_e32 v39, 24, v33
	v_add3_u32 v1, v1, v40, v49
	v_add3_u32 v2, v2, v51, v50
	v_mbcnt_lo_u32_b32 v62, -1, 0
	v_lshrrev_b32_e32 v38, 24, v35
	v_and_b32_e32 v44, 0xff, v34
	v_and_b32_e32 v3, 0xff, v36
	;; [unrolled: 1-line block ×3, first 2 shown]
	v_add3_u32 v1, v1, v47, v45
	v_add3_u32 v2, v2, v48, v39
	v_and_b32_e32 v64, 15, v62
	v_and_b32_e32 v66, 16, v62
	v_lshrrev_b32_e32 v63, 5, v0
	v_add3_u32 v67, v1, v38, v3
	v_add3_u32 v68, v2, v44, v4
	v_cmp_eq_u32_e64 s1, 0, v64
	v_cmp_lt_u32_e64 s0, 1, v64
	v_cmp_lt_u32_e64 s2, 3, v64
	v_or_b32_e32 v65, 31, v0
	s_cmp_lg_u32 s6, 0
	s_mov_b32 s3, -1
	v_cmp_lt_u32_e32 vcc_lo, 7, v64
	s_cbranch_scc0 .LBB128_132
; %bb.111:
	v_mov_b32_dpp v1, v68 row_shr:1 row_mask:0xf bank_mask:0xf
	v_mov_b32_dpp v2, v67 row_shr:1 row_mask:0xf bank_mask:0xf
	s_mov_b32 s3, exec_lo
	v_add_nc_u32_e32 v1, v1, v68
	v_add_nc_u32_e32 v2, v2, v67
	v_cndmask_b32_e64 v1, v1, v68, s1
	v_cndmask_b32_e64 v2, v2, v67, s1
	v_mov_b32_dpp v3, v1 row_shr:2 row_mask:0xf bank_mask:0xf
	v_mov_b32_dpp v4, v2 row_shr:2 row_mask:0xf bank_mask:0xf
	v_add_nc_u32_e32 v3, v1, v3
	v_add_nc_u32_e32 v4, v2, v4
	v_cndmask_b32_e64 v1, v1, v3, s0
	v_cndmask_b32_e64 v2, v2, v4, s0
	v_mov_b32_dpp v3, v1 row_shr:4 row_mask:0xf bank_mask:0xf
	v_mov_b32_dpp v4, v2 row_shr:4 row_mask:0xf bank_mask:0xf
	;; [unrolled: 6-line block ×3, first 2 shown]
	v_add_nc_u32_e32 v3, v1, v3
	v_add_nc_u32_e32 v4, v2, v4
	v_cndmask_b32_e32 v1, v1, v3, vcc_lo
	v_cndmask_b32_e32 v2, v2, v4, vcc_lo
	v_cmp_eq_u32_e32 vcc_lo, 0, v66
	ds_swizzle_b32 v3, v1 offset:swizzle(BROADCAST,32,15)
	ds_swizzle_b32 v4, v2 offset:swizzle(BROADCAST,32,15)
	s_waitcnt lgkmcnt(0)
	v_add_nc_u32_e32 v3, v1, v3
	v_add_nc_u32_e32 v4, v2, v4
	v_cmpx_eq_u32_e64 v0, v65
	s_cbranch_execz .LBB128_113
; %bb.112:
	v_lshlrev_b32_e32 v7, 3, v63
	v_cndmask_b32_e32 v6, v3, v1, vcc_lo
	v_cndmask_b32_e32 v5, v4, v2, vcc_lo
	ds_write_b64 v7, v[5:6]
.LBB128_113:
	s_or_b32 exec_lo, exec_lo, s3
	s_mov_b32 s3, exec_lo
	s_waitcnt lgkmcnt(0)
	s_barrier
	buffer_gl0_inv
	v_cmpx_gt_u32_e32 8, v0
	s_cbranch_execz .LBB128_115
; %bb.114:
	v_lshlrev_b32_e32 v7, 3, v0
	v_and_b32_e32 v22, 7, v62
	ds_read_b64 v[5:6], v7
	v_cmp_eq_u32_e64 s2, 0, v22
	s_waitcnt lgkmcnt(0)
	v_mov_b32_dpp v8, v5 row_shr:1 row_mask:0xf bank_mask:0xf
	v_mov_b32_dpp v21, v6 row_shr:1 row_mask:0xf bank_mask:0xf
	v_add_nc_u32_e32 v8, v8, v5
	v_add_nc_u32_e32 v21, v21, v6
	v_cndmask_b32_e64 v5, v8, v5, s2
	v_cndmask_b32_e64 v6, v21, v6, s2
	v_cmp_lt_u32_e64 s2, 1, v22
	v_mov_b32_dpp v8, v5 row_shr:2 row_mask:0xf bank_mask:0xf
	v_mov_b32_dpp v21, v6 row_shr:2 row_mask:0xf bank_mask:0xf
	v_add_nc_u32_e32 v8, v5, v8
	v_add_nc_u32_e32 v21, v6, v21
	v_cndmask_b32_e64 v5, v5, v8, s2
	v_cndmask_b32_e64 v6, v6, v21, s2
	v_cmp_lt_u32_e64 s2, 3, v22
	v_mov_b32_dpp v8, v5 row_shr:4 row_mask:0xf bank_mask:0xf
	v_mov_b32_dpp v21, v6 row_shr:4 row_mask:0xf bank_mask:0xf
	v_cndmask_b32_e64 v8, 0, v8, s2
	v_cndmask_b32_e64 v21, 0, v21, s2
	v_add_nc_u32_e32 v5, v8, v5
	v_add_nc_u32_e32 v6, v21, v6
	ds_write_b64 v7, v[5:6]
.LBB128_115:
	s_or_b32 exec_lo, exec_lo, s3
	v_cndmask_b32_e32 v1, v3, v1, vcc_lo
	v_cndmask_b32_e32 v2, v4, v2, vcc_lo
	s_mov_b32 s3, exec_lo
	v_cmp_gt_u32_e32 vcc_lo, 32, v0
	s_waitcnt lgkmcnt(0)
	s_barrier
	buffer_gl0_inv
                                        ; implicit-def: $vgpr21
	v_cmpx_lt_u32_e32 31, v0
	s_cbranch_execz .LBB128_117
; %bb.116:
	v_lshl_add_u32 v3, v63, 3, -8
	ds_read_b64 v[21:22], v3
	s_waitcnt lgkmcnt(0)
	v_add_nc_u32_e32 v1, v22, v1
	v_add_nc_u32_e32 v2, v21, v2
.LBB128_117:
	s_or_b32 exec_lo, exec_lo, s3
	v_sub_co_u32 v3, s2, v62, 1
	v_cmp_gt_i32_e64 s3, 0, v3
	v_cndmask_b32_e64 v3, v3, v62, s3
	v_lshlrev_b32_e32 v3, 2, v3
	ds_bpermute_b32 v69, v3, v2
	ds_bpermute_b32 v70, v3, v1
	s_and_saveexec_b32 s3, vcc_lo
	s_cbranch_execz .LBB128_137
; %bb.118:
	v_mov_b32_e32 v4, 0
	ds_read_b64 v[1:2], v4 offset:56
	s_and_saveexec_b32 s8, s2
	s_cbranch_execz .LBB128_120
; %bb.119:
	s_add_i32 s10, s6, 32
	s_mov_b32 s11, 0
	v_mov_b32_e32 v3, 1
	s_lshl_b64 s[10:11], s[10:11], 4
	s_add_u32 s10, s4, s10
	s_addc_u32 s11, s5, s11
	v_mov_b32_e32 v5, s10
	v_mov_b32_e32 v6, s11
	s_waitcnt lgkmcnt(0)
	;;#ASMSTART
	global_store_dwordx4 v[5:6], v[1:4] off	
s_waitcnt vmcnt(0)
	;;#ASMEND
.LBB128_120:
	s_or_b32 exec_lo, exec_lo, s8
	v_xad_u32 v23, v62, -1, s6
	s_mov_b32 s9, 0
	v_add_nc_u32_e32 v3, 32, v23
	v_lshlrev_b64 v[5:6], 4, v[3:4]
	v_add_co_u32 v24, vcc_lo, s4, v5
	v_add_co_ci_u32_e64 v25, null, s5, v6, vcc_lo
	;;#ASMSTART
	global_load_dwordx4 v[5:8], v[24:25] off glc dlc	
s_waitcnt vmcnt(0)
	;;#ASMEND
	v_cmp_eq_u16_sdwa s10, v7, v4 src0_sel:BYTE_0 src1_sel:DWORD
	s_and_saveexec_b32 s8, s10
	s_cbranch_execz .LBB128_124
; %bb.121:
	v_mov_b32_e32 v3, 0
.LBB128_122:                            ; =>This Inner Loop Header: Depth=1
	;;#ASMSTART
	global_load_dwordx4 v[5:8], v[24:25] off glc dlc	
s_waitcnt vmcnt(0)
	;;#ASMEND
	v_cmp_ne_u16_sdwa s10, v7, v3 src0_sel:BYTE_0 src1_sel:DWORD
	s_or_b32 s9, s10, s9
	s_andn2_b32 exec_lo, exec_lo, s9
	s_cbranch_execnz .LBB128_122
; %bb.123:
	s_or_b32 exec_lo, exec_lo, s9
.LBB128_124:
	s_or_b32 exec_lo, exec_lo, s8
	v_cmp_ne_u32_e32 vcc_lo, 31, v62
	v_mov_b32_e32 v72, 2
	v_lshlrev_b32_e64 v73, v62, -1
	v_add_nc_u32_e32 v75, 2, v62
	v_add_nc_u32_e32 v77, 4, v62
	v_add_co_ci_u32_e64 v3, null, 0, v62, vcc_lo
	v_cmp_eq_u16_sdwa s8, v7, v72 src0_sel:BYTE_0 src1_sel:DWORD
	v_cmp_gt_u32_e32 vcc_lo, 30, v62
	v_add_nc_u32_e32 v79, 8, v62
	v_lshlrev_b32_e32 v71, 2, v3
	v_lshl_or_b32 v80, v62, 2, 64
	v_and_b32_e32 v8, s8, v73
	v_cndmask_b32_e64 v24, 0, 2, vcc_lo
	v_add_nc_u32_e32 v81, 16, v62
	ds_bpermute_b32 v3, v71, v6
	ds_bpermute_b32 v4, v71, v5
	v_or_b32_e32 v8, 0x80000000, v8
	v_add_lshl_u32 v74, v24, v62, 2
	v_ffbl_b32_e32 v8, v8
	v_cmp_lt_u32_e32 vcc_lo, v62, v8
	s_waitcnt lgkmcnt(1)
	v_add_nc_u32_e32 v3, v3, v6
	s_waitcnt lgkmcnt(0)
	v_add_nc_u32_e32 v4, v4, v5
	v_cndmask_b32_e32 v3, v6, v3, vcc_lo
	v_cndmask_b32_e32 v4, v5, v4, vcc_lo
	v_cmp_gt_u32_e32 vcc_lo, 28, v62
	ds_bpermute_b32 v5, v74, v3
	ds_bpermute_b32 v6, v74, v4
	v_cndmask_b32_e64 v24, 0, 4, vcc_lo
	v_cmp_gt_u32_e32 vcc_lo, v75, v8
	v_add_lshl_u32 v76, v24, v62, 2
	s_waitcnt lgkmcnt(1)
	v_add_nc_u32_e32 v5, v3, v5
	s_waitcnt lgkmcnt(0)
	v_add_nc_u32_e32 v6, v4, v6
	v_cndmask_b32_e32 v3, v5, v3, vcc_lo
	v_cndmask_b32_e32 v4, v6, v4, vcc_lo
	v_cmp_gt_u32_e32 vcc_lo, 24, v62
	ds_bpermute_b32 v5, v76, v3
	ds_bpermute_b32 v6, v76, v4
	v_cndmask_b32_e64 v24, 0, 8, vcc_lo
	v_cmp_gt_u32_e32 vcc_lo, v77, v8
	v_add_lshl_u32 v78, v24, v62, 2
	v_mov_b32_e32 v24, 0
	s_waitcnt lgkmcnt(1)
	v_add_nc_u32_e32 v5, v3, v5
	s_waitcnt lgkmcnt(0)
	v_add_nc_u32_e32 v6, v4, v6
	v_cndmask_b32_e32 v3, v5, v3, vcc_lo
	v_cndmask_b32_e32 v4, v6, v4, vcc_lo
	v_cmp_gt_u32_e32 vcc_lo, v79, v8
	ds_bpermute_b32 v5, v78, v3
	ds_bpermute_b32 v6, v78, v4
	s_waitcnt lgkmcnt(1)
	v_add_nc_u32_e32 v5, v3, v5
	s_waitcnt lgkmcnt(0)
	v_add_nc_u32_e32 v6, v4, v6
	v_cndmask_b32_e32 v3, v5, v3, vcc_lo
	v_cndmask_b32_e32 v4, v6, v4, vcc_lo
	v_cmp_le_u32_e32 vcc_lo, v81, v8
	ds_bpermute_b32 v6, v80, v3
	ds_bpermute_b32 v5, v80, v4
	s_waitcnt lgkmcnt(1)
	v_cndmask_b32_e32 v6, 0, v6, vcc_lo
	s_waitcnt lgkmcnt(0)
	v_cndmask_b32_e32 v5, 0, v5, vcc_lo
	v_add_nc_u32_e32 v6, v6, v3
	v_add_nc_u32_e32 v5, v5, v4
	s_branch .LBB128_128
.LBB128_125:                            ;   in Loop: Header=BB128_128 Depth=1
	s_or_b32 exec_lo, exec_lo, s9
.LBB128_126:                            ;   in Loop: Header=BB128_128 Depth=1
	s_or_b32 exec_lo, exec_lo, s8
	ds_bpermute_b32 v8, v71, v5
	ds_bpermute_b32 v25, v71, v6
	v_cmp_eq_u16_sdwa s8, v7, v72 src0_sel:BYTE_0 src1_sel:DWORD
	v_subrev_nc_u32_e32 v23, 32, v23
	v_and_or_b32 v26, s8, v73, 0x80000000
	s_mov_b32 s8, 0
	v_ffbl_b32_e32 v26, v26
	v_cmp_lt_u32_e32 vcc_lo, v62, v26
	s_waitcnt lgkmcnt(1)
	v_add_nc_u32_e32 v8, v8, v5
	s_waitcnt lgkmcnt(0)
	v_add_nc_u32_e32 v25, v25, v6
	v_cndmask_b32_e32 v5, v5, v8, vcc_lo
	v_cndmask_b32_e32 v6, v6, v25, vcc_lo
	v_cmp_gt_u32_e32 vcc_lo, v75, v26
	ds_bpermute_b32 v8, v74, v5
	ds_bpermute_b32 v25, v74, v6
	s_waitcnt lgkmcnt(1)
	v_add_nc_u32_e32 v8, v5, v8
	s_waitcnt lgkmcnt(0)
	v_add_nc_u32_e32 v25, v6, v25
	v_cndmask_b32_e32 v5, v8, v5, vcc_lo
	v_cndmask_b32_e32 v6, v25, v6, vcc_lo
	v_cmp_gt_u32_e32 vcc_lo, v77, v26
	ds_bpermute_b32 v8, v76, v5
	ds_bpermute_b32 v25, v76, v6
	;; [unrolled: 9-line block ×3, first 2 shown]
	s_waitcnt lgkmcnt(1)
	v_add_nc_u32_e32 v8, v5, v8
	s_waitcnt lgkmcnt(0)
	v_add_nc_u32_e32 v25, v6, v25
	v_cndmask_b32_e32 v5, v8, v5, vcc_lo
	v_cndmask_b32_e32 v6, v25, v6, vcc_lo
	v_cmp_le_u32_e32 vcc_lo, v81, v26
	ds_bpermute_b32 v8, v80, v5
	ds_bpermute_b32 v25, v80, v6
	s_waitcnt lgkmcnt(1)
	v_cndmask_b32_e32 v8, 0, v8, vcc_lo
	s_waitcnt lgkmcnt(0)
	v_cndmask_b32_e32 v25, 0, v25, vcc_lo
	v_add3_u32 v5, v5, v3, v8
	v_add3_u32 v6, v6, v4, v25
.LBB128_127:                            ;   in Loop: Header=BB128_128 Depth=1
	s_and_b32 vcc_lo, exec_lo, s8
	s_cbranch_vccnz .LBB128_133
.LBB128_128:                            ; =>This Loop Header: Depth=1
                                        ;     Child Loop BB128_131 Depth 2
	v_cmp_ne_u16_sdwa s8, v7, v72 src0_sel:BYTE_0 src1_sel:DWORD
	v_mov_b32_e32 v3, v5
	v_mov_b32_e32 v4, v6
                                        ; implicit-def: $vgpr7
                                        ; implicit-def: $vgpr5_vgpr6
	s_cmp_lg_u32 s8, exec_lo
	s_mov_b32 s8, -1
	s_cbranch_scc1 .LBB128_127
; %bb.129:                              ;   in Loop: Header=BB128_128 Depth=1
	v_lshlrev_b64 v[5:6], 4, v[23:24]
	v_add_co_u32 v25, vcc_lo, s4, v5
	v_add_co_ci_u32_e64 v26, null, s5, v6, vcc_lo
	;;#ASMSTART
	global_load_dwordx4 v[5:8], v[25:26] off glc dlc	
s_waitcnt vmcnt(0)
	;;#ASMEND
	v_cmp_eq_u16_sdwa s9, v7, v24 src0_sel:BYTE_0 src1_sel:DWORD
	s_and_saveexec_b32 s8, s9
	s_cbranch_execz .LBB128_126
; %bb.130:                              ;   in Loop: Header=BB128_128 Depth=1
	s_mov_b32 s9, 0
.LBB128_131:                            ;   Parent Loop BB128_128 Depth=1
                                        ; =>  This Inner Loop Header: Depth=2
	;;#ASMSTART
	global_load_dwordx4 v[5:8], v[25:26] off glc dlc	
s_waitcnt vmcnt(0)
	;;#ASMEND
	v_cmp_ne_u16_sdwa s10, v7, v24 src0_sel:BYTE_0 src1_sel:DWORD
	s_or_b32 s9, s10, s9
	s_andn2_b32 exec_lo, exec_lo, s9
	s_cbranch_execnz .LBB128_131
	s_branch .LBB128_125
.LBB128_132:
                                        ; implicit-def: $vgpr23
                                        ; implicit-def: $vgpr3
                                        ; implicit-def: $vgpr24
	s_and_b32 vcc_lo, exec_lo, s3
	s_cbranch_vccnz .LBB128_138
	s_branch .LBB128_147
.LBB128_133:
	s_and_saveexec_b32 s8, s2
	s_cbranch_execnz .LBB128_375
; %bb.134:
	s_or_b32 exec_lo, exec_lo, s8
	s_and_saveexec_b32 s6, s2
	s_cbranch_execnz .LBB128_376
.LBB128_135:
	s_or_b32 exec_lo, exec_lo, s6
	v_cmp_eq_u32_e32 vcc_lo, 0, v0
	s_and_b32 exec_lo, exec_lo, vcc_lo
.LBB128_136:
	v_mov_b32_e32 v1, 0
	ds_write_b64 v1, v[3:4] offset:56
.LBB128_137:
	s_or_b32 exec_lo, exec_lo, s3
	v_mov_b32_e32 v1, 0
	s_waitcnt lgkmcnt(0)
	s_barrier
	buffer_gl0_inv
	v_cndmask_b32_e64 v7, v69, v21, s2
	ds_read_b64 v[5:6], v1 offset:56
	s_waitcnt lgkmcnt(0)
	s_barrier
	buffer_gl0_inv
	ds_read_b128 v[1:4], v1 offset:13312
	v_cndmask_b32_e64 v8, v70, v22, s2
	v_cmp_eq_u32_e32 vcc_lo, 0, v0
	v_add_nc_u32_e32 v7, v5, v7
	v_add_nc_u32_e32 v8, v6, v8
	v_cndmask_b32_e32 v24, v7, v5, vcc_lo
	v_cndmask_b32_e32 v23, v8, v6, vcc_lo
	s_branch .LBB128_147
.LBB128_138:
	s_waitcnt lgkmcnt(0)
	v_mov_b32_dpp v1, v67 row_shr:1 row_mask:0xf bank_mask:0xf
	v_mov_b32_dpp v2, v68 row_shr:1 row_mask:0xf bank_mask:0xf
	v_cmp_lt_u32_e32 vcc_lo, 3, v64
	v_add_nc_u32_e32 v1, v1, v67
	v_add_nc_u32_e32 v2, v2, v68
	v_cndmask_b32_e64 v1, v1, v67, s1
	v_cndmask_b32_e64 v2, v2, v68, s1
	s_mov_b32 s1, exec_lo
	v_mov_b32_dpp v3, v1 row_shr:2 row_mask:0xf bank_mask:0xf
	v_mov_b32_dpp v4, v2 row_shr:2 row_mask:0xf bank_mask:0xf
	v_add_nc_u32_e32 v3, v1, v3
	v_add_nc_u32_e32 v4, v2, v4
	v_cndmask_b32_e64 v1, v1, v3, s0
	v_cndmask_b32_e64 v2, v2, v4, s0
	v_mov_b32_dpp v3, v1 row_shr:4 row_mask:0xf bank_mask:0xf
	v_mov_b32_dpp v4, v2 row_shr:4 row_mask:0xf bank_mask:0xf
	v_add_nc_u32_e32 v3, v1, v3
	v_add_nc_u32_e32 v4, v2, v4
	v_cndmask_b32_e32 v3, v1, v3, vcc_lo
	v_cndmask_b32_e32 v2, v2, v4, vcc_lo
	v_cmp_lt_u32_e32 vcc_lo, 7, v64
	v_mov_b32_dpp v1, v3 row_shr:8 row_mask:0xf bank_mask:0xf
	v_mov_b32_dpp v4, v2 row_shr:8 row_mask:0xf bank_mask:0xf
	v_add_nc_u32_e32 v5, v3, v1
	v_add_nc_u32_e32 v1, v2, v4
	v_cndmask_b32_e32 v1, v2, v1, vcc_lo
	v_cndmask_b32_e32 v2, v3, v5, vcc_lo
	v_cmp_eq_u32_e32 vcc_lo, 0, v66
	ds_swizzle_b32 v3, v1 offset:swizzle(BROADCAST,32,15)
	ds_swizzle_b32 v4, v2 offset:swizzle(BROADCAST,32,15)
	s_waitcnt lgkmcnt(1)
	v_add_nc_u32_e32 v3, v1, v3
	s_waitcnt lgkmcnt(0)
	v_add_nc_u32_e32 v4, v2, v4
	v_cmpx_eq_u32_e64 v0, v65
	s_cbranch_execz .LBB128_140
; %bb.139:
	v_cndmask_b32_e32 v5, v4, v2, vcc_lo
	v_cndmask_b32_e32 v6, v3, v1, vcc_lo
	v_lshlrev_b32_e32 v7, 3, v63
	ds_write_b64 v7, v[5:6]
.LBB128_140:
	s_or_b32 exec_lo, exec_lo, s1
	s_mov_b32 s1, exec_lo
	s_waitcnt lgkmcnt(0)
	s_barrier
	buffer_gl0_inv
	v_cmpx_gt_u32_e32 8, v0
	s_cbranch_execz .LBB128_142
; %bb.141:
	v_lshlrev_b32_e32 v7, 3, v0
	v_and_b32_e32 v22, 7, v62
	ds_read_b64 v[5:6], v7
	v_cmp_eq_u32_e64 s0, 0, v22
	s_waitcnt lgkmcnt(0)
	v_mov_b32_dpp v8, v5 row_shr:1 row_mask:0xf bank_mask:0xf
	v_mov_b32_dpp v21, v6 row_shr:1 row_mask:0xf bank_mask:0xf
	v_add_nc_u32_e32 v8, v8, v5
	v_add_nc_u32_e32 v21, v21, v6
	v_cndmask_b32_e64 v5, v8, v5, s0
	v_cndmask_b32_e64 v6, v21, v6, s0
	v_cmp_lt_u32_e64 s0, 1, v22
	v_mov_b32_dpp v8, v5 row_shr:2 row_mask:0xf bank_mask:0xf
	v_mov_b32_dpp v21, v6 row_shr:2 row_mask:0xf bank_mask:0xf
	v_add_nc_u32_e32 v8, v5, v8
	v_add_nc_u32_e32 v21, v6, v21
	v_cndmask_b32_e64 v5, v5, v8, s0
	v_cndmask_b32_e64 v6, v6, v21, s0
	v_cmp_lt_u32_e64 s0, 3, v22
	v_mov_b32_dpp v8, v5 row_shr:4 row_mask:0xf bank_mask:0xf
	v_mov_b32_dpp v21, v6 row_shr:4 row_mask:0xf bank_mask:0xf
	v_cndmask_b32_e64 v8, 0, v8, s0
	v_cndmask_b32_e64 v21, 0, v21, s0
	v_add_nc_u32_e32 v5, v8, v5
	v_add_nc_u32_e32 v6, v21, v6
	ds_write_b64 v7, v[5:6]
.LBB128_142:
	s_or_b32 exec_lo, exec_lo, s1
	v_mov_b32_e32 v7, 0
	v_mov_b32_e32 v5, 0
	;; [unrolled: 1-line block ×3, first 2 shown]
	s_mov_b32 s1, exec_lo
	s_waitcnt lgkmcnt(0)
	s_barrier
	buffer_gl0_inv
	v_cmpx_lt_u32_e32 31, v0
; %bb.143:
	v_lshl_add_u32 v5, v63, 3, -8
	ds_read_b64 v[5:6], v5
; %bb.144:
	s_or_b32 exec_lo, exec_lo, s1
	v_sub_co_u32 v8, s0, v62, 1
	v_cndmask_b32_e32 v2, v4, v2, vcc_lo
	v_cndmask_b32_e32 v1, v3, v1, vcc_lo
	v_cmp_eq_u32_e32 vcc_lo, 0, v0
	v_cmp_gt_i32_e64 s1, 0, v8
	s_waitcnt lgkmcnt(0)
	v_add_nc_u32_e32 v2, v5, v2
	v_add_nc_u32_e32 v1, v6, v1
	v_cndmask_b32_e64 v4, v8, v62, s1
	v_lshlrev_b32_e32 v3, 2, v4
	ds_bpermute_b32 v8, v3, v2
	ds_bpermute_b32 v21, v3, v1
	ds_read_b64 v[1:2], v7 offset:56
	s_and_saveexec_b32 s1, vcc_lo
	s_cbranch_execz .LBB128_146
; %bb.145:
	s_add_u32 s2, s4, 0x200
	s_addc_u32 s3, s5, 0
	v_mov_b32_e32 v3, 2
	v_mov_b32_e32 v23, s3
	;; [unrolled: 1-line block ×4, first 2 shown]
	s_waitcnt lgkmcnt(0)
	;;#ASMSTART
	global_store_dwordx4 v[22:23], v[1:4] off	
s_waitcnt vmcnt(0)
	;;#ASMEND
.LBB128_146:
	s_or_b32 exec_lo, exec_lo, s1
	s_waitcnt lgkmcnt(1)
	v_cndmask_b32_e64 v3, v21, v6, s0
	v_cndmask_b32_e64 v5, v8, v5, s0
	v_mov_b32_e32 v4, 0
	s_waitcnt lgkmcnt(0)
	s_barrier
	v_cndmask_b32_e64 v23, v3, 0, vcc_lo
	v_cndmask_b32_e64 v24, v5, 0, vcc_lo
	v_mov_b32_e32 v3, 0
	buffer_gl0_inv
.LBB128_147:
	v_add_nc_u32_e32 v61, v23, v61
	v_add_nc_u32_e32 v60, v24, v60
	s_waitcnt lgkmcnt(0)
	v_sub_nc_u32_e32 v23, v23, v4
	v_lshrrev_b32_e32 v26, 8, v36
	v_lshlrev_b32_e32 v66, 1, v1
	v_add_nc_u32_e32 v58, v61, v58
	v_sub_nc_u32_e32 v61, v61, v4
	v_add_nc_u32_e32 v57, v60, v57
	v_sub_nc_u32_e32 v24, v24, v3
	v_sub_nc_u32_e32 v60, v60, v3
	v_add_nc_u32_e32 v23, v23, v1
	v_add_nc_u32_e32 v61, v61, v1
	v_and_b32_e32 v26, 1, v26
	v_mov_b32_e32 v68, 1
	v_add3_u32 v29, v66, v2, v29
	v_add_nc_u32_e32 v73, v24, v23
	v_add_nc_u32_e32 v72, v61, v60
	v_cmp_eq_u32_e32 vcc_lo, 1, v26
	v_and_b32_sdwa v71, v68, v36 dst_sel:DWORD dst_unused:UNUSED_PAD src0_sel:DWORD src1_sel:WORD_1
	v_lshrrev_b32_e32 v25, 8, v30
	v_sub_nc_u32_e32 v73, v29, v73
	v_sub_nc_u32_e32 v72, v29, v72
	v_and_b32_e32 v67, 1, v30
	v_add_nc_u32_e32 v62, v58, v43
	v_and_b32_e32 v25, 1, v25
	v_cndmask_b32_e32 v23, v73, v23, vcc_lo
	v_add_nc_u32_e32 v72, 1, v72
	v_cmp_eq_u32_e32 vcc_lo, 1, v71
	v_sub_nc_u32_e32 v58, v58, v4
	v_add_nc_u32_e32 v59, v57, v59
	v_sub_nc_u32_e32 v57, v57, v3
	v_add_co_u32 v5, s0, s28, v3
	v_cndmask_b32_e32 v26, v72, v61, vcc_lo
	v_cmp_eq_u32_e32 vcc_lo, 1, v67
	v_add_nc_u32_e32 v58, v58, v1
	v_add_co_ci_u32_e64 v6, null, s29, 0, s0
	v_sub_co_u32 v64, s0, s30, v1
	v_cndmask_b32_e32 v67, v23, v24, vcc_lo
	v_cmp_eq_u32_e32 vcc_lo, 1, v25
	v_sub_co_ci_u32_e64 v65, null, s31, 0, s0
	v_and_b32_e32 v43, 1, v43
	v_add_nc_u32_e32 v56, v62, v56
	v_cndmask_b32_e32 v25, v26, v60, vcc_lo
	v_add_nc_u32_e32 v26, v58, v57
	v_add_co_u32 v23, vcc_lo, v64, v4
	v_add_co_ci_u32_e64 v24, null, 0, v65, vcc_lo
	v_sub_nc_u32_e32 v26, v29, v26
	v_sub_nc_u32_e32 v62, v62, v4
	v_and_b32_sdwa v30, v68, v30 dst_sel:DWORD dst_unused:UNUSED_PAD src0_sel:DWORD src1_sel:WORD_1
	v_cmp_eq_u32_e32 vcc_lo, 1, v43
	v_add_nc_u32_e32 v63, v59, v42
	v_add_nc_u32_e32 v26, 2, v26
	v_sub_nc_u32_e32 v59, v59, v3
	v_add_nc_u32_e32 v62, v62, v1
	v_add_nc_u32_e32 v55, v56, v55
	v_lshlrev_b32_e32 v60, 2, v67
	v_cndmask_b32_e32 v26, v26, v58, vcc_lo
	v_cmp_eq_u32_e32 vcc_lo, 1, v30
	v_lshlrev_b32_e32 v25, 2, v25
	v_sub_nc_u32_e32 v56, v56, v4
	v_add_nc_u32_e32 v43, v59, v62
	v_sub_nc_u32_e32 v58, v63, v3
	v_cndmask_b32_e32 v26, v26, v57, vcc_lo
	ds_write_b32 v60, v19
	v_add_nc_u32_e32 v56, v56, v1
	v_sub_nc_u32_e32 v19, v29, v43
	ds_write_b32 v25, v20
	v_lshlrev_b32_e32 v25, 2, v26
	v_and_b32_e32 v26, 1, v31
	v_lshrrev_b32_e32 v22, 8, v31
	v_add_nc_u32_e32 v54, v63, v54
	v_add_nc_u32_e32 v20, v58, v56
	v_add_nc_u32_e32 v19, 3, v19
	v_and_b32_e32 v30, 1, v42
	v_sub_nc_u32_e32 v42, v55, v4
	v_cmp_eq_u32_e32 vcc_lo, 1, v26
	v_sub_nc_u32_e32 v20, v29, v20
	v_and_b32_e32 v22, 1, v22
	v_sub_nc_u32_e32 v26, v54, v3
	v_add_nc_u32_e32 v42, v42, v1
	v_cndmask_b32_e32 v19, v19, v62, vcc_lo
	v_cmp_eq_u32_e32 vcc_lo, 1, v30
	v_add_nc_u32_e32 v20, 4, v20
	v_and_b32_e32 v30, 1, v32
	v_add_nc_u32_e32 v43, v26, v42
	v_lshrrev_b32_e32 v21, 8, v32
	v_cndmask_b32_e32 v19, v19, v59, vcc_lo
	v_cmp_eq_u32_e32 vcc_lo, 1, v22
	v_add_nc_u32_e32 v53, v55, v53
	ds_write_b32 v25, v17
	v_and_b32_sdwa v25, v68, v31 dst_sel:DWORD dst_unused:UNUSED_PAD src0_sel:DWORD src1_sel:WORD_1
	v_lshlrev_b32_e32 v17, 2, v19
	v_cndmask_b32_e32 v20, v20, v56, vcc_lo
	v_sub_nc_u32_e32 v19, v29, v43
	v_cmp_eq_u32_e32 vcc_lo, 1, v30
	v_add_nc_u32_e32 v52, v54, v52
	v_add_nc_u32_e32 v69, v53, v41
	v_and_b32_e32 v21, 1, v21
	v_sub_nc_u32_e32 v22, v53, v4
	v_cndmask_b32_e32 v20, v20, v58, vcc_lo
	v_add_nc_u32_e32 v19, 5, v19
	v_cmp_eq_u32_e32 vcc_lo, 1, v25
	v_add_nc_u32_e32 v46, v52, v46
	v_sub_nc_u32_e32 v30, v52, v3
	v_sub_nc_u32_e32 v31, v69, v4
	v_add_nc_u32_e32 v22, v22, v1
	v_cndmask_b32_e32 v19, v19, v42, vcc_lo
	v_cmp_eq_u32_e32 vcc_lo, 1, v21
	v_sub_nc_u32_e32 v25, v46, v3
	v_add_nc_u32_e32 v31, v31, v1
	v_lshlrev_b32_e32 v20, 2, v20
	v_add_nc_u32_e32 v42, v30, v22
	v_cndmask_b32_e32 v19, v19, v26, vcc_lo
	ds_write_b32 v17, v18
	v_add_nc_u32_e32 v21, v25, v31
	ds_write_b32 v20, v15
	v_sub_nc_u32_e32 v17, v29, v42
	v_lshlrev_b32_e32 v15, 2, v19
	v_and_b32_e32 v19, 1, v41
	v_sub_nc_u32_e32 v18, v29, v21
	v_and_b32_e32 v21, 1, v33
	v_add_nc_u32_e32 v17, 6, v17
	v_add_nc_u32_e32 v51, v69, v51
	v_cmp_eq_u32_e32 vcc_lo, 1, v19
	v_and_b32_sdwa v20, v68, v32 dst_sel:DWORD dst_unused:UNUSED_PAD src0_sel:DWORD src1_sel:WORD_1
	v_add_nc_u32_e32 v18, 7, v18
	v_add_nc_u32_e32 v70, v46, v40
	v_sub_nc_u32_e32 v19, v51, v4
	v_cndmask_b32_e32 v17, v17, v22, vcc_lo
	v_cmp_eq_u32_e32 vcc_lo, 1, v21
	v_and_b32_e32 v22, 1, v40
	v_add_nc_u32_e32 v50, v51, v50
	v_sub_nc_u32_e32 v21, v70, v3
	v_add_nc_u32_e32 v19, v19, v1
	v_cndmask_b32_e32 v18, v18, v31, vcc_lo
	v_cmp_eq_u32_e32 vcc_lo, 1, v20
	v_lshrrev_b32_e32 v8, 8, v33
	v_add_nc_u32_e32 v49, v70, v49
	v_add_nc_u32_e32 v20, v21, v19
	ds_write_b32 v15, v16
	v_cndmask_b32_e32 v17, v17, v30, vcc_lo
	v_cmp_eq_u32_e32 vcc_lo, 1, v22
	v_sub_nc_u32_e32 v15, v50, v4
	v_add_nc_u32_e32 v48, v50, v48
	v_and_b32_e32 v8, 1, v8
	v_lshlrev_b32_e32 v16, 2, v17
	v_cndmask_b32_e32 v18, v18, v25, vcc_lo
	v_add_nc_u32_e32 v15, v15, v1
	v_add_nc_u32_e32 v47, v49, v47
	v_cmp_eq_u32_e32 vcc_lo, 1, v8
	v_lshrrev_b32_e32 v7, 8, v35
	v_lshlrev_b32_e32 v17, 2, v18
	v_sub_nc_u32_e32 v18, v29, v20
	v_sub_nc_u32_e32 v20, v49, v3
	ds_write_b32 v16, v13
	ds_write_b32 v17, v14
	v_and_b32_e32 v16, 1, v35
	v_add_nc_u32_e32 v13, 8, v18
	v_add_nc_u32_e32 v14, v20, v15
	v_sub_nc_u32_e32 v17, v48, v4
	v_add_nc_u32_e32 v74, v48, v39
	v_add_nc_u32_e32 v45, v47, v45
	v_cndmask_b32_e32 v8, v13, v19, vcc_lo
	v_sub_nc_u32_e32 v13, v29, v14
	v_sub_nc_u32_e32 v14, v47, v3
	v_add_nc_u32_e32 v17, v17, v1
	v_cmp_eq_u32_e32 vcc_lo, 1, v16
	v_and_b32_sdwa v16, v68, v33 dst_sel:DWORD dst_unused:UNUSED_PAD src0_sel:DWORD src1_sel:WORD_1
	v_add_nc_u32_e32 v44, v74, v44
	v_add_nc_u32_e32 v13, 9, v13
	v_and_b32_e32 v7, 1, v7
	v_cndmask_b32_e32 v8, v8, v21, vcc_lo
	v_add_nc_u32_e32 v18, v14, v17
	v_sub_nc_u32_e32 v19, v74, v4
	v_cmp_eq_u32_e32 vcc_lo, 1, v16
	v_add_nc_u32_e32 v61, v45, v38
	v_and_b32_e32 v25, 1, v37
	v_sub_nc_u32_e32 v16, v29, v18
	v_sub_nc_u32_e32 v18, v45, v3
	v_cndmask_b32_e32 v13, v13, v15, vcc_lo
	v_sub_nc_u32_e32 v15, v44, v4
	v_add_nc_u32_e32 v19, v19, v1
	v_cmp_eq_u32_e32 vcc_lo, 1, v7
	v_sub_nc_u32_e32 v3, v61, v3
	v_add_nc_u32_e32 v16, 10, v16
	v_add_nc_u32_e32 v15, v15, v1
	v_and_b32_sdwa v22, v68, v35 dst_sel:DWORD dst_unused:UNUSED_PAD src0_sel:DWORD src1_sel:WORD_1
	v_cndmask_b32_e32 v7, v13, v20, vcc_lo
	v_add_nc_u32_e32 v13, v18, v19
	v_and_b32_e32 v20, 1, v39
	v_add_nc_u32_e32 v21, v3, v15
	v_lshlrev_b32_e32 v8, 2, v8
	v_lshlrev_b32_e32 v7, 2, v7
	v_sub_nc_u32_e32 v13, v29, v13
	v_cmp_eq_u32_e32 vcc_lo, 1, v20
	v_and_b32_e32 v20, 1, v34
	v_add_nc_u32_e32 v13, 11, v13
	v_cndmask_b32_e32 v16, v16, v17, vcc_lo
	v_sub_nc_u32_e32 v17, v29, v21
	v_cmp_eq_u32_e32 vcc_lo, 1, v20
	v_and_b32_e32 v21, 1, v38
	v_add_nc_u32_e32 v17, 12, v17
	v_cndmask_b32_e32 v13, v13, v19, vcc_lo
	v_cmp_eq_u32_e32 vcc_lo, 1, v25
	v_and_b32_e32 v19, 1, v36
	v_cndmask_b32_e32 v15, v17, v15, vcc_lo
	v_cmp_eq_u32_e32 vcc_lo, 1, v22
	v_cndmask_b32_e32 v14, v16, v14, vcc_lo
	v_cmp_eq_u32_e32 vcc_lo, 1, v21
	v_lshlrev_b32_e32 v14, 2, v14
	v_cndmask_b32_e32 v13, v13, v18, vcc_lo
	v_cmp_eq_u32_e32 vcc_lo, 1, v19
	v_lshlrev_b32_e32 v13, 2, v13
	v_cndmask_b32_e32 v3, v15, v3, vcc_lo
	v_lshlrev_b32_e32 v3, 2, v3
	ds_write_b32 v8, v11
	ds_write_b32 v7, v12
	;; [unrolled: 1-line block ×5, first 2 shown]
	v_add_co_u32 v3, s0, v2, v66
	v_add_co_ci_u32_e64 v7, null, 0, 0, s0
	s_add_u32 s0, s34, s42
	v_add_co_u32 v3, vcc_lo, v3, v23
	v_add_co_ci_u32_e64 v7, null, v7, v24, vcc_lo
	s_addc_u32 s1, s35, 0
	v_add_co_u32 v3, vcc_lo, v3, v5
	v_add_co_ci_u32_e64 v9, null, v7, v6, vcc_lo
	v_lshlrev_b64 v[7:8], 2, v[23:24]
	v_sub_co_u32 v3, vcc_lo, s0, v3
	v_sub_co_ci_u32_e64 v11, null, s1, v9, vcc_lo
	v_lshlrev_b64 v[9:10], 2, v[5:6]
	v_add_co_u32 v7, vcc_lo, s38, v7
	v_add_co_ci_u32_e64 v8, null, s39, v8, vcc_lo
	v_cmp_ne_u32_e32 vcc_lo, 1, v27
	v_add_co_u32 v9, s0, s36, v9
	v_add_nc_u32_e32 v12, v1, v2
	v_add_co_ci_u32_e64 v10, null, s37, v10, s0
	s_and_b32 vcc_lo, exec_lo, vcc_lo
	s_mov_b32 s0, -1
	s_waitcnt lgkmcnt(0)
	s_barrier
	buffer_gl0_inv
	s_cbranch_vccz .LBB128_151
; %bb.148:
	s_and_b32 vcc_lo, exec_lo, s0
	s_cbranch_vccnz .LBB128_256
.LBB128_149:
	v_cmp_eq_u32_e32 vcc_lo, 0, v0
	s_and_b32 s0, vcc_lo, s33
	s_and_saveexec_b32 s1, s0
	s_cbranch_execnz .LBB128_374
.LBB128_150:
	s_endpgm
.LBB128_151:
	s_mov_b32 s0, exec_lo
	v_cmpx_ge_u32_e64 v0, v1
	s_xor_b32 s0, exec_lo, s0
	s_cbranch_execz .LBB128_157
; %bb.152:
	s_mov_b32 s1, exec_lo
	v_cmpx_ge_u32_e64 v0, v12
	s_xor_b32 s1, exec_lo, s1
	s_cbranch_execz .LBB128_154
; %bb.153:
	v_lshlrev_b32_e32 v13, 2, v0
	ds_read_b32 v15, v13
	v_add_co_u32 v13, vcc_lo, v3, v0
	v_add_co_ci_u32_e64 v14, null, 0, v11, vcc_lo
	v_lshlrev_b64 v[13:14], 2, v[13:14]
	v_sub_co_u32 v13, vcc_lo, s26, v13
	v_sub_co_ci_u32_e64 v14, null, s27, v14, vcc_lo
	s_waitcnt lgkmcnt(0)
	global_store_dword v[13:14], v15, off offset:-4
.LBB128_154:
	s_andn2_saveexec_b32 s1, s1
	s_cbranch_execz .LBB128_156
; %bb.155:
	v_lshlrev_b32_e32 v13, 2, v0
	v_readfirstlane_b32 s2, v7
	v_readfirstlane_b32 s3, v8
	ds_read_b32 v14, v13
	s_waitcnt lgkmcnt(0)
	global_store_dword v13, v14, s[2:3]
.LBB128_156:
	s_or_b32 exec_lo, exec_lo, s1
.LBB128_157:
	s_andn2_saveexec_b32 s0, s0
	s_cbranch_execz .LBB128_159
; %bb.158:
	v_lshlrev_b32_e32 v13, 2, v0
	v_readfirstlane_b32 s2, v9
	v_readfirstlane_b32 s3, v10
	ds_read_b32 v14, v13
	s_waitcnt lgkmcnt(0)
	global_store_dword v13, v14, s[2:3]
.LBB128_159:
	s_or_b32 exec_lo, exec_lo, s0
	v_or_b32_e32 v13, 0x100, v0
	s_mov_b32 s0, exec_lo
	v_cmpx_ge_u32_e64 v13, v1
	s_xor_b32 s0, exec_lo, s0
	s_cbranch_execz .LBB128_165
; %bb.160:
	s_mov_b32 s1, exec_lo
	v_cmpx_ge_u32_e64 v13, v12
	s_xor_b32 s1, exec_lo, s1
	s_cbranch_execz .LBB128_162
; %bb.161:
	v_lshlrev_b32_e32 v13, 2, v0
	ds_read_b32 v15, v13 offset:1024
	v_add_co_u32 v13, vcc_lo, v3, v0
	v_add_co_ci_u32_e64 v14, null, 0, v11, vcc_lo
	v_lshlrev_b64 v[13:14], 2, v[13:14]
	v_sub_co_u32 v13, vcc_lo, s26, v13
	v_sub_co_ci_u32_e64 v14, null, s27, v14, vcc_lo
	s_waitcnt lgkmcnt(0)
	global_store_dword v[13:14], v15, off offset:-1028
.LBB128_162:
	s_andn2_saveexec_b32 s1, s1
	s_cbranch_execz .LBB128_164
; %bb.163:
	v_lshlrev_b32_e32 v13, 2, v0
	v_readfirstlane_b32 s2, v7
	v_readfirstlane_b32 s3, v8
	ds_read_b32 v14, v13 offset:1024
	s_waitcnt lgkmcnt(0)
	global_store_dword v13, v14, s[2:3] offset:1024
.LBB128_164:
	s_or_b32 exec_lo, exec_lo, s1
.LBB128_165:
	s_andn2_saveexec_b32 s0, s0
	s_cbranch_execz .LBB128_167
; %bb.166:
	v_lshlrev_b32_e32 v13, 2, v0
	v_readfirstlane_b32 s2, v9
	v_readfirstlane_b32 s3, v10
	ds_read_b32 v14, v13 offset:1024
	s_waitcnt lgkmcnt(0)
	global_store_dword v13, v14, s[2:3] offset:1024
.LBB128_167:
	s_or_b32 exec_lo, exec_lo, s0
	v_or_b32_e32 v13, 0x200, v0
	s_mov_b32 s0, exec_lo
	v_cmpx_ge_u32_e64 v13, v1
	s_xor_b32 s0, exec_lo, s0
	s_cbranch_execz .LBB128_173
; %bb.168:
	s_mov_b32 s1, exec_lo
	v_cmpx_ge_u32_e64 v13, v12
	s_xor_b32 s1, exec_lo, s1
	s_cbranch_execz .LBB128_170
; %bb.169:
	v_lshlrev_b32_e32 v15, 2, v0
	v_add_co_u32 v13, vcc_lo, v3, v0
	v_add_co_ci_u32_e64 v14, null, 0, v11, vcc_lo
	ds_read_b32 v15, v15 offset:2048
	v_lshlrev_b64 v[13:14], 2, v[13:14]
	v_sub_co_u32 v13, vcc_lo, s26, v13
	v_sub_co_ci_u32_e64 v14, null, s27, v14, vcc_lo
	v_add_co_u32 v13, vcc_lo, 0xfffff800, v13
	v_add_co_ci_u32_e64 v14, null, -1, v14, vcc_lo
	s_waitcnt lgkmcnt(0)
	global_store_dword v[13:14], v15, off offset:-4
                                        ; implicit-def: $vgpr13
.LBB128_170:
	s_andn2_saveexec_b32 s1, s1
	s_cbranch_execz .LBB128_172
; %bb.171:
	v_lshlrev_b32_e32 v14, 2, v0
	v_lshlrev_b32_e32 v13, 2, v13
	v_readfirstlane_b32 s2, v7
	v_readfirstlane_b32 s3, v8
	ds_read_b32 v14, v14 offset:2048
	s_waitcnt lgkmcnt(0)
	global_store_dword v13, v14, s[2:3]
.LBB128_172:
	s_or_b32 exec_lo, exec_lo, s1
                                        ; implicit-def: $vgpr13
.LBB128_173:
	s_andn2_saveexec_b32 s0, s0
	s_cbranch_execz .LBB128_175
; %bb.174:
	v_lshlrev_b32_e32 v14, 2, v0
	v_lshlrev_b32_e32 v13, 2, v13
	v_readfirstlane_b32 s2, v9
	v_readfirstlane_b32 s3, v10
	ds_read_b32 v14, v14 offset:2048
	s_waitcnt lgkmcnt(0)
	global_store_dword v13, v14, s[2:3]
.LBB128_175:
	s_or_b32 exec_lo, exec_lo, s0
	v_or_b32_e32 v13, 0x300, v0
	s_mov_b32 s0, exec_lo
	v_cmpx_ge_u32_e64 v13, v1
	s_xor_b32 s0, exec_lo, s0
	s_cbranch_execz .LBB128_181
; %bb.176:
	s_mov_b32 s1, exec_lo
	v_cmpx_ge_u32_e64 v13, v12
	s_xor_b32 s1, exec_lo, s1
	s_cbranch_execz .LBB128_178
; %bb.177:
	v_lshlrev_b32_e32 v14, 2, v0
	v_add_co_u32 v13, vcc_lo, v3, v13
	ds_read_b32 v15, v14 offset:3072
	v_add_co_ci_u32_e64 v14, null, 0, v11, vcc_lo
	v_lshlrev_b64 v[13:14], 2, v[13:14]
	v_sub_co_u32 v13, vcc_lo, s26, v13
	v_sub_co_ci_u32_e64 v14, null, s27, v14, vcc_lo
	s_waitcnt lgkmcnt(0)
	global_store_dword v[13:14], v15, off offset:-4
                                        ; implicit-def: $vgpr13
.LBB128_178:
	s_andn2_saveexec_b32 s1, s1
	s_cbranch_execz .LBB128_180
; %bb.179:
	v_lshlrev_b32_e32 v14, 2, v0
	v_lshlrev_b32_e32 v13, 2, v13
	v_readfirstlane_b32 s2, v7
	v_readfirstlane_b32 s3, v8
	ds_read_b32 v14, v14 offset:3072
	s_waitcnt lgkmcnt(0)
	global_store_dword v13, v14, s[2:3]
.LBB128_180:
	s_or_b32 exec_lo, exec_lo, s1
                                        ; implicit-def: $vgpr13
.LBB128_181:
	s_andn2_saveexec_b32 s0, s0
	s_cbranch_execz .LBB128_183
; %bb.182:
	v_lshlrev_b32_e32 v14, 2, v0
	v_lshlrev_b32_e32 v13, 2, v13
	v_readfirstlane_b32 s2, v9
	v_readfirstlane_b32 s3, v10
	ds_read_b32 v14, v14 offset:3072
	s_waitcnt lgkmcnt(0)
	global_store_dword v13, v14, s[2:3]
.LBB128_183:
	s_or_b32 exec_lo, exec_lo, s0
	v_or_b32_e32 v13, 0x400, v0
	s_mov_b32 s0, exec_lo
	v_cmpx_ge_u32_e64 v13, v1
	s_xor_b32 s0, exec_lo, s0
	s_cbranch_execz .LBB128_189
; %bb.184:
	s_mov_b32 s1, exec_lo
	v_cmpx_ge_u32_e64 v13, v12
	s_xor_b32 s1, exec_lo, s1
	s_cbranch_execz .LBB128_186
; %bb.185:
	v_lshlrev_b32_e32 v14, 2, v0
	v_add_co_u32 v13, vcc_lo, v3, v13
	ds_read_b32 v15, v14 offset:4096
	v_add_co_ci_u32_e64 v14, null, 0, v11, vcc_lo
	v_lshlrev_b64 v[13:14], 2, v[13:14]
	v_sub_co_u32 v13, vcc_lo, s26, v13
	v_sub_co_ci_u32_e64 v14, null, s27, v14, vcc_lo
	s_waitcnt lgkmcnt(0)
	global_store_dword v[13:14], v15, off offset:-4
                                        ; implicit-def: $vgpr13
.LBB128_186:
	s_andn2_saveexec_b32 s1, s1
	s_cbranch_execz .LBB128_188
; %bb.187:
	v_lshlrev_b32_e32 v14, 2, v0
	v_lshlrev_b32_e32 v13, 2, v13
	v_readfirstlane_b32 s2, v7
	v_readfirstlane_b32 s3, v8
	ds_read_b32 v14, v14 offset:4096
	s_waitcnt lgkmcnt(0)
	global_store_dword v13, v14, s[2:3]
.LBB128_188:
	s_or_b32 exec_lo, exec_lo, s1
                                        ; implicit-def: $vgpr13
.LBB128_189:
	;; [unrolled: 48-line block ×10, first 2 shown]
	s_andn2_saveexec_b32 s0, s0
	s_cbranch_execz .LBB128_255
; %bb.254:
	v_lshlrev_b32_e32 v14, 2, v0
	v_lshlrev_b32_e32 v13, 2, v13
	v_readfirstlane_b32 s2, v9
	v_readfirstlane_b32 s3, v10
	ds_read_b32 v14, v14 offset:12288
	s_waitcnt lgkmcnt(0)
	global_store_dword v13, v14, s[2:3]
.LBB128_255:
	s_or_b32 exec_lo, exec_lo, s0
	s_branch .LBB128_149
.LBB128_256:
	s_mov_b32 s0, exec_lo
	v_cmpx_gt_u32_e64 s7, v0
	s_cbranch_execz .LBB128_265
; %bb.257:
	s_mov_b32 s1, exec_lo
	v_cmpx_ge_u32_e64 v0, v1
	s_xor_b32 s1, exec_lo, s1
	s_cbranch_execz .LBB128_263
; %bb.258:
	s_mov_b32 s2, exec_lo
	v_cmpx_ge_u32_e64 v0, v12
	s_xor_b32 s2, exec_lo, s2
	s_cbranch_execz .LBB128_260
; %bb.259:
	v_lshlrev_b32_e32 v13, 2, v0
	ds_read_b32 v15, v13
	v_add_co_u32 v13, vcc_lo, v3, v0
	v_add_co_ci_u32_e64 v14, null, 0, v11, vcc_lo
	v_lshlrev_b64 v[13:14], 2, v[13:14]
	v_sub_co_u32 v13, vcc_lo, s26, v13
	v_sub_co_ci_u32_e64 v14, null, s27, v14, vcc_lo
	s_waitcnt lgkmcnt(0)
	global_store_dword v[13:14], v15, off offset:-4
.LBB128_260:
	s_andn2_saveexec_b32 s2, s2
	s_cbranch_execz .LBB128_262
; %bb.261:
	v_lshlrev_b32_e32 v13, 2, v0
	v_readfirstlane_b32 s4, v7
	v_readfirstlane_b32 s5, v8
	ds_read_b32 v14, v13
	s_waitcnt lgkmcnt(0)
	global_store_dword v13, v14, s[4:5]
.LBB128_262:
	s_or_b32 exec_lo, exec_lo, s2
.LBB128_263:
	s_andn2_saveexec_b32 s1, s1
	s_cbranch_execz .LBB128_265
; %bb.264:
	v_lshlrev_b32_e32 v13, 2, v0
	v_readfirstlane_b32 s2, v9
	v_readfirstlane_b32 s3, v10
	ds_read_b32 v14, v13
	s_waitcnt lgkmcnt(0)
	global_store_dword v13, v14, s[2:3]
.LBB128_265:
	s_or_b32 exec_lo, exec_lo, s0
	v_or_b32_e32 v13, 0x100, v0
	s_mov_b32 s0, exec_lo
	v_cmpx_gt_u32_e64 s7, v13
	s_cbranch_execz .LBB128_274
; %bb.266:
	s_mov_b32 s1, exec_lo
	v_cmpx_ge_u32_e64 v13, v1
	s_xor_b32 s1, exec_lo, s1
	s_cbranch_execz .LBB128_272
; %bb.267:
	s_mov_b32 s2, exec_lo
	v_cmpx_ge_u32_e64 v13, v12
	s_xor_b32 s2, exec_lo, s2
	s_cbranch_execz .LBB128_269
; %bb.268:
	v_lshlrev_b32_e32 v13, 2, v0
	ds_read_b32 v15, v13 offset:1024
	v_add_co_u32 v13, vcc_lo, v3, v0
	v_add_co_ci_u32_e64 v14, null, 0, v11, vcc_lo
	v_lshlrev_b64 v[13:14], 2, v[13:14]
	v_sub_co_u32 v13, vcc_lo, s26, v13
	v_sub_co_ci_u32_e64 v14, null, s27, v14, vcc_lo
	s_waitcnt lgkmcnt(0)
	global_store_dword v[13:14], v15, off offset:-1028
.LBB128_269:
	s_andn2_saveexec_b32 s2, s2
	s_cbranch_execz .LBB128_271
; %bb.270:
	v_lshlrev_b32_e32 v13, 2, v0
	v_readfirstlane_b32 s4, v7
	v_readfirstlane_b32 s5, v8
	ds_read_b32 v14, v13 offset:1024
	s_waitcnt lgkmcnt(0)
	global_store_dword v13, v14, s[4:5] offset:1024
.LBB128_271:
	s_or_b32 exec_lo, exec_lo, s2
.LBB128_272:
	s_andn2_saveexec_b32 s1, s1
	s_cbranch_execz .LBB128_274
; %bb.273:
	v_lshlrev_b32_e32 v13, 2, v0
	v_readfirstlane_b32 s2, v9
	v_readfirstlane_b32 s3, v10
	ds_read_b32 v14, v13 offset:1024
	s_waitcnt lgkmcnt(0)
	global_store_dword v13, v14, s[2:3] offset:1024
.LBB128_274:
	s_or_b32 exec_lo, exec_lo, s0
	v_or_b32_e32 v13, 0x200, v0
	s_mov_b32 s0, exec_lo
	v_cmpx_gt_u32_e64 s7, v13
	s_cbranch_execz .LBB128_283
; %bb.275:
	s_mov_b32 s1, exec_lo
	v_cmpx_ge_u32_e64 v13, v1
	s_xor_b32 s1, exec_lo, s1
	s_cbranch_execz .LBB128_281
; %bb.276:
	s_mov_b32 s2, exec_lo
	v_cmpx_ge_u32_e64 v13, v12
	s_xor_b32 s2, exec_lo, s2
	s_cbranch_execz .LBB128_278
; %bb.277:
	v_lshlrev_b32_e32 v15, 2, v0
	v_add_co_u32 v13, vcc_lo, v3, v0
	v_add_co_ci_u32_e64 v14, null, 0, v11, vcc_lo
	ds_read_b32 v15, v15 offset:2048
	v_lshlrev_b64 v[13:14], 2, v[13:14]
	v_sub_co_u32 v13, vcc_lo, s26, v13
	v_sub_co_ci_u32_e64 v14, null, s27, v14, vcc_lo
	v_add_co_u32 v13, vcc_lo, 0xfffff800, v13
	v_add_co_ci_u32_e64 v14, null, -1, v14, vcc_lo
	s_waitcnt lgkmcnt(0)
	global_store_dword v[13:14], v15, off offset:-4
                                        ; implicit-def: $vgpr13
.LBB128_278:
	s_andn2_saveexec_b32 s2, s2
	s_cbranch_execz .LBB128_280
; %bb.279:
	v_lshlrev_b32_e32 v14, 2, v0
	v_lshlrev_b32_e32 v13, 2, v13
	v_readfirstlane_b32 s4, v7
	v_readfirstlane_b32 s5, v8
	ds_read_b32 v14, v14 offset:2048
	s_waitcnt lgkmcnt(0)
	global_store_dword v13, v14, s[4:5]
.LBB128_280:
	s_or_b32 exec_lo, exec_lo, s2
                                        ; implicit-def: $vgpr13
.LBB128_281:
	s_andn2_saveexec_b32 s1, s1
	s_cbranch_execz .LBB128_283
; %bb.282:
	v_lshlrev_b32_e32 v14, 2, v0
	v_lshlrev_b32_e32 v13, 2, v13
	v_readfirstlane_b32 s2, v9
	v_readfirstlane_b32 s3, v10
	ds_read_b32 v14, v14 offset:2048
	s_waitcnt lgkmcnt(0)
	global_store_dword v13, v14, s[2:3]
.LBB128_283:
	s_or_b32 exec_lo, exec_lo, s0
	v_or_b32_e32 v13, 0x300, v0
	s_mov_b32 s0, exec_lo
	v_cmpx_gt_u32_e64 s7, v13
	s_cbranch_execz .LBB128_292
; %bb.284:
	s_mov_b32 s1, exec_lo
	v_cmpx_ge_u32_e64 v13, v1
	s_xor_b32 s1, exec_lo, s1
	s_cbranch_execz .LBB128_290
; %bb.285:
	s_mov_b32 s2, exec_lo
	v_cmpx_ge_u32_e64 v13, v12
	s_xor_b32 s2, exec_lo, s2
	s_cbranch_execz .LBB128_287
; %bb.286:
	v_lshlrev_b32_e32 v14, 2, v0
	v_add_co_u32 v13, vcc_lo, v3, v13
	ds_read_b32 v15, v14 offset:3072
	v_add_co_ci_u32_e64 v14, null, 0, v11, vcc_lo
	v_lshlrev_b64 v[13:14], 2, v[13:14]
	v_sub_co_u32 v13, vcc_lo, s26, v13
	v_sub_co_ci_u32_e64 v14, null, s27, v14, vcc_lo
	s_waitcnt lgkmcnt(0)
	global_store_dword v[13:14], v15, off offset:-4
                                        ; implicit-def: $vgpr13
.LBB128_287:
	s_andn2_saveexec_b32 s2, s2
	s_cbranch_execz .LBB128_289
; %bb.288:
	v_lshlrev_b32_e32 v14, 2, v0
	v_lshlrev_b32_e32 v13, 2, v13
	v_readfirstlane_b32 s4, v7
	v_readfirstlane_b32 s5, v8
	ds_read_b32 v14, v14 offset:3072
	s_waitcnt lgkmcnt(0)
	global_store_dword v13, v14, s[4:5]
.LBB128_289:
	s_or_b32 exec_lo, exec_lo, s2
                                        ; implicit-def: $vgpr13
.LBB128_290:
	s_andn2_saveexec_b32 s1, s1
	s_cbranch_execz .LBB128_292
; %bb.291:
	v_lshlrev_b32_e32 v14, 2, v0
	v_lshlrev_b32_e32 v13, 2, v13
	v_readfirstlane_b32 s2, v9
	v_readfirstlane_b32 s3, v10
	ds_read_b32 v14, v14 offset:3072
	s_waitcnt lgkmcnt(0)
	global_store_dword v13, v14, s[2:3]
.LBB128_292:
	s_or_b32 exec_lo, exec_lo, s0
	v_or_b32_e32 v13, 0x400, v0
	s_mov_b32 s0, exec_lo
	v_cmpx_gt_u32_e64 s7, v13
	s_cbranch_execz .LBB128_301
; %bb.293:
	s_mov_b32 s1, exec_lo
	v_cmpx_ge_u32_e64 v13, v1
	s_xor_b32 s1, exec_lo, s1
	s_cbranch_execz .LBB128_299
; %bb.294:
	s_mov_b32 s2, exec_lo
	v_cmpx_ge_u32_e64 v13, v12
	s_xor_b32 s2, exec_lo, s2
	s_cbranch_execz .LBB128_296
; %bb.295:
	v_lshlrev_b32_e32 v14, 2, v0
	v_add_co_u32 v13, vcc_lo, v3, v13
	ds_read_b32 v15, v14 offset:4096
	v_add_co_ci_u32_e64 v14, null, 0, v11, vcc_lo
	v_lshlrev_b64 v[13:14], 2, v[13:14]
	v_sub_co_u32 v13, vcc_lo, s26, v13
	v_sub_co_ci_u32_e64 v14, null, s27, v14, vcc_lo
	s_waitcnt lgkmcnt(0)
	global_store_dword v[13:14], v15, off offset:-4
                                        ; implicit-def: $vgpr13
.LBB128_296:
	s_andn2_saveexec_b32 s2, s2
	s_cbranch_execz .LBB128_298
; %bb.297:
	v_lshlrev_b32_e32 v14, 2, v0
	v_lshlrev_b32_e32 v13, 2, v13
	v_readfirstlane_b32 s4, v7
	v_readfirstlane_b32 s5, v8
	ds_read_b32 v14, v14 offset:4096
	s_waitcnt lgkmcnt(0)
	global_store_dword v13, v14, s[4:5]
.LBB128_298:
	s_or_b32 exec_lo, exec_lo, s2
                                        ; implicit-def: $vgpr13
.LBB128_299:
	s_andn2_saveexec_b32 s1, s1
	s_cbranch_execz .LBB128_301
; %bb.300:
	v_lshlrev_b32_e32 v14, 2, v0
	v_lshlrev_b32_e32 v13, 2, v13
	v_readfirstlane_b32 s2, v9
	v_readfirstlane_b32 s3, v10
	ds_read_b32 v14, v14 offset:4096
	s_waitcnt lgkmcnt(0)
	global_store_dword v13, v14, s[2:3]
.LBB128_301:
	;; [unrolled: 52-line block ×9, first 2 shown]
	s_or_b32 exec_lo, exec_lo, s0
	v_or_b32_e32 v13, 0xc00, v0
	s_mov_b32 s0, exec_lo
	v_cmpx_gt_u32_e64 s7, v13
	s_cbranch_execz .LBB128_373
; %bb.365:
	s_mov_b32 s1, exec_lo
	v_cmpx_ge_u32_e64 v13, v1
	s_xor_b32 s1, exec_lo, s1
	s_cbranch_execz .LBB128_371
; %bb.366:
	s_mov_b32 s2, exec_lo
	v_cmpx_ge_u32_e64 v13, v12
	s_xor_b32 s2, exec_lo, s2
	s_cbranch_execz .LBB128_368
; %bb.367:
	v_lshlrev_b32_e32 v7, 2, v0
	ds_read_b32 v9, v7 offset:12288
	v_add_co_u32 v7, vcc_lo, v3, v13
	v_add_co_ci_u32_e64 v8, null, 0, v11, vcc_lo
                                        ; implicit-def: $vgpr13
	v_lshlrev_b64 v[7:8], 2, v[7:8]
	v_sub_co_u32 v7, vcc_lo, s26, v7
	v_sub_co_ci_u32_e64 v8, null, s27, v8, vcc_lo
	s_waitcnt lgkmcnt(0)
	global_store_dword v[7:8], v9, off offset:-4
                                        ; implicit-def: $vgpr7_vgpr8
.LBB128_368:
	s_andn2_saveexec_b32 s2, s2
	s_cbranch_execz .LBB128_370
; %bb.369:
	v_lshlrev_b32_e32 v3, 2, v0
	v_lshlrev_b32_e32 v9, 2, v13
	v_readfirstlane_b32 s4, v7
	v_readfirstlane_b32 s5, v8
	ds_read_b32 v3, v3 offset:12288
	s_waitcnt lgkmcnt(0)
	global_store_dword v9, v3, s[4:5]
.LBB128_370:
	s_or_b32 exec_lo, exec_lo, s2
                                        ; implicit-def: $vgpr13
                                        ; implicit-def: $vgpr9_vgpr10
.LBB128_371:
	s_andn2_saveexec_b32 s1, s1
	s_cbranch_execz .LBB128_373
; %bb.372:
	v_lshlrev_b32_e32 v3, 2, v0
	v_lshlrev_b32_e32 v7, 2, v13
	v_readfirstlane_b32 s2, v9
	v_readfirstlane_b32 s3, v10
	ds_read_b32 v3, v3 offset:12288
	s_waitcnt lgkmcnt(0)
	global_store_dword v7, v3, s[2:3]
.LBB128_373:
	s_or_b32 exec_lo, exec_lo, s0
	v_cmp_eq_u32_e32 vcc_lo, 0, v0
	s_and_b32 s0, vcc_lo, s33
	s_and_saveexec_b32 s1, s0
	s_cbranch_execz .LBB128_150
.LBB128_374:
	v_add_co_u32 v0, s0, s30, v2
	v_add_co_ci_u32_e64 v3, null, s31, 0, s0
	v_mov_b32_e32 v7, 0
	v_add_co_u32 v2, vcc_lo, v0, v4
	v_add_co_ci_u32_e64 v3, null, 0, v3, vcc_lo
	v_add_co_u32 v0, vcc_lo, v5, v1
	v_add_co_ci_u32_e64 v1, null, 0, v6, vcc_lo
	global_store_dwordx4 v7, v[0:3], s[24:25]
	s_endpgm
.LBB128_375:
	s_add_i32 s10, s6, 32
	s_mov_b32 s11, 0
	v_add_nc_u32_e32 v6, v4, v2
	s_lshl_b64 s[10:11], s[10:11], 4
	v_add_nc_u32_e32 v5, v3, v1
	s_add_u32 s10, s4, s10
	s_addc_u32 s11, s5, s11
	v_mov_b32_e32 v7, 2
	v_mov_b32_e32 v24, s11
	v_mov_b32_e32 v8, 0
	v_mov_b32_e32 v23, s10
	;;#ASMSTART
	global_store_dwordx4 v[23:24], v[5:8] off	
s_waitcnt vmcnt(0)
	;;#ASMEND
	s_or_b32 exec_lo, exec_lo, s8
	s_and_saveexec_b32 s6, s2
	s_cbranch_execz .LBB128_135
.LBB128_376:
	v_mov_b32_e32 v5, 0
	ds_write_b128 v5, v[1:4] offset:13312
	s_or_b32 exec_lo, exec_lo, s6
	v_cmp_eq_u32_e32 vcc_lo, 0, v0
	s_and_b32 exec_lo, exec_lo, vcc_lo
	s_cbranch_execnz .LBB128_136
	s_branch .LBB128_137
	.section	.rodata,"a",@progbits
	.p2align	6, 0x0
	.amdhsa_kernel _ZN7rocprim17ROCPRIM_400000_NS6detail17trampoline_kernelINS0_13select_configILj256ELj13ELNS0_17block_load_methodE3ELS4_3ELS4_3ELNS0_20block_scan_algorithmE0ELj4294967295EEENS1_25partition_config_selectorILNS1_17partition_subalgoE4EjNS0_10empty_typeEbEEZZNS1_14partition_implILS8_4ELb0ES6_15HIP_vector_typeIjLj2EENS0_17counting_iteratorIjlEEPS9_SG_NS0_5tupleIJPjSI_NS0_16reverse_iteratorISI_EEEEENSH_IJSG_SG_SG_EEES9_SI_JZNS1_25segmented_radix_sort_implINS0_14default_configELb0EPKhPhPKlPlN2at6native12_GLOBAL__N_18offset_tEEE10hipError_tPvRmT1_PNSt15iterator_traitsIS12_E10value_typeET2_T3_PNS13_IS18_E10value_typeET4_jRbjT5_S1E_jjP12ihipStream_tbEUljE_ZNSN_ISO_Lb0ESQ_SR_ST_SU_SY_EESZ_S10_S11_S12_S16_S17_S18_S1B_S1C_jS1D_jS1E_S1E_jjS1G_bEUljE0_EEESZ_S10_S11_S18_S1C_S1E_T6_T7_T9_mT8_S1G_bDpT10_ENKUlT_T0_E_clISt17integral_constantIbLb0EES1U_EEDaS1P_S1Q_EUlS1P_E_NS1_11comp_targetILNS1_3genE8ELNS1_11target_archE1030ELNS1_3gpuE2ELNS1_3repE0EEENS1_30default_config_static_selectorELNS0_4arch9wavefront6targetE0EEEvS12_
		.amdhsa_group_segment_fixed_size 13328
		.amdhsa_private_segment_fixed_size 0
		.amdhsa_kernarg_size 176
		.amdhsa_user_sgpr_count 6
		.amdhsa_user_sgpr_private_segment_buffer 1
		.amdhsa_user_sgpr_dispatch_ptr 0
		.amdhsa_user_sgpr_queue_ptr 0
		.amdhsa_user_sgpr_kernarg_segment_ptr 1
		.amdhsa_user_sgpr_dispatch_id 0
		.amdhsa_user_sgpr_flat_scratch_init 0
		.amdhsa_user_sgpr_private_segment_size 0
		.amdhsa_wavefront_size32 1
		.amdhsa_uses_dynamic_stack 0
		.amdhsa_system_sgpr_private_segment_wavefront_offset 0
		.amdhsa_system_sgpr_workgroup_id_x 1
		.amdhsa_system_sgpr_workgroup_id_y 0
		.amdhsa_system_sgpr_workgroup_id_z 0
		.amdhsa_system_sgpr_workgroup_info 0
		.amdhsa_system_vgpr_workitem_id 0
		.amdhsa_next_free_vgpr 82
		.amdhsa_next_free_sgpr 59
		.amdhsa_reserve_vcc 1
		.amdhsa_reserve_flat_scratch 0
		.amdhsa_float_round_mode_32 0
		.amdhsa_float_round_mode_16_64 0
		.amdhsa_float_denorm_mode_32 3
		.amdhsa_float_denorm_mode_16_64 3
		.amdhsa_dx10_clamp 1
		.amdhsa_ieee_mode 1
		.amdhsa_fp16_overflow 0
		.amdhsa_workgroup_processor_mode 1
		.amdhsa_memory_ordered 1
		.amdhsa_forward_progress 1
		.amdhsa_shared_vgpr_count 0
		.amdhsa_exception_fp_ieee_invalid_op 0
		.amdhsa_exception_fp_denorm_src 0
		.amdhsa_exception_fp_ieee_div_zero 0
		.amdhsa_exception_fp_ieee_overflow 0
		.amdhsa_exception_fp_ieee_underflow 0
		.amdhsa_exception_fp_ieee_inexact 0
		.amdhsa_exception_int_div_zero 0
	.end_amdhsa_kernel
	.section	.text._ZN7rocprim17ROCPRIM_400000_NS6detail17trampoline_kernelINS0_13select_configILj256ELj13ELNS0_17block_load_methodE3ELS4_3ELS4_3ELNS0_20block_scan_algorithmE0ELj4294967295EEENS1_25partition_config_selectorILNS1_17partition_subalgoE4EjNS0_10empty_typeEbEEZZNS1_14partition_implILS8_4ELb0ES6_15HIP_vector_typeIjLj2EENS0_17counting_iteratorIjlEEPS9_SG_NS0_5tupleIJPjSI_NS0_16reverse_iteratorISI_EEEEENSH_IJSG_SG_SG_EEES9_SI_JZNS1_25segmented_radix_sort_implINS0_14default_configELb0EPKhPhPKlPlN2at6native12_GLOBAL__N_18offset_tEEE10hipError_tPvRmT1_PNSt15iterator_traitsIS12_E10value_typeET2_T3_PNS13_IS18_E10value_typeET4_jRbjT5_S1E_jjP12ihipStream_tbEUljE_ZNSN_ISO_Lb0ESQ_SR_ST_SU_SY_EESZ_S10_S11_S12_S16_S17_S18_S1B_S1C_jS1D_jS1E_S1E_jjS1G_bEUljE0_EEESZ_S10_S11_S18_S1C_S1E_T6_T7_T9_mT8_S1G_bDpT10_ENKUlT_T0_E_clISt17integral_constantIbLb0EES1U_EEDaS1P_S1Q_EUlS1P_E_NS1_11comp_targetILNS1_3genE8ELNS1_11target_archE1030ELNS1_3gpuE2ELNS1_3repE0EEENS1_30default_config_static_selectorELNS0_4arch9wavefront6targetE0EEEvS12_,"axG",@progbits,_ZN7rocprim17ROCPRIM_400000_NS6detail17trampoline_kernelINS0_13select_configILj256ELj13ELNS0_17block_load_methodE3ELS4_3ELS4_3ELNS0_20block_scan_algorithmE0ELj4294967295EEENS1_25partition_config_selectorILNS1_17partition_subalgoE4EjNS0_10empty_typeEbEEZZNS1_14partition_implILS8_4ELb0ES6_15HIP_vector_typeIjLj2EENS0_17counting_iteratorIjlEEPS9_SG_NS0_5tupleIJPjSI_NS0_16reverse_iteratorISI_EEEEENSH_IJSG_SG_SG_EEES9_SI_JZNS1_25segmented_radix_sort_implINS0_14default_configELb0EPKhPhPKlPlN2at6native12_GLOBAL__N_18offset_tEEE10hipError_tPvRmT1_PNSt15iterator_traitsIS12_E10value_typeET2_T3_PNS13_IS18_E10value_typeET4_jRbjT5_S1E_jjP12ihipStream_tbEUljE_ZNSN_ISO_Lb0ESQ_SR_ST_SU_SY_EESZ_S10_S11_S12_S16_S17_S18_S1B_S1C_jS1D_jS1E_S1E_jjS1G_bEUljE0_EEESZ_S10_S11_S18_S1C_S1E_T6_T7_T9_mT8_S1G_bDpT10_ENKUlT_T0_E_clISt17integral_constantIbLb0EES1U_EEDaS1P_S1Q_EUlS1P_E_NS1_11comp_targetILNS1_3genE8ELNS1_11target_archE1030ELNS1_3gpuE2ELNS1_3repE0EEENS1_30default_config_static_selectorELNS0_4arch9wavefront6targetE0EEEvS12_,comdat
.Lfunc_end128:
	.size	_ZN7rocprim17ROCPRIM_400000_NS6detail17trampoline_kernelINS0_13select_configILj256ELj13ELNS0_17block_load_methodE3ELS4_3ELS4_3ELNS0_20block_scan_algorithmE0ELj4294967295EEENS1_25partition_config_selectorILNS1_17partition_subalgoE4EjNS0_10empty_typeEbEEZZNS1_14partition_implILS8_4ELb0ES6_15HIP_vector_typeIjLj2EENS0_17counting_iteratorIjlEEPS9_SG_NS0_5tupleIJPjSI_NS0_16reverse_iteratorISI_EEEEENSH_IJSG_SG_SG_EEES9_SI_JZNS1_25segmented_radix_sort_implINS0_14default_configELb0EPKhPhPKlPlN2at6native12_GLOBAL__N_18offset_tEEE10hipError_tPvRmT1_PNSt15iterator_traitsIS12_E10value_typeET2_T3_PNS13_IS18_E10value_typeET4_jRbjT5_S1E_jjP12ihipStream_tbEUljE_ZNSN_ISO_Lb0ESQ_SR_ST_SU_SY_EESZ_S10_S11_S12_S16_S17_S18_S1B_S1C_jS1D_jS1E_S1E_jjS1G_bEUljE0_EEESZ_S10_S11_S18_S1C_S1E_T6_T7_T9_mT8_S1G_bDpT10_ENKUlT_T0_E_clISt17integral_constantIbLb0EES1U_EEDaS1P_S1Q_EUlS1P_E_NS1_11comp_targetILNS1_3genE8ELNS1_11target_archE1030ELNS1_3gpuE2ELNS1_3repE0EEENS1_30default_config_static_selectorELNS0_4arch9wavefront6targetE0EEEvS12_, .Lfunc_end128-_ZN7rocprim17ROCPRIM_400000_NS6detail17trampoline_kernelINS0_13select_configILj256ELj13ELNS0_17block_load_methodE3ELS4_3ELS4_3ELNS0_20block_scan_algorithmE0ELj4294967295EEENS1_25partition_config_selectorILNS1_17partition_subalgoE4EjNS0_10empty_typeEbEEZZNS1_14partition_implILS8_4ELb0ES6_15HIP_vector_typeIjLj2EENS0_17counting_iteratorIjlEEPS9_SG_NS0_5tupleIJPjSI_NS0_16reverse_iteratorISI_EEEEENSH_IJSG_SG_SG_EEES9_SI_JZNS1_25segmented_radix_sort_implINS0_14default_configELb0EPKhPhPKlPlN2at6native12_GLOBAL__N_18offset_tEEE10hipError_tPvRmT1_PNSt15iterator_traitsIS12_E10value_typeET2_T3_PNS13_IS18_E10value_typeET4_jRbjT5_S1E_jjP12ihipStream_tbEUljE_ZNSN_ISO_Lb0ESQ_SR_ST_SU_SY_EESZ_S10_S11_S12_S16_S17_S18_S1B_S1C_jS1D_jS1E_S1E_jjS1G_bEUljE0_EEESZ_S10_S11_S18_S1C_S1E_T6_T7_T9_mT8_S1G_bDpT10_ENKUlT_T0_E_clISt17integral_constantIbLb0EES1U_EEDaS1P_S1Q_EUlS1P_E_NS1_11comp_targetILNS1_3genE8ELNS1_11target_archE1030ELNS1_3gpuE2ELNS1_3repE0EEENS1_30default_config_static_selectorELNS0_4arch9wavefront6targetE0EEEvS12_
                                        ; -- End function
	.set _ZN7rocprim17ROCPRIM_400000_NS6detail17trampoline_kernelINS0_13select_configILj256ELj13ELNS0_17block_load_methodE3ELS4_3ELS4_3ELNS0_20block_scan_algorithmE0ELj4294967295EEENS1_25partition_config_selectorILNS1_17partition_subalgoE4EjNS0_10empty_typeEbEEZZNS1_14partition_implILS8_4ELb0ES6_15HIP_vector_typeIjLj2EENS0_17counting_iteratorIjlEEPS9_SG_NS0_5tupleIJPjSI_NS0_16reverse_iteratorISI_EEEEENSH_IJSG_SG_SG_EEES9_SI_JZNS1_25segmented_radix_sort_implINS0_14default_configELb0EPKhPhPKlPlN2at6native12_GLOBAL__N_18offset_tEEE10hipError_tPvRmT1_PNSt15iterator_traitsIS12_E10value_typeET2_T3_PNS13_IS18_E10value_typeET4_jRbjT5_S1E_jjP12ihipStream_tbEUljE_ZNSN_ISO_Lb0ESQ_SR_ST_SU_SY_EESZ_S10_S11_S12_S16_S17_S18_S1B_S1C_jS1D_jS1E_S1E_jjS1G_bEUljE0_EEESZ_S10_S11_S18_S1C_S1E_T6_T7_T9_mT8_S1G_bDpT10_ENKUlT_T0_E_clISt17integral_constantIbLb0EES1U_EEDaS1P_S1Q_EUlS1P_E_NS1_11comp_targetILNS1_3genE8ELNS1_11target_archE1030ELNS1_3gpuE2ELNS1_3repE0EEENS1_30default_config_static_selectorELNS0_4arch9wavefront6targetE0EEEvS12_.num_vgpr, 82
	.set _ZN7rocprim17ROCPRIM_400000_NS6detail17trampoline_kernelINS0_13select_configILj256ELj13ELNS0_17block_load_methodE3ELS4_3ELS4_3ELNS0_20block_scan_algorithmE0ELj4294967295EEENS1_25partition_config_selectorILNS1_17partition_subalgoE4EjNS0_10empty_typeEbEEZZNS1_14partition_implILS8_4ELb0ES6_15HIP_vector_typeIjLj2EENS0_17counting_iteratorIjlEEPS9_SG_NS0_5tupleIJPjSI_NS0_16reverse_iteratorISI_EEEEENSH_IJSG_SG_SG_EEES9_SI_JZNS1_25segmented_radix_sort_implINS0_14default_configELb0EPKhPhPKlPlN2at6native12_GLOBAL__N_18offset_tEEE10hipError_tPvRmT1_PNSt15iterator_traitsIS12_E10value_typeET2_T3_PNS13_IS18_E10value_typeET4_jRbjT5_S1E_jjP12ihipStream_tbEUljE_ZNSN_ISO_Lb0ESQ_SR_ST_SU_SY_EESZ_S10_S11_S12_S16_S17_S18_S1B_S1C_jS1D_jS1E_S1E_jjS1G_bEUljE0_EEESZ_S10_S11_S18_S1C_S1E_T6_T7_T9_mT8_S1G_bDpT10_ENKUlT_T0_E_clISt17integral_constantIbLb0EES1U_EEDaS1P_S1Q_EUlS1P_E_NS1_11comp_targetILNS1_3genE8ELNS1_11target_archE1030ELNS1_3gpuE2ELNS1_3repE0EEENS1_30default_config_static_selectorELNS0_4arch9wavefront6targetE0EEEvS12_.num_agpr, 0
	.set _ZN7rocprim17ROCPRIM_400000_NS6detail17trampoline_kernelINS0_13select_configILj256ELj13ELNS0_17block_load_methodE3ELS4_3ELS4_3ELNS0_20block_scan_algorithmE0ELj4294967295EEENS1_25partition_config_selectorILNS1_17partition_subalgoE4EjNS0_10empty_typeEbEEZZNS1_14partition_implILS8_4ELb0ES6_15HIP_vector_typeIjLj2EENS0_17counting_iteratorIjlEEPS9_SG_NS0_5tupleIJPjSI_NS0_16reverse_iteratorISI_EEEEENSH_IJSG_SG_SG_EEES9_SI_JZNS1_25segmented_radix_sort_implINS0_14default_configELb0EPKhPhPKlPlN2at6native12_GLOBAL__N_18offset_tEEE10hipError_tPvRmT1_PNSt15iterator_traitsIS12_E10value_typeET2_T3_PNS13_IS18_E10value_typeET4_jRbjT5_S1E_jjP12ihipStream_tbEUljE_ZNSN_ISO_Lb0ESQ_SR_ST_SU_SY_EESZ_S10_S11_S12_S16_S17_S18_S1B_S1C_jS1D_jS1E_S1E_jjS1G_bEUljE0_EEESZ_S10_S11_S18_S1C_S1E_T6_T7_T9_mT8_S1G_bDpT10_ENKUlT_T0_E_clISt17integral_constantIbLb0EES1U_EEDaS1P_S1Q_EUlS1P_E_NS1_11comp_targetILNS1_3genE8ELNS1_11target_archE1030ELNS1_3gpuE2ELNS1_3repE0EEENS1_30default_config_static_selectorELNS0_4arch9wavefront6targetE0EEEvS12_.numbered_sgpr, 59
	.set _ZN7rocprim17ROCPRIM_400000_NS6detail17trampoline_kernelINS0_13select_configILj256ELj13ELNS0_17block_load_methodE3ELS4_3ELS4_3ELNS0_20block_scan_algorithmE0ELj4294967295EEENS1_25partition_config_selectorILNS1_17partition_subalgoE4EjNS0_10empty_typeEbEEZZNS1_14partition_implILS8_4ELb0ES6_15HIP_vector_typeIjLj2EENS0_17counting_iteratorIjlEEPS9_SG_NS0_5tupleIJPjSI_NS0_16reverse_iteratorISI_EEEEENSH_IJSG_SG_SG_EEES9_SI_JZNS1_25segmented_radix_sort_implINS0_14default_configELb0EPKhPhPKlPlN2at6native12_GLOBAL__N_18offset_tEEE10hipError_tPvRmT1_PNSt15iterator_traitsIS12_E10value_typeET2_T3_PNS13_IS18_E10value_typeET4_jRbjT5_S1E_jjP12ihipStream_tbEUljE_ZNSN_ISO_Lb0ESQ_SR_ST_SU_SY_EESZ_S10_S11_S12_S16_S17_S18_S1B_S1C_jS1D_jS1E_S1E_jjS1G_bEUljE0_EEESZ_S10_S11_S18_S1C_S1E_T6_T7_T9_mT8_S1G_bDpT10_ENKUlT_T0_E_clISt17integral_constantIbLb0EES1U_EEDaS1P_S1Q_EUlS1P_E_NS1_11comp_targetILNS1_3genE8ELNS1_11target_archE1030ELNS1_3gpuE2ELNS1_3repE0EEENS1_30default_config_static_selectorELNS0_4arch9wavefront6targetE0EEEvS12_.num_named_barrier, 0
	.set _ZN7rocprim17ROCPRIM_400000_NS6detail17trampoline_kernelINS0_13select_configILj256ELj13ELNS0_17block_load_methodE3ELS4_3ELS4_3ELNS0_20block_scan_algorithmE0ELj4294967295EEENS1_25partition_config_selectorILNS1_17partition_subalgoE4EjNS0_10empty_typeEbEEZZNS1_14partition_implILS8_4ELb0ES6_15HIP_vector_typeIjLj2EENS0_17counting_iteratorIjlEEPS9_SG_NS0_5tupleIJPjSI_NS0_16reverse_iteratorISI_EEEEENSH_IJSG_SG_SG_EEES9_SI_JZNS1_25segmented_radix_sort_implINS0_14default_configELb0EPKhPhPKlPlN2at6native12_GLOBAL__N_18offset_tEEE10hipError_tPvRmT1_PNSt15iterator_traitsIS12_E10value_typeET2_T3_PNS13_IS18_E10value_typeET4_jRbjT5_S1E_jjP12ihipStream_tbEUljE_ZNSN_ISO_Lb0ESQ_SR_ST_SU_SY_EESZ_S10_S11_S12_S16_S17_S18_S1B_S1C_jS1D_jS1E_S1E_jjS1G_bEUljE0_EEESZ_S10_S11_S18_S1C_S1E_T6_T7_T9_mT8_S1G_bDpT10_ENKUlT_T0_E_clISt17integral_constantIbLb0EES1U_EEDaS1P_S1Q_EUlS1P_E_NS1_11comp_targetILNS1_3genE8ELNS1_11target_archE1030ELNS1_3gpuE2ELNS1_3repE0EEENS1_30default_config_static_selectorELNS0_4arch9wavefront6targetE0EEEvS12_.private_seg_size, 0
	.set _ZN7rocprim17ROCPRIM_400000_NS6detail17trampoline_kernelINS0_13select_configILj256ELj13ELNS0_17block_load_methodE3ELS4_3ELS4_3ELNS0_20block_scan_algorithmE0ELj4294967295EEENS1_25partition_config_selectorILNS1_17partition_subalgoE4EjNS0_10empty_typeEbEEZZNS1_14partition_implILS8_4ELb0ES6_15HIP_vector_typeIjLj2EENS0_17counting_iteratorIjlEEPS9_SG_NS0_5tupleIJPjSI_NS0_16reverse_iteratorISI_EEEEENSH_IJSG_SG_SG_EEES9_SI_JZNS1_25segmented_radix_sort_implINS0_14default_configELb0EPKhPhPKlPlN2at6native12_GLOBAL__N_18offset_tEEE10hipError_tPvRmT1_PNSt15iterator_traitsIS12_E10value_typeET2_T3_PNS13_IS18_E10value_typeET4_jRbjT5_S1E_jjP12ihipStream_tbEUljE_ZNSN_ISO_Lb0ESQ_SR_ST_SU_SY_EESZ_S10_S11_S12_S16_S17_S18_S1B_S1C_jS1D_jS1E_S1E_jjS1G_bEUljE0_EEESZ_S10_S11_S18_S1C_S1E_T6_T7_T9_mT8_S1G_bDpT10_ENKUlT_T0_E_clISt17integral_constantIbLb0EES1U_EEDaS1P_S1Q_EUlS1P_E_NS1_11comp_targetILNS1_3genE8ELNS1_11target_archE1030ELNS1_3gpuE2ELNS1_3repE0EEENS1_30default_config_static_selectorELNS0_4arch9wavefront6targetE0EEEvS12_.uses_vcc, 1
	.set _ZN7rocprim17ROCPRIM_400000_NS6detail17trampoline_kernelINS0_13select_configILj256ELj13ELNS0_17block_load_methodE3ELS4_3ELS4_3ELNS0_20block_scan_algorithmE0ELj4294967295EEENS1_25partition_config_selectorILNS1_17partition_subalgoE4EjNS0_10empty_typeEbEEZZNS1_14partition_implILS8_4ELb0ES6_15HIP_vector_typeIjLj2EENS0_17counting_iteratorIjlEEPS9_SG_NS0_5tupleIJPjSI_NS0_16reverse_iteratorISI_EEEEENSH_IJSG_SG_SG_EEES9_SI_JZNS1_25segmented_radix_sort_implINS0_14default_configELb0EPKhPhPKlPlN2at6native12_GLOBAL__N_18offset_tEEE10hipError_tPvRmT1_PNSt15iterator_traitsIS12_E10value_typeET2_T3_PNS13_IS18_E10value_typeET4_jRbjT5_S1E_jjP12ihipStream_tbEUljE_ZNSN_ISO_Lb0ESQ_SR_ST_SU_SY_EESZ_S10_S11_S12_S16_S17_S18_S1B_S1C_jS1D_jS1E_S1E_jjS1G_bEUljE0_EEESZ_S10_S11_S18_S1C_S1E_T6_T7_T9_mT8_S1G_bDpT10_ENKUlT_T0_E_clISt17integral_constantIbLb0EES1U_EEDaS1P_S1Q_EUlS1P_E_NS1_11comp_targetILNS1_3genE8ELNS1_11target_archE1030ELNS1_3gpuE2ELNS1_3repE0EEENS1_30default_config_static_selectorELNS0_4arch9wavefront6targetE0EEEvS12_.uses_flat_scratch, 0
	.set _ZN7rocprim17ROCPRIM_400000_NS6detail17trampoline_kernelINS0_13select_configILj256ELj13ELNS0_17block_load_methodE3ELS4_3ELS4_3ELNS0_20block_scan_algorithmE0ELj4294967295EEENS1_25partition_config_selectorILNS1_17partition_subalgoE4EjNS0_10empty_typeEbEEZZNS1_14partition_implILS8_4ELb0ES6_15HIP_vector_typeIjLj2EENS0_17counting_iteratorIjlEEPS9_SG_NS0_5tupleIJPjSI_NS0_16reverse_iteratorISI_EEEEENSH_IJSG_SG_SG_EEES9_SI_JZNS1_25segmented_radix_sort_implINS0_14default_configELb0EPKhPhPKlPlN2at6native12_GLOBAL__N_18offset_tEEE10hipError_tPvRmT1_PNSt15iterator_traitsIS12_E10value_typeET2_T3_PNS13_IS18_E10value_typeET4_jRbjT5_S1E_jjP12ihipStream_tbEUljE_ZNSN_ISO_Lb0ESQ_SR_ST_SU_SY_EESZ_S10_S11_S12_S16_S17_S18_S1B_S1C_jS1D_jS1E_S1E_jjS1G_bEUljE0_EEESZ_S10_S11_S18_S1C_S1E_T6_T7_T9_mT8_S1G_bDpT10_ENKUlT_T0_E_clISt17integral_constantIbLb0EES1U_EEDaS1P_S1Q_EUlS1P_E_NS1_11comp_targetILNS1_3genE8ELNS1_11target_archE1030ELNS1_3gpuE2ELNS1_3repE0EEENS1_30default_config_static_selectorELNS0_4arch9wavefront6targetE0EEEvS12_.has_dyn_sized_stack, 0
	.set _ZN7rocprim17ROCPRIM_400000_NS6detail17trampoline_kernelINS0_13select_configILj256ELj13ELNS0_17block_load_methodE3ELS4_3ELS4_3ELNS0_20block_scan_algorithmE0ELj4294967295EEENS1_25partition_config_selectorILNS1_17partition_subalgoE4EjNS0_10empty_typeEbEEZZNS1_14partition_implILS8_4ELb0ES6_15HIP_vector_typeIjLj2EENS0_17counting_iteratorIjlEEPS9_SG_NS0_5tupleIJPjSI_NS0_16reverse_iteratorISI_EEEEENSH_IJSG_SG_SG_EEES9_SI_JZNS1_25segmented_radix_sort_implINS0_14default_configELb0EPKhPhPKlPlN2at6native12_GLOBAL__N_18offset_tEEE10hipError_tPvRmT1_PNSt15iterator_traitsIS12_E10value_typeET2_T3_PNS13_IS18_E10value_typeET4_jRbjT5_S1E_jjP12ihipStream_tbEUljE_ZNSN_ISO_Lb0ESQ_SR_ST_SU_SY_EESZ_S10_S11_S12_S16_S17_S18_S1B_S1C_jS1D_jS1E_S1E_jjS1G_bEUljE0_EEESZ_S10_S11_S18_S1C_S1E_T6_T7_T9_mT8_S1G_bDpT10_ENKUlT_T0_E_clISt17integral_constantIbLb0EES1U_EEDaS1P_S1Q_EUlS1P_E_NS1_11comp_targetILNS1_3genE8ELNS1_11target_archE1030ELNS1_3gpuE2ELNS1_3repE0EEENS1_30default_config_static_selectorELNS0_4arch9wavefront6targetE0EEEvS12_.has_recursion, 0
	.set _ZN7rocprim17ROCPRIM_400000_NS6detail17trampoline_kernelINS0_13select_configILj256ELj13ELNS0_17block_load_methodE3ELS4_3ELS4_3ELNS0_20block_scan_algorithmE0ELj4294967295EEENS1_25partition_config_selectorILNS1_17partition_subalgoE4EjNS0_10empty_typeEbEEZZNS1_14partition_implILS8_4ELb0ES6_15HIP_vector_typeIjLj2EENS0_17counting_iteratorIjlEEPS9_SG_NS0_5tupleIJPjSI_NS0_16reverse_iteratorISI_EEEEENSH_IJSG_SG_SG_EEES9_SI_JZNS1_25segmented_radix_sort_implINS0_14default_configELb0EPKhPhPKlPlN2at6native12_GLOBAL__N_18offset_tEEE10hipError_tPvRmT1_PNSt15iterator_traitsIS12_E10value_typeET2_T3_PNS13_IS18_E10value_typeET4_jRbjT5_S1E_jjP12ihipStream_tbEUljE_ZNSN_ISO_Lb0ESQ_SR_ST_SU_SY_EESZ_S10_S11_S12_S16_S17_S18_S1B_S1C_jS1D_jS1E_S1E_jjS1G_bEUljE0_EEESZ_S10_S11_S18_S1C_S1E_T6_T7_T9_mT8_S1G_bDpT10_ENKUlT_T0_E_clISt17integral_constantIbLb0EES1U_EEDaS1P_S1Q_EUlS1P_E_NS1_11comp_targetILNS1_3genE8ELNS1_11target_archE1030ELNS1_3gpuE2ELNS1_3repE0EEENS1_30default_config_static_selectorELNS0_4arch9wavefront6targetE0EEEvS12_.has_indirect_call, 0
	.section	.AMDGPU.csdata,"",@progbits
; Kernel info:
; codeLenInByte = 16236
; TotalNumSgprs: 61
; NumVgprs: 82
; ScratchSize: 0
; MemoryBound: 0
; FloatMode: 240
; IeeeMode: 1
; LDSByteSize: 13328 bytes/workgroup (compile time only)
; SGPRBlocks: 0
; VGPRBlocks: 10
; NumSGPRsForWavesPerEU: 61
; NumVGPRsForWavesPerEU: 82
; Occupancy: 10
; WaveLimiterHint : 1
; COMPUTE_PGM_RSRC2:SCRATCH_EN: 0
; COMPUTE_PGM_RSRC2:USER_SGPR: 6
; COMPUTE_PGM_RSRC2:TRAP_HANDLER: 0
; COMPUTE_PGM_RSRC2:TGID_X_EN: 1
; COMPUTE_PGM_RSRC2:TGID_Y_EN: 0
; COMPUTE_PGM_RSRC2:TGID_Z_EN: 0
; COMPUTE_PGM_RSRC2:TIDIG_COMP_CNT: 0
	.section	.text._ZN7rocprim17ROCPRIM_400000_NS6detail17trampoline_kernelINS0_13select_configILj256ELj13ELNS0_17block_load_methodE3ELS4_3ELS4_3ELNS0_20block_scan_algorithmE0ELj4294967295EEENS1_25partition_config_selectorILNS1_17partition_subalgoE4EjNS0_10empty_typeEbEEZZNS1_14partition_implILS8_4ELb0ES6_15HIP_vector_typeIjLj2EENS0_17counting_iteratorIjlEEPS9_SG_NS0_5tupleIJPjSI_NS0_16reverse_iteratorISI_EEEEENSH_IJSG_SG_SG_EEES9_SI_JZNS1_25segmented_radix_sort_implINS0_14default_configELb0EPKhPhPKlPlN2at6native12_GLOBAL__N_18offset_tEEE10hipError_tPvRmT1_PNSt15iterator_traitsIS12_E10value_typeET2_T3_PNS13_IS18_E10value_typeET4_jRbjT5_S1E_jjP12ihipStream_tbEUljE_ZNSN_ISO_Lb0ESQ_SR_ST_SU_SY_EESZ_S10_S11_S12_S16_S17_S18_S1B_S1C_jS1D_jS1E_S1E_jjS1G_bEUljE0_EEESZ_S10_S11_S18_S1C_S1E_T6_T7_T9_mT8_S1G_bDpT10_ENKUlT_T0_E_clISt17integral_constantIbLb1EES1U_EEDaS1P_S1Q_EUlS1P_E_NS1_11comp_targetILNS1_3genE0ELNS1_11target_archE4294967295ELNS1_3gpuE0ELNS1_3repE0EEENS1_30default_config_static_selectorELNS0_4arch9wavefront6targetE0EEEvS12_,"axG",@progbits,_ZN7rocprim17ROCPRIM_400000_NS6detail17trampoline_kernelINS0_13select_configILj256ELj13ELNS0_17block_load_methodE3ELS4_3ELS4_3ELNS0_20block_scan_algorithmE0ELj4294967295EEENS1_25partition_config_selectorILNS1_17partition_subalgoE4EjNS0_10empty_typeEbEEZZNS1_14partition_implILS8_4ELb0ES6_15HIP_vector_typeIjLj2EENS0_17counting_iteratorIjlEEPS9_SG_NS0_5tupleIJPjSI_NS0_16reverse_iteratorISI_EEEEENSH_IJSG_SG_SG_EEES9_SI_JZNS1_25segmented_radix_sort_implINS0_14default_configELb0EPKhPhPKlPlN2at6native12_GLOBAL__N_18offset_tEEE10hipError_tPvRmT1_PNSt15iterator_traitsIS12_E10value_typeET2_T3_PNS13_IS18_E10value_typeET4_jRbjT5_S1E_jjP12ihipStream_tbEUljE_ZNSN_ISO_Lb0ESQ_SR_ST_SU_SY_EESZ_S10_S11_S12_S16_S17_S18_S1B_S1C_jS1D_jS1E_S1E_jjS1G_bEUljE0_EEESZ_S10_S11_S18_S1C_S1E_T6_T7_T9_mT8_S1G_bDpT10_ENKUlT_T0_E_clISt17integral_constantIbLb1EES1U_EEDaS1P_S1Q_EUlS1P_E_NS1_11comp_targetILNS1_3genE0ELNS1_11target_archE4294967295ELNS1_3gpuE0ELNS1_3repE0EEENS1_30default_config_static_selectorELNS0_4arch9wavefront6targetE0EEEvS12_,comdat
	.globl	_ZN7rocprim17ROCPRIM_400000_NS6detail17trampoline_kernelINS0_13select_configILj256ELj13ELNS0_17block_load_methodE3ELS4_3ELS4_3ELNS0_20block_scan_algorithmE0ELj4294967295EEENS1_25partition_config_selectorILNS1_17partition_subalgoE4EjNS0_10empty_typeEbEEZZNS1_14partition_implILS8_4ELb0ES6_15HIP_vector_typeIjLj2EENS0_17counting_iteratorIjlEEPS9_SG_NS0_5tupleIJPjSI_NS0_16reverse_iteratorISI_EEEEENSH_IJSG_SG_SG_EEES9_SI_JZNS1_25segmented_radix_sort_implINS0_14default_configELb0EPKhPhPKlPlN2at6native12_GLOBAL__N_18offset_tEEE10hipError_tPvRmT1_PNSt15iterator_traitsIS12_E10value_typeET2_T3_PNS13_IS18_E10value_typeET4_jRbjT5_S1E_jjP12ihipStream_tbEUljE_ZNSN_ISO_Lb0ESQ_SR_ST_SU_SY_EESZ_S10_S11_S12_S16_S17_S18_S1B_S1C_jS1D_jS1E_S1E_jjS1G_bEUljE0_EEESZ_S10_S11_S18_S1C_S1E_T6_T7_T9_mT8_S1G_bDpT10_ENKUlT_T0_E_clISt17integral_constantIbLb1EES1U_EEDaS1P_S1Q_EUlS1P_E_NS1_11comp_targetILNS1_3genE0ELNS1_11target_archE4294967295ELNS1_3gpuE0ELNS1_3repE0EEENS1_30default_config_static_selectorELNS0_4arch9wavefront6targetE0EEEvS12_ ; -- Begin function _ZN7rocprim17ROCPRIM_400000_NS6detail17trampoline_kernelINS0_13select_configILj256ELj13ELNS0_17block_load_methodE3ELS4_3ELS4_3ELNS0_20block_scan_algorithmE0ELj4294967295EEENS1_25partition_config_selectorILNS1_17partition_subalgoE4EjNS0_10empty_typeEbEEZZNS1_14partition_implILS8_4ELb0ES6_15HIP_vector_typeIjLj2EENS0_17counting_iteratorIjlEEPS9_SG_NS0_5tupleIJPjSI_NS0_16reverse_iteratorISI_EEEEENSH_IJSG_SG_SG_EEES9_SI_JZNS1_25segmented_radix_sort_implINS0_14default_configELb0EPKhPhPKlPlN2at6native12_GLOBAL__N_18offset_tEEE10hipError_tPvRmT1_PNSt15iterator_traitsIS12_E10value_typeET2_T3_PNS13_IS18_E10value_typeET4_jRbjT5_S1E_jjP12ihipStream_tbEUljE_ZNSN_ISO_Lb0ESQ_SR_ST_SU_SY_EESZ_S10_S11_S12_S16_S17_S18_S1B_S1C_jS1D_jS1E_S1E_jjS1G_bEUljE0_EEESZ_S10_S11_S18_S1C_S1E_T6_T7_T9_mT8_S1G_bDpT10_ENKUlT_T0_E_clISt17integral_constantIbLb1EES1U_EEDaS1P_S1Q_EUlS1P_E_NS1_11comp_targetILNS1_3genE0ELNS1_11target_archE4294967295ELNS1_3gpuE0ELNS1_3repE0EEENS1_30default_config_static_selectorELNS0_4arch9wavefront6targetE0EEEvS12_
	.p2align	8
	.type	_ZN7rocprim17ROCPRIM_400000_NS6detail17trampoline_kernelINS0_13select_configILj256ELj13ELNS0_17block_load_methodE3ELS4_3ELS4_3ELNS0_20block_scan_algorithmE0ELj4294967295EEENS1_25partition_config_selectorILNS1_17partition_subalgoE4EjNS0_10empty_typeEbEEZZNS1_14partition_implILS8_4ELb0ES6_15HIP_vector_typeIjLj2EENS0_17counting_iteratorIjlEEPS9_SG_NS0_5tupleIJPjSI_NS0_16reverse_iteratorISI_EEEEENSH_IJSG_SG_SG_EEES9_SI_JZNS1_25segmented_radix_sort_implINS0_14default_configELb0EPKhPhPKlPlN2at6native12_GLOBAL__N_18offset_tEEE10hipError_tPvRmT1_PNSt15iterator_traitsIS12_E10value_typeET2_T3_PNS13_IS18_E10value_typeET4_jRbjT5_S1E_jjP12ihipStream_tbEUljE_ZNSN_ISO_Lb0ESQ_SR_ST_SU_SY_EESZ_S10_S11_S12_S16_S17_S18_S1B_S1C_jS1D_jS1E_S1E_jjS1G_bEUljE0_EEESZ_S10_S11_S18_S1C_S1E_T6_T7_T9_mT8_S1G_bDpT10_ENKUlT_T0_E_clISt17integral_constantIbLb1EES1U_EEDaS1P_S1Q_EUlS1P_E_NS1_11comp_targetILNS1_3genE0ELNS1_11target_archE4294967295ELNS1_3gpuE0ELNS1_3repE0EEENS1_30default_config_static_selectorELNS0_4arch9wavefront6targetE0EEEvS12_,@function
_ZN7rocprim17ROCPRIM_400000_NS6detail17trampoline_kernelINS0_13select_configILj256ELj13ELNS0_17block_load_methodE3ELS4_3ELS4_3ELNS0_20block_scan_algorithmE0ELj4294967295EEENS1_25partition_config_selectorILNS1_17partition_subalgoE4EjNS0_10empty_typeEbEEZZNS1_14partition_implILS8_4ELb0ES6_15HIP_vector_typeIjLj2EENS0_17counting_iteratorIjlEEPS9_SG_NS0_5tupleIJPjSI_NS0_16reverse_iteratorISI_EEEEENSH_IJSG_SG_SG_EEES9_SI_JZNS1_25segmented_radix_sort_implINS0_14default_configELb0EPKhPhPKlPlN2at6native12_GLOBAL__N_18offset_tEEE10hipError_tPvRmT1_PNSt15iterator_traitsIS12_E10value_typeET2_T3_PNS13_IS18_E10value_typeET4_jRbjT5_S1E_jjP12ihipStream_tbEUljE_ZNSN_ISO_Lb0ESQ_SR_ST_SU_SY_EESZ_S10_S11_S12_S16_S17_S18_S1B_S1C_jS1D_jS1E_S1E_jjS1G_bEUljE0_EEESZ_S10_S11_S18_S1C_S1E_T6_T7_T9_mT8_S1G_bDpT10_ENKUlT_T0_E_clISt17integral_constantIbLb1EES1U_EEDaS1P_S1Q_EUlS1P_E_NS1_11comp_targetILNS1_3genE0ELNS1_11target_archE4294967295ELNS1_3gpuE0ELNS1_3repE0EEENS1_30default_config_static_selectorELNS0_4arch9wavefront6targetE0EEEvS12_: ; @_ZN7rocprim17ROCPRIM_400000_NS6detail17trampoline_kernelINS0_13select_configILj256ELj13ELNS0_17block_load_methodE3ELS4_3ELS4_3ELNS0_20block_scan_algorithmE0ELj4294967295EEENS1_25partition_config_selectorILNS1_17partition_subalgoE4EjNS0_10empty_typeEbEEZZNS1_14partition_implILS8_4ELb0ES6_15HIP_vector_typeIjLj2EENS0_17counting_iteratorIjlEEPS9_SG_NS0_5tupleIJPjSI_NS0_16reverse_iteratorISI_EEEEENSH_IJSG_SG_SG_EEES9_SI_JZNS1_25segmented_radix_sort_implINS0_14default_configELb0EPKhPhPKlPlN2at6native12_GLOBAL__N_18offset_tEEE10hipError_tPvRmT1_PNSt15iterator_traitsIS12_E10value_typeET2_T3_PNS13_IS18_E10value_typeET4_jRbjT5_S1E_jjP12ihipStream_tbEUljE_ZNSN_ISO_Lb0ESQ_SR_ST_SU_SY_EESZ_S10_S11_S12_S16_S17_S18_S1B_S1C_jS1D_jS1E_S1E_jjS1G_bEUljE0_EEESZ_S10_S11_S18_S1C_S1E_T6_T7_T9_mT8_S1G_bDpT10_ENKUlT_T0_E_clISt17integral_constantIbLb1EES1U_EEDaS1P_S1Q_EUlS1P_E_NS1_11comp_targetILNS1_3genE0ELNS1_11target_archE4294967295ELNS1_3gpuE0ELNS1_3repE0EEENS1_30default_config_static_selectorELNS0_4arch9wavefront6targetE0EEEvS12_
; %bb.0:
	.section	.rodata,"a",@progbits
	.p2align	6, 0x0
	.amdhsa_kernel _ZN7rocprim17ROCPRIM_400000_NS6detail17trampoline_kernelINS0_13select_configILj256ELj13ELNS0_17block_load_methodE3ELS4_3ELS4_3ELNS0_20block_scan_algorithmE0ELj4294967295EEENS1_25partition_config_selectorILNS1_17partition_subalgoE4EjNS0_10empty_typeEbEEZZNS1_14partition_implILS8_4ELb0ES6_15HIP_vector_typeIjLj2EENS0_17counting_iteratorIjlEEPS9_SG_NS0_5tupleIJPjSI_NS0_16reverse_iteratorISI_EEEEENSH_IJSG_SG_SG_EEES9_SI_JZNS1_25segmented_radix_sort_implINS0_14default_configELb0EPKhPhPKlPlN2at6native12_GLOBAL__N_18offset_tEEE10hipError_tPvRmT1_PNSt15iterator_traitsIS12_E10value_typeET2_T3_PNS13_IS18_E10value_typeET4_jRbjT5_S1E_jjP12ihipStream_tbEUljE_ZNSN_ISO_Lb0ESQ_SR_ST_SU_SY_EESZ_S10_S11_S12_S16_S17_S18_S1B_S1C_jS1D_jS1E_S1E_jjS1G_bEUljE0_EEESZ_S10_S11_S18_S1C_S1E_T6_T7_T9_mT8_S1G_bDpT10_ENKUlT_T0_E_clISt17integral_constantIbLb1EES1U_EEDaS1P_S1Q_EUlS1P_E_NS1_11comp_targetILNS1_3genE0ELNS1_11target_archE4294967295ELNS1_3gpuE0ELNS1_3repE0EEENS1_30default_config_static_selectorELNS0_4arch9wavefront6targetE0EEEvS12_
		.amdhsa_group_segment_fixed_size 0
		.amdhsa_private_segment_fixed_size 0
		.amdhsa_kernarg_size 184
		.amdhsa_user_sgpr_count 6
		.amdhsa_user_sgpr_private_segment_buffer 1
		.amdhsa_user_sgpr_dispatch_ptr 0
		.amdhsa_user_sgpr_queue_ptr 0
		.amdhsa_user_sgpr_kernarg_segment_ptr 1
		.amdhsa_user_sgpr_dispatch_id 0
		.amdhsa_user_sgpr_flat_scratch_init 0
		.amdhsa_user_sgpr_private_segment_size 0
		.amdhsa_wavefront_size32 1
		.amdhsa_uses_dynamic_stack 0
		.amdhsa_system_sgpr_private_segment_wavefront_offset 0
		.amdhsa_system_sgpr_workgroup_id_x 1
		.amdhsa_system_sgpr_workgroup_id_y 0
		.amdhsa_system_sgpr_workgroup_id_z 0
		.amdhsa_system_sgpr_workgroup_info 0
		.amdhsa_system_vgpr_workitem_id 0
		.amdhsa_next_free_vgpr 1
		.amdhsa_next_free_sgpr 1
		.amdhsa_reserve_vcc 0
		.amdhsa_reserve_flat_scratch 0
		.amdhsa_float_round_mode_32 0
		.amdhsa_float_round_mode_16_64 0
		.amdhsa_float_denorm_mode_32 3
		.amdhsa_float_denorm_mode_16_64 3
		.amdhsa_dx10_clamp 1
		.amdhsa_ieee_mode 1
		.amdhsa_fp16_overflow 0
		.amdhsa_workgroup_processor_mode 1
		.amdhsa_memory_ordered 1
		.amdhsa_forward_progress 1
		.amdhsa_shared_vgpr_count 0
		.amdhsa_exception_fp_ieee_invalid_op 0
		.amdhsa_exception_fp_denorm_src 0
		.amdhsa_exception_fp_ieee_div_zero 0
		.amdhsa_exception_fp_ieee_overflow 0
		.amdhsa_exception_fp_ieee_underflow 0
		.amdhsa_exception_fp_ieee_inexact 0
		.amdhsa_exception_int_div_zero 0
	.end_amdhsa_kernel
	.section	.text._ZN7rocprim17ROCPRIM_400000_NS6detail17trampoline_kernelINS0_13select_configILj256ELj13ELNS0_17block_load_methodE3ELS4_3ELS4_3ELNS0_20block_scan_algorithmE0ELj4294967295EEENS1_25partition_config_selectorILNS1_17partition_subalgoE4EjNS0_10empty_typeEbEEZZNS1_14partition_implILS8_4ELb0ES6_15HIP_vector_typeIjLj2EENS0_17counting_iteratorIjlEEPS9_SG_NS0_5tupleIJPjSI_NS0_16reverse_iteratorISI_EEEEENSH_IJSG_SG_SG_EEES9_SI_JZNS1_25segmented_radix_sort_implINS0_14default_configELb0EPKhPhPKlPlN2at6native12_GLOBAL__N_18offset_tEEE10hipError_tPvRmT1_PNSt15iterator_traitsIS12_E10value_typeET2_T3_PNS13_IS18_E10value_typeET4_jRbjT5_S1E_jjP12ihipStream_tbEUljE_ZNSN_ISO_Lb0ESQ_SR_ST_SU_SY_EESZ_S10_S11_S12_S16_S17_S18_S1B_S1C_jS1D_jS1E_S1E_jjS1G_bEUljE0_EEESZ_S10_S11_S18_S1C_S1E_T6_T7_T9_mT8_S1G_bDpT10_ENKUlT_T0_E_clISt17integral_constantIbLb1EES1U_EEDaS1P_S1Q_EUlS1P_E_NS1_11comp_targetILNS1_3genE0ELNS1_11target_archE4294967295ELNS1_3gpuE0ELNS1_3repE0EEENS1_30default_config_static_selectorELNS0_4arch9wavefront6targetE0EEEvS12_,"axG",@progbits,_ZN7rocprim17ROCPRIM_400000_NS6detail17trampoline_kernelINS0_13select_configILj256ELj13ELNS0_17block_load_methodE3ELS4_3ELS4_3ELNS0_20block_scan_algorithmE0ELj4294967295EEENS1_25partition_config_selectorILNS1_17partition_subalgoE4EjNS0_10empty_typeEbEEZZNS1_14partition_implILS8_4ELb0ES6_15HIP_vector_typeIjLj2EENS0_17counting_iteratorIjlEEPS9_SG_NS0_5tupleIJPjSI_NS0_16reverse_iteratorISI_EEEEENSH_IJSG_SG_SG_EEES9_SI_JZNS1_25segmented_radix_sort_implINS0_14default_configELb0EPKhPhPKlPlN2at6native12_GLOBAL__N_18offset_tEEE10hipError_tPvRmT1_PNSt15iterator_traitsIS12_E10value_typeET2_T3_PNS13_IS18_E10value_typeET4_jRbjT5_S1E_jjP12ihipStream_tbEUljE_ZNSN_ISO_Lb0ESQ_SR_ST_SU_SY_EESZ_S10_S11_S12_S16_S17_S18_S1B_S1C_jS1D_jS1E_S1E_jjS1G_bEUljE0_EEESZ_S10_S11_S18_S1C_S1E_T6_T7_T9_mT8_S1G_bDpT10_ENKUlT_T0_E_clISt17integral_constantIbLb1EES1U_EEDaS1P_S1Q_EUlS1P_E_NS1_11comp_targetILNS1_3genE0ELNS1_11target_archE4294967295ELNS1_3gpuE0ELNS1_3repE0EEENS1_30default_config_static_selectorELNS0_4arch9wavefront6targetE0EEEvS12_,comdat
.Lfunc_end129:
	.size	_ZN7rocprim17ROCPRIM_400000_NS6detail17trampoline_kernelINS0_13select_configILj256ELj13ELNS0_17block_load_methodE3ELS4_3ELS4_3ELNS0_20block_scan_algorithmE0ELj4294967295EEENS1_25partition_config_selectorILNS1_17partition_subalgoE4EjNS0_10empty_typeEbEEZZNS1_14partition_implILS8_4ELb0ES6_15HIP_vector_typeIjLj2EENS0_17counting_iteratorIjlEEPS9_SG_NS0_5tupleIJPjSI_NS0_16reverse_iteratorISI_EEEEENSH_IJSG_SG_SG_EEES9_SI_JZNS1_25segmented_radix_sort_implINS0_14default_configELb0EPKhPhPKlPlN2at6native12_GLOBAL__N_18offset_tEEE10hipError_tPvRmT1_PNSt15iterator_traitsIS12_E10value_typeET2_T3_PNS13_IS18_E10value_typeET4_jRbjT5_S1E_jjP12ihipStream_tbEUljE_ZNSN_ISO_Lb0ESQ_SR_ST_SU_SY_EESZ_S10_S11_S12_S16_S17_S18_S1B_S1C_jS1D_jS1E_S1E_jjS1G_bEUljE0_EEESZ_S10_S11_S18_S1C_S1E_T6_T7_T9_mT8_S1G_bDpT10_ENKUlT_T0_E_clISt17integral_constantIbLb1EES1U_EEDaS1P_S1Q_EUlS1P_E_NS1_11comp_targetILNS1_3genE0ELNS1_11target_archE4294967295ELNS1_3gpuE0ELNS1_3repE0EEENS1_30default_config_static_selectorELNS0_4arch9wavefront6targetE0EEEvS12_, .Lfunc_end129-_ZN7rocprim17ROCPRIM_400000_NS6detail17trampoline_kernelINS0_13select_configILj256ELj13ELNS0_17block_load_methodE3ELS4_3ELS4_3ELNS0_20block_scan_algorithmE0ELj4294967295EEENS1_25partition_config_selectorILNS1_17partition_subalgoE4EjNS0_10empty_typeEbEEZZNS1_14partition_implILS8_4ELb0ES6_15HIP_vector_typeIjLj2EENS0_17counting_iteratorIjlEEPS9_SG_NS0_5tupleIJPjSI_NS0_16reverse_iteratorISI_EEEEENSH_IJSG_SG_SG_EEES9_SI_JZNS1_25segmented_radix_sort_implINS0_14default_configELb0EPKhPhPKlPlN2at6native12_GLOBAL__N_18offset_tEEE10hipError_tPvRmT1_PNSt15iterator_traitsIS12_E10value_typeET2_T3_PNS13_IS18_E10value_typeET4_jRbjT5_S1E_jjP12ihipStream_tbEUljE_ZNSN_ISO_Lb0ESQ_SR_ST_SU_SY_EESZ_S10_S11_S12_S16_S17_S18_S1B_S1C_jS1D_jS1E_S1E_jjS1G_bEUljE0_EEESZ_S10_S11_S18_S1C_S1E_T6_T7_T9_mT8_S1G_bDpT10_ENKUlT_T0_E_clISt17integral_constantIbLb1EES1U_EEDaS1P_S1Q_EUlS1P_E_NS1_11comp_targetILNS1_3genE0ELNS1_11target_archE4294967295ELNS1_3gpuE0ELNS1_3repE0EEENS1_30default_config_static_selectorELNS0_4arch9wavefront6targetE0EEEvS12_
                                        ; -- End function
	.set _ZN7rocprim17ROCPRIM_400000_NS6detail17trampoline_kernelINS0_13select_configILj256ELj13ELNS0_17block_load_methodE3ELS4_3ELS4_3ELNS0_20block_scan_algorithmE0ELj4294967295EEENS1_25partition_config_selectorILNS1_17partition_subalgoE4EjNS0_10empty_typeEbEEZZNS1_14partition_implILS8_4ELb0ES6_15HIP_vector_typeIjLj2EENS0_17counting_iteratorIjlEEPS9_SG_NS0_5tupleIJPjSI_NS0_16reverse_iteratorISI_EEEEENSH_IJSG_SG_SG_EEES9_SI_JZNS1_25segmented_radix_sort_implINS0_14default_configELb0EPKhPhPKlPlN2at6native12_GLOBAL__N_18offset_tEEE10hipError_tPvRmT1_PNSt15iterator_traitsIS12_E10value_typeET2_T3_PNS13_IS18_E10value_typeET4_jRbjT5_S1E_jjP12ihipStream_tbEUljE_ZNSN_ISO_Lb0ESQ_SR_ST_SU_SY_EESZ_S10_S11_S12_S16_S17_S18_S1B_S1C_jS1D_jS1E_S1E_jjS1G_bEUljE0_EEESZ_S10_S11_S18_S1C_S1E_T6_T7_T9_mT8_S1G_bDpT10_ENKUlT_T0_E_clISt17integral_constantIbLb1EES1U_EEDaS1P_S1Q_EUlS1P_E_NS1_11comp_targetILNS1_3genE0ELNS1_11target_archE4294967295ELNS1_3gpuE0ELNS1_3repE0EEENS1_30default_config_static_selectorELNS0_4arch9wavefront6targetE0EEEvS12_.num_vgpr, 0
	.set _ZN7rocprim17ROCPRIM_400000_NS6detail17trampoline_kernelINS0_13select_configILj256ELj13ELNS0_17block_load_methodE3ELS4_3ELS4_3ELNS0_20block_scan_algorithmE0ELj4294967295EEENS1_25partition_config_selectorILNS1_17partition_subalgoE4EjNS0_10empty_typeEbEEZZNS1_14partition_implILS8_4ELb0ES6_15HIP_vector_typeIjLj2EENS0_17counting_iteratorIjlEEPS9_SG_NS0_5tupleIJPjSI_NS0_16reverse_iteratorISI_EEEEENSH_IJSG_SG_SG_EEES9_SI_JZNS1_25segmented_radix_sort_implINS0_14default_configELb0EPKhPhPKlPlN2at6native12_GLOBAL__N_18offset_tEEE10hipError_tPvRmT1_PNSt15iterator_traitsIS12_E10value_typeET2_T3_PNS13_IS18_E10value_typeET4_jRbjT5_S1E_jjP12ihipStream_tbEUljE_ZNSN_ISO_Lb0ESQ_SR_ST_SU_SY_EESZ_S10_S11_S12_S16_S17_S18_S1B_S1C_jS1D_jS1E_S1E_jjS1G_bEUljE0_EEESZ_S10_S11_S18_S1C_S1E_T6_T7_T9_mT8_S1G_bDpT10_ENKUlT_T0_E_clISt17integral_constantIbLb1EES1U_EEDaS1P_S1Q_EUlS1P_E_NS1_11comp_targetILNS1_3genE0ELNS1_11target_archE4294967295ELNS1_3gpuE0ELNS1_3repE0EEENS1_30default_config_static_selectorELNS0_4arch9wavefront6targetE0EEEvS12_.num_agpr, 0
	.set _ZN7rocprim17ROCPRIM_400000_NS6detail17trampoline_kernelINS0_13select_configILj256ELj13ELNS0_17block_load_methodE3ELS4_3ELS4_3ELNS0_20block_scan_algorithmE0ELj4294967295EEENS1_25partition_config_selectorILNS1_17partition_subalgoE4EjNS0_10empty_typeEbEEZZNS1_14partition_implILS8_4ELb0ES6_15HIP_vector_typeIjLj2EENS0_17counting_iteratorIjlEEPS9_SG_NS0_5tupleIJPjSI_NS0_16reverse_iteratorISI_EEEEENSH_IJSG_SG_SG_EEES9_SI_JZNS1_25segmented_radix_sort_implINS0_14default_configELb0EPKhPhPKlPlN2at6native12_GLOBAL__N_18offset_tEEE10hipError_tPvRmT1_PNSt15iterator_traitsIS12_E10value_typeET2_T3_PNS13_IS18_E10value_typeET4_jRbjT5_S1E_jjP12ihipStream_tbEUljE_ZNSN_ISO_Lb0ESQ_SR_ST_SU_SY_EESZ_S10_S11_S12_S16_S17_S18_S1B_S1C_jS1D_jS1E_S1E_jjS1G_bEUljE0_EEESZ_S10_S11_S18_S1C_S1E_T6_T7_T9_mT8_S1G_bDpT10_ENKUlT_T0_E_clISt17integral_constantIbLb1EES1U_EEDaS1P_S1Q_EUlS1P_E_NS1_11comp_targetILNS1_3genE0ELNS1_11target_archE4294967295ELNS1_3gpuE0ELNS1_3repE0EEENS1_30default_config_static_selectorELNS0_4arch9wavefront6targetE0EEEvS12_.numbered_sgpr, 0
	.set _ZN7rocprim17ROCPRIM_400000_NS6detail17trampoline_kernelINS0_13select_configILj256ELj13ELNS0_17block_load_methodE3ELS4_3ELS4_3ELNS0_20block_scan_algorithmE0ELj4294967295EEENS1_25partition_config_selectorILNS1_17partition_subalgoE4EjNS0_10empty_typeEbEEZZNS1_14partition_implILS8_4ELb0ES6_15HIP_vector_typeIjLj2EENS0_17counting_iteratorIjlEEPS9_SG_NS0_5tupleIJPjSI_NS0_16reverse_iteratorISI_EEEEENSH_IJSG_SG_SG_EEES9_SI_JZNS1_25segmented_radix_sort_implINS0_14default_configELb0EPKhPhPKlPlN2at6native12_GLOBAL__N_18offset_tEEE10hipError_tPvRmT1_PNSt15iterator_traitsIS12_E10value_typeET2_T3_PNS13_IS18_E10value_typeET4_jRbjT5_S1E_jjP12ihipStream_tbEUljE_ZNSN_ISO_Lb0ESQ_SR_ST_SU_SY_EESZ_S10_S11_S12_S16_S17_S18_S1B_S1C_jS1D_jS1E_S1E_jjS1G_bEUljE0_EEESZ_S10_S11_S18_S1C_S1E_T6_T7_T9_mT8_S1G_bDpT10_ENKUlT_T0_E_clISt17integral_constantIbLb1EES1U_EEDaS1P_S1Q_EUlS1P_E_NS1_11comp_targetILNS1_3genE0ELNS1_11target_archE4294967295ELNS1_3gpuE0ELNS1_3repE0EEENS1_30default_config_static_selectorELNS0_4arch9wavefront6targetE0EEEvS12_.num_named_barrier, 0
	.set _ZN7rocprim17ROCPRIM_400000_NS6detail17trampoline_kernelINS0_13select_configILj256ELj13ELNS0_17block_load_methodE3ELS4_3ELS4_3ELNS0_20block_scan_algorithmE0ELj4294967295EEENS1_25partition_config_selectorILNS1_17partition_subalgoE4EjNS0_10empty_typeEbEEZZNS1_14partition_implILS8_4ELb0ES6_15HIP_vector_typeIjLj2EENS0_17counting_iteratorIjlEEPS9_SG_NS0_5tupleIJPjSI_NS0_16reverse_iteratorISI_EEEEENSH_IJSG_SG_SG_EEES9_SI_JZNS1_25segmented_radix_sort_implINS0_14default_configELb0EPKhPhPKlPlN2at6native12_GLOBAL__N_18offset_tEEE10hipError_tPvRmT1_PNSt15iterator_traitsIS12_E10value_typeET2_T3_PNS13_IS18_E10value_typeET4_jRbjT5_S1E_jjP12ihipStream_tbEUljE_ZNSN_ISO_Lb0ESQ_SR_ST_SU_SY_EESZ_S10_S11_S12_S16_S17_S18_S1B_S1C_jS1D_jS1E_S1E_jjS1G_bEUljE0_EEESZ_S10_S11_S18_S1C_S1E_T6_T7_T9_mT8_S1G_bDpT10_ENKUlT_T0_E_clISt17integral_constantIbLb1EES1U_EEDaS1P_S1Q_EUlS1P_E_NS1_11comp_targetILNS1_3genE0ELNS1_11target_archE4294967295ELNS1_3gpuE0ELNS1_3repE0EEENS1_30default_config_static_selectorELNS0_4arch9wavefront6targetE0EEEvS12_.private_seg_size, 0
	.set _ZN7rocprim17ROCPRIM_400000_NS6detail17trampoline_kernelINS0_13select_configILj256ELj13ELNS0_17block_load_methodE3ELS4_3ELS4_3ELNS0_20block_scan_algorithmE0ELj4294967295EEENS1_25partition_config_selectorILNS1_17partition_subalgoE4EjNS0_10empty_typeEbEEZZNS1_14partition_implILS8_4ELb0ES6_15HIP_vector_typeIjLj2EENS0_17counting_iteratorIjlEEPS9_SG_NS0_5tupleIJPjSI_NS0_16reverse_iteratorISI_EEEEENSH_IJSG_SG_SG_EEES9_SI_JZNS1_25segmented_radix_sort_implINS0_14default_configELb0EPKhPhPKlPlN2at6native12_GLOBAL__N_18offset_tEEE10hipError_tPvRmT1_PNSt15iterator_traitsIS12_E10value_typeET2_T3_PNS13_IS18_E10value_typeET4_jRbjT5_S1E_jjP12ihipStream_tbEUljE_ZNSN_ISO_Lb0ESQ_SR_ST_SU_SY_EESZ_S10_S11_S12_S16_S17_S18_S1B_S1C_jS1D_jS1E_S1E_jjS1G_bEUljE0_EEESZ_S10_S11_S18_S1C_S1E_T6_T7_T9_mT8_S1G_bDpT10_ENKUlT_T0_E_clISt17integral_constantIbLb1EES1U_EEDaS1P_S1Q_EUlS1P_E_NS1_11comp_targetILNS1_3genE0ELNS1_11target_archE4294967295ELNS1_3gpuE0ELNS1_3repE0EEENS1_30default_config_static_selectorELNS0_4arch9wavefront6targetE0EEEvS12_.uses_vcc, 0
	.set _ZN7rocprim17ROCPRIM_400000_NS6detail17trampoline_kernelINS0_13select_configILj256ELj13ELNS0_17block_load_methodE3ELS4_3ELS4_3ELNS0_20block_scan_algorithmE0ELj4294967295EEENS1_25partition_config_selectorILNS1_17partition_subalgoE4EjNS0_10empty_typeEbEEZZNS1_14partition_implILS8_4ELb0ES6_15HIP_vector_typeIjLj2EENS0_17counting_iteratorIjlEEPS9_SG_NS0_5tupleIJPjSI_NS0_16reverse_iteratorISI_EEEEENSH_IJSG_SG_SG_EEES9_SI_JZNS1_25segmented_radix_sort_implINS0_14default_configELb0EPKhPhPKlPlN2at6native12_GLOBAL__N_18offset_tEEE10hipError_tPvRmT1_PNSt15iterator_traitsIS12_E10value_typeET2_T3_PNS13_IS18_E10value_typeET4_jRbjT5_S1E_jjP12ihipStream_tbEUljE_ZNSN_ISO_Lb0ESQ_SR_ST_SU_SY_EESZ_S10_S11_S12_S16_S17_S18_S1B_S1C_jS1D_jS1E_S1E_jjS1G_bEUljE0_EEESZ_S10_S11_S18_S1C_S1E_T6_T7_T9_mT8_S1G_bDpT10_ENKUlT_T0_E_clISt17integral_constantIbLb1EES1U_EEDaS1P_S1Q_EUlS1P_E_NS1_11comp_targetILNS1_3genE0ELNS1_11target_archE4294967295ELNS1_3gpuE0ELNS1_3repE0EEENS1_30default_config_static_selectorELNS0_4arch9wavefront6targetE0EEEvS12_.uses_flat_scratch, 0
	.set _ZN7rocprim17ROCPRIM_400000_NS6detail17trampoline_kernelINS0_13select_configILj256ELj13ELNS0_17block_load_methodE3ELS4_3ELS4_3ELNS0_20block_scan_algorithmE0ELj4294967295EEENS1_25partition_config_selectorILNS1_17partition_subalgoE4EjNS0_10empty_typeEbEEZZNS1_14partition_implILS8_4ELb0ES6_15HIP_vector_typeIjLj2EENS0_17counting_iteratorIjlEEPS9_SG_NS0_5tupleIJPjSI_NS0_16reverse_iteratorISI_EEEEENSH_IJSG_SG_SG_EEES9_SI_JZNS1_25segmented_radix_sort_implINS0_14default_configELb0EPKhPhPKlPlN2at6native12_GLOBAL__N_18offset_tEEE10hipError_tPvRmT1_PNSt15iterator_traitsIS12_E10value_typeET2_T3_PNS13_IS18_E10value_typeET4_jRbjT5_S1E_jjP12ihipStream_tbEUljE_ZNSN_ISO_Lb0ESQ_SR_ST_SU_SY_EESZ_S10_S11_S12_S16_S17_S18_S1B_S1C_jS1D_jS1E_S1E_jjS1G_bEUljE0_EEESZ_S10_S11_S18_S1C_S1E_T6_T7_T9_mT8_S1G_bDpT10_ENKUlT_T0_E_clISt17integral_constantIbLb1EES1U_EEDaS1P_S1Q_EUlS1P_E_NS1_11comp_targetILNS1_3genE0ELNS1_11target_archE4294967295ELNS1_3gpuE0ELNS1_3repE0EEENS1_30default_config_static_selectorELNS0_4arch9wavefront6targetE0EEEvS12_.has_dyn_sized_stack, 0
	.set _ZN7rocprim17ROCPRIM_400000_NS6detail17trampoline_kernelINS0_13select_configILj256ELj13ELNS0_17block_load_methodE3ELS4_3ELS4_3ELNS0_20block_scan_algorithmE0ELj4294967295EEENS1_25partition_config_selectorILNS1_17partition_subalgoE4EjNS0_10empty_typeEbEEZZNS1_14partition_implILS8_4ELb0ES6_15HIP_vector_typeIjLj2EENS0_17counting_iteratorIjlEEPS9_SG_NS0_5tupleIJPjSI_NS0_16reverse_iteratorISI_EEEEENSH_IJSG_SG_SG_EEES9_SI_JZNS1_25segmented_radix_sort_implINS0_14default_configELb0EPKhPhPKlPlN2at6native12_GLOBAL__N_18offset_tEEE10hipError_tPvRmT1_PNSt15iterator_traitsIS12_E10value_typeET2_T3_PNS13_IS18_E10value_typeET4_jRbjT5_S1E_jjP12ihipStream_tbEUljE_ZNSN_ISO_Lb0ESQ_SR_ST_SU_SY_EESZ_S10_S11_S12_S16_S17_S18_S1B_S1C_jS1D_jS1E_S1E_jjS1G_bEUljE0_EEESZ_S10_S11_S18_S1C_S1E_T6_T7_T9_mT8_S1G_bDpT10_ENKUlT_T0_E_clISt17integral_constantIbLb1EES1U_EEDaS1P_S1Q_EUlS1P_E_NS1_11comp_targetILNS1_3genE0ELNS1_11target_archE4294967295ELNS1_3gpuE0ELNS1_3repE0EEENS1_30default_config_static_selectorELNS0_4arch9wavefront6targetE0EEEvS12_.has_recursion, 0
	.set _ZN7rocprim17ROCPRIM_400000_NS6detail17trampoline_kernelINS0_13select_configILj256ELj13ELNS0_17block_load_methodE3ELS4_3ELS4_3ELNS0_20block_scan_algorithmE0ELj4294967295EEENS1_25partition_config_selectorILNS1_17partition_subalgoE4EjNS0_10empty_typeEbEEZZNS1_14partition_implILS8_4ELb0ES6_15HIP_vector_typeIjLj2EENS0_17counting_iteratorIjlEEPS9_SG_NS0_5tupleIJPjSI_NS0_16reverse_iteratorISI_EEEEENSH_IJSG_SG_SG_EEES9_SI_JZNS1_25segmented_radix_sort_implINS0_14default_configELb0EPKhPhPKlPlN2at6native12_GLOBAL__N_18offset_tEEE10hipError_tPvRmT1_PNSt15iterator_traitsIS12_E10value_typeET2_T3_PNS13_IS18_E10value_typeET4_jRbjT5_S1E_jjP12ihipStream_tbEUljE_ZNSN_ISO_Lb0ESQ_SR_ST_SU_SY_EESZ_S10_S11_S12_S16_S17_S18_S1B_S1C_jS1D_jS1E_S1E_jjS1G_bEUljE0_EEESZ_S10_S11_S18_S1C_S1E_T6_T7_T9_mT8_S1G_bDpT10_ENKUlT_T0_E_clISt17integral_constantIbLb1EES1U_EEDaS1P_S1Q_EUlS1P_E_NS1_11comp_targetILNS1_3genE0ELNS1_11target_archE4294967295ELNS1_3gpuE0ELNS1_3repE0EEENS1_30default_config_static_selectorELNS0_4arch9wavefront6targetE0EEEvS12_.has_indirect_call, 0
	.section	.AMDGPU.csdata,"",@progbits
; Kernel info:
; codeLenInByte = 0
; TotalNumSgprs: 0
; NumVgprs: 0
; ScratchSize: 0
; MemoryBound: 0
; FloatMode: 240
; IeeeMode: 1
; LDSByteSize: 0 bytes/workgroup (compile time only)
; SGPRBlocks: 0
; VGPRBlocks: 0
; NumSGPRsForWavesPerEU: 1
; NumVGPRsForWavesPerEU: 1
; Occupancy: 16
; WaveLimiterHint : 0
; COMPUTE_PGM_RSRC2:SCRATCH_EN: 0
; COMPUTE_PGM_RSRC2:USER_SGPR: 6
; COMPUTE_PGM_RSRC2:TRAP_HANDLER: 0
; COMPUTE_PGM_RSRC2:TGID_X_EN: 1
; COMPUTE_PGM_RSRC2:TGID_Y_EN: 0
; COMPUTE_PGM_RSRC2:TGID_Z_EN: 0
; COMPUTE_PGM_RSRC2:TIDIG_COMP_CNT: 0
	.section	.text._ZN7rocprim17ROCPRIM_400000_NS6detail17trampoline_kernelINS0_13select_configILj256ELj13ELNS0_17block_load_methodE3ELS4_3ELS4_3ELNS0_20block_scan_algorithmE0ELj4294967295EEENS1_25partition_config_selectorILNS1_17partition_subalgoE4EjNS0_10empty_typeEbEEZZNS1_14partition_implILS8_4ELb0ES6_15HIP_vector_typeIjLj2EENS0_17counting_iteratorIjlEEPS9_SG_NS0_5tupleIJPjSI_NS0_16reverse_iteratorISI_EEEEENSH_IJSG_SG_SG_EEES9_SI_JZNS1_25segmented_radix_sort_implINS0_14default_configELb0EPKhPhPKlPlN2at6native12_GLOBAL__N_18offset_tEEE10hipError_tPvRmT1_PNSt15iterator_traitsIS12_E10value_typeET2_T3_PNS13_IS18_E10value_typeET4_jRbjT5_S1E_jjP12ihipStream_tbEUljE_ZNSN_ISO_Lb0ESQ_SR_ST_SU_SY_EESZ_S10_S11_S12_S16_S17_S18_S1B_S1C_jS1D_jS1E_S1E_jjS1G_bEUljE0_EEESZ_S10_S11_S18_S1C_S1E_T6_T7_T9_mT8_S1G_bDpT10_ENKUlT_T0_E_clISt17integral_constantIbLb1EES1U_EEDaS1P_S1Q_EUlS1P_E_NS1_11comp_targetILNS1_3genE5ELNS1_11target_archE942ELNS1_3gpuE9ELNS1_3repE0EEENS1_30default_config_static_selectorELNS0_4arch9wavefront6targetE0EEEvS12_,"axG",@progbits,_ZN7rocprim17ROCPRIM_400000_NS6detail17trampoline_kernelINS0_13select_configILj256ELj13ELNS0_17block_load_methodE3ELS4_3ELS4_3ELNS0_20block_scan_algorithmE0ELj4294967295EEENS1_25partition_config_selectorILNS1_17partition_subalgoE4EjNS0_10empty_typeEbEEZZNS1_14partition_implILS8_4ELb0ES6_15HIP_vector_typeIjLj2EENS0_17counting_iteratorIjlEEPS9_SG_NS0_5tupleIJPjSI_NS0_16reverse_iteratorISI_EEEEENSH_IJSG_SG_SG_EEES9_SI_JZNS1_25segmented_radix_sort_implINS0_14default_configELb0EPKhPhPKlPlN2at6native12_GLOBAL__N_18offset_tEEE10hipError_tPvRmT1_PNSt15iterator_traitsIS12_E10value_typeET2_T3_PNS13_IS18_E10value_typeET4_jRbjT5_S1E_jjP12ihipStream_tbEUljE_ZNSN_ISO_Lb0ESQ_SR_ST_SU_SY_EESZ_S10_S11_S12_S16_S17_S18_S1B_S1C_jS1D_jS1E_S1E_jjS1G_bEUljE0_EEESZ_S10_S11_S18_S1C_S1E_T6_T7_T9_mT8_S1G_bDpT10_ENKUlT_T0_E_clISt17integral_constantIbLb1EES1U_EEDaS1P_S1Q_EUlS1P_E_NS1_11comp_targetILNS1_3genE5ELNS1_11target_archE942ELNS1_3gpuE9ELNS1_3repE0EEENS1_30default_config_static_selectorELNS0_4arch9wavefront6targetE0EEEvS12_,comdat
	.globl	_ZN7rocprim17ROCPRIM_400000_NS6detail17trampoline_kernelINS0_13select_configILj256ELj13ELNS0_17block_load_methodE3ELS4_3ELS4_3ELNS0_20block_scan_algorithmE0ELj4294967295EEENS1_25partition_config_selectorILNS1_17partition_subalgoE4EjNS0_10empty_typeEbEEZZNS1_14partition_implILS8_4ELb0ES6_15HIP_vector_typeIjLj2EENS0_17counting_iteratorIjlEEPS9_SG_NS0_5tupleIJPjSI_NS0_16reverse_iteratorISI_EEEEENSH_IJSG_SG_SG_EEES9_SI_JZNS1_25segmented_radix_sort_implINS0_14default_configELb0EPKhPhPKlPlN2at6native12_GLOBAL__N_18offset_tEEE10hipError_tPvRmT1_PNSt15iterator_traitsIS12_E10value_typeET2_T3_PNS13_IS18_E10value_typeET4_jRbjT5_S1E_jjP12ihipStream_tbEUljE_ZNSN_ISO_Lb0ESQ_SR_ST_SU_SY_EESZ_S10_S11_S12_S16_S17_S18_S1B_S1C_jS1D_jS1E_S1E_jjS1G_bEUljE0_EEESZ_S10_S11_S18_S1C_S1E_T6_T7_T9_mT8_S1G_bDpT10_ENKUlT_T0_E_clISt17integral_constantIbLb1EES1U_EEDaS1P_S1Q_EUlS1P_E_NS1_11comp_targetILNS1_3genE5ELNS1_11target_archE942ELNS1_3gpuE9ELNS1_3repE0EEENS1_30default_config_static_selectorELNS0_4arch9wavefront6targetE0EEEvS12_ ; -- Begin function _ZN7rocprim17ROCPRIM_400000_NS6detail17trampoline_kernelINS0_13select_configILj256ELj13ELNS0_17block_load_methodE3ELS4_3ELS4_3ELNS0_20block_scan_algorithmE0ELj4294967295EEENS1_25partition_config_selectorILNS1_17partition_subalgoE4EjNS0_10empty_typeEbEEZZNS1_14partition_implILS8_4ELb0ES6_15HIP_vector_typeIjLj2EENS0_17counting_iteratorIjlEEPS9_SG_NS0_5tupleIJPjSI_NS0_16reverse_iteratorISI_EEEEENSH_IJSG_SG_SG_EEES9_SI_JZNS1_25segmented_radix_sort_implINS0_14default_configELb0EPKhPhPKlPlN2at6native12_GLOBAL__N_18offset_tEEE10hipError_tPvRmT1_PNSt15iterator_traitsIS12_E10value_typeET2_T3_PNS13_IS18_E10value_typeET4_jRbjT5_S1E_jjP12ihipStream_tbEUljE_ZNSN_ISO_Lb0ESQ_SR_ST_SU_SY_EESZ_S10_S11_S12_S16_S17_S18_S1B_S1C_jS1D_jS1E_S1E_jjS1G_bEUljE0_EEESZ_S10_S11_S18_S1C_S1E_T6_T7_T9_mT8_S1G_bDpT10_ENKUlT_T0_E_clISt17integral_constantIbLb1EES1U_EEDaS1P_S1Q_EUlS1P_E_NS1_11comp_targetILNS1_3genE5ELNS1_11target_archE942ELNS1_3gpuE9ELNS1_3repE0EEENS1_30default_config_static_selectorELNS0_4arch9wavefront6targetE0EEEvS12_
	.p2align	8
	.type	_ZN7rocprim17ROCPRIM_400000_NS6detail17trampoline_kernelINS0_13select_configILj256ELj13ELNS0_17block_load_methodE3ELS4_3ELS4_3ELNS0_20block_scan_algorithmE0ELj4294967295EEENS1_25partition_config_selectorILNS1_17partition_subalgoE4EjNS0_10empty_typeEbEEZZNS1_14partition_implILS8_4ELb0ES6_15HIP_vector_typeIjLj2EENS0_17counting_iteratorIjlEEPS9_SG_NS0_5tupleIJPjSI_NS0_16reverse_iteratorISI_EEEEENSH_IJSG_SG_SG_EEES9_SI_JZNS1_25segmented_radix_sort_implINS0_14default_configELb0EPKhPhPKlPlN2at6native12_GLOBAL__N_18offset_tEEE10hipError_tPvRmT1_PNSt15iterator_traitsIS12_E10value_typeET2_T3_PNS13_IS18_E10value_typeET4_jRbjT5_S1E_jjP12ihipStream_tbEUljE_ZNSN_ISO_Lb0ESQ_SR_ST_SU_SY_EESZ_S10_S11_S12_S16_S17_S18_S1B_S1C_jS1D_jS1E_S1E_jjS1G_bEUljE0_EEESZ_S10_S11_S18_S1C_S1E_T6_T7_T9_mT8_S1G_bDpT10_ENKUlT_T0_E_clISt17integral_constantIbLb1EES1U_EEDaS1P_S1Q_EUlS1P_E_NS1_11comp_targetILNS1_3genE5ELNS1_11target_archE942ELNS1_3gpuE9ELNS1_3repE0EEENS1_30default_config_static_selectorELNS0_4arch9wavefront6targetE0EEEvS12_,@function
_ZN7rocprim17ROCPRIM_400000_NS6detail17trampoline_kernelINS0_13select_configILj256ELj13ELNS0_17block_load_methodE3ELS4_3ELS4_3ELNS0_20block_scan_algorithmE0ELj4294967295EEENS1_25partition_config_selectorILNS1_17partition_subalgoE4EjNS0_10empty_typeEbEEZZNS1_14partition_implILS8_4ELb0ES6_15HIP_vector_typeIjLj2EENS0_17counting_iteratorIjlEEPS9_SG_NS0_5tupleIJPjSI_NS0_16reverse_iteratorISI_EEEEENSH_IJSG_SG_SG_EEES9_SI_JZNS1_25segmented_radix_sort_implINS0_14default_configELb0EPKhPhPKlPlN2at6native12_GLOBAL__N_18offset_tEEE10hipError_tPvRmT1_PNSt15iterator_traitsIS12_E10value_typeET2_T3_PNS13_IS18_E10value_typeET4_jRbjT5_S1E_jjP12ihipStream_tbEUljE_ZNSN_ISO_Lb0ESQ_SR_ST_SU_SY_EESZ_S10_S11_S12_S16_S17_S18_S1B_S1C_jS1D_jS1E_S1E_jjS1G_bEUljE0_EEESZ_S10_S11_S18_S1C_S1E_T6_T7_T9_mT8_S1G_bDpT10_ENKUlT_T0_E_clISt17integral_constantIbLb1EES1U_EEDaS1P_S1Q_EUlS1P_E_NS1_11comp_targetILNS1_3genE5ELNS1_11target_archE942ELNS1_3gpuE9ELNS1_3repE0EEENS1_30default_config_static_selectorELNS0_4arch9wavefront6targetE0EEEvS12_: ; @_ZN7rocprim17ROCPRIM_400000_NS6detail17trampoline_kernelINS0_13select_configILj256ELj13ELNS0_17block_load_methodE3ELS4_3ELS4_3ELNS0_20block_scan_algorithmE0ELj4294967295EEENS1_25partition_config_selectorILNS1_17partition_subalgoE4EjNS0_10empty_typeEbEEZZNS1_14partition_implILS8_4ELb0ES6_15HIP_vector_typeIjLj2EENS0_17counting_iteratorIjlEEPS9_SG_NS0_5tupleIJPjSI_NS0_16reverse_iteratorISI_EEEEENSH_IJSG_SG_SG_EEES9_SI_JZNS1_25segmented_radix_sort_implINS0_14default_configELb0EPKhPhPKlPlN2at6native12_GLOBAL__N_18offset_tEEE10hipError_tPvRmT1_PNSt15iterator_traitsIS12_E10value_typeET2_T3_PNS13_IS18_E10value_typeET4_jRbjT5_S1E_jjP12ihipStream_tbEUljE_ZNSN_ISO_Lb0ESQ_SR_ST_SU_SY_EESZ_S10_S11_S12_S16_S17_S18_S1B_S1C_jS1D_jS1E_S1E_jjS1G_bEUljE0_EEESZ_S10_S11_S18_S1C_S1E_T6_T7_T9_mT8_S1G_bDpT10_ENKUlT_T0_E_clISt17integral_constantIbLb1EES1U_EEDaS1P_S1Q_EUlS1P_E_NS1_11comp_targetILNS1_3genE5ELNS1_11target_archE942ELNS1_3gpuE9ELNS1_3repE0EEENS1_30default_config_static_selectorELNS0_4arch9wavefront6targetE0EEEvS12_
; %bb.0:
	.section	.rodata,"a",@progbits
	.p2align	6, 0x0
	.amdhsa_kernel _ZN7rocprim17ROCPRIM_400000_NS6detail17trampoline_kernelINS0_13select_configILj256ELj13ELNS0_17block_load_methodE3ELS4_3ELS4_3ELNS0_20block_scan_algorithmE0ELj4294967295EEENS1_25partition_config_selectorILNS1_17partition_subalgoE4EjNS0_10empty_typeEbEEZZNS1_14partition_implILS8_4ELb0ES6_15HIP_vector_typeIjLj2EENS0_17counting_iteratorIjlEEPS9_SG_NS0_5tupleIJPjSI_NS0_16reverse_iteratorISI_EEEEENSH_IJSG_SG_SG_EEES9_SI_JZNS1_25segmented_radix_sort_implINS0_14default_configELb0EPKhPhPKlPlN2at6native12_GLOBAL__N_18offset_tEEE10hipError_tPvRmT1_PNSt15iterator_traitsIS12_E10value_typeET2_T3_PNS13_IS18_E10value_typeET4_jRbjT5_S1E_jjP12ihipStream_tbEUljE_ZNSN_ISO_Lb0ESQ_SR_ST_SU_SY_EESZ_S10_S11_S12_S16_S17_S18_S1B_S1C_jS1D_jS1E_S1E_jjS1G_bEUljE0_EEESZ_S10_S11_S18_S1C_S1E_T6_T7_T9_mT8_S1G_bDpT10_ENKUlT_T0_E_clISt17integral_constantIbLb1EES1U_EEDaS1P_S1Q_EUlS1P_E_NS1_11comp_targetILNS1_3genE5ELNS1_11target_archE942ELNS1_3gpuE9ELNS1_3repE0EEENS1_30default_config_static_selectorELNS0_4arch9wavefront6targetE0EEEvS12_
		.amdhsa_group_segment_fixed_size 0
		.amdhsa_private_segment_fixed_size 0
		.amdhsa_kernarg_size 184
		.amdhsa_user_sgpr_count 6
		.amdhsa_user_sgpr_private_segment_buffer 1
		.amdhsa_user_sgpr_dispatch_ptr 0
		.amdhsa_user_sgpr_queue_ptr 0
		.amdhsa_user_sgpr_kernarg_segment_ptr 1
		.amdhsa_user_sgpr_dispatch_id 0
		.amdhsa_user_sgpr_flat_scratch_init 0
		.amdhsa_user_sgpr_private_segment_size 0
		.amdhsa_wavefront_size32 1
		.amdhsa_uses_dynamic_stack 0
		.amdhsa_system_sgpr_private_segment_wavefront_offset 0
		.amdhsa_system_sgpr_workgroup_id_x 1
		.amdhsa_system_sgpr_workgroup_id_y 0
		.amdhsa_system_sgpr_workgroup_id_z 0
		.amdhsa_system_sgpr_workgroup_info 0
		.amdhsa_system_vgpr_workitem_id 0
		.amdhsa_next_free_vgpr 1
		.amdhsa_next_free_sgpr 1
		.amdhsa_reserve_vcc 0
		.amdhsa_reserve_flat_scratch 0
		.amdhsa_float_round_mode_32 0
		.amdhsa_float_round_mode_16_64 0
		.amdhsa_float_denorm_mode_32 3
		.amdhsa_float_denorm_mode_16_64 3
		.amdhsa_dx10_clamp 1
		.amdhsa_ieee_mode 1
		.amdhsa_fp16_overflow 0
		.amdhsa_workgroup_processor_mode 1
		.amdhsa_memory_ordered 1
		.amdhsa_forward_progress 1
		.amdhsa_shared_vgpr_count 0
		.amdhsa_exception_fp_ieee_invalid_op 0
		.amdhsa_exception_fp_denorm_src 0
		.amdhsa_exception_fp_ieee_div_zero 0
		.amdhsa_exception_fp_ieee_overflow 0
		.amdhsa_exception_fp_ieee_underflow 0
		.amdhsa_exception_fp_ieee_inexact 0
		.amdhsa_exception_int_div_zero 0
	.end_amdhsa_kernel
	.section	.text._ZN7rocprim17ROCPRIM_400000_NS6detail17trampoline_kernelINS0_13select_configILj256ELj13ELNS0_17block_load_methodE3ELS4_3ELS4_3ELNS0_20block_scan_algorithmE0ELj4294967295EEENS1_25partition_config_selectorILNS1_17partition_subalgoE4EjNS0_10empty_typeEbEEZZNS1_14partition_implILS8_4ELb0ES6_15HIP_vector_typeIjLj2EENS0_17counting_iteratorIjlEEPS9_SG_NS0_5tupleIJPjSI_NS0_16reverse_iteratorISI_EEEEENSH_IJSG_SG_SG_EEES9_SI_JZNS1_25segmented_radix_sort_implINS0_14default_configELb0EPKhPhPKlPlN2at6native12_GLOBAL__N_18offset_tEEE10hipError_tPvRmT1_PNSt15iterator_traitsIS12_E10value_typeET2_T3_PNS13_IS18_E10value_typeET4_jRbjT5_S1E_jjP12ihipStream_tbEUljE_ZNSN_ISO_Lb0ESQ_SR_ST_SU_SY_EESZ_S10_S11_S12_S16_S17_S18_S1B_S1C_jS1D_jS1E_S1E_jjS1G_bEUljE0_EEESZ_S10_S11_S18_S1C_S1E_T6_T7_T9_mT8_S1G_bDpT10_ENKUlT_T0_E_clISt17integral_constantIbLb1EES1U_EEDaS1P_S1Q_EUlS1P_E_NS1_11comp_targetILNS1_3genE5ELNS1_11target_archE942ELNS1_3gpuE9ELNS1_3repE0EEENS1_30default_config_static_selectorELNS0_4arch9wavefront6targetE0EEEvS12_,"axG",@progbits,_ZN7rocprim17ROCPRIM_400000_NS6detail17trampoline_kernelINS0_13select_configILj256ELj13ELNS0_17block_load_methodE3ELS4_3ELS4_3ELNS0_20block_scan_algorithmE0ELj4294967295EEENS1_25partition_config_selectorILNS1_17partition_subalgoE4EjNS0_10empty_typeEbEEZZNS1_14partition_implILS8_4ELb0ES6_15HIP_vector_typeIjLj2EENS0_17counting_iteratorIjlEEPS9_SG_NS0_5tupleIJPjSI_NS0_16reverse_iteratorISI_EEEEENSH_IJSG_SG_SG_EEES9_SI_JZNS1_25segmented_radix_sort_implINS0_14default_configELb0EPKhPhPKlPlN2at6native12_GLOBAL__N_18offset_tEEE10hipError_tPvRmT1_PNSt15iterator_traitsIS12_E10value_typeET2_T3_PNS13_IS18_E10value_typeET4_jRbjT5_S1E_jjP12ihipStream_tbEUljE_ZNSN_ISO_Lb0ESQ_SR_ST_SU_SY_EESZ_S10_S11_S12_S16_S17_S18_S1B_S1C_jS1D_jS1E_S1E_jjS1G_bEUljE0_EEESZ_S10_S11_S18_S1C_S1E_T6_T7_T9_mT8_S1G_bDpT10_ENKUlT_T0_E_clISt17integral_constantIbLb1EES1U_EEDaS1P_S1Q_EUlS1P_E_NS1_11comp_targetILNS1_3genE5ELNS1_11target_archE942ELNS1_3gpuE9ELNS1_3repE0EEENS1_30default_config_static_selectorELNS0_4arch9wavefront6targetE0EEEvS12_,comdat
.Lfunc_end130:
	.size	_ZN7rocprim17ROCPRIM_400000_NS6detail17trampoline_kernelINS0_13select_configILj256ELj13ELNS0_17block_load_methodE3ELS4_3ELS4_3ELNS0_20block_scan_algorithmE0ELj4294967295EEENS1_25partition_config_selectorILNS1_17partition_subalgoE4EjNS0_10empty_typeEbEEZZNS1_14partition_implILS8_4ELb0ES6_15HIP_vector_typeIjLj2EENS0_17counting_iteratorIjlEEPS9_SG_NS0_5tupleIJPjSI_NS0_16reverse_iteratorISI_EEEEENSH_IJSG_SG_SG_EEES9_SI_JZNS1_25segmented_radix_sort_implINS0_14default_configELb0EPKhPhPKlPlN2at6native12_GLOBAL__N_18offset_tEEE10hipError_tPvRmT1_PNSt15iterator_traitsIS12_E10value_typeET2_T3_PNS13_IS18_E10value_typeET4_jRbjT5_S1E_jjP12ihipStream_tbEUljE_ZNSN_ISO_Lb0ESQ_SR_ST_SU_SY_EESZ_S10_S11_S12_S16_S17_S18_S1B_S1C_jS1D_jS1E_S1E_jjS1G_bEUljE0_EEESZ_S10_S11_S18_S1C_S1E_T6_T7_T9_mT8_S1G_bDpT10_ENKUlT_T0_E_clISt17integral_constantIbLb1EES1U_EEDaS1P_S1Q_EUlS1P_E_NS1_11comp_targetILNS1_3genE5ELNS1_11target_archE942ELNS1_3gpuE9ELNS1_3repE0EEENS1_30default_config_static_selectorELNS0_4arch9wavefront6targetE0EEEvS12_, .Lfunc_end130-_ZN7rocprim17ROCPRIM_400000_NS6detail17trampoline_kernelINS0_13select_configILj256ELj13ELNS0_17block_load_methodE3ELS4_3ELS4_3ELNS0_20block_scan_algorithmE0ELj4294967295EEENS1_25partition_config_selectorILNS1_17partition_subalgoE4EjNS0_10empty_typeEbEEZZNS1_14partition_implILS8_4ELb0ES6_15HIP_vector_typeIjLj2EENS0_17counting_iteratorIjlEEPS9_SG_NS0_5tupleIJPjSI_NS0_16reverse_iteratorISI_EEEEENSH_IJSG_SG_SG_EEES9_SI_JZNS1_25segmented_radix_sort_implINS0_14default_configELb0EPKhPhPKlPlN2at6native12_GLOBAL__N_18offset_tEEE10hipError_tPvRmT1_PNSt15iterator_traitsIS12_E10value_typeET2_T3_PNS13_IS18_E10value_typeET4_jRbjT5_S1E_jjP12ihipStream_tbEUljE_ZNSN_ISO_Lb0ESQ_SR_ST_SU_SY_EESZ_S10_S11_S12_S16_S17_S18_S1B_S1C_jS1D_jS1E_S1E_jjS1G_bEUljE0_EEESZ_S10_S11_S18_S1C_S1E_T6_T7_T9_mT8_S1G_bDpT10_ENKUlT_T0_E_clISt17integral_constantIbLb1EES1U_EEDaS1P_S1Q_EUlS1P_E_NS1_11comp_targetILNS1_3genE5ELNS1_11target_archE942ELNS1_3gpuE9ELNS1_3repE0EEENS1_30default_config_static_selectorELNS0_4arch9wavefront6targetE0EEEvS12_
                                        ; -- End function
	.set _ZN7rocprim17ROCPRIM_400000_NS6detail17trampoline_kernelINS0_13select_configILj256ELj13ELNS0_17block_load_methodE3ELS4_3ELS4_3ELNS0_20block_scan_algorithmE0ELj4294967295EEENS1_25partition_config_selectorILNS1_17partition_subalgoE4EjNS0_10empty_typeEbEEZZNS1_14partition_implILS8_4ELb0ES6_15HIP_vector_typeIjLj2EENS0_17counting_iteratorIjlEEPS9_SG_NS0_5tupleIJPjSI_NS0_16reverse_iteratorISI_EEEEENSH_IJSG_SG_SG_EEES9_SI_JZNS1_25segmented_radix_sort_implINS0_14default_configELb0EPKhPhPKlPlN2at6native12_GLOBAL__N_18offset_tEEE10hipError_tPvRmT1_PNSt15iterator_traitsIS12_E10value_typeET2_T3_PNS13_IS18_E10value_typeET4_jRbjT5_S1E_jjP12ihipStream_tbEUljE_ZNSN_ISO_Lb0ESQ_SR_ST_SU_SY_EESZ_S10_S11_S12_S16_S17_S18_S1B_S1C_jS1D_jS1E_S1E_jjS1G_bEUljE0_EEESZ_S10_S11_S18_S1C_S1E_T6_T7_T9_mT8_S1G_bDpT10_ENKUlT_T0_E_clISt17integral_constantIbLb1EES1U_EEDaS1P_S1Q_EUlS1P_E_NS1_11comp_targetILNS1_3genE5ELNS1_11target_archE942ELNS1_3gpuE9ELNS1_3repE0EEENS1_30default_config_static_selectorELNS0_4arch9wavefront6targetE0EEEvS12_.num_vgpr, 0
	.set _ZN7rocprim17ROCPRIM_400000_NS6detail17trampoline_kernelINS0_13select_configILj256ELj13ELNS0_17block_load_methodE3ELS4_3ELS4_3ELNS0_20block_scan_algorithmE0ELj4294967295EEENS1_25partition_config_selectorILNS1_17partition_subalgoE4EjNS0_10empty_typeEbEEZZNS1_14partition_implILS8_4ELb0ES6_15HIP_vector_typeIjLj2EENS0_17counting_iteratorIjlEEPS9_SG_NS0_5tupleIJPjSI_NS0_16reverse_iteratorISI_EEEEENSH_IJSG_SG_SG_EEES9_SI_JZNS1_25segmented_radix_sort_implINS0_14default_configELb0EPKhPhPKlPlN2at6native12_GLOBAL__N_18offset_tEEE10hipError_tPvRmT1_PNSt15iterator_traitsIS12_E10value_typeET2_T3_PNS13_IS18_E10value_typeET4_jRbjT5_S1E_jjP12ihipStream_tbEUljE_ZNSN_ISO_Lb0ESQ_SR_ST_SU_SY_EESZ_S10_S11_S12_S16_S17_S18_S1B_S1C_jS1D_jS1E_S1E_jjS1G_bEUljE0_EEESZ_S10_S11_S18_S1C_S1E_T6_T7_T9_mT8_S1G_bDpT10_ENKUlT_T0_E_clISt17integral_constantIbLb1EES1U_EEDaS1P_S1Q_EUlS1P_E_NS1_11comp_targetILNS1_3genE5ELNS1_11target_archE942ELNS1_3gpuE9ELNS1_3repE0EEENS1_30default_config_static_selectorELNS0_4arch9wavefront6targetE0EEEvS12_.num_agpr, 0
	.set _ZN7rocprim17ROCPRIM_400000_NS6detail17trampoline_kernelINS0_13select_configILj256ELj13ELNS0_17block_load_methodE3ELS4_3ELS4_3ELNS0_20block_scan_algorithmE0ELj4294967295EEENS1_25partition_config_selectorILNS1_17partition_subalgoE4EjNS0_10empty_typeEbEEZZNS1_14partition_implILS8_4ELb0ES6_15HIP_vector_typeIjLj2EENS0_17counting_iteratorIjlEEPS9_SG_NS0_5tupleIJPjSI_NS0_16reverse_iteratorISI_EEEEENSH_IJSG_SG_SG_EEES9_SI_JZNS1_25segmented_radix_sort_implINS0_14default_configELb0EPKhPhPKlPlN2at6native12_GLOBAL__N_18offset_tEEE10hipError_tPvRmT1_PNSt15iterator_traitsIS12_E10value_typeET2_T3_PNS13_IS18_E10value_typeET4_jRbjT5_S1E_jjP12ihipStream_tbEUljE_ZNSN_ISO_Lb0ESQ_SR_ST_SU_SY_EESZ_S10_S11_S12_S16_S17_S18_S1B_S1C_jS1D_jS1E_S1E_jjS1G_bEUljE0_EEESZ_S10_S11_S18_S1C_S1E_T6_T7_T9_mT8_S1G_bDpT10_ENKUlT_T0_E_clISt17integral_constantIbLb1EES1U_EEDaS1P_S1Q_EUlS1P_E_NS1_11comp_targetILNS1_3genE5ELNS1_11target_archE942ELNS1_3gpuE9ELNS1_3repE0EEENS1_30default_config_static_selectorELNS0_4arch9wavefront6targetE0EEEvS12_.numbered_sgpr, 0
	.set _ZN7rocprim17ROCPRIM_400000_NS6detail17trampoline_kernelINS0_13select_configILj256ELj13ELNS0_17block_load_methodE3ELS4_3ELS4_3ELNS0_20block_scan_algorithmE0ELj4294967295EEENS1_25partition_config_selectorILNS1_17partition_subalgoE4EjNS0_10empty_typeEbEEZZNS1_14partition_implILS8_4ELb0ES6_15HIP_vector_typeIjLj2EENS0_17counting_iteratorIjlEEPS9_SG_NS0_5tupleIJPjSI_NS0_16reverse_iteratorISI_EEEEENSH_IJSG_SG_SG_EEES9_SI_JZNS1_25segmented_radix_sort_implINS0_14default_configELb0EPKhPhPKlPlN2at6native12_GLOBAL__N_18offset_tEEE10hipError_tPvRmT1_PNSt15iterator_traitsIS12_E10value_typeET2_T3_PNS13_IS18_E10value_typeET4_jRbjT5_S1E_jjP12ihipStream_tbEUljE_ZNSN_ISO_Lb0ESQ_SR_ST_SU_SY_EESZ_S10_S11_S12_S16_S17_S18_S1B_S1C_jS1D_jS1E_S1E_jjS1G_bEUljE0_EEESZ_S10_S11_S18_S1C_S1E_T6_T7_T9_mT8_S1G_bDpT10_ENKUlT_T0_E_clISt17integral_constantIbLb1EES1U_EEDaS1P_S1Q_EUlS1P_E_NS1_11comp_targetILNS1_3genE5ELNS1_11target_archE942ELNS1_3gpuE9ELNS1_3repE0EEENS1_30default_config_static_selectorELNS0_4arch9wavefront6targetE0EEEvS12_.num_named_barrier, 0
	.set _ZN7rocprim17ROCPRIM_400000_NS6detail17trampoline_kernelINS0_13select_configILj256ELj13ELNS0_17block_load_methodE3ELS4_3ELS4_3ELNS0_20block_scan_algorithmE0ELj4294967295EEENS1_25partition_config_selectorILNS1_17partition_subalgoE4EjNS0_10empty_typeEbEEZZNS1_14partition_implILS8_4ELb0ES6_15HIP_vector_typeIjLj2EENS0_17counting_iteratorIjlEEPS9_SG_NS0_5tupleIJPjSI_NS0_16reverse_iteratorISI_EEEEENSH_IJSG_SG_SG_EEES9_SI_JZNS1_25segmented_radix_sort_implINS0_14default_configELb0EPKhPhPKlPlN2at6native12_GLOBAL__N_18offset_tEEE10hipError_tPvRmT1_PNSt15iterator_traitsIS12_E10value_typeET2_T3_PNS13_IS18_E10value_typeET4_jRbjT5_S1E_jjP12ihipStream_tbEUljE_ZNSN_ISO_Lb0ESQ_SR_ST_SU_SY_EESZ_S10_S11_S12_S16_S17_S18_S1B_S1C_jS1D_jS1E_S1E_jjS1G_bEUljE0_EEESZ_S10_S11_S18_S1C_S1E_T6_T7_T9_mT8_S1G_bDpT10_ENKUlT_T0_E_clISt17integral_constantIbLb1EES1U_EEDaS1P_S1Q_EUlS1P_E_NS1_11comp_targetILNS1_3genE5ELNS1_11target_archE942ELNS1_3gpuE9ELNS1_3repE0EEENS1_30default_config_static_selectorELNS0_4arch9wavefront6targetE0EEEvS12_.private_seg_size, 0
	.set _ZN7rocprim17ROCPRIM_400000_NS6detail17trampoline_kernelINS0_13select_configILj256ELj13ELNS0_17block_load_methodE3ELS4_3ELS4_3ELNS0_20block_scan_algorithmE0ELj4294967295EEENS1_25partition_config_selectorILNS1_17partition_subalgoE4EjNS0_10empty_typeEbEEZZNS1_14partition_implILS8_4ELb0ES6_15HIP_vector_typeIjLj2EENS0_17counting_iteratorIjlEEPS9_SG_NS0_5tupleIJPjSI_NS0_16reverse_iteratorISI_EEEEENSH_IJSG_SG_SG_EEES9_SI_JZNS1_25segmented_radix_sort_implINS0_14default_configELb0EPKhPhPKlPlN2at6native12_GLOBAL__N_18offset_tEEE10hipError_tPvRmT1_PNSt15iterator_traitsIS12_E10value_typeET2_T3_PNS13_IS18_E10value_typeET4_jRbjT5_S1E_jjP12ihipStream_tbEUljE_ZNSN_ISO_Lb0ESQ_SR_ST_SU_SY_EESZ_S10_S11_S12_S16_S17_S18_S1B_S1C_jS1D_jS1E_S1E_jjS1G_bEUljE0_EEESZ_S10_S11_S18_S1C_S1E_T6_T7_T9_mT8_S1G_bDpT10_ENKUlT_T0_E_clISt17integral_constantIbLb1EES1U_EEDaS1P_S1Q_EUlS1P_E_NS1_11comp_targetILNS1_3genE5ELNS1_11target_archE942ELNS1_3gpuE9ELNS1_3repE0EEENS1_30default_config_static_selectorELNS0_4arch9wavefront6targetE0EEEvS12_.uses_vcc, 0
	.set _ZN7rocprim17ROCPRIM_400000_NS6detail17trampoline_kernelINS0_13select_configILj256ELj13ELNS0_17block_load_methodE3ELS4_3ELS4_3ELNS0_20block_scan_algorithmE0ELj4294967295EEENS1_25partition_config_selectorILNS1_17partition_subalgoE4EjNS0_10empty_typeEbEEZZNS1_14partition_implILS8_4ELb0ES6_15HIP_vector_typeIjLj2EENS0_17counting_iteratorIjlEEPS9_SG_NS0_5tupleIJPjSI_NS0_16reverse_iteratorISI_EEEEENSH_IJSG_SG_SG_EEES9_SI_JZNS1_25segmented_radix_sort_implINS0_14default_configELb0EPKhPhPKlPlN2at6native12_GLOBAL__N_18offset_tEEE10hipError_tPvRmT1_PNSt15iterator_traitsIS12_E10value_typeET2_T3_PNS13_IS18_E10value_typeET4_jRbjT5_S1E_jjP12ihipStream_tbEUljE_ZNSN_ISO_Lb0ESQ_SR_ST_SU_SY_EESZ_S10_S11_S12_S16_S17_S18_S1B_S1C_jS1D_jS1E_S1E_jjS1G_bEUljE0_EEESZ_S10_S11_S18_S1C_S1E_T6_T7_T9_mT8_S1G_bDpT10_ENKUlT_T0_E_clISt17integral_constantIbLb1EES1U_EEDaS1P_S1Q_EUlS1P_E_NS1_11comp_targetILNS1_3genE5ELNS1_11target_archE942ELNS1_3gpuE9ELNS1_3repE0EEENS1_30default_config_static_selectorELNS0_4arch9wavefront6targetE0EEEvS12_.uses_flat_scratch, 0
	.set _ZN7rocprim17ROCPRIM_400000_NS6detail17trampoline_kernelINS0_13select_configILj256ELj13ELNS0_17block_load_methodE3ELS4_3ELS4_3ELNS0_20block_scan_algorithmE0ELj4294967295EEENS1_25partition_config_selectorILNS1_17partition_subalgoE4EjNS0_10empty_typeEbEEZZNS1_14partition_implILS8_4ELb0ES6_15HIP_vector_typeIjLj2EENS0_17counting_iteratorIjlEEPS9_SG_NS0_5tupleIJPjSI_NS0_16reverse_iteratorISI_EEEEENSH_IJSG_SG_SG_EEES9_SI_JZNS1_25segmented_radix_sort_implINS0_14default_configELb0EPKhPhPKlPlN2at6native12_GLOBAL__N_18offset_tEEE10hipError_tPvRmT1_PNSt15iterator_traitsIS12_E10value_typeET2_T3_PNS13_IS18_E10value_typeET4_jRbjT5_S1E_jjP12ihipStream_tbEUljE_ZNSN_ISO_Lb0ESQ_SR_ST_SU_SY_EESZ_S10_S11_S12_S16_S17_S18_S1B_S1C_jS1D_jS1E_S1E_jjS1G_bEUljE0_EEESZ_S10_S11_S18_S1C_S1E_T6_T7_T9_mT8_S1G_bDpT10_ENKUlT_T0_E_clISt17integral_constantIbLb1EES1U_EEDaS1P_S1Q_EUlS1P_E_NS1_11comp_targetILNS1_3genE5ELNS1_11target_archE942ELNS1_3gpuE9ELNS1_3repE0EEENS1_30default_config_static_selectorELNS0_4arch9wavefront6targetE0EEEvS12_.has_dyn_sized_stack, 0
	.set _ZN7rocprim17ROCPRIM_400000_NS6detail17trampoline_kernelINS0_13select_configILj256ELj13ELNS0_17block_load_methodE3ELS4_3ELS4_3ELNS0_20block_scan_algorithmE0ELj4294967295EEENS1_25partition_config_selectorILNS1_17partition_subalgoE4EjNS0_10empty_typeEbEEZZNS1_14partition_implILS8_4ELb0ES6_15HIP_vector_typeIjLj2EENS0_17counting_iteratorIjlEEPS9_SG_NS0_5tupleIJPjSI_NS0_16reverse_iteratorISI_EEEEENSH_IJSG_SG_SG_EEES9_SI_JZNS1_25segmented_radix_sort_implINS0_14default_configELb0EPKhPhPKlPlN2at6native12_GLOBAL__N_18offset_tEEE10hipError_tPvRmT1_PNSt15iterator_traitsIS12_E10value_typeET2_T3_PNS13_IS18_E10value_typeET4_jRbjT5_S1E_jjP12ihipStream_tbEUljE_ZNSN_ISO_Lb0ESQ_SR_ST_SU_SY_EESZ_S10_S11_S12_S16_S17_S18_S1B_S1C_jS1D_jS1E_S1E_jjS1G_bEUljE0_EEESZ_S10_S11_S18_S1C_S1E_T6_T7_T9_mT8_S1G_bDpT10_ENKUlT_T0_E_clISt17integral_constantIbLb1EES1U_EEDaS1P_S1Q_EUlS1P_E_NS1_11comp_targetILNS1_3genE5ELNS1_11target_archE942ELNS1_3gpuE9ELNS1_3repE0EEENS1_30default_config_static_selectorELNS0_4arch9wavefront6targetE0EEEvS12_.has_recursion, 0
	.set _ZN7rocprim17ROCPRIM_400000_NS6detail17trampoline_kernelINS0_13select_configILj256ELj13ELNS0_17block_load_methodE3ELS4_3ELS4_3ELNS0_20block_scan_algorithmE0ELj4294967295EEENS1_25partition_config_selectorILNS1_17partition_subalgoE4EjNS0_10empty_typeEbEEZZNS1_14partition_implILS8_4ELb0ES6_15HIP_vector_typeIjLj2EENS0_17counting_iteratorIjlEEPS9_SG_NS0_5tupleIJPjSI_NS0_16reverse_iteratorISI_EEEEENSH_IJSG_SG_SG_EEES9_SI_JZNS1_25segmented_radix_sort_implINS0_14default_configELb0EPKhPhPKlPlN2at6native12_GLOBAL__N_18offset_tEEE10hipError_tPvRmT1_PNSt15iterator_traitsIS12_E10value_typeET2_T3_PNS13_IS18_E10value_typeET4_jRbjT5_S1E_jjP12ihipStream_tbEUljE_ZNSN_ISO_Lb0ESQ_SR_ST_SU_SY_EESZ_S10_S11_S12_S16_S17_S18_S1B_S1C_jS1D_jS1E_S1E_jjS1G_bEUljE0_EEESZ_S10_S11_S18_S1C_S1E_T6_T7_T9_mT8_S1G_bDpT10_ENKUlT_T0_E_clISt17integral_constantIbLb1EES1U_EEDaS1P_S1Q_EUlS1P_E_NS1_11comp_targetILNS1_3genE5ELNS1_11target_archE942ELNS1_3gpuE9ELNS1_3repE0EEENS1_30default_config_static_selectorELNS0_4arch9wavefront6targetE0EEEvS12_.has_indirect_call, 0
	.section	.AMDGPU.csdata,"",@progbits
; Kernel info:
; codeLenInByte = 0
; TotalNumSgprs: 0
; NumVgprs: 0
; ScratchSize: 0
; MemoryBound: 0
; FloatMode: 240
; IeeeMode: 1
; LDSByteSize: 0 bytes/workgroup (compile time only)
; SGPRBlocks: 0
; VGPRBlocks: 0
; NumSGPRsForWavesPerEU: 1
; NumVGPRsForWavesPerEU: 1
; Occupancy: 16
; WaveLimiterHint : 0
; COMPUTE_PGM_RSRC2:SCRATCH_EN: 0
; COMPUTE_PGM_RSRC2:USER_SGPR: 6
; COMPUTE_PGM_RSRC2:TRAP_HANDLER: 0
; COMPUTE_PGM_RSRC2:TGID_X_EN: 1
; COMPUTE_PGM_RSRC2:TGID_Y_EN: 0
; COMPUTE_PGM_RSRC2:TGID_Z_EN: 0
; COMPUTE_PGM_RSRC2:TIDIG_COMP_CNT: 0
	.section	.text._ZN7rocprim17ROCPRIM_400000_NS6detail17trampoline_kernelINS0_13select_configILj256ELj13ELNS0_17block_load_methodE3ELS4_3ELS4_3ELNS0_20block_scan_algorithmE0ELj4294967295EEENS1_25partition_config_selectorILNS1_17partition_subalgoE4EjNS0_10empty_typeEbEEZZNS1_14partition_implILS8_4ELb0ES6_15HIP_vector_typeIjLj2EENS0_17counting_iteratorIjlEEPS9_SG_NS0_5tupleIJPjSI_NS0_16reverse_iteratorISI_EEEEENSH_IJSG_SG_SG_EEES9_SI_JZNS1_25segmented_radix_sort_implINS0_14default_configELb0EPKhPhPKlPlN2at6native12_GLOBAL__N_18offset_tEEE10hipError_tPvRmT1_PNSt15iterator_traitsIS12_E10value_typeET2_T3_PNS13_IS18_E10value_typeET4_jRbjT5_S1E_jjP12ihipStream_tbEUljE_ZNSN_ISO_Lb0ESQ_SR_ST_SU_SY_EESZ_S10_S11_S12_S16_S17_S18_S1B_S1C_jS1D_jS1E_S1E_jjS1G_bEUljE0_EEESZ_S10_S11_S18_S1C_S1E_T6_T7_T9_mT8_S1G_bDpT10_ENKUlT_T0_E_clISt17integral_constantIbLb1EES1U_EEDaS1P_S1Q_EUlS1P_E_NS1_11comp_targetILNS1_3genE4ELNS1_11target_archE910ELNS1_3gpuE8ELNS1_3repE0EEENS1_30default_config_static_selectorELNS0_4arch9wavefront6targetE0EEEvS12_,"axG",@progbits,_ZN7rocprim17ROCPRIM_400000_NS6detail17trampoline_kernelINS0_13select_configILj256ELj13ELNS0_17block_load_methodE3ELS4_3ELS4_3ELNS0_20block_scan_algorithmE0ELj4294967295EEENS1_25partition_config_selectorILNS1_17partition_subalgoE4EjNS0_10empty_typeEbEEZZNS1_14partition_implILS8_4ELb0ES6_15HIP_vector_typeIjLj2EENS0_17counting_iteratorIjlEEPS9_SG_NS0_5tupleIJPjSI_NS0_16reverse_iteratorISI_EEEEENSH_IJSG_SG_SG_EEES9_SI_JZNS1_25segmented_radix_sort_implINS0_14default_configELb0EPKhPhPKlPlN2at6native12_GLOBAL__N_18offset_tEEE10hipError_tPvRmT1_PNSt15iterator_traitsIS12_E10value_typeET2_T3_PNS13_IS18_E10value_typeET4_jRbjT5_S1E_jjP12ihipStream_tbEUljE_ZNSN_ISO_Lb0ESQ_SR_ST_SU_SY_EESZ_S10_S11_S12_S16_S17_S18_S1B_S1C_jS1D_jS1E_S1E_jjS1G_bEUljE0_EEESZ_S10_S11_S18_S1C_S1E_T6_T7_T9_mT8_S1G_bDpT10_ENKUlT_T0_E_clISt17integral_constantIbLb1EES1U_EEDaS1P_S1Q_EUlS1P_E_NS1_11comp_targetILNS1_3genE4ELNS1_11target_archE910ELNS1_3gpuE8ELNS1_3repE0EEENS1_30default_config_static_selectorELNS0_4arch9wavefront6targetE0EEEvS12_,comdat
	.globl	_ZN7rocprim17ROCPRIM_400000_NS6detail17trampoline_kernelINS0_13select_configILj256ELj13ELNS0_17block_load_methodE3ELS4_3ELS4_3ELNS0_20block_scan_algorithmE0ELj4294967295EEENS1_25partition_config_selectorILNS1_17partition_subalgoE4EjNS0_10empty_typeEbEEZZNS1_14partition_implILS8_4ELb0ES6_15HIP_vector_typeIjLj2EENS0_17counting_iteratorIjlEEPS9_SG_NS0_5tupleIJPjSI_NS0_16reverse_iteratorISI_EEEEENSH_IJSG_SG_SG_EEES9_SI_JZNS1_25segmented_radix_sort_implINS0_14default_configELb0EPKhPhPKlPlN2at6native12_GLOBAL__N_18offset_tEEE10hipError_tPvRmT1_PNSt15iterator_traitsIS12_E10value_typeET2_T3_PNS13_IS18_E10value_typeET4_jRbjT5_S1E_jjP12ihipStream_tbEUljE_ZNSN_ISO_Lb0ESQ_SR_ST_SU_SY_EESZ_S10_S11_S12_S16_S17_S18_S1B_S1C_jS1D_jS1E_S1E_jjS1G_bEUljE0_EEESZ_S10_S11_S18_S1C_S1E_T6_T7_T9_mT8_S1G_bDpT10_ENKUlT_T0_E_clISt17integral_constantIbLb1EES1U_EEDaS1P_S1Q_EUlS1P_E_NS1_11comp_targetILNS1_3genE4ELNS1_11target_archE910ELNS1_3gpuE8ELNS1_3repE0EEENS1_30default_config_static_selectorELNS0_4arch9wavefront6targetE0EEEvS12_ ; -- Begin function _ZN7rocprim17ROCPRIM_400000_NS6detail17trampoline_kernelINS0_13select_configILj256ELj13ELNS0_17block_load_methodE3ELS4_3ELS4_3ELNS0_20block_scan_algorithmE0ELj4294967295EEENS1_25partition_config_selectorILNS1_17partition_subalgoE4EjNS0_10empty_typeEbEEZZNS1_14partition_implILS8_4ELb0ES6_15HIP_vector_typeIjLj2EENS0_17counting_iteratorIjlEEPS9_SG_NS0_5tupleIJPjSI_NS0_16reverse_iteratorISI_EEEEENSH_IJSG_SG_SG_EEES9_SI_JZNS1_25segmented_radix_sort_implINS0_14default_configELb0EPKhPhPKlPlN2at6native12_GLOBAL__N_18offset_tEEE10hipError_tPvRmT1_PNSt15iterator_traitsIS12_E10value_typeET2_T3_PNS13_IS18_E10value_typeET4_jRbjT5_S1E_jjP12ihipStream_tbEUljE_ZNSN_ISO_Lb0ESQ_SR_ST_SU_SY_EESZ_S10_S11_S12_S16_S17_S18_S1B_S1C_jS1D_jS1E_S1E_jjS1G_bEUljE0_EEESZ_S10_S11_S18_S1C_S1E_T6_T7_T9_mT8_S1G_bDpT10_ENKUlT_T0_E_clISt17integral_constantIbLb1EES1U_EEDaS1P_S1Q_EUlS1P_E_NS1_11comp_targetILNS1_3genE4ELNS1_11target_archE910ELNS1_3gpuE8ELNS1_3repE0EEENS1_30default_config_static_selectorELNS0_4arch9wavefront6targetE0EEEvS12_
	.p2align	8
	.type	_ZN7rocprim17ROCPRIM_400000_NS6detail17trampoline_kernelINS0_13select_configILj256ELj13ELNS0_17block_load_methodE3ELS4_3ELS4_3ELNS0_20block_scan_algorithmE0ELj4294967295EEENS1_25partition_config_selectorILNS1_17partition_subalgoE4EjNS0_10empty_typeEbEEZZNS1_14partition_implILS8_4ELb0ES6_15HIP_vector_typeIjLj2EENS0_17counting_iteratorIjlEEPS9_SG_NS0_5tupleIJPjSI_NS0_16reverse_iteratorISI_EEEEENSH_IJSG_SG_SG_EEES9_SI_JZNS1_25segmented_radix_sort_implINS0_14default_configELb0EPKhPhPKlPlN2at6native12_GLOBAL__N_18offset_tEEE10hipError_tPvRmT1_PNSt15iterator_traitsIS12_E10value_typeET2_T3_PNS13_IS18_E10value_typeET4_jRbjT5_S1E_jjP12ihipStream_tbEUljE_ZNSN_ISO_Lb0ESQ_SR_ST_SU_SY_EESZ_S10_S11_S12_S16_S17_S18_S1B_S1C_jS1D_jS1E_S1E_jjS1G_bEUljE0_EEESZ_S10_S11_S18_S1C_S1E_T6_T7_T9_mT8_S1G_bDpT10_ENKUlT_T0_E_clISt17integral_constantIbLb1EES1U_EEDaS1P_S1Q_EUlS1P_E_NS1_11comp_targetILNS1_3genE4ELNS1_11target_archE910ELNS1_3gpuE8ELNS1_3repE0EEENS1_30default_config_static_selectorELNS0_4arch9wavefront6targetE0EEEvS12_,@function
_ZN7rocprim17ROCPRIM_400000_NS6detail17trampoline_kernelINS0_13select_configILj256ELj13ELNS0_17block_load_methodE3ELS4_3ELS4_3ELNS0_20block_scan_algorithmE0ELj4294967295EEENS1_25partition_config_selectorILNS1_17partition_subalgoE4EjNS0_10empty_typeEbEEZZNS1_14partition_implILS8_4ELb0ES6_15HIP_vector_typeIjLj2EENS0_17counting_iteratorIjlEEPS9_SG_NS0_5tupleIJPjSI_NS0_16reverse_iteratorISI_EEEEENSH_IJSG_SG_SG_EEES9_SI_JZNS1_25segmented_radix_sort_implINS0_14default_configELb0EPKhPhPKlPlN2at6native12_GLOBAL__N_18offset_tEEE10hipError_tPvRmT1_PNSt15iterator_traitsIS12_E10value_typeET2_T3_PNS13_IS18_E10value_typeET4_jRbjT5_S1E_jjP12ihipStream_tbEUljE_ZNSN_ISO_Lb0ESQ_SR_ST_SU_SY_EESZ_S10_S11_S12_S16_S17_S18_S1B_S1C_jS1D_jS1E_S1E_jjS1G_bEUljE0_EEESZ_S10_S11_S18_S1C_S1E_T6_T7_T9_mT8_S1G_bDpT10_ENKUlT_T0_E_clISt17integral_constantIbLb1EES1U_EEDaS1P_S1Q_EUlS1P_E_NS1_11comp_targetILNS1_3genE4ELNS1_11target_archE910ELNS1_3gpuE8ELNS1_3repE0EEENS1_30default_config_static_selectorELNS0_4arch9wavefront6targetE0EEEvS12_: ; @_ZN7rocprim17ROCPRIM_400000_NS6detail17trampoline_kernelINS0_13select_configILj256ELj13ELNS0_17block_load_methodE3ELS4_3ELS4_3ELNS0_20block_scan_algorithmE0ELj4294967295EEENS1_25partition_config_selectorILNS1_17partition_subalgoE4EjNS0_10empty_typeEbEEZZNS1_14partition_implILS8_4ELb0ES6_15HIP_vector_typeIjLj2EENS0_17counting_iteratorIjlEEPS9_SG_NS0_5tupleIJPjSI_NS0_16reverse_iteratorISI_EEEEENSH_IJSG_SG_SG_EEES9_SI_JZNS1_25segmented_radix_sort_implINS0_14default_configELb0EPKhPhPKlPlN2at6native12_GLOBAL__N_18offset_tEEE10hipError_tPvRmT1_PNSt15iterator_traitsIS12_E10value_typeET2_T3_PNS13_IS18_E10value_typeET4_jRbjT5_S1E_jjP12ihipStream_tbEUljE_ZNSN_ISO_Lb0ESQ_SR_ST_SU_SY_EESZ_S10_S11_S12_S16_S17_S18_S1B_S1C_jS1D_jS1E_S1E_jjS1G_bEUljE0_EEESZ_S10_S11_S18_S1C_S1E_T6_T7_T9_mT8_S1G_bDpT10_ENKUlT_T0_E_clISt17integral_constantIbLb1EES1U_EEDaS1P_S1Q_EUlS1P_E_NS1_11comp_targetILNS1_3genE4ELNS1_11target_archE910ELNS1_3gpuE8ELNS1_3repE0EEENS1_30default_config_static_selectorELNS0_4arch9wavefront6targetE0EEEvS12_
; %bb.0:
	.section	.rodata,"a",@progbits
	.p2align	6, 0x0
	.amdhsa_kernel _ZN7rocprim17ROCPRIM_400000_NS6detail17trampoline_kernelINS0_13select_configILj256ELj13ELNS0_17block_load_methodE3ELS4_3ELS4_3ELNS0_20block_scan_algorithmE0ELj4294967295EEENS1_25partition_config_selectorILNS1_17partition_subalgoE4EjNS0_10empty_typeEbEEZZNS1_14partition_implILS8_4ELb0ES6_15HIP_vector_typeIjLj2EENS0_17counting_iteratorIjlEEPS9_SG_NS0_5tupleIJPjSI_NS0_16reverse_iteratorISI_EEEEENSH_IJSG_SG_SG_EEES9_SI_JZNS1_25segmented_radix_sort_implINS0_14default_configELb0EPKhPhPKlPlN2at6native12_GLOBAL__N_18offset_tEEE10hipError_tPvRmT1_PNSt15iterator_traitsIS12_E10value_typeET2_T3_PNS13_IS18_E10value_typeET4_jRbjT5_S1E_jjP12ihipStream_tbEUljE_ZNSN_ISO_Lb0ESQ_SR_ST_SU_SY_EESZ_S10_S11_S12_S16_S17_S18_S1B_S1C_jS1D_jS1E_S1E_jjS1G_bEUljE0_EEESZ_S10_S11_S18_S1C_S1E_T6_T7_T9_mT8_S1G_bDpT10_ENKUlT_T0_E_clISt17integral_constantIbLb1EES1U_EEDaS1P_S1Q_EUlS1P_E_NS1_11comp_targetILNS1_3genE4ELNS1_11target_archE910ELNS1_3gpuE8ELNS1_3repE0EEENS1_30default_config_static_selectorELNS0_4arch9wavefront6targetE0EEEvS12_
		.amdhsa_group_segment_fixed_size 0
		.amdhsa_private_segment_fixed_size 0
		.amdhsa_kernarg_size 184
		.amdhsa_user_sgpr_count 6
		.amdhsa_user_sgpr_private_segment_buffer 1
		.amdhsa_user_sgpr_dispatch_ptr 0
		.amdhsa_user_sgpr_queue_ptr 0
		.amdhsa_user_sgpr_kernarg_segment_ptr 1
		.amdhsa_user_sgpr_dispatch_id 0
		.amdhsa_user_sgpr_flat_scratch_init 0
		.amdhsa_user_sgpr_private_segment_size 0
		.amdhsa_wavefront_size32 1
		.amdhsa_uses_dynamic_stack 0
		.amdhsa_system_sgpr_private_segment_wavefront_offset 0
		.amdhsa_system_sgpr_workgroup_id_x 1
		.amdhsa_system_sgpr_workgroup_id_y 0
		.amdhsa_system_sgpr_workgroup_id_z 0
		.amdhsa_system_sgpr_workgroup_info 0
		.amdhsa_system_vgpr_workitem_id 0
		.amdhsa_next_free_vgpr 1
		.amdhsa_next_free_sgpr 1
		.amdhsa_reserve_vcc 0
		.amdhsa_reserve_flat_scratch 0
		.amdhsa_float_round_mode_32 0
		.amdhsa_float_round_mode_16_64 0
		.amdhsa_float_denorm_mode_32 3
		.amdhsa_float_denorm_mode_16_64 3
		.amdhsa_dx10_clamp 1
		.amdhsa_ieee_mode 1
		.amdhsa_fp16_overflow 0
		.amdhsa_workgroup_processor_mode 1
		.amdhsa_memory_ordered 1
		.amdhsa_forward_progress 1
		.amdhsa_shared_vgpr_count 0
		.amdhsa_exception_fp_ieee_invalid_op 0
		.amdhsa_exception_fp_denorm_src 0
		.amdhsa_exception_fp_ieee_div_zero 0
		.amdhsa_exception_fp_ieee_overflow 0
		.amdhsa_exception_fp_ieee_underflow 0
		.amdhsa_exception_fp_ieee_inexact 0
		.amdhsa_exception_int_div_zero 0
	.end_amdhsa_kernel
	.section	.text._ZN7rocprim17ROCPRIM_400000_NS6detail17trampoline_kernelINS0_13select_configILj256ELj13ELNS0_17block_load_methodE3ELS4_3ELS4_3ELNS0_20block_scan_algorithmE0ELj4294967295EEENS1_25partition_config_selectorILNS1_17partition_subalgoE4EjNS0_10empty_typeEbEEZZNS1_14partition_implILS8_4ELb0ES6_15HIP_vector_typeIjLj2EENS0_17counting_iteratorIjlEEPS9_SG_NS0_5tupleIJPjSI_NS0_16reverse_iteratorISI_EEEEENSH_IJSG_SG_SG_EEES9_SI_JZNS1_25segmented_radix_sort_implINS0_14default_configELb0EPKhPhPKlPlN2at6native12_GLOBAL__N_18offset_tEEE10hipError_tPvRmT1_PNSt15iterator_traitsIS12_E10value_typeET2_T3_PNS13_IS18_E10value_typeET4_jRbjT5_S1E_jjP12ihipStream_tbEUljE_ZNSN_ISO_Lb0ESQ_SR_ST_SU_SY_EESZ_S10_S11_S12_S16_S17_S18_S1B_S1C_jS1D_jS1E_S1E_jjS1G_bEUljE0_EEESZ_S10_S11_S18_S1C_S1E_T6_T7_T9_mT8_S1G_bDpT10_ENKUlT_T0_E_clISt17integral_constantIbLb1EES1U_EEDaS1P_S1Q_EUlS1P_E_NS1_11comp_targetILNS1_3genE4ELNS1_11target_archE910ELNS1_3gpuE8ELNS1_3repE0EEENS1_30default_config_static_selectorELNS0_4arch9wavefront6targetE0EEEvS12_,"axG",@progbits,_ZN7rocprim17ROCPRIM_400000_NS6detail17trampoline_kernelINS0_13select_configILj256ELj13ELNS0_17block_load_methodE3ELS4_3ELS4_3ELNS0_20block_scan_algorithmE0ELj4294967295EEENS1_25partition_config_selectorILNS1_17partition_subalgoE4EjNS0_10empty_typeEbEEZZNS1_14partition_implILS8_4ELb0ES6_15HIP_vector_typeIjLj2EENS0_17counting_iteratorIjlEEPS9_SG_NS0_5tupleIJPjSI_NS0_16reverse_iteratorISI_EEEEENSH_IJSG_SG_SG_EEES9_SI_JZNS1_25segmented_radix_sort_implINS0_14default_configELb0EPKhPhPKlPlN2at6native12_GLOBAL__N_18offset_tEEE10hipError_tPvRmT1_PNSt15iterator_traitsIS12_E10value_typeET2_T3_PNS13_IS18_E10value_typeET4_jRbjT5_S1E_jjP12ihipStream_tbEUljE_ZNSN_ISO_Lb0ESQ_SR_ST_SU_SY_EESZ_S10_S11_S12_S16_S17_S18_S1B_S1C_jS1D_jS1E_S1E_jjS1G_bEUljE0_EEESZ_S10_S11_S18_S1C_S1E_T6_T7_T9_mT8_S1G_bDpT10_ENKUlT_T0_E_clISt17integral_constantIbLb1EES1U_EEDaS1P_S1Q_EUlS1P_E_NS1_11comp_targetILNS1_3genE4ELNS1_11target_archE910ELNS1_3gpuE8ELNS1_3repE0EEENS1_30default_config_static_selectorELNS0_4arch9wavefront6targetE0EEEvS12_,comdat
.Lfunc_end131:
	.size	_ZN7rocprim17ROCPRIM_400000_NS6detail17trampoline_kernelINS0_13select_configILj256ELj13ELNS0_17block_load_methodE3ELS4_3ELS4_3ELNS0_20block_scan_algorithmE0ELj4294967295EEENS1_25partition_config_selectorILNS1_17partition_subalgoE4EjNS0_10empty_typeEbEEZZNS1_14partition_implILS8_4ELb0ES6_15HIP_vector_typeIjLj2EENS0_17counting_iteratorIjlEEPS9_SG_NS0_5tupleIJPjSI_NS0_16reverse_iteratorISI_EEEEENSH_IJSG_SG_SG_EEES9_SI_JZNS1_25segmented_radix_sort_implINS0_14default_configELb0EPKhPhPKlPlN2at6native12_GLOBAL__N_18offset_tEEE10hipError_tPvRmT1_PNSt15iterator_traitsIS12_E10value_typeET2_T3_PNS13_IS18_E10value_typeET4_jRbjT5_S1E_jjP12ihipStream_tbEUljE_ZNSN_ISO_Lb0ESQ_SR_ST_SU_SY_EESZ_S10_S11_S12_S16_S17_S18_S1B_S1C_jS1D_jS1E_S1E_jjS1G_bEUljE0_EEESZ_S10_S11_S18_S1C_S1E_T6_T7_T9_mT8_S1G_bDpT10_ENKUlT_T0_E_clISt17integral_constantIbLb1EES1U_EEDaS1P_S1Q_EUlS1P_E_NS1_11comp_targetILNS1_3genE4ELNS1_11target_archE910ELNS1_3gpuE8ELNS1_3repE0EEENS1_30default_config_static_selectorELNS0_4arch9wavefront6targetE0EEEvS12_, .Lfunc_end131-_ZN7rocprim17ROCPRIM_400000_NS6detail17trampoline_kernelINS0_13select_configILj256ELj13ELNS0_17block_load_methodE3ELS4_3ELS4_3ELNS0_20block_scan_algorithmE0ELj4294967295EEENS1_25partition_config_selectorILNS1_17partition_subalgoE4EjNS0_10empty_typeEbEEZZNS1_14partition_implILS8_4ELb0ES6_15HIP_vector_typeIjLj2EENS0_17counting_iteratorIjlEEPS9_SG_NS0_5tupleIJPjSI_NS0_16reverse_iteratorISI_EEEEENSH_IJSG_SG_SG_EEES9_SI_JZNS1_25segmented_radix_sort_implINS0_14default_configELb0EPKhPhPKlPlN2at6native12_GLOBAL__N_18offset_tEEE10hipError_tPvRmT1_PNSt15iterator_traitsIS12_E10value_typeET2_T3_PNS13_IS18_E10value_typeET4_jRbjT5_S1E_jjP12ihipStream_tbEUljE_ZNSN_ISO_Lb0ESQ_SR_ST_SU_SY_EESZ_S10_S11_S12_S16_S17_S18_S1B_S1C_jS1D_jS1E_S1E_jjS1G_bEUljE0_EEESZ_S10_S11_S18_S1C_S1E_T6_T7_T9_mT8_S1G_bDpT10_ENKUlT_T0_E_clISt17integral_constantIbLb1EES1U_EEDaS1P_S1Q_EUlS1P_E_NS1_11comp_targetILNS1_3genE4ELNS1_11target_archE910ELNS1_3gpuE8ELNS1_3repE0EEENS1_30default_config_static_selectorELNS0_4arch9wavefront6targetE0EEEvS12_
                                        ; -- End function
	.set _ZN7rocprim17ROCPRIM_400000_NS6detail17trampoline_kernelINS0_13select_configILj256ELj13ELNS0_17block_load_methodE3ELS4_3ELS4_3ELNS0_20block_scan_algorithmE0ELj4294967295EEENS1_25partition_config_selectorILNS1_17partition_subalgoE4EjNS0_10empty_typeEbEEZZNS1_14partition_implILS8_4ELb0ES6_15HIP_vector_typeIjLj2EENS0_17counting_iteratorIjlEEPS9_SG_NS0_5tupleIJPjSI_NS0_16reverse_iteratorISI_EEEEENSH_IJSG_SG_SG_EEES9_SI_JZNS1_25segmented_radix_sort_implINS0_14default_configELb0EPKhPhPKlPlN2at6native12_GLOBAL__N_18offset_tEEE10hipError_tPvRmT1_PNSt15iterator_traitsIS12_E10value_typeET2_T3_PNS13_IS18_E10value_typeET4_jRbjT5_S1E_jjP12ihipStream_tbEUljE_ZNSN_ISO_Lb0ESQ_SR_ST_SU_SY_EESZ_S10_S11_S12_S16_S17_S18_S1B_S1C_jS1D_jS1E_S1E_jjS1G_bEUljE0_EEESZ_S10_S11_S18_S1C_S1E_T6_T7_T9_mT8_S1G_bDpT10_ENKUlT_T0_E_clISt17integral_constantIbLb1EES1U_EEDaS1P_S1Q_EUlS1P_E_NS1_11comp_targetILNS1_3genE4ELNS1_11target_archE910ELNS1_3gpuE8ELNS1_3repE0EEENS1_30default_config_static_selectorELNS0_4arch9wavefront6targetE0EEEvS12_.num_vgpr, 0
	.set _ZN7rocprim17ROCPRIM_400000_NS6detail17trampoline_kernelINS0_13select_configILj256ELj13ELNS0_17block_load_methodE3ELS4_3ELS4_3ELNS0_20block_scan_algorithmE0ELj4294967295EEENS1_25partition_config_selectorILNS1_17partition_subalgoE4EjNS0_10empty_typeEbEEZZNS1_14partition_implILS8_4ELb0ES6_15HIP_vector_typeIjLj2EENS0_17counting_iteratorIjlEEPS9_SG_NS0_5tupleIJPjSI_NS0_16reverse_iteratorISI_EEEEENSH_IJSG_SG_SG_EEES9_SI_JZNS1_25segmented_radix_sort_implINS0_14default_configELb0EPKhPhPKlPlN2at6native12_GLOBAL__N_18offset_tEEE10hipError_tPvRmT1_PNSt15iterator_traitsIS12_E10value_typeET2_T3_PNS13_IS18_E10value_typeET4_jRbjT5_S1E_jjP12ihipStream_tbEUljE_ZNSN_ISO_Lb0ESQ_SR_ST_SU_SY_EESZ_S10_S11_S12_S16_S17_S18_S1B_S1C_jS1D_jS1E_S1E_jjS1G_bEUljE0_EEESZ_S10_S11_S18_S1C_S1E_T6_T7_T9_mT8_S1G_bDpT10_ENKUlT_T0_E_clISt17integral_constantIbLb1EES1U_EEDaS1P_S1Q_EUlS1P_E_NS1_11comp_targetILNS1_3genE4ELNS1_11target_archE910ELNS1_3gpuE8ELNS1_3repE0EEENS1_30default_config_static_selectorELNS0_4arch9wavefront6targetE0EEEvS12_.num_agpr, 0
	.set _ZN7rocprim17ROCPRIM_400000_NS6detail17trampoline_kernelINS0_13select_configILj256ELj13ELNS0_17block_load_methodE3ELS4_3ELS4_3ELNS0_20block_scan_algorithmE0ELj4294967295EEENS1_25partition_config_selectorILNS1_17partition_subalgoE4EjNS0_10empty_typeEbEEZZNS1_14partition_implILS8_4ELb0ES6_15HIP_vector_typeIjLj2EENS0_17counting_iteratorIjlEEPS9_SG_NS0_5tupleIJPjSI_NS0_16reverse_iteratorISI_EEEEENSH_IJSG_SG_SG_EEES9_SI_JZNS1_25segmented_radix_sort_implINS0_14default_configELb0EPKhPhPKlPlN2at6native12_GLOBAL__N_18offset_tEEE10hipError_tPvRmT1_PNSt15iterator_traitsIS12_E10value_typeET2_T3_PNS13_IS18_E10value_typeET4_jRbjT5_S1E_jjP12ihipStream_tbEUljE_ZNSN_ISO_Lb0ESQ_SR_ST_SU_SY_EESZ_S10_S11_S12_S16_S17_S18_S1B_S1C_jS1D_jS1E_S1E_jjS1G_bEUljE0_EEESZ_S10_S11_S18_S1C_S1E_T6_T7_T9_mT8_S1G_bDpT10_ENKUlT_T0_E_clISt17integral_constantIbLb1EES1U_EEDaS1P_S1Q_EUlS1P_E_NS1_11comp_targetILNS1_3genE4ELNS1_11target_archE910ELNS1_3gpuE8ELNS1_3repE0EEENS1_30default_config_static_selectorELNS0_4arch9wavefront6targetE0EEEvS12_.numbered_sgpr, 0
	.set _ZN7rocprim17ROCPRIM_400000_NS6detail17trampoline_kernelINS0_13select_configILj256ELj13ELNS0_17block_load_methodE3ELS4_3ELS4_3ELNS0_20block_scan_algorithmE0ELj4294967295EEENS1_25partition_config_selectorILNS1_17partition_subalgoE4EjNS0_10empty_typeEbEEZZNS1_14partition_implILS8_4ELb0ES6_15HIP_vector_typeIjLj2EENS0_17counting_iteratorIjlEEPS9_SG_NS0_5tupleIJPjSI_NS0_16reverse_iteratorISI_EEEEENSH_IJSG_SG_SG_EEES9_SI_JZNS1_25segmented_radix_sort_implINS0_14default_configELb0EPKhPhPKlPlN2at6native12_GLOBAL__N_18offset_tEEE10hipError_tPvRmT1_PNSt15iterator_traitsIS12_E10value_typeET2_T3_PNS13_IS18_E10value_typeET4_jRbjT5_S1E_jjP12ihipStream_tbEUljE_ZNSN_ISO_Lb0ESQ_SR_ST_SU_SY_EESZ_S10_S11_S12_S16_S17_S18_S1B_S1C_jS1D_jS1E_S1E_jjS1G_bEUljE0_EEESZ_S10_S11_S18_S1C_S1E_T6_T7_T9_mT8_S1G_bDpT10_ENKUlT_T0_E_clISt17integral_constantIbLb1EES1U_EEDaS1P_S1Q_EUlS1P_E_NS1_11comp_targetILNS1_3genE4ELNS1_11target_archE910ELNS1_3gpuE8ELNS1_3repE0EEENS1_30default_config_static_selectorELNS0_4arch9wavefront6targetE0EEEvS12_.num_named_barrier, 0
	.set _ZN7rocprim17ROCPRIM_400000_NS6detail17trampoline_kernelINS0_13select_configILj256ELj13ELNS0_17block_load_methodE3ELS4_3ELS4_3ELNS0_20block_scan_algorithmE0ELj4294967295EEENS1_25partition_config_selectorILNS1_17partition_subalgoE4EjNS0_10empty_typeEbEEZZNS1_14partition_implILS8_4ELb0ES6_15HIP_vector_typeIjLj2EENS0_17counting_iteratorIjlEEPS9_SG_NS0_5tupleIJPjSI_NS0_16reverse_iteratorISI_EEEEENSH_IJSG_SG_SG_EEES9_SI_JZNS1_25segmented_radix_sort_implINS0_14default_configELb0EPKhPhPKlPlN2at6native12_GLOBAL__N_18offset_tEEE10hipError_tPvRmT1_PNSt15iterator_traitsIS12_E10value_typeET2_T3_PNS13_IS18_E10value_typeET4_jRbjT5_S1E_jjP12ihipStream_tbEUljE_ZNSN_ISO_Lb0ESQ_SR_ST_SU_SY_EESZ_S10_S11_S12_S16_S17_S18_S1B_S1C_jS1D_jS1E_S1E_jjS1G_bEUljE0_EEESZ_S10_S11_S18_S1C_S1E_T6_T7_T9_mT8_S1G_bDpT10_ENKUlT_T0_E_clISt17integral_constantIbLb1EES1U_EEDaS1P_S1Q_EUlS1P_E_NS1_11comp_targetILNS1_3genE4ELNS1_11target_archE910ELNS1_3gpuE8ELNS1_3repE0EEENS1_30default_config_static_selectorELNS0_4arch9wavefront6targetE0EEEvS12_.private_seg_size, 0
	.set _ZN7rocprim17ROCPRIM_400000_NS6detail17trampoline_kernelINS0_13select_configILj256ELj13ELNS0_17block_load_methodE3ELS4_3ELS4_3ELNS0_20block_scan_algorithmE0ELj4294967295EEENS1_25partition_config_selectorILNS1_17partition_subalgoE4EjNS0_10empty_typeEbEEZZNS1_14partition_implILS8_4ELb0ES6_15HIP_vector_typeIjLj2EENS0_17counting_iteratorIjlEEPS9_SG_NS0_5tupleIJPjSI_NS0_16reverse_iteratorISI_EEEEENSH_IJSG_SG_SG_EEES9_SI_JZNS1_25segmented_radix_sort_implINS0_14default_configELb0EPKhPhPKlPlN2at6native12_GLOBAL__N_18offset_tEEE10hipError_tPvRmT1_PNSt15iterator_traitsIS12_E10value_typeET2_T3_PNS13_IS18_E10value_typeET4_jRbjT5_S1E_jjP12ihipStream_tbEUljE_ZNSN_ISO_Lb0ESQ_SR_ST_SU_SY_EESZ_S10_S11_S12_S16_S17_S18_S1B_S1C_jS1D_jS1E_S1E_jjS1G_bEUljE0_EEESZ_S10_S11_S18_S1C_S1E_T6_T7_T9_mT8_S1G_bDpT10_ENKUlT_T0_E_clISt17integral_constantIbLb1EES1U_EEDaS1P_S1Q_EUlS1P_E_NS1_11comp_targetILNS1_3genE4ELNS1_11target_archE910ELNS1_3gpuE8ELNS1_3repE0EEENS1_30default_config_static_selectorELNS0_4arch9wavefront6targetE0EEEvS12_.uses_vcc, 0
	.set _ZN7rocprim17ROCPRIM_400000_NS6detail17trampoline_kernelINS0_13select_configILj256ELj13ELNS0_17block_load_methodE3ELS4_3ELS4_3ELNS0_20block_scan_algorithmE0ELj4294967295EEENS1_25partition_config_selectorILNS1_17partition_subalgoE4EjNS0_10empty_typeEbEEZZNS1_14partition_implILS8_4ELb0ES6_15HIP_vector_typeIjLj2EENS0_17counting_iteratorIjlEEPS9_SG_NS0_5tupleIJPjSI_NS0_16reverse_iteratorISI_EEEEENSH_IJSG_SG_SG_EEES9_SI_JZNS1_25segmented_radix_sort_implINS0_14default_configELb0EPKhPhPKlPlN2at6native12_GLOBAL__N_18offset_tEEE10hipError_tPvRmT1_PNSt15iterator_traitsIS12_E10value_typeET2_T3_PNS13_IS18_E10value_typeET4_jRbjT5_S1E_jjP12ihipStream_tbEUljE_ZNSN_ISO_Lb0ESQ_SR_ST_SU_SY_EESZ_S10_S11_S12_S16_S17_S18_S1B_S1C_jS1D_jS1E_S1E_jjS1G_bEUljE0_EEESZ_S10_S11_S18_S1C_S1E_T6_T7_T9_mT8_S1G_bDpT10_ENKUlT_T0_E_clISt17integral_constantIbLb1EES1U_EEDaS1P_S1Q_EUlS1P_E_NS1_11comp_targetILNS1_3genE4ELNS1_11target_archE910ELNS1_3gpuE8ELNS1_3repE0EEENS1_30default_config_static_selectorELNS0_4arch9wavefront6targetE0EEEvS12_.uses_flat_scratch, 0
	.set _ZN7rocprim17ROCPRIM_400000_NS6detail17trampoline_kernelINS0_13select_configILj256ELj13ELNS0_17block_load_methodE3ELS4_3ELS4_3ELNS0_20block_scan_algorithmE0ELj4294967295EEENS1_25partition_config_selectorILNS1_17partition_subalgoE4EjNS0_10empty_typeEbEEZZNS1_14partition_implILS8_4ELb0ES6_15HIP_vector_typeIjLj2EENS0_17counting_iteratorIjlEEPS9_SG_NS0_5tupleIJPjSI_NS0_16reverse_iteratorISI_EEEEENSH_IJSG_SG_SG_EEES9_SI_JZNS1_25segmented_radix_sort_implINS0_14default_configELb0EPKhPhPKlPlN2at6native12_GLOBAL__N_18offset_tEEE10hipError_tPvRmT1_PNSt15iterator_traitsIS12_E10value_typeET2_T3_PNS13_IS18_E10value_typeET4_jRbjT5_S1E_jjP12ihipStream_tbEUljE_ZNSN_ISO_Lb0ESQ_SR_ST_SU_SY_EESZ_S10_S11_S12_S16_S17_S18_S1B_S1C_jS1D_jS1E_S1E_jjS1G_bEUljE0_EEESZ_S10_S11_S18_S1C_S1E_T6_T7_T9_mT8_S1G_bDpT10_ENKUlT_T0_E_clISt17integral_constantIbLb1EES1U_EEDaS1P_S1Q_EUlS1P_E_NS1_11comp_targetILNS1_3genE4ELNS1_11target_archE910ELNS1_3gpuE8ELNS1_3repE0EEENS1_30default_config_static_selectorELNS0_4arch9wavefront6targetE0EEEvS12_.has_dyn_sized_stack, 0
	.set _ZN7rocprim17ROCPRIM_400000_NS6detail17trampoline_kernelINS0_13select_configILj256ELj13ELNS0_17block_load_methodE3ELS4_3ELS4_3ELNS0_20block_scan_algorithmE0ELj4294967295EEENS1_25partition_config_selectorILNS1_17partition_subalgoE4EjNS0_10empty_typeEbEEZZNS1_14partition_implILS8_4ELb0ES6_15HIP_vector_typeIjLj2EENS0_17counting_iteratorIjlEEPS9_SG_NS0_5tupleIJPjSI_NS0_16reverse_iteratorISI_EEEEENSH_IJSG_SG_SG_EEES9_SI_JZNS1_25segmented_radix_sort_implINS0_14default_configELb0EPKhPhPKlPlN2at6native12_GLOBAL__N_18offset_tEEE10hipError_tPvRmT1_PNSt15iterator_traitsIS12_E10value_typeET2_T3_PNS13_IS18_E10value_typeET4_jRbjT5_S1E_jjP12ihipStream_tbEUljE_ZNSN_ISO_Lb0ESQ_SR_ST_SU_SY_EESZ_S10_S11_S12_S16_S17_S18_S1B_S1C_jS1D_jS1E_S1E_jjS1G_bEUljE0_EEESZ_S10_S11_S18_S1C_S1E_T6_T7_T9_mT8_S1G_bDpT10_ENKUlT_T0_E_clISt17integral_constantIbLb1EES1U_EEDaS1P_S1Q_EUlS1P_E_NS1_11comp_targetILNS1_3genE4ELNS1_11target_archE910ELNS1_3gpuE8ELNS1_3repE0EEENS1_30default_config_static_selectorELNS0_4arch9wavefront6targetE0EEEvS12_.has_recursion, 0
	.set _ZN7rocprim17ROCPRIM_400000_NS6detail17trampoline_kernelINS0_13select_configILj256ELj13ELNS0_17block_load_methodE3ELS4_3ELS4_3ELNS0_20block_scan_algorithmE0ELj4294967295EEENS1_25partition_config_selectorILNS1_17partition_subalgoE4EjNS0_10empty_typeEbEEZZNS1_14partition_implILS8_4ELb0ES6_15HIP_vector_typeIjLj2EENS0_17counting_iteratorIjlEEPS9_SG_NS0_5tupleIJPjSI_NS0_16reverse_iteratorISI_EEEEENSH_IJSG_SG_SG_EEES9_SI_JZNS1_25segmented_radix_sort_implINS0_14default_configELb0EPKhPhPKlPlN2at6native12_GLOBAL__N_18offset_tEEE10hipError_tPvRmT1_PNSt15iterator_traitsIS12_E10value_typeET2_T3_PNS13_IS18_E10value_typeET4_jRbjT5_S1E_jjP12ihipStream_tbEUljE_ZNSN_ISO_Lb0ESQ_SR_ST_SU_SY_EESZ_S10_S11_S12_S16_S17_S18_S1B_S1C_jS1D_jS1E_S1E_jjS1G_bEUljE0_EEESZ_S10_S11_S18_S1C_S1E_T6_T7_T9_mT8_S1G_bDpT10_ENKUlT_T0_E_clISt17integral_constantIbLb1EES1U_EEDaS1P_S1Q_EUlS1P_E_NS1_11comp_targetILNS1_3genE4ELNS1_11target_archE910ELNS1_3gpuE8ELNS1_3repE0EEENS1_30default_config_static_selectorELNS0_4arch9wavefront6targetE0EEEvS12_.has_indirect_call, 0
	.section	.AMDGPU.csdata,"",@progbits
; Kernel info:
; codeLenInByte = 0
; TotalNumSgprs: 0
; NumVgprs: 0
; ScratchSize: 0
; MemoryBound: 0
; FloatMode: 240
; IeeeMode: 1
; LDSByteSize: 0 bytes/workgroup (compile time only)
; SGPRBlocks: 0
; VGPRBlocks: 0
; NumSGPRsForWavesPerEU: 1
; NumVGPRsForWavesPerEU: 1
; Occupancy: 16
; WaveLimiterHint : 0
; COMPUTE_PGM_RSRC2:SCRATCH_EN: 0
; COMPUTE_PGM_RSRC2:USER_SGPR: 6
; COMPUTE_PGM_RSRC2:TRAP_HANDLER: 0
; COMPUTE_PGM_RSRC2:TGID_X_EN: 1
; COMPUTE_PGM_RSRC2:TGID_Y_EN: 0
; COMPUTE_PGM_RSRC2:TGID_Z_EN: 0
; COMPUTE_PGM_RSRC2:TIDIG_COMP_CNT: 0
	.section	.text._ZN7rocprim17ROCPRIM_400000_NS6detail17trampoline_kernelINS0_13select_configILj256ELj13ELNS0_17block_load_methodE3ELS4_3ELS4_3ELNS0_20block_scan_algorithmE0ELj4294967295EEENS1_25partition_config_selectorILNS1_17partition_subalgoE4EjNS0_10empty_typeEbEEZZNS1_14partition_implILS8_4ELb0ES6_15HIP_vector_typeIjLj2EENS0_17counting_iteratorIjlEEPS9_SG_NS0_5tupleIJPjSI_NS0_16reverse_iteratorISI_EEEEENSH_IJSG_SG_SG_EEES9_SI_JZNS1_25segmented_radix_sort_implINS0_14default_configELb0EPKhPhPKlPlN2at6native12_GLOBAL__N_18offset_tEEE10hipError_tPvRmT1_PNSt15iterator_traitsIS12_E10value_typeET2_T3_PNS13_IS18_E10value_typeET4_jRbjT5_S1E_jjP12ihipStream_tbEUljE_ZNSN_ISO_Lb0ESQ_SR_ST_SU_SY_EESZ_S10_S11_S12_S16_S17_S18_S1B_S1C_jS1D_jS1E_S1E_jjS1G_bEUljE0_EEESZ_S10_S11_S18_S1C_S1E_T6_T7_T9_mT8_S1G_bDpT10_ENKUlT_T0_E_clISt17integral_constantIbLb1EES1U_EEDaS1P_S1Q_EUlS1P_E_NS1_11comp_targetILNS1_3genE3ELNS1_11target_archE908ELNS1_3gpuE7ELNS1_3repE0EEENS1_30default_config_static_selectorELNS0_4arch9wavefront6targetE0EEEvS12_,"axG",@progbits,_ZN7rocprim17ROCPRIM_400000_NS6detail17trampoline_kernelINS0_13select_configILj256ELj13ELNS0_17block_load_methodE3ELS4_3ELS4_3ELNS0_20block_scan_algorithmE0ELj4294967295EEENS1_25partition_config_selectorILNS1_17partition_subalgoE4EjNS0_10empty_typeEbEEZZNS1_14partition_implILS8_4ELb0ES6_15HIP_vector_typeIjLj2EENS0_17counting_iteratorIjlEEPS9_SG_NS0_5tupleIJPjSI_NS0_16reverse_iteratorISI_EEEEENSH_IJSG_SG_SG_EEES9_SI_JZNS1_25segmented_radix_sort_implINS0_14default_configELb0EPKhPhPKlPlN2at6native12_GLOBAL__N_18offset_tEEE10hipError_tPvRmT1_PNSt15iterator_traitsIS12_E10value_typeET2_T3_PNS13_IS18_E10value_typeET4_jRbjT5_S1E_jjP12ihipStream_tbEUljE_ZNSN_ISO_Lb0ESQ_SR_ST_SU_SY_EESZ_S10_S11_S12_S16_S17_S18_S1B_S1C_jS1D_jS1E_S1E_jjS1G_bEUljE0_EEESZ_S10_S11_S18_S1C_S1E_T6_T7_T9_mT8_S1G_bDpT10_ENKUlT_T0_E_clISt17integral_constantIbLb1EES1U_EEDaS1P_S1Q_EUlS1P_E_NS1_11comp_targetILNS1_3genE3ELNS1_11target_archE908ELNS1_3gpuE7ELNS1_3repE0EEENS1_30default_config_static_selectorELNS0_4arch9wavefront6targetE0EEEvS12_,comdat
	.globl	_ZN7rocprim17ROCPRIM_400000_NS6detail17trampoline_kernelINS0_13select_configILj256ELj13ELNS0_17block_load_methodE3ELS4_3ELS4_3ELNS0_20block_scan_algorithmE0ELj4294967295EEENS1_25partition_config_selectorILNS1_17partition_subalgoE4EjNS0_10empty_typeEbEEZZNS1_14partition_implILS8_4ELb0ES6_15HIP_vector_typeIjLj2EENS0_17counting_iteratorIjlEEPS9_SG_NS0_5tupleIJPjSI_NS0_16reverse_iteratorISI_EEEEENSH_IJSG_SG_SG_EEES9_SI_JZNS1_25segmented_radix_sort_implINS0_14default_configELb0EPKhPhPKlPlN2at6native12_GLOBAL__N_18offset_tEEE10hipError_tPvRmT1_PNSt15iterator_traitsIS12_E10value_typeET2_T3_PNS13_IS18_E10value_typeET4_jRbjT5_S1E_jjP12ihipStream_tbEUljE_ZNSN_ISO_Lb0ESQ_SR_ST_SU_SY_EESZ_S10_S11_S12_S16_S17_S18_S1B_S1C_jS1D_jS1E_S1E_jjS1G_bEUljE0_EEESZ_S10_S11_S18_S1C_S1E_T6_T7_T9_mT8_S1G_bDpT10_ENKUlT_T0_E_clISt17integral_constantIbLb1EES1U_EEDaS1P_S1Q_EUlS1P_E_NS1_11comp_targetILNS1_3genE3ELNS1_11target_archE908ELNS1_3gpuE7ELNS1_3repE0EEENS1_30default_config_static_selectorELNS0_4arch9wavefront6targetE0EEEvS12_ ; -- Begin function _ZN7rocprim17ROCPRIM_400000_NS6detail17trampoline_kernelINS0_13select_configILj256ELj13ELNS0_17block_load_methodE3ELS4_3ELS4_3ELNS0_20block_scan_algorithmE0ELj4294967295EEENS1_25partition_config_selectorILNS1_17partition_subalgoE4EjNS0_10empty_typeEbEEZZNS1_14partition_implILS8_4ELb0ES6_15HIP_vector_typeIjLj2EENS0_17counting_iteratorIjlEEPS9_SG_NS0_5tupleIJPjSI_NS0_16reverse_iteratorISI_EEEEENSH_IJSG_SG_SG_EEES9_SI_JZNS1_25segmented_radix_sort_implINS0_14default_configELb0EPKhPhPKlPlN2at6native12_GLOBAL__N_18offset_tEEE10hipError_tPvRmT1_PNSt15iterator_traitsIS12_E10value_typeET2_T3_PNS13_IS18_E10value_typeET4_jRbjT5_S1E_jjP12ihipStream_tbEUljE_ZNSN_ISO_Lb0ESQ_SR_ST_SU_SY_EESZ_S10_S11_S12_S16_S17_S18_S1B_S1C_jS1D_jS1E_S1E_jjS1G_bEUljE0_EEESZ_S10_S11_S18_S1C_S1E_T6_T7_T9_mT8_S1G_bDpT10_ENKUlT_T0_E_clISt17integral_constantIbLb1EES1U_EEDaS1P_S1Q_EUlS1P_E_NS1_11comp_targetILNS1_3genE3ELNS1_11target_archE908ELNS1_3gpuE7ELNS1_3repE0EEENS1_30default_config_static_selectorELNS0_4arch9wavefront6targetE0EEEvS12_
	.p2align	8
	.type	_ZN7rocprim17ROCPRIM_400000_NS6detail17trampoline_kernelINS0_13select_configILj256ELj13ELNS0_17block_load_methodE3ELS4_3ELS4_3ELNS0_20block_scan_algorithmE0ELj4294967295EEENS1_25partition_config_selectorILNS1_17partition_subalgoE4EjNS0_10empty_typeEbEEZZNS1_14partition_implILS8_4ELb0ES6_15HIP_vector_typeIjLj2EENS0_17counting_iteratorIjlEEPS9_SG_NS0_5tupleIJPjSI_NS0_16reverse_iteratorISI_EEEEENSH_IJSG_SG_SG_EEES9_SI_JZNS1_25segmented_radix_sort_implINS0_14default_configELb0EPKhPhPKlPlN2at6native12_GLOBAL__N_18offset_tEEE10hipError_tPvRmT1_PNSt15iterator_traitsIS12_E10value_typeET2_T3_PNS13_IS18_E10value_typeET4_jRbjT5_S1E_jjP12ihipStream_tbEUljE_ZNSN_ISO_Lb0ESQ_SR_ST_SU_SY_EESZ_S10_S11_S12_S16_S17_S18_S1B_S1C_jS1D_jS1E_S1E_jjS1G_bEUljE0_EEESZ_S10_S11_S18_S1C_S1E_T6_T7_T9_mT8_S1G_bDpT10_ENKUlT_T0_E_clISt17integral_constantIbLb1EES1U_EEDaS1P_S1Q_EUlS1P_E_NS1_11comp_targetILNS1_3genE3ELNS1_11target_archE908ELNS1_3gpuE7ELNS1_3repE0EEENS1_30default_config_static_selectorELNS0_4arch9wavefront6targetE0EEEvS12_,@function
_ZN7rocprim17ROCPRIM_400000_NS6detail17trampoline_kernelINS0_13select_configILj256ELj13ELNS0_17block_load_methodE3ELS4_3ELS4_3ELNS0_20block_scan_algorithmE0ELj4294967295EEENS1_25partition_config_selectorILNS1_17partition_subalgoE4EjNS0_10empty_typeEbEEZZNS1_14partition_implILS8_4ELb0ES6_15HIP_vector_typeIjLj2EENS0_17counting_iteratorIjlEEPS9_SG_NS0_5tupleIJPjSI_NS0_16reverse_iteratorISI_EEEEENSH_IJSG_SG_SG_EEES9_SI_JZNS1_25segmented_radix_sort_implINS0_14default_configELb0EPKhPhPKlPlN2at6native12_GLOBAL__N_18offset_tEEE10hipError_tPvRmT1_PNSt15iterator_traitsIS12_E10value_typeET2_T3_PNS13_IS18_E10value_typeET4_jRbjT5_S1E_jjP12ihipStream_tbEUljE_ZNSN_ISO_Lb0ESQ_SR_ST_SU_SY_EESZ_S10_S11_S12_S16_S17_S18_S1B_S1C_jS1D_jS1E_S1E_jjS1G_bEUljE0_EEESZ_S10_S11_S18_S1C_S1E_T6_T7_T9_mT8_S1G_bDpT10_ENKUlT_T0_E_clISt17integral_constantIbLb1EES1U_EEDaS1P_S1Q_EUlS1P_E_NS1_11comp_targetILNS1_3genE3ELNS1_11target_archE908ELNS1_3gpuE7ELNS1_3repE0EEENS1_30default_config_static_selectorELNS0_4arch9wavefront6targetE0EEEvS12_: ; @_ZN7rocprim17ROCPRIM_400000_NS6detail17trampoline_kernelINS0_13select_configILj256ELj13ELNS0_17block_load_methodE3ELS4_3ELS4_3ELNS0_20block_scan_algorithmE0ELj4294967295EEENS1_25partition_config_selectorILNS1_17partition_subalgoE4EjNS0_10empty_typeEbEEZZNS1_14partition_implILS8_4ELb0ES6_15HIP_vector_typeIjLj2EENS0_17counting_iteratorIjlEEPS9_SG_NS0_5tupleIJPjSI_NS0_16reverse_iteratorISI_EEEEENSH_IJSG_SG_SG_EEES9_SI_JZNS1_25segmented_radix_sort_implINS0_14default_configELb0EPKhPhPKlPlN2at6native12_GLOBAL__N_18offset_tEEE10hipError_tPvRmT1_PNSt15iterator_traitsIS12_E10value_typeET2_T3_PNS13_IS18_E10value_typeET4_jRbjT5_S1E_jjP12ihipStream_tbEUljE_ZNSN_ISO_Lb0ESQ_SR_ST_SU_SY_EESZ_S10_S11_S12_S16_S17_S18_S1B_S1C_jS1D_jS1E_S1E_jjS1G_bEUljE0_EEESZ_S10_S11_S18_S1C_S1E_T6_T7_T9_mT8_S1G_bDpT10_ENKUlT_T0_E_clISt17integral_constantIbLb1EES1U_EEDaS1P_S1Q_EUlS1P_E_NS1_11comp_targetILNS1_3genE3ELNS1_11target_archE908ELNS1_3gpuE7ELNS1_3repE0EEENS1_30default_config_static_selectorELNS0_4arch9wavefront6targetE0EEEvS12_
; %bb.0:
	.section	.rodata,"a",@progbits
	.p2align	6, 0x0
	.amdhsa_kernel _ZN7rocprim17ROCPRIM_400000_NS6detail17trampoline_kernelINS0_13select_configILj256ELj13ELNS0_17block_load_methodE3ELS4_3ELS4_3ELNS0_20block_scan_algorithmE0ELj4294967295EEENS1_25partition_config_selectorILNS1_17partition_subalgoE4EjNS0_10empty_typeEbEEZZNS1_14partition_implILS8_4ELb0ES6_15HIP_vector_typeIjLj2EENS0_17counting_iteratorIjlEEPS9_SG_NS0_5tupleIJPjSI_NS0_16reverse_iteratorISI_EEEEENSH_IJSG_SG_SG_EEES9_SI_JZNS1_25segmented_radix_sort_implINS0_14default_configELb0EPKhPhPKlPlN2at6native12_GLOBAL__N_18offset_tEEE10hipError_tPvRmT1_PNSt15iterator_traitsIS12_E10value_typeET2_T3_PNS13_IS18_E10value_typeET4_jRbjT5_S1E_jjP12ihipStream_tbEUljE_ZNSN_ISO_Lb0ESQ_SR_ST_SU_SY_EESZ_S10_S11_S12_S16_S17_S18_S1B_S1C_jS1D_jS1E_S1E_jjS1G_bEUljE0_EEESZ_S10_S11_S18_S1C_S1E_T6_T7_T9_mT8_S1G_bDpT10_ENKUlT_T0_E_clISt17integral_constantIbLb1EES1U_EEDaS1P_S1Q_EUlS1P_E_NS1_11comp_targetILNS1_3genE3ELNS1_11target_archE908ELNS1_3gpuE7ELNS1_3repE0EEENS1_30default_config_static_selectorELNS0_4arch9wavefront6targetE0EEEvS12_
		.amdhsa_group_segment_fixed_size 0
		.amdhsa_private_segment_fixed_size 0
		.amdhsa_kernarg_size 184
		.amdhsa_user_sgpr_count 6
		.amdhsa_user_sgpr_private_segment_buffer 1
		.amdhsa_user_sgpr_dispatch_ptr 0
		.amdhsa_user_sgpr_queue_ptr 0
		.amdhsa_user_sgpr_kernarg_segment_ptr 1
		.amdhsa_user_sgpr_dispatch_id 0
		.amdhsa_user_sgpr_flat_scratch_init 0
		.amdhsa_user_sgpr_private_segment_size 0
		.amdhsa_wavefront_size32 1
		.amdhsa_uses_dynamic_stack 0
		.amdhsa_system_sgpr_private_segment_wavefront_offset 0
		.amdhsa_system_sgpr_workgroup_id_x 1
		.amdhsa_system_sgpr_workgroup_id_y 0
		.amdhsa_system_sgpr_workgroup_id_z 0
		.amdhsa_system_sgpr_workgroup_info 0
		.amdhsa_system_vgpr_workitem_id 0
		.amdhsa_next_free_vgpr 1
		.amdhsa_next_free_sgpr 1
		.amdhsa_reserve_vcc 0
		.amdhsa_reserve_flat_scratch 0
		.amdhsa_float_round_mode_32 0
		.amdhsa_float_round_mode_16_64 0
		.amdhsa_float_denorm_mode_32 3
		.amdhsa_float_denorm_mode_16_64 3
		.amdhsa_dx10_clamp 1
		.amdhsa_ieee_mode 1
		.amdhsa_fp16_overflow 0
		.amdhsa_workgroup_processor_mode 1
		.amdhsa_memory_ordered 1
		.amdhsa_forward_progress 1
		.amdhsa_shared_vgpr_count 0
		.amdhsa_exception_fp_ieee_invalid_op 0
		.amdhsa_exception_fp_denorm_src 0
		.amdhsa_exception_fp_ieee_div_zero 0
		.amdhsa_exception_fp_ieee_overflow 0
		.amdhsa_exception_fp_ieee_underflow 0
		.amdhsa_exception_fp_ieee_inexact 0
		.amdhsa_exception_int_div_zero 0
	.end_amdhsa_kernel
	.section	.text._ZN7rocprim17ROCPRIM_400000_NS6detail17trampoline_kernelINS0_13select_configILj256ELj13ELNS0_17block_load_methodE3ELS4_3ELS4_3ELNS0_20block_scan_algorithmE0ELj4294967295EEENS1_25partition_config_selectorILNS1_17partition_subalgoE4EjNS0_10empty_typeEbEEZZNS1_14partition_implILS8_4ELb0ES6_15HIP_vector_typeIjLj2EENS0_17counting_iteratorIjlEEPS9_SG_NS0_5tupleIJPjSI_NS0_16reverse_iteratorISI_EEEEENSH_IJSG_SG_SG_EEES9_SI_JZNS1_25segmented_radix_sort_implINS0_14default_configELb0EPKhPhPKlPlN2at6native12_GLOBAL__N_18offset_tEEE10hipError_tPvRmT1_PNSt15iterator_traitsIS12_E10value_typeET2_T3_PNS13_IS18_E10value_typeET4_jRbjT5_S1E_jjP12ihipStream_tbEUljE_ZNSN_ISO_Lb0ESQ_SR_ST_SU_SY_EESZ_S10_S11_S12_S16_S17_S18_S1B_S1C_jS1D_jS1E_S1E_jjS1G_bEUljE0_EEESZ_S10_S11_S18_S1C_S1E_T6_T7_T9_mT8_S1G_bDpT10_ENKUlT_T0_E_clISt17integral_constantIbLb1EES1U_EEDaS1P_S1Q_EUlS1P_E_NS1_11comp_targetILNS1_3genE3ELNS1_11target_archE908ELNS1_3gpuE7ELNS1_3repE0EEENS1_30default_config_static_selectorELNS0_4arch9wavefront6targetE0EEEvS12_,"axG",@progbits,_ZN7rocprim17ROCPRIM_400000_NS6detail17trampoline_kernelINS0_13select_configILj256ELj13ELNS0_17block_load_methodE3ELS4_3ELS4_3ELNS0_20block_scan_algorithmE0ELj4294967295EEENS1_25partition_config_selectorILNS1_17partition_subalgoE4EjNS0_10empty_typeEbEEZZNS1_14partition_implILS8_4ELb0ES6_15HIP_vector_typeIjLj2EENS0_17counting_iteratorIjlEEPS9_SG_NS0_5tupleIJPjSI_NS0_16reverse_iteratorISI_EEEEENSH_IJSG_SG_SG_EEES9_SI_JZNS1_25segmented_radix_sort_implINS0_14default_configELb0EPKhPhPKlPlN2at6native12_GLOBAL__N_18offset_tEEE10hipError_tPvRmT1_PNSt15iterator_traitsIS12_E10value_typeET2_T3_PNS13_IS18_E10value_typeET4_jRbjT5_S1E_jjP12ihipStream_tbEUljE_ZNSN_ISO_Lb0ESQ_SR_ST_SU_SY_EESZ_S10_S11_S12_S16_S17_S18_S1B_S1C_jS1D_jS1E_S1E_jjS1G_bEUljE0_EEESZ_S10_S11_S18_S1C_S1E_T6_T7_T9_mT8_S1G_bDpT10_ENKUlT_T0_E_clISt17integral_constantIbLb1EES1U_EEDaS1P_S1Q_EUlS1P_E_NS1_11comp_targetILNS1_3genE3ELNS1_11target_archE908ELNS1_3gpuE7ELNS1_3repE0EEENS1_30default_config_static_selectorELNS0_4arch9wavefront6targetE0EEEvS12_,comdat
.Lfunc_end132:
	.size	_ZN7rocprim17ROCPRIM_400000_NS6detail17trampoline_kernelINS0_13select_configILj256ELj13ELNS0_17block_load_methodE3ELS4_3ELS4_3ELNS0_20block_scan_algorithmE0ELj4294967295EEENS1_25partition_config_selectorILNS1_17partition_subalgoE4EjNS0_10empty_typeEbEEZZNS1_14partition_implILS8_4ELb0ES6_15HIP_vector_typeIjLj2EENS0_17counting_iteratorIjlEEPS9_SG_NS0_5tupleIJPjSI_NS0_16reverse_iteratorISI_EEEEENSH_IJSG_SG_SG_EEES9_SI_JZNS1_25segmented_radix_sort_implINS0_14default_configELb0EPKhPhPKlPlN2at6native12_GLOBAL__N_18offset_tEEE10hipError_tPvRmT1_PNSt15iterator_traitsIS12_E10value_typeET2_T3_PNS13_IS18_E10value_typeET4_jRbjT5_S1E_jjP12ihipStream_tbEUljE_ZNSN_ISO_Lb0ESQ_SR_ST_SU_SY_EESZ_S10_S11_S12_S16_S17_S18_S1B_S1C_jS1D_jS1E_S1E_jjS1G_bEUljE0_EEESZ_S10_S11_S18_S1C_S1E_T6_T7_T9_mT8_S1G_bDpT10_ENKUlT_T0_E_clISt17integral_constantIbLb1EES1U_EEDaS1P_S1Q_EUlS1P_E_NS1_11comp_targetILNS1_3genE3ELNS1_11target_archE908ELNS1_3gpuE7ELNS1_3repE0EEENS1_30default_config_static_selectorELNS0_4arch9wavefront6targetE0EEEvS12_, .Lfunc_end132-_ZN7rocprim17ROCPRIM_400000_NS6detail17trampoline_kernelINS0_13select_configILj256ELj13ELNS0_17block_load_methodE3ELS4_3ELS4_3ELNS0_20block_scan_algorithmE0ELj4294967295EEENS1_25partition_config_selectorILNS1_17partition_subalgoE4EjNS0_10empty_typeEbEEZZNS1_14partition_implILS8_4ELb0ES6_15HIP_vector_typeIjLj2EENS0_17counting_iteratorIjlEEPS9_SG_NS0_5tupleIJPjSI_NS0_16reverse_iteratorISI_EEEEENSH_IJSG_SG_SG_EEES9_SI_JZNS1_25segmented_radix_sort_implINS0_14default_configELb0EPKhPhPKlPlN2at6native12_GLOBAL__N_18offset_tEEE10hipError_tPvRmT1_PNSt15iterator_traitsIS12_E10value_typeET2_T3_PNS13_IS18_E10value_typeET4_jRbjT5_S1E_jjP12ihipStream_tbEUljE_ZNSN_ISO_Lb0ESQ_SR_ST_SU_SY_EESZ_S10_S11_S12_S16_S17_S18_S1B_S1C_jS1D_jS1E_S1E_jjS1G_bEUljE0_EEESZ_S10_S11_S18_S1C_S1E_T6_T7_T9_mT8_S1G_bDpT10_ENKUlT_T0_E_clISt17integral_constantIbLb1EES1U_EEDaS1P_S1Q_EUlS1P_E_NS1_11comp_targetILNS1_3genE3ELNS1_11target_archE908ELNS1_3gpuE7ELNS1_3repE0EEENS1_30default_config_static_selectorELNS0_4arch9wavefront6targetE0EEEvS12_
                                        ; -- End function
	.set _ZN7rocprim17ROCPRIM_400000_NS6detail17trampoline_kernelINS0_13select_configILj256ELj13ELNS0_17block_load_methodE3ELS4_3ELS4_3ELNS0_20block_scan_algorithmE0ELj4294967295EEENS1_25partition_config_selectorILNS1_17partition_subalgoE4EjNS0_10empty_typeEbEEZZNS1_14partition_implILS8_4ELb0ES6_15HIP_vector_typeIjLj2EENS0_17counting_iteratorIjlEEPS9_SG_NS0_5tupleIJPjSI_NS0_16reverse_iteratorISI_EEEEENSH_IJSG_SG_SG_EEES9_SI_JZNS1_25segmented_radix_sort_implINS0_14default_configELb0EPKhPhPKlPlN2at6native12_GLOBAL__N_18offset_tEEE10hipError_tPvRmT1_PNSt15iterator_traitsIS12_E10value_typeET2_T3_PNS13_IS18_E10value_typeET4_jRbjT5_S1E_jjP12ihipStream_tbEUljE_ZNSN_ISO_Lb0ESQ_SR_ST_SU_SY_EESZ_S10_S11_S12_S16_S17_S18_S1B_S1C_jS1D_jS1E_S1E_jjS1G_bEUljE0_EEESZ_S10_S11_S18_S1C_S1E_T6_T7_T9_mT8_S1G_bDpT10_ENKUlT_T0_E_clISt17integral_constantIbLb1EES1U_EEDaS1P_S1Q_EUlS1P_E_NS1_11comp_targetILNS1_3genE3ELNS1_11target_archE908ELNS1_3gpuE7ELNS1_3repE0EEENS1_30default_config_static_selectorELNS0_4arch9wavefront6targetE0EEEvS12_.num_vgpr, 0
	.set _ZN7rocprim17ROCPRIM_400000_NS6detail17trampoline_kernelINS0_13select_configILj256ELj13ELNS0_17block_load_methodE3ELS4_3ELS4_3ELNS0_20block_scan_algorithmE0ELj4294967295EEENS1_25partition_config_selectorILNS1_17partition_subalgoE4EjNS0_10empty_typeEbEEZZNS1_14partition_implILS8_4ELb0ES6_15HIP_vector_typeIjLj2EENS0_17counting_iteratorIjlEEPS9_SG_NS0_5tupleIJPjSI_NS0_16reverse_iteratorISI_EEEEENSH_IJSG_SG_SG_EEES9_SI_JZNS1_25segmented_radix_sort_implINS0_14default_configELb0EPKhPhPKlPlN2at6native12_GLOBAL__N_18offset_tEEE10hipError_tPvRmT1_PNSt15iterator_traitsIS12_E10value_typeET2_T3_PNS13_IS18_E10value_typeET4_jRbjT5_S1E_jjP12ihipStream_tbEUljE_ZNSN_ISO_Lb0ESQ_SR_ST_SU_SY_EESZ_S10_S11_S12_S16_S17_S18_S1B_S1C_jS1D_jS1E_S1E_jjS1G_bEUljE0_EEESZ_S10_S11_S18_S1C_S1E_T6_T7_T9_mT8_S1G_bDpT10_ENKUlT_T0_E_clISt17integral_constantIbLb1EES1U_EEDaS1P_S1Q_EUlS1P_E_NS1_11comp_targetILNS1_3genE3ELNS1_11target_archE908ELNS1_3gpuE7ELNS1_3repE0EEENS1_30default_config_static_selectorELNS0_4arch9wavefront6targetE0EEEvS12_.num_agpr, 0
	.set _ZN7rocprim17ROCPRIM_400000_NS6detail17trampoline_kernelINS0_13select_configILj256ELj13ELNS0_17block_load_methodE3ELS4_3ELS4_3ELNS0_20block_scan_algorithmE0ELj4294967295EEENS1_25partition_config_selectorILNS1_17partition_subalgoE4EjNS0_10empty_typeEbEEZZNS1_14partition_implILS8_4ELb0ES6_15HIP_vector_typeIjLj2EENS0_17counting_iteratorIjlEEPS9_SG_NS0_5tupleIJPjSI_NS0_16reverse_iteratorISI_EEEEENSH_IJSG_SG_SG_EEES9_SI_JZNS1_25segmented_radix_sort_implINS0_14default_configELb0EPKhPhPKlPlN2at6native12_GLOBAL__N_18offset_tEEE10hipError_tPvRmT1_PNSt15iterator_traitsIS12_E10value_typeET2_T3_PNS13_IS18_E10value_typeET4_jRbjT5_S1E_jjP12ihipStream_tbEUljE_ZNSN_ISO_Lb0ESQ_SR_ST_SU_SY_EESZ_S10_S11_S12_S16_S17_S18_S1B_S1C_jS1D_jS1E_S1E_jjS1G_bEUljE0_EEESZ_S10_S11_S18_S1C_S1E_T6_T7_T9_mT8_S1G_bDpT10_ENKUlT_T0_E_clISt17integral_constantIbLb1EES1U_EEDaS1P_S1Q_EUlS1P_E_NS1_11comp_targetILNS1_3genE3ELNS1_11target_archE908ELNS1_3gpuE7ELNS1_3repE0EEENS1_30default_config_static_selectorELNS0_4arch9wavefront6targetE0EEEvS12_.numbered_sgpr, 0
	.set _ZN7rocprim17ROCPRIM_400000_NS6detail17trampoline_kernelINS0_13select_configILj256ELj13ELNS0_17block_load_methodE3ELS4_3ELS4_3ELNS0_20block_scan_algorithmE0ELj4294967295EEENS1_25partition_config_selectorILNS1_17partition_subalgoE4EjNS0_10empty_typeEbEEZZNS1_14partition_implILS8_4ELb0ES6_15HIP_vector_typeIjLj2EENS0_17counting_iteratorIjlEEPS9_SG_NS0_5tupleIJPjSI_NS0_16reverse_iteratorISI_EEEEENSH_IJSG_SG_SG_EEES9_SI_JZNS1_25segmented_radix_sort_implINS0_14default_configELb0EPKhPhPKlPlN2at6native12_GLOBAL__N_18offset_tEEE10hipError_tPvRmT1_PNSt15iterator_traitsIS12_E10value_typeET2_T3_PNS13_IS18_E10value_typeET4_jRbjT5_S1E_jjP12ihipStream_tbEUljE_ZNSN_ISO_Lb0ESQ_SR_ST_SU_SY_EESZ_S10_S11_S12_S16_S17_S18_S1B_S1C_jS1D_jS1E_S1E_jjS1G_bEUljE0_EEESZ_S10_S11_S18_S1C_S1E_T6_T7_T9_mT8_S1G_bDpT10_ENKUlT_T0_E_clISt17integral_constantIbLb1EES1U_EEDaS1P_S1Q_EUlS1P_E_NS1_11comp_targetILNS1_3genE3ELNS1_11target_archE908ELNS1_3gpuE7ELNS1_3repE0EEENS1_30default_config_static_selectorELNS0_4arch9wavefront6targetE0EEEvS12_.num_named_barrier, 0
	.set _ZN7rocprim17ROCPRIM_400000_NS6detail17trampoline_kernelINS0_13select_configILj256ELj13ELNS0_17block_load_methodE3ELS4_3ELS4_3ELNS0_20block_scan_algorithmE0ELj4294967295EEENS1_25partition_config_selectorILNS1_17partition_subalgoE4EjNS0_10empty_typeEbEEZZNS1_14partition_implILS8_4ELb0ES6_15HIP_vector_typeIjLj2EENS0_17counting_iteratorIjlEEPS9_SG_NS0_5tupleIJPjSI_NS0_16reverse_iteratorISI_EEEEENSH_IJSG_SG_SG_EEES9_SI_JZNS1_25segmented_radix_sort_implINS0_14default_configELb0EPKhPhPKlPlN2at6native12_GLOBAL__N_18offset_tEEE10hipError_tPvRmT1_PNSt15iterator_traitsIS12_E10value_typeET2_T3_PNS13_IS18_E10value_typeET4_jRbjT5_S1E_jjP12ihipStream_tbEUljE_ZNSN_ISO_Lb0ESQ_SR_ST_SU_SY_EESZ_S10_S11_S12_S16_S17_S18_S1B_S1C_jS1D_jS1E_S1E_jjS1G_bEUljE0_EEESZ_S10_S11_S18_S1C_S1E_T6_T7_T9_mT8_S1G_bDpT10_ENKUlT_T0_E_clISt17integral_constantIbLb1EES1U_EEDaS1P_S1Q_EUlS1P_E_NS1_11comp_targetILNS1_3genE3ELNS1_11target_archE908ELNS1_3gpuE7ELNS1_3repE0EEENS1_30default_config_static_selectorELNS0_4arch9wavefront6targetE0EEEvS12_.private_seg_size, 0
	.set _ZN7rocprim17ROCPRIM_400000_NS6detail17trampoline_kernelINS0_13select_configILj256ELj13ELNS0_17block_load_methodE3ELS4_3ELS4_3ELNS0_20block_scan_algorithmE0ELj4294967295EEENS1_25partition_config_selectorILNS1_17partition_subalgoE4EjNS0_10empty_typeEbEEZZNS1_14partition_implILS8_4ELb0ES6_15HIP_vector_typeIjLj2EENS0_17counting_iteratorIjlEEPS9_SG_NS0_5tupleIJPjSI_NS0_16reverse_iteratorISI_EEEEENSH_IJSG_SG_SG_EEES9_SI_JZNS1_25segmented_radix_sort_implINS0_14default_configELb0EPKhPhPKlPlN2at6native12_GLOBAL__N_18offset_tEEE10hipError_tPvRmT1_PNSt15iterator_traitsIS12_E10value_typeET2_T3_PNS13_IS18_E10value_typeET4_jRbjT5_S1E_jjP12ihipStream_tbEUljE_ZNSN_ISO_Lb0ESQ_SR_ST_SU_SY_EESZ_S10_S11_S12_S16_S17_S18_S1B_S1C_jS1D_jS1E_S1E_jjS1G_bEUljE0_EEESZ_S10_S11_S18_S1C_S1E_T6_T7_T9_mT8_S1G_bDpT10_ENKUlT_T0_E_clISt17integral_constantIbLb1EES1U_EEDaS1P_S1Q_EUlS1P_E_NS1_11comp_targetILNS1_3genE3ELNS1_11target_archE908ELNS1_3gpuE7ELNS1_3repE0EEENS1_30default_config_static_selectorELNS0_4arch9wavefront6targetE0EEEvS12_.uses_vcc, 0
	.set _ZN7rocprim17ROCPRIM_400000_NS6detail17trampoline_kernelINS0_13select_configILj256ELj13ELNS0_17block_load_methodE3ELS4_3ELS4_3ELNS0_20block_scan_algorithmE0ELj4294967295EEENS1_25partition_config_selectorILNS1_17partition_subalgoE4EjNS0_10empty_typeEbEEZZNS1_14partition_implILS8_4ELb0ES6_15HIP_vector_typeIjLj2EENS0_17counting_iteratorIjlEEPS9_SG_NS0_5tupleIJPjSI_NS0_16reverse_iteratorISI_EEEEENSH_IJSG_SG_SG_EEES9_SI_JZNS1_25segmented_radix_sort_implINS0_14default_configELb0EPKhPhPKlPlN2at6native12_GLOBAL__N_18offset_tEEE10hipError_tPvRmT1_PNSt15iterator_traitsIS12_E10value_typeET2_T3_PNS13_IS18_E10value_typeET4_jRbjT5_S1E_jjP12ihipStream_tbEUljE_ZNSN_ISO_Lb0ESQ_SR_ST_SU_SY_EESZ_S10_S11_S12_S16_S17_S18_S1B_S1C_jS1D_jS1E_S1E_jjS1G_bEUljE0_EEESZ_S10_S11_S18_S1C_S1E_T6_T7_T9_mT8_S1G_bDpT10_ENKUlT_T0_E_clISt17integral_constantIbLb1EES1U_EEDaS1P_S1Q_EUlS1P_E_NS1_11comp_targetILNS1_3genE3ELNS1_11target_archE908ELNS1_3gpuE7ELNS1_3repE0EEENS1_30default_config_static_selectorELNS0_4arch9wavefront6targetE0EEEvS12_.uses_flat_scratch, 0
	.set _ZN7rocprim17ROCPRIM_400000_NS6detail17trampoline_kernelINS0_13select_configILj256ELj13ELNS0_17block_load_methodE3ELS4_3ELS4_3ELNS0_20block_scan_algorithmE0ELj4294967295EEENS1_25partition_config_selectorILNS1_17partition_subalgoE4EjNS0_10empty_typeEbEEZZNS1_14partition_implILS8_4ELb0ES6_15HIP_vector_typeIjLj2EENS0_17counting_iteratorIjlEEPS9_SG_NS0_5tupleIJPjSI_NS0_16reverse_iteratorISI_EEEEENSH_IJSG_SG_SG_EEES9_SI_JZNS1_25segmented_radix_sort_implINS0_14default_configELb0EPKhPhPKlPlN2at6native12_GLOBAL__N_18offset_tEEE10hipError_tPvRmT1_PNSt15iterator_traitsIS12_E10value_typeET2_T3_PNS13_IS18_E10value_typeET4_jRbjT5_S1E_jjP12ihipStream_tbEUljE_ZNSN_ISO_Lb0ESQ_SR_ST_SU_SY_EESZ_S10_S11_S12_S16_S17_S18_S1B_S1C_jS1D_jS1E_S1E_jjS1G_bEUljE0_EEESZ_S10_S11_S18_S1C_S1E_T6_T7_T9_mT8_S1G_bDpT10_ENKUlT_T0_E_clISt17integral_constantIbLb1EES1U_EEDaS1P_S1Q_EUlS1P_E_NS1_11comp_targetILNS1_3genE3ELNS1_11target_archE908ELNS1_3gpuE7ELNS1_3repE0EEENS1_30default_config_static_selectorELNS0_4arch9wavefront6targetE0EEEvS12_.has_dyn_sized_stack, 0
	.set _ZN7rocprim17ROCPRIM_400000_NS6detail17trampoline_kernelINS0_13select_configILj256ELj13ELNS0_17block_load_methodE3ELS4_3ELS4_3ELNS0_20block_scan_algorithmE0ELj4294967295EEENS1_25partition_config_selectorILNS1_17partition_subalgoE4EjNS0_10empty_typeEbEEZZNS1_14partition_implILS8_4ELb0ES6_15HIP_vector_typeIjLj2EENS0_17counting_iteratorIjlEEPS9_SG_NS0_5tupleIJPjSI_NS0_16reverse_iteratorISI_EEEEENSH_IJSG_SG_SG_EEES9_SI_JZNS1_25segmented_radix_sort_implINS0_14default_configELb0EPKhPhPKlPlN2at6native12_GLOBAL__N_18offset_tEEE10hipError_tPvRmT1_PNSt15iterator_traitsIS12_E10value_typeET2_T3_PNS13_IS18_E10value_typeET4_jRbjT5_S1E_jjP12ihipStream_tbEUljE_ZNSN_ISO_Lb0ESQ_SR_ST_SU_SY_EESZ_S10_S11_S12_S16_S17_S18_S1B_S1C_jS1D_jS1E_S1E_jjS1G_bEUljE0_EEESZ_S10_S11_S18_S1C_S1E_T6_T7_T9_mT8_S1G_bDpT10_ENKUlT_T0_E_clISt17integral_constantIbLb1EES1U_EEDaS1P_S1Q_EUlS1P_E_NS1_11comp_targetILNS1_3genE3ELNS1_11target_archE908ELNS1_3gpuE7ELNS1_3repE0EEENS1_30default_config_static_selectorELNS0_4arch9wavefront6targetE0EEEvS12_.has_recursion, 0
	.set _ZN7rocprim17ROCPRIM_400000_NS6detail17trampoline_kernelINS0_13select_configILj256ELj13ELNS0_17block_load_methodE3ELS4_3ELS4_3ELNS0_20block_scan_algorithmE0ELj4294967295EEENS1_25partition_config_selectorILNS1_17partition_subalgoE4EjNS0_10empty_typeEbEEZZNS1_14partition_implILS8_4ELb0ES6_15HIP_vector_typeIjLj2EENS0_17counting_iteratorIjlEEPS9_SG_NS0_5tupleIJPjSI_NS0_16reverse_iteratorISI_EEEEENSH_IJSG_SG_SG_EEES9_SI_JZNS1_25segmented_radix_sort_implINS0_14default_configELb0EPKhPhPKlPlN2at6native12_GLOBAL__N_18offset_tEEE10hipError_tPvRmT1_PNSt15iterator_traitsIS12_E10value_typeET2_T3_PNS13_IS18_E10value_typeET4_jRbjT5_S1E_jjP12ihipStream_tbEUljE_ZNSN_ISO_Lb0ESQ_SR_ST_SU_SY_EESZ_S10_S11_S12_S16_S17_S18_S1B_S1C_jS1D_jS1E_S1E_jjS1G_bEUljE0_EEESZ_S10_S11_S18_S1C_S1E_T6_T7_T9_mT8_S1G_bDpT10_ENKUlT_T0_E_clISt17integral_constantIbLb1EES1U_EEDaS1P_S1Q_EUlS1P_E_NS1_11comp_targetILNS1_3genE3ELNS1_11target_archE908ELNS1_3gpuE7ELNS1_3repE0EEENS1_30default_config_static_selectorELNS0_4arch9wavefront6targetE0EEEvS12_.has_indirect_call, 0
	.section	.AMDGPU.csdata,"",@progbits
; Kernel info:
; codeLenInByte = 0
; TotalNumSgprs: 0
; NumVgprs: 0
; ScratchSize: 0
; MemoryBound: 0
; FloatMode: 240
; IeeeMode: 1
; LDSByteSize: 0 bytes/workgroup (compile time only)
; SGPRBlocks: 0
; VGPRBlocks: 0
; NumSGPRsForWavesPerEU: 1
; NumVGPRsForWavesPerEU: 1
; Occupancy: 16
; WaveLimiterHint : 0
; COMPUTE_PGM_RSRC2:SCRATCH_EN: 0
; COMPUTE_PGM_RSRC2:USER_SGPR: 6
; COMPUTE_PGM_RSRC2:TRAP_HANDLER: 0
; COMPUTE_PGM_RSRC2:TGID_X_EN: 1
; COMPUTE_PGM_RSRC2:TGID_Y_EN: 0
; COMPUTE_PGM_RSRC2:TGID_Z_EN: 0
; COMPUTE_PGM_RSRC2:TIDIG_COMP_CNT: 0
	.section	.text._ZN7rocprim17ROCPRIM_400000_NS6detail17trampoline_kernelINS0_13select_configILj256ELj13ELNS0_17block_load_methodE3ELS4_3ELS4_3ELNS0_20block_scan_algorithmE0ELj4294967295EEENS1_25partition_config_selectorILNS1_17partition_subalgoE4EjNS0_10empty_typeEbEEZZNS1_14partition_implILS8_4ELb0ES6_15HIP_vector_typeIjLj2EENS0_17counting_iteratorIjlEEPS9_SG_NS0_5tupleIJPjSI_NS0_16reverse_iteratorISI_EEEEENSH_IJSG_SG_SG_EEES9_SI_JZNS1_25segmented_radix_sort_implINS0_14default_configELb0EPKhPhPKlPlN2at6native12_GLOBAL__N_18offset_tEEE10hipError_tPvRmT1_PNSt15iterator_traitsIS12_E10value_typeET2_T3_PNS13_IS18_E10value_typeET4_jRbjT5_S1E_jjP12ihipStream_tbEUljE_ZNSN_ISO_Lb0ESQ_SR_ST_SU_SY_EESZ_S10_S11_S12_S16_S17_S18_S1B_S1C_jS1D_jS1E_S1E_jjS1G_bEUljE0_EEESZ_S10_S11_S18_S1C_S1E_T6_T7_T9_mT8_S1G_bDpT10_ENKUlT_T0_E_clISt17integral_constantIbLb1EES1U_EEDaS1P_S1Q_EUlS1P_E_NS1_11comp_targetILNS1_3genE2ELNS1_11target_archE906ELNS1_3gpuE6ELNS1_3repE0EEENS1_30default_config_static_selectorELNS0_4arch9wavefront6targetE0EEEvS12_,"axG",@progbits,_ZN7rocprim17ROCPRIM_400000_NS6detail17trampoline_kernelINS0_13select_configILj256ELj13ELNS0_17block_load_methodE3ELS4_3ELS4_3ELNS0_20block_scan_algorithmE0ELj4294967295EEENS1_25partition_config_selectorILNS1_17partition_subalgoE4EjNS0_10empty_typeEbEEZZNS1_14partition_implILS8_4ELb0ES6_15HIP_vector_typeIjLj2EENS0_17counting_iteratorIjlEEPS9_SG_NS0_5tupleIJPjSI_NS0_16reverse_iteratorISI_EEEEENSH_IJSG_SG_SG_EEES9_SI_JZNS1_25segmented_radix_sort_implINS0_14default_configELb0EPKhPhPKlPlN2at6native12_GLOBAL__N_18offset_tEEE10hipError_tPvRmT1_PNSt15iterator_traitsIS12_E10value_typeET2_T3_PNS13_IS18_E10value_typeET4_jRbjT5_S1E_jjP12ihipStream_tbEUljE_ZNSN_ISO_Lb0ESQ_SR_ST_SU_SY_EESZ_S10_S11_S12_S16_S17_S18_S1B_S1C_jS1D_jS1E_S1E_jjS1G_bEUljE0_EEESZ_S10_S11_S18_S1C_S1E_T6_T7_T9_mT8_S1G_bDpT10_ENKUlT_T0_E_clISt17integral_constantIbLb1EES1U_EEDaS1P_S1Q_EUlS1P_E_NS1_11comp_targetILNS1_3genE2ELNS1_11target_archE906ELNS1_3gpuE6ELNS1_3repE0EEENS1_30default_config_static_selectorELNS0_4arch9wavefront6targetE0EEEvS12_,comdat
	.globl	_ZN7rocprim17ROCPRIM_400000_NS6detail17trampoline_kernelINS0_13select_configILj256ELj13ELNS0_17block_load_methodE3ELS4_3ELS4_3ELNS0_20block_scan_algorithmE0ELj4294967295EEENS1_25partition_config_selectorILNS1_17partition_subalgoE4EjNS0_10empty_typeEbEEZZNS1_14partition_implILS8_4ELb0ES6_15HIP_vector_typeIjLj2EENS0_17counting_iteratorIjlEEPS9_SG_NS0_5tupleIJPjSI_NS0_16reverse_iteratorISI_EEEEENSH_IJSG_SG_SG_EEES9_SI_JZNS1_25segmented_radix_sort_implINS0_14default_configELb0EPKhPhPKlPlN2at6native12_GLOBAL__N_18offset_tEEE10hipError_tPvRmT1_PNSt15iterator_traitsIS12_E10value_typeET2_T3_PNS13_IS18_E10value_typeET4_jRbjT5_S1E_jjP12ihipStream_tbEUljE_ZNSN_ISO_Lb0ESQ_SR_ST_SU_SY_EESZ_S10_S11_S12_S16_S17_S18_S1B_S1C_jS1D_jS1E_S1E_jjS1G_bEUljE0_EEESZ_S10_S11_S18_S1C_S1E_T6_T7_T9_mT8_S1G_bDpT10_ENKUlT_T0_E_clISt17integral_constantIbLb1EES1U_EEDaS1P_S1Q_EUlS1P_E_NS1_11comp_targetILNS1_3genE2ELNS1_11target_archE906ELNS1_3gpuE6ELNS1_3repE0EEENS1_30default_config_static_selectorELNS0_4arch9wavefront6targetE0EEEvS12_ ; -- Begin function _ZN7rocprim17ROCPRIM_400000_NS6detail17trampoline_kernelINS0_13select_configILj256ELj13ELNS0_17block_load_methodE3ELS4_3ELS4_3ELNS0_20block_scan_algorithmE0ELj4294967295EEENS1_25partition_config_selectorILNS1_17partition_subalgoE4EjNS0_10empty_typeEbEEZZNS1_14partition_implILS8_4ELb0ES6_15HIP_vector_typeIjLj2EENS0_17counting_iteratorIjlEEPS9_SG_NS0_5tupleIJPjSI_NS0_16reverse_iteratorISI_EEEEENSH_IJSG_SG_SG_EEES9_SI_JZNS1_25segmented_radix_sort_implINS0_14default_configELb0EPKhPhPKlPlN2at6native12_GLOBAL__N_18offset_tEEE10hipError_tPvRmT1_PNSt15iterator_traitsIS12_E10value_typeET2_T3_PNS13_IS18_E10value_typeET4_jRbjT5_S1E_jjP12ihipStream_tbEUljE_ZNSN_ISO_Lb0ESQ_SR_ST_SU_SY_EESZ_S10_S11_S12_S16_S17_S18_S1B_S1C_jS1D_jS1E_S1E_jjS1G_bEUljE0_EEESZ_S10_S11_S18_S1C_S1E_T6_T7_T9_mT8_S1G_bDpT10_ENKUlT_T0_E_clISt17integral_constantIbLb1EES1U_EEDaS1P_S1Q_EUlS1P_E_NS1_11comp_targetILNS1_3genE2ELNS1_11target_archE906ELNS1_3gpuE6ELNS1_3repE0EEENS1_30default_config_static_selectorELNS0_4arch9wavefront6targetE0EEEvS12_
	.p2align	8
	.type	_ZN7rocprim17ROCPRIM_400000_NS6detail17trampoline_kernelINS0_13select_configILj256ELj13ELNS0_17block_load_methodE3ELS4_3ELS4_3ELNS0_20block_scan_algorithmE0ELj4294967295EEENS1_25partition_config_selectorILNS1_17partition_subalgoE4EjNS0_10empty_typeEbEEZZNS1_14partition_implILS8_4ELb0ES6_15HIP_vector_typeIjLj2EENS0_17counting_iteratorIjlEEPS9_SG_NS0_5tupleIJPjSI_NS0_16reverse_iteratorISI_EEEEENSH_IJSG_SG_SG_EEES9_SI_JZNS1_25segmented_radix_sort_implINS0_14default_configELb0EPKhPhPKlPlN2at6native12_GLOBAL__N_18offset_tEEE10hipError_tPvRmT1_PNSt15iterator_traitsIS12_E10value_typeET2_T3_PNS13_IS18_E10value_typeET4_jRbjT5_S1E_jjP12ihipStream_tbEUljE_ZNSN_ISO_Lb0ESQ_SR_ST_SU_SY_EESZ_S10_S11_S12_S16_S17_S18_S1B_S1C_jS1D_jS1E_S1E_jjS1G_bEUljE0_EEESZ_S10_S11_S18_S1C_S1E_T6_T7_T9_mT8_S1G_bDpT10_ENKUlT_T0_E_clISt17integral_constantIbLb1EES1U_EEDaS1P_S1Q_EUlS1P_E_NS1_11comp_targetILNS1_3genE2ELNS1_11target_archE906ELNS1_3gpuE6ELNS1_3repE0EEENS1_30default_config_static_selectorELNS0_4arch9wavefront6targetE0EEEvS12_,@function
_ZN7rocprim17ROCPRIM_400000_NS6detail17trampoline_kernelINS0_13select_configILj256ELj13ELNS0_17block_load_methodE3ELS4_3ELS4_3ELNS0_20block_scan_algorithmE0ELj4294967295EEENS1_25partition_config_selectorILNS1_17partition_subalgoE4EjNS0_10empty_typeEbEEZZNS1_14partition_implILS8_4ELb0ES6_15HIP_vector_typeIjLj2EENS0_17counting_iteratorIjlEEPS9_SG_NS0_5tupleIJPjSI_NS0_16reverse_iteratorISI_EEEEENSH_IJSG_SG_SG_EEES9_SI_JZNS1_25segmented_radix_sort_implINS0_14default_configELb0EPKhPhPKlPlN2at6native12_GLOBAL__N_18offset_tEEE10hipError_tPvRmT1_PNSt15iterator_traitsIS12_E10value_typeET2_T3_PNS13_IS18_E10value_typeET4_jRbjT5_S1E_jjP12ihipStream_tbEUljE_ZNSN_ISO_Lb0ESQ_SR_ST_SU_SY_EESZ_S10_S11_S12_S16_S17_S18_S1B_S1C_jS1D_jS1E_S1E_jjS1G_bEUljE0_EEESZ_S10_S11_S18_S1C_S1E_T6_T7_T9_mT8_S1G_bDpT10_ENKUlT_T0_E_clISt17integral_constantIbLb1EES1U_EEDaS1P_S1Q_EUlS1P_E_NS1_11comp_targetILNS1_3genE2ELNS1_11target_archE906ELNS1_3gpuE6ELNS1_3repE0EEENS1_30default_config_static_selectorELNS0_4arch9wavefront6targetE0EEEvS12_: ; @_ZN7rocprim17ROCPRIM_400000_NS6detail17trampoline_kernelINS0_13select_configILj256ELj13ELNS0_17block_load_methodE3ELS4_3ELS4_3ELNS0_20block_scan_algorithmE0ELj4294967295EEENS1_25partition_config_selectorILNS1_17partition_subalgoE4EjNS0_10empty_typeEbEEZZNS1_14partition_implILS8_4ELb0ES6_15HIP_vector_typeIjLj2EENS0_17counting_iteratorIjlEEPS9_SG_NS0_5tupleIJPjSI_NS0_16reverse_iteratorISI_EEEEENSH_IJSG_SG_SG_EEES9_SI_JZNS1_25segmented_radix_sort_implINS0_14default_configELb0EPKhPhPKlPlN2at6native12_GLOBAL__N_18offset_tEEE10hipError_tPvRmT1_PNSt15iterator_traitsIS12_E10value_typeET2_T3_PNS13_IS18_E10value_typeET4_jRbjT5_S1E_jjP12ihipStream_tbEUljE_ZNSN_ISO_Lb0ESQ_SR_ST_SU_SY_EESZ_S10_S11_S12_S16_S17_S18_S1B_S1C_jS1D_jS1E_S1E_jjS1G_bEUljE0_EEESZ_S10_S11_S18_S1C_S1E_T6_T7_T9_mT8_S1G_bDpT10_ENKUlT_T0_E_clISt17integral_constantIbLb1EES1U_EEDaS1P_S1Q_EUlS1P_E_NS1_11comp_targetILNS1_3genE2ELNS1_11target_archE906ELNS1_3gpuE6ELNS1_3repE0EEENS1_30default_config_static_selectorELNS0_4arch9wavefront6targetE0EEEvS12_
; %bb.0:
	.section	.rodata,"a",@progbits
	.p2align	6, 0x0
	.amdhsa_kernel _ZN7rocprim17ROCPRIM_400000_NS6detail17trampoline_kernelINS0_13select_configILj256ELj13ELNS0_17block_load_methodE3ELS4_3ELS4_3ELNS0_20block_scan_algorithmE0ELj4294967295EEENS1_25partition_config_selectorILNS1_17partition_subalgoE4EjNS0_10empty_typeEbEEZZNS1_14partition_implILS8_4ELb0ES6_15HIP_vector_typeIjLj2EENS0_17counting_iteratorIjlEEPS9_SG_NS0_5tupleIJPjSI_NS0_16reverse_iteratorISI_EEEEENSH_IJSG_SG_SG_EEES9_SI_JZNS1_25segmented_radix_sort_implINS0_14default_configELb0EPKhPhPKlPlN2at6native12_GLOBAL__N_18offset_tEEE10hipError_tPvRmT1_PNSt15iterator_traitsIS12_E10value_typeET2_T3_PNS13_IS18_E10value_typeET4_jRbjT5_S1E_jjP12ihipStream_tbEUljE_ZNSN_ISO_Lb0ESQ_SR_ST_SU_SY_EESZ_S10_S11_S12_S16_S17_S18_S1B_S1C_jS1D_jS1E_S1E_jjS1G_bEUljE0_EEESZ_S10_S11_S18_S1C_S1E_T6_T7_T9_mT8_S1G_bDpT10_ENKUlT_T0_E_clISt17integral_constantIbLb1EES1U_EEDaS1P_S1Q_EUlS1P_E_NS1_11comp_targetILNS1_3genE2ELNS1_11target_archE906ELNS1_3gpuE6ELNS1_3repE0EEENS1_30default_config_static_selectorELNS0_4arch9wavefront6targetE0EEEvS12_
		.amdhsa_group_segment_fixed_size 0
		.amdhsa_private_segment_fixed_size 0
		.amdhsa_kernarg_size 184
		.amdhsa_user_sgpr_count 6
		.amdhsa_user_sgpr_private_segment_buffer 1
		.amdhsa_user_sgpr_dispatch_ptr 0
		.amdhsa_user_sgpr_queue_ptr 0
		.amdhsa_user_sgpr_kernarg_segment_ptr 1
		.amdhsa_user_sgpr_dispatch_id 0
		.amdhsa_user_sgpr_flat_scratch_init 0
		.amdhsa_user_sgpr_private_segment_size 0
		.amdhsa_wavefront_size32 1
		.amdhsa_uses_dynamic_stack 0
		.amdhsa_system_sgpr_private_segment_wavefront_offset 0
		.amdhsa_system_sgpr_workgroup_id_x 1
		.amdhsa_system_sgpr_workgroup_id_y 0
		.amdhsa_system_sgpr_workgroup_id_z 0
		.amdhsa_system_sgpr_workgroup_info 0
		.amdhsa_system_vgpr_workitem_id 0
		.amdhsa_next_free_vgpr 1
		.amdhsa_next_free_sgpr 1
		.amdhsa_reserve_vcc 0
		.amdhsa_reserve_flat_scratch 0
		.amdhsa_float_round_mode_32 0
		.amdhsa_float_round_mode_16_64 0
		.amdhsa_float_denorm_mode_32 3
		.amdhsa_float_denorm_mode_16_64 3
		.amdhsa_dx10_clamp 1
		.amdhsa_ieee_mode 1
		.amdhsa_fp16_overflow 0
		.amdhsa_workgroup_processor_mode 1
		.amdhsa_memory_ordered 1
		.amdhsa_forward_progress 1
		.amdhsa_shared_vgpr_count 0
		.amdhsa_exception_fp_ieee_invalid_op 0
		.amdhsa_exception_fp_denorm_src 0
		.amdhsa_exception_fp_ieee_div_zero 0
		.amdhsa_exception_fp_ieee_overflow 0
		.amdhsa_exception_fp_ieee_underflow 0
		.amdhsa_exception_fp_ieee_inexact 0
		.amdhsa_exception_int_div_zero 0
	.end_amdhsa_kernel
	.section	.text._ZN7rocprim17ROCPRIM_400000_NS6detail17trampoline_kernelINS0_13select_configILj256ELj13ELNS0_17block_load_methodE3ELS4_3ELS4_3ELNS0_20block_scan_algorithmE0ELj4294967295EEENS1_25partition_config_selectorILNS1_17partition_subalgoE4EjNS0_10empty_typeEbEEZZNS1_14partition_implILS8_4ELb0ES6_15HIP_vector_typeIjLj2EENS0_17counting_iteratorIjlEEPS9_SG_NS0_5tupleIJPjSI_NS0_16reverse_iteratorISI_EEEEENSH_IJSG_SG_SG_EEES9_SI_JZNS1_25segmented_radix_sort_implINS0_14default_configELb0EPKhPhPKlPlN2at6native12_GLOBAL__N_18offset_tEEE10hipError_tPvRmT1_PNSt15iterator_traitsIS12_E10value_typeET2_T3_PNS13_IS18_E10value_typeET4_jRbjT5_S1E_jjP12ihipStream_tbEUljE_ZNSN_ISO_Lb0ESQ_SR_ST_SU_SY_EESZ_S10_S11_S12_S16_S17_S18_S1B_S1C_jS1D_jS1E_S1E_jjS1G_bEUljE0_EEESZ_S10_S11_S18_S1C_S1E_T6_T7_T9_mT8_S1G_bDpT10_ENKUlT_T0_E_clISt17integral_constantIbLb1EES1U_EEDaS1P_S1Q_EUlS1P_E_NS1_11comp_targetILNS1_3genE2ELNS1_11target_archE906ELNS1_3gpuE6ELNS1_3repE0EEENS1_30default_config_static_selectorELNS0_4arch9wavefront6targetE0EEEvS12_,"axG",@progbits,_ZN7rocprim17ROCPRIM_400000_NS6detail17trampoline_kernelINS0_13select_configILj256ELj13ELNS0_17block_load_methodE3ELS4_3ELS4_3ELNS0_20block_scan_algorithmE0ELj4294967295EEENS1_25partition_config_selectorILNS1_17partition_subalgoE4EjNS0_10empty_typeEbEEZZNS1_14partition_implILS8_4ELb0ES6_15HIP_vector_typeIjLj2EENS0_17counting_iteratorIjlEEPS9_SG_NS0_5tupleIJPjSI_NS0_16reverse_iteratorISI_EEEEENSH_IJSG_SG_SG_EEES9_SI_JZNS1_25segmented_radix_sort_implINS0_14default_configELb0EPKhPhPKlPlN2at6native12_GLOBAL__N_18offset_tEEE10hipError_tPvRmT1_PNSt15iterator_traitsIS12_E10value_typeET2_T3_PNS13_IS18_E10value_typeET4_jRbjT5_S1E_jjP12ihipStream_tbEUljE_ZNSN_ISO_Lb0ESQ_SR_ST_SU_SY_EESZ_S10_S11_S12_S16_S17_S18_S1B_S1C_jS1D_jS1E_S1E_jjS1G_bEUljE0_EEESZ_S10_S11_S18_S1C_S1E_T6_T7_T9_mT8_S1G_bDpT10_ENKUlT_T0_E_clISt17integral_constantIbLb1EES1U_EEDaS1P_S1Q_EUlS1P_E_NS1_11comp_targetILNS1_3genE2ELNS1_11target_archE906ELNS1_3gpuE6ELNS1_3repE0EEENS1_30default_config_static_selectorELNS0_4arch9wavefront6targetE0EEEvS12_,comdat
.Lfunc_end133:
	.size	_ZN7rocprim17ROCPRIM_400000_NS6detail17trampoline_kernelINS0_13select_configILj256ELj13ELNS0_17block_load_methodE3ELS4_3ELS4_3ELNS0_20block_scan_algorithmE0ELj4294967295EEENS1_25partition_config_selectorILNS1_17partition_subalgoE4EjNS0_10empty_typeEbEEZZNS1_14partition_implILS8_4ELb0ES6_15HIP_vector_typeIjLj2EENS0_17counting_iteratorIjlEEPS9_SG_NS0_5tupleIJPjSI_NS0_16reverse_iteratorISI_EEEEENSH_IJSG_SG_SG_EEES9_SI_JZNS1_25segmented_radix_sort_implINS0_14default_configELb0EPKhPhPKlPlN2at6native12_GLOBAL__N_18offset_tEEE10hipError_tPvRmT1_PNSt15iterator_traitsIS12_E10value_typeET2_T3_PNS13_IS18_E10value_typeET4_jRbjT5_S1E_jjP12ihipStream_tbEUljE_ZNSN_ISO_Lb0ESQ_SR_ST_SU_SY_EESZ_S10_S11_S12_S16_S17_S18_S1B_S1C_jS1D_jS1E_S1E_jjS1G_bEUljE0_EEESZ_S10_S11_S18_S1C_S1E_T6_T7_T9_mT8_S1G_bDpT10_ENKUlT_T0_E_clISt17integral_constantIbLb1EES1U_EEDaS1P_S1Q_EUlS1P_E_NS1_11comp_targetILNS1_3genE2ELNS1_11target_archE906ELNS1_3gpuE6ELNS1_3repE0EEENS1_30default_config_static_selectorELNS0_4arch9wavefront6targetE0EEEvS12_, .Lfunc_end133-_ZN7rocprim17ROCPRIM_400000_NS6detail17trampoline_kernelINS0_13select_configILj256ELj13ELNS0_17block_load_methodE3ELS4_3ELS4_3ELNS0_20block_scan_algorithmE0ELj4294967295EEENS1_25partition_config_selectorILNS1_17partition_subalgoE4EjNS0_10empty_typeEbEEZZNS1_14partition_implILS8_4ELb0ES6_15HIP_vector_typeIjLj2EENS0_17counting_iteratorIjlEEPS9_SG_NS0_5tupleIJPjSI_NS0_16reverse_iteratorISI_EEEEENSH_IJSG_SG_SG_EEES9_SI_JZNS1_25segmented_radix_sort_implINS0_14default_configELb0EPKhPhPKlPlN2at6native12_GLOBAL__N_18offset_tEEE10hipError_tPvRmT1_PNSt15iterator_traitsIS12_E10value_typeET2_T3_PNS13_IS18_E10value_typeET4_jRbjT5_S1E_jjP12ihipStream_tbEUljE_ZNSN_ISO_Lb0ESQ_SR_ST_SU_SY_EESZ_S10_S11_S12_S16_S17_S18_S1B_S1C_jS1D_jS1E_S1E_jjS1G_bEUljE0_EEESZ_S10_S11_S18_S1C_S1E_T6_T7_T9_mT8_S1G_bDpT10_ENKUlT_T0_E_clISt17integral_constantIbLb1EES1U_EEDaS1P_S1Q_EUlS1P_E_NS1_11comp_targetILNS1_3genE2ELNS1_11target_archE906ELNS1_3gpuE6ELNS1_3repE0EEENS1_30default_config_static_selectorELNS0_4arch9wavefront6targetE0EEEvS12_
                                        ; -- End function
	.set _ZN7rocprim17ROCPRIM_400000_NS6detail17trampoline_kernelINS0_13select_configILj256ELj13ELNS0_17block_load_methodE3ELS4_3ELS4_3ELNS0_20block_scan_algorithmE0ELj4294967295EEENS1_25partition_config_selectorILNS1_17partition_subalgoE4EjNS0_10empty_typeEbEEZZNS1_14partition_implILS8_4ELb0ES6_15HIP_vector_typeIjLj2EENS0_17counting_iteratorIjlEEPS9_SG_NS0_5tupleIJPjSI_NS0_16reverse_iteratorISI_EEEEENSH_IJSG_SG_SG_EEES9_SI_JZNS1_25segmented_radix_sort_implINS0_14default_configELb0EPKhPhPKlPlN2at6native12_GLOBAL__N_18offset_tEEE10hipError_tPvRmT1_PNSt15iterator_traitsIS12_E10value_typeET2_T3_PNS13_IS18_E10value_typeET4_jRbjT5_S1E_jjP12ihipStream_tbEUljE_ZNSN_ISO_Lb0ESQ_SR_ST_SU_SY_EESZ_S10_S11_S12_S16_S17_S18_S1B_S1C_jS1D_jS1E_S1E_jjS1G_bEUljE0_EEESZ_S10_S11_S18_S1C_S1E_T6_T7_T9_mT8_S1G_bDpT10_ENKUlT_T0_E_clISt17integral_constantIbLb1EES1U_EEDaS1P_S1Q_EUlS1P_E_NS1_11comp_targetILNS1_3genE2ELNS1_11target_archE906ELNS1_3gpuE6ELNS1_3repE0EEENS1_30default_config_static_selectorELNS0_4arch9wavefront6targetE0EEEvS12_.num_vgpr, 0
	.set _ZN7rocprim17ROCPRIM_400000_NS6detail17trampoline_kernelINS0_13select_configILj256ELj13ELNS0_17block_load_methodE3ELS4_3ELS4_3ELNS0_20block_scan_algorithmE0ELj4294967295EEENS1_25partition_config_selectorILNS1_17partition_subalgoE4EjNS0_10empty_typeEbEEZZNS1_14partition_implILS8_4ELb0ES6_15HIP_vector_typeIjLj2EENS0_17counting_iteratorIjlEEPS9_SG_NS0_5tupleIJPjSI_NS0_16reverse_iteratorISI_EEEEENSH_IJSG_SG_SG_EEES9_SI_JZNS1_25segmented_radix_sort_implINS0_14default_configELb0EPKhPhPKlPlN2at6native12_GLOBAL__N_18offset_tEEE10hipError_tPvRmT1_PNSt15iterator_traitsIS12_E10value_typeET2_T3_PNS13_IS18_E10value_typeET4_jRbjT5_S1E_jjP12ihipStream_tbEUljE_ZNSN_ISO_Lb0ESQ_SR_ST_SU_SY_EESZ_S10_S11_S12_S16_S17_S18_S1B_S1C_jS1D_jS1E_S1E_jjS1G_bEUljE0_EEESZ_S10_S11_S18_S1C_S1E_T6_T7_T9_mT8_S1G_bDpT10_ENKUlT_T0_E_clISt17integral_constantIbLb1EES1U_EEDaS1P_S1Q_EUlS1P_E_NS1_11comp_targetILNS1_3genE2ELNS1_11target_archE906ELNS1_3gpuE6ELNS1_3repE0EEENS1_30default_config_static_selectorELNS0_4arch9wavefront6targetE0EEEvS12_.num_agpr, 0
	.set _ZN7rocprim17ROCPRIM_400000_NS6detail17trampoline_kernelINS0_13select_configILj256ELj13ELNS0_17block_load_methodE3ELS4_3ELS4_3ELNS0_20block_scan_algorithmE0ELj4294967295EEENS1_25partition_config_selectorILNS1_17partition_subalgoE4EjNS0_10empty_typeEbEEZZNS1_14partition_implILS8_4ELb0ES6_15HIP_vector_typeIjLj2EENS0_17counting_iteratorIjlEEPS9_SG_NS0_5tupleIJPjSI_NS0_16reverse_iteratorISI_EEEEENSH_IJSG_SG_SG_EEES9_SI_JZNS1_25segmented_radix_sort_implINS0_14default_configELb0EPKhPhPKlPlN2at6native12_GLOBAL__N_18offset_tEEE10hipError_tPvRmT1_PNSt15iterator_traitsIS12_E10value_typeET2_T3_PNS13_IS18_E10value_typeET4_jRbjT5_S1E_jjP12ihipStream_tbEUljE_ZNSN_ISO_Lb0ESQ_SR_ST_SU_SY_EESZ_S10_S11_S12_S16_S17_S18_S1B_S1C_jS1D_jS1E_S1E_jjS1G_bEUljE0_EEESZ_S10_S11_S18_S1C_S1E_T6_T7_T9_mT8_S1G_bDpT10_ENKUlT_T0_E_clISt17integral_constantIbLb1EES1U_EEDaS1P_S1Q_EUlS1P_E_NS1_11comp_targetILNS1_3genE2ELNS1_11target_archE906ELNS1_3gpuE6ELNS1_3repE0EEENS1_30default_config_static_selectorELNS0_4arch9wavefront6targetE0EEEvS12_.numbered_sgpr, 0
	.set _ZN7rocprim17ROCPRIM_400000_NS6detail17trampoline_kernelINS0_13select_configILj256ELj13ELNS0_17block_load_methodE3ELS4_3ELS4_3ELNS0_20block_scan_algorithmE0ELj4294967295EEENS1_25partition_config_selectorILNS1_17partition_subalgoE4EjNS0_10empty_typeEbEEZZNS1_14partition_implILS8_4ELb0ES6_15HIP_vector_typeIjLj2EENS0_17counting_iteratorIjlEEPS9_SG_NS0_5tupleIJPjSI_NS0_16reverse_iteratorISI_EEEEENSH_IJSG_SG_SG_EEES9_SI_JZNS1_25segmented_radix_sort_implINS0_14default_configELb0EPKhPhPKlPlN2at6native12_GLOBAL__N_18offset_tEEE10hipError_tPvRmT1_PNSt15iterator_traitsIS12_E10value_typeET2_T3_PNS13_IS18_E10value_typeET4_jRbjT5_S1E_jjP12ihipStream_tbEUljE_ZNSN_ISO_Lb0ESQ_SR_ST_SU_SY_EESZ_S10_S11_S12_S16_S17_S18_S1B_S1C_jS1D_jS1E_S1E_jjS1G_bEUljE0_EEESZ_S10_S11_S18_S1C_S1E_T6_T7_T9_mT8_S1G_bDpT10_ENKUlT_T0_E_clISt17integral_constantIbLb1EES1U_EEDaS1P_S1Q_EUlS1P_E_NS1_11comp_targetILNS1_3genE2ELNS1_11target_archE906ELNS1_3gpuE6ELNS1_3repE0EEENS1_30default_config_static_selectorELNS0_4arch9wavefront6targetE0EEEvS12_.num_named_barrier, 0
	.set _ZN7rocprim17ROCPRIM_400000_NS6detail17trampoline_kernelINS0_13select_configILj256ELj13ELNS0_17block_load_methodE3ELS4_3ELS4_3ELNS0_20block_scan_algorithmE0ELj4294967295EEENS1_25partition_config_selectorILNS1_17partition_subalgoE4EjNS0_10empty_typeEbEEZZNS1_14partition_implILS8_4ELb0ES6_15HIP_vector_typeIjLj2EENS0_17counting_iteratorIjlEEPS9_SG_NS0_5tupleIJPjSI_NS0_16reverse_iteratorISI_EEEEENSH_IJSG_SG_SG_EEES9_SI_JZNS1_25segmented_radix_sort_implINS0_14default_configELb0EPKhPhPKlPlN2at6native12_GLOBAL__N_18offset_tEEE10hipError_tPvRmT1_PNSt15iterator_traitsIS12_E10value_typeET2_T3_PNS13_IS18_E10value_typeET4_jRbjT5_S1E_jjP12ihipStream_tbEUljE_ZNSN_ISO_Lb0ESQ_SR_ST_SU_SY_EESZ_S10_S11_S12_S16_S17_S18_S1B_S1C_jS1D_jS1E_S1E_jjS1G_bEUljE0_EEESZ_S10_S11_S18_S1C_S1E_T6_T7_T9_mT8_S1G_bDpT10_ENKUlT_T0_E_clISt17integral_constantIbLb1EES1U_EEDaS1P_S1Q_EUlS1P_E_NS1_11comp_targetILNS1_3genE2ELNS1_11target_archE906ELNS1_3gpuE6ELNS1_3repE0EEENS1_30default_config_static_selectorELNS0_4arch9wavefront6targetE0EEEvS12_.private_seg_size, 0
	.set _ZN7rocprim17ROCPRIM_400000_NS6detail17trampoline_kernelINS0_13select_configILj256ELj13ELNS0_17block_load_methodE3ELS4_3ELS4_3ELNS0_20block_scan_algorithmE0ELj4294967295EEENS1_25partition_config_selectorILNS1_17partition_subalgoE4EjNS0_10empty_typeEbEEZZNS1_14partition_implILS8_4ELb0ES6_15HIP_vector_typeIjLj2EENS0_17counting_iteratorIjlEEPS9_SG_NS0_5tupleIJPjSI_NS0_16reverse_iteratorISI_EEEEENSH_IJSG_SG_SG_EEES9_SI_JZNS1_25segmented_radix_sort_implINS0_14default_configELb0EPKhPhPKlPlN2at6native12_GLOBAL__N_18offset_tEEE10hipError_tPvRmT1_PNSt15iterator_traitsIS12_E10value_typeET2_T3_PNS13_IS18_E10value_typeET4_jRbjT5_S1E_jjP12ihipStream_tbEUljE_ZNSN_ISO_Lb0ESQ_SR_ST_SU_SY_EESZ_S10_S11_S12_S16_S17_S18_S1B_S1C_jS1D_jS1E_S1E_jjS1G_bEUljE0_EEESZ_S10_S11_S18_S1C_S1E_T6_T7_T9_mT8_S1G_bDpT10_ENKUlT_T0_E_clISt17integral_constantIbLb1EES1U_EEDaS1P_S1Q_EUlS1P_E_NS1_11comp_targetILNS1_3genE2ELNS1_11target_archE906ELNS1_3gpuE6ELNS1_3repE0EEENS1_30default_config_static_selectorELNS0_4arch9wavefront6targetE0EEEvS12_.uses_vcc, 0
	.set _ZN7rocprim17ROCPRIM_400000_NS6detail17trampoline_kernelINS0_13select_configILj256ELj13ELNS0_17block_load_methodE3ELS4_3ELS4_3ELNS0_20block_scan_algorithmE0ELj4294967295EEENS1_25partition_config_selectorILNS1_17partition_subalgoE4EjNS0_10empty_typeEbEEZZNS1_14partition_implILS8_4ELb0ES6_15HIP_vector_typeIjLj2EENS0_17counting_iteratorIjlEEPS9_SG_NS0_5tupleIJPjSI_NS0_16reverse_iteratorISI_EEEEENSH_IJSG_SG_SG_EEES9_SI_JZNS1_25segmented_radix_sort_implINS0_14default_configELb0EPKhPhPKlPlN2at6native12_GLOBAL__N_18offset_tEEE10hipError_tPvRmT1_PNSt15iterator_traitsIS12_E10value_typeET2_T3_PNS13_IS18_E10value_typeET4_jRbjT5_S1E_jjP12ihipStream_tbEUljE_ZNSN_ISO_Lb0ESQ_SR_ST_SU_SY_EESZ_S10_S11_S12_S16_S17_S18_S1B_S1C_jS1D_jS1E_S1E_jjS1G_bEUljE0_EEESZ_S10_S11_S18_S1C_S1E_T6_T7_T9_mT8_S1G_bDpT10_ENKUlT_T0_E_clISt17integral_constantIbLb1EES1U_EEDaS1P_S1Q_EUlS1P_E_NS1_11comp_targetILNS1_3genE2ELNS1_11target_archE906ELNS1_3gpuE6ELNS1_3repE0EEENS1_30default_config_static_selectorELNS0_4arch9wavefront6targetE0EEEvS12_.uses_flat_scratch, 0
	.set _ZN7rocprim17ROCPRIM_400000_NS6detail17trampoline_kernelINS0_13select_configILj256ELj13ELNS0_17block_load_methodE3ELS4_3ELS4_3ELNS0_20block_scan_algorithmE0ELj4294967295EEENS1_25partition_config_selectorILNS1_17partition_subalgoE4EjNS0_10empty_typeEbEEZZNS1_14partition_implILS8_4ELb0ES6_15HIP_vector_typeIjLj2EENS0_17counting_iteratorIjlEEPS9_SG_NS0_5tupleIJPjSI_NS0_16reverse_iteratorISI_EEEEENSH_IJSG_SG_SG_EEES9_SI_JZNS1_25segmented_radix_sort_implINS0_14default_configELb0EPKhPhPKlPlN2at6native12_GLOBAL__N_18offset_tEEE10hipError_tPvRmT1_PNSt15iterator_traitsIS12_E10value_typeET2_T3_PNS13_IS18_E10value_typeET4_jRbjT5_S1E_jjP12ihipStream_tbEUljE_ZNSN_ISO_Lb0ESQ_SR_ST_SU_SY_EESZ_S10_S11_S12_S16_S17_S18_S1B_S1C_jS1D_jS1E_S1E_jjS1G_bEUljE0_EEESZ_S10_S11_S18_S1C_S1E_T6_T7_T9_mT8_S1G_bDpT10_ENKUlT_T0_E_clISt17integral_constantIbLb1EES1U_EEDaS1P_S1Q_EUlS1P_E_NS1_11comp_targetILNS1_3genE2ELNS1_11target_archE906ELNS1_3gpuE6ELNS1_3repE0EEENS1_30default_config_static_selectorELNS0_4arch9wavefront6targetE0EEEvS12_.has_dyn_sized_stack, 0
	.set _ZN7rocprim17ROCPRIM_400000_NS6detail17trampoline_kernelINS0_13select_configILj256ELj13ELNS0_17block_load_methodE3ELS4_3ELS4_3ELNS0_20block_scan_algorithmE0ELj4294967295EEENS1_25partition_config_selectorILNS1_17partition_subalgoE4EjNS0_10empty_typeEbEEZZNS1_14partition_implILS8_4ELb0ES6_15HIP_vector_typeIjLj2EENS0_17counting_iteratorIjlEEPS9_SG_NS0_5tupleIJPjSI_NS0_16reverse_iteratorISI_EEEEENSH_IJSG_SG_SG_EEES9_SI_JZNS1_25segmented_radix_sort_implINS0_14default_configELb0EPKhPhPKlPlN2at6native12_GLOBAL__N_18offset_tEEE10hipError_tPvRmT1_PNSt15iterator_traitsIS12_E10value_typeET2_T3_PNS13_IS18_E10value_typeET4_jRbjT5_S1E_jjP12ihipStream_tbEUljE_ZNSN_ISO_Lb0ESQ_SR_ST_SU_SY_EESZ_S10_S11_S12_S16_S17_S18_S1B_S1C_jS1D_jS1E_S1E_jjS1G_bEUljE0_EEESZ_S10_S11_S18_S1C_S1E_T6_T7_T9_mT8_S1G_bDpT10_ENKUlT_T0_E_clISt17integral_constantIbLb1EES1U_EEDaS1P_S1Q_EUlS1P_E_NS1_11comp_targetILNS1_3genE2ELNS1_11target_archE906ELNS1_3gpuE6ELNS1_3repE0EEENS1_30default_config_static_selectorELNS0_4arch9wavefront6targetE0EEEvS12_.has_recursion, 0
	.set _ZN7rocprim17ROCPRIM_400000_NS6detail17trampoline_kernelINS0_13select_configILj256ELj13ELNS0_17block_load_methodE3ELS4_3ELS4_3ELNS0_20block_scan_algorithmE0ELj4294967295EEENS1_25partition_config_selectorILNS1_17partition_subalgoE4EjNS0_10empty_typeEbEEZZNS1_14partition_implILS8_4ELb0ES6_15HIP_vector_typeIjLj2EENS0_17counting_iteratorIjlEEPS9_SG_NS0_5tupleIJPjSI_NS0_16reverse_iteratorISI_EEEEENSH_IJSG_SG_SG_EEES9_SI_JZNS1_25segmented_radix_sort_implINS0_14default_configELb0EPKhPhPKlPlN2at6native12_GLOBAL__N_18offset_tEEE10hipError_tPvRmT1_PNSt15iterator_traitsIS12_E10value_typeET2_T3_PNS13_IS18_E10value_typeET4_jRbjT5_S1E_jjP12ihipStream_tbEUljE_ZNSN_ISO_Lb0ESQ_SR_ST_SU_SY_EESZ_S10_S11_S12_S16_S17_S18_S1B_S1C_jS1D_jS1E_S1E_jjS1G_bEUljE0_EEESZ_S10_S11_S18_S1C_S1E_T6_T7_T9_mT8_S1G_bDpT10_ENKUlT_T0_E_clISt17integral_constantIbLb1EES1U_EEDaS1P_S1Q_EUlS1P_E_NS1_11comp_targetILNS1_3genE2ELNS1_11target_archE906ELNS1_3gpuE6ELNS1_3repE0EEENS1_30default_config_static_selectorELNS0_4arch9wavefront6targetE0EEEvS12_.has_indirect_call, 0
	.section	.AMDGPU.csdata,"",@progbits
; Kernel info:
; codeLenInByte = 0
; TotalNumSgprs: 0
; NumVgprs: 0
; ScratchSize: 0
; MemoryBound: 0
; FloatMode: 240
; IeeeMode: 1
; LDSByteSize: 0 bytes/workgroup (compile time only)
; SGPRBlocks: 0
; VGPRBlocks: 0
; NumSGPRsForWavesPerEU: 1
; NumVGPRsForWavesPerEU: 1
; Occupancy: 16
; WaveLimiterHint : 0
; COMPUTE_PGM_RSRC2:SCRATCH_EN: 0
; COMPUTE_PGM_RSRC2:USER_SGPR: 6
; COMPUTE_PGM_RSRC2:TRAP_HANDLER: 0
; COMPUTE_PGM_RSRC2:TGID_X_EN: 1
; COMPUTE_PGM_RSRC2:TGID_Y_EN: 0
; COMPUTE_PGM_RSRC2:TGID_Z_EN: 0
; COMPUTE_PGM_RSRC2:TIDIG_COMP_CNT: 0
	.section	.text._ZN7rocprim17ROCPRIM_400000_NS6detail17trampoline_kernelINS0_13select_configILj256ELj13ELNS0_17block_load_methodE3ELS4_3ELS4_3ELNS0_20block_scan_algorithmE0ELj4294967295EEENS1_25partition_config_selectorILNS1_17partition_subalgoE4EjNS0_10empty_typeEbEEZZNS1_14partition_implILS8_4ELb0ES6_15HIP_vector_typeIjLj2EENS0_17counting_iteratorIjlEEPS9_SG_NS0_5tupleIJPjSI_NS0_16reverse_iteratorISI_EEEEENSH_IJSG_SG_SG_EEES9_SI_JZNS1_25segmented_radix_sort_implINS0_14default_configELb0EPKhPhPKlPlN2at6native12_GLOBAL__N_18offset_tEEE10hipError_tPvRmT1_PNSt15iterator_traitsIS12_E10value_typeET2_T3_PNS13_IS18_E10value_typeET4_jRbjT5_S1E_jjP12ihipStream_tbEUljE_ZNSN_ISO_Lb0ESQ_SR_ST_SU_SY_EESZ_S10_S11_S12_S16_S17_S18_S1B_S1C_jS1D_jS1E_S1E_jjS1G_bEUljE0_EEESZ_S10_S11_S18_S1C_S1E_T6_T7_T9_mT8_S1G_bDpT10_ENKUlT_T0_E_clISt17integral_constantIbLb1EES1U_EEDaS1P_S1Q_EUlS1P_E_NS1_11comp_targetILNS1_3genE10ELNS1_11target_archE1200ELNS1_3gpuE4ELNS1_3repE0EEENS1_30default_config_static_selectorELNS0_4arch9wavefront6targetE0EEEvS12_,"axG",@progbits,_ZN7rocprim17ROCPRIM_400000_NS6detail17trampoline_kernelINS0_13select_configILj256ELj13ELNS0_17block_load_methodE3ELS4_3ELS4_3ELNS0_20block_scan_algorithmE0ELj4294967295EEENS1_25partition_config_selectorILNS1_17partition_subalgoE4EjNS0_10empty_typeEbEEZZNS1_14partition_implILS8_4ELb0ES6_15HIP_vector_typeIjLj2EENS0_17counting_iteratorIjlEEPS9_SG_NS0_5tupleIJPjSI_NS0_16reverse_iteratorISI_EEEEENSH_IJSG_SG_SG_EEES9_SI_JZNS1_25segmented_radix_sort_implINS0_14default_configELb0EPKhPhPKlPlN2at6native12_GLOBAL__N_18offset_tEEE10hipError_tPvRmT1_PNSt15iterator_traitsIS12_E10value_typeET2_T3_PNS13_IS18_E10value_typeET4_jRbjT5_S1E_jjP12ihipStream_tbEUljE_ZNSN_ISO_Lb0ESQ_SR_ST_SU_SY_EESZ_S10_S11_S12_S16_S17_S18_S1B_S1C_jS1D_jS1E_S1E_jjS1G_bEUljE0_EEESZ_S10_S11_S18_S1C_S1E_T6_T7_T9_mT8_S1G_bDpT10_ENKUlT_T0_E_clISt17integral_constantIbLb1EES1U_EEDaS1P_S1Q_EUlS1P_E_NS1_11comp_targetILNS1_3genE10ELNS1_11target_archE1200ELNS1_3gpuE4ELNS1_3repE0EEENS1_30default_config_static_selectorELNS0_4arch9wavefront6targetE0EEEvS12_,comdat
	.globl	_ZN7rocprim17ROCPRIM_400000_NS6detail17trampoline_kernelINS0_13select_configILj256ELj13ELNS0_17block_load_methodE3ELS4_3ELS4_3ELNS0_20block_scan_algorithmE0ELj4294967295EEENS1_25partition_config_selectorILNS1_17partition_subalgoE4EjNS0_10empty_typeEbEEZZNS1_14partition_implILS8_4ELb0ES6_15HIP_vector_typeIjLj2EENS0_17counting_iteratorIjlEEPS9_SG_NS0_5tupleIJPjSI_NS0_16reverse_iteratorISI_EEEEENSH_IJSG_SG_SG_EEES9_SI_JZNS1_25segmented_radix_sort_implINS0_14default_configELb0EPKhPhPKlPlN2at6native12_GLOBAL__N_18offset_tEEE10hipError_tPvRmT1_PNSt15iterator_traitsIS12_E10value_typeET2_T3_PNS13_IS18_E10value_typeET4_jRbjT5_S1E_jjP12ihipStream_tbEUljE_ZNSN_ISO_Lb0ESQ_SR_ST_SU_SY_EESZ_S10_S11_S12_S16_S17_S18_S1B_S1C_jS1D_jS1E_S1E_jjS1G_bEUljE0_EEESZ_S10_S11_S18_S1C_S1E_T6_T7_T9_mT8_S1G_bDpT10_ENKUlT_T0_E_clISt17integral_constantIbLb1EES1U_EEDaS1P_S1Q_EUlS1P_E_NS1_11comp_targetILNS1_3genE10ELNS1_11target_archE1200ELNS1_3gpuE4ELNS1_3repE0EEENS1_30default_config_static_selectorELNS0_4arch9wavefront6targetE0EEEvS12_ ; -- Begin function _ZN7rocprim17ROCPRIM_400000_NS6detail17trampoline_kernelINS0_13select_configILj256ELj13ELNS0_17block_load_methodE3ELS4_3ELS4_3ELNS0_20block_scan_algorithmE0ELj4294967295EEENS1_25partition_config_selectorILNS1_17partition_subalgoE4EjNS0_10empty_typeEbEEZZNS1_14partition_implILS8_4ELb0ES6_15HIP_vector_typeIjLj2EENS0_17counting_iteratorIjlEEPS9_SG_NS0_5tupleIJPjSI_NS0_16reverse_iteratorISI_EEEEENSH_IJSG_SG_SG_EEES9_SI_JZNS1_25segmented_radix_sort_implINS0_14default_configELb0EPKhPhPKlPlN2at6native12_GLOBAL__N_18offset_tEEE10hipError_tPvRmT1_PNSt15iterator_traitsIS12_E10value_typeET2_T3_PNS13_IS18_E10value_typeET4_jRbjT5_S1E_jjP12ihipStream_tbEUljE_ZNSN_ISO_Lb0ESQ_SR_ST_SU_SY_EESZ_S10_S11_S12_S16_S17_S18_S1B_S1C_jS1D_jS1E_S1E_jjS1G_bEUljE0_EEESZ_S10_S11_S18_S1C_S1E_T6_T7_T9_mT8_S1G_bDpT10_ENKUlT_T0_E_clISt17integral_constantIbLb1EES1U_EEDaS1P_S1Q_EUlS1P_E_NS1_11comp_targetILNS1_3genE10ELNS1_11target_archE1200ELNS1_3gpuE4ELNS1_3repE0EEENS1_30default_config_static_selectorELNS0_4arch9wavefront6targetE0EEEvS12_
	.p2align	8
	.type	_ZN7rocprim17ROCPRIM_400000_NS6detail17trampoline_kernelINS0_13select_configILj256ELj13ELNS0_17block_load_methodE3ELS4_3ELS4_3ELNS0_20block_scan_algorithmE0ELj4294967295EEENS1_25partition_config_selectorILNS1_17partition_subalgoE4EjNS0_10empty_typeEbEEZZNS1_14partition_implILS8_4ELb0ES6_15HIP_vector_typeIjLj2EENS0_17counting_iteratorIjlEEPS9_SG_NS0_5tupleIJPjSI_NS0_16reverse_iteratorISI_EEEEENSH_IJSG_SG_SG_EEES9_SI_JZNS1_25segmented_radix_sort_implINS0_14default_configELb0EPKhPhPKlPlN2at6native12_GLOBAL__N_18offset_tEEE10hipError_tPvRmT1_PNSt15iterator_traitsIS12_E10value_typeET2_T3_PNS13_IS18_E10value_typeET4_jRbjT5_S1E_jjP12ihipStream_tbEUljE_ZNSN_ISO_Lb0ESQ_SR_ST_SU_SY_EESZ_S10_S11_S12_S16_S17_S18_S1B_S1C_jS1D_jS1E_S1E_jjS1G_bEUljE0_EEESZ_S10_S11_S18_S1C_S1E_T6_T7_T9_mT8_S1G_bDpT10_ENKUlT_T0_E_clISt17integral_constantIbLb1EES1U_EEDaS1P_S1Q_EUlS1P_E_NS1_11comp_targetILNS1_3genE10ELNS1_11target_archE1200ELNS1_3gpuE4ELNS1_3repE0EEENS1_30default_config_static_selectorELNS0_4arch9wavefront6targetE0EEEvS12_,@function
_ZN7rocprim17ROCPRIM_400000_NS6detail17trampoline_kernelINS0_13select_configILj256ELj13ELNS0_17block_load_methodE3ELS4_3ELS4_3ELNS0_20block_scan_algorithmE0ELj4294967295EEENS1_25partition_config_selectorILNS1_17partition_subalgoE4EjNS0_10empty_typeEbEEZZNS1_14partition_implILS8_4ELb0ES6_15HIP_vector_typeIjLj2EENS0_17counting_iteratorIjlEEPS9_SG_NS0_5tupleIJPjSI_NS0_16reverse_iteratorISI_EEEEENSH_IJSG_SG_SG_EEES9_SI_JZNS1_25segmented_radix_sort_implINS0_14default_configELb0EPKhPhPKlPlN2at6native12_GLOBAL__N_18offset_tEEE10hipError_tPvRmT1_PNSt15iterator_traitsIS12_E10value_typeET2_T3_PNS13_IS18_E10value_typeET4_jRbjT5_S1E_jjP12ihipStream_tbEUljE_ZNSN_ISO_Lb0ESQ_SR_ST_SU_SY_EESZ_S10_S11_S12_S16_S17_S18_S1B_S1C_jS1D_jS1E_S1E_jjS1G_bEUljE0_EEESZ_S10_S11_S18_S1C_S1E_T6_T7_T9_mT8_S1G_bDpT10_ENKUlT_T0_E_clISt17integral_constantIbLb1EES1U_EEDaS1P_S1Q_EUlS1P_E_NS1_11comp_targetILNS1_3genE10ELNS1_11target_archE1200ELNS1_3gpuE4ELNS1_3repE0EEENS1_30default_config_static_selectorELNS0_4arch9wavefront6targetE0EEEvS12_: ; @_ZN7rocprim17ROCPRIM_400000_NS6detail17trampoline_kernelINS0_13select_configILj256ELj13ELNS0_17block_load_methodE3ELS4_3ELS4_3ELNS0_20block_scan_algorithmE0ELj4294967295EEENS1_25partition_config_selectorILNS1_17partition_subalgoE4EjNS0_10empty_typeEbEEZZNS1_14partition_implILS8_4ELb0ES6_15HIP_vector_typeIjLj2EENS0_17counting_iteratorIjlEEPS9_SG_NS0_5tupleIJPjSI_NS0_16reverse_iteratorISI_EEEEENSH_IJSG_SG_SG_EEES9_SI_JZNS1_25segmented_radix_sort_implINS0_14default_configELb0EPKhPhPKlPlN2at6native12_GLOBAL__N_18offset_tEEE10hipError_tPvRmT1_PNSt15iterator_traitsIS12_E10value_typeET2_T3_PNS13_IS18_E10value_typeET4_jRbjT5_S1E_jjP12ihipStream_tbEUljE_ZNSN_ISO_Lb0ESQ_SR_ST_SU_SY_EESZ_S10_S11_S12_S16_S17_S18_S1B_S1C_jS1D_jS1E_S1E_jjS1G_bEUljE0_EEESZ_S10_S11_S18_S1C_S1E_T6_T7_T9_mT8_S1G_bDpT10_ENKUlT_T0_E_clISt17integral_constantIbLb1EES1U_EEDaS1P_S1Q_EUlS1P_E_NS1_11comp_targetILNS1_3genE10ELNS1_11target_archE1200ELNS1_3gpuE4ELNS1_3repE0EEENS1_30default_config_static_selectorELNS0_4arch9wavefront6targetE0EEEvS12_
; %bb.0:
	.section	.rodata,"a",@progbits
	.p2align	6, 0x0
	.amdhsa_kernel _ZN7rocprim17ROCPRIM_400000_NS6detail17trampoline_kernelINS0_13select_configILj256ELj13ELNS0_17block_load_methodE3ELS4_3ELS4_3ELNS0_20block_scan_algorithmE0ELj4294967295EEENS1_25partition_config_selectorILNS1_17partition_subalgoE4EjNS0_10empty_typeEbEEZZNS1_14partition_implILS8_4ELb0ES6_15HIP_vector_typeIjLj2EENS0_17counting_iteratorIjlEEPS9_SG_NS0_5tupleIJPjSI_NS0_16reverse_iteratorISI_EEEEENSH_IJSG_SG_SG_EEES9_SI_JZNS1_25segmented_radix_sort_implINS0_14default_configELb0EPKhPhPKlPlN2at6native12_GLOBAL__N_18offset_tEEE10hipError_tPvRmT1_PNSt15iterator_traitsIS12_E10value_typeET2_T3_PNS13_IS18_E10value_typeET4_jRbjT5_S1E_jjP12ihipStream_tbEUljE_ZNSN_ISO_Lb0ESQ_SR_ST_SU_SY_EESZ_S10_S11_S12_S16_S17_S18_S1B_S1C_jS1D_jS1E_S1E_jjS1G_bEUljE0_EEESZ_S10_S11_S18_S1C_S1E_T6_T7_T9_mT8_S1G_bDpT10_ENKUlT_T0_E_clISt17integral_constantIbLb1EES1U_EEDaS1P_S1Q_EUlS1P_E_NS1_11comp_targetILNS1_3genE10ELNS1_11target_archE1200ELNS1_3gpuE4ELNS1_3repE0EEENS1_30default_config_static_selectorELNS0_4arch9wavefront6targetE0EEEvS12_
		.amdhsa_group_segment_fixed_size 0
		.amdhsa_private_segment_fixed_size 0
		.amdhsa_kernarg_size 184
		.amdhsa_user_sgpr_count 6
		.amdhsa_user_sgpr_private_segment_buffer 1
		.amdhsa_user_sgpr_dispatch_ptr 0
		.amdhsa_user_sgpr_queue_ptr 0
		.amdhsa_user_sgpr_kernarg_segment_ptr 1
		.amdhsa_user_sgpr_dispatch_id 0
		.amdhsa_user_sgpr_flat_scratch_init 0
		.amdhsa_user_sgpr_private_segment_size 0
		.amdhsa_wavefront_size32 1
		.amdhsa_uses_dynamic_stack 0
		.amdhsa_system_sgpr_private_segment_wavefront_offset 0
		.amdhsa_system_sgpr_workgroup_id_x 1
		.amdhsa_system_sgpr_workgroup_id_y 0
		.amdhsa_system_sgpr_workgroup_id_z 0
		.amdhsa_system_sgpr_workgroup_info 0
		.amdhsa_system_vgpr_workitem_id 0
		.amdhsa_next_free_vgpr 1
		.amdhsa_next_free_sgpr 1
		.amdhsa_reserve_vcc 0
		.amdhsa_reserve_flat_scratch 0
		.amdhsa_float_round_mode_32 0
		.amdhsa_float_round_mode_16_64 0
		.amdhsa_float_denorm_mode_32 3
		.amdhsa_float_denorm_mode_16_64 3
		.amdhsa_dx10_clamp 1
		.amdhsa_ieee_mode 1
		.amdhsa_fp16_overflow 0
		.amdhsa_workgroup_processor_mode 1
		.amdhsa_memory_ordered 1
		.amdhsa_forward_progress 1
		.amdhsa_shared_vgpr_count 0
		.amdhsa_exception_fp_ieee_invalid_op 0
		.amdhsa_exception_fp_denorm_src 0
		.amdhsa_exception_fp_ieee_div_zero 0
		.amdhsa_exception_fp_ieee_overflow 0
		.amdhsa_exception_fp_ieee_underflow 0
		.amdhsa_exception_fp_ieee_inexact 0
		.amdhsa_exception_int_div_zero 0
	.end_amdhsa_kernel
	.section	.text._ZN7rocprim17ROCPRIM_400000_NS6detail17trampoline_kernelINS0_13select_configILj256ELj13ELNS0_17block_load_methodE3ELS4_3ELS4_3ELNS0_20block_scan_algorithmE0ELj4294967295EEENS1_25partition_config_selectorILNS1_17partition_subalgoE4EjNS0_10empty_typeEbEEZZNS1_14partition_implILS8_4ELb0ES6_15HIP_vector_typeIjLj2EENS0_17counting_iteratorIjlEEPS9_SG_NS0_5tupleIJPjSI_NS0_16reverse_iteratorISI_EEEEENSH_IJSG_SG_SG_EEES9_SI_JZNS1_25segmented_radix_sort_implINS0_14default_configELb0EPKhPhPKlPlN2at6native12_GLOBAL__N_18offset_tEEE10hipError_tPvRmT1_PNSt15iterator_traitsIS12_E10value_typeET2_T3_PNS13_IS18_E10value_typeET4_jRbjT5_S1E_jjP12ihipStream_tbEUljE_ZNSN_ISO_Lb0ESQ_SR_ST_SU_SY_EESZ_S10_S11_S12_S16_S17_S18_S1B_S1C_jS1D_jS1E_S1E_jjS1G_bEUljE0_EEESZ_S10_S11_S18_S1C_S1E_T6_T7_T9_mT8_S1G_bDpT10_ENKUlT_T0_E_clISt17integral_constantIbLb1EES1U_EEDaS1P_S1Q_EUlS1P_E_NS1_11comp_targetILNS1_3genE10ELNS1_11target_archE1200ELNS1_3gpuE4ELNS1_3repE0EEENS1_30default_config_static_selectorELNS0_4arch9wavefront6targetE0EEEvS12_,"axG",@progbits,_ZN7rocprim17ROCPRIM_400000_NS6detail17trampoline_kernelINS0_13select_configILj256ELj13ELNS0_17block_load_methodE3ELS4_3ELS4_3ELNS0_20block_scan_algorithmE0ELj4294967295EEENS1_25partition_config_selectorILNS1_17partition_subalgoE4EjNS0_10empty_typeEbEEZZNS1_14partition_implILS8_4ELb0ES6_15HIP_vector_typeIjLj2EENS0_17counting_iteratorIjlEEPS9_SG_NS0_5tupleIJPjSI_NS0_16reverse_iteratorISI_EEEEENSH_IJSG_SG_SG_EEES9_SI_JZNS1_25segmented_radix_sort_implINS0_14default_configELb0EPKhPhPKlPlN2at6native12_GLOBAL__N_18offset_tEEE10hipError_tPvRmT1_PNSt15iterator_traitsIS12_E10value_typeET2_T3_PNS13_IS18_E10value_typeET4_jRbjT5_S1E_jjP12ihipStream_tbEUljE_ZNSN_ISO_Lb0ESQ_SR_ST_SU_SY_EESZ_S10_S11_S12_S16_S17_S18_S1B_S1C_jS1D_jS1E_S1E_jjS1G_bEUljE0_EEESZ_S10_S11_S18_S1C_S1E_T6_T7_T9_mT8_S1G_bDpT10_ENKUlT_T0_E_clISt17integral_constantIbLb1EES1U_EEDaS1P_S1Q_EUlS1P_E_NS1_11comp_targetILNS1_3genE10ELNS1_11target_archE1200ELNS1_3gpuE4ELNS1_3repE0EEENS1_30default_config_static_selectorELNS0_4arch9wavefront6targetE0EEEvS12_,comdat
.Lfunc_end134:
	.size	_ZN7rocprim17ROCPRIM_400000_NS6detail17trampoline_kernelINS0_13select_configILj256ELj13ELNS0_17block_load_methodE3ELS4_3ELS4_3ELNS0_20block_scan_algorithmE0ELj4294967295EEENS1_25partition_config_selectorILNS1_17partition_subalgoE4EjNS0_10empty_typeEbEEZZNS1_14partition_implILS8_4ELb0ES6_15HIP_vector_typeIjLj2EENS0_17counting_iteratorIjlEEPS9_SG_NS0_5tupleIJPjSI_NS0_16reverse_iteratorISI_EEEEENSH_IJSG_SG_SG_EEES9_SI_JZNS1_25segmented_radix_sort_implINS0_14default_configELb0EPKhPhPKlPlN2at6native12_GLOBAL__N_18offset_tEEE10hipError_tPvRmT1_PNSt15iterator_traitsIS12_E10value_typeET2_T3_PNS13_IS18_E10value_typeET4_jRbjT5_S1E_jjP12ihipStream_tbEUljE_ZNSN_ISO_Lb0ESQ_SR_ST_SU_SY_EESZ_S10_S11_S12_S16_S17_S18_S1B_S1C_jS1D_jS1E_S1E_jjS1G_bEUljE0_EEESZ_S10_S11_S18_S1C_S1E_T6_T7_T9_mT8_S1G_bDpT10_ENKUlT_T0_E_clISt17integral_constantIbLb1EES1U_EEDaS1P_S1Q_EUlS1P_E_NS1_11comp_targetILNS1_3genE10ELNS1_11target_archE1200ELNS1_3gpuE4ELNS1_3repE0EEENS1_30default_config_static_selectorELNS0_4arch9wavefront6targetE0EEEvS12_, .Lfunc_end134-_ZN7rocprim17ROCPRIM_400000_NS6detail17trampoline_kernelINS0_13select_configILj256ELj13ELNS0_17block_load_methodE3ELS4_3ELS4_3ELNS0_20block_scan_algorithmE0ELj4294967295EEENS1_25partition_config_selectorILNS1_17partition_subalgoE4EjNS0_10empty_typeEbEEZZNS1_14partition_implILS8_4ELb0ES6_15HIP_vector_typeIjLj2EENS0_17counting_iteratorIjlEEPS9_SG_NS0_5tupleIJPjSI_NS0_16reverse_iteratorISI_EEEEENSH_IJSG_SG_SG_EEES9_SI_JZNS1_25segmented_radix_sort_implINS0_14default_configELb0EPKhPhPKlPlN2at6native12_GLOBAL__N_18offset_tEEE10hipError_tPvRmT1_PNSt15iterator_traitsIS12_E10value_typeET2_T3_PNS13_IS18_E10value_typeET4_jRbjT5_S1E_jjP12ihipStream_tbEUljE_ZNSN_ISO_Lb0ESQ_SR_ST_SU_SY_EESZ_S10_S11_S12_S16_S17_S18_S1B_S1C_jS1D_jS1E_S1E_jjS1G_bEUljE0_EEESZ_S10_S11_S18_S1C_S1E_T6_T7_T9_mT8_S1G_bDpT10_ENKUlT_T0_E_clISt17integral_constantIbLb1EES1U_EEDaS1P_S1Q_EUlS1P_E_NS1_11comp_targetILNS1_3genE10ELNS1_11target_archE1200ELNS1_3gpuE4ELNS1_3repE0EEENS1_30default_config_static_selectorELNS0_4arch9wavefront6targetE0EEEvS12_
                                        ; -- End function
	.set _ZN7rocprim17ROCPRIM_400000_NS6detail17trampoline_kernelINS0_13select_configILj256ELj13ELNS0_17block_load_methodE3ELS4_3ELS4_3ELNS0_20block_scan_algorithmE0ELj4294967295EEENS1_25partition_config_selectorILNS1_17partition_subalgoE4EjNS0_10empty_typeEbEEZZNS1_14partition_implILS8_4ELb0ES6_15HIP_vector_typeIjLj2EENS0_17counting_iteratorIjlEEPS9_SG_NS0_5tupleIJPjSI_NS0_16reverse_iteratorISI_EEEEENSH_IJSG_SG_SG_EEES9_SI_JZNS1_25segmented_radix_sort_implINS0_14default_configELb0EPKhPhPKlPlN2at6native12_GLOBAL__N_18offset_tEEE10hipError_tPvRmT1_PNSt15iterator_traitsIS12_E10value_typeET2_T3_PNS13_IS18_E10value_typeET4_jRbjT5_S1E_jjP12ihipStream_tbEUljE_ZNSN_ISO_Lb0ESQ_SR_ST_SU_SY_EESZ_S10_S11_S12_S16_S17_S18_S1B_S1C_jS1D_jS1E_S1E_jjS1G_bEUljE0_EEESZ_S10_S11_S18_S1C_S1E_T6_T7_T9_mT8_S1G_bDpT10_ENKUlT_T0_E_clISt17integral_constantIbLb1EES1U_EEDaS1P_S1Q_EUlS1P_E_NS1_11comp_targetILNS1_3genE10ELNS1_11target_archE1200ELNS1_3gpuE4ELNS1_3repE0EEENS1_30default_config_static_selectorELNS0_4arch9wavefront6targetE0EEEvS12_.num_vgpr, 0
	.set _ZN7rocprim17ROCPRIM_400000_NS6detail17trampoline_kernelINS0_13select_configILj256ELj13ELNS0_17block_load_methodE3ELS4_3ELS4_3ELNS0_20block_scan_algorithmE0ELj4294967295EEENS1_25partition_config_selectorILNS1_17partition_subalgoE4EjNS0_10empty_typeEbEEZZNS1_14partition_implILS8_4ELb0ES6_15HIP_vector_typeIjLj2EENS0_17counting_iteratorIjlEEPS9_SG_NS0_5tupleIJPjSI_NS0_16reverse_iteratorISI_EEEEENSH_IJSG_SG_SG_EEES9_SI_JZNS1_25segmented_radix_sort_implINS0_14default_configELb0EPKhPhPKlPlN2at6native12_GLOBAL__N_18offset_tEEE10hipError_tPvRmT1_PNSt15iterator_traitsIS12_E10value_typeET2_T3_PNS13_IS18_E10value_typeET4_jRbjT5_S1E_jjP12ihipStream_tbEUljE_ZNSN_ISO_Lb0ESQ_SR_ST_SU_SY_EESZ_S10_S11_S12_S16_S17_S18_S1B_S1C_jS1D_jS1E_S1E_jjS1G_bEUljE0_EEESZ_S10_S11_S18_S1C_S1E_T6_T7_T9_mT8_S1G_bDpT10_ENKUlT_T0_E_clISt17integral_constantIbLb1EES1U_EEDaS1P_S1Q_EUlS1P_E_NS1_11comp_targetILNS1_3genE10ELNS1_11target_archE1200ELNS1_3gpuE4ELNS1_3repE0EEENS1_30default_config_static_selectorELNS0_4arch9wavefront6targetE0EEEvS12_.num_agpr, 0
	.set _ZN7rocprim17ROCPRIM_400000_NS6detail17trampoline_kernelINS0_13select_configILj256ELj13ELNS0_17block_load_methodE3ELS4_3ELS4_3ELNS0_20block_scan_algorithmE0ELj4294967295EEENS1_25partition_config_selectorILNS1_17partition_subalgoE4EjNS0_10empty_typeEbEEZZNS1_14partition_implILS8_4ELb0ES6_15HIP_vector_typeIjLj2EENS0_17counting_iteratorIjlEEPS9_SG_NS0_5tupleIJPjSI_NS0_16reverse_iteratorISI_EEEEENSH_IJSG_SG_SG_EEES9_SI_JZNS1_25segmented_radix_sort_implINS0_14default_configELb0EPKhPhPKlPlN2at6native12_GLOBAL__N_18offset_tEEE10hipError_tPvRmT1_PNSt15iterator_traitsIS12_E10value_typeET2_T3_PNS13_IS18_E10value_typeET4_jRbjT5_S1E_jjP12ihipStream_tbEUljE_ZNSN_ISO_Lb0ESQ_SR_ST_SU_SY_EESZ_S10_S11_S12_S16_S17_S18_S1B_S1C_jS1D_jS1E_S1E_jjS1G_bEUljE0_EEESZ_S10_S11_S18_S1C_S1E_T6_T7_T9_mT8_S1G_bDpT10_ENKUlT_T0_E_clISt17integral_constantIbLb1EES1U_EEDaS1P_S1Q_EUlS1P_E_NS1_11comp_targetILNS1_3genE10ELNS1_11target_archE1200ELNS1_3gpuE4ELNS1_3repE0EEENS1_30default_config_static_selectorELNS0_4arch9wavefront6targetE0EEEvS12_.numbered_sgpr, 0
	.set _ZN7rocprim17ROCPRIM_400000_NS6detail17trampoline_kernelINS0_13select_configILj256ELj13ELNS0_17block_load_methodE3ELS4_3ELS4_3ELNS0_20block_scan_algorithmE0ELj4294967295EEENS1_25partition_config_selectorILNS1_17partition_subalgoE4EjNS0_10empty_typeEbEEZZNS1_14partition_implILS8_4ELb0ES6_15HIP_vector_typeIjLj2EENS0_17counting_iteratorIjlEEPS9_SG_NS0_5tupleIJPjSI_NS0_16reverse_iteratorISI_EEEEENSH_IJSG_SG_SG_EEES9_SI_JZNS1_25segmented_radix_sort_implINS0_14default_configELb0EPKhPhPKlPlN2at6native12_GLOBAL__N_18offset_tEEE10hipError_tPvRmT1_PNSt15iterator_traitsIS12_E10value_typeET2_T3_PNS13_IS18_E10value_typeET4_jRbjT5_S1E_jjP12ihipStream_tbEUljE_ZNSN_ISO_Lb0ESQ_SR_ST_SU_SY_EESZ_S10_S11_S12_S16_S17_S18_S1B_S1C_jS1D_jS1E_S1E_jjS1G_bEUljE0_EEESZ_S10_S11_S18_S1C_S1E_T6_T7_T9_mT8_S1G_bDpT10_ENKUlT_T0_E_clISt17integral_constantIbLb1EES1U_EEDaS1P_S1Q_EUlS1P_E_NS1_11comp_targetILNS1_3genE10ELNS1_11target_archE1200ELNS1_3gpuE4ELNS1_3repE0EEENS1_30default_config_static_selectorELNS0_4arch9wavefront6targetE0EEEvS12_.num_named_barrier, 0
	.set _ZN7rocprim17ROCPRIM_400000_NS6detail17trampoline_kernelINS0_13select_configILj256ELj13ELNS0_17block_load_methodE3ELS4_3ELS4_3ELNS0_20block_scan_algorithmE0ELj4294967295EEENS1_25partition_config_selectorILNS1_17partition_subalgoE4EjNS0_10empty_typeEbEEZZNS1_14partition_implILS8_4ELb0ES6_15HIP_vector_typeIjLj2EENS0_17counting_iteratorIjlEEPS9_SG_NS0_5tupleIJPjSI_NS0_16reverse_iteratorISI_EEEEENSH_IJSG_SG_SG_EEES9_SI_JZNS1_25segmented_radix_sort_implINS0_14default_configELb0EPKhPhPKlPlN2at6native12_GLOBAL__N_18offset_tEEE10hipError_tPvRmT1_PNSt15iterator_traitsIS12_E10value_typeET2_T3_PNS13_IS18_E10value_typeET4_jRbjT5_S1E_jjP12ihipStream_tbEUljE_ZNSN_ISO_Lb0ESQ_SR_ST_SU_SY_EESZ_S10_S11_S12_S16_S17_S18_S1B_S1C_jS1D_jS1E_S1E_jjS1G_bEUljE0_EEESZ_S10_S11_S18_S1C_S1E_T6_T7_T9_mT8_S1G_bDpT10_ENKUlT_T0_E_clISt17integral_constantIbLb1EES1U_EEDaS1P_S1Q_EUlS1P_E_NS1_11comp_targetILNS1_3genE10ELNS1_11target_archE1200ELNS1_3gpuE4ELNS1_3repE0EEENS1_30default_config_static_selectorELNS0_4arch9wavefront6targetE0EEEvS12_.private_seg_size, 0
	.set _ZN7rocprim17ROCPRIM_400000_NS6detail17trampoline_kernelINS0_13select_configILj256ELj13ELNS0_17block_load_methodE3ELS4_3ELS4_3ELNS0_20block_scan_algorithmE0ELj4294967295EEENS1_25partition_config_selectorILNS1_17partition_subalgoE4EjNS0_10empty_typeEbEEZZNS1_14partition_implILS8_4ELb0ES6_15HIP_vector_typeIjLj2EENS0_17counting_iteratorIjlEEPS9_SG_NS0_5tupleIJPjSI_NS0_16reverse_iteratorISI_EEEEENSH_IJSG_SG_SG_EEES9_SI_JZNS1_25segmented_radix_sort_implINS0_14default_configELb0EPKhPhPKlPlN2at6native12_GLOBAL__N_18offset_tEEE10hipError_tPvRmT1_PNSt15iterator_traitsIS12_E10value_typeET2_T3_PNS13_IS18_E10value_typeET4_jRbjT5_S1E_jjP12ihipStream_tbEUljE_ZNSN_ISO_Lb0ESQ_SR_ST_SU_SY_EESZ_S10_S11_S12_S16_S17_S18_S1B_S1C_jS1D_jS1E_S1E_jjS1G_bEUljE0_EEESZ_S10_S11_S18_S1C_S1E_T6_T7_T9_mT8_S1G_bDpT10_ENKUlT_T0_E_clISt17integral_constantIbLb1EES1U_EEDaS1P_S1Q_EUlS1P_E_NS1_11comp_targetILNS1_3genE10ELNS1_11target_archE1200ELNS1_3gpuE4ELNS1_3repE0EEENS1_30default_config_static_selectorELNS0_4arch9wavefront6targetE0EEEvS12_.uses_vcc, 0
	.set _ZN7rocprim17ROCPRIM_400000_NS6detail17trampoline_kernelINS0_13select_configILj256ELj13ELNS0_17block_load_methodE3ELS4_3ELS4_3ELNS0_20block_scan_algorithmE0ELj4294967295EEENS1_25partition_config_selectorILNS1_17partition_subalgoE4EjNS0_10empty_typeEbEEZZNS1_14partition_implILS8_4ELb0ES6_15HIP_vector_typeIjLj2EENS0_17counting_iteratorIjlEEPS9_SG_NS0_5tupleIJPjSI_NS0_16reverse_iteratorISI_EEEEENSH_IJSG_SG_SG_EEES9_SI_JZNS1_25segmented_radix_sort_implINS0_14default_configELb0EPKhPhPKlPlN2at6native12_GLOBAL__N_18offset_tEEE10hipError_tPvRmT1_PNSt15iterator_traitsIS12_E10value_typeET2_T3_PNS13_IS18_E10value_typeET4_jRbjT5_S1E_jjP12ihipStream_tbEUljE_ZNSN_ISO_Lb0ESQ_SR_ST_SU_SY_EESZ_S10_S11_S12_S16_S17_S18_S1B_S1C_jS1D_jS1E_S1E_jjS1G_bEUljE0_EEESZ_S10_S11_S18_S1C_S1E_T6_T7_T9_mT8_S1G_bDpT10_ENKUlT_T0_E_clISt17integral_constantIbLb1EES1U_EEDaS1P_S1Q_EUlS1P_E_NS1_11comp_targetILNS1_3genE10ELNS1_11target_archE1200ELNS1_3gpuE4ELNS1_3repE0EEENS1_30default_config_static_selectorELNS0_4arch9wavefront6targetE0EEEvS12_.uses_flat_scratch, 0
	.set _ZN7rocprim17ROCPRIM_400000_NS6detail17trampoline_kernelINS0_13select_configILj256ELj13ELNS0_17block_load_methodE3ELS4_3ELS4_3ELNS0_20block_scan_algorithmE0ELj4294967295EEENS1_25partition_config_selectorILNS1_17partition_subalgoE4EjNS0_10empty_typeEbEEZZNS1_14partition_implILS8_4ELb0ES6_15HIP_vector_typeIjLj2EENS0_17counting_iteratorIjlEEPS9_SG_NS0_5tupleIJPjSI_NS0_16reverse_iteratorISI_EEEEENSH_IJSG_SG_SG_EEES9_SI_JZNS1_25segmented_radix_sort_implINS0_14default_configELb0EPKhPhPKlPlN2at6native12_GLOBAL__N_18offset_tEEE10hipError_tPvRmT1_PNSt15iterator_traitsIS12_E10value_typeET2_T3_PNS13_IS18_E10value_typeET4_jRbjT5_S1E_jjP12ihipStream_tbEUljE_ZNSN_ISO_Lb0ESQ_SR_ST_SU_SY_EESZ_S10_S11_S12_S16_S17_S18_S1B_S1C_jS1D_jS1E_S1E_jjS1G_bEUljE0_EEESZ_S10_S11_S18_S1C_S1E_T6_T7_T9_mT8_S1G_bDpT10_ENKUlT_T0_E_clISt17integral_constantIbLb1EES1U_EEDaS1P_S1Q_EUlS1P_E_NS1_11comp_targetILNS1_3genE10ELNS1_11target_archE1200ELNS1_3gpuE4ELNS1_3repE0EEENS1_30default_config_static_selectorELNS0_4arch9wavefront6targetE0EEEvS12_.has_dyn_sized_stack, 0
	.set _ZN7rocprim17ROCPRIM_400000_NS6detail17trampoline_kernelINS0_13select_configILj256ELj13ELNS0_17block_load_methodE3ELS4_3ELS4_3ELNS0_20block_scan_algorithmE0ELj4294967295EEENS1_25partition_config_selectorILNS1_17partition_subalgoE4EjNS0_10empty_typeEbEEZZNS1_14partition_implILS8_4ELb0ES6_15HIP_vector_typeIjLj2EENS0_17counting_iteratorIjlEEPS9_SG_NS0_5tupleIJPjSI_NS0_16reverse_iteratorISI_EEEEENSH_IJSG_SG_SG_EEES9_SI_JZNS1_25segmented_radix_sort_implINS0_14default_configELb0EPKhPhPKlPlN2at6native12_GLOBAL__N_18offset_tEEE10hipError_tPvRmT1_PNSt15iterator_traitsIS12_E10value_typeET2_T3_PNS13_IS18_E10value_typeET4_jRbjT5_S1E_jjP12ihipStream_tbEUljE_ZNSN_ISO_Lb0ESQ_SR_ST_SU_SY_EESZ_S10_S11_S12_S16_S17_S18_S1B_S1C_jS1D_jS1E_S1E_jjS1G_bEUljE0_EEESZ_S10_S11_S18_S1C_S1E_T6_T7_T9_mT8_S1G_bDpT10_ENKUlT_T0_E_clISt17integral_constantIbLb1EES1U_EEDaS1P_S1Q_EUlS1P_E_NS1_11comp_targetILNS1_3genE10ELNS1_11target_archE1200ELNS1_3gpuE4ELNS1_3repE0EEENS1_30default_config_static_selectorELNS0_4arch9wavefront6targetE0EEEvS12_.has_recursion, 0
	.set _ZN7rocprim17ROCPRIM_400000_NS6detail17trampoline_kernelINS0_13select_configILj256ELj13ELNS0_17block_load_methodE3ELS4_3ELS4_3ELNS0_20block_scan_algorithmE0ELj4294967295EEENS1_25partition_config_selectorILNS1_17partition_subalgoE4EjNS0_10empty_typeEbEEZZNS1_14partition_implILS8_4ELb0ES6_15HIP_vector_typeIjLj2EENS0_17counting_iteratorIjlEEPS9_SG_NS0_5tupleIJPjSI_NS0_16reverse_iteratorISI_EEEEENSH_IJSG_SG_SG_EEES9_SI_JZNS1_25segmented_radix_sort_implINS0_14default_configELb0EPKhPhPKlPlN2at6native12_GLOBAL__N_18offset_tEEE10hipError_tPvRmT1_PNSt15iterator_traitsIS12_E10value_typeET2_T3_PNS13_IS18_E10value_typeET4_jRbjT5_S1E_jjP12ihipStream_tbEUljE_ZNSN_ISO_Lb0ESQ_SR_ST_SU_SY_EESZ_S10_S11_S12_S16_S17_S18_S1B_S1C_jS1D_jS1E_S1E_jjS1G_bEUljE0_EEESZ_S10_S11_S18_S1C_S1E_T6_T7_T9_mT8_S1G_bDpT10_ENKUlT_T0_E_clISt17integral_constantIbLb1EES1U_EEDaS1P_S1Q_EUlS1P_E_NS1_11comp_targetILNS1_3genE10ELNS1_11target_archE1200ELNS1_3gpuE4ELNS1_3repE0EEENS1_30default_config_static_selectorELNS0_4arch9wavefront6targetE0EEEvS12_.has_indirect_call, 0
	.section	.AMDGPU.csdata,"",@progbits
; Kernel info:
; codeLenInByte = 0
; TotalNumSgprs: 0
; NumVgprs: 0
; ScratchSize: 0
; MemoryBound: 0
; FloatMode: 240
; IeeeMode: 1
; LDSByteSize: 0 bytes/workgroup (compile time only)
; SGPRBlocks: 0
; VGPRBlocks: 0
; NumSGPRsForWavesPerEU: 1
; NumVGPRsForWavesPerEU: 1
; Occupancy: 16
; WaveLimiterHint : 0
; COMPUTE_PGM_RSRC2:SCRATCH_EN: 0
; COMPUTE_PGM_RSRC2:USER_SGPR: 6
; COMPUTE_PGM_RSRC2:TRAP_HANDLER: 0
; COMPUTE_PGM_RSRC2:TGID_X_EN: 1
; COMPUTE_PGM_RSRC2:TGID_Y_EN: 0
; COMPUTE_PGM_RSRC2:TGID_Z_EN: 0
; COMPUTE_PGM_RSRC2:TIDIG_COMP_CNT: 0
	.section	.text._ZN7rocprim17ROCPRIM_400000_NS6detail17trampoline_kernelINS0_13select_configILj256ELj13ELNS0_17block_load_methodE3ELS4_3ELS4_3ELNS0_20block_scan_algorithmE0ELj4294967295EEENS1_25partition_config_selectorILNS1_17partition_subalgoE4EjNS0_10empty_typeEbEEZZNS1_14partition_implILS8_4ELb0ES6_15HIP_vector_typeIjLj2EENS0_17counting_iteratorIjlEEPS9_SG_NS0_5tupleIJPjSI_NS0_16reverse_iteratorISI_EEEEENSH_IJSG_SG_SG_EEES9_SI_JZNS1_25segmented_radix_sort_implINS0_14default_configELb0EPKhPhPKlPlN2at6native12_GLOBAL__N_18offset_tEEE10hipError_tPvRmT1_PNSt15iterator_traitsIS12_E10value_typeET2_T3_PNS13_IS18_E10value_typeET4_jRbjT5_S1E_jjP12ihipStream_tbEUljE_ZNSN_ISO_Lb0ESQ_SR_ST_SU_SY_EESZ_S10_S11_S12_S16_S17_S18_S1B_S1C_jS1D_jS1E_S1E_jjS1G_bEUljE0_EEESZ_S10_S11_S18_S1C_S1E_T6_T7_T9_mT8_S1G_bDpT10_ENKUlT_T0_E_clISt17integral_constantIbLb1EES1U_EEDaS1P_S1Q_EUlS1P_E_NS1_11comp_targetILNS1_3genE9ELNS1_11target_archE1100ELNS1_3gpuE3ELNS1_3repE0EEENS1_30default_config_static_selectorELNS0_4arch9wavefront6targetE0EEEvS12_,"axG",@progbits,_ZN7rocprim17ROCPRIM_400000_NS6detail17trampoline_kernelINS0_13select_configILj256ELj13ELNS0_17block_load_methodE3ELS4_3ELS4_3ELNS0_20block_scan_algorithmE0ELj4294967295EEENS1_25partition_config_selectorILNS1_17partition_subalgoE4EjNS0_10empty_typeEbEEZZNS1_14partition_implILS8_4ELb0ES6_15HIP_vector_typeIjLj2EENS0_17counting_iteratorIjlEEPS9_SG_NS0_5tupleIJPjSI_NS0_16reverse_iteratorISI_EEEEENSH_IJSG_SG_SG_EEES9_SI_JZNS1_25segmented_radix_sort_implINS0_14default_configELb0EPKhPhPKlPlN2at6native12_GLOBAL__N_18offset_tEEE10hipError_tPvRmT1_PNSt15iterator_traitsIS12_E10value_typeET2_T3_PNS13_IS18_E10value_typeET4_jRbjT5_S1E_jjP12ihipStream_tbEUljE_ZNSN_ISO_Lb0ESQ_SR_ST_SU_SY_EESZ_S10_S11_S12_S16_S17_S18_S1B_S1C_jS1D_jS1E_S1E_jjS1G_bEUljE0_EEESZ_S10_S11_S18_S1C_S1E_T6_T7_T9_mT8_S1G_bDpT10_ENKUlT_T0_E_clISt17integral_constantIbLb1EES1U_EEDaS1P_S1Q_EUlS1P_E_NS1_11comp_targetILNS1_3genE9ELNS1_11target_archE1100ELNS1_3gpuE3ELNS1_3repE0EEENS1_30default_config_static_selectorELNS0_4arch9wavefront6targetE0EEEvS12_,comdat
	.globl	_ZN7rocprim17ROCPRIM_400000_NS6detail17trampoline_kernelINS0_13select_configILj256ELj13ELNS0_17block_load_methodE3ELS4_3ELS4_3ELNS0_20block_scan_algorithmE0ELj4294967295EEENS1_25partition_config_selectorILNS1_17partition_subalgoE4EjNS0_10empty_typeEbEEZZNS1_14partition_implILS8_4ELb0ES6_15HIP_vector_typeIjLj2EENS0_17counting_iteratorIjlEEPS9_SG_NS0_5tupleIJPjSI_NS0_16reverse_iteratorISI_EEEEENSH_IJSG_SG_SG_EEES9_SI_JZNS1_25segmented_radix_sort_implINS0_14default_configELb0EPKhPhPKlPlN2at6native12_GLOBAL__N_18offset_tEEE10hipError_tPvRmT1_PNSt15iterator_traitsIS12_E10value_typeET2_T3_PNS13_IS18_E10value_typeET4_jRbjT5_S1E_jjP12ihipStream_tbEUljE_ZNSN_ISO_Lb0ESQ_SR_ST_SU_SY_EESZ_S10_S11_S12_S16_S17_S18_S1B_S1C_jS1D_jS1E_S1E_jjS1G_bEUljE0_EEESZ_S10_S11_S18_S1C_S1E_T6_T7_T9_mT8_S1G_bDpT10_ENKUlT_T0_E_clISt17integral_constantIbLb1EES1U_EEDaS1P_S1Q_EUlS1P_E_NS1_11comp_targetILNS1_3genE9ELNS1_11target_archE1100ELNS1_3gpuE3ELNS1_3repE0EEENS1_30default_config_static_selectorELNS0_4arch9wavefront6targetE0EEEvS12_ ; -- Begin function _ZN7rocprim17ROCPRIM_400000_NS6detail17trampoline_kernelINS0_13select_configILj256ELj13ELNS0_17block_load_methodE3ELS4_3ELS4_3ELNS0_20block_scan_algorithmE0ELj4294967295EEENS1_25partition_config_selectorILNS1_17partition_subalgoE4EjNS0_10empty_typeEbEEZZNS1_14partition_implILS8_4ELb0ES6_15HIP_vector_typeIjLj2EENS0_17counting_iteratorIjlEEPS9_SG_NS0_5tupleIJPjSI_NS0_16reverse_iteratorISI_EEEEENSH_IJSG_SG_SG_EEES9_SI_JZNS1_25segmented_radix_sort_implINS0_14default_configELb0EPKhPhPKlPlN2at6native12_GLOBAL__N_18offset_tEEE10hipError_tPvRmT1_PNSt15iterator_traitsIS12_E10value_typeET2_T3_PNS13_IS18_E10value_typeET4_jRbjT5_S1E_jjP12ihipStream_tbEUljE_ZNSN_ISO_Lb0ESQ_SR_ST_SU_SY_EESZ_S10_S11_S12_S16_S17_S18_S1B_S1C_jS1D_jS1E_S1E_jjS1G_bEUljE0_EEESZ_S10_S11_S18_S1C_S1E_T6_T7_T9_mT8_S1G_bDpT10_ENKUlT_T0_E_clISt17integral_constantIbLb1EES1U_EEDaS1P_S1Q_EUlS1P_E_NS1_11comp_targetILNS1_3genE9ELNS1_11target_archE1100ELNS1_3gpuE3ELNS1_3repE0EEENS1_30default_config_static_selectorELNS0_4arch9wavefront6targetE0EEEvS12_
	.p2align	8
	.type	_ZN7rocprim17ROCPRIM_400000_NS6detail17trampoline_kernelINS0_13select_configILj256ELj13ELNS0_17block_load_methodE3ELS4_3ELS4_3ELNS0_20block_scan_algorithmE0ELj4294967295EEENS1_25partition_config_selectorILNS1_17partition_subalgoE4EjNS0_10empty_typeEbEEZZNS1_14partition_implILS8_4ELb0ES6_15HIP_vector_typeIjLj2EENS0_17counting_iteratorIjlEEPS9_SG_NS0_5tupleIJPjSI_NS0_16reverse_iteratorISI_EEEEENSH_IJSG_SG_SG_EEES9_SI_JZNS1_25segmented_radix_sort_implINS0_14default_configELb0EPKhPhPKlPlN2at6native12_GLOBAL__N_18offset_tEEE10hipError_tPvRmT1_PNSt15iterator_traitsIS12_E10value_typeET2_T3_PNS13_IS18_E10value_typeET4_jRbjT5_S1E_jjP12ihipStream_tbEUljE_ZNSN_ISO_Lb0ESQ_SR_ST_SU_SY_EESZ_S10_S11_S12_S16_S17_S18_S1B_S1C_jS1D_jS1E_S1E_jjS1G_bEUljE0_EEESZ_S10_S11_S18_S1C_S1E_T6_T7_T9_mT8_S1G_bDpT10_ENKUlT_T0_E_clISt17integral_constantIbLb1EES1U_EEDaS1P_S1Q_EUlS1P_E_NS1_11comp_targetILNS1_3genE9ELNS1_11target_archE1100ELNS1_3gpuE3ELNS1_3repE0EEENS1_30default_config_static_selectorELNS0_4arch9wavefront6targetE0EEEvS12_,@function
_ZN7rocprim17ROCPRIM_400000_NS6detail17trampoline_kernelINS0_13select_configILj256ELj13ELNS0_17block_load_methodE3ELS4_3ELS4_3ELNS0_20block_scan_algorithmE0ELj4294967295EEENS1_25partition_config_selectorILNS1_17partition_subalgoE4EjNS0_10empty_typeEbEEZZNS1_14partition_implILS8_4ELb0ES6_15HIP_vector_typeIjLj2EENS0_17counting_iteratorIjlEEPS9_SG_NS0_5tupleIJPjSI_NS0_16reverse_iteratorISI_EEEEENSH_IJSG_SG_SG_EEES9_SI_JZNS1_25segmented_radix_sort_implINS0_14default_configELb0EPKhPhPKlPlN2at6native12_GLOBAL__N_18offset_tEEE10hipError_tPvRmT1_PNSt15iterator_traitsIS12_E10value_typeET2_T3_PNS13_IS18_E10value_typeET4_jRbjT5_S1E_jjP12ihipStream_tbEUljE_ZNSN_ISO_Lb0ESQ_SR_ST_SU_SY_EESZ_S10_S11_S12_S16_S17_S18_S1B_S1C_jS1D_jS1E_S1E_jjS1G_bEUljE0_EEESZ_S10_S11_S18_S1C_S1E_T6_T7_T9_mT8_S1G_bDpT10_ENKUlT_T0_E_clISt17integral_constantIbLb1EES1U_EEDaS1P_S1Q_EUlS1P_E_NS1_11comp_targetILNS1_3genE9ELNS1_11target_archE1100ELNS1_3gpuE3ELNS1_3repE0EEENS1_30default_config_static_selectorELNS0_4arch9wavefront6targetE0EEEvS12_: ; @_ZN7rocprim17ROCPRIM_400000_NS6detail17trampoline_kernelINS0_13select_configILj256ELj13ELNS0_17block_load_methodE3ELS4_3ELS4_3ELNS0_20block_scan_algorithmE0ELj4294967295EEENS1_25partition_config_selectorILNS1_17partition_subalgoE4EjNS0_10empty_typeEbEEZZNS1_14partition_implILS8_4ELb0ES6_15HIP_vector_typeIjLj2EENS0_17counting_iteratorIjlEEPS9_SG_NS0_5tupleIJPjSI_NS0_16reverse_iteratorISI_EEEEENSH_IJSG_SG_SG_EEES9_SI_JZNS1_25segmented_radix_sort_implINS0_14default_configELb0EPKhPhPKlPlN2at6native12_GLOBAL__N_18offset_tEEE10hipError_tPvRmT1_PNSt15iterator_traitsIS12_E10value_typeET2_T3_PNS13_IS18_E10value_typeET4_jRbjT5_S1E_jjP12ihipStream_tbEUljE_ZNSN_ISO_Lb0ESQ_SR_ST_SU_SY_EESZ_S10_S11_S12_S16_S17_S18_S1B_S1C_jS1D_jS1E_S1E_jjS1G_bEUljE0_EEESZ_S10_S11_S18_S1C_S1E_T6_T7_T9_mT8_S1G_bDpT10_ENKUlT_T0_E_clISt17integral_constantIbLb1EES1U_EEDaS1P_S1Q_EUlS1P_E_NS1_11comp_targetILNS1_3genE9ELNS1_11target_archE1100ELNS1_3gpuE3ELNS1_3repE0EEENS1_30default_config_static_selectorELNS0_4arch9wavefront6targetE0EEEvS12_
; %bb.0:
	.section	.rodata,"a",@progbits
	.p2align	6, 0x0
	.amdhsa_kernel _ZN7rocprim17ROCPRIM_400000_NS6detail17trampoline_kernelINS0_13select_configILj256ELj13ELNS0_17block_load_methodE3ELS4_3ELS4_3ELNS0_20block_scan_algorithmE0ELj4294967295EEENS1_25partition_config_selectorILNS1_17partition_subalgoE4EjNS0_10empty_typeEbEEZZNS1_14partition_implILS8_4ELb0ES6_15HIP_vector_typeIjLj2EENS0_17counting_iteratorIjlEEPS9_SG_NS0_5tupleIJPjSI_NS0_16reverse_iteratorISI_EEEEENSH_IJSG_SG_SG_EEES9_SI_JZNS1_25segmented_radix_sort_implINS0_14default_configELb0EPKhPhPKlPlN2at6native12_GLOBAL__N_18offset_tEEE10hipError_tPvRmT1_PNSt15iterator_traitsIS12_E10value_typeET2_T3_PNS13_IS18_E10value_typeET4_jRbjT5_S1E_jjP12ihipStream_tbEUljE_ZNSN_ISO_Lb0ESQ_SR_ST_SU_SY_EESZ_S10_S11_S12_S16_S17_S18_S1B_S1C_jS1D_jS1E_S1E_jjS1G_bEUljE0_EEESZ_S10_S11_S18_S1C_S1E_T6_T7_T9_mT8_S1G_bDpT10_ENKUlT_T0_E_clISt17integral_constantIbLb1EES1U_EEDaS1P_S1Q_EUlS1P_E_NS1_11comp_targetILNS1_3genE9ELNS1_11target_archE1100ELNS1_3gpuE3ELNS1_3repE0EEENS1_30default_config_static_selectorELNS0_4arch9wavefront6targetE0EEEvS12_
		.amdhsa_group_segment_fixed_size 0
		.amdhsa_private_segment_fixed_size 0
		.amdhsa_kernarg_size 184
		.amdhsa_user_sgpr_count 6
		.amdhsa_user_sgpr_private_segment_buffer 1
		.amdhsa_user_sgpr_dispatch_ptr 0
		.amdhsa_user_sgpr_queue_ptr 0
		.amdhsa_user_sgpr_kernarg_segment_ptr 1
		.amdhsa_user_sgpr_dispatch_id 0
		.amdhsa_user_sgpr_flat_scratch_init 0
		.amdhsa_user_sgpr_private_segment_size 0
		.amdhsa_wavefront_size32 1
		.amdhsa_uses_dynamic_stack 0
		.amdhsa_system_sgpr_private_segment_wavefront_offset 0
		.amdhsa_system_sgpr_workgroup_id_x 1
		.amdhsa_system_sgpr_workgroup_id_y 0
		.amdhsa_system_sgpr_workgroup_id_z 0
		.amdhsa_system_sgpr_workgroup_info 0
		.amdhsa_system_vgpr_workitem_id 0
		.amdhsa_next_free_vgpr 1
		.amdhsa_next_free_sgpr 1
		.amdhsa_reserve_vcc 0
		.amdhsa_reserve_flat_scratch 0
		.amdhsa_float_round_mode_32 0
		.amdhsa_float_round_mode_16_64 0
		.amdhsa_float_denorm_mode_32 3
		.amdhsa_float_denorm_mode_16_64 3
		.amdhsa_dx10_clamp 1
		.amdhsa_ieee_mode 1
		.amdhsa_fp16_overflow 0
		.amdhsa_workgroup_processor_mode 1
		.amdhsa_memory_ordered 1
		.amdhsa_forward_progress 1
		.amdhsa_shared_vgpr_count 0
		.amdhsa_exception_fp_ieee_invalid_op 0
		.amdhsa_exception_fp_denorm_src 0
		.amdhsa_exception_fp_ieee_div_zero 0
		.amdhsa_exception_fp_ieee_overflow 0
		.amdhsa_exception_fp_ieee_underflow 0
		.amdhsa_exception_fp_ieee_inexact 0
		.amdhsa_exception_int_div_zero 0
	.end_amdhsa_kernel
	.section	.text._ZN7rocprim17ROCPRIM_400000_NS6detail17trampoline_kernelINS0_13select_configILj256ELj13ELNS0_17block_load_methodE3ELS4_3ELS4_3ELNS0_20block_scan_algorithmE0ELj4294967295EEENS1_25partition_config_selectorILNS1_17partition_subalgoE4EjNS0_10empty_typeEbEEZZNS1_14partition_implILS8_4ELb0ES6_15HIP_vector_typeIjLj2EENS0_17counting_iteratorIjlEEPS9_SG_NS0_5tupleIJPjSI_NS0_16reverse_iteratorISI_EEEEENSH_IJSG_SG_SG_EEES9_SI_JZNS1_25segmented_radix_sort_implINS0_14default_configELb0EPKhPhPKlPlN2at6native12_GLOBAL__N_18offset_tEEE10hipError_tPvRmT1_PNSt15iterator_traitsIS12_E10value_typeET2_T3_PNS13_IS18_E10value_typeET4_jRbjT5_S1E_jjP12ihipStream_tbEUljE_ZNSN_ISO_Lb0ESQ_SR_ST_SU_SY_EESZ_S10_S11_S12_S16_S17_S18_S1B_S1C_jS1D_jS1E_S1E_jjS1G_bEUljE0_EEESZ_S10_S11_S18_S1C_S1E_T6_T7_T9_mT8_S1G_bDpT10_ENKUlT_T0_E_clISt17integral_constantIbLb1EES1U_EEDaS1P_S1Q_EUlS1P_E_NS1_11comp_targetILNS1_3genE9ELNS1_11target_archE1100ELNS1_3gpuE3ELNS1_3repE0EEENS1_30default_config_static_selectorELNS0_4arch9wavefront6targetE0EEEvS12_,"axG",@progbits,_ZN7rocprim17ROCPRIM_400000_NS6detail17trampoline_kernelINS0_13select_configILj256ELj13ELNS0_17block_load_methodE3ELS4_3ELS4_3ELNS0_20block_scan_algorithmE0ELj4294967295EEENS1_25partition_config_selectorILNS1_17partition_subalgoE4EjNS0_10empty_typeEbEEZZNS1_14partition_implILS8_4ELb0ES6_15HIP_vector_typeIjLj2EENS0_17counting_iteratorIjlEEPS9_SG_NS0_5tupleIJPjSI_NS0_16reverse_iteratorISI_EEEEENSH_IJSG_SG_SG_EEES9_SI_JZNS1_25segmented_radix_sort_implINS0_14default_configELb0EPKhPhPKlPlN2at6native12_GLOBAL__N_18offset_tEEE10hipError_tPvRmT1_PNSt15iterator_traitsIS12_E10value_typeET2_T3_PNS13_IS18_E10value_typeET4_jRbjT5_S1E_jjP12ihipStream_tbEUljE_ZNSN_ISO_Lb0ESQ_SR_ST_SU_SY_EESZ_S10_S11_S12_S16_S17_S18_S1B_S1C_jS1D_jS1E_S1E_jjS1G_bEUljE0_EEESZ_S10_S11_S18_S1C_S1E_T6_T7_T9_mT8_S1G_bDpT10_ENKUlT_T0_E_clISt17integral_constantIbLb1EES1U_EEDaS1P_S1Q_EUlS1P_E_NS1_11comp_targetILNS1_3genE9ELNS1_11target_archE1100ELNS1_3gpuE3ELNS1_3repE0EEENS1_30default_config_static_selectorELNS0_4arch9wavefront6targetE0EEEvS12_,comdat
.Lfunc_end135:
	.size	_ZN7rocprim17ROCPRIM_400000_NS6detail17trampoline_kernelINS0_13select_configILj256ELj13ELNS0_17block_load_methodE3ELS4_3ELS4_3ELNS0_20block_scan_algorithmE0ELj4294967295EEENS1_25partition_config_selectorILNS1_17partition_subalgoE4EjNS0_10empty_typeEbEEZZNS1_14partition_implILS8_4ELb0ES6_15HIP_vector_typeIjLj2EENS0_17counting_iteratorIjlEEPS9_SG_NS0_5tupleIJPjSI_NS0_16reverse_iteratorISI_EEEEENSH_IJSG_SG_SG_EEES9_SI_JZNS1_25segmented_radix_sort_implINS0_14default_configELb0EPKhPhPKlPlN2at6native12_GLOBAL__N_18offset_tEEE10hipError_tPvRmT1_PNSt15iterator_traitsIS12_E10value_typeET2_T3_PNS13_IS18_E10value_typeET4_jRbjT5_S1E_jjP12ihipStream_tbEUljE_ZNSN_ISO_Lb0ESQ_SR_ST_SU_SY_EESZ_S10_S11_S12_S16_S17_S18_S1B_S1C_jS1D_jS1E_S1E_jjS1G_bEUljE0_EEESZ_S10_S11_S18_S1C_S1E_T6_T7_T9_mT8_S1G_bDpT10_ENKUlT_T0_E_clISt17integral_constantIbLb1EES1U_EEDaS1P_S1Q_EUlS1P_E_NS1_11comp_targetILNS1_3genE9ELNS1_11target_archE1100ELNS1_3gpuE3ELNS1_3repE0EEENS1_30default_config_static_selectorELNS0_4arch9wavefront6targetE0EEEvS12_, .Lfunc_end135-_ZN7rocprim17ROCPRIM_400000_NS6detail17trampoline_kernelINS0_13select_configILj256ELj13ELNS0_17block_load_methodE3ELS4_3ELS4_3ELNS0_20block_scan_algorithmE0ELj4294967295EEENS1_25partition_config_selectorILNS1_17partition_subalgoE4EjNS0_10empty_typeEbEEZZNS1_14partition_implILS8_4ELb0ES6_15HIP_vector_typeIjLj2EENS0_17counting_iteratorIjlEEPS9_SG_NS0_5tupleIJPjSI_NS0_16reverse_iteratorISI_EEEEENSH_IJSG_SG_SG_EEES9_SI_JZNS1_25segmented_radix_sort_implINS0_14default_configELb0EPKhPhPKlPlN2at6native12_GLOBAL__N_18offset_tEEE10hipError_tPvRmT1_PNSt15iterator_traitsIS12_E10value_typeET2_T3_PNS13_IS18_E10value_typeET4_jRbjT5_S1E_jjP12ihipStream_tbEUljE_ZNSN_ISO_Lb0ESQ_SR_ST_SU_SY_EESZ_S10_S11_S12_S16_S17_S18_S1B_S1C_jS1D_jS1E_S1E_jjS1G_bEUljE0_EEESZ_S10_S11_S18_S1C_S1E_T6_T7_T9_mT8_S1G_bDpT10_ENKUlT_T0_E_clISt17integral_constantIbLb1EES1U_EEDaS1P_S1Q_EUlS1P_E_NS1_11comp_targetILNS1_3genE9ELNS1_11target_archE1100ELNS1_3gpuE3ELNS1_3repE0EEENS1_30default_config_static_selectorELNS0_4arch9wavefront6targetE0EEEvS12_
                                        ; -- End function
	.set _ZN7rocprim17ROCPRIM_400000_NS6detail17trampoline_kernelINS0_13select_configILj256ELj13ELNS0_17block_load_methodE3ELS4_3ELS4_3ELNS0_20block_scan_algorithmE0ELj4294967295EEENS1_25partition_config_selectorILNS1_17partition_subalgoE4EjNS0_10empty_typeEbEEZZNS1_14partition_implILS8_4ELb0ES6_15HIP_vector_typeIjLj2EENS0_17counting_iteratorIjlEEPS9_SG_NS0_5tupleIJPjSI_NS0_16reverse_iteratorISI_EEEEENSH_IJSG_SG_SG_EEES9_SI_JZNS1_25segmented_radix_sort_implINS0_14default_configELb0EPKhPhPKlPlN2at6native12_GLOBAL__N_18offset_tEEE10hipError_tPvRmT1_PNSt15iterator_traitsIS12_E10value_typeET2_T3_PNS13_IS18_E10value_typeET4_jRbjT5_S1E_jjP12ihipStream_tbEUljE_ZNSN_ISO_Lb0ESQ_SR_ST_SU_SY_EESZ_S10_S11_S12_S16_S17_S18_S1B_S1C_jS1D_jS1E_S1E_jjS1G_bEUljE0_EEESZ_S10_S11_S18_S1C_S1E_T6_T7_T9_mT8_S1G_bDpT10_ENKUlT_T0_E_clISt17integral_constantIbLb1EES1U_EEDaS1P_S1Q_EUlS1P_E_NS1_11comp_targetILNS1_3genE9ELNS1_11target_archE1100ELNS1_3gpuE3ELNS1_3repE0EEENS1_30default_config_static_selectorELNS0_4arch9wavefront6targetE0EEEvS12_.num_vgpr, 0
	.set _ZN7rocprim17ROCPRIM_400000_NS6detail17trampoline_kernelINS0_13select_configILj256ELj13ELNS0_17block_load_methodE3ELS4_3ELS4_3ELNS0_20block_scan_algorithmE0ELj4294967295EEENS1_25partition_config_selectorILNS1_17partition_subalgoE4EjNS0_10empty_typeEbEEZZNS1_14partition_implILS8_4ELb0ES6_15HIP_vector_typeIjLj2EENS0_17counting_iteratorIjlEEPS9_SG_NS0_5tupleIJPjSI_NS0_16reverse_iteratorISI_EEEEENSH_IJSG_SG_SG_EEES9_SI_JZNS1_25segmented_radix_sort_implINS0_14default_configELb0EPKhPhPKlPlN2at6native12_GLOBAL__N_18offset_tEEE10hipError_tPvRmT1_PNSt15iterator_traitsIS12_E10value_typeET2_T3_PNS13_IS18_E10value_typeET4_jRbjT5_S1E_jjP12ihipStream_tbEUljE_ZNSN_ISO_Lb0ESQ_SR_ST_SU_SY_EESZ_S10_S11_S12_S16_S17_S18_S1B_S1C_jS1D_jS1E_S1E_jjS1G_bEUljE0_EEESZ_S10_S11_S18_S1C_S1E_T6_T7_T9_mT8_S1G_bDpT10_ENKUlT_T0_E_clISt17integral_constantIbLb1EES1U_EEDaS1P_S1Q_EUlS1P_E_NS1_11comp_targetILNS1_3genE9ELNS1_11target_archE1100ELNS1_3gpuE3ELNS1_3repE0EEENS1_30default_config_static_selectorELNS0_4arch9wavefront6targetE0EEEvS12_.num_agpr, 0
	.set _ZN7rocprim17ROCPRIM_400000_NS6detail17trampoline_kernelINS0_13select_configILj256ELj13ELNS0_17block_load_methodE3ELS4_3ELS4_3ELNS0_20block_scan_algorithmE0ELj4294967295EEENS1_25partition_config_selectorILNS1_17partition_subalgoE4EjNS0_10empty_typeEbEEZZNS1_14partition_implILS8_4ELb0ES6_15HIP_vector_typeIjLj2EENS0_17counting_iteratorIjlEEPS9_SG_NS0_5tupleIJPjSI_NS0_16reverse_iteratorISI_EEEEENSH_IJSG_SG_SG_EEES9_SI_JZNS1_25segmented_radix_sort_implINS0_14default_configELb0EPKhPhPKlPlN2at6native12_GLOBAL__N_18offset_tEEE10hipError_tPvRmT1_PNSt15iterator_traitsIS12_E10value_typeET2_T3_PNS13_IS18_E10value_typeET4_jRbjT5_S1E_jjP12ihipStream_tbEUljE_ZNSN_ISO_Lb0ESQ_SR_ST_SU_SY_EESZ_S10_S11_S12_S16_S17_S18_S1B_S1C_jS1D_jS1E_S1E_jjS1G_bEUljE0_EEESZ_S10_S11_S18_S1C_S1E_T6_T7_T9_mT8_S1G_bDpT10_ENKUlT_T0_E_clISt17integral_constantIbLb1EES1U_EEDaS1P_S1Q_EUlS1P_E_NS1_11comp_targetILNS1_3genE9ELNS1_11target_archE1100ELNS1_3gpuE3ELNS1_3repE0EEENS1_30default_config_static_selectorELNS0_4arch9wavefront6targetE0EEEvS12_.numbered_sgpr, 0
	.set _ZN7rocprim17ROCPRIM_400000_NS6detail17trampoline_kernelINS0_13select_configILj256ELj13ELNS0_17block_load_methodE3ELS4_3ELS4_3ELNS0_20block_scan_algorithmE0ELj4294967295EEENS1_25partition_config_selectorILNS1_17partition_subalgoE4EjNS0_10empty_typeEbEEZZNS1_14partition_implILS8_4ELb0ES6_15HIP_vector_typeIjLj2EENS0_17counting_iteratorIjlEEPS9_SG_NS0_5tupleIJPjSI_NS0_16reverse_iteratorISI_EEEEENSH_IJSG_SG_SG_EEES9_SI_JZNS1_25segmented_radix_sort_implINS0_14default_configELb0EPKhPhPKlPlN2at6native12_GLOBAL__N_18offset_tEEE10hipError_tPvRmT1_PNSt15iterator_traitsIS12_E10value_typeET2_T3_PNS13_IS18_E10value_typeET4_jRbjT5_S1E_jjP12ihipStream_tbEUljE_ZNSN_ISO_Lb0ESQ_SR_ST_SU_SY_EESZ_S10_S11_S12_S16_S17_S18_S1B_S1C_jS1D_jS1E_S1E_jjS1G_bEUljE0_EEESZ_S10_S11_S18_S1C_S1E_T6_T7_T9_mT8_S1G_bDpT10_ENKUlT_T0_E_clISt17integral_constantIbLb1EES1U_EEDaS1P_S1Q_EUlS1P_E_NS1_11comp_targetILNS1_3genE9ELNS1_11target_archE1100ELNS1_3gpuE3ELNS1_3repE0EEENS1_30default_config_static_selectorELNS0_4arch9wavefront6targetE0EEEvS12_.num_named_barrier, 0
	.set _ZN7rocprim17ROCPRIM_400000_NS6detail17trampoline_kernelINS0_13select_configILj256ELj13ELNS0_17block_load_methodE3ELS4_3ELS4_3ELNS0_20block_scan_algorithmE0ELj4294967295EEENS1_25partition_config_selectorILNS1_17partition_subalgoE4EjNS0_10empty_typeEbEEZZNS1_14partition_implILS8_4ELb0ES6_15HIP_vector_typeIjLj2EENS0_17counting_iteratorIjlEEPS9_SG_NS0_5tupleIJPjSI_NS0_16reverse_iteratorISI_EEEEENSH_IJSG_SG_SG_EEES9_SI_JZNS1_25segmented_radix_sort_implINS0_14default_configELb0EPKhPhPKlPlN2at6native12_GLOBAL__N_18offset_tEEE10hipError_tPvRmT1_PNSt15iterator_traitsIS12_E10value_typeET2_T3_PNS13_IS18_E10value_typeET4_jRbjT5_S1E_jjP12ihipStream_tbEUljE_ZNSN_ISO_Lb0ESQ_SR_ST_SU_SY_EESZ_S10_S11_S12_S16_S17_S18_S1B_S1C_jS1D_jS1E_S1E_jjS1G_bEUljE0_EEESZ_S10_S11_S18_S1C_S1E_T6_T7_T9_mT8_S1G_bDpT10_ENKUlT_T0_E_clISt17integral_constantIbLb1EES1U_EEDaS1P_S1Q_EUlS1P_E_NS1_11comp_targetILNS1_3genE9ELNS1_11target_archE1100ELNS1_3gpuE3ELNS1_3repE0EEENS1_30default_config_static_selectorELNS0_4arch9wavefront6targetE0EEEvS12_.private_seg_size, 0
	.set _ZN7rocprim17ROCPRIM_400000_NS6detail17trampoline_kernelINS0_13select_configILj256ELj13ELNS0_17block_load_methodE3ELS4_3ELS4_3ELNS0_20block_scan_algorithmE0ELj4294967295EEENS1_25partition_config_selectorILNS1_17partition_subalgoE4EjNS0_10empty_typeEbEEZZNS1_14partition_implILS8_4ELb0ES6_15HIP_vector_typeIjLj2EENS0_17counting_iteratorIjlEEPS9_SG_NS0_5tupleIJPjSI_NS0_16reverse_iteratorISI_EEEEENSH_IJSG_SG_SG_EEES9_SI_JZNS1_25segmented_radix_sort_implINS0_14default_configELb0EPKhPhPKlPlN2at6native12_GLOBAL__N_18offset_tEEE10hipError_tPvRmT1_PNSt15iterator_traitsIS12_E10value_typeET2_T3_PNS13_IS18_E10value_typeET4_jRbjT5_S1E_jjP12ihipStream_tbEUljE_ZNSN_ISO_Lb0ESQ_SR_ST_SU_SY_EESZ_S10_S11_S12_S16_S17_S18_S1B_S1C_jS1D_jS1E_S1E_jjS1G_bEUljE0_EEESZ_S10_S11_S18_S1C_S1E_T6_T7_T9_mT8_S1G_bDpT10_ENKUlT_T0_E_clISt17integral_constantIbLb1EES1U_EEDaS1P_S1Q_EUlS1P_E_NS1_11comp_targetILNS1_3genE9ELNS1_11target_archE1100ELNS1_3gpuE3ELNS1_3repE0EEENS1_30default_config_static_selectorELNS0_4arch9wavefront6targetE0EEEvS12_.uses_vcc, 0
	.set _ZN7rocprim17ROCPRIM_400000_NS6detail17trampoline_kernelINS0_13select_configILj256ELj13ELNS0_17block_load_methodE3ELS4_3ELS4_3ELNS0_20block_scan_algorithmE0ELj4294967295EEENS1_25partition_config_selectorILNS1_17partition_subalgoE4EjNS0_10empty_typeEbEEZZNS1_14partition_implILS8_4ELb0ES6_15HIP_vector_typeIjLj2EENS0_17counting_iteratorIjlEEPS9_SG_NS0_5tupleIJPjSI_NS0_16reverse_iteratorISI_EEEEENSH_IJSG_SG_SG_EEES9_SI_JZNS1_25segmented_radix_sort_implINS0_14default_configELb0EPKhPhPKlPlN2at6native12_GLOBAL__N_18offset_tEEE10hipError_tPvRmT1_PNSt15iterator_traitsIS12_E10value_typeET2_T3_PNS13_IS18_E10value_typeET4_jRbjT5_S1E_jjP12ihipStream_tbEUljE_ZNSN_ISO_Lb0ESQ_SR_ST_SU_SY_EESZ_S10_S11_S12_S16_S17_S18_S1B_S1C_jS1D_jS1E_S1E_jjS1G_bEUljE0_EEESZ_S10_S11_S18_S1C_S1E_T6_T7_T9_mT8_S1G_bDpT10_ENKUlT_T0_E_clISt17integral_constantIbLb1EES1U_EEDaS1P_S1Q_EUlS1P_E_NS1_11comp_targetILNS1_3genE9ELNS1_11target_archE1100ELNS1_3gpuE3ELNS1_3repE0EEENS1_30default_config_static_selectorELNS0_4arch9wavefront6targetE0EEEvS12_.uses_flat_scratch, 0
	.set _ZN7rocprim17ROCPRIM_400000_NS6detail17trampoline_kernelINS0_13select_configILj256ELj13ELNS0_17block_load_methodE3ELS4_3ELS4_3ELNS0_20block_scan_algorithmE0ELj4294967295EEENS1_25partition_config_selectorILNS1_17partition_subalgoE4EjNS0_10empty_typeEbEEZZNS1_14partition_implILS8_4ELb0ES6_15HIP_vector_typeIjLj2EENS0_17counting_iteratorIjlEEPS9_SG_NS0_5tupleIJPjSI_NS0_16reverse_iteratorISI_EEEEENSH_IJSG_SG_SG_EEES9_SI_JZNS1_25segmented_radix_sort_implINS0_14default_configELb0EPKhPhPKlPlN2at6native12_GLOBAL__N_18offset_tEEE10hipError_tPvRmT1_PNSt15iterator_traitsIS12_E10value_typeET2_T3_PNS13_IS18_E10value_typeET4_jRbjT5_S1E_jjP12ihipStream_tbEUljE_ZNSN_ISO_Lb0ESQ_SR_ST_SU_SY_EESZ_S10_S11_S12_S16_S17_S18_S1B_S1C_jS1D_jS1E_S1E_jjS1G_bEUljE0_EEESZ_S10_S11_S18_S1C_S1E_T6_T7_T9_mT8_S1G_bDpT10_ENKUlT_T0_E_clISt17integral_constantIbLb1EES1U_EEDaS1P_S1Q_EUlS1P_E_NS1_11comp_targetILNS1_3genE9ELNS1_11target_archE1100ELNS1_3gpuE3ELNS1_3repE0EEENS1_30default_config_static_selectorELNS0_4arch9wavefront6targetE0EEEvS12_.has_dyn_sized_stack, 0
	.set _ZN7rocprim17ROCPRIM_400000_NS6detail17trampoline_kernelINS0_13select_configILj256ELj13ELNS0_17block_load_methodE3ELS4_3ELS4_3ELNS0_20block_scan_algorithmE0ELj4294967295EEENS1_25partition_config_selectorILNS1_17partition_subalgoE4EjNS0_10empty_typeEbEEZZNS1_14partition_implILS8_4ELb0ES6_15HIP_vector_typeIjLj2EENS0_17counting_iteratorIjlEEPS9_SG_NS0_5tupleIJPjSI_NS0_16reverse_iteratorISI_EEEEENSH_IJSG_SG_SG_EEES9_SI_JZNS1_25segmented_radix_sort_implINS0_14default_configELb0EPKhPhPKlPlN2at6native12_GLOBAL__N_18offset_tEEE10hipError_tPvRmT1_PNSt15iterator_traitsIS12_E10value_typeET2_T3_PNS13_IS18_E10value_typeET4_jRbjT5_S1E_jjP12ihipStream_tbEUljE_ZNSN_ISO_Lb0ESQ_SR_ST_SU_SY_EESZ_S10_S11_S12_S16_S17_S18_S1B_S1C_jS1D_jS1E_S1E_jjS1G_bEUljE0_EEESZ_S10_S11_S18_S1C_S1E_T6_T7_T9_mT8_S1G_bDpT10_ENKUlT_T0_E_clISt17integral_constantIbLb1EES1U_EEDaS1P_S1Q_EUlS1P_E_NS1_11comp_targetILNS1_3genE9ELNS1_11target_archE1100ELNS1_3gpuE3ELNS1_3repE0EEENS1_30default_config_static_selectorELNS0_4arch9wavefront6targetE0EEEvS12_.has_recursion, 0
	.set _ZN7rocprim17ROCPRIM_400000_NS6detail17trampoline_kernelINS0_13select_configILj256ELj13ELNS0_17block_load_methodE3ELS4_3ELS4_3ELNS0_20block_scan_algorithmE0ELj4294967295EEENS1_25partition_config_selectorILNS1_17partition_subalgoE4EjNS0_10empty_typeEbEEZZNS1_14partition_implILS8_4ELb0ES6_15HIP_vector_typeIjLj2EENS0_17counting_iteratorIjlEEPS9_SG_NS0_5tupleIJPjSI_NS0_16reverse_iteratorISI_EEEEENSH_IJSG_SG_SG_EEES9_SI_JZNS1_25segmented_radix_sort_implINS0_14default_configELb0EPKhPhPKlPlN2at6native12_GLOBAL__N_18offset_tEEE10hipError_tPvRmT1_PNSt15iterator_traitsIS12_E10value_typeET2_T3_PNS13_IS18_E10value_typeET4_jRbjT5_S1E_jjP12ihipStream_tbEUljE_ZNSN_ISO_Lb0ESQ_SR_ST_SU_SY_EESZ_S10_S11_S12_S16_S17_S18_S1B_S1C_jS1D_jS1E_S1E_jjS1G_bEUljE0_EEESZ_S10_S11_S18_S1C_S1E_T6_T7_T9_mT8_S1G_bDpT10_ENKUlT_T0_E_clISt17integral_constantIbLb1EES1U_EEDaS1P_S1Q_EUlS1P_E_NS1_11comp_targetILNS1_3genE9ELNS1_11target_archE1100ELNS1_3gpuE3ELNS1_3repE0EEENS1_30default_config_static_selectorELNS0_4arch9wavefront6targetE0EEEvS12_.has_indirect_call, 0
	.section	.AMDGPU.csdata,"",@progbits
; Kernel info:
; codeLenInByte = 0
; TotalNumSgprs: 0
; NumVgprs: 0
; ScratchSize: 0
; MemoryBound: 0
; FloatMode: 240
; IeeeMode: 1
; LDSByteSize: 0 bytes/workgroup (compile time only)
; SGPRBlocks: 0
; VGPRBlocks: 0
; NumSGPRsForWavesPerEU: 1
; NumVGPRsForWavesPerEU: 1
; Occupancy: 16
; WaveLimiterHint : 0
; COMPUTE_PGM_RSRC2:SCRATCH_EN: 0
; COMPUTE_PGM_RSRC2:USER_SGPR: 6
; COMPUTE_PGM_RSRC2:TRAP_HANDLER: 0
; COMPUTE_PGM_RSRC2:TGID_X_EN: 1
; COMPUTE_PGM_RSRC2:TGID_Y_EN: 0
; COMPUTE_PGM_RSRC2:TGID_Z_EN: 0
; COMPUTE_PGM_RSRC2:TIDIG_COMP_CNT: 0
	.section	.text._ZN7rocprim17ROCPRIM_400000_NS6detail17trampoline_kernelINS0_13select_configILj256ELj13ELNS0_17block_load_methodE3ELS4_3ELS4_3ELNS0_20block_scan_algorithmE0ELj4294967295EEENS1_25partition_config_selectorILNS1_17partition_subalgoE4EjNS0_10empty_typeEbEEZZNS1_14partition_implILS8_4ELb0ES6_15HIP_vector_typeIjLj2EENS0_17counting_iteratorIjlEEPS9_SG_NS0_5tupleIJPjSI_NS0_16reverse_iteratorISI_EEEEENSH_IJSG_SG_SG_EEES9_SI_JZNS1_25segmented_radix_sort_implINS0_14default_configELb0EPKhPhPKlPlN2at6native12_GLOBAL__N_18offset_tEEE10hipError_tPvRmT1_PNSt15iterator_traitsIS12_E10value_typeET2_T3_PNS13_IS18_E10value_typeET4_jRbjT5_S1E_jjP12ihipStream_tbEUljE_ZNSN_ISO_Lb0ESQ_SR_ST_SU_SY_EESZ_S10_S11_S12_S16_S17_S18_S1B_S1C_jS1D_jS1E_S1E_jjS1G_bEUljE0_EEESZ_S10_S11_S18_S1C_S1E_T6_T7_T9_mT8_S1G_bDpT10_ENKUlT_T0_E_clISt17integral_constantIbLb1EES1U_EEDaS1P_S1Q_EUlS1P_E_NS1_11comp_targetILNS1_3genE8ELNS1_11target_archE1030ELNS1_3gpuE2ELNS1_3repE0EEENS1_30default_config_static_selectorELNS0_4arch9wavefront6targetE0EEEvS12_,"axG",@progbits,_ZN7rocprim17ROCPRIM_400000_NS6detail17trampoline_kernelINS0_13select_configILj256ELj13ELNS0_17block_load_methodE3ELS4_3ELS4_3ELNS0_20block_scan_algorithmE0ELj4294967295EEENS1_25partition_config_selectorILNS1_17partition_subalgoE4EjNS0_10empty_typeEbEEZZNS1_14partition_implILS8_4ELb0ES6_15HIP_vector_typeIjLj2EENS0_17counting_iteratorIjlEEPS9_SG_NS0_5tupleIJPjSI_NS0_16reverse_iteratorISI_EEEEENSH_IJSG_SG_SG_EEES9_SI_JZNS1_25segmented_radix_sort_implINS0_14default_configELb0EPKhPhPKlPlN2at6native12_GLOBAL__N_18offset_tEEE10hipError_tPvRmT1_PNSt15iterator_traitsIS12_E10value_typeET2_T3_PNS13_IS18_E10value_typeET4_jRbjT5_S1E_jjP12ihipStream_tbEUljE_ZNSN_ISO_Lb0ESQ_SR_ST_SU_SY_EESZ_S10_S11_S12_S16_S17_S18_S1B_S1C_jS1D_jS1E_S1E_jjS1G_bEUljE0_EEESZ_S10_S11_S18_S1C_S1E_T6_T7_T9_mT8_S1G_bDpT10_ENKUlT_T0_E_clISt17integral_constantIbLb1EES1U_EEDaS1P_S1Q_EUlS1P_E_NS1_11comp_targetILNS1_3genE8ELNS1_11target_archE1030ELNS1_3gpuE2ELNS1_3repE0EEENS1_30default_config_static_selectorELNS0_4arch9wavefront6targetE0EEEvS12_,comdat
	.globl	_ZN7rocprim17ROCPRIM_400000_NS6detail17trampoline_kernelINS0_13select_configILj256ELj13ELNS0_17block_load_methodE3ELS4_3ELS4_3ELNS0_20block_scan_algorithmE0ELj4294967295EEENS1_25partition_config_selectorILNS1_17partition_subalgoE4EjNS0_10empty_typeEbEEZZNS1_14partition_implILS8_4ELb0ES6_15HIP_vector_typeIjLj2EENS0_17counting_iteratorIjlEEPS9_SG_NS0_5tupleIJPjSI_NS0_16reverse_iteratorISI_EEEEENSH_IJSG_SG_SG_EEES9_SI_JZNS1_25segmented_radix_sort_implINS0_14default_configELb0EPKhPhPKlPlN2at6native12_GLOBAL__N_18offset_tEEE10hipError_tPvRmT1_PNSt15iterator_traitsIS12_E10value_typeET2_T3_PNS13_IS18_E10value_typeET4_jRbjT5_S1E_jjP12ihipStream_tbEUljE_ZNSN_ISO_Lb0ESQ_SR_ST_SU_SY_EESZ_S10_S11_S12_S16_S17_S18_S1B_S1C_jS1D_jS1E_S1E_jjS1G_bEUljE0_EEESZ_S10_S11_S18_S1C_S1E_T6_T7_T9_mT8_S1G_bDpT10_ENKUlT_T0_E_clISt17integral_constantIbLb1EES1U_EEDaS1P_S1Q_EUlS1P_E_NS1_11comp_targetILNS1_3genE8ELNS1_11target_archE1030ELNS1_3gpuE2ELNS1_3repE0EEENS1_30default_config_static_selectorELNS0_4arch9wavefront6targetE0EEEvS12_ ; -- Begin function _ZN7rocprim17ROCPRIM_400000_NS6detail17trampoline_kernelINS0_13select_configILj256ELj13ELNS0_17block_load_methodE3ELS4_3ELS4_3ELNS0_20block_scan_algorithmE0ELj4294967295EEENS1_25partition_config_selectorILNS1_17partition_subalgoE4EjNS0_10empty_typeEbEEZZNS1_14partition_implILS8_4ELb0ES6_15HIP_vector_typeIjLj2EENS0_17counting_iteratorIjlEEPS9_SG_NS0_5tupleIJPjSI_NS0_16reverse_iteratorISI_EEEEENSH_IJSG_SG_SG_EEES9_SI_JZNS1_25segmented_radix_sort_implINS0_14default_configELb0EPKhPhPKlPlN2at6native12_GLOBAL__N_18offset_tEEE10hipError_tPvRmT1_PNSt15iterator_traitsIS12_E10value_typeET2_T3_PNS13_IS18_E10value_typeET4_jRbjT5_S1E_jjP12ihipStream_tbEUljE_ZNSN_ISO_Lb0ESQ_SR_ST_SU_SY_EESZ_S10_S11_S12_S16_S17_S18_S1B_S1C_jS1D_jS1E_S1E_jjS1G_bEUljE0_EEESZ_S10_S11_S18_S1C_S1E_T6_T7_T9_mT8_S1G_bDpT10_ENKUlT_T0_E_clISt17integral_constantIbLb1EES1U_EEDaS1P_S1Q_EUlS1P_E_NS1_11comp_targetILNS1_3genE8ELNS1_11target_archE1030ELNS1_3gpuE2ELNS1_3repE0EEENS1_30default_config_static_selectorELNS0_4arch9wavefront6targetE0EEEvS12_
	.p2align	8
	.type	_ZN7rocprim17ROCPRIM_400000_NS6detail17trampoline_kernelINS0_13select_configILj256ELj13ELNS0_17block_load_methodE3ELS4_3ELS4_3ELNS0_20block_scan_algorithmE0ELj4294967295EEENS1_25partition_config_selectorILNS1_17partition_subalgoE4EjNS0_10empty_typeEbEEZZNS1_14partition_implILS8_4ELb0ES6_15HIP_vector_typeIjLj2EENS0_17counting_iteratorIjlEEPS9_SG_NS0_5tupleIJPjSI_NS0_16reverse_iteratorISI_EEEEENSH_IJSG_SG_SG_EEES9_SI_JZNS1_25segmented_radix_sort_implINS0_14default_configELb0EPKhPhPKlPlN2at6native12_GLOBAL__N_18offset_tEEE10hipError_tPvRmT1_PNSt15iterator_traitsIS12_E10value_typeET2_T3_PNS13_IS18_E10value_typeET4_jRbjT5_S1E_jjP12ihipStream_tbEUljE_ZNSN_ISO_Lb0ESQ_SR_ST_SU_SY_EESZ_S10_S11_S12_S16_S17_S18_S1B_S1C_jS1D_jS1E_S1E_jjS1G_bEUljE0_EEESZ_S10_S11_S18_S1C_S1E_T6_T7_T9_mT8_S1G_bDpT10_ENKUlT_T0_E_clISt17integral_constantIbLb1EES1U_EEDaS1P_S1Q_EUlS1P_E_NS1_11comp_targetILNS1_3genE8ELNS1_11target_archE1030ELNS1_3gpuE2ELNS1_3repE0EEENS1_30default_config_static_selectorELNS0_4arch9wavefront6targetE0EEEvS12_,@function
_ZN7rocprim17ROCPRIM_400000_NS6detail17trampoline_kernelINS0_13select_configILj256ELj13ELNS0_17block_load_methodE3ELS4_3ELS4_3ELNS0_20block_scan_algorithmE0ELj4294967295EEENS1_25partition_config_selectorILNS1_17partition_subalgoE4EjNS0_10empty_typeEbEEZZNS1_14partition_implILS8_4ELb0ES6_15HIP_vector_typeIjLj2EENS0_17counting_iteratorIjlEEPS9_SG_NS0_5tupleIJPjSI_NS0_16reverse_iteratorISI_EEEEENSH_IJSG_SG_SG_EEES9_SI_JZNS1_25segmented_radix_sort_implINS0_14default_configELb0EPKhPhPKlPlN2at6native12_GLOBAL__N_18offset_tEEE10hipError_tPvRmT1_PNSt15iterator_traitsIS12_E10value_typeET2_T3_PNS13_IS18_E10value_typeET4_jRbjT5_S1E_jjP12ihipStream_tbEUljE_ZNSN_ISO_Lb0ESQ_SR_ST_SU_SY_EESZ_S10_S11_S12_S16_S17_S18_S1B_S1C_jS1D_jS1E_S1E_jjS1G_bEUljE0_EEESZ_S10_S11_S18_S1C_S1E_T6_T7_T9_mT8_S1G_bDpT10_ENKUlT_T0_E_clISt17integral_constantIbLb1EES1U_EEDaS1P_S1Q_EUlS1P_E_NS1_11comp_targetILNS1_3genE8ELNS1_11target_archE1030ELNS1_3gpuE2ELNS1_3repE0EEENS1_30default_config_static_selectorELNS0_4arch9wavefront6targetE0EEEvS12_: ; @_ZN7rocprim17ROCPRIM_400000_NS6detail17trampoline_kernelINS0_13select_configILj256ELj13ELNS0_17block_load_methodE3ELS4_3ELS4_3ELNS0_20block_scan_algorithmE0ELj4294967295EEENS1_25partition_config_selectorILNS1_17partition_subalgoE4EjNS0_10empty_typeEbEEZZNS1_14partition_implILS8_4ELb0ES6_15HIP_vector_typeIjLj2EENS0_17counting_iteratorIjlEEPS9_SG_NS0_5tupleIJPjSI_NS0_16reverse_iteratorISI_EEEEENSH_IJSG_SG_SG_EEES9_SI_JZNS1_25segmented_radix_sort_implINS0_14default_configELb0EPKhPhPKlPlN2at6native12_GLOBAL__N_18offset_tEEE10hipError_tPvRmT1_PNSt15iterator_traitsIS12_E10value_typeET2_T3_PNS13_IS18_E10value_typeET4_jRbjT5_S1E_jjP12ihipStream_tbEUljE_ZNSN_ISO_Lb0ESQ_SR_ST_SU_SY_EESZ_S10_S11_S12_S16_S17_S18_S1B_S1C_jS1D_jS1E_S1E_jjS1G_bEUljE0_EEESZ_S10_S11_S18_S1C_S1E_T6_T7_T9_mT8_S1G_bDpT10_ENKUlT_T0_E_clISt17integral_constantIbLb1EES1U_EEDaS1P_S1Q_EUlS1P_E_NS1_11comp_targetILNS1_3genE8ELNS1_11target_archE1030ELNS1_3gpuE2ELNS1_3repE0EEENS1_30default_config_static_selectorELNS0_4arch9wavefront6targetE0EEEvS12_
; %bb.0:
	s_endpgm
	.section	.rodata,"a",@progbits
	.p2align	6, 0x0
	.amdhsa_kernel _ZN7rocprim17ROCPRIM_400000_NS6detail17trampoline_kernelINS0_13select_configILj256ELj13ELNS0_17block_load_methodE3ELS4_3ELS4_3ELNS0_20block_scan_algorithmE0ELj4294967295EEENS1_25partition_config_selectorILNS1_17partition_subalgoE4EjNS0_10empty_typeEbEEZZNS1_14partition_implILS8_4ELb0ES6_15HIP_vector_typeIjLj2EENS0_17counting_iteratorIjlEEPS9_SG_NS0_5tupleIJPjSI_NS0_16reverse_iteratorISI_EEEEENSH_IJSG_SG_SG_EEES9_SI_JZNS1_25segmented_radix_sort_implINS0_14default_configELb0EPKhPhPKlPlN2at6native12_GLOBAL__N_18offset_tEEE10hipError_tPvRmT1_PNSt15iterator_traitsIS12_E10value_typeET2_T3_PNS13_IS18_E10value_typeET4_jRbjT5_S1E_jjP12ihipStream_tbEUljE_ZNSN_ISO_Lb0ESQ_SR_ST_SU_SY_EESZ_S10_S11_S12_S16_S17_S18_S1B_S1C_jS1D_jS1E_S1E_jjS1G_bEUljE0_EEESZ_S10_S11_S18_S1C_S1E_T6_T7_T9_mT8_S1G_bDpT10_ENKUlT_T0_E_clISt17integral_constantIbLb1EES1U_EEDaS1P_S1Q_EUlS1P_E_NS1_11comp_targetILNS1_3genE8ELNS1_11target_archE1030ELNS1_3gpuE2ELNS1_3repE0EEENS1_30default_config_static_selectorELNS0_4arch9wavefront6targetE0EEEvS12_
		.amdhsa_group_segment_fixed_size 0
		.amdhsa_private_segment_fixed_size 0
		.amdhsa_kernarg_size 184
		.amdhsa_user_sgpr_count 6
		.amdhsa_user_sgpr_private_segment_buffer 1
		.amdhsa_user_sgpr_dispatch_ptr 0
		.amdhsa_user_sgpr_queue_ptr 0
		.amdhsa_user_sgpr_kernarg_segment_ptr 1
		.amdhsa_user_sgpr_dispatch_id 0
		.amdhsa_user_sgpr_flat_scratch_init 0
		.amdhsa_user_sgpr_private_segment_size 0
		.amdhsa_wavefront_size32 1
		.amdhsa_uses_dynamic_stack 0
		.amdhsa_system_sgpr_private_segment_wavefront_offset 0
		.amdhsa_system_sgpr_workgroup_id_x 1
		.amdhsa_system_sgpr_workgroup_id_y 0
		.amdhsa_system_sgpr_workgroup_id_z 0
		.amdhsa_system_sgpr_workgroup_info 0
		.amdhsa_system_vgpr_workitem_id 0
		.amdhsa_next_free_vgpr 1
		.amdhsa_next_free_sgpr 1
		.amdhsa_reserve_vcc 0
		.amdhsa_reserve_flat_scratch 0
		.amdhsa_float_round_mode_32 0
		.amdhsa_float_round_mode_16_64 0
		.amdhsa_float_denorm_mode_32 3
		.amdhsa_float_denorm_mode_16_64 3
		.amdhsa_dx10_clamp 1
		.amdhsa_ieee_mode 1
		.amdhsa_fp16_overflow 0
		.amdhsa_workgroup_processor_mode 1
		.amdhsa_memory_ordered 1
		.amdhsa_forward_progress 1
		.amdhsa_shared_vgpr_count 0
		.amdhsa_exception_fp_ieee_invalid_op 0
		.amdhsa_exception_fp_denorm_src 0
		.amdhsa_exception_fp_ieee_div_zero 0
		.amdhsa_exception_fp_ieee_overflow 0
		.amdhsa_exception_fp_ieee_underflow 0
		.amdhsa_exception_fp_ieee_inexact 0
		.amdhsa_exception_int_div_zero 0
	.end_amdhsa_kernel
	.section	.text._ZN7rocprim17ROCPRIM_400000_NS6detail17trampoline_kernelINS0_13select_configILj256ELj13ELNS0_17block_load_methodE3ELS4_3ELS4_3ELNS0_20block_scan_algorithmE0ELj4294967295EEENS1_25partition_config_selectorILNS1_17partition_subalgoE4EjNS0_10empty_typeEbEEZZNS1_14partition_implILS8_4ELb0ES6_15HIP_vector_typeIjLj2EENS0_17counting_iteratorIjlEEPS9_SG_NS0_5tupleIJPjSI_NS0_16reverse_iteratorISI_EEEEENSH_IJSG_SG_SG_EEES9_SI_JZNS1_25segmented_radix_sort_implINS0_14default_configELb0EPKhPhPKlPlN2at6native12_GLOBAL__N_18offset_tEEE10hipError_tPvRmT1_PNSt15iterator_traitsIS12_E10value_typeET2_T3_PNS13_IS18_E10value_typeET4_jRbjT5_S1E_jjP12ihipStream_tbEUljE_ZNSN_ISO_Lb0ESQ_SR_ST_SU_SY_EESZ_S10_S11_S12_S16_S17_S18_S1B_S1C_jS1D_jS1E_S1E_jjS1G_bEUljE0_EEESZ_S10_S11_S18_S1C_S1E_T6_T7_T9_mT8_S1G_bDpT10_ENKUlT_T0_E_clISt17integral_constantIbLb1EES1U_EEDaS1P_S1Q_EUlS1P_E_NS1_11comp_targetILNS1_3genE8ELNS1_11target_archE1030ELNS1_3gpuE2ELNS1_3repE0EEENS1_30default_config_static_selectorELNS0_4arch9wavefront6targetE0EEEvS12_,"axG",@progbits,_ZN7rocprim17ROCPRIM_400000_NS6detail17trampoline_kernelINS0_13select_configILj256ELj13ELNS0_17block_load_methodE3ELS4_3ELS4_3ELNS0_20block_scan_algorithmE0ELj4294967295EEENS1_25partition_config_selectorILNS1_17partition_subalgoE4EjNS0_10empty_typeEbEEZZNS1_14partition_implILS8_4ELb0ES6_15HIP_vector_typeIjLj2EENS0_17counting_iteratorIjlEEPS9_SG_NS0_5tupleIJPjSI_NS0_16reverse_iteratorISI_EEEEENSH_IJSG_SG_SG_EEES9_SI_JZNS1_25segmented_radix_sort_implINS0_14default_configELb0EPKhPhPKlPlN2at6native12_GLOBAL__N_18offset_tEEE10hipError_tPvRmT1_PNSt15iterator_traitsIS12_E10value_typeET2_T3_PNS13_IS18_E10value_typeET4_jRbjT5_S1E_jjP12ihipStream_tbEUljE_ZNSN_ISO_Lb0ESQ_SR_ST_SU_SY_EESZ_S10_S11_S12_S16_S17_S18_S1B_S1C_jS1D_jS1E_S1E_jjS1G_bEUljE0_EEESZ_S10_S11_S18_S1C_S1E_T6_T7_T9_mT8_S1G_bDpT10_ENKUlT_T0_E_clISt17integral_constantIbLb1EES1U_EEDaS1P_S1Q_EUlS1P_E_NS1_11comp_targetILNS1_3genE8ELNS1_11target_archE1030ELNS1_3gpuE2ELNS1_3repE0EEENS1_30default_config_static_selectorELNS0_4arch9wavefront6targetE0EEEvS12_,comdat
.Lfunc_end136:
	.size	_ZN7rocprim17ROCPRIM_400000_NS6detail17trampoline_kernelINS0_13select_configILj256ELj13ELNS0_17block_load_methodE3ELS4_3ELS4_3ELNS0_20block_scan_algorithmE0ELj4294967295EEENS1_25partition_config_selectorILNS1_17partition_subalgoE4EjNS0_10empty_typeEbEEZZNS1_14partition_implILS8_4ELb0ES6_15HIP_vector_typeIjLj2EENS0_17counting_iteratorIjlEEPS9_SG_NS0_5tupleIJPjSI_NS0_16reverse_iteratorISI_EEEEENSH_IJSG_SG_SG_EEES9_SI_JZNS1_25segmented_radix_sort_implINS0_14default_configELb0EPKhPhPKlPlN2at6native12_GLOBAL__N_18offset_tEEE10hipError_tPvRmT1_PNSt15iterator_traitsIS12_E10value_typeET2_T3_PNS13_IS18_E10value_typeET4_jRbjT5_S1E_jjP12ihipStream_tbEUljE_ZNSN_ISO_Lb0ESQ_SR_ST_SU_SY_EESZ_S10_S11_S12_S16_S17_S18_S1B_S1C_jS1D_jS1E_S1E_jjS1G_bEUljE0_EEESZ_S10_S11_S18_S1C_S1E_T6_T7_T9_mT8_S1G_bDpT10_ENKUlT_T0_E_clISt17integral_constantIbLb1EES1U_EEDaS1P_S1Q_EUlS1P_E_NS1_11comp_targetILNS1_3genE8ELNS1_11target_archE1030ELNS1_3gpuE2ELNS1_3repE0EEENS1_30default_config_static_selectorELNS0_4arch9wavefront6targetE0EEEvS12_, .Lfunc_end136-_ZN7rocprim17ROCPRIM_400000_NS6detail17trampoline_kernelINS0_13select_configILj256ELj13ELNS0_17block_load_methodE3ELS4_3ELS4_3ELNS0_20block_scan_algorithmE0ELj4294967295EEENS1_25partition_config_selectorILNS1_17partition_subalgoE4EjNS0_10empty_typeEbEEZZNS1_14partition_implILS8_4ELb0ES6_15HIP_vector_typeIjLj2EENS0_17counting_iteratorIjlEEPS9_SG_NS0_5tupleIJPjSI_NS0_16reverse_iteratorISI_EEEEENSH_IJSG_SG_SG_EEES9_SI_JZNS1_25segmented_radix_sort_implINS0_14default_configELb0EPKhPhPKlPlN2at6native12_GLOBAL__N_18offset_tEEE10hipError_tPvRmT1_PNSt15iterator_traitsIS12_E10value_typeET2_T3_PNS13_IS18_E10value_typeET4_jRbjT5_S1E_jjP12ihipStream_tbEUljE_ZNSN_ISO_Lb0ESQ_SR_ST_SU_SY_EESZ_S10_S11_S12_S16_S17_S18_S1B_S1C_jS1D_jS1E_S1E_jjS1G_bEUljE0_EEESZ_S10_S11_S18_S1C_S1E_T6_T7_T9_mT8_S1G_bDpT10_ENKUlT_T0_E_clISt17integral_constantIbLb1EES1U_EEDaS1P_S1Q_EUlS1P_E_NS1_11comp_targetILNS1_3genE8ELNS1_11target_archE1030ELNS1_3gpuE2ELNS1_3repE0EEENS1_30default_config_static_selectorELNS0_4arch9wavefront6targetE0EEEvS12_
                                        ; -- End function
	.set _ZN7rocprim17ROCPRIM_400000_NS6detail17trampoline_kernelINS0_13select_configILj256ELj13ELNS0_17block_load_methodE3ELS4_3ELS4_3ELNS0_20block_scan_algorithmE0ELj4294967295EEENS1_25partition_config_selectorILNS1_17partition_subalgoE4EjNS0_10empty_typeEbEEZZNS1_14partition_implILS8_4ELb0ES6_15HIP_vector_typeIjLj2EENS0_17counting_iteratorIjlEEPS9_SG_NS0_5tupleIJPjSI_NS0_16reverse_iteratorISI_EEEEENSH_IJSG_SG_SG_EEES9_SI_JZNS1_25segmented_radix_sort_implINS0_14default_configELb0EPKhPhPKlPlN2at6native12_GLOBAL__N_18offset_tEEE10hipError_tPvRmT1_PNSt15iterator_traitsIS12_E10value_typeET2_T3_PNS13_IS18_E10value_typeET4_jRbjT5_S1E_jjP12ihipStream_tbEUljE_ZNSN_ISO_Lb0ESQ_SR_ST_SU_SY_EESZ_S10_S11_S12_S16_S17_S18_S1B_S1C_jS1D_jS1E_S1E_jjS1G_bEUljE0_EEESZ_S10_S11_S18_S1C_S1E_T6_T7_T9_mT8_S1G_bDpT10_ENKUlT_T0_E_clISt17integral_constantIbLb1EES1U_EEDaS1P_S1Q_EUlS1P_E_NS1_11comp_targetILNS1_3genE8ELNS1_11target_archE1030ELNS1_3gpuE2ELNS1_3repE0EEENS1_30default_config_static_selectorELNS0_4arch9wavefront6targetE0EEEvS12_.num_vgpr, 0
	.set _ZN7rocprim17ROCPRIM_400000_NS6detail17trampoline_kernelINS0_13select_configILj256ELj13ELNS0_17block_load_methodE3ELS4_3ELS4_3ELNS0_20block_scan_algorithmE0ELj4294967295EEENS1_25partition_config_selectorILNS1_17partition_subalgoE4EjNS0_10empty_typeEbEEZZNS1_14partition_implILS8_4ELb0ES6_15HIP_vector_typeIjLj2EENS0_17counting_iteratorIjlEEPS9_SG_NS0_5tupleIJPjSI_NS0_16reverse_iteratorISI_EEEEENSH_IJSG_SG_SG_EEES9_SI_JZNS1_25segmented_radix_sort_implINS0_14default_configELb0EPKhPhPKlPlN2at6native12_GLOBAL__N_18offset_tEEE10hipError_tPvRmT1_PNSt15iterator_traitsIS12_E10value_typeET2_T3_PNS13_IS18_E10value_typeET4_jRbjT5_S1E_jjP12ihipStream_tbEUljE_ZNSN_ISO_Lb0ESQ_SR_ST_SU_SY_EESZ_S10_S11_S12_S16_S17_S18_S1B_S1C_jS1D_jS1E_S1E_jjS1G_bEUljE0_EEESZ_S10_S11_S18_S1C_S1E_T6_T7_T9_mT8_S1G_bDpT10_ENKUlT_T0_E_clISt17integral_constantIbLb1EES1U_EEDaS1P_S1Q_EUlS1P_E_NS1_11comp_targetILNS1_3genE8ELNS1_11target_archE1030ELNS1_3gpuE2ELNS1_3repE0EEENS1_30default_config_static_selectorELNS0_4arch9wavefront6targetE0EEEvS12_.num_agpr, 0
	.set _ZN7rocprim17ROCPRIM_400000_NS6detail17trampoline_kernelINS0_13select_configILj256ELj13ELNS0_17block_load_methodE3ELS4_3ELS4_3ELNS0_20block_scan_algorithmE0ELj4294967295EEENS1_25partition_config_selectorILNS1_17partition_subalgoE4EjNS0_10empty_typeEbEEZZNS1_14partition_implILS8_4ELb0ES6_15HIP_vector_typeIjLj2EENS0_17counting_iteratorIjlEEPS9_SG_NS0_5tupleIJPjSI_NS0_16reverse_iteratorISI_EEEEENSH_IJSG_SG_SG_EEES9_SI_JZNS1_25segmented_radix_sort_implINS0_14default_configELb0EPKhPhPKlPlN2at6native12_GLOBAL__N_18offset_tEEE10hipError_tPvRmT1_PNSt15iterator_traitsIS12_E10value_typeET2_T3_PNS13_IS18_E10value_typeET4_jRbjT5_S1E_jjP12ihipStream_tbEUljE_ZNSN_ISO_Lb0ESQ_SR_ST_SU_SY_EESZ_S10_S11_S12_S16_S17_S18_S1B_S1C_jS1D_jS1E_S1E_jjS1G_bEUljE0_EEESZ_S10_S11_S18_S1C_S1E_T6_T7_T9_mT8_S1G_bDpT10_ENKUlT_T0_E_clISt17integral_constantIbLb1EES1U_EEDaS1P_S1Q_EUlS1P_E_NS1_11comp_targetILNS1_3genE8ELNS1_11target_archE1030ELNS1_3gpuE2ELNS1_3repE0EEENS1_30default_config_static_selectorELNS0_4arch9wavefront6targetE0EEEvS12_.numbered_sgpr, 0
	.set _ZN7rocprim17ROCPRIM_400000_NS6detail17trampoline_kernelINS0_13select_configILj256ELj13ELNS0_17block_load_methodE3ELS4_3ELS4_3ELNS0_20block_scan_algorithmE0ELj4294967295EEENS1_25partition_config_selectorILNS1_17partition_subalgoE4EjNS0_10empty_typeEbEEZZNS1_14partition_implILS8_4ELb0ES6_15HIP_vector_typeIjLj2EENS0_17counting_iteratorIjlEEPS9_SG_NS0_5tupleIJPjSI_NS0_16reverse_iteratorISI_EEEEENSH_IJSG_SG_SG_EEES9_SI_JZNS1_25segmented_radix_sort_implINS0_14default_configELb0EPKhPhPKlPlN2at6native12_GLOBAL__N_18offset_tEEE10hipError_tPvRmT1_PNSt15iterator_traitsIS12_E10value_typeET2_T3_PNS13_IS18_E10value_typeET4_jRbjT5_S1E_jjP12ihipStream_tbEUljE_ZNSN_ISO_Lb0ESQ_SR_ST_SU_SY_EESZ_S10_S11_S12_S16_S17_S18_S1B_S1C_jS1D_jS1E_S1E_jjS1G_bEUljE0_EEESZ_S10_S11_S18_S1C_S1E_T6_T7_T9_mT8_S1G_bDpT10_ENKUlT_T0_E_clISt17integral_constantIbLb1EES1U_EEDaS1P_S1Q_EUlS1P_E_NS1_11comp_targetILNS1_3genE8ELNS1_11target_archE1030ELNS1_3gpuE2ELNS1_3repE0EEENS1_30default_config_static_selectorELNS0_4arch9wavefront6targetE0EEEvS12_.num_named_barrier, 0
	.set _ZN7rocprim17ROCPRIM_400000_NS6detail17trampoline_kernelINS0_13select_configILj256ELj13ELNS0_17block_load_methodE3ELS4_3ELS4_3ELNS0_20block_scan_algorithmE0ELj4294967295EEENS1_25partition_config_selectorILNS1_17partition_subalgoE4EjNS0_10empty_typeEbEEZZNS1_14partition_implILS8_4ELb0ES6_15HIP_vector_typeIjLj2EENS0_17counting_iteratorIjlEEPS9_SG_NS0_5tupleIJPjSI_NS0_16reverse_iteratorISI_EEEEENSH_IJSG_SG_SG_EEES9_SI_JZNS1_25segmented_radix_sort_implINS0_14default_configELb0EPKhPhPKlPlN2at6native12_GLOBAL__N_18offset_tEEE10hipError_tPvRmT1_PNSt15iterator_traitsIS12_E10value_typeET2_T3_PNS13_IS18_E10value_typeET4_jRbjT5_S1E_jjP12ihipStream_tbEUljE_ZNSN_ISO_Lb0ESQ_SR_ST_SU_SY_EESZ_S10_S11_S12_S16_S17_S18_S1B_S1C_jS1D_jS1E_S1E_jjS1G_bEUljE0_EEESZ_S10_S11_S18_S1C_S1E_T6_T7_T9_mT8_S1G_bDpT10_ENKUlT_T0_E_clISt17integral_constantIbLb1EES1U_EEDaS1P_S1Q_EUlS1P_E_NS1_11comp_targetILNS1_3genE8ELNS1_11target_archE1030ELNS1_3gpuE2ELNS1_3repE0EEENS1_30default_config_static_selectorELNS0_4arch9wavefront6targetE0EEEvS12_.private_seg_size, 0
	.set _ZN7rocprim17ROCPRIM_400000_NS6detail17trampoline_kernelINS0_13select_configILj256ELj13ELNS0_17block_load_methodE3ELS4_3ELS4_3ELNS0_20block_scan_algorithmE0ELj4294967295EEENS1_25partition_config_selectorILNS1_17partition_subalgoE4EjNS0_10empty_typeEbEEZZNS1_14partition_implILS8_4ELb0ES6_15HIP_vector_typeIjLj2EENS0_17counting_iteratorIjlEEPS9_SG_NS0_5tupleIJPjSI_NS0_16reverse_iteratorISI_EEEEENSH_IJSG_SG_SG_EEES9_SI_JZNS1_25segmented_radix_sort_implINS0_14default_configELb0EPKhPhPKlPlN2at6native12_GLOBAL__N_18offset_tEEE10hipError_tPvRmT1_PNSt15iterator_traitsIS12_E10value_typeET2_T3_PNS13_IS18_E10value_typeET4_jRbjT5_S1E_jjP12ihipStream_tbEUljE_ZNSN_ISO_Lb0ESQ_SR_ST_SU_SY_EESZ_S10_S11_S12_S16_S17_S18_S1B_S1C_jS1D_jS1E_S1E_jjS1G_bEUljE0_EEESZ_S10_S11_S18_S1C_S1E_T6_T7_T9_mT8_S1G_bDpT10_ENKUlT_T0_E_clISt17integral_constantIbLb1EES1U_EEDaS1P_S1Q_EUlS1P_E_NS1_11comp_targetILNS1_3genE8ELNS1_11target_archE1030ELNS1_3gpuE2ELNS1_3repE0EEENS1_30default_config_static_selectorELNS0_4arch9wavefront6targetE0EEEvS12_.uses_vcc, 0
	.set _ZN7rocprim17ROCPRIM_400000_NS6detail17trampoline_kernelINS0_13select_configILj256ELj13ELNS0_17block_load_methodE3ELS4_3ELS4_3ELNS0_20block_scan_algorithmE0ELj4294967295EEENS1_25partition_config_selectorILNS1_17partition_subalgoE4EjNS0_10empty_typeEbEEZZNS1_14partition_implILS8_4ELb0ES6_15HIP_vector_typeIjLj2EENS0_17counting_iteratorIjlEEPS9_SG_NS0_5tupleIJPjSI_NS0_16reverse_iteratorISI_EEEEENSH_IJSG_SG_SG_EEES9_SI_JZNS1_25segmented_radix_sort_implINS0_14default_configELb0EPKhPhPKlPlN2at6native12_GLOBAL__N_18offset_tEEE10hipError_tPvRmT1_PNSt15iterator_traitsIS12_E10value_typeET2_T3_PNS13_IS18_E10value_typeET4_jRbjT5_S1E_jjP12ihipStream_tbEUljE_ZNSN_ISO_Lb0ESQ_SR_ST_SU_SY_EESZ_S10_S11_S12_S16_S17_S18_S1B_S1C_jS1D_jS1E_S1E_jjS1G_bEUljE0_EEESZ_S10_S11_S18_S1C_S1E_T6_T7_T9_mT8_S1G_bDpT10_ENKUlT_T0_E_clISt17integral_constantIbLb1EES1U_EEDaS1P_S1Q_EUlS1P_E_NS1_11comp_targetILNS1_3genE8ELNS1_11target_archE1030ELNS1_3gpuE2ELNS1_3repE0EEENS1_30default_config_static_selectorELNS0_4arch9wavefront6targetE0EEEvS12_.uses_flat_scratch, 0
	.set _ZN7rocprim17ROCPRIM_400000_NS6detail17trampoline_kernelINS0_13select_configILj256ELj13ELNS0_17block_load_methodE3ELS4_3ELS4_3ELNS0_20block_scan_algorithmE0ELj4294967295EEENS1_25partition_config_selectorILNS1_17partition_subalgoE4EjNS0_10empty_typeEbEEZZNS1_14partition_implILS8_4ELb0ES6_15HIP_vector_typeIjLj2EENS0_17counting_iteratorIjlEEPS9_SG_NS0_5tupleIJPjSI_NS0_16reverse_iteratorISI_EEEEENSH_IJSG_SG_SG_EEES9_SI_JZNS1_25segmented_radix_sort_implINS0_14default_configELb0EPKhPhPKlPlN2at6native12_GLOBAL__N_18offset_tEEE10hipError_tPvRmT1_PNSt15iterator_traitsIS12_E10value_typeET2_T3_PNS13_IS18_E10value_typeET4_jRbjT5_S1E_jjP12ihipStream_tbEUljE_ZNSN_ISO_Lb0ESQ_SR_ST_SU_SY_EESZ_S10_S11_S12_S16_S17_S18_S1B_S1C_jS1D_jS1E_S1E_jjS1G_bEUljE0_EEESZ_S10_S11_S18_S1C_S1E_T6_T7_T9_mT8_S1G_bDpT10_ENKUlT_T0_E_clISt17integral_constantIbLb1EES1U_EEDaS1P_S1Q_EUlS1P_E_NS1_11comp_targetILNS1_3genE8ELNS1_11target_archE1030ELNS1_3gpuE2ELNS1_3repE0EEENS1_30default_config_static_selectorELNS0_4arch9wavefront6targetE0EEEvS12_.has_dyn_sized_stack, 0
	.set _ZN7rocprim17ROCPRIM_400000_NS6detail17trampoline_kernelINS0_13select_configILj256ELj13ELNS0_17block_load_methodE3ELS4_3ELS4_3ELNS0_20block_scan_algorithmE0ELj4294967295EEENS1_25partition_config_selectorILNS1_17partition_subalgoE4EjNS0_10empty_typeEbEEZZNS1_14partition_implILS8_4ELb0ES6_15HIP_vector_typeIjLj2EENS0_17counting_iteratorIjlEEPS9_SG_NS0_5tupleIJPjSI_NS0_16reverse_iteratorISI_EEEEENSH_IJSG_SG_SG_EEES9_SI_JZNS1_25segmented_radix_sort_implINS0_14default_configELb0EPKhPhPKlPlN2at6native12_GLOBAL__N_18offset_tEEE10hipError_tPvRmT1_PNSt15iterator_traitsIS12_E10value_typeET2_T3_PNS13_IS18_E10value_typeET4_jRbjT5_S1E_jjP12ihipStream_tbEUljE_ZNSN_ISO_Lb0ESQ_SR_ST_SU_SY_EESZ_S10_S11_S12_S16_S17_S18_S1B_S1C_jS1D_jS1E_S1E_jjS1G_bEUljE0_EEESZ_S10_S11_S18_S1C_S1E_T6_T7_T9_mT8_S1G_bDpT10_ENKUlT_T0_E_clISt17integral_constantIbLb1EES1U_EEDaS1P_S1Q_EUlS1P_E_NS1_11comp_targetILNS1_3genE8ELNS1_11target_archE1030ELNS1_3gpuE2ELNS1_3repE0EEENS1_30default_config_static_selectorELNS0_4arch9wavefront6targetE0EEEvS12_.has_recursion, 0
	.set _ZN7rocprim17ROCPRIM_400000_NS6detail17trampoline_kernelINS0_13select_configILj256ELj13ELNS0_17block_load_methodE3ELS4_3ELS4_3ELNS0_20block_scan_algorithmE0ELj4294967295EEENS1_25partition_config_selectorILNS1_17partition_subalgoE4EjNS0_10empty_typeEbEEZZNS1_14partition_implILS8_4ELb0ES6_15HIP_vector_typeIjLj2EENS0_17counting_iteratorIjlEEPS9_SG_NS0_5tupleIJPjSI_NS0_16reverse_iteratorISI_EEEEENSH_IJSG_SG_SG_EEES9_SI_JZNS1_25segmented_radix_sort_implINS0_14default_configELb0EPKhPhPKlPlN2at6native12_GLOBAL__N_18offset_tEEE10hipError_tPvRmT1_PNSt15iterator_traitsIS12_E10value_typeET2_T3_PNS13_IS18_E10value_typeET4_jRbjT5_S1E_jjP12ihipStream_tbEUljE_ZNSN_ISO_Lb0ESQ_SR_ST_SU_SY_EESZ_S10_S11_S12_S16_S17_S18_S1B_S1C_jS1D_jS1E_S1E_jjS1G_bEUljE0_EEESZ_S10_S11_S18_S1C_S1E_T6_T7_T9_mT8_S1G_bDpT10_ENKUlT_T0_E_clISt17integral_constantIbLb1EES1U_EEDaS1P_S1Q_EUlS1P_E_NS1_11comp_targetILNS1_3genE8ELNS1_11target_archE1030ELNS1_3gpuE2ELNS1_3repE0EEENS1_30default_config_static_selectorELNS0_4arch9wavefront6targetE0EEEvS12_.has_indirect_call, 0
	.section	.AMDGPU.csdata,"",@progbits
; Kernel info:
; codeLenInByte = 4
; TotalNumSgprs: 0
; NumVgprs: 0
; ScratchSize: 0
; MemoryBound: 0
; FloatMode: 240
; IeeeMode: 1
; LDSByteSize: 0 bytes/workgroup (compile time only)
; SGPRBlocks: 0
; VGPRBlocks: 0
; NumSGPRsForWavesPerEU: 1
; NumVGPRsForWavesPerEU: 1
; Occupancy: 16
; WaveLimiterHint : 0
; COMPUTE_PGM_RSRC2:SCRATCH_EN: 0
; COMPUTE_PGM_RSRC2:USER_SGPR: 6
; COMPUTE_PGM_RSRC2:TRAP_HANDLER: 0
; COMPUTE_PGM_RSRC2:TGID_X_EN: 1
; COMPUTE_PGM_RSRC2:TGID_Y_EN: 0
; COMPUTE_PGM_RSRC2:TGID_Z_EN: 0
; COMPUTE_PGM_RSRC2:TIDIG_COMP_CNT: 0
	.section	.text._ZN7rocprim17ROCPRIM_400000_NS6detail17trampoline_kernelINS0_13select_configILj256ELj13ELNS0_17block_load_methodE3ELS4_3ELS4_3ELNS0_20block_scan_algorithmE0ELj4294967295EEENS1_25partition_config_selectorILNS1_17partition_subalgoE4EjNS0_10empty_typeEbEEZZNS1_14partition_implILS8_4ELb0ES6_15HIP_vector_typeIjLj2EENS0_17counting_iteratorIjlEEPS9_SG_NS0_5tupleIJPjSI_NS0_16reverse_iteratorISI_EEEEENSH_IJSG_SG_SG_EEES9_SI_JZNS1_25segmented_radix_sort_implINS0_14default_configELb0EPKhPhPKlPlN2at6native12_GLOBAL__N_18offset_tEEE10hipError_tPvRmT1_PNSt15iterator_traitsIS12_E10value_typeET2_T3_PNS13_IS18_E10value_typeET4_jRbjT5_S1E_jjP12ihipStream_tbEUljE_ZNSN_ISO_Lb0ESQ_SR_ST_SU_SY_EESZ_S10_S11_S12_S16_S17_S18_S1B_S1C_jS1D_jS1E_S1E_jjS1G_bEUljE0_EEESZ_S10_S11_S18_S1C_S1E_T6_T7_T9_mT8_S1G_bDpT10_ENKUlT_T0_E_clISt17integral_constantIbLb1EES1T_IbLb0EEEEDaS1P_S1Q_EUlS1P_E_NS1_11comp_targetILNS1_3genE0ELNS1_11target_archE4294967295ELNS1_3gpuE0ELNS1_3repE0EEENS1_30default_config_static_selectorELNS0_4arch9wavefront6targetE0EEEvS12_,"axG",@progbits,_ZN7rocprim17ROCPRIM_400000_NS6detail17trampoline_kernelINS0_13select_configILj256ELj13ELNS0_17block_load_methodE3ELS4_3ELS4_3ELNS0_20block_scan_algorithmE0ELj4294967295EEENS1_25partition_config_selectorILNS1_17partition_subalgoE4EjNS0_10empty_typeEbEEZZNS1_14partition_implILS8_4ELb0ES6_15HIP_vector_typeIjLj2EENS0_17counting_iteratorIjlEEPS9_SG_NS0_5tupleIJPjSI_NS0_16reverse_iteratorISI_EEEEENSH_IJSG_SG_SG_EEES9_SI_JZNS1_25segmented_radix_sort_implINS0_14default_configELb0EPKhPhPKlPlN2at6native12_GLOBAL__N_18offset_tEEE10hipError_tPvRmT1_PNSt15iterator_traitsIS12_E10value_typeET2_T3_PNS13_IS18_E10value_typeET4_jRbjT5_S1E_jjP12ihipStream_tbEUljE_ZNSN_ISO_Lb0ESQ_SR_ST_SU_SY_EESZ_S10_S11_S12_S16_S17_S18_S1B_S1C_jS1D_jS1E_S1E_jjS1G_bEUljE0_EEESZ_S10_S11_S18_S1C_S1E_T6_T7_T9_mT8_S1G_bDpT10_ENKUlT_T0_E_clISt17integral_constantIbLb1EES1T_IbLb0EEEEDaS1P_S1Q_EUlS1P_E_NS1_11comp_targetILNS1_3genE0ELNS1_11target_archE4294967295ELNS1_3gpuE0ELNS1_3repE0EEENS1_30default_config_static_selectorELNS0_4arch9wavefront6targetE0EEEvS12_,comdat
	.globl	_ZN7rocprim17ROCPRIM_400000_NS6detail17trampoline_kernelINS0_13select_configILj256ELj13ELNS0_17block_load_methodE3ELS4_3ELS4_3ELNS0_20block_scan_algorithmE0ELj4294967295EEENS1_25partition_config_selectorILNS1_17partition_subalgoE4EjNS0_10empty_typeEbEEZZNS1_14partition_implILS8_4ELb0ES6_15HIP_vector_typeIjLj2EENS0_17counting_iteratorIjlEEPS9_SG_NS0_5tupleIJPjSI_NS0_16reverse_iteratorISI_EEEEENSH_IJSG_SG_SG_EEES9_SI_JZNS1_25segmented_radix_sort_implINS0_14default_configELb0EPKhPhPKlPlN2at6native12_GLOBAL__N_18offset_tEEE10hipError_tPvRmT1_PNSt15iterator_traitsIS12_E10value_typeET2_T3_PNS13_IS18_E10value_typeET4_jRbjT5_S1E_jjP12ihipStream_tbEUljE_ZNSN_ISO_Lb0ESQ_SR_ST_SU_SY_EESZ_S10_S11_S12_S16_S17_S18_S1B_S1C_jS1D_jS1E_S1E_jjS1G_bEUljE0_EEESZ_S10_S11_S18_S1C_S1E_T6_T7_T9_mT8_S1G_bDpT10_ENKUlT_T0_E_clISt17integral_constantIbLb1EES1T_IbLb0EEEEDaS1P_S1Q_EUlS1P_E_NS1_11comp_targetILNS1_3genE0ELNS1_11target_archE4294967295ELNS1_3gpuE0ELNS1_3repE0EEENS1_30default_config_static_selectorELNS0_4arch9wavefront6targetE0EEEvS12_ ; -- Begin function _ZN7rocprim17ROCPRIM_400000_NS6detail17trampoline_kernelINS0_13select_configILj256ELj13ELNS0_17block_load_methodE3ELS4_3ELS4_3ELNS0_20block_scan_algorithmE0ELj4294967295EEENS1_25partition_config_selectorILNS1_17partition_subalgoE4EjNS0_10empty_typeEbEEZZNS1_14partition_implILS8_4ELb0ES6_15HIP_vector_typeIjLj2EENS0_17counting_iteratorIjlEEPS9_SG_NS0_5tupleIJPjSI_NS0_16reverse_iteratorISI_EEEEENSH_IJSG_SG_SG_EEES9_SI_JZNS1_25segmented_radix_sort_implINS0_14default_configELb0EPKhPhPKlPlN2at6native12_GLOBAL__N_18offset_tEEE10hipError_tPvRmT1_PNSt15iterator_traitsIS12_E10value_typeET2_T3_PNS13_IS18_E10value_typeET4_jRbjT5_S1E_jjP12ihipStream_tbEUljE_ZNSN_ISO_Lb0ESQ_SR_ST_SU_SY_EESZ_S10_S11_S12_S16_S17_S18_S1B_S1C_jS1D_jS1E_S1E_jjS1G_bEUljE0_EEESZ_S10_S11_S18_S1C_S1E_T6_T7_T9_mT8_S1G_bDpT10_ENKUlT_T0_E_clISt17integral_constantIbLb1EES1T_IbLb0EEEEDaS1P_S1Q_EUlS1P_E_NS1_11comp_targetILNS1_3genE0ELNS1_11target_archE4294967295ELNS1_3gpuE0ELNS1_3repE0EEENS1_30default_config_static_selectorELNS0_4arch9wavefront6targetE0EEEvS12_
	.p2align	8
	.type	_ZN7rocprim17ROCPRIM_400000_NS6detail17trampoline_kernelINS0_13select_configILj256ELj13ELNS0_17block_load_methodE3ELS4_3ELS4_3ELNS0_20block_scan_algorithmE0ELj4294967295EEENS1_25partition_config_selectorILNS1_17partition_subalgoE4EjNS0_10empty_typeEbEEZZNS1_14partition_implILS8_4ELb0ES6_15HIP_vector_typeIjLj2EENS0_17counting_iteratorIjlEEPS9_SG_NS0_5tupleIJPjSI_NS0_16reverse_iteratorISI_EEEEENSH_IJSG_SG_SG_EEES9_SI_JZNS1_25segmented_radix_sort_implINS0_14default_configELb0EPKhPhPKlPlN2at6native12_GLOBAL__N_18offset_tEEE10hipError_tPvRmT1_PNSt15iterator_traitsIS12_E10value_typeET2_T3_PNS13_IS18_E10value_typeET4_jRbjT5_S1E_jjP12ihipStream_tbEUljE_ZNSN_ISO_Lb0ESQ_SR_ST_SU_SY_EESZ_S10_S11_S12_S16_S17_S18_S1B_S1C_jS1D_jS1E_S1E_jjS1G_bEUljE0_EEESZ_S10_S11_S18_S1C_S1E_T6_T7_T9_mT8_S1G_bDpT10_ENKUlT_T0_E_clISt17integral_constantIbLb1EES1T_IbLb0EEEEDaS1P_S1Q_EUlS1P_E_NS1_11comp_targetILNS1_3genE0ELNS1_11target_archE4294967295ELNS1_3gpuE0ELNS1_3repE0EEENS1_30default_config_static_selectorELNS0_4arch9wavefront6targetE0EEEvS12_,@function
_ZN7rocprim17ROCPRIM_400000_NS6detail17trampoline_kernelINS0_13select_configILj256ELj13ELNS0_17block_load_methodE3ELS4_3ELS4_3ELNS0_20block_scan_algorithmE0ELj4294967295EEENS1_25partition_config_selectorILNS1_17partition_subalgoE4EjNS0_10empty_typeEbEEZZNS1_14partition_implILS8_4ELb0ES6_15HIP_vector_typeIjLj2EENS0_17counting_iteratorIjlEEPS9_SG_NS0_5tupleIJPjSI_NS0_16reverse_iteratorISI_EEEEENSH_IJSG_SG_SG_EEES9_SI_JZNS1_25segmented_radix_sort_implINS0_14default_configELb0EPKhPhPKlPlN2at6native12_GLOBAL__N_18offset_tEEE10hipError_tPvRmT1_PNSt15iterator_traitsIS12_E10value_typeET2_T3_PNS13_IS18_E10value_typeET4_jRbjT5_S1E_jjP12ihipStream_tbEUljE_ZNSN_ISO_Lb0ESQ_SR_ST_SU_SY_EESZ_S10_S11_S12_S16_S17_S18_S1B_S1C_jS1D_jS1E_S1E_jjS1G_bEUljE0_EEESZ_S10_S11_S18_S1C_S1E_T6_T7_T9_mT8_S1G_bDpT10_ENKUlT_T0_E_clISt17integral_constantIbLb1EES1T_IbLb0EEEEDaS1P_S1Q_EUlS1P_E_NS1_11comp_targetILNS1_3genE0ELNS1_11target_archE4294967295ELNS1_3gpuE0ELNS1_3repE0EEENS1_30default_config_static_selectorELNS0_4arch9wavefront6targetE0EEEvS12_: ; @_ZN7rocprim17ROCPRIM_400000_NS6detail17trampoline_kernelINS0_13select_configILj256ELj13ELNS0_17block_load_methodE3ELS4_3ELS4_3ELNS0_20block_scan_algorithmE0ELj4294967295EEENS1_25partition_config_selectorILNS1_17partition_subalgoE4EjNS0_10empty_typeEbEEZZNS1_14partition_implILS8_4ELb0ES6_15HIP_vector_typeIjLj2EENS0_17counting_iteratorIjlEEPS9_SG_NS0_5tupleIJPjSI_NS0_16reverse_iteratorISI_EEEEENSH_IJSG_SG_SG_EEES9_SI_JZNS1_25segmented_radix_sort_implINS0_14default_configELb0EPKhPhPKlPlN2at6native12_GLOBAL__N_18offset_tEEE10hipError_tPvRmT1_PNSt15iterator_traitsIS12_E10value_typeET2_T3_PNS13_IS18_E10value_typeET4_jRbjT5_S1E_jjP12ihipStream_tbEUljE_ZNSN_ISO_Lb0ESQ_SR_ST_SU_SY_EESZ_S10_S11_S12_S16_S17_S18_S1B_S1C_jS1D_jS1E_S1E_jjS1G_bEUljE0_EEESZ_S10_S11_S18_S1C_S1E_T6_T7_T9_mT8_S1G_bDpT10_ENKUlT_T0_E_clISt17integral_constantIbLb1EES1T_IbLb0EEEEDaS1P_S1Q_EUlS1P_E_NS1_11comp_targetILNS1_3genE0ELNS1_11target_archE4294967295ELNS1_3gpuE0ELNS1_3repE0EEENS1_30default_config_static_selectorELNS0_4arch9wavefront6targetE0EEEvS12_
; %bb.0:
	.section	.rodata,"a",@progbits
	.p2align	6, 0x0
	.amdhsa_kernel _ZN7rocprim17ROCPRIM_400000_NS6detail17trampoline_kernelINS0_13select_configILj256ELj13ELNS0_17block_load_methodE3ELS4_3ELS4_3ELNS0_20block_scan_algorithmE0ELj4294967295EEENS1_25partition_config_selectorILNS1_17partition_subalgoE4EjNS0_10empty_typeEbEEZZNS1_14partition_implILS8_4ELb0ES6_15HIP_vector_typeIjLj2EENS0_17counting_iteratorIjlEEPS9_SG_NS0_5tupleIJPjSI_NS0_16reverse_iteratorISI_EEEEENSH_IJSG_SG_SG_EEES9_SI_JZNS1_25segmented_radix_sort_implINS0_14default_configELb0EPKhPhPKlPlN2at6native12_GLOBAL__N_18offset_tEEE10hipError_tPvRmT1_PNSt15iterator_traitsIS12_E10value_typeET2_T3_PNS13_IS18_E10value_typeET4_jRbjT5_S1E_jjP12ihipStream_tbEUljE_ZNSN_ISO_Lb0ESQ_SR_ST_SU_SY_EESZ_S10_S11_S12_S16_S17_S18_S1B_S1C_jS1D_jS1E_S1E_jjS1G_bEUljE0_EEESZ_S10_S11_S18_S1C_S1E_T6_T7_T9_mT8_S1G_bDpT10_ENKUlT_T0_E_clISt17integral_constantIbLb1EES1T_IbLb0EEEEDaS1P_S1Q_EUlS1P_E_NS1_11comp_targetILNS1_3genE0ELNS1_11target_archE4294967295ELNS1_3gpuE0ELNS1_3repE0EEENS1_30default_config_static_selectorELNS0_4arch9wavefront6targetE0EEEvS12_
		.amdhsa_group_segment_fixed_size 0
		.amdhsa_private_segment_fixed_size 0
		.amdhsa_kernarg_size 176
		.amdhsa_user_sgpr_count 6
		.amdhsa_user_sgpr_private_segment_buffer 1
		.amdhsa_user_sgpr_dispatch_ptr 0
		.amdhsa_user_sgpr_queue_ptr 0
		.amdhsa_user_sgpr_kernarg_segment_ptr 1
		.amdhsa_user_sgpr_dispatch_id 0
		.amdhsa_user_sgpr_flat_scratch_init 0
		.amdhsa_user_sgpr_private_segment_size 0
		.amdhsa_wavefront_size32 1
		.amdhsa_uses_dynamic_stack 0
		.amdhsa_system_sgpr_private_segment_wavefront_offset 0
		.amdhsa_system_sgpr_workgroup_id_x 1
		.amdhsa_system_sgpr_workgroup_id_y 0
		.amdhsa_system_sgpr_workgroup_id_z 0
		.amdhsa_system_sgpr_workgroup_info 0
		.amdhsa_system_vgpr_workitem_id 0
		.amdhsa_next_free_vgpr 1
		.amdhsa_next_free_sgpr 1
		.amdhsa_reserve_vcc 0
		.amdhsa_reserve_flat_scratch 0
		.amdhsa_float_round_mode_32 0
		.amdhsa_float_round_mode_16_64 0
		.amdhsa_float_denorm_mode_32 3
		.amdhsa_float_denorm_mode_16_64 3
		.amdhsa_dx10_clamp 1
		.amdhsa_ieee_mode 1
		.amdhsa_fp16_overflow 0
		.amdhsa_workgroup_processor_mode 1
		.amdhsa_memory_ordered 1
		.amdhsa_forward_progress 1
		.amdhsa_shared_vgpr_count 0
		.amdhsa_exception_fp_ieee_invalid_op 0
		.amdhsa_exception_fp_denorm_src 0
		.amdhsa_exception_fp_ieee_div_zero 0
		.amdhsa_exception_fp_ieee_overflow 0
		.amdhsa_exception_fp_ieee_underflow 0
		.amdhsa_exception_fp_ieee_inexact 0
		.amdhsa_exception_int_div_zero 0
	.end_amdhsa_kernel
	.section	.text._ZN7rocprim17ROCPRIM_400000_NS6detail17trampoline_kernelINS0_13select_configILj256ELj13ELNS0_17block_load_methodE3ELS4_3ELS4_3ELNS0_20block_scan_algorithmE0ELj4294967295EEENS1_25partition_config_selectorILNS1_17partition_subalgoE4EjNS0_10empty_typeEbEEZZNS1_14partition_implILS8_4ELb0ES6_15HIP_vector_typeIjLj2EENS0_17counting_iteratorIjlEEPS9_SG_NS0_5tupleIJPjSI_NS0_16reverse_iteratorISI_EEEEENSH_IJSG_SG_SG_EEES9_SI_JZNS1_25segmented_radix_sort_implINS0_14default_configELb0EPKhPhPKlPlN2at6native12_GLOBAL__N_18offset_tEEE10hipError_tPvRmT1_PNSt15iterator_traitsIS12_E10value_typeET2_T3_PNS13_IS18_E10value_typeET4_jRbjT5_S1E_jjP12ihipStream_tbEUljE_ZNSN_ISO_Lb0ESQ_SR_ST_SU_SY_EESZ_S10_S11_S12_S16_S17_S18_S1B_S1C_jS1D_jS1E_S1E_jjS1G_bEUljE0_EEESZ_S10_S11_S18_S1C_S1E_T6_T7_T9_mT8_S1G_bDpT10_ENKUlT_T0_E_clISt17integral_constantIbLb1EES1T_IbLb0EEEEDaS1P_S1Q_EUlS1P_E_NS1_11comp_targetILNS1_3genE0ELNS1_11target_archE4294967295ELNS1_3gpuE0ELNS1_3repE0EEENS1_30default_config_static_selectorELNS0_4arch9wavefront6targetE0EEEvS12_,"axG",@progbits,_ZN7rocprim17ROCPRIM_400000_NS6detail17trampoline_kernelINS0_13select_configILj256ELj13ELNS0_17block_load_methodE3ELS4_3ELS4_3ELNS0_20block_scan_algorithmE0ELj4294967295EEENS1_25partition_config_selectorILNS1_17partition_subalgoE4EjNS0_10empty_typeEbEEZZNS1_14partition_implILS8_4ELb0ES6_15HIP_vector_typeIjLj2EENS0_17counting_iteratorIjlEEPS9_SG_NS0_5tupleIJPjSI_NS0_16reverse_iteratorISI_EEEEENSH_IJSG_SG_SG_EEES9_SI_JZNS1_25segmented_radix_sort_implINS0_14default_configELb0EPKhPhPKlPlN2at6native12_GLOBAL__N_18offset_tEEE10hipError_tPvRmT1_PNSt15iterator_traitsIS12_E10value_typeET2_T3_PNS13_IS18_E10value_typeET4_jRbjT5_S1E_jjP12ihipStream_tbEUljE_ZNSN_ISO_Lb0ESQ_SR_ST_SU_SY_EESZ_S10_S11_S12_S16_S17_S18_S1B_S1C_jS1D_jS1E_S1E_jjS1G_bEUljE0_EEESZ_S10_S11_S18_S1C_S1E_T6_T7_T9_mT8_S1G_bDpT10_ENKUlT_T0_E_clISt17integral_constantIbLb1EES1T_IbLb0EEEEDaS1P_S1Q_EUlS1P_E_NS1_11comp_targetILNS1_3genE0ELNS1_11target_archE4294967295ELNS1_3gpuE0ELNS1_3repE0EEENS1_30default_config_static_selectorELNS0_4arch9wavefront6targetE0EEEvS12_,comdat
.Lfunc_end137:
	.size	_ZN7rocprim17ROCPRIM_400000_NS6detail17trampoline_kernelINS0_13select_configILj256ELj13ELNS0_17block_load_methodE3ELS4_3ELS4_3ELNS0_20block_scan_algorithmE0ELj4294967295EEENS1_25partition_config_selectorILNS1_17partition_subalgoE4EjNS0_10empty_typeEbEEZZNS1_14partition_implILS8_4ELb0ES6_15HIP_vector_typeIjLj2EENS0_17counting_iteratorIjlEEPS9_SG_NS0_5tupleIJPjSI_NS0_16reverse_iteratorISI_EEEEENSH_IJSG_SG_SG_EEES9_SI_JZNS1_25segmented_radix_sort_implINS0_14default_configELb0EPKhPhPKlPlN2at6native12_GLOBAL__N_18offset_tEEE10hipError_tPvRmT1_PNSt15iterator_traitsIS12_E10value_typeET2_T3_PNS13_IS18_E10value_typeET4_jRbjT5_S1E_jjP12ihipStream_tbEUljE_ZNSN_ISO_Lb0ESQ_SR_ST_SU_SY_EESZ_S10_S11_S12_S16_S17_S18_S1B_S1C_jS1D_jS1E_S1E_jjS1G_bEUljE0_EEESZ_S10_S11_S18_S1C_S1E_T6_T7_T9_mT8_S1G_bDpT10_ENKUlT_T0_E_clISt17integral_constantIbLb1EES1T_IbLb0EEEEDaS1P_S1Q_EUlS1P_E_NS1_11comp_targetILNS1_3genE0ELNS1_11target_archE4294967295ELNS1_3gpuE0ELNS1_3repE0EEENS1_30default_config_static_selectorELNS0_4arch9wavefront6targetE0EEEvS12_, .Lfunc_end137-_ZN7rocprim17ROCPRIM_400000_NS6detail17trampoline_kernelINS0_13select_configILj256ELj13ELNS0_17block_load_methodE3ELS4_3ELS4_3ELNS0_20block_scan_algorithmE0ELj4294967295EEENS1_25partition_config_selectorILNS1_17partition_subalgoE4EjNS0_10empty_typeEbEEZZNS1_14partition_implILS8_4ELb0ES6_15HIP_vector_typeIjLj2EENS0_17counting_iteratorIjlEEPS9_SG_NS0_5tupleIJPjSI_NS0_16reverse_iteratorISI_EEEEENSH_IJSG_SG_SG_EEES9_SI_JZNS1_25segmented_radix_sort_implINS0_14default_configELb0EPKhPhPKlPlN2at6native12_GLOBAL__N_18offset_tEEE10hipError_tPvRmT1_PNSt15iterator_traitsIS12_E10value_typeET2_T3_PNS13_IS18_E10value_typeET4_jRbjT5_S1E_jjP12ihipStream_tbEUljE_ZNSN_ISO_Lb0ESQ_SR_ST_SU_SY_EESZ_S10_S11_S12_S16_S17_S18_S1B_S1C_jS1D_jS1E_S1E_jjS1G_bEUljE0_EEESZ_S10_S11_S18_S1C_S1E_T6_T7_T9_mT8_S1G_bDpT10_ENKUlT_T0_E_clISt17integral_constantIbLb1EES1T_IbLb0EEEEDaS1P_S1Q_EUlS1P_E_NS1_11comp_targetILNS1_3genE0ELNS1_11target_archE4294967295ELNS1_3gpuE0ELNS1_3repE0EEENS1_30default_config_static_selectorELNS0_4arch9wavefront6targetE0EEEvS12_
                                        ; -- End function
	.set _ZN7rocprim17ROCPRIM_400000_NS6detail17trampoline_kernelINS0_13select_configILj256ELj13ELNS0_17block_load_methodE3ELS4_3ELS4_3ELNS0_20block_scan_algorithmE0ELj4294967295EEENS1_25partition_config_selectorILNS1_17partition_subalgoE4EjNS0_10empty_typeEbEEZZNS1_14partition_implILS8_4ELb0ES6_15HIP_vector_typeIjLj2EENS0_17counting_iteratorIjlEEPS9_SG_NS0_5tupleIJPjSI_NS0_16reverse_iteratorISI_EEEEENSH_IJSG_SG_SG_EEES9_SI_JZNS1_25segmented_radix_sort_implINS0_14default_configELb0EPKhPhPKlPlN2at6native12_GLOBAL__N_18offset_tEEE10hipError_tPvRmT1_PNSt15iterator_traitsIS12_E10value_typeET2_T3_PNS13_IS18_E10value_typeET4_jRbjT5_S1E_jjP12ihipStream_tbEUljE_ZNSN_ISO_Lb0ESQ_SR_ST_SU_SY_EESZ_S10_S11_S12_S16_S17_S18_S1B_S1C_jS1D_jS1E_S1E_jjS1G_bEUljE0_EEESZ_S10_S11_S18_S1C_S1E_T6_T7_T9_mT8_S1G_bDpT10_ENKUlT_T0_E_clISt17integral_constantIbLb1EES1T_IbLb0EEEEDaS1P_S1Q_EUlS1P_E_NS1_11comp_targetILNS1_3genE0ELNS1_11target_archE4294967295ELNS1_3gpuE0ELNS1_3repE0EEENS1_30default_config_static_selectorELNS0_4arch9wavefront6targetE0EEEvS12_.num_vgpr, 0
	.set _ZN7rocprim17ROCPRIM_400000_NS6detail17trampoline_kernelINS0_13select_configILj256ELj13ELNS0_17block_load_methodE3ELS4_3ELS4_3ELNS0_20block_scan_algorithmE0ELj4294967295EEENS1_25partition_config_selectorILNS1_17partition_subalgoE4EjNS0_10empty_typeEbEEZZNS1_14partition_implILS8_4ELb0ES6_15HIP_vector_typeIjLj2EENS0_17counting_iteratorIjlEEPS9_SG_NS0_5tupleIJPjSI_NS0_16reverse_iteratorISI_EEEEENSH_IJSG_SG_SG_EEES9_SI_JZNS1_25segmented_radix_sort_implINS0_14default_configELb0EPKhPhPKlPlN2at6native12_GLOBAL__N_18offset_tEEE10hipError_tPvRmT1_PNSt15iterator_traitsIS12_E10value_typeET2_T3_PNS13_IS18_E10value_typeET4_jRbjT5_S1E_jjP12ihipStream_tbEUljE_ZNSN_ISO_Lb0ESQ_SR_ST_SU_SY_EESZ_S10_S11_S12_S16_S17_S18_S1B_S1C_jS1D_jS1E_S1E_jjS1G_bEUljE0_EEESZ_S10_S11_S18_S1C_S1E_T6_T7_T9_mT8_S1G_bDpT10_ENKUlT_T0_E_clISt17integral_constantIbLb1EES1T_IbLb0EEEEDaS1P_S1Q_EUlS1P_E_NS1_11comp_targetILNS1_3genE0ELNS1_11target_archE4294967295ELNS1_3gpuE0ELNS1_3repE0EEENS1_30default_config_static_selectorELNS0_4arch9wavefront6targetE0EEEvS12_.num_agpr, 0
	.set _ZN7rocprim17ROCPRIM_400000_NS6detail17trampoline_kernelINS0_13select_configILj256ELj13ELNS0_17block_load_methodE3ELS4_3ELS4_3ELNS0_20block_scan_algorithmE0ELj4294967295EEENS1_25partition_config_selectorILNS1_17partition_subalgoE4EjNS0_10empty_typeEbEEZZNS1_14partition_implILS8_4ELb0ES6_15HIP_vector_typeIjLj2EENS0_17counting_iteratorIjlEEPS9_SG_NS0_5tupleIJPjSI_NS0_16reverse_iteratorISI_EEEEENSH_IJSG_SG_SG_EEES9_SI_JZNS1_25segmented_radix_sort_implINS0_14default_configELb0EPKhPhPKlPlN2at6native12_GLOBAL__N_18offset_tEEE10hipError_tPvRmT1_PNSt15iterator_traitsIS12_E10value_typeET2_T3_PNS13_IS18_E10value_typeET4_jRbjT5_S1E_jjP12ihipStream_tbEUljE_ZNSN_ISO_Lb0ESQ_SR_ST_SU_SY_EESZ_S10_S11_S12_S16_S17_S18_S1B_S1C_jS1D_jS1E_S1E_jjS1G_bEUljE0_EEESZ_S10_S11_S18_S1C_S1E_T6_T7_T9_mT8_S1G_bDpT10_ENKUlT_T0_E_clISt17integral_constantIbLb1EES1T_IbLb0EEEEDaS1P_S1Q_EUlS1P_E_NS1_11comp_targetILNS1_3genE0ELNS1_11target_archE4294967295ELNS1_3gpuE0ELNS1_3repE0EEENS1_30default_config_static_selectorELNS0_4arch9wavefront6targetE0EEEvS12_.numbered_sgpr, 0
	.set _ZN7rocprim17ROCPRIM_400000_NS6detail17trampoline_kernelINS0_13select_configILj256ELj13ELNS0_17block_load_methodE3ELS4_3ELS4_3ELNS0_20block_scan_algorithmE0ELj4294967295EEENS1_25partition_config_selectorILNS1_17partition_subalgoE4EjNS0_10empty_typeEbEEZZNS1_14partition_implILS8_4ELb0ES6_15HIP_vector_typeIjLj2EENS0_17counting_iteratorIjlEEPS9_SG_NS0_5tupleIJPjSI_NS0_16reverse_iteratorISI_EEEEENSH_IJSG_SG_SG_EEES9_SI_JZNS1_25segmented_radix_sort_implINS0_14default_configELb0EPKhPhPKlPlN2at6native12_GLOBAL__N_18offset_tEEE10hipError_tPvRmT1_PNSt15iterator_traitsIS12_E10value_typeET2_T3_PNS13_IS18_E10value_typeET4_jRbjT5_S1E_jjP12ihipStream_tbEUljE_ZNSN_ISO_Lb0ESQ_SR_ST_SU_SY_EESZ_S10_S11_S12_S16_S17_S18_S1B_S1C_jS1D_jS1E_S1E_jjS1G_bEUljE0_EEESZ_S10_S11_S18_S1C_S1E_T6_T7_T9_mT8_S1G_bDpT10_ENKUlT_T0_E_clISt17integral_constantIbLb1EES1T_IbLb0EEEEDaS1P_S1Q_EUlS1P_E_NS1_11comp_targetILNS1_3genE0ELNS1_11target_archE4294967295ELNS1_3gpuE0ELNS1_3repE0EEENS1_30default_config_static_selectorELNS0_4arch9wavefront6targetE0EEEvS12_.num_named_barrier, 0
	.set _ZN7rocprim17ROCPRIM_400000_NS6detail17trampoline_kernelINS0_13select_configILj256ELj13ELNS0_17block_load_methodE3ELS4_3ELS4_3ELNS0_20block_scan_algorithmE0ELj4294967295EEENS1_25partition_config_selectorILNS1_17partition_subalgoE4EjNS0_10empty_typeEbEEZZNS1_14partition_implILS8_4ELb0ES6_15HIP_vector_typeIjLj2EENS0_17counting_iteratorIjlEEPS9_SG_NS0_5tupleIJPjSI_NS0_16reverse_iteratorISI_EEEEENSH_IJSG_SG_SG_EEES9_SI_JZNS1_25segmented_radix_sort_implINS0_14default_configELb0EPKhPhPKlPlN2at6native12_GLOBAL__N_18offset_tEEE10hipError_tPvRmT1_PNSt15iterator_traitsIS12_E10value_typeET2_T3_PNS13_IS18_E10value_typeET4_jRbjT5_S1E_jjP12ihipStream_tbEUljE_ZNSN_ISO_Lb0ESQ_SR_ST_SU_SY_EESZ_S10_S11_S12_S16_S17_S18_S1B_S1C_jS1D_jS1E_S1E_jjS1G_bEUljE0_EEESZ_S10_S11_S18_S1C_S1E_T6_T7_T9_mT8_S1G_bDpT10_ENKUlT_T0_E_clISt17integral_constantIbLb1EES1T_IbLb0EEEEDaS1P_S1Q_EUlS1P_E_NS1_11comp_targetILNS1_3genE0ELNS1_11target_archE4294967295ELNS1_3gpuE0ELNS1_3repE0EEENS1_30default_config_static_selectorELNS0_4arch9wavefront6targetE0EEEvS12_.private_seg_size, 0
	.set _ZN7rocprim17ROCPRIM_400000_NS6detail17trampoline_kernelINS0_13select_configILj256ELj13ELNS0_17block_load_methodE3ELS4_3ELS4_3ELNS0_20block_scan_algorithmE0ELj4294967295EEENS1_25partition_config_selectorILNS1_17partition_subalgoE4EjNS0_10empty_typeEbEEZZNS1_14partition_implILS8_4ELb0ES6_15HIP_vector_typeIjLj2EENS0_17counting_iteratorIjlEEPS9_SG_NS0_5tupleIJPjSI_NS0_16reverse_iteratorISI_EEEEENSH_IJSG_SG_SG_EEES9_SI_JZNS1_25segmented_radix_sort_implINS0_14default_configELb0EPKhPhPKlPlN2at6native12_GLOBAL__N_18offset_tEEE10hipError_tPvRmT1_PNSt15iterator_traitsIS12_E10value_typeET2_T3_PNS13_IS18_E10value_typeET4_jRbjT5_S1E_jjP12ihipStream_tbEUljE_ZNSN_ISO_Lb0ESQ_SR_ST_SU_SY_EESZ_S10_S11_S12_S16_S17_S18_S1B_S1C_jS1D_jS1E_S1E_jjS1G_bEUljE0_EEESZ_S10_S11_S18_S1C_S1E_T6_T7_T9_mT8_S1G_bDpT10_ENKUlT_T0_E_clISt17integral_constantIbLb1EES1T_IbLb0EEEEDaS1P_S1Q_EUlS1P_E_NS1_11comp_targetILNS1_3genE0ELNS1_11target_archE4294967295ELNS1_3gpuE0ELNS1_3repE0EEENS1_30default_config_static_selectorELNS0_4arch9wavefront6targetE0EEEvS12_.uses_vcc, 0
	.set _ZN7rocprim17ROCPRIM_400000_NS6detail17trampoline_kernelINS0_13select_configILj256ELj13ELNS0_17block_load_methodE3ELS4_3ELS4_3ELNS0_20block_scan_algorithmE0ELj4294967295EEENS1_25partition_config_selectorILNS1_17partition_subalgoE4EjNS0_10empty_typeEbEEZZNS1_14partition_implILS8_4ELb0ES6_15HIP_vector_typeIjLj2EENS0_17counting_iteratorIjlEEPS9_SG_NS0_5tupleIJPjSI_NS0_16reverse_iteratorISI_EEEEENSH_IJSG_SG_SG_EEES9_SI_JZNS1_25segmented_radix_sort_implINS0_14default_configELb0EPKhPhPKlPlN2at6native12_GLOBAL__N_18offset_tEEE10hipError_tPvRmT1_PNSt15iterator_traitsIS12_E10value_typeET2_T3_PNS13_IS18_E10value_typeET4_jRbjT5_S1E_jjP12ihipStream_tbEUljE_ZNSN_ISO_Lb0ESQ_SR_ST_SU_SY_EESZ_S10_S11_S12_S16_S17_S18_S1B_S1C_jS1D_jS1E_S1E_jjS1G_bEUljE0_EEESZ_S10_S11_S18_S1C_S1E_T6_T7_T9_mT8_S1G_bDpT10_ENKUlT_T0_E_clISt17integral_constantIbLb1EES1T_IbLb0EEEEDaS1P_S1Q_EUlS1P_E_NS1_11comp_targetILNS1_3genE0ELNS1_11target_archE4294967295ELNS1_3gpuE0ELNS1_3repE0EEENS1_30default_config_static_selectorELNS0_4arch9wavefront6targetE0EEEvS12_.uses_flat_scratch, 0
	.set _ZN7rocprim17ROCPRIM_400000_NS6detail17trampoline_kernelINS0_13select_configILj256ELj13ELNS0_17block_load_methodE3ELS4_3ELS4_3ELNS0_20block_scan_algorithmE0ELj4294967295EEENS1_25partition_config_selectorILNS1_17partition_subalgoE4EjNS0_10empty_typeEbEEZZNS1_14partition_implILS8_4ELb0ES6_15HIP_vector_typeIjLj2EENS0_17counting_iteratorIjlEEPS9_SG_NS0_5tupleIJPjSI_NS0_16reverse_iteratorISI_EEEEENSH_IJSG_SG_SG_EEES9_SI_JZNS1_25segmented_radix_sort_implINS0_14default_configELb0EPKhPhPKlPlN2at6native12_GLOBAL__N_18offset_tEEE10hipError_tPvRmT1_PNSt15iterator_traitsIS12_E10value_typeET2_T3_PNS13_IS18_E10value_typeET4_jRbjT5_S1E_jjP12ihipStream_tbEUljE_ZNSN_ISO_Lb0ESQ_SR_ST_SU_SY_EESZ_S10_S11_S12_S16_S17_S18_S1B_S1C_jS1D_jS1E_S1E_jjS1G_bEUljE0_EEESZ_S10_S11_S18_S1C_S1E_T6_T7_T9_mT8_S1G_bDpT10_ENKUlT_T0_E_clISt17integral_constantIbLb1EES1T_IbLb0EEEEDaS1P_S1Q_EUlS1P_E_NS1_11comp_targetILNS1_3genE0ELNS1_11target_archE4294967295ELNS1_3gpuE0ELNS1_3repE0EEENS1_30default_config_static_selectorELNS0_4arch9wavefront6targetE0EEEvS12_.has_dyn_sized_stack, 0
	.set _ZN7rocprim17ROCPRIM_400000_NS6detail17trampoline_kernelINS0_13select_configILj256ELj13ELNS0_17block_load_methodE3ELS4_3ELS4_3ELNS0_20block_scan_algorithmE0ELj4294967295EEENS1_25partition_config_selectorILNS1_17partition_subalgoE4EjNS0_10empty_typeEbEEZZNS1_14partition_implILS8_4ELb0ES6_15HIP_vector_typeIjLj2EENS0_17counting_iteratorIjlEEPS9_SG_NS0_5tupleIJPjSI_NS0_16reverse_iteratorISI_EEEEENSH_IJSG_SG_SG_EEES9_SI_JZNS1_25segmented_radix_sort_implINS0_14default_configELb0EPKhPhPKlPlN2at6native12_GLOBAL__N_18offset_tEEE10hipError_tPvRmT1_PNSt15iterator_traitsIS12_E10value_typeET2_T3_PNS13_IS18_E10value_typeET4_jRbjT5_S1E_jjP12ihipStream_tbEUljE_ZNSN_ISO_Lb0ESQ_SR_ST_SU_SY_EESZ_S10_S11_S12_S16_S17_S18_S1B_S1C_jS1D_jS1E_S1E_jjS1G_bEUljE0_EEESZ_S10_S11_S18_S1C_S1E_T6_T7_T9_mT8_S1G_bDpT10_ENKUlT_T0_E_clISt17integral_constantIbLb1EES1T_IbLb0EEEEDaS1P_S1Q_EUlS1P_E_NS1_11comp_targetILNS1_3genE0ELNS1_11target_archE4294967295ELNS1_3gpuE0ELNS1_3repE0EEENS1_30default_config_static_selectorELNS0_4arch9wavefront6targetE0EEEvS12_.has_recursion, 0
	.set _ZN7rocprim17ROCPRIM_400000_NS6detail17trampoline_kernelINS0_13select_configILj256ELj13ELNS0_17block_load_methodE3ELS4_3ELS4_3ELNS0_20block_scan_algorithmE0ELj4294967295EEENS1_25partition_config_selectorILNS1_17partition_subalgoE4EjNS0_10empty_typeEbEEZZNS1_14partition_implILS8_4ELb0ES6_15HIP_vector_typeIjLj2EENS0_17counting_iteratorIjlEEPS9_SG_NS0_5tupleIJPjSI_NS0_16reverse_iteratorISI_EEEEENSH_IJSG_SG_SG_EEES9_SI_JZNS1_25segmented_radix_sort_implINS0_14default_configELb0EPKhPhPKlPlN2at6native12_GLOBAL__N_18offset_tEEE10hipError_tPvRmT1_PNSt15iterator_traitsIS12_E10value_typeET2_T3_PNS13_IS18_E10value_typeET4_jRbjT5_S1E_jjP12ihipStream_tbEUljE_ZNSN_ISO_Lb0ESQ_SR_ST_SU_SY_EESZ_S10_S11_S12_S16_S17_S18_S1B_S1C_jS1D_jS1E_S1E_jjS1G_bEUljE0_EEESZ_S10_S11_S18_S1C_S1E_T6_T7_T9_mT8_S1G_bDpT10_ENKUlT_T0_E_clISt17integral_constantIbLb1EES1T_IbLb0EEEEDaS1P_S1Q_EUlS1P_E_NS1_11comp_targetILNS1_3genE0ELNS1_11target_archE4294967295ELNS1_3gpuE0ELNS1_3repE0EEENS1_30default_config_static_selectorELNS0_4arch9wavefront6targetE0EEEvS12_.has_indirect_call, 0
	.section	.AMDGPU.csdata,"",@progbits
; Kernel info:
; codeLenInByte = 0
; TotalNumSgprs: 0
; NumVgprs: 0
; ScratchSize: 0
; MemoryBound: 0
; FloatMode: 240
; IeeeMode: 1
; LDSByteSize: 0 bytes/workgroup (compile time only)
; SGPRBlocks: 0
; VGPRBlocks: 0
; NumSGPRsForWavesPerEU: 1
; NumVGPRsForWavesPerEU: 1
; Occupancy: 16
; WaveLimiterHint : 0
; COMPUTE_PGM_RSRC2:SCRATCH_EN: 0
; COMPUTE_PGM_RSRC2:USER_SGPR: 6
; COMPUTE_PGM_RSRC2:TRAP_HANDLER: 0
; COMPUTE_PGM_RSRC2:TGID_X_EN: 1
; COMPUTE_PGM_RSRC2:TGID_Y_EN: 0
; COMPUTE_PGM_RSRC2:TGID_Z_EN: 0
; COMPUTE_PGM_RSRC2:TIDIG_COMP_CNT: 0
	.section	.text._ZN7rocprim17ROCPRIM_400000_NS6detail17trampoline_kernelINS0_13select_configILj256ELj13ELNS0_17block_load_methodE3ELS4_3ELS4_3ELNS0_20block_scan_algorithmE0ELj4294967295EEENS1_25partition_config_selectorILNS1_17partition_subalgoE4EjNS0_10empty_typeEbEEZZNS1_14partition_implILS8_4ELb0ES6_15HIP_vector_typeIjLj2EENS0_17counting_iteratorIjlEEPS9_SG_NS0_5tupleIJPjSI_NS0_16reverse_iteratorISI_EEEEENSH_IJSG_SG_SG_EEES9_SI_JZNS1_25segmented_radix_sort_implINS0_14default_configELb0EPKhPhPKlPlN2at6native12_GLOBAL__N_18offset_tEEE10hipError_tPvRmT1_PNSt15iterator_traitsIS12_E10value_typeET2_T3_PNS13_IS18_E10value_typeET4_jRbjT5_S1E_jjP12ihipStream_tbEUljE_ZNSN_ISO_Lb0ESQ_SR_ST_SU_SY_EESZ_S10_S11_S12_S16_S17_S18_S1B_S1C_jS1D_jS1E_S1E_jjS1G_bEUljE0_EEESZ_S10_S11_S18_S1C_S1E_T6_T7_T9_mT8_S1G_bDpT10_ENKUlT_T0_E_clISt17integral_constantIbLb1EES1T_IbLb0EEEEDaS1P_S1Q_EUlS1P_E_NS1_11comp_targetILNS1_3genE5ELNS1_11target_archE942ELNS1_3gpuE9ELNS1_3repE0EEENS1_30default_config_static_selectorELNS0_4arch9wavefront6targetE0EEEvS12_,"axG",@progbits,_ZN7rocprim17ROCPRIM_400000_NS6detail17trampoline_kernelINS0_13select_configILj256ELj13ELNS0_17block_load_methodE3ELS4_3ELS4_3ELNS0_20block_scan_algorithmE0ELj4294967295EEENS1_25partition_config_selectorILNS1_17partition_subalgoE4EjNS0_10empty_typeEbEEZZNS1_14partition_implILS8_4ELb0ES6_15HIP_vector_typeIjLj2EENS0_17counting_iteratorIjlEEPS9_SG_NS0_5tupleIJPjSI_NS0_16reverse_iteratorISI_EEEEENSH_IJSG_SG_SG_EEES9_SI_JZNS1_25segmented_radix_sort_implINS0_14default_configELb0EPKhPhPKlPlN2at6native12_GLOBAL__N_18offset_tEEE10hipError_tPvRmT1_PNSt15iterator_traitsIS12_E10value_typeET2_T3_PNS13_IS18_E10value_typeET4_jRbjT5_S1E_jjP12ihipStream_tbEUljE_ZNSN_ISO_Lb0ESQ_SR_ST_SU_SY_EESZ_S10_S11_S12_S16_S17_S18_S1B_S1C_jS1D_jS1E_S1E_jjS1G_bEUljE0_EEESZ_S10_S11_S18_S1C_S1E_T6_T7_T9_mT8_S1G_bDpT10_ENKUlT_T0_E_clISt17integral_constantIbLb1EES1T_IbLb0EEEEDaS1P_S1Q_EUlS1P_E_NS1_11comp_targetILNS1_3genE5ELNS1_11target_archE942ELNS1_3gpuE9ELNS1_3repE0EEENS1_30default_config_static_selectorELNS0_4arch9wavefront6targetE0EEEvS12_,comdat
	.globl	_ZN7rocprim17ROCPRIM_400000_NS6detail17trampoline_kernelINS0_13select_configILj256ELj13ELNS0_17block_load_methodE3ELS4_3ELS4_3ELNS0_20block_scan_algorithmE0ELj4294967295EEENS1_25partition_config_selectorILNS1_17partition_subalgoE4EjNS0_10empty_typeEbEEZZNS1_14partition_implILS8_4ELb0ES6_15HIP_vector_typeIjLj2EENS0_17counting_iteratorIjlEEPS9_SG_NS0_5tupleIJPjSI_NS0_16reverse_iteratorISI_EEEEENSH_IJSG_SG_SG_EEES9_SI_JZNS1_25segmented_radix_sort_implINS0_14default_configELb0EPKhPhPKlPlN2at6native12_GLOBAL__N_18offset_tEEE10hipError_tPvRmT1_PNSt15iterator_traitsIS12_E10value_typeET2_T3_PNS13_IS18_E10value_typeET4_jRbjT5_S1E_jjP12ihipStream_tbEUljE_ZNSN_ISO_Lb0ESQ_SR_ST_SU_SY_EESZ_S10_S11_S12_S16_S17_S18_S1B_S1C_jS1D_jS1E_S1E_jjS1G_bEUljE0_EEESZ_S10_S11_S18_S1C_S1E_T6_T7_T9_mT8_S1G_bDpT10_ENKUlT_T0_E_clISt17integral_constantIbLb1EES1T_IbLb0EEEEDaS1P_S1Q_EUlS1P_E_NS1_11comp_targetILNS1_3genE5ELNS1_11target_archE942ELNS1_3gpuE9ELNS1_3repE0EEENS1_30default_config_static_selectorELNS0_4arch9wavefront6targetE0EEEvS12_ ; -- Begin function _ZN7rocprim17ROCPRIM_400000_NS6detail17trampoline_kernelINS0_13select_configILj256ELj13ELNS0_17block_load_methodE3ELS4_3ELS4_3ELNS0_20block_scan_algorithmE0ELj4294967295EEENS1_25partition_config_selectorILNS1_17partition_subalgoE4EjNS0_10empty_typeEbEEZZNS1_14partition_implILS8_4ELb0ES6_15HIP_vector_typeIjLj2EENS0_17counting_iteratorIjlEEPS9_SG_NS0_5tupleIJPjSI_NS0_16reverse_iteratorISI_EEEEENSH_IJSG_SG_SG_EEES9_SI_JZNS1_25segmented_radix_sort_implINS0_14default_configELb0EPKhPhPKlPlN2at6native12_GLOBAL__N_18offset_tEEE10hipError_tPvRmT1_PNSt15iterator_traitsIS12_E10value_typeET2_T3_PNS13_IS18_E10value_typeET4_jRbjT5_S1E_jjP12ihipStream_tbEUljE_ZNSN_ISO_Lb0ESQ_SR_ST_SU_SY_EESZ_S10_S11_S12_S16_S17_S18_S1B_S1C_jS1D_jS1E_S1E_jjS1G_bEUljE0_EEESZ_S10_S11_S18_S1C_S1E_T6_T7_T9_mT8_S1G_bDpT10_ENKUlT_T0_E_clISt17integral_constantIbLb1EES1T_IbLb0EEEEDaS1P_S1Q_EUlS1P_E_NS1_11comp_targetILNS1_3genE5ELNS1_11target_archE942ELNS1_3gpuE9ELNS1_3repE0EEENS1_30default_config_static_selectorELNS0_4arch9wavefront6targetE0EEEvS12_
	.p2align	8
	.type	_ZN7rocprim17ROCPRIM_400000_NS6detail17trampoline_kernelINS0_13select_configILj256ELj13ELNS0_17block_load_methodE3ELS4_3ELS4_3ELNS0_20block_scan_algorithmE0ELj4294967295EEENS1_25partition_config_selectorILNS1_17partition_subalgoE4EjNS0_10empty_typeEbEEZZNS1_14partition_implILS8_4ELb0ES6_15HIP_vector_typeIjLj2EENS0_17counting_iteratorIjlEEPS9_SG_NS0_5tupleIJPjSI_NS0_16reverse_iteratorISI_EEEEENSH_IJSG_SG_SG_EEES9_SI_JZNS1_25segmented_radix_sort_implINS0_14default_configELb0EPKhPhPKlPlN2at6native12_GLOBAL__N_18offset_tEEE10hipError_tPvRmT1_PNSt15iterator_traitsIS12_E10value_typeET2_T3_PNS13_IS18_E10value_typeET4_jRbjT5_S1E_jjP12ihipStream_tbEUljE_ZNSN_ISO_Lb0ESQ_SR_ST_SU_SY_EESZ_S10_S11_S12_S16_S17_S18_S1B_S1C_jS1D_jS1E_S1E_jjS1G_bEUljE0_EEESZ_S10_S11_S18_S1C_S1E_T6_T7_T9_mT8_S1G_bDpT10_ENKUlT_T0_E_clISt17integral_constantIbLb1EES1T_IbLb0EEEEDaS1P_S1Q_EUlS1P_E_NS1_11comp_targetILNS1_3genE5ELNS1_11target_archE942ELNS1_3gpuE9ELNS1_3repE0EEENS1_30default_config_static_selectorELNS0_4arch9wavefront6targetE0EEEvS12_,@function
_ZN7rocprim17ROCPRIM_400000_NS6detail17trampoline_kernelINS0_13select_configILj256ELj13ELNS0_17block_load_methodE3ELS4_3ELS4_3ELNS0_20block_scan_algorithmE0ELj4294967295EEENS1_25partition_config_selectorILNS1_17partition_subalgoE4EjNS0_10empty_typeEbEEZZNS1_14partition_implILS8_4ELb0ES6_15HIP_vector_typeIjLj2EENS0_17counting_iteratorIjlEEPS9_SG_NS0_5tupleIJPjSI_NS0_16reverse_iteratorISI_EEEEENSH_IJSG_SG_SG_EEES9_SI_JZNS1_25segmented_radix_sort_implINS0_14default_configELb0EPKhPhPKlPlN2at6native12_GLOBAL__N_18offset_tEEE10hipError_tPvRmT1_PNSt15iterator_traitsIS12_E10value_typeET2_T3_PNS13_IS18_E10value_typeET4_jRbjT5_S1E_jjP12ihipStream_tbEUljE_ZNSN_ISO_Lb0ESQ_SR_ST_SU_SY_EESZ_S10_S11_S12_S16_S17_S18_S1B_S1C_jS1D_jS1E_S1E_jjS1G_bEUljE0_EEESZ_S10_S11_S18_S1C_S1E_T6_T7_T9_mT8_S1G_bDpT10_ENKUlT_T0_E_clISt17integral_constantIbLb1EES1T_IbLb0EEEEDaS1P_S1Q_EUlS1P_E_NS1_11comp_targetILNS1_3genE5ELNS1_11target_archE942ELNS1_3gpuE9ELNS1_3repE0EEENS1_30default_config_static_selectorELNS0_4arch9wavefront6targetE0EEEvS12_: ; @_ZN7rocprim17ROCPRIM_400000_NS6detail17trampoline_kernelINS0_13select_configILj256ELj13ELNS0_17block_load_methodE3ELS4_3ELS4_3ELNS0_20block_scan_algorithmE0ELj4294967295EEENS1_25partition_config_selectorILNS1_17partition_subalgoE4EjNS0_10empty_typeEbEEZZNS1_14partition_implILS8_4ELb0ES6_15HIP_vector_typeIjLj2EENS0_17counting_iteratorIjlEEPS9_SG_NS0_5tupleIJPjSI_NS0_16reverse_iteratorISI_EEEEENSH_IJSG_SG_SG_EEES9_SI_JZNS1_25segmented_radix_sort_implINS0_14default_configELb0EPKhPhPKlPlN2at6native12_GLOBAL__N_18offset_tEEE10hipError_tPvRmT1_PNSt15iterator_traitsIS12_E10value_typeET2_T3_PNS13_IS18_E10value_typeET4_jRbjT5_S1E_jjP12ihipStream_tbEUljE_ZNSN_ISO_Lb0ESQ_SR_ST_SU_SY_EESZ_S10_S11_S12_S16_S17_S18_S1B_S1C_jS1D_jS1E_S1E_jjS1G_bEUljE0_EEESZ_S10_S11_S18_S1C_S1E_T6_T7_T9_mT8_S1G_bDpT10_ENKUlT_T0_E_clISt17integral_constantIbLb1EES1T_IbLb0EEEEDaS1P_S1Q_EUlS1P_E_NS1_11comp_targetILNS1_3genE5ELNS1_11target_archE942ELNS1_3gpuE9ELNS1_3repE0EEENS1_30default_config_static_selectorELNS0_4arch9wavefront6targetE0EEEvS12_
; %bb.0:
	.section	.rodata,"a",@progbits
	.p2align	6, 0x0
	.amdhsa_kernel _ZN7rocprim17ROCPRIM_400000_NS6detail17trampoline_kernelINS0_13select_configILj256ELj13ELNS0_17block_load_methodE3ELS4_3ELS4_3ELNS0_20block_scan_algorithmE0ELj4294967295EEENS1_25partition_config_selectorILNS1_17partition_subalgoE4EjNS0_10empty_typeEbEEZZNS1_14partition_implILS8_4ELb0ES6_15HIP_vector_typeIjLj2EENS0_17counting_iteratorIjlEEPS9_SG_NS0_5tupleIJPjSI_NS0_16reverse_iteratorISI_EEEEENSH_IJSG_SG_SG_EEES9_SI_JZNS1_25segmented_radix_sort_implINS0_14default_configELb0EPKhPhPKlPlN2at6native12_GLOBAL__N_18offset_tEEE10hipError_tPvRmT1_PNSt15iterator_traitsIS12_E10value_typeET2_T3_PNS13_IS18_E10value_typeET4_jRbjT5_S1E_jjP12ihipStream_tbEUljE_ZNSN_ISO_Lb0ESQ_SR_ST_SU_SY_EESZ_S10_S11_S12_S16_S17_S18_S1B_S1C_jS1D_jS1E_S1E_jjS1G_bEUljE0_EEESZ_S10_S11_S18_S1C_S1E_T6_T7_T9_mT8_S1G_bDpT10_ENKUlT_T0_E_clISt17integral_constantIbLb1EES1T_IbLb0EEEEDaS1P_S1Q_EUlS1P_E_NS1_11comp_targetILNS1_3genE5ELNS1_11target_archE942ELNS1_3gpuE9ELNS1_3repE0EEENS1_30default_config_static_selectorELNS0_4arch9wavefront6targetE0EEEvS12_
		.amdhsa_group_segment_fixed_size 0
		.amdhsa_private_segment_fixed_size 0
		.amdhsa_kernarg_size 176
		.amdhsa_user_sgpr_count 6
		.amdhsa_user_sgpr_private_segment_buffer 1
		.amdhsa_user_sgpr_dispatch_ptr 0
		.amdhsa_user_sgpr_queue_ptr 0
		.amdhsa_user_sgpr_kernarg_segment_ptr 1
		.amdhsa_user_sgpr_dispatch_id 0
		.amdhsa_user_sgpr_flat_scratch_init 0
		.amdhsa_user_sgpr_private_segment_size 0
		.amdhsa_wavefront_size32 1
		.amdhsa_uses_dynamic_stack 0
		.amdhsa_system_sgpr_private_segment_wavefront_offset 0
		.amdhsa_system_sgpr_workgroup_id_x 1
		.amdhsa_system_sgpr_workgroup_id_y 0
		.amdhsa_system_sgpr_workgroup_id_z 0
		.amdhsa_system_sgpr_workgroup_info 0
		.amdhsa_system_vgpr_workitem_id 0
		.amdhsa_next_free_vgpr 1
		.amdhsa_next_free_sgpr 1
		.amdhsa_reserve_vcc 0
		.amdhsa_reserve_flat_scratch 0
		.amdhsa_float_round_mode_32 0
		.amdhsa_float_round_mode_16_64 0
		.amdhsa_float_denorm_mode_32 3
		.amdhsa_float_denorm_mode_16_64 3
		.amdhsa_dx10_clamp 1
		.amdhsa_ieee_mode 1
		.amdhsa_fp16_overflow 0
		.amdhsa_workgroup_processor_mode 1
		.amdhsa_memory_ordered 1
		.amdhsa_forward_progress 1
		.amdhsa_shared_vgpr_count 0
		.amdhsa_exception_fp_ieee_invalid_op 0
		.amdhsa_exception_fp_denorm_src 0
		.amdhsa_exception_fp_ieee_div_zero 0
		.amdhsa_exception_fp_ieee_overflow 0
		.amdhsa_exception_fp_ieee_underflow 0
		.amdhsa_exception_fp_ieee_inexact 0
		.amdhsa_exception_int_div_zero 0
	.end_amdhsa_kernel
	.section	.text._ZN7rocprim17ROCPRIM_400000_NS6detail17trampoline_kernelINS0_13select_configILj256ELj13ELNS0_17block_load_methodE3ELS4_3ELS4_3ELNS0_20block_scan_algorithmE0ELj4294967295EEENS1_25partition_config_selectorILNS1_17partition_subalgoE4EjNS0_10empty_typeEbEEZZNS1_14partition_implILS8_4ELb0ES6_15HIP_vector_typeIjLj2EENS0_17counting_iteratorIjlEEPS9_SG_NS0_5tupleIJPjSI_NS0_16reverse_iteratorISI_EEEEENSH_IJSG_SG_SG_EEES9_SI_JZNS1_25segmented_radix_sort_implINS0_14default_configELb0EPKhPhPKlPlN2at6native12_GLOBAL__N_18offset_tEEE10hipError_tPvRmT1_PNSt15iterator_traitsIS12_E10value_typeET2_T3_PNS13_IS18_E10value_typeET4_jRbjT5_S1E_jjP12ihipStream_tbEUljE_ZNSN_ISO_Lb0ESQ_SR_ST_SU_SY_EESZ_S10_S11_S12_S16_S17_S18_S1B_S1C_jS1D_jS1E_S1E_jjS1G_bEUljE0_EEESZ_S10_S11_S18_S1C_S1E_T6_T7_T9_mT8_S1G_bDpT10_ENKUlT_T0_E_clISt17integral_constantIbLb1EES1T_IbLb0EEEEDaS1P_S1Q_EUlS1P_E_NS1_11comp_targetILNS1_3genE5ELNS1_11target_archE942ELNS1_3gpuE9ELNS1_3repE0EEENS1_30default_config_static_selectorELNS0_4arch9wavefront6targetE0EEEvS12_,"axG",@progbits,_ZN7rocprim17ROCPRIM_400000_NS6detail17trampoline_kernelINS0_13select_configILj256ELj13ELNS0_17block_load_methodE3ELS4_3ELS4_3ELNS0_20block_scan_algorithmE0ELj4294967295EEENS1_25partition_config_selectorILNS1_17partition_subalgoE4EjNS0_10empty_typeEbEEZZNS1_14partition_implILS8_4ELb0ES6_15HIP_vector_typeIjLj2EENS0_17counting_iteratorIjlEEPS9_SG_NS0_5tupleIJPjSI_NS0_16reverse_iteratorISI_EEEEENSH_IJSG_SG_SG_EEES9_SI_JZNS1_25segmented_radix_sort_implINS0_14default_configELb0EPKhPhPKlPlN2at6native12_GLOBAL__N_18offset_tEEE10hipError_tPvRmT1_PNSt15iterator_traitsIS12_E10value_typeET2_T3_PNS13_IS18_E10value_typeET4_jRbjT5_S1E_jjP12ihipStream_tbEUljE_ZNSN_ISO_Lb0ESQ_SR_ST_SU_SY_EESZ_S10_S11_S12_S16_S17_S18_S1B_S1C_jS1D_jS1E_S1E_jjS1G_bEUljE0_EEESZ_S10_S11_S18_S1C_S1E_T6_T7_T9_mT8_S1G_bDpT10_ENKUlT_T0_E_clISt17integral_constantIbLb1EES1T_IbLb0EEEEDaS1P_S1Q_EUlS1P_E_NS1_11comp_targetILNS1_3genE5ELNS1_11target_archE942ELNS1_3gpuE9ELNS1_3repE0EEENS1_30default_config_static_selectorELNS0_4arch9wavefront6targetE0EEEvS12_,comdat
.Lfunc_end138:
	.size	_ZN7rocprim17ROCPRIM_400000_NS6detail17trampoline_kernelINS0_13select_configILj256ELj13ELNS0_17block_load_methodE3ELS4_3ELS4_3ELNS0_20block_scan_algorithmE0ELj4294967295EEENS1_25partition_config_selectorILNS1_17partition_subalgoE4EjNS0_10empty_typeEbEEZZNS1_14partition_implILS8_4ELb0ES6_15HIP_vector_typeIjLj2EENS0_17counting_iteratorIjlEEPS9_SG_NS0_5tupleIJPjSI_NS0_16reverse_iteratorISI_EEEEENSH_IJSG_SG_SG_EEES9_SI_JZNS1_25segmented_radix_sort_implINS0_14default_configELb0EPKhPhPKlPlN2at6native12_GLOBAL__N_18offset_tEEE10hipError_tPvRmT1_PNSt15iterator_traitsIS12_E10value_typeET2_T3_PNS13_IS18_E10value_typeET4_jRbjT5_S1E_jjP12ihipStream_tbEUljE_ZNSN_ISO_Lb0ESQ_SR_ST_SU_SY_EESZ_S10_S11_S12_S16_S17_S18_S1B_S1C_jS1D_jS1E_S1E_jjS1G_bEUljE0_EEESZ_S10_S11_S18_S1C_S1E_T6_T7_T9_mT8_S1G_bDpT10_ENKUlT_T0_E_clISt17integral_constantIbLb1EES1T_IbLb0EEEEDaS1P_S1Q_EUlS1P_E_NS1_11comp_targetILNS1_3genE5ELNS1_11target_archE942ELNS1_3gpuE9ELNS1_3repE0EEENS1_30default_config_static_selectorELNS0_4arch9wavefront6targetE0EEEvS12_, .Lfunc_end138-_ZN7rocprim17ROCPRIM_400000_NS6detail17trampoline_kernelINS0_13select_configILj256ELj13ELNS0_17block_load_methodE3ELS4_3ELS4_3ELNS0_20block_scan_algorithmE0ELj4294967295EEENS1_25partition_config_selectorILNS1_17partition_subalgoE4EjNS0_10empty_typeEbEEZZNS1_14partition_implILS8_4ELb0ES6_15HIP_vector_typeIjLj2EENS0_17counting_iteratorIjlEEPS9_SG_NS0_5tupleIJPjSI_NS0_16reverse_iteratorISI_EEEEENSH_IJSG_SG_SG_EEES9_SI_JZNS1_25segmented_radix_sort_implINS0_14default_configELb0EPKhPhPKlPlN2at6native12_GLOBAL__N_18offset_tEEE10hipError_tPvRmT1_PNSt15iterator_traitsIS12_E10value_typeET2_T3_PNS13_IS18_E10value_typeET4_jRbjT5_S1E_jjP12ihipStream_tbEUljE_ZNSN_ISO_Lb0ESQ_SR_ST_SU_SY_EESZ_S10_S11_S12_S16_S17_S18_S1B_S1C_jS1D_jS1E_S1E_jjS1G_bEUljE0_EEESZ_S10_S11_S18_S1C_S1E_T6_T7_T9_mT8_S1G_bDpT10_ENKUlT_T0_E_clISt17integral_constantIbLb1EES1T_IbLb0EEEEDaS1P_S1Q_EUlS1P_E_NS1_11comp_targetILNS1_3genE5ELNS1_11target_archE942ELNS1_3gpuE9ELNS1_3repE0EEENS1_30default_config_static_selectorELNS0_4arch9wavefront6targetE0EEEvS12_
                                        ; -- End function
	.set _ZN7rocprim17ROCPRIM_400000_NS6detail17trampoline_kernelINS0_13select_configILj256ELj13ELNS0_17block_load_methodE3ELS4_3ELS4_3ELNS0_20block_scan_algorithmE0ELj4294967295EEENS1_25partition_config_selectorILNS1_17partition_subalgoE4EjNS0_10empty_typeEbEEZZNS1_14partition_implILS8_4ELb0ES6_15HIP_vector_typeIjLj2EENS0_17counting_iteratorIjlEEPS9_SG_NS0_5tupleIJPjSI_NS0_16reverse_iteratorISI_EEEEENSH_IJSG_SG_SG_EEES9_SI_JZNS1_25segmented_radix_sort_implINS0_14default_configELb0EPKhPhPKlPlN2at6native12_GLOBAL__N_18offset_tEEE10hipError_tPvRmT1_PNSt15iterator_traitsIS12_E10value_typeET2_T3_PNS13_IS18_E10value_typeET4_jRbjT5_S1E_jjP12ihipStream_tbEUljE_ZNSN_ISO_Lb0ESQ_SR_ST_SU_SY_EESZ_S10_S11_S12_S16_S17_S18_S1B_S1C_jS1D_jS1E_S1E_jjS1G_bEUljE0_EEESZ_S10_S11_S18_S1C_S1E_T6_T7_T9_mT8_S1G_bDpT10_ENKUlT_T0_E_clISt17integral_constantIbLb1EES1T_IbLb0EEEEDaS1P_S1Q_EUlS1P_E_NS1_11comp_targetILNS1_3genE5ELNS1_11target_archE942ELNS1_3gpuE9ELNS1_3repE0EEENS1_30default_config_static_selectorELNS0_4arch9wavefront6targetE0EEEvS12_.num_vgpr, 0
	.set _ZN7rocprim17ROCPRIM_400000_NS6detail17trampoline_kernelINS0_13select_configILj256ELj13ELNS0_17block_load_methodE3ELS4_3ELS4_3ELNS0_20block_scan_algorithmE0ELj4294967295EEENS1_25partition_config_selectorILNS1_17partition_subalgoE4EjNS0_10empty_typeEbEEZZNS1_14partition_implILS8_4ELb0ES6_15HIP_vector_typeIjLj2EENS0_17counting_iteratorIjlEEPS9_SG_NS0_5tupleIJPjSI_NS0_16reverse_iteratorISI_EEEEENSH_IJSG_SG_SG_EEES9_SI_JZNS1_25segmented_radix_sort_implINS0_14default_configELb0EPKhPhPKlPlN2at6native12_GLOBAL__N_18offset_tEEE10hipError_tPvRmT1_PNSt15iterator_traitsIS12_E10value_typeET2_T3_PNS13_IS18_E10value_typeET4_jRbjT5_S1E_jjP12ihipStream_tbEUljE_ZNSN_ISO_Lb0ESQ_SR_ST_SU_SY_EESZ_S10_S11_S12_S16_S17_S18_S1B_S1C_jS1D_jS1E_S1E_jjS1G_bEUljE0_EEESZ_S10_S11_S18_S1C_S1E_T6_T7_T9_mT8_S1G_bDpT10_ENKUlT_T0_E_clISt17integral_constantIbLb1EES1T_IbLb0EEEEDaS1P_S1Q_EUlS1P_E_NS1_11comp_targetILNS1_3genE5ELNS1_11target_archE942ELNS1_3gpuE9ELNS1_3repE0EEENS1_30default_config_static_selectorELNS0_4arch9wavefront6targetE0EEEvS12_.num_agpr, 0
	.set _ZN7rocprim17ROCPRIM_400000_NS6detail17trampoline_kernelINS0_13select_configILj256ELj13ELNS0_17block_load_methodE3ELS4_3ELS4_3ELNS0_20block_scan_algorithmE0ELj4294967295EEENS1_25partition_config_selectorILNS1_17partition_subalgoE4EjNS0_10empty_typeEbEEZZNS1_14partition_implILS8_4ELb0ES6_15HIP_vector_typeIjLj2EENS0_17counting_iteratorIjlEEPS9_SG_NS0_5tupleIJPjSI_NS0_16reverse_iteratorISI_EEEEENSH_IJSG_SG_SG_EEES9_SI_JZNS1_25segmented_radix_sort_implINS0_14default_configELb0EPKhPhPKlPlN2at6native12_GLOBAL__N_18offset_tEEE10hipError_tPvRmT1_PNSt15iterator_traitsIS12_E10value_typeET2_T3_PNS13_IS18_E10value_typeET4_jRbjT5_S1E_jjP12ihipStream_tbEUljE_ZNSN_ISO_Lb0ESQ_SR_ST_SU_SY_EESZ_S10_S11_S12_S16_S17_S18_S1B_S1C_jS1D_jS1E_S1E_jjS1G_bEUljE0_EEESZ_S10_S11_S18_S1C_S1E_T6_T7_T9_mT8_S1G_bDpT10_ENKUlT_T0_E_clISt17integral_constantIbLb1EES1T_IbLb0EEEEDaS1P_S1Q_EUlS1P_E_NS1_11comp_targetILNS1_3genE5ELNS1_11target_archE942ELNS1_3gpuE9ELNS1_3repE0EEENS1_30default_config_static_selectorELNS0_4arch9wavefront6targetE0EEEvS12_.numbered_sgpr, 0
	.set _ZN7rocprim17ROCPRIM_400000_NS6detail17trampoline_kernelINS0_13select_configILj256ELj13ELNS0_17block_load_methodE3ELS4_3ELS4_3ELNS0_20block_scan_algorithmE0ELj4294967295EEENS1_25partition_config_selectorILNS1_17partition_subalgoE4EjNS0_10empty_typeEbEEZZNS1_14partition_implILS8_4ELb0ES6_15HIP_vector_typeIjLj2EENS0_17counting_iteratorIjlEEPS9_SG_NS0_5tupleIJPjSI_NS0_16reverse_iteratorISI_EEEEENSH_IJSG_SG_SG_EEES9_SI_JZNS1_25segmented_radix_sort_implINS0_14default_configELb0EPKhPhPKlPlN2at6native12_GLOBAL__N_18offset_tEEE10hipError_tPvRmT1_PNSt15iterator_traitsIS12_E10value_typeET2_T3_PNS13_IS18_E10value_typeET4_jRbjT5_S1E_jjP12ihipStream_tbEUljE_ZNSN_ISO_Lb0ESQ_SR_ST_SU_SY_EESZ_S10_S11_S12_S16_S17_S18_S1B_S1C_jS1D_jS1E_S1E_jjS1G_bEUljE0_EEESZ_S10_S11_S18_S1C_S1E_T6_T7_T9_mT8_S1G_bDpT10_ENKUlT_T0_E_clISt17integral_constantIbLb1EES1T_IbLb0EEEEDaS1P_S1Q_EUlS1P_E_NS1_11comp_targetILNS1_3genE5ELNS1_11target_archE942ELNS1_3gpuE9ELNS1_3repE0EEENS1_30default_config_static_selectorELNS0_4arch9wavefront6targetE0EEEvS12_.num_named_barrier, 0
	.set _ZN7rocprim17ROCPRIM_400000_NS6detail17trampoline_kernelINS0_13select_configILj256ELj13ELNS0_17block_load_methodE3ELS4_3ELS4_3ELNS0_20block_scan_algorithmE0ELj4294967295EEENS1_25partition_config_selectorILNS1_17partition_subalgoE4EjNS0_10empty_typeEbEEZZNS1_14partition_implILS8_4ELb0ES6_15HIP_vector_typeIjLj2EENS0_17counting_iteratorIjlEEPS9_SG_NS0_5tupleIJPjSI_NS0_16reverse_iteratorISI_EEEEENSH_IJSG_SG_SG_EEES9_SI_JZNS1_25segmented_radix_sort_implINS0_14default_configELb0EPKhPhPKlPlN2at6native12_GLOBAL__N_18offset_tEEE10hipError_tPvRmT1_PNSt15iterator_traitsIS12_E10value_typeET2_T3_PNS13_IS18_E10value_typeET4_jRbjT5_S1E_jjP12ihipStream_tbEUljE_ZNSN_ISO_Lb0ESQ_SR_ST_SU_SY_EESZ_S10_S11_S12_S16_S17_S18_S1B_S1C_jS1D_jS1E_S1E_jjS1G_bEUljE0_EEESZ_S10_S11_S18_S1C_S1E_T6_T7_T9_mT8_S1G_bDpT10_ENKUlT_T0_E_clISt17integral_constantIbLb1EES1T_IbLb0EEEEDaS1P_S1Q_EUlS1P_E_NS1_11comp_targetILNS1_3genE5ELNS1_11target_archE942ELNS1_3gpuE9ELNS1_3repE0EEENS1_30default_config_static_selectorELNS0_4arch9wavefront6targetE0EEEvS12_.private_seg_size, 0
	.set _ZN7rocprim17ROCPRIM_400000_NS6detail17trampoline_kernelINS0_13select_configILj256ELj13ELNS0_17block_load_methodE3ELS4_3ELS4_3ELNS0_20block_scan_algorithmE0ELj4294967295EEENS1_25partition_config_selectorILNS1_17partition_subalgoE4EjNS0_10empty_typeEbEEZZNS1_14partition_implILS8_4ELb0ES6_15HIP_vector_typeIjLj2EENS0_17counting_iteratorIjlEEPS9_SG_NS0_5tupleIJPjSI_NS0_16reverse_iteratorISI_EEEEENSH_IJSG_SG_SG_EEES9_SI_JZNS1_25segmented_radix_sort_implINS0_14default_configELb0EPKhPhPKlPlN2at6native12_GLOBAL__N_18offset_tEEE10hipError_tPvRmT1_PNSt15iterator_traitsIS12_E10value_typeET2_T3_PNS13_IS18_E10value_typeET4_jRbjT5_S1E_jjP12ihipStream_tbEUljE_ZNSN_ISO_Lb0ESQ_SR_ST_SU_SY_EESZ_S10_S11_S12_S16_S17_S18_S1B_S1C_jS1D_jS1E_S1E_jjS1G_bEUljE0_EEESZ_S10_S11_S18_S1C_S1E_T6_T7_T9_mT8_S1G_bDpT10_ENKUlT_T0_E_clISt17integral_constantIbLb1EES1T_IbLb0EEEEDaS1P_S1Q_EUlS1P_E_NS1_11comp_targetILNS1_3genE5ELNS1_11target_archE942ELNS1_3gpuE9ELNS1_3repE0EEENS1_30default_config_static_selectorELNS0_4arch9wavefront6targetE0EEEvS12_.uses_vcc, 0
	.set _ZN7rocprim17ROCPRIM_400000_NS6detail17trampoline_kernelINS0_13select_configILj256ELj13ELNS0_17block_load_methodE3ELS4_3ELS4_3ELNS0_20block_scan_algorithmE0ELj4294967295EEENS1_25partition_config_selectorILNS1_17partition_subalgoE4EjNS0_10empty_typeEbEEZZNS1_14partition_implILS8_4ELb0ES6_15HIP_vector_typeIjLj2EENS0_17counting_iteratorIjlEEPS9_SG_NS0_5tupleIJPjSI_NS0_16reverse_iteratorISI_EEEEENSH_IJSG_SG_SG_EEES9_SI_JZNS1_25segmented_radix_sort_implINS0_14default_configELb0EPKhPhPKlPlN2at6native12_GLOBAL__N_18offset_tEEE10hipError_tPvRmT1_PNSt15iterator_traitsIS12_E10value_typeET2_T3_PNS13_IS18_E10value_typeET4_jRbjT5_S1E_jjP12ihipStream_tbEUljE_ZNSN_ISO_Lb0ESQ_SR_ST_SU_SY_EESZ_S10_S11_S12_S16_S17_S18_S1B_S1C_jS1D_jS1E_S1E_jjS1G_bEUljE0_EEESZ_S10_S11_S18_S1C_S1E_T6_T7_T9_mT8_S1G_bDpT10_ENKUlT_T0_E_clISt17integral_constantIbLb1EES1T_IbLb0EEEEDaS1P_S1Q_EUlS1P_E_NS1_11comp_targetILNS1_3genE5ELNS1_11target_archE942ELNS1_3gpuE9ELNS1_3repE0EEENS1_30default_config_static_selectorELNS0_4arch9wavefront6targetE0EEEvS12_.uses_flat_scratch, 0
	.set _ZN7rocprim17ROCPRIM_400000_NS6detail17trampoline_kernelINS0_13select_configILj256ELj13ELNS0_17block_load_methodE3ELS4_3ELS4_3ELNS0_20block_scan_algorithmE0ELj4294967295EEENS1_25partition_config_selectorILNS1_17partition_subalgoE4EjNS0_10empty_typeEbEEZZNS1_14partition_implILS8_4ELb0ES6_15HIP_vector_typeIjLj2EENS0_17counting_iteratorIjlEEPS9_SG_NS0_5tupleIJPjSI_NS0_16reverse_iteratorISI_EEEEENSH_IJSG_SG_SG_EEES9_SI_JZNS1_25segmented_radix_sort_implINS0_14default_configELb0EPKhPhPKlPlN2at6native12_GLOBAL__N_18offset_tEEE10hipError_tPvRmT1_PNSt15iterator_traitsIS12_E10value_typeET2_T3_PNS13_IS18_E10value_typeET4_jRbjT5_S1E_jjP12ihipStream_tbEUljE_ZNSN_ISO_Lb0ESQ_SR_ST_SU_SY_EESZ_S10_S11_S12_S16_S17_S18_S1B_S1C_jS1D_jS1E_S1E_jjS1G_bEUljE0_EEESZ_S10_S11_S18_S1C_S1E_T6_T7_T9_mT8_S1G_bDpT10_ENKUlT_T0_E_clISt17integral_constantIbLb1EES1T_IbLb0EEEEDaS1P_S1Q_EUlS1P_E_NS1_11comp_targetILNS1_3genE5ELNS1_11target_archE942ELNS1_3gpuE9ELNS1_3repE0EEENS1_30default_config_static_selectorELNS0_4arch9wavefront6targetE0EEEvS12_.has_dyn_sized_stack, 0
	.set _ZN7rocprim17ROCPRIM_400000_NS6detail17trampoline_kernelINS0_13select_configILj256ELj13ELNS0_17block_load_methodE3ELS4_3ELS4_3ELNS0_20block_scan_algorithmE0ELj4294967295EEENS1_25partition_config_selectorILNS1_17partition_subalgoE4EjNS0_10empty_typeEbEEZZNS1_14partition_implILS8_4ELb0ES6_15HIP_vector_typeIjLj2EENS0_17counting_iteratorIjlEEPS9_SG_NS0_5tupleIJPjSI_NS0_16reverse_iteratorISI_EEEEENSH_IJSG_SG_SG_EEES9_SI_JZNS1_25segmented_radix_sort_implINS0_14default_configELb0EPKhPhPKlPlN2at6native12_GLOBAL__N_18offset_tEEE10hipError_tPvRmT1_PNSt15iterator_traitsIS12_E10value_typeET2_T3_PNS13_IS18_E10value_typeET4_jRbjT5_S1E_jjP12ihipStream_tbEUljE_ZNSN_ISO_Lb0ESQ_SR_ST_SU_SY_EESZ_S10_S11_S12_S16_S17_S18_S1B_S1C_jS1D_jS1E_S1E_jjS1G_bEUljE0_EEESZ_S10_S11_S18_S1C_S1E_T6_T7_T9_mT8_S1G_bDpT10_ENKUlT_T0_E_clISt17integral_constantIbLb1EES1T_IbLb0EEEEDaS1P_S1Q_EUlS1P_E_NS1_11comp_targetILNS1_3genE5ELNS1_11target_archE942ELNS1_3gpuE9ELNS1_3repE0EEENS1_30default_config_static_selectorELNS0_4arch9wavefront6targetE0EEEvS12_.has_recursion, 0
	.set _ZN7rocprim17ROCPRIM_400000_NS6detail17trampoline_kernelINS0_13select_configILj256ELj13ELNS0_17block_load_methodE3ELS4_3ELS4_3ELNS0_20block_scan_algorithmE0ELj4294967295EEENS1_25partition_config_selectorILNS1_17partition_subalgoE4EjNS0_10empty_typeEbEEZZNS1_14partition_implILS8_4ELb0ES6_15HIP_vector_typeIjLj2EENS0_17counting_iteratorIjlEEPS9_SG_NS0_5tupleIJPjSI_NS0_16reverse_iteratorISI_EEEEENSH_IJSG_SG_SG_EEES9_SI_JZNS1_25segmented_radix_sort_implINS0_14default_configELb0EPKhPhPKlPlN2at6native12_GLOBAL__N_18offset_tEEE10hipError_tPvRmT1_PNSt15iterator_traitsIS12_E10value_typeET2_T3_PNS13_IS18_E10value_typeET4_jRbjT5_S1E_jjP12ihipStream_tbEUljE_ZNSN_ISO_Lb0ESQ_SR_ST_SU_SY_EESZ_S10_S11_S12_S16_S17_S18_S1B_S1C_jS1D_jS1E_S1E_jjS1G_bEUljE0_EEESZ_S10_S11_S18_S1C_S1E_T6_T7_T9_mT8_S1G_bDpT10_ENKUlT_T0_E_clISt17integral_constantIbLb1EES1T_IbLb0EEEEDaS1P_S1Q_EUlS1P_E_NS1_11comp_targetILNS1_3genE5ELNS1_11target_archE942ELNS1_3gpuE9ELNS1_3repE0EEENS1_30default_config_static_selectorELNS0_4arch9wavefront6targetE0EEEvS12_.has_indirect_call, 0
	.section	.AMDGPU.csdata,"",@progbits
; Kernel info:
; codeLenInByte = 0
; TotalNumSgprs: 0
; NumVgprs: 0
; ScratchSize: 0
; MemoryBound: 0
; FloatMode: 240
; IeeeMode: 1
; LDSByteSize: 0 bytes/workgroup (compile time only)
; SGPRBlocks: 0
; VGPRBlocks: 0
; NumSGPRsForWavesPerEU: 1
; NumVGPRsForWavesPerEU: 1
; Occupancy: 16
; WaveLimiterHint : 0
; COMPUTE_PGM_RSRC2:SCRATCH_EN: 0
; COMPUTE_PGM_RSRC2:USER_SGPR: 6
; COMPUTE_PGM_RSRC2:TRAP_HANDLER: 0
; COMPUTE_PGM_RSRC2:TGID_X_EN: 1
; COMPUTE_PGM_RSRC2:TGID_Y_EN: 0
; COMPUTE_PGM_RSRC2:TGID_Z_EN: 0
; COMPUTE_PGM_RSRC2:TIDIG_COMP_CNT: 0
	.section	.text._ZN7rocprim17ROCPRIM_400000_NS6detail17trampoline_kernelINS0_13select_configILj256ELj13ELNS0_17block_load_methodE3ELS4_3ELS4_3ELNS0_20block_scan_algorithmE0ELj4294967295EEENS1_25partition_config_selectorILNS1_17partition_subalgoE4EjNS0_10empty_typeEbEEZZNS1_14partition_implILS8_4ELb0ES6_15HIP_vector_typeIjLj2EENS0_17counting_iteratorIjlEEPS9_SG_NS0_5tupleIJPjSI_NS0_16reverse_iteratorISI_EEEEENSH_IJSG_SG_SG_EEES9_SI_JZNS1_25segmented_radix_sort_implINS0_14default_configELb0EPKhPhPKlPlN2at6native12_GLOBAL__N_18offset_tEEE10hipError_tPvRmT1_PNSt15iterator_traitsIS12_E10value_typeET2_T3_PNS13_IS18_E10value_typeET4_jRbjT5_S1E_jjP12ihipStream_tbEUljE_ZNSN_ISO_Lb0ESQ_SR_ST_SU_SY_EESZ_S10_S11_S12_S16_S17_S18_S1B_S1C_jS1D_jS1E_S1E_jjS1G_bEUljE0_EEESZ_S10_S11_S18_S1C_S1E_T6_T7_T9_mT8_S1G_bDpT10_ENKUlT_T0_E_clISt17integral_constantIbLb1EES1T_IbLb0EEEEDaS1P_S1Q_EUlS1P_E_NS1_11comp_targetILNS1_3genE4ELNS1_11target_archE910ELNS1_3gpuE8ELNS1_3repE0EEENS1_30default_config_static_selectorELNS0_4arch9wavefront6targetE0EEEvS12_,"axG",@progbits,_ZN7rocprim17ROCPRIM_400000_NS6detail17trampoline_kernelINS0_13select_configILj256ELj13ELNS0_17block_load_methodE3ELS4_3ELS4_3ELNS0_20block_scan_algorithmE0ELj4294967295EEENS1_25partition_config_selectorILNS1_17partition_subalgoE4EjNS0_10empty_typeEbEEZZNS1_14partition_implILS8_4ELb0ES6_15HIP_vector_typeIjLj2EENS0_17counting_iteratorIjlEEPS9_SG_NS0_5tupleIJPjSI_NS0_16reverse_iteratorISI_EEEEENSH_IJSG_SG_SG_EEES9_SI_JZNS1_25segmented_radix_sort_implINS0_14default_configELb0EPKhPhPKlPlN2at6native12_GLOBAL__N_18offset_tEEE10hipError_tPvRmT1_PNSt15iterator_traitsIS12_E10value_typeET2_T3_PNS13_IS18_E10value_typeET4_jRbjT5_S1E_jjP12ihipStream_tbEUljE_ZNSN_ISO_Lb0ESQ_SR_ST_SU_SY_EESZ_S10_S11_S12_S16_S17_S18_S1B_S1C_jS1D_jS1E_S1E_jjS1G_bEUljE0_EEESZ_S10_S11_S18_S1C_S1E_T6_T7_T9_mT8_S1G_bDpT10_ENKUlT_T0_E_clISt17integral_constantIbLb1EES1T_IbLb0EEEEDaS1P_S1Q_EUlS1P_E_NS1_11comp_targetILNS1_3genE4ELNS1_11target_archE910ELNS1_3gpuE8ELNS1_3repE0EEENS1_30default_config_static_selectorELNS0_4arch9wavefront6targetE0EEEvS12_,comdat
	.globl	_ZN7rocprim17ROCPRIM_400000_NS6detail17trampoline_kernelINS0_13select_configILj256ELj13ELNS0_17block_load_methodE3ELS4_3ELS4_3ELNS0_20block_scan_algorithmE0ELj4294967295EEENS1_25partition_config_selectorILNS1_17partition_subalgoE4EjNS0_10empty_typeEbEEZZNS1_14partition_implILS8_4ELb0ES6_15HIP_vector_typeIjLj2EENS0_17counting_iteratorIjlEEPS9_SG_NS0_5tupleIJPjSI_NS0_16reverse_iteratorISI_EEEEENSH_IJSG_SG_SG_EEES9_SI_JZNS1_25segmented_radix_sort_implINS0_14default_configELb0EPKhPhPKlPlN2at6native12_GLOBAL__N_18offset_tEEE10hipError_tPvRmT1_PNSt15iterator_traitsIS12_E10value_typeET2_T3_PNS13_IS18_E10value_typeET4_jRbjT5_S1E_jjP12ihipStream_tbEUljE_ZNSN_ISO_Lb0ESQ_SR_ST_SU_SY_EESZ_S10_S11_S12_S16_S17_S18_S1B_S1C_jS1D_jS1E_S1E_jjS1G_bEUljE0_EEESZ_S10_S11_S18_S1C_S1E_T6_T7_T9_mT8_S1G_bDpT10_ENKUlT_T0_E_clISt17integral_constantIbLb1EES1T_IbLb0EEEEDaS1P_S1Q_EUlS1P_E_NS1_11comp_targetILNS1_3genE4ELNS1_11target_archE910ELNS1_3gpuE8ELNS1_3repE0EEENS1_30default_config_static_selectorELNS0_4arch9wavefront6targetE0EEEvS12_ ; -- Begin function _ZN7rocprim17ROCPRIM_400000_NS6detail17trampoline_kernelINS0_13select_configILj256ELj13ELNS0_17block_load_methodE3ELS4_3ELS4_3ELNS0_20block_scan_algorithmE0ELj4294967295EEENS1_25partition_config_selectorILNS1_17partition_subalgoE4EjNS0_10empty_typeEbEEZZNS1_14partition_implILS8_4ELb0ES6_15HIP_vector_typeIjLj2EENS0_17counting_iteratorIjlEEPS9_SG_NS0_5tupleIJPjSI_NS0_16reverse_iteratorISI_EEEEENSH_IJSG_SG_SG_EEES9_SI_JZNS1_25segmented_radix_sort_implINS0_14default_configELb0EPKhPhPKlPlN2at6native12_GLOBAL__N_18offset_tEEE10hipError_tPvRmT1_PNSt15iterator_traitsIS12_E10value_typeET2_T3_PNS13_IS18_E10value_typeET4_jRbjT5_S1E_jjP12ihipStream_tbEUljE_ZNSN_ISO_Lb0ESQ_SR_ST_SU_SY_EESZ_S10_S11_S12_S16_S17_S18_S1B_S1C_jS1D_jS1E_S1E_jjS1G_bEUljE0_EEESZ_S10_S11_S18_S1C_S1E_T6_T7_T9_mT8_S1G_bDpT10_ENKUlT_T0_E_clISt17integral_constantIbLb1EES1T_IbLb0EEEEDaS1P_S1Q_EUlS1P_E_NS1_11comp_targetILNS1_3genE4ELNS1_11target_archE910ELNS1_3gpuE8ELNS1_3repE0EEENS1_30default_config_static_selectorELNS0_4arch9wavefront6targetE0EEEvS12_
	.p2align	8
	.type	_ZN7rocprim17ROCPRIM_400000_NS6detail17trampoline_kernelINS0_13select_configILj256ELj13ELNS0_17block_load_methodE3ELS4_3ELS4_3ELNS0_20block_scan_algorithmE0ELj4294967295EEENS1_25partition_config_selectorILNS1_17partition_subalgoE4EjNS0_10empty_typeEbEEZZNS1_14partition_implILS8_4ELb0ES6_15HIP_vector_typeIjLj2EENS0_17counting_iteratorIjlEEPS9_SG_NS0_5tupleIJPjSI_NS0_16reverse_iteratorISI_EEEEENSH_IJSG_SG_SG_EEES9_SI_JZNS1_25segmented_radix_sort_implINS0_14default_configELb0EPKhPhPKlPlN2at6native12_GLOBAL__N_18offset_tEEE10hipError_tPvRmT1_PNSt15iterator_traitsIS12_E10value_typeET2_T3_PNS13_IS18_E10value_typeET4_jRbjT5_S1E_jjP12ihipStream_tbEUljE_ZNSN_ISO_Lb0ESQ_SR_ST_SU_SY_EESZ_S10_S11_S12_S16_S17_S18_S1B_S1C_jS1D_jS1E_S1E_jjS1G_bEUljE0_EEESZ_S10_S11_S18_S1C_S1E_T6_T7_T9_mT8_S1G_bDpT10_ENKUlT_T0_E_clISt17integral_constantIbLb1EES1T_IbLb0EEEEDaS1P_S1Q_EUlS1P_E_NS1_11comp_targetILNS1_3genE4ELNS1_11target_archE910ELNS1_3gpuE8ELNS1_3repE0EEENS1_30default_config_static_selectorELNS0_4arch9wavefront6targetE0EEEvS12_,@function
_ZN7rocprim17ROCPRIM_400000_NS6detail17trampoline_kernelINS0_13select_configILj256ELj13ELNS0_17block_load_methodE3ELS4_3ELS4_3ELNS0_20block_scan_algorithmE0ELj4294967295EEENS1_25partition_config_selectorILNS1_17partition_subalgoE4EjNS0_10empty_typeEbEEZZNS1_14partition_implILS8_4ELb0ES6_15HIP_vector_typeIjLj2EENS0_17counting_iteratorIjlEEPS9_SG_NS0_5tupleIJPjSI_NS0_16reverse_iteratorISI_EEEEENSH_IJSG_SG_SG_EEES9_SI_JZNS1_25segmented_radix_sort_implINS0_14default_configELb0EPKhPhPKlPlN2at6native12_GLOBAL__N_18offset_tEEE10hipError_tPvRmT1_PNSt15iterator_traitsIS12_E10value_typeET2_T3_PNS13_IS18_E10value_typeET4_jRbjT5_S1E_jjP12ihipStream_tbEUljE_ZNSN_ISO_Lb0ESQ_SR_ST_SU_SY_EESZ_S10_S11_S12_S16_S17_S18_S1B_S1C_jS1D_jS1E_S1E_jjS1G_bEUljE0_EEESZ_S10_S11_S18_S1C_S1E_T6_T7_T9_mT8_S1G_bDpT10_ENKUlT_T0_E_clISt17integral_constantIbLb1EES1T_IbLb0EEEEDaS1P_S1Q_EUlS1P_E_NS1_11comp_targetILNS1_3genE4ELNS1_11target_archE910ELNS1_3gpuE8ELNS1_3repE0EEENS1_30default_config_static_selectorELNS0_4arch9wavefront6targetE0EEEvS12_: ; @_ZN7rocprim17ROCPRIM_400000_NS6detail17trampoline_kernelINS0_13select_configILj256ELj13ELNS0_17block_load_methodE3ELS4_3ELS4_3ELNS0_20block_scan_algorithmE0ELj4294967295EEENS1_25partition_config_selectorILNS1_17partition_subalgoE4EjNS0_10empty_typeEbEEZZNS1_14partition_implILS8_4ELb0ES6_15HIP_vector_typeIjLj2EENS0_17counting_iteratorIjlEEPS9_SG_NS0_5tupleIJPjSI_NS0_16reverse_iteratorISI_EEEEENSH_IJSG_SG_SG_EEES9_SI_JZNS1_25segmented_radix_sort_implINS0_14default_configELb0EPKhPhPKlPlN2at6native12_GLOBAL__N_18offset_tEEE10hipError_tPvRmT1_PNSt15iterator_traitsIS12_E10value_typeET2_T3_PNS13_IS18_E10value_typeET4_jRbjT5_S1E_jjP12ihipStream_tbEUljE_ZNSN_ISO_Lb0ESQ_SR_ST_SU_SY_EESZ_S10_S11_S12_S16_S17_S18_S1B_S1C_jS1D_jS1E_S1E_jjS1G_bEUljE0_EEESZ_S10_S11_S18_S1C_S1E_T6_T7_T9_mT8_S1G_bDpT10_ENKUlT_T0_E_clISt17integral_constantIbLb1EES1T_IbLb0EEEEDaS1P_S1Q_EUlS1P_E_NS1_11comp_targetILNS1_3genE4ELNS1_11target_archE910ELNS1_3gpuE8ELNS1_3repE0EEENS1_30default_config_static_selectorELNS0_4arch9wavefront6targetE0EEEvS12_
; %bb.0:
	.section	.rodata,"a",@progbits
	.p2align	6, 0x0
	.amdhsa_kernel _ZN7rocprim17ROCPRIM_400000_NS6detail17trampoline_kernelINS0_13select_configILj256ELj13ELNS0_17block_load_methodE3ELS4_3ELS4_3ELNS0_20block_scan_algorithmE0ELj4294967295EEENS1_25partition_config_selectorILNS1_17partition_subalgoE4EjNS0_10empty_typeEbEEZZNS1_14partition_implILS8_4ELb0ES6_15HIP_vector_typeIjLj2EENS0_17counting_iteratorIjlEEPS9_SG_NS0_5tupleIJPjSI_NS0_16reverse_iteratorISI_EEEEENSH_IJSG_SG_SG_EEES9_SI_JZNS1_25segmented_radix_sort_implINS0_14default_configELb0EPKhPhPKlPlN2at6native12_GLOBAL__N_18offset_tEEE10hipError_tPvRmT1_PNSt15iterator_traitsIS12_E10value_typeET2_T3_PNS13_IS18_E10value_typeET4_jRbjT5_S1E_jjP12ihipStream_tbEUljE_ZNSN_ISO_Lb0ESQ_SR_ST_SU_SY_EESZ_S10_S11_S12_S16_S17_S18_S1B_S1C_jS1D_jS1E_S1E_jjS1G_bEUljE0_EEESZ_S10_S11_S18_S1C_S1E_T6_T7_T9_mT8_S1G_bDpT10_ENKUlT_T0_E_clISt17integral_constantIbLb1EES1T_IbLb0EEEEDaS1P_S1Q_EUlS1P_E_NS1_11comp_targetILNS1_3genE4ELNS1_11target_archE910ELNS1_3gpuE8ELNS1_3repE0EEENS1_30default_config_static_selectorELNS0_4arch9wavefront6targetE0EEEvS12_
		.amdhsa_group_segment_fixed_size 0
		.amdhsa_private_segment_fixed_size 0
		.amdhsa_kernarg_size 176
		.amdhsa_user_sgpr_count 6
		.amdhsa_user_sgpr_private_segment_buffer 1
		.amdhsa_user_sgpr_dispatch_ptr 0
		.amdhsa_user_sgpr_queue_ptr 0
		.amdhsa_user_sgpr_kernarg_segment_ptr 1
		.amdhsa_user_sgpr_dispatch_id 0
		.amdhsa_user_sgpr_flat_scratch_init 0
		.amdhsa_user_sgpr_private_segment_size 0
		.amdhsa_wavefront_size32 1
		.amdhsa_uses_dynamic_stack 0
		.amdhsa_system_sgpr_private_segment_wavefront_offset 0
		.amdhsa_system_sgpr_workgroup_id_x 1
		.amdhsa_system_sgpr_workgroup_id_y 0
		.amdhsa_system_sgpr_workgroup_id_z 0
		.amdhsa_system_sgpr_workgroup_info 0
		.amdhsa_system_vgpr_workitem_id 0
		.amdhsa_next_free_vgpr 1
		.amdhsa_next_free_sgpr 1
		.amdhsa_reserve_vcc 0
		.amdhsa_reserve_flat_scratch 0
		.amdhsa_float_round_mode_32 0
		.amdhsa_float_round_mode_16_64 0
		.amdhsa_float_denorm_mode_32 3
		.amdhsa_float_denorm_mode_16_64 3
		.amdhsa_dx10_clamp 1
		.amdhsa_ieee_mode 1
		.amdhsa_fp16_overflow 0
		.amdhsa_workgroup_processor_mode 1
		.amdhsa_memory_ordered 1
		.amdhsa_forward_progress 1
		.amdhsa_shared_vgpr_count 0
		.amdhsa_exception_fp_ieee_invalid_op 0
		.amdhsa_exception_fp_denorm_src 0
		.amdhsa_exception_fp_ieee_div_zero 0
		.amdhsa_exception_fp_ieee_overflow 0
		.amdhsa_exception_fp_ieee_underflow 0
		.amdhsa_exception_fp_ieee_inexact 0
		.amdhsa_exception_int_div_zero 0
	.end_amdhsa_kernel
	.section	.text._ZN7rocprim17ROCPRIM_400000_NS6detail17trampoline_kernelINS0_13select_configILj256ELj13ELNS0_17block_load_methodE3ELS4_3ELS4_3ELNS0_20block_scan_algorithmE0ELj4294967295EEENS1_25partition_config_selectorILNS1_17partition_subalgoE4EjNS0_10empty_typeEbEEZZNS1_14partition_implILS8_4ELb0ES6_15HIP_vector_typeIjLj2EENS0_17counting_iteratorIjlEEPS9_SG_NS0_5tupleIJPjSI_NS0_16reverse_iteratorISI_EEEEENSH_IJSG_SG_SG_EEES9_SI_JZNS1_25segmented_radix_sort_implINS0_14default_configELb0EPKhPhPKlPlN2at6native12_GLOBAL__N_18offset_tEEE10hipError_tPvRmT1_PNSt15iterator_traitsIS12_E10value_typeET2_T3_PNS13_IS18_E10value_typeET4_jRbjT5_S1E_jjP12ihipStream_tbEUljE_ZNSN_ISO_Lb0ESQ_SR_ST_SU_SY_EESZ_S10_S11_S12_S16_S17_S18_S1B_S1C_jS1D_jS1E_S1E_jjS1G_bEUljE0_EEESZ_S10_S11_S18_S1C_S1E_T6_T7_T9_mT8_S1G_bDpT10_ENKUlT_T0_E_clISt17integral_constantIbLb1EES1T_IbLb0EEEEDaS1P_S1Q_EUlS1P_E_NS1_11comp_targetILNS1_3genE4ELNS1_11target_archE910ELNS1_3gpuE8ELNS1_3repE0EEENS1_30default_config_static_selectorELNS0_4arch9wavefront6targetE0EEEvS12_,"axG",@progbits,_ZN7rocprim17ROCPRIM_400000_NS6detail17trampoline_kernelINS0_13select_configILj256ELj13ELNS0_17block_load_methodE3ELS4_3ELS4_3ELNS0_20block_scan_algorithmE0ELj4294967295EEENS1_25partition_config_selectorILNS1_17partition_subalgoE4EjNS0_10empty_typeEbEEZZNS1_14partition_implILS8_4ELb0ES6_15HIP_vector_typeIjLj2EENS0_17counting_iteratorIjlEEPS9_SG_NS0_5tupleIJPjSI_NS0_16reverse_iteratorISI_EEEEENSH_IJSG_SG_SG_EEES9_SI_JZNS1_25segmented_radix_sort_implINS0_14default_configELb0EPKhPhPKlPlN2at6native12_GLOBAL__N_18offset_tEEE10hipError_tPvRmT1_PNSt15iterator_traitsIS12_E10value_typeET2_T3_PNS13_IS18_E10value_typeET4_jRbjT5_S1E_jjP12ihipStream_tbEUljE_ZNSN_ISO_Lb0ESQ_SR_ST_SU_SY_EESZ_S10_S11_S12_S16_S17_S18_S1B_S1C_jS1D_jS1E_S1E_jjS1G_bEUljE0_EEESZ_S10_S11_S18_S1C_S1E_T6_T7_T9_mT8_S1G_bDpT10_ENKUlT_T0_E_clISt17integral_constantIbLb1EES1T_IbLb0EEEEDaS1P_S1Q_EUlS1P_E_NS1_11comp_targetILNS1_3genE4ELNS1_11target_archE910ELNS1_3gpuE8ELNS1_3repE0EEENS1_30default_config_static_selectorELNS0_4arch9wavefront6targetE0EEEvS12_,comdat
.Lfunc_end139:
	.size	_ZN7rocprim17ROCPRIM_400000_NS6detail17trampoline_kernelINS0_13select_configILj256ELj13ELNS0_17block_load_methodE3ELS4_3ELS4_3ELNS0_20block_scan_algorithmE0ELj4294967295EEENS1_25partition_config_selectorILNS1_17partition_subalgoE4EjNS0_10empty_typeEbEEZZNS1_14partition_implILS8_4ELb0ES6_15HIP_vector_typeIjLj2EENS0_17counting_iteratorIjlEEPS9_SG_NS0_5tupleIJPjSI_NS0_16reverse_iteratorISI_EEEEENSH_IJSG_SG_SG_EEES9_SI_JZNS1_25segmented_radix_sort_implINS0_14default_configELb0EPKhPhPKlPlN2at6native12_GLOBAL__N_18offset_tEEE10hipError_tPvRmT1_PNSt15iterator_traitsIS12_E10value_typeET2_T3_PNS13_IS18_E10value_typeET4_jRbjT5_S1E_jjP12ihipStream_tbEUljE_ZNSN_ISO_Lb0ESQ_SR_ST_SU_SY_EESZ_S10_S11_S12_S16_S17_S18_S1B_S1C_jS1D_jS1E_S1E_jjS1G_bEUljE0_EEESZ_S10_S11_S18_S1C_S1E_T6_T7_T9_mT8_S1G_bDpT10_ENKUlT_T0_E_clISt17integral_constantIbLb1EES1T_IbLb0EEEEDaS1P_S1Q_EUlS1P_E_NS1_11comp_targetILNS1_3genE4ELNS1_11target_archE910ELNS1_3gpuE8ELNS1_3repE0EEENS1_30default_config_static_selectorELNS0_4arch9wavefront6targetE0EEEvS12_, .Lfunc_end139-_ZN7rocprim17ROCPRIM_400000_NS6detail17trampoline_kernelINS0_13select_configILj256ELj13ELNS0_17block_load_methodE3ELS4_3ELS4_3ELNS0_20block_scan_algorithmE0ELj4294967295EEENS1_25partition_config_selectorILNS1_17partition_subalgoE4EjNS0_10empty_typeEbEEZZNS1_14partition_implILS8_4ELb0ES6_15HIP_vector_typeIjLj2EENS0_17counting_iteratorIjlEEPS9_SG_NS0_5tupleIJPjSI_NS0_16reverse_iteratorISI_EEEEENSH_IJSG_SG_SG_EEES9_SI_JZNS1_25segmented_radix_sort_implINS0_14default_configELb0EPKhPhPKlPlN2at6native12_GLOBAL__N_18offset_tEEE10hipError_tPvRmT1_PNSt15iterator_traitsIS12_E10value_typeET2_T3_PNS13_IS18_E10value_typeET4_jRbjT5_S1E_jjP12ihipStream_tbEUljE_ZNSN_ISO_Lb0ESQ_SR_ST_SU_SY_EESZ_S10_S11_S12_S16_S17_S18_S1B_S1C_jS1D_jS1E_S1E_jjS1G_bEUljE0_EEESZ_S10_S11_S18_S1C_S1E_T6_T7_T9_mT8_S1G_bDpT10_ENKUlT_T0_E_clISt17integral_constantIbLb1EES1T_IbLb0EEEEDaS1P_S1Q_EUlS1P_E_NS1_11comp_targetILNS1_3genE4ELNS1_11target_archE910ELNS1_3gpuE8ELNS1_3repE0EEENS1_30default_config_static_selectorELNS0_4arch9wavefront6targetE0EEEvS12_
                                        ; -- End function
	.set _ZN7rocprim17ROCPRIM_400000_NS6detail17trampoline_kernelINS0_13select_configILj256ELj13ELNS0_17block_load_methodE3ELS4_3ELS4_3ELNS0_20block_scan_algorithmE0ELj4294967295EEENS1_25partition_config_selectorILNS1_17partition_subalgoE4EjNS0_10empty_typeEbEEZZNS1_14partition_implILS8_4ELb0ES6_15HIP_vector_typeIjLj2EENS0_17counting_iteratorIjlEEPS9_SG_NS0_5tupleIJPjSI_NS0_16reverse_iteratorISI_EEEEENSH_IJSG_SG_SG_EEES9_SI_JZNS1_25segmented_radix_sort_implINS0_14default_configELb0EPKhPhPKlPlN2at6native12_GLOBAL__N_18offset_tEEE10hipError_tPvRmT1_PNSt15iterator_traitsIS12_E10value_typeET2_T3_PNS13_IS18_E10value_typeET4_jRbjT5_S1E_jjP12ihipStream_tbEUljE_ZNSN_ISO_Lb0ESQ_SR_ST_SU_SY_EESZ_S10_S11_S12_S16_S17_S18_S1B_S1C_jS1D_jS1E_S1E_jjS1G_bEUljE0_EEESZ_S10_S11_S18_S1C_S1E_T6_T7_T9_mT8_S1G_bDpT10_ENKUlT_T0_E_clISt17integral_constantIbLb1EES1T_IbLb0EEEEDaS1P_S1Q_EUlS1P_E_NS1_11comp_targetILNS1_3genE4ELNS1_11target_archE910ELNS1_3gpuE8ELNS1_3repE0EEENS1_30default_config_static_selectorELNS0_4arch9wavefront6targetE0EEEvS12_.num_vgpr, 0
	.set _ZN7rocprim17ROCPRIM_400000_NS6detail17trampoline_kernelINS0_13select_configILj256ELj13ELNS0_17block_load_methodE3ELS4_3ELS4_3ELNS0_20block_scan_algorithmE0ELj4294967295EEENS1_25partition_config_selectorILNS1_17partition_subalgoE4EjNS0_10empty_typeEbEEZZNS1_14partition_implILS8_4ELb0ES6_15HIP_vector_typeIjLj2EENS0_17counting_iteratorIjlEEPS9_SG_NS0_5tupleIJPjSI_NS0_16reverse_iteratorISI_EEEEENSH_IJSG_SG_SG_EEES9_SI_JZNS1_25segmented_radix_sort_implINS0_14default_configELb0EPKhPhPKlPlN2at6native12_GLOBAL__N_18offset_tEEE10hipError_tPvRmT1_PNSt15iterator_traitsIS12_E10value_typeET2_T3_PNS13_IS18_E10value_typeET4_jRbjT5_S1E_jjP12ihipStream_tbEUljE_ZNSN_ISO_Lb0ESQ_SR_ST_SU_SY_EESZ_S10_S11_S12_S16_S17_S18_S1B_S1C_jS1D_jS1E_S1E_jjS1G_bEUljE0_EEESZ_S10_S11_S18_S1C_S1E_T6_T7_T9_mT8_S1G_bDpT10_ENKUlT_T0_E_clISt17integral_constantIbLb1EES1T_IbLb0EEEEDaS1P_S1Q_EUlS1P_E_NS1_11comp_targetILNS1_3genE4ELNS1_11target_archE910ELNS1_3gpuE8ELNS1_3repE0EEENS1_30default_config_static_selectorELNS0_4arch9wavefront6targetE0EEEvS12_.num_agpr, 0
	.set _ZN7rocprim17ROCPRIM_400000_NS6detail17trampoline_kernelINS0_13select_configILj256ELj13ELNS0_17block_load_methodE3ELS4_3ELS4_3ELNS0_20block_scan_algorithmE0ELj4294967295EEENS1_25partition_config_selectorILNS1_17partition_subalgoE4EjNS0_10empty_typeEbEEZZNS1_14partition_implILS8_4ELb0ES6_15HIP_vector_typeIjLj2EENS0_17counting_iteratorIjlEEPS9_SG_NS0_5tupleIJPjSI_NS0_16reverse_iteratorISI_EEEEENSH_IJSG_SG_SG_EEES9_SI_JZNS1_25segmented_radix_sort_implINS0_14default_configELb0EPKhPhPKlPlN2at6native12_GLOBAL__N_18offset_tEEE10hipError_tPvRmT1_PNSt15iterator_traitsIS12_E10value_typeET2_T3_PNS13_IS18_E10value_typeET4_jRbjT5_S1E_jjP12ihipStream_tbEUljE_ZNSN_ISO_Lb0ESQ_SR_ST_SU_SY_EESZ_S10_S11_S12_S16_S17_S18_S1B_S1C_jS1D_jS1E_S1E_jjS1G_bEUljE0_EEESZ_S10_S11_S18_S1C_S1E_T6_T7_T9_mT8_S1G_bDpT10_ENKUlT_T0_E_clISt17integral_constantIbLb1EES1T_IbLb0EEEEDaS1P_S1Q_EUlS1P_E_NS1_11comp_targetILNS1_3genE4ELNS1_11target_archE910ELNS1_3gpuE8ELNS1_3repE0EEENS1_30default_config_static_selectorELNS0_4arch9wavefront6targetE0EEEvS12_.numbered_sgpr, 0
	.set _ZN7rocprim17ROCPRIM_400000_NS6detail17trampoline_kernelINS0_13select_configILj256ELj13ELNS0_17block_load_methodE3ELS4_3ELS4_3ELNS0_20block_scan_algorithmE0ELj4294967295EEENS1_25partition_config_selectorILNS1_17partition_subalgoE4EjNS0_10empty_typeEbEEZZNS1_14partition_implILS8_4ELb0ES6_15HIP_vector_typeIjLj2EENS0_17counting_iteratorIjlEEPS9_SG_NS0_5tupleIJPjSI_NS0_16reverse_iteratorISI_EEEEENSH_IJSG_SG_SG_EEES9_SI_JZNS1_25segmented_radix_sort_implINS0_14default_configELb0EPKhPhPKlPlN2at6native12_GLOBAL__N_18offset_tEEE10hipError_tPvRmT1_PNSt15iterator_traitsIS12_E10value_typeET2_T3_PNS13_IS18_E10value_typeET4_jRbjT5_S1E_jjP12ihipStream_tbEUljE_ZNSN_ISO_Lb0ESQ_SR_ST_SU_SY_EESZ_S10_S11_S12_S16_S17_S18_S1B_S1C_jS1D_jS1E_S1E_jjS1G_bEUljE0_EEESZ_S10_S11_S18_S1C_S1E_T6_T7_T9_mT8_S1G_bDpT10_ENKUlT_T0_E_clISt17integral_constantIbLb1EES1T_IbLb0EEEEDaS1P_S1Q_EUlS1P_E_NS1_11comp_targetILNS1_3genE4ELNS1_11target_archE910ELNS1_3gpuE8ELNS1_3repE0EEENS1_30default_config_static_selectorELNS0_4arch9wavefront6targetE0EEEvS12_.num_named_barrier, 0
	.set _ZN7rocprim17ROCPRIM_400000_NS6detail17trampoline_kernelINS0_13select_configILj256ELj13ELNS0_17block_load_methodE3ELS4_3ELS4_3ELNS0_20block_scan_algorithmE0ELj4294967295EEENS1_25partition_config_selectorILNS1_17partition_subalgoE4EjNS0_10empty_typeEbEEZZNS1_14partition_implILS8_4ELb0ES6_15HIP_vector_typeIjLj2EENS0_17counting_iteratorIjlEEPS9_SG_NS0_5tupleIJPjSI_NS0_16reverse_iteratorISI_EEEEENSH_IJSG_SG_SG_EEES9_SI_JZNS1_25segmented_radix_sort_implINS0_14default_configELb0EPKhPhPKlPlN2at6native12_GLOBAL__N_18offset_tEEE10hipError_tPvRmT1_PNSt15iterator_traitsIS12_E10value_typeET2_T3_PNS13_IS18_E10value_typeET4_jRbjT5_S1E_jjP12ihipStream_tbEUljE_ZNSN_ISO_Lb0ESQ_SR_ST_SU_SY_EESZ_S10_S11_S12_S16_S17_S18_S1B_S1C_jS1D_jS1E_S1E_jjS1G_bEUljE0_EEESZ_S10_S11_S18_S1C_S1E_T6_T7_T9_mT8_S1G_bDpT10_ENKUlT_T0_E_clISt17integral_constantIbLb1EES1T_IbLb0EEEEDaS1P_S1Q_EUlS1P_E_NS1_11comp_targetILNS1_3genE4ELNS1_11target_archE910ELNS1_3gpuE8ELNS1_3repE0EEENS1_30default_config_static_selectorELNS0_4arch9wavefront6targetE0EEEvS12_.private_seg_size, 0
	.set _ZN7rocprim17ROCPRIM_400000_NS6detail17trampoline_kernelINS0_13select_configILj256ELj13ELNS0_17block_load_methodE3ELS4_3ELS4_3ELNS0_20block_scan_algorithmE0ELj4294967295EEENS1_25partition_config_selectorILNS1_17partition_subalgoE4EjNS0_10empty_typeEbEEZZNS1_14partition_implILS8_4ELb0ES6_15HIP_vector_typeIjLj2EENS0_17counting_iteratorIjlEEPS9_SG_NS0_5tupleIJPjSI_NS0_16reverse_iteratorISI_EEEEENSH_IJSG_SG_SG_EEES9_SI_JZNS1_25segmented_radix_sort_implINS0_14default_configELb0EPKhPhPKlPlN2at6native12_GLOBAL__N_18offset_tEEE10hipError_tPvRmT1_PNSt15iterator_traitsIS12_E10value_typeET2_T3_PNS13_IS18_E10value_typeET4_jRbjT5_S1E_jjP12ihipStream_tbEUljE_ZNSN_ISO_Lb0ESQ_SR_ST_SU_SY_EESZ_S10_S11_S12_S16_S17_S18_S1B_S1C_jS1D_jS1E_S1E_jjS1G_bEUljE0_EEESZ_S10_S11_S18_S1C_S1E_T6_T7_T9_mT8_S1G_bDpT10_ENKUlT_T0_E_clISt17integral_constantIbLb1EES1T_IbLb0EEEEDaS1P_S1Q_EUlS1P_E_NS1_11comp_targetILNS1_3genE4ELNS1_11target_archE910ELNS1_3gpuE8ELNS1_3repE0EEENS1_30default_config_static_selectorELNS0_4arch9wavefront6targetE0EEEvS12_.uses_vcc, 0
	.set _ZN7rocprim17ROCPRIM_400000_NS6detail17trampoline_kernelINS0_13select_configILj256ELj13ELNS0_17block_load_methodE3ELS4_3ELS4_3ELNS0_20block_scan_algorithmE0ELj4294967295EEENS1_25partition_config_selectorILNS1_17partition_subalgoE4EjNS0_10empty_typeEbEEZZNS1_14partition_implILS8_4ELb0ES6_15HIP_vector_typeIjLj2EENS0_17counting_iteratorIjlEEPS9_SG_NS0_5tupleIJPjSI_NS0_16reverse_iteratorISI_EEEEENSH_IJSG_SG_SG_EEES9_SI_JZNS1_25segmented_radix_sort_implINS0_14default_configELb0EPKhPhPKlPlN2at6native12_GLOBAL__N_18offset_tEEE10hipError_tPvRmT1_PNSt15iterator_traitsIS12_E10value_typeET2_T3_PNS13_IS18_E10value_typeET4_jRbjT5_S1E_jjP12ihipStream_tbEUljE_ZNSN_ISO_Lb0ESQ_SR_ST_SU_SY_EESZ_S10_S11_S12_S16_S17_S18_S1B_S1C_jS1D_jS1E_S1E_jjS1G_bEUljE0_EEESZ_S10_S11_S18_S1C_S1E_T6_T7_T9_mT8_S1G_bDpT10_ENKUlT_T0_E_clISt17integral_constantIbLb1EES1T_IbLb0EEEEDaS1P_S1Q_EUlS1P_E_NS1_11comp_targetILNS1_3genE4ELNS1_11target_archE910ELNS1_3gpuE8ELNS1_3repE0EEENS1_30default_config_static_selectorELNS0_4arch9wavefront6targetE0EEEvS12_.uses_flat_scratch, 0
	.set _ZN7rocprim17ROCPRIM_400000_NS6detail17trampoline_kernelINS0_13select_configILj256ELj13ELNS0_17block_load_methodE3ELS4_3ELS4_3ELNS0_20block_scan_algorithmE0ELj4294967295EEENS1_25partition_config_selectorILNS1_17partition_subalgoE4EjNS0_10empty_typeEbEEZZNS1_14partition_implILS8_4ELb0ES6_15HIP_vector_typeIjLj2EENS0_17counting_iteratorIjlEEPS9_SG_NS0_5tupleIJPjSI_NS0_16reverse_iteratorISI_EEEEENSH_IJSG_SG_SG_EEES9_SI_JZNS1_25segmented_radix_sort_implINS0_14default_configELb0EPKhPhPKlPlN2at6native12_GLOBAL__N_18offset_tEEE10hipError_tPvRmT1_PNSt15iterator_traitsIS12_E10value_typeET2_T3_PNS13_IS18_E10value_typeET4_jRbjT5_S1E_jjP12ihipStream_tbEUljE_ZNSN_ISO_Lb0ESQ_SR_ST_SU_SY_EESZ_S10_S11_S12_S16_S17_S18_S1B_S1C_jS1D_jS1E_S1E_jjS1G_bEUljE0_EEESZ_S10_S11_S18_S1C_S1E_T6_T7_T9_mT8_S1G_bDpT10_ENKUlT_T0_E_clISt17integral_constantIbLb1EES1T_IbLb0EEEEDaS1P_S1Q_EUlS1P_E_NS1_11comp_targetILNS1_3genE4ELNS1_11target_archE910ELNS1_3gpuE8ELNS1_3repE0EEENS1_30default_config_static_selectorELNS0_4arch9wavefront6targetE0EEEvS12_.has_dyn_sized_stack, 0
	.set _ZN7rocprim17ROCPRIM_400000_NS6detail17trampoline_kernelINS0_13select_configILj256ELj13ELNS0_17block_load_methodE3ELS4_3ELS4_3ELNS0_20block_scan_algorithmE0ELj4294967295EEENS1_25partition_config_selectorILNS1_17partition_subalgoE4EjNS0_10empty_typeEbEEZZNS1_14partition_implILS8_4ELb0ES6_15HIP_vector_typeIjLj2EENS0_17counting_iteratorIjlEEPS9_SG_NS0_5tupleIJPjSI_NS0_16reverse_iteratorISI_EEEEENSH_IJSG_SG_SG_EEES9_SI_JZNS1_25segmented_radix_sort_implINS0_14default_configELb0EPKhPhPKlPlN2at6native12_GLOBAL__N_18offset_tEEE10hipError_tPvRmT1_PNSt15iterator_traitsIS12_E10value_typeET2_T3_PNS13_IS18_E10value_typeET4_jRbjT5_S1E_jjP12ihipStream_tbEUljE_ZNSN_ISO_Lb0ESQ_SR_ST_SU_SY_EESZ_S10_S11_S12_S16_S17_S18_S1B_S1C_jS1D_jS1E_S1E_jjS1G_bEUljE0_EEESZ_S10_S11_S18_S1C_S1E_T6_T7_T9_mT8_S1G_bDpT10_ENKUlT_T0_E_clISt17integral_constantIbLb1EES1T_IbLb0EEEEDaS1P_S1Q_EUlS1P_E_NS1_11comp_targetILNS1_3genE4ELNS1_11target_archE910ELNS1_3gpuE8ELNS1_3repE0EEENS1_30default_config_static_selectorELNS0_4arch9wavefront6targetE0EEEvS12_.has_recursion, 0
	.set _ZN7rocprim17ROCPRIM_400000_NS6detail17trampoline_kernelINS0_13select_configILj256ELj13ELNS0_17block_load_methodE3ELS4_3ELS4_3ELNS0_20block_scan_algorithmE0ELj4294967295EEENS1_25partition_config_selectorILNS1_17partition_subalgoE4EjNS0_10empty_typeEbEEZZNS1_14partition_implILS8_4ELb0ES6_15HIP_vector_typeIjLj2EENS0_17counting_iteratorIjlEEPS9_SG_NS0_5tupleIJPjSI_NS0_16reverse_iteratorISI_EEEEENSH_IJSG_SG_SG_EEES9_SI_JZNS1_25segmented_radix_sort_implINS0_14default_configELb0EPKhPhPKlPlN2at6native12_GLOBAL__N_18offset_tEEE10hipError_tPvRmT1_PNSt15iterator_traitsIS12_E10value_typeET2_T3_PNS13_IS18_E10value_typeET4_jRbjT5_S1E_jjP12ihipStream_tbEUljE_ZNSN_ISO_Lb0ESQ_SR_ST_SU_SY_EESZ_S10_S11_S12_S16_S17_S18_S1B_S1C_jS1D_jS1E_S1E_jjS1G_bEUljE0_EEESZ_S10_S11_S18_S1C_S1E_T6_T7_T9_mT8_S1G_bDpT10_ENKUlT_T0_E_clISt17integral_constantIbLb1EES1T_IbLb0EEEEDaS1P_S1Q_EUlS1P_E_NS1_11comp_targetILNS1_3genE4ELNS1_11target_archE910ELNS1_3gpuE8ELNS1_3repE0EEENS1_30default_config_static_selectorELNS0_4arch9wavefront6targetE0EEEvS12_.has_indirect_call, 0
	.section	.AMDGPU.csdata,"",@progbits
; Kernel info:
; codeLenInByte = 0
; TotalNumSgprs: 0
; NumVgprs: 0
; ScratchSize: 0
; MemoryBound: 0
; FloatMode: 240
; IeeeMode: 1
; LDSByteSize: 0 bytes/workgroup (compile time only)
; SGPRBlocks: 0
; VGPRBlocks: 0
; NumSGPRsForWavesPerEU: 1
; NumVGPRsForWavesPerEU: 1
; Occupancy: 16
; WaveLimiterHint : 0
; COMPUTE_PGM_RSRC2:SCRATCH_EN: 0
; COMPUTE_PGM_RSRC2:USER_SGPR: 6
; COMPUTE_PGM_RSRC2:TRAP_HANDLER: 0
; COMPUTE_PGM_RSRC2:TGID_X_EN: 1
; COMPUTE_PGM_RSRC2:TGID_Y_EN: 0
; COMPUTE_PGM_RSRC2:TGID_Z_EN: 0
; COMPUTE_PGM_RSRC2:TIDIG_COMP_CNT: 0
	.section	.text._ZN7rocprim17ROCPRIM_400000_NS6detail17trampoline_kernelINS0_13select_configILj256ELj13ELNS0_17block_load_methodE3ELS4_3ELS4_3ELNS0_20block_scan_algorithmE0ELj4294967295EEENS1_25partition_config_selectorILNS1_17partition_subalgoE4EjNS0_10empty_typeEbEEZZNS1_14partition_implILS8_4ELb0ES6_15HIP_vector_typeIjLj2EENS0_17counting_iteratorIjlEEPS9_SG_NS0_5tupleIJPjSI_NS0_16reverse_iteratorISI_EEEEENSH_IJSG_SG_SG_EEES9_SI_JZNS1_25segmented_radix_sort_implINS0_14default_configELb0EPKhPhPKlPlN2at6native12_GLOBAL__N_18offset_tEEE10hipError_tPvRmT1_PNSt15iterator_traitsIS12_E10value_typeET2_T3_PNS13_IS18_E10value_typeET4_jRbjT5_S1E_jjP12ihipStream_tbEUljE_ZNSN_ISO_Lb0ESQ_SR_ST_SU_SY_EESZ_S10_S11_S12_S16_S17_S18_S1B_S1C_jS1D_jS1E_S1E_jjS1G_bEUljE0_EEESZ_S10_S11_S18_S1C_S1E_T6_T7_T9_mT8_S1G_bDpT10_ENKUlT_T0_E_clISt17integral_constantIbLb1EES1T_IbLb0EEEEDaS1P_S1Q_EUlS1P_E_NS1_11comp_targetILNS1_3genE3ELNS1_11target_archE908ELNS1_3gpuE7ELNS1_3repE0EEENS1_30default_config_static_selectorELNS0_4arch9wavefront6targetE0EEEvS12_,"axG",@progbits,_ZN7rocprim17ROCPRIM_400000_NS6detail17trampoline_kernelINS0_13select_configILj256ELj13ELNS0_17block_load_methodE3ELS4_3ELS4_3ELNS0_20block_scan_algorithmE0ELj4294967295EEENS1_25partition_config_selectorILNS1_17partition_subalgoE4EjNS0_10empty_typeEbEEZZNS1_14partition_implILS8_4ELb0ES6_15HIP_vector_typeIjLj2EENS0_17counting_iteratorIjlEEPS9_SG_NS0_5tupleIJPjSI_NS0_16reverse_iteratorISI_EEEEENSH_IJSG_SG_SG_EEES9_SI_JZNS1_25segmented_radix_sort_implINS0_14default_configELb0EPKhPhPKlPlN2at6native12_GLOBAL__N_18offset_tEEE10hipError_tPvRmT1_PNSt15iterator_traitsIS12_E10value_typeET2_T3_PNS13_IS18_E10value_typeET4_jRbjT5_S1E_jjP12ihipStream_tbEUljE_ZNSN_ISO_Lb0ESQ_SR_ST_SU_SY_EESZ_S10_S11_S12_S16_S17_S18_S1B_S1C_jS1D_jS1E_S1E_jjS1G_bEUljE0_EEESZ_S10_S11_S18_S1C_S1E_T6_T7_T9_mT8_S1G_bDpT10_ENKUlT_T0_E_clISt17integral_constantIbLb1EES1T_IbLb0EEEEDaS1P_S1Q_EUlS1P_E_NS1_11comp_targetILNS1_3genE3ELNS1_11target_archE908ELNS1_3gpuE7ELNS1_3repE0EEENS1_30default_config_static_selectorELNS0_4arch9wavefront6targetE0EEEvS12_,comdat
	.globl	_ZN7rocprim17ROCPRIM_400000_NS6detail17trampoline_kernelINS0_13select_configILj256ELj13ELNS0_17block_load_methodE3ELS4_3ELS4_3ELNS0_20block_scan_algorithmE0ELj4294967295EEENS1_25partition_config_selectorILNS1_17partition_subalgoE4EjNS0_10empty_typeEbEEZZNS1_14partition_implILS8_4ELb0ES6_15HIP_vector_typeIjLj2EENS0_17counting_iteratorIjlEEPS9_SG_NS0_5tupleIJPjSI_NS0_16reverse_iteratorISI_EEEEENSH_IJSG_SG_SG_EEES9_SI_JZNS1_25segmented_radix_sort_implINS0_14default_configELb0EPKhPhPKlPlN2at6native12_GLOBAL__N_18offset_tEEE10hipError_tPvRmT1_PNSt15iterator_traitsIS12_E10value_typeET2_T3_PNS13_IS18_E10value_typeET4_jRbjT5_S1E_jjP12ihipStream_tbEUljE_ZNSN_ISO_Lb0ESQ_SR_ST_SU_SY_EESZ_S10_S11_S12_S16_S17_S18_S1B_S1C_jS1D_jS1E_S1E_jjS1G_bEUljE0_EEESZ_S10_S11_S18_S1C_S1E_T6_T7_T9_mT8_S1G_bDpT10_ENKUlT_T0_E_clISt17integral_constantIbLb1EES1T_IbLb0EEEEDaS1P_S1Q_EUlS1P_E_NS1_11comp_targetILNS1_3genE3ELNS1_11target_archE908ELNS1_3gpuE7ELNS1_3repE0EEENS1_30default_config_static_selectorELNS0_4arch9wavefront6targetE0EEEvS12_ ; -- Begin function _ZN7rocprim17ROCPRIM_400000_NS6detail17trampoline_kernelINS0_13select_configILj256ELj13ELNS0_17block_load_methodE3ELS4_3ELS4_3ELNS0_20block_scan_algorithmE0ELj4294967295EEENS1_25partition_config_selectorILNS1_17partition_subalgoE4EjNS0_10empty_typeEbEEZZNS1_14partition_implILS8_4ELb0ES6_15HIP_vector_typeIjLj2EENS0_17counting_iteratorIjlEEPS9_SG_NS0_5tupleIJPjSI_NS0_16reverse_iteratorISI_EEEEENSH_IJSG_SG_SG_EEES9_SI_JZNS1_25segmented_radix_sort_implINS0_14default_configELb0EPKhPhPKlPlN2at6native12_GLOBAL__N_18offset_tEEE10hipError_tPvRmT1_PNSt15iterator_traitsIS12_E10value_typeET2_T3_PNS13_IS18_E10value_typeET4_jRbjT5_S1E_jjP12ihipStream_tbEUljE_ZNSN_ISO_Lb0ESQ_SR_ST_SU_SY_EESZ_S10_S11_S12_S16_S17_S18_S1B_S1C_jS1D_jS1E_S1E_jjS1G_bEUljE0_EEESZ_S10_S11_S18_S1C_S1E_T6_T7_T9_mT8_S1G_bDpT10_ENKUlT_T0_E_clISt17integral_constantIbLb1EES1T_IbLb0EEEEDaS1P_S1Q_EUlS1P_E_NS1_11comp_targetILNS1_3genE3ELNS1_11target_archE908ELNS1_3gpuE7ELNS1_3repE0EEENS1_30default_config_static_selectorELNS0_4arch9wavefront6targetE0EEEvS12_
	.p2align	8
	.type	_ZN7rocprim17ROCPRIM_400000_NS6detail17trampoline_kernelINS0_13select_configILj256ELj13ELNS0_17block_load_methodE3ELS4_3ELS4_3ELNS0_20block_scan_algorithmE0ELj4294967295EEENS1_25partition_config_selectorILNS1_17partition_subalgoE4EjNS0_10empty_typeEbEEZZNS1_14partition_implILS8_4ELb0ES6_15HIP_vector_typeIjLj2EENS0_17counting_iteratorIjlEEPS9_SG_NS0_5tupleIJPjSI_NS0_16reverse_iteratorISI_EEEEENSH_IJSG_SG_SG_EEES9_SI_JZNS1_25segmented_radix_sort_implINS0_14default_configELb0EPKhPhPKlPlN2at6native12_GLOBAL__N_18offset_tEEE10hipError_tPvRmT1_PNSt15iterator_traitsIS12_E10value_typeET2_T3_PNS13_IS18_E10value_typeET4_jRbjT5_S1E_jjP12ihipStream_tbEUljE_ZNSN_ISO_Lb0ESQ_SR_ST_SU_SY_EESZ_S10_S11_S12_S16_S17_S18_S1B_S1C_jS1D_jS1E_S1E_jjS1G_bEUljE0_EEESZ_S10_S11_S18_S1C_S1E_T6_T7_T9_mT8_S1G_bDpT10_ENKUlT_T0_E_clISt17integral_constantIbLb1EES1T_IbLb0EEEEDaS1P_S1Q_EUlS1P_E_NS1_11comp_targetILNS1_3genE3ELNS1_11target_archE908ELNS1_3gpuE7ELNS1_3repE0EEENS1_30default_config_static_selectorELNS0_4arch9wavefront6targetE0EEEvS12_,@function
_ZN7rocprim17ROCPRIM_400000_NS6detail17trampoline_kernelINS0_13select_configILj256ELj13ELNS0_17block_load_methodE3ELS4_3ELS4_3ELNS0_20block_scan_algorithmE0ELj4294967295EEENS1_25partition_config_selectorILNS1_17partition_subalgoE4EjNS0_10empty_typeEbEEZZNS1_14partition_implILS8_4ELb0ES6_15HIP_vector_typeIjLj2EENS0_17counting_iteratorIjlEEPS9_SG_NS0_5tupleIJPjSI_NS0_16reverse_iteratorISI_EEEEENSH_IJSG_SG_SG_EEES9_SI_JZNS1_25segmented_radix_sort_implINS0_14default_configELb0EPKhPhPKlPlN2at6native12_GLOBAL__N_18offset_tEEE10hipError_tPvRmT1_PNSt15iterator_traitsIS12_E10value_typeET2_T3_PNS13_IS18_E10value_typeET4_jRbjT5_S1E_jjP12ihipStream_tbEUljE_ZNSN_ISO_Lb0ESQ_SR_ST_SU_SY_EESZ_S10_S11_S12_S16_S17_S18_S1B_S1C_jS1D_jS1E_S1E_jjS1G_bEUljE0_EEESZ_S10_S11_S18_S1C_S1E_T6_T7_T9_mT8_S1G_bDpT10_ENKUlT_T0_E_clISt17integral_constantIbLb1EES1T_IbLb0EEEEDaS1P_S1Q_EUlS1P_E_NS1_11comp_targetILNS1_3genE3ELNS1_11target_archE908ELNS1_3gpuE7ELNS1_3repE0EEENS1_30default_config_static_selectorELNS0_4arch9wavefront6targetE0EEEvS12_: ; @_ZN7rocprim17ROCPRIM_400000_NS6detail17trampoline_kernelINS0_13select_configILj256ELj13ELNS0_17block_load_methodE3ELS4_3ELS4_3ELNS0_20block_scan_algorithmE0ELj4294967295EEENS1_25partition_config_selectorILNS1_17partition_subalgoE4EjNS0_10empty_typeEbEEZZNS1_14partition_implILS8_4ELb0ES6_15HIP_vector_typeIjLj2EENS0_17counting_iteratorIjlEEPS9_SG_NS0_5tupleIJPjSI_NS0_16reverse_iteratorISI_EEEEENSH_IJSG_SG_SG_EEES9_SI_JZNS1_25segmented_radix_sort_implINS0_14default_configELb0EPKhPhPKlPlN2at6native12_GLOBAL__N_18offset_tEEE10hipError_tPvRmT1_PNSt15iterator_traitsIS12_E10value_typeET2_T3_PNS13_IS18_E10value_typeET4_jRbjT5_S1E_jjP12ihipStream_tbEUljE_ZNSN_ISO_Lb0ESQ_SR_ST_SU_SY_EESZ_S10_S11_S12_S16_S17_S18_S1B_S1C_jS1D_jS1E_S1E_jjS1G_bEUljE0_EEESZ_S10_S11_S18_S1C_S1E_T6_T7_T9_mT8_S1G_bDpT10_ENKUlT_T0_E_clISt17integral_constantIbLb1EES1T_IbLb0EEEEDaS1P_S1Q_EUlS1P_E_NS1_11comp_targetILNS1_3genE3ELNS1_11target_archE908ELNS1_3gpuE7ELNS1_3repE0EEENS1_30default_config_static_selectorELNS0_4arch9wavefront6targetE0EEEvS12_
; %bb.0:
	.section	.rodata,"a",@progbits
	.p2align	6, 0x0
	.amdhsa_kernel _ZN7rocprim17ROCPRIM_400000_NS6detail17trampoline_kernelINS0_13select_configILj256ELj13ELNS0_17block_load_methodE3ELS4_3ELS4_3ELNS0_20block_scan_algorithmE0ELj4294967295EEENS1_25partition_config_selectorILNS1_17partition_subalgoE4EjNS0_10empty_typeEbEEZZNS1_14partition_implILS8_4ELb0ES6_15HIP_vector_typeIjLj2EENS0_17counting_iteratorIjlEEPS9_SG_NS0_5tupleIJPjSI_NS0_16reverse_iteratorISI_EEEEENSH_IJSG_SG_SG_EEES9_SI_JZNS1_25segmented_radix_sort_implINS0_14default_configELb0EPKhPhPKlPlN2at6native12_GLOBAL__N_18offset_tEEE10hipError_tPvRmT1_PNSt15iterator_traitsIS12_E10value_typeET2_T3_PNS13_IS18_E10value_typeET4_jRbjT5_S1E_jjP12ihipStream_tbEUljE_ZNSN_ISO_Lb0ESQ_SR_ST_SU_SY_EESZ_S10_S11_S12_S16_S17_S18_S1B_S1C_jS1D_jS1E_S1E_jjS1G_bEUljE0_EEESZ_S10_S11_S18_S1C_S1E_T6_T7_T9_mT8_S1G_bDpT10_ENKUlT_T0_E_clISt17integral_constantIbLb1EES1T_IbLb0EEEEDaS1P_S1Q_EUlS1P_E_NS1_11comp_targetILNS1_3genE3ELNS1_11target_archE908ELNS1_3gpuE7ELNS1_3repE0EEENS1_30default_config_static_selectorELNS0_4arch9wavefront6targetE0EEEvS12_
		.amdhsa_group_segment_fixed_size 0
		.amdhsa_private_segment_fixed_size 0
		.amdhsa_kernarg_size 176
		.amdhsa_user_sgpr_count 6
		.amdhsa_user_sgpr_private_segment_buffer 1
		.amdhsa_user_sgpr_dispatch_ptr 0
		.amdhsa_user_sgpr_queue_ptr 0
		.amdhsa_user_sgpr_kernarg_segment_ptr 1
		.amdhsa_user_sgpr_dispatch_id 0
		.amdhsa_user_sgpr_flat_scratch_init 0
		.amdhsa_user_sgpr_private_segment_size 0
		.amdhsa_wavefront_size32 1
		.amdhsa_uses_dynamic_stack 0
		.amdhsa_system_sgpr_private_segment_wavefront_offset 0
		.amdhsa_system_sgpr_workgroup_id_x 1
		.amdhsa_system_sgpr_workgroup_id_y 0
		.amdhsa_system_sgpr_workgroup_id_z 0
		.amdhsa_system_sgpr_workgroup_info 0
		.amdhsa_system_vgpr_workitem_id 0
		.amdhsa_next_free_vgpr 1
		.amdhsa_next_free_sgpr 1
		.amdhsa_reserve_vcc 0
		.amdhsa_reserve_flat_scratch 0
		.amdhsa_float_round_mode_32 0
		.amdhsa_float_round_mode_16_64 0
		.amdhsa_float_denorm_mode_32 3
		.amdhsa_float_denorm_mode_16_64 3
		.amdhsa_dx10_clamp 1
		.amdhsa_ieee_mode 1
		.amdhsa_fp16_overflow 0
		.amdhsa_workgroup_processor_mode 1
		.amdhsa_memory_ordered 1
		.amdhsa_forward_progress 1
		.amdhsa_shared_vgpr_count 0
		.amdhsa_exception_fp_ieee_invalid_op 0
		.amdhsa_exception_fp_denorm_src 0
		.amdhsa_exception_fp_ieee_div_zero 0
		.amdhsa_exception_fp_ieee_overflow 0
		.amdhsa_exception_fp_ieee_underflow 0
		.amdhsa_exception_fp_ieee_inexact 0
		.amdhsa_exception_int_div_zero 0
	.end_amdhsa_kernel
	.section	.text._ZN7rocprim17ROCPRIM_400000_NS6detail17trampoline_kernelINS0_13select_configILj256ELj13ELNS0_17block_load_methodE3ELS4_3ELS4_3ELNS0_20block_scan_algorithmE0ELj4294967295EEENS1_25partition_config_selectorILNS1_17partition_subalgoE4EjNS0_10empty_typeEbEEZZNS1_14partition_implILS8_4ELb0ES6_15HIP_vector_typeIjLj2EENS0_17counting_iteratorIjlEEPS9_SG_NS0_5tupleIJPjSI_NS0_16reverse_iteratorISI_EEEEENSH_IJSG_SG_SG_EEES9_SI_JZNS1_25segmented_radix_sort_implINS0_14default_configELb0EPKhPhPKlPlN2at6native12_GLOBAL__N_18offset_tEEE10hipError_tPvRmT1_PNSt15iterator_traitsIS12_E10value_typeET2_T3_PNS13_IS18_E10value_typeET4_jRbjT5_S1E_jjP12ihipStream_tbEUljE_ZNSN_ISO_Lb0ESQ_SR_ST_SU_SY_EESZ_S10_S11_S12_S16_S17_S18_S1B_S1C_jS1D_jS1E_S1E_jjS1G_bEUljE0_EEESZ_S10_S11_S18_S1C_S1E_T6_T7_T9_mT8_S1G_bDpT10_ENKUlT_T0_E_clISt17integral_constantIbLb1EES1T_IbLb0EEEEDaS1P_S1Q_EUlS1P_E_NS1_11comp_targetILNS1_3genE3ELNS1_11target_archE908ELNS1_3gpuE7ELNS1_3repE0EEENS1_30default_config_static_selectorELNS0_4arch9wavefront6targetE0EEEvS12_,"axG",@progbits,_ZN7rocprim17ROCPRIM_400000_NS6detail17trampoline_kernelINS0_13select_configILj256ELj13ELNS0_17block_load_methodE3ELS4_3ELS4_3ELNS0_20block_scan_algorithmE0ELj4294967295EEENS1_25partition_config_selectorILNS1_17partition_subalgoE4EjNS0_10empty_typeEbEEZZNS1_14partition_implILS8_4ELb0ES6_15HIP_vector_typeIjLj2EENS0_17counting_iteratorIjlEEPS9_SG_NS0_5tupleIJPjSI_NS0_16reverse_iteratorISI_EEEEENSH_IJSG_SG_SG_EEES9_SI_JZNS1_25segmented_radix_sort_implINS0_14default_configELb0EPKhPhPKlPlN2at6native12_GLOBAL__N_18offset_tEEE10hipError_tPvRmT1_PNSt15iterator_traitsIS12_E10value_typeET2_T3_PNS13_IS18_E10value_typeET4_jRbjT5_S1E_jjP12ihipStream_tbEUljE_ZNSN_ISO_Lb0ESQ_SR_ST_SU_SY_EESZ_S10_S11_S12_S16_S17_S18_S1B_S1C_jS1D_jS1E_S1E_jjS1G_bEUljE0_EEESZ_S10_S11_S18_S1C_S1E_T6_T7_T9_mT8_S1G_bDpT10_ENKUlT_T0_E_clISt17integral_constantIbLb1EES1T_IbLb0EEEEDaS1P_S1Q_EUlS1P_E_NS1_11comp_targetILNS1_3genE3ELNS1_11target_archE908ELNS1_3gpuE7ELNS1_3repE0EEENS1_30default_config_static_selectorELNS0_4arch9wavefront6targetE0EEEvS12_,comdat
.Lfunc_end140:
	.size	_ZN7rocprim17ROCPRIM_400000_NS6detail17trampoline_kernelINS0_13select_configILj256ELj13ELNS0_17block_load_methodE3ELS4_3ELS4_3ELNS0_20block_scan_algorithmE0ELj4294967295EEENS1_25partition_config_selectorILNS1_17partition_subalgoE4EjNS0_10empty_typeEbEEZZNS1_14partition_implILS8_4ELb0ES6_15HIP_vector_typeIjLj2EENS0_17counting_iteratorIjlEEPS9_SG_NS0_5tupleIJPjSI_NS0_16reverse_iteratorISI_EEEEENSH_IJSG_SG_SG_EEES9_SI_JZNS1_25segmented_radix_sort_implINS0_14default_configELb0EPKhPhPKlPlN2at6native12_GLOBAL__N_18offset_tEEE10hipError_tPvRmT1_PNSt15iterator_traitsIS12_E10value_typeET2_T3_PNS13_IS18_E10value_typeET4_jRbjT5_S1E_jjP12ihipStream_tbEUljE_ZNSN_ISO_Lb0ESQ_SR_ST_SU_SY_EESZ_S10_S11_S12_S16_S17_S18_S1B_S1C_jS1D_jS1E_S1E_jjS1G_bEUljE0_EEESZ_S10_S11_S18_S1C_S1E_T6_T7_T9_mT8_S1G_bDpT10_ENKUlT_T0_E_clISt17integral_constantIbLb1EES1T_IbLb0EEEEDaS1P_S1Q_EUlS1P_E_NS1_11comp_targetILNS1_3genE3ELNS1_11target_archE908ELNS1_3gpuE7ELNS1_3repE0EEENS1_30default_config_static_selectorELNS0_4arch9wavefront6targetE0EEEvS12_, .Lfunc_end140-_ZN7rocprim17ROCPRIM_400000_NS6detail17trampoline_kernelINS0_13select_configILj256ELj13ELNS0_17block_load_methodE3ELS4_3ELS4_3ELNS0_20block_scan_algorithmE0ELj4294967295EEENS1_25partition_config_selectorILNS1_17partition_subalgoE4EjNS0_10empty_typeEbEEZZNS1_14partition_implILS8_4ELb0ES6_15HIP_vector_typeIjLj2EENS0_17counting_iteratorIjlEEPS9_SG_NS0_5tupleIJPjSI_NS0_16reverse_iteratorISI_EEEEENSH_IJSG_SG_SG_EEES9_SI_JZNS1_25segmented_radix_sort_implINS0_14default_configELb0EPKhPhPKlPlN2at6native12_GLOBAL__N_18offset_tEEE10hipError_tPvRmT1_PNSt15iterator_traitsIS12_E10value_typeET2_T3_PNS13_IS18_E10value_typeET4_jRbjT5_S1E_jjP12ihipStream_tbEUljE_ZNSN_ISO_Lb0ESQ_SR_ST_SU_SY_EESZ_S10_S11_S12_S16_S17_S18_S1B_S1C_jS1D_jS1E_S1E_jjS1G_bEUljE0_EEESZ_S10_S11_S18_S1C_S1E_T6_T7_T9_mT8_S1G_bDpT10_ENKUlT_T0_E_clISt17integral_constantIbLb1EES1T_IbLb0EEEEDaS1P_S1Q_EUlS1P_E_NS1_11comp_targetILNS1_3genE3ELNS1_11target_archE908ELNS1_3gpuE7ELNS1_3repE0EEENS1_30default_config_static_selectorELNS0_4arch9wavefront6targetE0EEEvS12_
                                        ; -- End function
	.set _ZN7rocprim17ROCPRIM_400000_NS6detail17trampoline_kernelINS0_13select_configILj256ELj13ELNS0_17block_load_methodE3ELS4_3ELS4_3ELNS0_20block_scan_algorithmE0ELj4294967295EEENS1_25partition_config_selectorILNS1_17partition_subalgoE4EjNS0_10empty_typeEbEEZZNS1_14partition_implILS8_4ELb0ES6_15HIP_vector_typeIjLj2EENS0_17counting_iteratorIjlEEPS9_SG_NS0_5tupleIJPjSI_NS0_16reverse_iteratorISI_EEEEENSH_IJSG_SG_SG_EEES9_SI_JZNS1_25segmented_radix_sort_implINS0_14default_configELb0EPKhPhPKlPlN2at6native12_GLOBAL__N_18offset_tEEE10hipError_tPvRmT1_PNSt15iterator_traitsIS12_E10value_typeET2_T3_PNS13_IS18_E10value_typeET4_jRbjT5_S1E_jjP12ihipStream_tbEUljE_ZNSN_ISO_Lb0ESQ_SR_ST_SU_SY_EESZ_S10_S11_S12_S16_S17_S18_S1B_S1C_jS1D_jS1E_S1E_jjS1G_bEUljE0_EEESZ_S10_S11_S18_S1C_S1E_T6_T7_T9_mT8_S1G_bDpT10_ENKUlT_T0_E_clISt17integral_constantIbLb1EES1T_IbLb0EEEEDaS1P_S1Q_EUlS1P_E_NS1_11comp_targetILNS1_3genE3ELNS1_11target_archE908ELNS1_3gpuE7ELNS1_3repE0EEENS1_30default_config_static_selectorELNS0_4arch9wavefront6targetE0EEEvS12_.num_vgpr, 0
	.set _ZN7rocprim17ROCPRIM_400000_NS6detail17trampoline_kernelINS0_13select_configILj256ELj13ELNS0_17block_load_methodE3ELS4_3ELS4_3ELNS0_20block_scan_algorithmE0ELj4294967295EEENS1_25partition_config_selectorILNS1_17partition_subalgoE4EjNS0_10empty_typeEbEEZZNS1_14partition_implILS8_4ELb0ES6_15HIP_vector_typeIjLj2EENS0_17counting_iteratorIjlEEPS9_SG_NS0_5tupleIJPjSI_NS0_16reverse_iteratorISI_EEEEENSH_IJSG_SG_SG_EEES9_SI_JZNS1_25segmented_radix_sort_implINS0_14default_configELb0EPKhPhPKlPlN2at6native12_GLOBAL__N_18offset_tEEE10hipError_tPvRmT1_PNSt15iterator_traitsIS12_E10value_typeET2_T3_PNS13_IS18_E10value_typeET4_jRbjT5_S1E_jjP12ihipStream_tbEUljE_ZNSN_ISO_Lb0ESQ_SR_ST_SU_SY_EESZ_S10_S11_S12_S16_S17_S18_S1B_S1C_jS1D_jS1E_S1E_jjS1G_bEUljE0_EEESZ_S10_S11_S18_S1C_S1E_T6_T7_T9_mT8_S1G_bDpT10_ENKUlT_T0_E_clISt17integral_constantIbLb1EES1T_IbLb0EEEEDaS1P_S1Q_EUlS1P_E_NS1_11comp_targetILNS1_3genE3ELNS1_11target_archE908ELNS1_3gpuE7ELNS1_3repE0EEENS1_30default_config_static_selectorELNS0_4arch9wavefront6targetE0EEEvS12_.num_agpr, 0
	.set _ZN7rocprim17ROCPRIM_400000_NS6detail17trampoline_kernelINS0_13select_configILj256ELj13ELNS0_17block_load_methodE3ELS4_3ELS4_3ELNS0_20block_scan_algorithmE0ELj4294967295EEENS1_25partition_config_selectorILNS1_17partition_subalgoE4EjNS0_10empty_typeEbEEZZNS1_14partition_implILS8_4ELb0ES6_15HIP_vector_typeIjLj2EENS0_17counting_iteratorIjlEEPS9_SG_NS0_5tupleIJPjSI_NS0_16reverse_iteratorISI_EEEEENSH_IJSG_SG_SG_EEES9_SI_JZNS1_25segmented_radix_sort_implINS0_14default_configELb0EPKhPhPKlPlN2at6native12_GLOBAL__N_18offset_tEEE10hipError_tPvRmT1_PNSt15iterator_traitsIS12_E10value_typeET2_T3_PNS13_IS18_E10value_typeET4_jRbjT5_S1E_jjP12ihipStream_tbEUljE_ZNSN_ISO_Lb0ESQ_SR_ST_SU_SY_EESZ_S10_S11_S12_S16_S17_S18_S1B_S1C_jS1D_jS1E_S1E_jjS1G_bEUljE0_EEESZ_S10_S11_S18_S1C_S1E_T6_T7_T9_mT8_S1G_bDpT10_ENKUlT_T0_E_clISt17integral_constantIbLb1EES1T_IbLb0EEEEDaS1P_S1Q_EUlS1P_E_NS1_11comp_targetILNS1_3genE3ELNS1_11target_archE908ELNS1_3gpuE7ELNS1_3repE0EEENS1_30default_config_static_selectorELNS0_4arch9wavefront6targetE0EEEvS12_.numbered_sgpr, 0
	.set _ZN7rocprim17ROCPRIM_400000_NS6detail17trampoline_kernelINS0_13select_configILj256ELj13ELNS0_17block_load_methodE3ELS4_3ELS4_3ELNS0_20block_scan_algorithmE0ELj4294967295EEENS1_25partition_config_selectorILNS1_17partition_subalgoE4EjNS0_10empty_typeEbEEZZNS1_14partition_implILS8_4ELb0ES6_15HIP_vector_typeIjLj2EENS0_17counting_iteratorIjlEEPS9_SG_NS0_5tupleIJPjSI_NS0_16reverse_iteratorISI_EEEEENSH_IJSG_SG_SG_EEES9_SI_JZNS1_25segmented_radix_sort_implINS0_14default_configELb0EPKhPhPKlPlN2at6native12_GLOBAL__N_18offset_tEEE10hipError_tPvRmT1_PNSt15iterator_traitsIS12_E10value_typeET2_T3_PNS13_IS18_E10value_typeET4_jRbjT5_S1E_jjP12ihipStream_tbEUljE_ZNSN_ISO_Lb0ESQ_SR_ST_SU_SY_EESZ_S10_S11_S12_S16_S17_S18_S1B_S1C_jS1D_jS1E_S1E_jjS1G_bEUljE0_EEESZ_S10_S11_S18_S1C_S1E_T6_T7_T9_mT8_S1G_bDpT10_ENKUlT_T0_E_clISt17integral_constantIbLb1EES1T_IbLb0EEEEDaS1P_S1Q_EUlS1P_E_NS1_11comp_targetILNS1_3genE3ELNS1_11target_archE908ELNS1_3gpuE7ELNS1_3repE0EEENS1_30default_config_static_selectorELNS0_4arch9wavefront6targetE0EEEvS12_.num_named_barrier, 0
	.set _ZN7rocprim17ROCPRIM_400000_NS6detail17trampoline_kernelINS0_13select_configILj256ELj13ELNS0_17block_load_methodE3ELS4_3ELS4_3ELNS0_20block_scan_algorithmE0ELj4294967295EEENS1_25partition_config_selectorILNS1_17partition_subalgoE4EjNS0_10empty_typeEbEEZZNS1_14partition_implILS8_4ELb0ES6_15HIP_vector_typeIjLj2EENS0_17counting_iteratorIjlEEPS9_SG_NS0_5tupleIJPjSI_NS0_16reverse_iteratorISI_EEEEENSH_IJSG_SG_SG_EEES9_SI_JZNS1_25segmented_radix_sort_implINS0_14default_configELb0EPKhPhPKlPlN2at6native12_GLOBAL__N_18offset_tEEE10hipError_tPvRmT1_PNSt15iterator_traitsIS12_E10value_typeET2_T3_PNS13_IS18_E10value_typeET4_jRbjT5_S1E_jjP12ihipStream_tbEUljE_ZNSN_ISO_Lb0ESQ_SR_ST_SU_SY_EESZ_S10_S11_S12_S16_S17_S18_S1B_S1C_jS1D_jS1E_S1E_jjS1G_bEUljE0_EEESZ_S10_S11_S18_S1C_S1E_T6_T7_T9_mT8_S1G_bDpT10_ENKUlT_T0_E_clISt17integral_constantIbLb1EES1T_IbLb0EEEEDaS1P_S1Q_EUlS1P_E_NS1_11comp_targetILNS1_3genE3ELNS1_11target_archE908ELNS1_3gpuE7ELNS1_3repE0EEENS1_30default_config_static_selectorELNS0_4arch9wavefront6targetE0EEEvS12_.private_seg_size, 0
	.set _ZN7rocprim17ROCPRIM_400000_NS6detail17trampoline_kernelINS0_13select_configILj256ELj13ELNS0_17block_load_methodE3ELS4_3ELS4_3ELNS0_20block_scan_algorithmE0ELj4294967295EEENS1_25partition_config_selectorILNS1_17partition_subalgoE4EjNS0_10empty_typeEbEEZZNS1_14partition_implILS8_4ELb0ES6_15HIP_vector_typeIjLj2EENS0_17counting_iteratorIjlEEPS9_SG_NS0_5tupleIJPjSI_NS0_16reverse_iteratorISI_EEEEENSH_IJSG_SG_SG_EEES9_SI_JZNS1_25segmented_radix_sort_implINS0_14default_configELb0EPKhPhPKlPlN2at6native12_GLOBAL__N_18offset_tEEE10hipError_tPvRmT1_PNSt15iterator_traitsIS12_E10value_typeET2_T3_PNS13_IS18_E10value_typeET4_jRbjT5_S1E_jjP12ihipStream_tbEUljE_ZNSN_ISO_Lb0ESQ_SR_ST_SU_SY_EESZ_S10_S11_S12_S16_S17_S18_S1B_S1C_jS1D_jS1E_S1E_jjS1G_bEUljE0_EEESZ_S10_S11_S18_S1C_S1E_T6_T7_T9_mT8_S1G_bDpT10_ENKUlT_T0_E_clISt17integral_constantIbLb1EES1T_IbLb0EEEEDaS1P_S1Q_EUlS1P_E_NS1_11comp_targetILNS1_3genE3ELNS1_11target_archE908ELNS1_3gpuE7ELNS1_3repE0EEENS1_30default_config_static_selectorELNS0_4arch9wavefront6targetE0EEEvS12_.uses_vcc, 0
	.set _ZN7rocprim17ROCPRIM_400000_NS6detail17trampoline_kernelINS0_13select_configILj256ELj13ELNS0_17block_load_methodE3ELS4_3ELS4_3ELNS0_20block_scan_algorithmE0ELj4294967295EEENS1_25partition_config_selectorILNS1_17partition_subalgoE4EjNS0_10empty_typeEbEEZZNS1_14partition_implILS8_4ELb0ES6_15HIP_vector_typeIjLj2EENS0_17counting_iteratorIjlEEPS9_SG_NS0_5tupleIJPjSI_NS0_16reverse_iteratorISI_EEEEENSH_IJSG_SG_SG_EEES9_SI_JZNS1_25segmented_radix_sort_implINS0_14default_configELb0EPKhPhPKlPlN2at6native12_GLOBAL__N_18offset_tEEE10hipError_tPvRmT1_PNSt15iterator_traitsIS12_E10value_typeET2_T3_PNS13_IS18_E10value_typeET4_jRbjT5_S1E_jjP12ihipStream_tbEUljE_ZNSN_ISO_Lb0ESQ_SR_ST_SU_SY_EESZ_S10_S11_S12_S16_S17_S18_S1B_S1C_jS1D_jS1E_S1E_jjS1G_bEUljE0_EEESZ_S10_S11_S18_S1C_S1E_T6_T7_T9_mT8_S1G_bDpT10_ENKUlT_T0_E_clISt17integral_constantIbLb1EES1T_IbLb0EEEEDaS1P_S1Q_EUlS1P_E_NS1_11comp_targetILNS1_3genE3ELNS1_11target_archE908ELNS1_3gpuE7ELNS1_3repE0EEENS1_30default_config_static_selectorELNS0_4arch9wavefront6targetE0EEEvS12_.uses_flat_scratch, 0
	.set _ZN7rocprim17ROCPRIM_400000_NS6detail17trampoline_kernelINS0_13select_configILj256ELj13ELNS0_17block_load_methodE3ELS4_3ELS4_3ELNS0_20block_scan_algorithmE0ELj4294967295EEENS1_25partition_config_selectorILNS1_17partition_subalgoE4EjNS0_10empty_typeEbEEZZNS1_14partition_implILS8_4ELb0ES6_15HIP_vector_typeIjLj2EENS0_17counting_iteratorIjlEEPS9_SG_NS0_5tupleIJPjSI_NS0_16reverse_iteratorISI_EEEEENSH_IJSG_SG_SG_EEES9_SI_JZNS1_25segmented_radix_sort_implINS0_14default_configELb0EPKhPhPKlPlN2at6native12_GLOBAL__N_18offset_tEEE10hipError_tPvRmT1_PNSt15iterator_traitsIS12_E10value_typeET2_T3_PNS13_IS18_E10value_typeET4_jRbjT5_S1E_jjP12ihipStream_tbEUljE_ZNSN_ISO_Lb0ESQ_SR_ST_SU_SY_EESZ_S10_S11_S12_S16_S17_S18_S1B_S1C_jS1D_jS1E_S1E_jjS1G_bEUljE0_EEESZ_S10_S11_S18_S1C_S1E_T6_T7_T9_mT8_S1G_bDpT10_ENKUlT_T0_E_clISt17integral_constantIbLb1EES1T_IbLb0EEEEDaS1P_S1Q_EUlS1P_E_NS1_11comp_targetILNS1_3genE3ELNS1_11target_archE908ELNS1_3gpuE7ELNS1_3repE0EEENS1_30default_config_static_selectorELNS0_4arch9wavefront6targetE0EEEvS12_.has_dyn_sized_stack, 0
	.set _ZN7rocprim17ROCPRIM_400000_NS6detail17trampoline_kernelINS0_13select_configILj256ELj13ELNS0_17block_load_methodE3ELS4_3ELS4_3ELNS0_20block_scan_algorithmE0ELj4294967295EEENS1_25partition_config_selectorILNS1_17partition_subalgoE4EjNS0_10empty_typeEbEEZZNS1_14partition_implILS8_4ELb0ES6_15HIP_vector_typeIjLj2EENS0_17counting_iteratorIjlEEPS9_SG_NS0_5tupleIJPjSI_NS0_16reverse_iteratorISI_EEEEENSH_IJSG_SG_SG_EEES9_SI_JZNS1_25segmented_radix_sort_implINS0_14default_configELb0EPKhPhPKlPlN2at6native12_GLOBAL__N_18offset_tEEE10hipError_tPvRmT1_PNSt15iterator_traitsIS12_E10value_typeET2_T3_PNS13_IS18_E10value_typeET4_jRbjT5_S1E_jjP12ihipStream_tbEUljE_ZNSN_ISO_Lb0ESQ_SR_ST_SU_SY_EESZ_S10_S11_S12_S16_S17_S18_S1B_S1C_jS1D_jS1E_S1E_jjS1G_bEUljE0_EEESZ_S10_S11_S18_S1C_S1E_T6_T7_T9_mT8_S1G_bDpT10_ENKUlT_T0_E_clISt17integral_constantIbLb1EES1T_IbLb0EEEEDaS1P_S1Q_EUlS1P_E_NS1_11comp_targetILNS1_3genE3ELNS1_11target_archE908ELNS1_3gpuE7ELNS1_3repE0EEENS1_30default_config_static_selectorELNS0_4arch9wavefront6targetE0EEEvS12_.has_recursion, 0
	.set _ZN7rocprim17ROCPRIM_400000_NS6detail17trampoline_kernelINS0_13select_configILj256ELj13ELNS0_17block_load_methodE3ELS4_3ELS4_3ELNS0_20block_scan_algorithmE0ELj4294967295EEENS1_25partition_config_selectorILNS1_17partition_subalgoE4EjNS0_10empty_typeEbEEZZNS1_14partition_implILS8_4ELb0ES6_15HIP_vector_typeIjLj2EENS0_17counting_iteratorIjlEEPS9_SG_NS0_5tupleIJPjSI_NS0_16reverse_iteratorISI_EEEEENSH_IJSG_SG_SG_EEES9_SI_JZNS1_25segmented_radix_sort_implINS0_14default_configELb0EPKhPhPKlPlN2at6native12_GLOBAL__N_18offset_tEEE10hipError_tPvRmT1_PNSt15iterator_traitsIS12_E10value_typeET2_T3_PNS13_IS18_E10value_typeET4_jRbjT5_S1E_jjP12ihipStream_tbEUljE_ZNSN_ISO_Lb0ESQ_SR_ST_SU_SY_EESZ_S10_S11_S12_S16_S17_S18_S1B_S1C_jS1D_jS1E_S1E_jjS1G_bEUljE0_EEESZ_S10_S11_S18_S1C_S1E_T6_T7_T9_mT8_S1G_bDpT10_ENKUlT_T0_E_clISt17integral_constantIbLb1EES1T_IbLb0EEEEDaS1P_S1Q_EUlS1P_E_NS1_11comp_targetILNS1_3genE3ELNS1_11target_archE908ELNS1_3gpuE7ELNS1_3repE0EEENS1_30default_config_static_selectorELNS0_4arch9wavefront6targetE0EEEvS12_.has_indirect_call, 0
	.section	.AMDGPU.csdata,"",@progbits
; Kernel info:
; codeLenInByte = 0
; TotalNumSgprs: 0
; NumVgprs: 0
; ScratchSize: 0
; MemoryBound: 0
; FloatMode: 240
; IeeeMode: 1
; LDSByteSize: 0 bytes/workgroup (compile time only)
; SGPRBlocks: 0
; VGPRBlocks: 0
; NumSGPRsForWavesPerEU: 1
; NumVGPRsForWavesPerEU: 1
; Occupancy: 16
; WaveLimiterHint : 0
; COMPUTE_PGM_RSRC2:SCRATCH_EN: 0
; COMPUTE_PGM_RSRC2:USER_SGPR: 6
; COMPUTE_PGM_RSRC2:TRAP_HANDLER: 0
; COMPUTE_PGM_RSRC2:TGID_X_EN: 1
; COMPUTE_PGM_RSRC2:TGID_Y_EN: 0
; COMPUTE_PGM_RSRC2:TGID_Z_EN: 0
; COMPUTE_PGM_RSRC2:TIDIG_COMP_CNT: 0
	.section	.text._ZN7rocprim17ROCPRIM_400000_NS6detail17trampoline_kernelINS0_13select_configILj256ELj13ELNS0_17block_load_methodE3ELS4_3ELS4_3ELNS0_20block_scan_algorithmE0ELj4294967295EEENS1_25partition_config_selectorILNS1_17partition_subalgoE4EjNS0_10empty_typeEbEEZZNS1_14partition_implILS8_4ELb0ES6_15HIP_vector_typeIjLj2EENS0_17counting_iteratorIjlEEPS9_SG_NS0_5tupleIJPjSI_NS0_16reverse_iteratorISI_EEEEENSH_IJSG_SG_SG_EEES9_SI_JZNS1_25segmented_radix_sort_implINS0_14default_configELb0EPKhPhPKlPlN2at6native12_GLOBAL__N_18offset_tEEE10hipError_tPvRmT1_PNSt15iterator_traitsIS12_E10value_typeET2_T3_PNS13_IS18_E10value_typeET4_jRbjT5_S1E_jjP12ihipStream_tbEUljE_ZNSN_ISO_Lb0ESQ_SR_ST_SU_SY_EESZ_S10_S11_S12_S16_S17_S18_S1B_S1C_jS1D_jS1E_S1E_jjS1G_bEUljE0_EEESZ_S10_S11_S18_S1C_S1E_T6_T7_T9_mT8_S1G_bDpT10_ENKUlT_T0_E_clISt17integral_constantIbLb1EES1T_IbLb0EEEEDaS1P_S1Q_EUlS1P_E_NS1_11comp_targetILNS1_3genE2ELNS1_11target_archE906ELNS1_3gpuE6ELNS1_3repE0EEENS1_30default_config_static_selectorELNS0_4arch9wavefront6targetE0EEEvS12_,"axG",@progbits,_ZN7rocprim17ROCPRIM_400000_NS6detail17trampoline_kernelINS0_13select_configILj256ELj13ELNS0_17block_load_methodE3ELS4_3ELS4_3ELNS0_20block_scan_algorithmE0ELj4294967295EEENS1_25partition_config_selectorILNS1_17partition_subalgoE4EjNS0_10empty_typeEbEEZZNS1_14partition_implILS8_4ELb0ES6_15HIP_vector_typeIjLj2EENS0_17counting_iteratorIjlEEPS9_SG_NS0_5tupleIJPjSI_NS0_16reverse_iteratorISI_EEEEENSH_IJSG_SG_SG_EEES9_SI_JZNS1_25segmented_radix_sort_implINS0_14default_configELb0EPKhPhPKlPlN2at6native12_GLOBAL__N_18offset_tEEE10hipError_tPvRmT1_PNSt15iterator_traitsIS12_E10value_typeET2_T3_PNS13_IS18_E10value_typeET4_jRbjT5_S1E_jjP12ihipStream_tbEUljE_ZNSN_ISO_Lb0ESQ_SR_ST_SU_SY_EESZ_S10_S11_S12_S16_S17_S18_S1B_S1C_jS1D_jS1E_S1E_jjS1G_bEUljE0_EEESZ_S10_S11_S18_S1C_S1E_T6_T7_T9_mT8_S1G_bDpT10_ENKUlT_T0_E_clISt17integral_constantIbLb1EES1T_IbLb0EEEEDaS1P_S1Q_EUlS1P_E_NS1_11comp_targetILNS1_3genE2ELNS1_11target_archE906ELNS1_3gpuE6ELNS1_3repE0EEENS1_30default_config_static_selectorELNS0_4arch9wavefront6targetE0EEEvS12_,comdat
	.globl	_ZN7rocprim17ROCPRIM_400000_NS6detail17trampoline_kernelINS0_13select_configILj256ELj13ELNS0_17block_load_methodE3ELS4_3ELS4_3ELNS0_20block_scan_algorithmE0ELj4294967295EEENS1_25partition_config_selectorILNS1_17partition_subalgoE4EjNS0_10empty_typeEbEEZZNS1_14partition_implILS8_4ELb0ES6_15HIP_vector_typeIjLj2EENS0_17counting_iteratorIjlEEPS9_SG_NS0_5tupleIJPjSI_NS0_16reverse_iteratorISI_EEEEENSH_IJSG_SG_SG_EEES9_SI_JZNS1_25segmented_radix_sort_implINS0_14default_configELb0EPKhPhPKlPlN2at6native12_GLOBAL__N_18offset_tEEE10hipError_tPvRmT1_PNSt15iterator_traitsIS12_E10value_typeET2_T3_PNS13_IS18_E10value_typeET4_jRbjT5_S1E_jjP12ihipStream_tbEUljE_ZNSN_ISO_Lb0ESQ_SR_ST_SU_SY_EESZ_S10_S11_S12_S16_S17_S18_S1B_S1C_jS1D_jS1E_S1E_jjS1G_bEUljE0_EEESZ_S10_S11_S18_S1C_S1E_T6_T7_T9_mT8_S1G_bDpT10_ENKUlT_T0_E_clISt17integral_constantIbLb1EES1T_IbLb0EEEEDaS1P_S1Q_EUlS1P_E_NS1_11comp_targetILNS1_3genE2ELNS1_11target_archE906ELNS1_3gpuE6ELNS1_3repE0EEENS1_30default_config_static_selectorELNS0_4arch9wavefront6targetE0EEEvS12_ ; -- Begin function _ZN7rocprim17ROCPRIM_400000_NS6detail17trampoline_kernelINS0_13select_configILj256ELj13ELNS0_17block_load_methodE3ELS4_3ELS4_3ELNS0_20block_scan_algorithmE0ELj4294967295EEENS1_25partition_config_selectorILNS1_17partition_subalgoE4EjNS0_10empty_typeEbEEZZNS1_14partition_implILS8_4ELb0ES6_15HIP_vector_typeIjLj2EENS0_17counting_iteratorIjlEEPS9_SG_NS0_5tupleIJPjSI_NS0_16reverse_iteratorISI_EEEEENSH_IJSG_SG_SG_EEES9_SI_JZNS1_25segmented_radix_sort_implINS0_14default_configELb0EPKhPhPKlPlN2at6native12_GLOBAL__N_18offset_tEEE10hipError_tPvRmT1_PNSt15iterator_traitsIS12_E10value_typeET2_T3_PNS13_IS18_E10value_typeET4_jRbjT5_S1E_jjP12ihipStream_tbEUljE_ZNSN_ISO_Lb0ESQ_SR_ST_SU_SY_EESZ_S10_S11_S12_S16_S17_S18_S1B_S1C_jS1D_jS1E_S1E_jjS1G_bEUljE0_EEESZ_S10_S11_S18_S1C_S1E_T6_T7_T9_mT8_S1G_bDpT10_ENKUlT_T0_E_clISt17integral_constantIbLb1EES1T_IbLb0EEEEDaS1P_S1Q_EUlS1P_E_NS1_11comp_targetILNS1_3genE2ELNS1_11target_archE906ELNS1_3gpuE6ELNS1_3repE0EEENS1_30default_config_static_selectorELNS0_4arch9wavefront6targetE0EEEvS12_
	.p2align	8
	.type	_ZN7rocprim17ROCPRIM_400000_NS6detail17trampoline_kernelINS0_13select_configILj256ELj13ELNS0_17block_load_methodE3ELS4_3ELS4_3ELNS0_20block_scan_algorithmE0ELj4294967295EEENS1_25partition_config_selectorILNS1_17partition_subalgoE4EjNS0_10empty_typeEbEEZZNS1_14partition_implILS8_4ELb0ES6_15HIP_vector_typeIjLj2EENS0_17counting_iteratorIjlEEPS9_SG_NS0_5tupleIJPjSI_NS0_16reverse_iteratorISI_EEEEENSH_IJSG_SG_SG_EEES9_SI_JZNS1_25segmented_radix_sort_implINS0_14default_configELb0EPKhPhPKlPlN2at6native12_GLOBAL__N_18offset_tEEE10hipError_tPvRmT1_PNSt15iterator_traitsIS12_E10value_typeET2_T3_PNS13_IS18_E10value_typeET4_jRbjT5_S1E_jjP12ihipStream_tbEUljE_ZNSN_ISO_Lb0ESQ_SR_ST_SU_SY_EESZ_S10_S11_S12_S16_S17_S18_S1B_S1C_jS1D_jS1E_S1E_jjS1G_bEUljE0_EEESZ_S10_S11_S18_S1C_S1E_T6_T7_T9_mT8_S1G_bDpT10_ENKUlT_T0_E_clISt17integral_constantIbLb1EES1T_IbLb0EEEEDaS1P_S1Q_EUlS1P_E_NS1_11comp_targetILNS1_3genE2ELNS1_11target_archE906ELNS1_3gpuE6ELNS1_3repE0EEENS1_30default_config_static_selectorELNS0_4arch9wavefront6targetE0EEEvS12_,@function
_ZN7rocprim17ROCPRIM_400000_NS6detail17trampoline_kernelINS0_13select_configILj256ELj13ELNS0_17block_load_methodE3ELS4_3ELS4_3ELNS0_20block_scan_algorithmE0ELj4294967295EEENS1_25partition_config_selectorILNS1_17partition_subalgoE4EjNS0_10empty_typeEbEEZZNS1_14partition_implILS8_4ELb0ES6_15HIP_vector_typeIjLj2EENS0_17counting_iteratorIjlEEPS9_SG_NS0_5tupleIJPjSI_NS0_16reverse_iteratorISI_EEEEENSH_IJSG_SG_SG_EEES9_SI_JZNS1_25segmented_radix_sort_implINS0_14default_configELb0EPKhPhPKlPlN2at6native12_GLOBAL__N_18offset_tEEE10hipError_tPvRmT1_PNSt15iterator_traitsIS12_E10value_typeET2_T3_PNS13_IS18_E10value_typeET4_jRbjT5_S1E_jjP12ihipStream_tbEUljE_ZNSN_ISO_Lb0ESQ_SR_ST_SU_SY_EESZ_S10_S11_S12_S16_S17_S18_S1B_S1C_jS1D_jS1E_S1E_jjS1G_bEUljE0_EEESZ_S10_S11_S18_S1C_S1E_T6_T7_T9_mT8_S1G_bDpT10_ENKUlT_T0_E_clISt17integral_constantIbLb1EES1T_IbLb0EEEEDaS1P_S1Q_EUlS1P_E_NS1_11comp_targetILNS1_3genE2ELNS1_11target_archE906ELNS1_3gpuE6ELNS1_3repE0EEENS1_30default_config_static_selectorELNS0_4arch9wavefront6targetE0EEEvS12_: ; @_ZN7rocprim17ROCPRIM_400000_NS6detail17trampoline_kernelINS0_13select_configILj256ELj13ELNS0_17block_load_methodE3ELS4_3ELS4_3ELNS0_20block_scan_algorithmE0ELj4294967295EEENS1_25partition_config_selectorILNS1_17partition_subalgoE4EjNS0_10empty_typeEbEEZZNS1_14partition_implILS8_4ELb0ES6_15HIP_vector_typeIjLj2EENS0_17counting_iteratorIjlEEPS9_SG_NS0_5tupleIJPjSI_NS0_16reverse_iteratorISI_EEEEENSH_IJSG_SG_SG_EEES9_SI_JZNS1_25segmented_radix_sort_implINS0_14default_configELb0EPKhPhPKlPlN2at6native12_GLOBAL__N_18offset_tEEE10hipError_tPvRmT1_PNSt15iterator_traitsIS12_E10value_typeET2_T3_PNS13_IS18_E10value_typeET4_jRbjT5_S1E_jjP12ihipStream_tbEUljE_ZNSN_ISO_Lb0ESQ_SR_ST_SU_SY_EESZ_S10_S11_S12_S16_S17_S18_S1B_S1C_jS1D_jS1E_S1E_jjS1G_bEUljE0_EEESZ_S10_S11_S18_S1C_S1E_T6_T7_T9_mT8_S1G_bDpT10_ENKUlT_T0_E_clISt17integral_constantIbLb1EES1T_IbLb0EEEEDaS1P_S1Q_EUlS1P_E_NS1_11comp_targetILNS1_3genE2ELNS1_11target_archE906ELNS1_3gpuE6ELNS1_3repE0EEENS1_30default_config_static_selectorELNS0_4arch9wavefront6targetE0EEEvS12_
; %bb.0:
	.section	.rodata,"a",@progbits
	.p2align	6, 0x0
	.amdhsa_kernel _ZN7rocprim17ROCPRIM_400000_NS6detail17trampoline_kernelINS0_13select_configILj256ELj13ELNS0_17block_load_methodE3ELS4_3ELS4_3ELNS0_20block_scan_algorithmE0ELj4294967295EEENS1_25partition_config_selectorILNS1_17partition_subalgoE4EjNS0_10empty_typeEbEEZZNS1_14partition_implILS8_4ELb0ES6_15HIP_vector_typeIjLj2EENS0_17counting_iteratorIjlEEPS9_SG_NS0_5tupleIJPjSI_NS0_16reverse_iteratorISI_EEEEENSH_IJSG_SG_SG_EEES9_SI_JZNS1_25segmented_radix_sort_implINS0_14default_configELb0EPKhPhPKlPlN2at6native12_GLOBAL__N_18offset_tEEE10hipError_tPvRmT1_PNSt15iterator_traitsIS12_E10value_typeET2_T3_PNS13_IS18_E10value_typeET4_jRbjT5_S1E_jjP12ihipStream_tbEUljE_ZNSN_ISO_Lb0ESQ_SR_ST_SU_SY_EESZ_S10_S11_S12_S16_S17_S18_S1B_S1C_jS1D_jS1E_S1E_jjS1G_bEUljE0_EEESZ_S10_S11_S18_S1C_S1E_T6_T7_T9_mT8_S1G_bDpT10_ENKUlT_T0_E_clISt17integral_constantIbLb1EES1T_IbLb0EEEEDaS1P_S1Q_EUlS1P_E_NS1_11comp_targetILNS1_3genE2ELNS1_11target_archE906ELNS1_3gpuE6ELNS1_3repE0EEENS1_30default_config_static_selectorELNS0_4arch9wavefront6targetE0EEEvS12_
		.amdhsa_group_segment_fixed_size 0
		.amdhsa_private_segment_fixed_size 0
		.amdhsa_kernarg_size 176
		.amdhsa_user_sgpr_count 6
		.amdhsa_user_sgpr_private_segment_buffer 1
		.amdhsa_user_sgpr_dispatch_ptr 0
		.amdhsa_user_sgpr_queue_ptr 0
		.amdhsa_user_sgpr_kernarg_segment_ptr 1
		.amdhsa_user_sgpr_dispatch_id 0
		.amdhsa_user_sgpr_flat_scratch_init 0
		.amdhsa_user_sgpr_private_segment_size 0
		.amdhsa_wavefront_size32 1
		.amdhsa_uses_dynamic_stack 0
		.amdhsa_system_sgpr_private_segment_wavefront_offset 0
		.amdhsa_system_sgpr_workgroup_id_x 1
		.amdhsa_system_sgpr_workgroup_id_y 0
		.amdhsa_system_sgpr_workgroup_id_z 0
		.amdhsa_system_sgpr_workgroup_info 0
		.amdhsa_system_vgpr_workitem_id 0
		.amdhsa_next_free_vgpr 1
		.amdhsa_next_free_sgpr 1
		.amdhsa_reserve_vcc 0
		.amdhsa_reserve_flat_scratch 0
		.amdhsa_float_round_mode_32 0
		.amdhsa_float_round_mode_16_64 0
		.amdhsa_float_denorm_mode_32 3
		.amdhsa_float_denorm_mode_16_64 3
		.amdhsa_dx10_clamp 1
		.amdhsa_ieee_mode 1
		.amdhsa_fp16_overflow 0
		.amdhsa_workgroup_processor_mode 1
		.amdhsa_memory_ordered 1
		.amdhsa_forward_progress 1
		.amdhsa_shared_vgpr_count 0
		.amdhsa_exception_fp_ieee_invalid_op 0
		.amdhsa_exception_fp_denorm_src 0
		.amdhsa_exception_fp_ieee_div_zero 0
		.amdhsa_exception_fp_ieee_overflow 0
		.amdhsa_exception_fp_ieee_underflow 0
		.amdhsa_exception_fp_ieee_inexact 0
		.amdhsa_exception_int_div_zero 0
	.end_amdhsa_kernel
	.section	.text._ZN7rocprim17ROCPRIM_400000_NS6detail17trampoline_kernelINS0_13select_configILj256ELj13ELNS0_17block_load_methodE3ELS4_3ELS4_3ELNS0_20block_scan_algorithmE0ELj4294967295EEENS1_25partition_config_selectorILNS1_17partition_subalgoE4EjNS0_10empty_typeEbEEZZNS1_14partition_implILS8_4ELb0ES6_15HIP_vector_typeIjLj2EENS0_17counting_iteratorIjlEEPS9_SG_NS0_5tupleIJPjSI_NS0_16reverse_iteratorISI_EEEEENSH_IJSG_SG_SG_EEES9_SI_JZNS1_25segmented_radix_sort_implINS0_14default_configELb0EPKhPhPKlPlN2at6native12_GLOBAL__N_18offset_tEEE10hipError_tPvRmT1_PNSt15iterator_traitsIS12_E10value_typeET2_T3_PNS13_IS18_E10value_typeET4_jRbjT5_S1E_jjP12ihipStream_tbEUljE_ZNSN_ISO_Lb0ESQ_SR_ST_SU_SY_EESZ_S10_S11_S12_S16_S17_S18_S1B_S1C_jS1D_jS1E_S1E_jjS1G_bEUljE0_EEESZ_S10_S11_S18_S1C_S1E_T6_T7_T9_mT8_S1G_bDpT10_ENKUlT_T0_E_clISt17integral_constantIbLb1EES1T_IbLb0EEEEDaS1P_S1Q_EUlS1P_E_NS1_11comp_targetILNS1_3genE2ELNS1_11target_archE906ELNS1_3gpuE6ELNS1_3repE0EEENS1_30default_config_static_selectorELNS0_4arch9wavefront6targetE0EEEvS12_,"axG",@progbits,_ZN7rocprim17ROCPRIM_400000_NS6detail17trampoline_kernelINS0_13select_configILj256ELj13ELNS0_17block_load_methodE3ELS4_3ELS4_3ELNS0_20block_scan_algorithmE0ELj4294967295EEENS1_25partition_config_selectorILNS1_17partition_subalgoE4EjNS0_10empty_typeEbEEZZNS1_14partition_implILS8_4ELb0ES6_15HIP_vector_typeIjLj2EENS0_17counting_iteratorIjlEEPS9_SG_NS0_5tupleIJPjSI_NS0_16reverse_iteratorISI_EEEEENSH_IJSG_SG_SG_EEES9_SI_JZNS1_25segmented_radix_sort_implINS0_14default_configELb0EPKhPhPKlPlN2at6native12_GLOBAL__N_18offset_tEEE10hipError_tPvRmT1_PNSt15iterator_traitsIS12_E10value_typeET2_T3_PNS13_IS18_E10value_typeET4_jRbjT5_S1E_jjP12ihipStream_tbEUljE_ZNSN_ISO_Lb0ESQ_SR_ST_SU_SY_EESZ_S10_S11_S12_S16_S17_S18_S1B_S1C_jS1D_jS1E_S1E_jjS1G_bEUljE0_EEESZ_S10_S11_S18_S1C_S1E_T6_T7_T9_mT8_S1G_bDpT10_ENKUlT_T0_E_clISt17integral_constantIbLb1EES1T_IbLb0EEEEDaS1P_S1Q_EUlS1P_E_NS1_11comp_targetILNS1_3genE2ELNS1_11target_archE906ELNS1_3gpuE6ELNS1_3repE0EEENS1_30default_config_static_selectorELNS0_4arch9wavefront6targetE0EEEvS12_,comdat
.Lfunc_end141:
	.size	_ZN7rocprim17ROCPRIM_400000_NS6detail17trampoline_kernelINS0_13select_configILj256ELj13ELNS0_17block_load_methodE3ELS4_3ELS4_3ELNS0_20block_scan_algorithmE0ELj4294967295EEENS1_25partition_config_selectorILNS1_17partition_subalgoE4EjNS0_10empty_typeEbEEZZNS1_14partition_implILS8_4ELb0ES6_15HIP_vector_typeIjLj2EENS0_17counting_iteratorIjlEEPS9_SG_NS0_5tupleIJPjSI_NS0_16reverse_iteratorISI_EEEEENSH_IJSG_SG_SG_EEES9_SI_JZNS1_25segmented_radix_sort_implINS0_14default_configELb0EPKhPhPKlPlN2at6native12_GLOBAL__N_18offset_tEEE10hipError_tPvRmT1_PNSt15iterator_traitsIS12_E10value_typeET2_T3_PNS13_IS18_E10value_typeET4_jRbjT5_S1E_jjP12ihipStream_tbEUljE_ZNSN_ISO_Lb0ESQ_SR_ST_SU_SY_EESZ_S10_S11_S12_S16_S17_S18_S1B_S1C_jS1D_jS1E_S1E_jjS1G_bEUljE0_EEESZ_S10_S11_S18_S1C_S1E_T6_T7_T9_mT8_S1G_bDpT10_ENKUlT_T0_E_clISt17integral_constantIbLb1EES1T_IbLb0EEEEDaS1P_S1Q_EUlS1P_E_NS1_11comp_targetILNS1_3genE2ELNS1_11target_archE906ELNS1_3gpuE6ELNS1_3repE0EEENS1_30default_config_static_selectorELNS0_4arch9wavefront6targetE0EEEvS12_, .Lfunc_end141-_ZN7rocprim17ROCPRIM_400000_NS6detail17trampoline_kernelINS0_13select_configILj256ELj13ELNS0_17block_load_methodE3ELS4_3ELS4_3ELNS0_20block_scan_algorithmE0ELj4294967295EEENS1_25partition_config_selectorILNS1_17partition_subalgoE4EjNS0_10empty_typeEbEEZZNS1_14partition_implILS8_4ELb0ES6_15HIP_vector_typeIjLj2EENS0_17counting_iteratorIjlEEPS9_SG_NS0_5tupleIJPjSI_NS0_16reverse_iteratorISI_EEEEENSH_IJSG_SG_SG_EEES9_SI_JZNS1_25segmented_radix_sort_implINS0_14default_configELb0EPKhPhPKlPlN2at6native12_GLOBAL__N_18offset_tEEE10hipError_tPvRmT1_PNSt15iterator_traitsIS12_E10value_typeET2_T3_PNS13_IS18_E10value_typeET4_jRbjT5_S1E_jjP12ihipStream_tbEUljE_ZNSN_ISO_Lb0ESQ_SR_ST_SU_SY_EESZ_S10_S11_S12_S16_S17_S18_S1B_S1C_jS1D_jS1E_S1E_jjS1G_bEUljE0_EEESZ_S10_S11_S18_S1C_S1E_T6_T7_T9_mT8_S1G_bDpT10_ENKUlT_T0_E_clISt17integral_constantIbLb1EES1T_IbLb0EEEEDaS1P_S1Q_EUlS1P_E_NS1_11comp_targetILNS1_3genE2ELNS1_11target_archE906ELNS1_3gpuE6ELNS1_3repE0EEENS1_30default_config_static_selectorELNS0_4arch9wavefront6targetE0EEEvS12_
                                        ; -- End function
	.set _ZN7rocprim17ROCPRIM_400000_NS6detail17trampoline_kernelINS0_13select_configILj256ELj13ELNS0_17block_load_methodE3ELS4_3ELS4_3ELNS0_20block_scan_algorithmE0ELj4294967295EEENS1_25partition_config_selectorILNS1_17partition_subalgoE4EjNS0_10empty_typeEbEEZZNS1_14partition_implILS8_4ELb0ES6_15HIP_vector_typeIjLj2EENS0_17counting_iteratorIjlEEPS9_SG_NS0_5tupleIJPjSI_NS0_16reverse_iteratorISI_EEEEENSH_IJSG_SG_SG_EEES9_SI_JZNS1_25segmented_radix_sort_implINS0_14default_configELb0EPKhPhPKlPlN2at6native12_GLOBAL__N_18offset_tEEE10hipError_tPvRmT1_PNSt15iterator_traitsIS12_E10value_typeET2_T3_PNS13_IS18_E10value_typeET4_jRbjT5_S1E_jjP12ihipStream_tbEUljE_ZNSN_ISO_Lb0ESQ_SR_ST_SU_SY_EESZ_S10_S11_S12_S16_S17_S18_S1B_S1C_jS1D_jS1E_S1E_jjS1G_bEUljE0_EEESZ_S10_S11_S18_S1C_S1E_T6_T7_T9_mT8_S1G_bDpT10_ENKUlT_T0_E_clISt17integral_constantIbLb1EES1T_IbLb0EEEEDaS1P_S1Q_EUlS1P_E_NS1_11comp_targetILNS1_3genE2ELNS1_11target_archE906ELNS1_3gpuE6ELNS1_3repE0EEENS1_30default_config_static_selectorELNS0_4arch9wavefront6targetE0EEEvS12_.num_vgpr, 0
	.set _ZN7rocprim17ROCPRIM_400000_NS6detail17trampoline_kernelINS0_13select_configILj256ELj13ELNS0_17block_load_methodE3ELS4_3ELS4_3ELNS0_20block_scan_algorithmE0ELj4294967295EEENS1_25partition_config_selectorILNS1_17partition_subalgoE4EjNS0_10empty_typeEbEEZZNS1_14partition_implILS8_4ELb0ES6_15HIP_vector_typeIjLj2EENS0_17counting_iteratorIjlEEPS9_SG_NS0_5tupleIJPjSI_NS0_16reverse_iteratorISI_EEEEENSH_IJSG_SG_SG_EEES9_SI_JZNS1_25segmented_radix_sort_implINS0_14default_configELb0EPKhPhPKlPlN2at6native12_GLOBAL__N_18offset_tEEE10hipError_tPvRmT1_PNSt15iterator_traitsIS12_E10value_typeET2_T3_PNS13_IS18_E10value_typeET4_jRbjT5_S1E_jjP12ihipStream_tbEUljE_ZNSN_ISO_Lb0ESQ_SR_ST_SU_SY_EESZ_S10_S11_S12_S16_S17_S18_S1B_S1C_jS1D_jS1E_S1E_jjS1G_bEUljE0_EEESZ_S10_S11_S18_S1C_S1E_T6_T7_T9_mT8_S1G_bDpT10_ENKUlT_T0_E_clISt17integral_constantIbLb1EES1T_IbLb0EEEEDaS1P_S1Q_EUlS1P_E_NS1_11comp_targetILNS1_3genE2ELNS1_11target_archE906ELNS1_3gpuE6ELNS1_3repE0EEENS1_30default_config_static_selectorELNS0_4arch9wavefront6targetE0EEEvS12_.num_agpr, 0
	.set _ZN7rocprim17ROCPRIM_400000_NS6detail17trampoline_kernelINS0_13select_configILj256ELj13ELNS0_17block_load_methodE3ELS4_3ELS4_3ELNS0_20block_scan_algorithmE0ELj4294967295EEENS1_25partition_config_selectorILNS1_17partition_subalgoE4EjNS0_10empty_typeEbEEZZNS1_14partition_implILS8_4ELb0ES6_15HIP_vector_typeIjLj2EENS0_17counting_iteratorIjlEEPS9_SG_NS0_5tupleIJPjSI_NS0_16reverse_iteratorISI_EEEEENSH_IJSG_SG_SG_EEES9_SI_JZNS1_25segmented_radix_sort_implINS0_14default_configELb0EPKhPhPKlPlN2at6native12_GLOBAL__N_18offset_tEEE10hipError_tPvRmT1_PNSt15iterator_traitsIS12_E10value_typeET2_T3_PNS13_IS18_E10value_typeET4_jRbjT5_S1E_jjP12ihipStream_tbEUljE_ZNSN_ISO_Lb0ESQ_SR_ST_SU_SY_EESZ_S10_S11_S12_S16_S17_S18_S1B_S1C_jS1D_jS1E_S1E_jjS1G_bEUljE0_EEESZ_S10_S11_S18_S1C_S1E_T6_T7_T9_mT8_S1G_bDpT10_ENKUlT_T0_E_clISt17integral_constantIbLb1EES1T_IbLb0EEEEDaS1P_S1Q_EUlS1P_E_NS1_11comp_targetILNS1_3genE2ELNS1_11target_archE906ELNS1_3gpuE6ELNS1_3repE0EEENS1_30default_config_static_selectorELNS0_4arch9wavefront6targetE0EEEvS12_.numbered_sgpr, 0
	.set _ZN7rocprim17ROCPRIM_400000_NS6detail17trampoline_kernelINS0_13select_configILj256ELj13ELNS0_17block_load_methodE3ELS4_3ELS4_3ELNS0_20block_scan_algorithmE0ELj4294967295EEENS1_25partition_config_selectorILNS1_17partition_subalgoE4EjNS0_10empty_typeEbEEZZNS1_14partition_implILS8_4ELb0ES6_15HIP_vector_typeIjLj2EENS0_17counting_iteratorIjlEEPS9_SG_NS0_5tupleIJPjSI_NS0_16reverse_iteratorISI_EEEEENSH_IJSG_SG_SG_EEES9_SI_JZNS1_25segmented_radix_sort_implINS0_14default_configELb0EPKhPhPKlPlN2at6native12_GLOBAL__N_18offset_tEEE10hipError_tPvRmT1_PNSt15iterator_traitsIS12_E10value_typeET2_T3_PNS13_IS18_E10value_typeET4_jRbjT5_S1E_jjP12ihipStream_tbEUljE_ZNSN_ISO_Lb0ESQ_SR_ST_SU_SY_EESZ_S10_S11_S12_S16_S17_S18_S1B_S1C_jS1D_jS1E_S1E_jjS1G_bEUljE0_EEESZ_S10_S11_S18_S1C_S1E_T6_T7_T9_mT8_S1G_bDpT10_ENKUlT_T0_E_clISt17integral_constantIbLb1EES1T_IbLb0EEEEDaS1P_S1Q_EUlS1P_E_NS1_11comp_targetILNS1_3genE2ELNS1_11target_archE906ELNS1_3gpuE6ELNS1_3repE0EEENS1_30default_config_static_selectorELNS0_4arch9wavefront6targetE0EEEvS12_.num_named_barrier, 0
	.set _ZN7rocprim17ROCPRIM_400000_NS6detail17trampoline_kernelINS0_13select_configILj256ELj13ELNS0_17block_load_methodE3ELS4_3ELS4_3ELNS0_20block_scan_algorithmE0ELj4294967295EEENS1_25partition_config_selectorILNS1_17partition_subalgoE4EjNS0_10empty_typeEbEEZZNS1_14partition_implILS8_4ELb0ES6_15HIP_vector_typeIjLj2EENS0_17counting_iteratorIjlEEPS9_SG_NS0_5tupleIJPjSI_NS0_16reverse_iteratorISI_EEEEENSH_IJSG_SG_SG_EEES9_SI_JZNS1_25segmented_radix_sort_implINS0_14default_configELb0EPKhPhPKlPlN2at6native12_GLOBAL__N_18offset_tEEE10hipError_tPvRmT1_PNSt15iterator_traitsIS12_E10value_typeET2_T3_PNS13_IS18_E10value_typeET4_jRbjT5_S1E_jjP12ihipStream_tbEUljE_ZNSN_ISO_Lb0ESQ_SR_ST_SU_SY_EESZ_S10_S11_S12_S16_S17_S18_S1B_S1C_jS1D_jS1E_S1E_jjS1G_bEUljE0_EEESZ_S10_S11_S18_S1C_S1E_T6_T7_T9_mT8_S1G_bDpT10_ENKUlT_T0_E_clISt17integral_constantIbLb1EES1T_IbLb0EEEEDaS1P_S1Q_EUlS1P_E_NS1_11comp_targetILNS1_3genE2ELNS1_11target_archE906ELNS1_3gpuE6ELNS1_3repE0EEENS1_30default_config_static_selectorELNS0_4arch9wavefront6targetE0EEEvS12_.private_seg_size, 0
	.set _ZN7rocprim17ROCPRIM_400000_NS6detail17trampoline_kernelINS0_13select_configILj256ELj13ELNS0_17block_load_methodE3ELS4_3ELS4_3ELNS0_20block_scan_algorithmE0ELj4294967295EEENS1_25partition_config_selectorILNS1_17partition_subalgoE4EjNS0_10empty_typeEbEEZZNS1_14partition_implILS8_4ELb0ES6_15HIP_vector_typeIjLj2EENS0_17counting_iteratorIjlEEPS9_SG_NS0_5tupleIJPjSI_NS0_16reverse_iteratorISI_EEEEENSH_IJSG_SG_SG_EEES9_SI_JZNS1_25segmented_radix_sort_implINS0_14default_configELb0EPKhPhPKlPlN2at6native12_GLOBAL__N_18offset_tEEE10hipError_tPvRmT1_PNSt15iterator_traitsIS12_E10value_typeET2_T3_PNS13_IS18_E10value_typeET4_jRbjT5_S1E_jjP12ihipStream_tbEUljE_ZNSN_ISO_Lb0ESQ_SR_ST_SU_SY_EESZ_S10_S11_S12_S16_S17_S18_S1B_S1C_jS1D_jS1E_S1E_jjS1G_bEUljE0_EEESZ_S10_S11_S18_S1C_S1E_T6_T7_T9_mT8_S1G_bDpT10_ENKUlT_T0_E_clISt17integral_constantIbLb1EES1T_IbLb0EEEEDaS1P_S1Q_EUlS1P_E_NS1_11comp_targetILNS1_3genE2ELNS1_11target_archE906ELNS1_3gpuE6ELNS1_3repE0EEENS1_30default_config_static_selectorELNS0_4arch9wavefront6targetE0EEEvS12_.uses_vcc, 0
	.set _ZN7rocprim17ROCPRIM_400000_NS6detail17trampoline_kernelINS0_13select_configILj256ELj13ELNS0_17block_load_methodE3ELS4_3ELS4_3ELNS0_20block_scan_algorithmE0ELj4294967295EEENS1_25partition_config_selectorILNS1_17partition_subalgoE4EjNS0_10empty_typeEbEEZZNS1_14partition_implILS8_4ELb0ES6_15HIP_vector_typeIjLj2EENS0_17counting_iteratorIjlEEPS9_SG_NS0_5tupleIJPjSI_NS0_16reverse_iteratorISI_EEEEENSH_IJSG_SG_SG_EEES9_SI_JZNS1_25segmented_radix_sort_implINS0_14default_configELb0EPKhPhPKlPlN2at6native12_GLOBAL__N_18offset_tEEE10hipError_tPvRmT1_PNSt15iterator_traitsIS12_E10value_typeET2_T3_PNS13_IS18_E10value_typeET4_jRbjT5_S1E_jjP12ihipStream_tbEUljE_ZNSN_ISO_Lb0ESQ_SR_ST_SU_SY_EESZ_S10_S11_S12_S16_S17_S18_S1B_S1C_jS1D_jS1E_S1E_jjS1G_bEUljE0_EEESZ_S10_S11_S18_S1C_S1E_T6_T7_T9_mT8_S1G_bDpT10_ENKUlT_T0_E_clISt17integral_constantIbLb1EES1T_IbLb0EEEEDaS1P_S1Q_EUlS1P_E_NS1_11comp_targetILNS1_3genE2ELNS1_11target_archE906ELNS1_3gpuE6ELNS1_3repE0EEENS1_30default_config_static_selectorELNS0_4arch9wavefront6targetE0EEEvS12_.uses_flat_scratch, 0
	.set _ZN7rocprim17ROCPRIM_400000_NS6detail17trampoline_kernelINS0_13select_configILj256ELj13ELNS0_17block_load_methodE3ELS4_3ELS4_3ELNS0_20block_scan_algorithmE0ELj4294967295EEENS1_25partition_config_selectorILNS1_17partition_subalgoE4EjNS0_10empty_typeEbEEZZNS1_14partition_implILS8_4ELb0ES6_15HIP_vector_typeIjLj2EENS0_17counting_iteratorIjlEEPS9_SG_NS0_5tupleIJPjSI_NS0_16reverse_iteratorISI_EEEEENSH_IJSG_SG_SG_EEES9_SI_JZNS1_25segmented_radix_sort_implINS0_14default_configELb0EPKhPhPKlPlN2at6native12_GLOBAL__N_18offset_tEEE10hipError_tPvRmT1_PNSt15iterator_traitsIS12_E10value_typeET2_T3_PNS13_IS18_E10value_typeET4_jRbjT5_S1E_jjP12ihipStream_tbEUljE_ZNSN_ISO_Lb0ESQ_SR_ST_SU_SY_EESZ_S10_S11_S12_S16_S17_S18_S1B_S1C_jS1D_jS1E_S1E_jjS1G_bEUljE0_EEESZ_S10_S11_S18_S1C_S1E_T6_T7_T9_mT8_S1G_bDpT10_ENKUlT_T0_E_clISt17integral_constantIbLb1EES1T_IbLb0EEEEDaS1P_S1Q_EUlS1P_E_NS1_11comp_targetILNS1_3genE2ELNS1_11target_archE906ELNS1_3gpuE6ELNS1_3repE0EEENS1_30default_config_static_selectorELNS0_4arch9wavefront6targetE0EEEvS12_.has_dyn_sized_stack, 0
	.set _ZN7rocprim17ROCPRIM_400000_NS6detail17trampoline_kernelINS0_13select_configILj256ELj13ELNS0_17block_load_methodE3ELS4_3ELS4_3ELNS0_20block_scan_algorithmE0ELj4294967295EEENS1_25partition_config_selectorILNS1_17partition_subalgoE4EjNS0_10empty_typeEbEEZZNS1_14partition_implILS8_4ELb0ES6_15HIP_vector_typeIjLj2EENS0_17counting_iteratorIjlEEPS9_SG_NS0_5tupleIJPjSI_NS0_16reverse_iteratorISI_EEEEENSH_IJSG_SG_SG_EEES9_SI_JZNS1_25segmented_radix_sort_implINS0_14default_configELb0EPKhPhPKlPlN2at6native12_GLOBAL__N_18offset_tEEE10hipError_tPvRmT1_PNSt15iterator_traitsIS12_E10value_typeET2_T3_PNS13_IS18_E10value_typeET4_jRbjT5_S1E_jjP12ihipStream_tbEUljE_ZNSN_ISO_Lb0ESQ_SR_ST_SU_SY_EESZ_S10_S11_S12_S16_S17_S18_S1B_S1C_jS1D_jS1E_S1E_jjS1G_bEUljE0_EEESZ_S10_S11_S18_S1C_S1E_T6_T7_T9_mT8_S1G_bDpT10_ENKUlT_T0_E_clISt17integral_constantIbLb1EES1T_IbLb0EEEEDaS1P_S1Q_EUlS1P_E_NS1_11comp_targetILNS1_3genE2ELNS1_11target_archE906ELNS1_3gpuE6ELNS1_3repE0EEENS1_30default_config_static_selectorELNS0_4arch9wavefront6targetE0EEEvS12_.has_recursion, 0
	.set _ZN7rocprim17ROCPRIM_400000_NS6detail17trampoline_kernelINS0_13select_configILj256ELj13ELNS0_17block_load_methodE3ELS4_3ELS4_3ELNS0_20block_scan_algorithmE0ELj4294967295EEENS1_25partition_config_selectorILNS1_17partition_subalgoE4EjNS0_10empty_typeEbEEZZNS1_14partition_implILS8_4ELb0ES6_15HIP_vector_typeIjLj2EENS0_17counting_iteratorIjlEEPS9_SG_NS0_5tupleIJPjSI_NS0_16reverse_iteratorISI_EEEEENSH_IJSG_SG_SG_EEES9_SI_JZNS1_25segmented_radix_sort_implINS0_14default_configELb0EPKhPhPKlPlN2at6native12_GLOBAL__N_18offset_tEEE10hipError_tPvRmT1_PNSt15iterator_traitsIS12_E10value_typeET2_T3_PNS13_IS18_E10value_typeET4_jRbjT5_S1E_jjP12ihipStream_tbEUljE_ZNSN_ISO_Lb0ESQ_SR_ST_SU_SY_EESZ_S10_S11_S12_S16_S17_S18_S1B_S1C_jS1D_jS1E_S1E_jjS1G_bEUljE0_EEESZ_S10_S11_S18_S1C_S1E_T6_T7_T9_mT8_S1G_bDpT10_ENKUlT_T0_E_clISt17integral_constantIbLb1EES1T_IbLb0EEEEDaS1P_S1Q_EUlS1P_E_NS1_11comp_targetILNS1_3genE2ELNS1_11target_archE906ELNS1_3gpuE6ELNS1_3repE0EEENS1_30default_config_static_selectorELNS0_4arch9wavefront6targetE0EEEvS12_.has_indirect_call, 0
	.section	.AMDGPU.csdata,"",@progbits
; Kernel info:
; codeLenInByte = 0
; TotalNumSgprs: 0
; NumVgprs: 0
; ScratchSize: 0
; MemoryBound: 0
; FloatMode: 240
; IeeeMode: 1
; LDSByteSize: 0 bytes/workgroup (compile time only)
; SGPRBlocks: 0
; VGPRBlocks: 0
; NumSGPRsForWavesPerEU: 1
; NumVGPRsForWavesPerEU: 1
; Occupancy: 16
; WaveLimiterHint : 0
; COMPUTE_PGM_RSRC2:SCRATCH_EN: 0
; COMPUTE_PGM_RSRC2:USER_SGPR: 6
; COMPUTE_PGM_RSRC2:TRAP_HANDLER: 0
; COMPUTE_PGM_RSRC2:TGID_X_EN: 1
; COMPUTE_PGM_RSRC2:TGID_Y_EN: 0
; COMPUTE_PGM_RSRC2:TGID_Z_EN: 0
; COMPUTE_PGM_RSRC2:TIDIG_COMP_CNT: 0
	.section	.text._ZN7rocprim17ROCPRIM_400000_NS6detail17trampoline_kernelINS0_13select_configILj256ELj13ELNS0_17block_load_methodE3ELS4_3ELS4_3ELNS0_20block_scan_algorithmE0ELj4294967295EEENS1_25partition_config_selectorILNS1_17partition_subalgoE4EjNS0_10empty_typeEbEEZZNS1_14partition_implILS8_4ELb0ES6_15HIP_vector_typeIjLj2EENS0_17counting_iteratorIjlEEPS9_SG_NS0_5tupleIJPjSI_NS0_16reverse_iteratorISI_EEEEENSH_IJSG_SG_SG_EEES9_SI_JZNS1_25segmented_radix_sort_implINS0_14default_configELb0EPKhPhPKlPlN2at6native12_GLOBAL__N_18offset_tEEE10hipError_tPvRmT1_PNSt15iterator_traitsIS12_E10value_typeET2_T3_PNS13_IS18_E10value_typeET4_jRbjT5_S1E_jjP12ihipStream_tbEUljE_ZNSN_ISO_Lb0ESQ_SR_ST_SU_SY_EESZ_S10_S11_S12_S16_S17_S18_S1B_S1C_jS1D_jS1E_S1E_jjS1G_bEUljE0_EEESZ_S10_S11_S18_S1C_S1E_T6_T7_T9_mT8_S1G_bDpT10_ENKUlT_T0_E_clISt17integral_constantIbLb1EES1T_IbLb0EEEEDaS1P_S1Q_EUlS1P_E_NS1_11comp_targetILNS1_3genE10ELNS1_11target_archE1200ELNS1_3gpuE4ELNS1_3repE0EEENS1_30default_config_static_selectorELNS0_4arch9wavefront6targetE0EEEvS12_,"axG",@progbits,_ZN7rocprim17ROCPRIM_400000_NS6detail17trampoline_kernelINS0_13select_configILj256ELj13ELNS0_17block_load_methodE3ELS4_3ELS4_3ELNS0_20block_scan_algorithmE0ELj4294967295EEENS1_25partition_config_selectorILNS1_17partition_subalgoE4EjNS0_10empty_typeEbEEZZNS1_14partition_implILS8_4ELb0ES6_15HIP_vector_typeIjLj2EENS0_17counting_iteratorIjlEEPS9_SG_NS0_5tupleIJPjSI_NS0_16reverse_iteratorISI_EEEEENSH_IJSG_SG_SG_EEES9_SI_JZNS1_25segmented_radix_sort_implINS0_14default_configELb0EPKhPhPKlPlN2at6native12_GLOBAL__N_18offset_tEEE10hipError_tPvRmT1_PNSt15iterator_traitsIS12_E10value_typeET2_T3_PNS13_IS18_E10value_typeET4_jRbjT5_S1E_jjP12ihipStream_tbEUljE_ZNSN_ISO_Lb0ESQ_SR_ST_SU_SY_EESZ_S10_S11_S12_S16_S17_S18_S1B_S1C_jS1D_jS1E_S1E_jjS1G_bEUljE0_EEESZ_S10_S11_S18_S1C_S1E_T6_T7_T9_mT8_S1G_bDpT10_ENKUlT_T0_E_clISt17integral_constantIbLb1EES1T_IbLb0EEEEDaS1P_S1Q_EUlS1P_E_NS1_11comp_targetILNS1_3genE10ELNS1_11target_archE1200ELNS1_3gpuE4ELNS1_3repE0EEENS1_30default_config_static_selectorELNS0_4arch9wavefront6targetE0EEEvS12_,comdat
	.globl	_ZN7rocprim17ROCPRIM_400000_NS6detail17trampoline_kernelINS0_13select_configILj256ELj13ELNS0_17block_load_methodE3ELS4_3ELS4_3ELNS0_20block_scan_algorithmE0ELj4294967295EEENS1_25partition_config_selectorILNS1_17partition_subalgoE4EjNS0_10empty_typeEbEEZZNS1_14partition_implILS8_4ELb0ES6_15HIP_vector_typeIjLj2EENS0_17counting_iteratorIjlEEPS9_SG_NS0_5tupleIJPjSI_NS0_16reverse_iteratorISI_EEEEENSH_IJSG_SG_SG_EEES9_SI_JZNS1_25segmented_radix_sort_implINS0_14default_configELb0EPKhPhPKlPlN2at6native12_GLOBAL__N_18offset_tEEE10hipError_tPvRmT1_PNSt15iterator_traitsIS12_E10value_typeET2_T3_PNS13_IS18_E10value_typeET4_jRbjT5_S1E_jjP12ihipStream_tbEUljE_ZNSN_ISO_Lb0ESQ_SR_ST_SU_SY_EESZ_S10_S11_S12_S16_S17_S18_S1B_S1C_jS1D_jS1E_S1E_jjS1G_bEUljE0_EEESZ_S10_S11_S18_S1C_S1E_T6_T7_T9_mT8_S1G_bDpT10_ENKUlT_T0_E_clISt17integral_constantIbLb1EES1T_IbLb0EEEEDaS1P_S1Q_EUlS1P_E_NS1_11comp_targetILNS1_3genE10ELNS1_11target_archE1200ELNS1_3gpuE4ELNS1_3repE0EEENS1_30default_config_static_selectorELNS0_4arch9wavefront6targetE0EEEvS12_ ; -- Begin function _ZN7rocprim17ROCPRIM_400000_NS6detail17trampoline_kernelINS0_13select_configILj256ELj13ELNS0_17block_load_methodE3ELS4_3ELS4_3ELNS0_20block_scan_algorithmE0ELj4294967295EEENS1_25partition_config_selectorILNS1_17partition_subalgoE4EjNS0_10empty_typeEbEEZZNS1_14partition_implILS8_4ELb0ES6_15HIP_vector_typeIjLj2EENS0_17counting_iteratorIjlEEPS9_SG_NS0_5tupleIJPjSI_NS0_16reverse_iteratorISI_EEEEENSH_IJSG_SG_SG_EEES9_SI_JZNS1_25segmented_radix_sort_implINS0_14default_configELb0EPKhPhPKlPlN2at6native12_GLOBAL__N_18offset_tEEE10hipError_tPvRmT1_PNSt15iterator_traitsIS12_E10value_typeET2_T3_PNS13_IS18_E10value_typeET4_jRbjT5_S1E_jjP12ihipStream_tbEUljE_ZNSN_ISO_Lb0ESQ_SR_ST_SU_SY_EESZ_S10_S11_S12_S16_S17_S18_S1B_S1C_jS1D_jS1E_S1E_jjS1G_bEUljE0_EEESZ_S10_S11_S18_S1C_S1E_T6_T7_T9_mT8_S1G_bDpT10_ENKUlT_T0_E_clISt17integral_constantIbLb1EES1T_IbLb0EEEEDaS1P_S1Q_EUlS1P_E_NS1_11comp_targetILNS1_3genE10ELNS1_11target_archE1200ELNS1_3gpuE4ELNS1_3repE0EEENS1_30default_config_static_selectorELNS0_4arch9wavefront6targetE0EEEvS12_
	.p2align	8
	.type	_ZN7rocprim17ROCPRIM_400000_NS6detail17trampoline_kernelINS0_13select_configILj256ELj13ELNS0_17block_load_methodE3ELS4_3ELS4_3ELNS0_20block_scan_algorithmE0ELj4294967295EEENS1_25partition_config_selectorILNS1_17partition_subalgoE4EjNS0_10empty_typeEbEEZZNS1_14partition_implILS8_4ELb0ES6_15HIP_vector_typeIjLj2EENS0_17counting_iteratorIjlEEPS9_SG_NS0_5tupleIJPjSI_NS0_16reverse_iteratorISI_EEEEENSH_IJSG_SG_SG_EEES9_SI_JZNS1_25segmented_radix_sort_implINS0_14default_configELb0EPKhPhPKlPlN2at6native12_GLOBAL__N_18offset_tEEE10hipError_tPvRmT1_PNSt15iterator_traitsIS12_E10value_typeET2_T3_PNS13_IS18_E10value_typeET4_jRbjT5_S1E_jjP12ihipStream_tbEUljE_ZNSN_ISO_Lb0ESQ_SR_ST_SU_SY_EESZ_S10_S11_S12_S16_S17_S18_S1B_S1C_jS1D_jS1E_S1E_jjS1G_bEUljE0_EEESZ_S10_S11_S18_S1C_S1E_T6_T7_T9_mT8_S1G_bDpT10_ENKUlT_T0_E_clISt17integral_constantIbLb1EES1T_IbLb0EEEEDaS1P_S1Q_EUlS1P_E_NS1_11comp_targetILNS1_3genE10ELNS1_11target_archE1200ELNS1_3gpuE4ELNS1_3repE0EEENS1_30default_config_static_selectorELNS0_4arch9wavefront6targetE0EEEvS12_,@function
_ZN7rocprim17ROCPRIM_400000_NS6detail17trampoline_kernelINS0_13select_configILj256ELj13ELNS0_17block_load_methodE3ELS4_3ELS4_3ELNS0_20block_scan_algorithmE0ELj4294967295EEENS1_25partition_config_selectorILNS1_17partition_subalgoE4EjNS0_10empty_typeEbEEZZNS1_14partition_implILS8_4ELb0ES6_15HIP_vector_typeIjLj2EENS0_17counting_iteratorIjlEEPS9_SG_NS0_5tupleIJPjSI_NS0_16reverse_iteratorISI_EEEEENSH_IJSG_SG_SG_EEES9_SI_JZNS1_25segmented_radix_sort_implINS0_14default_configELb0EPKhPhPKlPlN2at6native12_GLOBAL__N_18offset_tEEE10hipError_tPvRmT1_PNSt15iterator_traitsIS12_E10value_typeET2_T3_PNS13_IS18_E10value_typeET4_jRbjT5_S1E_jjP12ihipStream_tbEUljE_ZNSN_ISO_Lb0ESQ_SR_ST_SU_SY_EESZ_S10_S11_S12_S16_S17_S18_S1B_S1C_jS1D_jS1E_S1E_jjS1G_bEUljE0_EEESZ_S10_S11_S18_S1C_S1E_T6_T7_T9_mT8_S1G_bDpT10_ENKUlT_T0_E_clISt17integral_constantIbLb1EES1T_IbLb0EEEEDaS1P_S1Q_EUlS1P_E_NS1_11comp_targetILNS1_3genE10ELNS1_11target_archE1200ELNS1_3gpuE4ELNS1_3repE0EEENS1_30default_config_static_selectorELNS0_4arch9wavefront6targetE0EEEvS12_: ; @_ZN7rocprim17ROCPRIM_400000_NS6detail17trampoline_kernelINS0_13select_configILj256ELj13ELNS0_17block_load_methodE3ELS4_3ELS4_3ELNS0_20block_scan_algorithmE0ELj4294967295EEENS1_25partition_config_selectorILNS1_17partition_subalgoE4EjNS0_10empty_typeEbEEZZNS1_14partition_implILS8_4ELb0ES6_15HIP_vector_typeIjLj2EENS0_17counting_iteratorIjlEEPS9_SG_NS0_5tupleIJPjSI_NS0_16reverse_iteratorISI_EEEEENSH_IJSG_SG_SG_EEES9_SI_JZNS1_25segmented_radix_sort_implINS0_14default_configELb0EPKhPhPKlPlN2at6native12_GLOBAL__N_18offset_tEEE10hipError_tPvRmT1_PNSt15iterator_traitsIS12_E10value_typeET2_T3_PNS13_IS18_E10value_typeET4_jRbjT5_S1E_jjP12ihipStream_tbEUljE_ZNSN_ISO_Lb0ESQ_SR_ST_SU_SY_EESZ_S10_S11_S12_S16_S17_S18_S1B_S1C_jS1D_jS1E_S1E_jjS1G_bEUljE0_EEESZ_S10_S11_S18_S1C_S1E_T6_T7_T9_mT8_S1G_bDpT10_ENKUlT_T0_E_clISt17integral_constantIbLb1EES1T_IbLb0EEEEDaS1P_S1Q_EUlS1P_E_NS1_11comp_targetILNS1_3genE10ELNS1_11target_archE1200ELNS1_3gpuE4ELNS1_3repE0EEENS1_30default_config_static_selectorELNS0_4arch9wavefront6targetE0EEEvS12_
; %bb.0:
	.section	.rodata,"a",@progbits
	.p2align	6, 0x0
	.amdhsa_kernel _ZN7rocprim17ROCPRIM_400000_NS6detail17trampoline_kernelINS0_13select_configILj256ELj13ELNS0_17block_load_methodE3ELS4_3ELS4_3ELNS0_20block_scan_algorithmE0ELj4294967295EEENS1_25partition_config_selectorILNS1_17partition_subalgoE4EjNS0_10empty_typeEbEEZZNS1_14partition_implILS8_4ELb0ES6_15HIP_vector_typeIjLj2EENS0_17counting_iteratorIjlEEPS9_SG_NS0_5tupleIJPjSI_NS0_16reverse_iteratorISI_EEEEENSH_IJSG_SG_SG_EEES9_SI_JZNS1_25segmented_radix_sort_implINS0_14default_configELb0EPKhPhPKlPlN2at6native12_GLOBAL__N_18offset_tEEE10hipError_tPvRmT1_PNSt15iterator_traitsIS12_E10value_typeET2_T3_PNS13_IS18_E10value_typeET4_jRbjT5_S1E_jjP12ihipStream_tbEUljE_ZNSN_ISO_Lb0ESQ_SR_ST_SU_SY_EESZ_S10_S11_S12_S16_S17_S18_S1B_S1C_jS1D_jS1E_S1E_jjS1G_bEUljE0_EEESZ_S10_S11_S18_S1C_S1E_T6_T7_T9_mT8_S1G_bDpT10_ENKUlT_T0_E_clISt17integral_constantIbLb1EES1T_IbLb0EEEEDaS1P_S1Q_EUlS1P_E_NS1_11comp_targetILNS1_3genE10ELNS1_11target_archE1200ELNS1_3gpuE4ELNS1_3repE0EEENS1_30default_config_static_selectorELNS0_4arch9wavefront6targetE0EEEvS12_
		.amdhsa_group_segment_fixed_size 0
		.amdhsa_private_segment_fixed_size 0
		.amdhsa_kernarg_size 176
		.amdhsa_user_sgpr_count 6
		.amdhsa_user_sgpr_private_segment_buffer 1
		.amdhsa_user_sgpr_dispatch_ptr 0
		.amdhsa_user_sgpr_queue_ptr 0
		.amdhsa_user_sgpr_kernarg_segment_ptr 1
		.amdhsa_user_sgpr_dispatch_id 0
		.amdhsa_user_sgpr_flat_scratch_init 0
		.amdhsa_user_sgpr_private_segment_size 0
		.amdhsa_wavefront_size32 1
		.amdhsa_uses_dynamic_stack 0
		.amdhsa_system_sgpr_private_segment_wavefront_offset 0
		.amdhsa_system_sgpr_workgroup_id_x 1
		.amdhsa_system_sgpr_workgroup_id_y 0
		.amdhsa_system_sgpr_workgroup_id_z 0
		.amdhsa_system_sgpr_workgroup_info 0
		.amdhsa_system_vgpr_workitem_id 0
		.amdhsa_next_free_vgpr 1
		.amdhsa_next_free_sgpr 1
		.amdhsa_reserve_vcc 0
		.amdhsa_reserve_flat_scratch 0
		.amdhsa_float_round_mode_32 0
		.amdhsa_float_round_mode_16_64 0
		.amdhsa_float_denorm_mode_32 3
		.amdhsa_float_denorm_mode_16_64 3
		.amdhsa_dx10_clamp 1
		.amdhsa_ieee_mode 1
		.amdhsa_fp16_overflow 0
		.amdhsa_workgroup_processor_mode 1
		.amdhsa_memory_ordered 1
		.amdhsa_forward_progress 1
		.amdhsa_shared_vgpr_count 0
		.amdhsa_exception_fp_ieee_invalid_op 0
		.amdhsa_exception_fp_denorm_src 0
		.amdhsa_exception_fp_ieee_div_zero 0
		.amdhsa_exception_fp_ieee_overflow 0
		.amdhsa_exception_fp_ieee_underflow 0
		.amdhsa_exception_fp_ieee_inexact 0
		.amdhsa_exception_int_div_zero 0
	.end_amdhsa_kernel
	.section	.text._ZN7rocprim17ROCPRIM_400000_NS6detail17trampoline_kernelINS0_13select_configILj256ELj13ELNS0_17block_load_methodE3ELS4_3ELS4_3ELNS0_20block_scan_algorithmE0ELj4294967295EEENS1_25partition_config_selectorILNS1_17partition_subalgoE4EjNS0_10empty_typeEbEEZZNS1_14partition_implILS8_4ELb0ES6_15HIP_vector_typeIjLj2EENS0_17counting_iteratorIjlEEPS9_SG_NS0_5tupleIJPjSI_NS0_16reverse_iteratorISI_EEEEENSH_IJSG_SG_SG_EEES9_SI_JZNS1_25segmented_radix_sort_implINS0_14default_configELb0EPKhPhPKlPlN2at6native12_GLOBAL__N_18offset_tEEE10hipError_tPvRmT1_PNSt15iterator_traitsIS12_E10value_typeET2_T3_PNS13_IS18_E10value_typeET4_jRbjT5_S1E_jjP12ihipStream_tbEUljE_ZNSN_ISO_Lb0ESQ_SR_ST_SU_SY_EESZ_S10_S11_S12_S16_S17_S18_S1B_S1C_jS1D_jS1E_S1E_jjS1G_bEUljE0_EEESZ_S10_S11_S18_S1C_S1E_T6_T7_T9_mT8_S1G_bDpT10_ENKUlT_T0_E_clISt17integral_constantIbLb1EES1T_IbLb0EEEEDaS1P_S1Q_EUlS1P_E_NS1_11comp_targetILNS1_3genE10ELNS1_11target_archE1200ELNS1_3gpuE4ELNS1_3repE0EEENS1_30default_config_static_selectorELNS0_4arch9wavefront6targetE0EEEvS12_,"axG",@progbits,_ZN7rocprim17ROCPRIM_400000_NS6detail17trampoline_kernelINS0_13select_configILj256ELj13ELNS0_17block_load_methodE3ELS4_3ELS4_3ELNS0_20block_scan_algorithmE0ELj4294967295EEENS1_25partition_config_selectorILNS1_17partition_subalgoE4EjNS0_10empty_typeEbEEZZNS1_14partition_implILS8_4ELb0ES6_15HIP_vector_typeIjLj2EENS0_17counting_iteratorIjlEEPS9_SG_NS0_5tupleIJPjSI_NS0_16reverse_iteratorISI_EEEEENSH_IJSG_SG_SG_EEES9_SI_JZNS1_25segmented_radix_sort_implINS0_14default_configELb0EPKhPhPKlPlN2at6native12_GLOBAL__N_18offset_tEEE10hipError_tPvRmT1_PNSt15iterator_traitsIS12_E10value_typeET2_T3_PNS13_IS18_E10value_typeET4_jRbjT5_S1E_jjP12ihipStream_tbEUljE_ZNSN_ISO_Lb0ESQ_SR_ST_SU_SY_EESZ_S10_S11_S12_S16_S17_S18_S1B_S1C_jS1D_jS1E_S1E_jjS1G_bEUljE0_EEESZ_S10_S11_S18_S1C_S1E_T6_T7_T9_mT8_S1G_bDpT10_ENKUlT_T0_E_clISt17integral_constantIbLb1EES1T_IbLb0EEEEDaS1P_S1Q_EUlS1P_E_NS1_11comp_targetILNS1_3genE10ELNS1_11target_archE1200ELNS1_3gpuE4ELNS1_3repE0EEENS1_30default_config_static_selectorELNS0_4arch9wavefront6targetE0EEEvS12_,comdat
.Lfunc_end142:
	.size	_ZN7rocprim17ROCPRIM_400000_NS6detail17trampoline_kernelINS0_13select_configILj256ELj13ELNS0_17block_load_methodE3ELS4_3ELS4_3ELNS0_20block_scan_algorithmE0ELj4294967295EEENS1_25partition_config_selectorILNS1_17partition_subalgoE4EjNS0_10empty_typeEbEEZZNS1_14partition_implILS8_4ELb0ES6_15HIP_vector_typeIjLj2EENS0_17counting_iteratorIjlEEPS9_SG_NS0_5tupleIJPjSI_NS0_16reverse_iteratorISI_EEEEENSH_IJSG_SG_SG_EEES9_SI_JZNS1_25segmented_radix_sort_implINS0_14default_configELb0EPKhPhPKlPlN2at6native12_GLOBAL__N_18offset_tEEE10hipError_tPvRmT1_PNSt15iterator_traitsIS12_E10value_typeET2_T3_PNS13_IS18_E10value_typeET4_jRbjT5_S1E_jjP12ihipStream_tbEUljE_ZNSN_ISO_Lb0ESQ_SR_ST_SU_SY_EESZ_S10_S11_S12_S16_S17_S18_S1B_S1C_jS1D_jS1E_S1E_jjS1G_bEUljE0_EEESZ_S10_S11_S18_S1C_S1E_T6_T7_T9_mT8_S1G_bDpT10_ENKUlT_T0_E_clISt17integral_constantIbLb1EES1T_IbLb0EEEEDaS1P_S1Q_EUlS1P_E_NS1_11comp_targetILNS1_3genE10ELNS1_11target_archE1200ELNS1_3gpuE4ELNS1_3repE0EEENS1_30default_config_static_selectorELNS0_4arch9wavefront6targetE0EEEvS12_, .Lfunc_end142-_ZN7rocprim17ROCPRIM_400000_NS6detail17trampoline_kernelINS0_13select_configILj256ELj13ELNS0_17block_load_methodE3ELS4_3ELS4_3ELNS0_20block_scan_algorithmE0ELj4294967295EEENS1_25partition_config_selectorILNS1_17partition_subalgoE4EjNS0_10empty_typeEbEEZZNS1_14partition_implILS8_4ELb0ES6_15HIP_vector_typeIjLj2EENS0_17counting_iteratorIjlEEPS9_SG_NS0_5tupleIJPjSI_NS0_16reverse_iteratorISI_EEEEENSH_IJSG_SG_SG_EEES9_SI_JZNS1_25segmented_radix_sort_implINS0_14default_configELb0EPKhPhPKlPlN2at6native12_GLOBAL__N_18offset_tEEE10hipError_tPvRmT1_PNSt15iterator_traitsIS12_E10value_typeET2_T3_PNS13_IS18_E10value_typeET4_jRbjT5_S1E_jjP12ihipStream_tbEUljE_ZNSN_ISO_Lb0ESQ_SR_ST_SU_SY_EESZ_S10_S11_S12_S16_S17_S18_S1B_S1C_jS1D_jS1E_S1E_jjS1G_bEUljE0_EEESZ_S10_S11_S18_S1C_S1E_T6_T7_T9_mT8_S1G_bDpT10_ENKUlT_T0_E_clISt17integral_constantIbLb1EES1T_IbLb0EEEEDaS1P_S1Q_EUlS1P_E_NS1_11comp_targetILNS1_3genE10ELNS1_11target_archE1200ELNS1_3gpuE4ELNS1_3repE0EEENS1_30default_config_static_selectorELNS0_4arch9wavefront6targetE0EEEvS12_
                                        ; -- End function
	.set _ZN7rocprim17ROCPRIM_400000_NS6detail17trampoline_kernelINS0_13select_configILj256ELj13ELNS0_17block_load_methodE3ELS4_3ELS4_3ELNS0_20block_scan_algorithmE0ELj4294967295EEENS1_25partition_config_selectorILNS1_17partition_subalgoE4EjNS0_10empty_typeEbEEZZNS1_14partition_implILS8_4ELb0ES6_15HIP_vector_typeIjLj2EENS0_17counting_iteratorIjlEEPS9_SG_NS0_5tupleIJPjSI_NS0_16reverse_iteratorISI_EEEEENSH_IJSG_SG_SG_EEES9_SI_JZNS1_25segmented_radix_sort_implINS0_14default_configELb0EPKhPhPKlPlN2at6native12_GLOBAL__N_18offset_tEEE10hipError_tPvRmT1_PNSt15iterator_traitsIS12_E10value_typeET2_T3_PNS13_IS18_E10value_typeET4_jRbjT5_S1E_jjP12ihipStream_tbEUljE_ZNSN_ISO_Lb0ESQ_SR_ST_SU_SY_EESZ_S10_S11_S12_S16_S17_S18_S1B_S1C_jS1D_jS1E_S1E_jjS1G_bEUljE0_EEESZ_S10_S11_S18_S1C_S1E_T6_T7_T9_mT8_S1G_bDpT10_ENKUlT_T0_E_clISt17integral_constantIbLb1EES1T_IbLb0EEEEDaS1P_S1Q_EUlS1P_E_NS1_11comp_targetILNS1_3genE10ELNS1_11target_archE1200ELNS1_3gpuE4ELNS1_3repE0EEENS1_30default_config_static_selectorELNS0_4arch9wavefront6targetE0EEEvS12_.num_vgpr, 0
	.set _ZN7rocprim17ROCPRIM_400000_NS6detail17trampoline_kernelINS0_13select_configILj256ELj13ELNS0_17block_load_methodE3ELS4_3ELS4_3ELNS0_20block_scan_algorithmE0ELj4294967295EEENS1_25partition_config_selectorILNS1_17partition_subalgoE4EjNS0_10empty_typeEbEEZZNS1_14partition_implILS8_4ELb0ES6_15HIP_vector_typeIjLj2EENS0_17counting_iteratorIjlEEPS9_SG_NS0_5tupleIJPjSI_NS0_16reverse_iteratorISI_EEEEENSH_IJSG_SG_SG_EEES9_SI_JZNS1_25segmented_radix_sort_implINS0_14default_configELb0EPKhPhPKlPlN2at6native12_GLOBAL__N_18offset_tEEE10hipError_tPvRmT1_PNSt15iterator_traitsIS12_E10value_typeET2_T3_PNS13_IS18_E10value_typeET4_jRbjT5_S1E_jjP12ihipStream_tbEUljE_ZNSN_ISO_Lb0ESQ_SR_ST_SU_SY_EESZ_S10_S11_S12_S16_S17_S18_S1B_S1C_jS1D_jS1E_S1E_jjS1G_bEUljE0_EEESZ_S10_S11_S18_S1C_S1E_T6_T7_T9_mT8_S1G_bDpT10_ENKUlT_T0_E_clISt17integral_constantIbLb1EES1T_IbLb0EEEEDaS1P_S1Q_EUlS1P_E_NS1_11comp_targetILNS1_3genE10ELNS1_11target_archE1200ELNS1_3gpuE4ELNS1_3repE0EEENS1_30default_config_static_selectorELNS0_4arch9wavefront6targetE0EEEvS12_.num_agpr, 0
	.set _ZN7rocprim17ROCPRIM_400000_NS6detail17trampoline_kernelINS0_13select_configILj256ELj13ELNS0_17block_load_methodE3ELS4_3ELS4_3ELNS0_20block_scan_algorithmE0ELj4294967295EEENS1_25partition_config_selectorILNS1_17partition_subalgoE4EjNS0_10empty_typeEbEEZZNS1_14partition_implILS8_4ELb0ES6_15HIP_vector_typeIjLj2EENS0_17counting_iteratorIjlEEPS9_SG_NS0_5tupleIJPjSI_NS0_16reverse_iteratorISI_EEEEENSH_IJSG_SG_SG_EEES9_SI_JZNS1_25segmented_radix_sort_implINS0_14default_configELb0EPKhPhPKlPlN2at6native12_GLOBAL__N_18offset_tEEE10hipError_tPvRmT1_PNSt15iterator_traitsIS12_E10value_typeET2_T3_PNS13_IS18_E10value_typeET4_jRbjT5_S1E_jjP12ihipStream_tbEUljE_ZNSN_ISO_Lb0ESQ_SR_ST_SU_SY_EESZ_S10_S11_S12_S16_S17_S18_S1B_S1C_jS1D_jS1E_S1E_jjS1G_bEUljE0_EEESZ_S10_S11_S18_S1C_S1E_T6_T7_T9_mT8_S1G_bDpT10_ENKUlT_T0_E_clISt17integral_constantIbLb1EES1T_IbLb0EEEEDaS1P_S1Q_EUlS1P_E_NS1_11comp_targetILNS1_3genE10ELNS1_11target_archE1200ELNS1_3gpuE4ELNS1_3repE0EEENS1_30default_config_static_selectorELNS0_4arch9wavefront6targetE0EEEvS12_.numbered_sgpr, 0
	.set _ZN7rocprim17ROCPRIM_400000_NS6detail17trampoline_kernelINS0_13select_configILj256ELj13ELNS0_17block_load_methodE3ELS4_3ELS4_3ELNS0_20block_scan_algorithmE0ELj4294967295EEENS1_25partition_config_selectorILNS1_17partition_subalgoE4EjNS0_10empty_typeEbEEZZNS1_14partition_implILS8_4ELb0ES6_15HIP_vector_typeIjLj2EENS0_17counting_iteratorIjlEEPS9_SG_NS0_5tupleIJPjSI_NS0_16reverse_iteratorISI_EEEEENSH_IJSG_SG_SG_EEES9_SI_JZNS1_25segmented_radix_sort_implINS0_14default_configELb0EPKhPhPKlPlN2at6native12_GLOBAL__N_18offset_tEEE10hipError_tPvRmT1_PNSt15iterator_traitsIS12_E10value_typeET2_T3_PNS13_IS18_E10value_typeET4_jRbjT5_S1E_jjP12ihipStream_tbEUljE_ZNSN_ISO_Lb0ESQ_SR_ST_SU_SY_EESZ_S10_S11_S12_S16_S17_S18_S1B_S1C_jS1D_jS1E_S1E_jjS1G_bEUljE0_EEESZ_S10_S11_S18_S1C_S1E_T6_T7_T9_mT8_S1G_bDpT10_ENKUlT_T0_E_clISt17integral_constantIbLb1EES1T_IbLb0EEEEDaS1P_S1Q_EUlS1P_E_NS1_11comp_targetILNS1_3genE10ELNS1_11target_archE1200ELNS1_3gpuE4ELNS1_3repE0EEENS1_30default_config_static_selectorELNS0_4arch9wavefront6targetE0EEEvS12_.num_named_barrier, 0
	.set _ZN7rocprim17ROCPRIM_400000_NS6detail17trampoline_kernelINS0_13select_configILj256ELj13ELNS0_17block_load_methodE3ELS4_3ELS4_3ELNS0_20block_scan_algorithmE0ELj4294967295EEENS1_25partition_config_selectorILNS1_17partition_subalgoE4EjNS0_10empty_typeEbEEZZNS1_14partition_implILS8_4ELb0ES6_15HIP_vector_typeIjLj2EENS0_17counting_iteratorIjlEEPS9_SG_NS0_5tupleIJPjSI_NS0_16reverse_iteratorISI_EEEEENSH_IJSG_SG_SG_EEES9_SI_JZNS1_25segmented_radix_sort_implINS0_14default_configELb0EPKhPhPKlPlN2at6native12_GLOBAL__N_18offset_tEEE10hipError_tPvRmT1_PNSt15iterator_traitsIS12_E10value_typeET2_T3_PNS13_IS18_E10value_typeET4_jRbjT5_S1E_jjP12ihipStream_tbEUljE_ZNSN_ISO_Lb0ESQ_SR_ST_SU_SY_EESZ_S10_S11_S12_S16_S17_S18_S1B_S1C_jS1D_jS1E_S1E_jjS1G_bEUljE0_EEESZ_S10_S11_S18_S1C_S1E_T6_T7_T9_mT8_S1G_bDpT10_ENKUlT_T0_E_clISt17integral_constantIbLb1EES1T_IbLb0EEEEDaS1P_S1Q_EUlS1P_E_NS1_11comp_targetILNS1_3genE10ELNS1_11target_archE1200ELNS1_3gpuE4ELNS1_3repE0EEENS1_30default_config_static_selectorELNS0_4arch9wavefront6targetE0EEEvS12_.private_seg_size, 0
	.set _ZN7rocprim17ROCPRIM_400000_NS6detail17trampoline_kernelINS0_13select_configILj256ELj13ELNS0_17block_load_methodE3ELS4_3ELS4_3ELNS0_20block_scan_algorithmE0ELj4294967295EEENS1_25partition_config_selectorILNS1_17partition_subalgoE4EjNS0_10empty_typeEbEEZZNS1_14partition_implILS8_4ELb0ES6_15HIP_vector_typeIjLj2EENS0_17counting_iteratorIjlEEPS9_SG_NS0_5tupleIJPjSI_NS0_16reverse_iteratorISI_EEEEENSH_IJSG_SG_SG_EEES9_SI_JZNS1_25segmented_radix_sort_implINS0_14default_configELb0EPKhPhPKlPlN2at6native12_GLOBAL__N_18offset_tEEE10hipError_tPvRmT1_PNSt15iterator_traitsIS12_E10value_typeET2_T3_PNS13_IS18_E10value_typeET4_jRbjT5_S1E_jjP12ihipStream_tbEUljE_ZNSN_ISO_Lb0ESQ_SR_ST_SU_SY_EESZ_S10_S11_S12_S16_S17_S18_S1B_S1C_jS1D_jS1E_S1E_jjS1G_bEUljE0_EEESZ_S10_S11_S18_S1C_S1E_T6_T7_T9_mT8_S1G_bDpT10_ENKUlT_T0_E_clISt17integral_constantIbLb1EES1T_IbLb0EEEEDaS1P_S1Q_EUlS1P_E_NS1_11comp_targetILNS1_3genE10ELNS1_11target_archE1200ELNS1_3gpuE4ELNS1_3repE0EEENS1_30default_config_static_selectorELNS0_4arch9wavefront6targetE0EEEvS12_.uses_vcc, 0
	.set _ZN7rocprim17ROCPRIM_400000_NS6detail17trampoline_kernelINS0_13select_configILj256ELj13ELNS0_17block_load_methodE3ELS4_3ELS4_3ELNS0_20block_scan_algorithmE0ELj4294967295EEENS1_25partition_config_selectorILNS1_17partition_subalgoE4EjNS0_10empty_typeEbEEZZNS1_14partition_implILS8_4ELb0ES6_15HIP_vector_typeIjLj2EENS0_17counting_iteratorIjlEEPS9_SG_NS0_5tupleIJPjSI_NS0_16reverse_iteratorISI_EEEEENSH_IJSG_SG_SG_EEES9_SI_JZNS1_25segmented_radix_sort_implINS0_14default_configELb0EPKhPhPKlPlN2at6native12_GLOBAL__N_18offset_tEEE10hipError_tPvRmT1_PNSt15iterator_traitsIS12_E10value_typeET2_T3_PNS13_IS18_E10value_typeET4_jRbjT5_S1E_jjP12ihipStream_tbEUljE_ZNSN_ISO_Lb0ESQ_SR_ST_SU_SY_EESZ_S10_S11_S12_S16_S17_S18_S1B_S1C_jS1D_jS1E_S1E_jjS1G_bEUljE0_EEESZ_S10_S11_S18_S1C_S1E_T6_T7_T9_mT8_S1G_bDpT10_ENKUlT_T0_E_clISt17integral_constantIbLb1EES1T_IbLb0EEEEDaS1P_S1Q_EUlS1P_E_NS1_11comp_targetILNS1_3genE10ELNS1_11target_archE1200ELNS1_3gpuE4ELNS1_3repE0EEENS1_30default_config_static_selectorELNS0_4arch9wavefront6targetE0EEEvS12_.uses_flat_scratch, 0
	.set _ZN7rocprim17ROCPRIM_400000_NS6detail17trampoline_kernelINS0_13select_configILj256ELj13ELNS0_17block_load_methodE3ELS4_3ELS4_3ELNS0_20block_scan_algorithmE0ELj4294967295EEENS1_25partition_config_selectorILNS1_17partition_subalgoE4EjNS0_10empty_typeEbEEZZNS1_14partition_implILS8_4ELb0ES6_15HIP_vector_typeIjLj2EENS0_17counting_iteratorIjlEEPS9_SG_NS0_5tupleIJPjSI_NS0_16reverse_iteratorISI_EEEEENSH_IJSG_SG_SG_EEES9_SI_JZNS1_25segmented_radix_sort_implINS0_14default_configELb0EPKhPhPKlPlN2at6native12_GLOBAL__N_18offset_tEEE10hipError_tPvRmT1_PNSt15iterator_traitsIS12_E10value_typeET2_T3_PNS13_IS18_E10value_typeET4_jRbjT5_S1E_jjP12ihipStream_tbEUljE_ZNSN_ISO_Lb0ESQ_SR_ST_SU_SY_EESZ_S10_S11_S12_S16_S17_S18_S1B_S1C_jS1D_jS1E_S1E_jjS1G_bEUljE0_EEESZ_S10_S11_S18_S1C_S1E_T6_T7_T9_mT8_S1G_bDpT10_ENKUlT_T0_E_clISt17integral_constantIbLb1EES1T_IbLb0EEEEDaS1P_S1Q_EUlS1P_E_NS1_11comp_targetILNS1_3genE10ELNS1_11target_archE1200ELNS1_3gpuE4ELNS1_3repE0EEENS1_30default_config_static_selectorELNS0_4arch9wavefront6targetE0EEEvS12_.has_dyn_sized_stack, 0
	.set _ZN7rocprim17ROCPRIM_400000_NS6detail17trampoline_kernelINS0_13select_configILj256ELj13ELNS0_17block_load_methodE3ELS4_3ELS4_3ELNS0_20block_scan_algorithmE0ELj4294967295EEENS1_25partition_config_selectorILNS1_17partition_subalgoE4EjNS0_10empty_typeEbEEZZNS1_14partition_implILS8_4ELb0ES6_15HIP_vector_typeIjLj2EENS0_17counting_iteratorIjlEEPS9_SG_NS0_5tupleIJPjSI_NS0_16reverse_iteratorISI_EEEEENSH_IJSG_SG_SG_EEES9_SI_JZNS1_25segmented_radix_sort_implINS0_14default_configELb0EPKhPhPKlPlN2at6native12_GLOBAL__N_18offset_tEEE10hipError_tPvRmT1_PNSt15iterator_traitsIS12_E10value_typeET2_T3_PNS13_IS18_E10value_typeET4_jRbjT5_S1E_jjP12ihipStream_tbEUljE_ZNSN_ISO_Lb0ESQ_SR_ST_SU_SY_EESZ_S10_S11_S12_S16_S17_S18_S1B_S1C_jS1D_jS1E_S1E_jjS1G_bEUljE0_EEESZ_S10_S11_S18_S1C_S1E_T6_T7_T9_mT8_S1G_bDpT10_ENKUlT_T0_E_clISt17integral_constantIbLb1EES1T_IbLb0EEEEDaS1P_S1Q_EUlS1P_E_NS1_11comp_targetILNS1_3genE10ELNS1_11target_archE1200ELNS1_3gpuE4ELNS1_3repE0EEENS1_30default_config_static_selectorELNS0_4arch9wavefront6targetE0EEEvS12_.has_recursion, 0
	.set _ZN7rocprim17ROCPRIM_400000_NS6detail17trampoline_kernelINS0_13select_configILj256ELj13ELNS0_17block_load_methodE3ELS4_3ELS4_3ELNS0_20block_scan_algorithmE0ELj4294967295EEENS1_25partition_config_selectorILNS1_17partition_subalgoE4EjNS0_10empty_typeEbEEZZNS1_14partition_implILS8_4ELb0ES6_15HIP_vector_typeIjLj2EENS0_17counting_iteratorIjlEEPS9_SG_NS0_5tupleIJPjSI_NS0_16reverse_iteratorISI_EEEEENSH_IJSG_SG_SG_EEES9_SI_JZNS1_25segmented_radix_sort_implINS0_14default_configELb0EPKhPhPKlPlN2at6native12_GLOBAL__N_18offset_tEEE10hipError_tPvRmT1_PNSt15iterator_traitsIS12_E10value_typeET2_T3_PNS13_IS18_E10value_typeET4_jRbjT5_S1E_jjP12ihipStream_tbEUljE_ZNSN_ISO_Lb0ESQ_SR_ST_SU_SY_EESZ_S10_S11_S12_S16_S17_S18_S1B_S1C_jS1D_jS1E_S1E_jjS1G_bEUljE0_EEESZ_S10_S11_S18_S1C_S1E_T6_T7_T9_mT8_S1G_bDpT10_ENKUlT_T0_E_clISt17integral_constantIbLb1EES1T_IbLb0EEEEDaS1P_S1Q_EUlS1P_E_NS1_11comp_targetILNS1_3genE10ELNS1_11target_archE1200ELNS1_3gpuE4ELNS1_3repE0EEENS1_30default_config_static_selectorELNS0_4arch9wavefront6targetE0EEEvS12_.has_indirect_call, 0
	.section	.AMDGPU.csdata,"",@progbits
; Kernel info:
; codeLenInByte = 0
; TotalNumSgprs: 0
; NumVgprs: 0
; ScratchSize: 0
; MemoryBound: 0
; FloatMode: 240
; IeeeMode: 1
; LDSByteSize: 0 bytes/workgroup (compile time only)
; SGPRBlocks: 0
; VGPRBlocks: 0
; NumSGPRsForWavesPerEU: 1
; NumVGPRsForWavesPerEU: 1
; Occupancy: 16
; WaveLimiterHint : 0
; COMPUTE_PGM_RSRC2:SCRATCH_EN: 0
; COMPUTE_PGM_RSRC2:USER_SGPR: 6
; COMPUTE_PGM_RSRC2:TRAP_HANDLER: 0
; COMPUTE_PGM_RSRC2:TGID_X_EN: 1
; COMPUTE_PGM_RSRC2:TGID_Y_EN: 0
; COMPUTE_PGM_RSRC2:TGID_Z_EN: 0
; COMPUTE_PGM_RSRC2:TIDIG_COMP_CNT: 0
	.section	.text._ZN7rocprim17ROCPRIM_400000_NS6detail17trampoline_kernelINS0_13select_configILj256ELj13ELNS0_17block_load_methodE3ELS4_3ELS4_3ELNS0_20block_scan_algorithmE0ELj4294967295EEENS1_25partition_config_selectorILNS1_17partition_subalgoE4EjNS0_10empty_typeEbEEZZNS1_14partition_implILS8_4ELb0ES6_15HIP_vector_typeIjLj2EENS0_17counting_iteratorIjlEEPS9_SG_NS0_5tupleIJPjSI_NS0_16reverse_iteratorISI_EEEEENSH_IJSG_SG_SG_EEES9_SI_JZNS1_25segmented_radix_sort_implINS0_14default_configELb0EPKhPhPKlPlN2at6native12_GLOBAL__N_18offset_tEEE10hipError_tPvRmT1_PNSt15iterator_traitsIS12_E10value_typeET2_T3_PNS13_IS18_E10value_typeET4_jRbjT5_S1E_jjP12ihipStream_tbEUljE_ZNSN_ISO_Lb0ESQ_SR_ST_SU_SY_EESZ_S10_S11_S12_S16_S17_S18_S1B_S1C_jS1D_jS1E_S1E_jjS1G_bEUljE0_EEESZ_S10_S11_S18_S1C_S1E_T6_T7_T9_mT8_S1G_bDpT10_ENKUlT_T0_E_clISt17integral_constantIbLb1EES1T_IbLb0EEEEDaS1P_S1Q_EUlS1P_E_NS1_11comp_targetILNS1_3genE9ELNS1_11target_archE1100ELNS1_3gpuE3ELNS1_3repE0EEENS1_30default_config_static_selectorELNS0_4arch9wavefront6targetE0EEEvS12_,"axG",@progbits,_ZN7rocprim17ROCPRIM_400000_NS6detail17trampoline_kernelINS0_13select_configILj256ELj13ELNS0_17block_load_methodE3ELS4_3ELS4_3ELNS0_20block_scan_algorithmE0ELj4294967295EEENS1_25partition_config_selectorILNS1_17partition_subalgoE4EjNS0_10empty_typeEbEEZZNS1_14partition_implILS8_4ELb0ES6_15HIP_vector_typeIjLj2EENS0_17counting_iteratorIjlEEPS9_SG_NS0_5tupleIJPjSI_NS0_16reverse_iteratorISI_EEEEENSH_IJSG_SG_SG_EEES9_SI_JZNS1_25segmented_radix_sort_implINS0_14default_configELb0EPKhPhPKlPlN2at6native12_GLOBAL__N_18offset_tEEE10hipError_tPvRmT1_PNSt15iterator_traitsIS12_E10value_typeET2_T3_PNS13_IS18_E10value_typeET4_jRbjT5_S1E_jjP12ihipStream_tbEUljE_ZNSN_ISO_Lb0ESQ_SR_ST_SU_SY_EESZ_S10_S11_S12_S16_S17_S18_S1B_S1C_jS1D_jS1E_S1E_jjS1G_bEUljE0_EEESZ_S10_S11_S18_S1C_S1E_T6_T7_T9_mT8_S1G_bDpT10_ENKUlT_T0_E_clISt17integral_constantIbLb1EES1T_IbLb0EEEEDaS1P_S1Q_EUlS1P_E_NS1_11comp_targetILNS1_3genE9ELNS1_11target_archE1100ELNS1_3gpuE3ELNS1_3repE0EEENS1_30default_config_static_selectorELNS0_4arch9wavefront6targetE0EEEvS12_,comdat
	.globl	_ZN7rocprim17ROCPRIM_400000_NS6detail17trampoline_kernelINS0_13select_configILj256ELj13ELNS0_17block_load_methodE3ELS4_3ELS4_3ELNS0_20block_scan_algorithmE0ELj4294967295EEENS1_25partition_config_selectorILNS1_17partition_subalgoE4EjNS0_10empty_typeEbEEZZNS1_14partition_implILS8_4ELb0ES6_15HIP_vector_typeIjLj2EENS0_17counting_iteratorIjlEEPS9_SG_NS0_5tupleIJPjSI_NS0_16reverse_iteratorISI_EEEEENSH_IJSG_SG_SG_EEES9_SI_JZNS1_25segmented_radix_sort_implINS0_14default_configELb0EPKhPhPKlPlN2at6native12_GLOBAL__N_18offset_tEEE10hipError_tPvRmT1_PNSt15iterator_traitsIS12_E10value_typeET2_T3_PNS13_IS18_E10value_typeET4_jRbjT5_S1E_jjP12ihipStream_tbEUljE_ZNSN_ISO_Lb0ESQ_SR_ST_SU_SY_EESZ_S10_S11_S12_S16_S17_S18_S1B_S1C_jS1D_jS1E_S1E_jjS1G_bEUljE0_EEESZ_S10_S11_S18_S1C_S1E_T6_T7_T9_mT8_S1G_bDpT10_ENKUlT_T0_E_clISt17integral_constantIbLb1EES1T_IbLb0EEEEDaS1P_S1Q_EUlS1P_E_NS1_11comp_targetILNS1_3genE9ELNS1_11target_archE1100ELNS1_3gpuE3ELNS1_3repE0EEENS1_30default_config_static_selectorELNS0_4arch9wavefront6targetE0EEEvS12_ ; -- Begin function _ZN7rocprim17ROCPRIM_400000_NS6detail17trampoline_kernelINS0_13select_configILj256ELj13ELNS0_17block_load_methodE3ELS4_3ELS4_3ELNS0_20block_scan_algorithmE0ELj4294967295EEENS1_25partition_config_selectorILNS1_17partition_subalgoE4EjNS0_10empty_typeEbEEZZNS1_14partition_implILS8_4ELb0ES6_15HIP_vector_typeIjLj2EENS0_17counting_iteratorIjlEEPS9_SG_NS0_5tupleIJPjSI_NS0_16reverse_iteratorISI_EEEEENSH_IJSG_SG_SG_EEES9_SI_JZNS1_25segmented_radix_sort_implINS0_14default_configELb0EPKhPhPKlPlN2at6native12_GLOBAL__N_18offset_tEEE10hipError_tPvRmT1_PNSt15iterator_traitsIS12_E10value_typeET2_T3_PNS13_IS18_E10value_typeET4_jRbjT5_S1E_jjP12ihipStream_tbEUljE_ZNSN_ISO_Lb0ESQ_SR_ST_SU_SY_EESZ_S10_S11_S12_S16_S17_S18_S1B_S1C_jS1D_jS1E_S1E_jjS1G_bEUljE0_EEESZ_S10_S11_S18_S1C_S1E_T6_T7_T9_mT8_S1G_bDpT10_ENKUlT_T0_E_clISt17integral_constantIbLb1EES1T_IbLb0EEEEDaS1P_S1Q_EUlS1P_E_NS1_11comp_targetILNS1_3genE9ELNS1_11target_archE1100ELNS1_3gpuE3ELNS1_3repE0EEENS1_30default_config_static_selectorELNS0_4arch9wavefront6targetE0EEEvS12_
	.p2align	8
	.type	_ZN7rocprim17ROCPRIM_400000_NS6detail17trampoline_kernelINS0_13select_configILj256ELj13ELNS0_17block_load_methodE3ELS4_3ELS4_3ELNS0_20block_scan_algorithmE0ELj4294967295EEENS1_25partition_config_selectorILNS1_17partition_subalgoE4EjNS0_10empty_typeEbEEZZNS1_14partition_implILS8_4ELb0ES6_15HIP_vector_typeIjLj2EENS0_17counting_iteratorIjlEEPS9_SG_NS0_5tupleIJPjSI_NS0_16reverse_iteratorISI_EEEEENSH_IJSG_SG_SG_EEES9_SI_JZNS1_25segmented_radix_sort_implINS0_14default_configELb0EPKhPhPKlPlN2at6native12_GLOBAL__N_18offset_tEEE10hipError_tPvRmT1_PNSt15iterator_traitsIS12_E10value_typeET2_T3_PNS13_IS18_E10value_typeET4_jRbjT5_S1E_jjP12ihipStream_tbEUljE_ZNSN_ISO_Lb0ESQ_SR_ST_SU_SY_EESZ_S10_S11_S12_S16_S17_S18_S1B_S1C_jS1D_jS1E_S1E_jjS1G_bEUljE0_EEESZ_S10_S11_S18_S1C_S1E_T6_T7_T9_mT8_S1G_bDpT10_ENKUlT_T0_E_clISt17integral_constantIbLb1EES1T_IbLb0EEEEDaS1P_S1Q_EUlS1P_E_NS1_11comp_targetILNS1_3genE9ELNS1_11target_archE1100ELNS1_3gpuE3ELNS1_3repE0EEENS1_30default_config_static_selectorELNS0_4arch9wavefront6targetE0EEEvS12_,@function
_ZN7rocprim17ROCPRIM_400000_NS6detail17trampoline_kernelINS0_13select_configILj256ELj13ELNS0_17block_load_methodE3ELS4_3ELS4_3ELNS0_20block_scan_algorithmE0ELj4294967295EEENS1_25partition_config_selectorILNS1_17partition_subalgoE4EjNS0_10empty_typeEbEEZZNS1_14partition_implILS8_4ELb0ES6_15HIP_vector_typeIjLj2EENS0_17counting_iteratorIjlEEPS9_SG_NS0_5tupleIJPjSI_NS0_16reverse_iteratorISI_EEEEENSH_IJSG_SG_SG_EEES9_SI_JZNS1_25segmented_radix_sort_implINS0_14default_configELb0EPKhPhPKlPlN2at6native12_GLOBAL__N_18offset_tEEE10hipError_tPvRmT1_PNSt15iterator_traitsIS12_E10value_typeET2_T3_PNS13_IS18_E10value_typeET4_jRbjT5_S1E_jjP12ihipStream_tbEUljE_ZNSN_ISO_Lb0ESQ_SR_ST_SU_SY_EESZ_S10_S11_S12_S16_S17_S18_S1B_S1C_jS1D_jS1E_S1E_jjS1G_bEUljE0_EEESZ_S10_S11_S18_S1C_S1E_T6_T7_T9_mT8_S1G_bDpT10_ENKUlT_T0_E_clISt17integral_constantIbLb1EES1T_IbLb0EEEEDaS1P_S1Q_EUlS1P_E_NS1_11comp_targetILNS1_3genE9ELNS1_11target_archE1100ELNS1_3gpuE3ELNS1_3repE0EEENS1_30default_config_static_selectorELNS0_4arch9wavefront6targetE0EEEvS12_: ; @_ZN7rocprim17ROCPRIM_400000_NS6detail17trampoline_kernelINS0_13select_configILj256ELj13ELNS0_17block_load_methodE3ELS4_3ELS4_3ELNS0_20block_scan_algorithmE0ELj4294967295EEENS1_25partition_config_selectorILNS1_17partition_subalgoE4EjNS0_10empty_typeEbEEZZNS1_14partition_implILS8_4ELb0ES6_15HIP_vector_typeIjLj2EENS0_17counting_iteratorIjlEEPS9_SG_NS0_5tupleIJPjSI_NS0_16reverse_iteratorISI_EEEEENSH_IJSG_SG_SG_EEES9_SI_JZNS1_25segmented_radix_sort_implINS0_14default_configELb0EPKhPhPKlPlN2at6native12_GLOBAL__N_18offset_tEEE10hipError_tPvRmT1_PNSt15iterator_traitsIS12_E10value_typeET2_T3_PNS13_IS18_E10value_typeET4_jRbjT5_S1E_jjP12ihipStream_tbEUljE_ZNSN_ISO_Lb0ESQ_SR_ST_SU_SY_EESZ_S10_S11_S12_S16_S17_S18_S1B_S1C_jS1D_jS1E_S1E_jjS1G_bEUljE0_EEESZ_S10_S11_S18_S1C_S1E_T6_T7_T9_mT8_S1G_bDpT10_ENKUlT_T0_E_clISt17integral_constantIbLb1EES1T_IbLb0EEEEDaS1P_S1Q_EUlS1P_E_NS1_11comp_targetILNS1_3genE9ELNS1_11target_archE1100ELNS1_3gpuE3ELNS1_3repE0EEENS1_30default_config_static_selectorELNS0_4arch9wavefront6targetE0EEEvS12_
; %bb.0:
	.section	.rodata,"a",@progbits
	.p2align	6, 0x0
	.amdhsa_kernel _ZN7rocprim17ROCPRIM_400000_NS6detail17trampoline_kernelINS0_13select_configILj256ELj13ELNS0_17block_load_methodE3ELS4_3ELS4_3ELNS0_20block_scan_algorithmE0ELj4294967295EEENS1_25partition_config_selectorILNS1_17partition_subalgoE4EjNS0_10empty_typeEbEEZZNS1_14partition_implILS8_4ELb0ES6_15HIP_vector_typeIjLj2EENS0_17counting_iteratorIjlEEPS9_SG_NS0_5tupleIJPjSI_NS0_16reverse_iteratorISI_EEEEENSH_IJSG_SG_SG_EEES9_SI_JZNS1_25segmented_radix_sort_implINS0_14default_configELb0EPKhPhPKlPlN2at6native12_GLOBAL__N_18offset_tEEE10hipError_tPvRmT1_PNSt15iterator_traitsIS12_E10value_typeET2_T3_PNS13_IS18_E10value_typeET4_jRbjT5_S1E_jjP12ihipStream_tbEUljE_ZNSN_ISO_Lb0ESQ_SR_ST_SU_SY_EESZ_S10_S11_S12_S16_S17_S18_S1B_S1C_jS1D_jS1E_S1E_jjS1G_bEUljE0_EEESZ_S10_S11_S18_S1C_S1E_T6_T7_T9_mT8_S1G_bDpT10_ENKUlT_T0_E_clISt17integral_constantIbLb1EES1T_IbLb0EEEEDaS1P_S1Q_EUlS1P_E_NS1_11comp_targetILNS1_3genE9ELNS1_11target_archE1100ELNS1_3gpuE3ELNS1_3repE0EEENS1_30default_config_static_selectorELNS0_4arch9wavefront6targetE0EEEvS12_
		.amdhsa_group_segment_fixed_size 0
		.amdhsa_private_segment_fixed_size 0
		.amdhsa_kernarg_size 176
		.amdhsa_user_sgpr_count 6
		.amdhsa_user_sgpr_private_segment_buffer 1
		.amdhsa_user_sgpr_dispatch_ptr 0
		.amdhsa_user_sgpr_queue_ptr 0
		.amdhsa_user_sgpr_kernarg_segment_ptr 1
		.amdhsa_user_sgpr_dispatch_id 0
		.amdhsa_user_sgpr_flat_scratch_init 0
		.amdhsa_user_sgpr_private_segment_size 0
		.amdhsa_wavefront_size32 1
		.amdhsa_uses_dynamic_stack 0
		.amdhsa_system_sgpr_private_segment_wavefront_offset 0
		.amdhsa_system_sgpr_workgroup_id_x 1
		.amdhsa_system_sgpr_workgroup_id_y 0
		.amdhsa_system_sgpr_workgroup_id_z 0
		.amdhsa_system_sgpr_workgroup_info 0
		.amdhsa_system_vgpr_workitem_id 0
		.amdhsa_next_free_vgpr 1
		.amdhsa_next_free_sgpr 1
		.amdhsa_reserve_vcc 0
		.amdhsa_reserve_flat_scratch 0
		.amdhsa_float_round_mode_32 0
		.amdhsa_float_round_mode_16_64 0
		.amdhsa_float_denorm_mode_32 3
		.amdhsa_float_denorm_mode_16_64 3
		.amdhsa_dx10_clamp 1
		.amdhsa_ieee_mode 1
		.amdhsa_fp16_overflow 0
		.amdhsa_workgroup_processor_mode 1
		.amdhsa_memory_ordered 1
		.amdhsa_forward_progress 1
		.amdhsa_shared_vgpr_count 0
		.amdhsa_exception_fp_ieee_invalid_op 0
		.amdhsa_exception_fp_denorm_src 0
		.amdhsa_exception_fp_ieee_div_zero 0
		.amdhsa_exception_fp_ieee_overflow 0
		.amdhsa_exception_fp_ieee_underflow 0
		.amdhsa_exception_fp_ieee_inexact 0
		.amdhsa_exception_int_div_zero 0
	.end_amdhsa_kernel
	.section	.text._ZN7rocprim17ROCPRIM_400000_NS6detail17trampoline_kernelINS0_13select_configILj256ELj13ELNS0_17block_load_methodE3ELS4_3ELS4_3ELNS0_20block_scan_algorithmE0ELj4294967295EEENS1_25partition_config_selectorILNS1_17partition_subalgoE4EjNS0_10empty_typeEbEEZZNS1_14partition_implILS8_4ELb0ES6_15HIP_vector_typeIjLj2EENS0_17counting_iteratorIjlEEPS9_SG_NS0_5tupleIJPjSI_NS0_16reverse_iteratorISI_EEEEENSH_IJSG_SG_SG_EEES9_SI_JZNS1_25segmented_radix_sort_implINS0_14default_configELb0EPKhPhPKlPlN2at6native12_GLOBAL__N_18offset_tEEE10hipError_tPvRmT1_PNSt15iterator_traitsIS12_E10value_typeET2_T3_PNS13_IS18_E10value_typeET4_jRbjT5_S1E_jjP12ihipStream_tbEUljE_ZNSN_ISO_Lb0ESQ_SR_ST_SU_SY_EESZ_S10_S11_S12_S16_S17_S18_S1B_S1C_jS1D_jS1E_S1E_jjS1G_bEUljE0_EEESZ_S10_S11_S18_S1C_S1E_T6_T7_T9_mT8_S1G_bDpT10_ENKUlT_T0_E_clISt17integral_constantIbLb1EES1T_IbLb0EEEEDaS1P_S1Q_EUlS1P_E_NS1_11comp_targetILNS1_3genE9ELNS1_11target_archE1100ELNS1_3gpuE3ELNS1_3repE0EEENS1_30default_config_static_selectorELNS0_4arch9wavefront6targetE0EEEvS12_,"axG",@progbits,_ZN7rocprim17ROCPRIM_400000_NS6detail17trampoline_kernelINS0_13select_configILj256ELj13ELNS0_17block_load_methodE3ELS4_3ELS4_3ELNS0_20block_scan_algorithmE0ELj4294967295EEENS1_25partition_config_selectorILNS1_17partition_subalgoE4EjNS0_10empty_typeEbEEZZNS1_14partition_implILS8_4ELb0ES6_15HIP_vector_typeIjLj2EENS0_17counting_iteratorIjlEEPS9_SG_NS0_5tupleIJPjSI_NS0_16reverse_iteratorISI_EEEEENSH_IJSG_SG_SG_EEES9_SI_JZNS1_25segmented_radix_sort_implINS0_14default_configELb0EPKhPhPKlPlN2at6native12_GLOBAL__N_18offset_tEEE10hipError_tPvRmT1_PNSt15iterator_traitsIS12_E10value_typeET2_T3_PNS13_IS18_E10value_typeET4_jRbjT5_S1E_jjP12ihipStream_tbEUljE_ZNSN_ISO_Lb0ESQ_SR_ST_SU_SY_EESZ_S10_S11_S12_S16_S17_S18_S1B_S1C_jS1D_jS1E_S1E_jjS1G_bEUljE0_EEESZ_S10_S11_S18_S1C_S1E_T6_T7_T9_mT8_S1G_bDpT10_ENKUlT_T0_E_clISt17integral_constantIbLb1EES1T_IbLb0EEEEDaS1P_S1Q_EUlS1P_E_NS1_11comp_targetILNS1_3genE9ELNS1_11target_archE1100ELNS1_3gpuE3ELNS1_3repE0EEENS1_30default_config_static_selectorELNS0_4arch9wavefront6targetE0EEEvS12_,comdat
.Lfunc_end143:
	.size	_ZN7rocprim17ROCPRIM_400000_NS6detail17trampoline_kernelINS0_13select_configILj256ELj13ELNS0_17block_load_methodE3ELS4_3ELS4_3ELNS0_20block_scan_algorithmE0ELj4294967295EEENS1_25partition_config_selectorILNS1_17partition_subalgoE4EjNS0_10empty_typeEbEEZZNS1_14partition_implILS8_4ELb0ES6_15HIP_vector_typeIjLj2EENS0_17counting_iteratorIjlEEPS9_SG_NS0_5tupleIJPjSI_NS0_16reverse_iteratorISI_EEEEENSH_IJSG_SG_SG_EEES9_SI_JZNS1_25segmented_radix_sort_implINS0_14default_configELb0EPKhPhPKlPlN2at6native12_GLOBAL__N_18offset_tEEE10hipError_tPvRmT1_PNSt15iterator_traitsIS12_E10value_typeET2_T3_PNS13_IS18_E10value_typeET4_jRbjT5_S1E_jjP12ihipStream_tbEUljE_ZNSN_ISO_Lb0ESQ_SR_ST_SU_SY_EESZ_S10_S11_S12_S16_S17_S18_S1B_S1C_jS1D_jS1E_S1E_jjS1G_bEUljE0_EEESZ_S10_S11_S18_S1C_S1E_T6_T7_T9_mT8_S1G_bDpT10_ENKUlT_T0_E_clISt17integral_constantIbLb1EES1T_IbLb0EEEEDaS1P_S1Q_EUlS1P_E_NS1_11comp_targetILNS1_3genE9ELNS1_11target_archE1100ELNS1_3gpuE3ELNS1_3repE0EEENS1_30default_config_static_selectorELNS0_4arch9wavefront6targetE0EEEvS12_, .Lfunc_end143-_ZN7rocprim17ROCPRIM_400000_NS6detail17trampoline_kernelINS0_13select_configILj256ELj13ELNS0_17block_load_methodE3ELS4_3ELS4_3ELNS0_20block_scan_algorithmE0ELj4294967295EEENS1_25partition_config_selectorILNS1_17partition_subalgoE4EjNS0_10empty_typeEbEEZZNS1_14partition_implILS8_4ELb0ES6_15HIP_vector_typeIjLj2EENS0_17counting_iteratorIjlEEPS9_SG_NS0_5tupleIJPjSI_NS0_16reverse_iteratorISI_EEEEENSH_IJSG_SG_SG_EEES9_SI_JZNS1_25segmented_radix_sort_implINS0_14default_configELb0EPKhPhPKlPlN2at6native12_GLOBAL__N_18offset_tEEE10hipError_tPvRmT1_PNSt15iterator_traitsIS12_E10value_typeET2_T3_PNS13_IS18_E10value_typeET4_jRbjT5_S1E_jjP12ihipStream_tbEUljE_ZNSN_ISO_Lb0ESQ_SR_ST_SU_SY_EESZ_S10_S11_S12_S16_S17_S18_S1B_S1C_jS1D_jS1E_S1E_jjS1G_bEUljE0_EEESZ_S10_S11_S18_S1C_S1E_T6_T7_T9_mT8_S1G_bDpT10_ENKUlT_T0_E_clISt17integral_constantIbLb1EES1T_IbLb0EEEEDaS1P_S1Q_EUlS1P_E_NS1_11comp_targetILNS1_3genE9ELNS1_11target_archE1100ELNS1_3gpuE3ELNS1_3repE0EEENS1_30default_config_static_selectorELNS0_4arch9wavefront6targetE0EEEvS12_
                                        ; -- End function
	.set _ZN7rocprim17ROCPRIM_400000_NS6detail17trampoline_kernelINS0_13select_configILj256ELj13ELNS0_17block_load_methodE3ELS4_3ELS4_3ELNS0_20block_scan_algorithmE0ELj4294967295EEENS1_25partition_config_selectorILNS1_17partition_subalgoE4EjNS0_10empty_typeEbEEZZNS1_14partition_implILS8_4ELb0ES6_15HIP_vector_typeIjLj2EENS0_17counting_iteratorIjlEEPS9_SG_NS0_5tupleIJPjSI_NS0_16reverse_iteratorISI_EEEEENSH_IJSG_SG_SG_EEES9_SI_JZNS1_25segmented_radix_sort_implINS0_14default_configELb0EPKhPhPKlPlN2at6native12_GLOBAL__N_18offset_tEEE10hipError_tPvRmT1_PNSt15iterator_traitsIS12_E10value_typeET2_T3_PNS13_IS18_E10value_typeET4_jRbjT5_S1E_jjP12ihipStream_tbEUljE_ZNSN_ISO_Lb0ESQ_SR_ST_SU_SY_EESZ_S10_S11_S12_S16_S17_S18_S1B_S1C_jS1D_jS1E_S1E_jjS1G_bEUljE0_EEESZ_S10_S11_S18_S1C_S1E_T6_T7_T9_mT8_S1G_bDpT10_ENKUlT_T0_E_clISt17integral_constantIbLb1EES1T_IbLb0EEEEDaS1P_S1Q_EUlS1P_E_NS1_11comp_targetILNS1_3genE9ELNS1_11target_archE1100ELNS1_3gpuE3ELNS1_3repE0EEENS1_30default_config_static_selectorELNS0_4arch9wavefront6targetE0EEEvS12_.num_vgpr, 0
	.set _ZN7rocprim17ROCPRIM_400000_NS6detail17trampoline_kernelINS0_13select_configILj256ELj13ELNS0_17block_load_methodE3ELS4_3ELS4_3ELNS0_20block_scan_algorithmE0ELj4294967295EEENS1_25partition_config_selectorILNS1_17partition_subalgoE4EjNS0_10empty_typeEbEEZZNS1_14partition_implILS8_4ELb0ES6_15HIP_vector_typeIjLj2EENS0_17counting_iteratorIjlEEPS9_SG_NS0_5tupleIJPjSI_NS0_16reverse_iteratorISI_EEEEENSH_IJSG_SG_SG_EEES9_SI_JZNS1_25segmented_radix_sort_implINS0_14default_configELb0EPKhPhPKlPlN2at6native12_GLOBAL__N_18offset_tEEE10hipError_tPvRmT1_PNSt15iterator_traitsIS12_E10value_typeET2_T3_PNS13_IS18_E10value_typeET4_jRbjT5_S1E_jjP12ihipStream_tbEUljE_ZNSN_ISO_Lb0ESQ_SR_ST_SU_SY_EESZ_S10_S11_S12_S16_S17_S18_S1B_S1C_jS1D_jS1E_S1E_jjS1G_bEUljE0_EEESZ_S10_S11_S18_S1C_S1E_T6_T7_T9_mT8_S1G_bDpT10_ENKUlT_T0_E_clISt17integral_constantIbLb1EES1T_IbLb0EEEEDaS1P_S1Q_EUlS1P_E_NS1_11comp_targetILNS1_3genE9ELNS1_11target_archE1100ELNS1_3gpuE3ELNS1_3repE0EEENS1_30default_config_static_selectorELNS0_4arch9wavefront6targetE0EEEvS12_.num_agpr, 0
	.set _ZN7rocprim17ROCPRIM_400000_NS6detail17trampoline_kernelINS0_13select_configILj256ELj13ELNS0_17block_load_methodE3ELS4_3ELS4_3ELNS0_20block_scan_algorithmE0ELj4294967295EEENS1_25partition_config_selectorILNS1_17partition_subalgoE4EjNS0_10empty_typeEbEEZZNS1_14partition_implILS8_4ELb0ES6_15HIP_vector_typeIjLj2EENS0_17counting_iteratorIjlEEPS9_SG_NS0_5tupleIJPjSI_NS0_16reverse_iteratorISI_EEEEENSH_IJSG_SG_SG_EEES9_SI_JZNS1_25segmented_radix_sort_implINS0_14default_configELb0EPKhPhPKlPlN2at6native12_GLOBAL__N_18offset_tEEE10hipError_tPvRmT1_PNSt15iterator_traitsIS12_E10value_typeET2_T3_PNS13_IS18_E10value_typeET4_jRbjT5_S1E_jjP12ihipStream_tbEUljE_ZNSN_ISO_Lb0ESQ_SR_ST_SU_SY_EESZ_S10_S11_S12_S16_S17_S18_S1B_S1C_jS1D_jS1E_S1E_jjS1G_bEUljE0_EEESZ_S10_S11_S18_S1C_S1E_T6_T7_T9_mT8_S1G_bDpT10_ENKUlT_T0_E_clISt17integral_constantIbLb1EES1T_IbLb0EEEEDaS1P_S1Q_EUlS1P_E_NS1_11comp_targetILNS1_3genE9ELNS1_11target_archE1100ELNS1_3gpuE3ELNS1_3repE0EEENS1_30default_config_static_selectorELNS0_4arch9wavefront6targetE0EEEvS12_.numbered_sgpr, 0
	.set _ZN7rocprim17ROCPRIM_400000_NS6detail17trampoline_kernelINS0_13select_configILj256ELj13ELNS0_17block_load_methodE3ELS4_3ELS4_3ELNS0_20block_scan_algorithmE0ELj4294967295EEENS1_25partition_config_selectorILNS1_17partition_subalgoE4EjNS0_10empty_typeEbEEZZNS1_14partition_implILS8_4ELb0ES6_15HIP_vector_typeIjLj2EENS0_17counting_iteratorIjlEEPS9_SG_NS0_5tupleIJPjSI_NS0_16reverse_iteratorISI_EEEEENSH_IJSG_SG_SG_EEES9_SI_JZNS1_25segmented_radix_sort_implINS0_14default_configELb0EPKhPhPKlPlN2at6native12_GLOBAL__N_18offset_tEEE10hipError_tPvRmT1_PNSt15iterator_traitsIS12_E10value_typeET2_T3_PNS13_IS18_E10value_typeET4_jRbjT5_S1E_jjP12ihipStream_tbEUljE_ZNSN_ISO_Lb0ESQ_SR_ST_SU_SY_EESZ_S10_S11_S12_S16_S17_S18_S1B_S1C_jS1D_jS1E_S1E_jjS1G_bEUljE0_EEESZ_S10_S11_S18_S1C_S1E_T6_T7_T9_mT8_S1G_bDpT10_ENKUlT_T0_E_clISt17integral_constantIbLb1EES1T_IbLb0EEEEDaS1P_S1Q_EUlS1P_E_NS1_11comp_targetILNS1_3genE9ELNS1_11target_archE1100ELNS1_3gpuE3ELNS1_3repE0EEENS1_30default_config_static_selectorELNS0_4arch9wavefront6targetE0EEEvS12_.num_named_barrier, 0
	.set _ZN7rocprim17ROCPRIM_400000_NS6detail17trampoline_kernelINS0_13select_configILj256ELj13ELNS0_17block_load_methodE3ELS4_3ELS4_3ELNS0_20block_scan_algorithmE0ELj4294967295EEENS1_25partition_config_selectorILNS1_17partition_subalgoE4EjNS0_10empty_typeEbEEZZNS1_14partition_implILS8_4ELb0ES6_15HIP_vector_typeIjLj2EENS0_17counting_iteratorIjlEEPS9_SG_NS0_5tupleIJPjSI_NS0_16reverse_iteratorISI_EEEEENSH_IJSG_SG_SG_EEES9_SI_JZNS1_25segmented_radix_sort_implINS0_14default_configELb0EPKhPhPKlPlN2at6native12_GLOBAL__N_18offset_tEEE10hipError_tPvRmT1_PNSt15iterator_traitsIS12_E10value_typeET2_T3_PNS13_IS18_E10value_typeET4_jRbjT5_S1E_jjP12ihipStream_tbEUljE_ZNSN_ISO_Lb0ESQ_SR_ST_SU_SY_EESZ_S10_S11_S12_S16_S17_S18_S1B_S1C_jS1D_jS1E_S1E_jjS1G_bEUljE0_EEESZ_S10_S11_S18_S1C_S1E_T6_T7_T9_mT8_S1G_bDpT10_ENKUlT_T0_E_clISt17integral_constantIbLb1EES1T_IbLb0EEEEDaS1P_S1Q_EUlS1P_E_NS1_11comp_targetILNS1_3genE9ELNS1_11target_archE1100ELNS1_3gpuE3ELNS1_3repE0EEENS1_30default_config_static_selectorELNS0_4arch9wavefront6targetE0EEEvS12_.private_seg_size, 0
	.set _ZN7rocprim17ROCPRIM_400000_NS6detail17trampoline_kernelINS0_13select_configILj256ELj13ELNS0_17block_load_methodE3ELS4_3ELS4_3ELNS0_20block_scan_algorithmE0ELj4294967295EEENS1_25partition_config_selectorILNS1_17partition_subalgoE4EjNS0_10empty_typeEbEEZZNS1_14partition_implILS8_4ELb0ES6_15HIP_vector_typeIjLj2EENS0_17counting_iteratorIjlEEPS9_SG_NS0_5tupleIJPjSI_NS0_16reverse_iteratorISI_EEEEENSH_IJSG_SG_SG_EEES9_SI_JZNS1_25segmented_radix_sort_implINS0_14default_configELb0EPKhPhPKlPlN2at6native12_GLOBAL__N_18offset_tEEE10hipError_tPvRmT1_PNSt15iterator_traitsIS12_E10value_typeET2_T3_PNS13_IS18_E10value_typeET4_jRbjT5_S1E_jjP12ihipStream_tbEUljE_ZNSN_ISO_Lb0ESQ_SR_ST_SU_SY_EESZ_S10_S11_S12_S16_S17_S18_S1B_S1C_jS1D_jS1E_S1E_jjS1G_bEUljE0_EEESZ_S10_S11_S18_S1C_S1E_T6_T7_T9_mT8_S1G_bDpT10_ENKUlT_T0_E_clISt17integral_constantIbLb1EES1T_IbLb0EEEEDaS1P_S1Q_EUlS1P_E_NS1_11comp_targetILNS1_3genE9ELNS1_11target_archE1100ELNS1_3gpuE3ELNS1_3repE0EEENS1_30default_config_static_selectorELNS0_4arch9wavefront6targetE0EEEvS12_.uses_vcc, 0
	.set _ZN7rocprim17ROCPRIM_400000_NS6detail17trampoline_kernelINS0_13select_configILj256ELj13ELNS0_17block_load_methodE3ELS4_3ELS4_3ELNS0_20block_scan_algorithmE0ELj4294967295EEENS1_25partition_config_selectorILNS1_17partition_subalgoE4EjNS0_10empty_typeEbEEZZNS1_14partition_implILS8_4ELb0ES6_15HIP_vector_typeIjLj2EENS0_17counting_iteratorIjlEEPS9_SG_NS0_5tupleIJPjSI_NS0_16reverse_iteratorISI_EEEEENSH_IJSG_SG_SG_EEES9_SI_JZNS1_25segmented_radix_sort_implINS0_14default_configELb0EPKhPhPKlPlN2at6native12_GLOBAL__N_18offset_tEEE10hipError_tPvRmT1_PNSt15iterator_traitsIS12_E10value_typeET2_T3_PNS13_IS18_E10value_typeET4_jRbjT5_S1E_jjP12ihipStream_tbEUljE_ZNSN_ISO_Lb0ESQ_SR_ST_SU_SY_EESZ_S10_S11_S12_S16_S17_S18_S1B_S1C_jS1D_jS1E_S1E_jjS1G_bEUljE0_EEESZ_S10_S11_S18_S1C_S1E_T6_T7_T9_mT8_S1G_bDpT10_ENKUlT_T0_E_clISt17integral_constantIbLb1EES1T_IbLb0EEEEDaS1P_S1Q_EUlS1P_E_NS1_11comp_targetILNS1_3genE9ELNS1_11target_archE1100ELNS1_3gpuE3ELNS1_3repE0EEENS1_30default_config_static_selectorELNS0_4arch9wavefront6targetE0EEEvS12_.uses_flat_scratch, 0
	.set _ZN7rocprim17ROCPRIM_400000_NS6detail17trampoline_kernelINS0_13select_configILj256ELj13ELNS0_17block_load_methodE3ELS4_3ELS4_3ELNS0_20block_scan_algorithmE0ELj4294967295EEENS1_25partition_config_selectorILNS1_17partition_subalgoE4EjNS0_10empty_typeEbEEZZNS1_14partition_implILS8_4ELb0ES6_15HIP_vector_typeIjLj2EENS0_17counting_iteratorIjlEEPS9_SG_NS0_5tupleIJPjSI_NS0_16reverse_iteratorISI_EEEEENSH_IJSG_SG_SG_EEES9_SI_JZNS1_25segmented_radix_sort_implINS0_14default_configELb0EPKhPhPKlPlN2at6native12_GLOBAL__N_18offset_tEEE10hipError_tPvRmT1_PNSt15iterator_traitsIS12_E10value_typeET2_T3_PNS13_IS18_E10value_typeET4_jRbjT5_S1E_jjP12ihipStream_tbEUljE_ZNSN_ISO_Lb0ESQ_SR_ST_SU_SY_EESZ_S10_S11_S12_S16_S17_S18_S1B_S1C_jS1D_jS1E_S1E_jjS1G_bEUljE0_EEESZ_S10_S11_S18_S1C_S1E_T6_T7_T9_mT8_S1G_bDpT10_ENKUlT_T0_E_clISt17integral_constantIbLb1EES1T_IbLb0EEEEDaS1P_S1Q_EUlS1P_E_NS1_11comp_targetILNS1_3genE9ELNS1_11target_archE1100ELNS1_3gpuE3ELNS1_3repE0EEENS1_30default_config_static_selectorELNS0_4arch9wavefront6targetE0EEEvS12_.has_dyn_sized_stack, 0
	.set _ZN7rocprim17ROCPRIM_400000_NS6detail17trampoline_kernelINS0_13select_configILj256ELj13ELNS0_17block_load_methodE3ELS4_3ELS4_3ELNS0_20block_scan_algorithmE0ELj4294967295EEENS1_25partition_config_selectorILNS1_17partition_subalgoE4EjNS0_10empty_typeEbEEZZNS1_14partition_implILS8_4ELb0ES6_15HIP_vector_typeIjLj2EENS0_17counting_iteratorIjlEEPS9_SG_NS0_5tupleIJPjSI_NS0_16reverse_iteratorISI_EEEEENSH_IJSG_SG_SG_EEES9_SI_JZNS1_25segmented_radix_sort_implINS0_14default_configELb0EPKhPhPKlPlN2at6native12_GLOBAL__N_18offset_tEEE10hipError_tPvRmT1_PNSt15iterator_traitsIS12_E10value_typeET2_T3_PNS13_IS18_E10value_typeET4_jRbjT5_S1E_jjP12ihipStream_tbEUljE_ZNSN_ISO_Lb0ESQ_SR_ST_SU_SY_EESZ_S10_S11_S12_S16_S17_S18_S1B_S1C_jS1D_jS1E_S1E_jjS1G_bEUljE0_EEESZ_S10_S11_S18_S1C_S1E_T6_T7_T9_mT8_S1G_bDpT10_ENKUlT_T0_E_clISt17integral_constantIbLb1EES1T_IbLb0EEEEDaS1P_S1Q_EUlS1P_E_NS1_11comp_targetILNS1_3genE9ELNS1_11target_archE1100ELNS1_3gpuE3ELNS1_3repE0EEENS1_30default_config_static_selectorELNS0_4arch9wavefront6targetE0EEEvS12_.has_recursion, 0
	.set _ZN7rocprim17ROCPRIM_400000_NS6detail17trampoline_kernelINS0_13select_configILj256ELj13ELNS0_17block_load_methodE3ELS4_3ELS4_3ELNS0_20block_scan_algorithmE0ELj4294967295EEENS1_25partition_config_selectorILNS1_17partition_subalgoE4EjNS0_10empty_typeEbEEZZNS1_14partition_implILS8_4ELb0ES6_15HIP_vector_typeIjLj2EENS0_17counting_iteratorIjlEEPS9_SG_NS0_5tupleIJPjSI_NS0_16reverse_iteratorISI_EEEEENSH_IJSG_SG_SG_EEES9_SI_JZNS1_25segmented_radix_sort_implINS0_14default_configELb0EPKhPhPKlPlN2at6native12_GLOBAL__N_18offset_tEEE10hipError_tPvRmT1_PNSt15iterator_traitsIS12_E10value_typeET2_T3_PNS13_IS18_E10value_typeET4_jRbjT5_S1E_jjP12ihipStream_tbEUljE_ZNSN_ISO_Lb0ESQ_SR_ST_SU_SY_EESZ_S10_S11_S12_S16_S17_S18_S1B_S1C_jS1D_jS1E_S1E_jjS1G_bEUljE0_EEESZ_S10_S11_S18_S1C_S1E_T6_T7_T9_mT8_S1G_bDpT10_ENKUlT_T0_E_clISt17integral_constantIbLb1EES1T_IbLb0EEEEDaS1P_S1Q_EUlS1P_E_NS1_11comp_targetILNS1_3genE9ELNS1_11target_archE1100ELNS1_3gpuE3ELNS1_3repE0EEENS1_30default_config_static_selectorELNS0_4arch9wavefront6targetE0EEEvS12_.has_indirect_call, 0
	.section	.AMDGPU.csdata,"",@progbits
; Kernel info:
; codeLenInByte = 0
; TotalNumSgprs: 0
; NumVgprs: 0
; ScratchSize: 0
; MemoryBound: 0
; FloatMode: 240
; IeeeMode: 1
; LDSByteSize: 0 bytes/workgroup (compile time only)
; SGPRBlocks: 0
; VGPRBlocks: 0
; NumSGPRsForWavesPerEU: 1
; NumVGPRsForWavesPerEU: 1
; Occupancy: 16
; WaveLimiterHint : 0
; COMPUTE_PGM_RSRC2:SCRATCH_EN: 0
; COMPUTE_PGM_RSRC2:USER_SGPR: 6
; COMPUTE_PGM_RSRC2:TRAP_HANDLER: 0
; COMPUTE_PGM_RSRC2:TGID_X_EN: 1
; COMPUTE_PGM_RSRC2:TGID_Y_EN: 0
; COMPUTE_PGM_RSRC2:TGID_Z_EN: 0
; COMPUTE_PGM_RSRC2:TIDIG_COMP_CNT: 0
	.section	.text._ZN7rocprim17ROCPRIM_400000_NS6detail17trampoline_kernelINS0_13select_configILj256ELj13ELNS0_17block_load_methodE3ELS4_3ELS4_3ELNS0_20block_scan_algorithmE0ELj4294967295EEENS1_25partition_config_selectorILNS1_17partition_subalgoE4EjNS0_10empty_typeEbEEZZNS1_14partition_implILS8_4ELb0ES6_15HIP_vector_typeIjLj2EENS0_17counting_iteratorIjlEEPS9_SG_NS0_5tupleIJPjSI_NS0_16reverse_iteratorISI_EEEEENSH_IJSG_SG_SG_EEES9_SI_JZNS1_25segmented_radix_sort_implINS0_14default_configELb0EPKhPhPKlPlN2at6native12_GLOBAL__N_18offset_tEEE10hipError_tPvRmT1_PNSt15iterator_traitsIS12_E10value_typeET2_T3_PNS13_IS18_E10value_typeET4_jRbjT5_S1E_jjP12ihipStream_tbEUljE_ZNSN_ISO_Lb0ESQ_SR_ST_SU_SY_EESZ_S10_S11_S12_S16_S17_S18_S1B_S1C_jS1D_jS1E_S1E_jjS1G_bEUljE0_EEESZ_S10_S11_S18_S1C_S1E_T6_T7_T9_mT8_S1G_bDpT10_ENKUlT_T0_E_clISt17integral_constantIbLb1EES1T_IbLb0EEEEDaS1P_S1Q_EUlS1P_E_NS1_11comp_targetILNS1_3genE8ELNS1_11target_archE1030ELNS1_3gpuE2ELNS1_3repE0EEENS1_30default_config_static_selectorELNS0_4arch9wavefront6targetE0EEEvS12_,"axG",@progbits,_ZN7rocprim17ROCPRIM_400000_NS6detail17trampoline_kernelINS0_13select_configILj256ELj13ELNS0_17block_load_methodE3ELS4_3ELS4_3ELNS0_20block_scan_algorithmE0ELj4294967295EEENS1_25partition_config_selectorILNS1_17partition_subalgoE4EjNS0_10empty_typeEbEEZZNS1_14partition_implILS8_4ELb0ES6_15HIP_vector_typeIjLj2EENS0_17counting_iteratorIjlEEPS9_SG_NS0_5tupleIJPjSI_NS0_16reverse_iteratorISI_EEEEENSH_IJSG_SG_SG_EEES9_SI_JZNS1_25segmented_radix_sort_implINS0_14default_configELb0EPKhPhPKlPlN2at6native12_GLOBAL__N_18offset_tEEE10hipError_tPvRmT1_PNSt15iterator_traitsIS12_E10value_typeET2_T3_PNS13_IS18_E10value_typeET4_jRbjT5_S1E_jjP12ihipStream_tbEUljE_ZNSN_ISO_Lb0ESQ_SR_ST_SU_SY_EESZ_S10_S11_S12_S16_S17_S18_S1B_S1C_jS1D_jS1E_S1E_jjS1G_bEUljE0_EEESZ_S10_S11_S18_S1C_S1E_T6_T7_T9_mT8_S1G_bDpT10_ENKUlT_T0_E_clISt17integral_constantIbLb1EES1T_IbLb0EEEEDaS1P_S1Q_EUlS1P_E_NS1_11comp_targetILNS1_3genE8ELNS1_11target_archE1030ELNS1_3gpuE2ELNS1_3repE0EEENS1_30default_config_static_selectorELNS0_4arch9wavefront6targetE0EEEvS12_,comdat
	.globl	_ZN7rocprim17ROCPRIM_400000_NS6detail17trampoline_kernelINS0_13select_configILj256ELj13ELNS0_17block_load_methodE3ELS4_3ELS4_3ELNS0_20block_scan_algorithmE0ELj4294967295EEENS1_25partition_config_selectorILNS1_17partition_subalgoE4EjNS0_10empty_typeEbEEZZNS1_14partition_implILS8_4ELb0ES6_15HIP_vector_typeIjLj2EENS0_17counting_iteratorIjlEEPS9_SG_NS0_5tupleIJPjSI_NS0_16reverse_iteratorISI_EEEEENSH_IJSG_SG_SG_EEES9_SI_JZNS1_25segmented_radix_sort_implINS0_14default_configELb0EPKhPhPKlPlN2at6native12_GLOBAL__N_18offset_tEEE10hipError_tPvRmT1_PNSt15iterator_traitsIS12_E10value_typeET2_T3_PNS13_IS18_E10value_typeET4_jRbjT5_S1E_jjP12ihipStream_tbEUljE_ZNSN_ISO_Lb0ESQ_SR_ST_SU_SY_EESZ_S10_S11_S12_S16_S17_S18_S1B_S1C_jS1D_jS1E_S1E_jjS1G_bEUljE0_EEESZ_S10_S11_S18_S1C_S1E_T6_T7_T9_mT8_S1G_bDpT10_ENKUlT_T0_E_clISt17integral_constantIbLb1EES1T_IbLb0EEEEDaS1P_S1Q_EUlS1P_E_NS1_11comp_targetILNS1_3genE8ELNS1_11target_archE1030ELNS1_3gpuE2ELNS1_3repE0EEENS1_30default_config_static_selectorELNS0_4arch9wavefront6targetE0EEEvS12_ ; -- Begin function _ZN7rocprim17ROCPRIM_400000_NS6detail17trampoline_kernelINS0_13select_configILj256ELj13ELNS0_17block_load_methodE3ELS4_3ELS4_3ELNS0_20block_scan_algorithmE0ELj4294967295EEENS1_25partition_config_selectorILNS1_17partition_subalgoE4EjNS0_10empty_typeEbEEZZNS1_14partition_implILS8_4ELb0ES6_15HIP_vector_typeIjLj2EENS0_17counting_iteratorIjlEEPS9_SG_NS0_5tupleIJPjSI_NS0_16reverse_iteratorISI_EEEEENSH_IJSG_SG_SG_EEES9_SI_JZNS1_25segmented_radix_sort_implINS0_14default_configELb0EPKhPhPKlPlN2at6native12_GLOBAL__N_18offset_tEEE10hipError_tPvRmT1_PNSt15iterator_traitsIS12_E10value_typeET2_T3_PNS13_IS18_E10value_typeET4_jRbjT5_S1E_jjP12ihipStream_tbEUljE_ZNSN_ISO_Lb0ESQ_SR_ST_SU_SY_EESZ_S10_S11_S12_S16_S17_S18_S1B_S1C_jS1D_jS1E_S1E_jjS1G_bEUljE0_EEESZ_S10_S11_S18_S1C_S1E_T6_T7_T9_mT8_S1G_bDpT10_ENKUlT_T0_E_clISt17integral_constantIbLb1EES1T_IbLb0EEEEDaS1P_S1Q_EUlS1P_E_NS1_11comp_targetILNS1_3genE8ELNS1_11target_archE1030ELNS1_3gpuE2ELNS1_3repE0EEENS1_30default_config_static_selectorELNS0_4arch9wavefront6targetE0EEEvS12_
	.p2align	8
	.type	_ZN7rocprim17ROCPRIM_400000_NS6detail17trampoline_kernelINS0_13select_configILj256ELj13ELNS0_17block_load_methodE3ELS4_3ELS4_3ELNS0_20block_scan_algorithmE0ELj4294967295EEENS1_25partition_config_selectorILNS1_17partition_subalgoE4EjNS0_10empty_typeEbEEZZNS1_14partition_implILS8_4ELb0ES6_15HIP_vector_typeIjLj2EENS0_17counting_iteratorIjlEEPS9_SG_NS0_5tupleIJPjSI_NS0_16reverse_iteratorISI_EEEEENSH_IJSG_SG_SG_EEES9_SI_JZNS1_25segmented_radix_sort_implINS0_14default_configELb0EPKhPhPKlPlN2at6native12_GLOBAL__N_18offset_tEEE10hipError_tPvRmT1_PNSt15iterator_traitsIS12_E10value_typeET2_T3_PNS13_IS18_E10value_typeET4_jRbjT5_S1E_jjP12ihipStream_tbEUljE_ZNSN_ISO_Lb0ESQ_SR_ST_SU_SY_EESZ_S10_S11_S12_S16_S17_S18_S1B_S1C_jS1D_jS1E_S1E_jjS1G_bEUljE0_EEESZ_S10_S11_S18_S1C_S1E_T6_T7_T9_mT8_S1G_bDpT10_ENKUlT_T0_E_clISt17integral_constantIbLb1EES1T_IbLb0EEEEDaS1P_S1Q_EUlS1P_E_NS1_11comp_targetILNS1_3genE8ELNS1_11target_archE1030ELNS1_3gpuE2ELNS1_3repE0EEENS1_30default_config_static_selectorELNS0_4arch9wavefront6targetE0EEEvS12_,@function
_ZN7rocprim17ROCPRIM_400000_NS6detail17trampoline_kernelINS0_13select_configILj256ELj13ELNS0_17block_load_methodE3ELS4_3ELS4_3ELNS0_20block_scan_algorithmE0ELj4294967295EEENS1_25partition_config_selectorILNS1_17partition_subalgoE4EjNS0_10empty_typeEbEEZZNS1_14partition_implILS8_4ELb0ES6_15HIP_vector_typeIjLj2EENS0_17counting_iteratorIjlEEPS9_SG_NS0_5tupleIJPjSI_NS0_16reverse_iteratorISI_EEEEENSH_IJSG_SG_SG_EEES9_SI_JZNS1_25segmented_radix_sort_implINS0_14default_configELb0EPKhPhPKlPlN2at6native12_GLOBAL__N_18offset_tEEE10hipError_tPvRmT1_PNSt15iterator_traitsIS12_E10value_typeET2_T3_PNS13_IS18_E10value_typeET4_jRbjT5_S1E_jjP12ihipStream_tbEUljE_ZNSN_ISO_Lb0ESQ_SR_ST_SU_SY_EESZ_S10_S11_S12_S16_S17_S18_S1B_S1C_jS1D_jS1E_S1E_jjS1G_bEUljE0_EEESZ_S10_S11_S18_S1C_S1E_T6_T7_T9_mT8_S1G_bDpT10_ENKUlT_T0_E_clISt17integral_constantIbLb1EES1T_IbLb0EEEEDaS1P_S1Q_EUlS1P_E_NS1_11comp_targetILNS1_3genE8ELNS1_11target_archE1030ELNS1_3gpuE2ELNS1_3repE0EEENS1_30default_config_static_selectorELNS0_4arch9wavefront6targetE0EEEvS12_: ; @_ZN7rocprim17ROCPRIM_400000_NS6detail17trampoline_kernelINS0_13select_configILj256ELj13ELNS0_17block_load_methodE3ELS4_3ELS4_3ELNS0_20block_scan_algorithmE0ELj4294967295EEENS1_25partition_config_selectorILNS1_17partition_subalgoE4EjNS0_10empty_typeEbEEZZNS1_14partition_implILS8_4ELb0ES6_15HIP_vector_typeIjLj2EENS0_17counting_iteratorIjlEEPS9_SG_NS0_5tupleIJPjSI_NS0_16reverse_iteratorISI_EEEEENSH_IJSG_SG_SG_EEES9_SI_JZNS1_25segmented_radix_sort_implINS0_14default_configELb0EPKhPhPKlPlN2at6native12_GLOBAL__N_18offset_tEEE10hipError_tPvRmT1_PNSt15iterator_traitsIS12_E10value_typeET2_T3_PNS13_IS18_E10value_typeET4_jRbjT5_S1E_jjP12ihipStream_tbEUljE_ZNSN_ISO_Lb0ESQ_SR_ST_SU_SY_EESZ_S10_S11_S12_S16_S17_S18_S1B_S1C_jS1D_jS1E_S1E_jjS1G_bEUljE0_EEESZ_S10_S11_S18_S1C_S1E_T6_T7_T9_mT8_S1G_bDpT10_ENKUlT_T0_E_clISt17integral_constantIbLb1EES1T_IbLb0EEEEDaS1P_S1Q_EUlS1P_E_NS1_11comp_targetILNS1_3genE8ELNS1_11target_archE1030ELNS1_3gpuE2ELNS1_3repE0EEENS1_30default_config_static_selectorELNS0_4arch9wavefront6targetE0EEEvS12_
; %bb.0:
	s_endpgm
	.section	.rodata,"a",@progbits
	.p2align	6, 0x0
	.amdhsa_kernel _ZN7rocprim17ROCPRIM_400000_NS6detail17trampoline_kernelINS0_13select_configILj256ELj13ELNS0_17block_load_methodE3ELS4_3ELS4_3ELNS0_20block_scan_algorithmE0ELj4294967295EEENS1_25partition_config_selectorILNS1_17partition_subalgoE4EjNS0_10empty_typeEbEEZZNS1_14partition_implILS8_4ELb0ES6_15HIP_vector_typeIjLj2EENS0_17counting_iteratorIjlEEPS9_SG_NS0_5tupleIJPjSI_NS0_16reverse_iteratorISI_EEEEENSH_IJSG_SG_SG_EEES9_SI_JZNS1_25segmented_radix_sort_implINS0_14default_configELb0EPKhPhPKlPlN2at6native12_GLOBAL__N_18offset_tEEE10hipError_tPvRmT1_PNSt15iterator_traitsIS12_E10value_typeET2_T3_PNS13_IS18_E10value_typeET4_jRbjT5_S1E_jjP12ihipStream_tbEUljE_ZNSN_ISO_Lb0ESQ_SR_ST_SU_SY_EESZ_S10_S11_S12_S16_S17_S18_S1B_S1C_jS1D_jS1E_S1E_jjS1G_bEUljE0_EEESZ_S10_S11_S18_S1C_S1E_T6_T7_T9_mT8_S1G_bDpT10_ENKUlT_T0_E_clISt17integral_constantIbLb1EES1T_IbLb0EEEEDaS1P_S1Q_EUlS1P_E_NS1_11comp_targetILNS1_3genE8ELNS1_11target_archE1030ELNS1_3gpuE2ELNS1_3repE0EEENS1_30default_config_static_selectorELNS0_4arch9wavefront6targetE0EEEvS12_
		.amdhsa_group_segment_fixed_size 0
		.amdhsa_private_segment_fixed_size 0
		.amdhsa_kernarg_size 176
		.amdhsa_user_sgpr_count 6
		.amdhsa_user_sgpr_private_segment_buffer 1
		.amdhsa_user_sgpr_dispatch_ptr 0
		.amdhsa_user_sgpr_queue_ptr 0
		.amdhsa_user_sgpr_kernarg_segment_ptr 1
		.amdhsa_user_sgpr_dispatch_id 0
		.amdhsa_user_sgpr_flat_scratch_init 0
		.amdhsa_user_sgpr_private_segment_size 0
		.amdhsa_wavefront_size32 1
		.amdhsa_uses_dynamic_stack 0
		.amdhsa_system_sgpr_private_segment_wavefront_offset 0
		.amdhsa_system_sgpr_workgroup_id_x 1
		.amdhsa_system_sgpr_workgroup_id_y 0
		.amdhsa_system_sgpr_workgroup_id_z 0
		.amdhsa_system_sgpr_workgroup_info 0
		.amdhsa_system_vgpr_workitem_id 0
		.amdhsa_next_free_vgpr 1
		.amdhsa_next_free_sgpr 1
		.amdhsa_reserve_vcc 0
		.amdhsa_reserve_flat_scratch 0
		.amdhsa_float_round_mode_32 0
		.amdhsa_float_round_mode_16_64 0
		.amdhsa_float_denorm_mode_32 3
		.amdhsa_float_denorm_mode_16_64 3
		.amdhsa_dx10_clamp 1
		.amdhsa_ieee_mode 1
		.amdhsa_fp16_overflow 0
		.amdhsa_workgroup_processor_mode 1
		.amdhsa_memory_ordered 1
		.amdhsa_forward_progress 1
		.amdhsa_shared_vgpr_count 0
		.amdhsa_exception_fp_ieee_invalid_op 0
		.amdhsa_exception_fp_denorm_src 0
		.amdhsa_exception_fp_ieee_div_zero 0
		.amdhsa_exception_fp_ieee_overflow 0
		.amdhsa_exception_fp_ieee_underflow 0
		.amdhsa_exception_fp_ieee_inexact 0
		.amdhsa_exception_int_div_zero 0
	.end_amdhsa_kernel
	.section	.text._ZN7rocprim17ROCPRIM_400000_NS6detail17trampoline_kernelINS0_13select_configILj256ELj13ELNS0_17block_load_methodE3ELS4_3ELS4_3ELNS0_20block_scan_algorithmE0ELj4294967295EEENS1_25partition_config_selectorILNS1_17partition_subalgoE4EjNS0_10empty_typeEbEEZZNS1_14partition_implILS8_4ELb0ES6_15HIP_vector_typeIjLj2EENS0_17counting_iteratorIjlEEPS9_SG_NS0_5tupleIJPjSI_NS0_16reverse_iteratorISI_EEEEENSH_IJSG_SG_SG_EEES9_SI_JZNS1_25segmented_radix_sort_implINS0_14default_configELb0EPKhPhPKlPlN2at6native12_GLOBAL__N_18offset_tEEE10hipError_tPvRmT1_PNSt15iterator_traitsIS12_E10value_typeET2_T3_PNS13_IS18_E10value_typeET4_jRbjT5_S1E_jjP12ihipStream_tbEUljE_ZNSN_ISO_Lb0ESQ_SR_ST_SU_SY_EESZ_S10_S11_S12_S16_S17_S18_S1B_S1C_jS1D_jS1E_S1E_jjS1G_bEUljE0_EEESZ_S10_S11_S18_S1C_S1E_T6_T7_T9_mT8_S1G_bDpT10_ENKUlT_T0_E_clISt17integral_constantIbLb1EES1T_IbLb0EEEEDaS1P_S1Q_EUlS1P_E_NS1_11comp_targetILNS1_3genE8ELNS1_11target_archE1030ELNS1_3gpuE2ELNS1_3repE0EEENS1_30default_config_static_selectorELNS0_4arch9wavefront6targetE0EEEvS12_,"axG",@progbits,_ZN7rocprim17ROCPRIM_400000_NS6detail17trampoline_kernelINS0_13select_configILj256ELj13ELNS0_17block_load_methodE3ELS4_3ELS4_3ELNS0_20block_scan_algorithmE0ELj4294967295EEENS1_25partition_config_selectorILNS1_17partition_subalgoE4EjNS0_10empty_typeEbEEZZNS1_14partition_implILS8_4ELb0ES6_15HIP_vector_typeIjLj2EENS0_17counting_iteratorIjlEEPS9_SG_NS0_5tupleIJPjSI_NS0_16reverse_iteratorISI_EEEEENSH_IJSG_SG_SG_EEES9_SI_JZNS1_25segmented_radix_sort_implINS0_14default_configELb0EPKhPhPKlPlN2at6native12_GLOBAL__N_18offset_tEEE10hipError_tPvRmT1_PNSt15iterator_traitsIS12_E10value_typeET2_T3_PNS13_IS18_E10value_typeET4_jRbjT5_S1E_jjP12ihipStream_tbEUljE_ZNSN_ISO_Lb0ESQ_SR_ST_SU_SY_EESZ_S10_S11_S12_S16_S17_S18_S1B_S1C_jS1D_jS1E_S1E_jjS1G_bEUljE0_EEESZ_S10_S11_S18_S1C_S1E_T6_T7_T9_mT8_S1G_bDpT10_ENKUlT_T0_E_clISt17integral_constantIbLb1EES1T_IbLb0EEEEDaS1P_S1Q_EUlS1P_E_NS1_11comp_targetILNS1_3genE8ELNS1_11target_archE1030ELNS1_3gpuE2ELNS1_3repE0EEENS1_30default_config_static_selectorELNS0_4arch9wavefront6targetE0EEEvS12_,comdat
.Lfunc_end144:
	.size	_ZN7rocprim17ROCPRIM_400000_NS6detail17trampoline_kernelINS0_13select_configILj256ELj13ELNS0_17block_load_methodE3ELS4_3ELS4_3ELNS0_20block_scan_algorithmE0ELj4294967295EEENS1_25partition_config_selectorILNS1_17partition_subalgoE4EjNS0_10empty_typeEbEEZZNS1_14partition_implILS8_4ELb0ES6_15HIP_vector_typeIjLj2EENS0_17counting_iteratorIjlEEPS9_SG_NS0_5tupleIJPjSI_NS0_16reverse_iteratorISI_EEEEENSH_IJSG_SG_SG_EEES9_SI_JZNS1_25segmented_radix_sort_implINS0_14default_configELb0EPKhPhPKlPlN2at6native12_GLOBAL__N_18offset_tEEE10hipError_tPvRmT1_PNSt15iterator_traitsIS12_E10value_typeET2_T3_PNS13_IS18_E10value_typeET4_jRbjT5_S1E_jjP12ihipStream_tbEUljE_ZNSN_ISO_Lb0ESQ_SR_ST_SU_SY_EESZ_S10_S11_S12_S16_S17_S18_S1B_S1C_jS1D_jS1E_S1E_jjS1G_bEUljE0_EEESZ_S10_S11_S18_S1C_S1E_T6_T7_T9_mT8_S1G_bDpT10_ENKUlT_T0_E_clISt17integral_constantIbLb1EES1T_IbLb0EEEEDaS1P_S1Q_EUlS1P_E_NS1_11comp_targetILNS1_3genE8ELNS1_11target_archE1030ELNS1_3gpuE2ELNS1_3repE0EEENS1_30default_config_static_selectorELNS0_4arch9wavefront6targetE0EEEvS12_, .Lfunc_end144-_ZN7rocprim17ROCPRIM_400000_NS6detail17trampoline_kernelINS0_13select_configILj256ELj13ELNS0_17block_load_methodE3ELS4_3ELS4_3ELNS0_20block_scan_algorithmE0ELj4294967295EEENS1_25partition_config_selectorILNS1_17partition_subalgoE4EjNS0_10empty_typeEbEEZZNS1_14partition_implILS8_4ELb0ES6_15HIP_vector_typeIjLj2EENS0_17counting_iteratorIjlEEPS9_SG_NS0_5tupleIJPjSI_NS0_16reverse_iteratorISI_EEEEENSH_IJSG_SG_SG_EEES9_SI_JZNS1_25segmented_radix_sort_implINS0_14default_configELb0EPKhPhPKlPlN2at6native12_GLOBAL__N_18offset_tEEE10hipError_tPvRmT1_PNSt15iterator_traitsIS12_E10value_typeET2_T3_PNS13_IS18_E10value_typeET4_jRbjT5_S1E_jjP12ihipStream_tbEUljE_ZNSN_ISO_Lb0ESQ_SR_ST_SU_SY_EESZ_S10_S11_S12_S16_S17_S18_S1B_S1C_jS1D_jS1E_S1E_jjS1G_bEUljE0_EEESZ_S10_S11_S18_S1C_S1E_T6_T7_T9_mT8_S1G_bDpT10_ENKUlT_T0_E_clISt17integral_constantIbLb1EES1T_IbLb0EEEEDaS1P_S1Q_EUlS1P_E_NS1_11comp_targetILNS1_3genE8ELNS1_11target_archE1030ELNS1_3gpuE2ELNS1_3repE0EEENS1_30default_config_static_selectorELNS0_4arch9wavefront6targetE0EEEvS12_
                                        ; -- End function
	.set _ZN7rocprim17ROCPRIM_400000_NS6detail17trampoline_kernelINS0_13select_configILj256ELj13ELNS0_17block_load_methodE3ELS4_3ELS4_3ELNS0_20block_scan_algorithmE0ELj4294967295EEENS1_25partition_config_selectorILNS1_17partition_subalgoE4EjNS0_10empty_typeEbEEZZNS1_14partition_implILS8_4ELb0ES6_15HIP_vector_typeIjLj2EENS0_17counting_iteratorIjlEEPS9_SG_NS0_5tupleIJPjSI_NS0_16reverse_iteratorISI_EEEEENSH_IJSG_SG_SG_EEES9_SI_JZNS1_25segmented_radix_sort_implINS0_14default_configELb0EPKhPhPKlPlN2at6native12_GLOBAL__N_18offset_tEEE10hipError_tPvRmT1_PNSt15iterator_traitsIS12_E10value_typeET2_T3_PNS13_IS18_E10value_typeET4_jRbjT5_S1E_jjP12ihipStream_tbEUljE_ZNSN_ISO_Lb0ESQ_SR_ST_SU_SY_EESZ_S10_S11_S12_S16_S17_S18_S1B_S1C_jS1D_jS1E_S1E_jjS1G_bEUljE0_EEESZ_S10_S11_S18_S1C_S1E_T6_T7_T9_mT8_S1G_bDpT10_ENKUlT_T0_E_clISt17integral_constantIbLb1EES1T_IbLb0EEEEDaS1P_S1Q_EUlS1P_E_NS1_11comp_targetILNS1_3genE8ELNS1_11target_archE1030ELNS1_3gpuE2ELNS1_3repE0EEENS1_30default_config_static_selectorELNS0_4arch9wavefront6targetE0EEEvS12_.num_vgpr, 0
	.set _ZN7rocprim17ROCPRIM_400000_NS6detail17trampoline_kernelINS0_13select_configILj256ELj13ELNS0_17block_load_methodE3ELS4_3ELS4_3ELNS0_20block_scan_algorithmE0ELj4294967295EEENS1_25partition_config_selectorILNS1_17partition_subalgoE4EjNS0_10empty_typeEbEEZZNS1_14partition_implILS8_4ELb0ES6_15HIP_vector_typeIjLj2EENS0_17counting_iteratorIjlEEPS9_SG_NS0_5tupleIJPjSI_NS0_16reverse_iteratorISI_EEEEENSH_IJSG_SG_SG_EEES9_SI_JZNS1_25segmented_radix_sort_implINS0_14default_configELb0EPKhPhPKlPlN2at6native12_GLOBAL__N_18offset_tEEE10hipError_tPvRmT1_PNSt15iterator_traitsIS12_E10value_typeET2_T3_PNS13_IS18_E10value_typeET4_jRbjT5_S1E_jjP12ihipStream_tbEUljE_ZNSN_ISO_Lb0ESQ_SR_ST_SU_SY_EESZ_S10_S11_S12_S16_S17_S18_S1B_S1C_jS1D_jS1E_S1E_jjS1G_bEUljE0_EEESZ_S10_S11_S18_S1C_S1E_T6_T7_T9_mT8_S1G_bDpT10_ENKUlT_T0_E_clISt17integral_constantIbLb1EES1T_IbLb0EEEEDaS1P_S1Q_EUlS1P_E_NS1_11comp_targetILNS1_3genE8ELNS1_11target_archE1030ELNS1_3gpuE2ELNS1_3repE0EEENS1_30default_config_static_selectorELNS0_4arch9wavefront6targetE0EEEvS12_.num_agpr, 0
	.set _ZN7rocprim17ROCPRIM_400000_NS6detail17trampoline_kernelINS0_13select_configILj256ELj13ELNS0_17block_load_methodE3ELS4_3ELS4_3ELNS0_20block_scan_algorithmE0ELj4294967295EEENS1_25partition_config_selectorILNS1_17partition_subalgoE4EjNS0_10empty_typeEbEEZZNS1_14partition_implILS8_4ELb0ES6_15HIP_vector_typeIjLj2EENS0_17counting_iteratorIjlEEPS9_SG_NS0_5tupleIJPjSI_NS0_16reverse_iteratorISI_EEEEENSH_IJSG_SG_SG_EEES9_SI_JZNS1_25segmented_radix_sort_implINS0_14default_configELb0EPKhPhPKlPlN2at6native12_GLOBAL__N_18offset_tEEE10hipError_tPvRmT1_PNSt15iterator_traitsIS12_E10value_typeET2_T3_PNS13_IS18_E10value_typeET4_jRbjT5_S1E_jjP12ihipStream_tbEUljE_ZNSN_ISO_Lb0ESQ_SR_ST_SU_SY_EESZ_S10_S11_S12_S16_S17_S18_S1B_S1C_jS1D_jS1E_S1E_jjS1G_bEUljE0_EEESZ_S10_S11_S18_S1C_S1E_T6_T7_T9_mT8_S1G_bDpT10_ENKUlT_T0_E_clISt17integral_constantIbLb1EES1T_IbLb0EEEEDaS1P_S1Q_EUlS1P_E_NS1_11comp_targetILNS1_3genE8ELNS1_11target_archE1030ELNS1_3gpuE2ELNS1_3repE0EEENS1_30default_config_static_selectorELNS0_4arch9wavefront6targetE0EEEvS12_.numbered_sgpr, 0
	.set _ZN7rocprim17ROCPRIM_400000_NS6detail17trampoline_kernelINS0_13select_configILj256ELj13ELNS0_17block_load_methodE3ELS4_3ELS4_3ELNS0_20block_scan_algorithmE0ELj4294967295EEENS1_25partition_config_selectorILNS1_17partition_subalgoE4EjNS0_10empty_typeEbEEZZNS1_14partition_implILS8_4ELb0ES6_15HIP_vector_typeIjLj2EENS0_17counting_iteratorIjlEEPS9_SG_NS0_5tupleIJPjSI_NS0_16reverse_iteratorISI_EEEEENSH_IJSG_SG_SG_EEES9_SI_JZNS1_25segmented_radix_sort_implINS0_14default_configELb0EPKhPhPKlPlN2at6native12_GLOBAL__N_18offset_tEEE10hipError_tPvRmT1_PNSt15iterator_traitsIS12_E10value_typeET2_T3_PNS13_IS18_E10value_typeET4_jRbjT5_S1E_jjP12ihipStream_tbEUljE_ZNSN_ISO_Lb0ESQ_SR_ST_SU_SY_EESZ_S10_S11_S12_S16_S17_S18_S1B_S1C_jS1D_jS1E_S1E_jjS1G_bEUljE0_EEESZ_S10_S11_S18_S1C_S1E_T6_T7_T9_mT8_S1G_bDpT10_ENKUlT_T0_E_clISt17integral_constantIbLb1EES1T_IbLb0EEEEDaS1P_S1Q_EUlS1P_E_NS1_11comp_targetILNS1_3genE8ELNS1_11target_archE1030ELNS1_3gpuE2ELNS1_3repE0EEENS1_30default_config_static_selectorELNS0_4arch9wavefront6targetE0EEEvS12_.num_named_barrier, 0
	.set _ZN7rocprim17ROCPRIM_400000_NS6detail17trampoline_kernelINS0_13select_configILj256ELj13ELNS0_17block_load_methodE3ELS4_3ELS4_3ELNS0_20block_scan_algorithmE0ELj4294967295EEENS1_25partition_config_selectorILNS1_17partition_subalgoE4EjNS0_10empty_typeEbEEZZNS1_14partition_implILS8_4ELb0ES6_15HIP_vector_typeIjLj2EENS0_17counting_iteratorIjlEEPS9_SG_NS0_5tupleIJPjSI_NS0_16reverse_iteratorISI_EEEEENSH_IJSG_SG_SG_EEES9_SI_JZNS1_25segmented_radix_sort_implINS0_14default_configELb0EPKhPhPKlPlN2at6native12_GLOBAL__N_18offset_tEEE10hipError_tPvRmT1_PNSt15iterator_traitsIS12_E10value_typeET2_T3_PNS13_IS18_E10value_typeET4_jRbjT5_S1E_jjP12ihipStream_tbEUljE_ZNSN_ISO_Lb0ESQ_SR_ST_SU_SY_EESZ_S10_S11_S12_S16_S17_S18_S1B_S1C_jS1D_jS1E_S1E_jjS1G_bEUljE0_EEESZ_S10_S11_S18_S1C_S1E_T6_T7_T9_mT8_S1G_bDpT10_ENKUlT_T0_E_clISt17integral_constantIbLb1EES1T_IbLb0EEEEDaS1P_S1Q_EUlS1P_E_NS1_11comp_targetILNS1_3genE8ELNS1_11target_archE1030ELNS1_3gpuE2ELNS1_3repE0EEENS1_30default_config_static_selectorELNS0_4arch9wavefront6targetE0EEEvS12_.private_seg_size, 0
	.set _ZN7rocprim17ROCPRIM_400000_NS6detail17trampoline_kernelINS0_13select_configILj256ELj13ELNS0_17block_load_methodE3ELS4_3ELS4_3ELNS0_20block_scan_algorithmE0ELj4294967295EEENS1_25partition_config_selectorILNS1_17partition_subalgoE4EjNS0_10empty_typeEbEEZZNS1_14partition_implILS8_4ELb0ES6_15HIP_vector_typeIjLj2EENS0_17counting_iteratorIjlEEPS9_SG_NS0_5tupleIJPjSI_NS0_16reverse_iteratorISI_EEEEENSH_IJSG_SG_SG_EEES9_SI_JZNS1_25segmented_radix_sort_implINS0_14default_configELb0EPKhPhPKlPlN2at6native12_GLOBAL__N_18offset_tEEE10hipError_tPvRmT1_PNSt15iterator_traitsIS12_E10value_typeET2_T3_PNS13_IS18_E10value_typeET4_jRbjT5_S1E_jjP12ihipStream_tbEUljE_ZNSN_ISO_Lb0ESQ_SR_ST_SU_SY_EESZ_S10_S11_S12_S16_S17_S18_S1B_S1C_jS1D_jS1E_S1E_jjS1G_bEUljE0_EEESZ_S10_S11_S18_S1C_S1E_T6_T7_T9_mT8_S1G_bDpT10_ENKUlT_T0_E_clISt17integral_constantIbLb1EES1T_IbLb0EEEEDaS1P_S1Q_EUlS1P_E_NS1_11comp_targetILNS1_3genE8ELNS1_11target_archE1030ELNS1_3gpuE2ELNS1_3repE0EEENS1_30default_config_static_selectorELNS0_4arch9wavefront6targetE0EEEvS12_.uses_vcc, 0
	.set _ZN7rocprim17ROCPRIM_400000_NS6detail17trampoline_kernelINS0_13select_configILj256ELj13ELNS0_17block_load_methodE3ELS4_3ELS4_3ELNS0_20block_scan_algorithmE0ELj4294967295EEENS1_25partition_config_selectorILNS1_17partition_subalgoE4EjNS0_10empty_typeEbEEZZNS1_14partition_implILS8_4ELb0ES6_15HIP_vector_typeIjLj2EENS0_17counting_iteratorIjlEEPS9_SG_NS0_5tupleIJPjSI_NS0_16reverse_iteratorISI_EEEEENSH_IJSG_SG_SG_EEES9_SI_JZNS1_25segmented_radix_sort_implINS0_14default_configELb0EPKhPhPKlPlN2at6native12_GLOBAL__N_18offset_tEEE10hipError_tPvRmT1_PNSt15iterator_traitsIS12_E10value_typeET2_T3_PNS13_IS18_E10value_typeET4_jRbjT5_S1E_jjP12ihipStream_tbEUljE_ZNSN_ISO_Lb0ESQ_SR_ST_SU_SY_EESZ_S10_S11_S12_S16_S17_S18_S1B_S1C_jS1D_jS1E_S1E_jjS1G_bEUljE0_EEESZ_S10_S11_S18_S1C_S1E_T6_T7_T9_mT8_S1G_bDpT10_ENKUlT_T0_E_clISt17integral_constantIbLb1EES1T_IbLb0EEEEDaS1P_S1Q_EUlS1P_E_NS1_11comp_targetILNS1_3genE8ELNS1_11target_archE1030ELNS1_3gpuE2ELNS1_3repE0EEENS1_30default_config_static_selectorELNS0_4arch9wavefront6targetE0EEEvS12_.uses_flat_scratch, 0
	.set _ZN7rocprim17ROCPRIM_400000_NS6detail17trampoline_kernelINS0_13select_configILj256ELj13ELNS0_17block_load_methodE3ELS4_3ELS4_3ELNS0_20block_scan_algorithmE0ELj4294967295EEENS1_25partition_config_selectorILNS1_17partition_subalgoE4EjNS0_10empty_typeEbEEZZNS1_14partition_implILS8_4ELb0ES6_15HIP_vector_typeIjLj2EENS0_17counting_iteratorIjlEEPS9_SG_NS0_5tupleIJPjSI_NS0_16reverse_iteratorISI_EEEEENSH_IJSG_SG_SG_EEES9_SI_JZNS1_25segmented_radix_sort_implINS0_14default_configELb0EPKhPhPKlPlN2at6native12_GLOBAL__N_18offset_tEEE10hipError_tPvRmT1_PNSt15iterator_traitsIS12_E10value_typeET2_T3_PNS13_IS18_E10value_typeET4_jRbjT5_S1E_jjP12ihipStream_tbEUljE_ZNSN_ISO_Lb0ESQ_SR_ST_SU_SY_EESZ_S10_S11_S12_S16_S17_S18_S1B_S1C_jS1D_jS1E_S1E_jjS1G_bEUljE0_EEESZ_S10_S11_S18_S1C_S1E_T6_T7_T9_mT8_S1G_bDpT10_ENKUlT_T0_E_clISt17integral_constantIbLb1EES1T_IbLb0EEEEDaS1P_S1Q_EUlS1P_E_NS1_11comp_targetILNS1_3genE8ELNS1_11target_archE1030ELNS1_3gpuE2ELNS1_3repE0EEENS1_30default_config_static_selectorELNS0_4arch9wavefront6targetE0EEEvS12_.has_dyn_sized_stack, 0
	.set _ZN7rocprim17ROCPRIM_400000_NS6detail17trampoline_kernelINS0_13select_configILj256ELj13ELNS0_17block_load_methodE3ELS4_3ELS4_3ELNS0_20block_scan_algorithmE0ELj4294967295EEENS1_25partition_config_selectorILNS1_17partition_subalgoE4EjNS0_10empty_typeEbEEZZNS1_14partition_implILS8_4ELb0ES6_15HIP_vector_typeIjLj2EENS0_17counting_iteratorIjlEEPS9_SG_NS0_5tupleIJPjSI_NS0_16reverse_iteratorISI_EEEEENSH_IJSG_SG_SG_EEES9_SI_JZNS1_25segmented_radix_sort_implINS0_14default_configELb0EPKhPhPKlPlN2at6native12_GLOBAL__N_18offset_tEEE10hipError_tPvRmT1_PNSt15iterator_traitsIS12_E10value_typeET2_T3_PNS13_IS18_E10value_typeET4_jRbjT5_S1E_jjP12ihipStream_tbEUljE_ZNSN_ISO_Lb0ESQ_SR_ST_SU_SY_EESZ_S10_S11_S12_S16_S17_S18_S1B_S1C_jS1D_jS1E_S1E_jjS1G_bEUljE0_EEESZ_S10_S11_S18_S1C_S1E_T6_T7_T9_mT8_S1G_bDpT10_ENKUlT_T0_E_clISt17integral_constantIbLb1EES1T_IbLb0EEEEDaS1P_S1Q_EUlS1P_E_NS1_11comp_targetILNS1_3genE8ELNS1_11target_archE1030ELNS1_3gpuE2ELNS1_3repE0EEENS1_30default_config_static_selectorELNS0_4arch9wavefront6targetE0EEEvS12_.has_recursion, 0
	.set _ZN7rocprim17ROCPRIM_400000_NS6detail17trampoline_kernelINS0_13select_configILj256ELj13ELNS0_17block_load_methodE3ELS4_3ELS4_3ELNS0_20block_scan_algorithmE0ELj4294967295EEENS1_25partition_config_selectorILNS1_17partition_subalgoE4EjNS0_10empty_typeEbEEZZNS1_14partition_implILS8_4ELb0ES6_15HIP_vector_typeIjLj2EENS0_17counting_iteratorIjlEEPS9_SG_NS0_5tupleIJPjSI_NS0_16reverse_iteratorISI_EEEEENSH_IJSG_SG_SG_EEES9_SI_JZNS1_25segmented_radix_sort_implINS0_14default_configELb0EPKhPhPKlPlN2at6native12_GLOBAL__N_18offset_tEEE10hipError_tPvRmT1_PNSt15iterator_traitsIS12_E10value_typeET2_T3_PNS13_IS18_E10value_typeET4_jRbjT5_S1E_jjP12ihipStream_tbEUljE_ZNSN_ISO_Lb0ESQ_SR_ST_SU_SY_EESZ_S10_S11_S12_S16_S17_S18_S1B_S1C_jS1D_jS1E_S1E_jjS1G_bEUljE0_EEESZ_S10_S11_S18_S1C_S1E_T6_T7_T9_mT8_S1G_bDpT10_ENKUlT_T0_E_clISt17integral_constantIbLb1EES1T_IbLb0EEEEDaS1P_S1Q_EUlS1P_E_NS1_11comp_targetILNS1_3genE8ELNS1_11target_archE1030ELNS1_3gpuE2ELNS1_3repE0EEENS1_30default_config_static_selectorELNS0_4arch9wavefront6targetE0EEEvS12_.has_indirect_call, 0
	.section	.AMDGPU.csdata,"",@progbits
; Kernel info:
; codeLenInByte = 4
; TotalNumSgprs: 0
; NumVgprs: 0
; ScratchSize: 0
; MemoryBound: 0
; FloatMode: 240
; IeeeMode: 1
; LDSByteSize: 0 bytes/workgroup (compile time only)
; SGPRBlocks: 0
; VGPRBlocks: 0
; NumSGPRsForWavesPerEU: 1
; NumVGPRsForWavesPerEU: 1
; Occupancy: 16
; WaveLimiterHint : 0
; COMPUTE_PGM_RSRC2:SCRATCH_EN: 0
; COMPUTE_PGM_RSRC2:USER_SGPR: 6
; COMPUTE_PGM_RSRC2:TRAP_HANDLER: 0
; COMPUTE_PGM_RSRC2:TGID_X_EN: 1
; COMPUTE_PGM_RSRC2:TGID_Y_EN: 0
; COMPUTE_PGM_RSRC2:TGID_Z_EN: 0
; COMPUTE_PGM_RSRC2:TIDIG_COMP_CNT: 0
	.section	.text._ZN7rocprim17ROCPRIM_400000_NS6detail17trampoline_kernelINS0_13select_configILj256ELj13ELNS0_17block_load_methodE3ELS4_3ELS4_3ELNS0_20block_scan_algorithmE0ELj4294967295EEENS1_25partition_config_selectorILNS1_17partition_subalgoE4EjNS0_10empty_typeEbEEZZNS1_14partition_implILS8_4ELb0ES6_15HIP_vector_typeIjLj2EENS0_17counting_iteratorIjlEEPS9_SG_NS0_5tupleIJPjSI_NS0_16reverse_iteratorISI_EEEEENSH_IJSG_SG_SG_EEES9_SI_JZNS1_25segmented_radix_sort_implINS0_14default_configELb0EPKhPhPKlPlN2at6native12_GLOBAL__N_18offset_tEEE10hipError_tPvRmT1_PNSt15iterator_traitsIS12_E10value_typeET2_T3_PNS13_IS18_E10value_typeET4_jRbjT5_S1E_jjP12ihipStream_tbEUljE_ZNSN_ISO_Lb0ESQ_SR_ST_SU_SY_EESZ_S10_S11_S12_S16_S17_S18_S1B_S1C_jS1D_jS1E_S1E_jjS1G_bEUljE0_EEESZ_S10_S11_S18_S1C_S1E_T6_T7_T9_mT8_S1G_bDpT10_ENKUlT_T0_E_clISt17integral_constantIbLb0EES1T_IbLb1EEEEDaS1P_S1Q_EUlS1P_E_NS1_11comp_targetILNS1_3genE0ELNS1_11target_archE4294967295ELNS1_3gpuE0ELNS1_3repE0EEENS1_30default_config_static_selectorELNS0_4arch9wavefront6targetE0EEEvS12_,"axG",@progbits,_ZN7rocprim17ROCPRIM_400000_NS6detail17trampoline_kernelINS0_13select_configILj256ELj13ELNS0_17block_load_methodE3ELS4_3ELS4_3ELNS0_20block_scan_algorithmE0ELj4294967295EEENS1_25partition_config_selectorILNS1_17partition_subalgoE4EjNS0_10empty_typeEbEEZZNS1_14partition_implILS8_4ELb0ES6_15HIP_vector_typeIjLj2EENS0_17counting_iteratorIjlEEPS9_SG_NS0_5tupleIJPjSI_NS0_16reverse_iteratorISI_EEEEENSH_IJSG_SG_SG_EEES9_SI_JZNS1_25segmented_radix_sort_implINS0_14default_configELb0EPKhPhPKlPlN2at6native12_GLOBAL__N_18offset_tEEE10hipError_tPvRmT1_PNSt15iterator_traitsIS12_E10value_typeET2_T3_PNS13_IS18_E10value_typeET4_jRbjT5_S1E_jjP12ihipStream_tbEUljE_ZNSN_ISO_Lb0ESQ_SR_ST_SU_SY_EESZ_S10_S11_S12_S16_S17_S18_S1B_S1C_jS1D_jS1E_S1E_jjS1G_bEUljE0_EEESZ_S10_S11_S18_S1C_S1E_T6_T7_T9_mT8_S1G_bDpT10_ENKUlT_T0_E_clISt17integral_constantIbLb0EES1T_IbLb1EEEEDaS1P_S1Q_EUlS1P_E_NS1_11comp_targetILNS1_3genE0ELNS1_11target_archE4294967295ELNS1_3gpuE0ELNS1_3repE0EEENS1_30default_config_static_selectorELNS0_4arch9wavefront6targetE0EEEvS12_,comdat
	.globl	_ZN7rocprim17ROCPRIM_400000_NS6detail17trampoline_kernelINS0_13select_configILj256ELj13ELNS0_17block_load_methodE3ELS4_3ELS4_3ELNS0_20block_scan_algorithmE0ELj4294967295EEENS1_25partition_config_selectorILNS1_17partition_subalgoE4EjNS0_10empty_typeEbEEZZNS1_14partition_implILS8_4ELb0ES6_15HIP_vector_typeIjLj2EENS0_17counting_iteratorIjlEEPS9_SG_NS0_5tupleIJPjSI_NS0_16reverse_iteratorISI_EEEEENSH_IJSG_SG_SG_EEES9_SI_JZNS1_25segmented_radix_sort_implINS0_14default_configELb0EPKhPhPKlPlN2at6native12_GLOBAL__N_18offset_tEEE10hipError_tPvRmT1_PNSt15iterator_traitsIS12_E10value_typeET2_T3_PNS13_IS18_E10value_typeET4_jRbjT5_S1E_jjP12ihipStream_tbEUljE_ZNSN_ISO_Lb0ESQ_SR_ST_SU_SY_EESZ_S10_S11_S12_S16_S17_S18_S1B_S1C_jS1D_jS1E_S1E_jjS1G_bEUljE0_EEESZ_S10_S11_S18_S1C_S1E_T6_T7_T9_mT8_S1G_bDpT10_ENKUlT_T0_E_clISt17integral_constantIbLb0EES1T_IbLb1EEEEDaS1P_S1Q_EUlS1P_E_NS1_11comp_targetILNS1_3genE0ELNS1_11target_archE4294967295ELNS1_3gpuE0ELNS1_3repE0EEENS1_30default_config_static_selectorELNS0_4arch9wavefront6targetE0EEEvS12_ ; -- Begin function _ZN7rocprim17ROCPRIM_400000_NS6detail17trampoline_kernelINS0_13select_configILj256ELj13ELNS0_17block_load_methodE3ELS4_3ELS4_3ELNS0_20block_scan_algorithmE0ELj4294967295EEENS1_25partition_config_selectorILNS1_17partition_subalgoE4EjNS0_10empty_typeEbEEZZNS1_14partition_implILS8_4ELb0ES6_15HIP_vector_typeIjLj2EENS0_17counting_iteratorIjlEEPS9_SG_NS0_5tupleIJPjSI_NS0_16reverse_iteratorISI_EEEEENSH_IJSG_SG_SG_EEES9_SI_JZNS1_25segmented_radix_sort_implINS0_14default_configELb0EPKhPhPKlPlN2at6native12_GLOBAL__N_18offset_tEEE10hipError_tPvRmT1_PNSt15iterator_traitsIS12_E10value_typeET2_T3_PNS13_IS18_E10value_typeET4_jRbjT5_S1E_jjP12ihipStream_tbEUljE_ZNSN_ISO_Lb0ESQ_SR_ST_SU_SY_EESZ_S10_S11_S12_S16_S17_S18_S1B_S1C_jS1D_jS1E_S1E_jjS1G_bEUljE0_EEESZ_S10_S11_S18_S1C_S1E_T6_T7_T9_mT8_S1G_bDpT10_ENKUlT_T0_E_clISt17integral_constantIbLb0EES1T_IbLb1EEEEDaS1P_S1Q_EUlS1P_E_NS1_11comp_targetILNS1_3genE0ELNS1_11target_archE4294967295ELNS1_3gpuE0ELNS1_3repE0EEENS1_30default_config_static_selectorELNS0_4arch9wavefront6targetE0EEEvS12_
	.p2align	8
	.type	_ZN7rocprim17ROCPRIM_400000_NS6detail17trampoline_kernelINS0_13select_configILj256ELj13ELNS0_17block_load_methodE3ELS4_3ELS4_3ELNS0_20block_scan_algorithmE0ELj4294967295EEENS1_25partition_config_selectorILNS1_17partition_subalgoE4EjNS0_10empty_typeEbEEZZNS1_14partition_implILS8_4ELb0ES6_15HIP_vector_typeIjLj2EENS0_17counting_iteratorIjlEEPS9_SG_NS0_5tupleIJPjSI_NS0_16reverse_iteratorISI_EEEEENSH_IJSG_SG_SG_EEES9_SI_JZNS1_25segmented_radix_sort_implINS0_14default_configELb0EPKhPhPKlPlN2at6native12_GLOBAL__N_18offset_tEEE10hipError_tPvRmT1_PNSt15iterator_traitsIS12_E10value_typeET2_T3_PNS13_IS18_E10value_typeET4_jRbjT5_S1E_jjP12ihipStream_tbEUljE_ZNSN_ISO_Lb0ESQ_SR_ST_SU_SY_EESZ_S10_S11_S12_S16_S17_S18_S1B_S1C_jS1D_jS1E_S1E_jjS1G_bEUljE0_EEESZ_S10_S11_S18_S1C_S1E_T6_T7_T9_mT8_S1G_bDpT10_ENKUlT_T0_E_clISt17integral_constantIbLb0EES1T_IbLb1EEEEDaS1P_S1Q_EUlS1P_E_NS1_11comp_targetILNS1_3genE0ELNS1_11target_archE4294967295ELNS1_3gpuE0ELNS1_3repE0EEENS1_30default_config_static_selectorELNS0_4arch9wavefront6targetE0EEEvS12_,@function
_ZN7rocprim17ROCPRIM_400000_NS6detail17trampoline_kernelINS0_13select_configILj256ELj13ELNS0_17block_load_methodE3ELS4_3ELS4_3ELNS0_20block_scan_algorithmE0ELj4294967295EEENS1_25partition_config_selectorILNS1_17partition_subalgoE4EjNS0_10empty_typeEbEEZZNS1_14partition_implILS8_4ELb0ES6_15HIP_vector_typeIjLj2EENS0_17counting_iteratorIjlEEPS9_SG_NS0_5tupleIJPjSI_NS0_16reverse_iteratorISI_EEEEENSH_IJSG_SG_SG_EEES9_SI_JZNS1_25segmented_radix_sort_implINS0_14default_configELb0EPKhPhPKlPlN2at6native12_GLOBAL__N_18offset_tEEE10hipError_tPvRmT1_PNSt15iterator_traitsIS12_E10value_typeET2_T3_PNS13_IS18_E10value_typeET4_jRbjT5_S1E_jjP12ihipStream_tbEUljE_ZNSN_ISO_Lb0ESQ_SR_ST_SU_SY_EESZ_S10_S11_S12_S16_S17_S18_S1B_S1C_jS1D_jS1E_S1E_jjS1G_bEUljE0_EEESZ_S10_S11_S18_S1C_S1E_T6_T7_T9_mT8_S1G_bDpT10_ENKUlT_T0_E_clISt17integral_constantIbLb0EES1T_IbLb1EEEEDaS1P_S1Q_EUlS1P_E_NS1_11comp_targetILNS1_3genE0ELNS1_11target_archE4294967295ELNS1_3gpuE0ELNS1_3repE0EEENS1_30default_config_static_selectorELNS0_4arch9wavefront6targetE0EEEvS12_: ; @_ZN7rocprim17ROCPRIM_400000_NS6detail17trampoline_kernelINS0_13select_configILj256ELj13ELNS0_17block_load_methodE3ELS4_3ELS4_3ELNS0_20block_scan_algorithmE0ELj4294967295EEENS1_25partition_config_selectorILNS1_17partition_subalgoE4EjNS0_10empty_typeEbEEZZNS1_14partition_implILS8_4ELb0ES6_15HIP_vector_typeIjLj2EENS0_17counting_iteratorIjlEEPS9_SG_NS0_5tupleIJPjSI_NS0_16reverse_iteratorISI_EEEEENSH_IJSG_SG_SG_EEES9_SI_JZNS1_25segmented_radix_sort_implINS0_14default_configELb0EPKhPhPKlPlN2at6native12_GLOBAL__N_18offset_tEEE10hipError_tPvRmT1_PNSt15iterator_traitsIS12_E10value_typeET2_T3_PNS13_IS18_E10value_typeET4_jRbjT5_S1E_jjP12ihipStream_tbEUljE_ZNSN_ISO_Lb0ESQ_SR_ST_SU_SY_EESZ_S10_S11_S12_S16_S17_S18_S1B_S1C_jS1D_jS1E_S1E_jjS1G_bEUljE0_EEESZ_S10_S11_S18_S1C_S1E_T6_T7_T9_mT8_S1G_bDpT10_ENKUlT_T0_E_clISt17integral_constantIbLb0EES1T_IbLb1EEEEDaS1P_S1Q_EUlS1P_E_NS1_11comp_targetILNS1_3genE0ELNS1_11target_archE4294967295ELNS1_3gpuE0ELNS1_3repE0EEENS1_30default_config_static_selectorELNS0_4arch9wavefront6targetE0EEEvS12_
; %bb.0:
	.section	.rodata,"a",@progbits
	.p2align	6, 0x0
	.amdhsa_kernel _ZN7rocprim17ROCPRIM_400000_NS6detail17trampoline_kernelINS0_13select_configILj256ELj13ELNS0_17block_load_methodE3ELS4_3ELS4_3ELNS0_20block_scan_algorithmE0ELj4294967295EEENS1_25partition_config_selectorILNS1_17partition_subalgoE4EjNS0_10empty_typeEbEEZZNS1_14partition_implILS8_4ELb0ES6_15HIP_vector_typeIjLj2EENS0_17counting_iteratorIjlEEPS9_SG_NS0_5tupleIJPjSI_NS0_16reverse_iteratorISI_EEEEENSH_IJSG_SG_SG_EEES9_SI_JZNS1_25segmented_radix_sort_implINS0_14default_configELb0EPKhPhPKlPlN2at6native12_GLOBAL__N_18offset_tEEE10hipError_tPvRmT1_PNSt15iterator_traitsIS12_E10value_typeET2_T3_PNS13_IS18_E10value_typeET4_jRbjT5_S1E_jjP12ihipStream_tbEUljE_ZNSN_ISO_Lb0ESQ_SR_ST_SU_SY_EESZ_S10_S11_S12_S16_S17_S18_S1B_S1C_jS1D_jS1E_S1E_jjS1G_bEUljE0_EEESZ_S10_S11_S18_S1C_S1E_T6_T7_T9_mT8_S1G_bDpT10_ENKUlT_T0_E_clISt17integral_constantIbLb0EES1T_IbLb1EEEEDaS1P_S1Q_EUlS1P_E_NS1_11comp_targetILNS1_3genE0ELNS1_11target_archE4294967295ELNS1_3gpuE0ELNS1_3repE0EEENS1_30default_config_static_selectorELNS0_4arch9wavefront6targetE0EEEvS12_
		.amdhsa_group_segment_fixed_size 0
		.amdhsa_private_segment_fixed_size 0
		.amdhsa_kernarg_size 184
		.amdhsa_user_sgpr_count 6
		.amdhsa_user_sgpr_private_segment_buffer 1
		.amdhsa_user_sgpr_dispatch_ptr 0
		.amdhsa_user_sgpr_queue_ptr 0
		.amdhsa_user_sgpr_kernarg_segment_ptr 1
		.amdhsa_user_sgpr_dispatch_id 0
		.amdhsa_user_sgpr_flat_scratch_init 0
		.amdhsa_user_sgpr_private_segment_size 0
		.amdhsa_wavefront_size32 1
		.amdhsa_uses_dynamic_stack 0
		.amdhsa_system_sgpr_private_segment_wavefront_offset 0
		.amdhsa_system_sgpr_workgroup_id_x 1
		.amdhsa_system_sgpr_workgroup_id_y 0
		.amdhsa_system_sgpr_workgroup_id_z 0
		.amdhsa_system_sgpr_workgroup_info 0
		.amdhsa_system_vgpr_workitem_id 0
		.amdhsa_next_free_vgpr 1
		.amdhsa_next_free_sgpr 1
		.amdhsa_reserve_vcc 0
		.amdhsa_reserve_flat_scratch 0
		.amdhsa_float_round_mode_32 0
		.amdhsa_float_round_mode_16_64 0
		.amdhsa_float_denorm_mode_32 3
		.amdhsa_float_denorm_mode_16_64 3
		.amdhsa_dx10_clamp 1
		.amdhsa_ieee_mode 1
		.amdhsa_fp16_overflow 0
		.amdhsa_workgroup_processor_mode 1
		.amdhsa_memory_ordered 1
		.amdhsa_forward_progress 1
		.amdhsa_shared_vgpr_count 0
		.amdhsa_exception_fp_ieee_invalid_op 0
		.amdhsa_exception_fp_denorm_src 0
		.amdhsa_exception_fp_ieee_div_zero 0
		.amdhsa_exception_fp_ieee_overflow 0
		.amdhsa_exception_fp_ieee_underflow 0
		.amdhsa_exception_fp_ieee_inexact 0
		.amdhsa_exception_int_div_zero 0
	.end_amdhsa_kernel
	.section	.text._ZN7rocprim17ROCPRIM_400000_NS6detail17trampoline_kernelINS0_13select_configILj256ELj13ELNS0_17block_load_methodE3ELS4_3ELS4_3ELNS0_20block_scan_algorithmE0ELj4294967295EEENS1_25partition_config_selectorILNS1_17partition_subalgoE4EjNS0_10empty_typeEbEEZZNS1_14partition_implILS8_4ELb0ES6_15HIP_vector_typeIjLj2EENS0_17counting_iteratorIjlEEPS9_SG_NS0_5tupleIJPjSI_NS0_16reverse_iteratorISI_EEEEENSH_IJSG_SG_SG_EEES9_SI_JZNS1_25segmented_radix_sort_implINS0_14default_configELb0EPKhPhPKlPlN2at6native12_GLOBAL__N_18offset_tEEE10hipError_tPvRmT1_PNSt15iterator_traitsIS12_E10value_typeET2_T3_PNS13_IS18_E10value_typeET4_jRbjT5_S1E_jjP12ihipStream_tbEUljE_ZNSN_ISO_Lb0ESQ_SR_ST_SU_SY_EESZ_S10_S11_S12_S16_S17_S18_S1B_S1C_jS1D_jS1E_S1E_jjS1G_bEUljE0_EEESZ_S10_S11_S18_S1C_S1E_T6_T7_T9_mT8_S1G_bDpT10_ENKUlT_T0_E_clISt17integral_constantIbLb0EES1T_IbLb1EEEEDaS1P_S1Q_EUlS1P_E_NS1_11comp_targetILNS1_3genE0ELNS1_11target_archE4294967295ELNS1_3gpuE0ELNS1_3repE0EEENS1_30default_config_static_selectorELNS0_4arch9wavefront6targetE0EEEvS12_,"axG",@progbits,_ZN7rocprim17ROCPRIM_400000_NS6detail17trampoline_kernelINS0_13select_configILj256ELj13ELNS0_17block_load_methodE3ELS4_3ELS4_3ELNS0_20block_scan_algorithmE0ELj4294967295EEENS1_25partition_config_selectorILNS1_17partition_subalgoE4EjNS0_10empty_typeEbEEZZNS1_14partition_implILS8_4ELb0ES6_15HIP_vector_typeIjLj2EENS0_17counting_iteratorIjlEEPS9_SG_NS0_5tupleIJPjSI_NS0_16reverse_iteratorISI_EEEEENSH_IJSG_SG_SG_EEES9_SI_JZNS1_25segmented_radix_sort_implINS0_14default_configELb0EPKhPhPKlPlN2at6native12_GLOBAL__N_18offset_tEEE10hipError_tPvRmT1_PNSt15iterator_traitsIS12_E10value_typeET2_T3_PNS13_IS18_E10value_typeET4_jRbjT5_S1E_jjP12ihipStream_tbEUljE_ZNSN_ISO_Lb0ESQ_SR_ST_SU_SY_EESZ_S10_S11_S12_S16_S17_S18_S1B_S1C_jS1D_jS1E_S1E_jjS1G_bEUljE0_EEESZ_S10_S11_S18_S1C_S1E_T6_T7_T9_mT8_S1G_bDpT10_ENKUlT_T0_E_clISt17integral_constantIbLb0EES1T_IbLb1EEEEDaS1P_S1Q_EUlS1P_E_NS1_11comp_targetILNS1_3genE0ELNS1_11target_archE4294967295ELNS1_3gpuE0ELNS1_3repE0EEENS1_30default_config_static_selectorELNS0_4arch9wavefront6targetE0EEEvS12_,comdat
.Lfunc_end145:
	.size	_ZN7rocprim17ROCPRIM_400000_NS6detail17trampoline_kernelINS0_13select_configILj256ELj13ELNS0_17block_load_methodE3ELS4_3ELS4_3ELNS0_20block_scan_algorithmE0ELj4294967295EEENS1_25partition_config_selectorILNS1_17partition_subalgoE4EjNS0_10empty_typeEbEEZZNS1_14partition_implILS8_4ELb0ES6_15HIP_vector_typeIjLj2EENS0_17counting_iteratorIjlEEPS9_SG_NS0_5tupleIJPjSI_NS0_16reverse_iteratorISI_EEEEENSH_IJSG_SG_SG_EEES9_SI_JZNS1_25segmented_radix_sort_implINS0_14default_configELb0EPKhPhPKlPlN2at6native12_GLOBAL__N_18offset_tEEE10hipError_tPvRmT1_PNSt15iterator_traitsIS12_E10value_typeET2_T3_PNS13_IS18_E10value_typeET4_jRbjT5_S1E_jjP12ihipStream_tbEUljE_ZNSN_ISO_Lb0ESQ_SR_ST_SU_SY_EESZ_S10_S11_S12_S16_S17_S18_S1B_S1C_jS1D_jS1E_S1E_jjS1G_bEUljE0_EEESZ_S10_S11_S18_S1C_S1E_T6_T7_T9_mT8_S1G_bDpT10_ENKUlT_T0_E_clISt17integral_constantIbLb0EES1T_IbLb1EEEEDaS1P_S1Q_EUlS1P_E_NS1_11comp_targetILNS1_3genE0ELNS1_11target_archE4294967295ELNS1_3gpuE0ELNS1_3repE0EEENS1_30default_config_static_selectorELNS0_4arch9wavefront6targetE0EEEvS12_, .Lfunc_end145-_ZN7rocprim17ROCPRIM_400000_NS6detail17trampoline_kernelINS0_13select_configILj256ELj13ELNS0_17block_load_methodE3ELS4_3ELS4_3ELNS0_20block_scan_algorithmE0ELj4294967295EEENS1_25partition_config_selectorILNS1_17partition_subalgoE4EjNS0_10empty_typeEbEEZZNS1_14partition_implILS8_4ELb0ES6_15HIP_vector_typeIjLj2EENS0_17counting_iteratorIjlEEPS9_SG_NS0_5tupleIJPjSI_NS0_16reverse_iteratorISI_EEEEENSH_IJSG_SG_SG_EEES9_SI_JZNS1_25segmented_radix_sort_implINS0_14default_configELb0EPKhPhPKlPlN2at6native12_GLOBAL__N_18offset_tEEE10hipError_tPvRmT1_PNSt15iterator_traitsIS12_E10value_typeET2_T3_PNS13_IS18_E10value_typeET4_jRbjT5_S1E_jjP12ihipStream_tbEUljE_ZNSN_ISO_Lb0ESQ_SR_ST_SU_SY_EESZ_S10_S11_S12_S16_S17_S18_S1B_S1C_jS1D_jS1E_S1E_jjS1G_bEUljE0_EEESZ_S10_S11_S18_S1C_S1E_T6_T7_T9_mT8_S1G_bDpT10_ENKUlT_T0_E_clISt17integral_constantIbLb0EES1T_IbLb1EEEEDaS1P_S1Q_EUlS1P_E_NS1_11comp_targetILNS1_3genE0ELNS1_11target_archE4294967295ELNS1_3gpuE0ELNS1_3repE0EEENS1_30default_config_static_selectorELNS0_4arch9wavefront6targetE0EEEvS12_
                                        ; -- End function
	.set _ZN7rocprim17ROCPRIM_400000_NS6detail17trampoline_kernelINS0_13select_configILj256ELj13ELNS0_17block_load_methodE3ELS4_3ELS4_3ELNS0_20block_scan_algorithmE0ELj4294967295EEENS1_25partition_config_selectorILNS1_17partition_subalgoE4EjNS0_10empty_typeEbEEZZNS1_14partition_implILS8_4ELb0ES6_15HIP_vector_typeIjLj2EENS0_17counting_iteratorIjlEEPS9_SG_NS0_5tupleIJPjSI_NS0_16reverse_iteratorISI_EEEEENSH_IJSG_SG_SG_EEES9_SI_JZNS1_25segmented_radix_sort_implINS0_14default_configELb0EPKhPhPKlPlN2at6native12_GLOBAL__N_18offset_tEEE10hipError_tPvRmT1_PNSt15iterator_traitsIS12_E10value_typeET2_T3_PNS13_IS18_E10value_typeET4_jRbjT5_S1E_jjP12ihipStream_tbEUljE_ZNSN_ISO_Lb0ESQ_SR_ST_SU_SY_EESZ_S10_S11_S12_S16_S17_S18_S1B_S1C_jS1D_jS1E_S1E_jjS1G_bEUljE0_EEESZ_S10_S11_S18_S1C_S1E_T6_T7_T9_mT8_S1G_bDpT10_ENKUlT_T0_E_clISt17integral_constantIbLb0EES1T_IbLb1EEEEDaS1P_S1Q_EUlS1P_E_NS1_11comp_targetILNS1_3genE0ELNS1_11target_archE4294967295ELNS1_3gpuE0ELNS1_3repE0EEENS1_30default_config_static_selectorELNS0_4arch9wavefront6targetE0EEEvS12_.num_vgpr, 0
	.set _ZN7rocprim17ROCPRIM_400000_NS6detail17trampoline_kernelINS0_13select_configILj256ELj13ELNS0_17block_load_methodE3ELS4_3ELS4_3ELNS0_20block_scan_algorithmE0ELj4294967295EEENS1_25partition_config_selectorILNS1_17partition_subalgoE4EjNS0_10empty_typeEbEEZZNS1_14partition_implILS8_4ELb0ES6_15HIP_vector_typeIjLj2EENS0_17counting_iteratorIjlEEPS9_SG_NS0_5tupleIJPjSI_NS0_16reverse_iteratorISI_EEEEENSH_IJSG_SG_SG_EEES9_SI_JZNS1_25segmented_radix_sort_implINS0_14default_configELb0EPKhPhPKlPlN2at6native12_GLOBAL__N_18offset_tEEE10hipError_tPvRmT1_PNSt15iterator_traitsIS12_E10value_typeET2_T3_PNS13_IS18_E10value_typeET4_jRbjT5_S1E_jjP12ihipStream_tbEUljE_ZNSN_ISO_Lb0ESQ_SR_ST_SU_SY_EESZ_S10_S11_S12_S16_S17_S18_S1B_S1C_jS1D_jS1E_S1E_jjS1G_bEUljE0_EEESZ_S10_S11_S18_S1C_S1E_T6_T7_T9_mT8_S1G_bDpT10_ENKUlT_T0_E_clISt17integral_constantIbLb0EES1T_IbLb1EEEEDaS1P_S1Q_EUlS1P_E_NS1_11comp_targetILNS1_3genE0ELNS1_11target_archE4294967295ELNS1_3gpuE0ELNS1_3repE0EEENS1_30default_config_static_selectorELNS0_4arch9wavefront6targetE0EEEvS12_.num_agpr, 0
	.set _ZN7rocprim17ROCPRIM_400000_NS6detail17trampoline_kernelINS0_13select_configILj256ELj13ELNS0_17block_load_methodE3ELS4_3ELS4_3ELNS0_20block_scan_algorithmE0ELj4294967295EEENS1_25partition_config_selectorILNS1_17partition_subalgoE4EjNS0_10empty_typeEbEEZZNS1_14partition_implILS8_4ELb0ES6_15HIP_vector_typeIjLj2EENS0_17counting_iteratorIjlEEPS9_SG_NS0_5tupleIJPjSI_NS0_16reverse_iteratorISI_EEEEENSH_IJSG_SG_SG_EEES9_SI_JZNS1_25segmented_radix_sort_implINS0_14default_configELb0EPKhPhPKlPlN2at6native12_GLOBAL__N_18offset_tEEE10hipError_tPvRmT1_PNSt15iterator_traitsIS12_E10value_typeET2_T3_PNS13_IS18_E10value_typeET4_jRbjT5_S1E_jjP12ihipStream_tbEUljE_ZNSN_ISO_Lb0ESQ_SR_ST_SU_SY_EESZ_S10_S11_S12_S16_S17_S18_S1B_S1C_jS1D_jS1E_S1E_jjS1G_bEUljE0_EEESZ_S10_S11_S18_S1C_S1E_T6_T7_T9_mT8_S1G_bDpT10_ENKUlT_T0_E_clISt17integral_constantIbLb0EES1T_IbLb1EEEEDaS1P_S1Q_EUlS1P_E_NS1_11comp_targetILNS1_3genE0ELNS1_11target_archE4294967295ELNS1_3gpuE0ELNS1_3repE0EEENS1_30default_config_static_selectorELNS0_4arch9wavefront6targetE0EEEvS12_.numbered_sgpr, 0
	.set _ZN7rocprim17ROCPRIM_400000_NS6detail17trampoline_kernelINS0_13select_configILj256ELj13ELNS0_17block_load_methodE3ELS4_3ELS4_3ELNS0_20block_scan_algorithmE0ELj4294967295EEENS1_25partition_config_selectorILNS1_17partition_subalgoE4EjNS0_10empty_typeEbEEZZNS1_14partition_implILS8_4ELb0ES6_15HIP_vector_typeIjLj2EENS0_17counting_iteratorIjlEEPS9_SG_NS0_5tupleIJPjSI_NS0_16reverse_iteratorISI_EEEEENSH_IJSG_SG_SG_EEES9_SI_JZNS1_25segmented_radix_sort_implINS0_14default_configELb0EPKhPhPKlPlN2at6native12_GLOBAL__N_18offset_tEEE10hipError_tPvRmT1_PNSt15iterator_traitsIS12_E10value_typeET2_T3_PNS13_IS18_E10value_typeET4_jRbjT5_S1E_jjP12ihipStream_tbEUljE_ZNSN_ISO_Lb0ESQ_SR_ST_SU_SY_EESZ_S10_S11_S12_S16_S17_S18_S1B_S1C_jS1D_jS1E_S1E_jjS1G_bEUljE0_EEESZ_S10_S11_S18_S1C_S1E_T6_T7_T9_mT8_S1G_bDpT10_ENKUlT_T0_E_clISt17integral_constantIbLb0EES1T_IbLb1EEEEDaS1P_S1Q_EUlS1P_E_NS1_11comp_targetILNS1_3genE0ELNS1_11target_archE4294967295ELNS1_3gpuE0ELNS1_3repE0EEENS1_30default_config_static_selectorELNS0_4arch9wavefront6targetE0EEEvS12_.num_named_barrier, 0
	.set _ZN7rocprim17ROCPRIM_400000_NS6detail17trampoline_kernelINS0_13select_configILj256ELj13ELNS0_17block_load_methodE3ELS4_3ELS4_3ELNS0_20block_scan_algorithmE0ELj4294967295EEENS1_25partition_config_selectorILNS1_17partition_subalgoE4EjNS0_10empty_typeEbEEZZNS1_14partition_implILS8_4ELb0ES6_15HIP_vector_typeIjLj2EENS0_17counting_iteratorIjlEEPS9_SG_NS0_5tupleIJPjSI_NS0_16reverse_iteratorISI_EEEEENSH_IJSG_SG_SG_EEES9_SI_JZNS1_25segmented_radix_sort_implINS0_14default_configELb0EPKhPhPKlPlN2at6native12_GLOBAL__N_18offset_tEEE10hipError_tPvRmT1_PNSt15iterator_traitsIS12_E10value_typeET2_T3_PNS13_IS18_E10value_typeET4_jRbjT5_S1E_jjP12ihipStream_tbEUljE_ZNSN_ISO_Lb0ESQ_SR_ST_SU_SY_EESZ_S10_S11_S12_S16_S17_S18_S1B_S1C_jS1D_jS1E_S1E_jjS1G_bEUljE0_EEESZ_S10_S11_S18_S1C_S1E_T6_T7_T9_mT8_S1G_bDpT10_ENKUlT_T0_E_clISt17integral_constantIbLb0EES1T_IbLb1EEEEDaS1P_S1Q_EUlS1P_E_NS1_11comp_targetILNS1_3genE0ELNS1_11target_archE4294967295ELNS1_3gpuE0ELNS1_3repE0EEENS1_30default_config_static_selectorELNS0_4arch9wavefront6targetE0EEEvS12_.private_seg_size, 0
	.set _ZN7rocprim17ROCPRIM_400000_NS6detail17trampoline_kernelINS0_13select_configILj256ELj13ELNS0_17block_load_methodE3ELS4_3ELS4_3ELNS0_20block_scan_algorithmE0ELj4294967295EEENS1_25partition_config_selectorILNS1_17partition_subalgoE4EjNS0_10empty_typeEbEEZZNS1_14partition_implILS8_4ELb0ES6_15HIP_vector_typeIjLj2EENS0_17counting_iteratorIjlEEPS9_SG_NS0_5tupleIJPjSI_NS0_16reverse_iteratorISI_EEEEENSH_IJSG_SG_SG_EEES9_SI_JZNS1_25segmented_radix_sort_implINS0_14default_configELb0EPKhPhPKlPlN2at6native12_GLOBAL__N_18offset_tEEE10hipError_tPvRmT1_PNSt15iterator_traitsIS12_E10value_typeET2_T3_PNS13_IS18_E10value_typeET4_jRbjT5_S1E_jjP12ihipStream_tbEUljE_ZNSN_ISO_Lb0ESQ_SR_ST_SU_SY_EESZ_S10_S11_S12_S16_S17_S18_S1B_S1C_jS1D_jS1E_S1E_jjS1G_bEUljE0_EEESZ_S10_S11_S18_S1C_S1E_T6_T7_T9_mT8_S1G_bDpT10_ENKUlT_T0_E_clISt17integral_constantIbLb0EES1T_IbLb1EEEEDaS1P_S1Q_EUlS1P_E_NS1_11comp_targetILNS1_3genE0ELNS1_11target_archE4294967295ELNS1_3gpuE0ELNS1_3repE0EEENS1_30default_config_static_selectorELNS0_4arch9wavefront6targetE0EEEvS12_.uses_vcc, 0
	.set _ZN7rocprim17ROCPRIM_400000_NS6detail17trampoline_kernelINS0_13select_configILj256ELj13ELNS0_17block_load_methodE3ELS4_3ELS4_3ELNS0_20block_scan_algorithmE0ELj4294967295EEENS1_25partition_config_selectorILNS1_17partition_subalgoE4EjNS0_10empty_typeEbEEZZNS1_14partition_implILS8_4ELb0ES6_15HIP_vector_typeIjLj2EENS0_17counting_iteratorIjlEEPS9_SG_NS0_5tupleIJPjSI_NS0_16reverse_iteratorISI_EEEEENSH_IJSG_SG_SG_EEES9_SI_JZNS1_25segmented_radix_sort_implINS0_14default_configELb0EPKhPhPKlPlN2at6native12_GLOBAL__N_18offset_tEEE10hipError_tPvRmT1_PNSt15iterator_traitsIS12_E10value_typeET2_T3_PNS13_IS18_E10value_typeET4_jRbjT5_S1E_jjP12ihipStream_tbEUljE_ZNSN_ISO_Lb0ESQ_SR_ST_SU_SY_EESZ_S10_S11_S12_S16_S17_S18_S1B_S1C_jS1D_jS1E_S1E_jjS1G_bEUljE0_EEESZ_S10_S11_S18_S1C_S1E_T6_T7_T9_mT8_S1G_bDpT10_ENKUlT_T0_E_clISt17integral_constantIbLb0EES1T_IbLb1EEEEDaS1P_S1Q_EUlS1P_E_NS1_11comp_targetILNS1_3genE0ELNS1_11target_archE4294967295ELNS1_3gpuE0ELNS1_3repE0EEENS1_30default_config_static_selectorELNS0_4arch9wavefront6targetE0EEEvS12_.uses_flat_scratch, 0
	.set _ZN7rocprim17ROCPRIM_400000_NS6detail17trampoline_kernelINS0_13select_configILj256ELj13ELNS0_17block_load_methodE3ELS4_3ELS4_3ELNS0_20block_scan_algorithmE0ELj4294967295EEENS1_25partition_config_selectorILNS1_17partition_subalgoE4EjNS0_10empty_typeEbEEZZNS1_14partition_implILS8_4ELb0ES6_15HIP_vector_typeIjLj2EENS0_17counting_iteratorIjlEEPS9_SG_NS0_5tupleIJPjSI_NS0_16reverse_iteratorISI_EEEEENSH_IJSG_SG_SG_EEES9_SI_JZNS1_25segmented_radix_sort_implINS0_14default_configELb0EPKhPhPKlPlN2at6native12_GLOBAL__N_18offset_tEEE10hipError_tPvRmT1_PNSt15iterator_traitsIS12_E10value_typeET2_T3_PNS13_IS18_E10value_typeET4_jRbjT5_S1E_jjP12ihipStream_tbEUljE_ZNSN_ISO_Lb0ESQ_SR_ST_SU_SY_EESZ_S10_S11_S12_S16_S17_S18_S1B_S1C_jS1D_jS1E_S1E_jjS1G_bEUljE0_EEESZ_S10_S11_S18_S1C_S1E_T6_T7_T9_mT8_S1G_bDpT10_ENKUlT_T0_E_clISt17integral_constantIbLb0EES1T_IbLb1EEEEDaS1P_S1Q_EUlS1P_E_NS1_11comp_targetILNS1_3genE0ELNS1_11target_archE4294967295ELNS1_3gpuE0ELNS1_3repE0EEENS1_30default_config_static_selectorELNS0_4arch9wavefront6targetE0EEEvS12_.has_dyn_sized_stack, 0
	.set _ZN7rocprim17ROCPRIM_400000_NS6detail17trampoline_kernelINS0_13select_configILj256ELj13ELNS0_17block_load_methodE3ELS4_3ELS4_3ELNS0_20block_scan_algorithmE0ELj4294967295EEENS1_25partition_config_selectorILNS1_17partition_subalgoE4EjNS0_10empty_typeEbEEZZNS1_14partition_implILS8_4ELb0ES6_15HIP_vector_typeIjLj2EENS0_17counting_iteratorIjlEEPS9_SG_NS0_5tupleIJPjSI_NS0_16reverse_iteratorISI_EEEEENSH_IJSG_SG_SG_EEES9_SI_JZNS1_25segmented_radix_sort_implINS0_14default_configELb0EPKhPhPKlPlN2at6native12_GLOBAL__N_18offset_tEEE10hipError_tPvRmT1_PNSt15iterator_traitsIS12_E10value_typeET2_T3_PNS13_IS18_E10value_typeET4_jRbjT5_S1E_jjP12ihipStream_tbEUljE_ZNSN_ISO_Lb0ESQ_SR_ST_SU_SY_EESZ_S10_S11_S12_S16_S17_S18_S1B_S1C_jS1D_jS1E_S1E_jjS1G_bEUljE0_EEESZ_S10_S11_S18_S1C_S1E_T6_T7_T9_mT8_S1G_bDpT10_ENKUlT_T0_E_clISt17integral_constantIbLb0EES1T_IbLb1EEEEDaS1P_S1Q_EUlS1P_E_NS1_11comp_targetILNS1_3genE0ELNS1_11target_archE4294967295ELNS1_3gpuE0ELNS1_3repE0EEENS1_30default_config_static_selectorELNS0_4arch9wavefront6targetE0EEEvS12_.has_recursion, 0
	.set _ZN7rocprim17ROCPRIM_400000_NS6detail17trampoline_kernelINS0_13select_configILj256ELj13ELNS0_17block_load_methodE3ELS4_3ELS4_3ELNS0_20block_scan_algorithmE0ELj4294967295EEENS1_25partition_config_selectorILNS1_17partition_subalgoE4EjNS0_10empty_typeEbEEZZNS1_14partition_implILS8_4ELb0ES6_15HIP_vector_typeIjLj2EENS0_17counting_iteratorIjlEEPS9_SG_NS0_5tupleIJPjSI_NS0_16reverse_iteratorISI_EEEEENSH_IJSG_SG_SG_EEES9_SI_JZNS1_25segmented_radix_sort_implINS0_14default_configELb0EPKhPhPKlPlN2at6native12_GLOBAL__N_18offset_tEEE10hipError_tPvRmT1_PNSt15iterator_traitsIS12_E10value_typeET2_T3_PNS13_IS18_E10value_typeET4_jRbjT5_S1E_jjP12ihipStream_tbEUljE_ZNSN_ISO_Lb0ESQ_SR_ST_SU_SY_EESZ_S10_S11_S12_S16_S17_S18_S1B_S1C_jS1D_jS1E_S1E_jjS1G_bEUljE0_EEESZ_S10_S11_S18_S1C_S1E_T6_T7_T9_mT8_S1G_bDpT10_ENKUlT_T0_E_clISt17integral_constantIbLb0EES1T_IbLb1EEEEDaS1P_S1Q_EUlS1P_E_NS1_11comp_targetILNS1_3genE0ELNS1_11target_archE4294967295ELNS1_3gpuE0ELNS1_3repE0EEENS1_30default_config_static_selectorELNS0_4arch9wavefront6targetE0EEEvS12_.has_indirect_call, 0
	.section	.AMDGPU.csdata,"",@progbits
; Kernel info:
; codeLenInByte = 0
; TotalNumSgprs: 0
; NumVgprs: 0
; ScratchSize: 0
; MemoryBound: 0
; FloatMode: 240
; IeeeMode: 1
; LDSByteSize: 0 bytes/workgroup (compile time only)
; SGPRBlocks: 0
; VGPRBlocks: 0
; NumSGPRsForWavesPerEU: 1
; NumVGPRsForWavesPerEU: 1
; Occupancy: 16
; WaveLimiterHint : 0
; COMPUTE_PGM_RSRC2:SCRATCH_EN: 0
; COMPUTE_PGM_RSRC2:USER_SGPR: 6
; COMPUTE_PGM_RSRC2:TRAP_HANDLER: 0
; COMPUTE_PGM_RSRC2:TGID_X_EN: 1
; COMPUTE_PGM_RSRC2:TGID_Y_EN: 0
; COMPUTE_PGM_RSRC2:TGID_Z_EN: 0
; COMPUTE_PGM_RSRC2:TIDIG_COMP_CNT: 0
	.section	.text._ZN7rocprim17ROCPRIM_400000_NS6detail17trampoline_kernelINS0_13select_configILj256ELj13ELNS0_17block_load_methodE3ELS4_3ELS4_3ELNS0_20block_scan_algorithmE0ELj4294967295EEENS1_25partition_config_selectorILNS1_17partition_subalgoE4EjNS0_10empty_typeEbEEZZNS1_14partition_implILS8_4ELb0ES6_15HIP_vector_typeIjLj2EENS0_17counting_iteratorIjlEEPS9_SG_NS0_5tupleIJPjSI_NS0_16reverse_iteratorISI_EEEEENSH_IJSG_SG_SG_EEES9_SI_JZNS1_25segmented_radix_sort_implINS0_14default_configELb0EPKhPhPKlPlN2at6native12_GLOBAL__N_18offset_tEEE10hipError_tPvRmT1_PNSt15iterator_traitsIS12_E10value_typeET2_T3_PNS13_IS18_E10value_typeET4_jRbjT5_S1E_jjP12ihipStream_tbEUljE_ZNSN_ISO_Lb0ESQ_SR_ST_SU_SY_EESZ_S10_S11_S12_S16_S17_S18_S1B_S1C_jS1D_jS1E_S1E_jjS1G_bEUljE0_EEESZ_S10_S11_S18_S1C_S1E_T6_T7_T9_mT8_S1G_bDpT10_ENKUlT_T0_E_clISt17integral_constantIbLb0EES1T_IbLb1EEEEDaS1P_S1Q_EUlS1P_E_NS1_11comp_targetILNS1_3genE5ELNS1_11target_archE942ELNS1_3gpuE9ELNS1_3repE0EEENS1_30default_config_static_selectorELNS0_4arch9wavefront6targetE0EEEvS12_,"axG",@progbits,_ZN7rocprim17ROCPRIM_400000_NS6detail17trampoline_kernelINS0_13select_configILj256ELj13ELNS0_17block_load_methodE3ELS4_3ELS4_3ELNS0_20block_scan_algorithmE0ELj4294967295EEENS1_25partition_config_selectorILNS1_17partition_subalgoE4EjNS0_10empty_typeEbEEZZNS1_14partition_implILS8_4ELb0ES6_15HIP_vector_typeIjLj2EENS0_17counting_iteratorIjlEEPS9_SG_NS0_5tupleIJPjSI_NS0_16reverse_iteratorISI_EEEEENSH_IJSG_SG_SG_EEES9_SI_JZNS1_25segmented_radix_sort_implINS0_14default_configELb0EPKhPhPKlPlN2at6native12_GLOBAL__N_18offset_tEEE10hipError_tPvRmT1_PNSt15iterator_traitsIS12_E10value_typeET2_T3_PNS13_IS18_E10value_typeET4_jRbjT5_S1E_jjP12ihipStream_tbEUljE_ZNSN_ISO_Lb0ESQ_SR_ST_SU_SY_EESZ_S10_S11_S12_S16_S17_S18_S1B_S1C_jS1D_jS1E_S1E_jjS1G_bEUljE0_EEESZ_S10_S11_S18_S1C_S1E_T6_T7_T9_mT8_S1G_bDpT10_ENKUlT_T0_E_clISt17integral_constantIbLb0EES1T_IbLb1EEEEDaS1P_S1Q_EUlS1P_E_NS1_11comp_targetILNS1_3genE5ELNS1_11target_archE942ELNS1_3gpuE9ELNS1_3repE0EEENS1_30default_config_static_selectorELNS0_4arch9wavefront6targetE0EEEvS12_,comdat
	.globl	_ZN7rocprim17ROCPRIM_400000_NS6detail17trampoline_kernelINS0_13select_configILj256ELj13ELNS0_17block_load_methodE3ELS4_3ELS4_3ELNS0_20block_scan_algorithmE0ELj4294967295EEENS1_25partition_config_selectorILNS1_17partition_subalgoE4EjNS0_10empty_typeEbEEZZNS1_14partition_implILS8_4ELb0ES6_15HIP_vector_typeIjLj2EENS0_17counting_iteratorIjlEEPS9_SG_NS0_5tupleIJPjSI_NS0_16reverse_iteratorISI_EEEEENSH_IJSG_SG_SG_EEES9_SI_JZNS1_25segmented_radix_sort_implINS0_14default_configELb0EPKhPhPKlPlN2at6native12_GLOBAL__N_18offset_tEEE10hipError_tPvRmT1_PNSt15iterator_traitsIS12_E10value_typeET2_T3_PNS13_IS18_E10value_typeET4_jRbjT5_S1E_jjP12ihipStream_tbEUljE_ZNSN_ISO_Lb0ESQ_SR_ST_SU_SY_EESZ_S10_S11_S12_S16_S17_S18_S1B_S1C_jS1D_jS1E_S1E_jjS1G_bEUljE0_EEESZ_S10_S11_S18_S1C_S1E_T6_T7_T9_mT8_S1G_bDpT10_ENKUlT_T0_E_clISt17integral_constantIbLb0EES1T_IbLb1EEEEDaS1P_S1Q_EUlS1P_E_NS1_11comp_targetILNS1_3genE5ELNS1_11target_archE942ELNS1_3gpuE9ELNS1_3repE0EEENS1_30default_config_static_selectorELNS0_4arch9wavefront6targetE0EEEvS12_ ; -- Begin function _ZN7rocprim17ROCPRIM_400000_NS6detail17trampoline_kernelINS0_13select_configILj256ELj13ELNS0_17block_load_methodE3ELS4_3ELS4_3ELNS0_20block_scan_algorithmE0ELj4294967295EEENS1_25partition_config_selectorILNS1_17partition_subalgoE4EjNS0_10empty_typeEbEEZZNS1_14partition_implILS8_4ELb0ES6_15HIP_vector_typeIjLj2EENS0_17counting_iteratorIjlEEPS9_SG_NS0_5tupleIJPjSI_NS0_16reverse_iteratorISI_EEEEENSH_IJSG_SG_SG_EEES9_SI_JZNS1_25segmented_radix_sort_implINS0_14default_configELb0EPKhPhPKlPlN2at6native12_GLOBAL__N_18offset_tEEE10hipError_tPvRmT1_PNSt15iterator_traitsIS12_E10value_typeET2_T3_PNS13_IS18_E10value_typeET4_jRbjT5_S1E_jjP12ihipStream_tbEUljE_ZNSN_ISO_Lb0ESQ_SR_ST_SU_SY_EESZ_S10_S11_S12_S16_S17_S18_S1B_S1C_jS1D_jS1E_S1E_jjS1G_bEUljE0_EEESZ_S10_S11_S18_S1C_S1E_T6_T7_T9_mT8_S1G_bDpT10_ENKUlT_T0_E_clISt17integral_constantIbLb0EES1T_IbLb1EEEEDaS1P_S1Q_EUlS1P_E_NS1_11comp_targetILNS1_3genE5ELNS1_11target_archE942ELNS1_3gpuE9ELNS1_3repE0EEENS1_30default_config_static_selectorELNS0_4arch9wavefront6targetE0EEEvS12_
	.p2align	8
	.type	_ZN7rocprim17ROCPRIM_400000_NS6detail17trampoline_kernelINS0_13select_configILj256ELj13ELNS0_17block_load_methodE3ELS4_3ELS4_3ELNS0_20block_scan_algorithmE0ELj4294967295EEENS1_25partition_config_selectorILNS1_17partition_subalgoE4EjNS0_10empty_typeEbEEZZNS1_14partition_implILS8_4ELb0ES6_15HIP_vector_typeIjLj2EENS0_17counting_iteratorIjlEEPS9_SG_NS0_5tupleIJPjSI_NS0_16reverse_iteratorISI_EEEEENSH_IJSG_SG_SG_EEES9_SI_JZNS1_25segmented_radix_sort_implINS0_14default_configELb0EPKhPhPKlPlN2at6native12_GLOBAL__N_18offset_tEEE10hipError_tPvRmT1_PNSt15iterator_traitsIS12_E10value_typeET2_T3_PNS13_IS18_E10value_typeET4_jRbjT5_S1E_jjP12ihipStream_tbEUljE_ZNSN_ISO_Lb0ESQ_SR_ST_SU_SY_EESZ_S10_S11_S12_S16_S17_S18_S1B_S1C_jS1D_jS1E_S1E_jjS1G_bEUljE0_EEESZ_S10_S11_S18_S1C_S1E_T6_T7_T9_mT8_S1G_bDpT10_ENKUlT_T0_E_clISt17integral_constantIbLb0EES1T_IbLb1EEEEDaS1P_S1Q_EUlS1P_E_NS1_11comp_targetILNS1_3genE5ELNS1_11target_archE942ELNS1_3gpuE9ELNS1_3repE0EEENS1_30default_config_static_selectorELNS0_4arch9wavefront6targetE0EEEvS12_,@function
_ZN7rocprim17ROCPRIM_400000_NS6detail17trampoline_kernelINS0_13select_configILj256ELj13ELNS0_17block_load_methodE3ELS4_3ELS4_3ELNS0_20block_scan_algorithmE0ELj4294967295EEENS1_25partition_config_selectorILNS1_17partition_subalgoE4EjNS0_10empty_typeEbEEZZNS1_14partition_implILS8_4ELb0ES6_15HIP_vector_typeIjLj2EENS0_17counting_iteratorIjlEEPS9_SG_NS0_5tupleIJPjSI_NS0_16reverse_iteratorISI_EEEEENSH_IJSG_SG_SG_EEES9_SI_JZNS1_25segmented_radix_sort_implINS0_14default_configELb0EPKhPhPKlPlN2at6native12_GLOBAL__N_18offset_tEEE10hipError_tPvRmT1_PNSt15iterator_traitsIS12_E10value_typeET2_T3_PNS13_IS18_E10value_typeET4_jRbjT5_S1E_jjP12ihipStream_tbEUljE_ZNSN_ISO_Lb0ESQ_SR_ST_SU_SY_EESZ_S10_S11_S12_S16_S17_S18_S1B_S1C_jS1D_jS1E_S1E_jjS1G_bEUljE0_EEESZ_S10_S11_S18_S1C_S1E_T6_T7_T9_mT8_S1G_bDpT10_ENKUlT_T0_E_clISt17integral_constantIbLb0EES1T_IbLb1EEEEDaS1P_S1Q_EUlS1P_E_NS1_11comp_targetILNS1_3genE5ELNS1_11target_archE942ELNS1_3gpuE9ELNS1_3repE0EEENS1_30default_config_static_selectorELNS0_4arch9wavefront6targetE0EEEvS12_: ; @_ZN7rocprim17ROCPRIM_400000_NS6detail17trampoline_kernelINS0_13select_configILj256ELj13ELNS0_17block_load_methodE3ELS4_3ELS4_3ELNS0_20block_scan_algorithmE0ELj4294967295EEENS1_25partition_config_selectorILNS1_17partition_subalgoE4EjNS0_10empty_typeEbEEZZNS1_14partition_implILS8_4ELb0ES6_15HIP_vector_typeIjLj2EENS0_17counting_iteratorIjlEEPS9_SG_NS0_5tupleIJPjSI_NS0_16reverse_iteratorISI_EEEEENSH_IJSG_SG_SG_EEES9_SI_JZNS1_25segmented_radix_sort_implINS0_14default_configELb0EPKhPhPKlPlN2at6native12_GLOBAL__N_18offset_tEEE10hipError_tPvRmT1_PNSt15iterator_traitsIS12_E10value_typeET2_T3_PNS13_IS18_E10value_typeET4_jRbjT5_S1E_jjP12ihipStream_tbEUljE_ZNSN_ISO_Lb0ESQ_SR_ST_SU_SY_EESZ_S10_S11_S12_S16_S17_S18_S1B_S1C_jS1D_jS1E_S1E_jjS1G_bEUljE0_EEESZ_S10_S11_S18_S1C_S1E_T6_T7_T9_mT8_S1G_bDpT10_ENKUlT_T0_E_clISt17integral_constantIbLb0EES1T_IbLb1EEEEDaS1P_S1Q_EUlS1P_E_NS1_11comp_targetILNS1_3genE5ELNS1_11target_archE942ELNS1_3gpuE9ELNS1_3repE0EEENS1_30default_config_static_selectorELNS0_4arch9wavefront6targetE0EEEvS12_
; %bb.0:
	.section	.rodata,"a",@progbits
	.p2align	6, 0x0
	.amdhsa_kernel _ZN7rocprim17ROCPRIM_400000_NS6detail17trampoline_kernelINS0_13select_configILj256ELj13ELNS0_17block_load_methodE3ELS4_3ELS4_3ELNS0_20block_scan_algorithmE0ELj4294967295EEENS1_25partition_config_selectorILNS1_17partition_subalgoE4EjNS0_10empty_typeEbEEZZNS1_14partition_implILS8_4ELb0ES6_15HIP_vector_typeIjLj2EENS0_17counting_iteratorIjlEEPS9_SG_NS0_5tupleIJPjSI_NS0_16reverse_iteratorISI_EEEEENSH_IJSG_SG_SG_EEES9_SI_JZNS1_25segmented_radix_sort_implINS0_14default_configELb0EPKhPhPKlPlN2at6native12_GLOBAL__N_18offset_tEEE10hipError_tPvRmT1_PNSt15iterator_traitsIS12_E10value_typeET2_T3_PNS13_IS18_E10value_typeET4_jRbjT5_S1E_jjP12ihipStream_tbEUljE_ZNSN_ISO_Lb0ESQ_SR_ST_SU_SY_EESZ_S10_S11_S12_S16_S17_S18_S1B_S1C_jS1D_jS1E_S1E_jjS1G_bEUljE0_EEESZ_S10_S11_S18_S1C_S1E_T6_T7_T9_mT8_S1G_bDpT10_ENKUlT_T0_E_clISt17integral_constantIbLb0EES1T_IbLb1EEEEDaS1P_S1Q_EUlS1P_E_NS1_11comp_targetILNS1_3genE5ELNS1_11target_archE942ELNS1_3gpuE9ELNS1_3repE0EEENS1_30default_config_static_selectorELNS0_4arch9wavefront6targetE0EEEvS12_
		.amdhsa_group_segment_fixed_size 0
		.amdhsa_private_segment_fixed_size 0
		.amdhsa_kernarg_size 184
		.amdhsa_user_sgpr_count 6
		.amdhsa_user_sgpr_private_segment_buffer 1
		.amdhsa_user_sgpr_dispatch_ptr 0
		.amdhsa_user_sgpr_queue_ptr 0
		.amdhsa_user_sgpr_kernarg_segment_ptr 1
		.amdhsa_user_sgpr_dispatch_id 0
		.amdhsa_user_sgpr_flat_scratch_init 0
		.amdhsa_user_sgpr_private_segment_size 0
		.amdhsa_wavefront_size32 1
		.amdhsa_uses_dynamic_stack 0
		.amdhsa_system_sgpr_private_segment_wavefront_offset 0
		.amdhsa_system_sgpr_workgroup_id_x 1
		.amdhsa_system_sgpr_workgroup_id_y 0
		.amdhsa_system_sgpr_workgroup_id_z 0
		.amdhsa_system_sgpr_workgroup_info 0
		.amdhsa_system_vgpr_workitem_id 0
		.amdhsa_next_free_vgpr 1
		.amdhsa_next_free_sgpr 1
		.amdhsa_reserve_vcc 0
		.amdhsa_reserve_flat_scratch 0
		.amdhsa_float_round_mode_32 0
		.amdhsa_float_round_mode_16_64 0
		.amdhsa_float_denorm_mode_32 3
		.amdhsa_float_denorm_mode_16_64 3
		.amdhsa_dx10_clamp 1
		.amdhsa_ieee_mode 1
		.amdhsa_fp16_overflow 0
		.amdhsa_workgroup_processor_mode 1
		.amdhsa_memory_ordered 1
		.amdhsa_forward_progress 1
		.amdhsa_shared_vgpr_count 0
		.amdhsa_exception_fp_ieee_invalid_op 0
		.amdhsa_exception_fp_denorm_src 0
		.amdhsa_exception_fp_ieee_div_zero 0
		.amdhsa_exception_fp_ieee_overflow 0
		.amdhsa_exception_fp_ieee_underflow 0
		.amdhsa_exception_fp_ieee_inexact 0
		.amdhsa_exception_int_div_zero 0
	.end_amdhsa_kernel
	.section	.text._ZN7rocprim17ROCPRIM_400000_NS6detail17trampoline_kernelINS0_13select_configILj256ELj13ELNS0_17block_load_methodE3ELS4_3ELS4_3ELNS0_20block_scan_algorithmE0ELj4294967295EEENS1_25partition_config_selectorILNS1_17partition_subalgoE4EjNS0_10empty_typeEbEEZZNS1_14partition_implILS8_4ELb0ES6_15HIP_vector_typeIjLj2EENS0_17counting_iteratorIjlEEPS9_SG_NS0_5tupleIJPjSI_NS0_16reverse_iteratorISI_EEEEENSH_IJSG_SG_SG_EEES9_SI_JZNS1_25segmented_radix_sort_implINS0_14default_configELb0EPKhPhPKlPlN2at6native12_GLOBAL__N_18offset_tEEE10hipError_tPvRmT1_PNSt15iterator_traitsIS12_E10value_typeET2_T3_PNS13_IS18_E10value_typeET4_jRbjT5_S1E_jjP12ihipStream_tbEUljE_ZNSN_ISO_Lb0ESQ_SR_ST_SU_SY_EESZ_S10_S11_S12_S16_S17_S18_S1B_S1C_jS1D_jS1E_S1E_jjS1G_bEUljE0_EEESZ_S10_S11_S18_S1C_S1E_T6_T7_T9_mT8_S1G_bDpT10_ENKUlT_T0_E_clISt17integral_constantIbLb0EES1T_IbLb1EEEEDaS1P_S1Q_EUlS1P_E_NS1_11comp_targetILNS1_3genE5ELNS1_11target_archE942ELNS1_3gpuE9ELNS1_3repE0EEENS1_30default_config_static_selectorELNS0_4arch9wavefront6targetE0EEEvS12_,"axG",@progbits,_ZN7rocprim17ROCPRIM_400000_NS6detail17trampoline_kernelINS0_13select_configILj256ELj13ELNS0_17block_load_methodE3ELS4_3ELS4_3ELNS0_20block_scan_algorithmE0ELj4294967295EEENS1_25partition_config_selectorILNS1_17partition_subalgoE4EjNS0_10empty_typeEbEEZZNS1_14partition_implILS8_4ELb0ES6_15HIP_vector_typeIjLj2EENS0_17counting_iteratorIjlEEPS9_SG_NS0_5tupleIJPjSI_NS0_16reverse_iteratorISI_EEEEENSH_IJSG_SG_SG_EEES9_SI_JZNS1_25segmented_radix_sort_implINS0_14default_configELb0EPKhPhPKlPlN2at6native12_GLOBAL__N_18offset_tEEE10hipError_tPvRmT1_PNSt15iterator_traitsIS12_E10value_typeET2_T3_PNS13_IS18_E10value_typeET4_jRbjT5_S1E_jjP12ihipStream_tbEUljE_ZNSN_ISO_Lb0ESQ_SR_ST_SU_SY_EESZ_S10_S11_S12_S16_S17_S18_S1B_S1C_jS1D_jS1E_S1E_jjS1G_bEUljE0_EEESZ_S10_S11_S18_S1C_S1E_T6_T7_T9_mT8_S1G_bDpT10_ENKUlT_T0_E_clISt17integral_constantIbLb0EES1T_IbLb1EEEEDaS1P_S1Q_EUlS1P_E_NS1_11comp_targetILNS1_3genE5ELNS1_11target_archE942ELNS1_3gpuE9ELNS1_3repE0EEENS1_30default_config_static_selectorELNS0_4arch9wavefront6targetE0EEEvS12_,comdat
.Lfunc_end146:
	.size	_ZN7rocprim17ROCPRIM_400000_NS6detail17trampoline_kernelINS0_13select_configILj256ELj13ELNS0_17block_load_methodE3ELS4_3ELS4_3ELNS0_20block_scan_algorithmE0ELj4294967295EEENS1_25partition_config_selectorILNS1_17partition_subalgoE4EjNS0_10empty_typeEbEEZZNS1_14partition_implILS8_4ELb0ES6_15HIP_vector_typeIjLj2EENS0_17counting_iteratorIjlEEPS9_SG_NS0_5tupleIJPjSI_NS0_16reverse_iteratorISI_EEEEENSH_IJSG_SG_SG_EEES9_SI_JZNS1_25segmented_radix_sort_implINS0_14default_configELb0EPKhPhPKlPlN2at6native12_GLOBAL__N_18offset_tEEE10hipError_tPvRmT1_PNSt15iterator_traitsIS12_E10value_typeET2_T3_PNS13_IS18_E10value_typeET4_jRbjT5_S1E_jjP12ihipStream_tbEUljE_ZNSN_ISO_Lb0ESQ_SR_ST_SU_SY_EESZ_S10_S11_S12_S16_S17_S18_S1B_S1C_jS1D_jS1E_S1E_jjS1G_bEUljE0_EEESZ_S10_S11_S18_S1C_S1E_T6_T7_T9_mT8_S1G_bDpT10_ENKUlT_T0_E_clISt17integral_constantIbLb0EES1T_IbLb1EEEEDaS1P_S1Q_EUlS1P_E_NS1_11comp_targetILNS1_3genE5ELNS1_11target_archE942ELNS1_3gpuE9ELNS1_3repE0EEENS1_30default_config_static_selectorELNS0_4arch9wavefront6targetE0EEEvS12_, .Lfunc_end146-_ZN7rocprim17ROCPRIM_400000_NS6detail17trampoline_kernelINS0_13select_configILj256ELj13ELNS0_17block_load_methodE3ELS4_3ELS4_3ELNS0_20block_scan_algorithmE0ELj4294967295EEENS1_25partition_config_selectorILNS1_17partition_subalgoE4EjNS0_10empty_typeEbEEZZNS1_14partition_implILS8_4ELb0ES6_15HIP_vector_typeIjLj2EENS0_17counting_iteratorIjlEEPS9_SG_NS0_5tupleIJPjSI_NS0_16reverse_iteratorISI_EEEEENSH_IJSG_SG_SG_EEES9_SI_JZNS1_25segmented_radix_sort_implINS0_14default_configELb0EPKhPhPKlPlN2at6native12_GLOBAL__N_18offset_tEEE10hipError_tPvRmT1_PNSt15iterator_traitsIS12_E10value_typeET2_T3_PNS13_IS18_E10value_typeET4_jRbjT5_S1E_jjP12ihipStream_tbEUljE_ZNSN_ISO_Lb0ESQ_SR_ST_SU_SY_EESZ_S10_S11_S12_S16_S17_S18_S1B_S1C_jS1D_jS1E_S1E_jjS1G_bEUljE0_EEESZ_S10_S11_S18_S1C_S1E_T6_T7_T9_mT8_S1G_bDpT10_ENKUlT_T0_E_clISt17integral_constantIbLb0EES1T_IbLb1EEEEDaS1P_S1Q_EUlS1P_E_NS1_11comp_targetILNS1_3genE5ELNS1_11target_archE942ELNS1_3gpuE9ELNS1_3repE0EEENS1_30default_config_static_selectorELNS0_4arch9wavefront6targetE0EEEvS12_
                                        ; -- End function
	.set _ZN7rocprim17ROCPRIM_400000_NS6detail17trampoline_kernelINS0_13select_configILj256ELj13ELNS0_17block_load_methodE3ELS4_3ELS4_3ELNS0_20block_scan_algorithmE0ELj4294967295EEENS1_25partition_config_selectorILNS1_17partition_subalgoE4EjNS0_10empty_typeEbEEZZNS1_14partition_implILS8_4ELb0ES6_15HIP_vector_typeIjLj2EENS0_17counting_iteratorIjlEEPS9_SG_NS0_5tupleIJPjSI_NS0_16reverse_iteratorISI_EEEEENSH_IJSG_SG_SG_EEES9_SI_JZNS1_25segmented_radix_sort_implINS0_14default_configELb0EPKhPhPKlPlN2at6native12_GLOBAL__N_18offset_tEEE10hipError_tPvRmT1_PNSt15iterator_traitsIS12_E10value_typeET2_T3_PNS13_IS18_E10value_typeET4_jRbjT5_S1E_jjP12ihipStream_tbEUljE_ZNSN_ISO_Lb0ESQ_SR_ST_SU_SY_EESZ_S10_S11_S12_S16_S17_S18_S1B_S1C_jS1D_jS1E_S1E_jjS1G_bEUljE0_EEESZ_S10_S11_S18_S1C_S1E_T6_T7_T9_mT8_S1G_bDpT10_ENKUlT_T0_E_clISt17integral_constantIbLb0EES1T_IbLb1EEEEDaS1P_S1Q_EUlS1P_E_NS1_11comp_targetILNS1_3genE5ELNS1_11target_archE942ELNS1_3gpuE9ELNS1_3repE0EEENS1_30default_config_static_selectorELNS0_4arch9wavefront6targetE0EEEvS12_.num_vgpr, 0
	.set _ZN7rocprim17ROCPRIM_400000_NS6detail17trampoline_kernelINS0_13select_configILj256ELj13ELNS0_17block_load_methodE3ELS4_3ELS4_3ELNS0_20block_scan_algorithmE0ELj4294967295EEENS1_25partition_config_selectorILNS1_17partition_subalgoE4EjNS0_10empty_typeEbEEZZNS1_14partition_implILS8_4ELb0ES6_15HIP_vector_typeIjLj2EENS0_17counting_iteratorIjlEEPS9_SG_NS0_5tupleIJPjSI_NS0_16reverse_iteratorISI_EEEEENSH_IJSG_SG_SG_EEES9_SI_JZNS1_25segmented_radix_sort_implINS0_14default_configELb0EPKhPhPKlPlN2at6native12_GLOBAL__N_18offset_tEEE10hipError_tPvRmT1_PNSt15iterator_traitsIS12_E10value_typeET2_T3_PNS13_IS18_E10value_typeET4_jRbjT5_S1E_jjP12ihipStream_tbEUljE_ZNSN_ISO_Lb0ESQ_SR_ST_SU_SY_EESZ_S10_S11_S12_S16_S17_S18_S1B_S1C_jS1D_jS1E_S1E_jjS1G_bEUljE0_EEESZ_S10_S11_S18_S1C_S1E_T6_T7_T9_mT8_S1G_bDpT10_ENKUlT_T0_E_clISt17integral_constantIbLb0EES1T_IbLb1EEEEDaS1P_S1Q_EUlS1P_E_NS1_11comp_targetILNS1_3genE5ELNS1_11target_archE942ELNS1_3gpuE9ELNS1_3repE0EEENS1_30default_config_static_selectorELNS0_4arch9wavefront6targetE0EEEvS12_.num_agpr, 0
	.set _ZN7rocprim17ROCPRIM_400000_NS6detail17trampoline_kernelINS0_13select_configILj256ELj13ELNS0_17block_load_methodE3ELS4_3ELS4_3ELNS0_20block_scan_algorithmE0ELj4294967295EEENS1_25partition_config_selectorILNS1_17partition_subalgoE4EjNS0_10empty_typeEbEEZZNS1_14partition_implILS8_4ELb0ES6_15HIP_vector_typeIjLj2EENS0_17counting_iteratorIjlEEPS9_SG_NS0_5tupleIJPjSI_NS0_16reverse_iteratorISI_EEEEENSH_IJSG_SG_SG_EEES9_SI_JZNS1_25segmented_radix_sort_implINS0_14default_configELb0EPKhPhPKlPlN2at6native12_GLOBAL__N_18offset_tEEE10hipError_tPvRmT1_PNSt15iterator_traitsIS12_E10value_typeET2_T3_PNS13_IS18_E10value_typeET4_jRbjT5_S1E_jjP12ihipStream_tbEUljE_ZNSN_ISO_Lb0ESQ_SR_ST_SU_SY_EESZ_S10_S11_S12_S16_S17_S18_S1B_S1C_jS1D_jS1E_S1E_jjS1G_bEUljE0_EEESZ_S10_S11_S18_S1C_S1E_T6_T7_T9_mT8_S1G_bDpT10_ENKUlT_T0_E_clISt17integral_constantIbLb0EES1T_IbLb1EEEEDaS1P_S1Q_EUlS1P_E_NS1_11comp_targetILNS1_3genE5ELNS1_11target_archE942ELNS1_3gpuE9ELNS1_3repE0EEENS1_30default_config_static_selectorELNS0_4arch9wavefront6targetE0EEEvS12_.numbered_sgpr, 0
	.set _ZN7rocprim17ROCPRIM_400000_NS6detail17trampoline_kernelINS0_13select_configILj256ELj13ELNS0_17block_load_methodE3ELS4_3ELS4_3ELNS0_20block_scan_algorithmE0ELj4294967295EEENS1_25partition_config_selectorILNS1_17partition_subalgoE4EjNS0_10empty_typeEbEEZZNS1_14partition_implILS8_4ELb0ES6_15HIP_vector_typeIjLj2EENS0_17counting_iteratorIjlEEPS9_SG_NS0_5tupleIJPjSI_NS0_16reverse_iteratorISI_EEEEENSH_IJSG_SG_SG_EEES9_SI_JZNS1_25segmented_radix_sort_implINS0_14default_configELb0EPKhPhPKlPlN2at6native12_GLOBAL__N_18offset_tEEE10hipError_tPvRmT1_PNSt15iterator_traitsIS12_E10value_typeET2_T3_PNS13_IS18_E10value_typeET4_jRbjT5_S1E_jjP12ihipStream_tbEUljE_ZNSN_ISO_Lb0ESQ_SR_ST_SU_SY_EESZ_S10_S11_S12_S16_S17_S18_S1B_S1C_jS1D_jS1E_S1E_jjS1G_bEUljE0_EEESZ_S10_S11_S18_S1C_S1E_T6_T7_T9_mT8_S1G_bDpT10_ENKUlT_T0_E_clISt17integral_constantIbLb0EES1T_IbLb1EEEEDaS1P_S1Q_EUlS1P_E_NS1_11comp_targetILNS1_3genE5ELNS1_11target_archE942ELNS1_3gpuE9ELNS1_3repE0EEENS1_30default_config_static_selectorELNS0_4arch9wavefront6targetE0EEEvS12_.num_named_barrier, 0
	.set _ZN7rocprim17ROCPRIM_400000_NS6detail17trampoline_kernelINS0_13select_configILj256ELj13ELNS0_17block_load_methodE3ELS4_3ELS4_3ELNS0_20block_scan_algorithmE0ELj4294967295EEENS1_25partition_config_selectorILNS1_17partition_subalgoE4EjNS0_10empty_typeEbEEZZNS1_14partition_implILS8_4ELb0ES6_15HIP_vector_typeIjLj2EENS0_17counting_iteratorIjlEEPS9_SG_NS0_5tupleIJPjSI_NS0_16reverse_iteratorISI_EEEEENSH_IJSG_SG_SG_EEES9_SI_JZNS1_25segmented_radix_sort_implINS0_14default_configELb0EPKhPhPKlPlN2at6native12_GLOBAL__N_18offset_tEEE10hipError_tPvRmT1_PNSt15iterator_traitsIS12_E10value_typeET2_T3_PNS13_IS18_E10value_typeET4_jRbjT5_S1E_jjP12ihipStream_tbEUljE_ZNSN_ISO_Lb0ESQ_SR_ST_SU_SY_EESZ_S10_S11_S12_S16_S17_S18_S1B_S1C_jS1D_jS1E_S1E_jjS1G_bEUljE0_EEESZ_S10_S11_S18_S1C_S1E_T6_T7_T9_mT8_S1G_bDpT10_ENKUlT_T0_E_clISt17integral_constantIbLb0EES1T_IbLb1EEEEDaS1P_S1Q_EUlS1P_E_NS1_11comp_targetILNS1_3genE5ELNS1_11target_archE942ELNS1_3gpuE9ELNS1_3repE0EEENS1_30default_config_static_selectorELNS0_4arch9wavefront6targetE0EEEvS12_.private_seg_size, 0
	.set _ZN7rocprim17ROCPRIM_400000_NS6detail17trampoline_kernelINS0_13select_configILj256ELj13ELNS0_17block_load_methodE3ELS4_3ELS4_3ELNS0_20block_scan_algorithmE0ELj4294967295EEENS1_25partition_config_selectorILNS1_17partition_subalgoE4EjNS0_10empty_typeEbEEZZNS1_14partition_implILS8_4ELb0ES6_15HIP_vector_typeIjLj2EENS0_17counting_iteratorIjlEEPS9_SG_NS0_5tupleIJPjSI_NS0_16reverse_iteratorISI_EEEEENSH_IJSG_SG_SG_EEES9_SI_JZNS1_25segmented_radix_sort_implINS0_14default_configELb0EPKhPhPKlPlN2at6native12_GLOBAL__N_18offset_tEEE10hipError_tPvRmT1_PNSt15iterator_traitsIS12_E10value_typeET2_T3_PNS13_IS18_E10value_typeET4_jRbjT5_S1E_jjP12ihipStream_tbEUljE_ZNSN_ISO_Lb0ESQ_SR_ST_SU_SY_EESZ_S10_S11_S12_S16_S17_S18_S1B_S1C_jS1D_jS1E_S1E_jjS1G_bEUljE0_EEESZ_S10_S11_S18_S1C_S1E_T6_T7_T9_mT8_S1G_bDpT10_ENKUlT_T0_E_clISt17integral_constantIbLb0EES1T_IbLb1EEEEDaS1P_S1Q_EUlS1P_E_NS1_11comp_targetILNS1_3genE5ELNS1_11target_archE942ELNS1_3gpuE9ELNS1_3repE0EEENS1_30default_config_static_selectorELNS0_4arch9wavefront6targetE0EEEvS12_.uses_vcc, 0
	.set _ZN7rocprim17ROCPRIM_400000_NS6detail17trampoline_kernelINS0_13select_configILj256ELj13ELNS0_17block_load_methodE3ELS4_3ELS4_3ELNS0_20block_scan_algorithmE0ELj4294967295EEENS1_25partition_config_selectorILNS1_17partition_subalgoE4EjNS0_10empty_typeEbEEZZNS1_14partition_implILS8_4ELb0ES6_15HIP_vector_typeIjLj2EENS0_17counting_iteratorIjlEEPS9_SG_NS0_5tupleIJPjSI_NS0_16reverse_iteratorISI_EEEEENSH_IJSG_SG_SG_EEES9_SI_JZNS1_25segmented_radix_sort_implINS0_14default_configELb0EPKhPhPKlPlN2at6native12_GLOBAL__N_18offset_tEEE10hipError_tPvRmT1_PNSt15iterator_traitsIS12_E10value_typeET2_T3_PNS13_IS18_E10value_typeET4_jRbjT5_S1E_jjP12ihipStream_tbEUljE_ZNSN_ISO_Lb0ESQ_SR_ST_SU_SY_EESZ_S10_S11_S12_S16_S17_S18_S1B_S1C_jS1D_jS1E_S1E_jjS1G_bEUljE0_EEESZ_S10_S11_S18_S1C_S1E_T6_T7_T9_mT8_S1G_bDpT10_ENKUlT_T0_E_clISt17integral_constantIbLb0EES1T_IbLb1EEEEDaS1P_S1Q_EUlS1P_E_NS1_11comp_targetILNS1_3genE5ELNS1_11target_archE942ELNS1_3gpuE9ELNS1_3repE0EEENS1_30default_config_static_selectorELNS0_4arch9wavefront6targetE0EEEvS12_.uses_flat_scratch, 0
	.set _ZN7rocprim17ROCPRIM_400000_NS6detail17trampoline_kernelINS0_13select_configILj256ELj13ELNS0_17block_load_methodE3ELS4_3ELS4_3ELNS0_20block_scan_algorithmE0ELj4294967295EEENS1_25partition_config_selectorILNS1_17partition_subalgoE4EjNS0_10empty_typeEbEEZZNS1_14partition_implILS8_4ELb0ES6_15HIP_vector_typeIjLj2EENS0_17counting_iteratorIjlEEPS9_SG_NS0_5tupleIJPjSI_NS0_16reverse_iteratorISI_EEEEENSH_IJSG_SG_SG_EEES9_SI_JZNS1_25segmented_radix_sort_implINS0_14default_configELb0EPKhPhPKlPlN2at6native12_GLOBAL__N_18offset_tEEE10hipError_tPvRmT1_PNSt15iterator_traitsIS12_E10value_typeET2_T3_PNS13_IS18_E10value_typeET4_jRbjT5_S1E_jjP12ihipStream_tbEUljE_ZNSN_ISO_Lb0ESQ_SR_ST_SU_SY_EESZ_S10_S11_S12_S16_S17_S18_S1B_S1C_jS1D_jS1E_S1E_jjS1G_bEUljE0_EEESZ_S10_S11_S18_S1C_S1E_T6_T7_T9_mT8_S1G_bDpT10_ENKUlT_T0_E_clISt17integral_constantIbLb0EES1T_IbLb1EEEEDaS1P_S1Q_EUlS1P_E_NS1_11comp_targetILNS1_3genE5ELNS1_11target_archE942ELNS1_3gpuE9ELNS1_3repE0EEENS1_30default_config_static_selectorELNS0_4arch9wavefront6targetE0EEEvS12_.has_dyn_sized_stack, 0
	.set _ZN7rocprim17ROCPRIM_400000_NS6detail17trampoline_kernelINS0_13select_configILj256ELj13ELNS0_17block_load_methodE3ELS4_3ELS4_3ELNS0_20block_scan_algorithmE0ELj4294967295EEENS1_25partition_config_selectorILNS1_17partition_subalgoE4EjNS0_10empty_typeEbEEZZNS1_14partition_implILS8_4ELb0ES6_15HIP_vector_typeIjLj2EENS0_17counting_iteratorIjlEEPS9_SG_NS0_5tupleIJPjSI_NS0_16reverse_iteratorISI_EEEEENSH_IJSG_SG_SG_EEES9_SI_JZNS1_25segmented_radix_sort_implINS0_14default_configELb0EPKhPhPKlPlN2at6native12_GLOBAL__N_18offset_tEEE10hipError_tPvRmT1_PNSt15iterator_traitsIS12_E10value_typeET2_T3_PNS13_IS18_E10value_typeET4_jRbjT5_S1E_jjP12ihipStream_tbEUljE_ZNSN_ISO_Lb0ESQ_SR_ST_SU_SY_EESZ_S10_S11_S12_S16_S17_S18_S1B_S1C_jS1D_jS1E_S1E_jjS1G_bEUljE0_EEESZ_S10_S11_S18_S1C_S1E_T6_T7_T9_mT8_S1G_bDpT10_ENKUlT_T0_E_clISt17integral_constantIbLb0EES1T_IbLb1EEEEDaS1P_S1Q_EUlS1P_E_NS1_11comp_targetILNS1_3genE5ELNS1_11target_archE942ELNS1_3gpuE9ELNS1_3repE0EEENS1_30default_config_static_selectorELNS0_4arch9wavefront6targetE0EEEvS12_.has_recursion, 0
	.set _ZN7rocprim17ROCPRIM_400000_NS6detail17trampoline_kernelINS0_13select_configILj256ELj13ELNS0_17block_load_methodE3ELS4_3ELS4_3ELNS0_20block_scan_algorithmE0ELj4294967295EEENS1_25partition_config_selectorILNS1_17partition_subalgoE4EjNS0_10empty_typeEbEEZZNS1_14partition_implILS8_4ELb0ES6_15HIP_vector_typeIjLj2EENS0_17counting_iteratorIjlEEPS9_SG_NS0_5tupleIJPjSI_NS0_16reverse_iteratorISI_EEEEENSH_IJSG_SG_SG_EEES9_SI_JZNS1_25segmented_radix_sort_implINS0_14default_configELb0EPKhPhPKlPlN2at6native12_GLOBAL__N_18offset_tEEE10hipError_tPvRmT1_PNSt15iterator_traitsIS12_E10value_typeET2_T3_PNS13_IS18_E10value_typeET4_jRbjT5_S1E_jjP12ihipStream_tbEUljE_ZNSN_ISO_Lb0ESQ_SR_ST_SU_SY_EESZ_S10_S11_S12_S16_S17_S18_S1B_S1C_jS1D_jS1E_S1E_jjS1G_bEUljE0_EEESZ_S10_S11_S18_S1C_S1E_T6_T7_T9_mT8_S1G_bDpT10_ENKUlT_T0_E_clISt17integral_constantIbLb0EES1T_IbLb1EEEEDaS1P_S1Q_EUlS1P_E_NS1_11comp_targetILNS1_3genE5ELNS1_11target_archE942ELNS1_3gpuE9ELNS1_3repE0EEENS1_30default_config_static_selectorELNS0_4arch9wavefront6targetE0EEEvS12_.has_indirect_call, 0
	.section	.AMDGPU.csdata,"",@progbits
; Kernel info:
; codeLenInByte = 0
; TotalNumSgprs: 0
; NumVgprs: 0
; ScratchSize: 0
; MemoryBound: 0
; FloatMode: 240
; IeeeMode: 1
; LDSByteSize: 0 bytes/workgroup (compile time only)
; SGPRBlocks: 0
; VGPRBlocks: 0
; NumSGPRsForWavesPerEU: 1
; NumVGPRsForWavesPerEU: 1
; Occupancy: 16
; WaveLimiterHint : 0
; COMPUTE_PGM_RSRC2:SCRATCH_EN: 0
; COMPUTE_PGM_RSRC2:USER_SGPR: 6
; COMPUTE_PGM_RSRC2:TRAP_HANDLER: 0
; COMPUTE_PGM_RSRC2:TGID_X_EN: 1
; COMPUTE_PGM_RSRC2:TGID_Y_EN: 0
; COMPUTE_PGM_RSRC2:TGID_Z_EN: 0
; COMPUTE_PGM_RSRC2:TIDIG_COMP_CNT: 0
	.section	.text._ZN7rocprim17ROCPRIM_400000_NS6detail17trampoline_kernelINS0_13select_configILj256ELj13ELNS0_17block_load_methodE3ELS4_3ELS4_3ELNS0_20block_scan_algorithmE0ELj4294967295EEENS1_25partition_config_selectorILNS1_17partition_subalgoE4EjNS0_10empty_typeEbEEZZNS1_14partition_implILS8_4ELb0ES6_15HIP_vector_typeIjLj2EENS0_17counting_iteratorIjlEEPS9_SG_NS0_5tupleIJPjSI_NS0_16reverse_iteratorISI_EEEEENSH_IJSG_SG_SG_EEES9_SI_JZNS1_25segmented_radix_sort_implINS0_14default_configELb0EPKhPhPKlPlN2at6native12_GLOBAL__N_18offset_tEEE10hipError_tPvRmT1_PNSt15iterator_traitsIS12_E10value_typeET2_T3_PNS13_IS18_E10value_typeET4_jRbjT5_S1E_jjP12ihipStream_tbEUljE_ZNSN_ISO_Lb0ESQ_SR_ST_SU_SY_EESZ_S10_S11_S12_S16_S17_S18_S1B_S1C_jS1D_jS1E_S1E_jjS1G_bEUljE0_EEESZ_S10_S11_S18_S1C_S1E_T6_T7_T9_mT8_S1G_bDpT10_ENKUlT_T0_E_clISt17integral_constantIbLb0EES1T_IbLb1EEEEDaS1P_S1Q_EUlS1P_E_NS1_11comp_targetILNS1_3genE4ELNS1_11target_archE910ELNS1_3gpuE8ELNS1_3repE0EEENS1_30default_config_static_selectorELNS0_4arch9wavefront6targetE0EEEvS12_,"axG",@progbits,_ZN7rocprim17ROCPRIM_400000_NS6detail17trampoline_kernelINS0_13select_configILj256ELj13ELNS0_17block_load_methodE3ELS4_3ELS4_3ELNS0_20block_scan_algorithmE0ELj4294967295EEENS1_25partition_config_selectorILNS1_17partition_subalgoE4EjNS0_10empty_typeEbEEZZNS1_14partition_implILS8_4ELb0ES6_15HIP_vector_typeIjLj2EENS0_17counting_iteratorIjlEEPS9_SG_NS0_5tupleIJPjSI_NS0_16reverse_iteratorISI_EEEEENSH_IJSG_SG_SG_EEES9_SI_JZNS1_25segmented_radix_sort_implINS0_14default_configELb0EPKhPhPKlPlN2at6native12_GLOBAL__N_18offset_tEEE10hipError_tPvRmT1_PNSt15iterator_traitsIS12_E10value_typeET2_T3_PNS13_IS18_E10value_typeET4_jRbjT5_S1E_jjP12ihipStream_tbEUljE_ZNSN_ISO_Lb0ESQ_SR_ST_SU_SY_EESZ_S10_S11_S12_S16_S17_S18_S1B_S1C_jS1D_jS1E_S1E_jjS1G_bEUljE0_EEESZ_S10_S11_S18_S1C_S1E_T6_T7_T9_mT8_S1G_bDpT10_ENKUlT_T0_E_clISt17integral_constantIbLb0EES1T_IbLb1EEEEDaS1P_S1Q_EUlS1P_E_NS1_11comp_targetILNS1_3genE4ELNS1_11target_archE910ELNS1_3gpuE8ELNS1_3repE0EEENS1_30default_config_static_selectorELNS0_4arch9wavefront6targetE0EEEvS12_,comdat
	.globl	_ZN7rocprim17ROCPRIM_400000_NS6detail17trampoline_kernelINS0_13select_configILj256ELj13ELNS0_17block_load_methodE3ELS4_3ELS4_3ELNS0_20block_scan_algorithmE0ELj4294967295EEENS1_25partition_config_selectorILNS1_17partition_subalgoE4EjNS0_10empty_typeEbEEZZNS1_14partition_implILS8_4ELb0ES6_15HIP_vector_typeIjLj2EENS0_17counting_iteratorIjlEEPS9_SG_NS0_5tupleIJPjSI_NS0_16reverse_iteratorISI_EEEEENSH_IJSG_SG_SG_EEES9_SI_JZNS1_25segmented_radix_sort_implINS0_14default_configELb0EPKhPhPKlPlN2at6native12_GLOBAL__N_18offset_tEEE10hipError_tPvRmT1_PNSt15iterator_traitsIS12_E10value_typeET2_T3_PNS13_IS18_E10value_typeET4_jRbjT5_S1E_jjP12ihipStream_tbEUljE_ZNSN_ISO_Lb0ESQ_SR_ST_SU_SY_EESZ_S10_S11_S12_S16_S17_S18_S1B_S1C_jS1D_jS1E_S1E_jjS1G_bEUljE0_EEESZ_S10_S11_S18_S1C_S1E_T6_T7_T9_mT8_S1G_bDpT10_ENKUlT_T0_E_clISt17integral_constantIbLb0EES1T_IbLb1EEEEDaS1P_S1Q_EUlS1P_E_NS1_11comp_targetILNS1_3genE4ELNS1_11target_archE910ELNS1_3gpuE8ELNS1_3repE0EEENS1_30default_config_static_selectorELNS0_4arch9wavefront6targetE0EEEvS12_ ; -- Begin function _ZN7rocprim17ROCPRIM_400000_NS6detail17trampoline_kernelINS0_13select_configILj256ELj13ELNS0_17block_load_methodE3ELS4_3ELS4_3ELNS0_20block_scan_algorithmE0ELj4294967295EEENS1_25partition_config_selectorILNS1_17partition_subalgoE4EjNS0_10empty_typeEbEEZZNS1_14partition_implILS8_4ELb0ES6_15HIP_vector_typeIjLj2EENS0_17counting_iteratorIjlEEPS9_SG_NS0_5tupleIJPjSI_NS0_16reverse_iteratorISI_EEEEENSH_IJSG_SG_SG_EEES9_SI_JZNS1_25segmented_radix_sort_implINS0_14default_configELb0EPKhPhPKlPlN2at6native12_GLOBAL__N_18offset_tEEE10hipError_tPvRmT1_PNSt15iterator_traitsIS12_E10value_typeET2_T3_PNS13_IS18_E10value_typeET4_jRbjT5_S1E_jjP12ihipStream_tbEUljE_ZNSN_ISO_Lb0ESQ_SR_ST_SU_SY_EESZ_S10_S11_S12_S16_S17_S18_S1B_S1C_jS1D_jS1E_S1E_jjS1G_bEUljE0_EEESZ_S10_S11_S18_S1C_S1E_T6_T7_T9_mT8_S1G_bDpT10_ENKUlT_T0_E_clISt17integral_constantIbLb0EES1T_IbLb1EEEEDaS1P_S1Q_EUlS1P_E_NS1_11comp_targetILNS1_3genE4ELNS1_11target_archE910ELNS1_3gpuE8ELNS1_3repE0EEENS1_30default_config_static_selectorELNS0_4arch9wavefront6targetE0EEEvS12_
	.p2align	8
	.type	_ZN7rocprim17ROCPRIM_400000_NS6detail17trampoline_kernelINS0_13select_configILj256ELj13ELNS0_17block_load_methodE3ELS4_3ELS4_3ELNS0_20block_scan_algorithmE0ELj4294967295EEENS1_25partition_config_selectorILNS1_17partition_subalgoE4EjNS0_10empty_typeEbEEZZNS1_14partition_implILS8_4ELb0ES6_15HIP_vector_typeIjLj2EENS0_17counting_iteratorIjlEEPS9_SG_NS0_5tupleIJPjSI_NS0_16reverse_iteratorISI_EEEEENSH_IJSG_SG_SG_EEES9_SI_JZNS1_25segmented_radix_sort_implINS0_14default_configELb0EPKhPhPKlPlN2at6native12_GLOBAL__N_18offset_tEEE10hipError_tPvRmT1_PNSt15iterator_traitsIS12_E10value_typeET2_T3_PNS13_IS18_E10value_typeET4_jRbjT5_S1E_jjP12ihipStream_tbEUljE_ZNSN_ISO_Lb0ESQ_SR_ST_SU_SY_EESZ_S10_S11_S12_S16_S17_S18_S1B_S1C_jS1D_jS1E_S1E_jjS1G_bEUljE0_EEESZ_S10_S11_S18_S1C_S1E_T6_T7_T9_mT8_S1G_bDpT10_ENKUlT_T0_E_clISt17integral_constantIbLb0EES1T_IbLb1EEEEDaS1P_S1Q_EUlS1P_E_NS1_11comp_targetILNS1_3genE4ELNS1_11target_archE910ELNS1_3gpuE8ELNS1_3repE0EEENS1_30default_config_static_selectorELNS0_4arch9wavefront6targetE0EEEvS12_,@function
_ZN7rocprim17ROCPRIM_400000_NS6detail17trampoline_kernelINS0_13select_configILj256ELj13ELNS0_17block_load_methodE3ELS4_3ELS4_3ELNS0_20block_scan_algorithmE0ELj4294967295EEENS1_25partition_config_selectorILNS1_17partition_subalgoE4EjNS0_10empty_typeEbEEZZNS1_14partition_implILS8_4ELb0ES6_15HIP_vector_typeIjLj2EENS0_17counting_iteratorIjlEEPS9_SG_NS0_5tupleIJPjSI_NS0_16reverse_iteratorISI_EEEEENSH_IJSG_SG_SG_EEES9_SI_JZNS1_25segmented_radix_sort_implINS0_14default_configELb0EPKhPhPKlPlN2at6native12_GLOBAL__N_18offset_tEEE10hipError_tPvRmT1_PNSt15iterator_traitsIS12_E10value_typeET2_T3_PNS13_IS18_E10value_typeET4_jRbjT5_S1E_jjP12ihipStream_tbEUljE_ZNSN_ISO_Lb0ESQ_SR_ST_SU_SY_EESZ_S10_S11_S12_S16_S17_S18_S1B_S1C_jS1D_jS1E_S1E_jjS1G_bEUljE0_EEESZ_S10_S11_S18_S1C_S1E_T6_T7_T9_mT8_S1G_bDpT10_ENKUlT_T0_E_clISt17integral_constantIbLb0EES1T_IbLb1EEEEDaS1P_S1Q_EUlS1P_E_NS1_11comp_targetILNS1_3genE4ELNS1_11target_archE910ELNS1_3gpuE8ELNS1_3repE0EEENS1_30default_config_static_selectorELNS0_4arch9wavefront6targetE0EEEvS12_: ; @_ZN7rocprim17ROCPRIM_400000_NS6detail17trampoline_kernelINS0_13select_configILj256ELj13ELNS0_17block_load_methodE3ELS4_3ELS4_3ELNS0_20block_scan_algorithmE0ELj4294967295EEENS1_25partition_config_selectorILNS1_17partition_subalgoE4EjNS0_10empty_typeEbEEZZNS1_14partition_implILS8_4ELb0ES6_15HIP_vector_typeIjLj2EENS0_17counting_iteratorIjlEEPS9_SG_NS0_5tupleIJPjSI_NS0_16reverse_iteratorISI_EEEEENSH_IJSG_SG_SG_EEES9_SI_JZNS1_25segmented_radix_sort_implINS0_14default_configELb0EPKhPhPKlPlN2at6native12_GLOBAL__N_18offset_tEEE10hipError_tPvRmT1_PNSt15iterator_traitsIS12_E10value_typeET2_T3_PNS13_IS18_E10value_typeET4_jRbjT5_S1E_jjP12ihipStream_tbEUljE_ZNSN_ISO_Lb0ESQ_SR_ST_SU_SY_EESZ_S10_S11_S12_S16_S17_S18_S1B_S1C_jS1D_jS1E_S1E_jjS1G_bEUljE0_EEESZ_S10_S11_S18_S1C_S1E_T6_T7_T9_mT8_S1G_bDpT10_ENKUlT_T0_E_clISt17integral_constantIbLb0EES1T_IbLb1EEEEDaS1P_S1Q_EUlS1P_E_NS1_11comp_targetILNS1_3genE4ELNS1_11target_archE910ELNS1_3gpuE8ELNS1_3repE0EEENS1_30default_config_static_selectorELNS0_4arch9wavefront6targetE0EEEvS12_
; %bb.0:
	.section	.rodata,"a",@progbits
	.p2align	6, 0x0
	.amdhsa_kernel _ZN7rocprim17ROCPRIM_400000_NS6detail17trampoline_kernelINS0_13select_configILj256ELj13ELNS0_17block_load_methodE3ELS4_3ELS4_3ELNS0_20block_scan_algorithmE0ELj4294967295EEENS1_25partition_config_selectorILNS1_17partition_subalgoE4EjNS0_10empty_typeEbEEZZNS1_14partition_implILS8_4ELb0ES6_15HIP_vector_typeIjLj2EENS0_17counting_iteratorIjlEEPS9_SG_NS0_5tupleIJPjSI_NS0_16reverse_iteratorISI_EEEEENSH_IJSG_SG_SG_EEES9_SI_JZNS1_25segmented_radix_sort_implINS0_14default_configELb0EPKhPhPKlPlN2at6native12_GLOBAL__N_18offset_tEEE10hipError_tPvRmT1_PNSt15iterator_traitsIS12_E10value_typeET2_T3_PNS13_IS18_E10value_typeET4_jRbjT5_S1E_jjP12ihipStream_tbEUljE_ZNSN_ISO_Lb0ESQ_SR_ST_SU_SY_EESZ_S10_S11_S12_S16_S17_S18_S1B_S1C_jS1D_jS1E_S1E_jjS1G_bEUljE0_EEESZ_S10_S11_S18_S1C_S1E_T6_T7_T9_mT8_S1G_bDpT10_ENKUlT_T0_E_clISt17integral_constantIbLb0EES1T_IbLb1EEEEDaS1P_S1Q_EUlS1P_E_NS1_11comp_targetILNS1_3genE4ELNS1_11target_archE910ELNS1_3gpuE8ELNS1_3repE0EEENS1_30default_config_static_selectorELNS0_4arch9wavefront6targetE0EEEvS12_
		.amdhsa_group_segment_fixed_size 0
		.amdhsa_private_segment_fixed_size 0
		.amdhsa_kernarg_size 184
		.amdhsa_user_sgpr_count 6
		.amdhsa_user_sgpr_private_segment_buffer 1
		.amdhsa_user_sgpr_dispatch_ptr 0
		.amdhsa_user_sgpr_queue_ptr 0
		.amdhsa_user_sgpr_kernarg_segment_ptr 1
		.amdhsa_user_sgpr_dispatch_id 0
		.amdhsa_user_sgpr_flat_scratch_init 0
		.amdhsa_user_sgpr_private_segment_size 0
		.amdhsa_wavefront_size32 1
		.amdhsa_uses_dynamic_stack 0
		.amdhsa_system_sgpr_private_segment_wavefront_offset 0
		.amdhsa_system_sgpr_workgroup_id_x 1
		.amdhsa_system_sgpr_workgroup_id_y 0
		.amdhsa_system_sgpr_workgroup_id_z 0
		.amdhsa_system_sgpr_workgroup_info 0
		.amdhsa_system_vgpr_workitem_id 0
		.amdhsa_next_free_vgpr 1
		.amdhsa_next_free_sgpr 1
		.amdhsa_reserve_vcc 0
		.amdhsa_reserve_flat_scratch 0
		.amdhsa_float_round_mode_32 0
		.amdhsa_float_round_mode_16_64 0
		.amdhsa_float_denorm_mode_32 3
		.amdhsa_float_denorm_mode_16_64 3
		.amdhsa_dx10_clamp 1
		.amdhsa_ieee_mode 1
		.amdhsa_fp16_overflow 0
		.amdhsa_workgroup_processor_mode 1
		.amdhsa_memory_ordered 1
		.amdhsa_forward_progress 1
		.amdhsa_shared_vgpr_count 0
		.amdhsa_exception_fp_ieee_invalid_op 0
		.amdhsa_exception_fp_denorm_src 0
		.amdhsa_exception_fp_ieee_div_zero 0
		.amdhsa_exception_fp_ieee_overflow 0
		.amdhsa_exception_fp_ieee_underflow 0
		.amdhsa_exception_fp_ieee_inexact 0
		.amdhsa_exception_int_div_zero 0
	.end_amdhsa_kernel
	.section	.text._ZN7rocprim17ROCPRIM_400000_NS6detail17trampoline_kernelINS0_13select_configILj256ELj13ELNS0_17block_load_methodE3ELS4_3ELS4_3ELNS0_20block_scan_algorithmE0ELj4294967295EEENS1_25partition_config_selectorILNS1_17partition_subalgoE4EjNS0_10empty_typeEbEEZZNS1_14partition_implILS8_4ELb0ES6_15HIP_vector_typeIjLj2EENS0_17counting_iteratorIjlEEPS9_SG_NS0_5tupleIJPjSI_NS0_16reverse_iteratorISI_EEEEENSH_IJSG_SG_SG_EEES9_SI_JZNS1_25segmented_radix_sort_implINS0_14default_configELb0EPKhPhPKlPlN2at6native12_GLOBAL__N_18offset_tEEE10hipError_tPvRmT1_PNSt15iterator_traitsIS12_E10value_typeET2_T3_PNS13_IS18_E10value_typeET4_jRbjT5_S1E_jjP12ihipStream_tbEUljE_ZNSN_ISO_Lb0ESQ_SR_ST_SU_SY_EESZ_S10_S11_S12_S16_S17_S18_S1B_S1C_jS1D_jS1E_S1E_jjS1G_bEUljE0_EEESZ_S10_S11_S18_S1C_S1E_T6_T7_T9_mT8_S1G_bDpT10_ENKUlT_T0_E_clISt17integral_constantIbLb0EES1T_IbLb1EEEEDaS1P_S1Q_EUlS1P_E_NS1_11comp_targetILNS1_3genE4ELNS1_11target_archE910ELNS1_3gpuE8ELNS1_3repE0EEENS1_30default_config_static_selectorELNS0_4arch9wavefront6targetE0EEEvS12_,"axG",@progbits,_ZN7rocprim17ROCPRIM_400000_NS6detail17trampoline_kernelINS0_13select_configILj256ELj13ELNS0_17block_load_methodE3ELS4_3ELS4_3ELNS0_20block_scan_algorithmE0ELj4294967295EEENS1_25partition_config_selectorILNS1_17partition_subalgoE4EjNS0_10empty_typeEbEEZZNS1_14partition_implILS8_4ELb0ES6_15HIP_vector_typeIjLj2EENS0_17counting_iteratorIjlEEPS9_SG_NS0_5tupleIJPjSI_NS0_16reverse_iteratorISI_EEEEENSH_IJSG_SG_SG_EEES9_SI_JZNS1_25segmented_radix_sort_implINS0_14default_configELb0EPKhPhPKlPlN2at6native12_GLOBAL__N_18offset_tEEE10hipError_tPvRmT1_PNSt15iterator_traitsIS12_E10value_typeET2_T3_PNS13_IS18_E10value_typeET4_jRbjT5_S1E_jjP12ihipStream_tbEUljE_ZNSN_ISO_Lb0ESQ_SR_ST_SU_SY_EESZ_S10_S11_S12_S16_S17_S18_S1B_S1C_jS1D_jS1E_S1E_jjS1G_bEUljE0_EEESZ_S10_S11_S18_S1C_S1E_T6_T7_T9_mT8_S1G_bDpT10_ENKUlT_T0_E_clISt17integral_constantIbLb0EES1T_IbLb1EEEEDaS1P_S1Q_EUlS1P_E_NS1_11comp_targetILNS1_3genE4ELNS1_11target_archE910ELNS1_3gpuE8ELNS1_3repE0EEENS1_30default_config_static_selectorELNS0_4arch9wavefront6targetE0EEEvS12_,comdat
.Lfunc_end147:
	.size	_ZN7rocprim17ROCPRIM_400000_NS6detail17trampoline_kernelINS0_13select_configILj256ELj13ELNS0_17block_load_methodE3ELS4_3ELS4_3ELNS0_20block_scan_algorithmE0ELj4294967295EEENS1_25partition_config_selectorILNS1_17partition_subalgoE4EjNS0_10empty_typeEbEEZZNS1_14partition_implILS8_4ELb0ES6_15HIP_vector_typeIjLj2EENS0_17counting_iteratorIjlEEPS9_SG_NS0_5tupleIJPjSI_NS0_16reverse_iteratorISI_EEEEENSH_IJSG_SG_SG_EEES9_SI_JZNS1_25segmented_radix_sort_implINS0_14default_configELb0EPKhPhPKlPlN2at6native12_GLOBAL__N_18offset_tEEE10hipError_tPvRmT1_PNSt15iterator_traitsIS12_E10value_typeET2_T3_PNS13_IS18_E10value_typeET4_jRbjT5_S1E_jjP12ihipStream_tbEUljE_ZNSN_ISO_Lb0ESQ_SR_ST_SU_SY_EESZ_S10_S11_S12_S16_S17_S18_S1B_S1C_jS1D_jS1E_S1E_jjS1G_bEUljE0_EEESZ_S10_S11_S18_S1C_S1E_T6_T7_T9_mT8_S1G_bDpT10_ENKUlT_T0_E_clISt17integral_constantIbLb0EES1T_IbLb1EEEEDaS1P_S1Q_EUlS1P_E_NS1_11comp_targetILNS1_3genE4ELNS1_11target_archE910ELNS1_3gpuE8ELNS1_3repE0EEENS1_30default_config_static_selectorELNS0_4arch9wavefront6targetE0EEEvS12_, .Lfunc_end147-_ZN7rocprim17ROCPRIM_400000_NS6detail17trampoline_kernelINS0_13select_configILj256ELj13ELNS0_17block_load_methodE3ELS4_3ELS4_3ELNS0_20block_scan_algorithmE0ELj4294967295EEENS1_25partition_config_selectorILNS1_17partition_subalgoE4EjNS0_10empty_typeEbEEZZNS1_14partition_implILS8_4ELb0ES6_15HIP_vector_typeIjLj2EENS0_17counting_iteratorIjlEEPS9_SG_NS0_5tupleIJPjSI_NS0_16reverse_iteratorISI_EEEEENSH_IJSG_SG_SG_EEES9_SI_JZNS1_25segmented_radix_sort_implINS0_14default_configELb0EPKhPhPKlPlN2at6native12_GLOBAL__N_18offset_tEEE10hipError_tPvRmT1_PNSt15iterator_traitsIS12_E10value_typeET2_T3_PNS13_IS18_E10value_typeET4_jRbjT5_S1E_jjP12ihipStream_tbEUljE_ZNSN_ISO_Lb0ESQ_SR_ST_SU_SY_EESZ_S10_S11_S12_S16_S17_S18_S1B_S1C_jS1D_jS1E_S1E_jjS1G_bEUljE0_EEESZ_S10_S11_S18_S1C_S1E_T6_T7_T9_mT8_S1G_bDpT10_ENKUlT_T0_E_clISt17integral_constantIbLb0EES1T_IbLb1EEEEDaS1P_S1Q_EUlS1P_E_NS1_11comp_targetILNS1_3genE4ELNS1_11target_archE910ELNS1_3gpuE8ELNS1_3repE0EEENS1_30default_config_static_selectorELNS0_4arch9wavefront6targetE0EEEvS12_
                                        ; -- End function
	.set _ZN7rocprim17ROCPRIM_400000_NS6detail17trampoline_kernelINS0_13select_configILj256ELj13ELNS0_17block_load_methodE3ELS4_3ELS4_3ELNS0_20block_scan_algorithmE0ELj4294967295EEENS1_25partition_config_selectorILNS1_17partition_subalgoE4EjNS0_10empty_typeEbEEZZNS1_14partition_implILS8_4ELb0ES6_15HIP_vector_typeIjLj2EENS0_17counting_iteratorIjlEEPS9_SG_NS0_5tupleIJPjSI_NS0_16reverse_iteratorISI_EEEEENSH_IJSG_SG_SG_EEES9_SI_JZNS1_25segmented_radix_sort_implINS0_14default_configELb0EPKhPhPKlPlN2at6native12_GLOBAL__N_18offset_tEEE10hipError_tPvRmT1_PNSt15iterator_traitsIS12_E10value_typeET2_T3_PNS13_IS18_E10value_typeET4_jRbjT5_S1E_jjP12ihipStream_tbEUljE_ZNSN_ISO_Lb0ESQ_SR_ST_SU_SY_EESZ_S10_S11_S12_S16_S17_S18_S1B_S1C_jS1D_jS1E_S1E_jjS1G_bEUljE0_EEESZ_S10_S11_S18_S1C_S1E_T6_T7_T9_mT8_S1G_bDpT10_ENKUlT_T0_E_clISt17integral_constantIbLb0EES1T_IbLb1EEEEDaS1P_S1Q_EUlS1P_E_NS1_11comp_targetILNS1_3genE4ELNS1_11target_archE910ELNS1_3gpuE8ELNS1_3repE0EEENS1_30default_config_static_selectorELNS0_4arch9wavefront6targetE0EEEvS12_.num_vgpr, 0
	.set _ZN7rocprim17ROCPRIM_400000_NS6detail17trampoline_kernelINS0_13select_configILj256ELj13ELNS0_17block_load_methodE3ELS4_3ELS4_3ELNS0_20block_scan_algorithmE0ELj4294967295EEENS1_25partition_config_selectorILNS1_17partition_subalgoE4EjNS0_10empty_typeEbEEZZNS1_14partition_implILS8_4ELb0ES6_15HIP_vector_typeIjLj2EENS0_17counting_iteratorIjlEEPS9_SG_NS0_5tupleIJPjSI_NS0_16reverse_iteratorISI_EEEEENSH_IJSG_SG_SG_EEES9_SI_JZNS1_25segmented_radix_sort_implINS0_14default_configELb0EPKhPhPKlPlN2at6native12_GLOBAL__N_18offset_tEEE10hipError_tPvRmT1_PNSt15iterator_traitsIS12_E10value_typeET2_T3_PNS13_IS18_E10value_typeET4_jRbjT5_S1E_jjP12ihipStream_tbEUljE_ZNSN_ISO_Lb0ESQ_SR_ST_SU_SY_EESZ_S10_S11_S12_S16_S17_S18_S1B_S1C_jS1D_jS1E_S1E_jjS1G_bEUljE0_EEESZ_S10_S11_S18_S1C_S1E_T6_T7_T9_mT8_S1G_bDpT10_ENKUlT_T0_E_clISt17integral_constantIbLb0EES1T_IbLb1EEEEDaS1P_S1Q_EUlS1P_E_NS1_11comp_targetILNS1_3genE4ELNS1_11target_archE910ELNS1_3gpuE8ELNS1_3repE0EEENS1_30default_config_static_selectorELNS0_4arch9wavefront6targetE0EEEvS12_.num_agpr, 0
	.set _ZN7rocprim17ROCPRIM_400000_NS6detail17trampoline_kernelINS0_13select_configILj256ELj13ELNS0_17block_load_methodE3ELS4_3ELS4_3ELNS0_20block_scan_algorithmE0ELj4294967295EEENS1_25partition_config_selectorILNS1_17partition_subalgoE4EjNS0_10empty_typeEbEEZZNS1_14partition_implILS8_4ELb0ES6_15HIP_vector_typeIjLj2EENS0_17counting_iteratorIjlEEPS9_SG_NS0_5tupleIJPjSI_NS0_16reverse_iteratorISI_EEEEENSH_IJSG_SG_SG_EEES9_SI_JZNS1_25segmented_radix_sort_implINS0_14default_configELb0EPKhPhPKlPlN2at6native12_GLOBAL__N_18offset_tEEE10hipError_tPvRmT1_PNSt15iterator_traitsIS12_E10value_typeET2_T3_PNS13_IS18_E10value_typeET4_jRbjT5_S1E_jjP12ihipStream_tbEUljE_ZNSN_ISO_Lb0ESQ_SR_ST_SU_SY_EESZ_S10_S11_S12_S16_S17_S18_S1B_S1C_jS1D_jS1E_S1E_jjS1G_bEUljE0_EEESZ_S10_S11_S18_S1C_S1E_T6_T7_T9_mT8_S1G_bDpT10_ENKUlT_T0_E_clISt17integral_constantIbLb0EES1T_IbLb1EEEEDaS1P_S1Q_EUlS1P_E_NS1_11comp_targetILNS1_3genE4ELNS1_11target_archE910ELNS1_3gpuE8ELNS1_3repE0EEENS1_30default_config_static_selectorELNS0_4arch9wavefront6targetE0EEEvS12_.numbered_sgpr, 0
	.set _ZN7rocprim17ROCPRIM_400000_NS6detail17trampoline_kernelINS0_13select_configILj256ELj13ELNS0_17block_load_methodE3ELS4_3ELS4_3ELNS0_20block_scan_algorithmE0ELj4294967295EEENS1_25partition_config_selectorILNS1_17partition_subalgoE4EjNS0_10empty_typeEbEEZZNS1_14partition_implILS8_4ELb0ES6_15HIP_vector_typeIjLj2EENS0_17counting_iteratorIjlEEPS9_SG_NS0_5tupleIJPjSI_NS0_16reverse_iteratorISI_EEEEENSH_IJSG_SG_SG_EEES9_SI_JZNS1_25segmented_radix_sort_implINS0_14default_configELb0EPKhPhPKlPlN2at6native12_GLOBAL__N_18offset_tEEE10hipError_tPvRmT1_PNSt15iterator_traitsIS12_E10value_typeET2_T3_PNS13_IS18_E10value_typeET4_jRbjT5_S1E_jjP12ihipStream_tbEUljE_ZNSN_ISO_Lb0ESQ_SR_ST_SU_SY_EESZ_S10_S11_S12_S16_S17_S18_S1B_S1C_jS1D_jS1E_S1E_jjS1G_bEUljE0_EEESZ_S10_S11_S18_S1C_S1E_T6_T7_T9_mT8_S1G_bDpT10_ENKUlT_T0_E_clISt17integral_constantIbLb0EES1T_IbLb1EEEEDaS1P_S1Q_EUlS1P_E_NS1_11comp_targetILNS1_3genE4ELNS1_11target_archE910ELNS1_3gpuE8ELNS1_3repE0EEENS1_30default_config_static_selectorELNS0_4arch9wavefront6targetE0EEEvS12_.num_named_barrier, 0
	.set _ZN7rocprim17ROCPRIM_400000_NS6detail17trampoline_kernelINS0_13select_configILj256ELj13ELNS0_17block_load_methodE3ELS4_3ELS4_3ELNS0_20block_scan_algorithmE0ELj4294967295EEENS1_25partition_config_selectorILNS1_17partition_subalgoE4EjNS0_10empty_typeEbEEZZNS1_14partition_implILS8_4ELb0ES6_15HIP_vector_typeIjLj2EENS0_17counting_iteratorIjlEEPS9_SG_NS0_5tupleIJPjSI_NS0_16reverse_iteratorISI_EEEEENSH_IJSG_SG_SG_EEES9_SI_JZNS1_25segmented_radix_sort_implINS0_14default_configELb0EPKhPhPKlPlN2at6native12_GLOBAL__N_18offset_tEEE10hipError_tPvRmT1_PNSt15iterator_traitsIS12_E10value_typeET2_T3_PNS13_IS18_E10value_typeET4_jRbjT5_S1E_jjP12ihipStream_tbEUljE_ZNSN_ISO_Lb0ESQ_SR_ST_SU_SY_EESZ_S10_S11_S12_S16_S17_S18_S1B_S1C_jS1D_jS1E_S1E_jjS1G_bEUljE0_EEESZ_S10_S11_S18_S1C_S1E_T6_T7_T9_mT8_S1G_bDpT10_ENKUlT_T0_E_clISt17integral_constantIbLb0EES1T_IbLb1EEEEDaS1P_S1Q_EUlS1P_E_NS1_11comp_targetILNS1_3genE4ELNS1_11target_archE910ELNS1_3gpuE8ELNS1_3repE0EEENS1_30default_config_static_selectorELNS0_4arch9wavefront6targetE0EEEvS12_.private_seg_size, 0
	.set _ZN7rocprim17ROCPRIM_400000_NS6detail17trampoline_kernelINS0_13select_configILj256ELj13ELNS0_17block_load_methodE3ELS4_3ELS4_3ELNS0_20block_scan_algorithmE0ELj4294967295EEENS1_25partition_config_selectorILNS1_17partition_subalgoE4EjNS0_10empty_typeEbEEZZNS1_14partition_implILS8_4ELb0ES6_15HIP_vector_typeIjLj2EENS0_17counting_iteratorIjlEEPS9_SG_NS0_5tupleIJPjSI_NS0_16reverse_iteratorISI_EEEEENSH_IJSG_SG_SG_EEES9_SI_JZNS1_25segmented_radix_sort_implINS0_14default_configELb0EPKhPhPKlPlN2at6native12_GLOBAL__N_18offset_tEEE10hipError_tPvRmT1_PNSt15iterator_traitsIS12_E10value_typeET2_T3_PNS13_IS18_E10value_typeET4_jRbjT5_S1E_jjP12ihipStream_tbEUljE_ZNSN_ISO_Lb0ESQ_SR_ST_SU_SY_EESZ_S10_S11_S12_S16_S17_S18_S1B_S1C_jS1D_jS1E_S1E_jjS1G_bEUljE0_EEESZ_S10_S11_S18_S1C_S1E_T6_T7_T9_mT8_S1G_bDpT10_ENKUlT_T0_E_clISt17integral_constantIbLb0EES1T_IbLb1EEEEDaS1P_S1Q_EUlS1P_E_NS1_11comp_targetILNS1_3genE4ELNS1_11target_archE910ELNS1_3gpuE8ELNS1_3repE0EEENS1_30default_config_static_selectorELNS0_4arch9wavefront6targetE0EEEvS12_.uses_vcc, 0
	.set _ZN7rocprim17ROCPRIM_400000_NS6detail17trampoline_kernelINS0_13select_configILj256ELj13ELNS0_17block_load_methodE3ELS4_3ELS4_3ELNS0_20block_scan_algorithmE0ELj4294967295EEENS1_25partition_config_selectorILNS1_17partition_subalgoE4EjNS0_10empty_typeEbEEZZNS1_14partition_implILS8_4ELb0ES6_15HIP_vector_typeIjLj2EENS0_17counting_iteratorIjlEEPS9_SG_NS0_5tupleIJPjSI_NS0_16reverse_iteratorISI_EEEEENSH_IJSG_SG_SG_EEES9_SI_JZNS1_25segmented_radix_sort_implINS0_14default_configELb0EPKhPhPKlPlN2at6native12_GLOBAL__N_18offset_tEEE10hipError_tPvRmT1_PNSt15iterator_traitsIS12_E10value_typeET2_T3_PNS13_IS18_E10value_typeET4_jRbjT5_S1E_jjP12ihipStream_tbEUljE_ZNSN_ISO_Lb0ESQ_SR_ST_SU_SY_EESZ_S10_S11_S12_S16_S17_S18_S1B_S1C_jS1D_jS1E_S1E_jjS1G_bEUljE0_EEESZ_S10_S11_S18_S1C_S1E_T6_T7_T9_mT8_S1G_bDpT10_ENKUlT_T0_E_clISt17integral_constantIbLb0EES1T_IbLb1EEEEDaS1P_S1Q_EUlS1P_E_NS1_11comp_targetILNS1_3genE4ELNS1_11target_archE910ELNS1_3gpuE8ELNS1_3repE0EEENS1_30default_config_static_selectorELNS0_4arch9wavefront6targetE0EEEvS12_.uses_flat_scratch, 0
	.set _ZN7rocprim17ROCPRIM_400000_NS6detail17trampoline_kernelINS0_13select_configILj256ELj13ELNS0_17block_load_methodE3ELS4_3ELS4_3ELNS0_20block_scan_algorithmE0ELj4294967295EEENS1_25partition_config_selectorILNS1_17partition_subalgoE4EjNS0_10empty_typeEbEEZZNS1_14partition_implILS8_4ELb0ES6_15HIP_vector_typeIjLj2EENS0_17counting_iteratorIjlEEPS9_SG_NS0_5tupleIJPjSI_NS0_16reverse_iteratorISI_EEEEENSH_IJSG_SG_SG_EEES9_SI_JZNS1_25segmented_radix_sort_implINS0_14default_configELb0EPKhPhPKlPlN2at6native12_GLOBAL__N_18offset_tEEE10hipError_tPvRmT1_PNSt15iterator_traitsIS12_E10value_typeET2_T3_PNS13_IS18_E10value_typeET4_jRbjT5_S1E_jjP12ihipStream_tbEUljE_ZNSN_ISO_Lb0ESQ_SR_ST_SU_SY_EESZ_S10_S11_S12_S16_S17_S18_S1B_S1C_jS1D_jS1E_S1E_jjS1G_bEUljE0_EEESZ_S10_S11_S18_S1C_S1E_T6_T7_T9_mT8_S1G_bDpT10_ENKUlT_T0_E_clISt17integral_constantIbLb0EES1T_IbLb1EEEEDaS1P_S1Q_EUlS1P_E_NS1_11comp_targetILNS1_3genE4ELNS1_11target_archE910ELNS1_3gpuE8ELNS1_3repE0EEENS1_30default_config_static_selectorELNS0_4arch9wavefront6targetE0EEEvS12_.has_dyn_sized_stack, 0
	.set _ZN7rocprim17ROCPRIM_400000_NS6detail17trampoline_kernelINS0_13select_configILj256ELj13ELNS0_17block_load_methodE3ELS4_3ELS4_3ELNS0_20block_scan_algorithmE0ELj4294967295EEENS1_25partition_config_selectorILNS1_17partition_subalgoE4EjNS0_10empty_typeEbEEZZNS1_14partition_implILS8_4ELb0ES6_15HIP_vector_typeIjLj2EENS0_17counting_iteratorIjlEEPS9_SG_NS0_5tupleIJPjSI_NS0_16reverse_iteratorISI_EEEEENSH_IJSG_SG_SG_EEES9_SI_JZNS1_25segmented_radix_sort_implINS0_14default_configELb0EPKhPhPKlPlN2at6native12_GLOBAL__N_18offset_tEEE10hipError_tPvRmT1_PNSt15iterator_traitsIS12_E10value_typeET2_T3_PNS13_IS18_E10value_typeET4_jRbjT5_S1E_jjP12ihipStream_tbEUljE_ZNSN_ISO_Lb0ESQ_SR_ST_SU_SY_EESZ_S10_S11_S12_S16_S17_S18_S1B_S1C_jS1D_jS1E_S1E_jjS1G_bEUljE0_EEESZ_S10_S11_S18_S1C_S1E_T6_T7_T9_mT8_S1G_bDpT10_ENKUlT_T0_E_clISt17integral_constantIbLb0EES1T_IbLb1EEEEDaS1P_S1Q_EUlS1P_E_NS1_11comp_targetILNS1_3genE4ELNS1_11target_archE910ELNS1_3gpuE8ELNS1_3repE0EEENS1_30default_config_static_selectorELNS0_4arch9wavefront6targetE0EEEvS12_.has_recursion, 0
	.set _ZN7rocprim17ROCPRIM_400000_NS6detail17trampoline_kernelINS0_13select_configILj256ELj13ELNS0_17block_load_methodE3ELS4_3ELS4_3ELNS0_20block_scan_algorithmE0ELj4294967295EEENS1_25partition_config_selectorILNS1_17partition_subalgoE4EjNS0_10empty_typeEbEEZZNS1_14partition_implILS8_4ELb0ES6_15HIP_vector_typeIjLj2EENS0_17counting_iteratorIjlEEPS9_SG_NS0_5tupleIJPjSI_NS0_16reverse_iteratorISI_EEEEENSH_IJSG_SG_SG_EEES9_SI_JZNS1_25segmented_radix_sort_implINS0_14default_configELb0EPKhPhPKlPlN2at6native12_GLOBAL__N_18offset_tEEE10hipError_tPvRmT1_PNSt15iterator_traitsIS12_E10value_typeET2_T3_PNS13_IS18_E10value_typeET4_jRbjT5_S1E_jjP12ihipStream_tbEUljE_ZNSN_ISO_Lb0ESQ_SR_ST_SU_SY_EESZ_S10_S11_S12_S16_S17_S18_S1B_S1C_jS1D_jS1E_S1E_jjS1G_bEUljE0_EEESZ_S10_S11_S18_S1C_S1E_T6_T7_T9_mT8_S1G_bDpT10_ENKUlT_T0_E_clISt17integral_constantIbLb0EES1T_IbLb1EEEEDaS1P_S1Q_EUlS1P_E_NS1_11comp_targetILNS1_3genE4ELNS1_11target_archE910ELNS1_3gpuE8ELNS1_3repE0EEENS1_30default_config_static_selectorELNS0_4arch9wavefront6targetE0EEEvS12_.has_indirect_call, 0
	.section	.AMDGPU.csdata,"",@progbits
; Kernel info:
; codeLenInByte = 0
; TotalNumSgprs: 0
; NumVgprs: 0
; ScratchSize: 0
; MemoryBound: 0
; FloatMode: 240
; IeeeMode: 1
; LDSByteSize: 0 bytes/workgroup (compile time only)
; SGPRBlocks: 0
; VGPRBlocks: 0
; NumSGPRsForWavesPerEU: 1
; NumVGPRsForWavesPerEU: 1
; Occupancy: 16
; WaveLimiterHint : 0
; COMPUTE_PGM_RSRC2:SCRATCH_EN: 0
; COMPUTE_PGM_RSRC2:USER_SGPR: 6
; COMPUTE_PGM_RSRC2:TRAP_HANDLER: 0
; COMPUTE_PGM_RSRC2:TGID_X_EN: 1
; COMPUTE_PGM_RSRC2:TGID_Y_EN: 0
; COMPUTE_PGM_RSRC2:TGID_Z_EN: 0
; COMPUTE_PGM_RSRC2:TIDIG_COMP_CNT: 0
	.section	.text._ZN7rocprim17ROCPRIM_400000_NS6detail17trampoline_kernelINS0_13select_configILj256ELj13ELNS0_17block_load_methodE3ELS4_3ELS4_3ELNS0_20block_scan_algorithmE0ELj4294967295EEENS1_25partition_config_selectorILNS1_17partition_subalgoE4EjNS0_10empty_typeEbEEZZNS1_14partition_implILS8_4ELb0ES6_15HIP_vector_typeIjLj2EENS0_17counting_iteratorIjlEEPS9_SG_NS0_5tupleIJPjSI_NS0_16reverse_iteratorISI_EEEEENSH_IJSG_SG_SG_EEES9_SI_JZNS1_25segmented_radix_sort_implINS0_14default_configELb0EPKhPhPKlPlN2at6native12_GLOBAL__N_18offset_tEEE10hipError_tPvRmT1_PNSt15iterator_traitsIS12_E10value_typeET2_T3_PNS13_IS18_E10value_typeET4_jRbjT5_S1E_jjP12ihipStream_tbEUljE_ZNSN_ISO_Lb0ESQ_SR_ST_SU_SY_EESZ_S10_S11_S12_S16_S17_S18_S1B_S1C_jS1D_jS1E_S1E_jjS1G_bEUljE0_EEESZ_S10_S11_S18_S1C_S1E_T6_T7_T9_mT8_S1G_bDpT10_ENKUlT_T0_E_clISt17integral_constantIbLb0EES1T_IbLb1EEEEDaS1P_S1Q_EUlS1P_E_NS1_11comp_targetILNS1_3genE3ELNS1_11target_archE908ELNS1_3gpuE7ELNS1_3repE0EEENS1_30default_config_static_selectorELNS0_4arch9wavefront6targetE0EEEvS12_,"axG",@progbits,_ZN7rocprim17ROCPRIM_400000_NS6detail17trampoline_kernelINS0_13select_configILj256ELj13ELNS0_17block_load_methodE3ELS4_3ELS4_3ELNS0_20block_scan_algorithmE0ELj4294967295EEENS1_25partition_config_selectorILNS1_17partition_subalgoE4EjNS0_10empty_typeEbEEZZNS1_14partition_implILS8_4ELb0ES6_15HIP_vector_typeIjLj2EENS0_17counting_iteratorIjlEEPS9_SG_NS0_5tupleIJPjSI_NS0_16reverse_iteratorISI_EEEEENSH_IJSG_SG_SG_EEES9_SI_JZNS1_25segmented_radix_sort_implINS0_14default_configELb0EPKhPhPKlPlN2at6native12_GLOBAL__N_18offset_tEEE10hipError_tPvRmT1_PNSt15iterator_traitsIS12_E10value_typeET2_T3_PNS13_IS18_E10value_typeET4_jRbjT5_S1E_jjP12ihipStream_tbEUljE_ZNSN_ISO_Lb0ESQ_SR_ST_SU_SY_EESZ_S10_S11_S12_S16_S17_S18_S1B_S1C_jS1D_jS1E_S1E_jjS1G_bEUljE0_EEESZ_S10_S11_S18_S1C_S1E_T6_T7_T9_mT8_S1G_bDpT10_ENKUlT_T0_E_clISt17integral_constantIbLb0EES1T_IbLb1EEEEDaS1P_S1Q_EUlS1P_E_NS1_11comp_targetILNS1_3genE3ELNS1_11target_archE908ELNS1_3gpuE7ELNS1_3repE0EEENS1_30default_config_static_selectorELNS0_4arch9wavefront6targetE0EEEvS12_,comdat
	.globl	_ZN7rocprim17ROCPRIM_400000_NS6detail17trampoline_kernelINS0_13select_configILj256ELj13ELNS0_17block_load_methodE3ELS4_3ELS4_3ELNS0_20block_scan_algorithmE0ELj4294967295EEENS1_25partition_config_selectorILNS1_17partition_subalgoE4EjNS0_10empty_typeEbEEZZNS1_14partition_implILS8_4ELb0ES6_15HIP_vector_typeIjLj2EENS0_17counting_iteratorIjlEEPS9_SG_NS0_5tupleIJPjSI_NS0_16reverse_iteratorISI_EEEEENSH_IJSG_SG_SG_EEES9_SI_JZNS1_25segmented_radix_sort_implINS0_14default_configELb0EPKhPhPKlPlN2at6native12_GLOBAL__N_18offset_tEEE10hipError_tPvRmT1_PNSt15iterator_traitsIS12_E10value_typeET2_T3_PNS13_IS18_E10value_typeET4_jRbjT5_S1E_jjP12ihipStream_tbEUljE_ZNSN_ISO_Lb0ESQ_SR_ST_SU_SY_EESZ_S10_S11_S12_S16_S17_S18_S1B_S1C_jS1D_jS1E_S1E_jjS1G_bEUljE0_EEESZ_S10_S11_S18_S1C_S1E_T6_T7_T9_mT8_S1G_bDpT10_ENKUlT_T0_E_clISt17integral_constantIbLb0EES1T_IbLb1EEEEDaS1P_S1Q_EUlS1P_E_NS1_11comp_targetILNS1_3genE3ELNS1_11target_archE908ELNS1_3gpuE7ELNS1_3repE0EEENS1_30default_config_static_selectorELNS0_4arch9wavefront6targetE0EEEvS12_ ; -- Begin function _ZN7rocprim17ROCPRIM_400000_NS6detail17trampoline_kernelINS0_13select_configILj256ELj13ELNS0_17block_load_methodE3ELS4_3ELS4_3ELNS0_20block_scan_algorithmE0ELj4294967295EEENS1_25partition_config_selectorILNS1_17partition_subalgoE4EjNS0_10empty_typeEbEEZZNS1_14partition_implILS8_4ELb0ES6_15HIP_vector_typeIjLj2EENS0_17counting_iteratorIjlEEPS9_SG_NS0_5tupleIJPjSI_NS0_16reverse_iteratorISI_EEEEENSH_IJSG_SG_SG_EEES9_SI_JZNS1_25segmented_radix_sort_implINS0_14default_configELb0EPKhPhPKlPlN2at6native12_GLOBAL__N_18offset_tEEE10hipError_tPvRmT1_PNSt15iterator_traitsIS12_E10value_typeET2_T3_PNS13_IS18_E10value_typeET4_jRbjT5_S1E_jjP12ihipStream_tbEUljE_ZNSN_ISO_Lb0ESQ_SR_ST_SU_SY_EESZ_S10_S11_S12_S16_S17_S18_S1B_S1C_jS1D_jS1E_S1E_jjS1G_bEUljE0_EEESZ_S10_S11_S18_S1C_S1E_T6_T7_T9_mT8_S1G_bDpT10_ENKUlT_T0_E_clISt17integral_constantIbLb0EES1T_IbLb1EEEEDaS1P_S1Q_EUlS1P_E_NS1_11comp_targetILNS1_3genE3ELNS1_11target_archE908ELNS1_3gpuE7ELNS1_3repE0EEENS1_30default_config_static_selectorELNS0_4arch9wavefront6targetE0EEEvS12_
	.p2align	8
	.type	_ZN7rocprim17ROCPRIM_400000_NS6detail17trampoline_kernelINS0_13select_configILj256ELj13ELNS0_17block_load_methodE3ELS4_3ELS4_3ELNS0_20block_scan_algorithmE0ELj4294967295EEENS1_25partition_config_selectorILNS1_17partition_subalgoE4EjNS0_10empty_typeEbEEZZNS1_14partition_implILS8_4ELb0ES6_15HIP_vector_typeIjLj2EENS0_17counting_iteratorIjlEEPS9_SG_NS0_5tupleIJPjSI_NS0_16reverse_iteratorISI_EEEEENSH_IJSG_SG_SG_EEES9_SI_JZNS1_25segmented_radix_sort_implINS0_14default_configELb0EPKhPhPKlPlN2at6native12_GLOBAL__N_18offset_tEEE10hipError_tPvRmT1_PNSt15iterator_traitsIS12_E10value_typeET2_T3_PNS13_IS18_E10value_typeET4_jRbjT5_S1E_jjP12ihipStream_tbEUljE_ZNSN_ISO_Lb0ESQ_SR_ST_SU_SY_EESZ_S10_S11_S12_S16_S17_S18_S1B_S1C_jS1D_jS1E_S1E_jjS1G_bEUljE0_EEESZ_S10_S11_S18_S1C_S1E_T6_T7_T9_mT8_S1G_bDpT10_ENKUlT_T0_E_clISt17integral_constantIbLb0EES1T_IbLb1EEEEDaS1P_S1Q_EUlS1P_E_NS1_11comp_targetILNS1_3genE3ELNS1_11target_archE908ELNS1_3gpuE7ELNS1_3repE0EEENS1_30default_config_static_selectorELNS0_4arch9wavefront6targetE0EEEvS12_,@function
_ZN7rocprim17ROCPRIM_400000_NS6detail17trampoline_kernelINS0_13select_configILj256ELj13ELNS0_17block_load_methodE3ELS4_3ELS4_3ELNS0_20block_scan_algorithmE0ELj4294967295EEENS1_25partition_config_selectorILNS1_17partition_subalgoE4EjNS0_10empty_typeEbEEZZNS1_14partition_implILS8_4ELb0ES6_15HIP_vector_typeIjLj2EENS0_17counting_iteratorIjlEEPS9_SG_NS0_5tupleIJPjSI_NS0_16reverse_iteratorISI_EEEEENSH_IJSG_SG_SG_EEES9_SI_JZNS1_25segmented_radix_sort_implINS0_14default_configELb0EPKhPhPKlPlN2at6native12_GLOBAL__N_18offset_tEEE10hipError_tPvRmT1_PNSt15iterator_traitsIS12_E10value_typeET2_T3_PNS13_IS18_E10value_typeET4_jRbjT5_S1E_jjP12ihipStream_tbEUljE_ZNSN_ISO_Lb0ESQ_SR_ST_SU_SY_EESZ_S10_S11_S12_S16_S17_S18_S1B_S1C_jS1D_jS1E_S1E_jjS1G_bEUljE0_EEESZ_S10_S11_S18_S1C_S1E_T6_T7_T9_mT8_S1G_bDpT10_ENKUlT_T0_E_clISt17integral_constantIbLb0EES1T_IbLb1EEEEDaS1P_S1Q_EUlS1P_E_NS1_11comp_targetILNS1_3genE3ELNS1_11target_archE908ELNS1_3gpuE7ELNS1_3repE0EEENS1_30default_config_static_selectorELNS0_4arch9wavefront6targetE0EEEvS12_: ; @_ZN7rocprim17ROCPRIM_400000_NS6detail17trampoline_kernelINS0_13select_configILj256ELj13ELNS0_17block_load_methodE3ELS4_3ELS4_3ELNS0_20block_scan_algorithmE0ELj4294967295EEENS1_25partition_config_selectorILNS1_17partition_subalgoE4EjNS0_10empty_typeEbEEZZNS1_14partition_implILS8_4ELb0ES6_15HIP_vector_typeIjLj2EENS0_17counting_iteratorIjlEEPS9_SG_NS0_5tupleIJPjSI_NS0_16reverse_iteratorISI_EEEEENSH_IJSG_SG_SG_EEES9_SI_JZNS1_25segmented_radix_sort_implINS0_14default_configELb0EPKhPhPKlPlN2at6native12_GLOBAL__N_18offset_tEEE10hipError_tPvRmT1_PNSt15iterator_traitsIS12_E10value_typeET2_T3_PNS13_IS18_E10value_typeET4_jRbjT5_S1E_jjP12ihipStream_tbEUljE_ZNSN_ISO_Lb0ESQ_SR_ST_SU_SY_EESZ_S10_S11_S12_S16_S17_S18_S1B_S1C_jS1D_jS1E_S1E_jjS1G_bEUljE0_EEESZ_S10_S11_S18_S1C_S1E_T6_T7_T9_mT8_S1G_bDpT10_ENKUlT_T0_E_clISt17integral_constantIbLb0EES1T_IbLb1EEEEDaS1P_S1Q_EUlS1P_E_NS1_11comp_targetILNS1_3genE3ELNS1_11target_archE908ELNS1_3gpuE7ELNS1_3repE0EEENS1_30default_config_static_selectorELNS0_4arch9wavefront6targetE0EEEvS12_
; %bb.0:
	.section	.rodata,"a",@progbits
	.p2align	6, 0x0
	.amdhsa_kernel _ZN7rocprim17ROCPRIM_400000_NS6detail17trampoline_kernelINS0_13select_configILj256ELj13ELNS0_17block_load_methodE3ELS4_3ELS4_3ELNS0_20block_scan_algorithmE0ELj4294967295EEENS1_25partition_config_selectorILNS1_17partition_subalgoE4EjNS0_10empty_typeEbEEZZNS1_14partition_implILS8_4ELb0ES6_15HIP_vector_typeIjLj2EENS0_17counting_iteratorIjlEEPS9_SG_NS0_5tupleIJPjSI_NS0_16reverse_iteratorISI_EEEEENSH_IJSG_SG_SG_EEES9_SI_JZNS1_25segmented_radix_sort_implINS0_14default_configELb0EPKhPhPKlPlN2at6native12_GLOBAL__N_18offset_tEEE10hipError_tPvRmT1_PNSt15iterator_traitsIS12_E10value_typeET2_T3_PNS13_IS18_E10value_typeET4_jRbjT5_S1E_jjP12ihipStream_tbEUljE_ZNSN_ISO_Lb0ESQ_SR_ST_SU_SY_EESZ_S10_S11_S12_S16_S17_S18_S1B_S1C_jS1D_jS1E_S1E_jjS1G_bEUljE0_EEESZ_S10_S11_S18_S1C_S1E_T6_T7_T9_mT8_S1G_bDpT10_ENKUlT_T0_E_clISt17integral_constantIbLb0EES1T_IbLb1EEEEDaS1P_S1Q_EUlS1P_E_NS1_11comp_targetILNS1_3genE3ELNS1_11target_archE908ELNS1_3gpuE7ELNS1_3repE0EEENS1_30default_config_static_selectorELNS0_4arch9wavefront6targetE0EEEvS12_
		.amdhsa_group_segment_fixed_size 0
		.amdhsa_private_segment_fixed_size 0
		.amdhsa_kernarg_size 184
		.amdhsa_user_sgpr_count 6
		.amdhsa_user_sgpr_private_segment_buffer 1
		.amdhsa_user_sgpr_dispatch_ptr 0
		.amdhsa_user_sgpr_queue_ptr 0
		.amdhsa_user_sgpr_kernarg_segment_ptr 1
		.amdhsa_user_sgpr_dispatch_id 0
		.amdhsa_user_sgpr_flat_scratch_init 0
		.amdhsa_user_sgpr_private_segment_size 0
		.amdhsa_wavefront_size32 1
		.amdhsa_uses_dynamic_stack 0
		.amdhsa_system_sgpr_private_segment_wavefront_offset 0
		.amdhsa_system_sgpr_workgroup_id_x 1
		.amdhsa_system_sgpr_workgroup_id_y 0
		.amdhsa_system_sgpr_workgroup_id_z 0
		.amdhsa_system_sgpr_workgroup_info 0
		.amdhsa_system_vgpr_workitem_id 0
		.amdhsa_next_free_vgpr 1
		.amdhsa_next_free_sgpr 1
		.amdhsa_reserve_vcc 0
		.amdhsa_reserve_flat_scratch 0
		.amdhsa_float_round_mode_32 0
		.amdhsa_float_round_mode_16_64 0
		.amdhsa_float_denorm_mode_32 3
		.amdhsa_float_denorm_mode_16_64 3
		.amdhsa_dx10_clamp 1
		.amdhsa_ieee_mode 1
		.amdhsa_fp16_overflow 0
		.amdhsa_workgroup_processor_mode 1
		.amdhsa_memory_ordered 1
		.amdhsa_forward_progress 1
		.amdhsa_shared_vgpr_count 0
		.amdhsa_exception_fp_ieee_invalid_op 0
		.amdhsa_exception_fp_denorm_src 0
		.amdhsa_exception_fp_ieee_div_zero 0
		.amdhsa_exception_fp_ieee_overflow 0
		.amdhsa_exception_fp_ieee_underflow 0
		.amdhsa_exception_fp_ieee_inexact 0
		.amdhsa_exception_int_div_zero 0
	.end_amdhsa_kernel
	.section	.text._ZN7rocprim17ROCPRIM_400000_NS6detail17trampoline_kernelINS0_13select_configILj256ELj13ELNS0_17block_load_methodE3ELS4_3ELS4_3ELNS0_20block_scan_algorithmE0ELj4294967295EEENS1_25partition_config_selectorILNS1_17partition_subalgoE4EjNS0_10empty_typeEbEEZZNS1_14partition_implILS8_4ELb0ES6_15HIP_vector_typeIjLj2EENS0_17counting_iteratorIjlEEPS9_SG_NS0_5tupleIJPjSI_NS0_16reverse_iteratorISI_EEEEENSH_IJSG_SG_SG_EEES9_SI_JZNS1_25segmented_radix_sort_implINS0_14default_configELb0EPKhPhPKlPlN2at6native12_GLOBAL__N_18offset_tEEE10hipError_tPvRmT1_PNSt15iterator_traitsIS12_E10value_typeET2_T3_PNS13_IS18_E10value_typeET4_jRbjT5_S1E_jjP12ihipStream_tbEUljE_ZNSN_ISO_Lb0ESQ_SR_ST_SU_SY_EESZ_S10_S11_S12_S16_S17_S18_S1B_S1C_jS1D_jS1E_S1E_jjS1G_bEUljE0_EEESZ_S10_S11_S18_S1C_S1E_T6_T7_T9_mT8_S1G_bDpT10_ENKUlT_T0_E_clISt17integral_constantIbLb0EES1T_IbLb1EEEEDaS1P_S1Q_EUlS1P_E_NS1_11comp_targetILNS1_3genE3ELNS1_11target_archE908ELNS1_3gpuE7ELNS1_3repE0EEENS1_30default_config_static_selectorELNS0_4arch9wavefront6targetE0EEEvS12_,"axG",@progbits,_ZN7rocprim17ROCPRIM_400000_NS6detail17trampoline_kernelINS0_13select_configILj256ELj13ELNS0_17block_load_methodE3ELS4_3ELS4_3ELNS0_20block_scan_algorithmE0ELj4294967295EEENS1_25partition_config_selectorILNS1_17partition_subalgoE4EjNS0_10empty_typeEbEEZZNS1_14partition_implILS8_4ELb0ES6_15HIP_vector_typeIjLj2EENS0_17counting_iteratorIjlEEPS9_SG_NS0_5tupleIJPjSI_NS0_16reverse_iteratorISI_EEEEENSH_IJSG_SG_SG_EEES9_SI_JZNS1_25segmented_radix_sort_implINS0_14default_configELb0EPKhPhPKlPlN2at6native12_GLOBAL__N_18offset_tEEE10hipError_tPvRmT1_PNSt15iterator_traitsIS12_E10value_typeET2_T3_PNS13_IS18_E10value_typeET4_jRbjT5_S1E_jjP12ihipStream_tbEUljE_ZNSN_ISO_Lb0ESQ_SR_ST_SU_SY_EESZ_S10_S11_S12_S16_S17_S18_S1B_S1C_jS1D_jS1E_S1E_jjS1G_bEUljE0_EEESZ_S10_S11_S18_S1C_S1E_T6_T7_T9_mT8_S1G_bDpT10_ENKUlT_T0_E_clISt17integral_constantIbLb0EES1T_IbLb1EEEEDaS1P_S1Q_EUlS1P_E_NS1_11comp_targetILNS1_3genE3ELNS1_11target_archE908ELNS1_3gpuE7ELNS1_3repE0EEENS1_30default_config_static_selectorELNS0_4arch9wavefront6targetE0EEEvS12_,comdat
.Lfunc_end148:
	.size	_ZN7rocprim17ROCPRIM_400000_NS6detail17trampoline_kernelINS0_13select_configILj256ELj13ELNS0_17block_load_methodE3ELS4_3ELS4_3ELNS0_20block_scan_algorithmE0ELj4294967295EEENS1_25partition_config_selectorILNS1_17partition_subalgoE4EjNS0_10empty_typeEbEEZZNS1_14partition_implILS8_4ELb0ES6_15HIP_vector_typeIjLj2EENS0_17counting_iteratorIjlEEPS9_SG_NS0_5tupleIJPjSI_NS0_16reverse_iteratorISI_EEEEENSH_IJSG_SG_SG_EEES9_SI_JZNS1_25segmented_radix_sort_implINS0_14default_configELb0EPKhPhPKlPlN2at6native12_GLOBAL__N_18offset_tEEE10hipError_tPvRmT1_PNSt15iterator_traitsIS12_E10value_typeET2_T3_PNS13_IS18_E10value_typeET4_jRbjT5_S1E_jjP12ihipStream_tbEUljE_ZNSN_ISO_Lb0ESQ_SR_ST_SU_SY_EESZ_S10_S11_S12_S16_S17_S18_S1B_S1C_jS1D_jS1E_S1E_jjS1G_bEUljE0_EEESZ_S10_S11_S18_S1C_S1E_T6_T7_T9_mT8_S1G_bDpT10_ENKUlT_T0_E_clISt17integral_constantIbLb0EES1T_IbLb1EEEEDaS1P_S1Q_EUlS1P_E_NS1_11comp_targetILNS1_3genE3ELNS1_11target_archE908ELNS1_3gpuE7ELNS1_3repE0EEENS1_30default_config_static_selectorELNS0_4arch9wavefront6targetE0EEEvS12_, .Lfunc_end148-_ZN7rocprim17ROCPRIM_400000_NS6detail17trampoline_kernelINS0_13select_configILj256ELj13ELNS0_17block_load_methodE3ELS4_3ELS4_3ELNS0_20block_scan_algorithmE0ELj4294967295EEENS1_25partition_config_selectorILNS1_17partition_subalgoE4EjNS0_10empty_typeEbEEZZNS1_14partition_implILS8_4ELb0ES6_15HIP_vector_typeIjLj2EENS0_17counting_iteratorIjlEEPS9_SG_NS0_5tupleIJPjSI_NS0_16reverse_iteratorISI_EEEEENSH_IJSG_SG_SG_EEES9_SI_JZNS1_25segmented_radix_sort_implINS0_14default_configELb0EPKhPhPKlPlN2at6native12_GLOBAL__N_18offset_tEEE10hipError_tPvRmT1_PNSt15iterator_traitsIS12_E10value_typeET2_T3_PNS13_IS18_E10value_typeET4_jRbjT5_S1E_jjP12ihipStream_tbEUljE_ZNSN_ISO_Lb0ESQ_SR_ST_SU_SY_EESZ_S10_S11_S12_S16_S17_S18_S1B_S1C_jS1D_jS1E_S1E_jjS1G_bEUljE0_EEESZ_S10_S11_S18_S1C_S1E_T6_T7_T9_mT8_S1G_bDpT10_ENKUlT_T0_E_clISt17integral_constantIbLb0EES1T_IbLb1EEEEDaS1P_S1Q_EUlS1P_E_NS1_11comp_targetILNS1_3genE3ELNS1_11target_archE908ELNS1_3gpuE7ELNS1_3repE0EEENS1_30default_config_static_selectorELNS0_4arch9wavefront6targetE0EEEvS12_
                                        ; -- End function
	.set _ZN7rocprim17ROCPRIM_400000_NS6detail17trampoline_kernelINS0_13select_configILj256ELj13ELNS0_17block_load_methodE3ELS4_3ELS4_3ELNS0_20block_scan_algorithmE0ELj4294967295EEENS1_25partition_config_selectorILNS1_17partition_subalgoE4EjNS0_10empty_typeEbEEZZNS1_14partition_implILS8_4ELb0ES6_15HIP_vector_typeIjLj2EENS0_17counting_iteratorIjlEEPS9_SG_NS0_5tupleIJPjSI_NS0_16reverse_iteratorISI_EEEEENSH_IJSG_SG_SG_EEES9_SI_JZNS1_25segmented_radix_sort_implINS0_14default_configELb0EPKhPhPKlPlN2at6native12_GLOBAL__N_18offset_tEEE10hipError_tPvRmT1_PNSt15iterator_traitsIS12_E10value_typeET2_T3_PNS13_IS18_E10value_typeET4_jRbjT5_S1E_jjP12ihipStream_tbEUljE_ZNSN_ISO_Lb0ESQ_SR_ST_SU_SY_EESZ_S10_S11_S12_S16_S17_S18_S1B_S1C_jS1D_jS1E_S1E_jjS1G_bEUljE0_EEESZ_S10_S11_S18_S1C_S1E_T6_T7_T9_mT8_S1G_bDpT10_ENKUlT_T0_E_clISt17integral_constantIbLb0EES1T_IbLb1EEEEDaS1P_S1Q_EUlS1P_E_NS1_11comp_targetILNS1_3genE3ELNS1_11target_archE908ELNS1_3gpuE7ELNS1_3repE0EEENS1_30default_config_static_selectorELNS0_4arch9wavefront6targetE0EEEvS12_.num_vgpr, 0
	.set _ZN7rocprim17ROCPRIM_400000_NS6detail17trampoline_kernelINS0_13select_configILj256ELj13ELNS0_17block_load_methodE3ELS4_3ELS4_3ELNS0_20block_scan_algorithmE0ELj4294967295EEENS1_25partition_config_selectorILNS1_17partition_subalgoE4EjNS0_10empty_typeEbEEZZNS1_14partition_implILS8_4ELb0ES6_15HIP_vector_typeIjLj2EENS0_17counting_iteratorIjlEEPS9_SG_NS0_5tupleIJPjSI_NS0_16reverse_iteratorISI_EEEEENSH_IJSG_SG_SG_EEES9_SI_JZNS1_25segmented_radix_sort_implINS0_14default_configELb0EPKhPhPKlPlN2at6native12_GLOBAL__N_18offset_tEEE10hipError_tPvRmT1_PNSt15iterator_traitsIS12_E10value_typeET2_T3_PNS13_IS18_E10value_typeET4_jRbjT5_S1E_jjP12ihipStream_tbEUljE_ZNSN_ISO_Lb0ESQ_SR_ST_SU_SY_EESZ_S10_S11_S12_S16_S17_S18_S1B_S1C_jS1D_jS1E_S1E_jjS1G_bEUljE0_EEESZ_S10_S11_S18_S1C_S1E_T6_T7_T9_mT8_S1G_bDpT10_ENKUlT_T0_E_clISt17integral_constantIbLb0EES1T_IbLb1EEEEDaS1P_S1Q_EUlS1P_E_NS1_11comp_targetILNS1_3genE3ELNS1_11target_archE908ELNS1_3gpuE7ELNS1_3repE0EEENS1_30default_config_static_selectorELNS0_4arch9wavefront6targetE0EEEvS12_.num_agpr, 0
	.set _ZN7rocprim17ROCPRIM_400000_NS6detail17trampoline_kernelINS0_13select_configILj256ELj13ELNS0_17block_load_methodE3ELS4_3ELS4_3ELNS0_20block_scan_algorithmE0ELj4294967295EEENS1_25partition_config_selectorILNS1_17partition_subalgoE4EjNS0_10empty_typeEbEEZZNS1_14partition_implILS8_4ELb0ES6_15HIP_vector_typeIjLj2EENS0_17counting_iteratorIjlEEPS9_SG_NS0_5tupleIJPjSI_NS0_16reverse_iteratorISI_EEEEENSH_IJSG_SG_SG_EEES9_SI_JZNS1_25segmented_radix_sort_implINS0_14default_configELb0EPKhPhPKlPlN2at6native12_GLOBAL__N_18offset_tEEE10hipError_tPvRmT1_PNSt15iterator_traitsIS12_E10value_typeET2_T3_PNS13_IS18_E10value_typeET4_jRbjT5_S1E_jjP12ihipStream_tbEUljE_ZNSN_ISO_Lb0ESQ_SR_ST_SU_SY_EESZ_S10_S11_S12_S16_S17_S18_S1B_S1C_jS1D_jS1E_S1E_jjS1G_bEUljE0_EEESZ_S10_S11_S18_S1C_S1E_T6_T7_T9_mT8_S1G_bDpT10_ENKUlT_T0_E_clISt17integral_constantIbLb0EES1T_IbLb1EEEEDaS1P_S1Q_EUlS1P_E_NS1_11comp_targetILNS1_3genE3ELNS1_11target_archE908ELNS1_3gpuE7ELNS1_3repE0EEENS1_30default_config_static_selectorELNS0_4arch9wavefront6targetE0EEEvS12_.numbered_sgpr, 0
	.set _ZN7rocprim17ROCPRIM_400000_NS6detail17trampoline_kernelINS0_13select_configILj256ELj13ELNS0_17block_load_methodE3ELS4_3ELS4_3ELNS0_20block_scan_algorithmE0ELj4294967295EEENS1_25partition_config_selectorILNS1_17partition_subalgoE4EjNS0_10empty_typeEbEEZZNS1_14partition_implILS8_4ELb0ES6_15HIP_vector_typeIjLj2EENS0_17counting_iteratorIjlEEPS9_SG_NS0_5tupleIJPjSI_NS0_16reverse_iteratorISI_EEEEENSH_IJSG_SG_SG_EEES9_SI_JZNS1_25segmented_radix_sort_implINS0_14default_configELb0EPKhPhPKlPlN2at6native12_GLOBAL__N_18offset_tEEE10hipError_tPvRmT1_PNSt15iterator_traitsIS12_E10value_typeET2_T3_PNS13_IS18_E10value_typeET4_jRbjT5_S1E_jjP12ihipStream_tbEUljE_ZNSN_ISO_Lb0ESQ_SR_ST_SU_SY_EESZ_S10_S11_S12_S16_S17_S18_S1B_S1C_jS1D_jS1E_S1E_jjS1G_bEUljE0_EEESZ_S10_S11_S18_S1C_S1E_T6_T7_T9_mT8_S1G_bDpT10_ENKUlT_T0_E_clISt17integral_constantIbLb0EES1T_IbLb1EEEEDaS1P_S1Q_EUlS1P_E_NS1_11comp_targetILNS1_3genE3ELNS1_11target_archE908ELNS1_3gpuE7ELNS1_3repE0EEENS1_30default_config_static_selectorELNS0_4arch9wavefront6targetE0EEEvS12_.num_named_barrier, 0
	.set _ZN7rocprim17ROCPRIM_400000_NS6detail17trampoline_kernelINS0_13select_configILj256ELj13ELNS0_17block_load_methodE3ELS4_3ELS4_3ELNS0_20block_scan_algorithmE0ELj4294967295EEENS1_25partition_config_selectorILNS1_17partition_subalgoE4EjNS0_10empty_typeEbEEZZNS1_14partition_implILS8_4ELb0ES6_15HIP_vector_typeIjLj2EENS0_17counting_iteratorIjlEEPS9_SG_NS0_5tupleIJPjSI_NS0_16reverse_iteratorISI_EEEEENSH_IJSG_SG_SG_EEES9_SI_JZNS1_25segmented_radix_sort_implINS0_14default_configELb0EPKhPhPKlPlN2at6native12_GLOBAL__N_18offset_tEEE10hipError_tPvRmT1_PNSt15iterator_traitsIS12_E10value_typeET2_T3_PNS13_IS18_E10value_typeET4_jRbjT5_S1E_jjP12ihipStream_tbEUljE_ZNSN_ISO_Lb0ESQ_SR_ST_SU_SY_EESZ_S10_S11_S12_S16_S17_S18_S1B_S1C_jS1D_jS1E_S1E_jjS1G_bEUljE0_EEESZ_S10_S11_S18_S1C_S1E_T6_T7_T9_mT8_S1G_bDpT10_ENKUlT_T0_E_clISt17integral_constantIbLb0EES1T_IbLb1EEEEDaS1P_S1Q_EUlS1P_E_NS1_11comp_targetILNS1_3genE3ELNS1_11target_archE908ELNS1_3gpuE7ELNS1_3repE0EEENS1_30default_config_static_selectorELNS0_4arch9wavefront6targetE0EEEvS12_.private_seg_size, 0
	.set _ZN7rocprim17ROCPRIM_400000_NS6detail17trampoline_kernelINS0_13select_configILj256ELj13ELNS0_17block_load_methodE3ELS4_3ELS4_3ELNS0_20block_scan_algorithmE0ELj4294967295EEENS1_25partition_config_selectorILNS1_17partition_subalgoE4EjNS0_10empty_typeEbEEZZNS1_14partition_implILS8_4ELb0ES6_15HIP_vector_typeIjLj2EENS0_17counting_iteratorIjlEEPS9_SG_NS0_5tupleIJPjSI_NS0_16reverse_iteratorISI_EEEEENSH_IJSG_SG_SG_EEES9_SI_JZNS1_25segmented_radix_sort_implINS0_14default_configELb0EPKhPhPKlPlN2at6native12_GLOBAL__N_18offset_tEEE10hipError_tPvRmT1_PNSt15iterator_traitsIS12_E10value_typeET2_T3_PNS13_IS18_E10value_typeET4_jRbjT5_S1E_jjP12ihipStream_tbEUljE_ZNSN_ISO_Lb0ESQ_SR_ST_SU_SY_EESZ_S10_S11_S12_S16_S17_S18_S1B_S1C_jS1D_jS1E_S1E_jjS1G_bEUljE0_EEESZ_S10_S11_S18_S1C_S1E_T6_T7_T9_mT8_S1G_bDpT10_ENKUlT_T0_E_clISt17integral_constantIbLb0EES1T_IbLb1EEEEDaS1P_S1Q_EUlS1P_E_NS1_11comp_targetILNS1_3genE3ELNS1_11target_archE908ELNS1_3gpuE7ELNS1_3repE0EEENS1_30default_config_static_selectorELNS0_4arch9wavefront6targetE0EEEvS12_.uses_vcc, 0
	.set _ZN7rocprim17ROCPRIM_400000_NS6detail17trampoline_kernelINS0_13select_configILj256ELj13ELNS0_17block_load_methodE3ELS4_3ELS4_3ELNS0_20block_scan_algorithmE0ELj4294967295EEENS1_25partition_config_selectorILNS1_17partition_subalgoE4EjNS0_10empty_typeEbEEZZNS1_14partition_implILS8_4ELb0ES6_15HIP_vector_typeIjLj2EENS0_17counting_iteratorIjlEEPS9_SG_NS0_5tupleIJPjSI_NS0_16reverse_iteratorISI_EEEEENSH_IJSG_SG_SG_EEES9_SI_JZNS1_25segmented_radix_sort_implINS0_14default_configELb0EPKhPhPKlPlN2at6native12_GLOBAL__N_18offset_tEEE10hipError_tPvRmT1_PNSt15iterator_traitsIS12_E10value_typeET2_T3_PNS13_IS18_E10value_typeET4_jRbjT5_S1E_jjP12ihipStream_tbEUljE_ZNSN_ISO_Lb0ESQ_SR_ST_SU_SY_EESZ_S10_S11_S12_S16_S17_S18_S1B_S1C_jS1D_jS1E_S1E_jjS1G_bEUljE0_EEESZ_S10_S11_S18_S1C_S1E_T6_T7_T9_mT8_S1G_bDpT10_ENKUlT_T0_E_clISt17integral_constantIbLb0EES1T_IbLb1EEEEDaS1P_S1Q_EUlS1P_E_NS1_11comp_targetILNS1_3genE3ELNS1_11target_archE908ELNS1_3gpuE7ELNS1_3repE0EEENS1_30default_config_static_selectorELNS0_4arch9wavefront6targetE0EEEvS12_.uses_flat_scratch, 0
	.set _ZN7rocprim17ROCPRIM_400000_NS6detail17trampoline_kernelINS0_13select_configILj256ELj13ELNS0_17block_load_methodE3ELS4_3ELS4_3ELNS0_20block_scan_algorithmE0ELj4294967295EEENS1_25partition_config_selectorILNS1_17partition_subalgoE4EjNS0_10empty_typeEbEEZZNS1_14partition_implILS8_4ELb0ES6_15HIP_vector_typeIjLj2EENS0_17counting_iteratorIjlEEPS9_SG_NS0_5tupleIJPjSI_NS0_16reverse_iteratorISI_EEEEENSH_IJSG_SG_SG_EEES9_SI_JZNS1_25segmented_radix_sort_implINS0_14default_configELb0EPKhPhPKlPlN2at6native12_GLOBAL__N_18offset_tEEE10hipError_tPvRmT1_PNSt15iterator_traitsIS12_E10value_typeET2_T3_PNS13_IS18_E10value_typeET4_jRbjT5_S1E_jjP12ihipStream_tbEUljE_ZNSN_ISO_Lb0ESQ_SR_ST_SU_SY_EESZ_S10_S11_S12_S16_S17_S18_S1B_S1C_jS1D_jS1E_S1E_jjS1G_bEUljE0_EEESZ_S10_S11_S18_S1C_S1E_T6_T7_T9_mT8_S1G_bDpT10_ENKUlT_T0_E_clISt17integral_constantIbLb0EES1T_IbLb1EEEEDaS1P_S1Q_EUlS1P_E_NS1_11comp_targetILNS1_3genE3ELNS1_11target_archE908ELNS1_3gpuE7ELNS1_3repE0EEENS1_30default_config_static_selectorELNS0_4arch9wavefront6targetE0EEEvS12_.has_dyn_sized_stack, 0
	.set _ZN7rocprim17ROCPRIM_400000_NS6detail17trampoline_kernelINS0_13select_configILj256ELj13ELNS0_17block_load_methodE3ELS4_3ELS4_3ELNS0_20block_scan_algorithmE0ELj4294967295EEENS1_25partition_config_selectorILNS1_17partition_subalgoE4EjNS0_10empty_typeEbEEZZNS1_14partition_implILS8_4ELb0ES6_15HIP_vector_typeIjLj2EENS0_17counting_iteratorIjlEEPS9_SG_NS0_5tupleIJPjSI_NS0_16reverse_iteratorISI_EEEEENSH_IJSG_SG_SG_EEES9_SI_JZNS1_25segmented_radix_sort_implINS0_14default_configELb0EPKhPhPKlPlN2at6native12_GLOBAL__N_18offset_tEEE10hipError_tPvRmT1_PNSt15iterator_traitsIS12_E10value_typeET2_T3_PNS13_IS18_E10value_typeET4_jRbjT5_S1E_jjP12ihipStream_tbEUljE_ZNSN_ISO_Lb0ESQ_SR_ST_SU_SY_EESZ_S10_S11_S12_S16_S17_S18_S1B_S1C_jS1D_jS1E_S1E_jjS1G_bEUljE0_EEESZ_S10_S11_S18_S1C_S1E_T6_T7_T9_mT8_S1G_bDpT10_ENKUlT_T0_E_clISt17integral_constantIbLb0EES1T_IbLb1EEEEDaS1P_S1Q_EUlS1P_E_NS1_11comp_targetILNS1_3genE3ELNS1_11target_archE908ELNS1_3gpuE7ELNS1_3repE0EEENS1_30default_config_static_selectorELNS0_4arch9wavefront6targetE0EEEvS12_.has_recursion, 0
	.set _ZN7rocprim17ROCPRIM_400000_NS6detail17trampoline_kernelINS0_13select_configILj256ELj13ELNS0_17block_load_methodE3ELS4_3ELS4_3ELNS0_20block_scan_algorithmE0ELj4294967295EEENS1_25partition_config_selectorILNS1_17partition_subalgoE4EjNS0_10empty_typeEbEEZZNS1_14partition_implILS8_4ELb0ES6_15HIP_vector_typeIjLj2EENS0_17counting_iteratorIjlEEPS9_SG_NS0_5tupleIJPjSI_NS0_16reverse_iteratorISI_EEEEENSH_IJSG_SG_SG_EEES9_SI_JZNS1_25segmented_radix_sort_implINS0_14default_configELb0EPKhPhPKlPlN2at6native12_GLOBAL__N_18offset_tEEE10hipError_tPvRmT1_PNSt15iterator_traitsIS12_E10value_typeET2_T3_PNS13_IS18_E10value_typeET4_jRbjT5_S1E_jjP12ihipStream_tbEUljE_ZNSN_ISO_Lb0ESQ_SR_ST_SU_SY_EESZ_S10_S11_S12_S16_S17_S18_S1B_S1C_jS1D_jS1E_S1E_jjS1G_bEUljE0_EEESZ_S10_S11_S18_S1C_S1E_T6_T7_T9_mT8_S1G_bDpT10_ENKUlT_T0_E_clISt17integral_constantIbLb0EES1T_IbLb1EEEEDaS1P_S1Q_EUlS1P_E_NS1_11comp_targetILNS1_3genE3ELNS1_11target_archE908ELNS1_3gpuE7ELNS1_3repE0EEENS1_30default_config_static_selectorELNS0_4arch9wavefront6targetE0EEEvS12_.has_indirect_call, 0
	.section	.AMDGPU.csdata,"",@progbits
; Kernel info:
; codeLenInByte = 0
; TotalNumSgprs: 0
; NumVgprs: 0
; ScratchSize: 0
; MemoryBound: 0
; FloatMode: 240
; IeeeMode: 1
; LDSByteSize: 0 bytes/workgroup (compile time only)
; SGPRBlocks: 0
; VGPRBlocks: 0
; NumSGPRsForWavesPerEU: 1
; NumVGPRsForWavesPerEU: 1
; Occupancy: 16
; WaveLimiterHint : 0
; COMPUTE_PGM_RSRC2:SCRATCH_EN: 0
; COMPUTE_PGM_RSRC2:USER_SGPR: 6
; COMPUTE_PGM_RSRC2:TRAP_HANDLER: 0
; COMPUTE_PGM_RSRC2:TGID_X_EN: 1
; COMPUTE_PGM_RSRC2:TGID_Y_EN: 0
; COMPUTE_PGM_RSRC2:TGID_Z_EN: 0
; COMPUTE_PGM_RSRC2:TIDIG_COMP_CNT: 0
	.section	.text._ZN7rocprim17ROCPRIM_400000_NS6detail17trampoline_kernelINS0_13select_configILj256ELj13ELNS0_17block_load_methodE3ELS4_3ELS4_3ELNS0_20block_scan_algorithmE0ELj4294967295EEENS1_25partition_config_selectorILNS1_17partition_subalgoE4EjNS0_10empty_typeEbEEZZNS1_14partition_implILS8_4ELb0ES6_15HIP_vector_typeIjLj2EENS0_17counting_iteratorIjlEEPS9_SG_NS0_5tupleIJPjSI_NS0_16reverse_iteratorISI_EEEEENSH_IJSG_SG_SG_EEES9_SI_JZNS1_25segmented_radix_sort_implINS0_14default_configELb0EPKhPhPKlPlN2at6native12_GLOBAL__N_18offset_tEEE10hipError_tPvRmT1_PNSt15iterator_traitsIS12_E10value_typeET2_T3_PNS13_IS18_E10value_typeET4_jRbjT5_S1E_jjP12ihipStream_tbEUljE_ZNSN_ISO_Lb0ESQ_SR_ST_SU_SY_EESZ_S10_S11_S12_S16_S17_S18_S1B_S1C_jS1D_jS1E_S1E_jjS1G_bEUljE0_EEESZ_S10_S11_S18_S1C_S1E_T6_T7_T9_mT8_S1G_bDpT10_ENKUlT_T0_E_clISt17integral_constantIbLb0EES1T_IbLb1EEEEDaS1P_S1Q_EUlS1P_E_NS1_11comp_targetILNS1_3genE2ELNS1_11target_archE906ELNS1_3gpuE6ELNS1_3repE0EEENS1_30default_config_static_selectorELNS0_4arch9wavefront6targetE0EEEvS12_,"axG",@progbits,_ZN7rocprim17ROCPRIM_400000_NS6detail17trampoline_kernelINS0_13select_configILj256ELj13ELNS0_17block_load_methodE3ELS4_3ELS4_3ELNS0_20block_scan_algorithmE0ELj4294967295EEENS1_25partition_config_selectorILNS1_17partition_subalgoE4EjNS0_10empty_typeEbEEZZNS1_14partition_implILS8_4ELb0ES6_15HIP_vector_typeIjLj2EENS0_17counting_iteratorIjlEEPS9_SG_NS0_5tupleIJPjSI_NS0_16reverse_iteratorISI_EEEEENSH_IJSG_SG_SG_EEES9_SI_JZNS1_25segmented_radix_sort_implINS0_14default_configELb0EPKhPhPKlPlN2at6native12_GLOBAL__N_18offset_tEEE10hipError_tPvRmT1_PNSt15iterator_traitsIS12_E10value_typeET2_T3_PNS13_IS18_E10value_typeET4_jRbjT5_S1E_jjP12ihipStream_tbEUljE_ZNSN_ISO_Lb0ESQ_SR_ST_SU_SY_EESZ_S10_S11_S12_S16_S17_S18_S1B_S1C_jS1D_jS1E_S1E_jjS1G_bEUljE0_EEESZ_S10_S11_S18_S1C_S1E_T6_T7_T9_mT8_S1G_bDpT10_ENKUlT_T0_E_clISt17integral_constantIbLb0EES1T_IbLb1EEEEDaS1P_S1Q_EUlS1P_E_NS1_11comp_targetILNS1_3genE2ELNS1_11target_archE906ELNS1_3gpuE6ELNS1_3repE0EEENS1_30default_config_static_selectorELNS0_4arch9wavefront6targetE0EEEvS12_,comdat
	.globl	_ZN7rocprim17ROCPRIM_400000_NS6detail17trampoline_kernelINS0_13select_configILj256ELj13ELNS0_17block_load_methodE3ELS4_3ELS4_3ELNS0_20block_scan_algorithmE0ELj4294967295EEENS1_25partition_config_selectorILNS1_17partition_subalgoE4EjNS0_10empty_typeEbEEZZNS1_14partition_implILS8_4ELb0ES6_15HIP_vector_typeIjLj2EENS0_17counting_iteratorIjlEEPS9_SG_NS0_5tupleIJPjSI_NS0_16reverse_iteratorISI_EEEEENSH_IJSG_SG_SG_EEES9_SI_JZNS1_25segmented_radix_sort_implINS0_14default_configELb0EPKhPhPKlPlN2at6native12_GLOBAL__N_18offset_tEEE10hipError_tPvRmT1_PNSt15iterator_traitsIS12_E10value_typeET2_T3_PNS13_IS18_E10value_typeET4_jRbjT5_S1E_jjP12ihipStream_tbEUljE_ZNSN_ISO_Lb0ESQ_SR_ST_SU_SY_EESZ_S10_S11_S12_S16_S17_S18_S1B_S1C_jS1D_jS1E_S1E_jjS1G_bEUljE0_EEESZ_S10_S11_S18_S1C_S1E_T6_T7_T9_mT8_S1G_bDpT10_ENKUlT_T0_E_clISt17integral_constantIbLb0EES1T_IbLb1EEEEDaS1P_S1Q_EUlS1P_E_NS1_11comp_targetILNS1_3genE2ELNS1_11target_archE906ELNS1_3gpuE6ELNS1_3repE0EEENS1_30default_config_static_selectorELNS0_4arch9wavefront6targetE0EEEvS12_ ; -- Begin function _ZN7rocprim17ROCPRIM_400000_NS6detail17trampoline_kernelINS0_13select_configILj256ELj13ELNS0_17block_load_methodE3ELS4_3ELS4_3ELNS0_20block_scan_algorithmE0ELj4294967295EEENS1_25partition_config_selectorILNS1_17partition_subalgoE4EjNS0_10empty_typeEbEEZZNS1_14partition_implILS8_4ELb0ES6_15HIP_vector_typeIjLj2EENS0_17counting_iteratorIjlEEPS9_SG_NS0_5tupleIJPjSI_NS0_16reverse_iteratorISI_EEEEENSH_IJSG_SG_SG_EEES9_SI_JZNS1_25segmented_radix_sort_implINS0_14default_configELb0EPKhPhPKlPlN2at6native12_GLOBAL__N_18offset_tEEE10hipError_tPvRmT1_PNSt15iterator_traitsIS12_E10value_typeET2_T3_PNS13_IS18_E10value_typeET4_jRbjT5_S1E_jjP12ihipStream_tbEUljE_ZNSN_ISO_Lb0ESQ_SR_ST_SU_SY_EESZ_S10_S11_S12_S16_S17_S18_S1B_S1C_jS1D_jS1E_S1E_jjS1G_bEUljE0_EEESZ_S10_S11_S18_S1C_S1E_T6_T7_T9_mT8_S1G_bDpT10_ENKUlT_T0_E_clISt17integral_constantIbLb0EES1T_IbLb1EEEEDaS1P_S1Q_EUlS1P_E_NS1_11comp_targetILNS1_3genE2ELNS1_11target_archE906ELNS1_3gpuE6ELNS1_3repE0EEENS1_30default_config_static_selectorELNS0_4arch9wavefront6targetE0EEEvS12_
	.p2align	8
	.type	_ZN7rocprim17ROCPRIM_400000_NS6detail17trampoline_kernelINS0_13select_configILj256ELj13ELNS0_17block_load_methodE3ELS4_3ELS4_3ELNS0_20block_scan_algorithmE0ELj4294967295EEENS1_25partition_config_selectorILNS1_17partition_subalgoE4EjNS0_10empty_typeEbEEZZNS1_14partition_implILS8_4ELb0ES6_15HIP_vector_typeIjLj2EENS0_17counting_iteratorIjlEEPS9_SG_NS0_5tupleIJPjSI_NS0_16reverse_iteratorISI_EEEEENSH_IJSG_SG_SG_EEES9_SI_JZNS1_25segmented_radix_sort_implINS0_14default_configELb0EPKhPhPKlPlN2at6native12_GLOBAL__N_18offset_tEEE10hipError_tPvRmT1_PNSt15iterator_traitsIS12_E10value_typeET2_T3_PNS13_IS18_E10value_typeET4_jRbjT5_S1E_jjP12ihipStream_tbEUljE_ZNSN_ISO_Lb0ESQ_SR_ST_SU_SY_EESZ_S10_S11_S12_S16_S17_S18_S1B_S1C_jS1D_jS1E_S1E_jjS1G_bEUljE0_EEESZ_S10_S11_S18_S1C_S1E_T6_T7_T9_mT8_S1G_bDpT10_ENKUlT_T0_E_clISt17integral_constantIbLb0EES1T_IbLb1EEEEDaS1P_S1Q_EUlS1P_E_NS1_11comp_targetILNS1_3genE2ELNS1_11target_archE906ELNS1_3gpuE6ELNS1_3repE0EEENS1_30default_config_static_selectorELNS0_4arch9wavefront6targetE0EEEvS12_,@function
_ZN7rocprim17ROCPRIM_400000_NS6detail17trampoline_kernelINS0_13select_configILj256ELj13ELNS0_17block_load_methodE3ELS4_3ELS4_3ELNS0_20block_scan_algorithmE0ELj4294967295EEENS1_25partition_config_selectorILNS1_17partition_subalgoE4EjNS0_10empty_typeEbEEZZNS1_14partition_implILS8_4ELb0ES6_15HIP_vector_typeIjLj2EENS0_17counting_iteratorIjlEEPS9_SG_NS0_5tupleIJPjSI_NS0_16reverse_iteratorISI_EEEEENSH_IJSG_SG_SG_EEES9_SI_JZNS1_25segmented_radix_sort_implINS0_14default_configELb0EPKhPhPKlPlN2at6native12_GLOBAL__N_18offset_tEEE10hipError_tPvRmT1_PNSt15iterator_traitsIS12_E10value_typeET2_T3_PNS13_IS18_E10value_typeET4_jRbjT5_S1E_jjP12ihipStream_tbEUljE_ZNSN_ISO_Lb0ESQ_SR_ST_SU_SY_EESZ_S10_S11_S12_S16_S17_S18_S1B_S1C_jS1D_jS1E_S1E_jjS1G_bEUljE0_EEESZ_S10_S11_S18_S1C_S1E_T6_T7_T9_mT8_S1G_bDpT10_ENKUlT_T0_E_clISt17integral_constantIbLb0EES1T_IbLb1EEEEDaS1P_S1Q_EUlS1P_E_NS1_11comp_targetILNS1_3genE2ELNS1_11target_archE906ELNS1_3gpuE6ELNS1_3repE0EEENS1_30default_config_static_selectorELNS0_4arch9wavefront6targetE0EEEvS12_: ; @_ZN7rocprim17ROCPRIM_400000_NS6detail17trampoline_kernelINS0_13select_configILj256ELj13ELNS0_17block_load_methodE3ELS4_3ELS4_3ELNS0_20block_scan_algorithmE0ELj4294967295EEENS1_25partition_config_selectorILNS1_17partition_subalgoE4EjNS0_10empty_typeEbEEZZNS1_14partition_implILS8_4ELb0ES6_15HIP_vector_typeIjLj2EENS0_17counting_iteratorIjlEEPS9_SG_NS0_5tupleIJPjSI_NS0_16reverse_iteratorISI_EEEEENSH_IJSG_SG_SG_EEES9_SI_JZNS1_25segmented_radix_sort_implINS0_14default_configELb0EPKhPhPKlPlN2at6native12_GLOBAL__N_18offset_tEEE10hipError_tPvRmT1_PNSt15iterator_traitsIS12_E10value_typeET2_T3_PNS13_IS18_E10value_typeET4_jRbjT5_S1E_jjP12ihipStream_tbEUljE_ZNSN_ISO_Lb0ESQ_SR_ST_SU_SY_EESZ_S10_S11_S12_S16_S17_S18_S1B_S1C_jS1D_jS1E_S1E_jjS1G_bEUljE0_EEESZ_S10_S11_S18_S1C_S1E_T6_T7_T9_mT8_S1G_bDpT10_ENKUlT_T0_E_clISt17integral_constantIbLb0EES1T_IbLb1EEEEDaS1P_S1Q_EUlS1P_E_NS1_11comp_targetILNS1_3genE2ELNS1_11target_archE906ELNS1_3gpuE6ELNS1_3repE0EEENS1_30default_config_static_selectorELNS0_4arch9wavefront6targetE0EEEvS12_
; %bb.0:
	.section	.rodata,"a",@progbits
	.p2align	6, 0x0
	.amdhsa_kernel _ZN7rocprim17ROCPRIM_400000_NS6detail17trampoline_kernelINS0_13select_configILj256ELj13ELNS0_17block_load_methodE3ELS4_3ELS4_3ELNS0_20block_scan_algorithmE0ELj4294967295EEENS1_25partition_config_selectorILNS1_17partition_subalgoE4EjNS0_10empty_typeEbEEZZNS1_14partition_implILS8_4ELb0ES6_15HIP_vector_typeIjLj2EENS0_17counting_iteratorIjlEEPS9_SG_NS0_5tupleIJPjSI_NS0_16reverse_iteratorISI_EEEEENSH_IJSG_SG_SG_EEES9_SI_JZNS1_25segmented_radix_sort_implINS0_14default_configELb0EPKhPhPKlPlN2at6native12_GLOBAL__N_18offset_tEEE10hipError_tPvRmT1_PNSt15iterator_traitsIS12_E10value_typeET2_T3_PNS13_IS18_E10value_typeET4_jRbjT5_S1E_jjP12ihipStream_tbEUljE_ZNSN_ISO_Lb0ESQ_SR_ST_SU_SY_EESZ_S10_S11_S12_S16_S17_S18_S1B_S1C_jS1D_jS1E_S1E_jjS1G_bEUljE0_EEESZ_S10_S11_S18_S1C_S1E_T6_T7_T9_mT8_S1G_bDpT10_ENKUlT_T0_E_clISt17integral_constantIbLb0EES1T_IbLb1EEEEDaS1P_S1Q_EUlS1P_E_NS1_11comp_targetILNS1_3genE2ELNS1_11target_archE906ELNS1_3gpuE6ELNS1_3repE0EEENS1_30default_config_static_selectorELNS0_4arch9wavefront6targetE0EEEvS12_
		.amdhsa_group_segment_fixed_size 0
		.amdhsa_private_segment_fixed_size 0
		.amdhsa_kernarg_size 184
		.amdhsa_user_sgpr_count 6
		.amdhsa_user_sgpr_private_segment_buffer 1
		.amdhsa_user_sgpr_dispatch_ptr 0
		.amdhsa_user_sgpr_queue_ptr 0
		.amdhsa_user_sgpr_kernarg_segment_ptr 1
		.amdhsa_user_sgpr_dispatch_id 0
		.amdhsa_user_sgpr_flat_scratch_init 0
		.amdhsa_user_sgpr_private_segment_size 0
		.amdhsa_wavefront_size32 1
		.amdhsa_uses_dynamic_stack 0
		.amdhsa_system_sgpr_private_segment_wavefront_offset 0
		.amdhsa_system_sgpr_workgroup_id_x 1
		.amdhsa_system_sgpr_workgroup_id_y 0
		.amdhsa_system_sgpr_workgroup_id_z 0
		.amdhsa_system_sgpr_workgroup_info 0
		.amdhsa_system_vgpr_workitem_id 0
		.amdhsa_next_free_vgpr 1
		.amdhsa_next_free_sgpr 1
		.amdhsa_reserve_vcc 0
		.amdhsa_reserve_flat_scratch 0
		.amdhsa_float_round_mode_32 0
		.amdhsa_float_round_mode_16_64 0
		.amdhsa_float_denorm_mode_32 3
		.amdhsa_float_denorm_mode_16_64 3
		.amdhsa_dx10_clamp 1
		.amdhsa_ieee_mode 1
		.amdhsa_fp16_overflow 0
		.amdhsa_workgroup_processor_mode 1
		.amdhsa_memory_ordered 1
		.amdhsa_forward_progress 1
		.amdhsa_shared_vgpr_count 0
		.amdhsa_exception_fp_ieee_invalid_op 0
		.amdhsa_exception_fp_denorm_src 0
		.amdhsa_exception_fp_ieee_div_zero 0
		.amdhsa_exception_fp_ieee_overflow 0
		.amdhsa_exception_fp_ieee_underflow 0
		.amdhsa_exception_fp_ieee_inexact 0
		.amdhsa_exception_int_div_zero 0
	.end_amdhsa_kernel
	.section	.text._ZN7rocprim17ROCPRIM_400000_NS6detail17trampoline_kernelINS0_13select_configILj256ELj13ELNS0_17block_load_methodE3ELS4_3ELS4_3ELNS0_20block_scan_algorithmE0ELj4294967295EEENS1_25partition_config_selectorILNS1_17partition_subalgoE4EjNS0_10empty_typeEbEEZZNS1_14partition_implILS8_4ELb0ES6_15HIP_vector_typeIjLj2EENS0_17counting_iteratorIjlEEPS9_SG_NS0_5tupleIJPjSI_NS0_16reverse_iteratorISI_EEEEENSH_IJSG_SG_SG_EEES9_SI_JZNS1_25segmented_radix_sort_implINS0_14default_configELb0EPKhPhPKlPlN2at6native12_GLOBAL__N_18offset_tEEE10hipError_tPvRmT1_PNSt15iterator_traitsIS12_E10value_typeET2_T3_PNS13_IS18_E10value_typeET4_jRbjT5_S1E_jjP12ihipStream_tbEUljE_ZNSN_ISO_Lb0ESQ_SR_ST_SU_SY_EESZ_S10_S11_S12_S16_S17_S18_S1B_S1C_jS1D_jS1E_S1E_jjS1G_bEUljE0_EEESZ_S10_S11_S18_S1C_S1E_T6_T7_T9_mT8_S1G_bDpT10_ENKUlT_T0_E_clISt17integral_constantIbLb0EES1T_IbLb1EEEEDaS1P_S1Q_EUlS1P_E_NS1_11comp_targetILNS1_3genE2ELNS1_11target_archE906ELNS1_3gpuE6ELNS1_3repE0EEENS1_30default_config_static_selectorELNS0_4arch9wavefront6targetE0EEEvS12_,"axG",@progbits,_ZN7rocprim17ROCPRIM_400000_NS6detail17trampoline_kernelINS0_13select_configILj256ELj13ELNS0_17block_load_methodE3ELS4_3ELS4_3ELNS0_20block_scan_algorithmE0ELj4294967295EEENS1_25partition_config_selectorILNS1_17partition_subalgoE4EjNS0_10empty_typeEbEEZZNS1_14partition_implILS8_4ELb0ES6_15HIP_vector_typeIjLj2EENS0_17counting_iteratorIjlEEPS9_SG_NS0_5tupleIJPjSI_NS0_16reverse_iteratorISI_EEEEENSH_IJSG_SG_SG_EEES9_SI_JZNS1_25segmented_radix_sort_implINS0_14default_configELb0EPKhPhPKlPlN2at6native12_GLOBAL__N_18offset_tEEE10hipError_tPvRmT1_PNSt15iterator_traitsIS12_E10value_typeET2_T3_PNS13_IS18_E10value_typeET4_jRbjT5_S1E_jjP12ihipStream_tbEUljE_ZNSN_ISO_Lb0ESQ_SR_ST_SU_SY_EESZ_S10_S11_S12_S16_S17_S18_S1B_S1C_jS1D_jS1E_S1E_jjS1G_bEUljE0_EEESZ_S10_S11_S18_S1C_S1E_T6_T7_T9_mT8_S1G_bDpT10_ENKUlT_T0_E_clISt17integral_constantIbLb0EES1T_IbLb1EEEEDaS1P_S1Q_EUlS1P_E_NS1_11comp_targetILNS1_3genE2ELNS1_11target_archE906ELNS1_3gpuE6ELNS1_3repE0EEENS1_30default_config_static_selectorELNS0_4arch9wavefront6targetE0EEEvS12_,comdat
.Lfunc_end149:
	.size	_ZN7rocprim17ROCPRIM_400000_NS6detail17trampoline_kernelINS0_13select_configILj256ELj13ELNS0_17block_load_methodE3ELS4_3ELS4_3ELNS0_20block_scan_algorithmE0ELj4294967295EEENS1_25partition_config_selectorILNS1_17partition_subalgoE4EjNS0_10empty_typeEbEEZZNS1_14partition_implILS8_4ELb0ES6_15HIP_vector_typeIjLj2EENS0_17counting_iteratorIjlEEPS9_SG_NS0_5tupleIJPjSI_NS0_16reverse_iteratorISI_EEEEENSH_IJSG_SG_SG_EEES9_SI_JZNS1_25segmented_radix_sort_implINS0_14default_configELb0EPKhPhPKlPlN2at6native12_GLOBAL__N_18offset_tEEE10hipError_tPvRmT1_PNSt15iterator_traitsIS12_E10value_typeET2_T3_PNS13_IS18_E10value_typeET4_jRbjT5_S1E_jjP12ihipStream_tbEUljE_ZNSN_ISO_Lb0ESQ_SR_ST_SU_SY_EESZ_S10_S11_S12_S16_S17_S18_S1B_S1C_jS1D_jS1E_S1E_jjS1G_bEUljE0_EEESZ_S10_S11_S18_S1C_S1E_T6_T7_T9_mT8_S1G_bDpT10_ENKUlT_T0_E_clISt17integral_constantIbLb0EES1T_IbLb1EEEEDaS1P_S1Q_EUlS1P_E_NS1_11comp_targetILNS1_3genE2ELNS1_11target_archE906ELNS1_3gpuE6ELNS1_3repE0EEENS1_30default_config_static_selectorELNS0_4arch9wavefront6targetE0EEEvS12_, .Lfunc_end149-_ZN7rocprim17ROCPRIM_400000_NS6detail17trampoline_kernelINS0_13select_configILj256ELj13ELNS0_17block_load_methodE3ELS4_3ELS4_3ELNS0_20block_scan_algorithmE0ELj4294967295EEENS1_25partition_config_selectorILNS1_17partition_subalgoE4EjNS0_10empty_typeEbEEZZNS1_14partition_implILS8_4ELb0ES6_15HIP_vector_typeIjLj2EENS0_17counting_iteratorIjlEEPS9_SG_NS0_5tupleIJPjSI_NS0_16reverse_iteratorISI_EEEEENSH_IJSG_SG_SG_EEES9_SI_JZNS1_25segmented_radix_sort_implINS0_14default_configELb0EPKhPhPKlPlN2at6native12_GLOBAL__N_18offset_tEEE10hipError_tPvRmT1_PNSt15iterator_traitsIS12_E10value_typeET2_T3_PNS13_IS18_E10value_typeET4_jRbjT5_S1E_jjP12ihipStream_tbEUljE_ZNSN_ISO_Lb0ESQ_SR_ST_SU_SY_EESZ_S10_S11_S12_S16_S17_S18_S1B_S1C_jS1D_jS1E_S1E_jjS1G_bEUljE0_EEESZ_S10_S11_S18_S1C_S1E_T6_T7_T9_mT8_S1G_bDpT10_ENKUlT_T0_E_clISt17integral_constantIbLb0EES1T_IbLb1EEEEDaS1P_S1Q_EUlS1P_E_NS1_11comp_targetILNS1_3genE2ELNS1_11target_archE906ELNS1_3gpuE6ELNS1_3repE0EEENS1_30default_config_static_selectorELNS0_4arch9wavefront6targetE0EEEvS12_
                                        ; -- End function
	.set _ZN7rocprim17ROCPRIM_400000_NS6detail17trampoline_kernelINS0_13select_configILj256ELj13ELNS0_17block_load_methodE3ELS4_3ELS4_3ELNS0_20block_scan_algorithmE0ELj4294967295EEENS1_25partition_config_selectorILNS1_17partition_subalgoE4EjNS0_10empty_typeEbEEZZNS1_14partition_implILS8_4ELb0ES6_15HIP_vector_typeIjLj2EENS0_17counting_iteratorIjlEEPS9_SG_NS0_5tupleIJPjSI_NS0_16reverse_iteratorISI_EEEEENSH_IJSG_SG_SG_EEES9_SI_JZNS1_25segmented_radix_sort_implINS0_14default_configELb0EPKhPhPKlPlN2at6native12_GLOBAL__N_18offset_tEEE10hipError_tPvRmT1_PNSt15iterator_traitsIS12_E10value_typeET2_T3_PNS13_IS18_E10value_typeET4_jRbjT5_S1E_jjP12ihipStream_tbEUljE_ZNSN_ISO_Lb0ESQ_SR_ST_SU_SY_EESZ_S10_S11_S12_S16_S17_S18_S1B_S1C_jS1D_jS1E_S1E_jjS1G_bEUljE0_EEESZ_S10_S11_S18_S1C_S1E_T6_T7_T9_mT8_S1G_bDpT10_ENKUlT_T0_E_clISt17integral_constantIbLb0EES1T_IbLb1EEEEDaS1P_S1Q_EUlS1P_E_NS1_11comp_targetILNS1_3genE2ELNS1_11target_archE906ELNS1_3gpuE6ELNS1_3repE0EEENS1_30default_config_static_selectorELNS0_4arch9wavefront6targetE0EEEvS12_.num_vgpr, 0
	.set _ZN7rocprim17ROCPRIM_400000_NS6detail17trampoline_kernelINS0_13select_configILj256ELj13ELNS0_17block_load_methodE3ELS4_3ELS4_3ELNS0_20block_scan_algorithmE0ELj4294967295EEENS1_25partition_config_selectorILNS1_17partition_subalgoE4EjNS0_10empty_typeEbEEZZNS1_14partition_implILS8_4ELb0ES6_15HIP_vector_typeIjLj2EENS0_17counting_iteratorIjlEEPS9_SG_NS0_5tupleIJPjSI_NS0_16reverse_iteratorISI_EEEEENSH_IJSG_SG_SG_EEES9_SI_JZNS1_25segmented_radix_sort_implINS0_14default_configELb0EPKhPhPKlPlN2at6native12_GLOBAL__N_18offset_tEEE10hipError_tPvRmT1_PNSt15iterator_traitsIS12_E10value_typeET2_T3_PNS13_IS18_E10value_typeET4_jRbjT5_S1E_jjP12ihipStream_tbEUljE_ZNSN_ISO_Lb0ESQ_SR_ST_SU_SY_EESZ_S10_S11_S12_S16_S17_S18_S1B_S1C_jS1D_jS1E_S1E_jjS1G_bEUljE0_EEESZ_S10_S11_S18_S1C_S1E_T6_T7_T9_mT8_S1G_bDpT10_ENKUlT_T0_E_clISt17integral_constantIbLb0EES1T_IbLb1EEEEDaS1P_S1Q_EUlS1P_E_NS1_11comp_targetILNS1_3genE2ELNS1_11target_archE906ELNS1_3gpuE6ELNS1_3repE0EEENS1_30default_config_static_selectorELNS0_4arch9wavefront6targetE0EEEvS12_.num_agpr, 0
	.set _ZN7rocprim17ROCPRIM_400000_NS6detail17trampoline_kernelINS0_13select_configILj256ELj13ELNS0_17block_load_methodE3ELS4_3ELS4_3ELNS0_20block_scan_algorithmE0ELj4294967295EEENS1_25partition_config_selectorILNS1_17partition_subalgoE4EjNS0_10empty_typeEbEEZZNS1_14partition_implILS8_4ELb0ES6_15HIP_vector_typeIjLj2EENS0_17counting_iteratorIjlEEPS9_SG_NS0_5tupleIJPjSI_NS0_16reverse_iteratorISI_EEEEENSH_IJSG_SG_SG_EEES9_SI_JZNS1_25segmented_radix_sort_implINS0_14default_configELb0EPKhPhPKlPlN2at6native12_GLOBAL__N_18offset_tEEE10hipError_tPvRmT1_PNSt15iterator_traitsIS12_E10value_typeET2_T3_PNS13_IS18_E10value_typeET4_jRbjT5_S1E_jjP12ihipStream_tbEUljE_ZNSN_ISO_Lb0ESQ_SR_ST_SU_SY_EESZ_S10_S11_S12_S16_S17_S18_S1B_S1C_jS1D_jS1E_S1E_jjS1G_bEUljE0_EEESZ_S10_S11_S18_S1C_S1E_T6_T7_T9_mT8_S1G_bDpT10_ENKUlT_T0_E_clISt17integral_constantIbLb0EES1T_IbLb1EEEEDaS1P_S1Q_EUlS1P_E_NS1_11comp_targetILNS1_3genE2ELNS1_11target_archE906ELNS1_3gpuE6ELNS1_3repE0EEENS1_30default_config_static_selectorELNS0_4arch9wavefront6targetE0EEEvS12_.numbered_sgpr, 0
	.set _ZN7rocprim17ROCPRIM_400000_NS6detail17trampoline_kernelINS0_13select_configILj256ELj13ELNS0_17block_load_methodE3ELS4_3ELS4_3ELNS0_20block_scan_algorithmE0ELj4294967295EEENS1_25partition_config_selectorILNS1_17partition_subalgoE4EjNS0_10empty_typeEbEEZZNS1_14partition_implILS8_4ELb0ES6_15HIP_vector_typeIjLj2EENS0_17counting_iteratorIjlEEPS9_SG_NS0_5tupleIJPjSI_NS0_16reverse_iteratorISI_EEEEENSH_IJSG_SG_SG_EEES9_SI_JZNS1_25segmented_radix_sort_implINS0_14default_configELb0EPKhPhPKlPlN2at6native12_GLOBAL__N_18offset_tEEE10hipError_tPvRmT1_PNSt15iterator_traitsIS12_E10value_typeET2_T3_PNS13_IS18_E10value_typeET4_jRbjT5_S1E_jjP12ihipStream_tbEUljE_ZNSN_ISO_Lb0ESQ_SR_ST_SU_SY_EESZ_S10_S11_S12_S16_S17_S18_S1B_S1C_jS1D_jS1E_S1E_jjS1G_bEUljE0_EEESZ_S10_S11_S18_S1C_S1E_T6_T7_T9_mT8_S1G_bDpT10_ENKUlT_T0_E_clISt17integral_constantIbLb0EES1T_IbLb1EEEEDaS1P_S1Q_EUlS1P_E_NS1_11comp_targetILNS1_3genE2ELNS1_11target_archE906ELNS1_3gpuE6ELNS1_3repE0EEENS1_30default_config_static_selectorELNS0_4arch9wavefront6targetE0EEEvS12_.num_named_barrier, 0
	.set _ZN7rocprim17ROCPRIM_400000_NS6detail17trampoline_kernelINS0_13select_configILj256ELj13ELNS0_17block_load_methodE3ELS4_3ELS4_3ELNS0_20block_scan_algorithmE0ELj4294967295EEENS1_25partition_config_selectorILNS1_17partition_subalgoE4EjNS0_10empty_typeEbEEZZNS1_14partition_implILS8_4ELb0ES6_15HIP_vector_typeIjLj2EENS0_17counting_iteratorIjlEEPS9_SG_NS0_5tupleIJPjSI_NS0_16reverse_iteratorISI_EEEEENSH_IJSG_SG_SG_EEES9_SI_JZNS1_25segmented_radix_sort_implINS0_14default_configELb0EPKhPhPKlPlN2at6native12_GLOBAL__N_18offset_tEEE10hipError_tPvRmT1_PNSt15iterator_traitsIS12_E10value_typeET2_T3_PNS13_IS18_E10value_typeET4_jRbjT5_S1E_jjP12ihipStream_tbEUljE_ZNSN_ISO_Lb0ESQ_SR_ST_SU_SY_EESZ_S10_S11_S12_S16_S17_S18_S1B_S1C_jS1D_jS1E_S1E_jjS1G_bEUljE0_EEESZ_S10_S11_S18_S1C_S1E_T6_T7_T9_mT8_S1G_bDpT10_ENKUlT_T0_E_clISt17integral_constantIbLb0EES1T_IbLb1EEEEDaS1P_S1Q_EUlS1P_E_NS1_11comp_targetILNS1_3genE2ELNS1_11target_archE906ELNS1_3gpuE6ELNS1_3repE0EEENS1_30default_config_static_selectorELNS0_4arch9wavefront6targetE0EEEvS12_.private_seg_size, 0
	.set _ZN7rocprim17ROCPRIM_400000_NS6detail17trampoline_kernelINS0_13select_configILj256ELj13ELNS0_17block_load_methodE3ELS4_3ELS4_3ELNS0_20block_scan_algorithmE0ELj4294967295EEENS1_25partition_config_selectorILNS1_17partition_subalgoE4EjNS0_10empty_typeEbEEZZNS1_14partition_implILS8_4ELb0ES6_15HIP_vector_typeIjLj2EENS0_17counting_iteratorIjlEEPS9_SG_NS0_5tupleIJPjSI_NS0_16reverse_iteratorISI_EEEEENSH_IJSG_SG_SG_EEES9_SI_JZNS1_25segmented_radix_sort_implINS0_14default_configELb0EPKhPhPKlPlN2at6native12_GLOBAL__N_18offset_tEEE10hipError_tPvRmT1_PNSt15iterator_traitsIS12_E10value_typeET2_T3_PNS13_IS18_E10value_typeET4_jRbjT5_S1E_jjP12ihipStream_tbEUljE_ZNSN_ISO_Lb0ESQ_SR_ST_SU_SY_EESZ_S10_S11_S12_S16_S17_S18_S1B_S1C_jS1D_jS1E_S1E_jjS1G_bEUljE0_EEESZ_S10_S11_S18_S1C_S1E_T6_T7_T9_mT8_S1G_bDpT10_ENKUlT_T0_E_clISt17integral_constantIbLb0EES1T_IbLb1EEEEDaS1P_S1Q_EUlS1P_E_NS1_11comp_targetILNS1_3genE2ELNS1_11target_archE906ELNS1_3gpuE6ELNS1_3repE0EEENS1_30default_config_static_selectorELNS0_4arch9wavefront6targetE0EEEvS12_.uses_vcc, 0
	.set _ZN7rocprim17ROCPRIM_400000_NS6detail17trampoline_kernelINS0_13select_configILj256ELj13ELNS0_17block_load_methodE3ELS4_3ELS4_3ELNS0_20block_scan_algorithmE0ELj4294967295EEENS1_25partition_config_selectorILNS1_17partition_subalgoE4EjNS0_10empty_typeEbEEZZNS1_14partition_implILS8_4ELb0ES6_15HIP_vector_typeIjLj2EENS0_17counting_iteratorIjlEEPS9_SG_NS0_5tupleIJPjSI_NS0_16reverse_iteratorISI_EEEEENSH_IJSG_SG_SG_EEES9_SI_JZNS1_25segmented_radix_sort_implINS0_14default_configELb0EPKhPhPKlPlN2at6native12_GLOBAL__N_18offset_tEEE10hipError_tPvRmT1_PNSt15iterator_traitsIS12_E10value_typeET2_T3_PNS13_IS18_E10value_typeET4_jRbjT5_S1E_jjP12ihipStream_tbEUljE_ZNSN_ISO_Lb0ESQ_SR_ST_SU_SY_EESZ_S10_S11_S12_S16_S17_S18_S1B_S1C_jS1D_jS1E_S1E_jjS1G_bEUljE0_EEESZ_S10_S11_S18_S1C_S1E_T6_T7_T9_mT8_S1G_bDpT10_ENKUlT_T0_E_clISt17integral_constantIbLb0EES1T_IbLb1EEEEDaS1P_S1Q_EUlS1P_E_NS1_11comp_targetILNS1_3genE2ELNS1_11target_archE906ELNS1_3gpuE6ELNS1_3repE0EEENS1_30default_config_static_selectorELNS0_4arch9wavefront6targetE0EEEvS12_.uses_flat_scratch, 0
	.set _ZN7rocprim17ROCPRIM_400000_NS6detail17trampoline_kernelINS0_13select_configILj256ELj13ELNS0_17block_load_methodE3ELS4_3ELS4_3ELNS0_20block_scan_algorithmE0ELj4294967295EEENS1_25partition_config_selectorILNS1_17partition_subalgoE4EjNS0_10empty_typeEbEEZZNS1_14partition_implILS8_4ELb0ES6_15HIP_vector_typeIjLj2EENS0_17counting_iteratorIjlEEPS9_SG_NS0_5tupleIJPjSI_NS0_16reverse_iteratorISI_EEEEENSH_IJSG_SG_SG_EEES9_SI_JZNS1_25segmented_radix_sort_implINS0_14default_configELb0EPKhPhPKlPlN2at6native12_GLOBAL__N_18offset_tEEE10hipError_tPvRmT1_PNSt15iterator_traitsIS12_E10value_typeET2_T3_PNS13_IS18_E10value_typeET4_jRbjT5_S1E_jjP12ihipStream_tbEUljE_ZNSN_ISO_Lb0ESQ_SR_ST_SU_SY_EESZ_S10_S11_S12_S16_S17_S18_S1B_S1C_jS1D_jS1E_S1E_jjS1G_bEUljE0_EEESZ_S10_S11_S18_S1C_S1E_T6_T7_T9_mT8_S1G_bDpT10_ENKUlT_T0_E_clISt17integral_constantIbLb0EES1T_IbLb1EEEEDaS1P_S1Q_EUlS1P_E_NS1_11comp_targetILNS1_3genE2ELNS1_11target_archE906ELNS1_3gpuE6ELNS1_3repE0EEENS1_30default_config_static_selectorELNS0_4arch9wavefront6targetE0EEEvS12_.has_dyn_sized_stack, 0
	.set _ZN7rocprim17ROCPRIM_400000_NS6detail17trampoline_kernelINS0_13select_configILj256ELj13ELNS0_17block_load_methodE3ELS4_3ELS4_3ELNS0_20block_scan_algorithmE0ELj4294967295EEENS1_25partition_config_selectorILNS1_17partition_subalgoE4EjNS0_10empty_typeEbEEZZNS1_14partition_implILS8_4ELb0ES6_15HIP_vector_typeIjLj2EENS0_17counting_iteratorIjlEEPS9_SG_NS0_5tupleIJPjSI_NS0_16reverse_iteratorISI_EEEEENSH_IJSG_SG_SG_EEES9_SI_JZNS1_25segmented_radix_sort_implINS0_14default_configELb0EPKhPhPKlPlN2at6native12_GLOBAL__N_18offset_tEEE10hipError_tPvRmT1_PNSt15iterator_traitsIS12_E10value_typeET2_T3_PNS13_IS18_E10value_typeET4_jRbjT5_S1E_jjP12ihipStream_tbEUljE_ZNSN_ISO_Lb0ESQ_SR_ST_SU_SY_EESZ_S10_S11_S12_S16_S17_S18_S1B_S1C_jS1D_jS1E_S1E_jjS1G_bEUljE0_EEESZ_S10_S11_S18_S1C_S1E_T6_T7_T9_mT8_S1G_bDpT10_ENKUlT_T0_E_clISt17integral_constantIbLb0EES1T_IbLb1EEEEDaS1P_S1Q_EUlS1P_E_NS1_11comp_targetILNS1_3genE2ELNS1_11target_archE906ELNS1_3gpuE6ELNS1_3repE0EEENS1_30default_config_static_selectorELNS0_4arch9wavefront6targetE0EEEvS12_.has_recursion, 0
	.set _ZN7rocprim17ROCPRIM_400000_NS6detail17trampoline_kernelINS0_13select_configILj256ELj13ELNS0_17block_load_methodE3ELS4_3ELS4_3ELNS0_20block_scan_algorithmE0ELj4294967295EEENS1_25partition_config_selectorILNS1_17partition_subalgoE4EjNS0_10empty_typeEbEEZZNS1_14partition_implILS8_4ELb0ES6_15HIP_vector_typeIjLj2EENS0_17counting_iteratorIjlEEPS9_SG_NS0_5tupleIJPjSI_NS0_16reverse_iteratorISI_EEEEENSH_IJSG_SG_SG_EEES9_SI_JZNS1_25segmented_radix_sort_implINS0_14default_configELb0EPKhPhPKlPlN2at6native12_GLOBAL__N_18offset_tEEE10hipError_tPvRmT1_PNSt15iterator_traitsIS12_E10value_typeET2_T3_PNS13_IS18_E10value_typeET4_jRbjT5_S1E_jjP12ihipStream_tbEUljE_ZNSN_ISO_Lb0ESQ_SR_ST_SU_SY_EESZ_S10_S11_S12_S16_S17_S18_S1B_S1C_jS1D_jS1E_S1E_jjS1G_bEUljE0_EEESZ_S10_S11_S18_S1C_S1E_T6_T7_T9_mT8_S1G_bDpT10_ENKUlT_T0_E_clISt17integral_constantIbLb0EES1T_IbLb1EEEEDaS1P_S1Q_EUlS1P_E_NS1_11comp_targetILNS1_3genE2ELNS1_11target_archE906ELNS1_3gpuE6ELNS1_3repE0EEENS1_30default_config_static_selectorELNS0_4arch9wavefront6targetE0EEEvS12_.has_indirect_call, 0
	.section	.AMDGPU.csdata,"",@progbits
; Kernel info:
; codeLenInByte = 0
; TotalNumSgprs: 0
; NumVgprs: 0
; ScratchSize: 0
; MemoryBound: 0
; FloatMode: 240
; IeeeMode: 1
; LDSByteSize: 0 bytes/workgroup (compile time only)
; SGPRBlocks: 0
; VGPRBlocks: 0
; NumSGPRsForWavesPerEU: 1
; NumVGPRsForWavesPerEU: 1
; Occupancy: 16
; WaveLimiterHint : 0
; COMPUTE_PGM_RSRC2:SCRATCH_EN: 0
; COMPUTE_PGM_RSRC2:USER_SGPR: 6
; COMPUTE_PGM_RSRC2:TRAP_HANDLER: 0
; COMPUTE_PGM_RSRC2:TGID_X_EN: 1
; COMPUTE_PGM_RSRC2:TGID_Y_EN: 0
; COMPUTE_PGM_RSRC2:TGID_Z_EN: 0
; COMPUTE_PGM_RSRC2:TIDIG_COMP_CNT: 0
	.section	.text._ZN7rocprim17ROCPRIM_400000_NS6detail17trampoline_kernelINS0_13select_configILj256ELj13ELNS0_17block_load_methodE3ELS4_3ELS4_3ELNS0_20block_scan_algorithmE0ELj4294967295EEENS1_25partition_config_selectorILNS1_17partition_subalgoE4EjNS0_10empty_typeEbEEZZNS1_14partition_implILS8_4ELb0ES6_15HIP_vector_typeIjLj2EENS0_17counting_iteratorIjlEEPS9_SG_NS0_5tupleIJPjSI_NS0_16reverse_iteratorISI_EEEEENSH_IJSG_SG_SG_EEES9_SI_JZNS1_25segmented_radix_sort_implINS0_14default_configELb0EPKhPhPKlPlN2at6native12_GLOBAL__N_18offset_tEEE10hipError_tPvRmT1_PNSt15iterator_traitsIS12_E10value_typeET2_T3_PNS13_IS18_E10value_typeET4_jRbjT5_S1E_jjP12ihipStream_tbEUljE_ZNSN_ISO_Lb0ESQ_SR_ST_SU_SY_EESZ_S10_S11_S12_S16_S17_S18_S1B_S1C_jS1D_jS1E_S1E_jjS1G_bEUljE0_EEESZ_S10_S11_S18_S1C_S1E_T6_T7_T9_mT8_S1G_bDpT10_ENKUlT_T0_E_clISt17integral_constantIbLb0EES1T_IbLb1EEEEDaS1P_S1Q_EUlS1P_E_NS1_11comp_targetILNS1_3genE10ELNS1_11target_archE1200ELNS1_3gpuE4ELNS1_3repE0EEENS1_30default_config_static_selectorELNS0_4arch9wavefront6targetE0EEEvS12_,"axG",@progbits,_ZN7rocprim17ROCPRIM_400000_NS6detail17trampoline_kernelINS0_13select_configILj256ELj13ELNS0_17block_load_methodE3ELS4_3ELS4_3ELNS0_20block_scan_algorithmE0ELj4294967295EEENS1_25partition_config_selectorILNS1_17partition_subalgoE4EjNS0_10empty_typeEbEEZZNS1_14partition_implILS8_4ELb0ES6_15HIP_vector_typeIjLj2EENS0_17counting_iteratorIjlEEPS9_SG_NS0_5tupleIJPjSI_NS0_16reverse_iteratorISI_EEEEENSH_IJSG_SG_SG_EEES9_SI_JZNS1_25segmented_radix_sort_implINS0_14default_configELb0EPKhPhPKlPlN2at6native12_GLOBAL__N_18offset_tEEE10hipError_tPvRmT1_PNSt15iterator_traitsIS12_E10value_typeET2_T3_PNS13_IS18_E10value_typeET4_jRbjT5_S1E_jjP12ihipStream_tbEUljE_ZNSN_ISO_Lb0ESQ_SR_ST_SU_SY_EESZ_S10_S11_S12_S16_S17_S18_S1B_S1C_jS1D_jS1E_S1E_jjS1G_bEUljE0_EEESZ_S10_S11_S18_S1C_S1E_T6_T7_T9_mT8_S1G_bDpT10_ENKUlT_T0_E_clISt17integral_constantIbLb0EES1T_IbLb1EEEEDaS1P_S1Q_EUlS1P_E_NS1_11comp_targetILNS1_3genE10ELNS1_11target_archE1200ELNS1_3gpuE4ELNS1_3repE0EEENS1_30default_config_static_selectorELNS0_4arch9wavefront6targetE0EEEvS12_,comdat
	.globl	_ZN7rocprim17ROCPRIM_400000_NS6detail17trampoline_kernelINS0_13select_configILj256ELj13ELNS0_17block_load_methodE3ELS4_3ELS4_3ELNS0_20block_scan_algorithmE0ELj4294967295EEENS1_25partition_config_selectorILNS1_17partition_subalgoE4EjNS0_10empty_typeEbEEZZNS1_14partition_implILS8_4ELb0ES6_15HIP_vector_typeIjLj2EENS0_17counting_iteratorIjlEEPS9_SG_NS0_5tupleIJPjSI_NS0_16reverse_iteratorISI_EEEEENSH_IJSG_SG_SG_EEES9_SI_JZNS1_25segmented_radix_sort_implINS0_14default_configELb0EPKhPhPKlPlN2at6native12_GLOBAL__N_18offset_tEEE10hipError_tPvRmT1_PNSt15iterator_traitsIS12_E10value_typeET2_T3_PNS13_IS18_E10value_typeET4_jRbjT5_S1E_jjP12ihipStream_tbEUljE_ZNSN_ISO_Lb0ESQ_SR_ST_SU_SY_EESZ_S10_S11_S12_S16_S17_S18_S1B_S1C_jS1D_jS1E_S1E_jjS1G_bEUljE0_EEESZ_S10_S11_S18_S1C_S1E_T6_T7_T9_mT8_S1G_bDpT10_ENKUlT_T0_E_clISt17integral_constantIbLb0EES1T_IbLb1EEEEDaS1P_S1Q_EUlS1P_E_NS1_11comp_targetILNS1_3genE10ELNS1_11target_archE1200ELNS1_3gpuE4ELNS1_3repE0EEENS1_30default_config_static_selectorELNS0_4arch9wavefront6targetE0EEEvS12_ ; -- Begin function _ZN7rocprim17ROCPRIM_400000_NS6detail17trampoline_kernelINS0_13select_configILj256ELj13ELNS0_17block_load_methodE3ELS4_3ELS4_3ELNS0_20block_scan_algorithmE0ELj4294967295EEENS1_25partition_config_selectorILNS1_17partition_subalgoE4EjNS0_10empty_typeEbEEZZNS1_14partition_implILS8_4ELb0ES6_15HIP_vector_typeIjLj2EENS0_17counting_iteratorIjlEEPS9_SG_NS0_5tupleIJPjSI_NS0_16reverse_iteratorISI_EEEEENSH_IJSG_SG_SG_EEES9_SI_JZNS1_25segmented_radix_sort_implINS0_14default_configELb0EPKhPhPKlPlN2at6native12_GLOBAL__N_18offset_tEEE10hipError_tPvRmT1_PNSt15iterator_traitsIS12_E10value_typeET2_T3_PNS13_IS18_E10value_typeET4_jRbjT5_S1E_jjP12ihipStream_tbEUljE_ZNSN_ISO_Lb0ESQ_SR_ST_SU_SY_EESZ_S10_S11_S12_S16_S17_S18_S1B_S1C_jS1D_jS1E_S1E_jjS1G_bEUljE0_EEESZ_S10_S11_S18_S1C_S1E_T6_T7_T9_mT8_S1G_bDpT10_ENKUlT_T0_E_clISt17integral_constantIbLb0EES1T_IbLb1EEEEDaS1P_S1Q_EUlS1P_E_NS1_11comp_targetILNS1_3genE10ELNS1_11target_archE1200ELNS1_3gpuE4ELNS1_3repE0EEENS1_30default_config_static_selectorELNS0_4arch9wavefront6targetE0EEEvS12_
	.p2align	8
	.type	_ZN7rocprim17ROCPRIM_400000_NS6detail17trampoline_kernelINS0_13select_configILj256ELj13ELNS0_17block_load_methodE3ELS4_3ELS4_3ELNS0_20block_scan_algorithmE0ELj4294967295EEENS1_25partition_config_selectorILNS1_17partition_subalgoE4EjNS0_10empty_typeEbEEZZNS1_14partition_implILS8_4ELb0ES6_15HIP_vector_typeIjLj2EENS0_17counting_iteratorIjlEEPS9_SG_NS0_5tupleIJPjSI_NS0_16reverse_iteratorISI_EEEEENSH_IJSG_SG_SG_EEES9_SI_JZNS1_25segmented_radix_sort_implINS0_14default_configELb0EPKhPhPKlPlN2at6native12_GLOBAL__N_18offset_tEEE10hipError_tPvRmT1_PNSt15iterator_traitsIS12_E10value_typeET2_T3_PNS13_IS18_E10value_typeET4_jRbjT5_S1E_jjP12ihipStream_tbEUljE_ZNSN_ISO_Lb0ESQ_SR_ST_SU_SY_EESZ_S10_S11_S12_S16_S17_S18_S1B_S1C_jS1D_jS1E_S1E_jjS1G_bEUljE0_EEESZ_S10_S11_S18_S1C_S1E_T6_T7_T9_mT8_S1G_bDpT10_ENKUlT_T0_E_clISt17integral_constantIbLb0EES1T_IbLb1EEEEDaS1P_S1Q_EUlS1P_E_NS1_11comp_targetILNS1_3genE10ELNS1_11target_archE1200ELNS1_3gpuE4ELNS1_3repE0EEENS1_30default_config_static_selectorELNS0_4arch9wavefront6targetE0EEEvS12_,@function
_ZN7rocprim17ROCPRIM_400000_NS6detail17trampoline_kernelINS0_13select_configILj256ELj13ELNS0_17block_load_methodE3ELS4_3ELS4_3ELNS0_20block_scan_algorithmE0ELj4294967295EEENS1_25partition_config_selectorILNS1_17partition_subalgoE4EjNS0_10empty_typeEbEEZZNS1_14partition_implILS8_4ELb0ES6_15HIP_vector_typeIjLj2EENS0_17counting_iteratorIjlEEPS9_SG_NS0_5tupleIJPjSI_NS0_16reverse_iteratorISI_EEEEENSH_IJSG_SG_SG_EEES9_SI_JZNS1_25segmented_radix_sort_implINS0_14default_configELb0EPKhPhPKlPlN2at6native12_GLOBAL__N_18offset_tEEE10hipError_tPvRmT1_PNSt15iterator_traitsIS12_E10value_typeET2_T3_PNS13_IS18_E10value_typeET4_jRbjT5_S1E_jjP12ihipStream_tbEUljE_ZNSN_ISO_Lb0ESQ_SR_ST_SU_SY_EESZ_S10_S11_S12_S16_S17_S18_S1B_S1C_jS1D_jS1E_S1E_jjS1G_bEUljE0_EEESZ_S10_S11_S18_S1C_S1E_T6_T7_T9_mT8_S1G_bDpT10_ENKUlT_T0_E_clISt17integral_constantIbLb0EES1T_IbLb1EEEEDaS1P_S1Q_EUlS1P_E_NS1_11comp_targetILNS1_3genE10ELNS1_11target_archE1200ELNS1_3gpuE4ELNS1_3repE0EEENS1_30default_config_static_selectorELNS0_4arch9wavefront6targetE0EEEvS12_: ; @_ZN7rocprim17ROCPRIM_400000_NS6detail17trampoline_kernelINS0_13select_configILj256ELj13ELNS0_17block_load_methodE3ELS4_3ELS4_3ELNS0_20block_scan_algorithmE0ELj4294967295EEENS1_25partition_config_selectorILNS1_17partition_subalgoE4EjNS0_10empty_typeEbEEZZNS1_14partition_implILS8_4ELb0ES6_15HIP_vector_typeIjLj2EENS0_17counting_iteratorIjlEEPS9_SG_NS0_5tupleIJPjSI_NS0_16reverse_iteratorISI_EEEEENSH_IJSG_SG_SG_EEES9_SI_JZNS1_25segmented_radix_sort_implINS0_14default_configELb0EPKhPhPKlPlN2at6native12_GLOBAL__N_18offset_tEEE10hipError_tPvRmT1_PNSt15iterator_traitsIS12_E10value_typeET2_T3_PNS13_IS18_E10value_typeET4_jRbjT5_S1E_jjP12ihipStream_tbEUljE_ZNSN_ISO_Lb0ESQ_SR_ST_SU_SY_EESZ_S10_S11_S12_S16_S17_S18_S1B_S1C_jS1D_jS1E_S1E_jjS1G_bEUljE0_EEESZ_S10_S11_S18_S1C_S1E_T6_T7_T9_mT8_S1G_bDpT10_ENKUlT_T0_E_clISt17integral_constantIbLb0EES1T_IbLb1EEEEDaS1P_S1Q_EUlS1P_E_NS1_11comp_targetILNS1_3genE10ELNS1_11target_archE1200ELNS1_3gpuE4ELNS1_3repE0EEENS1_30default_config_static_selectorELNS0_4arch9wavefront6targetE0EEEvS12_
; %bb.0:
	.section	.rodata,"a",@progbits
	.p2align	6, 0x0
	.amdhsa_kernel _ZN7rocprim17ROCPRIM_400000_NS6detail17trampoline_kernelINS0_13select_configILj256ELj13ELNS0_17block_load_methodE3ELS4_3ELS4_3ELNS0_20block_scan_algorithmE0ELj4294967295EEENS1_25partition_config_selectorILNS1_17partition_subalgoE4EjNS0_10empty_typeEbEEZZNS1_14partition_implILS8_4ELb0ES6_15HIP_vector_typeIjLj2EENS0_17counting_iteratorIjlEEPS9_SG_NS0_5tupleIJPjSI_NS0_16reverse_iteratorISI_EEEEENSH_IJSG_SG_SG_EEES9_SI_JZNS1_25segmented_radix_sort_implINS0_14default_configELb0EPKhPhPKlPlN2at6native12_GLOBAL__N_18offset_tEEE10hipError_tPvRmT1_PNSt15iterator_traitsIS12_E10value_typeET2_T3_PNS13_IS18_E10value_typeET4_jRbjT5_S1E_jjP12ihipStream_tbEUljE_ZNSN_ISO_Lb0ESQ_SR_ST_SU_SY_EESZ_S10_S11_S12_S16_S17_S18_S1B_S1C_jS1D_jS1E_S1E_jjS1G_bEUljE0_EEESZ_S10_S11_S18_S1C_S1E_T6_T7_T9_mT8_S1G_bDpT10_ENKUlT_T0_E_clISt17integral_constantIbLb0EES1T_IbLb1EEEEDaS1P_S1Q_EUlS1P_E_NS1_11comp_targetILNS1_3genE10ELNS1_11target_archE1200ELNS1_3gpuE4ELNS1_3repE0EEENS1_30default_config_static_selectorELNS0_4arch9wavefront6targetE0EEEvS12_
		.amdhsa_group_segment_fixed_size 0
		.amdhsa_private_segment_fixed_size 0
		.amdhsa_kernarg_size 184
		.amdhsa_user_sgpr_count 6
		.amdhsa_user_sgpr_private_segment_buffer 1
		.amdhsa_user_sgpr_dispatch_ptr 0
		.amdhsa_user_sgpr_queue_ptr 0
		.amdhsa_user_sgpr_kernarg_segment_ptr 1
		.amdhsa_user_sgpr_dispatch_id 0
		.amdhsa_user_sgpr_flat_scratch_init 0
		.amdhsa_user_sgpr_private_segment_size 0
		.amdhsa_wavefront_size32 1
		.amdhsa_uses_dynamic_stack 0
		.amdhsa_system_sgpr_private_segment_wavefront_offset 0
		.amdhsa_system_sgpr_workgroup_id_x 1
		.amdhsa_system_sgpr_workgroup_id_y 0
		.amdhsa_system_sgpr_workgroup_id_z 0
		.amdhsa_system_sgpr_workgroup_info 0
		.amdhsa_system_vgpr_workitem_id 0
		.amdhsa_next_free_vgpr 1
		.amdhsa_next_free_sgpr 1
		.amdhsa_reserve_vcc 0
		.amdhsa_reserve_flat_scratch 0
		.amdhsa_float_round_mode_32 0
		.amdhsa_float_round_mode_16_64 0
		.amdhsa_float_denorm_mode_32 3
		.amdhsa_float_denorm_mode_16_64 3
		.amdhsa_dx10_clamp 1
		.amdhsa_ieee_mode 1
		.amdhsa_fp16_overflow 0
		.amdhsa_workgroup_processor_mode 1
		.amdhsa_memory_ordered 1
		.amdhsa_forward_progress 1
		.amdhsa_shared_vgpr_count 0
		.amdhsa_exception_fp_ieee_invalid_op 0
		.amdhsa_exception_fp_denorm_src 0
		.amdhsa_exception_fp_ieee_div_zero 0
		.amdhsa_exception_fp_ieee_overflow 0
		.amdhsa_exception_fp_ieee_underflow 0
		.amdhsa_exception_fp_ieee_inexact 0
		.amdhsa_exception_int_div_zero 0
	.end_amdhsa_kernel
	.section	.text._ZN7rocprim17ROCPRIM_400000_NS6detail17trampoline_kernelINS0_13select_configILj256ELj13ELNS0_17block_load_methodE3ELS4_3ELS4_3ELNS0_20block_scan_algorithmE0ELj4294967295EEENS1_25partition_config_selectorILNS1_17partition_subalgoE4EjNS0_10empty_typeEbEEZZNS1_14partition_implILS8_4ELb0ES6_15HIP_vector_typeIjLj2EENS0_17counting_iteratorIjlEEPS9_SG_NS0_5tupleIJPjSI_NS0_16reverse_iteratorISI_EEEEENSH_IJSG_SG_SG_EEES9_SI_JZNS1_25segmented_radix_sort_implINS0_14default_configELb0EPKhPhPKlPlN2at6native12_GLOBAL__N_18offset_tEEE10hipError_tPvRmT1_PNSt15iterator_traitsIS12_E10value_typeET2_T3_PNS13_IS18_E10value_typeET4_jRbjT5_S1E_jjP12ihipStream_tbEUljE_ZNSN_ISO_Lb0ESQ_SR_ST_SU_SY_EESZ_S10_S11_S12_S16_S17_S18_S1B_S1C_jS1D_jS1E_S1E_jjS1G_bEUljE0_EEESZ_S10_S11_S18_S1C_S1E_T6_T7_T9_mT8_S1G_bDpT10_ENKUlT_T0_E_clISt17integral_constantIbLb0EES1T_IbLb1EEEEDaS1P_S1Q_EUlS1P_E_NS1_11comp_targetILNS1_3genE10ELNS1_11target_archE1200ELNS1_3gpuE4ELNS1_3repE0EEENS1_30default_config_static_selectorELNS0_4arch9wavefront6targetE0EEEvS12_,"axG",@progbits,_ZN7rocprim17ROCPRIM_400000_NS6detail17trampoline_kernelINS0_13select_configILj256ELj13ELNS0_17block_load_methodE3ELS4_3ELS4_3ELNS0_20block_scan_algorithmE0ELj4294967295EEENS1_25partition_config_selectorILNS1_17partition_subalgoE4EjNS0_10empty_typeEbEEZZNS1_14partition_implILS8_4ELb0ES6_15HIP_vector_typeIjLj2EENS0_17counting_iteratorIjlEEPS9_SG_NS0_5tupleIJPjSI_NS0_16reverse_iteratorISI_EEEEENSH_IJSG_SG_SG_EEES9_SI_JZNS1_25segmented_radix_sort_implINS0_14default_configELb0EPKhPhPKlPlN2at6native12_GLOBAL__N_18offset_tEEE10hipError_tPvRmT1_PNSt15iterator_traitsIS12_E10value_typeET2_T3_PNS13_IS18_E10value_typeET4_jRbjT5_S1E_jjP12ihipStream_tbEUljE_ZNSN_ISO_Lb0ESQ_SR_ST_SU_SY_EESZ_S10_S11_S12_S16_S17_S18_S1B_S1C_jS1D_jS1E_S1E_jjS1G_bEUljE0_EEESZ_S10_S11_S18_S1C_S1E_T6_T7_T9_mT8_S1G_bDpT10_ENKUlT_T0_E_clISt17integral_constantIbLb0EES1T_IbLb1EEEEDaS1P_S1Q_EUlS1P_E_NS1_11comp_targetILNS1_3genE10ELNS1_11target_archE1200ELNS1_3gpuE4ELNS1_3repE0EEENS1_30default_config_static_selectorELNS0_4arch9wavefront6targetE0EEEvS12_,comdat
.Lfunc_end150:
	.size	_ZN7rocprim17ROCPRIM_400000_NS6detail17trampoline_kernelINS0_13select_configILj256ELj13ELNS0_17block_load_methodE3ELS4_3ELS4_3ELNS0_20block_scan_algorithmE0ELj4294967295EEENS1_25partition_config_selectorILNS1_17partition_subalgoE4EjNS0_10empty_typeEbEEZZNS1_14partition_implILS8_4ELb0ES6_15HIP_vector_typeIjLj2EENS0_17counting_iteratorIjlEEPS9_SG_NS0_5tupleIJPjSI_NS0_16reverse_iteratorISI_EEEEENSH_IJSG_SG_SG_EEES9_SI_JZNS1_25segmented_radix_sort_implINS0_14default_configELb0EPKhPhPKlPlN2at6native12_GLOBAL__N_18offset_tEEE10hipError_tPvRmT1_PNSt15iterator_traitsIS12_E10value_typeET2_T3_PNS13_IS18_E10value_typeET4_jRbjT5_S1E_jjP12ihipStream_tbEUljE_ZNSN_ISO_Lb0ESQ_SR_ST_SU_SY_EESZ_S10_S11_S12_S16_S17_S18_S1B_S1C_jS1D_jS1E_S1E_jjS1G_bEUljE0_EEESZ_S10_S11_S18_S1C_S1E_T6_T7_T9_mT8_S1G_bDpT10_ENKUlT_T0_E_clISt17integral_constantIbLb0EES1T_IbLb1EEEEDaS1P_S1Q_EUlS1P_E_NS1_11comp_targetILNS1_3genE10ELNS1_11target_archE1200ELNS1_3gpuE4ELNS1_3repE0EEENS1_30default_config_static_selectorELNS0_4arch9wavefront6targetE0EEEvS12_, .Lfunc_end150-_ZN7rocprim17ROCPRIM_400000_NS6detail17trampoline_kernelINS0_13select_configILj256ELj13ELNS0_17block_load_methodE3ELS4_3ELS4_3ELNS0_20block_scan_algorithmE0ELj4294967295EEENS1_25partition_config_selectorILNS1_17partition_subalgoE4EjNS0_10empty_typeEbEEZZNS1_14partition_implILS8_4ELb0ES6_15HIP_vector_typeIjLj2EENS0_17counting_iteratorIjlEEPS9_SG_NS0_5tupleIJPjSI_NS0_16reverse_iteratorISI_EEEEENSH_IJSG_SG_SG_EEES9_SI_JZNS1_25segmented_radix_sort_implINS0_14default_configELb0EPKhPhPKlPlN2at6native12_GLOBAL__N_18offset_tEEE10hipError_tPvRmT1_PNSt15iterator_traitsIS12_E10value_typeET2_T3_PNS13_IS18_E10value_typeET4_jRbjT5_S1E_jjP12ihipStream_tbEUljE_ZNSN_ISO_Lb0ESQ_SR_ST_SU_SY_EESZ_S10_S11_S12_S16_S17_S18_S1B_S1C_jS1D_jS1E_S1E_jjS1G_bEUljE0_EEESZ_S10_S11_S18_S1C_S1E_T6_T7_T9_mT8_S1G_bDpT10_ENKUlT_T0_E_clISt17integral_constantIbLb0EES1T_IbLb1EEEEDaS1P_S1Q_EUlS1P_E_NS1_11comp_targetILNS1_3genE10ELNS1_11target_archE1200ELNS1_3gpuE4ELNS1_3repE0EEENS1_30default_config_static_selectorELNS0_4arch9wavefront6targetE0EEEvS12_
                                        ; -- End function
	.set _ZN7rocprim17ROCPRIM_400000_NS6detail17trampoline_kernelINS0_13select_configILj256ELj13ELNS0_17block_load_methodE3ELS4_3ELS4_3ELNS0_20block_scan_algorithmE0ELj4294967295EEENS1_25partition_config_selectorILNS1_17partition_subalgoE4EjNS0_10empty_typeEbEEZZNS1_14partition_implILS8_4ELb0ES6_15HIP_vector_typeIjLj2EENS0_17counting_iteratorIjlEEPS9_SG_NS0_5tupleIJPjSI_NS0_16reverse_iteratorISI_EEEEENSH_IJSG_SG_SG_EEES9_SI_JZNS1_25segmented_radix_sort_implINS0_14default_configELb0EPKhPhPKlPlN2at6native12_GLOBAL__N_18offset_tEEE10hipError_tPvRmT1_PNSt15iterator_traitsIS12_E10value_typeET2_T3_PNS13_IS18_E10value_typeET4_jRbjT5_S1E_jjP12ihipStream_tbEUljE_ZNSN_ISO_Lb0ESQ_SR_ST_SU_SY_EESZ_S10_S11_S12_S16_S17_S18_S1B_S1C_jS1D_jS1E_S1E_jjS1G_bEUljE0_EEESZ_S10_S11_S18_S1C_S1E_T6_T7_T9_mT8_S1G_bDpT10_ENKUlT_T0_E_clISt17integral_constantIbLb0EES1T_IbLb1EEEEDaS1P_S1Q_EUlS1P_E_NS1_11comp_targetILNS1_3genE10ELNS1_11target_archE1200ELNS1_3gpuE4ELNS1_3repE0EEENS1_30default_config_static_selectorELNS0_4arch9wavefront6targetE0EEEvS12_.num_vgpr, 0
	.set _ZN7rocprim17ROCPRIM_400000_NS6detail17trampoline_kernelINS0_13select_configILj256ELj13ELNS0_17block_load_methodE3ELS4_3ELS4_3ELNS0_20block_scan_algorithmE0ELj4294967295EEENS1_25partition_config_selectorILNS1_17partition_subalgoE4EjNS0_10empty_typeEbEEZZNS1_14partition_implILS8_4ELb0ES6_15HIP_vector_typeIjLj2EENS0_17counting_iteratorIjlEEPS9_SG_NS0_5tupleIJPjSI_NS0_16reverse_iteratorISI_EEEEENSH_IJSG_SG_SG_EEES9_SI_JZNS1_25segmented_radix_sort_implINS0_14default_configELb0EPKhPhPKlPlN2at6native12_GLOBAL__N_18offset_tEEE10hipError_tPvRmT1_PNSt15iterator_traitsIS12_E10value_typeET2_T3_PNS13_IS18_E10value_typeET4_jRbjT5_S1E_jjP12ihipStream_tbEUljE_ZNSN_ISO_Lb0ESQ_SR_ST_SU_SY_EESZ_S10_S11_S12_S16_S17_S18_S1B_S1C_jS1D_jS1E_S1E_jjS1G_bEUljE0_EEESZ_S10_S11_S18_S1C_S1E_T6_T7_T9_mT8_S1G_bDpT10_ENKUlT_T0_E_clISt17integral_constantIbLb0EES1T_IbLb1EEEEDaS1P_S1Q_EUlS1P_E_NS1_11comp_targetILNS1_3genE10ELNS1_11target_archE1200ELNS1_3gpuE4ELNS1_3repE0EEENS1_30default_config_static_selectorELNS0_4arch9wavefront6targetE0EEEvS12_.num_agpr, 0
	.set _ZN7rocprim17ROCPRIM_400000_NS6detail17trampoline_kernelINS0_13select_configILj256ELj13ELNS0_17block_load_methodE3ELS4_3ELS4_3ELNS0_20block_scan_algorithmE0ELj4294967295EEENS1_25partition_config_selectorILNS1_17partition_subalgoE4EjNS0_10empty_typeEbEEZZNS1_14partition_implILS8_4ELb0ES6_15HIP_vector_typeIjLj2EENS0_17counting_iteratorIjlEEPS9_SG_NS0_5tupleIJPjSI_NS0_16reverse_iteratorISI_EEEEENSH_IJSG_SG_SG_EEES9_SI_JZNS1_25segmented_radix_sort_implINS0_14default_configELb0EPKhPhPKlPlN2at6native12_GLOBAL__N_18offset_tEEE10hipError_tPvRmT1_PNSt15iterator_traitsIS12_E10value_typeET2_T3_PNS13_IS18_E10value_typeET4_jRbjT5_S1E_jjP12ihipStream_tbEUljE_ZNSN_ISO_Lb0ESQ_SR_ST_SU_SY_EESZ_S10_S11_S12_S16_S17_S18_S1B_S1C_jS1D_jS1E_S1E_jjS1G_bEUljE0_EEESZ_S10_S11_S18_S1C_S1E_T6_T7_T9_mT8_S1G_bDpT10_ENKUlT_T0_E_clISt17integral_constantIbLb0EES1T_IbLb1EEEEDaS1P_S1Q_EUlS1P_E_NS1_11comp_targetILNS1_3genE10ELNS1_11target_archE1200ELNS1_3gpuE4ELNS1_3repE0EEENS1_30default_config_static_selectorELNS0_4arch9wavefront6targetE0EEEvS12_.numbered_sgpr, 0
	.set _ZN7rocprim17ROCPRIM_400000_NS6detail17trampoline_kernelINS0_13select_configILj256ELj13ELNS0_17block_load_methodE3ELS4_3ELS4_3ELNS0_20block_scan_algorithmE0ELj4294967295EEENS1_25partition_config_selectorILNS1_17partition_subalgoE4EjNS0_10empty_typeEbEEZZNS1_14partition_implILS8_4ELb0ES6_15HIP_vector_typeIjLj2EENS0_17counting_iteratorIjlEEPS9_SG_NS0_5tupleIJPjSI_NS0_16reverse_iteratorISI_EEEEENSH_IJSG_SG_SG_EEES9_SI_JZNS1_25segmented_radix_sort_implINS0_14default_configELb0EPKhPhPKlPlN2at6native12_GLOBAL__N_18offset_tEEE10hipError_tPvRmT1_PNSt15iterator_traitsIS12_E10value_typeET2_T3_PNS13_IS18_E10value_typeET4_jRbjT5_S1E_jjP12ihipStream_tbEUljE_ZNSN_ISO_Lb0ESQ_SR_ST_SU_SY_EESZ_S10_S11_S12_S16_S17_S18_S1B_S1C_jS1D_jS1E_S1E_jjS1G_bEUljE0_EEESZ_S10_S11_S18_S1C_S1E_T6_T7_T9_mT8_S1G_bDpT10_ENKUlT_T0_E_clISt17integral_constantIbLb0EES1T_IbLb1EEEEDaS1P_S1Q_EUlS1P_E_NS1_11comp_targetILNS1_3genE10ELNS1_11target_archE1200ELNS1_3gpuE4ELNS1_3repE0EEENS1_30default_config_static_selectorELNS0_4arch9wavefront6targetE0EEEvS12_.num_named_barrier, 0
	.set _ZN7rocprim17ROCPRIM_400000_NS6detail17trampoline_kernelINS0_13select_configILj256ELj13ELNS0_17block_load_methodE3ELS4_3ELS4_3ELNS0_20block_scan_algorithmE0ELj4294967295EEENS1_25partition_config_selectorILNS1_17partition_subalgoE4EjNS0_10empty_typeEbEEZZNS1_14partition_implILS8_4ELb0ES6_15HIP_vector_typeIjLj2EENS0_17counting_iteratorIjlEEPS9_SG_NS0_5tupleIJPjSI_NS0_16reverse_iteratorISI_EEEEENSH_IJSG_SG_SG_EEES9_SI_JZNS1_25segmented_radix_sort_implINS0_14default_configELb0EPKhPhPKlPlN2at6native12_GLOBAL__N_18offset_tEEE10hipError_tPvRmT1_PNSt15iterator_traitsIS12_E10value_typeET2_T3_PNS13_IS18_E10value_typeET4_jRbjT5_S1E_jjP12ihipStream_tbEUljE_ZNSN_ISO_Lb0ESQ_SR_ST_SU_SY_EESZ_S10_S11_S12_S16_S17_S18_S1B_S1C_jS1D_jS1E_S1E_jjS1G_bEUljE0_EEESZ_S10_S11_S18_S1C_S1E_T6_T7_T9_mT8_S1G_bDpT10_ENKUlT_T0_E_clISt17integral_constantIbLb0EES1T_IbLb1EEEEDaS1P_S1Q_EUlS1P_E_NS1_11comp_targetILNS1_3genE10ELNS1_11target_archE1200ELNS1_3gpuE4ELNS1_3repE0EEENS1_30default_config_static_selectorELNS0_4arch9wavefront6targetE0EEEvS12_.private_seg_size, 0
	.set _ZN7rocprim17ROCPRIM_400000_NS6detail17trampoline_kernelINS0_13select_configILj256ELj13ELNS0_17block_load_methodE3ELS4_3ELS4_3ELNS0_20block_scan_algorithmE0ELj4294967295EEENS1_25partition_config_selectorILNS1_17partition_subalgoE4EjNS0_10empty_typeEbEEZZNS1_14partition_implILS8_4ELb0ES6_15HIP_vector_typeIjLj2EENS0_17counting_iteratorIjlEEPS9_SG_NS0_5tupleIJPjSI_NS0_16reverse_iteratorISI_EEEEENSH_IJSG_SG_SG_EEES9_SI_JZNS1_25segmented_radix_sort_implINS0_14default_configELb0EPKhPhPKlPlN2at6native12_GLOBAL__N_18offset_tEEE10hipError_tPvRmT1_PNSt15iterator_traitsIS12_E10value_typeET2_T3_PNS13_IS18_E10value_typeET4_jRbjT5_S1E_jjP12ihipStream_tbEUljE_ZNSN_ISO_Lb0ESQ_SR_ST_SU_SY_EESZ_S10_S11_S12_S16_S17_S18_S1B_S1C_jS1D_jS1E_S1E_jjS1G_bEUljE0_EEESZ_S10_S11_S18_S1C_S1E_T6_T7_T9_mT8_S1G_bDpT10_ENKUlT_T0_E_clISt17integral_constantIbLb0EES1T_IbLb1EEEEDaS1P_S1Q_EUlS1P_E_NS1_11comp_targetILNS1_3genE10ELNS1_11target_archE1200ELNS1_3gpuE4ELNS1_3repE0EEENS1_30default_config_static_selectorELNS0_4arch9wavefront6targetE0EEEvS12_.uses_vcc, 0
	.set _ZN7rocprim17ROCPRIM_400000_NS6detail17trampoline_kernelINS0_13select_configILj256ELj13ELNS0_17block_load_methodE3ELS4_3ELS4_3ELNS0_20block_scan_algorithmE0ELj4294967295EEENS1_25partition_config_selectorILNS1_17partition_subalgoE4EjNS0_10empty_typeEbEEZZNS1_14partition_implILS8_4ELb0ES6_15HIP_vector_typeIjLj2EENS0_17counting_iteratorIjlEEPS9_SG_NS0_5tupleIJPjSI_NS0_16reverse_iteratorISI_EEEEENSH_IJSG_SG_SG_EEES9_SI_JZNS1_25segmented_radix_sort_implINS0_14default_configELb0EPKhPhPKlPlN2at6native12_GLOBAL__N_18offset_tEEE10hipError_tPvRmT1_PNSt15iterator_traitsIS12_E10value_typeET2_T3_PNS13_IS18_E10value_typeET4_jRbjT5_S1E_jjP12ihipStream_tbEUljE_ZNSN_ISO_Lb0ESQ_SR_ST_SU_SY_EESZ_S10_S11_S12_S16_S17_S18_S1B_S1C_jS1D_jS1E_S1E_jjS1G_bEUljE0_EEESZ_S10_S11_S18_S1C_S1E_T6_T7_T9_mT8_S1G_bDpT10_ENKUlT_T0_E_clISt17integral_constantIbLb0EES1T_IbLb1EEEEDaS1P_S1Q_EUlS1P_E_NS1_11comp_targetILNS1_3genE10ELNS1_11target_archE1200ELNS1_3gpuE4ELNS1_3repE0EEENS1_30default_config_static_selectorELNS0_4arch9wavefront6targetE0EEEvS12_.uses_flat_scratch, 0
	.set _ZN7rocprim17ROCPRIM_400000_NS6detail17trampoline_kernelINS0_13select_configILj256ELj13ELNS0_17block_load_methodE3ELS4_3ELS4_3ELNS0_20block_scan_algorithmE0ELj4294967295EEENS1_25partition_config_selectorILNS1_17partition_subalgoE4EjNS0_10empty_typeEbEEZZNS1_14partition_implILS8_4ELb0ES6_15HIP_vector_typeIjLj2EENS0_17counting_iteratorIjlEEPS9_SG_NS0_5tupleIJPjSI_NS0_16reverse_iteratorISI_EEEEENSH_IJSG_SG_SG_EEES9_SI_JZNS1_25segmented_radix_sort_implINS0_14default_configELb0EPKhPhPKlPlN2at6native12_GLOBAL__N_18offset_tEEE10hipError_tPvRmT1_PNSt15iterator_traitsIS12_E10value_typeET2_T3_PNS13_IS18_E10value_typeET4_jRbjT5_S1E_jjP12ihipStream_tbEUljE_ZNSN_ISO_Lb0ESQ_SR_ST_SU_SY_EESZ_S10_S11_S12_S16_S17_S18_S1B_S1C_jS1D_jS1E_S1E_jjS1G_bEUljE0_EEESZ_S10_S11_S18_S1C_S1E_T6_T7_T9_mT8_S1G_bDpT10_ENKUlT_T0_E_clISt17integral_constantIbLb0EES1T_IbLb1EEEEDaS1P_S1Q_EUlS1P_E_NS1_11comp_targetILNS1_3genE10ELNS1_11target_archE1200ELNS1_3gpuE4ELNS1_3repE0EEENS1_30default_config_static_selectorELNS0_4arch9wavefront6targetE0EEEvS12_.has_dyn_sized_stack, 0
	.set _ZN7rocprim17ROCPRIM_400000_NS6detail17trampoline_kernelINS0_13select_configILj256ELj13ELNS0_17block_load_methodE3ELS4_3ELS4_3ELNS0_20block_scan_algorithmE0ELj4294967295EEENS1_25partition_config_selectorILNS1_17partition_subalgoE4EjNS0_10empty_typeEbEEZZNS1_14partition_implILS8_4ELb0ES6_15HIP_vector_typeIjLj2EENS0_17counting_iteratorIjlEEPS9_SG_NS0_5tupleIJPjSI_NS0_16reverse_iteratorISI_EEEEENSH_IJSG_SG_SG_EEES9_SI_JZNS1_25segmented_radix_sort_implINS0_14default_configELb0EPKhPhPKlPlN2at6native12_GLOBAL__N_18offset_tEEE10hipError_tPvRmT1_PNSt15iterator_traitsIS12_E10value_typeET2_T3_PNS13_IS18_E10value_typeET4_jRbjT5_S1E_jjP12ihipStream_tbEUljE_ZNSN_ISO_Lb0ESQ_SR_ST_SU_SY_EESZ_S10_S11_S12_S16_S17_S18_S1B_S1C_jS1D_jS1E_S1E_jjS1G_bEUljE0_EEESZ_S10_S11_S18_S1C_S1E_T6_T7_T9_mT8_S1G_bDpT10_ENKUlT_T0_E_clISt17integral_constantIbLb0EES1T_IbLb1EEEEDaS1P_S1Q_EUlS1P_E_NS1_11comp_targetILNS1_3genE10ELNS1_11target_archE1200ELNS1_3gpuE4ELNS1_3repE0EEENS1_30default_config_static_selectorELNS0_4arch9wavefront6targetE0EEEvS12_.has_recursion, 0
	.set _ZN7rocprim17ROCPRIM_400000_NS6detail17trampoline_kernelINS0_13select_configILj256ELj13ELNS0_17block_load_methodE3ELS4_3ELS4_3ELNS0_20block_scan_algorithmE0ELj4294967295EEENS1_25partition_config_selectorILNS1_17partition_subalgoE4EjNS0_10empty_typeEbEEZZNS1_14partition_implILS8_4ELb0ES6_15HIP_vector_typeIjLj2EENS0_17counting_iteratorIjlEEPS9_SG_NS0_5tupleIJPjSI_NS0_16reverse_iteratorISI_EEEEENSH_IJSG_SG_SG_EEES9_SI_JZNS1_25segmented_radix_sort_implINS0_14default_configELb0EPKhPhPKlPlN2at6native12_GLOBAL__N_18offset_tEEE10hipError_tPvRmT1_PNSt15iterator_traitsIS12_E10value_typeET2_T3_PNS13_IS18_E10value_typeET4_jRbjT5_S1E_jjP12ihipStream_tbEUljE_ZNSN_ISO_Lb0ESQ_SR_ST_SU_SY_EESZ_S10_S11_S12_S16_S17_S18_S1B_S1C_jS1D_jS1E_S1E_jjS1G_bEUljE0_EEESZ_S10_S11_S18_S1C_S1E_T6_T7_T9_mT8_S1G_bDpT10_ENKUlT_T0_E_clISt17integral_constantIbLb0EES1T_IbLb1EEEEDaS1P_S1Q_EUlS1P_E_NS1_11comp_targetILNS1_3genE10ELNS1_11target_archE1200ELNS1_3gpuE4ELNS1_3repE0EEENS1_30default_config_static_selectorELNS0_4arch9wavefront6targetE0EEEvS12_.has_indirect_call, 0
	.section	.AMDGPU.csdata,"",@progbits
; Kernel info:
; codeLenInByte = 0
; TotalNumSgprs: 0
; NumVgprs: 0
; ScratchSize: 0
; MemoryBound: 0
; FloatMode: 240
; IeeeMode: 1
; LDSByteSize: 0 bytes/workgroup (compile time only)
; SGPRBlocks: 0
; VGPRBlocks: 0
; NumSGPRsForWavesPerEU: 1
; NumVGPRsForWavesPerEU: 1
; Occupancy: 16
; WaveLimiterHint : 0
; COMPUTE_PGM_RSRC2:SCRATCH_EN: 0
; COMPUTE_PGM_RSRC2:USER_SGPR: 6
; COMPUTE_PGM_RSRC2:TRAP_HANDLER: 0
; COMPUTE_PGM_RSRC2:TGID_X_EN: 1
; COMPUTE_PGM_RSRC2:TGID_Y_EN: 0
; COMPUTE_PGM_RSRC2:TGID_Z_EN: 0
; COMPUTE_PGM_RSRC2:TIDIG_COMP_CNT: 0
	.section	.text._ZN7rocprim17ROCPRIM_400000_NS6detail17trampoline_kernelINS0_13select_configILj256ELj13ELNS0_17block_load_methodE3ELS4_3ELS4_3ELNS0_20block_scan_algorithmE0ELj4294967295EEENS1_25partition_config_selectorILNS1_17partition_subalgoE4EjNS0_10empty_typeEbEEZZNS1_14partition_implILS8_4ELb0ES6_15HIP_vector_typeIjLj2EENS0_17counting_iteratorIjlEEPS9_SG_NS0_5tupleIJPjSI_NS0_16reverse_iteratorISI_EEEEENSH_IJSG_SG_SG_EEES9_SI_JZNS1_25segmented_radix_sort_implINS0_14default_configELb0EPKhPhPKlPlN2at6native12_GLOBAL__N_18offset_tEEE10hipError_tPvRmT1_PNSt15iterator_traitsIS12_E10value_typeET2_T3_PNS13_IS18_E10value_typeET4_jRbjT5_S1E_jjP12ihipStream_tbEUljE_ZNSN_ISO_Lb0ESQ_SR_ST_SU_SY_EESZ_S10_S11_S12_S16_S17_S18_S1B_S1C_jS1D_jS1E_S1E_jjS1G_bEUljE0_EEESZ_S10_S11_S18_S1C_S1E_T6_T7_T9_mT8_S1G_bDpT10_ENKUlT_T0_E_clISt17integral_constantIbLb0EES1T_IbLb1EEEEDaS1P_S1Q_EUlS1P_E_NS1_11comp_targetILNS1_3genE9ELNS1_11target_archE1100ELNS1_3gpuE3ELNS1_3repE0EEENS1_30default_config_static_selectorELNS0_4arch9wavefront6targetE0EEEvS12_,"axG",@progbits,_ZN7rocprim17ROCPRIM_400000_NS6detail17trampoline_kernelINS0_13select_configILj256ELj13ELNS0_17block_load_methodE3ELS4_3ELS4_3ELNS0_20block_scan_algorithmE0ELj4294967295EEENS1_25partition_config_selectorILNS1_17partition_subalgoE4EjNS0_10empty_typeEbEEZZNS1_14partition_implILS8_4ELb0ES6_15HIP_vector_typeIjLj2EENS0_17counting_iteratorIjlEEPS9_SG_NS0_5tupleIJPjSI_NS0_16reverse_iteratorISI_EEEEENSH_IJSG_SG_SG_EEES9_SI_JZNS1_25segmented_radix_sort_implINS0_14default_configELb0EPKhPhPKlPlN2at6native12_GLOBAL__N_18offset_tEEE10hipError_tPvRmT1_PNSt15iterator_traitsIS12_E10value_typeET2_T3_PNS13_IS18_E10value_typeET4_jRbjT5_S1E_jjP12ihipStream_tbEUljE_ZNSN_ISO_Lb0ESQ_SR_ST_SU_SY_EESZ_S10_S11_S12_S16_S17_S18_S1B_S1C_jS1D_jS1E_S1E_jjS1G_bEUljE0_EEESZ_S10_S11_S18_S1C_S1E_T6_T7_T9_mT8_S1G_bDpT10_ENKUlT_T0_E_clISt17integral_constantIbLb0EES1T_IbLb1EEEEDaS1P_S1Q_EUlS1P_E_NS1_11comp_targetILNS1_3genE9ELNS1_11target_archE1100ELNS1_3gpuE3ELNS1_3repE0EEENS1_30default_config_static_selectorELNS0_4arch9wavefront6targetE0EEEvS12_,comdat
	.globl	_ZN7rocprim17ROCPRIM_400000_NS6detail17trampoline_kernelINS0_13select_configILj256ELj13ELNS0_17block_load_methodE3ELS4_3ELS4_3ELNS0_20block_scan_algorithmE0ELj4294967295EEENS1_25partition_config_selectorILNS1_17partition_subalgoE4EjNS0_10empty_typeEbEEZZNS1_14partition_implILS8_4ELb0ES6_15HIP_vector_typeIjLj2EENS0_17counting_iteratorIjlEEPS9_SG_NS0_5tupleIJPjSI_NS0_16reverse_iteratorISI_EEEEENSH_IJSG_SG_SG_EEES9_SI_JZNS1_25segmented_radix_sort_implINS0_14default_configELb0EPKhPhPKlPlN2at6native12_GLOBAL__N_18offset_tEEE10hipError_tPvRmT1_PNSt15iterator_traitsIS12_E10value_typeET2_T3_PNS13_IS18_E10value_typeET4_jRbjT5_S1E_jjP12ihipStream_tbEUljE_ZNSN_ISO_Lb0ESQ_SR_ST_SU_SY_EESZ_S10_S11_S12_S16_S17_S18_S1B_S1C_jS1D_jS1E_S1E_jjS1G_bEUljE0_EEESZ_S10_S11_S18_S1C_S1E_T6_T7_T9_mT8_S1G_bDpT10_ENKUlT_T0_E_clISt17integral_constantIbLb0EES1T_IbLb1EEEEDaS1P_S1Q_EUlS1P_E_NS1_11comp_targetILNS1_3genE9ELNS1_11target_archE1100ELNS1_3gpuE3ELNS1_3repE0EEENS1_30default_config_static_selectorELNS0_4arch9wavefront6targetE0EEEvS12_ ; -- Begin function _ZN7rocprim17ROCPRIM_400000_NS6detail17trampoline_kernelINS0_13select_configILj256ELj13ELNS0_17block_load_methodE3ELS4_3ELS4_3ELNS0_20block_scan_algorithmE0ELj4294967295EEENS1_25partition_config_selectorILNS1_17partition_subalgoE4EjNS0_10empty_typeEbEEZZNS1_14partition_implILS8_4ELb0ES6_15HIP_vector_typeIjLj2EENS0_17counting_iteratorIjlEEPS9_SG_NS0_5tupleIJPjSI_NS0_16reverse_iteratorISI_EEEEENSH_IJSG_SG_SG_EEES9_SI_JZNS1_25segmented_radix_sort_implINS0_14default_configELb0EPKhPhPKlPlN2at6native12_GLOBAL__N_18offset_tEEE10hipError_tPvRmT1_PNSt15iterator_traitsIS12_E10value_typeET2_T3_PNS13_IS18_E10value_typeET4_jRbjT5_S1E_jjP12ihipStream_tbEUljE_ZNSN_ISO_Lb0ESQ_SR_ST_SU_SY_EESZ_S10_S11_S12_S16_S17_S18_S1B_S1C_jS1D_jS1E_S1E_jjS1G_bEUljE0_EEESZ_S10_S11_S18_S1C_S1E_T6_T7_T9_mT8_S1G_bDpT10_ENKUlT_T0_E_clISt17integral_constantIbLb0EES1T_IbLb1EEEEDaS1P_S1Q_EUlS1P_E_NS1_11comp_targetILNS1_3genE9ELNS1_11target_archE1100ELNS1_3gpuE3ELNS1_3repE0EEENS1_30default_config_static_selectorELNS0_4arch9wavefront6targetE0EEEvS12_
	.p2align	8
	.type	_ZN7rocprim17ROCPRIM_400000_NS6detail17trampoline_kernelINS0_13select_configILj256ELj13ELNS0_17block_load_methodE3ELS4_3ELS4_3ELNS0_20block_scan_algorithmE0ELj4294967295EEENS1_25partition_config_selectorILNS1_17partition_subalgoE4EjNS0_10empty_typeEbEEZZNS1_14partition_implILS8_4ELb0ES6_15HIP_vector_typeIjLj2EENS0_17counting_iteratorIjlEEPS9_SG_NS0_5tupleIJPjSI_NS0_16reverse_iteratorISI_EEEEENSH_IJSG_SG_SG_EEES9_SI_JZNS1_25segmented_radix_sort_implINS0_14default_configELb0EPKhPhPKlPlN2at6native12_GLOBAL__N_18offset_tEEE10hipError_tPvRmT1_PNSt15iterator_traitsIS12_E10value_typeET2_T3_PNS13_IS18_E10value_typeET4_jRbjT5_S1E_jjP12ihipStream_tbEUljE_ZNSN_ISO_Lb0ESQ_SR_ST_SU_SY_EESZ_S10_S11_S12_S16_S17_S18_S1B_S1C_jS1D_jS1E_S1E_jjS1G_bEUljE0_EEESZ_S10_S11_S18_S1C_S1E_T6_T7_T9_mT8_S1G_bDpT10_ENKUlT_T0_E_clISt17integral_constantIbLb0EES1T_IbLb1EEEEDaS1P_S1Q_EUlS1P_E_NS1_11comp_targetILNS1_3genE9ELNS1_11target_archE1100ELNS1_3gpuE3ELNS1_3repE0EEENS1_30default_config_static_selectorELNS0_4arch9wavefront6targetE0EEEvS12_,@function
_ZN7rocprim17ROCPRIM_400000_NS6detail17trampoline_kernelINS0_13select_configILj256ELj13ELNS0_17block_load_methodE3ELS4_3ELS4_3ELNS0_20block_scan_algorithmE0ELj4294967295EEENS1_25partition_config_selectorILNS1_17partition_subalgoE4EjNS0_10empty_typeEbEEZZNS1_14partition_implILS8_4ELb0ES6_15HIP_vector_typeIjLj2EENS0_17counting_iteratorIjlEEPS9_SG_NS0_5tupleIJPjSI_NS0_16reverse_iteratorISI_EEEEENSH_IJSG_SG_SG_EEES9_SI_JZNS1_25segmented_radix_sort_implINS0_14default_configELb0EPKhPhPKlPlN2at6native12_GLOBAL__N_18offset_tEEE10hipError_tPvRmT1_PNSt15iterator_traitsIS12_E10value_typeET2_T3_PNS13_IS18_E10value_typeET4_jRbjT5_S1E_jjP12ihipStream_tbEUljE_ZNSN_ISO_Lb0ESQ_SR_ST_SU_SY_EESZ_S10_S11_S12_S16_S17_S18_S1B_S1C_jS1D_jS1E_S1E_jjS1G_bEUljE0_EEESZ_S10_S11_S18_S1C_S1E_T6_T7_T9_mT8_S1G_bDpT10_ENKUlT_T0_E_clISt17integral_constantIbLb0EES1T_IbLb1EEEEDaS1P_S1Q_EUlS1P_E_NS1_11comp_targetILNS1_3genE9ELNS1_11target_archE1100ELNS1_3gpuE3ELNS1_3repE0EEENS1_30default_config_static_selectorELNS0_4arch9wavefront6targetE0EEEvS12_: ; @_ZN7rocprim17ROCPRIM_400000_NS6detail17trampoline_kernelINS0_13select_configILj256ELj13ELNS0_17block_load_methodE3ELS4_3ELS4_3ELNS0_20block_scan_algorithmE0ELj4294967295EEENS1_25partition_config_selectorILNS1_17partition_subalgoE4EjNS0_10empty_typeEbEEZZNS1_14partition_implILS8_4ELb0ES6_15HIP_vector_typeIjLj2EENS0_17counting_iteratorIjlEEPS9_SG_NS0_5tupleIJPjSI_NS0_16reverse_iteratorISI_EEEEENSH_IJSG_SG_SG_EEES9_SI_JZNS1_25segmented_radix_sort_implINS0_14default_configELb0EPKhPhPKlPlN2at6native12_GLOBAL__N_18offset_tEEE10hipError_tPvRmT1_PNSt15iterator_traitsIS12_E10value_typeET2_T3_PNS13_IS18_E10value_typeET4_jRbjT5_S1E_jjP12ihipStream_tbEUljE_ZNSN_ISO_Lb0ESQ_SR_ST_SU_SY_EESZ_S10_S11_S12_S16_S17_S18_S1B_S1C_jS1D_jS1E_S1E_jjS1G_bEUljE0_EEESZ_S10_S11_S18_S1C_S1E_T6_T7_T9_mT8_S1G_bDpT10_ENKUlT_T0_E_clISt17integral_constantIbLb0EES1T_IbLb1EEEEDaS1P_S1Q_EUlS1P_E_NS1_11comp_targetILNS1_3genE9ELNS1_11target_archE1100ELNS1_3gpuE3ELNS1_3repE0EEENS1_30default_config_static_selectorELNS0_4arch9wavefront6targetE0EEEvS12_
; %bb.0:
	.section	.rodata,"a",@progbits
	.p2align	6, 0x0
	.amdhsa_kernel _ZN7rocprim17ROCPRIM_400000_NS6detail17trampoline_kernelINS0_13select_configILj256ELj13ELNS0_17block_load_methodE3ELS4_3ELS4_3ELNS0_20block_scan_algorithmE0ELj4294967295EEENS1_25partition_config_selectorILNS1_17partition_subalgoE4EjNS0_10empty_typeEbEEZZNS1_14partition_implILS8_4ELb0ES6_15HIP_vector_typeIjLj2EENS0_17counting_iteratorIjlEEPS9_SG_NS0_5tupleIJPjSI_NS0_16reverse_iteratorISI_EEEEENSH_IJSG_SG_SG_EEES9_SI_JZNS1_25segmented_radix_sort_implINS0_14default_configELb0EPKhPhPKlPlN2at6native12_GLOBAL__N_18offset_tEEE10hipError_tPvRmT1_PNSt15iterator_traitsIS12_E10value_typeET2_T3_PNS13_IS18_E10value_typeET4_jRbjT5_S1E_jjP12ihipStream_tbEUljE_ZNSN_ISO_Lb0ESQ_SR_ST_SU_SY_EESZ_S10_S11_S12_S16_S17_S18_S1B_S1C_jS1D_jS1E_S1E_jjS1G_bEUljE0_EEESZ_S10_S11_S18_S1C_S1E_T6_T7_T9_mT8_S1G_bDpT10_ENKUlT_T0_E_clISt17integral_constantIbLb0EES1T_IbLb1EEEEDaS1P_S1Q_EUlS1P_E_NS1_11comp_targetILNS1_3genE9ELNS1_11target_archE1100ELNS1_3gpuE3ELNS1_3repE0EEENS1_30default_config_static_selectorELNS0_4arch9wavefront6targetE0EEEvS12_
		.amdhsa_group_segment_fixed_size 0
		.amdhsa_private_segment_fixed_size 0
		.amdhsa_kernarg_size 184
		.amdhsa_user_sgpr_count 6
		.amdhsa_user_sgpr_private_segment_buffer 1
		.amdhsa_user_sgpr_dispatch_ptr 0
		.amdhsa_user_sgpr_queue_ptr 0
		.amdhsa_user_sgpr_kernarg_segment_ptr 1
		.amdhsa_user_sgpr_dispatch_id 0
		.amdhsa_user_sgpr_flat_scratch_init 0
		.amdhsa_user_sgpr_private_segment_size 0
		.amdhsa_wavefront_size32 1
		.amdhsa_uses_dynamic_stack 0
		.amdhsa_system_sgpr_private_segment_wavefront_offset 0
		.amdhsa_system_sgpr_workgroup_id_x 1
		.amdhsa_system_sgpr_workgroup_id_y 0
		.amdhsa_system_sgpr_workgroup_id_z 0
		.amdhsa_system_sgpr_workgroup_info 0
		.amdhsa_system_vgpr_workitem_id 0
		.amdhsa_next_free_vgpr 1
		.amdhsa_next_free_sgpr 1
		.amdhsa_reserve_vcc 0
		.amdhsa_reserve_flat_scratch 0
		.amdhsa_float_round_mode_32 0
		.amdhsa_float_round_mode_16_64 0
		.amdhsa_float_denorm_mode_32 3
		.amdhsa_float_denorm_mode_16_64 3
		.amdhsa_dx10_clamp 1
		.amdhsa_ieee_mode 1
		.amdhsa_fp16_overflow 0
		.amdhsa_workgroup_processor_mode 1
		.amdhsa_memory_ordered 1
		.amdhsa_forward_progress 1
		.amdhsa_shared_vgpr_count 0
		.amdhsa_exception_fp_ieee_invalid_op 0
		.amdhsa_exception_fp_denorm_src 0
		.amdhsa_exception_fp_ieee_div_zero 0
		.amdhsa_exception_fp_ieee_overflow 0
		.amdhsa_exception_fp_ieee_underflow 0
		.amdhsa_exception_fp_ieee_inexact 0
		.amdhsa_exception_int_div_zero 0
	.end_amdhsa_kernel
	.section	.text._ZN7rocprim17ROCPRIM_400000_NS6detail17trampoline_kernelINS0_13select_configILj256ELj13ELNS0_17block_load_methodE3ELS4_3ELS4_3ELNS0_20block_scan_algorithmE0ELj4294967295EEENS1_25partition_config_selectorILNS1_17partition_subalgoE4EjNS0_10empty_typeEbEEZZNS1_14partition_implILS8_4ELb0ES6_15HIP_vector_typeIjLj2EENS0_17counting_iteratorIjlEEPS9_SG_NS0_5tupleIJPjSI_NS0_16reverse_iteratorISI_EEEEENSH_IJSG_SG_SG_EEES9_SI_JZNS1_25segmented_radix_sort_implINS0_14default_configELb0EPKhPhPKlPlN2at6native12_GLOBAL__N_18offset_tEEE10hipError_tPvRmT1_PNSt15iterator_traitsIS12_E10value_typeET2_T3_PNS13_IS18_E10value_typeET4_jRbjT5_S1E_jjP12ihipStream_tbEUljE_ZNSN_ISO_Lb0ESQ_SR_ST_SU_SY_EESZ_S10_S11_S12_S16_S17_S18_S1B_S1C_jS1D_jS1E_S1E_jjS1G_bEUljE0_EEESZ_S10_S11_S18_S1C_S1E_T6_T7_T9_mT8_S1G_bDpT10_ENKUlT_T0_E_clISt17integral_constantIbLb0EES1T_IbLb1EEEEDaS1P_S1Q_EUlS1P_E_NS1_11comp_targetILNS1_3genE9ELNS1_11target_archE1100ELNS1_3gpuE3ELNS1_3repE0EEENS1_30default_config_static_selectorELNS0_4arch9wavefront6targetE0EEEvS12_,"axG",@progbits,_ZN7rocprim17ROCPRIM_400000_NS6detail17trampoline_kernelINS0_13select_configILj256ELj13ELNS0_17block_load_methodE3ELS4_3ELS4_3ELNS0_20block_scan_algorithmE0ELj4294967295EEENS1_25partition_config_selectorILNS1_17partition_subalgoE4EjNS0_10empty_typeEbEEZZNS1_14partition_implILS8_4ELb0ES6_15HIP_vector_typeIjLj2EENS0_17counting_iteratorIjlEEPS9_SG_NS0_5tupleIJPjSI_NS0_16reverse_iteratorISI_EEEEENSH_IJSG_SG_SG_EEES9_SI_JZNS1_25segmented_radix_sort_implINS0_14default_configELb0EPKhPhPKlPlN2at6native12_GLOBAL__N_18offset_tEEE10hipError_tPvRmT1_PNSt15iterator_traitsIS12_E10value_typeET2_T3_PNS13_IS18_E10value_typeET4_jRbjT5_S1E_jjP12ihipStream_tbEUljE_ZNSN_ISO_Lb0ESQ_SR_ST_SU_SY_EESZ_S10_S11_S12_S16_S17_S18_S1B_S1C_jS1D_jS1E_S1E_jjS1G_bEUljE0_EEESZ_S10_S11_S18_S1C_S1E_T6_T7_T9_mT8_S1G_bDpT10_ENKUlT_T0_E_clISt17integral_constantIbLb0EES1T_IbLb1EEEEDaS1P_S1Q_EUlS1P_E_NS1_11comp_targetILNS1_3genE9ELNS1_11target_archE1100ELNS1_3gpuE3ELNS1_3repE0EEENS1_30default_config_static_selectorELNS0_4arch9wavefront6targetE0EEEvS12_,comdat
.Lfunc_end151:
	.size	_ZN7rocprim17ROCPRIM_400000_NS6detail17trampoline_kernelINS0_13select_configILj256ELj13ELNS0_17block_load_methodE3ELS4_3ELS4_3ELNS0_20block_scan_algorithmE0ELj4294967295EEENS1_25partition_config_selectorILNS1_17partition_subalgoE4EjNS0_10empty_typeEbEEZZNS1_14partition_implILS8_4ELb0ES6_15HIP_vector_typeIjLj2EENS0_17counting_iteratorIjlEEPS9_SG_NS0_5tupleIJPjSI_NS0_16reverse_iteratorISI_EEEEENSH_IJSG_SG_SG_EEES9_SI_JZNS1_25segmented_radix_sort_implINS0_14default_configELb0EPKhPhPKlPlN2at6native12_GLOBAL__N_18offset_tEEE10hipError_tPvRmT1_PNSt15iterator_traitsIS12_E10value_typeET2_T3_PNS13_IS18_E10value_typeET4_jRbjT5_S1E_jjP12ihipStream_tbEUljE_ZNSN_ISO_Lb0ESQ_SR_ST_SU_SY_EESZ_S10_S11_S12_S16_S17_S18_S1B_S1C_jS1D_jS1E_S1E_jjS1G_bEUljE0_EEESZ_S10_S11_S18_S1C_S1E_T6_T7_T9_mT8_S1G_bDpT10_ENKUlT_T0_E_clISt17integral_constantIbLb0EES1T_IbLb1EEEEDaS1P_S1Q_EUlS1P_E_NS1_11comp_targetILNS1_3genE9ELNS1_11target_archE1100ELNS1_3gpuE3ELNS1_3repE0EEENS1_30default_config_static_selectorELNS0_4arch9wavefront6targetE0EEEvS12_, .Lfunc_end151-_ZN7rocprim17ROCPRIM_400000_NS6detail17trampoline_kernelINS0_13select_configILj256ELj13ELNS0_17block_load_methodE3ELS4_3ELS4_3ELNS0_20block_scan_algorithmE0ELj4294967295EEENS1_25partition_config_selectorILNS1_17partition_subalgoE4EjNS0_10empty_typeEbEEZZNS1_14partition_implILS8_4ELb0ES6_15HIP_vector_typeIjLj2EENS0_17counting_iteratorIjlEEPS9_SG_NS0_5tupleIJPjSI_NS0_16reverse_iteratorISI_EEEEENSH_IJSG_SG_SG_EEES9_SI_JZNS1_25segmented_radix_sort_implINS0_14default_configELb0EPKhPhPKlPlN2at6native12_GLOBAL__N_18offset_tEEE10hipError_tPvRmT1_PNSt15iterator_traitsIS12_E10value_typeET2_T3_PNS13_IS18_E10value_typeET4_jRbjT5_S1E_jjP12ihipStream_tbEUljE_ZNSN_ISO_Lb0ESQ_SR_ST_SU_SY_EESZ_S10_S11_S12_S16_S17_S18_S1B_S1C_jS1D_jS1E_S1E_jjS1G_bEUljE0_EEESZ_S10_S11_S18_S1C_S1E_T6_T7_T9_mT8_S1G_bDpT10_ENKUlT_T0_E_clISt17integral_constantIbLb0EES1T_IbLb1EEEEDaS1P_S1Q_EUlS1P_E_NS1_11comp_targetILNS1_3genE9ELNS1_11target_archE1100ELNS1_3gpuE3ELNS1_3repE0EEENS1_30default_config_static_selectorELNS0_4arch9wavefront6targetE0EEEvS12_
                                        ; -- End function
	.set _ZN7rocprim17ROCPRIM_400000_NS6detail17trampoline_kernelINS0_13select_configILj256ELj13ELNS0_17block_load_methodE3ELS4_3ELS4_3ELNS0_20block_scan_algorithmE0ELj4294967295EEENS1_25partition_config_selectorILNS1_17partition_subalgoE4EjNS0_10empty_typeEbEEZZNS1_14partition_implILS8_4ELb0ES6_15HIP_vector_typeIjLj2EENS0_17counting_iteratorIjlEEPS9_SG_NS0_5tupleIJPjSI_NS0_16reverse_iteratorISI_EEEEENSH_IJSG_SG_SG_EEES9_SI_JZNS1_25segmented_radix_sort_implINS0_14default_configELb0EPKhPhPKlPlN2at6native12_GLOBAL__N_18offset_tEEE10hipError_tPvRmT1_PNSt15iterator_traitsIS12_E10value_typeET2_T3_PNS13_IS18_E10value_typeET4_jRbjT5_S1E_jjP12ihipStream_tbEUljE_ZNSN_ISO_Lb0ESQ_SR_ST_SU_SY_EESZ_S10_S11_S12_S16_S17_S18_S1B_S1C_jS1D_jS1E_S1E_jjS1G_bEUljE0_EEESZ_S10_S11_S18_S1C_S1E_T6_T7_T9_mT8_S1G_bDpT10_ENKUlT_T0_E_clISt17integral_constantIbLb0EES1T_IbLb1EEEEDaS1P_S1Q_EUlS1P_E_NS1_11comp_targetILNS1_3genE9ELNS1_11target_archE1100ELNS1_3gpuE3ELNS1_3repE0EEENS1_30default_config_static_selectorELNS0_4arch9wavefront6targetE0EEEvS12_.num_vgpr, 0
	.set _ZN7rocprim17ROCPRIM_400000_NS6detail17trampoline_kernelINS0_13select_configILj256ELj13ELNS0_17block_load_methodE3ELS4_3ELS4_3ELNS0_20block_scan_algorithmE0ELj4294967295EEENS1_25partition_config_selectorILNS1_17partition_subalgoE4EjNS0_10empty_typeEbEEZZNS1_14partition_implILS8_4ELb0ES6_15HIP_vector_typeIjLj2EENS0_17counting_iteratorIjlEEPS9_SG_NS0_5tupleIJPjSI_NS0_16reverse_iteratorISI_EEEEENSH_IJSG_SG_SG_EEES9_SI_JZNS1_25segmented_radix_sort_implINS0_14default_configELb0EPKhPhPKlPlN2at6native12_GLOBAL__N_18offset_tEEE10hipError_tPvRmT1_PNSt15iterator_traitsIS12_E10value_typeET2_T3_PNS13_IS18_E10value_typeET4_jRbjT5_S1E_jjP12ihipStream_tbEUljE_ZNSN_ISO_Lb0ESQ_SR_ST_SU_SY_EESZ_S10_S11_S12_S16_S17_S18_S1B_S1C_jS1D_jS1E_S1E_jjS1G_bEUljE0_EEESZ_S10_S11_S18_S1C_S1E_T6_T7_T9_mT8_S1G_bDpT10_ENKUlT_T0_E_clISt17integral_constantIbLb0EES1T_IbLb1EEEEDaS1P_S1Q_EUlS1P_E_NS1_11comp_targetILNS1_3genE9ELNS1_11target_archE1100ELNS1_3gpuE3ELNS1_3repE0EEENS1_30default_config_static_selectorELNS0_4arch9wavefront6targetE0EEEvS12_.num_agpr, 0
	.set _ZN7rocprim17ROCPRIM_400000_NS6detail17trampoline_kernelINS0_13select_configILj256ELj13ELNS0_17block_load_methodE3ELS4_3ELS4_3ELNS0_20block_scan_algorithmE0ELj4294967295EEENS1_25partition_config_selectorILNS1_17partition_subalgoE4EjNS0_10empty_typeEbEEZZNS1_14partition_implILS8_4ELb0ES6_15HIP_vector_typeIjLj2EENS0_17counting_iteratorIjlEEPS9_SG_NS0_5tupleIJPjSI_NS0_16reverse_iteratorISI_EEEEENSH_IJSG_SG_SG_EEES9_SI_JZNS1_25segmented_radix_sort_implINS0_14default_configELb0EPKhPhPKlPlN2at6native12_GLOBAL__N_18offset_tEEE10hipError_tPvRmT1_PNSt15iterator_traitsIS12_E10value_typeET2_T3_PNS13_IS18_E10value_typeET4_jRbjT5_S1E_jjP12ihipStream_tbEUljE_ZNSN_ISO_Lb0ESQ_SR_ST_SU_SY_EESZ_S10_S11_S12_S16_S17_S18_S1B_S1C_jS1D_jS1E_S1E_jjS1G_bEUljE0_EEESZ_S10_S11_S18_S1C_S1E_T6_T7_T9_mT8_S1G_bDpT10_ENKUlT_T0_E_clISt17integral_constantIbLb0EES1T_IbLb1EEEEDaS1P_S1Q_EUlS1P_E_NS1_11comp_targetILNS1_3genE9ELNS1_11target_archE1100ELNS1_3gpuE3ELNS1_3repE0EEENS1_30default_config_static_selectorELNS0_4arch9wavefront6targetE0EEEvS12_.numbered_sgpr, 0
	.set _ZN7rocprim17ROCPRIM_400000_NS6detail17trampoline_kernelINS0_13select_configILj256ELj13ELNS0_17block_load_methodE3ELS4_3ELS4_3ELNS0_20block_scan_algorithmE0ELj4294967295EEENS1_25partition_config_selectorILNS1_17partition_subalgoE4EjNS0_10empty_typeEbEEZZNS1_14partition_implILS8_4ELb0ES6_15HIP_vector_typeIjLj2EENS0_17counting_iteratorIjlEEPS9_SG_NS0_5tupleIJPjSI_NS0_16reverse_iteratorISI_EEEEENSH_IJSG_SG_SG_EEES9_SI_JZNS1_25segmented_radix_sort_implINS0_14default_configELb0EPKhPhPKlPlN2at6native12_GLOBAL__N_18offset_tEEE10hipError_tPvRmT1_PNSt15iterator_traitsIS12_E10value_typeET2_T3_PNS13_IS18_E10value_typeET4_jRbjT5_S1E_jjP12ihipStream_tbEUljE_ZNSN_ISO_Lb0ESQ_SR_ST_SU_SY_EESZ_S10_S11_S12_S16_S17_S18_S1B_S1C_jS1D_jS1E_S1E_jjS1G_bEUljE0_EEESZ_S10_S11_S18_S1C_S1E_T6_T7_T9_mT8_S1G_bDpT10_ENKUlT_T0_E_clISt17integral_constantIbLb0EES1T_IbLb1EEEEDaS1P_S1Q_EUlS1P_E_NS1_11comp_targetILNS1_3genE9ELNS1_11target_archE1100ELNS1_3gpuE3ELNS1_3repE0EEENS1_30default_config_static_selectorELNS0_4arch9wavefront6targetE0EEEvS12_.num_named_barrier, 0
	.set _ZN7rocprim17ROCPRIM_400000_NS6detail17trampoline_kernelINS0_13select_configILj256ELj13ELNS0_17block_load_methodE3ELS4_3ELS4_3ELNS0_20block_scan_algorithmE0ELj4294967295EEENS1_25partition_config_selectorILNS1_17partition_subalgoE4EjNS0_10empty_typeEbEEZZNS1_14partition_implILS8_4ELb0ES6_15HIP_vector_typeIjLj2EENS0_17counting_iteratorIjlEEPS9_SG_NS0_5tupleIJPjSI_NS0_16reverse_iteratorISI_EEEEENSH_IJSG_SG_SG_EEES9_SI_JZNS1_25segmented_radix_sort_implINS0_14default_configELb0EPKhPhPKlPlN2at6native12_GLOBAL__N_18offset_tEEE10hipError_tPvRmT1_PNSt15iterator_traitsIS12_E10value_typeET2_T3_PNS13_IS18_E10value_typeET4_jRbjT5_S1E_jjP12ihipStream_tbEUljE_ZNSN_ISO_Lb0ESQ_SR_ST_SU_SY_EESZ_S10_S11_S12_S16_S17_S18_S1B_S1C_jS1D_jS1E_S1E_jjS1G_bEUljE0_EEESZ_S10_S11_S18_S1C_S1E_T6_T7_T9_mT8_S1G_bDpT10_ENKUlT_T0_E_clISt17integral_constantIbLb0EES1T_IbLb1EEEEDaS1P_S1Q_EUlS1P_E_NS1_11comp_targetILNS1_3genE9ELNS1_11target_archE1100ELNS1_3gpuE3ELNS1_3repE0EEENS1_30default_config_static_selectorELNS0_4arch9wavefront6targetE0EEEvS12_.private_seg_size, 0
	.set _ZN7rocprim17ROCPRIM_400000_NS6detail17trampoline_kernelINS0_13select_configILj256ELj13ELNS0_17block_load_methodE3ELS4_3ELS4_3ELNS0_20block_scan_algorithmE0ELj4294967295EEENS1_25partition_config_selectorILNS1_17partition_subalgoE4EjNS0_10empty_typeEbEEZZNS1_14partition_implILS8_4ELb0ES6_15HIP_vector_typeIjLj2EENS0_17counting_iteratorIjlEEPS9_SG_NS0_5tupleIJPjSI_NS0_16reverse_iteratorISI_EEEEENSH_IJSG_SG_SG_EEES9_SI_JZNS1_25segmented_radix_sort_implINS0_14default_configELb0EPKhPhPKlPlN2at6native12_GLOBAL__N_18offset_tEEE10hipError_tPvRmT1_PNSt15iterator_traitsIS12_E10value_typeET2_T3_PNS13_IS18_E10value_typeET4_jRbjT5_S1E_jjP12ihipStream_tbEUljE_ZNSN_ISO_Lb0ESQ_SR_ST_SU_SY_EESZ_S10_S11_S12_S16_S17_S18_S1B_S1C_jS1D_jS1E_S1E_jjS1G_bEUljE0_EEESZ_S10_S11_S18_S1C_S1E_T6_T7_T9_mT8_S1G_bDpT10_ENKUlT_T0_E_clISt17integral_constantIbLb0EES1T_IbLb1EEEEDaS1P_S1Q_EUlS1P_E_NS1_11comp_targetILNS1_3genE9ELNS1_11target_archE1100ELNS1_3gpuE3ELNS1_3repE0EEENS1_30default_config_static_selectorELNS0_4arch9wavefront6targetE0EEEvS12_.uses_vcc, 0
	.set _ZN7rocprim17ROCPRIM_400000_NS6detail17trampoline_kernelINS0_13select_configILj256ELj13ELNS0_17block_load_methodE3ELS4_3ELS4_3ELNS0_20block_scan_algorithmE0ELj4294967295EEENS1_25partition_config_selectorILNS1_17partition_subalgoE4EjNS0_10empty_typeEbEEZZNS1_14partition_implILS8_4ELb0ES6_15HIP_vector_typeIjLj2EENS0_17counting_iteratorIjlEEPS9_SG_NS0_5tupleIJPjSI_NS0_16reverse_iteratorISI_EEEEENSH_IJSG_SG_SG_EEES9_SI_JZNS1_25segmented_radix_sort_implINS0_14default_configELb0EPKhPhPKlPlN2at6native12_GLOBAL__N_18offset_tEEE10hipError_tPvRmT1_PNSt15iterator_traitsIS12_E10value_typeET2_T3_PNS13_IS18_E10value_typeET4_jRbjT5_S1E_jjP12ihipStream_tbEUljE_ZNSN_ISO_Lb0ESQ_SR_ST_SU_SY_EESZ_S10_S11_S12_S16_S17_S18_S1B_S1C_jS1D_jS1E_S1E_jjS1G_bEUljE0_EEESZ_S10_S11_S18_S1C_S1E_T6_T7_T9_mT8_S1G_bDpT10_ENKUlT_T0_E_clISt17integral_constantIbLb0EES1T_IbLb1EEEEDaS1P_S1Q_EUlS1P_E_NS1_11comp_targetILNS1_3genE9ELNS1_11target_archE1100ELNS1_3gpuE3ELNS1_3repE0EEENS1_30default_config_static_selectorELNS0_4arch9wavefront6targetE0EEEvS12_.uses_flat_scratch, 0
	.set _ZN7rocprim17ROCPRIM_400000_NS6detail17trampoline_kernelINS0_13select_configILj256ELj13ELNS0_17block_load_methodE3ELS4_3ELS4_3ELNS0_20block_scan_algorithmE0ELj4294967295EEENS1_25partition_config_selectorILNS1_17partition_subalgoE4EjNS0_10empty_typeEbEEZZNS1_14partition_implILS8_4ELb0ES6_15HIP_vector_typeIjLj2EENS0_17counting_iteratorIjlEEPS9_SG_NS0_5tupleIJPjSI_NS0_16reverse_iteratorISI_EEEEENSH_IJSG_SG_SG_EEES9_SI_JZNS1_25segmented_radix_sort_implINS0_14default_configELb0EPKhPhPKlPlN2at6native12_GLOBAL__N_18offset_tEEE10hipError_tPvRmT1_PNSt15iterator_traitsIS12_E10value_typeET2_T3_PNS13_IS18_E10value_typeET4_jRbjT5_S1E_jjP12ihipStream_tbEUljE_ZNSN_ISO_Lb0ESQ_SR_ST_SU_SY_EESZ_S10_S11_S12_S16_S17_S18_S1B_S1C_jS1D_jS1E_S1E_jjS1G_bEUljE0_EEESZ_S10_S11_S18_S1C_S1E_T6_T7_T9_mT8_S1G_bDpT10_ENKUlT_T0_E_clISt17integral_constantIbLb0EES1T_IbLb1EEEEDaS1P_S1Q_EUlS1P_E_NS1_11comp_targetILNS1_3genE9ELNS1_11target_archE1100ELNS1_3gpuE3ELNS1_3repE0EEENS1_30default_config_static_selectorELNS0_4arch9wavefront6targetE0EEEvS12_.has_dyn_sized_stack, 0
	.set _ZN7rocprim17ROCPRIM_400000_NS6detail17trampoline_kernelINS0_13select_configILj256ELj13ELNS0_17block_load_methodE3ELS4_3ELS4_3ELNS0_20block_scan_algorithmE0ELj4294967295EEENS1_25partition_config_selectorILNS1_17partition_subalgoE4EjNS0_10empty_typeEbEEZZNS1_14partition_implILS8_4ELb0ES6_15HIP_vector_typeIjLj2EENS0_17counting_iteratorIjlEEPS9_SG_NS0_5tupleIJPjSI_NS0_16reverse_iteratorISI_EEEEENSH_IJSG_SG_SG_EEES9_SI_JZNS1_25segmented_radix_sort_implINS0_14default_configELb0EPKhPhPKlPlN2at6native12_GLOBAL__N_18offset_tEEE10hipError_tPvRmT1_PNSt15iterator_traitsIS12_E10value_typeET2_T3_PNS13_IS18_E10value_typeET4_jRbjT5_S1E_jjP12ihipStream_tbEUljE_ZNSN_ISO_Lb0ESQ_SR_ST_SU_SY_EESZ_S10_S11_S12_S16_S17_S18_S1B_S1C_jS1D_jS1E_S1E_jjS1G_bEUljE0_EEESZ_S10_S11_S18_S1C_S1E_T6_T7_T9_mT8_S1G_bDpT10_ENKUlT_T0_E_clISt17integral_constantIbLb0EES1T_IbLb1EEEEDaS1P_S1Q_EUlS1P_E_NS1_11comp_targetILNS1_3genE9ELNS1_11target_archE1100ELNS1_3gpuE3ELNS1_3repE0EEENS1_30default_config_static_selectorELNS0_4arch9wavefront6targetE0EEEvS12_.has_recursion, 0
	.set _ZN7rocprim17ROCPRIM_400000_NS6detail17trampoline_kernelINS0_13select_configILj256ELj13ELNS0_17block_load_methodE3ELS4_3ELS4_3ELNS0_20block_scan_algorithmE0ELj4294967295EEENS1_25partition_config_selectorILNS1_17partition_subalgoE4EjNS0_10empty_typeEbEEZZNS1_14partition_implILS8_4ELb0ES6_15HIP_vector_typeIjLj2EENS0_17counting_iteratorIjlEEPS9_SG_NS0_5tupleIJPjSI_NS0_16reverse_iteratorISI_EEEEENSH_IJSG_SG_SG_EEES9_SI_JZNS1_25segmented_radix_sort_implINS0_14default_configELb0EPKhPhPKlPlN2at6native12_GLOBAL__N_18offset_tEEE10hipError_tPvRmT1_PNSt15iterator_traitsIS12_E10value_typeET2_T3_PNS13_IS18_E10value_typeET4_jRbjT5_S1E_jjP12ihipStream_tbEUljE_ZNSN_ISO_Lb0ESQ_SR_ST_SU_SY_EESZ_S10_S11_S12_S16_S17_S18_S1B_S1C_jS1D_jS1E_S1E_jjS1G_bEUljE0_EEESZ_S10_S11_S18_S1C_S1E_T6_T7_T9_mT8_S1G_bDpT10_ENKUlT_T0_E_clISt17integral_constantIbLb0EES1T_IbLb1EEEEDaS1P_S1Q_EUlS1P_E_NS1_11comp_targetILNS1_3genE9ELNS1_11target_archE1100ELNS1_3gpuE3ELNS1_3repE0EEENS1_30default_config_static_selectorELNS0_4arch9wavefront6targetE0EEEvS12_.has_indirect_call, 0
	.section	.AMDGPU.csdata,"",@progbits
; Kernel info:
; codeLenInByte = 0
; TotalNumSgprs: 0
; NumVgprs: 0
; ScratchSize: 0
; MemoryBound: 0
; FloatMode: 240
; IeeeMode: 1
; LDSByteSize: 0 bytes/workgroup (compile time only)
; SGPRBlocks: 0
; VGPRBlocks: 0
; NumSGPRsForWavesPerEU: 1
; NumVGPRsForWavesPerEU: 1
; Occupancy: 16
; WaveLimiterHint : 0
; COMPUTE_PGM_RSRC2:SCRATCH_EN: 0
; COMPUTE_PGM_RSRC2:USER_SGPR: 6
; COMPUTE_PGM_RSRC2:TRAP_HANDLER: 0
; COMPUTE_PGM_RSRC2:TGID_X_EN: 1
; COMPUTE_PGM_RSRC2:TGID_Y_EN: 0
; COMPUTE_PGM_RSRC2:TGID_Z_EN: 0
; COMPUTE_PGM_RSRC2:TIDIG_COMP_CNT: 0
	.section	.text._ZN7rocprim17ROCPRIM_400000_NS6detail17trampoline_kernelINS0_13select_configILj256ELj13ELNS0_17block_load_methodE3ELS4_3ELS4_3ELNS0_20block_scan_algorithmE0ELj4294967295EEENS1_25partition_config_selectorILNS1_17partition_subalgoE4EjNS0_10empty_typeEbEEZZNS1_14partition_implILS8_4ELb0ES6_15HIP_vector_typeIjLj2EENS0_17counting_iteratorIjlEEPS9_SG_NS0_5tupleIJPjSI_NS0_16reverse_iteratorISI_EEEEENSH_IJSG_SG_SG_EEES9_SI_JZNS1_25segmented_radix_sort_implINS0_14default_configELb0EPKhPhPKlPlN2at6native12_GLOBAL__N_18offset_tEEE10hipError_tPvRmT1_PNSt15iterator_traitsIS12_E10value_typeET2_T3_PNS13_IS18_E10value_typeET4_jRbjT5_S1E_jjP12ihipStream_tbEUljE_ZNSN_ISO_Lb0ESQ_SR_ST_SU_SY_EESZ_S10_S11_S12_S16_S17_S18_S1B_S1C_jS1D_jS1E_S1E_jjS1G_bEUljE0_EEESZ_S10_S11_S18_S1C_S1E_T6_T7_T9_mT8_S1G_bDpT10_ENKUlT_T0_E_clISt17integral_constantIbLb0EES1T_IbLb1EEEEDaS1P_S1Q_EUlS1P_E_NS1_11comp_targetILNS1_3genE8ELNS1_11target_archE1030ELNS1_3gpuE2ELNS1_3repE0EEENS1_30default_config_static_selectorELNS0_4arch9wavefront6targetE0EEEvS12_,"axG",@progbits,_ZN7rocprim17ROCPRIM_400000_NS6detail17trampoline_kernelINS0_13select_configILj256ELj13ELNS0_17block_load_methodE3ELS4_3ELS4_3ELNS0_20block_scan_algorithmE0ELj4294967295EEENS1_25partition_config_selectorILNS1_17partition_subalgoE4EjNS0_10empty_typeEbEEZZNS1_14partition_implILS8_4ELb0ES6_15HIP_vector_typeIjLj2EENS0_17counting_iteratorIjlEEPS9_SG_NS0_5tupleIJPjSI_NS0_16reverse_iteratorISI_EEEEENSH_IJSG_SG_SG_EEES9_SI_JZNS1_25segmented_radix_sort_implINS0_14default_configELb0EPKhPhPKlPlN2at6native12_GLOBAL__N_18offset_tEEE10hipError_tPvRmT1_PNSt15iterator_traitsIS12_E10value_typeET2_T3_PNS13_IS18_E10value_typeET4_jRbjT5_S1E_jjP12ihipStream_tbEUljE_ZNSN_ISO_Lb0ESQ_SR_ST_SU_SY_EESZ_S10_S11_S12_S16_S17_S18_S1B_S1C_jS1D_jS1E_S1E_jjS1G_bEUljE0_EEESZ_S10_S11_S18_S1C_S1E_T6_T7_T9_mT8_S1G_bDpT10_ENKUlT_T0_E_clISt17integral_constantIbLb0EES1T_IbLb1EEEEDaS1P_S1Q_EUlS1P_E_NS1_11comp_targetILNS1_3genE8ELNS1_11target_archE1030ELNS1_3gpuE2ELNS1_3repE0EEENS1_30default_config_static_selectorELNS0_4arch9wavefront6targetE0EEEvS12_,comdat
	.globl	_ZN7rocprim17ROCPRIM_400000_NS6detail17trampoline_kernelINS0_13select_configILj256ELj13ELNS0_17block_load_methodE3ELS4_3ELS4_3ELNS0_20block_scan_algorithmE0ELj4294967295EEENS1_25partition_config_selectorILNS1_17partition_subalgoE4EjNS0_10empty_typeEbEEZZNS1_14partition_implILS8_4ELb0ES6_15HIP_vector_typeIjLj2EENS0_17counting_iteratorIjlEEPS9_SG_NS0_5tupleIJPjSI_NS0_16reverse_iteratorISI_EEEEENSH_IJSG_SG_SG_EEES9_SI_JZNS1_25segmented_radix_sort_implINS0_14default_configELb0EPKhPhPKlPlN2at6native12_GLOBAL__N_18offset_tEEE10hipError_tPvRmT1_PNSt15iterator_traitsIS12_E10value_typeET2_T3_PNS13_IS18_E10value_typeET4_jRbjT5_S1E_jjP12ihipStream_tbEUljE_ZNSN_ISO_Lb0ESQ_SR_ST_SU_SY_EESZ_S10_S11_S12_S16_S17_S18_S1B_S1C_jS1D_jS1E_S1E_jjS1G_bEUljE0_EEESZ_S10_S11_S18_S1C_S1E_T6_T7_T9_mT8_S1G_bDpT10_ENKUlT_T0_E_clISt17integral_constantIbLb0EES1T_IbLb1EEEEDaS1P_S1Q_EUlS1P_E_NS1_11comp_targetILNS1_3genE8ELNS1_11target_archE1030ELNS1_3gpuE2ELNS1_3repE0EEENS1_30default_config_static_selectorELNS0_4arch9wavefront6targetE0EEEvS12_ ; -- Begin function _ZN7rocprim17ROCPRIM_400000_NS6detail17trampoline_kernelINS0_13select_configILj256ELj13ELNS0_17block_load_methodE3ELS4_3ELS4_3ELNS0_20block_scan_algorithmE0ELj4294967295EEENS1_25partition_config_selectorILNS1_17partition_subalgoE4EjNS0_10empty_typeEbEEZZNS1_14partition_implILS8_4ELb0ES6_15HIP_vector_typeIjLj2EENS0_17counting_iteratorIjlEEPS9_SG_NS0_5tupleIJPjSI_NS0_16reverse_iteratorISI_EEEEENSH_IJSG_SG_SG_EEES9_SI_JZNS1_25segmented_radix_sort_implINS0_14default_configELb0EPKhPhPKlPlN2at6native12_GLOBAL__N_18offset_tEEE10hipError_tPvRmT1_PNSt15iterator_traitsIS12_E10value_typeET2_T3_PNS13_IS18_E10value_typeET4_jRbjT5_S1E_jjP12ihipStream_tbEUljE_ZNSN_ISO_Lb0ESQ_SR_ST_SU_SY_EESZ_S10_S11_S12_S16_S17_S18_S1B_S1C_jS1D_jS1E_S1E_jjS1G_bEUljE0_EEESZ_S10_S11_S18_S1C_S1E_T6_T7_T9_mT8_S1G_bDpT10_ENKUlT_T0_E_clISt17integral_constantIbLb0EES1T_IbLb1EEEEDaS1P_S1Q_EUlS1P_E_NS1_11comp_targetILNS1_3genE8ELNS1_11target_archE1030ELNS1_3gpuE2ELNS1_3repE0EEENS1_30default_config_static_selectorELNS0_4arch9wavefront6targetE0EEEvS12_
	.p2align	8
	.type	_ZN7rocprim17ROCPRIM_400000_NS6detail17trampoline_kernelINS0_13select_configILj256ELj13ELNS0_17block_load_methodE3ELS4_3ELS4_3ELNS0_20block_scan_algorithmE0ELj4294967295EEENS1_25partition_config_selectorILNS1_17partition_subalgoE4EjNS0_10empty_typeEbEEZZNS1_14partition_implILS8_4ELb0ES6_15HIP_vector_typeIjLj2EENS0_17counting_iteratorIjlEEPS9_SG_NS0_5tupleIJPjSI_NS0_16reverse_iteratorISI_EEEEENSH_IJSG_SG_SG_EEES9_SI_JZNS1_25segmented_radix_sort_implINS0_14default_configELb0EPKhPhPKlPlN2at6native12_GLOBAL__N_18offset_tEEE10hipError_tPvRmT1_PNSt15iterator_traitsIS12_E10value_typeET2_T3_PNS13_IS18_E10value_typeET4_jRbjT5_S1E_jjP12ihipStream_tbEUljE_ZNSN_ISO_Lb0ESQ_SR_ST_SU_SY_EESZ_S10_S11_S12_S16_S17_S18_S1B_S1C_jS1D_jS1E_S1E_jjS1G_bEUljE0_EEESZ_S10_S11_S18_S1C_S1E_T6_T7_T9_mT8_S1G_bDpT10_ENKUlT_T0_E_clISt17integral_constantIbLb0EES1T_IbLb1EEEEDaS1P_S1Q_EUlS1P_E_NS1_11comp_targetILNS1_3genE8ELNS1_11target_archE1030ELNS1_3gpuE2ELNS1_3repE0EEENS1_30default_config_static_selectorELNS0_4arch9wavefront6targetE0EEEvS12_,@function
_ZN7rocprim17ROCPRIM_400000_NS6detail17trampoline_kernelINS0_13select_configILj256ELj13ELNS0_17block_load_methodE3ELS4_3ELS4_3ELNS0_20block_scan_algorithmE0ELj4294967295EEENS1_25partition_config_selectorILNS1_17partition_subalgoE4EjNS0_10empty_typeEbEEZZNS1_14partition_implILS8_4ELb0ES6_15HIP_vector_typeIjLj2EENS0_17counting_iteratorIjlEEPS9_SG_NS0_5tupleIJPjSI_NS0_16reverse_iteratorISI_EEEEENSH_IJSG_SG_SG_EEES9_SI_JZNS1_25segmented_radix_sort_implINS0_14default_configELb0EPKhPhPKlPlN2at6native12_GLOBAL__N_18offset_tEEE10hipError_tPvRmT1_PNSt15iterator_traitsIS12_E10value_typeET2_T3_PNS13_IS18_E10value_typeET4_jRbjT5_S1E_jjP12ihipStream_tbEUljE_ZNSN_ISO_Lb0ESQ_SR_ST_SU_SY_EESZ_S10_S11_S12_S16_S17_S18_S1B_S1C_jS1D_jS1E_S1E_jjS1G_bEUljE0_EEESZ_S10_S11_S18_S1C_S1E_T6_T7_T9_mT8_S1G_bDpT10_ENKUlT_T0_E_clISt17integral_constantIbLb0EES1T_IbLb1EEEEDaS1P_S1Q_EUlS1P_E_NS1_11comp_targetILNS1_3genE8ELNS1_11target_archE1030ELNS1_3gpuE2ELNS1_3repE0EEENS1_30default_config_static_selectorELNS0_4arch9wavefront6targetE0EEEvS12_: ; @_ZN7rocprim17ROCPRIM_400000_NS6detail17trampoline_kernelINS0_13select_configILj256ELj13ELNS0_17block_load_methodE3ELS4_3ELS4_3ELNS0_20block_scan_algorithmE0ELj4294967295EEENS1_25partition_config_selectorILNS1_17partition_subalgoE4EjNS0_10empty_typeEbEEZZNS1_14partition_implILS8_4ELb0ES6_15HIP_vector_typeIjLj2EENS0_17counting_iteratorIjlEEPS9_SG_NS0_5tupleIJPjSI_NS0_16reverse_iteratorISI_EEEEENSH_IJSG_SG_SG_EEES9_SI_JZNS1_25segmented_radix_sort_implINS0_14default_configELb0EPKhPhPKlPlN2at6native12_GLOBAL__N_18offset_tEEE10hipError_tPvRmT1_PNSt15iterator_traitsIS12_E10value_typeET2_T3_PNS13_IS18_E10value_typeET4_jRbjT5_S1E_jjP12ihipStream_tbEUljE_ZNSN_ISO_Lb0ESQ_SR_ST_SU_SY_EESZ_S10_S11_S12_S16_S17_S18_S1B_S1C_jS1D_jS1E_S1E_jjS1G_bEUljE0_EEESZ_S10_S11_S18_S1C_S1E_T6_T7_T9_mT8_S1G_bDpT10_ENKUlT_T0_E_clISt17integral_constantIbLb0EES1T_IbLb1EEEEDaS1P_S1Q_EUlS1P_E_NS1_11comp_targetILNS1_3genE8ELNS1_11target_archE1030ELNS1_3gpuE2ELNS1_3repE0EEENS1_30default_config_static_selectorELNS0_4arch9wavefront6targetE0EEEvS12_
; %bb.0:
	s_clause 0x7
	s_load_dwordx2 s[34:35], s[4:5], 0x10
	s_load_dwordx4 s[28:31], s[4:5], 0x28
	s_load_dwordx2 s[14:15], s[4:5], 0x38
	s_load_dwordx4 s[24:27], s[4:5], 0x58
	s_load_dwordx2 s[2:3], s[4:5], 0x68
	s_load_dwordx2 s[36:37], s[4:5], 0x78
	;; [unrolled: 1-line block ×3, first 2 shown]
	s_load_dwordx8 s[16:23], s[4:5], 0x90
	v_cmp_eq_u32_e64 s0, 0, v0
	s_and_saveexec_b32 s1, s0
	s_cbranch_execz .LBB152_4
; %bb.1:
	s_mov_b32 s7, exec_lo
	s_mov_b32 s6, exec_lo
	v_mbcnt_lo_u32_b32 v1, s7, 0
                                        ; implicit-def: $vgpr2
	v_cmpx_eq_u32_e32 0, v1
	s_cbranch_execz .LBB152_3
; %bb.2:
	s_load_dwordx2 s[8:9], s[4:5], 0x88
	s_bcnt1_i32_b32 s7, s7
	v_mov_b32_e32 v2, 0
	v_mov_b32_e32 v3, s7
	s_waitcnt lgkmcnt(0)
	global_atomic_add v2, v2, v3, s[8:9] glc
.LBB152_3:
	s_or_b32 exec_lo, exec_lo, s6
	s_waitcnt vmcnt(0)
	v_readfirstlane_b32 s6, v2
	v_mov_b32_e32 v2, 0
	v_add_nc_u32_e32 v1, s6, v1
	ds_write_b32 v2, v1
.LBB152_4:
	s_or_b32 exec_lo, exec_lo, s1
	v_mov_b32_e32 v1, 0
	s_clause 0x1
	s_load_dword s6, s[4:5], 0x8
	s_load_dword s1, s[4:5], 0x80
	s_waitcnt lgkmcnt(0)
	s_barrier
	buffer_gl0_inv
	ds_read_b32 v5, v1
	s_waitcnt lgkmcnt(0)
	s_barrier
	buffer_gl0_inv
	global_load_dwordx4 v[1:4], v1, s[26:27]
	s_add_i32 s5, s6, s34
	s_mul_i32 s4, s1, 0xd00
	s_add_i32 s1, s1, -1
	s_add_u32 s6, s34, s4
	s_addc_u32 s7, s35, 0
	v_mul_lo_u32 v31, 0xd00, v5
	v_readfirstlane_b32 s27, v5
	v_cmp_gt_u64_e64 s3, s[2:3], s[6:7]
	v_cmp_ne_u32_e32 vcc_lo, s1, v5
	s_cmp_eq_u32 s27, s1
	s_cselect_b32 s26, -1, 0
	v_add3_u32 v5, v31, s5, v0
	s_or_b32 s1, s3, vcc_lo
	s_mov_b32 s3, -1
	s_and_b32 vcc_lo, exec_lo, s1
	v_add_nc_u32_e32 v6, 0x100, v5
	v_add_nc_u32_e32 v7, 0x200, v5
	v_add_nc_u32_e32 v8, 0x300, v5
	v_add_nc_u32_e32 v9, 0x400, v5
	v_add_nc_u32_e32 v10, 0x500, v5
	v_add_nc_u32_e32 v11, 0x600, v5
	v_add_nc_u32_e32 v12, 0x700, v5
	v_add_nc_u32_e32 v13, 0x800, v5
	v_add_nc_u32_e32 v14, 0x900, v5
	v_add_nc_u32_e32 v15, 0xa00, v5
	v_add_nc_u32_e32 v16, 0xb00, v5
	v_add_nc_u32_e32 v17, 0xc00, v5
	s_cbranch_vccz .LBB152_6
; %bb.5:
	v_lshlrev_b32_e32 v18, 2, v0
	s_mov_b32 s3, 0
	ds_write2st64_b32 v18, v5, v6 offset1:4
	ds_write2st64_b32 v18, v7, v8 offset0:8 offset1:12
	ds_write2st64_b32 v18, v9, v10 offset0:16 offset1:20
	;; [unrolled: 1-line block ×5, first 2 shown]
	ds_write_b32 v18, v17 offset:12288
	s_waitcnt vmcnt(0) lgkmcnt(0)
	s_barrier
.LBB152_6:
	s_andn2_b32 vcc_lo, exec_lo, s3
	s_add_i32 s4, s4, s34
	s_cbranch_vccnz .LBB152_8
; %bb.7:
	v_lshlrev_b32_e32 v18, 2, v0
	ds_write2st64_b32 v18, v5, v6 offset1:4
	ds_write2st64_b32 v18, v7, v8 offset0:8 offset1:12
	ds_write2st64_b32 v18, v9, v10 offset0:16 offset1:20
	;; [unrolled: 1-line block ×5, first 2 shown]
	ds_write_b32 v18, v17 offset:12288
	s_waitcnt vmcnt(0) lgkmcnt(0)
	s_barrier
.LBB152_8:
	v_mul_u32_u24_e32 v34, 13, v0
	s_waitcnt vmcnt(0)
	buffer_gl0_inv
	v_cndmask_b32_e64 v32, 0, 1, s1
	s_sub_i32 s33, s2, s4
	s_andn2_b32 vcc_lo, exec_lo, s1
	v_lshlrev_b32_e32 v5, 2, v34
	ds_read_b32 v33, v5 offset:48
	ds_read2_b32 v[13:14], v5 offset0:10 offset1:11
	ds_read2_b32 v[15:16], v5 offset0:8 offset1:9
	;; [unrolled: 1-line block ×4, first 2 shown]
	ds_read2_b32 v[23:24], v5 offset1:1
	ds_read2_b32 v[21:22], v5 offset0:2 offset1:3
	s_waitcnt lgkmcnt(0)
	s_barrier
	buffer_gl0_inv
	s_cbranch_vccnz .LBB152_36
; %bb.9:
	v_add_nc_u32_e32 v5, s17, v23
	v_add_nc_u32_e32 v6, s19, v23
	s_mov_b32 s41, 0
	s_mov_b32 s40, 0
	s_mov_b32 s2, exec_lo
	v_mul_lo_u32 v5, v5, s16
	v_mul_lo_u32 v6, v6, s18
	v_sub_nc_u32_e32 v5, v5, v6
	v_cmp_lt_u32_e32 vcc_lo, s20, v5
	v_cmpx_ge_u32_e64 s20, v5
	s_cbranch_execz .LBB152_11
; %bb.10:
	v_add_nc_u32_e32 v5, s22, v23
	v_add_nc_u32_e32 v6, s38, v23
	v_mul_lo_u32 v5, v5, s21
	v_mul_lo_u32 v6, v6, s23
	v_sub_nc_u32_e32 v5, v5, v6
	v_cmp_lt_u32_e64 s1, s39, v5
	s_and_b32 s40, s1, exec_lo
.LBB152_11:
	s_or_b32 exec_lo, exec_lo, s2
	v_add_nc_u32_e32 v5, s17, v24
	v_add_nc_u32_e32 v6, s19, v24
	s_mov_b32 s3, exec_lo
	v_mul_lo_u32 v5, v5, s16
	v_mul_lo_u32 v6, v6, s18
	v_sub_nc_u32_e32 v5, v5, v6
	v_cmp_lt_u32_e64 s1, s20, v5
	v_cmpx_ge_u32_e64 s20, v5
	s_cbranch_execz .LBB152_13
; %bb.12:
	v_add_nc_u32_e32 v5, s22, v24
	v_add_nc_u32_e32 v6, s38, v24
	v_mul_lo_u32 v5, v5, s21
	v_mul_lo_u32 v6, v6, s23
	v_sub_nc_u32_e32 v5, v5, v6
	v_cmp_lt_u32_e64 s2, s39, v5
	s_and_b32 s41, s2, exec_lo
.LBB152_13:
	s_or_b32 exec_lo, exec_lo, s3
	v_add_nc_u32_e32 v5, s17, v21
	v_add_nc_u32_e32 v6, s19, v21
	s_mov_b32 s43, 0
	s_mov_b32 s42, 0
	s_mov_b32 s4, exec_lo
	v_mul_lo_u32 v5, v5, s16
	v_mul_lo_u32 v6, v6, s18
	v_sub_nc_u32_e32 v5, v5, v6
	v_cmp_lt_u32_e64 s2, s20, v5
	v_cmpx_ge_u32_e64 s20, v5
	s_cbranch_execz .LBB152_15
; %bb.14:
	v_add_nc_u32_e32 v5, s22, v21
	v_add_nc_u32_e32 v6, s38, v21
	v_mul_lo_u32 v5, v5, s21
	v_mul_lo_u32 v6, v6, s23
	v_sub_nc_u32_e32 v5, v5, v6
	v_cmp_lt_u32_e64 s3, s39, v5
	s_and_b32 s42, s3, exec_lo
.LBB152_15:
	s_or_b32 exec_lo, exec_lo, s4
	v_add_nc_u32_e32 v5, s17, v22
	v_add_nc_u32_e32 v6, s19, v22
	s_mov_b32 s5, exec_lo
	v_mul_lo_u32 v5, v5, s16
	v_mul_lo_u32 v6, v6, s18
	v_sub_nc_u32_e32 v5, v5, v6
	v_cmp_lt_u32_e64 s3, s20, v5
	v_cmpx_ge_u32_e64 s20, v5
	s_cbranch_execz .LBB152_17
; %bb.16:
	v_add_nc_u32_e32 v5, s22, v22
	v_add_nc_u32_e32 v6, s38, v22
	v_mul_lo_u32 v5, v5, s21
	v_mul_lo_u32 v6, v6, s23
	v_sub_nc_u32_e32 v5, v5, v6
	v_cmp_lt_u32_e64 s4, s39, v5
	s_and_b32 s43, s4, exec_lo
.LBB152_17:
	s_or_b32 exec_lo, exec_lo, s5
	v_add_nc_u32_e32 v5, s17, v19
	v_add_nc_u32_e32 v6, s19, v19
	s_mov_b32 s45, 0
	s_mov_b32 s44, 0
	s_mov_b32 s6, exec_lo
	v_mul_lo_u32 v5, v5, s16
	v_mul_lo_u32 v6, v6, s18
	v_sub_nc_u32_e32 v5, v5, v6
	v_cmp_lt_u32_e64 s4, s20, v5
	;; [unrolled: 40-line block ×6, first 2 shown]
	v_cmpx_ge_u32_e64 s20, v5
	s_cbranch_execz .LBB152_35
; %bb.34:
	v_add_nc_u32_e32 v5, s22, v33
	v_add_nc_u32_e32 v6, s38, v33
	v_mul_lo_u32 v5, v5, s21
	v_mul_lo_u32 v6, v6, s23
	v_sub_nc_u32_e32 v5, v5, v6
	v_cmp_lt_u32_e64 s13, s39, v5
	s_and_b32 s53, s13, exec_lo
.LBB152_35:
	s_or_b32 exec_lo, exec_lo, s54
	v_cndmask_b32_e64 v6, 0, 1, s1
	v_cndmask_b32_e64 v8, 0, 1, s3
	v_cndmask_b32_e64 v5, 0, 1, vcc_lo
	v_cndmask_b32_e64 v7, 0, 1, s2
	v_cndmask_b32_e64 v10, 0, 1, s5
	v_lshlrev_b16 v6, 8, v6
	v_lshlrev_b16 v8, 8, v8
	v_cndmask_b32_e64 v12, 0, 1, s7
	v_cndmask_b32_e64 v26, 0, 1, s9
	;; [unrolled: 1-line block ×3, first 2 shown]
	v_or_b32_e32 v5, v5, v6
	v_or_b32_sdwa v6, v7, v8 dst_sel:WORD_1 dst_unused:UNUSED_PAD src0_sel:DWORD src1_sel:DWORD
	v_cndmask_b32_e64 v7, 0, 1, s40
	v_cndmask_b32_e64 v9, 0, 1, s4
	;; [unrolled: 1-line block ×11, first 2 shown]
	v_or_b32_sdwa v35, v5, v6 dst_sel:DWORD dst_unused:UNUSED_PAD src0_sel:WORD_0 src1_sel:DWORD
	v_lshlrev_b16 v5, 8, v10
	v_lshlrev_b16 v6, 8, v12
	v_lshlrev_b16 v10, 8, v26
	v_lshlrev_b16 v12, 8, v29
	v_lshlrev_b16 v7, 8, v7
	v_cndmask_b32_e64 v30, 0, 1, s49
	v_cndmask_b32_e64 v37, 0, 1, s47
	;; [unrolled: 1-line block ×5, first 2 shown]
	v_or_b32_e32 v5, v9, v5
	v_or_b32_sdwa v6, v11, v6 dst_sel:WORD_1 dst_unused:UNUSED_PAD src0_sel:DWORD src1_sel:DWORD
	v_or_b32_e32 v9, v25, v10
	v_or_b32_sdwa v10, v27, v12 dst_sel:WORD_1 dst_unused:UNUSED_PAD src0_sel:DWORD src1_sel:DWORD
	v_or_b32_e32 v7, v8, v7
	v_lshlrev_b16 v8, 8, v44
	v_lshlrev_b16 v11, 8, v41
	;; [unrolled: 1-line block ×5, first 2 shown]
	v_or_b32_sdwa v8, v45, v8 dst_sel:WORD_1 dst_unused:UNUSED_PAD src0_sel:DWORD src1_sel:DWORD
	v_or_b32_e32 v11, v43, v11
	v_or_b32_sdwa v12, v40, v12 dst_sel:WORD_1 dst_unused:UNUSED_PAD src0_sel:DWORD src1_sel:DWORD
	v_or_b32_e32 v25, v37, v25
	v_or_b32_sdwa v26, v30, v26 dst_sel:WORD_1 dst_unused:UNUSED_PAD src0_sel:DWORD src1_sel:DWORD
	v_cndmask_b32_e64 v39, 0, 1, s51
	v_cndmask_b32_e64 v42, 0, 1, s53
	v_or_b32_sdwa v37, v5, v6 dst_sel:DWORD dst_unused:UNUSED_PAD src0_sel:WORD_0 src1_sel:DWORD
	v_or_b32_sdwa v40, v9, v10 dst_sel:DWORD dst_unused:UNUSED_PAD src0_sel:WORD_0 src1_sel:DWORD
	;; [unrolled: 1-line block ×5, first 2 shown]
	s_and_b32 vcc_lo, exec_lo, s50
	s_add_i32 s5, s33, 0xd00
	s_cbranch_vccnz .LBB152_37
	s_branch .LBB152_114
.LBB152_36:
                                        ; implicit-def: $vgpr42
                                        ; implicit-def: $vgpr39
                                        ; implicit-def: $vgpr38
                                        ; implicit-def: $vgpr36
                                        ; implicit-def: $vgpr41
                                        ; implicit-def: $vgpr40
                                        ; implicit-def: $vgpr37
                                        ; implicit-def: $vgpr35
	s_add_i32 s5, s33, 0xd00
	s_cbranch_execz .LBB152_114
.LBB152_37:
	v_mov_b32_e32 v6, 0
	v_mov_b32_e32 v5, 0
	s_mov_b32 s2, exec_lo
	v_cmpx_gt_u32_e64 s5, v34
	s_cbranch_execz .LBB152_41
; %bb.38:
	v_add_nc_u32_e32 v5, s17, v23
	v_add_nc_u32_e32 v6, s19, v23
	s_mov_b32 s4, 0
	s_mov_b32 s3, exec_lo
	v_mul_lo_u32 v5, v5, s16
	v_mul_lo_u32 v6, v6, s18
	v_sub_nc_u32_e32 v5, v5, v6
	v_cmp_lt_u32_e32 vcc_lo, s20, v5
	v_cmpx_ge_u32_e64 s20, v5
	s_cbranch_execz .LBB152_40
; %bb.39:
	v_add_nc_u32_e32 v5, s22, v23
	v_add_nc_u32_e32 v6, s38, v23
	v_mul_lo_u32 v5, v5, s21
	v_mul_lo_u32 v6, v6, s23
	v_sub_nc_u32_e32 v5, v5, v6
	v_cmp_lt_u32_e64 s1, s39, v5
	s_and_b32 s4, s1, exec_lo
.LBB152_40:
	s_or_b32 exec_lo, exec_lo, s3
	v_cndmask_b32_e64 v6, 0, 1, s4
	v_cndmask_b32_e64 v5, 0, 1, vcc_lo
.LBB152_41:
	s_or_b32 exec_lo, exec_lo, s2
	v_add_nc_u32_e32 v7, 1, v34
	v_lshlrev_b16 v25, 8, v6
	v_and_b32_e32 v10, 0xff, v5
	v_lshlrev_b16 v11, 8, 0
                                        ; implicit-def: $vgpr9
                                        ; implicit-def: $vgpr12
                                        ; implicit-def: $vgpr6
                                        ; implicit-def: $vgpr8
	v_cmp_le_u32_e32 vcc_lo, s5, v7
                                        ; implicit-def: $vgpr7
	s_and_saveexec_b32 s1, vcc_lo
	s_xor_b32 s1, exec_lo, s1
	s_cbranch_execz .LBB152_43
; %bb.42:
	v_mov_b32_e32 v5, 8
	v_mov_b32_e32 v6, 0xff
	;; [unrolled: 1-line block ×3, first 2 shown]
	v_and_b32_e32 v8, 0xffff, v11
	v_and_b32_e32 v7, 0xffff, v11
	v_lshrrev_b32_sdwa v5, v5, v25 dst_sel:BYTE_1 dst_unused:UNUSED_PAD src0_sel:DWORD src1_sel:WORD_0
	v_and_b32_sdwa v6, v25, v6 dst_sel:DWORD dst_unused:UNUSED_PAD src0_sel:WORD_0 src1_sel:DWORD
                                        ; implicit-def: $vgpr25
	v_or_b32_e32 v5, v6, v5
	v_and_b32_e32 v6, 0xffff, v11
                                        ; implicit-def: $vgpr11
	v_and_b32_e32 v12, 0xffff, v5
                                        ; implicit-def: $vgpr5
.LBB152_43:
	s_andn2_saveexec_b32 s2, s1
	s_cbranch_execz .LBB152_47
; %bb.44:
	v_add_nc_u32_e32 v6, s17, v24
	v_add_nc_u32_e32 v7, s19, v24
	s_mov_b32 s3, 0
	s_mov_b32 s4, exec_lo
	v_mul_lo_u32 v6, v6, s16
	v_mul_lo_u32 v7, v7, s18
	v_sub_nc_u32_e32 v6, v6, v7
	v_cmp_lt_u32_e32 vcc_lo, s20, v6
	v_cmpx_ge_u32_e64 s20, v6
	s_cbranch_execz .LBB152_46
; %bb.45:
	v_add_nc_u32_e32 v6, s22, v24
	v_add_nc_u32_e32 v7, s38, v24
	v_mul_lo_u32 v6, v6, s21
	v_mul_lo_u32 v7, v7, s23
	v_sub_nc_u32_e32 v6, v6, v7
	v_cmp_lt_u32_e64 s1, s39, v6
	s_and_b32 s3, s1, exec_lo
.LBB152_46:
	s_or_b32 exec_lo, exec_lo, s4
	v_mov_b32_e32 v6, 0xff
	v_mov_b32_e32 v7, 8
	v_cndmask_b32_e64 v8, 0, 1, vcc_lo
	v_mov_b32_e32 v9, 0
	v_and_b32_sdwa v6, v25, v6 dst_sel:DWORD dst_unused:UNUSED_PAD src0_sel:WORD_0 src1_sel:DWORD
	v_lshrrev_b32_sdwa v7, v7, v25 dst_sel:BYTE_1 dst_unused:UNUSED_PAD src0_sel:DWORD src1_sel:WORD_0
	v_lshlrev_b16 v8, 8, v8
	v_or_b32_e32 v6, v6, v7
	v_cndmask_b32_e64 v7, 0, 1, s3
	v_or_b32_sdwa v5, v5, v8 dst_sel:DWORD dst_unused:UNUSED_PAD src0_sel:BYTE_0 src1_sel:DWORD
	v_and_b32_e32 v8, 0xffff, v11
	v_and_b32_e32 v12, 0xffff, v6
	v_mov_b32_e32 v6, 0
	v_and_b32_e32 v10, 0xffff, v5
	v_lshl_or_b32 v12, v7, 16, v12
	v_and_b32_e32 v7, 0xffff, v11
.LBB152_47:
	s_or_b32 exec_lo, exec_lo, s2
	v_add_nc_u32_e32 v5, 2, v34
                                        ; implicit-def: $vgpr11
	v_cmp_le_u32_e32 vcc_lo, s5, v5
                                        ; implicit-def: $vgpr5
	s_and_saveexec_b32 s1, vcc_lo
	s_xor_b32 s1, exec_lo, s1
	s_cbranch_execz .LBB152_49
; %bb.48:
	v_lshrrev_b32_e32 v5, 24, v10
	v_mov_b32_e32 v11, 8
	v_and_b32_e32 v25, 0xff0000, v12
	v_perm_b32 v8, v8, v8, 0x3060504
	v_perm_b32 v5, v5, v10, 0x40c0100
	v_lshrrev_b32_sdwa v10, v11, v5 dst_sel:BYTE_1 dst_unused:UNUSED_PAD src0_sel:DWORD src1_sel:DWORD
	v_or_b32_sdwa v10, v5, v10 dst_sel:DWORD dst_unused:UNUSED_PAD src0_sel:BYTE_0 src1_sel:DWORD
	v_and_b32_e32 v10, 0xffff, v10
	v_and_or_b32 v11, 0xff000000, v5, v10
	v_perm_b32 v5, v12, v25, 0x3020504
                                        ; implicit-def: $vgpr10
                                        ; implicit-def: $vgpr12
.LBB152_49:
	s_andn2_saveexec_b32 s2, s1
	s_cbranch_execz .LBB152_53
; %bb.50:
	v_add_nc_u32_e32 v5, s17, v21
	v_add_nc_u32_e32 v11, s19, v21
	s_mov_b32 s3, 0
	s_mov_b32 s4, exec_lo
	v_mul_lo_u32 v5, v5, s16
	v_mul_lo_u32 v11, v11, s18
	v_sub_nc_u32_e32 v5, v5, v11
	v_cmp_lt_u32_e32 vcc_lo, s20, v5
	v_cmpx_ge_u32_e64 s20, v5
	s_cbranch_execz .LBB152_52
; %bb.51:
	v_add_nc_u32_e32 v5, s22, v21
	v_add_nc_u32_e32 v11, s38, v21
	v_mul_lo_u32 v5, v5, s21
	v_mul_lo_u32 v11, v11, s23
	v_sub_nc_u32_e32 v5, v5, v11
	v_cmp_lt_u32_e64 s1, s39, v5
	s_and_b32 s3, s1, exec_lo
.LBB152_52:
	s_or_b32 exec_lo, exec_lo, s4
	v_mov_b32_e32 v5, 8
	v_mov_b32_e32 v11, 24
	v_cndmask_b32_e64 v26, 0, 1, s3
	v_mov_b32_e32 v27, 0xff
	v_cndmask_b32_e64 v25, 0, 1, vcc_lo
	v_lshrrev_b32_sdwa v28, v5, v10 dst_sel:BYTE_1 dst_unused:UNUSED_PAD src0_sel:DWORD src1_sel:DWORD
	v_lshrrev_b32_sdwa v11, v11, v10 dst_sel:BYTE_1 dst_unused:UNUSED_PAD src0_sel:DWORD src1_sel:DWORD
	;; [unrolled: 1-line block ×3, first 2 shown]
	v_lshlrev_b16 v26, 8, v26
	v_and_b32_sdwa v27, v12, v27 dst_sel:DWORD dst_unused:UNUSED_PAD src0_sel:WORD_1 src1_sel:DWORD
	v_or_b32_sdwa v10, v10, v28 dst_sel:DWORD dst_unused:UNUSED_PAD src0_sel:BYTE_0 src1_sel:DWORD
	v_or_b32_sdwa v11, v25, v11 dst_sel:WORD_1 dst_unused:UNUSED_PAD src0_sel:DWORD src1_sel:DWORD
	v_or_b32_sdwa v5, v12, v5 dst_sel:DWORD dst_unused:UNUSED_PAD src0_sel:BYTE_0 src1_sel:DWORD
	v_or_b32_sdwa v12, v27, v26 dst_sel:WORD_1 dst_unused:UNUSED_PAD src0_sel:DWORD src1_sel:DWORD
	v_or_b32_sdwa v11, v10, v11 dst_sel:DWORD dst_unused:UNUSED_PAD src0_sel:WORD_0 src1_sel:DWORD
	v_or_b32_sdwa v5, v5, v12 dst_sel:DWORD dst_unused:UNUSED_PAD src0_sel:WORD_0 src1_sel:DWORD
.LBB152_53:
	s_or_b32 exec_lo, exec_lo, s2
	v_add_nc_u32_e32 v10, 3, v34
                                        ; implicit-def: $vgpr35
	v_cmp_le_u32_e32 vcc_lo, s5, v10
                                        ; implicit-def: $vgpr10
	s_and_saveexec_b32 s1, vcc_lo
	s_xor_b32 s1, exec_lo, s1
	s_cbranch_execz .LBB152_55
; %bb.54:
	v_mov_b32_e32 v10, 24
	v_mov_b32_e32 v12, 0xff
	;; [unrolled: 1-line block ×3, first 2 shown]
	v_and_b32_e32 v26, 0xff0000, v11
	v_perm_b32 v8, v8, v8, 0x3060504
	v_lshrrev_b32_sdwa v10, v10, v9 dst_sel:BYTE_1 dst_unused:UNUSED_PAD src0_sel:DWORD src1_sel:DWORD
	v_and_b32_sdwa v12, v9, v12 dst_sel:DWORD dst_unused:UNUSED_PAD src0_sel:WORD_1 src1_sel:DWORD
	v_lshrrev_b32_sdwa v9, v25, v9 dst_sel:BYTE_1 dst_unused:UNUSED_PAD src0_sel:DWORD src1_sel:DWORD
	v_perm_b32 v35, v11, v26, 0x3020504
	v_perm_b32 v7, v7, v7, 0x3060504
                                        ; implicit-def: $vgpr11
	v_or_b32_sdwa v10, v12, v10 dst_sel:WORD_1 dst_unused:UNUSED_PAD src0_sel:DWORD src1_sel:DWORD
	v_or_b32_sdwa v10, v9, v10 dst_sel:DWORD dst_unused:UNUSED_PAD src0_sel:WORD_0 src1_sel:DWORD
                                        ; implicit-def: $vgpr9
.LBB152_55:
	s_andn2_saveexec_b32 s2, s1
	s_cbranch_execz .LBB152_59
; %bb.56:
	v_add_nc_u32_e32 v10, s17, v22
	v_add_nc_u32_e32 v12, s19, v22
	s_mov_b32 s3, 0
	s_mov_b32 s4, exec_lo
	v_mul_lo_u32 v10, v10, s16
	v_mul_lo_u32 v12, v12, s18
	v_sub_nc_u32_e32 v10, v10, v12
	v_cmp_lt_u32_e32 vcc_lo, s20, v10
	v_cmpx_ge_u32_e64 s20, v10
	s_cbranch_execz .LBB152_58
; %bb.57:
	v_add_nc_u32_e32 v10, s22, v22
	v_add_nc_u32_e32 v12, s38, v22
	v_mul_lo_u32 v10, v10, s21
	v_mul_lo_u32 v12, v12, s23
	v_sub_nc_u32_e32 v10, v10, v12
	v_cmp_lt_u32_e64 s1, s39, v10
	s_and_b32 s3, s1, exec_lo
.LBB152_58:
	s_or_b32 exec_lo, exec_lo, s4
	v_mov_b32_e32 v10, 8
	v_cndmask_b32_e64 v12, 0, 1, vcc_lo
	v_mov_b32_e32 v25, 0xff
	v_mov_b32_e32 v26, 24
	v_cndmask_b32_e64 v27, 0, 1, s3
	v_lshrrev_b32_sdwa v28, v10, v11 dst_sel:BYTE_1 dst_unused:UNUSED_PAD src0_sel:DWORD src1_sel:DWORD
	v_lshlrev_b16 v12, 8, v12
	v_and_b32_sdwa v29, v11, v25 dst_sel:DWORD dst_unused:UNUSED_PAD src0_sel:WORD_1 src1_sel:DWORD
	v_lshrrev_b32_sdwa v26, v26, v9 dst_sel:BYTE_1 dst_unused:UNUSED_PAD src0_sel:DWORD src1_sel:DWORD
	v_and_b32_sdwa v25, v9, v25 dst_sel:DWORD dst_unused:UNUSED_PAD src0_sel:WORD_1 src1_sel:DWORD
	v_lshrrev_b32_sdwa v9, v10, v9 dst_sel:BYTE_1 dst_unused:UNUSED_PAD src0_sel:DWORD src1_sel:DWORD
	v_or_b32_sdwa v10, v11, v28 dst_sel:DWORD dst_unused:UNUSED_PAD src0_sel:BYTE_0 src1_sel:DWORD
	v_or_b32_sdwa v11, v29, v12 dst_sel:WORD_1 dst_unused:UNUSED_PAD src0_sel:DWORD src1_sel:DWORD
	v_or_b32_sdwa v12, v25, v26 dst_sel:WORD_1 dst_unused:UNUSED_PAD src0_sel:DWORD src1_sel:DWORD
	v_or_b32_e32 v9, v27, v9
	v_or_b32_sdwa v35, v10, v11 dst_sel:DWORD dst_unused:UNUSED_PAD src0_sel:WORD_0 src1_sel:DWORD
	v_or_b32_sdwa v10, v9, v12 dst_sel:DWORD dst_unused:UNUSED_PAD src0_sel:WORD_0 src1_sel:DWORD
.LBB152_59:
	s_or_b32 exec_lo, exec_lo, s2
	v_add_nc_u32_e32 v9, 4, v34
                                        ; implicit-def: $vgpr11
	v_cmp_le_u32_e32 vcc_lo, s5, v9
                                        ; implicit-def: $vgpr9
	s_and_saveexec_b32 s1, vcc_lo
	s_xor_b32 s1, exec_lo, s1
	s_cbranch_execz .LBB152_61
; %bb.60:
	v_mov_b32_e32 v9, 24
	v_mov_b32_e32 v11, 0xff
	;; [unrolled: 1-line block ×3, first 2 shown]
	v_perm_b32 v7, v7, v7, 0x3060504
	v_lshrrev_b32_sdwa v25, v9, v8 dst_sel:BYTE_1 dst_unused:UNUSED_PAD src0_sel:DWORD src1_sel:DWORD
	v_and_b32_sdwa v26, v8, v11 dst_sel:DWORD dst_unused:UNUSED_PAD src0_sel:WORD_1 src1_sel:DWORD
	v_lshrrev_b32_sdwa v9, v9, v10 dst_sel:BYTE_1 dst_unused:UNUSED_PAD src0_sel:DWORD src1_sel:DWORD
	v_and_b32_sdwa v11, v10, v11 dst_sel:DWORD dst_unused:UNUSED_PAD src0_sel:WORD_1 src1_sel:DWORD
	v_lshrrev_b32_sdwa v8, v12, v8 dst_sel:BYTE_1 dst_unused:UNUSED_PAD src0_sel:DWORD src1_sel:DWORD
	v_or_b32_sdwa v12, v26, v25 dst_sel:WORD_1 dst_unused:UNUSED_PAD src0_sel:DWORD src1_sel:DWORD
	v_or_b32_e32 v11, v11, v9
	v_or_b32_sdwa v9, v8, v12 dst_sel:DWORD dst_unused:UNUSED_PAD src0_sel:WORD_0 src1_sel:DWORD
                                        ; implicit-def: $vgpr8
	v_perm_b32 v11, v11, v10, 0x5040c00
                                        ; implicit-def: $vgpr10
.LBB152_61:
	s_andn2_saveexec_b32 s2, s1
	s_cbranch_execz .LBB152_65
; %bb.62:
	v_add_nc_u32_e32 v9, s17, v19
	v_add_nc_u32_e32 v11, s19, v19
	s_mov_b32 s3, 0
	s_mov_b32 s4, exec_lo
	v_mul_lo_u32 v9, v9, s16
	v_mul_lo_u32 v11, v11, s18
	v_sub_nc_u32_e32 v9, v9, v11
	v_cmp_lt_u32_e32 vcc_lo, s20, v9
	v_cmpx_ge_u32_e64 s20, v9
	s_cbranch_execz .LBB152_64
; %bb.63:
	v_add_nc_u32_e32 v9, s22, v19
	v_add_nc_u32_e32 v11, s38, v19
	v_mul_lo_u32 v9, v9, s21
	v_mul_lo_u32 v11, v11, s23
	v_sub_nc_u32_e32 v9, v9, v11
	v_cmp_lt_u32_e64 s1, s39, v9
	s_and_b32 s3, s1, exec_lo
.LBB152_64:
	s_or_b32 exec_lo, exec_lo, s4
	v_mov_b32_e32 v9, 24
	v_mov_b32_e32 v11, 0xff
	;; [unrolled: 1-line block ×3, first 2 shown]
	v_cndmask_b32_e64 v25, 0, 1, s3
	v_cndmask_b32_e64 v26, 0, 1, vcc_lo
	v_lshrrev_b32_sdwa v27, v9, v8 dst_sel:BYTE_1 dst_unused:UNUSED_PAD src0_sel:DWORD src1_sel:DWORD
	v_and_b32_sdwa v28, v8, v11 dst_sel:DWORD dst_unused:UNUSED_PAD src0_sel:WORD_1 src1_sel:DWORD
	v_lshrrev_b32_sdwa v8, v12, v8 dst_sel:BYTE_1 dst_unused:UNUSED_PAD src0_sel:DWORD src1_sel:DWORD
	v_lshlrev_b16 v12, 8, v25
	v_lshrrev_b32_sdwa v9, v9, v10 dst_sel:BYTE_1 dst_unused:UNUSED_PAD src0_sel:DWORD src1_sel:DWORD
	v_and_b32_sdwa v11, v10, v11 dst_sel:DWORD dst_unused:UNUSED_PAD src0_sel:WORD_1 src1_sel:DWORD
	v_or_b32_sdwa v25, v28, v27 dst_sel:WORD_1 dst_unused:UNUSED_PAD src0_sel:DWORD src1_sel:DWORD
	v_or_b32_e32 v8, v26, v8
	v_or_b32_sdwa v10, v10, v12 dst_sel:DWORD dst_unused:UNUSED_PAD src0_sel:BYTE_0 src1_sel:DWORD
	v_or_b32_sdwa v11, v11, v9 dst_sel:WORD_1 dst_unused:UNUSED_PAD src0_sel:DWORD src1_sel:DWORD
	v_or_b32_sdwa v9, v8, v25 dst_sel:DWORD dst_unused:UNUSED_PAD src0_sel:WORD_0 src1_sel:DWORD
	v_or_b32_sdwa v11, v10, v11 dst_sel:DWORD dst_unused:UNUSED_PAD src0_sel:WORD_0 src1_sel:DWORD
.LBB152_65:
	s_or_b32 exec_lo, exec_lo, s2
	v_add_nc_u32_e32 v8, 5, v34
                                        ; implicit-def: $vgpr10
	v_cmp_le_u32_e32 vcc_lo, s5, v8
                                        ; implicit-def: $vgpr8
	s_and_saveexec_b32 s1, vcc_lo
	s_xor_b32 s1, exec_lo, s1
	s_cbranch_execz .LBB152_67
; %bb.66:
	v_lshrrev_b32_e32 v8, 24, v11
	v_mov_b32_e32 v10, 8
	v_mov_b32_e32 v12, 0xff
	v_perm_b32 v7, v7, v7, 0x3060504
	v_perm_b32 v8, v8, v11, 0x40c0100
	v_mov_b32_e32 v11, 24
	v_and_b32_sdwa v12, v9, v12 dst_sel:DWORD dst_unused:UNUSED_PAD src0_sel:WORD_1 src1_sel:DWORD
	v_lshrrev_b32_sdwa v10, v10, v8 dst_sel:BYTE_1 dst_unused:UNUSED_PAD src0_sel:DWORD src1_sel:DWORD
	v_lshrrev_b32_sdwa v11, v11, v9 dst_sel:BYTE_1 dst_unused:UNUSED_PAD src0_sel:DWORD src1_sel:DWORD
	v_or_b32_sdwa v10, v8, v10 dst_sel:DWORD dst_unused:UNUSED_PAD src0_sel:BYTE_0 src1_sel:DWORD
	v_or_b32_e32 v11, v12, v11
	v_and_b32_e32 v12, 0xffff, v10
	v_perm_b32 v10, v11, v9, 0x5040c00
                                        ; implicit-def: $vgpr9
                                        ; implicit-def: $vgpr11
	v_and_or_b32 v8, 0xff000000, v8, v12
.LBB152_67:
	s_andn2_saveexec_b32 s2, s1
	s_cbranch_execz .LBB152_71
; %bb.68:
	v_add_nc_u32_e32 v8, s17, v20
	v_add_nc_u32_e32 v10, s19, v20
	s_mov_b32 s3, 0
	s_mov_b32 s4, exec_lo
	v_mul_lo_u32 v8, v8, s16
	v_mul_lo_u32 v10, v10, s18
	v_sub_nc_u32_e32 v8, v8, v10
	v_cmp_lt_u32_e32 vcc_lo, s20, v8
	v_cmpx_ge_u32_e64 s20, v8
	s_cbranch_execz .LBB152_70
; %bb.69:
	v_add_nc_u32_e32 v8, s22, v20
	v_add_nc_u32_e32 v10, s38, v20
	v_mul_lo_u32 v8, v8, s21
	v_mul_lo_u32 v10, v10, s23
	v_sub_nc_u32_e32 v8, v8, v10
	v_cmp_lt_u32_e64 s1, s39, v8
	s_and_b32 s3, s1, exec_lo
.LBB152_70:
	s_or_b32 exec_lo, exec_lo, s4
	v_cndmask_b32_e64 v8, 0, 1, vcc_lo
	v_mov_b32_e32 v10, 24
	v_mov_b32_e32 v12, 0xff
	;; [unrolled: 1-line block ×3, first 2 shown]
	v_cndmask_b32_e64 v26, 0, 1, s3
	v_lshlrev_b16 v8, 8, v8
	v_lshrrev_b32_sdwa v27, v10, v9 dst_sel:BYTE_1 dst_unused:UNUSED_PAD src0_sel:DWORD src1_sel:DWORD
	v_and_b32_sdwa v12, v9, v12 dst_sel:DWORD dst_unused:UNUSED_PAD src0_sel:WORD_1 src1_sel:DWORD
	v_lshrrev_b32_sdwa v25, v25, v11 dst_sel:BYTE_1 dst_unused:UNUSED_PAD src0_sel:DWORD src1_sel:DWORD
	v_lshrrev_b32_sdwa v10, v10, v11 dst_sel:BYTE_1 dst_unused:UNUSED_PAD src0_sel:DWORD src1_sel:DWORD
	v_or_b32_sdwa v8, v9, v8 dst_sel:DWORD dst_unused:UNUSED_PAD src0_sel:BYTE_0 src1_sel:DWORD
	v_or_b32_sdwa v9, v12, v27 dst_sel:WORD_1 dst_unused:UNUSED_PAD src0_sel:DWORD src1_sel:DWORD
	v_or_b32_sdwa v11, v11, v25 dst_sel:DWORD dst_unused:UNUSED_PAD src0_sel:BYTE_0 src1_sel:DWORD
	v_or_b32_sdwa v12, v26, v10 dst_sel:WORD_1 dst_unused:UNUSED_PAD src0_sel:DWORD src1_sel:DWORD
	v_or_b32_sdwa v10, v8, v9 dst_sel:DWORD dst_unused:UNUSED_PAD src0_sel:WORD_0 src1_sel:DWORD
	v_or_b32_sdwa v8, v11, v12 dst_sel:DWORD dst_unused:UNUSED_PAD src0_sel:WORD_0 src1_sel:DWORD
.LBB152_71:
	s_or_b32 exec_lo, exec_lo, s2
	v_add_nc_u32_e32 v9, 6, v34
                                        ; implicit-def: $vgpr36
	v_cmp_le_u32_e32 vcc_lo, s5, v9
                                        ; implicit-def: $vgpr9
	s_and_saveexec_b32 s1, vcc_lo
	s_xor_b32 s1, exec_lo, s1
	s_cbranch_execz .LBB152_73
; %bb.72:
	v_lshrrev_b32_e32 v9, 24, v10
	v_mov_b32_e32 v11, 8
	v_perm_b32 v7, v7, v7, 0x3060504
	v_perm_b32 v9, v9, v10, 0x40c0100
	v_lshrrev_b32_sdwa v10, v11, v9 dst_sel:BYTE_1 dst_unused:UNUSED_PAD src0_sel:DWORD src1_sel:DWORD
	v_and_b32_e32 v11, 0xff0000, v8
	v_or_b32_sdwa v10, v9, v10 dst_sel:DWORD dst_unused:UNUSED_PAD src0_sel:BYTE_0 src1_sel:DWORD
	v_perm_b32 v36, v8, v11, 0x3020504
                                        ; implicit-def: $vgpr8
	v_and_b32_e32 v10, 0xffff, v10
	v_and_or_b32 v9, 0xff000000, v9, v10
                                        ; implicit-def: $vgpr10
.LBB152_73:
	s_andn2_saveexec_b32 s2, s1
	s_cbranch_execz .LBB152_77
; %bb.74:
	v_add_nc_u32_e32 v9, s17, v17
	v_add_nc_u32_e32 v11, s19, v17
	s_mov_b32 s3, 0
	s_mov_b32 s4, exec_lo
	v_mul_lo_u32 v9, v9, s16
	v_mul_lo_u32 v11, v11, s18
	v_sub_nc_u32_e32 v9, v9, v11
	v_cmp_lt_u32_e32 vcc_lo, s20, v9
	v_cmpx_ge_u32_e64 s20, v9
	s_cbranch_execz .LBB152_76
; %bb.75:
	v_add_nc_u32_e32 v9, s22, v17
	v_add_nc_u32_e32 v11, s38, v17
	v_mul_lo_u32 v9, v9, s21
	v_mul_lo_u32 v11, v11, s23
	v_sub_nc_u32_e32 v9, v9, v11
	v_cmp_lt_u32_e64 s1, s39, v9
	s_and_b32 s3, s1, exec_lo
.LBB152_76:
	s_or_b32 exec_lo, exec_lo, s4
	v_mov_b32_e32 v9, 8
	v_mov_b32_e32 v11, 24
	v_cndmask_b32_e64 v25, 0, 1, s3
	v_mov_b32_e32 v26, 0xff
	v_cndmask_b32_e64 v12, 0, 1, vcc_lo
	v_lshrrev_b32_sdwa v27, v9, v10 dst_sel:BYTE_1 dst_unused:UNUSED_PAD src0_sel:DWORD src1_sel:DWORD
	v_lshrrev_b32_sdwa v11, v11, v10 dst_sel:BYTE_1 dst_unused:UNUSED_PAD src0_sel:DWORD src1_sel:DWORD
	v_lshrrev_b32_sdwa v9, v9, v8 dst_sel:BYTE_1 dst_unused:UNUSED_PAD src0_sel:DWORD src1_sel:DWORD
	v_lshlrev_b16 v25, 8, v25
	v_and_b32_sdwa v26, v8, v26 dst_sel:DWORD dst_unused:UNUSED_PAD src0_sel:WORD_1 src1_sel:DWORD
	v_or_b32_sdwa v10, v10, v27 dst_sel:DWORD dst_unused:UNUSED_PAD src0_sel:BYTE_0 src1_sel:DWORD
	v_or_b32_sdwa v11, v12, v11 dst_sel:WORD_1 dst_unused:UNUSED_PAD src0_sel:DWORD src1_sel:DWORD
	v_or_b32_sdwa v8, v8, v9 dst_sel:DWORD dst_unused:UNUSED_PAD src0_sel:BYTE_0 src1_sel:DWORD
	v_or_b32_sdwa v12, v26, v25 dst_sel:WORD_1 dst_unused:UNUSED_PAD src0_sel:DWORD src1_sel:DWORD
	v_or_b32_sdwa v9, v10, v11 dst_sel:DWORD dst_unused:UNUSED_PAD src0_sel:WORD_0 src1_sel:DWORD
	v_or_b32_sdwa v36, v8, v12 dst_sel:DWORD dst_unused:UNUSED_PAD src0_sel:WORD_0 src1_sel:DWORD
.LBB152_77:
	s_or_b32 exec_lo, exec_lo, s2
	v_add_nc_u32_e32 v8, 7, v34
                                        ; implicit-def: $vgpr37
	v_cmp_le_u32_e32 vcc_lo, s5, v8
                                        ; implicit-def: $vgpr8
	s_and_saveexec_b32 s1, vcc_lo
	s_xor_b32 s1, exec_lo, s1
	s_cbranch_execz .LBB152_79
; %bb.78:
	v_mov_b32_e32 v8, 24
	v_mov_b32_e32 v10, 0xff
	;; [unrolled: 1-line block ×3, first 2 shown]
	v_lshrrev_b32_sdwa v8, v8, v7 dst_sel:BYTE_1 dst_unused:UNUSED_PAD src0_sel:DWORD src1_sel:DWORD
	v_and_b32_sdwa v10, v7, v10 dst_sel:DWORD dst_unused:UNUSED_PAD src0_sel:WORD_1 src1_sel:DWORD
	v_lshrrev_b32_sdwa v7, v11, v7 dst_sel:BYTE_1 dst_unused:UNUSED_PAD src0_sel:DWORD src1_sel:DWORD
	v_and_b32_e32 v11, 0xff0000, v9
	v_or_b32_sdwa v8, v10, v8 dst_sel:WORD_1 dst_unused:UNUSED_PAD src0_sel:DWORD src1_sel:DWORD
	v_perm_b32 v37, v9, v11, 0x3020504
                                        ; implicit-def: $vgpr9
	v_or_b32_sdwa v8, v7, v8 dst_sel:DWORD dst_unused:UNUSED_PAD src0_sel:WORD_0 src1_sel:DWORD
                                        ; implicit-def: $vgpr7
.LBB152_79:
	s_andn2_saveexec_b32 s2, s1
	s_cbranch_execz .LBB152_83
; %bb.80:
	v_add_nc_u32_e32 v8, s17, v18
	v_add_nc_u32_e32 v10, s19, v18
	s_mov_b32 s3, 0
	s_mov_b32 s4, exec_lo
	v_mul_lo_u32 v8, v8, s16
	v_mul_lo_u32 v10, v10, s18
	v_sub_nc_u32_e32 v8, v8, v10
	v_cmp_lt_u32_e32 vcc_lo, s20, v8
	v_cmpx_ge_u32_e64 s20, v8
	s_cbranch_execz .LBB152_82
; %bb.81:
	v_add_nc_u32_e32 v8, s22, v18
	v_add_nc_u32_e32 v10, s38, v18
	v_mul_lo_u32 v8, v8, s21
	v_mul_lo_u32 v10, v10, s23
	v_sub_nc_u32_e32 v8, v8, v10
	v_cmp_lt_u32_e64 s1, s39, v8
	s_and_b32 s3, s1, exec_lo
.LBB152_82:
	s_or_b32 exec_lo, exec_lo, s4
	v_mov_b32_e32 v8, 8
	v_cndmask_b32_e64 v10, 0, 1, vcc_lo
	v_mov_b32_e32 v11, 0xff
	v_mov_b32_e32 v12, 24
	v_cndmask_b32_e64 v25, 0, 1, s3
	v_lshrrev_b32_sdwa v26, v8, v9 dst_sel:BYTE_1 dst_unused:UNUSED_PAD src0_sel:DWORD src1_sel:DWORD
	v_lshlrev_b16 v10, 8, v10
	v_and_b32_sdwa v27, v9, v11 dst_sel:DWORD dst_unused:UNUSED_PAD src0_sel:WORD_1 src1_sel:DWORD
	v_lshrrev_b32_sdwa v12, v12, v7 dst_sel:BYTE_1 dst_unused:UNUSED_PAD src0_sel:DWORD src1_sel:DWORD
	v_and_b32_sdwa v11, v7, v11 dst_sel:DWORD dst_unused:UNUSED_PAD src0_sel:WORD_1 src1_sel:DWORD
	v_lshrrev_b32_sdwa v7, v8, v7 dst_sel:BYTE_1 dst_unused:UNUSED_PAD src0_sel:DWORD src1_sel:DWORD
	v_or_b32_sdwa v8, v9, v26 dst_sel:DWORD dst_unused:UNUSED_PAD src0_sel:BYTE_0 src1_sel:DWORD
	v_or_b32_sdwa v9, v27, v10 dst_sel:WORD_1 dst_unused:UNUSED_PAD src0_sel:DWORD src1_sel:DWORD
	v_or_b32_sdwa v10, v11, v12 dst_sel:WORD_1 dst_unused:UNUSED_PAD src0_sel:DWORD src1_sel:DWORD
	v_or_b32_e32 v7, v25, v7
	v_or_b32_sdwa v37, v8, v9 dst_sel:DWORD dst_unused:UNUSED_PAD src0_sel:WORD_0 src1_sel:DWORD
	v_or_b32_sdwa v8, v7, v10 dst_sel:DWORD dst_unused:UNUSED_PAD src0_sel:WORD_0 src1_sel:DWORD
.LBB152_83:
	s_or_b32 exec_lo, exec_lo, s2
	v_add_nc_u32_e32 v7, 8, v34
                                        ; implicit-def: $vgpr9
	v_cmp_le_u32_e32 vcc_lo, s5, v7
                                        ; implicit-def: $vgpr7
	s_and_saveexec_b32 s1, vcc_lo
	s_xor_b32 s1, exec_lo, s1
	s_cbranch_execz .LBB152_85
; %bb.84:
	v_mov_b32_e32 v7, 24
	v_mov_b32_e32 v9, 0xff
	;; [unrolled: 1-line block ×3, first 2 shown]
	v_perm_b32 v5, v5, v5, 0x3060504
	v_lshrrev_b32_sdwa v11, v7, v8 dst_sel:BYTE_1 dst_unused:UNUSED_PAD src0_sel:DWORD src1_sel:DWORD
	v_lshrrev_b32_sdwa v7, v7, v6 dst_sel:BYTE_1 dst_unused:UNUSED_PAD src0_sel:DWORD src1_sel:DWORD
	v_and_b32_sdwa v12, v6, v9 dst_sel:DWORD dst_unused:UNUSED_PAD src0_sel:WORD_1 src1_sel:DWORD
	v_and_b32_sdwa v9, v8, v9 dst_sel:DWORD dst_unused:UNUSED_PAD src0_sel:WORD_1 src1_sel:DWORD
	v_lshrrev_b32_sdwa v6, v10, v6 dst_sel:BYTE_1 dst_unused:UNUSED_PAD src0_sel:DWORD src1_sel:DWORD
	v_or_b32_sdwa v7, v12, v7 dst_sel:WORD_1 dst_unused:UNUSED_PAD src0_sel:DWORD src1_sel:DWORD
	v_or_b32_e32 v9, v9, v11
	v_or_b32_sdwa v7, v6, v7 dst_sel:DWORD dst_unused:UNUSED_PAD src0_sel:WORD_0 src1_sel:DWORD
	v_perm_b32 v9, v9, v8, 0x5040c00
                                        ; implicit-def: $vgpr6
                                        ; implicit-def: $vgpr8
.LBB152_85:
	s_andn2_saveexec_b32 s2, s1
	s_cbranch_execz .LBB152_89
; %bb.86:
	v_add_nc_u32_e32 v7, s17, v15
	v_add_nc_u32_e32 v9, s19, v15
	s_mov_b32 s3, 0
	s_mov_b32 s4, exec_lo
	v_mul_lo_u32 v7, v7, s16
	v_mul_lo_u32 v9, v9, s18
	v_sub_nc_u32_e32 v7, v7, v9
	v_cmp_lt_u32_e32 vcc_lo, s20, v7
	v_cmpx_ge_u32_e64 s20, v7
	s_cbranch_execz .LBB152_88
; %bb.87:
	v_add_nc_u32_e32 v7, s22, v15
	v_add_nc_u32_e32 v9, s38, v15
	v_mul_lo_u32 v7, v7, s21
	v_mul_lo_u32 v9, v9, s23
	v_sub_nc_u32_e32 v7, v7, v9
	v_cmp_lt_u32_e64 s1, s39, v7
	s_and_b32 s3, s1, exec_lo
.LBB152_88:
	s_or_b32 exec_lo, exec_lo, s4
	v_mov_b32_e32 v7, 24
	v_mov_b32_e32 v9, 0xff
	;; [unrolled: 1-line block ×3, first 2 shown]
	v_cndmask_b32_e64 v11, 0, 1, s3
	v_cndmask_b32_e64 v12, 0, 1, vcc_lo
	v_lshrrev_b32_sdwa v25, v7, v6 dst_sel:BYTE_1 dst_unused:UNUSED_PAD src0_sel:DWORD src1_sel:DWORD
	v_and_b32_sdwa v26, v6, v9 dst_sel:DWORD dst_unused:UNUSED_PAD src0_sel:WORD_1 src1_sel:DWORD
	v_lshrrev_b32_sdwa v6, v10, v6 dst_sel:BYTE_1 dst_unused:UNUSED_PAD src0_sel:DWORD src1_sel:DWORD
	v_lshlrev_b16 v10, 8, v11
	v_lshrrev_b32_sdwa v7, v7, v8 dst_sel:BYTE_1 dst_unused:UNUSED_PAD src0_sel:DWORD src1_sel:DWORD
	v_and_b32_sdwa v9, v8, v9 dst_sel:DWORD dst_unused:UNUSED_PAD src0_sel:WORD_1 src1_sel:DWORD
	v_or_b32_sdwa v11, v26, v25 dst_sel:WORD_1 dst_unused:UNUSED_PAD src0_sel:DWORD src1_sel:DWORD
	v_or_b32_e32 v6, v12, v6
	v_or_b32_sdwa v8, v8, v10 dst_sel:DWORD dst_unused:UNUSED_PAD src0_sel:BYTE_0 src1_sel:DWORD
	v_or_b32_sdwa v9, v9, v7 dst_sel:WORD_1 dst_unused:UNUSED_PAD src0_sel:DWORD src1_sel:DWORD
	v_or_b32_sdwa v7, v6, v11 dst_sel:DWORD dst_unused:UNUSED_PAD src0_sel:WORD_0 src1_sel:DWORD
	v_or_b32_sdwa v9, v8, v9 dst_sel:DWORD dst_unused:UNUSED_PAD src0_sel:WORD_0 src1_sel:DWORD
.LBB152_89:
	s_or_b32 exec_lo, exec_lo, s2
	v_add_nc_u32_e32 v6, 9, v34
                                        ; implicit-def: $vgpr8
	v_cmp_le_u32_e32 vcc_lo, s5, v6
                                        ; implicit-def: $vgpr6
	s_and_saveexec_b32 s1, vcc_lo
	s_xor_b32 s1, exec_lo, s1
	s_cbranch_execz .LBB152_91
; %bb.90:
	v_lshrrev_b32_e32 v6, 24, v9
	v_mov_b32_e32 v8, 8
	v_mov_b32_e32 v10, 0xff
	v_perm_b32 v5, v5, v5, 0x3060504
	v_perm_b32 v6, v6, v9, 0x40c0100
	v_mov_b32_e32 v9, 24
	v_and_b32_sdwa v10, v7, v10 dst_sel:DWORD dst_unused:UNUSED_PAD src0_sel:WORD_1 src1_sel:DWORD
	v_lshrrev_b32_sdwa v8, v8, v6 dst_sel:BYTE_1 dst_unused:UNUSED_PAD src0_sel:DWORD src1_sel:DWORD
	v_lshrrev_b32_sdwa v9, v9, v7 dst_sel:BYTE_1 dst_unused:UNUSED_PAD src0_sel:DWORD src1_sel:DWORD
	v_or_b32_sdwa v8, v6, v8 dst_sel:DWORD dst_unused:UNUSED_PAD src0_sel:BYTE_0 src1_sel:DWORD
	v_or_b32_e32 v9, v10, v9
	v_and_b32_e32 v10, 0xffff, v8
	v_perm_b32 v8, v9, v7, 0x5040c00
                                        ; implicit-def: $vgpr7
                                        ; implicit-def: $vgpr9
	v_and_or_b32 v6, 0xff000000, v6, v10
.LBB152_91:
	s_andn2_saveexec_b32 s2, s1
	s_cbranch_execz .LBB152_95
; %bb.92:
	v_add_nc_u32_e32 v6, s17, v16
	v_add_nc_u32_e32 v8, s19, v16
	s_mov_b32 s3, 0
	s_mov_b32 s4, exec_lo
	v_mul_lo_u32 v6, v6, s16
	v_mul_lo_u32 v8, v8, s18
	v_sub_nc_u32_e32 v6, v6, v8
	v_cmp_lt_u32_e32 vcc_lo, s20, v6
	v_cmpx_ge_u32_e64 s20, v6
	s_cbranch_execz .LBB152_94
; %bb.93:
	v_add_nc_u32_e32 v6, s22, v16
	v_add_nc_u32_e32 v8, s38, v16
	v_mul_lo_u32 v6, v6, s21
	v_mul_lo_u32 v8, v8, s23
	v_sub_nc_u32_e32 v6, v6, v8
	v_cmp_lt_u32_e64 s1, s39, v6
	s_and_b32 s3, s1, exec_lo
.LBB152_94:
	s_or_b32 exec_lo, exec_lo, s4
	v_cndmask_b32_e64 v6, 0, 1, vcc_lo
	v_mov_b32_e32 v8, 24
	v_mov_b32_e32 v10, 0xff
	;; [unrolled: 1-line block ×3, first 2 shown]
	v_cndmask_b32_e64 v12, 0, 1, s3
	v_lshlrev_b16 v6, 8, v6
	v_lshrrev_b32_sdwa v25, v8, v7 dst_sel:BYTE_1 dst_unused:UNUSED_PAD src0_sel:DWORD src1_sel:DWORD
	v_and_b32_sdwa v10, v7, v10 dst_sel:DWORD dst_unused:UNUSED_PAD src0_sel:WORD_1 src1_sel:DWORD
	v_lshrrev_b32_sdwa v11, v11, v9 dst_sel:BYTE_1 dst_unused:UNUSED_PAD src0_sel:DWORD src1_sel:DWORD
	v_lshrrev_b32_sdwa v8, v8, v9 dst_sel:BYTE_1 dst_unused:UNUSED_PAD src0_sel:DWORD src1_sel:DWORD
	v_or_b32_sdwa v6, v7, v6 dst_sel:DWORD dst_unused:UNUSED_PAD src0_sel:BYTE_0 src1_sel:DWORD
	v_or_b32_sdwa v7, v10, v25 dst_sel:WORD_1 dst_unused:UNUSED_PAD src0_sel:DWORD src1_sel:DWORD
	v_or_b32_sdwa v9, v9, v11 dst_sel:DWORD dst_unused:UNUSED_PAD src0_sel:BYTE_0 src1_sel:DWORD
	v_or_b32_sdwa v10, v12, v8 dst_sel:WORD_1 dst_unused:UNUSED_PAD src0_sel:DWORD src1_sel:DWORD
	v_or_b32_sdwa v8, v6, v7 dst_sel:DWORD dst_unused:UNUSED_PAD src0_sel:WORD_0 src1_sel:DWORD
	v_or_b32_sdwa v6, v9, v10 dst_sel:DWORD dst_unused:UNUSED_PAD src0_sel:WORD_0 src1_sel:DWORD
.LBB152_95:
	s_or_b32 exec_lo, exec_lo, s2
	v_add_nc_u32_e32 v7, 10, v34
                                        ; implicit-def: $vgpr38
	v_cmp_le_u32_e32 vcc_lo, s5, v7
                                        ; implicit-def: $vgpr7
	s_and_saveexec_b32 s1, vcc_lo
	s_xor_b32 s1, exec_lo, s1
	s_cbranch_execz .LBB152_97
; %bb.96:
	v_lshrrev_b32_e32 v7, 24, v8
	v_mov_b32_e32 v9, 8
	v_perm_b32 v5, v5, v5, 0x3060504
	v_perm_b32 v7, v7, v8, 0x40c0100
	v_lshrrev_b32_sdwa v8, v9, v7 dst_sel:BYTE_1 dst_unused:UNUSED_PAD src0_sel:DWORD src1_sel:DWORD
	v_and_b32_e32 v9, 0xff0000, v6
	v_or_b32_sdwa v8, v7, v8 dst_sel:DWORD dst_unused:UNUSED_PAD src0_sel:BYTE_0 src1_sel:DWORD
	v_perm_b32 v38, v6, v9, 0x3020504
                                        ; implicit-def: $vgpr6
	v_and_b32_e32 v8, 0xffff, v8
	v_and_or_b32 v7, 0xff000000, v7, v8
                                        ; implicit-def: $vgpr8
.LBB152_97:
	s_andn2_saveexec_b32 s2, s1
	s_cbranch_execz .LBB152_101
; %bb.98:
	v_add_nc_u32_e32 v7, s17, v13
	v_add_nc_u32_e32 v9, s19, v13
	s_mov_b32 s3, 0
	s_mov_b32 s4, exec_lo
	v_mul_lo_u32 v7, v7, s16
	v_mul_lo_u32 v9, v9, s18
	v_sub_nc_u32_e32 v7, v7, v9
	v_cmp_lt_u32_e32 vcc_lo, s20, v7
	v_cmpx_ge_u32_e64 s20, v7
	s_cbranch_execz .LBB152_100
; %bb.99:
	v_add_nc_u32_e32 v7, s22, v13
	v_add_nc_u32_e32 v9, s38, v13
	v_mul_lo_u32 v7, v7, s21
	v_mul_lo_u32 v9, v9, s23
	v_sub_nc_u32_e32 v7, v7, v9
	v_cmp_lt_u32_e64 s1, s39, v7
	s_and_b32 s3, s1, exec_lo
.LBB152_100:
	s_or_b32 exec_lo, exec_lo, s4
	v_mov_b32_e32 v7, 8
	v_mov_b32_e32 v9, 24
	v_cndmask_b32_e64 v11, 0, 1, s3
	v_mov_b32_e32 v12, 0xff
	v_cndmask_b32_e64 v10, 0, 1, vcc_lo
	v_lshrrev_b32_sdwa v25, v7, v8 dst_sel:BYTE_1 dst_unused:UNUSED_PAD src0_sel:DWORD src1_sel:DWORD
	v_lshrrev_b32_sdwa v9, v9, v8 dst_sel:BYTE_1 dst_unused:UNUSED_PAD src0_sel:DWORD src1_sel:DWORD
	;; [unrolled: 1-line block ×3, first 2 shown]
	v_lshlrev_b16 v11, 8, v11
	v_and_b32_sdwa v12, v6, v12 dst_sel:DWORD dst_unused:UNUSED_PAD src0_sel:WORD_1 src1_sel:DWORD
	v_or_b32_sdwa v8, v8, v25 dst_sel:DWORD dst_unused:UNUSED_PAD src0_sel:BYTE_0 src1_sel:DWORD
	v_or_b32_sdwa v9, v10, v9 dst_sel:WORD_1 dst_unused:UNUSED_PAD src0_sel:DWORD src1_sel:DWORD
	v_or_b32_sdwa v6, v6, v7 dst_sel:DWORD dst_unused:UNUSED_PAD src0_sel:BYTE_0 src1_sel:DWORD
	v_or_b32_sdwa v10, v12, v11 dst_sel:WORD_1 dst_unused:UNUSED_PAD src0_sel:DWORD src1_sel:DWORD
	v_or_b32_sdwa v7, v8, v9 dst_sel:DWORD dst_unused:UNUSED_PAD src0_sel:WORD_0 src1_sel:DWORD
	v_or_b32_sdwa v38, v6, v10 dst_sel:DWORD dst_unused:UNUSED_PAD src0_sel:WORD_0 src1_sel:DWORD
.LBB152_101:
	s_or_b32 exec_lo, exec_lo, s2
	v_add_nc_u32_e32 v6, 11, v34
	v_mov_b32_e32 v39, 0
	s_mov_b32 s1, exec_lo
                                        ; implicit-def: $vgpr40
	v_cmpx_le_u32_e64 s5, v6
	s_xor_b32 s1, exec_lo, s1
; %bb.102:
	v_and_b32_e32 v6, 0xff0000, v7
	v_perm_b32 v5, v5, v5, 0x3060504
	v_perm_b32 v40, v7, v6, 0x3020504
                                        ; implicit-def: $vgpr7
; %bb.103:
	s_andn2_saveexec_b32 s2, s1
	s_cbranch_execz .LBB152_107
; %bb.104:
	v_add_nc_u32_e32 v6, s17, v14
	v_add_nc_u32_e32 v8, s19, v14
	s_mov_b32 s3, 0
	s_mov_b32 s4, exec_lo
	v_mul_lo_u32 v6, v6, s16
	v_mul_lo_u32 v8, v8, s18
	v_sub_nc_u32_e32 v6, v6, v8
	v_cmp_lt_u32_e32 vcc_lo, s20, v6
	v_cmpx_ge_u32_e64 s20, v6
	s_cbranch_execz .LBB152_106
; %bb.105:
	v_add_nc_u32_e32 v6, s22, v14
	v_add_nc_u32_e32 v8, s38, v14
	v_mul_lo_u32 v6, v6, s21
	v_mul_lo_u32 v8, v8, s23
	v_sub_nc_u32_e32 v6, v6, v8
	v_cmp_lt_u32_e64 s1, s39, v6
	s_and_b32 s3, s1, exec_lo
.LBB152_106:
	s_or_b32 exec_lo, exec_lo, s4
	v_mov_b32_e32 v6, 8
	v_cndmask_b32_e64 v8, 0, 1, vcc_lo
	v_mov_b32_e32 v9, 0xff
	v_cndmask_b32_e64 v39, 0, 1, s3
	v_lshrrev_b32_sdwa v6, v6, v7 dst_sel:BYTE_1 dst_unused:UNUSED_PAD src0_sel:DWORD src1_sel:DWORD
	v_lshlrev_b16 v8, 8, v8
	v_and_b32_sdwa v9, v7, v9 dst_sel:DWORD dst_unused:UNUSED_PAD src0_sel:WORD_1 src1_sel:DWORD
	v_or_b32_sdwa v6, v7, v6 dst_sel:DWORD dst_unused:UNUSED_PAD src0_sel:BYTE_0 src1_sel:DWORD
	v_or_b32_sdwa v7, v9, v8 dst_sel:WORD_1 dst_unused:UNUSED_PAD src0_sel:DWORD src1_sel:DWORD
	v_or_b32_sdwa v40, v6, v7 dst_sel:DWORD dst_unused:UNUSED_PAD src0_sel:WORD_0 src1_sel:DWORD
.LBB152_107:
	s_or_b32 exec_lo, exec_lo, s2
	v_add_nc_u32_e32 v6, 12, v34
	s_mov_b32 s1, exec_lo
                                        ; implicit-def: $vgpr41
	v_cmpx_le_u32_e64 s5, v6
	s_xor_b32 s1, exec_lo, s1
	s_cbranch_execz .LBB152_109
; %bb.108:
	v_mov_b32_e32 v6, 24
	v_mov_b32_e32 v7, 0xff
	;; [unrolled: 1-line block ×3, first 2 shown]
	v_lshrrev_b32_sdwa v6, v6, v5 dst_sel:BYTE_1 dst_unused:UNUSED_PAD src0_sel:DWORD src1_sel:DWORD
	v_and_b32_sdwa v7, v5, v7 dst_sel:DWORD dst_unused:UNUSED_PAD src0_sel:WORD_1 src1_sel:DWORD
	v_lshrrev_b32_sdwa v5, v8, v5 dst_sel:BYTE_1 dst_unused:UNUSED_PAD src0_sel:DWORD src1_sel:DWORD
	v_or_b32_sdwa v6, v7, v6 dst_sel:WORD_1 dst_unused:UNUSED_PAD src0_sel:DWORD src1_sel:DWORD
	v_or_b32_sdwa v41, v5, v6 dst_sel:DWORD dst_unused:UNUSED_PAD src0_sel:WORD_0 src1_sel:DWORD
                                        ; implicit-def: $vgpr5
.LBB152_109:
	s_or_saveexec_b32 s2, s1
	v_mov_b32_e32 v42, 0
	s_xor_b32 exec_lo, exec_lo, s2
	s_cbranch_execz .LBB152_113
; %bb.110:
	v_add_nc_u32_e32 v6, s17, v33
	v_add_nc_u32_e32 v7, s19, v33
	s_mov_b32 s3, 0
	s_mov_b32 s4, exec_lo
	v_mul_lo_u32 v6, v6, s16
	v_mul_lo_u32 v7, v7, s18
	v_sub_nc_u32_e32 v6, v6, v7
	v_cmp_lt_u32_e32 vcc_lo, s20, v6
	v_cmpx_ge_u32_e64 s20, v6
	s_cbranch_execz .LBB152_112
; %bb.111:
	v_add_nc_u32_e32 v6, s22, v33
	v_add_nc_u32_e32 v7, s38, v33
	v_mul_lo_u32 v6, v6, s21
	v_mul_lo_u32 v7, v7, s23
	v_sub_nc_u32_e32 v6, v6, v7
	v_cmp_lt_u32_e64 s1, s39, v6
	s_and_b32 s3, s1, exec_lo
.LBB152_112:
	s_or_b32 exec_lo, exec_lo, s4
	v_mov_b32_e32 v6, 24
	v_mov_b32_e32 v7, 0xff
	;; [unrolled: 1-line block ×3, first 2 shown]
	v_cndmask_b32_e64 v9, 0, 1, vcc_lo
	v_cndmask_b32_e64 v42, 0, 1, s3
	v_lshrrev_b32_sdwa v6, v6, v5 dst_sel:BYTE_1 dst_unused:UNUSED_PAD src0_sel:DWORD src1_sel:DWORD
	v_and_b32_sdwa v7, v5, v7 dst_sel:DWORD dst_unused:UNUSED_PAD src0_sel:WORD_1 src1_sel:DWORD
	v_lshrrev_b32_sdwa v5, v8, v5 dst_sel:BYTE_1 dst_unused:UNUSED_PAD src0_sel:DWORD src1_sel:DWORD
	v_or_b32_sdwa v6, v7, v6 dst_sel:WORD_1 dst_unused:UNUSED_PAD src0_sel:DWORD src1_sel:DWORD
	v_or_b32_e32 v5, v9, v5
	v_or_b32_sdwa v41, v5, v6 dst_sel:DWORD dst_unused:UNUSED_PAD src0_sel:WORD_0 src1_sel:DWORD
.LBB152_113:
	s_or_b32 exec_lo, exec_lo, s2
.LBB152_114:
	v_and_b32_e32 v65, 0xff, v35
	v_bfe_u32 v66, v41, 8, 8
	v_bfe_u32 v62, v35, 8, 8
	;; [unrolled: 1-line block ×4, first 2 shown]
	v_lshrrev_b32_e32 v48, 24, v41
	v_lshrrev_b32_e32 v47, 24, v35
	v_and_b32_e32 v61, 0xff, v36
	v_and_b32_e32 v59, 0xff, v37
	v_bfe_u32 v60, v36, 8, 8
	v_add3_u32 v5, v62, v65, v64
	v_add3_u32 v6, v63, v66, v48
	v_bfe_u32 v57, v37, 8, 8
	v_bfe_u32 v58, v36, 16, 8
	;; [unrolled: 1-line block ×3, first 2 shown]
	v_lshrrev_b32_e32 v46, 24, v36
	v_add3_u32 v5, v5, v47, v59
	v_add3_u32 v6, v6, v61, v60
	v_lshrrev_b32_e32 v45, 24, v37
	v_and_b32_e32 v56, 0xff, v38
	v_and_b32_e32 v54, 0xff, v40
	v_bfe_u32 v55, v38, 8, 8
	v_add3_u32 v5, v5, v57, v52
	v_add3_u32 v6, v6, v58, v46
	v_bfe_u32 v51, v40, 8, 8
	v_bfe_u32 v53, v38, 16, 8
	;; [unrolled: 1-line block ×3, first 2 shown]
	v_lshrrev_b32_e32 v44, 24, v38
	v_add3_u32 v5, v5, v45, v54
	v_add3_u32 v6, v6, v56, v55
	v_mbcnt_lo_u32_b32 v67, -1, 0
	v_lshrrev_b32_e32 v43, 24, v40
	v_and_b32_e32 v50, 0xff, v39
	v_and_b32_e32 v7, 0xff, v41
	;; [unrolled: 1-line block ×3, first 2 shown]
	v_add3_u32 v5, v5, v51, v49
	v_add3_u32 v6, v6, v53, v44
	v_and_b32_e32 v69, 15, v67
	v_and_b32_e32 v71, 16, v67
	v_lshrrev_b32_e32 v68, 5, v0
	v_add3_u32 v72, v5, v43, v7
	v_add3_u32 v73, v6, v50, v8
	v_cmp_eq_u32_e64 s2, 0, v69
	v_cmp_lt_u32_e64 s1, 1, v69
	v_cmp_lt_u32_e64 s3, 3, v69
	v_or_b32_e32 v70, 31, v0
	s_cmp_lg_u32 s27, 0
	s_mov_b32 s4, -1
	v_cmp_lt_u32_e32 vcc_lo, 7, v69
	s_cbranch_scc0 .LBB152_136
; %bb.115:
	v_mov_b32_dpp v5, v73 row_shr:1 row_mask:0xf bank_mask:0xf
	v_mov_b32_dpp v6, v72 row_shr:1 row_mask:0xf bank_mask:0xf
	s_mov_b32 s4, exec_lo
	v_add_nc_u32_e32 v5, v5, v73
	v_add_nc_u32_e32 v6, v6, v72
	v_cndmask_b32_e64 v5, v5, v73, s2
	v_cndmask_b32_e64 v6, v6, v72, s2
	v_mov_b32_dpp v7, v5 row_shr:2 row_mask:0xf bank_mask:0xf
	v_mov_b32_dpp v8, v6 row_shr:2 row_mask:0xf bank_mask:0xf
	v_add_nc_u32_e32 v7, v5, v7
	v_add_nc_u32_e32 v8, v6, v8
	v_cndmask_b32_e64 v5, v5, v7, s1
	v_cndmask_b32_e64 v6, v6, v8, s1
	v_mov_b32_dpp v7, v5 row_shr:4 row_mask:0xf bank_mask:0xf
	v_mov_b32_dpp v8, v6 row_shr:4 row_mask:0xf bank_mask:0xf
	;; [unrolled: 6-line block ×3, first 2 shown]
	v_add_nc_u32_e32 v7, v5, v7
	v_add_nc_u32_e32 v8, v6, v8
	v_cndmask_b32_e32 v5, v5, v7, vcc_lo
	v_cndmask_b32_e32 v6, v6, v8, vcc_lo
	v_cmp_eq_u32_e32 vcc_lo, 0, v71
	ds_swizzle_b32 v7, v5 offset:swizzle(BROADCAST,32,15)
	ds_swizzle_b32 v8, v6 offset:swizzle(BROADCAST,32,15)
	s_waitcnt lgkmcnt(1)
	v_add_nc_u32_e32 v7, v5, v7
	s_waitcnt lgkmcnt(0)
	v_add_nc_u32_e32 v8, v6, v8
	v_cmpx_eq_u32_e64 v0, v70
	s_cbranch_execz .LBB152_117
; %bb.116:
	v_lshlrev_b32_e32 v11, 3, v68
	v_cndmask_b32_e32 v10, v7, v5, vcc_lo
	v_cndmask_b32_e32 v9, v8, v6, vcc_lo
	ds_write_b64 v11, v[9:10]
.LBB152_117:
	s_or_b32 exec_lo, exec_lo, s4
	s_mov_b32 s4, exec_lo
	s_waitcnt lgkmcnt(0)
	s_barrier
	buffer_gl0_inv
	v_cmpx_gt_u32_e32 8, v0
	s_cbranch_execz .LBB152_119
; %bb.118:
	v_lshlrev_b32_e32 v11, 3, v0
	v_and_b32_e32 v26, 7, v67
	ds_read_b64 v[9:10], v11
	v_cmp_eq_u32_e64 s3, 0, v26
	s_waitcnt lgkmcnt(0)
	v_mov_b32_dpp v12, v9 row_shr:1 row_mask:0xf bank_mask:0xf
	v_mov_b32_dpp v25, v10 row_shr:1 row_mask:0xf bank_mask:0xf
	v_add_nc_u32_e32 v12, v12, v9
	v_add_nc_u32_e32 v25, v25, v10
	v_cndmask_b32_e64 v9, v12, v9, s3
	v_cndmask_b32_e64 v10, v25, v10, s3
	v_cmp_lt_u32_e64 s3, 1, v26
	v_mov_b32_dpp v12, v9 row_shr:2 row_mask:0xf bank_mask:0xf
	v_mov_b32_dpp v25, v10 row_shr:2 row_mask:0xf bank_mask:0xf
	v_add_nc_u32_e32 v12, v9, v12
	v_add_nc_u32_e32 v25, v10, v25
	v_cndmask_b32_e64 v9, v9, v12, s3
	v_cndmask_b32_e64 v10, v10, v25, s3
	v_cmp_lt_u32_e64 s3, 3, v26
	v_mov_b32_dpp v12, v9 row_shr:4 row_mask:0xf bank_mask:0xf
	v_mov_b32_dpp v25, v10 row_shr:4 row_mask:0xf bank_mask:0xf
	v_cndmask_b32_e64 v12, 0, v12, s3
	v_cndmask_b32_e64 v25, 0, v25, s3
	v_add_nc_u32_e32 v9, v12, v9
	v_add_nc_u32_e32 v10, v25, v10
	ds_write_b64 v11, v[9:10]
.LBB152_119:
	s_or_b32 exec_lo, exec_lo, s4
	v_cndmask_b32_e32 v5, v7, v5, vcc_lo
	v_cndmask_b32_e32 v6, v8, v6, vcc_lo
	s_mov_b32 s4, exec_lo
	v_cmp_gt_u32_e32 vcc_lo, 32, v0
	s_waitcnt lgkmcnt(0)
	s_barrier
	buffer_gl0_inv
                                        ; implicit-def: $vgpr25
	v_cmpx_lt_u32_e32 31, v0
	s_cbranch_execz .LBB152_121
; %bb.120:
	v_lshl_add_u32 v7, v68, 3, -8
	ds_read_b64 v[25:26], v7
	s_waitcnt lgkmcnt(0)
	v_add_nc_u32_e32 v5, v26, v5
	v_add_nc_u32_e32 v6, v25, v6
.LBB152_121:
	s_or_b32 exec_lo, exec_lo, s4
	v_sub_co_u32 v7, s3, v67, 1
	v_cmp_gt_i32_e64 s4, 0, v7
	v_cndmask_b32_e64 v7, v7, v67, s4
	v_lshlrev_b32_e32 v7, 2, v7
	ds_bpermute_b32 v74, v7, v6
	ds_bpermute_b32 v75, v7, v5
	s_and_saveexec_b32 s4, vcc_lo
	s_cbranch_execz .LBB152_141
; %bb.122:
	v_mov_b32_e32 v8, 0
	ds_read_b64 v[5:6], v8 offset:56
	s_and_saveexec_b32 s6, s3
	s_cbranch_execz .LBB152_124
; %bb.123:
	s_add_i32 s8, s27, 32
	s_mov_b32 s9, 0
	v_mov_b32_e32 v7, 1
	s_lshl_b64 s[8:9], s[8:9], 4
	s_add_u32 s8, s36, s8
	s_addc_u32 s9, s37, s9
	v_mov_b32_e32 v10, s9
	v_mov_b32_e32 v9, s8
	s_waitcnt lgkmcnt(0)
	;;#ASMSTART
	global_store_dwordx4 v[9:10], v[5:8] off	
s_waitcnt vmcnt(0)
	;;#ASMEND
.LBB152_124:
	s_or_b32 exec_lo, exec_lo, s6
	v_xad_u32 v27, v67, -1, s27
	s_mov_b32 s7, 0
	v_add_nc_u32_e32 v7, 32, v27
	v_lshlrev_b64 v[9:10], 4, v[7:8]
	v_add_co_u32 v28, vcc_lo, s36, v9
	v_add_co_ci_u32_e64 v29, null, s37, v10, vcc_lo
	;;#ASMSTART
	global_load_dwordx4 v[9:12], v[28:29] off glc dlc	
s_waitcnt vmcnt(0)
	;;#ASMEND
	v_cmp_eq_u16_sdwa s8, v11, v8 src0_sel:BYTE_0 src1_sel:DWORD
	s_and_saveexec_b32 s6, s8
	s_cbranch_execz .LBB152_128
; %bb.125:
	v_mov_b32_e32 v7, 0
.LBB152_126:                            ; =>This Inner Loop Header: Depth=1
	;;#ASMSTART
	global_load_dwordx4 v[9:12], v[28:29] off glc dlc	
s_waitcnt vmcnt(0)
	;;#ASMEND
	v_cmp_ne_u16_sdwa s8, v11, v7 src0_sel:BYTE_0 src1_sel:DWORD
	s_or_b32 s7, s8, s7
	s_andn2_b32 exec_lo, exec_lo, s7
	s_cbranch_execnz .LBB152_126
; %bb.127:
	s_or_b32 exec_lo, exec_lo, s7
.LBB152_128:
	s_or_b32 exec_lo, exec_lo, s6
	v_cmp_ne_u32_e32 vcc_lo, 31, v67
	v_mov_b32_e32 v77, 2
	v_lshlrev_b32_e64 v78, v67, -1
	v_add_nc_u32_e32 v80, 2, v67
	v_add_nc_u32_e32 v82, 4, v67
	v_add_co_ci_u32_e64 v7, null, 0, v67, vcc_lo
	v_cmp_eq_u16_sdwa s6, v11, v77 src0_sel:BYTE_0 src1_sel:DWORD
	v_cmp_gt_u32_e32 vcc_lo, 30, v67
	v_add_nc_u32_e32 v84, 8, v67
	v_lshlrev_b32_e32 v76, 2, v7
	v_lshl_or_b32 v85, v67, 2, 64
	v_and_b32_e32 v12, s6, v78
	v_cndmask_b32_e64 v28, 0, 2, vcc_lo
	v_add_nc_u32_e32 v86, 16, v67
	ds_bpermute_b32 v7, v76, v10
	ds_bpermute_b32 v8, v76, v9
	v_or_b32_e32 v12, 0x80000000, v12
	v_add_lshl_u32 v79, v28, v67, 2
	v_ffbl_b32_e32 v12, v12
	v_cmp_lt_u32_e32 vcc_lo, v67, v12
	s_waitcnt lgkmcnt(1)
	v_add_nc_u32_e32 v7, v7, v10
	s_waitcnt lgkmcnt(0)
	v_add_nc_u32_e32 v8, v8, v9
	v_cndmask_b32_e32 v7, v10, v7, vcc_lo
	v_cndmask_b32_e32 v8, v9, v8, vcc_lo
	v_cmp_gt_u32_e32 vcc_lo, 28, v67
	ds_bpermute_b32 v9, v79, v7
	ds_bpermute_b32 v10, v79, v8
	v_cndmask_b32_e64 v28, 0, 4, vcc_lo
	v_cmp_gt_u32_e32 vcc_lo, v80, v12
	v_add_lshl_u32 v81, v28, v67, 2
	s_waitcnt lgkmcnt(1)
	v_add_nc_u32_e32 v9, v7, v9
	s_waitcnt lgkmcnt(0)
	v_add_nc_u32_e32 v10, v8, v10
	v_cndmask_b32_e32 v7, v9, v7, vcc_lo
	v_cndmask_b32_e32 v8, v10, v8, vcc_lo
	v_cmp_gt_u32_e32 vcc_lo, 24, v67
	ds_bpermute_b32 v9, v81, v7
	ds_bpermute_b32 v10, v81, v8
	v_cndmask_b32_e64 v28, 0, 8, vcc_lo
	v_cmp_gt_u32_e32 vcc_lo, v82, v12
	v_add_lshl_u32 v83, v28, v67, 2
	v_mov_b32_e32 v28, 0
	s_waitcnt lgkmcnt(1)
	v_add_nc_u32_e32 v9, v7, v9
	s_waitcnt lgkmcnt(0)
	v_add_nc_u32_e32 v10, v8, v10
	v_cndmask_b32_e32 v7, v9, v7, vcc_lo
	v_cndmask_b32_e32 v8, v10, v8, vcc_lo
	v_cmp_gt_u32_e32 vcc_lo, v84, v12
	ds_bpermute_b32 v9, v83, v7
	ds_bpermute_b32 v10, v83, v8
	s_waitcnt lgkmcnt(1)
	v_add_nc_u32_e32 v9, v7, v9
	s_waitcnt lgkmcnt(0)
	v_add_nc_u32_e32 v10, v8, v10
	v_cndmask_b32_e32 v7, v9, v7, vcc_lo
	v_cndmask_b32_e32 v8, v10, v8, vcc_lo
	v_cmp_le_u32_e32 vcc_lo, v86, v12
	ds_bpermute_b32 v10, v85, v7
	ds_bpermute_b32 v9, v85, v8
	s_waitcnt lgkmcnt(1)
	v_cndmask_b32_e32 v10, 0, v10, vcc_lo
	s_waitcnt lgkmcnt(0)
	v_cndmask_b32_e32 v9, 0, v9, vcc_lo
	v_add_nc_u32_e32 v10, v10, v7
	v_add_nc_u32_e32 v9, v9, v8
	s_branch .LBB152_132
.LBB152_129:                            ;   in Loop: Header=BB152_132 Depth=1
	s_or_b32 exec_lo, exec_lo, s7
.LBB152_130:                            ;   in Loop: Header=BB152_132 Depth=1
	s_or_b32 exec_lo, exec_lo, s6
	ds_bpermute_b32 v12, v76, v9
	ds_bpermute_b32 v29, v76, v10
	v_cmp_eq_u16_sdwa s6, v11, v77 src0_sel:BYTE_0 src1_sel:DWORD
	v_subrev_nc_u32_e32 v27, 32, v27
	v_and_or_b32 v30, s6, v78, 0x80000000
	s_mov_b32 s6, 0
	v_ffbl_b32_e32 v30, v30
	v_cmp_lt_u32_e32 vcc_lo, v67, v30
	s_waitcnt lgkmcnt(1)
	v_add_nc_u32_e32 v12, v12, v9
	s_waitcnt lgkmcnt(0)
	v_add_nc_u32_e32 v29, v29, v10
	v_cndmask_b32_e32 v9, v9, v12, vcc_lo
	v_cndmask_b32_e32 v10, v10, v29, vcc_lo
	v_cmp_gt_u32_e32 vcc_lo, v80, v30
	ds_bpermute_b32 v12, v79, v9
	ds_bpermute_b32 v29, v79, v10
	s_waitcnt lgkmcnt(1)
	v_add_nc_u32_e32 v12, v9, v12
	s_waitcnt lgkmcnt(0)
	v_add_nc_u32_e32 v29, v10, v29
	v_cndmask_b32_e32 v9, v12, v9, vcc_lo
	v_cndmask_b32_e32 v10, v29, v10, vcc_lo
	v_cmp_gt_u32_e32 vcc_lo, v82, v30
	ds_bpermute_b32 v12, v81, v9
	ds_bpermute_b32 v29, v81, v10
	;; [unrolled: 9-line block ×3, first 2 shown]
	s_waitcnt lgkmcnt(1)
	v_add_nc_u32_e32 v12, v9, v12
	s_waitcnt lgkmcnt(0)
	v_add_nc_u32_e32 v29, v10, v29
	v_cndmask_b32_e32 v9, v12, v9, vcc_lo
	v_cndmask_b32_e32 v10, v29, v10, vcc_lo
	v_cmp_le_u32_e32 vcc_lo, v86, v30
	ds_bpermute_b32 v12, v85, v9
	ds_bpermute_b32 v29, v85, v10
	s_waitcnt lgkmcnt(1)
	v_cndmask_b32_e32 v12, 0, v12, vcc_lo
	s_waitcnt lgkmcnt(0)
	v_cndmask_b32_e32 v29, 0, v29, vcc_lo
	v_add3_u32 v9, v9, v7, v12
	v_add3_u32 v10, v10, v8, v29
.LBB152_131:                            ;   in Loop: Header=BB152_132 Depth=1
	s_and_b32 vcc_lo, exec_lo, s6
	s_cbranch_vccnz .LBB152_137
.LBB152_132:                            ; =>This Loop Header: Depth=1
                                        ;     Child Loop BB152_135 Depth 2
	v_cmp_ne_u16_sdwa s6, v11, v77 src0_sel:BYTE_0 src1_sel:DWORD
	v_mov_b32_e32 v7, v9
	v_mov_b32_e32 v8, v10
                                        ; implicit-def: $vgpr11
                                        ; implicit-def: $vgpr9_vgpr10
	s_cmp_lg_u32 s6, exec_lo
	s_mov_b32 s6, -1
	s_cbranch_scc1 .LBB152_131
; %bb.133:                              ;   in Loop: Header=BB152_132 Depth=1
	v_lshlrev_b64 v[9:10], 4, v[27:28]
	v_add_co_u32 v29, vcc_lo, s36, v9
	v_add_co_ci_u32_e64 v30, null, s37, v10, vcc_lo
	;;#ASMSTART
	global_load_dwordx4 v[9:12], v[29:30] off glc dlc	
s_waitcnt vmcnt(0)
	;;#ASMEND
	v_cmp_eq_u16_sdwa s7, v11, v28 src0_sel:BYTE_0 src1_sel:DWORD
	s_and_saveexec_b32 s6, s7
	s_cbranch_execz .LBB152_130
; %bb.134:                              ;   in Loop: Header=BB152_132 Depth=1
	s_mov_b32 s7, 0
.LBB152_135:                            ;   Parent Loop BB152_132 Depth=1
                                        ; =>  This Inner Loop Header: Depth=2
	;;#ASMSTART
	global_load_dwordx4 v[9:12], v[29:30] off glc dlc	
s_waitcnt vmcnt(0)
	;;#ASMEND
	v_cmp_ne_u16_sdwa s8, v11, v28 src0_sel:BYTE_0 src1_sel:DWORD
	s_or_b32 s7, s8, s7
	s_andn2_b32 exec_lo, exec_lo, s7
	s_cbranch_execnz .LBB152_135
	s_branch .LBB152_129
.LBB152_136:
                                        ; implicit-def: $vgpr25
                                        ; implicit-def: $vgpr7
                                        ; implicit-def: $vgpr26
	s_and_b32 vcc_lo, exec_lo, s4
	s_cbranch_vccnz .LBB152_142
	s_branch .LBB152_151
.LBB152_137:
	s_and_saveexec_b32 s6, s3
	s_cbranch_execnz .LBB152_379
; %bb.138:
	s_or_b32 exec_lo, exec_lo, s6
	s_and_saveexec_b32 s6, s3
	s_cbranch_execnz .LBB152_380
.LBB152_139:
	s_or_b32 exec_lo, exec_lo, s6
	s_and_b32 exec_lo, exec_lo, s0
.LBB152_140:
	v_mov_b32_e32 v5, 0
	ds_write_b64 v5, v[7:8] offset:56
.LBB152_141:
	s_or_b32 exec_lo, exec_lo, s4
	v_mov_b32_e32 v5, 0
	s_waitcnt lgkmcnt(0)
	s_barrier
	buffer_gl0_inv
	v_cndmask_b32_e64 v11, v75, v26, s3
	ds_read_b64 v[9:10], v5 offset:56
	s_waitcnt lgkmcnt(0)
	s_barrier
	buffer_gl0_inv
	ds_read_b128 v[5:8], v5 offset:13312
	v_cndmask_b32_e64 v12, v74, v25, s3
	v_add_nc_u32_e32 v11, v10, v11
	v_add_nc_u32_e32 v12, v9, v12
	v_cndmask_b32_e64 v25, v11, v10, s0
	v_cndmask_b32_e64 v26, v12, v9, s0
	s_branch .LBB152_151
.LBB152_142:
	s_waitcnt lgkmcnt(0)
	v_mov_b32_dpp v5, v72 row_shr:1 row_mask:0xf bank_mask:0xf
	v_mov_b32_dpp v6, v73 row_shr:1 row_mask:0xf bank_mask:0xf
	v_cmp_lt_u32_e32 vcc_lo, 3, v69
	v_add_nc_u32_e32 v5, v5, v72
	v_add_nc_u32_e32 v6, v6, v73
	v_cndmask_b32_e64 v5, v5, v72, s2
	v_cndmask_b32_e64 v6, v6, v73, s2
	s_mov_b32 s2, exec_lo
	v_mov_b32_dpp v7, v5 row_shr:2 row_mask:0xf bank_mask:0xf
	v_mov_b32_dpp v8, v6 row_shr:2 row_mask:0xf bank_mask:0xf
	v_add_nc_u32_e32 v7, v5, v7
	v_add_nc_u32_e32 v8, v6, v8
	v_cndmask_b32_e64 v5, v5, v7, s1
	v_cndmask_b32_e64 v6, v6, v8, s1
	v_mov_b32_dpp v7, v5 row_shr:4 row_mask:0xf bank_mask:0xf
	v_mov_b32_dpp v8, v6 row_shr:4 row_mask:0xf bank_mask:0xf
	v_add_nc_u32_e32 v7, v5, v7
	v_add_nc_u32_e32 v8, v6, v8
	v_cndmask_b32_e32 v7, v5, v7, vcc_lo
	v_cndmask_b32_e32 v6, v6, v8, vcc_lo
	v_cmp_lt_u32_e32 vcc_lo, 7, v69
	v_mov_b32_dpp v5, v7 row_shr:8 row_mask:0xf bank_mask:0xf
	v_mov_b32_dpp v8, v6 row_shr:8 row_mask:0xf bank_mask:0xf
	v_add_nc_u32_e32 v9, v7, v5
	v_add_nc_u32_e32 v5, v6, v8
	v_cndmask_b32_e32 v5, v6, v5, vcc_lo
	v_cndmask_b32_e32 v6, v7, v9, vcc_lo
	v_cmp_eq_u32_e32 vcc_lo, 0, v71
	ds_swizzle_b32 v7, v5 offset:swizzle(BROADCAST,32,15)
	ds_swizzle_b32 v8, v6 offset:swizzle(BROADCAST,32,15)
	s_waitcnt lgkmcnt(1)
	v_add_nc_u32_e32 v7, v5, v7
	s_waitcnt lgkmcnt(0)
	v_add_nc_u32_e32 v8, v6, v8
	v_cmpx_eq_u32_e64 v0, v70
	s_cbranch_execz .LBB152_144
; %bb.143:
	v_cndmask_b32_e32 v9, v8, v6, vcc_lo
	v_cndmask_b32_e32 v10, v7, v5, vcc_lo
	v_lshlrev_b32_e32 v11, 3, v68
	ds_write_b64 v11, v[9:10]
.LBB152_144:
	s_or_b32 exec_lo, exec_lo, s2
	s_mov_b32 s2, exec_lo
	s_waitcnt lgkmcnt(0)
	s_barrier
	buffer_gl0_inv
	v_cmpx_gt_u32_e32 8, v0
	s_cbranch_execz .LBB152_146
; %bb.145:
	v_lshlrev_b32_e32 v11, 3, v0
	v_and_b32_e32 v26, 7, v67
	ds_read_b64 v[9:10], v11
	v_cmp_eq_u32_e64 s1, 0, v26
	s_waitcnt lgkmcnt(0)
	v_mov_b32_dpp v12, v9 row_shr:1 row_mask:0xf bank_mask:0xf
	v_mov_b32_dpp v25, v10 row_shr:1 row_mask:0xf bank_mask:0xf
	v_add_nc_u32_e32 v12, v12, v9
	v_add_nc_u32_e32 v25, v25, v10
	v_cndmask_b32_e64 v9, v12, v9, s1
	v_cndmask_b32_e64 v10, v25, v10, s1
	v_cmp_lt_u32_e64 s1, 1, v26
	v_mov_b32_dpp v12, v9 row_shr:2 row_mask:0xf bank_mask:0xf
	v_mov_b32_dpp v25, v10 row_shr:2 row_mask:0xf bank_mask:0xf
	v_add_nc_u32_e32 v12, v9, v12
	v_add_nc_u32_e32 v25, v10, v25
	v_cndmask_b32_e64 v9, v9, v12, s1
	v_cndmask_b32_e64 v10, v10, v25, s1
	v_cmp_lt_u32_e64 s1, 3, v26
	v_mov_b32_dpp v12, v9 row_shr:4 row_mask:0xf bank_mask:0xf
	v_mov_b32_dpp v25, v10 row_shr:4 row_mask:0xf bank_mask:0xf
	v_cndmask_b32_e64 v12, 0, v12, s1
	v_cndmask_b32_e64 v25, 0, v25, s1
	v_add_nc_u32_e32 v9, v12, v9
	v_add_nc_u32_e32 v10, v25, v10
	ds_write_b64 v11, v[9:10]
.LBB152_146:
	s_or_b32 exec_lo, exec_lo, s2
	v_mov_b32_e32 v11, 0
	v_mov_b32_e32 v9, 0
	;; [unrolled: 1-line block ×3, first 2 shown]
	s_mov_b32 s2, exec_lo
	s_waitcnt lgkmcnt(0)
	s_barrier
	buffer_gl0_inv
	v_cmpx_lt_u32_e32 31, v0
; %bb.147:
	v_lshl_add_u32 v9, v68, 3, -8
	ds_read_b64 v[9:10], v9
; %bb.148:
	s_or_b32 exec_lo, exec_lo, s2
	v_sub_co_u32 v12, s1, v67, 1
	v_cndmask_b32_e32 v6, v8, v6, vcc_lo
	v_cndmask_b32_e32 v5, v7, v5, vcc_lo
	v_cmp_gt_i32_e64 s2, 0, v12
	s_waitcnt lgkmcnt(0)
	v_add_nc_u32_e32 v6, v9, v6
	v_add_nc_u32_e32 v5, v10, v5
	v_cndmask_b32_e64 v8, v12, v67, s2
	v_lshlrev_b32_e32 v7, 2, v8
	ds_bpermute_b32 v12, v7, v6
	ds_bpermute_b32 v25, v7, v5
	ds_read_b64 v[5:6], v11 offset:56
	s_and_saveexec_b32 s2, s0
	s_cbranch_execz .LBB152_150
; %bb.149:
	s_add_u32 s6, s36, 0x200
	s_addc_u32 s7, s37, 0
	v_mov_b32_e32 v7, 2
	v_mov_b32_e32 v27, s7
	;; [unrolled: 1-line block ×4, first 2 shown]
	s_waitcnt lgkmcnt(0)
	;;#ASMSTART
	global_store_dwordx4 v[26:27], v[5:8] off	
s_waitcnt vmcnt(0)
	;;#ASMEND
.LBB152_150:
	s_or_b32 exec_lo, exec_lo, s2
	s_waitcnt lgkmcnt(1)
	v_cndmask_b32_e64 v7, v25, v10, s1
	v_cndmask_b32_e64 v9, v12, v9, s1
	v_mov_b32_e32 v8, 0
	s_waitcnt lgkmcnt(0)
	s_barrier
	v_cndmask_b32_e64 v25, v7, 0, s0
	v_cndmask_b32_e64 v26, v9, 0, s0
	v_mov_b32_e32 v7, 0
	buffer_gl0_inv
.LBB152_151:
	v_add_nc_u32_e32 v30, v25, v66
	v_add_nc_u32_e32 v29, v26, v65
	s_waitcnt lgkmcnt(0)
	v_sub_nc_u32_e32 v25, v25, v8
	v_lshrrev_b32_e32 v28, 8, v41
	v_lshlrev_b32_e32 v69, 1, v5
	v_add_nc_u32_e32 v63, v30, v63
	v_sub_nc_u32_e32 v30, v30, v8
	v_add_nc_u32_e32 v62, v29, v62
	v_sub_nc_u32_e32 v26, v26, v7
	;; [unrolled: 2-line block ×3, first 2 shown]
	v_add_nc_u32_e32 v30, v30, v5
	v_and_b32_e32 v28, 1, v28
	v_mov_b32_e32 v71, 1
	v_add3_u32 v34, v69, v6, v34
	v_add_nc_u32_e32 v75, v26, v25
	v_add_nc_u32_e32 v76, v30, v29
	v_add_co_u32 v1, vcc_lo, v1, v7
	v_add_co_ci_u32_e64 v2, null, 0, v2, vcc_lo
	v_sub_co_u32 v67, vcc_lo, v3, v5
	v_subrev_co_ci_u32_e64 v68, null, 0, v4, vcc_lo
	v_and_b32_sdwa v74, v71, v41 dst_sel:DWORD dst_unused:UNUSED_PAD src0_sel:DWORD src1_sel:WORD_1
	v_sub_nc_u32_e32 v76, v34, v76
	v_sub_nc_u32_e32 v75, v34, v75
	v_cmp_eq_u32_e32 vcc_lo, 1, v28
	v_lshrrev_b32_e32 v27, 8, v35
	v_add_nc_u32_e32 v65, v63, v48
	v_and_b32_e32 v70, 1, v35
	v_sub_nc_u32_e32 v63, v63, v8
	v_add_nc_u32_e32 v76, 1, v76
	v_cndmask_b32_e32 v25, v75, v25, vcc_lo
	v_cmp_eq_u32_e32 vcc_lo, 1, v74
	v_add_nc_u32_e32 v64, v62, v64
	v_and_b32_e32 v27, 1, v27
	v_sub_nc_u32_e32 v62, v62, v7
	v_add_nc_u32_e32 v63, v63, v5
	v_cndmask_b32_e32 v30, v76, v30, vcc_lo
	v_cmp_eq_u32_e32 vcc_lo, 1, v70
	v_and_b32_e32 v48, 1, v48
	v_add_nc_u32_e32 v61, v65, v61
	v_add_nc_u32_e32 v74, v63, v62
	v_and_b32_sdwa v35, v71, v35 dst_sel:DWORD dst_unused:UNUSED_PAD src0_sel:DWORD src1_sel:WORD_1
	v_cndmask_b32_e32 v70, v25, v26, vcc_lo
	v_cmp_eq_u32_e32 vcc_lo, 1, v27
	v_sub_nc_u32_e32 v65, v65, v8
	v_add_nc_u32_e32 v66, v64, v47
	v_add_nc_u32_e32 v60, v61, v60
	v_sub_nc_u32_e32 v61, v61, v8
	v_cndmask_b32_e32 v27, v30, v29, vcc_lo
	v_sub_nc_u32_e32 v29, v34, v74
	v_add_co_u32 v25, vcc_lo, v67, v8
	v_add_co_ci_u32_e64 v26, null, 0, v68, vcc_lo
	v_add_nc_u32_e32 v29, 2, v29
	v_cmp_eq_u32_e32 vcc_lo, 1, v48
	v_sub_nc_u32_e32 v48, v64, v7
	v_lshlrev_b32_e32 v30, 2, v70
	v_add_nc_u32_e32 v61, v61, v5
	v_lshlrev_b32_e32 v27, 2, v27
	v_cndmask_b32_e32 v29, v29, v63, vcc_lo
	v_add_nc_u32_e32 v63, v65, v5
	v_cmp_eq_u32_e32 vcc_lo, 1, v35
	v_sub_nc_u32_e32 v35, v66, v7
	v_lshrrev_b32_e32 v12, 8, v36
	ds_write_b32 v30, v23
	ds_write_b32 v27, v24
	v_and_b32_e32 v30, 1, v36
	v_cndmask_b32_e32 v29, v29, v62, vcc_lo
	v_add_nc_u32_e32 v62, v48, v63
	v_add_nc_u32_e32 v24, v35, v61
	;; [unrolled: 1-line block ×3, first 2 shown]
	v_and_b32_e32 v12, 1, v12
	v_lshlrev_b32_e32 v23, 2, v29
	v_sub_nc_u32_e32 v27, v34, v62
	v_and_b32_e32 v29, 1, v47
	v_sub_nc_u32_e32 v47, v60, v8
	v_sub_nc_u32_e32 v24, v34, v24
	v_cmp_eq_u32_e32 vcc_lo, 1, v30
	v_add_nc_u32_e32 v27, 3, v27
	v_add_nc_u32_e32 v57, v59, v57
	v_sub_nc_u32_e32 v59, v59, v7
	v_add_nc_u32_e32 v47, v47, v5
	v_add_nc_u32_e32 v24, 4, v24
	v_cndmask_b32_e32 v27, v27, v63, vcc_lo
	v_cmp_eq_u32_e32 vcc_lo, 1, v12
	v_add_nc_u32_e32 v58, v60, v58
	v_and_b32_e32 v30, 1, v37
	v_add_nc_u32_e32 v60, v59, v47
	v_lshrrev_b32_e32 v11, 8, v37
	v_cndmask_b32_e32 v12, v24, v61, vcc_lo
	v_cmp_eq_u32_e32 vcc_lo, 1, v29
	ds_write_b32 v23, v21
	v_and_b32_sdwa v23, v71, v36 dst_sel:DWORD dst_unused:UNUSED_PAD src0_sel:DWORD src1_sel:WORD_1
	v_add_nc_u32_e32 v72, v58, v46
	v_and_b32_e32 v11, 1, v11
	v_cndmask_b32_e32 v24, v27, v48, vcc_lo
	v_sub_nc_u32_e32 v27, v34, v60
	v_cmp_eq_u32_e32 vcc_lo, 1, v30
	v_add_nc_u32_e32 v52, v57, v52
	v_sub_nc_u32_e32 v29, v72, v8
	v_lshlrev_b32_e32 v21, 2, v24
	v_add_nc_u32_e32 v24, 5, v27
	v_cndmask_b32_e32 v12, v12, v35, vcc_lo
	v_sub_nc_u32_e32 v27, v58, v8
	v_cmp_eq_u32_e32 vcc_lo, 1, v23
	v_add_nc_u32_e32 v29, v29, v5
	v_add_nc_u32_e32 v56, v72, v56
	v_lshlrev_b32_e32 v12, 2, v12
	v_add_nc_u32_e32 v27, v27, v5
	v_cndmask_b32_e32 v23, v24, v47, vcc_lo
	v_sub_nc_u32_e32 v24, v57, v7
	v_cmp_eq_u32_e32 vcc_lo, 1, v11
	ds_write_b32 v21, v22
	ds_write_b32 v12, v19
	v_and_b32_e32 v22, 1, v46
	v_and_b32_e32 v35, 1, v38
	v_add_nc_u32_e32 v30, v24, v27
	v_cndmask_b32_e32 v11, v23, v59, vcc_lo
	v_sub_nc_u32_e32 v23, v52, v7
	v_cmp_eq_u32_e32 vcc_lo, 1, v22
	v_add_nc_u32_e32 v73, v52, v45
	v_sub_nc_u32_e32 v19, v34, v30
	v_sub_nc_u32_e32 v30, v56, v8
	v_add_nc_u32_e32 v12, v23, v29
	v_and_b32_sdwa v21, v71, v37 dst_sel:DWORD dst_unused:UNUSED_PAD src0_sel:DWORD src1_sel:WORD_1
	v_sub_nc_u32_e32 v36, v73, v7
	v_add_nc_u32_e32 v19, 6, v19
	v_add_nc_u32_e32 v30, v30, v5
	v_sub_nc_u32_e32 v12, v34, v12
	v_and_b32_e32 v22, 1, v45
	v_lshrrev_b32_e32 v10, 8, v38
	v_cndmask_b32_e32 v19, v19, v27, vcc_lo
	v_cmp_eq_u32_e32 vcc_lo, 1, v35
	v_add_nc_u32_e32 v12, 7, v12
	v_add_nc_u32_e32 v55, v56, v55
	;; [unrolled: 1-line block ×4, first 2 shown]
	v_and_b32_e32 v10, 1, v10
	v_cndmask_b32_e32 v12, v12, v29, vcc_lo
	v_cmp_eq_u32_e32 vcc_lo, 1, v21
	v_sub_nc_u32_e32 v21, v34, v27
	v_add_nc_u32_e32 v53, v55, v53
	v_lshlrev_b32_e32 v11, 2, v11
	v_add_nc_u32_e32 v51, v54, v51
	v_cndmask_b32_e32 v19, v19, v24, vcc_lo
	v_cmp_eq_u32_e32 vcc_lo, 1, v22
	v_sub_nc_u32_e32 v22, v55, v8
	v_add_nc_u32_e32 v21, 8, v21
	v_sub_nc_u32_e32 v24, v54, v7
	v_lshlrev_b32_e32 v19, 2, v19
	v_cndmask_b32_e32 v12, v12, v23, vcc_lo
	v_add_nc_u32_e32 v22, v22, v5
	v_cmp_eq_u32_e32 vcc_lo, 1, v10
	v_add_nc_u32_e32 v77, v53, v44
	v_and_b32_e32 v23, 1, v40
	v_lshlrev_b32_e32 v12, 2, v12
	ds_write_b32 v11, v20
	ds_write_b32 v19, v17
	;; [unrolled: 1-line block ×3, first 2 shown]
	v_cndmask_b32_e32 v10, v21, v30, vcc_lo
	v_add_nc_u32_e32 v21, v24, v22
	v_sub_nc_u32_e32 v12, v53, v8
	v_lshrrev_b32_e32 v9, 8, v40
	v_add_nc_u32_e32 v49, v51, v49
	v_cmp_eq_u32_e32 vcc_lo, 1, v23
	v_sub_nc_u32_e32 v11, v34, v21
	v_and_b32_sdwa v17, v71, v38 dst_sel:DWORD dst_unused:UNUSED_PAD src0_sel:DWORD src1_sel:WORD_1
	v_sub_nc_u32_e32 v18, v51, v7
	v_sub_nc_u32_e32 v19, v77, v8
	v_add_nc_u32_e32 v12, v12, v5
	v_cndmask_b32_e32 v10, v10, v36, vcc_lo
	v_and_b32_e32 v9, 1, v9
	v_add_nc_u32_e32 v11, 9, v11
	v_cmp_eq_u32_e32 vcc_lo, 1, v17
	v_sub_nc_u32_e32 v17, v49, v7
	v_add_nc_u32_e32 v19, v19, v5
	v_add_nc_u32_e32 v20, v18, v12
	;; [unrolled: 1-line block ×3, first 2 shown]
	v_cndmask_b32_e32 v11, v11, v22, vcc_lo
	v_cmp_eq_u32_e32 vcc_lo, 1, v9
	v_add_nc_u32_e32 v21, v17, v19
	v_sub_nc_u32_e32 v20, v34, v20
	v_and_b32_e32 v23, 1, v44
	v_add_nc_u32_e32 v50, v49, v43
	v_cndmask_b32_e32 v9, v11, v24, vcc_lo
	v_sub_nc_u32_e32 v11, v28, v8
	v_sub_nc_u32_e32 v21, v34, v21
	v_add_nc_u32_e32 v20, 10, v20
	v_and_b32_e32 v24, 1, v39
	v_cmp_eq_u32_e32 vcc_lo, 1, v23
	v_and_b32_sdwa v22, v71, v40 dst_sel:DWORD dst_unused:UNUSED_PAD src0_sel:DWORD src1_sel:WORD_1
	v_sub_nc_u32_e32 v7, v50, v7
	v_add_nc_u32_e32 v11, v11, v5
	v_add_nc_u32_e32 v21, 11, v21
	v_cndmask_b32_e32 v12, v20, v12, vcc_lo
	v_cmp_eq_u32_e32 vcc_lo, 1, v24
	v_and_b32_e32 v20, 1, v43
	v_add_nc_u32_e32 v27, v7, v11
	v_lshlrev_b32_e32 v10, 2, v10
	v_lshlrev_b32_e32 v9, 2, v9
	v_cndmask_b32_e32 v19, v21, v19, vcc_lo
	v_cmp_eq_u32_e32 vcc_lo, 1, v22
	v_sub_nc_u32_e32 v23, v34, v27
	v_cndmask_b32_e32 v12, v12, v18, vcc_lo
	v_and_b32_e32 v18, 1, v42
	v_cmp_eq_u32_e32 vcc_lo, 1, v20
	v_add_nc_u32_e32 v21, 12, v23
	v_lshlrev_b32_e32 v12, 2, v12
	v_cndmask_b32_e32 v17, v19, v17, vcc_lo
	v_and_b32_e32 v19, 1, v41
	v_cmp_eq_u32_e32 vcc_lo, 1, v18
	v_lshlrev_b32_e32 v17, 2, v17
	ds_write_b32 v10, v15
	ds_write_b32 v9, v16
	;; [unrolled: 1-line block ×4, first 2 shown]
	v_cndmask_b32_e32 v11, v21, v11, vcc_lo
	v_cmp_eq_u32_e32 vcc_lo, 1, v19
	v_add_co_u32 v9, s1, v6, v69
	v_add_co_ci_u32_e64 v10, null, 0, 0, s1
	v_cndmask_b32_e32 v7, v11, v7, vcc_lo
	v_add_co_u32 v11, s1, s34, v31
	v_add_co_ci_u32_e64 v12, null, s35, 0, s1
	v_lshlrev_b32_e32 v7, 2, v7
	v_add_nc_u32_e32 v14, v5, v6
	ds_write_b32 v7, v33
	v_add_co_u32 v7, vcc_lo, v9, v25
	v_add_co_ci_u32_e64 v9, null, v10, v26, vcc_lo
	s_waitcnt lgkmcnt(0)
	v_add_co_u32 v7, vcc_lo, v7, v1
	v_add_co_ci_u32_e64 v13, null, v9, v2, vcc_lo
	v_lshlrev_b64 v[9:10], 2, v[25:26]
	v_sub_co_u32 v7, vcc_lo, v11, v7
	v_sub_co_ci_u32_e64 v13, null, v12, v13, vcc_lo
	v_lshlrev_b64 v[11:12], 2, v[1:2]
	v_add_co_u32 v9, vcc_lo, s30, v9
	v_add_co_ci_u32_e64 v10, null, s31, v10, vcc_lo
	v_cmp_ne_u32_e32 vcc_lo, 1, v32
	v_add_co_u32 v11, s1, s28, v11
	v_add_co_ci_u32_e64 v12, null, s29, v12, s1
	s_mov_b32 s1, -1
	s_barrier
	buffer_gl0_inv
	s_cbranch_vccz .LBB152_155
; %bb.152:
	s_and_b32 vcc_lo, exec_lo, s1
	s_cbranch_vccnz .LBB152_260
.LBB152_153:
	s_and_b32 s0, s0, s26
	s_and_saveexec_b32 s1, s0
	s_cbranch_execnz .LBB152_378
.LBB152_154:
	s_endpgm
.LBB152_155:
	s_mov_b32 s1, exec_lo
	v_cmpx_ge_u32_e64 v0, v5
	s_xor_b32 s1, exec_lo, s1
	s_cbranch_execz .LBB152_161
; %bb.156:
	s_mov_b32 s2, exec_lo
	v_cmpx_ge_u32_e64 v0, v14
	s_xor_b32 s2, exec_lo, s2
	s_cbranch_execz .LBB152_158
; %bb.157:
	v_lshlrev_b32_e32 v15, 2, v0
	ds_read_b32 v17, v15
	v_add_co_u32 v15, vcc_lo, v7, v0
	v_add_co_ci_u32_e64 v16, null, 0, v13, vcc_lo
	v_lshlrev_b64 v[15:16], 2, v[15:16]
	v_sub_co_u32 v15, vcc_lo, s14, v15
	v_sub_co_ci_u32_e64 v16, null, s15, v16, vcc_lo
	s_waitcnt lgkmcnt(0)
	global_store_dword v[15:16], v17, off offset:-4
.LBB152_158:
	s_andn2_saveexec_b32 s2, s2
	s_cbranch_execz .LBB152_160
; %bb.159:
	v_lshlrev_b32_e32 v15, 2, v0
	v_readfirstlane_b32 s6, v9
	v_readfirstlane_b32 s7, v10
	ds_read_b32 v16, v15
	s_waitcnt lgkmcnt(0)
	global_store_dword v15, v16, s[6:7]
.LBB152_160:
	s_or_b32 exec_lo, exec_lo, s2
.LBB152_161:
	s_andn2_saveexec_b32 s1, s1
	s_cbranch_execz .LBB152_163
; %bb.162:
	v_lshlrev_b32_e32 v15, 2, v0
	v_readfirstlane_b32 s2, v11
	v_readfirstlane_b32 s3, v12
	ds_read_b32 v16, v15
	s_waitcnt lgkmcnt(0)
	global_store_dword v15, v16, s[2:3]
.LBB152_163:
	s_or_b32 exec_lo, exec_lo, s1
	v_or_b32_e32 v15, 0x100, v0
	s_mov_b32 s1, exec_lo
	v_cmpx_ge_u32_e64 v15, v5
	s_xor_b32 s1, exec_lo, s1
	s_cbranch_execz .LBB152_169
; %bb.164:
	s_mov_b32 s2, exec_lo
	v_cmpx_ge_u32_e64 v15, v14
	s_xor_b32 s2, exec_lo, s2
	s_cbranch_execz .LBB152_166
; %bb.165:
	v_lshlrev_b32_e32 v15, 2, v0
	ds_read_b32 v17, v15 offset:1024
	v_add_co_u32 v15, vcc_lo, v7, v0
	v_add_co_ci_u32_e64 v16, null, 0, v13, vcc_lo
	v_lshlrev_b64 v[15:16], 2, v[15:16]
	v_sub_co_u32 v15, vcc_lo, s14, v15
	v_sub_co_ci_u32_e64 v16, null, s15, v16, vcc_lo
	s_waitcnt lgkmcnt(0)
	global_store_dword v[15:16], v17, off offset:-1028
.LBB152_166:
	s_andn2_saveexec_b32 s2, s2
	s_cbranch_execz .LBB152_168
; %bb.167:
	v_lshlrev_b32_e32 v15, 2, v0
	v_readfirstlane_b32 s6, v9
	v_readfirstlane_b32 s7, v10
	ds_read_b32 v16, v15 offset:1024
	s_waitcnt lgkmcnt(0)
	global_store_dword v15, v16, s[6:7] offset:1024
.LBB152_168:
	s_or_b32 exec_lo, exec_lo, s2
.LBB152_169:
	s_andn2_saveexec_b32 s1, s1
	s_cbranch_execz .LBB152_171
; %bb.170:
	v_lshlrev_b32_e32 v15, 2, v0
	v_readfirstlane_b32 s2, v11
	v_readfirstlane_b32 s3, v12
	ds_read_b32 v16, v15 offset:1024
	s_waitcnt lgkmcnt(0)
	global_store_dword v15, v16, s[2:3] offset:1024
.LBB152_171:
	s_or_b32 exec_lo, exec_lo, s1
	v_or_b32_e32 v15, 0x200, v0
	s_mov_b32 s1, exec_lo
	v_cmpx_ge_u32_e64 v15, v5
	s_xor_b32 s1, exec_lo, s1
	s_cbranch_execz .LBB152_177
; %bb.172:
	s_mov_b32 s2, exec_lo
	v_cmpx_ge_u32_e64 v15, v14
	s_xor_b32 s2, exec_lo, s2
	s_cbranch_execz .LBB152_174
; %bb.173:
	v_lshlrev_b32_e32 v17, 2, v0
	v_add_co_u32 v15, vcc_lo, v7, v0
	v_add_co_ci_u32_e64 v16, null, 0, v13, vcc_lo
	ds_read_b32 v17, v17 offset:2048
	v_lshlrev_b64 v[15:16], 2, v[15:16]
	v_sub_co_u32 v15, vcc_lo, s14, v15
	v_sub_co_ci_u32_e64 v16, null, s15, v16, vcc_lo
	v_add_co_u32 v15, vcc_lo, 0xfffff800, v15
	v_add_co_ci_u32_e64 v16, null, -1, v16, vcc_lo
	s_waitcnt lgkmcnt(0)
	global_store_dword v[15:16], v17, off offset:-4
                                        ; implicit-def: $vgpr15
.LBB152_174:
	s_andn2_saveexec_b32 s2, s2
	s_cbranch_execz .LBB152_176
; %bb.175:
	v_lshlrev_b32_e32 v16, 2, v0
	v_lshlrev_b32_e32 v15, 2, v15
	v_readfirstlane_b32 s6, v9
	v_readfirstlane_b32 s7, v10
	ds_read_b32 v16, v16 offset:2048
	s_waitcnt lgkmcnt(0)
	global_store_dword v15, v16, s[6:7]
.LBB152_176:
	s_or_b32 exec_lo, exec_lo, s2
                                        ; implicit-def: $vgpr15
.LBB152_177:
	s_andn2_saveexec_b32 s1, s1
	s_cbranch_execz .LBB152_179
; %bb.178:
	v_lshlrev_b32_e32 v16, 2, v0
	v_lshlrev_b32_e32 v15, 2, v15
	v_readfirstlane_b32 s2, v11
	v_readfirstlane_b32 s3, v12
	ds_read_b32 v16, v16 offset:2048
	s_waitcnt lgkmcnt(0)
	global_store_dword v15, v16, s[2:3]
.LBB152_179:
	s_or_b32 exec_lo, exec_lo, s1
	v_or_b32_e32 v15, 0x300, v0
	s_mov_b32 s1, exec_lo
	v_cmpx_ge_u32_e64 v15, v5
	s_xor_b32 s1, exec_lo, s1
	s_cbranch_execz .LBB152_185
; %bb.180:
	s_mov_b32 s2, exec_lo
	v_cmpx_ge_u32_e64 v15, v14
	s_xor_b32 s2, exec_lo, s2
	s_cbranch_execz .LBB152_182
; %bb.181:
	v_lshlrev_b32_e32 v16, 2, v0
	v_add_co_u32 v15, vcc_lo, v7, v15
	ds_read_b32 v17, v16 offset:3072
	v_add_co_ci_u32_e64 v16, null, 0, v13, vcc_lo
	v_lshlrev_b64 v[15:16], 2, v[15:16]
	v_sub_co_u32 v15, vcc_lo, s14, v15
	v_sub_co_ci_u32_e64 v16, null, s15, v16, vcc_lo
	s_waitcnt lgkmcnt(0)
	global_store_dword v[15:16], v17, off offset:-4
                                        ; implicit-def: $vgpr15
.LBB152_182:
	s_andn2_saveexec_b32 s2, s2
	s_cbranch_execz .LBB152_184
; %bb.183:
	v_lshlrev_b32_e32 v16, 2, v0
	v_lshlrev_b32_e32 v15, 2, v15
	v_readfirstlane_b32 s6, v9
	v_readfirstlane_b32 s7, v10
	ds_read_b32 v16, v16 offset:3072
	s_waitcnt lgkmcnt(0)
	global_store_dword v15, v16, s[6:7]
.LBB152_184:
	s_or_b32 exec_lo, exec_lo, s2
                                        ; implicit-def: $vgpr15
.LBB152_185:
	s_andn2_saveexec_b32 s1, s1
	s_cbranch_execz .LBB152_187
; %bb.186:
	v_lshlrev_b32_e32 v16, 2, v0
	v_lshlrev_b32_e32 v15, 2, v15
	v_readfirstlane_b32 s2, v11
	v_readfirstlane_b32 s3, v12
	ds_read_b32 v16, v16 offset:3072
	s_waitcnt lgkmcnt(0)
	global_store_dword v15, v16, s[2:3]
.LBB152_187:
	s_or_b32 exec_lo, exec_lo, s1
	v_or_b32_e32 v15, 0x400, v0
	s_mov_b32 s1, exec_lo
	v_cmpx_ge_u32_e64 v15, v5
	s_xor_b32 s1, exec_lo, s1
	s_cbranch_execz .LBB152_193
; %bb.188:
	s_mov_b32 s2, exec_lo
	v_cmpx_ge_u32_e64 v15, v14
	s_xor_b32 s2, exec_lo, s2
	s_cbranch_execz .LBB152_190
; %bb.189:
	v_lshlrev_b32_e32 v16, 2, v0
	v_add_co_u32 v15, vcc_lo, v7, v15
	ds_read_b32 v17, v16 offset:4096
	v_add_co_ci_u32_e64 v16, null, 0, v13, vcc_lo
	v_lshlrev_b64 v[15:16], 2, v[15:16]
	v_sub_co_u32 v15, vcc_lo, s14, v15
	v_sub_co_ci_u32_e64 v16, null, s15, v16, vcc_lo
	s_waitcnt lgkmcnt(0)
	global_store_dword v[15:16], v17, off offset:-4
                                        ; implicit-def: $vgpr15
.LBB152_190:
	s_andn2_saveexec_b32 s2, s2
	s_cbranch_execz .LBB152_192
; %bb.191:
	v_lshlrev_b32_e32 v16, 2, v0
	v_lshlrev_b32_e32 v15, 2, v15
	v_readfirstlane_b32 s6, v9
	v_readfirstlane_b32 s7, v10
	ds_read_b32 v16, v16 offset:4096
	s_waitcnt lgkmcnt(0)
	global_store_dword v15, v16, s[6:7]
.LBB152_192:
	s_or_b32 exec_lo, exec_lo, s2
                                        ; implicit-def: $vgpr15
.LBB152_193:
	;; [unrolled: 48-line block ×10, first 2 shown]
	s_andn2_saveexec_b32 s1, s1
	s_cbranch_execz .LBB152_259
; %bb.258:
	v_lshlrev_b32_e32 v16, 2, v0
	v_lshlrev_b32_e32 v15, 2, v15
	v_readfirstlane_b32 s2, v11
	v_readfirstlane_b32 s3, v12
	ds_read_b32 v16, v16 offset:12288
	s_waitcnt lgkmcnt(0)
	global_store_dword v15, v16, s[2:3]
.LBB152_259:
	s_or_b32 exec_lo, exec_lo, s1
	s_branch .LBB152_153
.LBB152_260:
	s_mov_b32 s1, exec_lo
	v_cmpx_gt_u32_e64 s5, v0
	s_cbranch_execz .LBB152_269
; %bb.261:
	s_mov_b32 s2, exec_lo
	v_cmpx_ge_u32_e64 v0, v5
	s_xor_b32 s2, exec_lo, s2
	s_cbranch_execz .LBB152_267
; %bb.262:
	s_mov_b32 s3, exec_lo
	v_cmpx_ge_u32_e64 v0, v14
	s_xor_b32 s3, exec_lo, s3
	s_cbranch_execz .LBB152_264
; %bb.263:
	v_lshlrev_b32_e32 v15, 2, v0
	ds_read_b32 v17, v15
	v_add_co_u32 v15, vcc_lo, v7, v0
	v_add_co_ci_u32_e64 v16, null, 0, v13, vcc_lo
	v_lshlrev_b64 v[15:16], 2, v[15:16]
	v_sub_co_u32 v15, vcc_lo, s14, v15
	v_sub_co_ci_u32_e64 v16, null, s15, v16, vcc_lo
	s_waitcnt lgkmcnt(0)
	global_store_dword v[15:16], v17, off offset:-4
.LBB152_264:
	s_andn2_saveexec_b32 s3, s3
	s_cbranch_execz .LBB152_266
; %bb.265:
	v_lshlrev_b32_e32 v15, 2, v0
	v_readfirstlane_b32 s6, v9
	v_readfirstlane_b32 s7, v10
	ds_read_b32 v16, v15
	s_waitcnt lgkmcnt(0)
	global_store_dword v15, v16, s[6:7]
.LBB152_266:
	s_or_b32 exec_lo, exec_lo, s3
.LBB152_267:
	s_andn2_saveexec_b32 s2, s2
	s_cbranch_execz .LBB152_269
; %bb.268:
	v_lshlrev_b32_e32 v15, 2, v0
	v_readfirstlane_b32 s2, v11
	v_readfirstlane_b32 s3, v12
	ds_read_b32 v16, v15
	s_waitcnt lgkmcnt(0)
	global_store_dword v15, v16, s[2:3]
.LBB152_269:
	s_or_b32 exec_lo, exec_lo, s1
	v_or_b32_e32 v15, 0x100, v0
	s_mov_b32 s1, exec_lo
	v_cmpx_gt_u32_e64 s5, v15
	s_cbranch_execz .LBB152_278
; %bb.270:
	s_mov_b32 s2, exec_lo
	v_cmpx_ge_u32_e64 v15, v5
	s_xor_b32 s2, exec_lo, s2
	s_cbranch_execz .LBB152_276
; %bb.271:
	s_mov_b32 s3, exec_lo
	v_cmpx_ge_u32_e64 v15, v14
	s_xor_b32 s3, exec_lo, s3
	s_cbranch_execz .LBB152_273
; %bb.272:
	v_lshlrev_b32_e32 v15, 2, v0
	ds_read_b32 v17, v15 offset:1024
	v_add_co_u32 v15, vcc_lo, v7, v0
	v_add_co_ci_u32_e64 v16, null, 0, v13, vcc_lo
	v_lshlrev_b64 v[15:16], 2, v[15:16]
	v_sub_co_u32 v15, vcc_lo, s14, v15
	v_sub_co_ci_u32_e64 v16, null, s15, v16, vcc_lo
	s_waitcnt lgkmcnt(0)
	global_store_dword v[15:16], v17, off offset:-1028
.LBB152_273:
	s_andn2_saveexec_b32 s3, s3
	s_cbranch_execz .LBB152_275
; %bb.274:
	v_lshlrev_b32_e32 v15, 2, v0
	v_readfirstlane_b32 s6, v9
	v_readfirstlane_b32 s7, v10
	ds_read_b32 v16, v15 offset:1024
	s_waitcnt lgkmcnt(0)
	global_store_dword v15, v16, s[6:7] offset:1024
.LBB152_275:
	s_or_b32 exec_lo, exec_lo, s3
.LBB152_276:
	s_andn2_saveexec_b32 s2, s2
	s_cbranch_execz .LBB152_278
; %bb.277:
	v_lshlrev_b32_e32 v15, 2, v0
	v_readfirstlane_b32 s2, v11
	v_readfirstlane_b32 s3, v12
	ds_read_b32 v16, v15 offset:1024
	s_waitcnt lgkmcnt(0)
	global_store_dword v15, v16, s[2:3] offset:1024
.LBB152_278:
	s_or_b32 exec_lo, exec_lo, s1
	v_or_b32_e32 v15, 0x200, v0
	s_mov_b32 s1, exec_lo
	v_cmpx_gt_u32_e64 s5, v15
	s_cbranch_execz .LBB152_287
; %bb.279:
	s_mov_b32 s2, exec_lo
	v_cmpx_ge_u32_e64 v15, v5
	s_xor_b32 s2, exec_lo, s2
	s_cbranch_execz .LBB152_285
; %bb.280:
	s_mov_b32 s3, exec_lo
	v_cmpx_ge_u32_e64 v15, v14
	s_xor_b32 s3, exec_lo, s3
	s_cbranch_execz .LBB152_282
; %bb.281:
	v_lshlrev_b32_e32 v17, 2, v0
	v_add_co_u32 v15, vcc_lo, v7, v0
	v_add_co_ci_u32_e64 v16, null, 0, v13, vcc_lo
	ds_read_b32 v17, v17 offset:2048
	v_lshlrev_b64 v[15:16], 2, v[15:16]
	v_sub_co_u32 v15, vcc_lo, s14, v15
	v_sub_co_ci_u32_e64 v16, null, s15, v16, vcc_lo
	v_add_co_u32 v15, vcc_lo, 0xfffff800, v15
	v_add_co_ci_u32_e64 v16, null, -1, v16, vcc_lo
	s_waitcnt lgkmcnt(0)
	global_store_dword v[15:16], v17, off offset:-4
                                        ; implicit-def: $vgpr15
.LBB152_282:
	s_andn2_saveexec_b32 s3, s3
	s_cbranch_execz .LBB152_284
; %bb.283:
	v_lshlrev_b32_e32 v16, 2, v0
	v_lshlrev_b32_e32 v15, 2, v15
	v_readfirstlane_b32 s6, v9
	v_readfirstlane_b32 s7, v10
	ds_read_b32 v16, v16 offset:2048
	s_waitcnt lgkmcnt(0)
	global_store_dword v15, v16, s[6:7]
.LBB152_284:
	s_or_b32 exec_lo, exec_lo, s3
                                        ; implicit-def: $vgpr15
.LBB152_285:
	s_andn2_saveexec_b32 s2, s2
	s_cbranch_execz .LBB152_287
; %bb.286:
	v_lshlrev_b32_e32 v16, 2, v0
	v_lshlrev_b32_e32 v15, 2, v15
	v_readfirstlane_b32 s2, v11
	v_readfirstlane_b32 s3, v12
	ds_read_b32 v16, v16 offset:2048
	s_waitcnt lgkmcnt(0)
	global_store_dword v15, v16, s[2:3]
.LBB152_287:
	s_or_b32 exec_lo, exec_lo, s1
	v_or_b32_e32 v15, 0x300, v0
	s_mov_b32 s1, exec_lo
	v_cmpx_gt_u32_e64 s5, v15
	s_cbranch_execz .LBB152_296
; %bb.288:
	s_mov_b32 s2, exec_lo
	v_cmpx_ge_u32_e64 v15, v5
	s_xor_b32 s2, exec_lo, s2
	s_cbranch_execz .LBB152_294
; %bb.289:
	s_mov_b32 s3, exec_lo
	v_cmpx_ge_u32_e64 v15, v14
	s_xor_b32 s3, exec_lo, s3
	s_cbranch_execz .LBB152_291
; %bb.290:
	v_lshlrev_b32_e32 v16, 2, v0
	v_add_co_u32 v15, vcc_lo, v7, v15
	ds_read_b32 v17, v16 offset:3072
	v_add_co_ci_u32_e64 v16, null, 0, v13, vcc_lo
	v_lshlrev_b64 v[15:16], 2, v[15:16]
	v_sub_co_u32 v15, vcc_lo, s14, v15
	v_sub_co_ci_u32_e64 v16, null, s15, v16, vcc_lo
	s_waitcnt lgkmcnt(0)
	global_store_dword v[15:16], v17, off offset:-4
                                        ; implicit-def: $vgpr15
.LBB152_291:
	s_andn2_saveexec_b32 s3, s3
	s_cbranch_execz .LBB152_293
; %bb.292:
	v_lshlrev_b32_e32 v16, 2, v0
	v_lshlrev_b32_e32 v15, 2, v15
	v_readfirstlane_b32 s6, v9
	v_readfirstlane_b32 s7, v10
	ds_read_b32 v16, v16 offset:3072
	s_waitcnt lgkmcnt(0)
	global_store_dword v15, v16, s[6:7]
.LBB152_293:
	s_or_b32 exec_lo, exec_lo, s3
                                        ; implicit-def: $vgpr15
.LBB152_294:
	s_andn2_saveexec_b32 s2, s2
	s_cbranch_execz .LBB152_296
; %bb.295:
	v_lshlrev_b32_e32 v16, 2, v0
	v_lshlrev_b32_e32 v15, 2, v15
	v_readfirstlane_b32 s2, v11
	v_readfirstlane_b32 s3, v12
	ds_read_b32 v16, v16 offset:3072
	s_waitcnt lgkmcnt(0)
	global_store_dword v15, v16, s[2:3]
.LBB152_296:
	s_or_b32 exec_lo, exec_lo, s1
	v_or_b32_e32 v15, 0x400, v0
	s_mov_b32 s1, exec_lo
	v_cmpx_gt_u32_e64 s5, v15
	s_cbranch_execz .LBB152_305
; %bb.297:
	s_mov_b32 s2, exec_lo
	v_cmpx_ge_u32_e64 v15, v5
	s_xor_b32 s2, exec_lo, s2
	s_cbranch_execz .LBB152_303
; %bb.298:
	s_mov_b32 s3, exec_lo
	v_cmpx_ge_u32_e64 v15, v14
	s_xor_b32 s3, exec_lo, s3
	s_cbranch_execz .LBB152_300
; %bb.299:
	v_lshlrev_b32_e32 v16, 2, v0
	v_add_co_u32 v15, vcc_lo, v7, v15
	ds_read_b32 v17, v16 offset:4096
	v_add_co_ci_u32_e64 v16, null, 0, v13, vcc_lo
	v_lshlrev_b64 v[15:16], 2, v[15:16]
	v_sub_co_u32 v15, vcc_lo, s14, v15
	v_sub_co_ci_u32_e64 v16, null, s15, v16, vcc_lo
	s_waitcnt lgkmcnt(0)
	global_store_dword v[15:16], v17, off offset:-4
                                        ; implicit-def: $vgpr15
.LBB152_300:
	s_andn2_saveexec_b32 s3, s3
	s_cbranch_execz .LBB152_302
; %bb.301:
	v_lshlrev_b32_e32 v16, 2, v0
	v_lshlrev_b32_e32 v15, 2, v15
	v_readfirstlane_b32 s6, v9
	v_readfirstlane_b32 s7, v10
	ds_read_b32 v16, v16 offset:4096
	s_waitcnt lgkmcnt(0)
	global_store_dword v15, v16, s[6:7]
.LBB152_302:
	s_or_b32 exec_lo, exec_lo, s3
                                        ; implicit-def: $vgpr15
.LBB152_303:
	s_andn2_saveexec_b32 s2, s2
	s_cbranch_execz .LBB152_305
; %bb.304:
	v_lshlrev_b32_e32 v16, 2, v0
	v_lshlrev_b32_e32 v15, 2, v15
	v_readfirstlane_b32 s2, v11
	v_readfirstlane_b32 s3, v12
	ds_read_b32 v16, v16 offset:4096
	s_waitcnt lgkmcnt(0)
	global_store_dword v15, v16, s[2:3]
.LBB152_305:
	s_or_b32 exec_lo, exec_lo, s1
	v_or_b32_e32 v15, 0x500, v0
	s_mov_b32 s1, exec_lo
	v_cmpx_gt_u32_e64 s5, v15
	s_cbranch_execz .LBB152_314
; %bb.306:
	s_mov_b32 s2, exec_lo
	v_cmpx_ge_u32_e64 v15, v5
	s_xor_b32 s2, exec_lo, s2
	s_cbranch_execz .LBB152_312
; %bb.307:
	s_mov_b32 s3, exec_lo
	v_cmpx_ge_u32_e64 v15, v14
	s_xor_b32 s3, exec_lo, s3
	s_cbranch_execz .LBB152_309
; %bb.308:
	v_lshlrev_b32_e32 v16, 2, v0
	v_add_co_u32 v15, vcc_lo, v7, v15
	ds_read_b32 v17, v16 offset:5120
	v_add_co_ci_u32_e64 v16, null, 0, v13, vcc_lo
	v_lshlrev_b64 v[15:16], 2, v[15:16]
	v_sub_co_u32 v15, vcc_lo, s14, v15
	v_sub_co_ci_u32_e64 v16, null, s15, v16, vcc_lo
	s_waitcnt lgkmcnt(0)
	global_store_dword v[15:16], v17, off offset:-4
                                        ; implicit-def: $vgpr15
.LBB152_309:
	s_andn2_saveexec_b32 s3, s3
	s_cbranch_execz .LBB152_311
; %bb.310:
	v_lshlrev_b32_e32 v16, 2, v0
	v_lshlrev_b32_e32 v15, 2, v15
	v_readfirstlane_b32 s6, v9
	v_readfirstlane_b32 s7, v10
	ds_read_b32 v16, v16 offset:5120
	s_waitcnt lgkmcnt(0)
	global_store_dword v15, v16, s[6:7]
.LBB152_311:
	s_or_b32 exec_lo, exec_lo, s3
                                        ; implicit-def: $vgpr15
.LBB152_312:
	s_andn2_saveexec_b32 s2, s2
	s_cbranch_execz .LBB152_314
; %bb.313:
	v_lshlrev_b32_e32 v16, 2, v0
	v_lshlrev_b32_e32 v15, 2, v15
	v_readfirstlane_b32 s2, v11
	v_readfirstlane_b32 s3, v12
	ds_read_b32 v16, v16 offset:5120
	s_waitcnt lgkmcnt(0)
	global_store_dword v15, v16, s[2:3]
.LBB152_314:
	s_or_b32 exec_lo, exec_lo, s1
	v_or_b32_e32 v15, 0x600, v0
	s_mov_b32 s1, exec_lo
	v_cmpx_gt_u32_e64 s5, v15
	s_cbranch_execz .LBB152_323
; %bb.315:
	s_mov_b32 s2, exec_lo
	v_cmpx_ge_u32_e64 v15, v5
	s_xor_b32 s2, exec_lo, s2
	s_cbranch_execz .LBB152_321
; %bb.316:
	s_mov_b32 s3, exec_lo
	v_cmpx_ge_u32_e64 v15, v14
	s_xor_b32 s3, exec_lo, s3
	s_cbranch_execz .LBB152_318
; %bb.317:
	v_lshlrev_b32_e32 v16, 2, v0
	v_add_co_u32 v15, vcc_lo, v7, v15
	ds_read_b32 v17, v16 offset:6144
	v_add_co_ci_u32_e64 v16, null, 0, v13, vcc_lo
	v_lshlrev_b64 v[15:16], 2, v[15:16]
	v_sub_co_u32 v15, vcc_lo, s14, v15
	v_sub_co_ci_u32_e64 v16, null, s15, v16, vcc_lo
	s_waitcnt lgkmcnt(0)
	global_store_dword v[15:16], v17, off offset:-4
                                        ; implicit-def: $vgpr15
.LBB152_318:
	s_andn2_saveexec_b32 s3, s3
	s_cbranch_execz .LBB152_320
; %bb.319:
	v_lshlrev_b32_e32 v16, 2, v0
	v_lshlrev_b32_e32 v15, 2, v15
	v_readfirstlane_b32 s6, v9
	v_readfirstlane_b32 s7, v10
	ds_read_b32 v16, v16 offset:6144
	s_waitcnt lgkmcnt(0)
	global_store_dword v15, v16, s[6:7]
.LBB152_320:
	s_or_b32 exec_lo, exec_lo, s3
                                        ; implicit-def: $vgpr15
.LBB152_321:
	s_andn2_saveexec_b32 s2, s2
	s_cbranch_execz .LBB152_323
; %bb.322:
	v_lshlrev_b32_e32 v16, 2, v0
	v_lshlrev_b32_e32 v15, 2, v15
	v_readfirstlane_b32 s2, v11
	v_readfirstlane_b32 s3, v12
	ds_read_b32 v16, v16 offset:6144
	s_waitcnt lgkmcnt(0)
	global_store_dword v15, v16, s[2:3]
.LBB152_323:
	s_or_b32 exec_lo, exec_lo, s1
	v_or_b32_e32 v15, 0x700, v0
	s_mov_b32 s1, exec_lo
	v_cmpx_gt_u32_e64 s5, v15
	s_cbranch_execz .LBB152_332
; %bb.324:
	s_mov_b32 s2, exec_lo
	v_cmpx_ge_u32_e64 v15, v5
	s_xor_b32 s2, exec_lo, s2
	s_cbranch_execz .LBB152_330
; %bb.325:
	s_mov_b32 s3, exec_lo
	v_cmpx_ge_u32_e64 v15, v14
	s_xor_b32 s3, exec_lo, s3
	s_cbranch_execz .LBB152_327
; %bb.326:
	v_lshlrev_b32_e32 v16, 2, v0
	v_add_co_u32 v15, vcc_lo, v7, v15
	ds_read_b32 v17, v16 offset:7168
	v_add_co_ci_u32_e64 v16, null, 0, v13, vcc_lo
	v_lshlrev_b64 v[15:16], 2, v[15:16]
	v_sub_co_u32 v15, vcc_lo, s14, v15
	v_sub_co_ci_u32_e64 v16, null, s15, v16, vcc_lo
	s_waitcnt lgkmcnt(0)
	global_store_dword v[15:16], v17, off offset:-4
                                        ; implicit-def: $vgpr15
.LBB152_327:
	s_andn2_saveexec_b32 s3, s3
	s_cbranch_execz .LBB152_329
; %bb.328:
	v_lshlrev_b32_e32 v16, 2, v0
	v_lshlrev_b32_e32 v15, 2, v15
	v_readfirstlane_b32 s6, v9
	v_readfirstlane_b32 s7, v10
	ds_read_b32 v16, v16 offset:7168
	s_waitcnt lgkmcnt(0)
	global_store_dword v15, v16, s[6:7]
.LBB152_329:
	s_or_b32 exec_lo, exec_lo, s3
                                        ; implicit-def: $vgpr15
.LBB152_330:
	s_andn2_saveexec_b32 s2, s2
	s_cbranch_execz .LBB152_332
; %bb.331:
	v_lshlrev_b32_e32 v16, 2, v0
	v_lshlrev_b32_e32 v15, 2, v15
	v_readfirstlane_b32 s2, v11
	v_readfirstlane_b32 s3, v12
	ds_read_b32 v16, v16 offset:7168
	s_waitcnt lgkmcnt(0)
	global_store_dword v15, v16, s[2:3]
.LBB152_332:
	s_or_b32 exec_lo, exec_lo, s1
	v_or_b32_e32 v15, 0x800, v0
	s_mov_b32 s1, exec_lo
	v_cmpx_gt_u32_e64 s5, v15
	s_cbranch_execz .LBB152_341
; %bb.333:
	s_mov_b32 s2, exec_lo
	v_cmpx_ge_u32_e64 v15, v5
	s_xor_b32 s2, exec_lo, s2
	s_cbranch_execz .LBB152_339
; %bb.334:
	s_mov_b32 s3, exec_lo
	v_cmpx_ge_u32_e64 v15, v14
	s_xor_b32 s3, exec_lo, s3
	s_cbranch_execz .LBB152_336
; %bb.335:
	v_lshlrev_b32_e32 v16, 2, v0
	v_add_co_u32 v15, vcc_lo, v7, v15
	ds_read_b32 v17, v16 offset:8192
	v_add_co_ci_u32_e64 v16, null, 0, v13, vcc_lo
	v_lshlrev_b64 v[15:16], 2, v[15:16]
	v_sub_co_u32 v15, vcc_lo, s14, v15
	v_sub_co_ci_u32_e64 v16, null, s15, v16, vcc_lo
	s_waitcnt lgkmcnt(0)
	global_store_dword v[15:16], v17, off offset:-4
                                        ; implicit-def: $vgpr15
.LBB152_336:
	s_andn2_saveexec_b32 s3, s3
	s_cbranch_execz .LBB152_338
; %bb.337:
	v_lshlrev_b32_e32 v16, 2, v0
	v_lshlrev_b32_e32 v15, 2, v15
	v_readfirstlane_b32 s6, v9
	v_readfirstlane_b32 s7, v10
	ds_read_b32 v16, v16 offset:8192
	s_waitcnt lgkmcnt(0)
	global_store_dword v15, v16, s[6:7]
.LBB152_338:
	s_or_b32 exec_lo, exec_lo, s3
                                        ; implicit-def: $vgpr15
.LBB152_339:
	s_andn2_saveexec_b32 s2, s2
	s_cbranch_execz .LBB152_341
; %bb.340:
	v_lshlrev_b32_e32 v16, 2, v0
	v_lshlrev_b32_e32 v15, 2, v15
	v_readfirstlane_b32 s2, v11
	v_readfirstlane_b32 s3, v12
	ds_read_b32 v16, v16 offset:8192
	s_waitcnt lgkmcnt(0)
	global_store_dword v15, v16, s[2:3]
.LBB152_341:
	s_or_b32 exec_lo, exec_lo, s1
	v_or_b32_e32 v15, 0x900, v0
	s_mov_b32 s1, exec_lo
	v_cmpx_gt_u32_e64 s5, v15
	s_cbranch_execz .LBB152_350
; %bb.342:
	s_mov_b32 s2, exec_lo
	v_cmpx_ge_u32_e64 v15, v5
	s_xor_b32 s2, exec_lo, s2
	s_cbranch_execz .LBB152_348
; %bb.343:
	s_mov_b32 s3, exec_lo
	v_cmpx_ge_u32_e64 v15, v14
	s_xor_b32 s3, exec_lo, s3
	s_cbranch_execz .LBB152_345
; %bb.344:
	v_lshlrev_b32_e32 v16, 2, v0
	v_add_co_u32 v15, vcc_lo, v7, v15
	ds_read_b32 v17, v16 offset:9216
	v_add_co_ci_u32_e64 v16, null, 0, v13, vcc_lo
	v_lshlrev_b64 v[15:16], 2, v[15:16]
	v_sub_co_u32 v15, vcc_lo, s14, v15
	v_sub_co_ci_u32_e64 v16, null, s15, v16, vcc_lo
	s_waitcnt lgkmcnt(0)
	global_store_dword v[15:16], v17, off offset:-4
                                        ; implicit-def: $vgpr15
.LBB152_345:
	s_andn2_saveexec_b32 s3, s3
	s_cbranch_execz .LBB152_347
; %bb.346:
	v_lshlrev_b32_e32 v16, 2, v0
	v_lshlrev_b32_e32 v15, 2, v15
	v_readfirstlane_b32 s6, v9
	v_readfirstlane_b32 s7, v10
	ds_read_b32 v16, v16 offset:9216
	s_waitcnt lgkmcnt(0)
	global_store_dword v15, v16, s[6:7]
.LBB152_347:
	s_or_b32 exec_lo, exec_lo, s3
                                        ; implicit-def: $vgpr15
.LBB152_348:
	s_andn2_saveexec_b32 s2, s2
	s_cbranch_execz .LBB152_350
; %bb.349:
	v_lshlrev_b32_e32 v16, 2, v0
	v_lshlrev_b32_e32 v15, 2, v15
	v_readfirstlane_b32 s2, v11
	v_readfirstlane_b32 s3, v12
	ds_read_b32 v16, v16 offset:9216
	s_waitcnt lgkmcnt(0)
	global_store_dword v15, v16, s[2:3]
.LBB152_350:
	s_or_b32 exec_lo, exec_lo, s1
	v_or_b32_e32 v15, 0xa00, v0
	s_mov_b32 s1, exec_lo
	v_cmpx_gt_u32_e64 s5, v15
	s_cbranch_execz .LBB152_359
; %bb.351:
	s_mov_b32 s2, exec_lo
	v_cmpx_ge_u32_e64 v15, v5
	s_xor_b32 s2, exec_lo, s2
	s_cbranch_execz .LBB152_357
; %bb.352:
	s_mov_b32 s3, exec_lo
	v_cmpx_ge_u32_e64 v15, v14
	s_xor_b32 s3, exec_lo, s3
	s_cbranch_execz .LBB152_354
; %bb.353:
	v_lshlrev_b32_e32 v16, 2, v0
	v_add_co_u32 v15, vcc_lo, v7, v15
	ds_read_b32 v17, v16 offset:10240
	v_add_co_ci_u32_e64 v16, null, 0, v13, vcc_lo
	v_lshlrev_b64 v[15:16], 2, v[15:16]
	v_sub_co_u32 v15, vcc_lo, s14, v15
	v_sub_co_ci_u32_e64 v16, null, s15, v16, vcc_lo
	s_waitcnt lgkmcnt(0)
	global_store_dword v[15:16], v17, off offset:-4
                                        ; implicit-def: $vgpr15
.LBB152_354:
	s_andn2_saveexec_b32 s3, s3
	s_cbranch_execz .LBB152_356
; %bb.355:
	v_lshlrev_b32_e32 v16, 2, v0
	v_lshlrev_b32_e32 v15, 2, v15
	v_readfirstlane_b32 s6, v9
	v_readfirstlane_b32 s7, v10
	ds_read_b32 v16, v16 offset:10240
	s_waitcnt lgkmcnt(0)
	global_store_dword v15, v16, s[6:7]
.LBB152_356:
	s_or_b32 exec_lo, exec_lo, s3
                                        ; implicit-def: $vgpr15
.LBB152_357:
	s_andn2_saveexec_b32 s2, s2
	s_cbranch_execz .LBB152_359
; %bb.358:
	v_lshlrev_b32_e32 v16, 2, v0
	v_lshlrev_b32_e32 v15, 2, v15
	v_readfirstlane_b32 s2, v11
	v_readfirstlane_b32 s3, v12
	ds_read_b32 v16, v16 offset:10240
	s_waitcnt lgkmcnt(0)
	global_store_dword v15, v16, s[2:3]
.LBB152_359:
	s_or_b32 exec_lo, exec_lo, s1
	v_or_b32_e32 v15, 0xb00, v0
	s_mov_b32 s1, exec_lo
	v_cmpx_gt_u32_e64 s5, v15
	s_cbranch_execz .LBB152_368
; %bb.360:
	s_mov_b32 s2, exec_lo
	v_cmpx_ge_u32_e64 v15, v5
	s_xor_b32 s2, exec_lo, s2
	s_cbranch_execz .LBB152_366
; %bb.361:
	s_mov_b32 s3, exec_lo
	v_cmpx_ge_u32_e64 v15, v14
	s_xor_b32 s3, exec_lo, s3
	s_cbranch_execz .LBB152_363
; %bb.362:
	v_lshlrev_b32_e32 v16, 2, v0
	v_add_co_u32 v15, vcc_lo, v7, v15
	ds_read_b32 v17, v16 offset:11264
	v_add_co_ci_u32_e64 v16, null, 0, v13, vcc_lo
	v_lshlrev_b64 v[15:16], 2, v[15:16]
	v_sub_co_u32 v15, vcc_lo, s14, v15
	v_sub_co_ci_u32_e64 v16, null, s15, v16, vcc_lo
	s_waitcnt lgkmcnt(0)
	global_store_dword v[15:16], v17, off offset:-4
                                        ; implicit-def: $vgpr15
.LBB152_363:
	s_andn2_saveexec_b32 s3, s3
	s_cbranch_execz .LBB152_365
; %bb.364:
	v_lshlrev_b32_e32 v16, 2, v0
	v_lshlrev_b32_e32 v15, 2, v15
	v_readfirstlane_b32 s6, v9
	v_readfirstlane_b32 s7, v10
	ds_read_b32 v16, v16 offset:11264
	s_waitcnt lgkmcnt(0)
	global_store_dword v15, v16, s[6:7]
.LBB152_365:
	s_or_b32 exec_lo, exec_lo, s3
                                        ; implicit-def: $vgpr15
.LBB152_366:
	s_andn2_saveexec_b32 s2, s2
	s_cbranch_execz .LBB152_368
; %bb.367:
	v_lshlrev_b32_e32 v16, 2, v0
	v_lshlrev_b32_e32 v15, 2, v15
	v_readfirstlane_b32 s2, v11
	v_readfirstlane_b32 s3, v12
	ds_read_b32 v16, v16 offset:11264
	s_waitcnt lgkmcnt(0)
	global_store_dword v15, v16, s[2:3]
.LBB152_368:
	s_or_b32 exec_lo, exec_lo, s1
	v_or_b32_e32 v15, 0xc00, v0
	s_mov_b32 s1, exec_lo
	v_cmpx_gt_u32_e64 s5, v15
	s_cbranch_execz .LBB152_377
; %bb.369:
	s_mov_b32 s2, exec_lo
	v_cmpx_ge_u32_e64 v15, v5
	s_xor_b32 s2, exec_lo, s2
	s_cbranch_execz .LBB152_375
; %bb.370:
	s_mov_b32 s3, exec_lo
	v_cmpx_ge_u32_e64 v15, v14
	s_xor_b32 s3, exec_lo, s3
	s_cbranch_execz .LBB152_372
; %bb.371:
	v_lshlrev_b32_e32 v0, 2, v0
	v_add_co_u32 v9, vcc_lo, v7, v15
	v_add_co_ci_u32_e64 v10, null, 0, v13, vcc_lo
	ds_read_b32 v0, v0 offset:12288
                                        ; implicit-def: $vgpr15
	v_lshlrev_b64 v[9:10], 2, v[9:10]
	v_sub_co_u32 v9, vcc_lo, s14, v9
	v_sub_co_ci_u32_e64 v10, null, s15, v10, vcc_lo
	s_waitcnt lgkmcnt(0)
	global_store_dword v[9:10], v0, off offset:-4
                                        ; implicit-def: $vgpr0
                                        ; implicit-def: $vgpr9_vgpr10
.LBB152_372:
	s_andn2_saveexec_b32 s3, s3
	s_cbranch_execz .LBB152_374
; %bb.373:
	v_lshlrev_b32_e32 v0, 2, v0
	v_lshlrev_b32_e32 v7, 2, v15
	v_readfirstlane_b32 s4, v9
	v_readfirstlane_b32 s5, v10
	ds_read_b32 v0, v0 offset:12288
	s_waitcnt lgkmcnt(0)
	global_store_dword v7, v0, s[4:5]
.LBB152_374:
	s_or_b32 exec_lo, exec_lo, s3
                                        ; implicit-def: $vgpr0
                                        ; implicit-def: $vgpr15
                                        ; implicit-def: $vgpr11_vgpr12
.LBB152_375:
	s_andn2_saveexec_b32 s2, s2
	s_cbranch_execz .LBB152_377
; %bb.376:
	v_lshlrev_b32_e32 v0, 2, v0
	v_lshlrev_b32_e32 v7, 2, v15
	v_readfirstlane_b32 s2, v11
	v_readfirstlane_b32 s3, v12
	ds_read_b32 v0, v0 offset:12288
	s_waitcnt lgkmcnt(0)
	global_store_dword v7, v0, s[2:3]
.LBB152_377:
	s_or_b32 exec_lo, exec_lo, s1
	s_and_b32 s0, s0, s26
	s_and_saveexec_b32 s1, s0
	s_cbranch_execz .LBB152_154
.LBB152_378:
	v_add_co_u32 v0, vcc_lo, v3, v6
	v_add_co_ci_u32_e64 v4, null, 0, v4, vcc_lo
	v_mov_b32_e32 v6, 0
	v_add_co_u32 v3, vcc_lo, v0, v8
	v_add_co_ci_u32_e64 v4, null, 0, v4, vcc_lo
	v_add_co_u32 v1, vcc_lo, v1, v5
	v_add_co_ci_u32_e64 v2, null, 0, v2, vcc_lo
	global_store_dwordx4 v6, v[1:4], s[24:25]
	s_endpgm
.LBB152_379:
	s_add_i32 s8, s27, 32
	s_mov_b32 s9, 0
	v_add_nc_u32_e32 v10, v8, v6
	s_lshl_b64 s[8:9], s[8:9], 4
	v_add_nc_u32_e32 v9, v7, v5
	s_add_u32 s8, s36, s8
	s_addc_u32 s9, s37, s9
	v_mov_b32_e32 v11, 2
	v_mov_b32_e32 v28, s9
	;; [unrolled: 1-line block ×4, first 2 shown]
	;;#ASMSTART
	global_store_dwordx4 v[27:28], v[9:12] off	
s_waitcnt vmcnt(0)
	;;#ASMEND
	s_or_b32 exec_lo, exec_lo, s6
	s_and_saveexec_b32 s6, s3
	s_cbranch_execz .LBB152_139
.LBB152_380:
	v_mov_b32_e32 v9, 0
	ds_write_b128 v9, v[5:8] offset:13312
	s_or_b32 exec_lo, exec_lo, s6
	s_and_b32 exec_lo, exec_lo, s0
	s_cbranch_execnz .LBB152_140
	s_branch .LBB152_141
	.section	.rodata,"a",@progbits
	.p2align	6, 0x0
	.amdhsa_kernel _ZN7rocprim17ROCPRIM_400000_NS6detail17trampoline_kernelINS0_13select_configILj256ELj13ELNS0_17block_load_methodE3ELS4_3ELS4_3ELNS0_20block_scan_algorithmE0ELj4294967295EEENS1_25partition_config_selectorILNS1_17partition_subalgoE4EjNS0_10empty_typeEbEEZZNS1_14partition_implILS8_4ELb0ES6_15HIP_vector_typeIjLj2EENS0_17counting_iteratorIjlEEPS9_SG_NS0_5tupleIJPjSI_NS0_16reverse_iteratorISI_EEEEENSH_IJSG_SG_SG_EEES9_SI_JZNS1_25segmented_radix_sort_implINS0_14default_configELb0EPKhPhPKlPlN2at6native12_GLOBAL__N_18offset_tEEE10hipError_tPvRmT1_PNSt15iterator_traitsIS12_E10value_typeET2_T3_PNS13_IS18_E10value_typeET4_jRbjT5_S1E_jjP12ihipStream_tbEUljE_ZNSN_ISO_Lb0ESQ_SR_ST_SU_SY_EESZ_S10_S11_S12_S16_S17_S18_S1B_S1C_jS1D_jS1E_S1E_jjS1G_bEUljE0_EEESZ_S10_S11_S18_S1C_S1E_T6_T7_T9_mT8_S1G_bDpT10_ENKUlT_T0_E_clISt17integral_constantIbLb0EES1T_IbLb1EEEEDaS1P_S1Q_EUlS1P_E_NS1_11comp_targetILNS1_3genE8ELNS1_11target_archE1030ELNS1_3gpuE2ELNS1_3repE0EEENS1_30default_config_static_selectorELNS0_4arch9wavefront6targetE0EEEvS12_
		.amdhsa_group_segment_fixed_size 13328
		.amdhsa_private_segment_fixed_size 0
		.amdhsa_kernarg_size 184
		.amdhsa_user_sgpr_count 6
		.amdhsa_user_sgpr_private_segment_buffer 1
		.amdhsa_user_sgpr_dispatch_ptr 0
		.amdhsa_user_sgpr_queue_ptr 0
		.amdhsa_user_sgpr_kernarg_segment_ptr 1
		.amdhsa_user_sgpr_dispatch_id 0
		.amdhsa_user_sgpr_flat_scratch_init 0
		.amdhsa_user_sgpr_private_segment_size 0
		.amdhsa_wavefront_size32 1
		.amdhsa_uses_dynamic_stack 0
		.amdhsa_system_sgpr_private_segment_wavefront_offset 0
		.amdhsa_system_sgpr_workgroup_id_x 1
		.amdhsa_system_sgpr_workgroup_id_y 0
		.amdhsa_system_sgpr_workgroup_id_z 0
		.amdhsa_system_sgpr_workgroup_info 0
		.amdhsa_system_vgpr_workitem_id 0
		.amdhsa_next_free_vgpr 87
		.amdhsa_next_free_sgpr 55
		.amdhsa_reserve_vcc 1
		.amdhsa_reserve_flat_scratch 0
		.amdhsa_float_round_mode_32 0
		.amdhsa_float_round_mode_16_64 0
		.amdhsa_float_denorm_mode_32 3
		.amdhsa_float_denorm_mode_16_64 3
		.amdhsa_dx10_clamp 1
		.amdhsa_ieee_mode 1
		.amdhsa_fp16_overflow 0
		.amdhsa_workgroup_processor_mode 1
		.amdhsa_memory_ordered 1
		.amdhsa_forward_progress 1
		.amdhsa_shared_vgpr_count 0
		.amdhsa_exception_fp_ieee_invalid_op 0
		.amdhsa_exception_fp_denorm_src 0
		.amdhsa_exception_fp_ieee_div_zero 0
		.amdhsa_exception_fp_ieee_overflow 0
		.amdhsa_exception_fp_ieee_underflow 0
		.amdhsa_exception_fp_ieee_inexact 0
		.amdhsa_exception_int_div_zero 0
	.end_amdhsa_kernel
	.section	.text._ZN7rocprim17ROCPRIM_400000_NS6detail17trampoline_kernelINS0_13select_configILj256ELj13ELNS0_17block_load_methodE3ELS4_3ELS4_3ELNS0_20block_scan_algorithmE0ELj4294967295EEENS1_25partition_config_selectorILNS1_17partition_subalgoE4EjNS0_10empty_typeEbEEZZNS1_14partition_implILS8_4ELb0ES6_15HIP_vector_typeIjLj2EENS0_17counting_iteratorIjlEEPS9_SG_NS0_5tupleIJPjSI_NS0_16reverse_iteratorISI_EEEEENSH_IJSG_SG_SG_EEES9_SI_JZNS1_25segmented_radix_sort_implINS0_14default_configELb0EPKhPhPKlPlN2at6native12_GLOBAL__N_18offset_tEEE10hipError_tPvRmT1_PNSt15iterator_traitsIS12_E10value_typeET2_T3_PNS13_IS18_E10value_typeET4_jRbjT5_S1E_jjP12ihipStream_tbEUljE_ZNSN_ISO_Lb0ESQ_SR_ST_SU_SY_EESZ_S10_S11_S12_S16_S17_S18_S1B_S1C_jS1D_jS1E_S1E_jjS1G_bEUljE0_EEESZ_S10_S11_S18_S1C_S1E_T6_T7_T9_mT8_S1G_bDpT10_ENKUlT_T0_E_clISt17integral_constantIbLb0EES1T_IbLb1EEEEDaS1P_S1Q_EUlS1P_E_NS1_11comp_targetILNS1_3genE8ELNS1_11target_archE1030ELNS1_3gpuE2ELNS1_3repE0EEENS1_30default_config_static_selectorELNS0_4arch9wavefront6targetE0EEEvS12_,"axG",@progbits,_ZN7rocprim17ROCPRIM_400000_NS6detail17trampoline_kernelINS0_13select_configILj256ELj13ELNS0_17block_load_methodE3ELS4_3ELS4_3ELNS0_20block_scan_algorithmE0ELj4294967295EEENS1_25partition_config_selectorILNS1_17partition_subalgoE4EjNS0_10empty_typeEbEEZZNS1_14partition_implILS8_4ELb0ES6_15HIP_vector_typeIjLj2EENS0_17counting_iteratorIjlEEPS9_SG_NS0_5tupleIJPjSI_NS0_16reverse_iteratorISI_EEEEENSH_IJSG_SG_SG_EEES9_SI_JZNS1_25segmented_radix_sort_implINS0_14default_configELb0EPKhPhPKlPlN2at6native12_GLOBAL__N_18offset_tEEE10hipError_tPvRmT1_PNSt15iterator_traitsIS12_E10value_typeET2_T3_PNS13_IS18_E10value_typeET4_jRbjT5_S1E_jjP12ihipStream_tbEUljE_ZNSN_ISO_Lb0ESQ_SR_ST_SU_SY_EESZ_S10_S11_S12_S16_S17_S18_S1B_S1C_jS1D_jS1E_S1E_jjS1G_bEUljE0_EEESZ_S10_S11_S18_S1C_S1E_T6_T7_T9_mT8_S1G_bDpT10_ENKUlT_T0_E_clISt17integral_constantIbLb0EES1T_IbLb1EEEEDaS1P_S1Q_EUlS1P_E_NS1_11comp_targetILNS1_3genE8ELNS1_11target_archE1030ELNS1_3gpuE2ELNS1_3repE0EEENS1_30default_config_static_selectorELNS0_4arch9wavefront6targetE0EEEvS12_,comdat
.Lfunc_end152:
	.size	_ZN7rocprim17ROCPRIM_400000_NS6detail17trampoline_kernelINS0_13select_configILj256ELj13ELNS0_17block_load_methodE3ELS4_3ELS4_3ELNS0_20block_scan_algorithmE0ELj4294967295EEENS1_25partition_config_selectorILNS1_17partition_subalgoE4EjNS0_10empty_typeEbEEZZNS1_14partition_implILS8_4ELb0ES6_15HIP_vector_typeIjLj2EENS0_17counting_iteratorIjlEEPS9_SG_NS0_5tupleIJPjSI_NS0_16reverse_iteratorISI_EEEEENSH_IJSG_SG_SG_EEES9_SI_JZNS1_25segmented_radix_sort_implINS0_14default_configELb0EPKhPhPKlPlN2at6native12_GLOBAL__N_18offset_tEEE10hipError_tPvRmT1_PNSt15iterator_traitsIS12_E10value_typeET2_T3_PNS13_IS18_E10value_typeET4_jRbjT5_S1E_jjP12ihipStream_tbEUljE_ZNSN_ISO_Lb0ESQ_SR_ST_SU_SY_EESZ_S10_S11_S12_S16_S17_S18_S1B_S1C_jS1D_jS1E_S1E_jjS1G_bEUljE0_EEESZ_S10_S11_S18_S1C_S1E_T6_T7_T9_mT8_S1G_bDpT10_ENKUlT_T0_E_clISt17integral_constantIbLb0EES1T_IbLb1EEEEDaS1P_S1Q_EUlS1P_E_NS1_11comp_targetILNS1_3genE8ELNS1_11target_archE1030ELNS1_3gpuE2ELNS1_3repE0EEENS1_30default_config_static_selectorELNS0_4arch9wavefront6targetE0EEEvS12_, .Lfunc_end152-_ZN7rocprim17ROCPRIM_400000_NS6detail17trampoline_kernelINS0_13select_configILj256ELj13ELNS0_17block_load_methodE3ELS4_3ELS4_3ELNS0_20block_scan_algorithmE0ELj4294967295EEENS1_25partition_config_selectorILNS1_17partition_subalgoE4EjNS0_10empty_typeEbEEZZNS1_14partition_implILS8_4ELb0ES6_15HIP_vector_typeIjLj2EENS0_17counting_iteratorIjlEEPS9_SG_NS0_5tupleIJPjSI_NS0_16reverse_iteratorISI_EEEEENSH_IJSG_SG_SG_EEES9_SI_JZNS1_25segmented_radix_sort_implINS0_14default_configELb0EPKhPhPKlPlN2at6native12_GLOBAL__N_18offset_tEEE10hipError_tPvRmT1_PNSt15iterator_traitsIS12_E10value_typeET2_T3_PNS13_IS18_E10value_typeET4_jRbjT5_S1E_jjP12ihipStream_tbEUljE_ZNSN_ISO_Lb0ESQ_SR_ST_SU_SY_EESZ_S10_S11_S12_S16_S17_S18_S1B_S1C_jS1D_jS1E_S1E_jjS1G_bEUljE0_EEESZ_S10_S11_S18_S1C_S1E_T6_T7_T9_mT8_S1G_bDpT10_ENKUlT_T0_E_clISt17integral_constantIbLb0EES1T_IbLb1EEEEDaS1P_S1Q_EUlS1P_E_NS1_11comp_targetILNS1_3genE8ELNS1_11target_archE1030ELNS1_3gpuE2ELNS1_3repE0EEENS1_30default_config_static_selectorELNS0_4arch9wavefront6targetE0EEEvS12_
                                        ; -- End function
	.set _ZN7rocprim17ROCPRIM_400000_NS6detail17trampoline_kernelINS0_13select_configILj256ELj13ELNS0_17block_load_methodE3ELS4_3ELS4_3ELNS0_20block_scan_algorithmE0ELj4294967295EEENS1_25partition_config_selectorILNS1_17partition_subalgoE4EjNS0_10empty_typeEbEEZZNS1_14partition_implILS8_4ELb0ES6_15HIP_vector_typeIjLj2EENS0_17counting_iteratorIjlEEPS9_SG_NS0_5tupleIJPjSI_NS0_16reverse_iteratorISI_EEEEENSH_IJSG_SG_SG_EEES9_SI_JZNS1_25segmented_radix_sort_implINS0_14default_configELb0EPKhPhPKlPlN2at6native12_GLOBAL__N_18offset_tEEE10hipError_tPvRmT1_PNSt15iterator_traitsIS12_E10value_typeET2_T3_PNS13_IS18_E10value_typeET4_jRbjT5_S1E_jjP12ihipStream_tbEUljE_ZNSN_ISO_Lb0ESQ_SR_ST_SU_SY_EESZ_S10_S11_S12_S16_S17_S18_S1B_S1C_jS1D_jS1E_S1E_jjS1G_bEUljE0_EEESZ_S10_S11_S18_S1C_S1E_T6_T7_T9_mT8_S1G_bDpT10_ENKUlT_T0_E_clISt17integral_constantIbLb0EES1T_IbLb1EEEEDaS1P_S1Q_EUlS1P_E_NS1_11comp_targetILNS1_3genE8ELNS1_11target_archE1030ELNS1_3gpuE2ELNS1_3repE0EEENS1_30default_config_static_selectorELNS0_4arch9wavefront6targetE0EEEvS12_.num_vgpr, 87
	.set _ZN7rocprim17ROCPRIM_400000_NS6detail17trampoline_kernelINS0_13select_configILj256ELj13ELNS0_17block_load_methodE3ELS4_3ELS4_3ELNS0_20block_scan_algorithmE0ELj4294967295EEENS1_25partition_config_selectorILNS1_17partition_subalgoE4EjNS0_10empty_typeEbEEZZNS1_14partition_implILS8_4ELb0ES6_15HIP_vector_typeIjLj2EENS0_17counting_iteratorIjlEEPS9_SG_NS0_5tupleIJPjSI_NS0_16reverse_iteratorISI_EEEEENSH_IJSG_SG_SG_EEES9_SI_JZNS1_25segmented_radix_sort_implINS0_14default_configELb0EPKhPhPKlPlN2at6native12_GLOBAL__N_18offset_tEEE10hipError_tPvRmT1_PNSt15iterator_traitsIS12_E10value_typeET2_T3_PNS13_IS18_E10value_typeET4_jRbjT5_S1E_jjP12ihipStream_tbEUljE_ZNSN_ISO_Lb0ESQ_SR_ST_SU_SY_EESZ_S10_S11_S12_S16_S17_S18_S1B_S1C_jS1D_jS1E_S1E_jjS1G_bEUljE0_EEESZ_S10_S11_S18_S1C_S1E_T6_T7_T9_mT8_S1G_bDpT10_ENKUlT_T0_E_clISt17integral_constantIbLb0EES1T_IbLb1EEEEDaS1P_S1Q_EUlS1P_E_NS1_11comp_targetILNS1_3genE8ELNS1_11target_archE1030ELNS1_3gpuE2ELNS1_3repE0EEENS1_30default_config_static_selectorELNS0_4arch9wavefront6targetE0EEEvS12_.num_agpr, 0
	.set _ZN7rocprim17ROCPRIM_400000_NS6detail17trampoline_kernelINS0_13select_configILj256ELj13ELNS0_17block_load_methodE3ELS4_3ELS4_3ELNS0_20block_scan_algorithmE0ELj4294967295EEENS1_25partition_config_selectorILNS1_17partition_subalgoE4EjNS0_10empty_typeEbEEZZNS1_14partition_implILS8_4ELb0ES6_15HIP_vector_typeIjLj2EENS0_17counting_iteratorIjlEEPS9_SG_NS0_5tupleIJPjSI_NS0_16reverse_iteratorISI_EEEEENSH_IJSG_SG_SG_EEES9_SI_JZNS1_25segmented_radix_sort_implINS0_14default_configELb0EPKhPhPKlPlN2at6native12_GLOBAL__N_18offset_tEEE10hipError_tPvRmT1_PNSt15iterator_traitsIS12_E10value_typeET2_T3_PNS13_IS18_E10value_typeET4_jRbjT5_S1E_jjP12ihipStream_tbEUljE_ZNSN_ISO_Lb0ESQ_SR_ST_SU_SY_EESZ_S10_S11_S12_S16_S17_S18_S1B_S1C_jS1D_jS1E_S1E_jjS1G_bEUljE0_EEESZ_S10_S11_S18_S1C_S1E_T6_T7_T9_mT8_S1G_bDpT10_ENKUlT_T0_E_clISt17integral_constantIbLb0EES1T_IbLb1EEEEDaS1P_S1Q_EUlS1P_E_NS1_11comp_targetILNS1_3genE8ELNS1_11target_archE1030ELNS1_3gpuE2ELNS1_3repE0EEENS1_30default_config_static_selectorELNS0_4arch9wavefront6targetE0EEEvS12_.numbered_sgpr, 55
	.set _ZN7rocprim17ROCPRIM_400000_NS6detail17trampoline_kernelINS0_13select_configILj256ELj13ELNS0_17block_load_methodE3ELS4_3ELS4_3ELNS0_20block_scan_algorithmE0ELj4294967295EEENS1_25partition_config_selectorILNS1_17partition_subalgoE4EjNS0_10empty_typeEbEEZZNS1_14partition_implILS8_4ELb0ES6_15HIP_vector_typeIjLj2EENS0_17counting_iteratorIjlEEPS9_SG_NS0_5tupleIJPjSI_NS0_16reverse_iteratorISI_EEEEENSH_IJSG_SG_SG_EEES9_SI_JZNS1_25segmented_radix_sort_implINS0_14default_configELb0EPKhPhPKlPlN2at6native12_GLOBAL__N_18offset_tEEE10hipError_tPvRmT1_PNSt15iterator_traitsIS12_E10value_typeET2_T3_PNS13_IS18_E10value_typeET4_jRbjT5_S1E_jjP12ihipStream_tbEUljE_ZNSN_ISO_Lb0ESQ_SR_ST_SU_SY_EESZ_S10_S11_S12_S16_S17_S18_S1B_S1C_jS1D_jS1E_S1E_jjS1G_bEUljE0_EEESZ_S10_S11_S18_S1C_S1E_T6_T7_T9_mT8_S1G_bDpT10_ENKUlT_T0_E_clISt17integral_constantIbLb0EES1T_IbLb1EEEEDaS1P_S1Q_EUlS1P_E_NS1_11comp_targetILNS1_3genE8ELNS1_11target_archE1030ELNS1_3gpuE2ELNS1_3repE0EEENS1_30default_config_static_selectorELNS0_4arch9wavefront6targetE0EEEvS12_.num_named_barrier, 0
	.set _ZN7rocprim17ROCPRIM_400000_NS6detail17trampoline_kernelINS0_13select_configILj256ELj13ELNS0_17block_load_methodE3ELS4_3ELS4_3ELNS0_20block_scan_algorithmE0ELj4294967295EEENS1_25partition_config_selectorILNS1_17partition_subalgoE4EjNS0_10empty_typeEbEEZZNS1_14partition_implILS8_4ELb0ES6_15HIP_vector_typeIjLj2EENS0_17counting_iteratorIjlEEPS9_SG_NS0_5tupleIJPjSI_NS0_16reverse_iteratorISI_EEEEENSH_IJSG_SG_SG_EEES9_SI_JZNS1_25segmented_radix_sort_implINS0_14default_configELb0EPKhPhPKlPlN2at6native12_GLOBAL__N_18offset_tEEE10hipError_tPvRmT1_PNSt15iterator_traitsIS12_E10value_typeET2_T3_PNS13_IS18_E10value_typeET4_jRbjT5_S1E_jjP12ihipStream_tbEUljE_ZNSN_ISO_Lb0ESQ_SR_ST_SU_SY_EESZ_S10_S11_S12_S16_S17_S18_S1B_S1C_jS1D_jS1E_S1E_jjS1G_bEUljE0_EEESZ_S10_S11_S18_S1C_S1E_T6_T7_T9_mT8_S1G_bDpT10_ENKUlT_T0_E_clISt17integral_constantIbLb0EES1T_IbLb1EEEEDaS1P_S1Q_EUlS1P_E_NS1_11comp_targetILNS1_3genE8ELNS1_11target_archE1030ELNS1_3gpuE2ELNS1_3repE0EEENS1_30default_config_static_selectorELNS0_4arch9wavefront6targetE0EEEvS12_.private_seg_size, 0
	.set _ZN7rocprim17ROCPRIM_400000_NS6detail17trampoline_kernelINS0_13select_configILj256ELj13ELNS0_17block_load_methodE3ELS4_3ELS4_3ELNS0_20block_scan_algorithmE0ELj4294967295EEENS1_25partition_config_selectorILNS1_17partition_subalgoE4EjNS0_10empty_typeEbEEZZNS1_14partition_implILS8_4ELb0ES6_15HIP_vector_typeIjLj2EENS0_17counting_iteratorIjlEEPS9_SG_NS0_5tupleIJPjSI_NS0_16reverse_iteratorISI_EEEEENSH_IJSG_SG_SG_EEES9_SI_JZNS1_25segmented_radix_sort_implINS0_14default_configELb0EPKhPhPKlPlN2at6native12_GLOBAL__N_18offset_tEEE10hipError_tPvRmT1_PNSt15iterator_traitsIS12_E10value_typeET2_T3_PNS13_IS18_E10value_typeET4_jRbjT5_S1E_jjP12ihipStream_tbEUljE_ZNSN_ISO_Lb0ESQ_SR_ST_SU_SY_EESZ_S10_S11_S12_S16_S17_S18_S1B_S1C_jS1D_jS1E_S1E_jjS1G_bEUljE0_EEESZ_S10_S11_S18_S1C_S1E_T6_T7_T9_mT8_S1G_bDpT10_ENKUlT_T0_E_clISt17integral_constantIbLb0EES1T_IbLb1EEEEDaS1P_S1Q_EUlS1P_E_NS1_11comp_targetILNS1_3genE8ELNS1_11target_archE1030ELNS1_3gpuE2ELNS1_3repE0EEENS1_30default_config_static_selectorELNS0_4arch9wavefront6targetE0EEEvS12_.uses_vcc, 1
	.set _ZN7rocprim17ROCPRIM_400000_NS6detail17trampoline_kernelINS0_13select_configILj256ELj13ELNS0_17block_load_methodE3ELS4_3ELS4_3ELNS0_20block_scan_algorithmE0ELj4294967295EEENS1_25partition_config_selectorILNS1_17partition_subalgoE4EjNS0_10empty_typeEbEEZZNS1_14partition_implILS8_4ELb0ES6_15HIP_vector_typeIjLj2EENS0_17counting_iteratorIjlEEPS9_SG_NS0_5tupleIJPjSI_NS0_16reverse_iteratorISI_EEEEENSH_IJSG_SG_SG_EEES9_SI_JZNS1_25segmented_radix_sort_implINS0_14default_configELb0EPKhPhPKlPlN2at6native12_GLOBAL__N_18offset_tEEE10hipError_tPvRmT1_PNSt15iterator_traitsIS12_E10value_typeET2_T3_PNS13_IS18_E10value_typeET4_jRbjT5_S1E_jjP12ihipStream_tbEUljE_ZNSN_ISO_Lb0ESQ_SR_ST_SU_SY_EESZ_S10_S11_S12_S16_S17_S18_S1B_S1C_jS1D_jS1E_S1E_jjS1G_bEUljE0_EEESZ_S10_S11_S18_S1C_S1E_T6_T7_T9_mT8_S1G_bDpT10_ENKUlT_T0_E_clISt17integral_constantIbLb0EES1T_IbLb1EEEEDaS1P_S1Q_EUlS1P_E_NS1_11comp_targetILNS1_3genE8ELNS1_11target_archE1030ELNS1_3gpuE2ELNS1_3repE0EEENS1_30default_config_static_selectorELNS0_4arch9wavefront6targetE0EEEvS12_.uses_flat_scratch, 0
	.set _ZN7rocprim17ROCPRIM_400000_NS6detail17trampoline_kernelINS0_13select_configILj256ELj13ELNS0_17block_load_methodE3ELS4_3ELS4_3ELNS0_20block_scan_algorithmE0ELj4294967295EEENS1_25partition_config_selectorILNS1_17partition_subalgoE4EjNS0_10empty_typeEbEEZZNS1_14partition_implILS8_4ELb0ES6_15HIP_vector_typeIjLj2EENS0_17counting_iteratorIjlEEPS9_SG_NS0_5tupleIJPjSI_NS0_16reverse_iteratorISI_EEEEENSH_IJSG_SG_SG_EEES9_SI_JZNS1_25segmented_radix_sort_implINS0_14default_configELb0EPKhPhPKlPlN2at6native12_GLOBAL__N_18offset_tEEE10hipError_tPvRmT1_PNSt15iterator_traitsIS12_E10value_typeET2_T3_PNS13_IS18_E10value_typeET4_jRbjT5_S1E_jjP12ihipStream_tbEUljE_ZNSN_ISO_Lb0ESQ_SR_ST_SU_SY_EESZ_S10_S11_S12_S16_S17_S18_S1B_S1C_jS1D_jS1E_S1E_jjS1G_bEUljE0_EEESZ_S10_S11_S18_S1C_S1E_T6_T7_T9_mT8_S1G_bDpT10_ENKUlT_T0_E_clISt17integral_constantIbLb0EES1T_IbLb1EEEEDaS1P_S1Q_EUlS1P_E_NS1_11comp_targetILNS1_3genE8ELNS1_11target_archE1030ELNS1_3gpuE2ELNS1_3repE0EEENS1_30default_config_static_selectorELNS0_4arch9wavefront6targetE0EEEvS12_.has_dyn_sized_stack, 0
	.set _ZN7rocprim17ROCPRIM_400000_NS6detail17trampoline_kernelINS0_13select_configILj256ELj13ELNS0_17block_load_methodE3ELS4_3ELS4_3ELNS0_20block_scan_algorithmE0ELj4294967295EEENS1_25partition_config_selectorILNS1_17partition_subalgoE4EjNS0_10empty_typeEbEEZZNS1_14partition_implILS8_4ELb0ES6_15HIP_vector_typeIjLj2EENS0_17counting_iteratorIjlEEPS9_SG_NS0_5tupleIJPjSI_NS0_16reverse_iteratorISI_EEEEENSH_IJSG_SG_SG_EEES9_SI_JZNS1_25segmented_radix_sort_implINS0_14default_configELb0EPKhPhPKlPlN2at6native12_GLOBAL__N_18offset_tEEE10hipError_tPvRmT1_PNSt15iterator_traitsIS12_E10value_typeET2_T3_PNS13_IS18_E10value_typeET4_jRbjT5_S1E_jjP12ihipStream_tbEUljE_ZNSN_ISO_Lb0ESQ_SR_ST_SU_SY_EESZ_S10_S11_S12_S16_S17_S18_S1B_S1C_jS1D_jS1E_S1E_jjS1G_bEUljE0_EEESZ_S10_S11_S18_S1C_S1E_T6_T7_T9_mT8_S1G_bDpT10_ENKUlT_T0_E_clISt17integral_constantIbLb0EES1T_IbLb1EEEEDaS1P_S1Q_EUlS1P_E_NS1_11comp_targetILNS1_3genE8ELNS1_11target_archE1030ELNS1_3gpuE2ELNS1_3repE0EEENS1_30default_config_static_selectorELNS0_4arch9wavefront6targetE0EEEvS12_.has_recursion, 0
	.set _ZN7rocprim17ROCPRIM_400000_NS6detail17trampoline_kernelINS0_13select_configILj256ELj13ELNS0_17block_load_methodE3ELS4_3ELS4_3ELNS0_20block_scan_algorithmE0ELj4294967295EEENS1_25partition_config_selectorILNS1_17partition_subalgoE4EjNS0_10empty_typeEbEEZZNS1_14partition_implILS8_4ELb0ES6_15HIP_vector_typeIjLj2EENS0_17counting_iteratorIjlEEPS9_SG_NS0_5tupleIJPjSI_NS0_16reverse_iteratorISI_EEEEENSH_IJSG_SG_SG_EEES9_SI_JZNS1_25segmented_radix_sort_implINS0_14default_configELb0EPKhPhPKlPlN2at6native12_GLOBAL__N_18offset_tEEE10hipError_tPvRmT1_PNSt15iterator_traitsIS12_E10value_typeET2_T3_PNS13_IS18_E10value_typeET4_jRbjT5_S1E_jjP12ihipStream_tbEUljE_ZNSN_ISO_Lb0ESQ_SR_ST_SU_SY_EESZ_S10_S11_S12_S16_S17_S18_S1B_S1C_jS1D_jS1E_S1E_jjS1G_bEUljE0_EEESZ_S10_S11_S18_S1C_S1E_T6_T7_T9_mT8_S1G_bDpT10_ENKUlT_T0_E_clISt17integral_constantIbLb0EES1T_IbLb1EEEEDaS1P_S1Q_EUlS1P_E_NS1_11comp_targetILNS1_3genE8ELNS1_11target_archE1030ELNS1_3gpuE2ELNS1_3repE0EEENS1_30default_config_static_selectorELNS0_4arch9wavefront6targetE0EEEvS12_.has_indirect_call, 0
	.section	.AMDGPU.csdata,"",@progbits
; Kernel info:
; codeLenInByte = 16368
; TotalNumSgprs: 57
; NumVgprs: 87
; ScratchSize: 0
; MemoryBound: 0
; FloatMode: 240
; IeeeMode: 1
; LDSByteSize: 13328 bytes/workgroup (compile time only)
; SGPRBlocks: 0
; VGPRBlocks: 10
; NumSGPRsForWavesPerEU: 57
; NumVGPRsForWavesPerEU: 87
; Occupancy: 10
; WaveLimiterHint : 1
; COMPUTE_PGM_RSRC2:SCRATCH_EN: 0
; COMPUTE_PGM_RSRC2:USER_SGPR: 6
; COMPUTE_PGM_RSRC2:TRAP_HANDLER: 0
; COMPUTE_PGM_RSRC2:TGID_X_EN: 1
; COMPUTE_PGM_RSRC2:TGID_Y_EN: 0
; COMPUTE_PGM_RSRC2:TGID_Z_EN: 0
; COMPUTE_PGM_RSRC2:TIDIG_COMP_CNT: 0
	.section	.text._ZN7rocprim17ROCPRIM_400000_NS6detail17trampoline_kernelINS0_13select_configILj256ELj13ELNS0_17block_load_methodE3ELS4_3ELS4_3ELNS0_20block_scan_algorithmE0ELj4294967295EEENS1_25partition_config_selectorILNS1_17partition_subalgoE3EjNS0_10empty_typeEbEEZZNS1_14partition_implILS8_3ELb0ES6_jNS0_17counting_iteratorIjlEEPS9_SE_NS0_5tupleIJPjSE_EEENSF_IJSE_SE_EEES9_SG_JZNS1_25segmented_radix_sort_implINS0_14default_configELb0EPKhPhPKlPlN2at6native12_GLOBAL__N_18offset_tEEE10hipError_tPvRmT1_PNSt15iterator_traitsISY_E10value_typeET2_T3_PNSZ_IS14_E10value_typeET4_jRbjT5_S1A_jjP12ihipStream_tbEUljE_EEESV_SW_SX_S14_S18_S1A_T6_T7_T9_mT8_S1C_bDpT10_ENKUlT_T0_E_clISt17integral_constantIbLb0EES1P_EEDaS1K_S1L_EUlS1K_E_NS1_11comp_targetILNS1_3genE0ELNS1_11target_archE4294967295ELNS1_3gpuE0ELNS1_3repE0EEENS1_30default_config_static_selectorELNS0_4arch9wavefront6targetE0EEEvSY_,"axG",@progbits,_ZN7rocprim17ROCPRIM_400000_NS6detail17trampoline_kernelINS0_13select_configILj256ELj13ELNS0_17block_load_methodE3ELS4_3ELS4_3ELNS0_20block_scan_algorithmE0ELj4294967295EEENS1_25partition_config_selectorILNS1_17partition_subalgoE3EjNS0_10empty_typeEbEEZZNS1_14partition_implILS8_3ELb0ES6_jNS0_17counting_iteratorIjlEEPS9_SE_NS0_5tupleIJPjSE_EEENSF_IJSE_SE_EEES9_SG_JZNS1_25segmented_radix_sort_implINS0_14default_configELb0EPKhPhPKlPlN2at6native12_GLOBAL__N_18offset_tEEE10hipError_tPvRmT1_PNSt15iterator_traitsISY_E10value_typeET2_T3_PNSZ_IS14_E10value_typeET4_jRbjT5_S1A_jjP12ihipStream_tbEUljE_EEESV_SW_SX_S14_S18_S1A_T6_T7_T9_mT8_S1C_bDpT10_ENKUlT_T0_E_clISt17integral_constantIbLb0EES1P_EEDaS1K_S1L_EUlS1K_E_NS1_11comp_targetILNS1_3genE0ELNS1_11target_archE4294967295ELNS1_3gpuE0ELNS1_3repE0EEENS1_30default_config_static_selectorELNS0_4arch9wavefront6targetE0EEEvSY_,comdat
	.globl	_ZN7rocprim17ROCPRIM_400000_NS6detail17trampoline_kernelINS0_13select_configILj256ELj13ELNS0_17block_load_methodE3ELS4_3ELS4_3ELNS0_20block_scan_algorithmE0ELj4294967295EEENS1_25partition_config_selectorILNS1_17partition_subalgoE3EjNS0_10empty_typeEbEEZZNS1_14partition_implILS8_3ELb0ES6_jNS0_17counting_iteratorIjlEEPS9_SE_NS0_5tupleIJPjSE_EEENSF_IJSE_SE_EEES9_SG_JZNS1_25segmented_radix_sort_implINS0_14default_configELb0EPKhPhPKlPlN2at6native12_GLOBAL__N_18offset_tEEE10hipError_tPvRmT1_PNSt15iterator_traitsISY_E10value_typeET2_T3_PNSZ_IS14_E10value_typeET4_jRbjT5_S1A_jjP12ihipStream_tbEUljE_EEESV_SW_SX_S14_S18_S1A_T6_T7_T9_mT8_S1C_bDpT10_ENKUlT_T0_E_clISt17integral_constantIbLb0EES1P_EEDaS1K_S1L_EUlS1K_E_NS1_11comp_targetILNS1_3genE0ELNS1_11target_archE4294967295ELNS1_3gpuE0ELNS1_3repE0EEENS1_30default_config_static_selectorELNS0_4arch9wavefront6targetE0EEEvSY_ ; -- Begin function _ZN7rocprim17ROCPRIM_400000_NS6detail17trampoline_kernelINS0_13select_configILj256ELj13ELNS0_17block_load_methodE3ELS4_3ELS4_3ELNS0_20block_scan_algorithmE0ELj4294967295EEENS1_25partition_config_selectorILNS1_17partition_subalgoE3EjNS0_10empty_typeEbEEZZNS1_14partition_implILS8_3ELb0ES6_jNS0_17counting_iteratorIjlEEPS9_SE_NS0_5tupleIJPjSE_EEENSF_IJSE_SE_EEES9_SG_JZNS1_25segmented_radix_sort_implINS0_14default_configELb0EPKhPhPKlPlN2at6native12_GLOBAL__N_18offset_tEEE10hipError_tPvRmT1_PNSt15iterator_traitsISY_E10value_typeET2_T3_PNSZ_IS14_E10value_typeET4_jRbjT5_S1A_jjP12ihipStream_tbEUljE_EEESV_SW_SX_S14_S18_S1A_T6_T7_T9_mT8_S1C_bDpT10_ENKUlT_T0_E_clISt17integral_constantIbLb0EES1P_EEDaS1K_S1L_EUlS1K_E_NS1_11comp_targetILNS1_3genE0ELNS1_11target_archE4294967295ELNS1_3gpuE0ELNS1_3repE0EEENS1_30default_config_static_selectorELNS0_4arch9wavefront6targetE0EEEvSY_
	.p2align	8
	.type	_ZN7rocprim17ROCPRIM_400000_NS6detail17trampoline_kernelINS0_13select_configILj256ELj13ELNS0_17block_load_methodE3ELS4_3ELS4_3ELNS0_20block_scan_algorithmE0ELj4294967295EEENS1_25partition_config_selectorILNS1_17partition_subalgoE3EjNS0_10empty_typeEbEEZZNS1_14partition_implILS8_3ELb0ES6_jNS0_17counting_iteratorIjlEEPS9_SE_NS0_5tupleIJPjSE_EEENSF_IJSE_SE_EEES9_SG_JZNS1_25segmented_radix_sort_implINS0_14default_configELb0EPKhPhPKlPlN2at6native12_GLOBAL__N_18offset_tEEE10hipError_tPvRmT1_PNSt15iterator_traitsISY_E10value_typeET2_T3_PNSZ_IS14_E10value_typeET4_jRbjT5_S1A_jjP12ihipStream_tbEUljE_EEESV_SW_SX_S14_S18_S1A_T6_T7_T9_mT8_S1C_bDpT10_ENKUlT_T0_E_clISt17integral_constantIbLb0EES1P_EEDaS1K_S1L_EUlS1K_E_NS1_11comp_targetILNS1_3genE0ELNS1_11target_archE4294967295ELNS1_3gpuE0ELNS1_3repE0EEENS1_30default_config_static_selectorELNS0_4arch9wavefront6targetE0EEEvSY_,@function
_ZN7rocprim17ROCPRIM_400000_NS6detail17trampoline_kernelINS0_13select_configILj256ELj13ELNS0_17block_load_methodE3ELS4_3ELS4_3ELNS0_20block_scan_algorithmE0ELj4294967295EEENS1_25partition_config_selectorILNS1_17partition_subalgoE3EjNS0_10empty_typeEbEEZZNS1_14partition_implILS8_3ELb0ES6_jNS0_17counting_iteratorIjlEEPS9_SE_NS0_5tupleIJPjSE_EEENSF_IJSE_SE_EEES9_SG_JZNS1_25segmented_radix_sort_implINS0_14default_configELb0EPKhPhPKlPlN2at6native12_GLOBAL__N_18offset_tEEE10hipError_tPvRmT1_PNSt15iterator_traitsISY_E10value_typeET2_T3_PNSZ_IS14_E10value_typeET4_jRbjT5_S1A_jjP12ihipStream_tbEUljE_EEESV_SW_SX_S14_S18_S1A_T6_T7_T9_mT8_S1C_bDpT10_ENKUlT_T0_E_clISt17integral_constantIbLb0EES1P_EEDaS1K_S1L_EUlS1K_E_NS1_11comp_targetILNS1_3genE0ELNS1_11target_archE4294967295ELNS1_3gpuE0ELNS1_3repE0EEENS1_30default_config_static_selectorELNS0_4arch9wavefront6targetE0EEEvSY_: ; @_ZN7rocprim17ROCPRIM_400000_NS6detail17trampoline_kernelINS0_13select_configILj256ELj13ELNS0_17block_load_methodE3ELS4_3ELS4_3ELNS0_20block_scan_algorithmE0ELj4294967295EEENS1_25partition_config_selectorILNS1_17partition_subalgoE3EjNS0_10empty_typeEbEEZZNS1_14partition_implILS8_3ELb0ES6_jNS0_17counting_iteratorIjlEEPS9_SE_NS0_5tupleIJPjSE_EEENSF_IJSE_SE_EEES9_SG_JZNS1_25segmented_radix_sort_implINS0_14default_configELb0EPKhPhPKlPlN2at6native12_GLOBAL__N_18offset_tEEE10hipError_tPvRmT1_PNSt15iterator_traitsISY_E10value_typeET2_T3_PNSZ_IS14_E10value_typeET4_jRbjT5_S1A_jjP12ihipStream_tbEUljE_EEESV_SW_SX_S14_S18_S1A_T6_T7_T9_mT8_S1C_bDpT10_ENKUlT_T0_E_clISt17integral_constantIbLb0EES1P_EEDaS1K_S1L_EUlS1K_E_NS1_11comp_targetILNS1_3genE0ELNS1_11target_archE4294967295ELNS1_3gpuE0ELNS1_3repE0EEENS1_30default_config_static_selectorELNS0_4arch9wavefront6targetE0EEEvSY_
; %bb.0:
	.section	.rodata,"a",@progbits
	.p2align	6, 0x0
	.amdhsa_kernel _ZN7rocprim17ROCPRIM_400000_NS6detail17trampoline_kernelINS0_13select_configILj256ELj13ELNS0_17block_load_methodE3ELS4_3ELS4_3ELNS0_20block_scan_algorithmE0ELj4294967295EEENS1_25partition_config_selectorILNS1_17partition_subalgoE3EjNS0_10empty_typeEbEEZZNS1_14partition_implILS8_3ELb0ES6_jNS0_17counting_iteratorIjlEEPS9_SE_NS0_5tupleIJPjSE_EEENSF_IJSE_SE_EEES9_SG_JZNS1_25segmented_radix_sort_implINS0_14default_configELb0EPKhPhPKlPlN2at6native12_GLOBAL__N_18offset_tEEE10hipError_tPvRmT1_PNSt15iterator_traitsISY_E10value_typeET2_T3_PNSZ_IS14_E10value_typeET4_jRbjT5_S1A_jjP12ihipStream_tbEUljE_EEESV_SW_SX_S14_S18_S1A_T6_T7_T9_mT8_S1C_bDpT10_ENKUlT_T0_E_clISt17integral_constantIbLb0EES1P_EEDaS1K_S1L_EUlS1K_E_NS1_11comp_targetILNS1_3genE0ELNS1_11target_archE4294967295ELNS1_3gpuE0ELNS1_3repE0EEENS1_30default_config_static_selectorELNS0_4arch9wavefront6targetE0EEEvSY_
		.amdhsa_group_segment_fixed_size 0
		.amdhsa_private_segment_fixed_size 0
		.amdhsa_kernarg_size 144
		.amdhsa_user_sgpr_count 6
		.amdhsa_user_sgpr_private_segment_buffer 1
		.amdhsa_user_sgpr_dispatch_ptr 0
		.amdhsa_user_sgpr_queue_ptr 0
		.amdhsa_user_sgpr_kernarg_segment_ptr 1
		.amdhsa_user_sgpr_dispatch_id 0
		.amdhsa_user_sgpr_flat_scratch_init 0
		.amdhsa_user_sgpr_private_segment_size 0
		.amdhsa_wavefront_size32 1
		.amdhsa_uses_dynamic_stack 0
		.amdhsa_system_sgpr_private_segment_wavefront_offset 0
		.amdhsa_system_sgpr_workgroup_id_x 1
		.amdhsa_system_sgpr_workgroup_id_y 0
		.amdhsa_system_sgpr_workgroup_id_z 0
		.amdhsa_system_sgpr_workgroup_info 0
		.amdhsa_system_vgpr_workitem_id 0
		.amdhsa_next_free_vgpr 1
		.amdhsa_next_free_sgpr 1
		.amdhsa_reserve_vcc 0
		.amdhsa_reserve_flat_scratch 0
		.amdhsa_float_round_mode_32 0
		.amdhsa_float_round_mode_16_64 0
		.amdhsa_float_denorm_mode_32 3
		.amdhsa_float_denorm_mode_16_64 3
		.amdhsa_dx10_clamp 1
		.amdhsa_ieee_mode 1
		.amdhsa_fp16_overflow 0
		.amdhsa_workgroup_processor_mode 1
		.amdhsa_memory_ordered 1
		.amdhsa_forward_progress 1
		.amdhsa_shared_vgpr_count 0
		.amdhsa_exception_fp_ieee_invalid_op 0
		.amdhsa_exception_fp_denorm_src 0
		.amdhsa_exception_fp_ieee_div_zero 0
		.amdhsa_exception_fp_ieee_overflow 0
		.amdhsa_exception_fp_ieee_underflow 0
		.amdhsa_exception_fp_ieee_inexact 0
		.amdhsa_exception_int_div_zero 0
	.end_amdhsa_kernel
	.section	.text._ZN7rocprim17ROCPRIM_400000_NS6detail17trampoline_kernelINS0_13select_configILj256ELj13ELNS0_17block_load_methodE3ELS4_3ELS4_3ELNS0_20block_scan_algorithmE0ELj4294967295EEENS1_25partition_config_selectorILNS1_17partition_subalgoE3EjNS0_10empty_typeEbEEZZNS1_14partition_implILS8_3ELb0ES6_jNS0_17counting_iteratorIjlEEPS9_SE_NS0_5tupleIJPjSE_EEENSF_IJSE_SE_EEES9_SG_JZNS1_25segmented_radix_sort_implINS0_14default_configELb0EPKhPhPKlPlN2at6native12_GLOBAL__N_18offset_tEEE10hipError_tPvRmT1_PNSt15iterator_traitsISY_E10value_typeET2_T3_PNSZ_IS14_E10value_typeET4_jRbjT5_S1A_jjP12ihipStream_tbEUljE_EEESV_SW_SX_S14_S18_S1A_T6_T7_T9_mT8_S1C_bDpT10_ENKUlT_T0_E_clISt17integral_constantIbLb0EES1P_EEDaS1K_S1L_EUlS1K_E_NS1_11comp_targetILNS1_3genE0ELNS1_11target_archE4294967295ELNS1_3gpuE0ELNS1_3repE0EEENS1_30default_config_static_selectorELNS0_4arch9wavefront6targetE0EEEvSY_,"axG",@progbits,_ZN7rocprim17ROCPRIM_400000_NS6detail17trampoline_kernelINS0_13select_configILj256ELj13ELNS0_17block_load_methodE3ELS4_3ELS4_3ELNS0_20block_scan_algorithmE0ELj4294967295EEENS1_25partition_config_selectorILNS1_17partition_subalgoE3EjNS0_10empty_typeEbEEZZNS1_14partition_implILS8_3ELb0ES6_jNS0_17counting_iteratorIjlEEPS9_SE_NS0_5tupleIJPjSE_EEENSF_IJSE_SE_EEES9_SG_JZNS1_25segmented_radix_sort_implINS0_14default_configELb0EPKhPhPKlPlN2at6native12_GLOBAL__N_18offset_tEEE10hipError_tPvRmT1_PNSt15iterator_traitsISY_E10value_typeET2_T3_PNSZ_IS14_E10value_typeET4_jRbjT5_S1A_jjP12ihipStream_tbEUljE_EEESV_SW_SX_S14_S18_S1A_T6_T7_T9_mT8_S1C_bDpT10_ENKUlT_T0_E_clISt17integral_constantIbLb0EES1P_EEDaS1K_S1L_EUlS1K_E_NS1_11comp_targetILNS1_3genE0ELNS1_11target_archE4294967295ELNS1_3gpuE0ELNS1_3repE0EEENS1_30default_config_static_selectorELNS0_4arch9wavefront6targetE0EEEvSY_,comdat
.Lfunc_end153:
	.size	_ZN7rocprim17ROCPRIM_400000_NS6detail17trampoline_kernelINS0_13select_configILj256ELj13ELNS0_17block_load_methodE3ELS4_3ELS4_3ELNS0_20block_scan_algorithmE0ELj4294967295EEENS1_25partition_config_selectorILNS1_17partition_subalgoE3EjNS0_10empty_typeEbEEZZNS1_14partition_implILS8_3ELb0ES6_jNS0_17counting_iteratorIjlEEPS9_SE_NS0_5tupleIJPjSE_EEENSF_IJSE_SE_EEES9_SG_JZNS1_25segmented_radix_sort_implINS0_14default_configELb0EPKhPhPKlPlN2at6native12_GLOBAL__N_18offset_tEEE10hipError_tPvRmT1_PNSt15iterator_traitsISY_E10value_typeET2_T3_PNSZ_IS14_E10value_typeET4_jRbjT5_S1A_jjP12ihipStream_tbEUljE_EEESV_SW_SX_S14_S18_S1A_T6_T7_T9_mT8_S1C_bDpT10_ENKUlT_T0_E_clISt17integral_constantIbLb0EES1P_EEDaS1K_S1L_EUlS1K_E_NS1_11comp_targetILNS1_3genE0ELNS1_11target_archE4294967295ELNS1_3gpuE0ELNS1_3repE0EEENS1_30default_config_static_selectorELNS0_4arch9wavefront6targetE0EEEvSY_, .Lfunc_end153-_ZN7rocprim17ROCPRIM_400000_NS6detail17trampoline_kernelINS0_13select_configILj256ELj13ELNS0_17block_load_methodE3ELS4_3ELS4_3ELNS0_20block_scan_algorithmE0ELj4294967295EEENS1_25partition_config_selectorILNS1_17partition_subalgoE3EjNS0_10empty_typeEbEEZZNS1_14partition_implILS8_3ELb0ES6_jNS0_17counting_iteratorIjlEEPS9_SE_NS0_5tupleIJPjSE_EEENSF_IJSE_SE_EEES9_SG_JZNS1_25segmented_radix_sort_implINS0_14default_configELb0EPKhPhPKlPlN2at6native12_GLOBAL__N_18offset_tEEE10hipError_tPvRmT1_PNSt15iterator_traitsISY_E10value_typeET2_T3_PNSZ_IS14_E10value_typeET4_jRbjT5_S1A_jjP12ihipStream_tbEUljE_EEESV_SW_SX_S14_S18_S1A_T6_T7_T9_mT8_S1C_bDpT10_ENKUlT_T0_E_clISt17integral_constantIbLb0EES1P_EEDaS1K_S1L_EUlS1K_E_NS1_11comp_targetILNS1_3genE0ELNS1_11target_archE4294967295ELNS1_3gpuE0ELNS1_3repE0EEENS1_30default_config_static_selectorELNS0_4arch9wavefront6targetE0EEEvSY_
                                        ; -- End function
	.set _ZN7rocprim17ROCPRIM_400000_NS6detail17trampoline_kernelINS0_13select_configILj256ELj13ELNS0_17block_load_methodE3ELS4_3ELS4_3ELNS0_20block_scan_algorithmE0ELj4294967295EEENS1_25partition_config_selectorILNS1_17partition_subalgoE3EjNS0_10empty_typeEbEEZZNS1_14partition_implILS8_3ELb0ES6_jNS0_17counting_iteratorIjlEEPS9_SE_NS0_5tupleIJPjSE_EEENSF_IJSE_SE_EEES9_SG_JZNS1_25segmented_radix_sort_implINS0_14default_configELb0EPKhPhPKlPlN2at6native12_GLOBAL__N_18offset_tEEE10hipError_tPvRmT1_PNSt15iterator_traitsISY_E10value_typeET2_T3_PNSZ_IS14_E10value_typeET4_jRbjT5_S1A_jjP12ihipStream_tbEUljE_EEESV_SW_SX_S14_S18_S1A_T6_T7_T9_mT8_S1C_bDpT10_ENKUlT_T0_E_clISt17integral_constantIbLb0EES1P_EEDaS1K_S1L_EUlS1K_E_NS1_11comp_targetILNS1_3genE0ELNS1_11target_archE4294967295ELNS1_3gpuE0ELNS1_3repE0EEENS1_30default_config_static_selectorELNS0_4arch9wavefront6targetE0EEEvSY_.num_vgpr, 0
	.set _ZN7rocprim17ROCPRIM_400000_NS6detail17trampoline_kernelINS0_13select_configILj256ELj13ELNS0_17block_load_methodE3ELS4_3ELS4_3ELNS0_20block_scan_algorithmE0ELj4294967295EEENS1_25partition_config_selectorILNS1_17partition_subalgoE3EjNS0_10empty_typeEbEEZZNS1_14partition_implILS8_3ELb0ES6_jNS0_17counting_iteratorIjlEEPS9_SE_NS0_5tupleIJPjSE_EEENSF_IJSE_SE_EEES9_SG_JZNS1_25segmented_radix_sort_implINS0_14default_configELb0EPKhPhPKlPlN2at6native12_GLOBAL__N_18offset_tEEE10hipError_tPvRmT1_PNSt15iterator_traitsISY_E10value_typeET2_T3_PNSZ_IS14_E10value_typeET4_jRbjT5_S1A_jjP12ihipStream_tbEUljE_EEESV_SW_SX_S14_S18_S1A_T6_T7_T9_mT8_S1C_bDpT10_ENKUlT_T0_E_clISt17integral_constantIbLb0EES1P_EEDaS1K_S1L_EUlS1K_E_NS1_11comp_targetILNS1_3genE0ELNS1_11target_archE4294967295ELNS1_3gpuE0ELNS1_3repE0EEENS1_30default_config_static_selectorELNS0_4arch9wavefront6targetE0EEEvSY_.num_agpr, 0
	.set _ZN7rocprim17ROCPRIM_400000_NS6detail17trampoline_kernelINS0_13select_configILj256ELj13ELNS0_17block_load_methodE3ELS4_3ELS4_3ELNS0_20block_scan_algorithmE0ELj4294967295EEENS1_25partition_config_selectorILNS1_17partition_subalgoE3EjNS0_10empty_typeEbEEZZNS1_14partition_implILS8_3ELb0ES6_jNS0_17counting_iteratorIjlEEPS9_SE_NS0_5tupleIJPjSE_EEENSF_IJSE_SE_EEES9_SG_JZNS1_25segmented_radix_sort_implINS0_14default_configELb0EPKhPhPKlPlN2at6native12_GLOBAL__N_18offset_tEEE10hipError_tPvRmT1_PNSt15iterator_traitsISY_E10value_typeET2_T3_PNSZ_IS14_E10value_typeET4_jRbjT5_S1A_jjP12ihipStream_tbEUljE_EEESV_SW_SX_S14_S18_S1A_T6_T7_T9_mT8_S1C_bDpT10_ENKUlT_T0_E_clISt17integral_constantIbLb0EES1P_EEDaS1K_S1L_EUlS1K_E_NS1_11comp_targetILNS1_3genE0ELNS1_11target_archE4294967295ELNS1_3gpuE0ELNS1_3repE0EEENS1_30default_config_static_selectorELNS0_4arch9wavefront6targetE0EEEvSY_.numbered_sgpr, 0
	.set _ZN7rocprim17ROCPRIM_400000_NS6detail17trampoline_kernelINS0_13select_configILj256ELj13ELNS0_17block_load_methodE3ELS4_3ELS4_3ELNS0_20block_scan_algorithmE0ELj4294967295EEENS1_25partition_config_selectorILNS1_17partition_subalgoE3EjNS0_10empty_typeEbEEZZNS1_14partition_implILS8_3ELb0ES6_jNS0_17counting_iteratorIjlEEPS9_SE_NS0_5tupleIJPjSE_EEENSF_IJSE_SE_EEES9_SG_JZNS1_25segmented_radix_sort_implINS0_14default_configELb0EPKhPhPKlPlN2at6native12_GLOBAL__N_18offset_tEEE10hipError_tPvRmT1_PNSt15iterator_traitsISY_E10value_typeET2_T3_PNSZ_IS14_E10value_typeET4_jRbjT5_S1A_jjP12ihipStream_tbEUljE_EEESV_SW_SX_S14_S18_S1A_T6_T7_T9_mT8_S1C_bDpT10_ENKUlT_T0_E_clISt17integral_constantIbLb0EES1P_EEDaS1K_S1L_EUlS1K_E_NS1_11comp_targetILNS1_3genE0ELNS1_11target_archE4294967295ELNS1_3gpuE0ELNS1_3repE0EEENS1_30default_config_static_selectorELNS0_4arch9wavefront6targetE0EEEvSY_.num_named_barrier, 0
	.set _ZN7rocprim17ROCPRIM_400000_NS6detail17trampoline_kernelINS0_13select_configILj256ELj13ELNS0_17block_load_methodE3ELS4_3ELS4_3ELNS0_20block_scan_algorithmE0ELj4294967295EEENS1_25partition_config_selectorILNS1_17partition_subalgoE3EjNS0_10empty_typeEbEEZZNS1_14partition_implILS8_3ELb0ES6_jNS0_17counting_iteratorIjlEEPS9_SE_NS0_5tupleIJPjSE_EEENSF_IJSE_SE_EEES9_SG_JZNS1_25segmented_radix_sort_implINS0_14default_configELb0EPKhPhPKlPlN2at6native12_GLOBAL__N_18offset_tEEE10hipError_tPvRmT1_PNSt15iterator_traitsISY_E10value_typeET2_T3_PNSZ_IS14_E10value_typeET4_jRbjT5_S1A_jjP12ihipStream_tbEUljE_EEESV_SW_SX_S14_S18_S1A_T6_T7_T9_mT8_S1C_bDpT10_ENKUlT_T0_E_clISt17integral_constantIbLb0EES1P_EEDaS1K_S1L_EUlS1K_E_NS1_11comp_targetILNS1_3genE0ELNS1_11target_archE4294967295ELNS1_3gpuE0ELNS1_3repE0EEENS1_30default_config_static_selectorELNS0_4arch9wavefront6targetE0EEEvSY_.private_seg_size, 0
	.set _ZN7rocprim17ROCPRIM_400000_NS6detail17trampoline_kernelINS0_13select_configILj256ELj13ELNS0_17block_load_methodE3ELS4_3ELS4_3ELNS0_20block_scan_algorithmE0ELj4294967295EEENS1_25partition_config_selectorILNS1_17partition_subalgoE3EjNS0_10empty_typeEbEEZZNS1_14partition_implILS8_3ELb0ES6_jNS0_17counting_iteratorIjlEEPS9_SE_NS0_5tupleIJPjSE_EEENSF_IJSE_SE_EEES9_SG_JZNS1_25segmented_radix_sort_implINS0_14default_configELb0EPKhPhPKlPlN2at6native12_GLOBAL__N_18offset_tEEE10hipError_tPvRmT1_PNSt15iterator_traitsISY_E10value_typeET2_T3_PNSZ_IS14_E10value_typeET4_jRbjT5_S1A_jjP12ihipStream_tbEUljE_EEESV_SW_SX_S14_S18_S1A_T6_T7_T9_mT8_S1C_bDpT10_ENKUlT_T0_E_clISt17integral_constantIbLb0EES1P_EEDaS1K_S1L_EUlS1K_E_NS1_11comp_targetILNS1_3genE0ELNS1_11target_archE4294967295ELNS1_3gpuE0ELNS1_3repE0EEENS1_30default_config_static_selectorELNS0_4arch9wavefront6targetE0EEEvSY_.uses_vcc, 0
	.set _ZN7rocprim17ROCPRIM_400000_NS6detail17trampoline_kernelINS0_13select_configILj256ELj13ELNS0_17block_load_methodE3ELS4_3ELS4_3ELNS0_20block_scan_algorithmE0ELj4294967295EEENS1_25partition_config_selectorILNS1_17partition_subalgoE3EjNS0_10empty_typeEbEEZZNS1_14partition_implILS8_3ELb0ES6_jNS0_17counting_iteratorIjlEEPS9_SE_NS0_5tupleIJPjSE_EEENSF_IJSE_SE_EEES9_SG_JZNS1_25segmented_radix_sort_implINS0_14default_configELb0EPKhPhPKlPlN2at6native12_GLOBAL__N_18offset_tEEE10hipError_tPvRmT1_PNSt15iterator_traitsISY_E10value_typeET2_T3_PNSZ_IS14_E10value_typeET4_jRbjT5_S1A_jjP12ihipStream_tbEUljE_EEESV_SW_SX_S14_S18_S1A_T6_T7_T9_mT8_S1C_bDpT10_ENKUlT_T0_E_clISt17integral_constantIbLb0EES1P_EEDaS1K_S1L_EUlS1K_E_NS1_11comp_targetILNS1_3genE0ELNS1_11target_archE4294967295ELNS1_3gpuE0ELNS1_3repE0EEENS1_30default_config_static_selectorELNS0_4arch9wavefront6targetE0EEEvSY_.uses_flat_scratch, 0
	.set _ZN7rocprim17ROCPRIM_400000_NS6detail17trampoline_kernelINS0_13select_configILj256ELj13ELNS0_17block_load_methodE3ELS4_3ELS4_3ELNS0_20block_scan_algorithmE0ELj4294967295EEENS1_25partition_config_selectorILNS1_17partition_subalgoE3EjNS0_10empty_typeEbEEZZNS1_14partition_implILS8_3ELb0ES6_jNS0_17counting_iteratorIjlEEPS9_SE_NS0_5tupleIJPjSE_EEENSF_IJSE_SE_EEES9_SG_JZNS1_25segmented_radix_sort_implINS0_14default_configELb0EPKhPhPKlPlN2at6native12_GLOBAL__N_18offset_tEEE10hipError_tPvRmT1_PNSt15iterator_traitsISY_E10value_typeET2_T3_PNSZ_IS14_E10value_typeET4_jRbjT5_S1A_jjP12ihipStream_tbEUljE_EEESV_SW_SX_S14_S18_S1A_T6_T7_T9_mT8_S1C_bDpT10_ENKUlT_T0_E_clISt17integral_constantIbLb0EES1P_EEDaS1K_S1L_EUlS1K_E_NS1_11comp_targetILNS1_3genE0ELNS1_11target_archE4294967295ELNS1_3gpuE0ELNS1_3repE0EEENS1_30default_config_static_selectorELNS0_4arch9wavefront6targetE0EEEvSY_.has_dyn_sized_stack, 0
	.set _ZN7rocprim17ROCPRIM_400000_NS6detail17trampoline_kernelINS0_13select_configILj256ELj13ELNS0_17block_load_methodE3ELS4_3ELS4_3ELNS0_20block_scan_algorithmE0ELj4294967295EEENS1_25partition_config_selectorILNS1_17partition_subalgoE3EjNS0_10empty_typeEbEEZZNS1_14partition_implILS8_3ELb0ES6_jNS0_17counting_iteratorIjlEEPS9_SE_NS0_5tupleIJPjSE_EEENSF_IJSE_SE_EEES9_SG_JZNS1_25segmented_radix_sort_implINS0_14default_configELb0EPKhPhPKlPlN2at6native12_GLOBAL__N_18offset_tEEE10hipError_tPvRmT1_PNSt15iterator_traitsISY_E10value_typeET2_T3_PNSZ_IS14_E10value_typeET4_jRbjT5_S1A_jjP12ihipStream_tbEUljE_EEESV_SW_SX_S14_S18_S1A_T6_T7_T9_mT8_S1C_bDpT10_ENKUlT_T0_E_clISt17integral_constantIbLb0EES1P_EEDaS1K_S1L_EUlS1K_E_NS1_11comp_targetILNS1_3genE0ELNS1_11target_archE4294967295ELNS1_3gpuE0ELNS1_3repE0EEENS1_30default_config_static_selectorELNS0_4arch9wavefront6targetE0EEEvSY_.has_recursion, 0
	.set _ZN7rocprim17ROCPRIM_400000_NS6detail17trampoline_kernelINS0_13select_configILj256ELj13ELNS0_17block_load_methodE3ELS4_3ELS4_3ELNS0_20block_scan_algorithmE0ELj4294967295EEENS1_25partition_config_selectorILNS1_17partition_subalgoE3EjNS0_10empty_typeEbEEZZNS1_14partition_implILS8_3ELb0ES6_jNS0_17counting_iteratorIjlEEPS9_SE_NS0_5tupleIJPjSE_EEENSF_IJSE_SE_EEES9_SG_JZNS1_25segmented_radix_sort_implINS0_14default_configELb0EPKhPhPKlPlN2at6native12_GLOBAL__N_18offset_tEEE10hipError_tPvRmT1_PNSt15iterator_traitsISY_E10value_typeET2_T3_PNSZ_IS14_E10value_typeET4_jRbjT5_S1A_jjP12ihipStream_tbEUljE_EEESV_SW_SX_S14_S18_S1A_T6_T7_T9_mT8_S1C_bDpT10_ENKUlT_T0_E_clISt17integral_constantIbLb0EES1P_EEDaS1K_S1L_EUlS1K_E_NS1_11comp_targetILNS1_3genE0ELNS1_11target_archE4294967295ELNS1_3gpuE0ELNS1_3repE0EEENS1_30default_config_static_selectorELNS0_4arch9wavefront6targetE0EEEvSY_.has_indirect_call, 0
	.section	.AMDGPU.csdata,"",@progbits
; Kernel info:
; codeLenInByte = 0
; TotalNumSgprs: 0
; NumVgprs: 0
; ScratchSize: 0
; MemoryBound: 0
; FloatMode: 240
; IeeeMode: 1
; LDSByteSize: 0 bytes/workgroup (compile time only)
; SGPRBlocks: 0
; VGPRBlocks: 0
; NumSGPRsForWavesPerEU: 1
; NumVGPRsForWavesPerEU: 1
; Occupancy: 16
; WaveLimiterHint : 0
; COMPUTE_PGM_RSRC2:SCRATCH_EN: 0
; COMPUTE_PGM_RSRC2:USER_SGPR: 6
; COMPUTE_PGM_RSRC2:TRAP_HANDLER: 0
; COMPUTE_PGM_RSRC2:TGID_X_EN: 1
; COMPUTE_PGM_RSRC2:TGID_Y_EN: 0
; COMPUTE_PGM_RSRC2:TGID_Z_EN: 0
; COMPUTE_PGM_RSRC2:TIDIG_COMP_CNT: 0
	.section	.text._ZN7rocprim17ROCPRIM_400000_NS6detail17trampoline_kernelINS0_13select_configILj256ELj13ELNS0_17block_load_methodE3ELS4_3ELS4_3ELNS0_20block_scan_algorithmE0ELj4294967295EEENS1_25partition_config_selectorILNS1_17partition_subalgoE3EjNS0_10empty_typeEbEEZZNS1_14partition_implILS8_3ELb0ES6_jNS0_17counting_iteratorIjlEEPS9_SE_NS0_5tupleIJPjSE_EEENSF_IJSE_SE_EEES9_SG_JZNS1_25segmented_radix_sort_implINS0_14default_configELb0EPKhPhPKlPlN2at6native12_GLOBAL__N_18offset_tEEE10hipError_tPvRmT1_PNSt15iterator_traitsISY_E10value_typeET2_T3_PNSZ_IS14_E10value_typeET4_jRbjT5_S1A_jjP12ihipStream_tbEUljE_EEESV_SW_SX_S14_S18_S1A_T6_T7_T9_mT8_S1C_bDpT10_ENKUlT_T0_E_clISt17integral_constantIbLb0EES1P_EEDaS1K_S1L_EUlS1K_E_NS1_11comp_targetILNS1_3genE5ELNS1_11target_archE942ELNS1_3gpuE9ELNS1_3repE0EEENS1_30default_config_static_selectorELNS0_4arch9wavefront6targetE0EEEvSY_,"axG",@progbits,_ZN7rocprim17ROCPRIM_400000_NS6detail17trampoline_kernelINS0_13select_configILj256ELj13ELNS0_17block_load_methodE3ELS4_3ELS4_3ELNS0_20block_scan_algorithmE0ELj4294967295EEENS1_25partition_config_selectorILNS1_17partition_subalgoE3EjNS0_10empty_typeEbEEZZNS1_14partition_implILS8_3ELb0ES6_jNS0_17counting_iteratorIjlEEPS9_SE_NS0_5tupleIJPjSE_EEENSF_IJSE_SE_EEES9_SG_JZNS1_25segmented_radix_sort_implINS0_14default_configELb0EPKhPhPKlPlN2at6native12_GLOBAL__N_18offset_tEEE10hipError_tPvRmT1_PNSt15iterator_traitsISY_E10value_typeET2_T3_PNSZ_IS14_E10value_typeET4_jRbjT5_S1A_jjP12ihipStream_tbEUljE_EEESV_SW_SX_S14_S18_S1A_T6_T7_T9_mT8_S1C_bDpT10_ENKUlT_T0_E_clISt17integral_constantIbLb0EES1P_EEDaS1K_S1L_EUlS1K_E_NS1_11comp_targetILNS1_3genE5ELNS1_11target_archE942ELNS1_3gpuE9ELNS1_3repE0EEENS1_30default_config_static_selectorELNS0_4arch9wavefront6targetE0EEEvSY_,comdat
	.globl	_ZN7rocprim17ROCPRIM_400000_NS6detail17trampoline_kernelINS0_13select_configILj256ELj13ELNS0_17block_load_methodE3ELS4_3ELS4_3ELNS0_20block_scan_algorithmE0ELj4294967295EEENS1_25partition_config_selectorILNS1_17partition_subalgoE3EjNS0_10empty_typeEbEEZZNS1_14partition_implILS8_3ELb0ES6_jNS0_17counting_iteratorIjlEEPS9_SE_NS0_5tupleIJPjSE_EEENSF_IJSE_SE_EEES9_SG_JZNS1_25segmented_radix_sort_implINS0_14default_configELb0EPKhPhPKlPlN2at6native12_GLOBAL__N_18offset_tEEE10hipError_tPvRmT1_PNSt15iterator_traitsISY_E10value_typeET2_T3_PNSZ_IS14_E10value_typeET4_jRbjT5_S1A_jjP12ihipStream_tbEUljE_EEESV_SW_SX_S14_S18_S1A_T6_T7_T9_mT8_S1C_bDpT10_ENKUlT_T0_E_clISt17integral_constantIbLb0EES1P_EEDaS1K_S1L_EUlS1K_E_NS1_11comp_targetILNS1_3genE5ELNS1_11target_archE942ELNS1_3gpuE9ELNS1_3repE0EEENS1_30default_config_static_selectorELNS0_4arch9wavefront6targetE0EEEvSY_ ; -- Begin function _ZN7rocprim17ROCPRIM_400000_NS6detail17trampoline_kernelINS0_13select_configILj256ELj13ELNS0_17block_load_methodE3ELS4_3ELS4_3ELNS0_20block_scan_algorithmE0ELj4294967295EEENS1_25partition_config_selectorILNS1_17partition_subalgoE3EjNS0_10empty_typeEbEEZZNS1_14partition_implILS8_3ELb0ES6_jNS0_17counting_iteratorIjlEEPS9_SE_NS0_5tupleIJPjSE_EEENSF_IJSE_SE_EEES9_SG_JZNS1_25segmented_radix_sort_implINS0_14default_configELb0EPKhPhPKlPlN2at6native12_GLOBAL__N_18offset_tEEE10hipError_tPvRmT1_PNSt15iterator_traitsISY_E10value_typeET2_T3_PNSZ_IS14_E10value_typeET4_jRbjT5_S1A_jjP12ihipStream_tbEUljE_EEESV_SW_SX_S14_S18_S1A_T6_T7_T9_mT8_S1C_bDpT10_ENKUlT_T0_E_clISt17integral_constantIbLb0EES1P_EEDaS1K_S1L_EUlS1K_E_NS1_11comp_targetILNS1_3genE5ELNS1_11target_archE942ELNS1_3gpuE9ELNS1_3repE0EEENS1_30default_config_static_selectorELNS0_4arch9wavefront6targetE0EEEvSY_
	.p2align	8
	.type	_ZN7rocprim17ROCPRIM_400000_NS6detail17trampoline_kernelINS0_13select_configILj256ELj13ELNS0_17block_load_methodE3ELS4_3ELS4_3ELNS0_20block_scan_algorithmE0ELj4294967295EEENS1_25partition_config_selectorILNS1_17partition_subalgoE3EjNS0_10empty_typeEbEEZZNS1_14partition_implILS8_3ELb0ES6_jNS0_17counting_iteratorIjlEEPS9_SE_NS0_5tupleIJPjSE_EEENSF_IJSE_SE_EEES9_SG_JZNS1_25segmented_radix_sort_implINS0_14default_configELb0EPKhPhPKlPlN2at6native12_GLOBAL__N_18offset_tEEE10hipError_tPvRmT1_PNSt15iterator_traitsISY_E10value_typeET2_T3_PNSZ_IS14_E10value_typeET4_jRbjT5_S1A_jjP12ihipStream_tbEUljE_EEESV_SW_SX_S14_S18_S1A_T6_T7_T9_mT8_S1C_bDpT10_ENKUlT_T0_E_clISt17integral_constantIbLb0EES1P_EEDaS1K_S1L_EUlS1K_E_NS1_11comp_targetILNS1_3genE5ELNS1_11target_archE942ELNS1_3gpuE9ELNS1_3repE0EEENS1_30default_config_static_selectorELNS0_4arch9wavefront6targetE0EEEvSY_,@function
_ZN7rocprim17ROCPRIM_400000_NS6detail17trampoline_kernelINS0_13select_configILj256ELj13ELNS0_17block_load_methodE3ELS4_3ELS4_3ELNS0_20block_scan_algorithmE0ELj4294967295EEENS1_25partition_config_selectorILNS1_17partition_subalgoE3EjNS0_10empty_typeEbEEZZNS1_14partition_implILS8_3ELb0ES6_jNS0_17counting_iteratorIjlEEPS9_SE_NS0_5tupleIJPjSE_EEENSF_IJSE_SE_EEES9_SG_JZNS1_25segmented_radix_sort_implINS0_14default_configELb0EPKhPhPKlPlN2at6native12_GLOBAL__N_18offset_tEEE10hipError_tPvRmT1_PNSt15iterator_traitsISY_E10value_typeET2_T3_PNSZ_IS14_E10value_typeET4_jRbjT5_S1A_jjP12ihipStream_tbEUljE_EEESV_SW_SX_S14_S18_S1A_T6_T7_T9_mT8_S1C_bDpT10_ENKUlT_T0_E_clISt17integral_constantIbLb0EES1P_EEDaS1K_S1L_EUlS1K_E_NS1_11comp_targetILNS1_3genE5ELNS1_11target_archE942ELNS1_3gpuE9ELNS1_3repE0EEENS1_30default_config_static_selectorELNS0_4arch9wavefront6targetE0EEEvSY_: ; @_ZN7rocprim17ROCPRIM_400000_NS6detail17trampoline_kernelINS0_13select_configILj256ELj13ELNS0_17block_load_methodE3ELS4_3ELS4_3ELNS0_20block_scan_algorithmE0ELj4294967295EEENS1_25partition_config_selectorILNS1_17partition_subalgoE3EjNS0_10empty_typeEbEEZZNS1_14partition_implILS8_3ELb0ES6_jNS0_17counting_iteratorIjlEEPS9_SE_NS0_5tupleIJPjSE_EEENSF_IJSE_SE_EEES9_SG_JZNS1_25segmented_radix_sort_implINS0_14default_configELb0EPKhPhPKlPlN2at6native12_GLOBAL__N_18offset_tEEE10hipError_tPvRmT1_PNSt15iterator_traitsISY_E10value_typeET2_T3_PNSZ_IS14_E10value_typeET4_jRbjT5_S1A_jjP12ihipStream_tbEUljE_EEESV_SW_SX_S14_S18_S1A_T6_T7_T9_mT8_S1C_bDpT10_ENKUlT_T0_E_clISt17integral_constantIbLb0EES1P_EEDaS1K_S1L_EUlS1K_E_NS1_11comp_targetILNS1_3genE5ELNS1_11target_archE942ELNS1_3gpuE9ELNS1_3repE0EEENS1_30default_config_static_selectorELNS0_4arch9wavefront6targetE0EEEvSY_
; %bb.0:
	.section	.rodata,"a",@progbits
	.p2align	6, 0x0
	.amdhsa_kernel _ZN7rocprim17ROCPRIM_400000_NS6detail17trampoline_kernelINS0_13select_configILj256ELj13ELNS0_17block_load_methodE3ELS4_3ELS4_3ELNS0_20block_scan_algorithmE0ELj4294967295EEENS1_25partition_config_selectorILNS1_17partition_subalgoE3EjNS0_10empty_typeEbEEZZNS1_14partition_implILS8_3ELb0ES6_jNS0_17counting_iteratorIjlEEPS9_SE_NS0_5tupleIJPjSE_EEENSF_IJSE_SE_EEES9_SG_JZNS1_25segmented_radix_sort_implINS0_14default_configELb0EPKhPhPKlPlN2at6native12_GLOBAL__N_18offset_tEEE10hipError_tPvRmT1_PNSt15iterator_traitsISY_E10value_typeET2_T3_PNSZ_IS14_E10value_typeET4_jRbjT5_S1A_jjP12ihipStream_tbEUljE_EEESV_SW_SX_S14_S18_S1A_T6_T7_T9_mT8_S1C_bDpT10_ENKUlT_T0_E_clISt17integral_constantIbLb0EES1P_EEDaS1K_S1L_EUlS1K_E_NS1_11comp_targetILNS1_3genE5ELNS1_11target_archE942ELNS1_3gpuE9ELNS1_3repE0EEENS1_30default_config_static_selectorELNS0_4arch9wavefront6targetE0EEEvSY_
		.amdhsa_group_segment_fixed_size 0
		.amdhsa_private_segment_fixed_size 0
		.amdhsa_kernarg_size 144
		.amdhsa_user_sgpr_count 6
		.amdhsa_user_sgpr_private_segment_buffer 1
		.amdhsa_user_sgpr_dispatch_ptr 0
		.amdhsa_user_sgpr_queue_ptr 0
		.amdhsa_user_sgpr_kernarg_segment_ptr 1
		.amdhsa_user_sgpr_dispatch_id 0
		.amdhsa_user_sgpr_flat_scratch_init 0
		.amdhsa_user_sgpr_private_segment_size 0
		.amdhsa_wavefront_size32 1
		.amdhsa_uses_dynamic_stack 0
		.amdhsa_system_sgpr_private_segment_wavefront_offset 0
		.amdhsa_system_sgpr_workgroup_id_x 1
		.amdhsa_system_sgpr_workgroup_id_y 0
		.amdhsa_system_sgpr_workgroup_id_z 0
		.amdhsa_system_sgpr_workgroup_info 0
		.amdhsa_system_vgpr_workitem_id 0
		.amdhsa_next_free_vgpr 1
		.amdhsa_next_free_sgpr 1
		.amdhsa_reserve_vcc 0
		.amdhsa_reserve_flat_scratch 0
		.amdhsa_float_round_mode_32 0
		.amdhsa_float_round_mode_16_64 0
		.amdhsa_float_denorm_mode_32 3
		.amdhsa_float_denorm_mode_16_64 3
		.amdhsa_dx10_clamp 1
		.amdhsa_ieee_mode 1
		.amdhsa_fp16_overflow 0
		.amdhsa_workgroup_processor_mode 1
		.amdhsa_memory_ordered 1
		.amdhsa_forward_progress 1
		.amdhsa_shared_vgpr_count 0
		.amdhsa_exception_fp_ieee_invalid_op 0
		.amdhsa_exception_fp_denorm_src 0
		.amdhsa_exception_fp_ieee_div_zero 0
		.amdhsa_exception_fp_ieee_overflow 0
		.amdhsa_exception_fp_ieee_underflow 0
		.amdhsa_exception_fp_ieee_inexact 0
		.amdhsa_exception_int_div_zero 0
	.end_amdhsa_kernel
	.section	.text._ZN7rocprim17ROCPRIM_400000_NS6detail17trampoline_kernelINS0_13select_configILj256ELj13ELNS0_17block_load_methodE3ELS4_3ELS4_3ELNS0_20block_scan_algorithmE0ELj4294967295EEENS1_25partition_config_selectorILNS1_17partition_subalgoE3EjNS0_10empty_typeEbEEZZNS1_14partition_implILS8_3ELb0ES6_jNS0_17counting_iteratorIjlEEPS9_SE_NS0_5tupleIJPjSE_EEENSF_IJSE_SE_EEES9_SG_JZNS1_25segmented_radix_sort_implINS0_14default_configELb0EPKhPhPKlPlN2at6native12_GLOBAL__N_18offset_tEEE10hipError_tPvRmT1_PNSt15iterator_traitsISY_E10value_typeET2_T3_PNSZ_IS14_E10value_typeET4_jRbjT5_S1A_jjP12ihipStream_tbEUljE_EEESV_SW_SX_S14_S18_S1A_T6_T7_T9_mT8_S1C_bDpT10_ENKUlT_T0_E_clISt17integral_constantIbLb0EES1P_EEDaS1K_S1L_EUlS1K_E_NS1_11comp_targetILNS1_3genE5ELNS1_11target_archE942ELNS1_3gpuE9ELNS1_3repE0EEENS1_30default_config_static_selectorELNS0_4arch9wavefront6targetE0EEEvSY_,"axG",@progbits,_ZN7rocprim17ROCPRIM_400000_NS6detail17trampoline_kernelINS0_13select_configILj256ELj13ELNS0_17block_load_methodE3ELS4_3ELS4_3ELNS0_20block_scan_algorithmE0ELj4294967295EEENS1_25partition_config_selectorILNS1_17partition_subalgoE3EjNS0_10empty_typeEbEEZZNS1_14partition_implILS8_3ELb0ES6_jNS0_17counting_iteratorIjlEEPS9_SE_NS0_5tupleIJPjSE_EEENSF_IJSE_SE_EEES9_SG_JZNS1_25segmented_radix_sort_implINS0_14default_configELb0EPKhPhPKlPlN2at6native12_GLOBAL__N_18offset_tEEE10hipError_tPvRmT1_PNSt15iterator_traitsISY_E10value_typeET2_T3_PNSZ_IS14_E10value_typeET4_jRbjT5_S1A_jjP12ihipStream_tbEUljE_EEESV_SW_SX_S14_S18_S1A_T6_T7_T9_mT8_S1C_bDpT10_ENKUlT_T0_E_clISt17integral_constantIbLb0EES1P_EEDaS1K_S1L_EUlS1K_E_NS1_11comp_targetILNS1_3genE5ELNS1_11target_archE942ELNS1_3gpuE9ELNS1_3repE0EEENS1_30default_config_static_selectorELNS0_4arch9wavefront6targetE0EEEvSY_,comdat
.Lfunc_end154:
	.size	_ZN7rocprim17ROCPRIM_400000_NS6detail17trampoline_kernelINS0_13select_configILj256ELj13ELNS0_17block_load_methodE3ELS4_3ELS4_3ELNS0_20block_scan_algorithmE0ELj4294967295EEENS1_25partition_config_selectorILNS1_17partition_subalgoE3EjNS0_10empty_typeEbEEZZNS1_14partition_implILS8_3ELb0ES6_jNS0_17counting_iteratorIjlEEPS9_SE_NS0_5tupleIJPjSE_EEENSF_IJSE_SE_EEES9_SG_JZNS1_25segmented_radix_sort_implINS0_14default_configELb0EPKhPhPKlPlN2at6native12_GLOBAL__N_18offset_tEEE10hipError_tPvRmT1_PNSt15iterator_traitsISY_E10value_typeET2_T3_PNSZ_IS14_E10value_typeET4_jRbjT5_S1A_jjP12ihipStream_tbEUljE_EEESV_SW_SX_S14_S18_S1A_T6_T7_T9_mT8_S1C_bDpT10_ENKUlT_T0_E_clISt17integral_constantIbLb0EES1P_EEDaS1K_S1L_EUlS1K_E_NS1_11comp_targetILNS1_3genE5ELNS1_11target_archE942ELNS1_3gpuE9ELNS1_3repE0EEENS1_30default_config_static_selectorELNS0_4arch9wavefront6targetE0EEEvSY_, .Lfunc_end154-_ZN7rocprim17ROCPRIM_400000_NS6detail17trampoline_kernelINS0_13select_configILj256ELj13ELNS0_17block_load_methodE3ELS4_3ELS4_3ELNS0_20block_scan_algorithmE0ELj4294967295EEENS1_25partition_config_selectorILNS1_17partition_subalgoE3EjNS0_10empty_typeEbEEZZNS1_14partition_implILS8_3ELb0ES6_jNS0_17counting_iteratorIjlEEPS9_SE_NS0_5tupleIJPjSE_EEENSF_IJSE_SE_EEES9_SG_JZNS1_25segmented_radix_sort_implINS0_14default_configELb0EPKhPhPKlPlN2at6native12_GLOBAL__N_18offset_tEEE10hipError_tPvRmT1_PNSt15iterator_traitsISY_E10value_typeET2_T3_PNSZ_IS14_E10value_typeET4_jRbjT5_S1A_jjP12ihipStream_tbEUljE_EEESV_SW_SX_S14_S18_S1A_T6_T7_T9_mT8_S1C_bDpT10_ENKUlT_T0_E_clISt17integral_constantIbLb0EES1P_EEDaS1K_S1L_EUlS1K_E_NS1_11comp_targetILNS1_3genE5ELNS1_11target_archE942ELNS1_3gpuE9ELNS1_3repE0EEENS1_30default_config_static_selectorELNS0_4arch9wavefront6targetE0EEEvSY_
                                        ; -- End function
	.set _ZN7rocprim17ROCPRIM_400000_NS6detail17trampoline_kernelINS0_13select_configILj256ELj13ELNS0_17block_load_methodE3ELS4_3ELS4_3ELNS0_20block_scan_algorithmE0ELj4294967295EEENS1_25partition_config_selectorILNS1_17partition_subalgoE3EjNS0_10empty_typeEbEEZZNS1_14partition_implILS8_3ELb0ES6_jNS0_17counting_iteratorIjlEEPS9_SE_NS0_5tupleIJPjSE_EEENSF_IJSE_SE_EEES9_SG_JZNS1_25segmented_radix_sort_implINS0_14default_configELb0EPKhPhPKlPlN2at6native12_GLOBAL__N_18offset_tEEE10hipError_tPvRmT1_PNSt15iterator_traitsISY_E10value_typeET2_T3_PNSZ_IS14_E10value_typeET4_jRbjT5_S1A_jjP12ihipStream_tbEUljE_EEESV_SW_SX_S14_S18_S1A_T6_T7_T9_mT8_S1C_bDpT10_ENKUlT_T0_E_clISt17integral_constantIbLb0EES1P_EEDaS1K_S1L_EUlS1K_E_NS1_11comp_targetILNS1_3genE5ELNS1_11target_archE942ELNS1_3gpuE9ELNS1_3repE0EEENS1_30default_config_static_selectorELNS0_4arch9wavefront6targetE0EEEvSY_.num_vgpr, 0
	.set _ZN7rocprim17ROCPRIM_400000_NS6detail17trampoline_kernelINS0_13select_configILj256ELj13ELNS0_17block_load_methodE3ELS4_3ELS4_3ELNS0_20block_scan_algorithmE0ELj4294967295EEENS1_25partition_config_selectorILNS1_17partition_subalgoE3EjNS0_10empty_typeEbEEZZNS1_14partition_implILS8_3ELb0ES6_jNS0_17counting_iteratorIjlEEPS9_SE_NS0_5tupleIJPjSE_EEENSF_IJSE_SE_EEES9_SG_JZNS1_25segmented_radix_sort_implINS0_14default_configELb0EPKhPhPKlPlN2at6native12_GLOBAL__N_18offset_tEEE10hipError_tPvRmT1_PNSt15iterator_traitsISY_E10value_typeET2_T3_PNSZ_IS14_E10value_typeET4_jRbjT5_S1A_jjP12ihipStream_tbEUljE_EEESV_SW_SX_S14_S18_S1A_T6_T7_T9_mT8_S1C_bDpT10_ENKUlT_T0_E_clISt17integral_constantIbLb0EES1P_EEDaS1K_S1L_EUlS1K_E_NS1_11comp_targetILNS1_3genE5ELNS1_11target_archE942ELNS1_3gpuE9ELNS1_3repE0EEENS1_30default_config_static_selectorELNS0_4arch9wavefront6targetE0EEEvSY_.num_agpr, 0
	.set _ZN7rocprim17ROCPRIM_400000_NS6detail17trampoline_kernelINS0_13select_configILj256ELj13ELNS0_17block_load_methodE3ELS4_3ELS4_3ELNS0_20block_scan_algorithmE0ELj4294967295EEENS1_25partition_config_selectorILNS1_17partition_subalgoE3EjNS0_10empty_typeEbEEZZNS1_14partition_implILS8_3ELb0ES6_jNS0_17counting_iteratorIjlEEPS9_SE_NS0_5tupleIJPjSE_EEENSF_IJSE_SE_EEES9_SG_JZNS1_25segmented_radix_sort_implINS0_14default_configELb0EPKhPhPKlPlN2at6native12_GLOBAL__N_18offset_tEEE10hipError_tPvRmT1_PNSt15iterator_traitsISY_E10value_typeET2_T3_PNSZ_IS14_E10value_typeET4_jRbjT5_S1A_jjP12ihipStream_tbEUljE_EEESV_SW_SX_S14_S18_S1A_T6_T7_T9_mT8_S1C_bDpT10_ENKUlT_T0_E_clISt17integral_constantIbLb0EES1P_EEDaS1K_S1L_EUlS1K_E_NS1_11comp_targetILNS1_3genE5ELNS1_11target_archE942ELNS1_3gpuE9ELNS1_3repE0EEENS1_30default_config_static_selectorELNS0_4arch9wavefront6targetE0EEEvSY_.numbered_sgpr, 0
	.set _ZN7rocprim17ROCPRIM_400000_NS6detail17trampoline_kernelINS0_13select_configILj256ELj13ELNS0_17block_load_methodE3ELS4_3ELS4_3ELNS0_20block_scan_algorithmE0ELj4294967295EEENS1_25partition_config_selectorILNS1_17partition_subalgoE3EjNS0_10empty_typeEbEEZZNS1_14partition_implILS8_3ELb0ES6_jNS0_17counting_iteratorIjlEEPS9_SE_NS0_5tupleIJPjSE_EEENSF_IJSE_SE_EEES9_SG_JZNS1_25segmented_radix_sort_implINS0_14default_configELb0EPKhPhPKlPlN2at6native12_GLOBAL__N_18offset_tEEE10hipError_tPvRmT1_PNSt15iterator_traitsISY_E10value_typeET2_T3_PNSZ_IS14_E10value_typeET4_jRbjT5_S1A_jjP12ihipStream_tbEUljE_EEESV_SW_SX_S14_S18_S1A_T6_T7_T9_mT8_S1C_bDpT10_ENKUlT_T0_E_clISt17integral_constantIbLb0EES1P_EEDaS1K_S1L_EUlS1K_E_NS1_11comp_targetILNS1_3genE5ELNS1_11target_archE942ELNS1_3gpuE9ELNS1_3repE0EEENS1_30default_config_static_selectorELNS0_4arch9wavefront6targetE0EEEvSY_.num_named_barrier, 0
	.set _ZN7rocprim17ROCPRIM_400000_NS6detail17trampoline_kernelINS0_13select_configILj256ELj13ELNS0_17block_load_methodE3ELS4_3ELS4_3ELNS0_20block_scan_algorithmE0ELj4294967295EEENS1_25partition_config_selectorILNS1_17partition_subalgoE3EjNS0_10empty_typeEbEEZZNS1_14partition_implILS8_3ELb0ES6_jNS0_17counting_iteratorIjlEEPS9_SE_NS0_5tupleIJPjSE_EEENSF_IJSE_SE_EEES9_SG_JZNS1_25segmented_radix_sort_implINS0_14default_configELb0EPKhPhPKlPlN2at6native12_GLOBAL__N_18offset_tEEE10hipError_tPvRmT1_PNSt15iterator_traitsISY_E10value_typeET2_T3_PNSZ_IS14_E10value_typeET4_jRbjT5_S1A_jjP12ihipStream_tbEUljE_EEESV_SW_SX_S14_S18_S1A_T6_T7_T9_mT8_S1C_bDpT10_ENKUlT_T0_E_clISt17integral_constantIbLb0EES1P_EEDaS1K_S1L_EUlS1K_E_NS1_11comp_targetILNS1_3genE5ELNS1_11target_archE942ELNS1_3gpuE9ELNS1_3repE0EEENS1_30default_config_static_selectorELNS0_4arch9wavefront6targetE0EEEvSY_.private_seg_size, 0
	.set _ZN7rocprim17ROCPRIM_400000_NS6detail17trampoline_kernelINS0_13select_configILj256ELj13ELNS0_17block_load_methodE3ELS4_3ELS4_3ELNS0_20block_scan_algorithmE0ELj4294967295EEENS1_25partition_config_selectorILNS1_17partition_subalgoE3EjNS0_10empty_typeEbEEZZNS1_14partition_implILS8_3ELb0ES6_jNS0_17counting_iteratorIjlEEPS9_SE_NS0_5tupleIJPjSE_EEENSF_IJSE_SE_EEES9_SG_JZNS1_25segmented_radix_sort_implINS0_14default_configELb0EPKhPhPKlPlN2at6native12_GLOBAL__N_18offset_tEEE10hipError_tPvRmT1_PNSt15iterator_traitsISY_E10value_typeET2_T3_PNSZ_IS14_E10value_typeET4_jRbjT5_S1A_jjP12ihipStream_tbEUljE_EEESV_SW_SX_S14_S18_S1A_T6_T7_T9_mT8_S1C_bDpT10_ENKUlT_T0_E_clISt17integral_constantIbLb0EES1P_EEDaS1K_S1L_EUlS1K_E_NS1_11comp_targetILNS1_3genE5ELNS1_11target_archE942ELNS1_3gpuE9ELNS1_3repE0EEENS1_30default_config_static_selectorELNS0_4arch9wavefront6targetE0EEEvSY_.uses_vcc, 0
	.set _ZN7rocprim17ROCPRIM_400000_NS6detail17trampoline_kernelINS0_13select_configILj256ELj13ELNS0_17block_load_methodE3ELS4_3ELS4_3ELNS0_20block_scan_algorithmE0ELj4294967295EEENS1_25partition_config_selectorILNS1_17partition_subalgoE3EjNS0_10empty_typeEbEEZZNS1_14partition_implILS8_3ELb0ES6_jNS0_17counting_iteratorIjlEEPS9_SE_NS0_5tupleIJPjSE_EEENSF_IJSE_SE_EEES9_SG_JZNS1_25segmented_radix_sort_implINS0_14default_configELb0EPKhPhPKlPlN2at6native12_GLOBAL__N_18offset_tEEE10hipError_tPvRmT1_PNSt15iterator_traitsISY_E10value_typeET2_T3_PNSZ_IS14_E10value_typeET4_jRbjT5_S1A_jjP12ihipStream_tbEUljE_EEESV_SW_SX_S14_S18_S1A_T6_T7_T9_mT8_S1C_bDpT10_ENKUlT_T0_E_clISt17integral_constantIbLb0EES1P_EEDaS1K_S1L_EUlS1K_E_NS1_11comp_targetILNS1_3genE5ELNS1_11target_archE942ELNS1_3gpuE9ELNS1_3repE0EEENS1_30default_config_static_selectorELNS0_4arch9wavefront6targetE0EEEvSY_.uses_flat_scratch, 0
	.set _ZN7rocprim17ROCPRIM_400000_NS6detail17trampoline_kernelINS0_13select_configILj256ELj13ELNS0_17block_load_methodE3ELS4_3ELS4_3ELNS0_20block_scan_algorithmE0ELj4294967295EEENS1_25partition_config_selectorILNS1_17partition_subalgoE3EjNS0_10empty_typeEbEEZZNS1_14partition_implILS8_3ELb0ES6_jNS0_17counting_iteratorIjlEEPS9_SE_NS0_5tupleIJPjSE_EEENSF_IJSE_SE_EEES9_SG_JZNS1_25segmented_radix_sort_implINS0_14default_configELb0EPKhPhPKlPlN2at6native12_GLOBAL__N_18offset_tEEE10hipError_tPvRmT1_PNSt15iterator_traitsISY_E10value_typeET2_T3_PNSZ_IS14_E10value_typeET4_jRbjT5_S1A_jjP12ihipStream_tbEUljE_EEESV_SW_SX_S14_S18_S1A_T6_T7_T9_mT8_S1C_bDpT10_ENKUlT_T0_E_clISt17integral_constantIbLb0EES1P_EEDaS1K_S1L_EUlS1K_E_NS1_11comp_targetILNS1_3genE5ELNS1_11target_archE942ELNS1_3gpuE9ELNS1_3repE0EEENS1_30default_config_static_selectorELNS0_4arch9wavefront6targetE0EEEvSY_.has_dyn_sized_stack, 0
	.set _ZN7rocprim17ROCPRIM_400000_NS6detail17trampoline_kernelINS0_13select_configILj256ELj13ELNS0_17block_load_methodE3ELS4_3ELS4_3ELNS0_20block_scan_algorithmE0ELj4294967295EEENS1_25partition_config_selectorILNS1_17partition_subalgoE3EjNS0_10empty_typeEbEEZZNS1_14partition_implILS8_3ELb0ES6_jNS0_17counting_iteratorIjlEEPS9_SE_NS0_5tupleIJPjSE_EEENSF_IJSE_SE_EEES9_SG_JZNS1_25segmented_radix_sort_implINS0_14default_configELb0EPKhPhPKlPlN2at6native12_GLOBAL__N_18offset_tEEE10hipError_tPvRmT1_PNSt15iterator_traitsISY_E10value_typeET2_T3_PNSZ_IS14_E10value_typeET4_jRbjT5_S1A_jjP12ihipStream_tbEUljE_EEESV_SW_SX_S14_S18_S1A_T6_T7_T9_mT8_S1C_bDpT10_ENKUlT_T0_E_clISt17integral_constantIbLb0EES1P_EEDaS1K_S1L_EUlS1K_E_NS1_11comp_targetILNS1_3genE5ELNS1_11target_archE942ELNS1_3gpuE9ELNS1_3repE0EEENS1_30default_config_static_selectorELNS0_4arch9wavefront6targetE0EEEvSY_.has_recursion, 0
	.set _ZN7rocprim17ROCPRIM_400000_NS6detail17trampoline_kernelINS0_13select_configILj256ELj13ELNS0_17block_load_methodE3ELS4_3ELS4_3ELNS0_20block_scan_algorithmE0ELj4294967295EEENS1_25partition_config_selectorILNS1_17partition_subalgoE3EjNS0_10empty_typeEbEEZZNS1_14partition_implILS8_3ELb0ES6_jNS0_17counting_iteratorIjlEEPS9_SE_NS0_5tupleIJPjSE_EEENSF_IJSE_SE_EEES9_SG_JZNS1_25segmented_radix_sort_implINS0_14default_configELb0EPKhPhPKlPlN2at6native12_GLOBAL__N_18offset_tEEE10hipError_tPvRmT1_PNSt15iterator_traitsISY_E10value_typeET2_T3_PNSZ_IS14_E10value_typeET4_jRbjT5_S1A_jjP12ihipStream_tbEUljE_EEESV_SW_SX_S14_S18_S1A_T6_T7_T9_mT8_S1C_bDpT10_ENKUlT_T0_E_clISt17integral_constantIbLb0EES1P_EEDaS1K_S1L_EUlS1K_E_NS1_11comp_targetILNS1_3genE5ELNS1_11target_archE942ELNS1_3gpuE9ELNS1_3repE0EEENS1_30default_config_static_selectorELNS0_4arch9wavefront6targetE0EEEvSY_.has_indirect_call, 0
	.section	.AMDGPU.csdata,"",@progbits
; Kernel info:
; codeLenInByte = 0
; TotalNumSgprs: 0
; NumVgprs: 0
; ScratchSize: 0
; MemoryBound: 0
; FloatMode: 240
; IeeeMode: 1
; LDSByteSize: 0 bytes/workgroup (compile time only)
; SGPRBlocks: 0
; VGPRBlocks: 0
; NumSGPRsForWavesPerEU: 1
; NumVGPRsForWavesPerEU: 1
; Occupancy: 16
; WaveLimiterHint : 0
; COMPUTE_PGM_RSRC2:SCRATCH_EN: 0
; COMPUTE_PGM_RSRC2:USER_SGPR: 6
; COMPUTE_PGM_RSRC2:TRAP_HANDLER: 0
; COMPUTE_PGM_RSRC2:TGID_X_EN: 1
; COMPUTE_PGM_RSRC2:TGID_Y_EN: 0
; COMPUTE_PGM_RSRC2:TGID_Z_EN: 0
; COMPUTE_PGM_RSRC2:TIDIG_COMP_CNT: 0
	.section	.text._ZN7rocprim17ROCPRIM_400000_NS6detail17trampoline_kernelINS0_13select_configILj256ELj13ELNS0_17block_load_methodE3ELS4_3ELS4_3ELNS0_20block_scan_algorithmE0ELj4294967295EEENS1_25partition_config_selectorILNS1_17partition_subalgoE3EjNS0_10empty_typeEbEEZZNS1_14partition_implILS8_3ELb0ES6_jNS0_17counting_iteratorIjlEEPS9_SE_NS0_5tupleIJPjSE_EEENSF_IJSE_SE_EEES9_SG_JZNS1_25segmented_radix_sort_implINS0_14default_configELb0EPKhPhPKlPlN2at6native12_GLOBAL__N_18offset_tEEE10hipError_tPvRmT1_PNSt15iterator_traitsISY_E10value_typeET2_T3_PNSZ_IS14_E10value_typeET4_jRbjT5_S1A_jjP12ihipStream_tbEUljE_EEESV_SW_SX_S14_S18_S1A_T6_T7_T9_mT8_S1C_bDpT10_ENKUlT_T0_E_clISt17integral_constantIbLb0EES1P_EEDaS1K_S1L_EUlS1K_E_NS1_11comp_targetILNS1_3genE4ELNS1_11target_archE910ELNS1_3gpuE8ELNS1_3repE0EEENS1_30default_config_static_selectorELNS0_4arch9wavefront6targetE0EEEvSY_,"axG",@progbits,_ZN7rocprim17ROCPRIM_400000_NS6detail17trampoline_kernelINS0_13select_configILj256ELj13ELNS0_17block_load_methodE3ELS4_3ELS4_3ELNS0_20block_scan_algorithmE0ELj4294967295EEENS1_25partition_config_selectorILNS1_17partition_subalgoE3EjNS0_10empty_typeEbEEZZNS1_14partition_implILS8_3ELb0ES6_jNS0_17counting_iteratorIjlEEPS9_SE_NS0_5tupleIJPjSE_EEENSF_IJSE_SE_EEES9_SG_JZNS1_25segmented_radix_sort_implINS0_14default_configELb0EPKhPhPKlPlN2at6native12_GLOBAL__N_18offset_tEEE10hipError_tPvRmT1_PNSt15iterator_traitsISY_E10value_typeET2_T3_PNSZ_IS14_E10value_typeET4_jRbjT5_S1A_jjP12ihipStream_tbEUljE_EEESV_SW_SX_S14_S18_S1A_T6_T7_T9_mT8_S1C_bDpT10_ENKUlT_T0_E_clISt17integral_constantIbLb0EES1P_EEDaS1K_S1L_EUlS1K_E_NS1_11comp_targetILNS1_3genE4ELNS1_11target_archE910ELNS1_3gpuE8ELNS1_3repE0EEENS1_30default_config_static_selectorELNS0_4arch9wavefront6targetE0EEEvSY_,comdat
	.globl	_ZN7rocprim17ROCPRIM_400000_NS6detail17trampoline_kernelINS0_13select_configILj256ELj13ELNS0_17block_load_methodE3ELS4_3ELS4_3ELNS0_20block_scan_algorithmE0ELj4294967295EEENS1_25partition_config_selectorILNS1_17partition_subalgoE3EjNS0_10empty_typeEbEEZZNS1_14partition_implILS8_3ELb0ES6_jNS0_17counting_iteratorIjlEEPS9_SE_NS0_5tupleIJPjSE_EEENSF_IJSE_SE_EEES9_SG_JZNS1_25segmented_radix_sort_implINS0_14default_configELb0EPKhPhPKlPlN2at6native12_GLOBAL__N_18offset_tEEE10hipError_tPvRmT1_PNSt15iterator_traitsISY_E10value_typeET2_T3_PNSZ_IS14_E10value_typeET4_jRbjT5_S1A_jjP12ihipStream_tbEUljE_EEESV_SW_SX_S14_S18_S1A_T6_T7_T9_mT8_S1C_bDpT10_ENKUlT_T0_E_clISt17integral_constantIbLb0EES1P_EEDaS1K_S1L_EUlS1K_E_NS1_11comp_targetILNS1_3genE4ELNS1_11target_archE910ELNS1_3gpuE8ELNS1_3repE0EEENS1_30default_config_static_selectorELNS0_4arch9wavefront6targetE0EEEvSY_ ; -- Begin function _ZN7rocprim17ROCPRIM_400000_NS6detail17trampoline_kernelINS0_13select_configILj256ELj13ELNS0_17block_load_methodE3ELS4_3ELS4_3ELNS0_20block_scan_algorithmE0ELj4294967295EEENS1_25partition_config_selectorILNS1_17partition_subalgoE3EjNS0_10empty_typeEbEEZZNS1_14partition_implILS8_3ELb0ES6_jNS0_17counting_iteratorIjlEEPS9_SE_NS0_5tupleIJPjSE_EEENSF_IJSE_SE_EEES9_SG_JZNS1_25segmented_radix_sort_implINS0_14default_configELb0EPKhPhPKlPlN2at6native12_GLOBAL__N_18offset_tEEE10hipError_tPvRmT1_PNSt15iterator_traitsISY_E10value_typeET2_T3_PNSZ_IS14_E10value_typeET4_jRbjT5_S1A_jjP12ihipStream_tbEUljE_EEESV_SW_SX_S14_S18_S1A_T6_T7_T9_mT8_S1C_bDpT10_ENKUlT_T0_E_clISt17integral_constantIbLb0EES1P_EEDaS1K_S1L_EUlS1K_E_NS1_11comp_targetILNS1_3genE4ELNS1_11target_archE910ELNS1_3gpuE8ELNS1_3repE0EEENS1_30default_config_static_selectorELNS0_4arch9wavefront6targetE0EEEvSY_
	.p2align	8
	.type	_ZN7rocprim17ROCPRIM_400000_NS6detail17trampoline_kernelINS0_13select_configILj256ELj13ELNS0_17block_load_methodE3ELS4_3ELS4_3ELNS0_20block_scan_algorithmE0ELj4294967295EEENS1_25partition_config_selectorILNS1_17partition_subalgoE3EjNS0_10empty_typeEbEEZZNS1_14partition_implILS8_3ELb0ES6_jNS0_17counting_iteratorIjlEEPS9_SE_NS0_5tupleIJPjSE_EEENSF_IJSE_SE_EEES9_SG_JZNS1_25segmented_radix_sort_implINS0_14default_configELb0EPKhPhPKlPlN2at6native12_GLOBAL__N_18offset_tEEE10hipError_tPvRmT1_PNSt15iterator_traitsISY_E10value_typeET2_T3_PNSZ_IS14_E10value_typeET4_jRbjT5_S1A_jjP12ihipStream_tbEUljE_EEESV_SW_SX_S14_S18_S1A_T6_T7_T9_mT8_S1C_bDpT10_ENKUlT_T0_E_clISt17integral_constantIbLb0EES1P_EEDaS1K_S1L_EUlS1K_E_NS1_11comp_targetILNS1_3genE4ELNS1_11target_archE910ELNS1_3gpuE8ELNS1_3repE0EEENS1_30default_config_static_selectorELNS0_4arch9wavefront6targetE0EEEvSY_,@function
_ZN7rocprim17ROCPRIM_400000_NS6detail17trampoline_kernelINS0_13select_configILj256ELj13ELNS0_17block_load_methodE3ELS4_3ELS4_3ELNS0_20block_scan_algorithmE0ELj4294967295EEENS1_25partition_config_selectorILNS1_17partition_subalgoE3EjNS0_10empty_typeEbEEZZNS1_14partition_implILS8_3ELb0ES6_jNS0_17counting_iteratorIjlEEPS9_SE_NS0_5tupleIJPjSE_EEENSF_IJSE_SE_EEES9_SG_JZNS1_25segmented_radix_sort_implINS0_14default_configELb0EPKhPhPKlPlN2at6native12_GLOBAL__N_18offset_tEEE10hipError_tPvRmT1_PNSt15iterator_traitsISY_E10value_typeET2_T3_PNSZ_IS14_E10value_typeET4_jRbjT5_S1A_jjP12ihipStream_tbEUljE_EEESV_SW_SX_S14_S18_S1A_T6_T7_T9_mT8_S1C_bDpT10_ENKUlT_T0_E_clISt17integral_constantIbLb0EES1P_EEDaS1K_S1L_EUlS1K_E_NS1_11comp_targetILNS1_3genE4ELNS1_11target_archE910ELNS1_3gpuE8ELNS1_3repE0EEENS1_30default_config_static_selectorELNS0_4arch9wavefront6targetE0EEEvSY_: ; @_ZN7rocprim17ROCPRIM_400000_NS6detail17trampoline_kernelINS0_13select_configILj256ELj13ELNS0_17block_load_methodE3ELS4_3ELS4_3ELNS0_20block_scan_algorithmE0ELj4294967295EEENS1_25partition_config_selectorILNS1_17partition_subalgoE3EjNS0_10empty_typeEbEEZZNS1_14partition_implILS8_3ELb0ES6_jNS0_17counting_iteratorIjlEEPS9_SE_NS0_5tupleIJPjSE_EEENSF_IJSE_SE_EEES9_SG_JZNS1_25segmented_radix_sort_implINS0_14default_configELb0EPKhPhPKlPlN2at6native12_GLOBAL__N_18offset_tEEE10hipError_tPvRmT1_PNSt15iterator_traitsISY_E10value_typeET2_T3_PNSZ_IS14_E10value_typeET4_jRbjT5_S1A_jjP12ihipStream_tbEUljE_EEESV_SW_SX_S14_S18_S1A_T6_T7_T9_mT8_S1C_bDpT10_ENKUlT_T0_E_clISt17integral_constantIbLb0EES1P_EEDaS1K_S1L_EUlS1K_E_NS1_11comp_targetILNS1_3genE4ELNS1_11target_archE910ELNS1_3gpuE8ELNS1_3repE0EEENS1_30default_config_static_selectorELNS0_4arch9wavefront6targetE0EEEvSY_
; %bb.0:
	.section	.rodata,"a",@progbits
	.p2align	6, 0x0
	.amdhsa_kernel _ZN7rocprim17ROCPRIM_400000_NS6detail17trampoline_kernelINS0_13select_configILj256ELj13ELNS0_17block_load_methodE3ELS4_3ELS4_3ELNS0_20block_scan_algorithmE0ELj4294967295EEENS1_25partition_config_selectorILNS1_17partition_subalgoE3EjNS0_10empty_typeEbEEZZNS1_14partition_implILS8_3ELb0ES6_jNS0_17counting_iteratorIjlEEPS9_SE_NS0_5tupleIJPjSE_EEENSF_IJSE_SE_EEES9_SG_JZNS1_25segmented_radix_sort_implINS0_14default_configELb0EPKhPhPKlPlN2at6native12_GLOBAL__N_18offset_tEEE10hipError_tPvRmT1_PNSt15iterator_traitsISY_E10value_typeET2_T3_PNSZ_IS14_E10value_typeET4_jRbjT5_S1A_jjP12ihipStream_tbEUljE_EEESV_SW_SX_S14_S18_S1A_T6_T7_T9_mT8_S1C_bDpT10_ENKUlT_T0_E_clISt17integral_constantIbLb0EES1P_EEDaS1K_S1L_EUlS1K_E_NS1_11comp_targetILNS1_3genE4ELNS1_11target_archE910ELNS1_3gpuE8ELNS1_3repE0EEENS1_30default_config_static_selectorELNS0_4arch9wavefront6targetE0EEEvSY_
		.amdhsa_group_segment_fixed_size 0
		.amdhsa_private_segment_fixed_size 0
		.amdhsa_kernarg_size 144
		.amdhsa_user_sgpr_count 6
		.amdhsa_user_sgpr_private_segment_buffer 1
		.amdhsa_user_sgpr_dispatch_ptr 0
		.amdhsa_user_sgpr_queue_ptr 0
		.amdhsa_user_sgpr_kernarg_segment_ptr 1
		.amdhsa_user_sgpr_dispatch_id 0
		.amdhsa_user_sgpr_flat_scratch_init 0
		.amdhsa_user_sgpr_private_segment_size 0
		.amdhsa_wavefront_size32 1
		.amdhsa_uses_dynamic_stack 0
		.amdhsa_system_sgpr_private_segment_wavefront_offset 0
		.amdhsa_system_sgpr_workgroup_id_x 1
		.amdhsa_system_sgpr_workgroup_id_y 0
		.amdhsa_system_sgpr_workgroup_id_z 0
		.amdhsa_system_sgpr_workgroup_info 0
		.amdhsa_system_vgpr_workitem_id 0
		.amdhsa_next_free_vgpr 1
		.amdhsa_next_free_sgpr 1
		.amdhsa_reserve_vcc 0
		.amdhsa_reserve_flat_scratch 0
		.amdhsa_float_round_mode_32 0
		.amdhsa_float_round_mode_16_64 0
		.amdhsa_float_denorm_mode_32 3
		.amdhsa_float_denorm_mode_16_64 3
		.amdhsa_dx10_clamp 1
		.amdhsa_ieee_mode 1
		.amdhsa_fp16_overflow 0
		.amdhsa_workgroup_processor_mode 1
		.amdhsa_memory_ordered 1
		.amdhsa_forward_progress 1
		.amdhsa_shared_vgpr_count 0
		.amdhsa_exception_fp_ieee_invalid_op 0
		.amdhsa_exception_fp_denorm_src 0
		.amdhsa_exception_fp_ieee_div_zero 0
		.amdhsa_exception_fp_ieee_overflow 0
		.amdhsa_exception_fp_ieee_underflow 0
		.amdhsa_exception_fp_ieee_inexact 0
		.amdhsa_exception_int_div_zero 0
	.end_amdhsa_kernel
	.section	.text._ZN7rocprim17ROCPRIM_400000_NS6detail17trampoline_kernelINS0_13select_configILj256ELj13ELNS0_17block_load_methodE3ELS4_3ELS4_3ELNS0_20block_scan_algorithmE0ELj4294967295EEENS1_25partition_config_selectorILNS1_17partition_subalgoE3EjNS0_10empty_typeEbEEZZNS1_14partition_implILS8_3ELb0ES6_jNS0_17counting_iteratorIjlEEPS9_SE_NS0_5tupleIJPjSE_EEENSF_IJSE_SE_EEES9_SG_JZNS1_25segmented_radix_sort_implINS0_14default_configELb0EPKhPhPKlPlN2at6native12_GLOBAL__N_18offset_tEEE10hipError_tPvRmT1_PNSt15iterator_traitsISY_E10value_typeET2_T3_PNSZ_IS14_E10value_typeET4_jRbjT5_S1A_jjP12ihipStream_tbEUljE_EEESV_SW_SX_S14_S18_S1A_T6_T7_T9_mT8_S1C_bDpT10_ENKUlT_T0_E_clISt17integral_constantIbLb0EES1P_EEDaS1K_S1L_EUlS1K_E_NS1_11comp_targetILNS1_3genE4ELNS1_11target_archE910ELNS1_3gpuE8ELNS1_3repE0EEENS1_30default_config_static_selectorELNS0_4arch9wavefront6targetE0EEEvSY_,"axG",@progbits,_ZN7rocprim17ROCPRIM_400000_NS6detail17trampoline_kernelINS0_13select_configILj256ELj13ELNS0_17block_load_methodE3ELS4_3ELS4_3ELNS0_20block_scan_algorithmE0ELj4294967295EEENS1_25partition_config_selectorILNS1_17partition_subalgoE3EjNS0_10empty_typeEbEEZZNS1_14partition_implILS8_3ELb0ES6_jNS0_17counting_iteratorIjlEEPS9_SE_NS0_5tupleIJPjSE_EEENSF_IJSE_SE_EEES9_SG_JZNS1_25segmented_radix_sort_implINS0_14default_configELb0EPKhPhPKlPlN2at6native12_GLOBAL__N_18offset_tEEE10hipError_tPvRmT1_PNSt15iterator_traitsISY_E10value_typeET2_T3_PNSZ_IS14_E10value_typeET4_jRbjT5_S1A_jjP12ihipStream_tbEUljE_EEESV_SW_SX_S14_S18_S1A_T6_T7_T9_mT8_S1C_bDpT10_ENKUlT_T0_E_clISt17integral_constantIbLb0EES1P_EEDaS1K_S1L_EUlS1K_E_NS1_11comp_targetILNS1_3genE4ELNS1_11target_archE910ELNS1_3gpuE8ELNS1_3repE0EEENS1_30default_config_static_selectorELNS0_4arch9wavefront6targetE0EEEvSY_,comdat
.Lfunc_end155:
	.size	_ZN7rocprim17ROCPRIM_400000_NS6detail17trampoline_kernelINS0_13select_configILj256ELj13ELNS0_17block_load_methodE3ELS4_3ELS4_3ELNS0_20block_scan_algorithmE0ELj4294967295EEENS1_25partition_config_selectorILNS1_17partition_subalgoE3EjNS0_10empty_typeEbEEZZNS1_14partition_implILS8_3ELb0ES6_jNS0_17counting_iteratorIjlEEPS9_SE_NS0_5tupleIJPjSE_EEENSF_IJSE_SE_EEES9_SG_JZNS1_25segmented_radix_sort_implINS0_14default_configELb0EPKhPhPKlPlN2at6native12_GLOBAL__N_18offset_tEEE10hipError_tPvRmT1_PNSt15iterator_traitsISY_E10value_typeET2_T3_PNSZ_IS14_E10value_typeET4_jRbjT5_S1A_jjP12ihipStream_tbEUljE_EEESV_SW_SX_S14_S18_S1A_T6_T7_T9_mT8_S1C_bDpT10_ENKUlT_T0_E_clISt17integral_constantIbLb0EES1P_EEDaS1K_S1L_EUlS1K_E_NS1_11comp_targetILNS1_3genE4ELNS1_11target_archE910ELNS1_3gpuE8ELNS1_3repE0EEENS1_30default_config_static_selectorELNS0_4arch9wavefront6targetE0EEEvSY_, .Lfunc_end155-_ZN7rocprim17ROCPRIM_400000_NS6detail17trampoline_kernelINS0_13select_configILj256ELj13ELNS0_17block_load_methodE3ELS4_3ELS4_3ELNS0_20block_scan_algorithmE0ELj4294967295EEENS1_25partition_config_selectorILNS1_17partition_subalgoE3EjNS0_10empty_typeEbEEZZNS1_14partition_implILS8_3ELb0ES6_jNS0_17counting_iteratorIjlEEPS9_SE_NS0_5tupleIJPjSE_EEENSF_IJSE_SE_EEES9_SG_JZNS1_25segmented_radix_sort_implINS0_14default_configELb0EPKhPhPKlPlN2at6native12_GLOBAL__N_18offset_tEEE10hipError_tPvRmT1_PNSt15iterator_traitsISY_E10value_typeET2_T3_PNSZ_IS14_E10value_typeET4_jRbjT5_S1A_jjP12ihipStream_tbEUljE_EEESV_SW_SX_S14_S18_S1A_T6_T7_T9_mT8_S1C_bDpT10_ENKUlT_T0_E_clISt17integral_constantIbLb0EES1P_EEDaS1K_S1L_EUlS1K_E_NS1_11comp_targetILNS1_3genE4ELNS1_11target_archE910ELNS1_3gpuE8ELNS1_3repE0EEENS1_30default_config_static_selectorELNS0_4arch9wavefront6targetE0EEEvSY_
                                        ; -- End function
	.set _ZN7rocprim17ROCPRIM_400000_NS6detail17trampoline_kernelINS0_13select_configILj256ELj13ELNS0_17block_load_methodE3ELS4_3ELS4_3ELNS0_20block_scan_algorithmE0ELj4294967295EEENS1_25partition_config_selectorILNS1_17partition_subalgoE3EjNS0_10empty_typeEbEEZZNS1_14partition_implILS8_3ELb0ES6_jNS0_17counting_iteratorIjlEEPS9_SE_NS0_5tupleIJPjSE_EEENSF_IJSE_SE_EEES9_SG_JZNS1_25segmented_radix_sort_implINS0_14default_configELb0EPKhPhPKlPlN2at6native12_GLOBAL__N_18offset_tEEE10hipError_tPvRmT1_PNSt15iterator_traitsISY_E10value_typeET2_T3_PNSZ_IS14_E10value_typeET4_jRbjT5_S1A_jjP12ihipStream_tbEUljE_EEESV_SW_SX_S14_S18_S1A_T6_T7_T9_mT8_S1C_bDpT10_ENKUlT_T0_E_clISt17integral_constantIbLb0EES1P_EEDaS1K_S1L_EUlS1K_E_NS1_11comp_targetILNS1_3genE4ELNS1_11target_archE910ELNS1_3gpuE8ELNS1_3repE0EEENS1_30default_config_static_selectorELNS0_4arch9wavefront6targetE0EEEvSY_.num_vgpr, 0
	.set _ZN7rocprim17ROCPRIM_400000_NS6detail17trampoline_kernelINS0_13select_configILj256ELj13ELNS0_17block_load_methodE3ELS4_3ELS4_3ELNS0_20block_scan_algorithmE0ELj4294967295EEENS1_25partition_config_selectorILNS1_17partition_subalgoE3EjNS0_10empty_typeEbEEZZNS1_14partition_implILS8_3ELb0ES6_jNS0_17counting_iteratorIjlEEPS9_SE_NS0_5tupleIJPjSE_EEENSF_IJSE_SE_EEES9_SG_JZNS1_25segmented_radix_sort_implINS0_14default_configELb0EPKhPhPKlPlN2at6native12_GLOBAL__N_18offset_tEEE10hipError_tPvRmT1_PNSt15iterator_traitsISY_E10value_typeET2_T3_PNSZ_IS14_E10value_typeET4_jRbjT5_S1A_jjP12ihipStream_tbEUljE_EEESV_SW_SX_S14_S18_S1A_T6_T7_T9_mT8_S1C_bDpT10_ENKUlT_T0_E_clISt17integral_constantIbLb0EES1P_EEDaS1K_S1L_EUlS1K_E_NS1_11comp_targetILNS1_3genE4ELNS1_11target_archE910ELNS1_3gpuE8ELNS1_3repE0EEENS1_30default_config_static_selectorELNS0_4arch9wavefront6targetE0EEEvSY_.num_agpr, 0
	.set _ZN7rocprim17ROCPRIM_400000_NS6detail17trampoline_kernelINS0_13select_configILj256ELj13ELNS0_17block_load_methodE3ELS4_3ELS4_3ELNS0_20block_scan_algorithmE0ELj4294967295EEENS1_25partition_config_selectorILNS1_17partition_subalgoE3EjNS0_10empty_typeEbEEZZNS1_14partition_implILS8_3ELb0ES6_jNS0_17counting_iteratorIjlEEPS9_SE_NS0_5tupleIJPjSE_EEENSF_IJSE_SE_EEES9_SG_JZNS1_25segmented_radix_sort_implINS0_14default_configELb0EPKhPhPKlPlN2at6native12_GLOBAL__N_18offset_tEEE10hipError_tPvRmT1_PNSt15iterator_traitsISY_E10value_typeET2_T3_PNSZ_IS14_E10value_typeET4_jRbjT5_S1A_jjP12ihipStream_tbEUljE_EEESV_SW_SX_S14_S18_S1A_T6_T7_T9_mT8_S1C_bDpT10_ENKUlT_T0_E_clISt17integral_constantIbLb0EES1P_EEDaS1K_S1L_EUlS1K_E_NS1_11comp_targetILNS1_3genE4ELNS1_11target_archE910ELNS1_3gpuE8ELNS1_3repE0EEENS1_30default_config_static_selectorELNS0_4arch9wavefront6targetE0EEEvSY_.numbered_sgpr, 0
	.set _ZN7rocprim17ROCPRIM_400000_NS6detail17trampoline_kernelINS0_13select_configILj256ELj13ELNS0_17block_load_methodE3ELS4_3ELS4_3ELNS0_20block_scan_algorithmE0ELj4294967295EEENS1_25partition_config_selectorILNS1_17partition_subalgoE3EjNS0_10empty_typeEbEEZZNS1_14partition_implILS8_3ELb0ES6_jNS0_17counting_iteratorIjlEEPS9_SE_NS0_5tupleIJPjSE_EEENSF_IJSE_SE_EEES9_SG_JZNS1_25segmented_radix_sort_implINS0_14default_configELb0EPKhPhPKlPlN2at6native12_GLOBAL__N_18offset_tEEE10hipError_tPvRmT1_PNSt15iterator_traitsISY_E10value_typeET2_T3_PNSZ_IS14_E10value_typeET4_jRbjT5_S1A_jjP12ihipStream_tbEUljE_EEESV_SW_SX_S14_S18_S1A_T6_T7_T9_mT8_S1C_bDpT10_ENKUlT_T0_E_clISt17integral_constantIbLb0EES1P_EEDaS1K_S1L_EUlS1K_E_NS1_11comp_targetILNS1_3genE4ELNS1_11target_archE910ELNS1_3gpuE8ELNS1_3repE0EEENS1_30default_config_static_selectorELNS0_4arch9wavefront6targetE0EEEvSY_.num_named_barrier, 0
	.set _ZN7rocprim17ROCPRIM_400000_NS6detail17trampoline_kernelINS0_13select_configILj256ELj13ELNS0_17block_load_methodE3ELS4_3ELS4_3ELNS0_20block_scan_algorithmE0ELj4294967295EEENS1_25partition_config_selectorILNS1_17partition_subalgoE3EjNS0_10empty_typeEbEEZZNS1_14partition_implILS8_3ELb0ES6_jNS0_17counting_iteratorIjlEEPS9_SE_NS0_5tupleIJPjSE_EEENSF_IJSE_SE_EEES9_SG_JZNS1_25segmented_radix_sort_implINS0_14default_configELb0EPKhPhPKlPlN2at6native12_GLOBAL__N_18offset_tEEE10hipError_tPvRmT1_PNSt15iterator_traitsISY_E10value_typeET2_T3_PNSZ_IS14_E10value_typeET4_jRbjT5_S1A_jjP12ihipStream_tbEUljE_EEESV_SW_SX_S14_S18_S1A_T6_T7_T9_mT8_S1C_bDpT10_ENKUlT_T0_E_clISt17integral_constantIbLb0EES1P_EEDaS1K_S1L_EUlS1K_E_NS1_11comp_targetILNS1_3genE4ELNS1_11target_archE910ELNS1_3gpuE8ELNS1_3repE0EEENS1_30default_config_static_selectorELNS0_4arch9wavefront6targetE0EEEvSY_.private_seg_size, 0
	.set _ZN7rocprim17ROCPRIM_400000_NS6detail17trampoline_kernelINS0_13select_configILj256ELj13ELNS0_17block_load_methodE3ELS4_3ELS4_3ELNS0_20block_scan_algorithmE0ELj4294967295EEENS1_25partition_config_selectorILNS1_17partition_subalgoE3EjNS0_10empty_typeEbEEZZNS1_14partition_implILS8_3ELb0ES6_jNS0_17counting_iteratorIjlEEPS9_SE_NS0_5tupleIJPjSE_EEENSF_IJSE_SE_EEES9_SG_JZNS1_25segmented_radix_sort_implINS0_14default_configELb0EPKhPhPKlPlN2at6native12_GLOBAL__N_18offset_tEEE10hipError_tPvRmT1_PNSt15iterator_traitsISY_E10value_typeET2_T3_PNSZ_IS14_E10value_typeET4_jRbjT5_S1A_jjP12ihipStream_tbEUljE_EEESV_SW_SX_S14_S18_S1A_T6_T7_T9_mT8_S1C_bDpT10_ENKUlT_T0_E_clISt17integral_constantIbLb0EES1P_EEDaS1K_S1L_EUlS1K_E_NS1_11comp_targetILNS1_3genE4ELNS1_11target_archE910ELNS1_3gpuE8ELNS1_3repE0EEENS1_30default_config_static_selectorELNS0_4arch9wavefront6targetE0EEEvSY_.uses_vcc, 0
	.set _ZN7rocprim17ROCPRIM_400000_NS6detail17trampoline_kernelINS0_13select_configILj256ELj13ELNS0_17block_load_methodE3ELS4_3ELS4_3ELNS0_20block_scan_algorithmE0ELj4294967295EEENS1_25partition_config_selectorILNS1_17partition_subalgoE3EjNS0_10empty_typeEbEEZZNS1_14partition_implILS8_3ELb0ES6_jNS0_17counting_iteratorIjlEEPS9_SE_NS0_5tupleIJPjSE_EEENSF_IJSE_SE_EEES9_SG_JZNS1_25segmented_radix_sort_implINS0_14default_configELb0EPKhPhPKlPlN2at6native12_GLOBAL__N_18offset_tEEE10hipError_tPvRmT1_PNSt15iterator_traitsISY_E10value_typeET2_T3_PNSZ_IS14_E10value_typeET4_jRbjT5_S1A_jjP12ihipStream_tbEUljE_EEESV_SW_SX_S14_S18_S1A_T6_T7_T9_mT8_S1C_bDpT10_ENKUlT_T0_E_clISt17integral_constantIbLb0EES1P_EEDaS1K_S1L_EUlS1K_E_NS1_11comp_targetILNS1_3genE4ELNS1_11target_archE910ELNS1_3gpuE8ELNS1_3repE0EEENS1_30default_config_static_selectorELNS0_4arch9wavefront6targetE0EEEvSY_.uses_flat_scratch, 0
	.set _ZN7rocprim17ROCPRIM_400000_NS6detail17trampoline_kernelINS0_13select_configILj256ELj13ELNS0_17block_load_methodE3ELS4_3ELS4_3ELNS0_20block_scan_algorithmE0ELj4294967295EEENS1_25partition_config_selectorILNS1_17partition_subalgoE3EjNS0_10empty_typeEbEEZZNS1_14partition_implILS8_3ELb0ES6_jNS0_17counting_iteratorIjlEEPS9_SE_NS0_5tupleIJPjSE_EEENSF_IJSE_SE_EEES9_SG_JZNS1_25segmented_radix_sort_implINS0_14default_configELb0EPKhPhPKlPlN2at6native12_GLOBAL__N_18offset_tEEE10hipError_tPvRmT1_PNSt15iterator_traitsISY_E10value_typeET2_T3_PNSZ_IS14_E10value_typeET4_jRbjT5_S1A_jjP12ihipStream_tbEUljE_EEESV_SW_SX_S14_S18_S1A_T6_T7_T9_mT8_S1C_bDpT10_ENKUlT_T0_E_clISt17integral_constantIbLb0EES1P_EEDaS1K_S1L_EUlS1K_E_NS1_11comp_targetILNS1_3genE4ELNS1_11target_archE910ELNS1_3gpuE8ELNS1_3repE0EEENS1_30default_config_static_selectorELNS0_4arch9wavefront6targetE0EEEvSY_.has_dyn_sized_stack, 0
	.set _ZN7rocprim17ROCPRIM_400000_NS6detail17trampoline_kernelINS0_13select_configILj256ELj13ELNS0_17block_load_methodE3ELS4_3ELS4_3ELNS0_20block_scan_algorithmE0ELj4294967295EEENS1_25partition_config_selectorILNS1_17partition_subalgoE3EjNS0_10empty_typeEbEEZZNS1_14partition_implILS8_3ELb0ES6_jNS0_17counting_iteratorIjlEEPS9_SE_NS0_5tupleIJPjSE_EEENSF_IJSE_SE_EEES9_SG_JZNS1_25segmented_radix_sort_implINS0_14default_configELb0EPKhPhPKlPlN2at6native12_GLOBAL__N_18offset_tEEE10hipError_tPvRmT1_PNSt15iterator_traitsISY_E10value_typeET2_T3_PNSZ_IS14_E10value_typeET4_jRbjT5_S1A_jjP12ihipStream_tbEUljE_EEESV_SW_SX_S14_S18_S1A_T6_T7_T9_mT8_S1C_bDpT10_ENKUlT_T0_E_clISt17integral_constantIbLb0EES1P_EEDaS1K_S1L_EUlS1K_E_NS1_11comp_targetILNS1_3genE4ELNS1_11target_archE910ELNS1_3gpuE8ELNS1_3repE0EEENS1_30default_config_static_selectorELNS0_4arch9wavefront6targetE0EEEvSY_.has_recursion, 0
	.set _ZN7rocprim17ROCPRIM_400000_NS6detail17trampoline_kernelINS0_13select_configILj256ELj13ELNS0_17block_load_methodE3ELS4_3ELS4_3ELNS0_20block_scan_algorithmE0ELj4294967295EEENS1_25partition_config_selectorILNS1_17partition_subalgoE3EjNS0_10empty_typeEbEEZZNS1_14partition_implILS8_3ELb0ES6_jNS0_17counting_iteratorIjlEEPS9_SE_NS0_5tupleIJPjSE_EEENSF_IJSE_SE_EEES9_SG_JZNS1_25segmented_radix_sort_implINS0_14default_configELb0EPKhPhPKlPlN2at6native12_GLOBAL__N_18offset_tEEE10hipError_tPvRmT1_PNSt15iterator_traitsISY_E10value_typeET2_T3_PNSZ_IS14_E10value_typeET4_jRbjT5_S1A_jjP12ihipStream_tbEUljE_EEESV_SW_SX_S14_S18_S1A_T6_T7_T9_mT8_S1C_bDpT10_ENKUlT_T0_E_clISt17integral_constantIbLb0EES1P_EEDaS1K_S1L_EUlS1K_E_NS1_11comp_targetILNS1_3genE4ELNS1_11target_archE910ELNS1_3gpuE8ELNS1_3repE0EEENS1_30default_config_static_selectorELNS0_4arch9wavefront6targetE0EEEvSY_.has_indirect_call, 0
	.section	.AMDGPU.csdata,"",@progbits
; Kernel info:
; codeLenInByte = 0
; TotalNumSgprs: 0
; NumVgprs: 0
; ScratchSize: 0
; MemoryBound: 0
; FloatMode: 240
; IeeeMode: 1
; LDSByteSize: 0 bytes/workgroup (compile time only)
; SGPRBlocks: 0
; VGPRBlocks: 0
; NumSGPRsForWavesPerEU: 1
; NumVGPRsForWavesPerEU: 1
; Occupancy: 16
; WaveLimiterHint : 0
; COMPUTE_PGM_RSRC2:SCRATCH_EN: 0
; COMPUTE_PGM_RSRC2:USER_SGPR: 6
; COMPUTE_PGM_RSRC2:TRAP_HANDLER: 0
; COMPUTE_PGM_RSRC2:TGID_X_EN: 1
; COMPUTE_PGM_RSRC2:TGID_Y_EN: 0
; COMPUTE_PGM_RSRC2:TGID_Z_EN: 0
; COMPUTE_PGM_RSRC2:TIDIG_COMP_CNT: 0
	.section	.text._ZN7rocprim17ROCPRIM_400000_NS6detail17trampoline_kernelINS0_13select_configILj256ELj13ELNS0_17block_load_methodE3ELS4_3ELS4_3ELNS0_20block_scan_algorithmE0ELj4294967295EEENS1_25partition_config_selectorILNS1_17partition_subalgoE3EjNS0_10empty_typeEbEEZZNS1_14partition_implILS8_3ELb0ES6_jNS0_17counting_iteratorIjlEEPS9_SE_NS0_5tupleIJPjSE_EEENSF_IJSE_SE_EEES9_SG_JZNS1_25segmented_radix_sort_implINS0_14default_configELb0EPKhPhPKlPlN2at6native12_GLOBAL__N_18offset_tEEE10hipError_tPvRmT1_PNSt15iterator_traitsISY_E10value_typeET2_T3_PNSZ_IS14_E10value_typeET4_jRbjT5_S1A_jjP12ihipStream_tbEUljE_EEESV_SW_SX_S14_S18_S1A_T6_T7_T9_mT8_S1C_bDpT10_ENKUlT_T0_E_clISt17integral_constantIbLb0EES1P_EEDaS1K_S1L_EUlS1K_E_NS1_11comp_targetILNS1_3genE3ELNS1_11target_archE908ELNS1_3gpuE7ELNS1_3repE0EEENS1_30default_config_static_selectorELNS0_4arch9wavefront6targetE0EEEvSY_,"axG",@progbits,_ZN7rocprim17ROCPRIM_400000_NS6detail17trampoline_kernelINS0_13select_configILj256ELj13ELNS0_17block_load_methodE3ELS4_3ELS4_3ELNS0_20block_scan_algorithmE0ELj4294967295EEENS1_25partition_config_selectorILNS1_17partition_subalgoE3EjNS0_10empty_typeEbEEZZNS1_14partition_implILS8_3ELb0ES6_jNS0_17counting_iteratorIjlEEPS9_SE_NS0_5tupleIJPjSE_EEENSF_IJSE_SE_EEES9_SG_JZNS1_25segmented_radix_sort_implINS0_14default_configELb0EPKhPhPKlPlN2at6native12_GLOBAL__N_18offset_tEEE10hipError_tPvRmT1_PNSt15iterator_traitsISY_E10value_typeET2_T3_PNSZ_IS14_E10value_typeET4_jRbjT5_S1A_jjP12ihipStream_tbEUljE_EEESV_SW_SX_S14_S18_S1A_T6_T7_T9_mT8_S1C_bDpT10_ENKUlT_T0_E_clISt17integral_constantIbLb0EES1P_EEDaS1K_S1L_EUlS1K_E_NS1_11comp_targetILNS1_3genE3ELNS1_11target_archE908ELNS1_3gpuE7ELNS1_3repE0EEENS1_30default_config_static_selectorELNS0_4arch9wavefront6targetE0EEEvSY_,comdat
	.globl	_ZN7rocprim17ROCPRIM_400000_NS6detail17trampoline_kernelINS0_13select_configILj256ELj13ELNS0_17block_load_methodE3ELS4_3ELS4_3ELNS0_20block_scan_algorithmE0ELj4294967295EEENS1_25partition_config_selectorILNS1_17partition_subalgoE3EjNS0_10empty_typeEbEEZZNS1_14partition_implILS8_3ELb0ES6_jNS0_17counting_iteratorIjlEEPS9_SE_NS0_5tupleIJPjSE_EEENSF_IJSE_SE_EEES9_SG_JZNS1_25segmented_radix_sort_implINS0_14default_configELb0EPKhPhPKlPlN2at6native12_GLOBAL__N_18offset_tEEE10hipError_tPvRmT1_PNSt15iterator_traitsISY_E10value_typeET2_T3_PNSZ_IS14_E10value_typeET4_jRbjT5_S1A_jjP12ihipStream_tbEUljE_EEESV_SW_SX_S14_S18_S1A_T6_T7_T9_mT8_S1C_bDpT10_ENKUlT_T0_E_clISt17integral_constantIbLb0EES1P_EEDaS1K_S1L_EUlS1K_E_NS1_11comp_targetILNS1_3genE3ELNS1_11target_archE908ELNS1_3gpuE7ELNS1_3repE0EEENS1_30default_config_static_selectorELNS0_4arch9wavefront6targetE0EEEvSY_ ; -- Begin function _ZN7rocprim17ROCPRIM_400000_NS6detail17trampoline_kernelINS0_13select_configILj256ELj13ELNS0_17block_load_methodE3ELS4_3ELS4_3ELNS0_20block_scan_algorithmE0ELj4294967295EEENS1_25partition_config_selectorILNS1_17partition_subalgoE3EjNS0_10empty_typeEbEEZZNS1_14partition_implILS8_3ELb0ES6_jNS0_17counting_iteratorIjlEEPS9_SE_NS0_5tupleIJPjSE_EEENSF_IJSE_SE_EEES9_SG_JZNS1_25segmented_radix_sort_implINS0_14default_configELb0EPKhPhPKlPlN2at6native12_GLOBAL__N_18offset_tEEE10hipError_tPvRmT1_PNSt15iterator_traitsISY_E10value_typeET2_T3_PNSZ_IS14_E10value_typeET4_jRbjT5_S1A_jjP12ihipStream_tbEUljE_EEESV_SW_SX_S14_S18_S1A_T6_T7_T9_mT8_S1C_bDpT10_ENKUlT_T0_E_clISt17integral_constantIbLb0EES1P_EEDaS1K_S1L_EUlS1K_E_NS1_11comp_targetILNS1_3genE3ELNS1_11target_archE908ELNS1_3gpuE7ELNS1_3repE0EEENS1_30default_config_static_selectorELNS0_4arch9wavefront6targetE0EEEvSY_
	.p2align	8
	.type	_ZN7rocprim17ROCPRIM_400000_NS6detail17trampoline_kernelINS0_13select_configILj256ELj13ELNS0_17block_load_methodE3ELS4_3ELS4_3ELNS0_20block_scan_algorithmE0ELj4294967295EEENS1_25partition_config_selectorILNS1_17partition_subalgoE3EjNS0_10empty_typeEbEEZZNS1_14partition_implILS8_3ELb0ES6_jNS0_17counting_iteratorIjlEEPS9_SE_NS0_5tupleIJPjSE_EEENSF_IJSE_SE_EEES9_SG_JZNS1_25segmented_radix_sort_implINS0_14default_configELb0EPKhPhPKlPlN2at6native12_GLOBAL__N_18offset_tEEE10hipError_tPvRmT1_PNSt15iterator_traitsISY_E10value_typeET2_T3_PNSZ_IS14_E10value_typeET4_jRbjT5_S1A_jjP12ihipStream_tbEUljE_EEESV_SW_SX_S14_S18_S1A_T6_T7_T9_mT8_S1C_bDpT10_ENKUlT_T0_E_clISt17integral_constantIbLb0EES1P_EEDaS1K_S1L_EUlS1K_E_NS1_11comp_targetILNS1_3genE3ELNS1_11target_archE908ELNS1_3gpuE7ELNS1_3repE0EEENS1_30default_config_static_selectorELNS0_4arch9wavefront6targetE0EEEvSY_,@function
_ZN7rocprim17ROCPRIM_400000_NS6detail17trampoline_kernelINS0_13select_configILj256ELj13ELNS0_17block_load_methodE3ELS4_3ELS4_3ELNS0_20block_scan_algorithmE0ELj4294967295EEENS1_25partition_config_selectorILNS1_17partition_subalgoE3EjNS0_10empty_typeEbEEZZNS1_14partition_implILS8_3ELb0ES6_jNS0_17counting_iteratorIjlEEPS9_SE_NS0_5tupleIJPjSE_EEENSF_IJSE_SE_EEES9_SG_JZNS1_25segmented_radix_sort_implINS0_14default_configELb0EPKhPhPKlPlN2at6native12_GLOBAL__N_18offset_tEEE10hipError_tPvRmT1_PNSt15iterator_traitsISY_E10value_typeET2_T3_PNSZ_IS14_E10value_typeET4_jRbjT5_S1A_jjP12ihipStream_tbEUljE_EEESV_SW_SX_S14_S18_S1A_T6_T7_T9_mT8_S1C_bDpT10_ENKUlT_T0_E_clISt17integral_constantIbLb0EES1P_EEDaS1K_S1L_EUlS1K_E_NS1_11comp_targetILNS1_3genE3ELNS1_11target_archE908ELNS1_3gpuE7ELNS1_3repE0EEENS1_30default_config_static_selectorELNS0_4arch9wavefront6targetE0EEEvSY_: ; @_ZN7rocprim17ROCPRIM_400000_NS6detail17trampoline_kernelINS0_13select_configILj256ELj13ELNS0_17block_load_methodE3ELS4_3ELS4_3ELNS0_20block_scan_algorithmE0ELj4294967295EEENS1_25partition_config_selectorILNS1_17partition_subalgoE3EjNS0_10empty_typeEbEEZZNS1_14partition_implILS8_3ELb0ES6_jNS0_17counting_iteratorIjlEEPS9_SE_NS0_5tupleIJPjSE_EEENSF_IJSE_SE_EEES9_SG_JZNS1_25segmented_radix_sort_implINS0_14default_configELb0EPKhPhPKlPlN2at6native12_GLOBAL__N_18offset_tEEE10hipError_tPvRmT1_PNSt15iterator_traitsISY_E10value_typeET2_T3_PNSZ_IS14_E10value_typeET4_jRbjT5_S1A_jjP12ihipStream_tbEUljE_EEESV_SW_SX_S14_S18_S1A_T6_T7_T9_mT8_S1C_bDpT10_ENKUlT_T0_E_clISt17integral_constantIbLb0EES1P_EEDaS1K_S1L_EUlS1K_E_NS1_11comp_targetILNS1_3genE3ELNS1_11target_archE908ELNS1_3gpuE7ELNS1_3repE0EEENS1_30default_config_static_selectorELNS0_4arch9wavefront6targetE0EEEvSY_
; %bb.0:
	.section	.rodata,"a",@progbits
	.p2align	6, 0x0
	.amdhsa_kernel _ZN7rocprim17ROCPRIM_400000_NS6detail17trampoline_kernelINS0_13select_configILj256ELj13ELNS0_17block_load_methodE3ELS4_3ELS4_3ELNS0_20block_scan_algorithmE0ELj4294967295EEENS1_25partition_config_selectorILNS1_17partition_subalgoE3EjNS0_10empty_typeEbEEZZNS1_14partition_implILS8_3ELb0ES6_jNS0_17counting_iteratorIjlEEPS9_SE_NS0_5tupleIJPjSE_EEENSF_IJSE_SE_EEES9_SG_JZNS1_25segmented_radix_sort_implINS0_14default_configELb0EPKhPhPKlPlN2at6native12_GLOBAL__N_18offset_tEEE10hipError_tPvRmT1_PNSt15iterator_traitsISY_E10value_typeET2_T3_PNSZ_IS14_E10value_typeET4_jRbjT5_S1A_jjP12ihipStream_tbEUljE_EEESV_SW_SX_S14_S18_S1A_T6_T7_T9_mT8_S1C_bDpT10_ENKUlT_T0_E_clISt17integral_constantIbLb0EES1P_EEDaS1K_S1L_EUlS1K_E_NS1_11comp_targetILNS1_3genE3ELNS1_11target_archE908ELNS1_3gpuE7ELNS1_3repE0EEENS1_30default_config_static_selectorELNS0_4arch9wavefront6targetE0EEEvSY_
		.amdhsa_group_segment_fixed_size 0
		.amdhsa_private_segment_fixed_size 0
		.amdhsa_kernarg_size 144
		.amdhsa_user_sgpr_count 6
		.amdhsa_user_sgpr_private_segment_buffer 1
		.amdhsa_user_sgpr_dispatch_ptr 0
		.amdhsa_user_sgpr_queue_ptr 0
		.amdhsa_user_sgpr_kernarg_segment_ptr 1
		.amdhsa_user_sgpr_dispatch_id 0
		.amdhsa_user_sgpr_flat_scratch_init 0
		.amdhsa_user_sgpr_private_segment_size 0
		.amdhsa_wavefront_size32 1
		.amdhsa_uses_dynamic_stack 0
		.amdhsa_system_sgpr_private_segment_wavefront_offset 0
		.amdhsa_system_sgpr_workgroup_id_x 1
		.amdhsa_system_sgpr_workgroup_id_y 0
		.amdhsa_system_sgpr_workgroup_id_z 0
		.amdhsa_system_sgpr_workgroup_info 0
		.amdhsa_system_vgpr_workitem_id 0
		.amdhsa_next_free_vgpr 1
		.amdhsa_next_free_sgpr 1
		.amdhsa_reserve_vcc 0
		.amdhsa_reserve_flat_scratch 0
		.amdhsa_float_round_mode_32 0
		.amdhsa_float_round_mode_16_64 0
		.amdhsa_float_denorm_mode_32 3
		.amdhsa_float_denorm_mode_16_64 3
		.amdhsa_dx10_clamp 1
		.amdhsa_ieee_mode 1
		.amdhsa_fp16_overflow 0
		.amdhsa_workgroup_processor_mode 1
		.amdhsa_memory_ordered 1
		.amdhsa_forward_progress 1
		.amdhsa_shared_vgpr_count 0
		.amdhsa_exception_fp_ieee_invalid_op 0
		.amdhsa_exception_fp_denorm_src 0
		.amdhsa_exception_fp_ieee_div_zero 0
		.amdhsa_exception_fp_ieee_overflow 0
		.amdhsa_exception_fp_ieee_underflow 0
		.amdhsa_exception_fp_ieee_inexact 0
		.amdhsa_exception_int_div_zero 0
	.end_amdhsa_kernel
	.section	.text._ZN7rocprim17ROCPRIM_400000_NS6detail17trampoline_kernelINS0_13select_configILj256ELj13ELNS0_17block_load_methodE3ELS4_3ELS4_3ELNS0_20block_scan_algorithmE0ELj4294967295EEENS1_25partition_config_selectorILNS1_17partition_subalgoE3EjNS0_10empty_typeEbEEZZNS1_14partition_implILS8_3ELb0ES6_jNS0_17counting_iteratorIjlEEPS9_SE_NS0_5tupleIJPjSE_EEENSF_IJSE_SE_EEES9_SG_JZNS1_25segmented_radix_sort_implINS0_14default_configELb0EPKhPhPKlPlN2at6native12_GLOBAL__N_18offset_tEEE10hipError_tPvRmT1_PNSt15iterator_traitsISY_E10value_typeET2_T3_PNSZ_IS14_E10value_typeET4_jRbjT5_S1A_jjP12ihipStream_tbEUljE_EEESV_SW_SX_S14_S18_S1A_T6_T7_T9_mT8_S1C_bDpT10_ENKUlT_T0_E_clISt17integral_constantIbLb0EES1P_EEDaS1K_S1L_EUlS1K_E_NS1_11comp_targetILNS1_3genE3ELNS1_11target_archE908ELNS1_3gpuE7ELNS1_3repE0EEENS1_30default_config_static_selectorELNS0_4arch9wavefront6targetE0EEEvSY_,"axG",@progbits,_ZN7rocprim17ROCPRIM_400000_NS6detail17trampoline_kernelINS0_13select_configILj256ELj13ELNS0_17block_load_methodE3ELS4_3ELS4_3ELNS0_20block_scan_algorithmE0ELj4294967295EEENS1_25partition_config_selectorILNS1_17partition_subalgoE3EjNS0_10empty_typeEbEEZZNS1_14partition_implILS8_3ELb0ES6_jNS0_17counting_iteratorIjlEEPS9_SE_NS0_5tupleIJPjSE_EEENSF_IJSE_SE_EEES9_SG_JZNS1_25segmented_radix_sort_implINS0_14default_configELb0EPKhPhPKlPlN2at6native12_GLOBAL__N_18offset_tEEE10hipError_tPvRmT1_PNSt15iterator_traitsISY_E10value_typeET2_T3_PNSZ_IS14_E10value_typeET4_jRbjT5_S1A_jjP12ihipStream_tbEUljE_EEESV_SW_SX_S14_S18_S1A_T6_T7_T9_mT8_S1C_bDpT10_ENKUlT_T0_E_clISt17integral_constantIbLb0EES1P_EEDaS1K_S1L_EUlS1K_E_NS1_11comp_targetILNS1_3genE3ELNS1_11target_archE908ELNS1_3gpuE7ELNS1_3repE0EEENS1_30default_config_static_selectorELNS0_4arch9wavefront6targetE0EEEvSY_,comdat
.Lfunc_end156:
	.size	_ZN7rocprim17ROCPRIM_400000_NS6detail17trampoline_kernelINS0_13select_configILj256ELj13ELNS0_17block_load_methodE3ELS4_3ELS4_3ELNS0_20block_scan_algorithmE0ELj4294967295EEENS1_25partition_config_selectorILNS1_17partition_subalgoE3EjNS0_10empty_typeEbEEZZNS1_14partition_implILS8_3ELb0ES6_jNS0_17counting_iteratorIjlEEPS9_SE_NS0_5tupleIJPjSE_EEENSF_IJSE_SE_EEES9_SG_JZNS1_25segmented_radix_sort_implINS0_14default_configELb0EPKhPhPKlPlN2at6native12_GLOBAL__N_18offset_tEEE10hipError_tPvRmT1_PNSt15iterator_traitsISY_E10value_typeET2_T3_PNSZ_IS14_E10value_typeET4_jRbjT5_S1A_jjP12ihipStream_tbEUljE_EEESV_SW_SX_S14_S18_S1A_T6_T7_T9_mT8_S1C_bDpT10_ENKUlT_T0_E_clISt17integral_constantIbLb0EES1P_EEDaS1K_S1L_EUlS1K_E_NS1_11comp_targetILNS1_3genE3ELNS1_11target_archE908ELNS1_3gpuE7ELNS1_3repE0EEENS1_30default_config_static_selectorELNS0_4arch9wavefront6targetE0EEEvSY_, .Lfunc_end156-_ZN7rocprim17ROCPRIM_400000_NS6detail17trampoline_kernelINS0_13select_configILj256ELj13ELNS0_17block_load_methodE3ELS4_3ELS4_3ELNS0_20block_scan_algorithmE0ELj4294967295EEENS1_25partition_config_selectorILNS1_17partition_subalgoE3EjNS0_10empty_typeEbEEZZNS1_14partition_implILS8_3ELb0ES6_jNS0_17counting_iteratorIjlEEPS9_SE_NS0_5tupleIJPjSE_EEENSF_IJSE_SE_EEES9_SG_JZNS1_25segmented_radix_sort_implINS0_14default_configELb0EPKhPhPKlPlN2at6native12_GLOBAL__N_18offset_tEEE10hipError_tPvRmT1_PNSt15iterator_traitsISY_E10value_typeET2_T3_PNSZ_IS14_E10value_typeET4_jRbjT5_S1A_jjP12ihipStream_tbEUljE_EEESV_SW_SX_S14_S18_S1A_T6_T7_T9_mT8_S1C_bDpT10_ENKUlT_T0_E_clISt17integral_constantIbLb0EES1P_EEDaS1K_S1L_EUlS1K_E_NS1_11comp_targetILNS1_3genE3ELNS1_11target_archE908ELNS1_3gpuE7ELNS1_3repE0EEENS1_30default_config_static_selectorELNS0_4arch9wavefront6targetE0EEEvSY_
                                        ; -- End function
	.set _ZN7rocprim17ROCPRIM_400000_NS6detail17trampoline_kernelINS0_13select_configILj256ELj13ELNS0_17block_load_methodE3ELS4_3ELS4_3ELNS0_20block_scan_algorithmE0ELj4294967295EEENS1_25partition_config_selectorILNS1_17partition_subalgoE3EjNS0_10empty_typeEbEEZZNS1_14partition_implILS8_3ELb0ES6_jNS0_17counting_iteratorIjlEEPS9_SE_NS0_5tupleIJPjSE_EEENSF_IJSE_SE_EEES9_SG_JZNS1_25segmented_radix_sort_implINS0_14default_configELb0EPKhPhPKlPlN2at6native12_GLOBAL__N_18offset_tEEE10hipError_tPvRmT1_PNSt15iterator_traitsISY_E10value_typeET2_T3_PNSZ_IS14_E10value_typeET4_jRbjT5_S1A_jjP12ihipStream_tbEUljE_EEESV_SW_SX_S14_S18_S1A_T6_T7_T9_mT8_S1C_bDpT10_ENKUlT_T0_E_clISt17integral_constantIbLb0EES1P_EEDaS1K_S1L_EUlS1K_E_NS1_11comp_targetILNS1_3genE3ELNS1_11target_archE908ELNS1_3gpuE7ELNS1_3repE0EEENS1_30default_config_static_selectorELNS0_4arch9wavefront6targetE0EEEvSY_.num_vgpr, 0
	.set _ZN7rocprim17ROCPRIM_400000_NS6detail17trampoline_kernelINS0_13select_configILj256ELj13ELNS0_17block_load_methodE3ELS4_3ELS4_3ELNS0_20block_scan_algorithmE0ELj4294967295EEENS1_25partition_config_selectorILNS1_17partition_subalgoE3EjNS0_10empty_typeEbEEZZNS1_14partition_implILS8_3ELb0ES6_jNS0_17counting_iteratorIjlEEPS9_SE_NS0_5tupleIJPjSE_EEENSF_IJSE_SE_EEES9_SG_JZNS1_25segmented_radix_sort_implINS0_14default_configELb0EPKhPhPKlPlN2at6native12_GLOBAL__N_18offset_tEEE10hipError_tPvRmT1_PNSt15iterator_traitsISY_E10value_typeET2_T3_PNSZ_IS14_E10value_typeET4_jRbjT5_S1A_jjP12ihipStream_tbEUljE_EEESV_SW_SX_S14_S18_S1A_T6_T7_T9_mT8_S1C_bDpT10_ENKUlT_T0_E_clISt17integral_constantIbLb0EES1P_EEDaS1K_S1L_EUlS1K_E_NS1_11comp_targetILNS1_3genE3ELNS1_11target_archE908ELNS1_3gpuE7ELNS1_3repE0EEENS1_30default_config_static_selectorELNS0_4arch9wavefront6targetE0EEEvSY_.num_agpr, 0
	.set _ZN7rocprim17ROCPRIM_400000_NS6detail17trampoline_kernelINS0_13select_configILj256ELj13ELNS0_17block_load_methodE3ELS4_3ELS4_3ELNS0_20block_scan_algorithmE0ELj4294967295EEENS1_25partition_config_selectorILNS1_17partition_subalgoE3EjNS0_10empty_typeEbEEZZNS1_14partition_implILS8_3ELb0ES6_jNS0_17counting_iteratorIjlEEPS9_SE_NS0_5tupleIJPjSE_EEENSF_IJSE_SE_EEES9_SG_JZNS1_25segmented_radix_sort_implINS0_14default_configELb0EPKhPhPKlPlN2at6native12_GLOBAL__N_18offset_tEEE10hipError_tPvRmT1_PNSt15iterator_traitsISY_E10value_typeET2_T3_PNSZ_IS14_E10value_typeET4_jRbjT5_S1A_jjP12ihipStream_tbEUljE_EEESV_SW_SX_S14_S18_S1A_T6_T7_T9_mT8_S1C_bDpT10_ENKUlT_T0_E_clISt17integral_constantIbLb0EES1P_EEDaS1K_S1L_EUlS1K_E_NS1_11comp_targetILNS1_3genE3ELNS1_11target_archE908ELNS1_3gpuE7ELNS1_3repE0EEENS1_30default_config_static_selectorELNS0_4arch9wavefront6targetE0EEEvSY_.numbered_sgpr, 0
	.set _ZN7rocprim17ROCPRIM_400000_NS6detail17trampoline_kernelINS0_13select_configILj256ELj13ELNS0_17block_load_methodE3ELS4_3ELS4_3ELNS0_20block_scan_algorithmE0ELj4294967295EEENS1_25partition_config_selectorILNS1_17partition_subalgoE3EjNS0_10empty_typeEbEEZZNS1_14partition_implILS8_3ELb0ES6_jNS0_17counting_iteratorIjlEEPS9_SE_NS0_5tupleIJPjSE_EEENSF_IJSE_SE_EEES9_SG_JZNS1_25segmented_radix_sort_implINS0_14default_configELb0EPKhPhPKlPlN2at6native12_GLOBAL__N_18offset_tEEE10hipError_tPvRmT1_PNSt15iterator_traitsISY_E10value_typeET2_T3_PNSZ_IS14_E10value_typeET4_jRbjT5_S1A_jjP12ihipStream_tbEUljE_EEESV_SW_SX_S14_S18_S1A_T6_T7_T9_mT8_S1C_bDpT10_ENKUlT_T0_E_clISt17integral_constantIbLb0EES1P_EEDaS1K_S1L_EUlS1K_E_NS1_11comp_targetILNS1_3genE3ELNS1_11target_archE908ELNS1_3gpuE7ELNS1_3repE0EEENS1_30default_config_static_selectorELNS0_4arch9wavefront6targetE0EEEvSY_.num_named_barrier, 0
	.set _ZN7rocprim17ROCPRIM_400000_NS6detail17trampoline_kernelINS0_13select_configILj256ELj13ELNS0_17block_load_methodE3ELS4_3ELS4_3ELNS0_20block_scan_algorithmE0ELj4294967295EEENS1_25partition_config_selectorILNS1_17partition_subalgoE3EjNS0_10empty_typeEbEEZZNS1_14partition_implILS8_3ELb0ES6_jNS0_17counting_iteratorIjlEEPS9_SE_NS0_5tupleIJPjSE_EEENSF_IJSE_SE_EEES9_SG_JZNS1_25segmented_radix_sort_implINS0_14default_configELb0EPKhPhPKlPlN2at6native12_GLOBAL__N_18offset_tEEE10hipError_tPvRmT1_PNSt15iterator_traitsISY_E10value_typeET2_T3_PNSZ_IS14_E10value_typeET4_jRbjT5_S1A_jjP12ihipStream_tbEUljE_EEESV_SW_SX_S14_S18_S1A_T6_T7_T9_mT8_S1C_bDpT10_ENKUlT_T0_E_clISt17integral_constantIbLb0EES1P_EEDaS1K_S1L_EUlS1K_E_NS1_11comp_targetILNS1_3genE3ELNS1_11target_archE908ELNS1_3gpuE7ELNS1_3repE0EEENS1_30default_config_static_selectorELNS0_4arch9wavefront6targetE0EEEvSY_.private_seg_size, 0
	.set _ZN7rocprim17ROCPRIM_400000_NS6detail17trampoline_kernelINS0_13select_configILj256ELj13ELNS0_17block_load_methodE3ELS4_3ELS4_3ELNS0_20block_scan_algorithmE0ELj4294967295EEENS1_25partition_config_selectorILNS1_17partition_subalgoE3EjNS0_10empty_typeEbEEZZNS1_14partition_implILS8_3ELb0ES6_jNS0_17counting_iteratorIjlEEPS9_SE_NS0_5tupleIJPjSE_EEENSF_IJSE_SE_EEES9_SG_JZNS1_25segmented_radix_sort_implINS0_14default_configELb0EPKhPhPKlPlN2at6native12_GLOBAL__N_18offset_tEEE10hipError_tPvRmT1_PNSt15iterator_traitsISY_E10value_typeET2_T3_PNSZ_IS14_E10value_typeET4_jRbjT5_S1A_jjP12ihipStream_tbEUljE_EEESV_SW_SX_S14_S18_S1A_T6_T7_T9_mT8_S1C_bDpT10_ENKUlT_T0_E_clISt17integral_constantIbLb0EES1P_EEDaS1K_S1L_EUlS1K_E_NS1_11comp_targetILNS1_3genE3ELNS1_11target_archE908ELNS1_3gpuE7ELNS1_3repE0EEENS1_30default_config_static_selectorELNS0_4arch9wavefront6targetE0EEEvSY_.uses_vcc, 0
	.set _ZN7rocprim17ROCPRIM_400000_NS6detail17trampoline_kernelINS0_13select_configILj256ELj13ELNS0_17block_load_methodE3ELS4_3ELS4_3ELNS0_20block_scan_algorithmE0ELj4294967295EEENS1_25partition_config_selectorILNS1_17partition_subalgoE3EjNS0_10empty_typeEbEEZZNS1_14partition_implILS8_3ELb0ES6_jNS0_17counting_iteratorIjlEEPS9_SE_NS0_5tupleIJPjSE_EEENSF_IJSE_SE_EEES9_SG_JZNS1_25segmented_radix_sort_implINS0_14default_configELb0EPKhPhPKlPlN2at6native12_GLOBAL__N_18offset_tEEE10hipError_tPvRmT1_PNSt15iterator_traitsISY_E10value_typeET2_T3_PNSZ_IS14_E10value_typeET4_jRbjT5_S1A_jjP12ihipStream_tbEUljE_EEESV_SW_SX_S14_S18_S1A_T6_T7_T9_mT8_S1C_bDpT10_ENKUlT_T0_E_clISt17integral_constantIbLb0EES1P_EEDaS1K_S1L_EUlS1K_E_NS1_11comp_targetILNS1_3genE3ELNS1_11target_archE908ELNS1_3gpuE7ELNS1_3repE0EEENS1_30default_config_static_selectorELNS0_4arch9wavefront6targetE0EEEvSY_.uses_flat_scratch, 0
	.set _ZN7rocprim17ROCPRIM_400000_NS6detail17trampoline_kernelINS0_13select_configILj256ELj13ELNS0_17block_load_methodE3ELS4_3ELS4_3ELNS0_20block_scan_algorithmE0ELj4294967295EEENS1_25partition_config_selectorILNS1_17partition_subalgoE3EjNS0_10empty_typeEbEEZZNS1_14partition_implILS8_3ELb0ES6_jNS0_17counting_iteratorIjlEEPS9_SE_NS0_5tupleIJPjSE_EEENSF_IJSE_SE_EEES9_SG_JZNS1_25segmented_radix_sort_implINS0_14default_configELb0EPKhPhPKlPlN2at6native12_GLOBAL__N_18offset_tEEE10hipError_tPvRmT1_PNSt15iterator_traitsISY_E10value_typeET2_T3_PNSZ_IS14_E10value_typeET4_jRbjT5_S1A_jjP12ihipStream_tbEUljE_EEESV_SW_SX_S14_S18_S1A_T6_T7_T9_mT8_S1C_bDpT10_ENKUlT_T0_E_clISt17integral_constantIbLb0EES1P_EEDaS1K_S1L_EUlS1K_E_NS1_11comp_targetILNS1_3genE3ELNS1_11target_archE908ELNS1_3gpuE7ELNS1_3repE0EEENS1_30default_config_static_selectorELNS0_4arch9wavefront6targetE0EEEvSY_.has_dyn_sized_stack, 0
	.set _ZN7rocprim17ROCPRIM_400000_NS6detail17trampoline_kernelINS0_13select_configILj256ELj13ELNS0_17block_load_methodE3ELS4_3ELS4_3ELNS0_20block_scan_algorithmE0ELj4294967295EEENS1_25partition_config_selectorILNS1_17partition_subalgoE3EjNS0_10empty_typeEbEEZZNS1_14partition_implILS8_3ELb0ES6_jNS0_17counting_iteratorIjlEEPS9_SE_NS0_5tupleIJPjSE_EEENSF_IJSE_SE_EEES9_SG_JZNS1_25segmented_radix_sort_implINS0_14default_configELb0EPKhPhPKlPlN2at6native12_GLOBAL__N_18offset_tEEE10hipError_tPvRmT1_PNSt15iterator_traitsISY_E10value_typeET2_T3_PNSZ_IS14_E10value_typeET4_jRbjT5_S1A_jjP12ihipStream_tbEUljE_EEESV_SW_SX_S14_S18_S1A_T6_T7_T9_mT8_S1C_bDpT10_ENKUlT_T0_E_clISt17integral_constantIbLb0EES1P_EEDaS1K_S1L_EUlS1K_E_NS1_11comp_targetILNS1_3genE3ELNS1_11target_archE908ELNS1_3gpuE7ELNS1_3repE0EEENS1_30default_config_static_selectorELNS0_4arch9wavefront6targetE0EEEvSY_.has_recursion, 0
	.set _ZN7rocprim17ROCPRIM_400000_NS6detail17trampoline_kernelINS0_13select_configILj256ELj13ELNS0_17block_load_methodE3ELS4_3ELS4_3ELNS0_20block_scan_algorithmE0ELj4294967295EEENS1_25partition_config_selectorILNS1_17partition_subalgoE3EjNS0_10empty_typeEbEEZZNS1_14partition_implILS8_3ELb0ES6_jNS0_17counting_iteratorIjlEEPS9_SE_NS0_5tupleIJPjSE_EEENSF_IJSE_SE_EEES9_SG_JZNS1_25segmented_radix_sort_implINS0_14default_configELb0EPKhPhPKlPlN2at6native12_GLOBAL__N_18offset_tEEE10hipError_tPvRmT1_PNSt15iterator_traitsISY_E10value_typeET2_T3_PNSZ_IS14_E10value_typeET4_jRbjT5_S1A_jjP12ihipStream_tbEUljE_EEESV_SW_SX_S14_S18_S1A_T6_T7_T9_mT8_S1C_bDpT10_ENKUlT_T0_E_clISt17integral_constantIbLb0EES1P_EEDaS1K_S1L_EUlS1K_E_NS1_11comp_targetILNS1_3genE3ELNS1_11target_archE908ELNS1_3gpuE7ELNS1_3repE0EEENS1_30default_config_static_selectorELNS0_4arch9wavefront6targetE0EEEvSY_.has_indirect_call, 0
	.section	.AMDGPU.csdata,"",@progbits
; Kernel info:
; codeLenInByte = 0
; TotalNumSgprs: 0
; NumVgprs: 0
; ScratchSize: 0
; MemoryBound: 0
; FloatMode: 240
; IeeeMode: 1
; LDSByteSize: 0 bytes/workgroup (compile time only)
; SGPRBlocks: 0
; VGPRBlocks: 0
; NumSGPRsForWavesPerEU: 1
; NumVGPRsForWavesPerEU: 1
; Occupancy: 16
; WaveLimiterHint : 0
; COMPUTE_PGM_RSRC2:SCRATCH_EN: 0
; COMPUTE_PGM_RSRC2:USER_SGPR: 6
; COMPUTE_PGM_RSRC2:TRAP_HANDLER: 0
; COMPUTE_PGM_RSRC2:TGID_X_EN: 1
; COMPUTE_PGM_RSRC2:TGID_Y_EN: 0
; COMPUTE_PGM_RSRC2:TGID_Z_EN: 0
; COMPUTE_PGM_RSRC2:TIDIG_COMP_CNT: 0
	.section	.text._ZN7rocprim17ROCPRIM_400000_NS6detail17trampoline_kernelINS0_13select_configILj256ELj13ELNS0_17block_load_methodE3ELS4_3ELS4_3ELNS0_20block_scan_algorithmE0ELj4294967295EEENS1_25partition_config_selectorILNS1_17partition_subalgoE3EjNS0_10empty_typeEbEEZZNS1_14partition_implILS8_3ELb0ES6_jNS0_17counting_iteratorIjlEEPS9_SE_NS0_5tupleIJPjSE_EEENSF_IJSE_SE_EEES9_SG_JZNS1_25segmented_radix_sort_implINS0_14default_configELb0EPKhPhPKlPlN2at6native12_GLOBAL__N_18offset_tEEE10hipError_tPvRmT1_PNSt15iterator_traitsISY_E10value_typeET2_T3_PNSZ_IS14_E10value_typeET4_jRbjT5_S1A_jjP12ihipStream_tbEUljE_EEESV_SW_SX_S14_S18_S1A_T6_T7_T9_mT8_S1C_bDpT10_ENKUlT_T0_E_clISt17integral_constantIbLb0EES1P_EEDaS1K_S1L_EUlS1K_E_NS1_11comp_targetILNS1_3genE2ELNS1_11target_archE906ELNS1_3gpuE6ELNS1_3repE0EEENS1_30default_config_static_selectorELNS0_4arch9wavefront6targetE0EEEvSY_,"axG",@progbits,_ZN7rocprim17ROCPRIM_400000_NS6detail17trampoline_kernelINS0_13select_configILj256ELj13ELNS0_17block_load_methodE3ELS4_3ELS4_3ELNS0_20block_scan_algorithmE0ELj4294967295EEENS1_25partition_config_selectorILNS1_17partition_subalgoE3EjNS0_10empty_typeEbEEZZNS1_14partition_implILS8_3ELb0ES6_jNS0_17counting_iteratorIjlEEPS9_SE_NS0_5tupleIJPjSE_EEENSF_IJSE_SE_EEES9_SG_JZNS1_25segmented_radix_sort_implINS0_14default_configELb0EPKhPhPKlPlN2at6native12_GLOBAL__N_18offset_tEEE10hipError_tPvRmT1_PNSt15iterator_traitsISY_E10value_typeET2_T3_PNSZ_IS14_E10value_typeET4_jRbjT5_S1A_jjP12ihipStream_tbEUljE_EEESV_SW_SX_S14_S18_S1A_T6_T7_T9_mT8_S1C_bDpT10_ENKUlT_T0_E_clISt17integral_constantIbLb0EES1P_EEDaS1K_S1L_EUlS1K_E_NS1_11comp_targetILNS1_3genE2ELNS1_11target_archE906ELNS1_3gpuE6ELNS1_3repE0EEENS1_30default_config_static_selectorELNS0_4arch9wavefront6targetE0EEEvSY_,comdat
	.globl	_ZN7rocprim17ROCPRIM_400000_NS6detail17trampoline_kernelINS0_13select_configILj256ELj13ELNS0_17block_load_methodE3ELS4_3ELS4_3ELNS0_20block_scan_algorithmE0ELj4294967295EEENS1_25partition_config_selectorILNS1_17partition_subalgoE3EjNS0_10empty_typeEbEEZZNS1_14partition_implILS8_3ELb0ES6_jNS0_17counting_iteratorIjlEEPS9_SE_NS0_5tupleIJPjSE_EEENSF_IJSE_SE_EEES9_SG_JZNS1_25segmented_radix_sort_implINS0_14default_configELb0EPKhPhPKlPlN2at6native12_GLOBAL__N_18offset_tEEE10hipError_tPvRmT1_PNSt15iterator_traitsISY_E10value_typeET2_T3_PNSZ_IS14_E10value_typeET4_jRbjT5_S1A_jjP12ihipStream_tbEUljE_EEESV_SW_SX_S14_S18_S1A_T6_T7_T9_mT8_S1C_bDpT10_ENKUlT_T0_E_clISt17integral_constantIbLb0EES1P_EEDaS1K_S1L_EUlS1K_E_NS1_11comp_targetILNS1_3genE2ELNS1_11target_archE906ELNS1_3gpuE6ELNS1_3repE0EEENS1_30default_config_static_selectorELNS0_4arch9wavefront6targetE0EEEvSY_ ; -- Begin function _ZN7rocprim17ROCPRIM_400000_NS6detail17trampoline_kernelINS0_13select_configILj256ELj13ELNS0_17block_load_methodE3ELS4_3ELS4_3ELNS0_20block_scan_algorithmE0ELj4294967295EEENS1_25partition_config_selectorILNS1_17partition_subalgoE3EjNS0_10empty_typeEbEEZZNS1_14partition_implILS8_3ELb0ES6_jNS0_17counting_iteratorIjlEEPS9_SE_NS0_5tupleIJPjSE_EEENSF_IJSE_SE_EEES9_SG_JZNS1_25segmented_radix_sort_implINS0_14default_configELb0EPKhPhPKlPlN2at6native12_GLOBAL__N_18offset_tEEE10hipError_tPvRmT1_PNSt15iterator_traitsISY_E10value_typeET2_T3_PNSZ_IS14_E10value_typeET4_jRbjT5_S1A_jjP12ihipStream_tbEUljE_EEESV_SW_SX_S14_S18_S1A_T6_T7_T9_mT8_S1C_bDpT10_ENKUlT_T0_E_clISt17integral_constantIbLb0EES1P_EEDaS1K_S1L_EUlS1K_E_NS1_11comp_targetILNS1_3genE2ELNS1_11target_archE906ELNS1_3gpuE6ELNS1_3repE0EEENS1_30default_config_static_selectorELNS0_4arch9wavefront6targetE0EEEvSY_
	.p2align	8
	.type	_ZN7rocprim17ROCPRIM_400000_NS6detail17trampoline_kernelINS0_13select_configILj256ELj13ELNS0_17block_load_methodE3ELS4_3ELS4_3ELNS0_20block_scan_algorithmE0ELj4294967295EEENS1_25partition_config_selectorILNS1_17partition_subalgoE3EjNS0_10empty_typeEbEEZZNS1_14partition_implILS8_3ELb0ES6_jNS0_17counting_iteratorIjlEEPS9_SE_NS0_5tupleIJPjSE_EEENSF_IJSE_SE_EEES9_SG_JZNS1_25segmented_radix_sort_implINS0_14default_configELb0EPKhPhPKlPlN2at6native12_GLOBAL__N_18offset_tEEE10hipError_tPvRmT1_PNSt15iterator_traitsISY_E10value_typeET2_T3_PNSZ_IS14_E10value_typeET4_jRbjT5_S1A_jjP12ihipStream_tbEUljE_EEESV_SW_SX_S14_S18_S1A_T6_T7_T9_mT8_S1C_bDpT10_ENKUlT_T0_E_clISt17integral_constantIbLb0EES1P_EEDaS1K_S1L_EUlS1K_E_NS1_11comp_targetILNS1_3genE2ELNS1_11target_archE906ELNS1_3gpuE6ELNS1_3repE0EEENS1_30default_config_static_selectorELNS0_4arch9wavefront6targetE0EEEvSY_,@function
_ZN7rocprim17ROCPRIM_400000_NS6detail17trampoline_kernelINS0_13select_configILj256ELj13ELNS0_17block_load_methodE3ELS4_3ELS4_3ELNS0_20block_scan_algorithmE0ELj4294967295EEENS1_25partition_config_selectorILNS1_17partition_subalgoE3EjNS0_10empty_typeEbEEZZNS1_14partition_implILS8_3ELb0ES6_jNS0_17counting_iteratorIjlEEPS9_SE_NS0_5tupleIJPjSE_EEENSF_IJSE_SE_EEES9_SG_JZNS1_25segmented_radix_sort_implINS0_14default_configELb0EPKhPhPKlPlN2at6native12_GLOBAL__N_18offset_tEEE10hipError_tPvRmT1_PNSt15iterator_traitsISY_E10value_typeET2_T3_PNSZ_IS14_E10value_typeET4_jRbjT5_S1A_jjP12ihipStream_tbEUljE_EEESV_SW_SX_S14_S18_S1A_T6_T7_T9_mT8_S1C_bDpT10_ENKUlT_T0_E_clISt17integral_constantIbLb0EES1P_EEDaS1K_S1L_EUlS1K_E_NS1_11comp_targetILNS1_3genE2ELNS1_11target_archE906ELNS1_3gpuE6ELNS1_3repE0EEENS1_30default_config_static_selectorELNS0_4arch9wavefront6targetE0EEEvSY_: ; @_ZN7rocprim17ROCPRIM_400000_NS6detail17trampoline_kernelINS0_13select_configILj256ELj13ELNS0_17block_load_methodE3ELS4_3ELS4_3ELNS0_20block_scan_algorithmE0ELj4294967295EEENS1_25partition_config_selectorILNS1_17partition_subalgoE3EjNS0_10empty_typeEbEEZZNS1_14partition_implILS8_3ELb0ES6_jNS0_17counting_iteratorIjlEEPS9_SE_NS0_5tupleIJPjSE_EEENSF_IJSE_SE_EEES9_SG_JZNS1_25segmented_radix_sort_implINS0_14default_configELb0EPKhPhPKlPlN2at6native12_GLOBAL__N_18offset_tEEE10hipError_tPvRmT1_PNSt15iterator_traitsISY_E10value_typeET2_T3_PNSZ_IS14_E10value_typeET4_jRbjT5_S1A_jjP12ihipStream_tbEUljE_EEESV_SW_SX_S14_S18_S1A_T6_T7_T9_mT8_S1C_bDpT10_ENKUlT_T0_E_clISt17integral_constantIbLb0EES1P_EEDaS1K_S1L_EUlS1K_E_NS1_11comp_targetILNS1_3genE2ELNS1_11target_archE906ELNS1_3gpuE6ELNS1_3repE0EEENS1_30default_config_static_selectorELNS0_4arch9wavefront6targetE0EEEvSY_
; %bb.0:
	.section	.rodata,"a",@progbits
	.p2align	6, 0x0
	.amdhsa_kernel _ZN7rocprim17ROCPRIM_400000_NS6detail17trampoline_kernelINS0_13select_configILj256ELj13ELNS0_17block_load_methodE3ELS4_3ELS4_3ELNS0_20block_scan_algorithmE0ELj4294967295EEENS1_25partition_config_selectorILNS1_17partition_subalgoE3EjNS0_10empty_typeEbEEZZNS1_14partition_implILS8_3ELb0ES6_jNS0_17counting_iteratorIjlEEPS9_SE_NS0_5tupleIJPjSE_EEENSF_IJSE_SE_EEES9_SG_JZNS1_25segmented_radix_sort_implINS0_14default_configELb0EPKhPhPKlPlN2at6native12_GLOBAL__N_18offset_tEEE10hipError_tPvRmT1_PNSt15iterator_traitsISY_E10value_typeET2_T3_PNSZ_IS14_E10value_typeET4_jRbjT5_S1A_jjP12ihipStream_tbEUljE_EEESV_SW_SX_S14_S18_S1A_T6_T7_T9_mT8_S1C_bDpT10_ENKUlT_T0_E_clISt17integral_constantIbLb0EES1P_EEDaS1K_S1L_EUlS1K_E_NS1_11comp_targetILNS1_3genE2ELNS1_11target_archE906ELNS1_3gpuE6ELNS1_3repE0EEENS1_30default_config_static_selectorELNS0_4arch9wavefront6targetE0EEEvSY_
		.amdhsa_group_segment_fixed_size 0
		.amdhsa_private_segment_fixed_size 0
		.amdhsa_kernarg_size 144
		.amdhsa_user_sgpr_count 6
		.amdhsa_user_sgpr_private_segment_buffer 1
		.amdhsa_user_sgpr_dispatch_ptr 0
		.amdhsa_user_sgpr_queue_ptr 0
		.amdhsa_user_sgpr_kernarg_segment_ptr 1
		.amdhsa_user_sgpr_dispatch_id 0
		.amdhsa_user_sgpr_flat_scratch_init 0
		.amdhsa_user_sgpr_private_segment_size 0
		.amdhsa_wavefront_size32 1
		.amdhsa_uses_dynamic_stack 0
		.amdhsa_system_sgpr_private_segment_wavefront_offset 0
		.amdhsa_system_sgpr_workgroup_id_x 1
		.amdhsa_system_sgpr_workgroup_id_y 0
		.amdhsa_system_sgpr_workgroup_id_z 0
		.amdhsa_system_sgpr_workgroup_info 0
		.amdhsa_system_vgpr_workitem_id 0
		.amdhsa_next_free_vgpr 1
		.amdhsa_next_free_sgpr 1
		.amdhsa_reserve_vcc 0
		.amdhsa_reserve_flat_scratch 0
		.amdhsa_float_round_mode_32 0
		.amdhsa_float_round_mode_16_64 0
		.amdhsa_float_denorm_mode_32 3
		.amdhsa_float_denorm_mode_16_64 3
		.amdhsa_dx10_clamp 1
		.amdhsa_ieee_mode 1
		.amdhsa_fp16_overflow 0
		.amdhsa_workgroup_processor_mode 1
		.amdhsa_memory_ordered 1
		.amdhsa_forward_progress 1
		.amdhsa_shared_vgpr_count 0
		.amdhsa_exception_fp_ieee_invalid_op 0
		.amdhsa_exception_fp_denorm_src 0
		.amdhsa_exception_fp_ieee_div_zero 0
		.amdhsa_exception_fp_ieee_overflow 0
		.amdhsa_exception_fp_ieee_underflow 0
		.amdhsa_exception_fp_ieee_inexact 0
		.amdhsa_exception_int_div_zero 0
	.end_amdhsa_kernel
	.section	.text._ZN7rocprim17ROCPRIM_400000_NS6detail17trampoline_kernelINS0_13select_configILj256ELj13ELNS0_17block_load_methodE3ELS4_3ELS4_3ELNS0_20block_scan_algorithmE0ELj4294967295EEENS1_25partition_config_selectorILNS1_17partition_subalgoE3EjNS0_10empty_typeEbEEZZNS1_14partition_implILS8_3ELb0ES6_jNS0_17counting_iteratorIjlEEPS9_SE_NS0_5tupleIJPjSE_EEENSF_IJSE_SE_EEES9_SG_JZNS1_25segmented_radix_sort_implINS0_14default_configELb0EPKhPhPKlPlN2at6native12_GLOBAL__N_18offset_tEEE10hipError_tPvRmT1_PNSt15iterator_traitsISY_E10value_typeET2_T3_PNSZ_IS14_E10value_typeET4_jRbjT5_S1A_jjP12ihipStream_tbEUljE_EEESV_SW_SX_S14_S18_S1A_T6_T7_T9_mT8_S1C_bDpT10_ENKUlT_T0_E_clISt17integral_constantIbLb0EES1P_EEDaS1K_S1L_EUlS1K_E_NS1_11comp_targetILNS1_3genE2ELNS1_11target_archE906ELNS1_3gpuE6ELNS1_3repE0EEENS1_30default_config_static_selectorELNS0_4arch9wavefront6targetE0EEEvSY_,"axG",@progbits,_ZN7rocprim17ROCPRIM_400000_NS6detail17trampoline_kernelINS0_13select_configILj256ELj13ELNS0_17block_load_methodE3ELS4_3ELS4_3ELNS0_20block_scan_algorithmE0ELj4294967295EEENS1_25partition_config_selectorILNS1_17partition_subalgoE3EjNS0_10empty_typeEbEEZZNS1_14partition_implILS8_3ELb0ES6_jNS0_17counting_iteratorIjlEEPS9_SE_NS0_5tupleIJPjSE_EEENSF_IJSE_SE_EEES9_SG_JZNS1_25segmented_radix_sort_implINS0_14default_configELb0EPKhPhPKlPlN2at6native12_GLOBAL__N_18offset_tEEE10hipError_tPvRmT1_PNSt15iterator_traitsISY_E10value_typeET2_T3_PNSZ_IS14_E10value_typeET4_jRbjT5_S1A_jjP12ihipStream_tbEUljE_EEESV_SW_SX_S14_S18_S1A_T6_T7_T9_mT8_S1C_bDpT10_ENKUlT_T0_E_clISt17integral_constantIbLb0EES1P_EEDaS1K_S1L_EUlS1K_E_NS1_11comp_targetILNS1_3genE2ELNS1_11target_archE906ELNS1_3gpuE6ELNS1_3repE0EEENS1_30default_config_static_selectorELNS0_4arch9wavefront6targetE0EEEvSY_,comdat
.Lfunc_end157:
	.size	_ZN7rocprim17ROCPRIM_400000_NS6detail17trampoline_kernelINS0_13select_configILj256ELj13ELNS0_17block_load_methodE3ELS4_3ELS4_3ELNS0_20block_scan_algorithmE0ELj4294967295EEENS1_25partition_config_selectorILNS1_17partition_subalgoE3EjNS0_10empty_typeEbEEZZNS1_14partition_implILS8_3ELb0ES6_jNS0_17counting_iteratorIjlEEPS9_SE_NS0_5tupleIJPjSE_EEENSF_IJSE_SE_EEES9_SG_JZNS1_25segmented_radix_sort_implINS0_14default_configELb0EPKhPhPKlPlN2at6native12_GLOBAL__N_18offset_tEEE10hipError_tPvRmT1_PNSt15iterator_traitsISY_E10value_typeET2_T3_PNSZ_IS14_E10value_typeET4_jRbjT5_S1A_jjP12ihipStream_tbEUljE_EEESV_SW_SX_S14_S18_S1A_T6_T7_T9_mT8_S1C_bDpT10_ENKUlT_T0_E_clISt17integral_constantIbLb0EES1P_EEDaS1K_S1L_EUlS1K_E_NS1_11comp_targetILNS1_3genE2ELNS1_11target_archE906ELNS1_3gpuE6ELNS1_3repE0EEENS1_30default_config_static_selectorELNS0_4arch9wavefront6targetE0EEEvSY_, .Lfunc_end157-_ZN7rocprim17ROCPRIM_400000_NS6detail17trampoline_kernelINS0_13select_configILj256ELj13ELNS0_17block_load_methodE3ELS4_3ELS4_3ELNS0_20block_scan_algorithmE0ELj4294967295EEENS1_25partition_config_selectorILNS1_17partition_subalgoE3EjNS0_10empty_typeEbEEZZNS1_14partition_implILS8_3ELb0ES6_jNS0_17counting_iteratorIjlEEPS9_SE_NS0_5tupleIJPjSE_EEENSF_IJSE_SE_EEES9_SG_JZNS1_25segmented_radix_sort_implINS0_14default_configELb0EPKhPhPKlPlN2at6native12_GLOBAL__N_18offset_tEEE10hipError_tPvRmT1_PNSt15iterator_traitsISY_E10value_typeET2_T3_PNSZ_IS14_E10value_typeET4_jRbjT5_S1A_jjP12ihipStream_tbEUljE_EEESV_SW_SX_S14_S18_S1A_T6_T7_T9_mT8_S1C_bDpT10_ENKUlT_T0_E_clISt17integral_constantIbLb0EES1P_EEDaS1K_S1L_EUlS1K_E_NS1_11comp_targetILNS1_3genE2ELNS1_11target_archE906ELNS1_3gpuE6ELNS1_3repE0EEENS1_30default_config_static_selectorELNS0_4arch9wavefront6targetE0EEEvSY_
                                        ; -- End function
	.set _ZN7rocprim17ROCPRIM_400000_NS6detail17trampoline_kernelINS0_13select_configILj256ELj13ELNS0_17block_load_methodE3ELS4_3ELS4_3ELNS0_20block_scan_algorithmE0ELj4294967295EEENS1_25partition_config_selectorILNS1_17partition_subalgoE3EjNS0_10empty_typeEbEEZZNS1_14partition_implILS8_3ELb0ES6_jNS0_17counting_iteratorIjlEEPS9_SE_NS0_5tupleIJPjSE_EEENSF_IJSE_SE_EEES9_SG_JZNS1_25segmented_radix_sort_implINS0_14default_configELb0EPKhPhPKlPlN2at6native12_GLOBAL__N_18offset_tEEE10hipError_tPvRmT1_PNSt15iterator_traitsISY_E10value_typeET2_T3_PNSZ_IS14_E10value_typeET4_jRbjT5_S1A_jjP12ihipStream_tbEUljE_EEESV_SW_SX_S14_S18_S1A_T6_T7_T9_mT8_S1C_bDpT10_ENKUlT_T0_E_clISt17integral_constantIbLb0EES1P_EEDaS1K_S1L_EUlS1K_E_NS1_11comp_targetILNS1_3genE2ELNS1_11target_archE906ELNS1_3gpuE6ELNS1_3repE0EEENS1_30default_config_static_selectorELNS0_4arch9wavefront6targetE0EEEvSY_.num_vgpr, 0
	.set _ZN7rocprim17ROCPRIM_400000_NS6detail17trampoline_kernelINS0_13select_configILj256ELj13ELNS0_17block_load_methodE3ELS4_3ELS4_3ELNS0_20block_scan_algorithmE0ELj4294967295EEENS1_25partition_config_selectorILNS1_17partition_subalgoE3EjNS0_10empty_typeEbEEZZNS1_14partition_implILS8_3ELb0ES6_jNS0_17counting_iteratorIjlEEPS9_SE_NS0_5tupleIJPjSE_EEENSF_IJSE_SE_EEES9_SG_JZNS1_25segmented_radix_sort_implINS0_14default_configELb0EPKhPhPKlPlN2at6native12_GLOBAL__N_18offset_tEEE10hipError_tPvRmT1_PNSt15iterator_traitsISY_E10value_typeET2_T3_PNSZ_IS14_E10value_typeET4_jRbjT5_S1A_jjP12ihipStream_tbEUljE_EEESV_SW_SX_S14_S18_S1A_T6_T7_T9_mT8_S1C_bDpT10_ENKUlT_T0_E_clISt17integral_constantIbLb0EES1P_EEDaS1K_S1L_EUlS1K_E_NS1_11comp_targetILNS1_3genE2ELNS1_11target_archE906ELNS1_3gpuE6ELNS1_3repE0EEENS1_30default_config_static_selectorELNS0_4arch9wavefront6targetE0EEEvSY_.num_agpr, 0
	.set _ZN7rocprim17ROCPRIM_400000_NS6detail17trampoline_kernelINS0_13select_configILj256ELj13ELNS0_17block_load_methodE3ELS4_3ELS4_3ELNS0_20block_scan_algorithmE0ELj4294967295EEENS1_25partition_config_selectorILNS1_17partition_subalgoE3EjNS0_10empty_typeEbEEZZNS1_14partition_implILS8_3ELb0ES6_jNS0_17counting_iteratorIjlEEPS9_SE_NS0_5tupleIJPjSE_EEENSF_IJSE_SE_EEES9_SG_JZNS1_25segmented_radix_sort_implINS0_14default_configELb0EPKhPhPKlPlN2at6native12_GLOBAL__N_18offset_tEEE10hipError_tPvRmT1_PNSt15iterator_traitsISY_E10value_typeET2_T3_PNSZ_IS14_E10value_typeET4_jRbjT5_S1A_jjP12ihipStream_tbEUljE_EEESV_SW_SX_S14_S18_S1A_T6_T7_T9_mT8_S1C_bDpT10_ENKUlT_T0_E_clISt17integral_constantIbLb0EES1P_EEDaS1K_S1L_EUlS1K_E_NS1_11comp_targetILNS1_3genE2ELNS1_11target_archE906ELNS1_3gpuE6ELNS1_3repE0EEENS1_30default_config_static_selectorELNS0_4arch9wavefront6targetE0EEEvSY_.numbered_sgpr, 0
	.set _ZN7rocprim17ROCPRIM_400000_NS6detail17trampoline_kernelINS0_13select_configILj256ELj13ELNS0_17block_load_methodE3ELS4_3ELS4_3ELNS0_20block_scan_algorithmE0ELj4294967295EEENS1_25partition_config_selectorILNS1_17partition_subalgoE3EjNS0_10empty_typeEbEEZZNS1_14partition_implILS8_3ELb0ES6_jNS0_17counting_iteratorIjlEEPS9_SE_NS0_5tupleIJPjSE_EEENSF_IJSE_SE_EEES9_SG_JZNS1_25segmented_radix_sort_implINS0_14default_configELb0EPKhPhPKlPlN2at6native12_GLOBAL__N_18offset_tEEE10hipError_tPvRmT1_PNSt15iterator_traitsISY_E10value_typeET2_T3_PNSZ_IS14_E10value_typeET4_jRbjT5_S1A_jjP12ihipStream_tbEUljE_EEESV_SW_SX_S14_S18_S1A_T6_T7_T9_mT8_S1C_bDpT10_ENKUlT_T0_E_clISt17integral_constantIbLb0EES1P_EEDaS1K_S1L_EUlS1K_E_NS1_11comp_targetILNS1_3genE2ELNS1_11target_archE906ELNS1_3gpuE6ELNS1_3repE0EEENS1_30default_config_static_selectorELNS0_4arch9wavefront6targetE0EEEvSY_.num_named_barrier, 0
	.set _ZN7rocprim17ROCPRIM_400000_NS6detail17trampoline_kernelINS0_13select_configILj256ELj13ELNS0_17block_load_methodE3ELS4_3ELS4_3ELNS0_20block_scan_algorithmE0ELj4294967295EEENS1_25partition_config_selectorILNS1_17partition_subalgoE3EjNS0_10empty_typeEbEEZZNS1_14partition_implILS8_3ELb0ES6_jNS0_17counting_iteratorIjlEEPS9_SE_NS0_5tupleIJPjSE_EEENSF_IJSE_SE_EEES9_SG_JZNS1_25segmented_radix_sort_implINS0_14default_configELb0EPKhPhPKlPlN2at6native12_GLOBAL__N_18offset_tEEE10hipError_tPvRmT1_PNSt15iterator_traitsISY_E10value_typeET2_T3_PNSZ_IS14_E10value_typeET4_jRbjT5_S1A_jjP12ihipStream_tbEUljE_EEESV_SW_SX_S14_S18_S1A_T6_T7_T9_mT8_S1C_bDpT10_ENKUlT_T0_E_clISt17integral_constantIbLb0EES1P_EEDaS1K_S1L_EUlS1K_E_NS1_11comp_targetILNS1_3genE2ELNS1_11target_archE906ELNS1_3gpuE6ELNS1_3repE0EEENS1_30default_config_static_selectorELNS0_4arch9wavefront6targetE0EEEvSY_.private_seg_size, 0
	.set _ZN7rocprim17ROCPRIM_400000_NS6detail17trampoline_kernelINS0_13select_configILj256ELj13ELNS0_17block_load_methodE3ELS4_3ELS4_3ELNS0_20block_scan_algorithmE0ELj4294967295EEENS1_25partition_config_selectorILNS1_17partition_subalgoE3EjNS0_10empty_typeEbEEZZNS1_14partition_implILS8_3ELb0ES6_jNS0_17counting_iteratorIjlEEPS9_SE_NS0_5tupleIJPjSE_EEENSF_IJSE_SE_EEES9_SG_JZNS1_25segmented_radix_sort_implINS0_14default_configELb0EPKhPhPKlPlN2at6native12_GLOBAL__N_18offset_tEEE10hipError_tPvRmT1_PNSt15iterator_traitsISY_E10value_typeET2_T3_PNSZ_IS14_E10value_typeET4_jRbjT5_S1A_jjP12ihipStream_tbEUljE_EEESV_SW_SX_S14_S18_S1A_T6_T7_T9_mT8_S1C_bDpT10_ENKUlT_T0_E_clISt17integral_constantIbLb0EES1P_EEDaS1K_S1L_EUlS1K_E_NS1_11comp_targetILNS1_3genE2ELNS1_11target_archE906ELNS1_3gpuE6ELNS1_3repE0EEENS1_30default_config_static_selectorELNS0_4arch9wavefront6targetE0EEEvSY_.uses_vcc, 0
	.set _ZN7rocprim17ROCPRIM_400000_NS6detail17trampoline_kernelINS0_13select_configILj256ELj13ELNS0_17block_load_methodE3ELS4_3ELS4_3ELNS0_20block_scan_algorithmE0ELj4294967295EEENS1_25partition_config_selectorILNS1_17partition_subalgoE3EjNS0_10empty_typeEbEEZZNS1_14partition_implILS8_3ELb0ES6_jNS0_17counting_iteratorIjlEEPS9_SE_NS0_5tupleIJPjSE_EEENSF_IJSE_SE_EEES9_SG_JZNS1_25segmented_radix_sort_implINS0_14default_configELb0EPKhPhPKlPlN2at6native12_GLOBAL__N_18offset_tEEE10hipError_tPvRmT1_PNSt15iterator_traitsISY_E10value_typeET2_T3_PNSZ_IS14_E10value_typeET4_jRbjT5_S1A_jjP12ihipStream_tbEUljE_EEESV_SW_SX_S14_S18_S1A_T6_T7_T9_mT8_S1C_bDpT10_ENKUlT_T0_E_clISt17integral_constantIbLb0EES1P_EEDaS1K_S1L_EUlS1K_E_NS1_11comp_targetILNS1_3genE2ELNS1_11target_archE906ELNS1_3gpuE6ELNS1_3repE0EEENS1_30default_config_static_selectorELNS0_4arch9wavefront6targetE0EEEvSY_.uses_flat_scratch, 0
	.set _ZN7rocprim17ROCPRIM_400000_NS6detail17trampoline_kernelINS0_13select_configILj256ELj13ELNS0_17block_load_methodE3ELS4_3ELS4_3ELNS0_20block_scan_algorithmE0ELj4294967295EEENS1_25partition_config_selectorILNS1_17partition_subalgoE3EjNS0_10empty_typeEbEEZZNS1_14partition_implILS8_3ELb0ES6_jNS0_17counting_iteratorIjlEEPS9_SE_NS0_5tupleIJPjSE_EEENSF_IJSE_SE_EEES9_SG_JZNS1_25segmented_radix_sort_implINS0_14default_configELb0EPKhPhPKlPlN2at6native12_GLOBAL__N_18offset_tEEE10hipError_tPvRmT1_PNSt15iterator_traitsISY_E10value_typeET2_T3_PNSZ_IS14_E10value_typeET4_jRbjT5_S1A_jjP12ihipStream_tbEUljE_EEESV_SW_SX_S14_S18_S1A_T6_T7_T9_mT8_S1C_bDpT10_ENKUlT_T0_E_clISt17integral_constantIbLb0EES1P_EEDaS1K_S1L_EUlS1K_E_NS1_11comp_targetILNS1_3genE2ELNS1_11target_archE906ELNS1_3gpuE6ELNS1_3repE0EEENS1_30default_config_static_selectorELNS0_4arch9wavefront6targetE0EEEvSY_.has_dyn_sized_stack, 0
	.set _ZN7rocprim17ROCPRIM_400000_NS6detail17trampoline_kernelINS0_13select_configILj256ELj13ELNS0_17block_load_methodE3ELS4_3ELS4_3ELNS0_20block_scan_algorithmE0ELj4294967295EEENS1_25partition_config_selectorILNS1_17partition_subalgoE3EjNS0_10empty_typeEbEEZZNS1_14partition_implILS8_3ELb0ES6_jNS0_17counting_iteratorIjlEEPS9_SE_NS0_5tupleIJPjSE_EEENSF_IJSE_SE_EEES9_SG_JZNS1_25segmented_radix_sort_implINS0_14default_configELb0EPKhPhPKlPlN2at6native12_GLOBAL__N_18offset_tEEE10hipError_tPvRmT1_PNSt15iterator_traitsISY_E10value_typeET2_T3_PNSZ_IS14_E10value_typeET4_jRbjT5_S1A_jjP12ihipStream_tbEUljE_EEESV_SW_SX_S14_S18_S1A_T6_T7_T9_mT8_S1C_bDpT10_ENKUlT_T0_E_clISt17integral_constantIbLb0EES1P_EEDaS1K_S1L_EUlS1K_E_NS1_11comp_targetILNS1_3genE2ELNS1_11target_archE906ELNS1_3gpuE6ELNS1_3repE0EEENS1_30default_config_static_selectorELNS0_4arch9wavefront6targetE0EEEvSY_.has_recursion, 0
	.set _ZN7rocprim17ROCPRIM_400000_NS6detail17trampoline_kernelINS0_13select_configILj256ELj13ELNS0_17block_load_methodE3ELS4_3ELS4_3ELNS0_20block_scan_algorithmE0ELj4294967295EEENS1_25partition_config_selectorILNS1_17partition_subalgoE3EjNS0_10empty_typeEbEEZZNS1_14partition_implILS8_3ELb0ES6_jNS0_17counting_iteratorIjlEEPS9_SE_NS0_5tupleIJPjSE_EEENSF_IJSE_SE_EEES9_SG_JZNS1_25segmented_radix_sort_implINS0_14default_configELb0EPKhPhPKlPlN2at6native12_GLOBAL__N_18offset_tEEE10hipError_tPvRmT1_PNSt15iterator_traitsISY_E10value_typeET2_T3_PNSZ_IS14_E10value_typeET4_jRbjT5_S1A_jjP12ihipStream_tbEUljE_EEESV_SW_SX_S14_S18_S1A_T6_T7_T9_mT8_S1C_bDpT10_ENKUlT_T0_E_clISt17integral_constantIbLb0EES1P_EEDaS1K_S1L_EUlS1K_E_NS1_11comp_targetILNS1_3genE2ELNS1_11target_archE906ELNS1_3gpuE6ELNS1_3repE0EEENS1_30default_config_static_selectorELNS0_4arch9wavefront6targetE0EEEvSY_.has_indirect_call, 0
	.section	.AMDGPU.csdata,"",@progbits
; Kernel info:
; codeLenInByte = 0
; TotalNumSgprs: 0
; NumVgprs: 0
; ScratchSize: 0
; MemoryBound: 0
; FloatMode: 240
; IeeeMode: 1
; LDSByteSize: 0 bytes/workgroup (compile time only)
; SGPRBlocks: 0
; VGPRBlocks: 0
; NumSGPRsForWavesPerEU: 1
; NumVGPRsForWavesPerEU: 1
; Occupancy: 16
; WaveLimiterHint : 0
; COMPUTE_PGM_RSRC2:SCRATCH_EN: 0
; COMPUTE_PGM_RSRC2:USER_SGPR: 6
; COMPUTE_PGM_RSRC2:TRAP_HANDLER: 0
; COMPUTE_PGM_RSRC2:TGID_X_EN: 1
; COMPUTE_PGM_RSRC2:TGID_Y_EN: 0
; COMPUTE_PGM_RSRC2:TGID_Z_EN: 0
; COMPUTE_PGM_RSRC2:TIDIG_COMP_CNT: 0
	.section	.text._ZN7rocprim17ROCPRIM_400000_NS6detail17trampoline_kernelINS0_13select_configILj256ELj13ELNS0_17block_load_methodE3ELS4_3ELS4_3ELNS0_20block_scan_algorithmE0ELj4294967295EEENS1_25partition_config_selectorILNS1_17partition_subalgoE3EjNS0_10empty_typeEbEEZZNS1_14partition_implILS8_3ELb0ES6_jNS0_17counting_iteratorIjlEEPS9_SE_NS0_5tupleIJPjSE_EEENSF_IJSE_SE_EEES9_SG_JZNS1_25segmented_radix_sort_implINS0_14default_configELb0EPKhPhPKlPlN2at6native12_GLOBAL__N_18offset_tEEE10hipError_tPvRmT1_PNSt15iterator_traitsISY_E10value_typeET2_T3_PNSZ_IS14_E10value_typeET4_jRbjT5_S1A_jjP12ihipStream_tbEUljE_EEESV_SW_SX_S14_S18_S1A_T6_T7_T9_mT8_S1C_bDpT10_ENKUlT_T0_E_clISt17integral_constantIbLb0EES1P_EEDaS1K_S1L_EUlS1K_E_NS1_11comp_targetILNS1_3genE10ELNS1_11target_archE1200ELNS1_3gpuE4ELNS1_3repE0EEENS1_30default_config_static_selectorELNS0_4arch9wavefront6targetE0EEEvSY_,"axG",@progbits,_ZN7rocprim17ROCPRIM_400000_NS6detail17trampoline_kernelINS0_13select_configILj256ELj13ELNS0_17block_load_methodE3ELS4_3ELS4_3ELNS0_20block_scan_algorithmE0ELj4294967295EEENS1_25partition_config_selectorILNS1_17partition_subalgoE3EjNS0_10empty_typeEbEEZZNS1_14partition_implILS8_3ELb0ES6_jNS0_17counting_iteratorIjlEEPS9_SE_NS0_5tupleIJPjSE_EEENSF_IJSE_SE_EEES9_SG_JZNS1_25segmented_radix_sort_implINS0_14default_configELb0EPKhPhPKlPlN2at6native12_GLOBAL__N_18offset_tEEE10hipError_tPvRmT1_PNSt15iterator_traitsISY_E10value_typeET2_T3_PNSZ_IS14_E10value_typeET4_jRbjT5_S1A_jjP12ihipStream_tbEUljE_EEESV_SW_SX_S14_S18_S1A_T6_T7_T9_mT8_S1C_bDpT10_ENKUlT_T0_E_clISt17integral_constantIbLb0EES1P_EEDaS1K_S1L_EUlS1K_E_NS1_11comp_targetILNS1_3genE10ELNS1_11target_archE1200ELNS1_3gpuE4ELNS1_3repE0EEENS1_30default_config_static_selectorELNS0_4arch9wavefront6targetE0EEEvSY_,comdat
	.globl	_ZN7rocprim17ROCPRIM_400000_NS6detail17trampoline_kernelINS0_13select_configILj256ELj13ELNS0_17block_load_methodE3ELS4_3ELS4_3ELNS0_20block_scan_algorithmE0ELj4294967295EEENS1_25partition_config_selectorILNS1_17partition_subalgoE3EjNS0_10empty_typeEbEEZZNS1_14partition_implILS8_3ELb0ES6_jNS0_17counting_iteratorIjlEEPS9_SE_NS0_5tupleIJPjSE_EEENSF_IJSE_SE_EEES9_SG_JZNS1_25segmented_radix_sort_implINS0_14default_configELb0EPKhPhPKlPlN2at6native12_GLOBAL__N_18offset_tEEE10hipError_tPvRmT1_PNSt15iterator_traitsISY_E10value_typeET2_T3_PNSZ_IS14_E10value_typeET4_jRbjT5_S1A_jjP12ihipStream_tbEUljE_EEESV_SW_SX_S14_S18_S1A_T6_T7_T9_mT8_S1C_bDpT10_ENKUlT_T0_E_clISt17integral_constantIbLb0EES1P_EEDaS1K_S1L_EUlS1K_E_NS1_11comp_targetILNS1_3genE10ELNS1_11target_archE1200ELNS1_3gpuE4ELNS1_3repE0EEENS1_30default_config_static_selectorELNS0_4arch9wavefront6targetE0EEEvSY_ ; -- Begin function _ZN7rocprim17ROCPRIM_400000_NS6detail17trampoline_kernelINS0_13select_configILj256ELj13ELNS0_17block_load_methodE3ELS4_3ELS4_3ELNS0_20block_scan_algorithmE0ELj4294967295EEENS1_25partition_config_selectorILNS1_17partition_subalgoE3EjNS0_10empty_typeEbEEZZNS1_14partition_implILS8_3ELb0ES6_jNS0_17counting_iteratorIjlEEPS9_SE_NS0_5tupleIJPjSE_EEENSF_IJSE_SE_EEES9_SG_JZNS1_25segmented_radix_sort_implINS0_14default_configELb0EPKhPhPKlPlN2at6native12_GLOBAL__N_18offset_tEEE10hipError_tPvRmT1_PNSt15iterator_traitsISY_E10value_typeET2_T3_PNSZ_IS14_E10value_typeET4_jRbjT5_S1A_jjP12ihipStream_tbEUljE_EEESV_SW_SX_S14_S18_S1A_T6_T7_T9_mT8_S1C_bDpT10_ENKUlT_T0_E_clISt17integral_constantIbLb0EES1P_EEDaS1K_S1L_EUlS1K_E_NS1_11comp_targetILNS1_3genE10ELNS1_11target_archE1200ELNS1_3gpuE4ELNS1_3repE0EEENS1_30default_config_static_selectorELNS0_4arch9wavefront6targetE0EEEvSY_
	.p2align	8
	.type	_ZN7rocprim17ROCPRIM_400000_NS6detail17trampoline_kernelINS0_13select_configILj256ELj13ELNS0_17block_load_methodE3ELS4_3ELS4_3ELNS0_20block_scan_algorithmE0ELj4294967295EEENS1_25partition_config_selectorILNS1_17partition_subalgoE3EjNS0_10empty_typeEbEEZZNS1_14partition_implILS8_3ELb0ES6_jNS0_17counting_iteratorIjlEEPS9_SE_NS0_5tupleIJPjSE_EEENSF_IJSE_SE_EEES9_SG_JZNS1_25segmented_radix_sort_implINS0_14default_configELb0EPKhPhPKlPlN2at6native12_GLOBAL__N_18offset_tEEE10hipError_tPvRmT1_PNSt15iterator_traitsISY_E10value_typeET2_T3_PNSZ_IS14_E10value_typeET4_jRbjT5_S1A_jjP12ihipStream_tbEUljE_EEESV_SW_SX_S14_S18_S1A_T6_T7_T9_mT8_S1C_bDpT10_ENKUlT_T0_E_clISt17integral_constantIbLb0EES1P_EEDaS1K_S1L_EUlS1K_E_NS1_11comp_targetILNS1_3genE10ELNS1_11target_archE1200ELNS1_3gpuE4ELNS1_3repE0EEENS1_30default_config_static_selectorELNS0_4arch9wavefront6targetE0EEEvSY_,@function
_ZN7rocprim17ROCPRIM_400000_NS6detail17trampoline_kernelINS0_13select_configILj256ELj13ELNS0_17block_load_methodE3ELS4_3ELS4_3ELNS0_20block_scan_algorithmE0ELj4294967295EEENS1_25partition_config_selectorILNS1_17partition_subalgoE3EjNS0_10empty_typeEbEEZZNS1_14partition_implILS8_3ELb0ES6_jNS0_17counting_iteratorIjlEEPS9_SE_NS0_5tupleIJPjSE_EEENSF_IJSE_SE_EEES9_SG_JZNS1_25segmented_radix_sort_implINS0_14default_configELb0EPKhPhPKlPlN2at6native12_GLOBAL__N_18offset_tEEE10hipError_tPvRmT1_PNSt15iterator_traitsISY_E10value_typeET2_T3_PNSZ_IS14_E10value_typeET4_jRbjT5_S1A_jjP12ihipStream_tbEUljE_EEESV_SW_SX_S14_S18_S1A_T6_T7_T9_mT8_S1C_bDpT10_ENKUlT_T0_E_clISt17integral_constantIbLb0EES1P_EEDaS1K_S1L_EUlS1K_E_NS1_11comp_targetILNS1_3genE10ELNS1_11target_archE1200ELNS1_3gpuE4ELNS1_3repE0EEENS1_30default_config_static_selectorELNS0_4arch9wavefront6targetE0EEEvSY_: ; @_ZN7rocprim17ROCPRIM_400000_NS6detail17trampoline_kernelINS0_13select_configILj256ELj13ELNS0_17block_load_methodE3ELS4_3ELS4_3ELNS0_20block_scan_algorithmE0ELj4294967295EEENS1_25partition_config_selectorILNS1_17partition_subalgoE3EjNS0_10empty_typeEbEEZZNS1_14partition_implILS8_3ELb0ES6_jNS0_17counting_iteratorIjlEEPS9_SE_NS0_5tupleIJPjSE_EEENSF_IJSE_SE_EEES9_SG_JZNS1_25segmented_radix_sort_implINS0_14default_configELb0EPKhPhPKlPlN2at6native12_GLOBAL__N_18offset_tEEE10hipError_tPvRmT1_PNSt15iterator_traitsISY_E10value_typeET2_T3_PNSZ_IS14_E10value_typeET4_jRbjT5_S1A_jjP12ihipStream_tbEUljE_EEESV_SW_SX_S14_S18_S1A_T6_T7_T9_mT8_S1C_bDpT10_ENKUlT_T0_E_clISt17integral_constantIbLb0EES1P_EEDaS1K_S1L_EUlS1K_E_NS1_11comp_targetILNS1_3genE10ELNS1_11target_archE1200ELNS1_3gpuE4ELNS1_3repE0EEENS1_30default_config_static_selectorELNS0_4arch9wavefront6targetE0EEEvSY_
; %bb.0:
	.section	.rodata,"a",@progbits
	.p2align	6, 0x0
	.amdhsa_kernel _ZN7rocprim17ROCPRIM_400000_NS6detail17trampoline_kernelINS0_13select_configILj256ELj13ELNS0_17block_load_methodE3ELS4_3ELS4_3ELNS0_20block_scan_algorithmE0ELj4294967295EEENS1_25partition_config_selectorILNS1_17partition_subalgoE3EjNS0_10empty_typeEbEEZZNS1_14partition_implILS8_3ELb0ES6_jNS0_17counting_iteratorIjlEEPS9_SE_NS0_5tupleIJPjSE_EEENSF_IJSE_SE_EEES9_SG_JZNS1_25segmented_radix_sort_implINS0_14default_configELb0EPKhPhPKlPlN2at6native12_GLOBAL__N_18offset_tEEE10hipError_tPvRmT1_PNSt15iterator_traitsISY_E10value_typeET2_T3_PNSZ_IS14_E10value_typeET4_jRbjT5_S1A_jjP12ihipStream_tbEUljE_EEESV_SW_SX_S14_S18_S1A_T6_T7_T9_mT8_S1C_bDpT10_ENKUlT_T0_E_clISt17integral_constantIbLb0EES1P_EEDaS1K_S1L_EUlS1K_E_NS1_11comp_targetILNS1_3genE10ELNS1_11target_archE1200ELNS1_3gpuE4ELNS1_3repE0EEENS1_30default_config_static_selectorELNS0_4arch9wavefront6targetE0EEEvSY_
		.amdhsa_group_segment_fixed_size 0
		.amdhsa_private_segment_fixed_size 0
		.amdhsa_kernarg_size 144
		.amdhsa_user_sgpr_count 6
		.amdhsa_user_sgpr_private_segment_buffer 1
		.amdhsa_user_sgpr_dispatch_ptr 0
		.amdhsa_user_sgpr_queue_ptr 0
		.amdhsa_user_sgpr_kernarg_segment_ptr 1
		.amdhsa_user_sgpr_dispatch_id 0
		.amdhsa_user_sgpr_flat_scratch_init 0
		.amdhsa_user_sgpr_private_segment_size 0
		.amdhsa_wavefront_size32 1
		.amdhsa_uses_dynamic_stack 0
		.amdhsa_system_sgpr_private_segment_wavefront_offset 0
		.amdhsa_system_sgpr_workgroup_id_x 1
		.amdhsa_system_sgpr_workgroup_id_y 0
		.amdhsa_system_sgpr_workgroup_id_z 0
		.amdhsa_system_sgpr_workgroup_info 0
		.amdhsa_system_vgpr_workitem_id 0
		.amdhsa_next_free_vgpr 1
		.amdhsa_next_free_sgpr 1
		.amdhsa_reserve_vcc 0
		.amdhsa_reserve_flat_scratch 0
		.amdhsa_float_round_mode_32 0
		.amdhsa_float_round_mode_16_64 0
		.amdhsa_float_denorm_mode_32 3
		.amdhsa_float_denorm_mode_16_64 3
		.amdhsa_dx10_clamp 1
		.amdhsa_ieee_mode 1
		.amdhsa_fp16_overflow 0
		.amdhsa_workgroup_processor_mode 1
		.amdhsa_memory_ordered 1
		.amdhsa_forward_progress 1
		.amdhsa_shared_vgpr_count 0
		.amdhsa_exception_fp_ieee_invalid_op 0
		.amdhsa_exception_fp_denorm_src 0
		.amdhsa_exception_fp_ieee_div_zero 0
		.amdhsa_exception_fp_ieee_overflow 0
		.amdhsa_exception_fp_ieee_underflow 0
		.amdhsa_exception_fp_ieee_inexact 0
		.amdhsa_exception_int_div_zero 0
	.end_amdhsa_kernel
	.section	.text._ZN7rocprim17ROCPRIM_400000_NS6detail17trampoline_kernelINS0_13select_configILj256ELj13ELNS0_17block_load_methodE3ELS4_3ELS4_3ELNS0_20block_scan_algorithmE0ELj4294967295EEENS1_25partition_config_selectorILNS1_17partition_subalgoE3EjNS0_10empty_typeEbEEZZNS1_14partition_implILS8_3ELb0ES6_jNS0_17counting_iteratorIjlEEPS9_SE_NS0_5tupleIJPjSE_EEENSF_IJSE_SE_EEES9_SG_JZNS1_25segmented_radix_sort_implINS0_14default_configELb0EPKhPhPKlPlN2at6native12_GLOBAL__N_18offset_tEEE10hipError_tPvRmT1_PNSt15iterator_traitsISY_E10value_typeET2_T3_PNSZ_IS14_E10value_typeET4_jRbjT5_S1A_jjP12ihipStream_tbEUljE_EEESV_SW_SX_S14_S18_S1A_T6_T7_T9_mT8_S1C_bDpT10_ENKUlT_T0_E_clISt17integral_constantIbLb0EES1P_EEDaS1K_S1L_EUlS1K_E_NS1_11comp_targetILNS1_3genE10ELNS1_11target_archE1200ELNS1_3gpuE4ELNS1_3repE0EEENS1_30default_config_static_selectorELNS0_4arch9wavefront6targetE0EEEvSY_,"axG",@progbits,_ZN7rocprim17ROCPRIM_400000_NS6detail17trampoline_kernelINS0_13select_configILj256ELj13ELNS0_17block_load_methodE3ELS4_3ELS4_3ELNS0_20block_scan_algorithmE0ELj4294967295EEENS1_25partition_config_selectorILNS1_17partition_subalgoE3EjNS0_10empty_typeEbEEZZNS1_14partition_implILS8_3ELb0ES6_jNS0_17counting_iteratorIjlEEPS9_SE_NS0_5tupleIJPjSE_EEENSF_IJSE_SE_EEES9_SG_JZNS1_25segmented_radix_sort_implINS0_14default_configELb0EPKhPhPKlPlN2at6native12_GLOBAL__N_18offset_tEEE10hipError_tPvRmT1_PNSt15iterator_traitsISY_E10value_typeET2_T3_PNSZ_IS14_E10value_typeET4_jRbjT5_S1A_jjP12ihipStream_tbEUljE_EEESV_SW_SX_S14_S18_S1A_T6_T7_T9_mT8_S1C_bDpT10_ENKUlT_T0_E_clISt17integral_constantIbLb0EES1P_EEDaS1K_S1L_EUlS1K_E_NS1_11comp_targetILNS1_3genE10ELNS1_11target_archE1200ELNS1_3gpuE4ELNS1_3repE0EEENS1_30default_config_static_selectorELNS0_4arch9wavefront6targetE0EEEvSY_,comdat
.Lfunc_end158:
	.size	_ZN7rocprim17ROCPRIM_400000_NS6detail17trampoline_kernelINS0_13select_configILj256ELj13ELNS0_17block_load_methodE3ELS4_3ELS4_3ELNS0_20block_scan_algorithmE0ELj4294967295EEENS1_25partition_config_selectorILNS1_17partition_subalgoE3EjNS0_10empty_typeEbEEZZNS1_14partition_implILS8_3ELb0ES6_jNS0_17counting_iteratorIjlEEPS9_SE_NS0_5tupleIJPjSE_EEENSF_IJSE_SE_EEES9_SG_JZNS1_25segmented_radix_sort_implINS0_14default_configELb0EPKhPhPKlPlN2at6native12_GLOBAL__N_18offset_tEEE10hipError_tPvRmT1_PNSt15iterator_traitsISY_E10value_typeET2_T3_PNSZ_IS14_E10value_typeET4_jRbjT5_S1A_jjP12ihipStream_tbEUljE_EEESV_SW_SX_S14_S18_S1A_T6_T7_T9_mT8_S1C_bDpT10_ENKUlT_T0_E_clISt17integral_constantIbLb0EES1P_EEDaS1K_S1L_EUlS1K_E_NS1_11comp_targetILNS1_3genE10ELNS1_11target_archE1200ELNS1_3gpuE4ELNS1_3repE0EEENS1_30default_config_static_selectorELNS0_4arch9wavefront6targetE0EEEvSY_, .Lfunc_end158-_ZN7rocprim17ROCPRIM_400000_NS6detail17trampoline_kernelINS0_13select_configILj256ELj13ELNS0_17block_load_methodE3ELS4_3ELS4_3ELNS0_20block_scan_algorithmE0ELj4294967295EEENS1_25partition_config_selectorILNS1_17partition_subalgoE3EjNS0_10empty_typeEbEEZZNS1_14partition_implILS8_3ELb0ES6_jNS0_17counting_iteratorIjlEEPS9_SE_NS0_5tupleIJPjSE_EEENSF_IJSE_SE_EEES9_SG_JZNS1_25segmented_radix_sort_implINS0_14default_configELb0EPKhPhPKlPlN2at6native12_GLOBAL__N_18offset_tEEE10hipError_tPvRmT1_PNSt15iterator_traitsISY_E10value_typeET2_T3_PNSZ_IS14_E10value_typeET4_jRbjT5_S1A_jjP12ihipStream_tbEUljE_EEESV_SW_SX_S14_S18_S1A_T6_T7_T9_mT8_S1C_bDpT10_ENKUlT_T0_E_clISt17integral_constantIbLb0EES1P_EEDaS1K_S1L_EUlS1K_E_NS1_11comp_targetILNS1_3genE10ELNS1_11target_archE1200ELNS1_3gpuE4ELNS1_3repE0EEENS1_30default_config_static_selectorELNS0_4arch9wavefront6targetE0EEEvSY_
                                        ; -- End function
	.set _ZN7rocprim17ROCPRIM_400000_NS6detail17trampoline_kernelINS0_13select_configILj256ELj13ELNS0_17block_load_methodE3ELS4_3ELS4_3ELNS0_20block_scan_algorithmE0ELj4294967295EEENS1_25partition_config_selectorILNS1_17partition_subalgoE3EjNS0_10empty_typeEbEEZZNS1_14partition_implILS8_3ELb0ES6_jNS0_17counting_iteratorIjlEEPS9_SE_NS0_5tupleIJPjSE_EEENSF_IJSE_SE_EEES9_SG_JZNS1_25segmented_radix_sort_implINS0_14default_configELb0EPKhPhPKlPlN2at6native12_GLOBAL__N_18offset_tEEE10hipError_tPvRmT1_PNSt15iterator_traitsISY_E10value_typeET2_T3_PNSZ_IS14_E10value_typeET4_jRbjT5_S1A_jjP12ihipStream_tbEUljE_EEESV_SW_SX_S14_S18_S1A_T6_T7_T9_mT8_S1C_bDpT10_ENKUlT_T0_E_clISt17integral_constantIbLb0EES1P_EEDaS1K_S1L_EUlS1K_E_NS1_11comp_targetILNS1_3genE10ELNS1_11target_archE1200ELNS1_3gpuE4ELNS1_3repE0EEENS1_30default_config_static_selectorELNS0_4arch9wavefront6targetE0EEEvSY_.num_vgpr, 0
	.set _ZN7rocprim17ROCPRIM_400000_NS6detail17trampoline_kernelINS0_13select_configILj256ELj13ELNS0_17block_load_methodE3ELS4_3ELS4_3ELNS0_20block_scan_algorithmE0ELj4294967295EEENS1_25partition_config_selectorILNS1_17partition_subalgoE3EjNS0_10empty_typeEbEEZZNS1_14partition_implILS8_3ELb0ES6_jNS0_17counting_iteratorIjlEEPS9_SE_NS0_5tupleIJPjSE_EEENSF_IJSE_SE_EEES9_SG_JZNS1_25segmented_radix_sort_implINS0_14default_configELb0EPKhPhPKlPlN2at6native12_GLOBAL__N_18offset_tEEE10hipError_tPvRmT1_PNSt15iterator_traitsISY_E10value_typeET2_T3_PNSZ_IS14_E10value_typeET4_jRbjT5_S1A_jjP12ihipStream_tbEUljE_EEESV_SW_SX_S14_S18_S1A_T6_T7_T9_mT8_S1C_bDpT10_ENKUlT_T0_E_clISt17integral_constantIbLb0EES1P_EEDaS1K_S1L_EUlS1K_E_NS1_11comp_targetILNS1_3genE10ELNS1_11target_archE1200ELNS1_3gpuE4ELNS1_3repE0EEENS1_30default_config_static_selectorELNS0_4arch9wavefront6targetE0EEEvSY_.num_agpr, 0
	.set _ZN7rocprim17ROCPRIM_400000_NS6detail17trampoline_kernelINS0_13select_configILj256ELj13ELNS0_17block_load_methodE3ELS4_3ELS4_3ELNS0_20block_scan_algorithmE0ELj4294967295EEENS1_25partition_config_selectorILNS1_17partition_subalgoE3EjNS0_10empty_typeEbEEZZNS1_14partition_implILS8_3ELb0ES6_jNS0_17counting_iteratorIjlEEPS9_SE_NS0_5tupleIJPjSE_EEENSF_IJSE_SE_EEES9_SG_JZNS1_25segmented_radix_sort_implINS0_14default_configELb0EPKhPhPKlPlN2at6native12_GLOBAL__N_18offset_tEEE10hipError_tPvRmT1_PNSt15iterator_traitsISY_E10value_typeET2_T3_PNSZ_IS14_E10value_typeET4_jRbjT5_S1A_jjP12ihipStream_tbEUljE_EEESV_SW_SX_S14_S18_S1A_T6_T7_T9_mT8_S1C_bDpT10_ENKUlT_T0_E_clISt17integral_constantIbLb0EES1P_EEDaS1K_S1L_EUlS1K_E_NS1_11comp_targetILNS1_3genE10ELNS1_11target_archE1200ELNS1_3gpuE4ELNS1_3repE0EEENS1_30default_config_static_selectorELNS0_4arch9wavefront6targetE0EEEvSY_.numbered_sgpr, 0
	.set _ZN7rocprim17ROCPRIM_400000_NS6detail17trampoline_kernelINS0_13select_configILj256ELj13ELNS0_17block_load_methodE3ELS4_3ELS4_3ELNS0_20block_scan_algorithmE0ELj4294967295EEENS1_25partition_config_selectorILNS1_17partition_subalgoE3EjNS0_10empty_typeEbEEZZNS1_14partition_implILS8_3ELb0ES6_jNS0_17counting_iteratorIjlEEPS9_SE_NS0_5tupleIJPjSE_EEENSF_IJSE_SE_EEES9_SG_JZNS1_25segmented_radix_sort_implINS0_14default_configELb0EPKhPhPKlPlN2at6native12_GLOBAL__N_18offset_tEEE10hipError_tPvRmT1_PNSt15iterator_traitsISY_E10value_typeET2_T3_PNSZ_IS14_E10value_typeET4_jRbjT5_S1A_jjP12ihipStream_tbEUljE_EEESV_SW_SX_S14_S18_S1A_T6_T7_T9_mT8_S1C_bDpT10_ENKUlT_T0_E_clISt17integral_constantIbLb0EES1P_EEDaS1K_S1L_EUlS1K_E_NS1_11comp_targetILNS1_3genE10ELNS1_11target_archE1200ELNS1_3gpuE4ELNS1_3repE0EEENS1_30default_config_static_selectorELNS0_4arch9wavefront6targetE0EEEvSY_.num_named_barrier, 0
	.set _ZN7rocprim17ROCPRIM_400000_NS6detail17trampoline_kernelINS0_13select_configILj256ELj13ELNS0_17block_load_methodE3ELS4_3ELS4_3ELNS0_20block_scan_algorithmE0ELj4294967295EEENS1_25partition_config_selectorILNS1_17partition_subalgoE3EjNS0_10empty_typeEbEEZZNS1_14partition_implILS8_3ELb0ES6_jNS0_17counting_iteratorIjlEEPS9_SE_NS0_5tupleIJPjSE_EEENSF_IJSE_SE_EEES9_SG_JZNS1_25segmented_radix_sort_implINS0_14default_configELb0EPKhPhPKlPlN2at6native12_GLOBAL__N_18offset_tEEE10hipError_tPvRmT1_PNSt15iterator_traitsISY_E10value_typeET2_T3_PNSZ_IS14_E10value_typeET4_jRbjT5_S1A_jjP12ihipStream_tbEUljE_EEESV_SW_SX_S14_S18_S1A_T6_T7_T9_mT8_S1C_bDpT10_ENKUlT_T0_E_clISt17integral_constantIbLb0EES1P_EEDaS1K_S1L_EUlS1K_E_NS1_11comp_targetILNS1_3genE10ELNS1_11target_archE1200ELNS1_3gpuE4ELNS1_3repE0EEENS1_30default_config_static_selectorELNS0_4arch9wavefront6targetE0EEEvSY_.private_seg_size, 0
	.set _ZN7rocprim17ROCPRIM_400000_NS6detail17trampoline_kernelINS0_13select_configILj256ELj13ELNS0_17block_load_methodE3ELS4_3ELS4_3ELNS0_20block_scan_algorithmE0ELj4294967295EEENS1_25partition_config_selectorILNS1_17partition_subalgoE3EjNS0_10empty_typeEbEEZZNS1_14partition_implILS8_3ELb0ES6_jNS0_17counting_iteratorIjlEEPS9_SE_NS0_5tupleIJPjSE_EEENSF_IJSE_SE_EEES9_SG_JZNS1_25segmented_radix_sort_implINS0_14default_configELb0EPKhPhPKlPlN2at6native12_GLOBAL__N_18offset_tEEE10hipError_tPvRmT1_PNSt15iterator_traitsISY_E10value_typeET2_T3_PNSZ_IS14_E10value_typeET4_jRbjT5_S1A_jjP12ihipStream_tbEUljE_EEESV_SW_SX_S14_S18_S1A_T6_T7_T9_mT8_S1C_bDpT10_ENKUlT_T0_E_clISt17integral_constantIbLb0EES1P_EEDaS1K_S1L_EUlS1K_E_NS1_11comp_targetILNS1_3genE10ELNS1_11target_archE1200ELNS1_3gpuE4ELNS1_3repE0EEENS1_30default_config_static_selectorELNS0_4arch9wavefront6targetE0EEEvSY_.uses_vcc, 0
	.set _ZN7rocprim17ROCPRIM_400000_NS6detail17trampoline_kernelINS0_13select_configILj256ELj13ELNS0_17block_load_methodE3ELS4_3ELS4_3ELNS0_20block_scan_algorithmE0ELj4294967295EEENS1_25partition_config_selectorILNS1_17partition_subalgoE3EjNS0_10empty_typeEbEEZZNS1_14partition_implILS8_3ELb0ES6_jNS0_17counting_iteratorIjlEEPS9_SE_NS0_5tupleIJPjSE_EEENSF_IJSE_SE_EEES9_SG_JZNS1_25segmented_radix_sort_implINS0_14default_configELb0EPKhPhPKlPlN2at6native12_GLOBAL__N_18offset_tEEE10hipError_tPvRmT1_PNSt15iterator_traitsISY_E10value_typeET2_T3_PNSZ_IS14_E10value_typeET4_jRbjT5_S1A_jjP12ihipStream_tbEUljE_EEESV_SW_SX_S14_S18_S1A_T6_T7_T9_mT8_S1C_bDpT10_ENKUlT_T0_E_clISt17integral_constantIbLb0EES1P_EEDaS1K_S1L_EUlS1K_E_NS1_11comp_targetILNS1_3genE10ELNS1_11target_archE1200ELNS1_3gpuE4ELNS1_3repE0EEENS1_30default_config_static_selectorELNS0_4arch9wavefront6targetE0EEEvSY_.uses_flat_scratch, 0
	.set _ZN7rocprim17ROCPRIM_400000_NS6detail17trampoline_kernelINS0_13select_configILj256ELj13ELNS0_17block_load_methodE3ELS4_3ELS4_3ELNS0_20block_scan_algorithmE0ELj4294967295EEENS1_25partition_config_selectorILNS1_17partition_subalgoE3EjNS0_10empty_typeEbEEZZNS1_14partition_implILS8_3ELb0ES6_jNS0_17counting_iteratorIjlEEPS9_SE_NS0_5tupleIJPjSE_EEENSF_IJSE_SE_EEES9_SG_JZNS1_25segmented_radix_sort_implINS0_14default_configELb0EPKhPhPKlPlN2at6native12_GLOBAL__N_18offset_tEEE10hipError_tPvRmT1_PNSt15iterator_traitsISY_E10value_typeET2_T3_PNSZ_IS14_E10value_typeET4_jRbjT5_S1A_jjP12ihipStream_tbEUljE_EEESV_SW_SX_S14_S18_S1A_T6_T7_T9_mT8_S1C_bDpT10_ENKUlT_T0_E_clISt17integral_constantIbLb0EES1P_EEDaS1K_S1L_EUlS1K_E_NS1_11comp_targetILNS1_3genE10ELNS1_11target_archE1200ELNS1_3gpuE4ELNS1_3repE0EEENS1_30default_config_static_selectorELNS0_4arch9wavefront6targetE0EEEvSY_.has_dyn_sized_stack, 0
	.set _ZN7rocprim17ROCPRIM_400000_NS6detail17trampoline_kernelINS0_13select_configILj256ELj13ELNS0_17block_load_methodE3ELS4_3ELS4_3ELNS0_20block_scan_algorithmE0ELj4294967295EEENS1_25partition_config_selectorILNS1_17partition_subalgoE3EjNS0_10empty_typeEbEEZZNS1_14partition_implILS8_3ELb0ES6_jNS0_17counting_iteratorIjlEEPS9_SE_NS0_5tupleIJPjSE_EEENSF_IJSE_SE_EEES9_SG_JZNS1_25segmented_radix_sort_implINS0_14default_configELb0EPKhPhPKlPlN2at6native12_GLOBAL__N_18offset_tEEE10hipError_tPvRmT1_PNSt15iterator_traitsISY_E10value_typeET2_T3_PNSZ_IS14_E10value_typeET4_jRbjT5_S1A_jjP12ihipStream_tbEUljE_EEESV_SW_SX_S14_S18_S1A_T6_T7_T9_mT8_S1C_bDpT10_ENKUlT_T0_E_clISt17integral_constantIbLb0EES1P_EEDaS1K_S1L_EUlS1K_E_NS1_11comp_targetILNS1_3genE10ELNS1_11target_archE1200ELNS1_3gpuE4ELNS1_3repE0EEENS1_30default_config_static_selectorELNS0_4arch9wavefront6targetE0EEEvSY_.has_recursion, 0
	.set _ZN7rocprim17ROCPRIM_400000_NS6detail17trampoline_kernelINS0_13select_configILj256ELj13ELNS0_17block_load_methodE3ELS4_3ELS4_3ELNS0_20block_scan_algorithmE0ELj4294967295EEENS1_25partition_config_selectorILNS1_17partition_subalgoE3EjNS0_10empty_typeEbEEZZNS1_14partition_implILS8_3ELb0ES6_jNS0_17counting_iteratorIjlEEPS9_SE_NS0_5tupleIJPjSE_EEENSF_IJSE_SE_EEES9_SG_JZNS1_25segmented_radix_sort_implINS0_14default_configELb0EPKhPhPKlPlN2at6native12_GLOBAL__N_18offset_tEEE10hipError_tPvRmT1_PNSt15iterator_traitsISY_E10value_typeET2_T3_PNSZ_IS14_E10value_typeET4_jRbjT5_S1A_jjP12ihipStream_tbEUljE_EEESV_SW_SX_S14_S18_S1A_T6_T7_T9_mT8_S1C_bDpT10_ENKUlT_T0_E_clISt17integral_constantIbLb0EES1P_EEDaS1K_S1L_EUlS1K_E_NS1_11comp_targetILNS1_3genE10ELNS1_11target_archE1200ELNS1_3gpuE4ELNS1_3repE0EEENS1_30default_config_static_selectorELNS0_4arch9wavefront6targetE0EEEvSY_.has_indirect_call, 0
	.section	.AMDGPU.csdata,"",@progbits
; Kernel info:
; codeLenInByte = 0
; TotalNumSgprs: 0
; NumVgprs: 0
; ScratchSize: 0
; MemoryBound: 0
; FloatMode: 240
; IeeeMode: 1
; LDSByteSize: 0 bytes/workgroup (compile time only)
; SGPRBlocks: 0
; VGPRBlocks: 0
; NumSGPRsForWavesPerEU: 1
; NumVGPRsForWavesPerEU: 1
; Occupancy: 16
; WaveLimiterHint : 0
; COMPUTE_PGM_RSRC2:SCRATCH_EN: 0
; COMPUTE_PGM_RSRC2:USER_SGPR: 6
; COMPUTE_PGM_RSRC2:TRAP_HANDLER: 0
; COMPUTE_PGM_RSRC2:TGID_X_EN: 1
; COMPUTE_PGM_RSRC2:TGID_Y_EN: 0
; COMPUTE_PGM_RSRC2:TGID_Z_EN: 0
; COMPUTE_PGM_RSRC2:TIDIG_COMP_CNT: 0
	.section	.text._ZN7rocprim17ROCPRIM_400000_NS6detail17trampoline_kernelINS0_13select_configILj256ELj13ELNS0_17block_load_methodE3ELS4_3ELS4_3ELNS0_20block_scan_algorithmE0ELj4294967295EEENS1_25partition_config_selectorILNS1_17partition_subalgoE3EjNS0_10empty_typeEbEEZZNS1_14partition_implILS8_3ELb0ES6_jNS0_17counting_iteratorIjlEEPS9_SE_NS0_5tupleIJPjSE_EEENSF_IJSE_SE_EEES9_SG_JZNS1_25segmented_radix_sort_implINS0_14default_configELb0EPKhPhPKlPlN2at6native12_GLOBAL__N_18offset_tEEE10hipError_tPvRmT1_PNSt15iterator_traitsISY_E10value_typeET2_T3_PNSZ_IS14_E10value_typeET4_jRbjT5_S1A_jjP12ihipStream_tbEUljE_EEESV_SW_SX_S14_S18_S1A_T6_T7_T9_mT8_S1C_bDpT10_ENKUlT_T0_E_clISt17integral_constantIbLb0EES1P_EEDaS1K_S1L_EUlS1K_E_NS1_11comp_targetILNS1_3genE9ELNS1_11target_archE1100ELNS1_3gpuE3ELNS1_3repE0EEENS1_30default_config_static_selectorELNS0_4arch9wavefront6targetE0EEEvSY_,"axG",@progbits,_ZN7rocprim17ROCPRIM_400000_NS6detail17trampoline_kernelINS0_13select_configILj256ELj13ELNS0_17block_load_methodE3ELS4_3ELS4_3ELNS0_20block_scan_algorithmE0ELj4294967295EEENS1_25partition_config_selectorILNS1_17partition_subalgoE3EjNS0_10empty_typeEbEEZZNS1_14partition_implILS8_3ELb0ES6_jNS0_17counting_iteratorIjlEEPS9_SE_NS0_5tupleIJPjSE_EEENSF_IJSE_SE_EEES9_SG_JZNS1_25segmented_radix_sort_implINS0_14default_configELb0EPKhPhPKlPlN2at6native12_GLOBAL__N_18offset_tEEE10hipError_tPvRmT1_PNSt15iterator_traitsISY_E10value_typeET2_T3_PNSZ_IS14_E10value_typeET4_jRbjT5_S1A_jjP12ihipStream_tbEUljE_EEESV_SW_SX_S14_S18_S1A_T6_T7_T9_mT8_S1C_bDpT10_ENKUlT_T0_E_clISt17integral_constantIbLb0EES1P_EEDaS1K_S1L_EUlS1K_E_NS1_11comp_targetILNS1_3genE9ELNS1_11target_archE1100ELNS1_3gpuE3ELNS1_3repE0EEENS1_30default_config_static_selectorELNS0_4arch9wavefront6targetE0EEEvSY_,comdat
	.globl	_ZN7rocprim17ROCPRIM_400000_NS6detail17trampoline_kernelINS0_13select_configILj256ELj13ELNS0_17block_load_methodE3ELS4_3ELS4_3ELNS0_20block_scan_algorithmE0ELj4294967295EEENS1_25partition_config_selectorILNS1_17partition_subalgoE3EjNS0_10empty_typeEbEEZZNS1_14partition_implILS8_3ELb0ES6_jNS0_17counting_iteratorIjlEEPS9_SE_NS0_5tupleIJPjSE_EEENSF_IJSE_SE_EEES9_SG_JZNS1_25segmented_radix_sort_implINS0_14default_configELb0EPKhPhPKlPlN2at6native12_GLOBAL__N_18offset_tEEE10hipError_tPvRmT1_PNSt15iterator_traitsISY_E10value_typeET2_T3_PNSZ_IS14_E10value_typeET4_jRbjT5_S1A_jjP12ihipStream_tbEUljE_EEESV_SW_SX_S14_S18_S1A_T6_T7_T9_mT8_S1C_bDpT10_ENKUlT_T0_E_clISt17integral_constantIbLb0EES1P_EEDaS1K_S1L_EUlS1K_E_NS1_11comp_targetILNS1_3genE9ELNS1_11target_archE1100ELNS1_3gpuE3ELNS1_3repE0EEENS1_30default_config_static_selectorELNS0_4arch9wavefront6targetE0EEEvSY_ ; -- Begin function _ZN7rocprim17ROCPRIM_400000_NS6detail17trampoline_kernelINS0_13select_configILj256ELj13ELNS0_17block_load_methodE3ELS4_3ELS4_3ELNS0_20block_scan_algorithmE0ELj4294967295EEENS1_25partition_config_selectorILNS1_17partition_subalgoE3EjNS0_10empty_typeEbEEZZNS1_14partition_implILS8_3ELb0ES6_jNS0_17counting_iteratorIjlEEPS9_SE_NS0_5tupleIJPjSE_EEENSF_IJSE_SE_EEES9_SG_JZNS1_25segmented_radix_sort_implINS0_14default_configELb0EPKhPhPKlPlN2at6native12_GLOBAL__N_18offset_tEEE10hipError_tPvRmT1_PNSt15iterator_traitsISY_E10value_typeET2_T3_PNSZ_IS14_E10value_typeET4_jRbjT5_S1A_jjP12ihipStream_tbEUljE_EEESV_SW_SX_S14_S18_S1A_T6_T7_T9_mT8_S1C_bDpT10_ENKUlT_T0_E_clISt17integral_constantIbLb0EES1P_EEDaS1K_S1L_EUlS1K_E_NS1_11comp_targetILNS1_3genE9ELNS1_11target_archE1100ELNS1_3gpuE3ELNS1_3repE0EEENS1_30default_config_static_selectorELNS0_4arch9wavefront6targetE0EEEvSY_
	.p2align	8
	.type	_ZN7rocprim17ROCPRIM_400000_NS6detail17trampoline_kernelINS0_13select_configILj256ELj13ELNS0_17block_load_methodE3ELS4_3ELS4_3ELNS0_20block_scan_algorithmE0ELj4294967295EEENS1_25partition_config_selectorILNS1_17partition_subalgoE3EjNS0_10empty_typeEbEEZZNS1_14partition_implILS8_3ELb0ES6_jNS0_17counting_iteratorIjlEEPS9_SE_NS0_5tupleIJPjSE_EEENSF_IJSE_SE_EEES9_SG_JZNS1_25segmented_radix_sort_implINS0_14default_configELb0EPKhPhPKlPlN2at6native12_GLOBAL__N_18offset_tEEE10hipError_tPvRmT1_PNSt15iterator_traitsISY_E10value_typeET2_T3_PNSZ_IS14_E10value_typeET4_jRbjT5_S1A_jjP12ihipStream_tbEUljE_EEESV_SW_SX_S14_S18_S1A_T6_T7_T9_mT8_S1C_bDpT10_ENKUlT_T0_E_clISt17integral_constantIbLb0EES1P_EEDaS1K_S1L_EUlS1K_E_NS1_11comp_targetILNS1_3genE9ELNS1_11target_archE1100ELNS1_3gpuE3ELNS1_3repE0EEENS1_30default_config_static_selectorELNS0_4arch9wavefront6targetE0EEEvSY_,@function
_ZN7rocprim17ROCPRIM_400000_NS6detail17trampoline_kernelINS0_13select_configILj256ELj13ELNS0_17block_load_methodE3ELS4_3ELS4_3ELNS0_20block_scan_algorithmE0ELj4294967295EEENS1_25partition_config_selectorILNS1_17partition_subalgoE3EjNS0_10empty_typeEbEEZZNS1_14partition_implILS8_3ELb0ES6_jNS0_17counting_iteratorIjlEEPS9_SE_NS0_5tupleIJPjSE_EEENSF_IJSE_SE_EEES9_SG_JZNS1_25segmented_radix_sort_implINS0_14default_configELb0EPKhPhPKlPlN2at6native12_GLOBAL__N_18offset_tEEE10hipError_tPvRmT1_PNSt15iterator_traitsISY_E10value_typeET2_T3_PNSZ_IS14_E10value_typeET4_jRbjT5_S1A_jjP12ihipStream_tbEUljE_EEESV_SW_SX_S14_S18_S1A_T6_T7_T9_mT8_S1C_bDpT10_ENKUlT_T0_E_clISt17integral_constantIbLb0EES1P_EEDaS1K_S1L_EUlS1K_E_NS1_11comp_targetILNS1_3genE9ELNS1_11target_archE1100ELNS1_3gpuE3ELNS1_3repE0EEENS1_30default_config_static_selectorELNS0_4arch9wavefront6targetE0EEEvSY_: ; @_ZN7rocprim17ROCPRIM_400000_NS6detail17trampoline_kernelINS0_13select_configILj256ELj13ELNS0_17block_load_methodE3ELS4_3ELS4_3ELNS0_20block_scan_algorithmE0ELj4294967295EEENS1_25partition_config_selectorILNS1_17partition_subalgoE3EjNS0_10empty_typeEbEEZZNS1_14partition_implILS8_3ELb0ES6_jNS0_17counting_iteratorIjlEEPS9_SE_NS0_5tupleIJPjSE_EEENSF_IJSE_SE_EEES9_SG_JZNS1_25segmented_radix_sort_implINS0_14default_configELb0EPKhPhPKlPlN2at6native12_GLOBAL__N_18offset_tEEE10hipError_tPvRmT1_PNSt15iterator_traitsISY_E10value_typeET2_T3_PNSZ_IS14_E10value_typeET4_jRbjT5_S1A_jjP12ihipStream_tbEUljE_EEESV_SW_SX_S14_S18_S1A_T6_T7_T9_mT8_S1C_bDpT10_ENKUlT_T0_E_clISt17integral_constantIbLb0EES1P_EEDaS1K_S1L_EUlS1K_E_NS1_11comp_targetILNS1_3genE9ELNS1_11target_archE1100ELNS1_3gpuE3ELNS1_3repE0EEENS1_30default_config_static_selectorELNS0_4arch9wavefront6targetE0EEEvSY_
; %bb.0:
	.section	.rodata,"a",@progbits
	.p2align	6, 0x0
	.amdhsa_kernel _ZN7rocprim17ROCPRIM_400000_NS6detail17trampoline_kernelINS0_13select_configILj256ELj13ELNS0_17block_load_methodE3ELS4_3ELS4_3ELNS0_20block_scan_algorithmE0ELj4294967295EEENS1_25partition_config_selectorILNS1_17partition_subalgoE3EjNS0_10empty_typeEbEEZZNS1_14partition_implILS8_3ELb0ES6_jNS0_17counting_iteratorIjlEEPS9_SE_NS0_5tupleIJPjSE_EEENSF_IJSE_SE_EEES9_SG_JZNS1_25segmented_radix_sort_implINS0_14default_configELb0EPKhPhPKlPlN2at6native12_GLOBAL__N_18offset_tEEE10hipError_tPvRmT1_PNSt15iterator_traitsISY_E10value_typeET2_T3_PNSZ_IS14_E10value_typeET4_jRbjT5_S1A_jjP12ihipStream_tbEUljE_EEESV_SW_SX_S14_S18_S1A_T6_T7_T9_mT8_S1C_bDpT10_ENKUlT_T0_E_clISt17integral_constantIbLb0EES1P_EEDaS1K_S1L_EUlS1K_E_NS1_11comp_targetILNS1_3genE9ELNS1_11target_archE1100ELNS1_3gpuE3ELNS1_3repE0EEENS1_30default_config_static_selectorELNS0_4arch9wavefront6targetE0EEEvSY_
		.amdhsa_group_segment_fixed_size 0
		.amdhsa_private_segment_fixed_size 0
		.amdhsa_kernarg_size 144
		.amdhsa_user_sgpr_count 6
		.amdhsa_user_sgpr_private_segment_buffer 1
		.amdhsa_user_sgpr_dispatch_ptr 0
		.amdhsa_user_sgpr_queue_ptr 0
		.amdhsa_user_sgpr_kernarg_segment_ptr 1
		.amdhsa_user_sgpr_dispatch_id 0
		.amdhsa_user_sgpr_flat_scratch_init 0
		.amdhsa_user_sgpr_private_segment_size 0
		.amdhsa_wavefront_size32 1
		.amdhsa_uses_dynamic_stack 0
		.amdhsa_system_sgpr_private_segment_wavefront_offset 0
		.amdhsa_system_sgpr_workgroup_id_x 1
		.amdhsa_system_sgpr_workgroup_id_y 0
		.amdhsa_system_sgpr_workgroup_id_z 0
		.amdhsa_system_sgpr_workgroup_info 0
		.amdhsa_system_vgpr_workitem_id 0
		.amdhsa_next_free_vgpr 1
		.amdhsa_next_free_sgpr 1
		.amdhsa_reserve_vcc 0
		.amdhsa_reserve_flat_scratch 0
		.amdhsa_float_round_mode_32 0
		.amdhsa_float_round_mode_16_64 0
		.amdhsa_float_denorm_mode_32 3
		.amdhsa_float_denorm_mode_16_64 3
		.amdhsa_dx10_clamp 1
		.amdhsa_ieee_mode 1
		.amdhsa_fp16_overflow 0
		.amdhsa_workgroup_processor_mode 1
		.amdhsa_memory_ordered 1
		.amdhsa_forward_progress 1
		.amdhsa_shared_vgpr_count 0
		.amdhsa_exception_fp_ieee_invalid_op 0
		.amdhsa_exception_fp_denorm_src 0
		.amdhsa_exception_fp_ieee_div_zero 0
		.amdhsa_exception_fp_ieee_overflow 0
		.amdhsa_exception_fp_ieee_underflow 0
		.amdhsa_exception_fp_ieee_inexact 0
		.amdhsa_exception_int_div_zero 0
	.end_amdhsa_kernel
	.section	.text._ZN7rocprim17ROCPRIM_400000_NS6detail17trampoline_kernelINS0_13select_configILj256ELj13ELNS0_17block_load_methodE3ELS4_3ELS4_3ELNS0_20block_scan_algorithmE0ELj4294967295EEENS1_25partition_config_selectorILNS1_17partition_subalgoE3EjNS0_10empty_typeEbEEZZNS1_14partition_implILS8_3ELb0ES6_jNS0_17counting_iteratorIjlEEPS9_SE_NS0_5tupleIJPjSE_EEENSF_IJSE_SE_EEES9_SG_JZNS1_25segmented_radix_sort_implINS0_14default_configELb0EPKhPhPKlPlN2at6native12_GLOBAL__N_18offset_tEEE10hipError_tPvRmT1_PNSt15iterator_traitsISY_E10value_typeET2_T3_PNSZ_IS14_E10value_typeET4_jRbjT5_S1A_jjP12ihipStream_tbEUljE_EEESV_SW_SX_S14_S18_S1A_T6_T7_T9_mT8_S1C_bDpT10_ENKUlT_T0_E_clISt17integral_constantIbLb0EES1P_EEDaS1K_S1L_EUlS1K_E_NS1_11comp_targetILNS1_3genE9ELNS1_11target_archE1100ELNS1_3gpuE3ELNS1_3repE0EEENS1_30default_config_static_selectorELNS0_4arch9wavefront6targetE0EEEvSY_,"axG",@progbits,_ZN7rocprim17ROCPRIM_400000_NS6detail17trampoline_kernelINS0_13select_configILj256ELj13ELNS0_17block_load_methodE3ELS4_3ELS4_3ELNS0_20block_scan_algorithmE0ELj4294967295EEENS1_25partition_config_selectorILNS1_17partition_subalgoE3EjNS0_10empty_typeEbEEZZNS1_14partition_implILS8_3ELb0ES6_jNS0_17counting_iteratorIjlEEPS9_SE_NS0_5tupleIJPjSE_EEENSF_IJSE_SE_EEES9_SG_JZNS1_25segmented_radix_sort_implINS0_14default_configELb0EPKhPhPKlPlN2at6native12_GLOBAL__N_18offset_tEEE10hipError_tPvRmT1_PNSt15iterator_traitsISY_E10value_typeET2_T3_PNSZ_IS14_E10value_typeET4_jRbjT5_S1A_jjP12ihipStream_tbEUljE_EEESV_SW_SX_S14_S18_S1A_T6_T7_T9_mT8_S1C_bDpT10_ENKUlT_T0_E_clISt17integral_constantIbLb0EES1P_EEDaS1K_S1L_EUlS1K_E_NS1_11comp_targetILNS1_3genE9ELNS1_11target_archE1100ELNS1_3gpuE3ELNS1_3repE0EEENS1_30default_config_static_selectorELNS0_4arch9wavefront6targetE0EEEvSY_,comdat
.Lfunc_end159:
	.size	_ZN7rocprim17ROCPRIM_400000_NS6detail17trampoline_kernelINS0_13select_configILj256ELj13ELNS0_17block_load_methodE3ELS4_3ELS4_3ELNS0_20block_scan_algorithmE0ELj4294967295EEENS1_25partition_config_selectorILNS1_17partition_subalgoE3EjNS0_10empty_typeEbEEZZNS1_14partition_implILS8_3ELb0ES6_jNS0_17counting_iteratorIjlEEPS9_SE_NS0_5tupleIJPjSE_EEENSF_IJSE_SE_EEES9_SG_JZNS1_25segmented_radix_sort_implINS0_14default_configELb0EPKhPhPKlPlN2at6native12_GLOBAL__N_18offset_tEEE10hipError_tPvRmT1_PNSt15iterator_traitsISY_E10value_typeET2_T3_PNSZ_IS14_E10value_typeET4_jRbjT5_S1A_jjP12ihipStream_tbEUljE_EEESV_SW_SX_S14_S18_S1A_T6_T7_T9_mT8_S1C_bDpT10_ENKUlT_T0_E_clISt17integral_constantIbLb0EES1P_EEDaS1K_S1L_EUlS1K_E_NS1_11comp_targetILNS1_3genE9ELNS1_11target_archE1100ELNS1_3gpuE3ELNS1_3repE0EEENS1_30default_config_static_selectorELNS0_4arch9wavefront6targetE0EEEvSY_, .Lfunc_end159-_ZN7rocprim17ROCPRIM_400000_NS6detail17trampoline_kernelINS0_13select_configILj256ELj13ELNS0_17block_load_methodE3ELS4_3ELS4_3ELNS0_20block_scan_algorithmE0ELj4294967295EEENS1_25partition_config_selectorILNS1_17partition_subalgoE3EjNS0_10empty_typeEbEEZZNS1_14partition_implILS8_3ELb0ES6_jNS0_17counting_iteratorIjlEEPS9_SE_NS0_5tupleIJPjSE_EEENSF_IJSE_SE_EEES9_SG_JZNS1_25segmented_radix_sort_implINS0_14default_configELb0EPKhPhPKlPlN2at6native12_GLOBAL__N_18offset_tEEE10hipError_tPvRmT1_PNSt15iterator_traitsISY_E10value_typeET2_T3_PNSZ_IS14_E10value_typeET4_jRbjT5_S1A_jjP12ihipStream_tbEUljE_EEESV_SW_SX_S14_S18_S1A_T6_T7_T9_mT8_S1C_bDpT10_ENKUlT_T0_E_clISt17integral_constantIbLb0EES1P_EEDaS1K_S1L_EUlS1K_E_NS1_11comp_targetILNS1_3genE9ELNS1_11target_archE1100ELNS1_3gpuE3ELNS1_3repE0EEENS1_30default_config_static_selectorELNS0_4arch9wavefront6targetE0EEEvSY_
                                        ; -- End function
	.set _ZN7rocprim17ROCPRIM_400000_NS6detail17trampoline_kernelINS0_13select_configILj256ELj13ELNS0_17block_load_methodE3ELS4_3ELS4_3ELNS0_20block_scan_algorithmE0ELj4294967295EEENS1_25partition_config_selectorILNS1_17partition_subalgoE3EjNS0_10empty_typeEbEEZZNS1_14partition_implILS8_3ELb0ES6_jNS0_17counting_iteratorIjlEEPS9_SE_NS0_5tupleIJPjSE_EEENSF_IJSE_SE_EEES9_SG_JZNS1_25segmented_radix_sort_implINS0_14default_configELb0EPKhPhPKlPlN2at6native12_GLOBAL__N_18offset_tEEE10hipError_tPvRmT1_PNSt15iterator_traitsISY_E10value_typeET2_T3_PNSZ_IS14_E10value_typeET4_jRbjT5_S1A_jjP12ihipStream_tbEUljE_EEESV_SW_SX_S14_S18_S1A_T6_T7_T9_mT8_S1C_bDpT10_ENKUlT_T0_E_clISt17integral_constantIbLb0EES1P_EEDaS1K_S1L_EUlS1K_E_NS1_11comp_targetILNS1_3genE9ELNS1_11target_archE1100ELNS1_3gpuE3ELNS1_3repE0EEENS1_30default_config_static_selectorELNS0_4arch9wavefront6targetE0EEEvSY_.num_vgpr, 0
	.set _ZN7rocprim17ROCPRIM_400000_NS6detail17trampoline_kernelINS0_13select_configILj256ELj13ELNS0_17block_load_methodE3ELS4_3ELS4_3ELNS0_20block_scan_algorithmE0ELj4294967295EEENS1_25partition_config_selectorILNS1_17partition_subalgoE3EjNS0_10empty_typeEbEEZZNS1_14partition_implILS8_3ELb0ES6_jNS0_17counting_iteratorIjlEEPS9_SE_NS0_5tupleIJPjSE_EEENSF_IJSE_SE_EEES9_SG_JZNS1_25segmented_radix_sort_implINS0_14default_configELb0EPKhPhPKlPlN2at6native12_GLOBAL__N_18offset_tEEE10hipError_tPvRmT1_PNSt15iterator_traitsISY_E10value_typeET2_T3_PNSZ_IS14_E10value_typeET4_jRbjT5_S1A_jjP12ihipStream_tbEUljE_EEESV_SW_SX_S14_S18_S1A_T6_T7_T9_mT8_S1C_bDpT10_ENKUlT_T0_E_clISt17integral_constantIbLb0EES1P_EEDaS1K_S1L_EUlS1K_E_NS1_11comp_targetILNS1_3genE9ELNS1_11target_archE1100ELNS1_3gpuE3ELNS1_3repE0EEENS1_30default_config_static_selectorELNS0_4arch9wavefront6targetE0EEEvSY_.num_agpr, 0
	.set _ZN7rocprim17ROCPRIM_400000_NS6detail17trampoline_kernelINS0_13select_configILj256ELj13ELNS0_17block_load_methodE3ELS4_3ELS4_3ELNS0_20block_scan_algorithmE0ELj4294967295EEENS1_25partition_config_selectorILNS1_17partition_subalgoE3EjNS0_10empty_typeEbEEZZNS1_14partition_implILS8_3ELb0ES6_jNS0_17counting_iteratorIjlEEPS9_SE_NS0_5tupleIJPjSE_EEENSF_IJSE_SE_EEES9_SG_JZNS1_25segmented_radix_sort_implINS0_14default_configELb0EPKhPhPKlPlN2at6native12_GLOBAL__N_18offset_tEEE10hipError_tPvRmT1_PNSt15iterator_traitsISY_E10value_typeET2_T3_PNSZ_IS14_E10value_typeET4_jRbjT5_S1A_jjP12ihipStream_tbEUljE_EEESV_SW_SX_S14_S18_S1A_T6_T7_T9_mT8_S1C_bDpT10_ENKUlT_T0_E_clISt17integral_constantIbLb0EES1P_EEDaS1K_S1L_EUlS1K_E_NS1_11comp_targetILNS1_3genE9ELNS1_11target_archE1100ELNS1_3gpuE3ELNS1_3repE0EEENS1_30default_config_static_selectorELNS0_4arch9wavefront6targetE0EEEvSY_.numbered_sgpr, 0
	.set _ZN7rocprim17ROCPRIM_400000_NS6detail17trampoline_kernelINS0_13select_configILj256ELj13ELNS0_17block_load_methodE3ELS4_3ELS4_3ELNS0_20block_scan_algorithmE0ELj4294967295EEENS1_25partition_config_selectorILNS1_17partition_subalgoE3EjNS0_10empty_typeEbEEZZNS1_14partition_implILS8_3ELb0ES6_jNS0_17counting_iteratorIjlEEPS9_SE_NS0_5tupleIJPjSE_EEENSF_IJSE_SE_EEES9_SG_JZNS1_25segmented_radix_sort_implINS0_14default_configELb0EPKhPhPKlPlN2at6native12_GLOBAL__N_18offset_tEEE10hipError_tPvRmT1_PNSt15iterator_traitsISY_E10value_typeET2_T3_PNSZ_IS14_E10value_typeET4_jRbjT5_S1A_jjP12ihipStream_tbEUljE_EEESV_SW_SX_S14_S18_S1A_T6_T7_T9_mT8_S1C_bDpT10_ENKUlT_T0_E_clISt17integral_constantIbLb0EES1P_EEDaS1K_S1L_EUlS1K_E_NS1_11comp_targetILNS1_3genE9ELNS1_11target_archE1100ELNS1_3gpuE3ELNS1_3repE0EEENS1_30default_config_static_selectorELNS0_4arch9wavefront6targetE0EEEvSY_.num_named_barrier, 0
	.set _ZN7rocprim17ROCPRIM_400000_NS6detail17trampoline_kernelINS0_13select_configILj256ELj13ELNS0_17block_load_methodE3ELS4_3ELS4_3ELNS0_20block_scan_algorithmE0ELj4294967295EEENS1_25partition_config_selectorILNS1_17partition_subalgoE3EjNS0_10empty_typeEbEEZZNS1_14partition_implILS8_3ELb0ES6_jNS0_17counting_iteratorIjlEEPS9_SE_NS0_5tupleIJPjSE_EEENSF_IJSE_SE_EEES9_SG_JZNS1_25segmented_radix_sort_implINS0_14default_configELb0EPKhPhPKlPlN2at6native12_GLOBAL__N_18offset_tEEE10hipError_tPvRmT1_PNSt15iterator_traitsISY_E10value_typeET2_T3_PNSZ_IS14_E10value_typeET4_jRbjT5_S1A_jjP12ihipStream_tbEUljE_EEESV_SW_SX_S14_S18_S1A_T6_T7_T9_mT8_S1C_bDpT10_ENKUlT_T0_E_clISt17integral_constantIbLb0EES1P_EEDaS1K_S1L_EUlS1K_E_NS1_11comp_targetILNS1_3genE9ELNS1_11target_archE1100ELNS1_3gpuE3ELNS1_3repE0EEENS1_30default_config_static_selectorELNS0_4arch9wavefront6targetE0EEEvSY_.private_seg_size, 0
	.set _ZN7rocprim17ROCPRIM_400000_NS6detail17trampoline_kernelINS0_13select_configILj256ELj13ELNS0_17block_load_methodE3ELS4_3ELS4_3ELNS0_20block_scan_algorithmE0ELj4294967295EEENS1_25partition_config_selectorILNS1_17partition_subalgoE3EjNS0_10empty_typeEbEEZZNS1_14partition_implILS8_3ELb0ES6_jNS0_17counting_iteratorIjlEEPS9_SE_NS0_5tupleIJPjSE_EEENSF_IJSE_SE_EEES9_SG_JZNS1_25segmented_radix_sort_implINS0_14default_configELb0EPKhPhPKlPlN2at6native12_GLOBAL__N_18offset_tEEE10hipError_tPvRmT1_PNSt15iterator_traitsISY_E10value_typeET2_T3_PNSZ_IS14_E10value_typeET4_jRbjT5_S1A_jjP12ihipStream_tbEUljE_EEESV_SW_SX_S14_S18_S1A_T6_T7_T9_mT8_S1C_bDpT10_ENKUlT_T0_E_clISt17integral_constantIbLb0EES1P_EEDaS1K_S1L_EUlS1K_E_NS1_11comp_targetILNS1_3genE9ELNS1_11target_archE1100ELNS1_3gpuE3ELNS1_3repE0EEENS1_30default_config_static_selectorELNS0_4arch9wavefront6targetE0EEEvSY_.uses_vcc, 0
	.set _ZN7rocprim17ROCPRIM_400000_NS6detail17trampoline_kernelINS0_13select_configILj256ELj13ELNS0_17block_load_methodE3ELS4_3ELS4_3ELNS0_20block_scan_algorithmE0ELj4294967295EEENS1_25partition_config_selectorILNS1_17partition_subalgoE3EjNS0_10empty_typeEbEEZZNS1_14partition_implILS8_3ELb0ES6_jNS0_17counting_iteratorIjlEEPS9_SE_NS0_5tupleIJPjSE_EEENSF_IJSE_SE_EEES9_SG_JZNS1_25segmented_radix_sort_implINS0_14default_configELb0EPKhPhPKlPlN2at6native12_GLOBAL__N_18offset_tEEE10hipError_tPvRmT1_PNSt15iterator_traitsISY_E10value_typeET2_T3_PNSZ_IS14_E10value_typeET4_jRbjT5_S1A_jjP12ihipStream_tbEUljE_EEESV_SW_SX_S14_S18_S1A_T6_T7_T9_mT8_S1C_bDpT10_ENKUlT_T0_E_clISt17integral_constantIbLb0EES1P_EEDaS1K_S1L_EUlS1K_E_NS1_11comp_targetILNS1_3genE9ELNS1_11target_archE1100ELNS1_3gpuE3ELNS1_3repE0EEENS1_30default_config_static_selectorELNS0_4arch9wavefront6targetE0EEEvSY_.uses_flat_scratch, 0
	.set _ZN7rocprim17ROCPRIM_400000_NS6detail17trampoline_kernelINS0_13select_configILj256ELj13ELNS0_17block_load_methodE3ELS4_3ELS4_3ELNS0_20block_scan_algorithmE0ELj4294967295EEENS1_25partition_config_selectorILNS1_17partition_subalgoE3EjNS0_10empty_typeEbEEZZNS1_14partition_implILS8_3ELb0ES6_jNS0_17counting_iteratorIjlEEPS9_SE_NS0_5tupleIJPjSE_EEENSF_IJSE_SE_EEES9_SG_JZNS1_25segmented_radix_sort_implINS0_14default_configELb0EPKhPhPKlPlN2at6native12_GLOBAL__N_18offset_tEEE10hipError_tPvRmT1_PNSt15iterator_traitsISY_E10value_typeET2_T3_PNSZ_IS14_E10value_typeET4_jRbjT5_S1A_jjP12ihipStream_tbEUljE_EEESV_SW_SX_S14_S18_S1A_T6_T7_T9_mT8_S1C_bDpT10_ENKUlT_T0_E_clISt17integral_constantIbLb0EES1P_EEDaS1K_S1L_EUlS1K_E_NS1_11comp_targetILNS1_3genE9ELNS1_11target_archE1100ELNS1_3gpuE3ELNS1_3repE0EEENS1_30default_config_static_selectorELNS0_4arch9wavefront6targetE0EEEvSY_.has_dyn_sized_stack, 0
	.set _ZN7rocprim17ROCPRIM_400000_NS6detail17trampoline_kernelINS0_13select_configILj256ELj13ELNS0_17block_load_methodE3ELS4_3ELS4_3ELNS0_20block_scan_algorithmE0ELj4294967295EEENS1_25partition_config_selectorILNS1_17partition_subalgoE3EjNS0_10empty_typeEbEEZZNS1_14partition_implILS8_3ELb0ES6_jNS0_17counting_iteratorIjlEEPS9_SE_NS0_5tupleIJPjSE_EEENSF_IJSE_SE_EEES9_SG_JZNS1_25segmented_radix_sort_implINS0_14default_configELb0EPKhPhPKlPlN2at6native12_GLOBAL__N_18offset_tEEE10hipError_tPvRmT1_PNSt15iterator_traitsISY_E10value_typeET2_T3_PNSZ_IS14_E10value_typeET4_jRbjT5_S1A_jjP12ihipStream_tbEUljE_EEESV_SW_SX_S14_S18_S1A_T6_T7_T9_mT8_S1C_bDpT10_ENKUlT_T0_E_clISt17integral_constantIbLb0EES1P_EEDaS1K_S1L_EUlS1K_E_NS1_11comp_targetILNS1_3genE9ELNS1_11target_archE1100ELNS1_3gpuE3ELNS1_3repE0EEENS1_30default_config_static_selectorELNS0_4arch9wavefront6targetE0EEEvSY_.has_recursion, 0
	.set _ZN7rocprim17ROCPRIM_400000_NS6detail17trampoline_kernelINS0_13select_configILj256ELj13ELNS0_17block_load_methodE3ELS4_3ELS4_3ELNS0_20block_scan_algorithmE0ELj4294967295EEENS1_25partition_config_selectorILNS1_17partition_subalgoE3EjNS0_10empty_typeEbEEZZNS1_14partition_implILS8_3ELb0ES6_jNS0_17counting_iteratorIjlEEPS9_SE_NS0_5tupleIJPjSE_EEENSF_IJSE_SE_EEES9_SG_JZNS1_25segmented_radix_sort_implINS0_14default_configELb0EPKhPhPKlPlN2at6native12_GLOBAL__N_18offset_tEEE10hipError_tPvRmT1_PNSt15iterator_traitsISY_E10value_typeET2_T3_PNSZ_IS14_E10value_typeET4_jRbjT5_S1A_jjP12ihipStream_tbEUljE_EEESV_SW_SX_S14_S18_S1A_T6_T7_T9_mT8_S1C_bDpT10_ENKUlT_T0_E_clISt17integral_constantIbLb0EES1P_EEDaS1K_S1L_EUlS1K_E_NS1_11comp_targetILNS1_3genE9ELNS1_11target_archE1100ELNS1_3gpuE3ELNS1_3repE0EEENS1_30default_config_static_selectorELNS0_4arch9wavefront6targetE0EEEvSY_.has_indirect_call, 0
	.section	.AMDGPU.csdata,"",@progbits
; Kernel info:
; codeLenInByte = 0
; TotalNumSgprs: 0
; NumVgprs: 0
; ScratchSize: 0
; MemoryBound: 0
; FloatMode: 240
; IeeeMode: 1
; LDSByteSize: 0 bytes/workgroup (compile time only)
; SGPRBlocks: 0
; VGPRBlocks: 0
; NumSGPRsForWavesPerEU: 1
; NumVGPRsForWavesPerEU: 1
; Occupancy: 16
; WaveLimiterHint : 0
; COMPUTE_PGM_RSRC2:SCRATCH_EN: 0
; COMPUTE_PGM_RSRC2:USER_SGPR: 6
; COMPUTE_PGM_RSRC2:TRAP_HANDLER: 0
; COMPUTE_PGM_RSRC2:TGID_X_EN: 1
; COMPUTE_PGM_RSRC2:TGID_Y_EN: 0
; COMPUTE_PGM_RSRC2:TGID_Z_EN: 0
; COMPUTE_PGM_RSRC2:TIDIG_COMP_CNT: 0
	.section	.text._ZN7rocprim17ROCPRIM_400000_NS6detail17trampoline_kernelINS0_13select_configILj256ELj13ELNS0_17block_load_methodE3ELS4_3ELS4_3ELNS0_20block_scan_algorithmE0ELj4294967295EEENS1_25partition_config_selectorILNS1_17partition_subalgoE3EjNS0_10empty_typeEbEEZZNS1_14partition_implILS8_3ELb0ES6_jNS0_17counting_iteratorIjlEEPS9_SE_NS0_5tupleIJPjSE_EEENSF_IJSE_SE_EEES9_SG_JZNS1_25segmented_radix_sort_implINS0_14default_configELb0EPKhPhPKlPlN2at6native12_GLOBAL__N_18offset_tEEE10hipError_tPvRmT1_PNSt15iterator_traitsISY_E10value_typeET2_T3_PNSZ_IS14_E10value_typeET4_jRbjT5_S1A_jjP12ihipStream_tbEUljE_EEESV_SW_SX_S14_S18_S1A_T6_T7_T9_mT8_S1C_bDpT10_ENKUlT_T0_E_clISt17integral_constantIbLb0EES1P_EEDaS1K_S1L_EUlS1K_E_NS1_11comp_targetILNS1_3genE8ELNS1_11target_archE1030ELNS1_3gpuE2ELNS1_3repE0EEENS1_30default_config_static_selectorELNS0_4arch9wavefront6targetE0EEEvSY_,"axG",@progbits,_ZN7rocprim17ROCPRIM_400000_NS6detail17trampoline_kernelINS0_13select_configILj256ELj13ELNS0_17block_load_methodE3ELS4_3ELS4_3ELNS0_20block_scan_algorithmE0ELj4294967295EEENS1_25partition_config_selectorILNS1_17partition_subalgoE3EjNS0_10empty_typeEbEEZZNS1_14partition_implILS8_3ELb0ES6_jNS0_17counting_iteratorIjlEEPS9_SE_NS0_5tupleIJPjSE_EEENSF_IJSE_SE_EEES9_SG_JZNS1_25segmented_radix_sort_implINS0_14default_configELb0EPKhPhPKlPlN2at6native12_GLOBAL__N_18offset_tEEE10hipError_tPvRmT1_PNSt15iterator_traitsISY_E10value_typeET2_T3_PNSZ_IS14_E10value_typeET4_jRbjT5_S1A_jjP12ihipStream_tbEUljE_EEESV_SW_SX_S14_S18_S1A_T6_T7_T9_mT8_S1C_bDpT10_ENKUlT_T0_E_clISt17integral_constantIbLb0EES1P_EEDaS1K_S1L_EUlS1K_E_NS1_11comp_targetILNS1_3genE8ELNS1_11target_archE1030ELNS1_3gpuE2ELNS1_3repE0EEENS1_30default_config_static_selectorELNS0_4arch9wavefront6targetE0EEEvSY_,comdat
	.globl	_ZN7rocprim17ROCPRIM_400000_NS6detail17trampoline_kernelINS0_13select_configILj256ELj13ELNS0_17block_load_methodE3ELS4_3ELS4_3ELNS0_20block_scan_algorithmE0ELj4294967295EEENS1_25partition_config_selectorILNS1_17partition_subalgoE3EjNS0_10empty_typeEbEEZZNS1_14partition_implILS8_3ELb0ES6_jNS0_17counting_iteratorIjlEEPS9_SE_NS0_5tupleIJPjSE_EEENSF_IJSE_SE_EEES9_SG_JZNS1_25segmented_radix_sort_implINS0_14default_configELb0EPKhPhPKlPlN2at6native12_GLOBAL__N_18offset_tEEE10hipError_tPvRmT1_PNSt15iterator_traitsISY_E10value_typeET2_T3_PNSZ_IS14_E10value_typeET4_jRbjT5_S1A_jjP12ihipStream_tbEUljE_EEESV_SW_SX_S14_S18_S1A_T6_T7_T9_mT8_S1C_bDpT10_ENKUlT_T0_E_clISt17integral_constantIbLb0EES1P_EEDaS1K_S1L_EUlS1K_E_NS1_11comp_targetILNS1_3genE8ELNS1_11target_archE1030ELNS1_3gpuE2ELNS1_3repE0EEENS1_30default_config_static_selectorELNS0_4arch9wavefront6targetE0EEEvSY_ ; -- Begin function _ZN7rocprim17ROCPRIM_400000_NS6detail17trampoline_kernelINS0_13select_configILj256ELj13ELNS0_17block_load_methodE3ELS4_3ELS4_3ELNS0_20block_scan_algorithmE0ELj4294967295EEENS1_25partition_config_selectorILNS1_17partition_subalgoE3EjNS0_10empty_typeEbEEZZNS1_14partition_implILS8_3ELb0ES6_jNS0_17counting_iteratorIjlEEPS9_SE_NS0_5tupleIJPjSE_EEENSF_IJSE_SE_EEES9_SG_JZNS1_25segmented_radix_sort_implINS0_14default_configELb0EPKhPhPKlPlN2at6native12_GLOBAL__N_18offset_tEEE10hipError_tPvRmT1_PNSt15iterator_traitsISY_E10value_typeET2_T3_PNSZ_IS14_E10value_typeET4_jRbjT5_S1A_jjP12ihipStream_tbEUljE_EEESV_SW_SX_S14_S18_S1A_T6_T7_T9_mT8_S1C_bDpT10_ENKUlT_T0_E_clISt17integral_constantIbLb0EES1P_EEDaS1K_S1L_EUlS1K_E_NS1_11comp_targetILNS1_3genE8ELNS1_11target_archE1030ELNS1_3gpuE2ELNS1_3repE0EEENS1_30default_config_static_selectorELNS0_4arch9wavefront6targetE0EEEvSY_
	.p2align	8
	.type	_ZN7rocprim17ROCPRIM_400000_NS6detail17trampoline_kernelINS0_13select_configILj256ELj13ELNS0_17block_load_methodE3ELS4_3ELS4_3ELNS0_20block_scan_algorithmE0ELj4294967295EEENS1_25partition_config_selectorILNS1_17partition_subalgoE3EjNS0_10empty_typeEbEEZZNS1_14partition_implILS8_3ELb0ES6_jNS0_17counting_iteratorIjlEEPS9_SE_NS0_5tupleIJPjSE_EEENSF_IJSE_SE_EEES9_SG_JZNS1_25segmented_radix_sort_implINS0_14default_configELb0EPKhPhPKlPlN2at6native12_GLOBAL__N_18offset_tEEE10hipError_tPvRmT1_PNSt15iterator_traitsISY_E10value_typeET2_T3_PNSZ_IS14_E10value_typeET4_jRbjT5_S1A_jjP12ihipStream_tbEUljE_EEESV_SW_SX_S14_S18_S1A_T6_T7_T9_mT8_S1C_bDpT10_ENKUlT_T0_E_clISt17integral_constantIbLb0EES1P_EEDaS1K_S1L_EUlS1K_E_NS1_11comp_targetILNS1_3genE8ELNS1_11target_archE1030ELNS1_3gpuE2ELNS1_3repE0EEENS1_30default_config_static_selectorELNS0_4arch9wavefront6targetE0EEEvSY_,@function
_ZN7rocprim17ROCPRIM_400000_NS6detail17trampoline_kernelINS0_13select_configILj256ELj13ELNS0_17block_load_methodE3ELS4_3ELS4_3ELNS0_20block_scan_algorithmE0ELj4294967295EEENS1_25partition_config_selectorILNS1_17partition_subalgoE3EjNS0_10empty_typeEbEEZZNS1_14partition_implILS8_3ELb0ES6_jNS0_17counting_iteratorIjlEEPS9_SE_NS0_5tupleIJPjSE_EEENSF_IJSE_SE_EEES9_SG_JZNS1_25segmented_radix_sort_implINS0_14default_configELb0EPKhPhPKlPlN2at6native12_GLOBAL__N_18offset_tEEE10hipError_tPvRmT1_PNSt15iterator_traitsISY_E10value_typeET2_T3_PNSZ_IS14_E10value_typeET4_jRbjT5_S1A_jjP12ihipStream_tbEUljE_EEESV_SW_SX_S14_S18_S1A_T6_T7_T9_mT8_S1C_bDpT10_ENKUlT_T0_E_clISt17integral_constantIbLb0EES1P_EEDaS1K_S1L_EUlS1K_E_NS1_11comp_targetILNS1_3genE8ELNS1_11target_archE1030ELNS1_3gpuE2ELNS1_3repE0EEENS1_30default_config_static_selectorELNS0_4arch9wavefront6targetE0EEEvSY_: ; @_ZN7rocprim17ROCPRIM_400000_NS6detail17trampoline_kernelINS0_13select_configILj256ELj13ELNS0_17block_load_methodE3ELS4_3ELS4_3ELNS0_20block_scan_algorithmE0ELj4294967295EEENS1_25partition_config_selectorILNS1_17partition_subalgoE3EjNS0_10empty_typeEbEEZZNS1_14partition_implILS8_3ELb0ES6_jNS0_17counting_iteratorIjlEEPS9_SE_NS0_5tupleIJPjSE_EEENSF_IJSE_SE_EEES9_SG_JZNS1_25segmented_radix_sort_implINS0_14default_configELb0EPKhPhPKlPlN2at6native12_GLOBAL__N_18offset_tEEE10hipError_tPvRmT1_PNSt15iterator_traitsISY_E10value_typeET2_T3_PNSZ_IS14_E10value_typeET4_jRbjT5_S1A_jjP12ihipStream_tbEUljE_EEESV_SW_SX_S14_S18_S1A_T6_T7_T9_mT8_S1C_bDpT10_ENKUlT_T0_E_clISt17integral_constantIbLb0EES1P_EEDaS1K_S1L_EUlS1K_E_NS1_11comp_targetILNS1_3genE8ELNS1_11target_archE1030ELNS1_3gpuE2ELNS1_3repE0EEENS1_30default_config_static_selectorELNS0_4arch9wavefront6targetE0EEEvSY_
; %bb.0:
	s_clause 0x6
	s_load_dword s0, s[4:5], 0x70
	s_load_dwordx2 s[16:17], s[4:5], 0x10
	s_load_dwordx4 s[12:15], s[4:5], 0x48
	s_load_dwordx2 s[18:19], s[4:5], 0x58
	s_load_dword s7, s[4:5], 0x8
	s_load_dwordx4 s[8:11], s[4:5], 0x78
	s_load_dword s1, s[4:5], 0x88
	s_mul_i32 s26, s6, 0xd00
	v_lshlrev_b32_e32 v42, 2, v0
	s_waitcnt lgkmcnt(0)
	s_mul_i32 s2, s0, 0xd00
	s_add_i32 s0, s0, -1
	s_add_i32 s3, s2, s16
	s_load_dwordx2 s[20:21], s[14:15], 0x0
	s_sub_i32 s25, s18, s3
	s_addk_i32 s25, 0xd00
	s_add_u32 s2, s16, s2
	s_addc_u32 s3, s17, 0
	s_cmp_eq_u32 s6, s0
	v_cmp_gt_u64_e64 s2, s[18:19], s[2:3]
	s_cselect_b32 s24, -1, 0
	s_cmp_lg_u32 s6, s0
	s_cselect_b32 s0, -1, 0
	s_add_i32 s3, s7, s26
	s_or_b32 s2, s0, s2
	s_add_i32 s3, s3, s16
	s_and_b32 vcc_lo, exec_lo, s2
	v_add_nc_u32_e32 v1, s3, v0
	s_mov_b32 s7, -1
	s_cbranch_vccz .LBB160_2
; %bb.1:
	v_add_nc_u32_e32 v2, 0x100, v1
	v_add_nc_u32_e32 v3, 0x200, v1
	;; [unrolled: 1-line block ×12, first 2 shown]
	ds_write2st64_b32 v42, v1, v2 offset1:4
	ds_write2st64_b32 v42, v3, v4 offset0:8 offset1:12
	ds_write2st64_b32 v42, v5, v6 offset0:16 offset1:20
	;; [unrolled: 1-line block ×5, first 2 shown]
	ds_write_b32 v42, v13 offset:12288
	s_waitcnt lgkmcnt(0)
	s_mov_b32 s7, 0
	s_barrier
.LBB160_2:
	v_cmp_gt_u32_e64 s0, s25, v0
	v_or_b32_e32 v41, 0x100, v0
	v_or_b32_e32 v40, 0x200, v0
	;; [unrolled: 1-line block ×12, first 2 shown]
	s_andn2_b32 vcc_lo, exec_lo, s7
	s_cbranch_vccnz .LBB160_4
; %bb.3:
	v_add_nc_u32_e32 v2, s3, v41
	v_cmp_gt_u32_e32 vcc_lo, s25, v41
	v_add_nc_u32_e32 v3, s3, v40
	v_add_nc_u32_e32 v4, s3, v39
	;; [unrolled: 1-line block ×4, first 2 shown]
	v_cndmask_b32_e32 v2, 0, v2, vcc_lo
	v_cmp_gt_u32_e32 vcc_lo, s25, v40
	v_add_nc_u32_e32 v7, s3, v36
	v_add_nc_u32_e32 v8, s3, v35
	;; [unrolled: 1-line block ×4, first 2 shown]
	v_cndmask_b32_e32 v3, 0, v3, vcc_lo
	v_cmp_gt_u32_e32 vcc_lo, s25, v39
	v_add_nc_u32_e32 v11, s3, v32
	v_add_nc_u32_e32 v12, s3, v31
	v_cndmask_b32_e64 v1, 0, v1, s0
	v_add_nc_u32_e32 v13, s3, v30
	v_cndmask_b32_e32 v4, 0, v4, vcc_lo
	v_cmp_gt_u32_e32 vcc_lo, s25, v38
	v_cndmask_b32_e32 v5, 0, v5, vcc_lo
	v_cmp_gt_u32_e32 vcc_lo, s25, v37
	;; [unrolled: 2-line block ×9, first 2 shown]
	v_cndmask_b32_e32 v13, 0, v13, vcc_lo
	ds_write2st64_b32 v42, v1, v2 offset1:4
	ds_write2st64_b32 v42, v3, v4 offset0:8 offset1:12
	ds_write2st64_b32 v42, v5, v6 offset0:16 offset1:20
	;; [unrolled: 1-line block ×5, first 2 shown]
	ds_write_b32 v42, v13 offset:12288
	s_waitcnt lgkmcnt(0)
	s_barrier
.LBB160_4:
	v_mul_u32_u24_e32 v45, 13, v0
	s_waitcnt lgkmcnt(0)
	buffer_gl0_inv
	v_cndmask_b32_e64 v43, 0, 1, s2
	s_andn2_b32 vcc_lo, exec_lo, s2
	v_lshlrev_b32_e32 v1, 2, v45
	ds_read2_b32 v[26:27], v1 offset0:2 offset1:3
	ds_read2_b32 v[22:23], v1 offset0:6 offset1:7
	;; [unrolled: 1-line block ×3, first 2 shown]
	ds_read2_b32 v[28:29], v1 offset1:1
	ds_read2_b32 v[18:19], v1 offset0:10 offset1:11
	ds_read_b32 v44, v1 offset:48
	ds_read2_b32 v[20:21], v1 offset0:8 offset1:9
	s_waitcnt lgkmcnt(0)
	s_barrier
	buffer_gl0_inv
	s_cbranch_vccnz .LBB160_6
; %bb.5:
	v_add_nc_u32_e32 v1, s9, v27
	v_add_nc_u32_e32 v4, s9, v26
	;; [unrolled: 1-line block ×6, first 2 shown]
	v_mul_lo_u32 v4, v4, s8
	v_mul_lo_u32 v1, v1, s8
	;; [unrolled: 1-line block ×4, first 2 shown]
	v_add_nc_u32_e32 v3, s9, v28
	v_add_nc_u32_e32 v7, s11, v28
	v_mul_lo_u32 v2, v2, s8
	v_mul_lo_u32 v6, v6, s10
	v_add_nc_u32_e32 v10, s11, v25
	v_mul_lo_u32 v3, v3, s8
	v_mul_lo_u32 v7, v7, s10
	v_sub_nc_u32_e32 v1, v1, v5
	v_sub_nc_u32_e32 v4, v4, v8
	v_add_nc_u32_e32 v5, s9, v23
	v_add_nc_u32_e32 v8, s11, v23
	v_sub_nc_u32_e32 v2, v2, v6
	v_add_nc_u32_e32 v6, s9, v25
	v_add_nc_u32_e32 v9, s9, v22
	v_mul_lo_u32 v5, v5, s8
	v_mul_lo_u32 v8, v8, s10
	v_sub_nc_u32_e32 v3, v3, v7
	v_add_nc_u32_e32 v7, s9, v24
	v_add_nc_u32_e32 v11, s11, v22
	v_mul_lo_u32 v6, v6, s8
	v_mul_lo_u32 v10, v10, s10
	v_add_nc_u32_e32 v12, s11, v24
	v_mul_lo_u32 v9, v9, s8
	v_mul_lo_u32 v7, v7, s8
	;; [unrolled: 1-line block ×3, first 2 shown]
	v_sub_nc_u32_e32 v5, v5, v8
	v_mul_lo_u32 v8, v12, s10
	v_cmp_lt_u32_e32 vcc_lo, s1, v1
	v_sub_nc_u32_e32 v6, v6, v10
	v_add_nc_u32_e32 v10, s9, v19
	v_add_nc_u32_e32 v14, s11, v19
	;; [unrolled: 1-line block ×3, first 2 shown]
	v_cndmask_b32_e64 v1, 0, 1, vcc_lo
	v_cmp_lt_u32_e32 vcc_lo, s1, v2
	v_sub_nc_u32_e32 v7, v7, v8
	v_sub_nc_u32_e32 v8, v9, v11
	v_add_nc_u32_e32 v11, s9, v21
	v_mul_lo_u32 v10, v10, s8
	v_mul_lo_u32 v14, v14, s10
	v_cndmask_b32_e64 v2, 0, 1, vcc_lo
	v_cmp_lt_u32_e32 vcc_lo, s1, v5
	v_mul_lo_u32 v11, v11, s8
	v_mul_lo_u32 v15, v15, s10
	v_mov_b32_e32 v9, 8
	v_lshlrev_b16 v2, 8, v2
	v_cndmask_b32_e64 v5, 0, 1, vcc_lo
	v_cmp_lt_u32_e32 vcc_lo, s1, v6
	v_sub_nc_u32_e32 v10, v10, v14
	v_add_nc_u32_e32 v12, s9, v20
	v_add_nc_u32_e32 v16, s11, v20
	v_sub_nc_u32_e32 v11, v11, v15
	v_cndmask_b32_e64 v6, 0, 1, vcc_lo
	v_cmp_lt_u32_e32 vcc_lo, s1, v10
	v_lshrrev_b32_sdwa v2, v9, v2 dst_sel:BYTE_1 dst_unused:UNUSED_PAD src0_sel:DWORD src1_sel:DWORD
	v_add_nc_u32_e32 v13, s9, v18
	v_add_nc_u32_e32 v17, s11, v18
	v_mul_lo_u32 v12, v12, s8
	v_cndmask_b32_e64 v10, 0, 1, vcc_lo
	v_cmp_lt_u32_e32 vcc_lo, s1, v11
	v_mul_lo_u32 v16, v16, s10
	v_mul_lo_u32 v13, v13, s8
	;; [unrolled: 1-line block ×3, first 2 shown]
	v_add_nc_u32_e32 v14, s9, v44
	v_cndmask_b32_e64 v11, 0, 1, vcc_lo
	v_cmp_lt_u32_e32 vcc_lo, s1, v3
	v_add_nc_u32_e32 v15, s11, v44
	v_lshlrev_b16 v1, 8, v1
	v_sub_nc_u32_e32 v12, v12, v16
	v_lshlrev_b16 v11, 8, v11
	v_cndmask_b32_e64 v3, 0, 1, vcc_lo
	v_cmp_lt_u32_e32 vcc_lo, s1, v4
	v_sub_nc_u32_e32 v13, v13, v17
	v_mul_lo_u32 v14, v14, s8
	v_mul_lo_u32 v15, v15, s10
	v_or_b32_e32 v2, v3, v2
	v_cndmask_b32_e64 v3, 0, 1, vcc_lo
	v_cmp_lt_u32_e32 vcc_lo, s1, v7
	v_lshlrev_b16 v6, 8, v6
	v_lshlrev_b16 v10, 8, v10
	;; [unrolled: 1-line block ×3, first 2 shown]
	v_lshrrev_b32_sdwa v1, v9, v1 dst_sel:BYTE_1 dst_unused:UNUSED_PAD src0_sel:DWORD src1_sel:DWORD
	v_cndmask_b32_e64 v4, 0, 1, vcc_lo
	v_cmp_lt_u32_e32 vcc_lo, s1, v8
	v_lshrrev_b32_sdwa v8, v9, v11 dst_sel:BYTE_1 dst_unused:UNUSED_PAD src0_sel:DWORD src1_sel:DWORD
	v_lshrrev_b32_sdwa v6, v9, v6 dst_sel:BYTE_1 dst_unused:UNUSED_PAD src0_sel:DWORD src1_sel:DWORD
	v_sub_nc_u32_e32 v14, v14, v15
	v_lshrrev_b32_sdwa v9, v9, v10 dst_sel:BYTE_1 dst_unused:UNUSED_PAD src0_sel:DWORD src1_sel:DWORD
	v_cndmask_b32_e64 v7, 0, 1, vcc_lo
	v_cmp_lt_u32_e32 vcc_lo, s1, v12
	v_or_b32_sdwa v1, v3, v1 dst_sel:WORD_1 dst_unused:UNUSED_PAD src0_sel:DWORD src1_sel:DWORD
	v_or_b32_e32 v3, v4, v6
	v_or_b32_sdwa v4, v7, v5 dst_sel:WORD_1 dst_unused:UNUSED_PAD src0_sel:DWORD src1_sel:DWORD
	v_cndmask_b32_e64 v11, 0, 1, vcc_lo
	v_cmp_lt_u32_e32 vcc_lo, s1, v13
	v_or_b32_sdwa v50, v2, v1 dst_sel:DWORD dst_unused:UNUSED_PAD src0_sel:WORD_0 src1_sel:DWORD
	v_or_b32_sdwa v48, v3, v4 dst_sel:DWORD dst_unused:UNUSED_PAD src0_sel:WORD_0 src1_sel:DWORD
	v_or_b32_e32 v5, v11, v8
	v_cndmask_b32_e64 v10, 0, 1, vcc_lo
	v_cmp_lt_u32_e32 vcc_lo, s1, v14
	v_or_b32_sdwa v6, v10, v9 dst_sel:WORD_1 dst_unused:UNUSED_PAD src0_sel:DWORD src1_sel:DWORD
	v_cndmask_b32_e64 v46, 0, 1, vcc_lo
	v_or_b32_sdwa v47, v5, v6 dst_sel:DWORD dst_unused:UNUSED_PAD src0_sel:WORD_0 src1_sel:DWORD
	s_clause 0x1
	s_load_dwordx2 s[14:15], s[4:5], 0x28
	s_load_dwordx2 s[22:23], s[4:5], 0x68
	s_cbranch_execz .LBB160_7
	s_branch .LBB160_34
.LBB160_6:
                                        ; implicit-def: $vgpr46
                                        ; implicit-def: $vgpr47
                                        ; implicit-def: $vgpr48
                                        ; implicit-def: $vgpr50
	s_clause 0x1
	s_load_dwordx2 s[14:15], s[4:5], 0x28
	s_load_dwordx2 s[22:23], s[4:5], 0x68
.LBB160_7:
	v_mov_b32_e32 v2, 0
	v_mov_b32_e32 v1, 0
	s_mov_b32 s0, exec_lo
	v_cmpx_gt_u32_e64 s25, v45
	s_cbranch_execz .LBB160_9
; %bb.8:
	v_add_nc_u32_e32 v1, s9, v28
	v_add_nc_u32_e32 v3, s11, v28
	v_mul_lo_u32 v1, v1, s8
	v_mul_lo_u32 v3, v3, s10
	v_sub_nc_u32_e32 v1, v1, v3
	v_cmp_lt_u32_e32 vcc_lo, s1, v1
	v_cndmask_b32_e64 v1, 0, 1, vcc_lo
.LBB160_9:
	s_or_b32 exec_lo, exec_lo, s0
	v_add_nc_u32_e32 v3, 1, v45
	s_mov_b32 s0, exec_lo
	v_cmpx_gt_u32_e64 s25, v3
	s_cbranch_execz .LBB160_11
; %bb.10:
	v_add_nc_u32_e32 v2, s9, v29
	v_add_nc_u32_e32 v3, s11, v29
	v_mul_lo_u32 v2, v2, s8
	v_mul_lo_u32 v3, v3, s10
	v_sub_nc_u32_e32 v2, v2, v3
	v_cmp_lt_u32_e32 vcc_lo, s1, v2
	v_cndmask_b32_e64 v2, 0, 1, vcc_lo
.LBB160_11:
	s_or_b32 exec_lo, exec_lo, s0
	v_add_nc_u32_e32 v3, 2, v45
	v_mov_b32_e32 v4, 0
	v_cmp_gt_u32_e32 vcc_lo, s25, v3
	v_mov_b32_e32 v3, 0
	s_and_saveexec_b32 s0, vcc_lo
	s_cbranch_execz .LBB160_13
; %bb.12:
	v_add_nc_u32_e32 v3, s9, v26
	v_add_nc_u32_e32 v5, s11, v26
	v_mul_lo_u32 v3, v3, s8
	v_mul_lo_u32 v5, v5, s10
	v_sub_nc_u32_e32 v3, v3, v5
	v_cmp_lt_u32_e32 vcc_lo, s1, v3
	v_cndmask_b32_e64 v3, 0, 1, vcc_lo
.LBB160_13:
	s_or_b32 exec_lo, exec_lo, s0
	v_add_nc_u32_e32 v5, 3, v45
	s_mov_b32 s0, exec_lo
	v_cmpx_gt_u32_e64 s25, v5
	s_cbranch_execz .LBB160_15
; %bb.14:
	v_add_nc_u32_e32 v4, s9, v27
	v_add_nc_u32_e32 v5, s11, v27
	v_mul_lo_u32 v4, v4, s8
	v_mul_lo_u32 v5, v5, s10
	v_sub_nc_u32_e32 v4, v4, v5
	v_cmp_lt_u32_e32 vcc_lo, s1, v4
	v_cndmask_b32_e64 v4, 0, 1, vcc_lo
.LBB160_15:
	s_or_b32 exec_lo, exec_lo, s0
	v_add_nc_u32_e32 v5, 4, v45
	v_mov_b32_e32 v6, 0
	v_cmp_gt_u32_e32 vcc_lo, s25, v5
	v_mov_b32_e32 v5, 0
	s_and_saveexec_b32 s0, vcc_lo
	;; [unrolled: 30-line block ×5, first 2 shown]
	s_cbranch_execz .LBB160_29
; %bb.28:
	v_add_nc_u32_e32 v11, s9, v18
	v_add_nc_u32_e32 v13, s11, v18
	v_mul_lo_u32 v11, v11, s8
	v_mul_lo_u32 v13, v13, s10
	v_sub_nc_u32_e32 v11, v11, v13
	v_cmp_lt_u32_e32 vcc_lo, s1, v11
	v_cndmask_b32_e64 v11, 0, 1, vcc_lo
.LBB160_29:
	s_or_b32 exec_lo, exec_lo, s0
	v_add_nc_u32_e32 v13, 11, v45
	s_mov_b32 s0, exec_lo
	v_cmpx_gt_u32_e64 s25, v13
	s_cbranch_execz .LBB160_31
; %bb.30:
	v_add_nc_u32_e32 v12, s9, v19
	v_add_nc_u32_e32 v13, s11, v19
	v_mul_lo_u32 v12, v12, s8
	v_mul_lo_u32 v13, v13, s10
	v_sub_nc_u32_e32 v12, v12, v13
	v_cmp_lt_u32_e32 vcc_lo, s1, v12
	v_cndmask_b32_e64 v12, 0, 1, vcc_lo
.LBB160_31:
	s_or_b32 exec_lo, exec_lo, s0
	v_add_nc_u32_e32 v13, 12, v45
	v_mov_b32_e32 v46, 0
	s_mov_b32 s0, exec_lo
	v_cmpx_gt_u32_e64 s25, v13
	s_cbranch_execz .LBB160_33
; %bb.32:
	v_add_nc_u32_e32 v13, s9, v44
	v_add_nc_u32_e32 v14, s11, v44
	v_mul_lo_u32 v13, v13, s8
	v_mul_lo_u32 v14, v14, s10
	v_sub_nc_u32_e32 v13, v13, v14
	v_cmp_lt_u32_e32 vcc_lo, s1, v13
	v_cndmask_b32_e64 v46, 0, 1, vcc_lo
.LBB160_33:
	s_or_b32 exec_lo, exec_lo, s0
	v_lshlrev_b16 v2, 8, v2
	v_lshlrev_b16 v4, 8, v4
	;; [unrolled: 1-line block ×5, first 2 shown]
	v_or_b32_e32 v1, v1, v2
	v_lshlrev_b16 v2, 8, v12
	v_or_b32_sdwa v3, v3, v4 dst_sel:WORD_1 dst_unused:UNUSED_PAD src0_sel:DWORD src1_sel:DWORD
	v_or_b32_e32 v4, v5, v6
	v_or_b32_sdwa v5, v7, v8 dst_sel:WORD_1 dst_unused:UNUSED_PAD src0_sel:DWORD src1_sel:DWORD
	v_or_b32_e32 v6, v9, v10
	v_or_b32_sdwa v2, v11, v2 dst_sel:WORD_1 dst_unused:UNUSED_PAD src0_sel:DWORD src1_sel:DWORD
	v_or_b32_sdwa v50, v1, v3 dst_sel:DWORD dst_unused:UNUSED_PAD src0_sel:WORD_0 src1_sel:DWORD
	v_or_b32_sdwa v48, v4, v5 dst_sel:DWORD dst_unused:UNUSED_PAD src0_sel:WORD_0 src1_sel:DWORD
	;; [unrolled: 1-line block ×3, first 2 shown]
.LBB160_34:
	v_and_b32_e32 v53, 0xff, v50
	v_bfe_u32 v54, v50, 8, 8
	v_bfe_u32 v55, v50, 16, 8
	v_lshrrev_b32_e32 v52, 24, v50
	v_and_b32_e32 v56, 0xff, v48
	v_bfe_u32 v57, v48, 8, 8
	v_bfe_u32 v58, v48, 16, 8
	v_add3_u32 v1, v54, v53, v55
	v_lshrrev_b32_e32 v51, 24, v48
	v_and_b32_e32 v59, 0xff, v47
	v_bfe_u32 v60, v47, 8, 8
	v_mbcnt_lo_u32_b32 v62, -1, 0
	v_add3_u32 v1, v1, v52, v56
	v_bfe_u32 v61, v47, 16, 8
	v_lshrrev_b32_e32 v49, 24, v47
	v_and_b32_e32 v2, 0xff, v46
	v_and_b32_e32 v3, 15, v62
	v_add3_u32 v1, v1, v57, v58
	v_or_b32_e32 v4, 31, v0
	v_and_b32_e32 v5, 16, v62
	v_lshrrev_b32_e32 v63, 5, v0
	v_cmp_eq_u32_e64 s5, 0, v3
	v_add3_u32 v1, v1, v51, v59
	v_cmp_lt_u32_e64 s4, 1, v3
	v_cmp_lt_u32_e64 s3, 3, v3
	;; [unrolled: 1-line block ×3, first 2 shown]
	v_cmp_eq_u32_e64 s1, 0, v5
	v_add3_u32 v1, v1, v60, v61
	v_cmp_eq_u32_e64 s0, v0, v4
	s_cmp_lg_u32 s6, 0
	s_mov_b32 s7, -1
	v_add3_u32 v64, v1, v49, v2
	s_cbranch_scc0 .LBB160_56
; %bb.35:
	v_mov_b32_dpp v1, v64 row_shr:1 row_mask:0xf bank_mask:0xf
	v_cndmask_b32_e64 v1, v1, 0, s5
	v_add_nc_u32_e32 v1, v1, v64
	v_mov_b32_dpp v2, v1 row_shr:2 row_mask:0xf bank_mask:0xf
	v_cndmask_b32_e64 v2, 0, v2, s4
	v_add_nc_u32_e32 v1, v1, v2
	v_mov_b32_dpp v2, v1 row_shr:4 row_mask:0xf bank_mask:0xf
	v_cndmask_b32_e64 v2, 0, v2, s3
	v_add_nc_u32_e32 v1, v1, v2
	v_mov_b32_dpp v2, v1 row_shr:8 row_mask:0xf bank_mask:0xf
	v_cndmask_b32_e64 v2, 0, v2, s2
	v_add_nc_u32_e32 v1, v1, v2
	ds_swizzle_b32 v2, v1 offset:swizzle(BROADCAST,32,15)
	s_waitcnt lgkmcnt(0)
	v_cndmask_b32_e64 v2, v2, 0, s1
	v_add_nc_u32_e32 v1, v1, v2
	s_and_saveexec_b32 s7, s0
; %bb.36:
	v_lshlrev_b32_e32 v2, 2, v63
	ds_write_b32 v2, v1
; %bb.37:
	s_or_b32 exec_lo, exec_lo, s7
	s_mov_b32 s7, exec_lo
	s_waitcnt lgkmcnt(0)
	s_barrier
	buffer_gl0_inv
	v_cmpx_gt_u32_e32 8, v0
	s_cbranch_execz .LBB160_39
; %bb.38:
	ds_read_b32 v2, v42
	v_and_b32_e32 v3, 7, v62
	v_cmp_ne_u32_e32 vcc_lo, 0, v3
	s_waitcnt lgkmcnt(0)
	v_mov_b32_dpp v4, v2 row_shr:1 row_mask:0xf bank_mask:0xf
	v_cndmask_b32_e32 v4, 0, v4, vcc_lo
	v_cmp_lt_u32_e32 vcc_lo, 1, v3
	v_add_nc_u32_e32 v2, v4, v2
	v_mov_b32_dpp v4, v2 row_shr:2 row_mask:0xf bank_mask:0xf
	v_cndmask_b32_e32 v4, 0, v4, vcc_lo
	v_cmp_lt_u32_e32 vcc_lo, 3, v3
	v_add_nc_u32_e32 v2, v2, v4
	v_mov_b32_dpp v4, v2 row_shr:4 row_mask:0xf bank_mask:0xf
	v_cndmask_b32_e32 v3, 0, v4, vcc_lo
	v_add_nc_u32_e32 v2, v2, v3
	ds_write_b32 v42, v2
.LBB160_39:
	s_or_b32 exec_lo, exec_lo, s7
	s_mov_b32 s8, exec_lo
	v_cmp_gt_u32_e32 vcc_lo, 32, v0
	s_waitcnt lgkmcnt(0)
	s_barrier
	buffer_gl0_inv
                                        ; implicit-def: $vgpr10
	v_cmpx_lt_u32_e32 31, v0
	s_cbranch_execz .LBB160_41
; %bb.40:
	v_lshl_add_u32 v2, v63, 2, -4
	ds_read_b32 v10, v2
	s_waitcnt lgkmcnt(0)
	v_add_nc_u32_e32 v1, v10, v1
.LBB160_41:
	s_or_b32 exec_lo, exec_lo, s8
	v_sub_co_u32 v2, s7, v62, 1
	v_cmp_gt_i32_e64 s8, 0, v2
	v_cndmask_b32_e64 v2, v2, v62, s8
	v_lshlrev_b32_e32 v2, 2, v2
	ds_bpermute_b32 v11, v2, v1
	s_and_saveexec_b32 s8, vcc_lo
	s_cbranch_execz .LBB160_61
; %bb.42:
	v_mov_b32_e32 v7, 0
	ds_read_b32 v1, v7 offset:28
	s_and_saveexec_b32 s9, s7
	s_cbranch_execz .LBB160_44
; %bb.43:
	s_add_i32 s10, s6, 32
	s_mov_b32 s11, 0
	v_mov_b32_e32 v2, 1
	s_lshl_b64 s[10:11], s[10:11], 3
	s_add_u32 s10, s22, s10
	s_addc_u32 s11, s23, s11
	s_waitcnt lgkmcnt(0)
	global_store_dwordx2 v7, v[1:2], s[10:11]
.LBB160_44:
	s_or_b32 exec_lo, exec_lo, s9
	v_xad_u32 v3, v62, -1, s6
	s_mov_b32 s10, 0
	v_add_nc_u32_e32 v6, 32, v3
	v_lshlrev_b64 v[4:5], 3, v[6:7]
	v_add_co_u32 v8, vcc_lo, s22, v4
	v_add_co_ci_u32_e64 v9, null, s23, v5, vcc_lo
	global_load_dwordx2 v[5:6], v[8:9], off glc dlc
	s_waitcnt vmcnt(0)
	v_cmp_eq_u16_sdwa s11, v6, v7 src0_sel:BYTE_0 src1_sel:DWORD
	s_and_saveexec_b32 s9, s11
	s_cbranch_execz .LBB160_48
; %bb.45:
	v_mov_b32_e32 v2, 0
.LBB160_46:                             ; =>This Inner Loop Header: Depth=1
	global_load_dwordx2 v[5:6], v[8:9], off glc dlc
	s_waitcnt vmcnt(0)
	v_cmp_ne_u16_sdwa s11, v6, v2 src0_sel:BYTE_0 src1_sel:DWORD
	s_or_b32 s10, s11, s10
	s_andn2_b32 exec_lo, exec_lo, s10
	s_cbranch_execnz .LBB160_46
; %bb.47:
	s_or_b32 exec_lo, exec_lo, s10
.LBB160_48:
	s_or_b32 exec_lo, exec_lo, s9
	v_cmp_ne_u32_e32 vcc_lo, 31, v62
	v_mov_b32_e32 v12, 2
	v_lshlrev_b32_e64 v13, v62, -1
	v_add_nc_u32_e32 v15, 2, v62
	v_add_nc_u32_e32 v17, 4, v62
	v_add_co_ci_u32_e64 v2, null, 0, v62, vcc_lo
	v_cmp_eq_u16_sdwa s9, v6, v12 src0_sel:BYTE_0 src1_sel:DWORD
	v_cmp_gt_u32_e32 vcc_lo, 30, v62
	v_add_nc_u32_e32 v66, 8, v62
	v_lshlrev_b32_e32 v9, 2, v2
	v_lshl_or_b32 v67, v62, 2, 64
	v_and_or_b32 v4, s9, v13, 0x80000000
	v_cndmask_b32_e64 v7, 0, 2, vcc_lo
	v_add_nc_u32_e32 v68, 16, v62
	ds_bpermute_b32 v2, v9, v5
	v_ffbl_b32_e32 v4, v4
	v_add_lshl_u32 v14, v7, v62, 2
	v_cmp_lt_u32_e32 vcc_lo, v62, v4
	s_waitcnt lgkmcnt(0)
	v_cndmask_b32_e32 v2, 0, v2, vcc_lo
	v_cmp_gt_u32_e32 vcc_lo, 28, v62
	v_add_nc_u32_e32 v2, v2, v5
	v_cndmask_b32_e64 v7, 0, 4, vcc_lo
	v_cmp_le_u32_e32 vcc_lo, v15, v4
	ds_bpermute_b32 v5, v14, v2
	v_add_lshl_u32 v16, v7, v62, 2
	s_waitcnt lgkmcnt(0)
	v_cndmask_b32_e32 v5, 0, v5, vcc_lo
	v_cmp_gt_u32_e32 vcc_lo, 24, v62
	v_add_nc_u32_e32 v2, v2, v5
	v_cndmask_b32_e64 v7, 0, 8, vcc_lo
	v_cmp_le_u32_e32 vcc_lo, v17, v4
	ds_bpermute_b32 v5, v16, v2
	v_add_lshl_u32 v65, v7, v62, 2
	s_waitcnt lgkmcnt(0)
	v_cndmask_b32_e32 v5, 0, v5, vcc_lo
	v_cmp_le_u32_e32 vcc_lo, v66, v4
	v_add_nc_u32_e32 v2, v2, v5
	ds_bpermute_b32 v5, v65, v2
	s_waitcnt lgkmcnt(0)
	v_cndmask_b32_e32 v5, 0, v5, vcc_lo
	v_cmp_le_u32_e32 vcc_lo, v68, v4
	v_add_nc_u32_e32 v2, v2, v5
	ds_bpermute_b32 v5, v67, v2
	s_waitcnt lgkmcnt(0)
	v_cndmask_b32_e32 v4, 0, v5, vcc_lo
	v_add_nc_u32_e32 v5, v2, v4
	v_mov_b32_e32 v4, 0
	s_branch .LBB160_52
.LBB160_49:                             ;   in Loop: Header=BB160_52 Depth=1
	s_or_b32 exec_lo, exec_lo, s10
.LBB160_50:                             ;   in Loop: Header=BB160_52 Depth=1
	s_or_b32 exec_lo, exec_lo, s9
	ds_bpermute_b32 v7, v9, v5
	v_cmp_eq_u16_sdwa s9, v6, v12 src0_sel:BYTE_0 src1_sel:DWORD
	v_subrev_nc_u32_e32 v3, 32, v3
	v_and_or_b32 v8, s9, v13, 0x80000000
	s_mov_b32 s9, 0
	v_ffbl_b32_e32 v8, v8
	v_cmp_lt_u32_e32 vcc_lo, v62, v8
	s_waitcnt lgkmcnt(0)
	v_cndmask_b32_e32 v7, 0, v7, vcc_lo
	v_cmp_le_u32_e32 vcc_lo, v15, v8
	v_add_nc_u32_e32 v5, v7, v5
	ds_bpermute_b32 v7, v14, v5
	s_waitcnt lgkmcnt(0)
	v_cndmask_b32_e32 v7, 0, v7, vcc_lo
	v_cmp_le_u32_e32 vcc_lo, v17, v8
	v_add_nc_u32_e32 v5, v5, v7
	ds_bpermute_b32 v7, v16, v5
	;; [unrolled: 5-line block ×4, first 2 shown]
	s_waitcnt lgkmcnt(0)
	v_cndmask_b32_e32 v7, 0, v7, vcc_lo
	v_add3_u32 v5, v7, v2, v5
.LBB160_51:                             ;   in Loop: Header=BB160_52 Depth=1
	s_and_b32 vcc_lo, exec_lo, s9
	s_cbranch_vccnz .LBB160_57
.LBB160_52:                             ; =>This Loop Header: Depth=1
                                        ;     Child Loop BB160_55 Depth 2
	v_cmp_ne_u16_sdwa s9, v6, v12 src0_sel:BYTE_0 src1_sel:DWORD
	v_mov_b32_e32 v2, v5
                                        ; implicit-def: $vgpr5
                                        ; implicit-def: $vgpr6
	s_cmp_lg_u32 s9, exec_lo
	s_mov_b32 s9, -1
	s_cbranch_scc1 .LBB160_51
; %bb.53:                               ;   in Loop: Header=BB160_52 Depth=1
	v_lshlrev_b64 v[5:6], 3, v[3:4]
	v_add_co_u32 v7, vcc_lo, s22, v5
	v_add_co_ci_u32_e64 v8, null, s23, v6, vcc_lo
	global_load_dwordx2 v[5:6], v[7:8], off glc dlc
	s_waitcnt vmcnt(0)
	v_cmp_eq_u16_sdwa s10, v6, v4 src0_sel:BYTE_0 src1_sel:DWORD
	s_and_saveexec_b32 s9, s10
	s_cbranch_execz .LBB160_50
; %bb.54:                               ;   in Loop: Header=BB160_52 Depth=1
	s_mov_b32 s10, 0
.LBB160_55:                             ;   Parent Loop BB160_52 Depth=1
                                        ; =>  This Inner Loop Header: Depth=2
	global_load_dwordx2 v[5:6], v[7:8], off glc dlc
	s_waitcnt vmcnt(0)
	v_cmp_ne_u16_sdwa s11, v6, v4 src0_sel:BYTE_0 src1_sel:DWORD
	s_or_b32 s10, s11, s10
	s_andn2_b32 exec_lo, exec_lo, s10
	s_cbranch_execnz .LBB160_55
	s_branch .LBB160_49
.LBB160_56:
                                        ; implicit-def: $vgpr17
                                        ; implicit-def: $vgpr1_vgpr2_vgpr3_vgpr4_vgpr5_vgpr6_vgpr7_vgpr8_vgpr9_vgpr10_vgpr11_vgpr12_vgpr13_vgpr14_vgpr15_vgpr16
	s_and_b32 vcc_lo, exec_lo, s7
	s_cbranch_vccnz .LBB160_62
	s_branch .LBB160_71
.LBB160_57:
	s_and_saveexec_b32 s9, s7
	s_cbranch_execz .LBB160_59
; %bb.58:
	s_add_i32 s10, s6, 32
	s_mov_b32 s11, 0
	v_add_nc_u32_e32 v3, v2, v1
	v_mov_b32_e32 v4, 2
	s_lshl_b64 s[10:11], s[10:11], 3
	v_mov_b32_e32 v5, 0
	s_add_u32 s10, s22, s10
	s_addc_u32 s11, s23, s11
	global_store_dwordx2 v5, v[3:4], s[10:11]
	ds_write_b64 v5, v[1:2] offset:13312
.LBB160_59:
	s_or_b32 exec_lo, exec_lo, s9
	v_cmp_eq_u32_e32 vcc_lo, 0, v0
	s_and_b32 exec_lo, exec_lo, vcc_lo
; %bb.60:
	v_mov_b32_e32 v1, 0
	ds_write_b32 v1, v2 offset:28
.LBB160_61:
	s_or_b32 exec_lo, exec_lo, s8
	v_mov_b32_e32 v12, 0
	s_waitcnt lgkmcnt(0)
	s_waitcnt_vscnt null, 0x0
	s_barrier
	buffer_gl0_inv
	v_cndmask_b32_e64 v2, v11, v10, s7
	ds_read_b32 v1, v12 offset:28
	v_cmp_ne_u32_e32 vcc_lo, 0, v0
	s_waitcnt lgkmcnt(0)
	s_barrier
	buffer_gl0_inv
	ds_read_b64 v[16:17], v12 offset:13312
	v_cndmask_b32_e32 v2, 0, v2, vcc_lo
	v_add_nc_u32_e32 v1, v1, v2
	v_add_nc_u32_e32 v2, v1, v53
	;; [unrolled: 1-line block ×13, first 2 shown]
	s_branch .LBB160_71
.LBB160_62:
	v_mov_b32_dpp v1, v64 row_shr:1 row_mask:0xf bank_mask:0xf
	v_cndmask_b32_e64 v1, v1, 0, s5
	v_add_nc_u32_e32 v1, v1, v64
	v_mov_b32_dpp v2, v1 row_shr:2 row_mask:0xf bank_mask:0xf
	v_cndmask_b32_e64 v2, 0, v2, s4
	v_add_nc_u32_e32 v1, v1, v2
	;; [unrolled: 3-line block ×4, first 2 shown]
	ds_swizzle_b32 v2, v1 offset:swizzle(BROADCAST,32,15)
	s_waitcnt lgkmcnt(0)
	v_cndmask_b32_e64 v2, v2, 0, s1
	v_add_nc_u32_e32 v1, v1, v2
	s_and_saveexec_b32 s1, s0
; %bb.63:
	v_lshlrev_b32_e32 v2, 2, v63
	ds_write_b32 v2, v1
; %bb.64:
	s_or_b32 exec_lo, exec_lo, s1
	s_mov_b32 s0, exec_lo
	s_waitcnt lgkmcnt(0)
	s_barrier
	buffer_gl0_inv
	v_cmpx_gt_u32_e32 8, v0
	s_cbranch_execz .LBB160_66
; %bb.65:
	ds_read_b32 v2, v42
	v_and_b32_e32 v3, 7, v62
	v_cmp_ne_u32_e32 vcc_lo, 0, v3
	s_waitcnt lgkmcnt(0)
	v_mov_b32_dpp v4, v2 row_shr:1 row_mask:0xf bank_mask:0xf
	v_cndmask_b32_e32 v4, 0, v4, vcc_lo
	v_cmp_lt_u32_e32 vcc_lo, 1, v3
	v_add_nc_u32_e32 v2, v4, v2
	v_mov_b32_dpp v4, v2 row_shr:2 row_mask:0xf bank_mask:0xf
	v_cndmask_b32_e32 v4, 0, v4, vcc_lo
	v_cmp_lt_u32_e32 vcc_lo, 3, v3
	v_add_nc_u32_e32 v2, v2, v4
	v_mov_b32_dpp v4, v2 row_shr:4 row_mask:0xf bank_mask:0xf
	v_cndmask_b32_e32 v3, 0, v4, vcc_lo
	v_add_nc_u32_e32 v2, v2, v3
	ds_write_b32 v42, v2
.LBB160_66:
	s_or_b32 exec_lo, exec_lo, s0
	v_mov_b32_e32 v3, 0
	v_mov_b32_e32 v2, 0
	s_mov_b32 s0, exec_lo
	s_waitcnt lgkmcnt(0)
	s_barrier
	buffer_gl0_inv
	v_cmpx_lt_u32_e32 31, v0
; %bb.67:
	v_lshl_add_u32 v2, v63, 2, -4
	ds_read_b32 v2, v2
; %bb.68:
	s_or_b32 exec_lo, exec_lo, s0
	v_sub_co_u32 v4, vcc_lo, v62, 1
	s_waitcnt lgkmcnt(0)
	v_add_nc_u32_e32 v1, v2, v1
	ds_read_b32 v16, v3 offset:28
	v_cmp_gt_i32_e64 s0, 0, v4
	v_cndmask_b32_e64 v4, v4, v62, s0
	v_cmp_eq_u32_e64 s0, 0, v0
	v_lshlrev_b32_e32 v4, 2, v4
	ds_bpermute_b32 v1, v4, v1
	s_and_saveexec_b32 s1, s0
	s_cbranch_execz .LBB160_70
; %bb.69:
	v_mov_b32_e32 v3, 0
	v_mov_b32_e32 v17, 2
	s_waitcnt lgkmcnt(1)
	global_store_dwordx2 v3, v[16:17], s[22:23] offset:256
.LBB160_70:
	s_or_b32 exec_lo, exec_lo, s1
	s_waitcnt lgkmcnt(0)
	v_cndmask_b32_e32 v1, v1, v2, vcc_lo
	v_mov_b32_e32 v17, 0
	s_waitcnt_vscnt null, 0x0
	s_barrier
	buffer_gl0_inv
	v_cndmask_b32_e64 v1, v1, 0, s0
	v_add_nc_u32_e32 v2, v1, v53
	v_add_nc_u32_e32 v3, v2, v54
	;; [unrolled: 1-line block ×12, first 2 shown]
.LBB160_71:
	s_waitcnt lgkmcnt(0)
	v_add_nc_u32_e32 v45, v16, v45
	v_sub_nc_u32_e32 v1, v1, v17
	v_and_b32_e32 v54, 1, v50
	v_lshrrev_b32_e32 v53, 8, v50
	v_sub_nc_u32_e32 v2, v2, v17
	v_sub_nc_u32_e32 v3, v3, v17
	;; [unrolled: 1-line block ×3, first 2 shown]
	v_cmp_eq_u32_e32 vcc_lo, 1, v54
	v_and_b32_e32 v53, 1, v53
	v_mov_b32_e32 v56, 1
	v_sub_nc_u32_e32 v54, v45, v2
	v_sub_nc_u32_e32 v4, v4, v17
	v_cndmask_b32_e32 v1, v55, v1, vcc_lo
	v_sub_nc_u32_e32 v55, v45, v3
	v_and_b32_sdwa v50, v56, v50 dst_sel:DWORD dst_unused:UNUSED_PAD src0_sel:DWORD src1_sel:WORD_1
	v_add_nc_u32_e32 v54, 1, v54
	v_cmp_eq_u32_e32 vcc_lo, 1, v53
	v_lshlrev_b32_e32 v1, 2, v1
	v_and_b32_e32 v52, 1, v52
	v_sub_nc_u32_e32 v57, v45, v4
	v_add_nc_u32_e32 v55, 2, v55
	v_lshrrev_b32_e32 v15, 8, v48
	ds_write_b32 v1, v28
	v_cndmask_b32_e32 v1, v54, v2, vcc_lo
	v_cmp_eq_u32_e32 vcc_lo, 1, v50
	v_add_nc_u32_e32 v57, 3, v57
	v_lshrrev_b32_e32 v14, 8, v47
	v_lshlrev_b32_e32 v1, 2, v1
	v_cndmask_b32_e32 v2, v55, v3, vcc_lo
	v_cmp_eq_u32_e32 vcc_lo, 1, v52
	ds_write_b32 v1, v29
	v_lshlrev_b32_e32 v2, 2, v2
	v_cndmask_b32_e32 v3, v57, v4, vcc_lo
	v_sub_nc_u32_e32 v4, v5, v17
	v_sub_nc_u32_e32 v5, v6, v17
	v_lshlrev_b32_e32 v3, 2, v3
	v_sub_nc_u32_e32 v1, v45, v4
	v_sub_nc_u32_e32 v6, v45, v5
	ds_write_b32 v2, v26
	ds_write_b32 v3, v27
	v_and_b32_e32 v2, 1, v48
	v_add_nc_u32_e32 v1, 4, v1
	v_add_nc_u32_e32 v3, 5, v6
	v_sub_nc_u32_e32 v6, v7, v17
	v_and_b32_e32 v7, 1, v15
	v_cmp_eq_u32_e32 vcc_lo, 1, v2
	v_sub_nc_u32_e32 v2, v8, v17
	v_and_b32_e32 v8, 1, v51
	v_add_co_u32 v15, s0, s20, v17
	v_cndmask_b32_e32 v1, v1, v4, vcc_lo
	v_sub_nc_u32_e32 v4, v45, v6
	v_cmp_eq_u32_e32 vcc_lo, 1, v7
	v_and_b32_sdwa v7, v56, v48 dst_sel:DWORD dst_unused:UNUSED_PAD src0_sel:DWORD src1_sel:WORD_1
	v_lshlrev_b32_e32 v1, 2, v1
	v_add_nc_u32_e32 v4, 6, v4
	v_cndmask_b32_e32 v3, v3, v5, vcc_lo
	v_sub_nc_u32_e32 v5, v45, v2
	v_cmp_eq_u32_e32 vcc_lo, 1, v7
	v_sub_nc_u32_e32 v7, v13, v17
	v_lshlrev_b32_e32 v3, 2, v3
	v_add_nc_u32_e32 v5, 7, v5
	v_cndmask_b32_e32 v4, v4, v6, vcc_lo
	v_cmp_eq_u32_e32 vcc_lo, 1, v8
	v_sub_nc_u32_e32 v6, v9, v17
	ds_write_b32 v1, v24
	ds_write_b32 v3, v25
	v_lshlrev_b32_e32 v3, 2, v4
	v_cndmask_b32_e32 v2, v5, v2, vcc_lo
	v_sub_nc_u32_e32 v1, v45, v6
	v_and_b32_e32 v5, 1, v47
	v_sub_nc_u32_e32 v4, v10, v17
	v_and_b32_e32 v10, 1, v49
	v_lshlrev_b32_e32 v2, 2, v2
	v_add_nc_u32_e32 v1, 8, v1
	ds_write_b32 v3, v22
	ds_write_b32 v2, v23
	v_cmp_eq_u32_e32 vcc_lo, 1, v5
	v_sub_nc_u32_e32 v3, v11, v17
	v_sub_nc_u32_e32 v2, v45, v4
	;; [unrolled: 1-line block ×3, first 2 shown]
	v_and_b32_e32 v11, 1, v46
	v_cndmask_b32_e32 v1, v1, v6, vcc_lo
	v_and_b32_e32 v6, 1, v14
	v_sub_nc_u32_e32 v8, v45, v3
	v_add_nc_u32_e32 v2, 9, v2
	v_sub_nc_u32_e32 v9, v45, v5
	v_lshlrev_b32_e32 v1, 2, v1
	v_cmp_eq_u32_e32 vcc_lo, 1, v6
	v_add_nc_u32_e32 v6, 10, v8
	v_and_b32_sdwa v8, v56, v47 dst_sel:DWORD dst_unused:UNUSED_PAD src0_sel:DWORD src1_sel:WORD_1
	v_add_nc_u32_e32 v9, 11, v9
	v_add_co_ci_u32_e64 v17, null, s21, 0, s0
	v_cndmask_b32_e32 v2, v2, v4, vcc_lo
	v_cmp_eq_u32_e32 vcc_lo, 1, v8
	v_sub_nc_u32_e32 v4, v45, v7
	v_lshlrev_b32_e32 v2, 2, v2
	v_cndmask_b32_e32 v3, v6, v3, vcc_lo
	v_cmp_eq_u32_e32 vcc_lo, 1, v10
	v_add_nc_u32_e32 v4, 12, v4
	v_lshlrev_b32_e32 v3, 2, v3
	v_cndmask_b32_e32 v5, v9, v5, vcc_lo
	v_cmp_eq_u32_e32 vcc_lo, 1, v11
	v_lshlrev_b32_e32 v5, 2, v5
	v_cndmask_b32_e32 v4, v4, v7, vcc_lo
	v_cmp_ne_u32_e32 vcc_lo, 1, v43
	v_lshlrev_b32_e32 v4, 2, v4
	ds_write_b32 v1, v20
	ds_write_b32 v2, v21
	;; [unrolled: 1-line block ×5, first 2 shown]
	s_waitcnt lgkmcnt(0)
	s_barrier
	buffer_gl0_inv
	ds_read2st64_b32 v[11:12], v42 offset1:4
	ds_read2st64_b32 v[9:10], v42 offset0:8 offset1:12
	ds_read2st64_b32 v[7:8], v42 offset0:16 offset1:20
	;; [unrolled: 1-line block ×5, first 2 shown]
	ds_read_b32 v18, v42 offset:12288
	s_cbranch_vccnz .LBB160_125
; %bb.72:
	s_sub_u32 s0, s18, s26
	v_sub_co_u32 v13, vcc_lo, v15, s16
	s_subb_u32 s1, s19, 0
	v_add_co_u32 v19, s0, s0, v16
	v_subrev_co_ci_u32_e64 v14, null, s17, v17, vcc_lo
	v_add_co_ci_u32_e64 v20, null, s1, 0, s0
	v_add_co_u32 v19, vcc_lo, v19, v13
	s_mov_b32 s0, exec_lo
	v_add_co_ci_u32_e64 v20, null, v20, v14, vcc_lo
                                        ; implicit-def: $vgpr13_vgpr14
	v_cmpx_ge_u32_e64 v0, v16
	s_xor_b32 s0, exec_lo, s0
; %bb.73:
	v_not_b32_e32 v13, v0
	v_ashrrev_i32_e32 v14, 31, v13
	v_add_co_u32 v13, vcc_lo, v19, v13
	v_add_co_ci_u32_e64 v14, null, v20, v14, vcc_lo
; %bb.74:
	s_andn2_saveexec_b32 s0, s0
; %bb.75:
	v_add_co_u32 v13, vcc_lo, v15, v0
	v_add_co_ci_u32_e64 v14, null, 0, v17, vcc_lo
; %bb.76:
	s_or_b32 exec_lo, exec_lo, s0
	v_lshlrev_b64 v[13:14], 2, v[13:14]
	s_mov_b32 s0, exec_lo
	v_add_co_u32 v13, vcc_lo, s14, v13
	v_add_co_ci_u32_e64 v14, null, s15, v14, vcc_lo
	s_waitcnt lgkmcnt(6)
	global_store_dword v[13:14], v11, off
                                        ; implicit-def: $vgpr13_vgpr14
	v_cmpx_ge_u32_e64 v41, v16
	s_xor_b32 s0, exec_lo, s0
; %bb.77:
	v_xor_b32_e32 v13, 0xfffffeff, v0
	v_ashrrev_i32_e32 v14, 31, v13
	v_add_co_u32 v13, vcc_lo, v19, v13
	v_add_co_ci_u32_e64 v14, null, v20, v14, vcc_lo
; %bb.78:
	s_andn2_saveexec_b32 s0, s0
; %bb.79:
	v_add_co_u32 v13, vcc_lo, v15, v41
	v_add_co_ci_u32_e64 v14, null, 0, v17, vcc_lo
; %bb.80:
	s_or_b32 exec_lo, exec_lo, s0
	v_lshlrev_b64 v[13:14], 2, v[13:14]
	s_mov_b32 s0, exec_lo
	v_add_co_u32 v13, vcc_lo, s14, v13
	v_add_co_ci_u32_e64 v14, null, s15, v14, vcc_lo
	global_store_dword v[13:14], v12, off
                                        ; implicit-def: $vgpr13_vgpr14
	v_cmpx_ge_u32_e64 v40, v16
	s_xor_b32 s0, exec_lo, s0
; %bb.81:
	v_xor_b32_e32 v13, 0xfffffdff, v0
	v_ashrrev_i32_e32 v14, 31, v13
	v_add_co_u32 v13, vcc_lo, v19, v13
	v_add_co_ci_u32_e64 v14, null, v20, v14, vcc_lo
; %bb.82:
	s_andn2_saveexec_b32 s0, s0
; %bb.83:
	v_add_co_u32 v13, vcc_lo, v15, v40
	v_add_co_ci_u32_e64 v14, null, 0, v17, vcc_lo
; %bb.84:
	s_or_b32 exec_lo, exec_lo, s0
	v_lshlrev_b64 v[13:14], 2, v[13:14]
	s_mov_b32 s0, exec_lo
	v_add_co_u32 v13, vcc_lo, s14, v13
	v_add_co_ci_u32_e64 v14, null, s15, v14, vcc_lo
	s_waitcnt lgkmcnt(5)
	global_store_dword v[13:14], v9, off
                                        ; implicit-def: $vgpr13_vgpr14
	v_cmpx_ge_u32_e64 v39, v16
	s_xor_b32 s0, exec_lo, s0
; %bb.85:
	v_xor_b32_e32 v13, 0xfffffcff, v0
	v_ashrrev_i32_e32 v14, 31, v13
	v_add_co_u32 v13, vcc_lo, v19, v13
	v_add_co_ci_u32_e64 v14, null, v20, v14, vcc_lo
; %bb.86:
	s_andn2_saveexec_b32 s0, s0
; %bb.87:
	v_add_co_u32 v13, vcc_lo, v15, v39
	v_add_co_ci_u32_e64 v14, null, 0, v17, vcc_lo
; %bb.88:
	s_or_b32 exec_lo, exec_lo, s0
	v_lshlrev_b64 v[13:14], 2, v[13:14]
	s_mov_b32 s0, exec_lo
	v_add_co_u32 v13, vcc_lo, s14, v13
	v_add_co_ci_u32_e64 v14, null, s15, v14, vcc_lo
	global_store_dword v[13:14], v10, off
                                        ; implicit-def: $vgpr13_vgpr14
	v_cmpx_ge_u32_e64 v38, v16
	s_xor_b32 s0, exec_lo, s0
; %bb.89:
	v_xor_b32_e32 v13, 0xfffffbff, v0
	;; [unrolled: 41-line block ×6, first 2 shown]
	v_ashrrev_i32_e32 v14, 31, v13
	v_add_co_u32 v13, vcc_lo, v19, v13
	v_add_co_ci_u32_e64 v14, null, v20, v14, vcc_lo
; %bb.122:
	s_andn2_saveexec_b32 s0, s0
; %bb.123:
	v_add_co_u32 v13, vcc_lo, v15, v30
	v_add_co_ci_u32_e64 v14, null, 0, v17, vcc_lo
; %bb.124:
	s_or_b32 exec_lo, exec_lo, s0
	s_mov_b32 s0, -1
	s_branch .LBB160_205
.LBB160_125:
	s_mov_b32 s0, 0
                                        ; implicit-def: $vgpr13_vgpr14
	s_cbranch_execz .LBB160_205
; %bb.126:
	s_add_u32 s1, s16, s26
	s_addc_u32 s2, s17, 0
	s_sub_u32 s1, s18, s1
	s_subb_u32 s2, s19, s2
	v_add_co_u32 v13, s1, s1, v16
	v_add_co_ci_u32_e64 v14, null, s2, 0, s1
	s_mov_b32 s1, exec_lo
	v_add_co_u32 v19, vcc_lo, v13, v15
	v_add_co_ci_u32_e64 v20, null, v14, v17, vcc_lo
	v_cmpx_gt_u32_e64 s25, v0
	s_cbranch_execz .LBB160_162
; %bb.127:
	s_mov_b32 s2, exec_lo
                                        ; implicit-def: $vgpr13_vgpr14
	v_cmpx_ge_u32_e64 v0, v16
	s_xor_b32 s2, exec_lo, s2
; %bb.128:
	v_not_b32_e32 v13, v0
	v_ashrrev_i32_e32 v14, 31, v13
	v_add_co_u32 v13, vcc_lo, v19, v13
	v_add_co_ci_u32_e64 v14, null, v20, v14, vcc_lo
; %bb.129:
	s_andn2_saveexec_b32 s2, s2
; %bb.130:
	v_add_co_u32 v13, vcc_lo, v15, v0
	v_add_co_ci_u32_e64 v14, null, 0, v17, vcc_lo
; %bb.131:
	s_or_b32 exec_lo, exec_lo, s2
	v_lshlrev_b64 v[13:14], 2, v[13:14]
	v_add_co_u32 v13, vcc_lo, s14, v13
	v_add_co_ci_u32_e64 v14, null, s15, v14, vcc_lo
	s_waitcnt lgkmcnt(6)
	global_store_dword v[13:14], v11, off
	s_or_b32 exec_lo, exec_lo, s1
	s_mov_b32 s1, exec_lo
	v_cmpx_gt_u32_e64 s25, v41
	s_cbranch_execnz .LBB160_163
.LBB160_132:
	s_or_b32 exec_lo, exec_lo, s1
	s_mov_b32 s1, exec_lo
	v_cmpx_gt_u32_e64 s25, v40
	s_cbranch_execz .LBB160_168
.LBB160_133:
	s_mov_b32 s2, exec_lo
                                        ; implicit-def: $vgpr11_vgpr12
	v_cmpx_ge_u32_e64 v40, v16
	s_xor_b32 s2, exec_lo, s2
	s_cbranch_execz .LBB160_135
; %bb.134:
	s_waitcnt lgkmcnt(6)
	v_xor_b32_e32 v11, 0xfffffdff, v0
                                        ; implicit-def: $vgpr40
	v_ashrrev_i32_e32 v12, 31, v11
	v_add_co_u32 v11, vcc_lo, v19, v11
	v_add_co_ci_u32_e64 v12, null, v20, v12, vcc_lo
.LBB160_135:
	s_andn2_saveexec_b32 s2, s2
	s_cbranch_execz .LBB160_137
; %bb.136:
	s_waitcnt lgkmcnt(6)
	v_add_co_u32 v11, vcc_lo, v15, v40
	v_add_co_ci_u32_e64 v12, null, 0, v17, vcc_lo
.LBB160_137:
	s_or_b32 exec_lo, exec_lo, s2
	s_waitcnt lgkmcnt(6)
	v_lshlrev_b64 v[11:12], 2, v[11:12]
	v_add_co_u32 v11, vcc_lo, s14, v11
	v_add_co_ci_u32_e64 v12, null, s15, v12, vcc_lo
	s_waitcnt lgkmcnt(5)
	global_store_dword v[11:12], v9, off
	s_or_b32 exec_lo, exec_lo, s1
	s_mov_b32 s1, exec_lo
	v_cmpx_gt_u32_e64 s25, v39
	s_cbranch_execnz .LBB160_169
.LBB160_138:
	s_or_b32 exec_lo, exec_lo, s1
	s_mov_b32 s1, exec_lo
	v_cmpx_gt_u32_e64 s25, v38
	s_cbranch_execz .LBB160_174
.LBB160_139:
	s_mov_b32 s2, exec_lo
                                        ; implicit-def: $vgpr9_vgpr10
	v_cmpx_ge_u32_e64 v38, v16
	s_xor_b32 s2, exec_lo, s2
	s_cbranch_execz .LBB160_141
; %bb.140:
	s_waitcnt lgkmcnt(5)
	v_xor_b32_e32 v9, 0xfffffbff, v0
                                        ; implicit-def: $vgpr38
	v_ashrrev_i32_e32 v10, 31, v9
	v_add_co_u32 v9, vcc_lo, v19, v9
	v_add_co_ci_u32_e64 v10, null, v20, v10, vcc_lo
.LBB160_141:
	s_andn2_saveexec_b32 s2, s2
	s_cbranch_execz .LBB160_143
; %bb.142:
	s_waitcnt lgkmcnt(5)
	v_add_co_u32 v9, vcc_lo, v15, v38
	v_add_co_ci_u32_e64 v10, null, 0, v17, vcc_lo
.LBB160_143:
	s_or_b32 exec_lo, exec_lo, s2
	s_waitcnt lgkmcnt(5)
	v_lshlrev_b64 v[9:10], 2, v[9:10]
	v_add_co_u32 v9, vcc_lo, s14, v9
	v_add_co_ci_u32_e64 v10, null, s15, v10, vcc_lo
	s_waitcnt lgkmcnt(4)
	global_store_dword v[9:10], v7, off
	s_or_b32 exec_lo, exec_lo, s1
	s_mov_b32 s1, exec_lo
	v_cmpx_gt_u32_e64 s25, v37
	s_cbranch_execnz .LBB160_175
.LBB160_144:
	s_or_b32 exec_lo, exec_lo, s1
	s_mov_b32 s1, exec_lo
	v_cmpx_gt_u32_e64 s25, v36
	s_cbranch_execz .LBB160_180
.LBB160_145:
	s_mov_b32 s2, exec_lo
                                        ; implicit-def: $vgpr7_vgpr8
	v_cmpx_ge_u32_e64 v36, v16
	s_xor_b32 s2, exec_lo, s2
	s_cbranch_execz .LBB160_147
; %bb.146:
	s_waitcnt lgkmcnt(4)
	v_xor_b32_e32 v7, 0xfffff9ff, v0
                                        ; implicit-def: $vgpr36
	v_ashrrev_i32_e32 v8, 31, v7
	v_add_co_u32 v7, vcc_lo, v19, v7
	v_add_co_ci_u32_e64 v8, null, v20, v8, vcc_lo
.LBB160_147:
	s_andn2_saveexec_b32 s2, s2
	s_cbranch_execz .LBB160_149
; %bb.148:
	s_waitcnt lgkmcnt(4)
	v_add_co_u32 v7, vcc_lo, v15, v36
	v_add_co_ci_u32_e64 v8, null, 0, v17, vcc_lo
.LBB160_149:
	s_or_b32 exec_lo, exec_lo, s2
	s_waitcnt lgkmcnt(4)
	v_lshlrev_b64 v[7:8], 2, v[7:8]
	v_add_co_u32 v7, vcc_lo, s14, v7
	v_add_co_ci_u32_e64 v8, null, s15, v8, vcc_lo
	s_waitcnt lgkmcnt(3)
	global_store_dword v[7:8], v5, off
	s_or_b32 exec_lo, exec_lo, s1
	s_mov_b32 s1, exec_lo
	v_cmpx_gt_u32_e64 s25, v35
	s_cbranch_execnz .LBB160_181
.LBB160_150:
	s_or_b32 exec_lo, exec_lo, s1
	s_mov_b32 s1, exec_lo
	v_cmpx_gt_u32_e64 s25, v34
	s_cbranch_execz .LBB160_186
.LBB160_151:
	s_mov_b32 s2, exec_lo
                                        ; implicit-def: $vgpr5_vgpr6
	v_cmpx_ge_u32_e64 v34, v16
	s_xor_b32 s2, exec_lo, s2
	s_cbranch_execz .LBB160_153
; %bb.152:
	s_waitcnt lgkmcnt(3)
	v_xor_b32_e32 v5, 0xfffff7ff, v0
                                        ; implicit-def: $vgpr34
	v_ashrrev_i32_e32 v6, 31, v5
	v_add_co_u32 v5, vcc_lo, v19, v5
	v_add_co_ci_u32_e64 v6, null, v20, v6, vcc_lo
.LBB160_153:
	s_andn2_saveexec_b32 s2, s2
	s_cbranch_execz .LBB160_155
; %bb.154:
	s_waitcnt lgkmcnt(3)
	v_add_co_u32 v5, vcc_lo, v15, v34
	v_add_co_ci_u32_e64 v6, null, 0, v17, vcc_lo
.LBB160_155:
	s_or_b32 exec_lo, exec_lo, s2
	s_waitcnt lgkmcnt(3)
	v_lshlrev_b64 v[5:6], 2, v[5:6]
	v_add_co_u32 v5, vcc_lo, s14, v5
	v_add_co_ci_u32_e64 v6, null, s15, v6, vcc_lo
	s_waitcnt lgkmcnt(2)
	global_store_dword v[5:6], v3, off
	s_or_b32 exec_lo, exec_lo, s1
	s_mov_b32 s1, exec_lo
	v_cmpx_gt_u32_e64 s25, v33
	s_cbranch_execnz .LBB160_187
.LBB160_156:
	s_or_b32 exec_lo, exec_lo, s1
	s_mov_b32 s1, exec_lo
	v_cmpx_gt_u32_e64 s25, v32
	s_cbranch_execz .LBB160_192
.LBB160_157:
	s_mov_b32 s2, exec_lo
                                        ; implicit-def: $vgpr3_vgpr4
	v_cmpx_ge_u32_e64 v32, v16
	s_xor_b32 s2, exec_lo, s2
	s_cbranch_execz .LBB160_159
; %bb.158:
	s_waitcnt lgkmcnt(2)
	v_xor_b32_e32 v3, 0xfffff5ff, v0
                                        ; implicit-def: $vgpr32
	v_ashrrev_i32_e32 v4, 31, v3
	v_add_co_u32 v3, vcc_lo, v19, v3
	v_add_co_ci_u32_e64 v4, null, v20, v4, vcc_lo
.LBB160_159:
	s_andn2_saveexec_b32 s2, s2
	s_cbranch_execz .LBB160_161
; %bb.160:
	s_waitcnt lgkmcnt(2)
	v_add_co_u32 v3, vcc_lo, v15, v32
	v_add_co_ci_u32_e64 v4, null, 0, v17, vcc_lo
.LBB160_161:
	s_or_b32 exec_lo, exec_lo, s2
	s_waitcnt lgkmcnt(2)
	v_lshlrev_b64 v[3:4], 2, v[3:4]
	v_add_co_u32 v3, vcc_lo, s14, v3
	v_add_co_ci_u32_e64 v4, null, s15, v4, vcc_lo
	s_waitcnt lgkmcnt(1)
	global_store_dword v[3:4], v1, off
	s_or_b32 exec_lo, exec_lo, s1
	s_mov_b32 s1, exec_lo
	v_cmpx_gt_u32_e64 s25, v31
	s_cbranch_execz .LBB160_198
	s_branch .LBB160_193
.LBB160_162:
	s_or_b32 exec_lo, exec_lo, s1
	s_mov_b32 s1, exec_lo
	v_cmpx_gt_u32_e64 s25, v41
	s_cbranch_execz .LBB160_132
.LBB160_163:
	s_mov_b32 s2, exec_lo
                                        ; implicit-def: $vgpr13_vgpr14
	v_cmpx_ge_u32_e64 v41, v16
	s_xor_b32 s2, exec_lo, s2
	s_cbranch_execz .LBB160_165
; %bb.164:
	s_waitcnt lgkmcnt(6)
	v_xor_b32_e32 v11, 0xfffffeff, v0
                                        ; implicit-def: $vgpr41
	v_ashrrev_i32_e32 v14, 31, v11
	v_add_co_u32 v13, vcc_lo, v19, v11
	v_add_co_ci_u32_e64 v14, null, v20, v14, vcc_lo
.LBB160_165:
	s_andn2_saveexec_b32 s2, s2
; %bb.166:
	v_add_co_u32 v13, vcc_lo, v15, v41
	v_add_co_ci_u32_e64 v14, null, 0, v17, vcc_lo
; %bb.167:
	s_or_b32 exec_lo, exec_lo, s2
	v_lshlrev_b64 v[13:14], 2, v[13:14]
	v_add_co_u32 v13, vcc_lo, s14, v13
	v_add_co_ci_u32_e64 v14, null, s15, v14, vcc_lo
	s_waitcnt lgkmcnt(6)
	global_store_dword v[13:14], v12, off
	s_or_b32 exec_lo, exec_lo, s1
	s_mov_b32 s1, exec_lo
	v_cmpx_gt_u32_e64 s25, v40
	s_cbranch_execnz .LBB160_133
.LBB160_168:
	s_or_b32 exec_lo, exec_lo, s1
	s_mov_b32 s1, exec_lo
	v_cmpx_gt_u32_e64 s25, v39
	s_cbranch_execz .LBB160_138
.LBB160_169:
	s_mov_b32 s2, exec_lo
                                        ; implicit-def: $vgpr11_vgpr12
	v_cmpx_ge_u32_e64 v39, v16
	s_xor_b32 s2, exec_lo, s2
	s_cbranch_execz .LBB160_171
; %bb.170:
	s_waitcnt lgkmcnt(5)
	v_xor_b32_e32 v9, 0xfffffcff, v0
                                        ; implicit-def: $vgpr39
	v_ashrrev_i32_e32 v12, 31, v9
	v_add_co_u32 v11, vcc_lo, v19, v9
	v_add_co_ci_u32_e64 v12, null, v20, v12, vcc_lo
.LBB160_171:
	s_andn2_saveexec_b32 s2, s2
	s_cbranch_execz .LBB160_173
; %bb.172:
	s_waitcnt lgkmcnt(6)
	v_add_co_u32 v11, vcc_lo, v15, v39
	v_add_co_ci_u32_e64 v12, null, 0, v17, vcc_lo
.LBB160_173:
	s_or_b32 exec_lo, exec_lo, s2
	s_waitcnt lgkmcnt(6)
	v_lshlrev_b64 v[11:12], 2, v[11:12]
	v_add_co_u32 v11, vcc_lo, s14, v11
	v_add_co_ci_u32_e64 v12, null, s15, v12, vcc_lo
	s_waitcnt lgkmcnt(5)
	global_store_dword v[11:12], v10, off
	s_or_b32 exec_lo, exec_lo, s1
	s_mov_b32 s1, exec_lo
	v_cmpx_gt_u32_e64 s25, v38
	s_cbranch_execnz .LBB160_139
.LBB160_174:
	s_or_b32 exec_lo, exec_lo, s1
	s_mov_b32 s1, exec_lo
	v_cmpx_gt_u32_e64 s25, v37
	s_cbranch_execz .LBB160_144
.LBB160_175:
	s_mov_b32 s2, exec_lo
                                        ; implicit-def: $vgpr9_vgpr10
	v_cmpx_ge_u32_e64 v37, v16
	s_xor_b32 s2, exec_lo, s2
	s_cbranch_execz .LBB160_177
; %bb.176:
	s_waitcnt lgkmcnt(4)
	v_xor_b32_e32 v7, 0xfffffaff, v0
                                        ; implicit-def: $vgpr37
	v_ashrrev_i32_e32 v10, 31, v7
	v_add_co_u32 v9, vcc_lo, v19, v7
	v_add_co_ci_u32_e64 v10, null, v20, v10, vcc_lo
.LBB160_177:
	s_andn2_saveexec_b32 s2, s2
	s_cbranch_execz .LBB160_179
; %bb.178:
	s_waitcnt lgkmcnt(5)
	v_add_co_u32 v9, vcc_lo, v15, v37
	v_add_co_ci_u32_e64 v10, null, 0, v17, vcc_lo
.LBB160_179:
	s_or_b32 exec_lo, exec_lo, s2
	s_waitcnt lgkmcnt(5)
	v_lshlrev_b64 v[9:10], 2, v[9:10]
	v_add_co_u32 v9, vcc_lo, s14, v9
	v_add_co_ci_u32_e64 v10, null, s15, v10, vcc_lo
	s_waitcnt lgkmcnt(4)
	global_store_dword v[9:10], v8, off
	s_or_b32 exec_lo, exec_lo, s1
	s_mov_b32 s1, exec_lo
	v_cmpx_gt_u32_e64 s25, v36
	s_cbranch_execnz .LBB160_145
.LBB160_180:
	s_or_b32 exec_lo, exec_lo, s1
	s_mov_b32 s1, exec_lo
	v_cmpx_gt_u32_e64 s25, v35
	s_cbranch_execz .LBB160_150
.LBB160_181:
	s_mov_b32 s2, exec_lo
                                        ; implicit-def: $vgpr7_vgpr8
	v_cmpx_ge_u32_e64 v35, v16
	s_xor_b32 s2, exec_lo, s2
	s_cbranch_execz .LBB160_183
; %bb.182:
	s_waitcnt lgkmcnt(3)
	v_xor_b32_e32 v5, 0xfffff8ff, v0
                                        ; implicit-def: $vgpr35
	v_ashrrev_i32_e32 v8, 31, v5
	v_add_co_u32 v7, vcc_lo, v19, v5
	v_add_co_ci_u32_e64 v8, null, v20, v8, vcc_lo
.LBB160_183:
	s_andn2_saveexec_b32 s2, s2
	s_cbranch_execz .LBB160_185
; %bb.184:
	s_waitcnt lgkmcnt(4)
	v_add_co_u32 v7, vcc_lo, v15, v35
	v_add_co_ci_u32_e64 v8, null, 0, v17, vcc_lo
.LBB160_185:
	s_or_b32 exec_lo, exec_lo, s2
	s_waitcnt lgkmcnt(4)
	v_lshlrev_b64 v[7:8], 2, v[7:8]
	v_add_co_u32 v7, vcc_lo, s14, v7
	v_add_co_ci_u32_e64 v8, null, s15, v8, vcc_lo
	s_waitcnt lgkmcnt(3)
	global_store_dword v[7:8], v6, off
	s_or_b32 exec_lo, exec_lo, s1
	s_mov_b32 s1, exec_lo
	v_cmpx_gt_u32_e64 s25, v34
	s_cbranch_execnz .LBB160_151
.LBB160_186:
	s_or_b32 exec_lo, exec_lo, s1
	s_mov_b32 s1, exec_lo
	v_cmpx_gt_u32_e64 s25, v33
	s_cbranch_execz .LBB160_156
.LBB160_187:
	s_mov_b32 s2, exec_lo
                                        ; implicit-def: $vgpr5_vgpr6
	v_cmpx_ge_u32_e64 v33, v16
	s_xor_b32 s2, exec_lo, s2
	s_cbranch_execz .LBB160_189
; %bb.188:
	s_waitcnt lgkmcnt(2)
	v_xor_b32_e32 v3, 0xfffff6ff, v0
                                        ; implicit-def: $vgpr33
	v_ashrrev_i32_e32 v6, 31, v3
	v_add_co_u32 v5, vcc_lo, v19, v3
	v_add_co_ci_u32_e64 v6, null, v20, v6, vcc_lo
.LBB160_189:
	s_andn2_saveexec_b32 s2, s2
	s_cbranch_execz .LBB160_191
; %bb.190:
	s_waitcnt lgkmcnt(3)
	v_add_co_u32 v5, vcc_lo, v15, v33
	v_add_co_ci_u32_e64 v6, null, 0, v17, vcc_lo
.LBB160_191:
	s_or_b32 exec_lo, exec_lo, s2
	s_waitcnt lgkmcnt(3)
	v_lshlrev_b64 v[5:6], 2, v[5:6]
	v_add_co_u32 v5, vcc_lo, s14, v5
	v_add_co_ci_u32_e64 v6, null, s15, v6, vcc_lo
	s_waitcnt lgkmcnt(2)
	global_store_dword v[5:6], v4, off
	s_or_b32 exec_lo, exec_lo, s1
	s_mov_b32 s1, exec_lo
	v_cmpx_gt_u32_e64 s25, v32
	s_cbranch_execnz .LBB160_157
.LBB160_192:
	s_or_b32 exec_lo, exec_lo, s1
	s_mov_b32 s1, exec_lo
	v_cmpx_gt_u32_e64 s25, v31
	s_cbranch_execz .LBB160_198
.LBB160_193:
	s_mov_b32 s2, exec_lo
                                        ; implicit-def: $vgpr3_vgpr4
	v_cmpx_ge_u32_e64 v31, v16
	s_xor_b32 s2, exec_lo, s2
	s_cbranch_execz .LBB160_195
; %bb.194:
	s_waitcnt lgkmcnt(1)
	v_xor_b32_e32 v1, 0xfffff4ff, v0
                                        ; implicit-def: $vgpr31
	v_ashrrev_i32_e32 v4, 31, v1
	v_add_co_u32 v3, vcc_lo, v19, v1
	v_add_co_ci_u32_e64 v4, null, v20, v4, vcc_lo
.LBB160_195:
	s_andn2_saveexec_b32 s2, s2
	s_cbranch_execz .LBB160_197
; %bb.196:
	s_waitcnt lgkmcnt(2)
	v_add_co_u32 v3, vcc_lo, v15, v31
	v_add_co_ci_u32_e64 v4, null, 0, v17, vcc_lo
.LBB160_197:
	s_or_b32 exec_lo, exec_lo, s2
	s_waitcnt lgkmcnt(2)
	v_lshlrev_b64 v[3:4], 2, v[3:4]
	v_add_co_u32 v3, vcc_lo, s14, v3
	v_add_co_ci_u32_e64 v4, null, s15, v4, vcc_lo
	s_waitcnt lgkmcnt(1)
	global_store_dword v[3:4], v2, off
.LBB160_198:
	s_or_b32 exec_lo, exec_lo, s1
	s_mov_b32 s1, exec_lo
                                        ; implicit-def: $vgpr13_vgpr14
	v_cmpx_gt_u32_e64 s25, v30
	s_cbranch_execz .LBB160_204
; %bb.199:
	s_mov_b32 s2, exec_lo
                                        ; implicit-def: $vgpr13_vgpr14
	v_cmpx_ge_u32_e64 v30, v16
	s_xor_b32 s2, exec_lo, s2
	s_cbranch_execz .LBB160_201
; %bb.200:
	s_waitcnt lgkmcnt(1)
	v_xor_b32_e32 v1, 0xfffff3ff, v0
                                        ; implicit-def: $vgpr30
	v_ashrrev_i32_e32 v2, 31, v1
	v_add_co_u32 v13, vcc_lo, v19, v1
	v_add_co_ci_u32_e64 v14, null, v20, v2, vcc_lo
.LBB160_201:
	s_andn2_saveexec_b32 s2, s2
; %bb.202:
	v_add_co_u32 v13, vcc_lo, v15, v30
	v_add_co_ci_u32_e64 v14, null, 0, v17, vcc_lo
; %bb.203:
	s_or_b32 exec_lo, exec_lo, s2
	s_or_b32 s0, s0, exec_lo
.LBB160_204:
	s_or_b32 exec_lo, exec_lo, s1
.LBB160_205:
	s_and_saveexec_b32 s1, s0
	s_cbranch_execz .LBB160_207
; %bb.206:
	s_waitcnt lgkmcnt(1)
	v_lshlrev_b64 v[1:2], 2, v[13:14]
	v_add_co_u32 v1, vcc_lo, s14, v1
	v_add_co_ci_u32_e64 v2, null, s15, v2, vcc_lo
	s_waitcnt lgkmcnt(0)
	global_store_dword v[1:2], v18, off
.LBB160_207:
	s_or_b32 exec_lo, exec_lo, s1
	v_cmp_eq_u32_e32 vcc_lo, 0, v0
	s_and_b32 s0, vcc_lo, s24
	s_and_saveexec_b32 s1, s0
	s_cbranch_execz .LBB160_209
; %bb.208:
	v_add_co_u32 v0, vcc_lo, v15, v16
	s_waitcnt lgkmcnt(1)
	v_mov_b32_e32 v2, 0
	v_add_co_ci_u32_e64 v1, null, 0, v17, vcc_lo
	global_store_dwordx2 v2, v[0:1], s[12:13]
.LBB160_209:
	s_endpgm
	.section	.rodata,"a",@progbits
	.p2align	6, 0x0
	.amdhsa_kernel _ZN7rocprim17ROCPRIM_400000_NS6detail17trampoline_kernelINS0_13select_configILj256ELj13ELNS0_17block_load_methodE3ELS4_3ELS4_3ELNS0_20block_scan_algorithmE0ELj4294967295EEENS1_25partition_config_selectorILNS1_17partition_subalgoE3EjNS0_10empty_typeEbEEZZNS1_14partition_implILS8_3ELb0ES6_jNS0_17counting_iteratorIjlEEPS9_SE_NS0_5tupleIJPjSE_EEENSF_IJSE_SE_EEES9_SG_JZNS1_25segmented_radix_sort_implINS0_14default_configELb0EPKhPhPKlPlN2at6native12_GLOBAL__N_18offset_tEEE10hipError_tPvRmT1_PNSt15iterator_traitsISY_E10value_typeET2_T3_PNSZ_IS14_E10value_typeET4_jRbjT5_S1A_jjP12ihipStream_tbEUljE_EEESV_SW_SX_S14_S18_S1A_T6_T7_T9_mT8_S1C_bDpT10_ENKUlT_T0_E_clISt17integral_constantIbLb0EES1P_EEDaS1K_S1L_EUlS1K_E_NS1_11comp_targetILNS1_3genE8ELNS1_11target_archE1030ELNS1_3gpuE2ELNS1_3repE0EEENS1_30default_config_static_selectorELNS0_4arch9wavefront6targetE0EEEvSY_
		.amdhsa_group_segment_fixed_size 13320
		.amdhsa_private_segment_fixed_size 0
		.amdhsa_kernarg_size 144
		.amdhsa_user_sgpr_count 6
		.amdhsa_user_sgpr_private_segment_buffer 1
		.amdhsa_user_sgpr_dispatch_ptr 0
		.amdhsa_user_sgpr_queue_ptr 0
		.amdhsa_user_sgpr_kernarg_segment_ptr 1
		.amdhsa_user_sgpr_dispatch_id 0
		.amdhsa_user_sgpr_flat_scratch_init 0
		.amdhsa_user_sgpr_private_segment_size 0
		.amdhsa_wavefront_size32 1
		.amdhsa_uses_dynamic_stack 0
		.amdhsa_system_sgpr_private_segment_wavefront_offset 0
		.amdhsa_system_sgpr_workgroup_id_x 1
		.amdhsa_system_sgpr_workgroup_id_y 0
		.amdhsa_system_sgpr_workgroup_id_z 0
		.amdhsa_system_sgpr_workgroup_info 0
		.amdhsa_system_vgpr_workitem_id 0
		.amdhsa_next_free_vgpr 69
		.amdhsa_next_free_sgpr 27
		.amdhsa_reserve_vcc 1
		.amdhsa_reserve_flat_scratch 0
		.amdhsa_float_round_mode_32 0
		.amdhsa_float_round_mode_16_64 0
		.amdhsa_float_denorm_mode_32 3
		.amdhsa_float_denorm_mode_16_64 3
		.amdhsa_dx10_clamp 1
		.amdhsa_ieee_mode 1
		.amdhsa_fp16_overflow 0
		.amdhsa_workgroup_processor_mode 1
		.amdhsa_memory_ordered 1
		.amdhsa_forward_progress 1
		.amdhsa_shared_vgpr_count 0
		.amdhsa_exception_fp_ieee_invalid_op 0
		.amdhsa_exception_fp_denorm_src 0
		.amdhsa_exception_fp_ieee_div_zero 0
		.amdhsa_exception_fp_ieee_overflow 0
		.amdhsa_exception_fp_ieee_underflow 0
		.amdhsa_exception_fp_ieee_inexact 0
		.amdhsa_exception_int_div_zero 0
	.end_amdhsa_kernel
	.section	.text._ZN7rocprim17ROCPRIM_400000_NS6detail17trampoline_kernelINS0_13select_configILj256ELj13ELNS0_17block_load_methodE3ELS4_3ELS4_3ELNS0_20block_scan_algorithmE0ELj4294967295EEENS1_25partition_config_selectorILNS1_17partition_subalgoE3EjNS0_10empty_typeEbEEZZNS1_14partition_implILS8_3ELb0ES6_jNS0_17counting_iteratorIjlEEPS9_SE_NS0_5tupleIJPjSE_EEENSF_IJSE_SE_EEES9_SG_JZNS1_25segmented_radix_sort_implINS0_14default_configELb0EPKhPhPKlPlN2at6native12_GLOBAL__N_18offset_tEEE10hipError_tPvRmT1_PNSt15iterator_traitsISY_E10value_typeET2_T3_PNSZ_IS14_E10value_typeET4_jRbjT5_S1A_jjP12ihipStream_tbEUljE_EEESV_SW_SX_S14_S18_S1A_T6_T7_T9_mT8_S1C_bDpT10_ENKUlT_T0_E_clISt17integral_constantIbLb0EES1P_EEDaS1K_S1L_EUlS1K_E_NS1_11comp_targetILNS1_3genE8ELNS1_11target_archE1030ELNS1_3gpuE2ELNS1_3repE0EEENS1_30default_config_static_selectorELNS0_4arch9wavefront6targetE0EEEvSY_,"axG",@progbits,_ZN7rocprim17ROCPRIM_400000_NS6detail17trampoline_kernelINS0_13select_configILj256ELj13ELNS0_17block_load_methodE3ELS4_3ELS4_3ELNS0_20block_scan_algorithmE0ELj4294967295EEENS1_25partition_config_selectorILNS1_17partition_subalgoE3EjNS0_10empty_typeEbEEZZNS1_14partition_implILS8_3ELb0ES6_jNS0_17counting_iteratorIjlEEPS9_SE_NS0_5tupleIJPjSE_EEENSF_IJSE_SE_EEES9_SG_JZNS1_25segmented_radix_sort_implINS0_14default_configELb0EPKhPhPKlPlN2at6native12_GLOBAL__N_18offset_tEEE10hipError_tPvRmT1_PNSt15iterator_traitsISY_E10value_typeET2_T3_PNSZ_IS14_E10value_typeET4_jRbjT5_S1A_jjP12ihipStream_tbEUljE_EEESV_SW_SX_S14_S18_S1A_T6_T7_T9_mT8_S1C_bDpT10_ENKUlT_T0_E_clISt17integral_constantIbLb0EES1P_EEDaS1K_S1L_EUlS1K_E_NS1_11comp_targetILNS1_3genE8ELNS1_11target_archE1030ELNS1_3gpuE2ELNS1_3repE0EEENS1_30default_config_static_selectorELNS0_4arch9wavefront6targetE0EEEvSY_,comdat
.Lfunc_end160:
	.size	_ZN7rocprim17ROCPRIM_400000_NS6detail17trampoline_kernelINS0_13select_configILj256ELj13ELNS0_17block_load_methodE3ELS4_3ELS4_3ELNS0_20block_scan_algorithmE0ELj4294967295EEENS1_25partition_config_selectorILNS1_17partition_subalgoE3EjNS0_10empty_typeEbEEZZNS1_14partition_implILS8_3ELb0ES6_jNS0_17counting_iteratorIjlEEPS9_SE_NS0_5tupleIJPjSE_EEENSF_IJSE_SE_EEES9_SG_JZNS1_25segmented_radix_sort_implINS0_14default_configELb0EPKhPhPKlPlN2at6native12_GLOBAL__N_18offset_tEEE10hipError_tPvRmT1_PNSt15iterator_traitsISY_E10value_typeET2_T3_PNSZ_IS14_E10value_typeET4_jRbjT5_S1A_jjP12ihipStream_tbEUljE_EEESV_SW_SX_S14_S18_S1A_T6_T7_T9_mT8_S1C_bDpT10_ENKUlT_T0_E_clISt17integral_constantIbLb0EES1P_EEDaS1K_S1L_EUlS1K_E_NS1_11comp_targetILNS1_3genE8ELNS1_11target_archE1030ELNS1_3gpuE2ELNS1_3repE0EEENS1_30default_config_static_selectorELNS0_4arch9wavefront6targetE0EEEvSY_, .Lfunc_end160-_ZN7rocprim17ROCPRIM_400000_NS6detail17trampoline_kernelINS0_13select_configILj256ELj13ELNS0_17block_load_methodE3ELS4_3ELS4_3ELNS0_20block_scan_algorithmE0ELj4294967295EEENS1_25partition_config_selectorILNS1_17partition_subalgoE3EjNS0_10empty_typeEbEEZZNS1_14partition_implILS8_3ELb0ES6_jNS0_17counting_iteratorIjlEEPS9_SE_NS0_5tupleIJPjSE_EEENSF_IJSE_SE_EEES9_SG_JZNS1_25segmented_radix_sort_implINS0_14default_configELb0EPKhPhPKlPlN2at6native12_GLOBAL__N_18offset_tEEE10hipError_tPvRmT1_PNSt15iterator_traitsISY_E10value_typeET2_T3_PNSZ_IS14_E10value_typeET4_jRbjT5_S1A_jjP12ihipStream_tbEUljE_EEESV_SW_SX_S14_S18_S1A_T6_T7_T9_mT8_S1C_bDpT10_ENKUlT_T0_E_clISt17integral_constantIbLb0EES1P_EEDaS1K_S1L_EUlS1K_E_NS1_11comp_targetILNS1_3genE8ELNS1_11target_archE1030ELNS1_3gpuE2ELNS1_3repE0EEENS1_30default_config_static_selectorELNS0_4arch9wavefront6targetE0EEEvSY_
                                        ; -- End function
	.set _ZN7rocprim17ROCPRIM_400000_NS6detail17trampoline_kernelINS0_13select_configILj256ELj13ELNS0_17block_load_methodE3ELS4_3ELS4_3ELNS0_20block_scan_algorithmE0ELj4294967295EEENS1_25partition_config_selectorILNS1_17partition_subalgoE3EjNS0_10empty_typeEbEEZZNS1_14partition_implILS8_3ELb0ES6_jNS0_17counting_iteratorIjlEEPS9_SE_NS0_5tupleIJPjSE_EEENSF_IJSE_SE_EEES9_SG_JZNS1_25segmented_radix_sort_implINS0_14default_configELb0EPKhPhPKlPlN2at6native12_GLOBAL__N_18offset_tEEE10hipError_tPvRmT1_PNSt15iterator_traitsISY_E10value_typeET2_T3_PNSZ_IS14_E10value_typeET4_jRbjT5_S1A_jjP12ihipStream_tbEUljE_EEESV_SW_SX_S14_S18_S1A_T6_T7_T9_mT8_S1C_bDpT10_ENKUlT_T0_E_clISt17integral_constantIbLb0EES1P_EEDaS1K_S1L_EUlS1K_E_NS1_11comp_targetILNS1_3genE8ELNS1_11target_archE1030ELNS1_3gpuE2ELNS1_3repE0EEENS1_30default_config_static_selectorELNS0_4arch9wavefront6targetE0EEEvSY_.num_vgpr, 69
	.set _ZN7rocprim17ROCPRIM_400000_NS6detail17trampoline_kernelINS0_13select_configILj256ELj13ELNS0_17block_load_methodE3ELS4_3ELS4_3ELNS0_20block_scan_algorithmE0ELj4294967295EEENS1_25partition_config_selectorILNS1_17partition_subalgoE3EjNS0_10empty_typeEbEEZZNS1_14partition_implILS8_3ELb0ES6_jNS0_17counting_iteratorIjlEEPS9_SE_NS0_5tupleIJPjSE_EEENSF_IJSE_SE_EEES9_SG_JZNS1_25segmented_radix_sort_implINS0_14default_configELb0EPKhPhPKlPlN2at6native12_GLOBAL__N_18offset_tEEE10hipError_tPvRmT1_PNSt15iterator_traitsISY_E10value_typeET2_T3_PNSZ_IS14_E10value_typeET4_jRbjT5_S1A_jjP12ihipStream_tbEUljE_EEESV_SW_SX_S14_S18_S1A_T6_T7_T9_mT8_S1C_bDpT10_ENKUlT_T0_E_clISt17integral_constantIbLb0EES1P_EEDaS1K_S1L_EUlS1K_E_NS1_11comp_targetILNS1_3genE8ELNS1_11target_archE1030ELNS1_3gpuE2ELNS1_3repE0EEENS1_30default_config_static_selectorELNS0_4arch9wavefront6targetE0EEEvSY_.num_agpr, 0
	.set _ZN7rocprim17ROCPRIM_400000_NS6detail17trampoline_kernelINS0_13select_configILj256ELj13ELNS0_17block_load_methodE3ELS4_3ELS4_3ELNS0_20block_scan_algorithmE0ELj4294967295EEENS1_25partition_config_selectorILNS1_17partition_subalgoE3EjNS0_10empty_typeEbEEZZNS1_14partition_implILS8_3ELb0ES6_jNS0_17counting_iteratorIjlEEPS9_SE_NS0_5tupleIJPjSE_EEENSF_IJSE_SE_EEES9_SG_JZNS1_25segmented_radix_sort_implINS0_14default_configELb0EPKhPhPKlPlN2at6native12_GLOBAL__N_18offset_tEEE10hipError_tPvRmT1_PNSt15iterator_traitsISY_E10value_typeET2_T3_PNSZ_IS14_E10value_typeET4_jRbjT5_S1A_jjP12ihipStream_tbEUljE_EEESV_SW_SX_S14_S18_S1A_T6_T7_T9_mT8_S1C_bDpT10_ENKUlT_T0_E_clISt17integral_constantIbLb0EES1P_EEDaS1K_S1L_EUlS1K_E_NS1_11comp_targetILNS1_3genE8ELNS1_11target_archE1030ELNS1_3gpuE2ELNS1_3repE0EEENS1_30default_config_static_selectorELNS0_4arch9wavefront6targetE0EEEvSY_.numbered_sgpr, 27
	.set _ZN7rocprim17ROCPRIM_400000_NS6detail17trampoline_kernelINS0_13select_configILj256ELj13ELNS0_17block_load_methodE3ELS4_3ELS4_3ELNS0_20block_scan_algorithmE0ELj4294967295EEENS1_25partition_config_selectorILNS1_17partition_subalgoE3EjNS0_10empty_typeEbEEZZNS1_14partition_implILS8_3ELb0ES6_jNS0_17counting_iteratorIjlEEPS9_SE_NS0_5tupleIJPjSE_EEENSF_IJSE_SE_EEES9_SG_JZNS1_25segmented_radix_sort_implINS0_14default_configELb0EPKhPhPKlPlN2at6native12_GLOBAL__N_18offset_tEEE10hipError_tPvRmT1_PNSt15iterator_traitsISY_E10value_typeET2_T3_PNSZ_IS14_E10value_typeET4_jRbjT5_S1A_jjP12ihipStream_tbEUljE_EEESV_SW_SX_S14_S18_S1A_T6_T7_T9_mT8_S1C_bDpT10_ENKUlT_T0_E_clISt17integral_constantIbLb0EES1P_EEDaS1K_S1L_EUlS1K_E_NS1_11comp_targetILNS1_3genE8ELNS1_11target_archE1030ELNS1_3gpuE2ELNS1_3repE0EEENS1_30default_config_static_selectorELNS0_4arch9wavefront6targetE0EEEvSY_.num_named_barrier, 0
	.set _ZN7rocprim17ROCPRIM_400000_NS6detail17trampoline_kernelINS0_13select_configILj256ELj13ELNS0_17block_load_methodE3ELS4_3ELS4_3ELNS0_20block_scan_algorithmE0ELj4294967295EEENS1_25partition_config_selectorILNS1_17partition_subalgoE3EjNS0_10empty_typeEbEEZZNS1_14partition_implILS8_3ELb0ES6_jNS0_17counting_iteratorIjlEEPS9_SE_NS0_5tupleIJPjSE_EEENSF_IJSE_SE_EEES9_SG_JZNS1_25segmented_radix_sort_implINS0_14default_configELb0EPKhPhPKlPlN2at6native12_GLOBAL__N_18offset_tEEE10hipError_tPvRmT1_PNSt15iterator_traitsISY_E10value_typeET2_T3_PNSZ_IS14_E10value_typeET4_jRbjT5_S1A_jjP12ihipStream_tbEUljE_EEESV_SW_SX_S14_S18_S1A_T6_T7_T9_mT8_S1C_bDpT10_ENKUlT_T0_E_clISt17integral_constantIbLb0EES1P_EEDaS1K_S1L_EUlS1K_E_NS1_11comp_targetILNS1_3genE8ELNS1_11target_archE1030ELNS1_3gpuE2ELNS1_3repE0EEENS1_30default_config_static_selectorELNS0_4arch9wavefront6targetE0EEEvSY_.private_seg_size, 0
	.set _ZN7rocprim17ROCPRIM_400000_NS6detail17trampoline_kernelINS0_13select_configILj256ELj13ELNS0_17block_load_methodE3ELS4_3ELS4_3ELNS0_20block_scan_algorithmE0ELj4294967295EEENS1_25partition_config_selectorILNS1_17partition_subalgoE3EjNS0_10empty_typeEbEEZZNS1_14partition_implILS8_3ELb0ES6_jNS0_17counting_iteratorIjlEEPS9_SE_NS0_5tupleIJPjSE_EEENSF_IJSE_SE_EEES9_SG_JZNS1_25segmented_radix_sort_implINS0_14default_configELb0EPKhPhPKlPlN2at6native12_GLOBAL__N_18offset_tEEE10hipError_tPvRmT1_PNSt15iterator_traitsISY_E10value_typeET2_T3_PNSZ_IS14_E10value_typeET4_jRbjT5_S1A_jjP12ihipStream_tbEUljE_EEESV_SW_SX_S14_S18_S1A_T6_T7_T9_mT8_S1C_bDpT10_ENKUlT_T0_E_clISt17integral_constantIbLb0EES1P_EEDaS1K_S1L_EUlS1K_E_NS1_11comp_targetILNS1_3genE8ELNS1_11target_archE1030ELNS1_3gpuE2ELNS1_3repE0EEENS1_30default_config_static_selectorELNS0_4arch9wavefront6targetE0EEEvSY_.uses_vcc, 1
	.set _ZN7rocprim17ROCPRIM_400000_NS6detail17trampoline_kernelINS0_13select_configILj256ELj13ELNS0_17block_load_methodE3ELS4_3ELS4_3ELNS0_20block_scan_algorithmE0ELj4294967295EEENS1_25partition_config_selectorILNS1_17partition_subalgoE3EjNS0_10empty_typeEbEEZZNS1_14partition_implILS8_3ELb0ES6_jNS0_17counting_iteratorIjlEEPS9_SE_NS0_5tupleIJPjSE_EEENSF_IJSE_SE_EEES9_SG_JZNS1_25segmented_radix_sort_implINS0_14default_configELb0EPKhPhPKlPlN2at6native12_GLOBAL__N_18offset_tEEE10hipError_tPvRmT1_PNSt15iterator_traitsISY_E10value_typeET2_T3_PNSZ_IS14_E10value_typeET4_jRbjT5_S1A_jjP12ihipStream_tbEUljE_EEESV_SW_SX_S14_S18_S1A_T6_T7_T9_mT8_S1C_bDpT10_ENKUlT_T0_E_clISt17integral_constantIbLb0EES1P_EEDaS1K_S1L_EUlS1K_E_NS1_11comp_targetILNS1_3genE8ELNS1_11target_archE1030ELNS1_3gpuE2ELNS1_3repE0EEENS1_30default_config_static_selectorELNS0_4arch9wavefront6targetE0EEEvSY_.uses_flat_scratch, 0
	.set _ZN7rocprim17ROCPRIM_400000_NS6detail17trampoline_kernelINS0_13select_configILj256ELj13ELNS0_17block_load_methodE3ELS4_3ELS4_3ELNS0_20block_scan_algorithmE0ELj4294967295EEENS1_25partition_config_selectorILNS1_17partition_subalgoE3EjNS0_10empty_typeEbEEZZNS1_14partition_implILS8_3ELb0ES6_jNS0_17counting_iteratorIjlEEPS9_SE_NS0_5tupleIJPjSE_EEENSF_IJSE_SE_EEES9_SG_JZNS1_25segmented_radix_sort_implINS0_14default_configELb0EPKhPhPKlPlN2at6native12_GLOBAL__N_18offset_tEEE10hipError_tPvRmT1_PNSt15iterator_traitsISY_E10value_typeET2_T3_PNSZ_IS14_E10value_typeET4_jRbjT5_S1A_jjP12ihipStream_tbEUljE_EEESV_SW_SX_S14_S18_S1A_T6_T7_T9_mT8_S1C_bDpT10_ENKUlT_T0_E_clISt17integral_constantIbLb0EES1P_EEDaS1K_S1L_EUlS1K_E_NS1_11comp_targetILNS1_3genE8ELNS1_11target_archE1030ELNS1_3gpuE2ELNS1_3repE0EEENS1_30default_config_static_selectorELNS0_4arch9wavefront6targetE0EEEvSY_.has_dyn_sized_stack, 0
	.set _ZN7rocprim17ROCPRIM_400000_NS6detail17trampoline_kernelINS0_13select_configILj256ELj13ELNS0_17block_load_methodE3ELS4_3ELS4_3ELNS0_20block_scan_algorithmE0ELj4294967295EEENS1_25partition_config_selectorILNS1_17partition_subalgoE3EjNS0_10empty_typeEbEEZZNS1_14partition_implILS8_3ELb0ES6_jNS0_17counting_iteratorIjlEEPS9_SE_NS0_5tupleIJPjSE_EEENSF_IJSE_SE_EEES9_SG_JZNS1_25segmented_radix_sort_implINS0_14default_configELb0EPKhPhPKlPlN2at6native12_GLOBAL__N_18offset_tEEE10hipError_tPvRmT1_PNSt15iterator_traitsISY_E10value_typeET2_T3_PNSZ_IS14_E10value_typeET4_jRbjT5_S1A_jjP12ihipStream_tbEUljE_EEESV_SW_SX_S14_S18_S1A_T6_T7_T9_mT8_S1C_bDpT10_ENKUlT_T0_E_clISt17integral_constantIbLb0EES1P_EEDaS1K_S1L_EUlS1K_E_NS1_11comp_targetILNS1_3genE8ELNS1_11target_archE1030ELNS1_3gpuE2ELNS1_3repE0EEENS1_30default_config_static_selectorELNS0_4arch9wavefront6targetE0EEEvSY_.has_recursion, 0
	.set _ZN7rocprim17ROCPRIM_400000_NS6detail17trampoline_kernelINS0_13select_configILj256ELj13ELNS0_17block_load_methodE3ELS4_3ELS4_3ELNS0_20block_scan_algorithmE0ELj4294967295EEENS1_25partition_config_selectorILNS1_17partition_subalgoE3EjNS0_10empty_typeEbEEZZNS1_14partition_implILS8_3ELb0ES6_jNS0_17counting_iteratorIjlEEPS9_SE_NS0_5tupleIJPjSE_EEENSF_IJSE_SE_EEES9_SG_JZNS1_25segmented_radix_sort_implINS0_14default_configELb0EPKhPhPKlPlN2at6native12_GLOBAL__N_18offset_tEEE10hipError_tPvRmT1_PNSt15iterator_traitsISY_E10value_typeET2_T3_PNSZ_IS14_E10value_typeET4_jRbjT5_S1A_jjP12ihipStream_tbEUljE_EEESV_SW_SX_S14_S18_S1A_T6_T7_T9_mT8_S1C_bDpT10_ENKUlT_T0_E_clISt17integral_constantIbLb0EES1P_EEDaS1K_S1L_EUlS1K_E_NS1_11comp_targetILNS1_3genE8ELNS1_11target_archE1030ELNS1_3gpuE2ELNS1_3repE0EEENS1_30default_config_static_selectorELNS0_4arch9wavefront6targetE0EEEvSY_.has_indirect_call, 0
	.section	.AMDGPU.csdata,"",@progbits
; Kernel info:
; codeLenInByte = 8564
; TotalNumSgprs: 29
; NumVgprs: 69
; ScratchSize: 0
; MemoryBound: 0
; FloatMode: 240
; IeeeMode: 1
; LDSByteSize: 13320 bytes/workgroup (compile time only)
; SGPRBlocks: 0
; VGPRBlocks: 8
; NumSGPRsForWavesPerEU: 29
; NumVGPRsForWavesPerEU: 69
; Occupancy: 12
; WaveLimiterHint : 0
; COMPUTE_PGM_RSRC2:SCRATCH_EN: 0
; COMPUTE_PGM_RSRC2:USER_SGPR: 6
; COMPUTE_PGM_RSRC2:TRAP_HANDLER: 0
; COMPUTE_PGM_RSRC2:TGID_X_EN: 1
; COMPUTE_PGM_RSRC2:TGID_Y_EN: 0
; COMPUTE_PGM_RSRC2:TGID_Z_EN: 0
; COMPUTE_PGM_RSRC2:TIDIG_COMP_CNT: 0
	.section	.text._ZN7rocprim17ROCPRIM_400000_NS6detail17trampoline_kernelINS0_13select_configILj256ELj13ELNS0_17block_load_methodE3ELS4_3ELS4_3ELNS0_20block_scan_algorithmE0ELj4294967295EEENS1_25partition_config_selectorILNS1_17partition_subalgoE3EjNS0_10empty_typeEbEEZZNS1_14partition_implILS8_3ELb0ES6_jNS0_17counting_iteratorIjlEEPS9_SE_NS0_5tupleIJPjSE_EEENSF_IJSE_SE_EEES9_SG_JZNS1_25segmented_radix_sort_implINS0_14default_configELb0EPKhPhPKlPlN2at6native12_GLOBAL__N_18offset_tEEE10hipError_tPvRmT1_PNSt15iterator_traitsISY_E10value_typeET2_T3_PNSZ_IS14_E10value_typeET4_jRbjT5_S1A_jjP12ihipStream_tbEUljE_EEESV_SW_SX_S14_S18_S1A_T6_T7_T9_mT8_S1C_bDpT10_ENKUlT_T0_E_clISt17integral_constantIbLb1EES1P_EEDaS1K_S1L_EUlS1K_E_NS1_11comp_targetILNS1_3genE0ELNS1_11target_archE4294967295ELNS1_3gpuE0ELNS1_3repE0EEENS1_30default_config_static_selectorELNS0_4arch9wavefront6targetE0EEEvSY_,"axG",@progbits,_ZN7rocprim17ROCPRIM_400000_NS6detail17trampoline_kernelINS0_13select_configILj256ELj13ELNS0_17block_load_methodE3ELS4_3ELS4_3ELNS0_20block_scan_algorithmE0ELj4294967295EEENS1_25partition_config_selectorILNS1_17partition_subalgoE3EjNS0_10empty_typeEbEEZZNS1_14partition_implILS8_3ELb0ES6_jNS0_17counting_iteratorIjlEEPS9_SE_NS0_5tupleIJPjSE_EEENSF_IJSE_SE_EEES9_SG_JZNS1_25segmented_radix_sort_implINS0_14default_configELb0EPKhPhPKlPlN2at6native12_GLOBAL__N_18offset_tEEE10hipError_tPvRmT1_PNSt15iterator_traitsISY_E10value_typeET2_T3_PNSZ_IS14_E10value_typeET4_jRbjT5_S1A_jjP12ihipStream_tbEUljE_EEESV_SW_SX_S14_S18_S1A_T6_T7_T9_mT8_S1C_bDpT10_ENKUlT_T0_E_clISt17integral_constantIbLb1EES1P_EEDaS1K_S1L_EUlS1K_E_NS1_11comp_targetILNS1_3genE0ELNS1_11target_archE4294967295ELNS1_3gpuE0ELNS1_3repE0EEENS1_30default_config_static_selectorELNS0_4arch9wavefront6targetE0EEEvSY_,comdat
	.globl	_ZN7rocprim17ROCPRIM_400000_NS6detail17trampoline_kernelINS0_13select_configILj256ELj13ELNS0_17block_load_methodE3ELS4_3ELS4_3ELNS0_20block_scan_algorithmE0ELj4294967295EEENS1_25partition_config_selectorILNS1_17partition_subalgoE3EjNS0_10empty_typeEbEEZZNS1_14partition_implILS8_3ELb0ES6_jNS0_17counting_iteratorIjlEEPS9_SE_NS0_5tupleIJPjSE_EEENSF_IJSE_SE_EEES9_SG_JZNS1_25segmented_radix_sort_implINS0_14default_configELb0EPKhPhPKlPlN2at6native12_GLOBAL__N_18offset_tEEE10hipError_tPvRmT1_PNSt15iterator_traitsISY_E10value_typeET2_T3_PNSZ_IS14_E10value_typeET4_jRbjT5_S1A_jjP12ihipStream_tbEUljE_EEESV_SW_SX_S14_S18_S1A_T6_T7_T9_mT8_S1C_bDpT10_ENKUlT_T0_E_clISt17integral_constantIbLb1EES1P_EEDaS1K_S1L_EUlS1K_E_NS1_11comp_targetILNS1_3genE0ELNS1_11target_archE4294967295ELNS1_3gpuE0ELNS1_3repE0EEENS1_30default_config_static_selectorELNS0_4arch9wavefront6targetE0EEEvSY_ ; -- Begin function _ZN7rocprim17ROCPRIM_400000_NS6detail17trampoline_kernelINS0_13select_configILj256ELj13ELNS0_17block_load_methodE3ELS4_3ELS4_3ELNS0_20block_scan_algorithmE0ELj4294967295EEENS1_25partition_config_selectorILNS1_17partition_subalgoE3EjNS0_10empty_typeEbEEZZNS1_14partition_implILS8_3ELb0ES6_jNS0_17counting_iteratorIjlEEPS9_SE_NS0_5tupleIJPjSE_EEENSF_IJSE_SE_EEES9_SG_JZNS1_25segmented_radix_sort_implINS0_14default_configELb0EPKhPhPKlPlN2at6native12_GLOBAL__N_18offset_tEEE10hipError_tPvRmT1_PNSt15iterator_traitsISY_E10value_typeET2_T3_PNSZ_IS14_E10value_typeET4_jRbjT5_S1A_jjP12ihipStream_tbEUljE_EEESV_SW_SX_S14_S18_S1A_T6_T7_T9_mT8_S1C_bDpT10_ENKUlT_T0_E_clISt17integral_constantIbLb1EES1P_EEDaS1K_S1L_EUlS1K_E_NS1_11comp_targetILNS1_3genE0ELNS1_11target_archE4294967295ELNS1_3gpuE0ELNS1_3repE0EEENS1_30default_config_static_selectorELNS0_4arch9wavefront6targetE0EEEvSY_
	.p2align	8
	.type	_ZN7rocprim17ROCPRIM_400000_NS6detail17trampoline_kernelINS0_13select_configILj256ELj13ELNS0_17block_load_methodE3ELS4_3ELS4_3ELNS0_20block_scan_algorithmE0ELj4294967295EEENS1_25partition_config_selectorILNS1_17partition_subalgoE3EjNS0_10empty_typeEbEEZZNS1_14partition_implILS8_3ELb0ES6_jNS0_17counting_iteratorIjlEEPS9_SE_NS0_5tupleIJPjSE_EEENSF_IJSE_SE_EEES9_SG_JZNS1_25segmented_radix_sort_implINS0_14default_configELb0EPKhPhPKlPlN2at6native12_GLOBAL__N_18offset_tEEE10hipError_tPvRmT1_PNSt15iterator_traitsISY_E10value_typeET2_T3_PNSZ_IS14_E10value_typeET4_jRbjT5_S1A_jjP12ihipStream_tbEUljE_EEESV_SW_SX_S14_S18_S1A_T6_T7_T9_mT8_S1C_bDpT10_ENKUlT_T0_E_clISt17integral_constantIbLb1EES1P_EEDaS1K_S1L_EUlS1K_E_NS1_11comp_targetILNS1_3genE0ELNS1_11target_archE4294967295ELNS1_3gpuE0ELNS1_3repE0EEENS1_30default_config_static_selectorELNS0_4arch9wavefront6targetE0EEEvSY_,@function
_ZN7rocprim17ROCPRIM_400000_NS6detail17trampoline_kernelINS0_13select_configILj256ELj13ELNS0_17block_load_methodE3ELS4_3ELS4_3ELNS0_20block_scan_algorithmE0ELj4294967295EEENS1_25partition_config_selectorILNS1_17partition_subalgoE3EjNS0_10empty_typeEbEEZZNS1_14partition_implILS8_3ELb0ES6_jNS0_17counting_iteratorIjlEEPS9_SE_NS0_5tupleIJPjSE_EEENSF_IJSE_SE_EEES9_SG_JZNS1_25segmented_radix_sort_implINS0_14default_configELb0EPKhPhPKlPlN2at6native12_GLOBAL__N_18offset_tEEE10hipError_tPvRmT1_PNSt15iterator_traitsISY_E10value_typeET2_T3_PNSZ_IS14_E10value_typeET4_jRbjT5_S1A_jjP12ihipStream_tbEUljE_EEESV_SW_SX_S14_S18_S1A_T6_T7_T9_mT8_S1C_bDpT10_ENKUlT_T0_E_clISt17integral_constantIbLb1EES1P_EEDaS1K_S1L_EUlS1K_E_NS1_11comp_targetILNS1_3genE0ELNS1_11target_archE4294967295ELNS1_3gpuE0ELNS1_3repE0EEENS1_30default_config_static_selectorELNS0_4arch9wavefront6targetE0EEEvSY_: ; @_ZN7rocprim17ROCPRIM_400000_NS6detail17trampoline_kernelINS0_13select_configILj256ELj13ELNS0_17block_load_methodE3ELS4_3ELS4_3ELNS0_20block_scan_algorithmE0ELj4294967295EEENS1_25partition_config_selectorILNS1_17partition_subalgoE3EjNS0_10empty_typeEbEEZZNS1_14partition_implILS8_3ELb0ES6_jNS0_17counting_iteratorIjlEEPS9_SE_NS0_5tupleIJPjSE_EEENSF_IJSE_SE_EEES9_SG_JZNS1_25segmented_radix_sort_implINS0_14default_configELb0EPKhPhPKlPlN2at6native12_GLOBAL__N_18offset_tEEE10hipError_tPvRmT1_PNSt15iterator_traitsISY_E10value_typeET2_T3_PNSZ_IS14_E10value_typeET4_jRbjT5_S1A_jjP12ihipStream_tbEUljE_EEESV_SW_SX_S14_S18_S1A_T6_T7_T9_mT8_S1C_bDpT10_ENKUlT_T0_E_clISt17integral_constantIbLb1EES1P_EEDaS1K_S1L_EUlS1K_E_NS1_11comp_targetILNS1_3genE0ELNS1_11target_archE4294967295ELNS1_3gpuE0ELNS1_3repE0EEENS1_30default_config_static_selectorELNS0_4arch9wavefront6targetE0EEEvSY_
; %bb.0:
	.section	.rodata,"a",@progbits
	.p2align	6, 0x0
	.amdhsa_kernel _ZN7rocprim17ROCPRIM_400000_NS6detail17trampoline_kernelINS0_13select_configILj256ELj13ELNS0_17block_load_methodE3ELS4_3ELS4_3ELNS0_20block_scan_algorithmE0ELj4294967295EEENS1_25partition_config_selectorILNS1_17partition_subalgoE3EjNS0_10empty_typeEbEEZZNS1_14partition_implILS8_3ELb0ES6_jNS0_17counting_iteratorIjlEEPS9_SE_NS0_5tupleIJPjSE_EEENSF_IJSE_SE_EEES9_SG_JZNS1_25segmented_radix_sort_implINS0_14default_configELb0EPKhPhPKlPlN2at6native12_GLOBAL__N_18offset_tEEE10hipError_tPvRmT1_PNSt15iterator_traitsISY_E10value_typeET2_T3_PNSZ_IS14_E10value_typeET4_jRbjT5_S1A_jjP12ihipStream_tbEUljE_EEESV_SW_SX_S14_S18_S1A_T6_T7_T9_mT8_S1C_bDpT10_ENKUlT_T0_E_clISt17integral_constantIbLb1EES1P_EEDaS1K_S1L_EUlS1K_E_NS1_11comp_targetILNS1_3genE0ELNS1_11target_archE4294967295ELNS1_3gpuE0ELNS1_3repE0EEENS1_30default_config_static_selectorELNS0_4arch9wavefront6targetE0EEEvSY_
		.amdhsa_group_segment_fixed_size 0
		.amdhsa_private_segment_fixed_size 0
		.amdhsa_kernarg_size 152
		.amdhsa_user_sgpr_count 6
		.amdhsa_user_sgpr_private_segment_buffer 1
		.amdhsa_user_sgpr_dispatch_ptr 0
		.amdhsa_user_sgpr_queue_ptr 0
		.amdhsa_user_sgpr_kernarg_segment_ptr 1
		.amdhsa_user_sgpr_dispatch_id 0
		.amdhsa_user_sgpr_flat_scratch_init 0
		.amdhsa_user_sgpr_private_segment_size 0
		.amdhsa_wavefront_size32 1
		.amdhsa_uses_dynamic_stack 0
		.amdhsa_system_sgpr_private_segment_wavefront_offset 0
		.amdhsa_system_sgpr_workgroup_id_x 1
		.amdhsa_system_sgpr_workgroup_id_y 0
		.amdhsa_system_sgpr_workgroup_id_z 0
		.amdhsa_system_sgpr_workgroup_info 0
		.amdhsa_system_vgpr_workitem_id 0
		.amdhsa_next_free_vgpr 1
		.amdhsa_next_free_sgpr 1
		.amdhsa_reserve_vcc 0
		.amdhsa_reserve_flat_scratch 0
		.amdhsa_float_round_mode_32 0
		.amdhsa_float_round_mode_16_64 0
		.amdhsa_float_denorm_mode_32 3
		.amdhsa_float_denorm_mode_16_64 3
		.amdhsa_dx10_clamp 1
		.amdhsa_ieee_mode 1
		.amdhsa_fp16_overflow 0
		.amdhsa_workgroup_processor_mode 1
		.amdhsa_memory_ordered 1
		.amdhsa_forward_progress 1
		.amdhsa_shared_vgpr_count 0
		.amdhsa_exception_fp_ieee_invalid_op 0
		.amdhsa_exception_fp_denorm_src 0
		.amdhsa_exception_fp_ieee_div_zero 0
		.amdhsa_exception_fp_ieee_overflow 0
		.amdhsa_exception_fp_ieee_underflow 0
		.amdhsa_exception_fp_ieee_inexact 0
		.amdhsa_exception_int_div_zero 0
	.end_amdhsa_kernel
	.section	.text._ZN7rocprim17ROCPRIM_400000_NS6detail17trampoline_kernelINS0_13select_configILj256ELj13ELNS0_17block_load_methodE3ELS4_3ELS4_3ELNS0_20block_scan_algorithmE0ELj4294967295EEENS1_25partition_config_selectorILNS1_17partition_subalgoE3EjNS0_10empty_typeEbEEZZNS1_14partition_implILS8_3ELb0ES6_jNS0_17counting_iteratorIjlEEPS9_SE_NS0_5tupleIJPjSE_EEENSF_IJSE_SE_EEES9_SG_JZNS1_25segmented_radix_sort_implINS0_14default_configELb0EPKhPhPKlPlN2at6native12_GLOBAL__N_18offset_tEEE10hipError_tPvRmT1_PNSt15iterator_traitsISY_E10value_typeET2_T3_PNSZ_IS14_E10value_typeET4_jRbjT5_S1A_jjP12ihipStream_tbEUljE_EEESV_SW_SX_S14_S18_S1A_T6_T7_T9_mT8_S1C_bDpT10_ENKUlT_T0_E_clISt17integral_constantIbLb1EES1P_EEDaS1K_S1L_EUlS1K_E_NS1_11comp_targetILNS1_3genE0ELNS1_11target_archE4294967295ELNS1_3gpuE0ELNS1_3repE0EEENS1_30default_config_static_selectorELNS0_4arch9wavefront6targetE0EEEvSY_,"axG",@progbits,_ZN7rocprim17ROCPRIM_400000_NS6detail17trampoline_kernelINS0_13select_configILj256ELj13ELNS0_17block_load_methodE3ELS4_3ELS4_3ELNS0_20block_scan_algorithmE0ELj4294967295EEENS1_25partition_config_selectorILNS1_17partition_subalgoE3EjNS0_10empty_typeEbEEZZNS1_14partition_implILS8_3ELb0ES6_jNS0_17counting_iteratorIjlEEPS9_SE_NS0_5tupleIJPjSE_EEENSF_IJSE_SE_EEES9_SG_JZNS1_25segmented_radix_sort_implINS0_14default_configELb0EPKhPhPKlPlN2at6native12_GLOBAL__N_18offset_tEEE10hipError_tPvRmT1_PNSt15iterator_traitsISY_E10value_typeET2_T3_PNSZ_IS14_E10value_typeET4_jRbjT5_S1A_jjP12ihipStream_tbEUljE_EEESV_SW_SX_S14_S18_S1A_T6_T7_T9_mT8_S1C_bDpT10_ENKUlT_T0_E_clISt17integral_constantIbLb1EES1P_EEDaS1K_S1L_EUlS1K_E_NS1_11comp_targetILNS1_3genE0ELNS1_11target_archE4294967295ELNS1_3gpuE0ELNS1_3repE0EEENS1_30default_config_static_selectorELNS0_4arch9wavefront6targetE0EEEvSY_,comdat
.Lfunc_end161:
	.size	_ZN7rocprim17ROCPRIM_400000_NS6detail17trampoline_kernelINS0_13select_configILj256ELj13ELNS0_17block_load_methodE3ELS4_3ELS4_3ELNS0_20block_scan_algorithmE0ELj4294967295EEENS1_25partition_config_selectorILNS1_17partition_subalgoE3EjNS0_10empty_typeEbEEZZNS1_14partition_implILS8_3ELb0ES6_jNS0_17counting_iteratorIjlEEPS9_SE_NS0_5tupleIJPjSE_EEENSF_IJSE_SE_EEES9_SG_JZNS1_25segmented_radix_sort_implINS0_14default_configELb0EPKhPhPKlPlN2at6native12_GLOBAL__N_18offset_tEEE10hipError_tPvRmT1_PNSt15iterator_traitsISY_E10value_typeET2_T3_PNSZ_IS14_E10value_typeET4_jRbjT5_S1A_jjP12ihipStream_tbEUljE_EEESV_SW_SX_S14_S18_S1A_T6_T7_T9_mT8_S1C_bDpT10_ENKUlT_T0_E_clISt17integral_constantIbLb1EES1P_EEDaS1K_S1L_EUlS1K_E_NS1_11comp_targetILNS1_3genE0ELNS1_11target_archE4294967295ELNS1_3gpuE0ELNS1_3repE0EEENS1_30default_config_static_selectorELNS0_4arch9wavefront6targetE0EEEvSY_, .Lfunc_end161-_ZN7rocprim17ROCPRIM_400000_NS6detail17trampoline_kernelINS0_13select_configILj256ELj13ELNS0_17block_load_methodE3ELS4_3ELS4_3ELNS0_20block_scan_algorithmE0ELj4294967295EEENS1_25partition_config_selectorILNS1_17partition_subalgoE3EjNS0_10empty_typeEbEEZZNS1_14partition_implILS8_3ELb0ES6_jNS0_17counting_iteratorIjlEEPS9_SE_NS0_5tupleIJPjSE_EEENSF_IJSE_SE_EEES9_SG_JZNS1_25segmented_radix_sort_implINS0_14default_configELb0EPKhPhPKlPlN2at6native12_GLOBAL__N_18offset_tEEE10hipError_tPvRmT1_PNSt15iterator_traitsISY_E10value_typeET2_T3_PNSZ_IS14_E10value_typeET4_jRbjT5_S1A_jjP12ihipStream_tbEUljE_EEESV_SW_SX_S14_S18_S1A_T6_T7_T9_mT8_S1C_bDpT10_ENKUlT_T0_E_clISt17integral_constantIbLb1EES1P_EEDaS1K_S1L_EUlS1K_E_NS1_11comp_targetILNS1_3genE0ELNS1_11target_archE4294967295ELNS1_3gpuE0ELNS1_3repE0EEENS1_30default_config_static_selectorELNS0_4arch9wavefront6targetE0EEEvSY_
                                        ; -- End function
	.set _ZN7rocprim17ROCPRIM_400000_NS6detail17trampoline_kernelINS0_13select_configILj256ELj13ELNS0_17block_load_methodE3ELS4_3ELS4_3ELNS0_20block_scan_algorithmE0ELj4294967295EEENS1_25partition_config_selectorILNS1_17partition_subalgoE3EjNS0_10empty_typeEbEEZZNS1_14partition_implILS8_3ELb0ES6_jNS0_17counting_iteratorIjlEEPS9_SE_NS0_5tupleIJPjSE_EEENSF_IJSE_SE_EEES9_SG_JZNS1_25segmented_radix_sort_implINS0_14default_configELb0EPKhPhPKlPlN2at6native12_GLOBAL__N_18offset_tEEE10hipError_tPvRmT1_PNSt15iterator_traitsISY_E10value_typeET2_T3_PNSZ_IS14_E10value_typeET4_jRbjT5_S1A_jjP12ihipStream_tbEUljE_EEESV_SW_SX_S14_S18_S1A_T6_T7_T9_mT8_S1C_bDpT10_ENKUlT_T0_E_clISt17integral_constantIbLb1EES1P_EEDaS1K_S1L_EUlS1K_E_NS1_11comp_targetILNS1_3genE0ELNS1_11target_archE4294967295ELNS1_3gpuE0ELNS1_3repE0EEENS1_30default_config_static_selectorELNS0_4arch9wavefront6targetE0EEEvSY_.num_vgpr, 0
	.set _ZN7rocprim17ROCPRIM_400000_NS6detail17trampoline_kernelINS0_13select_configILj256ELj13ELNS0_17block_load_methodE3ELS4_3ELS4_3ELNS0_20block_scan_algorithmE0ELj4294967295EEENS1_25partition_config_selectorILNS1_17partition_subalgoE3EjNS0_10empty_typeEbEEZZNS1_14partition_implILS8_3ELb0ES6_jNS0_17counting_iteratorIjlEEPS9_SE_NS0_5tupleIJPjSE_EEENSF_IJSE_SE_EEES9_SG_JZNS1_25segmented_radix_sort_implINS0_14default_configELb0EPKhPhPKlPlN2at6native12_GLOBAL__N_18offset_tEEE10hipError_tPvRmT1_PNSt15iterator_traitsISY_E10value_typeET2_T3_PNSZ_IS14_E10value_typeET4_jRbjT5_S1A_jjP12ihipStream_tbEUljE_EEESV_SW_SX_S14_S18_S1A_T6_T7_T9_mT8_S1C_bDpT10_ENKUlT_T0_E_clISt17integral_constantIbLb1EES1P_EEDaS1K_S1L_EUlS1K_E_NS1_11comp_targetILNS1_3genE0ELNS1_11target_archE4294967295ELNS1_3gpuE0ELNS1_3repE0EEENS1_30default_config_static_selectorELNS0_4arch9wavefront6targetE0EEEvSY_.num_agpr, 0
	.set _ZN7rocprim17ROCPRIM_400000_NS6detail17trampoline_kernelINS0_13select_configILj256ELj13ELNS0_17block_load_methodE3ELS4_3ELS4_3ELNS0_20block_scan_algorithmE0ELj4294967295EEENS1_25partition_config_selectorILNS1_17partition_subalgoE3EjNS0_10empty_typeEbEEZZNS1_14partition_implILS8_3ELb0ES6_jNS0_17counting_iteratorIjlEEPS9_SE_NS0_5tupleIJPjSE_EEENSF_IJSE_SE_EEES9_SG_JZNS1_25segmented_radix_sort_implINS0_14default_configELb0EPKhPhPKlPlN2at6native12_GLOBAL__N_18offset_tEEE10hipError_tPvRmT1_PNSt15iterator_traitsISY_E10value_typeET2_T3_PNSZ_IS14_E10value_typeET4_jRbjT5_S1A_jjP12ihipStream_tbEUljE_EEESV_SW_SX_S14_S18_S1A_T6_T7_T9_mT8_S1C_bDpT10_ENKUlT_T0_E_clISt17integral_constantIbLb1EES1P_EEDaS1K_S1L_EUlS1K_E_NS1_11comp_targetILNS1_3genE0ELNS1_11target_archE4294967295ELNS1_3gpuE0ELNS1_3repE0EEENS1_30default_config_static_selectorELNS0_4arch9wavefront6targetE0EEEvSY_.numbered_sgpr, 0
	.set _ZN7rocprim17ROCPRIM_400000_NS6detail17trampoline_kernelINS0_13select_configILj256ELj13ELNS0_17block_load_methodE3ELS4_3ELS4_3ELNS0_20block_scan_algorithmE0ELj4294967295EEENS1_25partition_config_selectorILNS1_17partition_subalgoE3EjNS0_10empty_typeEbEEZZNS1_14partition_implILS8_3ELb0ES6_jNS0_17counting_iteratorIjlEEPS9_SE_NS0_5tupleIJPjSE_EEENSF_IJSE_SE_EEES9_SG_JZNS1_25segmented_radix_sort_implINS0_14default_configELb0EPKhPhPKlPlN2at6native12_GLOBAL__N_18offset_tEEE10hipError_tPvRmT1_PNSt15iterator_traitsISY_E10value_typeET2_T3_PNSZ_IS14_E10value_typeET4_jRbjT5_S1A_jjP12ihipStream_tbEUljE_EEESV_SW_SX_S14_S18_S1A_T6_T7_T9_mT8_S1C_bDpT10_ENKUlT_T0_E_clISt17integral_constantIbLb1EES1P_EEDaS1K_S1L_EUlS1K_E_NS1_11comp_targetILNS1_3genE0ELNS1_11target_archE4294967295ELNS1_3gpuE0ELNS1_3repE0EEENS1_30default_config_static_selectorELNS0_4arch9wavefront6targetE0EEEvSY_.num_named_barrier, 0
	.set _ZN7rocprim17ROCPRIM_400000_NS6detail17trampoline_kernelINS0_13select_configILj256ELj13ELNS0_17block_load_methodE3ELS4_3ELS4_3ELNS0_20block_scan_algorithmE0ELj4294967295EEENS1_25partition_config_selectorILNS1_17partition_subalgoE3EjNS0_10empty_typeEbEEZZNS1_14partition_implILS8_3ELb0ES6_jNS0_17counting_iteratorIjlEEPS9_SE_NS0_5tupleIJPjSE_EEENSF_IJSE_SE_EEES9_SG_JZNS1_25segmented_radix_sort_implINS0_14default_configELb0EPKhPhPKlPlN2at6native12_GLOBAL__N_18offset_tEEE10hipError_tPvRmT1_PNSt15iterator_traitsISY_E10value_typeET2_T3_PNSZ_IS14_E10value_typeET4_jRbjT5_S1A_jjP12ihipStream_tbEUljE_EEESV_SW_SX_S14_S18_S1A_T6_T7_T9_mT8_S1C_bDpT10_ENKUlT_T0_E_clISt17integral_constantIbLb1EES1P_EEDaS1K_S1L_EUlS1K_E_NS1_11comp_targetILNS1_3genE0ELNS1_11target_archE4294967295ELNS1_3gpuE0ELNS1_3repE0EEENS1_30default_config_static_selectorELNS0_4arch9wavefront6targetE0EEEvSY_.private_seg_size, 0
	.set _ZN7rocprim17ROCPRIM_400000_NS6detail17trampoline_kernelINS0_13select_configILj256ELj13ELNS0_17block_load_methodE3ELS4_3ELS4_3ELNS0_20block_scan_algorithmE0ELj4294967295EEENS1_25partition_config_selectorILNS1_17partition_subalgoE3EjNS0_10empty_typeEbEEZZNS1_14partition_implILS8_3ELb0ES6_jNS0_17counting_iteratorIjlEEPS9_SE_NS0_5tupleIJPjSE_EEENSF_IJSE_SE_EEES9_SG_JZNS1_25segmented_radix_sort_implINS0_14default_configELb0EPKhPhPKlPlN2at6native12_GLOBAL__N_18offset_tEEE10hipError_tPvRmT1_PNSt15iterator_traitsISY_E10value_typeET2_T3_PNSZ_IS14_E10value_typeET4_jRbjT5_S1A_jjP12ihipStream_tbEUljE_EEESV_SW_SX_S14_S18_S1A_T6_T7_T9_mT8_S1C_bDpT10_ENKUlT_T0_E_clISt17integral_constantIbLb1EES1P_EEDaS1K_S1L_EUlS1K_E_NS1_11comp_targetILNS1_3genE0ELNS1_11target_archE4294967295ELNS1_3gpuE0ELNS1_3repE0EEENS1_30default_config_static_selectorELNS0_4arch9wavefront6targetE0EEEvSY_.uses_vcc, 0
	.set _ZN7rocprim17ROCPRIM_400000_NS6detail17trampoline_kernelINS0_13select_configILj256ELj13ELNS0_17block_load_methodE3ELS4_3ELS4_3ELNS0_20block_scan_algorithmE0ELj4294967295EEENS1_25partition_config_selectorILNS1_17partition_subalgoE3EjNS0_10empty_typeEbEEZZNS1_14partition_implILS8_3ELb0ES6_jNS0_17counting_iteratorIjlEEPS9_SE_NS0_5tupleIJPjSE_EEENSF_IJSE_SE_EEES9_SG_JZNS1_25segmented_radix_sort_implINS0_14default_configELb0EPKhPhPKlPlN2at6native12_GLOBAL__N_18offset_tEEE10hipError_tPvRmT1_PNSt15iterator_traitsISY_E10value_typeET2_T3_PNSZ_IS14_E10value_typeET4_jRbjT5_S1A_jjP12ihipStream_tbEUljE_EEESV_SW_SX_S14_S18_S1A_T6_T7_T9_mT8_S1C_bDpT10_ENKUlT_T0_E_clISt17integral_constantIbLb1EES1P_EEDaS1K_S1L_EUlS1K_E_NS1_11comp_targetILNS1_3genE0ELNS1_11target_archE4294967295ELNS1_3gpuE0ELNS1_3repE0EEENS1_30default_config_static_selectorELNS0_4arch9wavefront6targetE0EEEvSY_.uses_flat_scratch, 0
	.set _ZN7rocprim17ROCPRIM_400000_NS6detail17trampoline_kernelINS0_13select_configILj256ELj13ELNS0_17block_load_methodE3ELS4_3ELS4_3ELNS0_20block_scan_algorithmE0ELj4294967295EEENS1_25partition_config_selectorILNS1_17partition_subalgoE3EjNS0_10empty_typeEbEEZZNS1_14partition_implILS8_3ELb0ES6_jNS0_17counting_iteratorIjlEEPS9_SE_NS0_5tupleIJPjSE_EEENSF_IJSE_SE_EEES9_SG_JZNS1_25segmented_radix_sort_implINS0_14default_configELb0EPKhPhPKlPlN2at6native12_GLOBAL__N_18offset_tEEE10hipError_tPvRmT1_PNSt15iterator_traitsISY_E10value_typeET2_T3_PNSZ_IS14_E10value_typeET4_jRbjT5_S1A_jjP12ihipStream_tbEUljE_EEESV_SW_SX_S14_S18_S1A_T6_T7_T9_mT8_S1C_bDpT10_ENKUlT_T0_E_clISt17integral_constantIbLb1EES1P_EEDaS1K_S1L_EUlS1K_E_NS1_11comp_targetILNS1_3genE0ELNS1_11target_archE4294967295ELNS1_3gpuE0ELNS1_3repE0EEENS1_30default_config_static_selectorELNS0_4arch9wavefront6targetE0EEEvSY_.has_dyn_sized_stack, 0
	.set _ZN7rocprim17ROCPRIM_400000_NS6detail17trampoline_kernelINS0_13select_configILj256ELj13ELNS0_17block_load_methodE3ELS4_3ELS4_3ELNS0_20block_scan_algorithmE0ELj4294967295EEENS1_25partition_config_selectorILNS1_17partition_subalgoE3EjNS0_10empty_typeEbEEZZNS1_14partition_implILS8_3ELb0ES6_jNS0_17counting_iteratorIjlEEPS9_SE_NS0_5tupleIJPjSE_EEENSF_IJSE_SE_EEES9_SG_JZNS1_25segmented_radix_sort_implINS0_14default_configELb0EPKhPhPKlPlN2at6native12_GLOBAL__N_18offset_tEEE10hipError_tPvRmT1_PNSt15iterator_traitsISY_E10value_typeET2_T3_PNSZ_IS14_E10value_typeET4_jRbjT5_S1A_jjP12ihipStream_tbEUljE_EEESV_SW_SX_S14_S18_S1A_T6_T7_T9_mT8_S1C_bDpT10_ENKUlT_T0_E_clISt17integral_constantIbLb1EES1P_EEDaS1K_S1L_EUlS1K_E_NS1_11comp_targetILNS1_3genE0ELNS1_11target_archE4294967295ELNS1_3gpuE0ELNS1_3repE0EEENS1_30default_config_static_selectorELNS0_4arch9wavefront6targetE0EEEvSY_.has_recursion, 0
	.set _ZN7rocprim17ROCPRIM_400000_NS6detail17trampoline_kernelINS0_13select_configILj256ELj13ELNS0_17block_load_methodE3ELS4_3ELS4_3ELNS0_20block_scan_algorithmE0ELj4294967295EEENS1_25partition_config_selectorILNS1_17partition_subalgoE3EjNS0_10empty_typeEbEEZZNS1_14partition_implILS8_3ELb0ES6_jNS0_17counting_iteratorIjlEEPS9_SE_NS0_5tupleIJPjSE_EEENSF_IJSE_SE_EEES9_SG_JZNS1_25segmented_radix_sort_implINS0_14default_configELb0EPKhPhPKlPlN2at6native12_GLOBAL__N_18offset_tEEE10hipError_tPvRmT1_PNSt15iterator_traitsISY_E10value_typeET2_T3_PNSZ_IS14_E10value_typeET4_jRbjT5_S1A_jjP12ihipStream_tbEUljE_EEESV_SW_SX_S14_S18_S1A_T6_T7_T9_mT8_S1C_bDpT10_ENKUlT_T0_E_clISt17integral_constantIbLb1EES1P_EEDaS1K_S1L_EUlS1K_E_NS1_11comp_targetILNS1_3genE0ELNS1_11target_archE4294967295ELNS1_3gpuE0ELNS1_3repE0EEENS1_30default_config_static_selectorELNS0_4arch9wavefront6targetE0EEEvSY_.has_indirect_call, 0
	.section	.AMDGPU.csdata,"",@progbits
; Kernel info:
; codeLenInByte = 0
; TotalNumSgprs: 0
; NumVgprs: 0
; ScratchSize: 0
; MemoryBound: 0
; FloatMode: 240
; IeeeMode: 1
; LDSByteSize: 0 bytes/workgroup (compile time only)
; SGPRBlocks: 0
; VGPRBlocks: 0
; NumSGPRsForWavesPerEU: 1
; NumVGPRsForWavesPerEU: 1
; Occupancy: 16
; WaveLimiterHint : 0
; COMPUTE_PGM_RSRC2:SCRATCH_EN: 0
; COMPUTE_PGM_RSRC2:USER_SGPR: 6
; COMPUTE_PGM_RSRC2:TRAP_HANDLER: 0
; COMPUTE_PGM_RSRC2:TGID_X_EN: 1
; COMPUTE_PGM_RSRC2:TGID_Y_EN: 0
; COMPUTE_PGM_RSRC2:TGID_Z_EN: 0
; COMPUTE_PGM_RSRC2:TIDIG_COMP_CNT: 0
	.section	.text._ZN7rocprim17ROCPRIM_400000_NS6detail17trampoline_kernelINS0_13select_configILj256ELj13ELNS0_17block_load_methodE3ELS4_3ELS4_3ELNS0_20block_scan_algorithmE0ELj4294967295EEENS1_25partition_config_selectorILNS1_17partition_subalgoE3EjNS0_10empty_typeEbEEZZNS1_14partition_implILS8_3ELb0ES6_jNS0_17counting_iteratorIjlEEPS9_SE_NS0_5tupleIJPjSE_EEENSF_IJSE_SE_EEES9_SG_JZNS1_25segmented_radix_sort_implINS0_14default_configELb0EPKhPhPKlPlN2at6native12_GLOBAL__N_18offset_tEEE10hipError_tPvRmT1_PNSt15iterator_traitsISY_E10value_typeET2_T3_PNSZ_IS14_E10value_typeET4_jRbjT5_S1A_jjP12ihipStream_tbEUljE_EEESV_SW_SX_S14_S18_S1A_T6_T7_T9_mT8_S1C_bDpT10_ENKUlT_T0_E_clISt17integral_constantIbLb1EES1P_EEDaS1K_S1L_EUlS1K_E_NS1_11comp_targetILNS1_3genE5ELNS1_11target_archE942ELNS1_3gpuE9ELNS1_3repE0EEENS1_30default_config_static_selectorELNS0_4arch9wavefront6targetE0EEEvSY_,"axG",@progbits,_ZN7rocprim17ROCPRIM_400000_NS6detail17trampoline_kernelINS0_13select_configILj256ELj13ELNS0_17block_load_methodE3ELS4_3ELS4_3ELNS0_20block_scan_algorithmE0ELj4294967295EEENS1_25partition_config_selectorILNS1_17partition_subalgoE3EjNS0_10empty_typeEbEEZZNS1_14partition_implILS8_3ELb0ES6_jNS0_17counting_iteratorIjlEEPS9_SE_NS0_5tupleIJPjSE_EEENSF_IJSE_SE_EEES9_SG_JZNS1_25segmented_radix_sort_implINS0_14default_configELb0EPKhPhPKlPlN2at6native12_GLOBAL__N_18offset_tEEE10hipError_tPvRmT1_PNSt15iterator_traitsISY_E10value_typeET2_T3_PNSZ_IS14_E10value_typeET4_jRbjT5_S1A_jjP12ihipStream_tbEUljE_EEESV_SW_SX_S14_S18_S1A_T6_T7_T9_mT8_S1C_bDpT10_ENKUlT_T0_E_clISt17integral_constantIbLb1EES1P_EEDaS1K_S1L_EUlS1K_E_NS1_11comp_targetILNS1_3genE5ELNS1_11target_archE942ELNS1_3gpuE9ELNS1_3repE0EEENS1_30default_config_static_selectorELNS0_4arch9wavefront6targetE0EEEvSY_,comdat
	.globl	_ZN7rocprim17ROCPRIM_400000_NS6detail17trampoline_kernelINS0_13select_configILj256ELj13ELNS0_17block_load_methodE3ELS4_3ELS4_3ELNS0_20block_scan_algorithmE0ELj4294967295EEENS1_25partition_config_selectorILNS1_17partition_subalgoE3EjNS0_10empty_typeEbEEZZNS1_14partition_implILS8_3ELb0ES6_jNS0_17counting_iteratorIjlEEPS9_SE_NS0_5tupleIJPjSE_EEENSF_IJSE_SE_EEES9_SG_JZNS1_25segmented_radix_sort_implINS0_14default_configELb0EPKhPhPKlPlN2at6native12_GLOBAL__N_18offset_tEEE10hipError_tPvRmT1_PNSt15iterator_traitsISY_E10value_typeET2_T3_PNSZ_IS14_E10value_typeET4_jRbjT5_S1A_jjP12ihipStream_tbEUljE_EEESV_SW_SX_S14_S18_S1A_T6_T7_T9_mT8_S1C_bDpT10_ENKUlT_T0_E_clISt17integral_constantIbLb1EES1P_EEDaS1K_S1L_EUlS1K_E_NS1_11comp_targetILNS1_3genE5ELNS1_11target_archE942ELNS1_3gpuE9ELNS1_3repE0EEENS1_30default_config_static_selectorELNS0_4arch9wavefront6targetE0EEEvSY_ ; -- Begin function _ZN7rocprim17ROCPRIM_400000_NS6detail17trampoline_kernelINS0_13select_configILj256ELj13ELNS0_17block_load_methodE3ELS4_3ELS4_3ELNS0_20block_scan_algorithmE0ELj4294967295EEENS1_25partition_config_selectorILNS1_17partition_subalgoE3EjNS0_10empty_typeEbEEZZNS1_14partition_implILS8_3ELb0ES6_jNS0_17counting_iteratorIjlEEPS9_SE_NS0_5tupleIJPjSE_EEENSF_IJSE_SE_EEES9_SG_JZNS1_25segmented_radix_sort_implINS0_14default_configELb0EPKhPhPKlPlN2at6native12_GLOBAL__N_18offset_tEEE10hipError_tPvRmT1_PNSt15iterator_traitsISY_E10value_typeET2_T3_PNSZ_IS14_E10value_typeET4_jRbjT5_S1A_jjP12ihipStream_tbEUljE_EEESV_SW_SX_S14_S18_S1A_T6_T7_T9_mT8_S1C_bDpT10_ENKUlT_T0_E_clISt17integral_constantIbLb1EES1P_EEDaS1K_S1L_EUlS1K_E_NS1_11comp_targetILNS1_3genE5ELNS1_11target_archE942ELNS1_3gpuE9ELNS1_3repE0EEENS1_30default_config_static_selectorELNS0_4arch9wavefront6targetE0EEEvSY_
	.p2align	8
	.type	_ZN7rocprim17ROCPRIM_400000_NS6detail17trampoline_kernelINS0_13select_configILj256ELj13ELNS0_17block_load_methodE3ELS4_3ELS4_3ELNS0_20block_scan_algorithmE0ELj4294967295EEENS1_25partition_config_selectorILNS1_17partition_subalgoE3EjNS0_10empty_typeEbEEZZNS1_14partition_implILS8_3ELb0ES6_jNS0_17counting_iteratorIjlEEPS9_SE_NS0_5tupleIJPjSE_EEENSF_IJSE_SE_EEES9_SG_JZNS1_25segmented_radix_sort_implINS0_14default_configELb0EPKhPhPKlPlN2at6native12_GLOBAL__N_18offset_tEEE10hipError_tPvRmT1_PNSt15iterator_traitsISY_E10value_typeET2_T3_PNSZ_IS14_E10value_typeET4_jRbjT5_S1A_jjP12ihipStream_tbEUljE_EEESV_SW_SX_S14_S18_S1A_T6_T7_T9_mT8_S1C_bDpT10_ENKUlT_T0_E_clISt17integral_constantIbLb1EES1P_EEDaS1K_S1L_EUlS1K_E_NS1_11comp_targetILNS1_3genE5ELNS1_11target_archE942ELNS1_3gpuE9ELNS1_3repE0EEENS1_30default_config_static_selectorELNS0_4arch9wavefront6targetE0EEEvSY_,@function
_ZN7rocprim17ROCPRIM_400000_NS6detail17trampoline_kernelINS0_13select_configILj256ELj13ELNS0_17block_load_methodE3ELS4_3ELS4_3ELNS0_20block_scan_algorithmE0ELj4294967295EEENS1_25partition_config_selectorILNS1_17partition_subalgoE3EjNS0_10empty_typeEbEEZZNS1_14partition_implILS8_3ELb0ES6_jNS0_17counting_iteratorIjlEEPS9_SE_NS0_5tupleIJPjSE_EEENSF_IJSE_SE_EEES9_SG_JZNS1_25segmented_radix_sort_implINS0_14default_configELb0EPKhPhPKlPlN2at6native12_GLOBAL__N_18offset_tEEE10hipError_tPvRmT1_PNSt15iterator_traitsISY_E10value_typeET2_T3_PNSZ_IS14_E10value_typeET4_jRbjT5_S1A_jjP12ihipStream_tbEUljE_EEESV_SW_SX_S14_S18_S1A_T6_T7_T9_mT8_S1C_bDpT10_ENKUlT_T0_E_clISt17integral_constantIbLb1EES1P_EEDaS1K_S1L_EUlS1K_E_NS1_11comp_targetILNS1_3genE5ELNS1_11target_archE942ELNS1_3gpuE9ELNS1_3repE0EEENS1_30default_config_static_selectorELNS0_4arch9wavefront6targetE0EEEvSY_: ; @_ZN7rocprim17ROCPRIM_400000_NS6detail17trampoline_kernelINS0_13select_configILj256ELj13ELNS0_17block_load_methodE3ELS4_3ELS4_3ELNS0_20block_scan_algorithmE0ELj4294967295EEENS1_25partition_config_selectorILNS1_17partition_subalgoE3EjNS0_10empty_typeEbEEZZNS1_14partition_implILS8_3ELb0ES6_jNS0_17counting_iteratorIjlEEPS9_SE_NS0_5tupleIJPjSE_EEENSF_IJSE_SE_EEES9_SG_JZNS1_25segmented_radix_sort_implINS0_14default_configELb0EPKhPhPKlPlN2at6native12_GLOBAL__N_18offset_tEEE10hipError_tPvRmT1_PNSt15iterator_traitsISY_E10value_typeET2_T3_PNSZ_IS14_E10value_typeET4_jRbjT5_S1A_jjP12ihipStream_tbEUljE_EEESV_SW_SX_S14_S18_S1A_T6_T7_T9_mT8_S1C_bDpT10_ENKUlT_T0_E_clISt17integral_constantIbLb1EES1P_EEDaS1K_S1L_EUlS1K_E_NS1_11comp_targetILNS1_3genE5ELNS1_11target_archE942ELNS1_3gpuE9ELNS1_3repE0EEENS1_30default_config_static_selectorELNS0_4arch9wavefront6targetE0EEEvSY_
; %bb.0:
	.section	.rodata,"a",@progbits
	.p2align	6, 0x0
	.amdhsa_kernel _ZN7rocprim17ROCPRIM_400000_NS6detail17trampoline_kernelINS0_13select_configILj256ELj13ELNS0_17block_load_methodE3ELS4_3ELS4_3ELNS0_20block_scan_algorithmE0ELj4294967295EEENS1_25partition_config_selectorILNS1_17partition_subalgoE3EjNS0_10empty_typeEbEEZZNS1_14partition_implILS8_3ELb0ES6_jNS0_17counting_iteratorIjlEEPS9_SE_NS0_5tupleIJPjSE_EEENSF_IJSE_SE_EEES9_SG_JZNS1_25segmented_radix_sort_implINS0_14default_configELb0EPKhPhPKlPlN2at6native12_GLOBAL__N_18offset_tEEE10hipError_tPvRmT1_PNSt15iterator_traitsISY_E10value_typeET2_T3_PNSZ_IS14_E10value_typeET4_jRbjT5_S1A_jjP12ihipStream_tbEUljE_EEESV_SW_SX_S14_S18_S1A_T6_T7_T9_mT8_S1C_bDpT10_ENKUlT_T0_E_clISt17integral_constantIbLb1EES1P_EEDaS1K_S1L_EUlS1K_E_NS1_11comp_targetILNS1_3genE5ELNS1_11target_archE942ELNS1_3gpuE9ELNS1_3repE0EEENS1_30default_config_static_selectorELNS0_4arch9wavefront6targetE0EEEvSY_
		.amdhsa_group_segment_fixed_size 0
		.amdhsa_private_segment_fixed_size 0
		.amdhsa_kernarg_size 152
		.amdhsa_user_sgpr_count 6
		.amdhsa_user_sgpr_private_segment_buffer 1
		.amdhsa_user_sgpr_dispatch_ptr 0
		.amdhsa_user_sgpr_queue_ptr 0
		.amdhsa_user_sgpr_kernarg_segment_ptr 1
		.amdhsa_user_sgpr_dispatch_id 0
		.amdhsa_user_sgpr_flat_scratch_init 0
		.amdhsa_user_sgpr_private_segment_size 0
		.amdhsa_wavefront_size32 1
		.amdhsa_uses_dynamic_stack 0
		.amdhsa_system_sgpr_private_segment_wavefront_offset 0
		.amdhsa_system_sgpr_workgroup_id_x 1
		.amdhsa_system_sgpr_workgroup_id_y 0
		.amdhsa_system_sgpr_workgroup_id_z 0
		.amdhsa_system_sgpr_workgroup_info 0
		.amdhsa_system_vgpr_workitem_id 0
		.amdhsa_next_free_vgpr 1
		.amdhsa_next_free_sgpr 1
		.amdhsa_reserve_vcc 0
		.amdhsa_reserve_flat_scratch 0
		.amdhsa_float_round_mode_32 0
		.amdhsa_float_round_mode_16_64 0
		.amdhsa_float_denorm_mode_32 3
		.amdhsa_float_denorm_mode_16_64 3
		.amdhsa_dx10_clamp 1
		.amdhsa_ieee_mode 1
		.amdhsa_fp16_overflow 0
		.amdhsa_workgroup_processor_mode 1
		.amdhsa_memory_ordered 1
		.amdhsa_forward_progress 1
		.amdhsa_shared_vgpr_count 0
		.amdhsa_exception_fp_ieee_invalid_op 0
		.amdhsa_exception_fp_denorm_src 0
		.amdhsa_exception_fp_ieee_div_zero 0
		.amdhsa_exception_fp_ieee_overflow 0
		.amdhsa_exception_fp_ieee_underflow 0
		.amdhsa_exception_fp_ieee_inexact 0
		.amdhsa_exception_int_div_zero 0
	.end_amdhsa_kernel
	.section	.text._ZN7rocprim17ROCPRIM_400000_NS6detail17trampoline_kernelINS0_13select_configILj256ELj13ELNS0_17block_load_methodE3ELS4_3ELS4_3ELNS0_20block_scan_algorithmE0ELj4294967295EEENS1_25partition_config_selectorILNS1_17partition_subalgoE3EjNS0_10empty_typeEbEEZZNS1_14partition_implILS8_3ELb0ES6_jNS0_17counting_iteratorIjlEEPS9_SE_NS0_5tupleIJPjSE_EEENSF_IJSE_SE_EEES9_SG_JZNS1_25segmented_radix_sort_implINS0_14default_configELb0EPKhPhPKlPlN2at6native12_GLOBAL__N_18offset_tEEE10hipError_tPvRmT1_PNSt15iterator_traitsISY_E10value_typeET2_T3_PNSZ_IS14_E10value_typeET4_jRbjT5_S1A_jjP12ihipStream_tbEUljE_EEESV_SW_SX_S14_S18_S1A_T6_T7_T9_mT8_S1C_bDpT10_ENKUlT_T0_E_clISt17integral_constantIbLb1EES1P_EEDaS1K_S1L_EUlS1K_E_NS1_11comp_targetILNS1_3genE5ELNS1_11target_archE942ELNS1_3gpuE9ELNS1_3repE0EEENS1_30default_config_static_selectorELNS0_4arch9wavefront6targetE0EEEvSY_,"axG",@progbits,_ZN7rocprim17ROCPRIM_400000_NS6detail17trampoline_kernelINS0_13select_configILj256ELj13ELNS0_17block_load_methodE3ELS4_3ELS4_3ELNS0_20block_scan_algorithmE0ELj4294967295EEENS1_25partition_config_selectorILNS1_17partition_subalgoE3EjNS0_10empty_typeEbEEZZNS1_14partition_implILS8_3ELb0ES6_jNS0_17counting_iteratorIjlEEPS9_SE_NS0_5tupleIJPjSE_EEENSF_IJSE_SE_EEES9_SG_JZNS1_25segmented_radix_sort_implINS0_14default_configELb0EPKhPhPKlPlN2at6native12_GLOBAL__N_18offset_tEEE10hipError_tPvRmT1_PNSt15iterator_traitsISY_E10value_typeET2_T3_PNSZ_IS14_E10value_typeET4_jRbjT5_S1A_jjP12ihipStream_tbEUljE_EEESV_SW_SX_S14_S18_S1A_T6_T7_T9_mT8_S1C_bDpT10_ENKUlT_T0_E_clISt17integral_constantIbLb1EES1P_EEDaS1K_S1L_EUlS1K_E_NS1_11comp_targetILNS1_3genE5ELNS1_11target_archE942ELNS1_3gpuE9ELNS1_3repE0EEENS1_30default_config_static_selectorELNS0_4arch9wavefront6targetE0EEEvSY_,comdat
.Lfunc_end162:
	.size	_ZN7rocprim17ROCPRIM_400000_NS6detail17trampoline_kernelINS0_13select_configILj256ELj13ELNS0_17block_load_methodE3ELS4_3ELS4_3ELNS0_20block_scan_algorithmE0ELj4294967295EEENS1_25partition_config_selectorILNS1_17partition_subalgoE3EjNS0_10empty_typeEbEEZZNS1_14partition_implILS8_3ELb0ES6_jNS0_17counting_iteratorIjlEEPS9_SE_NS0_5tupleIJPjSE_EEENSF_IJSE_SE_EEES9_SG_JZNS1_25segmented_radix_sort_implINS0_14default_configELb0EPKhPhPKlPlN2at6native12_GLOBAL__N_18offset_tEEE10hipError_tPvRmT1_PNSt15iterator_traitsISY_E10value_typeET2_T3_PNSZ_IS14_E10value_typeET4_jRbjT5_S1A_jjP12ihipStream_tbEUljE_EEESV_SW_SX_S14_S18_S1A_T6_T7_T9_mT8_S1C_bDpT10_ENKUlT_T0_E_clISt17integral_constantIbLb1EES1P_EEDaS1K_S1L_EUlS1K_E_NS1_11comp_targetILNS1_3genE5ELNS1_11target_archE942ELNS1_3gpuE9ELNS1_3repE0EEENS1_30default_config_static_selectorELNS0_4arch9wavefront6targetE0EEEvSY_, .Lfunc_end162-_ZN7rocprim17ROCPRIM_400000_NS6detail17trampoline_kernelINS0_13select_configILj256ELj13ELNS0_17block_load_methodE3ELS4_3ELS4_3ELNS0_20block_scan_algorithmE0ELj4294967295EEENS1_25partition_config_selectorILNS1_17partition_subalgoE3EjNS0_10empty_typeEbEEZZNS1_14partition_implILS8_3ELb0ES6_jNS0_17counting_iteratorIjlEEPS9_SE_NS0_5tupleIJPjSE_EEENSF_IJSE_SE_EEES9_SG_JZNS1_25segmented_radix_sort_implINS0_14default_configELb0EPKhPhPKlPlN2at6native12_GLOBAL__N_18offset_tEEE10hipError_tPvRmT1_PNSt15iterator_traitsISY_E10value_typeET2_T3_PNSZ_IS14_E10value_typeET4_jRbjT5_S1A_jjP12ihipStream_tbEUljE_EEESV_SW_SX_S14_S18_S1A_T6_T7_T9_mT8_S1C_bDpT10_ENKUlT_T0_E_clISt17integral_constantIbLb1EES1P_EEDaS1K_S1L_EUlS1K_E_NS1_11comp_targetILNS1_3genE5ELNS1_11target_archE942ELNS1_3gpuE9ELNS1_3repE0EEENS1_30default_config_static_selectorELNS0_4arch9wavefront6targetE0EEEvSY_
                                        ; -- End function
	.set _ZN7rocprim17ROCPRIM_400000_NS6detail17trampoline_kernelINS0_13select_configILj256ELj13ELNS0_17block_load_methodE3ELS4_3ELS4_3ELNS0_20block_scan_algorithmE0ELj4294967295EEENS1_25partition_config_selectorILNS1_17partition_subalgoE3EjNS0_10empty_typeEbEEZZNS1_14partition_implILS8_3ELb0ES6_jNS0_17counting_iteratorIjlEEPS9_SE_NS0_5tupleIJPjSE_EEENSF_IJSE_SE_EEES9_SG_JZNS1_25segmented_radix_sort_implINS0_14default_configELb0EPKhPhPKlPlN2at6native12_GLOBAL__N_18offset_tEEE10hipError_tPvRmT1_PNSt15iterator_traitsISY_E10value_typeET2_T3_PNSZ_IS14_E10value_typeET4_jRbjT5_S1A_jjP12ihipStream_tbEUljE_EEESV_SW_SX_S14_S18_S1A_T6_T7_T9_mT8_S1C_bDpT10_ENKUlT_T0_E_clISt17integral_constantIbLb1EES1P_EEDaS1K_S1L_EUlS1K_E_NS1_11comp_targetILNS1_3genE5ELNS1_11target_archE942ELNS1_3gpuE9ELNS1_3repE0EEENS1_30default_config_static_selectorELNS0_4arch9wavefront6targetE0EEEvSY_.num_vgpr, 0
	.set _ZN7rocprim17ROCPRIM_400000_NS6detail17trampoline_kernelINS0_13select_configILj256ELj13ELNS0_17block_load_methodE3ELS4_3ELS4_3ELNS0_20block_scan_algorithmE0ELj4294967295EEENS1_25partition_config_selectorILNS1_17partition_subalgoE3EjNS0_10empty_typeEbEEZZNS1_14partition_implILS8_3ELb0ES6_jNS0_17counting_iteratorIjlEEPS9_SE_NS0_5tupleIJPjSE_EEENSF_IJSE_SE_EEES9_SG_JZNS1_25segmented_radix_sort_implINS0_14default_configELb0EPKhPhPKlPlN2at6native12_GLOBAL__N_18offset_tEEE10hipError_tPvRmT1_PNSt15iterator_traitsISY_E10value_typeET2_T3_PNSZ_IS14_E10value_typeET4_jRbjT5_S1A_jjP12ihipStream_tbEUljE_EEESV_SW_SX_S14_S18_S1A_T6_T7_T9_mT8_S1C_bDpT10_ENKUlT_T0_E_clISt17integral_constantIbLb1EES1P_EEDaS1K_S1L_EUlS1K_E_NS1_11comp_targetILNS1_3genE5ELNS1_11target_archE942ELNS1_3gpuE9ELNS1_3repE0EEENS1_30default_config_static_selectorELNS0_4arch9wavefront6targetE0EEEvSY_.num_agpr, 0
	.set _ZN7rocprim17ROCPRIM_400000_NS6detail17trampoline_kernelINS0_13select_configILj256ELj13ELNS0_17block_load_methodE3ELS4_3ELS4_3ELNS0_20block_scan_algorithmE0ELj4294967295EEENS1_25partition_config_selectorILNS1_17partition_subalgoE3EjNS0_10empty_typeEbEEZZNS1_14partition_implILS8_3ELb0ES6_jNS0_17counting_iteratorIjlEEPS9_SE_NS0_5tupleIJPjSE_EEENSF_IJSE_SE_EEES9_SG_JZNS1_25segmented_radix_sort_implINS0_14default_configELb0EPKhPhPKlPlN2at6native12_GLOBAL__N_18offset_tEEE10hipError_tPvRmT1_PNSt15iterator_traitsISY_E10value_typeET2_T3_PNSZ_IS14_E10value_typeET4_jRbjT5_S1A_jjP12ihipStream_tbEUljE_EEESV_SW_SX_S14_S18_S1A_T6_T7_T9_mT8_S1C_bDpT10_ENKUlT_T0_E_clISt17integral_constantIbLb1EES1P_EEDaS1K_S1L_EUlS1K_E_NS1_11comp_targetILNS1_3genE5ELNS1_11target_archE942ELNS1_3gpuE9ELNS1_3repE0EEENS1_30default_config_static_selectorELNS0_4arch9wavefront6targetE0EEEvSY_.numbered_sgpr, 0
	.set _ZN7rocprim17ROCPRIM_400000_NS6detail17trampoline_kernelINS0_13select_configILj256ELj13ELNS0_17block_load_methodE3ELS4_3ELS4_3ELNS0_20block_scan_algorithmE0ELj4294967295EEENS1_25partition_config_selectorILNS1_17partition_subalgoE3EjNS0_10empty_typeEbEEZZNS1_14partition_implILS8_3ELb0ES6_jNS0_17counting_iteratorIjlEEPS9_SE_NS0_5tupleIJPjSE_EEENSF_IJSE_SE_EEES9_SG_JZNS1_25segmented_radix_sort_implINS0_14default_configELb0EPKhPhPKlPlN2at6native12_GLOBAL__N_18offset_tEEE10hipError_tPvRmT1_PNSt15iterator_traitsISY_E10value_typeET2_T3_PNSZ_IS14_E10value_typeET4_jRbjT5_S1A_jjP12ihipStream_tbEUljE_EEESV_SW_SX_S14_S18_S1A_T6_T7_T9_mT8_S1C_bDpT10_ENKUlT_T0_E_clISt17integral_constantIbLb1EES1P_EEDaS1K_S1L_EUlS1K_E_NS1_11comp_targetILNS1_3genE5ELNS1_11target_archE942ELNS1_3gpuE9ELNS1_3repE0EEENS1_30default_config_static_selectorELNS0_4arch9wavefront6targetE0EEEvSY_.num_named_barrier, 0
	.set _ZN7rocprim17ROCPRIM_400000_NS6detail17trampoline_kernelINS0_13select_configILj256ELj13ELNS0_17block_load_methodE3ELS4_3ELS4_3ELNS0_20block_scan_algorithmE0ELj4294967295EEENS1_25partition_config_selectorILNS1_17partition_subalgoE3EjNS0_10empty_typeEbEEZZNS1_14partition_implILS8_3ELb0ES6_jNS0_17counting_iteratorIjlEEPS9_SE_NS0_5tupleIJPjSE_EEENSF_IJSE_SE_EEES9_SG_JZNS1_25segmented_radix_sort_implINS0_14default_configELb0EPKhPhPKlPlN2at6native12_GLOBAL__N_18offset_tEEE10hipError_tPvRmT1_PNSt15iterator_traitsISY_E10value_typeET2_T3_PNSZ_IS14_E10value_typeET4_jRbjT5_S1A_jjP12ihipStream_tbEUljE_EEESV_SW_SX_S14_S18_S1A_T6_T7_T9_mT8_S1C_bDpT10_ENKUlT_T0_E_clISt17integral_constantIbLb1EES1P_EEDaS1K_S1L_EUlS1K_E_NS1_11comp_targetILNS1_3genE5ELNS1_11target_archE942ELNS1_3gpuE9ELNS1_3repE0EEENS1_30default_config_static_selectorELNS0_4arch9wavefront6targetE0EEEvSY_.private_seg_size, 0
	.set _ZN7rocprim17ROCPRIM_400000_NS6detail17trampoline_kernelINS0_13select_configILj256ELj13ELNS0_17block_load_methodE3ELS4_3ELS4_3ELNS0_20block_scan_algorithmE0ELj4294967295EEENS1_25partition_config_selectorILNS1_17partition_subalgoE3EjNS0_10empty_typeEbEEZZNS1_14partition_implILS8_3ELb0ES6_jNS0_17counting_iteratorIjlEEPS9_SE_NS0_5tupleIJPjSE_EEENSF_IJSE_SE_EEES9_SG_JZNS1_25segmented_radix_sort_implINS0_14default_configELb0EPKhPhPKlPlN2at6native12_GLOBAL__N_18offset_tEEE10hipError_tPvRmT1_PNSt15iterator_traitsISY_E10value_typeET2_T3_PNSZ_IS14_E10value_typeET4_jRbjT5_S1A_jjP12ihipStream_tbEUljE_EEESV_SW_SX_S14_S18_S1A_T6_T7_T9_mT8_S1C_bDpT10_ENKUlT_T0_E_clISt17integral_constantIbLb1EES1P_EEDaS1K_S1L_EUlS1K_E_NS1_11comp_targetILNS1_3genE5ELNS1_11target_archE942ELNS1_3gpuE9ELNS1_3repE0EEENS1_30default_config_static_selectorELNS0_4arch9wavefront6targetE0EEEvSY_.uses_vcc, 0
	.set _ZN7rocprim17ROCPRIM_400000_NS6detail17trampoline_kernelINS0_13select_configILj256ELj13ELNS0_17block_load_methodE3ELS4_3ELS4_3ELNS0_20block_scan_algorithmE0ELj4294967295EEENS1_25partition_config_selectorILNS1_17partition_subalgoE3EjNS0_10empty_typeEbEEZZNS1_14partition_implILS8_3ELb0ES6_jNS0_17counting_iteratorIjlEEPS9_SE_NS0_5tupleIJPjSE_EEENSF_IJSE_SE_EEES9_SG_JZNS1_25segmented_radix_sort_implINS0_14default_configELb0EPKhPhPKlPlN2at6native12_GLOBAL__N_18offset_tEEE10hipError_tPvRmT1_PNSt15iterator_traitsISY_E10value_typeET2_T3_PNSZ_IS14_E10value_typeET4_jRbjT5_S1A_jjP12ihipStream_tbEUljE_EEESV_SW_SX_S14_S18_S1A_T6_T7_T9_mT8_S1C_bDpT10_ENKUlT_T0_E_clISt17integral_constantIbLb1EES1P_EEDaS1K_S1L_EUlS1K_E_NS1_11comp_targetILNS1_3genE5ELNS1_11target_archE942ELNS1_3gpuE9ELNS1_3repE0EEENS1_30default_config_static_selectorELNS0_4arch9wavefront6targetE0EEEvSY_.uses_flat_scratch, 0
	.set _ZN7rocprim17ROCPRIM_400000_NS6detail17trampoline_kernelINS0_13select_configILj256ELj13ELNS0_17block_load_methodE3ELS4_3ELS4_3ELNS0_20block_scan_algorithmE0ELj4294967295EEENS1_25partition_config_selectorILNS1_17partition_subalgoE3EjNS0_10empty_typeEbEEZZNS1_14partition_implILS8_3ELb0ES6_jNS0_17counting_iteratorIjlEEPS9_SE_NS0_5tupleIJPjSE_EEENSF_IJSE_SE_EEES9_SG_JZNS1_25segmented_radix_sort_implINS0_14default_configELb0EPKhPhPKlPlN2at6native12_GLOBAL__N_18offset_tEEE10hipError_tPvRmT1_PNSt15iterator_traitsISY_E10value_typeET2_T3_PNSZ_IS14_E10value_typeET4_jRbjT5_S1A_jjP12ihipStream_tbEUljE_EEESV_SW_SX_S14_S18_S1A_T6_T7_T9_mT8_S1C_bDpT10_ENKUlT_T0_E_clISt17integral_constantIbLb1EES1P_EEDaS1K_S1L_EUlS1K_E_NS1_11comp_targetILNS1_3genE5ELNS1_11target_archE942ELNS1_3gpuE9ELNS1_3repE0EEENS1_30default_config_static_selectorELNS0_4arch9wavefront6targetE0EEEvSY_.has_dyn_sized_stack, 0
	.set _ZN7rocprim17ROCPRIM_400000_NS6detail17trampoline_kernelINS0_13select_configILj256ELj13ELNS0_17block_load_methodE3ELS4_3ELS4_3ELNS0_20block_scan_algorithmE0ELj4294967295EEENS1_25partition_config_selectorILNS1_17partition_subalgoE3EjNS0_10empty_typeEbEEZZNS1_14partition_implILS8_3ELb0ES6_jNS0_17counting_iteratorIjlEEPS9_SE_NS0_5tupleIJPjSE_EEENSF_IJSE_SE_EEES9_SG_JZNS1_25segmented_radix_sort_implINS0_14default_configELb0EPKhPhPKlPlN2at6native12_GLOBAL__N_18offset_tEEE10hipError_tPvRmT1_PNSt15iterator_traitsISY_E10value_typeET2_T3_PNSZ_IS14_E10value_typeET4_jRbjT5_S1A_jjP12ihipStream_tbEUljE_EEESV_SW_SX_S14_S18_S1A_T6_T7_T9_mT8_S1C_bDpT10_ENKUlT_T0_E_clISt17integral_constantIbLb1EES1P_EEDaS1K_S1L_EUlS1K_E_NS1_11comp_targetILNS1_3genE5ELNS1_11target_archE942ELNS1_3gpuE9ELNS1_3repE0EEENS1_30default_config_static_selectorELNS0_4arch9wavefront6targetE0EEEvSY_.has_recursion, 0
	.set _ZN7rocprim17ROCPRIM_400000_NS6detail17trampoline_kernelINS0_13select_configILj256ELj13ELNS0_17block_load_methodE3ELS4_3ELS4_3ELNS0_20block_scan_algorithmE0ELj4294967295EEENS1_25partition_config_selectorILNS1_17partition_subalgoE3EjNS0_10empty_typeEbEEZZNS1_14partition_implILS8_3ELb0ES6_jNS0_17counting_iteratorIjlEEPS9_SE_NS0_5tupleIJPjSE_EEENSF_IJSE_SE_EEES9_SG_JZNS1_25segmented_radix_sort_implINS0_14default_configELb0EPKhPhPKlPlN2at6native12_GLOBAL__N_18offset_tEEE10hipError_tPvRmT1_PNSt15iterator_traitsISY_E10value_typeET2_T3_PNSZ_IS14_E10value_typeET4_jRbjT5_S1A_jjP12ihipStream_tbEUljE_EEESV_SW_SX_S14_S18_S1A_T6_T7_T9_mT8_S1C_bDpT10_ENKUlT_T0_E_clISt17integral_constantIbLb1EES1P_EEDaS1K_S1L_EUlS1K_E_NS1_11comp_targetILNS1_3genE5ELNS1_11target_archE942ELNS1_3gpuE9ELNS1_3repE0EEENS1_30default_config_static_selectorELNS0_4arch9wavefront6targetE0EEEvSY_.has_indirect_call, 0
	.section	.AMDGPU.csdata,"",@progbits
; Kernel info:
; codeLenInByte = 0
; TotalNumSgprs: 0
; NumVgprs: 0
; ScratchSize: 0
; MemoryBound: 0
; FloatMode: 240
; IeeeMode: 1
; LDSByteSize: 0 bytes/workgroup (compile time only)
; SGPRBlocks: 0
; VGPRBlocks: 0
; NumSGPRsForWavesPerEU: 1
; NumVGPRsForWavesPerEU: 1
; Occupancy: 16
; WaveLimiterHint : 0
; COMPUTE_PGM_RSRC2:SCRATCH_EN: 0
; COMPUTE_PGM_RSRC2:USER_SGPR: 6
; COMPUTE_PGM_RSRC2:TRAP_HANDLER: 0
; COMPUTE_PGM_RSRC2:TGID_X_EN: 1
; COMPUTE_PGM_RSRC2:TGID_Y_EN: 0
; COMPUTE_PGM_RSRC2:TGID_Z_EN: 0
; COMPUTE_PGM_RSRC2:TIDIG_COMP_CNT: 0
	.section	.text._ZN7rocprim17ROCPRIM_400000_NS6detail17trampoline_kernelINS0_13select_configILj256ELj13ELNS0_17block_load_methodE3ELS4_3ELS4_3ELNS0_20block_scan_algorithmE0ELj4294967295EEENS1_25partition_config_selectorILNS1_17partition_subalgoE3EjNS0_10empty_typeEbEEZZNS1_14partition_implILS8_3ELb0ES6_jNS0_17counting_iteratorIjlEEPS9_SE_NS0_5tupleIJPjSE_EEENSF_IJSE_SE_EEES9_SG_JZNS1_25segmented_radix_sort_implINS0_14default_configELb0EPKhPhPKlPlN2at6native12_GLOBAL__N_18offset_tEEE10hipError_tPvRmT1_PNSt15iterator_traitsISY_E10value_typeET2_T3_PNSZ_IS14_E10value_typeET4_jRbjT5_S1A_jjP12ihipStream_tbEUljE_EEESV_SW_SX_S14_S18_S1A_T6_T7_T9_mT8_S1C_bDpT10_ENKUlT_T0_E_clISt17integral_constantIbLb1EES1P_EEDaS1K_S1L_EUlS1K_E_NS1_11comp_targetILNS1_3genE4ELNS1_11target_archE910ELNS1_3gpuE8ELNS1_3repE0EEENS1_30default_config_static_selectorELNS0_4arch9wavefront6targetE0EEEvSY_,"axG",@progbits,_ZN7rocprim17ROCPRIM_400000_NS6detail17trampoline_kernelINS0_13select_configILj256ELj13ELNS0_17block_load_methodE3ELS4_3ELS4_3ELNS0_20block_scan_algorithmE0ELj4294967295EEENS1_25partition_config_selectorILNS1_17partition_subalgoE3EjNS0_10empty_typeEbEEZZNS1_14partition_implILS8_3ELb0ES6_jNS0_17counting_iteratorIjlEEPS9_SE_NS0_5tupleIJPjSE_EEENSF_IJSE_SE_EEES9_SG_JZNS1_25segmented_radix_sort_implINS0_14default_configELb0EPKhPhPKlPlN2at6native12_GLOBAL__N_18offset_tEEE10hipError_tPvRmT1_PNSt15iterator_traitsISY_E10value_typeET2_T3_PNSZ_IS14_E10value_typeET4_jRbjT5_S1A_jjP12ihipStream_tbEUljE_EEESV_SW_SX_S14_S18_S1A_T6_T7_T9_mT8_S1C_bDpT10_ENKUlT_T0_E_clISt17integral_constantIbLb1EES1P_EEDaS1K_S1L_EUlS1K_E_NS1_11comp_targetILNS1_3genE4ELNS1_11target_archE910ELNS1_3gpuE8ELNS1_3repE0EEENS1_30default_config_static_selectorELNS0_4arch9wavefront6targetE0EEEvSY_,comdat
	.globl	_ZN7rocprim17ROCPRIM_400000_NS6detail17trampoline_kernelINS0_13select_configILj256ELj13ELNS0_17block_load_methodE3ELS4_3ELS4_3ELNS0_20block_scan_algorithmE0ELj4294967295EEENS1_25partition_config_selectorILNS1_17partition_subalgoE3EjNS0_10empty_typeEbEEZZNS1_14partition_implILS8_3ELb0ES6_jNS0_17counting_iteratorIjlEEPS9_SE_NS0_5tupleIJPjSE_EEENSF_IJSE_SE_EEES9_SG_JZNS1_25segmented_radix_sort_implINS0_14default_configELb0EPKhPhPKlPlN2at6native12_GLOBAL__N_18offset_tEEE10hipError_tPvRmT1_PNSt15iterator_traitsISY_E10value_typeET2_T3_PNSZ_IS14_E10value_typeET4_jRbjT5_S1A_jjP12ihipStream_tbEUljE_EEESV_SW_SX_S14_S18_S1A_T6_T7_T9_mT8_S1C_bDpT10_ENKUlT_T0_E_clISt17integral_constantIbLb1EES1P_EEDaS1K_S1L_EUlS1K_E_NS1_11comp_targetILNS1_3genE4ELNS1_11target_archE910ELNS1_3gpuE8ELNS1_3repE0EEENS1_30default_config_static_selectorELNS0_4arch9wavefront6targetE0EEEvSY_ ; -- Begin function _ZN7rocprim17ROCPRIM_400000_NS6detail17trampoline_kernelINS0_13select_configILj256ELj13ELNS0_17block_load_methodE3ELS4_3ELS4_3ELNS0_20block_scan_algorithmE0ELj4294967295EEENS1_25partition_config_selectorILNS1_17partition_subalgoE3EjNS0_10empty_typeEbEEZZNS1_14partition_implILS8_3ELb0ES6_jNS0_17counting_iteratorIjlEEPS9_SE_NS0_5tupleIJPjSE_EEENSF_IJSE_SE_EEES9_SG_JZNS1_25segmented_radix_sort_implINS0_14default_configELb0EPKhPhPKlPlN2at6native12_GLOBAL__N_18offset_tEEE10hipError_tPvRmT1_PNSt15iterator_traitsISY_E10value_typeET2_T3_PNSZ_IS14_E10value_typeET4_jRbjT5_S1A_jjP12ihipStream_tbEUljE_EEESV_SW_SX_S14_S18_S1A_T6_T7_T9_mT8_S1C_bDpT10_ENKUlT_T0_E_clISt17integral_constantIbLb1EES1P_EEDaS1K_S1L_EUlS1K_E_NS1_11comp_targetILNS1_3genE4ELNS1_11target_archE910ELNS1_3gpuE8ELNS1_3repE0EEENS1_30default_config_static_selectorELNS0_4arch9wavefront6targetE0EEEvSY_
	.p2align	8
	.type	_ZN7rocprim17ROCPRIM_400000_NS6detail17trampoline_kernelINS0_13select_configILj256ELj13ELNS0_17block_load_methodE3ELS4_3ELS4_3ELNS0_20block_scan_algorithmE0ELj4294967295EEENS1_25partition_config_selectorILNS1_17partition_subalgoE3EjNS0_10empty_typeEbEEZZNS1_14partition_implILS8_3ELb0ES6_jNS0_17counting_iteratorIjlEEPS9_SE_NS0_5tupleIJPjSE_EEENSF_IJSE_SE_EEES9_SG_JZNS1_25segmented_radix_sort_implINS0_14default_configELb0EPKhPhPKlPlN2at6native12_GLOBAL__N_18offset_tEEE10hipError_tPvRmT1_PNSt15iterator_traitsISY_E10value_typeET2_T3_PNSZ_IS14_E10value_typeET4_jRbjT5_S1A_jjP12ihipStream_tbEUljE_EEESV_SW_SX_S14_S18_S1A_T6_T7_T9_mT8_S1C_bDpT10_ENKUlT_T0_E_clISt17integral_constantIbLb1EES1P_EEDaS1K_S1L_EUlS1K_E_NS1_11comp_targetILNS1_3genE4ELNS1_11target_archE910ELNS1_3gpuE8ELNS1_3repE0EEENS1_30default_config_static_selectorELNS0_4arch9wavefront6targetE0EEEvSY_,@function
_ZN7rocprim17ROCPRIM_400000_NS6detail17trampoline_kernelINS0_13select_configILj256ELj13ELNS0_17block_load_methodE3ELS4_3ELS4_3ELNS0_20block_scan_algorithmE0ELj4294967295EEENS1_25partition_config_selectorILNS1_17partition_subalgoE3EjNS0_10empty_typeEbEEZZNS1_14partition_implILS8_3ELb0ES6_jNS0_17counting_iteratorIjlEEPS9_SE_NS0_5tupleIJPjSE_EEENSF_IJSE_SE_EEES9_SG_JZNS1_25segmented_radix_sort_implINS0_14default_configELb0EPKhPhPKlPlN2at6native12_GLOBAL__N_18offset_tEEE10hipError_tPvRmT1_PNSt15iterator_traitsISY_E10value_typeET2_T3_PNSZ_IS14_E10value_typeET4_jRbjT5_S1A_jjP12ihipStream_tbEUljE_EEESV_SW_SX_S14_S18_S1A_T6_T7_T9_mT8_S1C_bDpT10_ENKUlT_T0_E_clISt17integral_constantIbLb1EES1P_EEDaS1K_S1L_EUlS1K_E_NS1_11comp_targetILNS1_3genE4ELNS1_11target_archE910ELNS1_3gpuE8ELNS1_3repE0EEENS1_30default_config_static_selectorELNS0_4arch9wavefront6targetE0EEEvSY_: ; @_ZN7rocprim17ROCPRIM_400000_NS6detail17trampoline_kernelINS0_13select_configILj256ELj13ELNS0_17block_load_methodE3ELS4_3ELS4_3ELNS0_20block_scan_algorithmE0ELj4294967295EEENS1_25partition_config_selectorILNS1_17partition_subalgoE3EjNS0_10empty_typeEbEEZZNS1_14partition_implILS8_3ELb0ES6_jNS0_17counting_iteratorIjlEEPS9_SE_NS0_5tupleIJPjSE_EEENSF_IJSE_SE_EEES9_SG_JZNS1_25segmented_radix_sort_implINS0_14default_configELb0EPKhPhPKlPlN2at6native12_GLOBAL__N_18offset_tEEE10hipError_tPvRmT1_PNSt15iterator_traitsISY_E10value_typeET2_T3_PNSZ_IS14_E10value_typeET4_jRbjT5_S1A_jjP12ihipStream_tbEUljE_EEESV_SW_SX_S14_S18_S1A_T6_T7_T9_mT8_S1C_bDpT10_ENKUlT_T0_E_clISt17integral_constantIbLb1EES1P_EEDaS1K_S1L_EUlS1K_E_NS1_11comp_targetILNS1_3genE4ELNS1_11target_archE910ELNS1_3gpuE8ELNS1_3repE0EEENS1_30default_config_static_selectorELNS0_4arch9wavefront6targetE0EEEvSY_
; %bb.0:
	.section	.rodata,"a",@progbits
	.p2align	6, 0x0
	.amdhsa_kernel _ZN7rocprim17ROCPRIM_400000_NS6detail17trampoline_kernelINS0_13select_configILj256ELj13ELNS0_17block_load_methodE3ELS4_3ELS4_3ELNS0_20block_scan_algorithmE0ELj4294967295EEENS1_25partition_config_selectorILNS1_17partition_subalgoE3EjNS0_10empty_typeEbEEZZNS1_14partition_implILS8_3ELb0ES6_jNS0_17counting_iteratorIjlEEPS9_SE_NS0_5tupleIJPjSE_EEENSF_IJSE_SE_EEES9_SG_JZNS1_25segmented_radix_sort_implINS0_14default_configELb0EPKhPhPKlPlN2at6native12_GLOBAL__N_18offset_tEEE10hipError_tPvRmT1_PNSt15iterator_traitsISY_E10value_typeET2_T3_PNSZ_IS14_E10value_typeET4_jRbjT5_S1A_jjP12ihipStream_tbEUljE_EEESV_SW_SX_S14_S18_S1A_T6_T7_T9_mT8_S1C_bDpT10_ENKUlT_T0_E_clISt17integral_constantIbLb1EES1P_EEDaS1K_S1L_EUlS1K_E_NS1_11comp_targetILNS1_3genE4ELNS1_11target_archE910ELNS1_3gpuE8ELNS1_3repE0EEENS1_30default_config_static_selectorELNS0_4arch9wavefront6targetE0EEEvSY_
		.amdhsa_group_segment_fixed_size 0
		.amdhsa_private_segment_fixed_size 0
		.amdhsa_kernarg_size 152
		.amdhsa_user_sgpr_count 6
		.amdhsa_user_sgpr_private_segment_buffer 1
		.amdhsa_user_sgpr_dispatch_ptr 0
		.amdhsa_user_sgpr_queue_ptr 0
		.amdhsa_user_sgpr_kernarg_segment_ptr 1
		.amdhsa_user_sgpr_dispatch_id 0
		.amdhsa_user_sgpr_flat_scratch_init 0
		.amdhsa_user_sgpr_private_segment_size 0
		.amdhsa_wavefront_size32 1
		.amdhsa_uses_dynamic_stack 0
		.amdhsa_system_sgpr_private_segment_wavefront_offset 0
		.amdhsa_system_sgpr_workgroup_id_x 1
		.amdhsa_system_sgpr_workgroup_id_y 0
		.amdhsa_system_sgpr_workgroup_id_z 0
		.amdhsa_system_sgpr_workgroup_info 0
		.amdhsa_system_vgpr_workitem_id 0
		.amdhsa_next_free_vgpr 1
		.amdhsa_next_free_sgpr 1
		.amdhsa_reserve_vcc 0
		.amdhsa_reserve_flat_scratch 0
		.amdhsa_float_round_mode_32 0
		.amdhsa_float_round_mode_16_64 0
		.amdhsa_float_denorm_mode_32 3
		.amdhsa_float_denorm_mode_16_64 3
		.amdhsa_dx10_clamp 1
		.amdhsa_ieee_mode 1
		.amdhsa_fp16_overflow 0
		.amdhsa_workgroup_processor_mode 1
		.amdhsa_memory_ordered 1
		.amdhsa_forward_progress 1
		.amdhsa_shared_vgpr_count 0
		.amdhsa_exception_fp_ieee_invalid_op 0
		.amdhsa_exception_fp_denorm_src 0
		.amdhsa_exception_fp_ieee_div_zero 0
		.amdhsa_exception_fp_ieee_overflow 0
		.amdhsa_exception_fp_ieee_underflow 0
		.amdhsa_exception_fp_ieee_inexact 0
		.amdhsa_exception_int_div_zero 0
	.end_amdhsa_kernel
	.section	.text._ZN7rocprim17ROCPRIM_400000_NS6detail17trampoline_kernelINS0_13select_configILj256ELj13ELNS0_17block_load_methodE3ELS4_3ELS4_3ELNS0_20block_scan_algorithmE0ELj4294967295EEENS1_25partition_config_selectorILNS1_17partition_subalgoE3EjNS0_10empty_typeEbEEZZNS1_14partition_implILS8_3ELb0ES6_jNS0_17counting_iteratorIjlEEPS9_SE_NS0_5tupleIJPjSE_EEENSF_IJSE_SE_EEES9_SG_JZNS1_25segmented_radix_sort_implINS0_14default_configELb0EPKhPhPKlPlN2at6native12_GLOBAL__N_18offset_tEEE10hipError_tPvRmT1_PNSt15iterator_traitsISY_E10value_typeET2_T3_PNSZ_IS14_E10value_typeET4_jRbjT5_S1A_jjP12ihipStream_tbEUljE_EEESV_SW_SX_S14_S18_S1A_T6_T7_T9_mT8_S1C_bDpT10_ENKUlT_T0_E_clISt17integral_constantIbLb1EES1P_EEDaS1K_S1L_EUlS1K_E_NS1_11comp_targetILNS1_3genE4ELNS1_11target_archE910ELNS1_3gpuE8ELNS1_3repE0EEENS1_30default_config_static_selectorELNS0_4arch9wavefront6targetE0EEEvSY_,"axG",@progbits,_ZN7rocprim17ROCPRIM_400000_NS6detail17trampoline_kernelINS0_13select_configILj256ELj13ELNS0_17block_load_methodE3ELS4_3ELS4_3ELNS0_20block_scan_algorithmE0ELj4294967295EEENS1_25partition_config_selectorILNS1_17partition_subalgoE3EjNS0_10empty_typeEbEEZZNS1_14partition_implILS8_3ELb0ES6_jNS0_17counting_iteratorIjlEEPS9_SE_NS0_5tupleIJPjSE_EEENSF_IJSE_SE_EEES9_SG_JZNS1_25segmented_radix_sort_implINS0_14default_configELb0EPKhPhPKlPlN2at6native12_GLOBAL__N_18offset_tEEE10hipError_tPvRmT1_PNSt15iterator_traitsISY_E10value_typeET2_T3_PNSZ_IS14_E10value_typeET4_jRbjT5_S1A_jjP12ihipStream_tbEUljE_EEESV_SW_SX_S14_S18_S1A_T6_T7_T9_mT8_S1C_bDpT10_ENKUlT_T0_E_clISt17integral_constantIbLb1EES1P_EEDaS1K_S1L_EUlS1K_E_NS1_11comp_targetILNS1_3genE4ELNS1_11target_archE910ELNS1_3gpuE8ELNS1_3repE0EEENS1_30default_config_static_selectorELNS0_4arch9wavefront6targetE0EEEvSY_,comdat
.Lfunc_end163:
	.size	_ZN7rocprim17ROCPRIM_400000_NS6detail17trampoline_kernelINS0_13select_configILj256ELj13ELNS0_17block_load_methodE3ELS4_3ELS4_3ELNS0_20block_scan_algorithmE0ELj4294967295EEENS1_25partition_config_selectorILNS1_17partition_subalgoE3EjNS0_10empty_typeEbEEZZNS1_14partition_implILS8_3ELb0ES6_jNS0_17counting_iteratorIjlEEPS9_SE_NS0_5tupleIJPjSE_EEENSF_IJSE_SE_EEES9_SG_JZNS1_25segmented_radix_sort_implINS0_14default_configELb0EPKhPhPKlPlN2at6native12_GLOBAL__N_18offset_tEEE10hipError_tPvRmT1_PNSt15iterator_traitsISY_E10value_typeET2_T3_PNSZ_IS14_E10value_typeET4_jRbjT5_S1A_jjP12ihipStream_tbEUljE_EEESV_SW_SX_S14_S18_S1A_T6_T7_T9_mT8_S1C_bDpT10_ENKUlT_T0_E_clISt17integral_constantIbLb1EES1P_EEDaS1K_S1L_EUlS1K_E_NS1_11comp_targetILNS1_3genE4ELNS1_11target_archE910ELNS1_3gpuE8ELNS1_3repE0EEENS1_30default_config_static_selectorELNS0_4arch9wavefront6targetE0EEEvSY_, .Lfunc_end163-_ZN7rocprim17ROCPRIM_400000_NS6detail17trampoline_kernelINS0_13select_configILj256ELj13ELNS0_17block_load_methodE3ELS4_3ELS4_3ELNS0_20block_scan_algorithmE0ELj4294967295EEENS1_25partition_config_selectorILNS1_17partition_subalgoE3EjNS0_10empty_typeEbEEZZNS1_14partition_implILS8_3ELb0ES6_jNS0_17counting_iteratorIjlEEPS9_SE_NS0_5tupleIJPjSE_EEENSF_IJSE_SE_EEES9_SG_JZNS1_25segmented_radix_sort_implINS0_14default_configELb0EPKhPhPKlPlN2at6native12_GLOBAL__N_18offset_tEEE10hipError_tPvRmT1_PNSt15iterator_traitsISY_E10value_typeET2_T3_PNSZ_IS14_E10value_typeET4_jRbjT5_S1A_jjP12ihipStream_tbEUljE_EEESV_SW_SX_S14_S18_S1A_T6_T7_T9_mT8_S1C_bDpT10_ENKUlT_T0_E_clISt17integral_constantIbLb1EES1P_EEDaS1K_S1L_EUlS1K_E_NS1_11comp_targetILNS1_3genE4ELNS1_11target_archE910ELNS1_3gpuE8ELNS1_3repE0EEENS1_30default_config_static_selectorELNS0_4arch9wavefront6targetE0EEEvSY_
                                        ; -- End function
	.set _ZN7rocprim17ROCPRIM_400000_NS6detail17trampoline_kernelINS0_13select_configILj256ELj13ELNS0_17block_load_methodE3ELS4_3ELS4_3ELNS0_20block_scan_algorithmE0ELj4294967295EEENS1_25partition_config_selectorILNS1_17partition_subalgoE3EjNS0_10empty_typeEbEEZZNS1_14partition_implILS8_3ELb0ES6_jNS0_17counting_iteratorIjlEEPS9_SE_NS0_5tupleIJPjSE_EEENSF_IJSE_SE_EEES9_SG_JZNS1_25segmented_radix_sort_implINS0_14default_configELb0EPKhPhPKlPlN2at6native12_GLOBAL__N_18offset_tEEE10hipError_tPvRmT1_PNSt15iterator_traitsISY_E10value_typeET2_T3_PNSZ_IS14_E10value_typeET4_jRbjT5_S1A_jjP12ihipStream_tbEUljE_EEESV_SW_SX_S14_S18_S1A_T6_T7_T9_mT8_S1C_bDpT10_ENKUlT_T0_E_clISt17integral_constantIbLb1EES1P_EEDaS1K_S1L_EUlS1K_E_NS1_11comp_targetILNS1_3genE4ELNS1_11target_archE910ELNS1_3gpuE8ELNS1_3repE0EEENS1_30default_config_static_selectorELNS0_4arch9wavefront6targetE0EEEvSY_.num_vgpr, 0
	.set _ZN7rocprim17ROCPRIM_400000_NS6detail17trampoline_kernelINS0_13select_configILj256ELj13ELNS0_17block_load_methodE3ELS4_3ELS4_3ELNS0_20block_scan_algorithmE0ELj4294967295EEENS1_25partition_config_selectorILNS1_17partition_subalgoE3EjNS0_10empty_typeEbEEZZNS1_14partition_implILS8_3ELb0ES6_jNS0_17counting_iteratorIjlEEPS9_SE_NS0_5tupleIJPjSE_EEENSF_IJSE_SE_EEES9_SG_JZNS1_25segmented_radix_sort_implINS0_14default_configELb0EPKhPhPKlPlN2at6native12_GLOBAL__N_18offset_tEEE10hipError_tPvRmT1_PNSt15iterator_traitsISY_E10value_typeET2_T3_PNSZ_IS14_E10value_typeET4_jRbjT5_S1A_jjP12ihipStream_tbEUljE_EEESV_SW_SX_S14_S18_S1A_T6_T7_T9_mT8_S1C_bDpT10_ENKUlT_T0_E_clISt17integral_constantIbLb1EES1P_EEDaS1K_S1L_EUlS1K_E_NS1_11comp_targetILNS1_3genE4ELNS1_11target_archE910ELNS1_3gpuE8ELNS1_3repE0EEENS1_30default_config_static_selectorELNS0_4arch9wavefront6targetE0EEEvSY_.num_agpr, 0
	.set _ZN7rocprim17ROCPRIM_400000_NS6detail17trampoline_kernelINS0_13select_configILj256ELj13ELNS0_17block_load_methodE3ELS4_3ELS4_3ELNS0_20block_scan_algorithmE0ELj4294967295EEENS1_25partition_config_selectorILNS1_17partition_subalgoE3EjNS0_10empty_typeEbEEZZNS1_14partition_implILS8_3ELb0ES6_jNS0_17counting_iteratorIjlEEPS9_SE_NS0_5tupleIJPjSE_EEENSF_IJSE_SE_EEES9_SG_JZNS1_25segmented_radix_sort_implINS0_14default_configELb0EPKhPhPKlPlN2at6native12_GLOBAL__N_18offset_tEEE10hipError_tPvRmT1_PNSt15iterator_traitsISY_E10value_typeET2_T3_PNSZ_IS14_E10value_typeET4_jRbjT5_S1A_jjP12ihipStream_tbEUljE_EEESV_SW_SX_S14_S18_S1A_T6_T7_T9_mT8_S1C_bDpT10_ENKUlT_T0_E_clISt17integral_constantIbLb1EES1P_EEDaS1K_S1L_EUlS1K_E_NS1_11comp_targetILNS1_3genE4ELNS1_11target_archE910ELNS1_3gpuE8ELNS1_3repE0EEENS1_30default_config_static_selectorELNS0_4arch9wavefront6targetE0EEEvSY_.numbered_sgpr, 0
	.set _ZN7rocprim17ROCPRIM_400000_NS6detail17trampoline_kernelINS0_13select_configILj256ELj13ELNS0_17block_load_methodE3ELS4_3ELS4_3ELNS0_20block_scan_algorithmE0ELj4294967295EEENS1_25partition_config_selectorILNS1_17partition_subalgoE3EjNS0_10empty_typeEbEEZZNS1_14partition_implILS8_3ELb0ES6_jNS0_17counting_iteratorIjlEEPS9_SE_NS0_5tupleIJPjSE_EEENSF_IJSE_SE_EEES9_SG_JZNS1_25segmented_radix_sort_implINS0_14default_configELb0EPKhPhPKlPlN2at6native12_GLOBAL__N_18offset_tEEE10hipError_tPvRmT1_PNSt15iterator_traitsISY_E10value_typeET2_T3_PNSZ_IS14_E10value_typeET4_jRbjT5_S1A_jjP12ihipStream_tbEUljE_EEESV_SW_SX_S14_S18_S1A_T6_T7_T9_mT8_S1C_bDpT10_ENKUlT_T0_E_clISt17integral_constantIbLb1EES1P_EEDaS1K_S1L_EUlS1K_E_NS1_11comp_targetILNS1_3genE4ELNS1_11target_archE910ELNS1_3gpuE8ELNS1_3repE0EEENS1_30default_config_static_selectorELNS0_4arch9wavefront6targetE0EEEvSY_.num_named_barrier, 0
	.set _ZN7rocprim17ROCPRIM_400000_NS6detail17trampoline_kernelINS0_13select_configILj256ELj13ELNS0_17block_load_methodE3ELS4_3ELS4_3ELNS0_20block_scan_algorithmE0ELj4294967295EEENS1_25partition_config_selectorILNS1_17partition_subalgoE3EjNS0_10empty_typeEbEEZZNS1_14partition_implILS8_3ELb0ES6_jNS0_17counting_iteratorIjlEEPS9_SE_NS0_5tupleIJPjSE_EEENSF_IJSE_SE_EEES9_SG_JZNS1_25segmented_radix_sort_implINS0_14default_configELb0EPKhPhPKlPlN2at6native12_GLOBAL__N_18offset_tEEE10hipError_tPvRmT1_PNSt15iterator_traitsISY_E10value_typeET2_T3_PNSZ_IS14_E10value_typeET4_jRbjT5_S1A_jjP12ihipStream_tbEUljE_EEESV_SW_SX_S14_S18_S1A_T6_T7_T9_mT8_S1C_bDpT10_ENKUlT_T0_E_clISt17integral_constantIbLb1EES1P_EEDaS1K_S1L_EUlS1K_E_NS1_11comp_targetILNS1_3genE4ELNS1_11target_archE910ELNS1_3gpuE8ELNS1_3repE0EEENS1_30default_config_static_selectorELNS0_4arch9wavefront6targetE0EEEvSY_.private_seg_size, 0
	.set _ZN7rocprim17ROCPRIM_400000_NS6detail17trampoline_kernelINS0_13select_configILj256ELj13ELNS0_17block_load_methodE3ELS4_3ELS4_3ELNS0_20block_scan_algorithmE0ELj4294967295EEENS1_25partition_config_selectorILNS1_17partition_subalgoE3EjNS0_10empty_typeEbEEZZNS1_14partition_implILS8_3ELb0ES6_jNS0_17counting_iteratorIjlEEPS9_SE_NS0_5tupleIJPjSE_EEENSF_IJSE_SE_EEES9_SG_JZNS1_25segmented_radix_sort_implINS0_14default_configELb0EPKhPhPKlPlN2at6native12_GLOBAL__N_18offset_tEEE10hipError_tPvRmT1_PNSt15iterator_traitsISY_E10value_typeET2_T3_PNSZ_IS14_E10value_typeET4_jRbjT5_S1A_jjP12ihipStream_tbEUljE_EEESV_SW_SX_S14_S18_S1A_T6_T7_T9_mT8_S1C_bDpT10_ENKUlT_T0_E_clISt17integral_constantIbLb1EES1P_EEDaS1K_S1L_EUlS1K_E_NS1_11comp_targetILNS1_3genE4ELNS1_11target_archE910ELNS1_3gpuE8ELNS1_3repE0EEENS1_30default_config_static_selectorELNS0_4arch9wavefront6targetE0EEEvSY_.uses_vcc, 0
	.set _ZN7rocprim17ROCPRIM_400000_NS6detail17trampoline_kernelINS0_13select_configILj256ELj13ELNS0_17block_load_methodE3ELS4_3ELS4_3ELNS0_20block_scan_algorithmE0ELj4294967295EEENS1_25partition_config_selectorILNS1_17partition_subalgoE3EjNS0_10empty_typeEbEEZZNS1_14partition_implILS8_3ELb0ES6_jNS0_17counting_iteratorIjlEEPS9_SE_NS0_5tupleIJPjSE_EEENSF_IJSE_SE_EEES9_SG_JZNS1_25segmented_radix_sort_implINS0_14default_configELb0EPKhPhPKlPlN2at6native12_GLOBAL__N_18offset_tEEE10hipError_tPvRmT1_PNSt15iterator_traitsISY_E10value_typeET2_T3_PNSZ_IS14_E10value_typeET4_jRbjT5_S1A_jjP12ihipStream_tbEUljE_EEESV_SW_SX_S14_S18_S1A_T6_T7_T9_mT8_S1C_bDpT10_ENKUlT_T0_E_clISt17integral_constantIbLb1EES1P_EEDaS1K_S1L_EUlS1K_E_NS1_11comp_targetILNS1_3genE4ELNS1_11target_archE910ELNS1_3gpuE8ELNS1_3repE0EEENS1_30default_config_static_selectorELNS0_4arch9wavefront6targetE0EEEvSY_.uses_flat_scratch, 0
	.set _ZN7rocprim17ROCPRIM_400000_NS6detail17trampoline_kernelINS0_13select_configILj256ELj13ELNS0_17block_load_methodE3ELS4_3ELS4_3ELNS0_20block_scan_algorithmE0ELj4294967295EEENS1_25partition_config_selectorILNS1_17partition_subalgoE3EjNS0_10empty_typeEbEEZZNS1_14partition_implILS8_3ELb0ES6_jNS0_17counting_iteratorIjlEEPS9_SE_NS0_5tupleIJPjSE_EEENSF_IJSE_SE_EEES9_SG_JZNS1_25segmented_radix_sort_implINS0_14default_configELb0EPKhPhPKlPlN2at6native12_GLOBAL__N_18offset_tEEE10hipError_tPvRmT1_PNSt15iterator_traitsISY_E10value_typeET2_T3_PNSZ_IS14_E10value_typeET4_jRbjT5_S1A_jjP12ihipStream_tbEUljE_EEESV_SW_SX_S14_S18_S1A_T6_T7_T9_mT8_S1C_bDpT10_ENKUlT_T0_E_clISt17integral_constantIbLb1EES1P_EEDaS1K_S1L_EUlS1K_E_NS1_11comp_targetILNS1_3genE4ELNS1_11target_archE910ELNS1_3gpuE8ELNS1_3repE0EEENS1_30default_config_static_selectorELNS0_4arch9wavefront6targetE0EEEvSY_.has_dyn_sized_stack, 0
	.set _ZN7rocprim17ROCPRIM_400000_NS6detail17trampoline_kernelINS0_13select_configILj256ELj13ELNS0_17block_load_methodE3ELS4_3ELS4_3ELNS0_20block_scan_algorithmE0ELj4294967295EEENS1_25partition_config_selectorILNS1_17partition_subalgoE3EjNS0_10empty_typeEbEEZZNS1_14partition_implILS8_3ELb0ES6_jNS0_17counting_iteratorIjlEEPS9_SE_NS0_5tupleIJPjSE_EEENSF_IJSE_SE_EEES9_SG_JZNS1_25segmented_radix_sort_implINS0_14default_configELb0EPKhPhPKlPlN2at6native12_GLOBAL__N_18offset_tEEE10hipError_tPvRmT1_PNSt15iterator_traitsISY_E10value_typeET2_T3_PNSZ_IS14_E10value_typeET4_jRbjT5_S1A_jjP12ihipStream_tbEUljE_EEESV_SW_SX_S14_S18_S1A_T6_T7_T9_mT8_S1C_bDpT10_ENKUlT_T0_E_clISt17integral_constantIbLb1EES1P_EEDaS1K_S1L_EUlS1K_E_NS1_11comp_targetILNS1_3genE4ELNS1_11target_archE910ELNS1_3gpuE8ELNS1_3repE0EEENS1_30default_config_static_selectorELNS0_4arch9wavefront6targetE0EEEvSY_.has_recursion, 0
	.set _ZN7rocprim17ROCPRIM_400000_NS6detail17trampoline_kernelINS0_13select_configILj256ELj13ELNS0_17block_load_methodE3ELS4_3ELS4_3ELNS0_20block_scan_algorithmE0ELj4294967295EEENS1_25partition_config_selectorILNS1_17partition_subalgoE3EjNS0_10empty_typeEbEEZZNS1_14partition_implILS8_3ELb0ES6_jNS0_17counting_iteratorIjlEEPS9_SE_NS0_5tupleIJPjSE_EEENSF_IJSE_SE_EEES9_SG_JZNS1_25segmented_radix_sort_implINS0_14default_configELb0EPKhPhPKlPlN2at6native12_GLOBAL__N_18offset_tEEE10hipError_tPvRmT1_PNSt15iterator_traitsISY_E10value_typeET2_T3_PNSZ_IS14_E10value_typeET4_jRbjT5_S1A_jjP12ihipStream_tbEUljE_EEESV_SW_SX_S14_S18_S1A_T6_T7_T9_mT8_S1C_bDpT10_ENKUlT_T0_E_clISt17integral_constantIbLb1EES1P_EEDaS1K_S1L_EUlS1K_E_NS1_11comp_targetILNS1_3genE4ELNS1_11target_archE910ELNS1_3gpuE8ELNS1_3repE0EEENS1_30default_config_static_selectorELNS0_4arch9wavefront6targetE0EEEvSY_.has_indirect_call, 0
	.section	.AMDGPU.csdata,"",@progbits
; Kernel info:
; codeLenInByte = 0
; TotalNumSgprs: 0
; NumVgprs: 0
; ScratchSize: 0
; MemoryBound: 0
; FloatMode: 240
; IeeeMode: 1
; LDSByteSize: 0 bytes/workgroup (compile time only)
; SGPRBlocks: 0
; VGPRBlocks: 0
; NumSGPRsForWavesPerEU: 1
; NumVGPRsForWavesPerEU: 1
; Occupancy: 16
; WaveLimiterHint : 0
; COMPUTE_PGM_RSRC2:SCRATCH_EN: 0
; COMPUTE_PGM_RSRC2:USER_SGPR: 6
; COMPUTE_PGM_RSRC2:TRAP_HANDLER: 0
; COMPUTE_PGM_RSRC2:TGID_X_EN: 1
; COMPUTE_PGM_RSRC2:TGID_Y_EN: 0
; COMPUTE_PGM_RSRC2:TGID_Z_EN: 0
; COMPUTE_PGM_RSRC2:TIDIG_COMP_CNT: 0
	.section	.text._ZN7rocprim17ROCPRIM_400000_NS6detail17trampoline_kernelINS0_13select_configILj256ELj13ELNS0_17block_load_methodE3ELS4_3ELS4_3ELNS0_20block_scan_algorithmE0ELj4294967295EEENS1_25partition_config_selectorILNS1_17partition_subalgoE3EjNS0_10empty_typeEbEEZZNS1_14partition_implILS8_3ELb0ES6_jNS0_17counting_iteratorIjlEEPS9_SE_NS0_5tupleIJPjSE_EEENSF_IJSE_SE_EEES9_SG_JZNS1_25segmented_radix_sort_implINS0_14default_configELb0EPKhPhPKlPlN2at6native12_GLOBAL__N_18offset_tEEE10hipError_tPvRmT1_PNSt15iterator_traitsISY_E10value_typeET2_T3_PNSZ_IS14_E10value_typeET4_jRbjT5_S1A_jjP12ihipStream_tbEUljE_EEESV_SW_SX_S14_S18_S1A_T6_T7_T9_mT8_S1C_bDpT10_ENKUlT_T0_E_clISt17integral_constantIbLb1EES1P_EEDaS1K_S1L_EUlS1K_E_NS1_11comp_targetILNS1_3genE3ELNS1_11target_archE908ELNS1_3gpuE7ELNS1_3repE0EEENS1_30default_config_static_selectorELNS0_4arch9wavefront6targetE0EEEvSY_,"axG",@progbits,_ZN7rocprim17ROCPRIM_400000_NS6detail17trampoline_kernelINS0_13select_configILj256ELj13ELNS0_17block_load_methodE3ELS4_3ELS4_3ELNS0_20block_scan_algorithmE0ELj4294967295EEENS1_25partition_config_selectorILNS1_17partition_subalgoE3EjNS0_10empty_typeEbEEZZNS1_14partition_implILS8_3ELb0ES6_jNS0_17counting_iteratorIjlEEPS9_SE_NS0_5tupleIJPjSE_EEENSF_IJSE_SE_EEES9_SG_JZNS1_25segmented_radix_sort_implINS0_14default_configELb0EPKhPhPKlPlN2at6native12_GLOBAL__N_18offset_tEEE10hipError_tPvRmT1_PNSt15iterator_traitsISY_E10value_typeET2_T3_PNSZ_IS14_E10value_typeET4_jRbjT5_S1A_jjP12ihipStream_tbEUljE_EEESV_SW_SX_S14_S18_S1A_T6_T7_T9_mT8_S1C_bDpT10_ENKUlT_T0_E_clISt17integral_constantIbLb1EES1P_EEDaS1K_S1L_EUlS1K_E_NS1_11comp_targetILNS1_3genE3ELNS1_11target_archE908ELNS1_3gpuE7ELNS1_3repE0EEENS1_30default_config_static_selectorELNS0_4arch9wavefront6targetE0EEEvSY_,comdat
	.globl	_ZN7rocprim17ROCPRIM_400000_NS6detail17trampoline_kernelINS0_13select_configILj256ELj13ELNS0_17block_load_methodE3ELS4_3ELS4_3ELNS0_20block_scan_algorithmE0ELj4294967295EEENS1_25partition_config_selectorILNS1_17partition_subalgoE3EjNS0_10empty_typeEbEEZZNS1_14partition_implILS8_3ELb0ES6_jNS0_17counting_iteratorIjlEEPS9_SE_NS0_5tupleIJPjSE_EEENSF_IJSE_SE_EEES9_SG_JZNS1_25segmented_radix_sort_implINS0_14default_configELb0EPKhPhPKlPlN2at6native12_GLOBAL__N_18offset_tEEE10hipError_tPvRmT1_PNSt15iterator_traitsISY_E10value_typeET2_T3_PNSZ_IS14_E10value_typeET4_jRbjT5_S1A_jjP12ihipStream_tbEUljE_EEESV_SW_SX_S14_S18_S1A_T6_T7_T9_mT8_S1C_bDpT10_ENKUlT_T0_E_clISt17integral_constantIbLb1EES1P_EEDaS1K_S1L_EUlS1K_E_NS1_11comp_targetILNS1_3genE3ELNS1_11target_archE908ELNS1_3gpuE7ELNS1_3repE0EEENS1_30default_config_static_selectorELNS0_4arch9wavefront6targetE0EEEvSY_ ; -- Begin function _ZN7rocprim17ROCPRIM_400000_NS6detail17trampoline_kernelINS0_13select_configILj256ELj13ELNS0_17block_load_methodE3ELS4_3ELS4_3ELNS0_20block_scan_algorithmE0ELj4294967295EEENS1_25partition_config_selectorILNS1_17partition_subalgoE3EjNS0_10empty_typeEbEEZZNS1_14partition_implILS8_3ELb0ES6_jNS0_17counting_iteratorIjlEEPS9_SE_NS0_5tupleIJPjSE_EEENSF_IJSE_SE_EEES9_SG_JZNS1_25segmented_radix_sort_implINS0_14default_configELb0EPKhPhPKlPlN2at6native12_GLOBAL__N_18offset_tEEE10hipError_tPvRmT1_PNSt15iterator_traitsISY_E10value_typeET2_T3_PNSZ_IS14_E10value_typeET4_jRbjT5_S1A_jjP12ihipStream_tbEUljE_EEESV_SW_SX_S14_S18_S1A_T6_T7_T9_mT8_S1C_bDpT10_ENKUlT_T0_E_clISt17integral_constantIbLb1EES1P_EEDaS1K_S1L_EUlS1K_E_NS1_11comp_targetILNS1_3genE3ELNS1_11target_archE908ELNS1_3gpuE7ELNS1_3repE0EEENS1_30default_config_static_selectorELNS0_4arch9wavefront6targetE0EEEvSY_
	.p2align	8
	.type	_ZN7rocprim17ROCPRIM_400000_NS6detail17trampoline_kernelINS0_13select_configILj256ELj13ELNS0_17block_load_methodE3ELS4_3ELS4_3ELNS0_20block_scan_algorithmE0ELj4294967295EEENS1_25partition_config_selectorILNS1_17partition_subalgoE3EjNS0_10empty_typeEbEEZZNS1_14partition_implILS8_3ELb0ES6_jNS0_17counting_iteratorIjlEEPS9_SE_NS0_5tupleIJPjSE_EEENSF_IJSE_SE_EEES9_SG_JZNS1_25segmented_radix_sort_implINS0_14default_configELb0EPKhPhPKlPlN2at6native12_GLOBAL__N_18offset_tEEE10hipError_tPvRmT1_PNSt15iterator_traitsISY_E10value_typeET2_T3_PNSZ_IS14_E10value_typeET4_jRbjT5_S1A_jjP12ihipStream_tbEUljE_EEESV_SW_SX_S14_S18_S1A_T6_T7_T9_mT8_S1C_bDpT10_ENKUlT_T0_E_clISt17integral_constantIbLb1EES1P_EEDaS1K_S1L_EUlS1K_E_NS1_11comp_targetILNS1_3genE3ELNS1_11target_archE908ELNS1_3gpuE7ELNS1_3repE0EEENS1_30default_config_static_selectorELNS0_4arch9wavefront6targetE0EEEvSY_,@function
_ZN7rocprim17ROCPRIM_400000_NS6detail17trampoline_kernelINS0_13select_configILj256ELj13ELNS0_17block_load_methodE3ELS4_3ELS4_3ELNS0_20block_scan_algorithmE0ELj4294967295EEENS1_25partition_config_selectorILNS1_17partition_subalgoE3EjNS0_10empty_typeEbEEZZNS1_14partition_implILS8_3ELb0ES6_jNS0_17counting_iteratorIjlEEPS9_SE_NS0_5tupleIJPjSE_EEENSF_IJSE_SE_EEES9_SG_JZNS1_25segmented_radix_sort_implINS0_14default_configELb0EPKhPhPKlPlN2at6native12_GLOBAL__N_18offset_tEEE10hipError_tPvRmT1_PNSt15iterator_traitsISY_E10value_typeET2_T3_PNSZ_IS14_E10value_typeET4_jRbjT5_S1A_jjP12ihipStream_tbEUljE_EEESV_SW_SX_S14_S18_S1A_T6_T7_T9_mT8_S1C_bDpT10_ENKUlT_T0_E_clISt17integral_constantIbLb1EES1P_EEDaS1K_S1L_EUlS1K_E_NS1_11comp_targetILNS1_3genE3ELNS1_11target_archE908ELNS1_3gpuE7ELNS1_3repE0EEENS1_30default_config_static_selectorELNS0_4arch9wavefront6targetE0EEEvSY_: ; @_ZN7rocprim17ROCPRIM_400000_NS6detail17trampoline_kernelINS0_13select_configILj256ELj13ELNS0_17block_load_methodE3ELS4_3ELS4_3ELNS0_20block_scan_algorithmE0ELj4294967295EEENS1_25partition_config_selectorILNS1_17partition_subalgoE3EjNS0_10empty_typeEbEEZZNS1_14partition_implILS8_3ELb0ES6_jNS0_17counting_iteratorIjlEEPS9_SE_NS0_5tupleIJPjSE_EEENSF_IJSE_SE_EEES9_SG_JZNS1_25segmented_radix_sort_implINS0_14default_configELb0EPKhPhPKlPlN2at6native12_GLOBAL__N_18offset_tEEE10hipError_tPvRmT1_PNSt15iterator_traitsISY_E10value_typeET2_T3_PNSZ_IS14_E10value_typeET4_jRbjT5_S1A_jjP12ihipStream_tbEUljE_EEESV_SW_SX_S14_S18_S1A_T6_T7_T9_mT8_S1C_bDpT10_ENKUlT_T0_E_clISt17integral_constantIbLb1EES1P_EEDaS1K_S1L_EUlS1K_E_NS1_11comp_targetILNS1_3genE3ELNS1_11target_archE908ELNS1_3gpuE7ELNS1_3repE0EEENS1_30default_config_static_selectorELNS0_4arch9wavefront6targetE0EEEvSY_
; %bb.0:
	.section	.rodata,"a",@progbits
	.p2align	6, 0x0
	.amdhsa_kernel _ZN7rocprim17ROCPRIM_400000_NS6detail17trampoline_kernelINS0_13select_configILj256ELj13ELNS0_17block_load_methodE3ELS4_3ELS4_3ELNS0_20block_scan_algorithmE0ELj4294967295EEENS1_25partition_config_selectorILNS1_17partition_subalgoE3EjNS0_10empty_typeEbEEZZNS1_14partition_implILS8_3ELb0ES6_jNS0_17counting_iteratorIjlEEPS9_SE_NS0_5tupleIJPjSE_EEENSF_IJSE_SE_EEES9_SG_JZNS1_25segmented_radix_sort_implINS0_14default_configELb0EPKhPhPKlPlN2at6native12_GLOBAL__N_18offset_tEEE10hipError_tPvRmT1_PNSt15iterator_traitsISY_E10value_typeET2_T3_PNSZ_IS14_E10value_typeET4_jRbjT5_S1A_jjP12ihipStream_tbEUljE_EEESV_SW_SX_S14_S18_S1A_T6_T7_T9_mT8_S1C_bDpT10_ENKUlT_T0_E_clISt17integral_constantIbLb1EES1P_EEDaS1K_S1L_EUlS1K_E_NS1_11comp_targetILNS1_3genE3ELNS1_11target_archE908ELNS1_3gpuE7ELNS1_3repE0EEENS1_30default_config_static_selectorELNS0_4arch9wavefront6targetE0EEEvSY_
		.amdhsa_group_segment_fixed_size 0
		.amdhsa_private_segment_fixed_size 0
		.amdhsa_kernarg_size 152
		.amdhsa_user_sgpr_count 6
		.amdhsa_user_sgpr_private_segment_buffer 1
		.amdhsa_user_sgpr_dispatch_ptr 0
		.amdhsa_user_sgpr_queue_ptr 0
		.amdhsa_user_sgpr_kernarg_segment_ptr 1
		.amdhsa_user_sgpr_dispatch_id 0
		.amdhsa_user_sgpr_flat_scratch_init 0
		.amdhsa_user_sgpr_private_segment_size 0
		.amdhsa_wavefront_size32 1
		.amdhsa_uses_dynamic_stack 0
		.amdhsa_system_sgpr_private_segment_wavefront_offset 0
		.amdhsa_system_sgpr_workgroup_id_x 1
		.amdhsa_system_sgpr_workgroup_id_y 0
		.amdhsa_system_sgpr_workgroup_id_z 0
		.amdhsa_system_sgpr_workgroup_info 0
		.amdhsa_system_vgpr_workitem_id 0
		.amdhsa_next_free_vgpr 1
		.amdhsa_next_free_sgpr 1
		.amdhsa_reserve_vcc 0
		.amdhsa_reserve_flat_scratch 0
		.amdhsa_float_round_mode_32 0
		.amdhsa_float_round_mode_16_64 0
		.amdhsa_float_denorm_mode_32 3
		.amdhsa_float_denorm_mode_16_64 3
		.amdhsa_dx10_clamp 1
		.amdhsa_ieee_mode 1
		.amdhsa_fp16_overflow 0
		.amdhsa_workgroup_processor_mode 1
		.amdhsa_memory_ordered 1
		.amdhsa_forward_progress 1
		.amdhsa_shared_vgpr_count 0
		.amdhsa_exception_fp_ieee_invalid_op 0
		.amdhsa_exception_fp_denorm_src 0
		.amdhsa_exception_fp_ieee_div_zero 0
		.amdhsa_exception_fp_ieee_overflow 0
		.amdhsa_exception_fp_ieee_underflow 0
		.amdhsa_exception_fp_ieee_inexact 0
		.amdhsa_exception_int_div_zero 0
	.end_amdhsa_kernel
	.section	.text._ZN7rocprim17ROCPRIM_400000_NS6detail17trampoline_kernelINS0_13select_configILj256ELj13ELNS0_17block_load_methodE3ELS4_3ELS4_3ELNS0_20block_scan_algorithmE0ELj4294967295EEENS1_25partition_config_selectorILNS1_17partition_subalgoE3EjNS0_10empty_typeEbEEZZNS1_14partition_implILS8_3ELb0ES6_jNS0_17counting_iteratorIjlEEPS9_SE_NS0_5tupleIJPjSE_EEENSF_IJSE_SE_EEES9_SG_JZNS1_25segmented_radix_sort_implINS0_14default_configELb0EPKhPhPKlPlN2at6native12_GLOBAL__N_18offset_tEEE10hipError_tPvRmT1_PNSt15iterator_traitsISY_E10value_typeET2_T3_PNSZ_IS14_E10value_typeET4_jRbjT5_S1A_jjP12ihipStream_tbEUljE_EEESV_SW_SX_S14_S18_S1A_T6_T7_T9_mT8_S1C_bDpT10_ENKUlT_T0_E_clISt17integral_constantIbLb1EES1P_EEDaS1K_S1L_EUlS1K_E_NS1_11comp_targetILNS1_3genE3ELNS1_11target_archE908ELNS1_3gpuE7ELNS1_3repE0EEENS1_30default_config_static_selectorELNS0_4arch9wavefront6targetE0EEEvSY_,"axG",@progbits,_ZN7rocprim17ROCPRIM_400000_NS6detail17trampoline_kernelINS0_13select_configILj256ELj13ELNS0_17block_load_methodE3ELS4_3ELS4_3ELNS0_20block_scan_algorithmE0ELj4294967295EEENS1_25partition_config_selectorILNS1_17partition_subalgoE3EjNS0_10empty_typeEbEEZZNS1_14partition_implILS8_3ELb0ES6_jNS0_17counting_iteratorIjlEEPS9_SE_NS0_5tupleIJPjSE_EEENSF_IJSE_SE_EEES9_SG_JZNS1_25segmented_radix_sort_implINS0_14default_configELb0EPKhPhPKlPlN2at6native12_GLOBAL__N_18offset_tEEE10hipError_tPvRmT1_PNSt15iterator_traitsISY_E10value_typeET2_T3_PNSZ_IS14_E10value_typeET4_jRbjT5_S1A_jjP12ihipStream_tbEUljE_EEESV_SW_SX_S14_S18_S1A_T6_T7_T9_mT8_S1C_bDpT10_ENKUlT_T0_E_clISt17integral_constantIbLb1EES1P_EEDaS1K_S1L_EUlS1K_E_NS1_11comp_targetILNS1_3genE3ELNS1_11target_archE908ELNS1_3gpuE7ELNS1_3repE0EEENS1_30default_config_static_selectorELNS0_4arch9wavefront6targetE0EEEvSY_,comdat
.Lfunc_end164:
	.size	_ZN7rocprim17ROCPRIM_400000_NS6detail17trampoline_kernelINS0_13select_configILj256ELj13ELNS0_17block_load_methodE3ELS4_3ELS4_3ELNS0_20block_scan_algorithmE0ELj4294967295EEENS1_25partition_config_selectorILNS1_17partition_subalgoE3EjNS0_10empty_typeEbEEZZNS1_14partition_implILS8_3ELb0ES6_jNS0_17counting_iteratorIjlEEPS9_SE_NS0_5tupleIJPjSE_EEENSF_IJSE_SE_EEES9_SG_JZNS1_25segmented_radix_sort_implINS0_14default_configELb0EPKhPhPKlPlN2at6native12_GLOBAL__N_18offset_tEEE10hipError_tPvRmT1_PNSt15iterator_traitsISY_E10value_typeET2_T3_PNSZ_IS14_E10value_typeET4_jRbjT5_S1A_jjP12ihipStream_tbEUljE_EEESV_SW_SX_S14_S18_S1A_T6_T7_T9_mT8_S1C_bDpT10_ENKUlT_T0_E_clISt17integral_constantIbLb1EES1P_EEDaS1K_S1L_EUlS1K_E_NS1_11comp_targetILNS1_3genE3ELNS1_11target_archE908ELNS1_3gpuE7ELNS1_3repE0EEENS1_30default_config_static_selectorELNS0_4arch9wavefront6targetE0EEEvSY_, .Lfunc_end164-_ZN7rocprim17ROCPRIM_400000_NS6detail17trampoline_kernelINS0_13select_configILj256ELj13ELNS0_17block_load_methodE3ELS4_3ELS4_3ELNS0_20block_scan_algorithmE0ELj4294967295EEENS1_25partition_config_selectorILNS1_17partition_subalgoE3EjNS0_10empty_typeEbEEZZNS1_14partition_implILS8_3ELb0ES6_jNS0_17counting_iteratorIjlEEPS9_SE_NS0_5tupleIJPjSE_EEENSF_IJSE_SE_EEES9_SG_JZNS1_25segmented_radix_sort_implINS0_14default_configELb0EPKhPhPKlPlN2at6native12_GLOBAL__N_18offset_tEEE10hipError_tPvRmT1_PNSt15iterator_traitsISY_E10value_typeET2_T3_PNSZ_IS14_E10value_typeET4_jRbjT5_S1A_jjP12ihipStream_tbEUljE_EEESV_SW_SX_S14_S18_S1A_T6_T7_T9_mT8_S1C_bDpT10_ENKUlT_T0_E_clISt17integral_constantIbLb1EES1P_EEDaS1K_S1L_EUlS1K_E_NS1_11comp_targetILNS1_3genE3ELNS1_11target_archE908ELNS1_3gpuE7ELNS1_3repE0EEENS1_30default_config_static_selectorELNS0_4arch9wavefront6targetE0EEEvSY_
                                        ; -- End function
	.set _ZN7rocprim17ROCPRIM_400000_NS6detail17trampoline_kernelINS0_13select_configILj256ELj13ELNS0_17block_load_methodE3ELS4_3ELS4_3ELNS0_20block_scan_algorithmE0ELj4294967295EEENS1_25partition_config_selectorILNS1_17partition_subalgoE3EjNS0_10empty_typeEbEEZZNS1_14partition_implILS8_3ELb0ES6_jNS0_17counting_iteratorIjlEEPS9_SE_NS0_5tupleIJPjSE_EEENSF_IJSE_SE_EEES9_SG_JZNS1_25segmented_radix_sort_implINS0_14default_configELb0EPKhPhPKlPlN2at6native12_GLOBAL__N_18offset_tEEE10hipError_tPvRmT1_PNSt15iterator_traitsISY_E10value_typeET2_T3_PNSZ_IS14_E10value_typeET4_jRbjT5_S1A_jjP12ihipStream_tbEUljE_EEESV_SW_SX_S14_S18_S1A_T6_T7_T9_mT8_S1C_bDpT10_ENKUlT_T0_E_clISt17integral_constantIbLb1EES1P_EEDaS1K_S1L_EUlS1K_E_NS1_11comp_targetILNS1_3genE3ELNS1_11target_archE908ELNS1_3gpuE7ELNS1_3repE0EEENS1_30default_config_static_selectorELNS0_4arch9wavefront6targetE0EEEvSY_.num_vgpr, 0
	.set _ZN7rocprim17ROCPRIM_400000_NS6detail17trampoline_kernelINS0_13select_configILj256ELj13ELNS0_17block_load_methodE3ELS4_3ELS4_3ELNS0_20block_scan_algorithmE0ELj4294967295EEENS1_25partition_config_selectorILNS1_17partition_subalgoE3EjNS0_10empty_typeEbEEZZNS1_14partition_implILS8_3ELb0ES6_jNS0_17counting_iteratorIjlEEPS9_SE_NS0_5tupleIJPjSE_EEENSF_IJSE_SE_EEES9_SG_JZNS1_25segmented_radix_sort_implINS0_14default_configELb0EPKhPhPKlPlN2at6native12_GLOBAL__N_18offset_tEEE10hipError_tPvRmT1_PNSt15iterator_traitsISY_E10value_typeET2_T3_PNSZ_IS14_E10value_typeET4_jRbjT5_S1A_jjP12ihipStream_tbEUljE_EEESV_SW_SX_S14_S18_S1A_T6_T7_T9_mT8_S1C_bDpT10_ENKUlT_T0_E_clISt17integral_constantIbLb1EES1P_EEDaS1K_S1L_EUlS1K_E_NS1_11comp_targetILNS1_3genE3ELNS1_11target_archE908ELNS1_3gpuE7ELNS1_3repE0EEENS1_30default_config_static_selectorELNS0_4arch9wavefront6targetE0EEEvSY_.num_agpr, 0
	.set _ZN7rocprim17ROCPRIM_400000_NS6detail17trampoline_kernelINS0_13select_configILj256ELj13ELNS0_17block_load_methodE3ELS4_3ELS4_3ELNS0_20block_scan_algorithmE0ELj4294967295EEENS1_25partition_config_selectorILNS1_17partition_subalgoE3EjNS0_10empty_typeEbEEZZNS1_14partition_implILS8_3ELb0ES6_jNS0_17counting_iteratorIjlEEPS9_SE_NS0_5tupleIJPjSE_EEENSF_IJSE_SE_EEES9_SG_JZNS1_25segmented_radix_sort_implINS0_14default_configELb0EPKhPhPKlPlN2at6native12_GLOBAL__N_18offset_tEEE10hipError_tPvRmT1_PNSt15iterator_traitsISY_E10value_typeET2_T3_PNSZ_IS14_E10value_typeET4_jRbjT5_S1A_jjP12ihipStream_tbEUljE_EEESV_SW_SX_S14_S18_S1A_T6_T7_T9_mT8_S1C_bDpT10_ENKUlT_T0_E_clISt17integral_constantIbLb1EES1P_EEDaS1K_S1L_EUlS1K_E_NS1_11comp_targetILNS1_3genE3ELNS1_11target_archE908ELNS1_3gpuE7ELNS1_3repE0EEENS1_30default_config_static_selectorELNS0_4arch9wavefront6targetE0EEEvSY_.numbered_sgpr, 0
	.set _ZN7rocprim17ROCPRIM_400000_NS6detail17trampoline_kernelINS0_13select_configILj256ELj13ELNS0_17block_load_methodE3ELS4_3ELS4_3ELNS0_20block_scan_algorithmE0ELj4294967295EEENS1_25partition_config_selectorILNS1_17partition_subalgoE3EjNS0_10empty_typeEbEEZZNS1_14partition_implILS8_3ELb0ES6_jNS0_17counting_iteratorIjlEEPS9_SE_NS0_5tupleIJPjSE_EEENSF_IJSE_SE_EEES9_SG_JZNS1_25segmented_radix_sort_implINS0_14default_configELb0EPKhPhPKlPlN2at6native12_GLOBAL__N_18offset_tEEE10hipError_tPvRmT1_PNSt15iterator_traitsISY_E10value_typeET2_T3_PNSZ_IS14_E10value_typeET4_jRbjT5_S1A_jjP12ihipStream_tbEUljE_EEESV_SW_SX_S14_S18_S1A_T6_T7_T9_mT8_S1C_bDpT10_ENKUlT_T0_E_clISt17integral_constantIbLb1EES1P_EEDaS1K_S1L_EUlS1K_E_NS1_11comp_targetILNS1_3genE3ELNS1_11target_archE908ELNS1_3gpuE7ELNS1_3repE0EEENS1_30default_config_static_selectorELNS0_4arch9wavefront6targetE0EEEvSY_.num_named_barrier, 0
	.set _ZN7rocprim17ROCPRIM_400000_NS6detail17trampoline_kernelINS0_13select_configILj256ELj13ELNS0_17block_load_methodE3ELS4_3ELS4_3ELNS0_20block_scan_algorithmE0ELj4294967295EEENS1_25partition_config_selectorILNS1_17partition_subalgoE3EjNS0_10empty_typeEbEEZZNS1_14partition_implILS8_3ELb0ES6_jNS0_17counting_iteratorIjlEEPS9_SE_NS0_5tupleIJPjSE_EEENSF_IJSE_SE_EEES9_SG_JZNS1_25segmented_radix_sort_implINS0_14default_configELb0EPKhPhPKlPlN2at6native12_GLOBAL__N_18offset_tEEE10hipError_tPvRmT1_PNSt15iterator_traitsISY_E10value_typeET2_T3_PNSZ_IS14_E10value_typeET4_jRbjT5_S1A_jjP12ihipStream_tbEUljE_EEESV_SW_SX_S14_S18_S1A_T6_T7_T9_mT8_S1C_bDpT10_ENKUlT_T0_E_clISt17integral_constantIbLb1EES1P_EEDaS1K_S1L_EUlS1K_E_NS1_11comp_targetILNS1_3genE3ELNS1_11target_archE908ELNS1_3gpuE7ELNS1_3repE0EEENS1_30default_config_static_selectorELNS0_4arch9wavefront6targetE0EEEvSY_.private_seg_size, 0
	.set _ZN7rocprim17ROCPRIM_400000_NS6detail17trampoline_kernelINS0_13select_configILj256ELj13ELNS0_17block_load_methodE3ELS4_3ELS4_3ELNS0_20block_scan_algorithmE0ELj4294967295EEENS1_25partition_config_selectorILNS1_17partition_subalgoE3EjNS0_10empty_typeEbEEZZNS1_14partition_implILS8_3ELb0ES6_jNS0_17counting_iteratorIjlEEPS9_SE_NS0_5tupleIJPjSE_EEENSF_IJSE_SE_EEES9_SG_JZNS1_25segmented_radix_sort_implINS0_14default_configELb0EPKhPhPKlPlN2at6native12_GLOBAL__N_18offset_tEEE10hipError_tPvRmT1_PNSt15iterator_traitsISY_E10value_typeET2_T3_PNSZ_IS14_E10value_typeET4_jRbjT5_S1A_jjP12ihipStream_tbEUljE_EEESV_SW_SX_S14_S18_S1A_T6_T7_T9_mT8_S1C_bDpT10_ENKUlT_T0_E_clISt17integral_constantIbLb1EES1P_EEDaS1K_S1L_EUlS1K_E_NS1_11comp_targetILNS1_3genE3ELNS1_11target_archE908ELNS1_3gpuE7ELNS1_3repE0EEENS1_30default_config_static_selectorELNS0_4arch9wavefront6targetE0EEEvSY_.uses_vcc, 0
	.set _ZN7rocprim17ROCPRIM_400000_NS6detail17trampoline_kernelINS0_13select_configILj256ELj13ELNS0_17block_load_methodE3ELS4_3ELS4_3ELNS0_20block_scan_algorithmE0ELj4294967295EEENS1_25partition_config_selectorILNS1_17partition_subalgoE3EjNS0_10empty_typeEbEEZZNS1_14partition_implILS8_3ELb0ES6_jNS0_17counting_iteratorIjlEEPS9_SE_NS0_5tupleIJPjSE_EEENSF_IJSE_SE_EEES9_SG_JZNS1_25segmented_radix_sort_implINS0_14default_configELb0EPKhPhPKlPlN2at6native12_GLOBAL__N_18offset_tEEE10hipError_tPvRmT1_PNSt15iterator_traitsISY_E10value_typeET2_T3_PNSZ_IS14_E10value_typeET4_jRbjT5_S1A_jjP12ihipStream_tbEUljE_EEESV_SW_SX_S14_S18_S1A_T6_T7_T9_mT8_S1C_bDpT10_ENKUlT_T0_E_clISt17integral_constantIbLb1EES1P_EEDaS1K_S1L_EUlS1K_E_NS1_11comp_targetILNS1_3genE3ELNS1_11target_archE908ELNS1_3gpuE7ELNS1_3repE0EEENS1_30default_config_static_selectorELNS0_4arch9wavefront6targetE0EEEvSY_.uses_flat_scratch, 0
	.set _ZN7rocprim17ROCPRIM_400000_NS6detail17trampoline_kernelINS0_13select_configILj256ELj13ELNS0_17block_load_methodE3ELS4_3ELS4_3ELNS0_20block_scan_algorithmE0ELj4294967295EEENS1_25partition_config_selectorILNS1_17partition_subalgoE3EjNS0_10empty_typeEbEEZZNS1_14partition_implILS8_3ELb0ES6_jNS0_17counting_iteratorIjlEEPS9_SE_NS0_5tupleIJPjSE_EEENSF_IJSE_SE_EEES9_SG_JZNS1_25segmented_radix_sort_implINS0_14default_configELb0EPKhPhPKlPlN2at6native12_GLOBAL__N_18offset_tEEE10hipError_tPvRmT1_PNSt15iterator_traitsISY_E10value_typeET2_T3_PNSZ_IS14_E10value_typeET4_jRbjT5_S1A_jjP12ihipStream_tbEUljE_EEESV_SW_SX_S14_S18_S1A_T6_T7_T9_mT8_S1C_bDpT10_ENKUlT_T0_E_clISt17integral_constantIbLb1EES1P_EEDaS1K_S1L_EUlS1K_E_NS1_11comp_targetILNS1_3genE3ELNS1_11target_archE908ELNS1_3gpuE7ELNS1_3repE0EEENS1_30default_config_static_selectorELNS0_4arch9wavefront6targetE0EEEvSY_.has_dyn_sized_stack, 0
	.set _ZN7rocprim17ROCPRIM_400000_NS6detail17trampoline_kernelINS0_13select_configILj256ELj13ELNS0_17block_load_methodE3ELS4_3ELS4_3ELNS0_20block_scan_algorithmE0ELj4294967295EEENS1_25partition_config_selectorILNS1_17partition_subalgoE3EjNS0_10empty_typeEbEEZZNS1_14partition_implILS8_3ELb0ES6_jNS0_17counting_iteratorIjlEEPS9_SE_NS0_5tupleIJPjSE_EEENSF_IJSE_SE_EEES9_SG_JZNS1_25segmented_radix_sort_implINS0_14default_configELb0EPKhPhPKlPlN2at6native12_GLOBAL__N_18offset_tEEE10hipError_tPvRmT1_PNSt15iterator_traitsISY_E10value_typeET2_T3_PNSZ_IS14_E10value_typeET4_jRbjT5_S1A_jjP12ihipStream_tbEUljE_EEESV_SW_SX_S14_S18_S1A_T6_T7_T9_mT8_S1C_bDpT10_ENKUlT_T0_E_clISt17integral_constantIbLb1EES1P_EEDaS1K_S1L_EUlS1K_E_NS1_11comp_targetILNS1_3genE3ELNS1_11target_archE908ELNS1_3gpuE7ELNS1_3repE0EEENS1_30default_config_static_selectorELNS0_4arch9wavefront6targetE0EEEvSY_.has_recursion, 0
	.set _ZN7rocprim17ROCPRIM_400000_NS6detail17trampoline_kernelINS0_13select_configILj256ELj13ELNS0_17block_load_methodE3ELS4_3ELS4_3ELNS0_20block_scan_algorithmE0ELj4294967295EEENS1_25partition_config_selectorILNS1_17partition_subalgoE3EjNS0_10empty_typeEbEEZZNS1_14partition_implILS8_3ELb0ES6_jNS0_17counting_iteratorIjlEEPS9_SE_NS0_5tupleIJPjSE_EEENSF_IJSE_SE_EEES9_SG_JZNS1_25segmented_radix_sort_implINS0_14default_configELb0EPKhPhPKlPlN2at6native12_GLOBAL__N_18offset_tEEE10hipError_tPvRmT1_PNSt15iterator_traitsISY_E10value_typeET2_T3_PNSZ_IS14_E10value_typeET4_jRbjT5_S1A_jjP12ihipStream_tbEUljE_EEESV_SW_SX_S14_S18_S1A_T6_T7_T9_mT8_S1C_bDpT10_ENKUlT_T0_E_clISt17integral_constantIbLb1EES1P_EEDaS1K_S1L_EUlS1K_E_NS1_11comp_targetILNS1_3genE3ELNS1_11target_archE908ELNS1_3gpuE7ELNS1_3repE0EEENS1_30default_config_static_selectorELNS0_4arch9wavefront6targetE0EEEvSY_.has_indirect_call, 0
	.section	.AMDGPU.csdata,"",@progbits
; Kernel info:
; codeLenInByte = 0
; TotalNumSgprs: 0
; NumVgprs: 0
; ScratchSize: 0
; MemoryBound: 0
; FloatMode: 240
; IeeeMode: 1
; LDSByteSize: 0 bytes/workgroup (compile time only)
; SGPRBlocks: 0
; VGPRBlocks: 0
; NumSGPRsForWavesPerEU: 1
; NumVGPRsForWavesPerEU: 1
; Occupancy: 16
; WaveLimiterHint : 0
; COMPUTE_PGM_RSRC2:SCRATCH_EN: 0
; COMPUTE_PGM_RSRC2:USER_SGPR: 6
; COMPUTE_PGM_RSRC2:TRAP_HANDLER: 0
; COMPUTE_PGM_RSRC2:TGID_X_EN: 1
; COMPUTE_PGM_RSRC2:TGID_Y_EN: 0
; COMPUTE_PGM_RSRC2:TGID_Z_EN: 0
; COMPUTE_PGM_RSRC2:TIDIG_COMP_CNT: 0
	.section	.text._ZN7rocprim17ROCPRIM_400000_NS6detail17trampoline_kernelINS0_13select_configILj256ELj13ELNS0_17block_load_methodE3ELS4_3ELS4_3ELNS0_20block_scan_algorithmE0ELj4294967295EEENS1_25partition_config_selectorILNS1_17partition_subalgoE3EjNS0_10empty_typeEbEEZZNS1_14partition_implILS8_3ELb0ES6_jNS0_17counting_iteratorIjlEEPS9_SE_NS0_5tupleIJPjSE_EEENSF_IJSE_SE_EEES9_SG_JZNS1_25segmented_radix_sort_implINS0_14default_configELb0EPKhPhPKlPlN2at6native12_GLOBAL__N_18offset_tEEE10hipError_tPvRmT1_PNSt15iterator_traitsISY_E10value_typeET2_T3_PNSZ_IS14_E10value_typeET4_jRbjT5_S1A_jjP12ihipStream_tbEUljE_EEESV_SW_SX_S14_S18_S1A_T6_T7_T9_mT8_S1C_bDpT10_ENKUlT_T0_E_clISt17integral_constantIbLb1EES1P_EEDaS1K_S1L_EUlS1K_E_NS1_11comp_targetILNS1_3genE2ELNS1_11target_archE906ELNS1_3gpuE6ELNS1_3repE0EEENS1_30default_config_static_selectorELNS0_4arch9wavefront6targetE0EEEvSY_,"axG",@progbits,_ZN7rocprim17ROCPRIM_400000_NS6detail17trampoline_kernelINS0_13select_configILj256ELj13ELNS0_17block_load_methodE3ELS4_3ELS4_3ELNS0_20block_scan_algorithmE0ELj4294967295EEENS1_25partition_config_selectorILNS1_17partition_subalgoE3EjNS0_10empty_typeEbEEZZNS1_14partition_implILS8_3ELb0ES6_jNS0_17counting_iteratorIjlEEPS9_SE_NS0_5tupleIJPjSE_EEENSF_IJSE_SE_EEES9_SG_JZNS1_25segmented_radix_sort_implINS0_14default_configELb0EPKhPhPKlPlN2at6native12_GLOBAL__N_18offset_tEEE10hipError_tPvRmT1_PNSt15iterator_traitsISY_E10value_typeET2_T3_PNSZ_IS14_E10value_typeET4_jRbjT5_S1A_jjP12ihipStream_tbEUljE_EEESV_SW_SX_S14_S18_S1A_T6_T7_T9_mT8_S1C_bDpT10_ENKUlT_T0_E_clISt17integral_constantIbLb1EES1P_EEDaS1K_S1L_EUlS1K_E_NS1_11comp_targetILNS1_3genE2ELNS1_11target_archE906ELNS1_3gpuE6ELNS1_3repE0EEENS1_30default_config_static_selectorELNS0_4arch9wavefront6targetE0EEEvSY_,comdat
	.globl	_ZN7rocprim17ROCPRIM_400000_NS6detail17trampoline_kernelINS0_13select_configILj256ELj13ELNS0_17block_load_methodE3ELS4_3ELS4_3ELNS0_20block_scan_algorithmE0ELj4294967295EEENS1_25partition_config_selectorILNS1_17partition_subalgoE3EjNS0_10empty_typeEbEEZZNS1_14partition_implILS8_3ELb0ES6_jNS0_17counting_iteratorIjlEEPS9_SE_NS0_5tupleIJPjSE_EEENSF_IJSE_SE_EEES9_SG_JZNS1_25segmented_radix_sort_implINS0_14default_configELb0EPKhPhPKlPlN2at6native12_GLOBAL__N_18offset_tEEE10hipError_tPvRmT1_PNSt15iterator_traitsISY_E10value_typeET2_T3_PNSZ_IS14_E10value_typeET4_jRbjT5_S1A_jjP12ihipStream_tbEUljE_EEESV_SW_SX_S14_S18_S1A_T6_T7_T9_mT8_S1C_bDpT10_ENKUlT_T0_E_clISt17integral_constantIbLb1EES1P_EEDaS1K_S1L_EUlS1K_E_NS1_11comp_targetILNS1_3genE2ELNS1_11target_archE906ELNS1_3gpuE6ELNS1_3repE0EEENS1_30default_config_static_selectorELNS0_4arch9wavefront6targetE0EEEvSY_ ; -- Begin function _ZN7rocprim17ROCPRIM_400000_NS6detail17trampoline_kernelINS0_13select_configILj256ELj13ELNS0_17block_load_methodE3ELS4_3ELS4_3ELNS0_20block_scan_algorithmE0ELj4294967295EEENS1_25partition_config_selectorILNS1_17partition_subalgoE3EjNS0_10empty_typeEbEEZZNS1_14partition_implILS8_3ELb0ES6_jNS0_17counting_iteratorIjlEEPS9_SE_NS0_5tupleIJPjSE_EEENSF_IJSE_SE_EEES9_SG_JZNS1_25segmented_radix_sort_implINS0_14default_configELb0EPKhPhPKlPlN2at6native12_GLOBAL__N_18offset_tEEE10hipError_tPvRmT1_PNSt15iterator_traitsISY_E10value_typeET2_T3_PNSZ_IS14_E10value_typeET4_jRbjT5_S1A_jjP12ihipStream_tbEUljE_EEESV_SW_SX_S14_S18_S1A_T6_T7_T9_mT8_S1C_bDpT10_ENKUlT_T0_E_clISt17integral_constantIbLb1EES1P_EEDaS1K_S1L_EUlS1K_E_NS1_11comp_targetILNS1_3genE2ELNS1_11target_archE906ELNS1_3gpuE6ELNS1_3repE0EEENS1_30default_config_static_selectorELNS0_4arch9wavefront6targetE0EEEvSY_
	.p2align	8
	.type	_ZN7rocprim17ROCPRIM_400000_NS6detail17trampoline_kernelINS0_13select_configILj256ELj13ELNS0_17block_load_methodE3ELS4_3ELS4_3ELNS0_20block_scan_algorithmE0ELj4294967295EEENS1_25partition_config_selectorILNS1_17partition_subalgoE3EjNS0_10empty_typeEbEEZZNS1_14partition_implILS8_3ELb0ES6_jNS0_17counting_iteratorIjlEEPS9_SE_NS0_5tupleIJPjSE_EEENSF_IJSE_SE_EEES9_SG_JZNS1_25segmented_radix_sort_implINS0_14default_configELb0EPKhPhPKlPlN2at6native12_GLOBAL__N_18offset_tEEE10hipError_tPvRmT1_PNSt15iterator_traitsISY_E10value_typeET2_T3_PNSZ_IS14_E10value_typeET4_jRbjT5_S1A_jjP12ihipStream_tbEUljE_EEESV_SW_SX_S14_S18_S1A_T6_T7_T9_mT8_S1C_bDpT10_ENKUlT_T0_E_clISt17integral_constantIbLb1EES1P_EEDaS1K_S1L_EUlS1K_E_NS1_11comp_targetILNS1_3genE2ELNS1_11target_archE906ELNS1_3gpuE6ELNS1_3repE0EEENS1_30default_config_static_selectorELNS0_4arch9wavefront6targetE0EEEvSY_,@function
_ZN7rocprim17ROCPRIM_400000_NS6detail17trampoline_kernelINS0_13select_configILj256ELj13ELNS0_17block_load_methodE3ELS4_3ELS4_3ELNS0_20block_scan_algorithmE0ELj4294967295EEENS1_25partition_config_selectorILNS1_17partition_subalgoE3EjNS0_10empty_typeEbEEZZNS1_14partition_implILS8_3ELb0ES6_jNS0_17counting_iteratorIjlEEPS9_SE_NS0_5tupleIJPjSE_EEENSF_IJSE_SE_EEES9_SG_JZNS1_25segmented_radix_sort_implINS0_14default_configELb0EPKhPhPKlPlN2at6native12_GLOBAL__N_18offset_tEEE10hipError_tPvRmT1_PNSt15iterator_traitsISY_E10value_typeET2_T3_PNSZ_IS14_E10value_typeET4_jRbjT5_S1A_jjP12ihipStream_tbEUljE_EEESV_SW_SX_S14_S18_S1A_T6_T7_T9_mT8_S1C_bDpT10_ENKUlT_T0_E_clISt17integral_constantIbLb1EES1P_EEDaS1K_S1L_EUlS1K_E_NS1_11comp_targetILNS1_3genE2ELNS1_11target_archE906ELNS1_3gpuE6ELNS1_3repE0EEENS1_30default_config_static_selectorELNS0_4arch9wavefront6targetE0EEEvSY_: ; @_ZN7rocprim17ROCPRIM_400000_NS6detail17trampoline_kernelINS0_13select_configILj256ELj13ELNS0_17block_load_methodE3ELS4_3ELS4_3ELNS0_20block_scan_algorithmE0ELj4294967295EEENS1_25partition_config_selectorILNS1_17partition_subalgoE3EjNS0_10empty_typeEbEEZZNS1_14partition_implILS8_3ELb0ES6_jNS0_17counting_iteratorIjlEEPS9_SE_NS0_5tupleIJPjSE_EEENSF_IJSE_SE_EEES9_SG_JZNS1_25segmented_radix_sort_implINS0_14default_configELb0EPKhPhPKlPlN2at6native12_GLOBAL__N_18offset_tEEE10hipError_tPvRmT1_PNSt15iterator_traitsISY_E10value_typeET2_T3_PNSZ_IS14_E10value_typeET4_jRbjT5_S1A_jjP12ihipStream_tbEUljE_EEESV_SW_SX_S14_S18_S1A_T6_T7_T9_mT8_S1C_bDpT10_ENKUlT_T0_E_clISt17integral_constantIbLb1EES1P_EEDaS1K_S1L_EUlS1K_E_NS1_11comp_targetILNS1_3genE2ELNS1_11target_archE906ELNS1_3gpuE6ELNS1_3repE0EEENS1_30default_config_static_selectorELNS0_4arch9wavefront6targetE0EEEvSY_
; %bb.0:
	.section	.rodata,"a",@progbits
	.p2align	6, 0x0
	.amdhsa_kernel _ZN7rocprim17ROCPRIM_400000_NS6detail17trampoline_kernelINS0_13select_configILj256ELj13ELNS0_17block_load_methodE3ELS4_3ELS4_3ELNS0_20block_scan_algorithmE0ELj4294967295EEENS1_25partition_config_selectorILNS1_17partition_subalgoE3EjNS0_10empty_typeEbEEZZNS1_14partition_implILS8_3ELb0ES6_jNS0_17counting_iteratorIjlEEPS9_SE_NS0_5tupleIJPjSE_EEENSF_IJSE_SE_EEES9_SG_JZNS1_25segmented_radix_sort_implINS0_14default_configELb0EPKhPhPKlPlN2at6native12_GLOBAL__N_18offset_tEEE10hipError_tPvRmT1_PNSt15iterator_traitsISY_E10value_typeET2_T3_PNSZ_IS14_E10value_typeET4_jRbjT5_S1A_jjP12ihipStream_tbEUljE_EEESV_SW_SX_S14_S18_S1A_T6_T7_T9_mT8_S1C_bDpT10_ENKUlT_T0_E_clISt17integral_constantIbLb1EES1P_EEDaS1K_S1L_EUlS1K_E_NS1_11comp_targetILNS1_3genE2ELNS1_11target_archE906ELNS1_3gpuE6ELNS1_3repE0EEENS1_30default_config_static_selectorELNS0_4arch9wavefront6targetE0EEEvSY_
		.amdhsa_group_segment_fixed_size 0
		.amdhsa_private_segment_fixed_size 0
		.amdhsa_kernarg_size 152
		.amdhsa_user_sgpr_count 6
		.amdhsa_user_sgpr_private_segment_buffer 1
		.amdhsa_user_sgpr_dispatch_ptr 0
		.amdhsa_user_sgpr_queue_ptr 0
		.amdhsa_user_sgpr_kernarg_segment_ptr 1
		.amdhsa_user_sgpr_dispatch_id 0
		.amdhsa_user_sgpr_flat_scratch_init 0
		.amdhsa_user_sgpr_private_segment_size 0
		.amdhsa_wavefront_size32 1
		.amdhsa_uses_dynamic_stack 0
		.amdhsa_system_sgpr_private_segment_wavefront_offset 0
		.amdhsa_system_sgpr_workgroup_id_x 1
		.amdhsa_system_sgpr_workgroup_id_y 0
		.amdhsa_system_sgpr_workgroup_id_z 0
		.amdhsa_system_sgpr_workgroup_info 0
		.amdhsa_system_vgpr_workitem_id 0
		.amdhsa_next_free_vgpr 1
		.amdhsa_next_free_sgpr 1
		.amdhsa_reserve_vcc 0
		.amdhsa_reserve_flat_scratch 0
		.amdhsa_float_round_mode_32 0
		.amdhsa_float_round_mode_16_64 0
		.amdhsa_float_denorm_mode_32 3
		.amdhsa_float_denorm_mode_16_64 3
		.amdhsa_dx10_clamp 1
		.amdhsa_ieee_mode 1
		.amdhsa_fp16_overflow 0
		.amdhsa_workgroup_processor_mode 1
		.amdhsa_memory_ordered 1
		.amdhsa_forward_progress 1
		.amdhsa_shared_vgpr_count 0
		.amdhsa_exception_fp_ieee_invalid_op 0
		.amdhsa_exception_fp_denorm_src 0
		.amdhsa_exception_fp_ieee_div_zero 0
		.amdhsa_exception_fp_ieee_overflow 0
		.amdhsa_exception_fp_ieee_underflow 0
		.amdhsa_exception_fp_ieee_inexact 0
		.amdhsa_exception_int_div_zero 0
	.end_amdhsa_kernel
	.section	.text._ZN7rocprim17ROCPRIM_400000_NS6detail17trampoline_kernelINS0_13select_configILj256ELj13ELNS0_17block_load_methodE3ELS4_3ELS4_3ELNS0_20block_scan_algorithmE0ELj4294967295EEENS1_25partition_config_selectorILNS1_17partition_subalgoE3EjNS0_10empty_typeEbEEZZNS1_14partition_implILS8_3ELb0ES6_jNS0_17counting_iteratorIjlEEPS9_SE_NS0_5tupleIJPjSE_EEENSF_IJSE_SE_EEES9_SG_JZNS1_25segmented_radix_sort_implINS0_14default_configELb0EPKhPhPKlPlN2at6native12_GLOBAL__N_18offset_tEEE10hipError_tPvRmT1_PNSt15iterator_traitsISY_E10value_typeET2_T3_PNSZ_IS14_E10value_typeET4_jRbjT5_S1A_jjP12ihipStream_tbEUljE_EEESV_SW_SX_S14_S18_S1A_T6_T7_T9_mT8_S1C_bDpT10_ENKUlT_T0_E_clISt17integral_constantIbLb1EES1P_EEDaS1K_S1L_EUlS1K_E_NS1_11comp_targetILNS1_3genE2ELNS1_11target_archE906ELNS1_3gpuE6ELNS1_3repE0EEENS1_30default_config_static_selectorELNS0_4arch9wavefront6targetE0EEEvSY_,"axG",@progbits,_ZN7rocprim17ROCPRIM_400000_NS6detail17trampoline_kernelINS0_13select_configILj256ELj13ELNS0_17block_load_methodE3ELS4_3ELS4_3ELNS0_20block_scan_algorithmE0ELj4294967295EEENS1_25partition_config_selectorILNS1_17partition_subalgoE3EjNS0_10empty_typeEbEEZZNS1_14partition_implILS8_3ELb0ES6_jNS0_17counting_iteratorIjlEEPS9_SE_NS0_5tupleIJPjSE_EEENSF_IJSE_SE_EEES9_SG_JZNS1_25segmented_radix_sort_implINS0_14default_configELb0EPKhPhPKlPlN2at6native12_GLOBAL__N_18offset_tEEE10hipError_tPvRmT1_PNSt15iterator_traitsISY_E10value_typeET2_T3_PNSZ_IS14_E10value_typeET4_jRbjT5_S1A_jjP12ihipStream_tbEUljE_EEESV_SW_SX_S14_S18_S1A_T6_T7_T9_mT8_S1C_bDpT10_ENKUlT_T0_E_clISt17integral_constantIbLb1EES1P_EEDaS1K_S1L_EUlS1K_E_NS1_11comp_targetILNS1_3genE2ELNS1_11target_archE906ELNS1_3gpuE6ELNS1_3repE0EEENS1_30default_config_static_selectorELNS0_4arch9wavefront6targetE0EEEvSY_,comdat
.Lfunc_end165:
	.size	_ZN7rocprim17ROCPRIM_400000_NS6detail17trampoline_kernelINS0_13select_configILj256ELj13ELNS0_17block_load_methodE3ELS4_3ELS4_3ELNS0_20block_scan_algorithmE0ELj4294967295EEENS1_25partition_config_selectorILNS1_17partition_subalgoE3EjNS0_10empty_typeEbEEZZNS1_14partition_implILS8_3ELb0ES6_jNS0_17counting_iteratorIjlEEPS9_SE_NS0_5tupleIJPjSE_EEENSF_IJSE_SE_EEES9_SG_JZNS1_25segmented_radix_sort_implINS0_14default_configELb0EPKhPhPKlPlN2at6native12_GLOBAL__N_18offset_tEEE10hipError_tPvRmT1_PNSt15iterator_traitsISY_E10value_typeET2_T3_PNSZ_IS14_E10value_typeET4_jRbjT5_S1A_jjP12ihipStream_tbEUljE_EEESV_SW_SX_S14_S18_S1A_T6_T7_T9_mT8_S1C_bDpT10_ENKUlT_T0_E_clISt17integral_constantIbLb1EES1P_EEDaS1K_S1L_EUlS1K_E_NS1_11comp_targetILNS1_3genE2ELNS1_11target_archE906ELNS1_3gpuE6ELNS1_3repE0EEENS1_30default_config_static_selectorELNS0_4arch9wavefront6targetE0EEEvSY_, .Lfunc_end165-_ZN7rocprim17ROCPRIM_400000_NS6detail17trampoline_kernelINS0_13select_configILj256ELj13ELNS0_17block_load_methodE3ELS4_3ELS4_3ELNS0_20block_scan_algorithmE0ELj4294967295EEENS1_25partition_config_selectorILNS1_17partition_subalgoE3EjNS0_10empty_typeEbEEZZNS1_14partition_implILS8_3ELb0ES6_jNS0_17counting_iteratorIjlEEPS9_SE_NS0_5tupleIJPjSE_EEENSF_IJSE_SE_EEES9_SG_JZNS1_25segmented_radix_sort_implINS0_14default_configELb0EPKhPhPKlPlN2at6native12_GLOBAL__N_18offset_tEEE10hipError_tPvRmT1_PNSt15iterator_traitsISY_E10value_typeET2_T3_PNSZ_IS14_E10value_typeET4_jRbjT5_S1A_jjP12ihipStream_tbEUljE_EEESV_SW_SX_S14_S18_S1A_T6_T7_T9_mT8_S1C_bDpT10_ENKUlT_T0_E_clISt17integral_constantIbLb1EES1P_EEDaS1K_S1L_EUlS1K_E_NS1_11comp_targetILNS1_3genE2ELNS1_11target_archE906ELNS1_3gpuE6ELNS1_3repE0EEENS1_30default_config_static_selectorELNS0_4arch9wavefront6targetE0EEEvSY_
                                        ; -- End function
	.set _ZN7rocprim17ROCPRIM_400000_NS6detail17trampoline_kernelINS0_13select_configILj256ELj13ELNS0_17block_load_methodE3ELS4_3ELS4_3ELNS0_20block_scan_algorithmE0ELj4294967295EEENS1_25partition_config_selectorILNS1_17partition_subalgoE3EjNS0_10empty_typeEbEEZZNS1_14partition_implILS8_3ELb0ES6_jNS0_17counting_iteratorIjlEEPS9_SE_NS0_5tupleIJPjSE_EEENSF_IJSE_SE_EEES9_SG_JZNS1_25segmented_radix_sort_implINS0_14default_configELb0EPKhPhPKlPlN2at6native12_GLOBAL__N_18offset_tEEE10hipError_tPvRmT1_PNSt15iterator_traitsISY_E10value_typeET2_T3_PNSZ_IS14_E10value_typeET4_jRbjT5_S1A_jjP12ihipStream_tbEUljE_EEESV_SW_SX_S14_S18_S1A_T6_T7_T9_mT8_S1C_bDpT10_ENKUlT_T0_E_clISt17integral_constantIbLb1EES1P_EEDaS1K_S1L_EUlS1K_E_NS1_11comp_targetILNS1_3genE2ELNS1_11target_archE906ELNS1_3gpuE6ELNS1_3repE0EEENS1_30default_config_static_selectorELNS0_4arch9wavefront6targetE0EEEvSY_.num_vgpr, 0
	.set _ZN7rocprim17ROCPRIM_400000_NS6detail17trampoline_kernelINS0_13select_configILj256ELj13ELNS0_17block_load_methodE3ELS4_3ELS4_3ELNS0_20block_scan_algorithmE0ELj4294967295EEENS1_25partition_config_selectorILNS1_17partition_subalgoE3EjNS0_10empty_typeEbEEZZNS1_14partition_implILS8_3ELb0ES6_jNS0_17counting_iteratorIjlEEPS9_SE_NS0_5tupleIJPjSE_EEENSF_IJSE_SE_EEES9_SG_JZNS1_25segmented_radix_sort_implINS0_14default_configELb0EPKhPhPKlPlN2at6native12_GLOBAL__N_18offset_tEEE10hipError_tPvRmT1_PNSt15iterator_traitsISY_E10value_typeET2_T3_PNSZ_IS14_E10value_typeET4_jRbjT5_S1A_jjP12ihipStream_tbEUljE_EEESV_SW_SX_S14_S18_S1A_T6_T7_T9_mT8_S1C_bDpT10_ENKUlT_T0_E_clISt17integral_constantIbLb1EES1P_EEDaS1K_S1L_EUlS1K_E_NS1_11comp_targetILNS1_3genE2ELNS1_11target_archE906ELNS1_3gpuE6ELNS1_3repE0EEENS1_30default_config_static_selectorELNS0_4arch9wavefront6targetE0EEEvSY_.num_agpr, 0
	.set _ZN7rocprim17ROCPRIM_400000_NS6detail17trampoline_kernelINS0_13select_configILj256ELj13ELNS0_17block_load_methodE3ELS4_3ELS4_3ELNS0_20block_scan_algorithmE0ELj4294967295EEENS1_25partition_config_selectorILNS1_17partition_subalgoE3EjNS0_10empty_typeEbEEZZNS1_14partition_implILS8_3ELb0ES6_jNS0_17counting_iteratorIjlEEPS9_SE_NS0_5tupleIJPjSE_EEENSF_IJSE_SE_EEES9_SG_JZNS1_25segmented_radix_sort_implINS0_14default_configELb0EPKhPhPKlPlN2at6native12_GLOBAL__N_18offset_tEEE10hipError_tPvRmT1_PNSt15iterator_traitsISY_E10value_typeET2_T3_PNSZ_IS14_E10value_typeET4_jRbjT5_S1A_jjP12ihipStream_tbEUljE_EEESV_SW_SX_S14_S18_S1A_T6_T7_T9_mT8_S1C_bDpT10_ENKUlT_T0_E_clISt17integral_constantIbLb1EES1P_EEDaS1K_S1L_EUlS1K_E_NS1_11comp_targetILNS1_3genE2ELNS1_11target_archE906ELNS1_3gpuE6ELNS1_3repE0EEENS1_30default_config_static_selectorELNS0_4arch9wavefront6targetE0EEEvSY_.numbered_sgpr, 0
	.set _ZN7rocprim17ROCPRIM_400000_NS6detail17trampoline_kernelINS0_13select_configILj256ELj13ELNS0_17block_load_methodE3ELS4_3ELS4_3ELNS0_20block_scan_algorithmE0ELj4294967295EEENS1_25partition_config_selectorILNS1_17partition_subalgoE3EjNS0_10empty_typeEbEEZZNS1_14partition_implILS8_3ELb0ES6_jNS0_17counting_iteratorIjlEEPS9_SE_NS0_5tupleIJPjSE_EEENSF_IJSE_SE_EEES9_SG_JZNS1_25segmented_radix_sort_implINS0_14default_configELb0EPKhPhPKlPlN2at6native12_GLOBAL__N_18offset_tEEE10hipError_tPvRmT1_PNSt15iterator_traitsISY_E10value_typeET2_T3_PNSZ_IS14_E10value_typeET4_jRbjT5_S1A_jjP12ihipStream_tbEUljE_EEESV_SW_SX_S14_S18_S1A_T6_T7_T9_mT8_S1C_bDpT10_ENKUlT_T0_E_clISt17integral_constantIbLb1EES1P_EEDaS1K_S1L_EUlS1K_E_NS1_11comp_targetILNS1_3genE2ELNS1_11target_archE906ELNS1_3gpuE6ELNS1_3repE0EEENS1_30default_config_static_selectorELNS0_4arch9wavefront6targetE0EEEvSY_.num_named_barrier, 0
	.set _ZN7rocprim17ROCPRIM_400000_NS6detail17trampoline_kernelINS0_13select_configILj256ELj13ELNS0_17block_load_methodE3ELS4_3ELS4_3ELNS0_20block_scan_algorithmE0ELj4294967295EEENS1_25partition_config_selectorILNS1_17partition_subalgoE3EjNS0_10empty_typeEbEEZZNS1_14partition_implILS8_3ELb0ES6_jNS0_17counting_iteratorIjlEEPS9_SE_NS0_5tupleIJPjSE_EEENSF_IJSE_SE_EEES9_SG_JZNS1_25segmented_radix_sort_implINS0_14default_configELb0EPKhPhPKlPlN2at6native12_GLOBAL__N_18offset_tEEE10hipError_tPvRmT1_PNSt15iterator_traitsISY_E10value_typeET2_T3_PNSZ_IS14_E10value_typeET4_jRbjT5_S1A_jjP12ihipStream_tbEUljE_EEESV_SW_SX_S14_S18_S1A_T6_T7_T9_mT8_S1C_bDpT10_ENKUlT_T0_E_clISt17integral_constantIbLb1EES1P_EEDaS1K_S1L_EUlS1K_E_NS1_11comp_targetILNS1_3genE2ELNS1_11target_archE906ELNS1_3gpuE6ELNS1_3repE0EEENS1_30default_config_static_selectorELNS0_4arch9wavefront6targetE0EEEvSY_.private_seg_size, 0
	.set _ZN7rocprim17ROCPRIM_400000_NS6detail17trampoline_kernelINS0_13select_configILj256ELj13ELNS0_17block_load_methodE3ELS4_3ELS4_3ELNS0_20block_scan_algorithmE0ELj4294967295EEENS1_25partition_config_selectorILNS1_17partition_subalgoE3EjNS0_10empty_typeEbEEZZNS1_14partition_implILS8_3ELb0ES6_jNS0_17counting_iteratorIjlEEPS9_SE_NS0_5tupleIJPjSE_EEENSF_IJSE_SE_EEES9_SG_JZNS1_25segmented_radix_sort_implINS0_14default_configELb0EPKhPhPKlPlN2at6native12_GLOBAL__N_18offset_tEEE10hipError_tPvRmT1_PNSt15iterator_traitsISY_E10value_typeET2_T3_PNSZ_IS14_E10value_typeET4_jRbjT5_S1A_jjP12ihipStream_tbEUljE_EEESV_SW_SX_S14_S18_S1A_T6_T7_T9_mT8_S1C_bDpT10_ENKUlT_T0_E_clISt17integral_constantIbLb1EES1P_EEDaS1K_S1L_EUlS1K_E_NS1_11comp_targetILNS1_3genE2ELNS1_11target_archE906ELNS1_3gpuE6ELNS1_3repE0EEENS1_30default_config_static_selectorELNS0_4arch9wavefront6targetE0EEEvSY_.uses_vcc, 0
	.set _ZN7rocprim17ROCPRIM_400000_NS6detail17trampoline_kernelINS0_13select_configILj256ELj13ELNS0_17block_load_methodE3ELS4_3ELS4_3ELNS0_20block_scan_algorithmE0ELj4294967295EEENS1_25partition_config_selectorILNS1_17partition_subalgoE3EjNS0_10empty_typeEbEEZZNS1_14partition_implILS8_3ELb0ES6_jNS0_17counting_iteratorIjlEEPS9_SE_NS0_5tupleIJPjSE_EEENSF_IJSE_SE_EEES9_SG_JZNS1_25segmented_radix_sort_implINS0_14default_configELb0EPKhPhPKlPlN2at6native12_GLOBAL__N_18offset_tEEE10hipError_tPvRmT1_PNSt15iterator_traitsISY_E10value_typeET2_T3_PNSZ_IS14_E10value_typeET4_jRbjT5_S1A_jjP12ihipStream_tbEUljE_EEESV_SW_SX_S14_S18_S1A_T6_T7_T9_mT8_S1C_bDpT10_ENKUlT_T0_E_clISt17integral_constantIbLb1EES1P_EEDaS1K_S1L_EUlS1K_E_NS1_11comp_targetILNS1_3genE2ELNS1_11target_archE906ELNS1_3gpuE6ELNS1_3repE0EEENS1_30default_config_static_selectorELNS0_4arch9wavefront6targetE0EEEvSY_.uses_flat_scratch, 0
	.set _ZN7rocprim17ROCPRIM_400000_NS6detail17trampoline_kernelINS0_13select_configILj256ELj13ELNS0_17block_load_methodE3ELS4_3ELS4_3ELNS0_20block_scan_algorithmE0ELj4294967295EEENS1_25partition_config_selectorILNS1_17partition_subalgoE3EjNS0_10empty_typeEbEEZZNS1_14partition_implILS8_3ELb0ES6_jNS0_17counting_iteratorIjlEEPS9_SE_NS0_5tupleIJPjSE_EEENSF_IJSE_SE_EEES9_SG_JZNS1_25segmented_radix_sort_implINS0_14default_configELb0EPKhPhPKlPlN2at6native12_GLOBAL__N_18offset_tEEE10hipError_tPvRmT1_PNSt15iterator_traitsISY_E10value_typeET2_T3_PNSZ_IS14_E10value_typeET4_jRbjT5_S1A_jjP12ihipStream_tbEUljE_EEESV_SW_SX_S14_S18_S1A_T6_T7_T9_mT8_S1C_bDpT10_ENKUlT_T0_E_clISt17integral_constantIbLb1EES1P_EEDaS1K_S1L_EUlS1K_E_NS1_11comp_targetILNS1_3genE2ELNS1_11target_archE906ELNS1_3gpuE6ELNS1_3repE0EEENS1_30default_config_static_selectorELNS0_4arch9wavefront6targetE0EEEvSY_.has_dyn_sized_stack, 0
	.set _ZN7rocprim17ROCPRIM_400000_NS6detail17trampoline_kernelINS0_13select_configILj256ELj13ELNS0_17block_load_methodE3ELS4_3ELS4_3ELNS0_20block_scan_algorithmE0ELj4294967295EEENS1_25partition_config_selectorILNS1_17partition_subalgoE3EjNS0_10empty_typeEbEEZZNS1_14partition_implILS8_3ELb0ES6_jNS0_17counting_iteratorIjlEEPS9_SE_NS0_5tupleIJPjSE_EEENSF_IJSE_SE_EEES9_SG_JZNS1_25segmented_radix_sort_implINS0_14default_configELb0EPKhPhPKlPlN2at6native12_GLOBAL__N_18offset_tEEE10hipError_tPvRmT1_PNSt15iterator_traitsISY_E10value_typeET2_T3_PNSZ_IS14_E10value_typeET4_jRbjT5_S1A_jjP12ihipStream_tbEUljE_EEESV_SW_SX_S14_S18_S1A_T6_T7_T9_mT8_S1C_bDpT10_ENKUlT_T0_E_clISt17integral_constantIbLb1EES1P_EEDaS1K_S1L_EUlS1K_E_NS1_11comp_targetILNS1_3genE2ELNS1_11target_archE906ELNS1_3gpuE6ELNS1_3repE0EEENS1_30default_config_static_selectorELNS0_4arch9wavefront6targetE0EEEvSY_.has_recursion, 0
	.set _ZN7rocprim17ROCPRIM_400000_NS6detail17trampoline_kernelINS0_13select_configILj256ELj13ELNS0_17block_load_methodE3ELS4_3ELS4_3ELNS0_20block_scan_algorithmE0ELj4294967295EEENS1_25partition_config_selectorILNS1_17partition_subalgoE3EjNS0_10empty_typeEbEEZZNS1_14partition_implILS8_3ELb0ES6_jNS0_17counting_iteratorIjlEEPS9_SE_NS0_5tupleIJPjSE_EEENSF_IJSE_SE_EEES9_SG_JZNS1_25segmented_radix_sort_implINS0_14default_configELb0EPKhPhPKlPlN2at6native12_GLOBAL__N_18offset_tEEE10hipError_tPvRmT1_PNSt15iterator_traitsISY_E10value_typeET2_T3_PNSZ_IS14_E10value_typeET4_jRbjT5_S1A_jjP12ihipStream_tbEUljE_EEESV_SW_SX_S14_S18_S1A_T6_T7_T9_mT8_S1C_bDpT10_ENKUlT_T0_E_clISt17integral_constantIbLb1EES1P_EEDaS1K_S1L_EUlS1K_E_NS1_11comp_targetILNS1_3genE2ELNS1_11target_archE906ELNS1_3gpuE6ELNS1_3repE0EEENS1_30default_config_static_selectorELNS0_4arch9wavefront6targetE0EEEvSY_.has_indirect_call, 0
	.section	.AMDGPU.csdata,"",@progbits
; Kernel info:
; codeLenInByte = 0
; TotalNumSgprs: 0
; NumVgprs: 0
; ScratchSize: 0
; MemoryBound: 0
; FloatMode: 240
; IeeeMode: 1
; LDSByteSize: 0 bytes/workgroup (compile time only)
; SGPRBlocks: 0
; VGPRBlocks: 0
; NumSGPRsForWavesPerEU: 1
; NumVGPRsForWavesPerEU: 1
; Occupancy: 16
; WaveLimiterHint : 0
; COMPUTE_PGM_RSRC2:SCRATCH_EN: 0
; COMPUTE_PGM_RSRC2:USER_SGPR: 6
; COMPUTE_PGM_RSRC2:TRAP_HANDLER: 0
; COMPUTE_PGM_RSRC2:TGID_X_EN: 1
; COMPUTE_PGM_RSRC2:TGID_Y_EN: 0
; COMPUTE_PGM_RSRC2:TGID_Z_EN: 0
; COMPUTE_PGM_RSRC2:TIDIG_COMP_CNT: 0
	.section	.text._ZN7rocprim17ROCPRIM_400000_NS6detail17trampoline_kernelINS0_13select_configILj256ELj13ELNS0_17block_load_methodE3ELS4_3ELS4_3ELNS0_20block_scan_algorithmE0ELj4294967295EEENS1_25partition_config_selectorILNS1_17partition_subalgoE3EjNS0_10empty_typeEbEEZZNS1_14partition_implILS8_3ELb0ES6_jNS0_17counting_iteratorIjlEEPS9_SE_NS0_5tupleIJPjSE_EEENSF_IJSE_SE_EEES9_SG_JZNS1_25segmented_radix_sort_implINS0_14default_configELb0EPKhPhPKlPlN2at6native12_GLOBAL__N_18offset_tEEE10hipError_tPvRmT1_PNSt15iterator_traitsISY_E10value_typeET2_T3_PNSZ_IS14_E10value_typeET4_jRbjT5_S1A_jjP12ihipStream_tbEUljE_EEESV_SW_SX_S14_S18_S1A_T6_T7_T9_mT8_S1C_bDpT10_ENKUlT_T0_E_clISt17integral_constantIbLb1EES1P_EEDaS1K_S1L_EUlS1K_E_NS1_11comp_targetILNS1_3genE10ELNS1_11target_archE1200ELNS1_3gpuE4ELNS1_3repE0EEENS1_30default_config_static_selectorELNS0_4arch9wavefront6targetE0EEEvSY_,"axG",@progbits,_ZN7rocprim17ROCPRIM_400000_NS6detail17trampoline_kernelINS0_13select_configILj256ELj13ELNS0_17block_load_methodE3ELS4_3ELS4_3ELNS0_20block_scan_algorithmE0ELj4294967295EEENS1_25partition_config_selectorILNS1_17partition_subalgoE3EjNS0_10empty_typeEbEEZZNS1_14partition_implILS8_3ELb0ES6_jNS0_17counting_iteratorIjlEEPS9_SE_NS0_5tupleIJPjSE_EEENSF_IJSE_SE_EEES9_SG_JZNS1_25segmented_radix_sort_implINS0_14default_configELb0EPKhPhPKlPlN2at6native12_GLOBAL__N_18offset_tEEE10hipError_tPvRmT1_PNSt15iterator_traitsISY_E10value_typeET2_T3_PNSZ_IS14_E10value_typeET4_jRbjT5_S1A_jjP12ihipStream_tbEUljE_EEESV_SW_SX_S14_S18_S1A_T6_T7_T9_mT8_S1C_bDpT10_ENKUlT_T0_E_clISt17integral_constantIbLb1EES1P_EEDaS1K_S1L_EUlS1K_E_NS1_11comp_targetILNS1_3genE10ELNS1_11target_archE1200ELNS1_3gpuE4ELNS1_3repE0EEENS1_30default_config_static_selectorELNS0_4arch9wavefront6targetE0EEEvSY_,comdat
	.globl	_ZN7rocprim17ROCPRIM_400000_NS6detail17trampoline_kernelINS0_13select_configILj256ELj13ELNS0_17block_load_methodE3ELS4_3ELS4_3ELNS0_20block_scan_algorithmE0ELj4294967295EEENS1_25partition_config_selectorILNS1_17partition_subalgoE3EjNS0_10empty_typeEbEEZZNS1_14partition_implILS8_3ELb0ES6_jNS0_17counting_iteratorIjlEEPS9_SE_NS0_5tupleIJPjSE_EEENSF_IJSE_SE_EEES9_SG_JZNS1_25segmented_radix_sort_implINS0_14default_configELb0EPKhPhPKlPlN2at6native12_GLOBAL__N_18offset_tEEE10hipError_tPvRmT1_PNSt15iterator_traitsISY_E10value_typeET2_T3_PNSZ_IS14_E10value_typeET4_jRbjT5_S1A_jjP12ihipStream_tbEUljE_EEESV_SW_SX_S14_S18_S1A_T6_T7_T9_mT8_S1C_bDpT10_ENKUlT_T0_E_clISt17integral_constantIbLb1EES1P_EEDaS1K_S1L_EUlS1K_E_NS1_11comp_targetILNS1_3genE10ELNS1_11target_archE1200ELNS1_3gpuE4ELNS1_3repE0EEENS1_30default_config_static_selectorELNS0_4arch9wavefront6targetE0EEEvSY_ ; -- Begin function _ZN7rocprim17ROCPRIM_400000_NS6detail17trampoline_kernelINS0_13select_configILj256ELj13ELNS0_17block_load_methodE3ELS4_3ELS4_3ELNS0_20block_scan_algorithmE0ELj4294967295EEENS1_25partition_config_selectorILNS1_17partition_subalgoE3EjNS0_10empty_typeEbEEZZNS1_14partition_implILS8_3ELb0ES6_jNS0_17counting_iteratorIjlEEPS9_SE_NS0_5tupleIJPjSE_EEENSF_IJSE_SE_EEES9_SG_JZNS1_25segmented_radix_sort_implINS0_14default_configELb0EPKhPhPKlPlN2at6native12_GLOBAL__N_18offset_tEEE10hipError_tPvRmT1_PNSt15iterator_traitsISY_E10value_typeET2_T3_PNSZ_IS14_E10value_typeET4_jRbjT5_S1A_jjP12ihipStream_tbEUljE_EEESV_SW_SX_S14_S18_S1A_T6_T7_T9_mT8_S1C_bDpT10_ENKUlT_T0_E_clISt17integral_constantIbLb1EES1P_EEDaS1K_S1L_EUlS1K_E_NS1_11comp_targetILNS1_3genE10ELNS1_11target_archE1200ELNS1_3gpuE4ELNS1_3repE0EEENS1_30default_config_static_selectorELNS0_4arch9wavefront6targetE0EEEvSY_
	.p2align	8
	.type	_ZN7rocprim17ROCPRIM_400000_NS6detail17trampoline_kernelINS0_13select_configILj256ELj13ELNS0_17block_load_methodE3ELS4_3ELS4_3ELNS0_20block_scan_algorithmE0ELj4294967295EEENS1_25partition_config_selectorILNS1_17partition_subalgoE3EjNS0_10empty_typeEbEEZZNS1_14partition_implILS8_3ELb0ES6_jNS0_17counting_iteratorIjlEEPS9_SE_NS0_5tupleIJPjSE_EEENSF_IJSE_SE_EEES9_SG_JZNS1_25segmented_radix_sort_implINS0_14default_configELb0EPKhPhPKlPlN2at6native12_GLOBAL__N_18offset_tEEE10hipError_tPvRmT1_PNSt15iterator_traitsISY_E10value_typeET2_T3_PNSZ_IS14_E10value_typeET4_jRbjT5_S1A_jjP12ihipStream_tbEUljE_EEESV_SW_SX_S14_S18_S1A_T6_T7_T9_mT8_S1C_bDpT10_ENKUlT_T0_E_clISt17integral_constantIbLb1EES1P_EEDaS1K_S1L_EUlS1K_E_NS1_11comp_targetILNS1_3genE10ELNS1_11target_archE1200ELNS1_3gpuE4ELNS1_3repE0EEENS1_30default_config_static_selectorELNS0_4arch9wavefront6targetE0EEEvSY_,@function
_ZN7rocprim17ROCPRIM_400000_NS6detail17trampoline_kernelINS0_13select_configILj256ELj13ELNS0_17block_load_methodE3ELS4_3ELS4_3ELNS0_20block_scan_algorithmE0ELj4294967295EEENS1_25partition_config_selectorILNS1_17partition_subalgoE3EjNS0_10empty_typeEbEEZZNS1_14partition_implILS8_3ELb0ES6_jNS0_17counting_iteratorIjlEEPS9_SE_NS0_5tupleIJPjSE_EEENSF_IJSE_SE_EEES9_SG_JZNS1_25segmented_radix_sort_implINS0_14default_configELb0EPKhPhPKlPlN2at6native12_GLOBAL__N_18offset_tEEE10hipError_tPvRmT1_PNSt15iterator_traitsISY_E10value_typeET2_T3_PNSZ_IS14_E10value_typeET4_jRbjT5_S1A_jjP12ihipStream_tbEUljE_EEESV_SW_SX_S14_S18_S1A_T6_T7_T9_mT8_S1C_bDpT10_ENKUlT_T0_E_clISt17integral_constantIbLb1EES1P_EEDaS1K_S1L_EUlS1K_E_NS1_11comp_targetILNS1_3genE10ELNS1_11target_archE1200ELNS1_3gpuE4ELNS1_3repE0EEENS1_30default_config_static_selectorELNS0_4arch9wavefront6targetE0EEEvSY_: ; @_ZN7rocprim17ROCPRIM_400000_NS6detail17trampoline_kernelINS0_13select_configILj256ELj13ELNS0_17block_load_methodE3ELS4_3ELS4_3ELNS0_20block_scan_algorithmE0ELj4294967295EEENS1_25partition_config_selectorILNS1_17partition_subalgoE3EjNS0_10empty_typeEbEEZZNS1_14partition_implILS8_3ELb0ES6_jNS0_17counting_iteratorIjlEEPS9_SE_NS0_5tupleIJPjSE_EEENSF_IJSE_SE_EEES9_SG_JZNS1_25segmented_radix_sort_implINS0_14default_configELb0EPKhPhPKlPlN2at6native12_GLOBAL__N_18offset_tEEE10hipError_tPvRmT1_PNSt15iterator_traitsISY_E10value_typeET2_T3_PNSZ_IS14_E10value_typeET4_jRbjT5_S1A_jjP12ihipStream_tbEUljE_EEESV_SW_SX_S14_S18_S1A_T6_T7_T9_mT8_S1C_bDpT10_ENKUlT_T0_E_clISt17integral_constantIbLb1EES1P_EEDaS1K_S1L_EUlS1K_E_NS1_11comp_targetILNS1_3genE10ELNS1_11target_archE1200ELNS1_3gpuE4ELNS1_3repE0EEENS1_30default_config_static_selectorELNS0_4arch9wavefront6targetE0EEEvSY_
; %bb.0:
	.section	.rodata,"a",@progbits
	.p2align	6, 0x0
	.amdhsa_kernel _ZN7rocprim17ROCPRIM_400000_NS6detail17trampoline_kernelINS0_13select_configILj256ELj13ELNS0_17block_load_methodE3ELS4_3ELS4_3ELNS0_20block_scan_algorithmE0ELj4294967295EEENS1_25partition_config_selectorILNS1_17partition_subalgoE3EjNS0_10empty_typeEbEEZZNS1_14partition_implILS8_3ELb0ES6_jNS0_17counting_iteratorIjlEEPS9_SE_NS0_5tupleIJPjSE_EEENSF_IJSE_SE_EEES9_SG_JZNS1_25segmented_radix_sort_implINS0_14default_configELb0EPKhPhPKlPlN2at6native12_GLOBAL__N_18offset_tEEE10hipError_tPvRmT1_PNSt15iterator_traitsISY_E10value_typeET2_T3_PNSZ_IS14_E10value_typeET4_jRbjT5_S1A_jjP12ihipStream_tbEUljE_EEESV_SW_SX_S14_S18_S1A_T6_T7_T9_mT8_S1C_bDpT10_ENKUlT_T0_E_clISt17integral_constantIbLb1EES1P_EEDaS1K_S1L_EUlS1K_E_NS1_11comp_targetILNS1_3genE10ELNS1_11target_archE1200ELNS1_3gpuE4ELNS1_3repE0EEENS1_30default_config_static_selectorELNS0_4arch9wavefront6targetE0EEEvSY_
		.amdhsa_group_segment_fixed_size 0
		.amdhsa_private_segment_fixed_size 0
		.amdhsa_kernarg_size 152
		.amdhsa_user_sgpr_count 6
		.amdhsa_user_sgpr_private_segment_buffer 1
		.amdhsa_user_sgpr_dispatch_ptr 0
		.amdhsa_user_sgpr_queue_ptr 0
		.amdhsa_user_sgpr_kernarg_segment_ptr 1
		.amdhsa_user_sgpr_dispatch_id 0
		.amdhsa_user_sgpr_flat_scratch_init 0
		.amdhsa_user_sgpr_private_segment_size 0
		.amdhsa_wavefront_size32 1
		.amdhsa_uses_dynamic_stack 0
		.amdhsa_system_sgpr_private_segment_wavefront_offset 0
		.amdhsa_system_sgpr_workgroup_id_x 1
		.amdhsa_system_sgpr_workgroup_id_y 0
		.amdhsa_system_sgpr_workgroup_id_z 0
		.amdhsa_system_sgpr_workgroup_info 0
		.amdhsa_system_vgpr_workitem_id 0
		.amdhsa_next_free_vgpr 1
		.amdhsa_next_free_sgpr 1
		.amdhsa_reserve_vcc 0
		.amdhsa_reserve_flat_scratch 0
		.amdhsa_float_round_mode_32 0
		.amdhsa_float_round_mode_16_64 0
		.amdhsa_float_denorm_mode_32 3
		.amdhsa_float_denorm_mode_16_64 3
		.amdhsa_dx10_clamp 1
		.amdhsa_ieee_mode 1
		.amdhsa_fp16_overflow 0
		.amdhsa_workgroup_processor_mode 1
		.amdhsa_memory_ordered 1
		.amdhsa_forward_progress 1
		.amdhsa_shared_vgpr_count 0
		.amdhsa_exception_fp_ieee_invalid_op 0
		.amdhsa_exception_fp_denorm_src 0
		.amdhsa_exception_fp_ieee_div_zero 0
		.amdhsa_exception_fp_ieee_overflow 0
		.amdhsa_exception_fp_ieee_underflow 0
		.amdhsa_exception_fp_ieee_inexact 0
		.amdhsa_exception_int_div_zero 0
	.end_amdhsa_kernel
	.section	.text._ZN7rocprim17ROCPRIM_400000_NS6detail17trampoline_kernelINS0_13select_configILj256ELj13ELNS0_17block_load_methodE3ELS4_3ELS4_3ELNS0_20block_scan_algorithmE0ELj4294967295EEENS1_25partition_config_selectorILNS1_17partition_subalgoE3EjNS0_10empty_typeEbEEZZNS1_14partition_implILS8_3ELb0ES6_jNS0_17counting_iteratorIjlEEPS9_SE_NS0_5tupleIJPjSE_EEENSF_IJSE_SE_EEES9_SG_JZNS1_25segmented_radix_sort_implINS0_14default_configELb0EPKhPhPKlPlN2at6native12_GLOBAL__N_18offset_tEEE10hipError_tPvRmT1_PNSt15iterator_traitsISY_E10value_typeET2_T3_PNSZ_IS14_E10value_typeET4_jRbjT5_S1A_jjP12ihipStream_tbEUljE_EEESV_SW_SX_S14_S18_S1A_T6_T7_T9_mT8_S1C_bDpT10_ENKUlT_T0_E_clISt17integral_constantIbLb1EES1P_EEDaS1K_S1L_EUlS1K_E_NS1_11comp_targetILNS1_3genE10ELNS1_11target_archE1200ELNS1_3gpuE4ELNS1_3repE0EEENS1_30default_config_static_selectorELNS0_4arch9wavefront6targetE0EEEvSY_,"axG",@progbits,_ZN7rocprim17ROCPRIM_400000_NS6detail17trampoline_kernelINS0_13select_configILj256ELj13ELNS0_17block_load_methodE3ELS4_3ELS4_3ELNS0_20block_scan_algorithmE0ELj4294967295EEENS1_25partition_config_selectorILNS1_17partition_subalgoE3EjNS0_10empty_typeEbEEZZNS1_14partition_implILS8_3ELb0ES6_jNS0_17counting_iteratorIjlEEPS9_SE_NS0_5tupleIJPjSE_EEENSF_IJSE_SE_EEES9_SG_JZNS1_25segmented_radix_sort_implINS0_14default_configELb0EPKhPhPKlPlN2at6native12_GLOBAL__N_18offset_tEEE10hipError_tPvRmT1_PNSt15iterator_traitsISY_E10value_typeET2_T3_PNSZ_IS14_E10value_typeET4_jRbjT5_S1A_jjP12ihipStream_tbEUljE_EEESV_SW_SX_S14_S18_S1A_T6_T7_T9_mT8_S1C_bDpT10_ENKUlT_T0_E_clISt17integral_constantIbLb1EES1P_EEDaS1K_S1L_EUlS1K_E_NS1_11comp_targetILNS1_3genE10ELNS1_11target_archE1200ELNS1_3gpuE4ELNS1_3repE0EEENS1_30default_config_static_selectorELNS0_4arch9wavefront6targetE0EEEvSY_,comdat
.Lfunc_end166:
	.size	_ZN7rocprim17ROCPRIM_400000_NS6detail17trampoline_kernelINS0_13select_configILj256ELj13ELNS0_17block_load_methodE3ELS4_3ELS4_3ELNS0_20block_scan_algorithmE0ELj4294967295EEENS1_25partition_config_selectorILNS1_17partition_subalgoE3EjNS0_10empty_typeEbEEZZNS1_14partition_implILS8_3ELb0ES6_jNS0_17counting_iteratorIjlEEPS9_SE_NS0_5tupleIJPjSE_EEENSF_IJSE_SE_EEES9_SG_JZNS1_25segmented_radix_sort_implINS0_14default_configELb0EPKhPhPKlPlN2at6native12_GLOBAL__N_18offset_tEEE10hipError_tPvRmT1_PNSt15iterator_traitsISY_E10value_typeET2_T3_PNSZ_IS14_E10value_typeET4_jRbjT5_S1A_jjP12ihipStream_tbEUljE_EEESV_SW_SX_S14_S18_S1A_T6_T7_T9_mT8_S1C_bDpT10_ENKUlT_T0_E_clISt17integral_constantIbLb1EES1P_EEDaS1K_S1L_EUlS1K_E_NS1_11comp_targetILNS1_3genE10ELNS1_11target_archE1200ELNS1_3gpuE4ELNS1_3repE0EEENS1_30default_config_static_selectorELNS0_4arch9wavefront6targetE0EEEvSY_, .Lfunc_end166-_ZN7rocprim17ROCPRIM_400000_NS6detail17trampoline_kernelINS0_13select_configILj256ELj13ELNS0_17block_load_methodE3ELS4_3ELS4_3ELNS0_20block_scan_algorithmE0ELj4294967295EEENS1_25partition_config_selectorILNS1_17partition_subalgoE3EjNS0_10empty_typeEbEEZZNS1_14partition_implILS8_3ELb0ES6_jNS0_17counting_iteratorIjlEEPS9_SE_NS0_5tupleIJPjSE_EEENSF_IJSE_SE_EEES9_SG_JZNS1_25segmented_radix_sort_implINS0_14default_configELb0EPKhPhPKlPlN2at6native12_GLOBAL__N_18offset_tEEE10hipError_tPvRmT1_PNSt15iterator_traitsISY_E10value_typeET2_T3_PNSZ_IS14_E10value_typeET4_jRbjT5_S1A_jjP12ihipStream_tbEUljE_EEESV_SW_SX_S14_S18_S1A_T6_T7_T9_mT8_S1C_bDpT10_ENKUlT_T0_E_clISt17integral_constantIbLb1EES1P_EEDaS1K_S1L_EUlS1K_E_NS1_11comp_targetILNS1_3genE10ELNS1_11target_archE1200ELNS1_3gpuE4ELNS1_3repE0EEENS1_30default_config_static_selectorELNS0_4arch9wavefront6targetE0EEEvSY_
                                        ; -- End function
	.set _ZN7rocprim17ROCPRIM_400000_NS6detail17trampoline_kernelINS0_13select_configILj256ELj13ELNS0_17block_load_methodE3ELS4_3ELS4_3ELNS0_20block_scan_algorithmE0ELj4294967295EEENS1_25partition_config_selectorILNS1_17partition_subalgoE3EjNS0_10empty_typeEbEEZZNS1_14partition_implILS8_3ELb0ES6_jNS0_17counting_iteratorIjlEEPS9_SE_NS0_5tupleIJPjSE_EEENSF_IJSE_SE_EEES9_SG_JZNS1_25segmented_radix_sort_implINS0_14default_configELb0EPKhPhPKlPlN2at6native12_GLOBAL__N_18offset_tEEE10hipError_tPvRmT1_PNSt15iterator_traitsISY_E10value_typeET2_T3_PNSZ_IS14_E10value_typeET4_jRbjT5_S1A_jjP12ihipStream_tbEUljE_EEESV_SW_SX_S14_S18_S1A_T6_T7_T9_mT8_S1C_bDpT10_ENKUlT_T0_E_clISt17integral_constantIbLb1EES1P_EEDaS1K_S1L_EUlS1K_E_NS1_11comp_targetILNS1_3genE10ELNS1_11target_archE1200ELNS1_3gpuE4ELNS1_3repE0EEENS1_30default_config_static_selectorELNS0_4arch9wavefront6targetE0EEEvSY_.num_vgpr, 0
	.set _ZN7rocprim17ROCPRIM_400000_NS6detail17trampoline_kernelINS0_13select_configILj256ELj13ELNS0_17block_load_methodE3ELS4_3ELS4_3ELNS0_20block_scan_algorithmE0ELj4294967295EEENS1_25partition_config_selectorILNS1_17partition_subalgoE3EjNS0_10empty_typeEbEEZZNS1_14partition_implILS8_3ELb0ES6_jNS0_17counting_iteratorIjlEEPS9_SE_NS0_5tupleIJPjSE_EEENSF_IJSE_SE_EEES9_SG_JZNS1_25segmented_radix_sort_implINS0_14default_configELb0EPKhPhPKlPlN2at6native12_GLOBAL__N_18offset_tEEE10hipError_tPvRmT1_PNSt15iterator_traitsISY_E10value_typeET2_T3_PNSZ_IS14_E10value_typeET4_jRbjT5_S1A_jjP12ihipStream_tbEUljE_EEESV_SW_SX_S14_S18_S1A_T6_T7_T9_mT8_S1C_bDpT10_ENKUlT_T0_E_clISt17integral_constantIbLb1EES1P_EEDaS1K_S1L_EUlS1K_E_NS1_11comp_targetILNS1_3genE10ELNS1_11target_archE1200ELNS1_3gpuE4ELNS1_3repE0EEENS1_30default_config_static_selectorELNS0_4arch9wavefront6targetE0EEEvSY_.num_agpr, 0
	.set _ZN7rocprim17ROCPRIM_400000_NS6detail17trampoline_kernelINS0_13select_configILj256ELj13ELNS0_17block_load_methodE3ELS4_3ELS4_3ELNS0_20block_scan_algorithmE0ELj4294967295EEENS1_25partition_config_selectorILNS1_17partition_subalgoE3EjNS0_10empty_typeEbEEZZNS1_14partition_implILS8_3ELb0ES6_jNS0_17counting_iteratorIjlEEPS9_SE_NS0_5tupleIJPjSE_EEENSF_IJSE_SE_EEES9_SG_JZNS1_25segmented_radix_sort_implINS0_14default_configELb0EPKhPhPKlPlN2at6native12_GLOBAL__N_18offset_tEEE10hipError_tPvRmT1_PNSt15iterator_traitsISY_E10value_typeET2_T3_PNSZ_IS14_E10value_typeET4_jRbjT5_S1A_jjP12ihipStream_tbEUljE_EEESV_SW_SX_S14_S18_S1A_T6_T7_T9_mT8_S1C_bDpT10_ENKUlT_T0_E_clISt17integral_constantIbLb1EES1P_EEDaS1K_S1L_EUlS1K_E_NS1_11comp_targetILNS1_3genE10ELNS1_11target_archE1200ELNS1_3gpuE4ELNS1_3repE0EEENS1_30default_config_static_selectorELNS0_4arch9wavefront6targetE0EEEvSY_.numbered_sgpr, 0
	.set _ZN7rocprim17ROCPRIM_400000_NS6detail17trampoline_kernelINS0_13select_configILj256ELj13ELNS0_17block_load_methodE3ELS4_3ELS4_3ELNS0_20block_scan_algorithmE0ELj4294967295EEENS1_25partition_config_selectorILNS1_17partition_subalgoE3EjNS0_10empty_typeEbEEZZNS1_14partition_implILS8_3ELb0ES6_jNS0_17counting_iteratorIjlEEPS9_SE_NS0_5tupleIJPjSE_EEENSF_IJSE_SE_EEES9_SG_JZNS1_25segmented_radix_sort_implINS0_14default_configELb0EPKhPhPKlPlN2at6native12_GLOBAL__N_18offset_tEEE10hipError_tPvRmT1_PNSt15iterator_traitsISY_E10value_typeET2_T3_PNSZ_IS14_E10value_typeET4_jRbjT5_S1A_jjP12ihipStream_tbEUljE_EEESV_SW_SX_S14_S18_S1A_T6_T7_T9_mT8_S1C_bDpT10_ENKUlT_T0_E_clISt17integral_constantIbLb1EES1P_EEDaS1K_S1L_EUlS1K_E_NS1_11comp_targetILNS1_3genE10ELNS1_11target_archE1200ELNS1_3gpuE4ELNS1_3repE0EEENS1_30default_config_static_selectorELNS0_4arch9wavefront6targetE0EEEvSY_.num_named_barrier, 0
	.set _ZN7rocprim17ROCPRIM_400000_NS6detail17trampoline_kernelINS0_13select_configILj256ELj13ELNS0_17block_load_methodE3ELS4_3ELS4_3ELNS0_20block_scan_algorithmE0ELj4294967295EEENS1_25partition_config_selectorILNS1_17partition_subalgoE3EjNS0_10empty_typeEbEEZZNS1_14partition_implILS8_3ELb0ES6_jNS0_17counting_iteratorIjlEEPS9_SE_NS0_5tupleIJPjSE_EEENSF_IJSE_SE_EEES9_SG_JZNS1_25segmented_radix_sort_implINS0_14default_configELb0EPKhPhPKlPlN2at6native12_GLOBAL__N_18offset_tEEE10hipError_tPvRmT1_PNSt15iterator_traitsISY_E10value_typeET2_T3_PNSZ_IS14_E10value_typeET4_jRbjT5_S1A_jjP12ihipStream_tbEUljE_EEESV_SW_SX_S14_S18_S1A_T6_T7_T9_mT8_S1C_bDpT10_ENKUlT_T0_E_clISt17integral_constantIbLb1EES1P_EEDaS1K_S1L_EUlS1K_E_NS1_11comp_targetILNS1_3genE10ELNS1_11target_archE1200ELNS1_3gpuE4ELNS1_3repE0EEENS1_30default_config_static_selectorELNS0_4arch9wavefront6targetE0EEEvSY_.private_seg_size, 0
	.set _ZN7rocprim17ROCPRIM_400000_NS6detail17trampoline_kernelINS0_13select_configILj256ELj13ELNS0_17block_load_methodE3ELS4_3ELS4_3ELNS0_20block_scan_algorithmE0ELj4294967295EEENS1_25partition_config_selectorILNS1_17partition_subalgoE3EjNS0_10empty_typeEbEEZZNS1_14partition_implILS8_3ELb0ES6_jNS0_17counting_iteratorIjlEEPS9_SE_NS0_5tupleIJPjSE_EEENSF_IJSE_SE_EEES9_SG_JZNS1_25segmented_radix_sort_implINS0_14default_configELb0EPKhPhPKlPlN2at6native12_GLOBAL__N_18offset_tEEE10hipError_tPvRmT1_PNSt15iterator_traitsISY_E10value_typeET2_T3_PNSZ_IS14_E10value_typeET4_jRbjT5_S1A_jjP12ihipStream_tbEUljE_EEESV_SW_SX_S14_S18_S1A_T6_T7_T9_mT8_S1C_bDpT10_ENKUlT_T0_E_clISt17integral_constantIbLb1EES1P_EEDaS1K_S1L_EUlS1K_E_NS1_11comp_targetILNS1_3genE10ELNS1_11target_archE1200ELNS1_3gpuE4ELNS1_3repE0EEENS1_30default_config_static_selectorELNS0_4arch9wavefront6targetE0EEEvSY_.uses_vcc, 0
	.set _ZN7rocprim17ROCPRIM_400000_NS6detail17trampoline_kernelINS0_13select_configILj256ELj13ELNS0_17block_load_methodE3ELS4_3ELS4_3ELNS0_20block_scan_algorithmE0ELj4294967295EEENS1_25partition_config_selectorILNS1_17partition_subalgoE3EjNS0_10empty_typeEbEEZZNS1_14partition_implILS8_3ELb0ES6_jNS0_17counting_iteratorIjlEEPS9_SE_NS0_5tupleIJPjSE_EEENSF_IJSE_SE_EEES9_SG_JZNS1_25segmented_radix_sort_implINS0_14default_configELb0EPKhPhPKlPlN2at6native12_GLOBAL__N_18offset_tEEE10hipError_tPvRmT1_PNSt15iterator_traitsISY_E10value_typeET2_T3_PNSZ_IS14_E10value_typeET4_jRbjT5_S1A_jjP12ihipStream_tbEUljE_EEESV_SW_SX_S14_S18_S1A_T6_T7_T9_mT8_S1C_bDpT10_ENKUlT_T0_E_clISt17integral_constantIbLb1EES1P_EEDaS1K_S1L_EUlS1K_E_NS1_11comp_targetILNS1_3genE10ELNS1_11target_archE1200ELNS1_3gpuE4ELNS1_3repE0EEENS1_30default_config_static_selectorELNS0_4arch9wavefront6targetE0EEEvSY_.uses_flat_scratch, 0
	.set _ZN7rocprim17ROCPRIM_400000_NS6detail17trampoline_kernelINS0_13select_configILj256ELj13ELNS0_17block_load_methodE3ELS4_3ELS4_3ELNS0_20block_scan_algorithmE0ELj4294967295EEENS1_25partition_config_selectorILNS1_17partition_subalgoE3EjNS0_10empty_typeEbEEZZNS1_14partition_implILS8_3ELb0ES6_jNS0_17counting_iteratorIjlEEPS9_SE_NS0_5tupleIJPjSE_EEENSF_IJSE_SE_EEES9_SG_JZNS1_25segmented_radix_sort_implINS0_14default_configELb0EPKhPhPKlPlN2at6native12_GLOBAL__N_18offset_tEEE10hipError_tPvRmT1_PNSt15iterator_traitsISY_E10value_typeET2_T3_PNSZ_IS14_E10value_typeET4_jRbjT5_S1A_jjP12ihipStream_tbEUljE_EEESV_SW_SX_S14_S18_S1A_T6_T7_T9_mT8_S1C_bDpT10_ENKUlT_T0_E_clISt17integral_constantIbLb1EES1P_EEDaS1K_S1L_EUlS1K_E_NS1_11comp_targetILNS1_3genE10ELNS1_11target_archE1200ELNS1_3gpuE4ELNS1_3repE0EEENS1_30default_config_static_selectorELNS0_4arch9wavefront6targetE0EEEvSY_.has_dyn_sized_stack, 0
	.set _ZN7rocprim17ROCPRIM_400000_NS6detail17trampoline_kernelINS0_13select_configILj256ELj13ELNS0_17block_load_methodE3ELS4_3ELS4_3ELNS0_20block_scan_algorithmE0ELj4294967295EEENS1_25partition_config_selectorILNS1_17partition_subalgoE3EjNS0_10empty_typeEbEEZZNS1_14partition_implILS8_3ELb0ES6_jNS0_17counting_iteratorIjlEEPS9_SE_NS0_5tupleIJPjSE_EEENSF_IJSE_SE_EEES9_SG_JZNS1_25segmented_radix_sort_implINS0_14default_configELb0EPKhPhPKlPlN2at6native12_GLOBAL__N_18offset_tEEE10hipError_tPvRmT1_PNSt15iterator_traitsISY_E10value_typeET2_T3_PNSZ_IS14_E10value_typeET4_jRbjT5_S1A_jjP12ihipStream_tbEUljE_EEESV_SW_SX_S14_S18_S1A_T6_T7_T9_mT8_S1C_bDpT10_ENKUlT_T0_E_clISt17integral_constantIbLb1EES1P_EEDaS1K_S1L_EUlS1K_E_NS1_11comp_targetILNS1_3genE10ELNS1_11target_archE1200ELNS1_3gpuE4ELNS1_3repE0EEENS1_30default_config_static_selectorELNS0_4arch9wavefront6targetE0EEEvSY_.has_recursion, 0
	.set _ZN7rocprim17ROCPRIM_400000_NS6detail17trampoline_kernelINS0_13select_configILj256ELj13ELNS0_17block_load_methodE3ELS4_3ELS4_3ELNS0_20block_scan_algorithmE0ELj4294967295EEENS1_25partition_config_selectorILNS1_17partition_subalgoE3EjNS0_10empty_typeEbEEZZNS1_14partition_implILS8_3ELb0ES6_jNS0_17counting_iteratorIjlEEPS9_SE_NS0_5tupleIJPjSE_EEENSF_IJSE_SE_EEES9_SG_JZNS1_25segmented_radix_sort_implINS0_14default_configELb0EPKhPhPKlPlN2at6native12_GLOBAL__N_18offset_tEEE10hipError_tPvRmT1_PNSt15iterator_traitsISY_E10value_typeET2_T3_PNSZ_IS14_E10value_typeET4_jRbjT5_S1A_jjP12ihipStream_tbEUljE_EEESV_SW_SX_S14_S18_S1A_T6_T7_T9_mT8_S1C_bDpT10_ENKUlT_T0_E_clISt17integral_constantIbLb1EES1P_EEDaS1K_S1L_EUlS1K_E_NS1_11comp_targetILNS1_3genE10ELNS1_11target_archE1200ELNS1_3gpuE4ELNS1_3repE0EEENS1_30default_config_static_selectorELNS0_4arch9wavefront6targetE0EEEvSY_.has_indirect_call, 0
	.section	.AMDGPU.csdata,"",@progbits
; Kernel info:
; codeLenInByte = 0
; TotalNumSgprs: 0
; NumVgprs: 0
; ScratchSize: 0
; MemoryBound: 0
; FloatMode: 240
; IeeeMode: 1
; LDSByteSize: 0 bytes/workgroup (compile time only)
; SGPRBlocks: 0
; VGPRBlocks: 0
; NumSGPRsForWavesPerEU: 1
; NumVGPRsForWavesPerEU: 1
; Occupancy: 16
; WaveLimiterHint : 0
; COMPUTE_PGM_RSRC2:SCRATCH_EN: 0
; COMPUTE_PGM_RSRC2:USER_SGPR: 6
; COMPUTE_PGM_RSRC2:TRAP_HANDLER: 0
; COMPUTE_PGM_RSRC2:TGID_X_EN: 1
; COMPUTE_PGM_RSRC2:TGID_Y_EN: 0
; COMPUTE_PGM_RSRC2:TGID_Z_EN: 0
; COMPUTE_PGM_RSRC2:TIDIG_COMP_CNT: 0
	.section	.text._ZN7rocprim17ROCPRIM_400000_NS6detail17trampoline_kernelINS0_13select_configILj256ELj13ELNS0_17block_load_methodE3ELS4_3ELS4_3ELNS0_20block_scan_algorithmE0ELj4294967295EEENS1_25partition_config_selectorILNS1_17partition_subalgoE3EjNS0_10empty_typeEbEEZZNS1_14partition_implILS8_3ELb0ES6_jNS0_17counting_iteratorIjlEEPS9_SE_NS0_5tupleIJPjSE_EEENSF_IJSE_SE_EEES9_SG_JZNS1_25segmented_radix_sort_implINS0_14default_configELb0EPKhPhPKlPlN2at6native12_GLOBAL__N_18offset_tEEE10hipError_tPvRmT1_PNSt15iterator_traitsISY_E10value_typeET2_T3_PNSZ_IS14_E10value_typeET4_jRbjT5_S1A_jjP12ihipStream_tbEUljE_EEESV_SW_SX_S14_S18_S1A_T6_T7_T9_mT8_S1C_bDpT10_ENKUlT_T0_E_clISt17integral_constantIbLb1EES1P_EEDaS1K_S1L_EUlS1K_E_NS1_11comp_targetILNS1_3genE9ELNS1_11target_archE1100ELNS1_3gpuE3ELNS1_3repE0EEENS1_30default_config_static_selectorELNS0_4arch9wavefront6targetE0EEEvSY_,"axG",@progbits,_ZN7rocprim17ROCPRIM_400000_NS6detail17trampoline_kernelINS0_13select_configILj256ELj13ELNS0_17block_load_methodE3ELS4_3ELS4_3ELNS0_20block_scan_algorithmE0ELj4294967295EEENS1_25partition_config_selectorILNS1_17partition_subalgoE3EjNS0_10empty_typeEbEEZZNS1_14partition_implILS8_3ELb0ES6_jNS0_17counting_iteratorIjlEEPS9_SE_NS0_5tupleIJPjSE_EEENSF_IJSE_SE_EEES9_SG_JZNS1_25segmented_radix_sort_implINS0_14default_configELb0EPKhPhPKlPlN2at6native12_GLOBAL__N_18offset_tEEE10hipError_tPvRmT1_PNSt15iterator_traitsISY_E10value_typeET2_T3_PNSZ_IS14_E10value_typeET4_jRbjT5_S1A_jjP12ihipStream_tbEUljE_EEESV_SW_SX_S14_S18_S1A_T6_T7_T9_mT8_S1C_bDpT10_ENKUlT_T0_E_clISt17integral_constantIbLb1EES1P_EEDaS1K_S1L_EUlS1K_E_NS1_11comp_targetILNS1_3genE9ELNS1_11target_archE1100ELNS1_3gpuE3ELNS1_3repE0EEENS1_30default_config_static_selectorELNS0_4arch9wavefront6targetE0EEEvSY_,comdat
	.globl	_ZN7rocprim17ROCPRIM_400000_NS6detail17trampoline_kernelINS0_13select_configILj256ELj13ELNS0_17block_load_methodE3ELS4_3ELS4_3ELNS0_20block_scan_algorithmE0ELj4294967295EEENS1_25partition_config_selectorILNS1_17partition_subalgoE3EjNS0_10empty_typeEbEEZZNS1_14partition_implILS8_3ELb0ES6_jNS0_17counting_iteratorIjlEEPS9_SE_NS0_5tupleIJPjSE_EEENSF_IJSE_SE_EEES9_SG_JZNS1_25segmented_radix_sort_implINS0_14default_configELb0EPKhPhPKlPlN2at6native12_GLOBAL__N_18offset_tEEE10hipError_tPvRmT1_PNSt15iterator_traitsISY_E10value_typeET2_T3_PNSZ_IS14_E10value_typeET4_jRbjT5_S1A_jjP12ihipStream_tbEUljE_EEESV_SW_SX_S14_S18_S1A_T6_T7_T9_mT8_S1C_bDpT10_ENKUlT_T0_E_clISt17integral_constantIbLb1EES1P_EEDaS1K_S1L_EUlS1K_E_NS1_11comp_targetILNS1_3genE9ELNS1_11target_archE1100ELNS1_3gpuE3ELNS1_3repE0EEENS1_30default_config_static_selectorELNS0_4arch9wavefront6targetE0EEEvSY_ ; -- Begin function _ZN7rocprim17ROCPRIM_400000_NS6detail17trampoline_kernelINS0_13select_configILj256ELj13ELNS0_17block_load_methodE3ELS4_3ELS4_3ELNS0_20block_scan_algorithmE0ELj4294967295EEENS1_25partition_config_selectorILNS1_17partition_subalgoE3EjNS0_10empty_typeEbEEZZNS1_14partition_implILS8_3ELb0ES6_jNS0_17counting_iteratorIjlEEPS9_SE_NS0_5tupleIJPjSE_EEENSF_IJSE_SE_EEES9_SG_JZNS1_25segmented_radix_sort_implINS0_14default_configELb0EPKhPhPKlPlN2at6native12_GLOBAL__N_18offset_tEEE10hipError_tPvRmT1_PNSt15iterator_traitsISY_E10value_typeET2_T3_PNSZ_IS14_E10value_typeET4_jRbjT5_S1A_jjP12ihipStream_tbEUljE_EEESV_SW_SX_S14_S18_S1A_T6_T7_T9_mT8_S1C_bDpT10_ENKUlT_T0_E_clISt17integral_constantIbLb1EES1P_EEDaS1K_S1L_EUlS1K_E_NS1_11comp_targetILNS1_3genE9ELNS1_11target_archE1100ELNS1_3gpuE3ELNS1_3repE0EEENS1_30default_config_static_selectorELNS0_4arch9wavefront6targetE0EEEvSY_
	.p2align	8
	.type	_ZN7rocprim17ROCPRIM_400000_NS6detail17trampoline_kernelINS0_13select_configILj256ELj13ELNS0_17block_load_methodE3ELS4_3ELS4_3ELNS0_20block_scan_algorithmE0ELj4294967295EEENS1_25partition_config_selectorILNS1_17partition_subalgoE3EjNS0_10empty_typeEbEEZZNS1_14partition_implILS8_3ELb0ES6_jNS0_17counting_iteratorIjlEEPS9_SE_NS0_5tupleIJPjSE_EEENSF_IJSE_SE_EEES9_SG_JZNS1_25segmented_radix_sort_implINS0_14default_configELb0EPKhPhPKlPlN2at6native12_GLOBAL__N_18offset_tEEE10hipError_tPvRmT1_PNSt15iterator_traitsISY_E10value_typeET2_T3_PNSZ_IS14_E10value_typeET4_jRbjT5_S1A_jjP12ihipStream_tbEUljE_EEESV_SW_SX_S14_S18_S1A_T6_T7_T9_mT8_S1C_bDpT10_ENKUlT_T0_E_clISt17integral_constantIbLb1EES1P_EEDaS1K_S1L_EUlS1K_E_NS1_11comp_targetILNS1_3genE9ELNS1_11target_archE1100ELNS1_3gpuE3ELNS1_3repE0EEENS1_30default_config_static_selectorELNS0_4arch9wavefront6targetE0EEEvSY_,@function
_ZN7rocprim17ROCPRIM_400000_NS6detail17trampoline_kernelINS0_13select_configILj256ELj13ELNS0_17block_load_methodE3ELS4_3ELS4_3ELNS0_20block_scan_algorithmE0ELj4294967295EEENS1_25partition_config_selectorILNS1_17partition_subalgoE3EjNS0_10empty_typeEbEEZZNS1_14partition_implILS8_3ELb0ES6_jNS0_17counting_iteratorIjlEEPS9_SE_NS0_5tupleIJPjSE_EEENSF_IJSE_SE_EEES9_SG_JZNS1_25segmented_radix_sort_implINS0_14default_configELb0EPKhPhPKlPlN2at6native12_GLOBAL__N_18offset_tEEE10hipError_tPvRmT1_PNSt15iterator_traitsISY_E10value_typeET2_T3_PNSZ_IS14_E10value_typeET4_jRbjT5_S1A_jjP12ihipStream_tbEUljE_EEESV_SW_SX_S14_S18_S1A_T6_T7_T9_mT8_S1C_bDpT10_ENKUlT_T0_E_clISt17integral_constantIbLb1EES1P_EEDaS1K_S1L_EUlS1K_E_NS1_11comp_targetILNS1_3genE9ELNS1_11target_archE1100ELNS1_3gpuE3ELNS1_3repE0EEENS1_30default_config_static_selectorELNS0_4arch9wavefront6targetE0EEEvSY_: ; @_ZN7rocprim17ROCPRIM_400000_NS6detail17trampoline_kernelINS0_13select_configILj256ELj13ELNS0_17block_load_methodE3ELS4_3ELS4_3ELNS0_20block_scan_algorithmE0ELj4294967295EEENS1_25partition_config_selectorILNS1_17partition_subalgoE3EjNS0_10empty_typeEbEEZZNS1_14partition_implILS8_3ELb0ES6_jNS0_17counting_iteratorIjlEEPS9_SE_NS0_5tupleIJPjSE_EEENSF_IJSE_SE_EEES9_SG_JZNS1_25segmented_radix_sort_implINS0_14default_configELb0EPKhPhPKlPlN2at6native12_GLOBAL__N_18offset_tEEE10hipError_tPvRmT1_PNSt15iterator_traitsISY_E10value_typeET2_T3_PNSZ_IS14_E10value_typeET4_jRbjT5_S1A_jjP12ihipStream_tbEUljE_EEESV_SW_SX_S14_S18_S1A_T6_T7_T9_mT8_S1C_bDpT10_ENKUlT_T0_E_clISt17integral_constantIbLb1EES1P_EEDaS1K_S1L_EUlS1K_E_NS1_11comp_targetILNS1_3genE9ELNS1_11target_archE1100ELNS1_3gpuE3ELNS1_3repE0EEENS1_30default_config_static_selectorELNS0_4arch9wavefront6targetE0EEEvSY_
; %bb.0:
	.section	.rodata,"a",@progbits
	.p2align	6, 0x0
	.amdhsa_kernel _ZN7rocprim17ROCPRIM_400000_NS6detail17trampoline_kernelINS0_13select_configILj256ELj13ELNS0_17block_load_methodE3ELS4_3ELS4_3ELNS0_20block_scan_algorithmE0ELj4294967295EEENS1_25partition_config_selectorILNS1_17partition_subalgoE3EjNS0_10empty_typeEbEEZZNS1_14partition_implILS8_3ELb0ES6_jNS0_17counting_iteratorIjlEEPS9_SE_NS0_5tupleIJPjSE_EEENSF_IJSE_SE_EEES9_SG_JZNS1_25segmented_radix_sort_implINS0_14default_configELb0EPKhPhPKlPlN2at6native12_GLOBAL__N_18offset_tEEE10hipError_tPvRmT1_PNSt15iterator_traitsISY_E10value_typeET2_T3_PNSZ_IS14_E10value_typeET4_jRbjT5_S1A_jjP12ihipStream_tbEUljE_EEESV_SW_SX_S14_S18_S1A_T6_T7_T9_mT8_S1C_bDpT10_ENKUlT_T0_E_clISt17integral_constantIbLb1EES1P_EEDaS1K_S1L_EUlS1K_E_NS1_11comp_targetILNS1_3genE9ELNS1_11target_archE1100ELNS1_3gpuE3ELNS1_3repE0EEENS1_30default_config_static_selectorELNS0_4arch9wavefront6targetE0EEEvSY_
		.amdhsa_group_segment_fixed_size 0
		.amdhsa_private_segment_fixed_size 0
		.amdhsa_kernarg_size 152
		.amdhsa_user_sgpr_count 6
		.amdhsa_user_sgpr_private_segment_buffer 1
		.amdhsa_user_sgpr_dispatch_ptr 0
		.amdhsa_user_sgpr_queue_ptr 0
		.amdhsa_user_sgpr_kernarg_segment_ptr 1
		.amdhsa_user_sgpr_dispatch_id 0
		.amdhsa_user_sgpr_flat_scratch_init 0
		.amdhsa_user_sgpr_private_segment_size 0
		.amdhsa_wavefront_size32 1
		.amdhsa_uses_dynamic_stack 0
		.amdhsa_system_sgpr_private_segment_wavefront_offset 0
		.amdhsa_system_sgpr_workgroup_id_x 1
		.amdhsa_system_sgpr_workgroup_id_y 0
		.amdhsa_system_sgpr_workgroup_id_z 0
		.amdhsa_system_sgpr_workgroup_info 0
		.amdhsa_system_vgpr_workitem_id 0
		.amdhsa_next_free_vgpr 1
		.amdhsa_next_free_sgpr 1
		.amdhsa_reserve_vcc 0
		.amdhsa_reserve_flat_scratch 0
		.amdhsa_float_round_mode_32 0
		.amdhsa_float_round_mode_16_64 0
		.amdhsa_float_denorm_mode_32 3
		.amdhsa_float_denorm_mode_16_64 3
		.amdhsa_dx10_clamp 1
		.amdhsa_ieee_mode 1
		.amdhsa_fp16_overflow 0
		.amdhsa_workgroup_processor_mode 1
		.amdhsa_memory_ordered 1
		.amdhsa_forward_progress 1
		.amdhsa_shared_vgpr_count 0
		.amdhsa_exception_fp_ieee_invalid_op 0
		.amdhsa_exception_fp_denorm_src 0
		.amdhsa_exception_fp_ieee_div_zero 0
		.amdhsa_exception_fp_ieee_overflow 0
		.amdhsa_exception_fp_ieee_underflow 0
		.amdhsa_exception_fp_ieee_inexact 0
		.amdhsa_exception_int_div_zero 0
	.end_amdhsa_kernel
	.section	.text._ZN7rocprim17ROCPRIM_400000_NS6detail17trampoline_kernelINS0_13select_configILj256ELj13ELNS0_17block_load_methodE3ELS4_3ELS4_3ELNS0_20block_scan_algorithmE0ELj4294967295EEENS1_25partition_config_selectorILNS1_17partition_subalgoE3EjNS0_10empty_typeEbEEZZNS1_14partition_implILS8_3ELb0ES6_jNS0_17counting_iteratorIjlEEPS9_SE_NS0_5tupleIJPjSE_EEENSF_IJSE_SE_EEES9_SG_JZNS1_25segmented_radix_sort_implINS0_14default_configELb0EPKhPhPKlPlN2at6native12_GLOBAL__N_18offset_tEEE10hipError_tPvRmT1_PNSt15iterator_traitsISY_E10value_typeET2_T3_PNSZ_IS14_E10value_typeET4_jRbjT5_S1A_jjP12ihipStream_tbEUljE_EEESV_SW_SX_S14_S18_S1A_T6_T7_T9_mT8_S1C_bDpT10_ENKUlT_T0_E_clISt17integral_constantIbLb1EES1P_EEDaS1K_S1L_EUlS1K_E_NS1_11comp_targetILNS1_3genE9ELNS1_11target_archE1100ELNS1_3gpuE3ELNS1_3repE0EEENS1_30default_config_static_selectorELNS0_4arch9wavefront6targetE0EEEvSY_,"axG",@progbits,_ZN7rocprim17ROCPRIM_400000_NS6detail17trampoline_kernelINS0_13select_configILj256ELj13ELNS0_17block_load_methodE3ELS4_3ELS4_3ELNS0_20block_scan_algorithmE0ELj4294967295EEENS1_25partition_config_selectorILNS1_17partition_subalgoE3EjNS0_10empty_typeEbEEZZNS1_14partition_implILS8_3ELb0ES6_jNS0_17counting_iteratorIjlEEPS9_SE_NS0_5tupleIJPjSE_EEENSF_IJSE_SE_EEES9_SG_JZNS1_25segmented_radix_sort_implINS0_14default_configELb0EPKhPhPKlPlN2at6native12_GLOBAL__N_18offset_tEEE10hipError_tPvRmT1_PNSt15iterator_traitsISY_E10value_typeET2_T3_PNSZ_IS14_E10value_typeET4_jRbjT5_S1A_jjP12ihipStream_tbEUljE_EEESV_SW_SX_S14_S18_S1A_T6_T7_T9_mT8_S1C_bDpT10_ENKUlT_T0_E_clISt17integral_constantIbLb1EES1P_EEDaS1K_S1L_EUlS1K_E_NS1_11comp_targetILNS1_3genE9ELNS1_11target_archE1100ELNS1_3gpuE3ELNS1_3repE0EEENS1_30default_config_static_selectorELNS0_4arch9wavefront6targetE0EEEvSY_,comdat
.Lfunc_end167:
	.size	_ZN7rocprim17ROCPRIM_400000_NS6detail17trampoline_kernelINS0_13select_configILj256ELj13ELNS0_17block_load_methodE3ELS4_3ELS4_3ELNS0_20block_scan_algorithmE0ELj4294967295EEENS1_25partition_config_selectorILNS1_17partition_subalgoE3EjNS0_10empty_typeEbEEZZNS1_14partition_implILS8_3ELb0ES6_jNS0_17counting_iteratorIjlEEPS9_SE_NS0_5tupleIJPjSE_EEENSF_IJSE_SE_EEES9_SG_JZNS1_25segmented_radix_sort_implINS0_14default_configELb0EPKhPhPKlPlN2at6native12_GLOBAL__N_18offset_tEEE10hipError_tPvRmT1_PNSt15iterator_traitsISY_E10value_typeET2_T3_PNSZ_IS14_E10value_typeET4_jRbjT5_S1A_jjP12ihipStream_tbEUljE_EEESV_SW_SX_S14_S18_S1A_T6_T7_T9_mT8_S1C_bDpT10_ENKUlT_T0_E_clISt17integral_constantIbLb1EES1P_EEDaS1K_S1L_EUlS1K_E_NS1_11comp_targetILNS1_3genE9ELNS1_11target_archE1100ELNS1_3gpuE3ELNS1_3repE0EEENS1_30default_config_static_selectorELNS0_4arch9wavefront6targetE0EEEvSY_, .Lfunc_end167-_ZN7rocprim17ROCPRIM_400000_NS6detail17trampoline_kernelINS0_13select_configILj256ELj13ELNS0_17block_load_methodE3ELS4_3ELS4_3ELNS0_20block_scan_algorithmE0ELj4294967295EEENS1_25partition_config_selectorILNS1_17partition_subalgoE3EjNS0_10empty_typeEbEEZZNS1_14partition_implILS8_3ELb0ES6_jNS0_17counting_iteratorIjlEEPS9_SE_NS0_5tupleIJPjSE_EEENSF_IJSE_SE_EEES9_SG_JZNS1_25segmented_radix_sort_implINS0_14default_configELb0EPKhPhPKlPlN2at6native12_GLOBAL__N_18offset_tEEE10hipError_tPvRmT1_PNSt15iterator_traitsISY_E10value_typeET2_T3_PNSZ_IS14_E10value_typeET4_jRbjT5_S1A_jjP12ihipStream_tbEUljE_EEESV_SW_SX_S14_S18_S1A_T6_T7_T9_mT8_S1C_bDpT10_ENKUlT_T0_E_clISt17integral_constantIbLb1EES1P_EEDaS1K_S1L_EUlS1K_E_NS1_11comp_targetILNS1_3genE9ELNS1_11target_archE1100ELNS1_3gpuE3ELNS1_3repE0EEENS1_30default_config_static_selectorELNS0_4arch9wavefront6targetE0EEEvSY_
                                        ; -- End function
	.set _ZN7rocprim17ROCPRIM_400000_NS6detail17trampoline_kernelINS0_13select_configILj256ELj13ELNS0_17block_load_methodE3ELS4_3ELS4_3ELNS0_20block_scan_algorithmE0ELj4294967295EEENS1_25partition_config_selectorILNS1_17partition_subalgoE3EjNS0_10empty_typeEbEEZZNS1_14partition_implILS8_3ELb0ES6_jNS0_17counting_iteratorIjlEEPS9_SE_NS0_5tupleIJPjSE_EEENSF_IJSE_SE_EEES9_SG_JZNS1_25segmented_radix_sort_implINS0_14default_configELb0EPKhPhPKlPlN2at6native12_GLOBAL__N_18offset_tEEE10hipError_tPvRmT1_PNSt15iterator_traitsISY_E10value_typeET2_T3_PNSZ_IS14_E10value_typeET4_jRbjT5_S1A_jjP12ihipStream_tbEUljE_EEESV_SW_SX_S14_S18_S1A_T6_T7_T9_mT8_S1C_bDpT10_ENKUlT_T0_E_clISt17integral_constantIbLb1EES1P_EEDaS1K_S1L_EUlS1K_E_NS1_11comp_targetILNS1_3genE9ELNS1_11target_archE1100ELNS1_3gpuE3ELNS1_3repE0EEENS1_30default_config_static_selectorELNS0_4arch9wavefront6targetE0EEEvSY_.num_vgpr, 0
	.set _ZN7rocprim17ROCPRIM_400000_NS6detail17trampoline_kernelINS0_13select_configILj256ELj13ELNS0_17block_load_methodE3ELS4_3ELS4_3ELNS0_20block_scan_algorithmE0ELj4294967295EEENS1_25partition_config_selectorILNS1_17partition_subalgoE3EjNS0_10empty_typeEbEEZZNS1_14partition_implILS8_3ELb0ES6_jNS0_17counting_iteratorIjlEEPS9_SE_NS0_5tupleIJPjSE_EEENSF_IJSE_SE_EEES9_SG_JZNS1_25segmented_radix_sort_implINS0_14default_configELb0EPKhPhPKlPlN2at6native12_GLOBAL__N_18offset_tEEE10hipError_tPvRmT1_PNSt15iterator_traitsISY_E10value_typeET2_T3_PNSZ_IS14_E10value_typeET4_jRbjT5_S1A_jjP12ihipStream_tbEUljE_EEESV_SW_SX_S14_S18_S1A_T6_T7_T9_mT8_S1C_bDpT10_ENKUlT_T0_E_clISt17integral_constantIbLb1EES1P_EEDaS1K_S1L_EUlS1K_E_NS1_11comp_targetILNS1_3genE9ELNS1_11target_archE1100ELNS1_3gpuE3ELNS1_3repE0EEENS1_30default_config_static_selectorELNS0_4arch9wavefront6targetE0EEEvSY_.num_agpr, 0
	.set _ZN7rocprim17ROCPRIM_400000_NS6detail17trampoline_kernelINS0_13select_configILj256ELj13ELNS0_17block_load_methodE3ELS4_3ELS4_3ELNS0_20block_scan_algorithmE0ELj4294967295EEENS1_25partition_config_selectorILNS1_17partition_subalgoE3EjNS0_10empty_typeEbEEZZNS1_14partition_implILS8_3ELb0ES6_jNS0_17counting_iteratorIjlEEPS9_SE_NS0_5tupleIJPjSE_EEENSF_IJSE_SE_EEES9_SG_JZNS1_25segmented_radix_sort_implINS0_14default_configELb0EPKhPhPKlPlN2at6native12_GLOBAL__N_18offset_tEEE10hipError_tPvRmT1_PNSt15iterator_traitsISY_E10value_typeET2_T3_PNSZ_IS14_E10value_typeET4_jRbjT5_S1A_jjP12ihipStream_tbEUljE_EEESV_SW_SX_S14_S18_S1A_T6_T7_T9_mT8_S1C_bDpT10_ENKUlT_T0_E_clISt17integral_constantIbLb1EES1P_EEDaS1K_S1L_EUlS1K_E_NS1_11comp_targetILNS1_3genE9ELNS1_11target_archE1100ELNS1_3gpuE3ELNS1_3repE0EEENS1_30default_config_static_selectorELNS0_4arch9wavefront6targetE0EEEvSY_.numbered_sgpr, 0
	.set _ZN7rocprim17ROCPRIM_400000_NS6detail17trampoline_kernelINS0_13select_configILj256ELj13ELNS0_17block_load_methodE3ELS4_3ELS4_3ELNS0_20block_scan_algorithmE0ELj4294967295EEENS1_25partition_config_selectorILNS1_17partition_subalgoE3EjNS0_10empty_typeEbEEZZNS1_14partition_implILS8_3ELb0ES6_jNS0_17counting_iteratorIjlEEPS9_SE_NS0_5tupleIJPjSE_EEENSF_IJSE_SE_EEES9_SG_JZNS1_25segmented_radix_sort_implINS0_14default_configELb0EPKhPhPKlPlN2at6native12_GLOBAL__N_18offset_tEEE10hipError_tPvRmT1_PNSt15iterator_traitsISY_E10value_typeET2_T3_PNSZ_IS14_E10value_typeET4_jRbjT5_S1A_jjP12ihipStream_tbEUljE_EEESV_SW_SX_S14_S18_S1A_T6_T7_T9_mT8_S1C_bDpT10_ENKUlT_T0_E_clISt17integral_constantIbLb1EES1P_EEDaS1K_S1L_EUlS1K_E_NS1_11comp_targetILNS1_3genE9ELNS1_11target_archE1100ELNS1_3gpuE3ELNS1_3repE0EEENS1_30default_config_static_selectorELNS0_4arch9wavefront6targetE0EEEvSY_.num_named_barrier, 0
	.set _ZN7rocprim17ROCPRIM_400000_NS6detail17trampoline_kernelINS0_13select_configILj256ELj13ELNS0_17block_load_methodE3ELS4_3ELS4_3ELNS0_20block_scan_algorithmE0ELj4294967295EEENS1_25partition_config_selectorILNS1_17partition_subalgoE3EjNS0_10empty_typeEbEEZZNS1_14partition_implILS8_3ELb0ES6_jNS0_17counting_iteratorIjlEEPS9_SE_NS0_5tupleIJPjSE_EEENSF_IJSE_SE_EEES9_SG_JZNS1_25segmented_radix_sort_implINS0_14default_configELb0EPKhPhPKlPlN2at6native12_GLOBAL__N_18offset_tEEE10hipError_tPvRmT1_PNSt15iterator_traitsISY_E10value_typeET2_T3_PNSZ_IS14_E10value_typeET4_jRbjT5_S1A_jjP12ihipStream_tbEUljE_EEESV_SW_SX_S14_S18_S1A_T6_T7_T9_mT8_S1C_bDpT10_ENKUlT_T0_E_clISt17integral_constantIbLb1EES1P_EEDaS1K_S1L_EUlS1K_E_NS1_11comp_targetILNS1_3genE9ELNS1_11target_archE1100ELNS1_3gpuE3ELNS1_3repE0EEENS1_30default_config_static_selectorELNS0_4arch9wavefront6targetE0EEEvSY_.private_seg_size, 0
	.set _ZN7rocprim17ROCPRIM_400000_NS6detail17trampoline_kernelINS0_13select_configILj256ELj13ELNS0_17block_load_methodE3ELS4_3ELS4_3ELNS0_20block_scan_algorithmE0ELj4294967295EEENS1_25partition_config_selectorILNS1_17partition_subalgoE3EjNS0_10empty_typeEbEEZZNS1_14partition_implILS8_3ELb0ES6_jNS0_17counting_iteratorIjlEEPS9_SE_NS0_5tupleIJPjSE_EEENSF_IJSE_SE_EEES9_SG_JZNS1_25segmented_radix_sort_implINS0_14default_configELb0EPKhPhPKlPlN2at6native12_GLOBAL__N_18offset_tEEE10hipError_tPvRmT1_PNSt15iterator_traitsISY_E10value_typeET2_T3_PNSZ_IS14_E10value_typeET4_jRbjT5_S1A_jjP12ihipStream_tbEUljE_EEESV_SW_SX_S14_S18_S1A_T6_T7_T9_mT8_S1C_bDpT10_ENKUlT_T0_E_clISt17integral_constantIbLb1EES1P_EEDaS1K_S1L_EUlS1K_E_NS1_11comp_targetILNS1_3genE9ELNS1_11target_archE1100ELNS1_3gpuE3ELNS1_3repE0EEENS1_30default_config_static_selectorELNS0_4arch9wavefront6targetE0EEEvSY_.uses_vcc, 0
	.set _ZN7rocprim17ROCPRIM_400000_NS6detail17trampoline_kernelINS0_13select_configILj256ELj13ELNS0_17block_load_methodE3ELS4_3ELS4_3ELNS0_20block_scan_algorithmE0ELj4294967295EEENS1_25partition_config_selectorILNS1_17partition_subalgoE3EjNS0_10empty_typeEbEEZZNS1_14partition_implILS8_3ELb0ES6_jNS0_17counting_iteratorIjlEEPS9_SE_NS0_5tupleIJPjSE_EEENSF_IJSE_SE_EEES9_SG_JZNS1_25segmented_radix_sort_implINS0_14default_configELb0EPKhPhPKlPlN2at6native12_GLOBAL__N_18offset_tEEE10hipError_tPvRmT1_PNSt15iterator_traitsISY_E10value_typeET2_T3_PNSZ_IS14_E10value_typeET4_jRbjT5_S1A_jjP12ihipStream_tbEUljE_EEESV_SW_SX_S14_S18_S1A_T6_T7_T9_mT8_S1C_bDpT10_ENKUlT_T0_E_clISt17integral_constantIbLb1EES1P_EEDaS1K_S1L_EUlS1K_E_NS1_11comp_targetILNS1_3genE9ELNS1_11target_archE1100ELNS1_3gpuE3ELNS1_3repE0EEENS1_30default_config_static_selectorELNS0_4arch9wavefront6targetE0EEEvSY_.uses_flat_scratch, 0
	.set _ZN7rocprim17ROCPRIM_400000_NS6detail17trampoline_kernelINS0_13select_configILj256ELj13ELNS0_17block_load_methodE3ELS4_3ELS4_3ELNS0_20block_scan_algorithmE0ELj4294967295EEENS1_25partition_config_selectorILNS1_17partition_subalgoE3EjNS0_10empty_typeEbEEZZNS1_14partition_implILS8_3ELb0ES6_jNS0_17counting_iteratorIjlEEPS9_SE_NS0_5tupleIJPjSE_EEENSF_IJSE_SE_EEES9_SG_JZNS1_25segmented_radix_sort_implINS0_14default_configELb0EPKhPhPKlPlN2at6native12_GLOBAL__N_18offset_tEEE10hipError_tPvRmT1_PNSt15iterator_traitsISY_E10value_typeET2_T3_PNSZ_IS14_E10value_typeET4_jRbjT5_S1A_jjP12ihipStream_tbEUljE_EEESV_SW_SX_S14_S18_S1A_T6_T7_T9_mT8_S1C_bDpT10_ENKUlT_T0_E_clISt17integral_constantIbLb1EES1P_EEDaS1K_S1L_EUlS1K_E_NS1_11comp_targetILNS1_3genE9ELNS1_11target_archE1100ELNS1_3gpuE3ELNS1_3repE0EEENS1_30default_config_static_selectorELNS0_4arch9wavefront6targetE0EEEvSY_.has_dyn_sized_stack, 0
	.set _ZN7rocprim17ROCPRIM_400000_NS6detail17trampoline_kernelINS0_13select_configILj256ELj13ELNS0_17block_load_methodE3ELS4_3ELS4_3ELNS0_20block_scan_algorithmE0ELj4294967295EEENS1_25partition_config_selectorILNS1_17partition_subalgoE3EjNS0_10empty_typeEbEEZZNS1_14partition_implILS8_3ELb0ES6_jNS0_17counting_iteratorIjlEEPS9_SE_NS0_5tupleIJPjSE_EEENSF_IJSE_SE_EEES9_SG_JZNS1_25segmented_radix_sort_implINS0_14default_configELb0EPKhPhPKlPlN2at6native12_GLOBAL__N_18offset_tEEE10hipError_tPvRmT1_PNSt15iterator_traitsISY_E10value_typeET2_T3_PNSZ_IS14_E10value_typeET4_jRbjT5_S1A_jjP12ihipStream_tbEUljE_EEESV_SW_SX_S14_S18_S1A_T6_T7_T9_mT8_S1C_bDpT10_ENKUlT_T0_E_clISt17integral_constantIbLb1EES1P_EEDaS1K_S1L_EUlS1K_E_NS1_11comp_targetILNS1_3genE9ELNS1_11target_archE1100ELNS1_3gpuE3ELNS1_3repE0EEENS1_30default_config_static_selectorELNS0_4arch9wavefront6targetE0EEEvSY_.has_recursion, 0
	.set _ZN7rocprim17ROCPRIM_400000_NS6detail17trampoline_kernelINS0_13select_configILj256ELj13ELNS0_17block_load_methodE3ELS4_3ELS4_3ELNS0_20block_scan_algorithmE0ELj4294967295EEENS1_25partition_config_selectorILNS1_17partition_subalgoE3EjNS0_10empty_typeEbEEZZNS1_14partition_implILS8_3ELb0ES6_jNS0_17counting_iteratorIjlEEPS9_SE_NS0_5tupleIJPjSE_EEENSF_IJSE_SE_EEES9_SG_JZNS1_25segmented_radix_sort_implINS0_14default_configELb0EPKhPhPKlPlN2at6native12_GLOBAL__N_18offset_tEEE10hipError_tPvRmT1_PNSt15iterator_traitsISY_E10value_typeET2_T3_PNSZ_IS14_E10value_typeET4_jRbjT5_S1A_jjP12ihipStream_tbEUljE_EEESV_SW_SX_S14_S18_S1A_T6_T7_T9_mT8_S1C_bDpT10_ENKUlT_T0_E_clISt17integral_constantIbLb1EES1P_EEDaS1K_S1L_EUlS1K_E_NS1_11comp_targetILNS1_3genE9ELNS1_11target_archE1100ELNS1_3gpuE3ELNS1_3repE0EEENS1_30default_config_static_selectorELNS0_4arch9wavefront6targetE0EEEvSY_.has_indirect_call, 0
	.section	.AMDGPU.csdata,"",@progbits
; Kernel info:
; codeLenInByte = 0
; TotalNumSgprs: 0
; NumVgprs: 0
; ScratchSize: 0
; MemoryBound: 0
; FloatMode: 240
; IeeeMode: 1
; LDSByteSize: 0 bytes/workgroup (compile time only)
; SGPRBlocks: 0
; VGPRBlocks: 0
; NumSGPRsForWavesPerEU: 1
; NumVGPRsForWavesPerEU: 1
; Occupancy: 16
; WaveLimiterHint : 0
; COMPUTE_PGM_RSRC2:SCRATCH_EN: 0
; COMPUTE_PGM_RSRC2:USER_SGPR: 6
; COMPUTE_PGM_RSRC2:TRAP_HANDLER: 0
; COMPUTE_PGM_RSRC2:TGID_X_EN: 1
; COMPUTE_PGM_RSRC2:TGID_Y_EN: 0
; COMPUTE_PGM_RSRC2:TGID_Z_EN: 0
; COMPUTE_PGM_RSRC2:TIDIG_COMP_CNT: 0
	.section	.text._ZN7rocprim17ROCPRIM_400000_NS6detail17trampoline_kernelINS0_13select_configILj256ELj13ELNS0_17block_load_methodE3ELS4_3ELS4_3ELNS0_20block_scan_algorithmE0ELj4294967295EEENS1_25partition_config_selectorILNS1_17partition_subalgoE3EjNS0_10empty_typeEbEEZZNS1_14partition_implILS8_3ELb0ES6_jNS0_17counting_iteratorIjlEEPS9_SE_NS0_5tupleIJPjSE_EEENSF_IJSE_SE_EEES9_SG_JZNS1_25segmented_radix_sort_implINS0_14default_configELb0EPKhPhPKlPlN2at6native12_GLOBAL__N_18offset_tEEE10hipError_tPvRmT1_PNSt15iterator_traitsISY_E10value_typeET2_T3_PNSZ_IS14_E10value_typeET4_jRbjT5_S1A_jjP12ihipStream_tbEUljE_EEESV_SW_SX_S14_S18_S1A_T6_T7_T9_mT8_S1C_bDpT10_ENKUlT_T0_E_clISt17integral_constantIbLb1EES1P_EEDaS1K_S1L_EUlS1K_E_NS1_11comp_targetILNS1_3genE8ELNS1_11target_archE1030ELNS1_3gpuE2ELNS1_3repE0EEENS1_30default_config_static_selectorELNS0_4arch9wavefront6targetE0EEEvSY_,"axG",@progbits,_ZN7rocprim17ROCPRIM_400000_NS6detail17trampoline_kernelINS0_13select_configILj256ELj13ELNS0_17block_load_methodE3ELS4_3ELS4_3ELNS0_20block_scan_algorithmE0ELj4294967295EEENS1_25partition_config_selectorILNS1_17partition_subalgoE3EjNS0_10empty_typeEbEEZZNS1_14partition_implILS8_3ELb0ES6_jNS0_17counting_iteratorIjlEEPS9_SE_NS0_5tupleIJPjSE_EEENSF_IJSE_SE_EEES9_SG_JZNS1_25segmented_radix_sort_implINS0_14default_configELb0EPKhPhPKlPlN2at6native12_GLOBAL__N_18offset_tEEE10hipError_tPvRmT1_PNSt15iterator_traitsISY_E10value_typeET2_T3_PNSZ_IS14_E10value_typeET4_jRbjT5_S1A_jjP12ihipStream_tbEUljE_EEESV_SW_SX_S14_S18_S1A_T6_T7_T9_mT8_S1C_bDpT10_ENKUlT_T0_E_clISt17integral_constantIbLb1EES1P_EEDaS1K_S1L_EUlS1K_E_NS1_11comp_targetILNS1_3genE8ELNS1_11target_archE1030ELNS1_3gpuE2ELNS1_3repE0EEENS1_30default_config_static_selectorELNS0_4arch9wavefront6targetE0EEEvSY_,comdat
	.globl	_ZN7rocprim17ROCPRIM_400000_NS6detail17trampoline_kernelINS0_13select_configILj256ELj13ELNS0_17block_load_methodE3ELS4_3ELS4_3ELNS0_20block_scan_algorithmE0ELj4294967295EEENS1_25partition_config_selectorILNS1_17partition_subalgoE3EjNS0_10empty_typeEbEEZZNS1_14partition_implILS8_3ELb0ES6_jNS0_17counting_iteratorIjlEEPS9_SE_NS0_5tupleIJPjSE_EEENSF_IJSE_SE_EEES9_SG_JZNS1_25segmented_radix_sort_implINS0_14default_configELb0EPKhPhPKlPlN2at6native12_GLOBAL__N_18offset_tEEE10hipError_tPvRmT1_PNSt15iterator_traitsISY_E10value_typeET2_T3_PNSZ_IS14_E10value_typeET4_jRbjT5_S1A_jjP12ihipStream_tbEUljE_EEESV_SW_SX_S14_S18_S1A_T6_T7_T9_mT8_S1C_bDpT10_ENKUlT_T0_E_clISt17integral_constantIbLb1EES1P_EEDaS1K_S1L_EUlS1K_E_NS1_11comp_targetILNS1_3genE8ELNS1_11target_archE1030ELNS1_3gpuE2ELNS1_3repE0EEENS1_30default_config_static_selectorELNS0_4arch9wavefront6targetE0EEEvSY_ ; -- Begin function _ZN7rocprim17ROCPRIM_400000_NS6detail17trampoline_kernelINS0_13select_configILj256ELj13ELNS0_17block_load_methodE3ELS4_3ELS4_3ELNS0_20block_scan_algorithmE0ELj4294967295EEENS1_25partition_config_selectorILNS1_17partition_subalgoE3EjNS0_10empty_typeEbEEZZNS1_14partition_implILS8_3ELb0ES6_jNS0_17counting_iteratorIjlEEPS9_SE_NS0_5tupleIJPjSE_EEENSF_IJSE_SE_EEES9_SG_JZNS1_25segmented_radix_sort_implINS0_14default_configELb0EPKhPhPKlPlN2at6native12_GLOBAL__N_18offset_tEEE10hipError_tPvRmT1_PNSt15iterator_traitsISY_E10value_typeET2_T3_PNSZ_IS14_E10value_typeET4_jRbjT5_S1A_jjP12ihipStream_tbEUljE_EEESV_SW_SX_S14_S18_S1A_T6_T7_T9_mT8_S1C_bDpT10_ENKUlT_T0_E_clISt17integral_constantIbLb1EES1P_EEDaS1K_S1L_EUlS1K_E_NS1_11comp_targetILNS1_3genE8ELNS1_11target_archE1030ELNS1_3gpuE2ELNS1_3repE0EEENS1_30default_config_static_selectorELNS0_4arch9wavefront6targetE0EEEvSY_
	.p2align	8
	.type	_ZN7rocprim17ROCPRIM_400000_NS6detail17trampoline_kernelINS0_13select_configILj256ELj13ELNS0_17block_load_methodE3ELS4_3ELS4_3ELNS0_20block_scan_algorithmE0ELj4294967295EEENS1_25partition_config_selectorILNS1_17partition_subalgoE3EjNS0_10empty_typeEbEEZZNS1_14partition_implILS8_3ELb0ES6_jNS0_17counting_iteratorIjlEEPS9_SE_NS0_5tupleIJPjSE_EEENSF_IJSE_SE_EEES9_SG_JZNS1_25segmented_radix_sort_implINS0_14default_configELb0EPKhPhPKlPlN2at6native12_GLOBAL__N_18offset_tEEE10hipError_tPvRmT1_PNSt15iterator_traitsISY_E10value_typeET2_T3_PNSZ_IS14_E10value_typeET4_jRbjT5_S1A_jjP12ihipStream_tbEUljE_EEESV_SW_SX_S14_S18_S1A_T6_T7_T9_mT8_S1C_bDpT10_ENKUlT_T0_E_clISt17integral_constantIbLb1EES1P_EEDaS1K_S1L_EUlS1K_E_NS1_11comp_targetILNS1_3genE8ELNS1_11target_archE1030ELNS1_3gpuE2ELNS1_3repE0EEENS1_30default_config_static_selectorELNS0_4arch9wavefront6targetE0EEEvSY_,@function
_ZN7rocprim17ROCPRIM_400000_NS6detail17trampoline_kernelINS0_13select_configILj256ELj13ELNS0_17block_load_methodE3ELS4_3ELS4_3ELNS0_20block_scan_algorithmE0ELj4294967295EEENS1_25partition_config_selectorILNS1_17partition_subalgoE3EjNS0_10empty_typeEbEEZZNS1_14partition_implILS8_3ELb0ES6_jNS0_17counting_iteratorIjlEEPS9_SE_NS0_5tupleIJPjSE_EEENSF_IJSE_SE_EEES9_SG_JZNS1_25segmented_radix_sort_implINS0_14default_configELb0EPKhPhPKlPlN2at6native12_GLOBAL__N_18offset_tEEE10hipError_tPvRmT1_PNSt15iterator_traitsISY_E10value_typeET2_T3_PNSZ_IS14_E10value_typeET4_jRbjT5_S1A_jjP12ihipStream_tbEUljE_EEESV_SW_SX_S14_S18_S1A_T6_T7_T9_mT8_S1C_bDpT10_ENKUlT_T0_E_clISt17integral_constantIbLb1EES1P_EEDaS1K_S1L_EUlS1K_E_NS1_11comp_targetILNS1_3genE8ELNS1_11target_archE1030ELNS1_3gpuE2ELNS1_3repE0EEENS1_30default_config_static_selectorELNS0_4arch9wavefront6targetE0EEEvSY_: ; @_ZN7rocprim17ROCPRIM_400000_NS6detail17trampoline_kernelINS0_13select_configILj256ELj13ELNS0_17block_load_methodE3ELS4_3ELS4_3ELNS0_20block_scan_algorithmE0ELj4294967295EEENS1_25partition_config_selectorILNS1_17partition_subalgoE3EjNS0_10empty_typeEbEEZZNS1_14partition_implILS8_3ELb0ES6_jNS0_17counting_iteratorIjlEEPS9_SE_NS0_5tupleIJPjSE_EEENSF_IJSE_SE_EEES9_SG_JZNS1_25segmented_radix_sort_implINS0_14default_configELb0EPKhPhPKlPlN2at6native12_GLOBAL__N_18offset_tEEE10hipError_tPvRmT1_PNSt15iterator_traitsISY_E10value_typeET2_T3_PNSZ_IS14_E10value_typeET4_jRbjT5_S1A_jjP12ihipStream_tbEUljE_EEESV_SW_SX_S14_S18_S1A_T6_T7_T9_mT8_S1C_bDpT10_ENKUlT_T0_E_clISt17integral_constantIbLb1EES1P_EEDaS1K_S1L_EUlS1K_E_NS1_11comp_targetILNS1_3genE8ELNS1_11target_archE1030ELNS1_3gpuE2ELNS1_3repE0EEENS1_30default_config_static_selectorELNS0_4arch9wavefront6targetE0EEEvSY_
; %bb.0:
	s_endpgm
	.section	.rodata,"a",@progbits
	.p2align	6, 0x0
	.amdhsa_kernel _ZN7rocprim17ROCPRIM_400000_NS6detail17trampoline_kernelINS0_13select_configILj256ELj13ELNS0_17block_load_methodE3ELS4_3ELS4_3ELNS0_20block_scan_algorithmE0ELj4294967295EEENS1_25partition_config_selectorILNS1_17partition_subalgoE3EjNS0_10empty_typeEbEEZZNS1_14partition_implILS8_3ELb0ES6_jNS0_17counting_iteratorIjlEEPS9_SE_NS0_5tupleIJPjSE_EEENSF_IJSE_SE_EEES9_SG_JZNS1_25segmented_radix_sort_implINS0_14default_configELb0EPKhPhPKlPlN2at6native12_GLOBAL__N_18offset_tEEE10hipError_tPvRmT1_PNSt15iterator_traitsISY_E10value_typeET2_T3_PNSZ_IS14_E10value_typeET4_jRbjT5_S1A_jjP12ihipStream_tbEUljE_EEESV_SW_SX_S14_S18_S1A_T6_T7_T9_mT8_S1C_bDpT10_ENKUlT_T0_E_clISt17integral_constantIbLb1EES1P_EEDaS1K_S1L_EUlS1K_E_NS1_11comp_targetILNS1_3genE8ELNS1_11target_archE1030ELNS1_3gpuE2ELNS1_3repE0EEENS1_30default_config_static_selectorELNS0_4arch9wavefront6targetE0EEEvSY_
		.amdhsa_group_segment_fixed_size 0
		.amdhsa_private_segment_fixed_size 0
		.amdhsa_kernarg_size 152
		.amdhsa_user_sgpr_count 6
		.amdhsa_user_sgpr_private_segment_buffer 1
		.amdhsa_user_sgpr_dispatch_ptr 0
		.amdhsa_user_sgpr_queue_ptr 0
		.amdhsa_user_sgpr_kernarg_segment_ptr 1
		.amdhsa_user_sgpr_dispatch_id 0
		.amdhsa_user_sgpr_flat_scratch_init 0
		.amdhsa_user_sgpr_private_segment_size 0
		.amdhsa_wavefront_size32 1
		.amdhsa_uses_dynamic_stack 0
		.amdhsa_system_sgpr_private_segment_wavefront_offset 0
		.amdhsa_system_sgpr_workgroup_id_x 1
		.amdhsa_system_sgpr_workgroup_id_y 0
		.amdhsa_system_sgpr_workgroup_id_z 0
		.amdhsa_system_sgpr_workgroup_info 0
		.amdhsa_system_vgpr_workitem_id 0
		.amdhsa_next_free_vgpr 1
		.amdhsa_next_free_sgpr 1
		.amdhsa_reserve_vcc 0
		.amdhsa_reserve_flat_scratch 0
		.amdhsa_float_round_mode_32 0
		.amdhsa_float_round_mode_16_64 0
		.amdhsa_float_denorm_mode_32 3
		.amdhsa_float_denorm_mode_16_64 3
		.amdhsa_dx10_clamp 1
		.amdhsa_ieee_mode 1
		.amdhsa_fp16_overflow 0
		.amdhsa_workgroup_processor_mode 1
		.amdhsa_memory_ordered 1
		.amdhsa_forward_progress 1
		.amdhsa_shared_vgpr_count 0
		.amdhsa_exception_fp_ieee_invalid_op 0
		.amdhsa_exception_fp_denorm_src 0
		.amdhsa_exception_fp_ieee_div_zero 0
		.amdhsa_exception_fp_ieee_overflow 0
		.amdhsa_exception_fp_ieee_underflow 0
		.amdhsa_exception_fp_ieee_inexact 0
		.amdhsa_exception_int_div_zero 0
	.end_amdhsa_kernel
	.section	.text._ZN7rocprim17ROCPRIM_400000_NS6detail17trampoline_kernelINS0_13select_configILj256ELj13ELNS0_17block_load_methodE3ELS4_3ELS4_3ELNS0_20block_scan_algorithmE0ELj4294967295EEENS1_25partition_config_selectorILNS1_17partition_subalgoE3EjNS0_10empty_typeEbEEZZNS1_14partition_implILS8_3ELb0ES6_jNS0_17counting_iteratorIjlEEPS9_SE_NS0_5tupleIJPjSE_EEENSF_IJSE_SE_EEES9_SG_JZNS1_25segmented_radix_sort_implINS0_14default_configELb0EPKhPhPKlPlN2at6native12_GLOBAL__N_18offset_tEEE10hipError_tPvRmT1_PNSt15iterator_traitsISY_E10value_typeET2_T3_PNSZ_IS14_E10value_typeET4_jRbjT5_S1A_jjP12ihipStream_tbEUljE_EEESV_SW_SX_S14_S18_S1A_T6_T7_T9_mT8_S1C_bDpT10_ENKUlT_T0_E_clISt17integral_constantIbLb1EES1P_EEDaS1K_S1L_EUlS1K_E_NS1_11comp_targetILNS1_3genE8ELNS1_11target_archE1030ELNS1_3gpuE2ELNS1_3repE0EEENS1_30default_config_static_selectorELNS0_4arch9wavefront6targetE0EEEvSY_,"axG",@progbits,_ZN7rocprim17ROCPRIM_400000_NS6detail17trampoline_kernelINS0_13select_configILj256ELj13ELNS0_17block_load_methodE3ELS4_3ELS4_3ELNS0_20block_scan_algorithmE0ELj4294967295EEENS1_25partition_config_selectorILNS1_17partition_subalgoE3EjNS0_10empty_typeEbEEZZNS1_14partition_implILS8_3ELb0ES6_jNS0_17counting_iteratorIjlEEPS9_SE_NS0_5tupleIJPjSE_EEENSF_IJSE_SE_EEES9_SG_JZNS1_25segmented_radix_sort_implINS0_14default_configELb0EPKhPhPKlPlN2at6native12_GLOBAL__N_18offset_tEEE10hipError_tPvRmT1_PNSt15iterator_traitsISY_E10value_typeET2_T3_PNSZ_IS14_E10value_typeET4_jRbjT5_S1A_jjP12ihipStream_tbEUljE_EEESV_SW_SX_S14_S18_S1A_T6_T7_T9_mT8_S1C_bDpT10_ENKUlT_T0_E_clISt17integral_constantIbLb1EES1P_EEDaS1K_S1L_EUlS1K_E_NS1_11comp_targetILNS1_3genE8ELNS1_11target_archE1030ELNS1_3gpuE2ELNS1_3repE0EEENS1_30default_config_static_selectorELNS0_4arch9wavefront6targetE0EEEvSY_,comdat
.Lfunc_end168:
	.size	_ZN7rocprim17ROCPRIM_400000_NS6detail17trampoline_kernelINS0_13select_configILj256ELj13ELNS0_17block_load_methodE3ELS4_3ELS4_3ELNS0_20block_scan_algorithmE0ELj4294967295EEENS1_25partition_config_selectorILNS1_17partition_subalgoE3EjNS0_10empty_typeEbEEZZNS1_14partition_implILS8_3ELb0ES6_jNS0_17counting_iteratorIjlEEPS9_SE_NS0_5tupleIJPjSE_EEENSF_IJSE_SE_EEES9_SG_JZNS1_25segmented_radix_sort_implINS0_14default_configELb0EPKhPhPKlPlN2at6native12_GLOBAL__N_18offset_tEEE10hipError_tPvRmT1_PNSt15iterator_traitsISY_E10value_typeET2_T3_PNSZ_IS14_E10value_typeET4_jRbjT5_S1A_jjP12ihipStream_tbEUljE_EEESV_SW_SX_S14_S18_S1A_T6_T7_T9_mT8_S1C_bDpT10_ENKUlT_T0_E_clISt17integral_constantIbLb1EES1P_EEDaS1K_S1L_EUlS1K_E_NS1_11comp_targetILNS1_3genE8ELNS1_11target_archE1030ELNS1_3gpuE2ELNS1_3repE0EEENS1_30default_config_static_selectorELNS0_4arch9wavefront6targetE0EEEvSY_, .Lfunc_end168-_ZN7rocprim17ROCPRIM_400000_NS6detail17trampoline_kernelINS0_13select_configILj256ELj13ELNS0_17block_load_methodE3ELS4_3ELS4_3ELNS0_20block_scan_algorithmE0ELj4294967295EEENS1_25partition_config_selectorILNS1_17partition_subalgoE3EjNS0_10empty_typeEbEEZZNS1_14partition_implILS8_3ELb0ES6_jNS0_17counting_iteratorIjlEEPS9_SE_NS0_5tupleIJPjSE_EEENSF_IJSE_SE_EEES9_SG_JZNS1_25segmented_radix_sort_implINS0_14default_configELb0EPKhPhPKlPlN2at6native12_GLOBAL__N_18offset_tEEE10hipError_tPvRmT1_PNSt15iterator_traitsISY_E10value_typeET2_T3_PNSZ_IS14_E10value_typeET4_jRbjT5_S1A_jjP12ihipStream_tbEUljE_EEESV_SW_SX_S14_S18_S1A_T6_T7_T9_mT8_S1C_bDpT10_ENKUlT_T0_E_clISt17integral_constantIbLb1EES1P_EEDaS1K_S1L_EUlS1K_E_NS1_11comp_targetILNS1_3genE8ELNS1_11target_archE1030ELNS1_3gpuE2ELNS1_3repE0EEENS1_30default_config_static_selectorELNS0_4arch9wavefront6targetE0EEEvSY_
                                        ; -- End function
	.set _ZN7rocprim17ROCPRIM_400000_NS6detail17trampoline_kernelINS0_13select_configILj256ELj13ELNS0_17block_load_methodE3ELS4_3ELS4_3ELNS0_20block_scan_algorithmE0ELj4294967295EEENS1_25partition_config_selectorILNS1_17partition_subalgoE3EjNS0_10empty_typeEbEEZZNS1_14partition_implILS8_3ELb0ES6_jNS0_17counting_iteratorIjlEEPS9_SE_NS0_5tupleIJPjSE_EEENSF_IJSE_SE_EEES9_SG_JZNS1_25segmented_radix_sort_implINS0_14default_configELb0EPKhPhPKlPlN2at6native12_GLOBAL__N_18offset_tEEE10hipError_tPvRmT1_PNSt15iterator_traitsISY_E10value_typeET2_T3_PNSZ_IS14_E10value_typeET4_jRbjT5_S1A_jjP12ihipStream_tbEUljE_EEESV_SW_SX_S14_S18_S1A_T6_T7_T9_mT8_S1C_bDpT10_ENKUlT_T0_E_clISt17integral_constantIbLb1EES1P_EEDaS1K_S1L_EUlS1K_E_NS1_11comp_targetILNS1_3genE8ELNS1_11target_archE1030ELNS1_3gpuE2ELNS1_3repE0EEENS1_30default_config_static_selectorELNS0_4arch9wavefront6targetE0EEEvSY_.num_vgpr, 0
	.set _ZN7rocprim17ROCPRIM_400000_NS6detail17trampoline_kernelINS0_13select_configILj256ELj13ELNS0_17block_load_methodE3ELS4_3ELS4_3ELNS0_20block_scan_algorithmE0ELj4294967295EEENS1_25partition_config_selectorILNS1_17partition_subalgoE3EjNS0_10empty_typeEbEEZZNS1_14partition_implILS8_3ELb0ES6_jNS0_17counting_iteratorIjlEEPS9_SE_NS0_5tupleIJPjSE_EEENSF_IJSE_SE_EEES9_SG_JZNS1_25segmented_radix_sort_implINS0_14default_configELb0EPKhPhPKlPlN2at6native12_GLOBAL__N_18offset_tEEE10hipError_tPvRmT1_PNSt15iterator_traitsISY_E10value_typeET2_T3_PNSZ_IS14_E10value_typeET4_jRbjT5_S1A_jjP12ihipStream_tbEUljE_EEESV_SW_SX_S14_S18_S1A_T6_T7_T9_mT8_S1C_bDpT10_ENKUlT_T0_E_clISt17integral_constantIbLb1EES1P_EEDaS1K_S1L_EUlS1K_E_NS1_11comp_targetILNS1_3genE8ELNS1_11target_archE1030ELNS1_3gpuE2ELNS1_3repE0EEENS1_30default_config_static_selectorELNS0_4arch9wavefront6targetE0EEEvSY_.num_agpr, 0
	.set _ZN7rocprim17ROCPRIM_400000_NS6detail17trampoline_kernelINS0_13select_configILj256ELj13ELNS0_17block_load_methodE3ELS4_3ELS4_3ELNS0_20block_scan_algorithmE0ELj4294967295EEENS1_25partition_config_selectorILNS1_17partition_subalgoE3EjNS0_10empty_typeEbEEZZNS1_14partition_implILS8_3ELb0ES6_jNS0_17counting_iteratorIjlEEPS9_SE_NS0_5tupleIJPjSE_EEENSF_IJSE_SE_EEES9_SG_JZNS1_25segmented_radix_sort_implINS0_14default_configELb0EPKhPhPKlPlN2at6native12_GLOBAL__N_18offset_tEEE10hipError_tPvRmT1_PNSt15iterator_traitsISY_E10value_typeET2_T3_PNSZ_IS14_E10value_typeET4_jRbjT5_S1A_jjP12ihipStream_tbEUljE_EEESV_SW_SX_S14_S18_S1A_T6_T7_T9_mT8_S1C_bDpT10_ENKUlT_T0_E_clISt17integral_constantIbLb1EES1P_EEDaS1K_S1L_EUlS1K_E_NS1_11comp_targetILNS1_3genE8ELNS1_11target_archE1030ELNS1_3gpuE2ELNS1_3repE0EEENS1_30default_config_static_selectorELNS0_4arch9wavefront6targetE0EEEvSY_.numbered_sgpr, 0
	.set _ZN7rocprim17ROCPRIM_400000_NS6detail17trampoline_kernelINS0_13select_configILj256ELj13ELNS0_17block_load_methodE3ELS4_3ELS4_3ELNS0_20block_scan_algorithmE0ELj4294967295EEENS1_25partition_config_selectorILNS1_17partition_subalgoE3EjNS0_10empty_typeEbEEZZNS1_14partition_implILS8_3ELb0ES6_jNS0_17counting_iteratorIjlEEPS9_SE_NS0_5tupleIJPjSE_EEENSF_IJSE_SE_EEES9_SG_JZNS1_25segmented_radix_sort_implINS0_14default_configELb0EPKhPhPKlPlN2at6native12_GLOBAL__N_18offset_tEEE10hipError_tPvRmT1_PNSt15iterator_traitsISY_E10value_typeET2_T3_PNSZ_IS14_E10value_typeET4_jRbjT5_S1A_jjP12ihipStream_tbEUljE_EEESV_SW_SX_S14_S18_S1A_T6_T7_T9_mT8_S1C_bDpT10_ENKUlT_T0_E_clISt17integral_constantIbLb1EES1P_EEDaS1K_S1L_EUlS1K_E_NS1_11comp_targetILNS1_3genE8ELNS1_11target_archE1030ELNS1_3gpuE2ELNS1_3repE0EEENS1_30default_config_static_selectorELNS0_4arch9wavefront6targetE0EEEvSY_.num_named_barrier, 0
	.set _ZN7rocprim17ROCPRIM_400000_NS6detail17trampoline_kernelINS0_13select_configILj256ELj13ELNS0_17block_load_methodE3ELS4_3ELS4_3ELNS0_20block_scan_algorithmE0ELj4294967295EEENS1_25partition_config_selectorILNS1_17partition_subalgoE3EjNS0_10empty_typeEbEEZZNS1_14partition_implILS8_3ELb0ES6_jNS0_17counting_iteratorIjlEEPS9_SE_NS0_5tupleIJPjSE_EEENSF_IJSE_SE_EEES9_SG_JZNS1_25segmented_radix_sort_implINS0_14default_configELb0EPKhPhPKlPlN2at6native12_GLOBAL__N_18offset_tEEE10hipError_tPvRmT1_PNSt15iterator_traitsISY_E10value_typeET2_T3_PNSZ_IS14_E10value_typeET4_jRbjT5_S1A_jjP12ihipStream_tbEUljE_EEESV_SW_SX_S14_S18_S1A_T6_T7_T9_mT8_S1C_bDpT10_ENKUlT_T0_E_clISt17integral_constantIbLb1EES1P_EEDaS1K_S1L_EUlS1K_E_NS1_11comp_targetILNS1_3genE8ELNS1_11target_archE1030ELNS1_3gpuE2ELNS1_3repE0EEENS1_30default_config_static_selectorELNS0_4arch9wavefront6targetE0EEEvSY_.private_seg_size, 0
	.set _ZN7rocprim17ROCPRIM_400000_NS6detail17trampoline_kernelINS0_13select_configILj256ELj13ELNS0_17block_load_methodE3ELS4_3ELS4_3ELNS0_20block_scan_algorithmE0ELj4294967295EEENS1_25partition_config_selectorILNS1_17partition_subalgoE3EjNS0_10empty_typeEbEEZZNS1_14partition_implILS8_3ELb0ES6_jNS0_17counting_iteratorIjlEEPS9_SE_NS0_5tupleIJPjSE_EEENSF_IJSE_SE_EEES9_SG_JZNS1_25segmented_radix_sort_implINS0_14default_configELb0EPKhPhPKlPlN2at6native12_GLOBAL__N_18offset_tEEE10hipError_tPvRmT1_PNSt15iterator_traitsISY_E10value_typeET2_T3_PNSZ_IS14_E10value_typeET4_jRbjT5_S1A_jjP12ihipStream_tbEUljE_EEESV_SW_SX_S14_S18_S1A_T6_T7_T9_mT8_S1C_bDpT10_ENKUlT_T0_E_clISt17integral_constantIbLb1EES1P_EEDaS1K_S1L_EUlS1K_E_NS1_11comp_targetILNS1_3genE8ELNS1_11target_archE1030ELNS1_3gpuE2ELNS1_3repE0EEENS1_30default_config_static_selectorELNS0_4arch9wavefront6targetE0EEEvSY_.uses_vcc, 0
	.set _ZN7rocprim17ROCPRIM_400000_NS6detail17trampoline_kernelINS0_13select_configILj256ELj13ELNS0_17block_load_methodE3ELS4_3ELS4_3ELNS0_20block_scan_algorithmE0ELj4294967295EEENS1_25partition_config_selectorILNS1_17partition_subalgoE3EjNS0_10empty_typeEbEEZZNS1_14partition_implILS8_3ELb0ES6_jNS0_17counting_iteratorIjlEEPS9_SE_NS0_5tupleIJPjSE_EEENSF_IJSE_SE_EEES9_SG_JZNS1_25segmented_radix_sort_implINS0_14default_configELb0EPKhPhPKlPlN2at6native12_GLOBAL__N_18offset_tEEE10hipError_tPvRmT1_PNSt15iterator_traitsISY_E10value_typeET2_T3_PNSZ_IS14_E10value_typeET4_jRbjT5_S1A_jjP12ihipStream_tbEUljE_EEESV_SW_SX_S14_S18_S1A_T6_T7_T9_mT8_S1C_bDpT10_ENKUlT_T0_E_clISt17integral_constantIbLb1EES1P_EEDaS1K_S1L_EUlS1K_E_NS1_11comp_targetILNS1_3genE8ELNS1_11target_archE1030ELNS1_3gpuE2ELNS1_3repE0EEENS1_30default_config_static_selectorELNS0_4arch9wavefront6targetE0EEEvSY_.uses_flat_scratch, 0
	.set _ZN7rocprim17ROCPRIM_400000_NS6detail17trampoline_kernelINS0_13select_configILj256ELj13ELNS0_17block_load_methodE3ELS4_3ELS4_3ELNS0_20block_scan_algorithmE0ELj4294967295EEENS1_25partition_config_selectorILNS1_17partition_subalgoE3EjNS0_10empty_typeEbEEZZNS1_14partition_implILS8_3ELb0ES6_jNS0_17counting_iteratorIjlEEPS9_SE_NS0_5tupleIJPjSE_EEENSF_IJSE_SE_EEES9_SG_JZNS1_25segmented_radix_sort_implINS0_14default_configELb0EPKhPhPKlPlN2at6native12_GLOBAL__N_18offset_tEEE10hipError_tPvRmT1_PNSt15iterator_traitsISY_E10value_typeET2_T3_PNSZ_IS14_E10value_typeET4_jRbjT5_S1A_jjP12ihipStream_tbEUljE_EEESV_SW_SX_S14_S18_S1A_T6_T7_T9_mT8_S1C_bDpT10_ENKUlT_T0_E_clISt17integral_constantIbLb1EES1P_EEDaS1K_S1L_EUlS1K_E_NS1_11comp_targetILNS1_3genE8ELNS1_11target_archE1030ELNS1_3gpuE2ELNS1_3repE0EEENS1_30default_config_static_selectorELNS0_4arch9wavefront6targetE0EEEvSY_.has_dyn_sized_stack, 0
	.set _ZN7rocprim17ROCPRIM_400000_NS6detail17trampoline_kernelINS0_13select_configILj256ELj13ELNS0_17block_load_methodE3ELS4_3ELS4_3ELNS0_20block_scan_algorithmE0ELj4294967295EEENS1_25partition_config_selectorILNS1_17partition_subalgoE3EjNS0_10empty_typeEbEEZZNS1_14partition_implILS8_3ELb0ES6_jNS0_17counting_iteratorIjlEEPS9_SE_NS0_5tupleIJPjSE_EEENSF_IJSE_SE_EEES9_SG_JZNS1_25segmented_radix_sort_implINS0_14default_configELb0EPKhPhPKlPlN2at6native12_GLOBAL__N_18offset_tEEE10hipError_tPvRmT1_PNSt15iterator_traitsISY_E10value_typeET2_T3_PNSZ_IS14_E10value_typeET4_jRbjT5_S1A_jjP12ihipStream_tbEUljE_EEESV_SW_SX_S14_S18_S1A_T6_T7_T9_mT8_S1C_bDpT10_ENKUlT_T0_E_clISt17integral_constantIbLb1EES1P_EEDaS1K_S1L_EUlS1K_E_NS1_11comp_targetILNS1_3genE8ELNS1_11target_archE1030ELNS1_3gpuE2ELNS1_3repE0EEENS1_30default_config_static_selectorELNS0_4arch9wavefront6targetE0EEEvSY_.has_recursion, 0
	.set _ZN7rocprim17ROCPRIM_400000_NS6detail17trampoline_kernelINS0_13select_configILj256ELj13ELNS0_17block_load_methodE3ELS4_3ELS4_3ELNS0_20block_scan_algorithmE0ELj4294967295EEENS1_25partition_config_selectorILNS1_17partition_subalgoE3EjNS0_10empty_typeEbEEZZNS1_14partition_implILS8_3ELb0ES6_jNS0_17counting_iteratorIjlEEPS9_SE_NS0_5tupleIJPjSE_EEENSF_IJSE_SE_EEES9_SG_JZNS1_25segmented_radix_sort_implINS0_14default_configELb0EPKhPhPKlPlN2at6native12_GLOBAL__N_18offset_tEEE10hipError_tPvRmT1_PNSt15iterator_traitsISY_E10value_typeET2_T3_PNSZ_IS14_E10value_typeET4_jRbjT5_S1A_jjP12ihipStream_tbEUljE_EEESV_SW_SX_S14_S18_S1A_T6_T7_T9_mT8_S1C_bDpT10_ENKUlT_T0_E_clISt17integral_constantIbLb1EES1P_EEDaS1K_S1L_EUlS1K_E_NS1_11comp_targetILNS1_3genE8ELNS1_11target_archE1030ELNS1_3gpuE2ELNS1_3repE0EEENS1_30default_config_static_selectorELNS0_4arch9wavefront6targetE0EEEvSY_.has_indirect_call, 0
	.section	.AMDGPU.csdata,"",@progbits
; Kernel info:
; codeLenInByte = 4
; TotalNumSgprs: 0
; NumVgprs: 0
; ScratchSize: 0
; MemoryBound: 0
; FloatMode: 240
; IeeeMode: 1
; LDSByteSize: 0 bytes/workgroup (compile time only)
; SGPRBlocks: 0
; VGPRBlocks: 0
; NumSGPRsForWavesPerEU: 1
; NumVGPRsForWavesPerEU: 1
; Occupancy: 16
; WaveLimiterHint : 0
; COMPUTE_PGM_RSRC2:SCRATCH_EN: 0
; COMPUTE_PGM_RSRC2:USER_SGPR: 6
; COMPUTE_PGM_RSRC2:TRAP_HANDLER: 0
; COMPUTE_PGM_RSRC2:TGID_X_EN: 1
; COMPUTE_PGM_RSRC2:TGID_Y_EN: 0
; COMPUTE_PGM_RSRC2:TGID_Z_EN: 0
; COMPUTE_PGM_RSRC2:TIDIG_COMP_CNT: 0
	.section	.text._ZN7rocprim17ROCPRIM_400000_NS6detail17trampoline_kernelINS0_13select_configILj256ELj13ELNS0_17block_load_methodE3ELS4_3ELS4_3ELNS0_20block_scan_algorithmE0ELj4294967295EEENS1_25partition_config_selectorILNS1_17partition_subalgoE3EjNS0_10empty_typeEbEEZZNS1_14partition_implILS8_3ELb0ES6_jNS0_17counting_iteratorIjlEEPS9_SE_NS0_5tupleIJPjSE_EEENSF_IJSE_SE_EEES9_SG_JZNS1_25segmented_radix_sort_implINS0_14default_configELb0EPKhPhPKlPlN2at6native12_GLOBAL__N_18offset_tEEE10hipError_tPvRmT1_PNSt15iterator_traitsISY_E10value_typeET2_T3_PNSZ_IS14_E10value_typeET4_jRbjT5_S1A_jjP12ihipStream_tbEUljE_EEESV_SW_SX_S14_S18_S1A_T6_T7_T9_mT8_S1C_bDpT10_ENKUlT_T0_E_clISt17integral_constantIbLb1EES1O_IbLb0EEEEDaS1K_S1L_EUlS1K_E_NS1_11comp_targetILNS1_3genE0ELNS1_11target_archE4294967295ELNS1_3gpuE0ELNS1_3repE0EEENS1_30default_config_static_selectorELNS0_4arch9wavefront6targetE0EEEvSY_,"axG",@progbits,_ZN7rocprim17ROCPRIM_400000_NS6detail17trampoline_kernelINS0_13select_configILj256ELj13ELNS0_17block_load_methodE3ELS4_3ELS4_3ELNS0_20block_scan_algorithmE0ELj4294967295EEENS1_25partition_config_selectorILNS1_17partition_subalgoE3EjNS0_10empty_typeEbEEZZNS1_14partition_implILS8_3ELb0ES6_jNS0_17counting_iteratorIjlEEPS9_SE_NS0_5tupleIJPjSE_EEENSF_IJSE_SE_EEES9_SG_JZNS1_25segmented_radix_sort_implINS0_14default_configELb0EPKhPhPKlPlN2at6native12_GLOBAL__N_18offset_tEEE10hipError_tPvRmT1_PNSt15iterator_traitsISY_E10value_typeET2_T3_PNSZ_IS14_E10value_typeET4_jRbjT5_S1A_jjP12ihipStream_tbEUljE_EEESV_SW_SX_S14_S18_S1A_T6_T7_T9_mT8_S1C_bDpT10_ENKUlT_T0_E_clISt17integral_constantIbLb1EES1O_IbLb0EEEEDaS1K_S1L_EUlS1K_E_NS1_11comp_targetILNS1_3genE0ELNS1_11target_archE4294967295ELNS1_3gpuE0ELNS1_3repE0EEENS1_30default_config_static_selectorELNS0_4arch9wavefront6targetE0EEEvSY_,comdat
	.globl	_ZN7rocprim17ROCPRIM_400000_NS6detail17trampoline_kernelINS0_13select_configILj256ELj13ELNS0_17block_load_methodE3ELS4_3ELS4_3ELNS0_20block_scan_algorithmE0ELj4294967295EEENS1_25partition_config_selectorILNS1_17partition_subalgoE3EjNS0_10empty_typeEbEEZZNS1_14partition_implILS8_3ELb0ES6_jNS0_17counting_iteratorIjlEEPS9_SE_NS0_5tupleIJPjSE_EEENSF_IJSE_SE_EEES9_SG_JZNS1_25segmented_radix_sort_implINS0_14default_configELb0EPKhPhPKlPlN2at6native12_GLOBAL__N_18offset_tEEE10hipError_tPvRmT1_PNSt15iterator_traitsISY_E10value_typeET2_T3_PNSZ_IS14_E10value_typeET4_jRbjT5_S1A_jjP12ihipStream_tbEUljE_EEESV_SW_SX_S14_S18_S1A_T6_T7_T9_mT8_S1C_bDpT10_ENKUlT_T0_E_clISt17integral_constantIbLb1EES1O_IbLb0EEEEDaS1K_S1L_EUlS1K_E_NS1_11comp_targetILNS1_3genE0ELNS1_11target_archE4294967295ELNS1_3gpuE0ELNS1_3repE0EEENS1_30default_config_static_selectorELNS0_4arch9wavefront6targetE0EEEvSY_ ; -- Begin function _ZN7rocprim17ROCPRIM_400000_NS6detail17trampoline_kernelINS0_13select_configILj256ELj13ELNS0_17block_load_methodE3ELS4_3ELS4_3ELNS0_20block_scan_algorithmE0ELj4294967295EEENS1_25partition_config_selectorILNS1_17partition_subalgoE3EjNS0_10empty_typeEbEEZZNS1_14partition_implILS8_3ELb0ES6_jNS0_17counting_iteratorIjlEEPS9_SE_NS0_5tupleIJPjSE_EEENSF_IJSE_SE_EEES9_SG_JZNS1_25segmented_radix_sort_implINS0_14default_configELb0EPKhPhPKlPlN2at6native12_GLOBAL__N_18offset_tEEE10hipError_tPvRmT1_PNSt15iterator_traitsISY_E10value_typeET2_T3_PNSZ_IS14_E10value_typeET4_jRbjT5_S1A_jjP12ihipStream_tbEUljE_EEESV_SW_SX_S14_S18_S1A_T6_T7_T9_mT8_S1C_bDpT10_ENKUlT_T0_E_clISt17integral_constantIbLb1EES1O_IbLb0EEEEDaS1K_S1L_EUlS1K_E_NS1_11comp_targetILNS1_3genE0ELNS1_11target_archE4294967295ELNS1_3gpuE0ELNS1_3repE0EEENS1_30default_config_static_selectorELNS0_4arch9wavefront6targetE0EEEvSY_
	.p2align	8
	.type	_ZN7rocprim17ROCPRIM_400000_NS6detail17trampoline_kernelINS0_13select_configILj256ELj13ELNS0_17block_load_methodE3ELS4_3ELS4_3ELNS0_20block_scan_algorithmE0ELj4294967295EEENS1_25partition_config_selectorILNS1_17partition_subalgoE3EjNS0_10empty_typeEbEEZZNS1_14partition_implILS8_3ELb0ES6_jNS0_17counting_iteratorIjlEEPS9_SE_NS0_5tupleIJPjSE_EEENSF_IJSE_SE_EEES9_SG_JZNS1_25segmented_radix_sort_implINS0_14default_configELb0EPKhPhPKlPlN2at6native12_GLOBAL__N_18offset_tEEE10hipError_tPvRmT1_PNSt15iterator_traitsISY_E10value_typeET2_T3_PNSZ_IS14_E10value_typeET4_jRbjT5_S1A_jjP12ihipStream_tbEUljE_EEESV_SW_SX_S14_S18_S1A_T6_T7_T9_mT8_S1C_bDpT10_ENKUlT_T0_E_clISt17integral_constantIbLb1EES1O_IbLb0EEEEDaS1K_S1L_EUlS1K_E_NS1_11comp_targetILNS1_3genE0ELNS1_11target_archE4294967295ELNS1_3gpuE0ELNS1_3repE0EEENS1_30default_config_static_selectorELNS0_4arch9wavefront6targetE0EEEvSY_,@function
_ZN7rocprim17ROCPRIM_400000_NS6detail17trampoline_kernelINS0_13select_configILj256ELj13ELNS0_17block_load_methodE3ELS4_3ELS4_3ELNS0_20block_scan_algorithmE0ELj4294967295EEENS1_25partition_config_selectorILNS1_17partition_subalgoE3EjNS0_10empty_typeEbEEZZNS1_14partition_implILS8_3ELb0ES6_jNS0_17counting_iteratorIjlEEPS9_SE_NS0_5tupleIJPjSE_EEENSF_IJSE_SE_EEES9_SG_JZNS1_25segmented_radix_sort_implINS0_14default_configELb0EPKhPhPKlPlN2at6native12_GLOBAL__N_18offset_tEEE10hipError_tPvRmT1_PNSt15iterator_traitsISY_E10value_typeET2_T3_PNSZ_IS14_E10value_typeET4_jRbjT5_S1A_jjP12ihipStream_tbEUljE_EEESV_SW_SX_S14_S18_S1A_T6_T7_T9_mT8_S1C_bDpT10_ENKUlT_T0_E_clISt17integral_constantIbLb1EES1O_IbLb0EEEEDaS1K_S1L_EUlS1K_E_NS1_11comp_targetILNS1_3genE0ELNS1_11target_archE4294967295ELNS1_3gpuE0ELNS1_3repE0EEENS1_30default_config_static_selectorELNS0_4arch9wavefront6targetE0EEEvSY_: ; @_ZN7rocprim17ROCPRIM_400000_NS6detail17trampoline_kernelINS0_13select_configILj256ELj13ELNS0_17block_load_methodE3ELS4_3ELS4_3ELNS0_20block_scan_algorithmE0ELj4294967295EEENS1_25partition_config_selectorILNS1_17partition_subalgoE3EjNS0_10empty_typeEbEEZZNS1_14partition_implILS8_3ELb0ES6_jNS0_17counting_iteratorIjlEEPS9_SE_NS0_5tupleIJPjSE_EEENSF_IJSE_SE_EEES9_SG_JZNS1_25segmented_radix_sort_implINS0_14default_configELb0EPKhPhPKlPlN2at6native12_GLOBAL__N_18offset_tEEE10hipError_tPvRmT1_PNSt15iterator_traitsISY_E10value_typeET2_T3_PNSZ_IS14_E10value_typeET4_jRbjT5_S1A_jjP12ihipStream_tbEUljE_EEESV_SW_SX_S14_S18_S1A_T6_T7_T9_mT8_S1C_bDpT10_ENKUlT_T0_E_clISt17integral_constantIbLb1EES1O_IbLb0EEEEDaS1K_S1L_EUlS1K_E_NS1_11comp_targetILNS1_3genE0ELNS1_11target_archE4294967295ELNS1_3gpuE0ELNS1_3repE0EEENS1_30default_config_static_selectorELNS0_4arch9wavefront6targetE0EEEvSY_
; %bb.0:
	.section	.rodata,"a",@progbits
	.p2align	6, 0x0
	.amdhsa_kernel _ZN7rocprim17ROCPRIM_400000_NS6detail17trampoline_kernelINS0_13select_configILj256ELj13ELNS0_17block_load_methodE3ELS4_3ELS4_3ELNS0_20block_scan_algorithmE0ELj4294967295EEENS1_25partition_config_selectorILNS1_17partition_subalgoE3EjNS0_10empty_typeEbEEZZNS1_14partition_implILS8_3ELb0ES6_jNS0_17counting_iteratorIjlEEPS9_SE_NS0_5tupleIJPjSE_EEENSF_IJSE_SE_EEES9_SG_JZNS1_25segmented_radix_sort_implINS0_14default_configELb0EPKhPhPKlPlN2at6native12_GLOBAL__N_18offset_tEEE10hipError_tPvRmT1_PNSt15iterator_traitsISY_E10value_typeET2_T3_PNSZ_IS14_E10value_typeET4_jRbjT5_S1A_jjP12ihipStream_tbEUljE_EEESV_SW_SX_S14_S18_S1A_T6_T7_T9_mT8_S1C_bDpT10_ENKUlT_T0_E_clISt17integral_constantIbLb1EES1O_IbLb0EEEEDaS1K_S1L_EUlS1K_E_NS1_11comp_targetILNS1_3genE0ELNS1_11target_archE4294967295ELNS1_3gpuE0ELNS1_3repE0EEENS1_30default_config_static_selectorELNS0_4arch9wavefront6targetE0EEEvSY_
		.amdhsa_group_segment_fixed_size 0
		.amdhsa_private_segment_fixed_size 0
		.amdhsa_kernarg_size 144
		.amdhsa_user_sgpr_count 6
		.amdhsa_user_sgpr_private_segment_buffer 1
		.amdhsa_user_sgpr_dispatch_ptr 0
		.amdhsa_user_sgpr_queue_ptr 0
		.amdhsa_user_sgpr_kernarg_segment_ptr 1
		.amdhsa_user_sgpr_dispatch_id 0
		.amdhsa_user_sgpr_flat_scratch_init 0
		.amdhsa_user_sgpr_private_segment_size 0
		.amdhsa_wavefront_size32 1
		.amdhsa_uses_dynamic_stack 0
		.amdhsa_system_sgpr_private_segment_wavefront_offset 0
		.amdhsa_system_sgpr_workgroup_id_x 1
		.amdhsa_system_sgpr_workgroup_id_y 0
		.amdhsa_system_sgpr_workgroup_id_z 0
		.amdhsa_system_sgpr_workgroup_info 0
		.amdhsa_system_vgpr_workitem_id 0
		.amdhsa_next_free_vgpr 1
		.amdhsa_next_free_sgpr 1
		.amdhsa_reserve_vcc 0
		.amdhsa_reserve_flat_scratch 0
		.amdhsa_float_round_mode_32 0
		.amdhsa_float_round_mode_16_64 0
		.amdhsa_float_denorm_mode_32 3
		.amdhsa_float_denorm_mode_16_64 3
		.amdhsa_dx10_clamp 1
		.amdhsa_ieee_mode 1
		.amdhsa_fp16_overflow 0
		.amdhsa_workgroup_processor_mode 1
		.amdhsa_memory_ordered 1
		.amdhsa_forward_progress 1
		.amdhsa_shared_vgpr_count 0
		.amdhsa_exception_fp_ieee_invalid_op 0
		.amdhsa_exception_fp_denorm_src 0
		.amdhsa_exception_fp_ieee_div_zero 0
		.amdhsa_exception_fp_ieee_overflow 0
		.amdhsa_exception_fp_ieee_underflow 0
		.amdhsa_exception_fp_ieee_inexact 0
		.amdhsa_exception_int_div_zero 0
	.end_amdhsa_kernel
	.section	.text._ZN7rocprim17ROCPRIM_400000_NS6detail17trampoline_kernelINS0_13select_configILj256ELj13ELNS0_17block_load_methodE3ELS4_3ELS4_3ELNS0_20block_scan_algorithmE0ELj4294967295EEENS1_25partition_config_selectorILNS1_17partition_subalgoE3EjNS0_10empty_typeEbEEZZNS1_14partition_implILS8_3ELb0ES6_jNS0_17counting_iteratorIjlEEPS9_SE_NS0_5tupleIJPjSE_EEENSF_IJSE_SE_EEES9_SG_JZNS1_25segmented_radix_sort_implINS0_14default_configELb0EPKhPhPKlPlN2at6native12_GLOBAL__N_18offset_tEEE10hipError_tPvRmT1_PNSt15iterator_traitsISY_E10value_typeET2_T3_PNSZ_IS14_E10value_typeET4_jRbjT5_S1A_jjP12ihipStream_tbEUljE_EEESV_SW_SX_S14_S18_S1A_T6_T7_T9_mT8_S1C_bDpT10_ENKUlT_T0_E_clISt17integral_constantIbLb1EES1O_IbLb0EEEEDaS1K_S1L_EUlS1K_E_NS1_11comp_targetILNS1_3genE0ELNS1_11target_archE4294967295ELNS1_3gpuE0ELNS1_3repE0EEENS1_30default_config_static_selectorELNS0_4arch9wavefront6targetE0EEEvSY_,"axG",@progbits,_ZN7rocprim17ROCPRIM_400000_NS6detail17trampoline_kernelINS0_13select_configILj256ELj13ELNS0_17block_load_methodE3ELS4_3ELS4_3ELNS0_20block_scan_algorithmE0ELj4294967295EEENS1_25partition_config_selectorILNS1_17partition_subalgoE3EjNS0_10empty_typeEbEEZZNS1_14partition_implILS8_3ELb0ES6_jNS0_17counting_iteratorIjlEEPS9_SE_NS0_5tupleIJPjSE_EEENSF_IJSE_SE_EEES9_SG_JZNS1_25segmented_radix_sort_implINS0_14default_configELb0EPKhPhPKlPlN2at6native12_GLOBAL__N_18offset_tEEE10hipError_tPvRmT1_PNSt15iterator_traitsISY_E10value_typeET2_T3_PNSZ_IS14_E10value_typeET4_jRbjT5_S1A_jjP12ihipStream_tbEUljE_EEESV_SW_SX_S14_S18_S1A_T6_T7_T9_mT8_S1C_bDpT10_ENKUlT_T0_E_clISt17integral_constantIbLb1EES1O_IbLb0EEEEDaS1K_S1L_EUlS1K_E_NS1_11comp_targetILNS1_3genE0ELNS1_11target_archE4294967295ELNS1_3gpuE0ELNS1_3repE0EEENS1_30default_config_static_selectorELNS0_4arch9wavefront6targetE0EEEvSY_,comdat
.Lfunc_end169:
	.size	_ZN7rocprim17ROCPRIM_400000_NS6detail17trampoline_kernelINS0_13select_configILj256ELj13ELNS0_17block_load_methodE3ELS4_3ELS4_3ELNS0_20block_scan_algorithmE0ELj4294967295EEENS1_25partition_config_selectorILNS1_17partition_subalgoE3EjNS0_10empty_typeEbEEZZNS1_14partition_implILS8_3ELb0ES6_jNS0_17counting_iteratorIjlEEPS9_SE_NS0_5tupleIJPjSE_EEENSF_IJSE_SE_EEES9_SG_JZNS1_25segmented_radix_sort_implINS0_14default_configELb0EPKhPhPKlPlN2at6native12_GLOBAL__N_18offset_tEEE10hipError_tPvRmT1_PNSt15iterator_traitsISY_E10value_typeET2_T3_PNSZ_IS14_E10value_typeET4_jRbjT5_S1A_jjP12ihipStream_tbEUljE_EEESV_SW_SX_S14_S18_S1A_T6_T7_T9_mT8_S1C_bDpT10_ENKUlT_T0_E_clISt17integral_constantIbLb1EES1O_IbLb0EEEEDaS1K_S1L_EUlS1K_E_NS1_11comp_targetILNS1_3genE0ELNS1_11target_archE4294967295ELNS1_3gpuE0ELNS1_3repE0EEENS1_30default_config_static_selectorELNS0_4arch9wavefront6targetE0EEEvSY_, .Lfunc_end169-_ZN7rocprim17ROCPRIM_400000_NS6detail17trampoline_kernelINS0_13select_configILj256ELj13ELNS0_17block_load_methodE3ELS4_3ELS4_3ELNS0_20block_scan_algorithmE0ELj4294967295EEENS1_25partition_config_selectorILNS1_17partition_subalgoE3EjNS0_10empty_typeEbEEZZNS1_14partition_implILS8_3ELb0ES6_jNS0_17counting_iteratorIjlEEPS9_SE_NS0_5tupleIJPjSE_EEENSF_IJSE_SE_EEES9_SG_JZNS1_25segmented_radix_sort_implINS0_14default_configELb0EPKhPhPKlPlN2at6native12_GLOBAL__N_18offset_tEEE10hipError_tPvRmT1_PNSt15iterator_traitsISY_E10value_typeET2_T3_PNSZ_IS14_E10value_typeET4_jRbjT5_S1A_jjP12ihipStream_tbEUljE_EEESV_SW_SX_S14_S18_S1A_T6_T7_T9_mT8_S1C_bDpT10_ENKUlT_T0_E_clISt17integral_constantIbLb1EES1O_IbLb0EEEEDaS1K_S1L_EUlS1K_E_NS1_11comp_targetILNS1_3genE0ELNS1_11target_archE4294967295ELNS1_3gpuE0ELNS1_3repE0EEENS1_30default_config_static_selectorELNS0_4arch9wavefront6targetE0EEEvSY_
                                        ; -- End function
	.set _ZN7rocprim17ROCPRIM_400000_NS6detail17trampoline_kernelINS0_13select_configILj256ELj13ELNS0_17block_load_methodE3ELS4_3ELS4_3ELNS0_20block_scan_algorithmE0ELj4294967295EEENS1_25partition_config_selectorILNS1_17partition_subalgoE3EjNS0_10empty_typeEbEEZZNS1_14partition_implILS8_3ELb0ES6_jNS0_17counting_iteratorIjlEEPS9_SE_NS0_5tupleIJPjSE_EEENSF_IJSE_SE_EEES9_SG_JZNS1_25segmented_radix_sort_implINS0_14default_configELb0EPKhPhPKlPlN2at6native12_GLOBAL__N_18offset_tEEE10hipError_tPvRmT1_PNSt15iterator_traitsISY_E10value_typeET2_T3_PNSZ_IS14_E10value_typeET4_jRbjT5_S1A_jjP12ihipStream_tbEUljE_EEESV_SW_SX_S14_S18_S1A_T6_T7_T9_mT8_S1C_bDpT10_ENKUlT_T0_E_clISt17integral_constantIbLb1EES1O_IbLb0EEEEDaS1K_S1L_EUlS1K_E_NS1_11comp_targetILNS1_3genE0ELNS1_11target_archE4294967295ELNS1_3gpuE0ELNS1_3repE0EEENS1_30default_config_static_selectorELNS0_4arch9wavefront6targetE0EEEvSY_.num_vgpr, 0
	.set _ZN7rocprim17ROCPRIM_400000_NS6detail17trampoline_kernelINS0_13select_configILj256ELj13ELNS0_17block_load_methodE3ELS4_3ELS4_3ELNS0_20block_scan_algorithmE0ELj4294967295EEENS1_25partition_config_selectorILNS1_17partition_subalgoE3EjNS0_10empty_typeEbEEZZNS1_14partition_implILS8_3ELb0ES6_jNS0_17counting_iteratorIjlEEPS9_SE_NS0_5tupleIJPjSE_EEENSF_IJSE_SE_EEES9_SG_JZNS1_25segmented_radix_sort_implINS0_14default_configELb0EPKhPhPKlPlN2at6native12_GLOBAL__N_18offset_tEEE10hipError_tPvRmT1_PNSt15iterator_traitsISY_E10value_typeET2_T3_PNSZ_IS14_E10value_typeET4_jRbjT5_S1A_jjP12ihipStream_tbEUljE_EEESV_SW_SX_S14_S18_S1A_T6_T7_T9_mT8_S1C_bDpT10_ENKUlT_T0_E_clISt17integral_constantIbLb1EES1O_IbLb0EEEEDaS1K_S1L_EUlS1K_E_NS1_11comp_targetILNS1_3genE0ELNS1_11target_archE4294967295ELNS1_3gpuE0ELNS1_3repE0EEENS1_30default_config_static_selectorELNS0_4arch9wavefront6targetE0EEEvSY_.num_agpr, 0
	.set _ZN7rocprim17ROCPRIM_400000_NS6detail17trampoline_kernelINS0_13select_configILj256ELj13ELNS0_17block_load_methodE3ELS4_3ELS4_3ELNS0_20block_scan_algorithmE0ELj4294967295EEENS1_25partition_config_selectorILNS1_17partition_subalgoE3EjNS0_10empty_typeEbEEZZNS1_14partition_implILS8_3ELb0ES6_jNS0_17counting_iteratorIjlEEPS9_SE_NS0_5tupleIJPjSE_EEENSF_IJSE_SE_EEES9_SG_JZNS1_25segmented_radix_sort_implINS0_14default_configELb0EPKhPhPKlPlN2at6native12_GLOBAL__N_18offset_tEEE10hipError_tPvRmT1_PNSt15iterator_traitsISY_E10value_typeET2_T3_PNSZ_IS14_E10value_typeET4_jRbjT5_S1A_jjP12ihipStream_tbEUljE_EEESV_SW_SX_S14_S18_S1A_T6_T7_T9_mT8_S1C_bDpT10_ENKUlT_T0_E_clISt17integral_constantIbLb1EES1O_IbLb0EEEEDaS1K_S1L_EUlS1K_E_NS1_11comp_targetILNS1_3genE0ELNS1_11target_archE4294967295ELNS1_3gpuE0ELNS1_3repE0EEENS1_30default_config_static_selectorELNS0_4arch9wavefront6targetE0EEEvSY_.numbered_sgpr, 0
	.set _ZN7rocprim17ROCPRIM_400000_NS6detail17trampoline_kernelINS0_13select_configILj256ELj13ELNS0_17block_load_methodE3ELS4_3ELS4_3ELNS0_20block_scan_algorithmE0ELj4294967295EEENS1_25partition_config_selectorILNS1_17partition_subalgoE3EjNS0_10empty_typeEbEEZZNS1_14partition_implILS8_3ELb0ES6_jNS0_17counting_iteratorIjlEEPS9_SE_NS0_5tupleIJPjSE_EEENSF_IJSE_SE_EEES9_SG_JZNS1_25segmented_radix_sort_implINS0_14default_configELb0EPKhPhPKlPlN2at6native12_GLOBAL__N_18offset_tEEE10hipError_tPvRmT1_PNSt15iterator_traitsISY_E10value_typeET2_T3_PNSZ_IS14_E10value_typeET4_jRbjT5_S1A_jjP12ihipStream_tbEUljE_EEESV_SW_SX_S14_S18_S1A_T6_T7_T9_mT8_S1C_bDpT10_ENKUlT_T0_E_clISt17integral_constantIbLb1EES1O_IbLb0EEEEDaS1K_S1L_EUlS1K_E_NS1_11comp_targetILNS1_3genE0ELNS1_11target_archE4294967295ELNS1_3gpuE0ELNS1_3repE0EEENS1_30default_config_static_selectorELNS0_4arch9wavefront6targetE0EEEvSY_.num_named_barrier, 0
	.set _ZN7rocprim17ROCPRIM_400000_NS6detail17trampoline_kernelINS0_13select_configILj256ELj13ELNS0_17block_load_methodE3ELS4_3ELS4_3ELNS0_20block_scan_algorithmE0ELj4294967295EEENS1_25partition_config_selectorILNS1_17partition_subalgoE3EjNS0_10empty_typeEbEEZZNS1_14partition_implILS8_3ELb0ES6_jNS0_17counting_iteratorIjlEEPS9_SE_NS0_5tupleIJPjSE_EEENSF_IJSE_SE_EEES9_SG_JZNS1_25segmented_radix_sort_implINS0_14default_configELb0EPKhPhPKlPlN2at6native12_GLOBAL__N_18offset_tEEE10hipError_tPvRmT1_PNSt15iterator_traitsISY_E10value_typeET2_T3_PNSZ_IS14_E10value_typeET4_jRbjT5_S1A_jjP12ihipStream_tbEUljE_EEESV_SW_SX_S14_S18_S1A_T6_T7_T9_mT8_S1C_bDpT10_ENKUlT_T0_E_clISt17integral_constantIbLb1EES1O_IbLb0EEEEDaS1K_S1L_EUlS1K_E_NS1_11comp_targetILNS1_3genE0ELNS1_11target_archE4294967295ELNS1_3gpuE0ELNS1_3repE0EEENS1_30default_config_static_selectorELNS0_4arch9wavefront6targetE0EEEvSY_.private_seg_size, 0
	.set _ZN7rocprim17ROCPRIM_400000_NS6detail17trampoline_kernelINS0_13select_configILj256ELj13ELNS0_17block_load_methodE3ELS4_3ELS4_3ELNS0_20block_scan_algorithmE0ELj4294967295EEENS1_25partition_config_selectorILNS1_17partition_subalgoE3EjNS0_10empty_typeEbEEZZNS1_14partition_implILS8_3ELb0ES6_jNS0_17counting_iteratorIjlEEPS9_SE_NS0_5tupleIJPjSE_EEENSF_IJSE_SE_EEES9_SG_JZNS1_25segmented_radix_sort_implINS0_14default_configELb0EPKhPhPKlPlN2at6native12_GLOBAL__N_18offset_tEEE10hipError_tPvRmT1_PNSt15iterator_traitsISY_E10value_typeET2_T3_PNSZ_IS14_E10value_typeET4_jRbjT5_S1A_jjP12ihipStream_tbEUljE_EEESV_SW_SX_S14_S18_S1A_T6_T7_T9_mT8_S1C_bDpT10_ENKUlT_T0_E_clISt17integral_constantIbLb1EES1O_IbLb0EEEEDaS1K_S1L_EUlS1K_E_NS1_11comp_targetILNS1_3genE0ELNS1_11target_archE4294967295ELNS1_3gpuE0ELNS1_3repE0EEENS1_30default_config_static_selectorELNS0_4arch9wavefront6targetE0EEEvSY_.uses_vcc, 0
	.set _ZN7rocprim17ROCPRIM_400000_NS6detail17trampoline_kernelINS0_13select_configILj256ELj13ELNS0_17block_load_methodE3ELS4_3ELS4_3ELNS0_20block_scan_algorithmE0ELj4294967295EEENS1_25partition_config_selectorILNS1_17partition_subalgoE3EjNS0_10empty_typeEbEEZZNS1_14partition_implILS8_3ELb0ES6_jNS0_17counting_iteratorIjlEEPS9_SE_NS0_5tupleIJPjSE_EEENSF_IJSE_SE_EEES9_SG_JZNS1_25segmented_radix_sort_implINS0_14default_configELb0EPKhPhPKlPlN2at6native12_GLOBAL__N_18offset_tEEE10hipError_tPvRmT1_PNSt15iterator_traitsISY_E10value_typeET2_T3_PNSZ_IS14_E10value_typeET4_jRbjT5_S1A_jjP12ihipStream_tbEUljE_EEESV_SW_SX_S14_S18_S1A_T6_T7_T9_mT8_S1C_bDpT10_ENKUlT_T0_E_clISt17integral_constantIbLb1EES1O_IbLb0EEEEDaS1K_S1L_EUlS1K_E_NS1_11comp_targetILNS1_3genE0ELNS1_11target_archE4294967295ELNS1_3gpuE0ELNS1_3repE0EEENS1_30default_config_static_selectorELNS0_4arch9wavefront6targetE0EEEvSY_.uses_flat_scratch, 0
	.set _ZN7rocprim17ROCPRIM_400000_NS6detail17trampoline_kernelINS0_13select_configILj256ELj13ELNS0_17block_load_methodE3ELS4_3ELS4_3ELNS0_20block_scan_algorithmE0ELj4294967295EEENS1_25partition_config_selectorILNS1_17partition_subalgoE3EjNS0_10empty_typeEbEEZZNS1_14partition_implILS8_3ELb0ES6_jNS0_17counting_iteratorIjlEEPS9_SE_NS0_5tupleIJPjSE_EEENSF_IJSE_SE_EEES9_SG_JZNS1_25segmented_radix_sort_implINS0_14default_configELb0EPKhPhPKlPlN2at6native12_GLOBAL__N_18offset_tEEE10hipError_tPvRmT1_PNSt15iterator_traitsISY_E10value_typeET2_T3_PNSZ_IS14_E10value_typeET4_jRbjT5_S1A_jjP12ihipStream_tbEUljE_EEESV_SW_SX_S14_S18_S1A_T6_T7_T9_mT8_S1C_bDpT10_ENKUlT_T0_E_clISt17integral_constantIbLb1EES1O_IbLb0EEEEDaS1K_S1L_EUlS1K_E_NS1_11comp_targetILNS1_3genE0ELNS1_11target_archE4294967295ELNS1_3gpuE0ELNS1_3repE0EEENS1_30default_config_static_selectorELNS0_4arch9wavefront6targetE0EEEvSY_.has_dyn_sized_stack, 0
	.set _ZN7rocprim17ROCPRIM_400000_NS6detail17trampoline_kernelINS0_13select_configILj256ELj13ELNS0_17block_load_methodE3ELS4_3ELS4_3ELNS0_20block_scan_algorithmE0ELj4294967295EEENS1_25partition_config_selectorILNS1_17partition_subalgoE3EjNS0_10empty_typeEbEEZZNS1_14partition_implILS8_3ELb0ES6_jNS0_17counting_iteratorIjlEEPS9_SE_NS0_5tupleIJPjSE_EEENSF_IJSE_SE_EEES9_SG_JZNS1_25segmented_radix_sort_implINS0_14default_configELb0EPKhPhPKlPlN2at6native12_GLOBAL__N_18offset_tEEE10hipError_tPvRmT1_PNSt15iterator_traitsISY_E10value_typeET2_T3_PNSZ_IS14_E10value_typeET4_jRbjT5_S1A_jjP12ihipStream_tbEUljE_EEESV_SW_SX_S14_S18_S1A_T6_T7_T9_mT8_S1C_bDpT10_ENKUlT_T0_E_clISt17integral_constantIbLb1EES1O_IbLb0EEEEDaS1K_S1L_EUlS1K_E_NS1_11comp_targetILNS1_3genE0ELNS1_11target_archE4294967295ELNS1_3gpuE0ELNS1_3repE0EEENS1_30default_config_static_selectorELNS0_4arch9wavefront6targetE0EEEvSY_.has_recursion, 0
	.set _ZN7rocprim17ROCPRIM_400000_NS6detail17trampoline_kernelINS0_13select_configILj256ELj13ELNS0_17block_load_methodE3ELS4_3ELS4_3ELNS0_20block_scan_algorithmE0ELj4294967295EEENS1_25partition_config_selectorILNS1_17partition_subalgoE3EjNS0_10empty_typeEbEEZZNS1_14partition_implILS8_3ELb0ES6_jNS0_17counting_iteratorIjlEEPS9_SE_NS0_5tupleIJPjSE_EEENSF_IJSE_SE_EEES9_SG_JZNS1_25segmented_radix_sort_implINS0_14default_configELb0EPKhPhPKlPlN2at6native12_GLOBAL__N_18offset_tEEE10hipError_tPvRmT1_PNSt15iterator_traitsISY_E10value_typeET2_T3_PNSZ_IS14_E10value_typeET4_jRbjT5_S1A_jjP12ihipStream_tbEUljE_EEESV_SW_SX_S14_S18_S1A_T6_T7_T9_mT8_S1C_bDpT10_ENKUlT_T0_E_clISt17integral_constantIbLb1EES1O_IbLb0EEEEDaS1K_S1L_EUlS1K_E_NS1_11comp_targetILNS1_3genE0ELNS1_11target_archE4294967295ELNS1_3gpuE0ELNS1_3repE0EEENS1_30default_config_static_selectorELNS0_4arch9wavefront6targetE0EEEvSY_.has_indirect_call, 0
	.section	.AMDGPU.csdata,"",@progbits
; Kernel info:
; codeLenInByte = 0
; TotalNumSgprs: 0
; NumVgprs: 0
; ScratchSize: 0
; MemoryBound: 0
; FloatMode: 240
; IeeeMode: 1
; LDSByteSize: 0 bytes/workgroup (compile time only)
; SGPRBlocks: 0
; VGPRBlocks: 0
; NumSGPRsForWavesPerEU: 1
; NumVGPRsForWavesPerEU: 1
; Occupancy: 16
; WaveLimiterHint : 0
; COMPUTE_PGM_RSRC2:SCRATCH_EN: 0
; COMPUTE_PGM_RSRC2:USER_SGPR: 6
; COMPUTE_PGM_RSRC2:TRAP_HANDLER: 0
; COMPUTE_PGM_RSRC2:TGID_X_EN: 1
; COMPUTE_PGM_RSRC2:TGID_Y_EN: 0
; COMPUTE_PGM_RSRC2:TGID_Z_EN: 0
; COMPUTE_PGM_RSRC2:TIDIG_COMP_CNT: 0
	.section	.text._ZN7rocprim17ROCPRIM_400000_NS6detail17trampoline_kernelINS0_13select_configILj256ELj13ELNS0_17block_load_methodE3ELS4_3ELS4_3ELNS0_20block_scan_algorithmE0ELj4294967295EEENS1_25partition_config_selectorILNS1_17partition_subalgoE3EjNS0_10empty_typeEbEEZZNS1_14partition_implILS8_3ELb0ES6_jNS0_17counting_iteratorIjlEEPS9_SE_NS0_5tupleIJPjSE_EEENSF_IJSE_SE_EEES9_SG_JZNS1_25segmented_radix_sort_implINS0_14default_configELb0EPKhPhPKlPlN2at6native12_GLOBAL__N_18offset_tEEE10hipError_tPvRmT1_PNSt15iterator_traitsISY_E10value_typeET2_T3_PNSZ_IS14_E10value_typeET4_jRbjT5_S1A_jjP12ihipStream_tbEUljE_EEESV_SW_SX_S14_S18_S1A_T6_T7_T9_mT8_S1C_bDpT10_ENKUlT_T0_E_clISt17integral_constantIbLb1EES1O_IbLb0EEEEDaS1K_S1L_EUlS1K_E_NS1_11comp_targetILNS1_3genE5ELNS1_11target_archE942ELNS1_3gpuE9ELNS1_3repE0EEENS1_30default_config_static_selectorELNS0_4arch9wavefront6targetE0EEEvSY_,"axG",@progbits,_ZN7rocprim17ROCPRIM_400000_NS6detail17trampoline_kernelINS0_13select_configILj256ELj13ELNS0_17block_load_methodE3ELS4_3ELS4_3ELNS0_20block_scan_algorithmE0ELj4294967295EEENS1_25partition_config_selectorILNS1_17partition_subalgoE3EjNS0_10empty_typeEbEEZZNS1_14partition_implILS8_3ELb0ES6_jNS0_17counting_iteratorIjlEEPS9_SE_NS0_5tupleIJPjSE_EEENSF_IJSE_SE_EEES9_SG_JZNS1_25segmented_radix_sort_implINS0_14default_configELb0EPKhPhPKlPlN2at6native12_GLOBAL__N_18offset_tEEE10hipError_tPvRmT1_PNSt15iterator_traitsISY_E10value_typeET2_T3_PNSZ_IS14_E10value_typeET4_jRbjT5_S1A_jjP12ihipStream_tbEUljE_EEESV_SW_SX_S14_S18_S1A_T6_T7_T9_mT8_S1C_bDpT10_ENKUlT_T0_E_clISt17integral_constantIbLb1EES1O_IbLb0EEEEDaS1K_S1L_EUlS1K_E_NS1_11comp_targetILNS1_3genE5ELNS1_11target_archE942ELNS1_3gpuE9ELNS1_3repE0EEENS1_30default_config_static_selectorELNS0_4arch9wavefront6targetE0EEEvSY_,comdat
	.globl	_ZN7rocprim17ROCPRIM_400000_NS6detail17trampoline_kernelINS0_13select_configILj256ELj13ELNS0_17block_load_methodE3ELS4_3ELS4_3ELNS0_20block_scan_algorithmE0ELj4294967295EEENS1_25partition_config_selectorILNS1_17partition_subalgoE3EjNS0_10empty_typeEbEEZZNS1_14partition_implILS8_3ELb0ES6_jNS0_17counting_iteratorIjlEEPS9_SE_NS0_5tupleIJPjSE_EEENSF_IJSE_SE_EEES9_SG_JZNS1_25segmented_radix_sort_implINS0_14default_configELb0EPKhPhPKlPlN2at6native12_GLOBAL__N_18offset_tEEE10hipError_tPvRmT1_PNSt15iterator_traitsISY_E10value_typeET2_T3_PNSZ_IS14_E10value_typeET4_jRbjT5_S1A_jjP12ihipStream_tbEUljE_EEESV_SW_SX_S14_S18_S1A_T6_T7_T9_mT8_S1C_bDpT10_ENKUlT_T0_E_clISt17integral_constantIbLb1EES1O_IbLb0EEEEDaS1K_S1L_EUlS1K_E_NS1_11comp_targetILNS1_3genE5ELNS1_11target_archE942ELNS1_3gpuE9ELNS1_3repE0EEENS1_30default_config_static_selectorELNS0_4arch9wavefront6targetE0EEEvSY_ ; -- Begin function _ZN7rocprim17ROCPRIM_400000_NS6detail17trampoline_kernelINS0_13select_configILj256ELj13ELNS0_17block_load_methodE3ELS4_3ELS4_3ELNS0_20block_scan_algorithmE0ELj4294967295EEENS1_25partition_config_selectorILNS1_17partition_subalgoE3EjNS0_10empty_typeEbEEZZNS1_14partition_implILS8_3ELb0ES6_jNS0_17counting_iteratorIjlEEPS9_SE_NS0_5tupleIJPjSE_EEENSF_IJSE_SE_EEES9_SG_JZNS1_25segmented_radix_sort_implINS0_14default_configELb0EPKhPhPKlPlN2at6native12_GLOBAL__N_18offset_tEEE10hipError_tPvRmT1_PNSt15iterator_traitsISY_E10value_typeET2_T3_PNSZ_IS14_E10value_typeET4_jRbjT5_S1A_jjP12ihipStream_tbEUljE_EEESV_SW_SX_S14_S18_S1A_T6_T7_T9_mT8_S1C_bDpT10_ENKUlT_T0_E_clISt17integral_constantIbLb1EES1O_IbLb0EEEEDaS1K_S1L_EUlS1K_E_NS1_11comp_targetILNS1_3genE5ELNS1_11target_archE942ELNS1_3gpuE9ELNS1_3repE0EEENS1_30default_config_static_selectorELNS0_4arch9wavefront6targetE0EEEvSY_
	.p2align	8
	.type	_ZN7rocprim17ROCPRIM_400000_NS6detail17trampoline_kernelINS0_13select_configILj256ELj13ELNS0_17block_load_methodE3ELS4_3ELS4_3ELNS0_20block_scan_algorithmE0ELj4294967295EEENS1_25partition_config_selectorILNS1_17partition_subalgoE3EjNS0_10empty_typeEbEEZZNS1_14partition_implILS8_3ELb0ES6_jNS0_17counting_iteratorIjlEEPS9_SE_NS0_5tupleIJPjSE_EEENSF_IJSE_SE_EEES9_SG_JZNS1_25segmented_radix_sort_implINS0_14default_configELb0EPKhPhPKlPlN2at6native12_GLOBAL__N_18offset_tEEE10hipError_tPvRmT1_PNSt15iterator_traitsISY_E10value_typeET2_T3_PNSZ_IS14_E10value_typeET4_jRbjT5_S1A_jjP12ihipStream_tbEUljE_EEESV_SW_SX_S14_S18_S1A_T6_T7_T9_mT8_S1C_bDpT10_ENKUlT_T0_E_clISt17integral_constantIbLb1EES1O_IbLb0EEEEDaS1K_S1L_EUlS1K_E_NS1_11comp_targetILNS1_3genE5ELNS1_11target_archE942ELNS1_3gpuE9ELNS1_3repE0EEENS1_30default_config_static_selectorELNS0_4arch9wavefront6targetE0EEEvSY_,@function
_ZN7rocprim17ROCPRIM_400000_NS6detail17trampoline_kernelINS0_13select_configILj256ELj13ELNS0_17block_load_methodE3ELS4_3ELS4_3ELNS0_20block_scan_algorithmE0ELj4294967295EEENS1_25partition_config_selectorILNS1_17partition_subalgoE3EjNS0_10empty_typeEbEEZZNS1_14partition_implILS8_3ELb0ES6_jNS0_17counting_iteratorIjlEEPS9_SE_NS0_5tupleIJPjSE_EEENSF_IJSE_SE_EEES9_SG_JZNS1_25segmented_radix_sort_implINS0_14default_configELb0EPKhPhPKlPlN2at6native12_GLOBAL__N_18offset_tEEE10hipError_tPvRmT1_PNSt15iterator_traitsISY_E10value_typeET2_T3_PNSZ_IS14_E10value_typeET4_jRbjT5_S1A_jjP12ihipStream_tbEUljE_EEESV_SW_SX_S14_S18_S1A_T6_T7_T9_mT8_S1C_bDpT10_ENKUlT_T0_E_clISt17integral_constantIbLb1EES1O_IbLb0EEEEDaS1K_S1L_EUlS1K_E_NS1_11comp_targetILNS1_3genE5ELNS1_11target_archE942ELNS1_3gpuE9ELNS1_3repE0EEENS1_30default_config_static_selectorELNS0_4arch9wavefront6targetE0EEEvSY_: ; @_ZN7rocprim17ROCPRIM_400000_NS6detail17trampoline_kernelINS0_13select_configILj256ELj13ELNS0_17block_load_methodE3ELS4_3ELS4_3ELNS0_20block_scan_algorithmE0ELj4294967295EEENS1_25partition_config_selectorILNS1_17partition_subalgoE3EjNS0_10empty_typeEbEEZZNS1_14partition_implILS8_3ELb0ES6_jNS0_17counting_iteratorIjlEEPS9_SE_NS0_5tupleIJPjSE_EEENSF_IJSE_SE_EEES9_SG_JZNS1_25segmented_radix_sort_implINS0_14default_configELb0EPKhPhPKlPlN2at6native12_GLOBAL__N_18offset_tEEE10hipError_tPvRmT1_PNSt15iterator_traitsISY_E10value_typeET2_T3_PNSZ_IS14_E10value_typeET4_jRbjT5_S1A_jjP12ihipStream_tbEUljE_EEESV_SW_SX_S14_S18_S1A_T6_T7_T9_mT8_S1C_bDpT10_ENKUlT_T0_E_clISt17integral_constantIbLb1EES1O_IbLb0EEEEDaS1K_S1L_EUlS1K_E_NS1_11comp_targetILNS1_3genE5ELNS1_11target_archE942ELNS1_3gpuE9ELNS1_3repE0EEENS1_30default_config_static_selectorELNS0_4arch9wavefront6targetE0EEEvSY_
; %bb.0:
	.section	.rodata,"a",@progbits
	.p2align	6, 0x0
	.amdhsa_kernel _ZN7rocprim17ROCPRIM_400000_NS6detail17trampoline_kernelINS0_13select_configILj256ELj13ELNS0_17block_load_methodE3ELS4_3ELS4_3ELNS0_20block_scan_algorithmE0ELj4294967295EEENS1_25partition_config_selectorILNS1_17partition_subalgoE3EjNS0_10empty_typeEbEEZZNS1_14partition_implILS8_3ELb0ES6_jNS0_17counting_iteratorIjlEEPS9_SE_NS0_5tupleIJPjSE_EEENSF_IJSE_SE_EEES9_SG_JZNS1_25segmented_radix_sort_implINS0_14default_configELb0EPKhPhPKlPlN2at6native12_GLOBAL__N_18offset_tEEE10hipError_tPvRmT1_PNSt15iterator_traitsISY_E10value_typeET2_T3_PNSZ_IS14_E10value_typeET4_jRbjT5_S1A_jjP12ihipStream_tbEUljE_EEESV_SW_SX_S14_S18_S1A_T6_T7_T9_mT8_S1C_bDpT10_ENKUlT_T0_E_clISt17integral_constantIbLb1EES1O_IbLb0EEEEDaS1K_S1L_EUlS1K_E_NS1_11comp_targetILNS1_3genE5ELNS1_11target_archE942ELNS1_3gpuE9ELNS1_3repE0EEENS1_30default_config_static_selectorELNS0_4arch9wavefront6targetE0EEEvSY_
		.amdhsa_group_segment_fixed_size 0
		.amdhsa_private_segment_fixed_size 0
		.amdhsa_kernarg_size 144
		.amdhsa_user_sgpr_count 6
		.amdhsa_user_sgpr_private_segment_buffer 1
		.amdhsa_user_sgpr_dispatch_ptr 0
		.amdhsa_user_sgpr_queue_ptr 0
		.amdhsa_user_sgpr_kernarg_segment_ptr 1
		.amdhsa_user_sgpr_dispatch_id 0
		.amdhsa_user_sgpr_flat_scratch_init 0
		.amdhsa_user_sgpr_private_segment_size 0
		.amdhsa_wavefront_size32 1
		.amdhsa_uses_dynamic_stack 0
		.amdhsa_system_sgpr_private_segment_wavefront_offset 0
		.amdhsa_system_sgpr_workgroup_id_x 1
		.amdhsa_system_sgpr_workgroup_id_y 0
		.amdhsa_system_sgpr_workgroup_id_z 0
		.amdhsa_system_sgpr_workgroup_info 0
		.amdhsa_system_vgpr_workitem_id 0
		.amdhsa_next_free_vgpr 1
		.amdhsa_next_free_sgpr 1
		.amdhsa_reserve_vcc 0
		.amdhsa_reserve_flat_scratch 0
		.amdhsa_float_round_mode_32 0
		.amdhsa_float_round_mode_16_64 0
		.amdhsa_float_denorm_mode_32 3
		.amdhsa_float_denorm_mode_16_64 3
		.amdhsa_dx10_clamp 1
		.amdhsa_ieee_mode 1
		.amdhsa_fp16_overflow 0
		.amdhsa_workgroup_processor_mode 1
		.amdhsa_memory_ordered 1
		.amdhsa_forward_progress 1
		.amdhsa_shared_vgpr_count 0
		.amdhsa_exception_fp_ieee_invalid_op 0
		.amdhsa_exception_fp_denorm_src 0
		.amdhsa_exception_fp_ieee_div_zero 0
		.amdhsa_exception_fp_ieee_overflow 0
		.amdhsa_exception_fp_ieee_underflow 0
		.amdhsa_exception_fp_ieee_inexact 0
		.amdhsa_exception_int_div_zero 0
	.end_amdhsa_kernel
	.section	.text._ZN7rocprim17ROCPRIM_400000_NS6detail17trampoline_kernelINS0_13select_configILj256ELj13ELNS0_17block_load_methodE3ELS4_3ELS4_3ELNS0_20block_scan_algorithmE0ELj4294967295EEENS1_25partition_config_selectorILNS1_17partition_subalgoE3EjNS0_10empty_typeEbEEZZNS1_14partition_implILS8_3ELb0ES6_jNS0_17counting_iteratorIjlEEPS9_SE_NS0_5tupleIJPjSE_EEENSF_IJSE_SE_EEES9_SG_JZNS1_25segmented_radix_sort_implINS0_14default_configELb0EPKhPhPKlPlN2at6native12_GLOBAL__N_18offset_tEEE10hipError_tPvRmT1_PNSt15iterator_traitsISY_E10value_typeET2_T3_PNSZ_IS14_E10value_typeET4_jRbjT5_S1A_jjP12ihipStream_tbEUljE_EEESV_SW_SX_S14_S18_S1A_T6_T7_T9_mT8_S1C_bDpT10_ENKUlT_T0_E_clISt17integral_constantIbLb1EES1O_IbLb0EEEEDaS1K_S1L_EUlS1K_E_NS1_11comp_targetILNS1_3genE5ELNS1_11target_archE942ELNS1_3gpuE9ELNS1_3repE0EEENS1_30default_config_static_selectorELNS0_4arch9wavefront6targetE0EEEvSY_,"axG",@progbits,_ZN7rocprim17ROCPRIM_400000_NS6detail17trampoline_kernelINS0_13select_configILj256ELj13ELNS0_17block_load_methodE3ELS4_3ELS4_3ELNS0_20block_scan_algorithmE0ELj4294967295EEENS1_25partition_config_selectorILNS1_17partition_subalgoE3EjNS0_10empty_typeEbEEZZNS1_14partition_implILS8_3ELb0ES6_jNS0_17counting_iteratorIjlEEPS9_SE_NS0_5tupleIJPjSE_EEENSF_IJSE_SE_EEES9_SG_JZNS1_25segmented_radix_sort_implINS0_14default_configELb0EPKhPhPKlPlN2at6native12_GLOBAL__N_18offset_tEEE10hipError_tPvRmT1_PNSt15iterator_traitsISY_E10value_typeET2_T3_PNSZ_IS14_E10value_typeET4_jRbjT5_S1A_jjP12ihipStream_tbEUljE_EEESV_SW_SX_S14_S18_S1A_T6_T7_T9_mT8_S1C_bDpT10_ENKUlT_T0_E_clISt17integral_constantIbLb1EES1O_IbLb0EEEEDaS1K_S1L_EUlS1K_E_NS1_11comp_targetILNS1_3genE5ELNS1_11target_archE942ELNS1_3gpuE9ELNS1_3repE0EEENS1_30default_config_static_selectorELNS0_4arch9wavefront6targetE0EEEvSY_,comdat
.Lfunc_end170:
	.size	_ZN7rocprim17ROCPRIM_400000_NS6detail17trampoline_kernelINS0_13select_configILj256ELj13ELNS0_17block_load_methodE3ELS4_3ELS4_3ELNS0_20block_scan_algorithmE0ELj4294967295EEENS1_25partition_config_selectorILNS1_17partition_subalgoE3EjNS0_10empty_typeEbEEZZNS1_14partition_implILS8_3ELb0ES6_jNS0_17counting_iteratorIjlEEPS9_SE_NS0_5tupleIJPjSE_EEENSF_IJSE_SE_EEES9_SG_JZNS1_25segmented_radix_sort_implINS0_14default_configELb0EPKhPhPKlPlN2at6native12_GLOBAL__N_18offset_tEEE10hipError_tPvRmT1_PNSt15iterator_traitsISY_E10value_typeET2_T3_PNSZ_IS14_E10value_typeET4_jRbjT5_S1A_jjP12ihipStream_tbEUljE_EEESV_SW_SX_S14_S18_S1A_T6_T7_T9_mT8_S1C_bDpT10_ENKUlT_T0_E_clISt17integral_constantIbLb1EES1O_IbLb0EEEEDaS1K_S1L_EUlS1K_E_NS1_11comp_targetILNS1_3genE5ELNS1_11target_archE942ELNS1_3gpuE9ELNS1_3repE0EEENS1_30default_config_static_selectorELNS0_4arch9wavefront6targetE0EEEvSY_, .Lfunc_end170-_ZN7rocprim17ROCPRIM_400000_NS6detail17trampoline_kernelINS0_13select_configILj256ELj13ELNS0_17block_load_methodE3ELS4_3ELS4_3ELNS0_20block_scan_algorithmE0ELj4294967295EEENS1_25partition_config_selectorILNS1_17partition_subalgoE3EjNS0_10empty_typeEbEEZZNS1_14partition_implILS8_3ELb0ES6_jNS0_17counting_iteratorIjlEEPS9_SE_NS0_5tupleIJPjSE_EEENSF_IJSE_SE_EEES9_SG_JZNS1_25segmented_radix_sort_implINS0_14default_configELb0EPKhPhPKlPlN2at6native12_GLOBAL__N_18offset_tEEE10hipError_tPvRmT1_PNSt15iterator_traitsISY_E10value_typeET2_T3_PNSZ_IS14_E10value_typeET4_jRbjT5_S1A_jjP12ihipStream_tbEUljE_EEESV_SW_SX_S14_S18_S1A_T6_T7_T9_mT8_S1C_bDpT10_ENKUlT_T0_E_clISt17integral_constantIbLb1EES1O_IbLb0EEEEDaS1K_S1L_EUlS1K_E_NS1_11comp_targetILNS1_3genE5ELNS1_11target_archE942ELNS1_3gpuE9ELNS1_3repE0EEENS1_30default_config_static_selectorELNS0_4arch9wavefront6targetE0EEEvSY_
                                        ; -- End function
	.set _ZN7rocprim17ROCPRIM_400000_NS6detail17trampoline_kernelINS0_13select_configILj256ELj13ELNS0_17block_load_methodE3ELS4_3ELS4_3ELNS0_20block_scan_algorithmE0ELj4294967295EEENS1_25partition_config_selectorILNS1_17partition_subalgoE3EjNS0_10empty_typeEbEEZZNS1_14partition_implILS8_3ELb0ES6_jNS0_17counting_iteratorIjlEEPS9_SE_NS0_5tupleIJPjSE_EEENSF_IJSE_SE_EEES9_SG_JZNS1_25segmented_radix_sort_implINS0_14default_configELb0EPKhPhPKlPlN2at6native12_GLOBAL__N_18offset_tEEE10hipError_tPvRmT1_PNSt15iterator_traitsISY_E10value_typeET2_T3_PNSZ_IS14_E10value_typeET4_jRbjT5_S1A_jjP12ihipStream_tbEUljE_EEESV_SW_SX_S14_S18_S1A_T6_T7_T9_mT8_S1C_bDpT10_ENKUlT_T0_E_clISt17integral_constantIbLb1EES1O_IbLb0EEEEDaS1K_S1L_EUlS1K_E_NS1_11comp_targetILNS1_3genE5ELNS1_11target_archE942ELNS1_3gpuE9ELNS1_3repE0EEENS1_30default_config_static_selectorELNS0_4arch9wavefront6targetE0EEEvSY_.num_vgpr, 0
	.set _ZN7rocprim17ROCPRIM_400000_NS6detail17trampoline_kernelINS0_13select_configILj256ELj13ELNS0_17block_load_methodE3ELS4_3ELS4_3ELNS0_20block_scan_algorithmE0ELj4294967295EEENS1_25partition_config_selectorILNS1_17partition_subalgoE3EjNS0_10empty_typeEbEEZZNS1_14partition_implILS8_3ELb0ES6_jNS0_17counting_iteratorIjlEEPS9_SE_NS0_5tupleIJPjSE_EEENSF_IJSE_SE_EEES9_SG_JZNS1_25segmented_radix_sort_implINS0_14default_configELb0EPKhPhPKlPlN2at6native12_GLOBAL__N_18offset_tEEE10hipError_tPvRmT1_PNSt15iterator_traitsISY_E10value_typeET2_T3_PNSZ_IS14_E10value_typeET4_jRbjT5_S1A_jjP12ihipStream_tbEUljE_EEESV_SW_SX_S14_S18_S1A_T6_T7_T9_mT8_S1C_bDpT10_ENKUlT_T0_E_clISt17integral_constantIbLb1EES1O_IbLb0EEEEDaS1K_S1L_EUlS1K_E_NS1_11comp_targetILNS1_3genE5ELNS1_11target_archE942ELNS1_3gpuE9ELNS1_3repE0EEENS1_30default_config_static_selectorELNS0_4arch9wavefront6targetE0EEEvSY_.num_agpr, 0
	.set _ZN7rocprim17ROCPRIM_400000_NS6detail17trampoline_kernelINS0_13select_configILj256ELj13ELNS0_17block_load_methodE3ELS4_3ELS4_3ELNS0_20block_scan_algorithmE0ELj4294967295EEENS1_25partition_config_selectorILNS1_17partition_subalgoE3EjNS0_10empty_typeEbEEZZNS1_14partition_implILS8_3ELb0ES6_jNS0_17counting_iteratorIjlEEPS9_SE_NS0_5tupleIJPjSE_EEENSF_IJSE_SE_EEES9_SG_JZNS1_25segmented_radix_sort_implINS0_14default_configELb0EPKhPhPKlPlN2at6native12_GLOBAL__N_18offset_tEEE10hipError_tPvRmT1_PNSt15iterator_traitsISY_E10value_typeET2_T3_PNSZ_IS14_E10value_typeET4_jRbjT5_S1A_jjP12ihipStream_tbEUljE_EEESV_SW_SX_S14_S18_S1A_T6_T7_T9_mT8_S1C_bDpT10_ENKUlT_T0_E_clISt17integral_constantIbLb1EES1O_IbLb0EEEEDaS1K_S1L_EUlS1K_E_NS1_11comp_targetILNS1_3genE5ELNS1_11target_archE942ELNS1_3gpuE9ELNS1_3repE0EEENS1_30default_config_static_selectorELNS0_4arch9wavefront6targetE0EEEvSY_.numbered_sgpr, 0
	.set _ZN7rocprim17ROCPRIM_400000_NS6detail17trampoline_kernelINS0_13select_configILj256ELj13ELNS0_17block_load_methodE3ELS4_3ELS4_3ELNS0_20block_scan_algorithmE0ELj4294967295EEENS1_25partition_config_selectorILNS1_17partition_subalgoE3EjNS0_10empty_typeEbEEZZNS1_14partition_implILS8_3ELb0ES6_jNS0_17counting_iteratorIjlEEPS9_SE_NS0_5tupleIJPjSE_EEENSF_IJSE_SE_EEES9_SG_JZNS1_25segmented_radix_sort_implINS0_14default_configELb0EPKhPhPKlPlN2at6native12_GLOBAL__N_18offset_tEEE10hipError_tPvRmT1_PNSt15iterator_traitsISY_E10value_typeET2_T3_PNSZ_IS14_E10value_typeET4_jRbjT5_S1A_jjP12ihipStream_tbEUljE_EEESV_SW_SX_S14_S18_S1A_T6_T7_T9_mT8_S1C_bDpT10_ENKUlT_T0_E_clISt17integral_constantIbLb1EES1O_IbLb0EEEEDaS1K_S1L_EUlS1K_E_NS1_11comp_targetILNS1_3genE5ELNS1_11target_archE942ELNS1_3gpuE9ELNS1_3repE0EEENS1_30default_config_static_selectorELNS0_4arch9wavefront6targetE0EEEvSY_.num_named_barrier, 0
	.set _ZN7rocprim17ROCPRIM_400000_NS6detail17trampoline_kernelINS0_13select_configILj256ELj13ELNS0_17block_load_methodE3ELS4_3ELS4_3ELNS0_20block_scan_algorithmE0ELj4294967295EEENS1_25partition_config_selectorILNS1_17partition_subalgoE3EjNS0_10empty_typeEbEEZZNS1_14partition_implILS8_3ELb0ES6_jNS0_17counting_iteratorIjlEEPS9_SE_NS0_5tupleIJPjSE_EEENSF_IJSE_SE_EEES9_SG_JZNS1_25segmented_radix_sort_implINS0_14default_configELb0EPKhPhPKlPlN2at6native12_GLOBAL__N_18offset_tEEE10hipError_tPvRmT1_PNSt15iterator_traitsISY_E10value_typeET2_T3_PNSZ_IS14_E10value_typeET4_jRbjT5_S1A_jjP12ihipStream_tbEUljE_EEESV_SW_SX_S14_S18_S1A_T6_T7_T9_mT8_S1C_bDpT10_ENKUlT_T0_E_clISt17integral_constantIbLb1EES1O_IbLb0EEEEDaS1K_S1L_EUlS1K_E_NS1_11comp_targetILNS1_3genE5ELNS1_11target_archE942ELNS1_3gpuE9ELNS1_3repE0EEENS1_30default_config_static_selectorELNS0_4arch9wavefront6targetE0EEEvSY_.private_seg_size, 0
	.set _ZN7rocprim17ROCPRIM_400000_NS6detail17trampoline_kernelINS0_13select_configILj256ELj13ELNS0_17block_load_methodE3ELS4_3ELS4_3ELNS0_20block_scan_algorithmE0ELj4294967295EEENS1_25partition_config_selectorILNS1_17partition_subalgoE3EjNS0_10empty_typeEbEEZZNS1_14partition_implILS8_3ELb0ES6_jNS0_17counting_iteratorIjlEEPS9_SE_NS0_5tupleIJPjSE_EEENSF_IJSE_SE_EEES9_SG_JZNS1_25segmented_radix_sort_implINS0_14default_configELb0EPKhPhPKlPlN2at6native12_GLOBAL__N_18offset_tEEE10hipError_tPvRmT1_PNSt15iterator_traitsISY_E10value_typeET2_T3_PNSZ_IS14_E10value_typeET4_jRbjT5_S1A_jjP12ihipStream_tbEUljE_EEESV_SW_SX_S14_S18_S1A_T6_T7_T9_mT8_S1C_bDpT10_ENKUlT_T0_E_clISt17integral_constantIbLb1EES1O_IbLb0EEEEDaS1K_S1L_EUlS1K_E_NS1_11comp_targetILNS1_3genE5ELNS1_11target_archE942ELNS1_3gpuE9ELNS1_3repE0EEENS1_30default_config_static_selectorELNS0_4arch9wavefront6targetE0EEEvSY_.uses_vcc, 0
	.set _ZN7rocprim17ROCPRIM_400000_NS6detail17trampoline_kernelINS0_13select_configILj256ELj13ELNS0_17block_load_methodE3ELS4_3ELS4_3ELNS0_20block_scan_algorithmE0ELj4294967295EEENS1_25partition_config_selectorILNS1_17partition_subalgoE3EjNS0_10empty_typeEbEEZZNS1_14partition_implILS8_3ELb0ES6_jNS0_17counting_iteratorIjlEEPS9_SE_NS0_5tupleIJPjSE_EEENSF_IJSE_SE_EEES9_SG_JZNS1_25segmented_radix_sort_implINS0_14default_configELb0EPKhPhPKlPlN2at6native12_GLOBAL__N_18offset_tEEE10hipError_tPvRmT1_PNSt15iterator_traitsISY_E10value_typeET2_T3_PNSZ_IS14_E10value_typeET4_jRbjT5_S1A_jjP12ihipStream_tbEUljE_EEESV_SW_SX_S14_S18_S1A_T6_T7_T9_mT8_S1C_bDpT10_ENKUlT_T0_E_clISt17integral_constantIbLb1EES1O_IbLb0EEEEDaS1K_S1L_EUlS1K_E_NS1_11comp_targetILNS1_3genE5ELNS1_11target_archE942ELNS1_3gpuE9ELNS1_3repE0EEENS1_30default_config_static_selectorELNS0_4arch9wavefront6targetE0EEEvSY_.uses_flat_scratch, 0
	.set _ZN7rocprim17ROCPRIM_400000_NS6detail17trampoline_kernelINS0_13select_configILj256ELj13ELNS0_17block_load_methodE3ELS4_3ELS4_3ELNS0_20block_scan_algorithmE0ELj4294967295EEENS1_25partition_config_selectorILNS1_17partition_subalgoE3EjNS0_10empty_typeEbEEZZNS1_14partition_implILS8_3ELb0ES6_jNS0_17counting_iteratorIjlEEPS9_SE_NS0_5tupleIJPjSE_EEENSF_IJSE_SE_EEES9_SG_JZNS1_25segmented_radix_sort_implINS0_14default_configELb0EPKhPhPKlPlN2at6native12_GLOBAL__N_18offset_tEEE10hipError_tPvRmT1_PNSt15iterator_traitsISY_E10value_typeET2_T3_PNSZ_IS14_E10value_typeET4_jRbjT5_S1A_jjP12ihipStream_tbEUljE_EEESV_SW_SX_S14_S18_S1A_T6_T7_T9_mT8_S1C_bDpT10_ENKUlT_T0_E_clISt17integral_constantIbLb1EES1O_IbLb0EEEEDaS1K_S1L_EUlS1K_E_NS1_11comp_targetILNS1_3genE5ELNS1_11target_archE942ELNS1_3gpuE9ELNS1_3repE0EEENS1_30default_config_static_selectorELNS0_4arch9wavefront6targetE0EEEvSY_.has_dyn_sized_stack, 0
	.set _ZN7rocprim17ROCPRIM_400000_NS6detail17trampoline_kernelINS0_13select_configILj256ELj13ELNS0_17block_load_methodE3ELS4_3ELS4_3ELNS0_20block_scan_algorithmE0ELj4294967295EEENS1_25partition_config_selectorILNS1_17partition_subalgoE3EjNS0_10empty_typeEbEEZZNS1_14partition_implILS8_3ELb0ES6_jNS0_17counting_iteratorIjlEEPS9_SE_NS0_5tupleIJPjSE_EEENSF_IJSE_SE_EEES9_SG_JZNS1_25segmented_radix_sort_implINS0_14default_configELb0EPKhPhPKlPlN2at6native12_GLOBAL__N_18offset_tEEE10hipError_tPvRmT1_PNSt15iterator_traitsISY_E10value_typeET2_T3_PNSZ_IS14_E10value_typeET4_jRbjT5_S1A_jjP12ihipStream_tbEUljE_EEESV_SW_SX_S14_S18_S1A_T6_T7_T9_mT8_S1C_bDpT10_ENKUlT_T0_E_clISt17integral_constantIbLb1EES1O_IbLb0EEEEDaS1K_S1L_EUlS1K_E_NS1_11comp_targetILNS1_3genE5ELNS1_11target_archE942ELNS1_3gpuE9ELNS1_3repE0EEENS1_30default_config_static_selectorELNS0_4arch9wavefront6targetE0EEEvSY_.has_recursion, 0
	.set _ZN7rocprim17ROCPRIM_400000_NS6detail17trampoline_kernelINS0_13select_configILj256ELj13ELNS0_17block_load_methodE3ELS4_3ELS4_3ELNS0_20block_scan_algorithmE0ELj4294967295EEENS1_25partition_config_selectorILNS1_17partition_subalgoE3EjNS0_10empty_typeEbEEZZNS1_14partition_implILS8_3ELb0ES6_jNS0_17counting_iteratorIjlEEPS9_SE_NS0_5tupleIJPjSE_EEENSF_IJSE_SE_EEES9_SG_JZNS1_25segmented_radix_sort_implINS0_14default_configELb0EPKhPhPKlPlN2at6native12_GLOBAL__N_18offset_tEEE10hipError_tPvRmT1_PNSt15iterator_traitsISY_E10value_typeET2_T3_PNSZ_IS14_E10value_typeET4_jRbjT5_S1A_jjP12ihipStream_tbEUljE_EEESV_SW_SX_S14_S18_S1A_T6_T7_T9_mT8_S1C_bDpT10_ENKUlT_T0_E_clISt17integral_constantIbLb1EES1O_IbLb0EEEEDaS1K_S1L_EUlS1K_E_NS1_11comp_targetILNS1_3genE5ELNS1_11target_archE942ELNS1_3gpuE9ELNS1_3repE0EEENS1_30default_config_static_selectorELNS0_4arch9wavefront6targetE0EEEvSY_.has_indirect_call, 0
	.section	.AMDGPU.csdata,"",@progbits
; Kernel info:
; codeLenInByte = 0
; TotalNumSgprs: 0
; NumVgprs: 0
; ScratchSize: 0
; MemoryBound: 0
; FloatMode: 240
; IeeeMode: 1
; LDSByteSize: 0 bytes/workgroup (compile time only)
; SGPRBlocks: 0
; VGPRBlocks: 0
; NumSGPRsForWavesPerEU: 1
; NumVGPRsForWavesPerEU: 1
; Occupancy: 16
; WaveLimiterHint : 0
; COMPUTE_PGM_RSRC2:SCRATCH_EN: 0
; COMPUTE_PGM_RSRC2:USER_SGPR: 6
; COMPUTE_PGM_RSRC2:TRAP_HANDLER: 0
; COMPUTE_PGM_RSRC2:TGID_X_EN: 1
; COMPUTE_PGM_RSRC2:TGID_Y_EN: 0
; COMPUTE_PGM_RSRC2:TGID_Z_EN: 0
; COMPUTE_PGM_RSRC2:TIDIG_COMP_CNT: 0
	.section	.text._ZN7rocprim17ROCPRIM_400000_NS6detail17trampoline_kernelINS0_13select_configILj256ELj13ELNS0_17block_load_methodE3ELS4_3ELS4_3ELNS0_20block_scan_algorithmE0ELj4294967295EEENS1_25partition_config_selectorILNS1_17partition_subalgoE3EjNS0_10empty_typeEbEEZZNS1_14partition_implILS8_3ELb0ES6_jNS0_17counting_iteratorIjlEEPS9_SE_NS0_5tupleIJPjSE_EEENSF_IJSE_SE_EEES9_SG_JZNS1_25segmented_radix_sort_implINS0_14default_configELb0EPKhPhPKlPlN2at6native12_GLOBAL__N_18offset_tEEE10hipError_tPvRmT1_PNSt15iterator_traitsISY_E10value_typeET2_T3_PNSZ_IS14_E10value_typeET4_jRbjT5_S1A_jjP12ihipStream_tbEUljE_EEESV_SW_SX_S14_S18_S1A_T6_T7_T9_mT8_S1C_bDpT10_ENKUlT_T0_E_clISt17integral_constantIbLb1EES1O_IbLb0EEEEDaS1K_S1L_EUlS1K_E_NS1_11comp_targetILNS1_3genE4ELNS1_11target_archE910ELNS1_3gpuE8ELNS1_3repE0EEENS1_30default_config_static_selectorELNS0_4arch9wavefront6targetE0EEEvSY_,"axG",@progbits,_ZN7rocprim17ROCPRIM_400000_NS6detail17trampoline_kernelINS0_13select_configILj256ELj13ELNS0_17block_load_methodE3ELS4_3ELS4_3ELNS0_20block_scan_algorithmE0ELj4294967295EEENS1_25partition_config_selectorILNS1_17partition_subalgoE3EjNS0_10empty_typeEbEEZZNS1_14partition_implILS8_3ELb0ES6_jNS0_17counting_iteratorIjlEEPS9_SE_NS0_5tupleIJPjSE_EEENSF_IJSE_SE_EEES9_SG_JZNS1_25segmented_radix_sort_implINS0_14default_configELb0EPKhPhPKlPlN2at6native12_GLOBAL__N_18offset_tEEE10hipError_tPvRmT1_PNSt15iterator_traitsISY_E10value_typeET2_T3_PNSZ_IS14_E10value_typeET4_jRbjT5_S1A_jjP12ihipStream_tbEUljE_EEESV_SW_SX_S14_S18_S1A_T6_T7_T9_mT8_S1C_bDpT10_ENKUlT_T0_E_clISt17integral_constantIbLb1EES1O_IbLb0EEEEDaS1K_S1L_EUlS1K_E_NS1_11comp_targetILNS1_3genE4ELNS1_11target_archE910ELNS1_3gpuE8ELNS1_3repE0EEENS1_30default_config_static_selectorELNS0_4arch9wavefront6targetE0EEEvSY_,comdat
	.globl	_ZN7rocprim17ROCPRIM_400000_NS6detail17trampoline_kernelINS0_13select_configILj256ELj13ELNS0_17block_load_methodE3ELS4_3ELS4_3ELNS0_20block_scan_algorithmE0ELj4294967295EEENS1_25partition_config_selectorILNS1_17partition_subalgoE3EjNS0_10empty_typeEbEEZZNS1_14partition_implILS8_3ELb0ES6_jNS0_17counting_iteratorIjlEEPS9_SE_NS0_5tupleIJPjSE_EEENSF_IJSE_SE_EEES9_SG_JZNS1_25segmented_radix_sort_implINS0_14default_configELb0EPKhPhPKlPlN2at6native12_GLOBAL__N_18offset_tEEE10hipError_tPvRmT1_PNSt15iterator_traitsISY_E10value_typeET2_T3_PNSZ_IS14_E10value_typeET4_jRbjT5_S1A_jjP12ihipStream_tbEUljE_EEESV_SW_SX_S14_S18_S1A_T6_T7_T9_mT8_S1C_bDpT10_ENKUlT_T0_E_clISt17integral_constantIbLb1EES1O_IbLb0EEEEDaS1K_S1L_EUlS1K_E_NS1_11comp_targetILNS1_3genE4ELNS1_11target_archE910ELNS1_3gpuE8ELNS1_3repE0EEENS1_30default_config_static_selectorELNS0_4arch9wavefront6targetE0EEEvSY_ ; -- Begin function _ZN7rocprim17ROCPRIM_400000_NS6detail17trampoline_kernelINS0_13select_configILj256ELj13ELNS0_17block_load_methodE3ELS4_3ELS4_3ELNS0_20block_scan_algorithmE0ELj4294967295EEENS1_25partition_config_selectorILNS1_17partition_subalgoE3EjNS0_10empty_typeEbEEZZNS1_14partition_implILS8_3ELb0ES6_jNS0_17counting_iteratorIjlEEPS9_SE_NS0_5tupleIJPjSE_EEENSF_IJSE_SE_EEES9_SG_JZNS1_25segmented_radix_sort_implINS0_14default_configELb0EPKhPhPKlPlN2at6native12_GLOBAL__N_18offset_tEEE10hipError_tPvRmT1_PNSt15iterator_traitsISY_E10value_typeET2_T3_PNSZ_IS14_E10value_typeET4_jRbjT5_S1A_jjP12ihipStream_tbEUljE_EEESV_SW_SX_S14_S18_S1A_T6_T7_T9_mT8_S1C_bDpT10_ENKUlT_T0_E_clISt17integral_constantIbLb1EES1O_IbLb0EEEEDaS1K_S1L_EUlS1K_E_NS1_11comp_targetILNS1_3genE4ELNS1_11target_archE910ELNS1_3gpuE8ELNS1_3repE0EEENS1_30default_config_static_selectorELNS0_4arch9wavefront6targetE0EEEvSY_
	.p2align	8
	.type	_ZN7rocprim17ROCPRIM_400000_NS6detail17trampoline_kernelINS0_13select_configILj256ELj13ELNS0_17block_load_methodE3ELS4_3ELS4_3ELNS0_20block_scan_algorithmE0ELj4294967295EEENS1_25partition_config_selectorILNS1_17partition_subalgoE3EjNS0_10empty_typeEbEEZZNS1_14partition_implILS8_3ELb0ES6_jNS0_17counting_iteratorIjlEEPS9_SE_NS0_5tupleIJPjSE_EEENSF_IJSE_SE_EEES9_SG_JZNS1_25segmented_radix_sort_implINS0_14default_configELb0EPKhPhPKlPlN2at6native12_GLOBAL__N_18offset_tEEE10hipError_tPvRmT1_PNSt15iterator_traitsISY_E10value_typeET2_T3_PNSZ_IS14_E10value_typeET4_jRbjT5_S1A_jjP12ihipStream_tbEUljE_EEESV_SW_SX_S14_S18_S1A_T6_T7_T9_mT8_S1C_bDpT10_ENKUlT_T0_E_clISt17integral_constantIbLb1EES1O_IbLb0EEEEDaS1K_S1L_EUlS1K_E_NS1_11comp_targetILNS1_3genE4ELNS1_11target_archE910ELNS1_3gpuE8ELNS1_3repE0EEENS1_30default_config_static_selectorELNS0_4arch9wavefront6targetE0EEEvSY_,@function
_ZN7rocprim17ROCPRIM_400000_NS6detail17trampoline_kernelINS0_13select_configILj256ELj13ELNS0_17block_load_methodE3ELS4_3ELS4_3ELNS0_20block_scan_algorithmE0ELj4294967295EEENS1_25partition_config_selectorILNS1_17partition_subalgoE3EjNS0_10empty_typeEbEEZZNS1_14partition_implILS8_3ELb0ES6_jNS0_17counting_iteratorIjlEEPS9_SE_NS0_5tupleIJPjSE_EEENSF_IJSE_SE_EEES9_SG_JZNS1_25segmented_radix_sort_implINS0_14default_configELb0EPKhPhPKlPlN2at6native12_GLOBAL__N_18offset_tEEE10hipError_tPvRmT1_PNSt15iterator_traitsISY_E10value_typeET2_T3_PNSZ_IS14_E10value_typeET4_jRbjT5_S1A_jjP12ihipStream_tbEUljE_EEESV_SW_SX_S14_S18_S1A_T6_T7_T9_mT8_S1C_bDpT10_ENKUlT_T0_E_clISt17integral_constantIbLb1EES1O_IbLb0EEEEDaS1K_S1L_EUlS1K_E_NS1_11comp_targetILNS1_3genE4ELNS1_11target_archE910ELNS1_3gpuE8ELNS1_3repE0EEENS1_30default_config_static_selectorELNS0_4arch9wavefront6targetE0EEEvSY_: ; @_ZN7rocprim17ROCPRIM_400000_NS6detail17trampoline_kernelINS0_13select_configILj256ELj13ELNS0_17block_load_methodE3ELS4_3ELS4_3ELNS0_20block_scan_algorithmE0ELj4294967295EEENS1_25partition_config_selectorILNS1_17partition_subalgoE3EjNS0_10empty_typeEbEEZZNS1_14partition_implILS8_3ELb0ES6_jNS0_17counting_iteratorIjlEEPS9_SE_NS0_5tupleIJPjSE_EEENSF_IJSE_SE_EEES9_SG_JZNS1_25segmented_radix_sort_implINS0_14default_configELb0EPKhPhPKlPlN2at6native12_GLOBAL__N_18offset_tEEE10hipError_tPvRmT1_PNSt15iterator_traitsISY_E10value_typeET2_T3_PNSZ_IS14_E10value_typeET4_jRbjT5_S1A_jjP12ihipStream_tbEUljE_EEESV_SW_SX_S14_S18_S1A_T6_T7_T9_mT8_S1C_bDpT10_ENKUlT_T0_E_clISt17integral_constantIbLb1EES1O_IbLb0EEEEDaS1K_S1L_EUlS1K_E_NS1_11comp_targetILNS1_3genE4ELNS1_11target_archE910ELNS1_3gpuE8ELNS1_3repE0EEENS1_30default_config_static_selectorELNS0_4arch9wavefront6targetE0EEEvSY_
; %bb.0:
	.section	.rodata,"a",@progbits
	.p2align	6, 0x0
	.amdhsa_kernel _ZN7rocprim17ROCPRIM_400000_NS6detail17trampoline_kernelINS0_13select_configILj256ELj13ELNS0_17block_load_methodE3ELS4_3ELS4_3ELNS0_20block_scan_algorithmE0ELj4294967295EEENS1_25partition_config_selectorILNS1_17partition_subalgoE3EjNS0_10empty_typeEbEEZZNS1_14partition_implILS8_3ELb0ES6_jNS0_17counting_iteratorIjlEEPS9_SE_NS0_5tupleIJPjSE_EEENSF_IJSE_SE_EEES9_SG_JZNS1_25segmented_radix_sort_implINS0_14default_configELb0EPKhPhPKlPlN2at6native12_GLOBAL__N_18offset_tEEE10hipError_tPvRmT1_PNSt15iterator_traitsISY_E10value_typeET2_T3_PNSZ_IS14_E10value_typeET4_jRbjT5_S1A_jjP12ihipStream_tbEUljE_EEESV_SW_SX_S14_S18_S1A_T6_T7_T9_mT8_S1C_bDpT10_ENKUlT_T0_E_clISt17integral_constantIbLb1EES1O_IbLb0EEEEDaS1K_S1L_EUlS1K_E_NS1_11comp_targetILNS1_3genE4ELNS1_11target_archE910ELNS1_3gpuE8ELNS1_3repE0EEENS1_30default_config_static_selectorELNS0_4arch9wavefront6targetE0EEEvSY_
		.amdhsa_group_segment_fixed_size 0
		.amdhsa_private_segment_fixed_size 0
		.amdhsa_kernarg_size 144
		.amdhsa_user_sgpr_count 6
		.amdhsa_user_sgpr_private_segment_buffer 1
		.amdhsa_user_sgpr_dispatch_ptr 0
		.amdhsa_user_sgpr_queue_ptr 0
		.amdhsa_user_sgpr_kernarg_segment_ptr 1
		.amdhsa_user_sgpr_dispatch_id 0
		.amdhsa_user_sgpr_flat_scratch_init 0
		.amdhsa_user_sgpr_private_segment_size 0
		.amdhsa_wavefront_size32 1
		.amdhsa_uses_dynamic_stack 0
		.amdhsa_system_sgpr_private_segment_wavefront_offset 0
		.amdhsa_system_sgpr_workgroup_id_x 1
		.amdhsa_system_sgpr_workgroup_id_y 0
		.amdhsa_system_sgpr_workgroup_id_z 0
		.amdhsa_system_sgpr_workgroup_info 0
		.amdhsa_system_vgpr_workitem_id 0
		.amdhsa_next_free_vgpr 1
		.amdhsa_next_free_sgpr 1
		.amdhsa_reserve_vcc 0
		.amdhsa_reserve_flat_scratch 0
		.amdhsa_float_round_mode_32 0
		.amdhsa_float_round_mode_16_64 0
		.amdhsa_float_denorm_mode_32 3
		.amdhsa_float_denorm_mode_16_64 3
		.amdhsa_dx10_clamp 1
		.amdhsa_ieee_mode 1
		.amdhsa_fp16_overflow 0
		.amdhsa_workgroup_processor_mode 1
		.amdhsa_memory_ordered 1
		.amdhsa_forward_progress 1
		.amdhsa_shared_vgpr_count 0
		.amdhsa_exception_fp_ieee_invalid_op 0
		.amdhsa_exception_fp_denorm_src 0
		.amdhsa_exception_fp_ieee_div_zero 0
		.amdhsa_exception_fp_ieee_overflow 0
		.amdhsa_exception_fp_ieee_underflow 0
		.amdhsa_exception_fp_ieee_inexact 0
		.amdhsa_exception_int_div_zero 0
	.end_amdhsa_kernel
	.section	.text._ZN7rocprim17ROCPRIM_400000_NS6detail17trampoline_kernelINS0_13select_configILj256ELj13ELNS0_17block_load_methodE3ELS4_3ELS4_3ELNS0_20block_scan_algorithmE0ELj4294967295EEENS1_25partition_config_selectorILNS1_17partition_subalgoE3EjNS0_10empty_typeEbEEZZNS1_14partition_implILS8_3ELb0ES6_jNS0_17counting_iteratorIjlEEPS9_SE_NS0_5tupleIJPjSE_EEENSF_IJSE_SE_EEES9_SG_JZNS1_25segmented_radix_sort_implINS0_14default_configELb0EPKhPhPKlPlN2at6native12_GLOBAL__N_18offset_tEEE10hipError_tPvRmT1_PNSt15iterator_traitsISY_E10value_typeET2_T3_PNSZ_IS14_E10value_typeET4_jRbjT5_S1A_jjP12ihipStream_tbEUljE_EEESV_SW_SX_S14_S18_S1A_T6_T7_T9_mT8_S1C_bDpT10_ENKUlT_T0_E_clISt17integral_constantIbLb1EES1O_IbLb0EEEEDaS1K_S1L_EUlS1K_E_NS1_11comp_targetILNS1_3genE4ELNS1_11target_archE910ELNS1_3gpuE8ELNS1_3repE0EEENS1_30default_config_static_selectorELNS0_4arch9wavefront6targetE0EEEvSY_,"axG",@progbits,_ZN7rocprim17ROCPRIM_400000_NS6detail17trampoline_kernelINS0_13select_configILj256ELj13ELNS0_17block_load_methodE3ELS4_3ELS4_3ELNS0_20block_scan_algorithmE0ELj4294967295EEENS1_25partition_config_selectorILNS1_17partition_subalgoE3EjNS0_10empty_typeEbEEZZNS1_14partition_implILS8_3ELb0ES6_jNS0_17counting_iteratorIjlEEPS9_SE_NS0_5tupleIJPjSE_EEENSF_IJSE_SE_EEES9_SG_JZNS1_25segmented_radix_sort_implINS0_14default_configELb0EPKhPhPKlPlN2at6native12_GLOBAL__N_18offset_tEEE10hipError_tPvRmT1_PNSt15iterator_traitsISY_E10value_typeET2_T3_PNSZ_IS14_E10value_typeET4_jRbjT5_S1A_jjP12ihipStream_tbEUljE_EEESV_SW_SX_S14_S18_S1A_T6_T7_T9_mT8_S1C_bDpT10_ENKUlT_T0_E_clISt17integral_constantIbLb1EES1O_IbLb0EEEEDaS1K_S1L_EUlS1K_E_NS1_11comp_targetILNS1_3genE4ELNS1_11target_archE910ELNS1_3gpuE8ELNS1_3repE0EEENS1_30default_config_static_selectorELNS0_4arch9wavefront6targetE0EEEvSY_,comdat
.Lfunc_end171:
	.size	_ZN7rocprim17ROCPRIM_400000_NS6detail17trampoline_kernelINS0_13select_configILj256ELj13ELNS0_17block_load_methodE3ELS4_3ELS4_3ELNS0_20block_scan_algorithmE0ELj4294967295EEENS1_25partition_config_selectorILNS1_17partition_subalgoE3EjNS0_10empty_typeEbEEZZNS1_14partition_implILS8_3ELb0ES6_jNS0_17counting_iteratorIjlEEPS9_SE_NS0_5tupleIJPjSE_EEENSF_IJSE_SE_EEES9_SG_JZNS1_25segmented_radix_sort_implINS0_14default_configELb0EPKhPhPKlPlN2at6native12_GLOBAL__N_18offset_tEEE10hipError_tPvRmT1_PNSt15iterator_traitsISY_E10value_typeET2_T3_PNSZ_IS14_E10value_typeET4_jRbjT5_S1A_jjP12ihipStream_tbEUljE_EEESV_SW_SX_S14_S18_S1A_T6_T7_T9_mT8_S1C_bDpT10_ENKUlT_T0_E_clISt17integral_constantIbLb1EES1O_IbLb0EEEEDaS1K_S1L_EUlS1K_E_NS1_11comp_targetILNS1_3genE4ELNS1_11target_archE910ELNS1_3gpuE8ELNS1_3repE0EEENS1_30default_config_static_selectorELNS0_4arch9wavefront6targetE0EEEvSY_, .Lfunc_end171-_ZN7rocprim17ROCPRIM_400000_NS6detail17trampoline_kernelINS0_13select_configILj256ELj13ELNS0_17block_load_methodE3ELS4_3ELS4_3ELNS0_20block_scan_algorithmE0ELj4294967295EEENS1_25partition_config_selectorILNS1_17partition_subalgoE3EjNS0_10empty_typeEbEEZZNS1_14partition_implILS8_3ELb0ES6_jNS0_17counting_iteratorIjlEEPS9_SE_NS0_5tupleIJPjSE_EEENSF_IJSE_SE_EEES9_SG_JZNS1_25segmented_radix_sort_implINS0_14default_configELb0EPKhPhPKlPlN2at6native12_GLOBAL__N_18offset_tEEE10hipError_tPvRmT1_PNSt15iterator_traitsISY_E10value_typeET2_T3_PNSZ_IS14_E10value_typeET4_jRbjT5_S1A_jjP12ihipStream_tbEUljE_EEESV_SW_SX_S14_S18_S1A_T6_T7_T9_mT8_S1C_bDpT10_ENKUlT_T0_E_clISt17integral_constantIbLb1EES1O_IbLb0EEEEDaS1K_S1L_EUlS1K_E_NS1_11comp_targetILNS1_3genE4ELNS1_11target_archE910ELNS1_3gpuE8ELNS1_3repE0EEENS1_30default_config_static_selectorELNS0_4arch9wavefront6targetE0EEEvSY_
                                        ; -- End function
	.set _ZN7rocprim17ROCPRIM_400000_NS6detail17trampoline_kernelINS0_13select_configILj256ELj13ELNS0_17block_load_methodE3ELS4_3ELS4_3ELNS0_20block_scan_algorithmE0ELj4294967295EEENS1_25partition_config_selectorILNS1_17partition_subalgoE3EjNS0_10empty_typeEbEEZZNS1_14partition_implILS8_3ELb0ES6_jNS0_17counting_iteratorIjlEEPS9_SE_NS0_5tupleIJPjSE_EEENSF_IJSE_SE_EEES9_SG_JZNS1_25segmented_radix_sort_implINS0_14default_configELb0EPKhPhPKlPlN2at6native12_GLOBAL__N_18offset_tEEE10hipError_tPvRmT1_PNSt15iterator_traitsISY_E10value_typeET2_T3_PNSZ_IS14_E10value_typeET4_jRbjT5_S1A_jjP12ihipStream_tbEUljE_EEESV_SW_SX_S14_S18_S1A_T6_T7_T9_mT8_S1C_bDpT10_ENKUlT_T0_E_clISt17integral_constantIbLb1EES1O_IbLb0EEEEDaS1K_S1L_EUlS1K_E_NS1_11comp_targetILNS1_3genE4ELNS1_11target_archE910ELNS1_3gpuE8ELNS1_3repE0EEENS1_30default_config_static_selectorELNS0_4arch9wavefront6targetE0EEEvSY_.num_vgpr, 0
	.set _ZN7rocprim17ROCPRIM_400000_NS6detail17trampoline_kernelINS0_13select_configILj256ELj13ELNS0_17block_load_methodE3ELS4_3ELS4_3ELNS0_20block_scan_algorithmE0ELj4294967295EEENS1_25partition_config_selectorILNS1_17partition_subalgoE3EjNS0_10empty_typeEbEEZZNS1_14partition_implILS8_3ELb0ES6_jNS0_17counting_iteratorIjlEEPS9_SE_NS0_5tupleIJPjSE_EEENSF_IJSE_SE_EEES9_SG_JZNS1_25segmented_radix_sort_implINS0_14default_configELb0EPKhPhPKlPlN2at6native12_GLOBAL__N_18offset_tEEE10hipError_tPvRmT1_PNSt15iterator_traitsISY_E10value_typeET2_T3_PNSZ_IS14_E10value_typeET4_jRbjT5_S1A_jjP12ihipStream_tbEUljE_EEESV_SW_SX_S14_S18_S1A_T6_T7_T9_mT8_S1C_bDpT10_ENKUlT_T0_E_clISt17integral_constantIbLb1EES1O_IbLb0EEEEDaS1K_S1L_EUlS1K_E_NS1_11comp_targetILNS1_3genE4ELNS1_11target_archE910ELNS1_3gpuE8ELNS1_3repE0EEENS1_30default_config_static_selectorELNS0_4arch9wavefront6targetE0EEEvSY_.num_agpr, 0
	.set _ZN7rocprim17ROCPRIM_400000_NS6detail17trampoline_kernelINS0_13select_configILj256ELj13ELNS0_17block_load_methodE3ELS4_3ELS4_3ELNS0_20block_scan_algorithmE0ELj4294967295EEENS1_25partition_config_selectorILNS1_17partition_subalgoE3EjNS0_10empty_typeEbEEZZNS1_14partition_implILS8_3ELb0ES6_jNS0_17counting_iteratorIjlEEPS9_SE_NS0_5tupleIJPjSE_EEENSF_IJSE_SE_EEES9_SG_JZNS1_25segmented_radix_sort_implINS0_14default_configELb0EPKhPhPKlPlN2at6native12_GLOBAL__N_18offset_tEEE10hipError_tPvRmT1_PNSt15iterator_traitsISY_E10value_typeET2_T3_PNSZ_IS14_E10value_typeET4_jRbjT5_S1A_jjP12ihipStream_tbEUljE_EEESV_SW_SX_S14_S18_S1A_T6_T7_T9_mT8_S1C_bDpT10_ENKUlT_T0_E_clISt17integral_constantIbLb1EES1O_IbLb0EEEEDaS1K_S1L_EUlS1K_E_NS1_11comp_targetILNS1_3genE4ELNS1_11target_archE910ELNS1_3gpuE8ELNS1_3repE0EEENS1_30default_config_static_selectorELNS0_4arch9wavefront6targetE0EEEvSY_.numbered_sgpr, 0
	.set _ZN7rocprim17ROCPRIM_400000_NS6detail17trampoline_kernelINS0_13select_configILj256ELj13ELNS0_17block_load_methodE3ELS4_3ELS4_3ELNS0_20block_scan_algorithmE0ELj4294967295EEENS1_25partition_config_selectorILNS1_17partition_subalgoE3EjNS0_10empty_typeEbEEZZNS1_14partition_implILS8_3ELb0ES6_jNS0_17counting_iteratorIjlEEPS9_SE_NS0_5tupleIJPjSE_EEENSF_IJSE_SE_EEES9_SG_JZNS1_25segmented_radix_sort_implINS0_14default_configELb0EPKhPhPKlPlN2at6native12_GLOBAL__N_18offset_tEEE10hipError_tPvRmT1_PNSt15iterator_traitsISY_E10value_typeET2_T3_PNSZ_IS14_E10value_typeET4_jRbjT5_S1A_jjP12ihipStream_tbEUljE_EEESV_SW_SX_S14_S18_S1A_T6_T7_T9_mT8_S1C_bDpT10_ENKUlT_T0_E_clISt17integral_constantIbLb1EES1O_IbLb0EEEEDaS1K_S1L_EUlS1K_E_NS1_11comp_targetILNS1_3genE4ELNS1_11target_archE910ELNS1_3gpuE8ELNS1_3repE0EEENS1_30default_config_static_selectorELNS0_4arch9wavefront6targetE0EEEvSY_.num_named_barrier, 0
	.set _ZN7rocprim17ROCPRIM_400000_NS6detail17trampoline_kernelINS0_13select_configILj256ELj13ELNS0_17block_load_methodE3ELS4_3ELS4_3ELNS0_20block_scan_algorithmE0ELj4294967295EEENS1_25partition_config_selectorILNS1_17partition_subalgoE3EjNS0_10empty_typeEbEEZZNS1_14partition_implILS8_3ELb0ES6_jNS0_17counting_iteratorIjlEEPS9_SE_NS0_5tupleIJPjSE_EEENSF_IJSE_SE_EEES9_SG_JZNS1_25segmented_radix_sort_implINS0_14default_configELb0EPKhPhPKlPlN2at6native12_GLOBAL__N_18offset_tEEE10hipError_tPvRmT1_PNSt15iterator_traitsISY_E10value_typeET2_T3_PNSZ_IS14_E10value_typeET4_jRbjT5_S1A_jjP12ihipStream_tbEUljE_EEESV_SW_SX_S14_S18_S1A_T6_T7_T9_mT8_S1C_bDpT10_ENKUlT_T0_E_clISt17integral_constantIbLb1EES1O_IbLb0EEEEDaS1K_S1L_EUlS1K_E_NS1_11comp_targetILNS1_3genE4ELNS1_11target_archE910ELNS1_3gpuE8ELNS1_3repE0EEENS1_30default_config_static_selectorELNS0_4arch9wavefront6targetE0EEEvSY_.private_seg_size, 0
	.set _ZN7rocprim17ROCPRIM_400000_NS6detail17trampoline_kernelINS0_13select_configILj256ELj13ELNS0_17block_load_methodE3ELS4_3ELS4_3ELNS0_20block_scan_algorithmE0ELj4294967295EEENS1_25partition_config_selectorILNS1_17partition_subalgoE3EjNS0_10empty_typeEbEEZZNS1_14partition_implILS8_3ELb0ES6_jNS0_17counting_iteratorIjlEEPS9_SE_NS0_5tupleIJPjSE_EEENSF_IJSE_SE_EEES9_SG_JZNS1_25segmented_radix_sort_implINS0_14default_configELb0EPKhPhPKlPlN2at6native12_GLOBAL__N_18offset_tEEE10hipError_tPvRmT1_PNSt15iterator_traitsISY_E10value_typeET2_T3_PNSZ_IS14_E10value_typeET4_jRbjT5_S1A_jjP12ihipStream_tbEUljE_EEESV_SW_SX_S14_S18_S1A_T6_T7_T9_mT8_S1C_bDpT10_ENKUlT_T0_E_clISt17integral_constantIbLb1EES1O_IbLb0EEEEDaS1K_S1L_EUlS1K_E_NS1_11comp_targetILNS1_3genE4ELNS1_11target_archE910ELNS1_3gpuE8ELNS1_3repE0EEENS1_30default_config_static_selectorELNS0_4arch9wavefront6targetE0EEEvSY_.uses_vcc, 0
	.set _ZN7rocprim17ROCPRIM_400000_NS6detail17trampoline_kernelINS0_13select_configILj256ELj13ELNS0_17block_load_methodE3ELS4_3ELS4_3ELNS0_20block_scan_algorithmE0ELj4294967295EEENS1_25partition_config_selectorILNS1_17partition_subalgoE3EjNS0_10empty_typeEbEEZZNS1_14partition_implILS8_3ELb0ES6_jNS0_17counting_iteratorIjlEEPS9_SE_NS0_5tupleIJPjSE_EEENSF_IJSE_SE_EEES9_SG_JZNS1_25segmented_radix_sort_implINS0_14default_configELb0EPKhPhPKlPlN2at6native12_GLOBAL__N_18offset_tEEE10hipError_tPvRmT1_PNSt15iterator_traitsISY_E10value_typeET2_T3_PNSZ_IS14_E10value_typeET4_jRbjT5_S1A_jjP12ihipStream_tbEUljE_EEESV_SW_SX_S14_S18_S1A_T6_T7_T9_mT8_S1C_bDpT10_ENKUlT_T0_E_clISt17integral_constantIbLb1EES1O_IbLb0EEEEDaS1K_S1L_EUlS1K_E_NS1_11comp_targetILNS1_3genE4ELNS1_11target_archE910ELNS1_3gpuE8ELNS1_3repE0EEENS1_30default_config_static_selectorELNS0_4arch9wavefront6targetE0EEEvSY_.uses_flat_scratch, 0
	.set _ZN7rocprim17ROCPRIM_400000_NS6detail17trampoline_kernelINS0_13select_configILj256ELj13ELNS0_17block_load_methodE3ELS4_3ELS4_3ELNS0_20block_scan_algorithmE0ELj4294967295EEENS1_25partition_config_selectorILNS1_17partition_subalgoE3EjNS0_10empty_typeEbEEZZNS1_14partition_implILS8_3ELb0ES6_jNS0_17counting_iteratorIjlEEPS9_SE_NS0_5tupleIJPjSE_EEENSF_IJSE_SE_EEES9_SG_JZNS1_25segmented_radix_sort_implINS0_14default_configELb0EPKhPhPKlPlN2at6native12_GLOBAL__N_18offset_tEEE10hipError_tPvRmT1_PNSt15iterator_traitsISY_E10value_typeET2_T3_PNSZ_IS14_E10value_typeET4_jRbjT5_S1A_jjP12ihipStream_tbEUljE_EEESV_SW_SX_S14_S18_S1A_T6_T7_T9_mT8_S1C_bDpT10_ENKUlT_T0_E_clISt17integral_constantIbLb1EES1O_IbLb0EEEEDaS1K_S1L_EUlS1K_E_NS1_11comp_targetILNS1_3genE4ELNS1_11target_archE910ELNS1_3gpuE8ELNS1_3repE0EEENS1_30default_config_static_selectorELNS0_4arch9wavefront6targetE0EEEvSY_.has_dyn_sized_stack, 0
	.set _ZN7rocprim17ROCPRIM_400000_NS6detail17trampoline_kernelINS0_13select_configILj256ELj13ELNS0_17block_load_methodE3ELS4_3ELS4_3ELNS0_20block_scan_algorithmE0ELj4294967295EEENS1_25partition_config_selectorILNS1_17partition_subalgoE3EjNS0_10empty_typeEbEEZZNS1_14partition_implILS8_3ELb0ES6_jNS0_17counting_iteratorIjlEEPS9_SE_NS0_5tupleIJPjSE_EEENSF_IJSE_SE_EEES9_SG_JZNS1_25segmented_radix_sort_implINS0_14default_configELb0EPKhPhPKlPlN2at6native12_GLOBAL__N_18offset_tEEE10hipError_tPvRmT1_PNSt15iterator_traitsISY_E10value_typeET2_T3_PNSZ_IS14_E10value_typeET4_jRbjT5_S1A_jjP12ihipStream_tbEUljE_EEESV_SW_SX_S14_S18_S1A_T6_T7_T9_mT8_S1C_bDpT10_ENKUlT_T0_E_clISt17integral_constantIbLb1EES1O_IbLb0EEEEDaS1K_S1L_EUlS1K_E_NS1_11comp_targetILNS1_3genE4ELNS1_11target_archE910ELNS1_3gpuE8ELNS1_3repE0EEENS1_30default_config_static_selectorELNS0_4arch9wavefront6targetE0EEEvSY_.has_recursion, 0
	.set _ZN7rocprim17ROCPRIM_400000_NS6detail17trampoline_kernelINS0_13select_configILj256ELj13ELNS0_17block_load_methodE3ELS4_3ELS4_3ELNS0_20block_scan_algorithmE0ELj4294967295EEENS1_25partition_config_selectorILNS1_17partition_subalgoE3EjNS0_10empty_typeEbEEZZNS1_14partition_implILS8_3ELb0ES6_jNS0_17counting_iteratorIjlEEPS9_SE_NS0_5tupleIJPjSE_EEENSF_IJSE_SE_EEES9_SG_JZNS1_25segmented_radix_sort_implINS0_14default_configELb0EPKhPhPKlPlN2at6native12_GLOBAL__N_18offset_tEEE10hipError_tPvRmT1_PNSt15iterator_traitsISY_E10value_typeET2_T3_PNSZ_IS14_E10value_typeET4_jRbjT5_S1A_jjP12ihipStream_tbEUljE_EEESV_SW_SX_S14_S18_S1A_T6_T7_T9_mT8_S1C_bDpT10_ENKUlT_T0_E_clISt17integral_constantIbLb1EES1O_IbLb0EEEEDaS1K_S1L_EUlS1K_E_NS1_11comp_targetILNS1_3genE4ELNS1_11target_archE910ELNS1_3gpuE8ELNS1_3repE0EEENS1_30default_config_static_selectorELNS0_4arch9wavefront6targetE0EEEvSY_.has_indirect_call, 0
	.section	.AMDGPU.csdata,"",@progbits
; Kernel info:
; codeLenInByte = 0
; TotalNumSgprs: 0
; NumVgprs: 0
; ScratchSize: 0
; MemoryBound: 0
; FloatMode: 240
; IeeeMode: 1
; LDSByteSize: 0 bytes/workgroup (compile time only)
; SGPRBlocks: 0
; VGPRBlocks: 0
; NumSGPRsForWavesPerEU: 1
; NumVGPRsForWavesPerEU: 1
; Occupancy: 16
; WaveLimiterHint : 0
; COMPUTE_PGM_RSRC2:SCRATCH_EN: 0
; COMPUTE_PGM_RSRC2:USER_SGPR: 6
; COMPUTE_PGM_RSRC2:TRAP_HANDLER: 0
; COMPUTE_PGM_RSRC2:TGID_X_EN: 1
; COMPUTE_PGM_RSRC2:TGID_Y_EN: 0
; COMPUTE_PGM_RSRC2:TGID_Z_EN: 0
; COMPUTE_PGM_RSRC2:TIDIG_COMP_CNT: 0
	.section	.text._ZN7rocprim17ROCPRIM_400000_NS6detail17trampoline_kernelINS0_13select_configILj256ELj13ELNS0_17block_load_methodE3ELS4_3ELS4_3ELNS0_20block_scan_algorithmE0ELj4294967295EEENS1_25partition_config_selectorILNS1_17partition_subalgoE3EjNS0_10empty_typeEbEEZZNS1_14partition_implILS8_3ELb0ES6_jNS0_17counting_iteratorIjlEEPS9_SE_NS0_5tupleIJPjSE_EEENSF_IJSE_SE_EEES9_SG_JZNS1_25segmented_radix_sort_implINS0_14default_configELb0EPKhPhPKlPlN2at6native12_GLOBAL__N_18offset_tEEE10hipError_tPvRmT1_PNSt15iterator_traitsISY_E10value_typeET2_T3_PNSZ_IS14_E10value_typeET4_jRbjT5_S1A_jjP12ihipStream_tbEUljE_EEESV_SW_SX_S14_S18_S1A_T6_T7_T9_mT8_S1C_bDpT10_ENKUlT_T0_E_clISt17integral_constantIbLb1EES1O_IbLb0EEEEDaS1K_S1L_EUlS1K_E_NS1_11comp_targetILNS1_3genE3ELNS1_11target_archE908ELNS1_3gpuE7ELNS1_3repE0EEENS1_30default_config_static_selectorELNS0_4arch9wavefront6targetE0EEEvSY_,"axG",@progbits,_ZN7rocprim17ROCPRIM_400000_NS6detail17trampoline_kernelINS0_13select_configILj256ELj13ELNS0_17block_load_methodE3ELS4_3ELS4_3ELNS0_20block_scan_algorithmE0ELj4294967295EEENS1_25partition_config_selectorILNS1_17partition_subalgoE3EjNS0_10empty_typeEbEEZZNS1_14partition_implILS8_3ELb0ES6_jNS0_17counting_iteratorIjlEEPS9_SE_NS0_5tupleIJPjSE_EEENSF_IJSE_SE_EEES9_SG_JZNS1_25segmented_radix_sort_implINS0_14default_configELb0EPKhPhPKlPlN2at6native12_GLOBAL__N_18offset_tEEE10hipError_tPvRmT1_PNSt15iterator_traitsISY_E10value_typeET2_T3_PNSZ_IS14_E10value_typeET4_jRbjT5_S1A_jjP12ihipStream_tbEUljE_EEESV_SW_SX_S14_S18_S1A_T6_T7_T9_mT8_S1C_bDpT10_ENKUlT_T0_E_clISt17integral_constantIbLb1EES1O_IbLb0EEEEDaS1K_S1L_EUlS1K_E_NS1_11comp_targetILNS1_3genE3ELNS1_11target_archE908ELNS1_3gpuE7ELNS1_3repE0EEENS1_30default_config_static_selectorELNS0_4arch9wavefront6targetE0EEEvSY_,comdat
	.globl	_ZN7rocprim17ROCPRIM_400000_NS6detail17trampoline_kernelINS0_13select_configILj256ELj13ELNS0_17block_load_methodE3ELS4_3ELS4_3ELNS0_20block_scan_algorithmE0ELj4294967295EEENS1_25partition_config_selectorILNS1_17partition_subalgoE3EjNS0_10empty_typeEbEEZZNS1_14partition_implILS8_3ELb0ES6_jNS0_17counting_iteratorIjlEEPS9_SE_NS0_5tupleIJPjSE_EEENSF_IJSE_SE_EEES9_SG_JZNS1_25segmented_radix_sort_implINS0_14default_configELb0EPKhPhPKlPlN2at6native12_GLOBAL__N_18offset_tEEE10hipError_tPvRmT1_PNSt15iterator_traitsISY_E10value_typeET2_T3_PNSZ_IS14_E10value_typeET4_jRbjT5_S1A_jjP12ihipStream_tbEUljE_EEESV_SW_SX_S14_S18_S1A_T6_T7_T9_mT8_S1C_bDpT10_ENKUlT_T0_E_clISt17integral_constantIbLb1EES1O_IbLb0EEEEDaS1K_S1L_EUlS1K_E_NS1_11comp_targetILNS1_3genE3ELNS1_11target_archE908ELNS1_3gpuE7ELNS1_3repE0EEENS1_30default_config_static_selectorELNS0_4arch9wavefront6targetE0EEEvSY_ ; -- Begin function _ZN7rocprim17ROCPRIM_400000_NS6detail17trampoline_kernelINS0_13select_configILj256ELj13ELNS0_17block_load_methodE3ELS4_3ELS4_3ELNS0_20block_scan_algorithmE0ELj4294967295EEENS1_25partition_config_selectorILNS1_17partition_subalgoE3EjNS0_10empty_typeEbEEZZNS1_14partition_implILS8_3ELb0ES6_jNS0_17counting_iteratorIjlEEPS9_SE_NS0_5tupleIJPjSE_EEENSF_IJSE_SE_EEES9_SG_JZNS1_25segmented_radix_sort_implINS0_14default_configELb0EPKhPhPKlPlN2at6native12_GLOBAL__N_18offset_tEEE10hipError_tPvRmT1_PNSt15iterator_traitsISY_E10value_typeET2_T3_PNSZ_IS14_E10value_typeET4_jRbjT5_S1A_jjP12ihipStream_tbEUljE_EEESV_SW_SX_S14_S18_S1A_T6_T7_T9_mT8_S1C_bDpT10_ENKUlT_T0_E_clISt17integral_constantIbLb1EES1O_IbLb0EEEEDaS1K_S1L_EUlS1K_E_NS1_11comp_targetILNS1_3genE3ELNS1_11target_archE908ELNS1_3gpuE7ELNS1_3repE0EEENS1_30default_config_static_selectorELNS0_4arch9wavefront6targetE0EEEvSY_
	.p2align	8
	.type	_ZN7rocprim17ROCPRIM_400000_NS6detail17trampoline_kernelINS0_13select_configILj256ELj13ELNS0_17block_load_methodE3ELS4_3ELS4_3ELNS0_20block_scan_algorithmE0ELj4294967295EEENS1_25partition_config_selectorILNS1_17partition_subalgoE3EjNS0_10empty_typeEbEEZZNS1_14partition_implILS8_3ELb0ES6_jNS0_17counting_iteratorIjlEEPS9_SE_NS0_5tupleIJPjSE_EEENSF_IJSE_SE_EEES9_SG_JZNS1_25segmented_radix_sort_implINS0_14default_configELb0EPKhPhPKlPlN2at6native12_GLOBAL__N_18offset_tEEE10hipError_tPvRmT1_PNSt15iterator_traitsISY_E10value_typeET2_T3_PNSZ_IS14_E10value_typeET4_jRbjT5_S1A_jjP12ihipStream_tbEUljE_EEESV_SW_SX_S14_S18_S1A_T6_T7_T9_mT8_S1C_bDpT10_ENKUlT_T0_E_clISt17integral_constantIbLb1EES1O_IbLb0EEEEDaS1K_S1L_EUlS1K_E_NS1_11comp_targetILNS1_3genE3ELNS1_11target_archE908ELNS1_3gpuE7ELNS1_3repE0EEENS1_30default_config_static_selectorELNS0_4arch9wavefront6targetE0EEEvSY_,@function
_ZN7rocprim17ROCPRIM_400000_NS6detail17trampoline_kernelINS0_13select_configILj256ELj13ELNS0_17block_load_methodE3ELS4_3ELS4_3ELNS0_20block_scan_algorithmE0ELj4294967295EEENS1_25partition_config_selectorILNS1_17partition_subalgoE3EjNS0_10empty_typeEbEEZZNS1_14partition_implILS8_3ELb0ES6_jNS0_17counting_iteratorIjlEEPS9_SE_NS0_5tupleIJPjSE_EEENSF_IJSE_SE_EEES9_SG_JZNS1_25segmented_radix_sort_implINS0_14default_configELb0EPKhPhPKlPlN2at6native12_GLOBAL__N_18offset_tEEE10hipError_tPvRmT1_PNSt15iterator_traitsISY_E10value_typeET2_T3_PNSZ_IS14_E10value_typeET4_jRbjT5_S1A_jjP12ihipStream_tbEUljE_EEESV_SW_SX_S14_S18_S1A_T6_T7_T9_mT8_S1C_bDpT10_ENKUlT_T0_E_clISt17integral_constantIbLb1EES1O_IbLb0EEEEDaS1K_S1L_EUlS1K_E_NS1_11comp_targetILNS1_3genE3ELNS1_11target_archE908ELNS1_3gpuE7ELNS1_3repE0EEENS1_30default_config_static_selectorELNS0_4arch9wavefront6targetE0EEEvSY_: ; @_ZN7rocprim17ROCPRIM_400000_NS6detail17trampoline_kernelINS0_13select_configILj256ELj13ELNS0_17block_load_methodE3ELS4_3ELS4_3ELNS0_20block_scan_algorithmE0ELj4294967295EEENS1_25partition_config_selectorILNS1_17partition_subalgoE3EjNS0_10empty_typeEbEEZZNS1_14partition_implILS8_3ELb0ES6_jNS0_17counting_iteratorIjlEEPS9_SE_NS0_5tupleIJPjSE_EEENSF_IJSE_SE_EEES9_SG_JZNS1_25segmented_radix_sort_implINS0_14default_configELb0EPKhPhPKlPlN2at6native12_GLOBAL__N_18offset_tEEE10hipError_tPvRmT1_PNSt15iterator_traitsISY_E10value_typeET2_T3_PNSZ_IS14_E10value_typeET4_jRbjT5_S1A_jjP12ihipStream_tbEUljE_EEESV_SW_SX_S14_S18_S1A_T6_T7_T9_mT8_S1C_bDpT10_ENKUlT_T0_E_clISt17integral_constantIbLb1EES1O_IbLb0EEEEDaS1K_S1L_EUlS1K_E_NS1_11comp_targetILNS1_3genE3ELNS1_11target_archE908ELNS1_3gpuE7ELNS1_3repE0EEENS1_30default_config_static_selectorELNS0_4arch9wavefront6targetE0EEEvSY_
; %bb.0:
	.section	.rodata,"a",@progbits
	.p2align	6, 0x0
	.amdhsa_kernel _ZN7rocprim17ROCPRIM_400000_NS6detail17trampoline_kernelINS0_13select_configILj256ELj13ELNS0_17block_load_methodE3ELS4_3ELS4_3ELNS0_20block_scan_algorithmE0ELj4294967295EEENS1_25partition_config_selectorILNS1_17partition_subalgoE3EjNS0_10empty_typeEbEEZZNS1_14partition_implILS8_3ELb0ES6_jNS0_17counting_iteratorIjlEEPS9_SE_NS0_5tupleIJPjSE_EEENSF_IJSE_SE_EEES9_SG_JZNS1_25segmented_radix_sort_implINS0_14default_configELb0EPKhPhPKlPlN2at6native12_GLOBAL__N_18offset_tEEE10hipError_tPvRmT1_PNSt15iterator_traitsISY_E10value_typeET2_T3_PNSZ_IS14_E10value_typeET4_jRbjT5_S1A_jjP12ihipStream_tbEUljE_EEESV_SW_SX_S14_S18_S1A_T6_T7_T9_mT8_S1C_bDpT10_ENKUlT_T0_E_clISt17integral_constantIbLb1EES1O_IbLb0EEEEDaS1K_S1L_EUlS1K_E_NS1_11comp_targetILNS1_3genE3ELNS1_11target_archE908ELNS1_3gpuE7ELNS1_3repE0EEENS1_30default_config_static_selectorELNS0_4arch9wavefront6targetE0EEEvSY_
		.amdhsa_group_segment_fixed_size 0
		.amdhsa_private_segment_fixed_size 0
		.amdhsa_kernarg_size 144
		.amdhsa_user_sgpr_count 6
		.amdhsa_user_sgpr_private_segment_buffer 1
		.amdhsa_user_sgpr_dispatch_ptr 0
		.amdhsa_user_sgpr_queue_ptr 0
		.amdhsa_user_sgpr_kernarg_segment_ptr 1
		.amdhsa_user_sgpr_dispatch_id 0
		.amdhsa_user_sgpr_flat_scratch_init 0
		.amdhsa_user_sgpr_private_segment_size 0
		.amdhsa_wavefront_size32 1
		.amdhsa_uses_dynamic_stack 0
		.amdhsa_system_sgpr_private_segment_wavefront_offset 0
		.amdhsa_system_sgpr_workgroup_id_x 1
		.amdhsa_system_sgpr_workgroup_id_y 0
		.amdhsa_system_sgpr_workgroup_id_z 0
		.amdhsa_system_sgpr_workgroup_info 0
		.amdhsa_system_vgpr_workitem_id 0
		.amdhsa_next_free_vgpr 1
		.amdhsa_next_free_sgpr 1
		.amdhsa_reserve_vcc 0
		.amdhsa_reserve_flat_scratch 0
		.amdhsa_float_round_mode_32 0
		.amdhsa_float_round_mode_16_64 0
		.amdhsa_float_denorm_mode_32 3
		.amdhsa_float_denorm_mode_16_64 3
		.amdhsa_dx10_clamp 1
		.amdhsa_ieee_mode 1
		.amdhsa_fp16_overflow 0
		.amdhsa_workgroup_processor_mode 1
		.amdhsa_memory_ordered 1
		.amdhsa_forward_progress 1
		.amdhsa_shared_vgpr_count 0
		.amdhsa_exception_fp_ieee_invalid_op 0
		.amdhsa_exception_fp_denorm_src 0
		.amdhsa_exception_fp_ieee_div_zero 0
		.amdhsa_exception_fp_ieee_overflow 0
		.amdhsa_exception_fp_ieee_underflow 0
		.amdhsa_exception_fp_ieee_inexact 0
		.amdhsa_exception_int_div_zero 0
	.end_amdhsa_kernel
	.section	.text._ZN7rocprim17ROCPRIM_400000_NS6detail17trampoline_kernelINS0_13select_configILj256ELj13ELNS0_17block_load_methodE3ELS4_3ELS4_3ELNS0_20block_scan_algorithmE0ELj4294967295EEENS1_25partition_config_selectorILNS1_17partition_subalgoE3EjNS0_10empty_typeEbEEZZNS1_14partition_implILS8_3ELb0ES6_jNS0_17counting_iteratorIjlEEPS9_SE_NS0_5tupleIJPjSE_EEENSF_IJSE_SE_EEES9_SG_JZNS1_25segmented_radix_sort_implINS0_14default_configELb0EPKhPhPKlPlN2at6native12_GLOBAL__N_18offset_tEEE10hipError_tPvRmT1_PNSt15iterator_traitsISY_E10value_typeET2_T3_PNSZ_IS14_E10value_typeET4_jRbjT5_S1A_jjP12ihipStream_tbEUljE_EEESV_SW_SX_S14_S18_S1A_T6_T7_T9_mT8_S1C_bDpT10_ENKUlT_T0_E_clISt17integral_constantIbLb1EES1O_IbLb0EEEEDaS1K_S1L_EUlS1K_E_NS1_11comp_targetILNS1_3genE3ELNS1_11target_archE908ELNS1_3gpuE7ELNS1_3repE0EEENS1_30default_config_static_selectorELNS0_4arch9wavefront6targetE0EEEvSY_,"axG",@progbits,_ZN7rocprim17ROCPRIM_400000_NS6detail17trampoline_kernelINS0_13select_configILj256ELj13ELNS0_17block_load_methodE3ELS4_3ELS4_3ELNS0_20block_scan_algorithmE0ELj4294967295EEENS1_25partition_config_selectorILNS1_17partition_subalgoE3EjNS0_10empty_typeEbEEZZNS1_14partition_implILS8_3ELb0ES6_jNS0_17counting_iteratorIjlEEPS9_SE_NS0_5tupleIJPjSE_EEENSF_IJSE_SE_EEES9_SG_JZNS1_25segmented_radix_sort_implINS0_14default_configELb0EPKhPhPKlPlN2at6native12_GLOBAL__N_18offset_tEEE10hipError_tPvRmT1_PNSt15iterator_traitsISY_E10value_typeET2_T3_PNSZ_IS14_E10value_typeET4_jRbjT5_S1A_jjP12ihipStream_tbEUljE_EEESV_SW_SX_S14_S18_S1A_T6_T7_T9_mT8_S1C_bDpT10_ENKUlT_T0_E_clISt17integral_constantIbLb1EES1O_IbLb0EEEEDaS1K_S1L_EUlS1K_E_NS1_11comp_targetILNS1_3genE3ELNS1_11target_archE908ELNS1_3gpuE7ELNS1_3repE0EEENS1_30default_config_static_selectorELNS0_4arch9wavefront6targetE0EEEvSY_,comdat
.Lfunc_end172:
	.size	_ZN7rocprim17ROCPRIM_400000_NS6detail17trampoline_kernelINS0_13select_configILj256ELj13ELNS0_17block_load_methodE3ELS4_3ELS4_3ELNS0_20block_scan_algorithmE0ELj4294967295EEENS1_25partition_config_selectorILNS1_17partition_subalgoE3EjNS0_10empty_typeEbEEZZNS1_14partition_implILS8_3ELb0ES6_jNS0_17counting_iteratorIjlEEPS9_SE_NS0_5tupleIJPjSE_EEENSF_IJSE_SE_EEES9_SG_JZNS1_25segmented_radix_sort_implINS0_14default_configELb0EPKhPhPKlPlN2at6native12_GLOBAL__N_18offset_tEEE10hipError_tPvRmT1_PNSt15iterator_traitsISY_E10value_typeET2_T3_PNSZ_IS14_E10value_typeET4_jRbjT5_S1A_jjP12ihipStream_tbEUljE_EEESV_SW_SX_S14_S18_S1A_T6_T7_T9_mT8_S1C_bDpT10_ENKUlT_T0_E_clISt17integral_constantIbLb1EES1O_IbLb0EEEEDaS1K_S1L_EUlS1K_E_NS1_11comp_targetILNS1_3genE3ELNS1_11target_archE908ELNS1_3gpuE7ELNS1_3repE0EEENS1_30default_config_static_selectorELNS0_4arch9wavefront6targetE0EEEvSY_, .Lfunc_end172-_ZN7rocprim17ROCPRIM_400000_NS6detail17trampoline_kernelINS0_13select_configILj256ELj13ELNS0_17block_load_methodE3ELS4_3ELS4_3ELNS0_20block_scan_algorithmE0ELj4294967295EEENS1_25partition_config_selectorILNS1_17partition_subalgoE3EjNS0_10empty_typeEbEEZZNS1_14partition_implILS8_3ELb0ES6_jNS0_17counting_iteratorIjlEEPS9_SE_NS0_5tupleIJPjSE_EEENSF_IJSE_SE_EEES9_SG_JZNS1_25segmented_radix_sort_implINS0_14default_configELb0EPKhPhPKlPlN2at6native12_GLOBAL__N_18offset_tEEE10hipError_tPvRmT1_PNSt15iterator_traitsISY_E10value_typeET2_T3_PNSZ_IS14_E10value_typeET4_jRbjT5_S1A_jjP12ihipStream_tbEUljE_EEESV_SW_SX_S14_S18_S1A_T6_T7_T9_mT8_S1C_bDpT10_ENKUlT_T0_E_clISt17integral_constantIbLb1EES1O_IbLb0EEEEDaS1K_S1L_EUlS1K_E_NS1_11comp_targetILNS1_3genE3ELNS1_11target_archE908ELNS1_3gpuE7ELNS1_3repE0EEENS1_30default_config_static_selectorELNS0_4arch9wavefront6targetE0EEEvSY_
                                        ; -- End function
	.set _ZN7rocprim17ROCPRIM_400000_NS6detail17trampoline_kernelINS0_13select_configILj256ELj13ELNS0_17block_load_methodE3ELS4_3ELS4_3ELNS0_20block_scan_algorithmE0ELj4294967295EEENS1_25partition_config_selectorILNS1_17partition_subalgoE3EjNS0_10empty_typeEbEEZZNS1_14partition_implILS8_3ELb0ES6_jNS0_17counting_iteratorIjlEEPS9_SE_NS0_5tupleIJPjSE_EEENSF_IJSE_SE_EEES9_SG_JZNS1_25segmented_radix_sort_implINS0_14default_configELb0EPKhPhPKlPlN2at6native12_GLOBAL__N_18offset_tEEE10hipError_tPvRmT1_PNSt15iterator_traitsISY_E10value_typeET2_T3_PNSZ_IS14_E10value_typeET4_jRbjT5_S1A_jjP12ihipStream_tbEUljE_EEESV_SW_SX_S14_S18_S1A_T6_T7_T9_mT8_S1C_bDpT10_ENKUlT_T0_E_clISt17integral_constantIbLb1EES1O_IbLb0EEEEDaS1K_S1L_EUlS1K_E_NS1_11comp_targetILNS1_3genE3ELNS1_11target_archE908ELNS1_3gpuE7ELNS1_3repE0EEENS1_30default_config_static_selectorELNS0_4arch9wavefront6targetE0EEEvSY_.num_vgpr, 0
	.set _ZN7rocprim17ROCPRIM_400000_NS6detail17trampoline_kernelINS0_13select_configILj256ELj13ELNS0_17block_load_methodE3ELS4_3ELS4_3ELNS0_20block_scan_algorithmE0ELj4294967295EEENS1_25partition_config_selectorILNS1_17partition_subalgoE3EjNS0_10empty_typeEbEEZZNS1_14partition_implILS8_3ELb0ES6_jNS0_17counting_iteratorIjlEEPS9_SE_NS0_5tupleIJPjSE_EEENSF_IJSE_SE_EEES9_SG_JZNS1_25segmented_radix_sort_implINS0_14default_configELb0EPKhPhPKlPlN2at6native12_GLOBAL__N_18offset_tEEE10hipError_tPvRmT1_PNSt15iterator_traitsISY_E10value_typeET2_T3_PNSZ_IS14_E10value_typeET4_jRbjT5_S1A_jjP12ihipStream_tbEUljE_EEESV_SW_SX_S14_S18_S1A_T6_T7_T9_mT8_S1C_bDpT10_ENKUlT_T0_E_clISt17integral_constantIbLb1EES1O_IbLb0EEEEDaS1K_S1L_EUlS1K_E_NS1_11comp_targetILNS1_3genE3ELNS1_11target_archE908ELNS1_3gpuE7ELNS1_3repE0EEENS1_30default_config_static_selectorELNS0_4arch9wavefront6targetE0EEEvSY_.num_agpr, 0
	.set _ZN7rocprim17ROCPRIM_400000_NS6detail17trampoline_kernelINS0_13select_configILj256ELj13ELNS0_17block_load_methodE3ELS4_3ELS4_3ELNS0_20block_scan_algorithmE0ELj4294967295EEENS1_25partition_config_selectorILNS1_17partition_subalgoE3EjNS0_10empty_typeEbEEZZNS1_14partition_implILS8_3ELb0ES6_jNS0_17counting_iteratorIjlEEPS9_SE_NS0_5tupleIJPjSE_EEENSF_IJSE_SE_EEES9_SG_JZNS1_25segmented_radix_sort_implINS0_14default_configELb0EPKhPhPKlPlN2at6native12_GLOBAL__N_18offset_tEEE10hipError_tPvRmT1_PNSt15iterator_traitsISY_E10value_typeET2_T3_PNSZ_IS14_E10value_typeET4_jRbjT5_S1A_jjP12ihipStream_tbEUljE_EEESV_SW_SX_S14_S18_S1A_T6_T7_T9_mT8_S1C_bDpT10_ENKUlT_T0_E_clISt17integral_constantIbLb1EES1O_IbLb0EEEEDaS1K_S1L_EUlS1K_E_NS1_11comp_targetILNS1_3genE3ELNS1_11target_archE908ELNS1_3gpuE7ELNS1_3repE0EEENS1_30default_config_static_selectorELNS0_4arch9wavefront6targetE0EEEvSY_.numbered_sgpr, 0
	.set _ZN7rocprim17ROCPRIM_400000_NS6detail17trampoline_kernelINS0_13select_configILj256ELj13ELNS0_17block_load_methodE3ELS4_3ELS4_3ELNS0_20block_scan_algorithmE0ELj4294967295EEENS1_25partition_config_selectorILNS1_17partition_subalgoE3EjNS0_10empty_typeEbEEZZNS1_14partition_implILS8_3ELb0ES6_jNS0_17counting_iteratorIjlEEPS9_SE_NS0_5tupleIJPjSE_EEENSF_IJSE_SE_EEES9_SG_JZNS1_25segmented_radix_sort_implINS0_14default_configELb0EPKhPhPKlPlN2at6native12_GLOBAL__N_18offset_tEEE10hipError_tPvRmT1_PNSt15iterator_traitsISY_E10value_typeET2_T3_PNSZ_IS14_E10value_typeET4_jRbjT5_S1A_jjP12ihipStream_tbEUljE_EEESV_SW_SX_S14_S18_S1A_T6_T7_T9_mT8_S1C_bDpT10_ENKUlT_T0_E_clISt17integral_constantIbLb1EES1O_IbLb0EEEEDaS1K_S1L_EUlS1K_E_NS1_11comp_targetILNS1_3genE3ELNS1_11target_archE908ELNS1_3gpuE7ELNS1_3repE0EEENS1_30default_config_static_selectorELNS0_4arch9wavefront6targetE0EEEvSY_.num_named_barrier, 0
	.set _ZN7rocprim17ROCPRIM_400000_NS6detail17trampoline_kernelINS0_13select_configILj256ELj13ELNS0_17block_load_methodE3ELS4_3ELS4_3ELNS0_20block_scan_algorithmE0ELj4294967295EEENS1_25partition_config_selectorILNS1_17partition_subalgoE3EjNS0_10empty_typeEbEEZZNS1_14partition_implILS8_3ELb0ES6_jNS0_17counting_iteratorIjlEEPS9_SE_NS0_5tupleIJPjSE_EEENSF_IJSE_SE_EEES9_SG_JZNS1_25segmented_radix_sort_implINS0_14default_configELb0EPKhPhPKlPlN2at6native12_GLOBAL__N_18offset_tEEE10hipError_tPvRmT1_PNSt15iterator_traitsISY_E10value_typeET2_T3_PNSZ_IS14_E10value_typeET4_jRbjT5_S1A_jjP12ihipStream_tbEUljE_EEESV_SW_SX_S14_S18_S1A_T6_T7_T9_mT8_S1C_bDpT10_ENKUlT_T0_E_clISt17integral_constantIbLb1EES1O_IbLb0EEEEDaS1K_S1L_EUlS1K_E_NS1_11comp_targetILNS1_3genE3ELNS1_11target_archE908ELNS1_3gpuE7ELNS1_3repE0EEENS1_30default_config_static_selectorELNS0_4arch9wavefront6targetE0EEEvSY_.private_seg_size, 0
	.set _ZN7rocprim17ROCPRIM_400000_NS6detail17trampoline_kernelINS0_13select_configILj256ELj13ELNS0_17block_load_methodE3ELS4_3ELS4_3ELNS0_20block_scan_algorithmE0ELj4294967295EEENS1_25partition_config_selectorILNS1_17partition_subalgoE3EjNS0_10empty_typeEbEEZZNS1_14partition_implILS8_3ELb0ES6_jNS0_17counting_iteratorIjlEEPS9_SE_NS0_5tupleIJPjSE_EEENSF_IJSE_SE_EEES9_SG_JZNS1_25segmented_radix_sort_implINS0_14default_configELb0EPKhPhPKlPlN2at6native12_GLOBAL__N_18offset_tEEE10hipError_tPvRmT1_PNSt15iterator_traitsISY_E10value_typeET2_T3_PNSZ_IS14_E10value_typeET4_jRbjT5_S1A_jjP12ihipStream_tbEUljE_EEESV_SW_SX_S14_S18_S1A_T6_T7_T9_mT8_S1C_bDpT10_ENKUlT_T0_E_clISt17integral_constantIbLb1EES1O_IbLb0EEEEDaS1K_S1L_EUlS1K_E_NS1_11comp_targetILNS1_3genE3ELNS1_11target_archE908ELNS1_3gpuE7ELNS1_3repE0EEENS1_30default_config_static_selectorELNS0_4arch9wavefront6targetE0EEEvSY_.uses_vcc, 0
	.set _ZN7rocprim17ROCPRIM_400000_NS6detail17trampoline_kernelINS0_13select_configILj256ELj13ELNS0_17block_load_methodE3ELS4_3ELS4_3ELNS0_20block_scan_algorithmE0ELj4294967295EEENS1_25partition_config_selectorILNS1_17partition_subalgoE3EjNS0_10empty_typeEbEEZZNS1_14partition_implILS8_3ELb0ES6_jNS0_17counting_iteratorIjlEEPS9_SE_NS0_5tupleIJPjSE_EEENSF_IJSE_SE_EEES9_SG_JZNS1_25segmented_radix_sort_implINS0_14default_configELb0EPKhPhPKlPlN2at6native12_GLOBAL__N_18offset_tEEE10hipError_tPvRmT1_PNSt15iterator_traitsISY_E10value_typeET2_T3_PNSZ_IS14_E10value_typeET4_jRbjT5_S1A_jjP12ihipStream_tbEUljE_EEESV_SW_SX_S14_S18_S1A_T6_T7_T9_mT8_S1C_bDpT10_ENKUlT_T0_E_clISt17integral_constantIbLb1EES1O_IbLb0EEEEDaS1K_S1L_EUlS1K_E_NS1_11comp_targetILNS1_3genE3ELNS1_11target_archE908ELNS1_3gpuE7ELNS1_3repE0EEENS1_30default_config_static_selectorELNS0_4arch9wavefront6targetE0EEEvSY_.uses_flat_scratch, 0
	.set _ZN7rocprim17ROCPRIM_400000_NS6detail17trampoline_kernelINS0_13select_configILj256ELj13ELNS0_17block_load_methodE3ELS4_3ELS4_3ELNS0_20block_scan_algorithmE0ELj4294967295EEENS1_25partition_config_selectorILNS1_17partition_subalgoE3EjNS0_10empty_typeEbEEZZNS1_14partition_implILS8_3ELb0ES6_jNS0_17counting_iteratorIjlEEPS9_SE_NS0_5tupleIJPjSE_EEENSF_IJSE_SE_EEES9_SG_JZNS1_25segmented_radix_sort_implINS0_14default_configELb0EPKhPhPKlPlN2at6native12_GLOBAL__N_18offset_tEEE10hipError_tPvRmT1_PNSt15iterator_traitsISY_E10value_typeET2_T3_PNSZ_IS14_E10value_typeET4_jRbjT5_S1A_jjP12ihipStream_tbEUljE_EEESV_SW_SX_S14_S18_S1A_T6_T7_T9_mT8_S1C_bDpT10_ENKUlT_T0_E_clISt17integral_constantIbLb1EES1O_IbLb0EEEEDaS1K_S1L_EUlS1K_E_NS1_11comp_targetILNS1_3genE3ELNS1_11target_archE908ELNS1_3gpuE7ELNS1_3repE0EEENS1_30default_config_static_selectorELNS0_4arch9wavefront6targetE0EEEvSY_.has_dyn_sized_stack, 0
	.set _ZN7rocprim17ROCPRIM_400000_NS6detail17trampoline_kernelINS0_13select_configILj256ELj13ELNS0_17block_load_methodE3ELS4_3ELS4_3ELNS0_20block_scan_algorithmE0ELj4294967295EEENS1_25partition_config_selectorILNS1_17partition_subalgoE3EjNS0_10empty_typeEbEEZZNS1_14partition_implILS8_3ELb0ES6_jNS0_17counting_iteratorIjlEEPS9_SE_NS0_5tupleIJPjSE_EEENSF_IJSE_SE_EEES9_SG_JZNS1_25segmented_radix_sort_implINS0_14default_configELb0EPKhPhPKlPlN2at6native12_GLOBAL__N_18offset_tEEE10hipError_tPvRmT1_PNSt15iterator_traitsISY_E10value_typeET2_T3_PNSZ_IS14_E10value_typeET4_jRbjT5_S1A_jjP12ihipStream_tbEUljE_EEESV_SW_SX_S14_S18_S1A_T6_T7_T9_mT8_S1C_bDpT10_ENKUlT_T0_E_clISt17integral_constantIbLb1EES1O_IbLb0EEEEDaS1K_S1L_EUlS1K_E_NS1_11comp_targetILNS1_3genE3ELNS1_11target_archE908ELNS1_3gpuE7ELNS1_3repE0EEENS1_30default_config_static_selectorELNS0_4arch9wavefront6targetE0EEEvSY_.has_recursion, 0
	.set _ZN7rocprim17ROCPRIM_400000_NS6detail17trampoline_kernelINS0_13select_configILj256ELj13ELNS0_17block_load_methodE3ELS4_3ELS4_3ELNS0_20block_scan_algorithmE0ELj4294967295EEENS1_25partition_config_selectorILNS1_17partition_subalgoE3EjNS0_10empty_typeEbEEZZNS1_14partition_implILS8_3ELb0ES6_jNS0_17counting_iteratorIjlEEPS9_SE_NS0_5tupleIJPjSE_EEENSF_IJSE_SE_EEES9_SG_JZNS1_25segmented_radix_sort_implINS0_14default_configELb0EPKhPhPKlPlN2at6native12_GLOBAL__N_18offset_tEEE10hipError_tPvRmT1_PNSt15iterator_traitsISY_E10value_typeET2_T3_PNSZ_IS14_E10value_typeET4_jRbjT5_S1A_jjP12ihipStream_tbEUljE_EEESV_SW_SX_S14_S18_S1A_T6_T7_T9_mT8_S1C_bDpT10_ENKUlT_T0_E_clISt17integral_constantIbLb1EES1O_IbLb0EEEEDaS1K_S1L_EUlS1K_E_NS1_11comp_targetILNS1_3genE3ELNS1_11target_archE908ELNS1_3gpuE7ELNS1_3repE0EEENS1_30default_config_static_selectorELNS0_4arch9wavefront6targetE0EEEvSY_.has_indirect_call, 0
	.section	.AMDGPU.csdata,"",@progbits
; Kernel info:
; codeLenInByte = 0
; TotalNumSgprs: 0
; NumVgprs: 0
; ScratchSize: 0
; MemoryBound: 0
; FloatMode: 240
; IeeeMode: 1
; LDSByteSize: 0 bytes/workgroup (compile time only)
; SGPRBlocks: 0
; VGPRBlocks: 0
; NumSGPRsForWavesPerEU: 1
; NumVGPRsForWavesPerEU: 1
; Occupancy: 16
; WaveLimiterHint : 0
; COMPUTE_PGM_RSRC2:SCRATCH_EN: 0
; COMPUTE_PGM_RSRC2:USER_SGPR: 6
; COMPUTE_PGM_RSRC2:TRAP_HANDLER: 0
; COMPUTE_PGM_RSRC2:TGID_X_EN: 1
; COMPUTE_PGM_RSRC2:TGID_Y_EN: 0
; COMPUTE_PGM_RSRC2:TGID_Z_EN: 0
; COMPUTE_PGM_RSRC2:TIDIG_COMP_CNT: 0
	.section	.text._ZN7rocprim17ROCPRIM_400000_NS6detail17trampoline_kernelINS0_13select_configILj256ELj13ELNS0_17block_load_methodE3ELS4_3ELS4_3ELNS0_20block_scan_algorithmE0ELj4294967295EEENS1_25partition_config_selectorILNS1_17partition_subalgoE3EjNS0_10empty_typeEbEEZZNS1_14partition_implILS8_3ELb0ES6_jNS0_17counting_iteratorIjlEEPS9_SE_NS0_5tupleIJPjSE_EEENSF_IJSE_SE_EEES9_SG_JZNS1_25segmented_radix_sort_implINS0_14default_configELb0EPKhPhPKlPlN2at6native12_GLOBAL__N_18offset_tEEE10hipError_tPvRmT1_PNSt15iterator_traitsISY_E10value_typeET2_T3_PNSZ_IS14_E10value_typeET4_jRbjT5_S1A_jjP12ihipStream_tbEUljE_EEESV_SW_SX_S14_S18_S1A_T6_T7_T9_mT8_S1C_bDpT10_ENKUlT_T0_E_clISt17integral_constantIbLb1EES1O_IbLb0EEEEDaS1K_S1L_EUlS1K_E_NS1_11comp_targetILNS1_3genE2ELNS1_11target_archE906ELNS1_3gpuE6ELNS1_3repE0EEENS1_30default_config_static_selectorELNS0_4arch9wavefront6targetE0EEEvSY_,"axG",@progbits,_ZN7rocprim17ROCPRIM_400000_NS6detail17trampoline_kernelINS0_13select_configILj256ELj13ELNS0_17block_load_methodE3ELS4_3ELS4_3ELNS0_20block_scan_algorithmE0ELj4294967295EEENS1_25partition_config_selectorILNS1_17partition_subalgoE3EjNS0_10empty_typeEbEEZZNS1_14partition_implILS8_3ELb0ES6_jNS0_17counting_iteratorIjlEEPS9_SE_NS0_5tupleIJPjSE_EEENSF_IJSE_SE_EEES9_SG_JZNS1_25segmented_radix_sort_implINS0_14default_configELb0EPKhPhPKlPlN2at6native12_GLOBAL__N_18offset_tEEE10hipError_tPvRmT1_PNSt15iterator_traitsISY_E10value_typeET2_T3_PNSZ_IS14_E10value_typeET4_jRbjT5_S1A_jjP12ihipStream_tbEUljE_EEESV_SW_SX_S14_S18_S1A_T6_T7_T9_mT8_S1C_bDpT10_ENKUlT_T0_E_clISt17integral_constantIbLb1EES1O_IbLb0EEEEDaS1K_S1L_EUlS1K_E_NS1_11comp_targetILNS1_3genE2ELNS1_11target_archE906ELNS1_3gpuE6ELNS1_3repE0EEENS1_30default_config_static_selectorELNS0_4arch9wavefront6targetE0EEEvSY_,comdat
	.globl	_ZN7rocprim17ROCPRIM_400000_NS6detail17trampoline_kernelINS0_13select_configILj256ELj13ELNS0_17block_load_methodE3ELS4_3ELS4_3ELNS0_20block_scan_algorithmE0ELj4294967295EEENS1_25partition_config_selectorILNS1_17partition_subalgoE3EjNS0_10empty_typeEbEEZZNS1_14partition_implILS8_3ELb0ES6_jNS0_17counting_iteratorIjlEEPS9_SE_NS0_5tupleIJPjSE_EEENSF_IJSE_SE_EEES9_SG_JZNS1_25segmented_radix_sort_implINS0_14default_configELb0EPKhPhPKlPlN2at6native12_GLOBAL__N_18offset_tEEE10hipError_tPvRmT1_PNSt15iterator_traitsISY_E10value_typeET2_T3_PNSZ_IS14_E10value_typeET4_jRbjT5_S1A_jjP12ihipStream_tbEUljE_EEESV_SW_SX_S14_S18_S1A_T6_T7_T9_mT8_S1C_bDpT10_ENKUlT_T0_E_clISt17integral_constantIbLb1EES1O_IbLb0EEEEDaS1K_S1L_EUlS1K_E_NS1_11comp_targetILNS1_3genE2ELNS1_11target_archE906ELNS1_3gpuE6ELNS1_3repE0EEENS1_30default_config_static_selectorELNS0_4arch9wavefront6targetE0EEEvSY_ ; -- Begin function _ZN7rocprim17ROCPRIM_400000_NS6detail17trampoline_kernelINS0_13select_configILj256ELj13ELNS0_17block_load_methodE3ELS4_3ELS4_3ELNS0_20block_scan_algorithmE0ELj4294967295EEENS1_25partition_config_selectorILNS1_17partition_subalgoE3EjNS0_10empty_typeEbEEZZNS1_14partition_implILS8_3ELb0ES6_jNS0_17counting_iteratorIjlEEPS9_SE_NS0_5tupleIJPjSE_EEENSF_IJSE_SE_EEES9_SG_JZNS1_25segmented_radix_sort_implINS0_14default_configELb0EPKhPhPKlPlN2at6native12_GLOBAL__N_18offset_tEEE10hipError_tPvRmT1_PNSt15iterator_traitsISY_E10value_typeET2_T3_PNSZ_IS14_E10value_typeET4_jRbjT5_S1A_jjP12ihipStream_tbEUljE_EEESV_SW_SX_S14_S18_S1A_T6_T7_T9_mT8_S1C_bDpT10_ENKUlT_T0_E_clISt17integral_constantIbLb1EES1O_IbLb0EEEEDaS1K_S1L_EUlS1K_E_NS1_11comp_targetILNS1_3genE2ELNS1_11target_archE906ELNS1_3gpuE6ELNS1_3repE0EEENS1_30default_config_static_selectorELNS0_4arch9wavefront6targetE0EEEvSY_
	.p2align	8
	.type	_ZN7rocprim17ROCPRIM_400000_NS6detail17trampoline_kernelINS0_13select_configILj256ELj13ELNS0_17block_load_methodE3ELS4_3ELS4_3ELNS0_20block_scan_algorithmE0ELj4294967295EEENS1_25partition_config_selectorILNS1_17partition_subalgoE3EjNS0_10empty_typeEbEEZZNS1_14partition_implILS8_3ELb0ES6_jNS0_17counting_iteratorIjlEEPS9_SE_NS0_5tupleIJPjSE_EEENSF_IJSE_SE_EEES9_SG_JZNS1_25segmented_radix_sort_implINS0_14default_configELb0EPKhPhPKlPlN2at6native12_GLOBAL__N_18offset_tEEE10hipError_tPvRmT1_PNSt15iterator_traitsISY_E10value_typeET2_T3_PNSZ_IS14_E10value_typeET4_jRbjT5_S1A_jjP12ihipStream_tbEUljE_EEESV_SW_SX_S14_S18_S1A_T6_T7_T9_mT8_S1C_bDpT10_ENKUlT_T0_E_clISt17integral_constantIbLb1EES1O_IbLb0EEEEDaS1K_S1L_EUlS1K_E_NS1_11comp_targetILNS1_3genE2ELNS1_11target_archE906ELNS1_3gpuE6ELNS1_3repE0EEENS1_30default_config_static_selectorELNS0_4arch9wavefront6targetE0EEEvSY_,@function
_ZN7rocprim17ROCPRIM_400000_NS6detail17trampoline_kernelINS0_13select_configILj256ELj13ELNS0_17block_load_methodE3ELS4_3ELS4_3ELNS0_20block_scan_algorithmE0ELj4294967295EEENS1_25partition_config_selectorILNS1_17partition_subalgoE3EjNS0_10empty_typeEbEEZZNS1_14partition_implILS8_3ELb0ES6_jNS0_17counting_iteratorIjlEEPS9_SE_NS0_5tupleIJPjSE_EEENSF_IJSE_SE_EEES9_SG_JZNS1_25segmented_radix_sort_implINS0_14default_configELb0EPKhPhPKlPlN2at6native12_GLOBAL__N_18offset_tEEE10hipError_tPvRmT1_PNSt15iterator_traitsISY_E10value_typeET2_T3_PNSZ_IS14_E10value_typeET4_jRbjT5_S1A_jjP12ihipStream_tbEUljE_EEESV_SW_SX_S14_S18_S1A_T6_T7_T9_mT8_S1C_bDpT10_ENKUlT_T0_E_clISt17integral_constantIbLb1EES1O_IbLb0EEEEDaS1K_S1L_EUlS1K_E_NS1_11comp_targetILNS1_3genE2ELNS1_11target_archE906ELNS1_3gpuE6ELNS1_3repE0EEENS1_30default_config_static_selectorELNS0_4arch9wavefront6targetE0EEEvSY_: ; @_ZN7rocprim17ROCPRIM_400000_NS6detail17trampoline_kernelINS0_13select_configILj256ELj13ELNS0_17block_load_methodE3ELS4_3ELS4_3ELNS0_20block_scan_algorithmE0ELj4294967295EEENS1_25partition_config_selectorILNS1_17partition_subalgoE3EjNS0_10empty_typeEbEEZZNS1_14partition_implILS8_3ELb0ES6_jNS0_17counting_iteratorIjlEEPS9_SE_NS0_5tupleIJPjSE_EEENSF_IJSE_SE_EEES9_SG_JZNS1_25segmented_radix_sort_implINS0_14default_configELb0EPKhPhPKlPlN2at6native12_GLOBAL__N_18offset_tEEE10hipError_tPvRmT1_PNSt15iterator_traitsISY_E10value_typeET2_T3_PNSZ_IS14_E10value_typeET4_jRbjT5_S1A_jjP12ihipStream_tbEUljE_EEESV_SW_SX_S14_S18_S1A_T6_T7_T9_mT8_S1C_bDpT10_ENKUlT_T0_E_clISt17integral_constantIbLb1EES1O_IbLb0EEEEDaS1K_S1L_EUlS1K_E_NS1_11comp_targetILNS1_3genE2ELNS1_11target_archE906ELNS1_3gpuE6ELNS1_3repE0EEENS1_30default_config_static_selectorELNS0_4arch9wavefront6targetE0EEEvSY_
; %bb.0:
	.section	.rodata,"a",@progbits
	.p2align	6, 0x0
	.amdhsa_kernel _ZN7rocprim17ROCPRIM_400000_NS6detail17trampoline_kernelINS0_13select_configILj256ELj13ELNS0_17block_load_methodE3ELS4_3ELS4_3ELNS0_20block_scan_algorithmE0ELj4294967295EEENS1_25partition_config_selectorILNS1_17partition_subalgoE3EjNS0_10empty_typeEbEEZZNS1_14partition_implILS8_3ELb0ES6_jNS0_17counting_iteratorIjlEEPS9_SE_NS0_5tupleIJPjSE_EEENSF_IJSE_SE_EEES9_SG_JZNS1_25segmented_radix_sort_implINS0_14default_configELb0EPKhPhPKlPlN2at6native12_GLOBAL__N_18offset_tEEE10hipError_tPvRmT1_PNSt15iterator_traitsISY_E10value_typeET2_T3_PNSZ_IS14_E10value_typeET4_jRbjT5_S1A_jjP12ihipStream_tbEUljE_EEESV_SW_SX_S14_S18_S1A_T6_T7_T9_mT8_S1C_bDpT10_ENKUlT_T0_E_clISt17integral_constantIbLb1EES1O_IbLb0EEEEDaS1K_S1L_EUlS1K_E_NS1_11comp_targetILNS1_3genE2ELNS1_11target_archE906ELNS1_3gpuE6ELNS1_3repE0EEENS1_30default_config_static_selectorELNS0_4arch9wavefront6targetE0EEEvSY_
		.amdhsa_group_segment_fixed_size 0
		.amdhsa_private_segment_fixed_size 0
		.amdhsa_kernarg_size 144
		.amdhsa_user_sgpr_count 6
		.amdhsa_user_sgpr_private_segment_buffer 1
		.amdhsa_user_sgpr_dispatch_ptr 0
		.amdhsa_user_sgpr_queue_ptr 0
		.amdhsa_user_sgpr_kernarg_segment_ptr 1
		.amdhsa_user_sgpr_dispatch_id 0
		.amdhsa_user_sgpr_flat_scratch_init 0
		.amdhsa_user_sgpr_private_segment_size 0
		.amdhsa_wavefront_size32 1
		.amdhsa_uses_dynamic_stack 0
		.amdhsa_system_sgpr_private_segment_wavefront_offset 0
		.amdhsa_system_sgpr_workgroup_id_x 1
		.amdhsa_system_sgpr_workgroup_id_y 0
		.amdhsa_system_sgpr_workgroup_id_z 0
		.amdhsa_system_sgpr_workgroup_info 0
		.amdhsa_system_vgpr_workitem_id 0
		.amdhsa_next_free_vgpr 1
		.amdhsa_next_free_sgpr 1
		.amdhsa_reserve_vcc 0
		.amdhsa_reserve_flat_scratch 0
		.amdhsa_float_round_mode_32 0
		.amdhsa_float_round_mode_16_64 0
		.amdhsa_float_denorm_mode_32 3
		.amdhsa_float_denorm_mode_16_64 3
		.amdhsa_dx10_clamp 1
		.amdhsa_ieee_mode 1
		.amdhsa_fp16_overflow 0
		.amdhsa_workgroup_processor_mode 1
		.amdhsa_memory_ordered 1
		.amdhsa_forward_progress 1
		.amdhsa_shared_vgpr_count 0
		.amdhsa_exception_fp_ieee_invalid_op 0
		.amdhsa_exception_fp_denorm_src 0
		.amdhsa_exception_fp_ieee_div_zero 0
		.amdhsa_exception_fp_ieee_overflow 0
		.amdhsa_exception_fp_ieee_underflow 0
		.amdhsa_exception_fp_ieee_inexact 0
		.amdhsa_exception_int_div_zero 0
	.end_amdhsa_kernel
	.section	.text._ZN7rocprim17ROCPRIM_400000_NS6detail17trampoline_kernelINS0_13select_configILj256ELj13ELNS0_17block_load_methodE3ELS4_3ELS4_3ELNS0_20block_scan_algorithmE0ELj4294967295EEENS1_25partition_config_selectorILNS1_17partition_subalgoE3EjNS0_10empty_typeEbEEZZNS1_14partition_implILS8_3ELb0ES6_jNS0_17counting_iteratorIjlEEPS9_SE_NS0_5tupleIJPjSE_EEENSF_IJSE_SE_EEES9_SG_JZNS1_25segmented_radix_sort_implINS0_14default_configELb0EPKhPhPKlPlN2at6native12_GLOBAL__N_18offset_tEEE10hipError_tPvRmT1_PNSt15iterator_traitsISY_E10value_typeET2_T3_PNSZ_IS14_E10value_typeET4_jRbjT5_S1A_jjP12ihipStream_tbEUljE_EEESV_SW_SX_S14_S18_S1A_T6_T7_T9_mT8_S1C_bDpT10_ENKUlT_T0_E_clISt17integral_constantIbLb1EES1O_IbLb0EEEEDaS1K_S1L_EUlS1K_E_NS1_11comp_targetILNS1_3genE2ELNS1_11target_archE906ELNS1_3gpuE6ELNS1_3repE0EEENS1_30default_config_static_selectorELNS0_4arch9wavefront6targetE0EEEvSY_,"axG",@progbits,_ZN7rocprim17ROCPRIM_400000_NS6detail17trampoline_kernelINS0_13select_configILj256ELj13ELNS0_17block_load_methodE3ELS4_3ELS4_3ELNS0_20block_scan_algorithmE0ELj4294967295EEENS1_25partition_config_selectorILNS1_17partition_subalgoE3EjNS0_10empty_typeEbEEZZNS1_14partition_implILS8_3ELb0ES6_jNS0_17counting_iteratorIjlEEPS9_SE_NS0_5tupleIJPjSE_EEENSF_IJSE_SE_EEES9_SG_JZNS1_25segmented_radix_sort_implINS0_14default_configELb0EPKhPhPKlPlN2at6native12_GLOBAL__N_18offset_tEEE10hipError_tPvRmT1_PNSt15iterator_traitsISY_E10value_typeET2_T3_PNSZ_IS14_E10value_typeET4_jRbjT5_S1A_jjP12ihipStream_tbEUljE_EEESV_SW_SX_S14_S18_S1A_T6_T7_T9_mT8_S1C_bDpT10_ENKUlT_T0_E_clISt17integral_constantIbLb1EES1O_IbLb0EEEEDaS1K_S1L_EUlS1K_E_NS1_11comp_targetILNS1_3genE2ELNS1_11target_archE906ELNS1_3gpuE6ELNS1_3repE0EEENS1_30default_config_static_selectorELNS0_4arch9wavefront6targetE0EEEvSY_,comdat
.Lfunc_end173:
	.size	_ZN7rocprim17ROCPRIM_400000_NS6detail17trampoline_kernelINS0_13select_configILj256ELj13ELNS0_17block_load_methodE3ELS4_3ELS4_3ELNS0_20block_scan_algorithmE0ELj4294967295EEENS1_25partition_config_selectorILNS1_17partition_subalgoE3EjNS0_10empty_typeEbEEZZNS1_14partition_implILS8_3ELb0ES6_jNS0_17counting_iteratorIjlEEPS9_SE_NS0_5tupleIJPjSE_EEENSF_IJSE_SE_EEES9_SG_JZNS1_25segmented_radix_sort_implINS0_14default_configELb0EPKhPhPKlPlN2at6native12_GLOBAL__N_18offset_tEEE10hipError_tPvRmT1_PNSt15iterator_traitsISY_E10value_typeET2_T3_PNSZ_IS14_E10value_typeET4_jRbjT5_S1A_jjP12ihipStream_tbEUljE_EEESV_SW_SX_S14_S18_S1A_T6_T7_T9_mT8_S1C_bDpT10_ENKUlT_T0_E_clISt17integral_constantIbLb1EES1O_IbLb0EEEEDaS1K_S1L_EUlS1K_E_NS1_11comp_targetILNS1_3genE2ELNS1_11target_archE906ELNS1_3gpuE6ELNS1_3repE0EEENS1_30default_config_static_selectorELNS0_4arch9wavefront6targetE0EEEvSY_, .Lfunc_end173-_ZN7rocprim17ROCPRIM_400000_NS6detail17trampoline_kernelINS0_13select_configILj256ELj13ELNS0_17block_load_methodE3ELS4_3ELS4_3ELNS0_20block_scan_algorithmE0ELj4294967295EEENS1_25partition_config_selectorILNS1_17partition_subalgoE3EjNS0_10empty_typeEbEEZZNS1_14partition_implILS8_3ELb0ES6_jNS0_17counting_iteratorIjlEEPS9_SE_NS0_5tupleIJPjSE_EEENSF_IJSE_SE_EEES9_SG_JZNS1_25segmented_radix_sort_implINS0_14default_configELb0EPKhPhPKlPlN2at6native12_GLOBAL__N_18offset_tEEE10hipError_tPvRmT1_PNSt15iterator_traitsISY_E10value_typeET2_T3_PNSZ_IS14_E10value_typeET4_jRbjT5_S1A_jjP12ihipStream_tbEUljE_EEESV_SW_SX_S14_S18_S1A_T6_T7_T9_mT8_S1C_bDpT10_ENKUlT_T0_E_clISt17integral_constantIbLb1EES1O_IbLb0EEEEDaS1K_S1L_EUlS1K_E_NS1_11comp_targetILNS1_3genE2ELNS1_11target_archE906ELNS1_3gpuE6ELNS1_3repE0EEENS1_30default_config_static_selectorELNS0_4arch9wavefront6targetE0EEEvSY_
                                        ; -- End function
	.set _ZN7rocprim17ROCPRIM_400000_NS6detail17trampoline_kernelINS0_13select_configILj256ELj13ELNS0_17block_load_methodE3ELS4_3ELS4_3ELNS0_20block_scan_algorithmE0ELj4294967295EEENS1_25partition_config_selectorILNS1_17partition_subalgoE3EjNS0_10empty_typeEbEEZZNS1_14partition_implILS8_3ELb0ES6_jNS0_17counting_iteratorIjlEEPS9_SE_NS0_5tupleIJPjSE_EEENSF_IJSE_SE_EEES9_SG_JZNS1_25segmented_radix_sort_implINS0_14default_configELb0EPKhPhPKlPlN2at6native12_GLOBAL__N_18offset_tEEE10hipError_tPvRmT1_PNSt15iterator_traitsISY_E10value_typeET2_T3_PNSZ_IS14_E10value_typeET4_jRbjT5_S1A_jjP12ihipStream_tbEUljE_EEESV_SW_SX_S14_S18_S1A_T6_T7_T9_mT8_S1C_bDpT10_ENKUlT_T0_E_clISt17integral_constantIbLb1EES1O_IbLb0EEEEDaS1K_S1L_EUlS1K_E_NS1_11comp_targetILNS1_3genE2ELNS1_11target_archE906ELNS1_3gpuE6ELNS1_3repE0EEENS1_30default_config_static_selectorELNS0_4arch9wavefront6targetE0EEEvSY_.num_vgpr, 0
	.set _ZN7rocprim17ROCPRIM_400000_NS6detail17trampoline_kernelINS0_13select_configILj256ELj13ELNS0_17block_load_methodE3ELS4_3ELS4_3ELNS0_20block_scan_algorithmE0ELj4294967295EEENS1_25partition_config_selectorILNS1_17partition_subalgoE3EjNS0_10empty_typeEbEEZZNS1_14partition_implILS8_3ELb0ES6_jNS0_17counting_iteratorIjlEEPS9_SE_NS0_5tupleIJPjSE_EEENSF_IJSE_SE_EEES9_SG_JZNS1_25segmented_radix_sort_implINS0_14default_configELb0EPKhPhPKlPlN2at6native12_GLOBAL__N_18offset_tEEE10hipError_tPvRmT1_PNSt15iterator_traitsISY_E10value_typeET2_T3_PNSZ_IS14_E10value_typeET4_jRbjT5_S1A_jjP12ihipStream_tbEUljE_EEESV_SW_SX_S14_S18_S1A_T6_T7_T9_mT8_S1C_bDpT10_ENKUlT_T0_E_clISt17integral_constantIbLb1EES1O_IbLb0EEEEDaS1K_S1L_EUlS1K_E_NS1_11comp_targetILNS1_3genE2ELNS1_11target_archE906ELNS1_3gpuE6ELNS1_3repE0EEENS1_30default_config_static_selectorELNS0_4arch9wavefront6targetE0EEEvSY_.num_agpr, 0
	.set _ZN7rocprim17ROCPRIM_400000_NS6detail17trampoline_kernelINS0_13select_configILj256ELj13ELNS0_17block_load_methodE3ELS4_3ELS4_3ELNS0_20block_scan_algorithmE0ELj4294967295EEENS1_25partition_config_selectorILNS1_17partition_subalgoE3EjNS0_10empty_typeEbEEZZNS1_14partition_implILS8_3ELb0ES6_jNS0_17counting_iteratorIjlEEPS9_SE_NS0_5tupleIJPjSE_EEENSF_IJSE_SE_EEES9_SG_JZNS1_25segmented_radix_sort_implINS0_14default_configELb0EPKhPhPKlPlN2at6native12_GLOBAL__N_18offset_tEEE10hipError_tPvRmT1_PNSt15iterator_traitsISY_E10value_typeET2_T3_PNSZ_IS14_E10value_typeET4_jRbjT5_S1A_jjP12ihipStream_tbEUljE_EEESV_SW_SX_S14_S18_S1A_T6_T7_T9_mT8_S1C_bDpT10_ENKUlT_T0_E_clISt17integral_constantIbLb1EES1O_IbLb0EEEEDaS1K_S1L_EUlS1K_E_NS1_11comp_targetILNS1_3genE2ELNS1_11target_archE906ELNS1_3gpuE6ELNS1_3repE0EEENS1_30default_config_static_selectorELNS0_4arch9wavefront6targetE0EEEvSY_.numbered_sgpr, 0
	.set _ZN7rocprim17ROCPRIM_400000_NS6detail17trampoline_kernelINS0_13select_configILj256ELj13ELNS0_17block_load_methodE3ELS4_3ELS4_3ELNS0_20block_scan_algorithmE0ELj4294967295EEENS1_25partition_config_selectorILNS1_17partition_subalgoE3EjNS0_10empty_typeEbEEZZNS1_14partition_implILS8_3ELb0ES6_jNS0_17counting_iteratorIjlEEPS9_SE_NS0_5tupleIJPjSE_EEENSF_IJSE_SE_EEES9_SG_JZNS1_25segmented_radix_sort_implINS0_14default_configELb0EPKhPhPKlPlN2at6native12_GLOBAL__N_18offset_tEEE10hipError_tPvRmT1_PNSt15iterator_traitsISY_E10value_typeET2_T3_PNSZ_IS14_E10value_typeET4_jRbjT5_S1A_jjP12ihipStream_tbEUljE_EEESV_SW_SX_S14_S18_S1A_T6_T7_T9_mT8_S1C_bDpT10_ENKUlT_T0_E_clISt17integral_constantIbLb1EES1O_IbLb0EEEEDaS1K_S1L_EUlS1K_E_NS1_11comp_targetILNS1_3genE2ELNS1_11target_archE906ELNS1_3gpuE6ELNS1_3repE0EEENS1_30default_config_static_selectorELNS0_4arch9wavefront6targetE0EEEvSY_.num_named_barrier, 0
	.set _ZN7rocprim17ROCPRIM_400000_NS6detail17trampoline_kernelINS0_13select_configILj256ELj13ELNS0_17block_load_methodE3ELS4_3ELS4_3ELNS0_20block_scan_algorithmE0ELj4294967295EEENS1_25partition_config_selectorILNS1_17partition_subalgoE3EjNS0_10empty_typeEbEEZZNS1_14partition_implILS8_3ELb0ES6_jNS0_17counting_iteratorIjlEEPS9_SE_NS0_5tupleIJPjSE_EEENSF_IJSE_SE_EEES9_SG_JZNS1_25segmented_radix_sort_implINS0_14default_configELb0EPKhPhPKlPlN2at6native12_GLOBAL__N_18offset_tEEE10hipError_tPvRmT1_PNSt15iterator_traitsISY_E10value_typeET2_T3_PNSZ_IS14_E10value_typeET4_jRbjT5_S1A_jjP12ihipStream_tbEUljE_EEESV_SW_SX_S14_S18_S1A_T6_T7_T9_mT8_S1C_bDpT10_ENKUlT_T0_E_clISt17integral_constantIbLb1EES1O_IbLb0EEEEDaS1K_S1L_EUlS1K_E_NS1_11comp_targetILNS1_3genE2ELNS1_11target_archE906ELNS1_3gpuE6ELNS1_3repE0EEENS1_30default_config_static_selectorELNS0_4arch9wavefront6targetE0EEEvSY_.private_seg_size, 0
	.set _ZN7rocprim17ROCPRIM_400000_NS6detail17trampoline_kernelINS0_13select_configILj256ELj13ELNS0_17block_load_methodE3ELS4_3ELS4_3ELNS0_20block_scan_algorithmE0ELj4294967295EEENS1_25partition_config_selectorILNS1_17partition_subalgoE3EjNS0_10empty_typeEbEEZZNS1_14partition_implILS8_3ELb0ES6_jNS0_17counting_iteratorIjlEEPS9_SE_NS0_5tupleIJPjSE_EEENSF_IJSE_SE_EEES9_SG_JZNS1_25segmented_radix_sort_implINS0_14default_configELb0EPKhPhPKlPlN2at6native12_GLOBAL__N_18offset_tEEE10hipError_tPvRmT1_PNSt15iterator_traitsISY_E10value_typeET2_T3_PNSZ_IS14_E10value_typeET4_jRbjT5_S1A_jjP12ihipStream_tbEUljE_EEESV_SW_SX_S14_S18_S1A_T6_T7_T9_mT8_S1C_bDpT10_ENKUlT_T0_E_clISt17integral_constantIbLb1EES1O_IbLb0EEEEDaS1K_S1L_EUlS1K_E_NS1_11comp_targetILNS1_3genE2ELNS1_11target_archE906ELNS1_3gpuE6ELNS1_3repE0EEENS1_30default_config_static_selectorELNS0_4arch9wavefront6targetE0EEEvSY_.uses_vcc, 0
	.set _ZN7rocprim17ROCPRIM_400000_NS6detail17trampoline_kernelINS0_13select_configILj256ELj13ELNS0_17block_load_methodE3ELS4_3ELS4_3ELNS0_20block_scan_algorithmE0ELj4294967295EEENS1_25partition_config_selectorILNS1_17partition_subalgoE3EjNS0_10empty_typeEbEEZZNS1_14partition_implILS8_3ELb0ES6_jNS0_17counting_iteratorIjlEEPS9_SE_NS0_5tupleIJPjSE_EEENSF_IJSE_SE_EEES9_SG_JZNS1_25segmented_radix_sort_implINS0_14default_configELb0EPKhPhPKlPlN2at6native12_GLOBAL__N_18offset_tEEE10hipError_tPvRmT1_PNSt15iterator_traitsISY_E10value_typeET2_T3_PNSZ_IS14_E10value_typeET4_jRbjT5_S1A_jjP12ihipStream_tbEUljE_EEESV_SW_SX_S14_S18_S1A_T6_T7_T9_mT8_S1C_bDpT10_ENKUlT_T0_E_clISt17integral_constantIbLb1EES1O_IbLb0EEEEDaS1K_S1L_EUlS1K_E_NS1_11comp_targetILNS1_3genE2ELNS1_11target_archE906ELNS1_3gpuE6ELNS1_3repE0EEENS1_30default_config_static_selectorELNS0_4arch9wavefront6targetE0EEEvSY_.uses_flat_scratch, 0
	.set _ZN7rocprim17ROCPRIM_400000_NS6detail17trampoline_kernelINS0_13select_configILj256ELj13ELNS0_17block_load_methodE3ELS4_3ELS4_3ELNS0_20block_scan_algorithmE0ELj4294967295EEENS1_25partition_config_selectorILNS1_17partition_subalgoE3EjNS0_10empty_typeEbEEZZNS1_14partition_implILS8_3ELb0ES6_jNS0_17counting_iteratorIjlEEPS9_SE_NS0_5tupleIJPjSE_EEENSF_IJSE_SE_EEES9_SG_JZNS1_25segmented_radix_sort_implINS0_14default_configELb0EPKhPhPKlPlN2at6native12_GLOBAL__N_18offset_tEEE10hipError_tPvRmT1_PNSt15iterator_traitsISY_E10value_typeET2_T3_PNSZ_IS14_E10value_typeET4_jRbjT5_S1A_jjP12ihipStream_tbEUljE_EEESV_SW_SX_S14_S18_S1A_T6_T7_T9_mT8_S1C_bDpT10_ENKUlT_T0_E_clISt17integral_constantIbLb1EES1O_IbLb0EEEEDaS1K_S1L_EUlS1K_E_NS1_11comp_targetILNS1_3genE2ELNS1_11target_archE906ELNS1_3gpuE6ELNS1_3repE0EEENS1_30default_config_static_selectorELNS0_4arch9wavefront6targetE0EEEvSY_.has_dyn_sized_stack, 0
	.set _ZN7rocprim17ROCPRIM_400000_NS6detail17trampoline_kernelINS0_13select_configILj256ELj13ELNS0_17block_load_methodE3ELS4_3ELS4_3ELNS0_20block_scan_algorithmE0ELj4294967295EEENS1_25partition_config_selectorILNS1_17partition_subalgoE3EjNS0_10empty_typeEbEEZZNS1_14partition_implILS8_3ELb0ES6_jNS0_17counting_iteratorIjlEEPS9_SE_NS0_5tupleIJPjSE_EEENSF_IJSE_SE_EEES9_SG_JZNS1_25segmented_radix_sort_implINS0_14default_configELb0EPKhPhPKlPlN2at6native12_GLOBAL__N_18offset_tEEE10hipError_tPvRmT1_PNSt15iterator_traitsISY_E10value_typeET2_T3_PNSZ_IS14_E10value_typeET4_jRbjT5_S1A_jjP12ihipStream_tbEUljE_EEESV_SW_SX_S14_S18_S1A_T6_T7_T9_mT8_S1C_bDpT10_ENKUlT_T0_E_clISt17integral_constantIbLb1EES1O_IbLb0EEEEDaS1K_S1L_EUlS1K_E_NS1_11comp_targetILNS1_3genE2ELNS1_11target_archE906ELNS1_3gpuE6ELNS1_3repE0EEENS1_30default_config_static_selectorELNS0_4arch9wavefront6targetE0EEEvSY_.has_recursion, 0
	.set _ZN7rocprim17ROCPRIM_400000_NS6detail17trampoline_kernelINS0_13select_configILj256ELj13ELNS0_17block_load_methodE3ELS4_3ELS4_3ELNS0_20block_scan_algorithmE0ELj4294967295EEENS1_25partition_config_selectorILNS1_17partition_subalgoE3EjNS0_10empty_typeEbEEZZNS1_14partition_implILS8_3ELb0ES6_jNS0_17counting_iteratorIjlEEPS9_SE_NS0_5tupleIJPjSE_EEENSF_IJSE_SE_EEES9_SG_JZNS1_25segmented_radix_sort_implINS0_14default_configELb0EPKhPhPKlPlN2at6native12_GLOBAL__N_18offset_tEEE10hipError_tPvRmT1_PNSt15iterator_traitsISY_E10value_typeET2_T3_PNSZ_IS14_E10value_typeET4_jRbjT5_S1A_jjP12ihipStream_tbEUljE_EEESV_SW_SX_S14_S18_S1A_T6_T7_T9_mT8_S1C_bDpT10_ENKUlT_T0_E_clISt17integral_constantIbLb1EES1O_IbLb0EEEEDaS1K_S1L_EUlS1K_E_NS1_11comp_targetILNS1_3genE2ELNS1_11target_archE906ELNS1_3gpuE6ELNS1_3repE0EEENS1_30default_config_static_selectorELNS0_4arch9wavefront6targetE0EEEvSY_.has_indirect_call, 0
	.section	.AMDGPU.csdata,"",@progbits
; Kernel info:
; codeLenInByte = 0
; TotalNumSgprs: 0
; NumVgprs: 0
; ScratchSize: 0
; MemoryBound: 0
; FloatMode: 240
; IeeeMode: 1
; LDSByteSize: 0 bytes/workgroup (compile time only)
; SGPRBlocks: 0
; VGPRBlocks: 0
; NumSGPRsForWavesPerEU: 1
; NumVGPRsForWavesPerEU: 1
; Occupancy: 16
; WaveLimiterHint : 0
; COMPUTE_PGM_RSRC2:SCRATCH_EN: 0
; COMPUTE_PGM_RSRC2:USER_SGPR: 6
; COMPUTE_PGM_RSRC2:TRAP_HANDLER: 0
; COMPUTE_PGM_RSRC2:TGID_X_EN: 1
; COMPUTE_PGM_RSRC2:TGID_Y_EN: 0
; COMPUTE_PGM_RSRC2:TGID_Z_EN: 0
; COMPUTE_PGM_RSRC2:TIDIG_COMP_CNT: 0
	.section	.text._ZN7rocprim17ROCPRIM_400000_NS6detail17trampoline_kernelINS0_13select_configILj256ELj13ELNS0_17block_load_methodE3ELS4_3ELS4_3ELNS0_20block_scan_algorithmE0ELj4294967295EEENS1_25partition_config_selectorILNS1_17partition_subalgoE3EjNS0_10empty_typeEbEEZZNS1_14partition_implILS8_3ELb0ES6_jNS0_17counting_iteratorIjlEEPS9_SE_NS0_5tupleIJPjSE_EEENSF_IJSE_SE_EEES9_SG_JZNS1_25segmented_radix_sort_implINS0_14default_configELb0EPKhPhPKlPlN2at6native12_GLOBAL__N_18offset_tEEE10hipError_tPvRmT1_PNSt15iterator_traitsISY_E10value_typeET2_T3_PNSZ_IS14_E10value_typeET4_jRbjT5_S1A_jjP12ihipStream_tbEUljE_EEESV_SW_SX_S14_S18_S1A_T6_T7_T9_mT8_S1C_bDpT10_ENKUlT_T0_E_clISt17integral_constantIbLb1EES1O_IbLb0EEEEDaS1K_S1L_EUlS1K_E_NS1_11comp_targetILNS1_3genE10ELNS1_11target_archE1200ELNS1_3gpuE4ELNS1_3repE0EEENS1_30default_config_static_selectorELNS0_4arch9wavefront6targetE0EEEvSY_,"axG",@progbits,_ZN7rocprim17ROCPRIM_400000_NS6detail17trampoline_kernelINS0_13select_configILj256ELj13ELNS0_17block_load_methodE3ELS4_3ELS4_3ELNS0_20block_scan_algorithmE0ELj4294967295EEENS1_25partition_config_selectorILNS1_17partition_subalgoE3EjNS0_10empty_typeEbEEZZNS1_14partition_implILS8_3ELb0ES6_jNS0_17counting_iteratorIjlEEPS9_SE_NS0_5tupleIJPjSE_EEENSF_IJSE_SE_EEES9_SG_JZNS1_25segmented_radix_sort_implINS0_14default_configELb0EPKhPhPKlPlN2at6native12_GLOBAL__N_18offset_tEEE10hipError_tPvRmT1_PNSt15iterator_traitsISY_E10value_typeET2_T3_PNSZ_IS14_E10value_typeET4_jRbjT5_S1A_jjP12ihipStream_tbEUljE_EEESV_SW_SX_S14_S18_S1A_T6_T7_T9_mT8_S1C_bDpT10_ENKUlT_T0_E_clISt17integral_constantIbLb1EES1O_IbLb0EEEEDaS1K_S1L_EUlS1K_E_NS1_11comp_targetILNS1_3genE10ELNS1_11target_archE1200ELNS1_3gpuE4ELNS1_3repE0EEENS1_30default_config_static_selectorELNS0_4arch9wavefront6targetE0EEEvSY_,comdat
	.globl	_ZN7rocprim17ROCPRIM_400000_NS6detail17trampoline_kernelINS0_13select_configILj256ELj13ELNS0_17block_load_methodE3ELS4_3ELS4_3ELNS0_20block_scan_algorithmE0ELj4294967295EEENS1_25partition_config_selectorILNS1_17partition_subalgoE3EjNS0_10empty_typeEbEEZZNS1_14partition_implILS8_3ELb0ES6_jNS0_17counting_iteratorIjlEEPS9_SE_NS0_5tupleIJPjSE_EEENSF_IJSE_SE_EEES9_SG_JZNS1_25segmented_radix_sort_implINS0_14default_configELb0EPKhPhPKlPlN2at6native12_GLOBAL__N_18offset_tEEE10hipError_tPvRmT1_PNSt15iterator_traitsISY_E10value_typeET2_T3_PNSZ_IS14_E10value_typeET4_jRbjT5_S1A_jjP12ihipStream_tbEUljE_EEESV_SW_SX_S14_S18_S1A_T6_T7_T9_mT8_S1C_bDpT10_ENKUlT_T0_E_clISt17integral_constantIbLb1EES1O_IbLb0EEEEDaS1K_S1L_EUlS1K_E_NS1_11comp_targetILNS1_3genE10ELNS1_11target_archE1200ELNS1_3gpuE4ELNS1_3repE0EEENS1_30default_config_static_selectorELNS0_4arch9wavefront6targetE0EEEvSY_ ; -- Begin function _ZN7rocprim17ROCPRIM_400000_NS6detail17trampoline_kernelINS0_13select_configILj256ELj13ELNS0_17block_load_methodE3ELS4_3ELS4_3ELNS0_20block_scan_algorithmE0ELj4294967295EEENS1_25partition_config_selectorILNS1_17partition_subalgoE3EjNS0_10empty_typeEbEEZZNS1_14partition_implILS8_3ELb0ES6_jNS0_17counting_iteratorIjlEEPS9_SE_NS0_5tupleIJPjSE_EEENSF_IJSE_SE_EEES9_SG_JZNS1_25segmented_radix_sort_implINS0_14default_configELb0EPKhPhPKlPlN2at6native12_GLOBAL__N_18offset_tEEE10hipError_tPvRmT1_PNSt15iterator_traitsISY_E10value_typeET2_T3_PNSZ_IS14_E10value_typeET4_jRbjT5_S1A_jjP12ihipStream_tbEUljE_EEESV_SW_SX_S14_S18_S1A_T6_T7_T9_mT8_S1C_bDpT10_ENKUlT_T0_E_clISt17integral_constantIbLb1EES1O_IbLb0EEEEDaS1K_S1L_EUlS1K_E_NS1_11comp_targetILNS1_3genE10ELNS1_11target_archE1200ELNS1_3gpuE4ELNS1_3repE0EEENS1_30default_config_static_selectorELNS0_4arch9wavefront6targetE0EEEvSY_
	.p2align	8
	.type	_ZN7rocprim17ROCPRIM_400000_NS6detail17trampoline_kernelINS0_13select_configILj256ELj13ELNS0_17block_load_methodE3ELS4_3ELS4_3ELNS0_20block_scan_algorithmE0ELj4294967295EEENS1_25partition_config_selectorILNS1_17partition_subalgoE3EjNS0_10empty_typeEbEEZZNS1_14partition_implILS8_3ELb0ES6_jNS0_17counting_iteratorIjlEEPS9_SE_NS0_5tupleIJPjSE_EEENSF_IJSE_SE_EEES9_SG_JZNS1_25segmented_radix_sort_implINS0_14default_configELb0EPKhPhPKlPlN2at6native12_GLOBAL__N_18offset_tEEE10hipError_tPvRmT1_PNSt15iterator_traitsISY_E10value_typeET2_T3_PNSZ_IS14_E10value_typeET4_jRbjT5_S1A_jjP12ihipStream_tbEUljE_EEESV_SW_SX_S14_S18_S1A_T6_T7_T9_mT8_S1C_bDpT10_ENKUlT_T0_E_clISt17integral_constantIbLb1EES1O_IbLb0EEEEDaS1K_S1L_EUlS1K_E_NS1_11comp_targetILNS1_3genE10ELNS1_11target_archE1200ELNS1_3gpuE4ELNS1_3repE0EEENS1_30default_config_static_selectorELNS0_4arch9wavefront6targetE0EEEvSY_,@function
_ZN7rocprim17ROCPRIM_400000_NS6detail17trampoline_kernelINS0_13select_configILj256ELj13ELNS0_17block_load_methodE3ELS4_3ELS4_3ELNS0_20block_scan_algorithmE0ELj4294967295EEENS1_25partition_config_selectorILNS1_17partition_subalgoE3EjNS0_10empty_typeEbEEZZNS1_14partition_implILS8_3ELb0ES6_jNS0_17counting_iteratorIjlEEPS9_SE_NS0_5tupleIJPjSE_EEENSF_IJSE_SE_EEES9_SG_JZNS1_25segmented_radix_sort_implINS0_14default_configELb0EPKhPhPKlPlN2at6native12_GLOBAL__N_18offset_tEEE10hipError_tPvRmT1_PNSt15iterator_traitsISY_E10value_typeET2_T3_PNSZ_IS14_E10value_typeET4_jRbjT5_S1A_jjP12ihipStream_tbEUljE_EEESV_SW_SX_S14_S18_S1A_T6_T7_T9_mT8_S1C_bDpT10_ENKUlT_T0_E_clISt17integral_constantIbLb1EES1O_IbLb0EEEEDaS1K_S1L_EUlS1K_E_NS1_11comp_targetILNS1_3genE10ELNS1_11target_archE1200ELNS1_3gpuE4ELNS1_3repE0EEENS1_30default_config_static_selectorELNS0_4arch9wavefront6targetE0EEEvSY_: ; @_ZN7rocprim17ROCPRIM_400000_NS6detail17trampoline_kernelINS0_13select_configILj256ELj13ELNS0_17block_load_methodE3ELS4_3ELS4_3ELNS0_20block_scan_algorithmE0ELj4294967295EEENS1_25partition_config_selectorILNS1_17partition_subalgoE3EjNS0_10empty_typeEbEEZZNS1_14partition_implILS8_3ELb0ES6_jNS0_17counting_iteratorIjlEEPS9_SE_NS0_5tupleIJPjSE_EEENSF_IJSE_SE_EEES9_SG_JZNS1_25segmented_radix_sort_implINS0_14default_configELb0EPKhPhPKlPlN2at6native12_GLOBAL__N_18offset_tEEE10hipError_tPvRmT1_PNSt15iterator_traitsISY_E10value_typeET2_T3_PNSZ_IS14_E10value_typeET4_jRbjT5_S1A_jjP12ihipStream_tbEUljE_EEESV_SW_SX_S14_S18_S1A_T6_T7_T9_mT8_S1C_bDpT10_ENKUlT_T0_E_clISt17integral_constantIbLb1EES1O_IbLb0EEEEDaS1K_S1L_EUlS1K_E_NS1_11comp_targetILNS1_3genE10ELNS1_11target_archE1200ELNS1_3gpuE4ELNS1_3repE0EEENS1_30default_config_static_selectorELNS0_4arch9wavefront6targetE0EEEvSY_
; %bb.0:
	.section	.rodata,"a",@progbits
	.p2align	6, 0x0
	.amdhsa_kernel _ZN7rocprim17ROCPRIM_400000_NS6detail17trampoline_kernelINS0_13select_configILj256ELj13ELNS0_17block_load_methodE3ELS4_3ELS4_3ELNS0_20block_scan_algorithmE0ELj4294967295EEENS1_25partition_config_selectorILNS1_17partition_subalgoE3EjNS0_10empty_typeEbEEZZNS1_14partition_implILS8_3ELb0ES6_jNS0_17counting_iteratorIjlEEPS9_SE_NS0_5tupleIJPjSE_EEENSF_IJSE_SE_EEES9_SG_JZNS1_25segmented_radix_sort_implINS0_14default_configELb0EPKhPhPKlPlN2at6native12_GLOBAL__N_18offset_tEEE10hipError_tPvRmT1_PNSt15iterator_traitsISY_E10value_typeET2_T3_PNSZ_IS14_E10value_typeET4_jRbjT5_S1A_jjP12ihipStream_tbEUljE_EEESV_SW_SX_S14_S18_S1A_T6_T7_T9_mT8_S1C_bDpT10_ENKUlT_T0_E_clISt17integral_constantIbLb1EES1O_IbLb0EEEEDaS1K_S1L_EUlS1K_E_NS1_11comp_targetILNS1_3genE10ELNS1_11target_archE1200ELNS1_3gpuE4ELNS1_3repE0EEENS1_30default_config_static_selectorELNS0_4arch9wavefront6targetE0EEEvSY_
		.amdhsa_group_segment_fixed_size 0
		.amdhsa_private_segment_fixed_size 0
		.amdhsa_kernarg_size 144
		.amdhsa_user_sgpr_count 6
		.amdhsa_user_sgpr_private_segment_buffer 1
		.amdhsa_user_sgpr_dispatch_ptr 0
		.amdhsa_user_sgpr_queue_ptr 0
		.amdhsa_user_sgpr_kernarg_segment_ptr 1
		.amdhsa_user_sgpr_dispatch_id 0
		.amdhsa_user_sgpr_flat_scratch_init 0
		.amdhsa_user_sgpr_private_segment_size 0
		.amdhsa_wavefront_size32 1
		.amdhsa_uses_dynamic_stack 0
		.amdhsa_system_sgpr_private_segment_wavefront_offset 0
		.amdhsa_system_sgpr_workgroup_id_x 1
		.amdhsa_system_sgpr_workgroup_id_y 0
		.amdhsa_system_sgpr_workgroup_id_z 0
		.amdhsa_system_sgpr_workgroup_info 0
		.amdhsa_system_vgpr_workitem_id 0
		.amdhsa_next_free_vgpr 1
		.amdhsa_next_free_sgpr 1
		.amdhsa_reserve_vcc 0
		.amdhsa_reserve_flat_scratch 0
		.amdhsa_float_round_mode_32 0
		.amdhsa_float_round_mode_16_64 0
		.amdhsa_float_denorm_mode_32 3
		.amdhsa_float_denorm_mode_16_64 3
		.amdhsa_dx10_clamp 1
		.amdhsa_ieee_mode 1
		.amdhsa_fp16_overflow 0
		.amdhsa_workgroup_processor_mode 1
		.amdhsa_memory_ordered 1
		.amdhsa_forward_progress 1
		.amdhsa_shared_vgpr_count 0
		.amdhsa_exception_fp_ieee_invalid_op 0
		.amdhsa_exception_fp_denorm_src 0
		.amdhsa_exception_fp_ieee_div_zero 0
		.amdhsa_exception_fp_ieee_overflow 0
		.amdhsa_exception_fp_ieee_underflow 0
		.amdhsa_exception_fp_ieee_inexact 0
		.amdhsa_exception_int_div_zero 0
	.end_amdhsa_kernel
	.section	.text._ZN7rocprim17ROCPRIM_400000_NS6detail17trampoline_kernelINS0_13select_configILj256ELj13ELNS0_17block_load_methodE3ELS4_3ELS4_3ELNS0_20block_scan_algorithmE0ELj4294967295EEENS1_25partition_config_selectorILNS1_17partition_subalgoE3EjNS0_10empty_typeEbEEZZNS1_14partition_implILS8_3ELb0ES6_jNS0_17counting_iteratorIjlEEPS9_SE_NS0_5tupleIJPjSE_EEENSF_IJSE_SE_EEES9_SG_JZNS1_25segmented_radix_sort_implINS0_14default_configELb0EPKhPhPKlPlN2at6native12_GLOBAL__N_18offset_tEEE10hipError_tPvRmT1_PNSt15iterator_traitsISY_E10value_typeET2_T3_PNSZ_IS14_E10value_typeET4_jRbjT5_S1A_jjP12ihipStream_tbEUljE_EEESV_SW_SX_S14_S18_S1A_T6_T7_T9_mT8_S1C_bDpT10_ENKUlT_T0_E_clISt17integral_constantIbLb1EES1O_IbLb0EEEEDaS1K_S1L_EUlS1K_E_NS1_11comp_targetILNS1_3genE10ELNS1_11target_archE1200ELNS1_3gpuE4ELNS1_3repE0EEENS1_30default_config_static_selectorELNS0_4arch9wavefront6targetE0EEEvSY_,"axG",@progbits,_ZN7rocprim17ROCPRIM_400000_NS6detail17trampoline_kernelINS0_13select_configILj256ELj13ELNS0_17block_load_methodE3ELS4_3ELS4_3ELNS0_20block_scan_algorithmE0ELj4294967295EEENS1_25partition_config_selectorILNS1_17partition_subalgoE3EjNS0_10empty_typeEbEEZZNS1_14partition_implILS8_3ELb0ES6_jNS0_17counting_iteratorIjlEEPS9_SE_NS0_5tupleIJPjSE_EEENSF_IJSE_SE_EEES9_SG_JZNS1_25segmented_radix_sort_implINS0_14default_configELb0EPKhPhPKlPlN2at6native12_GLOBAL__N_18offset_tEEE10hipError_tPvRmT1_PNSt15iterator_traitsISY_E10value_typeET2_T3_PNSZ_IS14_E10value_typeET4_jRbjT5_S1A_jjP12ihipStream_tbEUljE_EEESV_SW_SX_S14_S18_S1A_T6_T7_T9_mT8_S1C_bDpT10_ENKUlT_T0_E_clISt17integral_constantIbLb1EES1O_IbLb0EEEEDaS1K_S1L_EUlS1K_E_NS1_11comp_targetILNS1_3genE10ELNS1_11target_archE1200ELNS1_3gpuE4ELNS1_3repE0EEENS1_30default_config_static_selectorELNS0_4arch9wavefront6targetE0EEEvSY_,comdat
.Lfunc_end174:
	.size	_ZN7rocprim17ROCPRIM_400000_NS6detail17trampoline_kernelINS0_13select_configILj256ELj13ELNS0_17block_load_methodE3ELS4_3ELS4_3ELNS0_20block_scan_algorithmE0ELj4294967295EEENS1_25partition_config_selectorILNS1_17partition_subalgoE3EjNS0_10empty_typeEbEEZZNS1_14partition_implILS8_3ELb0ES6_jNS0_17counting_iteratorIjlEEPS9_SE_NS0_5tupleIJPjSE_EEENSF_IJSE_SE_EEES9_SG_JZNS1_25segmented_radix_sort_implINS0_14default_configELb0EPKhPhPKlPlN2at6native12_GLOBAL__N_18offset_tEEE10hipError_tPvRmT1_PNSt15iterator_traitsISY_E10value_typeET2_T3_PNSZ_IS14_E10value_typeET4_jRbjT5_S1A_jjP12ihipStream_tbEUljE_EEESV_SW_SX_S14_S18_S1A_T6_T7_T9_mT8_S1C_bDpT10_ENKUlT_T0_E_clISt17integral_constantIbLb1EES1O_IbLb0EEEEDaS1K_S1L_EUlS1K_E_NS1_11comp_targetILNS1_3genE10ELNS1_11target_archE1200ELNS1_3gpuE4ELNS1_3repE0EEENS1_30default_config_static_selectorELNS0_4arch9wavefront6targetE0EEEvSY_, .Lfunc_end174-_ZN7rocprim17ROCPRIM_400000_NS6detail17trampoline_kernelINS0_13select_configILj256ELj13ELNS0_17block_load_methodE3ELS4_3ELS4_3ELNS0_20block_scan_algorithmE0ELj4294967295EEENS1_25partition_config_selectorILNS1_17partition_subalgoE3EjNS0_10empty_typeEbEEZZNS1_14partition_implILS8_3ELb0ES6_jNS0_17counting_iteratorIjlEEPS9_SE_NS0_5tupleIJPjSE_EEENSF_IJSE_SE_EEES9_SG_JZNS1_25segmented_radix_sort_implINS0_14default_configELb0EPKhPhPKlPlN2at6native12_GLOBAL__N_18offset_tEEE10hipError_tPvRmT1_PNSt15iterator_traitsISY_E10value_typeET2_T3_PNSZ_IS14_E10value_typeET4_jRbjT5_S1A_jjP12ihipStream_tbEUljE_EEESV_SW_SX_S14_S18_S1A_T6_T7_T9_mT8_S1C_bDpT10_ENKUlT_T0_E_clISt17integral_constantIbLb1EES1O_IbLb0EEEEDaS1K_S1L_EUlS1K_E_NS1_11comp_targetILNS1_3genE10ELNS1_11target_archE1200ELNS1_3gpuE4ELNS1_3repE0EEENS1_30default_config_static_selectorELNS0_4arch9wavefront6targetE0EEEvSY_
                                        ; -- End function
	.set _ZN7rocprim17ROCPRIM_400000_NS6detail17trampoline_kernelINS0_13select_configILj256ELj13ELNS0_17block_load_methodE3ELS4_3ELS4_3ELNS0_20block_scan_algorithmE0ELj4294967295EEENS1_25partition_config_selectorILNS1_17partition_subalgoE3EjNS0_10empty_typeEbEEZZNS1_14partition_implILS8_3ELb0ES6_jNS0_17counting_iteratorIjlEEPS9_SE_NS0_5tupleIJPjSE_EEENSF_IJSE_SE_EEES9_SG_JZNS1_25segmented_radix_sort_implINS0_14default_configELb0EPKhPhPKlPlN2at6native12_GLOBAL__N_18offset_tEEE10hipError_tPvRmT1_PNSt15iterator_traitsISY_E10value_typeET2_T3_PNSZ_IS14_E10value_typeET4_jRbjT5_S1A_jjP12ihipStream_tbEUljE_EEESV_SW_SX_S14_S18_S1A_T6_T7_T9_mT8_S1C_bDpT10_ENKUlT_T0_E_clISt17integral_constantIbLb1EES1O_IbLb0EEEEDaS1K_S1L_EUlS1K_E_NS1_11comp_targetILNS1_3genE10ELNS1_11target_archE1200ELNS1_3gpuE4ELNS1_3repE0EEENS1_30default_config_static_selectorELNS0_4arch9wavefront6targetE0EEEvSY_.num_vgpr, 0
	.set _ZN7rocprim17ROCPRIM_400000_NS6detail17trampoline_kernelINS0_13select_configILj256ELj13ELNS0_17block_load_methodE3ELS4_3ELS4_3ELNS0_20block_scan_algorithmE0ELj4294967295EEENS1_25partition_config_selectorILNS1_17partition_subalgoE3EjNS0_10empty_typeEbEEZZNS1_14partition_implILS8_3ELb0ES6_jNS0_17counting_iteratorIjlEEPS9_SE_NS0_5tupleIJPjSE_EEENSF_IJSE_SE_EEES9_SG_JZNS1_25segmented_radix_sort_implINS0_14default_configELb0EPKhPhPKlPlN2at6native12_GLOBAL__N_18offset_tEEE10hipError_tPvRmT1_PNSt15iterator_traitsISY_E10value_typeET2_T3_PNSZ_IS14_E10value_typeET4_jRbjT5_S1A_jjP12ihipStream_tbEUljE_EEESV_SW_SX_S14_S18_S1A_T6_T7_T9_mT8_S1C_bDpT10_ENKUlT_T0_E_clISt17integral_constantIbLb1EES1O_IbLb0EEEEDaS1K_S1L_EUlS1K_E_NS1_11comp_targetILNS1_3genE10ELNS1_11target_archE1200ELNS1_3gpuE4ELNS1_3repE0EEENS1_30default_config_static_selectorELNS0_4arch9wavefront6targetE0EEEvSY_.num_agpr, 0
	.set _ZN7rocprim17ROCPRIM_400000_NS6detail17trampoline_kernelINS0_13select_configILj256ELj13ELNS0_17block_load_methodE3ELS4_3ELS4_3ELNS0_20block_scan_algorithmE0ELj4294967295EEENS1_25partition_config_selectorILNS1_17partition_subalgoE3EjNS0_10empty_typeEbEEZZNS1_14partition_implILS8_3ELb0ES6_jNS0_17counting_iteratorIjlEEPS9_SE_NS0_5tupleIJPjSE_EEENSF_IJSE_SE_EEES9_SG_JZNS1_25segmented_radix_sort_implINS0_14default_configELb0EPKhPhPKlPlN2at6native12_GLOBAL__N_18offset_tEEE10hipError_tPvRmT1_PNSt15iterator_traitsISY_E10value_typeET2_T3_PNSZ_IS14_E10value_typeET4_jRbjT5_S1A_jjP12ihipStream_tbEUljE_EEESV_SW_SX_S14_S18_S1A_T6_T7_T9_mT8_S1C_bDpT10_ENKUlT_T0_E_clISt17integral_constantIbLb1EES1O_IbLb0EEEEDaS1K_S1L_EUlS1K_E_NS1_11comp_targetILNS1_3genE10ELNS1_11target_archE1200ELNS1_3gpuE4ELNS1_3repE0EEENS1_30default_config_static_selectorELNS0_4arch9wavefront6targetE0EEEvSY_.numbered_sgpr, 0
	.set _ZN7rocprim17ROCPRIM_400000_NS6detail17trampoline_kernelINS0_13select_configILj256ELj13ELNS0_17block_load_methodE3ELS4_3ELS4_3ELNS0_20block_scan_algorithmE0ELj4294967295EEENS1_25partition_config_selectorILNS1_17partition_subalgoE3EjNS0_10empty_typeEbEEZZNS1_14partition_implILS8_3ELb0ES6_jNS0_17counting_iteratorIjlEEPS9_SE_NS0_5tupleIJPjSE_EEENSF_IJSE_SE_EEES9_SG_JZNS1_25segmented_radix_sort_implINS0_14default_configELb0EPKhPhPKlPlN2at6native12_GLOBAL__N_18offset_tEEE10hipError_tPvRmT1_PNSt15iterator_traitsISY_E10value_typeET2_T3_PNSZ_IS14_E10value_typeET4_jRbjT5_S1A_jjP12ihipStream_tbEUljE_EEESV_SW_SX_S14_S18_S1A_T6_T7_T9_mT8_S1C_bDpT10_ENKUlT_T0_E_clISt17integral_constantIbLb1EES1O_IbLb0EEEEDaS1K_S1L_EUlS1K_E_NS1_11comp_targetILNS1_3genE10ELNS1_11target_archE1200ELNS1_3gpuE4ELNS1_3repE0EEENS1_30default_config_static_selectorELNS0_4arch9wavefront6targetE0EEEvSY_.num_named_barrier, 0
	.set _ZN7rocprim17ROCPRIM_400000_NS6detail17trampoline_kernelINS0_13select_configILj256ELj13ELNS0_17block_load_methodE3ELS4_3ELS4_3ELNS0_20block_scan_algorithmE0ELj4294967295EEENS1_25partition_config_selectorILNS1_17partition_subalgoE3EjNS0_10empty_typeEbEEZZNS1_14partition_implILS8_3ELb0ES6_jNS0_17counting_iteratorIjlEEPS9_SE_NS0_5tupleIJPjSE_EEENSF_IJSE_SE_EEES9_SG_JZNS1_25segmented_radix_sort_implINS0_14default_configELb0EPKhPhPKlPlN2at6native12_GLOBAL__N_18offset_tEEE10hipError_tPvRmT1_PNSt15iterator_traitsISY_E10value_typeET2_T3_PNSZ_IS14_E10value_typeET4_jRbjT5_S1A_jjP12ihipStream_tbEUljE_EEESV_SW_SX_S14_S18_S1A_T6_T7_T9_mT8_S1C_bDpT10_ENKUlT_T0_E_clISt17integral_constantIbLb1EES1O_IbLb0EEEEDaS1K_S1L_EUlS1K_E_NS1_11comp_targetILNS1_3genE10ELNS1_11target_archE1200ELNS1_3gpuE4ELNS1_3repE0EEENS1_30default_config_static_selectorELNS0_4arch9wavefront6targetE0EEEvSY_.private_seg_size, 0
	.set _ZN7rocprim17ROCPRIM_400000_NS6detail17trampoline_kernelINS0_13select_configILj256ELj13ELNS0_17block_load_methodE3ELS4_3ELS4_3ELNS0_20block_scan_algorithmE0ELj4294967295EEENS1_25partition_config_selectorILNS1_17partition_subalgoE3EjNS0_10empty_typeEbEEZZNS1_14partition_implILS8_3ELb0ES6_jNS0_17counting_iteratorIjlEEPS9_SE_NS0_5tupleIJPjSE_EEENSF_IJSE_SE_EEES9_SG_JZNS1_25segmented_radix_sort_implINS0_14default_configELb0EPKhPhPKlPlN2at6native12_GLOBAL__N_18offset_tEEE10hipError_tPvRmT1_PNSt15iterator_traitsISY_E10value_typeET2_T3_PNSZ_IS14_E10value_typeET4_jRbjT5_S1A_jjP12ihipStream_tbEUljE_EEESV_SW_SX_S14_S18_S1A_T6_T7_T9_mT8_S1C_bDpT10_ENKUlT_T0_E_clISt17integral_constantIbLb1EES1O_IbLb0EEEEDaS1K_S1L_EUlS1K_E_NS1_11comp_targetILNS1_3genE10ELNS1_11target_archE1200ELNS1_3gpuE4ELNS1_3repE0EEENS1_30default_config_static_selectorELNS0_4arch9wavefront6targetE0EEEvSY_.uses_vcc, 0
	.set _ZN7rocprim17ROCPRIM_400000_NS6detail17trampoline_kernelINS0_13select_configILj256ELj13ELNS0_17block_load_methodE3ELS4_3ELS4_3ELNS0_20block_scan_algorithmE0ELj4294967295EEENS1_25partition_config_selectorILNS1_17partition_subalgoE3EjNS0_10empty_typeEbEEZZNS1_14partition_implILS8_3ELb0ES6_jNS0_17counting_iteratorIjlEEPS9_SE_NS0_5tupleIJPjSE_EEENSF_IJSE_SE_EEES9_SG_JZNS1_25segmented_radix_sort_implINS0_14default_configELb0EPKhPhPKlPlN2at6native12_GLOBAL__N_18offset_tEEE10hipError_tPvRmT1_PNSt15iterator_traitsISY_E10value_typeET2_T3_PNSZ_IS14_E10value_typeET4_jRbjT5_S1A_jjP12ihipStream_tbEUljE_EEESV_SW_SX_S14_S18_S1A_T6_T7_T9_mT8_S1C_bDpT10_ENKUlT_T0_E_clISt17integral_constantIbLb1EES1O_IbLb0EEEEDaS1K_S1L_EUlS1K_E_NS1_11comp_targetILNS1_3genE10ELNS1_11target_archE1200ELNS1_3gpuE4ELNS1_3repE0EEENS1_30default_config_static_selectorELNS0_4arch9wavefront6targetE0EEEvSY_.uses_flat_scratch, 0
	.set _ZN7rocprim17ROCPRIM_400000_NS6detail17trampoline_kernelINS0_13select_configILj256ELj13ELNS0_17block_load_methodE3ELS4_3ELS4_3ELNS0_20block_scan_algorithmE0ELj4294967295EEENS1_25partition_config_selectorILNS1_17partition_subalgoE3EjNS0_10empty_typeEbEEZZNS1_14partition_implILS8_3ELb0ES6_jNS0_17counting_iteratorIjlEEPS9_SE_NS0_5tupleIJPjSE_EEENSF_IJSE_SE_EEES9_SG_JZNS1_25segmented_radix_sort_implINS0_14default_configELb0EPKhPhPKlPlN2at6native12_GLOBAL__N_18offset_tEEE10hipError_tPvRmT1_PNSt15iterator_traitsISY_E10value_typeET2_T3_PNSZ_IS14_E10value_typeET4_jRbjT5_S1A_jjP12ihipStream_tbEUljE_EEESV_SW_SX_S14_S18_S1A_T6_T7_T9_mT8_S1C_bDpT10_ENKUlT_T0_E_clISt17integral_constantIbLb1EES1O_IbLb0EEEEDaS1K_S1L_EUlS1K_E_NS1_11comp_targetILNS1_3genE10ELNS1_11target_archE1200ELNS1_3gpuE4ELNS1_3repE0EEENS1_30default_config_static_selectorELNS0_4arch9wavefront6targetE0EEEvSY_.has_dyn_sized_stack, 0
	.set _ZN7rocprim17ROCPRIM_400000_NS6detail17trampoline_kernelINS0_13select_configILj256ELj13ELNS0_17block_load_methodE3ELS4_3ELS4_3ELNS0_20block_scan_algorithmE0ELj4294967295EEENS1_25partition_config_selectorILNS1_17partition_subalgoE3EjNS0_10empty_typeEbEEZZNS1_14partition_implILS8_3ELb0ES6_jNS0_17counting_iteratorIjlEEPS9_SE_NS0_5tupleIJPjSE_EEENSF_IJSE_SE_EEES9_SG_JZNS1_25segmented_radix_sort_implINS0_14default_configELb0EPKhPhPKlPlN2at6native12_GLOBAL__N_18offset_tEEE10hipError_tPvRmT1_PNSt15iterator_traitsISY_E10value_typeET2_T3_PNSZ_IS14_E10value_typeET4_jRbjT5_S1A_jjP12ihipStream_tbEUljE_EEESV_SW_SX_S14_S18_S1A_T6_T7_T9_mT8_S1C_bDpT10_ENKUlT_T0_E_clISt17integral_constantIbLb1EES1O_IbLb0EEEEDaS1K_S1L_EUlS1K_E_NS1_11comp_targetILNS1_3genE10ELNS1_11target_archE1200ELNS1_3gpuE4ELNS1_3repE0EEENS1_30default_config_static_selectorELNS0_4arch9wavefront6targetE0EEEvSY_.has_recursion, 0
	.set _ZN7rocprim17ROCPRIM_400000_NS6detail17trampoline_kernelINS0_13select_configILj256ELj13ELNS0_17block_load_methodE3ELS4_3ELS4_3ELNS0_20block_scan_algorithmE0ELj4294967295EEENS1_25partition_config_selectorILNS1_17partition_subalgoE3EjNS0_10empty_typeEbEEZZNS1_14partition_implILS8_3ELb0ES6_jNS0_17counting_iteratorIjlEEPS9_SE_NS0_5tupleIJPjSE_EEENSF_IJSE_SE_EEES9_SG_JZNS1_25segmented_radix_sort_implINS0_14default_configELb0EPKhPhPKlPlN2at6native12_GLOBAL__N_18offset_tEEE10hipError_tPvRmT1_PNSt15iterator_traitsISY_E10value_typeET2_T3_PNSZ_IS14_E10value_typeET4_jRbjT5_S1A_jjP12ihipStream_tbEUljE_EEESV_SW_SX_S14_S18_S1A_T6_T7_T9_mT8_S1C_bDpT10_ENKUlT_T0_E_clISt17integral_constantIbLb1EES1O_IbLb0EEEEDaS1K_S1L_EUlS1K_E_NS1_11comp_targetILNS1_3genE10ELNS1_11target_archE1200ELNS1_3gpuE4ELNS1_3repE0EEENS1_30default_config_static_selectorELNS0_4arch9wavefront6targetE0EEEvSY_.has_indirect_call, 0
	.section	.AMDGPU.csdata,"",@progbits
; Kernel info:
; codeLenInByte = 0
; TotalNumSgprs: 0
; NumVgprs: 0
; ScratchSize: 0
; MemoryBound: 0
; FloatMode: 240
; IeeeMode: 1
; LDSByteSize: 0 bytes/workgroup (compile time only)
; SGPRBlocks: 0
; VGPRBlocks: 0
; NumSGPRsForWavesPerEU: 1
; NumVGPRsForWavesPerEU: 1
; Occupancy: 16
; WaveLimiterHint : 0
; COMPUTE_PGM_RSRC2:SCRATCH_EN: 0
; COMPUTE_PGM_RSRC2:USER_SGPR: 6
; COMPUTE_PGM_RSRC2:TRAP_HANDLER: 0
; COMPUTE_PGM_RSRC2:TGID_X_EN: 1
; COMPUTE_PGM_RSRC2:TGID_Y_EN: 0
; COMPUTE_PGM_RSRC2:TGID_Z_EN: 0
; COMPUTE_PGM_RSRC2:TIDIG_COMP_CNT: 0
	.section	.text._ZN7rocprim17ROCPRIM_400000_NS6detail17trampoline_kernelINS0_13select_configILj256ELj13ELNS0_17block_load_methodE3ELS4_3ELS4_3ELNS0_20block_scan_algorithmE0ELj4294967295EEENS1_25partition_config_selectorILNS1_17partition_subalgoE3EjNS0_10empty_typeEbEEZZNS1_14partition_implILS8_3ELb0ES6_jNS0_17counting_iteratorIjlEEPS9_SE_NS0_5tupleIJPjSE_EEENSF_IJSE_SE_EEES9_SG_JZNS1_25segmented_radix_sort_implINS0_14default_configELb0EPKhPhPKlPlN2at6native12_GLOBAL__N_18offset_tEEE10hipError_tPvRmT1_PNSt15iterator_traitsISY_E10value_typeET2_T3_PNSZ_IS14_E10value_typeET4_jRbjT5_S1A_jjP12ihipStream_tbEUljE_EEESV_SW_SX_S14_S18_S1A_T6_T7_T9_mT8_S1C_bDpT10_ENKUlT_T0_E_clISt17integral_constantIbLb1EES1O_IbLb0EEEEDaS1K_S1L_EUlS1K_E_NS1_11comp_targetILNS1_3genE9ELNS1_11target_archE1100ELNS1_3gpuE3ELNS1_3repE0EEENS1_30default_config_static_selectorELNS0_4arch9wavefront6targetE0EEEvSY_,"axG",@progbits,_ZN7rocprim17ROCPRIM_400000_NS6detail17trampoline_kernelINS0_13select_configILj256ELj13ELNS0_17block_load_methodE3ELS4_3ELS4_3ELNS0_20block_scan_algorithmE0ELj4294967295EEENS1_25partition_config_selectorILNS1_17partition_subalgoE3EjNS0_10empty_typeEbEEZZNS1_14partition_implILS8_3ELb0ES6_jNS0_17counting_iteratorIjlEEPS9_SE_NS0_5tupleIJPjSE_EEENSF_IJSE_SE_EEES9_SG_JZNS1_25segmented_radix_sort_implINS0_14default_configELb0EPKhPhPKlPlN2at6native12_GLOBAL__N_18offset_tEEE10hipError_tPvRmT1_PNSt15iterator_traitsISY_E10value_typeET2_T3_PNSZ_IS14_E10value_typeET4_jRbjT5_S1A_jjP12ihipStream_tbEUljE_EEESV_SW_SX_S14_S18_S1A_T6_T7_T9_mT8_S1C_bDpT10_ENKUlT_T0_E_clISt17integral_constantIbLb1EES1O_IbLb0EEEEDaS1K_S1L_EUlS1K_E_NS1_11comp_targetILNS1_3genE9ELNS1_11target_archE1100ELNS1_3gpuE3ELNS1_3repE0EEENS1_30default_config_static_selectorELNS0_4arch9wavefront6targetE0EEEvSY_,comdat
	.globl	_ZN7rocprim17ROCPRIM_400000_NS6detail17trampoline_kernelINS0_13select_configILj256ELj13ELNS0_17block_load_methodE3ELS4_3ELS4_3ELNS0_20block_scan_algorithmE0ELj4294967295EEENS1_25partition_config_selectorILNS1_17partition_subalgoE3EjNS0_10empty_typeEbEEZZNS1_14partition_implILS8_3ELb0ES6_jNS0_17counting_iteratorIjlEEPS9_SE_NS0_5tupleIJPjSE_EEENSF_IJSE_SE_EEES9_SG_JZNS1_25segmented_radix_sort_implINS0_14default_configELb0EPKhPhPKlPlN2at6native12_GLOBAL__N_18offset_tEEE10hipError_tPvRmT1_PNSt15iterator_traitsISY_E10value_typeET2_T3_PNSZ_IS14_E10value_typeET4_jRbjT5_S1A_jjP12ihipStream_tbEUljE_EEESV_SW_SX_S14_S18_S1A_T6_T7_T9_mT8_S1C_bDpT10_ENKUlT_T0_E_clISt17integral_constantIbLb1EES1O_IbLb0EEEEDaS1K_S1L_EUlS1K_E_NS1_11comp_targetILNS1_3genE9ELNS1_11target_archE1100ELNS1_3gpuE3ELNS1_3repE0EEENS1_30default_config_static_selectorELNS0_4arch9wavefront6targetE0EEEvSY_ ; -- Begin function _ZN7rocprim17ROCPRIM_400000_NS6detail17trampoline_kernelINS0_13select_configILj256ELj13ELNS0_17block_load_methodE3ELS4_3ELS4_3ELNS0_20block_scan_algorithmE0ELj4294967295EEENS1_25partition_config_selectorILNS1_17partition_subalgoE3EjNS0_10empty_typeEbEEZZNS1_14partition_implILS8_3ELb0ES6_jNS0_17counting_iteratorIjlEEPS9_SE_NS0_5tupleIJPjSE_EEENSF_IJSE_SE_EEES9_SG_JZNS1_25segmented_radix_sort_implINS0_14default_configELb0EPKhPhPKlPlN2at6native12_GLOBAL__N_18offset_tEEE10hipError_tPvRmT1_PNSt15iterator_traitsISY_E10value_typeET2_T3_PNSZ_IS14_E10value_typeET4_jRbjT5_S1A_jjP12ihipStream_tbEUljE_EEESV_SW_SX_S14_S18_S1A_T6_T7_T9_mT8_S1C_bDpT10_ENKUlT_T0_E_clISt17integral_constantIbLb1EES1O_IbLb0EEEEDaS1K_S1L_EUlS1K_E_NS1_11comp_targetILNS1_3genE9ELNS1_11target_archE1100ELNS1_3gpuE3ELNS1_3repE0EEENS1_30default_config_static_selectorELNS0_4arch9wavefront6targetE0EEEvSY_
	.p2align	8
	.type	_ZN7rocprim17ROCPRIM_400000_NS6detail17trampoline_kernelINS0_13select_configILj256ELj13ELNS0_17block_load_methodE3ELS4_3ELS4_3ELNS0_20block_scan_algorithmE0ELj4294967295EEENS1_25partition_config_selectorILNS1_17partition_subalgoE3EjNS0_10empty_typeEbEEZZNS1_14partition_implILS8_3ELb0ES6_jNS0_17counting_iteratorIjlEEPS9_SE_NS0_5tupleIJPjSE_EEENSF_IJSE_SE_EEES9_SG_JZNS1_25segmented_radix_sort_implINS0_14default_configELb0EPKhPhPKlPlN2at6native12_GLOBAL__N_18offset_tEEE10hipError_tPvRmT1_PNSt15iterator_traitsISY_E10value_typeET2_T3_PNSZ_IS14_E10value_typeET4_jRbjT5_S1A_jjP12ihipStream_tbEUljE_EEESV_SW_SX_S14_S18_S1A_T6_T7_T9_mT8_S1C_bDpT10_ENKUlT_T0_E_clISt17integral_constantIbLb1EES1O_IbLb0EEEEDaS1K_S1L_EUlS1K_E_NS1_11comp_targetILNS1_3genE9ELNS1_11target_archE1100ELNS1_3gpuE3ELNS1_3repE0EEENS1_30default_config_static_selectorELNS0_4arch9wavefront6targetE0EEEvSY_,@function
_ZN7rocprim17ROCPRIM_400000_NS6detail17trampoline_kernelINS0_13select_configILj256ELj13ELNS0_17block_load_methodE3ELS4_3ELS4_3ELNS0_20block_scan_algorithmE0ELj4294967295EEENS1_25partition_config_selectorILNS1_17partition_subalgoE3EjNS0_10empty_typeEbEEZZNS1_14partition_implILS8_3ELb0ES6_jNS0_17counting_iteratorIjlEEPS9_SE_NS0_5tupleIJPjSE_EEENSF_IJSE_SE_EEES9_SG_JZNS1_25segmented_radix_sort_implINS0_14default_configELb0EPKhPhPKlPlN2at6native12_GLOBAL__N_18offset_tEEE10hipError_tPvRmT1_PNSt15iterator_traitsISY_E10value_typeET2_T3_PNSZ_IS14_E10value_typeET4_jRbjT5_S1A_jjP12ihipStream_tbEUljE_EEESV_SW_SX_S14_S18_S1A_T6_T7_T9_mT8_S1C_bDpT10_ENKUlT_T0_E_clISt17integral_constantIbLb1EES1O_IbLb0EEEEDaS1K_S1L_EUlS1K_E_NS1_11comp_targetILNS1_3genE9ELNS1_11target_archE1100ELNS1_3gpuE3ELNS1_3repE0EEENS1_30default_config_static_selectorELNS0_4arch9wavefront6targetE0EEEvSY_: ; @_ZN7rocprim17ROCPRIM_400000_NS6detail17trampoline_kernelINS0_13select_configILj256ELj13ELNS0_17block_load_methodE3ELS4_3ELS4_3ELNS0_20block_scan_algorithmE0ELj4294967295EEENS1_25partition_config_selectorILNS1_17partition_subalgoE3EjNS0_10empty_typeEbEEZZNS1_14partition_implILS8_3ELb0ES6_jNS0_17counting_iteratorIjlEEPS9_SE_NS0_5tupleIJPjSE_EEENSF_IJSE_SE_EEES9_SG_JZNS1_25segmented_radix_sort_implINS0_14default_configELb0EPKhPhPKlPlN2at6native12_GLOBAL__N_18offset_tEEE10hipError_tPvRmT1_PNSt15iterator_traitsISY_E10value_typeET2_T3_PNSZ_IS14_E10value_typeET4_jRbjT5_S1A_jjP12ihipStream_tbEUljE_EEESV_SW_SX_S14_S18_S1A_T6_T7_T9_mT8_S1C_bDpT10_ENKUlT_T0_E_clISt17integral_constantIbLb1EES1O_IbLb0EEEEDaS1K_S1L_EUlS1K_E_NS1_11comp_targetILNS1_3genE9ELNS1_11target_archE1100ELNS1_3gpuE3ELNS1_3repE0EEENS1_30default_config_static_selectorELNS0_4arch9wavefront6targetE0EEEvSY_
; %bb.0:
	.section	.rodata,"a",@progbits
	.p2align	6, 0x0
	.amdhsa_kernel _ZN7rocprim17ROCPRIM_400000_NS6detail17trampoline_kernelINS0_13select_configILj256ELj13ELNS0_17block_load_methodE3ELS4_3ELS4_3ELNS0_20block_scan_algorithmE0ELj4294967295EEENS1_25partition_config_selectorILNS1_17partition_subalgoE3EjNS0_10empty_typeEbEEZZNS1_14partition_implILS8_3ELb0ES6_jNS0_17counting_iteratorIjlEEPS9_SE_NS0_5tupleIJPjSE_EEENSF_IJSE_SE_EEES9_SG_JZNS1_25segmented_radix_sort_implINS0_14default_configELb0EPKhPhPKlPlN2at6native12_GLOBAL__N_18offset_tEEE10hipError_tPvRmT1_PNSt15iterator_traitsISY_E10value_typeET2_T3_PNSZ_IS14_E10value_typeET4_jRbjT5_S1A_jjP12ihipStream_tbEUljE_EEESV_SW_SX_S14_S18_S1A_T6_T7_T9_mT8_S1C_bDpT10_ENKUlT_T0_E_clISt17integral_constantIbLb1EES1O_IbLb0EEEEDaS1K_S1L_EUlS1K_E_NS1_11comp_targetILNS1_3genE9ELNS1_11target_archE1100ELNS1_3gpuE3ELNS1_3repE0EEENS1_30default_config_static_selectorELNS0_4arch9wavefront6targetE0EEEvSY_
		.amdhsa_group_segment_fixed_size 0
		.amdhsa_private_segment_fixed_size 0
		.amdhsa_kernarg_size 144
		.amdhsa_user_sgpr_count 6
		.amdhsa_user_sgpr_private_segment_buffer 1
		.amdhsa_user_sgpr_dispatch_ptr 0
		.amdhsa_user_sgpr_queue_ptr 0
		.amdhsa_user_sgpr_kernarg_segment_ptr 1
		.amdhsa_user_sgpr_dispatch_id 0
		.amdhsa_user_sgpr_flat_scratch_init 0
		.amdhsa_user_sgpr_private_segment_size 0
		.amdhsa_wavefront_size32 1
		.amdhsa_uses_dynamic_stack 0
		.amdhsa_system_sgpr_private_segment_wavefront_offset 0
		.amdhsa_system_sgpr_workgroup_id_x 1
		.amdhsa_system_sgpr_workgroup_id_y 0
		.amdhsa_system_sgpr_workgroup_id_z 0
		.amdhsa_system_sgpr_workgroup_info 0
		.amdhsa_system_vgpr_workitem_id 0
		.amdhsa_next_free_vgpr 1
		.amdhsa_next_free_sgpr 1
		.amdhsa_reserve_vcc 0
		.amdhsa_reserve_flat_scratch 0
		.amdhsa_float_round_mode_32 0
		.amdhsa_float_round_mode_16_64 0
		.amdhsa_float_denorm_mode_32 3
		.amdhsa_float_denorm_mode_16_64 3
		.amdhsa_dx10_clamp 1
		.amdhsa_ieee_mode 1
		.amdhsa_fp16_overflow 0
		.amdhsa_workgroup_processor_mode 1
		.amdhsa_memory_ordered 1
		.amdhsa_forward_progress 1
		.amdhsa_shared_vgpr_count 0
		.amdhsa_exception_fp_ieee_invalid_op 0
		.amdhsa_exception_fp_denorm_src 0
		.amdhsa_exception_fp_ieee_div_zero 0
		.amdhsa_exception_fp_ieee_overflow 0
		.amdhsa_exception_fp_ieee_underflow 0
		.amdhsa_exception_fp_ieee_inexact 0
		.amdhsa_exception_int_div_zero 0
	.end_amdhsa_kernel
	.section	.text._ZN7rocprim17ROCPRIM_400000_NS6detail17trampoline_kernelINS0_13select_configILj256ELj13ELNS0_17block_load_methodE3ELS4_3ELS4_3ELNS0_20block_scan_algorithmE0ELj4294967295EEENS1_25partition_config_selectorILNS1_17partition_subalgoE3EjNS0_10empty_typeEbEEZZNS1_14partition_implILS8_3ELb0ES6_jNS0_17counting_iteratorIjlEEPS9_SE_NS0_5tupleIJPjSE_EEENSF_IJSE_SE_EEES9_SG_JZNS1_25segmented_radix_sort_implINS0_14default_configELb0EPKhPhPKlPlN2at6native12_GLOBAL__N_18offset_tEEE10hipError_tPvRmT1_PNSt15iterator_traitsISY_E10value_typeET2_T3_PNSZ_IS14_E10value_typeET4_jRbjT5_S1A_jjP12ihipStream_tbEUljE_EEESV_SW_SX_S14_S18_S1A_T6_T7_T9_mT8_S1C_bDpT10_ENKUlT_T0_E_clISt17integral_constantIbLb1EES1O_IbLb0EEEEDaS1K_S1L_EUlS1K_E_NS1_11comp_targetILNS1_3genE9ELNS1_11target_archE1100ELNS1_3gpuE3ELNS1_3repE0EEENS1_30default_config_static_selectorELNS0_4arch9wavefront6targetE0EEEvSY_,"axG",@progbits,_ZN7rocprim17ROCPRIM_400000_NS6detail17trampoline_kernelINS0_13select_configILj256ELj13ELNS0_17block_load_methodE3ELS4_3ELS4_3ELNS0_20block_scan_algorithmE0ELj4294967295EEENS1_25partition_config_selectorILNS1_17partition_subalgoE3EjNS0_10empty_typeEbEEZZNS1_14partition_implILS8_3ELb0ES6_jNS0_17counting_iteratorIjlEEPS9_SE_NS0_5tupleIJPjSE_EEENSF_IJSE_SE_EEES9_SG_JZNS1_25segmented_radix_sort_implINS0_14default_configELb0EPKhPhPKlPlN2at6native12_GLOBAL__N_18offset_tEEE10hipError_tPvRmT1_PNSt15iterator_traitsISY_E10value_typeET2_T3_PNSZ_IS14_E10value_typeET4_jRbjT5_S1A_jjP12ihipStream_tbEUljE_EEESV_SW_SX_S14_S18_S1A_T6_T7_T9_mT8_S1C_bDpT10_ENKUlT_T0_E_clISt17integral_constantIbLb1EES1O_IbLb0EEEEDaS1K_S1L_EUlS1K_E_NS1_11comp_targetILNS1_3genE9ELNS1_11target_archE1100ELNS1_3gpuE3ELNS1_3repE0EEENS1_30default_config_static_selectorELNS0_4arch9wavefront6targetE0EEEvSY_,comdat
.Lfunc_end175:
	.size	_ZN7rocprim17ROCPRIM_400000_NS6detail17trampoline_kernelINS0_13select_configILj256ELj13ELNS0_17block_load_methodE3ELS4_3ELS4_3ELNS0_20block_scan_algorithmE0ELj4294967295EEENS1_25partition_config_selectorILNS1_17partition_subalgoE3EjNS0_10empty_typeEbEEZZNS1_14partition_implILS8_3ELb0ES6_jNS0_17counting_iteratorIjlEEPS9_SE_NS0_5tupleIJPjSE_EEENSF_IJSE_SE_EEES9_SG_JZNS1_25segmented_radix_sort_implINS0_14default_configELb0EPKhPhPKlPlN2at6native12_GLOBAL__N_18offset_tEEE10hipError_tPvRmT1_PNSt15iterator_traitsISY_E10value_typeET2_T3_PNSZ_IS14_E10value_typeET4_jRbjT5_S1A_jjP12ihipStream_tbEUljE_EEESV_SW_SX_S14_S18_S1A_T6_T7_T9_mT8_S1C_bDpT10_ENKUlT_T0_E_clISt17integral_constantIbLb1EES1O_IbLb0EEEEDaS1K_S1L_EUlS1K_E_NS1_11comp_targetILNS1_3genE9ELNS1_11target_archE1100ELNS1_3gpuE3ELNS1_3repE0EEENS1_30default_config_static_selectorELNS0_4arch9wavefront6targetE0EEEvSY_, .Lfunc_end175-_ZN7rocprim17ROCPRIM_400000_NS6detail17trampoline_kernelINS0_13select_configILj256ELj13ELNS0_17block_load_methodE3ELS4_3ELS4_3ELNS0_20block_scan_algorithmE0ELj4294967295EEENS1_25partition_config_selectorILNS1_17partition_subalgoE3EjNS0_10empty_typeEbEEZZNS1_14partition_implILS8_3ELb0ES6_jNS0_17counting_iteratorIjlEEPS9_SE_NS0_5tupleIJPjSE_EEENSF_IJSE_SE_EEES9_SG_JZNS1_25segmented_radix_sort_implINS0_14default_configELb0EPKhPhPKlPlN2at6native12_GLOBAL__N_18offset_tEEE10hipError_tPvRmT1_PNSt15iterator_traitsISY_E10value_typeET2_T3_PNSZ_IS14_E10value_typeET4_jRbjT5_S1A_jjP12ihipStream_tbEUljE_EEESV_SW_SX_S14_S18_S1A_T6_T7_T9_mT8_S1C_bDpT10_ENKUlT_T0_E_clISt17integral_constantIbLb1EES1O_IbLb0EEEEDaS1K_S1L_EUlS1K_E_NS1_11comp_targetILNS1_3genE9ELNS1_11target_archE1100ELNS1_3gpuE3ELNS1_3repE0EEENS1_30default_config_static_selectorELNS0_4arch9wavefront6targetE0EEEvSY_
                                        ; -- End function
	.set _ZN7rocprim17ROCPRIM_400000_NS6detail17trampoline_kernelINS0_13select_configILj256ELj13ELNS0_17block_load_methodE3ELS4_3ELS4_3ELNS0_20block_scan_algorithmE0ELj4294967295EEENS1_25partition_config_selectorILNS1_17partition_subalgoE3EjNS0_10empty_typeEbEEZZNS1_14partition_implILS8_3ELb0ES6_jNS0_17counting_iteratorIjlEEPS9_SE_NS0_5tupleIJPjSE_EEENSF_IJSE_SE_EEES9_SG_JZNS1_25segmented_radix_sort_implINS0_14default_configELb0EPKhPhPKlPlN2at6native12_GLOBAL__N_18offset_tEEE10hipError_tPvRmT1_PNSt15iterator_traitsISY_E10value_typeET2_T3_PNSZ_IS14_E10value_typeET4_jRbjT5_S1A_jjP12ihipStream_tbEUljE_EEESV_SW_SX_S14_S18_S1A_T6_T7_T9_mT8_S1C_bDpT10_ENKUlT_T0_E_clISt17integral_constantIbLb1EES1O_IbLb0EEEEDaS1K_S1L_EUlS1K_E_NS1_11comp_targetILNS1_3genE9ELNS1_11target_archE1100ELNS1_3gpuE3ELNS1_3repE0EEENS1_30default_config_static_selectorELNS0_4arch9wavefront6targetE0EEEvSY_.num_vgpr, 0
	.set _ZN7rocprim17ROCPRIM_400000_NS6detail17trampoline_kernelINS0_13select_configILj256ELj13ELNS0_17block_load_methodE3ELS4_3ELS4_3ELNS0_20block_scan_algorithmE0ELj4294967295EEENS1_25partition_config_selectorILNS1_17partition_subalgoE3EjNS0_10empty_typeEbEEZZNS1_14partition_implILS8_3ELb0ES6_jNS0_17counting_iteratorIjlEEPS9_SE_NS0_5tupleIJPjSE_EEENSF_IJSE_SE_EEES9_SG_JZNS1_25segmented_radix_sort_implINS0_14default_configELb0EPKhPhPKlPlN2at6native12_GLOBAL__N_18offset_tEEE10hipError_tPvRmT1_PNSt15iterator_traitsISY_E10value_typeET2_T3_PNSZ_IS14_E10value_typeET4_jRbjT5_S1A_jjP12ihipStream_tbEUljE_EEESV_SW_SX_S14_S18_S1A_T6_T7_T9_mT8_S1C_bDpT10_ENKUlT_T0_E_clISt17integral_constantIbLb1EES1O_IbLb0EEEEDaS1K_S1L_EUlS1K_E_NS1_11comp_targetILNS1_3genE9ELNS1_11target_archE1100ELNS1_3gpuE3ELNS1_3repE0EEENS1_30default_config_static_selectorELNS0_4arch9wavefront6targetE0EEEvSY_.num_agpr, 0
	.set _ZN7rocprim17ROCPRIM_400000_NS6detail17trampoline_kernelINS0_13select_configILj256ELj13ELNS0_17block_load_methodE3ELS4_3ELS4_3ELNS0_20block_scan_algorithmE0ELj4294967295EEENS1_25partition_config_selectorILNS1_17partition_subalgoE3EjNS0_10empty_typeEbEEZZNS1_14partition_implILS8_3ELb0ES6_jNS0_17counting_iteratorIjlEEPS9_SE_NS0_5tupleIJPjSE_EEENSF_IJSE_SE_EEES9_SG_JZNS1_25segmented_radix_sort_implINS0_14default_configELb0EPKhPhPKlPlN2at6native12_GLOBAL__N_18offset_tEEE10hipError_tPvRmT1_PNSt15iterator_traitsISY_E10value_typeET2_T3_PNSZ_IS14_E10value_typeET4_jRbjT5_S1A_jjP12ihipStream_tbEUljE_EEESV_SW_SX_S14_S18_S1A_T6_T7_T9_mT8_S1C_bDpT10_ENKUlT_T0_E_clISt17integral_constantIbLb1EES1O_IbLb0EEEEDaS1K_S1L_EUlS1K_E_NS1_11comp_targetILNS1_3genE9ELNS1_11target_archE1100ELNS1_3gpuE3ELNS1_3repE0EEENS1_30default_config_static_selectorELNS0_4arch9wavefront6targetE0EEEvSY_.numbered_sgpr, 0
	.set _ZN7rocprim17ROCPRIM_400000_NS6detail17trampoline_kernelINS0_13select_configILj256ELj13ELNS0_17block_load_methodE3ELS4_3ELS4_3ELNS0_20block_scan_algorithmE0ELj4294967295EEENS1_25partition_config_selectorILNS1_17partition_subalgoE3EjNS0_10empty_typeEbEEZZNS1_14partition_implILS8_3ELb0ES6_jNS0_17counting_iteratorIjlEEPS9_SE_NS0_5tupleIJPjSE_EEENSF_IJSE_SE_EEES9_SG_JZNS1_25segmented_radix_sort_implINS0_14default_configELb0EPKhPhPKlPlN2at6native12_GLOBAL__N_18offset_tEEE10hipError_tPvRmT1_PNSt15iterator_traitsISY_E10value_typeET2_T3_PNSZ_IS14_E10value_typeET4_jRbjT5_S1A_jjP12ihipStream_tbEUljE_EEESV_SW_SX_S14_S18_S1A_T6_T7_T9_mT8_S1C_bDpT10_ENKUlT_T0_E_clISt17integral_constantIbLb1EES1O_IbLb0EEEEDaS1K_S1L_EUlS1K_E_NS1_11comp_targetILNS1_3genE9ELNS1_11target_archE1100ELNS1_3gpuE3ELNS1_3repE0EEENS1_30default_config_static_selectorELNS0_4arch9wavefront6targetE0EEEvSY_.num_named_barrier, 0
	.set _ZN7rocprim17ROCPRIM_400000_NS6detail17trampoline_kernelINS0_13select_configILj256ELj13ELNS0_17block_load_methodE3ELS4_3ELS4_3ELNS0_20block_scan_algorithmE0ELj4294967295EEENS1_25partition_config_selectorILNS1_17partition_subalgoE3EjNS0_10empty_typeEbEEZZNS1_14partition_implILS8_3ELb0ES6_jNS0_17counting_iteratorIjlEEPS9_SE_NS0_5tupleIJPjSE_EEENSF_IJSE_SE_EEES9_SG_JZNS1_25segmented_radix_sort_implINS0_14default_configELb0EPKhPhPKlPlN2at6native12_GLOBAL__N_18offset_tEEE10hipError_tPvRmT1_PNSt15iterator_traitsISY_E10value_typeET2_T3_PNSZ_IS14_E10value_typeET4_jRbjT5_S1A_jjP12ihipStream_tbEUljE_EEESV_SW_SX_S14_S18_S1A_T6_T7_T9_mT8_S1C_bDpT10_ENKUlT_T0_E_clISt17integral_constantIbLb1EES1O_IbLb0EEEEDaS1K_S1L_EUlS1K_E_NS1_11comp_targetILNS1_3genE9ELNS1_11target_archE1100ELNS1_3gpuE3ELNS1_3repE0EEENS1_30default_config_static_selectorELNS0_4arch9wavefront6targetE0EEEvSY_.private_seg_size, 0
	.set _ZN7rocprim17ROCPRIM_400000_NS6detail17trampoline_kernelINS0_13select_configILj256ELj13ELNS0_17block_load_methodE3ELS4_3ELS4_3ELNS0_20block_scan_algorithmE0ELj4294967295EEENS1_25partition_config_selectorILNS1_17partition_subalgoE3EjNS0_10empty_typeEbEEZZNS1_14partition_implILS8_3ELb0ES6_jNS0_17counting_iteratorIjlEEPS9_SE_NS0_5tupleIJPjSE_EEENSF_IJSE_SE_EEES9_SG_JZNS1_25segmented_radix_sort_implINS0_14default_configELb0EPKhPhPKlPlN2at6native12_GLOBAL__N_18offset_tEEE10hipError_tPvRmT1_PNSt15iterator_traitsISY_E10value_typeET2_T3_PNSZ_IS14_E10value_typeET4_jRbjT5_S1A_jjP12ihipStream_tbEUljE_EEESV_SW_SX_S14_S18_S1A_T6_T7_T9_mT8_S1C_bDpT10_ENKUlT_T0_E_clISt17integral_constantIbLb1EES1O_IbLb0EEEEDaS1K_S1L_EUlS1K_E_NS1_11comp_targetILNS1_3genE9ELNS1_11target_archE1100ELNS1_3gpuE3ELNS1_3repE0EEENS1_30default_config_static_selectorELNS0_4arch9wavefront6targetE0EEEvSY_.uses_vcc, 0
	.set _ZN7rocprim17ROCPRIM_400000_NS6detail17trampoline_kernelINS0_13select_configILj256ELj13ELNS0_17block_load_methodE3ELS4_3ELS4_3ELNS0_20block_scan_algorithmE0ELj4294967295EEENS1_25partition_config_selectorILNS1_17partition_subalgoE3EjNS0_10empty_typeEbEEZZNS1_14partition_implILS8_3ELb0ES6_jNS0_17counting_iteratorIjlEEPS9_SE_NS0_5tupleIJPjSE_EEENSF_IJSE_SE_EEES9_SG_JZNS1_25segmented_radix_sort_implINS0_14default_configELb0EPKhPhPKlPlN2at6native12_GLOBAL__N_18offset_tEEE10hipError_tPvRmT1_PNSt15iterator_traitsISY_E10value_typeET2_T3_PNSZ_IS14_E10value_typeET4_jRbjT5_S1A_jjP12ihipStream_tbEUljE_EEESV_SW_SX_S14_S18_S1A_T6_T7_T9_mT8_S1C_bDpT10_ENKUlT_T0_E_clISt17integral_constantIbLb1EES1O_IbLb0EEEEDaS1K_S1L_EUlS1K_E_NS1_11comp_targetILNS1_3genE9ELNS1_11target_archE1100ELNS1_3gpuE3ELNS1_3repE0EEENS1_30default_config_static_selectorELNS0_4arch9wavefront6targetE0EEEvSY_.uses_flat_scratch, 0
	.set _ZN7rocprim17ROCPRIM_400000_NS6detail17trampoline_kernelINS0_13select_configILj256ELj13ELNS0_17block_load_methodE3ELS4_3ELS4_3ELNS0_20block_scan_algorithmE0ELj4294967295EEENS1_25partition_config_selectorILNS1_17partition_subalgoE3EjNS0_10empty_typeEbEEZZNS1_14partition_implILS8_3ELb0ES6_jNS0_17counting_iteratorIjlEEPS9_SE_NS0_5tupleIJPjSE_EEENSF_IJSE_SE_EEES9_SG_JZNS1_25segmented_radix_sort_implINS0_14default_configELb0EPKhPhPKlPlN2at6native12_GLOBAL__N_18offset_tEEE10hipError_tPvRmT1_PNSt15iterator_traitsISY_E10value_typeET2_T3_PNSZ_IS14_E10value_typeET4_jRbjT5_S1A_jjP12ihipStream_tbEUljE_EEESV_SW_SX_S14_S18_S1A_T6_T7_T9_mT8_S1C_bDpT10_ENKUlT_T0_E_clISt17integral_constantIbLb1EES1O_IbLb0EEEEDaS1K_S1L_EUlS1K_E_NS1_11comp_targetILNS1_3genE9ELNS1_11target_archE1100ELNS1_3gpuE3ELNS1_3repE0EEENS1_30default_config_static_selectorELNS0_4arch9wavefront6targetE0EEEvSY_.has_dyn_sized_stack, 0
	.set _ZN7rocprim17ROCPRIM_400000_NS6detail17trampoline_kernelINS0_13select_configILj256ELj13ELNS0_17block_load_methodE3ELS4_3ELS4_3ELNS0_20block_scan_algorithmE0ELj4294967295EEENS1_25partition_config_selectorILNS1_17partition_subalgoE3EjNS0_10empty_typeEbEEZZNS1_14partition_implILS8_3ELb0ES6_jNS0_17counting_iteratorIjlEEPS9_SE_NS0_5tupleIJPjSE_EEENSF_IJSE_SE_EEES9_SG_JZNS1_25segmented_radix_sort_implINS0_14default_configELb0EPKhPhPKlPlN2at6native12_GLOBAL__N_18offset_tEEE10hipError_tPvRmT1_PNSt15iterator_traitsISY_E10value_typeET2_T3_PNSZ_IS14_E10value_typeET4_jRbjT5_S1A_jjP12ihipStream_tbEUljE_EEESV_SW_SX_S14_S18_S1A_T6_T7_T9_mT8_S1C_bDpT10_ENKUlT_T0_E_clISt17integral_constantIbLb1EES1O_IbLb0EEEEDaS1K_S1L_EUlS1K_E_NS1_11comp_targetILNS1_3genE9ELNS1_11target_archE1100ELNS1_3gpuE3ELNS1_3repE0EEENS1_30default_config_static_selectorELNS0_4arch9wavefront6targetE0EEEvSY_.has_recursion, 0
	.set _ZN7rocprim17ROCPRIM_400000_NS6detail17trampoline_kernelINS0_13select_configILj256ELj13ELNS0_17block_load_methodE3ELS4_3ELS4_3ELNS0_20block_scan_algorithmE0ELj4294967295EEENS1_25partition_config_selectorILNS1_17partition_subalgoE3EjNS0_10empty_typeEbEEZZNS1_14partition_implILS8_3ELb0ES6_jNS0_17counting_iteratorIjlEEPS9_SE_NS0_5tupleIJPjSE_EEENSF_IJSE_SE_EEES9_SG_JZNS1_25segmented_radix_sort_implINS0_14default_configELb0EPKhPhPKlPlN2at6native12_GLOBAL__N_18offset_tEEE10hipError_tPvRmT1_PNSt15iterator_traitsISY_E10value_typeET2_T3_PNSZ_IS14_E10value_typeET4_jRbjT5_S1A_jjP12ihipStream_tbEUljE_EEESV_SW_SX_S14_S18_S1A_T6_T7_T9_mT8_S1C_bDpT10_ENKUlT_T0_E_clISt17integral_constantIbLb1EES1O_IbLb0EEEEDaS1K_S1L_EUlS1K_E_NS1_11comp_targetILNS1_3genE9ELNS1_11target_archE1100ELNS1_3gpuE3ELNS1_3repE0EEENS1_30default_config_static_selectorELNS0_4arch9wavefront6targetE0EEEvSY_.has_indirect_call, 0
	.section	.AMDGPU.csdata,"",@progbits
; Kernel info:
; codeLenInByte = 0
; TotalNumSgprs: 0
; NumVgprs: 0
; ScratchSize: 0
; MemoryBound: 0
; FloatMode: 240
; IeeeMode: 1
; LDSByteSize: 0 bytes/workgroup (compile time only)
; SGPRBlocks: 0
; VGPRBlocks: 0
; NumSGPRsForWavesPerEU: 1
; NumVGPRsForWavesPerEU: 1
; Occupancy: 16
; WaveLimiterHint : 0
; COMPUTE_PGM_RSRC2:SCRATCH_EN: 0
; COMPUTE_PGM_RSRC2:USER_SGPR: 6
; COMPUTE_PGM_RSRC2:TRAP_HANDLER: 0
; COMPUTE_PGM_RSRC2:TGID_X_EN: 1
; COMPUTE_PGM_RSRC2:TGID_Y_EN: 0
; COMPUTE_PGM_RSRC2:TGID_Z_EN: 0
; COMPUTE_PGM_RSRC2:TIDIG_COMP_CNT: 0
	.section	.text._ZN7rocprim17ROCPRIM_400000_NS6detail17trampoline_kernelINS0_13select_configILj256ELj13ELNS0_17block_load_methodE3ELS4_3ELS4_3ELNS0_20block_scan_algorithmE0ELj4294967295EEENS1_25partition_config_selectorILNS1_17partition_subalgoE3EjNS0_10empty_typeEbEEZZNS1_14partition_implILS8_3ELb0ES6_jNS0_17counting_iteratorIjlEEPS9_SE_NS0_5tupleIJPjSE_EEENSF_IJSE_SE_EEES9_SG_JZNS1_25segmented_radix_sort_implINS0_14default_configELb0EPKhPhPKlPlN2at6native12_GLOBAL__N_18offset_tEEE10hipError_tPvRmT1_PNSt15iterator_traitsISY_E10value_typeET2_T3_PNSZ_IS14_E10value_typeET4_jRbjT5_S1A_jjP12ihipStream_tbEUljE_EEESV_SW_SX_S14_S18_S1A_T6_T7_T9_mT8_S1C_bDpT10_ENKUlT_T0_E_clISt17integral_constantIbLb1EES1O_IbLb0EEEEDaS1K_S1L_EUlS1K_E_NS1_11comp_targetILNS1_3genE8ELNS1_11target_archE1030ELNS1_3gpuE2ELNS1_3repE0EEENS1_30default_config_static_selectorELNS0_4arch9wavefront6targetE0EEEvSY_,"axG",@progbits,_ZN7rocprim17ROCPRIM_400000_NS6detail17trampoline_kernelINS0_13select_configILj256ELj13ELNS0_17block_load_methodE3ELS4_3ELS4_3ELNS0_20block_scan_algorithmE0ELj4294967295EEENS1_25partition_config_selectorILNS1_17partition_subalgoE3EjNS0_10empty_typeEbEEZZNS1_14partition_implILS8_3ELb0ES6_jNS0_17counting_iteratorIjlEEPS9_SE_NS0_5tupleIJPjSE_EEENSF_IJSE_SE_EEES9_SG_JZNS1_25segmented_radix_sort_implINS0_14default_configELb0EPKhPhPKlPlN2at6native12_GLOBAL__N_18offset_tEEE10hipError_tPvRmT1_PNSt15iterator_traitsISY_E10value_typeET2_T3_PNSZ_IS14_E10value_typeET4_jRbjT5_S1A_jjP12ihipStream_tbEUljE_EEESV_SW_SX_S14_S18_S1A_T6_T7_T9_mT8_S1C_bDpT10_ENKUlT_T0_E_clISt17integral_constantIbLb1EES1O_IbLb0EEEEDaS1K_S1L_EUlS1K_E_NS1_11comp_targetILNS1_3genE8ELNS1_11target_archE1030ELNS1_3gpuE2ELNS1_3repE0EEENS1_30default_config_static_selectorELNS0_4arch9wavefront6targetE0EEEvSY_,comdat
	.globl	_ZN7rocprim17ROCPRIM_400000_NS6detail17trampoline_kernelINS0_13select_configILj256ELj13ELNS0_17block_load_methodE3ELS4_3ELS4_3ELNS0_20block_scan_algorithmE0ELj4294967295EEENS1_25partition_config_selectorILNS1_17partition_subalgoE3EjNS0_10empty_typeEbEEZZNS1_14partition_implILS8_3ELb0ES6_jNS0_17counting_iteratorIjlEEPS9_SE_NS0_5tupleIJPjSE_EEENSF_IJSE_SE_EEES9_SG_JZNS1_25segmented_radix_sort_implINS0_14default_configELb0EPKhPhPKlPlN2at6native12_GLOBAL__N_18offset_tEEE10hipError_tPvRmT1_PNSt15iterator_traitsISY_E10value_typeET2_T3_PNSZ_IS14_E10value_typeET4_jRbjT5_S1A_jjP12ihipStream_tbEUljE_EEESV_SW_SX_S14_S18_S1A_T6_T7_T9_mT8_S1C_bDpT10_ENKUlT_T0_E_clISt17integral_constantIbLb1EES1O_IbLb0EEEEDaS1K_S1L_EUlS1K_E_NS1_11comp_targetILNS1_3genE8ELNS1_11target_archE1030ELNS1_3gpuE2ELNS1_3repE0EEENS1_30default_config_static_selectorELNS0_4arch9wavefront6targetE0EEEvSY_ ; -- Begin function _ZN7rocprim17ROCPRIM_400000_NS6detail17trampoline_kernelINS0_13select_configILj256ELj13ELNS0_17block_load_methodE3ELS4_3ELS4_3ELNS0_20block_scan_algorithmE0ELj4294967295EEENS1_25partition_config_selectorILNS1_17partition_subalgoE3EjNS0_10empty_typeEbEEZZNS1_14partition_implILS8_3ELb0ES6_jNS0_17counting_iteratorIjlEEPS9_SE_NS0_5tupleIJPjSE_EEENSF_IJSE_SE_EEES9_SG_JZNS1_25segmented_radix_sort_implINS0_14default_configELb0EPKhPhPKlPlN2at6native12_GLOBAL__N_18offset_tEEE10hipError_tPvRmT1_PNSt15iterator_traitsISY_E10value_typeET2_T3_PNSZ_IS14_E10value_typeET4_jRbjT5_S1A_jjP12ihipStream_tbEUljE_EEESV_SW_SX_S14_S18_S1A_T6_T7_T9_mT8_S1C_bDpT10_ENKUlT_T0_E_clISt17integral_constantIbLb1EES1O_IbLb0EEEEDaS1K_S1L_EUlS1K_E_NS1_11comp_targetILNS1_3genE8ELNS1_11target_archE1030ELNS1_3gpuE2ELNS1_3repE0EEENS1_30default_config_static_selectorELNS0_4arch9wavefront6targetE0EEEvSY_
	.p2align	8
	.type	_ZN7rocprim17ROCPRIM_400000_NS6detail17trampoline_kernelINS0_13select_configILj256ELj13ELNS0_17block_load_methodE3ELS4_3ELS4_3ELNS0_20block_scan_algorithmE0ELj4294967295EEENS1_25partition_config_selectorILNS1_17partition_subalgoE3EjNS0_10empty_typeEbEEZZNS1_14partition_implILS8_3ELb0ES6_jNS0_17counting_iteratorIjlEEPS9_SE_NS0_5tupleIJPjSE_EEENSF_IJSE_SE_EEES9_SG_JZNS1_25segmented_radix_sort_implINS0_14default_configELb0EPKhPhPKlPlN2at6native12_GLOBAL__N_18offset_tEEE10hipError_tPvRmT1_PNSt15iterator_traitsISY_E10value_typeET2_T3_PNSZ_IS14_E10value_typeET4_jRbjT5_S1A_jjP12ihipStream_tbEUljE_EEESV_SW_SX_S14_S18_S1A_T6_T7_T9_mT8_S1C_bDpT10_ENKUlT_T0_E_clISt17integral_constantIbLb1EES1O_IbLb0EEEEDaS1K_S1L_EUlS1K_E_NS1_11comp_targetILNS1_3genE8ELNS1_11target_archE1030ELNS1_3gpuE2ELNS1_3repE0EEENS1_30default_config_static_selectorELNS0_4arch9wavefront6targetE0EEEvSY_,@function
_ZN7rocprim17ROCPRIM_400000_NS6detail17trampoline_kernelINS0_13select_configILj256ELj13ELNS0_17block_load_methodE3ELS4_3ELS4_3ELNS0_20block_scan_algorithmE0ELj4294967295EEENS1_25partition_config_selectorILNS1_17partition_subalgoE3EjNS0_10empty_typeEbEEZZNS1_14partition_implILS8_3ELb0ES6_jNS0_17counting_iteratorIjlEEPS9_SE_NS0_5tupleIJPjSE_EEENSF_IJSE_SE_EEES9_SG_JZNS1_25segmented_radix_sort_implINS0_14default_configELb0EPKhPhPKlPlN2at6native12_GLOBAL__N_18offset_tEEE10hipError_tPvRmT1_PNSt15iterator_traitsISY_E10value_typeET2_T3_PNSZ_IS14_E10value_typeET4_jRbjT5_S1A_jjP12ihipStream_tbEUljE_EEESV_SW_SX_S14_S18_S1A_T6_T7_T9_mT8_S1C_bDpT10_ENKUlT_T0_E_clISt17integral_constantIbLb1EES1O_IbLb0EEEEDaS1K_S1L_EUlS1K_E_NS1_11comp_targetILNS1_3genE8ELNS1_11target_archE1030ELNS1_3gpuE2ELNS1_3repE0EEENS1_30default_config_static_selectorELNS0_4arch9wavefront6targetE0EEEvSY_: ; @_ZN7rocprim17ROCPRIM_400000_NS6detail17trampoline_kernelINS0_13select_configILj256ELj13ELNS0_17block_load_methodE3ELS4_3ELS4_3ELNS0_20block_scan_algorithmE0ELj4294967295EEENS1_25partition_config_selectorILNS1_17partition_subalgoE3EjNS0_10empty_typeEbEEZZNS1_14partition_implILS8_3ELb0ES6_jNS0_17counting_iteratorIjlEEPS9_SE_NS0_5tupleIJPjSE_EEENSF_IJSE_SE_EEES9_SG_JZNS1_25segmented_radix_sort_implINS0_14default_configELb0EPKhPhPKlPlN2at6native12_GLOBAL__N_18offset_tEEE10hipError_tPvRmT1_PNSt15iterator_traitsISY_E10value_typeET2_T3_PNSZ_IS14_E10value_typeET4_jRbjT5_S1A_jjP12ihipStream_tbEUljE_EEESV_SW_SX_S14_S18_S1A_T6_T7_T9_mT8_S1C_bDpT10_ENKUlT_T0_E_clISt17integral_constantIbLb1EES1O_IbLb0EEEEDaS1K_S1L_EUlS1K_E_NS1_11comp_targetILNS1_3genE8ELNS1_11target_archE1030ELNS1_3gpuE2ELNS1_3repE0EEENS1_30default_config_static_selectorELNS0_4arch9wavefront6targetE0EEEvSY_
; %bb.0:
	s_endpgm
	.section	.rodata,"a",@progbits
	.p2align	6, 0x0
	.amdhsa_kernel _ZN7rocprim17ROCPRIM_400000_NS6detail17trampoline_kernelINS0_13select_configILj256ELj13ELNS0_17block_load_methodE3ELS4_3ELS4_3ELNS0_20block_scan_algorithmE0ELj4294967295EEENS1_25partition_config_selectorILNS1_17partition_subalgoE3EjNS0_10empty_typeEbEEZZNS1_14partition_implILS8_3ELb0ES6_jNS0_17counting_iteratorIjlEEPS9_SE_NS0_5tupleIJPjSE_EEENSF_IJSE_SE_EEES9_SG_JZNS1_25segmented_radix_sort_implINS0_14default_configELb0EPKhPhPKlPlN2at6native12_GLOBAL__N_18offset_tEEE10hipError_tPvRmT1_PNSt15iterator_traitsISY_E10value_typeET2_T3_PNSZ_IS14_E10value_typeET4_jRbjT5_S1A_jjP12ihipStream_tbEUljE_EEESV_SW_SX_S14_S18_S1A_T6_T7_T9_mT8_S1C_bDpT10_ENKUlT_T0_E_clISt17integral_constantIbLb1EES1O_IbLb0EEEEDaS1K_S1L_EUlS1K_E_NS1_11comp_targetILNS1_3genE8ELNS1_11target_archE1030ELNS1_3gpuE2ELNS1_3repE0EEENS1_30default_config_static_selectorELNS0_4arch9wavefront6targetE0EEEvSY_
		.amdhsa_group_segment_fixed_size 0
		.amdhsa_private_segment_fixed_size 0
		.amdhsa_kernarg_size 144
		.amdhsa_user_sgpr_count 6
		.amdhsa_user_sgpr_private_segment_buffer 1
		.amdhsa_user_sgpr_dispatch_ptr 0
		.amdhsa_user_sgpr_queue_ptr 0
		.amdhsa_user_sgpr_kernarg_segment_ptr 1
		.amdhsa_user_sgpr_dispatch_id 0
		.amdhsa_user_sgpr_flat_scratch_init 0
		.amdhsa_user_sgpr_private_segment_size 0
		.amdhsa_wavefront_size32 1
		.amdhsa_uses_dynamic_stack 0
		.amdhsa_system_sgpr_private_segment_wavefront_offset 0
		.amdhsa_system_sgpr_workgroup_id_x 1
		.amdhsa_system_sgpr_workgroup_id_y 0
		.amdhsa_system_sgpr_workgroup_id_z 0
		.amdhsa_system_sgpr_workgroup_info 0
		.amdhsa_system_vgpr_workitem_id 0
		.amdhsa_next_free_vgpr 1
		.amdhsa_next_free_sgpr 1
		.amdhsa_reserve_vcc 0
		.amdhsa_reserve_flat_scratch 0
		.amdhsa_float_round_mode_32 0
		.amdhsa_float_round_mode_16_64 0
		.amdhsa_float_denorm_mode_32 3
		.amdhsa_float_denorm_mode_16_64 3
		.amdhsa_dx10_clamp 1
		.amdhsa_ieee_mode 1
		.amdhsa_fp16_overflow 0
		.amdhsa_workgroup_processor_mode 1
		.amdhsa_memory_ordered 1
		.amdhsa_forward_progress 1
		.amdhsa_shared_vgpr_count 0
		.amdhsa_exception_fp_ieee_invalid_op 0
		.amdhsa_exception_fp_denorm_src 0
		.amdhsa_exception_fp_ieee_div_zero 0
		.amdhsa_exception_fp_ieee_overflow 0
		.amdhsa_exception_fp_ieee_underflow 0
		.amdhsa_exception_fp_ieee_inexact 0
		.amdhsa_exception_int_div_zero 0
	.end_amdhsa_kernel
	.section	.text._ZN7rocprim17ROCPRIM_400000_NS6detail17trampoline_kernelINS0_13select_configILj256ELj13ELNS0_17block_load_methodE3ELS4_3ELS4_3ELNS0_20block_scan_algorithmE0ELj4294967295EEENS1_25partition_config_selectorILNS1_17partition_subalgoE3EjNS0_10empty_typeEbEEZZNS1_14partition_implILS8_3ELb0ES6_jNS0_17counting_iteratorIjlEEPS9_SE_NS0_5tupleIJPjSE_EEENSF_IJSE_SE_EEES9_SG_JZNS1_25segmented_radix_sort_implINS0_14default_configELb0EPKhPhPKlPlN2at6native12_GLOBAL__N_18offset_tEEE10hipError_tPvRmT1_PNSt15iterator_traitsISY_E10value_typeET2_T3_PNSZ_IS14_E10value_typeET4_jRbjT5_S1A_jjP12ihipStream_tbEUljE_EEESV_SW_SX_S14_S18_S1A_T6_T7_T9_mT8_S1C_bDpT10_ENKUlT_T0_E_clISt17integral_constantIbLb1EES1O_IbLb0EEEEDaS1K_S1L_EUlS1K_E_NS1_11comp_targetILNS1_3genE8ELNS1_11target_archE1030ELNS1_3gpuE2ELNS1_3repE0EEENS1_30default_config_static_selectorELNS0_4arch9wavefront6targetE0EEEvSY_,"axG",@progbits,_ZN7rocprim17ROCPRIM_400000_NS6detail17trampoline_kernelINS0_13select_configILj256ELj13ELNS0_17block_load_methodE3ELS4_3ELS4_3ELNS0_20block_scan_algorithmE0ELj4294967295EEENS1_25partition_config_selectorILNS1_17partition_subalgoE3EjNS0_10empty_typeEbEEZZNS1_14partition_implILS8_3ELb0ES6_jNS0_17counting_iteratorIjlEEPS9_SE_NS0_5tupleIJPjSE_EEENSF_IJSE_SE_EEES9_SG_JZNS1_25segmented_radix_sort_implINS0_14default_configELb0EPKhPhPKlPlN2at6native12_GLOBAL__N_18offset_tEEE10hipError_tPvRmT1_PNSt15iterator_traitsISY_E10value_typeET2_T3_PNSZ_IS14_E10value_typeET4_jRbjT5_S1A_jjP12ihipStream_tbEUljE_EEESV_SW_SX_S14_S18_S1A_T6_T7_T9_mT8_S1C_bDpT10_ENKUlT_T0_E_clISt17integral_constantIbLb1EES1O_IbLb0EEEEDaS1K_S1L_EUlS1K_E_NS1_11comp_targetILNS1_3genE8ELNS1_11target_archE1030ELNS1_3gpuE2ELNS1_3repE0EEENS1_30default_config_static_selectorELNS0_4arch9wavefront6targetE0EEEvSY_,comdat
.Lfunc_end176:
	.size	_ZN7rocprim17ROCPRIM_400000_NS6detail17trampoline_kernelINS0_13select_configILj256ELj13ELNS0_17block_load_methodE3ELS4_3ELS4_3ELNS0_20block_scan_algorithmE0ELj4294967295EEENS1_25partition_config_selectorILNS1_17partition_subalgoE3EjNS0_10empty_typeEbEEZZNS1_14partition_implILS8_3ELb0ES6_jNS0_17counting_iteratorIjlEEPS9_SE_NS0_5tupleIJPjSE_EEENSF_IJSE_SE_EEES9_SG_JZNS1_25segmented_radix_sort_implINS0_14default_configELb0EPKhPhPKlPlN2at6native12_GLOBAL__N_18offset_tEEE10hipError_tPvRmT1_PNSt15iterator_traitsISY_E10value_typeET2_T3_PNSZ_IS14_E10value_typeET4_jRbjT5_S1A_jjP12ihipStream_tbEUljE_EEESV_SW_SX_S14_S18_S1A_T6_T7_T9_mT8_S1C_bDpT10_ENKUlT_T0_E_clISt17integral_constantIbLb1EES1O_IbLb0EEEEDaS1K_S1L_EUlS1K_E_NS1_11comp_targetILNS1_3genE8ELNS1_11target_archE1030ELNS1_3gpuE2ELNS1_3repE0EEENS1_30default_config_static_selectorELNS0_4arch9wavefront6targetE0EEEvSY_, .Lfunc_end176-_ZN7rocprim17ROCPRIM_400000_NS6detail17trampoline_kernelINS0_13select_configILj256ELj13ELNS0_17block_load_methodE3ELS4_3ELS4_3ELNS0_20block_scan_algorithmE0ELj4294967295EEENS1_25partition_config_selectorILNS1_17partition_subalgoE3EjNS0_10empty_typeEbEEZZNS1_14partition_implILS8_3ELb0ES6_jNS0_17counting_iteratorIjlEEPS9_SE_NS0_5tupleIJPjSE_EEENSF_IJSE_SE_EEES9_SG_JZNS1_25segmented_radix_sort_implINS0_14default_configELb0EPKhPhPKlPlN2at6native12_GLOBAL__N_18offset_tEEE10hipError_tPvRmT1_PNSt15iterator_traitsISY_E10value_typeET2_T3_PNSZ_IS14_E10value_typeET4_jRbjT5_S1A_jjP12ihipStream_tbEUljE_EEESV_SW_SX_S14_S18_S1A_T6_T7_T9_mT8_S1C_bDpT10_ENKUlT_T0_E_clISt17integral_constantIbLb1EES1O_IbLb0EEEEDaS1K_S1L_EUlS1K_E_NS1_11comp_targetILNS1_3genE8ELNS1_11target_archE1030ELNS1_3gpuE2ELNS1_3repE0EEENS1_30default_config_static_selectorELNS0_4arch9wavefront6targetE0EEEvSY_
                                        ; -- End function
	.set _ZN7rocprim17ROCPRIM_400000_NS6detail17trampoline_kernelINS0_13select_configILj256ELj13ELNS0_17block_load_methodE3ELS4_3ELS4_3ELNS0_20block_scan_algorithmE0ELj4294967295EEENS1_25partition_config_selectorILNS1_17partition_subalgoE3EjNS0_10empty_typeEbEEZZNS1_14partition_implILS8_3ELb0ES6_jNS0_17counting_iteratorIjlEEPS9_SE_NS0_5tupleIJPjSE_EEENSF_IJSE_SE_EEES9_SG_JZNS1_25segmented_radix_sort_implINS0_14default_configELb0EPKhPhPKlPlN2at6native12_GLOBAL__N_18offset_tEEE10hipError_tPvRmT1_PNSt15iterator_traitsISY_E10value_typeET2_T3_PNSZ_IS14_E10value_typeET4_jRbjT5_S1A_jjP12ihipStream_tbEUljE_EEESV_SW_SX_S14_S18_S1A_T6_T7_T9_mT8_S1C_bDpT10_ENKUlT_T0_E_clISt17integral_constantIbLb1EES1O_IbLb0EEEEDaS1K_S1L_EUlS1K_E_NS1_11comp_targetILNS1_3genE8ELNS1_11target_archE1030ELNS1_3gpuE2ELNS1_3repE0EEENS1_30default_config_static_selectorELNS0_4arch9wavefront6targetE0EEEvSY_.num_vgpr, 0
	.set _ZN7rocprim17ROCPRIM_400000_NS6detail17trampoline_kernelINS0_13select_configILj256ELj13ELNS0_17block_load_methodE3ELS4_3ELS4_3ELNS0_20block_scan_algorithmE0ELj4294967295EEENS1_25partition_config_selectorILNS1_17partition_subalgoE3EjNS0_10empty_typeEbEEZZNS1_14partition_implILS8_3ELb0ES6_jNS0_17counting_iteratorIjlEEPS9_SE_NS0_5tupleIJPjSE_EEENSF_IJSE_SE_EEES9_SG_JZNS1_25segmented_radix_sort_implINS0_14default_configELb0EPKhPhPKlPlN2at6native12_GLOBAL__N_18offset_tEEE10hipError_tPvRmT1_PNSt15iterator_traitsISY_E10value_typeET2_T3_PNSZ_IS14_E10value_typeET4_jRbjT5_S1A_jjP12ihipStream_tbEUljE_EEESV_SW_SX_S14_S18_S1A_T6_T7_T9_mT8_S1C_bDpT10_ENKUlT_T0_E_clISt17integral_constantIbLb1EES1O_IbLb0EEEEDaS1K_S1L_EUlS1K_E_NS1_11comp_targetILNS1_3genE8ELNS1_11target_archE1030ELNS1_3gpuE2ELNS1_3repE0EEENS1_30default_config_static_selectorELNS0_4arch9wavefront6targetE0EEEvSY_.num_agpr, 0
	.set _ZN7rocprim17ROCPRIM_400000_NS6detail17trampoline_kernelINS0_13select_configILj256ELj13ELNS0_17block_load_methodE3ELS4_3ELS4_3ELNS0_20block_scan_algorithmE0ELj4294967295EEENS1_25partition_config_selectorILNS1_17partition_subalgoE3EjNS0_10empty_typeEbEEZZNS1_14partition_implILS8_3ELb0ES6_jNS0_17counting_iteratorIjlEEPS9_SE_NS0_5tupleIJPjSE_EEENSF_IJSE_SE_EEES9_SG_JZNS1_25segmented_radix_sort_implINS0_14default_configELb0EPKhPhPKlPlN2at6native12_GLOBAL__N_18offset_tEEE10hipError_tPvRmT1_PNSt15iterator_traitsISY_E10value_typeET2_T3_PNSZ_IS14_E10value_typeET4_jRbjT5_S1A_jjP12ihipStream_tbEUljE_EEESV_SW_SX_S14_S18_S1A_T6_T7_T9_mT8_S1C_bDpT10_ENKUlT_T0_E_clISt17integral_constantIbLb1EES1O_IbLb0EEEEDaS1K_S1L_EUlS1K_E_NS1_11comp_targetILNS1_3genE8ELNS1_11target_archE1030ELNS1_3gpuE2ELNS1_3repE0EEENS1_30default_config_static_selectorELNS0_4arch9wavefront6targetE0EEEvSY_.numbered_sgpr, 0
	.set _ZN7rocprim17ROCPRIM_400000_NS6detail17trampoline_kernelINS0_13select_configILj256ELj13ELNS0_17block_load_methodE3ELS4_3ELS4_3ELNS0_20block_scan_algorithmE0ELj4294967295EEENS1_25partition_config_selectorILNS1_17partition_subalgoE3EjNS0_10empty_typeEbEEZZNS1_14partition_implILS8_3ELb0ES6_jNS0_17counting_iteratorIjlEEPS9_SE_NS0_5tupleIJPjSE_EEENSF_IJSE_SE_EEES9_SG_JZNS1_25segmented_radix_sort_implINS0_14default_configELb0EPKhPhPKlPlN2at6native12_GLOBAL__N_18offset_tEEE10hipError_tPvRmT1_PNSt15iterator_traitsISY_E10value_typeET2_T3_PNSZ_IS14_E10value_typeET4_jRbjT5_S1A_jjP12ihipStream_tbEUljE_EEESV_SW_SX_S14_S18_S1A_T6_T7_T9_mT8_S1C_bDpT10_ENKUlT_T0_E_clISt17integral_constantIbLb1EES1O_IbLb0EEEEDaS1K_S1L_EUlS1K_E_NS1_11comp_targetILNS1_3genE8ELNS1_11target_archE1030ELNS1_3gpuE2ELNS1_3repE0EEENS1_30default_config_static_selectorELNS0_4arch9wavefront6targetE0EEEvSY_.num_named_barrier, 0
	.set _ZN7rocprim17ROCPRIM_400000_NS6detail17trampoline_kernelINS0_13select_configILj256ELj13ELNS0_17block_load_methodE3ELS4_3ELS4_3ELNS0_20block_scan_algorithmE0ELj4294967295EEENS1_25partition_config_selectorILNS1_17partition_subalgoE3EjNS0_10empty_typeEbEEZZNS1_14partition_implILS8_3ELb0ES6_jNS0_17counting_iteratorIjlEEPS9_SE_NS0_5tupleIJPjSE_EEENSF_IJSE_SE_EEES9_SG_JZNS1_25segmented_radix_sort_implINS0_14default_configELb0EPKhPhPKlPlN2at6native12_GLOBAL__N_18offset_tEEE10hipError_tPvRmT1_PNSt15iterator_traitsISY_E10value_typeET2_T3_PNSZ_IS14_E10value_typeET4_jRbjT5_S1A_jjP12ihipStream_tbEUljE_EEESV_SW_SX_S14_S18_S1A_T6_T7_T9_mT8_S1C_bDpT10_ENKUlT_T0_E_clISt17integral_constantIbLb1EES1O_IbLb0EEEEDaS1K_S1L_EUlS1K_E_NS1_11comp_targetILNS1_3genE8ELNS1_11target_archE1030ELNS1_3gpuE2ELNS1_3repE0EEENS1_30default_config_static_selectorELNS0_4arch9wavefront6targetE0EEEvSY_.private_seg_size, 0
	.set _ZN7rocprim17ROCPRIM_400000_NS6detail17trampoline_kernelINS0_13select_configILj256ELj13ELNS0_17block_load_methodE3ELS4_3ELS4_3ELNS0_20block_scan_algorithmE0ELj4294967295EEENS1_25partition_config_selectorILNS1_17partition_subalgoE3EjNS0_10empty_typeEbEEZZNS1_14partition_implILS8_3ELb0ES6_jNS0_17counting_iteratorIjlEEPS9_SE_NS0_5tupleIJPjSE_EEENSF_IJSE_SE_EEES9_SG_JZNS1_25segmented_radix_sort_implINS0_14default_configELb0EPKhPhPKlPlN2at6native12_GLOBAL__N_18offset_tEEE10hipError_tPvRmT1_PNSt15iterator_traitsISY_E10value_typeET2_T3_PNSZ_IS14_E10value_typeET4_jRbjT5_S1A_jjP12ihipStream_tbEUljE_EEESV_SW_SX_S14_S18_S1A_T6_T7_T9_mT8_S1C_bDpT10_ENKUlT_T0_E_clISt17integral_constantIbLb1EES1O_IbLb0EEEEDaS1K_S1L_EUlS1K_E_NS1_11comp_targetILNS1_3genE8ELNS1_11target_archE1030ELNS1_3gpuE2ELNS1_3repE0EEENS1_30default_config_static_selectorELNS0_4arch9wavefront6targetE0EEEvSY_.uses_vcc, 0
	.set _ZN7rocprim17ROCPRIM_400000_NS6detail17trampoline_kernelINS0_13select_configILj256ELj13ELNS0_17block_load_methodE3ELS4_3ELS4_3ELNS0_20block_scan_algorithmE0ELj4294967295EEENS1_25partition_config_selectorILNS1_17partition_subalgoE3EjNS0_10empty_typeEbEEZZNS1_14partition_implILS8_3ELb0ES6_jNS0_17counting_iteratorIjlEEPS9_SE_NS0_5tupleIJPjSE_EEENSF_IJSE_SE_EEES9_SG_JZNS1_25segmented_radix_sort_implINS0_14default_configELb0EPKhPhPKlPlN2at6native12_GLOBAL__N_18offset_tEEE10hipError_tPvRmT1_PNSt15iterator_traitsISY_E10value_typeET2_T3_PNSZ_IS14_E10value_typeET4_jRbjT5_S1A_jjP12ihipStream_tbEUljE_EEESV_SW_SX_S14_S18_S1A_T6_T7_T9_mT8_S1C_bDpT10_ENKUlT_T0_E_clISt17integral_constantIbLb1EES1O_IbLb0EEEEDaS1K_S1L_EUlS1K_E_NS1_11comp_targetILNS1_3genE8ELNS1_11target_archE1030ELNS1_3gpuE2ELNS1_3repE0EEENS1_30default_config_static_selectorELNS0_4arch9wavefront6targetE0EEEvSY_.uses_flat_scratch, 0
	.set _ZN7rocprim17ROCPRIM_400000_NS6detail17trampoline_kernelINS0_13select_configILj256ELj13ELNS0_17block_load_methodE3ELS4_3ELS4_3ELNS0_20block_scan_algorithmE0ELj4294967295EEENS1_25partition_config_selectorILNS1_17partition_subalgoE3EjNS0_10empty_typeEbEEZZNS1_14partition_implILS8_3ELb0ES6_jNS0_17counting_iteratorIjlEEPS9_SE_NS0_5tupleIJPjSE_EEENSF_IJSE_SE_EEES9_SG_JZNS1_25segmented_radix_sort_implINS0_14default_configELb0EPKhPhPKlPlN2at6native12_GLOBAL__N_18offset_tEEE10hipError_tPvRmT1_PNSt15iterator_traitsISY_E10value_typeET2_T3_PNSZ_IS14_E10value_typeET4_jRbjT5_S1A_jjP12ihipStream_tbEUljE_EEESV_SW_SX_S14_S18_S1A_T6_T7_T9_mT8_S1C_bDpT10_ENKUlT_T0_E_clISt17integral_constantIbLb1EES1O_IbLb0EEEEDaS1K_S1L_EUlS1K_E_NS1_11comp_targetILNS1_3genE8ELNS1_11target_archE1030ELNS1_3gpuE2ELNS1_3repE0EEENS1_30default_config_static_selectorELNS0_4arch9wavefront6targetE0EEEvSY_.has_dyn_sized_stack, 0
	.set _ZN7rocprim17ROCPRIM_400000_NS6detail17trampoline_kernelINS0_13select_configILj256ELj13ELNS0_17block_load_methodE3ELS4_3ELS4_3ELNS0_20block_scan_algorithmE0ELj4294967295EEENS1_25partition_config_selectorILNS1_17partition_subalgoE3EjNS0_10empty_typeEbEEZZNS1_14partition_implILS8_3ELb0ES6_jNS0_17counting_iteratorIjlEEPS9_SE_NS0_5tupleIJPjSE_EEENSF_IJSE_SE_EEES9_SG_JZNS1_25segmented_radix_sort_implINS0_14default_configELb0EPKhPhPKlPlN2at6native12_GLOBAL__N_18offset_tEEE10hipError_tPvRmT1_PNSt15iterator_traitsISY_E10value_typeET2_T3_PNSZ_IS14_E10value_typeET4_jRbjT5_S1A_jjP12ihipStream_tbEUljE_EEESV_SW_SX_S14_S18_S1A_T6_T7_T9_mT8_S1C_bDpT10_ENKUlT_T0_E_clISt17integral_constantIbLb1EES1O_IbLb0EEEEDaS1K_S1L_EUlS1K_E_NS1_11comp_targetILNS1_3genE8ELNS1_11target_archE1030ELNS1_3gpuE2ELNS1_3repE0EEENS1_30default_config_static_selectorELNS0_4arch9wavefront6targetE0EEEvSY_.has_recursion, 0
	.set _ZN7rocprim17ROCPRIM_400000_NS6detail17trampoline_kernelINS0_13select_configILj256ELj13ELNS0_17block_load_methodE3ELS4_3ELS4_3ELNS0_20block_scan_algorithmE0ELj4294967295EEENS1_25partition_config_selectorILNS1_17partition_subalgoE3EjNS0_10empty_typeEbEEZZNS1_14partition_implILS8_3ELb0ES6_jNS0_17counting_iteratorIjlEEPS9_SE_NS0_5tupleIJPjSE_EEENSF_IJSE_SE_EEES9_SG_JZNS1_25segmented_radix_sort_implINS0_14default_configELb0EPKhPhPKlPlN2at6native12_GLOBAL__N_18offset_tEEE10hipError_tPvRmT1_PNSt15iterator_traitsISY_E10value_typeET2_T3_PNSZ_IS14_E10value_typeET4_jRbjT5_S1A_jjP12ihipStream_tbEUljE_EEESV_SW_SX_S14_S18_S1A_T6_T7_T9_mT8_S1C_bDpT10_ENKUlT_T0_E_clISt17integral_constantIbLb1EES1O_IbLb0EEEEDaS1K_S1L_EUlS1K_E_NS1_11comp_targetILNS1_3genE8ELNS1_11target_archE1030ELNS1_3gpuE2ELNS1_3repE0EEENS1_30default_config_static_selectorELNS0_4arch9wavefront6targetE0EEEvSY_.has_indirect_call, 0
	.section	.AMDGPU.csdata,"",@progbits
; Kernel info:
; codeLenInByte = 4
; TotalNumSgprs: 0
; NumVgprs: 0
; ScratchSize: 0
; MemoryBound: 0
; FloatMode: 240
; IeeeMode: 1
; LDSByteSize: 0 bytes/workgroup (compile time only)
; SGPRBlocks: 0
; VGPRBlocks: 0
; NumSGPRsForWavesPerEU: 1
; NumVGPRsForWavesPerEU: 1
; Occupancy: 16
; WaveLimiterHint : 0
; COMPUTE_PGM_RSRC2:SCRATCH_EN: 0
; COMPUTE_PGM_RSRC2:USER_SGPR: 6
; COMPUTE_PGM_RSRC2:TRAP_HANDLER: 0
; COMPUTE_PGM_RSRC2:TGID_X_EN: 1
; COMPUTE_PGM_RSRC2:TGID_Y_EN: 0
; COMPUTE_PGM_RSRC2:TGID_Z_EN: 0
; COMPUTE_PGM_RSRC2:TIDIG_COMP_CNT: 0
	.section	.text._ZN7rocprim17ROCPRIM_400000_NS6detail17trampoline_kernelINS0_13select_configILj256ELj13ELNS0_17block_load_methodE3ELS4_3ELS4_3ELNS0_20block_scan_algorithmE0ELj4294967295EEENS1_25partition_config_selectorILNS1_17partition_subalgoE3EjNS0_10empty_typeEbEEZZNS1_14partition_implILS8_3ELb0ES6_jNS0_17counting_iteratorIjlEEPS9_SE_NS0_5tupleIJPjSE_EEENSF_IJSE_SE_EEES9_SG_JZNS1_25segmented_radix_sort_implINS0_14default_configELb0EPKhPhPKlPlN2at6native12_GLOBAL__N_18offset_tEEE10hipError_tPvRmT1_PNSt15iterator_traitsISY_E10value_typeET2_T3_PNSZ_IS14_E10value_typeET4_jRbjT5_S1A_jjP12ihipStream_tbEUljE_EEESV_SW_SX_S14_S18_S1A_T6_T7_T9_mT8_S1C_bDpT10_ENKUlT_T0_E_clISt17integral_constantIbLb0EES1O_IbLb1EEEEDaS1K_S1L_EUlS1K_E_NS1_11comp_targetILNS1_3genE0ELNS1_11target_archE4294967295ELNS1_3gpuE0ELNS1_3repE0EEENS1_30default_config_static_selectorELNS0_4arch9wavefront6targetE0EEEvSY_,"axG",@progbits,_ZN7rocprim17ROCPRIM_400000_NS6detail17trampoline_kernelINS0_13select_configILj256ELj13ELNS0_17block_load_methodE3ELS4_3ELS4_3ELNS0_20block_scan_algorithmE0ELj4294967295EEENS1_25partition_config_selectorILNS1_17partition_subalgoE3EjNS0_10empty_typeEbEEZZNS1_14partition_implILS8_3ELb0ES6_jNS0_17counting_iteratorIjlEEPS9_SE_NS0_5tupleIJPjSE_EEENSF_IJSE_SE_EEES9_SG_JZNS1_25segmented_radix_sort_implINS0_14default_configELb0EPKhPhPKlPlN2at6native12_GLOBAL__N_18offset_tEEE10hipError_tPvRmT1_PNSt15iterator_traitsISY_E10value_typeET2_T3_PNSZ_IS14_E10value_typeET4_jRbjT5_S1A_jjP12ihipStream_tbEUljE_EEESV_SW_SX_S14_S18_S1A_T6_T7_T9_mT8_S1C_bDpT10_ENKUlT_T0_E_clISt17integral_constantIbLb0EES1O_IbLb1EEEEDaS1K_S1L_EUlS1K_E_NS1_11comp_targetILNS1_3genE0ELNS1_11target_archE4294967295ELNS1_3gpuE0ELNS1_3repE0EEENS1_30default_config_static_selectorELNS0_4arch9wavefront6targetE0EEEvSY_,comdat
	.globl	_ZN7rocprim17ROCPRIM_400000_NS6detail17trampoline_kernelINS0_13select_configILj256ELj13ELNS0_17block_load_methodE3ELS4_3ELS4_3ELNS0_20block_scan_algorithmE0ELj4294967295EEENS1_25partition_config_selectorILNS1_17partition_subalgoE3EjNS0_10empty_typeEbEEZZNS1_14partition_implILS8_3ELb0ES6_jNS0_17counting_iteratorIjlEEPS9_SE_NS0_5tupleIJPjSE_EEENSF_IJSE_SE_EEES9_SG_JZNS1_25segmented_radix_sort_implINS0_14default_configELb0EPKhPhPKlPlN2at6native12_GLOBAL__N_18offset_tEEE10hipError_tPvRmT1_PNSt15iterator_traitsISY_E10value_typeET2_T3_PNSZ_IS14_E10value_typeET4_jRbjT5_S1A_jjP12ihipStream_tbEUljE_EEESV_SW_SX_S14_S18_S1A_T6_T7_T9_mT8_S1C_bDpT10_ENKUlT_T0_E_clISt17integral_constantIbLb0EES1O_IbLb1EEEEDaS1K_S1L_EUlS1K_E_NS1_11comp_targetILNS1_3genE0ELNS1_11target_archE4294967295ELNS1_3gpuE0ELNS1_3repE0EEENS1_30default_config_static_selectorELNS0_4arch9wavefront6targetE0EEEvSY_ ; -- Begin function _ZN7rocprim17ROCPRIM_400000_NS6detail17trampoline_kernelINS0_13select_configILj256ELj13ELNS0_17block_load_methodE3ELS4_3ELS4_3ELNS0_20block_scan_algorithmE0ELj4294967295EEENS1_25partition_config_selectorILNS1_17partition_subalgoE3EjNS0_10empty_typeEbEEZZNS1_14partition_implILS8_3ELb0ES6_jNS0_17counting_iteratorIjlEEPS9_SE_NS0_5tupleIJPjSE_EEENSF_IJSE_SE_EEES9_SG_JZNS1_25segmented_radix_sort_implINS0_14default_configELb0EPKhPhPKlPlN2at6native12_GLOBAL__N_18offset_tEEE10hipError_tPvRmT1_PNSt15iterator_traitsISY_E10value_typeET2_T3_PNSZ_IS14_E10value_typeET4_jRbjT5_S1A_jjP12ihipStream_tbEUljE_EEESV_SW_SX_S14_S18_S1A_T6_T7_T9_mT8_S1C_bDpT10_ENKUlT_T0_E_clISt17integral_constantIbLb0EES1O_IbLb1EEEEDaS1K_S1L_EUlS1K_E_NS1_11comp_targetILNS1_3genE0ELNS1_11target_archE4294967295ELNS1_3gpuE0ELNS1_3repE0EEENS1_30default_config_static_selectorELNS0_4arch9wavefront6targetE0EEEvSY_
	.p2align	8
	.type	_ZN7rocprim17ROCPRIM_400000_NS6detail17trampoline_kernelINS0_13select_configILj256ELj13ELNS0_17block_load_methodE3ELS4_3ELS4_3ELNS0_20block_scan_algorithmE0ELj4294967295EEENS1_25partition_config_selectorILNS1_17partition_subalgoE3EjNS0_10empty_typeEbEEZZNS1_14partition_implILS8_3ELb0ES6_jNS0_17counting_iteratorIjlEEPS9_SE_NS0_5tupleIJPjSE_EEENSF_IJSE_SE_EEES9_SG_JZNS1_25segmented_radix_sort_implINS0_14default_configELb0EPKhPhPKlPlN2at6native12_GLOBAL__N_18offset_tEEE10hipError_tPvRmT1_PNSt15iterator_traitsISY_E10value_typeET2_T3_PNSZ_IS14_E10value_typeET4_jRbjT5_S1A_jjP12ihipStream_tbEUljE_EEESV_SW_SX_S14_S18_S1A_T6_T7_T9_mT8_S1C_bDpT10_ENKUlT_T0_E_clISt17integral_constantIbLb0EES1O_IbLb1EEEEDaS1K_S1L_EUlS1K_E_NS1_11comp_targetILNS1_3genE0ELNS1_11target_archE4294967295ELNS1_3gpuE0ELNS1_3repE0EEENS1_30default_config_static_selectorELNS0_4arch9wavefront6targetE0EEEvSY_,@function
_ZN7rocprim17ROCPRIM_400000_NS6detail17trampoline_kernelINS0_13select_configILj256ELj13ELNS0_17block_load_methodE3ELS4_3ELS4_3ELNS0_20block_scan_algorithmE0ELj4294967295EEENS1_25partition_config_selectorILNS1_17partition_subalgoE3EjNS0_10empty_typeEbEEZZNS1_14partition_implILS8_3ELb0ES6_jNS0_17counting_iteratorIjlEEPS9_SE_NS0_5tupleIJPjSE_EEENSF_IJSE_SE_EEES9_SG_JZNS1_25segmented_radix_sort_implINS0_14default_configELb0EPKhPhPKlPlN2at6native12_GLOBAL__N_18offset_tEEE10hipError_tPvRmT1_PNSt15iterator_traitsISY_E10value_typeET2_T3_PNSZ_IS14_E10value_typeET4_jRbjT5_S1A_jjP12ihipStream_tbEUljE_EEESV_SW_SX_S14_S18_S1A_T6_T7_T9_mT8_S1C_bDpT10_ENKUlT_T0_E_clISt17integral_constantIbLb0EES1O_IbLb1EEEEDaS1K_S1L_EUlS1K_E_NS1_11comp_targetILNS1_3genE0ELNS1_11target_archE4294967295ELNS1_3gpuE0ELNS1_3repE0EEENS1_30default_config_static_selectorELNS0_4arch9wavefront6targetE0EEEvSY_: ; @_ZN7rocprim17ROCPRIM_400000_NS6detail17trampoline_kernelINS0_13select_configILj256ELj13ELNS0_17block_load_methodE3ELS4_3ELS4_3ELNS0_20block_scan_algorithmE0ELj4294967295EEENS1_25partition_config_selectorILNS1_17partition_subalgoE3EjNS0_10empty_typeEbEEZZNS1_14partition_implILS8_3ELb0ES6_jNS0_17counting_iteratorIjlEEPS9_SE_NS0_5tupleIJPjSE_EEENSF_IJSE_SE_EEES9_SG_JZNS1_25segmented_radix_sort_implINS0_14default_configELb0EPKhPhPKlPlN2at6native12_GLOBAL__N_18offset_tEEE10hipError_tPvRmT1_PNSt15iterator_traitsISY_E10value_typeET2_T3_PNSZ_IS14_E10value_typeET4_jRbjT5_S1A_jjP12ihipStream_tbEUljE_EEESV_SW_SX_S14_S18_S1A_T6_T7_T9_mT8_S1C_bDpT10_ENKUlT_T0_E_clISt17integral_constantIbLb0EES1O_IbLb1EEEEDaS1K_S1L_EUlS1K_E_NS1_11comp_targetILNS1_3genE0ELNS1_11target_archE4294967295ELNS1_3gpuE0ELNS1_3repE0EEENS1_30default_config_static_selectorELNS0_4arch9wavefront6targetE0EEEvSY_
; %bb.0:
	.section	.rodata,"a",@progbits
	.p2align	6, 0x0
	.amdhsa_kernel _ZN7rocprim17ROCPRIM_400000_NS6detail17trampoline_kernelINS0_13select_configILj256ELj13ELNS0_17block_load_methodE3ELS4_3ELS4_3ELNS0_20block_scan_algorithmE0ELj4294967295EEENS1_25partition_config_selectorILNS1_17partition_subalgoE3EjNS0_10empty_typeEbEEZZNS1_14partition_implILS8_3ELb0ES6_jNS0_17counting_iteratorIjlEEPS9_SE_NS0_5tupleIJPjSE_EEENSF_IJSE_SE_EEES9_SG_JZNS1_25segmented_radix_sort_implINS0_14default_configELb0EPKhPhPKlPlN2at6native12_GLOBAL__N_18offset_tEEE10hipError_tPvRmT1_PNSt15iterator_traitsISY_E10value_typeET2_T3_PNSZ_IS14_E10value_typeET4_jRbjT5_S1A_jjP12ihipStream_tbEUljE_EEESV_SW_SX_S14_S18_S1A_T6_T7_T9_mT8_S1C_bDpT10_ENKUlT_T0_E_clISt17integral_constantIbLb0EES1O_IbLb1EEEEDaS1K_S1L_EUlS1K_E_NS1_11comp_targetILNS1_3genE0ELNS1_11target_archE4294967295ELNS1_3gpuE0ELNS1_3repE0EEENS1_30default_config_static_selectorELNS0_4arch9wavefront6targetE0EEEvSY_
		.amdhsa_group_segment_fixed_size 0
		.amdhsa_private_segment_fixed_size 0
		.amdhsa_kernarg_size 152
		.amdhsa_user_sgpr_count 6
		.amdhsa_user_sgpr_private_segment_buffer 1
		.amdhsa_user_sgpr_dispatch_ptr 0
		.amdhsa_user_sgpr_queue_ptr 0
		.amdhsa_user_sgpr_kernarg_segment_ptr 1
		.amdhsa_user_sgpr_dispatch_id 0
		.amdhsa_user_sgpr_flat_scratch_init 0
		.amdhsa_user_sgpr_private_segment_size 0
		.amdhsa_wavefront_size32 1
		.amdhsa_uses_dynamic_stack 0
		.amdhsa_system_sgpr_private_segment_wavefront_offset 0
		.amdhsa_system_sgpr_workgroup_id_x 1
		.amdhsa_system_sgpr_workgroup_id_y 0
		.amdhsa_system_sgpr_workgroup_id_z 0
		.amdhsa_system_sgpr_workgroup_info 0
		.amdhsa_system_vgpr_workitem_id 0
		.amdhsa_next_free_vgpr 1
		.amdhsa_next_free_sgpr 1
		.amdhsa_reserve_vcc 0
		.amdhsa_reserve_flat_scratch 0
		.amdhsa_float_round_mode_32 0
		.amdhsa_float_round_mode_16_64 0
		.amdhsa_float_denorm_mode_32 3
		.amdhsa_float_denorm_mode_16_64 3
		.amdhsa_dx10_clamp 1
		.amdhsa_ieee_mode 1
		.amdhsa_fp16_overflow 0
		.amdhsa_workgroup_processor_mode 1
		.amdhsa_memory_ordered 1
		.amdhsa_forward_progress 1
		.amdhsa_shared_vgpr_count 0
		.amdhsa_exception_fp_ieee_invalid_op 0
		.amdhsa_exception_fp_denorm_src 0
		.amdhsa_exception_fp_ieee_div_zero 0
		.amdhsa_exception_fp_ieee_overflow 0
		.amdhsa_exception_fp_ieee_underflow 0
		.amdhsa_exception_fp_ieee_inexact 0
		.amdhsa_exception_int_div_zero 0
	.end_amdhsa_kernel
	.section	.text._ZN7rocprim17ROCPRIM_400000_NS6detail17trampoline_kernelINS0_13select_configILj256ELj13ELNS0_17block_load_methodE3ELS4_3ELS4_3ELNS0_20block_scan_algorithmE0ELj4294967295EEENS1_25partition_config_selectorILNS1_17partition_subalgoE3EjNS0_10empty_typeEbEEZZNS1_14partition_implILS8_3ELb0ES6_jNS0_17counting_iteratorIjlEEPS9_SE_NS0_5tupleIJPjSE_EEENSF_IJSE_SE_EEES9_SG_JZNS1_25segmented_radix_sort_implINS0_14default_configELb0EPKhPhPKlPlN2at6native12_GLOBAL__N_18offset_tEEE10hipError_tPvRmT1_PNSt15iterator_traitsISY_E10value_typeET2_T3_PNSZ_IS14_E10value_typeET4_jRbjT5_S1A_jjP12ihipStream_tbEUljE_EEESV_SW_SX_S14_S18_S1A_T6_T7_T9_mT8_S1C_bDpT10_ENKUlT_T0_E_clISt17integral_constantIbLb0EES1O_IbLb1EEEEDaS1K_S1L_EUlS1K_E_NS1_11comp_targetILNS1_3genE0ELNS1_11target_archE4294967295ELNS1_3gpuE0ELNS1_3repE0EEENS1_30default_config_static_selectorELNS0_4arch9wavefront6targetE0EEEvSY_,"axG",@progbits,_ZN7rocprim17ROCPRIM_400000_NS6detail17trampoline_kernelINS0_13select_configILj256ELj13ELNS0_17block_load_methodE3ELS4_3ELS4_3ELNS0_20block_scan_algorithmE0ELj4294967295EEENS1_25partition_config_selectorILNS1_17partition_subalgoE3EjNS0_10empty_typeEbEEZZNS1_14partition_implILS8_3ELb0ES6_jNS0_17counting_iteratorIjlEEPS9_SE_NS0_5tupleIJPjSE_EEENSF_IJSE_SE_EEES9_SG_JZNS1_25segmented_radix_sort_implINS0_14default_configELb0EPKhPhPKlPlN2at6native12_GLOBAL__N_18offset_tEEE10hipError_tPvRmT1_PNSt15iterator_traitsISY_E10value_typeET2_T3_PNSZ_IS14_E10value_typeET4_jRbjT5_S1A_jjP12ihipStream_tbEUljE_EEESV_SW_SX_S14_S18_S1A_T6_T7_T9_mT8_S1C_bDpT10_ENKUlT_T0_E_clISt17integral_constantIbLb0EES1O_IbLb1EEEEDaS1K_S1L_EUlS1K_E_NS1_11comp_targetILNS1_3genE0ELNS1_11target_archE4294967295ELNS1_3gpuE0ELNS1_3repE0EEENS1_30default_config_static_selectorELNS0_4arch9wavefront6targetE0EEEvSY_,comdat
.Lfunc_end177:
	.size	_ZN7rocprim17ROCPRIM_400000_NS6detail17trampoline_kernelINS0_13select_configILj256ELj13ELNS0_17block_load_methodE3ELS4_3ELS4_3ELNS0_20block_scan_algorithmE0ELj4294967295EEENS1_25partition_config_selectorILNS1_17partition_subalgoE3EjNS0_10empty_typeEbEEZZNS1_14partition_implILS8_3ELb0ES6_jNS0_17counting_iteratorIjlEEPS9_SE_NS0_5tupleIJPjSE_EEENSF_IJSE_SE_EEES9_SG_JZNS1_25segmented_radix_sort_implINS0_14default_configELb0EPKhPhPKlPlN2at6native12_GLOBAL__N_18offset_tEEE10hipError_tPvRmT1_PNSt15iterator_traitsISY_E10value_typeET2_T3_PNSZ_IS14_E10value_typeET4_jRbjT5_S1A_jjP12ihipStream_tbEUljE_EEESV_SW_SX_S14_S18_S1A_T6_T7_T9_mT8_S1C_bDpT10_ENKUlT_T0_E_clISt17integral_constantIbLb0EES1O_IbLb1EEEEDaS1K_S1L_EUlS1K_E_NS1_11comp_targetILNS1_3genE0ELNS1_11target_archE4294967295ELNS1_3gpuE0ELNS1_3repE0EEENS1_30default_config_static_selectorELNS0_4arch9wavefront6targetE0EEEvSY_, .Lfunc_end177-_ZN7rocprim17ROCPRIM_400000_NS6detail17trampoline_kernelINS0_13select_configILj256ELj13ELNS0_17block_load_methodE3ELS4_3ELS4_3ELNS0_20block_scan_algorithmE0ELj4294967295EEENS1_25partition_config_selectorILNS1_17partition_subalgoE3EjNS0_10empty_typeEbEEZZNS1_14partition_implILS8_3ELb0ES6_jNS0_17counting_iteratorIjlEEPS9_SE_NS0_5tupleIJPjSE_EEENSF_IJSE_SE_EEES9_SG_JZNS1_25segmented_radix_sort_implINS0_14default_configELb0EPKhPhPKlPlN2at6native12_GLOBAL__N_18offset_tEEE10hipError_tPvRmT1_PNSt15iterator_traitsISY_E10value_typeET2_T3_PNSZ_IS14_E10value_typeET4_jRbjT5_S1A_jjP12ihipStream_tbEUljE_EEESV_SW_SX_S14_S18_S1A_T6_T7_T9_mT8_S1C_bDpT10_ENKUlT_T0_E_clISt17integral_constantIbLb0EES1O_IbLb1EEEEDaS1K_S1L_EUlS1K_E_NS1_11comp_targetILNS1_3genE0ELNS1_11target_archE4294967295ELNS1_3gpuE0ELNS1_3repE0EEENS1_30default_config_static_selectorELNS0_4arch9wavefront6targetE0EEEvSY_
                                        ; -- End function
	.set _ZN7rocprim17ROCPRIM_400000_NS6detail17trampoline_kernelINS0_13select_configILj256ELj13ELNS0_17block_load_methodE3ELS4_3ELS4_3ELNS0_20block_scan_algorithmE0ELj4294967295EEENS1_25partition_config_selectorILNS1_17partition_subalgoE3EjNS0_10empty_typeEbEEZZNS1_14partition_implILS8_3ELb0ES6_jNS0_17counting_iteratorIjlEEPS9_SE_NS0_5tupleIJPjSE_EEENSF_IJSE_SE_EEES9_SG_JZNS1_25segmented_radix_sort_implINS0_14default_configELb0EPKhPhPKlPlN2at6native12_GLOBAL__N_18offset_tEEE10hipError_tPvRmT1_PNSt15iterator_traitsISY_E10value_typeET2_T3_PNSZ_IS14_E10value_typeET4_jRbjT5_S1A_jjP12ihipStream_tbEUljE_EEESV_SW_SX_S14_S18_S1A_T6_T7_T9_mT8_S1C_bDpT10_ENKUlT_T0_E_clISt17integral_constantIbLb0EES1O_IbLb1EEEEDaS1K_S1L_EUlS1K_E_NS1_11comp_targetILNS1_3genE0ELNS1_11target_archE4294967295ELNS1_3gpuE0ELNS1_3repE0EEENS1_30default_config_static_selectorELNS0_4arch9wavefront6targetE0EEEvSY_.num_vgpr, 0
	.set _ZN7rocprim17ROCPRIM_400000_NS6detail17trampoline_kernelINS0_13select_configILj256ELj13ELNS0_17block_load_methodE3ELS4_3ELS4_3ELNS0_20block_scan_algorithmE0ELj4294967295EEENS1_25partition_config_selectorILNS1_17partition_subalgoE3EjNS0_10empty_typeEbEEZZNS1_14partition_implILS8_3ELb0ES6_jNS0_17counting_iteratorIjlEEPS9_SE_NS0_5tupleIJPjSE_EEENSF_IJSE_SE_EEES9_SG_JZNS1_25segmented_radix_sort_implINS0_14default_configELb0EPKhPhPKlPlN2at6native12_GLOBAL__N_18offset_tEEE10hipError_tPvRmT1_PNSt15iterator_traitsISY_E10value_typeET2_T3_PNSZ_IS14_E10value_typeET4_jRbjT5_S1A_jjP12ihipStream_tbEUljE_EEESV_SW_SX_S14_S18_S1A_T6_T7_T9_mT8_S1C_bDpT10_ENKUlT_T0_E_clISt17integral_constantIbLb0EES1O_IbLb1EEEEDaS1K_S1L_EUlS1K_E_NS1_11comp_targetILNS1_3genE0ELNS1_11target_archE4294967295ELNS1_3gpuE0ELNS1_3repE0EEENS1_30default_config_static_selectorELNS0_4arch9wavefront6targetE0EEEvSY_.num_agpr, 0
	.set _ZN7rocprim17ROCPRIM_400000_NS6detail17trampoline_kernelINS0_13select_configILj256ELj13ELNS0_17block_load_methodE3ELS4_3ELS4_3ELNS0_20block_scan_algorithmE0ELj4294967295EEENS1_25partition_config_selectorILNS1_17partition_subalgoE3EjNS0_10empty_typeEbEEZZNS1_14partition_implILS8_3ELb0ES6_jNS0_17counting_iteratorIjlEEPS9_SE_NS0_5tupleIJPjSE_EEENSF_IJSE_SE_EEES9_SG_JZNS1_25segmented_radix_sort_implINS0_14default_configELb0EPKhPhPKlPlN2at6native12_GLOBAL__N_18offset_tEEE10hipError_tPvRmT1_PNSt15iterator_traitsISY_E10value_typeET2_T3_PNSZ_IS14_E10value_typeET4_jRbjT5_S1A_jjP12ihipStream_tbEUljE_EEESV_SW_SX_S14_S18_S1A_T6_T7_T9_mT8_S1C_bDpT10_ENKUlT_T0_E_clISt17integral_constantIbLb0EES1O_IbLb1EEEEDaS1K_S1L_EUlS1K_E_NS1_11comp_targetILNS1_3genE0ELNS1_11target_archE4294967295ELNS1_3gpuE0ELNS1_3repE0EEENS1_30default_config_static_selectorELNS0_4arch9wavefront6targetE0EEEvSY_.numbered_sgpr, 0
	.set _ZN7rocprim17ROCPRIM_400000_NS6detail17trampoline_kernelINS0_13select_configILj256ELj13ELNS0_17block_load_methodE3ELS4_3ELS4_3ELNS0_20block_scan_algorithmE0ELj4294967295EEENS1_25partition_config_selectorILNS1_17partition_subalgoE3EjNS0_10empty_typeEbEEZZNS1_14partition_implILS8_3ELb0ES6_jNS0_17counting_iteratorIjlEEPS9_SE_NS0_5tupleIJPjSE_EEENSF_IJSE_SE_EEES9_SG_JZNS1_25segmented_radix_sort_implINS0_14default_configELb0EPKhPhPKlPlN2at6native12_GLOBAL__N_18offset_tEEE10hipError_tPvRmT1_PNSt15iterator_traitsISY_E10value_typeET2_T3_PNSZ_IS14_E10value_typeET4_jRbjT5_S1A_jjP12ihipStream_tbEUljE_EEESV_SW_SX_S14_S18_S1A_T6_T7_T9_mT8_S1C_bDpT10_ENKUlT_T0_E_clISt17integral_constantIbLb0EES1O_IbLb1EEEEDaS1K_S1L_EUlS1K_E_NS1_11comp_targetILNS1_3genE0ELNS1_11target_archE4294967295ELNS1_3gpuE0ELNS1_3repE0EEENS1_30default_config_static_selectorELNS0_4arch9wavefront6targetE0EEEvSY_.num_named_barrier, 0
	.set _ZN7rocprim17ROCPRIM_400000_NS6detail17trampoline_kernelINS0_13select_configILj256ELj13ELNS0_17block_load_methodE3ELS4_3ELS4_3ELNS0_20block_scan_algorithmE0ELj4294967295EEENS1_25partition_config_selectorILNS1_17partition_subalgoE3EjNS0_10empty_typeEbEEZZNS1_14partition_implILS8_3ELb0ES6_jNS0_17counting_iteratorIjlEEPS9_SE_NS0_5tupleIJPjSE_EEENSF_IJSE_SE_EEES9_SG_JZNS1_25segmented_radix_sort_implINS0_14default_configELb0EPKhPhPKlPlN2at6native12_GLOBAL__N_18offset_tEEE10hipError_tPvRmT1_PNSt15iterator_traitsISY_E10value_typeET2_T3_PNSZ_IS14_E10value_typeET4_jRbjT5_S1A_jjP12ihipStream_tbEUljE_EEESV_SW_SX_S14_S18_S1A_T6_T7_T9_mT8_S1C_bDpT10_ENKUlT_T0_E_clISt17integral_constantIbLb0EES1O_IbLb1EEEEDaS1K_S1L_EUlS1K_E_NS1_11comp_targetILNS1_3genE0ELNS1_11target_archE4294967295ELNS1_3gpuE0ELNS1_3repE0EEENS1_30default_config_static_selectorELNS0_4arch9wavefront6targetE0EEEvSY_.private_seg_size, 0
	.set _ZN7rocprim17ROCPRIM_400000_NS6detail17trampoline_kernelINS0_13select_configILj256ELj13ELNS0_17block_load_methodE3ELS4_3ELS4_3ELNS0_20block_scan_algorithmE0ELj4294967295EEENS1_25partition_config_selectorILNS1_17partition_subalgoE3EjNS0_10empty_typeEbEEZZNS1_14partition_implILS8_3ELb0ES6_jNS0_17counting_iteratorIjlEEPS9_SE_NS0_5tupleIJPjSE_EEENSF_IJSE_SE_EEES9_SG_JZNS1_25segmented_radix_sort_implINS0_14default_configELb0EPKhPhPKlPlN2at6native12_GLOBAL__N_18offset_tEEE10hipError_tPvRmT1_PNSt15iterator_traitsISY_E10value_typeET2_T3_PNSZ_IS14_E10value_typeET4_jRbjT5_S1A_jjP12ihipStream_tbEUljE_EEESV_SW_SX_S14_S18_S1A_T6_T7_T9_mT8_S1C_bDpT10_ENKUlT_T0_E_clISt17integral_constantIbLb0EES1O_IbLb1EEEEDaS1K_S1L_EUlS1K_E_NS1_11comp_targetILNS1_3genE0ELNS1_11target_archE4294967295ELNS1_3gpuE0ELNS1_3repE0EEENS1_30default_config_static_selectorELNS0_4arch9wavefront6targetE0EEEvSY_.uses_vcc, 0
	.set _ZN7rocprim17ROCPRIM_400000_NS6detail17trampoline_kernelINS0_13select_configILj256ELj13ELNS0_17block_load_methodE3ELS4_3ELS4_3ELNS0_20block_scan_algorithmE0ELj4294967295EEENS1_25partition_config_selectorILNS1_17partition_subalgoE3EjNS0_10empty_typeEbEEZZNS1_14partition_implILS8_3ELb0ES6_jNS0_17counting_iteratorIjlEEPS9_SE_NS0_5tupleIJPjSE_EEENSF_IJSE_SE_EEES9_SG_JZNS1_25segmented_radix_sort_implINS0_14default_configELb0EPKhPhPKlPlN2at6native12_GLOBAL__N_18offset_tEEE10hipError_tPvRmT1_PNSt15iterator_traitsISY_E10value_typeET2_T3_PNSZ_IS14_E10value_typeET4_jRbjT5_S1A_jjP12ihipStream_tbEUljE_EEESV_SW_SX_S14_S18_S1A_T6_T7_T9_mT8_S1C_bDpT10_ENKUlT_T0_E_clISt17integral_constantIbLb0EES1O_IbLb1EEEEDaS1K_S1L_EUlS1K_E_NS1_11comp_targetILNS1_3genE0ELNS1_11target_archE4294967295ELNS1_3gpuE0ELNS1_3repE0EEENS1_30default_config_static_selectorELNS0_4arch9wavefront6targetE0EEEvSY_.uses_flat_scratch, 0
	.set _ZN7rocprim17ROCPRIM_400000_NS6detail17trampoline_kernelINS0_13select_configILj256ELj13ELNS0_17block_load_methodE3ELS4_3ELS4_3ELNS0_20block_scan_algorithmE0ELj4294967295EEENS1_25partition_config_selectorILNS1_17partition_subalgoE3EjNS0_10empty_typeEbEEZZNS1_14partition_implILS8_3ELb0ES6_jNS0_17counting_iteratorIjlEEPS9_SE_NS0_5tupleIJPjSE_EEENSF_IJSE_SE_EEES9_SG_JZNS1_25segmented_radix_sort_implINS0_14default_configELb0EPKhPhPKlPlN2at6native12_GLOBAL__N_18offset_tEEE10hipError_tPvRmT1_PNSt15iterator_traitsISY_E10value_typeET2_T3_PNSZ_IS14_E10value_typeET4_jRbjT5_S1A_jjP12ihipStream_tbEUljE_EEESV_SW_SX_S14_S18_S1A_T6_T7_T9_mT8_S1C_bDpT10_ENKUlT_T0_E_clISt17integral_constantIbLb0EES1O_IbLb1EEEEDaS1K_S1L_EUlS1K_E_NS1_11comp_targetILNS1_3genE0ELNS1_11target_archE4294967295ELNS1_3gpuE0ELNS1_3repE0EEENS1_30default_config_static_selectorELNS0_4arch9wavefront6targetE0EEEvSY_.has_dyn_sized_stack, 0
	.set _ZN7rocprim17ROCPRIM_400000_NS6detail17trampoline_kernelINS0_13select_configILj256ELj13ELNS0_17block_load_methodE3ELS4_3ELS4_3ELNS0_20block_scan_algorithmE0ELj4294967295EEENS1_25partition_config_selectorILNS1_17partition_subalgoE3EjNS0_10empty_typeEbEEZZNS1_14partition_implILS8_3ELb0ES6_jNS0_17counting_iteratorIjlEEPS9_SE_NS0_5tupleIJPjSE_EEENSF_IJSE_SE_EEES9_SG_JZNS1_25segmented_radix_sort_implINS0_14default_configELb0EPKhPhPKlPlN2at6native12_GLOBAL__N_18offset_tEEE10hipError_tPvRmT1_PNSt15iterator_traitsISY_E10value_typeET2_T3_PNSZ_IS14_E10value_typeET4_jRbjT5_S1A_jjP12ihipStream_tbEUljE_EEESV_SW_SX_S14_S18_S1A_T6_T7_T9_mT8_S1C_bDpT10_ENKUlT_T0_E_clISt17integral_constantIbLb0EES1O_IbLb1EEEEDaS1K_S1L_EUlS1K_E_NS1_11comp_targetILNS1_3genE0ELNS1_11target_archE4294967295ELNS1_3gpuE0ELNS1_3repE0EEENS1_30default_config_static_selectorELNS0_4arch9wavefront6targetE0EEEvSY_.has_recursion, 0
	.set _ZN7rocprim17ROCPRIM_400000_NS6detail17trampoline_kernelINS0_13select_configILj256ELj13ELNS0_17block_load_methodE3ELS4_3ELS4_3ELNS0_20block_scan_algorithmE0ELj4294967295EEENS1_25partition_config_selectorILNS1_17partition_subalgoE3EjNS0_10empty_typeEbEEZZNS1_14partition_implILS8_3ELb0ES6_jNS0_17counting_iteratorIjlEEPS9_SE_NS0_5tupleIJPjSE_EEENSF_IJSE_SE_EEES9_SG_JZNS1_25segmented_radix_sort_implINS0_14default_configELb0EPKhPhPKlPlN2at6native12_GLOBAL__N_18offset_tEEE10hipError_tPvRmT1_PNSt15iterator_traitsISY_E10value_typeET2_T3_PNSZ_IS14_E10value_typeET4_jRbjT5_S1A_jjP12ihipStream_tbEUljE_EEESV_SW_SX_S14_S18_S1A_T6_T7_T9_mT8_S1C_bDpT10_ENKUlT_T0_E_clISt17integral_constantIbLb0EES1O_IbLb1EEEEDaS1K_S1L_EUlS1K_E_NS1_11comp_targetILNS1_3genE0ELNS1_11target_archE4294967295ELNS1_3gpuE0ELNS1_3repE0EEENS1_30default_config_static_selectorELNS0_4arch9wavefront6targetE0EEEvSY_.has_indirect_call, 0
	.section	.AMDGPU.csdata,"",@progbits
; Kernel info:
; codeLenInByte = 0
; TotalNumSgprs: 0
; NumVgprs: 0
; ScratchSize: 0
; MemoryBound: 0
; FloatMode: 240
; IeeeMode: 1
; LDSByteSize: 0 bytes/workgroup (compile time only)
; SGPRBlocks: 0
; VGPRBlocks: 0
; NumSGPRsForWavesPerEU: 1
; NumVGPRsForWavesPerEU: 1
; Occupancy: 16
; WaveLimiterHint : 0
; COMPUTE_PGM_RSRC2:SCRATCH_EN: 0
; COMPUTE_PGM_RSRC2:USER_SGPR: 6
; COMPUTE_PGM_RSRC2:TRAP_HANDLER: 0
; COMPUTE_PGM_RSRC2:TGID_X_EN: 1
; COMPUTE_PGM_RSRC2:TGID_Y_EN: 0
; COMPUTE_PGM_RSRC2:TGID_Z_EN: 0
; COMPUTE_PGM_RSRC2:TIDIG_COMP_CNT: 0
	.section	.text._ZN7rocprim17ROCPRIM_400000_NS6detail17trampoline_kernelINS0_13select_configILj256ELj13ELNS0_17block_load_methodE3ELS4_3ELS4_3ELNS0_20block_scan_algorithmE0ELj4294967295EEENS1_25partition_config_selectorILNS1_17partition_subalgoE3EjNS0_10empty_typeEbEEZZNS1_14partition_implILS8_3ELb0ES6_jNS0_17counting_iteratorIjlEEPS9_SE_NS0_5tupleIJPjSE_EEENSF_IJSE_SE_EEES9_SG_JZNS1_25segmented_radix_sort_implINS0_14default_configELb0EPKhPhPKlPlN2at6native12_GLOBAL__N_18offset_tEEE10hipError_tPvRmT1_PNSt15iterator_traitsISY_E10value_typeET2_T3_PNSZ_IS14_E10value_typeET4_jRbjT5_S1A_jjP12ihipStream_tbEUljE_EEESV_SW_SX_S14_S18_S1A_T6_T7_T9_mT8_S1C_bDpT10_ENKUlT_T0_E_clISt17integral_constantIbLb0EES1O_IbLb1EEEEDaS1K_S1L_EUlS1K_E_NS1_11comp_targetILNS1_3genE5ELNS1_11target_archE942ELNS1_3gpuE9ELNS1_3repE0EEENS1_30default_config_static_selectorELNS0_4arch9wavefront6targetE0EEEvSY_,"axG",@progbits,_ZN7rocprim17ROCPRIM_400000_NS6detail17trampoline_kernelINS0_13select_configILj256ELj13ELNS0_17block_load_methodE3ELS4_3ELS4_3ELNS0_20block_scan_algorithmE0ELj4294967295EEENS1_25partition_config_selectorILNS1_17partition_subalgoE3EjNS0_10empty_typeEbEEZZNS1_14partition_implILS8_3ELb0ES6_jNS0_17counting_iteratorIjlEEPS9_SE_NS0_5tupleIJPjSE_EEENSF_IJSE_SE_EEES9_SG_JZNS1_25segmented_radix_sort_implINS0_14default_configELb0EPKhPhPKlPlN2at6native12_GLOBAL__N_18offset_tEEE10hipError_tPvRmT1_PNSt15iterator_traitsISY_E10value_typeET2_T3_PNSZ_IS14_E10value_typeET4_jRbjT5_S1A_jjP12ihipStream_tbEUljE_EEESV_SW_SX_S14_S18_S1A_T6_T7_T9_mT8_S1C_bDpT10_ENKUlT_T0_E_clISt17integral_constantIbLb0EES1O_IbLb1EEEEDaS1K_S1L_EUlS1K_E_NS1_11comp_targetILNS1_3genE5ELNS1_11target_archE942ELNS1_3gpuE9ELNS1_3repE0EEENS1_30default_config_static_selectorELNS0_4arch9wavefront6targetE0EEEvSY_,comdat
	.globl	_ZN7rocprim17ROCPRIM_400000_NS6detail17trampoline_kernelINS0_13select_configILj256ELj13ELNS0_17block_load_methodE3ELS4_3ELS4_3ELNS0_20block_scan_algorithmE0ELj4294967295EEENS1_25partition_config_selectorILNS1_17partition_subalgoE3EjNS0_10empty_typeEbEEZZNS1_14partition_implILS8_3ELb0ES6_jNS0_17counting_iteratorIjlEEPS9_SE_NS0_5tupleIJPjSE_EEENSF_IJSE_SE_EEES9_SG_JZNS1_25segmented_radix_sort_implINS0_14default_configELb0EPKhPhPKlPlN2at6native12_GLOBAL__N_18offset_tEEE10hipError_tPvRmT1_PNSt15iterator_traitsISY_E10value_typeET2_T3_PNSZ_IS14_E10value_typeET4_jRbjT5_S1A_jjP12ihipStream_tbEUljE_EEESV_SW_SX_S14_S18_S1A_T6_T7_T9_mT8_S1C_bDpT10_ENKUlT_T0_E_clISt17integral_constantIbLb0EES1O_IbLb1EEEEDaS1K_S1L_EUlS1K_E_NS1_11comp_targetILNS1_3genE5ELNS1_11target_archE942ELNS1_3gpuE9ELNS1_3repE0EEENS1_30default_config_static_selectorELNS0_4arch9wavefront6targetE0EEEvSY_ ; -- Begin function _ZN7rocprim17ROCPRIM_400000_NS6detail17trampoline_kernelINS0_13select_configILj256ELj13ELNS0_17block_load_methodE3ELS4_3ELS4_3ELNS0_20block_scan_algorithmE0ELj4294967295EEENS1_25partition_config_selectorILNS1_17partition_subalgoE3EjNS0_10empty_typeEbEEZZNS1_14partition_implILS8_3ELb0ES6_jNS0_17counting_iteratorIjlEEPS9_SE_NS0_5tupleIJPjSE_EEENSF_IJSE_SE_EEES9_SG_JZNS1_25segmented_radix_sort_implINS0_14default_configELb0EPKhPhPKlPlN2at6native12_GLOBAL__N_18offset_tEEE10hipError_tPvRmT1_PNSt15iterator_traitsISY_E10value_typeET2_T3_PNSZ_IS14_E10value_typeET4_jRbjT5_S1A_jjP12ihipStream_tbEUljE_EEESV_SW_SX_S14_S18_S1A_T6_T7_T9_mT8_S1C_bDpT10_ENKUlT_T0_E_clISt17integral_constantIbLb0EES1O_IbLb1EEEEDaS1K_S1L_EUlS1K_E_NS1_11comp_targetILNS1_3genE5ELNS1_11target_archE942ELNS1_3gpuE9ELNS1_3repE0EEENS1_30default_config_static_selectorELNS0_4arch9wavefront6targetE0EEEvSY_
	.p2align	8
	.type	_ZN7rocprim17ROCPRIM_400000_NS6detail17trampoline_kernelINS0_13select_configILj256ELj13ELNS0_17block_load_methodE3ELS4_3ELS4_3ELNS0_20block_scan_algorithmE0ELj4294967295EEENS1_25partition_config_selectorILNS1_17partition_subalgoE3EjNS0_10empty_typeEbEEZZNS1_14partition_implILS8_3ELb0ES6_jNS0_17counting_iteratorIjlEEPS9_SE_NS0_5tupleIJPjSE_EEENSF_IJSE_SE_EEES9_SG_JZNS1_25segmented_radix_sort_implINS0_14default_configELb0EPKhPhPKlPlN2at6native12_GLOBAL__N_18offset_tEEE10hipError_tPvRmT1_PNSt15iterator_traitsISY_E10value_typeET2_T3_PNSZ_IS14_E10value_typeET4_jRbjT5_S1A_jjP12ihipStream_tbEUljE_EEESV_SW_SX_S14_S18_S1A_T6_T7_T9_mT8_S1C_bDpT10_ENKUlT_T0_E_clISt17integral_constantIbLb0EES1O_IbLb1EEEEDaS1K_S1L_EUlS1K_E_NS1_11comp_targetILNS1_3genE5ELNS1_11target_archE942ELNS1_3gpuE9ELNS1_3repE0EEENS1_30default_config_static_selectorELNS0_4arch9wavefront6targetE0EEEvSY_,@function
_ZN7rocprim17ROCPRIM_400000_NS6detail17trampoline_kernelINS0_13select_configILj256ELj13ELNS0_17block_load_methodE3ELS4_3ELS4_3ELNS0_20block_scan_algorithmE0ELj4294967295EEENS1_25partition_config_selectorILNS1_17partition_subalgoE3EjNS0_10empty_typeEbEEZZNS1_14partition_implILS8_3ELb0ES6_jNS0_17counting_iteratorIjlEEPS9_SE_NS0_5tupleIJPjSE_EEENSF_IJSE_SE_EEES9_SG_JZNS1_25segmented_radix_sort_implINS0_14default_configELb0EPKhPhPKlPlN2at6native12_GLOBAL__N_18offset_tEEE10hipError_tPvRmT1_PNSt15iterator_traitsISY_E10value_typeET2_T3_PNSZ_IS14_E10value_typeET4_jRbjT5_S1A_jjP12ihipStream_tbEUljE_EEESV_SW_SX_S14_S18_S1A_T6_T7_T9_mT8_S1C_bDpT10_ENKUlT_T0_E_clISt17integral_constantIbLb0EES1O_IbLb1EEEEDaS1K_S1L_EUlS1K_E_NS1_11comp_targetILNS1_3genE5ELNS1_11target_archE942ELNS1_3gpuE9ELNS1_3repE0EEENS1_30default_config_static_selectorELNS0_4arch9wavefront6targetE0EEEvSY_: ; @_ZN7rocprim17ROCPRIM_400000_NS6detail17trampoline_kernelINS0_13select_configILj256ELj13ELNS0_17block_load_methodE3ELS4_3ELS4_3ELNS0_20block_scan_algorithmE0ELj4294967295EEENS1_25partition_config_selectorILNS1_17partition_subalgoE3EjNS0_10empty_typeEbEEZZNS1_14partition_implILS8_3ELb0ES6_jNS0_17counting_iteratorIjlEEPS9_SE_NS0_5tupleIJPjSE_EEENSF_IJSE_SE_EEES9_SG_JZNS1_25segmented_radix_sort_implINS0_14default_configELb0EPKhPhPKlPlN2at6native12_GLOBAL__N_18offset_tEEE10hipError_tPvRmT1_PNSt15iterator_traitsISY_E10value_typeET2_T3_PNSZ_IS14_E10value_typeET4_jRbjT5_S1A_jjP12ihipStream_tbEUljE_EEESV_SW_SX_S14_S18_S1A_T6_T7_T9_mT8_S1C_bDpT10_ENKUlT_T0_E_clISt17integral_constantIbLb0EES1O_IbLb1EEEEDaS1K_S1L_EUlS1K_E_NS1_11comp_targetILNS1_3genE5ELNS1_11target_archE942ELNS1_3gpuE9ELNS1_3repE0EEENS1_30default_config_static_selectorELNS0_4arch9wavefront6targetE0EEEvSY_
; %bb.0:
	.section	.rodata,"a",@progbits
	.p2align	6, 0x0
	.amdhsa_kernel _ZN7rocprim17ROCPRIM_400000_NS6detail17trampoline_kernelINS0_13select_configILj256ELj13ELNS0_17block_load_methodE3ELS4_3ELS4_3ELNS0_20block_scan_algorithmE0ELj4294967295EEENS1_25partition_config_selectorILNS1_17partition_subalgoE3EjNS0_10empty_typeEbEEZZNS1_14partition_implILS8_3ELb0ES6_jNS0_17counting_iteratorIjlEEPS9_SE_NS0_5tupleIJPjSE_EEENSF_IJSE_SE_EEES9_SG_JZNS1_25segmented_radix_sort_implINS0_14default_configELb0EPKhPhPKlPlN2at6native12_GLOBAL__N_18offset_tEEE10hipError_tPvRmT1_PNSt15iterator_traitsISY_E10value_typeET2_T3_PNSZ_IS14_E10value_typeET4_jRbjT5_S1A_jjP12ihipStream_tbEUljE_EEESV_SW_SX_S14_S18_S1A_T6_T7_T9_mT8_S1C_bDpT10_ENKUlT_T0_E_clISt17integral_constantIbLb0EES1O_IbLb1EEEEDaS1K_S1L_EUlS1K_E_NS1_11comp_targetILNS1_3genE5ELNS1_11target_archE942ELNS1_3gpuE9ELNS1_3repE0EEENS1_30default_config_static_selectorELNS0_4arch9wavefront6targetE0EEEvSY_
		.amdhsa_group_segment_fixed_size 0
		.amdhsa_private_segment_fixed_size 0
		.amdhsa_kernarg_size 152
		.amdhsa_user_sgpr_count 6
		.amdhsa_user_sgpr_private_segment_buffer 1
		.amdhsa_user_sgpr_dispatch_ptr 0
		.amdhsa_user_sgpr_queue_ptr 0
		.amdhsa_user_sgpr_kernarg_segment_ptr 1
		.amdhsa_user_sgpr_dispatch_id 0
		.amdhsa_user_sgpr_flat_scratch_init 0
		.amdhsa_user_sgpr_private_segment_size 0
		.amdhsa_wavefront_size32 1
		.amdhsa_uses_dynamic_stack 0
		.amdhsa_system_sgpr_private_segment_wavefront_offset 0
		.amdhsa_system_sgpr_workgroup_id_x 1
		.amdhsa_system_sgpr_workgroup_id_y 0
		.amdhsa_system_sgpr_workgroup_id_z 0
		.amdhsa_system_sgpr_workgroup_info 0
		.amdhsa_system_vgpr_workitem_id 0
		.amdhsa_next_free_vgpr 1
		.amdhsa_next_free_sgpr 1
		.amdhsa_reserve_vcc 0
		.amdhsa_reserve_flat_scratch 0
		.amdhsa_float_round_mode_32 0
		.amdhsa_float_round_mode_16_64 0
		.amdhsa_float_denorm_mode_32 3
		.amdhsa_float_denorm_mode_16_64 3
		.amdhsa_dx10_clamp 1
		.amdhsa_ieee_mode 1
		.amdhsa_fp16_overflow 0
		.amdhsa_workgroup_processor_mode 1
		.amdhsa_memory_ordered 1
		.amdhsa_forward_progress 1
		.amdhsa_shared_vgpr_count 0
		.amdhsa_exception_fp_ieee_invalid_op 0
		.amdhsa_exception_fp_denorm_src 0
		.amdhsa_exception_fp_ieee_div_zero 0
		.amdhsa_exception_fp_ieee_overflow 0
		.amdhsa_exception_fp_ieee_underflow 0
		.amdhsa_exception_fp_ieee_inexact 0
		.amdhsa_exception_int_div_zero 0
	.end_amdhsa_kernel
	.section	.text._ZN7rocprim17ROCPRIM_400000_NS6detail17trampoline_kernelINS0_13select_configILj256ELj13ELNS0_17block_load_methodE3ELS4_3ELS4_3ELNS0_20block_scan_algorithmE0ELj4294967295EEENS1_25partition_config_selectorILNS1_17partition_subalgoE3EjNS0_10empty_typeEbEEZZNS1_14partition_implILS8_3ELb0ES6_jNS0_17counting_iteratorIjlEEPS9_SE_NS0_5tupleIJPjSE_EEENSF_IJSE_SE_EEES9_SG_JZNS1_25segmented_radix_sort_implINS0_14default_configELb0EPKhPhPKlPlN2at6native12_GLOBAL__N_18offset_tEEE10hipError_tPvRmT1_PNSt15iterator_traitsISY_E10value_typeET2_T3_PNSZ_IS14_E10value_typeET4_jRbjT5_S1A_jjP12ihipStream_tbEUljE_EEESV_SW_SX_S14_S18_S1A_T6_T7_T9_mT8_S1C_bDpT10_ENKUlT_T0_E_clISt17integral_constantIbLb0EES1O_IbLb1EEEEDaS1K_S1L_EUlS1K_E_NS1_11comp_targetILNS1_3genE5ELNS1_11target_archE942ELNS1_3gpuE9ELNS1_3repE0EEENS1_30default_config_static_selectorELNS0_4arch9wavefront6targetE0EEEvSY_,"axG",@progbits,_ZN7rocprim17ROCPRIM_400000_NS6detail17trampoline_kernelINS0_13select_configILj256ELj13ELNS0_17block_load_methodE3ELS4_3ELS4_3ELNS0_20block_scan_algorithmE0ELj4294967295EEENS1_25partition_config_selectorILNS1_17partition_subalgoE3EjNS0_10empty_typeEbEEZZNS1_14partition_implILS8_3ELb0ES6_jNS0_17counting_iteratorIjlEEPS9_SE_NS0_5tupleIJPjSE_EEENSF_IJSE_SE_EEES9_SG_JZNS1_25segmented_radix_sort_implINS0_14default_configELb0EPKhPhPKlPlN2at6native12_GLOBAL__N_18offset_tEEE10hipError_tPvRmT1_PNSt15iterator_traitsISY_E10value_typeET2_T3_PNSZ_IS14_E10value_typeET4_jRbjT5_S1A_jjP12ihipStream_tbEUljE_EEESV_SW_SX_S14_S18_S1A_T6_T7_T9_mT8_S1C_bDpT10_ENKUlT_T0_E_clISt17integral_constantIbLb0EES1O_IbLb1EEEEDaS1K_S1L_EUlS1K_E_NS1_11comp_targetILNS1_3genE5ELNS1_11target_archE942ELNS1_3gpuE9ELNS1_3repE0EEENS1_30default_config_static_selectorELNS0_4arch9wavefront6targetE0EEEvSY_,comdat
.Lfunc_end178:
	.size	_ZN7rocprim17ROCPRIM_400000_NS6detail17trampoline_kernelINS0_13select_configILj256ELj13ELNS0_17block_load_methodE3ELS4_3ELS4_3ELNS0_20block_scan_algorithmE0ELj4294967295EEENS1_25partition_config_selectorILNS1_17partition_subalgoE3EjNS0_10empty_typeEbEEZZNS1_14partition_implILS8_3ELb0ES6_jNS0_17counting_iteratorIjlEEPS9_SE_NS0_5tupleIJPjSE_EEENSF_IJSE_SE_EEES9_SG_JZNS1_25segmented_radix_sort_implINS0_14default_configELb0EPKhPhPKlPlN2at6native12_GLOBAL__N_18offset_tEEE10hipError_tPvRmT1_PNSt15iterator_traitsISY_E10value_typeET2_T3_PNSZ_IS14_E10value_typeET4_jRbjT5_S1A_jjP12ihipStream_tbEUljE_EEESV_SW_SX_S14_S18_S1A_T6_T7_T9_mT8_S1C_bDpT10_ENKUlT_T0_E_clISt17integral_constantIbLb0EES1O_IbLb1EEEEDaS1K_S1L_EUlS1K_E_NS1_11comp_targetILNS1_3genE5ELNS1_11target_archE942ELNS1_3gpuE9ELNS1_3repE0EEENS1_30default_config_static_selectorELNS0_4arch9wavefront6targetE0EEEvSY_, .Lfunc_end178-_ZN7rocprim17ROCPRIM_400000_NS6detail17trampoline_kernelINS0_13select_configILj256ELj13ELNS0_17block_load_methodE3ELS4_3ELS4_3ELNS0_20block_scan_algorithmE0ELj4294967295EEENS1_25partition_config_selectorILNS1_17partition_subalgoE3EjNS0_10empty_typeEbEEZZNS1_14partition_implILS8_3ELb0ES6_jNS0_17counting_iteratorIjlEEPS9_SE_NS0_5tupleIJPjSE_EEENSF_IJSE_SE_EEES9_SG_JZNS1_25segmented_radix_sort_implINS0_14default_configELb0EPKhPhPKlPlN2at6native12_GLOBAL__N_18offset_tEEE10hipError_tPvRmT1_PNSt15iterator_traitsISY_E10value_typeET2_T3_PNSZ_IS14_E10value_typeET4_jRbjT5_S1A_jjP12ihipStream_tbEUljE_EEESV_SW_SX_S14_S18_S1A_T6_T7_T9_mT8_S1C_bDpT10_ENKUlT_T0_E_clISt17integral_constantIbLb0EES1O_IbLb1EEEEDaS1K_S1L_EUlS1K_E_NS1_11comp_targetILNS1_3genE5ELNS1_11target_archE942ELNS1_3gpuE9ELNS1_3repE0EEENS1_30default_config_static_selectorELNS0_4arch9wavefront6targetE0EEEvSY_
                                        ; -- End function
	.set _ZN7rocprim17ROCPRIM_400000_NS6detail17trampoline_kernelINS0_13select_configILj256ELj13ELNS0_17block_load_methodE3ELS4_3ELS4_3ELNS0_20block_scan_algorithmE0ELj4294967295EEENS1_25partition_config_selectorILNS1_17partition_subalgoE3EjNS0_10empty_typeEbEEZZNS1_14partition_implILS8_3ELb0ES6_jNS0_17counting_iteratorIjlEEPS9_SE_NS0_5tupleIJPjSE_EEENSF_IJSE_SE_EEES9_SG_JZNS1_25segmented_radix_sort_implINS0_14default_configELb0EPKhPhPKlPlN2at6native12_GLOBAL__N_18offset_tEEE10hipError_tPvRmT1_PNSt15iterator_traitsISY_E10value_typeET2_T3_PNSZ_IS14_E10value_typeET4_jRbjT5_S1A_jjP12ihipStream_tbEUljE_EEESV_SW_SX_S14_S18_S1A_T6_T7_T9_mT8_S1C_bDpT10_ENKUlT_T0_E_clISt17integral_constantIbLb0EES1O_IbLb1EEEEDaS1K_S1L_EUlS1K_E_NS1_11comp_targetILNS1_3genE5ELNS1_11target_archE942ELNS1_3gpuE9ELNS1_3repE0EEENS1_30default_config_static_selectorELNS0_4arch9wavefront6targetE0EEEvSY_.num_vgpr, 0
	.set _ZN7rocprim17ROCPRIM_400000_NS6detail17trampoline_kernelINS0_13select_configILj256ELj13ELNS0_17block_load_methodE3ELS4_3ELS4_3ELNS0_20block_scan_algorithmE0ELj4294967295EEENS1_25partition_config_selectorILNS1_17partition_subalgoE3EjNS0_10empty_typeEbEEZZNS1_14partition_implILS8_3ELb0ES6_jNS0_17counting_iteratorIjlEEPS9_SE_NS0_5tupleIJPjSE_EEENSF_IJSE_SE_EEES9_SG_JZNS1_25segmented_radix_sort_implINS0_14default_configELb0EPKhPhPKlPlN2at6native12_GLOBAL__N_18offset_tEEE10hipError_tPvRmT1_PNSt15iterator_traitsISY_E10value_typeET2_T3_PNSZ_IS14_E10value_typeET4_jRbjT5_S1A_jjP12ihipStream_tbEUljE_EEESV_SW_SX_S14_S18_S1A_T6_T7_T9_mT8_S1C_bDpT10_ENKUlT_T0_E_clISt17integral_constantIbLb0EES1O_IbLb1EEEEDaS1K_S1L_EUlS1K_E_NS1_11comp_targetILNS1_3genE5ELNS1_11target_archE942ELNS1_3gpuE9ELNS1_3repE0EEENS1_30default_config_static_selectorELNS0_4arch9wavefront6targetE0EEEvSY_.num_agpr, 0
	.set _ZN7rocprim17ROCPRIM_400000_NS6detail17trampoline_kernelINS0_13select_configILj256ELj13ELNS0_17block_load_methodE3ELS4_3ELS4_3ELNS0_20block_scan_algorithmE0ELj4294967295EEENS1_25partition_config_selectorILNS1_17partition_subalgoE3EjNS0_10empty_typeEbEEZZNS1_14partition_implILS8_3ELb0ES6_jNS0_17counting_iteratorIjlEEPS9_SE_NS0_5tupleIJPjSE_EEENSF_IJSE_SE_EEES9_SG_JZNS1_25segmented_radix_sort_implINS0_14default_configELb0EPKhPhPKlPlN2at6native12_GLOBAL__N_18offset_tEEE10hipError_tPvRmT1_PNSt15iterator_traitsISY_E10value_typeET2_T3_PNSZ_IS14_E10value_typeET4_jRbjT5_S1A_jjP12ihipStream_tbEUljE_EEESV_SW_SX_S14_S18_S1A_T6_T7_T9_mT8_S1C_bDpT10_ENKUlT_T0_E_clISt17integral_constantIbLb0EES1O_IbLb1EEEEDaS1K_S1L_EUlS1K_E_NS1_11comp_targetILNS1_3genE5ELNS1_11target_archE942ELNS1_3gpuE9ELNS1_3repE0EEENS1_30default_config_static_selectorELNS0_4arch9wavefront6targetE0EEEvSY_.numbered_sgpr, 0
	.set _ZN7rocprim17ROCPRIM_400000_NS6detail17trampoline_kernelINS0_13select_configILj256ELj13ELNS0_17block_load_methodE3ELS4_3ELS4_3ELNS0_20block_scan_algorithmE0ELj4294967295EEENS1_25partition_config_selectorILNS1_17partition_subalgoE3EjNS0_10empty_typeEbEEZZNS1_14partition_implILS8_3ELb0ES6_jNS0_17counting_iteratorIjlEEPS9_SE_NS0_5tupleIJPjSE_EEENSF_IJSE_SE_EEES9_SG_JZNS1_25segmented_radix_sort_implINS0_14default_configELb0EPKhPhPKlPlN2at6native12_GLOBAL__N_18offset_tEEE10hipError_tPvRmT1_PNSt15iterator_traitsISY_E10value_typeET2_T3_PNSZ_IS14_E10value_typeET4_jRbjT5_S1A_jjP12ihipStream_tbEUljE_EEESV_SW_SX_S14_S18_S1A_T6_T7_T9_mT8_S1C_bDpT10_ENKUlT_T0_E_clISt17integral_constantIbLb0EES1O_IbLb1EEEEDaS1K_S1L_EUlS1K_E_NS1_11comp_targetILNS1_3genE5ELNS1_11target_archE942ELNS1_3gpuE9ELNS1_3repE0EEENS1_30default_config_static_selectorELNS0_4arch9wavefront6targetE0EEEvSY_.num_named_barrier, 0
	.set _ZN7rocprim17ROCPRIM_400000_NS6detail17trampoline_kernelINS0_13select_configILj256ELj13ELNS0_17block_load_methodE3ELS4_3ELS4_3ELNS0_20block_scan_algorithmE0ELj4294967295EEENS1_25partition_config_selectorILNS1_17partition_subalgoE3EjNS0_10empty_typeEbEEZZNS1_14partition_implILS8_3ELb0ES6_jNS0_17counting_iteratorIjlEEPS9_SE_NS0_5tupleIJPjSE_EEENSF_IJSE_SE_EEES9_SG_JZNS1_25segmented_radix_sort_implINS0_14default_configELb0EPKhPhPKlPlN2at6native12_GLOBAL__N_18offset_tEEE10hipError_tPvRmT1_PNSt15iterator_traitsISY_E10value_typeET2_T3_PNSZ_IS14_E10value_typeET4_jRbjT5_S1A_jjP12ihipStream_tbEUljE_EEESV_SW_SX_S14_S18_S1A_T6_T7_T9_mT8_S1C_bDpT10_ENKUlT_T0_E_clISt17integral_constantIbLb0EES1O_IbLb1EEEEDaS1K_S1L_EUlS1K_E_NS1_11comp_targetILNS1_3genE5ELNS1_11target_archE942ELNS1_3gpuE9ELNS1_3repE0EEENS1_30default_config_static_selectorELNS0_4arch9wavefront6targetE0EEEvSY_.private_seg_size, 0
	.set _ZN7rocprim17ROCPRIM_400000_NS6detail17trampoline_kernelINS0_13select_configILj256ELj13ELNS0_17block_load_methodE3ELS4_3ELS4_3ELNS0_20block_scan_algorithmE0ELj4294967295EEENS1_25partition_config_selectorILNS1_17partition_subalgoE3EjNS0_10empty_typeEbEEZZNS1_14partition_implILS8_3ELb0ES6_jNS0_17counting_iteratorIjlEEPS9_SE_NS0_5tupleIJPjSE_EEENSF_IJSE_SE_EEES9_SG_JZNS1_25segmented_radix_sort_implINS0_14default_configELb0EPKhPhPKlPlN2at6native12_GLOBAL__N_18offset_tEEE10hipError_tPvRmT1_PNSt15iterator_traitsISY_E10value_typeET2_T3_PNSZ_IS14_E10value_typeET4_jRbjT5_S1A_jjP12ihipStream_tbEUljE_EEESV_SW_SX_S14_S18_S1A_T6_T7_T9_mT8_S1C_bDpT10_ENKUlT_T0_E_clISt17integral_constantIbLb0EES1O_IbLb1EEEEDaS1K_S1L_EUlS1K_E_NS1_11comp_targetILNS1_3genE5ELNS1_11target_archE942ELNS1_3gpuE9ELNS1_3repE0EEENS1_30default_config_static_selectorELNS0_4arch9wavefront6targetE0EEEvSY_.uses_vcc, 0
	.set _ZN7rocprim17ROCPRIM_400000_NS6detail17trampoline_kernelINS0_13select_configILj256ELj13ELNS0_17block_load_methodE3ELS4_3ELS4_3ELNS0_20block_scan_algorithmE0ELj4294967295EEENS1_25partition_config_selectorILNS1_17partition_subalgoE3EjNS0_10empty_typeEbEEZZNS1_14partition_implILS8_3ELb0ES6_jNS0_17counting_iteratorIjlEEPS9_SE_NS0_5tupleIJPjSE_EEENSF_IJSE_SE_EEES9_SG_JZNS1_25segmented_radix_sort_implINS0_14default_configELb0EPKhPhPKlPlN2at6native12_GLOBAL__N_18offset_tEEE10hipError_tPvRmT1_PNSt15iterator_traitsISY_E10value_typeET2_T3_PNSZ_IS14_E10value_typeET4_jRbjT5_S1A_jjP12ihipStream_tbEUljE_EEESV_SW_SX_S14_S18_S1A_T6_T7_T9_mT8_S1C_bDpT10_ENKUlT_T0_E_clISt17integral_constantIbLb0EES1O_IbLb1EEEEDaS1K_S1L_EUlS1K_E_NS1_11comp_targetILNS1_3genE5ELNS1_11target_archE942ELNS1_3gpuE9ELNS1_3repE0EEENS1_30default_config_static_selectorELNS0_4arch9wavefront6targetE0EEEvSY_.uses_flat_scratch, 0
	.set _ZN7rocprim17ROCPRIM_400000_NS6detail17trampoline_kernelINS0_13select_configILj256ELj13ELNS0_17block_load_methodE3ELS4_3ELS4_3ELNS0_20block_scan_algorithmE0ELj4294967295EEENS1_25partition_config_selectorILNS1_17partition_subalgoE3EjNS0_10empty_typeEbEEZZNS1_14partition_implILS8_3ELb0ES6_jNS0_17counting_iteratorIjlEEPS9_SE_NS0_5tupleIJPjSE_EEENSF_IJSE_SE_EEES9_SG_JZNS1_25segmented_radix_sort_implINS0_14default_configELb0EPKhPhPKlPlN2at6native12_GLOBAL__N_18offset_tEEE10hipError_tPvRmT1_PNSt15iterator_traitsISY_E10value_typeET2_T3_PNSZ_IS14_E10value_typeET4_jRbjT5_S1A_jjP12ihipStream_tbEUljE_EEESV_SW_SX_S14_S18_S1A_T6_T7_T9_mT8_S1C_bDpT10_ENKUlT_T0_E_clISt17integral_constantIbLb0EES1O_IbLb1EEEEDaS1K_S1L_EUlS1K_E_NS1_11comp_targetILNS1_3genE5ELNS1_11target_archE942ELNS1_3gpuE9ELNS1_3repE0EEENS1_30default_config_static_selectorELNS0_4arch9wavefront6targetE0EEEvSY_.has_dyn_sized_stack, 0
	.set _ZN7rocprim17ROCPRIM_400000_NS6detail17trampoline_kernelINS0_13select_configILj256ELj13ELNS0_17block_load_methodE3ELS4_3ELS4_3ELNS0_20block_scan_algorithmE0ELj4294967295EEENS1_25partition_config_selectorILNS1_17partition_subalgoE3EjNS0_10empty_typeEbEEZZNS1_14partition_implILS8_3ELb0ES6_jNS0_17counting_iteratorIjlEEPS9_SE_NS0_5tupleIJPjSE_EEENSF_IJSE_SE_EEES9_SG_JZNS1_25segmented_radix_sort_implINS0_14default_configELb0EPKhPhPKlPlN2at6native12_GLOBAL__N_18offset_tEEE10hipError_tPvRmT1_PNSt15iterator_traitsISY_E10value_typeET2_T3_PNSZ_IS14_E10value_typeET4_jRbjT5_S1A_jjP12ihipStream_tbEUljE_EEESV_SW_SX_S14_S18_S1A_T6_T7_T9_mT8_S1C_bDpT10_ENKUlT_T0_E_clISt17integral_constantIbLb0EES1O_IbLb1EEEEDaS1K_S1L_EUlS1K_E_NS1_11comp_targetILNS1_3genE5ELNS1_11target_archE942ELNS1_3gpuE9ELNS1_3repE0EEENS1_30default_config_static_selectorELNS0_4arch9wavefront6targetE0EEEvSY_.has_recursion, 0
	.set _ZN7rocprim17ROCPRIM_400000_NS6detail17trampoline_kernelINS0_13select_configILj256ELj13ELNS0_17block_load_methodE3ELS4_3ELS4_3ELNS0_20block_scan_algorithmE0ELj4294967295EEENS1_25partition_config_selectorILNS1_17partition_subalgoE3EjNS0_10empty_typeEbEEZZNS1_14partition_implILS8_3ELb0ES6_jNS0_17counting_iteratorIjlEEPS9_SE_NS0_5tupleIJPjSE_EEENSF_IJSE_SE_EEES9_SG_JZNS1_25segmented_radix_sort_implINS0_14default_configELb0EPKhPhPKlPlN2at6native12_GLOBAL__N_18offset_tEEE10hipError_tPvRmT1_PNSt15iterator_traitsISY_E10value_typeET2_T3_PNSZ_IS14_E10value_typeET4_jRbjT5_S1A_jjP12ihipStream_tbEUljE_EEESV_SW_SX_S14_S18_S1A_T6_T7_T9_mT8_S1C_bDpT10_ENKUlT_T0_E_clISt17integral_constantIbLb0EES1O_IbLb1EEEEDaS1K_S1L_EUlS1K_E_NS1_11comp_targetILNS1_3genE5ELNS1_11target_archE942ELNS1_3gpuE9ELNS1_3repE0EEENS1_30default_config_static_selectorELNS0_4arch9wavefront6targetE0EEEvSY_.has_indirect_call, 0
	.section	.AMDGPU.csdata,"",@progbits
; Kernel info:
; codeLenInByte = 0
; TotalNumSgprs: 0
; NumVgprs: 0
; ScratchSize: 0
; MemoryBound: 0
; FloatMode: 240
; IeeeMode: 1
; LDSByteSize: 0 bytes/workgroup (compile time only)
; SGPRBlocks: 0
; VGPRBlocks: 0
; NumSGPRsForWavesPerEU: 1
; NumVGPRsForWavesPerEU: 1
; Occupancy: 16
; WaveLimiterHint : 0
; COMPUTE_PGM_RSRC2:SCRATCH_EN: 0
; COMPUTE_PGM_RSRC2:USER_SGPR: 6
; COMPUTE_PGM_RSRC2:TRAP_HANDLER: 0
; COMPUTE_PGM_RSRC2:TGID_X_EN: 1
; COMPUTE_PGM_RSRC2:TGID_Y_EN: 0
; COMPUTE_PGM_RSRC2:TGID_Z_EN: 0
; COMPUTE_PGM_RSRC2:TIDIG_COMP_CNT: 0
	.section	.text._ZN7rocprim17ROCPRIM_400000_NS6detail17trampoline_kernelINS0_13select_configILj256ELj13ELNS0_17block_load_methodE3ELS4_3ELS4_3ELNS0_20block_scan_algorithmE0ELj4294967295EEENS1_25partition_config_selectorILNS1_17partition_subalgoE3EjNS0_10empty_typeEbEEZZNS1_14partition_implILS8_3ELb0ES6_jNS0_17counting_iteratorIjlEEPS9_SE_NS0_5tupleIJPjSE_EEENSF_IJSE_SE_EEES9_SG_JZNS1_25segmented_radix_sort_implINS0_14default_configELb0EPKhPhPKlPlN2at6native12_GLOBAL__N_18offset_tEEE10hipError_tPvRmT1_PNSt15iterator_traitsISY_E10value_typeET2_T3_PNSZ_IS14_E10value_typeET4_jRbjT5_S1A_jjP12ihipStream_tbEUljE_EEESV_SW_SX_S14_S18_S1A_T6_T7_T9_mT8_S1C_bDpT10_ENKUlT_T0_E_clISt17integral_constantIbLb0EES1O_IbLb1EEEEDaS1K_S1L_EUlS1K_E_NS1_11comp_targetILNS1_3genE4ELNS1_11target_archE910ELNS1_3gpuE8ELNS1_3repE0EEENS1_30default_config_static_selectorELNS0_4arch9wavefront6targetE0EEEvSY_,"axG",@progbits,_ZN7rocprim17ROCPRIM_400000_NS6detail17trampoline_kernelINS0_13select_configILj256ELj13ELNS0_17block_load_methodE3ELS4_3ELS4_3ELNS0_20block_scan_algorithmE0ELj4294967295EEENS1_25partition_config_selectorILNS1_17partition_subalgoE3EjNS0_10empty_typeEbEEZZNS1_14partition_implILS8_3ELb0ES6_jNS0_17counting_iteratorIjlEEPS9_SE_NS0_5tupleIJPjSE_EEENSF_IJSE_SE_EEES9_SG_JZNS1_25segmented_radix_sort_implINS0_14default_configELb0EPKhPhPKlPlN2at6native12_GLOBAL__N_18offset_tEEE10hipError_tPvRmT1_PNSt15iterator_traitsISY_E10value_typeET2_T3_PNSZ_IS14_E10value_typeET4_jRbjT5_S1A_jjP12ihipStream_tbEUljE_EEESV_SW_SX_S14_S18_S1A_T6_T7_T9_mT8_S1C_bDpT10_ENKUlT_T0_E_clISt17integral_constantIbLb0EES1O_IbLb1EEEEDaS1K_S1L_EUlS1K_E_NS1_11comp_targetILNS1_3genE4ELNS1_11target_archE910ELNS1_3gpuE8ELNS1_3repE0EEENS1_30default_config_static_selectorELNS0_4arch9wavefront6targetE0EEEvSY_,comdat
	.globl	_ZN7rocprim17ROCPRIM_400000_NS6detail17trampoline_kernelINS0_13select_configILj256ELj13ELNS0_17block_load_methodE3ELS4_3ELS4_3ELNS0_20block_scan_algorithmE0ELj4294967295EEENS1_25partition_config_selectorILNS1_17partition_subalgoE3EjNS0_10empty_typeEbEEZZNS1_14partition_implILS8_3ELb0ES6_jNS0_17counting_iteratorIjlEEPS9_SE_NS0_5tupleIJPjSE_EEENSF_IJSE_SE_EEES9_SG_JZNS1_25segmented_radix_sort_implINS0_14default_configELb0EPKhPhPKlPlN2at6native12_GLOBAL__N_18offset_tEEE10hipError_tPvRmT1_PNSt15iterator_traitsISY_E10value_typeET2_T3_PNSZ_IS14_E10value_typeET4_jRbjT5_S1A_jjP12ihipStream_tbEUljE_EEESV_SW_SX_S14_S18_S1A_T6_T7_T9_mT8_S1C_bDpT10_ENKUlT_T0_E_clISt17integral_constantIbLb0EES1O_IbLb1EEEEDaS1K_S1L_EUlS1K_E_NS1_11comp_targetILNS1_3genE4ELNS1_11target_archE910ELNS1_3gpuE8ELNS1_3repE0EEENS1_30default_config_static_selectorELNS0_4arch9wavefront6targetE0EEEvSY_ ; -- Begin function _ZN7rocprim17ROCPRIM_400000_NS6detail17trampoline_kernelINS0_13select_configILj256ELj13ELNS0_17block_load_methodE3ELS4_3ELS4_3ELNS0_20block_scan_algorithmE0ELj4294967295EEENS1_25partition_config_selectorILNS1_17partition_subalgoE3EjNS0_10empty_typeEbEEZZNS1_14partition_implILS8_3ELb0ES6_jNS0_17counting_iteratorIjlEEPS9_SE_NS0_5tupleIJPjSE_EEENSF_IJSE_SE_EEES9_SG_JZNS1_25segmented_radix_sort_implINS0_14default_configELb0EPKhPhPKlPlN2at6native12_GLOBAL__N_18offset_tEEE10hipError_tPvRmT1_PNSt15iterator_traitsISY_E10value_typeET2_T3_PNSZ_IS14_E10value_typeET4_jRbjT5_S1A_jjP12ihipStream_tbEUljE_EEESV_SW_SX_S14_S18_S1A_T6_T7_T9_mT8_S1C_bDpT10_ENKUlT_T0_E_clISt17integral_constantIbLb0EES1O_IbLb1EEEEDaS1K_S1L_EUlS1K_E_NS1_11comp_targetILNS1_3genE4ELNS1_11target_archE910ELNS1_3gpuE8ELNS1_3repE0EEENS1_30default_config_static_selectorELNS0_4arch9wavefront6targetE0EEEvSY_
	.p2align	8
	.type	_ZN7rocprim17ROCPRIM_400000_NS6detail17trampoline_kernelINS0_13select_configILj256ELj13ELNS0_17block_load_methodE3ELS4_3ELS4_3ELNS0_20block_scan_algorithmE0ELj4294967295EEENS1_25partition_config_selectorILNS1_17partition_subalgoE3EjNS0_10empty_typeEbEEZZNS1_14partition_implILS8_3ELb0ES6_jNS0_17counting_iteratorIjlEEPS9_SE_NS0_5tupleIJPjSE_EEENSF_IJSE_SE_EEES9_SG_JZNS1_25segmented_radix_sort_implINS0_14default_configELb0EPKhPhPKlPlN2at6native12_GLOBAL__N_18offset_tEEE10hipError_tPvRmT1_PNSt15iterator_traitsISY_E10value_typeET2_T3_PNSZ_IS14_E10value_typeET4_jRbjT5_S1A_jjP12ihipStream_tbEUljE_EEESV_SW_SX_S14_S18_S1A_T6_T7_T9_mT8_S1C_bDpT10_ENKUlT_T0_E_clISt17integral_constantIbLb0EES1O_IbLb1EEEEDaS1K_S1L_EUlS1K_E_NS1_11comp_targetILNS1_3genE4ELNS1_11target_archE910ELNS1_3gpuE8ELNS1_3repE0EEENS1_30default_config_static_selectorELNS0_4arch9wavefront6targetE0EEEvSY_,@function
_ZN7rocprim17ROCPRIM_400000_NS6detail17trampoline_kernelINS0_13select_configILj256ELj13ELNS0_17block_load_methodE3ELS4_3ELS4_3ELNS0_20block_scan_algorithmE0ELj4294967295EEENS1_25partition_config_selectorILNS1_17partition_subalgoE3EjNS0_10empty_typeEbEEZZNS1_14partition_implILS8_3ELb0ES6_jNS0_17counting_iteratorIjlEEPS9_SE_NS0_5tupleIJPjSE_EEENSF_IJSE_SE_EEES9_SG_JZNS1_25segmented_radix_sort_implINS0_14default_configELb0EPKhPhPKlPlN2at6native12_GLOBAL__N_18offset_tEEE10hipError_tPvRmT1_PNSt15iterator_traitsISY_E10value_typeET2_T3_PNSZ_IS14_E10value_typeET4_jRbjT5_S1A_jjP12ihipStream_tbEUljE_EEESV_SW_SX_S14_S18_S1A_T6_T7_T9_mT8_S1C_bDpT10_ENKUlT_T0_E_clISt17integral_constantIbLb0EES1O_IbLb1EEEEDaS1K_S1L_EUlS1K_E_NS1_11comp_targetILNS1_3genE4ELNS1_11target_archE910ELNS1_3gpuE8ELNS1_3repE0EEENS1_30default_config_static_selectorELNS0_4arch9wavefront6targetE0EEEvSY_: ; @_ZN7rocprim17ROCPRIM_400000_NS6detail17trampoline_kernelINS0_13select_configILj256ELj13ELNS0_17block_load_methodE3ELS4_3ELS4_3ELNS0_20block_scan_algorithmE0ELj4294967295EEENS1_25partition_config_selectorILNS1_17partition_subalgoE3EjNS0_10empty_typeEbEEZZNS1_14partition_implILS8_3ELb0ES6_jNS0_17counting_iteratorIjlEEPS9_SE_NS0_5tupleIJPjSE_EEENSF_IJSE_SE_EEES9_SG_JZNS1_25segmented_radix_sort_implINS0_14default_configELb0EPKhPhPKlPlN2at6native12_GLOBAL__N_18offset_tEEE10hipError_tPvRmT1_PNSt15iterator_traitsISY_E10value_typeET2_T3_PNSZ_IS14_E10value_typeET4_jRbjT5_S1A_jjP12ihipStream_tbEUljE_EEESV_SW_SX_S14_S18_S1A_T6_T7_T9_mT8_S1C_bDpT10_ENKUlT_T0_E_clISt17integral_constantIbLb0EES1O_IbLb1EEEEDaS1K_S1L_EUlS1K_E_NS1_11comp_targetILNS1_3genE4ELNS1_11target_archE910ELNS1_3gpuE8ELNS1_3repE0EEENS1_30default_config_static_selectorELNS0_4arch9wavefront6targetE0EEEvSY_
; %bb.0:
	.section	.rodata,"a",@progbits
	.p2align	6, 0x0
	.amdhsa_kernel _ZN7rocprim17ROCPRIM_400000_NS6detail17trampoline_kernelINS0_13select_configILj256ELj13ELNS0_17block_load_methodE3ELS4_3ELS4_3ELNS0_20block_scan_algorithmE0ELj4294967295EEENS1_25partition_config_selectorILNS1_17partition_subalgoE3EjNS0_10empty_typeEbEEZZNS1_14partition_implILS8_3ELb0ES6_jNS0_17counting_iteratorIjlEEPS9_SE_NS0_5tupleIJPjSE_EEENSF_IJSE_SE_EEES9_SG_JZNS1_25segmented_radix_sort_implINS0_14default_configELb0EPKhPhPKlPlN2at6native12_GLOBAL__N_18offset_tEEE10hipError_tPvRmT1_PNSt15iterator_traitsISY_E10value_typeET2_T3_PNSZ_IS14_E10value_typeET4_jRbjT5_S1A_jjP12ihipStream_tbEUljE_EEESV_SW_SX_S14_S18_S1A_T6_T7_T9_mT8_S1C_bDpT10_ENKUlT_T0_E_clISt17integral_constantIbLb0EES1O_IbLb1EEEEDaS1K_S1L_EUlS1K_E_NS1_11comp_targetILNS1_3genE4ELNS1_11target_archE910ELNS1_3gpuE8ELNS1_3repE0EEENS1_30default_config_static_selectorELNS0_4arch9wavefront6targetE0EEEvSY_
		.amdhsa_group_segment_fixed_size 0
		.amdhsa_private_segment_fixed_size 0
		.amdhsa_kernarg_size 152
		.amdhsa_user_sgpr_count 6
		.amdhsa_user_sgpr_private_segment_buffer 1
		.amdhsa_user_sgpr_dispatch_ptr 0
		.amdhsa_user_sgpr_queue_ptr 0
		.amdhsa_user_sgpr_kernarg_segment_ptr 1
		.amdhsa_user_sgpr_dispatch_id 0
		.amdhsa_user_sgpr_flat_scratch_init 0
		.amdhsa_user_sgpr_private_segment_size 0
		.amdhsa_wavefront_size32 1
		.amdhsa_uses_dynamic_stack 0
		.amdhsa_system_sgpr_private_segment_wavefront_offset 0
		.amdhsa_system_sgpr_workgroup_id_x 1
		.amdhsa_system_sgpr_workgroup_id_y 0
		.amdhsa_system_sgpr_workgroup_id_z 0
		.amdhsa_system_sgpr_workgroup_info 0
		.amdhsa_system_vgpr_workitem_id 0
		.amdhsa_next_free_vgpr 1
		.amdhsa_next_free_sgpr 1
		.amdhsa_reserve_vcc 0
		.amdhsa_reserve_flat_scratch 0
		.amdhsa_float_round_mode_32 0
		.amdhsa_float_round_mode_16_64 0
		.amdhsa_float_denorm_mode_32 3
		.amdhsa_float_denorm_mode_16_64 3
		.amdhsa_dx10_clamp 1
		.amdhsa_ieee_mode 1
		.amdhsa_fp16_overflow 0
		.amdhsa_workgroup_processor_mode 1
		.amdhsa_memory_ordered 1
		.amdhsa_forward_progress 1
		.amdhsa_shared_vgpr_count 0
		.amdhsa_exception_fp_ieee_invalid_op 0
		.amdhsa_exception_fp_denorm_src 0
		.amdhsa_exception_fp_ieee_div_zero 0
		.amdhsa_exception_fp_ieee_overflow 0
		.amdhsa_exception_fp_ieee_underflow 0
		.amdhsa_exception_fp_ieee_inexact 0
		.amdhsa_exception_int_div_zero 0
	.end_amdhsa_kernel
	.section	.text._ZN7rocprim17ROCPRIM_400000_NS6detail17trampoline_kernelINS0_13select_configILj256ELj13ELNS0_17block_load_methodE3ELS4_3ELS4_3ELNS0_20block_scan_algorithmE0ELj4294967295EEENS1_25partition_config_selectorILNS1_17partition_subalgoE3EjNS0_10empty_typeEbEEZZNS1_14partition_implILS8_3ELb0ES6_jNS0_17counting_iteratorIjlEEPS9_SE_NS0_5tupleIJPjSE_EEENSF_IJSE_SE_EEES9_SG_JZNS1_25segmented_radix_sort_implINS0_14default_configELb0EPKhPhPKlPlN2at6native12_GLOBAL__N_18offset_tEEE10hipError_tPvRmT1_PNSt15iterator_traitsISY_E10value_typeET2_T3_PNSZ_IS14_E10value_typeET4_jRbjT5_S1A_jjP12ihipStream_tbEUljE_EEESV_SW_SX_S14_S18_S1A_T6_T7_T9_mT8_S1C_bDpT10_ENKUlT_T0_E_clISt17integral_constantIbLb0EES1O_IbLb1EEEEDaS1K_S1L_EUlS1K_E_NS1_11comp_targetILNS1_3genE4ELNS1_11target_archE910ELNS1_3gpuE8ELNS1_3repE0EEENS1_30default_config_static_selectorELNS0_4arch9wavefront6targetE0EEEvSY_,"axG",@progbits,_ZN7rocprim17ROCPRIM_400000_NS6detail17trampoline_kernelINS0_13select_configILj256ELj13ELNS0_17block_load_methodE3ELS4_3ELS4_3ELNS0_20block_scan_algorithmE0ELj4294967295EEENS1_25partition_config_selectorILNS1_17partition_subalgoE3EjNS0_10empty_typeEbEEZZNS1_14partition_implILS8_3ELb0ES6_jNS0_17counting_iteratorIjlEEPS9_SE_NS0_5tupleIJPjSE_EEENSF_IJSE_SE_EEES9_SG_JZNS1_25segmented_radix_sort_implINS0_14default_configELb0EPKhPhPKlPlN2at6native12_GLOBAL__N_18offset_tEEE10hipError_tPvRmT1_PNSt15iterator_traitsISY_E10value_typeET2_T3_PNSZ_IS14_E10value_typeET4_jRbjT5_S1A_jjP12ihipStream_tbEUljE_EEESV_SW_SX_S14_S18_S1A_T6_T7_T9_mT8_S1C_bDpT10_ENKUlT_T0_E_clISt17integral_constantIbLb0EES1O_IbLb1EEEEDaS1K_S1L_EUlS1K_E_NS1_11comp_targetILNS1_3genE4ELNS1_11target_archE910ELNS1_3gpuE8ELNS1_3repE0EEENS1_30default_config_static_selectorELNS0_4arch9wavefront6targetE0EEEvSY_,comdat
.Lfunc_end179:
	.size	_ZN7rocprim17ROCPRIM_400000_NS6detail17trampoline_kernelINS0_13select_configILj256ELj13ELNS0_17block_load_methodE3ELS4_3ELS4_3ELNS0_20block_scan_algorithmE0ELj4294967295EEENS1_25partition_config_selectorILNS1_17partition_subalgoE3EjNS0_10empty_typeEbEEZZNS1_14partition_implILS8_3ELb0ES6_jNS0_17counting_iteratorIjlEEPS9_SE_NS0_5tupleIJPjSE_EEENSF_IJSE_SE_EEES9_SG_JZNS1_25segmented_radix_sort_implINS0_14default_configELb0EPKhPhPKlPlN2at6native12_GLOBAL__N_18offset_tEEE10hipError_tPvRmT1_PNSt15iterator_traitsISY_E10value_typeET2_T3_PNSZ_IS14_E10value_typeET4_jRbjT5_S1A_jjP12ihipStream_tbEUljE_EEESV_SW_SX_S14_S18_S1A_T6_T7_T9_mT8_S1C_bDpT10_ENKUlT_T0_E_clISt17integral_constantIbLb0EES1O_IbLb1EEEEDaS1K_S1L_EUlS1K_E_NS1_11comp_targetILNS1_3genE4ELNS1_11target_archE910ELNS1_3gpuE8ELNS1_3repE0EEENS1_30default_config_static_selectorELNS0_4arch9wavefront6targetE0EEEvSY_, .Lfunc_end179-_ZN7rocprim17ROCPRIM_400000_NS6detail17trampoline_kernelINS0_13select_configILj256ELj13ELNS0_17block_load_methodE3ELS4_3ELS4_3ELNS0_20block_scan_algorithmE0ELj4294967295EEENS1_25partition_config_selectorILNS1_17partition_subalgoE3EjNS0_10empty_typeEbEEZZNS1_14partition_implILS8_3ELb0ES6_jNS0_17counting_iteratorIjlEEPS9_SE_NS0_5tupleIJPjSE_EEENSF_IJSE_SE_EEES9_SG_JZNS1_25segmented_radix_sort_implINS0_14default_configELb0EPKhPhPKlPlN2at6native12_GLOBAL__N_18offset_tEEE10hipError_tPvRmT1_PNSt15iterator_traitsISY_E10value_typeET2_T3_PNSZ_IS14_E10value_typeET4_jRbjT5_S1A_jjP12ihipStream_tbEUljE_EEESV_SW_SX_S14_S18_S1A_T6_T7_T9_mT8_S1C_bDpT10_ENKUlT_T0_E_clISt17integral_constantIbLb0EES1O_IbLb1EEEEDaS1K_S1L_EUlS1K_E_NS1_11comp_targetILNS1_3genE4ELNS1_11target_archE910ELNS1_3gpuE8ELNS1_3repE0EEENS1_30default_config_static_selectorELNS0_4arch9wavefront6targetE0EEEvSY_
                                        ; -- End function
	.set _ZN7rocprim17ROCPRIM_400000_NS6detail17trampoline_kernelINS0_13select_configILj256ELj13ELNS0_17block_load_methodE3ELS4_3ELS4_3ELNS0_20block_scan_algorithmE0ELj4294967295EEENS1_25partition_config_selectorILNS1_17partition_subalgoE3EjNS0_10empty_typeEbEEZZNS1_14partition_implILS8_3ELb0ES6_jNS0_17counting_iteratorIjlEEPS9_SE_NS0_5tupleIJPjSE_EEENSF_IJSE_SE_EEES9_SG_JZNS1_25segmented_radix_sort_implINS0_14default_configELb0EPKhPhPKlPlN2at6native12_GLOBAL__N_18offset_tEEE10hipError_tPvRmT1_PNSt15iterator_traitsISY_E10value_typeET2_T3_PNSZ_IS14_E10value_typeET4_jRbjT5_S1A_jjP12ihipStream_tbEUljE_EEESV_SW_SX_S14_S18_S1A_T6_T7_T9_mT8_S1C_bDpT10_ENKUlT_T0_E_clISt17integral_constantIbLb0EES1O_IbLb1EEEEDaS1K_S1L_EUlS1K_E_NS1_11comp_targetILNS1_3genE4ELNS1_11target_archE910ELNS1_3gpuE8ELNS1_3repE0EEENS1_30default_config_static_selectorELNS0_4arch9wavefront6targetE0EEEvSY_.num_vgpr, 0
	.set _ZN7rocprim17ROCPRIM_400000_NS6detail17trampoline_kernelINS0_13select_configILj256ELj13ELNS0_17block_load_methodE3ELS4_3ELS4_3ELNS0_20block_scan_algorithmE0ELj4294967295EEENS1_25partition_config_selectorILNS1_17partition_subalgoE3EjNS0_10empty_typeEbEEZZNS1_14partition_implILS8_3ELb0ES6_jNS0_17counting_iteratorIjlEEPS9_SE_NS0_5tupleIJPjSE_EEENSF_IJSE_SE_EEES9_SG_JZNS1_25segmented_radix_sort_implINS0_14default_configELb0EPKhPhPKlPlN2at6native12_GLOBAL__N_18offset_tEEE10hipError_tPvRmT1_PNSt15iterator_traitsISY_E10value_typeET2_T3_PNSZ_IS14_E10value_typeET4_jRbjT5_S1A_jjP12ihipStream_tbEUljE_EEESV_SW_SX_S14_S18_S1A_T6_T7_T9_mT8_S1C_bDpT10_ENKUlT_T0_E_clISt17integral_constantIbLb0EES1O_IbLb1EEEEDaS1K_S1L_EUlS1K_E_NS1_11comp_targetILNS1_3genE4ELNS1_11target_archE910ELNS1_3gpuE8ELNS1_3repE0EEENS1_30default_config_static_selectorELNS0_4arch9wavefront6targetE0EEEvSY_.num_agpr, 0
	.set _ZN7rocprim17ROCPRIM_400000_NS6detail17trampoline_kernelINS0_13select_configILj256ELj13ELNS0_17block_load_methodE3ELS4_3ELS4_3ELNS0_20block_scan_algorithmE0ELj4294967295EEENS1_25partition_config_selectorILNS1_17partition_subalgoE3EjNS0_10empty_typeEbEEZZNS1_14partition_implILS8_3ELb0ES6_jNS0_17counting_iteratorIjlEEPS9_SE_NS0_5tupleIJPjSE_EEENSF_IJSE_SE_EEES9_SG_JZNS1_25segmented_radix_sort_implINS0_14default_configELb0EPKhPhPKlPlN2at6native12_GLOBAL__N_18offset_tEEE10hipError_tPvRmT1_PNSt15iterator_traitsISY_E10value_typeET2_T3_PNSZ_IS14_E10value_typeET4_jRbjT5_S1A_jjP12ihipStream_tbEUljE_EEESV_SW_SX_S14_S18_S1A_T6_T7_T9_mT8_S1C_bDpT10_ENKUlT_T0_E_clISt17integral_constantIbLb0EES1O_IbLb1EEEEDaS1K_S1L_EUlS1K_E_NS1_11comp_targetILNS1_3genE4ELNS1_11target_archE910ELNS1_3gpuE8ELNS1_3repE0EEENS1_30default_config_static_selectorELNS0_4arch9wavefront6targetE0EEEvSY_.numbered_sgpr, 0
	.set _ZN7rocprim17ROCPRIM_400000_NS6detail17trampoline_kernelINS0_13select_configILj256ELj13ELNS0_17block_load_methodE3ELS4_3ELS4_3ELNS0_20block_scan_algorithmE0ELj4294967295EEENS1_25partition_config_selectorILNS1_17partition_subalgoE3EjNS0_10empty_typeEbEEZZNS1_14partition_implILS8_3ELb0ES6_jNS0_17counting_iteratorIjlEEPS9_SE_NS0_5tupleIJPjSE_EEENSF_IJSE_SE_EEES9_SG_JZNS1_25segmented_radix_sort_implINS0_14default_configELb0EPKhPhPKlPlN2at6native12_GLOBAL__N_18offset_tEEE10hipError_tPvRmT1_PNSt15iterator_traitsISY_E10value_typeET2_T3_PNSZ_IS14_E10value_typeET4_jRbjT5_S1A_jjP12ihipStream_tbEUljE_EEESV_SW_SX_S14_S18_S1A_T6_T7_T9_mT8_S1C_bDpT10_ENKUlT_T0_E_clISt17integral_constantIbLb0EES1O_IbLb1EEEEDaS1K_S1L_EUlS1K_E_NS1_11comp_targetILNS1_3genE4ELNS1_11target_archE910ELNS1_3gpuE8ELNS1_3repE0EEENS1_30default_config_static_selectorELNS0_4arch9wavefront6targetE0EEEvSY_.num_named_barrier, 0
	.set _ZN7rocprim17ROCPRIM_400000_NS6detail17trampoline_kernelINS0_13select_configILj256ELj13ELNS0_17block_load_methodE3ELS4_3ELS4_3ELNS0_20block_scan_algorithmE0ELj4294967295EEENS1_25partition_config_selectorILNS1_17partition_subalgoE3EjNS0_10empty_typeEbEEZZNS1_14partition_implILS8_3ELb0ES6_jNS0_17counting_iteratorIjlEEPS9_SE_NS0_5tupleIJPjSE_EEENSF_IJSE_SE_EEES9_SG_JZNS1_25segmented_radix_sort_implINS0_14default_configELb0EPKhPhPKlPlN2at6native12_GLOBAL__N_18offset_tEEE10hipError_tPvRmT1_PNSt15iterator_traitsISY_E10value_typeET2_T3_PNSZ_IS14_E10value_typeET4_jRbjT5_S1A_jjP12ihipStream_tbEUljE_EEESV_SW_SX_S14_S18_S1A_T6_T7_T9_mT8_S1C_bDpT10_ENKUlT_T0_E_clISt17integral_constantIbLb0EES1O_IbLb1EEEEDaS1K_S1L_EUlS1K_E_NS1_11comp_targetILNS1_3genE4ELNS1_11target_archE910ELNS1_3gpuE8ELNS1_3repE0EEENS1_30default_config_static_selectorELNS0_4arch9wavefront6targetE0EEEvSY_.private_seg_size, 0
	.set _ZN7rocprim17ROCPRIM_400000_NS6detail17trampoline_kernelINS0_13select_configILj256ELj13ELNS0_17block_load_methodE3ELS4_3ELS4_3ELNS0_20block_scan_algorithmE0ELj4294967295EEENS1_25partition_config_selectorILNS1_17partition_subalgoE3EjNS0_10empty_typeEbEEZZNS1_14partition_implILS8_3ELb0ES6_jNS0_17counting_iteratorIjlEEPS9_SE_NS0_5tupleIJPjSE_EEENSF_IJSE_SE_EEES9_SG_JZNS1_25segmented_radix_sort_implINS0_14default_configELb0EPKhPhPKlPlN2at6native12_GLOBAL__N_18offset_tEEE10hipError_tPvRmT1_PNSt15iterator_traitsISY_E10value_typeET2_T3_PNSZ_IS14_E10value_typeET4_jRbjT5_S1A_jjP12ihipStream_tbEUljE_EEESV_SW_SX_S14_S18_S1A_T6_T7_T9_mT8_S1C_bDpT10_ENKUlT_T0_E_clISt17integral_constantIbLb0EES1O_IbLb1EEEEDaS1K_S1L_EUlS1K_E_NS1_11comp_targetILNS1_3genE4ELNS1_11target_archE910ELNS1_3gpuE8ELNS1_3repE0EEENS1_30default_config_static_selectorELNS0_4arch9wavefront6targetE0EEEvSY_.uses_vcc, 0
	.set _ZN7rocprim17ROCPRIM_400000_NS6detail17trampoline_kernelINS0_13select_configILj256ELj13ELNS0_17block_load_methodE3ELS4_3ELS4_3ELNS0_20block_scan_algorithmE0ELj4294967295EEENS1_25partition_config_selectorILNS1_17partition_subalgoE3EjNS0_10empty_typeEbEEZZNS1_14partition_implILS8_3ELb0ES6_jNS0_17counting_iteratorIjlEEPS9_SE_NS0_5tupleIJPjSE_EEENSF_IJSE_SE_EEES9_SG_JZNS1_25segmented_radix_sort_implINS0_14default_configELb0EPKhPhPKlPlN2at6native12_GLOBAL__N_18offset_tEEE10hipError_tPvRmT1_PNSt15iterator_traitsISY_E10value_typeET2_T3_PNSZ_IS14_E10value_typeET4_jRbjT5_S1A_jjP12ihipStream_tbEUljE_EEESV_SW_SX_S14_S18_S1A_T6_T7_T9_mT8_S1C_bDpT10_ENKUlT_T0_E_clISt17integral_constantIbLb0EES1O_IbLb1EEEEDaS1K_S1L_EUlS1K_E_NS1_11comp_targetILNS1_3genE4ELNS1_11target_archE910ELNS1_3gpuE8ELNS1_3repE0EEENS1_30default_config_static_selectorELNS0_4arch9wavefront6targetE0EEEvSY_.uses_flat_scratch, 0
	.set _ZN7rocprim17ROCPRIM_400000_NS6detail17trampoline_kernelINS0_13select_configILj256ELj13ELNS0_17block_load_methodE3ELS4_3ELS4_3ELNS0_20block_scan_algorithmE0ELj4294967295EEENS1_25partition_config_selectorILNS1_17partition_subalgoE3EjNS0_10empty_typeEbEEZZNS1_14partition_implILS8_3ELb0ES6_jNS0_17counting_iteratorIjlEEPS9_SE_NS0_5tupleIJPjSE_EEENSF_IJSE_SE_EEES9_SG_JZNS1_25segmented_radix_sort_implINS0_14default_configELb0EPKhPhPKlPlN2at6native12_GLOBAL__N_18offset_tEEE10hipError_tPvRmT1_PNSt15iterator_traitsISY_E10value_typeET2_T3_PNSZ_IS14_E10value_typeET4_jRbjT5_S1A_jjP12ihipStream_tbEUljE_EEESV_SW_SX_S14_S18_S1A_T6_T7_T9_mT8_S1C_bDpT10_ENKUlT_T0_E_clISt17integral_constantIbLb0EES1O_IbLb1EEEEDaS1K_S1L_EUlS1K_E_NS1_11comp_targetILNS1_3genE4ELNS1_11target_archE910ELNS1_3gpuE8ELNS1_3repE0EEENS1_30default_config_static_selectorELNS0_4arch9wavefront6targetE0EEEvSY_.has_dyn_sized_stack, 0
	.set _ZN7rocprim17ROCPRIM_400000_NS6detail17trampoline_kernelINS0_13select_configILj256ELj13ELNS0_17block_load_methodE3ELS4_3ELS4_3ELNS0_20block_scan_algorithmE0ELj4294967295EEENS1_25partition_config_selectorILNS1_17partition_subalgoE3EjNS0_10empty_typeEbEEZZNS1_14partition_implILS8_3ELb0ES6_jNS0_17counting_iteratorIjlEEPS9_SE_NS0_5tupleIJPjSE_EEENSF_IJSE_SE_EEES9_SG_JZNS1_25segmented_radix_sort_implINS0_14default_configELb0EPKhPhPKlPlN2at6native12_GLOBAL__N_18offset_tEEE10hipError_tPvRmT1_PNSt15iterator_traitsISY_E10value_typeET2_T3_PNSZ_IS14_E10value_typeET4_jRbjT5_S1A_jjP12ihipStream_tbEUljE_EEESV_SW_SX_S14_S18_S1A_T6_T7_T9_mT8_S1C_bDpT10_ENKUlT_T0_E_clISt17integral_constantIbLb0EES1O_IbLb1EEEEDaS1K_S1L_EUlS1K_E_NS1_11comp_targetILNS1_3genE4ELNS1_11target_archE910ELNS1_3gpuE8ELNS1_3repE0EEENS1_30default_config_static_selectorELNS0_4arch9wavefront6targetE0EEEvSY_.has_recursion, 0
	.set _ZN7rocprim17ROCPRIM_400000_NS6detail17trampoline_kernelINS0_13select_configILj256ELj13ELNS0_17block_load_methodE3ELS4_3ELS4_3ELNS0_20block_scan_algorithmE0ELj4294967295EEENS1_25partition_config_selectorILNS1_17partition_subalgoE3EjNS0_10empty_typeEbEEZZNS1_14partition_implILS8_3ELb0ES6_jNS0_17counting_iteratorIjlEEPS9_SE_NS0_5tupleIJPjSE_EEENSF_IJSE_SE_EEES9_SG_JZNS1_25segmented_radix_sort_implINS0_14default_configELb0EPKhPhPKlPlN2at6native12_GLOBAL__N_18offset_tEEE10hipError_tPvRmT1_PNSt15iterator_traitsISY_E10value_typeET2_T3_PNSZ_IS14_E10value_typeET4_jRbjT5_S1A_jjP12ihipStream_tbEUljE_EEESV_SW_SX_S14_S18_S1A_T6_T7_T9_mT8_S1C_bDpT10_ENKUlT_T0_E_clISt17integral_constantIbLb0EES1O_IbLb1EEEEDaS1K_S1L_EUlS1K_E_NS1_11comp_targetILNS1_3genE4ELNS1_11target_archE910ELNS1_3gpuE8ELNS1_3repE0EEENS1_30default_config_static_selectorELNS0_4arch9wavefront6targetE0EEEvSY_.has_indirect_call, 0
	.section	.AMDGPU.csdata,"",@progbits
; Kernel info:
; codeLenInByte = 0
; TotalNumSgprs: 0
; NumVgprs: 0
; ScratchSize: 0
; MemoryBound: 0
; FloatMode: 240
; IeeeMode: 1
; LDSByteSize: 0 bytes/workgroup (compile time only)
; SGPRBlocks: 0
; VGPRBlocks: 0
; NumSGPRsForWavesPerEU: 1
; NumVGPRsForWavesPerEU: 1
; Occupancy: 16
; WaveLimiterHint : 0
; COMPUTE_PGM_RSRC2:SCRATCH_EN: 0
; COMPUTE_PGM_RSRC2:USER_SGPR: 6
; COMPUTE_PGM_RSRC2:TRAP_HANDLER: 0
; COMPUTE_PGM_RSRC2:TGID_X_EN: 1
; COMPUTE_PGM_RSRC2:TGID_Y_EN: 0
; COMPUTE_PGM_RSRC2:TGID_Z_EN: 0
; COMPUTE_PGM_RSRC2:TIDIG_COMP_CNT: 0
	.section	.text._ZN7rocprim17ROCPRIM_400000_NS6detail17trampoline_kernelINS0_13select_configILj256ELj13ELNS0_17block_load_methodE3ELS4_3ELS4_3ELNS0_20block_scan_algorithmE0ELj4294967295EEENS1_25partition_config_selectorILNS1_17partition_subalgoE3EjNS0_10empty_typeEbEEZZNS1_14partition_implILS8_3ELb0ES6_jNS0_17counting_iteratorIjlEEPS9_SE_NS0_5tupleIJPjSE_EEENSF_IJSE_SE_EEES9_SG_JZNS1_25segmented_radix_sort_implINS0_14default_configELb0EPKhPhPKlPlN2at6native12_GLOBAL__N_18offset_tEEE10hipError_tPvRmT1_PNSt15iterator_traitsISY_E10value_typeET2_T3_PNSZ_IS14_E10value_typeET4_jRbjT5_S1A_jjP12ihipStream_tbEUljE_EEESV_SW_SX_S14_S18_S1A_T6_T7_T9_mT8_S1C_bDpT10_ENKUlT_T0_E_clISt17integral_constantIbLb0EES1O_IbLb1EEEEDaS1K_S1L_EUlS1K_E_NS1_11comp_targetILNS1_3genE3ELNS1_11target_archE908ELNS1_3gpuE7ELNS1_3repE0EEENS1_30default_config_static_selectorELNS0_4arch9wavefront6targetE0EEEvSY_,"axG",@progbits,_ZN7rocprim17ROCPRIM_400000_NS6detail17trampoline_kernelINS0_13select_configILj256ELj13ELNS0_17block_load_methodE3ELS4_3ELS4_3ELNS0_20block_scan_algorithmE0ELj4294967295EEENS1_25partition_config_selectorILNS1_17partition_subalgoE3EjNS0_10empty_typeEbEEZZNS1_14partition_implILS8_3ELb0ES6_jNS0_17counting_iteratorIjlEEPS9_SE_NS0_5tupleIJPjSE_EEENSF_IJSE_SE_EEES9_SG_JZNS1_25segmented_radix_sort_implINS0_14default_configELb0EPKhPhPKlPlN2at6native12_GLOBAL__N_18offset_tEEE10hipError_tPvRmT1_PNSt15iterator_traitsISY_E10value_typeET2_T3_PNSZ_IS14_E10value_typeET4_jRbjT5_S1A_jjP12ihipStream_tbEUljE_EEESV_SW_SX_S14_S18_S1A_T6_T7_T9_mT8_S1C_bDpT10_ENKUlT_T0_E_clISt17integral_constantIbLb0EES1O_IbLb1EEEEDaS1K_S1L_EUlS1K_E_NS1_11comp_targetILNS1_3genE3ELNS1_11target_archE908ELNS1_3gpuE7ELNS1_3repE0EEENS1_30default_config_static_selectorELNS0_4arch9wavefront6targetE0EEEvSY_,comdat
	.globl	_ZN7rocprim17ROCPRIM_400000_NS6detail17trampoline_kernelINS0_13select_configILj256ELj13ELNS0_17block_load_methodE3ELS4_3ELS4_3ELNS0_20block_scan_algorithmE0ELj4294967295EEENS1_25partition_config_selectorILNS1_17partition_subalgoE3EjNS0_10empty_typeEbEEZZNS1_14partition_implILS8_3ELb0ES6_jNS0_17counting_iteratorIjlEEPS9_SE_NS0_5tupleIJPjSE_EEENSF_IJSE_SE_EEES9_SG_JZNS1_25segmented_radix_sort_implINS0_14default_configELb0EPKhPhPKlPlN2at6native12_GLOBAL__N_18offset_tEEE10hipError_tPvRmT1_PNSt15iterator_traitsISY_E10value_typeET2_T3_PNSZ_IS14_E10value_typeET4_jRbjT5_S1A_jjP12ihipStream_tbEUljE_EEESV_SW_SX_S14_S18_S1A_T6_T7_T9_mT8_S1C_bDpT10_ENKUlT_T0_E_clISt17integral_constantIbLb0EES1O_IbLb1EEEEDaS1K_S1L_EUlS1K_E_NS1_11comp_targetILNS1_3genE3ELNS1_11target_archE908ELNS1_3gpuE7ELNS1_3repE0EEENS1_30default_config_static_selectorELNS0_4arch9wavefront6targetE0EEEvSY_ ; -- Begin function _ZN7rocprim17ROCPRIM_400000_NS6detail17trampoline_kernelINS0_13select_configILj256ELj13ELNS0_17block_load_methodE3ELS4_3ELS4_3ELNS0_20block_scan_algorithmE0ELj4294967295EEENS1_25partition_config_selectorILNS1_17partition_subalgoE3EjNS0_10empty_typeEbEEZZNS1_14partition_implILS8_3ELb0ES6_jNS0_17counting_iteratorIjlEEPS9_SE_NS0_5tupleIJPjSE_EEENSF_IJSE_SE_EEES9_SG_JZNS1_25segmented_radix_sort_implINS0_14default_configELb0EPKhPhPKlPlN2at6native12_GLOBAL__N_18offset_tEEE10hipError_tPvRmT1_PNSt15iterator_traitsISY_E10value_typeET2_T3_PNSZ_IS14_E10value_typeET4_jRbjT5_S1A_jjP12ihipStream_tbEUljE_EEESV_SW_SX_S14_S18_S1A_T6_T7_T9_mT8_S1C_bDpT10_ENKUlT_T0_E_clISt17integral_constantIbLb0EES1O_IbLb1EEEEDaS1K_S1L_EUlS1K_E_NS1_11comp_targetILNS1_3genE3ELNS1_11target_archE908ELNS1_3gpuE7ELNS1_3repE0EEENS1_30default_config_static_selectorELNS0_4arch9wavefront6targetE0EEEvSY_
	.p2align	8
	.type	_ZN7rocprim17ROCPRIM_400000_NS6detail17trampoline_kernelINS0_13select_configILj256ELj13ELNS0_17block_load_methodE3ELS4_3ELS4_3ELNS0_20block_scan_algorithmE0ELj4294967295EEENS1_25partition_config_selectorILNS1_17partition_subalgoE3EjNS0_10empty_typeEbEEZZNS1_14partition_implILS8_3ELb0ES6_jNS0_17counting_iteratorIjlEEPS9_SE_NS0_5tupleIJPjSE_EEENSF_IJSE_SE_EEES9_SG_JZNS1_25segmented_radix_sort_implINS0_14default_configELb0EPKhPhPKlPlN2at6native12_GLOBAL__N_18offset_tEEE10hipError_tPvRmT1_PNSt15iterator_traitsISY_E10value_typeET2_T3_PNSZ_IS14_E10value_typeET4_jRbjT5_S1A_jjP12ihipStream_tbEUljE_EEESV_SW_SX_S14_S18_S1A_T6_T7_T9_mT8_S1C_bDpT10_ENKUlT_T0_E_clISt17integral_constantIbLb0EES1O_IbLb1EEEEDaS1K_S1L_EUlS1K_E_NS1_11comp_targetILNS1_3genE3ELNS1_11target_archE908ELNS1_3gpuE7ELNS1_3repE0EEENS1_30default_config_static_selectorELNS0_4arch9wavefront6targetE0EEEvSY_,@function
_ZN7rocprim17ROCPRIM_400000_NS6detail17trampoline_kernelINS0_13select_configILj256ELj13ELNS0_17block_load_methodE3ELS4_3ELS4_3ELNS0_20block_scan_algorithmE0ELj4294967295EEENS1_25partition_config_selectorILNS1_17partition_subalgoE3EjNS0_10empty_typeEbEEZZNS1_14partition_implILS8_3ELb0ES6_jNS0_17counting_iteratorIjlEEPS9_SE_NS0_5tupleIJPjSE_EEENSF_IJSE_SE_EEES9_SG_JZNS1_25segmented_radix_sort_implINS0_14default_configELb0EPKhPhPKlPlN2at6native12_GLOBAL__N_18offset_tEEE10hipError_tPvRmT1_PNSt15iterator_traitsISY_E10value_typeET2_T3_PNSZ_IS14_E10value_typeET4_jRbjT5_S1A_jjP12ihipStream_tbEUljE_EEESV_SW_SX_S14_S18_S1A_T6_T7_T9_mT8_S1C_bDpT10_ENKUlT_T0_E_clISt17integral_constantIbLb0EES1O_IbLb1EEEEDaS1K_S1L_EUlS1K_E_NS1_11comp_targetILNS1_3genE3ELNS1_11target_archE908ELNS1_3gpuE7ELNS1_3repE0EEENS1_30default_config_static_selectorELNS0_4arch9wavefront6targetE0EEEvSY_: ; @_ZN7rocprim17ROCPRIM_400000_NS6detail17trampoline_kernelINS0_13select_configILj256ELj13ELNS0_17block_load_methodE3ELS4_3ELS4_3ELNS0_20block_scan_algorithmE0ELj4294967295EEENS1_25partition_config_selectorILNS1_17partition_subalgoE3EjNS0_10empty_typeEbEEZZNS1_14partition_implILS8_3ELb0ES6_jNS0_17counting_iteratorIjlEEPS9_SE_NS0_5tupleIJPjSE_EEENSF_IJSE_SE_EEES9_SG_JZNS1_25segmented_radix_sort_implINS0_14default_configELb0EPKhPhPKlPlN2at6native12_GLOBAL__N_18offset_tEEE10hipError_tPvRmT1_PNSt15iterator_traitsISY_E10value_typeET2_T3_PNSZ_IS14_E10value_typeET4_jRbjT5_S1A_jjP12ihipStream_tbEUljE_EEESV_SW_SX_S14_S18_S1A_T6_T7_T9_mT8_S1C_bDpT10_ENKUlT_T0_E_clISt17integral_constantIbLb0EES1O_IbLb1EEEEDaS1K_S1L_EUlS1K_E_NS1_11comp_targetILNS1_3genE3ELNS1_11target_archE908ELNS1_3gpuE7ELNS1_3repE0EEENS1_30default_config_static_selectorELNS0_4arch9wavefront6targetE0EEEvSY_
; %bb.0:
	.section	.rodata,"a",@progbits
	.p2align	6, 0x0
	.amdhsa_kernel _ZN7rocprim17ROCPRIM_400000_NS6detail17trampoline_kernelINS0_13select_configILj256ELj13ELNS0_17block_load_methodE3ELS4_3ELS4_3ELNS0_20block_scan_algorithmE0ELj4294967295EEENS1_25partition_config_selectorILNS1_17partition_subalgoE3EjNS0_10empty_typeEbEEZZNS1_14partition_implILS8_3ELb0ES6_jNS0_17counting_iteratorIjlEEPS9_SE_NS0_5tupleIJPjSE_EEENSF_IJSE_SE_EEES9_SG_JZNS1_25segmented_radix_sort_implINS0_14default_configELb0EPKhPhPKlPlN2at6native12_GLOBAL__N_18offset_tEEE10hipError_tPvRmT1_PNSt15iterator_traitsISY_E10value_typeET2_T3_PNSZ_IS14_E10value_typeET4_jRbjT5_S1A_jjP12ihipStream_tbEUljE_EEESV_SW_SX_S14_S18_S1A_T6_T7_T9_mT8_S1C_bDpT10_ENKUlT_T0_E_clISt17integral_constantIbLb0EES1O_IbLb1EEEEDaS1K_S1L_EUlS1K_E_NS1_11comp_targetILNS1_3genE3ELNS1_11target_archE908ELNS1_3gpuE7ELNS1_3repE0EEENS1_30default_config_static_selectorELNS0_4arch9wavefront6targetE0EEEvSY_
		.amdhsa_group_segment_fixed_size 0
		.amdhsa_private_segment_fixed_size 0
		.amdhsa_kernarg_size 152
		.amdhsa_user_sgpr_count 6
		.amdhsa_user_sgpr_private_segment_buffer 1
		.amdhsa_user_sgpr_dispatch_ptr 0
		.amdhsa_user_sgpr_queue_ptr 0
		.amdhsa_user_sgpr_kernarg_segment_ptr 1
		.amdhsa_user_sgpr_dispatch_id 0
		.amdhsa_user_sgpr_flat_scratch_init 0
		.amdhsa_user_sgpr_private_segment_size 0
		.amdhsa_wavefront_size32 1
		.amdhsa_uses_dynamic_stack 0
		.amdhsa_system_sgpr_private_segment_wavefront_offset 0
		.amdhsa_system_sgpr_workgroup_id_x 1
		.amdhsa_system_sgpr_workgroup_id_y 0
		.amdhsa_system_sgpr_workgroup_id_z 0
		.amdhsa_system_sgpr_workgroup_info 0
		.amdhsa_system_vgpr_workitem_id 0
		.amdhsa_next_free_vgpr 1
		.amdhsa_next_free_sgpr 1
		.amdhsa_reserve_vcc 0
		.amdhsa_reserve_flat_scratch 0
		.amdhsa_float_round_mode_32 0
		.amdhsa_float_round_mode_16_64 0
		.amdhsa_float_denorm_mode_32 3
		.amdhsa_float_denorm_mode_16_64 3
		.amdhsa_dx10_clamp 1
		.amdhsa_ieee_mode 1
		.amdhsa_fp16_overflow 0
		.amdhsa_workgroup_processor_mode 1
		.amdhsa_memory_ordered 1
		.amdhsa_forward_progress 1
		.amdhsa_shared_vgpr_count 0
		.amdhsa_exception_fp_ieee_invalid_op 0
		.amdhsa_exception_fp_denorm_src 0
		.amdhsa_exception_fp_ieee_div_zero 0
		.amdhsa_exception_fp_ieee_overflow 0
		.amdhsa_exception_fp_ieee_underflow 0
		.amdhsa_exception_fp_ieee_inexact 0
		.amdhsa_exception_int_div_zero 0
	.end_amdhsa_kernel
	.section	.text._ZN7rocprim17ROCPRIM_400000_NS6detail17trampoline_kernelINS0_13select_configILj256ELj13ELNS0_17block_load_methodE3ELS4_3ELS4_3ELNS0_20block_scan_algorithmE0ELj4294967295EEENS1_25partition_config_selectorILNS1_17partition_subalgoE3EjNS0_10empty_typeEbEEZZNS1_14partition_implILS8_3ELb0ES6_jNS0_17counting_iteratorIjlEEPS9_SE_NS0_5tupleIJPjSE_EEENSF_IJSE_SE_EEES9_SG_JZNS1_25segmented_radix_sort_implINS0_14default_configELb0EPKhPhPKlPlN2at6native12_GLOBAL__N_18offset_tEEE10hipError_tPvRmT1_PNSt15iterator_traitsISY_E10value_typeET2_T3_PNSZ_IS14_E10value_typeET4_jRbjT5_S1A_jjP12ihipStream_tbEUljE_EEESV_SW_SX_S14_S18_S1A_T6_T7_T9_mT8_S1C_bDpT10_ENKUlT_T0_E_clISt17integral_constantIbLb0EES1O_IbLb1EEEEDaS1K_S1L_EUlS1K_E_NS1_11comp_targetILNS1_3genE3ELNS1_11target_archE908ELNS1_3gpuE7ELNS1_3repE0EEENS1_30default_config_static_selectorELNS0_4arch9wavefront6targetE0EEEvSY_,"axG",@progbits,_ZN7rocprim17ROCPRIM_400000_NS6detail17trampoline_kernelINS0_13select_configILj256ELj13ELNS0_17block_load_methodE3ELS4_3ELS4_3ELNS0_20block_scan_algorithmE0ELj4294967295EEENS1_25partition_config_selectorILNS1_17partition_subalgoE3EjNS0_10empty_typeEbEEZZNS1_14partition_implILS8_3ELb0ES6_jNS0_17counting_iteratorIjlEEPS9_SE_NS0_5tupleIJPjSE_EEENSF_IJSE_SE_EEES9_SG_JZNS1_25segmented_radix_sort_implINS0_14default_configELb0EPKhPhPKlPlN2at6native12_GLOBAL__N_18offset_tEEE10hipError_tPvRmT1_PNSt15iterator_traitsISY_E10value_typeET2_T3_PNSZ_IS14_E10value_typeET4_jRbjT5_S1A_jjP12ihipStream_tbEUljE_EEESV_SW_SX_S14_S18_S1A_T6_T7_T9_mT8_S1C_bDpT10_ENKUlT_T0_E_clISt17integral_constantIbLb0EES1O_IbLb1EEEEDaS1K_S1L_EUlS1K_E_NS1_11comp_targetILNS1_3genE3ELNS1_11target_archE908ELNS1_3gpuE7ELNS1_3repE0EEENS1_30default_config_static_selectorELNS0_4arch9wavefront6targetE0EEEvSY_,comdat
.Lfunc_end180:
	.size	_ZN7rocprim17ROCPRIM_400000_NS6detail17trampoline_kernelINS0_13select_configILj256ELj13ELNS0_17block_load_methodE3ELS4_3ELS4_3ELNS0_20block_scan_algorithmE0ELj4294967295EEENS1_25partition_config_selectorILNS1_17partition_subalgoE3EjNS0_10empty_typeEbEEZZNS1_14partition_implILS8_3ELb0ES6_jNS0_17counting_iteratorIjlEEPS9_SE_NS0_5tupleIJPjSE_EEENSF_IJSE_SE_EEES9_SG_JZNS1_25segmented_radix_sort_implINS0_14default_configELb0EPKhPhPKlPlN2at6native12_GLOBAL__N_18offset_tEEE10hipError_tPvRmT1_PNSt15iterator_traitsISY_E10value_typeET2_T3_PNSZ_IS14_E10value_typeET4_jRbjT5_S1A_jjP12ihipStream_tbEUljE_EEESV_SW_SX_S14_S18_S1A_T6_T7_T9_mT8_S1C_bDpT10_ENKUlT_T0_E_clISt17integral_constantIbLb0EES1O_IbLb1EEEEDaS1K_S1L_EUlS1K_E_NS1_11comp_targetILNS1_3genE3ELNS1_11target_archE908ELNS1_3gpuE7ELNS1_3repE0EEENS1_30default_config_static_selectorELNS0_4arch9wavefront6targetE0EEEvSY_, .Lfunc_end180-_ZN7rocprim17ROCPRIM_400000_NS6detail17trampoline_kernelINS0_13select_configILj256ELj13ELNS0_17block_load_methodE3ELS4_3ELS4_3ELNS0_20block_scan_algorithmE0ELj4294967295EEENS1_25partition_config_selectorILNS1_17partition_subalgoE3EjNS0_10empty_typeEbEEZZNS1_14partition_implILS8_3ELb0ES6_jNS0_17counting_iteratorIjlEEPS9_SE_NS0_5tupleIJPjSE_EEENSF_IJSE_SE_EEES9_SG_JZNS1_25segmented_radix_sort_implINS0_14default_configELb0EPKhPhPKlPlN2at6native12_GLOBAL__N_18offset_tEEE10hipError_tPvRmT1_PNSt15iterator_traitsISY_E10value_typeET2_T3_PNSZ_IS14_E10value_typeET4_jRbjT5_S1A_jjP12ihipStream_tbEUljE_EEESV_SW_SX_S14_S18_S1A_T6_T7_T9_mT8_S1C_bDpT10_ENKUlT_T0_E_clISt17integral_constantIbLb0EES1O_IbLb1EEEEDaS1K_S1L_EUlS1K_E_NS1_11comp_targetILNS1_3genE3ELNS1_11target_archE908ELNS1_3gpuE7ELNS1_3repE0EEENS1_30default_config_static_selectorELNS0_4arch9wavefront6targetE0EEEvSY_
                                        ; -- End function
	.set _ZN7rocprim17ROCPRIM_400000_NS6detail17trampoline_kernelINS0_13select_configILj256ELj13ELNS0_17block_load_methodE3ELS4_3ELS4_3ELNS0_20block_scan_algorithmE0ELj4294967295EEENS1_25partition_config_selectorILNS1_17partition_subalgoE3EjNS0_10empty_typeEbEEZZNS1_14partition_implILS8_3ELb0ES6_jNS0_17counting_iteratorIjlEEPS9_SE_NS0_5tupleIJPjSE_EEENSF_IJSE_SE_EEES9_SG_JZNS1_25segmented_radix_sort_implINS0_14default_configELb0EPKhPhPKlPlN2at6native12_GLOBAL__N_18offset_tEEE10hipError_tPvRmT1_PNSt15iterator_traitsISY_E10value_typeET2_T3_PNSZ_IS14_E10value_typeET4_jRbjT5_S1A_jjP12ihipStream_tbEUljE_EEESV_SW_SX_S14_S18_S1A_T6_T7_T9_mT8_S1C_bDpT10_ENKUlT_T0_E_clISt17integral_constantIbLb0EES1O_IbLb1EEEEDaS1K_S1L_EUlS1K_E_NS1_11comp_targetILNS1_3genE3ELNS1_11target_archE908ELNS1_3gpuE7ELNS1_3repE0EEENS1_30default_config_static_selectorELNS0_4arch9wavefront6targetE0EEEvSY_.num_vgpr, 0
	.set _ZN7rocprim17ROCPRIM_400000_NS6detail17trampoline_kernelINS0_13select_configILj256ELj13ELNS0_17block_load_methodE3ELS4_3ELS4_3ELNS0_20block_scan_algorithmE0ELj4294967295EEENS1_25partition_config_selectorILNS1_17partition_subalgoE3EjNS0_10empty_typeEbEEZZNS1_14partition_implILS8_3ELb0ES6_jNS0_17counting_iteratorIjlEEPS9_SE_NS0_5tupleIJPjSE_EEENSF_IJSE_SE_EEES9_SG_JZNS1_25segmented_radix_sort_implINS0_14default_configELb0EPKhPhPKlPlN2at6native12_GLOBAL__N_18offset_tEEE10hipError_tPvRmT1_PNSt15iterator_traitsISY_E10value_typeET2_T3_PNSZ_IS14_E10value_typeET4_jRbjT5_S1A_jjP12ihipStream_tbEUljE_EEESV_SW_SX_S14_S18_S1A_T6_T7_T9_mT8_S1C_bDpT10_ENKUlT_T0_E_clISt17integral_constantIbLb0EES1O_IbLb1EEEEDaS1K_S1L_EUlS1K_E_NS1_11comp_targetILNS1_3genE3ELNS1_11target_archE908ELNS1_3gpuE7ELNS1_3repE0EEENS1_30default_config_static_selectorELNS0_4arch9wavefront6targetE0EEEvSY_.num_agpr, 0
	.set _ZN7rocprim17ROCPRIM_400000_NS6detail17trampoline_kernelINS0_13select_configILj256ELj13ELNS0_17block_load_methodE3ELS4_3ELS4_3ELNS0_20block_scan_algorithmE0ELj4294967295EEENS1_25partition_config_selectorILNS1_17partition_subalgoE3EjNS0_10empty_typeEbEEZZNS1_14partition_implILS8_3ELb0ES6_jNS0_17counting_iteratorIjlEEPS9_SE_NS0_5tupleIJPjSE_EEENSF_IJSE_SE_EEES9_SG_JZNS1_25segmented_radix_sort_implINS0_14default_configELb0EPKhPhPKlPlN2at6native12_GLOBAL__N_18offset_tEEE10hipError_tPvRmT1_PNSt15iterator_traitsISY_E10value_typeET2_T3_PNSZ_IS14_E10value_typeET4_jRbjT5_S1A_jjP12ihipStream_tbEUljE_EEESV_SW_SX_S14_S18_S1A_T6_T7_T9_mT8_S1C_bDpT10_ENKUlT_T0_E_clISt17integral_constantIbLb0EES1O_IbLb1EEEEDaS1K_S1L_EUlS1K_E_NS1_11comp_targetILNS1_3genE3ELNS1_11target_archE908ELNS1_3gpuE7ELNS1_3repE0EEENS1_30default_config_static_selectorELNS0_4arch9wavefront6targetE0EEEvSY_.numbered_sgpr, 0
	.set _ZN7rocprim17ROCPRIM_400000_NS6detail17trampoline_kernelINS0_13select_configILj256ELj13ELNS0_17block_load_methodE3ELS4_3ELS4_3ELNS0_20block_scan_algorithmE0ELj4294967295EEENS1_25partition_config_selectorILNS1_17partition_subalgoE3EjNS0_10empty_typeEbEEZZNS1_14partition_implILS8_3ELb0ES6_jNS0_17counting_iteratorIjlEEPS9_SE_NS0_5tupleIJPjSE_EEENSF_IJSE_SE_EEES9_SG_JZNS1_25segmented_radix_sort_implINS0_14default_configELb0EPKhPhPKlPlN2at6native12_GLOBAL__N_18offset_tEEE10hipError_tPvRmT1_PNSt15iterator_traitsISY_E10value_typeET2_T3_PNSZ_IS14_E10value_typeET4_jRbjT5_S1A_jjP12ihipStream_tbEUljE_EEESV_SW_SX_S14_S18_S1A_T6_T7_T9_mT8_S1C_bDpT10_ENKUlT_T0_E_clISt17integral_constantIbLb0EES1O_IbLb1EEEEDaS1K_S1L_EUlS1K_E_NS1_11comp_targetILNS1_3genE3ELNS1_11target_archE908ELNS1_3gpuE7ELNS1_3repE0EEENS1_30default_config_static_selectorELNS0_4arch9wavefront6targetE0EEEvSY_.num_named_barrier, 0
	.set _ZN7rocprim17ROCPRIM_400000_NS6detail17trampoline_kernelINS0_13select_configILj256ELj13ELNS0_17block_load_methodE3ELS4_3ELS4_3ELNS0_20block_scan_algorithmE0ELj4294967295EEENS1_25partition_config_selectorILNS1_17partition_subalgoE3EjNS0_10empty_typeEbEEZZNS1_14partition_implILS8_3ELb0ES6_jNS0_17counting_iteratorIjlEEPS9_SE_NS0_5tupleIJPjSE_EEENSF_IJSE_SE_EEES9_SG_JZNS1_25segmented_radix_sort_implINS0_14default_configELb0EPKhPhPKlPlN2at6native12_GLOBAL__N_18offset_tEEE10hipError_tPvRmT1_PNSt15iterator_traitsISY_E10value_typeET2_T3_PNSZ_IS14_E10value_typeET4_jRbjT5_S1A_jjP12ihipStream_tbEUljE_EEESV_SW_SX_S14_S18_S1A_T6_T7_T9_mT8_S1C_bDpT10_ENKUlT_T0_E_clISt17integral_constantIbLb0EES1O_IbLb1EEEEDaS1K_S1L_EUlS1K_E_NS1_11comp_targetILNS1_3genE3ELNS1_11target_archE908ELNS1_3gpuE7ELNS1_3repE0EEENS1_30default_config_static_selectorELNS0_4arch9wavefront6targetE0EEEvSY_.private_seg_size, 0
	.set _ZN7rocprim17ROCPRIM_400000_NS6detail17trampoline_kernelINS0_13select_configILj256ELj13ELNS0_17block_load_methodE3ELS4_3ELS4_3ELNS0_20block_scan_algorithmE0ELj4294967295EEENS1_25partition_config_selectorILNS1_17partition_subalgoE3EjNS0_10empty_typeEbEEZZNS1_14partition_implILS8_3ELb0ES6_jNS0_17counting_iteratorIjlEEPS9_SE_NS0_5tupleIJPjSE_EEENSF_IJSE_SE_EEES9_SG_JZNS1_25segmented_radix_sort_implINS0_14default_configELb0EPKhPhPKlPlN2at6native12_GLOBAL__N_18offset_tEEE10hipError_tPvRmT1_PNSt15iterator_traitsISY_E10value_typeET2_T3_PNSZ_IS14_E10value_typeET4_jRbjT5_S1A_jjP12ihipStream_tbEUljE_EEESV_SW_SX_S14_S18_S1A_T6_T7_T9_mT8_S1C_bDpT10_ENKUlT_T0_E_clISt17integral_constantIbLb0EES1O_IbLb1EEEEDaS1K_S1L_EUlS1K_E_NS1_11comp_targetILNS1_3genE3ELNS1_11target_archE908ELNS1_3gpuE7ELNS1_3repE0EEENS1_30default_config_static_selectorELNS0_4arch9wavefront6targetE0EEEvSY_.uses_vcc, 0
	.set _ZN7rocprim17ROCPRIM_400000_NS6detail17trampoline_kernelINS0_13select_configILj256ELj13ELNS0_17block_load_methodE3ELS4_3ELS4_3ELNS0_20block_scan_algorithmE0ELj4294967295EEENS1_25partition_config_selectorILNS1_17partition_subalgoE3EjNS0_10empty_typeEbEEZZNS1_14partition_implILS8_3ELb0ES6_jNS0_17counting_iteratorIjlEEPS9_SE_NS0_5tupleIJPjSE_EEENSF_IJSE_SE_EEES9_SG_JZNS1_25segmented_radix_sort_implINS0_14default_configELb0EPKhPhPKlPlN2at6native12_GLOBAL__N_18offset_tEEE10hipError_tPvRmT1_PNSt15iterator_traitsISY_E10value_typeET2_T3_PNSZ_IS14_E10value_typeET4_jRbjT5_S1A_jjP12ihipStream_tbEUljE_EEESV_SW_SX_S14_S18_S1A_T6_T7_T9_mT8_S1C_bDpT10_ENKUlT_T0_E_clISt17integral_constantIbLb0EES1O_IbLb1EEEEDaS1K_S1L_EUlS1K_E_NS1_11comp_targetILNS1_3genE3ELNS1_11target_archE908ELNS1_3gpuE7ELNS1_3repE0EEENS1_30default_config_static_selectorELNS0_4arch9wavefront6targetE0EEEvSY_.uses_flat_scratch, 0
	.set _ZN7rocprim17ROCPRIM_400000_NS6detail17trampoline_kernelINS0_13select_configILj256ELj13ELNS0_17block_load_methodE3ELS4_3ELS4_3ELNS0_20block_scan_algorithmE0ELj4294967295EEENS1_25partition_config_selectorILNS1_17partition_subalgoE3EjNS0_10empty_typeEbEEZZNS1_14partition_implILS8_3ELb0ES6_jNS0_17counting_iteratorIjlEEPS9_SE_NS0_5tupleIJPjSE_EEENSF_IJSE_SE_EEES9_SG_JZNS1_25segmented_radix_sort_implINS0_14default_configELb0EPKhPhPKlPlN2at6native12_GLOBAL__N_18offset_tEEE10hipError_tPvRmT1_PNSt15iterator_traitsISY_E10value_typeET2_T3_PNSZ_IS14_E10value_typeET4_jRbjT5_S1A_jjP12ihipStream_tbEUljE_EEESV_SW_SX_S14_S18_S1A_T6_T7_T9_mT8_S1C_bDpT10_ENKUlT_T0_E_clISt17integral_constantIbLb0EES1O_IbLb1EEEEDaS1K_S1L_EUlS1K_E_NS1_11comp_targetILNS1_3genE3ELNS1_11target_archE908ELNS1_3gpuE7ELNS1_3repE0EEENS1_30default_config_static_selectorELNS0_4arch9wavefront6targetE0EEEvSY_.has_dyn_sized_stack, 0
	.set _ZN7rocprim17ROCPRIM_400000_NS6detail17trampoline_kernelINS0_13select_configILj256ELj13ELNS0_17block_load_methodE3ELS4_3ELS4_3ELNS0_20block_scan_algorithmE0ELj4294967295EEENS1_25partition_config_selectorILNS1_17partition_subalgoE3EjNS0_10empty_typeEbEEZZNS1_14partition_implILS8_3ELb0ES6_jNS0_17counting_iteratorIjlEEPS9_SE_NS0_5tupleIJPjSE_EEENSF_IJSE_SE_EEES9_SG_JZNS1_25segmented_radix_sort_implINS0_14default_configELb0EPKhPhPKlPlN2at6native12_GLOBAL__N_18offset_tEEE10hipError_tPvRmT1_PNSt15iterator_traitsISY_E10value_typeET2_T3_PNSZ_IS14_E10value_typeET4_jRbjT5_S1A_jjP12ihipStream_tbEUljE_EEESV_SW_SX_S14_S18_S1A_T6_T7_T9_mT8_S1C_bDpT10_ENKUlT_T0_E_clISt17integral_constantIbLb0EES1O_IbLb1EEEEDaS1K_S1L_EUlS1K_E_NS1_11comp_targetILNS1_3genE3ELNS1_11target_archE908ELNS1_3gpuE7ELNS1_3repE0EEENS1_30default_config_static_selectorELNS0_4arch9wavefront6targetE0EEEvSY_.has_recursion, 0
	.set _ZN7rocprim17ROCPRIM_400000_NS6detail17trampoline_kernelINS0_13select_configILj256ELj13ELNS0_17block_load_methodE3ELS4_3ELS4_3ELNS0_20block_scan_algorithmE0ELj4294967295EEENS1_25partition_config_selectorILNS1_17partition_subalgoE3EjNS0_10empty_typeEbEEZZNS1_14partition_implILS8_3ELb0ES6_jNS0_17counting_iteratorIjlEEPS9_SE_NS0_5tupleIJPjSE_EEENSF_IJSE_SE_EEES9_SG_JZNS1_25segmented_radix_sort_implINS0_14default_configELb0EPKhPhPKlPlN2at6native12_GLOBAL__N_18offset_tEEE10hipError_tPvRmT1_PNSt15iterator_traitsISY_E10value_typeET2_T3_PNSZ_IS14_E10value_typeET4_jRbjT5_S1A_jjP12ihipStream_tbEUljE_EEESV_SW_SX_S14_S18_S1A_T6_T7_T9_mT8_S1C_bDpT10_ENKUlT_T0_E_clISt17integral_constantIbLb0EES1O_IbLb1EEEEDaS1K_S1L_EUlS1K_E_NS1_11comp_targetILNS1_3genE3ELNS1_11target_archE908ELNS1_3gpuE7ELNS1_3repE0EEENS1_30default_config_static_selectorELNS0_4arch9wavefront6targetE0EEEvSY_.has_indirect_call, 0
	.section	.AMDGPU.csdata,"",@progbits
; Kernel info:
; codeLenInByte = 0
; TotalNumSgprs: 0
; NumVgprs: 0
; ScratchSize: 0
; MemoryBound: 0
; FloatMode: 240
; IeeeMode: 1
; LDSByteSize: 0 bytes/workgroup (compile time only)
; SGPRBlocks: 0
; VGPRBlocks: 0
; NumSGPRsForWavesPerEU: 1
; NumVGPRsForWavesPerEU: 1
; Occupancy: 16
; WaveLimiterHint : 0
; COMPUTE_PGM_RSRC2:SCRATCH_EN: 0
; COMPUTE_PGM_RSRC2:USER_SGPR: 6
; COMPUTE_PGM_RSRC2:TRAP_HANDLER: 0
; COMPUTE_PGM_RSRC2:TGID_X_EN: 1
; COMPUTE_PGM_RSRC2:TGID_Y_EN: 0
; COMPUTE_PGM_RSRC2:TGID_Z_EN: 0
; COMPUTE_PGM_RSRC2:TIDIG_COMP_CNT: 0
	.section	.text._ZN7rocprim17ROCPRIM_400000_NS6detail17trampoline_kernelINS0_13select_configILj256ELj13ELNS0_17block_load_methodE3ELS4_3ELS4_3ELNS0_20block_scan_algorithmE0ELj4294967295EEENS1_25partition_config_selectorILNS1_17partition_subalgoE3EjNS0_10empty_typeEbEEZZNS1_14partition_implILS8_3ELb0ES6_jNS0_17counting_iteratorIjlEEPS9_SE_NS0_5tupleIJPjSE_EEENSF_IJSE_SE_EEES9_SG_JZNS1_25segmented_radix_sort_implINS0_14default_configELb0EPKhPhPKlPlN2at6native12_GLOBAL__N_18offset_tEEE10hipError_tPvRmT1_PNSt15iterator_traitsISY_E10value_typeET2_T3_PNSZ_IS14_E10value_typeET4_jRbjT5_S1A_jjP12ihipStream_tbEUljE_EEESV_SW_SX_S14_S18_S1A_T6_T7_T9_mT8_S1C_bDpT10_ENKUlT_T0_E_clISt17integral_constantIbLb0EES1O_IbLb1EEEEDaS1K_S1L_EUlS1K_E_NS1_11comp_targetILNS1_3genE2ELNS1_11target_archE906ELNS1_3gpuE6ELNS1_3repE0EEENS1_30default_config_static_selectorELNS0_4arch9wavefront6targetE0EEEvSY_,"axG",@progbits,_ZN7rocprim17ROCPRIM_400000_NS6detail17trampoline_kernelINS0_13select_configILj256ELj13ELNS0_17block_load_methodE3ELS4_3ELS4_3ELNS0_20block_scan_algorithmE0ELj4294967295EEENS1_25partition_config_selectorILNS1_17partition_subalgoE3EjNS0_10empty_typeEbEEZZNS1_14partition_implILS8_3ELb0ES6_jNS0_17counting_iteratorIjlEEPS9_SE_NS0_5tupleIJPjSE_EEENSF_IJSE_SE_EEES9_SG_JZNS1_25segmented_radix_sort_implINS0_14default_configELb0EPKhPhPKlPlN2at6native12_GLOBAL__N_18offset_tEEE10hipError_tPvRmT1_PNSt15iterator_traitsISY_E10value_typeET2_T3_PNSZ_IS14_E10value_typeET4_jRbjT5_S1A_jjP12ihipStream_tbEUljE_EEESV_SW_SX_S14_S18_S1A_T6_T7_T9_mT8_S1C_bDpT10_ENKUlT_T0_E_clISt17integral_constantIbLb0EES1O_IbLb1EEEEDaS1K_S1L_EUlS1K_E_NS1_11comp_targetILNS1_3genE2ELNS1_11target_archE906ELNS1_3gpuE6ELNS1_3repE0EEENS1_30default_config_static_selectorELNS0_4arch9wavefront6targetE0EEEvSY_,comdat
	.globl	_ZN7rocprim17ROCPRIM_400000_NS6detail17trampoline_kernelINS0_13select_configILj256ELj13ELNS0_17block_load_methodE3ELS4_3ELS4_3ELNS0_20block_scan_algorithmE0ELj4294967295EEENS1_25partition_config_selectorILNS1_17partition_subalgoE3EjNS0_10empty_typeEbEEZZNS1_14partition_implILS8_3ELb0ES6_jNS0_17counting_iteratorIjlEEPS9_SE_NS0_5tupleIJPjSE_EEENSF_IJSE_SE_EEES9_SG_JZNS1_25segmented_radix_sort_implINS0_14default_configELb0EPKhPhPKlPlN2at6native12_GLOBAL__N_18offset_tEEE10hipError_tPvRmT1_PNSt15iterator_traitsISY_E10value_typeET2_T3_PNSZ_IS14_E10value_typeET4_jRbjT5_S1A_jjP12ihipStream_tbEUljE_EEESV_SW_SX_S14_S18_S1A_T6_T7_T9_mT8_S1C_bDpT10_ENKUlT_T0_E_clISt17integral_constantIbLb0EES1O_IbLb1EEEEDaS1K_S1L_EUlS1K_E_NS1_11comp_targetILNS1_3genE2ELNS1_11target_archE906ELNS1_3gpuE6ELNS1_3repE0EEENS1_30default_config_static_selectorELNS0_4arch9wavefront6targetE0EEEvSY_ ; -- Begin function _ZN7rocprim17ROCPRIM_400000_NS6detail17trampoline_kernelINS0_13select_configILj256ELj13ELNS0_17block_load_methodE3ELS4_3ELS4_3ELNS0_20block_scan_algorithmE0ELj4294967295EEENS1_25partition_config_selectorILNS1_17partition_subalgoE3EjNS0_10empty_typeEbEEZZNS1_14partition_implILS8_3ELb0ES6_jNS0_17counting_iteratorIjlEEPS9_SE_NS0_5tupleIJPjSE_EEENSF_IJSE_SE_EEES9_SG_JZNS1_25segmented_radix_sort_implINS0_14default_configELb0EPKhPhPKlPlN2at6native12_GLOBAL__N_18offset_tEEE10hipError_tPvRmT1_PNSt15iterator_traitsISY_E10value_typeET2_T3_PNSZ_IS14_E10value_typeET4_jRbjT5_S1A_jjP12ihipStream_tbEUljE_EEESV_SW_SX_S14_S18_S1A_T6_T7_T9_mT8_S1C_bDpT10_ENKUlT_T0_E_clISt17integral_constantIbLb0EES1O_IbLb1EEEEDaS1K_S1L_EUlS1K_E_NS1_11comp_targetILNS1_3genE2ELNS1_11target_archE906ELNS1_3gpuE6ELNS1_3repE0EEENS1_30default_config_static_selectorELNS0_4arch9wavefront6targetE0EEEvSY_
	.p2align	8
	.type	_ZN7rocprim17ROCPRIM_400000_NS6detail17trampoline_kernelINS0_13select_configILj256ELj13ELNS0_17block_load_methodE3ELS4_3ELS4_3ELNS0_20block_scan_algorithmE0ELj4294967295EEENS1_25partition_config_selectorILNS1_17partition_subalgoE3EjNS0_10empty_typeEbEEZZNS1_14partition_implILS8_3ELb0ES6_jNS0_17counting_iteratorIjlEEPS9_SE_NS0_5tupleIJPjSE_EEENSF_IJSE_SE_EEES9_SG_JZNS1_25segmented_radix_sort_implINS0_14default_configELb0EPKhPhPKlPlN2at6native12_GLOBAL__N_18offset_tEEE10hipError_tPvRmT1_PNSt15iterator_traitsISY_E10value_typeET2_T3_PNSZ_IS14_E10value_typeET4_jRbjT5_S1A_jjP12ihipStream_tbEUljE_EEESV_SW_SX_S14_S18_S1A_T6_T7_T9_mT8_S1C_bDpT10_ENKUlT_T0_E_clISt17integral_constantIbLb0EES1O_IbLb1EEEEDaS1K_S1L_EUlS1K_E_NS1_11comp_targetILNS1_3genE2ELNS1_11target_archE906ELNS1_3gpuE6ELNS1_3repE0EEENS1_30default_config_static_selectorELNS0_4arch9wavefront6targetE0EEEvSY_,@function
_ZN7rocprim17ROCPRIM_400000_NS6detail17trampoline_kernelINS0_13select_configILj256ELj13ELNS0_17block_load_methodE3ELS4_3ELS4_3ELNS0_20block_scan_algorithmE0ELj4294967295EEENS1_25partition_config_selectorILNS1_17partition_subalgoE3EjNS0_10empty_typeEbEEZZNS1_14partition_implILS8_3ELb0ES6_jNS0_17counting_iteratorIjlEEPS9_SE_NS0_5tupleIJPjSE_EEENSF_IJSE_SE_EEES9_SG_JZNS1_25segmented_radix_sort_implINS0_14default_configELb0EPKhPhPKlPlN2at6native12_GLOBAL__N_18offset_tEEE10hipError_tPvRmT1_PNSt15iterator_traitsISY_E10value_typeET2_T3_PNSZ_IS14_E10value_typeET4_jRbjT5_S1A_jjP12ihipStream_tbEUljE_EEESV_SW_SX_S14_S18_S1A_T6_T7_T9_mT8_S1C_bDpT10_ENKUlT_T0_E_clISt17integral_constantIbLb0EES1O_IbLb1EEEEDaS1K_S1L_EUlS1K_E_NS1_11comp_targetILNS1_3genE2ELNS1_11target_archE906ELNS1_3gpuE6ELNS1_3repE0EEENS1_30default_config_static_selectorELNS0_4arch9wavefront6targetE0EEEvSY_: ; @_ZN7rocprim17ROCPRIM_400000_NS6detail17trampoline_kernelINS0_13select_configILj256ELj13ELNS0_17block_load_methodE3ELS4_3ELS4_3ELNS0_20block_scan_algorithmE0ELj4294967295EEENS1_25partition_config_selectorILNS1_17partition_subalgoE3EjNS0_10empty_typeEbEEZZNS1_14partition_implILS8_3ELb0ES6_jNS0_17counting_iteratorIjlEEPS9_SE_NS0_5tupleIJPjSE_EEENSF_IJSE_SE_EEES9_SG_JZNS1_25segmented_radix_sort_implINS0_14default_configELb0EPKhPhPKlPlN2at6native12_GLOBAL__N_18offset_tEEE10hipError_tPvRmT1_PNSt15iterator_traitsISY_E10value_typeET2_T3_PNSZ_IS14_E10value_typeET4_jRbjT5_S1A_jjP12ihipStream_tbEUljE_EEESV_SW_SX_S14_S18_S1A_T6_T7_T9_mT8_S1C_bDpT10_ENKUlT_T0_E_clISt17integral_constantIbLb0EES1O_IbLb1EEEEDaS1K_S1L_EUlS1K_E_NS1_11comp_targetILNS1_3genE2ELNS1_11target_archE906ELNS1_3gpuE6ELNS1_3repE0EEENS1_30default_config_static_selectorELNS0_4arch9wavefront6targetE0EEEvSY_
; %bb.0:
	.section	.rodata,"a",@progbits
	.p2align	6, 0x0
	.amdhsa_kernel _ZN7rocprim17ROCPRIM_400000_NS6detail17trampoline_kernelINS0_13select_configILj256ELj13ELNS0_17block_load_methodE3ELS4_3ELS4_3ELNS0_20block_scan_algorithmE0ELj4294967295EEENS1_25partition_config_selectorILNS1_17partition_subalgoE3EjNS0_10empty_typeEbEEZZNS1_14partition_implILS8_3ELb0ES6_jNS0_17counting_iteratorIjlEEPS9_SE_NS0_5tupleIJPjSE_EEENSF_IJSE_SE_EEES9_SG_JZNS1_25segmented_radix_sort_implINS0_14default_configELb0EPKhPhPKlPlN2at6native12_GLOBAL__N_18offset_tEEE10hipError_tPvRmT1_PNSt15iterator_traitsISY_E10value_typeET2_T3_PNSZ_IS14_E10value_typeET4_jRbjT5_S1A_jjP12ihipStream_tbEUljE_EEESV_SW_SX_S14_S18_S1A_T6_T7_T9_mT8_S1C_bDpT10_ENKUlT_T0_E_clISt17integral_constantIbLb0EES1O_IbLb1EEEEDaS1K_S1L_EUlS1K_E_NS1_11comp_targetILNS1_3genE2ELNS1_11target_archE906ELNS1_3gpuE6ELNS1_3repE0EEENS1_30default_config_static_selectorELNS0_4arch9wavefront6targetE0EEEvSY_
		.amdhsa_group_segment_fixed_size 0
		.amdhsa_private_segment_fixed_size 0
		.amdhsa_kernarg_size 152
		.amdhsa_user_sgpr_count 6
		.amdhsa_user_sgpr_private_segment_buffer 1
		.amdhsa_user_sgpr_dispatch_ptr 0
		.amdhsa_user_sgpr_queue_ptr 0
		.amdhsa_user_sgpr_kernarg_segment_ptr 1
		.amdhsa_user_sgpr_dispatch_id 0
		.amdhsa_user_sgpr_flat_scratch_init 0
		.amdhsa_user_sgpr_private_segment_size 0
		.amdhsa_wavefront_size32 1
		.amdhsa_uses_dynamic_stack 0
		.amdhsa_system_sgpr_private_segment_wavefront_offset 0
		.amdhsa_system_sgpr_workgroup_id_x 1
		.amdhsa_system_sgpr_workgroup_id_y 0
		.amdhsa_system_sgpr_workgroup_id_z 0
		.amdhsa_system_sgpr_workgroup_info 0
		.amdhsa_system_vgpr_workitem_id 0
		.amdhsa_next_free_vgpr 1
		.amdhsa_next_free_sgpr 1
		.amdhsa_reserve_vcc 0
		.amdhsa_reserve_flat_scratch 0
		.amdhsa_float_round_mode_32 0
		.amdhsa_float_round_mode_16_64 0
		.amdhsa_float_denorm_mode_32 3
		.amdhsa_float_denorm_mode_16_64 3
		.amdhsa_dx10_clamp 1
		.amdhsa_ieee_mode 1
		.amdhsa_fp16_overflow 0
		.amdhsa_workgroup_processor_mode 1
		.amdhsa_memory_ordered 1
		.amdhsa_forward_progress 1
		.amdhsa_shared_vgpr_count 0
		.amdhsa_exception_fp_ieee_invalid_op 0
		.amdhsa_exception_fp_denorm_src 0
		.amdhsa_exception_fp_ieee_div_zero 0
		.amdhsa_exception_fp_ieee_overflow 0
		.amdhsa_exception_fp_ieee_underflow 0
		.amdhsa_exception_fp_ieee_inexact 0
		.amdhsa_exception_int_div_zero 0
	.end_amdhsa_kernel
	.section	.text._ZN7rocprim17ROCPRIM_400000_NS6detail17trampoline_kernelINS0_13select_configILj256ELj13ELNS0_17block_load_methodE3ELS4_3ELS4_3ELNS0_20block_scan_algorithmE0ELj4294967295EEENS1_25partition_config_selectorILNS1_17partition_subalgoE3EjNS0_10empty_typeEbEEZZNS1_14partition_implILS8_3ELb0ES6_jNS0_17counting_iteratorIjlEEPS9_SE_NS0_5tupleIJPjSE_EEENSF_IJSE_SE_EEES9_SG_JZNS1_25segmented_radix_sort_implINS0_14default_configELb0EPKhPhPKlPlN2at6native12_GLOBAL__N_18offset_tEEE10hipError_tPvRmT1_PNSt15iterator_traitsISY_E10value_typeET2_T3_PNSZ_IS14_E10value_typeET4_jRbjT5_S1A_jjP12ihipStream_tbEUljE_EEESV_SW_SX_S14_S18_S1A_T6_T7_T9_mT8_S1C_bDpT10_ENKUlT_T0_E_clISt17integral_constantIbLb0EES1O_IbLb1EEEEDaS1K_S1L_EUlS1K_E_NS1_11comp_targetILNS1_3genE2ELNS1_11target_archE906ELNS1_3gpuE6ELNS1_3repE0EEENS1_30default_config_static_selectorELNS0_4arch9wavefront6targetE0EEEvSY_,"axG",@progbits,_ZN7rocprim17ROCPRIM_400000_NS6detail17trampoline_kernelINS0_13select_configILj256ELj13ELNS0_17block_load_methodE3ELS4_3ELS4_3ELNS0_20block_scan_algorithmE0ELj4294967295EEENS1_25partition_config_selectorILNS1_17partition_subalgoE3EjNS0_10empty_typeEbEEZZNS1_14partition_implILS8_3ELb0ES6_jNS0_17counting_iteratorIjlEEPS9_SE_NS0_5tupleIJPjSE_EEENSF_IJSE_SE_EEES9_SG_JZNS1_25segmented_radix_sort_implINS0_14default_configELb0EPKhPhPKlPlN2at6native12_GLOBAL__N_18offset_tEEE10hipError_tPvRmT1_PNSt15iterator_traitsISY_E10value_typeET2_T3_PNSZ_IS14_E10value_typeET4_jRbjT5_S1A_jjP12ihipStream_tbEUljE_EEESV_SW_SX_S14_S18_S1A_T6_T7_T9_mT8_S1C_bDpT10_ENKUlT_T0_E_clISt17integral_constantIbLb0EES1O_IbLb1EEEEDaS1K_S1L_EUlS1K_E_NS1_11comp_targetILNS1_3genE2ELNS1_11target_archE906ELNS1_3gpuE6ELNS1_3repE0EEENS1_30default_config_static_selectorELNS0_4arch9wavefront6targetE0EEEvSY_,comdat
.Lfunc_end181:
	.size	_ZN7rocprim17ROCPRIM_400000_NS6detail17trampoline_kernelINS0_13select_configILj256ELj13ELNS0_17block_load_methodE3ELS4_3ELS4_3ELNS0_20block_scan_algorithmE0ELj4294967295EEENS1_25partition_config_selectorILNS1_17partition_subalgoE3EjNS0_10empty_typeEbEEZZNS1_14partition_implILS8_3ELb0ES6_jNS0_17counting_iteratorIjlEEPS9_SE_NS0_5tupleIJPjSE_EEENSF_IJSE_SE_EEES9_SG_JZNS1_25segmented_radix_sort_implINS0_14default_configELb0EPKhPhPKlPlN2at6native12_GLOBAL__N_18offset_tEEE10hipError_tPvRmT1_PNSt15iterator_traitsISY_E10value_typeET2_T3_PNSZ_IS14_E10value_typeET4_jRbjT5_S1A_jjP12ihipStream_tbEUljE_EEESV_SW_SX_S14_S18_S1A_T6_T7_T9_mT8_S1C_bDpT10_ENKUlT_T0_E_clISt17integral_constantIbLb0EES1O_IbLb1EEEEDaS1K_S1L_EUlS1K_E_NS1_11comp_targetILNS1_3genE2ELNS1_11target_archE906ELNS1_3gpuE6ELNS1_3repE0EEENS1_30default_config_static_selectorELNS0_4arch9wavefront6targetE0EEEvSY_, .Lfunc_end181-_ZN7rocprim17ROCPRIM_400000_NS6detail17trampoline_kernelINS0_13select_configILj256ELj13ELNS0_17block_load_methodE3ELS4_3ELS4_3ELNS0_20block_scan_algorithmE0ELj4294967295EEENS1_25partition_config_selectorILNS1_17partition_subalgoE3EjNS0_10empty_typeEbEEZZNS1_14partition_implILS8_3ELb0ES6_jNS0_17counting_iteratorIjlEEPS9_SE_NS0_5tupleIJPjSE_EEENSF_IJSE_SE_EEES9_SG_JZNS1_25segmented_radix_sort_implINS0_14default_configELb0EPKhPhPKlPlN2at6native12_GLOBAL__N_18offset_tEEE10hipError_tPvRmT1_PNSt15iterator_traitsISY_E10value_typeET2_T3_PNSZ_IS14_E10value_typeET4_jRbjT5_S1A_jjP12ihipStream_tbEUljE_EEESV_SW_SX_S14_S18_S1A_T6_T7_T9_mT8_S1C_bDpT10_ENKUlT_T0_E_clISt17integral_constantIbLb0EES1O_IbLb1EEEEDaS1K_S1L_EUlS1K_E_NS1_11comp_targetILNS1_3genE2ELNS1_11target_archE906ELNS1_3gpuE6ELNS1_3repE0EEENS1_30default_config_static_selectorELNS0_4arch9wavefront6targetE0EEEvSY_
                                        ; -- End function
	.set _ZN7rocprim17ROCPRIM_400000_NS6detail17trampoline_kernelINS0_13select_configILj256ELj13ELNS0_17block_load_methodE3ELS4_3ELS4_3ELNS0_20block_scan_algorithmE0ELj4294967295EEENS1_25partition_config_selectorILNS1_17partition_subalgoE3EjNS0_10empty_typeEbEEZZNS1_14partition_implILS8_3ELb0ES6_jNS0_17counting_iteratorIjlEEPS9_SE_NS0_5tupleIJPjSE_EEENSF_IJSE_SE_EEES9_SG_JZNS1_25segmented_radix_sort_implINS0_14default_configELb0EPKhPhPKlPlN2at6native12_GLOBAL__N_18offset_tEEE10hipError_tPvRmT1_PNSt15iterator_traitsISY_E10value_typeET2_T3_PNSZ_IS14_E10value_typeET4_jRbjT5_S1A_jjP12ihipStream_tbEUljE_EEESV_SW_SX_S14_S18_S1A_T6_T7_T9_mT8_S1C_bDpT10_ENKUlT_T0_E_clISt17integral_constantIbLb0EES1O_IbLb1EEEEDaS1K_S1L_EUlS1K_E_NS1_11comp_targetILNS1_3genE2ELNS1_11target_archE906ELNS1_3gpuE6ELNS1_3repE0EEENS1_30default_config_static_selectorELNS0_4arch9wavefront6targetE0EEEvSY_.num_vgpr, 0
	.set _ZN7rocprim17ROCPRIM_400000_NS6detail17trampoline_kernelINS0_13select_configILj256ELj13ELNS0_17block_load_methodE3ELS4_3ELS4_3ELNS0_20block_scan_algorithmE0ELj4294967295EEENS1_25partition_config_selectorILNS1_17partition_subalgoE3EjNS0_10empty_typeEbEEZZNS1_14partition_implILS8_3ELb0ES6_jNS0_17counting_iteratorIjlEEPS9_SE_NS0_5tupleIJPjSE_EEENSF_IJSE_SE_EEES9_SG_JZNS1_25segmented_radix_sort_implINS0_14default_configELb0EPKhPhPKlPlN2at6native12_GLOBAL__N_18offset_tEEE10hipError_tPvRmT1_PNSt15iterator_traitsISY_E10value_typeET2_T3_PNSZ_IS14_E10value_typeET4_jRbjT5_S1A_jjP12ihipStream_tbEUljE_EEESV_SW_SX_S14_S18_S1A_T6_T7_T9_mT8_S1C_bDpT10_ENKUlT_T0_E_clISt17integral_constantIbLb0EES1O_IbLb1EEEEDaS1K_S1L_EUlS1K_E_NS1_11comp_targetILNS1_3genE2ELNS1_11target_archE906ELNS1_3gpuE6ELNS1_3repE0EEENS1_30default_config_static_selectorELNS0_4arch9wavefront6targetE0EEEvSY_.num_agpr, 0
	.set _ZN7rocprim17ROCPRIM_400000_NS6detail17trampoline_kernelINS0_13select_configILj256ELj13ELNS0_17block_load_methodE3ELS4_3ELS4_3ELNS0_20block_scan_algorithmE0ELj4294967295EEENS1_25partition_config_selectorILNS1_17partition_subalgoE3EjNS0_10empty_typeEbEEZZNS1_14partition_implILS8_3ELb0ES6_jNS0_17counting_iteratorIjlEEPS9_SE_NS0_5tupleIJPjSE_EEENSF_IJSE_SE_EEES9_SG_JZNS1_25segmented_radix_sort_implINS0_14default_configELb0EPKhPhPKlPlN2at6native12_GLOBAL__N_18offset_tEEE10hipError_tPvRmT1_PNSt15iterator_traitsISY_E10value_typeET2_T3_PNSZ_IS14_E10value_typeET4_jRbjT5_S1A_jjP12ihipStream_tbEUljE_EEESV_SW_SX_S14_S18_S1A_T6_T7_T9_mT8_S1C_bDpT10_ENKUlT_T0_E_clISt17integral_constantIbLb0EES1O_IbLb1EEEEDaS1K_S1L_EUlS1K_E_NS1_11comp_targetILNS1_3genE2ELNS1_11target_archE906ELNS1_3gpuE6ELNS1_3repE0EEENS1_30default_config_static_selectorELNS0_4arch9wavefront6targetE0EEEvSY_.numbered_sgpr, 0
	.set _ZN7rocprim17ROCPRIM_400000_NS6detail17trampoline_kernelINS0_13select_configILj256ELj13ELNS0_17block_load_methodE3ELS4_3ELS4_3ELNS0_20block_scan_algorithmE0ELj4294967295EEENS1_25partition_config_selectorILNS1_17partition_subalgoE3EjNS0_10empty_typeEbEEZZNS1_14partition_implILS8_3ELb0ES6_jNS0_17counting_iteratorIjlEEPS9_SE_NS0_5tupleIJPjSE_EEENSF_IJSE_SE_EEES9_SG_JZNS1_25segmented_radix_sort_implINS0_14default_configELb0EPKhPhPKlPlN2at6native12_GLOBAL__N_18offset_tEEE10hipError_tPvRmT1_PNSt15iterator_traitsISY_E10value_typeET2_T3_PNSZ_IS14_E10value_typeET4_jRbjT5_S1A_jjP12ihipStream_tbEUljE_EEESV_SW_SX_S14_S18_S1A_T6_T7_T9_mT8_S1C_bDpT10_ENKUlT_T0_E_clISt17integral_constantIbLb0EES1O_IbLb1EEEEDaS1K_S1L_EUlS1K_E_NS1_11comp_targetILNS1_3genE2ELNS1_11target_archE906ELNS1_3gpuE6ELNS1_3repE0EEENS1_30default_config_static_selectorELNS0_4arch9wavefront6targetE0EEEvSY_.num_named_barrier, 0
	.set _ZN7rocprim17ROCPRIM_400000_NS6detail17trampoline_kernelINS0_13select_configILj256ELj13ELNS0_17block_load_methodE3ELS4_3ELS4_3ELNS0_20block_scan_algorithmE0ELj4294967295EEENS1_25partition_config_selectorILNS1_17partition_subalgoE3EjNS0_10empty_typeEbEEZZNS1_14partition_implILS8_3ELb0ES6_jNS0_17counting_iteratorIjlEEPS9_SE_NS0_5tupleIJPjSE_EEENSF_IJSE_SE_EEES9_SG_JZNS1_25segmented_radix_sort_implINS0_14default_configELb0EPKhPhPKlPlN2at6native12_GLOBAL__N_18offset_tEEE10hipError_tPvRmT1_PNSt15iterator_traitsISY_E10value_typeET2_T3_PNSZ_IS14_E10value_typeET4_jRbjT5_S1A_jjP12ihipStream_tbEUljE_EEESV_SW_SX_S14_S18_S1A_T6_T7_T9_mT8_S1C_bDpT10_ENKUlT_T0_E_clISt17integral_constantIbLb0EES1O_IbLb1EEEEDaS1K_S1L_EUlS1K_E_NS1_11comp_targetILNS1_3genE2ELNS1_11target_archE906ELNS1_3gpuE6ELNS1_3repE0EEENS1_30default_config_static_selectorELNS0_4arch9wavefront6targetE0EEEvSY_.private_seg_size, 0
	.set _ZN7rocprim17ROCPRIM_400000_NS6detail17trampoline_kernelINS0_13select_configILj256ELj13ELNS0_17block_load_methodE3ELS4_3ELS4_3ELNS0_20block_scan_algorithmE0ELj4294967295EEENS1_25partition_config_selectorILNS1_17partition_subalgoE3EjNS0_10empty_typeEbEEZZNS1_14partition_implILS8_3ELb0ES6_jNS0_17counting_iteratorIjlEEPS9_SE_NS0_5tupleIJPjSE_EEENSF_IJSE_SE_EEES9_SG_JZNS1_25segmented_radix_sort_implINS0_14default_configELb0EPKhPhPKlPlN2at6native12_GLOBAL__N_18offset_tEEE10hipError_tPvRmT1_PNSt15iterator_traitsISY_E10value_typeET2_T3_PNSZ_IS14_E10value_typeET4_jRbjT5_S1A_jjP12ihipStream_tbEUljE_EEESV_SW_SX_S14_S18_S1A_T6_T7_T9_mT8_S1C_bDpT10_ENKUlT_T0_E_clISt17integral_constantIbLb0EES1O_IbLb1EEEEDaS1K_S1L_EUlS1K_E_NS1_11comp_targetILNS1_3genE2ELNS1_11target_archE906ELNS1_3gpuE6ELNS1_3repE0EEENS1_30default_config_static_selectorELNS0_4arch9wavefront6targetE0EEEvSY_.uses_vcc, 0
	.set _ZN7rocprim17ROCPRIM_400000_NS6detail17trampoline_kernelINS0_13select_configILj256ELj13ELNS0_17block_load_methodE3ELS4_3ELS4_3ELNS0_20block_scan_algorithmE0ELj4294967295EEENS1_25partition_config_selectorILNS1_17partition_subalgoE3EjNS0_10empty_typeEbEEZZNS1_14partition_implILS8_3ELb0ES6_jNS0_17counting_iteratorIjlEEPS9_SE_NS0_5tupleIJPjSE_EEENSF_IJSE_SE_EEES9_SG_JZNS1_25segmented_radix_sort_implINS0_14default_configELb0EPKhPhPKlPlN2at6native12_GLOBAL__N_18offset_tEEE10hipError_tPvRmT1_PNSt15iterator_traitsISY_E10value_typeET2_T3_PNSZ_IS14_E10value_typeET4_jRbjT5_S1A_jjP12ihipStream_tbEUljE_EEESV_SW_SX_S14_S18_S1A_T6_T7_T9_mT8_S1C_bDpT10_ENKUlT_T0_E_clISt17integral_constantIbLb0EES1O_IbLb1EEEEDaS1K_S1L_EUlS1K_E_NS1_11comp_targetILNS1_3genE2ELNS1_11target_archE906ELNS1_3gpuE6ELNS1_3repE0EEENS1_30default_config_static_selectorELNS0_4arch9wavefront6targetE0EEEvSY_.uses_flat_scratch, 0
	.set _ZN7rocprim17ROCPRIM_400000_NS6detail17trampoline_kernelINS0_13select_configILj256ELj13ELNS0_17block_load_methodE3ELS4_3ELS4_3ELNS0_20block_scan_algorithmE0ELj4294967295EEENS1_25partition_config_selectorILNS1_17partition_subalgoE3EjNS0_10empty_typeEbEEZZNS1_14partition_implILS8_3ELb0ES6_jNS0_17counting_iteratorIjlEEPS9_SE_NS0_5tupleIJPjSE_EEENSF_IJSE_SE_EEES9_SG_JZNS1_25segmented_radix_sort_implINS0_14default_configELb0EPKhPhPKlPlN2at6native12_GLOBAL__N_18offset_tEEE10hipError_tPvRmT1_PNSt15iterator_traitsISY_E10value_typeET2_T3_PNSZ_IS14_E10value_typeET4_jRbjT5_S1A_jjP12ihipStream_tbEUljE_EEESV_SW_SX_S14_S18_S1A_T6_T7_T9_mT8_S1C_bDpT10_ENKUlT_T0_E_clISt17integral_constantIbLb0EES1O_IbLb1EEEEDaS1K_S1L_EUlS1K_E_NS1_11comp_targetILNS1_3genE2ELNS1_11target_archE906ELNS1_3gpuE6ELNS1_3repE0EEENS1_30default_config_static_selectorELNS0_4arch9wavefront6targetE0EEEvSY_.has_dyn_sized_stack, 0
	.set _ZN7rocprim17ROCPRIM_400000_NS6detail17trampoline_kernelINS0_13select_configILj256ELj13ELNS0_17block_load_methodE3ELS4_3ELS4_3ELNS0_20block_scan_algorithmE0ELj4294967295EEENS1_25partition_config_selectorILNS1_17partition_subalgoE3EjNS0_10empty_typeEbEEZZNS1_14partition_implILS8_3ELb0ES6_jNS0_17counting_iteratorIjlEEPS9_SE_NS0_5tupleIJPjSE_EEENSF_IJSE_SE_EEES9_SG_JZNS1_25segmented_radix_sort_implINS0_14default_configELb0EPKhPhPKlPlN2at6native12_GLOBAL__N_18offset_tEEE10hipError_tPvRmT1_PNSt15iterator_traitsISY_E10value_typeET2_T3_PNSZ_IS14_E10value_typeET4_jRbjT5_S1A_jjP12ihipStream_tbEUljE_EEESV_SW_SX_S14_S18_S1A_T6_T7_T9_mT8_S1C_bDpT10_ENKUlT_T0_E_clISt17integral_constantIbLb0EES1O_IbLb1EEEEDaS1K_S1L_EUlS1K_E_NS1_11comp_targetILNS1_3genE2ELNS1_11target_archE906ELNS1_3gpuE6ELNS1_3repE0EEENS1_30default_config_static_selectorELNS0_4arch9wavefront6targetE0EEEvSY_.has_recursion, 0
	.set _ZN7rocprim17ROCPRIM_400000_NS6detail17trampoline_kernelINS0_13select_configILj256ELj13ELNS0_17block_load_methodE3ELS4_3ELS4_3ELNS0_20block_scan_algorithmE0ELj4294967295EEENS1_25partition_config_selectorILNS1_17partition_subalgoE3EjNS0_10empty_typeEbEEZZNS1_14partition_implILS8_3ELb0ES6_jNS0_17counting_iteratorIjlEEPS9_SE_NS0_5tupleIJPjSE_EEENSF_IJSE_SE_EEES9_SG_JZNS1_25segmented_radix_sort_implINS0_14default_configELb0EPKhPhPKlPlN2at6native12_GLOBAL__N_18offset_tEEE10hipError_tPvRmT1_PNSt15iterator_traitsISY_E10value_typeET2_T3_PNSZ_IS14_E10value_typeET4_jRbjT5_S1A_jjP12ihipStream_tbEUljE_EEESV_SW_SX_S14_S18_S1A_T6_T7_T9_mT8_S1C_bDpT10_ENKUlT_T0_E_clISt17integral_constantIbLb0EES1O_IbLb1EEEEDaS1K_S1L_EUlS1K_E_NS1_11comp_targetILNS1_3genE2ELNS1_11target_archE906ELNS1_3gpuE6ELNS1_3repE0EEENS1_30default_config_static_selectorELNS0_4arch9wavefront6targetE0EEEvSY_.has_indirect_call, 0
	.section	.AMDGPU.csdata,"",@progbits
; Kernel info:
; codeLenInByte = 0
; TotalNumSgprs: 0
; NumVgprs: 0
; ScratchSize: 0
; MemoryBound: 0
; FloatMode: 240
; IeeeMode: 1
; LDSByteSize: 0 bytes/workgroup (compile time only)
; SGPRBlocks: 0
; VGPRBlocks: 0
; NumSGPRsForWavesPerEU: 1
; NumVGPRsForWavesPerEU: 1
; Occupancy: 16
; WaveLimiterHint : 0
; COMPUTE_PGM_RSRC2:SCRATCH_EN: 0
; COMPUTE_PGM_RSRC2:USER_SGPR: 6
; COMPUTE_PGM_RSRC2:TRAP_HANDLER: 0
; COMPUTE_PGM_RSRC2:TGID_X_EN: 1
; COMPUTE_PGM_RSRC2:TGID_Y_EN: 0
; COMPUTE_PGM_RSRC2:TGID_Z_EN: 0
; COMPUTE_PGM_RSRC2:TIDIG_COMP_CNT: 0
	.section	.text._ZN7rocprim17ROCPRIM_400000_NS6detail17trampoline_kernelINS0_13select_configILj256ELj13ELNS0_17block_load_methodE3ELS4_3ELS4_3ELNS0_20block_scan_algorithmE0ELj4294967295EEENS1_25partition_config_selectorILNS1_17partition_subalgoE3EjNS0_10empty_typeEbEEZZNS1_14partition_implILS8_3ELb0ES6_jNS0_17counting_iteratorIjlEEPS9_SE_NS0_5tupleIJPjSE_EEENSF_IJSE_SE_EEES9_SG_JZNS1_25segmented_radix_sort_implINS0_14default_configELb0EPKhPhPKlPlN2at6native12_GLOBAL__N_18offset_tEEE10hipError_tPvRmT1_PNSt15iterator_traitsISY_E10value_typeET2_T3_PNSZ_IS14_E10value_typeET4_jRbjT5_S1A_jjP12ihipStream_tbEUljE_EEESV_SW_SX_S14_S18_S1A_T6_T7_T9_mT8_S1C_bDpT10_ENKUlT_T0_E_clISt17integral_constantIbLb0EES1O_IbLb1EEEEDaS1K_S1L_EUlS1K_E_NS1_11comp_targetILNS1_3genE10ELNS1_11target_archE1200ELNS1_3gpuE4ELNS1_3repE0EEENS1_30default_config_static_selectorELNS0_4arch9wavefront6targetE0EEEvSY_,"axG",@progbits,_ZN7rocprim17ROCPRIM_400000_NS6detail17trampoline_kernelINS0_13select_configILj256ELj13ELNS0_17block_load_methodE3ELS4_3ELS4_3ELNS0_20block_scan_algorithmE0ELj4294967295EEENS1_25partition_config_selectorILNS1_17partition_subalgoE3EjNS0_10empty_typeEbEEZZNS1_14partition_implILS8_3ELb0ES6_jNS0_17counting_iteratorIjlEEPS9_SE_NS0_5tupleIJPjSE_EEENSF_IJSE_SE_EEES9_SG_JZNS1_25segmented_radix_sort_implINS0_14default_configELb0EPKhPhPKlPlN2at6native12_GLOBAL__N_18offset_tEEE10hipError_tPvRmT1_PNSt15iterator_traitsISY_E10value_typeET2_T3_PNSZ_IS14_E10value_typeET4_jRbjT5_S1A_jjP12ihipStream_tbEUljE_EEESV_SW_SX_S14_S18_S1A_T6_T7_T9_mT8_S1C_bDpT10_ENKUlT_T0_E_clISt17integral_constantIbLb0EES1O_IbLb1EEEEDaS1K_S1L_EUlS1K_E_NS1_11comp_targetILNS1_3genE10ELNS1_11target_archE1200ELNS1_3gpuE4ELNS1_3repE0EEENS1_30default_config_static_selectorELNS0_4arch9wavefront6targetE0EEEvSY_,comdat
	.globl	_ZN7rocprim17ROCPRIM_400000_NS6detail17trampoline_kernelINS0_13select_configILj256ELj13ELNS0_17block_load_methodE3ELS4_3ELS4_3ELNS0_20block_scan_algorithmE0ELj4294967295EEENS1_25partition_config_selectorILNS1_17partition_subalgoE3EjNS0_10empty_typeEbEEZZNS1_14partition_implILS8_3ELb0ES6_jNS0_17counting_iteratorIjlEEPS9_SE_NS0_5tupleIJPjSE_EEENSF_IJSE_SE_EEES9_SG_JZNS1_25segmented_radix_sort_implINS0_14default_configELb0EPKhPhPKlPlN2at6native12_GLOBAL__N_18offset_tEEE10hipError_tPvRmT1_PNSt15iterator_traitsISY_E10value_typeET2_T3_PNSZ_IS14_E10value_typeET4_jRbjT5_S1A_jjP12ihipStream_tbEUljE_EEESV_SW_SX_S14_S18_S1A_T6_T7_T9_mT8_S1C_bDpT10_ENKUlT_T0_E_clISt17integral_constantIbLb0EES1O_IbLb1EEEEDaS1K_S1L_EUlS1K_E_NS1_11comp_targetILNS1_3genE10ELNS1_11target_archE1200ELNS1_3gpuE4ELNS1_3repE0EEENS1_30default_config_static_selectorELNS0_4arch9wavefront6targetE0EEEvSY_ ; -- Begin function _ZN7rocprim17ROCPRIM_400000_NS6detail17trampoline_kernelINS0_13select_configILj256ELj13ELNS0_17block_load_methodE3ELS4_3ELS4_3ELNS0_20block_scan_algorithmE0ELj4294967295EEENS1_25partition_config_selectorILNS1_17partition_subalgoE3EjNS0_10empty_typeEbEEZZNS1_14partition_implILS8_3ELb0ES6_jNS0_17counting_iteratorIjlEEPS9_SE_NS0_5tupleIJPjSE_EEENSF_IJSE_SE_EEES9_SG_JZNS1_25segmented_radix_sort_implINS0_14default_configELb0EPKhPhPKlPlN2at6native12_GLOBAL__N_18offset_tEEE10hipError_tPvRmT1_PNSt15iterator_traitsISY_E10value_typeET2_T3_PNSZ_IS14_E10value_typeET4_jRbjT5_S1A_jjP12ihipStream_tbEUljE_EEESV_SW_SX_S14_S18_S1A_T6_T7_T9_mT8_S1C_bDpT10_ENKUlT_T0_E_clISt17integral_constantIbLb0EES1O_IbLb1EEEEDaS1K_S1L_EUlS1K_E_NS1_11comp_targetILNS1_3genE10ELNS1_11target_archE1200ELNS1_3gpuE4ELNS1_3repE0EEENS1_30default_config_static_selectorELNS0_4arch9wavefront6targetE0EEEvSY_
	.p2align	8
	.type	_ZN7rocprim17ROCPRIM_400000_NS6detail17trampoline_kernelINS0_13select_configILj256ELj13ELNS0_17block_load_methodE3ELS4_3ELS4_3ELNS0_20block_scan_algorithmE0ELj4294967295EEENS1_25partition_config_selectorILNS1_17partition_subalgoE3EjNS0_10empty_typeEbEEZZNS1_14partition_implILS8_3ELb0ES6_jNS0_17counting_iteratorIjlEEPS9_SE_NS0_5tupleIJPjSE_EEENSF_IJSE_SE_EEES9_SG_JZNS1_25segmented_radix_sort_implINS0_14default_configELb0EPKhPhPKlPlN2at6native12_GLOBAL__N_18offset_tEEE10hipError_tPvRmT1_PNSt15iterator_traitsISY_E10value_typeET2_T3_PNSZ_IS14_E10value_typeET4_jRbjT5_S1A_jjP12ihipStream_tbEUljE_EEESV_SW_SX_S14_S18_S1A_T6_T7_T9_mT8_S1C_bDpT10_ENKUlT_T0_E_clISt17integral_constantIbLb0EES1O_IbLb1EEEEDaS1K_S1L_EUlS1K_E_NS1_11comp_targetILNS1_3genE10ELNS1_11target_archE1200ELNS1_3gpuE4ELNS1_3repE0EEENS1_30default_config_static_selectorELNS0_4arch9wavefront6targetE0EEEvSY_,@function
_ZN7rocprim17ROCPRIM_400000_NS6detail17trampoline_kernelINS0_13select_configILj256ELj13ELNS0_17block_load_methodE3ELS4_3ELS4_3ELNS0_20block_scan_algorithmE0ELj4294967295EEENS1_25partition_config_selectorILNS1_17partition_subalgoE3EjNS0_10empty_typeEbEEZZNS1_14partition_implILS8_3ELb0ES6_jNS0_17counting_iteratorIjlEEPS9_SE_NS0_5tupleIJPjSE_EEENSF_IJSE_SE_EEES9_SG_JZNS1_25segmented_radix_sort_implINS0_14default_configELb0EPKhPhPKlPlN2at6native12_GLOBAL__N_18offset_tEEE10hipError_tPvRmT1_PNSt15iterator_traitsISY_E10value_typeET2_T3_PNSZ_IS14_E10value_typeET4_jRbjT5_S1A_jjP12ihipStream_tbEUljE_EEESV_SW_SX_S14_S18_S1A_T6_T7_T9_mT8_S1C_bDpT10_ENKUlT_T0_E_clISt17integral_constantIbLb0EES1O_IbLb1EEEEDaS1K_S1L_EUlS1K_E_NS1_11comp_targetILNS1_3genE10ELNS1_11target_archE1200ELNS1_3gpuE4ELNS1_3repE0EEENS1_30default_config_static_selectorELNS0_4arch9wavefront6targetE0EEEvSY_: ; @_ZN7rocprim17ROCPRIM_400000_NS6detail17trampoline_kernelINS0_13select_configILj256ELj13ELNS0_17block_load_methodE3ELS4_3ELS4_3ELNS0_20block_scan_algorithmE0ELj4294967295EEENS1_25partition_config_selectorILNS1_17partition_subalgoE3EjNS0_10empty_typeEbEEZZNS1_14partition_implILS8_3ELb0ES6_jNS0_17counting_iteratorIjlEEPS9_SE_NS0_5tupleIJPjSE_EEENSF_IJSE_SE_EEES9_SG_JZNS1_25segmented_radix_sort_implINS0_14default_configELb0EPKhPhPKlPlN2at6native12_GLOBAL__N_18offset_tEEE10hipError_tPvRmT1_PNSt15iterator_traitsISY_E10value_typeET2_T3_PNSZ_IS14_E10value_typeET4_jRbjT5_S1A_jjP12ihipStream_tbEUljE_EEESV_SW_SX_S14_S18_S1A_T6_T7_T9_mT8_S1C_bDpT10_ENKUlT_T0_E_clISt17integral_constantIbLb0EES1O_IbLb1EEEEDaS1K_S1L_EUlS1K_E_NS1_11comp_targetILNS1_3genE10ELNS1_11target_archE1200ELNS1_3gpuE4ELNS1_3repE0EEENS1_30default_config_static_selectorELNS0_4arch9wavefront6targetE0EEEvSY_
; %bb.0:
	.section	.rodata,"a",@progbits
	.p2align	6, 0x0
	.amdhsa_kernel _ZN7rocprim17ROCPRIM_400000_NS6detail17trampoline_kernelINS0_13select_configILj256ELj13ELNS0_17block_load_methodE3ELS4_3ELS4_3ELNS0_20block_scan_algorithmE0ELj4294967295EEENS1_25partition_config_selectorILNS1_17partition_subalgoE3EjNS0_10empty_typeEbEEZZNS1_14partition_implILS8_3ELb0ES6_jNS0_17counting_iteratorIjlEEPS9_SE_NS0_5tupleIJPjSE_EEENSF_IJSE_SE_EEES9_SG_JZNS1_25segmented_radix_sort_implINS0_14default_configELb0EPKhPhPKlPlN2at6native12_GLOBAL__N_18offset_tEEE10hipError_tPvRmT1_PNSt15iterator_traitsISY_E10value_typeET2_T3_PNSZ_IS14_E10value_typeET4_jRbjT5_S1A_jjP12ihipStream_tbEUljE_EEESV_SW_SX_S14_S18_S1A_T6_T7_T9_mT8_S1C_bDpT10_ENKUlT_T0_E_clISt17integral_constantIbLb0EES1O_IbLb1EEEEDaS1K_S1L_EUlS1K_E_NS1_11comp_targetILNS1_3genE10ELNS1_11target_archE1200ELNS1_3gpuE4ELNS1_3repE0EEENS1_30default_config_static_selectorELNS0_4arch9wavefront6targetE0EEEvSY_
		.amdhsa_group_segment_fixed_size 0
		.amdhsa_private_segment_fixed_size 0
		.amdhsa_kernarg_size 152
		.amdhsa_user_sgpr_count 6
		.amdhsa_user_sgpr_private_segment_buffer 1
		.amdhsa_user_sgpr_dispatch_ptr 0
		.amdhsa_user_sgpr_queue_ptr 0
		.amdhsa_user_sgpr_kernarg_segment_ptr 1
		.amdhsa_user_sgpr_dispatch_id 0
		.amdhsa_user_sgpr_flat_scratch_init 0
		.amdhsa_user_sgpr_private_segment_size 0
		.amdhsa_wavefront_size32 1
		.amdhsa_uses_dynamic_stack 0
		.amdhsa_system_sgpr_private_segment_wavefront_offset 0
		.amdhsa_system_sgpr_workgroup_id_x 1
		.amdhsa_system_sgpr_workgroup_id_y 0
		.amdhsa_system_sgpr_workgroup_id_z 0
		.amdhsa_system_sgpr_workgroup_info 0
		.amdhsa_system_vgpr_workitem_id 0
		.amdhsa_next_free_vgpr 1
		.amdhsa_next_free_sgpr 1
		.amdhsa_reserve_vcc 0
		.amdhsa_reserve_flat_scratch 0
		.amdhsa_float_round_mode_32 0
		.amdhsa_float_round_mode_16_64 0
		.amdhsa_float_denorm_mode_32 3
		.amdhsa_float_denorm_mode_16_64 3
		.amdhsa_dx10_clamp 1
		.amdhsa_ieee_mode 1
		.amdhsa_fp16_overflow 0
		.amdhsa_workgroup_processor_mode 1
		.amdhsa_memory_ordered 1
		.amdhsa_forward_progress 1
		.amdhsa_shared_vgpr_count 0
		.amdhsa_exception_fp_ieee_invalid_op 0
		.amdhsa_exception_fp_denorm_src 0
		.amdhsa_exception_fp_ieee_div_zero 0
		.amdhsa_exception_fp_ieee_overflow 0
		.amdhsa_exception_fp_ieee_underflow 0
		.amdhsa_exception_fp_ieee_inexact 0
		.amdhsa_exception_int_div_zero 0
	.end_amdhsa_kernel
	.section	.text._ZN7rocprim17ROCPRIM_400000_NS6detail17trampoline_kernelINS0_13select_configILj256ELj13ELNS0_17block_load_methodE3ELS4_3ELS4_3ELNS0_20block_scan_algorithmE0ELj4294967295EEENS1_25partition_config_selectorILNS1_17partition_subalgoE3EjNS0_10empty_typeEbEEZZNS1_14partition_implILS8_3ELb0ES6_jNS0_17counting_iteratorIjlEEPS9_SE_NS0_5tupleIJPjSE_EEENSF_IJSE_SE_EEES9_SG_JZNS1_25segmented_radix_sort_implINS0_14default_configELb0EPKhPhPKlPlN2at6native12_GLOBAL__N_18offset_tEEE10hipError_tPvRmT1_PNSt15iterator_traitsISY_E10value_typeET2_T3_PNSZ_IS14_E10value_typeET4_jRbjT5_S1A_jjP12ihipStream_tbEUljE_EEESV_SW_SX_S14_S18_S1A_T6_T7_T9_mT8_S1C_bDpT10_ENKUlT_T0_E_clISt17integral_constantIbLb0EES1O_IbLb1EEEEDaS1K_S1L_EUlS1K_E_NS1_11comp_targetILNS1_3genE10ELNS1_11target_archE1200ELNS1_3gpuE4ELNS1_3repE0EEENS1_30default_config_static_selectorELNS0_4arch9wavefront6targetE0EEEvSY_,"axG",@progbits,_ZN7rocprim17ROCPRIM_400000_NS6detail17trampoline_kernelINS0_13select_configILj256ELj13ELNS0_17block_load_methodE3ELS4_3ELS4_3ELNS0_20block_scan_algorithmE0ELj4294967295EEENS1_25partition_config_selectorILNS1_17partition_subalgoE3EjNS0_10empty_typeEbEEZZNS1_14partition_implILS8_3ELb0ES6_jNS0_17counting_iteratorIjlEEPS9_SE_NS0_5tupleIJPjSE_EEENSF_IJSE_SE_EEES9_SG_JZNS1_25segmented_radix_sort_implINS0_14default_configELb0EPKhPhPKlPlN2at6native12_GLOBAL__N_18offset_tEEE10hipError_tPvRmT1_PNSt15iterator_traitsISY_E10value_typeET2_T3_PNSZ_IS14_E10value_typeET4_jRbjT5_S1A_jjP12ihipStream_tbEUljE_EEESV_SW_SX_S14_S18_S1A_T6_T7_T9_mT8_S1C_bDpT10_ENKUlT_T0_E_clISt17integral_constantIbLb0EES1O_IbLb1EEEEDaS1K_S1L_EUlS1K_E_NS1_11comp_targetILNS1_3genE10ELNS1_11target_archE1200ELNS1_3gpuE4ELNS1_3repE0EEENS1_30default_config_static_selectorELNS0_4arch9wavefront6targetE0EEEvSY_,comdat
.Lfunc_end182:
	.size	_ZN7rocprim17ROCPRIM_400000_NS6detail17trampoline_kernelINS0_13select_configILj256ELj13ELNS0_17block_load_methodE3ELS4_3ELS4_3ELNS0_20block_scan_algorithmE0ELj4294967295EEENS1_25partition_config_selectorILNS1_17partition_subalgoE3EjNS0_10empty_typeEbEEZZNS1_14partition_implILS8_3ELb0ES6_jNS0_17counting_iteratorIjlEEPS9_SE_NS0_5tupleIJPjSE_EEENSF_IJSE_SE_EEES9_SG_JZNS1_25segmented_radix_sort_implINS0_14default_configELb0EPKhPhPKlPlN2at6native12_GLOBAL__N_18offset_tEEE10hipError_tPvRmT1_PNSt15iterator_traitsISY_E10value_typeET2_T3_PNSZ_IS14_E10value_typeET4_jRbjT5_S1A_jjP12ihipStream_tbEUljE_EEESV_SW_SX_S14_S18_S1A_T6_T7_T9_mT8_S1C_bDpT10_ENKUlT_T0_E_clISt17integral_constantIbLb0EES1O_IbLb1EEEEDaS1K_S1L_EUlS1K_E_NS1_11comp_targetILNS1_3genE10ELNS1_11target_archE1200ELNS1_3gpuE4ELNS1_3repE0EEENS1_30default_config_static_selectorELNS0_4arch9wavefront6targetE0EEEvSY_, .Lfunc_end182-_ZN7rocprim17ROCPRIM_400000_NS6detail17trampoline_kernelINS0_13select_configILj256ELj13ELNS0_17block_load_methodE3ELS4_3ELS4_3ELNS0_20block_scan_algorithmE0ELj4294967295EEENS1_25partition_config_selectorILNS1_17partition_subalgoE3EjNS0_10empty_typeEbEEZZNS1_14partition_implILS8_3ELb0ES6_jNS0_17counting_iteratorIjlEEPS9_SE_NS0_5tupleIJPjSE_EEENSF_IJSE_SE_EEES9_SG_JZNS1_25segmented_radix_sort_implINS0_14default_configELb0EPKhPhPKlPlN2at6native12_GLOBAL__N_18offset_tEEE10hipError_tPvRmT1_PNSt15iterator_traitsISY_E10value_typeET2_T3_PNSZ_IS14_E10value_typeET4_jRbjT5_S1A_jjP12ihipStream_tbEUljE_EEESV_SW_SX_S14_S18_S1A_T6_T7_T9_mT8_S1C_bDpT10_ENKUlT_T0_E_clISt17integral_constantIbLb0EES1O_IbLb1EEEEDaS1K_S1L_EUlS1K_E_NS1_11comp_targetILNS1_3genE10ELNS1_11target_archE1200ELNS1_3gpuE4ELNS1_3repE0EEENS1_30default_config_static_selectorELNS0_4arch9wavefront6targetE0EEEvSY_
                                        ; -- End function
	.set _ZN7rocprim17ROCPRIM_400000_NS6detail17trampoline_kernelINS0_13select_configILj256ELj13ELNS0_17block_load_methodE3ELS4_3ELS4_3ELNS0_20block_scan_algorithmE0ELj4294967295EEENS1_25partition_config_selectorILNS1_17partition_subalgoE3EjNS0_10empty_typeEbEEZZNS1_14partition_implILS8_3ELb0ES6_jNS0_17counting_iteratorIjlEEPS9_SE_NS0_5tupleIJPjSE_EEENSF_IJSE_SE_EEES9_SG_JZNS1_25segmented_radix_sort_implINS0_14default_configELb0EPKhPhPKlPlN2at6native12_GLOBAL__N_18offset_tEEE10hipError_tPvRmT1_PNSt15iterator_traitsISY_E10value_typeET2_T3_PNSZ_IS14_E10value_typeET4_jRbjT5_S1A_jjP12ihipStream_tbEUljE_EEESV_SW_SX_S14_S18_S1A_T6_T7_T9_mT8_S1C_bDpT10_ENKUlT_T0_E_clISt17integral_constantIbLb0EES1O_IbLb1EEEEDaS1K_S1L_EUlS1K_E_NS1_11comp_targetILNS1_3genE10ELNS1_11target_archE1200ELNS1_3gpuE4ELNS1_3repE0EEENS1_30default_config_static_selectorELNS0_4arch9wavefront6targetE0EEEvSY_.num_vgpr, 0
	.set _ZN7rocprim17ROCPRIM_400000_NS6detail17trampoline_kernelINS0_13select_configILj256ELj13ELNS0_17block_load_methodE3ELS4_3ELS4_3ELNS0_20block_scan_algorithmE0ELj4294967295EEENS1_25partition_config_selectorILNS1_17partition_subalgoE3EjNS0_10empty_typeEbEEZZNS1_14partition_implILS8_3ELb0ES6_jNS0_17counting_iteratorIjlEEPS9_SE_NS0_5tupleIJPjSE_EEENSF_IJSE_SE_EEES9_SG_JZNS1_25segmented_radix_sort_implINS0_14default_configELb0EPKhPhPKlPlN2at6native12_GLOBAL__N_18offset_tEEE10hipError_tPvRmT1_PNSt15iterator_traitsISY_E10value_typeET2_T3_PNSZ_IS14_E10value_typeET4_jRbjT5_S1A_jjP12ihipStream_tbEUljE_EEESV_SW_SX_S14_S18_S1A_T6_T7_T9_mT8_S1C_bDpT10_ENKUlT_T0_E_clISt17integral_constantIbLb0EES1O_IbLb1EEEEDaS1K_S1L_EUlS1K_E_NS1_11comp_targetILNS1_3genE10ELNS1_11target_archE1200ELNS1_3gpuE4ELNS1_3repE0EEENS1_30default_config_static_selectorELNS0_4arch9wavefront6targetE0EEEvSY_.num_agpr, 0
	.set _ZN7rocprim17ROCPRIM_400000_NS6detail17trampoline_kernelINS0_13select_configILj256ELj13ELNS0_17block_load_methodE3ELS4_3ELS4_3ELNS0_20block_scan_algorithmE0ELj4294967295EEENS1_25partition_config_selectorILNS1_17partition_subalgoE3EjNS0_10empty_typeEbEEZZNS1_14partition_implILS8_3ELb0ES6_jNS0_17counting_iteratorIjlEEPS9_SE_NS0_5tupleIJPjSE_EEENSF_IJSE_SE_EEES9_SG_JZNS1_25segmented_radix_sort_implINS0_14default_configELb0EPKhPhPKlPlN2at6native12_GLOBAL__N_18offset_tEEE10hipError_tPvRmT1_PNSt15iterator_traitsISY_E10value_typeET2_T3_PNSZ_IS14_E10value_typeET4_jRbjT5_S1A_jjP12ihipStream_tbEUljE_EEESV_SW_SX_S14_S18_S1A_T6_T7_T9_mT8_S1C_bDpT10_ENKUlT_T0_E_clISt17integral_constantIbLb0EES1O_IbLb1EEEEDaS1K_S1L_EUlS1K_E_NS1_11comp_targetILNS1_3genE10ELNS1_11target_archE1200ELNS1_3gpuE4ELNS1_3repE0EEENS1_30default_config_static_selectorELNS0_4arch9wavefront6targetE0EEEvSY_.numbered_sgpr, 0
	.set _ZN7rocprim17ROCPRIM_400000_NS6detail17trampoline_kernelINS0_13select_configILj256ELj13ELNS0_17block_load_methodE3ELS4_3ELS4_3ELNS0_20block_scan_algorithmE0ELj4294967295EEENS1_25partition_config_selectorILNS1_17partition_subalgoE3EjNS0_10empty_typeEbEEZZNS1_14partition_implILS8_3ELb0ES6_jNS0_17counting_iteratorIjlEEPS9_SE_NS0_5tupleIJPjSE_EEENSF_IJSE_SE_EEES9_SG_JZNS1_25segmented_radix_sort_implINS0_14default_configELb0EPKhPhPKlPlN2at6native12_GLOBAL__N_18offset_tEEE10hipError_tPvRmT1_PNSt15iterator_traitsISY_E10value_typeET2_T3_PNSZ_IS14_E10value_typeET4_jRbjT5_S1A_jjP12ihipStream_tbEUljE_EEESV_SW_SX_S14_S18_S1A_T6_T7_T9_mT8_S1C_bDpT10_ENKUlT_T0_E_clISt17integral_constantIbLb0EES1O_IbLb1EEEEDaS1K_S1L_EUlS1K_E_NS1_11comp_targetILNS1_3genE10ELNS1_11target_archE1200ELNS1_3gpuE4ELNS1_3repE0EEENS1_30default_config_static_selectorELNS0_4arch9wavefront6targetE0EEEvSY_.num_named_barrier, 0
	.set _ZN7rocprim17ROCPRIM_400000_NS6detail17trampoline_kernelINS0_13select_configILj256ELj13ELNS0_17block_load_methodE3ELS4_3ELS4_3ELNS0_20block_scan_algorithmE0ELj4294967295EEENS1_25partition_config_selectorILNS1_17partition_subalgoE3EjNS0_10empty_typeEbEEZZNS1_14partition_implILS8_3ELb0ES6_jNS0_17counting_iteratorIjlEEPS9_SE_NS0_5tupleIJPjSE_EEENSF_IJSE_SE_EEES9_SG_JZNS1_25segmented_radix_sort_implINS0_14default_configELb0EPKhPhPKlPlN2at6native12_GLOBAL__N_18offset_tEEE10hipError_tPvRmT1_PNSt15iterator_traitsISY_E10value_typeET2_T3_PNSZ_IS14_E10value_typeET4_jRbjT5_S1A_jjP12ihipStream_tbEUljE_EEESV_SW_SX_S14_S18_S1A_T6_T7_T9_mT8_S1C_bDpT10_ENKUlT_T0_E_clISt17integral_constantIbLb0EES1O_IbLb1EEEEDaS1K_S1L_EUlS1K_E_NS1_11comp_targetILNS1_3genE10ELNS1_11target_archE1200ELNS1_3gpuE4ELNS1_3repE0EEENS1_30default_config_static_selectorELNS0_4arch9wavefront6targetE0EEEvSY_.private_seg_size, 0
	.set _ZN7rocprim17ROCPRIM_400000_NS6detail17trampoline_kernelINS0_13select_configILj256ELj13ELNS0_17block_load_methodE3ELS4_3ELS4_3ELNS0_20block_scan_algorithmE0ELj4294967295EEENS1_25partition_config_selectorILNS1_17partition_subalgoE3EjNS0_10empty_typeEbEEZZNS1_14partition_implILS8_3ELb0ES6_jNS0_17counting_iteratorIjlEEPS9_SE_NS0_5tupleIJPjSE_EEENSF_IJSE_SE_EEES9_SG_JZNS1_25segmented_radix_sort_implINS0_14default_configELb0EPKhPhPKlPlN2at6native12_GLOBAL__N_18offset_tEEE10hipError_tPvRmT1_PNSt15iterator_traitsISY_E10value_typeET2_T3_PNSZ_IS14_E10value_typeET4_jRbjT5_S1A_jjP12ihipStream_tbEUljE_EEESV_SW_SX_S14_S18_S1A_T6_T7_T9_mT8_S1C_bDpT10_ENKUlT_T0_E_clISt17integral_constantIbLb0EES1O_IbLb1EEEEDaS1K_S1L_EUlS1K_E_NS1_11comp_targetILNS1_3genE10ELNS1_11target_archE1200ELNS1_3gpuE4ELNS1_3repE0EEENS1_30default_config_static_selectorELNS0_4arch9wavefront6targetE0EEEvSY_.uses_vcc, 0
	.set _ZN7rocprim17ROCPRIM_400000_NS6detail17trampoline_kernelINS0_13select_configILj256ELj13ELNS0_17block_load_methodE3ELS4_3ELS4_3ELNS0_20block_scan_algorithmE0ELj4294967295EEENS1_25partition_config_selectorILNS1_17partition_subalgoE3EjNS0_10empty_typeEbEEZZNS1_14partition_implILS8_3ELb0ES6_jNS0_17counting_iteratorIjlEEPS9_SE_NS0_5tupleIJPjSE_EEENSF_IJSE_SE_EEES9_SG_JZNS1_25segmented_radix_sort_implINS0_14default_configELb0EPKhPhPKlPlN2at6native12_GLOBAL__N_18offset_tEEE10hipError_tPvRmT1_PNSt15iterator_traitsISY_E10value_typeET2_T3_PNSZ_IS14_E10value_typeET4_jRbjT5_S1A_jjP12ihipStream_tbEUljE_EEESV_SW_SX_S14_S18_S1A_T6_T7_T9_mT8_S1C_bDpT10_ENKUlT_T0_E_clISt17integral_constantIbLb0EES1O_IbLb1EEEEDaS1K_S1L_EUlS1K_E_NS1_11comp_targetILNS1_3genE10ELNS1_11target_archE1200ELNS1_3gpuE4ELNS1_3repE0EEENS1_30default_config_static_selectorELNS0_4arch9wavefront6targetE0EEEvSY_.uses_flat_scratch, 0
	.set _ZN7rocprim17ROCPRIM_400000_NS6detail17trampoline_kernelINS0_13select_configILj256ELj13ELNS0_17block_load_methodE3ELS4_3ELS4_3ELNS0_20block_scan_algorithmE0ELj4294967295EEENS1_25partition_config_selectorILNS1_17partition_subalgoE3EjNS0_10empty_typeEbEEZZNS1_14partition_implILS8_3ELb0ES6_jNS0_17counting_iteratorIjlEEPS9_SE_NS0_5tupleIJPjSE_EEENSF_IJSE_SE_EEES9_SG_JZNS1_25segmented_radix_sort_implINS0_14default_configELb0EPKhPhPKlPlN2at6native12_GLOBAL__N_18offset_tEEE10hipError_tPvRmT1_PNSt15iterator_traitsISY_E10value_typeET2_T3_PNSZ_IS14_E10value_typeET4_jRbjT5_S1A_jjP12ihipStream_tbEUljE_EEESV_SW_SX_S14_S18_S1A_T6_T7_T9_mT8_S1C_bDpT10_ENKUlT_T0_E_clISt17integral_constantIbLb0EES1O_IbLb1EEEEDaS1K_S1L_EUlS1K_E_NS1_11comp_targetILNS1_3genE10ELNS1_11target_archE1200ELNS1_3gpuE4ELNS1_3repE0EEENS1_30default_config_static_selectorELNS0_4arch9wavefront6targetE0EEEvSY_.has_dyn_sized_stack, 0
	.set _ZN7rocprim17ROCPRIM_400000_NS6detail17trampoline_kernelINS0_13select_configILj256ELj13ELNS0_17block_load_methodE3ELS4_3ELS4_3ELNS0_20block_scan_algorithmE0ELj4294967295EEENS1_25partition_config_selectorILNS1_17partition_subalgoE3EjNS0_10empty_typeEbEEZZNS1_14partition_implILS8_3ELb0ES6_jNS0_17counting_iteratorIjlEEPS9_SE_NS0_5tupleIJPjSE_EEENSF_IJSE_SE_EEES9_SG_JZNS1_25segmented_radix_sort_implINS0_14default_configELb0EPKhPhPKlPlN2at6native12_GLOBAL__N_18offset_tEEE10hipError_tPvRmT1_PNSt15iterator_traitsISY_E10value_typeET2_T3_PNSZ_IS14_E10value_typeET4_jRbjT5_S1A_jjP12ihipStream_tbEUljE_EEESV_SW_SX_S14_S18_S1A_T6_T7_T9_mT8_S1C_bDpT10_ENKUlT_T0_E_clISt17integral_constantIbLb0EES1O_IbLb1EEEEDaS1K_S1L_EUlS1K_E_NS1_11comp_targetILNS1_3genE10ELNS1_11target_archE1200ELNS1_3gpuE4ELNS1_3repE0EEENS1_30default_config_static_selectorELNS0_4arch9wavefront6targetE0EEEvSY_.has_recursion, 0
	.set _ZN7rocprim17ROCPRIM_400000_NS6detail17trampoline_kernelINS0_13select_configILj256ELj13ELNS0_17block_load_methodE3ELS4_3ELS4_3ELNS0_20block_scan_algorithmE0ELj4294967295EEENS1_25partition_config_selectorILNS1_17partition_subalgoE3EjNS0_10empty_typeEbEEZZNS1_14partition_implILS8_3ELb0ES6_jNS0_17counting_iteratorIjlEEPS9_SE_NS0_5tupleIJPjSE_EEENSF_IJSE_SE_EEES9_SG_JZNS1_25segmented_radix_sort_implINS0_14default_configELb0EPKhPhPKlPlN2at6native12_GLOBAL__N_18offset_tEEE10hipError_tPvRmT1_PNSt15iterator_traitsISY_E10value_typeET2_T3_PNSZ_IS14_E10value_typeET4_jRbjT5_S1A_jjP12ihipStream_tbEUljE_EEESV_SW_SX_S14_S18_S1A_T6_T7_T9_mT8_S1C_bDpT10_ENKUlT_T0_E_clISt17integral_constantIbLb0EES1O_IbLb1EEEEDaS1K_S1L_EUlS1K_E_NS1_11comp_targetILNS1_3genE10ELNS1_11target_archE1200ELNS1_3gpuE4ELNS1_3repE0EEENS1_30default_config_static_selectorELNS0_4arch9wavefront6targetE0EEEvSY_.has_indirect_call, 0
	.section	.AMDGPU.csdata,"",@progbits
; Kernel info:
; codeLenInByte = 0
; TotalNumSgprs: 0
; NumVgprs: 0
; ScratchSize: 0
; MemoryBound: 0
; FloatMode: 240
; IeeeMode: 1
; LDSByteSize: 0 bytes/workgroup (compile time only)
; SGPRBlocks: 0
; VGPRBlocks: 0
; NumSGPRsForWavesPerEU: 1
; NumVGPRsForWavesPerEU: 1
; Occupancy: 16
; WaveLimiterHint : 0
; COMPUTE_PGM_RSRC2:SCRATCH_EN: 0
; COMPUTE_PGM_RSRC2:USER_SGPR: 6
; COMPUTE_PGM_RSRC2:TRAP_HANDLER: 0
; COMPUTE_PGM_RSRC2:TGID_X_EN: 1
; COMPUTE_PGM_RSRC2:TGID_Y_EN: 0
; COMPUTE_PGM_RSRC2:TGID_Z_EN: 0
; COMPUTE_PGM_RSRC2:TIDIG_COMP_CNT: 0
	.section	.text._ZN7rocprim17ROCPRIM_400000_NS6detail17trampoline_kernelINS0_13select_configILj256ELj13ELNS0_17block_load_methodE3ELS4_3ELS4_3ELNS0_20block_scan_algorithmE0ELj4294967295EEENS1_25partition_config_selectorILNS1_17partition_subalgoE3EjNS0_10empty_typeEbEEZZNS1_14partition_implILS8_3ELb0ES6_jNS0_17counting_iteratorIjlEEPS9_SE_NS0_5tupleIJPjSE_EEENSF_IJSE_SE_EEES9_SG_JZNS1_25segmented_radix_sort_implINS0_14default_configELb0EPKhPhPKlPlN2at6native12_GLOBAL__N_18offset_tEEE10hipError_tPvRmT1_PNSt15iterator_traitsISY_E10value_typeET2_T3_PNSZ_IS14_E10value_typeET4_jRbjT5_S1A_jjP12ihipStream_tbEUljE_EEESV_SW_SX_S14_S18_S1A_T6_T7_T9_mT8_S1C_bDpT10_ENKUlT_T0_E_clISt17integral_constantIbLb0EES1O_IbLb1EEEEDaS1K_S1L_EUlS1K_E_NS1_11comp_targetILNS1_3genE9ELNS1_11target_archE1100ELNS1_3gpuE3ELNS1_3repE0EEENS1_30default_config_static_selectorELNS0_4arch9wavefront6targetE0EEEvSY_,"axG",@progbits,_ZN7rocprim17ROCPRIM_400000_NS6detail17trampoline_kernelINS0_13select_configILj256ELj13ELNS0_17block_load_methodE3ELS4_3ELS4_3ELNS0_20block_scan_algorithmE0ELj4294967295EEENS1_25partition_config_selectorILNS1_17partition_subalgoE3EjNS0_10empty_typeEbEEZZNS1_14partition_implILS8_3ELb0ES6_jNS0_17counting_iteratorIjlEEPS9_SE_NS0_5tupleIJPjSE_EEENSF_IJSE_SE_EEES9_SG_JZNS1_25segmented_radix_sort_implINS0_14default_configELb0EPKhPhPKlPlN2at6native12_GLOBAL__N_18offset_tEEE10hipError_tPvRmT1_PNSt15iterator_traitsISY_E10value_typeET2_T3_PNSZ_IS14_E10value_typeET4_jRbjT5_S1A_jjP12ihipStream_tbEUljE_EEESV_SW_SX_S14_S18_S1A_T6_T7_T9_mT8_S1C_bDpT10_ENKUlT_T0_E_clISt17integral_constantIbLb0EES1O_IbLb1EEEEDaS1K_S1L_EUlS1K_E_NS1_11comp_targetILNS1_3genE9ELNS1_11target_archE1100ELNS1_3gpuE3ELNS1_3repE0EEENS1_30default_config_static_selectorELNS0_4arch9wavefront6targetE0EEEvSY_,comdat
	.globl	_ZN7rocprim17ROCPRIM_400000_NS6detail17trampoline_kernelINS0_13select_configILj256ELj13ELNS0_17block_load_methodE3ELS4_3ELS4_3ELNS0_20block_scan_algorithmE0ELj4294967295EEENS1_25partition_config_selectorILNS1_17partition_subalgoE3EjNS0_10empty_typeEbEEZZNS1_14partition_implILS8_3ELb0ES6_jNS0_17counting_iteratorIjlEEPS9_SE_NS0_5tupleIJPjSE_EEENSF_IJSE_SE_EEES9_SG_JZNS1_25segmented_radix_sort_implINS0_14default_configELb0EPKhPhPKlPlN2at6native12_GLOBAL__N_18offset_tEEE10hipError_tPvRmT1_PNSt15iterator_traitsISY_E10value_typeET2_T3_PNSZ_IS14_E10value_typeET4_jRbjT5_S1A_jjP12ihipStream_tbEUljE_EEESV_SW_SX_S14_S18_S1A_T6_T7_T9_mT8_S1C_bDpT10_ENKUlT_T0_E_clISt17integral_constantIbLb0EES1O_IbLb1EEEEDaS1K_S1L_EUlS1K_E_NS1_11comp_targetILNS1_3genE9ELNS1_11target_archE1100ELNS1_3gpuE3ELNS1_3repE0EEENS1_30default_config_static_selectorELNS0_4arch9wavefront6targetE0EEEvSY_ ; -- Begin function _ZN7rocprim17ROCPRIM_400000_NS6detail17trampoline_kernelINS0_13select_configILj256ELj13ELNS0_17block_load_methodE3ELS4_3ELS4_3ELNS0_20block_scan_algorithmE0ELj4294967295EEENS1_25partition_config_selectorILNS1_17partition_subalgoE3EjNS0_10empty_typeEbEEZZNS1_14partition_implILS8_3ELb0ES6_jNS0_17counting_iteratorIjlEEPS9_SE_NS0_5tupleIJPjSE_EEENSF_IJSE_SE_EEES9_SG_JZNS1_25segmented_radix_sort_implINS0_14default_configELb0EPKhPhPKlPlN2at6native12_GLOBAL__N_18offset_tEEE10hipError_tPvRmT1_PNSt15iterator_traitsISY_E10value_typeET2_T3_PNSZ_IS14_E10value_typeET4_jRbjT5_S1A_jjP12ihipStream_tbEUljE_EEESV_SW_SX_S14_S18_S1A_T6_T7_T9_mT8_S1C_bDpT10_ENKUlT_T0_E_clISt17integral_constantIbLb0EES1O_IbLb1EEEEDaS1K_S1L_EUlS1K_E_NS1_11comp_targetILNS1_3genE9ELNS1_11target_archE1100ELNS1_3gpuE3ELNS1_3repE0EEENS1_30default_config_static_selectorELNS0_4arch9wavefront6targetE0EEEvSY_
	.p2align	8
	.type	_ZN7rocprim17ROCPRIM_400000_NS6detail17trampoline_kernelINS0_13select_configILj256ELj13ELNS0_17block_load_methodE3ELS4_3ELS4_3ELNS0_20block_scan_algorithmE0ELj4294967295EEENS1_25partition_config_selectorILNS1_17partition_subalgoE3EjNS0_10empty_typeEbEEZZNS1_14partition_implILS8_3ELb0ES6_jNS0_17counting_iteratorIjlEEPS9_SE_NS0_5tupleIJPjSE_EEENSF_IJSE_SE_EEES9_SG_JZNS1_25segmented_radix_sort_implINS0_14default_configELb0EPKhPhPKlPlN2at6native12_GLOBAL__N_18offset_tEEE10hipError_tPvRmT1_PNSt15iterator_traitsISY_E10value_typeET2_T3_PNSZ_IS14_E10value_typeET4_jRbjT5_S1A_jjP12ihipStream_tbEUljE_EEESV_SW_SX_S14_S18_S1A_T6_T7_T9_mT8_S1C_bDpT10_ENKUlT_T0_E_clISt17integral_constantIbLb0EES1O_IbLb1EEEEDaS1K_S1L_EUlS1K_E_NS1_11comp_targetILNS1_3genE9ELNS1_11target_archE1100ELNS1_3gpuE3ELNS1_3repE0EEENS1_30default_config_static_selectorELNS0_4arch9wavefront6targetE0EEEvSY_,@function
_ZN7rocprim17ROCPRIM_400000_NS6detail17trampoline_kernelINS0_13select_configILj256ELj13ELNS0_17block_load_methodE3ELS4_3ELS4_3ELNS0_20block_scan_algorithmE0ELj4294967295EEENS1_25partition_config_selectorILNS1_17partition_subalgoE3EjNS0_10empty_typeEbEEZZNS1_14partition_implILS8_3ELb0ES6_jNS0_17counting_iteratorIjlEEPS9_SE_NS0_5tupleIJPjSE_EEENSF_IJSE_SE_EEES9_SG_JZNS1_25segmented_radix_sort_implINS0_14default_configELb0EPKhPhPKlPlN2at6native12_GLOBAL__N_18offset_tEEE10hipError_tPvRmT1_PNSt15iterator_traitsISY_E10value_typeET2_T3_PNSZ_IS14_E10value_typeET4_jRbjT5_S1A_jjP12ihipStream_tbEUljE_EEESV_SW_SX_S14_S18_S1A_T6_T7_T9_mT8_S1C_bDpT10_ENKUlT_T0_E_clISt17integral_constantIbLb0EES1O_IbLb1EEEEDaS1K_S1L_EUlS1K_E_NS1_11comp_targetILNS1_3genE9ELNS1_11target_archE1100ELNS1_3gpuE3ELNS1_3repE0EEENS1_30default_config_static_selectorELNS0_4arch9wavefront6targetE0EEEvSY_: ; @_ZN7rocprim17ROCPRIM_400000_NS6detail17trampoline_kernelINS0_13select_configILj256ELj13ELNS0_17block_load_methodE3ELS4_3ELS4_3ELNS0_20block_scan_algorithmE0ELj4294967295EEENS1_25partition_config_selectorILNS1_17partition_subalgoE3EjNS0_10empty_typeEbEEZZNS1_14partition_implILS8_3ELb0ES6_jNS0_17counting_iteratorIjlEEPS9_SE_NS0_5tupleIJPjSE_EEENSF_IJSE_SE_EEES9_SG_JZNS1_25segmented_radix_sort_implINS0_14default_configELb0EPKhPhPKlPlN2at6native12_GLOBAL__N_18offset_tEEE10hipError_tPvRmT1_PNSt15iterator_traitsISY_E10value_typeET2_T3_PNSZ_IS14_E10value_typeET4_jRbjT5_S1A_jjP12ihipStream_tbEUljE_EEESV_SW_SX_S14_S18_S1A_T6_T7_T9_mT8_S1C_bDpT10_ENKUlT_T0_E_clISt17integral_constantIbLb0EES1O_IbLb1EEEEDaS1K_S1L_EUlS1K_E_NS1_11comp_targetILNS1_3genE9ELNS1_11target_archE1100ELNS1_3gpuE3ELNS1_3repE0EEENS1_30default_config_static_selectorELNS0_4arch9wavefront6targetE0EEEvSY_
; %bb.0:
	.section	.rodata,"a",@progbits
	.p2align	6, 0x0
	.amdhsa_kernel _ZN7rocprim17ROCPRIM_400000_NS6detail17trampoline_kernelINS0_13select_configILj256ELj13ELNS0_17block_load_methodE3ELS4_3ELS4_3ELNS0_20block_scan_algorithmE0ELj4294967295EEENS1_25partition_config_selectorILNS1_17partition_subalgoE3EjNS0_10empty_typeEbEEZZNS1_14partition_implILS8_3ELb0ES6_jNS0_17counting_iteratorIjlEEPS9_SE_NS0_5tupleIJPjSE_EEENSF_IJSE_SE_EEES9_SG_JZNS1_25segmented_radix_sort_implINS0_14default_configELb0EPKhPhPKlPlN2at6native12_GLOBAL__N_18offset_tEEE10hipError_tPvRmT1_PNSt15iterator_traitsISY_E10value_typeET2_T3_PNSZ_IS14_E10value_typeET4_jRbjT5_S1A_jjP12ihipStream_tbEUljE_EEESV_SW_SX_S14_S18_S1A_T6_T7_T9_mT8_S1C_bDpT10_ENKUlT_T0_E_clISt17integral_constantIbLb0EES1O_IbLb1EEEEDaS1K_S1L_EUlS1K_E_NS1_11comp_targetILNS1_3genE9ELNS1_11target_archE1100ELNS1_3gpuE3ELNS1_3repE0EEENS1_30default_config_static_selectorELNS0_4arch9wavefront6targetE0EEEvSY_
		.amdhsa_group_segment_fixed_size 0
		.amdhsa_private_segment_fixed_size 0
		.amdhsa_kernarg_size 152
		.amdhsa_user_sgpr_count 6
		.amdhsa_user_sgpr_private_segment_buffer 1
		.amdhsa_user_sgpr_dispatch_ptr 0
		.amdhsa_user_sgpr_queue_ptr 0
		.amdhsa_user_sgpr_kernarg_segment_ptr 1
		.amdhsa_user_sgpr_dispatch_id 0
		.amdhsa_user_sgpr_flat_scratch_init 0
		.amdhsa_user_sgpr_private_segment_size 0
		.amdhsa_wavefront_size32 1
		.amdhsa_uses_dynamic_stack 0
		.amdhsa_system_sgpr_private_segment_wavefront_offset 0
		.amdhsa_system_sgpr_workgroup_id_x 1
		.amdhsa_system_sgpr_workgroup_id_y 0
		.amdhsa_system_sgpr_workgroup_id_z 0
		.amdhsa_system_sgpr_workgroup_info 0
		.amdhsa_system_vgpr_workitem_id 0
		.amdhsa_next_free_vgpr 1
		.amdhsa_next_free_sgpr 1
		.amdhsa_reserve_vcc 0
		.amdhsa_reserve_flat_scratch 0
		.amdhsa_float_round_mode_32 0
		.amdhsa_float_round_mode_16_64 0
		.amdhsa_float_denorm_mode_32 3
		.amdhsa_float_denorm_mode_16_64 3
		.amdhsa_dx10_clamp 1
		.amdhsa_ieee_mode 1
		.amdhsa_fp16_overflow 0
		.amdhsa_workgroup_processor_mode 1
		.amdhsa_memory_ordered 1
		.amdhsa_forward_progress 1
		.amdhsa_shared_vgpr_count 0
		.amdhsa_exception_fp_ieee_invalid_op 0
		.amdhsa_exception_fp_denorm_src 0
		.amdhsa_exception_fp_ieee_div_zero 0
		.amdhsa_exception_fp_ieee_overflow 0
		.amdhsa_exception_fp_ieee_underflow 0
		.amdhsa_exception_fp_ieee_inexact 0
		.amdhsa_exception_int_div_zero 0
	.end_amdhsa_kernel
	.section	.text._ZN7rocprim17ROCPRIM_400000_NS6detail17trampoline_kernelINS0_13select_configILj256ELj13ELNS0_17block_load_methodE3ELS4_3ELS4_3ELNS0_20block_scan_algorithmE0ELj4294967295EEENS1_25partition_config_selectorILNS1_17partition_subalgoE3EjNS0_10empty_typeEbEEZZNS1_14partition_implILS8_3ELb0ES6_jNS0_17counting_iteratorIjlEEPS9_SE_NS0_5tupleIJPjSE_EEENSF_IJSE_SE_EEES9_SG_JZNS1_25segmented_radix_sort_implINS0_14default_configELb0EPKhPhPKlPlN2at6native12_GLOBAL__N_18offset_tEEE10hipError_tPvRmT1_PNSt15iterator_traitsISY_E10value_typeET2_T3_PNSZ_IS14_E10value_typeET4_jRbjT5_S1A_jjP12ihipStream_tbEUljE_EEESV_SW_SX_S14_S18_S1A_T6_T7_T9_mT8_S1C_bDpT10_ENKUlT_T0_E_clISt17integral_constantIbLb0EES1O_IbLb1EEEEDaS1K_S1L_EUlS1K_E_NS1_11comp_targetILNS1_3genE9ELNS1_11target_archE1100ELNS1_3gpuE3ELNS1_3repE0EEENS1_30default_config_static_selectorELNS0_4arch9wavefront6targetE0EEEvSY_,"axG",@progbits,_ZN7rocprim17ROCPRIM_400000_NS6detail17trampoline_kernelINS0_13select_configILj256ELj13ELNS0_17block_load_methodE3ELS4_3ELS4_3ELNS0_20block_scan_algorithmE0ELj4294967295EEENS1_25partition_config_selectorILNS1_17partition_subalgoE3EjNS0_10empty_typeEbEEZZNS1_14partition_implILS8_3ELb0ES6_jNS0_17counting_iteratorIjlEEPS9_SE_NS0_5tupleIJPjSE_EEENSF_IJSE_SE_EEES9_SG_JZNS1_25segmented_radix_sort_implINS0_14default_configELb0EPKhPhPKlPlN2at6native12_GLOBAL__N_18offset_tEEE10hipError_tPvRmT1_PNSt15iterator_traitsISY_E10value_typeET2_T3_PNSZ_IS14_E10value_typeET4_jRbjT5_S1A_jjP12ihipStream_tbEUljE_EEESV_SW_SX_S14_S18_S1A_T6_T7_T9_mT8_S1C_bDpT10_ENKUlT_T0_E_clISt17integral_constantIbLb0EES1O_IbLb1EEEEDaS1K_S1L_EUlS1K_E_NS1_11comp_targetILNS1_3genE9ELNS1_11target_archE1100ELNS1_3gpuE3ELNS1_3repE0EEENS1_30default_config_static_selectorELNS0_4arch9wavefront6targetE0EEEvSY_,comdat
.Lfunc_end183:
	.size	_ZN7rocprim17ROCPRIM_400000_NS6detail17trampoline_kernelINS0_13select_configILj256ELj13ELNS0_17block_load_methodE3ELS4_3ELS4_3ELNS0_20block_scan_algorithmE0ELj4294967295EEENS1_25partition_config_selectorILNS1_17partition_subalgoE3EjNS0_10empty_typeEbEEZZNS1_14partition_implILS8_3ELb0ES6_jNS0_17counting_iteratorIjlEEPS9_SE_NS0_5tupleIJPjSE_EEENSF_IJSE_SE_EEES9_SG_JZNS1_25segmented_radix_sort_implINS0_14default_configELb0EPKhPhPKlPlN2at6native12_GLOBAL__N_18offset_tEEE10hipError_tPvRmT1_PNSt15iterator_traitsISY_E10value_typeET2_T3_PNSZ_IS14_E10value_typeET4_jRbjT5_S1A_jjP12ihipStream_tbEUljE_EEESV_SW_SX_S14_S18_S1A_T6_T7_T9_mT8_S1C_bDpT10_ENKUlT_T0_E_clISt17integral_constantIbLb0EES1O_IbLb1EEEEDaS1K_S1L_EUlS1K_E_NS1_11comp_targetILNS1_3genE9ELNS1_11target_archE1100ELNS1_3gpuE3ELNS1_3repE0EEENS1_30default_config_static_selectorELNS0_4arch9wavefront6targetE0EEEvSY_, .Lfunc_end183-_ZN7rocprim17ROCPRIM_400000_NS6detail17trampoline_kernelINS0_13select_configILj256ELj13ELNS0_17block_load_methodE3ELS4_3ELS4_3ELNS0_20block_scan_algorithmE0ELj4294967295EEENS1_25partition_config_selectorILNS1_17partition_subalgoE3EjNS0_10empty_typeEbEEZZNS1_14partition_implILS8_3ELb0ES6_jNS0_17counting_iteratorIjlEEPS9_SE_NS0_5tupleIJPjSE_EEENSF_IJSE_SE_EEES9_SG_JZNS1_25segmented_radix_sort_implINS0_14default_configELb0EPKhPhPKlPlN2at6native12_GLOBAL__N_18offset_tEEE10hipError_tPvRmT1_PNSt15iterator_traitsISY_E10value_typeET2_T3_PNSZ_IS14_E10value_typeET4_jRbjT5_S1A_jjP12ihipStream_tbEUljE_EEESV_SW_SX_S14_S18_S1A_T6_T7_T9_mT8_S1C_bDpT10_ENKUlT_T0_E_clISt17integral_constantIbLb0EES1O_IbLb1EEEEDaS1K_S1L_EUlS1K_E_NS1_11comp_targetILNS1_3genE9ELNS1_11target_archE1100ELNS1_3gpuE3ELNS1_3repE0EEENS1_30default_config_static_selectorELNS0_4arch9wavefront6targetE0EEEvSY_
                                        ; -- End function
	.set _ZN7rocprim17ROCPRIM_400000_NS6detail17trampoline_kernelINS0_13select_configILj256ELj13ELNS0_17block_load_methodE3ELS4_3ELS4_3ELNS0_20block_scan_algorithmE0ELj4294967295EEENS1_25partition_config_selectorILNS1_17partition_subalgoE3EjNS0_10empty_typeEbEEZZNS1_14partition_implILS8_3ELb0ES6_jNS0_17counting_iteratorIjlEEPS9_SE_NS0_5tupleIJPjSE_EEENSF_IJSE_SE_EEES9_SG_JZNS1_25segmented_radix_sort_implINS0_14default_configELb0EPKhPhPKlPlN2at6native12_GLOBAL__N_18offset_tEEE10hipError_tPvRmT1_PNSt15iterator_traitsISY_E10value_typeET2_T3_PNSZ_IS14_E10value_typeET4_jRbjT5_S1A_jjP12ihipStream_tbEUljE_EEESV_SW_SX_S14_S18_S1A_T6_T7_T9_mT8_S1C_bDpT10_ENKUlT_T0_E_clISt17integral_constantIbLb0EES1O_IbLb1EEEEDaS1K_S1L_EUlS1K_E_NS1_11comp_targetILNS1_3genE9ELNS1_11target_archE1100ELNS1_3gpuE3ELNS1_3repE0EEENS1_30default_config_static_selectorELNS0_4arch9wavefront6targetE0EEEvSY_.num_vgpr, 0
	.set _ZN7rocprim17ROCPRIM_400000_NS6detail17trampoline_kernelINS0_13select_configILj256ELj13ELNS0_17block_load_methodE3ELS4_3ELS4_3ELNS0_20block_scan_algorithmE0ELj4294967295EEENS1_25partition_config_selectorILNS1_17partition_subalgoE3EjNS0_10empty_typeEbEEZZNS1_14partition_implILS8_3ELb0ES6_jNS0_17counting_iteratorIjlEEPS9_SE_NS0_5tupleIJPjSE_EEENSF_IJSE_SE_EEES9_SG_JZNS1_25segmented_radix_sort_implINS0_14default_configELb0EPKhPhPKlPlN2at6native12_GLOBAL__N_18offset_tEEE10hipError_tPvRmT1_PNSt15iterator_traitsISY_E10value_typeET2_T3_PNSZ_IS14_E10value_typeET4_jRbjT5_S1A_jjP12ihipStream_tbEUljE_EEESV_SW_SX_S14_S18_S1A_T6_T7_T9_mT8_S1C_bDpT10_ENKUlT_T0_E_clISt17integral_constantIbLb0EES1O_IbLb1EEEEDaS1K_S1L_EUlS1K_E_NS1_11comp_targetILNS1_3genE9ELNS1_11target_archE1100ELNS1_3gpuE3ELNS1_3repE0EEENS1_30default_config_static_selectorELNS0_4arch9wavefront6targetE0EEEvSY_.num_agpr, 0
	.set _ZN7rocprim17ROCPRIM_400000_NS6detail17trampoline_kernelINS0_13select_configILj256ELj13ELNS0_17block_load_methodE3ELS4_3ELS4_3ELNS0_20block_scan_algorithmE0ELj4294967295EEENS1_25partition_config_selectorILNS1_17partition_subalgoE3EjNS0_10empty_typeEbEEZZNS1_14partition_implILS8_3ELb0ES6_jNS0_17counting_iteratorIjlEEPS9_SE_NS0_5tupleIJPjSE_EEENSF_IJSE_SE_EEES9_SG_JZNS1_25segmented_radix_sort_implINS0_14default_configELb0EPKhPhPKlPlN2at6native12_GLOBAL__N_18offset_tEEE10hipError_tPvRmT1_PNSt15iterator_traitsISY_E10value_typeET2_T3_PNSZ_IS14_E10value_typeET4_jRbjT5_S1A_jjP12ihipStream_tbEUljE_EEESV_SW_SX_S14_S18_S1A_T6_T7_T9_mT8_S1C_bDpT10_ENKUlT_T0_E_clISt17integral_constantIbLb0EES1O_IbLb1EEEEDaS1K_S1L_EUlS1K_E_NS1_11comp_targetILNS1_3genE9ELNS1_11target_archE1100ELNS1_3gpuE3ELNS1_3repE0EEENS1_30default_config_static_selectorELNS0_4arch9wavefront6targetE0EEEvSY_.numbered_sgpr, 0
	.set _ZN7rocprim17ROCPRIM_400000_NS6detail17trampoline_kernelINS0_13select_configILj256ELj13ELNS0_17block_load_methodE3ELS4_3ELS4_3ELNS0_20block_scan_algorithmE0ELj4294967295EEENS1_25partition_config_selectorILNS1_17partition_subalgoE3EjNS0_10empty_typeEbEEZZNS1_14partition_implILS8_3ELb0ES6_jNS0_17counting_iteratorIjlEEPS9_SE_NS0_5tupleIJPjSE_EEENSF_IJSE_SE_EEES9_SG_JZNS1_25segmented_radix_sort_implINS0_14default_configELb0EPKhPhPKlPlN2at6native12_GLOBAL__N_18offset_tEEE10hipError_tPvRmT1_PNSt15iterator_traitsISY_E10value_typeET2_T3_PNSZ_IS14_E10value_typeET4_jRbjT5_S1A_jjP12ihipStream_tbEUljE_EEESV_SW_SX_S14_S18_S1A_T6_T7_T9_mT8_S1C_bDpT10_ENKUlT_T0_E_clISt17integral_constantIbLb0EES1O_IbLb1EEEEDaS1K_S1L_EUlS1K_E_NS1_11comp_targetILNS1_3genE9ELNS1_11target_archE1100ELNS1_3gpuE3ELNS1_3repE0EEENS1_30default_config_static_selectorELNS0_4arch9wavefront6targetE0EEEvSY_.num_named_barrier, 0
	.set _ZN7rocprim17ROCPRIM_400000_NS6detail17trampoline_kernelINS0_13select_configILj256ELj13ELNS0_17block_load_methodE3ELS4_3ELS4_3ELNS0_20block_scan_algorithmE0ELj4294967295EEENS1_25partition_config_selectorILNS1_17partition_subalgoE3EjNS0_10empty_typeEbEEZZNS1_14partition_implILS8_3ELb0ES6_jNS0_17counting_iteratorIjlEEPS9_SE_NS0_5tupleIJPjSE_EEENSF_IJSE_SE_EEES9_SG_JZNS1_25segmented_radix_sort_implINS0_14default_configELb0EPKhPhPKlPlN2at6native12_GLOBAL__N_18offset_tEEE10hipError_tPvRmT1_PNSt15iterator_traitsISY_E10value_typeET2_T3_PNSZ_IS14_E10value_typeET4_jRbjT5_S1A_jjP12ihipStream_tbEUljE_EEESV_SW_SX_S14_S18_S1A_T6_T7_T9_mT8_S1C_bDpT10_ENKUlT_T0_E_clISt17integral_constantIbLb0EES1O_IbLb1EEEEDaS1K_S1L_EUlS1K_E_NS1_11comp_targetILNS1_3genE9ELNS1_11target_archE1100ELNS1_3gpuE3ELNS1_3repE0EEENS1_30default_config_static_selectorELNS0_4arch9wavefront6targetE0EEEvSY_.private_seg_size, 0
	.set _ZN7rocprim17ROCPRIM_400000_NS6detail17trampoline_kernelINS0_13select_configILj256ELj13ELNS0_17block_load_methodE3ELS4_3ELS4_3ELNS0_20block_scan_algorithmE0ELj4294967295EEENS1_25partition_config_selectorILNS1_17partition_subalgoE3EjNS0_10empty_typeEbEEZZNS1_14partition_implILS8_3ELb0ES6_jNS0_17counting_iteratorIjlEEPS9_SE_NS0_5tupleIJPjSE_EEENSF_IJSE_SE_EEES9_SG_JZNS1_25segmented_radix_sort_implINS0_14default_configELb0EPKhPhPKlPlN2at6native12_GLOBAL__N_18offset_tEEE10hipError_tPvRmT1_PNSt15iterator_traitsISY_E10value_typeET2_T3_PNSZ_IS14_E10value_typeET4_jRbjT5_S1A_jjP12ihipStream_tbEUljE_EEESV_SW_SX_S14_S18_S1A_T6_T7_T9_mT8_S1C_bDpT10_ENKUlT_T0_E_clISt17integral_constantIbLb0EES1O_IbLb1EEEEDaS1K_S1L_EUlS1K_E_NS1_11comp_targetILNS1_3genE9ELNS1_11target_archE1100ELNS1_3gpuE3ELNS1_3repE0EEENS1_30default_config_static_selectorELNS0_4arch9wavefront6targetE0EEEvSY_.uses_vcc, 0
	.set _ZN7rocprim17ROCPRIM_400000_NS6detail17trampoline_kernelINS0_13select_configILj256ELj13ELNS0_17block_load_methodE3ELS4_3ELS4_3ELNS0_20block_scan_algorithmE0ELj4294967295EEENS1_25partition_config_selectorILNS1_17partition_subalgoE3EjNS0_10empty_typeEbEEZZNS1_14partition_implILS8_3ELb0ES6_jNS0_17counting_iteratorIjlEEPS9_SE_NS0_5tupleIJPjSE_EEENSF_IJSE_SE_EEES9_SG_JZNS1_25segmented_radix_sort_implINS0_14default_configELb0EPKhPhPKlPlN2at6native12_GLOBAL__N_18offset_tEEE10hipError_tPvRmT1_PNSt15iterator_traitsISY_E10value_typeET2_T3_PNSZ_IS14_E10value_typeET4_jRbjT5_S1A_jjP12ihipStream_tbEUljE_EEESV_SW_SX_S14_S18_S1A_T6_T7_T9_mT8_S1C_bDpT10_ENKUlT_T0_E_clISt17integral_constantIbLb0EES1O_IbLb1EEEEDaS1K_S1L_EUlS1K_E_NS1_11comp_targetILNS1_3genE9ELNS1_11target_archE1100ELNS1_3gpuE3ELNS1_3repE0EEENS1_30default_config_static_selectorELNS0_4arch9wavefront6targetE0EEEvSY_.uses_flat_scratch, 0
	.set _ZN7rocprim17ROCPRIM_400000_NS6detail17trampoline_kernelINS0_13select_configILj256ELj13ELNS0_17block_load_methodE3ELS4_3ELS4_3ELNS0_20block_scan_algorithmE0ELj4294967295EEENS1_25partition_config_selectorILNS1_17partition_subalgoE3EjNS0_10empty_typeEbEEZZNS1_14partition_implILS8_3ELb0ES6_jNS0_17counting_iteratorIjlEEPS9_SE_NS0_5tupleIJPjSE_EEENSF_IJSE_SE_EEES9_SG_JZNS1_25segmented_radix_sort_implINS0_14default_configELb0EPKhPhPKlPlN2at6native12_GLOBAL__N_18offset_tEEE10hipError_tPvRmT1_PNSt15iterator_traitsISY_E10value_typeET2_T3_PNSZ_IS14_E10value_typeET4_jRbjT5_S1A_jjP12ihipStream_tbEUljE_EEESV_SW_SX_S14_S18_S1A_T6_T7_T9_mT8_S1C_bDpT10_ENKUlT_T0_E_clISt17integral_constantIbLb0EES1O_IbLb1EEEEDaS1K_S1L_EUlS1K_E_NS1_11comp_targetILNS1_3genE9ELNS1_11target_archE1100ELNS1_3gpuE3ELNS1_3repE0EEENS1_30default_config_static_selectorELNS0_4arch9wavefront6targetE0EEEvSY_.has_dyn_sized_stack, 0
	.set _ZN7rocprim17ROCPRIM_400000_NS6detail17trampoline_kernelINS0_13select_configILj256ELj13ELNS0_17block_load_methodE3ELS4_3ELS4_3ELNS0_20block_scan_algorithmE0ELj4294967295EEENS1_25partition_config_selectorILNS1_17partition_subalgoE3EjNS0_10empty_typeEbEEZZNS1_14partition_implILS8_3ELb0ES6_jNS0_17counting_iteratorIjlEEPS9_SE_NS0_5tupleIJPjSE_EEENSF_IJSE_SE_EEES9_SG_JZNS1_25segmented_radix_sort_implINS0_14default_configELb0EPKhPhPKlPlN2at6native12_GLOBAL__N_18offset_tEEE10hipError_tPvRmT1_PNSt15iterator_traitsISY_E10value_typeET2_T3_PNSZ_IS14_E10value_typeET4_jRbjT5_S1A_jjP12ihipStream_tbEUljE_EEESV_SW_SX_S14_S18_S1A_T6_T7_T9_mT8_S1C_bDpT10_ENKUlT_T0_E_clISt17integral_constantIbLb0EES1O_IbLb1EEEEDaS1K_S1L_EUlS1K_E_NS1_11comp_targetILNS1_3genE9ELNS1_11target_archE1100ELNS1_3gpuE3ELNS1_3repE0EEENS1_30default_config_static_selectorELNS0_4arch9wavefront6targetE0EEEvSY_.has_recursion, 0
	.set _ZN7rocprim17ROCPRIM_400000_NS6detail17trampoline_kernelINS0_13select_configILj256ELj13ELNS0_17block_load_methodE3ELS4_3ELS4_3ELNS0_20block_scan_algorithmE0ELj4294967295EEENS1_25partition_config_selectorILNS1_17partition_subalgoE3EjNS0_10empty_typeEbEEZZNS1_14partition_implILS8_3ELb0ES6_jNS0_17counting_iteratorIjlEEPS9_SE_NS0_5tupleIJPjSE_EEENSF_IJSE_SE_EEES9_SG_JZNS1_25segmented_radix_sort_implINS0_14default_configELb0EPKhPhPKlPlN2at6native12_GLOBAL__N_18offset_tEEE10hipError_tPvRmT1_PNSt15iterator_traitsISY_E10value_typeET2_T3_PNSZ_IS14_E10value_typeET4_jRbjT5_S1A_jjP12ihipStream_tbEUljE_EEESV_SW_SX_S14_S18_S1A_T6_T7_T9_mT8_S1C_bDpT10_ENKUlT_T0_E_clISt17integral_constantIbLb0EES1O_IbLb1EEEEDaS1K_S1L_EUlS1K_E_NS1_11comp_targetILNS1_3genE9ELNS1_11target_archE1100ELNS1_3gpuE3ELNS1_3repE0EEENS1_30default_config_static_selectorELNS0_4arch9wavefront6targetE0EEEvSY_.has_indirect_call, 0
	.section	.AMDGPU.csdata,"",@progbits
; Kernel info:
; codeLenInByte = 0
; TotalNumSgprs: 0
; NumVgprs: 0
; ScratchSize: 0
; MemoryBound: 0
; FloatMode: 240
; IeeeMode: 1
; LDSByteSize: 0 bytes/workgroup (compile time only)
; SGPRBlocks: 0
; VGPRBlocks: 0
; NumSGPRsForWavesPerEU: 1
; NumVGPRsForWavesPerEU: 1
; Occupancy: 16
; WaveLimiterHint : 0
; COMPUTE_PGM_RSRC2:SCRATCH_EN: 0
; COMPUTE_PGM_RSRC2:USER_SGPR: 6
; COMPUTE_PGM_RSRC2:TRAP_HANDLER: 0
; COMPUTE_PGM_RSRC2:TGID_X_EN: 1
; COMPUTE_PGM_RSRC2:TGID_Y_EN: 0
; COMPUTE_PGM_RSRC2:TGID_Z_EN: 0
; COMPUTE_PGM_RSRC2:TIDIG_COMP_CNT: 0
	.section	.text._ZN7rocprim17ROCPRIM_400000_NS6detail17trampoline_kernelINS0_13select_configILj256ELj13ELNS0_17block_load_methodE3ELS4_3ELS4_3ELNS0_20block_scan_algorithmE0ELj4294967295EEENS1_25partition_config_selectorILNS1_17partition_subalgoE3EjNS0_10empty_typeEbEEZZNS1_14partition_implILS8_3ELb0ES6_jNS0_17counting_iteratorIjlEEPS9_SE_NS0_5tupleIJPjSE_EEENSF_IJSE_SE_EEES9_SG_JZNS1_25segmented_radix_sort_implINS0_14default_configELb0EPKhPhPKlPlN2at6native12_GLOBAL__N_18offset_tEEE10hipError_tPvRmT1_PNSt15iterator_traitsISY_E10value_typeET2_T3_PNSZ_IS14_E10value_typeET4_jRbjT5_S1A_jjP12ihipStream_tbEUljE_EEESV_SW_SX_S14_S18_S1A_T6_T7_T9_mT8_S1C_bDpT10_ENKUlT_T0_E_clISt17integral_constantIbLb0EES1O_IbLb1EEEEDaS1K_S1L_EUlS1K_E_NS1_11comp_targetILNS1_3genE8ELNS1_11target_archE1030ELNS1_3gpuE2ELNS1_3repE0EEENS1_30default_config_static_selectorELNS0_4arch9wavefront6targetE0EEEvSY_,"axG",@progbits,_ZN7rocprim17ROCPRIM_400000_NS6detail17trampoline_kernelINS0_13select_configILj256ELj13ELNS0_17block_load_methodE3ELS4_3ELS4_3ELNS0_20block_scan_algorithmE0ELj4294967295EEENS1_25partition_config_selectorILNS1_17partition_subalgoE3EjNS0_10empty_typeEbEEZZNS1_14partition_implILS8_3ELb0ES6_jNS0_17counting_iteratorIjlEEPS9_SE_NS0_5tupleIJPjSE_EEENSF_IJSE_SE_EEES9_SG_JZNS1_25segmented_radix_sort_implINS0_14default_configELb0EPKhPhPKlPlN2at6native12_GLOBAL__N_18offset_tEEE10hipError_tPvRmT1_PNSt15iterator_traitsISY_E10value_typeET2_T3_PNSZ_IS14_E10value_typeET4_jRbjT5_S1A_jjP12ihipStream_tbEUljE_EEESV_SW_SX_S14_S18_S1A_T6_T7_T9_mT8_S1C_bDpT10_ENKUlT_T0_E_clISt17integral_constantIbLb0EES1O_IbLb1EEEEDaS1K_S1L_EUlS1K_E_NS1_11comp_targetILNS1_3genE8ELNS1_11target_archE1030ELNS1_3gpuE2ELNS1_3repE0EEENS1_30default_config_static_selectorELNS0_4arch9wavefront6targetE0EEEvSY_,comdat
	.globl	_ZN7rocprim17ROCPRIM_400000_NS6detail17trampoline_kernelINS0_13select_configILj256ELj13ELNS0_17block_load_methodE3ELS4_3ELS4_3ELNS0_20block_scan_algorithmE0ELj4294967295EEENS1_25partition_config_selectorILNS1_17partition_subalgoE3EjNS0_10empty_typeEbEEZZNS1_14partition_implILS8_3ELb0ES6_jNS0_17counting_iteratorIjlEEPS9_SE_NS0_5tupleIJPjSE_EEENSF_IJSE_SE_EEES9_SG_JZNS1_25segmented_radix_sort_implINS0_14default_configELb0EPKhPhPKlPlN2at6native12_GLOBAL__N_18offset_tEEE10hipError_tPvRmT1_PNSt15iterator_traitsISY_E10value_typeET2_T3_PNSZ_IS14_E10value_typeET4_jRbjT5_S1A_jjP12ihipStream_tbEUljE_EEESV_SW_SX_S14_S18_S1A_T6_T7_T9_mT8_S1C_bDpT10_ENKUlT_T0_E_clISt17integral_constantIbLb0EES1O_IbLb1EEEEDaS1K_S1L_EUlS1K_E_NS1_11comp_targetILNS1_3genE8ELNS1_11target_archE1030ELNS1_3gpuE2ELNS1_3repE0EEENS1_30default_config_static_selectorELNS0_4arch9wavefront6targetE0EEEvSY_ ; -- Begin function _ZN7rocprim17ROCPRIM_400000_NS6detail17trampoline_kernelINS0_13select_configILj256ELj13ELNS0_17block_load_methodE3ELS4_3ELS4_3ELNS0_20block_scan_algorithmE0ELj4294967295EEENS1_25partition_config_selectorILNS1_17partition_subalgoE3EjNS0_10empty_typeEbEEZZNS1_14partition_implILS8_3ELb0ES6_jNS0_17counting_iteratorIjlEEPS9_SE_NS0_5tupleIJPjSE_EEENSF_IJSE_SE_EEES9_SG_JZNS1_25segmented_radix_sort_implINS0_14default_configELb0EPKhPhPKlPlN2at6native12_GLOBAL__N_18offset_tEEE10hipError_tPvRmT1_PNSt15iterator_traitsISY_E10value_typeET2_T3_PNSZ_IS14_E10value_typeET4_jRbjT5_S1A_jjP12ihipStream_tbEUljE_EEESV_SW_SX_S14_S18_S1A_T6_T7_T9_mT8_S1C_bDpT10_ENKUlT_T0_E_clISt17integral_constantIbLb0EES1O_IbLb1EEEEDaS1K_S1L_EUlS1K_E_NS1_11comp_targetILNS1_3genE8ELNS1_11target_archE1030ELNS1_3gpuE2ELNS1_3repE0EEENS1_30default_config_static_selectorELNS0_4arch9wavefront6targetE0EEEvSY_
	.p2align	8
	.type	_ZN7rocprim17ROCPRIM_400000_NS6detail17trampoline_kernelINS0_13select_configILj256ELj13ELNS0_17block_load_methodE3ELS4_3ELS4_3ELNS0_20block_scan_algorithmE0ELj4294967295EEENS1_25partition_config_selectorILNS1_17partition_subalgoE3EjNS0_10empty_typeEbEEZZNS1_14partition_implILS8_3ELb0ES6_jNS0_17counting_iteratorIjlEEPS9_SE_NS0_5tupleIJPjSE_EEENSF_IJSE_SE_EEES9_SG_JZNS1_25segmented_radix_sort_implINS0_14default_configELb0EPKhPhPKlPlN2at6native12_GLOBAL__N_18offset_tEEE10hipError_tPvRmT1_PNSt15iterator_traitsISY_E10value_typeET2_T3_PNSZ_IS14_E10value_typeET4_jRbjT5_S1A_jjP12ihipStream_tbEUljE_EEESV_SW_SX_S14_S18_S1A_T6_T7_T9_mT8_S1C_bDpT10_ENKUlT_T0_E_clISt17integral_constantIbLb0EES1O_IbLb1EEEEDaS1K_S1L_EUlS1K_E_NS1_11comp_targetILNS1_3genE8ELNS1_11target_archE1030ELNS1_3gpuE2ELNS1_3repE0EEENS1_30default_config_static_selectorELNS0_4arch9wavefront6targetE0EEEvSY_,@function
_ZN7rocprim17ROCPRIM_400000_NS6detail17trampoline_kernelINS0_13select_configILj256ELj13ELNS0_17block_load_methodE3ELS4_3ELS4_3ELNS0_20block_scan_algorithmE0ELj4294967295EEENS1_25partition_config_selectorILNS1_17partition_subalgoE3EjNS0_10empty_typeEbEEZZNS1_14partition_implILS8_3ELb0ES6_jNS0_17counting_iteratorIjlEEPS9_SE_NS0_5tupleIJPjSE_EEENSF_IJSE_SE_EEES9_SG_JZNS1_25segmented_radix_sort_implINS0_14default_configELb0EPKhPhPKlPlN2at6native12_GLOBAL__N_18offset_tEEE10hipError_tPvRmT1_PNSt15iterator_traitsISY_E10value_typeET2_T3_PNSZ_IS14_E10value_typeET4_jRbjT5_S1A_jjP12ihipStream_tbEUljE_EEESV_SW_SX_S14_S18_S1A_T6_T7_T9_mT8_S1C_bDpT10_ENKUlT_T0_E_clISt17integral_constantIbLb0EES1O_IbLb1EEEEDaS1K_S1L_EUlS1K_E_NS1_11comp_targetILNS1_3genE8ELNS1_11target_archE1030ELNS1_3gpuE2ELNS1_3repE0EEENS1_30default_config_static_selectorELNS0_4arch9wavefront6targetE0EEEvSY_: ; @_ZN7rocprim17ROCPRIM_400000_NS6detail17trampoline_kernelINS0_13select_configILj256ELj13ELNS0_17block_load_methodE3ELS4_3ELS4_3ELNS0_20block_scan_algorithmE0ELj4294967295EEENS1_25partition_config_selectorILNS1_17partition_subalgoE3EjNS0_10empty_typeEbEEZZNS1_14partition_implILS8_3ELb0ES6_jNS0_17counting_iteratorIjlEEPS9_SE_NS0_5tupleIJPjSE_EEENSF_IJSE_SE_EEES9_SG_JZNS1_25segmented_radix_sort_implINS0_14default_configELb0EPKhPhPKlPlN2at6native12_GLOBAL__N_18offset_tEEE10hipError_tPvRmT1_PNSt15iterator_traitsISY_E10value_typeET2_T3_PNSZ_IS14_E10value_typeET4_jRbjT5_S1A_jjP12ihipStream_tbEUljE_EEESV_SW_SX_S14_S18_S1A_T6_T7_T9_mT8_S1C_bDpT10_ENKUlT_T0_E_clISt17integral_constantIbLb0EES1O_IbLb1EEEEDaS1K_S1L_EUlS1K_E_NS1_11comp_targetILNS1_3genE8ELNS1_11target_archE1030ELNS1_3gpuE2ELNS1_3repE0EEENS1_30default_config_static_selectorELNS0_4arch9wavefront6targetE0EEEvSY_
; %bb.0:
	s_clause 0x6
	s_load_dwordx2 s[18:19], s[4:5], 0x10
	s_load_dwordx2 s[16:17], s[4:5], 0x28
	;; [unrolled: 1-line block ×3, first 2 shown]
	s_load_dwordx4 s[12:15], s[4:5], 0x48
	s_load_dword s2, s[4:5], 0x90
	s_load_dwordx2 s[22:23], s[4:5], 0x68
	s_load_dwordx4 s[8:11], s[4:5], 0x80
	v_cmp_eq_u32_e64 s0, 0, v0
	s_and_saveexec_b32 s1, s0
	s_cbranch_execz .LBB184_4
; %bb.1:
	s_mov_b32 s6, exec_lo
	s_mov_b32 s3, exec_lo
	v_mbcnt_lo_u32_b32 v1, s6, 0
                                        ; implicit-def: $vgpr2
	v_cmpx_eq_u32_e32 0, v1
	s_cbranch_execz .LBB184_3
; %bb.2:
	s_load_dwordx2 s[24:25], s[4:5], 0x78
	s_bcnt1_i32_b32 s6, s6
	v_mov_b32_e32 v2, 0
	v_mov_b32_e32 v3, s6
	s_waitcnt lgkmcnt(0)
	global_atomic_add v2, v2, v3, s[24:25] glc
.LBB184_3:
	s_or_b32 exec_lo, exec_lo, s3
	s_waitcnt vmcnt(0)
	v_readfirstlane_b32 s3, v2
	v_mov_b32_e32 v2, 0
	v_add_nc_u32_e32 v1, s3, v1
	ds_write_b32 v2, v1
.LBB184_4:
	s_or_b32 exec_lo, exec_lo, s1
	v_mov_b32_e32 v1, 0
	s_clause 0x1
	s_load_dword s3, s[4:5], 0x8
	s_load_dword s1, s[4:5], 0x70
	s_waitcnt lgkmcnt(0)
	s_barrier
	buffer_gl0_inv
	ds_read_b32 v2, v1
	s_waitcnt lgkmcnt(0)
	s_barrier
	buffer_gl0_inv
	global_load_dwordx2 v[18:19], v1, s[14:15]
	v_lshlrev_b32_e32 v44, 2, v0
	s_add_i32 s4, s3, s18
	s_mul_i32 s5, s1, 0xd00
	s_add_i32 s1, s1, -1
	s_add_i32 s3, s5, s18
	s_sub_i32 s15, s20, s3
	v_readfirstlane_b32 s25, v2
	s_addk_i32 s15, 0xd00
	s_add_u32 s6, s18, s5
	s_addc_u32 s7, s19, 0
	v_cmp_ne_u32_e32 vcc_lo, s1, v2
	v_cmp_gt_u64_e64 s3, s[20:21], s[6:7]
	s_cmp_eq_u32 s25, s1
	s_mul_i32 s24, s25, 0xd00
	s_cselect_b32 s14, -1, 0
	s_mov_b32 s5, -1
	s_or_b32 s3, s3, vcc_lo
	s_and_b32 vcc_lo, exec_lo, s3
	s_cbranch_vccz .LBB184_6
; %bb.5:
	v_add3_u32 v1, s24, s4, v0
	s_mov_b32 s5, 0
	v_add_nc_u32_e32 v2, 0x100, v1
	v_add_nc_u32_e32 v3, 0x200, v1
	;; [unrolled: 1-line block ×12, first 2 shown]
	ds_write2st64_b32 v44, v1, v2 offset1:4
	ds_write2st64_b32 v44, v3, v4 offset0:8 offset1:12
	ds_write2st64_b32 v44, v5, v6 offset0:16 offset1:20
	;; [unrolled: 1-line block ×5, first 2 shown]
	ds_write_b32 v44, v13 offset:12288
	s_waitcnt vmcnt(0) lgkmcnt(0)
	s_barrier
.LBB184_6:
	v_cmp_gt_u32_e64 s1, s15, v0
	v_or_b32_e32 v43, 0x100, v0
	v_or_b32_e32 v42, 0x200, v0
	;; [unrolled: 1-line block ×12, first 2 shown]
	s_andn2_b32 vcc_lo, exec_lo, s5
	s_cbranch_vccnz .LBB184_8
; %bb.7:
	s_add_i32 s4, s24, s4
	v_cmp_gt_u32_e32 vcc_lo, s15, v43
	v_add_nc_u32_e32 v2, s4, v43
	v_add_nc_u32_e32 v3, s4, v42
	;; [unrolled: 1-line block ×5, first 2 shown]
	v_cndmask_b32_e32 v2, 0, v2, vcc_lo
	v_cmp_gt_u32_e32 vcc_lo, s15, v42
	v_add_nc_u32_e32 v7, s4, v38
	v_add_nc_u32_e32 v8, s4, v37
	;; [unrolled: 1-line block ×4, first 2 shown]
	v_cndmask_b32_e32 v3, 0, v3, vcc_lo
	v_cmp_gt_u32_e32 vcc_lo, s15, v41
	v_add_nc_u32_e32 v11, s4, v34
	v_add_nc_u32_e32 v1, s4, v0
	;; [unrolled: 1-line block ×4, first 2 shown]
	v_cndmask_b32_e32 v4, 0, v4, vcc_lo
	v_cmp_gt_u32_e32 vcc_lo, s15, v40
	v_cndmask_b32_e64 v1, 0, v1, s1
	v_cndmask_b32_e32 v5, 0, v5, vcc_lo
	v_cmp_gt_u32_e32 vcc_lo, s15, v39
	v_cndmask_b32_e32 v6, 0, v6, vcc_lo
	v_cmp_gt_u32_e32 vcc_lo, s15, v38
	;; [unrolled: 2-line block ×8, first 2 shown]
	v_cndmask_b32_e32 v13, 0, v13, vcc_lo
	ds_write2st64_b32 v44, v1, v2 offset1:4
	ds_write2st64_b32 v44, v3, v4 offset0:8 offset1:12
	ds_write2st64_b32 v44, v5, v6 offset0:16 offset1:20
	;; [unrolled: 1-line block ×5, first 2 shown]
	ds_write_b32 v44, v13 offset:12288
	s_waitcnt vmcnt(0) lgkmcnt(0)
	s_barrier
.LBB184_8:
	v_mul_u32_u24_e32 v47, 13, v0
	s_waitcnt vmcnt(0)
	buffer_gl0_inv
	v_cndmask_b32_e64 v45, 0, 1, s3
	s_andn2_b32 vcc_lo, exec_lo, s3
	v_lshlrev_b32_e32 v1, 2, v47
	ds_read2_b32 v[28:29], v1 offset0:2 offset1:3
	ds_read2_b32 v[24:25], v1 offset0:6 offset1:7
	;; [unrolled: 1-line block ×3, first 2 shown]
	ds_read2_b32 v[30:31], v1 offset1:1
	ds_read2_b32 v[20:21], v1 offset0:10 offset1:11
	ds_read_b32 v46, v1 offset:48
	ds_read2_b32 v[22:23], v1 offset0:8 offset1:9
	s_waitcnt lgkmcnt(0)
	s_barrier
	buffer_gl0_inv
	s_cbranch_vccnz .LBB184_10
; %bb.9:
	v_add_nc_u32_e32 v1, s9, v29
	v_add_nc_u32_e32 v4, s9, v28
	;; [unrolled: 1-line block ×6, first 2 shown]
	v_mul_lo_u32 v4, v4, s8
	v_mul_lo_u32 v1, v1, s8
	;; [unrolled: 1-line block ×4, first 2 shown]
	v_add_nc_u32_e32 v3, s9, v30
	v_add_nc_u32_e32 v7, s11, v30
	v_mul_lo_u32 v2, v2, s8
	v_mul_lo_u32 v6, v6, s10
	v_add_nc_u32_e32 v10, s11, v27
	v_mul_lo_u32 v3, v3, s8
	v_mul_lo_u32 v7, v7, s10
	v_sub_nc_u32_e32 v1, v1, v5
	v_sub_nc_u32_e32 v4, v4, v8
	v_add_nc_u32_e32 v5, s9, v25
	v_add_nc_u32_e32 v8, s11, v25
	v_sub_nc_u32_e32 v2, v2, v6
	v_add_nc_u32_e32 v6, s9, v27
	v_add_nc_u32_e32 v9, s9, v24
	v_mul_lo_u32 v5, v5, s8
	v_mul_lo_u32 v8, v8, s10
	v_sub_nc_u32_e32 v3, v3, v7
	v_add_nc_u32_e32 v7, s9, v26
	v_add_nc_u32_e32 v11, s11, v24
	v_mul_lo_u32 v6, v6, s8
	v_mul_lo_u32 v10, v10, s10
	v_add_nc_u32_e32 v12, s11, v26
	v_mul_lo_u32 v9, v9, s8
	v_mul_lo_u32 v7, v7, s8
	;; [unrolled: 1-line block ×3, first 2 shown]
	v_sub_nc_u32_e32 v5, v5, v8
	v_mul_lo_u32 v8, v12, s10
	v_cmp_lt_u32_e32 vcc_lo, s2, v1
	v_sub_nc_u32_e32 v6, v6, v10
	v_add_nc_u32_e32 v10, s9, v21
	v_add_nc_u32_e32 v14, s11, v21
	;; [unrolled: 1-line block ×3, first 2 shown]
	v_cndmask_b32_e64 v1, 0, 1, vcc_lo
	v_cmp_lt_u32_e32 vcc_lo, s2, v2
	v_sub_nc_u32_e32 v7, v7, v8
	v_sub_nc_u32_e32 v8, v9, v11
	v_add_nc_u32_e32 v11, s9, v23
	v_mul_lo_u32 v10, v10, s8
	v_mul_lo_u32 v14, v14, s10
	v_cndmask_b32_e64 v2, 0, 1, vcc_lo
	v_cmp_lt_u32_e32 vcc_lo, s2, v5
	v_mul_lo_u32 v11, v11, s8
	v_mul_lo_u32 v15, v15, s10
	v_mov_b32_e32 v9, 8
	v_lshlrev_b16 v2, 8, v2
	v_cndmask_b32_e64 v5, 0, 1, vcc_lo
	v_cmp_lt_u32_e32 vcc_lo, s2, v6
	v_sub_nc_u32_e32 v10, v10, v14
	v_add_nc_u32_e32 v12, s9, v22
	v_add_nc_u32_e32 v16, s11, v22
	v_sub_nc_u32_e32 v11, v11, v15
	v_cndmask_b32_e64 v6, 0, 1, vcc_lo
	v_cmp_lt_u32_e32 vcc_lo, s2, v10
	v_lshrrev_b32_sdwa v2, v9, v2 dst_sel:BYTE_1 dst_unused:UNUSED_PAD src0_sel:DWORD src1_sel:DWORD
	v_add_nc_u32_e32 v13, s9, v20
	v_add_nc_u32_e32 v17, s11, v20
	v_mul_lo_u32 v12, v12, s8
	v_cndmask_b32_e64 v10, 0, 1, vcc_lo
	v_cmp_lt_u32_e32 vcc_lo, s2, v11
	v_mul_lo_u32 v16, v16, s10
	v_mul_lo_u32 v13, v13, s8
	;; [unrolled: 1-line block ×3, first 2 shown]
	v_add_nc_u32_e32 v14, s9, v46
	v_cndmask_b32_e64 v11, 0, 1, vcc_lo
	v_cmp_lt_u32_e32 vcc_lo, s2, v3
	v_add_nc_u32_e32 v15, s11, v46
	v_lshlrev_b16 v1, 8, v1
	v_sub_nc_u32_e32 v12, v12, v16
	v_lshlrev_b16 v11, 8, v11
	v_cndmask_b32_e64 v3, 0, 1, vcc_lo
	v_cmp_lt_u32_e32 vcc_lo, s2, v4
	v_sub_nc_u32_e32 v13, v13, v17
	v_mul_lo_u32 v14, v14, s8
	v_mul_lo_u32 v15, v15, s10
	v_or_b32_e32 v2, v3, v2
	v_cndmask_b32_e64 v3, 0, 1, vcc_lo
	v_cmp_lt_u32_e32 vcc_lo, s2, v7
	v_lshlrev_b16 v6, 8, v6
	v_lshlrev_b16 v10, 8, v10
	;; [unrolled: 1-line block ×3, first 2 shown]
	v_lshrrev_b32_sdwa v1, v9, v1 dst_sel:BYTE_1 dst_unused:UNUSED_PAD src0_sel:DWORD src1_sel:DWORD
	v_cndmask_b32_e64 v4, 0, 1, vcc_lo
	v_cmp_lt_u32_e32 vcc_lo, s2, v8
	v_lshrrev_b32_sdwa v8, v9, v11 dst_sel:BYTE_1 dst_unused:UNUSED_PAD src0_sel:DWORD src1_sel:DWORD
	v_lshrrev_b32_sdwa v6, v9, v6 dst_sel:BYTE_1 dst_unused:UNUSED_PAD src0_sel:DWORD src1_sel:DWORD
	v_sub_nc_u32_e32 v14, v14, v15
	v_lshrrev_b32_sdwa v9, v9, v10 dst_sel:BYTE_1 dst_unused:UNUSED_PAD src0_sel:DWORD src1_sel:DWORD
	v_cndmask_b32_e64 v7, 0, 1, vcc_lo
	v_cmp_lt_u32_e32 vcc_lo, s2, v12
	v_or_b32_sdwa v1, v3, v1 dst_sel:WORD_1 dst_unused:UNUSED_PAD src0_sel:DWORD src1_sel:DWORD
	v_or_b32_e32 v3, v4, v6
	v_or_b32_sdwa v4, v7, v5 dst_sel:WORD_1 dst_unused:UNUSED_PAD src0_sel:DWORD src1_sel:DWORD
	v_cndmask_b32_e64 v11, 0, 1, vcc_lo
	v_cmp_lt_u32_e32 vcc_lo, s2, v13
	v_or_b32_sdwa v52, v2, v1 dst_sel:DWORD dst_unused:UNUSED_PAD src0_sel:WORD_0 src1_sel:DWORD
	v_or_b32_sdwa v50, v3, v4 dst_sel:DWORD dst_unused:UNUSED_PAD src0_sel:WORD_0 src1_sel:DWORD
	v_or_b32_e32 v5, v11, v8
	v_cndmask_b32_e64 v10, 0, 1, vcc_lo
	v_cmp_lt_u32_e32 vcc_lo, s2, v14
	v_or_b32_sdwa v6, v10, v9 dst_sel:WORD_1 dst_unused:UNUSED_PAD src0_sel:DWORD src1_sel:DWORD
	v_cndmask_b32_e64 v48, 0, 1, vcc_lo
	v_or_b32_sdwa v49, v5, v6 dst_sel:DWORD dst_unused:UNUSED_PAD src0_sel:WORD_0 src1_sel:DWORD
	s_cbranch_execz .LBB184_11
	s_branch .LBB184_38
.LBB184_10:
                                        ; implicit-def: $vgpr48
                                        ; implicit-def: $vgpr49
                                        ; implicit-def: $vgpr50
                                        ; implicit-def: $vgpr52
.LBB184_11:
	v_mov_b32_e32 v2, 0
	v_mov_b32_e32 v1, 0
	s_mov_b32 s1, exec_lo
	v_cmpx_gt_u32_e64 s15, v47
	s_cbranch_execz .LBB184_13
; %bb.12:
	v_add_nc_u32_e32 v1, s9, v30
	v_add_nc_u32_e32 v3, s11, v30
	v_mul_lo_u32 v1, v1, s8
	v_mul_lo_u32 v3, v3, s10
	v_sub_nc_u32_e32 v1, v1, v3
	v_cmp_lt_u32_e32 vcc_lo, s2, v1
	v_cndmask_b32_e64 v1, 0, 1, vcc_lo
.LBB184_13:
	s_or_b32 exec_lo, exec_lo, s1
	v_add_nc_u32_e32 v3, 1, v47
	s_mov_b32 s1, exec_lo
	v_cmpx_gt_u32_e64 s15, v3
	s_cbranch_execz .LBB184_15
; %bb.14:
	v_add_nc_u32_e32 v2, s9, v31
	v_add_nc_u32_e32 v3, s11, v31
	v_mul_lo_u32 v2, v2, s8
	v_mul_lo_u32 v3, v3, s10
	v_sub_nc_u32_e32 v2, v2, v3
	v_cmp_lt_u32_e32 vcc_lo, s2, v2
	v_cndmask_b32_e64 v2, 0, 1, vcc_lo
.LBB184_15:
	s_or_b32 exec_lo, exec_lo, s1
	v_add_nc_u32_e32 v3, 2, v47
	v_mov_b32_e32 v4, 0
	v_cmp_gt_u32_e32 vcc_lo, s15, v3
	v_mov_b32_e32 v3, 0
	s_and_saveexec_b32 s1, vcc_lo
	s_cbranch_execz .LBB184_17
; %bb.16:
	v_add_nc_u32_e32 v3, s9, v28
	v_add_nc_u32_e32 v5, s11, v28
	v_mul_lo_u32 v3, v3, s8
	v_mul_lo_u32 v5, v5, s10
	v_sub_nc_u32_e32 v3, v3, v5
	v_cmp_lt_u32_e32 vcc_lo, s2, v3
	v_cndmask_b32_e64 v3, 0, 1, vcc_lo
.LBB184_17:
	s_or_b32 exec_lo, exec_lo, s1
	v_add_nc_u32_e32 v5, 3, v47
	s_mov_b32 s1, exec_lo
	v_cmpx_gt_u32_e64 s15, v5
	s_cbranch_execz .LBB184_19
; %bb.18:
	v_add_nc_u32_e32 v4, s9, v29
	v_add_nc_u32_e32 v5, s11, v29
	v_mul_lo_u32 v4, v4, s8
	v_mul_lo_u32 v5, v5, s10
	v_sub_nc_u32_e32 v4, v4, v5
	v_cmp_lt_u32_e32 vcc_lo, s2, v4
	v_cndmask_b32_e64 v4, 0, 1, vcc_lo
.LBB184_19:
	s_or_b32 exec_lo, exec_lo, s1
	v_add_nc_u32_e32 v5, 4, v47
	v_mov_b32_e32 v6, 0
	v_cmp_gt_u32_e32 vcc_lo, s15, v5
	v_mov_b32_e32 v5, 0
	s_and_saveexec_b32 s1, vcc_lo
	;; [unrolled: 30-line block ×5, first 2 shown]
	s_cbranch_execz .LBB184_33
; %bb.32:
	v_add_nc_u32_e32 v11, s9, v20
	v_add_nc_u32_e32 v13, s11, v20
	v_mul_lo_u32 v11, v11, s8
	v_mul_lo_u32 v13, v13, s10
	v_sub_nc_u32_e32 v11, v11, v13
	v_cmp_lt_u32_e32 vcc_lo, s2, v11
	v_cndmask_b32_e64 v11, 0, 1, vcc_lo
.LBB184_33:
	s_or_b32 exec_lo, exec_lo, s1
	v_add_nc_u32_e32 v13, 11, v47
	s_mov_b32 s1, exec_lo
	v_cmpx_gt_u32_e64 s15, v13
	s_cbranch_execz .LBB184_35
; %bb.34:
	v_add_nc_u32_e32 v12, s9, v21
	v_add_nc_u32_e32 v13, s11, v21
	v_mul_lo_u32 v12, v12, s8
	v_mul_lo_u32 v13, v13, s10
	v_sub_nc_u32_e32 v12, v12, v13
	v_cmp_lt_u32_e32 vcc_lo, s2, v12
	v_cndmask_b32_e64 v12, 0, 1, vcc_lo
.LBB184_35:
	s_or_b32 exec_lo, exec_lo, s1
	v_add_nc_u32_e32 v13, 12, v47
	v_mov_b32_e32 v48, 0
	s_mov_b32 s1, exec_lo
	v_cmpx_gt_u32_e64 s15, v13
	s_cbranch_execz .LBB184_37
; %bb.36:
	v_add_nc_u32_e32 v13, s9, v46
	v_add_nc_u32_e32 v14, s11, v46
	v_mul_lo_u32 v13, v13, s8
	v_mul_lo_u32 v14, v14, s10
	v_sub_nc_u32_e32 v13, v13, v14
	v_cmp_lt_u32_e32 vcc_lo, s2, v13
	v_cndmask_b32_e64 v48, 0, 1, vcc_lo
.LBB184_37:
	s_or_b32 exec_lo, exec_lo, s1
	v_lshlrev_b16 v2, 8, v2
	v_lshlrev_b16 v4, 8, v4
	;; [unrolled: 1-line block ×5, first 2 shown]
	v_or_b32_e32 v1, v1, v2
	v_lshlrev_b16 v2, 8, v12
	v_or_b32_sdwa v3, v3, v4 dst_sel:WORD_1 dst_unused:UNUSED_PAD src0_sel:DWORD src1_sel:DWORD
	v_or_b32_e32 v4, v5, v6
	v_or_b32_sdwa v5, v7, v8 dst_sel:WORD_1 dst_unused:UNUSED_PAD src0_sel:DWORD src1_sel:DWORD
	v_or_b32_e32 v6, v9, v10
	v_or_b32_sdwa v2, v11, v2 dst_sel:WORD_1 dst_unused:UNUSED_PAD src0_sel:DWORD src1_sel:DWORD
	v_or_b32_sdwa v52, v1, v3 dst_sel:DWORD dst_unused:UNUSED_PAD src0_sel:WORD_0 src1_sel:DWORD
	v_or_b32_sdwa v50, v4, v5 dst_sel:DWORD dst_unused:UNUSED_PAD src0_sel:WORD_0 src1_sel:DWORD
	;; [unrolled: 1-line block ×3, first 2 shown]
.LBB184_38:
	v_and_b32_e32 v55, 0xff, v52
	v_bfe_u32 v56, v52, 8, 8
	v_bfe_u32 v57, v52, 16, 8
	v_lshrrev_b32_e32 v54, 24, v52
	v_and_b32_e32 v58, 0xff, v50
	v_bfe_u32 v59, v50, 8, 8
	v_bfe_u32 v60, v50, 16, 8
	v_add3_u32 v1, v56, v55, v57
	v_lshrrev_b32_e32 v53, 24, v50
	v_and_b32_e32 v61, 0xff, v49
	v_bfe_u32 v62, v49, 8, 8
	v_mbcnt_lo_u32_b32 v64, -1, 0
	v_add3_u32 v1, v1, v54, v58
	v_bfe_u32 v63, v49, 16, 8
	v_lshrrev_b32_e32 v51, 24, v49
	v_and_b32_e32 v2, 0xff, v48
	v_and_b32_e32 v3, 15, v64
	v_add3_u32 v1, v1, v59, v60
	v_or_b32_e32 v4, 31, v0
	v_and_b32_e32 v5, 16, v64
	v_lshrrev_b32_e32 v65, 5, v0
	v_cmp_eq_u32_e64 s6, 0, v3
	v_add3_u32 v1, v1, v53, v61
	v_cmp_lt_u32_e64 s5, 1, v3
	v_cmp_lt_u32_e64 s4, 3, v3
	;; [unrolled: 1-line block ×3, first 2 shown]
	v_cmp_eq_u32_e64 s2, 0, v5
	v_add3_u32 v1, v1, v62, v63
	v_cmp_eq_u32_e64 s1, v0, v4
	s_cmp_lg_u32 s25, 0
	s_mov_b32 s7, -1
	v_add3_u32 v66, v1, v51, v2
	s_cbranch_scc0 .LBB184_60
; %bb.39:
	v_mov_b32_dpp v1, v66 row_shr:1 row_mask:0xf bank_mask:0xf
	v_cndmask_b32_e64 v1, v1, 0, s6
	v_add_nc_u32_e32 v1, v1, v66
	v_mov_b32_dpp v2, v1 row_shr:2 row_mask:0xf bank_mask:0xf
	v_cndmask_b32_e64 v2, 0, v2, s5
	v_add_nc_u32_e32 v1, v1, v2
	;; [unrolled: 3-line block ×4, first 2 shown]
	ds_swizzle_b32 v2, v1 offset:swizzle(BROADCAST,32,15)
	s_waitcnt lgkmcnt(0)
	v_cndmask_b32_e64 v2, v2, 0, s2
	v_add_nc_u32_e32 v1, v1, v2
	s_and_saveexec_b32 s7, s1
; %bb.40:
	v_lshlrev_b32_e32 v2, 2, v65
	ds_write_b32 v2, v1
; %bb.41:
	s_or_b32 exec_lo, exec_lo, s7
	s_mov_b32 s7, exec_lo
	s_waitcnt lgkmcnt(0)
	s_barrier
	buffer_gl0_inv
	v_cmpx_gt_u32_e32 8, v0
	s_cbranch_execz .LBB184_43
; %bb.42:
	ds_read_b32 v2, v44
	v_and_b32_e32 v3, 7, v64
	v_cmp_ne_u32_e32 vcc_lo, 0, v3
	s_waitcnt lgkmcnt(0)
	v_mov_b32_dpp v4, v2 row_shr:1 row_mask:0xf bank_mask:0xf
	v_cndmask_b32_e32 v4, 0, v4, vcc_lo
	v_cmp_lt_u32_e32 vcc_lo, 1, v3
	v_add_nc_u32_e32 v2, v4, v2
	v_mov_b32_dpp v4, v2 row_shr:2 row_mask:0xf bank_mask:0xf
	v_cndmask_b32_e32 v4, 0, v4, vcc_lo
	v_cmp_lt_u32_e32 vcc_lo, 3, v3
	v_add_nc_u32_e32 v2, v2, v4
	v_mov_b32_dpp v4, v2 row_shr:4 row_mask:0xf bank_mask:0xf
	v_cndmask_b32_e32 v3, 0, v4, vcc_lo
	v_add_nc_u32_e32 v2, v2, v3
	ds_write_b32 v44, v2
.LBB184_43:
	s_or_b32 exec_lo, exec_lo, s7
	s_mov_b32 s8, exec_lo
	v_cmp_gt_u32_e32 vcc_lo, 32, v0
	s_waitcnt lgkmcnt(0)
	s_barrier
	buffer_gl0_inv
                                        ; implicit-def: $vgpr10
	v_cmpx_lt_u32_e32 31, v0
	s_cbranch_execz .LBB184_45
; %bb.44:
	v_lshl_add_u32 v2, v65, 2, -4
	ds_read_b32 v10, v2
	s_waitcnt lgkmcnt(0)
	v_add_nc_u32_e32 v1, v10, v1
.LBB184_45:
	s_or_b32 exec_lo, exec_lo, s8
	v_sub_co_u32 v2, s7, v64, 1
	v_cmp_gt_i32_e64 s8, 0, v2
	v_cndmask_b32_e64 v2, v2, v64, s8
	v_lshlrev_b32_e32 v2, 2, v2
	ds_bpermute_b32 v11, v2, v1
	s_and_saveexec_b32 s8, vcc_lo
	s_cbranch_execz .LBB184_65
; %bb.46:
	v_mov_b32_e32 v7, 0
	ds_read_b32 v1, v7 offset:28
	s_and_saveexec_b32 s9, s7
	s_cbranch_execz .LBB184_48
; %bb.47:
	s_add_i32 s10, s25, 32
	s_mov_b32 s11, 0
	v_mov_b32_e32 v2, 1
	s_lshl_b64 s[10:11], s[10:11], 3
	s_add_u32 s10, s22, s10
	s_addc_u32 s11, s23, s11
	s_waitcnt lgkmcnt(0)
	global_store_dwordx2 v7, v[1:2], s[10:11]
.LBB184_48:
	s_or_b32 exec_lo, exec_lo, s9
	v_xad_u32 v3, v64, -1, s25
	s_mov_b32 s10, 0
	v_add_nc_u32_e32 v6, 32, v3
	v_lshlrev_b64 v[4:5], 3, v[6:7]
	v_add_co_u32 v8, vcc_lo, s22, v4
	v_add_co_ci_u32_e64 v9, null, s23, v5, vcc_lo
	global_load_dwordx2 v[5:6], v[8:9], off glc dlc
	s_waitcnt vmcnt(0)
	v_cmp_eq_u16_sdwa s11, v6, v7 src0_sel:BYTE_0 src1_sel:DWORD
	s_and_saveexec_b32 s9, s11
	s_cbranch_execz .LBB184_52
; %bb.49:
	v_mov_b32_e32 v2, 0
.LBB184_50:                             ; =>This Inner Loop Header: Depth=1
	global_load_dwordx2 v[5:6], v[8:9], off glc dlc
	s_waitcnt vmcnt(0)
	v_cmp_ne_u16_sdwa s11, v6, v2 src0_sel:BYTE_0 src1_sel:DWORD
	s_or_b32 s10, s11, s10
	s_andn2_b32 exec_lo, exec_lo, s10
	s_cbranch_execnz .LBB184_50
; %bb.51:
	s_or_b32 exec_lo, exec_lo, s10
.LBB184_52:
	s_or_b32 exec_lo, exec_lo, s9
	v_cmp_ne_u32_e32 vcc_lo, 31, v64
	v_mov_b32_e32 v12, 2
	v_lshlrev_b32_e64 v13, v64, -1
	v_add_nc_u32_e32 v15, 2, v64
	v_add_nc_u32_e32 v17, 4, v64
	v_add_co_ci_u32_e64 v2, null, 0, v64, vcc_lo
	v_cmp_eq_u16_sdwa s9, v6, v12 src0_sel:BYTE_0 src1_sel:DWORD
	v_cmp_gt_u32_e32 vcc_lo, 30, v64
	v_add_nc_u32_e32 v68, 8, v64
	v_lshlrev_b32_e32 v9, 2, v2
	v_lshl_or_b32 v69, v64, 2, 64
	v_and_or_b32 v4, s9, v13, 0x80000000
	v_cndmask_b32_e64 v7, 0, 2, vcc_lo
	v_add_nc_u32_e32 v70, 16, v64
	ds_bpermute_b32 v2, v9, v5
	v_ffbl_b32_e32 v4, v4
	v_add_lshl_u32 v14, v7, v64, 2
	v_cmp_lt_u32_e32 vcc_lo, v64, v4
	s_waitcnt lgkmcnt(0)
	v_cndmask_b32_e32 v2, 0, v2, vcc_lo
	v_cmp_gt_u32_e32 vcc_lo, 28, v64
	v_add_nc_u32_e32 v2, v2, v5
	v_cndmask_b32_e64 v7, 0, 4, vcc_lo
	v_cmp_le_u32_e32 vcc_lo, v15, v4
	ds_bpermute_b32 v5, v14, v2
	v_add_lshl_u32 v16, v7, v64, 2
	s_waitcnt lgkmcnt(0)
	v_cndmask_b32_e32 v5, 0, v5, vcc_lo
	v_cmp_gt_u32_e32 vcc_lo, 24, v64
	v_add_nc_u32_e32 v2, v2, v5
	v_cndmask_b32_e64 v7, 0, 8, vcc_lo
	v_cmp_le_u32_e32 vcc_lo, v17, v4
	ds_bpermute_b32 v5, v16, v2
	v_add_lshl_u32 v67, v7, v64, 2
	s_waitcnt lgkmcnt(0)
	v_cndmask_b32_e32 v5, 0, v5, vcc_lo
	v_cmp_le_u32_e32 vcc_lo, v68, v4
	v_add_nc_u32_e32 v2, v2, v5
	ds_bpermute_b32 v5, v67, v2
	s_waitcnt lgkmcnt(0)
	v_cndmask_b32_e32 v5, 0, v5, vcc_lo
	v_cmp_le_u32_e32 vcc_lo, v70, v4
	v_add_nc_u32_e32 v2, v2, v5
	ds_bpermute_b32 v5, v69, v2
	s_waitcnt lgkmcnt(0)
	v_cndmask_b32_e32 v4, 0, v5, vcc_lo
	v_add_nc_u32_e32 v5, v2, v4
	v_mov_b32_e32 v4, 0
	s_branch .LBB184_56
.LBB184_53:                             ;   in Loop: Header=BB184_56 Depth=1
	s_or_b32 exec_lo, exec_lo, s10
.LBB184_54:                             ;   in Loop: Header=BB184_56 Depth=1
	s_or_b32 exec_lo, exec_lo, s9
	ds_bpermute_b32 v7, v9, v5
	v_cmp_eq_u16_sdwa s9, v6, v12 src0_sel:BYTE_0 src1_sel:DWORD
	v_subrev_nc_u32_e32 v3, 32, v3
	v_and_or_b32 v8, s9, v13, 0x80000000
	s_mov_b32 s9, 0
	v_ffbl_b32_e32 v8, v8
	v_cmp_lt_u32_e32 vcc_lo, v64, v8
	s_waitcnt lgkmcnt(0)
	v_cndmask_b32_e32 v7, 0, v7, vcc_lo
	v_cmp_le_u32_e32 vcc_lo, v15, v8
	v_add_nc_u32_e32 v5, v7, v5
	ds_bpermute_b32 v7, v14, v5
	s_waitcnt lgkmcnt(0)
	v_cndmask_b32_e32 v7, 0, v7, vcc_lo
	v_cmp_le_u32_e32 vcc_lo, v17, v8
	v_add_nc_u32_e32 v5, v5, v7
	ds_bpermute_b32 v7, v16, v5
	;; [unrolled: 5-line block ×4, first 2 shown]
	s_waitcnt lgkmcnt(0)
	v_cndmask_b32_e32 v7, 0, v7, vcc_lo
	v_add3_u32 v5, v7, v2, v5
.LBB184_55:                             ;   in Loop: Header=BB184_56 Depth=1
	s_and_b32 vcc_lo, exec_lo, s9
	s_cbranch_vccnz .LBB184_61
.LBB184_56:                             ; =>This Loop Header: Depth=1
                                        ;     Child Loop BB184_59 Depth 2
	v_cmp_ne_u16_sdwa s9, v6, v12 src0_sel:BYTE_0 src1_sel:DWORD
	v_mov_b32_e32 v2, v5
                                        ; implicit-def: $vgpr5
                                        ; implicit-def: $vgpr6
	s_cmp_lg_u32 s9, exec_lo
	s_mov_b32 s9, -1
	s_cbranch_scc1 .LBB184_55
; %bb.57:                               ;   in Loop: Header=BB184_56 Depth=1
	v_lshlrev_b64 v[5:6], 3, v[3:4]
	v_add_co_u32 v7, vcc_lo, s22, v5
	v_add_co_ci_u32_e64 v8, null, s23, v6, vcc_lo
	global_load_dwordx2 v[5:6], v[7:8], off glc dlc
	s_waitcnt vmcnt(0)
	v_cmp_eq_u16_sdwa s10, v6, v4 src0_sel:BYTE_0 src1_sel:DWORD
	s_and_saveexec_b32 s9, s10
	s_cbranch_execz .LBB184_54
; %bb.58:                               ;   in Loop: Header=BB184_56 Depth=1
	s_mov_b32 s10, 0
.LBB184_59:                             ;   Parent Loop BB184_56 Depth=1
                                        ; =>  This Inner Loop Header: Depth=2
	global_load_dwordx2 v[5:6], v[7:8], off glc dlc
	s_waitcnt vmcnt(0)
	v_cmp_ne_u16_sdwa s11, v6, v4 src0_sel:BYTE_0 src1_sel:DWORD
	s_or_b32 s10, s11, s10
	s_andn2_b32 exec_lo, exec_lo, s10
	s_cbranch_execnz .LBB184_59
	s_branch .LBB184_53
.LBB184_60:
                                        ; implicit-def: $vgpr17
                                        ; implicit-def: $vgpr1_vgpr2_vgpr3_vgpr4_vgpr5_vgpr6_vgpr7_vgpr8_vgpr9_vgpr10_vgpr11_vgpr12_vgpr13_vgpr14_vgpr15_vgpr16
	s_and_b32 vcc_lo, exec_lo, s7
	s_cbranch_vccnz .LBB184_66
	s_branch .LBB184_75
.LBB184_61:
	s_and_saveexec_b32 s9, s7
	s_cbranch_execz .LBB184_63
; %bb.62:
	s_add_i32 s10, s25, 32
	s_mov_b32 s11, 0
	v_add_nc_u32_e32 v3, v2, v1
	v_mov_b32_e32 v4, 2
	s_lshl_b64 s[10:11], s[10:11], 3
	v_mov_b32_e32 v5, 0
	s_add_u32 s10, s22, s10
	s_addc_u32 s11, s23, s11
	global_store_dwordx2 v5, v[3:4], s[10:11]
	ds_write_b64 v5, v[1:2] offset:13312
.LBB184_63:
	s_or_b32 exec_lo, exec_lo, s9
	s_and_b32 exec_lo, exec_lo, s0
; %bb.64:
	v_mov_b32_e32 v1, 0
	ds_write_b32 v1, v2 offset:28
.LBB184_65:
	s_or_b32 exec_lo, exec_lo, s8
	v_mov_b32_e32 v12, 0
	s_waitcnt lgkmcnt(0)
	s_waitcnt_vscnt null, 0x0
	s_barrier
	buffer_gl0_inv
	v_cndmask_b32_e64 v2, v11, v10, s7
	ds_read_b32 v1, v12 offset:28
	s_waitcnt lgkmcnt(0)
	s_barrier
	buffer_gl0_inv
	v_cndmask_b32_e64 v2, v2, 0, s0
	ds_read_b64 v[16:17], v12 offset:13312
	v_add_nc_u32_e32 v1, v1, v2
	v_add_nc_u32_e32 v2, v1, v55
	;; [unrolled: 1-line block ×13, first 2 shown]
	s_branch .LBB184_75
.LBB184_66:
	v_mov_b32_dpp v1, v66 row_shr:1 row_mask:0xf bank_mask:0xf
	v_cndmask_b32_e64 v1, v1, 0, s6
	v_add_nc_u32_e32 v1, v1, v66
	v_mov_b32_dpp v2, v1 row_shr:2 row_mask:0xf bank_mask:0xf
	v_cndmask_b32_e64 v2, 0, v2, s5
	v_add_nc_u32_e32 v1, v1, v2
	;; [unrolled: 3-line block ×4, first 2 shown]
	ds_swizzle_b32 v2, v1 offset:swizzle(BROADCAST,32,15)
	s_waitcnt lgkmcnt(0)
	v_cndmask_b32_e64 v2, v2, 0, s2
	v_add_nc_u32_e32 v1, v1, v2
	s_and_saveexec_b32 s2, s1
; %bb.67:
	v_lshlrev_b32_e32 v2, 2, v65
	ds_write_b32 v2, v1
; %bb.68:
	s_or_b32 exec_lo, exec_lo, s2
	s_mov_b32 s1, exec_lo
	s_waitcnt lgkmcnt(0)
	s_barrier
	buffer_gl0_inv
	v_cmpx_gt_u32_e32 8, v0
	s_cbranch_execz .LBB184_70
; %bb.69:
	ds_read_b32 v2, v44
	v_and_b32_e32 v3, 7, v64
	v_cmp_ne_u32_e32 vcc_lo, 0, v3
	s_waitcnt lgkmcnt(0)
	v_mov_b32_dpp v4, v2 row_shr:1 row_mask:0xf bank_mask:0xf
	v_cndmask_b32_e32 v4, 0, v4, vcc_lo
	v_cmp_lt_u32_e32 vcc_lo, 1, v3
	v_add_nc_u32_e32 v2, v4, v2
	v_mov_b32_dpp v4, v2 row_shr:2 row_mask:0xf bank_mask:0xf
	v_cndmask_b32_e32 v4, 0, v4, vcc_lo
	v_cmp_lt_u32_e32 vcc_lo, 3, v3
	v_add_nc_u32_e32 v2, v2, v4
	v_mov_b32_dpp v4, v2 row_shr:4 row_mask:0xf bank_mask:0xf
	v_cndmask_b32_e32 v3, 0, v4, vcc_lo
	v_add_nc_u32_e32 v2, v2, v3
	ds_write_b32 v44, v2
.LBB184_70:
	s_or_b32 exec_lo, exec_lo, s1
	v_mov_b32_e32 v3, 0
	v_mov_b32_e32 v2, 0
	s_mov_b32 s1, exec_lo
	s_waitcnt lgkmcnt(0)
	s_barrier
	buffer_gl0_inv
	v_cmpx_lt_u32_e32 31, v0
; %bb.71:
	v_lshl_add_u32 v2, v65, 2, -4
	ds_read_b32 v2, v2
; %bb.72:
	s_or_b32 exec_lo, exec_lo, s1
	v_sub_co_u32 v4, vcc_lo, v64, 1
	s_waitcnt lgkmcnt(0)
	v_add_nc_u32_e32 v1, v2, v1
	ds_read_b32 v16, v3 offset:28
	v_cmp_gt_i32_e64 s1, 0, v4
	v_cndmask_b32_e64 v4, v4, v64, s1
	v_lshlrev_b32_e32 v4, 2, v4
	ds_bpermute_b32 v1, v4, v1
	s_and_saveexec_b32 s1, s0
	s_cbranch_execz .LBB184_74
; %bb.73:
	v_mov_b32_e32 v3, 0
	v_mov_b32_e32 v17, 2
	s_waitcnt lgkmcnt(1)
	global_store_dwordx2 v3, v[16:17], s[22:23] offset:256
.LBB184_74:
	s_or_b32 exec_lo, exec_lo, s1
	s_waitcnt lgkmcnt(0)
	v_cndmask_b32_e32 v1, v1, v2, vcc_lo
	v_mov_b32_e32 v17, 0
	s_waitcnt_vscnt null, 0x0
	s_barrier
	buffer_gl0_inv
	v_cndmask_b32_e64 v1, v1, 0, s0
	v_add_nc_u32_e32 v2, v1, v55
	v_add_nc_u32_e32 v3, v2, v56
	;; [unrolled: 1-line block ×12, first 2 shown]
.LBB184_75:
	s_waitcnt lgkmcnt(0)
	v_add_nc_u32_e32 v47, v16, v47
	v_sub_nc_u32_e32 v1, v1, v17
	v_and_b32_e32 v56, 1, v52
	v_lshrrev_b32_e32 v55, 8, v52
	v_sub_nc_u32_e32 v2, v2, v17
	v_sub_nc_u32_e32 v3, v3, v17
	;; [unrolled: 1-line block ×3, first 2 shown]
	v_cmp_eq_u32_e32 vcc_lo, 1, v56
	v_and_b32_e32 v55, 1, v55
	v_mov_b32_e32 v58, 1
	v_sub_nc_u32_e32 v56, v47, v2
	v_sub_nc_u32_e32 v4, v4, v17
	v_cndmask_b32_e32 v1, v57, v1, vcc_lo
	v_sub_nc_u32_e32 v57, v47, v3
	v_and_b32_sdwa v52, v58, v52 dst_sel:DWORD dst_unused:UNUSED_PAD src0_sel:DWORD src1_sel:WORD_1
	v_add_nc_u32_e32 v56, 1, v56
	v_cmp_eq_u32_e32 vcc_lo, 1, v55
	v_lshlrev_b32_e32 v1, 2, v1
	v_and_b32_e32 v54, 1, v54
	v_sub_nc_u32_e32 v59, v47, v4
	v_add_nc_u32_e32 v57, 2, v57
	v_lshrrev_b32_e32 v15, 8, v50
	ds_write_b32 v1, v30
	v_cndmask_b32_e32 v1, v56, v2, vcc_lo
	v_cmp_eq_u32_e32 vcc_lo, 1, v52
	v_add_nc_u32_e32 v59, 3, v59
	v_lshrrev_b32_e32 v14, 8, v49
	v_lshlrev_b32_e32 v1, 2, v1
	v_cndmask_b32_e32 v2, v57, v3, vcc_lo
	v_cmp_eq_u32_e32 vcc_lo, 1, v54
	ds_write_b32 v1, v31
	v_lshlrev_b32_e32 v2, 2, v2
	v_cndmask_b32_e32 v3, v59, v4, vcc_lo
	v_sub_nc_u32_e32 v4, v5, v17
	v_sub_nc_u32_e32 v5, v6, v17
	v_lshlrev_b32_e32 v3, 2, v3
	v_sub_nc_u32_e32 v1, v47, v4
	v_sub_nc_u32_e32 v6, v47, v5
	ds_write_b32 v2, v28
	ds_write_b32 v3, v29
	v_and_b32_e32 v2, 1, v50
	v_add_nc_u32_e32 v1, 4, v1
	v_add_nc_u32_e32 v3, 5, v6
	v_sub_nc_u32_e32 v6, v7, v17
	v_and_b32_e32 v7, 1, v15
	v_cmp_eq_u32_e32 vcc_lo, 1, v2
	v_sub_nc_u32_e32 v2, v8, v17
	v_and_b32_e32 v8, 1, v53
	v_add_co_u32 v15, s1, v18, v17
	v_cndmask_b32_e32 v1, v1, v4, vcc_lo
	v_sub_nc_u32_e32 v4, v47, v6
	v_cmp_eq_u32_e32 vcc_lo, 1, v7
	v_and_b32_sdwa v7, v58, v50 dst_sel:DWORD dst_unused:UNUSED_PAD src0_sel:DWORD src1_sel:WORD_1
	v_lshlrev_b32_e32 v1, 2, v1
	v_add_nc_u32_e32 v4, 6, v4
	v_cndmask_b32_e32 v3, v3, v5, vcc_lo
	v_sub_nc_u32_e32 v5, v47, v2
	v_cmp_eq_u32_e32 vcc_lo, 1, v7
	v_sub_nc_u32_e32 v7, v13, v17
	v_lshlrev_b32_e32 v3, 2, v3
	v_add_nc_u32_e32 v5, 7, v5
	v_cndmask_b32_e32 v4, v4, v6, vcc_lo
	v_cmp_eq_u32_e32 vcc_lo, 1, v8
	v_sub_nc_u32_e32 v6, v9, v17
	ds_write_b32 v1, v26
	ds_write_b32 v3, v27
	v_lshlrev_b32_e32 v3, 2, v4
	v_cndmask_b32_e32 v2, v5, v2, vcc_lo
	v_sub_nc_u32_e32 v1, v47, v6
	v_and_b32_e32 v5, 1, v49
	v_sub_nc_u32_e32 v4, v10, v17
	v_and_b32_e32 v10, 1, v51
	v_lshlrev_b32_e32 v2, 2, v2
	v_add_nc_u32_e32 v1, 8, v1
	ds_write_b32 v3, v24
	ds_write_b32 v2, v25
	v_cmp_eq_u32_e32 vcc_lo, 1, v5
	v_sub_nc_u32_e32 v3, v11, v17
	v_sub_nc_u32_e32 v2, v47, v4
	;; [unrolled: 1-line block ×3, first 2 shown]
	v_and_b32_e32 v11, 1, v48
	v_cndmask_b32_e32 v1, v1, v6, vcc_lo
	v_and_b32_e32 v6, 1, v14
	v_sub_nc_u32_e32 v8, v47, v3
	v_add_nc_u32_e32 v2, 9, v2
	v_sub_nc_u32_e32 v9, v47, v5
	v_lshlrev_b32_e32 v1, 2, v1
	v_cmp_eq_u32_e32 vcc_lo, 1, v6
	v_add_nc_u32_e32 v6, 10, v8
	v_and_b32_sdwa v8, v58, v49 dst_sel:DWORD dst_unused:UNUSED_PAD src0_sel:DWORD src1_sel:WORD_1
	v_add_nc_u32_e32 v9, 11, v9
	v_add_co_ci_u32_e64 v17, null, 0, v19, s1
	v_cndmask_b32_e32 v2, v2, v4, vcc_lo
	v_cmp_eq_u32_e32 vcc_lo, 1, v8
	v_sub_nc_u32_e32 v4, v47, v7
	v_lshlrev_b32_e32 v2, 2, v2
	v_cndmask_b32_e32 v3, v6, v3, vcc_lo
	v_cmp_eq_u32_e32 vcc_lo, 1, v10
	v_add_nc_u32_e32 v4, 12, v4
	v_lshlrev_b32_e32 v3, 2, v3
	v_cndmask_b32_e32 v5, v9, v5, vcc_lo
	v_cmp_eq_u32_e32 vcc_lo, 1, v11
	v_lshlrev_b32_e32 v5, 2, v5
	v_cndmask_b32_e32 v4, v4, v7, vcc_lo
	v_cmp_ne_u32_e32 vcc_lo, 1, v45
	v_lshlrev_b32_e32 v4, 2, v4
	ds_write_b32 v1, v22
	ds_write_b32 v2, v23
	;; [unrolled: 1-line block ×5, first 2 shown]
	s_waitcnt lgkmcnt(0)
	s_barrier
	buffer_gl0_inv
	ds_read2st64_b32 v[11:12], v44 offset1:4
	ds_read2st64_b32 v[9:10], v44 offset0:8 offset1:12
	ds_read2st64_b32 v[7:8], v44 offset0:16 offset1:20
	;; [unrolled: 1-line block ×5, first 2 shown]
	ds_read_b32 v20, v44 offset:12288
	s_cbranch_vccnz .LBB184_132
; %bb.76:
	s_sub_u32 s1, s20, s24
	v_sub_co_u32 v13, vcc_lo, v15, s18
	s_subb_u32 s2, s21, 0
	v_add_co_u32 v18, s1, s1, v16
	v_subrev_co_ci_u32_e64 v14, null, s19, v17, vcc_lo
	v_add_co_ci_u32_e64 v19, null, s2, 0, s1
	v_add_co_u32 v18, vcc_lo, v18, v13
	s_mov_b32 s1, exec_lo
	v_add_co_ci_u32_e64 v19, null, v19, v14, vcc_lo
                                        ; implicit-def: $vgpr13_vgpr14
	v_cmpx_ge_u32_e64 v0, v16
	s_xor_b32 s1, exec_lo, s1
; %bb.77:
	v_not_b32_e32 v13, v0
	v_ashrrev_i32_e32 v14, 31, v13
	v_add_co_u32 v13, vcc_lo, v18, v13
	v_add_co_ci_u32_e64 v14, null, v19, v14, vcc_lo
; %bb.78:
	s_andn2_saveexec_b32 s1, s1
; %bb.79:
	v_add_co_u32 v13, vcc_lo, v15, v0
	v_add_co_ci_u32_e64 v14, null, 0, v17, vcc_lo
; %bb.80:
	s_or_b32 exec_lo, exec_lo, s1
	v_lshlrev_b64 v[13:14], 2, v[13:14]
	s_mov_b32 s1, exec_lo
	v_add_co_u32 v13, vcc_lo, s16, v13
	v_add_co_ci_u32_e64 v14, null, s17, v14, vcc_lo
	s_waitcnt lgkmcnt(6)
	global_store_dword v[13:14], v11, off
                                        ; implicit-def: $vgpr13_vgpr14
	v_cmpx_ge_u32_e64 v43, v16
	s_xor_b32 s1, exec_lo, s1
; %bb.81:
	v_xor_b32_e32 v13, 0xfffffeff, v0
	v_ashrrev_i32_e32 v14, 31, v13
	v_add_co_u32 v13, vcc_lo, v18, v13
	v_add_co_ci_u32_e64 v14, null, v19, v14, vcc_lo
; %bb.82:
	s_andn2_saveexec_b32 s1, s1
; %bb.83:
	v_add_co_u32 v13, vcc_lo, v15, v43
	v_add_co_ci_u32_e64 v14, null, 0, v17, vcc_lo
; %bb.84:
	s_or_b32 exec_lo, exec_lo, s1
	v_lshlrev_b64 v[13:14], 2, v[13:14]
	s_mov_b32 s1, exec_lo
	v_add_co_u32 v13, vcc_lo, s16, v13
	v_add_co_ci_u32_e64 v14, null, s17, v14, vcc_lo
	global_store_dword v[13:14], v12, off
                                        ; implicit-def: $vgpr13_vgpr14
	v_cmpx_ge_u32_e64 v42, v16
	s_xor_b32 s1, exec_lo, s1
; %bb.85:
	v_xor_b32_e32 v13, 0xfffffdff, v0
	v_ashrrev_i32_e32 v14, 31, v13
	v_add_co_u32 v13, vcc_lo, v18, v13
	v_add_co_ci_u32_e64 v14, null, v19, v14, vcc_lo
; %bb.86:
	s_andn2_saveexec_b32 s1, s1
; %bb.87:
	v_add_co_u32 v13, vcc_lo, v15, v42
	v_add_co_ci_u32_e64 v14, null, 0, v17, vcc_lo
; %bb.88:
	s_or_b32 exec_lo, exec_lo, s1
	v_lshlrev_b64 v[13:14], 2, v[13:14]
	s_mov_b32 s1, exec_lo
	v_add_co_u32 v13, vcc_lo, s16, v13
	v_add_co_ci_u32_e64 v14, null, s17, v14, vcc_lo
	s_waitcnt lgkmcnt(5)
	global_store_dword v[13:14], v9, off
                                        ; implicit-def: $vgpr13_vgpr14
	v_cmpx_ge_u32_e64 v41, v16
	s_xor_b32 s1, exec_lo, s1
; %bb.89:
	v_xor_b32_e32 v13, 0xfffffcff, v0
	v_ashrrev_i32_e32 v14, 31, v13
	v_add_co_u32 v13, vcc_lo, v18, v13
	v_add_co_ci_u32_e64 v14, null, v19, v14, vcc_lo
; %bb.90:
	s_andn2_saveexec_b32 s1, s1
; %bb.91:
	v_add_co_u32 v13, vcc_lo, v15, v41
	v_add_co_ci_u32_e64 v14, null, 0, v17, vcc_lo
; %bb.92:
	s_or_b32 exec_lo, exec_lo, s1
	v_lshlrev_b64 v[13:14], 2, v[13:14]
	s_mov_b32 s1, exec_lo
	v_add_co_u32 v13, vcc_lo, s16, v13
	v_add_co_ci_u32_e64 v14, null, s17, v14, vcc_lo
	global_store_dword v[13:14], v10, off
                                        ; implicit-def: $vgpr13_vgpr14
	v_cmpx_ge_u32_e64 v40, v16
	s_xor_b32 s1, exec_lo, s1
; %bb.93:
	v_xor_b32_e32 v13, 0xfffffbff, v0
	;; [unrolled: 41-line block ×6, first 2 shown]
	v_ashrrev_i32_e32 v14, 31, v13
	v_add_co_u32 v13, vcc_lo, v18, v13
	v_add_co_ci_u32_e64 v14, null, v19, v14, vcc_lo
; %bb.126:
	s_andn2_saveexec_b32 s1, s1
; %bb.127:
	v_add_co_u32 v13, vcc_lo, v15, v32
	v_add_co_ci_u32_e64 v14, null, 0, v17, vcc_lo
; %bb.128:
	s_or_b32 exec_lo, exec_lo, s1
	s_mov_b32 s1, -1
.LBB184_129:
	s_and_saveexec_b32 s2, s1
	s_cbranch_execz .LBB184_212
.LBB184_130:
	s_waitcnt lgkmcnt(1)
	v_lshlrev_b64 v[0:1], 2, v[13:14]
	v_add_co_u32 v0, vcc_lo, s16, v0
	v_add_co_ci_u32_e64 v1, null, s17, v1, vcc_lo
	s_waitcnt lgkmcnt(0)
	global_store_dword v[0:1], v20, off
	s_or_b32 exec_lo, exec_lo, s2
	s_and_b32 s0, s0, s14
	s_and_saveexec_b32 s1, s0
	s_cbranch_execnz .LBB184_213
.LBB184_131:
	s_endpgm
.LBB184_132:
	s_mov_b32 s1, 0
                                        ; implicit-def: $vgpr13_vgpr14
	s_cbranch_execz .LBB184_129
; %bb.133:
	s_add_u32 s2, s18, s24
	s_addc_u32 s3, s19, 0
	s_sub_u32 s2, s20, s2
	s_subb_u32 s3, s21, s3
	v_add_co_u32 v13, s2, s2, v16
	v_add_co_ci_u32_e64 v14, null, s3, 0, s2
	s_mov_b32 s2, exec_lo
	v_add_co_u32 v18, vcc_lo, v13, v15
	v_add_co_ci_u32_e64 v19, null, v14, v17, vcc_lo
	v_cmpx_gt_u32_e64 s15, v0
	s_cbranch_execz .LBB184_169
; %bb.134:
	s_mov_b32 s3, exec_lo
                                        ; implicit-def: $vgpr13_vgpr14
	v_cmpx_ge_u32_e64 v0, v16
	s_xor_b32 s3, exec_lo, s3
; %bb.135:
	v_not_b32_e32 v13, v0
	v_ashrrev_i32_e32 v14, 31, v13
	v_add_co_u32 v13, vcc_lo, v18, v13
	v_add_co_ci_u32_e64 v14, null, v19, v14, vcc_lo
; %bb.136:
	s_andn2_saveexec_b32 s3, s3
; %bb.137:
	v_add_co_u32 v13, vcc_lo, v15, v0
	v_add_co_ci_u32_e64 v14, null, 0, v17, vcc_lo
; %bb.138:
	s_or_b32 exec_lo, exec_lo, s3
	v_lshlrev_b64 v[13:14], 2, v[13:14]
	v_add_co_u32 v13, vcc_lo, s16, v13
	v_add_co_ci_u32_e64 v14, null, s17, v14, vcc_lo
	s_waitcnt lgkmcnt(6)
	global_store_dword v[13:14], v11, off
	s_or_b32 exec_lo, exec_lo, s2
	s_mov_b32 s2, exec_lo
	v_cmpx_gt_u32_e64 s15, v43
	s_cbranch_execnz .LBB184_170
.LBB184_139:
	s_or_b32 exec_lo, exec_lo, s2
	s_mov_b32 s2, exec_lo
	v_cmpx_gt_u32_e64 s15, v42
	s_cbranch_execz .LBB184_175
.LBB184_140:
	s_mov_b32 s3, exec_lo
                                        ; implicit-def: $vgpr11_vgpr12
	v_cmpx_ge_u32_e64 v42, v16
	s_xor_b32 s3, exec_lo, s3
	s_cbranch_execz .LBB184_142
; %bb.141:
	s_waitcnt lgkmcnt(6)
	v_xor_b32_e32 v11, 0xfffffdff, v0
                                        ; implicit-def: $vgpr42
	v_ashrrev_i32_e32 v12, 31, v11
	v_add_co_u32 v11, vcc_lo, v18, v11
	v_add_co_ci_u32_e64 v12, null, v19, v12, vcc_lo
.LBB184_142:
	s_andn2_saveexec_b32 s3, s3
	s_cbranch_execz .LBB184_144
; %bb.143:
	s_waitcnt lgkmcnt(6)
	v_add_co_u32 v11, vcc_lo, v15, v42
	v_add_co_ci_u32_e64 v12, null, 0, v17, vcc_lo
.LBB184_144:
	s_or_b32 exec_lo, exec_lo, s3
	s_waitcnt lgkmcnt(6)
	v_lshlrev_b64 v[11:12], 2, v[11:12]
	v_add_co_u32 v11, vcc_lo, s16, v11
	v_add_co_ci_u32_e64 v12, null, s17, v12, vcc_lo
	s_waitcnt lgkmcnt(5)
	global_store_dword v[11:12], v9, off
	s_or_b32 exec_lo, exec_lo, s2
	s_mov_b32 s2, exec_lo
	v_cmpx_gt_u32_e64 s15, v41
	s_cbranch_execnz .LBB184_176
.LBB184_145:
	s_or_b32 exec_lo, exec_lo, s2
	s_mov_b32 s2, exec_lo
	v_cmpx_gt_u32_e64 s15, v40
	s_cbranch_execz .LBB184_181
.LBB184_146:
	s_mov_b32 s3, exec_lo
                                        ; implicit-def: $vgpr9_vgpr10
	v_cmpx_ge_u32_e64 v40, v16
	s_xor_b32 s3, exec_lo, s3
	s_cbranch_execz .LBB184_148
; %bb.147:
	s_waitcnt lgkmcnt(5)
	v_xor_b32_e32 v9, 0xfffffbff, v0
                                        ; implicit-def: $vgpr40
	v_ashrrev_i32_e32 v10, 31, v9
	v_add_co_u32 v9, vcc_lo, v18, v9
	v_add_co_ci_u32_e64 v10, null, v19, v10, vcc_lo
.LBB184_148:
	s_andn2_saveexec_b32 s3, s3
	s_cbranch_execz .LBB184_150
; %bb.149:
	s_waitcnt lgkmcnt(5)
	v_add_co_u32 v9, vcc_lo, v15, v40
	v_add_co_ci_u32_e64 v10, null, 0, v17, vcc_lo
.LBB184_150:
	s_or_b32 exec_lo, exec_lo, s3
	s_waitcnt lgkmcnt(5)
	v_lshlrev_b64 v[9:10], 2, v[9:10]
	v_add_co_u32 v9, vcc_lo, s16, v9
	v_add_co_ci_u32_e64 v10, null, s17, v10, vcc_lo
	s_waitcnt lgkmcnt(4)
	global_store_dword v[9:10], v7, off
	s_or_b32 exec_lo, exec_lo, s2
	s_mov_b32 s2, exec_lo
	v_cmpx_gt_u32_e64 s15, v39
	s_cbranch_execnz .LBB184_182
.LBB184_151:
	s_or_b32 exec_lo, exec_lo, s2
	s_mov_b32 s2, exec_lo
	v_cmpx_gt_u32_e64 s15, v38
	s_cbranch_execz .LBB184_187
.LBB184_152:
	s_mov_b32 s3, exec_lo
                                        ; implicit-def: $vgpr7_vgpr8
	v_cmpx_ge_u32_e64 v38, v16
	s_xor_b32 s3, exec_lo, s3
	s_cbranch_execz .LBB184_154
; %bb.153:
	s_waitcnt lgkmcnt(4)
	v_xor_b32_e32 v7, 0xfffff9ff, v0
                                        ; implicit-def: $vgpr38
	v_ashrrev_i32_e32 v8, 31, v7
	v_add_co_u32 v7, vcc_lo, v18, v7
	v_add_co_ci_u32_e64 v8, null, v19, v8, vcc_lo
.LBB184_154:
	s_andn2_saveexec_b32 s3, s3
	s_cbranch_execz .LBB184_156
; %bb.155:
	s_waitcnt lgkmcnt(4)
	v_add_co_u32 v7, vcc_lo, v15, v38
	v_add_co_ci_u32_e64 v8, null, 0, v17, vcc_lo
.LBB184_156:
	s_or_b32 exec_lo, exec_lo, s3
	s_waitcnt lgkmcnt(4)
	v_lshlrev_b64 v[7:8], 2, v[7:8]
	v_add_co_u32 v7, vcc_lo, s16, v7
	v_add_co_ci_u32_e64 v8, null, s17, v8, vcc_lo
	s_waitcnt lgkmcnt(3)
	global_store_dword v[7:8], v5, off
	s_or_b32 exec_lo, exec_lo, s2
	s_mov_b32 s2, exec_lo
	v_cmpx_gt_u32_e64 s15, v37
	s_cbranch_execnz .LBB184_188
.LBB184_157:
	s_or_b32 exec_lo, exec_lo, s2
	s_mov_b32 s2, exec_lo
	v_cmpx_gt_u32_e64 s15, v36
	s_cbranch_execz .LBB184_193
.LBB184_158:
	s_mov_b32 s3, exec_lo
                                        ; implicit-def: $vgpr5_vgpr6
	v_cmpx_ge_u32_e64 v36, v16
	s_xor_b32 s3, exec_lo, s3
	s_cbranch_execz .LBB184_160
; %bb.159:
	s_waitcnt lgkmcnt(3)
	v_xor_b32_e32 v5, 0xfffff7ff, v0
                                        ; implicit-def: $vgpr36
	v_ashrrev_i32_e32 v6, 31, v5
	v_add_co_u32 v5, vcc_lo, v18, v5
	v_add_co_ci_u32_e64 v6, null, v19, v6, vcc_lo
.LBB184_160:
	s_andn2_saveexec_b32 s3, s3
	s_cbranch_execz .LBB184_162
; %bb.161:
	s_waitcnt lgkmcnt(3)
	v_add_co_u32 v5, vcc_lo, v15, v36
	v_add_co_ci_u32_e64 v6, null, 0, v17, vcc_lo
.LBB184_162:
	s_or_b32 exec_lo, exec_lo, s3
	s_waitcnt lgkmcnt(3)
	v_lshlrev_b64 v[5:6], 2, v[5:6]
	v_add_co_u32 v5, vcc_lo, s16, v5
	v_add_co_ci_u32_e64 v6, null, s17, v6, vcc_lo
	s_waitcnt lgkmcnt(2)
	global_store_dword v[5:6], v3, off
	s_or_b32 exec_lo, exec_lo, s2
	s_mov_b32 s2, exec_lo
	v_cmpx_gt_u32_e64 s15, v35
	s_cbranch_execnz .LBB184_194
.LBB184_163:
	s_or_b32 exec_lo, exec_lo, s2
	s_mov_b32 s2, exec_lo
	v_cmpx_gt_u32_e64 s15, v34
	s_cbranch_execz .LBB184_199
.LBB184_164:
	s_mov_b32 s3, exec_lo
                                        ; implicit-def: $vgpr3_vgpr4
	v_cmpx_ge_u32_e64 v34, v16
	s_xor_b32 s3, exec_lo, s3
	s_cbranch_execz .LBB184_166
; %bb.165:
	s_waitcnt lgkmcnt(2)
	v_xor_b32_e32 v3, 0xfffff5ff, v0
                                        ; implicit-def: $vgpr34
	v_ashrrev_i32_e32 v4, 31, v3
	v_add_co_u32 v3, vcc_lo, v18, v3
	v_add_co_ci_u32_e64 v4, null, v19, v4, vcc_lo
.LBB184_166:
	s_andn2_saveexec_b32 s3, s3
	s_cbranch_execz .LBB184_168
; %bb.167:
	s_waitcnt lgkmcnt(2)
	v_add_co_u32 v3, vcc_lo, v15, v34
	v_add_co_ci_u32_e64 v4, null, 0, v17, vcc_lo
.LBB184_168:
	s_or_b32 exec_lo, exec_lo, s3
	s_waitcnt lgkmcnt(2)
	v_lshlrev_b64 v[3:4], 2, v[3:4]
	v_add_co_u32 v3, vcc_lo, s16, v3
	v_add_co_ci_u32_e64 v4, null, s17, v4, vcc_lo
	s_waitcnt lgkmcnt(1)
	global_store_dword v[3:4], v1, off
	s_or_b32 exec_lo, exec_lo, s2
	s_mov_b32 s2, exec_lo
	v_cmpx_gt_u32_e64 s15, v33
	s_cbranch_execz .LBB184_205
	s_branch .LBB184_200
.LBB184_169:
	s_or_b32 exec_lo, exec_lo, s2
	s_mov_b32 s2, exec_lo
	v_cmpx_gt_u32_e64 s15, v43
	s_cbranch_execz .LBB184_139
.LBB184_170:
	s_mov_b32 s3, exec_lo
                                        ; implicit-def: $vgpr13_vgpr14
	v_cmpx_ge_u32_e64 v43, v16
	s_xor_b32 s3, exec_lo, s3
	s_cbranch_execz .LBB184_172
; %bb.171:
	s_waitcnt lgkmcnt(6)
	v_xor_b32_e32 v11, 0xfffffeff, v0
                                        ; implicit-def: $vgpr43
	v_ashrrev_i32_e32 v14, 31, v11
	v_add_co_u32 v13, vcc_lo, v18, v11
	v_add_co_ci_u32_e64 v14, null, v19, v14, vcc_lo
.LBB184_172:
	s_andn2_saveexec_b32 s3, s3
; %bb.173:
	v_add_co_u32 v13, vcc_lo, v15, v43
	v_add_co_ci_u32_e64 v14, null, 0, v17, vcc_lo
; %bb.174:
	s_or_b32 exec_lo, exec_lo, s3
	v_lshlrev_b64 v[13:14], 2, v[13:14]
	v_add_co_u32 v13, vcc_lo, s16, v13
	v_add_co_ci_u32_e64 v14, null, s17, v14, vcc_lo
	s_waitcnt lgkmcnt(6)
	global_store_dword v[13:14], v12, off
	s_or_b32 exec_lo, exec_lo, s2
	s_mov_b32 s2, exec_lo
	v_cmpx_gt_u32_e64 s15, v42
	s_cbranch_execnz .LBB184_140
.LBB184_175:
	s_or_b32 exec_lo, exec_lo, s2
	s_mov_b32 s2, exec_lo
	v_cmpx_gt_u32_e64 s15, v41
	s_cbranch_execz .LBB184_145
.LBB184_176:
	s_mov_b32 s3, exec_lo
                                        ; implicit-def: $vgpr11_vgpr12
	v_cmpx_ge_u32_e64 v41, v16
	s_xor_b32 s3, exec_lo, s3
	s_cbranch_execz .LBB184_178
; %bb.177:
	s_waitcnt lgkmcnt(5)
	v_xor_b32_e32 v9, 0xfffffcff, v0
                                        ; implicit-def: $vgpr41
	v_ashrrev_i32_e32 v12, 31, v9
	v_add_co_u32 v11, vcc_lo, v18, v9
	v_add_co_ci_u32_e64 v12, null, v19, v12, vcc_lo
.LBB184_178:
	s_andn2_saveexec_b32 s3, s3
	s_cbranch_execz .LBB184_180
; %bb.179:
	s_waitcnt lgkmcnt(6)
	v_add_co_u32 v11, vcc_lo, v15, v41
	v_add_co_ci_u32_e64 v12, null, 0, v17, vcc_lo
.LBB184_180:
	s_or_b32 exec_lo, exec_lo, s3
	s_waitcnt lgkmcnt(6)
	v_lshlrev_b64 v[11:12], 2, v[11:12]
	v_add_co_u32 v11, vcc_lo, s16, v11
	v_add_co_ci_u32_e64 v12, null, s17, v12, vcc_lo
	s_waitcnt lgkmcnt(5)
	global_store_dword v[11:12], v10, off
	s_or_b32 exec_lo, exec_lo, s2
	s_mov_b32 s2, exec_lo
	v_cmpx_gt_u32_e64 s15, v40
	s_cbranch_execnz .LBB184_146
.LBB184_181:
	s_or_b32 exec_lo, exec_lo, s2
	s_mov_b32 s2, exec_lo
	v_cmpx_gt_u32_e64 s15, v39
	s_cbranch_execz .LBB184_151
.LBB184_182:
	s_mov_b32 s3, exec_lo
                                        ; implicit-def: $vgpr9_vgpr10
	v_cmpx_ge_u32_e64 v39, v16
	s_xor_b32 s3, exec_lo, s3
	s_cbranch_execz .LBB184_184
; %bb.183:
	s_waitcnt lgkmcnt(4)
	v_xor_b32_e32 v7, 0xfffffaff, v0
                                        ; implicit-def: $vgpr39
	v_ashrrev_i32_e32 v10, 31, v7
	v_add_co_u32 v9, vcc_lo, v18, v7
	v_add_co_ci_u32_e64 v10, null, v19, v10, vcc_lo
.LBB184_184:
	s_andn2_saveexec_b32 s3, s3
	s_cbranch_execz .LBB184_186
; %bb.185:
	s_waitcnt lgkmcnt(5)
	v_add_co_u32 v9, vcc_lo, v15, v39
	v_add_co_ci_u32_e64 v10, null, 0, v17, vcc_lo
.LBB184_186:
	s_or_b32 exec_lo, exec_lo, s3
	s_waitcnt lgkmcnt(5)
	v_lshlrev_b64 v[9:10], 2, v[9:10]
	v_add_co_u32 v9, vcc_lo, s16, v9
	v_add_co_ci_u32_e64 v10, null, s17, v10, vcc_lo
	s_waitcnt lgkmcnt(4)
	global_store_dword v[9:10], v8, off
	s_or_b32 exec_lo, exec_lo, s2
	s_mov_b32 s2, exec_lo
	v_cmpx_gt_u32_e64 s15, v38
	s_cbranch_execnz .LBB184_152
.LBB184_187:
	s_or_b32 exec_lo, exec_lo, s2
	s_mov_b32 s2, exec_lo
	v_cmpx_gt_u32_e64 s15, v37
	s_cbranch_execz .LBB184_157
.LBB184_188:
	s_mov_b32 s3, exec_lo
                                        ; implicit-def: $vgpr7_vgpr8
	v_cmpx_ge_u32_e64 v37, v16
	s_xor_b32 s3, exec_lo, s3
	s_cbranch_execz .LBB184_190
; %bb.189:
	s_waitcnt lgkmcnt(3)
	v_xor_b32_e32 v5, 0xfffff8ff, v0
                                        ; implicit-def: $vgpr37
	v_ashrrev_i32_e32 v8, 31, v5
	v_add_co_u32 v7, vcc_lo, v18, v5
	v_add_co_ci_u32_e64 v8, null, v19, v8, vcc_lo
.LBB184_190:
	s_andn2_saveexec_b32 s3, s3
	s_cbranch_execz .LBB184_192
; %bb.191:
	s_waitcnt lgkmcnt(4)
	v_add_co_u32 v7, vcc_lo, v15, v37
	v_add_co_ci_u32_e64 v8, null, 0, v17, vcc_lo
.LBB184_192:
	s_or_b32 exec_lo, exec_lo, s3
	s_waitcnt lgkmcnt(4)
	v_lshlrev_b64 v[7:8], 2, v[7:8]
	v_add_co_u32 v7, vcc_lo, s16, v7
	v_add_co_ci_u32_e64 v8, null, s17, v8, vcc_lo
	s_waitcnt lgkmcnt(3)
	global_store_dword v[7:8], v6, off
	s_or_b32 exec_lo, exec_lo, s2
	s_mov_b32 s2, exec_lo
	v_cmpx_gt_u32_e64 s15, v36
	s_cbranch_execnz .LBB184_158
.LBB184_193:
	s_or_b32 exec_lo, exec_lo, s2
	s_mov_b32 s2, exec_lo
	v_cmpx_gt_u32_e64 s15, v35
	s_cbranch_execz .LBB184_163
.LBB184_194:
	s_mov_b32 s3, exec_lo
                                        ; implicit-def: $vgpr5_vgpr6
	v_cmpx_ge_u32_e64 v35, v16
	s_xor_b32 s3, exec_lo, s3
	s_cbranch_execz .LBB184_196
; %bb.195:
	s_waitcnt lgkmcnt(2)
	v_xor_b32_e32 v3, 0xfffff6ff, v0
                                        ; implicit-def: $vgpr35
	v_ashrrev_i32_e32 v6, 31, v3
	v_add_co_u32 v5, vcc_lo, v18, v3
	v_add_co_ci_u32_e64 v6, null, v19, v6, vcc_lo
.LBB184_196:
	s_andn2_saveexec_b32 s3, s3
	s_cbranch_execz .LBB184_198
; %bb.197:
	s_waitcnt lgkmcnt(3)
	v_add_co_u32 v5, vcc_lo, v15, v35
	v_add_co_ci_u32_e64 v6, null, 0, v17, vcc_lo
.LBB184_198:
	s_or_b32 exec_lo, exec_lo, s3
	s_waitcnt lgkmcnt(3)
	v_lshlrev_b64 v[5:6], 2, v[5:6]
	v_add_co_u32 v5, vcc_lo, s16, v5
	v_add_co_ci_u32_e64 v6, null, s17, v6, vcc_lo
	s_waitcnt lgkmcnt(2)
	global_store_dword v[5:6], v4, off
	s_or_b32 exec_lo, exec_lo, s2
	s_mov_b32 s2, exec_lo
	v_cmpx_gt_u32_e64 s15, v34
	s_cbranch_execnz .LBB184_164
.LBB184_199:
	s_or_b32 exec_lo, exec_lo, s2
	s_mov_b32 s2, exec_lo
	v_cmpx_gt_u32_e64 s15, v33
	s_cbranch_execz .LBB184_205
.LBB184_200:
	s_mov_b32 s3, exec_lo
                                        ; implicit-def: $vgpr3_vgpr4
	v_cmpx_ge_u32_e64 v33, v16
	s_xor_b32 s3, exec_lo, s3
	s_cbranch_execz .LBB184_202
; %bb.201:
	s_waitcnt lgkmcnt(1)
	v_xor_b32_e32 v1, 0xfffff4ff, v0
                                        ; implicit-def: $vgpr33
	v_ashrrev_i32_e32 v4, 31, v1
	v_add_co_u32 v3, vcc_lo, v18, v1
	v_add_co_ci_u32_e64 v4, null, v19, v4, vcc_lo
.LBB184_202:
	s_andn2_saveexec_b32 s3, s3
	s_cbranch_execz .LBB184_204
; %bb.203:
	s_waitcnt lgkmcnt(2)
	v_add_co_u32 v3, vcc_lo, v15, v33
	v_add_co_ci_u32_e64 v4, null, 0, v17, vcc_lo
.LBB184_204:
	s_or_b32 exec_lo, exec_lo, s3
	s_waitcnt lgkmcnt(2)
	v_lshlrev_b64 v[3:4], 2, v[3:4]
	v_add_co_u32 v3, vcc_lo, s16, v3
	v_add_co_ci_u32_e64 v4, null, s17, v4, vcc_lo
	s_waitcnt lgkmcnt(1)
	global_store_dword v[3:4], v2, off
.LBB184_205:
	s_or_b32 exec_lo, exec_lo, s2
	s_mov_b32 s2, exec_lo
                                        ; implicit-def: $vgpr13_vgpr14
	v_cmpx_gt_u32_e64 s15, v32
	s_cbranch_execz .LBB184_211
; %bb.206:
	s_mov_b32 s3, exec_lo
                                        ; implicit-def: $vgpr13_vgpr14
	v_cmpx_ge_u32_e64 v32, v16
	s_xor_b32 s3, exec_lo, s3
	s_cbranch_execz .LBB184_208
; %bb.207:
	v_xor_b32_e32 v0, 0xfffff3ff, v0
                                        ; implicit-def: $vgpr32
	s_waitcnt lgkmcnt(1)
	v_ashrrev_i32_e32 v1, 31, v0
	v_add_co_u32 v13, vcc_lo, v18, v0
	v_add_co_ci_u32_e64 v14, null, v19, v1, vcc_lo
.LBB184_208:
	s_andn2_saveexec_b32 s3, s3
; %bb.209:
	v_add_co_u32 v13, vcc_lo, v15, v32
	v_add_co_ci_u32_e64 v14, null, 0, v17, vcc_lo
; %bb.210:
	s_or_b32 exec_lo, exec_lo, s3
	s_or_b32 s1, s1, exec_lo
.LBB184_211:
	s_or_b32 exec_lo, exec_lo, s2
	s_and_saveexec_b32 s2, s1
	s_cbranch_execnz .LBB184_130
.LBB184_212:
	s_or_b32 exec_lo, exec_lo, s2
	s_and_b32 s0, s0, s14
	s_and_saveexec_b32 s1, s0
	s_cbranch_execz .LBB184_131
.LBB184_213:
	v_add_co_u32 v0, vcc_lo, v15, v16
	s_waitcnt lgkmcnt(1)
	v_mov_b32_e32 v2, 0
	v_add_co_ci_u32_e64 v1, null, 0, v17, vcc_lo
	global_store_dwordx2 v2, v[0:1], s[12:13]
	s_endpgm
	.section	.rodata,"a",@progbits
	.p2align	6, 0x0
	.amdhsa_kernel _ZN7rocprim17ROCPRIM_400000_NS6detail17trampoline_kernelINS0_13select_configILj256ELj13ELNS0_17block_load_methodE3ELS4_3ELS4_3ELNS0_20block_scan_algorithmE0ELj4294967295EEENS1_25partition_config_selectorILNS1_17partition_subalgoE3EjNS0_10empty_typeEbEEZZNS1_14partition_implILS8_3ELb0ES6_jNS0_17counting_iteratorIjlEEPS9_SE_NS0_5tupleIJPjSE_EEENSF_IJSE_SE_EEES9_SG_JZNS1_25segmented_radix_sort_implINS0_14default_configELb0EPKhPhPKlPlN2at6native12_GLOBAL__N_18offset_tEEE10hipError_tPvRmT1_PNSt15iterator_traitsISY_E10value_typeET2_T3_PNSZ_IS14_E10value_typeET4_jRbjT5_S1A_jjP12ihipStream_tbEUljE_EEESV_SW_SX_S14_S18_S1A_T6_T7_T9_mT8_S1C_bDpT10_ENKUlT_T0_E_clISt17integral_constantIbLb0EES1O_IbLb1EEEEDaS1K_S1L_EUlS1K_E_NS1_11comp_targetILNS1_3genE8ELNS1_11target_archE1030ELNS1_3gpuE2ELNS1_3repE0EEENS1_30default_config_static_selectorELNS0_4arch9wavefront6targetE0EEEvSY_
		.amdhsa_group_segment_fixed_size 13320
		.amdhsa_private_segment_fixed_size 0
		.amdhsa_kernarg_size 152
		.amdhsa_user_sgpr_count 6
		.amdhsa_user_sgpr_private_segment_buffer 1
		.amdhsa_user_sgpr_dispatch_ptr 0
		.amdhsa_user_sgpr_queue_ptr 0
		.amdhsa_user_sgpr_kernarg_segment_ptr 1
		.amdhsa_user_sgpr_dispatch_id 0
		.amdhsa_user_sgpr_flat_scratch_init 0
		.amdhsa_user_sgpr_private_segment_size 0
		.amdhsa_wavefront_size32 1
		.amdhsa_uses_dynamic_stack 0
		.amdhsa_system_sgpr_private_segment_wavefront_offset 0
		.amdhsa_system_sgpr_workgroup_id_x 1
		.amdhsa_system_sgpr_workgroup_id_y 0
		.amdhsa_system_sgpr_workgroup_id_z 0
		.amdhsa_system_sgpr_workgroup_info 0
		.amdhsa_system_vgpr_workitem_id 0
		.amdhsa_next_free_vgpr 71
		.amdhsa_next_free_sgpr 26
		.amdhsa_reserve_vcc 1
		.amdhsa_reserve_flat_scratch 0
		.amdhsa_float_round_mode_32 0
		.amdhsa_float_round_mode_16_64 0
		.amdhsa_float_denorm_mode_32 3
		.amdhsa_float_denorm_mode_16_64 3
		.amdhsa_dx10_clamp 1
		.amdhsa_ieee_mode 1
		.amdhsa_fp16_overflow 0
		.amdhsa_workgroup_processor_mode 1
		.amdhsa_memory_ordered 1
		.amdhsa_forward_progress 1
		.amdhsa_shared_vgpr_count 0
		.amdhsa_exception_fp_ieee_invalid_op 0
		.amdhsa_exception_fp_denorm_src 0
		.amdhsa_exception_fp_ieee_div_zero 0
		.amdhsa_exception_fp_ieee_overflow 0
		.amdhsa_exception_fp_ieee_underflow 0
		.amdhsa_exception_fp_ieee_inexact 0
		.amdhsa_exception_int_div_zero 0
	.end_amdhsa_kernel
	.section	.text._ZN7rocprim17ROCPRIM_400000_NS6detail17trampoline_kernelINS0_13select_configILj256ELj13ELNS0_17block_load_methodE3ELS4_3ELS4_3ELNS0_20block_scan_algorithmE0ELj4294967295EEENS1_25partition_config_selectorILNS1_17partition_subalgoE3EjNS0_10empty_typeEbEEZZNS1_14partition_implILS8_3ELb0ES6_jNS0_17counting_iteratorIjlEEPS9_SE_NS0_5tupleIJPjSE_EEENSF_IJSE_SE_EEES9_SG_JZNS1_25segmented_radix_sort_implINS0_14default_configELb0EPKhPhPKlPlN2at6native12_GLOBAL__N_18offset_tEEE10hipError_tPvRmT1_PNSt15iterator_traitsISY_E10value_typeET2_T3_PNSZ_IS14_E10value_typeET4_jRbjT5_S1A_jjP12ihipStream_tbEUljE_EEESV_SW_SX_S14_S18_S1A_T6_T7_T9_mT8_S1C_bDpT10_ENKUlT_T0_E_clISt17integral_constantIbLb0EES1O_IbLb1EEEEDaS1K_S1L_EUlS1K_E_NS1_11comp_targetILNS1_3genE8ELNS1_11target_archE1030ELNS1_3gpuE2ELNS1_3repE0EEENS1_30default_config_static_selectorELNS0_4arch9wavefront6targetE0EEEvSY_,"axG",@progbits,_ZN7rocprim17ROCPRIM_400000_NS6detail17trampoline_kernelINS0_13select_configILj256ELj13ELNS0_17block_load_methodE3ELS4_3ELS4_3ELNS0_20block_scan_algorithmE0ELj4294967295EEENS1_25partition_config_selectorILNS1_17partition_subalgoE3EjNS0_10empty_typeEbEEZZNS1_14partition_implILS8_3ELb0ES6_jNS0_17counting_iteratorIjlEEPS9_SE_NS0_5tupleIJPjSE_EEENSF_IJSE_SE_EEES9_SG_JZNS1_25segmented_radix_sort_implINS0_14default_configELb0EPKhPhPKlPlN2at6native12_GLOBAL__N_18offset_tEEE10hipError_tPvRmT1_PNSt15iterator_traitsISY_E10value_typeET2_T3_PNSZ_IS14_E10value_typeET4_jRbjT5_S1A_jjP12ihipStream_tbEUljE_EEESV_SW_SX_S14_S18_S1A_T6_T7_T9_mT8_S1C_bDpT10_ENKUlT_T0_E_clISt17integral_constantIbLb0EES1O_IbLb1EEEEDaS1K_S1L_EUlS1K_E_NS1_11comp_targetILNS1_3genE8ELNS1_11target_archE1030ELNS1_3gpuE2ELNS1_3repE0EEENS1_30default_config_static_selectorELNS0_4arch9wavefront6targetE0EEEvSY_,comdat
.Lfunc_end184:
	.size	_ZN7rocprim17ROCPRIM_400000_NS6detail17trampoline_kernelINS0_13select_configILj256ELj13ELNS0_17block_load_methodE3ELS4_3ELS4_3ELNS0_20block_scan_algorithmE0ELj4294967295EEENS1_25partition_config_selectorILNS1_17partition_subalgoE3EjNS0_10empty_typeEbEEZZNS1_14partition_implILS8_3ELb0ES6_jNS0_17counting_iteratorIjlEEPS9_SE_NS0_5tupleIJPjSE_EEENSF_IJSE_SE_EEES9_SG_JZNS1_25segmented_radix_sort_implINS0_14default_configELb0EPKhPhPKlPlN2at6native12_GLOBAL__N_18offset_tEEE10hipError_tPvRmT1_PNSt15iterator_traitsISY_E10value_typeET2_T3_PNSZ_IS14_E10value_typeET4_jRbjT5_S1A_jjP12ihipStream_tbEUljE_EEESV_SW_SX_S14_S18_S1A_T6_T7_T9_mT8_S1C_bDpT10_ENKUlT_T0_E_clISt17integral_constantIbLb0EES1O_IbLb1EEEEDaS1K_S1L_EUlS1K_E_NS1_11comp_targetILNS1_3genE8ELNS1_11target_archE1030ELNS1_3gpuE2ELNS1_3repE0EEENS1_30default_config_static_selectorELNS0_4arch9wavefront6targetE0EEEvSY_, .Lfunc_end184-_ZN7rocprim17ROCPRIM_400000_NS6detail17trampoline_kernelINS0_13select_configILj256ELj13ELNS0_17block_load_methodE3ELS4_3ELS4_3ELNS0_20block_scan_algorithmE0ELj4294967295EEENS1_25partition_config_selectorILNS1_17partition_subalgoE3EjNS0_10empty_typeEbEEZZNS1_14partition_implILS8_3ELb0ES6_jNS0_17counting_iteratorIjlEEPS9_SE_NS0_5tupleIJPjSE_EEENSF_IJSE_SE_EEES9_SG_JZNS1_25segmented_radix_sort_implINS0_14default_configELb0EPKhPhPKlPlN2at6native12_GLOBAL__N_18offset_tEEE10hipError_tPvRmT1_PNSt15iterator_traitsISY_E10value_typeET2_T3_PNSZ_IS14_E10value_typeET4_jRbjT5_S1A_jjP12ihipStream_tbEUljE_EEESV_SW_SX_S14_S18_S1A_T6_T7_T9_mT8_S1C_bDpT10_ENKUlT_T0_E_clISt17integral_constantIbLb0EES1O_IbLb1EEEEDaS1K_S1L_EUlS1K_E_NS1_11comp_targetILNS1_3genE8ELNS1_11target_archE1030ELNS1_3gpuE2ELNS1_3repE0EEENS1_30default_config_static_selectorELNS0_4arch9wavefront6targetE0EEEvSY_
                                        ; -- End function
	.set _ZN7rocprim17ROCPRIM_400000_NS6detail17trampoline_kernelINS0_13select_configILj256ELj13ELNS0_17block_load_methodE3ELS4_3ELS4_3ELNS0_20block_scan_algorithmE0ELj4294967295EEENS1_25partition_config_selectorILNS1_17partition_subalgoE3EjNS0_10empty_typeEbEEZZNS1_14partition_implILS8_3ELb0ES6_jNS0_17counting_iteratorIjlEEPS9_SE_NS0_5tupleIJPjSE_EEENSF_IJSE_SE_EEES9_SG_JZNS1_25segmented_radix_sort_implINS0_14default_configELb0EPKhPhPKlPlN2at6native12_GLOBAL__N_18offset_tEEE10hipError_tPvRmT1_PNSt15iterator_traitsISY_E10value_typeET2_T3_PNSZ_IS14_E10value_typeET4_jRbjT5_S1A_jjP12ihipStream_tbEUljE_EEESV_SW_SX_S14_S18_S1A_T6_T7_T9_mT8_S1C_bDpT10_ENKUlT_T0_E_clISt17integral_constantIbLb0EES1O_IbLb1EEEEDaS1K_S1L_EUlS1K_E_NS1_11comp_targetILNS1_3genE8ELNS1_11target_archE1030ELNS1_3gpuE2ELNS1_3repE0EEENS1_30default_config_static_selectorELNS0_4arch9wavefront6targetE0EEEvSY_.num_vgpr, 71
	.set _ZN7rocprim17ROCPRIM_400000_NS6detail17trampoline_kernelINS0_13select_configILj256ELj13ELNS0_17block_load_methodE3ELS4_3ELS4_3ELNS0_20block_scan_algorithmE0ELj4294967295EEENS1_25partition_config_selectorILNS1_17partition_subalgoE3EjNS0_10empty_typeEbEEZZNS1_14partition_implILS8_3ELb0ES6_jNS0_17counting_iteratorIjlEEPS9_SE_NS0_5tupleIJPjSE_EEENSF_IJSE_SE_EEES9_SG_JZNS1_25segmented_radix_sort_implINS0_14default_configELb0EPKhPhPKlPlN2at6native12_GLOBAL__N_18offset_tEEE10hipError_tPvRmT1_PNSt15iterator_traitsISY_E10value_typeET2_T3_PNSZ_IS14_E10value_typeET4_jRbjT5_S1A_jjP12ihipStream_tbEUljE_EEESV_SW_SX_S14_S18_S1A_T6_T7_T9_mT8_S1C_bDpT10_ENKUlT_T0_E_clISt17integral_constantIbLb0EES1O_IbLb1EEEEDaS1K_S1L_EUlS1K_E_NS1_11comp_targetILNS1_3genE8ELNS1_11target_archE1030ELNS1_3gpuE2ELNS1_3repE0EEENS1_30default_config_static_selectorELNS0_4arch9wavefront6targetE0EEEvSY_.num_agpr, 0
	.set _ZN7rocprim17ROCPRIM_400000_NS6detail17trampoline_kernelINS0_13select_configILj256ELj13ELNS0_17block_load_methodE3ELS4_3ELS4_3ELNS0_20block_scan_algorithmE0ELj4294967295EEENS1_25partition_config_selectorILNS1_17partition_subalgoE3EjNS0_10empty_typeEbEEZZNS1_14partition_implILS8_3ELb0ES6_jNS0_17counting_iteratorIjlEEPS9_SE_NS0_5tupleIJPjSE_EEENSF_IJSE_SE_EEES9_SG_JZNS1_25segmented_radix_sort_implINS0_14default_configELb0EPKhPhPKlPlN2at6native12_GLOBAL__N_18offset_tEEE10hipError_tPvRmT1_PNSt15iterator_traitsISY_E10value_typeET2_T3_PNSZ_IS14_E10value_typeET4_jRbjT5_S1A_jjP12ihipStream_tbEUljE_EEESV_SW_SX_S14_S18_S1A_T6_T7_T9_mT8_S1C_bDpT10_ENKUlT_T0_E_clISt17integral_constantIbLb0EES1O_IbLb1EEEEDaS1K_S1L_EUlS1K_E_NS1_11comp_targetILNS1_3genE8ELNS1_11target_archE1030ELNS1_3gpuE2ELNS1_3repE0EEENS1_30default_config_static_selectorELNS0_4arch9wavefront6targetE0EEEvSY_.numbered_sgpr, 26
	.set _ZN7rocprim17ROCPRIM_400000_NS6detail17trampoline_kernelINS0_13select_configILj256ELj13ELNS0_17block_load_methodE3ELS4_3ELS4_3ELNS0_20block_scan_algorithmE0ELj4294967295EEENS1_25partition_config_selectorILNS1_17partition_subalgoE3EjNS0_10empty_typeEbEEZZNS1_14partition_implILS8_3ELb0ES6_jNS0_17counting_iteratorIjlEEPS9_SE_NS0_5tupleIJPjSE_EEENSF_IJSE_SE_EEES9_SG_JZNS1_25segmented_radix_sort_implINS0_14default_configELb0EPKhPhPKlPlN2at6native12_GLOBAL__N_18offset_tEEE10hipError_tPvRmT1_PNSt15iterator_traitsISY_E10value_typeET2_T3_PNSZ_IS14_E10value_typeET4_jRbjT5_S1A_jjP12ihipStream_tbEUljE_EEESV_SW_SX_S14_S18_S1A_T6_T7_T9_mT8_S1C_bDpT10_ENKUlT_T0_E_clISt17integral_constantIbLb0EES1O_IbLb1EEEEDaS1K_S1L_EUlS1K_E_NS1_11comp_targetILNS1_3genE8ELNS1_11target_archE1030ELNS1_3gpuE2ELNS1_3repE0EEENS1_30default_config_static_selectorELNS0_4arch9wavefront6targetE0EEEvSY_.num_named_barrier, 0
	.set _ZN7rocprim17ROCPRIM_400000_NS6detail17trampoline_kernelINS0_13select_configILj256ELj13ELNS0_17block_load_methodE3ELS4_3ELS4_3ELNS0_20block_scan_algorithmE0ELj4294967295EEENS1_25partition_config_selectorILNS1_17partition_subalgoE3EjNS0_10empty_typeEbEEZZNS1_14partition_implILS8_3ELb0ES6_jNS0_17counting_iteratorIjlEEPS9_SE_NS0_5tupleIJPjSE_EEENSF_IJSE_SE_EEES9_SG_JZNS1_25segmented_radix_sort_implINS0_14default_configELb0EPKhPhPKlPlN2at6native12_GLOBAL__N_18offset_tEEE10hipError_tPvRmT1_PNSt15iterator_traitsISY_E10value_typeET2_T3_PNSZ_IS14_E10value_typeET4_jRbjT5_S1A_jjP12ihipStream_tbEUljE_EEESV_SW_SX_S14_S18_S1A_T6_T7_T9_mT8_S1C_bDpT10_ENKUlT_T0_E_clISt17integral_constantIbLb0EES1O_IbLb1EEEEDaS1K_S1L_EUlS1K_E_NS1_11comp_targetILNS1_3genE8ELNS1_11target_archE1030ELNS1_3gpuE2ELNS1_3repE0EEENS1_30default_config_static_selectorELNS0_4arch9wavefront6targetE0EEEvSY_.private_seg_size, 0
	.set _ZN7rocprim17ROCPRIM_400000_NS6detail17trampoline_kernelINS0_13select_configILj256ELj13ELNS0_17block_load_methodE3ELS4_3ELS4_3ELNS0_20block_scan_algorithmE0ELj4294967295EEENS1_25partition_config_selectorILNS1_17partition_subalgoE3EjNS0_10empty_typeEbEEZZNS1_14partition_implILS8_3ELb0ES6_jNS0_17counting_iteratorIjlEEPS9_SE_NS0_5tupleIJPjSE_EEENSF_IJSE_SE_EEES9_SG_JZNS1_25segmented_radix_sort_implINS0_14default_configELb0EPKhPhPKlPlN2at6native12_GLOBAL__N_18offset_tEEE10hipError_tPvRmT1_PNSt15iterator_traitsISY_E10value_typeET2_T3_PNSZ_IS14_E10value_typeET4_jRbjT5_S1A_jjP12ihipStream_tbEUljE_EEESV_SW_SX_S14_S18_S1A_T6_T7_T9_mT8_S1C_bDpT10_ENKUlT_T0_E_clISt17integral_constantIbLb0EES1O_IbLb1EEEEDaS1K_S1L_EUlS1K_E_NS1_11comp_targetILNS1_3genE8ELNS1_11target_archE1030ELNS1_3gpuE2ELNS1_3repE0EEENS1_30default_config_static_selectorELNS0_4arch9wavefront6targetE0EEEvSY_.uses_vcc, 1
	.set _ZN7rocprim17ROCPRIM_400000_NS6detail17trampoline_kernelINS0_13select_configILj256ELj13ELNS0_17block_load_methodE3ELS4_3ELS4_3ELNS0_20block_scan_algorithmE0ELj4294967295EEENS1_25partition_config_selectorILNS1_17partition_subalgoE3EjNS0_10empty_typeEbEEZZNS1_14partition_implILS8_3ELb0ES6_jNS0_17counting_iteratorIjlEEPS9_SE_NS0_5tupleIJPjSE_EEENSF_IJSE_SE_EEES9_SG_JZNS1_25segmented_radix_sort_implINS0_14default_configELb0EPKhPhPKlPlN2at6native12_GLOBAL__N_18offset_tEEE10hipError_tPvRmT1_PNSt15iterator_traitsISY_E10value_typeET2_T3_PNSZ_IS14_E10value_typeET4_jRbjT5_S1A_jjP12ihipStream_tbEUljE_EEESV_SW_SX_S14_S18_S1A_T6_T7_T9_mT8_S1C_bDpT10_ENKUlT_T0_E_clISt17integral_constantIbLb0EES1O_IbLb1EEEEDaS1K_S1L_EUlS1K_E_NS1_11comp_targetILNS1_3genE8ELNS1_11target_archE1030ELNS1_3gpuE2ELNS1_3repE0EEENS1_30default_config_static_selectorELNS0_4arch9wavefront6targetE0EEEvSY_.uses_flat_scratch, 0
	.set _ZN7rocprim17ROCPRIM_400000_NS6detail17trampoline_kernelINS0_13select_configILj256ELj13ELNS0_17block_load_methodE3ELS4_3ELS4_3ELNS0_20block_scan_algorithmE0ELj4294967295EEENS1_25partition_config_selectorILNS1_17partition_subalgoE3EjNS0_10empty_typeEbEEZZNS1_14partition_implILS8_3ELb0ES6_jNS0_17counting_iteratorIjlEEPS9_SE_NS0_5tupleIJPjSE_EEENSF_IJSE_SE_EEES9_SG_JZNS1_25segmented_radix_sort_implINS0_14default_configELb0EPKhPhPKlPlN2at6native12_GLOBAL__N_18offset_tEEE10hipError_tPvRmT1_PNSt15iterator_traitsISY_E10value_typeET2_T3_PNSZ_IS14_E10value_typeET4_jRbjT5_S1A_jjP12ihipStream_tbEUljE_EEESV_SW_SX_S14_S18_S1A_T6_T7_T9_mT8_S1C_bDpT10_ENKUlT_T0_E_clISt17integral_constantIbLb0EES1O_IbLb1EEEEDaS1K_S1L_EUlS1K_E_NS1_11comp_targetILNS1_3genE8ELNS1_11target_archE1030ELNS1_3gpuE2ELNS1_3repE0EEENS1_30default_config_static_selectorELNS0_4arch9wavefront6targetE0EEEvSY_.has_dyn_sized_stack, 0
	.set _ZN7rocprim17ROCPRIM_400000_NS6detail17trampoline_kernelINS0_13select_configILj256ELj13ELNS0_17block_load_methodE3ELS4_3ELS4_3ELNS0_20block_scan_algorithmE0ELj4294967295EEENS1_25partition_config_selectorILNS1_17partition_subalgoE3EjNS0_10empty_typeEbEEZZNS1_14partition_implILS8_3ELb0ES6_jNS0_17counting_iteratorIjlEEPS9_SE_NS0_5tupleIJPjSE_EEENSF_IJSE_SE_EEES9_SG_JZNS1_25segmented_radix_sort_implINS0_14default_configELb0EPKhPhPKlPlN2at6native12_GLOBAL__N_18offset_tEEE10hipError_tPvRmT1_PNSt15iterator_traitsISY_E10value_typeET2_T3_PNSZ_IS14_E10value_typeET4_jRbjT5_S1A_jjP12ihipStream_tbEUljE_EEESV_SW_SX_S14_S18_S1A_T6_T7_T9_mT8_S1C_bDpT10_ENKUlT_T0_E_clISt17integral_constantIbLb0EES1O_IbLb1EEEEDaS1K_S1L_EUlS1K_E_NS1_11comp_targetILNS1_3genE8ELNS1_11target_archE1030ELNS1_3gpuE2ELNS1_3repE0EEENS1_30default_config_static_selectorELNS0_4arch9wavefront6targetE0EEEvSY_.has_recursion, 0
	.set _ZN7rocprim17ROCPRIM_400000_NS6detail17trampoline_kernelINS0_13select_configILj256ELj13ELNS0_17block_load_methodE3ELS4_3ELS4_3ELNS0_20block_scan_algorithmE0ELj4294967295EEENS1_25partition_config_selectorILNS1_17partition_subalgoE3EjNS0_10empty_typeEbEEZZNS1_14partition_implILS8_3ELb0ES6_jNS0_17counting_iteratorIjlEEPS9_SE_NS0_5tupleIJPjSE_EEENSF_IJSE_SE_EEES9_SG_JZNS1_25segmented_radix_sort_implINS0_14default_configELb0EPKhPhPKlPlN2at6native12_GLOBAL__N_18offset_tEEE10hipError_tPvRmT1_PNSt15iterator_traitsISY_E10value_typeET2_T3_PNSZ_IS14_E10value_typeET4_jRbjT5_S1A_jjP12ihipStream_tbEUljE_EEESV_SW_SX_S14_S18_S1A_T6_T7_T9_mT8_S1C_bDpT10_ENKUlT_T0_E_clISt17integral_constantIbLb0EES1O_IbLb1EEEEDaS1K_S1L_EUlS1K_E_NS1_11comp_targetILNS1_3genE8ELNS1_11target_archE1030ELNS1_3gpuE2ELNS1_3repE0EEENS1_30default_config_static_selectorELNS0_4arch9wavefront6targetE0EEEvSY_.has_indirect_call, 0
	.section	.AMDGPU.csdata,"",@progbits
; Kernel info:
; codeLenInByte = 8704
; TotalNumSgprs: 28
; NumVgprs: 71
; ScratchSize: 0
; MemoryBound: 0
; FloatMode: 240
; IeeeMode: 1
; LDSByteSize: 13320 bytes/workgroup (compile time only)
; SGPRBlocks: 0
; VGPRBlocks: 8
; NumSGPRsForWavesPerEU: 28
; NumVGPRsForWavesPerEU: 71
; Occupancy: 12
; WaveLimiterHint : 0
; COMPUTE_PGM_RSRC2:SCRATCH_EN: 0
; COMPUTE_PGM_RSRC2:USER_SGPR: 6
; COMPUTE_PGM_RSRC2:TRAP_HANDLER: 0
; COMPUTE_PGM_RSRC2:TGID_X_EN: 1
; COMPUTE_PGM_RSRC2:TGID_Y_EN: 0
; COMPUTE_PGM_RSRC2:TGID_Z_EN: 0
; COMPUTE_PGM_RSRC2:TIDIG_COMP_CNT: 0
	.section	.text._ZN7rocprim17ROCPRIM_400000_NS6detail17trampoline_kernelINS0_14default_configENS1_36segmented_radix_sort_config_selectorIhlEEZNS1_25segmented_radix_sort_implIS3_Lb0EPKhPhPKlPlN2at6native12_GLOBAL__N_18offset_tEEE10hipError_tPvRmT1_PNSt15iterator_traitsISK_E10value_typeET2_T3_PNSL_ISQ_E10value_typeET4_jRbjT5_SW_jjP12ihipStream_tbEUlT_E_NS1_11comp_targetILNS1_3genE0ELNS1_11target_archE4294967295ELNS1_3gpuE0ELNS1_3repE0EEENS1_30default_config_static_selectorELNS0_4arch9wavefront6targetE0EEEvSK_,"axG",@progbits,_ZN7rocprim17ROCPRIM_400000_NS6detail17trampoline_kernelINS0_14default_configENS1_36segmented_radix_sort_config_selectorIhlEEZNS1_25segmented_radix_sort_implIS3_Lb0EPKhPhPKlPlN2at6native12_GLOBAL__N_18offset_tEEE10hipError_tPvRmT1_PNSt15iterator_traitsISK_E10value_typeET2_T3_PNSL_ISQ_E10value_typeET4_jRbjT5_SW_jjP12ihipStream_tbEUlT_E_NS1_11comp_targetILNS1_3genE0ELNS1_11target_archE4294967295ELNS1_3gpuE0ELNS1_3repE0EEENS1_30default_config_static_selectorELNS0_4arch9wavefront6targetE0EEEvSK_,comdat
	.globl	_ZN7rocprim17ROCPRIM_400000_NS6detail17trampoline_kernelINS0_14default_configENS1_36segmented_radix_sort_config_selectorIhlEEZNS1_25segmented_radix_sort_implIS3_Lb0EPKhPhPKlPlN2at6native12_GLOBAL__N_18offset_tEEE10hipError_tPvRmT1_PNSt15iterator_traitsISK_E10value_typeET2_T3_PNSL_ISQ_E10value_typeET4_jRbjT5_SW_jjP12ihipStream_tbEUlT_E_NS1_11comp_targetILNS1_3genE0ELNS1_11target_archE4294967295ELNS1_3gpuE0ELNS1_3repE0EEENS1_30default_config_static_selectorELNS0_4arch9wavefront6targetE0EEEvSK_ ; -- Begin function _ZN7rocprim17ROCPRIM_400000_NS6detail17trampoline_kernelINS0_14default_configENS1_36segmented_radix_sort_config_selectorIhlEEZNS1_25segmented_radix_sort_implIS3_Lb0EPKhPhPKlPlN2at6native12_GLOBAL__N_18offset_tEEE10hipError_tPvRmT1_PNSt15iterator_traitsISK_E10value_typeET2_T3_PNSL_ISQ_E10value_typeET4_jRbjT5_SW_jjP12ihipStream_tbEUlT_E_NS1_11comp_targetILNS1_3genE0ELNS1_11target_archE4294967295ELNS1_3gpuE0ELNS1_3repE0EEENS1_30default_config_static_selectorELNS0_4arch9wavefront6targetE0EEEvSK_
	.p2align	8
	.type	_ZN7rocprim17ROCPRIM_400000_NS6detail17trampoline_kernelINS0_14default_configENS1_36segmented_radix_sort_config_selectorIhlEEZNS1_25segmented_radix_sort_implIS3_Lb0EPKhPhPKlPlN2at6native12_GLOBAL__N_18offset_tEEE10hipError_tPvRmT1_PNSt15iterator_traitsISK_E10value_typeET2_T3_PNSL_ISQ_E10value_typeET4_jRbjT5_SW_jjP12ihipStream_tbEUlT_E_NS1_11comp_targetILNS1_3genE0ELNS1_11target_archE4294967295ELNS1_3gpuE0ELNS1_3repE0EEENS1_30default_config_static_selectorELNS0_4arch9wavefront6targetE0EEEvSK_,@function
_ZN7rocprim17ROCPRIM_400000_NS6detail17trampoline_kernelINS0_14default_configENS1_36segmented_radix_sort_config_selectorIhlEEZNS1_25segmented_radix_sort_implIS3_Lb0EPKhPhPKlPlN2at6native12_GLOBAL__N_18offset_tEEE10hipError_tPvRmT1_PNSt15iterator_traitsISK_E10value_typeET2_T3_PNSL_ISQ_E10value_typeET4_jRbjT5_SW_jjP12ihipStream_tbEUlT_E_NS1_11comp_targetILNS1_3genE0ELNS1_11target_archE4294967295ELNS1_3gpuE0ELNS1_3repE0EEENS1_30default_config_static_selectorELNS0_4arch9wavefront6targetE0EEEvSK_: ; @_ZN7rocprim17ROCPRIM_400000_NS6detail17trampoline_kernelINS0_14default_configENS1_36segmented_radix_sort_config_selectorIhlEEZNS1_25segmented_radix_sort_implIS3_Lb0EPKhPhPKlPlN2at6native12_GLOBAL__N_18offset_tEEE10hipError_tPvRmT1_PNSt15iterator_traitsISK_E10value_typeET2_T3_PNSL_ISQ_E10value_typeET4_jRbjT5_SW_jjP12ihipStream_tbEUlT_E_NS1_11comp_targetILNS1_3genE0ELNS1_11target_archE4294967295ELNS1_3gpuE0ELNS1_3repE0EEENS1_30default_config_static_selectorELNS0_4arch9wavefront6targetE0EEEvSK_
; %bb.0:
	.section	.rodata,"a",@progbits
	.p2align	6, 0x0
	.amdhsa_kernel _ZN7rocprim17ROCPRIM_400000_NS6detail17trampoline_kernelINS0_14default_configENS1_36segmented_radix_sort_config_selectorIhlEEZNS1_25segmented_radix_sort_implIS3_Lb0EPKhPhPKlPlN2at6native12_GLOBAL__N_18offset_tEEE10hipError_tPvRmT1_PNSt15iterator_traitsISK_E10value_typeET2_T3_PNSL_ISQ_E10value_typeET4_jRbjT5_SW_jjP12ihipStream_tbEUlT_E_NS1_11comp_targetILNS1_3genE0ELNS1_11target_archE4294967295ELNS1_3gpuE0ELNS1_3repE0EEENS1_30default_config_static_selectorELNS0_4arch9wavefront6targetE0EEEvSK_
		.amdhsa_group_segment_fixed_size 0
		.amdhsa_private_segment_fixed_size 0
		.amdhsa_kernarg_size 96
		.amdhsa_user_sgpr_count 6
		.amdhsa_user_sgpr_private_segment_buffer 1
		.amdhsa_user_sgpr_dispatch_ptr 0
		.amdhsa_user_sgpr_queue_ptr 0
		.amdhsa_user_sgpr_kernarg_segment_ptr 1
		.amdhsa_user_sgpr_dispatch_id 0
		.amdhsa_user_sgpr_flat_scratch_init 0
		.amdhsa_user_sgpr_private_segment_size 0
		.amdhsa_wavefront_size32 1
		.amdhsa_uses_dynamic_stack 0
		.amdhsa_system_sgpr_private_segment_wavefront_offset 0
		.amdhsa_system_sgpr_workgroup_id_x 1
		.amdhsa_system_sgpr_workgroup_id_y 0
		.amdhsa_system_sgpr_workgroup_id_z 0
		.amdhsa_system_sgpr_workgroup_info 0
		.amdhsa_system_vgpr_workitem_id 0
		.amdhsa_next_free_vgpr 1
		.amdhsa_next_free_sgpr 1
		.amdhsa_reserve_vcc 0
		.amdhsa_reserve_flat_scratch 0
		.amdhsa_float_round_mode_32 0
		.amdhsa_float_round_mode_16_64 0
		.amdhsa_float_denorm_mode_32 3
		.amdhsa_float_denorm_mode_16_64 3
		.amdhsa_dx10_clamp 1
		.amdhsa_ieee_mode 1
		.amdhsa_fp16_overflow 0
		.amdhsa_workgroup_processor_mode 1
		.amdhsa_memory_ordered 1
		.amdhsa_forward_progress 1
		.amdhsa_shared_vgpr_count 0
		.amdhsa_exception_fp_ieee_invalid_op 0
		.amdhsa_exception_fp_denorm_src 0
		.amdhsa_exception_fp_ieee_div_zero 0
		.amdhsa_exception_fp_ieee_overflow 0
		.amdhsa_exception_fp_ieee_underflow 0
		.amdhsa_exception_fp_ieee_inexact 0
		.amdhsa_exception_int_div_zero 0
	.end_amdhsa_kernel
	.section	.text._ZN7rocprim17ROCPRIM_400000_NS6detail17trampoline_kernelINS0_14default_configENS1_36segmented_radix_sort_config_selectorIhlEEZNS1_25segmented_radix_sort_implIS3_Lb0EPKhPhPKlPlN2at6native12_GLOBAL__N_18offset_tEEE10hipError_tPvRmT1_PNSt15iterator_traitsISK_E10value_typeET2_T3_PNSL_ISQ_E10value_typeET4_jRbjT5_SW_jjP12ihipStream_tbEUlT_E_NS1_11comp_targetILNS1_3genE0ELNS1_11target_archE4294967295ELNS1_3gpuE0ELNS1_3repE0EEENS1_30default_config_static_selectorELNS0_4arch9wavefront6targetE0EEEvSK_,"axG",@progbits,_ZN7rocprim17ROCPRIM_400000_NS6detail17trampoline_kernelINS0_14default_configENS1_36segmented_radix_sort_config_selectorIhlEEZNS1_25segmented_radix_sort_implIS3_Lb0EPKhPhPKlPlN2at6native12_GLOBAL__N_18offset_tEEE10hipError_tPvRmT1_PNSt15iterator_traitsISK_E10value_typeET2_T3_PNSL_ISQ_E10value_typeET4_jRbjT5_SW_jjP12ihipStream_tbEUlT_E_NS1_11comp_targetILNS1_3genE0ELNS1_11target_archE4294967295ELNS1_3gpuE0ELNS1_3repE0EEENS1_30default_config_static_selectorELNS0_4arch9wavefront6targetE0EEEvSK_,comdat
.Lfunc_end185:
	.size	_ZN7rocprim17ROCPRIM_400000_NS6detail17trampoline_kernelINS0_14default_configENS1_36segmented_radix_sort_config_selectorIhlEEZNS1_25segmented_radix_sort_implIS3_Lb0EPKhPhPKlPlN2at6native12_GLOBAL__N_18offset_tEEE10hipError_tPvRmT1_PNSt15iterator_traitsISK_E10value_typeET2_T3_PNSL_ISQ_E10value_typeET4_jRbjT5_SW_jjP12ihipStream_tbEUlT_E_NS1_11comp_targetILNS1_3genE0ELNS1_11target_archE4294967295ELNS1_3gpuE0ELNS1_3repE0EEENS1_30default_config_static_selectorELNS0_4arch9wavefront6targetE0EEEvSK_, .Lfunc_end185-_ZN7rocprim17ROCPRIM_400000_NS6detail17trampoline_kernelINS0_14default_configENS1_36segmented_radix_sort_config_selectorIhlEEZNS1_25segmented_radix_sort_implIS3_Lb0EPKhPhPKlPlN2at6native12_GLOBAL__N_18offset_tEEE10hipError_tPvRmT1_PNSt15iterator_traitsISK_E10value_typeET2_T3_PNSL_ISQ_E10value_typeET4_jRbjT5_SW_jjP12ihipStream_tbEUlT_E_NS1_11comp_targetILNS1_3genE0ELNS1_11target_archE4294967295ELNS1_3gpuE0ELNS1_3repE0EEENS1_30default_config_static_selectorELNS0_4arch9wavefront6targetE0EEEvSK_
                                        ; -- End function
	.set _ZN7rocprim17ROCPRIM_400000_NS6detail17trampoline_kernelINS0_14default_configENS1_36segmented_radix_sort_config_selectorIhlEEZNS1_25segmented_radix_sort_implIS3_Lb0EPKhPhPKlPlN2at6native12_GLOBAL__N_18offset_tEEE10hipError_tPvRmT1_PNSt15iterator_traitsISK_E10value_typeET2_T3_PNSL_ISQ_E10value_typeET4_jRbjT5_SW_jjP12ihipStream_tbEUlT_E_NS1_11comp_targetILNS1_3genE0ELNS1_11target_archE4294967295ELNS1_3gpuE0ELNS1_3repE0EEENS1_30default_config_static_selectorELNS0_4arch9wavefront6targetE0EEEvSK_.num_vgpr, 0
	.set _ZN7rocprim17ROCPRIM_400000_NS6detail17trampoline_kernelINS0_14default_configENS1_36segmented_radix_sort_config_selectorIhlEEZNS1_25segmented_radix_sort_implIS3_Lb0EPKhPhPKlPlN2at6native12_GLOBAL__N_18offset_tEEE10hipError_tPvRmT1_PNSt15iterator_traitsISK_E10value_typeET2_T3_PNSL_ISQ_E10value_typeET4_jRbjT5_SW_jjP12ihipStream_tbEUlT_E_NS1_11comp_targetILNS1_3genE0ELNS1_11target_archE4294967295ELNS1_3gpuE0ELNS1_3repE0EEENS1_30default_config_static_selectorELNS0_4arch9wavefront6targetE0EEEvSK_.num_agpr, 0
	.set _ZN7rocprim17ROCPRIM_400000_NS6detail17trampoline_kernelINS0_14default_configENS1_36segmented_radix_sort_config_selectorIhlEEZNS1_25segmented_radix_sort_implIS3_Lb0EPKhPhPKlPlN2at6native12_GLOBAL__N_18offset_tEEE10hipError_tPvRmT1_PNSt15iterator_traitsISK_E10value_typeET2_T3_PNSL_ISQ_E10value_typeET4_jRbjT5_SW_jjP12ihipStream_tbEUlT_E_NS1_11comp_targetILNS1_3genE0ELNS1_11target_archE4294967295ELNS1_3gpuE0ELNS1_3repE0EEENS1_30default_config_static_selectorELNS0_4arch9wavefront6targetE0EEEvSK_.numbered_sgpr, 0
	.set _ZN7rocprim17ROCPRIM_400000_NS6detail17trampoline_kernelINS0_14default_configENS1_36segmented_radix_sort_config_selectorIhlEEZNS1_25segmented_radix_sort_implIS3_Lb0EPKhPhPKlPlN2at6native12_GLOBAL__N_18offset_tEEE10hipError_tPvRmT1_PNSt15iterator_traitsISK_E10value_typeET2_T3_PNSL_ISQ_E10value_typeET4_jRbjT5_SW_jjP12ihipStream_tbEUlT_E_NS1_11comp_targetILNS1_3genE0ELNS1_11target_archE4294967295ELNS1_3gpuE0ELNS1_3repE0EEENS1_30default_config_static_selectorELNS0_4arch9wavefront6targetE0EEEvSK_.num_named_barrier, 0
	.set _ZN7rocprim17ROCPRIM_400000_NS6detail17trampoline_kernelINS0_14default_configENS1_36segmented_radix_sort_config_selectorIhlEEZNS1_25segmented_radix_sort_implIS3_Lb0EPKhPhPKlPlN2at6native12_GLOBAL__N_18offset_tEEE10hipError_tPvRmT1_PNSt15iterator_traitsISK_E10value_typeET2_T3_PNSL_ISQ_E10value_typeET4_jRbjT5_SW_jjP12ihipStream_tbEUlT_E_NS1_11comp_targetILNS1_3genE0ELNS1_11target_archE4294967295ELNS1_3gpuE0ELNS1_3repE0EEENS1_30default_config_static_selectorELNS0_4arch9wavefront6targetE0EEEvSK_.private_seg_size, 0
	.set _ZN7rocprim17ROCPRIM_400000_NS6detail17trampoline_kernelINS0_14default_configENS1_36segmented_radix_sort_config_selectorIhlEEZNS1_25segmented_radix_sort_implIS3_Lb0EPKhPhPKlPlN2at6native12_GLOBAL__N_18offset_tEEE10hipError_tPvRmT1_PNSt15iterator_traitsISK_E10value_typeET2_T3_PNSL_ISQ_E10value_typeET4_jRbjT5_SW_jjP12ihipStream_tbEUlT_E_NS1_11comp_targetILNS1_3genE0ELNS1_11target_archE4294967295ELNS1_3gpuE0ELNS1_3repE0EEENS1_30default_config_static_selectorELNS0_4arch9wavefront6targetE0EEEvSK_.uses_vcc, 0
	.set _ZN7rocprim17ROCPRIM_400000_NS6detail17trampoline_kernelINS0_14default_configENS1_36segmented_radix_sort_config_selectorIhlEEZNS1_25segmented_radix_sort_implIS3_Lb0EPKhPhPKlPlN2at6native12_GLOBAL__N_18offset_tEEE10hipError_tPvRmT1_PNSt15iterator_traitsISK_E10value_typeET2_T3_PNSL_ISQ_E10value_typeET4_jRbjT5_SW_jjP12ihipStream_tbEUlT_E_NS1_11comp_targetILNS1_3genE0ELNS1_11target_archE4294967295ELNS1_3gpuE0ELNS1_3repE0EEENS1_30default_config_static_selectorELNS0_4arch9wavefront6targetE0EEEvSK_.uses_flat_scratch, 0
	.set _ZN7rocprim17ROCPRIM_400000_NS6detail17trampoline_kernelINS0_14default_configENS1_36segmented_radix_sort_config_selectorIhlEEZNS1_25segmented_radix_sort_implIS3_Lb0EPKhPhPKlPlN2at6native12_GLOBAL__N_18offset_tEEE10hipError_tPvRmT1_PNSt15iterator_traitsISK_E10value_typeET2_T3_PNSL_ISQ_E10value_typeET4_jRbjT5_SW_jjP12ihipStream_tbEUlT_E_NS1_11comp_targetILNS1_3genE0ELNS1_11target_archE4294967295ELNS1_3gpuE0ELNS1_3repE0EEENS1_30default_config_static_selectorELNS0_4arch9wavefront6targetE0EEEvSK_.has_dyn_sized_stack, 0
	.set _ZN7rocprim17ROCPRIM_400000_NS6detail17trampoline_kernelINS0_14default_configENS1_36segmented_radix_sort_config_selectorIhlEEZNS1_25segmented_radix_sort_implIS3_Lb0EPKhPhPKlPlN2at6native12_GLOBAL__N_18offset_tEEE10hipError_tPvRmT1_PNSt15iterator_traitsISK_E10value_typeET2_T3_PNSL_ISQ_E10value_typeET4_jRbjT5_SW_jjP12ihipStream_tbEUlT_E_NS1_11comp_targetILNS1_3genE0ELNS1_11target_archE4294967295ELNS1_3gpuE0ELNS1_3repE0EEENS1_30default_config_static_selectorELNS0_4arch9wavefront6targetE0EEEvSK_.has_recursion, 0
	.set _ZN7rocprim17ROCPRIM_400000_NS6detail17trampoline_kernelINS0_14default_configENS1_36segmented_radix_sort_config_selectorIhlEEZNS1_25segmented_radix_sort_implIS3_Lb0EPKhPhPKlPlN2at6native12_GLOBAL__N_18offset_tEEE10hipError_tPvRmT1_PNSt15iterator_traitsISK_E10value_typeET2_T3_PNSL_ISQ_E10value_typeET4_jRbjT5_SW_jjP12ihipStream_tbEUlT_E_NS1_11comp_targetILNS1_3genE0ELNS1_11target_archE4294967295ELNS1_3gpuE0ELNS1_3repE0EEENS1_30default_config_static_selectorELNS0_4arch9wavefront6targetE0EEEvSK_.has_indirect_call, 0
	.section	.AMDGPU.csdata,"",@progbits
; Kernel info:
; codeLenInByte = 0
; TotalNumSgprs: 0
; NumVgprs: 0
; ScratchSize: 0
; MemoryBound: 0
; FloatMode: 240
; IeeeMode: 1
; LDSByteSize: 0 bytes/workgroup (compile time only)
; SGPRBlocks: 0
; VGPRBlocks: 0
; NumSGPRsForWavesPerEU: 1
; NumVGPRsForWavesPerEU: 1
; Occupancy: 16
; WaveLimiterHint : 0
; COMPUTE_PGM_RSRC2:SCRATCH_EN: 0
; COMPUTE_PGM_RSRC2:USER_SGPR: 6
; COMPUTE_PGM_RSRC2:TRAP_HANDLER: 0
; COMPUTE_PGM_RSRC2:TGID_X_EN: 1
; COMPUTE_PGM_RSRC2:TGID_Y_EN: 0
; COMPUTE_PGM_RSRC2:TGID_Z_EN: 0
; COMPUTE_PGM_RSRC2:TIDIG_COMP_CNT: 0
	.section	.text._ZN7rocprim17ROCPRIM_400000_NS6detail17trampoline_kernelINS0_14default_configENS1_36segmented_radix_sort_config_selectorIhlEEZNS1_25segmented_radix_sort_implIS3_Lb0EPKhPhPKlPlN2at6native12_GLOBAL__N_18offset_tEEE10hipError_tPvRmT1_PNSt15iterator_traitsISK_E10value_typeET2_T3_PNSL_ISQ_E10value_typeET4_jRbjT5_SW_jjP12ihipStream_tbEUlT_E_NS1_11comp_targetILNS1_3genE5ELNS1_11target_archE942ELNS1_3gpuE9ELNS1_3repE0EEENS1_30default_config_static_selectorELNS0_4arch9wavefront6targetE0EEEvSK_,"axG",@progbits,_ZN7rocprim17ROCPRIM_400000_NS6detail17trampoline_kernelINS0_14default_configENS1_36segmented_radix_sort_config_selectorIhlEEZNS1_25segmented_radix_sort_implIS3_Lb0EPKhPhPKlPlN2at6native12_GLOBAL__N_18offset_tEEE10hipError_tPvRmT1_PNSt15iterator_traitsISK_E10value_typeET2_T3_PNSL_ISQ_E10value_typeET4_jRbjT5_SW_jjP12ihipStream_tbEUlT_E_NS1_11comp_targetILNS1_3genE5ELNS1_11target_archE942ELNS1_3gpuE9ELNS1_3repE0EEENS1_30default_config_static_selectorELNS0_4arch9wavefront6targetE0EEEvSK_,comdat
	.globl	_ZN7rocprim17ROCPRIM_400000_NS6detail17trampoline_kernelINS0_14default_configENS1_36segmented_radix_sort_config_selectorIhlEEZNS1_25segmented_radix_sort_implIS3_Lb0EPKhPhPKlPlN2at6native12_GLOBAL__N_18offset_tEEE10hipError_tPvRmT1_PNSt15iterator_traitsISK_E10value_typeET2_T3_PNSL_ISQ_E10value_typeET4_jRbjT5_SW_jjP12ihipStream_tbEUlT_E_NS1_11comp_targetILNS1_3genE5ELNS1_11target_archE942ELNS1_3gpuE9ELNS1_3repE0EEENS1_30default_config_static_selectorELNS0_4arch9wavefront6targetE0EEEvSK_ ; -- Begin function _ZN7rocprim17ROCPRIM_400000_NS6detail17trampoline_kernelINS0_14default_configENS1_36segmented_radix_sort_config_selectorIhlEEZNS1_25segmented_radix_sort_implIS3_Lb0EPKhPhPKlPlN2at6native12_GLOBAL__N_18offset_tEEE10hipError_tPvRmT1_PNSt15iterator_traitsISK_E10value_typeET2_T3_PNSL_ISQ_E10value_typeET4_jRbjT5_SW_jjP12ihipStream_tbEUlT_E_NS1_11comp_targetILNS1_3genE5ELNS1_11target_archE942ELNS1_3gpuE9ELNS1_3repE0EEENS1_30default_config_static_selectorELNS0_4arch9wavefront6targetE0EEEvSK_
	.p2align	8
	.type	_ZN7rocprim17ROCPRIM_400000_NS6detail17trampoline_kernelINS0_14default_configENS1_36segmented_radix_sort_config_selectorIhlEEZNS1_25segmented_radix_sort_implIS3_Lb0EPKhPhPKlPlN2at6native12_GLOBAL__N_18offset_tEEE10hipError_tPvRmT1_PNSt15iterator_traitsISK_E10value_typeET2_T3_PNSL_ISQ_E10value_typeET4_jRbjT5_SW_jjP12ihipStream_tbEUlT_E_NS1_11comp_targetILNS1_3genE5ELNS1_11target_archE942ELNS1_3gpuE9ELNS1_3repE0EEENS1_30default_config_static_selectorELNS0_4arch9wavefront6targetE0EEEvSK_,@function
_ZN7rocprim17ROCPRIM_400000_NS6detail17trampoline_kernelINS0_14default_configENS1_36segmented_radix_sort_config_selectorIhlEEZNS1_25segmented_radix_sort_implIS3_Lb0EPKhPhPKlPlN2at6native12_GLOBAL__N_18offset_tEEE10hipError_tPvRmT1_PNSt15iterator_traitsISK_E10value_typeET2_T3_PNSL_ISQ_E10value_typeET4_jRbjT5_SW_jjP12ihipStream_tbEUlT_E_NS1_11comp_targetILNS1_3genE5ELNS1_11target_archE942ELNS1_3gpuE9ELNS1_3repE0EEENS1_30default_config_static_selectorELNS0_4arch9wavefront6targetE0EEEvSK_: ; @_ZN7rocprim17ROCPRIM_400000_NS6detail17trampoline_kernelINS0_14default_configENS1_36segmented_radix_sort_config_selectorIhlEEZNS1_25segmented_radix_sort_implIS3_Lb0EPKhPhPKlPlN2at6native12_GLOBAL__N_18offset_tEEE10hipError_tPvRmT1_PNSt15iterator_traitsISK_E10value_typeET2_T3_PNSL_ISQ_E10value_typeET4_jRbjT5_SW_jjP12ihipStream_tbEUlT_E_NS1_11comp_targetILNS1_3genE5ELNS1_11target_archE942ELNS1_3gpuE9ELNS1_3repE0EEENS1_30default_config_static_selectorELNS0_4arch9wavefront6targetE0EEEvSK_
; %bb.0:
	.section	.rodata,"a",@progbits
	.p2align	6, 0x0
	.amdhsa_kernel _ZN7rocprim17ROCPRIM_400000_NS6detail17trampoline_kernelINS0_14default_configENS1_36segmented_radix_sort_config_selectorIhlEEZNS1_25segmented_radix_sort_implIS3_Lb0EPKhPhPKlPlN2at6native12_GLOBAL__N_18offset_tEEE10hipError_tPvRmT1_PNSt15iterator_traitsISK_E10value_typeET2_T3_PNSL_ISQ_E10value_typeET4_jRbjT5_SW_jjP12ihipStream_tbEUlT_E_NS1_11comp_targetILNS1_3genE5ELNS1_11target_archE942ELNS1_3gpuE9ELNS1_3repE0EEENS1_30default_config_static_selectorELNS0_4arch9wavefront6targetE0EEEvSK_
		.amdhsa_group_segment_fixed_size 0
		.amdhsa_private_segment_fixed_size 0
		.amdhsa_kernarg_size 96
		.amdhsa_user_sgpr_count 6
		.amdhsa_user_sgpr_private_segment_buffer 1
		.amdhsa_user_sgpr_dispatch_ptr 0
		.amdhsa_user_sgpr_queue_ptr 0
		.amdhsa_user_sgpr_kernarg_segment_ptr 1
		.amdhsa_user_sgpr_dispatch_id 0
		.amdhsa_user_sgpr_flat_scratch_init 0
		.amdhsa_user_sgpr_private_segment_size 0
		.amdhsa_wavefront_size32 1
		.amdhsa_uses_dynamic_stack 0
		.amdhsa_system_sgpr_private_segment_wavefront_offset 0
		.amdhsa_system_sgpr_workgroup_id_x 1
		.amdhsa_system_sgpr_workgroup_id_y 0
		.amdhsa_system_sgpr_workgroup_id_z 0
		.amdhsa_system_sgpr_workgroup_info 0
		.amdhsa_system_vgpr_workitem_id 0
		.amdhsa_next_free_vgpr 1
		.amdhsa_next_free_sgpr 1
		.amdhsa_reserve_vcc 0
		.amdhsa_reserve_flat_scratch 0
		.amdhsa_float_round_mode_32 0
		.amdhsa_float_round_mode_16_64 0
		.amdhsa_float_denorm_mode_32 3
		.amdhsa_float_denorm_mode_16_64 3
		.amdhsa_dx10_clamp 1
		.amdhsa_ieee_mode 1
		.amdhsa_fp16_overflow 0
		.amdhsa_workgroup_processor_mode 1
		.amdhsa_memory_ordered 1
		.amdhsa_forward_progress 1
		.amdhsa_shared_vgpr_count 0
		.amdhsa_exception_fp_ieee_invalid_op 0
		.amdhsa_exception_fp_denorm_src 0
		.amdhsa_exception_fp_ieee_div_zero 0
		.amdhsa_exception_fp_ieee_overflow 0
		.amdhsa_exception_fp_ieee_underflow 0
		.amdhsa_exception_fp_ieee_inexact 0
		.amdhsa_exception_int_div_zero 0
	.end_amdhsa_kernel
	.section	.text._ZN7rocprim17ROCPRIM_400000_NS6detail17trampoline_kernelINS0_14default_configENS1_36segmented_radix_sort_config_selectorIhlEEZNS1_25segmented_radix_sort_implIS3_Lb0EPKhPhPKlPlN2at6native12_GLOBAL__N_18offset_tEEE10hipError_tPvRmT1_PNSt15iterator_traitsISK_E10value_typeET2_T3_PNSL_ISQ_E10value_typeET4_jRbjT5_SW_jjP12ihipStream_tbEUlT_E_NS1_11comp_targetILNS1_3genE5ELNS1_11target_archE942ELNS1_3gpuE9ELNS1_3repE0EEENS1_30default_config_static_selectorELNS0_4arch9wavefront6targetE0EEEvSK_,"axG",@progbits,_ZN7rocprim17ROCPRIM_400000_NS6detail17trampoline_kernelINS0_14default_configENS1_36segmented_radix_sort_config_selectorIhlEEZNS1_25segmented_radix_sort_implIS3_Lb0EPKhPhPKlPlN2at6native12_GLOBAL__N_18offset_tEEE10hipError_tPvRmT1_PNSt15iterator_traitsISK_E10value_typeET2_T3_PNSL_ISQ_E10value_typeET4_jRbjT5_SW_jjP12ihipStream_tbEUlT_E_NS1_11comp_targetILNS1_3genE5ELNS1_11target_archE942ELNS1_3gpuE9ELNS1_3repE0EEENS1_30default_config_static_selectorELNS0_4arch9wavefront6targetE0EEEvSK_,comdat
.Lfunc_end186:
	.size	_ZN7rocprim17ROCPRIM_400000_NS6detail17trampoline_kernelINS0_14default_configENS1_36segmented_radix_sort_config_selectorIhlEEZNS1_25segmented_radix_sort_implIS3_Lb0EPKhPhPKlPlN2at6native12_GLOBAL__N_18offset_tEEE10hipError_tPvRmT1_PNSt15iterator_traitsISK_E10value_typeET2_T3_PNSL_ISQ_E10value_typeET4_jRbjT5_SW_jjP12ihipStream_tbEUlT_E_NS1_11comp_targetILNS1_3genE5ELNS1_11target_archE942ELNS1_3gpuE9ELNS1_3repE0EEENS1_30default_config_static_selectorELNS0_4arch9wavefront6targetE0EEEvSK_, .Lfunc_end186-_ZN7rocprim17ROCPRIM_400000_NS6detail17trampoline_kernelINS0_14default_configENS1_36segmented_radix_sort_config_selectorIhlEEZNS1_25segmented_radix_sort_implIS3_Lb0EPKhPhPKlPlN2at6native12_GLOBAL__N_18offset_tEEE10hipError_tPvRmT1_PNSt15iterator_traitsISK_E10value_typeET2_T3_PNSL_ISQ_E10value_typeET4_jRbjT5_SW_jjP12ihipStream_tbEUlT_E_NS1_11comp_targetILNS1_3genE5ELNS1_11target_archE942ELNS1_3gpuE9ELNS1_3repE0EEENS1_30default_config_static_selectorELNS0_4arch9wavefront6targetE0EEEvSK_
                                        ; -- End function
	.set _ZN7rocprim17ROCPRIM_400000_NS6detail17trampoline_kernelINS0_14default_configENS1_36segmented_radix_sort_config_selectorIhlEEZNS1_25segmented_radix_sort_implIS3_Lb0EPKhPhPKlPlN2at6native12_GLOBAL__N_18offset_tEEE10hipError_tPvRmT1_PNSt15iterator_traitsISK_E10value_typeET2_T3_PNSL_ISQ_E10value_typeET4_jRbjT5_SW_jjP12ihipStream_tbEUlT_E_NS1_11comp_targetILNS1_3genE5ELNS1_11target_archE942ELNS1_3gpuE9ELNS1_3repE0EEENS1_30default_config_static_selectorELNS0_4arch9wavefront6targetE0EEEvSK_.num_vgpr, 0
	.set _ZN7rocprim17ROCPRIM_400000_NS6detail17trampoline_kernelINS0_14default_configENS1_36segmented_radix_sort_config_selectorIhlEEZNS1_25segmented_radix_sort_implIS3_Lb0EPKhPhPKlPlN2at6native12_GLOBAL__N_18offset_tEEE10hipError_tPvRmT1_PNSt15iterator_traitsISK_E10value_typeET2_T3_PNSL_ISQ_E10value_typeET4_jRbjT5_SW_jjP12ihipStream_tbEUlT_E_NS1_11comp_targetILNS1_3genE5ELNS1_11target_archE942ELNS1_3gpuE9ELNS1_3repE0EEENS1_30default_config_static_selectorELNS0_4arch9wavefront6targetE0EEEvSK_.num_agpr, 0
	.set _ZN7rocprim17ROCPRIM_400000_NS6detail17trampoline_kernelINS0_14default_configENS1_36segmented_radix_sort_config_selectorIhlEEZNS1_25segmented_radix_sort_implIS3_Lb0EPKhPhPKlPlN2at6native12_GLOBAL__N_18offset_tEEE10hipError_tPvRmT1_PNSt15iterator_traitsISK_E10value_typeET2_T3_PNSL_ISQ_E10value_typeET4_jRbjT5_SW_jjP12ihipStream_tbEUlT_E_NS1_11comp_targetILNS1_3genE5ELNS1_11target_archE942ELNS1_3gpuE9ELNS1_3repE0EEENS1_30default_config_static_selectorELNS0_4arch9wavefront6targetE0EEEvSK_.numbered_sgpr, 0
	.set _ZN7rocprim17ROCPRIM_400000_NS6detail17trampoline_kernelINS0_14default_configENS1_36segmented_radix_sort_config_selectorIhlEEZNS1_25segmented_radix_sort_implIS3_Lb0EPKhPhPKlPlN2at6native12_GLOBAL__N_18offset_tEEE10hipError_tPvRmT1_PNSt15iterator_traitsISK_E10value_typeET2_T3_PNSL_ISQ_E10value_typeET4_jRbjT5_SW_jjP12ihipStream_tbEUlT_E_NS1_11comp_targetILNS1_3genE5ELNS1_11target_archE942ELNS1_3gpuE9ELNS1_3repE0EEENS1_30default_config_static_selectorELNS0_4arch9wavefront6targetE0EEEvSK_.num_named_barrier, 0
	.set _ZN7rocprim17ROCPRIM_400000_NS6detail17trampoline_kernelINS0_14default_configENS1_36segmented_radix_sort_config_selectorIhlEEZNS1_25segmented_radix_sort_implIS3_Lb0EPKhPhPKlPlN2at6native12_GLOBAL__N_18offset_tEEE10hipError_tPvRmT1_PNSt15iterator_traitsISK_E10value_typeET2_T3_PNSL_ISQ_E10value_typeET4_jRbjT5_SW_jjP12ihipStream_tbEUlT_E_NS1_11comp_targetILNS1_3genE5ELNS1_11target_archE942ELNS1_3gpuE9ELNS1_3repE0EEENS1_30default_config_static_selectorELNS0_4arch9wavefront6targetE0EEEvSK_.private_seg_size, 0
	.set _ZN7rocprim17ROCPRIM_400000_NS6detail17trampoline_kernelINS0_14default_configENS1_36segmented_radix_sort_config_selectorIhlEEZNS1_25segmented_radix_sort_implIS3_Lb0EPKhPhPKlPlN2at6native12_GLOBAL__N_18offset_tEEE10hipError_tPvRmT1_PNSt15iterator_traitsISK_E10value_typeET2_T3_PNSL_ISQ_E10value_typeET4_jRbjT5_SW_jjP12ihipStream_tbEUlT_E_NS1_11comp_targetILNS1_3genE5ELNS1_11target_archE942ELNS1_3gpuE9ELNS1_3repE0EEENS1_30default_config_static_selectorELNS0_4arch9wavefront6targetE0EEEvSK_.uses_vcc, 0
	.set _ZN7rocprim17ROCPRIM_400000_NS6detail17trampoline_kernelINS0_14default_configENS1_36segmented_radix_sort_config_selectorIhlEEZNS1_25segmented_radix_sort_implIS3_Lb0EPKhPhPKlPlN2at6native12_GLOBAL__N_18offset_tEEE10hipError_tPvRmT1_PNSt15iterator_traitsISK_E10value_typeET2_T3_PNSL_ISQ_E10value_typeET4_jRbjT5_SW_jjP12ihipStream_tbEUlT_E_NS1_11comp_targetILNS1_3genE5ELNS1_11target_archE942ELNS1_3gpuE9ELNS1_3repE0EEENS1_30default_config_static_selectorELNS0_4arch9wavefront6targetE0EEEvSK_.uses_flat_scratch, 0
	.set _ZN7rocprim17ROCPRIM_400000_NS6detail17trampoline_kernelINS0_14default_configENS1_36segmented_radix_sort_config_selectorIhlEEZNS1_25segmented_radix_sort_implIS3_Lb0EPKhPhPKlPlN2at6native12_GLOBAL__N_18offset_tEEE10hipError_tPvRmT1_PNSt15iterator_traitsISK_E10value_typeET2_T3_PNSL_ISQ_E10value_typeET4_jRbjT5_SW_jjP12ihipStream_tbEUlT_E_NS1_11comp_targetILNS1_3genE5ELNS1_11target_archE942ELNS1_3gpuE9ELNS1_3repE0EEENS1_30default_config_static_selectorELNS0_4arch9wavefront6targetE0EEEvSK_.has_dyn_sized_stack, 0
	.set _ZN7rocprim17ROCPRIM_400000_NS6detail17trampoline_kernelINS0_14default_configENS1_36segmented_radix_sort_config_selectorIhlEEZNS1_25segmented_radix_sort_implIS3_Lb0EPKhPhPKlPlN2at6native12_GLOBAL__N_18offset_tEEE10hipError_tPvRmT1_PNSt15iterator_traitsISK_E10value_typeET2_T3_PNSL_ISQ_E10value_typeET4_jRbjT5_SW_jjP12ihipStream_tbEUlT_E_NS1_11comp_targetILNS1_3genE5ELNS1_11target_archE942ELNS1_3gpuE9ELNS1_3repE0EEENS1_30default_config_static_selectorELNS0_4arch9wavefront6targetE0EEEvSK_.has_recursion, 0
	.set _ZN7rocprim17ROCPRIM_400000_NS6detail17trampoline_kernelINS0_14default_configENS1_36segmented_radix_sort_config_selectorIhlEEZNS1_25segmented_radix_sort_implIS3_Lb0EPKhPhPKlPlN2at6native12_GLOBAL__N_18offset_tEEE10hipError_tPvRmT1_PNSt15iterator_traitsISK_E10value_typeET2_T3_PNSL_ISQ_E10value_typeET4_jRbjT5_SW_jjP12ihipStream_tbEUlT_E_NS1_11comp_targetILNS1_3genE5ELNS1_11target_archE942ELNS1_3gpuE9ELNS1_3repE0EEENS1_30default_config_static_selectorELNS0_4arch9wavefront6targetE0EEEvSK_.has_indirect_call, 0
	.section	.AMDGPU.csdata,"",@progbits
; Kernel info:
; codeLenInByte = 0
; TotalNumSgprs: 0
; NumVgprs: 0
; ScratchSize: 0
; MemoryBound: 0
; FloatMode: 240
; IeeeMode: 1
; LDSByteSize: 0 bytes/workgroup (compile time only)
; SGPRBlocks: 0
; VGPRBlocks: 0
; NumSGPRsForWavesPerEU: 1
; NumVGPRsForWavesPerEU: 1
; Occupancy: 16
; WaveLimiterHint : 0
; COMPUTE_PGM_RSRC2:SCRATCH_EN: 0
; COMPUTE_PGM_RSRC2:USER_SGPR: 6
; COMPUTE_PGM_RSRC2:TRAP_HANDLER: 0
; COMPUTE_PGM_RSRC2:TGID_X_EN: 1
; COMPUTE_PGM_RSRC2:TGID_Y_EN: 0
; COMPUTE_PGM_RSRC2:TGID_Z_EN: 0
; COMPUTE_PGM_RSRC2:TIDIG_COMP_CNT: 0
	.section	.text._ZN7rocprim17ROCPRIM_400000_NS6detail17trampoline_kernelINS0_14default_configENS1_36segmented_radix_sort_config_selectorIhlEEZNS1_25segmented_radix_sort_implIS3_Lb0EPKhPhPKlPlN2at6native12_GLOBAL__N_18offset_tEEE10hipError_tPvRmT1_PNSt15iterator_traitsISK_E10value_typeET2_T3_PNSL_ISQ_E10value_typeET4_jRbjT5_SW_jjP12ihipStream_tbEUlT_E_NS1_11comp_targetILNS1_3genE4ELNS1_11target_archE910ELNS1_3gpuE8ELNS1_3repE0EEENS1_30default_config_static_selectorELNS0_4arch9wavefront6targetE0EEEvSK_,"axG",@progbits,_ZN7rocprim17ROCPRIM_400000_NS6detail17trampoline_kernelINS0_14default_configENS1_36segmented_radix_sort_config_selectorIhlEEZNS1_25segmented_radix_sort_implIS3_Lb0EPKhPhPKlPlN2at6native12_GLOBAL__N_18offset_tEEE10hipError_tPvRmT1_PNSt15iterator_traitsISK_E10value_typeET2_T3_PNSL_ISQ_E10value_typeET4_jRbjT5_SW_jjP12ihipStream_tbEUlT_E_NS1_11comp_targetILNS1_3genE4ELNS1_11target_archE910ELNS1_3gpuE8ELNS1_3repE0EEENS1_30default_config_static_selectorELNS0_4arch9wavefront6targetE0EEEvSK_,comdat
	.globl	_ZN7rocprim17ROCPRIM_400000_NS6detail17trampoline_kernelINS0_14default_configENS1_36segmented_radix_sort_config_selectorIhlEEZNS1_25segmented_radix_sort_implIS3_Lb0EPKhPhPKlPlN2at6native12_GLOBAL__N_18offset_tEEE10hipError_tPvRmT1_PNSt15iterator_traitsISK_E10value_typeET2_T3_PNSL_ISQ_E10value_typeET4_jRbjT5_SW_jjP12ihipStream_tbEUlT_E_NS1_11comp_targetILNS1_3genE4ELNS1_11target_archE910ELNS1_3gpuE8ELNS1_3repE0EEENS1_30default_config_static_selectorELNS0_4arch9wavefront6targetE0EEEvSK_ ; -- Begin function _ZN7rocprim17ROCPRIM_400000_NS6detail17trampoline_kernelINS0_14default_configENS1_36segmented_radix_sort_config_selectorIhlEEZNS1_25segmented_radix_sort_implIS3_Lb0EPKhPhPKlPlN2at6native12_GLOBAL__N_18offset_tEEE10hipError_tPvRmT1_PNSt15iterator_traitsISK_E10value_typeET2_T3_PNSL_ISQ_E10value_typeET4_jRbjT5_SW_jjP12ihipStream_tbEUlT_E_NS1_11comp_targetILNS1_3genE4ELNS1_11target_archE910ELNS1_3gpuE8ELNS1_3repE0EEENS1_30default_config_static_selectorELNS0_4arch9wavefront6targetE0EEEvSK_
	.p2align	8
	.type	_ZN7rocprim17ROCPRIM_400000_NS6detail17trampoline_kernelINS0_14default_configENS1_36segmented_radix_sort_config_selectorIhlEEZNS1_25segmented_radix_sort_implIS3_Lb0EPKhPhPKlPlN2at6native12_GLOBAL__N_18offset_tEEE10hipError_tPvRmT1_PNSt15iterator_traitsISK_E10value_typeET2_T3_PNSL_ISQ_E10value_typeET4_jRbjT5_SW_jjP12ihipStream_tbEUlT_E_NS1_11comp_targetILNS1_3genE4ELNS1_11target_archE910ELNS1_3gpuE8ELNS1_3repE0EEENS1_30default_config_static_selectorELNS0_4arch9wavefront6targetE0EEEvSK_,@function
_ZN7rocprim17ROCPRIM_400000_NS6detail17trampoline_kernelINS0_14default_configENS1_36segmented_radix_sort_config_selectorIhlEEZNS1_25segmented_radix_sort_implIS3_Lb0EPKhPhPKlPlN2at6native12_GLOBAL__N_18offset_tEEE10hipError_tPvRmT1_PNSt15iterator_traitsISK_E10value_typeET2_T3_PNSL_ISQ_E10value_typeET4_jRbjT5_SW_jjP12ihipStream_tbEUlT_E_NS1_11comp_targetILNS1_3genE4ELNS1_11target_archE910ELNS1_3gpuE8ELNS1_3repE0EEENS1_30default_config_static_selectorELNS0_4arch9wavefront6targetE0EEEvSK_: ; @_ZN7rocprim17ROCPRIM_400000_NS6detail17trampoline_kernelINS0_14default_configENS1_36segmented_radix_sort_config_selectorIhlEEZNS1_25segmented_radix_sort_implIS3_Lb0EPKhPhPKlPlN2at6native12_GLOBAL__N_18offset_tEEE10hipError_tPvRmT1_PNSt15iterator_traitsISK_E10value_typeET2_T3_PNSL_ISQ_E10value_typeET4_jRbjT5_SW_jjP12ihipStream_tbEUlT_E_NS1_11comp_targetILNS1_3genE4ELNS1_11target_archE910ELNS1_3gpuE8ELNS1_3repE0EEENS1_30default_config_static_selectorELNS0_4arch9wavefront6targetE0EEEvSK_
; %bb.0:
	.section	.rodata,"a",@progbits
	.p2align	6, 0x0
	.amdhsa_kernel _ZN7rocprim17ROCPRIM_400000_NS6detail17trampoline_kernelINS0_14default_configENS1_36segmented_radix_sort_config_selectorIhlEEZNS1_25segmented_radix_sort_implIS3_Lb0EPKhPhPKlPlN2at6native12_GLOBAL__N_18offset_tEEE10hipError_tPvRmT1_PNSt15iterator_traitsISK_E10value_typeET2_T3_PNSL_ISQ_E10value_typeET4_jRbjT5_SW_jjP12ihipStream_tbEUlT_E_NS1_11comp_targetILNS1_3genE4ELNS1_11target_archE910ELNS1_3gpuE8ELNS1_3repE0EEENS1_30default_config_static_selectorELNS0_4arch9wavefront6targetE0EEEvSK_
		.amdhsa_group_segment_fixed_size 0
		.amdhsa_private_segment_fixed_size 0
		.amdhsa_kernarg_size 96
		.amdhsa_user_sgpr_count 6
		.amdhsa_user_sgpr_private_segment_buffer 1
		.amdhsa_user_sgpr_dispatch_ptr 0
		.amdhsa_user_sgpr_queue_ptr 0
		.amdhsa_user_sgpr_kernarg_segment_ptr 1
		.amdhsa_user_sgpr_dispatch_id 0
		.amdhsa_user_sgpr_flat_scratch_init 0
		.amdhsa_user_sgpr_private_segment_size 0
		.amdhsa_wavefront_size32 1
		.amdhsa_uses_dynamic_stack 0
		.amdhsa_system_sgpr_private_segment_wavefront_offset 0
		.amdhsa_system_sgpr_workgroup_id_x 1
		.amdhsa_system_sgpr_workgroup_id_y 0
		.amdhsa_system_sgpr_workgroup_id_z 0
		.amdhsa_system_sgpr_workgroup_info 0
		.amdhsa_system_vgpr_workitem_id 0
		.amdhsa_next_free_vgpr 1
		.amdhsa_next_free_sgpr 1
		.amdhsa_reserve_vcc 0
		.amdhsa_reserve_flat_scratch 0
		.amdhsa_float_round_mode_32 0
		.amdhsa_float_round_mode_16_64 0
		.amdhsa_float_denorm_mode_32 3
		.amdhsa_float_denorm_mode_16_64 3
		.amdhsa_dx10_clamp 1
		.amdhsa_ieee_mode 1
		.amdhsa_fp16_overflow 0
		.amdhsa_workgroup_processor_mode 1
		.amdhsa_memory_ordered 1
		.amdhsa_forward_progress 1
		.amdhsa_shared_vgpr_count 0
		.amdhsa_exception_fp_ieee_invalid_op 0
		.amdhsa_exception_fp_denorm_src 0
		.amdhsa_exception_fp_ieee_div_zero 0
		.amdhsa_exception_fp_ieee_overflow 0
		.amdhsa_exception_fp_ieee_underflow 0
		.amdhsa_exception_fp_ieee_inexact 0
		.amdhsa_exception_int_div_zero 0
	.end_amdhsa_kernel
	.section	.text._ZN7rocprim17ROCPRIM_400000_NS6detail17trampoline_kernelINS0_14default_configENS1_36segmented_radix_sort_config_selectorIhlEEZNS1_25segmented_radix_sort_implIS3_Lb0EPKhPhPKlPlN2at6native12_GLOBAL__N_18offset_tEEE10hipError_tPvRmT1_PNSt15iterator_traitsISK_E10value_typeET2_T3_PNSL_ISQ_E10value_typeET4_jRbjT5_SW_jjP12ihipStream_tbEUlT_E_NS1_11comp_targetILNS1_3genE4ELNS1_11target_archE910ELNS1_3gpuE8ELNS1_3repE0EEENS1_30default_config_static_selectorELNS0_4arch9wavefront6targetE0EEEvSK_,"axG",@progbits,_ZN7rocprim17ROCPRIM_400000_NS6detail17trampoline_kernelINS0_14default_configENS1_36segmented_radix_sort_config_selectorIhlEEZNS1_25segmented_radix_sort_implIS3_Lb0EPKhPhPKlPlN2at6native12_GLOBAL__N_18offset_tEEE10hipError_tPvRmT1_PNSt15iterator_traitsISK_E10value_typeET2_T3_PNSL_ISQ_E10value_typeET4_jRbjT5_SW_jjP12ihipStream_tbEUlT_E_NS1_11comp_targetILNS1_3genE4ELNS1_11target_archE910ELNS1_3gpuE8ELNS1_3repE0EEENS1_30default_config_static_selectorELNS0_4arch9wavefront6targetE0EEEvSK_,comdat
.Lfunc_end187:
	.size	_ZN7rocprim17ROCPRIM_400000_NS6detail17trampoline_kernelINS0_14default_configENS1_36segmented_radix_sort_config_selectorIhlEEZNS1_25segmented_radix_sort_implIS3_Lb0EPKhPhPKlPlN2at6native12_GLOBAL__N_18offset_tEEE10hipError_tPvRmT1_PNSt15iterator_traitsISK_E10value_typeET2_T3_PNSL_ISQ_E10value_typeET4_jRbjT5_SW_jjP12ihipStream_tbEUlT_E_NS1_11comp_targetILNS1_3genE4ELNS1_11target_archE910ELNS1_3gpuE8ELNS1_3repE0EEENS1_30default_config_static_selectorELNS0_4arch9wavefront6targetE0EEEvSK_, .Lfunc_end187-_ZN7rocprim17ROCPRIM_400000_NS6detail17trampoline_kernelINS0_14default_configENS1_36segmented_radix_sort_config_selectorIhlEEZNS1_25segmented_radix_sort_implIS3_Lb0EPKhPhPKlPlN2at6native12_GLOBAL__N_18offset_tEEE10hipError_tPvRmT1_PNSt15iterator_traitsISK_E10value_typeET2_T3_PNSL_ISQ_E10value_typeET4_jRbjT5_SW_jjP12ihipStream_tbEUlT_E_NS1_11comp_targetILNS1_3genE4ELNS1_11target_archE910ELNS1_3gpuE8ELNS1_3repE0EEENS1_30default_config_static_selectorELNS0_4arch9wavefront6targetE0EEEvSK_
                                        ; -- End function
	.set _ZN7rocprim17ROCPRIM_400000_NS6detail17trampoline_kernelINS0_14default_configENS1_36segmented_radix_sort_config_selectorIhlEEZNS1_25segmented_radix_sort_implIS3_Lb0EPKhPhPKlPlN2at6native12_GLOBAL__N_18offset_tEEE10hipError_tPvRmT1_PNSt15iterator_traitsISK_E10value_typeET2_T3_PNSL_ISQ_E10value_typeET4_jRbjT5_SW_jjP12ihipStream_tbEUlT_E_NS1_11comp_targetILNS1_3genE4ELNS1_11target_archE910ELNS1_3gpuE8ELNS1_3repE0EEENS1_30default_config_static_selectorELNS0_4arch9wavefront6targetE0EEEvSK_.num_vgpr, 0
	.set _ZN7rocprim17ROCPRIM_400000_NS6detail17trampoline_kernelINS0_14default_configENS1_36segmented_radix_sort_config_selectorIhlEEZNS1_25segmented_radix_sort_implIS3_Lb0EPKhPhPKlPlN2at6native12_GLOBAL__N_18offset_tEEE10hipError_tPvRmT1_PNSt15iterator_traitsISK_E10value_typeET2_T3_PNSL_ISQ_E10value_typeET4_jRbjT5_SW_jjP12ihipStream_tbEUlT_E_NS1_11comp_targetILNS1_3genE4ELNS1_11target_archE910ELNS1_3gpuE8ELNS1_3repE0EEENS1_30default_config_static_selectorELNS0_4arch9wavefront6targetE0EEEvSK_.num_agpr, 0
	.set _ZN7rocprim17ROCPRIM_400000_NS6detail17trampoline_kernelINS0_14default_configENS1_36segmented_radix_sort_config_selectorIhlEEZNS1_25segmented_radix_sort_implIS3_Lb0EPKhPhPKlPlN2at6native12_GLOBAL__N_18offset_tEEE10hipError_tPvRmT1_PNSt15iterator_traitsISK_E10value_typeET2_T3_PNSL_ISQ_E10value_typeET4_jRbjT5_SW_jjP12ihipStream_tbEUlT_E_NS1_11comp_targetILNS1_3genE4ELNS1_11target_archE910ELNS1_3gpuE8ELNS1_3repE0EEENS1_30default_config_static_selectorELNS0_4arch9wavefront6targetE0EEEvSK_.numbered_sgpr, 0
	.set _ZN7rocprim17ROCPRIM_400000_NS6detail17trampoline_kernelINS0_14default_configENS1_36segmented_radix_sort_config_selectorIhlEEZNS1_25segmented_radix_sort_implIS3_Lb0EPKhPhPKlPlN2at6native12_GLOBAL__N_18offset_tEEE10hipError_tPvRmT1_PNSt15iterator_traitsISK_E10value_typeET2_T3_PNSL_ISQ_E10value_typeET4_jRbjT5_SW_jjP12ihipStream_tbEUlT_E_NS1_11comp_targetILNS1_3genE4ELNS1_11target_archE910ELNS1_3gpuE8ELNS1_3repE0EEENS1_30default_config_static_selectorELNS0_4arch9wavefront6targetE0EEEvSK_.num_named_barrier, 0
	.set _ZN7rocprim17ROCPRIM_400000_NS6detail17trampoline_kernelINS0_14default_configENS1_36segmented_radix_sort_config_selectorIhlEEZNS1_25segmented_radix_sort_implIS3_Lb0EPKhPhPKlPlN2at6native12_GLOBAL__N_18offset_tEEE10hipError_tPvRmT1_PNSt15iterator_traitsISK_E10value_typeET2_T3_PNSL_ISQ_E10value_typeET4_jRbjT5_SW_jjP12ihipStream_tbEUlT_E_NS1_11comp_targetILNS1_3genE4ELNS1_11target_archE910ELNS1_3gpuE8ELNS1_3repE0EEENS1_30default_config_static_selectorELNS0_4arch9wavefront6targetE0EEEvSK_.private_seg_size, 0
	.set _ZN7rocprim17ROCPRIM_400000_NS6detail17trampoline_kernelINS0_14default_configENS1_36segmented_radix_sort_config_selectorIhlEEZNS1_25segmented_radix_sort_implIS3_Lb0EPKhPhPKlPlN2at6native12_GLOBAL__N_18offset_tEEE10hipError_tPvRmT1_PNSt15iterator_traitsISK_E10value_typeET2_T3_PNSL_ISQ_E10value_typeET4_jRbjT5_SW_jjP12ihipStream_tbEUlT_E_NS1_11comp_targetILNS1_3genE4ELNS1_11target_archE910ELNS1_3gpuE8ELNS1_3repE0EEENS1_30default_config_static_selectorELNS0_4arch9wavefront6targetE0EEEvSK_.uses_vcc, 0
	.set _ZN7rocprim17ROCPRIM_400000_NS6detail17trampoline_kernelINS0_14default_configENS1_36segmented_radix_sort_config_selectorIhlEEZNS1_25segmented_radix_sort_implIS3_Lb0EPKhPhPKlPlN2at6native12_GLOBAL__N_18offset_tEEE10hipError_tPvRmT1_PNSt15iterator_traitsISK_E10value_typeET2_T3_PNSL_ISQ_E10value_typeET4_jRbjT5_SW_jjP12ihipStream_tbEUlT_E_NS1_11comp_targetILNS1_3genE4ELNS1_11target_archE910ELNS1_3gpuE8ELNS1_3repE0EEENS1_30default_config_static_selectorELNS0_4arch9wavefront6targetE0EEEvSK_.uses_flat_scratch, 0
	.set _ZN7rocprim17ROCPRIM_400000_NS6detail17trampoline_kernelINS0_14default_configENS1_36segmented_radix_sort_config_selectorIhlEEZNS1_25segmented_radix_sort_implIS3_Lb0EPKhPhPKlPlN2at6native12_GLOBAL__N_18offset_tEEE10hipError_tPvRmT1_PNSt15iterator_traitsISK_E10value_typeET2_T3_PNSL_ISQ_E10value_typeET4_jRbjT5_SW_jjP12ihipStream_tbEUlT_E_NS1_11comp_targetILNS1_3genE4ELNS1_11target_archE910ELNS1_3gpuE8ELNS1_3repE0EEENS1_30default_config_static_selectorELNS0_4arch9wavefront6targetE0EEEvSK_.has_dyn_sized_stack, 0
	.set _ZN7rocprim17ROCPRIM_400000_NS6detail17trampoline_kernelINS0_14default_configENS1_36segmented_radix_sort_config_selectorIhlEEZNS1_25segmented_radix_sort_implIS3_Lb0EPKhPhPKlPlN2at6native12_GLOBAL__N_18offset_tEEE10hipError_tPvRmT1_PNSt15iterator_traitsISK_E10value_typeET2_T3_PNSL_ISQ_E10value_typeET4_jRbjT5_SW_jjP12ihipStream_tbEUlT_E_NS1_11comp_targetILNS1_3genE4ELNS1_11target_archE910ELNS1_3gpuE8ELNS1_3repE0EEENS1_30default_config_static_selectorELNS0_4arch9wavefront6targetE0EEEvSK_.has_recursion, 0
	.set _ZN7rocprim17ROCPRIM_400000_NS6detail17trampoline_kernelINS0_14default_configENS1_36segmented_radix_sort_config_selectorIhlEEZNS1_25segmented_radix_sort_implIS3_Lb0EPKhPhPKlPlN2at6native12_GLOBAL__N_18offset_tEEE10hipError_tPvRmT1_PNSt15iterator_traitsISK_E10value_typeET2_T3_PNSL_ISQ_E10value_typeET4_jRbjT5_SW_jjP12ihipStream_tbEUlT_E_NS1_11comp_targetILNS1_3genE4ELNS1_11target_archE910ELNS1_3gpuE8ELNS1_3repE0EEENS1_30default_config_static_selectorELNS0_4arch9wavefront6targetE0EEEvSK_.has_indirect_call, 0
	.section	.AMDGPU.csdata,"",@progbits
; Kernel info:
; codeLenInByte = 0
; TotalNumSgprs: 0
; NumVgprs: 0
; ScratchSize: 0
; MemoryBound: 0
; FloatMode: 240
; IeeeMode: 1
; LDSByteSize: 0 bytes/workgroup (compile time only)
; SGPRBlocks: 0
; VGPRBlocks: 0
; NumSGPRsForWavesPerEU: 1
; NumVGPRsForWavesPerEU: 1
; Occupancy: 16
; WaveLimiterHint : 0
; COMPUTE_PGM_RSRC2:SCRATCH_EN: 0
; COMPUTE_PGM_RSRC2:USER_SGPR: 6
; COMPUTE_PGM_RSRC2:TRAP_HANDLER: 0
; COMPUTE_PGM_RSRC2:TGID_X_EN: 1
; COMPUTE_PGM_RSRC2:TGID_Y_EN: 0
; COMPUTE_PGM_RSRC2:TGID_Z_EN: 0
; COMPUTE_PGM_RSRC2:TIDIG_COMP_CNT: 0
	.section	.text._ZN7rocprim17ROCPRIM_400000_NS6detail17trampoline_kernelINS0_14default_configENS1_36segmented_radix_sort_config_selectorIhlEEZNS1_25segmented_radix_sort_implIS3_Lb0EPKhPhPKlPlN2at6native12_GLOBAL__N_18offset_tEEE10hipError_tPvRmT1_PNSt15iterator_traitsISK_E10value_typeET2_T3_PNSL_ISQ_E10value_typeET4_jRbjT5_SW_jjP12ihipStream_tbEUlT_E_NS1_11comp_targetILNS1_3genE3ELNS1_11target_archE908ELNS1_3gpuE7ELNS1_3repE0EEENS1_30default_config_static_selectorELNS0_4arch9wavefront6targetE0EEEvSK_,"axG",@progbits,_ZN7rocprim17ROCPRIM_400000_NS6detail17trampoline_kernelINS0_14default_configENS1_36segmented_radix_sort_config_selectorIhlEEZNS1_25segmented_radix_sort_implIS3_Lb0EPKhPhPKlPlN2at6native12_GLOBAL__N_18offset_tEEE10hipError_tPvRmT1_PNSt15iterator_traitsISK_E10value_typeET2_T3_PNSL_ISQ_E10value_typeET4_jRbjT5_SW_jjP12ihipStream_tbEUlT_E_NS1_11comp_targetILNS1_3genE3ELNS1_11target_archE908ELNS1_3gpuE7ELNS1_3repE0EEENS1_30default_config_static_selectorELNS0_4arch9wavefront6targetE0EEEvSK_,comdat
	.globl	_ZN7rocprim17ROCPRIM_400000_NS6detail17trampoline_kernelINS0_14default_configENS1_36segmented_radix_sort_config_selectorIhlEEZNS1_25segmented_radix_sort_implIS3_Lb0EPKhPhPKlPlN2at6native12_GLOBAL__N_18offset_tEEE10hipError_tPvRmT1_PNSt15iterator_traitsISK_E10value_typeET2_T3_PNSL_ISQ_E10value_typeET4_jRbjT5_SW_jjP12ihipStream_tbEUlT_E_NS1_11comp_targetILNS1_3genE3ELNS1_11target_archE908ELNS1_3gpuE7ELNS1_3repE0EEENS1_30default_config_static_selectorELNS0_4arch9wavefront6targetE0EEEvSK_ ; -- Begin function _ZN7rocprim17ROCPRIM_400000_NS6detail17trampoline_kernelINS0_14default_configENS1_36segmented_radix_sort_config_selectorIhlEEZNS1_25segmented_radix_sort_implIS3_Lb0EPKhPhPKlPlN2at6native12_GLOBAL__N_18offset_tEEE10hipError_tPvRmT1_PNSt15iterator_traitsISK_E10value_typeET2_T3_PNSL_ISQ_E10value_typeET4_jRbjT5_SW_jjP12ihipStream_tbEUlT_E_NS1_11comp_targetILNS1_3genE3ELNS1_11target_archE908ELNS1_3gpuE7ELNS1_3repE0EEENS1_30default_config_static_selectorELNS0_4arch9wavefront6targetE0EEEvSK_
	.p2align	8
	.type	_ZN7rocprim17ROCPRIM_400000_NS6detail17trampoline_kernelINS0_14default_configENS1_36segmented_radix_sort_config_selectorIhlEEZNS1_25segmented_radix_sort_implIS3_Lb0EPKhPhPKlPlN2at6native12_GLOBAL__N_18offset_tEEE10hipError_tPvRmT1_PNSt15iterator_traitsISK_E10value_typeET2_T3_PNSL_ISQ_E10value_typeET4_jRbjT5_SW_jjP12ihipStream_tbEUlT_E_NS1_11comp_targetILNS1_3genE3ELNS1_11target_archE908ELNS1_3gpuE7ELNS1_3repE0EEENS1_30default_config_static_selectorELNS0_4arch9wavefront6targetE0EEEvSK_,@function
_ZN7rocprim17ROCPRIM_400000_NS6detail17trampoline_kernelINS0_14default_configENS1_36segmented_radix_sort_config_selectorIhlEEZNS1_25segmented_radix_sort_implIS3_Lb0EPKhPhPKlPlN2at6native12_GLOBAL__N_18offset_tEEE10hipError_tPvRmT1_PNSt15iterator_traitsISK_E10value_typeET2_T3_PNSL_ISQ_E10value_typeET4_jRbjT5_SW_jjP12ihipStream_tbEUlT_E_NS1_11comp_targetILNS1_3genE3ELNS1_11target_archE908ELNS1_3gpuE7ELNS1_3repE0EEENS1_30default_config_static_selectorELNS0_4arch9wavefront6targetE0EEEvSK_: ; @_ZN7rocprim17ROCPRIM_400000_NS6detail17trampoline_kernelINS0_14default_configENS1_36segmented_radix_sort_config_selectorIhlEEZNS1_25segmented_radix_sort_implIS3_Lb0EPKhPhPKlPlN2at6native12_GLOBAL__N_18offset_tEEE10hipError_tPvRmT1_PNSt15iterator_traitsISK_E10value_typeET2_T3_PNSL_ISQ_E10value_typeET4_jRbjT5_SW_jjP12ihipStream_tbEUlT_E_NS1_11comp_targetILNS1_3genE3ELNS1_11target_archE908ELNS1_3gpuE7ELNS1_3repE0EEENS1_30default_config_static_selectorELNS0_4arch9wavefront6targetE0EEEvSK_
; %bb.0:
	.section	.rodata,"a",@progbits
	.p2align	6, 0x0
	.amdhsa_kernel _ZN7rocprim17ROCPRIM_400000_NS6detail17trampoline_kernelINS0_14default_configENS1_36segmented_radix_sort_config_selectorIhlEEZNS1_25segmented_radix_sort_implIS3_Lb0EPKhPhPKlPlN2at6native12_GLOBAL__N_18offset_tEEE10hipError_tPvRmT1_PNSt15iterator_traitsISK_E10value_typeET2_T3_PNSL_ISQ_E10value_typeET4_jRbjT5_SW_jjP12ihipStream_tbEUlT_E_NS1_11comp_targetILNS1_3genE3ELNS1_11target_archE908ELNS1_3gpuE7ELNS1_3repE0EEENS1_30default_config_static_selectorELNS0_4arch9wavefront6targetE0EEEvSK_
		.amdhsa_group_segment_fixed_size 0
		.amdhsa_private_segment_fixed_size 0
		.amdhsa_kernarg_size 96
		.amdhsa_user_sgpr_count 6
		.amdhsa_user_sgpr_private_segment_buffer 1
		.amdhsa_user_sgpr_dispatch_ptr 0
		.amdhsa_user_sgpr_queue_ptr 0
		.amdhsa_user_sgpr_kernarg_segment_ptr 1
		.amdhsa_user_sgpr_dispatch_id 0
		.amdhsa_user_sgpr_flat_scratch_init 0
		.amdhsa_user_sgpr_private_segment_size 0
		.amdhsa_wavefront_size32 1
		.amdhsa_uses_dynamic_stack 0
		.amdhsa_system_sgpr_private_segment_wavefront_offset 0
		.amdhsa_system_sgpr_workgroup_id_x 1
		.amdhsa_system_sgpr_workgroup_id_y 0
		.amdhsa_system_sgpr_workgroup_id_z 0
		.amdhsa_system_sgpr_workgroup_info 0
		.amdhsa_system_vgpr_workitem_id 0
		.amdhsa_next_free_vgpr 1
		.amdhsa_next_free_sgpr 1
		.amdhsa_reserve_vcc 0
		.amdhsa_reserve_flat_scratch 0
		.amdhsa_float_round_mode_32 0
		.amdhsa_float_round_mode_16_64 0
		.amdhsa_float_denorm_mode_32 3
		.amdhsa_float_denorm_mode_16_64 3
		.amdhsa_dx10_clamp 1
		.amdhsa_ieee_mode 1
		.amdhsa_fp16_overflow 0
		.amdhsa_workgroup_processor_mode 1
		.amdhsa_memory_ordered 1
		.amdhsa_forward_progress 1
		.amdhsa_shared_vgpr_count 0
		.amdhsa_exception_fp_ieee_invalid_op 0
		.amdhsa_exception_fp_denorm_src 0
		.amdhsa_exception_fp_ieee_div_zero 0
		.amdhsa_exception_fp_ieee_overflow 0
		.amdhsa_exception_fp_ieee_underflow 0
		.amdhsa_exception_fp_ieee_inexact 0
		.amdhsa_exception_int_div_zero 0
	.end_amdhsa_kernel
	.section	.text._ZN7rocprim17ROCPRIM_400000_NS6detail17trampoline_kernelINS0_14default_configENS1_36segmented_radix_sort_config_selectorIhlEEZNS1_25segmented_radix_sort_implIS3_Lb0EPKhPhPKlPlN2at6native12_GLOBAL__N_18offset_tEEE10hipError_tPvRmT1_PNSt15iterator_traitsISK_E10value_typeET2_T3_PNSL_ISQ_E10value_typeET4_jRbjT5_SW_jjP12ihipStream_tbEUlT_E_NS1_11comp_targetILNS1_3genE3ELNS1_11target_archE908ELNS1_3gpuE7ELNS1_3repE0EEENS1_30default_config_static_selectorELNS0_4arch9wavefront6targetE0EEEvSK_,"axG",@progbits,_ZN7rocprim17ROCPRIM_400000_NS6detail17trampoline_kernelINS0_14default_configENS1_36segmented_radix_sort_config_selectorIhlEEZNS1_25segmented_radix_sort_implIS3_Lb0EPKhPhPKlPlN2at6native12_GLOBAL__N_18offset_tEEE10hipError_tPvRmT1_PNSt15iterator_traitsISK_E10value_typeET2_T3_PNSL_ISQ_E10value_typeET4_jRbjT5_SW_jjP12ihipStream_tbEUlT_E_NS1_11comp_targetILNS1_3genE3ELNS1_11target_archE908ELNS1_3gpuE7ELNS1_3repE0EEENS1_30default_config_static_selectorELNS0_4arch9wavefront6targetE0EEEvSK_,comdat
.Lfunc_end188:
	.size	_ZN7rocprim17ROCPRIM_400000_NS6detail17trampoline_kernelINS0_14default_configENS1_36segmented_radix_sort_config_selectorIhlEEZNS1_25segmented_radix_sort_implIS3_Lb0EPKhPhPKlPlN2at6native12_GLOBAL__N_18offset_tEEE10hipError_tPvRmT1_PNSt15iterator_traitsISK_E10value_typeET2_T3_PNSL_ISQ_E10value_typeET4_jRbjT5_SW_jjP12ihipStream_tbEUlT_E_NS1_11comp_targetILNS1_3genE3ELNS1_11target_archE908ELNS1_3gpuE7ELNS1_3repE0EEENS1_30default_config_static_selectorELNS0_4arch9wavefront6targetE0EEEvSK_, .Lfunc_end188-_ZN7rocprim17ROCPRIM_400000_NS6detail17trampoline_kernelINS0_14default_configENS1_36segmented_radix_sort_config_selectorIhlEEZNS1_25segmented_radix_sort_implIS3_Lb0EPKhPhPKlPlN2at6native12_GLOBAL__N_18offset_tEEE10hipError_tPvRmT1_PNSt15iterator_traitsISK_E10value_typeET2_T3_PNSL_ISQ_E10value_typeET4_jRbjT5_SW_jjP12ihipStream_tbEUlT_E_NS1_11comp_targetILNS1_3genE3ELNS1_11target_archE908ELNS1_3gpuE7ELNS1_3repE0EEENS1_30default_config_static_selectorELNS0_4arch9wavefront6targetE0EEEvSK_
                                        ; -- End function
	.set _ZN7rocprim17ROCPRIM_400000_NS6detail17trampoline_kernelINS0_14default_configENS1_36segmented_radix_sort_config_selectorIhlEEZNS1_25segmented_radix_sort_implIS3_Lb0EPKhPhPKlPlN2at6native12_GLOBAL__N_18offset_tEEE10hipError_tPvRmT1_PNSt15iterator_traitsISK_E10value_typeET2_T3_PNSL_ISQ_E10value_typeET4_jRbjT5_SW_jjP12ihipStream_tbEUlT_E_NS1_11comp_targetILNS1_3genE3ELNS1_11target_archE908ELNS1_3gpuE7ELNS1_3repE0EEENS1_30default_config_static_selectorELNS0_4arch9wavefront6targetE0EEEvSK_.num_vgpr, 0
	.set _ZN7rocprim17ROCPRIM_400000_NS6detail17trampoline_kernelINS0_14default_configENS1_36segmented_radix_sort_config_selectorIhlEEZNS1_25segmented_radix_sort_implIS3_Lb0EPKhPhPKlPlN2at6native12_GLOBAL__N_18offset_tEEE10hipError_tPvRmT1_PNSt15iterator_traitsISK_E10value_typeET2_T3_PNSL_ISQ_E10value_typeET4_jRbjT5_SW_jjP12ihipStream_tbEUlT_E_NS1_11comp_targetILNS1_3genE3ELNS1_11target_archE908ELNS1_3gpuE7ELNS1_3repE0EEENS1_30default_config_static_selectorELNS0_4arch9wavefront6targetE0EEEvSK_.num_agpr, 0
	.set _ZN7rocprim17ROCPRIM_400000_NS6detail17trampoline_kernelINS0_14default_configENS1_36segmented_radix_sort_config_selectorIhlEEZNS1_25segmented_radix_sort_implIS3_Lb0EPKhPhPKlPlN2at6native12_GLOBAL__N_18offset_tEEE10hipError_tPvRmT1_PNSt15iterator_traitsISK_E10value_typeET2_T3_PNSL_ISQ_E10value_typeET4_jRbjT5_SW_jjP12ihipStream_tbEUlT_E_NS1_11comp_targetILNS1_3genE3ELNS1_11target_archE908ELNS1_3gpuE7ELNS1_3repE0EEENS1_30default_config_static_selectorELNS0_4arch9wavefront6targetE0EEEvSK_.numbered_sgpr, 0
	.set _ZN7rocprim17ROCPRIM_400000_NS6detail17trampoline_kernelINS0_14default_configENS1_36segmented_radix_sort_config_selectorIhlEEZNS1_25segmented_radix_sort_implIS3_Lb0EPKhPhPKlPlN2at6native12_GLOBAL__N_18offset_tEEE10hipError_tPvRmT1_PNSt15iterator_traitsISK_E10value_typeET2_T3_PNSL_ISQ_E10value_typeET4_jRbjT5_SW_jjP12ihipStream_tbEUlT_E_NS1_11comp_targetILNS1_3genE3ELNS1_11target_archE908ELNS1_3gpuE7ELNS1_3repE0EEENS1_30default_config_static_selectorELNS0_4arch9wavefront6targetE0EEEvSK_.num_named_barrier, 0
	.set _ZN7rocprim17ROCPRIM_400000_NS6detail17trampoline_kernelINS0_14default_configENS1_36segmented_radix_sort_config_selectorIhlEEZNS1_25segmented_radix_sort_implIS3_Lb0EPKhPhPKlPlN2at6native12_GLOBAL__N_18offset_tEEE10hipError_tPvRmT1_PNSt15iterator_traitsISK_E10value_typeET2_T3_PNSL_ISQ_E10value_typeET4_jRbjT5_SW_jjP12ihipStream_tbEUlT_E_NS1_11comp_targetILNS1_3genE3ELNS1_11target_archE908ELNS1_3gpuE7ELNS1_3repE0EEENS1_30default_config_static_selectorELNS0_4arch9wavefront6targetE0EEEvSK_.private_seg_size, 0
	.set _ZN7rocprim17ROCPRIM_400000_NS6detail17trampoline_kernelINS0_14default_configENS1_36segmented_radix_sort_config_selectorIhlEEZNS1_25segmented_radix_sort_implIS3_Lb0EPKhPhPKlPlN2at6native12_GLOBAL__N_18offset_tEEE10hipError_tPvRmT1_PNSt15iterator_traitsISK_E10value_typeET2_T3_PNSL_ISQ_E10value_typeET4_jRbjT5_SW_jjP12ihipStream_tbEUlT_E_NS1_11comp_targetILNS1_3genE3ELNS1_11target_archE908ELNS1_3gpuE7ELNS1_3repE0EEENS1_30default_config_static_selectorELNS0_4arch9wavefront6targetE0EEEvSK_.uses_vcc, 0
	.set _ZN7rocprim17ROCPRIM_400000_NS6detail17trampoline_kernelINS0_14default_configENS1_36segmented_radix_sort_config_selectorIhlEEZNS1_25segmented_radix_sort_implIS3_Lb0EPKhPhPKlPlN2at6native12_GLOBAL__N_18offset_tEEE10hipError_tPvRmT1_PNSt15iterator_traitsISK_E10value_typeET2_T3_PNSL_ISQ_E10value_typeET4_jRbjT5_SW_jjP12ihipStream_tbEUlT_E_NS1_11comp_targetILNS1_3genE3ELNS1_11target_archE908ELNS1_3gpuE7ELNS1_3repE0EEENS1_30default_config_static_selectorELNS0_4arch9wavefront6targetE0EEEvSK_.uses_flat_scratch, 0
	.set _ZN7rocprim17ROCPRIM_400000_NS6detail17trampoline_kernelINS0_14default_configENS1_36segmented_radix_sort_config_selectorIhlEEZNS1_25segmented_radix_sort_implIS3_Lb0EPKhPhPKlPlN2at6native12_GLOBAL__N_18offset_tEEE10hipError_tPvRmT1_PNSt15iterator_traitsISK_E10value_typeET2_T3_PNSL_ISQ_E10value_typeET4_jRbjT5_SW_jjP12ihipStream_tbEUlT_E_NS1_11comp_targetILNS1_3genE3ELNS1_11target_archE908ELNS1_3gpuE7ELNS1_3repE0EEENS1_30default_config_static_selectorELNS0_4arch9wavefront6targetE0EEEvSK_.has_dyn_sized_stack, 0
	.set _ZN7rocprim17ROCPRIM_400000_NS6detail17trampoline_kernelINS0_14default_configENS1_36segmented_radix_sort_config_selectorIhlEEZNS1_25segmented_radix_sort_implIS3_Lb0EPKhPhPKlPlN2at6native12_GLOBAL__N_18offset_tEEE10hipError_tPvRmT1_PNSt15iterator_traitsISK_E10value_typeET2_T3_PNSL_ISQ_E10value_typeET4_jRbjT5_SW_jjP12ihipStream_tbEUlT_E_NS1_11comp_targetILNS1_3genE3ELNS1_11target_archE908ELNS1_3gpuE7ELNS1_3repE0EEENS1_30default_config_static_selectorELNS0_4arch9wavefront6targetE0EEEvSK_.has_recursion, 0
	.set _ZN7rocprim17ROCPRIM_400000_NS6detail17trampoline_kernelINS0_14default_configENS1_36segmented_radix_sort_config_selectorIhlEEZNS1_25segmented_radix_sort_implIS3_Lb0EPKhPhPKlPlN2at6native12_GLOBAL__N_18offset_tEEE10hipError_tPvRmT1_PNSt15iterator_traitsISK_E10value_typeET2_T3_PNSL_ISQ_E10value_typeET4_jRbjT5_SW_jjP12ihipStream_tbEUlT_E_NS1_11comp_targetILNS1_3genE3ELNS1_11target_archE908ELNS1_3gpuE7ELNS1_3repE0EEENS1_30default_config_static_selectorELNS0_4arch9wavefront6targetE0EEEvSK_.has_indirect_call, 0
	.section	.AMDGPU.csdata,"",@progbits
; Kernel info:
; codeLenInByte = 0
; TotalNumSgprs: 0
; NumVgprs: 0
; ScratchSize: 0
; MemoryBound: 0
; FloatMode: 240
; IeeeMode: 1
; LDSByteSize: 0 bytes/workgroup (compile time only)
; SGPRBlocks: 0
; VGPRBlocks: 0
; NumSGPRsForWavesPerEU: 1
; NumVGPRsForWavesPerEU: 1
; Occupancy: 16
; WaveLimiterHint : 0
; COMPUTE_PGM_RSRC2:SCRATCH_EN: 0
; COMPUTE_PGM_RSRC2:USER_SGPR: 6
; COMPUTE_PGM_RSRC2:TRAP_HANDLER: 0
; COMPUTE_PGM_RSRC2:TGID_X_EN: 1
; COMPUTE_PGM_RSRC2:TGID_Y_EN: 0
; COMPUTE_PGM_RSRC2:TGID_Z_EN: 0
; COMPUTE_PGM_RSRC2:TIDIG_COMP_CNT: 0
	.section	.text._ZN7rocprim17ROCPRIM_400000_NS6detail17trampoline_kernelINS0_14default_configENS1_36segmented_radix_sort_config_selectorIhlEEZNS1_25segmented_radix_sort_implIS3_Lb0EPKhPhPKlPlN2at6native12_GLOBAL__N_18offset_tEEE10hipError_tPvRmT1_PNSt15iterator_traitsISK_E10value_typeET2_T3_PNSL_ISQ_E10value_typeET4_jRbjT5_SW_jjP12ihipStream_tbEUlT_E_NS1_11comp_targetILNS1_3genE2ELNS1_11target_archE906ELNS1_3gpuE6ELNS1_3repE0EEENS1_30default_config_static_selectorELNS0_4arch9wavefront6targetE0EEEvSK_,"axG",@progbits,_ZN7rocprim17ROCPRIM_400000_NS6detail17trampoline_kernelINS0_14default_configENS1_36segmented_radix_sort_config_selectorIhlEEZNS1_25segmented_radix_sort_implIS3_Lb0EPKhPhPKlPlN2at6native12_GLOBAL__N_18offset_tEEE10hipError_tPvRmT1_PNSt15iterator_traitsISK_E10value_typeET2_T3_PNSL_ISQ_E10value_typeET4_jRbjT5_SW_jjP12ihipStream_tbEUlT_E_NS1_11comp_targetILNS1_3genE2ELNS1_11target_archE906ELNS1_3gpuE6ELNS1_3repE0EEENS1_30default_config_static_selectorELNS0_4arch9wavefront6targetE0EEEvSK_,comdat
	.globl	_ZN7rocprim17ROCPRIM_400000_NS6detail17trampoline_kernelINS0_14default_configENS1_36segmented_radix_sort_config_selectorIhlEEZNS1_25segmented_radix_sort_implIS3_Lb0EPKhPhPKlPlN2at6native12_GLOBAL__N_18offset_tEEE10hipError_tPvRmT1_PNSt15iterator_traitsISK_E10value_typeET2_T3_PNSL_ISQ_E10value_typeET4_jRbjT5_SW_jjP12ihipStream_tbEUlT_E_NS1_11comp_targetILNS1_3genE2ELNS1_11target_archE906ELNS1_3gpuE6ELNS1_3repE0EEENS1_30default_config_static_selectorELNS0_4arch9wavefront6targetE0EEEvSK_ ; -- Begin function _ZN7rocprim17ROCPRIM_400000_NS6detail17trampoline_kernelINS0_14default_configENS1_36segmented_radix_sort_config_selectorIhlEEZNS1_25segmented_radix_sort_implIS3_Lb0EPKhPhPKlPlN2at6native12_GLOBAL__N_18offset_tEEE10hipError_tPvRmT1_PNSt15iterator_traitsISK_E10value_typeET2_T3_PNSL_ISQ_E10value_typeET4_jRbjT5_SW_jjP12ihipStream_tbEUlT_E_NS1_11comp_targetILNS1_3genE2ELNS1_11target_archE906ELNS1_3gpuE6ELNS1_3repE0EEENS1_30default_config_static_selectorELNS0_4arch9wavefront6targetE0EEEvSK_
	.p2align	8
	.type	_ZN7rocprim17ROCPRIM_400000_NS6detail17trampoline_kernelINS0_14default_configENS1_36segmented_radix_sort_config_selectorIhlEEZNS1_25segmented_radix_sort_implIS3_Lb0EPKhPhPKlPlN2at6native12_GLOBAL__N_18offset_tEEE10hipError_tPvRmT1_PNSt15iterator_traitsISK_E10value_typeET2_T3_PNSL_ISQ_E10value_typeET4_jRbjT5_SW_jjP12ihipStream_tbEUlT_E_NS1_11comp_targetILNS1_3genE2ELNS1_11target_archE906ELNS1_3gpuE6ELNS1_3repE0EEENS1_30default_config_static_selectorELNS0_4arch9wavefront6targetE0EEEvSK_,@function
_ZN7rocprim17ROCPRIM_400000_NS6detail17trampoline_kernelINS0_14default_configENS1_36segmented_radix_sort_config_selectorIhlEEZNS1_25segmented_radix_sort_implIS3_Lb0EPKhPhPKlPlN2at6native12_GLOBAL__N_18offset_tEEE10hipError_tPvRmT1_PNSt15iterator_traitsISK_E10value_typeET2_T3_PNSL_ISQ_E10value_typeET4_jRbjT5_SW_jjP12ihipStream_tbEUlT_E_NS1_11comp_targetILNS1_3genE2ELNS1_11target_archE906ELNS1_3gpuE6ELNS1_3repE0EEENS1_30default_config_static_selectorELNS0_4arch9wavefront6targetE0EEEvSK_: ; @_ZN7rocprim17ROCPRIM_400000_NS6detail17trampoline_kernelINS0_14default_configENS1_36segmented_radix_sort_config_selectorIhlEEZNS1_25segmented_radix_sort_implIS3_Lb0EPKhPhPKlPlN2at6native12_GLOBAL__N_18offset_tEEE10hipError_tPvRmT1_PNSt15iterator_traitsISK_E10value_typeET2_T3_PNSL_ISQ_E10value_typeET4_jRbjT5_SW_jjP12ihipStream_tbEUlT_E_NS1_11comp_targetILNS1_3genE2ELNS1_11target_archE906ELNS1_3gpuE6ELNS1_3repE0EEENS1_30default_config_static_selectorELNS0_4arch9wavefront6targetE0EEEvSK_
; %bb.0:
	.section	.rodata,"a",@progbits
	.p2align	6, 0x0
	.amdhsa_kernel _ZN7rocprim17ROCPRIM_400000_NS6detail17trampoline_kernelINS0_14default_configENS1_36segmented_radix_sort_config_selectorIhlEEZNS1_25segmented_radix_sort_implIS3_Lb0EPKhPhPKlPlN2at6native12_GLOBAL__N_18offset_tEEE10hipError_tPvRmT1_PNSt15iterator_traitsISK_E10value_typeET2_T3_PNSL_ISQ_E10value_typeET4_jRbjT5_SW_jjP12ihipStream_tbEUlT_E_NS1_11comp_targetILNS1_3genE2ELNS1_11target_archE906ELNS1_3gpuE6ELNS1_3repE0EEENS1_30default_config_static_selectorELNS0_4arch9wavefront6targetE0EEEvSK_
		.amdhsa_group_segment_fixed_size 0
		.amdhsa_private_segment_fixed_size 0
		.amdhsa_kernarg_size 96
		.amdhsa_user_sgpr_count 6
		.amdhsa_user_sgpr_private_segment_buffer 1
		.amdhsa_user_sgpr_dispatch_ptr 0
		.amdhsa_user_sgpr_queue_ptr 0
		.amdhsa_user_sgpr_kernarg_segment_ptr 1
		.amdhsa_user_sgpr_dispatch_id 0
		.amdhsa_user_sgpr_flat_scratch_init 0
		.amdhsa_user_sgpr_private_segment_size 0
		.amdhsa_wavefront_size32 1
		.amdhsa_uses_dynamic_stack 0
		.amdhsa_system_sgpr_private_segment_wavefront_offset 0
		.amdhsa_system_sgpr_workgroup_id_x 1
		.amdhsa_system_sgpr_workgroup_id_y 0
		.amdhsa_system_sgpr_workgroup_id_z 0
		.amdhsa_system_sgpr_workgroup_info 0
		.amdhsa_system_vgpr_workitem_id 0
		.amdhsa_next_free_vgpr 1
		.amdhsa_next_free_sgpr 1
		.amdhsa_reserve_vcc 0
		.amdhsa_reserve_flat_scratch 0
		.amdhsa_float_round_mode_32 0
		.amdhsa_float_round_mode_16_64 0
		.amdhsa_float_denorm_mode_32 3
		.amdhsa_float_denorm_mode_16_64 3
		.amdhsa_dx10_clamp 1
		.amdhsa_ieee_mode 1
		.amdhsa_fp16_overflow 0
		.amdhsa_workgroup_processor_mode 1
		.amdhsa_memory_ordered 1
		.amdhsa_forward_progress 1
		.amdhsa_shared_vgpr_count 0
		.amdhsa_exception_fp_ieee_invalid_op 0
		.amdhsa_exception_fp_denorm_src 0
		.amdhsa_exception_fp_ieee_div_zero 0
		.amdhsa_exception_fp_ieee_overflow 0
		.amdhsa_exception_fp_ieee_underflow 0
		.amdhsa_exception_fp_ieee_inexact 0
		.amdhsa_exception_int_div_zero 0
	.end_amdhsa_kernel
	.section	.text._ZN7rocprim17ROCPRIM_400000_NS6detail17trampoline_kernelINS0_14default_configENS1_36segmented_radix_sort_config_selectorIhlEEZNS1_25segmented_radix_sort_implIS3_Lb0EPKhPhPKlPlN2at6native12_GLOBAL__N_18offset_tEEE10hipError_tPvRmT1_PNSt15iterator_traitsISK_E10value_typeET2_T3_PNSL_ISQ_E10value_typeET4_jRbjT5_SW_jjP12ihipStream_tbEUlT_E_NS1_11comp_targetILNS1_3genE2ELNS1_11target_archE906ELNS1_3gpuE6ELNS1_3repE0EEENS1_30default_config_static_selectorELNS0_4arch9wavefront6targetE0EEEvSK_,"axG",@progbits,_ZN7rocprim17ROCPRIM_400000_NS6detail17trampoline_kernelINS0_14default_configENS1_36segmented_radix_sort_config_selectorIhlEEZNS1_25segmented_radix_sort_implIS3_Lb0EPKhPhPKlPlN2at6native12_GLOBAL__N_18offset_tEEE10hipError_tPvRmT1_PNSt15iterator_traitsISK_E10value_typeET2_T3_PNSL_ISQ_E10value_typeET4_jRbjT5_SW_jjP12ihipStream_tbEUlT_E_NS1_11comp_targetILNS1_3genE2ELNS1_11target_archE906ELNS1_3gpuE6ELNS1_3repE0EEENS1_30default_config_static_selectorELNS0_4arch9wavefront6targetE0EEEvSK_,comdat
.Lfunc_end189:
	.size	_ZN7rocprim17ROCPRIM_400000_NS6detail17trampoline_kernelINS0_14default_configENS1_36segmented_radix_sort_config_selectorIhlEEZNS1_25segmented_radix_sort_implIS3_Lb0EPKhPhPKlPlN2at6native12_GLOBAL__N_18offset_tEEE10hipError_tPvRmT1_PNSt15iterator_traitsISK_E10value_typeET2_T3_PNSL_ISQ_E10value_typeET4_jRbjT5_SW_jjP12ihipStream_tbEUlT_E_NS1_11comp_targetILNS1_3genE2ELNS1_11target_archE906ELNS1_3gpuE6ELNS1_3repE0EEENS1_30default_config_static_selectorELNS0_4arch9wavefront6targetE0EEEvSK_, .Lfunc_end189-_ZN7rocprim17ROCPRIM_400000_NS6detail17trampoline_kernelINS0_14default_configENS1_36segmented_radix_sort_config_selectorIhlEEZNS1_25segmented_radix_sort_implIS3_Lb0EPKhPhPKlPlN2at6native12_GLOBAL__N_18offset_tEEE10hipError_tPvRmT1_PNSt15iterator_traitsISK_E10value_typeET2_T3_PNSL_ISQ_E10value_typeET4_jRbjT5_SW_jjP12ihipStream_tbEUlT_E_NS1_11comp_targetILNS1_3genE2ELNS1_11target_archE906ELNS1_3gpuE6ELNS1_3repE0EEENS1_30default_config_static_selectorELNS0_4arch9wavefront6targetE0EEEvSK_
                                        ; -- End function
	.set _ZN7rocprim17ROCPRIM_400000_NS6detail17trampoline_kernelINS0_14default_configENS1_36segmented_radix_sort_config_selectorIhlEEZNS1_25segmented_radix_sort_implIS3_Lb0EPKhPhPKlPlN2at6native12_GLOBAL__N_18offset_tEEE10hipError_tPvRmT1_PNSt15iterator_traitsISK_E10value_typeET2_T3_PNSL_ISQ_E10value_typeET4_jRbjT5_SW_jjP12ihipStream_tbEUlT_E_NS1_11comp_targetILNS1_3genE2ELNS1_11target_archE906ELNS1_3gpuE6ELNS1_3repE0EEENS1_30default_config_static_selectorELNS0_4arch9wavefront6targetE0EEEvSK_.num_vgpr, 0
	.set _ZN7rocprim17ROCPRIM_400000_NS6detail17trampoline_kernelINS0_14default_configENS1_36segmented_radix_sort_config_selectorIhlEEZNS1_25segmented_radix_sort_implIS3_Lb0EPKhPhPKlPlN2at6native12_GLOBAL__N_18offset_tEEE10hipError_tPvRmT1_PNSt15iterator_traitsISK_E10value_typeET2_T3_PNSL_ISQ_E10value_typeET4_jRbjT5_SW_jjP12ihipStream_tbEUlT_E_NS1_11comp_targetILNS1_3genE2ELNS1_11target_archE906ELNS1_3gpuE6ELNS1_3repE0EEENS1_30default_config_static_selectorELNS0_4arch9wavefront6targetE0EEEvSK_.num_agpr, 0
	.set _ZN7rocprim17ROCPRIM_400000_NS6detail17trampoline_kernelINS0_14default_configENS1_36segmented_radix_sort_config_selectorIhlEEZNS1_25segmented_radix_sort_implIS3_Lb0EPKhPhPKlPlN2at6native12_GLOBAL__N_18offset_tEEE10hipError_tPvRmT1_PNSt15iterator_traitsISK_E10value_typeET2_T3_PNSL_ISQ_E10value_typeET4_jRbjT5_SW_jjP12ihipStream_tbEUlT_E_NS1_11comp_targetILNS1_3genE2ELNS1_11target_archE906ELNS1_3gpuE6ELNS1_3repE0EEENS1_30default_config_static_selectorELNS0_4arch9wavefront6targetE0EEEvSK_.numbered_sgpr, 0
	.set _ZN7rocprim17ROCPRIM_400000_NS6detail17trampoline_kernelINS0_14default_configENS1_36segmented_radix_sort_config_selectorIhlEEZNS1_25segmented_radix_sort_implIS3_Lb0EPKhPhPKlPlN2at6native12_GLOBAL__N_18offset_tEEE10hipError_tPvRmT1_PNSt15iterator_traitsISK_E10value_typeET2_T3_PNSL_ISQ_E10value_typeET4_jRbjT5_SW_jjP12ihipStream_tbEUlT_E_NS1_11comp_targetILNS1_3genE2ELNS1_11target_archE906ELNS1_3gpuE6ELNS1_3repE0EEENS1_30default_config_static_selectorELNS0_4arch9wavefront6targetE0EEEvSK_.num_named_barrier, 0
	.set _ZN7rocprim17ROCPRIM_400000_NS6detail17trampoline_kernelINS0_14default_configENS1_36segmented_radix_sort_config_selectorIhlEEZNS1_25segmented_radix_sort_implIS3_Lb0EPKhPhPKlPlN2at6native12_GLOBAL__N_18offset_tEEE10hipError_tPvRmT1_PNSt15iterator_traitsISK_E10value_typeET2_T3_PNSL_ISQ_E10value_typeET4_jRbjT5_SW_jjP12ihipStream_tbEUlT_E_NS1_11comp_targetILNS1_3genE2ELNS1_11target_archE906ELNS1_3gpuE6ELNS1_3repE0EEENS1_30default_config_static_selectorELNS0_4arch9wavefront6targetE0EEEvSK_.private_seg_size, 0
	.set _ZN7rocprim17ROCPRIM_400000_NS6detail17trampoline_kernelINS0_14default_configENS1_36segmented_radix_sort_config_selectorIhlEEZNS1_25segmented_radix_sort_implIS3_Lb0EPKhPhPKlPlN2at6native12_GLOBAL__N_18offset_tEEE10hipError_tPvRmT1_PNSt15iterator_traitsISK_E10value_typeET2_T3_PNSL_ISQ_E10value_typeET4_jRbjT5_SW_jjP12ihipStream_tbEUlT_E_NS1_11comp_targetILNS1_3genE2ELNS1_11target_archE906ELNS1_3gpuE6ELNS1_3repE0EEENS1_30default_config_static_selectorELNS0_4arch9wavefront6targetE0EEEvSK_.uses_vcc, 0
	.set _ZN7rocprim17ROCPRIM_400000_NS6detail17trampoline_kernelINS0_14default_configENS1_36segmented_radix_sort_config_selectorIhlEEZNS1_25segmented_radix_sort_implIS3_Lb0EPKhPhPKlPlN2at6native12_GLOBAL__N_18offset_tEEE10hipError_tPvRmT1_PNSt15iterator_traitsISK_E10value_typeET2_T3_PNSL_ISQ_E10value_typeET4_jRbjT5_SW_jjP12ihipStream_tbEUlT_E_NS1_11comp_targetILNS1_3genE2ELNS1_11target_archE906ELNS1_3gpuE6ELNS1_3repE0EEENS1_30default_config_static_selectorELNS0_4arch9wavefront6targetE0EEEvSK_.uses_flat_scratch, 0
	.set _ZN7rocprim17ROCPRIM_400000_NS6detail17trampoline_kernelINS0_14default_configENS1_36segmented_radix_sort_config_selectorIhlEEZNS1_25segmented_radix_sort_implIS3_Lb0EPKhPhPKlPlN2at6native12_GLOBAL__N_18offset_tEEE10hipError_tPvRmT1_PNSt15iterator_traitsISK_E10value_typeET2_T3_PNSL_ISQ_E10value_typeET4_jRbjT5_SW_jjP12ihipStream_tbEUlT_E_NS1_11comp_targetILNS1_3genE2ELNS1_11target_archE906ELNS1_3gpuE6ELNS1_3repE0EEENS1_30default_config_static_selectorELNS0_4arch9wavefront6targetE0EEEvSK_.has_dyn_sized_stack, 0
	.set _ZN7rocprim17ROCPRIM_400000_NS6detail17trampoline_kernelINS0_14default_configENS1_36segmented_radix_sort_config_selectorIhlEEZNS1_25segmented_radix_sort_implIS3_Lb0EPKhPhPKlPlN2at6native12_GLOBAL__N_18offset_tEEE10hipError_tPvRmT1_PNSt15iterator_traitsISK_E10value_typeET2_T3_PNSL_ISQ_E10value_typeET4_jRbjT5_SW_jjP12ihipStream_tbEUlT_E_NS1_11comp_targetILNS1_3genE2ELNS1_11target_archE906ELNS1_3gpuE6ELNS1_3repE0EEENS1_30default_config_static_selectorELNS0_4arch9wavefront6targetE0EEEvSK_.has_recursion, 0
	.set _ZN7rocprim17ROCPRIM_400000_NS6detail17trampoline_kernelINS0_14default_configENS1_36segmented_radix_sort_config_selectorIhlEEZNS1_25segmented_radix_sort_implIS3_Lb0EPKhPhPKlPlN2at6native12_GLOBAL__N_18offset_tEEE10hipError_tPvRmT1_PNSt15iterator_traitsISK_E10value_typeET2_T3_PNSL_ISQ_E10value_typeET4_jRbjT5_SW_jjP12ihipStream_tbEUlT_E_NS1_11comp_targetILNS1_3genE2ELNS1_11target_archE906ELNS1_3gpuE6ELNS1_3repE0EEENS1_30default_config_static_selectorELNS0_4arch9wavefront6targetE0EEEvSK_.has_indirect_call, 0
	.section	.AMDGPU.csdata,"",@progbits
; Kernel info:
; codeLenInByte = 0
; TotalNumSgprs: 0
; NumVgprs: 0
; ScratchSize: 0
; MemoryBound: 0
; FloatMode: 240
; IeeeMode: 1
; LDSByteSize: 0 bytes/workgroup (compile time only)
; SGPRBlocks: 0
; VGPRBlocks: 0
; NumSGPRsForWavesPerEU: 1
; NumVGPRsForWavesPerEU: 1
; Occupancy: 16
; WaveLimiterHint : 0
; COMPUTE_PGM_RSRC2:SCRATCH_EN: 0
; COMPUTE_PGM_RSRC2:USER_SGPR: 6
; COMPUTE_PGM_RSRC2:TRAP_HANDLER: 0
; COMPUTE_PGM_RSRC2:TGID_X_EN: 1
; COMPUTE_PGM_RSRC2:TGID_Y_EN: 0
; COMPUTE_PGM_RSRC2:TGID_Z_EN: 0
; COMPUTE_PGM_RSRC2:TIDIG_COMP_CNT: 0
	.section	.text._ZN7rocprim17ROCPRIM_400000_NS6detail17trampoline_kernelINS0_14default_configENS1_36segmented_radix_sort_config_selectorIhlEEZNS1_25segmented_radix_sort_implIS3_Lb0EPKhPhPKlPlN2at6native12_GLOBAL__N_18offset_tEEE10hipError_tPvRmT1_PNSt15iterator_traitsISK_E10value_typeET2_T3_PNSL_ISQ_E10value_typeET4_jRbjT5_SW_jjP12ihipStream_tbEUlT_E_NS1_11comp_targetILNS1_3genE10ELNS1_11target_archE1201ELNS1_3gpuE5ELNS1_3repE0EEENS1_30default_config_static_selectorELNS0_4arch9wavefront6targetE0EEEvSK_,"axG",@progbits,_ZN7rocprim17ROCPRIM_400000_NS6detail17trampoline_kernelINS0_14default_configENS1_36segmented_radix_sort_config_selectorIhlEEZNS1_25segmented_radix_sort_implIS3_Lb0EPKhPhPKlPlN2at6native12_GLOBAL__N_18offset_tEEE10hipError_tPvRmT1_PNSt15iterator_traitsISK_E10value_typeET2_T3_PNSL_ISQ_E10value_typeET4_jRbjT5_SW_jjP12ihipStream_tbEUlT_E_NS1_11comp_targetILNS1_3genE10ELNS1_11target_archE1201ELNS1_3gpuE5ELNS1_3repE0EEENS1_30default_config_static_selectorELNS0_4arch9wavefront6targetE0EEEvSK_,comdat
	.globl	_ZN7rocprim17ROCPRIM_400000_NS6detail17trampoline_kernelINS0_14default_configENS1_36segmented_radix_sort_config_selectorIhlEEZNS1_25segmented_radix_sort_implIS3_Lb0EPKhPhPKlPlN2at6native12_GLOBAL__N_18offset_tEEE10hipError_tPvRmT1_PNSt15iterator_traitsISK_E10value_typeET2_T3_PNSL_ISQ_E10value_typeET4_jRbjT5_SW_jjP12ihipStream_tbEUlT_E_NS1_11comp_targetILNS1_3genE10ELNS1_11target_archE1201ELNS1_3gpuE5ELNS1_3repE0EEENS1_30default_config_static_selectorELNS0_4arch9wavefront6targetE0EEEvSK_ ; -- Begin function _ZN7rocprim17ROCPRIM_400000_NS6detail17trampoline_kernelINS0_14default_configENS1_36segmented_radix_sort_config_selectorIhlEEZNS1_25segmented_radix_sort_implIS3_Lb0EPKhPhPKlPlN2at6native12_GLOBAL__N_18offset_tEEE10hipError_tPvRmT1_PNSt15iterator_traitsISK_E10value_typeET2_T3_PNSL_ISQ_E10value_typeET4_jRbjT5_SW_jjP12ihipStream_tbEUlT_E_NS1_11comp_targetILNS1_3genE10ELNS1_11target_archE1201ELNS1_3gpuE5ELNS1_3repE0EEENS1_30default_config_static_selectorELNS0_4arch9wavefront6targetE0EEEvSK_
	.p2align	8
	.type	_ZN7rocprim17ROCPRIM_400000_NS6detail17trampoline_kernelINS0_14default_configENS1_36segmented_radix_sort_config_selectorIhlEEZNS1_25segmented_radix_sort_implIS3_Lb0EPKhPhPKlPlN2at6native12_GLOBAL__N_18offset_tEEE10hipError_tPvRmT1_PNSt15iterator_traitsISK_E10value_typeET2_T3_PNSL_ISQ_E10value_typeET4_jRbjT5_SW_jjP12ihipStream_tbEUlT_E_NS1_11comp_targetILNS1_3genE10ELNS1_11target_archE1201ELNS1_3gpuE5ELNS1_3repE0EEENS1_30default_config_static_selectorELNS0_4arch9wavefront6targetE0EEEvSK_,@function
_ZN7rocprim17ROCPRIM_400000_NS6detail17trampoline_kernelINS0_14default_configENS1_36segmented_radix_sort_config_selectorIhlEEZNS1_25segmented_radix_sort_implIS3_Lb0EPKhPhPKlPlN2at6native12_GLOBAL__N_18offset_tEEE10hipError_tPvRmT1_PNSt15iterator_traitsISK_E10value_typeET2_T3_PNSL_ISQ_E10value_typeET4_jRbjT5_SW_jjP12ihipStream_tbEUlT_E_NS1_11comp_targetILNS1_3genE10ELNS1_11target_archE1201ELNS1_3gpuE5ELNS1_3repE0EEENS1_30default_config_static_selectorELNS0_4arch9wavefront6targetE0EEEvSK_: ; @_ZN7rocprim17ROCPRIM_400000_NS6detail17trampoline_kernelINS0_14default_configENS1_36segmented_radix_sort_config_selectorIhlEEZNS1_25segmented_radix_sort_implIS3_Lb0EPKhPhPKlPlN2at6native12_GLOBAL__N_18offset_tEEE10hipError_tPvRmT1_PNSt15iterator_traitsISK_E10value_typeET2_T3_PNSL_ISQ_E10value_typeET4_jRbjT5_SW_jjP12ihipStream_tbEUlT_E_NS1_11comp_targetILNS1_3genE10ELNS1_11target_archE1201ELNS1_3gpuE5ELNS1_3repE0EEENS1_30default_config_static_selectorELNS0_4arch9wavefront6targetE0EEEvSK_
; %bb.0:
	.section	.rodata,"a",@progbits
	.p2align	6, 0x0
	.amdhsa_kernel _ZN7rocprim17ROCPRIM_400000_NS6detail17trampoline_kernelINS0_14default_configENS1_36segmented_radix_sort_config_selectorIhlEEZNS1_25segmented_radix_sort_implIS3_Lb0EPKhPhPKlPlN2at6native12_GLOBAL__N_18offset_tEEE10hipError_tPvRmT1_PNSt15iterator_traitsISK_E10value_typeET2_T3_PNSL_ISQ_E10value_typeET4_jRbjT5_SW_jjP12ihipStream_tbEUlT_E_NS1_11comp_targetILNS1_3genE10ELNS1_11target_archE1201ELNS1_3gpuE5ELNS1_3repE0EEENS1_30default_config_static_selectorELNS0_4arch9wavefront6targetE0EEEvSK_
		.amdhsa_group_segment_fixed_size 0
		.amdhsa_private_segment_fixed_size 0
		.amdhsa_kernarg_size 96
		.amdhsa_user_sgpr_count 6
		.amdhsa_user_sgpr_private_segment_buffer 1
		.amdhsa_user_sgpr_dispatch_ptr 0
		.amdhsa_user_sgpr_queue_ptr 0
		.amdhsa_user_sgpr_kernarg_segment_ptr 1
		.amdhsa_user_sgpr_dispatch_id 0
		.amdhsa_user_sgpr_flat_scratch_init 0
		.amdhsa_user_sgpr_private_segment_size 0
		.amdhsa_wavefront_size32 1
		.amdhsa_uses_dynamic_stack 0
		.amdhsa_system_sgpr_private_segment_wavefront_offset 0
		.amdhsa_system_sgpr_workgroup_id_x 1
		.amdhsa_system_sgpr_workgroup_id_y 0
		.amdhsa_system_sgpr_workgroup_id_z 0
		.amdhsa_system_sgpr_workgroup_info 0
		.amdhsa_system_vgpr_workitem_id 0
		.amdhsa_next_free_vgpr 1
		.amdhsa_next_free_sgpr 1
		.amdhsa_reserve_vcc 0
		.amdhsa_reserve_flat_scratch 0
		.amdhsa_float_round_mode_32 0
		.amdhsa_float_round_mode_16_64 0
		.amdhsa_float_denorm_mode_32 3
		.amdhsa_float_denorm_mode_16_64 3
		.amdhsa_dx10_clamp 1
		.amdhsa_ieee_mode 1
		.amdhsa_fp16_overflow 0
		.amdhsa_workgroup_processor_mode 1
		.amdhsa_memory_ordered 1
		.amdhsa_forward_progress 1
		.amdhsa_shared_vgpr_count 0
		.amdhsa_exception_fp_ieee_invalid_op 0
		.amdhsa_exception_fp_denorm_src 0
		.amdhsa_exception_fp_ieee_div_zero 0
		.amdhsa_exception_fp_ieee_overflow 0
		.amdhsa_exception_fp_ieee_underflow 0
		.amdhsa_exception_fp_ieee_inexact 0
		.amdhsa_exception_int_div_zero 0
	.end_amdhsa_kernel
	.section	.text._ZN7rocprim17ROCPRIM_400000_NS6detail17trampoline_kernelINS0_14default_configENS1_36segmented_radix_sort_config_selectorIhlEEZNS1_25segmented_radix_sort_implIS3_Lb0EPKhPhPKlPlN2at6native12_GLOBAL__N_18offset_tEEE10hipError_tPvRmT1_PNSt15iterator_traitsISK_E10value_typeET2_T3_PNSL_ISQ_E10value_typeET4_jRbjT5_SW_jjP12ihipStream_tbEUlT_E_NS1_11comp_targetILNS1_3genE10ELNS1_11target_archE1201ELNS1_3gpuE5ELNS1_3repE0EEENS1_30default_config_static_selectorELNS0_4arch9wavefront6targetE0EEEvSK_,"axG",@progbits,_ZN7rocprim17ROCPRIM_400000_NS6detail17trampoline_kernelINS0_14default_configENS1_36segmented_radix_sort_config_selectorIhlEEZNS1_25segmented_radix_sort_implIS3_Lb0EPKhPhPKlPlN2at6native12_GLOBAL__N_18offset_tEEE10hipError_tPvRmT1_PNSt15iterator_traitsISK_E10value_typeET2_T3_PNSL_ISQ_E10value_typeET4_jRbjT5_SW_jjP12ihipStream_tbEUlT_E_NS1_11comp_targetILNS1_3genE10ELNS1_11target_archE1201ELNS1_3gpuE5ELNS1_3repE0EEENS1_30default_config_static_selectorELNS0_4arch9wavefront6targetE0EEEvSK_,comdat
.Lfunc_end190:
	.size	_ZN7rocprim17ROCPRIM_400000_NS6detail17trampoline_kernelINS0_14default_configENS1_36segmented_radix_sort_config_selectorIhlEEZNS1_25segmented_radix_sort_implIS3_Lb0EPKhPhPKlPlN2at6native12_GLOBAL__N_18offset_tEEE10hipError_tPvRmT1_PNSt15iterator_traitsISK_E10value_typeET2_T3_PNSL_ISQ_E10value_typeET4_jRbjT5_SW_jjP12ihipStream_tbEUlT_E_NS1_11comp_targetILNS1_3genE10ELNS1_11target_archE1201ELNS1_3gpuE5ELNS1_3repE0EEENS1_30default_config_static_selectorELNS0_4arch9wavefront6targetE0EEEvSK_, .Lfunc_end190-_ZN7rocprim17ROCPRIM_400000_NS6detail17trampoline_kernelINS0_14default_configENS1_36segmented_radix_sort_config_selectorIhlEEZNS1_25segmented_radix_sort_implIS3_Lb0EPKhPhPKlPlN2at6native12_GLOBAL__N_18offset_tEEE10hipError_tPvRmT1_PNSt15iterator_traitsISK_E10value_typeET2_T3_PNSL_ISQ_E10value_typeET4_jRbjT5_SW_jjP12ihipStream_tbEUlT_E_NS1_11comp_targetILNS1_3genE10ELNS1_11target_archE1201ELNS1_3gpuE5ELNS1_3repE0EEENS1_30default_config_static_selectorELNS0_4arch9wavefront6targetE0EEEvSK_
                                        ; -- End function
	.set _ZN7rocprim17ROCPRIM_400000_NS6detail17trampoline_kernelINS0_14default_configENS1_36segmented_radix_sort_config_selectorIhlEEZNS1_25segmented_radix_sort_implIS3_Lb0EPKhPhPKlPlN2at6native12_GLOBAL__N_18offset_tEEE10hipError_tPvRmT1_PNSt15iterator_traitsISK_E10value_typeET2_T3_PNSL_ISQ_E10value_typeET4_jRbjT5_SW_jjP12ihipStream_tbEUlT_E_NS1_11comp_targetILNS1_3genE10ELNS1_11target_archE1201ELNS1_3gpuE5ELNS1_3repE0EEENS1_30default_config_static_selectorELNS0_4arch9wavefront6targetE0EEEvSK_.num_vgpr, 0
	.set _ZN7rocprim17ROCPRIM_400000_NS6detail17trampoline_kernelINS0_14default_configENS1_36segmented_radix_sort_config_selectorIhlEEZNS1_25segmented_radix_sort_implIS3_Lb0EPKhPhPKlPlN2at6native12_GLOBAL__N_18offset_tEEE10hipError_tPvRmT1_PNSt15iterator_traitsISK_E10value_typeET2_T3_PNSL_ISQ_E10value_typeET4_jRbjT5_SW_jjP12ihipStream_tbEUlT_E_NS1_11comp_targetILNS1_3genE10ELNS1_11target_archE1201ELNS1_3gpuE5ELNS1_3repE0EEENS1_30default_config_static_selectorELNS0_4arch9wavefront6targetE0EEEvSK_.num_agpr, 0
	.set _ZN7rocprim17ROCPRIM_400000_NS6detail17trampoline_kernelINS0_14default_configENS1_36segmented_radix_sort_config_selectorIhlEEZNS1_25segmented_radix_sort_implIS3_Lb0EPKhPhPKlPlN2at6native12_GLOBAL__N_18offset_tEEE10hipError_tPvRmT1_PNSt15iterator_traitsISK_E10value_typeET2_T3_PNSL_ISQ_E10value_typeET4_jRbjT5_SW_jjP12ihipStream_tbEUlT_E_NS1_11comp_targetILNS1_3genE10ELNS1_11target_archE1201ELNS1_3gpuE5ELNS1_3repE0EEENS1_30default_config_static_selectorELNS0_4arch9wavefront6targetE0EEEvSK_.numbered_sgpr, 0
	.set _ZN7rocprim17ROCPRIM_400000_NS6detail17trampoline_kernelINS0_14default_configENS1_36segmented_radix_sort_config_selectorIhlEEZNS1_25segmented_radix_sort_implIS3_Lb0EPKhPhPKlPlN2at6native12_GLOBAL__N_18offset_tEEE10hipError_tPvRmT1_PNSt15iterator_traitsISK_E10value_typeET2_T3_PNSL_ISQ_E10value_typeET4_jRbjT5_SW_jjP12ihipStream_tbEUlT_E_NS1_11comp_targetILNS1_3genE10ELNS1_11target_archE1201ELNS1_3gpuE5ELNS1_3repE0EEENS1_30default_config_static_selectorELNS0_4arch9wavefront6targetE0EEEvSK_.num_named_barrier, 0
	.set _ZN7rocprim17ROCPRIM_400000_NS6detail17trampoline_kernelINS0_14default_configENS1_36segmented_radix_sort_config_selectorIhlEEZNS1_25segmented_radix_sort_implIS3_Lb0EPKhPhPKlPlN2at6native12_GLOBAL__N_18offset_tEEE10hipError_tPvRmT1_PNSt15iterator_traitsISK_E10value_typeET2_T3_PNSL_ISQ_E10value_typeET4_jRbjT5_SW_jjP12ihipStream_tbEUlT_E_NS1_11comp_targetILNS1_3genE10ELNS1_11target_archE1201ELNS1_3gpuE5ELNS1_3repE0EEENS1_30default_config_static_selectorELNS0_4arch9wavefront6targetE0EEEvSK_.private_seg_size, 0
	.set _ZN7rocprim17ROCPRIM_400000_NS6detail17trampoline_kernelINS0_14default_configENS1_36segmented_radix_sort_config_selectorIhlEEZNS1_25segmented_radix_sort_implIS3_Lb0EPKhPhPKlPlN2at6native12_GLOBAL__N_18offset_tEEE10hipError_tPvRmT1_PNSt15iterator_traitsISK_E10value_typeET2_T3_PNSL_ISQ_E10value_typeET4_jRbjT5_SW_jjP12ihipStream_tbEUlT_E_NS1_11comp_targetILNS1_3genE10ELNS1_11target_archE1201ELNS1_3gpuE5ELNS1_3repE0EEENS1_30default_config_static_selectorELNS0_4arch9wavefront6targetE0EEEvSK_.uses_vcc, 0
	.set _ZN7rocprim17ROCPRIM_400000_NS6detail17trampoline_kernelINS0_14default_configENS1_36segmented_radix_sort_config_selectorIhlEEZNS1_25segmented_radix_sort_implIS3_Lb0EPKhPhPKlPlN2at6native12_GLOBAL__N_18offset_tEEE10hipError_tPvRmT1_PNSt15iterator_traitsISK_E10value_typeET2_T3_PNSL_ISQ_E10value_typeET4_jRbjT5_SW_jjP12ihipStream_tbEUlT_E_NS1_11comp_targetILNS1_3genE10ELNS1_11target_archE1201ELNS1_3gpuE5ELNS1_3repE0EEENS1_30default_config_static_selectorELNS0_4arch9wavefront6targetE0EEEvSK_.uses_flat_scratch, 0
	.set _ZN7rocprim17ROCPRIM_400000_NS6detail17trampoline_kernelINS0_14default_configENS1_36segmented_radix_sort_config_selectorIhlEEZNS1_25segmented_radix_sort_implIS3_Lb0EPKhPhPKlPlN2at6native12_GLOBAL__N_18offset_tEEE10hipError_tPvRmT1_PNSt15iterator_traitsISK_E10value_typeET2_T3_PNSL_ISQ_E10value_typeET4_jRbjT5_SW_jjP12ihipStream_tbEUlT_E_NS1_11comp_targetILNS1_3genE10ELNS1_11target_archE1201ELNS1_3gpuE5ELNS1_3repE0EEENS1_30default_config_static_selectorELNS0_4arch9wavefront6targetE0EEEvSK_.has_dyn_sized_stack, 0
	.set _ZN7rocprim17ROCPRIM_400000_NS6detail17trampoline_kernelINS0_14default_configENS1_36segmented_radix_sort_config_selectorIhlEEZNS1_25segmented_radix_sort_implIS3_Lb0EPKhPhPKlPlN2at6native12_GLOBAL__N_18offset_tEEE10hipError_tPvRmT1_PNSt15iterator_traitsISK_E10value_typeET2_T3_PNSL_ISQ_E10value_typeET4_jRbjT5_SW_jjP12ihipStream_tbEUlT_E_NS1_11comp_targetILNS1_3genE10ELNS1_11target_archE1201ELNS1_3gpuE5ELNS1_3repE0EEENS1_30default_config_static_selectorELNS0_4arch9wavefront6targetE0EEEvSK_.has_recursion, 0
	.set _ZN7rocprim17ROCPRIM_400000_NS6detail17trampoline_kernelINS0_14default_configENS1_36segmented_radix_sort_config_selectorIhlEEZNS1_25segmented_radix_sort_implIS3_Lb0EPKhPhPKlPlN2at6native12_GLOBAL__N_18offset_tEEE10hipError_tPvRmT1_PNSt15iterator_traitsISK_E10value_typeET2_T3_PNSL_ISQ_E10value_typeET4_jRbjT5_SW_jjP12ihipStream_tbEUlT_E_NS1_11comp_targetILNS1_3genE10ELNS1_11target_archE1201ELNS1_3gpuE5ELNS1_3repE0EEENS1_30default_config_static_selectorELNS0_4arch9wavefront6targetE0EEEvSK_.has_indirect_call, 0
	.section	.AMDGPU.csdata,"",@progbits
; Kernel info:
; codeLenInByte = 0
; TotalNumSgprs: 0
; NumVgprs: 0
; ScratchSize: 0
; MemoryBound: 0
; FloatMode: 240
; IeeeMode: 1
; LDSByteSize: 0 bytes/workgroup (compile time only)
; SGPRBlocks: 0
; VGPRBlocks: 0
; NumSGPRsForWavesPerEU: 1
; NumVGPRsForWavesPerEU: 1
; Occupancy: 16
; WaveLimiterHint : 0
; COMPUTE_PGM_RSRC2:SCRATCH_EN: 0
; COMPUTE_PGM_RSRC2:USER_SGPR: 6
; COMPUTE_PGM_RSRC2:TRAP_HANDLER: 0
; COMPUTE_PGM_RSRC2:TGID_X_EN: 1
; COMPUTE_PGM_RSRC2:TGID_Y_EN: 0
; COMPUTE_PGM_RSRC2:TGID_Z_EN: 0
; COMPUTE_PGM_RSRC2:TIDIG_COMP_CNT: 0
	.section	.text._ZN7rocprim17ROCPRIM_400000_NS6detail17trampoline_kernelINS0_14default_configENS1_36segmented_radix_sort_config_selectorIhlEEZNS1_25segmented_radix_sort_implIS3_Lb0EPKhPhPKlPlN2at6native12_GLOBAL__N_18offset_tEEE10hipError_tPvRmT1_PNSt15iterator_traitsISK_E10value_typeET2_T3_PNSL_ISQ_E10value_typeET4_jRbjT5_SW_jjP12ihipStream_tbEUlT_E_NS1_11comp_targetILNS1_3genE10ELNS1_11target_archE1200ELNS1_3gpuE4ELNS1_3repE0EEENS1_30default_config_static_selectorELNS0_4arch9wavefront6targetE0EEEvSK_,"axG",@progbits,_ZN7rocprim17ROCPRIM_400000_NS6detail17trampoline_kernelINS0_14default_configENS1_36segmented_radix_sort_config_selectorIhlEEZNS1_25segmented_radix_sort_implIS3_Lb0EPKhPhPKlPlN2at6native12_GLOBAL__N_18offset_tEEE10hipError_tPvRmT1_PNSt15iterator_traitsISK_E10value_typeET2_T3_PNSL_ISQ_E10value_typeET4_jRbjT5_SW_jjP12ihipStream_tbEUlT_E_NS1_11comp_targetILNS1_3genE10ELNS1_11target_archE1200ELNS1_3gpuE4ELNS1_3repE0EEENS1_30default_config_static_selectorELNS0_4arch9wavefront6targetE0EEEvSK_,comdat
	.globl	_ZN7rocprim17ROCPRIM_400000_NS6detail17trampoline_kernelINS0_14default_configENS1_36segmented_radix_sort_config_selectorIhlEEZNS1_25segmented_radix_sort_implIS3_Lb0EPKhPhPKlPlN2at6native12_GLOBAL__N_18offset_tEEE10hipError_tPvRmT1_PNSt15iterator_traitsISK_E10value_typeET2_T3_PNSL_ISQ_E10value_typeET4_jRbjT5_SW_jjP12ihipStream_tbEUlT_E_NS1_11comp_targetILNS1_3genE10ELNS1_11target_archE1200ELNS1_3gpuE4ELNS1_3repE0EEENS1_30default_config_static_selectorELNS0_4arch9wavefront6targetE0EEEvSK_ ; -- Begin function _ZN7rocprim17ROCPRIM_400000_NS6detail17trampoline_kernelINS0_14default_configENS1_36segmented_radix_sort_config_selectorIhlEEZNS1_25segmented_radix_sort_implIS3_Lb0EPKhPhPKlPlN2at6native12_GLOBAL__N_18offset_tEEE10hipError_tPvRmT1_PNSt15iterator_traitsISK_E10value_typeET2_T3_PNSL_ISQ_E10value_typeET4_jRbjT5_SW_jjP12ihipStream_tbEUlT_E_NS1_11comp_targetILNS1_3genE10ELNS1_11target_archE1200ELNS1_3gpuE4ELNS1_3repE0EEENS1_30default_config_static_selectorELNS0_4arch9wavefront6targetE0EEEvSK_
	.p2align	8
	.type	_ZN7rocprim17ROCPRIM_400000_NS6detail17trampoline_kernelINS0_14default_configENS1_36segmented_radix_sort_config_selectorIhlEEZNS1_25segmented_radix_sort_implIS3_Lb0EPKhPhPKlPlN2at6native12_GLOBAL__N_18offset_tEEE10hipError_tPvRmT1_PNSt15iterator_traitsISK_E10value_typeET2_T3_PNSL_ISQ_E10value_typeET4_jRbjT5_SW_jjP12ihipStream_tbEUlT_E_NS1_11comp_targetILNS1_3genE10ELNS1_11target_archE1200ELNS1_3gpuE4ELNS1_3repE0EEENS1_30default_config_static_selectorELNS0_4arch9wavefront6targetE0EEEvSK_,@function
_ZN7rocprim17ROCPRIM_400000_NS6detail17trampoline_kernelINS0_14default_configENS1_36segmented_radix_sort_config_selectorIhlEEZNS1_25segmented_radix_sort_implIS3_Lb0EPKhPhPKlPlN2at6native12_GLOBAL__N_18offset_tEEE10hipError_tPvRmT1_PNSt15iterator_traitsISK_E10value_typeET2_T3_PNSL_ISQ_E10value_typeET4_jRbjT5_SW_jjP12ihipStream_tbEUlT_E_NS1_11comp_targetILNS1_3genE10ELNS1_11target_archE1200ELNS1_3gpuE4ELNS1_3repE0EEENS1_30default_config_static_selectorELNS0_4arch9wavefront6targetE0EEEvSK_: ; @_ZN7rocprim17ROCPRIM_400000_NS6detail17trampoline_kernelINS0_14default_configENS1_36segmented_radix_sort_config_selectorIhlEEZNS1_25segmented_radix_sort_implIS3_Lb0EPKhPhPKlPlN2at6native12_GLOBAL__N_18offset_tEEE10hipError_tPvRmT1_PNSt15iterator_traitsISK_E10value_typeET2_T3_PNSL_ISQ_E10value_typeET4_jRbjT5_SW_jjP12ihipStream_tbEUlT_E_NS1_11comp_targetILNS1_3genE10ELNS1_11target_archE1200ELNS1_3gpuE4ELNS1_3repE0EEENS1_30default_config_static_selectorELNS0_4arch9wavefront6targetE0EEEvSK_
; %bb.0:
	.section	.rodata,"a",@progbits
	.p2align	6, 0x0
	.amdhsa_kernel _ZN7rocprim17ROCPRIM_400000_NS6detail17trampoline_kernelINS0_14default_configENS1_36segmented_radix_sort_config_selectorIhlEEZNS1_25segmented_radix_sort_implIS3_Lb0EPKhPhPKlPlN2at6native12_GLOBAL__N_18offset_tEEE10hipError_tPvRmT1_PNSt15iterator_traitsISK_E10value_typeET2_T3_PNSL_ISQ_E10value_typeET4_jRbjT5_SW_jjP12ihipStream_tbEUlT_E_NS1_11comp_targetILNS1_3genE10ELNS1_11target_archE1200ELNS1_3gpuE4ELNS1_3repE0EEENS1_30default_config_static_selectorELNS0_4arch9wavefront6targetE0EEEvSK_
		.amdhsa_group_segment_fixed_size 0
		.amdhsa_private_segment_fixed_size 0
		.amdhsa_kernarg_size 96
		.amdhsa_user_sgpr_count 6
		.amdhsa_user_sgpr_private_segment_buffer 1
		.amdhsa_user_sgpr_dispatch_ptr 0
		.amdhsa_user_sgpr_queue_ptr 0
		.amdhsa_user_sgpr_kernarg_segment_ptr 1
		.amdhsa_user_sgpr_dispatch_id 0
		.amdhsa_user_sgpr_flat_scratch_init 0
		.amdhsa_user_sgpr_private_segment_size 0
		.amdhsa_wavefront_size32 1
		.amdhsa_uses_dynamic_stack 0
		.amdhsa_system_sgpr_private_segment_wavefront_offset 0
		.amdhsa_system_sgpr_workgroup_id_x 1
		.amdhsa_system_sgpr_workgroup_id_y 0
		.amdhsa_system_sgpr_workgroup_id_z 0
		.amdhsa_system_sgpr_workgroup_info 0
		.amdhsa_system_vgpr_workitem_id 0
		.amdhsa_next_free_vgpr 1
		.amdhsa_next_free_sgpr 1
		.amdhsa_reserve_vcc 0
		.amdhsa_reserve_flat_scratch 0
		.amdhsa_float_round_mode_32 0
		.amdhsa_float_round_mode_16_64 0
		.amdhsa_float_denorm_mode_32 3
		.amdhsa_float_denorm_mode_16_64 3
		.amdhsa_dx10_clamp 1
		.amdhsa_ieee_mode 1
		.amdhsa_fp16_overflow 0
		.amdhsa_workgroup_processor_mode 1
		.amdhsa_memory_ordered 1
		.amdhsa_forward_progress 1
		.amdhsa_shared_vgpr_count 0
		.amdhsa_exception_fp_ieee_invalid_op 0
		.amdhsa_exception_fp_denorm_src 0
		.amdhsa_exception_fp_ieee_div_zero 0
		.amdhsa_exception_fp_ieee_overflow 0
		.amdhsa_exception_fp_ieee_underflow 0
		.amdhsa_exception_fp_ieee_inexact 0
		.amdhsa_exception_int_div_zero 0
	.end_amdhsa_kernel
	.section	.text._ZN7rocprim17ROCPRIM_400000_NS6detail17trampoline_kernelINS0_14default_configENS1_36segmented_radix_sort_config_selectorIhlEEZNS1_25segmented_radix_sort_implIS3_Lb0EPKhPhPKlPlN2at6native12_GLOBAL__N_18offset_tEEE10hipError_tPvRmT1_PNSt15iterator_traitsISK_E10value_typeET2_T3_PNSL_ISQ_E10value_typeET4_jRbjT5_SW_jjP12ihipStream_tbEUlT_E_NS1_11comp_targetILNS1_3genE10ELNS1_11target_archE1200ELNS1_3gpuE4ELNS1_3repE0EEENS1_30default_config_static_selectorELNS0_4arch9wavefront6targetE0EEEvSK_,"axG",@progbits,_ZN7rocprim17ROCPRIM_400000_NS6detail17trampoline_kernelINS0_14default_configENS1_36segmented_radix_sort_config_selectorIhlEEZNS1_25segmented_radix_sort_implIS3_Lb0EPKhPhPKlPlN2at6native12_GLOBAL__N_18offset_tEEE10hipError_tPvRmT1_PNSt15iterator_traitsISK_E10value_typeET2_T3_PNSL_ISQ_E10value_typeET4_jRbjT5_SW_jjP12ihipStream_tbEUlT_E_NS1_11comp_targetILNS1_3genE10ELNS1_11target_archE1200ELNS1_3gpuE4ELNS1_3repE0EEENS1_30default_config_static_selectorELNS0_4arch9wavefront6targetE0EEEvSK_,comdat
.Lfunc_end191:
	.size	_ZN7rocprim17ROCPRIM_400000_NS6detail17trampoline_kernelINS0_14default_configENS1_36segmented_radix_sort_config_selectorIhlEEZNS1_25segmented_radix_sort_implIS3_Lb0EPKhPhPKlPlN2at6native12_GLOBAL__N_18offset_tEEE10hipError_tPvRmT1_PNSt15iterator_traitsISK_E10value_typeET2_T3_PNSL_ISQ_E10value_typeET4_jRbjT5_SW_jjP12ihipStream_tbEUlT_E_NS1_11comp_targetILNS1_3genE10ELNS1_11target_archE1200ELNS1_3gpuE4ELNS1_3repE0EEENS1_30default_config_static_selectorELNS0_4arch9wavefront6targetE0EEEvSK_, .Lfunc_end191-_ZN7rocprim17ROCPRIM_400000_NS6detail17trampoline_kernelINS0_14default_configENS1_36segmented_radix_sort_config_selectorIhlEEZNS1_25segmented_radix_sort_implIS3_Lb0EPKhPhPKlPlN2at6native12_GLOBAL__N_18offset_tEEE10hipError_tPvRmT1_PNSt15iterator_traitsISK_E10value_typeET2_T3_PNSL_ISQ_E10value_typeET4_jRbjT5_SW_jjP12ihipStream_tbEUlT_E_NS1_11comp_targetILNS1_3genE10ELNS1_11target_archE1200ELNS1_3gpuE4ELNS1_3repE0EEENS1_30default_config_static_selectorELNS0_4arch9wavefront6targetE0EEEvSK_
                                        ; -- End function
	.set _ZN7rocprim17ROCPRIM_400000_NS6detail17trampoline_kernelINS0_14default_configENS1_36segmented_radix_sort_config_selectorIhlEEZNS1_25segmented_radix_sort_implIS3_Lb0EPKhPhPKlPlN2at6native12_GLOBAL__N_18offset_tEEE10hipError_tPvRmT1_PNSt15iterator_traitsISK_E10value_typeET2_T3_PNSL_ISQ_E10value_typeET4_jRbjT5_SW_jjP12ihipStream_tbEUlT_E_NS1_11comp_targetILNS1_3genE10ELNS1_11target_archE1200ELNS1_3gpuE4ELNS1_3repE0EEENS1_30default_config_static_selectorELNS0_4arch9wavefront6targetE0EEEvSK_.num_vgpr, 0
	.set _ZN7rocprim17ROCPRIM_400000_NS6detail17trampoline_kernelINS0_14default_configENS1_36segmented_radix_sort_config_selectorIhlEEZNS1_25segmented_radix_sort_implIS3_Lb0EPKhPhPKlPlN2at6native12_GLOBAL__N_18offset_tEEE10hipError_tPvRmT1_PNSt15iterator_traitsISK_E10value_typeET2_T3_PNSL_ISQ_E10value_typeET4_jRbjT5_SW_jjP12ihipStream_tbEUlT_E_NS1_11comp_targetILNS1_3genE10ELNS1_11target_archE1200ELNS1_3gpuE4ELNS1_3repE0EEENS1_30default_config_static_selectorELNS0_4arch9wavefront6targetE0EEEvSK_.num_agpr, 0
	.set _ZN7rocprim17ROCPRIM_400000_NS6detail17trampoline_kernelINS0_14default_configENS1_36segmented_radix_sort_config_selectorIhlEEZNS1_25segmented_radix_sort_implIS3_Lb0EPKhPhPKlPlN2at6native12_GLOBAL__N_18offset_tEEE10hipError_tPvRmT1_PNSt15iterator_traitsISK_E10value_typeET2_T3_PNSL_ISQ_E10value_typeET4_jRbjT5_SW_jjP12ihipStream_tbEUlT_E_NS1_11comp_targetILNS1_3genE10ELNS1_11target_archE1200ELNS1_3gpuE4ELNS1_3repE0EEENS1_30default_config_static_selectorELNS0_4arch9wavefront6targetE0EEEvSK_.numbered_sgpr, 0
	.set _ZN7rocprim17ROCPRIM_400000_NS6detail17trampoline_kernelINS0_14default_configENS1_36segmented_radix_sort_config_selectorIhlEEZNS1_25segmented_radix_sort_implIS3_Lb0EPKhPhPKlPlN2at6native12_GLOBAL__N_18offset_tEEE10hipError_tPvRmT1_PNSt15iterator_traitsISK_E10value_typeET2_T3_PNSL_ISQ_E10value_typeET4_jRbjT5_SW_jjP12ihipStream_tbEUlT_E_NS1_11comp_targetILNS1_3genE10ELNS1_11target_archE1200ELNS1_3gpuE4ELNS1_3repE0EEENS1_30default_config_static_selectorELNS0_4arch9wavefront6targetE0EEEvSK_.num_named_barrier, 0
	.set _ZN7rocprim17ROCPRIM_400000_NS6detail17trampoline_kernelINS0_14default_configENS1_36segmented_radix_sort_config_selectorIhlEEZNS1_25segmented_radix_sort_implIS3_Lb0EPKhPhPKlPlN2at6native12_GLOBAL__N_18offset_tEEE10hipError_tPvRmT1_PNSt15iterator_traitsISK_E10value_typeET2_T3_PNSL_ISQ_E10value_typeET4_jRbjT5_SW_jjP12ihipStream_tbEUlT_E_NS1_11comp_targetILNS1_3genE10ELNS1_11target_archE1200ELNS1_3gpuE4ELNS1_3repE0EEENS1_30default_config_static_selectorELNS0_4arch9wavefront6targetE0EEEvSK_.private_seg_size, 0
	.set _ZN7rocprim17ROCPRIM_400000_NS6detail17trampoline_kernelINS0_14default_configENS1_36segmented_radix_sort_config_selectorIhlEEZNS1_25segmented_radix_sort_implIS3_Lb0EPKhPhPKlPlN2at6native12_GLOBAL__N_18offset_tEEE10hipError_tPvRmT1_PNSt15iterator_traitsISK_E10value_typeET2_T3_PNSL_ISQ_E10value_typeET4_jRbjT5_SW_jjP12ihipStream_tbEUlT_E_NS1_11comp_targetILNS1_3genE10ELNS1_11target_archE1200ELNS1_3gpuE4ELNS1_3repE0EEENS1_30default_config_static_selectorELNS0_4arch9wavefront6targetE0EEEvSK_.uses_vcc, 0
	.set _ZN7rocprim17ROCPRIM_400000_NS6detail17trampoline_kernelINS0_14default_configENS1_36segmented_radix_sort_config_selectorIhlEEZNS1_25segmented_radix_sort_implIS3_Lb0EPKhPhPKlPlN2at6native12_GLOBAL__N_18offset_tEEE10hipError_tPvRmT1_PNSt15iterator_traitsISK_E10value_typeET2_T3_PNSL_ISQ_E10value_typeET4_jRbjT5_SW_jjP12ihipStream_tbEUlT_E_NS1_11comp_targetILNS1_3genE10ELNS1_11target_archE1200ELNS1_3gpuE4ELNS1_3repE0EEENS1_30default_config_static_selectorELNS0_4arch9wavefront6targetE0EEEvSK_.uses_flat_scratch, 0
	.set _ZN7rocprim17ROCPRIM_400000_NS6detail17trampoline_kernelINS0_14default_configENS1_36segmented_radix_sort_config_selectorIhlEEZNS1_25segmented_radix_sort_implIS3_Lb0EPKhPhPKlPlN2at6native12_GLOBAL__N_18offset_tEEE10hipError_tPvRmT1_PNSt15iterator_traitsISK_E10value_typeET2_T3_PNSL_ISQ_E10value_typeET4_jRbjT5_SW_jjP12ihipStream_tbEUlT_E_NS1_11comp_targetILNS1_3genE10ELNS1_11target_archE1200ELNS1_3gpuE4ELNS1_3repE0EEENS1_30default_config_static_selectorELNS0_4arch9wavefront6targetE0EEEvSK_.has_dyn_sized_stack, 0
	.set _ZN7rocprim17ROCPRIM_400000_NS6detail17trampoline_kernelINS0_14default_configENS1_36segmented_radix_sort_config_selectorIhlEEZNS1_25segmented_radix_sort_implIS3_Lb0EPKhPhPKlPlN2at6native12_GLOBAL__N_18offset_tEEE10hipError_tPvRmT1_PNSt15iterator_traitsISK_E10value_typeET2_T3_PNSL_ISQ_E10value_typeET4_jRbjT5_SW_jjP12ihipStream_tbEUlT_E_NS1_11comp_targetILNS1_3genE10ELNS1_11target_archE1200ELNS1_3gpuE4ELNS1_3repE0EEENS1_30default_config_static_selectorELNS0_4arch9wavefront6targetE0EEEvSK_.has_recursion, 0
	.set _ZN7rocprim17ROCPRIM_400000_NS6detail17trampoline_kernelINS0_14default_configENS1_36segmented_radix_sort_config_selectorIhlEEZNS1_25segmented_radix_sort_implIS3_Lb0EPKhPhPKlPlN2at6native12_GLOBAL__N_18offset_tEEE10hipError_tPvRmT1_PNSt15iterator_traitsISK_E10value_typeET2_T3_PNSL_ISQ_E10value_typeET4_jRbjT5_SW_jjP12ihipStream_tbEUlT_E_NS1_11comp_targetILNS1_3genE10ELNS1_11target_archE1200ELNS1_3gpuE4ELNS1_3repE0EEENS1_30default_config_static_selectorELNS0_4arch9wavefront6targetE0EEEvSK_.has_indirect_call, 0
	.section	.AMDGPU.csdata,"",@progbits
; Kernel info:
; codeLenInByte = 0
; TotalNumSgprs: 0
; NumVgprs: 0
; ScratchSize: 0
; MemoryBound: 0
; FloatMode: 240
; IeeeMode: 1
; LDSByteSize: 0 bytes/workgroup (compile time only)
; SGPRBlocks: 0
; VGPRBlocks: 0
; NumSGPRsForWavesPerEU: 1
; NumVGPRsForWavesPerEU: 1
; Occupancy: 16
; WaveLimiterHint : 0
; COMPUTE_PGM_RSRC2:SCRATCH_EN: 0
; COMPUTE_PGM_RSRC2:USER_SGPR: 6
; COMPUTE_PGM_RSRC2:TRAP_HANDLER: 0
; COMPUTE_PGM_RSRC2:TGID_X_EN: 1
; COMPUTE_PGM_RSRC2:TGID_Y_EN: 0
; COMPUTE_PGM_RSRC2:TGID_Z_EN: 0
; COMPUTE_PGM_RSRC2:TIDIG_COMP_CNT: 0
	.section	.text._ZN7rocprim17ROCPRIM_400000_NS6detail17trampoline_kernelINS0_14default_configENS1_36segmented_radix_sort_config_selectorIhlEEZNS1_25segmented_radix_sort_implIS3_Lb0EPKhPhPKlPlN2at6native12_GLOBAL__N_18offset_tEEE10hipError_tPvRmT1_PNSt15iterator_traitsISK_E10value_typeET2_T3_PNSL_ISQ_E10value_typeET4_jRbjT5_SW_jjP12ihipStream_tbEUlT_E_NS1_11comp_targetILNS1_3genE9ELNS1_11target_archE1100ELNS1_3gpuE3ELNS1_3repE0EEENS1_30default_config_static_selectorELNS0_4arch9wavefront6targetE0EEEvSK_,"axG",@progbits,_ZN7rocprim17ROCPRIM_400000_NS6detail17trampoline_kernelINS0_14default_configENS1_36segmented_radix_sort_config_selectorIhlEEZNS1_25segmented_radix_sort_implIS3_Lb0EPKhPhPKlPlN2at6native12_GLOBAL__N_18offset_tEEE10hipError_tPvRmT1_PNSt15iterator_traitsISK_E10value_typeET2_T3_PNSL_ISQ_E10value_typeET4_jRbjT5_SW_jjP12ihipStream_tbEUlT_E_NS1_11comp_targetILNS1_3genE9ELNS1_11target_archE1100ELNS1_3gpuE3ELNS1_3repE0EEENS1_30default_config_static_selectorELNS0_4arch9wavefront6targetE0EEEvSK_,comdat
	.globl	_ZN7rocprim17ROCPRIM_400000_NS6detail17trampoline_kernelINS0_14default_configENS1_36segmented_radix_sort_config_selectorIhlEEZNS1_25segmented_radix_sort_implIS3_Lb0EPKhPhPKlPlN2at6native12_GLOBAL__N_18offset_tEEE10hipError_tPvRmT1_PNSt15iterator_traitsISK_E10value_typeET2_T3_PNSL_ISQ_E10value_typeET4_jRbjT5_SW_jjP12ihipStream_tbEUlT_E_NS1_11comp_targetILNS1_3genE9ELNS1_11target_archE1100ELNS1_3gpuE3ELNS1_3repE0EEENS1_30default_config_static_selectorELNS0_4arch9wavefront6targetE0EEEvSK_ ; -- Begin function _ZN7rocprim17ROCPRIM_400000_NS6detail17trampoline_kernelINS0_14default_configENS1_36segmented_radix_sort_config_selectorIhlEEZNS1_25segmented_radix_sort_implIS3_Lb0EPKhPhPKlPlN2at6native12_GLOBAL__N_18offset_tEEE10hipError_tPvRmT1_PNSt15iterator_traitsISK_E10value_typeET2_T3_PNSL_ISQ_E10value_typeET4_jRbjT5_SW_jjP12ihipStream_tbEUlT_E_NS1_11comp_targetILNS1_3genE9ELNS1_11target_archE1100ELNS1_3gpuE3ELNS1_3repE0EEENS1_30default_config_static_selectorELNS0_4arch9wavefront6targetE0EEEvSK_
	.p2align	8
	.type	_ZN7rocprim17ROCPRIM_400000_NS6detail17trampoline_kernelINS0_14default_configENS1_36segmented_radix_sort_config_selectorIhlEEZNS1_25segmented_radix_sort_implIS3_Lb0EPKhPhPKlPlN2at6native12_GLOBAL__N_18offset_tEEE10hipError_tPvRmT1_PNSt15iterator_traitsISK_E10value_typeET2_T3_PNSL_ISQ_E10value_typeET4_jRbjT5_SW_jjP12ihipStream_tbEUlT_E_NS1_11comp_targetILNS1_3genE9ELNS1_11target_archE1100ELNS1_3gpuE3ELNS1_3repE0EEENS1_30default_config_static_selectorELNS0_4arch9wavefront6targetE0EEEvSK_,@function
_ZN7rocprim17ROCPRIM_400000_NS6detail17trampoline_kernelINS0_14default_configENS1_36segmented_radix_sort_config_selectorIhlEEZNS1_25segmented_radix_sort_implIS3_Lb0EPKhPhPKlPlN2at6native12_GLOBAL__N_18offset_tEEE10hipError_tPvRmT1_PNSt15iterator_traitsISK_E10value_typeET2_T3_PNSL_ISQ_E10value_typeET4_jRbjT5_SW_jjP12ihipStream_tbEUlT_E_NS1_11comp_targetILNS1_3genE9ELNS1_11target_archE1100ELNS1_3gpuE3ELNS1_3repE0EEENS1_30default_config_static_selectorELNS0_4arch9wavefront6targetE0EEEvSK_: ; @_ZN7rocprim17ROCPRIM_400000_NS6detail17trampoline_kernelINS0_14default_configENS1_36segmented_radix_sort_config_selectorIhlEEZNS1_25segmented_radix_sort_implIS3_Lb0EPKhPhPKlPlN2at6native12_GLOBAL__N_18offset_tEEE10hipError_tPvRmT1_PNSt15iterator_traitsISK_E10value_typeET2_T3_PNSL_ISQ_E10value_typeET4_jRbjT5_SW_jjP12ihipStream_tbEUlT_E_NS1_11comp_targetILNS1_3genE9ELNS1_11target_archE1100ELNS1_3gpuE3ELNS1_3repE0EEENS1_30default_config_static_selectorELNS0_4arch9wavefront6targetE0EEEvSK_
; %bb.0:
	.section	.rodata,"a",@progbits
	.p2align	6, 0x0
	.amdhsa_kernel _ZN7rocprim17ROCPRIM_400000_NS6detail17trampoline_kernelINS0_14default_configENS1_36segmented_radix_sort_config_selectorIhlEEZNS1_25segmented_radix_sort_implIS3_Lb0EPKhPhPKlPlN2at6native12_GLOBAL__N_18offset_tEEE10hipError_tPvRmT1_PNSt15iterator_traitsISK_E10value_typeET2_T3_PNSL_ISQ_E10value_typeET4_jRbjT5_SW_jjP12ihipStream_tbEUlT_E_NS1_11comp_targetILNS1_3genE9ELNS1_11target_archE1100ELNS1_3gpuE3ELNS1_3repE0EEENS1_30default_config_static_selectorELNS0_4arch9wavefront6targetE0EEEvSK_
		.amdhsa_group_segment_fixed_size 0
		.amdhsa_private_segment_fixed_size 0
		.amdhsa_kernarg_size 96
		.amdhsa_user_sgpr_count 6
		.amdhsa_user_sgpr_private_segment_buffer 1
		.amdhsa_user_sgpr_dispatch_ptr 0
		.amdhsa_user_sgpr_queue_ptr 0
		.amdhsa_user_sgpr_kernarg_segment_ptr 1
		.amdhsa_user_sgpr_dispatch_id 0
		.amdhsa_user_sgpr_flat_scratch_init 0
		.amdhsa_user_sgpr_private_segment_size 0
		.amdhsa_wavefront_size32 1
		.amdhsa_uses_dynamic_stack 0
		.amdhsa_system_sgpr_private_segment_wavefront_offset 0
		.amdhsa_system_sgpr_workgroup_id_x 1
		.amdhsa_system_sgpr_workgroup_id_y 0
		.amdhsa_system_sgpr_workgroup_id_z 0
		.amdhsa_system_sgpr_workgroup_info 0
		.amdhsa_system_vgpr_workitem_id 0
		.amdhsa_next_free_vgpr 1
		.amdhsa_next_free_sgpr 1
		.amdhsa_reserve_vcc 0
		.amdhsa_reserve_flat_scratch 0
		.amdhsa_float_round_mode_32 0
		.amdhsa_float_round_mode_16_64 0
		.amdhsa_float_denorm_mode_32 3
		.amdhsa_float_denorm_mode_16_64 3
		.amdhsa_dx10_clamp 1
		.amdhsa_ieee_mode 1
		.amdhsa_fp16_overflow 0
		.amdhsa_workgroup_processor_mode 1
		.amdhsa_memory_ordered 1
		.amdhsa_forward_progress 1
		.amdhsa_shared_vgpr_count 0
		.amdhsa_exception_fp_ieee_invalid_op 0
		.amdhsa_exception_fp_denorm_src 0
		.amdhsa_exception_fp_ieee_div_zero 0
		.amdhsa_exception_fp_ieee_overflow 0
		.amdhsa_exception_fp_ieee_underflow 0
		.amdhsa_exception_fp_ieee_inexact 0
		.amdhsa_exception_int_div_zero 0
	.end_amdhsa_kernel
	.section	.text._ZN7rocprim17ROCPRIM_400000_NS6detail17trampoline_kernelINS0_14default_configENS1_36segmented_radix_sort_config_selectorIhlEEZNS1_25segmented_radix_sort_implIS3_Lb0EPKhPhPKlPlN2at6native12_GLOBAL__N_18offset_tEEE10hipError_tPvRmT1_PNSt15iterator_traitsISK_E10value_typeET2_T3_PNSL_ISQ_E10value_typeET4_jRbjT5_SW_jjP12ihipStream_tbEUlT_E_NS1_11comp_targetILNS1_3genE9ELNS1_11target_archE1100ELNS1_3gpuE3ELNS1_3repE0EEENS1_30default_config_static_selectorELNS0_4arch9wavefront6targetE0EEEvSK_,"axG",@progbits,_ZN7rocprim17ROCPRIM_400000_NS6detail17trampoline_kernelINS0_14default_configENS1_36segmented_radix_sort_config_selectorIhlEEZNS1_25segmented_radix_sort_implIS3_Lb0EPKhPhPKlPlN2at6native12_GLOBAL__N_18offset_tEEE10hipError_tPvRmT1_PNSt15iterator_traitsISK_E10value_typeET2_T3_PNSL_ISQ_E10value_typeET4_jRbjT5_SW_jjP12ihipStream_tbEUlT_E_NS1_11comp_targetILNS1_3genE9ELNS1_11target_archE1100ELNS1_3gpuE3ELNS1_3repE0EEENS1_30default_config_static_selectorELNS0_4arch9wavefront6targetE0EEEvSK_,comdat
.Lfunc_end192:
	.size	_ZN7rocprim17ROCPRIM_400000_NS6detail17trampoline_kernelINS0_14default_configENS1_36segmented_radix_sort_config_selectorIhlEEZNS1_25segmented_radix_sort_implIS3_Lb0EPKhPhPKlPlN2at6native12_GLOBAL__N_18offset_tEEE10hipError_tPvRmT1_PNSt15iterator_traitsISK_E10value_typeET2_T3_PNSL_ISQ_E10value_typeET4_jRbjT5_SW_jjP12ihipStream_tbEUlT_E_NS1_11comp_targetILNS1_3genE9ELNS1_11target_archE1100ELNS1_3gpuE3ELNS1_3repE0EEENS1_30default_config_static_selectorELNS0_4arch9wavefront6targetE0EEEvSK_, .Lfunc_end192-_ZN7rocprim17ROCPRIM_400000_NS6detail17trampoline_kernelINS0_14default_configENS1_36segmented_radix_sort_config_selectorIhlEEZNS1_25segmented_radix_sort_implIS3_Lb0EPKhPhPKlPlN2at6native12_GLOBAL__N_18offset_tEEE10hipError_tPvRmT1_PNSt15iterator_traitsISK_E10value_typeET2_T3_PNSL_ISQ_E10value_typeET4_jRbjT5_SW_jjP12ihipStream_tbEUlT_E_NS1_11comp_targetILNS1_3genE9ELNS1_11target_archE1100ELNS1_3gpuE3ELNS1_3repE0EEENS1_30default_config_static_selectorELNS0_4arch9wavefront6targetE0EEEvSK_
                                        ; -- End function
	.set _ZN7rocprim17ROCPRIM_400000_NS6detail17trampoline_kernelINS0_14default_configENS1_36segmented_radix_sort_config_selectorIhlEEZNS1_25segmented_radix_sort_implIS3_Lb0EPKhPhPKlPlN2at6native12_GLOBAL__N_18offset_tEEE10hipError_tPvRmT1_PNSt15iterator_traitsISK_E10value_typeET2_T3_PNSL_ISQ_E10value_typeET4_jRbjT5_SW_jjP12ihipStream_tbEUlT_E_NS1_11comp_targetILNS1_3genE9ELNS1_11target_archE1100ELNS1_3gpuE3ELNS1_3repE0EEENS1_30default_config_static_selectorELNS0_4arch9wavefront6targetE0EEEvSK_.num_vgpr, 0
	.set _ZN7rocprim17ROCPRIM_400000_NS6detail17trampoline_kernelINS0_14default_configENS1_36segmented_radix_sort_config_selectorIhlEEZNS1_25segmented_radix_sort_implIS3_Lb0EPKhPhPKlPlN2at6native12_GLOBAL__N_18offset_tEEE10hipError_tPvRmT1_PNSt15iterator_traitsISK_E10value_typeET2_T3_PNSL_ISQ_E10value_typeET4_jRbjT5_SW_jjP12ihipStream_tbEUlT_E_NS1_11comp_targetILNS1_3genE9ELNS1_11target_archE1100ELNS1_3gpuE3ELNS1_3repE0EEENS1_30default_config_static_selectorELNS0_4arch9wavefront6targetE0EEEvSK_.num_agpr, 0
	.set _ZN7rocprim17ROCPRIM_400000_NS6detail17trampoline_kernelINS0_14default_configENS1_36segmented_radix_sort_config_selectorIhlEEZNS1_25segmented_radix_sort_implIS3_Lb0EPKhPhPKlPlN2at6native12_GLOBAL__N_18offset_tEEE10hipError_tPvRmT1_PNSt15iterator_traitsISK_E10value_typeET2_T3_PNSL_ISQ_E10value_typeET4_jRbjT5_SW_jjP12ihipStream_tbEUlT_E_NS1_11comp_targetILNS1_3genE9ELNS1_11target_archE1100ELNS1_3gpuE3ELNS1_3repE0EEENS1_30default_config_static_selectorELNS0_4arch9wavefront6targetE0EEEvSK_.numbered_sgpr, 0
	.set _ZN7rocprim17ROCPRIM_400000_NS6detail17trampoline_kernelINS0_14default_configENS1_36segmented_radix_sort_config_selectorIhlEEZNS1_25segmented_radix_sort_implIS3_Lb0EPKhPhPKlPlN2at6native12_GLOBAL__N_18offset_tEEE10hipError_tPvRmT1_PNSt15iterator_traitsISK_E10value_typeET2_T3_PNSL_ISQ_E10value_typeET4_jRbjT5_SW_jjP12ihipStream_tbEUlT_E_NS1_11comp_targetILNS1_3genE9ELNS1_11target_archE1100ELNS1_3gpuE3ELNS1_3repE0EEENS1_30default_config_static_selectorELNS0_4arch9wavefront6targetE0EEEvSK_.num_named_barrier, 0
	.set _ZN7rocprim17ROCPRIM_400000_NS6detail17trampoline_kernelINS0_14default_configENS1_36segmented_radix_sort_config_selectorIhlEEZNS1_25segmented_radix_sort_implIS3_Lb0EPKhPhPKlPlN2at6native12_GLOBAL__N_18offset_tEEE10hipError_tPvRmT1_PNSt15iterator_traitsISK_E10value_typeET2_T3_PNSL_ISQ_E10value_typeET4_jRbjT5_SW_jjP12ihipStream_tbEUlT_E_NS1_11comp_targetILNS1_3genE9ELNS1_11target_archE1100ELNS1_3gpuE3ELNS1_3repE0EEENS1_30default_config_static_selectorELNS0_4arch9wavefront6targetE0EEEvSK_.private_seg_size, 0
	.set _ZN7rocprim17ROCPRIM_400000_NS6detail17trampoline_kernelINS0_14default_configENS1_36segmented_radix_sort_config_selectorIhlEEZNS1_25segmented_radix_sort_implIS3_Lb0EPKhPhPKlPlN2at6native12_GLOBAL__N_18offset_tEEE10hipError_tPvRmT1_PNSt15iterator_traitsISK_E10value_typeET2_T3_PNSL_ISQ_E10value_typeET4_jRbjT5_SW_jjP12ihipStream_tbEUlT_E_NS1_11comp_targetILNS1_3genE9ELNS1_11target_archE1100ELNS1_3gpuE3ELNS1_3repE0EEENS1_30default_config_static_selectorELNS0_4arch9wavefront6targetE0EEEvSK_.uses_vcc, 0
	.set _ZN7rocprim17ROCPRIM_400000_NS6detail17trampoline_kernelINS0_14default_configENS1_36segmented_radix_sort_config_selectorIhlEEZNS1_25segmented_radix_sort_implIS3_Lb0EPKhPhPKlPlN2at6native12_GLOBAL__N_18offset_tEEE10hipError_tPvRmT1_PNSt15iterator_traitsISK_E10value_typeET2_T3_PNSL_ISQ_E10value_typeET4_jRbjT5_SW_jjP12ihipStream_tbEUlT_E_NS1_11comp_targetILNS1_3genE9ELNS1_11target_archE1100ELNS1_3gpuE3ELNS1_3repE0EEENS1_30default_config_static_selectorELNS0_4arch9wavefront6targetE0EEEvSK_.uses_flat_scratch, 0
	.set _ZN7rocprim17ROCPRIM_400000_NS6detail17trampoline_kernelINS0_14default_configENS1_36segmented_radix_sort_config_selectorIhlEEZNS1_25segmented_radix_sort_implIS3_Lb0EPKhPhPKlPlN2at6native12_GLOBAL__N_18offset_tEEE10hipError_tPvRmT1_PNSt15iterator_traitsISK_E10value_typeET2_T3_PNSL_ISQ_E10value_typeET4_jRbjT5_SW_jjP12ihipStream_tbEUlT_E_NS1_11comp_targetILNS1_3genE9ELNS1_11target_archE1100ELNS1_3gpuE3ELNS1_3repE0EEENS1_30default_config_static_selectorELNS0_4arch9wavefront6targetE0EEEvSK_.has_dyn_sized_stack, 0
	.set _ZN7rocprim17ROCPRIM_400000_NS6detail17trampoline_kernelINS0_14default_configENS1_36segmented_radix_sort_config_selectorIhlEEZNS1_25segmented_radix_sort_implIS3_Lb0EPKhPhPKlPlN2at6native12_GLOBAL__N_18offset_tEEE10hipError_tPvRmT1_PNSt15iterator_traitsISK_E10value_typeET2_T3_PNSL_ISQ_E10value_typeET4_jRbjT5_SW_jjP12ihipStream_tbEUlT_E_NS1_11comp_targetILNS1_3genE9ELNS1_11target_archE1100ELNS1_3gpuE3ELNS1_3repE0EEENS1_30default_config_static_selectorELNS0_4arch9wavefront6targetE0EEEvSK_.has_recursion, 0
	.set _ZN7rocprim17ROCPRIM_400000_NS6detail17trampoline_kernelINS0_14default_configENS1_36segmented_radix_sort_config_selectorIhlEEZNS1_25segmented_radix_sort_implIS3_Lb0EPKhPhPKlPlN2at6native12_GLOBAL__N_18offset_tEEE10hipError_tPvRmT1_PNSt15iterator_traitsISK_E10value_typeET2_T3_PNSL_ISQ_E10value_typeET4_jRbjT5_SW_jjP12ihipStream_tbEUlT_E_NS1_11comp_targetILNS1_3genE9ELNS1_11target_archE1100ELNS1_3gpuE3ELNS1_3repE0EEENS1_30default_config_static_selectorELNS0_4arch9wavefront6targetE0EEEvSK_.has_indirect_call, 0
	.section	.AMDGPU.csdata,"",@progbits
; Kernel info:
; codeLenInByte = 0
; TotalNumSgprs: 0
; NumVgprs: 0
; ScratchSize: 0
; MemoryBound: 0
; FloatMode: 240
; IeeeMode: 1
; LDSByteSize: 0 bytes/workgroup (compile time only)
; SGPRBlocks: 0
; VGPRBlocks: 0
; NumSGPRsForWavesPerEU: 1
; NumVGPRsForWavesPerEU: 1
; Occupancy: 16
; WaveLimiterHint : 0
; COMPUTE_PGM_RSRC2:SCRATCH_EN: 0
; COMPUTE_PGM_RSRC2:USER_SGPR: 6
; COMPUTE_PGM_RSRC2:TRAP_HANDLER: 0
; COMPUTE_PGM_RSRC2:TGID_X_EN: 1
; COMPUTE_PGM_RSRC2:TGID_Y_EN: 0
; COMPUTE_PGM_RSRC2:TGID_Z_EN: 0
; COMPUTE_PGM_RSRC2:TIDIG_COMP_CNT: 0
	.text
	.p2align	2                               ; -- Begin function _ZN7rocprim17ROCPRIM_400000_NS6detail40segmented_radix_sort_single_block_helperIhlLj256ELj17ELb0EE4sortIPKhPhPKlPlEEbT_T0_T1_T2_jjjjRNS3_12storage_typeE
	.type	_ZN7rocprim17ROCPRIM_400000_NS6detail40segmented_radix_sort_single_block_helperIhlLj256ELj17ELb0EE4sortIPKhPhPKlPlEEbT_T0_T1_T2_jjjjRNS3_12storage_typeE,@function
_ZN7rocprim17ROCPRIM_400000_NS6detail40segmented_radix_sort_single_block_helperIhlLj256ELj17ELb0EE4sortIPKhPhPKlPlEEbT_T0_T1_T2_jjjjRNS3_12storage_typeE: ; @_ZN7rocprim17ROCPRIM_400000_NS6detail40segmented_radix_sort_single_block_helperIhlLj256ELj17ELb0EE4sortIPKhPhPKlPlEEbT_T0_T1_T2_jjjjRNS3_12storage_typeE
; %bb.0:
	s_waitcnt vmcnt(0) expcnt(0) lgkmcnt(0)
	buffer_store_dword v40, off, s[0:3], s32 offset:188 ; 4-byte Folded Spill
	buffer_store_dword v41, off, s[0:3], s32 offset:184 ; 4-byte Folded Spill
	;; [unrolled: 1-line block ×47, first 2 shown]
	buffer_store_dword v127, off, s[0:3], s32 ; 4-byte Folded Spill
	v_sub_nc_u32_e32 v210, v9, v8
	s_mov_b32 s25, exec_lo
	v_cmpx_gt_u32_e32 0x1101, v210
	s_cbranch_execz .LBB193_382
; %bb.1:
	v_bfe_u32 v15, v31, 10, 10
	v_bfe_u32 v16, v31, 20, 10
	v_and_b32_e32 v14, 0x3ff, v31
	v_mbcnt_lo_u32_b32 v54, -1, 0
	s_mov_b32 s4, exec_lo
	v_cmpx_lt_u32_e32 0x800, v210
	s_xor_b32 s26, exec_lo, s4
	s_cbranch_execz .LBB193_151
; %bb.2:
	s_load_dwordx2 s[4:5], s[8:9], 0x0
	v_mov_b32_e32 v9, 0
	v_add_co_u32 v19, vcc_lo, v0, v8
	v_add_co_ci_u32_e64 v20, null, 0, v1, vcc_lo
	v_mov_b32_e32 v36, 0xff
	v_mov_b32_e32 v229, 0xff
	;; [unrolled: 1-line block ×14, first 2 shown]
	s_waitcnt lgkmcnt(0)
	s_cmp_lt_u32 s13, s5
	v_mov_b32_e32 v215, 0xff
	s_cselect_b32 s5, 14, 20
	v_mov_b32_e32 v211, 0xff
	s_add_u32 s6, s8, s5
	s_addc_u32 s7, s9, 0
	s_cmp_lt_u32 s12, s4
	global_load_ushort v17, v9, s[6:7]
	s_cselect_b32 s4, 12, 18
	s_add_u32 s4, s8, s4
	s_addc_u32 s5, s9, 0
	global_load_ushort v18, v9, s[4:5]
	s_waitcnt vmcnt(1)
	v_mad_u32_u24 v0, v16, v17, v15
	v_add_co_u32 v17, vcc_lo, v19, v54
	v_mov_b32_e32 v16, v9
	s_waitcnt vmcnt(0)
	v_mad_u64_u32 v[0:1], null, v0, v18, v[14:15]
	v_add_co_ci_u32_e64 v18, null, 0, v20, vcc_lo
	v_mov_b32_e32 v1, 0xff
	v_and_b32_e32 v15, 0xffffffe0, v0
	v_lshl_add_u32 v15, v15, 4, v15
	v_or_b32_e32 v19, v15, v54
	v_add_co_u32 v17, vcc_lo, v17, v15
	v_add_co_ci_u32_e64 v18, null, 0, v18, vcc_lo
	v_cmp_lt_u32_e32 vcc_lo, v19, v210
	s_and_saveexec_b32 s4, vcc_lo
	s_cbranch_execz .LBB193_4
; %bb.3:
	flat_load_ubyte v229, v[17:18]
	v_mov_b32_e32 v36, 0xff
	v_mov_b32_e32 v230, 0xff
	;; [unrolled: 1-line block ×16, first 2 shown]
.LBB193_4:
	s_or_b32 exec_lo, exec_lo, s4
	v_add_nc_u32_e32 v20, 32, v19
	v_cmp_lt_u32_e64 s4, v20, v210
	s_and_saveexec_b32 s5, s4
	s_cbranch_execz .LBB193_6
; %bb.5:
	flat_load_ubyte v230, v[17:18] offset:32
.LBB193_6:
	s_or_b32 exec_lo, exec_lo, s5
	v_add_nc_u32_e32 v20, 64, v19
	v_cmp_lt_u32_e64 s5, v20, v210
	s_and_saveexec_b32 s6, s5
	s_cbranch_execz .LBB193_8
; %bb.7:
	flat_load_ubyte v231, v[17:18] offset:64
.LBB193_8:
	;; [unrolled: 8-line block ×16, first 2 shown]
	s_or_b32 exec_lo, exec_lo, s24
	v_lshlrev_b64 v[37:38], 3, v[8:9]
	v_lshlrev_b32_e32 v9, 3, v54
                                        ; implicit-def: $vgpr70_vgpr71
	v_add_co_u32 v17, s24, v4, v37
	v_add_co_ci_u32_e64 v18, null, v5, v38, s24
	v_lshlrev_b64 v[4:5], 3, v[15:16]
	v_add_co_u32 v9, s24, v17, v9
	v_add_co_ci_u32_e64 v15, null, 0, v18, s24
	v_add_co_u32 v4, s24, v9, v4
	v_add_co_ci_u32_e64 v5, null, v15, v5, s24
	s_and_saveexec_b32 s24, vcc_lo
	s_cbranch_execnz .LBB193_204
; %bb.37:
	s_or_b32 exec_lo, exec_lo, s24
                                        ; implicit-def: $vgpr80_vgpr81
	s_and_saveexec_b32 s24, s4
	s_cbranch_execnz .LBB193_205
.LBB193_38:
	s_or_b32 exec_lo, exec_lo, s24
                                        ; implicit-def: $vgpr82_vgpr83
	s_and_saveexec_b32 s4, s5
	s_cbranch_execnz .LBB193_206
.LBB193_39:
	s_or_b32 exec_lo, exec_lo, s4
                                        ; implicit-def: $vgpr84_vgpr85
	s_and_saveexec_b32 s4, s6
	s_cbranch_execnz .LBB193_207
.LBB193_40:
	s_or_b32 exec_lo, exec_lo, s4
                                        ; implicit-def: $vgpr86_vgpr87
	s_and_saveexec_b32 s4, s7
	s_cbranch_execnz .LBB193_208
.LBB193_41:
	s_or_b32 exec_lo, exec_lo, s4
                                        ; implicit-def: $vgpr96_vgpr97
	s_and_saveexec_b32 s4, s10
	s_cbranch_execnz .LBB193_209
.LBB193_42:
	s_or_b32 exec_lo, exec_lo, s4
                                        ; implicit-def: $vgpr98_vgpr99
	s_and_saveexec_b32 s4, s11
	s_cbranch_execnz .LBB193_210
.LBB193_43:
	s_or_b32 exec_lo, exec_lo, s4
                                        ; implicit-def: $vgpr100_vgpr101
	s_and_saveexec_b32 s4, s14
	s_cbranch_execnz .LBB193_211
.LBB193_44:
	s_or_b32 exec_lo, exec_lo, s4
                                        ; implicit-def: $vgpr102_vgpr103
	s_and_saveexec_b32 s4, s15
	s_cbranch_execnz .LBB193_212
.LBB193_45:
	s_or_b32 exec_lo, exec_lo, s4
                                        ; implicit-def: $vgpr112_vgpr113
	s_and_saveexec_b32 s4, s16
	s_cbranch_execnz .LBB193_213
.LBB193_46:
	s_or_b32 exec_lo, exec_lo, s4
                                        ; implicit-def: $vgpr114_vgpr115
	s_and_saveexec_b32 s4, s17
	s_cbranch_execnz .LBB193_214
.LBB193_47:
	s_or_b32 exec_lo, exec_lo, s4
                                        ; implicit-def: $vgpr128_vgpr129
	s_and_saveexec_b32 s4, s18
	s_cbranch_execnz .LBB193_215
.LBB193_48:
	s_or_b32 exec_lo, exec_lo, s4
                                        ; implicit-def: $vgpr130_vgpr131
	s_and_saveexec_b32 s4, s19
	s_cbranch_execnz .LBB193_216
.LBB193_49:
	s_or_b32 exec_lo, exec_lo, s4
                                        ; implicit-def: $vgpr132_vgpr133
	s_and_saveexec_b32 s4, s20
	s_cbranch_execnz .LBB193_217
.LBB193_50:
	s_or_b32 exec_lo, exec_lo, s4
                                        ; implicit-def: $vgpr134_vgpr135
	s_and_saveexec_b32 s4, s21
	s_cbranch_execnz .LBB193_218
.LBB193_51:
	s_or_b32 exec_lo, exec_lo, s4
                                        ; implicit-def: $vgpr116_vgpr117
	s_and_saveexec_b32 s4, s22
	s_cbranch_execnz .LBB193_219
.LBB193_52:
	s_or_b32 exec_lo, exec_lo, s4
                                        ; implicit-def: $vgpr118_vgpr119
	s_and_saveexec_b32 s4, s23
	s_cbranch_execz .LBB193_54
.LBB193_53:
	v_add_co_u32 v4, vcc_lo, 0x1000, v4
	v_add_co_ci_u32_e64 v5, null, 0, v5, vcc_lo
	flat_load_dwordx2 v[118:119], v[4:5]
.LBB193_54:
	s_or_b32 exec_lo, exec_lo, s4
	v_lshl_add_u32 v4, v14, 5, v12
	v_sub_co_u32 v17, s6, v54, 1
	v_and_b32_e32 v16, 16, v54
	v_and_b32_e32 v5, 15, v54
	v_add_nc_u32_e32 v9, 32, v4
	v_add_nc_u32_e32 v241, 36, v4
	;; [unrolled: 1-line block ×8, first 2 shown]
	v_and_b32_e32 v4, 0x3e0, v14
	v_cmp_gt_i32_e64 s11, 0, v17
	s_getpc_b64 s[4:5]
	s_add_u32 s4, s4, _ZN7rocprim17ROCPRIM_400000_NS16block_radix_sortIhLj256ELj17ElLj1ELj1ELj8ELNS0_26block_radix_rank_algorithmE2ELNS0_18block_padding_hintE2ELNS0_4arch9wavefront6targetE0EE19radix_bits_per_passE@rel32@lo+4
	s_addc_u32 s5, s5, _ZN7rocprim17ROCPRIM_400000_NS16block_radix_sortIhLj256ELj17ElLj1ELj1ELj8ELNS0_26block_radix_rank_algorithmE2ELNS0_18block_padding_hintE2ELNS0_4arch9wavefront6targetE0EE19radix_bits_per_passE@rel32@hi+12
	v_cmp_eq_u32_e64 s10, 0, v16
	s_load_dword s22, s[4:5], 0x0
	v_min_u32_e32 v15, 0xe0, v4
	v_mul_u32_u24_e32 v4, 17, v4
	v_cndmask_b32_e64 v16, v17, v54, s11
	v_cmp_eq_u32_e32 vcc_lo, 0, v5
	v_cmp_lt_u32_e64 s4, 1, v5
	v_cmp_lt_u32_e64 s5, 3, v5
	v_or_b32_e32 v17, v54, v4
	v_cmp_lt_u32_e64 s7, 7, v5
	v_or_b32_e32 v5, 31, v15
	v_lshrrev_b32_e32 v15, 3, v14
	v_lshlrev_b32_e32 v41, 2, v16
	v_add_co_u32 v4, s16, v12, v17
	v_cmp_eq_u32_e64 s11, v14, v5
	v_add_co_ci_u32_e64 v5, null, 0, v13, s16
	v_and_b32_e32 v18, 0x7c, v15
	v_and_b32_e32 v19, 7, v54
	v_lshrrev_b32_e32 v40, 5, v0
	v_mad_u64_u32 v[15:16], null, v17, 7, v[4:5]
	v_cmp_gt_u32_e64 s14, 8, v14
	v_cmp_lt_u32_e64 s15, 31, v14
	v_cmp_eq_u32_e64 s16, 0, v14
	v_add_nc_u32_e32 v5, v12, v18
	v_mov_b32_e32 v42, 0
	v_lshl_add_u32 v43, v14, 2, v12
	v_cmp_eq_u32_e64 s17, 0, v19
	v_cmp_lt_u32_e64 s18, 1, v19
	v_cmp_lt_u32_e64 s19, 3, v19
	v_add_nc_u32_e32 v44, 0x800, v15
	v_add_nc_u32_e32 v45, 0x900, v15
	;; [unrolled: 1-line block ×9, first 2 shown]
	v_sub_nc_u32_e32 v61, v11, v10
	s_mov_b32 s23, 0
	s_waitcnt vmcnt(0) lgkmcnt(0)
	s_waitcnt_vscnt null, 0x0
	s_barrier
	buffer_gl0_inv
	s_branch .LBB193_56
.LBB193_55:                             ;   in Loop: Header=BB193_56 Depth=1
	s_or_b32 exec_lo, exec_lo, s21
	s_and_b32 s20, exec_lo, s24
	s_or_b32 s23, s20, s23
	s_andn2_b32 exec_lo, exec_lo, s23
	s_cbranch_execz .LBB193_98
.LBB193_56:                             ; =>This Inner Loop Header: Depth=1
	v_min_u32_e32 v16, s22, v61
	v_mov_b32_e32 v30, v82
	v_mov_b32_e32 v31, v83
	v_lshrrev_b32_sdwa v17, v10, v229 dst_sel:DWORD dst_unused:UNUSED_PAD src0_sel:DWORD src1_sel:BYTE_0
	v_mov_b32_e32 v34, v70
	v_lshlrev_b32_e64 v16, v16, -1
	v_mov_b32_e32 v35, v71
	v_mov_b32_e32 v32, v80
	;; [unrolled: 1-line block ×4, first 2 shown]
	v_not_b32_e32 v83, v16
	v_mov_b32_e32 v50, v86
	v_mov_b32_e32 v48, v96
	;; [unrolled: 1-line block ×4, first 2 shown]
	v_and_b32_e32 v70, v17, v83
	v_mov_b32_e32 v22, v102
	v_mov_b32_e32 v20, v112
	;; [unrolled: 1-line block ×4, first 2 shown]
	v_and_b32_e32 v66, 1, v70
	v_lshlrev_b32_e32 v67, 30, v70
	v_lshlrev_b32_e32 v68, 29, v70
	;; [unrolled: 1-line block ×4, first 2 shown]
	v_add_co_u32 v66, s20, v66, -1
	v_cndmask_b32_e64 v69, 0, 1, s20
	v_not_b32_e32 v82, v67
	v_cmp_gt_i32_e64 s21, 0, v67
	v_not_b32_e32 v67, v68
	v_lshlrev_b32_e32 v81, 26, v70
	v_cmp_ne_u32_e64 s20, 0, v69
	v_ashrrev_i32_e32 v82, 31, v82
	v_lshlrev_b32_e32 v69, 25, v70
	v_ashrrev_i32_e32 v67, 31, v67
	v_mov_b32_e32 v24, v130
	v_xor_b32_e32 v66, s20, v66
	v_cmp_gt_i32_e64 s20, 0, v68
	v_not_b32_e32 v68, v71
	v_xor_b32_e32 v82, s21, v82
	v_cmp_gt_i32_e64 s21, 0, v71
	v_and_b32_e32 v66, exec_lo, v66
	v_not_b32_e32 v71, v80
	v_ashrrev_i32_e32 v68, 31, v68
	v_xor_b32_e32 v67, s20, v67
	v_cmp_gt_i32_e64 s20, 0, v80
	v_and_b32_e32 v66, v66, v82
	v_not_b32_e32 v80, v81
	v_ashrrev_i32_e32 v71, 31, v71
	v_xor_b32_e32 v68, s21, v68
	v_cmp_gt_i32_e64 s21, 0, v81
	v_and_b32_e32 v66, v66, v67
	v_not_b32_e32 v67, v69
	v_ashrrev_i32_e32 v80, 31, v80
	v_xor_b32_e32 v71, s20, v71
	v_cmp_gt_i32_e64 s20, 0, v69
	v_and_b32_e32 v66, v66, v68
	v_lshlrev_b32_e32 v68, 24, v70
	v_ashrrev_i32_e32 v69, 31, v67
	v_xor_b32_e32 v80, s21, v80
	v_lshlrev_b32_e32 v70, 3, v70
	v_and_b32_e32 v71, v66, v71
	v_not_b32_e32 v81, v68
	v_cmp_gt_i32_e64 s21, 0, v68
	v_xor_b32_e32 v82, s20, v69
	v_mov_b32_e32 v16, v132
	v_and_b32_e32 v71, v71, v80
	v_ashrrev_i32_e32 v80, 31, v81
	v_mov_b32_e32 v18, v134
	v_mov_b32_e32 v66, v116
	;; [unrolled: 1-line block ×3, first 2 shown]
	v_and_b32_e32 v71, v71, v82
	v_xor_b32_e32 v80, s21, v80
	v_mov_b32_e32 v53, v85
	v_mov_b32_e32 v51, v87
	;; [unrolled: 1-line block ×4, first 2 shown]
	v_and_b32_e32 v80, v71, v80
	v_add_lshl_u32 v71, v70, v40, 2
	v_mov_b32_e32 v55, v101
	v_mov_b32_e32 v23, v103
	;; [unrolled: 1-line block ×3, first 2 shown]
	v_mbcnt_lo_u32_b32 v70, v80, 0
	v_add_co_u32 v71, null, v12, v71
	v_cmp_ne_u32_e64 s21, 0, v80
	v_mov_b32_e32 v29, v115
	v_cmp_eq_u32_e64 s20, 0, v70
	v_mov_b32_e32 v27, v129
	v_mov_b32_e32 v25, v131
	;; [unrolled: 1-line block ×6, first 2 shown]
	v_add_co_u32 v71, null, v71, 32
	s_and_b32 s21, s21, s20
	ds_write_b32 v9, v42
	ds_write_b32 v241, v42
	;; [unrolled: 1-line block ×8, first 2 shown]
	s_waitcnt lgkmcnt(0)
	s_barrier
	buffer_gl0_inv
	; wave barrier
	s_and_saveexec_b32 s20, s21
; %bb.57:                               ;   in Loop: Header=BB193_56 Depth=1
	v_bcnt_u32_b32 v80, v80, 0
	ds_write_b32 v71, v80
; %bb.58:                               ;   in Loop: Header=BB193_56 Depth=1
	s_or_b32 exec_lo, exec_lo, s20
	v_lshrrev_b32_sdwa v80, v10, v230 dst_sel:DWORD dst_unused:UNUSED_PAD src0_sel:DWORD src1_sel:BYTE_0
	; wave barrier
	v_and_b32_e32 v80, v80, v83
	v_and_b32_e32 v81, 1, v80
	v_lshlrev_b32_e32 v82, 30, v80
	v_lshlrev_b32_e32 v84, 29, v80
	;; [unrolled: 1-line block ×4, first 2 shown]
	v_add_co_u32 v81, s20, v81, -1
	v_cndmask_b32_e64 v86, 0, 1, s20
	v_not_b32_e32 v98, v82
	v_cmp_gt_i32_e64 s21, 0, v82
	v_not_b32_e32 v82, v84
	v_lshlrev_b32_e32 v96, 26, v80
	v_cmp_ne_u32_e64 s20, 0, v86
	v_ashrrev_i32_e32 v98, 31, v98
	v_lshlrev_b32_e32 v97, 25, v80
	v_ashrrev_i32_e32 v82, 31, v82
	v_lshlrev_b32_e32 v86, 24, v80
	v_xor_b32_e32 v81, s20, v81
	v_cmp_gt_i32_e64 s20, 0, v84
	v_not_b32_e32 v84, v85
	v_xor_b32_e32 v98, s21, v98
	v_cmp_gt_i32_e64 s21, 0, v85
	v_and_b32_e32 v81, exec_lo, v81
	v_not_b32_e32 v85, v87
	v_ashrrev_i32_e32 v84, 31, v84
	v_xor_b32_e32 v82, s20, v82
	v_cmp_gt_i32_e64 s20, 0, v87
	v_and_b32_e32 v81, v81, v98
	v_not_b32_e32 v87, v96
	v_ashrrev_i32_e32 v85, 31, v85
	v_xor_b32_e32 v84, s21, v84
	v_cmp_gt_i32_e64 s21, 0, v96
	v_and_b32_e32 v81, v81, v82
	;; [unrolled: 5-line block ×3, first 2 shown]
	v_not_b32_e32 v84, v86
	v_ashrrev_i32_e32 v82, 31, v82
	v_xor_b32_e32 v87, s21, v87
	v_lshl_add_u32 v80, v80, 3, v40
	v_and_b32_e32 v81, v81, v85
	v_cmp_gt_i32_e64 s21, 0, v86
	v_ashrrev_i32_e32 v84, 31, v84
	v_xor_b32_e32 v82, s20, v82
	v_lshl_add_u32 v85, v80, 2, v12
	v_and_b32_e32 v81, v81, v87
	v_xor_b32_e32 v84, s21, v84
	ds_read_b32 v80, v85 offset:32
	v_and_b32_e32 v81, v81, v82
	v_add_nc_u32_e32 v82, 32, v85
	; wave barrier
	v_and_b32_e32 v84, v81, v84
	v_mbcnt_lo_u32_b32 v81, v84, 0
	v_cmp_ne_u32_e64 s21, 0, v84
	v_cmp_eq_u32_e64 s20, 0, v81
	s_and_b32 s21, s21, s20
	s_and_saveexec_b32 s20, s21
	s_cbranch_execz .LBB193_60
; %bb.59:                               ;   in Loop: Header=BB193_56 Depth=1
	s_waitcnt lgkmcnt(0)
	v_bcnt_u32_b32 v84, v84, v80
	ds_write_b32 v82, v84
.LBB193_60:                             ;   in Loop: Header=BB193_56 Depth=1
	s_or_b32 exec_lo, exec_lo, s20
	v_lshrrev_b32_sdwa v84, v10, v231 dst_sel:DWORD dst_unused:UNUSED_PAD src0_sel:DWORD src1_sel:BYTE_0
	; wave barrier
	v_and_b32_e32 v84, v84, v83
	v_and_b32_e32 v85, 1, v84
	v_lshlrev_b32_e32 v86, 30, v84
	v_lshlrev_b32_e32 v87, 29, v84
	;; [unrolled: 1-line block ×4, first 2 shown]
	v_add_co_u32 v85, s20, v85, -1
	v_cndmask_b32_e64 v97, 0, 1, s20
	v_not_b32_e32 v101, v86
	v_cmp_gt_i32_e64 s21, 0, v86
	v_not_b32_e32 v86, v87
	v_lshlrev_b32_e32 v99, 26, v84
	v_cmp_ne_u32_e64 s20, 0, v97
	v_ashrrev_i32_e32 v101, 31, v101
	v_lshlrev_b32_e32 v100, 25, v84
	v_ashrrev_i32_e32 v86, 31, v86
	v_lshlrev_b32_e32 v97, 24, v84
	v_xor_b32_e32 v85, s20, v85
	v_cmp_gt_i32_e64 s20, 0, v87
	v_not_b32_e32 v87, v96
	v_xor_b32_e32 v101, s21, v101
	v_cmp_gt_i32_e64 s21, 0, v96
	v_and_b32_e32 v85, exec_lo, v85
	v_not_b32_e32 v96, v98
	v_ashrrev_i32_e32 v87, 31, v87
	v_xor_b32_e32 v86, s20, v86
	v_cmp_gt_i32_e64 s20, 0, v98
	v_and_b32_e32 v85, v85, v101
	v_not_b32_e32 v98, v99
	v_ashrrev_i32_e32 v96, 31, v96
	v_xor_b32_e32 v87, s21, v87
	v_cmp_gt_i32_e64 s21, 0, v99
	v_and_b32_e32 v85, v85, v86
	;; [unrolled: 5-line block ×3, first 2 shown]
	v_not_b32_e32 v87, v97
	v_ashrrev_i32_e32 v86, 31, v86
	v_xor_b32_e32 v98, s21, v98
	v_lshl_add_u32 v84, v84, 3, v40
	v_and_b32_e32 v85, v85, v96
	v_cmp_gt_i32_e64 s21, 0, v97
	v_ashrrev_i32_e32 v87, 31, v87
	v_xor_b32_e32 v86, s20, v86
	v_lshl_add_u32 v96, v84, 2, v12
	v_and_b32_e32 v85, v85, v98
	v_xor_b32_e32 v87, s21, v87
	ds_read_b32 v84, v96 offset:32
	v_and_b32_e32 v85, v85, v86
	v_add_nc_u32_e32 v86, 32, v96
	; wave barrier
	v_and_b32_e32 v87, v85, v87
	v_mbcnt_lo_u32_b32 v85, v87, 0
	v_cmp_ne_u32_e64 s21, 0, v87
	v_cmp_eq_u32_e64 s20, 0, v85
	s_and_b32 s21, s21, s20
	s_and_saveexec_b32 s20, s21
	s_cbranch_execz .LBB193_62
; %bb.61:                               ;   in Loop: Header=BB193_56 Depth=1
	s_waitcnt lgkmcnt(0)
	v_bcnt_u32_b32 v87, v87, v84
	ds_write_b32 v86, v87
.LBB193_62:                             ;   in Loop: Header=BB193_56 Depth=1
	s_or_b32 exec_lo, exec_lo, s20
	v_lshrrev_b32_sdwa v87, v10, v240 dst_sel:DWORD dst_unused:UNUSED_PAD src0_sel:DWORD src1_sel:BYTE_0
	; wave barrier
	v_and_b32_e32 v87, v87, v83
	v_and_b32_e32 v96, 1, v87
	v_lshlrev_b32_e32 v97, 30, v87
	v_lshlrev_b32_e32 v98, 29, v87
	;; [unrolled: 1-line block ×4, first 2 shown]
	v_add_co_u32 v96, s20, v96, -1
	v_cndmask_b32_e64 v100, 0, 1, s20
	v_not_b32_e32 v112, v97
	v_cmp_gt_i32_e64 s21, 0, v97
	v_not_b32_e32 v97, v98
	v_lshlrev_b32_e32 v102, 26, v87
	v_cmp_ne_u32_e64 s20, 0, v100
	v_ashrrev_i32_e32 v112, 31, v112
	v_lshlrev_b32_e32 v103, 25, v87
	v_ashrrev_i32_e32 v97, 31, v97
	v_lshlrev_b32_e32 v100, 24, v87
	v_xor_b32_e32 v96, s20, v96
	v_cmp_gt_i32_e64 s20, 0, v98
	v_not_b32_e32 v98, v99
	v_xor_b32_e32 v112, s21, v112
	v_cmp_gt_i32_e64 s21, 0, v99
	v_and_b32_e32 v96, exec_lo, v96
	v_not_b32_e32 v99, v101
	v_ashrrev_i32_e32 v98, 31, v98
	v_xor_b32_e32 v97, s20, v97
	v_cmp_gt_i32_e64 s20, 0, v101
	v_and_b32_e32 v96, v96, v112
	v_not_b32_e32 v101, v102
	v_ashrrev_i32_e32 v99, 31, v99
	v_xor_b32_e32 v98, s21, v98
	v_cmp_gt_i32_e64 s21, 0, v102
	v_and_b32_e32 v96, v96, v97
	;; [unrolled: 5-line block ×3, first 2 shown]
	v_not_b32_e32 v98, v100
	v_ashrrev_i32_e32 v97, 31, v97
	v_xor_b32_e32 v101, s21, v101
	v_lshl_add_u32 v87, v87, 3, v40
	v_and_b32_e32 v96, v96, v99
	v_cmp_gt_i32_e64 s21, 0, v100
	v_ashrrev_i32_e32 v98, 31, v98
	v_xor_b32_e32 v97, s20, v97
	v_lshl_add_u32 v99, v87, 2, v12
	v_and_b32_e32 v96, v96, v101
	v_xor_b32_e32 v98, s21, v98
	ds_read_b32 v87, v99 offset:32
	v_and_b32_e32 v96, v96, v97
	v_add_nc_u32_e32 v97, 32, v99
	; wave barrier
	v_and_b32_e32 v98, v96, v98
	v_mbcnt_lo_u32_b32 v96, v98, 0
	v_cmp_ne_u32_e64 s21, 0, v98
	v_cmp_eq_u32_e64 s20, 0, v96
	s_and_b32 s21, s21, s20
	s_and_saveexec_b32 s20, s21
	s_cbranch_execz .LBB193_64
; %bb.63:                               ;   in Loop: Header=BB193_56 Depth=1
	s_waitcnt lgkmcnt(0)
	v_bcnt_u32_b32 v98, v98, v87
	ds_write_b32 v97, v98
.LBB193_64:                             ;   in Loop: Header=BB193_56 Depth=1
	s_or_b32 exec_lo, exec_lo, s20
	v_lshrrev_b32_sdwa v98, v10, v224 dst_sel:DWORD dst_unused:UNUSED_PAD src0_sel:DWORD src1_sel:BYTE_0
	; wave barrier
	v_and_b32_e32 v98, v98, v83
	v_and_b32_e32 v99, 1, v98
	v_lshlrev_b32_e32 v100, 30, v98
	v_lshlrev_b32_e32 v101, 29, v98
	;; [unrolled: 1-line block ×4, first 2 shown]
	v_add_co_u32 v99, s20, v99, -1
	v_cndmask_b32_e64 v103, 0, 1, s20
	v_not_b32_e32 v115, v100
	v_cmp_gt_i32_e64 s21, 0, v100
	v_not_b32_e32 v100, v101
	v_lshlrev_b32_e32 v113, 26, v98
	v_cmp_ne_u32_e64 s20, 0, v103
	v_ashrrev_i32_e32 v115, 31, v115
	v_lshlrev_b32_e32 v114, 25, v98
	v_ashrrev_i32_e32 v100, 31, v100
	v_lshlrev_b32_e32 v103, 24, v98
	v_xor_b32_e32 v99, s20, v99
	v_cmp_gt_i32_e64 s20, 0, v101
	v_not_b32_e32 v101, v102
	v_xor_b32_e32 v115, s21, v115
	v_cmp_gt_i32_e64 s21, 0, v102
	v_and_b32_e32 v99, exec_lo, v99
	v_not_b32_e32 v102, v112
	v_ashrrev_i32_e32 v101, 31, v101
	v_xor_b32_e32 v100, s20, v100
	v_cmp_gt_i32_e64 s20, 0, v112
	v_and_b32_e32 v99, v99, v115
	v_not_b32_e32 v112, v113
	v_ashrrev_i32_e32 v102, 31, v102
	v_xor_b32_e32 v101, s21, v101
	v_cmp_gt_i32_e64 s21, 0, v113
	v_and_b32_e32 v99, v99, v100
	;; [unrolled: 5-line block ×3, first 2 shown]
	v_not_b32_e32 v101, v103
	v_ashrrev_i32_e32 v100, 31, v100
	v_xor_b32_e32 v112, s21, v112
	v_lshl_add_u32 v98, v98, 3, v40
	v_and_b32_e32 v99, v99, v102
	v_cmp_gt_i32_e64 s21, 0, v103
	v_ashrrev_i32_e32 v101, 31, v101
	v_xor_b32_e32 v100, s20, v100
	v_lshl_add_u32 v102, v98, 2, v12
	v_and_b32_e32 v99, v99, v112
	v_xor_b32_e32 v101, s21, v101
	ds_read_b32 v98, v102 offset:32
	v_and_b32_e32 v99, v99, v100
	v_add_nc_u32_e32 v100, 32, v102
	; wave barrier
	v_and_b32_e32 v101, v99, v101
	v_mbcnt_lo_u32_b32 v99, v101, 0
	v_cmp_ne_u32_e64 s21, 0, v101
	v_cmp_eq_u32_e64 s20, 0, v99
	s_and_b32 s21, s21, s20
	s_and_saveexec_b32 s20, s21
	s_cbranch_execz .LBB193_66
; %bb.65:                               ;   in Loop: Header=BB193_56 Depth=1
	s_waitcnt lgkmcnt(0)
	v_bcnt_u32_b32 v101, v101, v98
	ds_write_b32 v100, v101
.LBB193_66:                             ;   in Loop: Header=BB193_56 Depth=1
	s_or_b32 exec_lo, exec_lo, s20
	v_lshrrev_b32_sdwa v101, v10, v225 dst_sel:DWORD dst_unused:UNUSED_PAD src0_sel:DWORD src1_sel:BYTE_0
	; wave barrier
	v_and_b32_e32 v101, v101, v83
	v_and_b32_e32 v102, 1, v101
	v_lshlrev_b32_e32 v103, 30, v101
	v_lshlrev_b32_e32 v112, 29, v101
	;; [unrolled: 1-line block ×4, first 2 shown]
	v_add_co_u32 v102, s20, v102, -1
	v_cndmask_b32_e64 v114, 0, 1, s20
	v_not_b32_e32 v118, v103
	v_cmp_gt_i32_e64 s21, 0, v103
	v_not_b32_e32 v103, v112
	v_lshlrev_b32_e32 v116, 26, v101
	v_cmp_ne_u32_e64 s20, 0, v114
	v_ashrrev_i32_e32 v118, 31, v118
	v_lshlrev_b32_e32 v117, 25, v101
	v_ashrrev_i32_e32 v103, 31, v103
	v_lshlrev_b32_e32 v114, 24, v101
	v_xor_b32_e32 v102, s20, v102
	v_cmp_gt_i32_e64 s20, 0, v112
	v_not_b32_e32 v112, v113
	v_xor_b32_e32 v118, s21, v118
	v_cmp_gt_i32_e64 s21, 0, v113
	v_and_b32_e32 v102, exec_lo, v102
	v_not_b32_e32 v113, v115
	v_ashrrev_i32_e32 v112, 31, v112
	v_xor_b32_e32 v103, s20, v103
	v_cmp_gt_i32_e64 s20, 0, v115
	v_and_b32_e32 v102, v102, v118
	v_not_b32_e32 v115, v116
	v_ashrrev_i32_e32 v113, 31, v113
	v_xor_b32_e32 v112, s21, v112
	v_cmp_gt_i32_e64 s21, 0, v116
	v_and_b32_e32 v102, v102, v103
	v_not_b32_e32 v103, v117
	v_ashrrev_i32_e32 v115, 31, v115
	v_xor_b32_e32 v113, s20, v113
	v_cmp_gt_i32_e64 s20, 0, v117
	v_and_b32_e32 v102, v102, v112
	v_not_b32_e32 v112, v114
	v_ashrrev_i32_e32 v103, 31, v103
	v_xor_b32_e32 v115, s21, v115
	v_lshl_add_u32 v101, v101, 3, v40
	v_and_b32_e32 v102, v102, v113
	v_cmp_gt_i32_e64 s21, 0, v114
	v_ashrrev_i32_e32 v112, 31, v112
	v_xor_b32_e32 v103, s20, v103
	v_lshl_add_u32 v113, v101, 2, v12
	v_and_b32_e32 v102, v102, v115
	v_xor_b32_e32 v112, s21, v112
	ds_read_b32 v101, v113 offset:32
	v_and_b32_e32 v102, v102, v103
	v_add_nc_u32_e32 v103, 32, v113
	; wave barrier
	v_and_b32_e32 v112, v102, v112
	v_mbcnt_lo_u32_b32 v102, v112, 0
	v_cmp_ne_u32_e64 s21, 0, v112
	v_cmp_eq_u32_e64 s20, 0, v102
	s_and_b32 s21, s21, s20
	s_and_saveexec_b32 s20, s21
	s_cbranch_execz .LBB193_68
; %bb.67:                               ;   in Loop: Header=BB193_56 Depth=1
	s_waitcnt lgkmcnt(0)
	v_bcnt_u32_b32 v112, v112, v101
	ds_write_b32 v103, v112
.LBB193_68:                             ;   in Loop: Header=BB193_56 Depth=1
	s_or_b32 exec_lo, exec_lo, s20
	v_lshrrev_b32_sdwa v112, v10, v226 dst_sel:DWORD dst_unused:UNUSED_PAD src0_sel:DWORD src1_sel:BYTE_0
	; wave barrier
	v_and_b32_e32 v112, v112, v83
	v_and_b32_e32 v113, 1, v112
	v_lshlrev_b32_e32 v114, 30, v112
	v_lshlrev_b32_e32 v115, 29, v112
	;; [unrolled: 1-line block ×4, first 2 shown]
	v_add_co_u32 v113, s20, v113, -1
	v_cndmask_b32_e64 v117, 0, 1, s20
	v_not_b32_e32 v129, v114
	v_cmp_gt_i32_e64 s21, 0, v114
	v_not_b32_e32 v114, v115
	v_lshlrev_b32_e32 v119, 26, v112
	v_cmp_ne_u32_e64 s20, 0, v117
	v_ashrrev_i32_e32 v129, 31, v129
	v_lshlrev_b32_e32 v128, 25, v112
	v_ashrrev_i32_e32 v114, 31, v114
	v_lshlrev_b32_e32 v117, 24, v112
	v_xor_b32_e32 v113, s20, v113
	v_cmp_gt_i32_e64 s20, 0, v115
	v_not_b32_e32 v115, v116
	v_xor_b32_e32 v129, s21, v129
	v_cmp_gt_i32_e64 s21, 0, v116
	v_and_b32_e32 v113, exec_lo, v113
	v_not_b32_e32 v116, v118
	v_ashrrev_i32_e32 v115, 31, v115
	v_xor_b32_e32 v114, s20, v114
	v_cmp_gt_i32_e64 s20, 0, v118
	v_and_b32_e32 v113, v113, v129
	v_not_b32_e32 v118, v119
	v_ashrrev_i32_e32 v116, 31, v116
	v_xor_b32_e32 v115, s21, v115
	v_cmp_gt_i32_e64 s21, 0, v119
	v_and_b32_e32 v113, v113, v114
	;; [unrolled: 5-line block ×3, first 2 shown]
	v_not_b32_e32 v115, v117
	v_ashrrev_i32_e32 v114, 31, v114
	v_xor_b32_e32 v118, s21, v118
	v_lshl_add_u32 v112, v112, 3, v40
	v_and_b32_e32 v113, v113, v116
	v_cmp_gt_i32_e64 s21, 0, v117
	v_ashrrev_i32_e32 v115, 31, v115
	v_xor_b32_e32 v114, s20, v114
	v_lshl_add_u32 v116, v112, 2, v12
	v_and_b32_e32 v113, v113, v118
	v_xor_b32_e32 v115, s21, v115
	ds_read_b32 v112, v116 offset:32
	v_and_b32_e32 v113, v113, v114
	v_add_nc_u32_e32 v114, 32, v116
	; wave barrier
	v_and_b32_e32 v115, v113, v115
	v_mbcnt_lo_u32_b32 v113, v115, 0
	v_cmp_ne_u32_e64 s21, 0, v115
	v_cmp_eq_u32_e64 s20, 0, v113
	s_and_b32 s21, s21, s20
	s_and_saveexec_b32 s20, s21
	s_cbranch_execz .LBB193_70
; %bb.69:                               ;   in Loop: Header=BB193_56 Depth=1
	s_waitcnt lgkmcnt(0)
	v_bcnt_u32_b32 v115, v115, v112
	ds_write_b32 v114, v115
.LBB193_70:                             ;   in Loop: Header=BB193_56 Depth=1
	s_or_b32 exec_lo, exec_lo, s20
	v_lshrrev_b32_sdwa v115, v10, v227 dst_sel:DWORD dst_unused:UNUSED_PAD src0_sel:DWORD src1_sel:BYTE_0
	; wave barrier
	v_and_b32_e32 v115, v115, v83
	v_and_b32_e32 v116, 1, v115
	v_lshlrev_b32_e32 v117, 30, v115
	v_lshlrev_b32_e32 v118, 29, v115
	;; [unrolled: 1-line block ×4, first 2 shown]
	v_add_co_u32 v116, s20, v116, -1
	v_cndmask_b32_e64 v128, 0, 1, s20
	v_not_b32_e32 v132, v117
	v_cmp_gt_i32_e64 s21, 0, v117
	v_not_b32_e32 v117, v118
	v_lshlrev_b32_e32 v130, 26, v115
	v_cmp_ne_u32_e64 s20, 0, v128
	v_ashrrev_i32_e32 v132, 31, v132
	v_lshlrev_b32_e32 v131, 25, v115
	v_ashrrev_i32_e32 v117, 31, v117
	v_lshlrev_b32_e32 v128, 24, v115
	v_xor_b32_e32 v116, s20, v116
	v_cmp_gt_i32_e64 s20, 0, v118
	v_not_b32_e32 v118, v119
	v_xor_b32_e32 v132, s21, v132
	v_cmp_gt_i32_e64 s21, 0, v119
	v_and_b32_e32 v116, exec_lo, v116
	v_not_b32_e32 v119, v129
	v_ashrrev_i32_e32 v118, 31, v118
	v_xor_b32_e32 v117, s20, v117
	v_cmp_gt_i32_e64 s20, 0, v129
	v_and_b32_e32 v116, v116, v132
	v_not_b32_e32 v129, v130
	v_ashrrev_i32_e32 v119, 31, v119
	v_xor_b32_e32 v118, s21, v118
	v_cmp_gt_i32_e64 s21, 0, v130
	v_and_b32_e32 v116, v116, v117
	;; [unrolled: 5-line block ×3, first 2 shown]
	v_not_b32_e32 v118, v128
	v_ashrrev_i32_e32 v117, 31, v117
	v_xor_b32_e32 v129, s21, v129
	v_lshl_add_u32 v115, v115, 3, v40
	v_and_b32_e32 v116, v116, v119
	v_cmp_gt_i32_e64 s21, 0, v128
	v_ashrrev_i32_e32 v118, 31, v118
	v_xor_b32_e32 v117, s20, v117
	v_lshl_add_u32 v119, v115, 2, v12
	v_and_b32_e32 v116, v116, v129
	v_xor_b32_e32 v118, s21, v118
	ds_read_b32 v115, v119 offset:32
	v_and_b32_e32 v116, v116, v117
	v_add_nc_u32_e32 v117, 32, v119
	; wave barrier
	v_and_b32_e32 v118, v116, v118
	v_mbcnt_lo_u32_b32 v116, v118, 0
	v_cmp_ne_u32_e64 s21, 0, v118
	v_cmp_eq_u32_e64 s20, 0, v116
	s_and_b32 s21, s21, s20
	s_and_saveexec_b32 s20, s21
	s_cbranch_execz .LBB193_72
; %bb.71:                               ;   in Loop: Header=BB193_56 Depth=1
	s_waitcnt lgkmcnt(0)
	v_bcnt_u32_b32 v118, v118, v115
	ds_write_b32 v117, v118
.LBB193_72:                             ;   in Loop: Header=BB193_56 Depth=1
	s_or_b32 exec_lo, exec_lo, s20
	v_lshrrev_b32_sdwa v118, v10, v228 dst_sel:DWORD dst_unused:UNUSED_PAD src0_sel:DWORD src1_sel:BYTE_0
	; wave barrier
	v_and_b32_e32 v118, v118, v83
	v_and_b32_e32 v119, 1, v118
	v_lshlrev_b32_e32 v128, 30, v118
	v_lshlrev_b32_e32 v129, 29, v118
	v_lshlrev_b32_e32 v130, 28, v118
	v_lshlrev_b32_e32 v132, 27, v118
	v_add_co_u32 v119, s20, v119, -1
	v_cndmask_b32_e64 v131, 0, 1, s20
	v_not_b32_e32 v135, v128
	v_cmp_gt_i32_e64 s21, 0, v128
	v_not_b32_e32 v128, v129
	v_lshlrev_b32_e32 v133, 26, v118
	v_cmp_ne_u32_e64 s20, 0, v131
	v_ashrrev_i32_e32 v135, 31, v135
	v_lshlrev_b32_e32 v134, 25, v118
	v_ashrrev_i32_e32 v128, 31, v128
	v_lshlrev_b32_e32 v131, 24, v118
	v_xor_b32_e32 v119, s20, v119
	v_cmp_gt_i32_e64 s20, 0, v129
	v_not_b32_e32 v129, v130
	v_xor_b32_e32 v135, s21, v135
	v_cmp_gt_i32_e64 s21, 0, v130
	v_and_b32_e32 v119, exec_lo, v119
	v_not_b32_e32 v130, v132
	v_ashrrev_i32_e32 v129, 31, v129
	v_xor_b32_e32 v128, s20, v128
	v_cmp_gt_i32_e64 s20, 0, v132
	v_and_b32_e32 v119, v119, v135
	v_not_b32_e32 v132, v133
	v_ashrrev_i32_e32 v130, 31, v130
	v_xor_b32_e32 v129, s21, v129
	v_cmp_gt_i32_e64 s21, 0, v133
	v_and_b32_e32 v119, v119, v128
	;; [unrolled: 5-line block ×3, first 2 shown]
	v_not_b32_e32 v129, v131
	v_ashrrev_i32_e32 v128, 31, v128
	v_xor_b32_e32 v132, s21, v132
	v_lshl_add_u32 v118, v118, 3, v40
	v_and_b32_e32 v119, v119, v130
	v_cmp_gt_i32_e64 s21, 0, v131
	v_ashrrev_i32_e32 v129, 31, v129
	v_xor_b32_e32 v128, s20, v128
	v_lshl_add_u32 v130, v118, 2, v12
	v_and_b32_e32 v119, v119, v132
	v_xor_b32_e32 v129, s21, v129
	ds_read_b32 v118, v130 offset:32
	v_and_b32_e32 v119, v119, v128
	v_add_nc_u32_e32 v128, 32, v130
	; wave barrier
	v_and_b32_e32 v129, v119, v129
	v_mbcnt_lo_u32_b32 v119, v129, 0
	v_cmp_ne_u32_e64 s21, 0, v129
	v_cmp_eq_u32_e64 s20, 0, v119
	s_and_b32 s21, s21, s20
	s_and_saveexec_b32 s20, s21
	s_cbranch_execz .LBB193_74
; %bb.73:                               ;   in Loop: Header=BB193_56 Depth=1
	s_waitcnt lgkmcnt(0)
	v_bcnt_u32_b32 v129, v129, v118
	ds_write_b32 v128, v129
.LBB193_74:                             ;   in Loop: Header=BB193_56 Depth=1
	s_or_b32 exec_lo, exec_lo, s20
	v_lshrrev_b32_sdwa v129, v10, v212 dst_sel:DWORD dst_unused:UNUSED_PAD src0_sel:DWORD src1_sel:BYTE_0
	; wave barrier
	v_and_b32_e32 v129, v129, v83
	v_and_b32_e32 v130, 1, v129
	v_lshlrev_b32_e32 v131, 30, v129
	v_lshlrev_b32_e32 v132, 29, v129
	;; [unrolled: 1-line block ×4, first 2 shown]
	v_add_co_u32 v130, s20, v130, -1
	v_cndmask_b32_e64 v134, 0, 1, s20
	v_not_b32_e32 v146, v131
	v_cmp_gt_i32_e64 s21, 0, v131
	v_not_b32_e32 v131, v132
	v_lshlrev_b32_e32 v144, 26, v129
	v_cmp_ne_u32_e64 s20, 0, v134
	v_ashrrev_i32_e32 v146, 31, v146
	v_lshlrev_b32_e32 v145, 25, v129
	v_ashrrev_i32_e32 v131, 31, v131
	v_lshlrev_b32_e32 v134, 24, v129
	v_xor_b32_e32 v130, s20, v130
	v_cmp_gt_i32_e64 s20, 0, v132
	v_not_b32_e32 v132, v133
	v_xor_b32_e32 v146, s21, v146
	v_cmp_gt_i32_e64 s21, 0, v133
	v_and_b32_e32 v130, exec_lo, v130
	v_not_b32_e32 v133, v135
	v_ashrrev_i32_e32 v132, 31, v132
	v_xor_b32_e32 v131, s20, v131
	v_cmp_gt_i32_e64 s20, 0, v135
	v_and_b32_e32 v130, v130, v146
	v_not_b32_e32 v135, v144
	v_ashrrev_i32_e32 v133, 31, v133
	v_xor_b32_e32 v132, s21, v132
	v_cmp_gt_i32_e64 s21, 0, v144
	v_and_b32_e32 v130, v130, v131
	;; [unrolled: 5-line block ×3, first 2 shown]
	v_not_b32_e32 v132, v134
	v_ashrrev_i32_e32 v131, 31, v131
	v_xor_b32_e32 v135, s21, v135
	v_lshl_add_u32 v129, v129, 3, v40
	v_and_b32_e32 v130, v130, v133
	v_cmp_gt_i32_e64 s21, 0, v134
	v_ashrrev_i32_e32 v132, 31, v132
	v_xor_b32_e32 v131, s20, v131
	v_lshl_add_u32 v133, v129, 2, v12
	v_and_b32_e32 v130, v130, v135
	v_xor_b32_e32 v132, s21, v132
	ds_read_b32 v129, v133 offset:32
	v_and_b32_e32 v130, v130, v131
	v_add_nc_u32_e32 v131, 32, v133
	; wave barrier
	v_and_b32_e32 v132, v130, v132
	v_mbcnt_lo_u32_b32 v130, v132, 0
	v_cmp_ne_u32_e64 s21, 0, v132
	v_cmp_eq_u32_e64 s20, 0, v130
	s_and_b32 s21, s21, s20
	s_and_saveexec_b32 s20, s21
	s_cbranch_execz .LBB193_76
; %bb.75:                               ;   in Loop: Header=BB193_56 Depth=1
	s_waitcnt lgkmcnt(0)
	v_bcnt_u32_b32 v132, v132, v129
	ds_write_b32 v131, v132
.LBB193_76:                             ;   in Loop: Header=BB193_56 Depth=1
	s_or_b32 exec_lo, exec_lo, s20
	v_lshrrev_b32_sdwa v132, v10, v39 dst_sel:DWORD dst_unused:UNUSED_PAD src0_sel:DWORD src1_sel:BYTE_0
	; wave barrier
	v_and_b32_e32 v132, v132, v83
	v_and_b32_e32 v133, 1, v132
	v_lshlrev_b32_e32 v134, 30, v132
	v_lshlrev_b32_e32 v135, 29, v132
	;; [unrolled: 1-line block ×4, first 2 shown]
	v_add_co_u32 v133, s20, v133, -1
	v_cndmask_b32_e64 v145, 0, 1, s20
	v_not_b32_e32 v149, v134
	v_cmp_gt_i32_e64 s21, 0, v134
	v_not_b32_e32 v134, v135
	v_lshlrev_b32_e32 v147, 26, v132
	v_cmp_ne_u32_e64 s20, 0, v145
	v_ashrrev_i32_e32 v149, 31, v149
	v_lshlrev_b32_e32 v148, 25, v132
	v_ashrrev_i32_e32 v134, 31, v134
	v_lshlrev_b32_e32 v145, 24, v132
	v_xor_b32_e32 v133, s20, v133
	v_cmp_gt_i32_e64 s20, 0, v135
	v_not_b32_e32 v135, v144
	v_xor_b32_e32 v149, s21, v149
	v_cmp_gt_i32_e64 s21, 0, v144
	v_and_b32_e32 v133, exec_lo, v133
	v_not_b32_e32 v144, v146
	v_ashrrev_i32_e32 v135, 31, v135
	v_xor_b32_e32 v134, s20, v134
	v_cmp_gt_i32_e64 s20, 0, v146
	v_and_b32_e32 v133, v133, v149
	v_not_b32_e32 v146, v147
	v_ashrrev_i32_e32 v144, 31, v144
	v_xor_b32_e32 v135, s21, v135
	v_cmp_gt_i32_e64 s21, 0, v147
	v_and_b32_e32 v133, v133, v134
	;; [unrolled: 5-line block ×3, first 2 shown]
	v_not_b32_e32 v135, v145
	v_ashrrev_i32_e32 v134, 31, v134
	v_xor_b32_e32 v146, s21, v146
	v_lshl_add_u32 v132, v132, 3, v40
	v_and_b32_e32 v133, v133, v144
	v_cmp_gt_i32_e64 s21, 0, v145
	v_ashrrev_i32_e32 v135, 31, v135
	v_xor_b32_e32 v134, s20, v134
	v_lshl_add_u32 v144, v132, 2, v12
	v_and_b32_e32 v133, v133, v146
	v_xor_b32_e32 v135, s21, v135
	ds_read_b32 v132, v144 offset:32
	v_and_b32_e32 v133, v133, v134
	v_add_nc_u32_e32 v134, 32, v144
	; wave barrier
	v_and_b32_e32 v135, v133, v135
	v_mbcnt_lo_u32_b32 v133, v135, 0
	v_cmp_ne_u32_e64 s21, 0, v135
	v_cmp_eq_u32_e64 s20, 0, v133
	s_and_b32 s21, s21, s20
	s_and_saveexec_b32 s20, s21
	s_cbranch_execz .LBB193_78
; %bb.77:                               ;   in Loop: Header=BB193_56 Depth=1
	s_waitcnt lgkmcnt(0)
	v_bcnt_u32_b32 v135, v135, v132
	ds_write_b32 v134, v135
.LBB193_78:                             ;   in Loop: Header=BB193_56 Depth=1
	s_or_b32 exec_lo, exec_lo, s20
	v_lshrrev_b32_sdwa v135, v10, v213 dst_sel:DWORD dst_unused:UNUSED_PAD src0_sel:DWORD src1_sel:BYTE_0
	; wave barrier
	v_and_b32_e32 v135, v135, v83
	v_and_b32_e32 v144, 1, v135
	v_lshlrev_b32_e32 v145, 30, v135
	v_lshlrev_b32_e32 v146, 29, v135
	;; [unrolled: 1-line block ×4, first 2 shown]
	v_add_co_u32 v144, s20, v144, -1
	v_cndmask_b32_e64 v148, 0, 1, s20
	v_not_b32_e32 v160, v145
	v_cmp_gt_i32_e64 s21, 0, v145
	v_not_b32_e32 v145, v146
	v_lshlrev_b32_e32 v150, 26, v135
	v_cmp_ne_u32_e64 s20, 0, v148
	v_ashrrev_i32_e32 v160, 31, v160
	v_lshlrev_b32_e32 v151, 25, v135
	v_ashrrev_i32_e32 v145, 31, v145
	v_lshlrev_b32_e32 v148, 24, v135
	v_xor_b32_e32 v144, s20, v144
	v_cmp_gt_i32_e64 s20, 0, v146
	v_not_b32_e32 v146, v147
	v_xor_b32_e32 v160, s21, v160
	v_cmp_gt_i32_e64 s21, 0, v147
	v_and_b32_e32 v144, exec_lo, v144
	v_not_b32_e32 v147, v149
	v_ashrrev_i32_e32 v146, 31, v146
	v_xor_b32_e32 v145, s20, v145
	v_cmp_gt_i32_e64 s20, 0, v149
	v_and_b32_e32 v144, v144, v160
	v_not_b32_e32 v149, v150
	v_ashrrev_i32_e32 v147, 31, v147
	v_xor_b32_e32 v146, s21, v146
	v_cmp_gt_i32_e64 s21, 0, v150
	v_and_b32_e32 v144, v144, v145
	;; [unrolled: 5-line block ×3, first 2 shown]
	v_not_b32_e32 v146, v148
	v_ashrrev_i32_e32 v145, 31, v145
	v_xor_b32_e32 v149, s21, v149
	v_lshl_add_u32 v135, v135, 3, v40
	v_and_b32_e32 v144, v144, v147
	v_cmp_gt_i32_e64 s21, 0, v148
	v_ashrrev_i32_e32 v146, 31, v146
	v_xor_b32_e32 v145, s20, v145
	v_lshl_add_u32 v147, v135, 2, v12
	v_and_b32_e32 v144, v144, v149
	v_xor_b32_e32 v146, s21, v146
	ds_read_b32 v135, v147 offset:32
	v_and_b32_e32 v144, v144, v145
	v_add_nc_u32_e32 v145, 32, v147
	; wave barrier
	v_and_b32_e32 v146, v144, v146
	v_mbcnt_lo_u32_b32 v144, v146, 0
	v_cmp_ne_u32_e64 s21, 0, v146
	v_cmp_eq_u32_e64 s20, 0, v144
	s_and_b32 s21, s21, s20
	s_and_saveexec_b32 s20, s21
	s_cbranch_execz .LBB193_80
; %bb.79:                               ;   in Loop: Header=BB193_56 Depth=1
	s_waitcnt lgkmcnt(0)
	v_bcnt_u32_b32 v146, v146, v135
	ds_write_b32 v145, v146
.LBB193_80:                             ;   in Loop: Header=BB193_56 Depth=1
	s_or_b32 exec_lo, exec_lo, s20
	v_lshrrev_b32_sdwa v146, v10, v214 dst_sel:DWORD dst_unused:UNUSED_PAD src0_sel:DWORD src1_sel:BYTE_0
	; wave barrier
	v_and_b32_e32 v146, v146, v83
	v_and_b32_e32 v147, 1, v146
	v_lshlrev_b32_e32 v148, 30, v146
	v_lshlrev_b32_e32 v149, 29, v146
	;; [unrolled: 1-line block ×4, first 2 shown]
	v_add_co_u32 v147, s20, v147, -1
	v_cndmask_b32_e64 v151, 0, 1, s20
	v_not_b32_e32 v163, v148
	v_cmp_gt_i32_e64 s21, 0, v148
	v_not_b32_e32 v148, v149
	v_lshlrev_b32_e32 v161, 26, v146
	v_cmp_ne_u32_e64 s20, 0, v151
	v_ashrrev_i32_e32 v163, 31, v163
	v_lshlrev_b32_e32 v162, 25, v146
	v_ashrrev_i32_e32 v148, 31, v148
	v_lshlrev_b32_e32 v151, 24, v146
	v_xor_b32_e32 v147, s20, v147
	v_cmp_gt_i32_e64 s20, 0, v149
	v_not_b32_e32 v149, v150
	v_xor_b32_e32 v163, s21, v163
	v_cmp_gt_i32_e64 s21, 0, v150
	v_and_b32_e32 v147, exec_lo, v147
	v_not_b32_e32 v150, v160
	v_ashrrev_i32_e32 v149, 31, v149
	v_xor_b32_e32 v148, s20, v148
	v_cmp_gt_i32_e64 s20, 0, v160
	v_and_b32_e32 v147, v147, v163
	v_not_b32_e32 v160, v161
	v_ashrrev_i32_e32 v150, 31, v150
	v_xor_b32_e32 v149, s21, v149
	v_cmp_gt_i32_e64 s21, 0, v161
	v_and_b32_e32 v147, v147, v148
	;; [unrolled: 5-line block ×3, first 2 shown]
	v_not_b32_e32 v149, v151
	v_ashrrev_i32_e32 v148, 31, v148
	v_xor_b32_e32 v160, s21, v160
	v_lshl_add_u32 v146, v146, 3, v40
	v_and_b32_e32 v147, v147, v150
	v_cmp_gt_i32_e64 s21, 0, v151
	v_ashrrev_i32_e32 v149, 31, v149
	v_xor_b32_e32 v148, s20, v148
	v_lshl_add_u32 v150, v146, 2, v12
	v_and_b32_e32 v147, v147, v160
	v_xor_b32_e32 v149, s21, v149
	ds_read_b32 v146, v150 offset:32
	v_and_b32_e32 v147, v147, v148
	v_add_nc_u32_e32 v148, 32, v150
	; wave barrier
	v_and_b32_e32 v149, v147, v149
	v_mbcnt_lo_u32_b32 v147, v149, 0
	v_cmp_ne_u32_e64 s21, 0, v149
	v_cmp_eq_u32_e64 s20, 0, v147
	s_and_b32 s21, s21, s20
	s_and_saveexec_b32 s20, s21
	s_cbranch_execz .LBB193_82
; %bb.81:                               ;   in Loop: Header=BB193_56 Depth=1
	s_waitcnt lgkmcnt(0)
	v_bcnt_u32_b32 v149, v149, v146
	ds_write_b32 v148, v149
.LBB193_82:                             ;   in Loop: Header=BB193_56 Depth=1
	s_or_b32 exec_lo, exec_lo, s20
	v_lshrrev_b32_sdwa v149, v10, v215 dst_sel:DWORD dst_unused:UNUSED_PAD src0_sel:DWORD src1_sel:BYTE_0
	; wave barrier
	v_and_b32_e32 v149, v149, v83
	v_and_b32_e32 v150, 1, v149
	v_lshlrev_b32_e32 v151, 30, v149
	v_lshlrev_b32_e32 v160, 29, v149
	;; [unrolled: 1-line block ×4, first 2 shown]
	v_add_co_u32 v150, s20, v150, -1
	v_cndmask_b32_e64 v162, 0, 1, s20
	v_not_b32_e32 v166, v151
	v_cmp_gt_i32_e64 s21, 0, v151
	v_not_b32_e32 v151, v160
	v_lshlrev_b32_e32 v164, 26, v149
	v_cmp_ne_u32_e64 s20, 0, v162
	v_ashrrev_i32_e32 v166, 31, v166
	v_lshlrev_b32_e32 v165, 25, v149
	v_ashrrev_i32_e32 v151, 31, v151
	v_lshlrev_b32_e32 v162, 24, v149
	v_xor_b32_e32 v150, s20, v150
	v_cmp_gt_i32_e64 s20, 0, v160
	v_not_b32_e32 v160, v161
	v_xor_b32_e32 v166, s21, v166
	v_cmp_gt_i32_e64 s21, 0, v161
	v_and_b32_e32 v150, exec_lo, v150
	v_not_b32_e32 v161, v163
	v_ashrrev_i32_e32 v160, 31, v160
	v_xor_b32_e32 v151, s20, v151
	v_cmp_gt_i32_e64 s20, 0, v163
	v_and_b32_e32 v150, v150, v166
	v_not_b32_e32 v163, v164
	v_ashrrev_i32_e32 v161, 31, v161
	v_xor_b32_e32 v160, s21, v160
	v_cmp_gt_i32_e64 s21, 0, v164
	v_and_b32_e32 v150, v150, v151
	;; [unrolled: 5-line block ×3, first 2 shown]
	v_not_b32_e32 v160, v162
	v_ashrrev_i32_e32 v151, 31, v151
	v_xor_b32_e32 v163, s21, v163
	v_lshl_add_u32 v149, v149, 3, v40
	v_and_b32_e32 v150, v150, v161
	v_cmp_gt_i32_e64 s21, 0, v162
	v_ashrrev_i32_e32 v160, 31, v160
	v_xor_b32_e32 v151, s20, v151
	v_lshl_add_u32 v161, v149, 2, v12
	v_and_b32_e32 v150, v150, v163
	v_xor_b32_e32 v160, s21, v160
	ds_read_b32 v149, v161 offset:32
	v_and_b32_e32 v150, v150, v151
	v_add_nc_u32_e32 v151, 32, v161
	; wave barrier
	v_and_b32_e32 v160, v150, v160
	v_mbcnt_lo_u32_b32 v150, v160, 0
	v_cmp_ne_u32_e64 s21, 0, v160
	v_cmp_eq_u32_e64 s20, 0, v150
	s_and_b32 s21, s21, s20
	s_and_saveexec_b32 s20, s21
	s_cbranch_execz .LBB193_84
; %bb.83:                               ;   in Loop: Header=BB193_56 Depth=1
	s_waitcnt lgkmcnt(0)
	v_bcnt_u32_b32 v160, v160, v149
	ds_write_b32 v151, v160
.LBB193_84:                             ;   in Loop: Header=BB193_56 Depth=1
	s_or_b32 exec_lo, exec_lo, s20
	v_lshrrev_b32_sdwa v160, v10, v1 dst_sel:DWORD dst_unused:UNUSED_PAD src0_sel:DWORD src1_sel:BYTE_0
	; wave barrier
	v_and_b32_e32 v160, v160, v83
	v_and_b32_e32 v161, 1, v160
	v_lshlrev_b32_e32 v162, 30, v160
	v_lshlrev_b32_e32 v163, 29, v160
	;; [unrolled: 1-line block ×4, first 2 shown]
	v_add_co_u32 v161, s20, v161, -1
	v_cndmask_b32_e64 v165, 0, 1, s20
	v_not_b32_e32 v177, v162
	v_cmp_gt_i32_e64 s21, 0, v162
	v_not_b32_e32 v162, v163
	v_lshlrev_b32_e32 v167, 26, v160
	v_cmp_ne_u32_e64 s20, 0, v165
	v_ashrrev_i32_e32 v177, 31, v177
	v_lshlrev_b32_e32 v176, 25, v160
	v_ashrrev_i32_e32 v162, 31, v162
	v_lshlrev_b32_e32 v165, 24, v160
	v_xor_b32_e32 v161, s20, v161
	v_cmp_gt_i32_e64 s20, 0, v163
	v_not_b32_e32 v163, v164
	v_xor_b32_e32 v177, s21, v177
	v_cmp_gt_i32_e64 s21, 0, v164
	v_and_b32_e32 v161, exec_lo, v161
	v_not_b32_e32 v164, v166
	v_ashrrev_i32_e32 v163, 31, v163
	v_xor_b32_e32 v162, s20, v162
	v_cmp_gt_i32_e64 s20, 0, v166
	v_and_b32_e32 v161, v161, v177
	v_not_b32_e32 v166, v167
	v_ashrrev_i32_e32 v164, 31, v164
	v_xor_b32_e32 v163, s21, v163
	v_cmp_gt_i32_e64 s21, 0, v167
	v_and_b32_e32 v161, v161, v162
	;; [unrolled: 5-line block ×3, first 2 shown]
	v_not_b32_e32 v163, v165
	v_ashrrev_i32_e32 v162, 31, v162
	v_xor_b32_e32 v166, s21, v166
	v_lshl_add_u32 v160, v160, 3, v40
	v_and_b32_e32 v161, v161, v164
	v_cmp_gt_i32_e64 s21, 0, v165
	v_ashrrev_i32_e32 v163, 31, v163
	v_xor_b32_e32 v162, s20, v162
	v_lshl_add_u32 v164, v160, 2, v12
	v_and_b32_e32 v161, v161, v166
	v_xor_b32_e32 v163, s21, v163
	ds_read_b32 v160, v164 offset:32
	v_and_b32_e32 v161, v161, v162
	v_add_nc_u32_e32 v162, 32, v164
	; wave barrier
	v_and_b32_e32 v163, v161, v163
	v_mbcnt_lo_u32_b32 v161, v163, 0
	v_cmp_ne_u32_e64 s21, 0, v163
	v_cmp_eq_u32_e64 s20, 0, v161
	s_and_b32 s21, s21, s20
	s_and_saveexec_b32 s20, s21
	s_cbranch_execz .LBB193_86
; %bb.85:                               ;   in Loop: Header=BB193_56 Depth=1
	s_waitcnt lgkmcnt(0)
	v_bcnt_u32_b32 v163, v163, v160
	ds_write_b32 v162, v163
.LBB193_86:                             ;   in Loop: Header=BB193_56 Depth=1
	s_or_b32 exec_lo, exec_lo, s20
	v_lshrrev_b32_sdwa v163, v10, v211 dst_sel:DWORD dst_unused:UNUSED_PAD src0_sel:DWORD src1_sel:BYTE_0
	; wave barrier
	v_and_b32_e32 v163, v163, v83
	v_and_b32_e32 v164, 1, v163
	v_lshlrev_b32_e32 v165, 30, v163
	v_lshlrev_b32_e32 v166, 29, v163
	;; [unrolled: 1-line block ×4, first 2 shown]
	v_add_co_u32 v164, s20, v164, -1
	v_cndmask_b32_e64 v176, 0, 1, s20
	v_not_b32_e32 v180, v165
	v_cmp_gt_i32_e64 s21, 0, v165
	v_not_b32_e32 v165, v166
	v_lshlrev_b32_e32 v178, 26, v163
	v_cmp_ne_u32_e64 s20, 0, v176
	v_ashrrev_i32_e32 v180, 31, v180
	v_lshlrev_b32_e32 v179, 25, v163
	v_ashrrev_i32_e32 v165, 31, v165
	v_lshlrev_b32_e32 v176, 24, v163
	v_xor_b32_e32 v164, s20, v164
	v_cmp_gt_i32_e64 s20, 0, v166
	v_not_b32_e32 v166, v167
	v_xor_b32_e32 v180, s21, v180
	v_cmp_gt_i32_e64 s21, 0, v167
	v_and_b32_e32 v164, exec_lo, v164
	v_not_b32_e32 v167, v177
	v_ashrrev_i32_e32 v166, 31, v166
	v_xor_b32_e32 v165, s20, v165
	v_cmp_gt_i32_e64 s20, 0, v177
	v_and_b32_e32 v164, v164, v180
	v_not_b32_e32 v177, v178
	v_ashrrev_i32_e32 v167, 31, v167
	v_xor_b32_e32 v166, s21, v166
	v_cmp_gt_i32_e64 s21, 0, v178
	v_and_b32_e32 v164, v164, v165
	;; [unrolled: 5-line block ×3, first 2 shown]
	v_not_b32_e32 v166, v176
	v_ashrrev_i32_e32 v165, 31, v165
	v_xor_b32_e32 v177, s21, v177
	v_lshl_add_u32 v163, v163, 3, v40
	v_and_b32_e32 v164, v164, v167
	v_cmp_gt_i32_e64 s21, 0, v176
	v_ashrrev_i32_e32 v166, 31, v166
	v_xor_b32_e32 v165, s20, v165
	v_lshl_add_u32 v167, v163, 2, v12
	v_and_b32_e32 v164, v164, v177
	v_xor_b32_e32 v166, s21, v166
	ds_read_b32 v163, v167 offset:32
	v_and_b32_e32 v164, v164, v165
	v_add_nc_u32_e32 v165, 32, v167
	; wave barrier
	v_and_b32_e32 v166, v164, v166
	v_mbcnt_lo_u32_b32 v164, v166, 0
	v_cmp_ne_u32_e64 s21, 0, v166
	v_cmp_eq_u32_e64 s20, 0, v164
	s_and_b32 s21, s21, s20
	s_and_saveexec_b32 s20, s21
	s_cbranch_execz .LBB193_88
; %bb.87:                               ;   in Loop: Header=BB193_56 Depth=1
	s_waitcnt lgkmcnt(0)
	v_bcnt_u32_b32 v166, v166, v163
	ds_write_b32 v165, v166
.LBB193_88:                             ;   in Loop: Header=BB193_56 Depth=1
	s_or_b32 exec_lo, exec_lo, s20
	v_lshrrev_b32_sdwa v166, v10, v36 dst_sel:DWORD dst_unused:UNUSED_PAD src0_sel:DWORD src1_sel:BYTE_0
	; wave barrier
	v_and_b32_e32 v83, v166, v83
	v_and_b32_e32 v166, 1, v83
	v_lshlrev_b32_e32 v167, 30, v83
	v_lshlrev_b32_e32 v176, 29, v83
	;; [unrolled: 1-line block ×4, first 2 shown]
	v_add_co_u32 v166, s20, v166, -1
	v_cndmask_b32_e64 v178, 0, 1, s20
	v_not_b32_e32 v182, v167
	v_cmp_gt_i32_e64 s21, 0, v167
	v_not_b32_e32 v167, v176
	v_lshlrev_b32_e32 v180, 26, v83
	v_cmp_ne_u32_e64 s20, 0, v178
	v_ashrrev_i32_e32 v182, 31, v182
	v_lshlrev_b32_e32 v181, 25, v83
	v_ashrrev_i32_e32 v167, 31, v167
	v_lshlrev_b32_e32 v178, 24, v83
	v_xor_b32_e32 v166, s20, v166
	v_cmp_gt_i32_e64 s20, 0, v176
	v_not_b32_e32 v176, v177
	v_xor_b32_e32 v182, s21, v182
	v_cmp_gt_i32_e64 s21, 0, v177
	v_and_b32_e32 v166, exec_lo, v166
	v_not_b32_e32 v177, v179
	v_ashrrev_i32_e32 v176, 31, v176
	v_xor_b32_e32 v167, s20, v167
	v_cmp_gt_i32_e64 s20, 0, v179
	v_and_b32_e32 v166, v166, v182
	v_not_b32_e32 v179, v180
	v_ashrrev_i32_e32 v177, 31, v177
	v_xor_b32_e32 v176, s21, v176
	v_cmp_gt_i32_e64 s21, 0, v180
	v_and_b32_e32 v166, v166, v167
	v_not_b32_e32 v167, v181
	v_ashrrev_i32_e32 v179, 31, v179
	v_xor_b32_e32 v177, s20, v177
	v_cmp_gt_i32_e64 s20, 0, v181
	v_and_b32_e32 v166, v166, v176
	v_not_b32_e32 v176, v178
	v_ashrrev_i32_e32 v167, 31, v167
	v_xor_b32_e32 v179, s21, v179
	v_lshl_add_u32 v83, v83, 3, v40
	v_and_b32_e32 v166, v166, v177
	v_cmp_gt_i32_e64 s21, 0, v178
	v_ashrrev_i32_e32 v176, 31, v176
	v_xor_b32_e32 v167, s20, v167
	v_lshl_add_u32 v177, v83, 2, v12
	v_and_b32_e32 v166, v166, v179
	v_xor_b32_e32 v176, s21, v176
	ds_read_b32 v83, v177 offset:32
	v_and_b32_e32 v166, v166, v167
	v_add_nc_u32_e32 v167, 32, v177
	; wave barrier
	v_and_b32_e32 v176, v166, v176
	v_mbcnt_lo_u32_b32 v166, v176, 0
	v_cmp_ne_u32_e64 s21, 0, v176
	v_cmp_eq_u32_e64 s20, 0, v166
	s_and_b32 s21, s21, s20
	s_and_saveexec_b32 s20, s21
	s_cbranch_execz .LBB193_90
; %bb.89:                               ;   in Loop: Header=BB193_56 Depth=1
	s_waitcnt lgkmcnt(0)
	v_bcnt_u32_b32 v176, v176, v83
	ds_write_b32 v167, v176
.LBB193_90:                             ;   in Loop: Header=BB193_56 Depth=1
	s_or_b32 exec_lo, exec_lo, s20
	; wave barrier
	s_waitcnt lgkmcnt(0)
	s_barrier
	buffer_gl0_inv
	ds_read_b32 v181, v9
	ds_read_b32 v182, v241
	;; [unrolled: 1-line block ×8, first 2 shown]
	s_waitcnt lgkmcnt(6)
	v_add_nc_u32_e32 v192, v182, v181
	s_waitcnt lgkmcnt(4)
	v_add3_u32 v192, v192, v180, v179
	s_waitcnt lgkmcnt(2)
	v_add3_u32 v192, v192, v178, v177
	;; [unrolled: 2-line block ×3, first 2 shown]
	v_mov_b32_dpp v192, v183 row_shr:1 row_mask:0xf bank_mask:0xf
	v_cndmask_b32_e64 v192, v192, 0, vcc_lo
	v_add_nc_u32_e32 v183, v192, v183
	v_mov_b32_dpp v192, v183 row_shr:2 row_mask:0xf bank_mask:0xf
	v_cndmask_b32_e64 v192, 0, v192, s4
	v_add_nc_u32_e32 v183, v183, v192
	v_mov_b32_dpp v192, v183 row_shr:4 row_mask:0xf bank_mask:0xf
	v_cndmask_b32_e64 v192, 0, v192, s5
	;; [unrolled: 3-line block ×3, first 2 shown]
	v_add_nc_u32_e32 v183, v183, v192
	ds_swizzle_b32 v192, v183 offset:swizzle(BROADCAST,32,15)
	s_waitcnt lgkmcnt(0)
	v_cndmask_b32_e64 v192, v192, 0, s10
	v_add_nc_u32_e32 v183, v183, v192
	s_and_saveexec_b32 s20, s11
; %bb.91:                               ;   in Loop: Header=BB193_56 Depth=1
	ds_write_b32 v5, v183
; %bb.92:                               ;   in Loop: Header=BB193_56 Depth=1
	s_or_b32 exec_lo, exec_lo, s20
	s_waitcnt lgkmcnt(0)
	s_barrier
	buffer_gl0_inv
	s_and_saveexec_b32 s20, s14
	s_cbranch_execz .LBB193_94
; %bb.93:                               ;   in Loop: Header=BB193_56 Depth=1
	ds_read_b32 v192, v43
	s_waitcnt lgkmcnt(0)
	v_mov_b32_dpp v193, v192 row_shr:1 row_mask:0xf bank_mask:0xf
	v_cndmask_b32_e64 v193, v193, 0, s17
	v_add_nc_u32_e32 v192, v193, v192
	v_mov_b32_dpp v193, v192 row_shr:2 row_mask:0xf bank_mask:0xf
	v_cndmask_b32_e64 v193, 0, v193, s18
	v_add_nc_u32_e32 v192, v192, v193
	;; [unrolled: 3-line block ×3, first 2 shown]
	ds_write_b32 v43, v192
.LBB193_94:                             ;   in Loop: Header=BB193_56 Depth=1
	s_or_b32 exec_lo, exec_lo, s20
	v_mov_b32_e32 v192, 0
	s_waitcnt lgkmcnt(0)
	s_barrier
	buffer_gl0_inv
	s_and_saveexec_b32 s20, s15
; %bb.95:                               ;   in Loop: Header=BB193_56 Depth=1
	v_add_nc_u32_e32 v192, -4, v5
	ds_read_b32 v192, v192
; %bb.96:                               ;   in Loop: Header=BB193_56 Depth=1
	s_or_b32 exec_lo, exec_lo, s20
	s_waitcnt lgkmcnt(0)
	v_add_nc_u32_e32 v183, v192, v183
	v_add_nc_u32_e32 v10, 8, v10
	v_mov_b32_e32 v62, v229
	v_mov_b32_e32 v63, v230
	;; [unrolled: 1-line block ×3, first 2 shown]
	ds_bpermute_b32 v183, v41, v183
	v_mov_b32_e32 v73, v240
	v_mov_b32_e32 v74, v224
	;; [unrolled: 1-line block ×14, first 2 shown]
	v_cmp_lt_u32_e64 s20, v10, v11
	s_mov_b32 s24, -1
	s_waitcnt lgkmcnt(0)
	v_cndmask_b32_e64 v183, v183, v192, s6
	v_cndmask_b32_e64 v183, v183, 0, s16
	v_add_nc_u32_e32 v181, v183, v181
	v_add_nc_u32_e32 v182, v181, v182
	ds_write_b32 v9, v183
	ds_write_b32 v241, v181
	;; [unrolled: 1-line block ×3, first 2 shown]
	v_add_nc_u32_e32 v180, v182, v180
	v_add_nc_u32_e32 v179, v180, v179
	;; [unrolled: 1-line block ×5, first 2 shown]
	ds_write_b32 v243, v180
	ds_write_b32 v244, v179
	;; [unrolled: 1-line block ×5, first 2 shown]
	s_waitcnt lgkmcnt(0)
	s_barrier
	buffer_gl0_inv
	ds_read_b32 v71, v71
	ds_read_b32 v82, v82
	;; [unrolled: 1-line block ×17, first 2 shown]
	s_waitcnt lgkmcnt(0)
	v_add_nc_u32_e32 v125, v71, v70
	v_add3_u32 v124, v81, v80, v82
	v_add3_u32 v123, v85, v84, v86
	;; [unrolled: 1-line block ×11, first 2 shown]
	v_add_co_u32 v144, s21, v12, v125
	v_add3_u32 v105, v147, v146, v148
	v_add_co_ci_u32_e64 v145, null, 0, v13, s21
	v_add_co_u32 v146, s21, v12, v124
	v_add_co_ci_u32_e64 v147, null, 0, v13, s21
	v_add_co_u32 v148, s21, v12, v123
	v_add3_u32 v104, v150, v149, v151
	v_add_co_ci_u32_e64 v149, null, 0, v13, s21
	v_add_co_u32 v150, s21, v12, v122
	v_add3_u32 v95, v161, v160, v162
	v_add_co_ci_u32_e64 v151, null, 0, v13, s21
	v_add_co_u32 v160, s21, v12, v121
	v_add_co_ci_u32_e64 v161, null, 0, v13, s21
	v_add_co_u32 v162, s21, v12, v120
	v_add3_u32 v94, v164, v163, v165
	v_add_co_ci_u32_e64 v163, null, 0, v13, s21
	v_add_co_u32 v164, s21, v12, v111
	v_add3_u32 v93, v166, v83, v167
	v_add_co_ci_u32_e64 v165, null, 0, v13, s21
	v_add_co_u32 v166, s21, v12, v110
	v_add_co_ci_u32_e64 v167, null, 0, v13, s21
	v_add_co_u32 v176, s21, v12, v109
	v_add_co_ci_u32_e64 v177, null, 0, v13, s21
	v_add_co_u32 v178, s21, v12, v108
	v_add_co_ci_u32_e64 v179, null, 0, v13, s21
	v_add_co_u32 v180, s21, v12, v107
	v_add_co_ci_u32_e64 v181, null, 0, v13, s21
	v_add_co_u32 v182, s21, v12, v106
	v_add_co_ci_u32_e64 v183, null, 0, v13, s21
	v_add_co_u32 v192, s21, v12, v105
	v_add_co_ci_u32_e64 v193, null, 0, v13, s21
	v_add_co_u32 v194, s21, v12, v104
	v_add_co_ci_u32_e64 v195, null, 0, v13, s21
	v_add_co_u32 v196, s21, v12, v95
	v_add_co_ci_u32_e64 v197, null, 0, v13, s21
	v_add_co_u32 v208, s21, v12, v94
	v_add_co_ci_u32_e64 v209, null, 0, v13, s21
	v_add_co_u32 v198, s21, v12, v93
	v_add_co_ci_u32_e64 v199, null, 0, v13, s21
                                        ; implicit-def: $vgpr70_vgpr71
                                        ; implicit-def: $vgpr80_vgpr81
                                        ; implicit-def: $vgpr82_vgpr83
                                        ; implicit-def: $vgpr84_vgpr85
                                        ; implicit-def: $vgpr86_vgpr87
                                        ; implicit-def: $vgpr96_vgpr97
                                        ; implicit-def: $vgpr98_vgpr99
                                        ; implicit-def: $vgpr100_vgpr101
                                        ; implicit-def: $vgpr102_vgpr103
                                        ; implicit-def: $vgpr112_vgpr113
                                        ; implicit-def: $vgpr114_vgpr115
                                        ; implicit-def: $vgpr128_vgpr129
                                        ; implicit-def: $vgpr130_vgpr131
                                        ; implicit-def: $vgpr132_vgpr133
                                        ; implicit-def: $vgpr134_vgpr135
                                        ; implicit-def: $vgpr116_vgpr117
                                        ; implicit-def: $vgpr118_vgpr119
	s_and_saveexec_b32 s21, s20
	s_cbranch_execz .LBB193_55
; %bb.97:                               ;   in Loop: Header=BB193_56 Depth=1
	s_barrier
	buffer_gl0_inv
	ds_write_b8 v144, v229
	ds_write_b8 v146, v230
	;; [unrolled: 1-line block ×17, first 2 shown]
	v_add_nc_u32_e32 v1, 0x200, v4
	v_add_nc_u32_e32 v39, 0x1e0, v4
	;; [unrolled: 1-line block ×3, first 2 shown]
	s_waitcnt lgkmcnt(0)
	s_barrier
	buffer_gl0_inv
	ds_read_u8 v36, v1
	ds_read_u8 v211, v39
	;; [unrolled: 1-line block ×3, first 2 shown]
	v_add_nc_u32_e32 v39, 0x1a0, v4
	v_add_nc_u32_e32 v70, 0x180, v4
	;; [unrolled: 1-line block ×5, first 2 shown]
	ds_read_u8 v215, v39
	ds_read_u8 v214, v70
	;; [unrolled: 1-line block ×5, first 2 shown]
	v_add_nc_u32_e32 v70, 0x100, v4
	v_add_nc_u32_e32 v71, 0xe0, v4
	;; [unrolled: 1-line block ×5, first 2 shown]
	ds_read_u8 v228, v70
	ds_read_u8 v227, v71
	;; [unrolled: 1-line block ×5, first 2 shown]
	v_mad_u64_u32 v[70:71], null, v125, 7, v[144:145]
	v_add_nc_u32_e32 v80, 0x60, v4
	v_add_nc_u32_e32 v81, 64, v4
	;; [unrolled: 1-line block ×3, first 2 shown]
	ds_read_u8 v240, v80
	ds_read_u8 v231, v81
	ds_read_u8 v230, v82
	ds_read_u8 v229, v4
	s_waitcnt lgkmcnt(0)
	s_barrier
	buffer_gl0_inv
	ds_write_b64 v70, v[34:35]
	v_mad_u64_u32 v[70:71], null, v124, 7, v[146:147]
	v_mad_u64_u32 v[80:81], null, v123, 7, v[148:149]
	;; [unrolled: 1-line block ×8, first 2 shown]
	ds_write_b64 v70, v[32:33]
	ds_write_b64 v80, v[30:31]
	;; [unrolled: 1-line block ×8, first 2 shown]
	v_mad_u64_u32 v[70:71], null, v108, 7, v[178:179]
	v_mad_u64_u32 v[80:81], null, v107, 7, v[180:181]
	;; [unrolled: 1-line block ×8, first 2 shown]
	ds_write_b64 v70, v[20:21]
	ds_write_b64 v80, v[28:29]
	;; [unrolled: 1-line block ×8, first 2 shown]
	v_add_nc_u32_e32 v84, 0x300, v15
	v_add_nc_u32_e32 v80, 0x100, v15
	;; [unrolled: 1-line block ×7, first 2 shown]
	s_waitcnt lgkmcnt(0)
	s_barrier
	buffer_gl0_inv
	ds_read_b64 v[70:71], v15
	ds_read_b64 v[80:81], v80
	;; [unrolled: 1-line block ×17, first 2 shown]
	v_add_nc_u32_e32 v61, -8, v61
	s_xor_b32 s24, exec_lo, -1
	s_waitcnt lgkmcnt(0)
	s_barrier
	buffer_gl0_inv
	s_branch .LBB193_55
.LBB193_98:
	s_or_b32 exec_lo, exec_lo, s23
	v_add_nc_u32_e32 v1, v12, v14
	v_lshl_add_u32 v4, v125, 3, v12
	v_lshl_add_u32 v5, v124, 3, v12
	;; [unrolled: 1-line block ×3, first 2 shown]
	s_barrier
	buffer_gl0_inv
	ds_write_b8 v144, v62
	ds_write_b8 v146, v63
	;; [unrolled: 1-line block ×17, first 2 shown]
	s_waitcnt lgkmcnt(0)
	s_barrier
	buffer_gl0_inv
	ds_read_u8 v101, v1
	ds_read_u8 v100, v1 offset:256
	ds_read_u8 v99, v1 offset:512
	;; [unrolled: 1-line block ×16, first 2 shown]
	s_waitcnt lgkmcnt(0)
	s_barrier
	buffer_gl0_inv
	ds_write_b64 v4, v[34:35]
	ds_write_b64 v5, v[32:33]
	;; [unrolled: 1-line block ×3, first 2 shown]
	v_lshl_add_u32 v4, v122, 3, v12
	v_lshl_add_u32 v5, v121, 3, v12
	;; [unrolled: 1-line block ×5, first 2 shown]
	ds_write_b64 v4, v[52:53]
	ds_write_b64 v5, v[50:51]
	ds_write_b64 v9, v[48:49]
	ds_write_b64 v10, v[64:65]
	ds_write_b64 v11, v[54:55]
	v_lshl_add_u32 v4, v109, 3, v12
	v_lshl_add_u32 v5, v108, 3, v12
	;; [unrolled: 1-line block ×5, first 2 shown]
	ds_write_b64 v4, v[22:23]
	ds_write_b64 v5, v[20:21]
	;; [unrolled: 1-line block ×5, first 2 shown]
	v_mul_u32_u24_e32 v10, 7, v14
	v_lshl_add_u32 v4, v104, 3, v12
	v_lshl_add_u32 v11, v93, 3, v12
	v_lshl_add_u32 v5, v95, 3, v12
	v_lshl_add_u32 v9, v94, 3, v12
	v_add_nc_u32_e32 v1, v1, v10
	ds_write_b64 v4, v[16:17]
	ds_write_b64 v5, v[18:19]
	;; [unrolled: 1-line block ×4, first 2 shown]
	s_waitcnt lgkmcnt(0)
	s_barrier
	buffer_gl0_inv
	ds_read2st64_b64 v[48:51], v1 offset1:4
	ds_read2st64_b64 v[33:36], v1 offset0:8 offset1:12
	ds_read2st64_b64 v[29:32], v1 offset0:16 offset1:20
	;; [unrolled: 1-line block ×7, first 2 shown]
	ds_read_b64 v[4:5], v1 offset:32768
	v_add_co_u32 v2, vcc_lo, v2, v8
	v_add_co_ci_u32_e64 v3, null, 0, v3, vcc_lo
	v_mov_b32_e32 v1, 0
	v_add_co_u32 v2, vcc_lo, v2, v0
	v_add_co_ci_u32_e64 v3, null, 0, v3, vcc_lo
	v_cmp_lt_u32_e64 s16, v0, v210
	s_waitcnt lgkmcnt(0)
	s_barrier
	buffer_gl0_inv
	s_and_saveexec_b32 s4, s16
	s_cbranch_execz .LBB193_100
; %bb.99:
	flat_store_byte v[2:3], v101
.LBB193_100:
	s_or_b32 exec_lo, exec_lo, s4
	v_add_nc_u32_e32 v8, 0x100, v0
	v_cmp_lt_u32_e64 s21, v8, v210
	s_and_saveexec_b32 s4, s21
	s_cbranch_execz .LBB193_102
; %bb.101:
	flat_store_byte v[2:3], v100 offset:256
.LBB193_102:
	s_or_b32 exec_lo, exec_lo, s4
	v_add_nc_u32_e32 v8, 0x200, v0
	v_cmp_lt_u32_e64 s19, v8, v210
	s_and_saveexec_b32 s4, s19
	s_cbranch_execz .LBB193_104
; %bb.103:
	flat_store_byte v[2:3], v99 offset:512
.LBB193_104:
	;; [unrolled: 8-line block ×7, first 2 shown]
	s_or_b32 exec_lo, exec_lo, s5
	v_add_nc_u32_e32 v8, 0x800, v0
	v_cmp_lt_u32_e32 vcc_lo, v8, v210
	s_and_saveexec_b32 s7, vcc_lo
	s_cbranch_execz .LBB193_116
; %bb.115:
	v_add_co_u32 v52, s5, 0x800, v2
	v_add_co_ci_u32_e64 v53, null, 0, v3, s5
	flat_store_byte v[52:53], v85
.LBB193_116:
	s_or_b32 exec_lo, exec_lo, s7
	v_add_nc_u32_e32 v8, 0x900, v0
	v_cmp_lt_u32_e64 s5, v8, v210
	s_and_saveexec_b32 s11, s5
	s_cbranch_execz .LBB193_118
; %bb.117:
	v_add_co_u32 v52, s7, 0x800, v2
	v_add_co_ci_u32_e64 v53, null, 0, v3, s7
	flat_store_byte v[52:53], v84 offset:256
.LBB193_118:
	s_or_b32 exec_lo, exec_lo, s11
	v_add_nc_u32_e32 v8, 0xa00, v0
	v_cmp_lt_u32_e64 s7, v8, v210
	s_and_saveexec_b32 s15, s7
	s_cbranch_execz .LBB193_120
; %bb.119:
	v_add_co_u32 v52, s11, 0x800, v2
	v_add_co_ci_u32_e64 v53, null, 0, v3, s11
	flat_store_byte v[52:53], v83 offset:512
.LBB193_120:
	;; [unrolled: 10-line block ×7, first 2 shown]
	s_or_b32 exec_lo, exec_lo, s24
	v_add_nc_u32_e32 v8, 0x1000, v0
	v_cmp_lt_u32_e64 s23, v8, v210
	s_and_saveexec_b32 s27, s23
	s_cbranch_execz .LBB193_132
; %bb.131:
	v_add_co_u32 v2, s24, 0x1000, v2
	v_add_co_ci_u32_e64 v3, null, 0, v3, s24
	flat_store_byte v[2:3], v39
.LBB193_132:
	s_or_b32 exec_lo, exec_lo, s27
	v_lshlrev_b64 v[0:1], 3, v[0:1]
	v_add_co_u32 v2, s24, v6, v37
	v_add_co_ci_u32_e64 v3, null, v7, v38, s24
	v_add_co_u32 v0, s24, v2, v0
	v_add_co_ci_u32_e64 v1, null, v3, v1, s24
	s_and_saveexec_b32 s24, s16
	s_cbranch_execnz .LBB193_220
; %bb.133:
	s_or_b32 exec_lo, exec_lo, s24
	s_and_saveexec_b32 s24, s21
	s_cbranch_execnz .LBB193_221
.LBB193_134:
	s_or_b32 exec_lo, exec_lo, s24
	s_and_saveexec_b32 s21, s19
	s_cbranch_execnz .LBB193_222
.LBB193_135:
	s_or_b32 exec_lo, exec_lo, s21
	s_and_saveexec_b32 s19, s17
	s_cbranch_execnz .LBB193_223
.LBB193_136:
	s_or_b32 exec_lo, exec_lo, s19
	s_and_saveexec_b32 s16, s14
	s_cbranch_execnz .LBB193_224
.LBB193_137:
	s_or_b32 exec_lo, exec_lo, s16
	s_and_saveexec_b32 s14, s10
	s_cbranch_execnz .LBB193_225
.LBB193_138:
	s_or_b32 exec_lo, exec_lo, s14
	s_and_saveexec_b32 s10, s6
	s_cbranch_execnz .LBB193_226
.LBB193_139:
	s_or_b32 exec_lo, exec_lo, s10
	s_and_saveexec_b32 s6, s4
	s_cbranch_execnz .LBB193_227
.LBB193_140:
	s_or_b32 exec_lo, exec_lo, s6
	s_and_saveexec_b32 s4, vcc_lo
	s_cbranch_execnz .LBB193_228
.LBB193_141:
	s_or_b32 exec_lo, exec_lo, s4
	s_and_saveexec_b32 s4, s5
	s_cbranch_execnz .LBB193_229
.LBB193_142:
	s_or_b32 exec_lo, exec_lo, s4
	s_and_saveexec_b32 s4, s7
	s_cbranch_execnz .LBB193_230
.LBB193_143:
	s_or_b32 exec_lo, exec_lo, s4
	s_and_saveexec_b32 s4, s11
	s_cbranch_execnz .LBB193_231
.LBB193_144:
	s_or_b32 exec_lo, exec_lo, s4
	s_and_saveexec_b32 s4, s15
	s_cbranch_execnz .LBB193_232
.LBB193_145:
	s_or_b32 exec_lo, exec_lo, s4
	s_and_saveexec_b32 s4, s18
	s_cbranch_execnz .LBB193_233
.LBB193_146:
	s_or_b32 exec_lo, exec_lo, s4
	s_and_saveexec_b32 s4, s20
	s_cbranch_execnz .LBB193_234
.LBB193_147:
	s_or_b32 exec_lo, exec_lo, s4
	s_and_saveexec_b32 s4, s22
	s_cbranch_execnz .LBB193_235
.LBB193_148:
	s_or_b32 exec_lo, exec_lo, s4
	s_and_saveexec_b32 s4, s23
	s_cbranch_execz .LBB193_150
.LBB193_149:
	v_add_co_u32 v0, vcc_lo, 0x8000, v0
	v_add_co_ci_u32_e64 v1, null, 0, v1, vcc_lo
	flat_store_dwordx2 v[0:1], v[4:5]
.LBB193_150:
	s_or_b32 exec_lo, exec_lo, s4
                                        ; implicit-def: $vgpr210
                                        ; implicit-def: $vgpr0
                                        ; implicit-def: $vgpr1
                                        ; implicit-def: $vgpr2
                                        ; implicit-def: $vgpr3
                                        ; implicit-def: $vgpr4
                                        ; implicit-def: $vgpr5
                                        ; implicit-def: $vgpr6
                                        ; implicit-def: $vgpr7
                                        ; implicit-def: $vgpr8
                                        ; implicit-def: $vgpr10
                                        ; implicit-def: $vgpr11
                                        ; implicit-def: $vgpr12
                                        ; implicit-def: $vgpr13
                                        ; implicit-def: $vgpr15
                                        ; implicit-def: $vgpr16
                                        ; implicit-def: $vgpr14
                                        ; implicit-def: $vgpr54
.LBB193_151:
	s_andn2_saveexec_b32 s4, s26
	s_cbranch_execz .LBB193_382
; %bb.152:
	s_mov_b32 s4, exec_lo
	v_cmpx_lt_u32_e32 0x400, v210
	s_xor_b32 s22, exec_lo, s4
	s_cbranch_execz .LBB193_262
; %bb.153:
	s_load_dwordx2 s[4:5], s[8:9], 0x0
	v_mov_b32_e32 v9, 0
	v_add_co_u32 v0, vcc_lo, v0, v8
	v_add_co_ci_u32_e64 v1, null, 0, v1, vcc_lo
	v_mov_b32_e32 v86, 0xff
	v_add_co_u32 v0, vcc_lo, v0, v54
	v_add_co_ci_u32_e64 v1, null, 0, v1, vcc_lo
	v_mov_b32_e32 v87, 0xff
	v_mov_b32_e32 v96, 0xff
	;; [unrolled: 1-line block ×7, first 2 shown]
	s_waitcnt lgkmcnt(0)
	s_cmp_lt_u32 s13, s5
	s_cselect_b32 s5, 14, 20
	s_add_u32 s6, s8, s5
	s_addc_u32 s7, s9, 0
	s_cmp_lt_u32 s12, s4
	global_load_ushort v17, v9, s[6:7]
	s_cselect_b32 s4, 12, 18
	s_add_u32 s4, s8, s4
	s_addc_u32 s5, s9, 0
	global_load_ushort v18, v9, s[4:5]
	s_waitcnt vmcnt(1)
	v_mad_u32_u24 v15, v16, v17, v15
	v_mov_b32_e32 v16, v9
	s_waitcnt vmcnt(0)
	v_mad_u64_u32 v[25:26], null, v15, v18, v[14:15]
	v_lshlrev_b32_e32 v15, 3, v25
	v_and_b32_e32 v15, 0xffffff00, v15
	v_or_b32_e32 v17, v15, v54
	v_add_co_u32 v0, vcc_lo, v0, v15
	v_add_co_ci_u32_e64 v1, null, 0, v1, vcc_lo
	v_cmp_lt_u32_e32 vcc_lo, v17, v210
	s_and_saveexec_b32 s4, vcc_lo
	s_cbranch_execz .LBB193_155
; %bb.154:
	flat_load_ubyte v87, v[0:1]
	v_mov_b32_e32 v86, 0xff
	v_mov_b32_e32 v96, 0xff
	;; [unrolled: 1-line block ×7, first 2 shown]
.LBB193_155:
	s_or_b32 exec_lo, exec_lo, s4
	v_or_b32_e32 v18, 32, v17
	v_cmp_lt_u32_e64 s4, v18, v210
	s_and_saveexec_b32 s5, s4
	s_cbranch_execz .LBB193_157
; %bb.156:
	flat_load_ubyte v96, v[0:1] offset:32
.LBB193_157:
	s_or_b32 exec_lo, exec_lo, s5
	v_or_b32_e32 v18, 64, v17
	v_cmp_lt_u32_e64 s5, v18, v210
	s_and_saveexec_b32 s6, s5
	s_cbranch_execz .LBB193_159
; %bb.158:
	flat_load_ubyte v98, v[0:1] offset:64
.LBB193_159:
	;; [unrolled: 8-line block ×7, first 2 shown]
	s_or_b32 exec_lo, exec_lo, s15
	v_lshlrev_b64 v[0:1], 3, v[8:9]
	v_lshlrev_b32_e32 v9, 3, v54
                                        ; implicit-def: $vgpr32_vgpr33
	v_add_co_u32 v17, s15, v4, v0
	v_add_co_ci_u32_e64 v18, null, v5, v1, s15
	v_lshlrev_b64 v[4:5], 3, v[15:16]
	v_add_co_u32 v9, s15, v17, v9
	v_add_co_ci_u32_e64 v15, null, 0, v18, s15
	v_add_co_u32 v4, s15, v9, v4
	v_add_co_ci_u32_e64 v5, null, v15, v5, s15
	s_and_saveexec_b32 s15, vcc_lo
	s_cbranch_execnz .LBB193_295
; %bb.170:
	s_or_b32 exec_lo, exec_lo, s15
                                        ; implicit-def: $vgpr36_vgpr37
	s_and_saveexec_b32 s15, s4
	s_cbranch_execnz .LBB193_296
.LBB193_171:
	s_or_b32 exec_lo, exec_lo, s15
                                        ; implicit-def: $vgpr38_vgpr39
	s_and_saveexec_b32 s4, s5
	s_cbranch_execnz .LBB193_297
.LBB193_172:
	s_or_b32 exec_lo, exec_lo, s4
                                        ; implicit-def: $vgpr48_vgpr49
	s_and_saveexec_b32 s4, s6
	s_cbranch_execnz .LBB193_298
.LBB193_173:
	s_or_b32 exec_lo, exec_lo, s4
                                        ; implicit-def: $vgpr50_vgpr51
	s_and_saveexec_b32 s4, s7
	s_cbranch_execnz .LBB193_299
.LBB193_174:
	s_or_b32 exec_lo, exec_lo, s4
                                        ; implicit-def: $vgpr52_vgpr53
	s_and_saveexec_b32 s4, s10
	s_cbranch_execnz .LBB193_300
.LBB193_175:
	s_or_b32 exec_lo, exec_lo, s4
                                        ; implicit-def: $vgpr30_vgpr31
	s_and_saveexec_b32 s4, s11
	s_cbranch_execnz .LBB193_301
.LBB193_176:
	s_or_b32 exec_lo, exec_lo, s4
                                        ; implicit-def: $vgpr34_vgpr35
	s_and_saveexec_b32 s4, s14
	s_cbranch_execz .LBB193_178
.LBB193_177:
	flat_load_dwordx2 v[34:35], v[4:5] offset:1792
.LBB193_178:
	s_or_b32 exec_lo, exec_lo, s4
	v_lshl_add_u32 v4, v14, 5, v12
	v_and_b32_e32 v15, 15, v54
	v_sub_co_u32 v17, s6, v54, 1
	s_getpc_b64 s[4:5]
	s_add_u32 s4, s4, _ZN7rocprim17ROCPRIM_400000_NS16block_radix_sortIhLj256ELj8ElLj1ELj1ELj8ELNS0_26block_radix_rank_algorithmE2ELNS0_18block_padding_hintE2ELNS0_4arch9wavefront6targetE0EE19radix_bits_per_passE@rel32@lo+4
	s_addc_u32 s5, s5, _ZN7rocprim17ROCPRIM_400000_NS16block_radix_sortIhLj256ELj8ElLj1ELj1ELj8ELNS0_26block_radix_rank_algorithmE2ELNS0_18block_padding_hintE2ELNS0_4arch9wavefront6targetE0EE19radix_bits_per_passE@rel32@hi+12
	v_add_nc_u32_e32 v9, 32, v4
	v_add_nc_u32_e32 v102, 36, v4
	v_add_nc_u32_e32 v103, 40, v4
	v_add_nc_u32_e32 v112, 44, v4
	v_add_nc_u32_e32 v113, 48, v4
	v_add_nc_u32_e32 v114, 52, v4
	v_add_nc_u32_e32 v115, 56, v4
	v_add_nc_u32_e32 v116, 60, v4
	v_and_b32_e32 v4, 0x3e0, v14
	v_lshlrev_b32_e32 v5, 3, v14
	s_load_dword s23, s[4:5], 0x0
	v_cmp_eq_u32_e32 vcc_lo, 0, v15
	v_cmp_lt_u32_e64 s4, 1, v15
	v_min_u32_e32 v4, 0xe0, v4
	v_cmp_lt_u32_e64 s5, 3, v15
	v_and_b32_e32 v16, 16, v54
	v_cmp_lt_u32_e64 s7, 7, v15
	v_lshrrev_b32_e32 v15, 3, v14
	v_or_b32_e32 v4, 31, v4
	v_cmp_gt_i32_e64 s11, 0, v17
	v_cmp_eq_u32_e64 s10, 0, v16
	v_and_or_b32 v5, 0x1f00, v5, v54
	v_lshrrev_b32_e32 v117, 5, v25
	v_cmp_gt_u32_e64 s14, 8, v14
	v_cndmask_b32_e64 v16, v17, v54, s11
	v_cmp_eq_u32_e64 s11, v14, v4
	v_and_b32_e32 v4, 0x7c, v15
	v_add_nc_u32_e32 v130, v12, v5
	v_and_b32_e32 v15, 7, v54
	v_cmp_lt_u32_e64 s15, 31, v14
	v_lshlrev_b32_e32 v118, 2, v16
	v_add_nc_u32_e32 v119, v12, v4
	v_mul_u32_u24_e32 v4, 7, v5
	v_cmp_eq_u32_e64 s16, 0, v14
	v_mov_b32_e32 v128, 0
	v_lshl_add_u32 v129, v14, 2, v12
	v_cmp_eq_u32_e64 s17, 0, v15
	v_add_nc_u32_e32 v135, v130, v4
	v_cmp_lt_u32_e64 s18, 1, v15
	v_cmp_lt_u32_e64 s19, 3, v15
	v_add_nc_u32_e32 v131, -4, v119
	v_add_nc_u32_e32 v132, 32, v130
	v_add_nc_u32_e32 v133, 64, v130
	;; [unrolled: 1-line block ×14, first 2 shown]
	v_sub_nc_u32_e32 v163, v11, v10
	s_mov_b32 s24, 0
	s_waitcnt vmcnt(0) lgkmcnt(0)
	s_waitcnt_vscnt null, 0x0
	s_barrier
	buffer_gl0_inv
	s_branch .LBB193_180
.LBB193_179:                            ;   in Loop: Header=BB193_180 Depth=1
	s_or_b32 exec_lo, exec_lo, s21
	s_and_b32 s20, exec_lo, s26
	s_or_b32 s24, s20, s24
	s_andn2_b32 exec_lo, exec_lo, s24
	s_cbranch_execz .LBB193_236
.LBB193_180:                            ; =>This Inner Loop Header: Depth=1
	v_min_u32_e32 v4, s23, v163
	v_lshrrev_b32_sdwa v5, v10, v87 dst_sel:DWORD dst_unused:UNUSED_PAD src0_sel:DWORD src1_sel:BYTE_0
	v_mov_b32_e32 v23, v32
	v_mov_b32_e32 v24, v33
	v_mov_b32_e32 v19, v38
	v_lshlrev_b32_e64 v4, v4, -1
	v_mov_b32_e32 v20, v39
	v_mov_b32_e32 v21, v36
	;; [unrolled: 1-line block ×4, first 2 shown]
	v_not_b32_e32 v54, v4
	v_mov_b32_e32 v15, v50
	v_mov_b32_e32 v18, v49
	;; [unrolled: 1-line block ×3, first 2 shown]
	ds_write_b32 v9, v128
	ds_write_b32 v102, v128
	v_and_b32_e32 v32, v5, v54
	v_mov_b32_e32 v4, v52
	v_mov_b32_e32 v5, v53
	ds_write_b32 v103, v128
	ds_write_b32 v112, v128
	;; [unrolled: 1-line block ×3, first 2 shown]
	v_and_b32_e32 v26, 1, v32
	v_lshlrev_b32_e32 v27, 30, v32
	v_lshlrev_b32_e32 v28, 29, v32
	;; [unrolled: 1-line block ×4, first 2 shown]
	v_add_co_u32 v26, s20, v26, -1
	v_cndmask_b32_e64 v33, 0, 1, s20
	v_not_b32_e32 v39, v27
	v_cmp_gt_i32_e64 s21, 0, v27
	v_not_b32_e32 v27, v28
	v_lshlrev_b32_e32 v37, 26, v32
	v_cmp_ne_u32_e64 s20, 0, v33
	v_ashrrev_i32_e32 v39, 31, v39
	v_lshlrev_b32_e32 v38, 25, v32
	v_ashrrev_i32_e32 v27, 31, v27
	v_lshlrev_b32_e32 v33, 24, v32
	v_xor_b32_e32 v26, s20, v26
	v_cmp_gt_i32_e64 s20, 0, v28
	v_not_b32_e32 v28, v29
	v_xor_b32_e32 v39, s21, v39
	v_cmp_gt_i32_e64 s21, 0, v29
	v_and_b32_e32 v26, exec_lo, v26
	v_not_b32_e32 v29, v36
	v_ashrrev_i32_e32 v28, 31, v28
	v_xor_b32_e32 v27, s20, v27
	v_cmp_gt_i32_e64 s20, 0, v36
	v_and_b32_e32 v26, v26, v39
	v_not_b32_e32 v36, v37
	v_ashrrev_i32_e32 v29, 31, v29
	v_xor_b32_e32 v28, s21, v28
	v_cmp_gt_i32_e64 s21, 0, v37
	v_and_b32_e32 v26, v26, v27
	;; [unrolled: 5-line block ×4, first 2 shown]
	v_mov_b32_e32 v26, v30
	v_mov_b32_e32 v27, v31
	v_ashrrev_i32_e32 v30, 31, v28
	v_xor_b32_e32 v31, s20, v37
	v_and_b32_e32 v33, v29, v36
	v_mov_b32_e32 v28, v34
	v_mov_b32_e32 v29, v35
	v_xor_b32_e32 v30, s21, v30
	ds_write_b32 v114, v128
	ds_write_b32 v115, v128
	v_and_b32_e32 v31, v33, v31
	v_lshlrev_b32_e32 v33, 3, v32
	ds_write_b32 v116, v128
	s_waitcnt lgkmcnt(0)
	s_barrier
	v_and_b32_e32 v32, v31, v30
	v_add_lshl_u32 v31, v33, v117, 2
	buffer_gl0_inv
	; wave barrier
	v_mbcnt_lo_u32_b32 v30, v32, 0
	v_add_co_u32 v31, null, v12, v31
	v_cmp_ne_u32_e64 s21, 0, v32
	v_cmp_eq_u32_e64 s20, 0, v30
	v_add_co_u32 v31, null, v31, 32
	s_and_b32 s21, s21, s20
	s_and_saveexec_b32 s20, s21
; %bb.181:                              ;   in Loop: Header=BB193_180 Depth=1
	v_bcnt_u32_b32 v32, v32, 0
	ds_write_b32 v31, v32
; %bb.182:                              ;   in Loop: Header=BB193_180 Depth=1
	s_or_b32 exec_lo, exec_lo, s20
	v_lshrrev_b32_sdwa v32, v10, v96 dst_sel:DWORD dst_unused:UNUSED_PAD src0_sel:DWORD src1_sel:BYTE_0
	; wave barrier
	v_and_b32_e32 v32, v32, v54
	v_and_b32_e32 v33, 1, v32
	v_lshlrev_b32_e32 v34, 30, v32
	v_lshlrev_b32_e32 v35, 29, v32
	;; [unrolled: 1-line block ×4, first 2 shown]
	v_add_co_u32 v33, s20, v33, -1
	v_cndmask_b32_e64 v37, 0, 1, s20
	v_not_b32_e32 v49, v34
	v_cmp_gt_i32_e64 s21, 0, v34
	v_not_b32_e32 v34, v35
	v_lshlrev_b32_e32 v39, 26, v32
	v_cmp_ne_u32_e64 s20, 0, v37
	v_ashrrev_i32_e32 v49, 31, v49
	v_lshlrev_b32_e32 v48, 25, v32
	v_ashrrev_i32_e32 v34, 31, v34
	v_lshlrev_b32_e32 v37, 24, v32
	v_xor_b32_e32 v33, s20, v33
	v_cmp_gt_i32_e64 s20, 0, v35
	v_not_b32_e32 v35, v36
	v_xor_b32_e32 v49, s21, v49
	v_cmp_gt_i32_e64 s21, 0, v36
	v_and_b32_e32 v33, exec_lo, v33
	v_not_b32_e32 v36, v38
	v_ashrrev_i32_e32 v35, 31, v35
	v_xor_b32_e32 v34, s20, v34
	v_cmp_gt_i32_e64 s20, 0, v38
	v_and_b32_e32 v33, v33, v49
	v_not_b32_e32 v38, v39
	v_ashrrev_i32_e32 v36, 31, v36
	v_xor_b32_e32 v35, s21, v35
	v_cmp_gt_i32_e64 s21, 0, v39
	v_and_b32_e32 v33, v33, v34
	;; [unrolled: 5-line block ×3, first 2 shown]
	v_not_b32_e32 v35, v37
	v_ashrrev_i32_e32 v34, 31, v34
	v_xor_b32_e32 v38, s21, v38
	v_lshl_add_u32 v32, v32, 3, v117
	v_and_b32_e32 v33, v33, v36
	v_cmp_gt_i32_e64 s21, 0, v37
	v_ashrrev_i32_e32 v35, 31, v35
	v_xor_b32_e32 v34, s20, v34
	v_lshl_add_u32 v36, v32, 2, v12
	v_and_b32_e32 v33, v33, v38
	v_xor_b32_e32 v35, s21, v35
	ds_read_b32 v32, v36 offset:32
	v_and_b32_e32 v33, v33, v34
	v_add_nc_u32_e32 v34, 32, v36
	; wave barrier
	v_and_b32_e32 v35, v33, v35
	v_mbcnt_lo_u32_b32 v33, v35, 0
	v_cmp_ne_u32_e64 s21, 0, v35
	v_cmp_eq_u32_e64 s20, 0, v33
	s_and_b32 s21, s21, s20
	s_and_saveexec_b32 s20, s21
	s_cbranch_execz .LBB193_184
; %bb.183:                              ;   in Loop: Header=BB193_180 Depth=1
	s_waitcnt lgkmcnt(0)
	v_bcnt_u32_b32 v35, v35, v32
	ds_write_b32 v34, v35
.LBB193_184:                            ;   in Loop: Header=BB193_180 Depth=1
	s_or_b32 exec_lo, exec_lo, s20
	v_lshrrev_b32_sdwa v35, v10, v98 dst_sel:DWORD dst_unused:UNUSED_PAD src0_sel:DWORD src1_sel:BYTE_0
	; wave barrier
	v_and_b32_e32 v35, v35, v54
	v_and_b32_e32 v36, 1, v35
	v_lshlrev_b32_e32 v37, 30, v35
	v_lshlrev_b32_e32 v38, 29, v35
	;; [unrolled: 1-line block ×4, first 2 shown]
	v_add_co_u32 v36, s20, v36, -1
	v_cndmask_b32_e64 v48, 0, 1, s20
	v_not_b32_e32 v52, v37
	v_cmp_gt_i32_e64 s21, 0, v37
	v_not_b32_e32 v37, v38
	v_lshlrev_b32_e32 v50, 26, v35
	v_cmp_ne_u32_e64 s20, 0, v48
	v_ashrrev_i32_e32 v52, 31, v52
	v_lshlrev_b32_e32 v51, 25, v35
	v_ashrrev_i32_e32 v37, 31, v37
	v_lshlrev_b32_e32 v48, 24, v35
	v_xor_b32_e32 v36, s20, v36
	v_cmp_gt_i32_e64 s20, 0, v38
	v_not_b32_e32 v38, v39
	v_xor_b32_e32 v52, s21, v52
	v_cmp_gt_i32_e64 s21, 0, v39
	v_and_b32_e32 v36, exec_lo, v36
	v_not_b32_e32 v39, v49
	v_ashrrev_i32_e32 v38, 31, v38
	v_xor_b32_e32 v37, s20, v37
	v_cmp_gt_i32_e64 s20, 0, v49
	v_and_b32_e32 v36, v36, v52
	v_not_b32_e32 v49, v50
	v_ashrrev_i32_e32 v39, 31, v39
	v_xor_b32_e32 v38, s21, v38
	v_cmp_gt_i32_e64 s21, 0, v50
	v_and_b32_e32 v36, v36, v37
	;; [unrolled: 5-line block ×3, first 2 shown]
	v_not_b32_e32 v38, v48
	v_ashrrev_i32_e32 v37, 31, v37
	v_xor_b32_e32 v49, s21, v49
	v_lshl_add_u32 v35, v35, 3, v117
	v_and_b32_e32 v36, v36, v39
	v_cmp_gt_i32_e64 s21, 0, v48
	v_ashrrev_i32_e32 v38, 31, v38
	v_xor_b32_e32 v37, s20, v37
	v_lshl_add_u32 v39, v35, 2, v12
	v_and_b32_e32 v36, v36, v49
	v_xor_b32_e32 v38, s21, v38
	ds_read_b32 v35, v39 offset:32
	v_and_b32_e32 v36, v36, v37
	v_add_nc_u32_e32 v37, 32, v39
	; wave barrier
	v_and_b32_e32 v38, v36, v38
	v_mbcnt_lo_u32_b32 v36, v38, 0
	v_cmp_ne_u32_e64 s21, 0, v38
	v_cmp_eq_u32_e64 s20, 0, v36
	s_and_b32 s21, s21, s20
	s_and_saveexec_b32 s20, s21
	s_cbranch_execz .LBB193_186
; %bb.185:                              ;   in Loop: Header=BB193_180 Depth=1
	s_waitcnt lgkmcnt(0)
	v_bcnt_u32_b32 v38, v38, v35
	ds_write_b32 v37, v38
.LBB193_186:                            ;   in Loop: Header=BB193_180 Depth=1
	s_or_b32 exec_lo, exec_lo, s20
	v_lshrrev_b32_sdwa v38, v10, v99 dst_sel:DWORD dst_unused:UNUSED_PAD src0_sel:DWORD src1_sel:BYTE_0
	; wave barrier
	v_and_b32_e32 v38, v38, v54
	v_and_b32_e32 v39, 1, v38
	v_lshlrev_b32_e32 v48, 30, v38
	v_lshlrev_b32_e32 v49, 29, v38
	v_lshlrev_b32_e32 v50, 28, v38
	v_lshlrev_b32_e32 v52, 27, v38
	v_add_co_u32 v39, s20, v39, -1
	v_cndmask_b32_e64 v51, 0, 1, s20
	v_not_b32_e32 v64, v48
	v_cmp_gt_i32_e64 s21, 0, v48
	v_not_b32_e32 v48, v49
	v_lshlrev_b32_e32 v53, 26, v38
	v_cmp_ne_u32_e64 s20, 0, v51
	v_ashrrev_i32_e32 v64, 31, v64
	v_lshlrev_b32_e32 v55, 25, v38
	v_ashrrev_i32_e32 v48, 31, v48
	v_lshlrev_b32_e32 v51, 24, v38
	v_xor_b32_e32 v39, s20, v39
	v_cmp_gt_i32_e64 s20, 0, v49
	v_not_b32_e32 v49, v50
	v_xor_b32_e32 v64, s21, v64
	v_cmp_gt_i32_e64 s21, 0, v50
	v_and_b32_e32 v39, exec_lo, v39
	v_not_b32_e32 v50, v52
	v_ashrrev_i32_e32 v49, 31, v49
	v_xor_b32_e32 v48, s20, v48
	v_cmp_gt_i32_e64 s20, 0, v52
	v_and_b32_e32 v39, v39, v64
	v_not_b32_e32 v52, v53
	v_ashrrev_i32_e32 v50, 31, v50
	v_xor_b32_e32 v49, s21, v49
	v_cmp_gt_i32_e64 s21, 0, v53
	v_and_b32_e32 v39, v39, v48
	;; [unrolled: 5-line block ×3, first 2 shown]
	v_not_b32_e32 v49, v51
	v_ashrrev_i32_e32 v48, 31, v48
	v_xor_b32_e32 v52, s21, v52
	v_lshl_add_u32 v38, v38, 3, v117
	v_and_b32_e32 v39, v39, v50
	v_cmp_gt_i32_e64 s21, 0, v51
	v_ashrrev_i32_e32 v49, 31, v49
	v_xor_b32_e32 v48, s20, v48
	v_lshl_add_u32 v50, v38, 2, v12
	v_and_b32_e32 v39, v39, v52
	v_xor_b32_e32 v49, s21, v49
	ds_read_b32 v38, v50 offset:32
	v_and_b32_e32 v39, v39, v48
	v_add_nc_u32_e32 v48, 32, v50
	; wave barrier
	v_and_b32_e32 v49, v39, v49
	v_mbcnt_lo_u32_b32 v39, v49, 0
	v_cmp_ne_u32_e64 s21, 0, v49
	v_cmp_eq_u32_e64 s20, 0, v39
	s_and_b32 s21, s21, s20
	s_and_saveexec_b32 s20, s21
	s_cbranch_execz .LBB193_188
; %bb.187:                              ;   in Loop: Header=BB193_180 Depth=1
	s_waitcnt lgkmcnt(0)
	v_bcnt_u32_b32 v49, v49, v38
	ds_write_b32 v48, v49
.LBB193_188:                            ;   in Loop: Header=BB193_180 Depth=1
	s_or_b32 exec_lo, exec_lo, s20
	v_lshrrev_b32_sdwa v49, v10, v100 dst_sel:DWORD dst_unused:UNUSED_PAD src0_sel:DWORD src1_sel:BYTE_0
	; wave barrier
	v_and_b32_e32 v49, v49, v54
	v_and_b32_e32 v50, 1, v49
	v_lshlrev_b32_e32 v51, 30, v49
	v_lshlrev_b32_e32 v52, 29, v49
	;; [unrolled: 1-line block ×4, first 2 shown]
	v_add_co_u32 v50, s20, v50, -1
	v_cndmask_b32_e64 v55, 0, 1, s20
	v_not_b32_e32 v67, v51
	v_cmp_gt_i32_e64 s21, 0, v51
	v_not_b32_e32 v51, v52
	v_lshlrev_b32_e32 v65, 26, v49
	v_cmp_ne_u32_e64 s20, 0, v55
	v_ashrrev_i32_e32 v67, 31, v67
	v_lshlrev_b32_e32 v66, 25, v49
	v_ashrrev_i32_e32 v51, 31, v51
	v_lshlrev_b32_e32 v55, 24, v49
	v_xor_b32_e32 v50, s20, v50
	v_cmp_gt_i32_e64 s20, 0, v52
	v_not_b32_e32 v52, v53
	v_xor_b32_e32 v67, s21, v67
	v_cmp_gt_i32_e64 s21, 0, v53
	v_and_b32_e32 v50, exec_lo, v50
	v_not_b32_e32 v53, v64
	v_ashrrev_i32_e32 v52, 31, v52
	v_xor_b32_e32 v51, s20, v51
	v_cmp_gt_i32_e64 s20, 0, v64
	v_and_b32_e32 v50, v50, v67
	v_not_b32_e32 v64, v65
	v_ashrrev_i32_e32 v53, 31, v53
	v_xor_b32_e32 v52, s21, v52
	v_cmp_gt_i32_e64 s21, 0, v65
	v_and_b32_e32 v50, v50, v51
	;; [unrolled: 5-line block ×3, first 2 shown]
	v_not_b32_e32 v52, v55
	v_ashrrev_i32_e32 v51, 31, v51
	v_xor_b32_e32 v64, s21, v64
	v_lshl_add_u32 v49, v49, 3, v117
	v_and_b32_e32 v50, v50, v53
	v_cmp_gt_i32_e64 s21, 0, v55
	v_ashrrev_i32_e32 v52, 31, v52
	v_xor_b32_e32 v51, s20, v51
	v_lshl_add_u32 v53, v49, 2, v12
	v_and_b32_e32 v50, v50, v64
	v_xor_b32_e32 v52, s21, v52
	ds_read_b32 v49, v53 offset:32
	v_and_b32_e32 v50, v50, v51
	v_add_nc_u32_e32 v51, 32, v53
	; wave barrier
	v_and_b32_e32 v52, v50, v52
	v_mbcnt_lo_u32_b32 v50, v52, 0
	v_cmp_ne_u32_e64 s21, 0, v52
	v_cmp_eq_u32_e64 s20, 0, v50
	s_and_b32 s21, s21, s20
	s_and_saveexec_b32 s20, s21
	s_cbranch_execz .LBB193_190
; %bb.189:                              ;   in Loop: Header=BB193_180 Depth=1
	s_waitcnt lgkmcnt(0)
	v_bcnt_u32_b32 v52, v52, v49
	ds_write_b32 v51, v52
.LBB193_190:                            ;   in Loop: Header=BB193_180 Depth=1
	s_or_b32 exec_lo, exec_lo, s20
	v_lshrrev_b32_sdwa v52, v10, v97 dst_sel:DWORD dst_unused:UNUSED_PAD src0_sel:DWORD src1_sel:BYTE_0
	; wave barrier
	v_and_b32_e32 v52, v52, v54
	v_and_b32_e32 v53, 1, v52
	v_lshlrev_b32_e32 v55, 30, v52
	v_lshlrev_b32_e32 v64, 29, v52
	;; [unrolled: 1-line block ×4, first 2 shown]
	v_add_co_u32 v53, s20, v53, -1
	v_cndmask_b32_e64 v66, 0, 1, s20
	v_not_b32_e32 v70, v55
	v_cmp_gt_i32_e64 s21, 0, v55
	v_not_b32_e32 v55, v64
	v_lshlrev_b32_e32 v68, 26, v52
	v_cmp_ne_u32_e64 s20, 0, v66
	v_ashrrev_i32_e32 v70, 31, v70
	v_lshlrev_b32_e32 v69, 25, v52
	v_ashrrev_i32_e32 v55, 31, v55
	v_lshlrev_b32_e32 v66, 24, v52
	v_xor_b32_e32 v53, s20, v53
	v_cmp_gt_i32_e64 s20, 0, v64
	v_not_b32_e32 v64, v65
	v_xor_b32_e32 v70, s21, v70
	v_cmp_gt_i32_e64 s21, 0, v65
	v_and_b32_e32 v53, exec_lo, v53
	v_not_b32_e32 v65, v67
	v_ashrrev_i32_e32 v64, 31, v64
	v_xor_b32_e32 v55, s20, v55
	v_cmp_gt_i32_e64 s20, 0, v67
	v_and_b32_e32 v53, v53, v70
	v_not_b32_e32 v67, v68
	v_ashrrev_i32_e32 v65, 31, v65
	v_xor_b32_e32 v64, s21, v64
	v_cmp_gt_i32_e64 s21, 0, v68
	v_and_b32_e32 v53, v53, v55
	;; [unrolled: 5-line block ×3, first 2 shown]
	v_not_b32_e32 v64, v66
	v_ashrrev_i32_e32 v55, 31, v55
	v_xor_b32_e32 v67, s21, v67
	v_lshl_add_u32 v52, v52, 3, v117
	v_and_b32_e32 v53, v53, v65
	v_cmp_gt_i32_e64 s21, 0, v66
	v_ashrrev_i32_e32 v64, 31, v64
	v_xor_b32_e32 v55, s20, v55
	v_lshl_add_u32 v65, v52, 2, v12
	v_and_b32_e32 v53, v53, v67
	v_xor_b32_e32 v64, s21, v64
	ds_read_b32 v52, v65 offset:32
	v_and_b32_e32 v53, v53, v55
	v_add_nc_u32_e32 v55, 32, v65
	; wave barrier
	v_and_b32_e32 v64, v53, v64
	v_mbcnt_lo_u32_b32 v53, v64, 0
	v_cmp_ne_u32_e64 s21, 0, v64
	v_cmp_eq_u32_e64 s20, 0, v53
	s_and_b32 s21, s21, s20
	s_and_saveexec_b32 s20, s21
	s_cbranch_execz .LBB193_192
; %bb.191:                              ;   in Loop: Header=BB193_180 Depth=1
	s_waitcnt lgkmcnt(0)
	v_bcnt_u32_b32 v64, v64, v52
	ds_write_b32 v55, v64
.LBB193_192:                            ;   in Loop: Header=BB193_180 Depth=1
	s_or_b32 exec_lo, exec_lo, s20
	v_lshrrev_b32_sdwa v64, v10, v101 dst_sel:DWORD dst_unused:UNUSED_PAD src0_sel:DWORD src1_sel:BYTE_0
	; wave barrier
	v_and_b32_e32 v64, v64, v54
	v_and_b32_e32 v65, 1, v64
	v_lshlrev_b32_e32 v66, 30, v64
	v_lshlrev_b32_e32 v67, 29, v64
	v_lshlrev_b32_e32 v68, 28, v64
	v_lshlrev_b32_e32 v70, 27, v64
	v_add_co_u32 v65, s20, v65, -1
	v_cndmask_b32_e64 v69, 0, 1, s20
	v_not_b32_e32 v81, v66
	v_cmp_gt_i32_e64 s21, 0, v66
	v_not_b32_e32 v66, v67
	v_lshlrev_b32_e32 v71, 26, v64
	v_cmp_ne_u32_e64 s20, 0, v69
	v_ashrrev_i32_e32 v81, 31, v81
	v_lshlrev_b32_e32 v80, 25, v64
	v_ashrrev_i32_e32 v66, 31, v66
	v_lshlrev_b32_e32 v69, 24, v64
	v_xor_b32_e32 v65, s20, v65
	v_cmp_gt_i32_e64 s20, 0, v67
	v_not_b32_e32 v67, v68
	v_xor_b32_e32 v81, s21, v81
	v_cmp_gt_i32_e64 s21, 0, v68
	v_and_b32_e32 v65, exec_lo, v65
	v_not_b32_e32 v68, v70
	v_ashrrev_i32_e32 v67, 31, v67
	v_xor_b32_e32 v66, s20, v66
	v_cmp_gt_i32_e64 s20, 0, v70
	v_and_b32_e32 v65, v65, v81
	v_not_b32_e32 v70, v71
	v_ashrrev_i32_e32 v68, 31, v68
	v_xor_b32_e32 v67, s21, v67
	v_cmp_gt_i32_e64 s21, 0, v71
	v_and_b32_e32 v65, v65, v66
	;; [unrolled: 5-line block ×3, first 2 shown]
	v_not_b32_e32 v67, v69
	v_ashrrev_i32_e32 v66, 31, v66
	v_xor_b32_e32 v70, s21, v70
	v_lshl_add_u32 v64, v64, 3, v117
	v_and_b32_e32 v65, v65, v68
	v_cmp_gt_i32_e64 s21, 0, v69
	v_ashrrev_i32_e32 v67, 31, v67
	v_xor_b32_e32 v66, s20, v66
	v_lshl_add_u32 v68, v64, 2, v12
	v_and_b32_e32 v65, v65, v70
	v_xor_b32_e32 v67, s21, v67
	ds_read_b32 v64, v68 offset:32
	v_and_b32_e32 v65, v65, v66
	v_add_nc_u32_e32 v66, 32, v68
	; wave barrier
	v_and_b32_e32 v67, v65, v67
	v_mbcnt_lo_u32_b32 v65, v67, 0
	v_cmp_ne_u32_e64 s21, 0, v67
	v_cmp_eq_u32_e64 s20, 0, v65
	s_and_b32 s21, s21, s20
	s_and_saveexec_b32 s20, s21
	s_cbranch_execz .LBB193_194
; %bb.193:                              ;   in Loop: Header=BB193_180 Depth=1
	s_waitcnt lgkmcnt(0)
	v_bcnt_u32_b32 v67, v67, v64
	ds_write_b32 v66, v67
.LBB193_194:                            ;   in Loop: Header=BB193_180 Depth=1
	s_or_b32 exec_lo, exec_lo, s20
	v_lshrrev_b32_sdwa v67, v10, v86 dst_sel:DWORD dst_unused:UNUSED_PAD src0_sel:DWORD src1_sel:BYTE_0
	; wave barrier
	v_and_b32_e32 v54, v67, v54
	v_and_b32_e32 v67, 1, v54
	v_lshlrev_b32_e32 v68, 30, v54
	v_lshlrev_b32_e32 v69, 29, v54
	;; [unrolled: 1-line block ×4, first 2 shown]
	v_add_co_u32 v67, s20, v67, -1
	v_cndmask_b32_e64 v71, 0, 1, s20
	v_not_b32_e32 v83, v68
	v_cmp_gt_i32_e64 s21, 0, v68
	v_not_b32_e32 v68, v69
	v_lshlrev_b32_e32 v81, 26, v54
	v_cmp_ne_u32_e64 s20, 0, v71
	v_ashrrev_i32_e32 v83, 31, v83
	v_lshlrev_b32_e32 v82, 25, v54
	v_ashrrev_i32_e32 v68, 31, v68
	v_lshlrev_b32_e32 v71, 24, v54
	v_xor_b32_e32 v67, s20, v67
	v_cmp_gt_i32_e64 s20, 0, v69
	v_not_b32_e32 v69, v70
	v_xor_b32_e32 v83, s21, v83
	v_cmp_gt_i32_e64 s21, 0, v70
	v_and_b32_e32 v67, exec_lo, v67
	v_not_b32_e32 v70, v80
	v_ashrrev_i32_e32 v69, 31, v69
	v_xor_b32_e32 v68, s20, v68
	v_cmp_gt_i32_e64 s20, 0, v80
	v_and_b32_e32 v67, v67, v83
	v_not_b32_e32 v80, v81
	v_ashrrev_i32_e32 v70, 31, v70
	v_xor_b32_e32 v69, s21, v69
	v_cmp_gt_i32_e64 s21, 0, v81
	v_and_b32_e32 v67, v67, v68
	;; [unrolled: 5-line block ×3, first 2 shown]
	v_not_b32_e32 v69, v71
	v_ashrrev_i32_e32 v68, 31, v68
	v_xor_b32_e32 v80, s21, v80
	v_lshl_add_u32 v54, v54, 3, v117
	v_and_b32_e32 v67, v67, v70
	v_cmp_gt_i32_e64 s21, 0, v71
	v_ashrrev_i32_e32 v69, 31, v69
	v_xor_b32_e32 v68, s20, v68
	v_lshl_add_u32 v70, v54, 2, v12
	v_and_b32_e32 v67, v67, v80
	v_xor_b32_e32 v69, s21, v69
	ds_read_b32 v54, v70 offset:32
	v_and_b32_e32 v67, v67, v68
	v_add_nc_u32_e32 v68, 32, v70
	; wave barrier
	v_and_b32_e32 v69, v67, v69
	v_mbcnt_lo_u32_b32 v67, v69, 0
	v_cmp_ne_u32_e64 s21, 0, v69
	v_cmp_eq_u32_e64 s20, 0, v67
	s_and_b32 s21, s21, s20
	s_and_saveexec_b32 s20, s21
	s_cbranch_execz .LBB193_196
; %bb.195:                              ;   in Loop: Header=BB193_180 Depth=1
	s_waitcnt lgkmcnt(0)
	v_bcnt_u32_b32 v69, v69, v54
	ds_write_b32 v68, v69
.LBB193_196:                            ;   in Loop: Header=BB193_180 Depth=1
	s_or_b32 exec_lo, exec_lo, s20
	; wave barrier
	s_waitcnt lgkmcnt(0)
	s_barrier
	buffer_gl0_inv
	ds_read_b32 v70, v9
	ds_read_b32 v71, v102
	;; [unrolled: 1-line block ×8, first 2 shown]
	s_waitcnt lgkmcnt(6)
	v_add_nc_u32_e32 v85, v71, v70
	s_waitcnt lgkmcnt(4)
	v_add3_u32 v85, v85, v80, v81
	s_waitcnt lgkmcnt(2)
	v_add3_u32 v85, v85, v82, v83
	s_waitcnt lgkmcnt(0)
	v_add3_u32 v84, v85, v69, v84
	v_mov_b32_dpp v85, v84 row_shr:1 row_mask:0xf bank_mask:0xf
	v_cndmask_b32_e64 v85, v85, 0, vcc_lo
	v_add_nc_u32_e32 v84, v85, v84
	v_mov_b32_dpp v85, v84 row_shr:2 row_mask:0xf bank_mask:0xf
	v_cndmask_b32_e64 v85, 0, v85, s4
	v_add_nc_u32_e32 v84, v84, v85
	v_mov_b32_dpp v85, v84 row_shr:4 row_mask:0xf bank_mask:0xf
	v_cndmask_b32_e64 v85, 0, v85, s5
	;; [unrolled: 3-line block ×3, first 2 shown]
	v_add_nc_u32_e32 v84, v84, v85
	ds_swizzle_b32 v85, v84 offset:swizzle(BROADCAST,32,15)
	s_waitcnt lgkmcnt(0)
	v_cndmask_b32_e64 v85, v85, 0, s10
	v_add_nc_u32_e32 v84, v84, v85
	s_and_saveexec_b32 s20, s11
; %bb.197:                              ;   in Loop: Header=BB193_180 Depth=1
	ds_write_b32 v119, v84
; %bb.198:                              ;   in Loop: Header=BB193_180 Depth=1
	s_or_b32 exec_lo, exec_lo, s20
	s_waitcnt lgkmcnt(0)
	s_barrier
	buffer_gl0_inv
	s_and_saveexec_b32 s20, s14
	s_cbranch_execz .LBB193_200
; %bb.199:                              ;   in Loop: Header=BB193_180 Depth=1
	ds_read_b32 v85, v129
	s_waitcnt lgkmcnt(0)
	v_mov_b32_dpp v164, v85 row_shr:1 row_mask:0xf bank_mask:0xf
	v_cndmask_b32_e64 v164, v164, 0, s17
	v_add_nc_u32_e32 v85, v164, v85
	v_mov_b32_dpp v164, v85 row_shr:2 row_mask:0xf bank_mask:0xf
	v_cndmask_b32_e64 v164, 0, v164, s18
	v_add_nc_u32_e32 v85, v85, v164
	v_mov_b32_dpp v164, v85 row_shr:4 row_mask:0xf bank_mask:0xf
	v_cndmask_b32_e64 v164, 0, v164, s19
	v_add_nc_u32_e32 v85, v85, v164
	ds_write_b32 v129, v85
.LBB193_200:                            ;   in Loop: Header=BB193_180 Depth=1
	s_or_b32 exec_lo, exec_lo, s20
	v_mov_b32_e32 v85, 0
	s_waitcnt lgkmcnt(0)
	s_barrier
	buffer_gl0_inv
	s_and_saveexec_b32 s20, s15
; %bb.201:                              ;   in Loop: Header=BB193_180 Depth=1
	ds_read_b32 v85, v131
; %bb.202:                              ;   in Loop: Header=BB193_180 Depth=1
	s_or_b32 exec_lo, exec_lo, s20
	s_waitcnt lgkmcnt(0)
	v_add_nc_u32_e32 v84, v85, v84
	v_add_nc_u32_e32 v10, 8, v10
	v_mov_b32_e32 v180, v87
	v_mov_b32_e32 v181, v96
	;; [unrolled: 1-line block ×3, first 2 shown]
	ds_bpermute_b32 v84, v118, v84
	v_mov_b32_e32 v183, v99
	v_mov_b32_e32 v192, v100
	;; [unrolled: 1-line block ×5, first 2 shown]
	v_cmp_lt_u32_e64 s20, v10, v11
	s_mov_b32 s26, -1
	s_waitcnt lgkmcnt(0)
	v_cndmask_b32_e64 v84, v84, v85, s6
	v_cndmask_b32_e64 v84, v84, 0, s16
	v_add_nc_u32_e32 v70, v84, v70
	v_add_nc_u32_e32 v71, v70, v71
	ds_write_b32 v9, v84
	ds_write_b32 v102, v70
	;; [unrolled: 1-line block ×3, first 2 shown]
	v_add_nc_u32_e32 v80, v71, v80
	v_add_nc_u32_e32 v81, v80, v81
	;; [unrolled: 1-line block ×5, first 2 shown]
	ds_write_b32 v112, v80
	ds_write_b32 v113, v81
	;; [unrolled: 1-line block ×5, first 2 shown]
	s_waitcnt lgkmcnt(0)
	s_barrier
	buffer_gl0_inv
	ds_read_b32 v31, v31
	ds_read_b32 v34, v34
	;; [unrolled: 1-line block ×8, first 2 shown]
	s_waitcnt lgkmcnt(0)
	v_add_nc_u32_e32 v179, v31, v30
	v_add3_u32 v178, v33, v32, v34
	v_add3_u32 v177, v36, v35, v37
	v_add3_u32 v176, v39, v38, v48
	v_add3_u32 v167, v50, v49, v51
	v_add3_u32 v166, v53, v52, v55
	v_add3_u32 v165, v65, v64, v66
	v_add_co_u32 v66, s21, v12, v179
	v_add3_u32 v164, v67, v54, v68
	v_add_co_ci_u32_e64 v67, null, 0, v13, s21
	v_add_co_u32 v70, s21, v12, v178
	v_add_co_ci_u32_e64 v71, null, 0, v13, s21
	v_add_co_u32 v54, s21, v12, v177
	;; [unrolled: 2-line block ×7, first 2 shown]
	v_add_co_ci_u32_e64 v85, null, 0, v13, s21
                                        ; implicit-def: $vgpr32_vgpr33
                                        ; implicit-def: $vgpr36_vgpr37
                                        ; implicit-def: $vgpr38_vgpr39
                                        ; implicit-def: $vgpr48_vgpr49
                                        ; implicit-def: $vgpr50_vgpr51
                                        ; implicit-def: $vgpr52_vgpr53
                                        ; implicit-def: $vgpr30_vgpr31
                                        ; implicit-def: $vgpr34_vgpr35
	s_and_saveexec_b32 s21, s20
	s_cbranch_execz .LBB193_179
; %bb.203:                              ;   in Loop: Header=BB193_180 Depth=1
	v_mad_u64_u32 v[30:31], null, v179, 7, v[66:67]
	v_mad_u64_u32 v[31:32], null, v178, 7, v[70:71]
	;; [unrolled: 1-line block ×8, first 2 shown]
	s_barrier
	buffer_gl0_inv
	ds_write_b8 v66, v87
	ds_write_b8 v70, v96
	;; [unrolled: 1-line block ×8, first 2 shown]
	s_waitcnt lgkmcnt(0)
	s_barrier
	buffer_gl0_inv
	ds_read_u8 v86, v147
	ds_read_u8 v101, v146
	;; [unrolled: 1-line block ×8, first 2 shown]
	s_waitcnt lgkmcnt(0)
	s_barrier
	buffer_gl0_inv
	ds_write_b64 v30, v[23:24]
	ds_write_b64 v31, v[21:22]
	;; [unrolled: 1-line block ×8, first 2 shown]
	s_waitcnt lgkmcnt(0)
	s_barrier
	buffer_gl0_inv
	ds_read_b64 v[32:33], v135
	ds_read_b64 v[36:37], v148
	;; [unrolled: 1-line block ×8, first 2 shown]
	v_add_nc_u32_e32 v163, -8, v163
	s_xor_b32 s26, exec_lo, -1
	s_waitcnt lgkmcnt(0)
	s_barrier
	buffer_gl0_inv
	s_branch .LBB193_179
.LBB193_204:
	flat_load_dwordx2 v[70:71], v[4:5]
	s_or_b32 exec_lo, exec_lo, s24
                                        ; implicit-def: $vgpr80_vgpr81
	s_and_saveexec_b32 s24, s4
	s_cbranch_execz .LBB193_38
.LBB193_205:
	flat_load_dwordx2 v[80:81], v[4:5] offset:256
	s_or_b32 exec_lo, exec_lo, s24
                                        ; implicit-def: $vgpr82_vgpr83
	s_and_saveexec_b32 s4, s5
	s_cbranch_execz .LBB193_39
.LBB193_206:
	flat_load_dwordx2 v[82:83], v[4:5] offset:512
	s_or_b32 exec_lo, exec_lo, s4
                                        ; implicit-def: $vgpr84_vgpr85
	s_and_saveexec_b32 s4, s6
	s_cbranch_execz .LBB193_40
.LBB193_207:
	flat_load_dwordx2 v[84:85], v[4:5] offset:768
	s_or_b32 exec_lo, exec_lo, s4
                                        ; implicit-def: $vgpr86_vgpr87
	s_and_saveexec_b32 s4, s7
	s_cbranch_execz .LBB193_41
.LBB193_208:
	flat_load_dwordx2 v[86:87], v[4:5] offset:1024
	s_or_b32 exec_lo, exec_lo, s4
                                        ; implicit-def: $vgpr96_vgpr97
	s_and_saveexec_b32 s4, s10
	s_cbranch_execz .LBB193_42
.LBB193_209:
	flat_load_dwordx2 v[96:97], v[4:5] offset:1280
	s_or_b32 exec_lo, exec_lo, s4
                                        ; implicit-def: $vgpr98_vgpr99
	s_and_saveexec_b32 s4, s11
	s_cbranch_execz .LBB193_43
.LBB193_210:
	flat_load_dwordx2 v[98:99], v[4:5] offset:1536
	s_or_b32 exec_lo, exec_lo, s4
                                        ; implicit-def: $vgpr100_vgpr101
	s_and_saveexec_b32 s4, s14
	s_cbranch_execz .LBB193_44
.LBB193_211:
	flat_load_dwordx2 v[100:101], v[4:5] offset:1792
	s_or_b32 exec_lo, exec_lo, s4
                                        ; implicit-def: $vgpr102_vgpr103
	s_and_saveexec_b32 s4, s15
	s_cbranch_execz .LBB193_45
.LBB193_212:
	v_add_co_u32 v15, vcc_lo, 0x800, v4
	v_add_co_ci_u32_e64 v16, null, 0, v5, vcc_lo
	flat_load_dwordx2 v[102:103], v[15:16]
	s_or_b32 exec_lo, exec_lo, s4
                                        ; implicit-def: $vgpr112_vgpr113
	s_and_saveexec_b32 s4, s16
	s_cbranch_execz .LBB193_46
.LBB193_213:
	v_add_co_u32 v15, vcc_lo, 0x800, v4
	v_add_co_ci_u32_e64 v16, null, 0, v5, vcc_lo
	flat_load_dwordx2 v[112:113], v[15:16] offset:256
	s_or_b32 exec_lo, exec_lo, s4
                                        ; implicit-def: $vgpr114_vgpr115
	s_and_saveexec_b32 s4, s17
	s_cbranch_execz .LBB193_47
.LBB193_214:
	v_add_co_u32 v15, vcc_lo, 0x800, v4
	v_add_co_ci_u32_e64 v16, null, 0, v5, vcc_lo
	flat_load_dwordx2 v[114:115], v[15:16] offset:512
	s_or_b32 exec_lo, exec_lo, s4
                                        ; implicit-def: $vgpr128_vgpr129
	s_and_saveexec_b32 s4, s18
	s_cbranch_execz .LBB193_48
.LBB193_215:
	v_add_co_u32 v15, vcc_lo, 0x800, v4
	v_add_co_ci_u32_e64 v16, null, 0, v5, vcc_lo
	flat_load_dwordx2 v[128:129], v[15:16] offset:768
	s_or_b32 exec_lo, exec_lo, s4
                                        ; implicit-def: $vgpr130_vgpr131
	s_and_saveexec_b32 s4, s19
	s_cbranch_execz .LBB193_49
.LBB193_216:
	v_add_co_u32 v15, vcc_lo, 0x800, v4
	v_add_co_ci_u32_e64 v16, null, 0, v5, vcc_lo
	flat_load_dwordx2 v[130:131], v[15:16] offset:1024
	s_or_b32 exec_lo, exec_lo, s4
                                        ; implicit-def: $vgpr132_vgpr133
	s_and_saveexec_b32 s4, s20
	s_cbranch_execz .LBB193_50
.LBB193_217:
	v_add_co_u32 v15, vcc_lo, 0x800, v4
	v_add_co_ci_u32_e64 v16, null, 0, v5, vcc_lo
	flat_load_dwordx2 v[132:133], v[15:16] offset:1280
	s_or_b32 exec_lo, exec_lo, s4
                                        ; implicit-def: $vgpr134_vgpr135
	s_and_saveexec_b32 s4, s21
	s_cbranch_execz .LBB193_51
.LBB193_218:
	v_add_co_u32 v15, vcc_lo, 0x800, v4
	v_add_co_ci_u32_e64 v16, null, 0, v5, vcc_lo
	flat_load_dwordx2 v[134:135], v[15:16] offset:1536
	s_or_b32 exec_lo, exec_lo, s4
                                        ; implicit-def: $vgpr116_vgpr117
	s_and_saveexec_b32 s4, s22
	s_cbranch_execz .LBB193_52
.LBB193_219:
	v_add_co_u32 v15, vcc_lo, 0x800, v4
	v_add_co_ci_u32_e64 v16, null, 0, v5, vcc_lo
	flat_load_dwordx2 v[116:117], v[15:16] offset:1792
	s_or_b32 exec_lo, exec_lo, s4
                                        ; implicit-def: $vgpr118_vgpr119
	s_and_saveexec_b32 s4, s23
	s_cbranch_execnz .LBB193_53
	s_branch .LBB193_54
.LBB193_220:
	flat_store_dwordx2 v[0:1], v[48:49]
	s_or_b32 exec_lo, exec_lo, s24
	s_and_saveexec_b32 s24, s21
	s_cbranch_execz .LBB193_134
.LBB193_221:
	v_add_co_u32 v2, s16, 0x800, v0
	v_add_co_ci_u32_e64 v3, null, 0, v1, s16
	flat_store_dwordx2 v[2:3], v[50:51]
	s_or_b32 exec_lo, exec_lo, s24
	s_and_saveexec_b32 s21, s19
	s_cbranch_execz .LBB193_135
.LBB193_222:
	v_add_co_u32 v2, s16, 0x1000, v0
	v_add_co_ci_u32_e64 v3, null, 0, v1, s16
	flat_store_dwordx2 v[2:3], v[33:34]
	s_or_b32 exec_lo, exec_lo, s21
	s_and_saveexec_b32 s19, s17
	s_cbranch_execz .LBB193_136
.LBB193_223:
	v_add_co_u32 v2, s16, 0x1800, v0
	v_add_co_ci_u32_e64 v3, null, 0, v1, s16
	flat_store_dwordx2 v[2:3], v[35:36]
	s_or_b32 exec_lo, exec_lo, s19
	s_and_saveexec_b32 s16, s14
	s_cbranch_execz .LBB193_137
.LBB193_224:
	v_add_co_u32 v2, s14, 0x2000, v0
	v_add_co_ci_u32_e64 v3, null, 0, v1, s14
	flat_store_dwordx2 v[2:3], v[29:30]
	s_or_b32 exec_lo, exec_lo, s16
	s_and_saveexec_b32 s14, s10
	s_cbranch_execz .LBB193_138
.LBB193_225:
	v_add_co_u32 v2, s10, 0x2800, v0
	v_add_co_ci_u32_e64 v3, null, 0, v1, s10
	flat_store_dwordx2 v[2:3], v[31:32]
	s_or_b32 exec_lo, exec_lo, s14
	s_and_saveexec_b32 s10, s6
	s_cbranch_execz .LBB193_139
.LBB193_226:
	v_add_co_u32 v2, s6, 0x3000, v0
	v_add_co_ci_u32_e64 v3, null, 0, v1, s6
	flat_store_dwordx2 v[2:3], v[25:26]
	s_or_b32 exec_lo, exec_lo, s10
	s_and_saveexec_b32 s6, s4
	s_cbranch_execz .LBB193_140
.LBB193_227:
	v_add_co_u32 v2, s4, 0x3800, v0
	v_add_co_ci_u32_e64 v3, null, 0, v1, s4
	flat_store_dwordx2 v[2:3], v[27:28]
	s_or_b32 exec_lo, exec_lo, s6
	s_and_saveexec_b32 s4, vcc_lo
	s_cbranch_execz .LBB193_141
.LBB193_228:
	v_add_co_u32 v2, vcc_lo, 0x4000, v0
	v_add_co_ci_u32_e64 v3, null, 0, v1, vcc_lo
	flat_store_dwordx2 v[2:3], v[21:22]
	s_or_b32 exec_lo, exec_lo, s4
	s_and_saveexec_b32 s4, s5
	s_cbranch_execz .LBB193_142
.LBB193_229:
	v_add_co_u32 v2, vcc_lo, 0x4800, v0
	v_add_co_ci_u32_e64 v3, null, 0, v1, vcc_lo
	flat_store_dwordx2 v[2:3], v[23:24]
	s_or_b32 exec_lo, exec_lo, s4
	s_and_saveexec_b32 s4, s7
	s_cbranch_execz .LBB193_143
.LBB193_230:
	v_add_co_u32 v2, vcc_lo, 0x5000, v0
	v_add_co_ci_u32_e64 v3, null, 0, v1, vcc_lo
	flat_store_dwordx2 v[2:3], v[17:18]
	s_or_b32 exec_lo, exec_lo, s4
	s_and_saveexec_b32 s4, s11
	s_cbranch_execz .LBB193_144
.LBB193_231:
	v_add_co_u32 v2, vcc_lo, 0x5800, v0
	v_add_co_ci_u32_e64 v3, null, 0, v1, vcc_lo
	flat_store_dwordx2 v[2:3], v[19:20]
	s_or_b32 exec_lo, exec_lo, s4
	s_and_saveexec_b32 s4, s15
	s_cbranch_execz .LBB193_145
.LBB193_232:
	v_add_co_u32 v2, vcc_lo, 0x6000, v0
	v_add_co_ci_u32_e64 v3, null, 0, v1, vcc_lo
	flat_store_dwordx2 v[2:3], v[13:14]
	s_or_b32 exec_lo, exec_lo, s4
	s_and_saveexec_b32 s4, s18
	s_cbranch_execz .LBB193_146
.LBB193_233:
	v_add_co_u32 v2, vcc_lo, 0x6800, v0
	v_add_co_ci_u32_e64 v3, null, 0, v1, vcc_lo
	flat_store_dwordx2 v[2:3], v[15:16]
	s_or_b32 exec_lo, exec_lo, s4
	s_and_saveexec_b32 s4, s20
	s_cbranch_execz .LBB193_147
.LBB193_234:
	v_add_co_u32 v2, vcc_lo, 0x7000, v0
	v_add_co_ci_u32_e64 v3, null, 0, v1, vcc_lo
	flat_store_dwordx2 v[2:3], v[9:10]
	s_or_b32 exec_lo, exec_lo, s4
	s_and_saveexec_b32 s4, s22
	s_cbranch_execz .LBB193_148
.LBB193_235:
	v_add_co_u32 v2, vcc_lo, 0x7800, v0
	v_add_co_ci_u32_e64 v3, null, 0, v1, vcc_lo
	flat_store_dwordx2 v[2:3], v[11:12]
	s_or_b32 exec_lo, exec_lo, s4
	s_and_saveexec_b32 s4, s23
	s_cbranch_execnz .LBB193_149
	s_branch .LBB193_150
.LBB193_236:
	s_or_b32 exec_lo, exec_lo, s24
	v_mad_u64_u32 v[9:10], null, v179, 7, v[66:67]
	v_mad_u64_u32 v[10:11], null, v178, 7, v[70:71]
	v_add_nc_u32_e32 v38, v12, v14
	s_barrier
	buffer_gl0_inv
	ds_write_b8 v66, v180
	ds_write_b8 v70, v181
	ds_write_b8 v54, v182
	ds_write_b8 v64, v183
	ds_write_b8 v68, v192
	ds_write_b8 v80, v193
	ds_write_b8 v82, v194
	ds_write_b8 v84, v195
	s_waitcnt lgkmcnt(0)
	s_barrier
	buffer_gl0_inv
	ds_read_u8 v37, v38
	ds_read_u8 v36, v38 offset:256
	ds_read_u8 v35, v38 offset:512
	;; [unrolled: 1-line block ×7, first 2 shown]
	s_waitcnt lgkmcnt(0)
	s_barrier
	buffer_gl0_inv
	ds_write_b64 v9, v[23:24]
	ds_write_b64 v10, v[21:22]
	v_mad_u64_u32 v[9:10], null, v177, 7, v[54:55]
	v_mad_u64_u32 v[10:11], null, v176, 7, v[64:65]
	;; [unrolled: 1-line block ×5, first 2 shown]
	ds_write_b64 v9, v[19:20]
	v_mul_u32_u24_e32 v9, 7, v14
	v_mad_u64_u32 v[22:23], null, v164, 7, v[84:85]
	ds_write_b64 v10, v[17:18]
	ds_write_b64 v11, v[15:16]
	;; [unrolled: 1-line block ×4, first 2 shown]
	v_add_co_u32 v2, vcc_lo, v2, v8
	v_add_nc_u32_e32 v4, v38, v9
	v_add_co_ci_u32_e64 v3, null, 0, v3, vcc_lo
	ds_write_b64 v22, v[28:29]
	s_waitcnt lgkmcnt(0)
	s_barrier
	buffer_gl0_inv
	ds_read2st64_b64 v[21:24], v4 offset1:4
	ds_read2st64_b64 v[17:20], v4 offset0:8 offset1:12
	ds_read2st64_b64 v[13:16], v4 offset0:16 offset1:20
	;; [unrolled: 1-line block ×3, first 2 shown]
	v_add_co_u32 v2, vcc_lo, v2, v25
	v_mov_b32_e32 v26, 0
	v_add_co_ci_u32_e64 v3, null, 0, v3, vcc_lo
	v_cmp_lt_u32_e64 s7, v25, v210
	s_waitcnt lgkmcnt(0)
	s_barrier
	buffer_gl0_inv
	s_and_saveexec_b32 s4, s7
	s_cbranch_execz .LBB193_238
; %bb.237:
	flat_store_byte v[2:3], v37
.LBB193_238:
	s_or_b32 exec_lo, exec_lo, s4
	v_add_nc_u32_e32 v4, 0x100, v25
	v_cmp_lt_u32_e64 s14, v4, v210
	s_and_saveexec_b32 s4, s14
	s_cbranch_execz .LBB193_240
; %bb.239:
	flat_store_byte v[2:3], v36 offset:256
.LBB193_240:
	s_or_b32 exec_lo, exec_lo, s4
	v_add_nc_u32_e32 v4, 0x200, v25
	v_cmp_lt_u32_e64 s11, v4, v210
	s_and_saveexec_b32 s4, s11
	s_cbranch_execz .LBB193_242
; %bb.241:
	flat_store_byte v[2:3], v35 offset:512
.LBB193_242:
	;; [unrolled: 8-line block ×6, first 2 shown]
	s_or_b32 exec_lo, exec_lo, s15
	v_add_nc_u32_e32 v4, 0x700, v25
	v_cmp_lt_u32_e32 vcc_lo, v4, v210
	s_and_saveexec_b32 s15, vcc_lo
	s_cbranch_execz .LBB193_252
; %bb.251:
	flat_store_byte v[2:3], v30 offset:1792
.LBB193_252:
	s_or_b32 exec_lo, exec_lo, s15
	v_lshlrev_b64 v[2:3], 3, v[25:26]
	v_add_co_u32 v0, s15, v6, v0
	v_add_co_ci_u32_e64 v1, null, v7, v1, s15
	v_add_co_u32 v0, s15, v0, v2
	v_add_co_ci_u32_e64 v1, null, v1, v3, s15
	s_and_saveexec_b32 s15, s7
	s_cbranch_execnz .LBB193_302
; %bb.253:
	s_or_b32 exec_lo, exec_lo, s15
	s_and_saveexec_b32 s15, s14
	s_cbranch_execnz .LBB193_303
.LBB193_254:
	s_or_b32 exec_lo, exec_lo, s15
	s_and_saveexec_b32 s14, s11
	s_cbranch_execnz .LBB193_304
.LBB193_255:
	s_or_b32 exec_lo, exec_lo, s14
	s_and_saveexec_b32 s11, s10
	s_cbranch_execnz .LBB193_305
.LBB193_256:
	s_or_b32 exec_lo, exec_lo, s11
	s_and_saveexec_b32 s7, s6
	s_cbranch_execnz .LBB193_306
.LBB193_257:
	s_or_b32 exec_lo, exec_lo, s7
	s_and_saveexec_b32 s6, s5
	s_cbranch_execnz .LBB193_307
.LBB193_258:
	s_or_b32 exec_lo, exec_lo, s6
	s_and_saveexec_b32 s5, s4
	s_cbranch_execnz .LBB193_308
.LBB193_259:
	s_or_b32 exec_lo, exec_lo, s5
	s_and_saveexec_b32 s4, vcc_lo
	s_cbranch_execz .LBB193_261
.LBB193_260:
	v_add_co_u32 v0, vcc_lo, 0x3800, v0
	v_add_co_ci_u32_e64 v1, null, 0, v1, vcc_lo
	flat_store_dwordx2 v[0:1], v[11:12]
.LBB193_261:
	s_or_b32 exec_lo, exec_lo, s4
                                        ; implicit-def: $vgpr210
                                        ; implicit-def: $vgpr0
                                        ; implicit-def: $vgpr1
                                        ; implicit-def: $vgpr2
                                        ; implicit-def: $vgpr3
                                        ; implicit-def: $vgpr4
                                        ; implicit-def: $vgpr5
                                        ; implicit-def: $vgpr6
                                        ; implicit-def: $vgpr7
                                        ; implicit-def: $vgpr8
                                        ; implicit-def: $vgpr10
                                        ; implicit-def: $vgpr11
                                        ; implicit-def: $vgpr12
                                        ; implicit-def: $vgpr13
                                        ; implicit-def: $vgpr15
                                        ; implicit-def: $vgpr16
                                        ; implicit-def: $vgpr14
                                        ; implicit-def: $vgpr54
.LBB193_262:
	s_andn2_saveexec_b32 s4, s22
	s_cbranch_execz .LBB193_382
; %bb.263:
	s_mov_b32 s4, exec_lo
	v_cmpx_lt_u32_e32 0x200, v210
	s_xor_b32 s22, exec_lo, s4
	s_cbranch_execz .LBB193_323
; %bb.264:
	s_load_dwordx2 s[4:5], s[8:9], 0x0
	v_mov_b32_e32 v9, 0
	v_add_co_u32 v0, vcc_lo, v0, v8
	v_add_co_ci_u32_e64 v1, null, 0, v1, vcc_lo
	v_mov_b32_e32 v48, 0xff
	v_add_co_u32 v0, vcc_lo, v0, v54
	v_add_co_ci_u32_e64 v1, null, 0, v1, vcc_lo
	v_mov_b32_e32 v50, 0xff
	v_mov_b32_e32 v49, 0xff
	v_mov_b32_e32 v51, 0xff
	s_waitcnt lgkmcnt(0)
	s_cmp_lt_u32 s13, s5
	s_cselect_b32 s5, 14, 20
	s_add_u32 s6, s8, s5
	s_addc_u32 s7, s9, 0
	s_cmp_lt_u32 s12, s4
	global_load_ushort v17, v9, s[6:7]
	s_cselect_b32 s4, 12, 18
	s_add_u32 s4, s8, s4
	s_addc_u32 s5, s9, 0
	global_load_ushort v18, v9, s[4:5]
	s_waitcnt vmcnt(1)
	v_mad_u32_u24 v15, v16, v17, v15
	v_mov_b32_e32 v16, v9
	s_waitcnt vmcnt(0)
	v_mad_u64_u32 v[17:18], null, v15, v18, v[14:15]
	v_lshlrev_b32_e32 v15, 2, v17
	v_and_b32_e32 v15, 0xffffff80, v15
	v_or_b32_e32 v18, v15, v54
	v_add_co_u32 v0, vcc_lo, v0, v15
	v_add_co_ci_u32_e64 v1, null, 0, v1, vcc_lo
	v_cmp_lt_u32_e32 vcc_lo, v18, v210
	s_and_saveexec_b32 s4, vcc_lo
	s_cbranch_execz .LBB193_266
; %bb.265:
	flat_load_ubyte v50, v[0:1]
	v_mov_b32_e32 v48, 0xff
	v_mov_b32_e32 v49, 0xff
	;; [unrolled: 1-line block ×3, first 2 shown]
.LBB193_266:
	s_or_b32 exec_lo, exec_lo, s4
	v_or_b32_e32 v19, 32, v18
	v_cmp_lt_u32_e64 s4, v19, v210
	s_and_saveexec_b32 s5, s4
	s_cbranch_execz .LBB193_268
; %bb.267:
	flat_load_ubyte v49, v[0:1] offset:32
.LBB193_268:
	s_or_b32 exec_lo, exec_lo, s5
	v_or_b32_e32 v19, 64, v18
	v_cmp_lt_u32_e64 s5, v19, v210
	s_and_saveexec_b32 s6, s5
	s_cbranch_execz .LBB193_270
; %bb.269:
	flat_load_ubyte v51, v[0:1] offset:64
.LBB193_270:
	;; [unrolled: 8-line block ×3, first 2 shown]
	s_or_b32 exec_lo, exec_lo, s7
	v_lshlrev_b64 v[0:1], 3, v[8:9]
	v_lshlrev_b32_e32 v9, 3, v54
                                        ; implicit-def: $vgpr26_vgpr27
	v_add_co_u32 v18, s7, v4, v0
	v_add_co_ci_u32_e64 v19, null, v5, v1, s7
	v_lshlrev_b64 v[4:5], 3, v[15:16]
	v_add_co_u32 v9, s7, v18, v9
	v_add_co_ci_u32_e64 v15, null, 0, v19, s7
	v_add_co_u32 v4, s7, v9, v4
	v_add_co_ci_u32_e64 v5, null, v15, v5, s7
	s_and_saveexec_b32 s7, vcc_lo
	s_cbranch_execnz .LBB193_347
; %bb.273:
	s_or_b32 exec_lo, exec_lo, s7
                                        ; implicit-def: $vgpr28_vgpr29
	s_and_saveexec_b32 s7, s4
	s_cbranch_execnz .LBB193_348
.LBB193_274:
	s_or_b32 exec_lo, exec_lo, s7
                                        ; implicit-def: $vgpr22_vgpr23
	s_and_saveexec_b32 s4, s5
	s_cbranch_execnz .LBB193_349
.LBB193_275:
	s_or_b32 exec_lo, exec_lo, s4
                                        ; implicit-def: $vgpr24_vgpr25
	s_and_saveexec_b32 s4, s6
	s_cbranch_execz .LBB193_277
.LBB193_276:
	flat_load_dwordx2 v[24:25], v[4:5] offset:768
.LBB193_277:
	s_or_b32 exec_lo, exec_lo, s4
	v_lshl_add_u32 v4, v14, 5, v12
	v_and_b32_e32 v5, 0x3e0, v14
	v_sub_co_u32 v16, s6, v54, 1
	v_and_b32_e32 v15, 15, v54
	v_add_nc_u32_e32 v9, 32, v4
	v_add_nc_u32_e32 v52, 36, v4
	;; [unrolled: 1-line block ×8, first 2 shown]
	v_min_u32_e32 v4, 0xe0, v5
	v_and_b32_e32 v5, 16, v54
	v_cmp_gt_i32_e64 s14, 0, v16
	s_getpc_b64 s[4:5]
	s_add_u32 s4, s4, _ZN7rocprim17ROCPRIM_400000_NS16block_radix_sortIhLj256ELj4ElLj1ELj1ELj8ELNS0_26block_radix_rank_algorithmE2ELNS0_18block_padding_hintE2ELNS0_4arch9wavefront6targetE0EE19radix_bits_per_passE@rel32@lo+4
	s_addc_u32 s5, s5, _ZN7rocprim17ROCPRIM_400000_NS16block_radix_sortIhLj256ELj4ElLj1ELj1ELj8ELNS0_26block_radix_rank_algorithmE2ELNS0_18block_padding_hintE2ELNS0_4arch9wavefront6targetE0EE19radix_bits_per_passE@rel32@hi+12
	v_cmp_eq_u32_e32 vcc_lo, 0, v15
	s_load_dword s23, s[4:5], 0x0
	v_cmp_lt_u32_e64 s4, 1, v15
	v_cmp_lt_u32_e64 s5, 3, v15
	v_or_b32_e32 v4, 31, v4
	v_cmp_lt_u32_e64 s7, 7, v15
	v_cmp_eq_u32_e64 s10, 0, v5
	v_cndmask_b32_e64 v5, v16, v54, s14
	v_lshlrev_b32_e32 v15, 2, v14
	v_cmp_eq_u32_e64 s11, v14, v4
	v_lshrrev_b32_e32 v4, 3, v14
	v_lshrrev_b32_e32 v68, 5, v17
	v_lshlrev_b32_e32 v69, 2, v5
	v_and_or_b32 v5, 0xf80, v15, v54
	v_cmp_gt_u32_e64 s14, 8, v14
	v_and_b32_e32 v4, 0x7c, v4
	v_cmp_lt_u32_e64 s15, 31, v14
	v_cmp_eq_u32_e64 s16, 0, v14
	v_add_nc_u32_e32 v71, v12, v5
	v_mul_u32_u24_e32 v5, 7, v5
	v_add_nc_u32_e32 v70, v12, v4
	v_and_b32_e32 v4, 7, v54
	v_mov_b32_e32 v54, 0
	v_add_nc_u32_e32 v80, v12, v15
	v_add_nc_u32_e32 v81, v71, v5
	v_add_nc_u32_e32 v82, -4, v70
	v_cmp_eq_u32_e64 s17, 0, v4
	v_cmp_lt_u32_e64 s18, 1, v4
	v_cmp_lt_u32_e64 s19, 3, v4
	v_add_nc_u32_e32 v83, 32, v71
	v_add_nc_u32_e32 v84, 64, v71
	v_add_nc_u32_e32 v85, 0x60, v71
	v_add_nc_u32_e32 v86, 0x100, v81
	v_add_nc_u32_e32 v87, 0x200, v81
	v_add_nc_u32_e32 v96, 0x300, v81
	v_sub_nc_u32_e32 v97, v11, v10
	s_mov_b32 s24, 0
	s_waitcnt vmcnt(0) lgkmcnt(0)
	s_waitcnt_vscnt null, 0x0
	s_barrier
	buffer_gl0_inv
	s_branch .LBB193_279
.LBB193_278:                            ;   in Loop: Header=BB193_279 Depth=1
	s_or_b32 exec_lo, exec_lo, s21
	s_and_b32 s20, exec_lo, s26
	s_or_b32 s24, s20, s24
	s_andn2_b32 exec_lo, exec_lo, s24
	s_cbranch_execz .LBB193_309
.LBB193_279:                            ; =>This Inner Loop Header: Depth=1
	v_min_u32_e32 v4, s23, v97
	v_lshrrev_b32_sdwa v5, v10, v50 dst_sel:DWORD dst_unused:UNUSED_PAD src0_sel:DWORD src1_sel:BYTE_0
	v_mov_b32_e32 v15, v26
	v_mov_b32_e32 v16, v27
	ds_write_b32 v9, v54
	ds_write_b32 v52, v54
	v_lshlrev_b32_e64 v4, v4, -1
	ds_write_b32 v53, v54
	ds_write_b32 v55, v54
	;; [unrolled: 1-line block ×6, first 2 shown]
	v_not_b32_e32 v30, v4
	s_waitcnt lgkmcnt(0)
	s_barrier
	buffer_gl0_inv
	v_and_b32_e32 v31, v5, v30
	v_mov_b32_e32 v4, v28
	v_mov_b32_e32 v5, v29
	; wave barrier
	v_and_b32_e32 v18, 1, v31
	v_lshlrev_b32_e32 v19, 30, v31
	v_lshlrev_b32_e32 v20, 29, v31
	;; [unrolled: 1-line block ×4, first 2 shown]
	v_add_co_u32 v18, s20, v18, -1
	v_cndmask_b32_e64 v26, 0, 1, s20
	v_not_b32_e32 v32, v19
	v_cmp_gt_i32_e64 s21, 0, v19
	v_not_b32_e32 v19, v20
	v_lshlrev_b32_e32 v28, 26, v31
	v_cmp_ne_u32_e64 s20, 0, v26
	v_ashrrev_i32_e32 v32, 31, v32
	v_lshlrev_b32_e32 v29, 25, v31
	v_ashrrev_i32_e32 v19, 31, v19
	v_lshlrev_b32_e32 v26, 24, v31
	v_xor_b32_e32 v18, s20, v18
	v_cmp_gt_i32_e64 s20, 0, v20
	v_not_b32_e32 v20, v21
	v_xor_b32_e32 v32, s21, v32
	v_cmp_gt_i32_e64 s21, 0, v21
	v_and_b32_e32 v18, exec_lo, v18
	v_not_b32_e32 v21, v27
	v_ashrrev_i32_e32 v20, 31, v20
	v_xor_b32_e32 v19, s20, v19
	v_cmp_gt_i32_e64 s20, 0, v27
	v_and_b32_e32 v18, v18, v32
	v_not_b32_e32 v27, v28
	v_ashrrev_i32_e32 v21, 31, v21
	v_xor_b32_e32 v20, s21, v20
	v_cmp_gt_i32_e64 s21, 0, v28
	v_and_b32_e32 v18, v18, v19
	;; [unrolled: 5-line block ×4, first 2 shown]
	v_mov_b32_e32 v18, v22
	v_mov_b32_e32 v19, v23
	v_ashrrev_i32_e32 v22, 31, v20
	v_xor_b32_e32 v23, s20, v28
	v_and_b32_e32 v26, v21, v27
	v_mov_b32_e32 v20, v24
	v_mov_b32_e32 v21, v25
	v_xor_b32_e32 v22, s21, v22
	v_lshlrev_b32_e32 v25, 3, v31
	v_and_b32_e32 v23, v26, v23
	v_and_b32_e32 v24, v23, v22
	v_add_lshl_u32 v23, v25, v68, 2
	v_mbcnt_lo_u32_b32 v22, v24, 0
	v_add_co_u32 v23, null, v12, v23
	v_cmp_ne_u32_e64 s21, 0, v24
	v_cmp_eq_u32_e64 s20, 0, v22
	v_add_co_u32 v23, null, v23, 32
	s_and_b32 s21, s21, s20
	s_and_saveexec_b32 s20, s21
; %bb.280:                              ;   in Loop: Header=BB193_279 Depth=1
	v_bcnt_u32_b32 v24, v24, 0
	ds_write_b32 v23, v24
; %bb.281:                              ;   in Loop: Header=BB193_279 Depth=1
	s_or_b32 exec_lo, exec_lo, s20
	v_lshrrev_b32_sdwa v24, v10, v49 dst_sel:DWORD dst_unused:UNUSED_PAD src0_sel:DWORD src1_sel:BYTE_0
	; wave barrier
	v_and_b32_e32 v24, v24, v30
	v_and_b32_e32 v25, 1, v24
	v_lshlrev_b32_e32 v26, 30, v24
	v_lshlrev_b32_e32 v27, 29, v24
	;; [unrolled: 1-line block ×4, first 2 shown]
	v_add_co_u32 v25, s20, v25, -1
	v_cndmask_b32_e64 v29, 0, 1, s20
	v_not_b32_e32 v34, v26
	v_cmp_gt_i32_e64 s21, 0, v26
	v_not_b32_e32 v26, v27
	v_lshlrev_b32_e32 v32, 26, v24
	v_cmp_ne_u32_e64 s20, 0, v29
	v_ashrrev_i32_e32 v34, 31, v34
	v_lshlrev_b32_e32 v33, 25, v24
	v_ashrrev_i32_e32 v26, 31, v26
	v_lshlrev_b32_e32 v29, 24, v24
	v_xor_b32_e32 v25, s20, v25
	v_cmp_gt_i32_e64 s20, 0, v27
	v_not_b32_e32 v27, v28
	v_xor_b32_e32 v34, s21, v34
	v_cmp_gt_i32_e64 s21, 0, v28
	v_and_b32_e32 v25, exec_lo, v25
	v_not_b32_e32 v28, v31
	v_ashrrev_i32_e32 v27, 31, v27
	v_xor_b32_e32 v26, s20, v26
	v_cmp_gt_i32_e64 s20, 0, v31
	v_and_b32_e32 v25, v25, v34
	v_not_b32_e32 v31, v32
	v_ashrrev_i32_e32 v28, 31, v28
	v_xor_b32_e32 v27, s21, v27
	v_cmp_gt_i32_e64 s21, 0, v32
	v_and_b32_e32 v25, v25, v26
	;; [unrolled: 5-line block ×3, first 2 shown]
	v_not_b32_e32 v27, v29
	v_ashrrev_i32_e32 v26, 31, v26
	v_xor_b32_e32 v31, s21, v31
	v_lshl_add_u32 v24, v24, 3, v68
	v_and_b32_e32 v25, v25, v28
	v_cmp_gt_i32_e64 s21, 0, v29
	v_ashrrev_i32_e32 v27, 31, v27
	v_xor_b32_e32 v26, s20, v26
	v_lshl_add_u32 v28, v24, 2, v12
	v_and_b32_e32 v25, v25, v31
	v_xor_b32_e32 v27, s21, v27
	ds_read_b32 v24, v28 offset:32
	v_and_b32_e32 v25, v25, v26
	v_add_nc_u32_e32 v26, 32, v28
	; wave barrier
	v_and_b32_e32 v27, v25, v27
	v_mbcnt_lo_u32_b32 v25, v27, 0
	v_cmp_ne_u32_e64 s21, 0, v27
	v_cmp_eq_u32_e64 s20, 0, v25
	s_and_b32 s21, s21, s20
	s_and_saveexec_b32 s20, s21
	s_cbranch_execz .LBB193_283
; %bb.282:                              ;   in Loop: Header=BB193_279 Depth=1
	s_waitcnt lgkmcnt(0)
	v_bcnt_u32_b32 v27, v27, v24
	ds_write_b32 v26, v27
.LBB193_283:                            ;   in Loop: Header=BB193_279 Depth=1
	s_or_b32 exec_lo, exec_lo, s20
	v_lshrrev_b32_sdwa v27, v10, v51 dst_sel:DWORD dst_unused:UNUSED_PAD src0_sel:DWORD src1_sel:BYTE_0
	; wave barrier
	v_and_b32_e32 v27, v27, v30
	v_and_b32_e32 v28, 1, v27
	v_lshlrev_b32_e32 v29, 30, v27
	v_lshlrev_b32_e32 v31, 29, v27
	;; [unrolled: 1-line block ×4, first 2 shown]
	v_add_co_u32 v28, s20, v28, -1
	v_cndmask_b32_e64 v33, 0, 1, s20
	v_not_b32_e32 v37, v29
	v_cmp_gt_i32_e64 s21, 0, v29
	v_not_b32_e32 v29, v31
	v_lshlrev_b32_e32 v35, 26, v27
	v_cmp_ne_u32_e64 s20, 0, v33
	v_ashrrev_i32_e32 v37, 31, v37
	v_lshlrev_b32_e32 v36, 25, v27
	v_ashrrev_i32_e32 v29, 31, v29
	v_lshlrev_b32_e32 v33, 24, v27
	v_xor_b32_e32 v28, s20, v28
	v_cmp_gt_i32_e64 s20, 0, v31
	v_not_b32_e32 v31, v32
	v_xor_b32_e32 v37, s21, v37
	v_cmp_gt_i32_e64 s21, 0, v32
	v_and_b32_e32 v28, exec_lo, v28
	v_not_b32_e32 v32, v34
	v_ashrrev_i32_e32 v31, 31, v31
	v_xor_b32_e32 v29, s20, v29
	v_cmp_gt_i32_e64 s20, 0, v34
	v_and_b32_e32 v28, v28, v37
	v_not_b32_e32 v34, v35
	v_ashrrev_i32_e32 v32, 31, v32
	v_xor_b32_e32 v31, s21, v31
	v_cmp_gt_i32_e64 s21, 0, v35
	v_and_b32_e32 v28, v28, v29
	;; [unrolled: 5-line block ×3, first 2 shown]
	v_not_b32_e32 v31, v33
	v_ashrrev_i32_e32 v29, 31, v29
	v_xor_b32_e32 v34, s21, v34
	v_lshl_add_u32 v27, v27, 3, v68
	v_and_b32_e32 v28, v28, v32
	v_cmp_gt_i32_e64 s21, 0, v33
	v_ashrrev_i32_e32 v31, 31, v31
	v_xor_b32_e32 v29, s20, v29
	v_lshl_add_u32 v32, v27, 2, v12
	v_and_b32_e32 v28, v28, v34
	v_xor_b32_e32 v31, s21, v31
	ds_read_b32 v27, v32 offset:32
	v_and_b32_e32 v28, v28, v29
	v_add_nc_u32_e32 v29, 32, v32
	; wave barrier
	v_and_b32_e32 v31, v28, v31
	v_mbcnt_lo_u32_b32 v28, v31, 0
	v_cmp_ne_u32_e64 s21, 0, v31
	v_cmp_eq_u32_e64 s20, 0, v28
	s_and_b32 s21, s21, s20
	s_and_saveexec_b32 s20, s21
	s_cbranch_execz .LBB193_285
; %bb.284:                              ;   in Loop: Header=BB193_279 Depth=1
	s_waitcnt lgkmcnt(0)
	v_bcnt_u32_b32 v31, v31, v27
	ds_write_b32 v29, v31
.LBB193_285:                            ;   in Loop: Header=BB193_279 Depth=1
	s_or_b32 exec_lo, exec_lo, s20
	v_lshrrev_b32_sdwa v31, v10, v48 dst_sel:DWORD dst_unused:UNUSED_PAD src0_sel:DWORD src1_sel:BYTE_0
	; wave barrier
	v_and_b32_e32 v30, v31, v30
	v_and_b32_e32 v31, 1, v30
	v_lshlrev_b32_e32 v32, 30, v30
	v_lshlrev_b32_e32 v33, 29, v30
	;; [unrolled: 1-line block ×4, first 2 shown]
	v_add_co_u32 v31, s20, v31, -1
	v_cndmask_b32_e64 v35, 0, 1, s20
	v_not_b32_e32 v39, v32
	v_cmp_gt_i32_e64 s21, 0, v32
	v_not_b32_e32 v32, v33
	v_lshlrev_b32_e32 v37, 26, v30
	v_cmp_ne_u32_e64 s20, 0, v35
	v_ashrrev_i32_e32 v39, 31, v39
	v_lshlrev_b32_e32 v38, 25, v30
	v_ashrrev_i32_e32 v32, 31, v32
	v_lshlrev_b32_e32 v35, 24, v30
	v_xor_b32_e32 v31, s20, v31
	v_cmp_gt_i32_e64 s20, 0, v33
	v_not_b32_e32 v33, v34
	v_xor_b32_e32 v39, s21, v39
	v_cmp_gt_i32_e64 s21, 0, v34
	v_and_b32_e32 v31, exec_lo, v31
	v_not_b32_e32 v34, v36
	v_ashrrev_i32_e32 v33, 31, v33
	v_xor_b32_e32 v32, s20, v32
	v_cmp_gt_i32_e64 s20, 0, v36
	v_and_b32_e32 v31, v31, v39
	v_not_b32_e32 v36, v37
	v_ashrrev_i32_e32 v34, 31, v34
	v_xor_b32_e32 v33, s21, v33
	v_cmp_gt_i32_e64 s21, 0, v37
	v_and_b32_e32 v31, v31, v32
	;; [unrolled: 5-line block ×3, first 2 shown]
	v_not_b32_e32 v33, v35
	v_ashrrev_i32_e32 v32, 31, v32
	v_xor_b32_e32 v36, s21, v36
	v_lshl_add_u32 v30, v30, 3, v68
	v_and_b32_e32 v31, v31, v34
	v_cmp_gt_i32_e64 s21, 0, v35
	v_ashrrev_i32_e32 v33, 31, v33
	v_xor_b32_e32 v32, s20, v32
	v_lshl_add_u32 v34, v30, 2, v12
	v_and_b32_e32 v31, v31, v36
	v_xor_b32_e32 v33, s21, v33
	ds_read_b32 v30, v34 offset:32
	v_and_b32_e32 v31, v31, v32
	v_add_nc_u32_e32 v32, 32, v34
	; wave barrier
	v_and_b32_e32 v33, v31, v33
	v_mbcnt_lo_u32_b32 v31, v33, 0
	v_cmp_ne_u32_e64 s21, 0, v33
	v_cmp_eq_u32_e64 s20, 0, v31
	s_and_b32 s21, s21, s20
	s_and_saveexec_b32 s20, s21
	s_cbranch_execz .LBB193_287
; %bb.286:                              ;   in Loop: Header=BB193_279 Depth=1
	s_waitcnt lgkmcnt(0)
	v_bcnt_u32_b32 v33, v33, v30
	ds_write_b32 v32, v33
.LBB193_287:                            ;   in Loop: Header=BB193_279 Depth=1
	s_or_b32 exec_lo, exec_lo, s20
	; wave barrier
	s_waitcnt lgkmcnt(0)
	s_barrier
	buffer_gl0_inv
	ds_read_b32 v34, v9
	ds_read_b32 v35, v52
	;; [unrolled: 1-line block ×8, first 2 shown]
	s_waitcnt lgkmcnt(6)
	v_add_nc_u32_e32 v99, v35, v34
	s_waitcnt lgkmcnt(4)
	v_add3_u32 v99, v99, v36, v37
	s_waitcnt lgkmcnt(2)
	v_add3_u32 v99, v99, v38, v39
	;; [unrolled: 2-line block ×3, first 2 shown]
	v_mov_b32_dpp v99, v98 row_shr:1 row_mask:0xf bank_mask:0xf
	v_cndmask_b32_e64 v99, v99, 0, vcc_lo
	v_add_nc_u32_e32 v98, v99, v98
	v_mov_b32_dpp v99, v98 row_shr:2 row_mask:0xf bank_mask:0xf
	v_cndmask_b32_e64 v99, 0, v99, s4
	v_add_nc_u32_e32 v98, v98, v99
	v_mov_b32_dpp v99, v98 row_shr:4 row_mask:0xf bank_mask:0xf
	v_cndmask_b32_e64 v99, 0, v99, s5
	;; [unrolled: 3-line block ×3, first 2 shown]
	v_add_nc_u32_e32 v98, v98, v99
	ds_swizzle_b32 v99, v98 offset:swizzle(BROADCAST,32,15)
	s_waitcnt lgkmcnt(0)
	v_cndmask_b32_e64 v99, v99, 0, s10
	v_add_nc_u32_e32 v98, v98, v99
	s_and_saveexec_b32 s20, s11
; %bb.288:                              ;   in Loop: Header=BB193_279 Depth=1
	ds_write_b32 v70, v98
; %bb.289:                              ;   in Loop: Header=BB193_279 Depth=1
	s_or_b32 exec_lo, exec_lo, s20
	s_waitcnt lgkmcnt(0)
	s_barrier
	buffer_gl0_inv
	s_and_saveexec_b32 s20, s14
	s_cbranch_execz .LBB193_291
; %bb.290:                              ;   in Loop: Header=BB193_279 Depth=1
	ds_read_b32 v99, v80
	s_waitcnt lgkmcnt(0)
	v_mov_b32_dpp v100, v99 row_shr:1 row_mask:0xf bank_mask:0xf
	v_cndmask_b32_e64 v100, v100, 0, s17
	v_add_nc_u32_e32 v99, v100, v99
	v_mov_b32_dpp v100, v99 row_shr:2 row_mask:0xf bank_mask:0xf
	v_cndmask_b32_e64 v100, 0, v100, s18
	v_add_nc_u32_e32 v99, v99, v100
	;; [unrolled: 3-line block ×3, first 2 shown]
	ds_write_b32 v80, v99
.LBB193_291:                            ;   in Loop: Header=BB193_279 Depth=1
	s_or_b32 exec_lo, exec_lo, s20
	v_mov_b32_e32 v99, 0
	s_waitcnt lgkmcnt(0)
	s_barrier
	buffer_gl0_inv
	s_and_saveexec_b32 s20, s15
; %bb.292:                              ;   in Loop: Header=BB193_279 Depth=1
	ds_read_b32 v99, v82
; %bb.293:                              ;   in Loop: Header=BB193_279 Depth=1
	s_or_b32 exec_lo, exec_lo, s20
	s_waitcnt lgkmcnt(0)
	v_add_nc_u32_e32 v98, v99, v98
	v_add_nc_u32_e32 v10, 8, v10
	v_mov_b32_e32 v102, v50
	v_mov_b32_e32 v103, v49
	;; [unrolled: 1-line block ×3, first 2 shown]
	ds_bpermute_b32 v98, v69, v98
	v_mov_b32_e32 v101, v48
	s_mov_b32 s26, -1
	s_waitcnt lgkmcnt(0)
	v_cndmask_b32_e64 v98, v98, v99, s6
	v_cndmask_b32_e64 v98, v98, 0, s16
	v_add_nc_u32_e32 v34, v98, v34
	v_add_nc_u32_e32 v35, v34, v35
	ds_write_b32 v9, v98
	ds_write_b32 v52, v34
	;; [unrolled: 1-line block ×3, first 2 shown]
	v_add_nc_u32_e32 v36, v35, v36
	v_add_nc_u32_e32 v37, v36, v37
	;; [unrolled: 1-line block ×5, first 2 shown]
	ds_write_b32 v55, v36
	ds_write_b32 v64, v37
	;; [unrolled: 1-line block ×5, first 2 shown]
	s_waitcnt lgkmcnt(0)
	s_barrier
	buffer_gl0_inv
	ds_read_b32 v23, v23
	ds_read_b32 v26, v26
	;; [unrolled: 1-line block ×4, first 2 shown]
	s_waitcnt lgkmcnt(0)
	v_add_nc_u32_e32 v22, v23, v22
	v_add3_u32 v100, v25, v24, v26
	v_add3_u32 v99, v28, v27, v29
	;; [unrolled: 1-line block ×3, first 2 shown]
                                        ; implicit-def: $vgpr26_vgpr27
                                        ; implicit-def: $vgpr28_vgpr29
                                        ; implicit-def: $vgpr24_vgpr25
	v_add_co_u32 v38, s21, v12, v22
	v_add_co_ci_u32_e64 v39, null, 0, v13, s21
	v_add_co_u32 v30, s21, v12, v100
	v_add_co_ci_u32_e64 v31, null, 0, v13, s21
	v_add_co_u32 v34, s21, v12, v99
	v_mad_u64_u32 v[32:33], null, v22, 7, v[38:39]
	v_add_co_ci_u32_e64 v35, null, 0, v13, s21
	v_add_co_u32 v36, s21, v12, v98
	v_add_co_ci_u32_e64 v37, null, 0, v13, s21
	s_mov_b32 s21, exec_lo
                                        ; implicit-def: $vgpr22_vgpr23
	v_cmpx_lt_u32_e64 v10, v11
	s_cbranch_execz .LBB193_278
; %bb.294:                              ;   in Loop: Header=BB193_279 Depth=1
	v_mad_u64_u32 v[22:23], null, v100, 7, v[30:31]
	v_mad_u64_u32 v[23:24], null, v99, 7, v[34:35]
	v_mad_u64_u32 v[24:25], null, v98, 7, v[36:37]
	s_barrier
	buffer_gl0_inv
	ds_write_b8 v38, v50
	ds_write_b8 v30, v49
	;; [unrolled: 1-line block ×4, first 2 shown]
	s_waitcnt lgkmcnt(0)
	s_barrier
	buffer_gl0_inv
	ds_read_u8 v48, v85
	ds_read_u8 v51, v84
	;; [unrolled: 1-line block ×4, first 2 shown]
	s_waitcnt lgkmcnt(0)
	s_barrier
	buffer_gl0_inv
	ds_write_b64 v32, v[15:16]
	ds_write_b64 v22, v[4:5]
	ds_write_b64 v23, v[18:19]
	ds_write_b64 v24, v[20:21]
	s_waitcnt lgkmcnt(0)
	s_barrier
	buffer_gl0_inv
	ds_read_b64 v[26:27], v81
	ds_read_b64 v[28:29], v86
	;; [unrolled: 1-line block ×4, first 2 shown]
	v_add_nc_u32_e32 v97, -8, v97
	s_xor_b32 s26, exec_lo, -1
	s_waitcnt lgkmcnt(0)
	s_barrier
	buffer_gl0_inv
	s_branch .LBB193_278
.LBB193_295:
	flat_load_dwordx2 v[32:33], v[4:5]
	s_or_b32 exec_lo, exec_lo, s15
                                        ; implicit-def: $vgpr36_vgpr37
	s_and_saveexec_b32 s15, s4
	s_cbranch_execz .LBB193_171
.LBB193_296:
	flat_load_dwordx2 v[36:37], v[4:5] offset:256
	s_or_b32 exec_lo, exec_lo, s15
                                        ; implicit-def: $vgpr38_vgpr39
	s_and_saveexec_b32 s4, s5
	s_cbranch_execz .LBB193_172
.LBB193_297:
	flat_load_dwordx2 v[38:39], v[4:5] offset:512
	s_or_b32 exec_lo, exec_lo, s4
                                        ; implicit-def: $vgpr48_vgpr49
	s_and_saveexec_b32 s4, s6
	s_cbranch_execz .LBB193_173
.LBB193_298:
	flat_load_dwordx2 v[48:49], v[4:5] offset:768
	s_or_b32 exec_lo, exec_lo, s4
                                        ; implicit-def: $vgpr50_vgpr51
	s_and_saveexec_b32 s4, s7
	s_cbranch_execz .LBB193_174
.LBB193_299:
	flat_load_dwordx2 v[50:51], v[4:5] offset:1024
	s_or_b32 exec_lo, exec_lo, s4
                                        ; implicit-def: $vgpr52_vgpr53
	s_and_saveexec_b32 s4, s10
	s_cbranch_execz .LBB193_175
.LBB193_300:
	flat_load_dwordx2 v[52:53], v[4:5] offset:1280
	s_or_b32 exec_lo, exec_lo, s4
                                        ; implicit-def: $vgpr30_vgpr31
	s_and_saveexec_b32 s4, s11
	s_cbranch_execz .LBB193_176
.LBB193_301:
	flat_load_dwordx2 v[30:31], v[4:5] offset:1536
	s_or_b32 exec_lo, exec_lo, s4
                                        ; implicit-def: $vgpr34_vgpr35
	s_and_saveexec_b32 s4, s14
	s_cbranch_execnz .LBB193_177
	s_branch .LBB193_178
.LBB193_302:
	flat_store_dwordx2 v[0:1], v[21:22]
	s_or_b32 exec_lo, exec_lo, s15
	s_and_saveexec_b32 s15, s14
	s_cbranch_execz .LBB193_254
.LBB193_303:
	v_add_co_u32 v2, s7, 0x800, v0
	v_add_co_ci_u32_e64 v3, null, 0, v1, s7
	flat_store_dwordx2 v[2:3], v[23:24]
	s_or_b32 exec_lo, exec_lo, s15
	s_and_saveexec_b32 s14, s11
	s_cbranch_execz .LBB193_255
.LBB193_304:
	v_add_co_u32 v2, s7, 0x1000, v0
	v_add_co_ci_u32_e64 v3, null, 0, v1, s7
	flat_store_dwordx2 v[2:3], v[17:18]
	s_or_b32 exec_lo, exec_lo, s14
	s_and_saveexec_b32 s11, s10
	s_cbranch_execz .LBB193_256
.LBB193_305:
	v_add_co_u32 v2, s7, 0x1800, v0
	v_add_co_ci_u32_e64 v3, null, 0, v1, s7
	flat_store_dwordx2 v[2:3], v[19:20]
	s_or_b32 exec_lo, exec_lo, s11
	s_and_saveexec_b32 s7, s6
	s_cbranch_execz .LBB193_257
.LBB193_306:
	v_add_co_u32 v2, s6, 0x2000, v0
	v_add_co_ci_u32_e64 v3, null, 0, v1, s6
	flat_store_dwordx2 v[2:3], v[13:14]
	s_or_b32 exec_lo, exec_lo, s7
	s_and_saveexec_b32 s6, s5
	s_cbranch_execz .LBB193_258
.LBB193_307:
	v_add_co_u32 v2, s5, 0x2800, v0
	v_add_co_ci_u32_e64 v3, null, 0, v1, s5
	flat_store_dwordx2 v[2:3], v[15:16]
	s_or_b32 exec_lo, exec_lo, s6
	s_and_saveexec_b32 s5, s4
	s_cbranch_execz .LBB193_259
.LBB193_308:
	v_add_co_u32 v2, s4, 0x3000, v0
	v_add_co_ci_u32_e64 v3, null, 0, v1, s4
	flat_store_dwordx2 v[2:3], v[9:10]
	s_or_b32 exec_lo, exec_lo, s5
	s_and_saveexec_b32 s4, vcc_lo
	s_cbranch_execnz .LBB193_260
	s_branch .LBB193_261
.LBB193_309:
	s_or_b32 exec_lo, exec_lo, s24
	v_mad_u64_u32 v[9:10], null, v100, 7, v[30:31]
	v_mad_u64_u32 v[10:11], null, v99, 7, v[34:35]
	v_add_nc_u32_e32 v13, v12, v14
	v_mad_u64_u32 v[11:12], null, v98, 7, v[36:37]
	v_mul_u32_u24_e32 v12, 7, v14
	s_barrier
	buffer_gl0_inv
	ds_write_b8 v38, v102
	ds_write_b8 v30, v103
	;; [unrolled: 1-line block ×4, first 2 shown]
	s_waitcnt lgkmcnt(0)
	s_barrier
	buffer_gl0_inv
	ds_read_u8 v25, v13
	ds_read_u8 v24, v13 offset:256
	ds_read_u8 v23, v13 offset:512
	;; [unrolled: 1-line block ×3, first 2 shown]
	s_waitcnt lgkmcnt(0)
	s_barrier
	buffer_gl0_inv
	ds_write_b64 v32, v[15:16]
	ds_write_b64 v9, v[4:5]
	;; [unrolled: 1-line block ×3, first 2 shown]
	v_add_nc_u32_e32 v4, v13, v12
	ds_write_b64 v11, v[20:21]
	s_waitcnt lgkmcnt(0)
	s_barrier
	buffer_gl0_inv
	ds_read2st64_b64 v[13:16], v4 offset1:4
	ds_read2st64_b64 v[9:12], v4 offset0:8 offset1:12
	v_add_co_u32 v2, vcc_lo, v2, v8
	v_add_co_ci_u32_e64 v3, null, 0, v3, vcc_lo
	v_mov_b32_e32 v18, 0
	v_add_co_u32 v2, vcc_lo, v2, v17
	v_add_co_ci_u32_e64 v3, null, 0, v3, vcc_lo
	v_cmp_lt_u32_e32 vcc_lo, v17, v210
	s_waitcnt lgkmcnt(0)
	s_barrier
	buffer_gl0_inv
	s_and_saveexec_b32 s4, vcc_lo
	s_cbranch_execz .LBB193_311
; %bb.310:
	flat_store_byte v[2:3], v25
.LBB193_311:
	s_or_b32 exec_lo, exec_lo, s4
	v_add_nc_u32_e32 v4, 0x100, v17
	v_cmp_lt_u32_e64 s6, v4, v210
	s_and_saveexec_b32 s4, s6
	s_cbranch_execz .LBB193_313
; %bb.312:
	flat_store_byte v[2:3], v24 offset:256
.LBB193_313:
	s_or_b32 exec_lo, exec_lo, s4
	v_add_nc_u32_e32 v4, 0x200, v17
	v_cmp_lt_u32_e64 s5, v4, v210
	s_and_saveexec_b32 s4, s5
	s_cbranch_execz .LBB193_315
; %bb.314:
	flat_store_byte v[2:3], v23 offset:512
.LBB193_315:
	;; [unrolled: 8-line block ×3, first 2 shown]
	s_or_b32 exec_lo, exec_lo, s7
	v_lshlrev_b64 v[2:3], 3, v[17:18]
	v_add_co_u32 v0, s7, v6, v0
	v_add_co_ci_u32_e64 v1, null, v7, v1, s7
	v_add_co_u32 v0, s7, v0, v2
	v_add_co_ci_u32_e64 v1, null, v1, v3, s7
	s_and_saveexec_b32 s7, vcc_lo
	s_cbranch_execnz .LBB193_350
; %bb.318:
	s_or_b32 exec_lo, exec_lo, s7
	s_and_saveexec_b32 s7, s6
	s_cbranch_execnz .LBB193_351
.LBB193_319:
	s_or_b32 exec_lo, exec_lo, s7
	s_and_saveexec_b32 s6, s5
	s_cbranch_execnz .LBB193_352
.LBB193_320:
	s_or_b32 exec_lo, exec_lo, s6
	s_and_saveexec_b32 s5, s4
	s_cbranch_execz .LBB193_322
.LBB193_321:
	v_add_co_u32 v0, vcc_lo, 0x1800, v0
	v_add_co_ci_u32_e64 v1, null, 0, v1, vcc_lo
	flat_store_dwordx2 v[0:1], v[11:12]
.LBB193_322:
	s_or_b32 exec_lo, exec_lo, s5
                                        ; implicit-def: $vgpr210
                                        ; implicit-def: $vgpr0
                                        ; implicit-def: $vgpr1
                                        ; implicit-def: $vgpr2
                                        ; implicit-def: $vgpr3
                                        ; implicit-def: $vgpr4
                                        ; implicit-def: $vgpr5
                                        ; implicit-def: $vgpr6
                                        ; implicit-def: $vgpr7
                                        ; implicit-def: $vgpr8
                                        ; implicit-def: $vgpr10
                                        ; implicit-def: $vgpr11
                                        ; implicit-def: $vgpr12
                                        ; implicit-def: $vgpr13
                                        ; implicit-def: $vgpr15
                                        ; implicit-def: $vgpr16
                                        ; implicit-def: $vgpr14
                                        ; implicit-def: $vgpr54
.LBB193_323:
	s_andn2_saveexec_b32 s4, s22
	s_cbranch_execz .LBB193_382
; %bb.324:
	s_load_dwordx2 s[4:5], s[8:9], 0x0
	v_mov_b32_e32 v9, 0
	s_waitcnt lgkmcnt(0)
	s_cmp_lt_u32 s13, s5
	s_cselect_b32 s5, 14, 20
	s_add_u32 s6, s8, s5
	s_addc_u32 s7, s9, 0
	s_cmp_lt_u32 s12, s4
	global_load_ushort v17, v9, s[6:7]
	s_cselect_b32 s4, 12, 18
	s_add_u32 s4, s8, s4
	s_addc_u32 s5, s9, 0
	global_load_ushort v18, v9, s[4:5]
	s_mov_b32 s4, exec_lo
	s_waitcnt vmcnt(1)
	v_mad_u32_u24 v15, v16, v17, v15
	s_waitcnt vmcnt(0)
	v_mad_u64_u32 v[15:16], null, v15, v18, v[14:15]
	v_cmpx_lt_u32_e32 0x100, v210
	s_xor_b32 s18, exec_lo, s4
	s_cbranch_execz .LBB193_362
; %bb.325:
	v_lshlrev_b32_e32 v16, 1, v15
	v_add_co_u32 v0, vcc_lo, v0, v8
	v_add_co_ci_u32_e64 v1, null, 0, v1, vcc_lo
	v_and_b32_e32 v16, 0xffffffc0, v16
	v_add_co_u32 v0, vcc_lo, v0, v54
	v_add_co_ci_u32_e64 v1, null, 0, v1, vcc_lo
	v_or_b32_e32 v18, v54, v16
	v_add_co_u32 v0, vcc_lo, v0, v16
	v_mov_b32_e32 v17, v9
	v_add_co_ci_u32_e64 v1, null, 0, v1, vcc_lo
	v_cmp_lt_u32_e32 vcc_lo, v18, v210
	v_mov_b32_e32 v30, 0xff
	v_mov_b32_e32 v31, 0xff
	s_and_saveexec_b32 s4, vcc_lo
	s_cbranch_execz .LBB193_327
; %bb.326:
	flat_load_ubyte v31, v[0:1]
.LBB193_327:
	s_or_b32 exec_lo, exec_lo, s4
	v_or_b32_e32 v18, 32, v18
	v_cmp_lt_u32_e64 s4, v18, v210
	s_and_saveexec_b32 s5, s4
	s_cbranch_execz .LBB193_329
; %bb.328:
	flat_load_ubyte v30, v[0:1] offset:32
.LBB193_329:
	s_or_b32 exec_lo, exec_lo, s5
	v_lshlrev_b64 v[0:1], 3, v[8:9]
	v_lshlrev_b32_e32 v9, 3, v54
	v_lshlrev_b64 v[16:17], 3, v[16:17]
	v_mov_b32_e32 v20, 0
	v_mov_b32_e32 v18, 0
	;; [unrolled: 1-line block ×3, first 2 shown]
	v_add_co_u32 v4, s5, v4, v0
	v_add_co_ci_u32_e64 v5, null, v5, v1, s5
	v_mov_b32_e32 v19, 0
	v_add_co_u32 v4, s5, v4, v9
	v_add_co_ci_u32_e64 v5, null, 0, v5, s5
	v_add_co_u32 v4, s5, v4, v16
	v_add_co_ci_u32_e64 v5, null, v5, v17, s5
	s_and_saveexec_b32 s5, vcc_lo
	s_cbranch_execz .LBB193_331
; %bb.330:
	flat_load_dwordx2 v[18:19], v[4:5]
.LBB193_331:
	s_or_b32 exec_lo, exec_lo, s5
	s_and_saveexec_b32 s5, s4
	s_cbranch_execz .LBB193_333
; %bb.332:
	flat_load_dwordx2 v[20:21], v[4:5] offset:256
.LBB193_333:
	s_or_b32 exec_lo, exec_lo, s5
	v_lshl_add_u32 v4, v14, 5, v12
	v_and_b32_e32 v5, 0x3e0, v14
	v_sub_co_u32 v17, s6, v54, 1
	v_and_b32_e32 v16, 15, v54
	v_add_nc_u32_e32 v9, 32, v4
	v_add_nc_u32_e32 v32, 36, v4
	;; [unrolled: 1-line block ×8, first 2 shown]
	v_min_u32_e32 v4, 0xe0, v5
	v_and_b32_e32 v5, 16, v54
	v_cmp_gt_i32_e64 s10, 0, v17
	s_getpc_b64 s[4:5]
	s_add_u32 s4, s4, _ZN7rocprim17ROCPRIM_400000_NS16block_radix_sortIhLj256ELj2ElLj1ELj1ELj8ELNS0_26block_radix_rank_algorithmE2ELNS0_18block_padding_hintE2ELNS0_4arch9wavefront6targetE0EE19radix_bits_per_passE@rel32@lo+4
	s_addc_u32 s5, s5, _ZN7rocprim17ROCPRIM_400000_NS16block_radix_sortIhLj256ELj2ElLj1ELj1ELj8ELNS0_26block_radix_rank_algorithmE2ELNS0_18block_padding_hintE2ELNS0_4arch9wavefront6targetE0EE19radix_bits_per_passE@rel32@hi+12
	v_cmp_eq_u32_e32 vcc_lo, 0, v16
	v_or_b32_e32 v4, 31, v4
	s_load_dword s19, s[4:5], 0x0
	v_cmp_lt_u32_e64 s4, 1, v16
	v_cmp_lt_u32_e64 s5, 3, v16
	;; [unrolled: 1-line block ×3, first 2 shown]
	v_cmp_eq_u32_e64 s9, v14, v4
	v_lshlrev_b32_e32 v4, 1, v14
	v_cmp_eq_u32_e64 s8, 0, v5
	v_cndmask_b32_e64 v5, v17, v54, s10
	v_lshrrev_b32_e32 v16, 3, v14
	v_lshrrev_b32_e32 v39, 5, v15
	v_and_or_b32 v4, 0x7c0, v4, v54
	v_cmp_gt_u32_e64 s10, 8, v14
	v_lshlrev_b32_e32 v48, 2, v5
	v_and_b32_e32 v5, 0x7c, v16
	v_and_b32_e32 v16, 7, v54
	v_add_nc_u32_e32 v49, v12, v4
	v_mul_u32_u24_e32 v4, 7, v4
	v_cmp_lt_u32_e64 s11, 31, v14
	v_add_nc_u32_e32 v50, v12, v5
	v_cmp_eq_u32_e64 s12, 0, v14
	v_mov_b32_e32 v51, 0
	v_add_nc_u32_e32 v53, v49, v4
	v_lshl_add_u32 v52, v14, 2, v12
	v_cmp_eq_u32_e64 s13, 0, v16
	v_cmp_lt_u32_e64 s14, 1, v16
	v_cmp_lt_u32_e64 s15, 3, v16
	v_add_nc_u32_e32 v54, -4, v50
	v_add_nc_u32_e32 v55, 32, v49
	v_add_nc_u32_e32 v64, 0x100, v53
	v_sub_nc_u32_e32 v65, v11, v10
	s_mov_b32 s20, 0
	s_waitcnt vmcnt(0) lgkmcnt(0)
	s_waitcnt_vscnt null, 0x0
	s_barrier
	buffer_gl0_inv
	s_branch .LBB193_335
.LBB193_334:                            ;   in Loop: Header=BB193_335 Depth=1
	s_or_b32 exec_lo, exec_lo, s17
	s_and_b32 s16, exec_lo, s21
	s_or_b32 s20, s16, s20
	s_andn2_b32 exec_lo, exec_lo, s20
	s_cbranch_execz .LBB193_353
.LBB193_335:                            ; =>This Inner Loop Header: Depth=1
	v_min_u32_e32 v4, s19, v65
	v_lshrrev_b32_sdwa v5, v10, v31 dst_sel:DWORD dst_unused:UNUSED_PAD src0_sel:DWORD src1_sel:BYTE_0
	ds_write_b32 v9, v51
	ds_write_b32 v32, v51
	;; [unrolled: 1-line block ×5, first 2 shown]
	v_lshlrev_b32_e64 v4, v4, -1
	ds_write_b32 v36, v51
	ds_write_b32 v37, v51
	;; [unrolled: 1-line block ×3, first 2 shown]
	s_waitcnt lgkmcnt(0)
	s_barrier
	v_not_b32_e32 v22, v4
	buffer_gl0_inv
	; wave barrier
	v_and_b32_e32 v23, v5, v22
	v_and_b32_e32 v4, 1, v23
	v_lshlrev_b32_e32 v5, 30, v23
	v_lshlrev_b32_e32 v16, 29, v23
	;; [unrolled: 1-line block ×4, first 2 shown]
	v_add_co_u32 v4, s16, v4, -1
	v_cndmask_b32_e64 v24, 0, 1, s16
	v_not_b32_e32 v28, v5
	v_cmp_gt_i32_e64 s17, 0, v5
	v_not_b32_e32 v5, v16
	v_lshlrev_b32_e32 v26, 26, v23
	v_cmp_ne_u32_e64 s16, 0, v24
	v_ashrrev_i32_e32 v28, 31, v28
	v_lshlrev_b32_e32 v27, 25, v23
	v_ashrrev_i32_e32 v5, 31, v5
	v_lshlrev_b32_e32 v24, 24, v23
	v_xor_b32_e32 v4, s16, v4
	v_cmp_gt_i32_e64 s16, 0, v16
	v_not_b32_e32 v16, v17
	v_xor_b32_e32 v28, s17, v28
	v_cmp_gt_i32_e64 s17, 0, v17
	v_and_b32_e32 v4, exec_lo, v4
	v_not_b32_e32 v17, v25
	v_ashrrev_i32_e32 v16, 31, v16
	v_xor_b32_e32 v5, s16, v5
	v_cmp_gt_i32_e64 s16, 0, v25
	v_and_b32_e32 v4, v4, v28
	v_not_b32_e32 v25, v26
	v_ashrrev_i32_e32 v17, 31, v17
	v_xor_b32_e32 v16, s17, v16
	v_cmp_gt_i32_e64 s17, 0, v26
	v_and_b32_e32 v4, v4, v5
	;; [unrolled: 5-line block ×4, first 2 shown]
	v_mov_b32_e32 v4, v20
	v_mov_b32_e32 v5, v21
	v_ashrrev_i32_e32 v20, 31, v16
	v_xor_b32_e32 v21, s16, v26
	v_and_b32_e32 v24, v17, v25
	v_mov_b32_e32 v16, v18
	v_mov_b32_e32 v17, v19
	v_xor_b32_e32 v18, s17, v20
	v_and_b32_e32 v19, v24, v21
	v_lshlrev_b32_e32 v21, 3, v23
	v_and_b32_e32 v20, v19, v18
	v_add_lshl_u32 v19, v21, v39, 2
	v_mbcnt_lo_u32_b32 v18, v20, 0
	v_add_co_u32 v19, null, v12, v19
	v_cmp_ne_u32_e64 s17, 0, v20
	v_cmp_eq_u32_e64 s16, 0, v18
	v_add_co_u32 v19, null, v19, 32
	s_and_b32 s17, s17, s16
	s_and_saveexec_b32 s16, s17
; %bb.336:                              ;   in Loop: Header=BB193_335 Depth=1
	v_bcnt_u32_b32 v20, v20, 0
	ds_write_b32 v19, v20
; %bb.337:                              ;   in Loop: Header=BB193_335 Depth=1
	s_or_b32 exec_lo, exec_lo, s16
	v_lshrrev_b32_sdwa v20, v10, v30 dst_sel:DWORD dst_unused:UNUSED_PAD src0_sel:DWORD src1_sel:BYTE_0
	; wave barrier
	v_and_b32_e32 v20, v20, v22
	v_and_b32_e32 v21, 1, v20
	v_lshlrev_b32_e32 v22, 30, v20
	v_lshlrev_b32_e32 v23, 29, v20
	;; [unrolled: 1-line block ×4, first 2 shown]
	v_add_co_u32 v21, s16, v21, -1
	v_cndmask_b32_e64 v25, 0, 1, s16
	v_not_b32_e32 v29, v22
	v_cmp_gt_i32_e64 s17, 0, v22
	v_not_b32_e32 v22, v23
	v_lshlrev_b32_e32 v27, 26, v20
	v_cmp_ne_u32_e64 s16, 0, v25
	v_ashrrev_i32_e32 v29, 31, v29
	v_lshlrev_b32_e32 v28, 25, v20
	v_ashrrev_i32_e32 v22, 31, v22
	v_lshlrev_b32_e32 v25, 24, v20
	v_xor_b32_e32 v21, s16, v21
	v_cmp_gt_i32_e64 s16, 0, v23
	v_not_b32_e32 v23, v24
	v_xor_b32_e32 v29, s17, v29
	v_cmp_gt_i32_e64 s17, 0, v24
	v_and_b32_e32 v21, exec_lo, v21
	v_not_b32_e32 v24, v26
	v_ashrrev_i32_e32 v23, 31, v23
	v_xor_b32_e32 v22, s16, v22
	v_cmp_gt_i32_e64 s16, 0, v26
	v_and_b32_e32 v21, v21, v29
	v_not_b32_e32 v26, v27
	v_ashrrev_i32_e32 v24, 31, v24
	v_xor_b32_e32 v23, s17, v23
	v_cmp_gt_i32_e64 s17, 0, v27
	v_and_b32_e32 v21, v21, v22
	;; [unrolled: 5-line block ×3, first 2 shown]
	v_not_b32_e32 v23, v25
	v_ashrrev_i32_e32 v22, 31, v22
	v_xor_b32_e32 v26, s17, v26
	v_lshl_add_u32 v20, v20, 3, v39
	v_and_b32_e32 v21, v21, v24
	v_cmp_gt_i32_e64 s17, 0, v25
	v_ashrrev_i32_e32 v23, 31, v23
	v_xor_b32_e32 v22, s16, v22
	v_lshl_add_u32 v24, v20, 2, v12
	v_and_b32_e32 v21, v21, v26
	v_xor_b32_e32 v23, s17, v23
	ds_read_b32 v20, v24 offset:32
	v_and_b32_e32 v21, v21, v22
	v_add_nc_u32_e32 v22, 32, v24
	; wave barrier
	v_and_b32_e32 v23, v21, v23
	v_mbcnt_lo_u32_b32 v21, v23, 0
	v_cmp_ne_u32_e64 s17, 0, v23
	v_cmp_eq_u32_e64 s16, 0, v21
	s_and_b32 s17, s17, s16
	s_and_saveexec_b32 s16, s17
	s_cbranch_execz .LBB193_339
; %bb.338:                              ;   in Loop: Header=BB193_335 Depth=1
	s_waitcnt lgkmcnt(0)
	v_bcnt_u32_b32 v23, v23, v20
	ds_write_b32 v22, v23
.LBB193_339:                            ;   in Loop: Header=BB193_335 Depth=1
	s_or_b32 exec_lo, exec_lo, s16
	; wave barrier
	s_waitcnt lgkmcnt(0)
	s_barrier
	buffer_gl0_inv
	ds_read_b32 v24, v9
	ds_read_b32 v25, v32
	;; [unrolled: 1-line block ×8, first 2 shown]
	s_waitcnt lgkmcnt(6)
	v_add_nc_u32_e32 v67, v25, v24
	s_waitcnt lgkmcnt(4)
	v_add3_u32 v67, v67, v26, v27
	s_waitcnt lgkmcnt(2)
	v_add3_u32 v67, v67, v28, v29
	;; [unrolled: 2-line block ×3, first 2 shown]
	v_mov_b32_dpp v67, v66 row_shr:1 row_mask:0xf bank_mask:0xf
	v_cndmask_b32_e64 v67, v67, 0, vcc_lo
	v_add_nc_u32_e32 v66, v67, v66
	v_mov_b32_dpp v67, v66 row_shr:2 row_mask:0xf bank_mask:0xf
	v_cndmask_b32_e64 v67, 0, v67, s4
	v_add_nc_u32_e32 v66, v66, v67
	v_mov_b32_dpp v67, v66 row_shr:4 row_mask:0xf bank_mask:0xf
	v_cndmask_b32_e64 v67, 0, v67, s5
	;; [unrolled: 3-line block ×3, first 2 shown]
	v_add_nc_u32_e32 v66, v66, v67
	ds_swizzle_b32 v67, v66 offset:swizzle(BROADCAST,32,15)
	s_waitcnt lgkmcnt(0)
	v_cndmask_b32_e64 v67, v67, 0, s8
	v_add_nc_u32_e32 v66, v66, v67
	s_and_saveexec_b32 s16, s9
; %bb.340:                              ;   in Loop: Header=BB193_335 Depth=1
	ds_write_b32 v50, v66
; %bb.341:                              ;   in Loop: Header=BB193_335 Depth=1
	s_or_b32 exec_lo, exec_lo, s16
	s_waitcnt lgkmcnt(0)
	s_barrier
	buffer_gl0_inv
	s_and_saveexec_b32 s16, s10
	s_cbranch_execz .LBB193_343
; %bb.342:                              ;   in Loop: Header=BB193_335 Depth=1
	ds_read_b32 v67, v52
	s_waitcnt lgkmcnt(0)
	v_mov_b32_dpp v68, v67 row_shr:1 row_mask:0xf bank_mask:0xf
	v_cndmask_b32_e64 v68, v68, 0, s13
	v_add_nc_u32_e32 v67, v68, v67
	v_mov_b32_dpp v68, v67 row_shr:2 row_mask:0xf bank_mask:0xf
	v_cndmask_b32_e64 v68, 0, v68, s14
	v_add_nc_u32_e32 v67, v67, v68
	v_mov_b32_dpp v68, v67 row_shr:4 row_mask:0xf bank_mask:0xf
	v_cndmask_b32_e64 v68, 0, v68, s15
	v_add_nc_u32_e32 v67, v67, v68
	ds_write_b32 v52, v67
.LBB193_343:                            ;   in Loop: Header=BB193_335 Depth=1
	s_or_b32 exec_lo, exec_lo, s16
	v_mov_b32_e32 v67, 0
	s_waitcnt lgkmcnt(0)
	s_barrier
	buffer_gl0_inv
	s_and_saveexec_b32 s16, s11
; %bb.344:                              ;   in Loop: Header=BB193_335 Depth=1
	ds_read_b32 v67, v54
; %bb.345:                              ;   in Loop: Header=BB193_335 Depth=1
	s_or_b32 exec_lo, exec_lo, s16
	s_waitcnt lgkmcnt(0)
	v_add_nc_u32_e32 v66, v67, v66
	v_add_nc_u32_e32 v10, 8, v10
	s_mov_b32 s21, -1
	s_mov_b32 s17, exec_lo
	ds_bpermute_b32 v66, v48, v66
	s_waitcnt lgkmcnt(0)
	v_cndmask_b32_e64 v66, v66, v67, s6
	v_cndmask_b32_e64 v66, v66, 0, s12
	v_add_nc_u32_e32 v24, v66, v24
	v_add_nc_u32_e32 v25, v24, v25
	ds_write_b32 v9, v66
	ds_write_b32 v32, v24
	;; [unrolled: 1-line block ×3, first 2 shown]
	v_add_nc_u32_e32 v26, v25, v26
	v_add_nc_u32_e32 v27, v26, v27
	;; [unrolled: 1-line block ×5, first 2 shown]
	ds_write_b32 v34, v26
	ds_write_b32 v35, v27
	;; [unrolled: 1-line block ×5, first 2 shown]
	s_waitcnt lgkmcnt(0)
	s_barrier
	buffer_gl0_inv
	ds_read_b32 v19, v19
	ds_read_b32 v22, v22
	s_waitcnt lgkmcnt(0)
	v_add_nc_u32_e32 v18, v19, v18
	v_add3_u32 v19, v21, v20, v22
                                        ; implicit-def: $vgpr20_vgpr21
	v_add_co_u32 v28, s16, v12, v18
	v_add_co_ci_u32_e64 v29, null, 0, v13, s16
	v_add_co_u32 v26, s16, v12, v19
	v_add_co_ci_u32_e64 v27, null, 0, v13, s16
	v_mad_u64_u32 v[24:25], null, v18, 7, v[28:29]
	v_mov_b32_e32 v25, v31
	v_mad_u64_u32 v[22:23], null, v19, 7, v[26:27]
	v_mov_b32_e32 v23, v30
                                        ; implicit-def: $vgpr18_vgpr19
	v_cmpx_lt_u32_e64 v10, v11
	s_cbranch_execz .LBB193_334
; %bb.346:                              ;   in Loop: Header=BB193_335 Depth=1
	s_barrier
	buffer_gl0_inv
	ds_write_b8 v28, v31
	ds_write_b8 v26, v30
	s_waitcnt lgkmcnt(0)
	s_barrier
	buffer_gl0_inv
	ds_read_u8 v30, v55
	ds_read_u8 v31, v49
	s_waitcnt lgkmcnt(0)
	s_barrier
	buffer_gl0_inv
	ds_write_b64 v24, v[16:17]
	ds_write_b64 v22, v[4:5]
	s_waitcnt lgkmcnt(0)
	s_barrier
	buffer_gl0_inv
	ds_read_b64 v[18:19], v53
	ds_read_b64 v[20:21], v64
	v_add_nc_u32_e32 v65, -8, v65
	s_xor_b32 s21, exec_lo, -1
	s_waitcnt lgkmcnt(0)
	s_barrier
	buffer_gl0_inv
	s_branch .LBB193_334
.LBB193_347:
	flat_load_dwordx2 v[26:27], v[4:5]
	s_or_b32 exec_lo, exec_lo, s7
                                        ; implicit-def: $vgpr28_vgpr29
	s_and_saveexec_b32 s7, s4
	s_cbranch_execz .LBB193_274
.LBB193_348:
	flat_load_dwordx2 v[28:29], v[4:5] offset:256
	s_or_b32 exec_lo, exec_lo, s7
                                        ; implicit-def: $vgpr22_vgpr23
	s_and_saveexec_b32 s4, s5
	s_cbranch_execz .LBB193_275
.LBB193_349:
	flat_load_dwordx2 v[22:23], v[4:5] offset:512
	s_or_b32 exec_lo, exec_lo, s4
                                        ; implicit-def: $vgpr24_vgpr25
	s_and_saveexec_b32 s4, s6
	s_cbranch_execnz .LBB193_276
	s_branch .LBB193_277
.LBB193_350:
	flat_store_dwordx2 v[0:1], v[13:14]
	s_or_b32 exec_lo, exec_lo, s7
	s_and_saveexec_b32 s7, s6
	s_cbranch_execz .LBB193_319
.LBB193_351:
	v_add_co_u32 v2, vcc_lo, 0x800, v0
	v_add_co_ci_u32_e64 v3, null, 0, v1, vcc_lo
	flat_store_dwordx2 v[2:3], v[15:16]
	s_or_b32 exec_lo, exec_lo, s7
	s_and_saveexec_b32 s6, s5
	s_cbranch_execz .LBB193_320
.LBB193_352:
	v_add_co_u32 v2, vcc_lo, 0x1000, v0
	v_add_co_ci_u32_e64 v3, null, 0, v1, vcc_lo
	flat_store_dwordx2 v[2:3], v[9:10]
	s_or_b32 exec_lo, exec_lo, s6
	s_and_saveexec_b32 s5, s4
	s_cbranch_execnz .LBB193_321
	s_branch .LBB193_322
.LBB193_353:
	s_or_b32 exec_lo, exec_lo, s20
	v_add_nc_u32_e32 v9, v12, v14
	v_mul_u32_u24_e32 v10, 7, v14
	s_barrier
	buffer_gl0_inv
	ds_write_b8 v28, v25
	ds_write_b8 v26, v23
	s_waitcnt lgkmcnt(0)
	s_barrier
	buffer_gl0_inv
	ds_read_u8 v18, v9
	ds_read_u8 v13, v9 offset:256
	v_add_nc_u32_e32 v9, v9, v10
	s_waitcnt lgkmcnt(0)
	s_barrier
	buffer_gl0_inv
	ds_write_b64 v24, v[16:17]
	ds_write_b64 v22, v[4:5]
	s_waitcnt lgkmcnt(0)
	s_barrier
	buffer_gl0_inv
	ds_read2st64_b64 v[9:12], v9 offset1:4
	v_add_co_u32 v2, vcc_lo, v2, v8
	v_add_co_ci_u32_e64 v3, null, 0, v3, vcc_lo
	v_mov_b32_e32 v16, 0
	v_add_co_u32 v2, vcc_lo, v2, v15
	v_add_co_ci_u32_e64 v3, null, 0, v3, vcc_lo
	v_cmp_lt_u32_e32 vcc_lo, v15, v210
	s_waitcnt lgkmcnt(0)
	s_barrier
	buffer_gl0_inv
	s_and_saveexec_b32 s4, vcc_lo
	s_cbranch_execz .LBB193_355
; %bb.354:
	flat_store_byte v[2:3], v18
.LBB193_355:
	s_or_b32 exec_lo, exec_lo, s4
	v_add_nc_u32_e32 v4, 0x100, v15
	v_cmp_lt_u32_e64 s4, v4, v210
	s_and_saveexec_b32 s5, s4
	s_cbranch_execz .LBB193_357
; %bb.356:
	flat_store_byte v[2:3], v13 offset:256
.LBB193_357:
	s_or_b32 exec_lo, exec_lo, s5
	v_lshlrev_b64 v[2:3], 3, v[15:16]
	v_add_co_u32 v0, s5, v6, v0
	v_add_co_ci_u32_e64 v1, null, v7, v1, s5
	v_add_co_u32 v0, s5, v0, v2
	v_add_co_ci_u32_e64 v1, null, v1, v3, s5
	s_and_saveexec_b32 s5, vcc_lo
	s_cbranch_execz .LBB193_359
; %bb.358:
	flat_store_dwordx2 v[0:1], v[9:10]
.LBB193_359:
	s_or_b32 exec_lo, exec_lo, s5
	s_and_saveexec_b32 s5, s4
	s_cbranch_execz .LBB193_361
; %bb.360:
	v_add_co_u32 v0, vcc_lo, 0x800, v0
	v_add_co_ci_u32_e64 v1, null, 0, v1, vcc_lo
	flat_store_dwordx2 v[0:1], v[11:12]
.LBB193_361:
	s_or_b32 exec_lo, exec_lo, s5
                                        ; implicit-def: $vgpr15_vgpr16
                                        ; implicit-def: $vgpr8_vgpr9
                                        ; implicit-def: $vgpr210
                                        ; implicit-def: $vgpr0
                                        ; implicit-def: $vgpr1
                                        ; implicit-def: $vgpr2
                                        ; implicit-def: $vgpr3
                                        ; implicit-def: $vgpr4
                                        ; implicit-def: $vgpr5
                                        ; implicit-def: $vgpr6
                                        ; implicit-def: $vgpr7
                                        ; implicit-def: $vgpr10
                                        ; implicit-def: $vgpr11
                                        ; implicit-def: $vgpr12
                                        ; implicit-def: $vgpr13
                                        ; implicit-def: $vgpr14
                                        ; implicit-def: $vgpr54
.LBB193_362:
	s_andn2_saveexec_b32 s4, s18
	s_cbranch_execz .LBB193_382
; %bb.363:
	v_and_b32_e32 v18, 0xffffffe0, v15
	v_mov_b32_e32 v37, 0xff
	v_or_b32_e32 v16, v54, v18
	v_cmp_lt_u32_e32 vcc_lo, v16, v210
	s_and_saveexec_b32 s5, vcc_lo
	s_cbranch_execz .LBB193_365
; %bb.364:
	v_add_co_u32 v0, s4, v0, v8
	v_add_co_ci_u32_e64 v1, null, 0, v1, s4
	v_add_co_u32 v0, s4, v0, v54
	v_add_co_ci_u32_e64 v1, null, 0, v1, s4
	;; [unrolled: 2-line block ×3, first 2 shown]
	flat_load_ubyte v37, v[0:1]
.LBB193_365:
	s_or_b32 exec_lo, exec_lo, s5
	v_lshlrev_b64 v[0:1], 3, v[8:9]
                                        ; implicit-def: $vgpr16_vgpr17
	s_and_saveexec_b32 s4, vcc_lo
	s_cbranch_execz .LBB193_367
; %bb.366:
	v_mov_b32_e32 v19, 0
	v_lshlrev_b32_e32 v9, 3, v54
	v_add_co_u32 v16, vcc_lo, v4, v0
	v_add_co_ci_u32_e64 v17, null, v5, v1, vcc_lo
	v_lshlrev_b64 v[4:5], 3, v[18:19]
	v_add_co_u32 v9, vcc_lo, v16, v9
	v_add_co_ci_u32_e64 v16, null, 0, v17, vcc_lo
	v_add_co_u32 v4, vcc_lo, v9, v4
	v_add_co_ci_u32_e64 v5, null, v16, v5, vcc_lo
	flat_load_dwordx2 v[16:17], v[4:5]
.LBB193_367:
	s_or_b32 exec_lo, exec_lo, s4
	v_lshl_add_u32 v4, v14, 5, v12
	v_and_b32_e32 v5, 15, v54
	v_sub_co_u32 v28, s6, v54, 1
	s_getpc_b64 s[4:5]
	s_add_u32 s4, s4, _ZN7rocprim17ROCPRIM_400000_NS16block_radix_sortIhLj256ELj1ElLj1ELj1ELj8ELNS0_26block_radix_rank_algorithmE2ELNS0_18block_padding_hintE2ELNS0_4arch9wavefront6targetE0EE19radix_bits_per_passE@rel32@lo+4
	s_addc_u32 s5, s5, _ZN7rocprim17ROCPRIM_400000_NS16block_radix_sortIhLj256ELj1ElLj1ELj1ELj8ELNS0_26block_radix_rank_algorithmE2ELNS0_18block_padding_hintE2ELNS0_4arch9wavefront6targetE0EE19radix_bits_per_passE@rel32@hi+12
	v_add_nc_u32_e32 v9, 32, v4
	v_add_nc_u32_e32 v20, 36, v4
	;; [unrolled: 1-line block ×8, first 2 shown]
	v_and_b32_e32 v4, 0x3e0, v14
	s_load_dword s18, s[4:5], 0x0
	v_cmp_eq_u32_e32 vcc_lo, 0, v5
	v_cmp_lt_u32_e64 s4, 1, v5
	v_cmp_lt_u32_e64 s5, 3, v5
	v_min_u32_e32 v18, 0xe0, v4
	v_and_b32_e32 v19, 16, v54
	v_cmp_lt_u32_e64 s7, 7, v5
	v_cmp_gt_i32_e64 s9, 0, v28
	v_or_b32_e32 v4, v54, v4
	v_or_b32_e32 v5, 31, v18
	v_lshrrev_b32_e32 v18, 3, v14
	v_cmp_eq_u32_e64 s8, 0, v19
	v_cndmask_b32_e64 v19, v28, v54, s9
	v_add_nc_u32_e32 v32, v12, v4
	v_cmp_eq_u32_e64 s9, v14, v5
	v_and_b32_e32 v5, 0x7c, v18
	v_mul_u32_u24_e32 v4, 7, v4
	v_lshrrev_b32_e32 v27, 5, v15
	v_cmp_gt_u32_e64 s10, 8, v14
	v_cmp_lt_u32_e64 s11, 31, v14
	v_add_nc_u32_e32 v29, v12, v5
	v_and_b32_e32 v5, 7, v54
	v_lshlrev_b32_e32 v28, 2, v19
	v_cmp_eq_u32_e64 s12, 0, v14
	v_mov_b32_e32 v30, 0
	v_lshl_add_u32 v31, v14, 2, v12
	v_cmp_eq_u32_e64 s13, 0, v5
	v_cmp_lt_u32_e64 s14, 1, v5
	v_cmp_lt_u32_e64 s15, 3, v5
	v_add_nc_u32_e32 v33, -4, v29
	v_add_nc_u32_e32 v34, v32, v4
	v_sub_nc_u32_e32 v35, v11, v10
	s_mov_b32 s19, 0
	s_waitcnt vmcnt(0) lgkmcnt(0)
	s_waitcnt_vscnt null, 0x0
	s_barrier
	buffer_gl0_inv
	s_branch .LBB193_369
.LBB193_368:                            ;   in Loop: Header=BB193_369 Depth=1
	s_or_b32 exec_lo, exec_lo, s17
	s_and_b32 s16, exec_lo, s20
	s_or_b32 s19, s16, s19
	s_andn2_b32 exec_lo, exec_lo, s19
	s_cbranch_execz .LBB193_379
.LBB193_369:                            ; =>This Inner Loop Header: Depth=1
	v_mov_b32_e32 v36, v37
	v_min_u32_e32 v4, s18, v35
	ds_write_b32 v9, v30
	ds_write_b32 v20, v30
	;; [unrolled: 1-line block ×5, first 2 shown]
	v_lshrrev_b32_sdwa v5, v10, v36 dst_sel:DWORD dst_unused:UNUSED_PAD src0_sel:DWORD src1_sel:BYTE_0
	ds_write_b32 v24, v30
	ds_write_b32 v25, v30
	;; [unrolled: 1-line block ×3, first 2 shown]
	s_waitcnt lgkmcnt(0)
	s_barrier
	v_bfe_u32 v18, v5, 0, v4
	buffer_gl0_inv
	; wave barrier
	v_and_b32_e32 v4, 1, v18
	v_lshlrev_b32_e32 v5, 30, v18
	v_lshlrev_b32_e32 v19, 29, v18
	;; [unrolled: 1-line block ×4, first 2 shown]
	v_add_co_u32 v4, s16, v4, -1
	v_cndmask_b32_e64 v38, 0, 1, s16
	v_not_b32_e32 v50, v5
	v_cmp_gt_i32_e64 s17, 0, v5
	v_not_b32_e32 v5, v19
	v_lshlrev_b32_e32 v48, 26, v18
	v_cmp_ne_u32_e64 s16, 0, v38
	v_ashrrev_i32_e32 v50, 31, v50
	v_lshlrev_b32_e32 v49, 25, v18
	v_ashrrev_i32_e32 v5, 31, v5
	v_lshlrev_b32_e32 v38, 24, v18
	v_xor_b32_e32 v4, s16, v4
	v_cmp_gt_i32_e64 s16, 0, v19
	v_not_b32_e32 v19, v37
	v_xor_b32_e32 v50, s17, v50
	v_cmp_gt_i32_e64 s17, 0, v37
	v_and_b32_e32 v4, exec_lo, v4
	v_not_b32_e32 v37, v39
	v_ashrrev_i32_e32 v19, 31, v19
	v_xor_b32_e32 v5, s16, v5
	v_cmp_gt_i32_e64 s16, 0, v39
	v_and_b32_e32 v4, v4, v50
	v_not_b32_e32 v39, v48
	v_ashrrev_i32_e32 v37, 31, v37
	v_xor_b32_e32 v19, s17, v19
	v_cmp_gt_i32_e64 s17, 0, v48
	v_and_b32_e32 v4, v4, v5
	;; [unrolled: 5-line block ×4, first 2 shown]
	v_ashrrev_i32_e32 v19, 31, v19
	v_xor_b32_e32 v37, s16, v5
	v_and_b32_e32 v38, v4, v39
	v_mov_b32_e32 v4, v16
	v_mov_b32_e32 v5, v17
	v_xor_b32_e32 v16, s17, v19
	v_lshlrev_b32_e32 v19, 3, v18
	v_and_b32_e32 v17, v38, v37
	v_and_b32_e32 v18, v17, v16
	v_add_lshl_u32 v17, v19, v27, 2
	v_mbcnt_lo_u32_b32 v16, v18, 0
	v_add_co_u32 v17, null, v12, v17
	v_cmp_ne_u32_e64 s17, 0, v18
	v_cmp_eq_u32_e64 s16, 0, v16
	v_add_co_u32 v17, null, v17, 32
	s_and_b32 s17, s17, s16
	s_and_saveexec_b32 s16, s17
; %bb.370:                              ;   in Loop: Header=BB193_369 Depth=1
	v_bcnt_u32_b32 v18, v18, 0
	ds_write_b32 v17, v18
; %bb.371:                              ;   in Loop: Header=BB193_369 Depth=1
	s_or_b32 exec_lo, exec_lo, s16
	; wave barrier
	s_waitcnt lgkmcnt(0)
	s_barrier
	buffer_gl0_inv
	ds_read_b32 v19, v9
	ds_read_b32 v37, v20
	;; [unrolled: 1-line block ×8, first 2 shown]
	s_waitcnt lgkmcnt(6)
	v_add_nc_u32_e32 v51, v37, v19
	s_waitcnt lgkmcnt(4)
	v_add3_u32 v51, v51, v38, v39
	s_waitcnt lgkmcnt(2)
	v_add3_u32 v51, v51, v48, v49
	s_waitcnt lgkmcnt(0)
	v_add3_u32 v50, v51, v18, v50
	v_mov_b32_dpp v51, v50 row_shr:1 row_mask:0xf bank_mask:0xf
	v_cndmask_b32_e64 v51, v51, 0, vcc_lo
	v_add_nc_u32_e32 v50, v51, v50
	v_mov_b32_dpp v51, v50 row_shr:2 row_mask:0xf bank_mask:0xf
	v_cndmask_b32_e64 v51, 0, v51, s4
	v_add_nc_u32_e32 v50, v50, v51
	v_mov_b32_dpp v51, v50 row_shr:4 row_mask:0xf bank_mask:0xf
	v_cndmask_b32_e64 v51, 0, v51, s5
	;; [unrolled: 3-line block ×3, first 2 shown]
	v_add_nc_u32_e32 v50, v50, v51
	ds_swizzle_b32 v51, v50 offset:swizzle(BROADCAST,32,15)
	s_waitcnt lgkmcnt(0)
	v_cndmask_b32_e64 v51, v51, 0, s8
	v_add_nc_u32_e32 v50, v50, v51
	s_and_saveexec_b32 s16, s9
; %bb.372:                              ;   in Loop: Header=BB193_369 Depth=1
	ds_write_b32 v29, v50
; %bb.373:                              ;   in Loop: Header=BB193_369 Depth=1
	s_or_b32 exec_lo, exec_lo, s16
	s_waitcnt lgkmcnt(0)
	s_barrier
	buffer_gl0_inv
	s_and_saveexec_b32 s16, s10
	s_cbranch_execz .LBB193_375
; %bb.374:                              ;   in Loop: Header=BB193_369 Depth=1
	ds_read_b32 v51, v31
	s_waitcnt lgkmcnt(0)
	v_mov_b32_dpp v52, v51 row_shr:1 row_mask:0xf bank_mask:0xf
	v_cndmask_b32_e64 v52, v52, 0, s13
	v_add_nc_u32_e32 v51, v52, v51
	v_mov_b32_dpp v52, v51 row_shr:2 row_mask:0xf bank_mask:0xf
	v_cndmask_b32_e64 v52, 0, v52, s14
	v_add_nc_u32_e32 v51, v51, v52
	;; [unrolled: 3-line block ×3, first 2 shown]
	ds_write_b32 v31, v51
.LBB193_375:                            ;   in Loop: Header=BB193_369 Depth=1
	s_or_b32 exec_lo, exec_lo, s16
	v_mov_b32_e32 v51, 0
	s_waitcnt lgkmcnt(0)
	s_barrier
	buffer_gl0_inv
	s_and_saveexec_b32 s16, s11
; %bb.376:                              ;   in Loop: Header=BB193_369 Depth=1
	ds_read_b32 v51, v33
; %bb.377:                              ;   in Loop: Header=BB193_369 Depth=1
	s_or_b32 exec_lo, exec_lo, s16
	s_waitcnt lgkmcnt(0)
	v_add_nc_u32_e32 v50, v51, v50
	v_add_nc_u32_e32 v10, 8, v10
	s_mov_b32 s20, -1
	ds_bpermute_b32 v50, v28, v50
	s_waitcnt lgkmcnt(0)
	v_cndmask_b32_e64 v50, v50, v51, s6
	v_cndmask_b32_e64 v50, v50, 0, s12
	v_add_nc_u32_e32 v19, v50, v19
	v_add_nc_u32_e32 v37, v19, v37
	ds_write_b32 v9, v50
	ds_write_b32 v20, v19
	;; [unrolled: 1-line block ×3, first 2 shown]
	v_add_nc_u32_e32 v38, v37, v38
                                        ; implicit-def: $vgpr37
	v_add_nc_u32_e32 v39, v38, v39
	v_add_nc_u32_e32 v48, v39, v48
	;; [unrolled: 1-line block ×4, first 2 shown]
	ds_write_b32 v22, v38
	ds_write_b32 v23, v39
	;; [unrolled: 1-line block ×5, first 2 shown]
	s_waitcnt lgkmcnt(0)
	s_barrier
	buffer_gl0_inv
	ds_read_b32 v17, v17
	s_waitcnt lgkmcnt(0)
	v_add_nc_u32_e32 v38, v17, v16
                                        ; implicit-def: $vgpr16_vgpr17
	v_add_co_u32 v18, s17, v12, v38
	v_add_co_ci_u32_e64 v19, null, 0, v13, s17
	s_mov_b32 s17, exec_lo
	v_cmpx_lt_u32_e64 v10, v11
	s_cbranch_execz .LBB193_368
; %bb.378:                              ;   in Loop: Header=BB193_369 Depth=1
	v_mad_u64_u32 v[16:17], null, v38, 7, v[18:19]
	s_barrier
	buffer_gl0_inv
	ds_write_b8 v18, v36
	s_waitcnt lgkmcnt(0)
	s_barrier
	buffer_gl0_inv
	ds_read_u8 v37, v32
	s_waitcnt lgkmcnt(0)
	s_barrier
	buffer_gl0_inv
	ds_write_b64 v16, v[4:5]
	s_waitcnt lgkmcnt(0)
	s_barrier
	buffer_gl0_inv
	ds_read_b64 v[16:17], v34
	v_add_nc_u32_e32 v35, -8, v35
	s_xor_b32 s20, exec_lo, -1
	s_waitcnt lgkmcnt(0)
	s_barrier
	buffer_gl0_inv
	s_branch .LBB193_368
.LBB193_379:
	s_or_b32 exec_lo, exec_lo, s19
	v_mad_u64_u32 v[10:11], null, v38, 7, v[18:19]
	v_add_nc_u32_e32 v12, v12, v14
	v_mul_u32_u24_e32 v11, 7, v14
	s_barrier
	buffer_gl0_inv
	ds_write_b8 v18, v36
	s_waitcnt lgkmcnt(0)
	v_add_nc_u32_e32 v11, v12, v11
	s_barrier
	buffer_gl0_inv
	ds_read_u8 v9, v12
	s_waitcnt lgkmcnt(0)
	s_barrier
	buffer_gl0_inv
	ds_write_b64 v10, v[4:5]
	s_waitcnt lgkmcnt(0)
	s_barrier
	buffer_gl0_inv
	ds_read_b64 v[4:5], v11
	s_mov_b32 s4, exec_lo
	s_waitcnt lgkmcnt(0)
	s_barrier
	buffer_gl0_inv
	v_cmpx_lt_u32_e64 v15, v210
	s_cbranch_execz .LBB193_381
; %bb.380:
	v_mov_b32_e32 v16, 0
	v_add_co_u32 v2, vcc_lo, v2, v8
	v_add_co_ci_u32_e64 v3, null, 0, v3, vcc_lo
	v_add_co_u32 v6, vcc_lo, v6, v0
	v_add_co_ci_u32_e64 v7, null, v7, v1, vcc_lo
	v_lshlrev_b64 v[0:1], 3, v[15:16]
	v_add_co_u32 v2, vcc_lo, v2, v15
	v_add_co_ci_u32_e64 v3, null, 0, v3, vcc_lo
	v_add_co_u32 v0, vcc_lo, v6, v0
	v_add_co_ci_u32_e64 v1, null, v7, v1, vcc_lo
	flat_store_byte v[2:3], v9
	flat_store_dwordx2 v[0:1], v[4:5]
.LBB193_381:
	s_or_b32 exec_lo, exec_lo, s4
.LBB193_382:
	s_or_b32 exec_lo, exec_lo, s25
	s_clause 0x2f
	buffer_load_dword v127, off, s[0:3], s32
	buffer_load_dword v126, off, s[0:3], s32 offset:4
	buffer_load_dword v125, off, s[0:3], s32 offset:8
	;; [unrolled: 1-line block ×47, first 2 shown]
	s_waitcnt vmcnt(0) lgkmcnt(0)
	s_setpc_b64 s[30:31]
.Lfunc_end193:
	.size	_ZN7rocprim17ROCPRIM_400000_NS6detail40segmented_radix_sort_single_block_helperIhlLj256ELj17ELb0EE4sortIPKhPhPKlPlEEbT_T0_T1_T2_jjjjRNS3_12storage_typeE, .Lfunc_end193-_ZN7rocprim17ROCPRIM_400000_NS6detail40segmented_radix_sort_single_block_helperIhlLj256ELj17ELb0EE4sortIPKhPhPKlPlEEbT_T0_T1_T2_jjjjRNS3_12storage_typeE
                                        ; -- End function
	.set .L_ZN7rocprim17ROCPRIM_400000_NS6detail40segmented_radix_sort_single_block_helperIhlLj256ELj17ELb0EE4sortIPKhPhPKlPlEEbT_T0_T1_T2_jjjjRNS3_12storage_typeE.num_vgpr, 248
	.set .L_ZN7rocprim17ROCPRIM_400000_NS6detail40segmented_radix_sort_single_block_helperIhlLj256ELj17ELb0EE4sortIPKhPhPKlPlEEbT_T0_T1_T2_jjjjRNS3_12storage_typeE.num_agpr, 0
	.set .L_ZN7rocprim17ROCPRIM_400000_NS6detail40segmented_radix_sort_single_block_helperIhlLj256ELj17ELb0EE4sortIPKhPhPKlPlEEbT_T0_T1_T2_jjjjRNS3_12storage_typeE.numbered_sgpr, 33
	.set .L_ZN7rocprim17ROCPRIM_400000_NS6detail40segmented_radix_sort_single_block_helperIhlLj256ELj17ELb0EE4sortIPKhPhPKlPlEEbT_T0_T1_T2_jjjjRNS3_12storage_typeE.num_named_barrier, 0
	.set .L_ZN7rocprim17ROCPRIM_400000_NS6detail40segmented_radix_sort_single_block_helperIhlLj256ELj17ELb0EE4sortIPKhPhPKlPlEEbT_T0_T1_T2_jjjjRNS3_12storage_typeE.private_seg_size, 196
	.set .L_ZN7rocprim17ROCPRIM_400000_NS6detail40segmented_radix_sort_single_block_helperIhlLj256ELj17ELb0EE4sortIPKhPhPKlPlEEbT_T0_T1_T2_jjjjRNS3_12storage_typeE.uses_vcc, 1
	.set .L_ZN7rocprim17ROCPRIM_400000_NS6detail40segmented_radix_sort_single_block_helperIhlLj256ELj17ELb0EE4sortIPKhPhPKlPlEEbT_T0_T1_T2_jjjjRNS3_12storage_typeE.uses_flat_scratch, 0
	.set .L_ZN7rocprim17ROCPRIM_400000_NS6detail40segmented_radix_sort_single_block_helperIhlLj256ELj17ELb0EE4sortIPKhPhPKlPlEEbT_T0_T1_T2_jjjjRNS3_12storage_typeE.has_dyn_sized_stack, 0
	.set .L_ZN7rocprim17ROCPRIM_400000_NS6detail40segmented_radix_sort_single_block_helperIhlLj256ELj17ELb0EE4sortIPKhPhPKlPlEEbT_T0_T1_T2_jjjjRNS3_12storage_typeE.has_recursion, 0
	.set .L_ZN7rocprim17ROCPRIM_400000_NS6detail40segmented_radix_sort_single_block_helperIhlLj256ELj17ELb0EE4sortIPKhPhPKlPlEEbT_T0_T1_T2_jjjjRNS3_12storage_typeE.has_indirect_call, 0
	.section	.AMDGPU.csdata,"",@progbits
; Function info:
; codeLenInByte = 28452
; TotalNumSgprs: 35
; NumVgprs: 248
; ScratchSize: 196
; MemoryBound: 1
	.section	.text._ZN7rocprim17ROCPRIM_400000_NS6detail17trampoline_kernelINS0_14default_configENS1_36segmented_radix_sort_config_selectorIhlEEZNS1_25segmented_radix_sort_implIS3_Lb0EPKhPhPKlPlN2at6native12_GLOBAL__N_18offset_tEEE10hipError_tPvRmT1_PNSt15iterator_traitsISK_E10value_typeET2_T3_PNSL_ISQ_E10value_typeET4_jRbjT5_SW_jjP12ihipStream_tbEUlT_E_NS1_11comp_targetILNS1_3genE8ELNS1_11target_archE1030ELNS1_3gpuE2ELNS1_3repE0EEENS1_30default_config_static_selectorELNS0_4arch9wavefront6targetE0EEEvSK_,"axG",@progbits,_ZN7rocprim17ROCPRIM_400000_NS6detail17trampoline_kernelINS0_14default_configENS1_36segmented_radix_sort_config_selectorIhlEEZNS1_25segmented_radix_sort_implIS3_Lb0EPKhPhPKlPlN2at6native12_GLOBAL__N_18offset_tEEE10hipError_tPvRmT1_PNSt15iterator_traitsISK_E10value_typeET2_T3_PNSL_ISQ_E10value_typeET4_jRbjT5_SW_jjP12ihipStream_tbEUlT_E_NS1_11comp_targetILNS1_3genE8ELNS1_11target_archE1030ELNS1_3gpuE2ELNS1_3repE0EEENS1_30default_config_static_selectorELNS0_4arch9wavefront6targetE0EEEvSK_,comdat
	.globl	_ZN7rocprim17ROCPRIM_400000_NS6detail17trampoline_kernelINS0_14default_configENS1_36segmented_radix_sort_config_selectorIhlEEZNS1_25segmented_radix_sort_implIS3_Lb0EPKhPhPKlPlN2at6native12_GLOBAL__N_18offset_tEEE10hipError_tPvRmT1_PNSt15iterator_traitsISK_E10value_typeET2_T3_PNSL_ISQ_E10value_typeET4_jRbjT5_SW_jjP12ihipStream_tbEUlT_E_NS1_11comp_targetILNS1_3genE8ELNS1_11target_archE1030ELNS1_3gpuE2ELNS1_3repE0EEENS1_30default_config_static_selectorELNS0_4arch9wavefront6targetE0EEEvSK_ ; -- Begin function _ZN7rocprim17ROCPRIM_400000_NS6detail17trampoline_kernelINS0_14default_configENS1_36segmented_radix_sort_config_selectorIhlEEZNS1_25segmented_radix_sort_implIS3_Lb0EPKhPhPKlPlN2at6native12_GLOBAL__N_18offset_tEEE10hipError_tPvRmT1_PNSt15iterator_traitsISK_E10value_typeET2_T3_PNSL_ISQ_E10value_typeET4_jRbjT5_SW_jjP12ihipStream_tbEUlT_E_NS1_11comp_targetILNS1_3genE8ELNS1_11target_archE1030ELNS1_3gpuE2ELNS1_3repE0EEENS1_30default_config_static_selectorELNS0_4arch9wavefront6targetE0EEEvSK_
	.p2align	8
	.type	_ZN7rocprim17ROCPRIM_400000_NS6detail17trampoline_kernelINS0_14default_configENS1_36segmented_radix_sort_config_selectorIhlEEZNS1_25segmented_radix_sort_implIS3_Lb0EPKhPhPKlPlN2at6native12_GLOBAL__N_18offset_tEEE10hipError_tPvRmT1_PNSt15iterator_traitsISK_E10value_typeET2_T3_PNSL_ISQ_E10value_typeET4_jRbjT5_SW_jjP12ihipStream_tbEUlT_E_NS1_11comp_targetILNS1_3genE8ELNS1_11target_archE1030ELNS1_3gpuE2ELNS1_3repE0EEENS1_30default_config_static_selectorELNS0_4arch9wavefront6targetE0EEEvSK_,@function
_ZN7rocprim17ROCPRIM_400000_NS6detail17trampoline_kernelINS0_14default_configENS1_36segmented_radix_sort_config_selectorIhlEEZNS1_25segmented_radix_sort_implIS3_Lb0EPKhPhPKlPlN2at6native12_GLOBAL__N_18offset_tEEE10hipError_tPvRmT1_PNSt15iterator_traitsISK_E10value_typeET2_T3_PNSL_ISQ_E10value_typeET4_jRbjT5_SW_jjP12ihipStream_tbEUlT_E_NS1_11comp_targetILNS1_3genE8ELNS1_11target_archE1030ELNS1_3gpuE2ELNS1_3repE0EEENS1_30default_config_static_selectorELNS0_4arch9wavefront6targetE0EEEvSK_: ; @_ZN7rocprim17ROCPRIM_400000_NS6detail17trampoline_kernelINS0_14default_configENS1_36segmented_radix_sort_config_selectorIhlEEZNS1_25segmented_radix_sort_implIS3_Lb0EPKhPhPKlPlN2at6native12_GLOBAL__N_18offset_tEEE10hipError_tPvRmT1_PNSt15iterator_traitsISK_E10value_typeET2_T3_PNSL_ISQ_E10value_typeET4_jRbjT5_SW_jjP12ihipStream_tbEUlT_E_NS1_11comp_targetILNS1_3genE8ELNS1_11target_archE1030ELNS1_3gpuE2ELNS1_3repE0EEENS1_30default_config_static_selectorELNS0_4arch9wavefront6targetE0EEEvSK_
; %bb.0:
	s_load_dwordx2 s[12:13], s[4:5], 0x38
	s_mov_b32 s28, s7
	s_mov_b32 s7, 0
	s_add_u32 s0, s0, s8
	s_addc_u32 s1, s1, 0
	s_lshl_b64 s[14:15], s[6:7], 2
	s_load_dwordx4 s[8:11], s[4:5], 0x40
	s_mov_b32 s32, 0
	s_waitcnt lgkmcnt(0)
	s_add_u32 s12, s12, s14
	s_addc_u32 s13, s13, s15
	s_load_dword s7, s[12:13], 0x0
	s_waitcnt lgkmcnt(0)
	s_add_i32 s58, s7, s9
	s_add_i32 s59, s7, s11
	s_mul_i32 s58, s58, s8
	s_mul_i32 s59, s59, s10
	s_cmp_le_u32 s59, s58
	s_cbranch_scc1 .LBB194_1254
; %bb.1:
	s_clause 0x3
	s_load_dword s7, s[4:5], 0x30
	s_load_dwordx4 s[52:55], s[4:5], 0x20
	s_load_dwordx4 s[40:43], s[4:5], 0x50
	s_load_dwordx8 s[44:51], s[4:5], 0x0
	s_waitcnt lgkmcnt(0)
	s_bitcmp1_b32 s7, 0
	s_mov_b32 s7, -1
	s_cselect_b32 s43, -1, 0
	s_sub_i32 s60, s59, s58
	s_cmpk_lt_u32 s60, 0x1101
	s_cbranch_scc0 .LBB194_7
; %bb.2:
	v_cndmask_b32_e64 v3, 0, 1, s43
	s_and_b32 s7, s40, 1
	v_lshlrev_b32_e32 v41, 20, v2
	v_lshlrev_b32_e32 v42, 10, v1
	v_cmp_ne_u32_e32 vcc_lo, s7, v3
	s_mov_b32 s7, -1
	s_cbranch_vccnz .LBB194_4
; %bb.3:
	s_mov_b64 s[10:11], src_shared_base
	v_or3_b32 v31, v0, v42, v41
	v_mov_b32_e32 v40, v0
	v_mov_b32_e32 v0, s44
	v_mov_b32_e32 v43, v1
	v_mov_b32_e32 v1, s45
	v_mov_b32_e32 v44, v2
	v_mov_b32_e32 v2, s48
	v_mov_b32_e32 v3, s49
	v_mov_b32_e32 v4, s50
	v_mov_b32_e32 v5, s51
	v_mov_b32_e32 v6, s54
	v_mov_b32_e32 v7, s55
	v_mov_b32_e32 v8, s58
	v_mov_b32_e32 v9, s59
	v_mov_b32_e32 v10, s41
	v_mov_b32_e32 v11, s42
	v_mov_b32_e32 v12, 0
	v_mov_b32_e32 v13, s11
	s_add_u32 s8, s4, 0x60
	s_addc_u32 s9, s5, 0
	s_getpc_b64 s[14:15]
	s_add_u32 s14, s14, _ZN7rocprim17ROCPRIM_400000_NS6detail40segmented_radix_sort_single_block_helperIhlLj256ELj17ELb0EE4sortIPKhPhPKlPlEEbT_T0_T1_T2_jjjjRNS3_12storage_typeE@rel32@lo+4
	s_addc_u32 s15, s15, _ZN7rocprim17ROCPRIM_400000_NS6detail40segmented_radix_sort_single_block_helperIhlLj256ELj17ELb0EE4sortIPKhPhPKlPlEEbT_T0_T1_T2_jjjjRNS3_12storage_typeE@rel32@hi+12
	s_mov_b32 s12, s6
	s_mov_b32 s13, s28
	s_mov_b32 s34, s6
	s_mov_b64 s[36:37], s[4:5]
	s_swappc_b64 s[30:31], s[14:15]
	v_mov_b32_e32 v1, v43
	v_mov_b32_e32 v2, v44
	;; [unrolled: 1-line block ×3, first 2 shown]
	s_mov_b64 s[4:5], s[36:37]
	s_mov_b32 s6, s34
	s_mov_b32 s7, 0
.LBB194_4:
	s_andn2_b32 vcc_lo, exec_lo, s7
	s_cbranch_vccnz .LBB194_6
; %bb.5:
	s_mov_b64 s[10:11], src_shared_base
	v_or3_b32 v31, v0, v42, v41
	v_mov_b32_e32 v40, v0
	v_mov_b32_e32 v0, s44
	;; [unrolled: 1-line block ×17, first 2 shown]
	s_add_u32 s8, s4, 0x60
	s_addc_u32 s9, s5, 0
	s_getpc_b64 s[14:15]
	s_add_u32 s14, s14, _ZN7rocprim17ROCPRIM_400000_NS6detail40segmented_radix_sort_single_block_helperIhlLj256ELj17ELb0EE4sortIPKhPhPKlPlEEbT_T0_T1_T2_jjjjRNS3_12storage_typeE@rel32@lo+4
	s_addc_u32 s15, s15, _ZN7rocprim17ROCPRIM_400000_NS6detail40segmented_radix_sort_single_block_helperIhlLj256ELj17ELb0EE4sortIPKhPhPKlPlEEbT_T0_T1_T2_jjjjRNS3_12storage_typeE@rel32@hi+12
	s_mov_b32 s12, s6
	s_mov_b32 s13, s28
	;; [unrolled: 1-line block ×3, first 2 shown]
	s_mov_b64 s[36:37], s[4:5]
	s_swappc_b64 s[30:31], s[14:15]
	v_mov_b32_e32 v1, v41
	v_mov_b32_e32 v2, v42
	;; [unrolled: 1-line block ×3, first 2 shown]
	s_mov_b64 s[4:5], s[36:37]
	s_mov_b32 s6, s34
.LBB194_6:
	s_mov_b32 s7, 0
.LBB194_7:
	s_andn2_b32 vcc_lo, exec_lo, s7
	s_cbranch_vccnz .LBB194_1254
; %bb.8:
	s_cmp_ge_u32 s41, s42
	s_cbranch_scc1 .LBB194_1254
; %bb.9:
	v_lshlrev_b32_e32 v43, 2, v0
	v_and_b32_e32 v3, 3, v0
	v_and_b32_e32 v5, 0xe0, v0
	s_add_u32 s56, s4, 0x60
	v_lshrrev_b32_e32 v7, 3, v0
	v_mad_u32_u24 v64, v0, 12, v43
	v_lshlrev_b32_e32 v63, 2, v3
	v_min_u32_e32 v6, 0x60, v5
	v_or_b32_e32 v3, 31, v5
	v_mul_u32_u24_e32 v68, 17, v5
	v_add_nc_u32_e32 v69, v64, v43
	v_lshlrev_b32_e32 v5, 4, v0
	v_or_b32_e32 v6, 31, v6
	v_cmp_eq_u32_e64 s4, v0, v3
	v_add_nc_u32_e32 v3, 1, v0
	v_mbcnt_lo_u32_b32 v86, -1, 0
	v_sub_nc_u32_e32 v70, v69, v5
	v_lshlrev_b32_e32 v5, 3, v68
	v_cmp_eq_u32_e64 s8, v0, v6
	v_mul_u32_u24_e32 v71, 36, v3
	v_cmp_ne_u32_e64 s13, 0x80, v3
	v_and_b32_e32 v62, 28, v7
	v_add_co_u32 v73, s14, s54, v5
	v_add_co_ci_u32_e64 v74, null, s55, 0, s14
	v_add_co_u32 v3, s14, s48, v68
	v_add_co_ci_u32_e64 v6, null, s49, 0, s14
	;; [unrolled: 2-line block ×6, first 2 shown]
	v_add_co_u32 v84, s14, s50, v5
	v_add_co_u32 v45, s7, s48, v0
	v_add_co_ci_u32_e64 v85, null, s51, 0, s14
	v_add_co_u32 v87, s14, s44, v68
	v_add_co_u32 v90, vcc_lo, v3, v86
	v_mov_b32_e32 v4, 0
	v_or_b32_e32 v44, 0x100, v0
	v_add_co_ci_u32_e64 v46, null, s49, 0, s7
	v_or_b32_e32 v47, 0x200, v0
	v_or_b32_e32 v48, 0x300, v0
	;; [unrolled: 1-line block ×15, first 2 shown]
	v_cmp_gt_u32_e64 s7, 0x80, v0
	v_or_b32_e32 v65, 0x8a00, v62
	v_cmp_gt_u32_e64 s9, 4, v0
	v_add_nc_u32_e32 v66, 0x8a00, v43
	v_cmp_lt_u32_e64 s10, 31, v0
	v_add_nc_u32_e32 v67, 0x89fc, v62
	v_cmp_gt_u32_e64 s11, 8, v0
	v_cmp_eq_u32_e64 s12, 0, v0
	v_lshlrev_b32_e32 v72, 5, v0
	v_mul_u32_u24_e32 v75, 7, v0
	v_add_co_ci_u32_e64 v88, null, s45, 0, s14
	v_mov_b32_e32 v89, 1
	v_add_co_ci_u32_e64 v91, null, 0, v6, vcc_lo
	s_addc_u32 s57, s5, 0
	s_mov_b32 s51, 0
	s_mov_b32 s61, s41
	s_branch .LBB194_12
.LBB194_10:                             ;   in Loop: Header=BB194_12 Depth=1
	s_waitcnt lgkmcnt(0)
	s_barrier
.LBB194_11:                             ;   in Loop: Header=BB194_12 Depth=1
	s_add_i32 s61, s61, 7
	buffer_gl0_inv
	s_cmp_ge_u32 s61, s42
	s_cbranch_scc1 .LBB194_1254
.LBB194_12:                             ; =>This Loop Header: Depth=1
                                        ;     Child Loop BB194_16 Depth 2
                                        ;     Child Loop BB194_100 Depth 2
	;; [unrolled: 1-line block ×8, first 2 shown]
	s_sub_i32 s5, s42, s61
	s_xor_b32 s43, s43, -1
	s_min_u32 s5, s5, 7
	ds_write2st64_b32 v43, v4, v4 offset1:4
	s_lshl_b32 s5, -1, s5
	s_waitcnt lgkmcnt(0)
	s_waitcnt_vscnt null, 0x0
	s_not_b32 s62, s5
	s_cmp_lg_u32 s61, s41
	s_mov_b32 s5, -1
	s_cbranch_scc0 .LBB194_634
; %bb.13:                               ;   in Loop: Header=BB194_12 Depth=1
	s_and_b32 vcc_lo, exec_lo, s43
	s_cbranch_vccz .LBB194_323
; %bb.14:                               ;   in Loop: Header=BB194_12 Depth=1
	v_mov_b32_e32 v17, 0
	v_mov_b32_e32 v20, 0
	;; [unrolled: 1-line block ×17, first 2 shown]
	s_mov_b32 s5, s60
	s_mov_b32 s16, s58
	s_barrier
	buffer_gl0_inv
	s_branch .LBB194_16
.LBB194_15:                             ;   in Loop: Header=BB194_16 Depth=2
	s_or_b32 exec_lo, exec_lo, s15
	s_addk_i32 s5, 0xef00
	s_cmp_ge_u32 s14, s59
	s_mov_b32 s16, s14
	s_cbranch_scc1 .LBB194_88
.LBB194_16:                             ;   Parent Loop BB194_12 Depth=1
                                        ; =>  This Inner Loop Header: Depth=2
	s_add_i32 s14, s16, 0x1100
	s_mov_b32 s15, -1
	s_cmp_gt_u32 s14, s59
                                        ; implicit-def: $vgpr21
                                        ; implicit-def: $vgpr22
                                        ; implicit-def: $vgpr23
                                        ; implicit-def: $vgpr24
                                        ; implicit-def: $vgpr25
                                        ; implicit-def: $vgpr26
                                        ; implicit-def: $vgpr27
                                        ; implicit-def: $vgpr28
                                        ; implicit-def: $vgpr29
                                        ; implicit-def: $vgpr30
                                        ; implicit-def: $vgpr31
                                        ; implicit-def: $vgpr32
                                        ; implicit-def: $vgpr33
                                        ; implicit-def: $vgpr34
                                        ; implicit-def: $vgpr35
                                        ; implicit-def: $vgpr36
                                        ; implicit-def: $vgpr37
	s_cbranch_scc1 .LBB194_18
; %bb.17:                               ;   in Loop: Header=BB194_16 Depth=2
	v_add_co_u32 v38, vcc_lo, v45, s16
	v_add_co_ci_u32_e64 v39, null, 0, v46, vcc_lo
	s_mov_b32 s15, 0
	v_add_co_u32 v21, vcc_lo, 0x800, v38
	v_add_co_ci_u32_e64 v22, null, 0, v39, vcc_lo
	v_add_co_u32 v23, vcc_lo, 0x1000, v38
	v_add_co_ci_u32_e64 v24, null, 0, v39, vcc_lo
	s_clause 0x10
	global_load_ubyte v36, v[21:22], off offset:1792
	global_load_ubyte v37, v[23:24], off
	global_load_ubyte v35, v[21:22], off offset:1536
	global_load_ubyte v34, v[21:22], off offset:1280
	;; [unrolled: 1-line block ×6, first 2 shown]
	global_load_ubyte v29, v[21:22], off
	global_load_ubyte v28, v[38:39], off offset:1792
	global_load_ubyte v27, v[38:39], off offset:1536
	global_load_ubyte v26, v[38:39], off offset:1280
	global_load_ubyte v25, v[38:39], off offset:1024
	global_load_ubyte v24, v[38:39], off offset:768
	global_load_ubyte v23, v[38:39], off offset:512
	global_load_ubyte v22, v[38:39], off offset:256
	global_load_ubyte v21, v[38:39], off
.LBB194_18:                             ;   in Loop: Header=BB194_16 Depth=2
	s_andn2_b32 vcc_lo, exec_lo, s15
	s_movk_i32 s15, 0x1100
	s_cbranch_vccnz .LBB194_38
; %bb.19:                               ;   in Loop: Header=BB194_16 Depth=2
	s_add_u32 s15, s48, s16
	s_addc_u32 s16, s49, 0
	s_mov_b32 s17, exec_lo
	v_cmpx_gt_u32_e64 s5, v0
	s_cbranch_execnz .LBB194_72
; %bb.20:                               ;   in Loop: Header=BB194_16 Depth=2
	s_or_b32 exec_lo, exec_lo, s17
	s_mov_b32 s17, exec_lo
	v_cmpx_gt_u32_e64 s5, v44
	s_cbranch_execnz .LBB194_73
.LBB194_21:                             ;   in Loop: Header=BB194_16 Depth=2
	s_or_b32 exec_lo, exec_lo, s17
	s_mov_b32 s17, exec_lo
	v_cmpx_gt_u32_e64 s5, v47
	s_cbranch_execnz .LBB194_74
.LBB194_22:                             ;   in Loop: Header=BB194_16 Depth=2
	s_or_b32 exec_lo, exec_lo, s17
	s_mov_b32 s17, exec_lo
	v_cmpx_gt_u32_e64 s5, v48
	s_cbranch_execnz .LBB194_75
.LBB194_23:                             ;   in Loop: Header=BB194_16 Depth=2
	s_or_b32 exec_lo, exec_lo, s17
	s_mov_b32 s17, exec_lo
	v_cmpx_gt_u32_e64 s5, v49
	s_cbranch_execnz .LBB194_76
.LBB194_24:                             ;   in Loop: Header=BB194_16 Depth=2
	s_or_b32 exec_lo, exec_lo, s17
	s_mov_b32 s17, exec_lo
	v_cmpx_gt_u32_e64 s5, v50
	s_cbranch_execnz .LBB194_77
.LBB194_25:                             ;   in Loop: Header=BB194_16 Depth=2
	s_or_b32 exec_lo, exec_lo, s17
	s_mov_b32 s17, exec_lo
	v_cmpx_gt_u32_e64 s5, v51
	s_cbranch_execnz .LBB194_78
.LBB194_26:                             ;   in Loop: Header=BB194_16 Depth=2
	s_or_b32 exec_lo, exec_lo, s17
	s_mov_b32 s17, exec_lo
	v_cmpx_gt_u32_e64 s5, v52
	s_cbranch_execnz .LBB194_79
.LBB194_27:                             ;   in Loop: Header=BB194_16 Depth=2
	s_or_b32 exec_lo, exec_lo, s17
	s_mov_b32 s17, exec_lo
	v_cmpx_gt_u32_e64 s5, v53
	s_cbranch_execnz .LBB194_80
.LBB194_28:                             ;   in Loop: Header=BB194_16 Depth=2
	s_or_b32 exec_lo, exec_lo, s17
	s_mov_b32 s17, exec_lo
	v_cmpx_gt_u32_e64 s5, v54
	s_cbranch_execnz .LBB194_81
.LBB194_29:                             ;   in Loop: Header=BB194_16 Depth=2
	s_or_b32 exec_lo, exec_lo, s17
	s_mov_b32 s17, exec_lo
	v_cmpx_gt_u32_e64 s5, v55
	s_cbranch_execnz .LBB194_82
.LBB194_30:                             ;   in Loop: Header=BB194_16 Depth=2
	s_or_b32 exec_lo, exec_lo, s17
	s_mov_b32 s17, exec_lo
	v_cmpx_gt_u32_e64 s5, v56
	s_cbranch_execnz .LBB194_83
.LBB194_31:                             ;   in Loop: Header=BB194_16 Depth=2
	s_or_b32 exec_lo, exec_lo, s17
	s_mov_b32 s17, exec_lo
	v_cmpx_gt_u32_e64 s5, v57
	s_cbranch_execnz .LBB194_84
.LBB194_32:                             ;   in Loop: Header=BB194_16 Depth=2
	s_or_b32 exec_lo, exec_lo, s17
	s_mov_b32 s17, exec_lo
	v_cmpx_gt_u32_e64 s5, v58
	s_cbranch_execnz .LBB194_85
.LBB194_33:                             ;   in Loop: Header=BB194_16 Depth=2
	s_or_b32 exec_lo, exec_lo, s17
	s_mov_b32 s17, exec_lo
	v_cmpx_gt_u32_e64 s5, v59
	s_cbranch_execnz .LBB194_86
.LBB194_34:                             ;   in Loop: Header=BB194_16 Depth=2
	s_or_b32 exec_lo, exec_lo, s17
	s_mov_b32 s17, exec_lo
	v_cmpx_gt_u32_e64 s5, v60
	s_cbranch_execnz .LBB194_87
.LBB194_35:                             ;   in Loop: Header=BB194_16 Depth=2
	s_or_b32 exec_lo, exec_lo, s17
	s_mov_b32 s17, exec_lo
	v_cmpx_gt_u32_e64 s5, v61
	s_cbranch_execz .LBB194_37
.LBB194_36:                             ;   in Loop: Header=BB194_16 Depth=2
	s_waitcnt vmcnt(0)
	v_add_co_u32 v21, s15, s15, v61
	v_add_co_ci_u32_e64 v22, null, s16, 0, s15
	global_load_ubyte v3, v[21:22], off
.LBB194_37:                             ;   in Loop: Header=BB194_16 Depth=2
	s_or_b32 exec_lo, exec_lo, s17
	s_waitcnt vmcnt(0)
	v_mov_b32_e32 v21, v17
	v_mov_b32_e32 v22, v20
	;; [unrolled: 1-line block ×17, first 2 shown]
	s_mov_b32 s15, s5
.LBB194_38:                             ;   in Loop: Header=BB194_16 Depth=2
	s_waitcnt vmcnt(15)
	v_mov_b32_e32 v3, v37
	v_mov_b32_e32 v5, v36
	s_waitcnt vmcnt(14)
	v_mov_b32_e32 v6, v35
	s_waitcnt vmcnt(13)
	;; [unrolled: 2-line block ×15, first 2 shown]
	v_mov_b32_e32 v17, v21
	s_mov_b32 s16, exec_lo
	v_cmpx_gt_u32_e64 s15, v0
	s_cbranch_execnz .LBB194_55
; %bb.39:                               ;   in Loop: Header=BB194_16 Depth=2
	s_or_b32 exec_lo, exec_lo, s16
	s_mov_b32 s16, exec_lo
	v_cmpx_gt_u32_e64 s15, v44
	s_cbranch_execnz .LBB194_56
.LBB194_40:                             ;   in Loop: Header=BB194_16 Depth=2
	s_or_b32 exec_lo, exec_lo, s16
	s_mov_b32 s16, exec_lo
	v_cmpx_gt_u32_e64 s15, v47
	s_cbranch_execnz .LBB194_57
.LBB194_41:                             ;   in Loop: Header=BB194_16 Depth=2
	s_or_b32 exec_lo, exec_lo, s16
	s_mov_b32 s16, exec_lo
	v_cmpx_gt_u32_e64 s15, v48
	s_cbranch_execnz .LBB194_58
.LBB194_42:                             ;   in Loop: Header=BB194_16 Depth=2
	s_or_b32 exec_lo, exec_lo, s16
	s_mov_b32 s16, exec_lo
	v_cmpx_gt_u32_e64 s15, v49
	s_cbranch_execnz .LBB194_59
.LBB194_43:                             ;   in Loop: Header=BB194_16 Depth=2
	s_or_b32 exec_lo, exec_lo, s16
	s_mov_b32 s16, exec_lo
	v_cmpx_gt_u32_e64 s15, v50
	s_cbranch_execnz .LBB194_60
.LBB194_44:                             ;   in Loop: Header=BB194_16 Depth=2
	s_or_b32 exec_lo, exec_lo, s16
	s_mov_b32 s16, exec_lo
	v_cmpx_gt_u32_e64 s15, v51
	s_cbranch_execnz .LBB194_61
.LBB194_45:                             ;   in Loop: Header=BB194_16 Depth=2
	s_or_b32 exec_lo, exec_lo, s16
	s_mov_b32 s16, exec_lo
	v_cmpx_gt_u32_e64 s15, v52
	s_cbranch_execnz .LBB194_62
.LBB194_46:                             ;   in Loop: Header=BB194_16 Depth=2
	s_or_b32 exec_lo, exec_lo, s16
	s_mov_b32 s16, exec_lo
	v_cmpx_gt_u32_e64 s15, v53
	s_cbranch_execnz .LBB194_63
.LBB194_47:                             ;   in Loop: Header=BB194_16 Depth=2
	s_or_b32 exec_lo, exec_lo, s16
	s_mov_b32 s16, exec_lo
	v_cmpx_gt_u32_e64 s15, v54
	s_cbranch_execnz .LBB194_64
.LBB194_48:                             ;   in Loop: Header=BB194_16 Depth=2
	s_or_b32 exec_lo, exec_lo, s16
	s_mov_b32 s16, exec_lo
	v_cmpx_gt_u32_e64 s15, v55
	s_cbranch_execnz .LBB194_65
.LBB194_49:                             ;   in Loop: Header=BB194_16 Depth=2
	s_or_b32 exec_lo, exec_lo, s16
	s_mov_b32 s16, exec_lo
	v_cmpx_gt_u32_e64 s15, v56
	s_cbranch_execnz .LBB194_66
.LBB194_50:                             ;   in Loop: Header=BB194_16 Depth=2
	s_or_b32 exec_lo, exec_lo, s16
	s_mov_b32 s16, exec_lo
	v_cmpx_gt_u32_e64 s15, v57
	s_cbranch_execnz .LBB194_67
.LBB194_51:                             ;   in Loop: Header=BB194_16 Depth=2
	s_or_b32 exec_lo, exec_lo, s16
	s_mov_b32 s16, exec_lo
	v_cmpx_gt_u32_e64 s15, v58
	s_cbranch_execnz .LBB194_68
.LBB194_52:                             ;   in Loop: Header=BB194_16 Depth=2
	s_or_b32 exec_lo, exec_lo, s16
	s_mov_b32 s16, exec_lo
	v_cmpx_gt_u32_e64 s15, v59
	s_cbranch_execnz .LBB194_69
.LBB194_53:                             ;   in Loop: Header=BB194_16 Depth=2
	s_or_b32 exec_lo, exec_lo, s16
	s_mov_b32 s16, exec_lo
	v_cmpx_gt_u32_e64 s15, v60
	s_cbranch_execnz .LBB194_70
.LBB194_54:                             ;   in Loop: Header=BB194_16 Depth=2
	s_or_b32 exec_lo, exec_lo, s16
	v_cmp_gt_u32_e32 vcc_lo, s15, v61
	s_and_saveexec_b32 s15, vcc_lo
	s_cbranch_execz .LBB194_15
	s_branch .LBB194_71
.LBB194_55:                             ;   in Loop: Header=BB194_16 Depth=2
	v_lshrrev_b32_sdwa v21, s61, v17 dst_sel:DWORD dst_unused:UNUSED_PAD src0_sel:DWORD src1_sel:BYTE_0
	v_and_b32_e32 v21, s62, v21
	v_lshl_or_b32 v21, v21, 4, v63
	ds_add_u32 v21, v89
	s_or_b32 exec_lo, exec_lo, s16
	s_mov_b32 s16, exec_lo
	v_cmpx_gt_u32_e64 s15, v44
	s_cbranch_execz .LBB194_40
.LBB194_56:                             ;   in Loop: Header=BB194_16 Depth=2
	v_lshrrev_b32_sdwa v21, s61, v20 dst_sel:DWORD dst_unused:UNUSED_PAD src0_sel:DWORD src1_sel:BYTE_0
	v_and_b32_e32 v21, s62, v21
	v_lshl_or_b32 v21, v21, 4, v63
	ds_add_u32 v21, v89
	s_or_b32 exec_lo, exec_lo, s16
	s_mov_b32 s16, exec_lo
	v_cmpx_gt_u32_e64 s15, v47
	s_cbranch_execz .LBB194_41
.LBB194_57:                             ;   in Loop: Header=BB194_16 Depth=2
	v_lshrrev_b32_sdwa v21, s61, v19 dst_sel:DWORD dst_unused:UNUSED_PAD src0_sel:DWORD src1_sel:BYTE_0
	v_and_b32_e32 v21, s62, v21
	v_lshl_or_b32 v21, v21, 4, v63
	ds_add_u32 v21, v89
	s_or_b32 exec_lo, exec_lo, s16
	s_mov_b32 s16, exec_lo
	v_cmpx_gt_u32_e64 s15, v48
	s_cbranch_execz .LBB194_42
.LBB194_58:                             ;   in Loop: Header=BB194_16 Depth=2
	v_lshrrev_b32_sdwa v21, s61, v18 dst_sel:DWORD dst_unused:UNUSED_PAD src0_sel:DWORD src1_sel:BYTE_0
	v_and_b32_e32 v21, s62, v21
	v_lshl_or_b32 v21, v21, 4, v63
	ds_add_u32 v21, v89
	s_or_b32 exec_lo, exec_lo, s16
	s_mov_b32 s16, exec_lo
	v_cmpx_gt_u32_e64 s15, v49
	s_cbranch_execz .LBB194_43
.LBB194_59:                             ;   in Loop: Header=BB194_16 Depth=2
	v_lshrrev_b32_sdwa v21, s61, v16 dst_sel:DWORD dst_unused:UNUSED_PAD src0_sel:DWORD src1_sel:BYTE_0
	v_and_b32_e32 v21, s62, v21
	v_lshl_or_b32 v21, v21, 4, v63
	ds_add_u32 v21, v89
	s_or_b32 exec_lo, exec_lo, s16
	s_mov_b32 s16, exec_lo
	v_cmpx_gt_u32_e64 s15, v50
	s_cbranch_execz .LBB194_44
.LBB194_60:                             ;   in Loop: Header=BB194_16 Depth=2
	v_lshrrev_b32_sdwa v21, s61, v15 dst_sel:DWORD dst_unused:UNUSED_PAD src0_sel:DWORD src1_sel:BYTE_0
	v_and_b32_e32 v21, s62, v21
	v_lshl_or_b32 v21, v21, 4, v63
	ds_add_u32 v21, v89
	s_or_b32 exec_lo, exec_lo, s16
	s_mov_b32 s16, exec_lo
	v_cmpx_gt_u32_e64 s15, v51
	s_cbranch_execz .LBB194_45
.LBB194_61:                             ;   in Loop: Header=BB194_16 Depth=2
	v_lshrrev_b32_sdwa v21, s61, v14 dst_sel:DWORD dst_unused:UNUSED_PAD src0_sel:DWORD src1_sel:BYTE_0
	v_and_b32_e32 v21, s62, v21
	v_lshl_or_b32 v21, v21, 4, v63
	ds_add_u32 v21, v89
	s_or_b32 exec_lo, exec_lo, s16
	s_mov_b32 s16, exec_lo
	v_cmpx_gt_u32_e64 s15, v52
	s_cbranch_execz .LBB194_46
.LBB194_62:                             ;   in Loop: Header=BB194_16 Depth=2
	v_lshrrev_b32_sdwa v21, s61, v13 dst_sel:DWORD dst_unused:UNUSED_PAD src0_sel:DWORD src1_sel:BYTE_0
	v_and_b32_e32 v21, s62, v21
	v_lshl_or_b32 v21, v21, 4, v63
	ds_add_u32 v21, v89
	s_or_b32 exec_lo, exec_lo, s16
	s_mov_b32 s16, exec_lo
	v_cmpx_gt_u32_e64 s15, v53
	s_cbranch_execz .LBB194_47
.LBB194_63:                             ;   in Loop: Header=BB194_16 Depth=2
	v_lshrrev_b32_sdwa v21, s61, v12 dst_sel:DWORD dst_unused:UNUSED_PAD src0_sel:DWORD src1_sel:BYTE_0
	v_and_b32_e32 v21, s62, v21
	v_lshl_or_b32 v21, v21, 4, v63
	ds_add_u32 v21, v89
	s_or_b32 exec_lo, exec_lo, s16
	s_mov_b32 s16, exec_lo
	v_cmpx_gt_u32_e64 s15, v54
	s_cbranch_execz .LBB194_48
.LBB194_64:                             ;   in Loop: Header=BB194_16 Depth=2
	v_lshrrev_b32_sdwa v21, s61, v11 dst_sel:DWORD dst_unused:UNUSED_PAD src0_sel:DWORD src1_sel:BYTE_0
	v_and_b32_e32 v21, s62, v21
	v_lshl_or_b32 v21, v21, 4, v63
	ds_add_u32 v21, v89
	s_or_b32 exec_lo, exec_lo, s16
	s_mov_b32 s16, exec_lo
	v_cmpx_gt_u32_e64 s15, v55
	s_cbranch_execz .LBB194_49
.LBB194_65:                             ;   in Loop: Header=BB194_16 Depth=2
	v_lshrrev_b32_sdwa v21, s61, v10 dst_sel:DWORD dst_unused:UNUSED_PAD src0_sel:DWORD src1_sel:BYTE_0
	v_and_b32_e32 v21, s62, v21
	v_lshl_or_b32 v21, v21, 4, v63
	ds_add_u32 v21, v89
	s_or_b32 exec_lo, exec_lo, s16
	s_mov_b32 s16, exec_lo
	v_cmpx_gt_u32_e64 s15, v56
	s_cbranch_execz .LBB194_50
.LBB194_66:                             ;   in Loop: Header=BB194_16 Depth=2
	v_lshrrev_b32_sdwa v21, s61, v9 dst_sel:DWORD dst_unused:UNUSED_PAD src0_sel:DWORD src1_sel:BYTE_0
	v_and_b32_e32 v21, s62, v21
	v_lshl_or_b32 v21, v21, 4, v63
	ds_add_u32 v21, v89
	s_or_b32 exec_lo, exec_lo, s16
	s_mov_b32 s16, exec_lo
	v_cmpx_gt_u32_e64 s15, v57
	s_cbranch_execz .LBB194_51
.LBB194_67:                             ;   in Loop: Header=BB194_16 Depth=2
	v_lshrrev_b32_sdwa v21, s61, v8 dst_sel:DWORD dst_unused:UNUSED_PAD src0_sel:DWORD src1_sel:BYTE_0
	v_and_b32_e32 v21, s62, v21
	v_lshl_or_b32 v21, v21, 4, v63
	ds_add_u32 v21, v89
	s_or_b32 exec_lo, exec_lo, s16
	s_mov_b32 s16, exec_lo
	v_cmpx_gt_u32_e64 s15, v58
	s_cbranch_execz .LBB194_52
.LBB194_68:                             ;   in Loop: Header=BB194_16 Depth=2
	v_lshrrev_b32_sdwa v21, s61, v7 dst_sel:DWORD dst_unused:UNUSED_PAD src0_sel:DWORD src1_sel:BYTE_0
	v_and_b32_e32 v21, s62, v21
	v_lshl_or_b32 v21, v21, 4, v63
	ds_add_u32 v21, v89
	s_or_b32 exec_lo, exec_lo, s16
	s_mov_b32 s16, exec_lo
	v_cmpx_gt_u32_e64 s15, v59
	s_cbranch_execz .LBB194_53
.LBB194_69:                             ;   in Loop: Header=BB194_16 Depth=2
	v_lshrrev_b32_sdwa v21, s61, v6 dst_sel:DWORD dst_unused:UNUSED_PAD src0_sel:DWORD src1_sel:BYTE_0
	v_and_b32_e32 v21, s62, v21
	v_lshl_or_b32 v21, v21, 4, v63
	ds_add_u32 v21, v89
	s_or_b32 exec_lo, exec_lo, s16
	s_mov_b32 s16, exec_lo
	v_cmpx_gt_u32_e64 s15, v60
	s_cbranch_execz .LBB194_54
.LBB194_70:                             ;   in Loop: Header=BB194_16 Depth=2
	v_lshrrev_b32_sdwa v21, s61, v5 dst_sel:DWORD dst_unused:UNUSED_PAD src0_sel:DWORD src1_sel:BYTE_0
	v_and_b32_e32 v21, s62, v21
	v_lshl_or_b32 v21, v21, 4, v63
	ds_add_u32 v21, v89
	s_or_b32 exec_lo, exec_lo, s16
	v_cmp_gt_u32_e32 vcc_lo, s15, v61
	s_and_saveexec_b32 s15, vcc_lo
	s_cbranch_execz .LBB194_15
.LBB194_71:                             ;   in Loop: Header=BB194_16 Depth=2
	v_lshrrev_b32_sdwa v21, s61, v3 dst_sel:DWORD dst_unused:UNUSED_PAD src0_sel:DWORD src1_sel:BYTE_0
	v_and_b32_e32 v21, s62, v21
	v_lshl_or_b32 v21, v21, 4, v63
	ds_add_u32 v21, v89
	s_branch .LBB194_15
.LBB194_72:                             ;   in Loop: Header=BB194_16 Depth=2
	s_waitcnt vmcnt(0)
	v_add_co_u32 v21, s18, s15, v0
	v_add_co_ci_u32_e64 v22, null, s16, 0, s18
	global_load_ubyte v17, v[21:22], off
	s_or_b32 exec_lo, exec_lo, s17
	s_mov_b32 s17, exec_lo
	v_cmpx_gt_u32_e64 s5, v44
	s_cbranch_execz .LBB194_21
.LBB194_73:                             ;   in Loop: Header=BB194_16 Depth=2
	v_add_co_u32 v20, s18, s15, v0
	s_waitcnt vmcnt(0)
	v_add_co_ci_u32_e64 v21, null, s16, 0, s18
	global_load_ubyte v20, v[20:21], off offset:256
	s_or_b32 exec_lo, exec_lo, s17
	s_mov_b32 s17, exec_lo
	v_cmpx_gt_u32_e64 s5, v47
	s_cbranch_execz .LBB194_22
.LBB194_74:                             ;   in Loop: Header=BB194_16 Depth=2
	s_waitcnt vmcnt(0)
	v_add_co_u32 v21, s18, s15, v0
	v_add_co_ci_u32_e64 v22, null, s16, 0, s18
	global_load_ubyte v19, v[21:22], off offset:512
	s_or_b32 exec_lo, exec_lo, s17
	s_mov_b32 s17, exec_lo
	v_cmpx_gt_u32_e64 s5, v48
	s_cbranch_execz .LBB194_23
.LBB194_75:                             ;   in Loop: Header=BB194_16 Depth=2
	s_waitcnt vmcnt(0)
	v_add_co_u32 v21, s18, s15, v0
	v_add_co_ci_u32_e64 v22, null, s16, 0, s18
	global_load_ubyte v18, v[21:22], off offset:768
	s_or_b32 exec_lo, exec_lo, s17
	s_mov_b32 s17, exec_lo
	v_cmpx_gt_u32_e64 s5, v49
	s_cbranch_execz .LBB194_24
.LBB194_76:                             ;   in Loop: Header=BB194_16 Depth=2
	s_waitcnt vmcnt(0)
	v_add_co_u32 v21, s18, s15, v0
	v_add_co_ci_u32_e64 v22, null, s16, 0, s18
	global_load_ubyte v16, v[21:22], off offset:1024
	s_or_b32 exec_lo, exec_lo, s17
	s_mov_b32 s17, exec_lo
	v_cmpx_gt_u32_e64 s5, v50
	s_cbranch_execz .LBB194_25
.LBB194_77:                             ;   in Loop: Header=BB194_16 Depth=2
	s_waitcnt vmcnt(0)
	v_add_co_u32 v21, s18, s15, v0
	v_add_co_ci_u32_e64 v22, null, s16, 0, s18
	global_load_ubyte v15, v[21:22], off offset:1280
	s_or_b32 exec_lo, exec_lo, s17
	s_mov_b32 s17, exec_lo
	v_cmpx_gt_u32_e64 s5, v51
	s_cbranch_execz .LBB194_26
.LBB194_78:                             ;   in Loop: Header=BB194_16 Depth=2
	s_waitcnt vmcnt(0)
	v_add_co_u32 v21, s18, s15, v0
	v_add_co_ci_u32_e64 v22, null, s16, 0, s18
	global_load_ubyte v14, v[21:22], off offset:1536
	s_or_b32 exec_lo, exec_lo, s17
	s_mov_b32 s17, exec_lo
	v_cmpx_gt_u32_e64 s5, v52
	s_cbranch_execz .LBB194_27
.LBB194_79:                             ;   in Loop: Header=BB194_16 Depth=2
	s_waitcnt vmcnt(0)
	v_add_co_u32 v21, s18, s15, v0
	v_add_co_ci_u32_e64 v22, null, s16, 0, s18
	global_load_ubyte v13, v[21:22], off offset:1792
	s_or_b32 exec_lo, exec_lo, s17
	s_mov_b32 s17, exec_lo
	v_cmpx_gt_u32_e64 s5, v53
	s_cbranch_execz .LBB194_28
.LBB194_80:                             ;   in Loop: Header=BB194_16 Depth=2
	s_waitcnt vmcnt(0)
	v_add_co_u32 v21, s18, s15, v53
	v_add_co_ci_u32_e64 v22, null, s16, 0, s18
	global_load_ubyte v12, v[21:22], off
	s_or_b32 exec_lo, exec_lo, s17
	s_mov_b32 s17, exec_lo
	v_cmpx_gt_u32_e64 s5, v54
	s_cbranch_execz .LBB194_29
.LBB194_81:                             ;   in Loop: Header=BB194_16 Depth=2
	s_waitcnt vmcnt(0)
	v_add_co_u32 v21, s18, s15, v54
	v_add_co_ci_u32_e64 v22, null, s16, 0, s18
	global_load_ubyte v11, v[21:22], off
	s_or_b32 exec_lo, exec_lo, s17
	s_mov_b32 s17, exec_lo
	v_cmpx_gt_u32_e64 s5, v55
	s_cbranch_execz .LBB194_30
.LBB194_82:                             ;   in Loop: Header=BB194_16 Depth=2
	s_waitcnt vmcnt(0)
	v_add_co_u32 v21, s18, s15, v55
	v_add_co_ci_u32_e64 v22, null, s16, 0, s18
	global_load_ubyte v10, v[21:22], off
	s_or_b32 exec_lo, exec_lo, s17
	s_mov_b32 s17, exec_lo
	v_cmpx_gt_u32_e64 s5, v56
	s_cbranch_execz .LBB194_31
.LBB194_83:                             ;   in Loop: Header=BB194_16 Depth=2
	s_waitcnt vmcnt(0)
	v_add_co_u32 v21, s18, s15, v56
	v_add_co_ci_u32_e64 v22, null, s16, 0, s18
	global_load_ubyte v9, v[21:22], off
	s_or_b32 exec_lo, exec_lo, s17
	s_mov_b32 s17, exec_lo
	v_cmpx_gt_u32_e64 s5, v57
	s_cbranch_execz .LBB194_32
.LBB194_84:                             ;   in Loop: Header=BB194_16 Depth=2
	s_waitcnt vmcnt(0)
	v_add_co_u32 v21, s18, s15, v57
	v_add_co_ci_u32_e64 v22, null, s16, 0, s18
	global_load_ubyte v8, v[21:22], off
	s_or_b32 exec_lo, exec_lo, s17
	s_mov_b32 s17, exec_lo
	v_cmpx_gt_u32_e64 s5, v58
	s_cbranch_execz .LBB194_33
.LBB194_85:                             ;   in Loop: Header=BB194_16 Depth=2
	s_waitcnt vmcnt(0)
	v_add_co_u32 v21, s18, s15, v58
	v_add_co_ci_u32_e64 v22, null, s16, 0, s18
	global_load_ubyte v7, v[21:22], off
	s_or_b32 exec_lo, exec_lo, s17
	s_mov_b32 s17, exec_lo
	v_cmpx_gt_u32_e64 s5, v59
	s_cbranch_execz .LBB194_34
.LBB194_86:                             ;   in Loop: Header=BB194_16 Depth=2
	s_waitcnt vmcnt(0)
	v_add_co_u32 v21, s18, s15, v59
	v_add_co_ci_u32_e64 v22, null, s16, 0, s18
	global_load_ubyte v6, v[21:22], off
	s_or_b32 exec_lo, exec_lo, s17
	s_mov_b32 s17, exec_lo
	v_cmpx_gt_u32_e64 s5, v60
	s_cbranch_execz .LBB194_35
.LBB194_87:                             ;   in Loop: Header=BB194_16 Depth=2
	s_waitcnt vmcnt(0)
	v_add_co_u32 v21, s18, s15, v60
	v_add_co_ci_u32_e64 v22, null, s16, 0, s18
	global_load_ubyte v5, v[21:22], off
	s_or_b32 exec_lo, exec_lo, s17
	s_mov_b32 s17, exec_lo
	v_cmpx_gt_u32_e64 s5, v61
	s_cbranch_execnz .LBB194_36
	s_branch .LBB194_37
.LBB194_88:                             ;   in Loop: Header=BB194_12 Depth=1
	v_mov_b32_e32 v3, 0
	s_waitcnt lgkmcnt(0)
	s_barrier
	buffer_gl0_inv
	s_and_saveexec_b32 s5, s7
	s_cbranch_execz .LBB194_90
; %bb.89:                               ;   in Loop: Header=BB194_12 Depth=1
	ds_read2_b64 v[5:8], v64 offset1:1
	s_waitcnt lgkmcnt(0)
	v_add_nc_u32_e32 v3, v6, v5
	v_add3_u32 v3, v3, v7, v8
.LBB194_90:                             ;   in Loop: Header=BB194_12 Depth=1
	s_or_b32 exec_lo, exec_lo, s5
	v_and_b32_e32 v5, 15, v86
	v_mov_b32_dpp v6, v3 row_shr:1 row_mask:0xf bank_mask:0xf
	v_and_b32_e32 v7, 16, v86
	v_cmp_eq_u32_e64 s5, 0, v5
	v_cmp_lt_u32_e64 s14, 1, v5
	v_cmp_lt_u32_e64 s15, 3, v5
	;; [unrolled: 1-line block ×3, first 2 shown]
	v_cmp_eq_u32_e64 s17, 0, v7
	v_cndmask_b32_e64 v6, v6, 0, s5
	v_add_nc_u32_e32 v3, v6, v3
	v_mov_b32_dpp v6, v3 row_shr:2 row_mask:0xf bank_mask:0xf
	v_cndmask_b32_e64 v6, 0, v6, s14
	v_add_nc_u32_e32 v3, v3, v6
	v_mov_b32_dpp v6, v3 row_shr:4 row_mask:0xf bank_mask:0xf
	;; [unrolled: 3-line block ×3, first 2 shown]
	v_cndmask_b32_e64 v5, 0, v6, s16
	v_bfe_i32 v6, v86, 4, 1
	v_add_nc_u32_e32 v3, v3, v5
	ds_swizzle_b32 v5, v3 offset:swizzle(BROADCAST,32,15)
	s_waitcnt lgkmcnt(0)
	v_and_b32_e32 v5, v6, v5
	v_add_nc_u32_e32 v3, v3, v5
	s_and_saveexec_b32 s18, s8
; %bb.91:                               ;   in Loop: Header=BB194_12 Depth=1
	ds_write_b32 v65, v3
; %bb.92:                               ;   in Loop: Header=BB194_12 Depth=1
	s_or_b32 exec_lo, exec_lo, s18
	s_waitcnt lgkmcnt(0)
	s_barrier
	buffer_gl0_inv
	s_and_saveexec_b32 s18, s9
	s_cbranch_execz .LBB194_94
; %bb.93:                               ;   in Loop: Header=BB194_12 Depth=1
	ds_read_b32 v5, v66
	v_and_b32_e32 v6, 3, v86
	v_cmp_ne_u32_e32 vcc_lo, 0, v6
	s_waitcnt lgkmcnt(0)
	v_mov_b32_dpp v7, v5 row_shr:1 row_mask:0xf bank_mask:0xf
	v_cndmask_b32_e32 v7, 0, v7, vcc_lo
	v_cmp_lt_u32_e32 vcc_lo, 1, v6
	v_add_nc_u32_e32 v5, v7, v5
	v_mov_b32_dpp v7, v5 row_shr:2 row_mask:0xf bank_mask:0xf
	v_cndmask_b32_e32 v6, 0, v7, vcc_lo
	v_add_nc_u32_e32 v5, v5, v6
	ds_write_b32 v66, v5
.LBB194_94:                             ;   in Loop: Header=BB194_12 Depth=1
	s_or_b32 exec_lo, exec_lo, s18
	v_mov_b32_e32 v5, 0
	s_waitcnt lgkmcnt(0)
	s_barrier
	buffer_gl0_inv
	s_and_saveexec_b32 s18, s10
; %bb.95:                               ;   in Loop: Header=BB194_12 Depth=1
	ds_read_b32 v5, v67
; %bb.96:                               ;   in Loop: Header=BB194_12 Depth=1
	s_or_b32 exec_lo, exec_lo, s18
	v_sub_co_u32 v6, s18, v86, 1
	s_waitcnt lgkmcnt(0)
	v_add_nc_u32_e32 v3, v5, v3
	s_barrier
	v_cmp_gt_i32_e32 vcc_lo, 0, v6
	buffer_gl0_inv
	v_cndmask_b32_e32 v6, v6, v86, vcc_lo
	v_lshlrev_b32_e32 v92, 2, v6
	ds_bpermute_b32 v3, v92, v3
	s_and_saveexec_b32 s19, s7
	s_cbranch_execz .LBB194_98
; %bb.97:                               ;   in Loop: Header=BB194_12 Depth=1
	s_waitcnt lgkmcnt(0)
	v_cndmask_b32_e64 v3, v3, v5, s18
	v_add_nc_u32_e32 v3, s58, v3
	ds_write_b32 v43, v3
.LBB194_98:                             ;   in Loop: Header=BB194_12 Depth=1
	s_or_b32 exec_lo, exec_lo, s19
	s_clause 0x1
	s_load_dword s19, s[56:57], 0x4
	s_load_dword s22, s[56:57], 0xc
	v_and_b32_e32 v5, 7, v86
	v_lshlrev_b32_e32 v6, 3, v86
	v_or_b32_e32 v93, v86, v68
	s_mov_b32 s63, s60
	s_mov_b32 s50, s58
                                        ; implicit-def: $vgpr7_vgpr8
                                        ; implicit-def: $vgpr9_vgpr10
                                        ; implicit-def: $vgpr11_vgpr12
                                        ; implicit-def: $vgpr13_vgpr14
                                        ; implicit-def: $vgpr15_vgpr16
                                        ; implicit-def: $vgpr19_vgpr20
                                        ; implicit-def: $vgpr23_vgpr24
                                        ; implicit-def: $vgpr27_vgpr28
                                        ; implicit-def: $vgpr17_vgpr18
                                        ; implicit-def: $vgpr21_vgpr22
                                        ; implicit-def: $vgpr25_vgpr26
                                        ; implicit-def: $vgpr29_vgpr30
                                        ; implicit-def: $vgpr31_vgpr32
                                        ; implicit-def: $vgpr33_vgpr34
                                        ; implicit-def: $vgpr35_vgpr36
                                        ; implicit-def: $vgpr37_vgpr38
                                        ; implicit-def: $vgpr113
                                        ; implicit-def: $vgpr114
                                        ; implicit-def: $vgpr115
                                        ; implicit-def: $vgpr116
                                        ; implicit-def: $vgpr117
                                        ; implicit-def: $vgpr118
                                        ; implicit-def: $vgpr119
                                        ; implicit-def: $vgpr120
                                        ; implicit-def: $vgpr121
                                        ; implicit-def: $vgpr122
                                        ; implicit-def: $vgpr123
                                        ; implicit-def: $vgpr124
                                        ; implicit-def: $vgpr125
                                        ; implicit-def: $vgpr126
                                        ; implicit-def: $vgpr127
                                        ; implicit-def: $vgpr128
                                        ; implicit-def: $vgpr129
                                        ; implicit-def: $vgpr130
                                        ; implicit-def: $vgpr131
	v_add_co_u32 v94, vcc_lo, v73, v6
	v_add_co_ci_u32_e64 v95, null, 0, v74, vcc_lo
	v_add_nc_u32_e32 v96, 32, v93
	v_add_nc_u32_e32 v97, 64, v93
	v_add_nc_u32_e32 v98, 0x60, v93
	v_add_nc_u32_e32 v99, 0x80, v93
	v_add_nc_u32_e32 v100, 0xa0, v93
	v_add_nc_u32_e32 v101, 0xc0, v93
	v_add_nc_u32_e32 v102, 0xe0, v93
	v_add_nc_u32_e32 v103, 0x100, v93
	s_waitcnt lgkmcnt(0)
	s_cmp_lt_u32 s28, s19
	v_add_nc_u32_e32 v104, 0x120, v93
	s_cselect_b32 s19, 14, 20
	v_add_nc_u32_e32 v105, 0x140, v93
	s_add_u32 s20, s56, s19
	s_addc_u32 s21, s57, 0
	s_and_b32 s22, s22, 0xffff
	global_load_ushort v3, v4, s[20:21]
	v_cmp_eq_u32_e64 s19, 0, v5
	v_cmp_lt_u32_e64 s20, 1, v5
	v_cmp_lt_u32_e64 s21, 3, v5
	v_add_nc_u32_e32 v106, 0x160, v93
	v_add_nc_u32_e32 v107, 0x180, v93
	;; [unrolled: 1-line block ×6, first 2 shown]
	s_waitcnt vmcnt(0)
	v_mad_u32_u24 v3, v2, v3, v1
	v_mad_u64_u32 v[5:6], null, v3, s22, v[0:1]
	v_lshrrev_b32_e32 v3, 3, v5
                                        ; implicit-def: $vgpr5_vgpr6
	v_and_b32_e32 v112, 0x1ffffffc, v3
	s_branch .LBB194_100
.LBB194_99:                             ;   in Loop: Header=BB194_100 Depth=2
	s_or_b32 exec_lo, exec_lo, s22
	s_addk_i32 s63, 0xef00
	s_cmp_lt_u32 s64, s59
	s_mov_b32 s50, s64
	s_cbranch_scc0 .LBB194_322
.LBB194_100:                            ;   Parent Loop BB194_12 Depth=1
                                        ; =>  This Inner Loop Header: Depth=2
	s_add_i32 s64, s50, 0x1100
	s_cmp_gt_u32 s64, s59
	s_cbranch_scc1 .LBB194_102
; %bb.101:                              ;   in Loop: Header=BB194_100 Depth=2
	v_add_co_u32 v39, vcc_lo, v90, s50
	v_add_co_ci_u32_e64 v40, null, 0, v91, vcc_lo
	s_mov_b32 s22, -1
	s_clause 0xf
	global_load_ubyte v132, v[39:40], off
	global_load_ubyte v133, v[39:40], off offset:32
	global_load_ubyte v134, v[39:40], off offset:64
	;; [unrolled: 1-line block ×15, first 2 shown]
	s_movk_i32 s23, 0x1100
	s_cbranch_execz .LBB194_103
	s_branch .LBB194_136
.LBB194_102:                            ;   in Loop: Header=BB194_100 Depth=2
	s_mov_b32 s22, 0
                                        ; implicit-def: $vgpr132
                                        ; implicit-def: $vgpr133
                                        ; implicit-def: $vgpr134
                                        ; implicit-def: $vgpr135
                                        ; implicit-def: $vgpr136
                                        ; implicit-def: $vgpr137
                                        ; implicit-def: $vgpr138
                                        ; implicit-def: $vgpr139
                                        ; implicit-def: $vgpr140
                                        ; implicit-def: $vgpr141
                                        ; implicit-def: $vgpr142
                                        ; implicit-def: $vgpr143
                                        ; implicit-def: $vgpr144
                                        ; implicit-def: $vgpr145
                                        ; implicit-def: $vgpr146
                                        ; implicit-def: $vgpr147
	s_movk_i32 s23, 0x1100
.LBB194_103:                            ;   in Loop: Header=BB194_100 Depth=2
	v_add_co_u32 v39, vcc_lo, v90, s50
	v_add_co_ci_u32_e64 v40, null, 0, v91, vcc_lo
	s_waitcnt vmcnt(14)
	v_mov_b32_e32 v133, 0xff
	v_mov_b32_e32 v132, 0xff
	s_mov_b32 s22, exec_lo
	v_cmpx_gt_u32_e64 s63, v93
	s_cbranch_execz .LBB194_105
; %bb.104:                              ;   in Loop: Header=BB194_100 Depth=2
	global_load_ubyte v132, v[39:40], off
.LBB194_105:                            ;   in Loop: Header=BB194_100 Depth=2
	s_or_b32 exec_lo, exec_lo, s22
	s_mov_b32 s22, exec_lo
	v_cmpx_gt_u32_e64 s63, v96
	s_cbranch_execz .LBB194_107
; %bb.106:                              ;   in Loop: Header=BB194_100 Depth=2
	global_load_ubyte v133, v[39:40], off offset:32
.LBB194_107:                            ;   in Loop: Header=BB194_100 Depth=2
	s_or_b32 exec_lo, exec_lo, s22
	s_waitcnt vmcnt(12)
	v_mov_b32_e32 v135, 0xff
	v_mov_b32_e32 v134, 0xff
	s_mov_b32 s22, exec_lo
	v_cmpx_gt_u32_e64 s63, v97
	s_cbranch_execz .LBB194_109
; %bb.108:                              ;   in Loop: Header=BB194_100 Depth=2
	global_load_ubyte v134, v[39:40], off offset:64
.LBB194_109:                            ;   in Loop: Header=BB194_100 Depth=2
	s_or_b32 exec_lo, exec_lo, s22
	s_mov_b32 s22, exec_lo
	v_cmpx_gt_u32_e64 s63, v98
	s_cbranch_execz .LBB194_111
; %bb.110:                              ;   in Loop: Header=BB194_100 Depth=2
	global_load_ubyte v135, v[39:40], off offset:96
.LBB194_111:                            ;   in Loop: Header=BB194_100 Depth=2
	s_or_b32 exec_lo, exec_lo, s22
	s_waitcnt vmcnt(10)
	v_mov_b32_e32 v137, 0xff
	v_mov_b32_e32 v136, 0xff
	s_mov_b32 s22, exec_lo
	v_cmpx_gt_u32_e64 s63, v99
	s_cbranch_execz .LBB194_113
; %bb.112:                              ;   in Loop: Header=BB194_100 Depth=2
	global_load_ubyte v136, v[39:40], off offset:128
.LBB194_113:                            ;   in Loop: Header=BB194_100 Depth=2
	;; [unrolled: 17-line block ×7, first 2 shown]
	s_or_b32 exec_lo, exec_lo, s22
	s_mov_b32 s22, exec_lo
	v_cmpx_gt_u32_e64 s63, v110
	s_cbranch_execz .LBB194_135
; %bb.134:                              ;   in Loop: Header=BB194_100 Depth=2
	global_load_ubyte v147, v[39:40], off offset:480
.LBB194_135:                            ;   in Loop: Header=BB194_100 Depth=2
	s_or_b32 exec_lo, exec_lo, s22
	v_cmp_gt_u32_e64 s22, s63, v111
	s_sub_i32 s23, s59, s50
.LBB194_136:                            ;   in Loop: Header=BB194_100 Depth=2
	v_mov_b32_e32 v148, 0xff
	v_mov_b32_e32 v3, s63
	s_and_saveexec_b32 s24, s22
	s_cbranch_execz .LBB194_138
; %bb.137:                              ;   in Loop: Header=BB194_100 Depth=2
	v_add_co_u32 v39, vcc_lo, v90, s50
	v_add_co_ci_u32_e64 v40, null, s51, v91, vcc_lo
	v_mov_b32_e32 v3, s23
	global_load_ubyte v148, v[39:40], off offset:512
.LBB194_138:                            ;   in Loop: Header=BB194_100 Depth=2
	s_or_b32 exec_lo, exec_lo, s24
	s_waitcnt vmcnt(15)
	v_lshrrev_b32_sdwa v39, s61, v132 dst_sel:DWORD dst_unused:UNUSED_PAD src0_sel:DWORD src1_sel:BYTE_0
	ds_write2_b32 v69, v4, v4 offset0:136 offset1:137
	ds_write2_b32 v69, v4, v4 offset0:138 offset1:139
	ds_write_b32 v69, v4 offset:560
	s_waitcnt vmcnt(0) lgkmcnt(0)
	s_barrier
	v_and_b32_e32 v40, s62, v39
	buffer_gl0_inv
	; wave barrier
	v_and_b32_e32 v39, 1, v40
	v_lshlrev_b32_e32 v41, 30, v40
	v_lshlrev_b32_e32 v42, 29, v40
	;; [unrolled: 1-line block ×4, first 2 shown]
	v_add_co_u32 v39, s22, v39, -1
	v_cndmask_b32_e64 v149, 0, 1, s22
	v_not_b32_e32 v153, v41
	v_cmp_gt_i32_e64 s22, 0, v41
	v_not_b32_e32 v41, v42
	v_lshlrev_b32_e32 v152, 26, v40
	v_cmp_ne_u32_e32 vcc_lo, 0, v149
	v_ashrrev_i32_e32 v153, 31, v153
	v_lshlrev_b32_e32 v149, 25, v40
	v_ashrrev_i32_e32 v41, 31, v41
	v_mul_u32_u24_e32 v40, 36, v40
	v_xor_b32_e32 v39, vcc_lo, v39
	v_cmp_gt_i32_e32 vcc_lo, 0, v42
	v_not_b32_e32 v42, v150
	v_xor_b32_e32 v153, s22, v153
	v_cmp_gt_i32_e64 s22, 0, v150
	v_and_b32_e32 v39, exec_lo, v39
	v_not_b32_e32 v150, v151
	v_ashrrev_i32_e32 v42, 31, v42
	v_xor_b32_e32 v41, vcc_lo, v41
	v_cmp_gt_i32_e32 vcc_lo, 0, v151
	v_and_b32_e32 v39, v39, v153
	v_not_b32_e32 v151, v152
	v_ashrrev_i32_e32 v150, 31, v150
	v_xor_b32_e32 v42, s22, v42
	v_cmp_gt_i32_e64 s22, 0, v152
	v_and_b32_e32 v39, v39, v41
	v_not_b32_e32 v41, v149
	v_ashrrev_i32_e32 v151, 31, v151
	v_xor_b32_e32 v150, vcc_lo, v150
	v_cmp_gt_i32_e32 vcc_lo, 0, v149
	v_and_b32_e32 v39, v39, v42
	v_ashrrev_i32_e32 v41, 31, v41
	v_xor_b32_e32 v42, s22, v151
	v_and_b32_e32 v39, v39, v150
	v_xor_b32_e32 v41, vcc_lo, v41
	v_add_nc_u32_e32 v150, v112, v40
	v_and_b32_e32 v39, v39, v42
	v_and_b32_e32 v39, v39, v41
	v_mbcnt_lo_u32_b32 v149, v39, 0
	v_cmp_ne_u32_e64 s22, 0, v39
	v_cmp_eq_u32_e32 vcc_lo, 0, v149
	s_and_b32 s23, s22, vcc_lo
	s_and_saveexec_b32 s22, s23
; %bb.139:                              ;   in Loop: Header=BB194_100 Depth=2
	v_bcnt_u32_b32 v39, v39, 0
	ds_write_b32 v150, v39 offset:544
; %bb.140:                              ;   in Loop: Header=BB194_100 Depth=2
	s_or_b32 exec_lo, exec_lo, s22
	v_lshrrev_b32_sdwa v39, s61, v133 dst_sel:DWORD dst_unused:UNUSED_PAD src0_sel:DWORD src1_sel:BYTE_0
	; wave barrier
	v_and_b32_e32 v40, s62, v39
	v_and_b32_e32 v39, 1, v40
	v_lshlrev_b32_e32 v41, 30, v40
	v_lshlrev_b32_e32 v42, 29, v40
	v_lshlrev_b32_e32 v152, 28, v40
	v_lshlrev_b32_e32 v153, 27, v40
	v_add_co_u32 v39, s22, v39, -1
	v_cndmask_b32_e64 v151, 0, 1, s22
	v_not_b32_e32 v155, v41
	v_cmp_gt_i32_e64 s22, 0, v41
	v_not_b32_e32 v41, v42
	v_lshlrev_b32_e32 v154, 26, v40
	v_cmp_ne_u32_e32 vcc_lo, 0, v151
	v_ashrrev_i32_e32 v155, 31, v155
	v_lshlrev_b32_e32 v151, 25, v40
	v_ashrrev_i32_e32 v41, 31, v41
	v_xor_b32_e32 v39, vcc_lo, v39
	v_cmp_gt_i32_e32 vcc_lo, 0, v42
	v_not_b32_e32 v42, v152
	v_xor_b32_e32 v155, s22, v155
	v_cmp_gt_i32_e64 s22, 0, v152
	v_and_b32_e32 v39, exec_lo, v39
	v_not_b32_e32 v152, v153
	v_ashrrev_i32_e32 v42, 31, v42
	v_xor_b32_e32 v41, vcc_lo, v41
	v_cmp_gt_i32_e32 vcc_lo, 0, v153
	v_and_b32_e32 v39, v39, v155
	v_not_b32_e32 v153, v154
	v_ashrrev_i32_e32 v152, 31, v152
	v_xor_b32_e32 v42, s22, v42
	v_cmp_gt_i32_e64 s22, 0, v154
	v_and_b32_e32 v39, v39, v41
	v_not_b32_e32 v41, v151
	v_ashrrev_i32_e32 v153, 31, v153
	v_xor_b32_e32 v152, vcc_lo, v152
	v_cmp_gt_i32_e32 vcc_lo, 0, v151
	v_and_b32_e32 v39, v39, v42
	v_ashrrev_i32_e32 v41, 31, v41
	v_xor_b32_e32 v42, s22, v153
	v_mad_u32_u24 v151, v40, 36, v112
	v_mul_u32_u24_e32 v40, 36, v40
	v_and_b32_e32 v39, v39, v152
	v_xor_b32_e32 v41, vcc_lo, v41
	ds_read_b32 v151, v151 offset:544
	v_add_nc_u32_e32 v153, v112, v40
	v_and_b32_e32 v39, v39, v42
	; wave barrier
	v_and_b32_e32 v39, v39, v41
	v_mbcnt_lo_u32_b32 v152, v39, 0
	v_cmp_ne_u32_e64 s22, 0, v39
	v_cmp_eq_u32_e32 vcc_lo, 0, v152
	s_and_b32 s23, s22, vcc_lo
	s_and_saveexec_b32 s22, s23
	s_cbranch_execz .LBB194_142
; %bb.141:                              ;   in Loop: Header=BB194_100 Depth=2
	s_waitcnt lgkmcnt(0)
	v_bcnt_u32_b32 v39, v39, v151
	ds_write_b32 v153, v39 offset:544
.LBB194_142:                            ;   in Loop: Header=BB194_100 Depth=2
	s_or_b32 exec_lo, exec_lo, s22
	v_lshrrev_b32_sdwa v39, s61, v134 dst_sel:DWORD dst_unused:UNUSED_PAD src0_sel:DWORD src1_sel:BYTE_0
	; wave barrier
	v_and_b32_e32 v40, s62, v39
	v_and_b32_e32 v39, 1, v40
	v_lshlrev_b32_e32 v41, 30, v40
	v_lshlrev_b32_e32 v42, 29, v40
	v_lshlrev_b32_e32 v155, 28, v40
	v_lshlrev_b32_e32 v156, 27, v40
	v_add_co_u32 v39, s22, v39, -1
	v_cndmask_b32_e64 v154, 0, 1, s22
	v_not_b32_e32 v158, v41
	v_cmp_gt_i32_e64 s22, 0, v41
	v_not_b32_e32 v41, v42
	v_lshlrev_b32_e32 v157, 26, v40
	v_cmp_ne_u32_e32 vcc_lo, 0, v154
	v_ashrrev_i32_e32 v158, 31, v158
	v_lshlrev_b32_e32 v154, 25, v40
	v_ashrrev_i32_e32 v41, 31, v41
	v_xor_b32_e32 v39, vcc_lo, v39
	v_cmp_gt_i32_e32 vcc_lo, 0, v42
	v_not_b32_e32 v42, v155
	v_xor_b32_e32 v158, s22, v158
	v_cmp_gt_i32_e64 s22, 0, v155
	v_and_b32_e32 v39, exec_lo, v39
	v_not_b32_e32 v155, v156
	v_ashrrev_i32_e32 v42, 31, v42
	v_xor_b32_e32 v41, vcc_lo, v41
	v_cmp_gt_i32_e32 vcc_lo, 0, v156
	v_and_b32_e32 v39, v39, v158
	v_not_b32_e32 v156, v157
	v_ashrrev_i32_e32 v155, 31, v155
	v_xor_b32_e32 v42, s22, v42
	v_cmp_gt_i32_e64 s22, 0, v157
	v_and_b32_e32 v39, v39, v41
	v_not_b32_e32 v41, v154
	v_ashrrev_i32_e32 v156, 31, v156
	v_xor_b32_e32 v155, vcc_lo, v155
	v_cmp_gt_i32_e32 vcc_lo, 0, v154
	v_and_b32_e32 v39, v39, v42
	v_ashrrev_i32_e32 v41, 31, v41
	v_xor_b32_e32 v42, s22, v156
	v_mad_u32_u24 v154, v40, 36, v112
	v_mul_u32_u24_e32 v40, 36, v40
	v_and_b32_e32 v39, v39, v155
	v_xor_b32_e32 v41, vcc_lo, v41
	ds_read_b32 v154, v154 offset:544
	v_add_nc_u32_e32 v156, v112, v40
	v_and_b32_e32 v39, v39, v42
	; wave barrier
	v_and_b32_e32 v39, v39, v41
	v_mbcnt_lo_u32_b32 v155, v39, 0
	v_cmp_ne_u32_e64 s22, 0, v39
	v_cmp_eq_u32_e32 vcc_lo, 0, v155
	s_and_b32 s23, s22, vcc_lo
	s_and_saveexec_b32 s22, s23
	s_cbranch_execz .LBB194_144
; %bb.143:                              ;   in Loop: Header=BB194_100 Depth=2
	s_waitcnt lgkmcnt(0)
	v_bcnt_u32_b32 v39, v39, v154
	ds_write_b32 v156, v39 offset:544
.LBB194_144:                            ;   in Loop: Header=BB194_100 Depth=2
	;; [unrolled: 62-line block ×16, first 2 shown]
	s_or_b32 exec_lo, exec_lo, s22
	; wave barrier
	s_waitcnt lgkmcnt(0)
	s_barrier
	buffer_gl0_inv
	ds_read2_b32 v[41:42], v69 offset0:136 offset1:137
	ds_read2_b32 v[39:40], v69 offset0:138 offset1:139
	ds_read_b32 v199, v69 offset:560
	s_waitcnt lgkmcnt(1)
	v_add3_u32 v200, v42, v41, v39
	s_waitcnt lgkmcnt(0)
	v_add3_u32 v199, v200, v40, v199
	v_mov_b32_dpp v200, v199 row_shr:1 row_mask:0xf bank_mask:0xf
	v_cndmask_b32_e64 v200, v200, 0, s5
	v_add_nc_u32_e32 v199, v200, v199
	v_mov_b32_dpp v200, v199 row_shr:2 row_mask:0xf bank_mask:0xf
	v_cndmask_b32_e64 v200, 0, v200, s14
	v_add_nc_u32_e32 v199, v199, v200
	;; [unrolled: 3-line block ×4, first 2 shown]
	ds_swizzle_b32 v200, v199 offset:swizzle(BROADCAST,32,15)
	s_waitcnt lgkmcnt(0)
	v_cndmask_b32_e64 v200, v200, 0, s17
	v_add_nc_u32_e32 v199, v199, v200
	s_and_saveexec_b32 s22, s4
; %bb.173:                              ;   in Loop: Header=BB194_100 Depth=2
	ds_write_b32 v62, v199 offset:512
; %bb.174:                              ;   in Loop: Header=BB194_100 Depth=2
	s_or_b32 exec_lo, exec_lo, s22
	s_waitcnt lgkmcnt(0)
	s_barrier
	buffer_gl0_inv
	s_and_saveexec_b32 s22, s11
	s_cbranch_execz .LBB194_176
; %bb.175:                              ;   in Loop: Header=BB194_100 Depth=2
	ds_read_b32 v200, v70 offset:512
	s_waitcnt lgkmcnt(0)
	v_mov_b32_dpp v201, v200 row_shr:1 row_mask:0xf bank_mask:0xf
	v_cndmask_b32_e64 v201, v201, 0, s19
	v_add_nc_u32_e32 v200, v201, v200
	v_mov_b32_dpp v201, v200 row_shr:2 row_mask:0xf bank_mask:0xf
	v_cndmask_b32_e64 v201, 0, v201, s20
	v_add_nc_u32_e32 v200, v200, v201
	;; [unrolled: 3-line block ×3, first 2 shown]
	ds_write_b32 v70, v200 offset:512
.LBB194_176:                            ;   in Loop: Header=BB194_100 Depth=2
	s_or_b32 exec_lo, exec_lo, s22
	v_mov_b32_e32 v200, 0
	s_waitcnt lgkmcnt(0)
	s_barrier
	buffer_gl0_inv
	s_and_saveexec_b32 s22, s10
; %bb.177:                              ;   in Loop: Header=BB194_100 Depth=2
	ds_read_b32 v200, v62 offset:508
; %bb.178:                              ;   in Loop: Header=BB194_100 Depth=2
	s_or_b32 exec_lo, exec_lo, s22
	s_waitcnt lgkmcnt(0)
	v_add_nc_u32_e32 v199, v200, v199
	ds_bpermute_b32 v199, v92, v199
	s_waitcnt lgkmcnt(0)
	v_cndmask_b32_e64 v199, v199, v200, s18
	v_cndmask_b32_e64 v199, v199, 0, s12
	v_add_nc_u32_e32 v41, v199, v41
	v_add_nc_u32_e32 v42, v41, v42
	v_add_nc_u32_e32 v39, v42, v39
	v_add_nc_u32_e32 v40, v39, v40
	ds_write2_b32 v69, v199, v41 offset0:136 offset1:137
	ds_write2_b32 v69, v42, v39 offset0:138 offset1:139
	ds_write_b32 v69, v40 offset:560
	s_waitcnt lgkmcnt(0)
	s_barrier
	buffer_gl0_inv
	ds_read_b32 v39, v150 offset:544
	ds_read_b32 v40, v153 offset:544
	;; [unrolled: 1-line block ×17, first 2 shown]
	s_and_saveexec_b32 s22, s7
	s_cbranch_execz .LBB194_182
; %bb.179:                              ;   in Loop: Header=BB194_100 Depth=2
	v_add_nc_u32_e32 v130, v70, v72
	v_mov_b32_e32 v131, 0x1100
	ds_read_b32 v130, v130 offset:544
	s_and_saveexec_b32 s23, s13
; %bb.180:                              ;   in Loop: Header=BB194_100 Depth=2
	ds_read_b32 v131, v71 offset:544
; %bb.181:                              ;   in Loop: Header=BB194_100 Depth=2
	s_or_b32 exec_lo, exec_lo, s23
	s_waitcnt lgkmcnt(0)
	v_sub_nc_u32_e32 v131, v131, v130
.LBB194_182:                            ;   in Loop: Header=BB194_100 Depth=2
	s_or_b32 exec_lo, exec_lo, s22
	s_waitcnt lgkmcnt(0)
	s_barrier
	buffer_gl0_inv
	s_and_saveexec_b32 s22, s7
	s_cbranch_execz .LBB194_184
; %bb.183:                              ;   in Loop: Header=BB194_100 Depth=2
	ds_read_b32 v159, v43
	s_waitcnt lgkmcnt(0)
	v_sub_nc_u32_e32 v159, v159, v130
	ds_write_b32 v43, v159
.LBB194_184:                            ;   in Loop: Header=BB194_100 Depth=2
	s_or_b32 exec_lo, exec_lo, s22
	v_add_nc_u32_e32 v171, v39, v149
	v_add3_u32 v168, v152, v151, v40
	v_add3_u32 v165, v155, v154, v41
	v_add3_u32 v162, v158, v157, v42
	v_add3_u32 v159, v161, v160, v150
	v_add3_u32 v158, v164, v163, v153
	v_add3_u32 v157, v167, v166, v156
	v_add3_u32 v156, v170, v169, v199
	v_add3_u32 v155, v173, v172, v174
	v_add3_u32 v154, v176, v175, v177
	v_add3_u32 v153, v179, v178, v180
	v_add3_u32 v152, v182, v181, v183
	v_add3_u32 v151, v185, v184, v186
	v_add3_u32 v150, v188, v187, v189
	v_add3_u32 v149, v191, v190, v192
	v_add3_u32 v42, v194, v193, v195
	v_add3_u32 v41, v197, v196, v198
	v_cmp_lt_u32_e64 s39, v0, v3
	ds_write_b8 v171, v132 offset:512
	ds_write_b8 v168, v133 offset:512
	;; [unrolled: 1-line block ×17, first 2 shown]
	s_waitcnt lgkmcnt(0)
	s_barrier
	buffer_gl0_inv
	s_and_saveexec_b32 s22, s39
	s_cbranch_execnz .LBB194_257
; %bb.185:                              ;   in Loop: Header=BB194_100 Depth=2
	s_or_b32 exec_lo, exec_lo, s22
	v_cmp_lt_u32_e64 s38, v44, v3
	s_and_saveexec_b32 s22, s38
	s_cbranch_execnz .LBB194_258
.LBB194_186:                            ;   in Loop: Header=BB194_100 Depth=2
	s_or_b32 exec_lo, exec_lo, s22
	v_cmp_lt_u32_e64 s37, v47, v3
	s_and_saveexec_b32 s22, s37
	s_cbranch_execnz .LBB194_259
.LBB194_187:                            ;   in Loop: Header=BB194_100 Depth=2
	s_or_b32 exec_lo, exec_lo, s22
	v_cmp_lt_u32_e64 s36, v48, v3
	s_and_saveexec_b32 s22, s36
	s_cbranch_execnz .LBB194_260
.LBB194_188:                            ;   in Loop: Header=BB194_100 Depth=2
	s_or_b32 exec_lo, exec_lo, s22
	v_cmp_lt_u32_e64 s35, v49, v3
	s_and_saveexec_b32 s22, s35
	s_cbranch_execnz .LBB194_261
.LBB194_189:                            ;   in Loop: Header=BB194_100 Depth=2
	s_or_b32 exec_lo, exec_lo, s22
	v_cmp_lt_u32_e64 s34, v50, v3
	s_and_saveexec_b32 s22, s34
	s_cbranch_execnz .LBB194_262
.LBB194_190:                            ;   in Loop: Header=BB194_100 Depth=2
	s_or_b32 exec_lo, exec_lo, s22
	v_cmp_lt_u32_e64 s33, v51, v3
	s_and_saveexec_b32 s22, s33
	s_cbranch_execnz .LBB194_263
.LBB194_191:                            ;   in Loop: Header=BB194_100 Depth=2
	s_or_b32 exec_lo, exec_lo, s22
	v_cmp_lt_u32_e64 s31, v52, v3
	s_and_saveexec_b32 s22, s31
	s_cbranch_execnz .LBB194_264
.LBB194_192:                            ;   in Loop: Header=BB194_100 Depth=2
	s_or_b32 exec_lo, exec_lo, s22
	v_cmp_lt_u32_e64 s30, v53, v3
	s_and_saveexec_b32 s22, s30
	s_cbranch_execnz .LBB194_265
.LBB194_193:                            ;   in Loop: Header=BB194_100 Depth=2
	s_or_b32 exec_lo, exec_lo, s22
	v_cmp_lt_u32_e64 s29, v54, v3
	s_and_saveexec_b32 s22, s29
	s_cbranch_execnz .LBB194_266
.LBB194_194:                            ;   in Loop: Header=BB194_100 Depth=2
	s_or_b32 exec_lo, exec_lo, s22
	v_cmp_lt_u32_e64 s27, v55, v3
	s_and_saveexec_b32 s22, s27
	s_cbranch_execnz .LBB194_267
.LBB194_195:                            ;   in Loop: Header=BB194_100 Depth=2
	s_or_b32 exec_lo, exec_lo, s22
	v_cmp_lt_u32_e64 s26, v56, v3
	s_and_saveexec_b32 s22, s26
	s_cbranch_execnz .LBB194_268
.LBB194_196:                            ;   in Loop: Header=BB194_100 Depth=2
	s_or_b32 exec_lo, exec_lo, s22
	v_cmp_lt_u32_e64 s25, v57, v3
	s_and_saveexec_b32 s22, s25
	s_cbranch_execnz .LBB194_269
.LBB194_197:                            ;   in Loop: Header=BB194_100 Depth=2
	s_or_b32 exec_lo, exec_lo, s22
	v_cmp_lt_u32_e64 s24, v58, v3
	s_and_saveexec_b32 s22, s24
	s_cbranch_execnz .LBB194_270
.LBB194_198:                            ;   in Loop: Header=BB194_100 Depth=2
	s_or_b32 exec_lo, exec_lo, s22
	v_cmp_lt_u32_e64 s23, v59, v3
	s_and_saveexec_b32 s22, s23
	s_cbranch_execnz .LBB194_271
.LBB194_199:                            ;   in Loop: Header=BB194_100 Depth=2
	s_or_b32 exec_lo, exec_lo, s22
	v_cmp_lt_u32_e64 s22, v60, v3
	s_and_saveexec_b32 s40, s22
	s_cbranch_execnz .LBB194_272
.LBB194_200:                            ;   in Loop: Header=BB194_100 Depth=2
	s_or_b32 exec_lo, exec_lo, s40
	v_cmp_lt_u32_e32 vcc_lo, v61, v3
	s_and_saveexec_b32 s40, vcc_lo
	s_cbranch_execz .LBB194_202
.LBB194_201:                            ;   in Loop: Header=BB194_100 Depth=2
	ds_read_u8 v39, v0 offset:4608
	s_waitcnt lgkmcnt(0)
	v_lshrrev_b32_sdwa v40, s61, v39 dst_sel:DWORD dst_unused:UNUSED_PAD src0_sel:DWORD src1_sel:BYTE_0
	v_and_b32_e32 v40, s62, v40
	v_lshlrev_b32_e32 v40, 2, v40
	ds_read_b32 v40, v40
	s_waitcnt lgkmcnt(0)
	v_add_nc_u32_e32 v40, v40, v61
	global_store_byte v40, v39, s[46:47]
.LBB194_202:                            ;   in Loop: Header=BB194_100 Depth=2
	s_or_b32 exec_lo, exec_lo, s40
	s_lshl_b64 s[66:67], s[50:51], 3
	v_add_co_u32 v39, s40, v94, s66
	v_add_co_ci_u32_e64 v40, null, s67, v95, s40
	v_cmp_lt_u32_e64 s40, v93, v3
	s_and_saveexec_b32 s50, s40
	s_xor_b32 s40, exec_lo, s50
	s_cbranch_execnz .LBB194_273
; %bb.203:                              ;   in Loop: Header=BB194_100 Depth=2
	s_or_b32 exec_lo, exec_lo, s40
	s_mov_b32 s50, exec_lo
	v_cmpx_lt_u32_e64 v96, v3
	s_cbranch_execnz .LBB194_274
.LBB194_204:                            ;   in Loop: Header=BB194_100 Depth=2
	s_or_b32 exec_lo, exec_lo, s50
	s_mov_b32 s50, exec_lo
	v_cmpx_lt_u32_e64 v97, v3
	s_cbranch_execnz .LBB194_275
.LBB194_205:                            ;   in Loop: Header=BB194_100 Depth=2
	s_or_b32 exec_lo, exec_lo, s50
	s_mov_b32 s50, exec_lo
	v_cmpx_lt_u32_e64 v98, v3
	s_cbranch_execnz .LBB194_276
.LBB194_206:                            ;   in Loop: Header=BB194_100 Depth=2
	s_or_b32 exec_lo, exec_lo, s50
	s_mov_b32 s50, exec_lo
	v_cmpx_lt_u32_e64 v99, v3
	s_cbranch_execnz .LBB194_277
.LBB194_207:                            ;   in Loop: Header=BB194_100 Depth=2
	s_or_b32 exec_lo, exec_lo, s50
	s_mov_b32 s50, exec_lo
	v_cmpx_lt_u32_e64 v100, v3
	s_cbranch_execnz .LBB194_278
.LBB194_208:                            ;   in Loop: Header=BB194_100 Depth=2
	s_or_b32 exec_lo, exec_lo, s50
	s_mov_b32 s50, exec_lo
	v_cmpx_lt_u32_e64 v101, v3
	s_cbranch_execnz .LBB194_279
.LBB194_209:                            ;   in Loop: Header=BB194_100 Depth=2
	s_or_b32 exec_lo, exec_lo, s50
	s_mov_b32 s50, exec_lo
	v_cmpx_lt_u32_e64 v102, v3
	s_cbranch_execnz .LBB194_280
.LBB194_210:                            ;   in Loop: Header=BB194_100 Depth=2
	s_or_b32 exec_lo, exec_lo, s50
	s_mov_b32 s50, exec_lo
	v_cmpx_lt_u32_e64 v103, v3
	s_cbranch_execnz .LBB194_281
.LBB194_211:                            ;   in Loop: Header=BB194_100 Depth=2
	s_or_b32 exec_lo, exec_lo, s50
	s_mov_b32 s50, exec_lo
	v_cmpx_lt_u32_e64 v104, v3
	s_cbranch_execnz .LBB194_282
.LBB194_212:                            ;   in Loop: Header=BB194_100 Depth=2
	s_or_b32 exec_lo, exec_lo, s50
	s_mov_b32 s50, exec_lo
	v_cmpx_lt_u32_e64 v105, v3
	s_cbranch_execnz .LBB194_283
.LBB194_213:                            ;   in Loop: Header=BB194_100 Depth=2
	s_or_b32 exec_lo, exec_lo, s50
	s_mov_b32 s50, exec_lo
	v_cmpx_lt_u32_e64 v106, v3
	s_cbranch_execnz .LBB194_284
.LBB194_214:                            ;   in Loop: Header=BB194_100 Depth=2
	s_or_b32 exec_lo, exec_lo, s50
	s_mov_b32 s50, exec_lo
	v_cmpx_lt_u32_e64 v107, v3
	s_cbranch_execnz .LBB194_285
.LBB194_215:                            ;   in Loop: Header=BB194_100 Depth=2
	s_or_b32 exec_lo, exec_lo, s50
	s_mov_b32 s50, exec_lo
	v_cmpx_lt_u32_e64 v108, v3
	s_cbranch_execnz .LBB194_286
.LBB194_216:                            ;   in Loop: Header=BB194_100 Depth=2
	s_or_b32 exec_lo, exec_lo, s50
	s_mov_b32 s50, exec_lo
	v_cmpx_lt_u32_e64 v109, v3
	s_cbranch_execnz .LBB194_287
.LBB194_217:                            ;   in Loop: Header=BB194_100 Depth=2
	s_or_b32 exec_lo, exec_lo, s50
	s_mov_b32 s50, exec_lo
	v_cmpx_lt_u32_e64 v110, v3
	s_cbranch_execnz .LBB194_288
.LBB194_218:                            ;   in Loop: Header=BB194_100 Depth=2
	s_or_b32 exec_lo, exec_lo, s50
	s_mov_b32 s50, exec_lo
	v_cmpx_lt_u32_e64 v111, v3
	s_cbranch_execnz .LBB194_289
.LBB194_219:                            ;   in Loop: Header=BB194_100 Depth=2
	s_or_b32 exec_lo, exec_lo, s50
	s_and_saveexec_b32 s40, s39
	s_cbranch_execnz .LBB194_290
.LBB194_220:                            ;   in Loop: Header=BB194_100 Depth=2
	s_or_b32 exec_lo, exec_lo, s40
	s_and_saveexec_b32 s40, s38
	s_cbranch_execnz .LBB194_291
.LBB194_221:                            ;   in Loop: Header=BB194_100 Depth=2
	s_or_b32 exec_lo, exec_lo, s40
	s_and_saveexec_b32 s40, s37
	s_cbranch_execnz .LBB194_292
.LBB194_222:                            ;   in Loop: Header=BB194_100 Depth=2
	s_or_b32 exec_lo, exec_lo, s40
	s_and_saveexec_b32 s40, s36
	s_cbranch_execnz .LBB194_293
.LBB194_223:                            ;   in Loop: Header=BB194_100 Depth=2
	s_or_b32 exec_lo, exec_lo, s40
	s_and_saveexec_b32 s40, s35
	s_cbranch_execnz .LBB194_294
.LBB194_224:                            ;   in Loop: Header=BB194_100 Depth=2
	s_or_b32 exec_lo, exec_lo, s40
	s_and_saveexec_b32 s40, s34
	s_cbranch_execnz .LBB194_295
.LBB194_225:                            ;   in Loop: Header=BB194_100 Depth=2
	s_or_b32 exec_lo, exec_lo, s40
	s_and_saveexec_b32 s40, s33
	s_cbranch_execnz .LBB194_296
.LBB194_226:                            ;   in Loop: Header=BB194_100 Depth=2
	s_or_b32 exec_lo, exec_lo, s40
	s_and_saveexec_b32 s40, s31
	s_cbranch_execnz .LBB194_297
.LBB194_227:                            ;   in Loop: Header=BB194_100 Depth=2
	s_or_b32 exec_lo, exec_lo, s40
	s_and_saveexec_b32 s40, s30
	s_cbranch_execnz .LBB194_298
.LBB194_228:                            ;   in Loop: Header=BB194_100 Depth=2
	s_or_b32 exec_lo, exec_lo, s40
	s_and_saveexec_b32 s40, s29
	s_cbranch_execnz .LBB194_299
.LBB194_229:                            ;   in Loop: Header=BB194_100 Depth=2
	s_or_b32 exec_lo, exec_lo, s40
	s_and_saveexec_b32 s40, s27
	s_cbranch_execnz .LBB194_300
.LBB194_230:                            ;   in Loop: Header=BB194_100 Depth=2
	s_or_b32 exec_lo, exec_lo, s40
	s_and_saveexec_b32 s40, s26
	s_cbranch_execnz .LBB194_301
.LBB194_231:                            ;   in Loop: Header=BB194_100 Depth=2
	s_or_b32 exec_lo, exec_lo, s40
	s_and_saveexec_b32 s40, s25
	s_cbranch_execnz .LBB194_302
.LBB194_232:                            ;   in Loop: Header=BB194_100 Depth=2
	s_or_b32 exec_lo, exec_lo, s40
	s_and_saveexec_b32 s40, s24
	s_cbranch_execnz .LBB194_303
.LBB194_233:                            ;   in Loop: Header=BB194_100 Depth=2
	s_or_b32 exec_lo, exec_lo, s40
	s_and_saveexec_b32 s40, s23
	s_cbranch_execnz .LBB194_304
.LBB194_234:                            ;   in Loop: Header=BB194_100 Depth=2
	s_or_b32 exec_lo, exec_lo, s40
	s_and_saveexec_b32 s40, s22
	s_cbranch_execnz .LBB194_305
.LBB194_235:                            ;   in Loop: Header=BB194_100 Depth=2
	s_or_b32 exec_lo, exec_lo, s40
	s_and_saveexec_b32 s40, vcc_lo
	s_cbranch_execz .LBB194_237
.LBB194_236:                            ;   in Loop: Header=BB194_100 Depth=2
	ds_read_u8 v3, v0 offset:4608
	s_waitcnt lgkmcnt(0)
	v_lshrrev_b32_e32 v3, s61, v3
	v_and_b32_e32 v113, s62, v3
.LBB194_237:                            ;   in Loop: Header=BB194_100 Depth=2
	s_or_b32 exec_lo, exec_lo, s40
	v_lshlrev_b32_e32 v3, 3, v171
	v_lshlrev_b32_e32 v39, 3, v168
	s_waitcnt vmcnt(0)
	s_waitcnt_vscnt null, 0x0
	s_barrier
	buffer_gl0_inv
	ds_write_b64 v3, v[37:38] offset:512
	ds_write_b64 v39, v[35:36] offset:512
	v_lshlrev_b32_e32 v3, 3, v165
	v_lshlrev_b32_e32 v39, 3, v162
	v_lshlrev_b32_e32 v40, 3, v159
	v_lshlrev_b32_e32 v132, 3, v158
	v_lshlrev_b32_e32 v133, 3, v157
	ds_write_b64 v3, v[33:34] offset:512
	ds_write_b64 v39, v[31:32] offset:512
	ds_write_b64 v40, v[29:30] offset:512
	ds_write_b64 v132, v[25:26] offset:512
	ds_write_b64 v133, v[21:22] offset:512
	v_lshlrev_b32_e32 v3, 3, v156
	v_lshlrev_b32_e32 v39, 3, v155
	v_lshlrev_b32_e32 v40, 3, v154
	v_lshlrev_b32_e32 v132, 3, v153
	v_lshlrev_b32_e32 v133, 3, v152
	ds_write_b64 v3, v[17:18] offset:512
	ds_write_b64 v39, v[27:28] offset:512
	ds_write_b64 v40, v[23:24] offset:512
	;; [unrolled: 10-line block ×3, first 2 shown]
	ds_write_b64 v42, v[7:8] offset:512
	ds_write_b64 v41, v[5:6] offset:512
	s_waitcnt lgkmcnt(0)
	s_barrier
	buffer_gl0_inv
	s_and_saveexec_b32 s40, s39
	s_cbranch_execnz .LBB194_306
; %bb.238:                              ;   in Loop: Header=BB194_100 Depth=2
	s_or_b32 exec_lo, exec_lo, s40
	s_and_saveexec_b32 s39, s38
	s_cbranch_execnz .LBB194_307
.LBB194_239:                            ;   in Loop: Header=BB194_100 Depth=2
	s_or_b32 exec_lo, exec_lo, s39
	s_and_saveexec_b32 s38, s37
	s_cbranch_execnz .LBB194_308
.LBB194_240:                            ;   in Loop: Header=BB194_100 Depth=2
	s_or_b32 exec_lo, exec_lo, s38
	s_and_saveexec_b32 s37, s36
	s_cbranch_execnz .LBB194_309
.LBB194_241:                            ;   in Loop: Header=BB194_100 Depth=2
	s_or_b32 exec_lo, exec_lo, s37
	s_and_saveexec_b32 s36, s35
	s_cbranch_execnz .LBB194_310
.LBB194_242:                            ;   in Loop: Header=BB194_100 Depth=2
	s_or_b32 exec_lo, exec_lo, s36
	s_and_saveexec_b32 s35, s34
	s_cbranch_execnz .LBB194_311
.LBB194_243:                            ;   in Loop: Header=BB194_100 Depth=2
	s_or_b32 exec_lo, exec_lo, s35
	s_and_saveexec_b32 s34, s33
	s_cbranch_execnz .LBB194_312
.LBB194_244:                            ;   in Loop: Header=BB194_100 Depth=2
	s_or_b32 exec_lo, exec_lo, s34
	s_and_saveexec_b32 s33, s31
	s_cbranch_execnz .LBB194_313
.LBB194_245:                            ;   in Loop: Header=BB194_100 Depth=2
	s_or_b32 exec_lo, exec_lo, s33
	s_and_saveexec_b32 s31, s30
	s_cbranch_execnz .LBB194_314
.LBB194_246:                            ;   in Loop: Header=BB194_100 Depth=2
	s_or_b32 exec_lo, exec_lo, s31
	s_and_saveexec_b32 s30, s29
	s_cbranch_execnz .LBB194_315
.LBB194_247:                            ;   in Loop: Header=BB194_100 Depth=2
	s_or_b32 exec_lo, exec_lo, s30
	s_and_saveexec_b32 s29, s27
	s_cbranch_execnz .LBB194_316
.LBB194_248:                            ;   in Loop: Header=BB194_100 Depth=2
	s_or_b32 exec_lo, exec_lo, s29
	s_and_saveexec_b32 s27, s26
	s_cbranch_execnz .LBB194_317
.LBB194_249:                            ;   in Loop: Header=BB194_100 Depth=2
	s_or_b32 exec_lo, exec_lo, s27
	s_and_saveexec_b32 s26, s25
	s_cbranch_execnz .LBB194_318
.LBB194_250:                            ;   in Loop: Header=BB194_100 Depth=2
	s_or_b32 exec_lo, exec_lo, s26
	s_and_saveexec_b32 s25, s24
	s_cbranch_execnz .LBB194_319
.LBB194_251:                            ;   in Loop: Header=BB194_100 Depth=2
	s_or_b32 exec_lo, exec_lo, s25
	s_and_saveexec_b32 s24, s23
	s_cbranch_execnz .LBB194_320
.LBB194_252:                            ;   in Loop: Header=BB194_100 Depth=2
	s_or_b32 exec_lo, exec_lo, s24
	s_and_saveexec_b32 s23, s22
	s_cbranch_execnz .LBB194_321
.LBB194_253:                            ;   in Loop: Header=BB194_100 Depth=2
	s_or_b32 exec_lo, exec_lo, s23
	s_and_saveexec_b32 s22, vcc_lo
	s_cbranch_execz .LBB194_255
.LBB194_254:                            ;   in Loop: Header=BB194_100 Depth=2
	v_lshlrev_b32_e32 v3, 2, v113
	v_add_nc_u32_e32 v39, v0, v75
	ds_read_b32 v3, v3
	ds_read_b64 v[39:40], v39 offset:33280
	s_waitcnt lgkmcnt(1)
	v_add_nc_u32_e32 v3, v3, v61
	v_lshlrev_b64 v[41:42], 3, v[3:4]
	v_add_co_u32 v41, vcc_lo, s52, v41
	v_add_co_ci_u32_e64 v42, null, s53, v42, vcc_lo
	s_waitcnt lgkmcnt(0)
	global_store_dwordx2 v[41:42], v[39:40], off
.LBB194_255:                            ;   in Loop: Header=BB194_100 Depth=2
	s_or_b32 exec_lo, exec_lo, s22
	s_waitcnt_vscnt null, 0x0
	s_barrier
	buffer_gl0_inv
	s_and_saveexec_b32 s22, s7
	s_cbranch_execz .LBB194_99
; %bb.256:                              ;   in Loop: Header=BB194_100 Depth=2
	ds_read_b32 v3, v43
	s_waitcnt lgkmcnt(0)
	v_add3_u32 v3, v130, v131, v3
	ds_write_b32 v43, v3
	s_branch .LBB194_99
.LBB194_257:                            ;   in Loop: Header=BB194_100 Depth=2
	ds_read_u8 v39, v0 offset:512
	s_waitcnt lgkmcnt(0)
	v_lshrrev_b32_sdwa v40, s61, v39 dst_sel:DWORD dst_unused:UNUSED_PAD src0_sel:DWORD src1_sel:BYTE_0
	v_and_b32_e32 v40, s62, v40
	v_lshlrev_b32_e32 v40, 2, v40
	ds_read_b32 v40, v40
	s_waitcnt lgkmcnt(0)
	v_add_nc_u32_e32 v40, v40, v0
	global_store_byte v40, v39, s[46:47]
	s_or_b32 exec_lo, exec_lo, s22
	v_cmp_lt_u32_e64 s38, v44, v3
	s_and_saveexec_b32 s22, s38
	s_cbranch_execz .LBB194_186
.LBB194_258:                            ;   in Loop: Header=BB194_100 Depth=2
	ds_read_u8 v39, v0 offset:768
	s_waitcnt lgkmcnt(0)
	v_lshrrev_b32_sdwa v40, s61, v39 dst_sel:DWORD dst_unused:UNUSED_PAD src0_sel:DWORD src1_sel:BYTE_0
	v_and_b32_e32 v40, s62, v40
	v_lshlrev_b32_e32 v40, 2, v40
	ds_read_b32 v40, v40
	s_waitcnt lgkmcnt(0)
	v_add_nc_u32_e32 v40, v40, v44
	global_store_byte v40, v39, s[46:47]
	s_or_b32 exec_lo, exec_lo, s22
	v_cmp_lt_u32_e64 s37, v47, v3
	s_and_saveexec_b32 s22, s37
	s_cbranch_execz .LBB194_187
.LBB194_259:                            ;   in Loop: Header=BB194_100 Depth=2
	ds_read_u8 v39, v0 offset:1024
	s_waitcnt lgkmcnt(0)
	v_lshrrev_b32_sdwa v40, s61, v39 dst_sel:DWORD dst_unused:UNUSED_PAD src0_sel:DWORD src1_sel:BYTE_0
	v_and_b32_e32 v40, s62, v40
	v_lshlrev_b32_e32 v40, 2, v40
	ds_read_b32 v40, v40
	s_waitcnt lgkmcnt(0)
	v_add_nc_u32_e32 v40, v40, v47
	global_store_byte v40, v39, s[46:47]
	s_or_b32 exec_lo, exec_lo, s22
	v_cmp_lt_u32_e64 s36, v48, v3
	s_and_saveexec_b32 s22, s36
	s_cbranch_execz .LBB194_188
.LBB194_260:                            ;   in Loop: Header=BB194_100 Depth=2
	ds_read_u8 v39, v0 offset:1280
	s_waitcnt lgkmcnt(0)
	v_lshrrev_b32_sdwa v40, s61, v39 dst_sel:DWORD dst_unused:UNUSED_PAD src0_sel:DWORD src1_sel:BYTE_0
	v_and_b32_e32 v40, s62, v40
	v_lshlrev_b32_e32 v40, 2, v40
	ds_read_b32 v40, v40
	s_waitcnt lgkmcnt(0)
	v_add_nc_u32_e32 v40, v40, v48
	global_store_byte v40, v39, s[46:47]
	s_or_b32 exec_lo, exec_lo, s22
	v_cmp_lt_u32_e64 s35, v49, v3
	s_and_saveexec_b32 s22, s35
	s_cbranch_execz .LBB194_189
.LBB194_261:                            ;   in Loop: Header=BB194_100 Depth=2
	ds_read_u8 v39, v0 offset:1536
	s_waitcnt lgkmcnt(0)
	v_lshrrev_b32_sdwa v40, s61, v39 dst_sel:DWORD dst_unused:UNUSED_PAD src0_sel:DWORD src1_sel:BYTE_0
	v_and_b32_e32 v40, s62, v40
	v_lshlrev_b32_e32 v40, 2, v40
	ds_read_b32 v40, v40
	s_waitcnt lgkmcnt(0)
	v_add_nc_u32_e32 v40, v40, v49
	global_store_byte v40, v39, s[46:47]
	s_or_b32 exec_lo, exec_lo, s22
	v_cmp_lt_u32_e64 s34, v50, v3
	s_and_saveexec_b32 s22, s34
	s_cbranch_execz .LBB194_190
.LBB194_262:                            ;   in Loop: Header=BB194_100 Depth=2
	ds_read_u8 v39, v0 offset:1792
	s_waitcnt lgkmcnt(0)
	v_lshrrev_b32_sdwa v40, s61, v39 dst_sel:DWORD dst_unused:UNUSED_PAD src0_sel:DWORD src1_sel:BYTE_0
	v_and_b32_e32 v40, s62, v40
	v_lshlrev_b32_e32 v40, 2, v40
	ds_read_b32 v40, v40
	s_waitcnt lgkmcnt(0)
	v_add_nc_u32_e32 v40, v40, v50
	global_store_byte v40, v39, s[46:47]
	s_or_b32 exec_lo, exec_lo, s22
	v_cmp_lt_u32_e64 s33, v51, v3
	s_and_saveexec_b32 s22, s33
	s_cbranch_execz .LBB194_191
.LBB194_263:                            ;   in Loop: Header=BB194_100 Depth=2
	ds_read_u8 v39, v0 offset:2048
	s_waitcnt lgkmcnt(0)
	v_lshrrev_b32_sdwa v40, s61, v39 dst_sel:DWORD dst_unused:UNUSED_PAD src0_sel:DWORD src1_sel:BYTE_0
	v_and_b32_e32 v40, s62, v40
	v_lshlrev_b32_e32 v40, 2, v40
	ds_read_b32 v40, v40
	s_waitcnt lgkmcnt(0)
	v_add_nc_u32_e32 v40, v40, v51
	global_store_byte v40, v39, s[46:47]
	s_or_b32 exec_lo, exec_lo, s22
	v_cmp_lt_u32_e64 s31, v52, v3
	s_and_saveexec_b32 s22, s31
	s_cbranch_execz .LBB194_192
.LBB194_264:                            ;   in Loop: Header=BB194_100 Depth=2
	ds_read_u8 v39, v0 offset:2304
	s_waitcnt lgkmcnt(0)
	v_lshrrev_b32_sdwa v40, s61, v39 dst_sel:DWORD dst_unused:UNUSED_PAD src0_sel:DWORD src1_sel:BYTE_0
	v_and_b32_e32 v40, s62, v40
	v_lshlrev_b32_e32 v40, 2, v40
	ds_read_b32 v40, v40
	s_waitcnt lgkmcnt(0)
	v_add_nc_u32_e32 v40, v40, v52
	global_store_byte v40, v39, s[46:47]
	s_or_b32 exec_lo, exec_lo, s22
	v_cmp_lt_u32_e64 s30, v53, v3
	s_and_saveexec_b32 s22, s30
	s_cbranch_execz .LBB194_193
.LBB194_265:                            ;   in Loop: Header=BB194_100 Depth=2
	ds_read_u8 v39, v0 offset:2560
	s_waitcnt lgkmcnt(0)
	v_lshrrev_b32_sdwa v40, s61, v39 dst_sel:DWORD dst_unused:UNUSED_PAD src0_sel:DWORD src1_sel:BYTE_0
	v_and_b32_e32 v40, s62, v40
	v_lshlrev_b32_e32 v40, 2, v40
	ds_read_b32 v40, v40
	s_waitcnt lgkmcnt(0)
	v_add_nc_u32_e32 v40, v40, v53
	global_store_byte v40, v39, s[46:47]
	s_or_b32 exec_lo, exec_lo, s22
	v_cmp_lt_u32_e64 s29, v54, v3
	s_and_saveexec_b32 s22, s29
	s_cbranch_execz .LBB194_194
.LBB194_266:                            ;   in Loop: Header=BB194_100 Depth=2
	ds_read_u8 v39, v0 offset:2816
	s_waitcnt lgkmcnt(0)
	v_lshrrev_b32_sdwa v40, s61, v39 dst_sel:DWORD dst_unused:UNUSED_PAD src0_sel:DWORD src1_sel:BYTE_0
	v_and_b32_e32 v40, s62, v40
	v_lshlrev_b32_e32 v40, 2, v40
	ds_read_b32 v40, v40
	s_waitcnt lgkmcnt(0)
	v_add_nc_u32_e32 v40, v40, v54
	global_store_byte v40, v39, s[46:47]
	s_or_b32 exec_lo, exec_lo, s22
	v_cmp_lt_u32_e64 s27, v55, v3
	s_and_saveexec_b32 s22, s27
	s_cbranch_execz .LBB194_195
.LBB194_267:                            ;   in Loop: Header=BB194_100 Depth=2
	ds_read_u8 v39, v0 offset:3072
	s_waitcnt lgkmcnt(0)
	v_lshrrev_b32_sdwa v40, s61, v39 dst_sel:DWORD dst_unused:UNUSED_PAD src0_sel:DWORD src1_sel:BYTE_0
	v_and_b32_e32 v40, s62, v40
	v_lshlrev_b32_e32 v40, 2, v40
	ds_read_b32 v40, v40
	s_waitcnt lgkmcnt(0)
	v_add_nc_u32_e32 v40, v40, v55
	global_store_byte v40, v39, s[46:47]
	s_or_b32 exec_lo, exec_lo, s22
	v_cmp_lt_u32_e64 s26, v56, v3
	s_and_saveexec_b32 s22, s26
	s_cbranch_execz .LBB194_196
.LBB194_268:                            ;   in Loop: Header=BB194_100 Depth=2
	ds_read_u8 v39, v0 offset:3328
	s_waitcnt lgkmcnt(0)
	v_lshrrev_b32_sdwa v40, s61, v39 dst_sel:DWORD dst_unused:UNUSED_PAD src0_sel:DWORD src1_sel:BYTE_0
	v_and_b32_e32 v40, s62, v40
	v_lshlrev_b32_e32 v40, 2, v40
	ds_read_b32 v40, v40
	s_waitcnt lgkmcnt(0)
	v_add_nc_u32_e32 v40, v40, v56
	global_store_byte v40, v39, s[46:47]
	s_or_b32 exec_lo, exec_lo, s22
	v_cmp_lt_u32_e64 s25, v57, v3
	s_and_saveexec_b32 s22, s25
	s_cbranch_execz .LBB194_197
.LBB194_269:                            ;   in Loop: Header=BB194_100 Depth=2
	ds_read_u8 v39, v0 offset:3584
	s_waitcnt lgkmcnt(0)
	v_lshrrev_b32_sdwa v40, s61, v39 dst_sel:DWORD dst_unused:UNUSED_PAD src0_sel:DWORD src1_sel:BYTE_0
	v_and_b32_e32 v40, s62, v40
	v_lshlrev_b32_e32 v40, 2, v40
	ds_read_b32 v40, v40
	s_waitcnt lgkmcnt(0)
	v_add_nc_u32_e32 v40, v40, v57
	global_store_byte v40, v39, s[46:47]
	s_or_b32 exec_lo, exec_lo, s22
	v_cmp_lt_u32_e64 s24, v58, v3
	s_and_saveexec_b32 s22, s24
	s_cbranch_execz .LBB194_198
.LBB194_270:                            ;   in Loop: Header=BB194_100 Depth=2
	ds_read_u8 v39, v0 offset:3840
	s_waitcnt lgkmcnt(0)
	v_lshrrev_b32_sdwa v40, s61, v39 dst_sel:DWORD dst_unused:UNUSED_PAD src0_sel:DWORD src1_sel:BYTE_0
	v_and_b32_e32 v40, s62, v40
	v_lshlrev_b32_e32 v40, 2, v40
	ds_read_b32 v40, v40
	s_waitcnt lgkmcnt(0)
	v_add_nc_u32_e32 v40, v40, v58
	global_store_byte v40, v39, s[46:47]
	s_or_b32 exec_lo, exec_lo, s22
	v_cmp_lt_u32_e64 s23, v59, v3
	s_and_saveexec_b32 s22, s23
	s_cbranch_execz .LBB194_199
.LBB194_271:                            ;   in Loop: Header=BB194_100 Depth=2
	ds_read_u8 v39, v0 offset:4096
	s_waitcnt lgkmcnt(0)
	v_lshrrev_b32_sdwa v40, s61, v39 dst_sel:DWORD dst_unused:UNUSED_PAD src0_sel:DWORD src1_sel:BYTE_0
	v_and_b32_e32 v40, s62, v40
	v_lshlrev_b32_e32 v40, 2, v40
	ds_read_b32 v40, v40
	s_waitcnt lgkmcnt(0)
	v_add_nc_u32_e32 v40, v40, v59
	global_store_byte v40, v39, s[46:47]
	s_or_b32 exec_lo, exec_lo, s22
	v_cmp_lt_u32_e64 s22, v60, v3
	s_and_saveexec_b32 s40, s22
	s_cbranch_execz .LBB194_200
.LBB194_272:                            ;   in Loop: Header=BB194_100 Depth=2
	ds_read_u8 v39, v0 offset:4352
	s_waitcnt lgkmcnt(0)
	v_lshrrev_b32_sdwa v40, s61, v39 dst_sel:DWORD dst_unused:UNUSED_PAD src0_sel:DWORD src1_sel:BYTE_0
	v_and_b32_e32 v40, s62, v40
	v_lshlrev_b32_e32 v40, 2, v40
	ds_read_b32 v40, v40
	s_waitcnt lgkmcnt(0)
	v_add_nc_u32_e32 v40, v40, v60
	global_store_byte v40, v39, s[46:47]
	s_or_b32 exec_lo, exec_lo, s40
	v_cmp_lt_u32_e32 vcc_lo, v61, v3
	s_and_saveexec_b32 s40, vcc_lo
	s_cbranch_execnz .LBB194_201
	s_branch .LBB194_202
.LBB194_273:                            ;   in Loop: Header=BB194_100 Depth=2
	global_load_dwordx2 v[37:38], v[39:40], off
	s_or_b32 exec_lo, exec_lo, s40
	s_mov_b32 s50, exec_lo
	v_cmpx_lt_u32_e64 v96, v3
	s_cbranch_execz .LBB194_204
.LBB194_274:                            ;   in Loop: Header=BB194_100 Depth=2
	global_load_dwordx2 v[35:36], v[39:40], off offset:256
	s_or_b32 exec_lo, exec_lo, s50
	s_mov_b32 s50, exec_lo
	v_cmpx_lt_u32_e64 v97, v3
	s_cbranch_execz .LBB194_205
.LBB194_275:                            ;   in Loop: Header=BB194_100 Depth=2
	global_load_dwordx2 v[33:34], v[39:40], off offset:512
	s_or_b32 exec_lo, exec_lo, s50
	s_mov_b32 s50, exec_lo
	v_cmpx_lt_u32_e64 v98, v3
	s_cbranch_execz .LBB194_206
.LBB194_276:                            ;   in Loop: Header=BB194_100 Depth=2
	global_load_dwordx2 v[31:32], v[39:40], off offset:768
	s_or_b32 exec_lo, exec_lo, s50
	s_mov_b32 s50, exec_lo
	v_cmpx_lt_u32_e64 v99, v3
	s_cbranch_execz .LBB194_207
.LBB194_277:                            ;   in Loop: Header=BB194_100 Depth=2
	global_load_dwordx2 v[29:30], v[39:40], off offset:1024
	s_or_b32 exec_lo, exec_lo, s50
	s_mov_b32 s50, exec_lo
	v_cmpx_lt_u32_e64 v100, v3
	s_cbranch_execz .LBB194_208
.LBB194_278:                            ;   in Loop: Header=BB194_100 Depth=2
	global_load_dwordx2 v[25:26], v[39:40], off offset:1280
	s_or_b32 exec_lo, exec_lo, s50
	s_mov_b32 s50, exec_lo
	v_cmpx_lt_u32_e64 v101, v3
	s_cbranch_execz .LBB194_209
.LBB194_279:                            ;   in Loop: Header=BB194_100 Depth=2
	global_load_dwordx2 v[21:22], v[39:40], off offset:1536
	s_or_b32 exec_lo, exec_lo, s50
	s_mov_b32 s50, exec_lo
	v_cmpx_lt_u32_e64 v102, v3
	s_cbranch_execz .LBB194_210
.LBB194_280:                            ;   in Loop: Header=BB194_100 Depth=2
	global_load_dwordx2 v[17:18], v[39:40], off offset:1792
	s_or_b32 exec_lo, exec_lo, s50
	s_mov_b32 s50, exec_lo
	v_cmpx_lt_u32_e64 v103, v3
	s_cbranch_execz .LBB194_211
.LBB194_281:                            ;   in Loop: Header=BB194_100 Depth=2
	v_add_co_u32 v27, s40, 0x800, v39
	v_add_co_ci_u32_e64 v28, null, 0, v40, s40
	global_load_dwordx2 v[27:28], v[27:28], off
	s_or_b32 exec_lo, exec_lo, s50
	s_mov_b32 s50, exec_lo
	v_cmpx_lt_u32_e64 v104, v3
	s_cbranch_execz .LBB194_212
.LBB194_282:                            ;   in Loop: Header=BB194_100 Depth=2
	v_add_co_u32 v23, s40, 0x800, v39
	v_add_co_ci_u32_e64 v24, null, 0, v40, s40
	global_load_dwordx2 v[23:24], v[23:24], off offset:256
	s_or_b32 exec_lo, exec_lo, s50
	s_mov_b32 s50, exec_lo
	v_cmpx_lt_u32_e64 v105, v3
	s_cbranch_execz .LBB194_213
.LBB194_283:                            ;   in Loop: Header=BB194_100 Depth=2
	v_add_co_u32 v19, s40, 0x800, v39
	v_add_co_ci_u32_e64 v20, null, 0, v40, s40
	global_load_dwordx2 v[19:20], v[19:20], off offset:512
	s_or_b32 exec_lo, exec_lo, s50
	s_mov_b32 s50, exec_lo
	v_cmpx_lt_u32_e64 v106, v3
	s_cbranch_execz .LBB194_214
.LBB194_284:                            ;   in Loop: Header=BB194_100 Depth=2
	v_add_co_u32 v15, s40, 0x800, v39
	v_add_co_ci_u32_e64 v16, null, 0, v40, s40
	global_load_dwordx2 v[15:16], v[15:16], off offset:768
	s_or_b32 exec_lo, exec_lo, s50
	s_mov_b32 s50, exec_lo
	v_cmpx_lt_u32_e64 v107, v3
	s_cbranch_execz .LBB194_215
.LBB194_285:                            ;   in Loop: Header=BB194_100 Depth=2
	v_add_co_u32 v13, s40, 0x800, v39
	v_add_co_ci_u32_e64 v14, null, 0, v40, s40
	global_load_dwordx2 v[13:14], v[13:14], off offset:1024
	s_or_b32 exec_lo, exec_lo, s50
	s_mov_b32 s50, exec_lo
	v_cmpx_lt_u32_e64 v108, v3
	s_cbranch_execz .LBB194_216
.LBB194_286:                            ;   in Loop: Header=BB194_100 Depth=2
	v_add_co_u32 v11, s40, 0x800, v39
	v_add_co_ci_u32_e64 v12, null, 0, v40, s40
	global_load_dwordx2 v[11:12], v[11:12], off offset:1280
	s_or_b32 exec_lo, exec_lo, s50
	s_mov_b32 s50, exec_lo
	v_cmpx_lt_u32_e64 v109, v3
	s_cbranch_execz .LBB194_217
.LBB194_287:                            ;   in Loop: Header=BB194_100 Depth=2
	v_add_co_u32 v9, s40, 0x800, v39
	v_add_co_ci_u32_e64 v10, null, 0, v40, s40
	global_load_dwordx2 v[9:10], v[9:10], off offset:1536
	s_or_b32 exec_lo, exec_lo, s50
	s_mov_b32 s50, exec_lo
	v_cmpx_lt_u32_e64 v110, v3
	s_cbranch_execz .LBB194_218
.LBB194_288:                            ;   in Loop: Header=BB194_100 Depth=2
	v_add_co_u32 v7, s40, 0x800, v39
	v_add_co_ci_u32_e64 v8, null, 0, v40, s40
	global_load_dwordx2 v[7:8], v[7:8], off offset:1792
	s_or_b32 exec_lo, exec_lo, s50
	s_mov_b32 s50, exec_lo
	v_cmpx_lt_u32_e64 v111, v3
	s_cbranch_execz .LBB194_219
.LBB194_289:                            ;   in Loop: Header=BB194_100 Depth=2
	v_add_co_u32 v5, s40, 0x1000, v39
	v_add_co_ci_u32_e64 v6, null, 0, v40, s40
	global_load_dwordx2 v[5:6], v[5:6], off
	s_or_b32 exec_lo, exec_lo, s50
	s_and_saveexec_b32 s40, s39
	s_cbranch_execz .LBB194_220
.LBB194_290:                            ;   in Loop: Header=BB194_100 Depth=2
	ds_read_u8 v3, v0 offset:512
	s_waitcnt lgkmcnt(0)
	v_lshrrev_b32_e32 v3, s61, v3
	v_and_b32_e32 v129, s62, v3
	s_or_b32 exec_lo, exec_lo, s40
	s_and_saveexec_b32 s40, s38
	s_cbranch_execz .LBB194_221
.LBB194_291:                            ;   in Loop: Header=BB194_100 Depth=2
	ds_read_u8 v3, v0 offset:768
	s_waitcnt lgkmcnt(0)
	v_lshrrev_b32_e32 v3, s61, v3
	v_and_b32_e32 v128, s62, v3
	s_or_b32 exec_lo, exec_lo, s40
	s_and_saveexec_b32 s40, s37
	s_cbranch_execz .LBB194_222
.LBB194_292:                            ;   in Loop: Header=BB194_100 Depth=2
	ds_read_u8 v3, v0 offset:1024
	s_waitcnt lgkmcnt(0)
	v_lshrrev_b32_e32 v3, s61, v3
	v_and_b32_e32 v127, s62, v3
	s_or_b32 exec_lo, exec_lo, s40
	s_and_saveexec_b32 s40, s36
	s_cbranch_execz .LBB194_223
.LBB194_293:                            ;   in Loop: Header=BB194_100 Depth=2
	ds_read_u8 v3, v0 offset:1280
	s_waitcnt lgkmcnt(0)
	v_lshrrev_b32_e32 v3, s61, v3
	v_and_b32_e32 v126, s62, v3
	s_or_b32 exec_lo, exec_lo, s40
	s_and_saveexec_b32 s40, s35
	s_cbranch_execz .LBB194_224
.LBB194_294:                            ;   in Loop: Header=BB194_100 Depth=2
	ds_read_u8 v3, v0 offset:1536
	s_waitcnt lgkmcnt(0)
	v_lshrrev_b32_e32 v3, s61, v3
	v_and_b32_e32 v125, s62, v3
	s_or_b32 exec_lo, exec_lo, s40
	s_and_saveexec_b32 s40, s34
	s_cbranch_execz .LBB194_225
.LBB194_295:                            ;   in Loop: Header=BB194_100 Depth=2
	ds_read_u8 v3, v0 offset:1792
	s_waitcnt lgkmcnt(0)
	v_lshrrev_b32_e32 v3, s61, v3
	v_and_b32_e32 v124, s62, v3
	s_or_b32 exec_lo, exec_lo, s40
	s_and_saveexec_b32 s40, s33
	s_cbranch_execz .LBB194_226
.LBB194_296:                            ;   in Loop: Header=BB194_100 Depth=2
	ds_read_u8 v3, v0 offset:2048
	s_waitcnt lgkmcnt(0)
	v_lshrrev_b32_e32 v3, s61, v3
	v_and_b32_e32 v123, s62, v3
	s_or_b32 exec_lo, exec_lo, s40
	s_and_saveexec_b32 s40, s31
	s_cbranch_execz .LBB194_227
.LBB194_297:                            ;   in Loop: Header=BB194_100 Depth=2
	ds_read_u8 v3, v0 offset:2304
	s_waitcnt lgkmcnt(0)
	v_lshrrev_b32_e32 v3, s61, v3
	v_and_b32_e32 v122, s62, v3
	s_or_b32 exec_lo, exec_lo, s40
	s_and_saveexec_b32 s40, s30
	s_cbranch_execz .LBB194_228
.LBB194_298:                            ;   in Loop: Header=BB194_100 Depth=2
	ds_read_u8 v3, v0 offset:2560
	s_waitcnt lgkmcnt(0)
	v_lshrrev_b32_e32 v3, s61, v3
	v_and_b32_e32 v121, s62, v3
	s_or_b32 exec_lo, exec_lo, s40
	s_and_saveexec_b32 s40, s29
	s_cbranch_execz .LBB194_229
.LBB194_299:                            ;   in Loop: Header=BB194_100 Depth=2
	ds_read_u8 v3, v0 offset:2816
	s_waitcnt lgkmcnt(0)
	v_lshrrev_b32_e32 v3, s61, v3
	v_and_b32_e32 v120, s62, v3
	s_or_b32 exec_lo, exec_lo, s40
	s_and_saveexec_b32 s40, s27
	s_cbranch_execz .LBB194_230
.LBB194_300:                            ;   in Loop: Header=BB194_100 Depth=2
	ds_read_u8 v3, v0 offset:3072
	s_waitcnt lgkmcnt(0)
	v_lshrrev_b32_e32 v3, s61, v3
	v_and_b32_e32 v119, s62, v3
	s_or_b32 exec_lo, exec_lo, s40
	s_and_saveexec_b32 s40, s26
	s_cbranch_execz .LBB194_231
.LBB194_301:                            ;   in Loop: Header=BB194_100 Depth=2
	ds_read_u8 v3, v0 offset:3328
	s_waitcnt lgkmcnt(0)
	v_lshrrev_b32_e32 v3, s61, v3
	v_and_b32_e32 v118, s62, v3
	s_or_b32 exec_lo, exec_lo, s40
	s_and_saveexec_b32 s40, s25
	s_cbranch_execz .LBB194_232
.LBB194_302:                            ;   in Loop: Header=BB194_100 Depth=2
	ds_read_u8 v3, v0 offset:3584
	s_waitcnt lgkmcnt(0)
	v_lshrrev_b32_e32 v3, s61, v3
	v_and_b32_e32 v117, s62, v3
	s_or_b32 exec_lo, exec_lo, s40
	s_and_saveexec_b32 s40, s24
	s_cbranch_execz .LBB194_233
.LBB194_303:                            ;   in Loop: Header=BB194_100 Depth=2
	ds_read_u8 v3, v0 offset:3840
	s_waitcnt lgkmcnt(0)
	v_lshrrev_b32_e32 v3, s61, v3
	v_and_b32_e32 v116, s62, v3
	s_or_b32 exec_lo, exec_lo, s40
	s_and_saveexec_b32 s40, s23
	s_cbranch_execz .LBB194_234
.LBB194_304:                            ;   in Loop: Header=BB194_100 Depth=2
	ds_read_u8 v3, v0 offset:4096
	s_waitcnt lgkmcnt(0)
	v_lshrrev_b32_e32 v3, s61, v3
	v_and_b32_e32 v115, s62, v3
	s_or_b32 exec_lo, exec_lo, s40
	s_and_saveexec_b32 s40, s22
	s_cbranch_execz .LBB194_235
.LBB194_305:                            ;   in Loop: Header=BB194_100 Depth=2
	ds_read_u8 v3, v0 offset:4352
	s_waitcnt lgkmcnt(0)
	v_lshrrev_b32_e32 v3, s61, v3
	v_and_b32_e32 v114, s62, v3
	s_or_b32 exec_lo, exec_lo, s40
	s_and_saveexec_b32 s40, vcc_lo
	s_cbranch_execnz .LBB194_236
	s_branch .LBB194_237
.LBB194_306:                            ;   in Loop: Header=BB194_100 Depth=2
	v_lshlrev_b32_e32 v3, 2, v129
	v_add_nc_u32_e32 v39, v0, v75
	ds_read_b32 v3, v3
	ds_read_b64 v[39:40], v39 offset:512
	s_waitcnt lgkmcnt(1)
	v_add_nc_u32_e32 v3, v3, v0
	v_lshlrev_b64 v[41:42], 3, v[3:4]
	v_add_co_u32 v41, s39, s52, v41
	v_add_co_ci_u32_e64 v42, null, s53, v42, s39
	s_waitcnt lgkmcnt(0)
	global_store_dwordx2 v[41:42], v[39:40], off
	s_or_b32 exec_lo, exec_lo, s40
	s_and_saveexec_b32 s39, s38
	s_cbranch_execz .LBB194_239
.LBB194_307:                            ;   in Loop: Header=BB194_100 Depth=2
	v_lshlrev_b32_e32 v3, 2, v128
	v_add_nc_u32_e32 v39, v0, v75
	ds_read_b32 v3, v3
	ds_read_b64 v[39:40], v39 offset:2560
	s_waitcnt lgkmcnt(1)
	v_add_nc_u32_e32 v3, v3, v44
	v_lshlrev_b64 v[41:42], 3, v[3:4]
	v_add_co_u32 v41, s38, s52, v41
	v_add_co_ci_u32_e64 v42, null, s53, v42, s38
	s_waitcnt lgkmcnt(0)
	global_store_dwordx2 v[41:42], v[39:40], off
	s_or_b32 exec_lo, exec_lo, s39
	s_and_saveexec_b32 s38, s37
	s_cbranch_execz .LBB194_240
.LBB194_308:                            ;   in Loop: Header=BB194_100 Depth=2
	v_lshlrev_b32_e32 v3, 2, v127
	v_add_nc_u32_e32 v39, v0, v75
	ds_read_b32 v3, v3
	ds_read_b64 v[39:40], v39 offset:4608
	s_waitcnt lgkmcnt(1)
	v_add_nc_u32_e32 v3, v3, v47
	v_lshlrev_b64 v[41:42], 3, v[3:4]
	v_add_co_u32 v41, s37, s52, v41
	v_add_co_ci_u32_e64 v42, null, s53, v42, s37
	s_waitcnt lgkmcnt(0)
	global_store_dwordx2 v[41:42], v[39:40], off
	s_or_b32 exec_lo, exec_lo, s38
	s_and_saveexec_b32 s37, s36
	s_cbranch_execz .LBB194_241
.LBB194_309:                            ;   in Loop: Header=BB194_100 Depth=2
	v_lshlrev_b32_e32 v3, 2, v126
	v_add_nc_u32_e32 v39, v0, v75
	ds_read_b32 v3, v3
	ds_read_b64 v[39:40], v39 offset:6656
	s_waitcnt lgkmcnt(1)
	v_add_nc_u32_e32 v3, v3, v48
	v_lshlrev_b64 v[41:42], 3, v[3:4]
	v_add_co_u32 v41, s36, s52, v41
	v_add_co_ci_u32_e64 v42, null, s53, v42, s36
	s_waitcnt lgkmcnt(0)
	global_store_dwordx2 v[41:42], v[39:40], off
	s_or_b32 exec_lo, exec_lo, s37
	s_and_saveexec_b32 s36, s35
	s_cbranch_execz .LBB194_242
.LBB194_310:                            ;   in Loop: Header=BB194_100 Depth=2
	v_lshlrev_b32_e32 v3, 2, v125
	v_add_nc_u32_e32 v39, v0, v75
	ds_read_b32 v3, v3
	ds_read_b64 v[39:40], v39 offset:8704
	s_waitcnt lgkmcnt(1)
	v_add_nc_u32_e32 v3, v3, v49
	v_lshlrev_b64 v[41:42], 3, v[3:4]
	v_add_co_u32 v41, s35, s52, v41
	v_add_co_ci_u32_e64 v42, null, s53, v42, s35
	s_waitcnt lgkmcnt(0)
	global_store_dwordx2 v[41:42], v[39:40], off
	s_or_b32 exec_lo, exec_lo, s36
	s_and_saveexec_b32 s35, s34
	s_cbranch_execz .LBB194_243
.LBB194_311:                            ;   in Loop: Header=BB194_100 Depth=2
	v_lshlrev_b32_e32 v3, 2, v124
	v_add_nc_u32_e32 v39, v0, v75
	ds_read_b32 v3, v3
	ds_read_b64 v[39:40], v39 offset:10752
	s_waitcnt lgkmcnt(1)
	v_add_nc_u32_e32 v3, v3, v50
	v_lshlrev_b64 v[41:42], 3, v[3:4]
	v_add_co_u32 v41, s34, s52, v41
	v_add_co_ci_u32_e64 v42, null, s53, v42, s34
	s_waitcnt lgkmcnt(0)
	global_store_dwordx2 v[41:42], v[39:40], off
	s_or_b32 exec_lo, exec_lo, s35
	s_and_saveexec_b32 s34, s33
	s_cbranch_execz .LBB194_244
.LBB194_312:                            ;   in Loop: Header=BB194_100 Depth=2
	v_lshlrev_b32_e32 v3, 2, v123
	v_add_nc_u32_e32 v39, v0, v75
	ds_read_b32 v3, v3
	ds_read_b64 v[39:40], v39 offset:12800
	s_waitcnt lgkmcnt(1)
	v_add_nc_u32_e32 v3, v3, v51
	v_lshlrev_b64 v[41:42], 3, v[3:4]
	v_add_co_u32 v41, s33, s52, v41
	v_add_co_ci_u32_e64 v42, null, s53, v42, s33
	s_waitcnt lgkmcnt(0)
	global_store_dwordx2 v[41:42], v[39:40], off
	s_or_b32 exec_lo, exec_lo, s34
	s_and_saveexec_b32 s33, s31
	s_cbranch_execz .LBB194_245
.LBB194_313:                            ;   in Loop: Header=BB194_100 Depth=2
	v_lshlrev_b32_e32 v3, 2, v122
	v_add_nc_u32_e32 v39, v0, v75
	ds_read_b32 v3, v3
	ds_read_b64 v[39:40], v39 offset:14848
	s_waitcnt lgkmcnt(1)
	v_add_nc_u32_e32 v3, v3, v52
	v_lshlrev_b64 v[41:42], 3, v[3:4]
	v_add_co_u32 v41, s31, s52, v41
	v_add_co_ci_u32_e64 v42, null, s53, v42, s31
	s_waitcnt lgkmcnt(0)
	global_store_dwordx2 v[41:42], v[39:40], off
	s_or_b32 exec_lo, exec_lo, s33
	s_and_saveexec_b32 s31, s30
	s_cbranch_execz .LBB194_246
.LBB194_314:                            ;   in Loop: Header=BB194_100 Depth=2
	v_lshlrev_b32_e32 v3, 2, v121
	v_add_nc_u32_e32 v39, v0, v75
	ds_read_b32 v3, v3
	ds_read_b64 v[39:40], v39 offset:16896
	s_waitcnt lgkmcnt(1)
	v_add_nc_u32_e32 v3, v3, v53
	v_lshlrev_b64 v[41:42], 3, v[3:4]
	v_add_co_u32 v41, s30, s52, v41
	v_add_co_ci_u32_e64 v42, null, s53, v42, s30
	s_waitcnt lgkmcnt(0)
	global_store_dwordx2 v[41:42], v[39:40], off
	s_or_b32 exec_lo, exec_lo, s31
	s_and_saveexec_b32 s30, s29
	s_cbranch_execz .LBB194_247
.LBB194_315:                            ;   in Loop: Header=BB194_100 Depth=2
	v_lshlrev_b32_e32 v3, 2, v120
	v_add_nc_u32_e32 v39, v0, v75
	ds_read_b32 v3, v3
	ds_read_b64 v[39:40], v39 offset:18944
	s_waitcnt lgkmcnt(1)
	v_add_nc_u32_e32 v3, v3, v54
	v_lshlrev_b64 v[41:42], 3, v[3:4]
	v_add_co_u32 v41, s29, s52, v41
	v_add_co_ci_u32_e64 v42, null, s53, v42, s29
	s_waitcnt lgkmcnt(0)
	global_store_dwordx2 v[41:42], v[39:40], off
	s_or_b32 exec_lo, exec_lo, s30
	s_and_saveexec_b32 s29, s27
	s_cbranch_execz .LBB194_248
.LBB194_316:                            ;   in Loop: Header=BB194_100 Depth=2
	v_lshlrev_b32_e32 v3, 2, v119
	v_add_nc_u32_e32 v39, v0, v75
	ds_read_b32 v3, v3
	ds_read_b64 v[39:40], v39 offset:20992
	s_waitcnt lgkmcnt(1)
	v_add_nc_u32_e32 v3, v3, v55
	v_lshlrev_b64 v[41:42], 3, v[3:4]
	v_add_co_u32 v41, s27, s52, v41
	v_add_co_ci_u32_e64 v42, null, s53, v42, s27
	s_waitcnt lgkmcnt(0)
	global_store_dwordx2 v[41:42], v[39:40], off
	s_or_b32 exec_lo, exec_lo, s29
	s_and_saveexec_b32 s27, s26
	s_cbranch_execz .LBB194_249
.LBB194_317:                            ;   in Loop: Header=BB194_100 Depth=2
	v_lshlrev_b32_e32 v3, 2, v118
	v_add_nc_u32_e32 v39, v0, v75
	ds_read_b32 v3, v3
	ds_read_b64 v[39:40], v39 offset:23040
	s_waitcnt lgkmcnt(1)
	v_add_nc_u32_e32 v3, v3, v56
	v_lshlrev_b64 v[41:42], 3, v[3:4]
	v_add_co_u32 v41, s26, s52, v41
	v_add_co_ci_u32_e64 v42, null, s53, v42, s26
	s_waitcnt lgkmcnt(0)
	global_store_dwordx2 v[41:42], v[39:40], off
	s_or_b32 exec_lo, exec_lo, s27
	s_and_saveexec_b32 s26, s25
	s_cbranch_execz .LBB194_250
.LBB194_318:                            ;   in Loop: Header=BB194_100 Depth=2
	v_lshlrev_b32_e32 v3, 2, v117
	v_add_nc_u32_e32 v39, v0, v75
	ds_read_b32 v3, v3
	ds_read_b64 v[39:40], v39 offset:25088
	s_waitcnt lgkmcnt(1)
	v_add_nc_u32_e32 v3, v3, v57
	v_lshlrev_b64 v[41:42], 3, v[3:4]
	v_add_co_u32 v41, s25, s52, v41
	v_add_co_ci_u32_e64 v42, null, s53, v42, s25
	s_waitcnt lgkmcnt(0)
	global_store_dwordx2 v[41:42], v[39:40], off
	s_or_b32 exec_lo, exec_lo, s26
	s_and_saveexec_b32 s25, s24
	s_cbranch_execz .LBB194_251
.LBB194_319:                            ;   in Loop: Header=BB194_100 Depth=2
	v_lshlrev_b32_e32 v3, 2, v116
	v_add_nc_u32_e32 v39, v0, v75
	ds_read_b32 v3, v3
	ds_read_b64 v[39:40], v39 offset:27136
	s_waitcnt lgkmcnt(1)
	v_add_nc_u32_e32 v3, v3, v58
	v_lshlrev_b64 v[41:42], 3, v[3:4]
	v_add_co_u32 v41, s24, s52, v41
	v_add_co_ci_u32_e64 v42, null, s53, v42, s24
	s_waitcnt lgkmcnt(0)
	global_store_dwordx2 v[41:42], v[39:40], off
	s_or_b32 exec_lo, exec_lo, s25
	s_and_saveexec_b32 s24, s23
	s_cbranch_execz .LBB194_252
.LBB194_320:                            ;   in Loop: Header=BB194_100 Depth=2
	v_lshlrev_b32_e32 v3, 2, v115
	v_add_nc_u32_e32 v39, v0, v75
	ds_read_b32 v3, v3
	ds_read_b64 v[39:40], v39 offset:29184
	s_waitcnt lgkmcnt(1)
	v_add_nc_u32_e32 v3, v3, v59
	v_lshlrev_b64 v[41:42], 3, v[3:4]
	v_add_co_u32 v41, s23, s52, v41
	v_add_co_ci_u32_e64 v42, null, s53, v42, s23
	s_waitcnt lgkmcnt(0)
	global_store_dwordx2 v[41:42], v[39:40], off
	s_or_b32 exec_lo, exec_lo, s24
	s_and_saveexec_b32 s23, s22
	s_cbranch_execz .LBB194_253
.LBB194_321:                            ;   in Loop: Header=BB194_100 Depth=2
	v_lshlrev_b32_e32 v3, 2, v114
	v_add_nc_u32_e32 v39, v0, v75
	ds_read_b32 v3, v3
	ds_read_b64 v[39:40], v39 offset:31232
	s_waitcnt lgkmcnt(1)
	v_add_nc_u32_e32 v3, v3, v60
	v_lshlrev_b64 v[41:42], 3, v[3:4]
	v_add_co_u32 v41, s22, s52, v41
	v_add_co_ci_u32_e64 v42, null, s53, v42, s22
	s_waitcnt lgkmcnt(0)
	global_store_dwordx2 v[41:42], v[39:40], off
	s_or_b32 exec_lo, exec_lo, s23
	s_and_saveexec_b32 s22, vcc_lo
	s_cbranch_execnz .LBB194_254
	s_branch .LBB194_255
.LBB194_322:                            ;   in Loop: Header=BB194_12 Depth=1
	s_waitcnt lgkmcnt(0)
	s_mov_b32 s5, 0
	s_barrier
.LBB194_323:                            ;   in Loop: Header=BB194_12 Depth=1
	s_and_b32 vcc_lo, exec_lo, s5
	s_cbranch_vccz .LBB194_633
; %bb.324:                              ;   in Loop: Header=BB194_12 Depth=1
	v_mov_b32_e32 v17, 0
	v_mov_b32_e32 v20, 0
	;; [unrolled: 1-line block ×17, first 2 shown]
	s_mov_b32 s5, s60
	s_mov_b32 s16, s58
	s_barrier
	buffer_gl0_inv
	s_branch .LBB194_326
.LBB194_325:                            ;   in Loop: Header=BB194_326 Depth=2
	s_or_b32 exec_lo, exec_lo, s15
	s_addk_i32 s5, 0xef00
	s_cmp_ge_u32 s14, s59
	s_mov_b32 s16, s14
	s_cbranch_scc1 .LBB194_398
.LBB194_326:                            ;   Parent Loop BB194_12 Depth=1
                                        ; =>  This Inner Loop Header: Depth=2
	s_add_i32 s14, s16, 0x1100
	s_mov_b32 s15, -1
	s_cmp_gt_u32 s14, s59
                                        ; implicit-def: $vgpr21
                                        ; implicit-def: $vgpr22
                                        ; implicit-def: $vgpr23
                                        ; implicit-def: $vgpr24
                                        ; implicit-def: $vgpr25
                                        ; implicit-def: $vgpr26
                                        ; implicit-def: $vgpr27
                                        ; implicit-def: $vgpr28
                                        ; implicit-def: $vgpr29
                                        ; implicit-def: $vgpr30
                                        ; implicit-def: $vgpr31
                                        ; implicit-def: $vgpr32
                                        ; implicit-def: $vgpr33
                                        ; implicit-def: $vgpr34
                                        ; implicit-def: $vgpr35
                                        ; implicit-def: $vgpr36
                                        ; implicit-def: $vgpr37
	s_cbranch_scc1 .LBB194_328
; %bb.327:                              ;   in Loop: Header=BB194_326 Depth=2
	v_add_co_u32 v38, vcc_lo, v76, s16
	v_add_co_ci_u32_e64 v39, null, 0, v77, vcc_lo
	s_mov_b32 s15, 0
	v_add_co_u32 v21, vcc_lo, 0x800, v38
	v_add_co_ci_u32_e64 v22, null, 0, v39, vcc_lo
	v_add_co_u32 v23, vcc_lo, 0x1000, v38
	v_add_co_ci_u32_e64 v24, null, 0, v39, vcc_lo
	s_clause 0x10
	global_load_ubyte v36, v[21:22], off offset:1792
	global_load_ubyte v37, v[23:24], off
	global_load_ubyte v35, v[21:22], off offset:1536
	global_load_ubyte v34, v[21:22], off offset:1280
	;; [unrolled: 1-line block ×6, first 2 shown]
	global_load_ubyte v29, v[21:22], off
	global_load_ubyte v28, v[38:39], off offset:1792
	global_load_ubyte v27, v[38:39], off offset:1536
	;; [unrolled: 1-line block ×7, first 2 shown]
	global_load_ubyte v21, v[38:39], off
.LBB194_328:                            ;   in Loop: Header=BB194_326 Depth=2
	s_andn2_b32 vcc_lo, exec_lo, s15
	s_movk_i32 s15, 0x1100
	s_cbranch_vccnz .LBB194_348
; %bb.329:                              ;   in Loop: Header=BB194_326 Depth=2
	s_add_u32 s15, s46, s16
	s_addc_u32 s16, s47, 0
	s_mov_b32 s17, exec_lo
	v_cmpx_gt_u32_e64 s5, v0
	s_cbranch_execnz .LBB194_382
; %bb.330:                              ;   in Loop: Header=BB194_326 Depth=2
	s_or_b32 exec_lo, exec_lo, s17
	s_mov_b32 s17, exec_lo
	v_cmpx_gt_u32_e64 s5, v44
	s_cbranch_execnz .LBB194_383
.LBB194_331:                            ;   in Loop: Header=BB194_326 Depth=2
	s_or_b32 exec_lo, exec_lo, s17
	s_mov_b32 s17, exec_lo
	v_cmpx_gt_u32_e64 s5, v47
	s_cbranch_execnz .LBB194_384
.LBB194_332:                            ;   in Loop: Header=BB194_326 Depth=2
	s_or_b32 exec_lo, exec_lo, s17
	s_mov_b32 s17, exec_lo
	v_cmpx_gt_u32_e64 s5, v48
	s_cbranch_execnz .LBB194_385
.LBB194_333:                            ;   in Loop: Header=BB194_326 Depth=2
	s_or_b32 exec_lo, exec_lo, s17
	s_mov_b32 s17, exec_lo
	v_cmpx_gt_u32_e64 s5, v49
	s_cbranch_execnz .LBB194_386
.LBB194_334:                            ;   in Loop: Header=BB194_326 Depth=2
	s_or_b32 exec_lo, exec_lo, s17
	s_mov_b32 s17, exec_lo
	v_cmpx_gt_u32_e64 s5, v50
	s_cbranch_execnz .LBB194_387
.LBB194_335:                            ;   in Loop: Header=BB194_326 Depth=2
	s_or_b32 exec_lo, exec_lo, s17
	s_mov_b32 s17, exec_lo
	v_cmpx_gt_u32_e64 s5, v51
	s_cbranch_execnz .LBB194_388
.LBB194_336:                            ;   in Loop: Header=BB194_326 Depth=2
	s_or_b32 exec_lo, exec_lo, s17
	s_mov_b32 s17, exec_lo
	v_cmpx_gt_u32_e64 s5, v52
	s_cbranch_execnz .LBB194_389
.LBB194_337:                            ;   in Loop: Header=BB194_326 Depth=2
	s_or_b32 exec_lo, exec_lo, s17
	s_mov_b32 s17, exec_lo
	v_cmpx_gt_u32_e64 s5, v53
	s_cbranch_execnz .LBB194_390
.LBB194_338:                            ;   in Loop: Header=BB194_326 Depth=2
	s_or_b32 exec_lo, exec_lo, s17
	s_mov_b32 s17, exec_lo
	v_cmpx_gt_u32_e64 s5, v54
	s_cbranch_execnz .LBB194_391
.LBB194_339:                            ;   in Loop: Header=BB194_326 Depth=2
	s_or_b32 exec_lo, exec_lo, s17
	s_mov_b32 s17, exec_lo
	v_cmpx_gt_u32_e64 s5, v55
	s_cbranch_execnz .LBB194_392
.LBB194_340:                            ;   in Loop: Header=BB194_326 Depth=2
	s_or_b32 exec_lo, exec_lo, s17
	s_mov_b32 s17, exec_lo
	v_cmpx_gt_u32_e64 s5, v56
	s_cbranch_execnz .LBB194_393
.LBB194_341:                            ;   in Loop: Header=BB194_326 Depth=2
	s_or_b32 exec_lo, exec_lo, s17
	s_mov_b32 s17, exec_lo
	v_cmpx_gt_u32_e64 s5, v57
	s_cbranch_execnz .LBB194_394
.LBB194_342:                            ;   in Loop: Header=BB194_326 Depth=2
	s_or_b32 exec_lo, exec_lo, s17
	s_mov_b32 s17, exec_lo
	v_cmpx_gt_u32_e64 s5, v58
	s_cbranch_execnz .LBB194_395
.LBB194_343:                            ;   in Loop: Header=BB194_326 Depth=2
	s_or_b32 exec_lo, exec_lo, s17
	s_mov_b32 s17, exec_lo
	v_cmpx_gt_u32_e64 s5, v59
	s_cbranch_execnz .LBB194_396
.LBB194_344:                            ;   in Loop: Header=BB194_326 Depth=2
	s_or_b32 exec_lo, exec_lo, s17
	s_mov_b32 s17, exec_lo
	v_cmpx_gt_u32_e64 s5, v60
	s_cbranch_execnz .LBB194_397
.LBB194_345:                            ;   in Loop: Header=BB194_326 Depth=2
	s_or_b32 exec_lo, exec_lo, s17
	s_mov_b32 s17, exec_lo
	v_cmpx_gt_u32_e64 s5, v61
	s_cbranch_execz .LBB194_347
.LBB194_346:                            ;   in Loop: Header=BB194_326 Depth=2
	s_waitcnt vmcnt(0)
	v_add_co_u32 v21, s15, s15, v61
	v_add_co_ci_u32_e64 v22, null, s16, 0, s15
	global_load_ubyte v3, v[21:22], off
.LBB194_347:                            ;   in Loop: Header=BB194_326 Depth=2
	s_or_b32 exec_lo, exec_lo, s17
	s_waitcnt vmcnt(0)
	v_mov_b32_e32 v21, v17
	v_mov_b32_e32 v22, v20
	;; [unrolled: 1-line block ×17, first 2 shown]
	s_mov_b32 s15, s5
.LBB194_348:                            ;   in Loop: Header=BB194_326 Depth=2
	s_waitcnt vmcnt(15)
	v_mov_b32_e32 v3, v37
	v_mov_b32_e32 v5, v36
	s_waitcnt vmcnt(14)
	v_mov_b32_e32 v6, v35
	s_waitcnt vmcnt(13)
	;; [unrolled: 2-line block ×15, first 2 shown]
	v_mov_b32_e32 v17, v21
	s_mov_b32 s16, exec_lo
	v_cmpx_gt_u32_e64 s15, v0
	s_cbranch_execnz .LBB194_365
; %bb.349:                              ;   in Loop: Header=BB194_326 Depth=2
	s_or_b32 exec_lo, exec_lo, s16
	s_mov_b32 s16, exec_lo
	v_cmpx_gt_u32_e64 s15, v44
	s_cbranch_execnz .LBB194_366
.LBB194_350:                            ;   in Loop: Header=BB194_326 Depth=2
	s_or_b32 exec_lo, exec_lo, s16
	s_mov_b32 s16, exec_lo
	v_cmpx_gt_u32_e64 s15, v47
	s_cbranch_execnz .LBB194_367
.LBB194_351:                            ;   in Loop: Header=BB194_326 Depth=2
	s_or_b32 exec_lo, exec_lo, s16
	s_mov_b32 s16, exec_lo
	v_cmpx_gt_u32_e64 s15, v48
	s_cbranch_execnz .LBB194_368
.LBB194_352:                            ;   in Loop: Header=BB194_326 Depth=2
	s_or_b32 exec_lo, exec_lo, s16
	s_mov_b32 s16, exec_lo
	v_cmpx_gt_u32_e64 s15, v49
	s_cbranch_execnz .LBB194_369
.LBB194_353:                            ;   in Loop: Header=BB194_326 Depth=2
	s_or_b32 exec_lo, exec_lo, s16
	s_mov_b32 s16, exec_lo
	v_cmpx_gt_u32_e64 s15, v50
	s_cbranch_execnz .LBB194_370
.LBB194_354:                            ;   in Loop: Header=BB194_326 Depth=2
	s_or_b32 exec_lo, exec_lo, s16
	s_mov_b32 s16, exec_lo
	v_cmpx_gt_u32_e64 s15, v51
	s_cbranch_execnz .LBB194_371
.LBB194_355:                            ;   in Loop: Header=BB194_326 Depth=2
	s_or_b32 exec_lo, exec_lo, s16
	s_mov_b32 s16, exec_lo
	v_cmpx_gt_u32_e64 s15, v52
	s_cbranch_execnz .LBB194_372
.LBB194_356:                            ;   in Loop: Header=BB194_326 Depth=2
	s_or_b32 exec_lo, exec_lo, s16
	s_mov_b32 s16, exec_lo
	v_cmpx_gt_u32_e64 s15, v53
	s_cbranch_execnz .LBB194_373
.LBB194_357:                            ;   in Loop: Header=BB194_326 Depth=2
	s_or_b32 exec_lo, exec_lo, s16
	s_mov_b32 s16, exec_lo
	v_cmpx_gt_u32_e64 s15, v54
	s_cbranch_execnz .LBB194_374
.LBB194_358:                            ;   in Loop: Header=BB194_326 Depth=2
	s_or_b32 exec_lo, exec_lo, s16
	s_mov_b32 s16, exec_lo
	v_cmpx_gt_u32_e64 s15, v55
	s_cbranch_execnz .LBB194_375
.LBB194_359:                            ;   in Loop: Header=BB194_326 Depth=2
	s_or_b32 exec_lo, exec_lo, s16
	s_mov_b32 s16, exec_lo
	v_cmpx_gt_u32_e64 s15, v56
	s_cbranch_execnz .LBB194_376
.LBB194_360:                            ;   in Loop: Header=BB194_326 Depth=2
	s_or_b32 exec_lo, exec_lo, s16
	s_mov_b32 s16, exec_lo
	v_cmpx_gt_u32_e64 s15, v57
	s_cbranch_execnz .LBB194_377
.LBB194_361:                            ;   in Loop: Header=BB194_326 Depth=2
	s_or_b32 exec_lo, exec_lo, s16
	s_mov_b32 s16, exec_lo
	v_cmpx_gt_u32_e64 s15, v58
	s_cbranch_execnz .LBB194_378
.LBB194_362:                            ;   in Loop: Header=BB194_326 Depth=2
	s_or_b32 exec_lo, exec_lo, s16
	s_mov_b32 s16, exec_lo
	v_cmpx_gt_u32_e64 s15, v59
	s_cbranch_execnz .LBB194_379
.LBB194_363:                            ;   in Loop: Header=BB194_326 Depth=2
	s_or_b32 exec_lo, exec_lo, s16
	s_mov_b32 s16, exec_lo
	v_cmpx_gt_u32_e64 s15, v60
	s_cbranch_execnz .LBB194_380
.LBB194_364:                            ;   in Loop: Header=BB194_326 Depth=2
	s_or_b32 exec_lo, exec_lo, s16
	v_cmp_gt_u32_e32 vcc_lo, s15, v61
	s_and_saveexec_b32 s15, vcc_lo
	s_cbranch_execz .LBB194_325
	s_branch .LBB194_381
.LBB194_365:                            ;   in Loop: Header=BB194_326 Depth=2
	v_lshrrev_b32_sdwa v21, s61, v17 dst_sel:DWORD dst_unused:UNUSED_PAD src0_sel:DWORD src1_sel:BYTE_0
	v_and_b32_e32 v21, s62, v21
	v_lshl_or_b32 v21, v21, 4, v63
	ds_add_u32 v21, v89
	s_or_b32 exec_lo, exec_lo, s16
	s_mov_b32 s16, exec_lo
	v_cmpx_gt_u32_e64 s15, v44
	s_cbranch_execz .LBB194_350
.LBB194_366:                            ;   in Loop: Header=BB194_326 Depth=2
	v_lshrrev_b32_sdwa v21, s61, v20 dst_sel:DWORD dst_unused:UNUSED_PAD src0_sel:DWORD src1_sel:BYTE_0
	v_and_b32_e32 v21, s62, v21
	v_lshl_or_b32 v21, v21, 4, v63
	ds_add_u32 v21, v89
	s_or_b32 exec_lo, exec_lo, s16
	s_mov_b32 s16, exec_lo
	v_cmpx_gt_u32_e64 s15, v47
	s_cbranch_execz .LBB194_351
.LBB194_367:                            ;   in Loop: Header=BB194_326 Depth=2
	v_lshrrev_b32_sdwa v21, s61, v19 dst_sel:DWORD dst_unused:UNUSED_PAD src0_sel:DWORD src1_sel:BYTE_0
	v_and_b32_e32 v21, s62, v21
	v_lshl_or_b32 v21, v21, 4, v63
	ds_add_u32 v21, v89
	s_or_b32 exec_lo, exec_lo, s16
	s_mov_b32 s16, exec_lo
	v_cmpx_gt_u32_e64 s15, v48
	s_cbranch_execz .LBB194_352
.LBB194_368:                            ;   in Loop: Header=BB194_326 Depth=2
	v_lshrrev_b32_sdwa v21, s61, v18 dst_sel:DWORD dst_unused:UNUSED_PAD src0_sel:DWORD src1_sel:BYTE_0
	v_and_b32_e32 v21, s62, v21
	v_lshl_or_b32 v21, v21, 4, v63
	ds_add_u32 v21, v89
	s_or_b32 exec_lo, exec_lo, s16
	s_mov_b32 s16, exec_lo
	v_cmpx_gt_u32_e64 s15, v49
	s_cbranch_execz .LBB194_353
.LBB194_369:                            ;   in Loop: Header=BB194_326 Depth=2
	v_lshrrev_b32_sdwa v21, s61, v16 dst_sel:DWORD dst_unused:UNUSED_PAD src0_sel:DWORD src1_sel:BYTE_0
	v_and_b32_e32 v21, s62, v21
	v_lshl_or_b32 v21, v21, 4, v63
	ds_add_u32 v21, v89
	s_or_b32 exec_lo, exec_lo, s16
	s_mov_b32 s16, exec_lo
	v_cmpx_gt_u32_e64 s15, v50
	s_cbranch_execz .LBB194_354
.LBB194_370:                            ;   in Loop: Header=BB194_326 Depth=2
	v_lshrrev_b32_sdwa v21, s61, v15 dst_sel:DWORD dst_unused:UNUSED_PAD src0_sel:DWORD src1_sel:BYTE_0
	v_and_b32_e32 v21, s62, v21
	v_lshl_or_b32 v21, v21, 4, v63
	ds_add_u32 v21, v89
	s_or_b32 exec_lo, exec_lo, s16
	s_mov_b32 s16, exec_lo
	v_cmpx_gt_u32_e64 s15, v51
	s_cbranch_execz .LBB194_355
.LBB194_371:                            ;   in Loop: Header=BB194_326 Depth=2
	v_lshrrev_b32_sdwa v21, s61, v14 dst_sel:DWORD dst_unused:UNUSED_PAD src0_sel:DWORD src1_sel:BYTE_0
	v_and_b32_e32 v21, s62, v21
	v_lshl_or_b32 v21, v21, 4, v63
	ds_add_u32 v21, v89
	s_or_b32 exec_lo, exec_lo, s16
	s_mov_b32 s16, exec_lo
	v_cmpx_gt_u32_e64 s15, v52
	s_cbranch_execz .LBB194_356
.LBB194_372:                            ;   in Loop: Header=BB194_326 Depth=2
	v_lshrrev_b32_sdwa v21, s61, v13 dst_sel:DWORD dst_unused:UNUSED_PAD src0_sel:DWORD src1_sel:BYTE_0
	v_and_b32_e32 v21, s62, v21
	v_lshl_or_b32 v21, v21, 4, v63
	ds_add_u32 v21, v89
	s_or_b32 exec_lo, exec_lo, s16
	s_mov_b32 s16, exec_lo
	v_cmpx_gt_u32_e64 s15, v53
	s_cbranch_execz .LBB194_357
.LBB194_373:                            ;   in Loop: Header=BB194_326 Depth=2
	v_lshrrev_b32_sdwa v21, s61, v12 dst_sel:DWORD dst_unused:UNUSED_PAD src0_sel:DWORD src1_sel:BYTE_0
	v_and_b32_e32 v21, s62, v21
	v_lshl_or_b32 v21, v21, 4, v63
	ds_add_u32 v21, v89
	s_or_b32 exec_lo, exec_lo, s16
	s_mov_b32 s16, exec_lo
	v_cmpx_gt_u32_e64 s15, v54
	s_cbranch_execz .LBB194_358
.LBB194_374:                            ;   in Loop: Header=BB194_326 Depth=2
	v_lshrrev_b32_sdwa v21, s61, v11 dst_sel:DWORD dst_unused:UNUSED_PAD src0_sel:DWORD src1_sel:BYTE_0
	v_and_b32_e32 v21, s62, v21
	v_lshl_or_b32 v21, v21, 4, v63
	ds_add_u32 v21, v89
	s_or_b32 exec_lo, exec_lo, s16
	s_mov_b32 s16, exec_lo
	v_cmpx_gt_u32_e64 s15, v55
	s_cbranch_execz .LBB194_359
.LBB194_375:                            ;   in Loop: Header=BB194_326 Depth=2
	v_lshrrev_b32_sdwa v21, s61, v10 dst_sel:DWORD dst_unused:UNUSED_PAD src0_sel:DWORD src1_sel:BYTE_0
	v_and_b32_e32 v21, s62, v21
	v_lshl_or_b32 v21, v21, 4, v63
	ds_add_u32 v21, v89
	s_or_b32 exec_lo, exec_lo, s16
	s_mov_b32 s16, exec_lo
	v_cmpx_gt_u32_e64 s15, v56
	s_cbranch_execz .LBB194_360
.LBB194_376:                            ;   in Loop: Header=BB194_326 Depth=2
	v_lshrrev_b32_sdwa v21, s61, v9 dst_sel:DWORD dst_unused:UNUSED_PAD src0_sel:DWORD src1_sel:BYTE_0
	v_and_b32_e32 v21, s62, v21
	v_lshl_or_b32 v21, v21, 4, v63
	ds_add_u32 v21, v89
	s_or_b32 exec_lo, exec_lo, s16
	s_mov_b32 s16, exec_lo
	v_cmpx_gt_u32_e64 s15, v57
	s_cbranch_execz .LBB194_361
.LBB194_377:                            ;   in Loop: Header=BB194_326 Depth=2
	v_lshrrev_b32_sdwa v21, s61, v8 dst_sel:DWORD dst_unused:UNUSED_PAD src0_sel:DWORD src1_sel:BYTE_0
	v_and_b32_e32 v21, s62, v21
	v_lshl_or_b32 v21, v21, 4, v63
	ds_add_u32 v21, v89
	s_or_b32 exec_lo, exec_lo, s16
	s_mov_b32 s16, exec_lo
	v_cmpx_gt_u32_e64 s15, v58
	s_cbranch_execz .LBB194_362
.LBB194_378:                            ;   in Loop: Header=BB194_326 Depth=2
	v_lshrrev_b32_sdwa v21, s61, v7 dst_sel:DWORD dst_unused:UNUSED_PAD src0_sel:DWORD src1_sel:BYTE_0
	v_and_b32_e32 v21, s62, v21
	v_lshl_or_b32 v21, v21, 4, v63
	ds_add_u32 v21, v89
	s_or_b32 exec_lo, exec_lo, s16
	s_mov_b32 s16, exec_lo
	v_cmpx_gt_u32_e64 s15, v59
	s_cbranch_execz .LBB194_363
.LBB194_379:                            ;   in Loop: Header=BB194_326 Depth=2
	v_lshrrev_b32_sdwa v21, s61, v6 dst_sel:DWORD dst_unused:UNUSED_PAD src0_sel:DWORD src1_sel:BYTE_0
	v_and_b32_e32 v21, s62, v21
	v_lshl_or_b32 v21, v21, 4, v63
	ds_add_u32 v21, v89
	s_or_b32 exec_lo, exec_lo, s16
	s_mov_b32 s16, exec_lo
	v_cmpx_gt_u32_e64 s15, v60
	s_cbranch_execz .LBB194_364
.LBB194_380:                            ;   in Loop: Header=BB194_326 Depth=2
	v_lshrrev_b32_sdwa v21, s61, v5 dst_sel:DWORD dst_unused:UNUSED_PAD src0_sel:DWORD src1_sel:BYTE_0
	v_and_b32_e32 v21, s62, v21
	v_lshl_or_b32 v21, v21, 4, v63
	ds_add_u32 v21, v89
	s_or_b32 exec_lo, exec_lo, s16
	v_cmp_gt_u32_e32 vcc_lo, s15, v61
	s_and_saveexec_b32 s15, vcc_lo
	s_cbranch_execz .LBB194_325
.LBB194_381:                            ;   in Loop: Header=BB194_326 Depth=2
	v_lshrrev_b32_sdwa v21, s61, v3 dst_sel:DWORD dst_unused:UNUSED_PAD src0_sel:DWORD src1_sel:BYTE_0
	v_and_b32_e32 v21, s62, v21
	v_lshl_or_b32 v21, v21, 4, v63
	ds_add_u32 v21, v89
	s_branch .LBB194_325
.LBB194_382:                            ;   in Loop: Header=BB194_326 Depth=2
	s_waitcnt vmcnt(0)
	v_add_co_u32 v21, s18, s15, v0
	v_add_co_ci_u32_e64 v22, null, s16, 0, s18
	global_load_ubyte v17, v[21:22], off
	s_or_b32 exec_lo, exec_lo, s17
	s_mov_b32 s17, exec_lo
	v_cmpx_gt_u32_e64 s5, v44
	s_cbranch_execz .LBB194_331
.LBB194_383:                            ;   in Loop: Header=BB194_326 Depth=2
	v_add_co_u32 v20, s18, s15, v0
	s_waitcnt vmcnt(0)
	v_add_co_ci_u32_e64 v21, null, s16, 0, s18
	global_load_ubyte v20, v[20:21], off offset:256
	s_or_b32 exec_lo, exec_lo, s17
	s_mov_b32 s17, exec_lo
	v_cmpx_gt_u32_e64 s5, v47
	s_cbranch_execz .LBB194_332
.LBB194_384:                            ;   in Loop: Header=BB194_326 Depth=2
	s_waitcnt vmcnt(0)
	v_add_co_u32 v21, s18, s15, v0
	v_add_co_ci_u32_e64 v22, null, s16, 0, s18
	global_load_ubyte v19, v[21:22], off offset:512
	s_or_b32 exec_lo, exec_lo, s17
	s_mov_b32 s17, exec_lo
	v_cmpx_gt_u32_e64 s5, v48
	s_cbranch_execz .LBB194_333
.LBB194_385:                            ;   in Loop: Header=BB194_326 Depth=2
	s_waitcnt vmcnt(0)
	v_add_co_u32 v21, s18, s15, v0
	v_add_co_ci_u32_e64 v22, null, s16, 0, s18
	global_load_ubyte v18, v[21:22], off offset:768
	s_or_b32 exec_lo, exec_lo, s17
	s_mov_b32 s17, exec_lo
	v_cmpx_gt_u32_e64 s5, v49
	s_cbranch_execz .LBB194_334
.LBB194_386:                            ;   in Loop: Header=BB194_326 Depth=2
	s_waitcnt vmcnt(0)
	v_add_co_u32 v21, s18, s15, v0
	v_add_co_ci_u32_e64 v22, null, s16, 0, s18
	global_load_ubyte v16, v[21:22], off offset:1024
	s_or_b32 exec_lo, exec_lo, s17
	s_mov_b32 s17, exec_lo
	v_cmpx_gt_u32_e64 s5, v50
	s_cbranch_execz .LBB194_335
.LBB194_387:                            ;   in Loop: Header=BB194_326 Depth=2
	s_waitcnt vmcnt(0)
	v_add_co_u32 v21, s18, s15, v0
	v_add_co_ci_u32_e64 v22, null, s16, 0, s18
	global_load_ubyte v15, v[21:22], off offset:1280
	s_or_b32 exec_lo, exec_lo, s17
	s_mov_b32 s17, exec_lo
	v_cmpx_gt_u32_e64 s5, v51
	s_cbranch_execz .LBB194_336
.LBB194_388:                            ;   in Loop: Header=BB194_326 Depth=2
	s_waitcnt vmcnt(0)
	v_add_co_u32 v21, s18, s15, v0
	v_add_co_ci_u32_e64 v22, null, s16, 0, s18
	global_load_ubyte v14, v[21:22], off offset:1536
	s_or_b32 exec_lo, exec_lo, s17
	s_mov_b32 s17, exec_lo
	v_cmpx_gt_u32_e64 s5, v52
	s_cbranch_execz .LBB194_337
.LBB194_389:                            ;   in Loop: Header=BB194_326 Depth=2
	s_waitcnt vmcnt(0)
	v_add_co_u32 v21, s18, s15, v0
	v_add_co_ci_u32_e64 v22, null, s16, 0, s18
	global_load_ubyte v13, v[21:22], off offset:1792
	s_or_b32 exec_lo, exec_lo, s17
	s_mov_b32 s17, exec_lo
	v_cmpx_gt_u32_e64 s5, v53
	s_cbranch_execz .LBB194_338
.LBB194_390:                            ;   in Loop: Header=BB194_326 Depth=2
	s_waitcnt vmcnt(0)
	v_add_co_u32 v21, s18, s15, v53
	v_add_co_ci_u32_e64 v22, null, s16, 0, s18
	global_load_ubyte v12, v[21:22], off
	s_or_b32 exec_lo, exec_lo, s17
	s_mov_b32 s17, exec_lo
	v_cmpx_gt_u32_e64 s5, v54
	s_cbranch_execz .LBB194_339
.LBB194_391:                            ;   in Loop: Header=BB194_326 Depth=2
	s_waitcnt vmcnt(0)
	v_add_co_u32 v21, s18, s15, v54
	v_add_co_ci_u32_e64 v22, null, s16, 0, s18
	global_load_ubyte v11, v[21:22], off
	s_or_b32 exec_lo, exec_lo, s17
	s_mov_b32 s17, exec_lo
	v_cmpx_gt_u32_e64 s5, v55
	s_cbranch_execz .LBB194_340
.LBB194_392:                            ;   in Loop: Header=BB194_326 Depth=2
	s_waitcnt vmcnt(0)
	v_add_co_u32 v21, s18, s15, v55
	v_add_co_ci_u32_e64 v22, null, s16, 0, s18
	global_load_ubyte v10, v[21:22], off
	s_or_b32 exec_lo, exec_lo, s17
	s_mov_b32 s17, exec_lo
	v_cmpx_gt_u32_e64 s5, v56
	s_cbranch_execz .LBB194_341
.LBB194_393:                            ;   in Loop: Header=BB194_326 Depth=2
	s_waitcnt vmcnt(0)
	v_add_co_u32 v21, s18, s15, v56
	v_add_co_ci_u32_e64 v22, null, s16, 0, s18
	global_load_ubyte v9, v[21:22], off
	s_or_b32 exec_lo, exec_lo, s17
	s_mov_b32 s17, exec_lo
	v_cmpx_gt_u32_e64 s5, v57
	s_cbranch_execz .LBB194_342
.LBB194_394:                            ;   in Loop: Header=BB194_326 Depth=2
	s_waitcnt vmcnt(0)
	v_add_co_u32 v21, s18, s15, v57
	v_add_co_ci_u32_e64 v22, null, s16, 0, s18
	global_load_ubyte v8, v[21:22], off
	s_or_b32 exec_lo, exec_lo, s17
	s_mov_b32 s17, exec_lo
	v_cmpx_gt_u32_e64 s5, v58
	s_cbranch_execz .LBB194_343
.LBB194_395:                            ;   in Loop: Header=BB194_326 Depth=2
	s_waitcnt vmcnt(0)
	v_add_co_u32 v21, s18, s15, v58
	v_add_co_ci_u32_e64 v22, null, s16, 0, s18
	global_load_ubyte v7, v[21:22], off
	s_or_b32 exec_lo, exec_lo, s17
	s_mov_b32 s17, exec_lo
	v_cmpx_gt_u32_e64 s5, v59
	s_cbranch_execz .LBB194_344
.LBB194_396:                            ;   in Loop: Header=BB194_326 Depth=2
	s_waitcnt vmcnt(0)
	v_add_co_u32 v21, s18, s15, v59
	v_add_co_ci_u32_e64 v22, null, s16, 0, s18
	global_load_ubyte v6, v[21:22], off
	s_or_b32 exec_lo, exec_lo, s17
	s_mov_b32 s17, exec_lo
	v_cmpx_gt_u32_e64 s5, v60
	s_cbranch_execz .LBB194_345
.LBB194_397:                            ;   in Loop: Header=BB194_326 Depth=2
	s_waitcnt vmcnt(0)
	v_add_co_u32 v21, s18, s15, v60
	v_add_co_ci_u32_e64 v22, null, s16, 0, s18
	global_load_ubyte v5, v[21:22], off
	s_or_b32 exec_lo, exec_lo, s17
	s_mov_b32 s17, exec_lo
	v_cmpx_gt_u32_e64 s5, v61
	s_cbranch_execnz .LBB194_346
	s_branch .LBB194_347
.LBB194_398:                            ;   in Loop: Header=BB194_12 Depth=1
	v_mov_b32_e32 v3, 0
	s_waitcnt lgkmcnt(0)
	s_barrier
	buffer_gl0_inv
	s_and_saveexec_b32 s5, s7
	s_cbranch_execz .LBB194_400
; %bb.399:                              ;   in Loop: Header=BB194_12 Depth=1
	ds_read2_b64 v[5:8], v64 offset1:1
	s_waitcnt lgkmcnt(0)
	v_add_nc_u32_e32 v3, v6, v5
	v_add3_u32 v3, v3, v7, v8
.LBB194_400:                            ;   in Loop: Header=BB194_12 Depth=1
	s_or_b32 exec_lo, exec_lo, s5
	v_and_b32_e32 v5, 15, v86
	v_mov_b32_dpp v6, v3 row_shr:1 row_mask:0xf bank_mask:0xf
	v_and_b32_e32 v7, 16, v86
	v_cmp_eq_u32_e64 s5, 0, v5
	v_cmp_lt_u32_e64 s14, 1, v5
	v_cmp_lt_u32_e64 s15, 3, v5
	;; [unrolled: 1-line block ×3, first 2 shown]
	v_cmp_eq_u32_e64 s17, 0, v7
	v_cndmask_b32_e64 v6, v6, 0, s5
	v_add_nc_u32_e32 v3, v6, v3
	v_mov_b32_dpp v6, v3 row_shr:2 row_mask:0xf bank_mask:0xf
	v_cndmask_b32_e64 v6, 0, v6, s14
	v_add_nc_u32_e32 v3, v3, v6
	v_mov_b32_dpp v6, v3 row_shr:4 row_mask:0xf bank_mask:0xf
	;; [unrolled: 3-line block ×3, first 2 shown]
	v_cndmask_b32_e64 v5, 0, v6, s16
	v_bfe_i32 v6, v86, 4, 1
	v_add_nc_u32_e32 v3, v3, v5
	ds_swizzle_b32 v5, v3 offset:swizzle(BROADCAST,32,15)
	s_waitcnt lgkmcnt(0)
	v_and_b32_e32 v5, v6, v5
	v_add_nc_u32_e32 v3, v3, v5
	s_and_saveexec_b32 s18, s8
; %bb.401:                              ;   in Loop: Header=BB194_12 Depth=1
	ds_write_b32 v65, v3
; %bb.402:                              ;   in Loop: Header=BB194_12 Depth=1
	s_or_b32 exec_lo, exec_lo, s18
	s_waitcnt lgkmcnt(0)
	s_barrier
	buffer_gl0_inv
	s_and_saveexec_b32 s18, s9
	s_cbranch_execz .LBB194_404
; %bb.403:                              ;   in Loop: Header=BB194_12 Depth=1
	ds_read_b32 v5, v66
	v_and_b32_e32 v6, 3, v86
	v_cmp_ne_u32_e32 vcc_lo, 0, v6
	s_waitcnt lgkmcnt(0)
	v_mov_b32_dpp v7, v5 row_shr:1 row_mask:0xf bank_mask:0xf
	v_cndmask_b32_e32 v7, 0, v7, vcc_lo
	v_cmp_lt_u32_e32 vcc_lo, 1, v6
	v_add_nc_u32_e32 v5, v7, v5
	v_mov_b32_dpp v7, v5 row_shr:2 row_mask:0xf bank_mask:0xf
	v_cndmask_b32_e32 v6, 0, v7, vcc_lo
	v_add_nc_u32_e32 v5, v5, v6
	ds_write_b32 v66, v5
.LBB194_404:                            ;   in Loop: Header=BB194_12 Depth=1
	s_or_b32 exec_lo, exec_lo, s18
	v_mov_b32_e32 v5, 0
	s_waitcnt lgkmcnt(0)
	s_barrier
	buffer_gl0_inv
	s_and_saveexec_b32 s18, s10
; %bb.405:                              ;   in Loop: Header=BB194_12 Depth=1
	ds_read_b32 v5, v67
; %bb.406:                              ;   in Loop: Header=BB194_12 Depth=1
	s_or_b32 exec_lo, exec_lo, s18
	v_sub_co_u32 v6, s18, v86, 1
	s_waitcnt lgkmcnt(0)
	v_add_nc_u32_e32 v3, v5, v3
	s_barrier
	v_cmp_gt_i32_e32 vcc_lo, 0, v6
	buffer_gl0_inv
	v_cndmask_b32_e32 v6, v6, v86, vcc_lo
	v_lshlrev_b32_e32 v92, 2, v6
	ds_bpermute_b32 v3, v92, v3
	s_and_saveexec_b32 s19, s7
	s_cbranch_execz .LBB194_408
; %bb.407:                              ;   in Loop: Header=BB194_12 Depth=1
	s_waitcnt lgkmcnt(0)
	v_cndmask_b32_e64 v3, v3, v5, s18
	v_add_nc_u32_e32 v3, s58, v3
	ds_write_b32 v43, v3
.LBB194_408:                            ;   in Loop: Header=BB194_12 Depth=1
	s_or_b32 exec_lo, exec_lo, s19
	s_load_dwordx2 s[20:21], s[56:57], 0x0
	v_and_b32_e32 v6, 7, v86
	v_lshlrev_b32_e32 v7, 3, v86
	v_or_b32_e32 v93, v86, v68
	s_mov_b32 s63, s60
	s_mov_b32 s50, s58
                                        ; implicit-def: $vgpr9_vgpr10
                                        ; implicit-def: $vgpr11_vgpr12
                                        ; implicit-def: $vgpr13_vgpr14
                                        ; implicit-def: $vgpr15_vgpr16
                                        ; implicit-def: $vgpr19_vgpr20
                                        ; implicit-def: $vgpr23_vgpr24
                                        ; implicit-def: $vgpr27_vgpr28
                                        ; implicit-def: $vgpr17_vgpr18
                                        ; implicit-def: $vgpr21_vgpr22
                                        ; implicit-def: $vgpr25_vgpr26
                                        ; implicit-def: $vgpr29_vgpr30
                                        ; implicit-def: $vgpr31_vgpr32
                                        ; implicit-def: $vgpr33_vgpr34
                                        ; implicit-def: $vgpr35_vgpr36
                                        ; implicit-def: $vgpr37_vgpr38
                                        ; implicit-def: $vgpr115
                                        ; implicit-def: $vgpr116
                                        ; implicit-def: $vgpr117
                                        ; implicit-def: $vgpr118
                                        ; implicit-def: $vgpr119
                                        ; implicit-def: $vgpr120
                                        ; implicit-def: $vgpr121
                                        ; implicit-def: $vgpr122
                                        ; implicit-def: $vgpr123
                                        ; implicit-def: $vgpr124
                                        ; implicit-def: $vgpr125
                                        ; implicit-def: $vgpr126
                                        ; implicit-def: $vgpr127
                                        ; implicit-def: $vgpr128
                                        ; implicit-def: $vgpr129
                                        ; implicit-def: $vgpr130
                                        ; implicit-def: $vgpr131
                                        ; implicit-def: $vgpr132
                                        ; implicit-def: $vgpr133
	v_add_co_u32 v94, vcc_lo, v78, v7
	v_add_co_ci_u32_e64 v95, null, 0, v79, vcc_lo
	v_add_co_u32 v112, vcc_lo, v80, v86
	v_add_nc_u32_e32 v96, 32, v93
	v_add_nc_u32_e32 v97, 64, v93
	;; [unrolled: 1-line block ×7, first 2 shown]
	s_waitcnt lgkmcnt(0)
	s_cmp_lt_u32 s28, s21
	v_add_nc_u32_e32 v103, 0x100, v93
	s_cselect_b32 s19, 14, 20
	v_add_nc_u32_e32 v104, 0x120, v93
	s_add_u32 s22, s56, s19
	s_addc_u32 s23, s57, 0
	s_cmp_lt_u32 s6, s20
	global_load_ushort v3, v4, s[22:23]
	s_cselect_b32 s19, 12, 18
	v_add_nc_u32_e32 v105, 0x140, v93
	s_add_u32 s20, s56, s19
	s_addc_u32 s21, s57, 0
	v_cmp_eq_u32_e64 s19, 0, v6
	global_load_ushort v5, v4, s[20:21]
	v_cmp_lt_u32_e64 s20, 1, v6
	v_cmp_lt_u32_e64 s21, 3, v6
	v_add_nc_u32_e32 v106, 0x160, v93
	v_add_nc_u32_e32 v107, 0x180, v93
	;; [unrolled: 1-line block ×6, first 2 shown]
	v_add_co_ci_u32_e64 v113, null, 0, v81, vcc_lo
                                        ; implicit-def: $vgpr7_vgpr8
	s_waitcnt vmcnt(1)
	v_mad_u32_u24 v3, v2, v3, v1
	s_waitcnt vmcnt(0)
	v_mad_u64_u32 v[5:6], null, v3, v5, v[0:1]
	v_lshrrev_b32_e32 v3, 3, v5
                                        ; implicit-def: $vgpr5_vgpr6
	v_and_b32_e32 v114, 0x1ffffffc, v3
	s_branch .LBB194_410
.LBB194_409:                            ;   in Loop: Header=BB194_410 Depth=2
	s_or_b32 exec_lo, exec_lo, s22
	s_addk_i32 s63, 0xef00
	s_cmp_lt_u32 s64, s59
	s_mov_b32 s50, s64
	s_cbranch_scc0 .LBB194_632
.LBB194_410:                            ;   Parent Loop BB194_12 Depth=1
                                        ; =>  This Inner Loop Header: Depth=2
	s_add_i32 s64, s50, 0x1100
	s_cmp_gt_u32 s64, s59
	s_cbranch_scc1 .LBB194_412
; %bb.411:                              ;   in Loop: Header=BB194_410 Depth=2
	v_add_co_u32 v39, vcc_lo, v112, s50
	v_add_co_ci_u32_e64 v40, null, 0, v113, vcc_lo
	s_mov_b32 s22, -1
	s_clause 0xf
	global_load_ubyte v134, v[39:40], off
	global_load_ubyte v135, v[39:40], off offset:32
	global_load_ubyte v136, v[39:40], off offset:64
	;; [unrolled: 1-line block ×15, first 2 shown]
	s_movk_i32 s23, 0x1100
	s_cbranch_execz .LBB194_413
	s_branch .LBB194_446
.LBB194_412:                            ;   in Loop: Header=BB194_410 Depth=2
	s_mov_b32 s22, 0
                                        ; implicit-def: $vgpr134
                                        ; implicit-def: $vgpr135
                                        ; implicit-def: $vgpr136
                                        ; implicit-def: $vgpr137
                                        ; implicit-def: $vgpr138
                                        ; implicit-def: $vgpr139
                                        ; implicit-def: $vgpr140
                                        ; implicit-def: $vgpr141
                                        ; implicit-def: $vgpr142
                                        ; implicit-def: $vgpr143
                                        ; implicit-def: $vgpr144
                                        ; implicit-def: $vgpr145
                                        ; implicit-def: $vgpr146
                                        ; implicit-def: $vgpr147
                                        ; implicit-def: $vgpr148
                                        ; implicit-def: $vgpr149
	s_movk_i32 s23, 0x1100
.LBB194_413:                            ;   in Loop: Header=BB194_410 Depth=2
	v_add_co_u32 v39, vcc_lo, v112, s50
	v_add_co_ci_u32_e64 v40, null, 0, v113, vcc_lo
	s_waitcnt vmcnt(14)
	v_mov_b32_e32 v135, 0xff
	v_mov_b32_e32 v134, 0xff
	s_mov_b32 s22, exec_lo
	v_cmpx_gt_u32_e64 s63, v93
	s_cbranch_execz .LBB194_415
; %bb.414:                              ;   in Loop: Header=BB194_410 Depth=2
	global_load_ubyte v134, v[39:40], off
.LBB194_415:                            ;   in Loop: Header=BB194_410 Depth=2
	s_or_b32 exec_lo, exec_lo, s22
	s_mov_b32 s22, exec_lo
	v_cmpx_gt_u32_e64 s63, v96
	s_cbranch_execz .LBB194_417
; %bb.416:                              ;   in Loop: Header=BB194_410 Depth=2
	global_load_ubyte v135, v[39:40], off offset:32
.LBB194_417:                            ;   in Loop: Header=BB194_410 Depth=2
	s_or_b32 exec_lo, exec_lo, s22
	s_waitcnt vmcnt(12)
	v_mov_b32_e32 v137, 0xff
	v_mov_b32_e32 v136, 0xff
	s_mov_b32 s22, exec_lo
	v_cmpx_gt_u32_e64 s63, v97
	s_cbranch_execz .LBB194_419
; %bb.418:                              ;   in Loop: Header=BB194_410 Depth=2
	global_load_ubyte v136, v[39:40], off offset:64
.LBB194_419:                            ;   in Loop: Header=BB194_410 Depth=2
	s_or_b32 exec_lo, exec_lo, s22
	s_mov_b32 s22, exec_lo
	v_cmpx_gt_u32_e64 s63, v98
	s_cbranch_execz .LBB194_421
; %bb.420:                              ;   in Loop: Header=BB194_410 Depth=2
	global_load_ubyte v137, v[39:40], off offset:96
.LBB194_421:                            ;   in Loop: Header=BB194_410 Depth=2
	s_or_b32 exec_lo, exec_lo, s22
	s_waitcnt vmcnt(10)
	v_mov_b32_e32 v139, 0xff
	v_mov_b32_e32 v138, 0xff
	s_mov_b32 s22, exec_lo
	v_cmpx_gt_u32_e64 s63, v99
	s_cbranch_execz .LBB194_423
; %bb.422:                              ;   in Loop: Header=BB194_410 Depth=2
	global_load_ubyte v138, v[39:40], off offset:128
.LBB194_423:                            ;   in Loop: Header=BB194_410 Depth=2
	;; [unrolled: 17-line block ×7, first 2 shown]
	s_or_b32 exec_lo, exec_lo, s22
	s_mov_b32 s22, exec_lo
	v_cmpx_gt_u32_e64 s63, v110
	s_cbranch_execz .LBB194_445
; %bb.444:                              ;   in Loop: Header=BB194_410 Depth=2
	global_load_ubyte v149, v[39:40], off offset:480
.LBB194_445:                            ;   in Loop: Header=BB194_410 Depth=2
	s_or_b32 exec_lo, exec_lo, s22
	v_cmp_gt_u32_e64 s22, s63, v111
	s_sub_i32 s23, s59, s50
.LBB194_446:                            ;   in Loop: Header=BB194_410 Depth=2
	v_mov_b32_e32 v150, 0xff
	v_mov_b32_e32 v3, s63
	s_and_saveexec_b32 s24, s22
	s_cbranch_execz .LBB194_448
; %bb.447:                              ;   in Loop: Header=BB194_410 Depth=2
	v_add_co_u32 v39, vcc_lo, v112, s50
	v_add_co_ci_u32_e64 v40, null, s51, v113, vcc_lo
	v_mov_b32_e32 v3, s23
	global_load_ubyte v150, v[39:40], off offset:512
.LBB194_448:                            ;   in Loop: Header=BB194_410 Depth=2
	s_or_b32 exec_lo, exec_lo, s24
	s_waitcnt vmcnt(15)
	v_lshrrev_b32_sdwa v39, s61, v134 dst_sel:DWORD dst_unused:UNUSED_PAD src0_sel:DWORD src1_sel:BYTE_0
	ds_write2_b32 v69, v4, v4 offset0:136 offset1:137
	ds_write2_b32 v69, v4, v4 offset0:138 offset1:139
	ds_write_b32 v69, v4 offset:560
	s_waitcnt vmcnt(0) lgkmcnt(0)
	s_barrier
	v_and_b32_e32 v40, s62, v39
	buffer_gl0_inv
	; wave barrier
	v_and_b32_e32 v39, 1, v40
	v_lshlrev_b32_e32 v41, 30, v40
	v_lshlrev_b32_e32 v42, 29, v40
	;; [unrolled: 1-line block ×4, first 2 shown]
	v_add_co_u32 v39, s22, v39, -1
	v_cndmask_b32_e64 v151, 0, 1, s22
	v_not_b32_e32 v155, v41
	v_cmp_gt_i32_e64 s22, 0, v41
	v_not_b32_e32 v41, v42
	v_lshlrev_b32_e32 v154, 26, v40
	v_cmp_ne_u32_e32 vcc_lo, 0, v151
	v_ashrrev_i32_e32 v155, 31, v155
	v_lshlrev_b32_e32 v151, 25, v40
	v_ashrrev_i32_e32 v41, 31, v41
	v_mul_u32_u24_e32 v40, 36, v40
	v_xor_b32_e32 v39, vcc_lo, v39
	v_cmp_gt_i32_e32 vcc_lo, 0, v42
	v_not_b32_e32 v42, v152
	v_xor_b32_e32 v155, s22, v155
	v_cmp_gt_i32_e64 s22, 0, v152
	v_and_b32_e32 v39, exec_lo, v39
	v_not_b32_e32 v152, v153
	v_ashrrev_i32_e32 v42, 31, v42
	v_xor_b32_e32 v41, vcc_lo, v41
	v_cmp_gt_i32_e32 vcc_lo, 0, v153
	v_and_b32_e32 v39, v39, v155
	v_not_b32_e32 v153, v154
	v_ashrrev_i32_e32 v152, 31, v152
	v_xor_b32_e32 v42, s22, v42
	v_cmp_gt_i32_e64 s22, 0, v154
	v_and_b32_e32 v39, v39, v41
	v_not_b32_e32 v41, v151
	v_ashrrev_i32_e32 v153, 31, v153
	v_xor_b32_e32 v152, vcc_lo, v152
	v_cmp_gt_i32_e32 vcc_lo, 0, v151
	v_and_b32_e32 v39, v39, v42
	v_ashrrev_i32_e32 v41, 31, v41
	v_xor_b32_e32 v42, s22, v153
	v_and_b32_e32 v39, v39, v152
	v_xor_b32_e32 v41, vcc_lo, v41
	v_add_nc_u32_e32 v152, v114, v40
	v_and_b32_e32 v39, v39, v42
	v_and_b32_e32 v39, v39, v41
	v_mbcnt_lo_u32_b32 v151, v39, 0
	v_cmp_ne_u32_e64 s22, 0, v39
	v_cmp_eq_u32_e32 vcc_lo, 0, v151
	s_and_b32 s23, s22, vcc_lo
	s_and_saveexec_b32 s22, s23
; %bb.449:                              ;   in Loop: Header=BB194_410 Depth=2
	v_bcnt_u32_b32 v39, v39, 0
	ds_write_b32 v152, v39 offset:544
; %bb.450:                              ;   in Loop: Header=BB194_410 Depth=2
	s_or_b32 exec_lo, exec_lo, s22
	v_lshrrev_b32_sdwa v39, s61, v135 dst_sel:DWORD dst_unused:UNUSED_PAD src0_sel:DWORD src1_sel:BYTE_0
	; wave barrier
	v_and_b32_e32 v40, s62, v39
	v_and_b32_e32 v39, 1, v40
	v_lshlrev_b32_e32 v41, 30, v40
	v_lshlrev_b32_e32 v42, 29, v40
	v_lshlrev_b32_e32 v154, 28, v40
	v_lshlrev_b32_e32 v155, 27, v40
	v_add_co_u32 v39, s22, v39, -1
	v_cndmask_b32_e64 v153, 0, 1, s22
	v_not_b32_e32 v157, v41
	v_cmp_gt_i32_e64 s22, 0, v41
	v_not_b32_e32 v41, v42
	v_lshlrev_b32_e32 v156, 26, v40
	v_cmp_ne_u32_e32 vcc_lo, 0, v153
	v_ashrrev_i32_e32 v157, 31, v157
	v_lshlrev_b32_e32 v153, 25, v40
	v_ashrrev_i32_e32 v41, 31, v41
	v_xor_b32_e32 v39, vcc_lo, v39
	v_cmp_gt_i32_e32 vcc_lo, 0, v42
	v_not_b32_e32 v42, v154
	v_xor_b32_e32 v157, s22, v157
	v_cmp_gt_i32_e64 s22, 0, v154
	v_and_b32_e32 v39, exec_lo, v39
	v_not_b32_e32 v154, v155
	v_ashrrev_i32_e32 v42, 31, v42
	v_xor_b32_e32 v41, vcc_lo, v41
	v_cmp_gt_i32_e32 vcc_lo, 0, v155
	v_and_b32_e32 v39, v39, v157
	v_not_b32_e32 v155, v156
	v_ashrrev_i32_e32 v154, 31, v154
	v_xor_b32_e32 v42, s22, v42
	v_cmp_gt_i32_e64 s22, 0, v156
	v_and_b32_e32 v39, v39, v41
	v_not_b32_e32 v41, v153
	v_ashrrev_i32_e32 v155, 31, v155
	v_xor_b32_e32 v154, vcc_lo, v154
	v_cmp_gt_i32_e32 vcc_lo, 0, v153
	v_and_b32_e32 v39, v39, v42
	v_ashrrev_i32_e32 v41, 31, v41
	v_xor_b32_e32 v42, s22, v155
	v_mad_u32_u24 v153, v40, 36, v114
	v_mul_u32_u24_e32 v40, 36, v40
	v_and_b32_e32 v39, v39, v154
	v_xor_b32_e32 v41, vcc_lo, v41
	ds_read_b32 v153, v153 offset:544
	v_add_nc_u32_e32 v155, v114, v40
	v_and_b32_e32 v39, v39, v42
	; wave barrier
	v_and_b32_e32 v39, v39, v41
	v_mbcnt_lo_u32_b32 v154, v39, 0
	v_cmp_ne_u32_e64 s22, 0, v39
	v_cmp_eq_u32_e32 vcc_lo, 0, v154
	s_and_b32 s23, s22, vcc_lo
	s_and_saveexec_b32 s22, s23
	s_cbranch_execz .LBB194_452
; %bb.451:                              ;   in Loop: Header=BB194_410 Depth=2
	s_waitcnt lgkmcnt(0)
	v_bcnt_u32_b32 v39, v39, v153
	ds_write_b32 v155, v39 offset:544
.LBB194_452:                            ;   in Loop: Header=BB194_410 Depth=2
	s_or_b32 exec_lo, exec_lo, s22
	v_lshrrev_b32_sdwa v39, s61, v136 dst_sel:DWORD dst_unused:UNUSED_PAD src0_sel:DWORD src1_sel:BYTE_0
	; wave barrier
	v_and_b32_e32 v40, s62, v39
	v_and_b32_e32 v39, 1, v40
	v_lshlrev_b32_e32 v41, 30, v40
	v_lshlrev_b32_e32 v42, 29, v40
	v_lshlrev_b32_e32 v157, 28, v40
	v_lshlrev_b32_e32 v158, 27, v40
	v_add_co_u32 v39, s22, v39, -1
	v_cndmask_b32_e64 v156, 0, 1, s22
	v_not_b32_e32 v160, v41
	v_cmp_gt_i32_e64 s22, 0, v41
	v_not_b32_e32 v41, v42
	v_lshlrev_b32_e32 v159, 26, v40
	v_cmp_ne_u32_e32 vcc_lo, 0, v156
	v_ashrrev_i32_e32 v160, 31, v160
	v_lshlrev_b32_e32 v156, 25, v40
	v_ashrrev_i32_e32 v41, 31, v41
	v_xor_b32_e32 v39, vcc_lo, v39
	v_cmp_gt_i32_e32 vcc_lo, 0, v42
	v_not_b32_e32 v42, v157
	v_xor_b32_e32 v160, s22, v160
	v_cmp_gt_i32_e64 s22, 0, v157
	v_and_b32_e32 v39, exec_lo, v39
	v_not_b32_e32 v157, v158
	v_ashrrev_i32_e32 v42, 31, v42
	v_xor_b32_e32 v41, vcc_lo, v41
	v_cmp_gt_i32_e32 vcc_lo, 0, v158
	v_and_b32_e32 v39, v39, v160
	v_not_b32_e32 v158, v159
	v_ashrrev_i32_e32 v157, 31, v157
	v_xor_b32_e32 v42, s22, v42
	v_cmp_gt_i32_e64 s22, 0, v159
	v_and_b32_e32 v39, v39, v41
	v_not_b32_e32 v41, v156
	v_ashrrev_i32_e32 v158, 31, v158
	v_xor_b32_e32 v157, vcc_lo, v157
	v_cmp_gt_i32_e32 vcc_lo, 0, v156
	v_and_b32_e32 v39, v39, v42
	v_ashrrev_i32_e32 v41, 31, v41
	v_xor_b32_e32 v42, s22, v158
	v_mad_u32_u24 v156, v40, 36, v114
	v_mul_u32_u24_e32 v40, 36, v40
	v_and_b32_e32 v39, v39, v157
	v_xor_b32_e32 v41, vcc_lo, v41
	ds_read_b32 v156, v156 offset:544
	v_add_nc_u32_e32 v158, v114, v40
	v_and_b32_e32 v39, v39, v42
	; wave barrier
	v_and_b32_e32 v39, v39, v41
	v_mbcnt_lo_u32_b32 v157, v39, 0
	v_cmp_ne_u32_e64 s22, 0, v39
	v_cmp_eq_u32_e32 vcc_lo, 0, v157
	s_and_b32 s23, s22, vcc_lo
	s_and_saveexec_b32 s22, s23
	s_cbranch_execz .LBB194_454
; %bb.453:                              ;   in Loop: Header=BB194_410 Depth=2
	s_waitcnt lgkmcnt(0)
	v_bcnt_u32_b32 v39, v39, v156
	ds_write_b32 v158, v39 offset:544
.LBB194_454:                            ;   in Loop: Header=BB194_410 Depth=2
	;; [unrolled: 62-line block ×16, first 2 shown]
	s_or_b32 exec_lo, exec_lo, s22
	; wave barrier
	s_waitcnt lgkmcnt(0)
	s_barrier
	buffer_gl0_inv
	ds_read2_b32 v[41:42], v69 offset0:136 offset1:137
	ds_read2_b32 v[39:40], v69 offset0:138 offset1:139
	ds_read_b32 v201, v69 offset:560
	s_waitcnt lgkmcnt(1)
	v_add3_u32 v202, v42, v41, v39
	s_waitcnt lgkmcnt(0)
	v_add3_u32 v201, v202, v40, v201
	v_mov_b32_dpp v202, v201 row_shr:1 row_mask:0xf bank_mask:0xf
	v_cndmask_b32_e64 v202, v202, 0, s5
	v_add_nc_u32_e32 v201, v202, v201
	v_mov_b32_dpp v202, v201 row_shr:2 row_mask:0xf bank_mask:0xf
	v_cndmask_b32_e64 v202, 0, v202, s14
	v_add_nc_u32_e32 v201, v201, v202
	;; [unrolled: 3-line block ×4, first 2 shown]
	ds_swizzle_b32 v202, v201 offset:swizzle(BROADCAST,32,15)
	s_waitcnt lgkmcnt(0)
	v_cndmask_b32_e64 v202, v202, 0, s17
	v_add_nc_u32_e32 v201, v201, v202
	s_and_saveexec_b32 s22, s4
; %bb.483:                              ;   in Loop: Header=BB194_410 Depth=2
	ds_write_b32 v62, v201 offset:512
; %bb.484:                              ;   in Loop: Header=BB194_410 Depth=2
	s_or_b32 exec_lo, exec_lo, s22
	s_waitcnt lgkmcnt(0)
	s_barrier
	buffer_gl0_inv
	s_and_saveexec_b32 s22, s11
	s_cbranch_execz .LBB194_486
; %bb.485:                              ;   in Loop: Header=BB194_410 Depth=2
	ds_read_b32 v202, v70 offset:512
	s_waitcnt lgkmcnt(0)
	v_mov_b32_dpp v203, v202 row_shr:1 row_mask:0xf bank_mask:0xf
	v_cndmask_b32_e64 v203, v203, 0, s19
	v_add_nc_u32_e32 v202, v203, v202
	v_mov_b32_dpp v203, v202 row_shr:2 row_mask:0xf bank_mask:0xf
	v_cndmask_b32_e64 v203, 0, v203, s20
	v_add_nc_u32_e32 v202, v202, v203
	;; [unrolled: 3-line block ×3, first 2 shown]
	ds_write_b32 v70, v202 offset:512
.LBB194_486:                            ;   in Loop: Header=BB194_410 Depth=2
	s_or_b32 exec_lo, exec_lo, s22
	v_mov_b32_e32 v202, 0
	s_waitcnt lgkmcnt(0)
	s_barrier
	buffer_gl0_inv
	s_and_saveexec_b32 s22, s10
; %bb.487:                              ;   in Loop: Header=BB194_410 Depth=2
	ds_read_b32 v202, v62 offset:508
; %bb.488:                              ;   in Loop: Header=BB194_410 Depth=2
	s_or_b32 exec_lo, exec_lo, s22
	s_waitcnt lgkmcnt(0)
	v_add_nc_u32_e32 v201, v202, v201
	ds_bpermute_b32 v201, v92, v201
	s_waitcnt lgkmcnt(0)
	v_cndmask_b32_e64 v201, v201, v202, s18
	v_cndmask_b32_e64 v201, v201, 0, s12
	v_add_nc_u32_e32 v41, v201, v41
	v_add_nc_u32_e32 v42, v41, v42
	;; [unrolled: 1-line block ×4, first 2 shown]
	ds_write2_b32 v69, v201, v41 offset0:136 offset1:137
	ds_write2_b32 v69, v42, v39 offset0:138 offset1:139
	ds_write_b32 v69, v40 offset:560
	s_waitcnt lgkmcnt(0)
	s_barrier
	buffer_gl0_inv
	ds_read_b32 v39, v152 offset:544
	ds_read_b32 v40, v155 offset:544
	;; [unrolled: 1-line block ×17, first 2 shown]
	s_and_saveexec_b32 s22, s7
	s_cbranch_execz .LBB194_492
; %bb.489:                              ;   in Loop: Header=BB194_410 Depth=2
	v_add_nc_u32_e32 v132, v70, v72
	v_mov_b32_e32 v133, 0x1100
	ds_read_b32 v132, v132 offset:544
	s_and_saveexec_b32 s23, s13
; %bb.490:                              ;   in Loop: Header=BB194_410 Depth=2
	ds_read_b32 v133, v71 offset:544
; %bb.491:                              ;   in Loop: Header=BB194_410 Depth=2
	s_or_b32 exec_lo, exec_lo, s23
	s_waitcnt lgkmcnt(0)
	v_sub_nc_u32_e32 v133, v133, v132
.LBB194_492:                            ;   in Loop: Header=BB194_410 Depth=2
	s_or_b32 exec_lo, exec_lo, s22
	s_waitcnt lgkmcnt(0)
	s_barrier
	buffer_gl0_inv
	s_and_saveexec_b32 s22, s7
	s_cbranch_execz .LBB194_494
; %bb.493:                              ;   in Loop: Header=BB194_410 Depth=2
	ds_read_b32 v161, v43
	s_waitcnt lgkmcnt(0)
	v_sub_nc_u32_e32 v161, v161, v132
	ds_write_b32 v43, v161
.LBB194_494:                            ;   in Loop: Header=BB194_410 Depth=2
	s_or_b32 exec_lo, exec_lo, s22
	v_add_nc_u32_e32 v173, v39, v151
	v_add3_u32 v170, v154, v153, v40
	v_add3_u32 v167, v157, v156, v41
	;; [unrolled: 1-line block ×16, first 2 shown]
	v_cmp_lt_u32_e64 s39, v0, v3
	ds_write_b8 v173, v134 offset:512
	ds_write_b8 v170, v135 offset:512
	;; [unrolled: 1-line block ×17, first 2 shown]
	s_waitcnt lgkmcnt(0)
	s_barrier
	buffer_gl0_inv
	s_and_saveexec_b32 s22, s39
	s_cbranch_execnz .LBB194_567
; %bb.495:                              ;   in Loop: Header=BB194_410 Depth=2
	s_or_b32 exec_lo, exec_lo, s22
	v_cmp_lt_u32_e64 s38, v44, v3
	s_and_saveexec_b32 s22, s38
	s_cbranch_execnz .LBB194_568
.LBB194_496:                            ;   in Loop: Header=BB194_410 Depth=2
	s_or_b32 exec_lo, exec_lo, s22
	v_cmp_lt_u32_e64 s37, v47, v3
	s_and_saveexec_b32 s22, s37
	s_cbranch_execnz .LBB194_569
.LBB194_497:                            ;   in Loop: Header=BB194_410 Depth=2
	s_or_b32 exec_lo, exec_lo, s22
	v_cmp_lt_u32_e64 s36, v48, v3
	s_and_saveexec_b32 s22, s36
	s_cbranch_execnz .LBB194_570
.LBB194_498:                            ;   in Loop: Header=BB194_410 Depth=2
	s_or_b32 exec_lo, exec_lo, s22
	v_cmp_lt_u32_e64 s35, v49, v3
	s_and_saveexec_b32 s22, s35
	s_cbranch_execnz .LBB194_571
.LBB194_499:                            ;   in Loop: Header=BB194_410 Depth=2
	s_or_b32 exec_lo, exec_lo, s22
	v_cmp_lt_u32_e64 s34, v50, v3
	s_and_saveexec_b32 s22, s34
	s_cbranch_execnz .LBB194_572
.LBB194_500:                            ;   in Loop: Header=BB194_410 Depth=2
	s_or_b32 exec_lo, exec_lo, s22
	v_cmp_lt_u32_e64 s33, v51, v3
	s_and_saveexec_b32 s22, s33
	s_cbranch_execnz .LBB194_573
.LBB194_501:                            ;   in Loop: Header=BB194_410 Depth=2
	s_or_b32 exec_lo, exec_lo, s22
	v_cmp_lt_u32_e64 s31, v52, v3
	s_and_saveexec_b32 s22, s31
	s_cbranch_execnz .LBB194_574
.LBB194_502:                            ;   in Loop: Header=BB194_410 Depth=2
	s_or_b32 exec_lo, exec_lo, s22
	v_cmp_lt_u32_e64 s30, v53, v3
	s_and_saveexec_b32 s22, s30
	s_cbranch_execnz .LBB194_575
.LBB194_503:                            ;   in Loop: Header=BB194_410 Depth=2
	s_or_b32 exec_lo, exec_lo, s22
	v_cmp_lt_u32_e64 s29, v54, v3
	s_and_saveexec_b32 s22, s29
	s_cbranch_execnz .LBB194_576
.LBB194_504:                            ;   in Loop: Header=BB194_410 Depth=2
	s_or_b32 exec_lo, exec_lo, s22
	v_cmp_lt_u32_e64 s27, v55, v3
	s_and_saveexec_b32 s22, s27
	s_cbranch_execnz .LBB194_577
.LBB194_505:                            ;   in Loop: Header=BB194_410 Depth=2
	s_or_b32 exec_lo, exec_lo, s22
	v_cmp_lt_u32_e64 s26, v56, v3
	s_and_saveexec_b32 s22, s26
	s_cbranch_execnz .LBB194_578
.LBB194_506:                            ;   in Loop: Header=BB194_410 Depth=2
	s_or_b32 exec_lo, exec_lo, s22
	v_cmp_lt_u32_e64 s25, v57, v3
	s_and_saveexec_b32 s22, s25
	s_cbranch_execnz .LBB194_579
.LBB194_507:                            ;   in Loop: Header=BB194_410 Depth=2
	s_or_b32 exec_lo, exec_lo, s22
	v_cmp_lt_u32_e64 s24, v58, v3
	s_and_saveexec_b32 s22, s24
	s_cbranch_execnz .LBB194_580
.LBB194_508:                            ;   in Loop: Header=BB194_410 Depth=2
	s_or_b32 exec_lo, exec_lo, s22
	v_cmp_lt_u32_e64 s23, v59, v3
	s_and_saveexec_b32 s22, s23
	s_cbranch_execnz .LBB194_581
.LBB194_509:                            ;   in Loop: Header=BB194_410 Depth=2
	s_or_b32 exec_lo, exec_lo, s22
	v_cmp_lt_u32_e64 s22, v60, v3
	s_and_saveexec_b32 s40, s22
	s_cbranch_execnz .LBB194_582
.LBB194_510:                            ;   in Loop: Header=BB194_410 Depth=2
	s_or_b32 exec_lo, exec_lo, s40
	v_cmp_lt_u32_e32 vcc_lo, v61, v3
	s_and_saveexec_b32 s40, vcc_lo
	s_cbranch_execz .LBB194_512
.LBB194_511:                            ;   in Loop: Header=BB194_410 Depth=2
	ds_read_u8 v39, v0 offset:4608
	s_waitcnt lgkmcnt(0)
	v_lshrrev_b32_sdwa v40, s61, v39 dst_sel:DWORD dst_unused:UNUSED_PAD src0_sel:DWORD src1_sel:BYTE_0
	v_and_b32_e32 v40, s62, v40
	v_lshlrev_b32_e32 v40, 2, v40
	ds_read_b32 v40, v40
	s_waitcnt lgkmcnt(0)
	v_add_nc_u32_e32 v40, v40, v61
	global_store_byte v40, v39, s[48:49]
.LBB194_512:                            ;   in Loop: Header=BB194_410 Depth=2
	s_or_b32 exec_lo, exec_lo, s40
	s_lshl_b64 s[66:67], s[50:51], 3
	v_add_co_u32 v39, s40, v94, s66
	v_add_co_ci_u32_e64 v40, null, s67, v95, s40
	v_cmp_lt_u32_e64 s40, v93, v3
	s_and_saveexec_b32 s50, s40
	s_xor_b32 s40, exec_lo, s50
	s_cbranch_execnz .LBB194_583
; %bb.513:                              ;   in Loop: Header=BB194_410 Depth=2
	s_or_b32 exec_lo, exec_lo, s40
	s_mov_b32 s50, exec_lo
	v_cmpx_lt_u32_e64 v96, v3
	s_cbranch_execnz .LBB194_584
.LBB194_514:                            ;   in Loop: Header=BB194_410 Depth=2
	s_or_b32 exec_lo, exec_lo, s50
	s_mov_b32 s50, exec_lo
	v_cmpx_lt_u32_e64 v97, v3
	s_cbranch_execnz .LBB194_585
.LBB194_515:                            ;   in Loop: Header=BB194_410 Depth=2
	s_or_b32 exec_lo, exec_lo, s50
	s_mov_b32 s50, exec_lo
	v_cmpx_lt_u32_e64 v98, v3
	s_cbranch_execnz .LBB194_586
.LBB194_516:                            ;   in Loop: Header=BB194_410 Depth=2
	s_or_b32 exec_lo, exec_lo, s50
	s_mov_b32 s50, exec_lo
	v_cmpx_lt_u32_e64 v99, v3
	s_cbranch_execnz .LBB194_587
.LBB194_517:                            ;   in Loop: Header=BB194_410 Depth=2
	s_or_b32 exec_lo, exec_lo, s50
	s_mov_b32 s50, exec_lo
	v_cmpx_lt_u32_e64 v100, v3
	s_cbranch_execnz .LBB194_588
.LBB194_518:                            ;   in Loop: Header=BB194_410 Depth=2
	s_or_b32 exec_lo, exec_lo, s50
	s_mov_b32 s50, exec_lo
	v_cmpx_lt_u32_e64 v101, v3
	s_cbranch_execnz .LBB194_589
.LBB194_519:                            ;   in Loop: Header=BB194_410 Depth=2
	s_or_b32 exec_lo, exec_lo, s50
	s_mov_b32 s50, exec_lo
	v_cmpx_lt_u32_e64 v102, v3
	s_cbranch_execnz .LBB194_590
.LBB194_520:                            ;   in Loop: Header=BB194_410 Depth=2
	s_or_b32 exec_lo, exec_lo, s50
	s_mov_b32 s50, exec_lo
	v_cmpx_lt_u32_e64 v103, v3
	s_cbranch_execnz .LBB194_591
.LBB194_521:                            ;   in Loop: Header=BB194_410 Depth=2
	s_or_b32 exec_lo, exec_lo, s50
	s_mov_b32 s50, exec_lo
	v_cmpx_lt_u32_e64 v104, v3
	s_cbranch_execnz .LBB194_592
.LBB194_522:                            ;   in Loop: Header=BB194_410 Depth=2
	s_or_b32 exec_lo, exec_lo, s50
	s_mov_b32 s50, exec_lo
	v_cmpx_lt_u32_e64 v105, v3
	s_cbranch_execnz .LBB194_593
.LBB194_523:                            ;   in Loop: Header=BB194_410 Depth=2
	s_or_b32 exec_lo, exec_lo, s50
	s_mov_b32 s50, exec_lo
	v_cmpx_lt_u32_e64 v106, v3
	s_cbranch_execnz .LBB194_594
.LBB194_524:                            ;   in Loop: Header=BB194_410 Depth=2
	s_or_b32 exec_lo, exec_lo, s50
	s_mov_b32 s50, exec_lo
	v_cmpx_lt_u32_e64 v107, v3
	s_cbranch_execnz .LBB194_595
.LBB194_525:                            ;   in Loop: Header=BB194_410 Depth=2
	s_or_b32 exec_lo, exec_lo, s50
	s_mov_b32 s50, exec_lo
	v_cmpx_lt_u32_e64 v108, v3
	s_cbranch_execnz .LBB194_596
.LBB194_526:                            ;   in Loop: Header=BB194_410 Depth=2
	s_or_b32 exec_lo, exec_lo, s50
	s_mov_b32 s50, exec_lo
	v_cmpx_lt_u32_e64 v109, v3
	s_cbranch_execnz .LBB194_597
.LBB194_527:                            ;   in Loop: Header=BB194_410 Depth=2
	s_or_b32 exec_lo, exec_lo, s50
	s_mov_b32 s50, exec_lo
	v_cmpx_lt_u32_e64 v110, v3
	s_cbranch_execnz .LBB194_598
.LBB194_528:                            ;   in Loop: Header=BB194_410 Depth=2
	s_or_b32 exec_lo, exec_lo, s50
	s_mov_b32 s50, exec_lo
	v_cmpx_lt_u32_e64 v111, v3
	s_cbranch_execnz .LBB194_599
.LBB194_529:                            ;   in Loop: Header=BB194_410 Depth=2
	s_or_b32 exec_lo, exec_lo, s50
	s_and_saveexec_b32 s40, s39
	s_cbranch_execnz .LBB194_600
.LBB194_530:                            ;   in Loop: Header=BB194_410 Depth=2
	s_or_b32 exec_lo, exec_lo, s40
	s_and_saveexec_b32 s40, s38
	s_cbranch_execnz .LBB194_601
.LBB194_531:                            ;   in Loop: Header=BB194_410 Depth=2
	s_or_b32 exec_lo, exec_lo, s40
	s_and_saveexec_b32 s40, s37
	s_cbranch_execnz .LBB194_602
.LBB194_532:                            ;   in Loop: Header=BB194_410 Depth=2
	s_or_b32 exec_lo, exec_lo, s40
	s_and_saveexec_b32 s40, s36
	s_cbranch_execnz .LBB194_603
.LBB194_533:                            ;   in Loop: Header=BB194_410 Depth=2
	s_or_b32 exec_lo, exec_lo, s40
	s_and_saveexec_b32 s40, s35
	s_cbranch_execnz .LBB194_604
.LBB194_534:                            ;   in Loop: Header=BB194_410 Depth=2
	s_or_b32 exec_lo, exec_lo, s40
	s_and_saveexec_b32 s40, s34
	s_cbranch_execnz .LBB194_605
.LBB194_535:                            ;   in Loop: Header=BB194_410 Depth=2
	s_or_b32 exec_lo, exec_lo, s40
	s_and_saveexec_b32 s40, s33
	s_cbranch_execnz .LBB194_606
.LBB194_536:                            ;   in Loop: Header=BB194_410 Depth=2
	s_or_b32 exec_lo, exec_lo, s40
	s_and_saveexec_b32 s40, s31
	s_cbranch_execnz .LBB194_607
.LBB194_537:                            ;   in Loop: Header=BB194_410 Depth=2
	s_or_b32 exec_lo, exec_lo, s40
	s_and_saveexec_b32 s40, s30
	s_cbranch_execnz .LBB194_608
.LBB194_538:                            ;   in Loop: Header=BB194_410 Depth=2
	s_or_b32 exec_lo, exec_lo, s40
	s_and_saveexec_b32 s40, s29
	s_cbranch_execnz .LBB194_609
.LBB194_539:                            ;   in Loop: Header=BB194_410 Depth=2
	s_or_b32 exec_lo, exec_lo, s40
	s_and_saveexec_b32 s40, s27
	s_cbranch_execnz .LBB194_610
.LBB194_540:                            ;   in Loop: Header=BB194_410 Depth=2
	s_or_b32 exec_lo, exec_lo, s40
	s_and_saveexec_b32 s40, s26
	s_cbranch_execnz .LBB194_611
.LBB194_541:                            ;   in Loop: Header=BB194_410 Depth=2
	s_or_b32 exec_lo, exec_lo, s40
	s_and_saveexec_b32 s40, s25
	s_cbranch_execnz .LBB194_612
.LBB194_542:                            ;   in Loop: Header=BB194_410 Depth=2
	s_or_b32 exec_lo, exec_lo, s40
	s_and_saveexec_b32 s40, s24
	s_cbranch_execnz .LBB194_613
.LBB194_543:                            ;   in Loop: Header=BB194_410 Depth=2
	s_or_b32 exec_lo, exec_lo, s40
	s_and_saveexec_b32 s40, s23
	s_cbranch_execnz .LBB194_614
.LBB194_544:                            ;   in Loop: Header=BB194_410 Depth=2
	s_or_b32 exec_lo, exec_lo, s40
	s_and_saveexec_b32 s40, s22
	s_cbranch_execnz .LBB194_615
.LBB194_545:                            ;   in Loop: Header=BB194_410 Depth=2
	s_or_b32 exec_lo, exec_lo, s40
	s_and_saveexec_b32 s40, vcc_lo
	s_cbranch_execz .LBB194_547
.LBB194_546:                            ;   in Loop: Header=BB194_410 Depth=2
	ds_read_u8 v3, v0 offset:4608
	s_waitcnt lgkmcnt(0)
	v_lshrrev_b32_e32 v3, s61, v3
	v_and_b32_e32 v115, s62, v3
.LBB194_547:                            ;   in Loop: Header=BB194_410 Depth=2
	s_or_b32 exec_lo, exec_lo, s40
	v_lshlrev_b32_e32 v3, 3, v173
	v_lshlrev_b32_e32 v39, 3, v170
	s_waitcnt vmcnt(0)
	s_waitcnt_vscnt null, 0x0
	s_barrier
	buffer_gl0_inv
	ds_write_b64 v3, v[37:38] offset:512
	ds_write_b64 v39, v[35:36] offset:512
	v_lshlrev_b32_e32 v3, 3, v167
	v_lshlrev_b32_e32 v39, 3, v164
	v_lshlrev_b32_e32 v40, 3, v161
	v_lshlrev_b32_e32 v134, 3, v160
	v_lshlrev_b32_e32 v135, 3, v159
	ds_write_b64 v3, v[33:34] offset:512
	ds_write_b64 v39, v[31:32] offset:512
	ds_write_b64 v40, v[29:30] offset:512
	ds_write_b64 v134, v[25:26] offset:512
	ds_write_b64 v135, v[21:22] offset:512
	v_lshlrev_b32_e32 v3, 3, v158
	v_lshlrev_b32_e32 v39, 3, v157
	v_lshlrev_b32_e32 v40, 3, v156
	v_lshlrev_b32_e32 v134, 3, v155
	v_lshlrev_b32_e32 v135, 3, v154
	ds_write_b64 v3, v[17:18] offset:512
	ds_write_b64 v39, v[27:28] offset:512
	ds_write_b64 v40, v[23:24] offset:512
	;; [unrolled: 10-line block ×3, first 2 shown]
	ds_write_b64 v42, v[7:8] offset:512
	ds_write_b64 v41, v[5:6] offset:512
	s_waitcnt lgkmcnt(0)
	s_barrier
	buffer_gl0_inv
	s_and_saveexec_b32 s40, s39
	s_cbranch_execnz .LBB194_616
; %bb.548:                              ;   in Loop: Header=BB194_410 Depth=2
	s_or_b32 exec_lo, exec_lo, s40
	s_and_saveexec_b32 s39, s38
	s_cbranch_execnz .LBB194_617
.LBB194_549:                            ;   in Loop: Header=BB194_410 Depth=2
	s_or_b32 exec_lo, exec_lo, s39
	s_and_saveexec_b32 s38, s37
	s_cbranch_execnz .LBB194_618
.LBB194_550:                            ;   in Loop: Header=BB194_410 Depth=2
	s_or_b32 exec_lo, exec_lo, s38
	s_and_saveexec_b32 s37, s36
	s_cbranch_execnz .LBB194_619
.LBB194_551:                            ;   in Loop: Header=BB194_410 Depth=2
	s_or_b32 exec_lo, exec_lo, s37
	s_and_saveexec_b32 s36, s35
	s_cbranch_execnz .LBB194_620
.LBB194_552:                            ;   in Loop: Header=BB194_410 Depth=2
	s_or_b32 exec_lo, exec_lo, s36
	s_and_saveexec_b32 s35, s34
	s_cbranch_execnz .LBB194_621
.LBB194_553:                            ;   in Loop: Header=BB194_410 Depth=2
	s_or_b32 exec_lo, exec_lo, s35
	s_and_saveexec_b32 s34, s33
	s_cbranch_execnz .LBB194_622
.LBB194_554:                            ;   in Loop: Header=BB194_410 Depth=2
	s_or_b32 exec_lo, exec_lo, s34
	s_and_saveexec_b32 s33, s31
	s_cbranch_execnz .LBB194_623
.LBB194_555:                            ;   in Loop: Header=BB194_410 Depth=2
	s_or_b32 exec_lo, exec_lo, s33
	s_and_saveexec_b32 s31, s30
	s_cbranch_execnz .LBB194_624
.LBB194_556:                            ;   in Loop: Header=BB194_410 Depth=2
	s_or_b32 exec_lo, exec_lo, s31
	s_and_saveexec_b32 s30, s29
	s_cbranch_execnz .LBB194_625
.LBB194_557:                            ;   in Loop: Header=BB194_410 Depth=2
	s_or_b32 exec_lo, exec_lo, s30
	s_and_saveexec_b32 s29, s27
	s_cbranch_execnz .LBB194_626
.LBB194_558:                            ;   in Loop: Header=BB194_410 Depth=2
	s_or_b32 exec_lo, exec_lo, s29
	s_and_saveexec_b32 s27, s26
	s_cbranch_execnz .LBB194_627
.LBB194_559:                            ;   in Loop: Header=BB194_410 Depth=2
	s_or_b32 exec_lo, exec_lo, s27
	s_and_saveexec_b32 s26, s25
	s_cbranch_execnz .LBB194_628
.LBB194_560:                            ;   in Loop: Header=BB194_410 Depth=2
	s_or_b32 exec_lo, exec_lo, s26
	s_and_saveexec_b32 s25, s24
	s_cbranch_execnz .LBB194_629
.LBB194_561:                            ;   in Loop: Header=BB194_410 Depth=2
	s_or_b32 exec_lo, exec_lo, s25
	s_and_saveexec_b32 s24, s23
	s_cbranch_execnz .LBB194_630
.LBB194_562:                            ;   in Loop: Header=BB194_410 Depth=2
	s_or_b32 exec_lo, exec_lo, s24
	s_and_saveexec_b32 s23, s22
	s_cbranch_execnz .LBB194_631
.LBB194_563:                            ;   in Loop: Header=BB194_410 Depth=2
	s_or_b32 exec_lo, exec_lo, s23
	s_and_saveexec_b32 s22, vcc_lo
	s_cbranch_execz .LBB194_565
.LBB194_564:                            ;   in Loop: Header=BB194_410 Depth=2
	v_lshlrev_b32_e32 v3, 2, v115
	v_add_nc_u32_e32 v39, v0, v75
	ds_read_b32 v3, v3
	ds_read_b64 v[39:40], v39 offset:33280
	s_waitcnt lgkmcnt(1)
	v_add_nc_u32_e32 v3, v3, v61
	v_lshlrev_b64 v[41:42], 3, v[3:4]
	v_add_co_u32 v41, vcc_lo, s54, v41
	v_add_co_ci_u32_e64 v42, null, s55, v42, vcc_lo
	s_waitcnt lgkmcnt(0)
	global_store_dwordx2 v[41:42], v[39:40], off
.LBB194_565:                            ;   in Loop: Header=BB194_410 Depth=2
	s_or_b32 exec_lo, exec_lo, s22
	s_waitcnt_vscnt null, 0x0
	s_barrier
	buffer_gl0_inv
	s_and_saveexec_b32 s22, s7
	s_cbranch_execz .LBB194_409
; %bb.566:                              ;   in Loop: Header=BB194_410 Depth=2
	ds_read_b32 v3, v43
	s_waitcnt lgkmcnt(0)
	v_add3_u32 v3, v132, v133, v3
	ds_write_b32 v43, v3
	s_branch .LBB194_409
.LBB194_567:                            ;   in Loop: Header=BB194_410 Depth=2
	ds_read_u8 v39, v0 offset:512
	s_waitcnt lgkmcnt(0)
	v_lshrrev_b32_sdwa v40, s61, v39 dst_sel:DWORD dst_unused:UNUSED_PAD src0_sel:DWORD src1_sel:BYTE_0
	v_and_b32_e32 v40, s62, v40
	v_lshlrev_b32_e32 v40, 2, v40
	ds_read_b32 v40, v40
	s_waitcnt lgkmcnt(0)
	v_add_nc_u32_e32 v40, v40, v0
	global_store_byte v40, v39, s[48:49]
	s_or_b32 exec_lo, exec_lo, s22
	v_cmp_lt_u32_e64 s38, v44, v3
	s_and_saveexec_b32 s22, s38
	s_cbranch_execz .LBB194_496
.LBB194_568:                            ;   in Loop: Header=BB194_410 Depth=2
	ds_read_u8 v39, v0 offset:768
	s_waitcnt lgkmcnt(0)
	v_lshrrev_b32_sdwa v40, s61, v39 dst_sel:DWORD dst_unused:UNUSED_PAD src0_sel:DWORD src1_sel:BYTE_0
	v_and_b32_e32 v40, s62, v40
	v_lshlrev_b32_e32 v40, 2, v40
	ds_read_b32 v40, v40
	s_waitcnt lgkmcnt(0)
	v_add_nc_u32_e32 v40, v40, v44
	global_store_byte v40, v39, s[48:49]
	s_or_b32 exec_lo, exec_lo, s22
	v_cmp_lt_u32_e64 s37, v47, v3
	s_and_saveexec_b32 s22, s37
	s_cbranch_execz .LBB194_497
.LBB194_569:                            ;   in Loop: Header=BB194_410 Depth=2
	ds_read_u8 v39, v0 offset:1024
	s_waitcnt lgkmcnt(0)
	v_lshrrev_b32_sdwa v40, s61, v39 dst_sel:DWORD dst_unused:UNUSED_PAD src0_sel:DWORD src1_sel:BYTE_0
	v_and_b32_e32 v40, s62, v40
	v_lshlrev_b32_e32 v40, 2, v40
	ds_read_b32 v40, v40
	s_waitcnt lgkmcnt(0)
	v_add_nc_u32_e32 v40, v40, v47
	global_store_byte v40, v39, s[48:49]
	s_or_b32 exec_lo, exec_lo, s22
	v_cmp_lt_u32_e64 s36, v48, v3
	s_and_saveexec_b32 s22, s36
	s_cbranch_execz .LBB194_498
.LBB194_570:                            ;   in Loop: Header=BB194_410 Depth=2
	ds_read_u8 v39, v0 offset:1280
	s_waitcnt lgkmcnt(0)
	v_lshrrev_b32_sdwa v40, s61, v39 dst_sel:DWORD dst_unused:UNUSED_PAD src0_sel:DWORD src1_sel:BYTE_0
	v_and_b32_e32 v40, s62, v40
	v_lshlrev_b32_e32 v40, 2, v40
	ds_read_b32 v40, v40
	s_waitcnt lgkmcnt(0)
	v_add_nc_u32_e32 v40, v40, v48
	global_store_byte v40, v39, s[48:49]
	s_or_b32 exec_lo, exec_lo, s22
	v_cmp_lt_u32_e64 s35, v49, v3
	s_and_saveexec_b32 s22, s35
	s_cbranch_execz .LBB194_499
.LBB194_571:                            ;   in Loop: Header=BB194_410 Depth=2
	ds_read_u8 v39, v0 offset:1536
	s_waitcnt lgkmcnt(0)
	v_lshrrev_b32_sdwa v40, s61, v39 dst_sel:DWORD dst_unused:UNUSED_PAD src0_sel:DWORD src1_sel:BYTE_0
	v_and_b32_e32 v40, s62, v40
	v_lshlrev_b32_e32 v40, 2, v40
	ds_read_b32 v40, v40
	s_waitcnt lgkmcnt(0)
	v_add_nc_u32_e32 v40, v40, v49
	global_store_byte v40, v39, s[48:49]
	s_or_b32 exec_lo, exec_lo, s22
	v_cmp_lt_u32_e64 s34, v50, v3
	s_and_saveexec_b32 s22, s34
	s_cbranch_execz .LBB194_500
.LBB194_572:                            ;   in Loop: Header=BB194_410 Depth=2
	ds_read_u8 v39, v0 offset:1792
	s_waitcnt lgkmcnt(0)
	v_lshrrev_b32_sdwa v40, s61, v39 dst_sel:DWORD dst_unused:UNUSED_PAD src0_sel:DWORD src1_sel:BYTE_0
	v_and_b32_e32 v40, s62, v40
	v_lshlrev_b32_e32 v40, 2, v40
	ds_read_b32 v40, v40
	s_waitcnt lgkmcnt(0)
	v_add_nc_u32_e32 v40, v40, v50
	global_store_byte v40, v39, s[48:49]
	s_or_b32 exec_lo, exec_lo, s22
	v_cmp_lt_u32_e64 s33, v51, v3
	s_and_saveexec_b32 s22, s33
	s_cbranch_execz .LBB194_501
.LBB194_573:                            ;   in Loop: Header=BB194_410 Depth=2
	ds_read_u8 v39, v0 offset:2048
	s_waitcnt lgkmcnt(0)
	v_lshrrev_b32_sdwa v40, s61, v39 dst_sel:DWORD dst_unused:UNUSED_PAD src0_sel:DWORD src1_sel:BYTE_0
	v_and_b32_e32 v40, s62, v40
	v_lshlrev_b32_e32 v40, 2, v40
	ds_read_b32 v40, v40
	s_waitcnt lgkmcnt(0)
	v_add_nc_u32_e32 v40, v40, v51
	global_store_byte v40, v39, s[48:49]
	s_or_b32 exec_lo, exec_lo, s22
	v_cmp_lt_u32_e64 s31, v52, v3
	s_and_saveexec_b32 s22, s31
	s_cbranch_execz .LBB194_502
.LBB194_574:                            ;   in Loop: Header=BB194_410 Depth=2
	ds_read_u8 v39, v0 offset:2304
	s_waitcnt lgkmcnt(0)
	v_lshrrev_b32_sdwa v40, s61, v39 dst_sel:DWORD dst_unused:UNUSED_PAD src0_sel:DWORD src1_sel:BYTE_0
	v_and_b32_e32 v40, s62, v40
	v_lshlrev_b32_e32 v40, 2, v40
	ds_read_b32 v40, v40
	s_waitcnt lgkmcnt(0)
	v_add_nc_u32_e32 v40, v40, v52
	global_store_byte v40, v39, s[48:49]
	s_or_b32 exec_lo, exec_lo, s22
	v_cmp_lt_u32_e64 s30, v53, v3
	s_and_saveexec_b32 s22, s30
	s_cbranch_execz .LBB194_503
.LBB194_575:                            ;   in Loop: Header=BB194_410 Depth=2
	ds_read_u8 v39, v0 offset:2560
	s_waitcnt lgkmcnt(0)
	v_lshrrev_b32_sdwa v40, s61, v39 dst_sel:DWORD dst_unused:UNUSED_PAD src0_sel:DWORD src1_sel:BYTE_0
	v_and_b32_e32 v40, s62, v40
	v_lshlrev_b32_e32 v40, 2, v40
	ds_read_b32 v40, v40
	s_waitcnt lgkmcnt(0)
	v_add_nc_u32_e32 v40, v40, v53
	global_store_byte v40, v39, s[48:49]
	s_or_b32 exec_lo, exec_lo, s22
	v_cmp_lt_u32_e64 s29, v54, v3
	s_and_saveexec_b32 s22, s29
	s_cbranch_execz .LBB194_504
.LBB194_576:                            ;   in Loop: Header=BB194_410 Depth=2
	ds_read_u8 v39, v0 offset:2816
	s_waitcnt lgkmcnt(0)
	v_lshrrev_b32_sdwa v40, s61, v39 dst_sel:DWORD dst_unused:UNUSED_PAD src0_sel:DWORD src1_sel:BYTE_0
	v_and_b32_e32 v40, s62, v40
	v_lshlrev_b32_e32 v40, 2, v40
	ds_read_b32 v40, v40
	s_waitcnt lgkmcnt(0)
	v_add_nc_u32_e32 v40, v40, v54
	global_store_byte v40, v39, s[48:49]
	s_or_b32 exec_lo, exec_lo, s22
	v_cmp_lt_u32_e64 s27, v55, v3
	s_and_saveexec_b32 s22, s27
	s_cbranch_execz .LBB194_505
.LBB194_577:                            ;   in Loop: Header=BB194_410 Depth=2
	ds_read_u8 v39, v0 offset:3072
	s_waitcnt lgkmcnt(0)
	v_lshrrev_b32_sdwa v40, s61, v39 dst_sel:DWORD dst_unused:UNUSED_PAD src0_sel:DWORD src1_sel:BYTE_0
	v_and_b32_e32 v40, s62, v40
	v_lshlrev_b32_e32 v40, 2, v40
	ds_read_b32 v40, v40
	s_waitcnt lgkmcnt(0)
	v_add_nc_u32_e32 v40, v40, v55
	global_store_byte v40, v39, s[48:49]
	s_or_b32 exec_lo, exec_lo, s22
	v_cmp_lt_u32_e64 s26, v56, v3
	s_and_saveexec_b32 s22, s26
	s_cbranch_execz .LBB194_506
.LBB194_578:                            ;   in Loop: Header=BB194_410 Depth=2
	ds_read_u8 v39, v0 offset:3328
	s_waitcnt lgkmcnt(0)
	v_lshrrev_b32_sdwa v40, s61, v39 dst_sel:DWORD dst_unused:UNUSED_PAD src0_sel:DWORD src1_sel:BYTE_0
	v_and_b32_e32 v40, s62, v40
	v_lshlrev_b32_e32 v40, 2, v40
	ds_read_b32 v40, v40
	s_waitcnt lgkmcnt(0)
	v_add_nc_u32_e32 v40, v40, v56
	global_store_byte v40, v39, s[48:49]
	s_or_b32 exec_lo, exec_lo, s22
	v_cmp_lt_u32_e64 s25, v57, v3
	s_and_saveexec_b32 s22, s25
	s_cbranch_execz .LBB194_507
.LBB194_579:                            ;   in Loop: Header=BB194_410 Depth=2
	ds_read_u8 v39, v0 offset:3584
	s_waitcnt lgkmcnt(0)
	v_lshrrev_b32_sdwa v40, s61, v39 dst_sel:DWORD dst_unused:UNUSED_PAD src0_sel:DWORD src1_sel:BYTE_0
	v_and_b32_e32 v40, s62, v40
	v_lshlrev_b32_e32 v40, 2, v40
	ds_read_b32 v40, v40
	s_waitcnt lgkmcnt(0)
	v_add_nc_u32_e32 v40, v40, v57
	global_store_byte v40, v39, s[48:49]
	s_or_b32 exec_lo, exec_lo, s22
	v_cmp_lt_u32_e64 s24, v58, v3
	s_and_saveexec_b32 s22, s24
	s_cbranch_execz .LBB194_508
.LBB194_580:                            ;   in Loop: Header=BB194_410 Depth=2
	ds_read_u8 v39, v0 offset:3840
	s_waitcnt lgkmcnt(0)
	v_lshrrev_b32_sdwa v40, s61, v39 dst_sel:DWORD dst_unused:UNUSED_PAD src0_sel:DWORD src1_sel:BYTE_0
	v_and_b32_e32 v40, s62, v40
	v_lshlrev_b32_e32 v40, 2, v40
	ds_read_b32 v40, v40
	s_waitcnt lgkmcnt(0)
	v_add_nc_u32_e32 v40, v40, v58
	global_store_byte v40, v39, s[48:49]
	s_or_b32 exec_lo, exec_lo, s22
	v_cmp_lt_u32_e64 s23, v59, v3
	s_and_saveexec_b32 s22, s23
	s_cbranch_execz .LBB194_509
.LBB194_581:                            ;   in Loop: Header=BB194_410 Depth=2
	ds_read_u8 v39, v0 offset:4096
	s_waitcnt lgkmcnt(0)
	v_lshrrev_b32_sdwa v40, s61, v39 dst_sel:DWORD dst_unused:UNUSED_PAD src0_sel:DWORD src1_sel:BYTE_0
	v_and_b32_e32 v40, s62, v40
	v_lshlrev_b32_e32 v40, 2, v40
	ds_read_b32 v40, v40
	s_waitcnt lgkmcnt(0)
	v_add_nc_u32_e32 v40, v40, v59
	global_store_byte v40, v39, s[48:49]
	s_or_b32 exec_lo, exec_lo, s22
	v_cmp_lt_u32_e64 s22, v60, v3
	s_and_saveexec_b32 s40, s22
	s_cbranch_execz .LBB194_510
.LBB194_582:                            ;   in Loop: Header=BB194_410 Depth=2
	ds_read_u8 v39, v0 offset:4352
	s_waitcnt lgkmcnt(0)
	v_lshrrev_b32_sdwa v40, s61, v39 dst_sel:DWORD dst_unused:UNUSED_PAD src0_sel:DWORD src1_sel:BYTE_0
	v_and_b32_e32 v40, s62, v40
	v_lshlrev_b32_e32 v40, 2, v40
	ds_read_b32 v40, v40
	s_waitcnt lgkmcnt(0)
	v_add_nc_u32_e32 v40, v40, v60
	global_store_byte v40, v39, s[48:49]
	s_or_b32 exec_lo, exec_lo, s40
	v_cmp_lt_u32_e32 vcc_lo, v61, v3
	s_and_saveexec_b32 s40, vcc_lo
	s_cbranch_execnz .LBB194_511
	s_branch .LBB194_512
.LBB194_583:                            ;   in Loop: Header=BB194_410 Depth=2
	global_load_dwordx2 v[37:38], v[39:40], off
	s_or_b32 exec_lo, exec_lo, s40
	s_mov_b32 s50, exec_lo
	v_cmpx_lt_u32_e64 v96, v3
	s_cbranch_execz .LBB194_514
.LBB194_584:                            ;   in Loop: Header=BB194_410 Depth=2
	global_load_dwordx2 v[35:36], v[39:40], off offset:256
	s_or_b32 exec_lo, exec_lo, s50
	s_mov_b32 s50, exec_lo
	v_cmpx_lt_u32_e64 v97, v3
	s_cbranch_execz .LBB194_515
.LBB194_585:                            ;   in Loop: Header=BB194_410 Depth=2
	global_load_dwordx2 v[33:34], v[39:40], off offset:512
	s_or_b32 exec_lo, exec_lo, s50
	s_mov_b32 s50, exec_lo
	v_cmpx_lt_u32_e64 v98, v3
	s_cbranch_execz .LBB194_516
.LBB194_586:                            ;   in Loop: Header=BB194_410 Depth=2
	global_load_dwordx2 v[31:32], v[39:40], off offset:768
	s_or_b32 exec_lo, exec_lo, s50
	s_mov_b32 s50, exec_lo
	v_cmpx_lt_u32_e64 v99, v3
	s_cbranch_execz .LBB194_517
.LBB194_587:                            ;   in Loop: Header=BB194_410 Depth=2
	global_load_dwordx2 v[29:30], v[39:40], off offset:1024
	s_or_b32 exec_lo, exec_lo, s50
	s_mov_b32 s50, exec_lo
	v_cmpx_lt_u32_e64 v100, v3
	s_cbranch_execz .LBB194_518
.LBB194_588:                            ;   in Loop: Header=BB194_410 Depth=2
	global_load_dwordx2 v[25:26], v[39:40], off offset:1280
	s_or_b32 exec_lo, exec_lo, s50
	s_mov_b32 s50, exec_lo
	v_cmpx_lt_u32_e64 v101, v3
	s_cbranch_execz .LBB194_519
.LBB194_589:                            ;   in Loop: Header=BB194_410 Depth=2
	global_load_dwordx2 v[21:22], v[39:40], off offset:1536
	s_or_b32 exec_lo, exec_lo, s50
	s_mov_b32 s50, exec_lo
	v_cmpx_lt_u32_e64 v102, v3
	s_cbranch_execz .LBB194_520
.LBB194_590:                            ;   in Loop: Header=BB194_410 Depth=2
	global_load_dwordx2 v[17:18], v[39:40], off offset:1792
	s_or_b32 exec_lo, exec_lo, s50
	s_mov_b32 s50, exec_lo
	v_cmpx_lt_u32_e64 v103, v3
	s_cbranch_execz .LBB194_521
.LBB194_591:                            ;   in Loop: Header=BB194_410 Depth=2
	v_add_co_u32 v27, s40, 0x800, v39
	v_add_co_ci_u32_e64 v28, null, 0, v40, s40
	global_load_dwordx2 v[27:28], v[27:28], off
	s_or_b32 exec_lo, exec_lo, s50
	s_mov_b32 s50, exec_lo
	v_cmpx_lt_u32_e64 v104, v3
	s_cbranch_execz .LBB194_522
.LBB194_592:                            ;   in Loop: Header=BB194_410 Depth=2
	v_add_co_u32 v23, s40, 0x800, v39
	v_add_co_ci_u32_e64 v24, null, 0, v40, s40
	global_load_dwordx2 v[23:24], v[23:24], off offset:256
	s_or_b32 exec_lo, exec_lo, s50
	s_mov_b32 s50, exec_lo
	v_cmpx_lt_u32_e64 v105, v3
	s_cbranch_execz .LBB194_523
.LBB194_593:                            ;   in Loop: Header=BB194_410 Depth=2
	v_add_co_u32 v19, s40, 0x800, v39
	v_add_co_ci_u32_e64 v20, null, 0, v40, s40
	global_load_dwordx2 v[19:20], v[19:20], off offset:512
	s_or_b32 exec_lo, exec_lo, s50
	s_mov_b32 s50, exec_lo
	v_cmpx_lt_u32_e64 v106, v3
	s_cbranch_execz .LBB194_524
.LBB194_594:                            ;   in Loop: Header=BB194_410 Depth=2
	v_add_co_u32 v15, s40, 0x800, v39
	v_add_co_ci_u32_e64 v16, null, 0, v40, s40
	global_load_dwordx2 v[15:16], v[15:16], off offset:768
	s_or_b32 exec_lo, exec_lo, s50
	s_mov_b32 s50, exec_lo
	v_cmpx_lt_u32_e64 v107, v3
	s_cbranch_execz .LBB194_525
.LBB194_595:                            ;   in Loop: Header=BB194_410 Depth=2
	v_add_co_u32 v13, s40, 0x800, v39
	v_add_co_ci_u32_e64 v14, null, 0, v40, s40
	global_load_dwordx2 v[13:14], v[13:14], off offset:1024
	s_or_b32 exec_lo, exec_lo, s50
	s_mov_b32 s50, exec_lo
	v_cmpx_lt_u32_e64 v108, v3
	s_cbranch_execz .LBB194_526
.LBB194_596:                            ;   in Loop: Header=BB194_410 Depth=2
	v_add_co_u32 v11, s40, 0x800, v39
	v_add_co_ci_u32_e64 v12, null, 0, v40, s40
	global_load_dwordx2 v[11:12], v[11:12], off offset:1280
	s_or_b32 exec_lo, exec_lo, s50
	s_mov_b32 s50, exec_lo
	v_cmpx_lt_u32_e64 v109, v3
	s_cbranch_execz .LBB194_527
.LBB194_597:                            ;   in Loop: Header=BB194_410 Depth=2
	v_add_co_u32 v9, s40, 0x800, v39
	v_add_co_ci_u32_e64 v10, null, 0, v40, s40
	global_load_dwordx2 v[9:10], v[9:10], off offset:1536
	s_or_b32 exec_lo, exec_lo, s50
	s_mov_b32 s50, exec_lo
	v_cmpx_lt_u32_e64 v110, v3
	s_cbranch_execz .LBB194_528
.LBB194_598:                            ;   in Loop: Header=BB194_410 Depth=2
	v_add_co_u32 v7, s40, 0x800, v39
	v_add_co_ci_u32_e64 v8, null, 0, v40, s40
	global_load_dwordx2 v[7:8], v[7:8], off offset:1792
	s_or_b32 exec_lo, exec_lo, s50
	s_mov_b32 s50, exec_lo
	v_cmpx_lt_u32_e64 v111, v3
	s_cbranch_execz .LBB194_529
.LBB194_599:                            ;   in Loop: Header=BB194_410 Depth=2
	v_add_co_u32 v5, s40, 0x1000, v39
	v_add_co_ci_u32_e64 v6, null, 0, v40, s40
	global_load_dwordx2 v[5:6], v[5:6], off
	s_or_b32 exec_lo, exec_lo, s50
	s_and_saveexec_b32 s40, s39
	s_cbranch_execz .LBB194_530
.LBB194_600:                            ;   in Loop: Header=BB194_410 Depth=2
	ds_read_u8 v3, v0 offset:512
	s_waitcnt lgkmcnt(0)
	v_lshrrev_b32_e32 v3, s61, v3
	v_and_b32_e32 v131, s62, v3
	s_or_b32 exec_lo, exec_lo, s40
	s_and_saveexec_b32 s40, s38
	s_cbranch_execz .LBB194_531
.LBB194_601:                            ;   in Loop: Header=BB194_410 Depth=2
	ds_read_u8 v3, v0 offset:768
	s_waitcnt lgkmcnt(0)
	v_lshrrev_b32_e32 v3, s61, v3
	v_and_b32_e32 v130, s62, v3
	s_or_b32 exec_lo, exec_lo, s40
	s_and_saveexec_b32 s40, s37
	s_cbranch_execz .LBB194_532
.LBB194_602:                            ;   in Loop: Header=BB194_410 Depth=2
	ds_read_u8 v3, v0 offset:1024
	s_waitcnt lgkmcnt(0)
	v_lshrrev_b32_e32 v3, s61, v3
	v_and_b32_e32 v129, s62, v3
	s_or_b32 exec_lo, exec_lo, s40
	s_and_saveexec_b32 s40, s36
	s_cbranch_execz .LBB194_533
.LBB194_603:                            ;   in Loop: Header=BB194_410 Depth=2
	ds_read_u8 v3, v0 offset:1280
	s_waitcnt lgkmcnt(0)
	v_lshrrev_b32_e32 v3, s61, v3
	v_and_b32_e32 v128, s62, v3
	s_or_b32 exec_lo, exec_lo, s40
	s_and_saveexec_b32 s40, s35
	s_cbranch_execz .LBB194_534
.LBB194_604:                            ;   in Loop: Header=BB194_410 Depth=2
	ds_read_u8 v3, v0 offset:1536
	s_waitcnt lgkmcnt(0)
	v_lshrrev_b32_e32 v3, s61, v3
	v_and_b32_e32 v127, s62, v3
	s_or_b32 exec_lo, exec_lo, s40
	s_and_saveexec_b32 s40, s34
	s_cbranch_execz .LBB194_535
.LBB194_605:                            ;   in Loop: Header=BB194_410 Depth=2
	ds_read_u8 v3, v0 offset:1792
	s_waitcnt lgkmcnt(0)
	v_lshrrev_b32_e32 v3, s61, v3
	v_and_b32_e32 v126, s62, v3
	s_or_b32 exec_lo, exec_lo, s40
	s_and_saveexec_b32 s40, s33
	s_cbranch_execz .LBB194_536
.LBB194_606:                            ;   in Loop: Header=BB194_410 Depth=2
	ds_read_u8 v3, v0 offset:2048
	s_waitcnt lgkmcnt(0)
	v_lshrrev_b32_e32 v3, s61, v3
	v_and_b32_e32 v125, s62, v3
	s_or_b32 exec_lo, exec_lo, s40
	s_and_saveexec_b32 s40, s31
	s_cbranch_execz .LBB194_537
.LBB194_607:                            ;   in Loop: Header=BB194_410 Depth=2
	ds_read_u8 v3, v0 offset:2304
	s_waitcnt lgkmcnt(0)
	v_lshrrev_b32_e32 v3, s61, v3
	v_and_b32_e32 v124, s62, v3
	s_or_b32 exec_lo, exec_lo, s40
	s_and_saveexec_b32 s40, s30
	s_cbranch_execz .LBB194_538
.LBB194_608:                            ;   in Loop: Header=BB194_410 Depth=2
	ds_read_u8 v3, v0 offset:2560
	s_waitcnt lgkmcnt(0)
	v_lshrrev_b32_e32 v3, s61, v3
	v_and_b32_e32 v123, s62, v3
	s_or_b32 exec_lo, exec_lo, s40
	s_and_saveexec_b32 s40, s29
	s_cbranch_execz .LBB194_539
.LBB194_609:                            ;   in Loop: Header=BB194_410 Depth=2
	ds_read_u8 v3, v0 offset:2816
	s_waitcnt lgkmcnt(0)
	v_lshrrev_b32_e32 v3, s61, v3
	v_and_b32_e32 v122, s62, v3
	s_or_b32 exec_lo, exec_lo, s40
	s_and_saveexec_b32 s40, s27
	s_cbranch_execz .LBB194_540
.LBB194_610:                            ;   in Loop: Header=BB194_410 Depth=2
	ds_read_u8 v3, v0 offset:3072
	s_waitcnt lgkmcnt(0)
	v_lshrrev_b32_e32 v3, s61, v3
	v_and_b32_e32 v121, s62, v3
	s_or_b32 exec_lo, exec_lo, s40
	s_and_saveexec_b32 s40, s26
	s_cbranch_execz .LBB194_541
.LBB194_611:                            ;   in Loop: Header=BB194_410 Depth=2
	ds_read_u8 v3, v0 offset:3328
	s_waitcnt lgkmcnt(0)
	v_lshrrev_b32_e32 v3, s61, v3
	v_and_b32_e32 v120, s62, v3
	s_or_b32 exec_lo, exec_lo, s40
	s_and_saveexec_b32 s40, s25
	s_cbranch_execz .LBB194_542
.LBB194_612:                            ;   in Loop: Header=BB194_410 Depth=2
	ds_read_u8 v3, v0 offset:3584
	s_waitcnt lgkmcnt(0)
	v_lshrrev_b32_e32 v3, s61, v3
	v_and_b32_e32 v119, s62, v3
	s_or_b32 exec_lo, exec_lo, s40
	s_and_saveexec_b32 s40, s24
	s_cbranch_execz .LBB194_543
.LBB194_613:                            ;   in Loop: Header=BB194_410 Depth=2
	ds_read_u8 v3, v0 offset:3840
	s_waitcnt lgkmcnt(0)
	v_lshrrev_b32_e32 v3, s61, v3
	v_and_b32_e32 v118, s62, v3
	s_or_b32 exec_lo, exec_lo, s40
	s_and_saveexec_b32 s40, s23
	s_cbranch_execz .LBB194_544
.LBB194_614:                            ;   in Loop: Header=BB194_410 Depth=2
	ds_read_u8 v3, v0 offset:4096
	s_waitcnt lgkmcnt(0)
	v_lshrrev_b32_e32 v3, s61, v3
	v_and_b32_e32 v117, s62, v3
	s_or_b32 exec_lo, exec_lo, s40
	s_and_saveexec_b32 s40, s22
	s_cbranch_execz .LBB194_545
.LBB194_615:                            ;   in Loop: Header=BB194_410 Depth=2
	ds_read_u8 v3, v0 offset:4352
	s_waitcnt lgkmcnt(0)
	v_lshrrev_b32_e32 v3, s61, v3
	v_and_b32_e32 v116, s62, v3
	s_or_b32 exec_lo, exec_lo, s40
	s_and_saveexec_b32 s40, vcc_lo
	s_cbranch_execnz .LBB194_546
	s_branch .LBB194_547
.LBB194_616:                            ;   in Loop: Header=BB194_410 Depth=2
	v_lshlrev_b32_e32 v3, 2, v131
	v_add_nc_u32_e32 v39, v0, v75
	ds_read_b32 v3, v3
	ds_read_b64 v[39:40], v39 offset:512
	s_waitcnt lgkmcnt(1)
	v_add_nc_u32_e32 v3, v3, v0
	v_lshlrev_b64 v[41:42], 3, v[3:4]
	v_add_co_u32 v41, s39, s54, v41
	v_add_co_ci_u32_e64 v42, null, s55, v42, s39
	s_waitcnt lgkmcnt(0)
	global_store_dwordx2 v[41:42], v[39:40], off
	s_or_b32 exec_lo, exec_lo, s40
	s_and_saveexec_b32 s39, s38
	s_cbranch_execz .LBB194_549
.LBB194_617:                            ;   in Loop: Header=BB194_410 Depth=2
	v_lshlrev_b32_e32 v3, 2, v130
	v_add_nc_u32_e32 v39, v0, v75
	ds_read_b32 v3, v3
	ds_read_b64 v[39:40], v39 offset:2560
	s_waitcnt lgkmcnt(1)
	v_add_nc_u32_e32 v3, v3, v44
	v_lshlrev_b64 v[41:42], 3, v[3:4]
	v_add_co_u32 v41, s38, s54, v41
	v_add_co_ci_u32_e64 v42, null, s55, v42, s38
	s_waitcnt lgkmcnt(0)
	global_store_dwordx2 v[41:42], v[39:40], off
	s_or_b32 exec_lo, exec_lo, s39
	s_and_saveexec_b32 s38, s37
	s_cbranch_execz .LBB194_550
.LBB194_618:                            ;   in Loop: Header=BB194_410 Depth=2
	v_lshlrev_b32_e32 v3, 2, v129
	v_add_nc_u32_e32 v39, v0, v75
	ds_read_b32 v3, v3
	ds_read_b64 v[39:40], v39 offset:4608
	s_waitcnt lgkmcnt(1)
	v_add_nc_u32_e32 v3, v3, v47
	v_lshlrev_b64 v[41:42], 3, v[3:4]
	v_add_co_u32 v41, s37, s54, v41
	v_add_co_ci_u32_e64 v42, null, s55, v42, s37
	s_waitcnt lgkmcnt(0)
	global_store_dwordx2 v[41:42], v[39:40], off
	s_or_b32 exec_lo, exec_lo, s38
	s_and_saveexec_b32 s37, s36
	s_cbranch_execz .LBB194_551
.LBB194_619:                            ;   in Loop: Header=BB194_410 Depth=2
	v_lshlrev_b32_e32 v3, 2, v128
	v_add_nc_u32_e32 v39, v0, v75
	ds_read_b32 v3, v3
	ds_read_b64 v[39:40], v39 offset:6656
	s_waitcnt lgkmcnt(1)
	v_add_nc_u32_e32 v3, v3, v48
	v_lshlrev_b64 v[41:42], 3, v[3:4]
	v_add_co_u32 v41, s36, s54, v41
	v_add_co_ci_u32_e64 v42, null, s55, v42, s36
	s_waitcnt lgkmcnt(0)
	global_store_dwordx2 v[41:42], v[39:40], off
	s_or_b32 exec_lo, exec_lo, s37
	s_and_saveexec_b32 s36, s35
	s_cbranch_execz .LBB194_552
.LBB194_620:                            ;   in Loop: Header=BB194_410 Depth=2
	v_lshlrev_b32_e32 v3, 2, v127
	v_add_nc_u32_e32 v39, v0, v75
	ds_read_b32 v3, v3
	ds_read_b64 v[39:40], v39 offset:8704
	s_waitcnt lgkmcnt(1)
	v_add_nc_u32_e32 v3, v3, v49
	v_lshlrev_b64 v[41:42], 3, v[3:4]
	v_add_co_u32 v41, s35, s54, v41
	v_add_co_ci_u32_e64 v42, null, s55, v42, s35
	s_waitcnt lgkmcnt(0)
	global_store_dwordx2 v[41:42], v[39:40], off
	s_or_b32 exec_lo, exec_lo, s36
	s_and_saveexec_b32 s35, s34
	s_cbranch_execz .LBB194_553
.LBB194_621:                            ;   in Loop: Header=BB194_410 Depth=2
	v_lshlrev_b32_e32 v3, 2, v126
	v_add_nc_u32_e32 v39, v0, v75
	ds_read_b32 v3, v3
	ds_read_b64 v[39:40], v39 offset:10752
	s_waitcnt lgkmcnt(1)
	v_add_nc_u32_e32 v3, v3, v50
	v_lshlrev_b64 v[41:42], 3, v[3:4]
	v_add_co_u32 v41, s34, s54, v41
	v_add_co_ci_u32_e64 v42, null, s55, v42, s34
	s_waitcnt lgkmcnt(0)
	global_store_dwordx2 v[41:42], v[39:40], off
	s_or_b32 exec_lo, exec_lo, s35
	s_and_saveexec_b32 s34, s33
	s_cbranch_execz .LBB194_554
.LBB194_622:                            ;   in Loop: Header=BB194_410 Depth=2
	v_lshlrev_b32_e32 v3, 2, v125
	v_add_nc_u32_e32 v39, v0, v75
	ds_read_b32 v3, v3
	ds_read_b64 v[39:40], v39 offset:12800
	s_waitcnt lgkmcnt(1)
	v_add_nc_u32_e32 v3, v3, v51
	v_lshlrev_b64 v[41:42], 3, v[3:4]
	v_add_co_u32 v41, s33, s54, v41
	v_add_co_ci_u32_e64 v42, null, s55, v42, s33
	s_waitcnt lgkmcnt(0)
	global_store_dwordx2 v[41:42], v[39:40], off
	s_or_b32 exec_lo, exec_lo, s34
	s_and_saveexec_b32 s33, s31
	s_cbranch_execz .LBB194_555
.LBB194_623:                            ;   in Loop: Header=BB194_410 Depth=2
	v_lshlrev_b32_e32 v3, 2, v124
	v_add_nc_u32_e32 v39, v0, v75
	ds_read_b32 v3, v3
	ds_read_b64 v[39:40], v39 offset:14848
	s_waitcnt lgkmcnt(1)
	v_add_nc_u32_e32 v3, v3, v52
	v_lshlrev_b64 v[41:42], 3, v[3:4]
	v_add_co_u32 v41, s31, s54, v41
	v_add_co_ci_u32_e64 v42, null, s55, v42, s31
	s_waitcnt lgkmcnt(0)
	global_store_dwordx2 v[41:42], v[39:40], off
	s_or_b32 exec_lo, exec_lo, s33
	s_and_saveexec_b32 s31, s30
	s_cbranch_execz .LBB194_556
.LBB194_624:                            ;   in Loop: Header=BB194_410 Depth=2
	v_lshlrev_b32_e32 v3, 2, v123
	v_add_nc_u32_e32 v39, v0, v75
	ds_read_b32 v3, v3
	ds_read_b64 v[39:40], v39 offset:16896
	s_waitcnt lgkmcnt(1)
	v_add_nc_u32_e32 v3, v3, v53
	v_lshlrev_b64 v[41:42], 3, v[3:4]
	v_add_co_u32 v41, s30, s54, v41
	v_add_co_ci_u32_e64 v42, null, s55, v42, s30
	s_waitcnt lgkmcnt(0)
	global_store_dwordx2 v[41:42], v[39:40], off
	s_or_b32 exec_lo, exec_lo, s31
	s_and_saveexec_b32 s30, s29
	s_cbranch_execz .LBB194_557
.LBB194_625:                            ;   in Loop: Header=BB194_410 Depth=2
	v_lshlrev_b32_e32 v3, 2, v122
	v_add_nc_u32_e32 v39, v0, v75
	ds_read_b32 v3, v3
	ds_read_b64 v[39:40], v39 offset:18944
	s_waitcnt lgkmcnt(1)
	v_add_nc_u32_e32 v3, v3, v54
	v_lshlrev_b64 v[41:42], 3, v[3:4]
	v_add_co_u32 v41, s29, s54, v41
	v_add_co_ci_u32_e64 v42, null, s55, v42, s29
	s_waitcnt lgkmcnt(0)
	global_store_dwordx2 v[41:42], v[39:40], off
	s_or_b32 exec_lo, exec_lo, s30
	s_and_saveexec_b32 s29, s27
	s_cbranch_execz .LBB194_558
.LBB194_626:                            ;   in Loop: Header=BB194_410 Depth=2
	v_lshlrev_b32_e32 v3, 2, v121
	v_add_nc_u32_e32 v39, v0, v75
	ds_read_b32 v3, v3
	ds_read_b64 v[39:40], v39 offset:20992
	s_waitcnt lgkmcnt(1)
	v_add_nc_u32_e32 v3, v3, v55
	v_lshlrev_b64 v[41:42], 3, v[3:4]
	v_add_co_u32 v41, s27, s54, v41
	v_add_co_ci_u32_e64 v42, null, s55, v42, s27
	s_waitcnt lgkmcnt(0)
	global_store_dwordx2 v[41:42], v[39:40], off
	s_or_b32 exec_lo, exec_lo, s29
	s_and_saveexec_b32 s27, s26
	s_cbranch_execz .LBB194_559
.LBB194_627:                            ;   in Loop: Header=BB194_410 Depth=2
	v_lshlrev_b32_e32 v3, 2, v120
	v_add_nc_u32_e32 v39, v0, v75
	ds_read_b32 v3, v3
	ds_read_b64 v[39:40], v39 offset:23040
	s_waitcnt lgkmcnt(1)
	v_add_nc_u32_e32 v3, v3, v56
	v_lshlrev_b64 v[41:42], 3, v[3:4]
	v_add_co_u32 v41, s26, s54, v41
	v_add_co_ci_u32_e64 v42, null, s55, v42, s26
	s_waitcnt lgkmcnt(0)
	global_store_dwordx2 v[41:42], v[39:40], off
	s_or_b32 exec_lo, exec_lo, s27
	s_and_saveexec_b32 s26, s25
	s_cbranch_execz .LBB194_560
.LBB194_628:                            ;   in Loop: Header=BB194_410 Depth=2
	v_lshlrev_b32_e32 v3, 2, v119
	v_add_nc_u32_e32 v39, v0, v75
	ds_read_b32 v3, v3
	ds_read_b64 v[39:40], v39 offset:25088
	s_waitcnt lgkmcnt(1)
	v_add_nc_u32_e32 v3, v3, v57
	v_lshlrev_b64 v[41:42], 3, v[3:4]
	v_add_co_u32 v41, s25, s54, v41
	v_add_co_ci_u32_e64 v42, null, s55, v42, s25
	s_waitcnt lgkmcnt(0)
	global_store_dwordx2 v[41:42], v[39:40], off
	s_or_b32 exec_lo, exec_lo, s26
	s_and_saveexec_b32 s25, s24
	s_cbranch_execz .LBB194_561
.LBB194_629:                            ;   in Loop: Header=BB194_410 Depth=2
	v_lshlrev_b32_e32 v3, 2, v118
	v_add_nc_u32_e32 v39, v0, v75
	ds_read_b32 v3, v3
	ds_read_b64 v[39:40], v39 offset:27136
	s_waitcnt lgkmcnt(1)
	v_add_nc_u32_e32 v3, v3, v58
	v_lshlrev_b64 v[41:42], 3, v[3:4]
	v_add_co_u32 v41, s24, s54, v41
	v_add_co_ci_u32_e64 v42, null, s55, v42, s24
	s_waitcnt lgkmcnt(0)
	global_store_dwordx2 v[41:42], v[39:40], off
	s_or_b32 exec_lo, exec_lo, s25
	s_and_saveexec_b32 s24, s23
	s_cbranch_execz .LBB194_562
.LBB194_630:                            ;   in Loop: Header=BB194_410 Depth=2
	v_lshlrev_b32_e32 v3, 2, v117
	v_add_nc_u32_e32 v39, v0, v75
	ds_read_b32 v3, v3
	ds_read_b64 v[39:40], v39 offset:29184
	s_waitcnt lgkmcnt(1)
	v_add_nc_u32_e32 v3, v3, v59
	v_lshlrev_b64 v[41:42], 3, v[3:4]
	v_add_co_u32 v41, s23, s54, v41
	v_add_co_ci_u32_e64 v42, null, s55, v42, s23
	s_waitcnt lgkmcnt(0)
	global_store_dwordx2 v[41:42], v[39:40], off
	s_or_b32 exec_lo, exec_lo, s24
	s_and_saveexec_b32 s23, s22
	s_cbranch_execz .LBB194_563
.LBB194_631:                            ;   in Loop: Header=BB194_410 Depth=2
	v_lshlrev_b32_e32 v3, 2, v116
	v_add_nc_u32_e32 v39, v0, v75
	ds_read_b32 v3, v3
	ds_read_b64 v[39:40], v39 offset:31232
	s_waitcnt lgkmcnt(1)
	v_add_nc_u32_e32 v3, v3, v60
	v_lshlrev_b64 v[41:42], 3, v[3:4]
	v_add_co_u32 v41, s22, s54, v41
	v_add_co_ci_u32_e64 v42, null, s55, v42, s22
	s_waitcnt lgkmcnt(0)
	global_store_dwordx2 v[41:42], v[39:40], off
	s_or_b32 exec_lo, exec_lo, s23
	s_and_saveexec_b32 s22, vcc_lo
	s_cbranch_execnz .LBB194_564
	s_branch .LBB194_565
.LBB194_632:                            ;   in Loop: Header=BB194_12 Depth=1
	s_waitcnt lgkmcnt(0)
	s_barrier
.LBB194_633:                            ;   in Loop: Header=BB194_12 Depth=1
	s_mov_b32 s5, 0
.LBB194_634:                            ;   in Loop: Header=BB194_12 Depth=1
	s_andn2_b32 vcc_lo, exec_lo, s5
	s_cbranch_vccnz .LBB194_11
; %bb.635:                              ;   in Loop: Header=BB194_12 Depth=1
	s_and_b32 vcc_lo, exec_lo, s43
	s_mov_b32 s5, -1
	s_cbranch_vccz .LBB194_945
; %bb.636:                              ;   in Loop: Header=BB194_12 Depth=1
	v_mov_b32_e32 v17, 0
	v_mov_b32_e32 v20, 0
	;; [unrolled: 1-line block ×17, first 2 shown]
	s_mov_b32 s5, s60
	s_mov_b32 s16, s58
	s_barrier
	buffer_gl0_inv
	s_branch .LBB194_638
.LBB194_637:                            ;   in Loop: Header=BB194_638 Depth=2
	s_or_b32 exec_lo, exec_lo, s15
	s_addk_i32 s5, 0xef00
	s_cmp_ge_u32 s14, s59
	s_mov_b32 s16, s14
	s_cbranch_scc1 .LBB194_710
.LBB194_638:                            ;   Parent Loop BB194_12 Depth=1
                                        ; =>  This Inner Loop Header: Depth=2
	s_add_i32 s14, s16, 0x1100
	s_mov_b32 s15, -1
	s_cmp_gt_u32 s14, s59
                                        ; implicit-def: $vgpr21
                                        ; implicit-def: $vgpr22
                                        ; implicit-def: $vgpr23
                                        ; implicit-def: $vgpr24
                                        ; implicit-def: $vgpr25
                                        ; implicit-def: $vgpr26
                                        ; implicit-def: $vgpr27
                                        ; implicit-def: $vgpr28
                                        ; implicit-def: $vgpr29
                                        ; implicit-def: $vgpr30
                                        ; implicit-def: $vgpr31
                                        ; implicit-def: $vgpr32
                                        ; implicit-def: $vgpr33
                                        ; implicit-def: $vgpr34
                                        ; implicit-def: $vgpr35
                                        ; implicit-def: $vgpr36
                                        ; implicit-def: $vgpr37
	s_cbranch_scc1 .LBB194_640
; %bb.639:                              ;   in Loop: Header=BB194_638 Depth=2
	v_add_co_u32 v38, vcc_lo, v82, s16
	v_add_co_ci_u32_e64 v39, null, 0, v83, vcc_lo
	s_mov_b32 s15, 0
	v_add_co_u32 v21, vcc_lo, 0x800, v38
	v_add_co_ci_u32_e64 v22, null, 0, v39, vcc_lo
	v_add_co_u32 v23, vcc_lo, 0x1000, v38
	v_add_co_ci_u32_e64 v24, null, 0, v39, vcc_lo
	s_clause 0x10
	global_load_ubyte v36, v[21:22], off offset:1792
	global_load_ubyte v37, v[23:24], off
	global_load_ubyte v35, v[21:22], off offset:1536
	global_load_ubyte v34, v[21:22], off offset:1280
	;; [unrolled: 1-line block ×6, first 2 shown]
	global_load_ubyte v29, v[21:22], off
	global_load_ubyte v28, v[38:39], off offset:1792
	global_load_ubyte v27, v[38:39], off offset:1536
	;; [unrolled: 1-line block ×7, first 2 shown]
	global_load_ubyte v21, v[38:39], off
.LBB194_640:                            ;   in Loop: Header=BB194_638 Depth=2
	s_andn2_b32 vcc_lo, exec_lo, s15
	s_movk_i32 s15, 0x1100
	s_cbranch_vccnz .LBB194_660
; %bb.641:                              ;   in Loop: Header=BB194_638 Depth=2
	s_add_u32 s15, s44, s16
	s_addc_u32 s16, s45, 0
	s_mov_b32 s17, exec_lo
	v_cmpx_gt_u32_e64 s5, v0
	s_cbranch_execnz .LBB194_694
; %bb.642:                              ;   in Loop: Header=BB194_638 Depth=2
	s_or_b32 exec_lo, exec_lo, s17
	s_mov_b32 s17, exec_lo
	v_cmpx_gt_u32_e64 s5, v44
	s_cbranch_execnz .LBB194_695
.LBB194_643:                            ;   in Loop: Header=BB194_638 Depth=2
	s_or_b32 exec_lo, exec_lo, s17
	s_mov_b32 s17, exec_lo
	v_cmpx_gt_u32_e64 s5, v47
	s_cbranch_execnz .LBB194_696
.LBB194_644:                            ;   in Loop: Header=BB194_638 Depth=2
	s_or_b32 exec_lo, exec_lo, s17
	s_mov_b32 s17, exec_lo
	v_cmpx_gt_u32_e64 s5, v48
	s_cbranch_execnz .LBB194_697
.LBB194_645:                            ;   in Loop: Header=BB194_638 Depth=2
	s_or_b32 exec_lo, exec_lo, s17
	s_mov_b32 s17, exec_lo
	v_cmpx_gt_u32_e64 s5, v49
	s_cbranch_execnz .LBB194_698
.LBB194_646:                            ;   in Loop: Header=BB194_638 Depth=2
	s_or_b32 exec_lo, exec_lo, s17
	s_mov_b32 s17, exec_lo
	v_cmpx_gt_u32_e64 s5, v50
	s_cbranch_execnz .LBB194_699
.LBB194_647:                            ;   in Loop: Header=BB194_638 Depth=2
	s_or_b32 exec_lo, exec_lo, s17
	s_mov_b32 s17, exec_lo
	v_cmpx_gt_u32_e64 s5, v51
	s_cbranch_execnz .LBB194_700
.LBB194_648:                            ;   in Loop: Header=BB194_638 Depth=2
	s_or_b32 exec_lo, exec_lo, s17
	s_mov_b32 s17, exec_lo
	v_cmpx_gt_u32_e64 s5, v52
	s_cbranch_execnz .LBB194_701
.LBB194_649:                            ;   in Loop: Header=BB194_638 Depth=2
	s_or_b32 exec_lo, exec_lo, s17
	s_mov_b32 s17, exec_lo
	v_cmpx_gt_u32_e64 s5, v53
	s_cbranch_execnz .LBB194_702
.LBB194_650:                            ;   in Loop: Header=BB194_638 Depth=2
	s_or_b32 exec_lo, exec_lo, s17
	s_mov_b32 s17, exec_lo
	v_cmpx_gt_u32_e64 s5, v54
	s_cbranch_execnz .LBB194_703
.LBB194_651:                            ;   in Loop: Header=BB194_638 Depth=2
	s_or_b32 exec_lo, exec_lo, s17
	s_mov_b32 s17, exec_lo
	v_cmpx_gt_u32_e64 s5, v55
	s_cbranch_execnz .LBB194_704
.LBB194_652:                            ;   in Loop: Header=BB194_638 Depth=2
	s_or_b32 exec_lo, exec_lo, s17
	s_mov_b32 s17, exec_lo
	v_cmpx_gt_u32_e64 s5, v56
	s_cbranch_execnz .LBB194_705
.LBB194_653:                            ;   in Loop: Header=BB194_638 Depth=2
	s_or_b32 exec_lo, exec_lo, s17
	s_mov_b32 s17, exec_lo
	v_cmpx_gt_u32_e64 s5, v57
	s_cbranch_execnz .LBB194_706
.LBB194_654:                            ;   in Loop: Header=BB194_638 Depth=2
	s_or_b32 exec_lo, exec_lo, s17
	s_mov_b32 s17, exec_lo
	v_cmpx_gt_u32_e64 s5, v58
	s_cbranch_execnz .LBB194_707
.LBB194_655:                            ;   in Loop: Header=BB194_638 Depth=2
	s_or_b32 exec_lo, exec_lo, s17
	s_mov_b32 s17, exec_lo
	v_cmpx_gt_u32_e64 s5, v59
	s_cbranch_execnz .LBB194_708
.LBB194_656:                            ;   in Loop: Header=BB194_638 Depth=2
	s_or_b32 exec_lo, exec_lo, s17
	s_mov_b32 s17, exec_lo
	v_cmpx_gt_u32_e64 s5, v60
	s_cbranch_execnz .LBB194_709
.LBB194_657:                            ;   in Loop: Header=BB194_638 Depth=2
	s_or_b32 exec_lo, exec_lo, s17
	s_mov_b32 s17, exec_lo
	v_cmpx_gt_u32_e64 s5, v61
	s_cbranch_execz .LBB194_659
.LBB194_658:                            ;   in Loop: Header=BB194_638 Depth=2
	s_waitcnt vmcnt(0)
	v_add_co_u32 v21, s15, s15, v61
	v_add_co_ci_u32_e64 v22, null, s16, 0, s15
	global_load_ubyte v3, v[21:22], off
.LBB194_659:                            ;   in Loop: Header=BB194_638 Depth=2
	s_or_b32 exec_lo, exec_lo, s17
	s_waitcnt vmcnt(0)
	v_mov_b32_e32 v21, v17
	v_mov_b32_e32 v22, v20
	;; [unrolled: 1-line block ×17, first 2 shown]
	s_mov_b32 s15, s5
.LBB194_660:                            ;   in Loop: Header=BB194_638 Depth=2
	s_waitcnt vmcnt(15)
	v_mov_b32_e32 v3, v37
	v_mov_b32_e32 v5, v36
	s_waitcnt vmcnt(14)
	v_mov_b32_e32 v6, v35
	s_waitcnt vmcnt(13)
	;; [unrolled: 2-line block ×15, first 2 shown]
	v_mov_b32_e32 v17, v21
	s_mov_b32 s16, exec_lo
	v_cmpx_gt_u32_e64 s15, v0
	s_cbranch_execnz .LBB194_677
; %bb.661:                              ;   in Loop: Header=BB194_638 Depth=2
	s_or_b32 exec_lo, exec_lo, s16
	s_mov_b32 s16, exec_lo
	v_cmpx_gt_u32_e64 s15, v44
	s_cbranch_execnz .LBB194_678
.LBB194_662:                            ;   in Loop: Header=BB194_638 Depth=2
	s_or_b32 exec_lo, exec_lo, s16
	s_mov_b32 s16, exec_lo
	v_cmpx_gt_u32_e64 s15, v47
	s_cbranch_execnz .LBB194_679
.LBB194_663:                            ;   in Loop: Header=BB194_638 Depth=2
	s_or_b32 exec_lo, exec_lo, s16
	s_mov_b32 s16, exec_lo
	v_cmpx_gt_u32_e64 s15, v48
	s_cbranch_execnz .LBB194_680
.LBB194_664:                            ;   in Loop: Header=BB194_638 Depth=2
	s_or_b32 exec_lo, exec_lo, s16
	s_mov_b32 s16, exec_lo
	v_cmpx_gt_u32_e64 s15, v49
	s_cbranch_execnz .LBB194_681
.LBB194_665:                            ;   in Loop: Header=BB194_638 Depth=2
	s_or_b32 exec_lo, exec_lo, s16
	s_mov_b32 s16, exec_lo
	v_cmpx_gt_u32_e64 s15, v50
	s_cbranch_execnz .LBB194_682
.LBB194_666:                            ;   in Loop: Header=BB194_638 Depth=2
	s_or_b32 exec_lo, exec_lo, s16
	s_mov_b32 s16, exec_lo
	v_cmpx_gt_u32_e64 s15, v51
	s_cbranch_execnz .LBB194_683
.LBB194_667:                            ;   in Loop: Header=BB194_638 Depth=2
	s_or_b32 exec_lo, exec_lo, s16
	s_mov_b32 s16, exec_lo
	v_cmpx_gt_u32_e64 s15, v52
	s_cbranch_execnz .LBB194_684
.LBB194_668:                            ;   in Loop: Header=BB194_638 Depth=2
	s_or_b32 exec_lo, exec_lo, s16
	s_mov_b32 s16, exec_lo
	v_cmpx_gt_u32_e64 s15, v53
	s_cbranch_execnz .LBB194_685
.LBB194_669:                            ;   in Loop: Header=BB194_638 Depth=2
	s_or_b32 exec_lo, exec_lo, s16
	s_mov_b32 s16, exec_lo
	v_cmpx_gt_u32_e64 s15, v54
	s_cbranch_execnz .LBB194_686
.LBB194_670:                            ;   in Loop: Header=BB194_638 Depth=2
	s_or_b32 exec_lo, exec_lo, s16
	s_mov_b32 s16, exec_lo
	v_cmpx_gt_u32_e64 s15, v55
	s_cbranch_execnz .LBB194_687
.LBB194_671:                            ;   in Loop: Header=BB194_638 Depth=2
	s_or_b32 exec_lo, exec_lo, s16
	s_mov_b32 s16, exec_lo
	v_cmpx_gt_u32_e64 s15, v56
	s_cbranch_execnz .LBB194_688
.LBB194_672:                            ;   in Loop: Header=BB194_638 Depth=2
	s_or_b32 exec_lo, exec_lo, s16
	s_mov_b32 s16, exec_lo
	v_cmpx_gt_u32_e64 s15, v57
	s_cbranch_execnz .LBB194_689
.LBB194_673:                            ;   in Loop: Header=BB194_638 Depth=2
	s_or_b32 exec_lo, exec_lo, s16
	s_mov_b32 s16, exec_lo
	v_cmpx_gt_u32_e64 s15, v58
	s_cbranch_execnz .LBB194_690
.LBB194_674:                            ;   in Loop: Header=BB194_638 Depth=2
	s_or_b32 exec_lo, exec_lo, s16
	s_mov_b32 s16, exec_lo
	v_cmpx_gt_u32_e64 s15, v59
	s_cbranch_execnz .LBB194_691
.LBB194_675:                            ;   in Loop: Header=BB194_638 Depth=2
	s_or_b32 exec_lo, exec_lo, s16
	s_mov_b32 s16, exec_lo
	v_cmpx_gt_u32_e64 s15, v60
	s_cbranch_execnz .LBB194_692
.LBB194_676:                            ;   in Loop: Header=BB194_638 Depth=2
	s_or_b32 exec_lo, exec_lo, s16
	v_cmp_gt_u32_e32 vcc_lo, s15, v61
	s_and_saveexec_b32 s15, vcc_lo
	s_cbranch_execz .LBB194_637
	s_branch .LBB194_693
.LBB194_677:                            ;   in Loop: Header=BB194_638 Depth=2
	v_lshrrev_b32_sdwa v21, s41, v17 dst_sel:DWORD dst_unused:UNUSED_PAD src0_sel:DWORD src1_sel:BYTE_0
	v_and_b32_e32 v21, s62, v21
	v_lshl_or_b32 v21, v21, 4, v63
	ds_add_u32 v21, v89
	s_or_b32 exec_lo, exec_lo, s16
	s_mov_b32 s16, exec_lo
	v_cmpx_gt_u32_e64 s15, v44
	s_cbranch_execz .LBB194_662
.LBB194_678:                            ;   in Loop: Header=BB194_638 Depth=2
	v_lshrrev_b32_sdwa v21, s41, v20 dst_sel:DWORD dst_unused:UNUSED_PAD src0_sel:DWORD src1_sel:BYTE_0
	v_and_b32_e32 v21, s62, v21
	v_lshl_or_b32 v21, v21, 4, v63
	ds_add_u32 v21, v89
	s_or_b32 exec_lo, exec_lo, s16
	s_mov_b32 s16, exec_lo
	v_cmpx_gt_u32_e64 s15, v47
	s_cbranch_execz .LBB194_663
.LBB194_679:                            ;   in Loop: Header=BB194_638 Depth=2
	v_lshrrev_b32_sdwa v21, s41, v19 dst_sel:DWORD dst_unused:UNUSED_PAD src0_sel:DWORD src1_sel:BYTE_0
	v_and_b32_e32 v21, s62, v21
	v_lshl_or_b32 v21, v21, 4, v63
	ds_add_u32 v21, v89
	s_or_b32 exec_lo, exec_lo, s16
	s_mov_b32 s16, exec_lo
	v_cmpx_gt_u32_e64 s15, v48
	s_cbranch_execz .LBB194_664
.LBB194_680:                            ;   in Loop: Header=BB194_638 Depth=2
	v_lshrrev_b32_sdwa v21, s41, v18 dst_sel:DWORD dst_unused:UNUSED_PAD src0_sel:DWORD src1_sel:BYTE_0
	v_and_b32_e32 v21, s62, v21
	v_lshl_or_b32 v21, v21, 4, v63
	ds_add_u32 v21, v89
	s_or_b32 exec_lo, exec_lo, s16
	s_mov_b32 s16, exec_lo
	v_cmpx_gt_u32_e64 s15, v49
	s_cbranch_execz .LBB194_665
.LBB194_681:                            ;   in Loop: Header=BB194_638 Depth=2
	v_lshrrev_b32_sdwa v21, s41, v16 dst_sel:DWORD dst_unused:UNUSED_PAD src0_sel:DWORD src1_sel:BYTE_0
	v_and_b32_e32 v21, s62, v21
	v_lshl_or_b32 v21, v21, 4, v63
	ds_add_u32 v21, v89
	s_or_b32 exec_lo, exec_lo, s16
	s_mov_b32 s16, exec_lo
	v_cmpx_gt_u32_e64 s15, v50
	s_cbranch_execz .LBB194_666
.LBB194_682:                            ;   in Loop: Header=BB194_638 Depth=2
	v_lshrrev_b32_sdwa v21, s41, v15 dst_sel:DWORD dst_unused:UNUSED_PAD src0_sel:DWORD src1_sel:BYTE_0
	v_and_b32_e32 v21, s62, v21
	v_lshl_or_b32 v21, v21, 4, v63
	ds_add_u32 v21, v89
	s_or_b32 exec_lo, exec_lo, s16
	s_mov_b32 s16, exec_lo
	v_cmpx_gt_u32_e64 s15, v51
	s_cbranch_execz .LBB194_667
.LBB194_683:                            ;   in Loop: Header=BB194_638 Depth=2
	v_lshrrev_b32_sdwa v21, s41, v14 dst_sel:DWORD dst_unused:UNUSED_PAD src0_sel:DWORD src1_sel:BYTE_0
	v_and_b32_e32 v21, s62, v21
	v_lshl_or_b32 v21, v21, 4, v63
	ds_add_u32 v21, v89
	s_or_b32 exec_lo, exec_lo, s16
	s_mov_b32 s16, exec_lo
	v_cmpx_gt_u32_e64 s15, v52
	s_cbranch_execz .LBB194_668
.LBB194_684:                            ;   in Loop: Header=BB194_638 Depth=2
	v_lshrrev_b32_sdwa v21, s41, v13 dst_sel:DWORD dst_unused:UNUSED_PAD src0_sel:DWORD src1_sel:BYTE_0
	v_and_b32_e32 v21, s62, v21
	v_lshl_or_b32 v21, v21, 4, v63
	ds_add_u32 v21, v89
	s_or_b32 exec_lo, exec_lo, s16
	s_mov_b32 s16, exec_lo
	v_cmpx_gt_u32_e64 s15, v53
	s_cbranch_execz .LBB194_669
.LBB194_685:                            ;   in Loop: Header=BB194_638 Depth=2
	v_lshrrev_b32_sdwa v21, s41, v12 dst_sel:DWORD dst_unused:UNUSED_PAD src0_sel:DWORD src1_sel:BYTE_0
	v_and_b32_e32 v21, s62, v21
	v_lshl_or_b32 v21, v21, 4, v63
	ds_add_u32 v21, v89
	s_or_b32 exec_lo, exec_lo, s16
	s_mov_b32 s16, exec_lo
	v_cmpx_gt_u32_e64 s15, v54
	s_cbranch_execz .LBB194_670
.LBB194_686:                            ;   in Loop: Header=BB194_638 Depth=2
	v_lshrrev_b32_sdwa v21, s41, v11 dst_sel:DWORD dst_unused:UNUSED_PAD src0_sel:DWORD src1_sel:BYTE_0
	v_and_b32_e32 v21, s62, v21
	v_lshl_or_b32 v21, v21, 4, v63
	ds_add_u32 v21, v89
	s_or_b32 exec_lo, exec_lo, s16
	s_mov_b32 s16, exec_lo
	v_cmpx_gt_u32_e64 s15, v55
	s_cbranch_execz .LBB194_671
.LBB194_687:                            ;   in Loop: Header=BB194_638 Depth=2
	v_lshrrev_b32_sdwa v21, s41, v10 dst_sel:DWORD dst_unused:UNUSED_PAD src0_sel:DWORD src1_sel:BYTE_0
	v_and_b32_e32 v21, s62, v21
	v_lshl_or_b32 v21, v21, 4, v63
	ds_add_u32 v21, v89
	s_or_b32 exec_lo, exec_lo, s16
	s_mov_b32 s16, exec_lo
	v_cmpx_gt_u32_e64 s15, v56
	s_cbranch_execz .LBB194_672
.LBB194_688:                            ;   in Loop: Header=BB194_638 Depth=2
	v_lshrrev_b32_sdwa v21, s41, v9 dst_sel:DWORD dst_unused:UNUSED_PAD src0_sel:DWORD src1_sel:BYTE_0
	v_and_b32_e32 v21, s62, v21
	v_lshl_or_b32 v21, v21, 4, v63
	ds_add_u32 v21, v89
	s_or_b32 exec_lo, exec_lo, s16
	s_mov_b32 s16, exec_lo
	v_cmpx_gt_u32_e64 s15, v57
	s_cbranch_execz .LBB194_673
.LBB194_689:                            ;   in Loop: Header=BB194_638 Depth=2
	v_lshrrev_b32_sdwa v21, s41, v8 dst_sel:DWORD dst_unused:UNUSED_PAD src0_sel:DWORD src1_sel:BYTE_0
	v_and_b32_e32 v21, s62, v21
	v_lshl_or_b32 v21, v21, 4, v63
	ds_add_u32 v21, v89
	s_or_b32 exec_lo, exec_lo, s16
	s_mov_b32 s16, exec_lo
	v_cmpx_gt_u32_e64 s15, v58
	s_cbranch_execz .LBB194_674
.LBB194_690:                            ;   in Loop: Header=BB194_638 Depth=2
	v_lshrrev_b32_sdwa v21, s41, v7 dst_sel:DWORD dst_unused:UNUSED_PAD src0_sel:DWORD src1_sel:BYTE_0
	v_and_b32_e32 v21, s62, v21
	v_lshl_or_b32 v21, v21, 4, v63
	ds_add_u32 v21, v89
	s_or_b32 exec_lo, exec_lo, s16
	s_mov_b32 s16, exec_lo
	v_cmpx_gt_u32_e64 s15, v59
	s_cbranch_execz .LBB194_675
.LBB194_691:                            ;   in Loop: Header=BB194_638 Depth=2
	v_lshrrev_b32_sdwa v21, s41, v6 dst_sel:DWORD dst_unused:UNUSED_PAD src0_sel:DWORD src1_sel:BYTE_0
	v_and_b32_e32 v21, s62, v21
	v_lshl_or_b32 v21, v21, 4, v63
	ds_add_u32 v21, v89
	s_or_b32 exec_lo, exec_lo, s16
	s_mov_b32 s16, exec_lo
	v_cmpx_gt_u32_e64 s15, v60
	s_cbranch_execz .LBB194_676
.LBB194_692:                            ;   in Loop: Header=BB194_638 Depth=2
	v_lshrrev_b32_sdwa v21, s41, v5 dst_sel:DWORD dst_unused:UNUSED_PAD src0_sel:DWORD src1_sel:BYTE_0
	v_and_b32_e32 v21, s62, v21
	v_lshl_or_b32 v21, v21, 4, v63
	ds_add_u32 v21, v89
	s_or_b32 exec_lo, exec_lo, s16
	v_cmp_gt_u32_e32 vcc_lo, s15, v61
	s_and_saveexec_b32 s15, vcc_lo
	s_cbranch_execz .LBB194_637
.LBB194_693:                            ;   in Loop: Header=BB194_638 Depth=2
	v_lshrrev_b32_sdwa v21, s41, v3 dst_sel:DWORD dst_unused:UNUSED_PAD src0_sel:DWORD src1_sel:BYTE_0
	v_and_b32_e32 v21, s62, v21
	v_lshl_or_b32 v21, v21, 4, v63
	ds_add_u32 v21, v89
	s_branch .LBB194_637
.LBB194_694:                            ;   in Loop: Header=BB194_638 Depth=2
	s_waitcnt vmcnt(0)
	v_add_co_u32 v21, s18, s15, v0
	v_add_co_ci_u32_e64 v22, null, s16, 0, s18
	global_load_ubyte v17, v[21:22], off
	s_or_b32 exec_lo, exec_lo, s17
	s_mov_b32 s17, exec_lo
	v_cmpx_gt_u32_e64 s5, v44
	s_cbranch_execz .LBB194_643
.LBB194_695:                            ;   in Loop: Header=BB194_638 Depth=2
	v_add_co_u32 v20, s18, s15, v0
	s_waitcnt vmcnt(0)
	v_add_co_ci_u32_e64 v21, null, s16, 0, s18
	global_load_ubyte v20, v[20:21], off offset:256
	s_or_b32 exec_lo, exec_lo, s17
	s_mov_b32 s17, exec_lo
	v_cmpx_gt_u32_e64 s5, v47
	s_cbranch_execz .LBB194_644
.LBB194_696:                            ;   in Loop: Header=BB194_638 Depth=2
	s_waitcnt vmcnt(0)
	v_add_co_u32 v21, s18, s15, v0
	v_add_co_ci_u32_e64 v22, null, s16, 0, s18
	global_load_ubyte v19, v[21:22], off offset:512
	s_or_b32 exec_lo, exec_lo, s17
	s_mov_b32 s17, exec_lo
	v_cmpx_gt_u32_e64 s5, v48
	s_cbranch_execz .LBB194_645
.LBB194_697:                            ;   in Loop: Header=BB194_638 Depth=2
	s_waitcnt vmcnt(0)
	v_add_co_u32 v21, s18, s15, v0
	v_add_co_ci_u32_e64 v22, null, s16, 0, s18
	global_load_ubyte v18, v[21:22], off offset:768
	s_or_b32 exec_lo, exec_lo, s17
	s_mov_b32 s17, exec_lo
	v_cmpx_gt_u32_e64 s5, v49
	s_cbranch_execz .LBB194_646
.LBB194_698:                            ;   in Loop: Header=BB194_638 Depth=2
	s_waitcnt vmcnt(0)
	v_add_co_u32 v21, s18, s15, v0
	v_add_co_ci_u32_e64 v22, null, s16, 0, s18
	global_load_ubyte v16, v[21:22], off offset:1024
	s_or_b32 exec_lo, exec_lo, s17
	s_mov_b32 s17, exec_lo
	v_cmpx_gt_u32_e64 s5, v50
	s_cbranch_execz .LBB194_647
.LBB194_699:                            ;   in Loop: Header=BB194_638 Depth=2
	s_waitcnt vmcnt(0)
	v_add_co_u32 v21, s18, s15, v0
	v_add_co_ci_u32_e64 v22, null, s16, 0, s18
	global_load_ubyte v15, v[21:22], off offset:1280
	s_or_b32 exec_lo, exec_lo, s17
	s_mov_b32 s17, exec_lo
	v_cmpx_gt_u32_e64 s5, v51
	s_cbranch_execz .LBB194_648
.LBB194_700:                            ;   in Loop: Header=BB194_638 Depth=2
	s_waitcnt vmcnt(0)
	v_add_co_u32 v21, s18, s15, v0
	v_add_co_ci_u32_e64 v22, null, s16, 0, s18
	global_load_ubyte v14, v[21:22], off offset:1536
	s_or_b32 exec_lo, exec_lo, s17
	s_mov_b32 s17, exec_lo
	v_cmpx_gt_u32_e64 s5, v52
	s_cbranch_execz .LBB194_649
.LBB194_701:                            ;   in Loop: Header=BB194_638 Depth=2
	s_waitcnt vmcnt(0)
	v_add_co_u32 v21, s18, s15, v0
	v_add_co_ci_u32_e64 v22, null, s16, 0, s18
	global_load_ubyte v13, v[21:22], off offset:1792
	s_or_b32 exec_lo, exec_lo, s17
	s_mov_b32 s17, exec_lo
	v_cmpx_gt_u32_e64 s5, v53
	s_cbranch_execz .LBB194_650
.LBB194_702:                            ;   in Loop: Header=BB194_638 Depth=2
	s_waitcnt vmcnt(0)
	v_add_co_u32 v21, s18, s15, v53
	v_add_co_ci_u32_e64 v22, null, s16, 0, s18
	global_load_ubyte v12, v[21:22], off
	s_or_b32 exec_lo, exec_lo, s17
	s_mov_b32 s17, exec_lo
	v_cmpx_gt_u32_e64 s5, v54
	s_cbranch_execz .LBB194_651
.LBB194_703:                            ;   in Loop: Header=BB194_638 Depth=2
	s_waitcnt vmcnt(0)
	v_add_co_u32 v21, s18, s15, v54
	v_add_co_ci_u32_e64 v22, null, s16, 0, s18
	global_load_ubyte v11, v[21:22], off
	s_or_b32 exec_lo, exec_lo, s17
	s_mov_b32 s17, exec_lo
	v_cmpx_gt_u32_e64 s5, v55
	s_cbranch_execz .LBB194_652
.LBB194_704:                            ;   in Loop: Header=BB194_638 Depth=2
	s_waitcnt vmcnt(0)
	v_add_co_u32 v21, s18, s15, v55
	v_add_co_ci_u32_e64 v22, null, s16, 0, s18
	global_load_ubyte v10, v[21:22], off
	s_or_b32 exec_lo, exec_lo, s17
	s_mov_b32 s17, exec_lo
	v_cmpx_gt_u32_e64 s5, v56
	s_cbranch_execz .LBB194_653
.LBB194_705:                            ;   in Loop: Header=BB194_638 Depth=2
	s_waitcnt vmcnt(0)
	v_add_co_u32 v21, s18, s15, v56
	v_add_co_ci_u32_e64 v22, null, s16, 0, s18
	global_load_ubyte v9, v[21:22], off
	s_or_b32 exec_lo, exec_lo, s17
	s_mov_b32 s17, exec_lo
	v_cmpx_gt_u32_e64 s5, v57
	s_cbranch_execz .LBB194_654
.LBB194_706:                            ;   in Loop: Header=BB194_638 Depth=2
	s_waitcnt vmcnt(0)
	v_add_co_u32 v21, s18, s15, v57
	v_add_co_ci_u32_e64 v22, null, s16, 0, s18
	global_load_ubyte v8, v[21:22], off
	s_or_b32 exec_lo, exec_lo, s17
	s_mov_b32 s17, exec_lo
	v_cmpx_gt_u32_e64 s5, v58
	s_cbranch_execz .LBB194_655
.LBB194_707:                            ;   in Loop: Header=BB194_638 Depth=2
	s_waitcnt vmcnt(0)
	v_add_co_u32 v21, s18, s15, v58
	v_add_co_ci_u32_e64 v22, null, s16, 0, s18
	global_load_ubyte v7, v[21:22], off
	s_or_b32 exec_lo, exec_lo, s17
	s_mov_b32 s17, exec_lo
	v_cmpx_gt_u32_e64 s5, v59
	s_cbranch_execz .LBB194_656
.LBB194_708:                            ;   in Loop: Header=BB194_638 Depth=2
	s_waitcnt vmcnt(0)
	v_add_co_u32 v21, s18, s15, v59
	v_add_co_ci_u32_e64 v22, null, s16, 0, s18
	global_load_ubyte v6, v[21:22], off
	s_or_b32 exec_lo, exec_lo, s17
	s_mov_b32 s17, exec_lo
	v_cmpx_gt_u32_e64 s5, v60
	s_cbranch_execz .LBB194_657
.LBB194_709:                            ;   in Loop: Header=BB194_638 Depth=2
	s_waitcnt vmcnt(0)
	v_add_co_u32 v21, s18, s15, v60
	v_add_co_ci_u32_e64 v22, null, s16, 0, s18
	global_load_ubyte v5, v[21:22], off
	s_or_b32 exec_lo, exec_lo, s17
	s_mov_b32 s17, exec_lo
	v_cmpx_gt_u32_e64 s5, v61
	s_cbranch_execnz .LBB194_658
	s_branch .LBB194_659
.LBB194_710:                            ;   in Loop: Header=BB194_12 Depth=1
	v_mov_b32_e32 v3, 0
	s_waitcnt lgkmcnt(0)
	s_barrier
	buffer_gl0_inv
	s_and_saveexec_b32 s5, s7
	s_cbranch_execz .LBB194_712
; %bb.711:                              ;   in Loop: Header=BB194_12 Depth=1
	ds_read2_b64 v[5:8], v64 offset1:1
	s_waitcnt lgkmcnt(0)
	v_add_nc_u32_e32 v3, v6, v5
	v_add3_u32 v3, v3, v7, v8
.LBB194_712:                            ;   in Loop: Header=BB194_12 Depth=1
	s_or_b32 exec_lo, exec_lo, s5
	v_and_b32_e32 v5, 15, v86
	v_mov_b32_dpp v6, v3 row_shr:1 row_mask:0xf bank_mask:0xf
	v_and_b32_e32 v7, 16, v86
	v_cmp_eq_u32_e64 s5, 0, v5
	v_cmp_lt_u32_e64 s14, 1, v5
	v_cmp_lt_u32_e64 s15, 3, v5
	;; [unrolled: 1-line block ×3, first 2 shown]
	v_cmp_eq_u32_e64 s17, 0, v7
	v_cndmask_b32_e64 v6, v6, 0, s5
	v_add_nc_u32_e32 v3, v6, v3
	v_mov_b32_dpp v6, v3 row_shr:2 row_mask:0xf bank_mask:0xf
	v_cndmask_b32_e64 v6, 0, v6, s14
	v_add_nc_u32_e32 v3, v3, v6
	v_mov_b32_dpp v6, v3 row_shr:4 row_mask:0xf bank_mask:0xf
	;; [unrolled: 3-line block ×3, first 2 shown]
	v_cndmask_b32_e64 v5, 0, v6, s16
	v_bfe_i32 v6, v86, 4, 1
	v_add_nc_u32_e32 v3, v3, v5
	ds_swizzle_b32 v5, v3 offset:swizzle(BROADCAST,32,15)
	s_waitcnt lgkmcnt(0)
	v_and_b32_e32 v5, v6, v5
	v_add_nc_u32_e32 v3, v3, v5
	s_and_saveexec_b32 s18, s8
; %bb.713:                              ;   in Loop: Header=BB194_12 Depth=1
	ds_write_b32 v65, v3
; %bb.714:                              ;   in Loop: Header=BB194_12 Depth=1
	s_or_b32 exec_lo, exec_lo, s18
	s_waitcnt lgkmcnt(0)
	s_barrier
	buffer_gl0_inv
	s_and_saveexec_b32 s18, s9
	s_cbranch_execz .LBB194_716
; %bb.715:                              ;   in Loop: Header=BB194_12 Depth=1
	ds_read_b32 v5, v66
	v_and_b32_e32 v6, 3, v86
	v_cmp_ne_u32_e32 vcc_lo, 0, v6
	s_waitcnt lgkmcnt(0)
	v_mov_b32_dpp v7, v5 row_shr:1 row_mask:0xf bank_mask:0xf
	v_cndmask_b32_e32 v7, 0, v7, vcc_lo
	v_cmp_lt_u32_e32 vcc_lo, 1, v6
	v_add_nc_u32_e32 v5, v7, v5
	v_mov_b32_dpp v7, v5 row_shr:2 row_mask:0xf bank_mask:0xf
	v_cndmask_b32_e32 v6, 0, v7, vcc_lo
	v_add_nc_u32_e32 v5, v5, v6
	ds_write_b32 v66, v5
.LBB194_716:                            ;   in Loop: Header=BB194_12 Depth=1
	s_or_b32 exec_lo, exec_lo, s18
	v_mov_b32_e32 v5, 0
	s_waitcnt lgkmcnt(0)
	s_barrier
	buffer_gl0_inv
	s_and_saveexec_b32 s18, s10
; %bb.717:                              ;   in Loop: Header=BB194_12 Depth=1
	ds_read_b32 v5, v67
; %bb.718:                              ;   in Loop: Header=BB194_12 Depth=1
	s_or_b32 exec_lo, exec_lo, s18
	v_sub_co_u32 v6, s18, v86, 1
	s_waitcnt lgkmcnt(0)
	v_add_nc_u32_e32 v3, v5, v3
	s_barrier
	v_cmp_gt_i32_e32 vcc_lo, 0, v6
	buffer_gl0_inv
	v_cndmask_b32_e32 v6, v6, v86, vcc_lo
	v_lshlrev_b32_e32 v92, 2, v6
	ds_bpermute_b32 v3, v92, v3
	s_and_saveexec_b32 s19, s7
	s_cbranch_execz .LBB194_720
; %bb.719:                              ;   in Loop: Header=BB194_12 Depth=1
	s_waitcnt lgkmcnt(0)
	v_cndmask_b32_e64 v3, v3, v5, s18
	v_add_nc_u32_e32 v3, s58, v3
	ds_write_b32 v43, v3
.LBB194_720:                            ;   in Loop: Header=BB194_12 Depth=1
	s_or_b32 exec_lo, exec_lo, s19
	s_load_dwordx2 s[20:21], s[56:57], 0x0
	v_and_b32_e32 v6, 7, v86
	v_lshlrev_b32_e32 v7, 3, v86
	v_or_b32_e32 v93, v86, v68
	s_mov_b32 s63, s60
	s_mov_b32 s50, s58
                                        ; implicit-def: $vgpr9_vgpr10
                                        ; implicit-def: $vgpr11_vgpr12
                                        ; implicit-def: $vgpr13_vgpr14
                                        ; implicit-def: $vgpr15_vgpr16
                                        ; implicit-def: $vgpr19_vgpr20
                                        ; implicit-def: $vgpr23_vgpr24
                                        ; implicit-def: $vgpr27_vgpr28
                                        ; implicit-def: $vgpr17_vgpr18
                                        ; implicit-def: $vgpr21_vgpr22
                                        ; implicit-def: $vgpr25_vgpr26
                                        ; implicit-def: $vgpr29_vgpr30
                                        ; implicit-def: $vgpr31_vgpr32
                                        ; implicit-def: $vgpr33_vgpr34
                                        ; implicit-def: $vgpr35_vgpr36
                                        ; implicit-def: $vgpr37_vgpr38
                                        ; implicit-def: $vgpr115
                                        ; implicit-def: $vgpr116
                                        ; implicit-def: $vgpr117
                                        ; implicit-def: $vgpr118
                                        ; implicit-def: $vgpr119
                                        ; implicit-def: $vgpr120
                                        ; implicit-def: $vgpr121
                                        ; implicit-def: $vgpr122
                                        ; implicit-def: $vgpr123
                                        ; implicit-def: $vgpr124
                                        ; implicit-def: $vgpr125
                                        ; implicit-def: $vgpr126
                                        ; implicit-def: $vgpr127
                                        ; implicit-def: $vgpr128
                                        ; implicit-def: $vgpr129
                                        ; implicit-def: $vgpr130
                                        ; implicit-def: $vgpr131
                                        ; implicit-def: $vgpr132
                                        ; implicit-def: $vgpr133
	v_add_co_u32 v94, vcc_lo, v84, v7
	v_add_co_ci_u32_e64 v95, null, 0, v85, vcc_lo
	v_add_co_u32 v112, vcc_lo, v87, v86
	v_add_nc_u32_e32 v96, 32, v93
	v_add_nc_u32_e32 v97, 64, v93
	v_add_nc_u32_e32 v98, 0x60, v93
	v_add_nc_u32_e32 v99, 0x80, v93
	v_add_nc_u32_e32 v100, 0xa0, v93
	v_add_nc_u32_e32 v101, 0xc0, v93
	v_add_nc_u32_e32 v102, 0xe0, v93
	s_waitcnt lgkmcnt(0)
	s_cmp_lt_u32 s28, s21
	v_add_nc_u32_e32 v103, 0x100, v93
	s_cselect_b32 s19, 14, 20
	v_add_nc_u32_e32 v104, 0x120, v93
	s_add_u32 s22, s56, s19
	s_addc_u32 s23, s57, 0
	s_cmp_lt_u32 s6, s20
	global_load_ushort v3, v4, s[22:23]
	s_cselect_b32 s19, 12, 18
	v_add_nc_u32_e32 v105, 0x140, v93
	s_add_u32 s20, s56, s19
	s_addc_u32 s21, s57, 0
	v_cmp_eq_u32_e64 s19, 0, v6
	global_load_ushort v5, v4, s[20:21]
	v_cmp_lt_u32_e64 s20, 1, v6
	v_cmp_lt_u32_e64 s21, 3, v6
	v_add_nc_u32_e32 v106, 0x160, v93
	v_add_nc_u32_e32 v107, 0x180, v93
	;; [unrolled: 1-line block ×6, first 2 shown]
	v_add_co_ci_u32_e64 v113, null, 0, v88, vcc_lo
                                        ; implicit-def: $vgpr7_vgpr8
	s_waitcnt vmcnt(1)
	v_mad_u32_u24 v3, v2, v3, v1
	s_waitcnt vmcnt(0)
	v_mad_u64_u32 v[5:6], null, v3, v5, v[0:1]
	v_lshrrev_b32_e32 v3, 3, v5
                                        ; implicit-def: $vgpr5_vgpr6
	v_and_b32_e32 v114, 0x1ffffffc, v3
	s_branch .LBB194_722
.LBB194_721:                            ;   in Loop: Header=BB194_722 Depth=2
	s_or_b32 exec_lo, exec_lo, s22
	s_addk_i32 s63, 0xef00
	s_cmp_lt_u32 s64, s59
	s_mov_b32 s50, s64
	s_cbranch_scc0 .LBB194_944
.LBB194_722:                            ;   Parent Loop BB194_12 Depth=1
                                        ; =>  This Inner Loop Header: Depth=2
	s_add_i32 s64, s50, 0x1100
	s_cmp_gt_u32 s64, s59
	s_cbranch_scc1 .LBB194_724
; %bb.723:                              ;   in Loop: Header=BB194_722 Depth=2
	v_add_co_u32 v39, vcc_lo, v112, s50
	v_add_co_ci_u32_e64 v40, null, 0, v113, vcc_lo
	s_mov_b32 s22, -1
	s_clause 0xf
	global_load_ubyte v134, v[39:40], off
	global_load_ubyte v135, v[39:40], off offset:32
	global_load_ubyte v136, v[39:40], off offset:64
	;; [unrolled: 1-line block ×15, first 2 shown]
	s_movk_i32 s23, 0x1100
	s_cbranch_execz .LBB194_725
	s_branch .LBB194_758
.LBB194_724:                            ;   in Loop: Header=BB194_722 Depth=2
	s_mov_b32 s22, 0
                                        ; implicit-def: $vgpr134
                                        ; implicit-def: $vgpr135
                                        ; implicit-def: $vgpr136
                                        ; implicit-def: $vgpr137
                                        ; implicit-def: $vgpr138
                                        ; implicit-def: $vgpr139
                                        ; implicit-def: $vgpr140
                                        ; implicit-def: $vgpr141
                                        ; implicit-def: $vgpr142
                                        ; implicit-def: $vgpr143
                                        ; implicit-def: $vgpr144
                                        ; implicit-def: $vgpr145
                                        ; implicit-def: $vgpr146
                                        ; implicit-def: $vgpr147
                                        ; implicit-def: $vgpr148
                                        ; implicit-def: $vgpr149
	s_movk_i32 s23, 0x1100
.LBB194_725:                            ;   in Loop: Header=BB194_722 Depth=2
	v_add_co_u32 v39, vcc_lo, v112, s50
	v_add_co_ci_u32_e64 v40, null, 0, v113, vcc_lo
	s_waitcnt vmcnt(14)
	v_mov_b32_e32 v135, 0xff
	v_mov_b32_e32 v134, 0xff
	s_mov_b32 s22, exec_lo
	v_cmpx_gt_u32_e64 s63, v93
	s_cbranch_execz .LBB194_727
; %bb.726:                              ;   in Loop: Header=BB194_722 Depth=2
	global_load_ubyte v134, v[39:40], off
.LBB194_727:                            ;   in Loop: Header=BB194_722 Depth=2
	s_or_b32 exec_lo, exec_lo, s22
	s_mov_b32 s22, exec_lo
	v_cmpx_gt_u32_e64 s63, v96
	s_cbranch_execz .LBB194_729
; %bb.728:                              ;   in Loop: Header=BB194_722 Depth=2
	global_load_ubyte v135, v[39:40], off offset:32
.LBB194_729:                            ;   in Loop: Header=BB194_722 Depth=2
	s_or_b32 exec_lo, exec_lo, s22
	s_waitcnt vmcnt(12)
	v_mov_b32_e32 v137, 0xff
	v_mov_b32_e32 v136, 0xff
	s_mov_b32 s22, exec_lo
	v_cmpx_gt_u32_e64 s63, v97
	s_cbranch_execz .LBB194_731
; %bb.730:                              ;   in Loop: Header=BB194_722 Depth=2
	global_load_ubyte v136, v[39:40], off offset:64
.LBB194_731:                            ;   in Loop: Header=BB194_722 Depth=2
	s_or_b32 exec_lo, exec_lo, s22
	s_mov_b32 s22, exec_lo
	v_cmpx_gt_u32_e64 s63, v98
	s_cbranch_execz .LBB194_733
; %bb.732:                              ;   in Loop: Header=BB194_722 Depth=2
	global_load_ubyte v137, v[39:40], off offset:96
.LBB194_733:                            ;   in Loop: Header=BB194_722 Depth=2
	s_or_b32 exec_lo, exec_lo, s22
	s_waitcnt vmcnt(10)
	v_mov_b32_e32 v139, 0xff
	v_mov_b32_e32 v138, 0xff
	s_mov_b32 s22, exec_lo
	v_cmpx_gt_u32_e64 s63, v99
	s_cbranch_execz .LBB194_735
; %bb.734:                              ;   in Loop: Header=BB194_722 Depth=2
	global_load_ubyte v138, v[39:40], off offset:128
.LBB194_735:                            ;   in Loop: Header=BB194_722 Depth=2
	;; [unrolled: 17-line block ×7, first 2 shown]
	s_or_b32 exec_lo, exec_lo, s22
	s_mov_b32 s22, exec_lo
	v_cmpx_gt_u32_e64 s63, v110
	s_cbranch_execz .LBB194_757
; %bb.756:                              ;   in Loop: Header=BB194_722 Depth=2
	global_load_ubyte v149, v[39:40], off offset:480
.LBB194_757:                            ;   in Loop: Header=BB194_722 Depth=2
	s_or_b32 exec_lo, exec_lo, s22
	v_cmp_gt_u32_e64 s22, s63, v111
	s_sub_i32 s23, s59, s50
.LBB194_758:                            ;   in Loop: Header=BB194_722 Depth=2
	v_mov_b32_e32 v150, 0xff
	v_mov_b32_e32 v3, s63
	s_and_saveexec_b32 s24, s22
	s_cbranch_execz .LBB194_760
; %bb.759:                              ;   in Loop: Header=BB194_722 Depth=2
	v_add_co_u32 v39, vcc_lo, v112, s50
	v_add_co_ci_u32_e64 v40, null, s51, v113, vcc_lo
	v_mov_b32_e32 v3, s23
	global_load_ubyte v150, v[39:40], off offset:512
.LBB194_760:                            ;   in Loop: Header=BB194_722 Depth=2
	s_or_b32 exec_lo, exec_lo, s24
	s_waitcnt vmcnt(15)
	v_lshrrev_b32_sdwa v39, s41, v134 dst_sel:DWORD dst_unused:UNUSED_PAD src0_sel:DWORD src1_sel:BYTE_0
	ds_write2_b32 v69, v4, v4 offset0:136 offset1:137
	ds_write2_b32 v69, v4, v4 offset0:138 offset1:139
	ds_write_b32 v69, v4 offset:560
	s_waitcnt vmcnt(0) lgkmcnt(0)
	s_barrier
	v_and_b32_e32 v40, s62, v39
	buffer_gl0_inv
	; wave barrier
	v_and_b32_e32 v39, 1, v40
	v_lshlrev_b32_e32 v41, 30, v40
	v_lshlrev_b32_e32 v42, 29, v40
	;; [unrolled: 1-line block ×4, first 2 shown]
	v_add_co_u32 v39, s22, v39, -1
	v_cndmask_b32_e64 v151, 0, 1, s22
	v_not_b32_e32 v155, v41
	v_cmp_gt_i32_e64 s22, 0, v41
	v_not_b32_e32 v41, v42
	v_lshlrev_b32_e32 v154, 26, v40
	v_cmp_ne_u32_e32 vcc_lo, 0, v151
	v_ashrrev_i32_e32 v155, 31, v155
	v_lshlrev_b32_e32 v151, 25, v40
	v_ashrrev_i32_e32 v41, 31, v41
	v_mul_u32_u24_e32 v40, 36, v40
	v_xor_b32_e32 v39, vcc_lo, v39
	v_cmp_gt_i32_e32 vcc_lo, 0, v42
	v_not_b32_e32 v42, v152
	v_xor_b32_e32 v155, s22, v155
	v_cmp_gt_i32_e64 s22, 0, v152
	v_and_b32_e32 v39, exec_lo, v39
	v_not_b32_e32 v152, v153
	v_ashrrev_i32_e32 v42, 31, v42
	v_xor_b32_e32 v41, vcc_lo, v41
	v_cmp_gt_i32_e32 vcc_lo, 0, v153
	v_and_b32_e32 v39, v39, v155
	v_not_b32_e32 v153, v154
	v_ashrrev_i32_e32 v152, 31, v152
	v_xor_b32_e32 v42, s22, v42
	v_cmp_gt_i32_e64 s22, 0, v154
	v_and_b32_e32 v39, v39, v41
	v_not_b32_e32 v41, v151
	v_ashrrev_i32_e32 v153, 31, v153
	v_xor_b32_e32 v152, vcc_lo, v152
	v_cmp_gt_i32_e32 vcc_lo, 0, v151
	v_and_b32_e32 v39, v39, v42
	v_ashrrev_i32_e32 v41, 31, v41
	v_xor_b32_e32 v42, s22, v153
	v_and_b32_e32 v39, v39, v152
	v_xor_b32_e32 v41, vcc_lo, v41
	v_add_nc_u32_e32 v152, v114, v40
	v_and_b32_e32 v39, v39, v42
	v_and_b32_e32 v39, v39, v41
	v_mbcnt_lo_u32_b32 v151, v39, 0
	v_cmp_ne_u32_e64 s22, 0, v39
	v_cmp_eq_u32_e32 vcc_lo, 0, v151
	s_and_b32 s23, s22, vcc_lo
	s_and_saveexec_b32 s22, s23
; %bb.761:                              ;   in Loop: Header=BB194_722 Depth=2
	v_bcnt_u32_b32 v39, v39, 0
	ds_write_b32 v152, v39 offset:544
; %bb.762:                              ;   in Loop: Header=BB194_722 Depth=2
	s_or_b32 exec_lo, exec_lo, s22
	v_lshrrev_b32_sdwa v39, s41, v135 dst_sel:DWORD dst_unused:UNUSED_PAD src0_sel:DWORD src1_sel:BYTE_0
	; wave barrier
	v_and_b32_e32 v40, s62, v39
	v_and_b32_e32 v39, 1, v40
	v_lshlrev_b32_e32 v41, 30, v40
	v_lshlrev_b32_e32 v42, 29, v40
	v_lshlrev_b32_e32 v154, 28, v40
	v_lshlrev_b32_e32 v155, 27, v40
	v_add_co_u32 v39, s22, v39, -1
	v_cndmask_b32_e64 v153, 0, 1, s22
	v_not_b32_e32 v157, v41
	v_cmp_gt_i32_e64 s22, 0, v41
	v_not_b32_e32 v41, v42
	v_lshlrev_b32_e32 v156, 26, v40
	v_cmp_ne_u32_e32 vcc_lo, 0, v153
	v_ashrrev_i32_e32 v157, 31, v157
	v_lshlrev_b32_e32 v153, 25, v40
	v_ashrrev_i32_e32 v41, 31, v41
	v_xor_b32_e32 v39, vcc_lo, v39
	v_cmp_gt_i32_e32 vcc_lo, 0, v42
	v_not_b32_e32 v42, v154
	v_xor_b32_e32 v157, s22, v157
	v_cmp_gt_i32_e64 s22, 0, v154
	v_and_b32_e32 v39, exec_lo, v39
	v_not_b32_e32 v154, v155
	v_ashrrev_i32_e32 v42, 31, v42
	v_xor_b32_e32 v41, vcc_lo, v41
	v_cmp_gt_i32_e32 vcc_lo, 0, v155
	v_and_b32_e32 v39, v39, v157
	v_not_b32_e32 v155, v156
	v_ashrrev_i32_e32 v154, 31, v154
	v_xor_b32_e32 v42, s22, v42
	v_cmp_gt_i32_e64 s22, 0, v156
	v_and_b32_e32 v39, v39, v41
	v_not_b32_e32 v41, v153
	v_ashrrev_i32_e32 v155, 31, v155
	v_xor_b32_e32 v154, vcc_lo, v154
	v_cmp_gt_i32_e32 vcc_lo, 0, v153
	v_and_b32_e32 v39, v39, v42
	v_ashrrev_i32_e32 v41, 31, v41
	v_xor_b32_e32 v42, s22, v155
	v_mad_u32_u24 v153, v40, 36, v114
	v_mul_u32_u24_e32 v40, 36, v40
	v_and_b32_e32 v39, v39, v154
	v_xor_b32_e32 v41, vcc_lo, v41
	ds_read_b32 v153, v153 offset:544
	v_add_nc_u32_e32 v155, v114, v40
	v_and_b32_e32 v39, v39, v42
	; wave barrier
	v_and_b32_e32 v39, v39, v41
	v_mbcnt_lo_u32_b32 v154, v39, 0
	v_cmp_ne_u32_e64 s22, 0, v39
	v_cmp_eq_u32_e32 vcc_lo, 0, v154
	s_and_b32 s23, s22, vcc_lo
	s_and_saveexec_b32 s22, s23
	s_cbranch_execz .LBB194_764
; %bb.763:                              ;   in Loop: Header=BB194_722 Depth=2
	s_waitcnt lgkmcnt(0)
	v_bcnt_u32_b32 v39, v39, v153
	ds_write_b32 v155, v39 offset:544
.LBB194_764:                            ;   in Loop: Header=BB194_722 Depth=2
	s_or_b32 exec_lo, exec_lo, s22
	v_lshrrev_b32_sdwa v39, s41, v136 dst_sel:DWORD dst_unused:UNUSED_PAD src0_sel:DWORD src1_sel:BYTE_0
	; wave barrier
	v_and_b32_e32 v40, s62, v39
	v_and_b32_e32 v39, 1, v40
	v_lshlrev_b32_e32 v41, 30, v40
	v_lshlrev_b32_e32 v42, 29, v40
	v_lshlrev_b32_e32 v157, 28, v40
	v_lshlrev_b32_e32 v158, 27, v40
	v_add_co_u32 v39, s22, v39, -1
	v_cndmask_b32_e64 v156, 0, 1, s22
	v_not_b32_e32 v160, v41
	v_cmp_gt_i32_e64 s22, 0, v41
	v_not_b32_e32 v41, v42
	v_lshlrev_b32_e32 v159, 26, v40
	v_cmp_ne_u32_e32 vcc_lo, 0, v156
	v_ashrrev_i32_e32 v160, 31, v160
	v_lshlrev_b32_e32 v156, 25, v40
	v_ashrrev_i32_e32 v41, 31, v41
	v_xor_b32_e32 v39, vcc_lo, v39
	v_cmp_gt_i32_e32 vcc_lo, 0, v42
	v_not_b32_e32 v42, v157
	v_xor_b32_e32 v160, s22, v160
	v_cmp_gt_i32_e64 s22, 0, v157
	v_and_b32_e32 v39, exec_lo, v39
	v_not_b32_e32 v157, v158
	v_ashrrev_i32_e32 v42, 31, v42
	v_xor_b32_e32 v41, vcc_lo, v41
	v_cmp_gt_i32_e32 vcc_lo, 0, v158
	v_and_b32_e32 v39, v39, v160
	v_not_b32_e32 v158, v159
	v_ashrrev_i32_e32 v157, 31, v157
	v_xor_b32_e32 v42, s22, v42
	v_cmp_gt_i32_e64 s22, 0, v159
	v_and_b32_e32 v39, v39, v41
	v_not_b32_e32 v41, v156
	v_ashrrev_i32_e32 v158, 31, v158
	v_xor_b32_e32 v157, vcc_lo, v157
	v_cmp_gt_i32_e32 vcc_lo, 0, v156
	v_and_b32_e32 v39, v39, v42
	v_ashrrev_i32_e32 v41, 31, v41
	v_xor_b32_e32 v42, s22, v158
	v_mad_u32_u24 v156, v40, 36, v114
	v_mul_u32_u24_e32 v40, 36, v40
	v_and_b32_e32 v39, v39, v157
	v_xor_b32_e32 v41, vcc_lo, v41
	ds_read_b32 v156, v156 offset:544
	v_add_nc_u32_e32 v158, v114, v40
	v_and_b32_e32 v39, v39, v42
	; wave barrier
	v_and_b32_e32 v39, v39, v41
	v_mbcnt_lo_u32_b32 v157, v39, 0
	v_cmp_ne_u32_e64 s22, 0, v39
	v_cmp_eq_u32_e32 vcc_lo, 0, v157
	s_and_b32 s23, s22, vcc_lo
	s_and_saveexec_b32 s22, s23
	s_cbranch_execz .LBB194_766
; %bb.765:                              ;   in Loop: Header=BB194_722 Depth=2
	s_waitcnt lgkmcnt(0)
	v_bcnt_u32_b32 v39, v39, v156
	ds_write_b32 v158, v39 offset:544
.LBB194_766:                            ;   in Loop: Header=BB194_722 Depth=2
	;; [unrolled: 62-line block ×16, first 2 shown]
	s_or_b32 exec_lo, exec_lo, s22
	; wave barrier
	s_waitcnt lgkmcnt(0)
	s_barrier
	buffer_gl0_inv
	ds_read2_b32 v[41:42], v69 offset0:136 offset1:137
	ds_read2_b32 v[39:40], v69 offset0:138 offset1:139
	ds_read_b32 v201, v69 offset:560
	s_waitcnt lgkmcnt(1)
	v_add3_u32 v202, v42, v41, v39
	s_waitcnt lgkmcnt(0)
	v_add3_u32 v201, v202, v40, v201
	v_mov_b32_dpp v202, v201 row_shr:1 row_mask:0xf bank_mask:0xf
	v_cndmask_b32_e64 v202, v202, 0, s5
	v_add_nc_u32_e32 v201, v202, v201
	v_mov_b32_dpp v202, v201 row_shr:2 row_mask:0xf bank_mask:0xf
	v_cndmask_b32_e64 v202, 0, v202, s14
	v_add_nc_u32_e32 v201, v201, v202
	;; [unrolled: 3-line block ×4, first 2 shown]
	ds_swizzle_b32 v202, v201 offset:swizzle(BROADCAST,32,15)
	s_waitcnt lgkmcnt(0)
	v_cndmask_b32_e64 v202, v202, 0, s17
	v_add_nc_u32_e32 v201, v201, v202
	s_and_saveexec_b32 s22, s4
; %bb.795:                              ;   in Loop: Header=BB194_722 Depth=2
	ds_write_b32 v62, v201 offset:512
; %bb.796:                              ;   in Loop: Header=BB194_722 Depth=2
	s_or_b32 exec_lo, exec_lo, s22
	s_waitcnt lgkmcnt(0)
	s_barrier
	buffer_gl0_inv
	s_and_saveexec_b32 s22, s11
	s_cbranch_execz .LBB194_798
; %bb.797:                              ;   in Loop: Header=BB194_722 Depth=2
	ds_read_b32 v202, v70 offset:512
	s_waitcnt lgkmcnt(0)
	v_mov_b32_dpp v203, v202 row_shr:1 row_mask:0xf bank_mask:0xf
	v_cndmask_b32_e64 v203, v203, 0, s19
	v_add_nc_u32_e32 v202, v203, v202
	v_mov_b32_dpp v203, v202 row_shr:2 row_mask:0xf bank_mask:0xf
	v_cndmask_b32_e64 v203, 0, v203, s20
	v_add_nc_u32_e32 v202, v202, v203
	v_mov_b32_dpp v203, v202 row_shr:4 row_mask:0xf bank_mask:0xf
	v_cndmask_b32_e64 v203, 0, v203, s21
	v_add_nc_u32_e32 v202, v202, v203
	ds_write_b32 v70, v202 offset:512
.LBB194_798:                            ;   in Loop: Header=BB194_722 Depth=2
	s_or_b32 exec_lo, exec_lo, s22
	v_mov_b32_e32 v202, 0
	s_waitcnt lgkmcnt(0)
	s_barrier
	buffer_gl0_inv
	s_and_saveexec_b32 s22, s10
; %bb.799:                              ;   in Loop: Header=BB194_722 Depth=2
	ds_read_b32 v202, v62 offset:508
; %bb.800:                              ;   in Loop: Header=BB194_722 Depth=2
	s_or_b32 exec_lo, exec_lo, s22
	s_waitcnt lgkmcnt(0)
	v_add_nc_u32_e32 v201, v202, v201
	ds_bpermute_b32 v201, v92, v201
	s_waitcnt lgkmcnt(0)
	v_cndmask_b32_e64 v201, v201, v202, s18
	v_cndmask_b32_e64 v201, v201, 0, s12
	v_add_nc_u32_e32 v41, v201, v41
	v_add_nc_u32_e32 v42, v41, v42
	;; [unrolled: 1-line block ×4, first 2 shown]
	ds_write2_b32 v69, v201, v41 offset0:136 offset1:137
	ds_write2_b32 v69, v42, v39 offset0:138 offset1:139
	ds_write_b32 v69, v40 offset:560
	s_waitcnt lgkmcnt(0)
	s_barrier
	buffer_gl0_inv
	ds_read_b32 v39, v152 offset:544
	ds_read_b32 v40, v155 offset:544
	ds_read_b32 v41, v158 offset:544
	ds_read_b32 v42, v161 offset:544
	ds_read_b32 v152, v164 offset:544
	ds_read_b32 v155, v167 offset:544
	ds_read_b32 v158, v170 offset:544
	ds_read_b32 v201, v173 offset:544
	ds_read_b32 v176, v176 offset:544
	ds_read_b32 v179, v179 offset:544
	ds_read_b32 v182, v182 offset:544
	ds_read_b32 v185, v185 offset:544
	ds_read_b32 v188, v188 offset:544
	ds_read_b32 v191, v191 offset:544
	ds_read_b32 v194, v194 offset:544
	ds_read_b32 v197, v197 offset:544
	ds_read_b32 v200, v200 offset:544
	s_and_saveexec_b32 s22, s7
	s_cbranch_execz .LBB194_804
; %bb.801:                              ;   in Loop: Header=BB194_722 Depth=2
	v_add_nc_u32_e32 v132, v70, v72
	v_mov_b32_e32 v133, 0x1100
	ds_read_b32 v132, v132 offset:544
	s_and_saveexec_b32 s23, s13
; %bb.802:                              ;   in Loop: Header=BB194_722 Depth=2
	ds_read_b32 v133, v71 offset:544
; %bb.803:                              ;   in Loop: Header=BB194_722 Depth=2
	s_or_b32 exec_lo, exec_lo, s23
	s_waitcnt lgkmcnt(0)
	v_sub_nc_u32_e32 v133, v133, v132
.LBB194_804:                            ;   in Loop: Header=BB194_722 Depth=2
	s_or_b32 exec_lo, exec_lo, s22
	s_waitcnt lgkmcnt(0)
	s_barrier
	buffer_gl0_inv
	s_and_saveexec_b32 s22, s7
	s_cbranch_execz .LBB194_806
; %bb.805:                              ;   in Loop: Header=BB194_722 Depth=2
	ds_read_b32 v161, v43
	s_waitcnt lgkmcnt(0)
	v_sub_nc_u32_e32 v161, v161, v132
	ds_write_b32 v43, v161
.LBB194_806:                            ;   in Loop: Header=BB194_722 Depth=2
	s_or_b32 exec_lo, exec_lo, s22
	v_add_nc_u32_e32 v173, v39, v151
	v_add3_u32 v170, v154, v153, v40
	v_add3_u32 v167, v157, v156, v41
	;; [unrolled: 1-line block ×16, first 2 shown]
	v_cmp_lt_u32_e64 s39, v0, v3
	ds_write_b8 v173, v134 offset:512
	ds_write_b8 v170, v135 offset:512
	;; [unrolled: 1-line block ×17, first 2 shown]
	s_waitcnt lgkmcnt(0)
	s_barrier
	buffer_gl0_inv
	s_and_saveexec_b32 s22, s39
	s_cbranch_execnz .LBB194_879
; %bb.807:                              ;   in Loop: Header=BB194_722 Depth=2
	s_or_b32 exec_lo, exec_lo, s22
	v_cmp_lt_u32_e64 s38, v44, v3
	s_and_saveexec_b32 s22, s38
	s_cbranch_execnz .LBB194_880
.LBB194_808:                            ;   in Loop: Header=BB194_722 Depth=2
	s_or_b32 exec_lo, exec_lo, s22
	v_cmp_lt_u32_e64 s37, v47, v3
	s_and_saveexec_b32 s22, s37
	s_cbranch_execnz .LBB194_881
.LBB194_809:                            ;   in Loop: Header=BB194_722 Depth=2
	s_or_b32 exec_lo, exec_lo, s22
	v_cmp_lt_u32_e64 s36, v48, v3
	s_and_saveexec_b32 s22, s36
	s_cbranch_execnz .LBB194_882
.LBB194_810:                            ;   in Loop: Header=BB194_722 Depth=2
	s_or_b32 exec_lo, exec_lo, s22
	v_cmp_lt_u32_e64 s35, v49, v3
	s_and_saveexec_b32 s22, s35
	s_cbranch_execnz .LBB194_883
.LBB194_811:                            ;   in Loop: Header=BB194_722 Depth=2
	s_or_b32 exec_lo, exec_lo, s22
	v_cmp_lt_u32_e64 s34, v50, v3
	s_and_saveexec_b32 s22, s34
	s_cbranch_execnz .LBB194_884
.LBB194_812:                            ;   in Loop: Header=BB194_722 Depth=2
	s_or_b32 exec_lo, exec_lo, s22
	v_cmp_lt_u32_e64 s33, v51, v3
	s_and_saveexec_b32 s22, s33
	s_cbranch_execnz .LBB194_885
.LBB194_813:                            ;   in Loop: Header=BB194_722 Depth=2
	s_or_b32 exec_lo, exec_lo, s22
	v_cmp_lt_u32_e64 s31, v52, v3
	s_and_saveexec_b32 s22, s31
	s_cbranch_execnz .LBB194_886
.LBB194_814:                            ;   in Loop: Header=BB194_722 Depth=2
	s_or_b32 exec_lo, exec_lo, s22
	v_cmp_lt_u32_e64 s30, v53, v3
	s_and_saveexec_b32 s22, s30
	s_cbranch_execnz .LBB194_887
.LBB194_815:                            ;   in Loop: Header=BB194_722 Depth=2
	s_or_b32 exec_lo, exec_lo, s22
	v_cmp_lt_u32_e64 s29, v54, v3
	s_and_saveexec_b32 s22, s29
	s_cbranch_execnz .LBB194_888
.LBB194_816:                            ;   in Loop: Header=BB194_722 Depth=2
	s_or_b32 exec_lo, exec_lo, s22
	v_cmp_lt_u32_e64 s27, v55, v3
	s_and_saveexec_b32 s22, s27
	s_cbranch_execnz .LBB194_889
.LBB194_817:                            ;   in Loop: Header=BB194_722 Depth=2
	s_or_b32 exec_lo, exec_lo, s22
	v_cmp_lt_u32_e64 s26, v56, v3
	s_and_saveexec_b32 s22, s26
	s_cbranch_execnz .LBB194_890
.LBB194_818:                            ;   in Loop: Header=BB194_722 Depth=2
	s_or_b32 exec_lo, exec_lo, s22
	v_cmp_lt_u32_e64 s25, v57, v3
	s_and_saveexec_b32 s22, s25
	s_cbranch_execnz .LBB194_891
.LBB194_819:                            ;   in Loop: Header=BB194_722 Depth=2
	s_or_b32 exec_lo, exec_lo, s22
	v_cmp_lt_u32_e64 s24, v58, v3
	s_and_saveexec_b32 s22, s24
	s_cbranch_execnz .LBB194_892
.LBB194_820:                            ;   in Loop: Header=BB194_722 Depth=2
	s_or_b32 exec_lo, exec_lo, s22
	v_cmp_lt_u32_e64 s23, v59, v3
	s_and_saveexec_b32 s22, s23
	s_cbranch_execnz .LBB194_893
.LBB194_821:                            ;   in Loop: Header=BB194_722 Depth=2
	s_or_b32 exec_lo, exec_lo, s22
	v_cmp_lt_u32_e64 s22, v60, v3
	s_and_saveexec_b32 s40, s22
	s_cbranch_execnz .LBB194_894
.LBB194_822:                            ;   in Loop: Header=BB194_722 Depth=2
	s_or_b32 exec_lo, exec_lo, s40
	v_cmp_lt_u32_e32 vcc_lo, v61, v3
	s_and_saveexec_b32 s40, vcc_lo
	s_cbranch_execz .LBB194_824
.LBB194_823:                            ;   in Loop: Header=BB194_722 Depth=2
	ds_read_u8 v39, v0 offset:4608
	s_waitcnt lgkmcnt(0)
	v_lshrrev_b32_sdwa v40, s41, v39 dst_sel:DWORD dst_unused:UNUSED_PAD src0_sel:DWORD src1_sel:BYTE_0
	v_and_b32_e32 v40, s62, v40
	v_lshlrev_b32_e32 v40, 2, v40
	ds_read_b32 v40, v40
	s_waitcnt lgkmcnt(0)
	v_add_nc_u32_e32 v40, v40, v61
	global_store_byte v40, v39, s[46:47]
.LBB194_824:                            ;   in Loop: Header=BB194_722 Depth=2
	s_or_b32 exec_lo, exec_lo, s40
	s_lshl_b64 s[66:67], s[50:51], 3
	v_add_co_u32 v39, s40, v94, s66
	v_add_co_ci_u32_e64 v40, null, s67, v95, s40
	v_cmp_lt_u32_e64 s40, v93, v3
	s_and_saveexec_b32 s50, s40
	s_xor_b32 s40, exec_lo, s50
	s_cbranch_execnz .LBB194_895
; %bb.825:                              ;   in Loop: Header=BB194_722 Depth=2
	s_or_b32 exec_lo, exec_lo, s40
	s_mov_b32 s50, exec_lo
	v_cmpx_lt_u32_e64 v96, v3
	s_cbranch_execnz .LBB194_896
.LBB194_826:                            ;   in Loop: Header=BB194_722 Depth=2
	s_or_b32 exec_lo, exec_lo, s50
	s_mov_b32 s50, exec_lo
	v_cmpx_lt_u32_e64 v97, v3
	s_cbranch_execnz .LBB194_897
.LBB194_827:                            ;   in Loop: Header=BB194_722 Depth=2
	s_or_b32 exec_lo, exec_lo, s50
	s_mov_b32 s50, exec_lo
	v_cmpx_lt_u32_e64 v98, v3
	s_cbranch_execnz .LBB194_898
.LBB194_828:                            ;   in Loop: Header=BB194_722 Depth=2
	s_or_b32 exec_lo, exec_lo, s50
	s_mov_b32 s50, exec_lo
	v_cmpx_lt_u32_e64 v99, v3
	s_cbranch_execnz .LBB194_899
.LBB194_829:                            ;   in Loop: Header=BB194_722 Depth=2
	s_or_b32 exec_lo, exec_lo, s50
	s_mov_b32 s50, exec_lo
	v_cmpx_lt_u32_e64 v100, v3
	s_cbranch_execnz .LBB194_900
.LBB194_830:                            ;   in Loop: Header=BB194_722 Depth=2
	s_or_b32 exec_lo, exec_lo, s50
	s_mov_b32 s50, exec_lo
	v_cmpx_lt_u32_e64 v101, v3
	s_cbranch_execnz .LBB194_901
.LBB194_831:                            ;   in Loop: Header=BB194_722 Depth=2
	s_or_b32 exec_lo, exec_lo, s50
	s_mov_b32 s50, exec_lo
	v_cmpx_lt_u32_e64 v102, v3
	s_cbranch_execnz .LBB194_902
.LBB194_832:                            ;   in Loop: Header=BB194_722 Depth=2
	s_or_b32 exec_lo, exec_lo, s50
	s_mov_b32 s50, exec_lo
	v_cmpx_lt_u32_e64 v103, v3
	s_cbranch_execnz .LBB194_903
.LBB194_833:                            ;   in Loop: Header=BB194_722 Depth=2
	s_or_b32 exec_lo, exec_lo, s50
	s_mov_b32 s50, exec_lo
	v_cmpx_lt_u32_e64 v104, v3
	s_cbranch_execnz .LBB194_904
.LBB194_834:                            ;   in Loop: Header=BB194_722 Depth=2
	s_or_b32 exec_lo, exec_lo, s50
	s_mov_b32 s50, exec_lo
	v_cmpx_lt_u32_e64 v105, v3
	s_cbranch_execnz .LBB194_905
.LBB194_835:                            ;   in Loop: Header=BB194_722 Depth=2
	s_or_b32 exec_lo, exec_lo, s50
	s_mov_b32 s50, exec_lo
	v_cmpx_lt_u32_e64 v106, v3
	s_cbranch_execnz .LBB194_906
.LBB194_836:                            ;   in Loop: Header=BB194_722 Depth=2
	s_or_b32 exec_lo, exec_lo, s50
	s_mov_b32 s50, exec_lo
	v_cmpx_lt_u32_e64 v107, v3
	s_cbranch_execnz .LBB194_907
.LBB194_837:                            ;   in Loop: Header=BB194_722 Depth=2
	s_or_b32 exec_lo, exec_lo, s50
	s_mov_b32 s50, exec_lo
	v_cmpx_lt_u32_e64 v108, v3
	s_cbranch_execnz .LBB194_908
.LBB194_838:                            ;   in Loop: Header=BB194_722 Depth=2
	s_or_b32 exec_lo, exec_lo, s50
	s_mov_b32 s50, exec_lo
	v_cmpx_lt_u32_e64 v109, v3
	s_cbranch_execnz .LBB194_909
.LBB194_839:                            ;   in Loop: Header=BB194_722 Depth=2
	s_or_b32 exec_lo, exec_lo, s50
	s_mov_b32 s50, exec_lo
	v_cmpx_lt_u32_e64 v110, v3
	s_cbranch_execnz .LBB194_910
.LBB194_840:                            ;   in Loop: Header=BB194_722 Depth=2
	s_or_b32 exec_lo, exec_lo, s50
	s_mov_b32 s50, exec_lo
	v_cmpx_lt_u32_e64 v111, v3
	s_cbranch_execnz .LBB194_911
.LBB194_841:                            ;   in Loop: Header=BB194_722 Depth=2
	s_or_b32 exec_lo, exec_lo, s50
	s_and_saveexec_b32 s40, s39
	s_cbranch_execnz .LBB194_912
.LBB194_842:                            ;   in Loop: Header=BB194_722 Depth=2
	s_or_b32 exec_lo, exec_lo, s40
	s_and_saveexec_b32 s40, s38
	s_cbranch_execnz .LBB194_913
.LBB194_843:                            ;   in Loop: Header=BB194_722 Depth=2
	s_or_b32 exec_lo, exec_lo, s40
	s_and_saveexec_b32 s40, s37
	s_cbranch_execnz .LBB194_914
.LBB194_844:                            ;   in Loop: Header=BB194_722 Depth=2
	s_or_b32 exec_lo, exec_lo, s40
	s_and_saveexec_b32 s40, s36
	s_cbranch_execnz .LBB194_915
.LBB194_845:                            ;   in Loop: Header=BB194_722 Depth=2
	s_or_b32 exec_lo, exec_lo, s40
	s_and_saveexec_b32 s40, s35
	s_cbranch_execnz .LBB194_916
.LBB194_846:                            ;   in Loop: Header=BB194_722 Depth=2
	s_or_b32 exec_lo, exec_lo, s40
	s_and_saveexec_b32 s40, s34
	s_cbranch_execnz .LBB194_917
.LBB194_847:                            ;   in Loop: Header=BB194_722 Depth=2
	s_or_b32 exec_lo, exec_lo, s40
	s_and_saveexec_b32 s40, s33
	s_cbranch_execnz .LBB194_918
.LBB194_848:                            ;   in Loop: Header=BB194_722 Depth=2
	s_or_b32 exec_lo, exec_lo, s40
	s_and_saveexec_b32 s40, s31
	s_cbranch_execnz .LBB194_919
.LBB194_849:                            ;   in Loop: Header=BB194_722 Depth=2
	s_or_b32 exec_lo, exec_lo, s40
	s_and_saveexec_b32 s40, s30
	s_cbranch_execnz .LBB194_920
.LBB194_850:                            ;   in Loop: Header=BB194_722 Depth=2
	s_or_b32 exec_lo, exec_lo, s40
	s_and_saveexec_b32 s40, s29
	s_cbranch_execnz .LBB194_921
.LBB194_851:                            ;   in Loop: Header=BB194_722 Depth=2
	s_or_b32 exec_lo, exec_lo, s40
	s_and_saveexec_b32 s40, s27
	s_cbranch_execnz .LBB194_922
.LBB194_852:                            ;   in Loop: Header=BB194_722 Depth=2
	s_or_b32 exec_lo, exec_lo, s40
	s_and_saveexec_b32 s40, s26
	s_cbranch_execnz .LBB194_923
.LBB194_853:                            ;   in Loop: Header=BB194_722 Depth=2
	s_or_b32 exec_lo, exec_lo, s40
	s_and_saveexec_b32 s40, s25
	s_cbranch_execnz .LBB194_924
.LBB194_854:                            ;   in Loop: Header=BB194_722 Depth=2
	s_or_b32 exec_lo, exec_lo, s40
	s_and_saveexec_b32 s40, s24
	s_cbranch_execnz .LBB194_925
.LBB194_855:                            ;   in Loop: Header=BB194_722 Depth=2
	s_or_b32 exec_lo, exec_lo, s40
	s_and_saveexec_b32 s40, s23
	s_cbranch_execnz .LBB194_926
.LBB194_856:                            ;   in Loop: Header=BB194_722 Depth=2
	s_or_b32 exec_lo, exec_lo, s40
	s_and_saveexec_b32 s40, s22
	s_cbranch_execnz .LBB194_927
.LBB194_857:                            ;   in Loop: Header=BB194_722 Depth=2
	s_or_b32 exec_lo, exec_lo, s40
	s_and_saveexec_b32 s40, vcc_lo
	s_cbranch_execz .LBB194_859
.LBB194_858:                            ;   in Loop: Header=BB194_722 Depth=2
	ds_read_u8 v3, v0 offset:4608
	s_waitcnt lgkmcnt(0)
	v_lshrrev_b32_e32 v3, s41, v3
	v_and_b32_e32 v115, s62, v3
.LBB194_859:                            ;   in Loop: Header=BB194_722 Depth=2
	s_or_b32 exec_lo, exec_lo, s40
	v_lshlrev_b32_e32 v3, 3, v173
	v_lshlrev_b32_e32 v39, 3, v170
	s_waitcnt vmcnt(0)
	s_waitcnt_vscnt null, 0x0
	s_barrier
	buffer_gl0_inv
	ds_write_b64 v3, v[37:38] offset:512
	ds_write_b64 v39, v[35:36] offset:512
	v_lshlrev_b32_e32 v3, 3, v167
	v_lshlrev_b32_e32 v39, 3, v164
	v_lshlrev_b32_e32 v40, 3, v161
	v_lshlrev_b32_e32 v134, 3, v160
	v_lshlrev_b32_e32 v135, 3, v159
	ds_write_b64 v3, v[33:34] offset:512
	ds_write_b64 v39, v[31:32] offset:512
	ds_write_b64 v40, v[29:30] offset:512
	ds_write_b64 v134, v[25:26] offset:512
	ds_write_b64 v135, v[21:22] offset:512
	v_lshlrev_b32_e32 v3, 3, v158
	v_lshlrev_b32_e32 v39, 3, v157
	v_lshlrev_b32_e32 v40, 3, v156
	v_lshlrev_b32_e32 v134, 3, v155
	v_lshlrev_b32_e32 v135, 3, v154
	ds_write_b64 v3, v[17:18] offset:512
	ds_write_b64 v39, v[27:28] offset:512
	ds_write_b64 v40, v[23:24] offset:512
	;; [unrolled: 10-line block ×3, first 2 shown]
	ds_write_b64 v42, v[7:8] offset:512
	ds_write_b64 v41, v[5:6] offset:512
	s_waitcnt lgkmcnt(0)
	s_barrier
	buffer_gl0_inv
	s_and_saveexec_b32 s40, s39
	s_cbranch_execnz .LBB194_928
; %bb.860:                              ;   in Loop: Header=BB194_722 Depth=2
	s_or_b32 exec_lo, exec_lo, s40
	s_and_saveexec_b32 s39, s38
	s_cbranch_execnz .LBB194_929
.LBB194_861:                            ;   in Loop: Header=BB194_722 Depth=2
	s_or_b32 exec_lo, exec_lo, s39
	s_and_saveexec_b32 s38, s37
	s_cbranch_execnz .LBB194_930
.LBB194_862:                            ;   in Loop: Header=BB194_722 Depth=2
	s_or_b32 exec_lo, exec_lo, s38
	s_and_saveexec_b32 s37, s36
	s_cbranch_execnz .LBB194_931
.LBB194_863:                            ;   in Loop: Header=BB194_722 Depth=2
	s_or_b32 exec_lo, exec_lo, s37
	s_and_saveexec_b32 s36, s35
	s_cbranch_execnz .LBB194_932
.LBB194_864:                            ;   in Loop: Header=BB194_722 Depth=2
	s_or_b32 exec_lo, exec_lo, s36
	s_and_saveexec_b32 s35, s34
	s_cbranch_execnz .LBB194_933
.LBB194_865:                            ;   in Loop: Header=BB194_722 Depth=2
	s_or_b32 exec_lo, exec_lo, s35
	s_and_saveexec_b32 s34, s33
	s_cbranch_execnz .LBB194_934
.LBB194_866:                            ;   in Loop: Header=BB194_722 Depth=2
	s_or_b32 exec_lo, exec_lo, s34
	s_and_saveexec_b32 s33, s31
	s_cbranch_execnz .LBB194_935
.LBB194_867:                            ;   in Loop: Header=BB194_722 Depth=2
	s_or_b32 exec_lo, exec_lo, s33
	s_and_saveexec_b32 s31, s30
	s_cbranch_execnz .LBB194_936
.LBB194_868:                            ;   in Loop: Header=BB194_722 Depth=2
	s_or_b32 exec_lo, exec_lo, s31
	s_and_saveexec_b32 s30, s29
	s_cbranch_execnz .LBB194_937
.LBB194_869:                            ;   in Loop: Header=BB194_722 Depth=2
	s_or_b32 exec_lo, exec_lo, s30
	s_and_saveexec_b32 s29, s27
	s_cbranch_execnz .LBB194_938
.LBB194_870:                            ;   in Loop: Header=BB194_722 Depth=2
	s_or_b32 exec_lo, exec_lo, s29
	s_and_saveexec_b32 s27, s26
	s_cbranch_execnz .LBB194_939
.LBB194_871:                            ;   in Loop: Header=BB194_722 Depth=2
	s_or_b32 exec_lo, exec_lo, s27
	s_and_saveexec_b32 s26, s25
	s_cbranch_execnz .LBB194_940
.LBB194_872:                            ;   in Loop: Header=BB194_722 Depth=2
	s_or_b32 exec_lo, exec_lo, s26
	s_and_saveexec_b32 s25, s24
	s_cbranch_execnz .LBB194_941
.LBB194_873:                            ;   in Loop: Header=BB194_722 Depth=2
	s_or_b32 exec_lo, exec_lo, s25
	s_and_saveexec_b32 s24, s23
	s_cbranch_execnz .LBB194_942
.LBB194_874:                            ;   in Loop: Header=BB194_722 Depth=2
	s_or_b32 exec_lo, exec_lo, s24
	s_and_saveexec_b32 s23, s22
	s_cbranch_execnz .LBB194_943
.LBB194_875:                            ;   in Loop: Header=BB194_722 Depth=2
	s_or_b32 exec_lo, exec_lo, s23
	s_and_saveexec_b32 s22, vcc_lo
	s_cbranch_execz .LBB194_877
.LBB194_876:                            ;   in Loop: Header=BB194_722 Depth=2
	v_lshlrev_b32_e32 v3, 2, v115
	v_add_nc_u32_e32 v39, v0, v75
	ds_read_b32 v3, v3
	ds_read_b64 v[39:40], v39 offset:33280
	s_waitcnt lgkmcnt(1)
	v_add_nc_u32_e32 v3, v3, v61
	v_lshlrev_b64 v[41:42], 3, v[3:4]
	v_add_co_u32 v41, vcc_lo, s52, v41
	v_add_co_ci_u32_e64 v42, null, s53, v42, vcc_lo
	s_waitcnt lgkmcnt(0)
	global_store_dwordx2 v[41:42], v[39:40], off
.LBB194_877:                            ;   in Loop: Header=BB194_722 Depth=2
	s_or_b32 exec_lo, exec_lo, s22
	s_waitcnt_vscnt null, 0x0
	s_barrier
	buffer_gl0_inv
	s_and_saveexec_b32 s22, s7
	s_cbranch_execz .LBB194_721
; %bb.878:                              ;   in Loop: Header=BB194_722 Depth=2
	ds_read_b32 v3, v43
	s_waitcnt lgkmcnt(0)
	v_add3_u32 v3, v132, v133, v3
	ds_write_b32 v43, v3
	s_branch .LBB194_721
.LBB194_879:                            ;   in Loop: Header=BB194_722 Depth=2
	ds_read_u8 v39, v0 offset:512
	s_waitcnt lgkmcnt(0)
	v_lshrrev_b32_sdwa v40, s41, v39 dst_sel:DWORD dst_unused:UNUSED_PAD src0_sel:DWORD src1_sel:BYTE_0
	v_and_b32_e32 v40, s62, v40
	v_lshlrev_b32_e32 v40, 2, v40
	ds_read_b32 v40, v40
	s_waitcnt lgkmcnt(0)
	v_add_nc_u32_e32 v40, v40, v0
	global_store_byte v40, v39, s[46:47]
	s_or_b32 exec_lo, exec_lo, s22
	v_cmp_lt_u32_e64 s38, v44, v3
	s_and_saveexec_b32 s22, s38
	s_cbranch_execz .LBB194_808
.LBB194_880:                            ;   in Loop: Header=BB194_722 Depth=2
	ds_read_u8 v39, v0 offset:768
	s_waitcnt lgkmcnt(0)
	v_lshrrev_b32_sdwa v40, s41, v39 dst_sel:DWORD dst_unused:UNUSED_PAD src0_sel:DWORD src1_sel:BYTE_0
	v_and_b32_e32 v40, s62, v40
	v_lshlrev_b32_e32 v40, 2, v40
	ds_read_b32 v40, v40
	s_waitcnt lgkmcnt(0)
	v_add_nc_u32_e32 v40, v40, v44
	global_store_byte v40, v39, s[46:47]
	s_or_b32 exec_lo, exec_lo, s22
	v_cmp_lt_u32_e64 s37, v47, v3
	s_and_saveexec_b32 s22, s37
	s_cbranch_execz .LBB194_809
.LBB194_881:                            ;   in Loop: Header=BB194_722 Depth=2
	ds_read_u8 v39, v0 offset:1024
	s_waitcnt lgkmcnt(0)
	v_lshrrev_b32_sdwa v40, s41, v39 dst_sel:DWORD dst_unused:UNUSED_PAD src0_sel:DWORD src1_sel:BYTE_0
	v_and_b32_e32 v40, s62, v40
	v_lshlrev_b32_e32 v40, 2, v40
	ds_read_b32 v40, v40
	s_waitcnt lgkmcnt(0)
	v_add_nc_u32_e32 v40, v40, v47
	global_store_byte v40, v39, s[46:47]
	s_or_b32 exec_lo, exec_lo, s22
	v_cmp_lt_u32_e64 s36, v48, v3
	s_and_saveexec_b32 s22, s36
	s_cbranch_execz .LBB194_810
.LBB194_882:                            ;   in Loop: Header=BB194_722 Depth=2
	ds_read_u8 v39, v0 offset:1280
	s_waitcnt lgkmcnt(0)
	v_lshrrev_b32_sdwa v40, s41, v39 dst_sel:DWORD dst_unused:UNUSED_PAD src0_sel:DWORD src1_sel:BYTE_0
	v_and_b32_e32 v40, s62, v40
	v_lshlrev_b32_e32 v40, 2, v40
	ds_read_b32 v40, v40
	s_waitcnt lgkmcnt(0)
	v_add_nc_u32_e32 v40, v40, v48
	global_store_byte v40, v39, s[46:47]
	s_or_b32 exec_lo, exec_lo, s22
	v_cmp_lt_u32_e64 s35, v49, v3
	s_and_saveexec_b32 s22, s35
	s_cbranch_execz .LBB194_811
.LBB194_883:                            ;   in Loop: Header=BB194_722 Depth=2
	ds_read_u8 v39, v0 offset:1536
	s_waitcnt lgkmcnt(0)
	v_lshrrev_b32_sdwa v40, s41, v39 dst_sel:DWORD dst_unused:UNUSED_PAD src0_sel:DWORD src1_sel:BYTE_0
	v_and_b32_e32 v40, s62, v40
	v_lshlrev_b32_e32 v40, 2, v40
	ds_read_b32 v40, v40
	s_waitcnt lgkmcnt(0)
	v_add_nc_u32_e32 v40, v40, v49
	global_store_byte v40, v39, s[46:47]
	s_or_b32 exec_lo, exec_lo, s22
	v_cmp_lt_u32_e64 s34, v50, v3
	s_and_saveexec_b32 s22, s34
	s_cbranch_execz .LBB194_812
.LBB194_884:                            ;   in Loop: Header=BB194_722 Depth=2
	ds_read_u8 v39, v0 offset:1792
	s_waitcnt lgkmcnt(0)
	v_lshrrev_b32_sdwa v40, s41, v39 dst_sel:DWORD dst_unused:UNUSED_PAD src0_sel:DWORD src1_sel:BYTE_0
	v_and_b32_e32 v40, s62, v40
	v_lshlrev_b32_e32 v40, 2, v40
	ds_read_b32 v40, v40
	s_waitcnt lgkmcnt(0)
	v_add_nc_u32_e32 v40, v40, v50
	global_store_byte v40, v39, s[46:47]
	s_or_b32 exec_lo, exec_lo, s22
	v_cmp_lt_u32_e64 s33, v51, v3
	s_and_saveexec_b32 s22, s33
	s_cbranch_execz .LBB194_813
.LBB194_885:                            ;   in Loop: Header=BB194_722 Depth=2
	ds_read_u8 v39, v0 offset:2048
	s_waitcnt lgkmcnt(0)
	v_lshrrev_b32_sdwa v40, s41, v39 dst_sel:DWORD dst_unused:UNUSED_PAD src0_sel:DWORD src1_sel:BYTE_0
	v_and_b32_e32 v40, s62, v40
	v_lshlrev_b32_e32 v40, 2, v40
	ds_read_b32 v40, v40
	s_waitcnt lgkmcnt(0)
	v_add_nc_u32_e32 v40, v40, v51
	global_store_byte v40, v39, s[46:47]
	s_or_b32 exec_lo, exec_lo, s22
	v_cmp_lt_u32_e64 s31, v52, v3
	s_and_saveexec_b32 s22, s31
	s_cbranch_execz .LBB194_814
.LBB194_886:                            ;   in Loop: Header=BB194_722 Depth=2
	ds_read_u8 v39, v0 offset:2304
	s_waitcnt lgkmcnt(0)
	v_lshrrev_b32_sdwa v40, s41, v39 dst_sel:DWORD dst_unused:UNUSED_PAD src0_sel:DWORD src1_sel:BYTE_0
	v_and_b32_e32 v40, s62, v40
	v_lshlrev_b32_e32 v40, 2, v40
	ds_read_b32 v40, v40
	s_waitcnt lgkmcnt(0)
	v_add_nc_u32_e32 v40, v40, v52
	global_store_byte v40, v39, s[46:47]
	s_or_b32 exec_lo, exec_lo, s22
	v_cmp_lt_u32_e64 s30, v53, v3
	s_and_saveexec_b32 s22, s30
	s_cbranch_execz .LBB194_815
.LBB194_887:                            ;   in Loop: Header=BB194_722 Depth=2
	ds_read_u8 v39, v0 offset:2560
	s_waitcnt lgkmcnt(0)
	v_lshrrev_b32_sdwa v40, s41, v39 dst_sel:DWORD dst_unused:UNUSED_PAD src0_sel:DWORD src1_sel:BYTE_0
	v_and_b32_e32 v40, s62, v40
	v_lshlrev_b32_e32 v40, 2, v40
	ds_read_b32 v40, v40
	s_waitcnt lgkmcnt(0)
	v_add_nc_u32_e32 v40, v40, v53
	global_store_byte v40, v39, s[46:47]
	s_or_b32 exec_lo, exec_lo, s22
	v_cmp_lt_u32_e64 s29, v54, v3
	s_and_saveexec_b32 s22, s29
	s_cbranch_execz .LBB194_816
.LBB194_888:                            ;   in Loop: Header=BB194_722 Depth=2
	ds_read_u8 v39, v0 offset:2816
	s_waitcnt lgkmcnt(0)
	v_lshrrev_b32_sdwa v40, s41, v39 dst_sel:DWORD dst_unused:UNUSED_PAD src0_sel:DWORD src1_sel:BYTE_0
	v_and_b32_e32 v40, s62, v40
	v_lshlrev_b32_e32 v40, 2, v40
	ds_read_b32 v40, v40
	s_waitcnt lgkmcnt(0)
	v_add_nc_u32_e32 v40, v40, v54
	global_store_byte v40, v39, s[46:47]
	s_or_b32 exec_lo, exec_lo, s22
	v_cmp_lt_u32_e64 s27, v55, v3
	s_and_saveexec_b32 s22, s27
	s_cbranch_execz .LBB194_817
.LBB194_889:                            ;   in Loop: Header=BB194_722 Depth=2
	ds_read_u8 v39, v0 offset:3072
	s_waitcnt lgkmcnt(0)
	v_lshrrev_b32_sdwa v40, s41, v39 dst_sel:DWORD dst_unused:UNUSED_PAD src0_sel:DWORD src1_sel:BYTE_0
	v_and_b32_e32 v40, s62, v40
	v_lshlrev_b32_e32 v40, 2, v40
	ds_read_b32 v40, v40
	s_waitcnt lgkmcnt(0)
	v_add_nc_u32_e32 v40, v40, v55
	global_store_byte v40, v39, s[46:47]
	s_or_b32 exec_lo, exec_lo, s22
	v_cmp_lt_u32_e64 s26, v56, v3
	s_and_saveexec_b32 s22, s26
	s_cbranch_execz .LBB194_818
.LBB194_890:                            ;   in Loop: Header=BB194_722 Depth=2
	ds_read_u8 v39, v0 offset:3328
	s_waitcnt lgkmcnt(0)
	v_lshrrev_b32_sdwa v40, s41, v39 dst_sel:DWORD dst_unused:UNUSED_PAD src0_sel:DWORD src1_sel:BYTE_0
	v_and_b32_e32 v40, s62, v40
	v_lshlrev_b32_e32 v40, 2, v40
	ds_read_b32 v40, v40
	s_waitcnt lgkmcnt(0)
	v_add_nc_u32_e32 v40, v40, v56
	global_store_byte v40, v39, s[46:47]
	s_or_b32 exec_lo, exec_lo, s22
	v_cmp_lt_u32_e64 s25, v57, v3
	s_and_saveexec_b32 s22, s25
	s_cbranch_execz .LBB194_819
.LBB194_891:                            ;   in Loop: Header=BB194_722 Depth=2
	ds_read_u8 v39, v0 offset:3584
	s_waitcnt lgkmcnt(0)
	v_lshrrev_b32_sdwa v40, s41, v39 dst_sel:DWORD dst_unused:UNUSED_PAD src0_sel:DWORD src1_sel:BYTE_0
	v_and_b32_e32 v40, s62, v40
	v_lshlrev_b32_e32 v40, 2, v40
	ds_read_b32 v40, v40
	s_waitcnt lgkmcnt(0)
	v_add_nc_u32_e32 v40, v40, v57
	global_store_byte v40, v39, s[46:47]
	s_or_b32 exec_lo, exec_lo, s22
	v_cmp_lt_u32_e64 s24, v58, v3
	s_and_saveexec_b32 s22, s24
	s_cbranch_execz .LBB194_820
.LBB194_892:                            ;   in Loop: Header=BB194_722 Depth=2
	ds_read_u8 v39, v0 offset:3840
	s_waitcnt lgkmcnt(0)
	v_lshrrev_b32_sdwa v40, s41, v39 dst_sel:DWORD dst_unused:UNUSED_PAD src0_sel:DWORD src1_sel:BYTE_0
	v_and_b32_e32 v40, s62, v40
	v_lshlrev_b32_e32 v40, 2, v40
	ds_read_b32 v40, v40
	s_waitcnt lgkmcnt(0)
	v_add_nc_u32_e32 v40, v40, v58
	global_store_byte v40, v39, s[46:47]
	s_or_b32 exec_lo, exec_lo, s22
	v_cmp_lt_u32_e64 s23, v59, v3
	s_and_saveexec_b32 s22, s23
	s_cbranch_execz .LBB194_821
.LBB194_893:                            ;   in Loop: Header=BB194_722 Depth=2
	ds_read_u8 v39, v0 offset:4096
	s_waitcnt lgkmcnt(0)
	v_lshrrev_b32_sdwa v40, s41, v39 dst_sel:DWORD dst_unused:UNUSED_PAD src0_sel:DWORD src1_sel:BYTE_0
	v_and_b32_e32 v40, s62, v40
	v_lshlrev_b32_e32 v40, 2, v40
	ds_read_b32 v40, v40
	s_waitcnt lgkmcnt(0)
	v_add_nc_u32_e32 v40, v40, v59
	global_store_byte v40, v39, s[46:47]
	s_or_b32 exec_lo, exec_lo, s22
	v_cmp_lt_u32_e64 s22, v60, v3
	s_and_saveexec_b32 s40, s22
	s_cbranch_execz .LBB194_822
.LBB194_894:                            ;   in Loop: Header=BB194_722 Depth=2
	ds_read_u8 v39, v0 offset:4352
	s_waitcnt lgkmcnt(0)
	v_lshrrev_b32_sdwa v40, s41, v39 dst_sel:DWORD dst_unused:UNUSED_PAD src0_sel:DWORD src1_sel:BYTE_0
	v_and_b32_e32 v40, s62, v40
	v_lshlrev_b32_e32 v40, 2, v40
	ds_read_b32 v40, v40
	s_waitcnt lgkmcnt(0)
	v_add_nc_u32_e32 v40, v40, v60
	global_store_byte v40, v39, s[46:47]
	s_or_b32 exec_lo, exec_lo, s40
	v_cmp_lt_u32_e32 vcc_lo, v61, v3
	s_and_saveexec_b32 s40, vcc_lo
	s_cbranch_execnz .LBB194_823
	s_branch .LBB194_824
.LBB194_895:                            ;   in Loop: Header=BB194_722 Depth=2
	global_load_dwordx2 v[37:38], v[39:40], off
	s_or_b32 exec_lo, exec_lo, s40
	s_mov_b32 s50, exec_lo
	v_cmpx_lt_u32_e64 v96, v3
	s_cbranch_execz .LBB194_826
.LBB194_896:                            ;   in Loop: Header=BB194_722 Depth=2
	global_load_dwordx2 v[35:36], v[39:40], off offset:256
	s_or_b32 exec_lo, exec_lo, s50
	s_mov_b32 s50, exec_lo
	v_cmpx_lt_u32_e64 v97, v3
	s_cbranch_execz .LBB194_827
.LBB194_897:                            ;   in Loop: Header=BB194_722 Depth=2
	global_load_dwordx2 v[33:34], v[39:40], off offset:512
	s_or_b32 exec_lo, exec_lo, s50
	s_mov_b32 s50, exec_lo
	v_cmpx_lt_u32_e64 v98, v3
	s_cbranch_execz .LBB194_828
.LBB194_898:                            ;   in Loop: Header=BB194_722 Depth=2
	global_load_dwordx2 v[31:32], v[39:40], off offset:768
	s_or_b32 exec_lo, exec_lo, s50
	s_mov_b32 s50, exec_lo
	v_cmpx_lt_u32_e64 v99, v3
	s_cbranch_execz .LBB194_829
.LBB194_899:                            ;   in Loop: Header=BB194_722 Depth=2
	global_load_dwordx2 v[29:30], v[39:40], off offset:1024
	s_or_b32 exec_lo, exec_lo, s50
	s_mov_b32 s50, exec_lo
	v_cmpx_lt_u32_e64 v100, v3
	s_cbranch_execz .LBB194_830
.LBB194_900:                            ;   in Loop: Header=BB194_722 Depth=2
	global_load_dwordx2 v[25:26], v[39:40], off offset:1280
	s_or_b32 exec_lo, exec_lo, s50
	s_mov_b32 s50, exec_lo
	v_cmpx_lt_u32_e64 v101, v3
	s_cbranch_execz .LBB194_831
.LBB194_901:                            ;   in Loop: Header=BB194_722 Depth=2
	global_load_dwordx2 v[21:22], v[39:40], off offset:1536
	s_or_b32 exec_lo, exec_lo, s50
	s_mov_b32 s50, exec_lo
	v_cmpx_lt_u32_e64 v102, v3
	s_cbranch_execz .LBB194_832
.LBB194_902:                            ;   in Loop: Header=BB194_722 Depth=2
	global_load_dwordx2 v[17:18], v[39:40], off offset:1792
	s_or_b32 exec_lo, exec_lo, s50
	s_mov_b32 s50, exec_lo
	v_cmpx_lt_u32_e64 v103, v3
	s_cbranch_execz .LBB194_833
.LBB194_903:                            ;   in Loop: Header=BB194_722 Depth=2
	v_add_co_u32 v27, s40, 0x800, v39
	v_add_co_ci_u32_e64 v28, null, 0, v40, s40
	global_load_dwordx2 v[27:28], v[27:28], off
	s_or_b32 exec_lo, exec_lo, s50
	s_mov_b32 s50, exec_lo
	v_cmpx_lt_u32_e64 v104, v3
	s_cbranch_execz .LBB194_834
.LBB194_904:                            ;   in Loop: Header=BB194_722 Depth=2
	v_add_co_u32 v23, s40, 0x800, v39
	v_add_co_ci_u32_e64 v24, null, 0, v40, s40
	global_load_dwordx2 v[23:24], v[23:24], off offset:256
	s_or_b32 exec_lo, exec_lo, s50
	s_mov_b32 s50, exec_lo
	v_cmpx_lt_u32_e64 v105, v3
	s_cbranch_execz .LBB194_835
.LBB194_905:                            ;   in Loop: Header=BB194_722 Depth=2
	v_add_co_u32 v19, s40, 0x800, v39
	v_add_co_ci_u32_e64 v20, null, 0, v40, s40
	global_load_dwordx2 v[19:20], v[19:20], off offset:512
	s_or_b32 exec_lo, exec_lo, s50
	s_mov_b32 s50, exec_lo
	v_cmpx_lt_u32_e64 v106, v3
	s_cbranch_execz .LBB194_836
.LBB194_906:                            ;   in Loop: Header=BB194_722 Depth=2
	v_add_co_u32 v15, s40, 0x800, v39
	v_add_co_ci_u32_e64 v16, null, 0, v40, s40
	global_load_dwordx2 v[15:16], v[15:16], off offset:768
	s_or_b32 exec_lo, exec_lo, s50
	s_mov_b32 s50, exec_lo
	v_cmpx_lt_u32_e64 v107, v3
	s_cbranch_execz .LBB194_837
.LBB194_907:                            ;   in Loop: Header=BB194_722 Depth=2
	v_add_co_u32 v13, s40, 0x800, v39
	v_add_co_ci_u32_e64 v14, null, 0, v40, s40
	global_load_dwordx2 v[13:14], v[13:14], off offset:1024
	s_or_b32 exec_lo, exec_lo, s50
	s_mov_b32 s50, exec_lo
	v_cmpx_lt_u32_e64 v108, v3
	s_cbranch_execz .LBB194_838
.LBB194_908:                            ;   in Loop: Header=BB194_722 Depth=2
	v_add_co_u32 v11, s40, 0x800, v39
	v_add_co_ci_u32_e64 v12, null, 0, v40, s40
	global_load_dwordx2 v[11:12], v[11:12], off offset:1280
	s_or_b32 exec_lo, exec_lo, s50
	s_mov_b32 s50, exec_lo
	v_cmpx_lt_u32_e64 v109, v3
	s_cbranch_execz .LBB194_839
.LBB194_909:                            ;   in Loop: Header=BB194_722 Depth=2
	v_add_co_u32 v9, s40, 0x800, v39
	v_add_co_ci_u32_e64 v10, null, 0, v40, s40
	global_load_dwordx2 v[9:10], v[9:10], off offset:1536
	s_or_b32 exec_lo, exec_lo, s50
	s_mov_b32 s50, exec_lo
	v_cmpx_lt_u32_e64 v110, v3
	s_cbranch_execz .LBB194_840
.LBB194_910:                            ;   in Loop: Header=BB194_722 Depth=2
	v_add_co_u32 v7, s40, 0x800, v39
	v_add_co_ci_u32_e64 v8, null, 0, v40, s40
	global_load_dwordx2 v[7:8], v[7:8], off offset:1792
	s_or_b32 exec_lo, exec_lo, s50
	s_mov_b32 s50, exec_lo
	v_cmpx_lt_u32_e64 v111, v3
	s_cbranch_execz .LBB194_841
.LBB194_911:                            ;   in Loop: Header=BB194_722 Depth=2
	v_add_co_u32 v5, s40, 0x1000, v39
	v_add_co_ci_u32_e64 v6, null, 0, v40, s40
	global_load_dwordx2 v[5:6], v[5:6], off
	s_or_b32 exec_lo, exec_lo, s50
	s_and_saveexec_b32 s40, s39
	s_cbranch_execz .LBB194_842
.LBB194_912:                            ;   in Loop: Header=BB194_722 Depth=2
	ds_read_u8 v3, v0 offset:512
	s_waitcnt lgkmcnt(0)
	v_lshrrev_b32_e32 v3, s41, v3
	v_and_b32_e32 v131, s62, v3
	s_or_b32 exec_lo, exec_lo, s40
	s_and_saveexec_b32 s40, s38
	s_cbranch_execz .LBB194_843
.LBB194_913:                            ;   in Loop: Header=BB194_722 Depth=2
	ds_read_u8 v3, v0 offset:768
	s_waitcnt lgkmcnt(0)
	v_lshrrev_b32_e32 v3, s41, v3
	v_and_b32_e32 v130, s62, v3
	s_or_b32 exec_lo, exec_lo, s40
	s_and_saveexec_b32 s40, s37
	s_cbranch_execz .LBB194_844
.LBB194_914:                            ;   in Loop: Header=BB194_722 Depth=2
	ds_read_u8 v3, v0 offset:1024
	s_waitcnt lgkmcnt(0)
	v_lshrrev_b32_e32 v3, s41, v3
	v_and_b32_e32 v129, s62, v3
	s_or_b32 exec_lo, exec_lo, s40
	s_and_saveexec_b32 s40, s36
	s_cbranch_execz .LBB194_845
.LBB194_915:                            ;   in Loop: Header=BB194_722 Depth=2
	ds_read_u8 v3, v0 offset:1280
	s_waitcnt lgkmcnt(0)
	v_lshrrev_b32_e32 v3, s41, v3
	v_and_b32_e32 v128, s62, v3
	s_or_b32 exec_lo, exec_lo, s40
	s_and_saveexec_b32 s40, s35
	s_cbranch_execz .LBB194_846
.LBB194_916:                            ;   in Loop: Header=BB194_722 Depth=2
	ds_read_u8 v3, v0 offset:1536
	s_waitcnt lgkmcnt(0)
	v_lshrrev_b32_e32 v3, s41, v3
	v_and_b32_e32 v127, s62, v3
	s_or_b32 exec_lo, exec_lo, s40
	s_and_saveexec_b32 s40, s34
	s_cbranch_execz .LBB194_847
.LBB194_917:                            ;   in Loop: Header=BB194_722 Depth=2
	ds_read_u8 v3, v0 offset:1792
	s_waitcnt lgkmcnt(0)
	v_lshrrev_b32_e32 v3, s41, v3
	v_and_b32_e32 v126, s62, v3
	s_or_b32 exec_lo, exec_lo, s40
	s_and_saveexec_b32 s40, s33
	s_cbranch_execz .LBB194_848
.LBB194_918:                            ;   in Loop: Header=BB194_722 Depth=2
	ds_read_u8 v3, v0 offset:2048
	s_waitcnt lgkmcnt(0)
	v_lshrrev_b32_e32 v3, s41, v3
	v_and_b32_e32 v125, s62, v3
	s_or_b32 exec_lo, exec_lo, s40
	s_and_saveexec_b32 s40, s31
	s_cbranch_execz .LBB194_849
.LBB194_919:                            ;   in Loop: Header=BB194_722 Depth=2
	ds_read_u8 v3, v0 offset:2304
	s_waitcnt lgkmcnt(0)
	v_lshrrev_b32_e32 v3, s41, v3
	v_and_b32_e32 v124, s62, v3
	s_or_b32 exec_lo, exec_lo, s40
	s_and_saveexec_b32 s40, s30
	s_cbranch_execz .LBB194_850
.LBB194_920:                            ;   in Loop: Header=BB194_722 Depth=2
	ds_read_u8 v3, v0 offset:2560
	s_waitcnt lgkmcnt(0)
	v_lshrrev_b32_e32 v3, s41, v3
	v_and_b32_e32 v123, s62, v3
	s_or_b32 exec_lo, exec_lo, s40
	s_and_saveexec_b32 s40, s29
	s_cbranch_execz .LBB194_851
.LBB194_921:                            ;   in Loop: Header=BB194_722 Depth=2
	ds_read_u8 v3, v0 offset:2816
	s_waitcnt lgkmcnt(0)
	v_lshrrev_b32_e32 v3, s41, v3
	v_and_b32_e32 v122, s62, v3
	s_or_b32 exec_lo, exec_lo, s40
	s_and_saveexec_b32 s40, s27
	s_cbranch_execz .LBB194_852
.LBB194_922:                            ;   in Loop: Header=BB194_722 Depth=2
	ds_read_u8 v3, v0 offset:3072
	s_waitcnt lgkmcnt(0)
	v_lshrrev_b32_e32 v3, s41, v3
	v_and_b32_e32 v121, s62, v3
	s_or_b32 exec_lo, exec_lo, s40
	s_and_saveexec_b32 s40, s26
	s_cbranch_execz .LBB194_853
.LBB194_923:                            ;   in Loop: Header=BB194_722 Depth=2
	ds_read_u8 v3, v0 offset:3328
	s_waitcnt lgkmcnt(0)
	v_lshrrev_b32_e32 v3, s41, v3
	v_and_b32_e32 v120, s62, v3
	s_or_b32 exec_lo, exec_lo, s40
	s_and_saveexec_b32 s40, s25
	s_cbranch_execz .LBB194_854
.LBB194_924:                            ;   in Loop: Header=BB194_722 Depth=2
	ds_read_u8 v3, v0 offset:3584
	s_waitcnt lgkmcnt(0)
	v_lshrrev_b32_e32 v3, s41, v3
	v_and_b32_e32 v119, s62, v3
	s_or_b32 exec_lo, exec_lo, s40
	s_and_saveexec_b32 s40, s24
	s_cbranch_execz .LBB194_855
.LBB194_925:                            ;   in Loop: Header=BB194_722 Depth=2
	ds_read_u8 v3, v0 offset:3840
	s_waitcnt lgkmcnt(0)
	v_lshrrev_b32_e32 v3, s41, v3
	v_and_b32_e32 v118, s62, v3
	s_or_b32 exec_lo, exec_lo, s40
	s_and_saveexec_b32 s40, s23
	s_cbranch_execz .LBB194_856
.LBB194_926:                            ;   in Loop: Header=BB194_722 Depth=2
	ds_read_u8 v3, v0 offset:4096
	s_waitcnt lgkmcnt(0)
	v_lshrrev_b32_e32 v3, s41, v3
	v_and_b32_e32 v117, s62, v3
	s_or_b32 exec_lo, exec_lo, s40
	s_and_saveexec_b32 s40, s22
	s_cbranch_execz .LBB194_857
.LBB194_927:                            ;   in Loop: Header=BB194_722 Depth=2
	ds_read_u8 v3, v0 offset:4352
	s_waitcnt lgkmcnt(0)
	v_lshrrev_b32_e32 v3, s41, v3
	v_and_b32_e32 v116, s62, v3
	s_or_b32 exec_lo, exec_lo, s40
	s_and_saveexec_b32 s40, vcc_lo
	s_cbranch_execnz .LBB194_858
	s_branch .LBB194_859
.LBB194_928:                            ;   in Loop: Header=BB194_722 Depth=2
	v_lshlrev_b32_e32 v3, 2, v131
	v_add_nc_u32_e32 v39, v0, v75
	ds_read_b32 v3, v3
	ds_read_b64 v[39:40], v39 offset:512
	s_waitcnt lgkmcnt(1)
	v_add_nc_u32_e32 v3, v3, v0
	v_lshlrev_b64 v[41:42], 3, v[3:4]
	v_add_co_u32 v41, s39, s52, v41
	v_add_co_ci_u32_e64 v42, null, s53, v42, s39
	s_waitcnt lgkmcnt(0)
	global_store_dwordx2 v[41:42], v[39:40], off
	s_or_b32 exec_lo, exec_lo, s40
	s_and_saveexec_b32 s39, s38
	s_cbranch_execz .LBB194_861
.LBB194_929:                            ;   in Loop: Header=BB194_722 Depth=2
	v_lshlrev_b32_e32 v3, 2, v130
	v_add_nc_u32_e32 v39, v0, v75
	ds_read_b32 v3, v3
	ds_read_b64 v[39:40], v39 offset:2560
	s_waitcnt lgkmcnt(1)
	v_add_nc_u32_e32 v3, v3, v44
	v_lshlrev_b64 v[41:42], 3, v[3:4]
	v_add_co_u32 v41, s38, s52, v41
	v_add_co_ci_u32_e64 v42, null, s53, v42, s38
	s_waitcnt lgkmcnt(0)
	global_store_dwordx2 v[41:42], v[39:40], off
	s_or_b32 exec_lo, exec_lo, s39
	s_and_saveexec_b32 s38, s37
	s_cbranch_execz .LBB194_862
.LBB194_930:                            ;   in Loop: Header=BB194_722 Depth=2
	v_lshlrev_b32_e32 v3, 2, v129
	v_add_nc_u32_e32 v39, v0, v75
	ds_read_b32 v3, v3
	ds_read_b64 v[39:40], v39 offset:4608
	s_waitcnt lgkmcnt(1)
	v_add_nc_u32_e32 v3, v3, v47
	v_lshlrev_b64 v[41:42], 3, v[3:4]
	v_add_co_u32 v41, s37, s52, v41
	v_add_co_ci_u32_e64 v42, null, s53, v42, s37
	s_waitcnt lgkmcnt(0)
	global_store_dwordx2 v[41:42], v[39:40], off
	s_or_b32 exec_lo, exec_lo, s38
	s_and_saveexec_b32 s37, s36
	s_cbranch_execz .LBB194_863
.LBB194_931:                            ;   in Loop: Header=BB194_722 Depth=2
	v_lshlrev_b32_e32 v3, 2, v128
	v_add_nc_u32_e32 v39, v0, v75
	ds_read_b32 v3, v3
	ds_read_b64 v[39:40], v39 offset:6656
	s_waitcnt lgkmcnt(1)
	v_add_nc_u32_e32 v3, v3, v48
	v_lshlrev_b64 v[41:42], 3, v[3:4]
	v_add_co_u32 v41, s36, s52, v41
	v_add_co_ci_u32_e64 v42, null, s53, v42, s36
	s_waitcnt lgkmcnt(0)
	global_store_dwordx2 v[41:42], v[39:40], off
	s_or_b32 exec_lo, exec_lo, s37
	s_and_saveexec_b32 s36, s35
	s_cbranch_execz .LBB194_864
.LBB194_932:                            ;   in Loop: Header=BB194_722 Depth=2
	v_lshlrev_b32_e32 v3, 2, v127
	v_add_nc_u32_e32 v39, v0, v75
	ds_read_b32 v3, v3
	ds_read_b64 v[39:40], v39 offset:8704
	s_waitcnt lgkmcnt(1)
	v_add_nc_u32_e32 v3, v3, v49
	v_lshlrev_b64 v[41:42], 3, v[3:4]
	v_add_co_u32 v41, s35, s52, v41
	v_add_co_ci_u32_e64 v42, null, s53, v42, s35
	s_waitcnt lgkmcnt(0)
	global_store_dwordx2 v[41:42], v[39:40], off
	s_or_b32 exec_lo, exec_lo, s36
	s_and_saveexec_b32 s35, s34
	s_cbranch_execz .LBB194_865
.LBB194_933:                            ;   in Loop: Header=BB194_722 Depth=2
	v_lshlrev_b32_e32 v3, 2, v126
	v_add_nc_u32_e32 v39, v0, v75
	ds_read_b32 v3, v3
	ds_read_b64 v[39:40], v39 offset:10752
	s_waitcnt lgkmcnt(1)
	v_add_nc_u32_e32 v3, v3, v50
	v_lshlrev_b64 v[41:42], 3, v[3:4]
	v_add_co_u32 v41, s34, s52, v41
	v_add_co_ci_u32_e64 v42, null, s53, v42, s34
	s_waitcnt lgkmcnt(0)
	global_store_dwordx2 v[41:42], v[39:40], off
	s_or_b32 exec_lo, exec_lo, s35
	s_and_saveexec_b32 s34, s33
	s_cbranch_execz .LBB194_866
.LBB194_934:                            ;   in Loop: Header=BB194_722 Depth=2
	v_lshlrev_b32_e32 v3, 2, v125
	v_add_nc_u32_e32 v39, v0, v75
	ds_read_b32 v3, v3
	ds_read_b64 v[39:40], v39 offset:12800
	s_waitcnt lgkmcnt(1)
	v_add_nc_u32_e32 v3, v3, v51
	v_lshlrev_b64 v[41:42], 3, v[3:4]
	v_add_co_u32 v41, s33, s52, v41
	v_add_co_ci_u32_e64 v42, null, s53, v42, s33
	s_waitcnt lgkmcnt(0)
	global_store_dwordx2 v[41:42], v[39:40], off
	s_or_b32 exec_lo, exec_lo, s34
	s_and_saveexec_b32 s33, s31
	s_cbranch_execz .LBB194_867
.LBB194_935:                            ;   in Loop: Header=BB194_722 Depth=2
	v_lshlrev_b32_e32 v3, 2, v124
	v_add_nc_u32_e32 v39, v0, v75
	ds_read_b32 v3, v3
	ds_read_b64 v[39:40], v39 offset:14848
	s_waitcnt lgkmcnt(1)
	v_add_nc_u32_e32 v3, v3, v52
	v_lshlrev_b64 v[41:42], 3, v[3:4]
	v_add_co_u32 v41, s31, s52, v41
	v_add_co_ci_u32_e64 v42, null, s53, v42, s31
	s_waitcnt lgkmcnt(0)
	global_store_dwordx2 v[41:42], v[39:40], off
	s_or_b32 exec_lo, exec_lo, s33
	s_and_saveexec_b32 s31, s30
	s_cbranch_execz .LBB194_868
.LBB194_936:                            ;   in Loop: Header=BB194_722 Depth=2
	v_lshlrev_b32_e32 v3, 2, v123
	v_add_nc_u32_e32 v39, v0, v75
	ds_read_b32 v3, v3
	ds_read_b64 v[39:40], v39 offset:16896
	s_waitcnt lgkmcnt(1)
	v_add_nc_u32_e32 v3, v3, v53
	v_lshlrev_b64 v[41:42], 3, v[3:4]
	v_add_co_u32 v41, s30, s52, v41
	v_add_co_ci_u32_e64 v42, null, s53, v42, s30
	s_waitcnt lgkmcnt(0)
	global_store_dwordx2 v[41:42], v[39:40], off
	s_or_b32 exec_lo, exec_lo, s31
	s_and_saveexec_b32 s30, s29
	s_cbranch_execz .LBB194_869
.LBB194_937:                            ;   in Loop: Header=BB194_722 Depth=2
	v_lshlrev_b32_e32 v3, 2, v122
	v_add_nc_u32_e32 v39, v0, v75
	ds_read_b32 v3, v3
	ds_read_b64 v[39:40], v39 offset:18944
	s_waitcnt lgkmcnt(1)
	v_add_nc_u32_e32 v3, v3, v54
	v_lshlrev_b64 v[41:42], 3, v[3:4]
	v_add_co_u32 v41, s29, s52, v41
	v_add_co_ci_u32_e64 v42, null, s53, v42, s29
	s_waitcnt lgkmcnt(0)
	global_store_dwordx2 v[41:42], v[39:40], off
	s_or_b32 exec_lo, exec_lo, s30
	s_and_saveexec_b32 s29, s27
	s_cbranch_execz .LBB194_870
.LBB194_938:                            ;   in Loop: Header=BB194_722 Depth=2
	v_lshlrev_b32_e32 v3, 2, v121
	v_add_nc_u32_e32 v39, v0, v75
	ds_read_b32 v3, v3
	ds_read_b64 v[39:40], v39 offset:20992
	s_waitcnt lgkmcnt(1)
	v_add_nc_u32_e32 v3, v3, v55
	v_lshlrev_b64 v[41:42], 3, v[3:4]
	v_add_co_u32 v41, s27, s52, v41
	v_add_co_ci_u32_e64 v42, null, s53, v42, s27
	s_waitcnt lgkmcnt(0)
	global_store_dwordx2 v[41:42], v[39:40], off
	s_or_b32 exec_lo, exec_lo, s29
	s_and_saveexec_b32 s27, s26
	s_cbranch_execz .LBB194_871
.LBB194_939:                            ;   in Loop: Header=BB194_722 Depth=2
	v_lshlrev_b32_e32 v3, 2, v120
	v_add_nc_u32_e32 v39, v0, v75
	ds_read_b32 v3, v3
	ds_read_b64 v[39:40], v39 offset:23040
	s_waitcnt lgkmcnt(1)
	v_add_nc_u32_e32 v3, v3, v56
	v_lshlrev_b64 v[41:42], 3, v[3:4]
	v_add_co_u32 v41, s26, s52, v41
	v_add_co_ci_u32_e64 v42, null, s53, v42, s26
	s_waitcnt lgkmcnt(0)
	global_store_dwordx2 v[41:42], v[39:40], off
	s_or_b32 exec_lo, exec_lo, s27
	s_and_saveexec_b32 s26, s25
	s_cbranch_execz .LBB194_872
.LBB194_940:                            ;   in Loop: Header=BB194_722 Depth=2
	v_lshlrev_b32_e32 v3, 2, v119
	v_add_nc_u32_e32 v39, v0, v75
	ds_read_b32 v3, v3
	ds_read_b64 v[39:40], v39 offset:25088
	s_waitcnt lgkmcnt(1)
	v_add_nc_u32_e32 v3, v3, v57
	v_lshlrev_b64 v[41:42], 3, v[3:4]
	v_add_co_u32 v41, s25, s52, v41
	v_add_co_ci_u32_e64 v42, null, s53, v42, s25
	s_waitcnt lgkmcnt(0)
	global_store_dwordx2 v[41:42], v[39:40], off
	s_or_b32 exec_lo, exec_lo, s26
	s_and_saveexec_b32 s25, s24
	s_cbranch_execz .LBB194_873
.LBB194_941:                            ;   in Loop: Header=BB194_722 Depth=2
	v_lshlrev_b32_e32 v3, 2, v118
	v_add_nc_u32_e32 v39, v0, v75
	ds_read_b32 v3, v3
	ds_read_b64 v[39:40], v39 offset:27136
	s_waitcnt lgkmcnt(1)
	v_add_nc_u32_e32 v3, v3, v58
	v_lshlrev_b64 v[41:42], 3, v[3:4]
	v_add_co_u32 v41, s24, s52, v41
	v_add_co_ci_u32_e64 v42, null, s53, v42, s24
	s_waitcnt lgkmcnt(0)
	global_store_dwordx2 v[41:42], v[39:40], off
	s_or_b32 exec_lo, exec_lo, s25
	s_and_saveexec_b32 s24, s23
	s_cbranch_execz .LBB194_874
.LBB194_942:                            ;   in Loop: Header=BB194_722 Depth=2
	v_lshlrev_b32_e32 v3, 2, v117
	v_add_nc_u32_e32 v39, v0, v75
	ds_read_b32 v3, v3
	ds_read_b64 v[39:40], v39 offset:29184
	s_waitcnt lgkmcnt(1)
	v_add_nc_u32_e32 v3, v3, v59
	v_lshlrev_b64 v[41:42], 3, v[3:4]
	v_add_co_u32 v41, s23, s52, v41
	v_add_co_ci_u32_e64 v42, null, s53, v42, s23
	s_waitcnt lgkmcnt(0)
	global_store_dwordx2 v[41:42], v[39:40], off
	s_or_b32 exec_lo, exec_lo, s24
	s_and_saveexec_b32 s23, s22
	s_cbranch_execz .LBB194_875
.LBB194_943:                            ;   in Loop: Header=BB194_722 Depth=2
	v_lshlrev_b32_e32 v3, 2, v116
	v_add_nc_u32_e32 v39, v0, v75
	ds_read_b32 v3, v3
	ds_read_b64 v[39:40], v39 offset:31232
	s_waitcnt lgkmcnt(1)
	v_add_nc_u32_e32 v3, v3, v60
	v_lshlrev_b64 v[41:42], 3, v[3:4]
	v_add_co_u32 v41, s22, s52, v41
	v_add_co_ci_u32_e64 v42, null, s53, v42, s22
	s_waitcnt lgkmcnt(0)
	global_store_dwordx2 v[41:42], v[39:40], off
	s_or_b32 exec_lo, exec_lo, s23
	s_and_saveexec_b32 s22, vcc_lo
	s_cbranch_execnz .LBB194_876
	s_branch .LBB194_877
.LBB194_944:                            ;   in Loop: Header=BB194_12 Depth=1
	s_waitcnt lgkmcnt(0)
	s_mov_b32 s5, 0
	s_barrier
.LBB194_945:                            ;   in Loop: Header=BB194_12 Depth=1
	s_and_b32 vcc_lo, exec_lo, s5
	s_cbranch_vccz .LBB194_11
; %bb.946:                              ;   in Loop: Header=BB194_12 Depth=1
	v_mov_b32_e32 v17, 0
	v_mov_b32_e32 v20, 0
	;; [unrolled: 1-line block ×17, first 2 shown]
	s_mov_b32 s5, s60
	s_mov_b32 s16, s58
	s_barrier
	buffer_gl0_inv
	s_branch .LBB194_948
.LBB194_947:                            ;   in Loop: Header=BB194_948 Depth=2
	s_or_b32 exec_lo, exec_lo, s15
	s_addk_i32 s5, 0xef00
	s_cmp_ge_u32 s14, s59
	s_mov_b32 s16, s14
	s_cbranch_scc1 .LBB194_1020
.LBB194_948:                            ;   Parent Loop BB194_12 Depth=1
                                        ; =>  This Inner Loop Header: Depth=2
	s_add_i32 s14, s16, 0x1100
	s_mov_b32 s15, -1
	s_cmp_gt_u32 s14, s59
                                        ; implicit-def: $vgpr21
                                        ; implicit-def: $vgpr22
                                        ; implicit-def: $vgpr23
                                        ; implicit-def: $vgpr24
                                        ; implicit-def: $vgpr25
                                        ; implicit-def: $vgpr26
                                        ; implicit-def: $vgpr27
                                        ; implicit-def: $vgpr28
                                        ; implicit-def: $vgpr29
                                        ; implicit-def: $vgpr30
                                        ; implicit-def: $vgpr31
                                        ; implicit-def: $vgpr32
                                        ; implicit-def: $vgpr33
                                        ; implicit-def: $vgpr34
                                        ; implicit-def: $vgpr35
                                        ; implicit-def: $vgpr36
                                        ; implicit-def: $vgpr37
	s_cbranch_scc1 .LBB194_950
; %bb.949:                              ;   in Loop: Header=BB194_948 Depth=2
	v_add_co_u32 v38, vcc_lo, v82, s16
	v_add_co_ci_u32_e64 v39, null, 0, v83, vcc_lo
	s_mov_b32 s15, 0
	v_add_co_u32 v21, vcc_lo, 0x800, v38
	v_add_co_ci_u32_e64 v22, null, 0, v39, vcc_lo
	v_add_co_u32 v23, vcc_lo, 0x1000, v38
	v_add_co_ci_u32_e64 v24, null, 0, v39, vcc_lo
	s_clause 0x10
	global_load_ubyte v36, v[21:22], off offset:1792
	global_load_ubyte v37, v[23:24], off
	global_load_ubyte v35, v[21:22], off offset:1536
	global_load_ubyte v34, v[21:22], off offset:1280
	global_load_ubyte v33, v[21:22], off offset:1024
	global_load_ubyte v32, v[21:22], off offset:768
	global_load_ubyte v31, v[21:22], off offset:512
	global_load_ubyte v30, v[21:22], off offset:256
	global_load_ubyte v29, v[21:22], off
	global_load_ubyte v28, v[38:39], off offset:1792
	global_load_ubyte v27, v[38:39], off offset:1536
	;; [unrolled: 1-line block ×7, first 2 shown]
	global_load_ubyte v21, v[38:39], off
.LBB194_950:                            ;   in Loop: Header=BB194_948 Depth=2
	s_andn2_b32 vcc_lo, exec_lo, s15
	s_movk_i32 s15, 0x1100
	s_cbranch_vccnz .LBB194_970
; %bb.951:                              ;   in Loop: Header=BB194_948 Depth=2
	s_add_u32 s15, s44, s16
	s_addc_u32 s16, s45, 0
	s_mov_b32 s17, exec_lo
	v_cmpx_gt_u32_e64 s5, v0
	s_cbranch_execnz .LBB194_1004
; %bb.952:                              ;   in Loop: Header=BB194_948 Depth=2
	s_or_b32 exec_lo, exec_lo, s17
	s_mov_b32 s17, exec_lo
	v_cmpx_gt_u32_e64 s5, v44
	s_cbranch_execnz .LBB194_1005
.LBB194_953:                            ;   in Loop: Header=BB194_948 Depth=2
	s_or_b32 exec_lo, exec_lo, s17
	s_mov_b32 s17, exec_lo
	v_cmpx_gt_u32_e64 s5, v47
	s_cbranch_execnz .LBB194_1006
.LBB194_954:                            ;   in Loop: Header=BB194_948 Depth=2
	s_or_b32 exec_lo, exec_lo, s17
	s_mov_b32 s17, exec_lo
	v_cmpx_gt_u32_e64 s5, v48
	s_cbranch_execnz .LBB194_1007
.LBB194_955:                            ;   in Loop: Header=BB194_948 Depth=2
	s_or_b32 exec_lo, exec_lo, s17
	s_mov_b32 s17, exec_lo
	v_cmpx_gt_u32_e64 s5, v49
	s_cbranch_execnz .LBB194_1008
.LBB194_956:                            ;   in Loop: Header=BB194_948 Depth=2
	s_or_b32 exec_lo, exec_lo, s17
	s_mov_b32 s17, exec_lo
	v_cmpx_gt_u32_e64 s5, v50
	s_cbranch_execnz .LBB194_1009
.LBB194_957:                            ;   in Loop: Header=BB194_948 Depth=2
	s_or_b32 exec_lo, exec_lo, s17
	s_mov_b32 s17, exec_lo
	v_cmpx_gt_u32_e64 s5, v51
	s_cbranch_execnz .LBB194_1010
.LBB194_958:                            ;   in Loop: Header=BB194_948 Depth=2
	s_or_b32 exec_lo, exec_lo, s17
	s_mov_b32 s17, exec_lo
	v_cmpx_gt_u32_e64 s5, v52
	s_cbranch_execnz .LBB194_1011
.LBB194_959:                            ;   in Loop: Header=BB194_948 Depth=2
	s_or_b32 exec_lo, exec_lo, s17
	s_mov_b32 s17, exec_lo
	v_cmpx_gt_u32_e64 s5, v53
	s_cbranch_execnz .LBB194_1012
.LBB194_960:                            ;   in Loop: Header=BB194_948 Depth=2
	s_or_b32 exec_lo, exec_lo, s17
	s_mov_b32 s17, exec_lo
	v_cmpx_gt_u32_e64 s5, v54
	s_cbranch_execnz .LBB194_1013
.LBB194_961:                            ;   in Loop: Header=BB194_948 Depth=2
	s_or_b32 exec_lo, exec_lo, s17
	s_mov_b32 s17, exec_lo
	v_cmpx_gt_u32_e64 s5, v55
	s_cbranch_execnz .LBB194_1014
.LBB194_962:                            ;   in Loop: Header=BB194_948 Depth=2
	s_or_b32 exec_lo, exec_lo, s17
	s_mov_b32 s17, exec_lo
	v_cmpx_gt_u32_e64 s5, v56
	s_cbranch_execnz .LBB194_1015
.LBB194_963:                            ;   in Loop: Header=BB194_948 Depth=2
	s_or_b32 exec_lo, exec_lo, s17
	s_mov_b32 s17, exec_lo
	v_cmpx_gt_u32_e64 s5, v57
	s_cbranch_execnz .LBB194_1016
.LBB194_964:                            ;   in Loop: Header=BB194_948 Depth=2
	s_or_b32 exec_lo, exec_lo, s17
	s_mov_b32 s17, exec_lo
	v_cmpx_gt_u32_e64 s5, v58
	s_cbranch_execnz .LBB194_1017
.LBB194_965:                            ;   in Loop: Header=BB194_948 Depth=2
	s_or_b32 exec_lo, exec_lo, s17
	s_mov_b32 s17, exec_lo
	v_cmpx_gt_u32_e64 s5, v59
	s_cbranch_execnz .LBB194_1018
.LBB194_966:                            ;   in Loop: Header=BB194_948 Depth=2
	s_or_b32 exec_lo, exec_lo, s17
	s_mov_b32 s17, exec_lo
	v_cmpx_gt_u32_e64 s5, v60
	s_cbranch_execnz .LBB194_1019
.LBB194_967:                            ;   in Loop: Header=BB194_948 Depth=2
	s_or_b32 exec_lo, exec_lo, s17
	s_mov_b32 s17, exec_lo
	v_cmpx_gt_u32_e64 s5, v61
	s_cbranch_execz .LBB194_969
.LBB194_968:                            ;   in Loop: Header=BB194_948 Depth=2
	s_waitcnt vmcnt(0)
	v_add_co_u32 v21, s15, s15, v61
	v_add_co_ci_u32_e64 v22, null, s16, 0, s15
	global_load_ubyte v3, v[21:22], off
.LBB194_969:                            ;   in Loop: Header=BB194_948 Depth=2
	s_or_b32 exec_lo, exec_lo, s17
	s_waitcnt vmcnt(0)
	v_mov_b32_e32 v21, v17
	v_mov_b32_e32 v22, v20
	;; [unrolled: 1-line block ×17, first 2 shown]
	s_mov_b32 s15, s5
.LBB194_970:                            ;   in Loop: Header=BB194_948 Depth=2
	s_waitcnt vmcnt(15)
	v_mov_b32_e32 v3, v37
	v_mov_b32_e32 v5, v36
	s_waitcnt vmcnt(14)
	v_mov_b32_e32 v6, v35
	s_waitcnt vmcnt(13)
	;; [unrolled: 2-line block ×15, first 2 shown]
	v_mov_b32_e32 v17, v21
	s_mov_b32 s16, exec_lo
	v_cmpx_gt_u32_e64 s15, v0
	s_cbranch_execnz .LBB194_987
; %bb.971:                              ;   in Loop: Header=BB194_948 Depth=2
	s_or_b32 exec_lo, exec_lo, s16
	s_mov_b32 s16, exec_lo
	v_cmpx_gt_u32_e64 s15, v44
	s_cbranch_execnz .LBB194_988
.LBB194_972:                            ;   in Loop: Header=BB194_948 Depth=2
	s_or_b32 exec_lo, exec_lo, s16
	s_mov_b32 s16, exec_lo
	v_cmpx_gt_u32_e64 s15, v47
	s_cbranch_execnz .LBB194_989
.LBB194_973:                            ;   in Loop: Header=BB194_948 Depth=2
	s_or_b32 exec_lo, exec_lo, s16
	s_mov_b32 s16, exec_lo
	v_cmpx_gt_u32_e64 s15, v48
	s_cbranch_execnz .LBB194_990
.LBB194_974:                            ;   in Loop: Header=BB194_948 Depth=2
	s_or_b32 exec_lo, exec_lo, s16
	s_mov_b32 s16, exec_lo
	v_cmpx_gt_u32_e64 s15, v49
	s_cbranch_execnz .LBB194_991
.LBB194_975:                            ;   in Loop: Header=BB194_948 Depth=2
	s_or_b32 exec_lo, exec_lo, s16
	s_mov_b32 s16, exec_lo
	v_cmpx_gt_u32_e64 s15, v50
	s_cbranch_execnz .LBB194_992
.LBB194_976:                            ;   in Loop: Header=BB194_948 Depth=2
	s_or_b32 exec_lo, exec_lo, s16
	s_mov_b32 s16, exec_lo
	v_cmpx_gt_u32_e64 s15, v51
	s_cbranch_execnz .LBB194_993
.LBB194_977:                            ;   in Loop: Header=BB194_948 Depth=2
	s_or_b32 exec_lo, exec_lo, s16
	s_mov_b32 s16, exec_lo
	v_cmpx_gt_u32_e64 s15, v52
	s_cbranch_execnz .LBB194_994
.LBB194_978:                            ;   in Loop: Header=BB194_948 Depth=2
	s_or_b32 exec_lo, exec_lo, s16
	s_mov_b32 s16, exec_lo
	v_cmpx_gt_u32_e64 s15, v53
	s_cbranch_execnz .LBB194_995
.LBB194_979:                            ;   in Loop: Header=BB194_948 Depth=2
	s_or_b32 exec_lo, exec_lo, s16
	s_mov_b32 s16, exec_lo
	v_cmpx_gt_u32_e64 s15, v54
	s_cbranch_execnz .LBB194_996
.LBB194_980:                            ;   in Loop: Header=BB194_948 Depth=2
	s_or_b32 exec_lo, exec_lo, s16
	s_mov_b32 s16, exec_lo
	v_cmpx_gt_u32_e64 s15, v55
	s_cbranch_execnz .LBB194_997
.LBB194_981:                            ;   in Loop: Header=BB194_948 Depth=2
	s_or_b32 exec_lo, exec_lo, s16
	s_mov_b32 s16, exec_lo
	v_cmpx_gt_u32_e64 s15, v56
	s_cbranch_execnz .LBB194_998
.LBB194_982:                            ;   in Loop: Header=BB194_948 Depth=2
	s_or_b32 exec_lo, exec_lo, s16
	s_mov_b32 s16, exec_lo
	v_cmpx_gt_u32_e64 s15, v57
	s_cbranch_execnz .LBB194_999
.LBB194_983:                            ;   in Loop: Header=BB194_948 Depth=2
	s_or_b32 exec_lo, exec_lo, s16
	s_mov_b32 s16, exec_lo
	v_cmpx_gt_u32_e64 s15, v58
	s_cbranch_execnz .LBB194_1000
.LBB194_984:                            ;   in Loop: Header=BB194_948 Depth=2
	s_or_b32 exec_lo, exec_lo, s16
	s_mov_b32 s16, exec_lo
	v_cmpx_gt_u32_e64 s15, v59
	s_cbranch_execnz .LBB194_1001
.LBB194_985:                            ;   in Loop: Header=BB194_948 Depth=2
	s_or_b32 exec_lo, exec_lo, s16
	s_mov_b32 s16, exec_lo
	v_cmpx_gt_u32_e64 s15, v60
	s_cbranch_execnz .LBB194_1002
.LBB194_986:                            ;   in Loop: Header=BB194_948 Depth=2
	s_or_b32 exec_lo, exec_lo, s16
	v_cmp_gt_u32_e32 vcc_lo, s15, v61
	s_and_saveexec_b32 s15, vcc_lo
	s_cbranch_execz .LBB194_947
	s_branch .LBB194_1003
.LBB194_987:                            ;   in Loop: Header=BB194_948 Depth=2
	v_lshrrev_b32_sdwa v21, s41, v17 dst_sel:DWORD dst_unused:UNUSED_PAD src0_sel:DWORD src1_sel:BYTE_0
	v_and_b32_e32 v21, s62, v21
	v_lshl_or_b32 v21, v21, 4, v63
	ds_add_u32 v21, v89
	s_or_b32 exec_lo, exec_lo, s16
	s_mov_b32 s16, exec_lo
	v_cmpx_gt_u32_e64 s15, v44
	s_cbranch_execz .LBB194_972
.LBB194_988:                            ;   in Loop: Header=BB194_948 Depth=2
	v_lshrrev_b32_sdwa v21, s41, v20 dst_sel:DWORD dst_unused:UNUSED_PAD src0_sel:DWORD src1_sel:BYTE_0
	v_and_b32_e32 v21, s62, v21
	v_lshl_or_b32 v21, v21, 4, v63
	ds_add_u32 v21, v89
	s_or_b32 exec_lo, exec_lo, s16
	s_mov_b32 s16, exec_lo
	v_cmpx_gt_u32_e64 s15, v47
	s_cbranch_execz .LBB194_973
.LBB194_989:                            ;   in Loop: Header=BB194_948 Depth=2
	v_lshrrev_b32_sdwa v21, s41, v19 dst_sel:DWORD dst_unused:UNUSED_PAD src0_sel:DWORD src1_sel:BYTE_0
	v_and_b32_e32 v21, s62, v21
	v_lshl_or_b32 v21, v21, 4, v63
	ds_add_u32 v21, v89
	s_or_b32 exec_lo, exec_lo, s16
	s_mov_b32 s16, exec_lo
	v_cmpx_gt_u32_e64 s15, v48
	s_cbranch_execz .LBB194_974
.LBB194_990:                            ;   in Loop: Header=BB194_948 Depth=2
	v_lshrrev_b32_sdwa v21, s41, v18 dst_sel:DWORD dst_unused:UNUSED_PAD src0_sel:DWORD src1_sel:BYTE_0
	v_and_b32_e32 v21, s62, v21
	v_lshl_or_b32 v21, v21, 4, v63
	ds_add_u32 v21, v89
	s_or_b32 exec_lo, exec_lo, s16
	s_mov_b32 s16, exec_lo
	v_cmpx_gt_u32_e64 s15, v49
	s_cbranch_execz .LBB194_975
.LBB194_991:                            ;   in Loop: Header=BB194_948 Depth=2
	v_lshrrev_b32_sdwa v21, s41, v16 dst_sel:DWORD dst_unused:UNUSED_PAD src0_sel:DWORD src1_sel:BYTE_0
	v_and_b32_e32 v21, s62, v21
	v_lshl_or_b32 v21, v21, 4, v63
	ds_add_u32 v21, v89
	s_or_b32 exec_lo, exec_lo, s16
	s_mov_b32 s16, exec_lo
	v_cmpx_gt_u32_e64 s15, v50
	s_cbranch_execz .LBB194_976
.LBB194_992:                            ;   in Loop: Header=BB194_948 Depth=2
	v_lshrrev_b32_sdwa v21, s41, v15 dst_sel:DWORD dst_unused:UNUSED_PAD src0_sel:DWORD src1_sel:BYTE_0
	v_and_b32_e32 v21, s62, v21
	v_lshl_or_b32 v21, v21, 4, v63
	ds_add_u32 v21, v89
	s_or_b32 exec_lo, exec_lo, s16
	s_mov_b32 s16, exec_lo
	v_cmpx_gt_u32_e64 s15, v51
	s_cbranch_execz .LBB194_977
.LBB194_993:                            ;   in Loop: Header=BB194_948 Depth=2
	v_lshrrev_b32_sdwa v21, s41, v14 dst_sel:DWORD dst_unused:UNUSED_PAD src0_sel:DWORD src1_sel:BYTE_0
	v_and_b32_e32 v21, s62, v21
	v_lshl_or_b32 v21, v21, 4, v63
	ds_add_u32 v21, v89
	s_or_b32 exec_lo, exec_lo, s16
	s_mov_b32 s16, exec_lo
	v_cmpx_gt_u32_e64 s15, v52
	s_cbranch_execz .LBB194_978
.LBB194_994:                            ;   in Loop: Header=BB194_948 Depth=2
	v_lshrrev_b32_sdwa v21, s41, v13 dst_sel:DWORD dst_unused:UNUSED_PAD src0_sel:DWORD src1_sel:BYTE_0
	v_and_b32_e32 v21, s62, v21
	v_lshl_or_b32 v21, v21, 4, v63
	ds_add_u32 v21, v89
	s_or_b32 exec_lo, exec_lo, s16
	s_mov_b32 s16, exec_lo
	v_cmpx_gt_u32_e64 s15, v53
	s_cbranch_execz .LBB194_979
.LBB194_995:                            ;   in Loop: Header=BB194_948 Depth=2
	v_lshrrev_b32_sdwa v21, s41, v12 dst_sel:DWORD dst_unused:UNUSED_PAD src0_sel:DWORD src1_sel:BYTE_0
	v_and_b32_e32 v21, s62, v21
	v_lshl_or_b32 v21, v21, 4, v63
	ds_add_u32 v21, v89
	s_or_b32 exec_lo, exec_lo, s16
	s_mov_b32 s16, exec_lo
	v_cmpx_gt_u32_e64 s15, v54
	s_cbranch_execz .LBB194_980
.LBB194_996:                            ;   in Loop: Header=BB194_948 Depth=2
	v_lshrrev_b32_sdwa v21, s41, v11 dst_sel:DWORD dst_unused:UNUSED_PAD src0_sel:DWORD src1_sel:BYTE_0
	v_and_b32_e32 v21, s62, v21
	v_lshl_or_b32 v21, v21, 4, v63
	ds_add_u32 v21, v89
	s_or_b32 exec_lo, exec_lo, s16
	s_mov_b32 s16, exec_lo
	v_cmpx_gt_u32_e64 s15, v55
	s_cbranch_execz .LBB194_981
.LBB194_997:                            ;   in Loop: Header=BB194_948 Depth=2
	v_lshrrev_b32_sdwa v21, s41, v10 dst_sel:DWORD dst_unused:UNUSED_PAD src0_sel:DWORD src1_sel:BYTE_0
	v_and_b32_e32 v21, s62, v21
	v_lshl_or_b32 v21, v21, 4, v63
	ds_add_u32 v21, v89
	s_or_b32 exec_lo, exec_lo, s16
	s_mov_b32 s16, exec_lo
	v_cmpx_gt_u32_e64 s15, v56
	s_cbranch_execz .LBB194_982
.LBB194_998:                            ;   in Loop: Header=BB194_948 Depth=2
	v_lshrrev_b32_sdwa v21, s41, v9 dst_sel:DWORD dst_unused:UNUSED_PAD src0_sel:DWORD src1_sel:BYTE_0
	v_and_b32_e32 v21, s62, v21
	v_lshl_or_b32 v21, v21, 4, v63
	ds_add_u32 v21, v89
	s_or_b32 exec_lo, exec_lo, s16
	s_mov_b32 s16, exec_lo
	v_cmpx_gt_u32_e64 s15, v57
	s_cbranch_execz .LBB194_983
.LBB194_999:                            ;   in Loop: Header=BB194_948 Depth=2
	v_lshrrev_b32_sdwa v21, s41, v8 dst_sel:DWORD dst_unused:UNUSED_PAD src0_sel:DWORD src1_sel:BYTE_0
	v_and_b32_e32 v21, s62, v21
	v_lshl_or_b32 v21, v21, 4, v63
	ds_add_u32 v21, v89
	s_or_b32 exec_lo, exec_lo, s16
	s_mov_b32 s16, exec_lo
	v_cmpx_gt_u32_e64 s15, v58
	s_cbranch_execz .LBB194_984
.LBB194_1000:                           ;   in Loop: Header=BB194_948 Depth=2
	v_lshrrev_b32_sdwa v21, s41, v7 dst_sel:DWORD dst_unused:UNUSED_PAD src0_sel:DWORD src1_sel:BYTE_0
	v_and_b32_e32 v21, s62, v21
	v_lshl_or_b32 v21, v21, 4, v63
	ds_add_u32 v21, v89
	s_or_b32 exec_lo, exec_lo, s16
	s_mov_b32 s16, exec_lo
	v_cmpx_gt_u32_e64 s15, v59
	s_cbranch_execz .LBB194_985
.LBB194_1001:                           ;   in Loop: Header=BB194_948 Depth=2
	v_lshrrev_b32_sdwa v21, s41, v6 dst_sel:DWORD dst_unused:UNUSED_PAD src0_sel:DWORD src1_sel:BYTE_0
	v_and_b32_e32 v21, s62, v21
	v_lshl_or_b32 v21, v21, 4, v63
	ds_add_u32 v21, v89
	s_or_b32 exec_lo, exec_lo, s16
	s_mov_b32 s16, exec_lo
	v_cmpx_gt_u32_e64 s15, v60
	s_cbranch_execz .LBB194_986
.LBB194_1002:                           ;   in Loop: Header=BB194_948 Depth=2
	v_lshrrev_b32_sdwa v21, s41, v5 dst_sel:DWORD dst_unused:UNUSED_PAD src0_sel:DWORD src1_sel:BYTE_0
	v_and_b32_e32 v21, s62, v21
	v_lshl_or_b32 v21, v21, 4, v63
	ds_add_u32 v21, v89
	s_or_b32 exec_lo, exec_lo, s16
	v_cmp_gt_u32_e32 vcc_lo, s15, v61
	s_and_saveexec_b32 s15, vcc_lo
	s_cbranch_execz .LBB194_947
.LBB194_1003:                           ;   in Loop: Header=BB194_948 Depth=2
	v_lshrrev_b32_sdwa v21, s41, v3 dst_sel:DWORD dst_unused:UNUSED_PAD src0_sel:DWORD src1_sel:BYTE_0
	v_and_b32_e32 v21, s62, v21
	v_lshl_or_b32 v21, v21, 4, v63
	ds_add_u32 v21, v89
	s_branch .LBB194_947
.LBB194_1004:                           ;   in Loop: Header=BB194_948 Depth=2
	s_waitcnt vmcnt(0)
	v_add_co_u32 v21, s18, s15, v0
	v_add_co_ci_u32_e64 v22, null, s16, 0, s18
	global_load_ubyte v17, v[21:22], off
	s_or_b32 exec_lo, exec_lo, s17
	s_mov_b32 s17, exec_lo
	v_cmpx_gt_u32_e64 s5, v44
	s_cbranch_execz .LBB194_953
.LBB194_1005:                           ;   in Loop: Header=BB194_948 Depth=2
	v_add_co_u32 v20, s18, s15, v0
	s_waitcnt vmcnt(0)
	v_add_co_ci_u32_e64 v21, null, s16, 0, s18
	global_load_ubyte v20, v[20:21], off offset:256
	s_or_b32 exec_lo, exec_lo, s17
	s_mov_b32 s17, exec_lo
	v_cmpx_gt_u32_e64 s5, v47
	s_cbranch_execz .LBB194_954
.LBB194_1006:                           ;   in Loop: Header=BB194_948 Depth=2
	s_waitcnt vmcnt(0)
	v_add_co_u32 v21, s18, s15, v0
	v_add_co_ci_u32_e64 v22, null, s16, 0, s18
	global_load_ubyte v19, v[21:22], off offset:512
	s_or_b32 exec_lo, exec_lo, s17
	s_mov_b32 s17, exec_lo
	v_cmpx_gt_u32_e64 s5, v48
	s_cbranch_execz .LBB194_955
.LBB194_1007:                           ;   in Loop: Header=BB194_948 Depth=2
	s_waitcnt vmcnt(0)
	v_add_co_u32 v21, s18, s15, v0
	v_add_co_ci_u32_e64 v22, null, s16, 0, s18
	global_load_ubyte v18, v[21:22], off offset:768
	s_or_b32 exec_lo, exec_lo, s17
	s_mov_b32 s17, exec_lo
	v_cmpx_gt_u32_e64 s5, v49
	s_cbranch_execz .LBB194_956
.LBB194_1008:                           ;   in Loop: Header=BB194_948 Depth=2
	s_waitcnt vmcnt(0)
	v_add_co_u32 v21, s18, s15, v0
	v_add_co_ci_u32_e64 v22, null, s16, 0, s18
	global_load_ubyte v16, v[21:22], off offset:1024
	s_or_b32 exec_lo, exec_lo, s17
	s_mov_b32 s17, exec_lo
	v_cmpx_gt_u32_e64 s5, v50
	s_cbranch_execz .LBB194_957
.LBB194_1009:                           ;   in Loop: Header=BB194_948 Depth=2
	s_waitcnt vmcnt(0)
	v_add_co_u32 v21, s18, s15, v0
	v_add_co_ci_u32_e64 v22, null, s16, 0, s18
	global_load_ubyte v15, v[21:22], off offset:1280
	s_or_b32 exec_lo, exec_lo, s17
	s_mov_b32 s17, exec_lo
	v_cmpx_gt_u32_e64 s5, v51
	s_cbranch_execz .LBB194_958
.LBB194_1010:                           ;   in Loop: Header=BB194_948 Depth=2
	s_waitcnt vmcnt(0)
	v_add_co_u32 v21, s18, s15, v0
	v_add_co_ci_u32_e64 v22, null, s16, 0, s18
	global_load_ubyte v14, v[21:22], off offset:1536
	s_or_b32 exec_lo, exec_lo, s17
	s_mov_b32 s17, exec_lo
	v_cmpx_gt_u32_e64 s5, v52
	s_cbranch_execz .LBB194_959
.LBB194_1011:                           ;   in Loop: Header=BB194_948 Depth=2
	s_waitcnt vmcnt(0)
	v_add_co_u32 v21, s18, s15, v0
	v_add_co_ci_u32_e64 v22, null, s16, 0, s18
	global_load_ubyte v13, v[21:22], off offset:1792
	s_or_b32 exec_lo, exec_lo, s17
	s_mov_b32 s17, exec_lo
	v_cmpx_gt_u32_e64 s5, v53
	s_cbranch_execz .LBB194_960
.LBB194_1012:                           ;   in Loop: Header=BB194_948 Depth=2
	s_waitcnt vmcnt(0)
	v_add_co_u32 v21, s18, s15, v53
	v_add_co_ci_u32_e64 v22, null, s16, 0, s18
	global_load_ubyte v12, v[21:22], off
	s_or_b32 exec_lo, exec_lo, s17
	s_mov_b32 s17, exec_lo
	v_cmpx_gt_u32_e64 s5, v54
	s_cbranch_execz .LBB194_961
.LBB194_1013:                           ;   in Loop: Header=BB194_948 Depth=2
	s_waitcnt vmcnt(0)
	v_add_co_u32 v21, s18, s15, v54
	v_add_co_ci_u32_e64 v22, null, s16, 0, s18
	global_load_ubyte v11, v[21:22], off
	s_or_b32 exec_lo, exec_lo, s17
	s_mov_b32 s17, exec_lo
	v_cmpx_gt_u32_e64 s5, v55
	s_cbranch_execz .LBB194_962
.LBB194_1014:                           ;   in Loop: Header=BB194_948 Depth=2
	s_waitcnt vmcnt(0)
	v_add_co_u32 v21, s18, s15, v55
	v_add_co_ci_u32_e64 v22, null, s16, 0, s18
	global_load_ubyte v10, v[21:22], off
	s_or_b32 exec_lo, exec_lo, s17
	s_mov_b32 s17, exec_lo
	v_cmpx_gt_u32_e64 s5, v56
	s_cbranch_execz .LBB194_963
.LBB194_1015:                           ;   in Loop: Header=BB194_948 Depth=2
	s_waitcnt vmcnt(0)
	v_add_co_u32 v21, s18, s15, v56
	v_add_co_ci_u32_e64 v22, null, s16, 0, s18
	global_load_ubyte v9, v[21:22], off
	s_or_b32 exec_lo, exec_lo, s17
	s_mov_b32 s17, exec_lo
	v_cmpx_gt_u32_e64 s5, v57
	s_cbranch_execz .LBB194_964
.LBB194_1016:                           ;   in Loop: Header=BB194_948 Depth=2
	s_waitcnt vmcnt(0)
	v_add_co_u32 v21, s18, s15, v57
	v_add_co_ci_u32_e64 v22, null, s16, 0, s18
	global_load_ubyte v8, v[21:22], off
	s_or_b32 exec_lo, exec_lo, s17
	s_mov_b32 s17, exec_lo
	v_cmpx_gt_u32_e64 s5, v58
	s_cbranch_execz .LBB194_965
.LBB194_1017:                           ;   in Loop: Header=BB194_948 Depth=2
	s_waitcnt vmcnt(0)
	v_add_co_u32 v21, s18, s15, v58
	v_add_co_ci_u32_e64 v22, null, s16, 0, s18
	global_load_ubyte v7, v[21:22], off
	s_or_b32 exec_lo, exec_lo, s17
	s_mov_b32 s17, exec_lo
	v_cmpx_gt_u32_e64 s5, v59
	s_cbranch_execz .LBB194_966
.LBB194_1018:                           ;   in Loop: Header=BB194_948 Depth=2
	s_waitcnt vmcnt(0)
	v_add_co_u32 v21, s18, s15, v59
	v_add_co_ci_u32_e64 v22, null, s16, 0, s18
	global_load_ubyte v6, v[21:22], off
	s_or_b32 exec_lo, exec_lo, s17
	s_mov_b32 s17, exec_lo
	v_cmpx_gt_u32_e64 s5, v60
	s_cbranch_execz .LBB194_967
.LBB194_1019:                           ;   in Loop: Header=BB194_948 Depth=2
	s_waitcnt vmcnt(0)
	v_add_co_u32 v21, s18, s15, v60
	v_add_co_ci_u32_e64 v22, null, s16, 0, s18
	global_load_ubyte v5, v[21:22], off
	s_or_b32 exec_lo, exec_lo, s17
	s_mov_b32 s17, exec_lo
	v_cmpx_gt_u32_e64 s5, v61
	s_cbranch_execnz .LBB194_968
	s_branch .LBB194_969
.LBB194_1020:                           ;   in Loop: Header=BB194_12 Depth=1
	v_mov_b32_e32 v3, 0
	s_waitcnt lgkmcnt(0)
	s_barrier
	buffer_gl0_inv
	s_and_saveexec_b32 s5, s7
	s_cbranch_execz .LBB194_1022
; %bb.1021:                             ;   in Loop: Header=BB194_12 Depth=1
	ds_read2_b64 v[5:8], v64 offset1:1
	s_waitcnt lgkmcnt(0)
	v_add_nc_u32_e32 v3, v6, v5
	v_add3_u32 v3, v3, v7, v8
.LBB194_1022:                           ;   in Loop: Header=BB194_12 Depth=1
	s_or_b32 exec_lo, exec_lo, s5
	v_and_b32_e32 v5, 15, v86
	v_mov_b32_dpp v6, v3 row_shr:1 row_mask:0xf bank_mask:0xf
	v_and_b32_e32 v7, 16, v86
	v_cmp_eq_u32_e64 s5, 0, v5
	v_cmp_lt_u32_e64 s14, 1, v5
	v_cmp_lt_u32_e64 s15, 3, v5
	;; [unrolled: 1-line block ×3, first 2 shown]
	v_cmp_eq_u32_e64 s17, 0, v7
	v_cndmask_b32_e64 v6, v6, 0, s5
	v_add_nc_u32_e32 v3, v6, v3
	v_mov_b32_dpp v6, v3 row_shr:2 row_mask:0xf bank_mask:0xf
	v_cndmask_b32_e64 v6, 0, v6, s14
	v_add_nc_u32_e32 v3, v3, v6
	v_mov_b32_dpp v6, v3 row_shr:4 row_mask:0xf bank_mask:0xf
	;; [unrolled: 3-line block ×3, first 2 shown]
	v_cndmask_b32_e64 v5, 0, v6, s16
	v_bfe_i32 v6, v86, 4, 1
	v_add_nc_u32_e32 v3, v3, v5
	ds_swizzle_b32 v5, v3 offset:swizzle(BROADCAST,32,15)
	s_waitcnt lgkmcnt(0)
	v_and_b32_e32 v5, v6, v5
	v_add_nc_u32_e32 v3, v3, v5
	s_and_saveexec_b32 s18, s8
; %bb.1023:                             ;   in Loop: Header=BB194_12 Depth=1
	ds_write_b32 v65, v3
; %bb.1024:                             ;   in Loop: Header=BB194_12 Depth=1
	s_or_b32 exec_lo, exec_lo, s18
	s_waitcnt lgkmcnt(0)
	s_barrier
	buffer_gl0_inv
	s_and_saveexec_b32 s18, s9
	s_cbranch_execz .LBB194_1026
; %bb.1025:                             ;   in Loop: Header=BB194_12 Depth=1
	ds_read_b32 v5, v66
	v_and_b32_e32 v6, 3, v86
	v_cmp_ne_u32_e32 vcc_lo, 0, v6
	s_waitcnt lgkmcnt(0)
	v_mov_b32_dpp v7, v5 row_shr:1 row_mask:0xf bank_mask:0xf
	v_cndmask_b32_e32 v7, 0, v7, vcc_lo
	v_cmp_lt_u32_e32 vcc_lo, 1, v6
	v_add_nc_u32_e32 v5, v7, v5
	v_mov_b32_dpp v7, v5 row_shr:2 row_mask:0xf bank_mask:0xf
	v_cndmask_b32_e32 v6, 0, v7, vcc_lo
	v_add_nc_u32_e32 v5, v5, v6
	ds_write_b32 v66, v5
.LBB194_1026:                           ;   in Loop: Header=BB194_12 Depth=1
	s_or_b32 exec_lo, exec_lo, s18
	v_mov_b32_e32 v5, 0
	s_waitcnt lgkmcnt(0)
	s_barrier
	buffer_gl0_inv
	s_and_saveexec_b32 s18, s10
; %bb.1027:                             ;   in Loop: Header=BB194_12 Depth=1
	ds_read_b32 v5, v67
; %bb.1028:                             ;   in Loop: Header=BB194_12 Depth=1
	s_or_b32 exec_lo, exec_lo, s18
	v_sub_co_u32 v6, s18, v86, 1
	s_waitcnt lgkmcnt(0)
	v_add_nc_u32_e32 v3, v5, v3
	s_barrier
	v_cmp_gt_i32_e32 vcc_lo, 0, v6
	buffer_gl0_inv
	v_cndmask_b32_e32 v6, v6, v86, vcc_lo
	v_lshlrev_b32_e32 v92, 2, v6
	ds_bpermute_b32 v3, v92, v3
	s_and_saveexec_b32 s19, s7
	s_cbranch_execz .LBB194_1030
; %bb.1029:                             ;   in Loop: Header=BB194_12 Depth=1
	s_waitcnt lgkmcnt(0)
	v_cndmask_b32_e64 v3, v3, v5, s18
	v_add_nc_u32_e32 v3, s58, v3
	ds_write_b32 v43, v3
.LBB194_1030:                           ;   in Loop: Header=BB194_12 Depth=1
	s_or_b32 exec_lo, exec_lo, s19
	s_load_dwordx2 s[20:21], s[56:57], 0x0
	v_and_b32_e32 v6, 7, v86
	v_lshlrev_b32_e32 v7, 3, v86
	v_or_b32_e32 v93, v86, v68
	s_mov_b32 s63, s60
	s_mov_b32 s50, s58
                                        ; implicit-def: $vgpr9_vgpr10
                                        ; implicit-def: $vgpr11_vgpr12
                                        ; implicit-def: $vgpr13_vgpr14
                                        ; implicit-def: $vgpr15_vgpr16
                                        ; implicit-def: $vgpr19_vgpr20
                                        ; implicit-def: $vgpr23_vgpr24
                                        ; implicit-def: $vgpr27_vgpr28
                                        ; implicit-def: $vgpr17_vgpr18
                                        ; implicit-def: $vgpr21_vgpr22
                                        ; implicit-def: $vgpr25_vgpr26
                                        ; implicit-def: $vgpr29_vgpr30
                                        ; implicit-def: $vgpr31_vgpr32
                                        ; implicit-def: $vgpr33_vgpr34
                                        ; implicit-def: $vgpr35_vgpr36
                                        ; implicit-def: $vgpr37_vgpr38
                                        ; implicit-def: $vgpr115
                                        ; implicit-def: $vgpr116
                                        ; implicit-def: $vgpr117
                                        ; implicit-def: $vgpr118
                                        ; implicit-def: $vgpr119
                                        ; implicit-def: $vgpr120
                                        ; implicit-def: $vgpr121
                                        ; implicit-def: $vgpr122
                                        ; implicit-def: $vgpr123
                                        ; implicit-def: $vgpr124
                                        ; implicit-def: $vgpr125
                                        ; implicit-def: $vgpr126
                                        ; implicit-def: $vgpr127
                                        ; implicit-def: $vgpr128
                                        ; implicit-def: $vgpr129
                                        ; implicit-def: $vgpr130
                                        ; implicit-def: $vgpr131
                                        ; implicit-def: $vgpr132
                                        ; implicit-def: $vgpr133
	v_add_co_u32 v94, vcc_lo, v84, v7
	v_add_co_ci_u32_e64 v95, null, 0, v85, vcc_lo
	v_add_co_u32 v112, vcc_lo, v87, v86
	v_add_nc_u32_e32 v96, 32, v93
	v_add_nc_u32_e32 v97, 64, v93
	;; [unrolled: 1-line block ×7, first 2 shown]
	s_waitcnt lgkmcnt(0)
	s_cmp_lt_u32 s28, s21
	v_add_nc_u32_e32 v103, 0x100, v93
	s_cselect_b32 s19, 14, 20
	v_add_nc_u32_e32 v104, 0x120, v93
	s_add_u32 s22, s56, s19
	s_addc_u32 s23, s57, 0
	s_cmp_lt_u32 s6, s20
	global_load_ushort v3, v4, s[22:23]
	s_cselect_b32 s19, 12, 18
	v_add_nc_u32_e32 v105, 0x140, v93
	s_add_u32 s20, s56, s19
	s_addc_u32 s21, s57, 0
	v_cmp_eq_u32_e64 s19, 0, v6
	global_load_ushort v5, v4, s[20:21]
	v_cmp_lt_u32_e64 s20, 1, v6
	v_cmp_lt_u32_e64 s21, 3, v6
	v_add_nc_u32_e32 v106, 0x160, v93
	v_add_nc_u32_e32 v107, 0x180, v93
	;; [unrolled: 1-line block ×6, first 2 shown]
	v_add_co_ci_u32_e64 v113, null, 0, v88, vcc_lo
                                        ; implicit-def: $vgpr7_vgpr8
	s_waitcnt vmcnt(1)
	v_mad_u32_u24 v3, v2, v3, v1
	s_waitcnt vmcnt(0)
	v_mad_u64_u32 v[5:6], null, v3, v5, v[0:1]
	v_lshrrev_b32_e32 v3, 3, v5
                                        ; implicit-def: $vgpr5_vgpr6
	v_and_b32_e32 v114, 0x1ffffffc, v3
	s_branch .LBB194_1032
.LBB194_1031:                           ;   in Loop: Header=BB194_1032 Depth=2
	s_or_b32 exec_lo, exec_lo, s22
	s_addk_i32 s63, 0xef00
	s_cmp_lt_u32 s64, s59
	s_mov_b32 s50, s64
	s_cbranch_scc0 .LBB194_10
.LBB194_1032:                           ;   Parent Loop BB194_12 Depth=1
                                        ; =>  This Inner Loop Header: Depth=2
	s_add_i32 s64, s50, 0x1100
	s_cmp_gt_u32 s64, s59
	s_cbranch_scc1 .LBB194_1034
; %bb.1033:                             ;   in Loop: Header=BB194_1032 Depth=2
	v_add_co_u32 v39, vcc_lo, v112, s50
	v_add_co_ci_u32_e64 v40, null, 0, v113, vcc_lo
	s_mov_b32 s22, -1
	s_clause 0xf
	global_load_ubyte v134, v[39:40], off
	global_load_ubyte v135, v[39:40], off offset:32
	global_load_ubyte v136, v[39:40], off offset:64
	;; [unrolled: 1-line block ×15, first 2 shown]
	s_movk_i32 s23, 0x1100
	s_cbranch_execz .LBB194_1035
	s_branch .LBB194_1068
.LBB194_1034:                           ;   in Loop: Header=BB194_1032 Depth=2
	s_mov_b32 s22, 0
                                        ; implicit-def: $vgpr134
                                        ; implicit-def: $vgpr135
                                        ; implicit-def: $vgpr136
                                        ; implicit-def: $vgpr137
                                        ; implicit-def: $vgpr138
                                        ; implicit-def: $vgpr139
                                        ; implicit-def: $vgpr140
                                        ; implicit-def: $vgpr141
                                        ; implicit-def: $vgpr142
                                        ; implicit-def: $vgpr143
                                        ; implicit-def: $vgpr144
                                        ; implicit-def: $vgpr145
                                        ; implicit-def: $vgpr146
                                        ; implicit-def: $vgpr147
                                        ; implicit-def: $vgpr148
                                        ; implicit-def: $vgpr149
	s_movk_i32 s23, 0x1100
.LBB194_1035:                           ;   in Loop: Header=BB194_1032 Depth=2
	v_add_co_u32 v39, vcc_lo, v112, s50
	v_add_co_ci_u32_e64 v40, null, 0, v113, vcc_lo
	s_waitcnt vmcnt(14)
	v_mov_b32_e32 v135, 0xff
	v_mov_b32_e32 v134, 0xff
	s_mov_b32 s22, exec_lo
	v_cmpx_gt_u32_e64 s63, v93
	s_cbranch_execz .LBB194_1037
; %bb.1036:                             ;   in Loop: Header=BB194_1032 Depth=2
	global_load_ubyte v134, v[39:40], off
.LBB194_1037:                           ;   in Loop: Header=BB194_1032 Depth=2
	s_or_b32 exec_lo, exec_lo, s22
	s_mov_b32 s22, exec_lo
	v_cmpx_gt_u32_e64 s63, v96
	s_cbranch_execz .LBB194_1039
; %bb.1038:                             ;   in Loop: Header=BB194_1032 Depth=2
	global_load_ubyte v135, v[39:40], off offset:32
.LBB194_1039:                           ;   in Loop: Header=BB194_1032 Depth=2
	s_or_b32 exec_lo, exec_lo, s22
	s_waitcnt vmcnt(12)
	v_mov_b32_e32 v137, 0xff
	v_mov_b32_e32 v136, 0xff
	s_mov_b32 s22, exec_lo
	v_cmpx_gt_u32_e64 s63, v97
	s_cbranch_execz .LBB194_1041
; %bb.1040:                             ;   in Loop: Header=BB194_1032 Depth=2
	global_load_ubyte v136, v[39:40], off offset:64
.LBB194_1041:                           ;   in Loop: Header=BB194_1032 Depth=2
	s_or_b32 exec_lo, exec_lo, s22
	s_mov_b32 s22, exec_lo
	v_cmpx_gt_u32_e64 s63, v98
	s_cbranch_execz .LBB194_1043
; %bb.1042:                             ;   in Loop: Header=BB194_1032 Depth=2
	global_load_ubyte v137, v[39:40], off offset:96
.LBB194_1043:                           ;   in Loop: Header=BB194_1032 Depth=2
	s_or_b32 exec_lo, exec_lo, s22
	s_waitcnt vmcnt(10)
	v_mov_b32_e32 v139, 0xff
	v_mov_b32_e32 v138, 0xff
	s_mov_b32 s22, exec_lo
	v_cmpx_gt_u32_e64 s63, v99
	s_cbranch_execz .LBB194_1045
; %bb.1044:                             ;   in Loop: Header=BB194_1032 Depth=2
	global_load_ubyte v138, v[39:40], off offset:128
.LBB194_1045:                           ;   in Loop: Header=BB194_1032 Depth=2
	;; [unrolled: 17-line block ×7, first 2 shown]
	s_or_b32 exec_lo, exec_lo, s22
	s_mov_b32 s22, exec_lo
	v_cmpx_gt_u32_e64 s63, v110
	s_cbranch_execz .LBB194_1067
; %bb.1066:                             ;   in Loop: Header=BB194_1032 Depth=2
	global_load_ubyte v149, v[39:40], off offset:480
.LBB194_1067:                           ;   in Loop: Header=BB194_1032 Depth=2
	s_or_b32 exec_lo, exec_lo, s22
	v_cmp_gt_u32_e64 s22, s63, v111
	s_sub_i32 s23, s59, s50
.LBB194_1068:                           ;   in Loop: Header=BB194_1032 Depth=2
	v_mov_b32_e32 v150, 0xff
	v_mov_b32_e32 v3, s63
	s_and_saveexec_b32 s24, s22
	s_cbranch_execz .LBB194_1070
; %bb.1069:                             ;   in Loop: Header=BB194_1032 Depth=2
	v_add_co_u32 v39, vcc_lo, v112, s50
	v_add_co_ci_u32_e64 v40, null, s51, v113, vcc_lo
	v_mov_b32_e32 v3, s23
	global_load_ubyte v150, v[39:40], off offset:512
.LBB194_1070:                           ;   in Loop: Header=BB194_1032 Depth=2
	s_or_b32 exec_lo, exec_lo, s24
	s_waitcnt vmcnt(15)
	v_lshrrev_b32_sdwa v39, s41, v134 dst_sel:DWORD dst_unused:UNUSED_PAD src0_sel:DWORD src1_sel:BYTE_0
	ds_write2_b32 v69, v4, v4 offset0:136 offset1:137
	ds_write2_b32 v69, v4, v4 offset0:138 offset1:139
	ds_write_b32 v69, v4 offset:560
	s_waitcnt vmcnt(0) lgkmcnt(0)
	s_barrier
	v_and_b32_e32 v40, s62, v39
	buffer_gl0_inv
	; wave barrier
	v_and_b32_e32 v39, 1, v40
	v_lshlrev_b32_e32 v41, 30, v40
	v_lshlrev_b32_e32 v42, 29, v40
	;; [unrolled: 1-line block ×4, first 2 shown]
	v_add_co_u32 v39, s22, v39, -1
	v_cndmask_b32_e64 v151, 0, 1, s22
	v_not_b32_e32 v155, v41
	v_cmp_gt_i32_e64 s22, 0, v41
	v_not_b32_e32 v41, v42
	v_lshlrev_b32_e32 v154, 26, v40
	v_cmp_ne_u32_e32 vcc_lo, 0, v151
	v_ashrrev_i32_e32 v155, 31, v155
	v_lshlrev_b32_e32 v151, 25, v40
	v_ashrrev_i32_e32 v41, 31, v41
	v_mul_u32_u24_e32 v40, 36, v40
	v_xor_b32_e32 v39, vcc_lo, v39
	v_cmp_gt_i32_e32 vcc_lo, 0, v42
	v_not_b32_e32 v42, v152
	v_xor_b32_e32 v155, s22, v155
	v_cmp_gt_i32_e64 s22, 0, v152
	v_and_b32_e32 v39, exec_lo, v39
	v_not_b32_e32 v152, v153
	v_ashrrev_i32_e32 v42, 31, v42
	v_xor_b32_e32 v41, vcc_lo, v41
	v_cmp_gt_i32_e32 vcc_lo, 0, v153
	v_and_b32_e32 v39, v39, v155
	v_not_b32_e32 v153, v154
	v_ashrrev_i32_e32 v152, 31, v152
	v_xor_b32_e32 v42, s22, v42
	v_cmp_gt_i32_e64 s22, 0, v154
	v_and_b32_e32 v39, v39, v41
	v_not_b32_e32 v41, v151
	v_ashrrev_i32_e32 v153, 31, v153
	v_xor_b32_e32 v152, vcc_lo, v152
	v_cmp_gt_i32_e32 vcc_lo, 0, v151
	v_and_b32_e32 v39, v39, v42
	v_ashrrev_i32_e32 v41, 31, v41
	v_xor_b32_e32 v42, s22, v153
	v_and_b32_e32 v39, v39, v152
	v_xor_b32_e32 v41, vcc_lo, v41
	v_add_nc_u32_e32 v152, v114, v40
	v_and_b32_e32 v39, v39, v42
	v_and_b32_e32 v39, v39, v41
	v_mbcnt_lo_u32_b32 v151, v39, 0
	v_cmp_ne_u32_e64 s22, 0, v39
	v_cmp_eq_u32_e32 vcc_lo, 0, v151
	s_and_b32 s23, s22, vcc_lo
	s_and_saveexec_b32 s22, s23
; %bb.1071:                             ;   in Loop: Header=BB194_1032 Depth=2
	v_bcnt_u32_b32 v39, v39, 0
	ds_write_b32 v152, v39 offset:544
; %bb.1072:                             ;   in Loop: Header=BB194_1032 Depth=2
	s_or_b32 exec_lo, exec_lo, s22
	v_lshrrev_b32_sdwa v39, s41, v135 dst_sel:DWORD dst_unused:UNUSED_PAD src0_sel:DWORD src1_sel:BYTE_0
	; wave barrier
	v_and_b32_e32 v40, s62, v39
	v_and_b32_e32 v39, 1, v40
	v_lshlrev_b32_e32 v41, 30, v40
	v_lshlrev_b32_e32 v42, 29, v40
	v_lshlrev_b32_e32 v154, 28, v40
	v_lshlrev_b32_e32 v155, 27, v40
	v_add_co_u32 v39, s22, v39, -1
	v_cndmask_b32_e64 v153, 0, 1, s22
	v_not_b32_e32 v157, v41
	v_cmp_gt_i32_e64 s22, 0, v41
	v_not_b32_e32 v41, v42
	v_lshlrev_b32_e32 v156, 26, v40
	v_cmp_ne_u32_e32 vcc_lo, 0, v153
	v_ashrrev_i32_e32 v157, 31, v157
	v_lshlrev_b32_e32 v153, 25, v40
	v_ashrrev_i32_e32 v41, 31, v41
	v_xor_b32_e32 v39, vcc_lo, v39
	v_cmp_gt_i32_e32 vcc_lo, 0, v42
	v_not_b32_e32 v42, v154
	v_xor_b32_e32 v157, s22, v157
	v_cmp_gt_i32_e64 s22, 0, v154
	v_and_b32_e32 v39, exec_lo, v39
	v_not_b32_e32 v154, v155
	v_ashrrev_i32_e32 v42, 31, v42
	v_xor_b32_e32 v41, vcc_lo, v41
	v_cmp_gt_i32_e32 vcc_lo, 0, v155
	v_and_b32_e32 v39, v39, v157
	v_not_b32_e32 v155, v156
	v_ashrrev_i32_e32 v154, 31, v154
	v_xor_b32_e32 v42, s22, v42
	v_cmp_gt_i32_e64 s22, 0, v156
	v_and_b32_e32 v39, v39, v41
	v_not_b32_e32 v41, v153
	v_ashrrev_i32_e32 v155, 31, v155
	v_xor_b32_e32 v154, vcc_lo, v154
	v_cmp_gt_i32_e32 vcc_lo, 0, v153
	v_and_b32_e32 v39, v39, v42
	v_ashrrev_i32_e32 v41, 31, v41
	v_xor_b32_e32 v42, s22, v155
	v_mad_u32_u24 v153, v40, 36, v114
	v_mul_u32_u24_e32 v40, 36, v40
	v_and_b32_e32 v39, v39, v154
	v_xor_b32_e32 v41, vcc_lo, v41
	ds_read_b32 v153, v153 offset:544
	v_add_nc_u32_e32 v155, v114, v40
	v_and_b32_e32 v39, v39, v42
	; wave barrier
	v_and_b32_e32 v39, v39, v41
	v_mbcnt_lo_u32_b32 v154, v39, 0
	v_cmp_ne_u32_e64 s22, 0, v39
	v_cmp_eq_u32_e32 vcc_lo, 0, v154
	s_and_b32 s23, s22, vcc_lo
	s_and_saveexec_b32 s22, s23
	s_cbranch_execz .LBB194_1074
; %bb.1073:                             ;   in Loop: Header=BB194_1032 Depth=2
	s_waitcnt lgkmcnt(0)
	v_bcnt_u32_b32 v39, v39, v153
	ds_write_b32 v155, v39 offset:544
.LBB194_1074:                           ;   in Loop: Header=BB194_1032 Depth=2
	s_or_b32 exec_lo, exec_lo, s22
	v_lshrrev_b32_sdwa v39, s41, v136 dst_sel:DWORD dst_unused:UNUSED_PAD src0_sel:DWORD src1_sel:BYTE_0
	; wave barrier
	v_and_b32_e32 v40, s62, v39
	v_and_b32_e32 v39, 1, v40
	v_lshlrev_b32_e32 v41, 30, v40
	v_lshlrev_b32_e32 v42, 29, v40
	v_lshlrev_b32_e32 v157, 28, v40
	v_lshlrev_b32_e32 v158, 27, v40
	v_add_co_u32 v39, s22, v39, -1
	v_cndmask_b32_e64 v156, 0, 1, s22
	v_not_b32_e32 v160, v41
	v_cmp_gt_i32_e64 s22, 0, v41
	v_not_b32_e32 v41, v42
	v_lshlrev_b32_e32 v159, 26, v40
	v_cmp_ne_u32_e32 vcc_lo, 0, v156
	v_ashrrev_i32_e32 v160, 31, v160
	v_lshlrev_b32_e32 v156, 25, v40
	v_ashrrev_i32_e32 v41, 31, v41
	v_xor_b32_e32 v39, vcc_lo, v39
	v_cmp_gt_i32_e32 vcc_lo, 0, v42
	v_not_b32_e32 v42, v157
	v_xor_b32_e32 v160, s22, v160
	v_cmp_gt_i32_e64 s22, 0, v157
	v_and_b32_e32 v39, exec_lo, v39
	v_not_b32_e32 v157, v158
	v_ashrrev_i32_e32 v42, 31, v42
	v_xor_b32_e32 v41, vcc_lo, v41
	v_cmp_gt_i32_e32 vcc_lo, 0, v158
	v_and_b32_e32 v39, v39, v160
	v_not_b32_e32 v158, v159
	v_ashrrev_i32_e32 v157, 31, v157
	v_xor_b32_e32 v42, s22, v42
	v_cmp_gt_i32_e64 s22, 0, v159
	v_and_b32_e32 v39, v39, v41
	v_not_b32_e32 v41, v156
	v_ashrrev_i32_e32 v158, 31, v158
	v_xor_b32_e32 v157, vcc_lo, v157
	v_cmp_gt_i32_e32 vcc_lo, 0, v156
	v_and_b32_e32 v39, v39, v42
	v_ashrrev_i32_e32 v41, 31, v41
	v_xor_b32_e32 v42, s22, v158
	v_mad_u32_u24 v156, v40, 36, v114
	v_mul_u32_u24_e32 v40, 36, v40
	v_and_b32_e32 v39, v39, v157
	v_xor_b32_e32 v41, vcc_lo, v41
	ds_read_b32 v156, v156 offset:544
	v_add_nc_u32_e32 v158, v114, v40
	v_and_b32_e32 v39, v39, v42
	; wave barrier
	v_and_b32_e32 v39, v39, v41
	v_mbcnt_lo_u32_b32 v157, v39, 0
	v_cmp_ne_u32_e64 s22, 0, v39
	v_cmp_eq_u32_e32 vcc_lo, 0, v157
	s_and_b32 s23, s22, vcc_lo
	s_and_saveexec_b32 s22, s23
	s_cbranch_execz .LBB194_1076
; %bb.1075:                             ;   in Loop: Header=BB194_1032 Depth=2
	s_waitcnt lgkmcnt(0)
	v_bcnt_u32_b32 v39, v39, v156
	ds_write_b32 v158, v39 offset:544
.LBB194_1076:                           ;   in Loop: Header=BB194_1032 Depth=2
	;; [unrolled: 62-line block ×16, first 2 shown]
	s_or_b32 exec_lo, exec_lo, s22
	; wave barrier
	s_waitcnt lgkmcnt(0)
	s_barrier
	buffer_gl0_inv
	ds_read2_b32 v[41:42], v69 offset0:136 offset1:137
	ds_read2_b32 v[39:40], v69 offset0:138 offset1:139
	ds_read_b32 v201, v69 offset:560
	s_waitcnt lgkmcnt(1)
	v_add3_u32 v202, v42, v41, v39
	s_waitcnt lgkmcnt(0)
	v_add3_u32 v201, v202, v40, v201
	v_mov_b32_dpp v202, v201 row_shr:1 row_mask:0xf bank_mask:0xf
	v_cndmask_b32_e64 v202, v202, 0, s5
	v_add_nc_u32_e32 v201, v202, v201
	v_mov_b32_dpp v202, v201 row_shr:2 row_mask:0xf bank_mask:0xf
	v_cndmask_b32_e64 v202, 0, v202, s14
	v_add_nc_u32_e32 v201, v201, v202
	;; [unrolled: 3-line block ×4, first 2 shown]
	ds_swizzle_b32 v202, v201 offset:swizzle(BROADCAST,32,15)
	s_waitcnt lgkmcnt(0)
	v_cndmask_b32_e64 v202, v202, 0, s17
	v_add_nc_u32_e32 v201, v201, v202
	s_and_saveexec_b32 s22, s4
; %bb.1105:                             ;   in Loop: Header=BB194_1032 Depth=2
	ds_write_b32 v62, v201 offset:512
; %bb.1106:                             ;   in Loop: Header=BB194_1032 Depth=2
	s_or_b32 exec_lo, exec_lo, s22
	s_waitcnt lgkmcnt(0)
	s_barrier
	buffer_gl0_inv
	s_and_saveexec_b32 s22, s11
	s_cbranch_execz .LBB194_1108
; %bb.1107:                             ;   in Loop: Header=BB194_1032 Depth=2
	ds_read_b32 v202, v70 offset:512
	s_waitcnt lgkmcnt(0)
	v_mov_b32_dpp v203, v202 row_shr:1 row_mask:0xf bank_mask:0xf
	v_cndmask_b32_e64 v203, v203, 0, s19
	v_add_nc_u32_e32 v202, v203, v202
	v_mov_b32_dpp v203, v202 row_shr:2 row_mask:0xf bank_mask:0xf
	v_cndmask_b32_e64 v203, 0, v203, s20
	v_add_nc_u32_e32 v202, v202, v203
	;; [unrolled: 3-line block ×3, first 2 shown]
	ds_write_b32 v70, v202 offset:512
.LBB194_1108:                           ;   in Loop: Header=BB194_1032 Depth=2
	s_or_b32 exec_lo, exec_lo, s22
	v_mov_b32_e32 v202, 0
	s_waitcnt lgkmcnt(0)
	s_barrier
	buffer_gl0_inv
	s_and_saveexec_b32 s22, s10
; %bb.1109:                             ;   in Loop: Header=BB194_1032 Depth=2
	ds_read_b32 v202, v62 offset:508
; %bb.1110:                             ;   in Loop: Header=BB194_1032 Depth=2
	s_or_b32 exec_lo, exec_lo, s22
	s_waitcnt lgkmcnt(0)
	v_add_nc_u32_e32 v201, v202, v201
	ds_bpermute_b32 v201, v92, v201
	s_waitcnt lgkmcnt(0)
	v_cndmask_b32_e64 v201, v201, v202, s18
	v_cndmask_b32_e64 v201, v201, 0, s12
	v_add_nc_u32_e32 v41, v201, v41
	v_add_nc_u32_e32 v42, v41, v42
	;; [unrolled: 1-line block ×4, first 2 shown]
	ds_write2_b32 v69, v201, v41 offset0:136 offset1:137
	ds_write2_b32 v69, v42, v39 offset0:138 offset1:139
	ds_write_b32 v69, v40 offset:560
	s_waitcnt lgkmcnt(0)
	s_barrier
	buffer_gl0_inv
	ds_read_b32 v39, v152 offset:544
	ds_read_b32 v40, v155 offset:544
	;; [unrolled: 1-line block ×17, first 2 shown]
	s_and_saveexec_b32 s22, s7
	s_cbranch_execz .LBB194_1114
; %bb.1111:                             ;   in Loop: Header=BB194_1032 Depth=2
	v_add_nc_u32_e32 v132, v70, v72
	v_mov_b32_e32 v133, 0x1100
	ds_read_b32 v132, v132 offset:544
	s_and_saveexec_b32 s23, s13
; %bb.1112:                             ;   in Loop: Header=BB194_1032 Depth=2
	ds_read_b32 v133, v71 offset:544
; %bb.1113:                             ;   in Loop: Header=BB194_1032 Depth=2
	s_or_b32 exec_lo, exec_lo, s23
	s_waitcnt lgkmcnt(0)
	v_sub_nc_u32_e32 v133, v133, v132
.LBB194_1114:                           ;   in Loop: Header=BB194_1032 Depth=2
	s_or_b32 exec_lo, exec_lo, s22
	s_waitcnt lgkmcnt(0)
	s_barrier
	buffer_gl0_inv
	s_and_saveexec_b32 s22, s7
	s_cbranch_execz .LBB194_1116
; %bb.1115:                             ;   in Loop: Header=BB194_1032 Depth=2
	ds_read_b32 v161, v43
	s_waitcnt lgkmcnt(0)
	v_sub_nc_u32_e32 v161, v161, v132
	ds_write_b32 v43, v161
.LBB194_1116:                           ;   in Loop: Header=BB194_1032 Depth=2
	s_or_b32 exec_lo, exec_lo, s22
	v_add_nc_u32_e32 v173, v39, v151
	v_add3_u32 v170, v154, v153, v40
	v_add3_u32 v167, v157, v156, v41
	;; [unrolled: 1-line block ×16, first 2 shown]
	v_cmp_lt_u32_e64 s39, v0, v3
	ds_write_b8 v173, v134 offset:512
	ds_write_b8 v170, v135 offset:512
	;; [unrolled: 1-line block ×17, first 2 shown]
	s_waitcnt lgkmcnt(0)
	s_barrier
	buffer_gl0_inv
	s_and_saveexec_b32 s22, s39
	s_cbranch_execnz .LBB194_1189
; %bb.1117:                             ;   in Loop: Header=BB194_1032 Depth=2
	s_or_b32 exec_lo, exec_lo, s22
	v_cmp_lt_u32_e64 s38, v44, v3
	s_and_saveexec_b32 s22, s38
	s_cbranch_execnz .LBB194_1190
.LBB194_1118:                           ;   in Loop: Header=BB194_1032 Depth=2
	s_or_b32 exec_lo, exec_lo, s22
	v_cmp_lt_u32_e64 s37, v47, v3
	s_and_saveexec_b32 s22, s37
	s_cbranch_execnz .LBB194_1191
.LBB194_1119:                           ;   in Loop: Header=BB194_1032 Depth=2
	s_or_b32 exec_lo, exec_lo, s22
	v_cmp_lt_u32_e64 s36, v48, v3
	s_and_saveexec_b32 s22, s36
	s_cbranch_execnz .LBB194_1192
.LBB194_1120:                           ;   in Loop: Header=BB194_1032 Depth=2
	s_or_b32 exec_lo, exec_lo, s22
	v_cmp_lt_u32_e64 s35, v49, v3
	s_and_saveexec_b32 s22, s35
	s_cbranch_execnz .LBB194_1193
.LBB194_1121:                           ;   in Loop: Header=BB194_1032 Depth=2
	s_or_b32 exec_lo, exec_lo, s22
	v_cmp_lt_u32_e64 s34, v50, v3
	s_and_saveexec_b32 s22, s34
	s_cbranch_execnz .LBB194_1194
.LBB194_1122:                           ;   in Loop: Header=BB194_1032 Depth=2
	s_or_b32 exec_lo, exec_lo, s22
	v_cmp_lt_u32_e64 s33, v51, v3
	s_and_saveexec_b32 s22, s33
	s_cbranch_execnz .LBB194_1195
.LBB194_1123:                           ;   in Loop: Header=BB194_1032 Depth=2
	s_or_b32 exec_lo, exec_lo, s22
	v_cmp_lt_u32_e64 s31, v52, v3
	s_and_saveexec_b32 s22, s31
	s_cbranch_execnz .LBB194_1196
.LBB194_1124:                           ;   in Loop: Header=BB194_1032 Depth=2
	s_or_b32 exec_lo, exec_lo, s22
	v_cmp_lt_u32_e64 s30, v53, v3
	s_and_saveexec_b32 s22, s30
	s_cbranch_execnz .LBB194_1197
.LBB194_1125:                           ;   in Loop: Header=BB194_1032 Depth=2
	s_or_b32 exec_lo, exec_lo, s22
	v_cmp_lt_u32_e64 s29, v54, v3
	s_and_saveexec_b32 s22, s29
	s_cbranch_execnz .LBB194_1198
.LBB194_1126:                           ;   in Loop: Header=BB194_1032 Depth=2
	s_or_b32 exec_lo, exec_lo, s22
	v_cmp_lt_u32_e64 s27, v55, v3
	s_and_saveexec_b32 s22, s27
	s_cbranch_execnz .LBB194_1199
.LBB194_1127:                           ;   in Loop: Header=BB194_1032 Depth=2
	s_or_b32 exec_lo, exec_lo, s22
	v_cmp_lt_u32_e64 s26, v56, v3
	s_and_saveexec_b32 s22, s26
	s_cbranch_execnz .LBB194_1200
.LBB194_1128:                           ;   in Loop: Header=BB194_1032 Depth=2
	s_or_b32 exec_lo, exec_lo, s22
	v_cmp_lt_u32_e64 s25, v57, v3
	s_and_saveexec_b32 s22, s25
	s_cbranch_execnz .LBB194_1201
.LBB194_1129:                           ;   in Loop: Header=BB194_1032 Depth=2
	s_or_b32 exec_lo, exec_lo, s22
	v_cmp_lt_u32_e64 s24, v58, v3
	s_and_saveexec_b32 s22, s24
	s_cbranch_execnz .LBB194_1202
.LBB194_1130:                           ;   in Loop: Header=BB194_1032 Depth=2
	s_or_b32 exec_lo, exec_lo, s22
	v_cmp_lt_u32_e64 s23, v59, v3
	s_and_saveexec_b32 s22, s23
	s_cbranch_execnz .LBB194_1203
.LBB194_1131:                           ;   in Loop: Header=BB194_1032 Depth=2
	s_or_b32 exec_lo, exec_lo, s22
	v_cmp_lt_u32_e64 s22, v60, v3
	s_and_saveexec_b32 s40, s22
	s_cbranch_execnz .LBB194_1204
.LBB194_1132:                           ;   in Loop: Header=BB194_1032 Depth=2
	s_or_b32 exec_lo, exec_lo, s40
	v_cmp_lt_u32_e32 vcc_lo, v61, v3
	s_and_saveexec_b32 s40, vcc_lo
	s_cbranch_execz .LBB194_1134
.LBB194_1133:                           ;   in Loop: Header=BB194_1032 Depth=2
	ds_read_u8 v39, v0 offset:4608
	s_waitcnt lgkmcnt(0)
	v_lshrrev_b32_sdwa v40, s41, v39 dst_sel:DWORD dst_unused:UNUSED_PAD src0_sel:DWORD src1_sel:BYTE_0
	v_and_b32_e32 v40, s62, v40
	v_lshlrev_b32_e32 v40, 2, v40
	ds_read_b32 v40, v40
	s_waitcnt lgkmcnt(0)
	v_add_nc_u32_e32 v40, v40, v61
	global_store_byte v40, v39, s[48:49]
.LBB194_1134:                           ;   in Loop: Header=BB194_1032 Depth=2
	s_or_b32 exec_lo, exec_lo, s40
	s_lshl_b64 s[66:67], s[50:51], 3
	v_add_co_u32 v39, s40, v94, s66
	v_add_co_ci_u32_e64 v40, null, s67, v95, s40
	v_cmp_lt_u32_e64 s40, v93, v3
	s_and_saveexec_b32 s50, s40
	s_xor_b32 s40, exec_lo, s50
	s_cbranch_execnz .LBB194_1205
; %bb.1135:                             ;   in Loop: Header=BB194_1032 Depth=2
	s_or_b32 exec_lo, exec_lo, s40
	s_mov_b32 s50, exec_lo
	v_cmpx_lt_u32_e64 v96, v3
	s_cbranch_execnz .LBB194_1206
.LBB194_1136:                           ;   in Loop: Header=BB194_1032 Depth=2
	s_or_b32 exec_lo, exec_lo, s50
	s_mov_b32 s50, exec_lo
	v_cmpx_lt_u32_e64 v97, v3
	s_cbranch_execnz .LBB194_1207
.LBB194_1137:                           ;   in Loop: Header=BB194_1032 Depth=2
	s_or_b32 exec_lo, exec_lo, s50
	s_mov_b32 s50, exec_lo
	v_cmpx_lt_u32_e64 v98, v3
	s_cbranch_execnz .LBB194_1208
.LBB194_1138:                           ;   in Loop: Header=BB194_1032 Depth=2
	s_or_b32 exec_lo, exec_lo, s50
	s_mov_b32 s50, exec_lo
	v_cmpx_lt_u32_e64 v99, v3
	s_cbranch_execnz .LBB194_1209
.LBB194_1139:                           ;   in Loop: Header=BB194_1032 Depth=2
	s_or_b32 exec_lo, exec_lo, s50
	s_mov_b32 s50, exec_lo
	v_cmpx_lt_u32_e64 v100, v3
	s_cbranch_execnz .LBB194_1210
.LBB194_1140:                           ;   in Loop: Header=BB194_1032 Depth=2
	s_or_b32 exec_lo, exec_lo, s50
	s_mov_b32 s50, exec_lo
	v_cmpx_lt_u32_e64 v101, v3
	s_cbranch_execnz .LBB194_1211
.LBB194_1141:                           ;   in Loop: Header=BB194_1032 Depth=2
	s_or_b32 exec_lo, exec_lo, s50
	s_mov_b32 s50, exec_lo
	v_cmpx_lt_u32_e64 v102, v3
	s_cbranch_execnz .LBB194_1212
.LBB194_1142:                           ;   in Loop: Header=BB194_1032 Depth=2
	s_or_b32 exec_lo, exec_lo, s50
	s_mov_b32 s50, exec_lo
	v_cmpx_lt_u32_e64 v103, v3
	s_cbranch_execnz .LBB194_1213
.LBB194_1143:                           ;   in Loop: Header=BB194_1032 Depth=2
	s_or_b32 exec_lo, exec_lo, s50
	s_mov_b32 s50, exec_lo
	v_cmpx_lt_u32_e64 v104, v3
	s_cbranch_execnz .LBB194_1214
.LBB194_1144:                           ;   in Loop: Header=BB194_1032 Depth=2
	s_or_b32 exec_lo, exec_lo, s50
	s_mov_b32 s50, exec_lo
	v_cmpx_lt_u32_e64 v105, v3
	s_cbranch_execnz .LBB194_1215
.LBB194_1145:                           ;   in Loop: Header=BB194_1032 Depth=2
	s_or_b32 exec_lo, exec_lo, s50
	s_mov_b32 s50, exec_lo
	v_cmpx_lt_u32_e64 v106, v3
	s_cbranch_execnz .LBB194_1216
.LBB194_1146:                           ;   in Loop: Header=BB194_1032 Depth=2
	s_or_b32 exec_lo, exec_lo, s50
	s_mov_b32 s50, exec_lo
	v_cmpx_lt_u32_e64 v107, v3
	s_cbranch_execnz .LBB194_1217
.LBB194_1147:                           ;   in Loop: Header=BB194_1032 Depth=2
	s_or_b32 exec_lo, exec_lo, s50
	s_mov_b32 s50, exec_lo
	v_cmpx_lt_u32_e64 v108, v3
	s_cbranch_execnz .LBB194_1218
.LBB194_1148:                           ;   in Loop: Header=BB194_1032 Depth=2
	s_or_b32 exec_lo, exec_lo, s50
	s_mov_b32 s50, exec_lo
	v_cmpx_lt_u32_e64 v109, v3
	s_cbranch_execnz .LBB194_1219
.LBB194_1149:                           ;   in Loop: Header=BB194_1032 Depth=2
	s_or_b32 exec_lo, exec_lo, s50
	s_mov_b32 s50, exec_lo
	v_cmpx_lt_u32_e64 v110, v3
	s_cbranch_execnz .LBB194_1220
.LBB194_1150:                           ;   in Loop: Header=BB194_1032 Depth=2
	s_or_b32 exec_lo, exec_lo, s50
	s_mov_b32 s50, exec_lo
	v_cmpx_lt_u32_e64 v111, v3
	s_cbranch_execnz .LBB194_1221
.LBB194_1151:                           ;   in Loop: Header=BB194_1032 Depth=2
	s_or_b32 exec_lo, exec_lo, s50
	s_and_saveexec_b32 s40, s39
	s_cbranch_execnz .LBB194_1222
.LBB194_1152:                           ;   in Loop: Header=BB194_1032 Depth=2
	s_or_b32 exec_lo, exec_lo, s40
	s_and_saveexec_b32 s40, s38
	s_cbranch_execnz .LBB194_1223
.LBB194_1153:                           ;   in Loop: Header=BB194_1032 Depth=2
	s_or_b32 exec_lo, exec_lo, s40
	s_and_saveexec_b32 s40, s37
	s_cbranch_execnz .LBB194_1224
.LBB194_1154:                           ;   in Loop: Header=BB194_1032 Depth=2
	s_or_b32 exec_lo, exec_lo, s40
	s_and_saveexec_b32 s40, s36
	s_cbranch_execnz .LBB194_1225
.LBB194_1155:                           ;   in Loop: Header=BB194_1032 Depth=2
	s_or_b32 exec_lo, exec_lo, s40
	s_and_saveexec_b32 s40, s35
	s_cbranch_execnz .LBB194_1226
.LBB194_1156:                           ;   in Loop: Header=BB194_1032 Depth=2
	s_or_b32 exec_lo, exec_lo, s40
	s_and_saveexec_b32 s40, s34
	s_cbranch_execnz .LBB194_1227
.LBB194_1157:                           ;   in Loop: Header=BB194_1032 Depth=2
	s_or_b32 exec_lo, exec_lo, s40
	s_and_saveexec_b32 s40, s33
	s_cbranch_execnz .LBB194_1228
.LBB194_1158:                           ;   in Loop: Header=BB194_1032 Depth=2
	s_or_b32 exec_lo, exec_lo, s40
	s_and_saveexec_b32 s40, s31
	s_cbranch_execnz .LBB194_1229
.LBB194_1159:                           ;   in Loop: Header=BB194_1032 Depth=2
	s_or_b32 exec_lo, exec_lo, s40
	s_and_saveexec_b32 s40, s30
	s_cbranch_execnz .LBB194_1230
.LBB194_1160:                           ;   in Loop: Header=BB194_1032 Depth=2
	s_or_b32 exec_lo, exec_lo, s40
	s_and_saveexec_b32 s40, s29
	s_cbranch_execnz .LBB194_1231
.LBB194_1161:                           ;   in Loop: Header=BB194_1032 Depth=2
	s_or_b32 exec_lo, exec_lo, s40
	s_and_saveexec_b32 s40, s27
	s_cbranch_execnz .LBB194_1232
.LBB194_1162:                           ;   in Loop: Header=BB194_1032 Depth=2
	s_or_b32 exec_lo, exec_lo, s40
	s_and_saveexec_b32 s40, s26
	s_cbranch_execnz .LBB194_1233
.LBB194_1163:                           ;   in Loop: Header=BB194_1032 Depth=2
	s_or_b32 exec_lo, exec_lo, s40
	s_and_saveexec_b32 s40, s25
	s_cbranch_execnz .LBB194_1234
.LBB194_1164:                           ;   in Loop: Header=BB194_1032 Depth=2
	s_or_b32 exec_lo, exec_lo, s40
	s_and_saveexec_b32 s40, s24
	s_cbranch_execnz .LBB194_1235
.LBB194_1165:                           ;   in Loop: Header=BB194_1032 Depth=2
	s_or_b32 exec_lo, exec_lo, s40
	s_and_saveexec_b32 s40, s23
	s_cbranch_execnz .LBB194_1236
.LBB194_1166:                           ;   in Loop: Header=BB194_1032 Depth=2
	s_or_b32 exec_lo, exec_lo, s40
	s_and_saveexec_b32 s40, s22
	s_cbranch_execnz .LBB194_1237
.LBB194_1167:                           ;   in Loop: Header=BB194_1032 Depth=2
	s_or_b32 exec_lo, exec_lo, s40
	s_and_saveexec_b32 s40, vcc_lo
	s_cbranch_execz .LBB194_1169
.LBB194_1168:                           ;   in Loop: Header=BB194_1032 Depth=2
	ds_read_u8 v3, v0 offset:4608
	s_waitcnt lgkmcnt(0)
	v_lshrrev_b32_e32 v3, s41, v3
	v_and_b32_e32 v115, s62, v3
.LBB194_1169:                           ;   in Loop: Header=BB194_1032 Depth=2
	s_or_b32 exec_lo, exec_lo, s40
	v_lshlrev_b32_e32 v3, 3, v173
	v_lshlrev_b32_e32 v39, 3, v170
	s_waitcnt vmcnt(0)
	s_waitcnt_vscnt null, 0x0
	s_barrier
	buffer_gl0_inv
	ds_write_b64 v3, v[37:38] offset:512
	v_lshlrev_b32_e32 v3, 3, v167
	ds_write_b64 v39, v[35:36] offset:512
	v_lshlrev_b32_e32 v39, 3, v164
	v_lshlrev_b32_e32 v40, 3, v161
	;; [unrolled: 1-line block ×3, first 2 shown]
	ds_write_b64 v3, v[33:34] offset:512
	v_lshlrev_b32_e32 v3, 3, v159
	ds_write_b64 v39, v[31:32] offset:512
	ds_write_b64 v40, v[29:30] offset:512
	;; [unrolled: 1-line block ×3, first 2 shown]
	v_lshlrev_b32_e32 v39, 3, v158
	v_lshlrev_b32_e32 v40, 3, v156
	;; [unrolled: 1-line block ×3, first 2 shown]
	ds_write_b64 v3, v[21:22] offset:512
	v_lshlrev_b32_e32 v3, 3, v157
	ds_write_b64 v39, v[17:18] offset:512
	v_lshlrev_b32_e32 v39, 3, v154
	ds_write_b64 v3, v[27:28] offset:512
	ds_write_b64 v40, v[23:24] offset:512
	;; [unrolled: 1-line block ×3, first 2 shown]
	v_lshlrev_b32_e32 v3, 3, v153
	ds_write_b64 v39, v[15:16] offset:512
	v_lshlrev_b32_e32 v39, 3, v152
	v_lshlrev_b32_e32 v40, 3, v151
	;; [unrolled: 1-line block ×3, first 2 shown]
	ds_write_b64 v3, v[13:14] offset:512
	v_lshlrev_b32_e32 v3, 3, v41
	ds_write_b64 v39, v[11:12] offset:512
	ds_write_b64 v40, v[9:10] offset:512
	;; [unrolled: 1-line block ×3, first 2 shown]
	v_add_nc_u32_e32 v39, v0, v75
	ds_write_b64 v3, v[5:6] offset:512
	s_waitcnt lgkmcnt(0)
	s_barrier
	buffer_gl0_inv
	s_and_saveexec_b32 s40, s39
	s_cbranch_execnz .LBB194_1238
; %bb.1170:                             ;   in Loop: Header=BB194_1032 Depth=2
	s_or_b32 exec_lo, exec_lo, s40
	s_and_saveexec_b32 s39, s38
	s_cbranch_execnz .LBB194_1239
.LBB194_1171:                           ;   in Loop: Header=BB194_1032 Depth=2
	s_or_b32 exec_lo, exec_lo, s39
	s_and_saveexec_b32 s38, s37
	s_cbranch_execnz .LBB194_1240
.LBB194_1172:                           ;   in Loop: Header=BB194_1032 Depth=2
	s_or_b32 exec_lo, exec_lo, s38
	s_and_saveexec_b32 s37, s36
	s_cbranch_execnz .LBB194_1241
.LBB194_1173:                           ;   in Loop: Header=BB194_1032 Depth=2
	s_or_b32 exec_lo, exec_lo, s37
	s_and_saveexec_b32 s36, s35
	s_cbranch_execnz .LBB194_1242
.LBB194_1174:                           ;   in Loop: Header=BB194_1032 Depth=2
	s_or_b32 exec_lo, exec_lo, s36
	s_and_saveexec_b32 s35, s34
	s_cbranch_execnz .LBB194_1243
.LBB194_1175:                           ;   in Loop: Header=BB194_1032 Depth=2
	s_or_b32 exec_lo, exec_lo, s35
	s_and_saveexec_b32 s34, s33
	s_cbranch_execnz .LBB194_1244
.LBB194_1176:                           ;   in Loop: Header=BB194_1032 Depth=2
	s_or_b32 exec_lo, exec_lo, s34
	s_and_saveexec_b32 s33, s31
	s_cbranch_execnz .LBB194_1245
.LBB194_1177:                           ;   in Loop: Header=BB194_1032 Depth=2
	s_or_b32 exec_lo, exec_lo, s33
	s_and_saveexec_b32 s31, s30
	s_cbranch_execnz .LBB194_1246
.LBB194_1178:                           ;   in Loop: Header=BB194_1032 Depth=2
	s_or_b32 exec_lo, exec_lo, s31
	s_and_saveexec_b32 s30, s29
	s_cbranch_execnz .LBB194_1247
.LBB194_1179:                           ;   in Loop: Header=BB194_1032 Depth=2
	s_or_b32 exec_lo, exec_lo, s30
	s_and_saveexec_b32 s29, s27
	s_cbranch_execnz .LBB194_1248
.LBB194_1180:                           ;   in Loop: Header=BB194_1032 Depth=2
	s_or_b32 exec_lo, exec_lo, s29
	s_and_saveexec_b32 s27, s26
	s_cbranch_execnz .LBB194_1249
.LBB194_1181:                           ;   in Loop: Header=BB194_1032 Depth=2
	s_or_b32 exec_lo, exec_lo, s27
	s_and_saveexec_b32 s26, s25
	s_cbranch_execnz .LBB194_1250
.LBB194_1182:                           ;   in Loop: Header=BB194_1032 Depth=2
	s_or_b32 exec_lo, exec_lo, s26
	s_and_saveexec_b32 s25, s24
	s_cbranch_execnz .LBB194_1251
.LBB194_1183:                           ;   in Loop: Header=BB194_1032 Depth=2
	s_or_b32 exec_lo, exec_lo, s25
	s_and_saveexec_b32 s24, s23
	s_cbranch_execnz .LBB194_1252
.LBB194_1184:                           ;   in Loop: Header=BB194_1032 Depth=2
	s_or_b32 exec_lo, exec_lo, s24
	s_and_saveexec_b32 s23, s22
	s_cbranch_execnz .LBB194_1253
.LBB194_1185:                           ;   in Loop: Header=BB194_1032 Depth=2
	s_or_b32 exec_lo, exec_lo, s23
	s_and_saveexec_b32 s22, vcc_lo
	s_cbranch_execz .LBB194_1187
.LBB194_1186:                           ;   in Loop: Header=BB194_1032 Depth=2
	v_lshlrev_b32_e32 v3, 2, v115
	ds_read_b32 v3, v3
	ds_read_b64 v[39:40], v39 offset:33280
	s_waitcnt lgkmcnt(1)
	v_add_nc_u32_e32 v3, v3, v61
	v_lshlrev_b64 v[41:42], 3, v[3:4]
	v_add_co_u32 v41, vcc_lo, s54, v41
	v_add_co_ci_u32_e64 v42, null, s55, v42, vcc_lo
	s_waitcnt lgkmcnt(0)
	global_store_dwordx2 v[41:42], v[39:40], off
.LBB194_1187:                           ;   in Loop: Header=BB194_1032 Depth=2
	s_or_b32 exec_lo, exec_lo, s22
	s_waitcnt_vscnt null, 0x0
	s_barrier
	buffer_gl0_inv
	s_and_saveexec_b32 s22, s7
	s_cbranch_execz .LBB194_1031
; %bb.1188:                             ;   in Loop: Header=BB194_1032 Depth=2
	ds_read_b32 v3, v43
	s_waitcnt lgkmcnt(0)
	v_add3_u32 v3, v132, v133, v3
	ds_write_b32 v43, v3
	s_branch .LBB194_1031
.LBB194_1189:                           ;   in Loop: Header=BB194_1032 Depth=2
	ds_read_u8 v39, v0 offset:512
	s_waitcnt lgkmcnt(0)
	v_lshrrev_b32_sdwa v40, s41, v39 dst_sel:DWORD dst_unused:UNUSED_PAD src0_sel:DWORD src1_sel:BYTE_0
	v_and_b32_e32 v40, s62, v40
	v_lshlrev_b32_e32 v40, 2, v40
	ds_read_b32 v40, v40
	s_waitcnt lgkmcnt(0)
	v_add_nc_u32_e32 v40, v40, v0
	global_store_byte v40, v39, s[48:49]
	s_or_b32 exec_lo, exec_lo, s22
	v_cmp_lt_u32_e64 s38, v44, v3
	s_and_saveexec_b32 s22, s38
	s_cbranch_execz .LBB194_1118
.LBB194_1190:                           ;   in Loop: Header=BB194_1032 Depth=2
	ds_read_u8 v39, v0 offset:768
	s_waitcnt lgkmcnt(0)
	v_lshrrev_b32_sdwa v40, s41, v39 dst_sel:DWORD dst_unused:UNUSED_PAD src0_sel:DWORD src1_sel:BYTE_0
	v_and_b32_e32 v40, s62, v40
	v_lshlrev_b32_e32 v40, 2, v40
	ds_read_b32 v40, v40
	s_waitcnt lgkmcnt(0)
	v_add_nc_u32_e32 v40, v40, v44
	global_store_byte v40, v39, s[48:49]
	s_or_b32 exec_lo, exec_lo, s22
	v_cmp_lt_u32_e64 s37, v47, v3
	s_and_saveexec_b32 s22, s37
	s_cbranch_execz .LBB194_1119
.LBB194_1191:                           ;   in Loop: Header=BB194_1032 Depth=2
	ds_read_u8 v39, v0 offset:1024
	s_waitcnt lgkmcnt(0)
	v_lshrrev_b32_sdwa v40, s41, v39 dst_sel:DWORD dst_unused:UNUSED_PAD src0_sel:DWORD src1_sel:BYTE_0
	v_and_b32_e32 v40, s62, v40
	v_lshlrev_b32_e32 v40, 2, v40
	ds_read_b32 v40, v40
	s_waitcnt lgkmcnt(0)
	v_add_nc_u32_e32 v40, v40, v47
	global_store_byte v40, v39, s[48:49]
	s_or_b32 exec_lo, exec_lo, s22
	v_cmp_lt_u32_e64 s36, v48, v3
	s_and_saveexec_b32 s22, s36
	s_cbranch_execz .LBB194_1120
.LBB194_1192:                           ;   in Loop: Header=BB194_1032 Depth=2
	ds_read_u8 v39, v0 offset:1280
	s_waitcnt lgkmcnt(0)
	v_lshrrev_b32_sdwa v40, s41, v39 dst_sel:DWORD dst_unused:UNUSED_PAD src0_sel:DWORD src1_sel:BYTE_0
	v_and_b32_e32 v40, s62, v40
	v_lshlrev_b32_e32 v40, 2, v40
	ds_read_b32 v40, v40
	s_waitcnt lgkmcnt(0)
	v_add_nc_u32_e32 v40, v40, v48
	global_store_byte v40, v39, s[48:49]
	s_or_b32 exec_lo, exec_lo, s22
	v_cmp_lt_u32_e64 s35, v49, v3
	s_and_saveexec_b32 s22, s35
	s_cbranch_execz .LBB194_1121
.LBB194_1193:                           ;   in Loop: Header=BB194_1032 Depth=2
	ds_read_u8 v39, v0 offset:1536
	s_waitcnt lgkmcnt(0)
	v_lshrrev_b32_sdwa v40, s41, v39 dst_sel:DWORD dst_unused:UNUSED_PAD src0_sel:DWORD src1_sel:BYTE_0
	v_and_b32_e32 v40, s62, v40
	v_lshlrev_b32_e32 v40, 2, v40
	ds_read_b32 v40, v40
	s_waitcnt lgkmcnt(0)
	v_add_nc_u32_e32 v40, v40, v49
	global_store_byte v40, v39, s[48:49]
	s_or_b32 exec_lo, exec_lo, s22
	v_cmp_lt_u32_e64 s34, v50, v3
	s_and_saveexec_b32 s22, s34
	s_cbranch_execz .LBB194_1122
.LBB194_1194:                           ;   in Loop: Header=BB194_1032 Depth=2
	ds_read_u8 v39, v0 offset:1792
	s_waitcnt lgkmcnt(0)
	v_lshrrev_b32_sdwa v40, s41, v39 dst_sel:DWORD dst_unused:UNUSED_PAD src0_sel:DWORD src1_sel:BYTE_0
	v_and_b32_e32 v40, s62, v40
	v_lshlrev_b32_e32 v40, 2, v40
	ds_read_b32 v40, v40
	s_waitcnt lgkmcnt(0)
	v_add_nc_u32_e32 v40, v40, v50
	global_store_byte v40, v39, s[48:49]
	s_or_b32 exec_lo, exec_lo, s22
	v_cmp_lt_u32_e64 s33, v51, v3
	s_and_saveexec_b32 s22, s33
	s_cbranch_execz .LBB194_1123
.LBB194_1195:                           ;   in Loop: Header=BB194_1032 Depth=2
	ds_read_u8 v39, v0 offset:2048
	s_waitcnt lgkmcnt(0)
	v_lshrrev_b32_sdwa v40, s41, v39 dst_sel:DWORD dst_unused:UNUSED_PAD src0_sel:DWORD src1_sel:BYTE_0
	v_and_b32_e32 v40, s62, v40
	v_lshlrev_b32_e32 v40, 2, v40
	ds_read_b32 v40, v40
	s_waitcnt lgkmcnt(0)
	v_add_nc_u32_e32 v40, v40, v51
	global_store_byte v40, v39, s[48:49]
	s_or_b32 exec_lo, exec_lo, s22
	v_cmp_lt_u32_e64 s31, v52, v3
	s_and_saveexec_b32 s22, s31
	s_cbranch_execz .LBB194_1124
.LBB194_1196:                           ;   in Loop: Header=BB194_1032 Depth=2
	ds_read_u8 v39, v0 offset:2304
	s_waitcnt lgkmcnt(0)
	v_lshrrev_b32_sdwa v40, s41, v39 dst_sel:DWORD dst_unused:UNUSED_PAD src0_sel:DWORD src1_sel:BYTE_0
	v_and_b32_e32 v40, s62, v40
	v_lshlrev_b32_e32 v40, 2, v40
	ds_read_b32 v40, v40
	s_waitcnt lgkmcnt(0)
	v_add_nc_u32_e32 v40, v40, v52
	global_store_byte v40, v39, s[48:49]
	s_or_b32 exec_lo, exec_lo, s22
	v_cmp_lt_u32_e64 s30, v53, v3
	s_and_saveexec_b32 s22, s30
	s_cbranch_execz .LBB194_1125
.LBB194_1197:                           ;   in Loop: Header=BB194_1032 Depth=2
	ds_read_u8 v39, v0 offset:2560
	s_waitcnt lgkmcnt(0)
	v_lshrrev_b32_sdwa v40, s41, v39 dst_sel:DWORD dst_unused:UNUSED_PAD src0_sel:DWORD src1_sel:BYTE_0
	v_and_b32_e32 v40, s62, v40
	v_lshlrev_b32_e32 v40, 2, v40
	ds_read_b32 v40, v40
	s_waitcnt lgkmcnt(0)
	v_add_nc_u32_e32 v40, v40, v53
	global_store_byte v40, v39, s[48:49]
	s_or_b32 exec_lo, exec_lo, s22
	v_cmp_lt_u32_e64 s29, v54, v3
	s_and_saveexec_b32 s22, s29
	s_cbranch_execz .LBB194_1126
.LBB194_1198:                           ;   in Loop: Header=BB194_1032 Depth=2
	ds_read_u8 v39, v0 offset:2816
	s_waitcnt lgkmcnt(0)
	v_lshrrev_b32_sdwa v40, s41, v39 dst_sel:DWORD dst_unused:UNUSED_PAD src0_sel:DWORD src1_sel:BYTE_0
	v_and_b32_e32 v40, s62, v40
	v_lshlrev_b32_e32 v40, 2, v40
	ds_read_b32 v40, v40
	s_waitcnt lgkmcnt(0)
	v_add_nc_u32_e32 v40, v40, v54
	global_store_byte v40, v39, s[48:49]
	s_or_b32 exec_lo, exec_lo, s22
	v_cmp_lt_u32_e64 s27, v55, v3
	s_and_saveexec_b32 s22, s27
	s_cbranch_execz .LBB194_1127
.LBB194_1199:                           ;   in Loop: Header=BB194_1032 Depth=2
	ds_read_u8 v39, v0 offset:3072
	s_waitcnt lgkmcnt(0)
	v_lshrrev_b32_sdwa v40, s41, v39 dst_sel:DWORD dst_unused:UNUSED_PAD src0_sel:DWORD src1_sel:BYTE_0
	v_and_b32_e32 v40, s62, v40
	v_lshlrev_b32_e32 v40, 2, v40
	ds_read_b32 v40, v40
	s_waitcnt lgkmcnt(0)
	v_add_nc_u32_e32 v40, v40, v55
	global_store_byte v40, v39, s[48:49]
	s_or_b32 exec_lo, exec_lo, s22
	v_cmp_lt_u32_e64 s26, v56, v3
	s_and_saveexec_b32 s22, s26
	s_cbranch_execz .LBB194_1128
.LBB194_1200:                           ;   in Loop: Header=BB194_1032 Depth=2
	ds_read_u8 v39, v0 offset:3328
	s_waitcnt lgkmcnt(0)
	v_lshrrev_b32_sdwa v40, s41, v39 dst_sel:DWORD dst_unused:UNUSED_PAD src0_sel:DWORD src1_sel:BYTE_0
	v_and_b32_e32 v40, s62, v40
	v_lshlrev_b32_e32 v40, 2, v40
	ds_read_b32 v40, v40
	s_waitcnt lgkmcnt(0)
	v_add_nc_u32_e32 v40, v40, v56
	global_store_byte v40, v39, s[48:49]
	s_or_b32 exec_lo, exec_lo, s22
	v_cmp_lt_u32_e64 s25, v57, v3
	s_and_saveexec_b32 s22, s25
	s_cbranch_execz .LBB194_1129
.LBB194_1201:                           ;   in Loop: Header=BB194_1032 Depth=2
	ds_read_u8 v39, v0 offset:3584
	s_waitcnt lgkmcnt(0)
	v_lshrrev_b32_sdwa v40, s41, v39 dst_sel:DWORD dst_unused:UNUSED_PAD src0_sel:DWORD src1_sel:BYTE_0
	v_and_b32_e32 v40, s62, v40
	v_lshlrev_b32_e32 v40, 2, v40
	ds_read_b32 v40, v40
	s_waitcnt lgkmcnt(0)
	v_add_nc_u32_e32 v40, v40, v57
	global_store_byte v40, v39, s[48:49]
	s_or_b32 exec_lo, exec_lo, s22
	v_cmp_lt_u32_e64 s24, v58, v3
	s_and_saveexec_b32 s22, s24
	s_cbranch_execz .LBB194_1130
.LBB194_1202:                           ;   in Loop: Header=BB194_1032 Depth=2
	ds_read_u8 v39, v0 offset:3840
	s_waitcnt lgkmcnt(0)
	v_lshrrev_b32_sdwa v40, s41, v39 dst_sel:DWORD dst_unused:UNUSED_PAD src0_sel:DWORD src1_sel:BYTE_0
	v_and_b32_e32 v40, s62, v40
	v_lshlrev_b32_e32 v40, 2, v40
	ds_read_b32 v40, v40
	s_waitcnt lgkmcnt(0)
	v_add_nc_u32_e32 v40, v40, v58
	global_store_byte v40, v39, s[48:49]
	s_or_b32 exec_lo, exec_lo, s22
	v_cmp_lt_u32_e64 s23, v59, v3
	s_and_saveexec_b32 s22, s23
	s_cbranch_execz .LBB194_1131
.LBB194_1203:                           ;   in Loop: Header=BB194_1032 Depth=2
	ds_read_u8 v39, v0 offset:4096
	s_waitcnt lgkmcnt(0)
	v_lshrrev_b32_sdwa v40, s41, v39 dst_sel:DWORD dst_unused:UNUSED_PAD src0_sel:DWORD src1_sel:BYTE_0
	v_and_b32_e32 v40, s62, v40
	v_lshlrev_b32_e32 v40, 2, v40
	ds_read_b32 v40, v40
	s_waitcnt lgkmcnt(0)
	v_add_nc_u32_e32 v40, v40, v59
	global_store_byte v40, v39, s[48:49]
	s_or_b32 exec_lo, exec_lo, s22
	v_cmp_lt_u32_e64 s22, v60, v3
	s_and_saveexec_b32 s40, s22
	s_cbranch_execz .LBB194_1132
.LBB194_1204:                           ;   in Loop: Header=BB194_1032 Depth=2
	ds_read_u8 v39, v0 offset:4352
	s_waitcnt lgkmcnt(0)
	v_lshrrev_b32_sdwa v40, s41, v39 dst_sel:DWORD dst_unused:UNUSED_PAD src0_sel:DWORD src1_sel:BYTE_0
	v_and_b32_e32 v40, s62, v40
	v_lshlrev_b32_e32 v40, 2, v40
	ds_read_b32 v40, v40
	s_waitcnt lgkmcnt(0)
	v_add_nc_u32_e32 v40, v40, v60
	global_store_byte v40, v39, s[48:49]
	s_or_b32 exec_lo, exec_lo, s40
	v_cmp_lt_u32_e32 vcc_lo, v61, v3
	s_and_saveexec_b32 s40, vcc_lo
	s_cbranch_execnz .LBB194_1133
	s_branch .LBB194_1134
.LBB194_1205:                           ;   in Loop: Header=BB194_1032 Depth=2
	global_load_dwordx2 v[37:38], v[39:40], off
	s_or_b32 exec_lo, exec_lo, s40
	s_mov_b32 s50, exec_lo
	v_cmpx_lt_u32_e64 v96, v3
	s_cbranch_execz .LBB194_1136
.LBB194_1206:                           ;   in Loop: Header=BB194_1032 Depth=2
	global_load_dwordx2 v[35:36], v[39:40], off offset:256
	s_or_b32 exec_lo, exec_lo, s50
	s_mov_b32 s50, exec_lo
	v_cmpx_lt_u32_e64 v97, v3
	s_cbranch_execz .LBB194_1137
.LBB194_1207:                           ;   in Loop: Header=BB194_1032 Depth=2
	global_load_dwordx2 v[33:34], v[39:40], off offset:512
	s_or_b32 exec_lo, exec_lo, s50
	s_mov_b32 s50, exec_lo
	v_cmpx_lt_u32_e64 v98, v3
	s_cbranch_execz .LBB194_1138
.LBB194_1208:                           ;   in Loop: Header=BB194_1032 Depth=2
	global_load_dwordx2 v[31:32], v[39:40], off offset:768
	s_or_b32 exec_lo, exec_lo, s50
	s_mov_b32 s50, exec_lo
	v_cmpx_lt_u32_e64 v99, v3
	s_cbranch_execz .LBB194_1139
.LBB194_1209:                           ;   in Loop: Header=BB194_1032 Depth=2
	global_load_dwordx2 v[29:30], v[39:40], off offset:1024
	s_or_b32 exec_lo, exec_lo, s50
	s_mov_b32 s50, exec_lo
	v_cmpx_lt_u32_e64 v100, v3
	s_cbranch_execz .LBB194_1140
.LBB194_1210:                           ;   in Loop: Header=BB194_1032 Depth=2
	global_load_dwordx2 v[25:26], v[39:40], off offset:1280
	s_or_b32 exec_lo, exec_lo, s50
	s_mov_b32 s50, exec_lo
	v_cmpx_lt_u32_e64 v101, v3
	s_cbranch_execz .LBB194_1141
.LBB194_1211:                           ;   in Loop: Header=BB194_1032 Depth=2
	global_load_dwordx2 v[21:22], v[39:40], off offset:1536
	s_or_b32 exec_lo, exec_lo, s50
	s_mov_b32 s50, exec_lo
	v_cmpx_lt_u32_e64 v102, v3
	s_cbranch_execz .LBB194_1142
.LBB194_1212:                           ;   in Loop: Header=BB194_1032 Depth=2
	global_load_dwordx2 v[17:18], v[39:40], off offset:1792
	s_or_b32 exec_lo, exec_lo, s50
	s_mov_b32 s50, exec_lo
	v_cmpx_lt_u32_e64 v103, v3
	s_cbranch_execz .LBB194_1143
.LBB194_1213:                           ;   in Loop: Header=BB194_1032 Depth=2
	v_add_co_u32 v27, s40, 0x800, v39
	v_add_co_ci_u32_e64 v28, null, 0, v40, s40
	global_load_dwordx2 v[27:28], v[27:28], off
	s_or_b32 exec_lo, exec_lo, s50
	s_mov_b32 s50, exec_lo
	v_cmpx_lt_u32_e64 v104, v3
	s_cbranch_execz .LBB194_1144
.LBB194_1214:                           ;   in Loop: Header=BB194_1032 Depth=2
	v_add_co_u32 v23, s40, 0x800, v39
	v_add_co_ci_u32_e64 v24, null, 0, v40, s40
	global_load_dwordx2 v[23:24], v[23:24], off offset:256
	s_or_b32 exec_lo, exec_lo, s50
	s_mov_b32 s50, exec_lo
	v_cmpx_lt_u32_e64 v105, v3
	s_cbranch_execz .LBB194_1145
.LBB194_1215:                           ;   in Loop: Header=BB194_1032 Depth=2
	v_add_co_u32 v19, s40, 0x800, v39
	v_add_co_ci_u32_e64 v20, null, 0, v40, s40
	global_load_dwordx2 v[19:20], v[19:20], off offset:512
	s_or_b32 exec_lo, exec_lo, s50
	s_mov_b32 s50, exec_lo
	v_cmpx_lt_u32_e64 v106, v3
	s_cbranch_execz .LBB194_1146
.LBB194_1216:                           ;   in Loop: Header=BB194_1032 Depth=2
	v_add_co_u32 v15, s40, 0x800, v39
	v_add_co_ci_u32_e64 v16, null, 0, v40, s40
	global_load_dwordx2 v[15:16], v[15:16], off offset:768
	s_or_b32 exec_lo, exec_lo, s50
	s_mov_b32 s50, exec_lo
	v_cmpx_lt_u32_e64 v107, v3
	s_cbranch_execz .LBB194_1147
.LBB194_1217:                           ;   in Loop: Header=BB194_1032 Depth=2
	v_add_co_u32 v13, s40, 0x800, v39
	v_add_co_ci_u32_e64 v14, null, 0, v40, s40
	global_load_dwordx2 v[13:14], v[13:14], off offset:1024
	s_or_b32 exec_lo, exec_lo, s50
	s_mov_b32 s50, exec_lo
	v_cmpx_lt_u32_e64 v108, v3
	s_cbranch_execz .LBB194_1148
.LBB194_1218:                           ;   in Loop: Header=BB194_1032 Depth=2
	v_add_co_u32 v11, s40, 0x800, v39
	v_add_co_ci_u32_e64 v12, null, 0, v40, s40
	global_load_dwordx2 v[11:12], v[11:12], off offset:1280
	s_or_b32 exec_lo, exec_lo, s50
	s_mov_b32 s50, exec_lo
	v_cmpx_lt_u32_e64 v109, v3
	s_cbranch_execz .LBB194_1149
.LBB194_1219:                           ;   in Loop: Header=BB194_1032 Depth=2
	v_add_co_u32 v9, s40, 0x800, v39
	v_add_co_ci_u32_e64 v10, null, 0, v40, s40
	global_load_dwordx2 v[9:10], v[9:10], off offset:1536
	s_or_b32 exec_lo, exec_lo, s50
	s_mov_b32 s50, exec_lo
	v_cmpx_lt_u32_e64 v110, v3
	s_cbranch_execz .LBB194_1150
.LBB194_1220:                           ;   in Loop: Header=BB194_1032 Depth=2
	v_add_co_u32 v7, s40, 0x800, v39
	v_add_co_ci_u32_e64 v8, null, 0, v40, s40
	global_load_dwordx2 v[7:8], v[7:8], off offset:1792
	s_or_b32 exec_lo, exec_lo, s50
	s_mov_b32 s50, exec_lo
	v_cmpx_lt_u32_e64 v111, v3
	s_cbranch_execz .LBB194_1151
.LBB194_1221:                           ;   in Loop: Header=BB194_1032 Depth=2
	v_add_co_u32 v5, s40, 0x1000, v39
	v_add_co_ci_u32_e64 v6, null, 0, v40, s40
	global_load_dwordx2 v[5:6], v[5:6], off
	s_or_b32 exec_lo, exec_lo, s50
	s_and_saveexec_b32 s40, s39
	s_cbranch_execz .LBB194_1152
.LBB194_1222:                           ;   in Loop: Header=BB194_1032 Depth=2
	ds_read_u8 v3, v0 offset:512
	s_waitcnt lgkmcnt(0)
	v_lshrrev_b32_e32 v3, s41, v3
	v_and_b32_e32 v131, s62, v3
	s_or_b32 exec_lo, exec_lo, s40
	s_and_saveexec_b32 s40, s38
	s_cbranch_execz .LBB194_1153
.LBB194_1223:                           ;   in Loop: Header=BB194_1032 Depth=2
	ds_read_u8 v3, v0 offset:768
	s_waitcnt lgkmcnt(0)
	v_lshrrev_b32_e32 v3, s41, v3
	v_and_b32_e32 v130, s62, v3
	s_or_b32 exec_lo, exec_lo, s40
	s_and_saveexec_b32 s40, s37
	s_cbranch_execz .LBB194_1154
.LBB194_1224:                           ;   in Loop: Header=BB194_1032 Depth=2
	ds_read_u8 v3, v0 offset:1024
	s_waitcnt lgkmcnt(0)
	v_lshrrev_b32_e32 v3, s41, v3
	v_and_b32_e32 v129, s62, v3
	s_or_b32 exec_lo, exec_lo, s40
	s_and_saveexec_b32 s40, s36
	s_cbranch_execz .LBB194_1155
.LBB194_1225:                           ;   in Loop: Header=BB194_1032 Depth=2
	ds_read_u8 v3, v0 offset:1280
	s_waitcnt lgkmcnt(0)
	v_lshrrev_b32_e32 v3, s41, v3
	v_and_b32_e32 v128, s62, v3
	s_or_b32 exec_lo, exec_lo, s40
	s_and_saveexec_b32 s40, s35
	s_cbranch_execz .LBB194_1156
.LBB194_1226:                           ;   in Loop: Header=BB194_1032 Depth=2
	ds_read_u8 v3, v0 offset:1536
	s_waitcnt lgkmcnt(0)
	v_lshrrev_b32_e32 v3, s41, v3
	v_and_b32_e32 v127, s62, v3
	s_or_b32 exec_lo, exec_lo, s40
	s_and_saveexec_b32 s40, s34
	s_cbranch_execz .LBB194_1157
.LBB194_1227:                           ;   in Loop: Header=BB194_1032 Depth=2
	ds_read_u8 v3, v0 offset:1792
	s_waitcnt lgkmcnt(0)
	v_lshrrev_b32_e32 v3, s41, v3
	v_and_b32_e32 v126, s62, v3
	s_or_b32 exec_lo, exec_lo, s40
	s_and_saveexec_b32 s40, s33
	s_cbranch_execz .LBB194_1158
.LBB194_1228:                           ;   in Loop: Header=BB194_1032 Depth=2
	ds_read_u8 v3, v0 offset:2048
	s_waitcnt lgkmcnt(0)
	v_lshrrev_b32_e32 v3, s41, v3
	v_and_b32_e32 v125, s62, v3
	s_or_b32 exec_lo, exec_lo, s40
	s_and_saveexec_b32 s40, s31
	s_cbranch_execz .LBB194_1159
.LBB194_1229:                           ;   in Loop: Header=BB194_1032 Depth=2
	ds_read_u8 v3, v0 offset:2304
	s_waitcnt lgkmcnt(0)
	v_lshrrev_b32_e32 v3, s41, v3
	v_and_b32_e32 v124, s62, v3
	s_or_b32 exec_lo, exec_lo, s40
	s_and_saveexec_b32 s40, s30
	s_cbranch_execz .LBB194_1160
.LBB194_1230:                           ;   in Loop: Header=BB194_1032 Depth=2
	ds_read_u8 v3, v0 offset:2560
	s_waitcnt lgkmcnt(0)
	v_lshrrev_b32_e32 v3, s41, v3
	v_and_b32_e32 v123, s62, v3
	s_or_b32 exec_lo, exec_lo, s40
	s_and_saveexec_b32 s40, s29
	s_cbranch_execz .LBB194_1161
.LBB194_1231:                           ;   in Loop: Header=BB194_1032 Depth=2
	ds_read_u8 v3, v0 offset:2816
	s_waitcnt lgkmcnt(0)
	v_lshrrev_b32_e32 v3, s41, v3
	v_and_b32_e32 v122, s62, v3
	s_or_b32 exec_lo, exec_lo, s40
	s_and_saveexec_b32 s40, s27
	s_cbranch_execz .LBB194_1162
.LBB194_1232:                           ;   in Loop: Header=BB194_1032 Depth=2
	ds_read_u8 v3, v0 offset:3072
	s_waitcnt lgkmcnt(0)
	v_lshrrev_b32_e32 v3, s41, v3
	v_and_b32_e32 v121, s62, v3
	s_or_b32 exec_lo, exec_lo, s40
	s_and_saveexec_b32 s40, s26
	s_cbranch_execz .LBB194_1163
.LBB194_1233:                           ;   in Loop: Header=BB194_1032 Depth=2
	ds_read_u8 v3, v0 offset:3328
	s_waitcnt lgkmcnt(0)
	v_lshrrev_b32_e32 v3, s41, v3
	v_and_b32_e32 v120, s62, v3
	s_or_b32 exec_lo, exec_lo, s40
	s_and_saveexec_b32 s40, s25
	s_cbranch_execz .LBB194_1164
.LBB194_1234:                           ;   in Loop: Header=BB194_1032 Depth=2
	ds_read_u8 v3, v0 offset:3584
	s_waitcnt lgkmcnt(0)
	v_lshrrev_b32_e32 v3, s41, v3
	v_and_b32_e32 v119, s62, v3
	s_or_b32 exec_lo, exec_lo, s40
	s_and_saveexec_b32 s40, s24
	s_cbranch_execz .LBB194_1165
.LBB194_1235:                           ;   in Loop: Header=BB194_1032 Depth=2
	ds_read_u8 v3, v0 offset:3840
	s_waitcnt lgkmcnt(0)
	v_lshrrev_b32_e32 v3, s41, v3
	v_and_b32_e32 v118, s62, v3
	s_or_b32 exec_lo, exec_lo, s40
	s_and_saveexec_b32 s40, s23
	s_cbranch_execz .LBB194_1166
.LBB194_1236:                           ;   in Loop: Header=BB194_1032 Depth=2
	ds_read_u8 v3, v0 offset:4096
	s_waitcnt lgkmcnt(0)
	v_lshrrev_b32_e32 v3, s41, v3
	v_and_b32_e32 v117, s62, v3
	s_or_b32 exec_lo, exec_lo, s40
	s_and_saveexec_b32 s40, s22
	s_cbranch_execz .LBB194_1167
.LBB194_1237:                           ;   in Loop: Header=BB194_1032 Depth=2
	ds_read_u8 v3, v0 offset:4352
	s_waitcnt lgkmcnt(0)
	v_lshrrev_b32_e32 v3, s41, v3
	v_and_b32_e32 v116, s62, v3
	s_or_b32 exec_lo, exec_lo, s40
	s_and_saveexec_b32 s40, vcc_lo
	s_cbranch_execnz .LBB194_1168
	s_branch .LBB194_1169
.LBB194_1238:                           ;   in Loop: Header=BB194_1032 Depth=2
	v_lshlrev_b32_e32 v3, 2, v131
	ds_read_b32 v3, v3
	ds_read_b64 v[40:41], v39 offset:512
	s_waitcnt lgkmcnt(1)
	v_add_nc_u32_e32 v3, v3, v0
	v_lshlrev_b64 v[134:135], 3, v[3:4]
	v_add_co_u32 v134, s39, s54, v134
	v_add_co_ci_u32_e64 v135, null, s55, v135, s39
	s_waitcnt lgkmcnt(0)
	global_store_dwordx2 v[134:135], v[40:41], off
	s_or_b32 exec_lo, exec_lo, s40
	s_and_saveexec_b32 s39, s38
	s_cbranch_execz .LBB194_1171
.LBB194_1239:                           ;   in Loop: Header=BB194_1032 Depth=2
	v_lshlrev_b32_e32 v3, 2, v130
	ds_read_b32 v3, v3
	ds_read_b64 v[40:41], v39 offset:2560
	s_waitcnt lgkmcnt(1)
	v_add_nc_u32_e32 v3, v3, v44
	v_lshlrev_b64 v[134:135], 3, v[3:4]
	v_add_co_u32 v134, s38, s54, v134
	v_add_co_ci_u32_e64 v135, null, s55, v135, s38
	s_waitcnt lgkmcnt(0)
	global_store_dwordx2 v[134:135], v[40:41], off
	s_or_b32 exec_lo, exec_lo, s39
	s_and_saveexec_b32 s38, s37
	s_cbranch_execz .LBB194_1172
.LBB194_1240:                           ;   in Loop: Header=BB194_1032 Depth=2
	v_lshlrev_b32_e32 v3, 2, v129
	ds_read_b32 v3, v3
	ds_read_b64 v[40:41], v39 offset:4608
	s_waitcnt lgkmcnt(1)
	v_add_nc_u32_e32 v3, v3, v47
	v_lshlrev_b64 v[134:135], 3, v[3:4]
	v_add_co_u32 v134, s37, s54, v134
	v_add_co_ci_u32_e64 v135, null, s55, v135, s37
	s_waitcnt lgkmcnt(0)
	global_store_dwordx2 v[134:135], v[40:41], off
	s_or_b32 exec_lo, exec_lo, s38
	s_and_saveexec_b32 s37, s36
	s_cbranch_execz .LBB194_1173
.LBB194_1241:                           ;   in Loop: Header=BB194_1032 Depth=2
	v_lshlrev_b32_e32 v3, 2, v128
	ds_read_b32 v3, v3
	ds_read_b64 v[40:41], v39 offset:6656
	s_waitcnt lgkmcnt(1)
	v_add_nc_u32_e32 v3, v3, v48
	v_lshlrev_b64 v[134:135], 3, v[3:4]
	v_add_co_u32 v134, s36, s54, v134
	v_add_co_ci_u32_e64 v135, null, s55, v135, s36
	s_waitcnt lgkmcnt(0)
	global_store_dwordx2 v[134:135], v[40:41], off
	s_or_b32 exec_lo, exec_lo, s37
	s_and_saveexec_b32 s36, s35
	s_cbranch_execz .LBB194_1174
.LBB194_1242:                           ;   in Loop: Header=BB194_1032 Depth=2
	v_lshlrev_b32_e32 v3, 2, v127
	ds_read_b32 v3, v3
	ds_read_b64 v[40:41], v39 offset:8704
	s_waitcnt lgkmcnt(1)
	v_add_nc_u32_e32 v3, v3, v49
	v_lshlrev_b64 v[134:135], 3, v[3:4]
	v_add_co_u32 v134, s35, s54, v134
	v_add_co_ci_u32_e64 v135, null, s55, v135, s35
	s_waitcnt lgkmcnt(0)
	global_store_dwordx2 v[134:135], v[40:41], off
	s_or_b32 exec_lo, exec_lo, s36
	s_and_saveexec_b32 s35, s34
	s_cbranch_execz .LBB194_1175
.LBB194_1243:                           ;   in Loop: Header=BB194_1032 Depth=2
	v_lshlrev_b32_e32 v3, 2, v126
	ds_read_b32 v3, v3
	ds_read_b64 v[40:41], v39 offset:10752
	s_waitcnt lgkmcnt(1)
	v_add_nc_u32_e32 v3, v3, v50
	v_lshlrev_b64 v[134:135], 3, v[3:4]
	v_add_co_u32 v134, s34, s54, v134
	v_add_co_ci_u32_e64 v135, null, s55, v135, s34
	s_waitcnt lgkmcnt(0)
	global_store_dwordx2 v[134:135], v[40:41], off
	s_or_b32 exec_lo, exec_lo, s35
	s_and_saveexec_b32 s34, s33
	s_cbranch_execz .LBB194_1176
.LBB194_1244:                           ;   in Loop: Header=BB194_1032 Depth=2
	v_lshlrev_b32_e32 v3, 2, v125
	ds_read_b32 v3, v3
	ds_read_b64 v[40:41], v39 offset:12800
	s_waitcnt lgkmcnt(1)
	v_add_nc_u32_e32 v3, v3, v51
	v_lshlrev_b64 v[134:135], 3, v[3:4]
	v_add_co_u32 v134, s33, s54, v134
	v_add_co_ci_u32_e64 v135, null, s55, v135, s33
	s_waitcnt lgkmcnt(0)
	global_store_dwordx2 v[134:135], v[40:41], off
	s_or_b32 exec_lo, exec_lo, s34
	s_and_saveexec_b32 s33, s31
	s_cbranch_execz .LBB194_1177
.LBB194_1245:                           ;   in Loop: Header=BB194_1032 Depth=2
	v_lshlrev_b32_e32 v3, 2, v124
	ds_read_b32 v3, v3
	ds_read_b64 v[40:41], v39 offset:14848
	s_waitcnt lgkmcnt(1)
	v_add_nc_u32_e32 v3, v3, v52
	v_lshlrev_b64 v[134:135], 3, v[3:4]
	v_add_co_u32 v134, s31, s54, v134
	v_add_co_ci_u32_e64 v135, null, s55, v135, s31
	s_waitcnt lgkmcnt(0)
	global_store_dwordx2 v[134:135], v[40:41], off
	s_or_b32 exec_lo, exec_lo, s33
	s_and_saveexec_b32 s31, s30
	s_cbranch_execz .LBB194_1178
.LBB194_1246:                           ;   in Loop: Header=BB194_1032 Depth=2
	v_lshlrev_b32_e32 v3, 2, v123
	ds_read_b32 v3, v3
	ds_read_b64 v[40:41], v39 offset:16896
	s_waitcnt lgkmcnt(1)
	v_add_nc_u32_e32 v3, v3, v53
	v_lshlrev_b64 v[134:135], 3, v[3:4]
	v_add_co_u32 v134, s30, s54, v134
	v_add_co_ci_u32_e64 v135, null, s55, v135, s30
	s_waitcnt lgkmcnt(0)
	global_store_dwordx2 v[134:135], v[40:41], off
	s_or_b32 exec_lo, exec_lo, s31
	s_and_saveexec_b32 s30, s29
	s_cbranch_execz .LBB194_1179
.LBB194_1247:                           ;   in Loop: Header=BB194_1032 Depth=2
	v_lshlrev_b32_e32 v3, 2, v122
	ds_read_b32 v3, v3
	ds_read_b64 v[40:41], v39 offset:18944
	s_waitcnt lgkmcnt(1)
	v_add_nc_u32_e32 v3, v3, v54
	v_lshlrev_b64 v[134:135], 3, v[3:4]
	v_add_co_u32 v134, s29, s54, v134
	v_add_co_ci_u32_e64 v135, null, s55, v135, s29
	s_waitcnt lgkmcnt(0)
	global_store_dwordx2 v[134:135], v[40:41], off
	s_or_b32 exec_lo, exec_lo, s30
	s_and_saveexec_b32 s29, s27
	s_cbranch_execz .LBB194_1180
.LBB194_1248:                           ;   in Loop: Header=BB194_1032 Depth=2
	v_lshlrev_b32_e32 v3, 2, v121
	ds_read_b32 v3, v3
	ds_read_b64 v[40:41], v39 offset:20992
	s_waitcnt lgkmcnt(1)
	v_add_nc_u32_e32 v3, v3, v55
	v_lshlrev_b64 v[134:135], 3, v[3:4]
	v_add_co_u32 v134, s27, s54, v134
	v_add_co_ci_u32_e64 v135, null, s55, v135, s27
	s_waitcnt lgkmcnt(0)
	global_store_dwordx2 v[134:135], v[40:41], off
	s_or_b32 exec_lo, exec_lo, s29
	s_and_saveexec_b32 s27, s26
	s_cbranch_execz .LBB194_1181
.LBB194_1249:                           ;   in Loop: Header=BB194_1032 Depth=2
	v_lshlrev_b32_e32 v3, 2, v120
	ds_read_b32 v3, v3
	ds_read_b64 v[40:41], v39 offset:23040
	s_waitcnt lgkmcnt(1)
	v_add_nc_u32_e32 v3, v3, v56
	v_lshlrev_b64 v[134:135], 3, v[3:4]
	v_add_co_u32 v134, s26, s54, v134
	v_add_co_ci_u32_e64 v135, null, s55, v135, s26
	s_waitcnt lgkmcnt(0)
	global_store_dwordx2 v[134:135], v[40:41], off
	s_or_b32 exec_lo, exec_lo, s27
	s_and_saveexec_b32 s26, s25
	s_cbranch_execz .LBB194_1182
.LBB194_1250:                           ;   in Loop: Header=BB194_1032 Depth=2
	v_lshlrev_b32_e32 v3, 2, v119
	ds_read_b32 v3, v3
	ds_read_b64 v[40:41], v39 offset:25088
	s_waitcnt lgkmcnt(1)
	v_add_nc_u32_e32 v3, v3, v57
	v_lshlrev_b64 v[134:135], 3, v[3:4]
	v_add_co_u32 v134, s25, s54, v134
	v_add_co_ci_u32_e64 v135, null, s55, v135, s25
	s_waitcnt lgkmcnt(0)
	global_store_dwordx2 v[134:135], v[40:41], off
	s_or_b32 exec_lo, exec_lo, s26
	s_and_saveexec_b32 s25, s24
	s_cbranch_execz .LBB194_1183
.LBB194_1251:                           ;   in Loop: Header=BB194_1032 Depth=2
	v_lshlrev_b32_e32 v3, 2, v118
	ds_read_b32 v3, v3
	ds_read_b64 v[40:41], v39 offset:27136
	s_waitcnt lgkmcnt(1)
	v_add_nc_u32_e32 v3, v3, v58
	v_lshlrev_b64 v[134:135], 3, v[3:4]
	v_add_co_u32 v134, s24, s54, v134
	v_add_co_ci_u32_e64 v135, null, s55, v135, s24
	s_waitcnt lgkmcnt(0)
	global_store_dwordx2 v[134:135], v[40:41], off
	s_or_b32 exec_lo, exec_lo, s25
	s_and_saveexec_b32 s24, s23
	s_cbranch_execz .LBB194_1184
.LBB194_1252:                           ;   in Loop: Header=BB194_1032 Depth=2
	v_lshlrev_b32_e32 v3, 2, v117
	ds_read_b32 v3, v3
	ds_read_b64 v[40:41], v39 offset:29184
	s_waitcnt lgkmcnt(1)
	v_add_nc_u32_e32 v3, v3, v59
	v_lshlrev_b64 v[134:135], 3, v[3:4]
	v_add_co_u32 v134, s23, s54, v134
	v_add_co_ci_u32_e64 v135, null, s55, v135, s23
	s_waitcnt lgkmcnt(0)
	global_store_dwordx2 v[134:135], v[40:41], off
	s_or_b32 exec_lo, exec_lo, s24
	s_and_saveexec_b32 s23, s22
	s_cbranch_execz .LBB194_1185
.LBB194_1253:                           ;   in Loop: Header=BB194_1032 Depth=2
	v_lshlrev_b32_e32 v3, 2, v116
	ds_read_b32 v3, v3
	ds_read_b64 v[40:41], v39 offset:31232
	s_waitcnt lgkmcnt(1)
	v_add_nc_u32_e32 v3, v3, v60
	v_lshlrev_b64 v[134:135], 3, v[3:4]
	v_add_co_u32 v134, s22, s54, v134
	v_add_co_ci_u32_e64 v135, null, s55, v135, s22
	s_waitcnt lgkmcnt(0)
	global_store_dwordx2 v[134:135], v[40:41], off
	s_or_b32 exec_lo, exec_lo, s23
	s_and_saveexec_b32 s22, vcc_lo
	s_cbranch_execnz .LBB194_1186
	s_branch .LBB194_1187
.LBB194_1254:
	s_endpgm
	.section	.rodata,"a",@progbits
	.p2align	6, 0x0
	.amdhsa_kernel _ZN7rocprim17ROCPRIM_400000_NS6detail17trampoline_kernelINS0_14default_configENS1_36segmented_radix_sort_config_selectorIhlEEZNS1_25segmented_radix_sort_implIS3_Lb0EPKhPhPKlPlN2at6native12_GLOBAL__N_18offset_tEEE10hipError_tPvRmT1_PNSt15iterator_traitsISK_E10value_typeET2_T3_PNSL_ISQ_E10value_typeET4_jRbjT5_SW_jjP12ihipStream_tbEUlT_E_NS1_11comp_targetILNS1_3genE8ELNS1_11target_archE1030ELNS1_3gpuE2ELNS1_3repE0EEENS1_30default_config_static_selectorELNS0_4arch9wavefront6targetE0EEEvSK_
		.amdhsa_group_segment_fixed_size 35344
		.amdhsa_private_segment_fixed_size 196
		.amdhsa_kernarg_size 352
		.amdhsa_user_sgpr_count 6
		.amdhsa_user_sgpr_private_segment_buffer 1
		.amdhsa_user_sgpr_dispatch_ptr 0
		.amdhsa_user_sgpr_queue_ptr 0
		.amdhsa_user_sgpr_kernarg_segment_ptr 1
		.amdhsa_user_sgpr_dispatch_id 0
		.amdhsa_user_sgpr_flat_scratch_init 0
		.amdhsa_user_sgpr_private_segment_size 0
		.amdhsa_wavefront_size32 1
		.amdhsa_uses_dynamic_stack 0
		.amdhsa_system_sgpr_private_segment_wavefront_offset 1
		.amdhsa_system_sgpr_workgroup_id_x 1
		.amdhsa_system_sgpr_workgroup_id_y 1
		.amdhsa_system_sgpr_workgroup_id_z 0
		.amdhsa_system_sgpr_workgroup_info 0
		.amdhsa_system_vgpr_workitem_id 2
		.amdhsa_next_free_vgpr 248
		.amdhsa_next_free_sgpr 68
		.amdhsa_reserve_vcc 1
		.amdhsa_reserve_flat_scratch 0
		.amdhsa_float_round_mode_32 0
		.amdhsa_float_round_mode_16_64 0
		.amdhsa_float_denorm_mode_32 3
		.amdhsa_float_denorm_mode_16_64 3
		.amdhsa_dx10_clamp 1
		.amdhsa_ieee_mode 1
		.amdhsa_fp16_overflow 0
		.amdhsa_workgroup_processor_mode 1
		.amdhsa_memory_ordered 1
		.amdhsa_forward_progress 1
		.amdhsa_shared_vgpr_count 0
		.amdhsa_exception_fp_ieee_invalid_op 0
		.amdhsa_exception_fp_denorm_src 0
		.amdhsa_exception_fp_ieee_div_zero 0
		.amdhsa_exception_fp_ieee_overflow 0
		.amdhsa_exception_fp_ieee_underflow 0
		.amdhsa_exception_fp_ieee_inexact 0
		.amdhsa_exception_int_div_zero 0
	.end_amdhsa_kernel
	.section	.text._ZN7rocprim17ROCPRIM_400000_NS6detail17trampoline_kernelINS0_14default_configENS1_36segmented_radix_sort_config_selectorIhlEEZNS1_25segmented_radix_sort_implIS3_Lb0EPKhPhPKlPlN2at6native12_GLOBAL__N_18offset_tEEE10hipError_tPvRmT1_PNSt15iterator_traitsISK_E10value_typeET2_T3_PNSL_ISQ_E10value_typeET4_jRbjT5_SW_jjP12ihipStream_tbEUlT_E_NS1_11comp_targetILNS1_3genE8ELNS1_11target_archE1030ELNS1_3gpuE2ELNS1_3repE0EEENS1_30default_config_static_selectorELNS0_4arch9wavefront6targetE0EEEvSK_,"axG",@progbits,_ZN7rocprim17ROCPRIM_400000_NS6detail17trampoline_kernelINS0_14default_configENS1_36segmented_radix_sort_config_selectorIhlEEZNS1_25segmented_radix_sort_implIS3_Lb0EPKhPhPKlPlN2at6native12_GLOBAL__N_18offset_tEEE10hipError_tPvRmT1_PNSt15iterator_traitsISK_E10value_typeET2_T3_PNSL_ISQ_E10value_typeET4_jRbjT5_SW_jjP12ihipStream_tbEUlT_E_NS1_11comp_targetILNS1_3genE8ELNS1_11target_archE1030ELNS1_3gpuE2ELNS1_3repE0EEENS1_30default_config_static_selectorELNS0_4arch9wavefront6targetE0EEEvSK_,comdat
.Lfunc_end194:
	.size	_ZN7rocprim17ROCPRIM_400000_NS6detail17trampoline_kernelINS0_14default_configENS1_36segmented_radix_sort_config_selectorIhlEEZNS1_25segmented_radix_sort_implIS3_Lb0EPKhPhPKlPlN2at6native12_GLOBAL__N_18offset_tEEE10hipError_tPvRmT1_PNSt15iterator_traitsISK_E10value_typeET2_T3_PNSL_ISQ_E10value_typeET4_jRbjT5_SW_jjP12ihipStream_tbEUlT_E_NS1_11comp_targetILNS1_3genE8ELNS1_11target_archE1030ELNS1_3gpuE2ELNS1_3repE0EEENS1_30default_config_static_selectorELNS0_4arch9wavefront6targetE0EEEvSK_, .Lfunc_end194-_ZN7rocprim17ROCPRIM_400000_NS6detail17trampoline_kernelINS0_14default_configENS1_36segmented_radix_sort_config_selectorIhlEEZNS1_25segmented_radix_sort_implIS3_Lb0EPKhPhPKlPlN2at6native12_GLOBAL__N_18offset_tEEE10hipError_tPvRmT1_PNSt15iterator_traitsISK_E10value_typeET2_T3_PNSL_ISQ_E10value_typeET4_jRbjT5_SW_jjP12ihipStream_tbEUlT_E_NS1_11comp_targetILNS1_3genE8ELNS1_11target_archE1030ELNS1_3gpuE2ELNS1_3repE0EEENS1_30default_config_static_selectorELNS0_4arch9wavefront6targetE0EEEvSK_
                                        ; -- End function
	.set _ZN7rocprim17ROCPRIM_400000_NS6detail17trampoline_kernelINS0_14default_configENS1_36segmented_radix_sort_config_selectorIhlEEZNS1_25segmented_radix_sort_implIS3_Lb0EPKhPhPKlPlN2at6native12_GLOBAL__N_18offset_tEEE10hipError_tPvRmT1_PNSt15iterator_traitsISK_E10value_typeET2_T3_PNSL_ISQ_E10value_typeET4_jRbjT5_SW_jjP12ihipStream_tbEUlT_E_NS1_11comp_targetILNS1_3genE8ELNS1_11target_archE1030ELNS1_3gpuE2ELNS1_3repE0EEENS1_30default_config_static_selectorELNS0_4arch9wavefront6targetE0EEEvSK_.num_vgpr, max(204, .L_ZN7rocprim17ROCPRIM_400000_NS6detail40segmented_radix_sort_single_block_helperIhlLj256ELj17ELb0EE4sortIPKhPhPKlPlEEbT_T0_T1_T2_jjjjRNS3_12storage_typeE.num_vgpr)
	.set _ZN7rocprim17ROCPRIM_400000_NS6detail17trampoline_kernelINS0_14default_configENS1_36segmented_radix_sort_config_selectorIhlEEZNS1_25segmented_radix_sort_implIS3_Lb0EPKhPhPKlPlN2at6native12_GLOBAL__N_18offset_tEEE10hipError_tPvRmT1_PNSt15iterator_traitsISK_E10value_typeET2_T3_PNSL_ISQ_E10value_typeET4_jRbjT5_SW_jjP12ihipStream_tbEUlT_E_NS1_11comp_targetILNS1_3genE8ELNS1_11target_archE1030ELNS1_3gpuE2ELNS1_3repE0EEENS1_30default_config_static_selectorELNS0_4arch9wavefront6targetE0EEEvSK_.num_agpr, max(0, .L_ZN7rocprim17ROCPRIM_400000_NS6detail40segmented_radix_sort_single_block_helperIhlLj256ELj17ELb0EE4sortIPKhPhPKlPlEEbT_T0_T1_T2_jjjjRNS3_12storage_typeE.num_agpr)
	.set _ZN7rocprim17ROCPRIM_400000_NS6detail17trampoline_kernelINS0_14default_configENS1_36segmented_radix_sort_config_selectorIhlEEZNS1_25segmented_radix_sort_implIS3_Lb0EPKhPhPKlPlN2at6native12_GLOBAL__N_18offset_tEEE10hipError_tPvRmT1_PNSt15iterator_traitsISK_E10value_typeET2_T3_PNSL_ISQ_E10value_typeET4_jRbjT5_SW_jjP12ihipStream_tbEUlT_E_NS1_11comp_targetILNS1_3genE8ELNS1_11target_archE1030ELNS1_3gpuE2ELNS1_3repE0EEENS1_30default_config_static_selectorELNS0_4arch9wavefront6targetE0EEEvSK_.numbered_sgpr, max(68, .L_ZN7rocprim17ROCPRIM_400000_NS6detail40segmented_radix_sort_single_block_helperIhlLj256ELj17ELb0EE4sortIPKhPhPKlPlEEbT_T0_T1_T2_jjjjRNS3_12storage_typeE.numbered_sgpr)
	.set _ZN7rocprim17ROCPRIM_400000_NS6detail17trampoline_kernelINS0_14default_configENS1_36segmented_radix_sort_config_selectorIhlEEZNS1_25segmented_radix_sort_implIS3_Lb0EPKhPhPKlPlN2at6native12_GLOBAL__N_18offset_tEEE10hipError_tPvRmT1_PNSt15iterator_traitsISK_E10value_typeET2_T3_PNSL_ISQ_E10value_typeET4_jRbjT5_SW_jjP12ihipStream_tbEUlT_E_NS1_11comp_targetILNS1_3genE8ELNS1_11target_archE1030ELNS1_3gpuE2ELNS1_3repE0EEENS1_30default_config_static_selectorELNS0_4arch9wavefront6targetE0EEEvSK_.num_named_barrier, max(0, .L_ZN7rocprim17ROCPRIM_400000_NS6detail40segmented_radix_sort_single_block_helperIhlLj256ELj17ELb0EE4sortIPKhPhPKlPlEEbT_T0_T1_T2_jjjjRNS3_12storage_typeE.num_named_barrier)
	.set _ZN7rocprim17ROCPRIM_400000_NS6detail17trampoline_kernelINS0_14default_configENS1_36segmented_radix_sort_config_selectorIhlEEZNS1_25segmented_radix_sort_implIS3_Lb0EPKhPhPKlPlN2at6native12_GLOBAL__N_18offset_tEEE10hipError_tPvRmT1_PNSt15iterator_traitsISK_E10value_typeET2_T3_PNSL_ISQ_E10value_typeET4_jRbjT5_SW_jjP12ihipStream_tbEUlT_E_NS1_11comp_targetILNS1_3genE8ELNS1_11target_archE1030ELNS1_3gpuE2ELNS1_3repE0EEENS1_30default_config_static_selectorELNS0_4arch9wavefront6targetE0EEEvSK_.private_seg_size, 0+max(.L_ZN7rocprim17ROCPRIM_400000_NS6detail40segmented_radix_sort_single_block_helperIhlLj256ELj17ELb0EE4sortIPKhPhPKlPlEEbT_T0_T1_T2_jjjjRNS3_12storage_typeE.private_seg_size)
	.set _ZN7rocprim17ROCPRIM_400000_NS6detail17trampoline_kernelINS0_14default_configENS1_36segmented_radix_sort_config_selectorIhlEEZNS1_25segmented_radix_sort_implIS3_Lb0EPKhPhPKlPlN2at6native12_GLOBAL__N_18offset_tEEE10hipError_tPvRmT1_PNSt15iterator_traitsISK_E10value_typeET2_T3_PNSL_ISQ_E10value_typeET4_jRbjT5_SW_jjP12ihipStream_tbEUlT_E_NS1_11comp_targetILNS1_3genE8ELNS1_11target_archE1030ELNS1_3gpuE2ELNS1_3repE0EEENS1_30default_config_static_selectorELNS0_4arch9wavefront6targetE0EEEvSK_.uses_vcc, or(1, .L_ZN7rocprim17ROCPRIM_400000_NS6detail40segmented_radix_sort_single_block_helperIhlLj256ELj17ELb0EE4sortIPKhPhPKlPlEEbT_T0_T1_T2_jjjjRNS3_12storage_typeE.uses_vcc)
	.set _ZN7rocprim17ROCPRIM_400000_NS6detail17trampoline_kernelINS0_14default_configENS1_36segmented_radix_sort_config_selectorIhlEEZNS1_25segmented_radix_sort_implIS3_Lb0EPKhPhPKlPlN2at6native12_GLOBAL__N_18offset_tEEE10hipError_tPvRmT1_PNSt15iterator_traitsISK_E10value_typeET2_T3_PNSL_ISQ_E10value_typeET4_jRbjT5_SW_jjP12ihipStream_tbEUlT_E_NS1_11comp_targetILNS1_3genE8ELNS1_11target_archE1030ELNS1_3gpuE2ELNS1_3repE0EEENS1_30default_config_static_selectorELNS0_4arch9wavefront6targetE0EEEvSK_.uses_flat_scratch, or(0, .L_ZN7rocprim17ROCPRIM_400000_NS6detail40segmented_radix_sort_single_block_helperIhlLj256ELj17ELb0EE4sortIPKhPhPKlPlEEbT_T0_T1_T2_jjjjRNS3_12storage_typeE.uses_flat_scratch)
	.set _ZN7rocprim17ROCPRIM_400000_NS6detail17trampoline_kernelINS0_14default_configENS1_36segmented_radix_sort_config_selectorIhlEEZNS1_25segmented_radix_sort_implIS3_Lb0EPKhPhPKlPlN2at6native12_GLOBAL__N_18offset_tEEE10hipError_tPvRmT1_PNSt15iterator_traitsISK_E10value_typeET2_T3_PNSL_ISQ_E10value_typeET4_jRbjT5_SW_jjP12ihipStream_tbEUlT_E_NS1_11comp_targetILNS1_3genE8ELNS1_11target_archE1030ELNS1_3gpuE2ELNS1_3repE0EEENS1_30default_config_static_selectorELNS0_4arch9wavefront6targetE0EEEvSK_.has_dyn_sized_stack, or(0, .L_ZN7rocprim17ROCPRIM_400000_NS6detail40segmented_radix_sort_single_block_helperIhlLj256ELj17ELb0EE4sortIPKhPhPKlPlEEbT_T0_T1_T2_jjjjRNS3_12storage_typeE.has_dyn_sized_stack)
	.set _ZN7rocprim17ROCPRIM_400000_NS6detail17trampoline_kernelINS0_14default_configENS1_36segmented_radix_sort_config_selectorIhlEEZNS1_25segmented_radix_sort_implIS3_Lb0EPKhPhPKlPlN2at6native12_GLOBAL__N_18offset_tEEE10hipError_tPvRmT1_PNSt15iterator_traitsISK_E10value_typeET2_T3_PNSL_ISQ_E10value_typeET4_jRbjT5_SW_jjP12ihipStream_tbEUlT_E_NS1_11comp_targetILNS1_3genE8ELNS1_11target_archE1030ELNS1_3gpuE2ELNS1_3repE0EEENS1_30default_config_static_selectorELNS0_4arch9wavefront6targetE0EEEvSK_.has_recursion, or(0, .L_ZN7rocprim17ROCPRIM_400000_NS6detail40segmented_radix_sort_single_block_helperIhlLj256ELj17ELb0EE4sortIPKhPhPKlPlEEbT_T0_T1_T2_jjjjRNS3_12storage_typeE.has_recursion)
	.set _ZN7rocprim17ROCPRIM_400000_NS6detail17trampoline_kernelINS0_14default_configENS1_36segmented_radix_sort_config_selectorIhlEEZNS1_25segmented_radix_sort_implIS3_Lb0EPKhPhPKlPlN2at6native12_GLOBAL__N_18offset_tEEE10hipError_tPvRmT1_PNSt15iterator_traitsISK_E10value_typeET2_T3_PNSL_ISQ_E10value_typeET4_jRbjT5_SW_jjP12ihipStream_tbEUlT_E_NS1_11comp_targetILNS1_3genE8ELNS1_11target_archE1030ELNS1_3gpuE2ELNS1_3repE0EEENS1_30default_config_static_selectorELNS0_4arch9wavefront6targetE0EEEvSK_.has_indirect_call, or(0, .L_ZN7rocprim17ROCPRIM_400000_NS6detail40segmented_radix_sort_single_block_helperIhlLj256ELj17ELb0EE4sortIPKhPhPKlPlEEbT_T0_T1_T2_jjjjRNS3_12storage_typeE.has_indirect_call)
	.section	.AMDGPU.csdata,"",@progbits
; Kernel info:
; codeLenInByte = 62448
; TotalNumSgprs: 70
; NumVgprs: 248
; ScratchSize: 196
; MemoryBound: 0
; FloatMode: 240
; IeeeMode: 1
; LDSByteSize: 35344 bytes/workgroup (compile time only)
; SGPRBlocks: 0
; VGPRBlocks: 30
; NumSGPRsForWavesPerEU: 70
; NumVGPRsForWavesPerEU: 248
; Occupancy: 4
; WaveLimiterHint : 1
; COMPUTE_PGM_RSRC2:SCRATCH_EN: 1
; COMPUTE_PGM_RSRC2:USER_SGPR: 6
; COMPUTE_PGM_RSRC2:TRAP_HANDLER: 0
; COMPUTE_PGM_RSRC2:TGID_X_EN: 1
; COMPUTE_PGM_RSRC2:TGID_Y_EN: 1
; COMPUTE_PGM_RSRC2:TGID_Z_EN: 0
; COMPUTE_PGM_RSRC2:TIDIG_COMP_CNT: 2
	.section	.text._ZN7rocprim17ROCPRIM_400000_NS6detail17trampoline_kernelINS0_14default_configENS1_36segmented_radix_sort_config_selectorIhlEEZNS1_25segmented_radix_sort_implIS3_Lb0EPKhPhPKlPlN2at6native12_GLOBAL__N_18offset_tEEE10hipError_tPvRmT1_PNSt15iterator_traitsISK_E10value_typeET2_T3_PNSL_ISQ_E10value_typeET4_jRbjT5_SW_jjP12ihipStream_tbEUlT_E0_NS1_11comp_targetILNS1_3genE0ELNS1_11target_archE4294967295ELNS1_3gpuE0ELNS1_3repE0EEENS1_60segmented_radix_sort_warp_sort_medium_config_static_selectorELNS0_4arch9wavefront6targetE0EEEvSK_,"axG",@progbits,_ZN7rocprim17ROCPRIM_400000_NS6detail17trampoline_kernelINS0_14default_configENS1_36segmented_radix_sort_config_selectorIhlEEZNS1_25segmented_radix_sort_implIS3_Lb0EPKhPhPKlPlN2at6native12_GLOBAL__N_18offset_tEEE10hipError_tPvRmT1_PNSt15iterator_traitsISK_E10value_typeET2_T3_PNSL_ISQ_E10value_typeET4_jRbjT5_SW_jjP12ihipStream_tbEUlT_E0_NS1_11comp_targetILNS1_3genE0ELNS1_11target_archE4294967295ELNS1_3gpuE0ELNS1_3repE0EEENS1_60segmented_radix_sort_warp_sort_medium_config_static_selectorELNS0_4arch9wavefront6targetE0EEEvSK_,comdat
	.globl	_ZN7rocprim17ROCPRIM_400000_NS6detail17trampoline_kernelINS0_14default_configENS1_36segmented_radix_sort_config_selectorIhlEEZNS1_25segmented_radix_sort_implIS3_Lb0EPKhPhPKlPlN2at6native12_GLOBAL__N_18offset_tEEE10hipError_tPvRmT1_PNSt15iterator_traitsISK_E10value_typeET2_T3_PNSL_ISQ_E10value_typeET4_jRbjT5_SW_jjP12ihipStream_tbEUlT_E0_NS1_11comp_targetILNS1_3genE0ELNS1_11target_archE4294967295ELNS1_3gpuE0ELNS1_3repE0EEENS1_60segmented_radix_sort_warp_sort_medium_config_static_selectorELNS0_4arch9wavefront6targetE0EEEvSK_ ; -- Begin function _ZN7rocprim17ROCPRIM_400000_NS6detail17trampoline_kernelINS0_14default_configENS1_36segmented_radix_sort_config_selectorIhlEEZNS1_25segmented_radix_sort_implIS3_Lb0EPKhPhPKlPlN2at6native12_GLOBAL__N_18offset_tEEE10hipError_tPvRmT1_PNSt15iterator_traitsISK_E10value_typeET2_T3_PNSL_ISQ_E10value_typeET4_jRbjT5_SW_jjP12ihipStream_tbEUlT_E0_NS1_11comp_targetILNS1_3genE0ELNS1_11target_archE4294967295ELNS1_3gpuE0ELNS1_3repE0EEENS1_60segmented_radix_sort_warp_sort_medium_config_static_selectorELNS0_4arch9wavefront6targetE0EEEvSK_
	.p2align	8
	.type	_ZN7rocprim17ROCPRIM_400000_NS6detail17trampoline_kernelINS0_14default_configENS1_36segmented_radix_sort_config_selectorIhlEEZNS1_25segmented_radix_sort_implIS3_Lb0EPKhPhPKlPlN2at6native12_GLOBAL__N_18offset_tEEE10hipError_tPvRmT1_PNSt15iterator_traitsISK_E10value_typeET2_T3_PNSL_ISQ_E10value_typeET4_jRbjT5_SW_jjP12ihipStream_tbEUlT_E0_NS1_11comp_targetILNS1_3genE0ELNS1_11target_archE4294967295ELNS1_3gpuE0ELNS1_3repE0EEENS1_60segmented_radix_sort_warp_sort_medium_config_static_selectorELNS0_4arch9wavefront6targetE0EEEvSK_,@function
_ZN7rocprim17ROCPRIM_400000_NS6detail17trampoline_kernelINS0_14default_configENS1_36segmented_radix_sort_config_selectorIhlEEZNS1_25segmented_radix_sort_implIS3_Lb0EPKhPhPKlPlN2at6native12_GLOBAL__N_18offset_tEEE10hipError_tPvRmT1_PNSt15iterator_traitsISK_E10value_typeET2_T3_PNSL_ISQ_E10value_typeET4_jRbjT5_SW_jjP12ihipStream_tbEUlT_E0_NS1_11comp_targetILNS1_3genE0ELNS1_11target_archE4294967295ELNS1_3gpuE0ELNS1_3repE0EEENS1_60segmented_radix_sort_warp_sort_medium_config_static_selectorELNS0_4arch9wavefront6targetE0EEEvSK_: ; @_ZN7rocprim17ROCPRIM_400000_NS6detail17trampoline_kernelINS0_14default_configENS1_36segmented_radix_sort_config_selectorIhlEEZNS1_25segmented_radix_sort_implIS3_Lb0EPKhPhPKlPlN2at6native12_GLOBAL__N_18offset_tEEE10hipError_tPvRmT1_PNSt15iterator_traitsISK_E10value_typeET2_T3_PNSL_ISQ_E10value_typeET4_jRbjT5_SW_jjP12ihipStream_tbEUlT_E0_NS1_11comp_targetILNS1_3genE0ELNS1_11target_archE4294967295ELNS1_3gpuE0ELNS1_3repE0EEENS1_60segmented_radix_sort_warp_sort_medium_config_static_selectorELNS0_4arch9wavefront6targetE0EEEvSK_
; %bb.0:
	.section	.rodata,"a",@progbits
	.p2align	6, 0x0
	.amdhsa_kernel _ZN7rocprim17ROCPRIM_400000_NS6detail17trampoline_kernelINS0_14default_configENS1_36segmented_radix_sort_config_selectorIhlEEZNS1_25segmented_radix_sort_implIS3_Lb0EPKhPhPKlPlN2at6native12_GLOBAL__N_18offset_tEEE10hipError_tPvRmT1_PNSt15iterator_traitsISK_E10value_typeET2_T3_PNSL_ISQ_E10value_typeET4_jRbjT5_SW_jjP12ihipStream_tbEUlT_E0_NS1_11comp_targetILNS1_3genE0ELNS1_11target_archE4294967295ELNS1_3gpuE0ELNS1_3repE0EEENS1_60segmented_radix_sort_warp_sort_medium_config_static_selectorELNS0_4arch9wavefront6targetE0EEEvSK_
		.amdhsa_group_segment_fixed_size 0
		.amdhsa_private_segment_fixed_size 0
		.amdhsa_kernarg_size 88
		.amdhsa_user_sgpr_count 6
		.amdhsa_user_sgpr_private_segment_buffer 1
		.amdhsa_user_sgpr_dispatch_ptr 0
		.amdhsa_user_sgpr_queue_ptr 0
		.amdhsa_user_sgpr_kernarg_segment_ptr 1
		.amdhsa_user_sgpr_dispatch_id 0
		.amdhsa_user_sgpr_flat_scratch_init 0
		.amdhsa_user_sgpr_private_segment_size 0
		.amdhsa_wavefront_size32 1
		.amdhsa_uses_dynamic_stack 0
		.amdhsa_system_sgpr_private_segment_wavefront_offset 0
		.amdhsa_system_sgpr_workgroup_id_x 1
		.amdhsa_system_sgpr_workgroup_id_y 0
		.amdhsa_system_sgpr_workgroup_id_z 0
		.amdhsa_system_sgpr_workgroup_info 0
		.amdhsa_system_vgpr_workitem_id 0
		.amdhsa_next_free_vgpr 1
		.amdhsa_next_free_sgpr 1
		.amdhsa_reserve_vcc 0
		.amdhsa_reserve_flat_scratch 0
		.amdhsa_float_round_mode_32 0
		.amdhsa_float_round_mode_16_64 0
		.amdhsa_float_denorm_mode_32 3
		.amdhsa_float_denorm_mode_16_64 3
		.amdhsa_dx10_clamp 1
		.amdhsa_ieee_mode 1
		.amdhsa_fp16_overflow 0
		.amdhsa_workgroup_processor_mode 1
		.amdhsa_memory_ordered 1
		.amdhsa_forward_progress 1
		.amdhsa_shared_vgpr_count 0
		.amdhsa_exception_fp_ieee_invalid_op 0
		.amdhsa_exception_fp_denorm_src 0
		.amdhsa_exception_fp_ieee_div_zero 0
		.amdhsa_exception_fp_ieee_overflow 0
		.amdhsa_exception_fp_ieee_underflow 0
		.amdhsa_exception_fp_ieee_inexact 0
		.amdhsa_exception_int_div_zero 0
	.end_amdhsa_kernel
	.section	.text._ZN7rocprim17ROCPRIM_400000_NS6detail17trampoline_kernelINS0_14default_configENS1_36segmented_radix_sort_config_selectorIhlEEZNS1_25segmented_radix_sort_implIS3_Lb0EPKhPhPKlPlN2at6native12_GLOBAL__N_18offset_tEEE10hipError_tPvRmT1_PNSt15iterator_traitsISK_E10value_typeET2_T3_PNSL_ISQ_E10value_typeET4_jRbjT5_SW_jjP12ihipStream_tbEUlT_E0_NS1_11comp_targetILNS1_3genE0ELNS1_11target_archE4294967295ELNS1_3gpuE0ELNS1_3repE0EEENS1_60segmented_radix_sort_warp_sort_medium_config_static_selectorELNS0_4arch9wavefront6targetE0EEEvSK_,"axG",@progbits,_ZN7rocprim17ROCPRIM_400000_NS6detail17trampoline_kernelINS0_14default_configENS1_36segmented_radix_sort_config_selectorIhlEEZNS1_25segmented_radix_sort_implIS3_Lb0EPKhPhPKlPlN2at6native12_GLOBAL__N_18offset_tEEE10hipError_tPvRmT1_PNSt15iterator_traitsISK_E10value_typeET2_T3_PNSL_ISQ_E10value_typeET4_jRbjT5_SW_jjP12ihipStream_tbEUlT_E0_NS1_11comp_targetILNS1_3genE0ELNS1_11target_archE4294967295ELNS1_3gpuE0ELNS1_3repE0EEENS1_60segmented_radix_sort_warp_sort_medium_config_static_selectorELNS0_4arch9wavefront6targetE0EEEvSK_,comdat
.Lfunc_end195:
	.size	_ZN7rocprim17ROCPRIM_400000_NS6detail17trampoline_kernelINS0_14default_configENS1_36segmented_radix_sort_config_selectorIhlEEZNS1_25segmented_radix_sort_implIS3_Lb0EPKhPhPKlPlN2at6native12_GLOBAL__N_18offset_tEEE10hipError_tPvRmT1_PNSt15iterator_traitsISK_E10value_typeET2_T3_PNSL_ISQ_E10value_typeET4_jRbjT5_SW_jjP12ihipStream_tbEUlT_E0_NS1_11comp_targetILNS1_3genE0ELNS1_11target_archE4294967295ELNS1_3gpuE0ELNS1_3repE0EEENS1_60segmented_radix_sort_warp_sort_medium_config_static_selectorELNS0_4arch9wavefront6targetE0EEEvSK_, .Lfunc_end195-_ZN7rocprim17ROCPRIM_400000_NS6detail17trampoline_kernelINS0_14default_configENS1_36segmented_radix_sort_config_selectorIhlEEZNS1_25segmented_radix_sort_implIS3_Lb0EPKhPhPKlPlN2at6native12_GLOBAL__N_18offset_tEEE10hipError_tPvRmT1_PNSt15iterator_traitsISK_E10value_typeET2_T3_PNSL_ISQ_E10value_typeET4_jRbjT5_SW_jjP12ihipStream_tbEUlT_E0_NS1_11comp_targetILNS1_3genE0ELNS1_11target_archE4294967295ELNS1_3gpuE0ELNS1_3repE0EEENS1_60segmented_radix_sort_warp_sort_medium_config_static_selectorELNS0_4arch9wavefront6targetE0EEEvSK_
                                        ; -- End function
	.set _ZN7rocprim17ROCPRIM_400000_NS6detail17trampoline_kernelINS0_14default_configENS1_36segmented_radix_sort_config_selectorIhlEEZNS1_25segmented_radix_sort_implIS3_Lb0EPKhPhPKlPlN2at6native12_GLOBAL__N_18offset_tEEE10hipError_tPvRmT1_PNSt15iterator_traitsISK_E10value_typeET2_T3_PNSL_ISQ_E10value_typeET4_jRbjT5_SW_jjP12ihipStream_tbEUlT_E0_NS1_11comp_targetILNS1_3genE0ELNS1_11target_archE4294967295ELNS1_3gpuE0ELNS1_3repE0EEENS1_60segmented_radix_sort_warp_sort_medium_config_static_selectorELNS0_4arch9wavefront6targetE0EEEvSK_.num_vgpr, 0
	.set _ZN7rocprim17ROCPRIM_400000_NS6detail17trampoline_kernelINS0_14default_configENS1_36segmented_radix_sort_config_selectorIhlEEZNS1_25segmented_radix_sort_implIS3_Lb0EPKhPhPKlPlN2at6native12_GLOBAL__N_18offset_tEEE10hipError_tPvRmT1_PNSt15iterator_traitsISK_E10value_typeET2_T3_PNSL_ISQ_E10value_typeET4_jRbjT5_SW_jjP12ihipStream_tbEUlT_E0_NS1_11comp_targetILNS1_3genE0ELNS1_11target_archE4294967295ELNS1_3gpuE0ELNS1_3repE0EEENS1_60segmented_radix_sort_warp_sort_medium_config_static_selectorELNS0_4arch9wavefront6targetE0EEEvSK_.num_agpr, 0
	.set _ZN7rocprim17ROCPRIM_400000_NS6detail17trampoline_kernelINS0_14default_configENS1_36segmented_radix_sort_config_selectorIhlEEZNS1_25segmented_radix_sort_implIS3_Lb0EPKhPhPKlPlN2at6native12_GLOBAL__N_18offset_tEEE10hipError_tPvRmT1_PNSt15iterator_traitsISK_E10value_typeET2_T3_PNSL_ISQ_E10value_typeET4_jRbjT5_SW_jjP12ihipStream_tbEUlT_E0_NS1_11comp_targetILNS1_3genE0ELNS1_11target_archE4294967295ELNS1_3gpuE0ELNS1_3repE0EEENS1_60segmented_radix_sort_warp_sort_medium_config_static_selectorELNS0_4arch9wavefront6targetE0EEEvSK_.numbered_sgpr, 0
	.set _ZN7rocprim17ROCPRIM_400000_NS6detail17trampoline_kernelINS0_14default_configENS1_36segmented_radix_sort_config_selectorIhlEEZNS1_25segmented_radix_sort_implIS3_Lb0EPKhPhPKlPlN2at6native12_GLOBAL__N_18offset_tEEE10hipError_tPvRmT1_PNSt15iterator_traitsISK_E10value_typeET2_T3_PNSL_ISQ_E10value_typeET4_jRbjT5_SW_jjP12ihipStream_tbEUlT_E0_NS1_11comp_targetILNS1_3genE0ELNS1_11target_archE4294967295ELNS1_3gpuE0ELNS1_3repE0EEENS1_60segmented_radix_sort_warp_sort_medium_config_static_selectorELNS0_4arch9wavefront6targetE0EEEvSK_.num_named_barrier, 0
	.set _ZN7rocprim17ROCPRIM_400000_NS6detail17trampoline_kernelINS0_14default_configENS1_36segmented_radix_sort_config_selectorIhlEEZNS1_25segmented_radix_sort_implIS3_Lb0EPKhPhPKlPlN2at6native12_GLOBAL__N_18offset_tEEE10hipError_tPvRmT1_PNSt15iterator_traitsISK_E10value_typeET2_T3_PNSL_ISQ_E10value_typeET4_jRbjT5_SW_jjP12ihipStream_tbEUlT_E0_NS1_11comp_targetILNS1_3genE0ELNS1_11target_archE4294967295ELNS1_3gpuE0ELNS1_3repE0EEENS1_60segmented_radix_sort_warp_sort_medium_config_static_selectorELNS0_4arch9wavefront6targetE0EEEvSK_.private_seg_size, 0
	.set _ZN7rocprim17ROCPRIM_400000_NS6detail17trampoline_kernelINS0_14default_configENS1_36segmented_radix_sort_config_selectorIhlEEZNS1_25segmented_radix_sort_implIS3_Lb0EPKhPhPKlPlN2at6native12_GLOBAL__N_18offset_tEEE10hipError_tPvRmT1_PNSt15iterator_traitsISK_E10value_typeET2_T3_PNSL_ISQ_E10value_typeET4_jRbjT5_SW_jjP12ihipStream_tbEUlT_E0_NS1_11comp_targetILNS1_3genE0ELNS1_11target_archE4294967295ELNS1_3gpuE0ELNS1_3repE0EEENS1_60segmented_radix_sort_warp_sort_medium_config_static_selectorELNS0_4arch9wavefront6targetE0EEEvSK_.uses_vcc, 0
	.set _ZN7rocprim17ROCPRIM_400000_NS6detail17trampoline_kernelINS0_14default_configENS1_36segmented_radix_sort_config_selectorIhlEEZNS1_25segmented_radix_sort_implIS3_Lb0EPKhPhPKlPlN2at6native12_GLOBAL__N_18offset_tEEE10hipError_tPvRmT1_PNSt15iterator_traitsISK_E10value_typeET2_T3_PNSL_ISQ_E10value_typeET4_jRbjT5_SW_jjP12ihipStream_tbEUlT_E0_NS1_11comp_targetILNS1_3genE0ELNS1_11target_archE4294967295ELNS1_3gpuE0ELNS1_3repE0EEENS1_60segmented_radix_sort_warp_sort_medium_config_static_selectorELNS0_4arch9wavefront6targetE0EEEvSK_.uses_flat_scratch, 0
	.set _ZN7rocprim17ROCPRIM_400000_NS6detail17trampoline_kernelINS0_14default_configENS1_36segmented_radix_sort_config_selectorIhlEEZNS1_25segmented_radix_sort_implIS3_Lb0EPKhPhPKlPlN2at6native12_GLOBAL__N_18offset_tEEE10hipError_tPvRmT1_PNSt15iterator_traitsISK_E10value_typeET2_T3_PNSL_ISQ_E10value_typeET4_jRbjT5_SW_jjP12ihipStream_tbEUlT_E0_NS1_11comp_targetILNS1_3genE0ELNS1_11target_archE4294967295ELNS1_3gpuE0ELNS1_3repE0EEENS1_60segmented_radix_sort_warp_sort_medium_config_static_selectorELNS0_4arch9wavefront6targetE0EEEvSK_.has_dyn_sized_stack, 0
	.set _ZN7rocprim17ROCPRIM_400000_NS6detail17trampoline_kernelINS0_14default_configENS1_36segmented_radix_sort_config_selectorIhlEEZNS1_25segmented_radix_sort_implIS3_Lb0EPKhPhPKlPlN2at6native12_GLOBAL__N_18offset_tEEE10hipError_tPvRmT1_PNSt15iterator_traitsISK_E10value_typeET2_T3_PNSL_ISQ_E10value_typeET4_jRbjT5_SW_jjP12ihipStream_tbEUlT_E0_NS1_11comp_targetILNS1_3genE0ELNS1_11target_archE4294967295ELNS1_3gpuE0ELNS1_3repE0EEENS1_60segmented_radix_sort_warp_sort_medium_config_static_selectorELNS0_4arch9wavefront6targetE0EEEvSK_.has_recursion, 0
	.set _ZN7rocprim17ROCPRIM_400000_NS6detail17trampoline_kernelINS0_14default_configENS1_36segmented_radix_sort_config_selectorIhlEEZNS1_25segmented_radix_sort_implIS3_Lb0EPKhPhPKlPlN2at6native12_GLOBAL__N_18offset_tEEE10hipError_tPvRmT1_PNSt15iterator_traitsISK_E10value_typeET2_T3_PNSL_ISQ_E10value_typeET4_jRbjT5_SW_jjP12ihipStream_tbEUlT_E0_NS1_11comp_targetILNS1_3genE0ELNS1_11target_archE4294967295ELNS1_3gpuE0ELNS1_3repE0EEENS1_60segmented_radix_sort_warp_sort_medium_config_static_selectorELNS0_4arch9wavefront6targetE0EEEvSK_.has_indirect_call, 0
	.section	.AMDGPU.csdata,"",@progbits
; Kernel info:
; codeLenInByte = 0
; TotalNumSgprs: 0
; NumVgprs: 0
; ScratchSize: 0
; MemoryBound: 0
; FloatMode: 240
; IeeeMode: 1
; LDSByteSize: 0 bytes/workgroup (compile time only)
; SGPRBlocks: 0
; VGPRBlocks: 0
; NumSGPRsForWavesPerEU: 1
; NumVGPRsForWavesPerEU: 1
; Occupancy: 16
; WaveLimiterHint : 0
; COMPUTE_PGM_RSRC2:SCRATCH_EN: 0
; COMPUTE_PGM_RSRC2:USER_SGPR: 6
; COMPUTE_PGM_RSRC2:TRAP_HANDLER: 0
; COMPUTE_PGM_RSRC2:TGID_X_EN: 1
; COMPUTE_PGM_RSRC2:TGID_Y_EN: 0
; COMPUTE_PGM_RSRC2:TGID_Z_EN: 0
; COMPUTE_PGM_RSRC2:TIDIG_COMP_CNT: 0
	.section	.text._ZN7rocprim17ROCPRIM_400000_NS6detail17trampoline_kernelINS0_14default_configENS1_36segmented_radix_sort_config_selectorIhlEEZNS1_25segmented_radix_sort_implIS3_Lb0EPKhPhPKlPlN2at6native12_GLOBAL__N_18offset_tEEE10hipError_tPvRmT1_PNSt15iterator_traitsISK_E10value_typeET2_T3_PNSL_ISQ_E10value_typeET4_jRbjT5_SW_jjP12ihipStream_tbEUlT_E0_NS1_11comp_targetILNS1_3genE5ELNS1_11target_archE942ELNS1_3gpuE9ELNS1_3repE0EEENS1_60segmented_radix_sort_warp_sort_medium_config_static_selectorELNS0_4arch9wavefront6targetE0EEEvSK_,"axG",@progbits,_ZN7rocprim17ROCPRIM_400000_NS6detail17trampoline_kernelINS0_14default_configENS1_36segmented_radix_sort_config_selectorIhlEEZNS1_25segmented_radix_sort_implIS3_Lb0EPKhPhPKlPlN2at6native12_GLOBAL__N_18offset_tEEE10hipError_tPvRmT1_PNSt15iterator_traitsISK_E10value_typeET2_T3_PNSL_ISQ_E10value_typeET4_jRbjT5_SW_jjP12ihipStream_tbEUlT_E0_NS1_11comp_targetILNS1_3genE5ELNS1_11target_archE942ELNS1_3gpuE9ELNS1_3repE0EEENS1_60segmented_radix_sort_warp_sort_medium_config_static_selectorELNS0_4arch9wavefront6targetE0EEEvSK_,comdat
	.globl	_ZN7rocprim17ROCPRIM_400000_NS6detail17trampoline_kernelINS0_14default_configENS1_36segmented_radix_sort_config_selectorIhlEEZNS1_25segmented_radix_sort_implIS3_Lb0EPKhPhPKlPlN2at6native12_GLOBAL__N_18offset_tEEE10hipError_tPvRmT1_PNSt15iterator_traitsISK_E10value_typeET2_T3_PNSL_ISQ_E10value_typeET4_jRbjT5_SW_jjP12ihipStream_tbEUlT_E0_NS1_11comp_targetILNS1_3genE5ELNS1_11target_archE942ELNS1_3gpuE9ELNS1_3repE0EEENS1_60segmented_radix_sort_warp_sort_medium_config_static_selectorELNS0_4arch9wavefront6targetE0EEEvSK_ ; -- Begin function _ZN7rocprim17ROCPRIM_400000_NS6detail17trampoline_kernelINS0_14default_configENS1_36segmented_radix_sort_config_selectorIhlEEZNS1_25segmented_radix_sort_implIS3_Lb0EPKhPhPKlPlN2at6native12_GLOBAL__N_18offset_tEEE10hipError_tPvRmT1_PNSt15iterator_traitsISK_E10value_typeET2_T3_PNSL_ISQ_E10value_typeET4_jRbjT5_SW_jjP12ihipStream_tbEUlT_E0_NS1_11comp_targetILNS1_3genE5ELNS1_11target_archE942ELNS1_3gpuE9ELNS1_3repE0EEENS1_60segmented_radix_sort_warp_sort_medium_config_static_selectorELNS0_4arch9wavefront6targetE0EEEvSK_
	.p2align	8
	.type	_ZN7rocprim17ROCPRIM_400000_NS6detail17trampoline_kernelINS0_14default_configENS1_36segmented_radix_sort_config_selectorIhlEEZNS1_25segmented_radix_sort_implIS3_Lb0EPKhPhPKlPlN2at6native12_GLOBAL__N_18offset_tEEE10hipError_tPvRmT1_PNSt15iterator_traitsISK_E10value_typeET2_T3_PNSL_ISQ_E10value_typeET4_jRbjT5_SW_jjP12ihipStream_tbEUlT_E0_NS1_11comp_targetILNS1_3genE5ELNS1_11target_archE942ELNS1_3gpuE9ELNS1_3repE0EEENS1_60segmented_radix_sort_warp_sort_medium_config_static_selectorELNS0_4arch9wavefront6targetE0EEEvSK_,@function
_ZN7rocprim17ROCPRIM_400000_NS6detail17trampoline_kernelINS0_14default_configENS1_36segmented_radix_sort_config_selectorIhlEEZNS1_25segmented_radix_sort_implIS3_Lb0EPKhPhPKlPlN2at6native12_GLOBAL__N_18offset_tEEE10hipError_tPvRmT1_PNSt15iterator_traitsISK_E10value_typeET2_T3_PNSL_ISQ_E10value_typeET4_jRbjT5_SW_jjP12ihipStream_tbEUlT_E0_NS1_11comp_targetILNS1_3genE5ELNS1_11target_archE942ELNS1_3gpuE9ELNS1_3repE0EEENS1_60segmented_radix_sort_warp_sort_medium_config_static_selectorELNS0_4arch9wavefront6targetE0EEEvSK_: ; @_ZN7rocprim17ROCPRIM_400000_NS6detail17trampoline_kernelINS0_14default_configENS1_36segmented_radix_sort_config_selectorIhlEEZNS1_25segmented_radix_sort_implIS3_Lb0EPKhPhPKlPlN2at6native12_GLOBAL__N_18offset_tEEE10hipError_tPvRmT1_PNSt15iterator_traitsISK_E10value_typeET2_T3_PNSL_ISQ_E10value_typeET4_jRbjT5_SW_jjP12ihipStream_tbEUlT_E0_NS1_11comp_targetILNS1_3genE5ELNS1_11target_archE942ELNS1_3gpuE9ELNS1_3repE0EEENS1_60segmented_radix_sort_warp_sort_medium_config_static_selectorELNS0_4arch9wavefront6targetE0EEEvSK_
; %bb.0:
	.section	.rodata,"a",@progbits
	.p2align	6, 0x0
	.amdhsa_kernel _ZN7rocprim17ROCPRIM_400000_NS6detail17trampoline_kernelINS0_14default_configENS1_36segmented_radix_sort_config_selectorIhlEEZNS1_25segmented_radix_sort_implIS3_Lb0EPKhPhPKlPlN2at6native12_GLOBAL__N_18offset_tEEE10hipError_tPvRmT1_PNSt15iterator_traitsISK_E10value_typeET2_T3_PNSL_ISQ_E10value_typeET4_jRbjT5_SW_jjP12ihipStream_tbEUlT_E0_NS1_11comp_targetILNS1_3genE5ELNS1_11target_archE942ELNS1_3gpuE9ELNS1_3repE0EEENS1_60segmented_radix_sort_warp_sort_medium_config_static_selectorELNS0_4arch9wavefront6targetE0EEEvSK_
		.amdhsa_group_segment_fixed_size 0
		.amdhsa_private_segment_fixed_size 0
		.amdhsa_kernarg_size 88
		.amdhsa_user_sgpr_count 6
		.amdhsa_user_sgpr_private_segment_buffer 1
		.amdhsa_user_sgpr_dispatch_ptr 0
		.amdhsa_user_sgpr_queue_ptr 0
		.amdhsa_user_sgpr_kernarg_segment_ptr 1
		.amdhsa_user_sgpr_dispatch_id 0
		.amdhsa_user_sgpr_flat_scratch_init 0
		.amdhsa_user_sgpr_private_segment_size 0
		.amdhsa_wavefront_size32 1
		.amdhsa_uses_dynamic_stack 0
		.amdhsa_system_sgpr_private_segment_wavefront_offset 0
		.amdhsa_system_sgpr_workgroup_id_x 1
		.amdhsa_system_sgpr_workgroup_id_y 0
		.amdhsa_system_sgpr_workgroup_id_z 0
		.amdhsa_system_sgpr_workgroup_info 0
		.amdhsa_system_vgpr_workitem_id 0
		.amdhsa_next_free_vgpr 1
		.amdhsa_next_free_sgpr 1
		.amdhsa_reserve_vcc 0
		.amdhsa_reserve_flat_scratch 0
		.amdhsa_float_round_mode_32 0
		.amdhsa_float_round_mode_16_64 0
		.amdhsa_float_denorm_mode_32 3
		.amdhsa_float_denorm_mode_16_64 3
		.amdhsa_dx10_clamp 1
		.amdhsa_ieee_mode 1
		.amdhsa_fp16_overflow 0
		.amdhsa_workgroup_processor_mode 1
		.amdhsa_memory_ordered 1
		.amdhsa_forward_progress 1
		.amdhsa_shared_vgpr_count 0
		.amdhsa_exception_fp_ieee_invalid_op 0
		.amdhsa_exception_fp_denorm_src 0
		.amdhsa_exception_fp_ieee_div_zero 0
		.amdhsa_exception_fp_ieee_overflow 0
		.amdhsa_exception_fp_ieee_underflow 0
		.amdhsa_exception_fp_ieee_inexact 0
		.amdhsa_exception_int_div_zero 0
	.end_amdhsa_kernel
	.section	.text._ZN7rocprim17ROCPRIM_400000_NS6detail17trampoline_kernelINS0_14default_configENS1_36segmented_radix_sort_config_selectorIhlEEZNS1_25segmented_radix_sort_implIS3_Lb0EPKhPhPKlPlN2at6native12_GLOBAL__N_18offset_tEEE10hipError_tPvRmT1_PNSt15iterator_traitsISK_E10value_typeET2_T3_PNSL_ISQ_E10value_typeET4_jRbjT5_SW_jjP12ihipStream_tbEUlT_E0_NS1_11comp_targetILNS1_3genE5ELNS1_11target_archE942ELNS1_3gpuE9ELNS1_3repE0EEENS1_60segmented_radix_sort_warp_sort_medium_config_static_selectorELNS0_4arch9wavefront6targetE0EEEvSK_,"axG",@progbits,_ZN7rocprim17ROCPRIM_400000_NS6detail17trampoline_kernelINS0_14default_configENS1_36segmented_radix_sort_config_selectorIhlEEZNS1_25segmented_radix_sort_implIS3_Lb0EPKhPhPKlPlN2at6native12_GLOBAL__N_18offset_tEEE10hipError_tPvRmT1_PNSt15iterator_traitsISK_E10value_typeET2_T3_PNSL_ISQ_E10value_typeET4_jRbjT5_SW_jjP12ihipStream_tbEUlT_E0_NS1_11comp_targetILNS1_3genE5ELNS1_11target_archE942ELNS1_3gpuE9ELNS1_3repE0EEENS1_60segmented_radix_sort_warp_sort_medium_config_static_selectorELNS0_4arch9wavefront6targetE0EEEvSK_,comdat
.Lfunc_end196:
	.size	_ZN7rocprim17ROCPRIM_400000_NS6detail17trampoline_kernelINS0_14default_configENS1_36segmented_radix_sort_config_selectorIhlEEZNS1_25segmented_radix_sort_implIS3_Lb0EPKhPhPKlPlN2at6native12_GLOBAL__N_18offset_tEEE10hipError_tPvRmT1_PNSt15iterator_traitsISK_E10value_typeET2_T3_PNSL_ISQ_E10value_typeET4_jRbjT5_SW_jjP12ihipStream_tbEUlT_E0_NS1_11comp_targetILNS1_3genE5ELNS1_11target_archE942ELNS1_3gpuE9ELNS1_3repE0EEENS1_60segmented_radix_sort_warp_sort_medium_config_static_selectorELNS0_4arch9wavefront6targetE0EEEvSK_, .Lfunc_end196-_ZN7rocprim17ROCPRIM_400000_NS6detail17trampoline_kernelINS0_14default_configENS1_36segmented_radix_sort_config_selectorIhlEEZNS1_25segmented_radix_sort_implIS3_Lb0EPKhPhPKlPlN2at6native12_GLOBAL__N_18offset_tEEE10hipError_tPvRmT1_PNSt15iterator_traitsISK_E10value_typeET2_T3_PNSL_ISQ_E10value_typeET4_jRbjT5_SW_jjP12ihipStream_tbEUlT_E0_NS1_11comp_targetILNS1_3genE5ELNS1_11target_archE942ELNS1_3gpuE9ELNS1_3repE0EEENS1_60segmented_radix_sort_warp_sort_medium_config_static_selectorELNS0_4arch9wavefront6targetE0EEEvSK_
                                        ; -- End function
	.set _ZN7rocprim17ROCPRIM_400000_NS6detail17trampoline_kernelINS0_14default_configENS1_36segmented_radix_sort_config_selectorIhlEEZNS1_25segmented_radix_sort_implIS3_Lb0EPKhPhPKlPlN2at6native12_GLOBAL__N_18offset_tEEE10hipError_tPvRmT1_PNSt15iterator_traitsISK_E10value_typeET2_T3_PNSL_ISQ_E10value_typeET4_jRbjT5_SW_jjP12ihipStream_tbEUlT_E0_NS1_11comp_targetILNS1_3genE5ELNS1_11target_archE942ELNS1_3gpuE9ELNS1_3repE0EEENS1_60segmented_radix_sort_warp_sort_medium_config_static_selectorELNS0_4arch9wavefront6targetE0EEEvSK_.num_vgpr, 0
	.set _ZN7rocprim17ROCPRIM_400000_NS6detail17trampoline_kernelINS0_14default_configENS1_36segmented_radix_sort_config_selectorIhlEEZNS1_25segmented_radix_sort_implIS3_Lb0EPKhPhPKlPlN2at6native12_GLOBAL__N_18offset_tEEE10hipError_tPvRmT1_PNSt15iterator_traitsISK_E10value_typeET2_T3_PNSL_ISQ_E10value_typeET4_jRbjT5_SW_jjP12ihipStream_tbEUlT_E0_NS1_11comp_targetILNS1_3genE5ELNS1_11target_archE942ELNS1_3gpuE9ELNS1_3repE0EEENS1_60segmented_radix_sort_warp_sort_medium_config_static_selectorELNS0_4arch9wavefront6targetE0EEEvSK_.num_agpr, 0
	.set _ZN7rocprim17ROCPRIM_400000_NS6detail17trampoline_kernelINS0_14default_configENS1_36segmented_radix_sort_config_selectorIhlEEZNS1_25segmented_radix_sort_implIS3_Lb0EPKhPhPKlPlN2at6native12_GLOBAL__N_18offset_tEEE10hipError_tPvRmT1_PNSt15iterator_traitsISK_E10value_typeET2_T3_PNSL_ISQ_E10value_typeET4_jRbjT5_SW_jjP12ihipStream_tbEUlT_E0_NS1_11comp_targetILNS1_3genE5ELNS1_11target_archE942ELNS1_3gpuE9ELNS1_3repE0EEENS1_60segmented_radix_sort_warp_sort_medium_config_static_selectorELNS0_4arch9wavefront6targetE0EEEvSK_.numbered_sgpr, 0
	.set _ZN7rocprim17ROCPRIM_400000_NS6detail17trampoline_kernelINS0_14default_configENS1_36segmented_radix_sort_config_selectorIhlEEZNS1_25segmented_radix_sort_implIS3_Lb0EPKhPhPKlPlN2at6native12_GLOBAL__N_18offset_tEEE10hipError_tPvRmT1_PNSt15iterator_traitsISK_E10value_typeET2_T3_PNSL_ISQ_E10value_typeET4_jRbjT5_SW_jjP12ihipStream_tbEUlT_E0_NS1_11comp_targetILNS1_3genE5ELNS1_11target_archE942ELNS1_3gpuE9ELNS1_3repE0EEENS1_60segmented_radix_sort_warp_sort_medium_config_static_selectorELNS0_4arch9wavefront6targetE0EEEvSK_.num_named_barrier, 0
	.set _ZN7rocprim17ROCPRIM_400000_NS6detail17trampoline_kernelINS0_14default_configENS1_36segmented_radix_sort_config_selectorIhlEEZNS1_25segmented_radix_sort_implIS3_Lb0EPKhPhPKlPlN2at6native12_GLOBAL__N_18offset_tEEE10hipError_tPvRmT1_PNSt15iterator_traitsISK_E10value_typeET2_T3_PNSL_ISQ_E10value_typeET4_jRbjT5_SW_jjP12ihipStream_tbEUlT_E0_NS1_11comp_targetILNS1_3genE5ELNS1_11target_archE942ELNS1_3gpuE9ELNS1_3repE0EEENS1_60segmented_radix_sort_warp_sort_medium_config_static_selectorELNS0_4arch9wavefront6targetE0EEEvSK_.private_seg_size, 0
	.set _ZN7rocprim17ROCPRIM_400000_NS6detail17trampoline_kernelINS0_14default_configENS1_36segmented_radix_sort_config_selectorIhlEEZNS1_25segmented_radix_sort_implIS3_Lb0EPKhPhPKlPlN2at6native12_GLOBAL__N_18offset_tEEE10hipError_tPvRmT1_PNSt15iterator_traitsISK_E10value_typeET2_T3_PNSL_ISQ_E10value_typeET4_jRbjT5_SW_jjP12ihipStream_tbEUlT_E0_NS1_11comp_targetILNS1_3genE5ELNS1_11target_archE942ELNS1_3gpuE9ELNS1_3repE0EEENS1_60segmented_radix_sort_warp_sort_medium_config_static_selectorELNS0_4arch9wavefront6targetE0EEEvSK_.uses_vcc, 0
	.set _ZN7rocprim17ROCPRIM_400000_NS6detail17trampoline_kernelINS0_14default_configENS1_36segmented_radix_sort_config_selectorIhlEEZNS1_25segmented_radix_sort_implIS3_Lb0EPKhPhPKlPlN2at6native12_GLOBAL__N_18offset_tEEE10hipError_tPvRmT1_PNSt15iterator_traitsISK_E10value_typeET2_T3_PNSL_ISQ_E10value_typeET4_jRbjT5_SW_jjP12ihipStream_tbEUlT_E0_NS1_11comp_targetILNS1_3genE5ELNS1_11target_archE942ELNS1_3gpuE9ELNS1_3repE0EEENS1_60segmented_radix_sort_warp_sort_medium_config_static_selectorELNS0_4arch9wavefront6targetE0EEEvSK_.uses_flat_scratch, 0
	.set _ZN7rocprim17ROCPRIM_400000_NS6detail17trampoline_kernelINS0_14default_configENS1_36segmented_radix_sort_config_selectorIhlEEZNS1_25segmented_radix_sort_implIS3_Lb0EPKhPhPKlPlN2at6native12_GLOBAL__N_18offset_tEEE10hipError_tPvRmT1_PNSt15iterator_traitsISK_E10value_typeET2_T3_PNSL_ISQ_E10value_typeET4_jRbjT5_SW_jjP12ihipStream_tbEUlT_E0_NS1_11comp_targetILNS1_3genE5ELNS1_11target_archE942ELNS1_3gpuE9ELNS1_3repE0EEENS1_60segmented_radix_sort_warp_sort_medium_config_static_selectorELNS0_4arch9wavefront6targetE0EEEvSK_.has_dyn_sized_stack, 0
	.set _ZN7rocprim17ROCPRIM_400000_NS6detail17trampoline_kernelINS0_14default_configENS1_36segmented_radix_sort_config_selectorIhlEEZNS1_25segmented_radix_sort_implIS3_Lb0EPKhPhPKlPlN2at6native12_GLOBAL__N_18offset_tEEE10hipError_tPvRmT1_PNSt15iterator_traitsISK_E10value_typeET2_T3_PNSL_ISQ_E10value_typeET4_jRbjT5_SW_jjP12ihipStream_tbEUlT_E0_NS1_11comp_targetILNS1_3genE5ELNS1_11target_archE942ELNS1_3gpuE9ELNS1_3repE0EEENS1_60segmented_radix_sort_warp_sort_medium_config_static_selectorELNS0_4arch9wavefront6targetE0EEEvSK_.has_recursion, 0
	.set _ZN7rocprim17ROCPRIM_400000_NS6detail17trampoline_kernelINS0_14default_configENS1_36segmented_radix_sort_config_selectorIhlEEZNS1_25segmented_radix_sort_implIS3_Lb0EPKhPhPKlPlN2at6native12_GLOBAL__N_18offset_tEEE10hipError_tPvRmT1_PNSt15iterator_traitsISK_E10value_typeET2_T3_PNSL_ISQ_E10value_typeET4_jRbjT5_SW_jjP12ihipStream_tbEUlT_E0_NS1_11comp_targetILNS1_3genE5ELNS1_11target_archE942ELNS1_3gpuE9ELNS1_3repE0EEENS1_60segmented_radix_sort_warp_sort_medium_config_static_selectorELNS0_4arch9wavefront6targetE0EEEvSK_.has_indirect_call, 0
	.section	.AMDGPU.csdata,"",@progbits
; Kernel info:
; codeLenInByte = 0
; TotalNumSgprs: 0
; NumVgprs: 0
; ScratchSize: 0
; MemoryBound: 0
; FloatMode: 240
; IeeeMode: 1
; LDSByteSize: 0 bytes/workgroup (compile time only)
; SGPRBlocks: 0
; VGPRBlocks: 0
; NumSGPRsForWavesPerEU: 1
; NumVGPRsForWavesPerEU: 1
; Occupancy: 16
; WaveLimiterHint : 0
; COMPUTE_PGM_RSRC2:SCRATCH_EN: 0
; COMPUTE_PGM_RSRC2:USER_SGPR: 6
; COMPUTE_PGM_RSRC2:TRAP_HANDLER: 0
; COMPUTE_PGM_RSRC2:TGID_X_EN: 1
; COMPUTE_PGM_RSRC2:TGID_Y_EN: 0
; COMPUTE_PGM_RSRC2:TGID_Z_EN: 0
; COMPUTE_PGM_RSRC2:TIDIG_COMP_CNT: 0
	.section	.text._ZN7rocprim17ROCPRIM_400000_NS6detail17trampoline_kernelINS0_14default_configENS1_36segmented_radix_sort_config_selectorIhlEEZNS1_25segmented_radix_sort_implIS3_Lb0EPKhPhPKlPlN2at6native12_GLOBAL__N_18offset_tEEE10hipError_tPvRmT1_PNSt15iterator_traitsISK_E10value_typeET2_T3_PNSL_ISQ_E10value_typeET4_jRbjT5_SW_jjP12ihipStream_tbEUlT_E0_NS1_11comp_targetILNS1_3genE4ELNS1_11target_archE910ELNS1_3gpuE8ELNS1_3repE0EEENS1_60segmented_radix_sort_warp_sort_medium_config_static_selectorELNS0_4arch9wavefront6targetE0EEEvSK_,"axG",@progbits,_ZN7rocprim17ROCPRIM_400000_NS6detail17trampoline_kernelINS0_14default_configENS1_36segmented_radix_sort_config_selectorIhlEEZNS1_25segmented_radix_sort_implIS3_Lb0EPKhPhPKlPlN2at6native12_GLOBAL__N_18offset_tEEE10hipError_tPvRmT1_PNSt15iterator_traitsISK_E10value_typeET2_T3_PNSL_ISQ_E10value_typeET4_jRbjT5_SW_jjP12ihipStream_tbEUlT_E0_NS1_11comp_targetILNS1_3genE4ELNS1_11target_archE910ELNS1_3gpuE8ELNS1_3repE0EEENS1_60segmented_radix_sort_warp_sort_medium_config_static_selectorELNS0_4arch9wavefront6targetE0EEEvSK_,comdat
	.globl	_ZN7rocprim17ROCPRIM_400000_NS6detail17trampoline_kernelINS0_14default_configENS1_36segmented_radix_sort_config_selectorIhlEEZNS1_25segmented_radix_sort_implIS3_Lb0EPKhPhPKlPlN2at6native12_GLOBAL__N_18offset_tEEE10hipError_tPvRmT1_PNSt15iterator_traitsISK_E10value_typeET2_T3_PNSL_ISQ_E10value_typeET4_jRbjT5_SW_jjP12ihipStream_tbEUlT_E0_NS1_11comp_targetILNS1_3genE4ELNS1_11target_archE910ELNS1_3gpuE8ELNS1_3repE0EEENS1_60segmented_radix_sort_warp_sort_medium_config_static_selectorELNS0_4arch9wavefront6targetE0EEEvSK_ ; -- Begin function _ZN7rocprim17ROCPRIM_400000_NS6detail17trampoline_kernelINS0_14default_configENS1_36segmented_radix_sort_config_selectorIhlEEZNS1_25segmented_radix_sort_implIS3_Lb0EPKhPhPKlPlN2at6native12_GLOBAL__N_18offset_tEEE10hipError_tPvRmT1_PNSt15iterator_traitsISK_E10value_typeET2_T3_PNSL_ISQ_E10value_typeET4_jRbjT5_SW_jjP12ihipStream_tbEUlT_E0_NS1_11comp_targetILNS1_3genE4ELNS1_11target_archE910ELNS1_3gpuE8ELNS1_3repE0EEENS1_60segmented_radix_sort_warp_sort_medium_config_static_selectorELNS0_4arch9wavefront6targetE0EEEvSK_
	.p2align	8
	.type	_ZN7rocprim17ROCPRIM_400000_NS6detail17trampoline_kernelINS0_14default_configENS1_36segmented_radix_sort_config_selectorIhlEEZNS1_25segmented_radix_sort_implIS3_Lb0EPKhPhPKlPlN2at6native12_GLOBAL__N_18offset_tEEE10hipError_tPvRmT1_PNSt15iterator_traitsISK_E10value_typeET2_T3_PNSL_ISQ_E10value_typeET4_jRbjT5_SW_jjP12ihipStream_tbEUlT_E0_NS1_11comp_targetILNS1_3genE4ELNS1_11target_archE910ELNS1_3gpuE8ELNS1_3repE0EEENS1_60segmented_radix_sort_warp_sort_medium_config_static_selectorELNS0_4arch9wavefront6targetE0EEEvSK_,@function
_ZN7rocprim17ROCPRIM_400000_NS6detail17trampoline_kernelINS0_14default_configENS1_36segmented_radix_sort_config_selectorIhlEEZNS1_25segmented_radix_sort_implIS3_Lb0EPKhPhPKlPlN2at6native12_GLOBAL__N_18offset_tEEE10hipError_tPvRmT1_PNSt15iterator_traitsISK_E10value_typeET2_T3_PNSL_ISQ_E10value_typeET4_jRbjT5_SW_jjP12ihipStream_tbEUlT_E0_NS1_11comp_targetILNS1_3genE4ELNS1_11target_archE910ELNS1_3gpuE8ELNS1_3repE0EEENS1_60segmented_radix_sort_warp_sort_medium_config_static_selectorELNS0_4arch9wavefront6targetE0EEEvSK_: ; @_ZN7rocprim17ROCPRIM_400000_NS6detail17trampoline_kernelINS0_14default_configENS1_36segmented_radix_sort_config_selectorIhlEEZNS1_25segmented_radix_sort_implIS3_Lb0EPKhPhPKlPlN2at6native12_GLOBAL__N_18offset_tEEE10hipError_tPvRmT1_PNSt15iterator_traitsISK_E10value_typeET2_T3_PNSL_ISQ_E10value_typeET4_jRbjT5_SW_jjP12ihipStream_tbEUlT_E0_NS1_11comp_targetILNS1_3genE4ELNS1_11target_archE910ELNS1_3gpuE8ELNS1_3repE0EEENS1_60segmented_radix_sort_warp_sort_medium_config_static_selectorELNS0_4arch9wavefront6targetE0EEEvSK_
; %bb.0:
	.section	.rodata,"a",@progbits
	.p2align	6, 0x0
	.amdhsa_kernel _ZN7rocprim17ROCPRIM_400000_NS6detail17trampoline_kernelINS0_14default_configENS1_36segmented_radix_sort_config_selectorIhlEEZNS1_25segmented_radix_sort_implIS3_Lb0EPKhPhPKlPlN2at6native12_GLOBAL__N_18offset_tEEE10hipError_tPvRmT1_PNSt15iterator_traitsISK_E10value_typeET2_T3_PNSL_ISQ_E10value_typeET4_jRbjT5_SW_jjP12ihipStream_tbEUlT_E0_NS1_11comp_targetILNS1_3genE4ELNS1_11target_archE910ELNS1_3gpuE8ELNS1_3repE0EEENS1_60segmented_radix_sort_warp_sort_medium_config_static_selectorELNS0_4arch9wavefront6targetE0EEEvSK_
		.amdhsa_group_segment_fixed_size 0
		.amdhsa_private_segment_fixed_size 0
		.amdhsa_kernarg_size 88
		.amdhsa_user_sgpr_count 6
		.amdhsa_user_sgpr_private_segment_buffer 1
		.amdhsa_user_sgpr_dispatch_ptr 0
		.amdhsa_user_sgpr_queue_ptr 0
		.amdhsa_user_sgpr_kernarg_segment_ptr 1
		.amdhsa_user_sgpr_dispatch_id 0
		.amdhsa_user_sgpr_flat_scratch_init 0
		.amdhsa_user_sgpr_private_segment_size 0
		.amdhsa_wavefront_size32 1
		.amdhsa_uses_dynamic_stack 0
		.amdhsa_system_sgpr_private_segment_wavefront_offset 0
		.amdhsa_system_sgpr_workgroup_id_x 1
		.amdhsa_system_sgpr_workgroup_id_y 0
		.amdhsa_system_sgpr_workgroup_id_z 0
		.amdhsa_system_sgpr_workgroup_info 0
		.amdhsa_system_vgpr_workitem_id 0
		.amdhsa_next_free_vgpr 1
		.amdhsa_next_free_sgpr 1
		.amdhsa_reserve_vcc 0
		.amdhsa_reserve_flat_scratch 0
		.amdhsa_float_round_mode_32 0
		.amdhsa_float_round_mode_16_64 0
		.amdhsa_float_denorm_mode_32 3
		.amdhsa_float_denorm_mode_16_64 3
		.amdhsa_dx10_clamp 1
		.amdhsa_ieee_mode 1
		.amdhsa_fp16_overflow 0
		.amdhsa_workgroup_processor_mode 1
		.amdhsa_memory_ordered 1
		.amdhsa_forward_progress 1
		.amdhsa_shared_vgpr_count 0
		.amdhsa_exception_fp_ieee_invalid_op 0
		.amdhsa_exception_fp_denorm_src 0
		.amdhsa_exception_fp_ieee_div_zero 0
		.amdhsa_exception_fp_ieee_overflow 0
		.amdhsa_exception_fp_ieee_underflow 0
		.amdhsa_exception_fp_ieee_inexact 0
		.amdhsa_exception_int_div_zero 0
	.end_amdhsa_kernel
	.section	.text._ZN7rocprim17ROCPRIM_400000_NS6detail17trampoline_kernelINS0_14default_configENS1_36segmented_radix_sort_config_selectorIhlEEZNS1_25segmented_radix_sort_implIS3_Lb0EPKhPhPKlPlN2at6native12_GLOBAL__N_18offset_tEEE10hipError_tPvRmT1_PNSt15iterator_traitsISK_E10value_typeET2_T3_PNSL_ISQ_E10value_typeET4_jRbjT5_SW_jjP12ihipStream_tbEUlT_E0_NS1_11comp_targetILNS1_3genE4ELNS1_11target_archE910ELNS1_3gpuE8ELNS1_3repE0EEENS1_60segmented_radix_sort_warp_sort_medium_config_static_selectorELNS0_4arch9wavefront6targetE0EEEvSK_,"axG",@progbits,_ZN7rocprim17ROCPRIM_400000_NS6detail17trampoline_kernelINS0_14default_configENS1_36segmented_radix_sort_config_selectorIhlEEZNS1_25segmented_radix_sort_implIS3_Lb0EPKhPhPKlPlN2at6native12_GLOBAL__N_18offset_tEEE10hipError_tPvRmT1_PNSt15iterator_traitsISK_E10value_typeET2_T3_PNSL_ISQ_E10value_typeET4_jRbjT5_SW_jjP12ihipStream_tbEUlT_E0_NS1_11comp_targetILNS1_3genE4ELNS1_11target_archE910ELNS1_3gpuE8ELNS1_3repE0EEENS1_60segmented_radix_sort_warp_sort_medium_config_static_selectorELNS0_4arch9wavefront6targetE0EEEvSK_,comdat
.Lfunc_end197:
	.size	_ZN7rocprim17ROCPRIM_400000_NS6detail17trampoline_kernelINS0_14default_configENS1_36segmented_radix_sort_config_selectorIhlEEZNS1_25segmented_radix_sort_implIS3_Lb0EPKhPhPKlPlN2at6native12_GLOBAL__N_18offset_tEEE10hipError_tPvRmT1_PNSt15iterator_traitsISK_E10value_typeET2_T3_PNSL_ISQ_E10value_typeET4_jRbjT5_SW_jjP12ihipStream_tbEUlT_E0_NS1_11comp_targetILNS1_3genE4ELNS1_11target_archE910ELNS1_3gpuE8ELNS1_3repE0EEENS1_60segmented_radix_sort_warp_sort_medium_config_static_selectorELNS0_4arch9wavefront6targetE0EEEvSK_, .Lfunc_end197-_ZN7rocprim17ROCPRIM_400000_NS6detail17trampoline_kernelINS0_14default_configENS1_36segmented_radix_sort_config_selectorIhlEEZNS1_25segmented_radix_sort_implIS3_Lb0EPKhPhPKlPlN2at6native12_GLOBAL__N_18offset_tEEE10hipError_tPvRmT1_PNSt15iterator_traitsISK_E10value_typeET2_T3_PNSL_ISQ_E10value_typeET4_jRbjT5_SW_jjP12ihipStream_tbEUlT_E0_NS1_11comp_targetILNS1_3genE4ELNS1_11target_archE910ELNS1_3gpuE8ELNS1_3repE0EEENS1_60segmented_radix_sort_warp_sort_medium_config_static_selectorELNS0_4arch9wavefront6targetE0EEEvSK_
                                        ; -- End function
	.set _ZN7rocprim17ROCPRIM_400000_NS6detail17trampoline_kernelINS0_14default_configENS1_36segmented_radix_sort_config_selectorIhlEEZNS1_25segmented_radix_sort_implIS3_Lb0EPKhPhPKlPlN2at6native12_GLOBAL__N_18offset_tEEE10hipError_tPvRmT1_PNSt15iterator_traitsISK_E10value_typeET2_T3_PNSL_ISQ_E10value_typeET4_jRbjT5_SW_jjP12ihipStream_tbEUlT_E0_NS1_11comp_targetILNS1_3genE4ELNS1_11target_archE910ELNS1_3gpuE8ELNS1_3repE0EEENS1_60segmented_radix_sort_warp_sort_medium_config_static_selectorELNS0_4arch9wavefront6targetE0EEEvSK_.num_vgpr, 0
	.set _ZN7rocprim17ROCPRIM_400000_NS6detail17trampoline_kernelINS0_14default_configENS1_36segmented_radix_sort_config_selectorIhlEEZNS1_25segmented_radix_sort_implIS3_Lb0EPKhPhPKlPlN2at6native12_GLOBAL__N_18offset_tEEE10hipError_tPvRmT1_PNSt15iterator_traitsISK_E10value_typeET2_T3_PNSL_ISQ_E10value_typeET4_jRbjT5_SW_jjP12ihipStream_tbEUlT_E0_NS1_11comp_targetILNS1_3genE4ELNS1_11target_archE910ELNS1_3gpuE8ELNS1_3repE0EEENS1_60segmented_radix_sort_warp_sort_medium_config_static_selectorELNS0_4arch9wavefront6targetE0EEEvSK_.num_agpr, 0
	.set _ZN7rocprim17ROCPRIM_400000_NS6detail17trampoline_kernelINS0_14default_configENS1_36segmented_radix_sort_config_selectorIhlEEZNS1_25segmented_radix_sort_implIS3_Lb0EPKhPhPKlPlN2at6native12_GLOBAL__N_18offset_tEEE10hipError_tPvRmT1_PNSt15iterator_traitsISK_E10value_typeET2_T3_PNSL_ISQ_E10value_typeET4_jRbjT5_SW_jjP12ihipStream_tbEUlT_E0_NS1_11comp_targetILNS1_3genE4ELNS1_11target_archE910ELNS1_3gpuE8ELNS1_3repE0EEENS1_60segmented_radix_sort_warp_sort_medium_config_static_selectorELNS0_4arch9wavefront6targetE0EEEvSK_.numbered_sgpr, 0
	.set _ZN7rocprim17ROCPRIM_400000_NS6detail17trampoline_kernelINS0_14default_configENS1_36segmented_radix_sort_config_selectorIhlEEZNS1_25segmented_radix_sort_implIS3_Lb0EPKhPhPKlPlN2at6native12_GLOBAL__N_18offset_tEEE10hipError_tPvRmT1_PNSt15iterator_traitsISK_E10value_typeET2_T3_PNSL_ISQ_E10value_typeET4_jRbjT5_SW_jjP12ihipStream_tbEUlT_E0_NS1_11comp_targetILNS1_3genE4ELNS1_11target_archE910ELNS1_3gpuE8ELNS1_3repE0EEENS1_60segmented_radix_sort_warp_sort_medium_config_static_selectorELNS0_4arch9wavefront6targetE0EEEvSK_.num_named_barrier, 0
	.set _ZN7rocprim17ROCPRIM_400000_NS6detail17trampoline_kernelINS0_14default_configENS1_36segmented_radix_sort_config_selectorIhlEEZNS1_25segmented_radix_sort_implIS3_Lb0EPKhPhPKlPlN2at6native12_GLOBAL__N_18offset_tEEE10hipError_tPvRmT1_PNSt15iterator_traitsISK_E10value_typeET2_T3_PNSL_ISQ_E10value_typeET4_jRbjT5_SW_jjP12ihipStream_tbEUlT_E0_NS1_11comp_targetILNS1_3genE4ELNS1_11target_archE910ELNS1_3gpuE8ELNS1_3repE0EEENS1_60segmented_radix_sort_warp_sort_medium_config_static_selectorELNS0_4arch9wavefront6targetE0EEEvSK_.private_seg_size, 0
	.set _ZN7rocprim17ROCPRIM_400000_NS6detail17trampoline_kernelINS0_14default_configENS1_36segmented_radix_sort_config_selectorIhlEEZNS1_25segmented_radix_sort_implIS3_Lb0EPKhPhPKlPlN2at6native12_GLOBAL__N_18offset_tEEE10hipError_tPvRmT1_PNSt15iterator_traitsISK_E10value_typeET2_T3_PNSL_ISQ_E10value_typeET4_jRbjT5_SW_jjP12ihipStream_tbEUlT_E0_NS1_11comp_targetILNS1_3genE4ELNS1_11target_archE910ELNS1_3gpuE8ELNS1_3repE0EEENS1_60segmented_radix_sort_warp_sort_medium_config_static_selectorELNS0_4arch9wavefront6targetE0EEEvSK_.uses_vcc, 0
	.set _ZN7rocprim17ROCPRIM_400000_NS6detail17trampoline_kernelINS0_14default_configENS1_36segmented_radix_sort_config_selectorIhlEEZNS1_25segmented_radix_sort_implIS3_Lb0EPKhPhPKlPlN2at6native12_GLOBAL__N_18offset_tEEE10hipError_tPvRmT1_PNSt15iterator_traitsISK_E10value_typeET2_T3_PNSL_ISQ_E10value_typeET4_jRbjT5_SW_jjP12ihipStream_tbEUlT_E0_NS1_11comp_targetILNS1_3genE4ELNS1_11target_archE910ELNS1_3gpuE8ELNS1_3repE0EEENS1_60segmented_radix_sort_warp_sort_medium_config_static_selectorELNS0_4arch9wavefront6targetE0EEEvSK_.uses_flat_scratch, 0
	.set _ZN7rocprim17ROCPRIM_400000_NS6detail17trampoline_kernelINS0_14default_configENS1_36segmented_radix_sort_config_selectorIhlEEZNS1_25segmented_radix_sort_implIS3_Lb0EPKhPhPKlPlN2at6native12_GLOBAL__N_18offset_tEEE10hipError_tPvRmT1_PNSt15iterator_traitsISK_E10value_typeET2_T3_PNSL_ISQ_E10value_typeET4_jRbjT5_SW_jjP12ihipStream_tbEUlT_E0_NS1_11comp_targetILNS1_3genE4ELNS1_11target_archE910ELNS1_3gpuE8ELNS1_3repE0EEENS1_60segmented_radix_sort_warp_sort_medium_config_static_selectorELNS0_4arch9wavefront6targetE0EEEvSK_.has_dyn_sized_stack, 0
	.set _ZN7rocprim17ROCPRIM_400000_NS6detail17trampoline_kernelINS0_14default_configENS1_36segmented_radix_sort_config_selectorIhlEEZNS1_25segmented_radix_sort_implIS3_Lb0EPKhPhPKlPlN2at6native12_GLOBAL__N_18offset_tEEE10hipError_tPvRmT1_PNSt15iterator_traitsISK_E10value_typeET2_T3_PNSL_ISQ_E10value_typeET4_jRbjT5_SW_jjP12ihipStream_tbEUlT_E0_NS1_11comp_targetILNS1_3genE4ELNS1_11target_archE910ELNS1_3gpuE8ELNS1_3repE0EEENS1_60segmented_radix_sort_warp_sort_medium_config_static_selectorELNS0_4arch9wavefront6targetE0EEEvSK_.has_recursion, 0
	.set _ZN7rocprim17ROCPRIM_400000_NS6detail17trampoline_kernelINS0_14default_configENS1_36segmented_radix_sort_config_selectorIhlEEZNS1_25segmented_radix_sort_implIS3_Lb0EPKhPhPKlPlN2at6native12_GLOBAL__N_18offset_tEEE10hipError_tPvRmT1_PNSt15iterator_traitsISK_E10value_typeET2_T3_PNSL_ISQ_E10value_typeET4_jRbjT5_SW_jjP12ihipStream_tbEUlT_E0_NS1_11comp_targetILNS1_3genE4ELNS1_11target_archE910ELNS1_3gpuE8ELNS1_3repE0EEENS1_60segmented_radix_sort_warp_sort_medium_config_static_selectorELNS0_4arch9wavefront6targetE0EEEvSK_.has_indirect_call, 0
	.section	.AMDGPU.csdata,"",@progbits
; Kernel info:
; codeLenInByte = 0
; TotalNumSgprs: 0
; NumVgprs: 0
; ScratchSize: 0
; MemoryBound: 0
; FloatMode: 240
; IeeeMode: 1
; LDSByteSize: 0 bytes/workgroup (compile time only)
; SGPRBlocks: 0
; VGPRBlocks: 0
; NumSGPRsForWavesPerEU: 1
; NumVGPRsForWavesPerEU: 1
; Occupancy: 16
; WaveLimiterHint : 0
; COMPUTE_PGM_RSRC2:SCRATCH_EN: 0
; COMPUTE_PGM_RSRC2:USER_SGPR: 6
; COMPUTE_PGM_RSRC2:TRAP_HANDLER: 0
; COMPUTE_PGM_RSRC2:TGID_X_EN: 1
; COMPUTE_PGM_RSRC2:TGID_Y_EN: 0
; COMPUTE_PGM_RSRC2:TGID_Z_EN: 0
; COMPUTE_PGM_RSRC2:TIDIG_COMP_CNT: 0
	.section	.text._ZN7rocprim17ROCPRIM_400000_NS6detail17trampoline_kernelINS0_14default_configENS1_36segmented_radix_sort_config_selectorIhlEEZNS1_25segmented_radix_sort_implIS3_Lb0EPKhPhPKlPlN2at6native12_GLOBAL__N_18offset_tEEE10hipError_tPvRmT1_PNSt15iterator_traitsISK_E10value_typeET2_T3_PNSL_ISQ_E10value_typeET4_jRbjT5_SW_jjP12ihipStream_tbEUlT_E0_NS1_11comp_targetILNS1_3genE3ELNS1_11target_archE908ELNS1_3gpuE7ELNS1_3repE0EEENS1_60segmented_radix_sort_warp_sort_medium_config_static_selectorELNS0_4arch9wavefront6targetE0EEEvSK_,"axG",@progbits,_ZN7rocprim17ROCPRIM_400000_NS6detail17trampoline_kernelINS0_14default_configENS1_36segmented_radix_sort_config_selectorIhlEEZNS1_25segmented_radix_sort_implIS3_Lb0EPKhPhPKlPlN2at6native12_GLOBAL__N_18offset_tEEE10hipError_tPvRmT1_PNSt15iterator_traitsISK_E10value_typeET2_T3_PNSL_ISQ_E10value_typeET4_jRbjT5_SW_jjP12ihipStream_tbEUlT_E0_NS1_11comp_targetILNS1_3genE3ELNS1_11target_archE908ELNS1_3gpuE7ELNS1_3repE0EEENS1_60segmented_radix_sort_warp_sort_medium_config_static_selectorELNS0_4arch9wavefront6targetE0EEEvSK_,comdat
	.globl	_ZN7rocprim17ROCPRIM_400000_NS6detail17trampoline_kernelINS0_14default_configENS1_36segmented_radix_sort_config_selectorIhlEEZNS1_25segmented_radix_sort_implIS3_Lb0EPKhPhPKlPlN2at6native12_GLOBAL__N_18offset_tEEE10hipError_tPvRmT1_PNSt15iterator_traitsISK_E10value_typeET2_T3_PNSL_ISQ_E10value_typeET4_jRbjT5_SW_jjP12ihipStream_tbEUlT_E0_NS1_11comp_targetILNS1_3genE3ELNS1_11target_archE908ELNS1_3gpuE7ELNS1_3repE0EEENS1_60segmented_radix_sort_warp_sort_medium_config_static_selectorELNS0_4arch9wavefront6targetE0EEEvSK_ ; -- Begin function _ZN7rocprim17ROCPRIM_400000_NS6detail17trampoline_kernelINS0_14default_configENS1_36segmented_radix_sort_config_selectorIhlEEZNS1_25segmented_radix_sort_implIS3_Lb0EPKhPhPKlPlN2at6native12_GLOBAL__N_18offset_tEEE10hipError_tPvRmT1_PNSt15iterator_traitsISK_E10value_typeET2_T3_PNSL_ISQ_E10value_typeET4_jRbjT5_SW_jjP12ihipStream_tbEUlT_E0_NS1_11comp_targetILNS1_3genE3ELNS1_11target_archE908ELNS1_3gpuE7ELNS1_3repE0EEENS1_60segmented_radix_sort_warp_sort_medium_config_static_selectorELNS0_4arch9wavefront6targetE0EEEvSK_
	.p2align	8
	.type	_ZN7rocprim17ROCPRIM_400000_NS6detail17trampoline_kernelINS0_14default_configENS1_36segmented_radix_sort_config_selectorIhlEEZNS1_25segmented_radix_sort_implIS3_Lb0EPKhPhPKlPlN2at6native12_GLOBAL__N_18offset_tEEE10hipError_tPvRmT1_PNSt15iterator_traitsISK_E10value_typeET2_T3_PNSL_ISQ_E10value_typeET4_jRbjT5_SW_jjP12ihipStream_tbEUlT_E0_NS1_11comp_targetILNS1_3genE3ELNS1_11target_archE908ELNS1_3gpuE7ELNS1_3repE0EEENS1_60segmented_radix_sort_warp_sort_medium_config_static_selectorELNS0_4arch9wavefront6targetE0EEEvSK_,@function
_ZN7rocprim17ROCPRIM_400000_NS6detail17trampoline_kernelINS0_14default_configENS1_36segmented_radix_sort_config_selectorIhlEEZNS1_25segmented_radix_sort_implIS3_Lb0EPKhPhPKlPlN2at6native12_GLOBAL__N_18offset_tEEE10hipError_tPvRmT1_PNSt15iterator_traitsISK_E10value_typeET2_T3_PNSL_ISQ_E10value_typeET4_jRbjT5_SW_jjP12ihipStream_tbEUlT_E0_NS1_11comp_targetILNS1_3genE3ELNS1_11target_archE908ELNS1_3gpuE7ELNS1_3repE0EEENS1_60segmented_radix_sort_warp_sort_medium_config_static_selectorELNS0_4arch9wavefront6targetE0EEEvSK_: ; @_ZN7rocprim17ROCPRIM_400000_NS6detail17trampoline_kernelINS0_14default_configENS1_36segmented_radix_sort_config_selectorIhlEEZNS1_25segmented_radix_sort_implIS3_Lb0EPKhPhPKlPlN2at6native12_GLOBAL__N_18offset_tEEE10hipError_tPvRmT1_PNSt15iterator_traitsISK_E10value_typeET2_T3_PNSL_ISQ_E10value_typeET4_jRbjT5_SW_jjP12ihipStream_tbEUlT_E0_NS1_11comp_targetILNS1_3genE3ELNS1_11target_archE908ELNS1_3gpuE7ELNS1_3repE0EEENS1_60segmented_radix_sort_warp_sort_medium_config_static_selectorELNS0_4arch9wavefront6targetE0EEEvSK_
; %bb.0:
	.section	.rodata,"a",@progbits
	.p2align	6, 0x0
	.amdhsa_kernel _ZN7rocprim17ROCPRIM_400000_NS6detail17trampoline_kernelINS0_14default_configENS1_36segmented_radix_sort_config_selectorIhlEEZNS1_25segmented_radix_sort_implIS3_Lb0EPKhPhPKlPlN2at6native12_GLOBAL__N_18offset_tEEE10hipError_tPvRmT1_PNSt15iterator_traitsISK_E10value_typeET2_T3_PNSL_ISQ_E10value_typeET4_jRbjT5_SW_jjP12ihipStream_tbEUlT_E0_NS1_11comp_targetILNS1_3genE3ELNS1_11target_archE908ELNS1_3gpuE7ELNS1_3repE0EEENS1_60segmented_radix_sort_warp_sort_medium_config_static_selectorELNS0_4arch9wavefront6targetE0EEEvSK_
		.amdhsa_group_segment_fixed_size 0
		.amdhsa_private_segment_fixed_size 0
		.amdhsa_kernarg_size 88
		.amdhsa_user_sgpr_count 6
		.amdhsa_user_sgpr_private_segment_buffer 1
		.amdhsa_user_sgpr_dispatch_ptr 0
		.amdhsa_user_sgpr_queue_ptr 0
		.amdhsa_user_sgpr_kernarg_segment_ptr 1
		.amdhsa_user_sgpr_dispatch_id 0
		.amdhsa_user_sgpr_flat_scratch_init 0
		.amdhsa_user_sgpr_private_segment_size 0
		.amdhsa_wavefront_size32 1
		.amdhsa_uses_dynamic_stack 0
		.amdhsa_system_sgpr_private_segment_wavefront_offset 0
		.amdhsa_system_sgpr_workgroup_id_x 1
		.amdhsa_system_sgpr_workgroup_id_y 0
		.amdhsa_system_sgpr_workgroup_id_z 0
		.amdhsa_system_sgpr_workgroup_info 0
		.amdhsa_system_vgpr_workitem_id 0
		.amdhsa_next_free_vgpr 1
		.amdhsa_next_free_sgpr 1
		.amdhsa_reserve_vcc 0
		.amdhsa_reserve_flat_scratch 0
		.amdhsa_float_round_mode_32 0
		.amdhsa_float_round_mode_16_64 0
		.amdhsa_float_denorm_mode_32 3
		.amdhsa_float_denorm_mode_16_64 3
		.amdhsa_dx10_clamp 1
		.amdhsa_ieee_mode 1
		.amdhsa_fp16_overflow 0
		.amdhsa_workgroup_processor_mode 1
		.amdhsa_memory_ordered 1
		.amdhsa_forward_progress 1
		.amdhsa_shared_vgpr_count 0
		.amdhsa_exception_fp_ieee_invalid_op 0
		.amdhsa_exception_fp_denorm_src 0
		.amdhsa_exception_fp_ieee_div_zero 0
		.amdhsa_exception_fp_ieee_overflow 0
		.amdhsa_exception_fp_ieee_underflow 0
		.amdhsa_exception_fp_ieee_inexact 0
		.amdhsa_exception_int_div_zero 0
	.end_amdhsa_kernel
	.section	.text._ZN7rocprim17ROCPRIM_400000_NS6detail17trampoline_kernelINS0_14default_configENS1_36segmented_radix_sort_config_selectorIhlEEZNS1_25segmented_radix_sort_implIS3_Lb0EPKhPhPKlPlN2at6native12_GLOBAL__N_18offset_tEEE10hipError_tPvRmT1_PNSt15iterator_traitsISK_E10value_typeET2_T3_PNSL_ISQ_E10value_typeET4_jRbjT5_SW_jjP12ihipStream_tbEUlT_E0_NS1_11comp_targetILNS1_3genE3ELNS1_11target_archE908ELNS1_3gpuE7ELNS1_3repE0EEENS1_60segmented_radix_sort_warp_sort_medium_config_static_selectorELNS0_4arch9wavefront6targetE0EEEvSK_,"axG",@progbits,_ZN7rocprim17ROCPRIM_400000_NS6detail17trampoline_kernelINS0_14default_configENS1_36segmented_radix_sort_config_selectorIhlEEZNS1_25segmented_radix_sort_implIS3_Lb0EPKhPhPKlPlN2at6native12_GLOBAL__N_18offset_tEEE10hipError_tPvRmT1_PNSt15iterator_traitsISK_E10value_typeET2_T3_PNSL_ISQ_E10value_typeET4_jRbjT5_SW_jjP12ihipStream_tbEUlT_E0_NS1_11comp_targetILNS1_3genE3ELNS1_11target_archE908ELNS1_3gpuE7ELNS1_3repE0EEENS1_60segmented_radix_sort_warp_sort_medium_config_static_selectorELNS0_4arch9wavefront6targetE0EEEvSK_,comdat
.Lfunc_end198:
	.size	_ZN7rocprim17ROCPRIM_400000_NS6detail17trampoline_kernelINS0_14default_configENS1_36segmented_radix_sort_config_selectorIhlEEZNS1_25segmented_radix_sort_implIS3_Lb0EPKhPhPKlPlN2at6native12_GLOBAL__N_18offset_tEEE10hipError_tPvRmT1_PNSt15iterator_traitsISK_E10value_typeET2_T3_PNSL_ISQ_E10value_typeET4_jRbjT5_SW_jjP12ihipStream_tbEUlT_E0_NS1_11comp_targetILNS1_3genE3ELNS1_11target_archE908ELNS1_3gpuE7ELNS1_3repE0EEENS1_60segmented_radix_sort_warp_sort_medium_config_static_selectorELNS0_4arch9wavefront6targetE0EEEvSK_, .Lfunc_end198-_ZN7rocprim17ROCPRIM_400000_NS6detail17trampoline_kernelINS0_14default_configENS1_36segmented_radix_sort_config_selectorIhlEEZNS1_25segmented_radix_sort_implIS3_Lb0EPKhPhPKlPlN2at6native12_GLOBAL__N_18offset_tEEE10hipError_tPvRmT1_PNSt15iterator_traitsISK_E10value_typeET2_T3_PNSL_ISQ_E10value_typeET4_jRbjT5_SW_jjP12ihipStream_tbEUlT_E0_NS1_11comp_targetILNS1_3genE3ELNS1_11target_archE908ELNS1_3gpuE7ELNS1_3repE0EEENS1_60segmented_radix_sort_warp_sort_medium_config_static_selectorELNS0_4arch9wavefront6targetE0EEEvSK_
                                        ; -- End function
	.set _ZN7rocprim17ROCPRIM_400000_NS6detail17trampoline_kernelINS0_14default_configENS1_36segmented_radix_sort_config_selectorIhlEEZNS1_25segmented_radix_sort_implIS3_Lb0EPKhPhPKlPlN2at6native12_GLOBAL__N_18offset_tEEE10hipError_tPvRmT1_PNSt15iterator_traitsISK_E10value_typeET2_T3_PNSL_ISQ_E10value_typeET4_jRbjT5_SW_jjP12ihipStream_tbEUlT_E0_NS1_11comp_targetILNS1_3genE3ELNS1_11target_archE908ELNS1_3gpuE7ELNS1_3repE0EEENS1_60segmented_radix_sort_warp_sort_medium_config_static_selectorELNS0_4arch9wavefront6targetE0EEEvSK_.num_vgpr, 0
	.set _ZN7rocprim17ROCPRIM_400000_NS6detail17trampoline_kernelINS0_14default_configENS1_36segmented_radix_sort_config_selectorIhlEEZNS1_25segmented_radix_sort_implIS3_Lb0EPKhPhPKlPlN2at6native12_GLOBAL__N_18offset_tEEE10hipError_tPvRmT1_PNSt15iterator_traitsISK_E10value_typeET2_T3_PNSL_ISQ_E10value_typeET4_jRbjT5_SW_jjP12ihipStream_tbEUlT_E0_NS1_11comp_targetILNS1_3genE3ELNS1_11target_archE908ELNS1_3gpuE7ELNS1_3repE0EEENS1_60segmented_radix_sort_warp_sort_medium_config_static_selectorELNS0_4arch9wavefront6targetE0EEEvSK_.num_agpr, 0
	.set _ZN7rocprim17ROCPRIM_400000_NS6detail17trampoline_kernelINS0_14default_configENS1_36segmented_radix_sort_config_selectorIhlEEZNS1_25segmented_radix_sort_implIS3_Lb0EPKhPhPKlPlN2at6native12_GLOBAL__N_18offset_tEEE10hipError_tPvRmT1_PNSt15iterator_traitsISK_E10value_typeET2_T3_PNSL_ISQ_E10value_typeET4_jRbjT5_SW_jjP12ihipStream_tbEUlT_E0_NS1_11comp_targetILNS1_3genE3ELNS1_11target_archE908ELNS1_3gpuE7ELNS1_3repE0EEENS1_60segmented_radix_sort_warp_sort_medium_config_static_selectorELNS0_4arch9wavefront6targetE0EEEvSK_.numbered_sgpr, 0
	.set _ZN7rocprim17ROCPRIM_400000_NS6detail17trampoline_kernelINS0_14default_configENS1_36segmented_radix_sort_config_selectorIhlEEZNS1_25segmented_radix_sort_implIS3_Lb0EPKhPhPKlPlN2at6native12_GLOBAL__N_18offset_tEEE10hipError_tPvRmT1_PNSt15iterator_traitsISK_E10value_typeET2_T3_PNSL_ISQ_E10value_typeET4_jRbjT5_SW_jjP12ihipStream_tbEUlT_E0_NS1_11comp_targetILNS1_3genE3ELNS1_11target_archE908ELNS1_3gpuE7ELNS1_3repE0EEENS1_60segmented_radix_sort_warp_sort_medium_config_static_selectorELNS0_4arch9wavefront6targetE0EEEvSK_.num_named_barrier, 0
	.set _ZN7rocprim17ROCPRIM_400000_NS6detail17trampoline_kernelINS0_14default_configENS1_36segmented_radix_sort_config_selectorIhlEEZNS1_25segmented_radix_sort_implIS3_Lb0EPKhPhPKlPlN2at6native12_GLOBAL__N_18offset_tEEE10hipError_tPvRmT1_PNSt15iterator_traitsISK_E10value_typeET2_T3_PNSL_ISQ_E10value_typeET4_jRbjT5_SW_jjP12ihipStream_tbEUlT_E0_NS1_11comp_targetILNS1_3genE3ELNS1_11target_archE908ELNS1_3gpuE7ELNS1_3repE0EEENS1_60segmented_radix_sort_warp_sort_medium_config_static_selectorELNS0_4arch9wavefront6targetE0EEEvSK_.private_seg_size, 0
	.set _ZN7rocprim17ROCPRIM_400000_NS6detail17trampoline_kernelINS0_14default_configENS1_36segmented_radix_sort_config_selectorIhlEEZNS1_25segmented_radix_sort_implIS3_Lb0EPKhPhPKlPlN2at6native12_GLOBAL__N_18offset_tEEE10hipError_tPvRmT1_PNSt15iterator_traitsISK_E10value_typeET2_T3_PNSL_ISQ_E10value_typeET4_jRbjT5_SW_jjP12ihipStream_tbEUlT_E0_NS1_11comp_targetILNS1_3genE3ELNS1_11target_archE908ELNS1_3gpuE7ELNS1_3repE0EEENS1_60segmented_radix_sort_warp_sort_medium_config_static_selectorELNS0_4arch9wavefront6targetE0EEEvSK_.uses_vcc, 0
	.set _ZN7rocprim17ROCPRIM_400000_NS6detail17trampoline_kernelINS0_14default_configENS1_36segmented_radix_sort_config_selectorIhlEEZNS1_25segmented_radix_sort_implIS3_Lb0EPKhPhPKlPlN2at6native12_GLOBAL__N_18offset_tEEE10hipError_tPvRmT1_PNSt15iterator_traitsISK_E10value_typeET2_T3_PNSL_ISQ_E10value_typeET4_jRbjT5_SW_jjP12ihipStream_tbEUlT_E0_NS1_11comp_targetILNS1_3genE3ELNS1_11target_archE908ELNS1_3gpuE7ELNS1_3repE0EEENS1_60segmented_radix_sort_warp_sort_medium_config_static_selectorELNS0_4arch9wavefront6targetE0EEEvSK_.uses_flat_scratch, 0
	.set _ZN7rocprim17ROCPRIM_400000_NS6detail17trampoline_kernelINS0_14default_configENS1_36segmented_radix_sort_config_selectorIhlEEZNS1_25segmented_radix_sort_implIS3_Lb0EPKhPhPKlPlN2at6native12_GLOBAL__N_18offset_tEEE10hipError_tPvRmT1_PNSt15iterator_traitsISK_E10value_typeET2_T3_PNSL_ISQ_E10value_typeET4_jRbjT5_SW_jjP12ihipStream_tbEUlT_E0_NS1_11comp_targetILNS1_3genE3ELNS1_11target_archE908ELNS1_3gpuE7ELNS1_3repE0EEENS1_60segmented_radix_sort_warp_sort_medium_config_static_selectorELNS0_4arch9wavefront6targetE0EEEvSK_.has_dyn_sized_stack, 0
	.set _ZN7rocprim17ROCPRIM_400000_NS6detail17trampoline_kernelINS0_14default_configENS1_36segmented_radix_sort_config_selectorIhlEEZNS1_25segmented_radix_sort_implIS3_Lb0EPKhPhPKlPlN2at6native12_GLOBAL__N_18offset_tEEE10hipError_tPvRmT1_PNSt15iterator_traitsISK_E10value_typeET2_T3_PNSL_ISQ_E10value_typeET4_jRbjT5_SW_jjP12ihipStream_tbEUlT_E0_NS1_11comp_targetILNS1_3genE3ELNS1_11target_archE908ELNS1_3gpuE7ELNS1_3repE0EEENS1_60segmented_radix_sort_warp_sort_medium_config_static_selectorELNS0_4arch9wavefront6targetE0EEEvSK_.has_recursion, 0
	.set _ZN7rocprim17ROCPRIM_400000_NS6detail17trampoline_kernelINS0_14default_configENS1_36segmented_radix_sort_config_selectorIhlEEZNS1_25segmented_radix_sort_implIS3_Lb0EPKhPhPKlPlN2at6native12_GLOBAL__N_18offset_tEEE10hipError_tPvRmT1_PNSt15iterator_traitsISK_E10value_typeET2_T3_PNSL_ISQ_E10value_typeET4_jRbjT5_SW_jjP12ihipStream_tbEUlT_E0_NS1_11comp_targetILNS1_3genE3ELNS1_11target_archE908ELNS1_3gpuE7ELNS1_3repE0EEENS1_60segmented_radix_sort_warp_sort_medium_config_static_selectorELNS0_4arch9wavefront6targetE0EEEvSK_.has_indirect_call, 0
	.section	.AMDGPU.csdata,"",@progbits
; Kernel info:
; codeLenInByte = 0
; TotalNumSgprs: 0
; NumVgprs: 0
; ScratchSize: 0
; MemoryBound: 0
; FloatMode: 240
; IeeeMode: 1
; LDSByteSize: 0 bytes/workgroup (compile time only)
; SGPRBlocks: 0
; VGPRBlocks: 0
; NumSGPRsForWavesPerEU: 1
; NumVGPRsForWavesPerEU: 1
; Occupancy: 16
; WaveLimiterHint : 0
; COMPUTE_PGM_RSRC2:SCRATCH_EN: 0
; COMPUTE_PGM_RSRC2:USER_SGPR: 6
; COMPUTE_PGM_RSRC2:TRAP_HANDLER: 0
; COMPUTE_PGM_RSRC2:TGID_X_EN: 1
; COMPUTE_PGM_RSRC2:TGID_Y_EN: 0
; COMPUTE_PGM_RSRC2:TGID_Z_EN: 0
; COMPUTE_PGM_RSRC2:TIDIG_COMP_CNT: 0
	.section	.text._ZN7rocprim17ROCPRIM_400000_NS6detail17trampoline_kernelINS0_14default_configENS1_36segmented_radix_sort_config_selectorIhlEEZNS1_25segmented_radix_sort_implIS3_Lb0EPKhPhPKlPlN2at6native12_GLOBAL__N_18offset_tEEE10hipError_tPvRmT1_PNSt15iterator_traitsISK_E10value_typeET2_T3_PNSL_ISQ_E10value_typeET4_jRbjT5_SW_jjP12ihipStream_tbEUlT_E0_NS1_11comp_targetILNS1_3genE2ELNS1_11target_archE906ELNS1_3gpuE6ELNS1_3repE0EEENS1_60segmented_radix_sort_warp_sort_medium_config_static_selectorELNS0_4arch9wavefront6targetE0EEEvSK_,"axG",@progbits,_ZN7rocprim17ROCPRIM_400000_NS6detail17trampoline_kernelINS0_14default_configENS1_36segmented_radix_sort_config_selectorIhlEEZNS1_25segmented_radix_sort_implIS3_Lb0EPKhPhPKlPlN2at6native12_GLOBAL__N_18offset_tEEE10hipError_tPvRmT1_PNSt15iterator_traitsISK_E10value_typeET2_T3_PNSL_ISQ_E10value_typeET4_jRbjT5_SW_jjP12ihipStream_tbEUlT_E0_NS1_11comp_targetILNS1_3genE2ELNS1_11target_archE906ELNS1_3gpuE6ELNS1_3repE0EEENS1_60segmented_radix_sort_warp_sort_medium_config_static_selectorELNS0_4arch9wavefront6targetE0EEEvSK_,comdat
	.globl	_ZN7rocprim17ROCPRIM_400000_NS6detail17trampoline_kernelINS0_14default_configENS1_36segmented_radix_sort_config_selectorIhlEEZNS1_25segmented_radix_sort_implIS3_Lb0EPKhPhPKlPlN2at6native12_GLOBAL__N_18offset_tEEE10hipError_tPvRmT1_PNSt15iterator_traitsISK_E10value_typeET2_T3_PNSL_ISQ_E10value_typeET4_jRbjT5_SW_jjP12ihipStream_tbEUlT_E0_NS1_11comp_targetILNS1_3genE2ELNS1_11target_archE906ELNS1_3gpuE6ELNS1_3repE0EEENS1_60segmented_radix_sort_warp_sort_medium_config_static_selectorELNS0_4arch9wavefront6targetE0EEEvSK_ ; -- Begin function _ZN7rocprim17ROCPRIM_400000_NS6detail17trampoline_kernelINS0_14default_configENS1_36segmented_radix_sort_config_selectorIhlEEZNS1_25segmented_radix_sort_implIS3_Lb0EPKhPhPKlPlN2at6native12_GLOBAL__N_18offset_tEEE10hipError_tPvRmT1_PNSt15iterator_traitsISK_E10value_typeET2_T3_PNSL_ISQ_E10value_typeET4_jRbjT5_SW_jjP12ihipStream_tbEUlT_E0_NS1_11comp_targetILNS1_3genE2ELNS1_11target_archE906ELNS1_3gpuE6ELNS1_3repE0EEENS1_60segmented_radix_sort_warp_sort_medium_config_static_selectorELNS0_4arch9wavefront6targetE0EEEvSK_
	.p2align	8
	.type	_ZN7rocprim17ROCPRIM_400000_NS6detail17trampoline_kernelINS0_14default_configENS1_36segmented_radix_sort_config_selectorIhlEEZNS1_25segmented_radix_sort_implIS3_Lb0EPKhPhPKlPlN2at6native12_GLOBAL__N_18offset_tEEE10hipError_tPvRmT1_PNSt15iterator_traitsISK_E10value_typeET2_T3_PNSL_ISQ_E10value_typeET4_jRbjT5_SW_jjP12ihipStream_tbEUlT_E0_NS1_11comp_targetILNS1_3genE2ELNS1_11target_archE906ELNS1_3gpuE6ELNS1_3repE0EEENS1_60segmented_radix_sort_warp_sort_medium_config_static_selectorELNS0_4arch9wavefront6targetE0EEEvSK_,@function
_ZN7rocprim17ROCPRIM_400000_NS6detail17trampoline_kernelINS0_14default_configENS1_36segmented_radix_sort_config_selectorIhlEEZNS1_25segmented_radix_sort_implIS3_Lb0EPKhPhPKlPlN2at6native12_GLOBAL__N_18offset_tEEE10hipError_tPvRmT1_PNSt15iterator_traitsISK_E10value_typeET2_T3_PNSL_ISQ_E10value_typeET4_jRbjT5_SW_jjP12ihipStream_tbEUlT_E0_NS1_11comp_targetILNS1_3genE2ELNS1_11target_archE906ELNS1_3gpuE6ELNS1_3repE0EEENS1_60segmented_radix_sort_warp_sort_medium_config_static_selectorELNS0_4arch9wavefront6targetE0EEEvSK_: ; @_ZN7rocprim17ROCPRIM_400000_NS6detail17trampoline_kernelINS0_14default_configENS1_36segmented_radix_sort_config_selectorIhlEEZNS1_25segmented_radix_sort_implIS3_Lb0EPKhPhPKlPlN2at6native12_GLOBAL__N_18offset_tEEE10hipError_tPvRmT1_PNSt15iterator_traitsISK_E10value_typeET2_T3_PNSL_ISQ_E10value_typeET4_jRbjT5_SW_jjP12ihipStream_tbEUlT_E0_NS1_11comp_targetILNS1_3genE2ELNS1_11target_archE906ELNS1_3gpuE6ELNS1_3repE0EEENS1_60segmented_radix_sort_warp_sort_medium_config_static_selectorELNS0_4arch9wavefront6targetE0EEEvSK_
; %bb.0:
	.section	.rodata,"a",@progbits
	.p2align	6, 0x0
	.amdhsa_kernel _ZN7rocprim17ROCPRIM_400000_NS6detail17trampoline_kernelINS0_14default_configENS1_36segmented_radix_sort_config_selectorIhlEEZNS1_25segmented_radix_sort_implIS3_Lb0EPKhPhPKlPlN2at6native12_GLOBAL__N_18offset_tEEE10hipError_tPvRmT1_PNSt15iterator_traitsISK_E10value_typeET2_T3_PNSL_ISQ_E10value_typeET4_jRbjT5_SW_jjP12ihipStream_tbEUlT_E0_NS1_11comp_targetILNS1_3genE2ELNS1_11target_archE906ELNS1_3gpuE6ELNS1_3repE0EEENS1_60segmented_radix_sort_warp_sort_medium_config_static_selectorELNS0_4arch9wavefront6targetE0EEEvSK_
		.amdhsa_group_segment_fixed_size 0
		.amdhsa_private_segment_fixed_size 0
		.amdhsa_kernarg_size 88
		.amdhsa_user_sgpr_count 6
		.amdhsa_user_sgpr_private_segment_buffer 1
		.amdhsa_user_sgpr_dispatch_ptr 0
		.amdhsa_user_sgpr_queue_ptr 0
		.amdhsa_user_sgpr_kernarg_segment_ptr 1
		.amdhsa_user_sgpr_dispatch_id 0
		.amdhsa_user_sgpr_flat_scratch_init 0
		.amdhsa_user_sgpr_private_segment_size 0
		.amdhsa_wavefront_size32 1
		.amdhsa_uses_dynamic_stack 0
		.amdhsa_system_sgpr_private_segment_wavefront_offset 0
		.amdhsa_system_sgpr_workgroup_id_x 1
		.amdhsa_system_sgpr_workgroup_id_y 0
		.amdhsa_system_sgpr_workgroup_id_z 0
		.amdhsa_system_sgpr_workgroup_info 0
		.amdhsa_system_vgpr_workitem_id 0
		.amdhsa_next_free_vgpr 1
		.amdhsa_next_free_sgpr 1
		.amdhsa_reserve_vcc 0
		.amdhsa_reserve_flat_scratch 0
		.amdhsa_float_round_mode_32 0
		.amdhsa_float_round_mode_16_64 0
		.amdhsa_float_denorm_mode_32 3
		.amdhsa_float_denorm_mode_16_64 3
		.amdhsa_dx10_clamp 1
		.amdhsa_ieee_mode 1
		.amdhsa_fp16_overflow 0
		.amdhsa_workgroup_processor_mode 1
		.amdhsa_memory_ordered 1
		.amdhsa_forward_progress 1
		.amdhsa_shared_vgpr_count 0
		.amdhsa_exception_fp_ieee_invalid_op 0
		.amdhsa_exception_fp_denorm_src 0
		.amdhsa_exception_fp_ieee_div_zero 0
		.amdhsa_exception_fp_ieee_overflow 0
		.amdhsa_exception_fp_ieee_underflow 0
		.amdhsa_exception_fp_ieee_inexact 0
		.amdhsa_exception_int_div_zero 0
	.end_amdhsa_kernel
	.section	.text._ZN7rocprim17ROCPRIM_400000_NS6detail17trampoline_kernelINS0_14default_configENS1_36segmented_radix_sort_config_selectorIhlEEZNS1_25segmented_radix_sort_implIS3_Lb0EPKhPhPKlPlN2at6native12_GLOBAL__N_18offset_tEEE10hipError_tPvRmT1_PNSt15iterator_traitsISK_E10value_typeET2_T3_PNSL_ISQ_E10value_typeET4_jRbjT5_SW_jjP12ihipStream_tbEUlT_E0_NS1_11comp_targetILNS1_3genE2ELNS1_11target_archE906ELNS1_3gpuE6ELNS1_3repE0EEENS1_60segmented_radix_sort_warp_sort_medium_config_static_selectorELNS0_4arch9wavefront6targetE0EEEvSK_,"axG",@progbits,_ZN7rocprim17ROCPRIM_400000_NS6detail17trampoline_kernelINS0_14default_configENS1_36segmented_radix_sort_config_selectorIhlEEZNS1_25segmented_radix_sort_implIS3_Lb0EPKhPhPKlPlN2at6native12_GLOBAL__N_18offset_tEEE10hipError_tPvRmT1_PNSt15iterator_traitsISK_E10value_typeET2_T3_PNSL_ISQ_E10value_typeET4_jRbjT5_SW_jjP12ihipStream_tbEUlT_E0_NS1_11comp_targetILNS1_3genE2ELNS1_11target_archE906ELNS1_3gpuE6ELNS1_3repE0EEENS1_60segmented_radix_sort_warp_sort_medium_config_static_selectorELNS0_4arch9wavefront6targetE0EEEvSK_,comdat
.Lfunc_end199:
	.size	_ZN7rocprim17ROCPRIM_400000_NS6detail17trampoline_kernelINS0_14default_configENS1_36segmented_radix_sort_config_selectorIhlEEZNS1_25segmented_radix_sort_implIS3_Lb0EPKhPhPKlPlN2at6native12_GLOBAL__N_18offset_tEEE10hipError_tPvRmT1_PNSt15iterator_traitsISK_E10value_typeET2_T3_PNSL_ISQ_E10value_typeET4_jRbjT5_SW_jjP12ihipStream_tbEUlT_E0_NS1_11comp_targetILNS1_3genE2ELNS1_11target_archE906ELNS1_3gpuE6ELNS1_3repE0EEENS1_60segmented_radix_sort_warp_sort_medium_config_static_selectorELNS0_4arch9wavefront6targetE0EEEvSK_, .Lfunc_end199-_ZN7rocprim17ROCPRIM_400000_NS6detail17trampoline_kernelINS0_14default_configENS1_36segmented_radix_sort_config_selectorIhlEEZNS1_25segmented_radix_sort_implIS3_Lb0EPKhPhPKlPlN2at6native12_GLOBAL__N_18offset_tEEE10hipError_tPvRmT1_PNSt15iterator_traitsISK_E10value_typeET2_T3_PNSL_ISQ_E10value_typeET4_jRbjT5_SW_jjP12ihipStream_tbEUlT_E0_NS1_11comp_targetILNS1_3genE2ELNS1_11target_archE906ELNS1_3gpuE6ELNS1_3repE0EEENS1_60segmented_radix_sort_warp_sort_medium_config_static_selectorELNS0_4arch9wavefront6targetE0EEEvSK_
                                        ; -- End function
	.set _ZN7rocprim17ROCPRIM_400000_NS6detail17trampoline_kernelINS0_14default_configENS1_36segmented_radix_sort_config_selectorIhlEEZNS1_25segmented_radix_sort_implIS3_Lb0EPKhPhPKlPlN2at6native12_GLOBAL__N_18offset_tEEE10hipError_tPvRmT1_PNSt15iterator_traitsISK_E10value_typeET2_T3_PNSL_ISQ_E10value_typeET4_jRbjT5_SW_jjP12ihipStream_tbEUlT_E0_NS1_11comp_targetILNS1_3genE2ELNS1_11target_archE906ELNS1_3gpuE6ELNS1_3repE0EEENS1_60segmented_radix_sort_warp_sort_medium_config_static_selectorELNS0_4arch9wavefront6targetE0EEEvSK_.num_vgpr, 0
	.set _ZN7rocprim17ROCPRIM_400000_NS6detail17trampoline_kernelINS0_14default_configENS1_36segmented_radix_sort_config_selectorIhlEEZNS1_25segmented_radix_sort_implIS3_Lb0EPKhPhPKlPlN2at6native12_GLOBAL__N_18offset_tEEE10hipError_tPvRmT1_PNSt15iterator_traitsISK_E10value_typeET2_T3_PNSL_ISQ_E10value_typeET4_jRbjT5_SW_jjP12ihipStream_tbEUlT_E0_NS1_11comp_targetILNS1_3genE2ELNS1_11target_archE906ELNS1_3gpuE6ELNS1_3repE0EEENS1_60segmented_radix_sort_warp_sort_medium_config_static_selectorELNS0_4arch9wavefront6targetE0EEEvSK_.num_agpr, 0
	.set _ZN7rocprim17ROCPRIM_400000_NS6detail17trampoline_kernelINS0_14default_configENS1_36segmented_radix_sort_config_selectorIhlEEZNS1_25segmented_radix_sort_implIS3_Lb0EPKhPhPKlPlN2at6native12_GLOBAL__N_18offset_tEEE10hipError_tPvRmT1_PNSt15iterator_traitsISK_E10value_typeET2_T3_PNSL_ISQ_E10value_typeET4_jRbjT5_SW_jjP12ihipStream_tbEUlT_E0_NS1_11comp_targetILNS1_3genE2ELNS1_11target_archE906ELNS1_3gpuE6ELNS1_3repE0EEENS1_60segmented_radix_sort_warp_sort_medium_config_static_selectorELNS0_4arch9wavefront6targetE0EEEvSK_.numbered_sgpr, 0
	.set _ZN7rocprim17ROCPRIM_400000_NS6detail17trampoline_kernelINS0_14default_configENS1_36segmented_radix_sort_config_selectorIhlEEZNS1_25segmented_radix_sort_implIS3_Lb0EPKhPhPKlPlN2at6native12_GLOBAL__N_18offset_tEEE10hipError_tPvRmT1_PNSt15iterator_traitsISK_E10value_typeET2_T3_PNSL_ISQ_E10value_typeET4_jRbjT5_SW_jjP12ihipStream_tbEUlT_E0_NS1_11comp_targetILNS1_3genE2ELNS1_11target_archE906ELNS1_3gpuE6ELNS1_3repE0EEENS1_60segmented_radix_sort_warp_sort_medium_config_static_selectorELNS0_4arch9wavefront6targetE0EEEvSK_.num_named_barrier, 0
	.set _ZN7rocprim17ROCPRIM_400000_NS6detail17trampoline_kernelINS0_14default_configENS1_36segmented_radix_sort_config_selectorIhlEEZNS1_25segmented_radix_sort_implIS3_Lb0EPKhPhPKlPlN2at6native12_GLOBAL__N_18offset_tEEE10hipError_tPvRmT1_PNSt15iterator_traitsISK_E10value_typeET2_T3_PNSL_ISQ_E10value_typeET4_jRbjT5_SW_jjP12ihipStream_tbEUlT_E0_NS1_11comp_targetILNS1_3genE2ELNS1_11target_archE906ELNS1_3gpuE6ELNS1_3repE0EEENS1_60segmented_radix_sort_warp_sort_medium_config_static_selectorELNS0_4arch9wavefront6targetE0EEEvSK_.private_seg_size, 0
	.set _ZN7rocprim17ROCPRIM_400000_NS6detail17trampoline_kernelINS0_14default_configENS1_36segmented_radix_sort_config_selectorIhlEEZNS1_25segmented_radix_sort_implIS3_Lb0EPKhPhPKlPlN2at6native12_GLOBAL__N_18offset_tEEE10hipError_tPvRmT1_PNSt15iterator_traitsISK_E10value_typeET2_T3_PNSL_ISQ_E10value_typeET4_jRbjT5_SW_jjP12ihipStream_tbEUlT_E0_NS1_11comp_targetILNS1_3genE2ELNS1_11target_archE906ELNS1_3gpuE6ELNS1_3repE0EEENS1_60segmented_radix_sort_warp_sort_medium_config_static_selectorELNS0_4arch9wavefront6targetE0EEEvSK_.uses_vcc, 0
	.set _ZN7rocprim17ROCPRIM_400000_NS6detail17trampoline_kernelINS0_14default_configENS1_36segmented_radix_sort_config_selectorIhlEEZNS1_25segmented_radix_sort_implIS3_Lb0EPKhPhPKlPlN2at6native12_GLOBAL__N_18offset_tEEE10hipError_tPvRmT1_PNSt15iterator_traitsISK_E10value_typeET2_T3_PNSL_ISQ_E10value_typeET4_jRbjT5_SW_jjP12ihipStream_tbEUlT_E0_NS1_11comp_targetILNS1_3genE2ELNS1_11target_archE906ELNS1_3gpuE6ELNS1_3repE0EEENS1_60segmented_radix_sort_warp_sort_medium_config_static_selectorELNS0_4arch9wavefront6targetE0EEEvSK_.uses_flat_scratch, 0
	.set _ZN7rocprim17ROCPRIM_400000_NS6detail17trampoline_kernelINS0_14default_configENS1_36segmented_radix_sort_config_selectorIhlEEZNS1_25segmented_radix_sort_implIS3_Lb0EPKhPhPKlPlN2at6native12_GLOBAL__N_18offset_tEEE10hipError_tPvRmT1_PNSt15iterator_traitsISK_E10value_typeET2_T3_PNSL_ISQ_E10value_typeET4_jRbjT5_SW_jjP12ihipStream_tbEUlT_E0_NS1_11comp_targetILNS1_3genE2ELNS1_11target_archE906ELNS1_3gpuE6ELNS1_3repE0EEENS1_60segmented_radix_sort_warp_sort_medium_config_static_selectorELNS0_4arch9wavefront6targetE0EEEvSK_.has_dyn_sized_stack, 0
	.set _ZN7rocprim17ROCPRIM_400000_NS6detail17trampoline_kernelINS0_14default_configENS1_36segmented_radix_sort_config_selectorIhlEEZNS1_25segmented_radix_sort_implIS3_Lb0EPKhPhPKlPlN2at6native12_GLOBAL__N_18offset_tEEE10hipError_tPvRmT1_PNSt15iterator_traitsISK_E10value_typeET2_T3_PNSL_ISQ_E10value_typeET4_jRbjT5_SW_jjP12ihipStream_tbEUlT_E0_NS1_11comp_targetILNS1_3genE2ELNS1_11target_archE906ELNS1_3gpuE6ELNS1_3repE0EEENS1_60segmented_radix_sort_warp_sort_medium_config_static_selectorELNS0_4arch9wavefront6targetE0EEEvSK_.has_recursion, 0
	.set _ZN7rocprim17ROCPRIM_400000_NS6detail17trampoline_kernelINS0_14default_configENS1_36segmented_radix_sort_config_selectorIhlEEZNS1_25segmented_radix_sort_implIS3_Lb0EPKhPhPKlPlN2at6native12_GLOBAL__N_18offset_tEEE10hipError_tPvRmT1_PNSt15iterator_traitsISK_E10value_typeET2_T3_PNSL_ISQ_E10value_typeET4_jRbjT5_SW_jjP12ihipStream_tbEUlT_E0_NS1_11comp_targetILNS1_3genE2ELNS1_11target_archE906ELNS1_3gpuE6ELNS1_3repE0EEENS1_60segmented_radix_sort_warp_sort_medium_config_static_selectorELNS0_4arch9wavefront6targetE0EEEvSK_.has_indirect_call, 0
	.section	.AMDGPU.csdata,"",@progbits
; Kernel info:
; codeLenInByte = 0
; TotalNumSgprs: 0
; NumVgprs: 0
; ScratchSize: 0
; MemoryBound: 0
; FloatMode: 240
; IeeeMode: 1
; LDSByteSize: 0 bytes/workgroup (compile time only)
; SGPRBlocks: 0
; VGPRBlocks: 0
; NumSGPRsForWavesPerEU: 1
; NumVGPRsForWavesPerEU: 1
; Occupancy: 16
; WaveLimiterHint : 0
; COMPUTE_PGM_RSRC2:SCRATCH_EN: 0
; COMPUTE_PGM_RSRC2:USER_SGPR: 6
; COMPUTE_PGM_RSRC2:TRAP_HANDLER: 0
; COMPUTE_PGM_RSRC2:TGID_X_EN: 1
; COMPUTE_PGM_RSRC2:TGID_Y_EN: 0
; COMPUTE_PGM_RSRC2:TGID_Z_EN: 0
; COMPUTE_PGM_RSRC2:TIDIG_COMP_CNT: 0
	.section	.text._ZN7rocprim17ROCPRIM_400000_NS6detail17trampoline_kernelINS0_14default_configENS1_36segmented_radix_sort_config_selectorIhlEEZNS1_25segmented_radix_sort_implIS3_Lb0EPKhPhPKlPlN2at6native12_GLOBAL__N_18offset_tEEE10hipError_tPvRmT1_PNSt15iterator_traitsISK_E10value_typeET2_T3_PNSL_ISQ_E10value_typeET4_jRbjT5_SW_jjP12ihipStream_tbEUlT_E0_NS1_11comp_targetILNS1_3genE10ELNS1_11target_archE1201ELNS1_3gpuE5ELNS1_3repE0EEENS1_60segmented_radix_sort_warp_sort_medium_config_static_selectorELNS0_4arch9wavefront6targetE0EEEvSK_,"axG",@progbits,_ZN7rocprim17ROCPRIM_400000_NS6detail17trampoline_kernelINS0_14default_configENS1_36segmented_radix_sort_config_selectorIhlEEZNS1_25segmented_radix_sort_implIS3_Lb0EPKhPhPKlPlN2at6native12_GLOBAL__N_18offset_tEEE10hipError_tPvRmT1_PNSt15iterator_traitsISK_E10value_typeET2_T3_PNSL_ISQ_E10value_typeET4_jRbjT5_SW_jjP12ihipStream_tbEUlT_E0_NS1_11comp_targetILNS1_3genE10ELNS1_11target_archE1201ELNS1_3gpuE5ELNS1_3repE0EEENS1_60segmented_radix_sort_warp_sort_medium_config_static_selectorELNS0_4arch9wavefront6targetE0EEEvSK_,comdat
	.globl	_ZN7rocprim17ROCPRIM_400000_NS6detail17trampoline_kernelINS0_14default_configENS1_36segmented_radix_sort_config_selectorIhlEEZNS1_25segmented_radix_sort_implIS3_Lb0EPKhPhPKlPlN2at6native12_GLOBAL__N_18offset_tEEE10hipError_tPvRmT1_PNSt15iterator_traitsISK_E10value_typeET2_T3_PNSL_ISQ_E10value_typeET4_jRbjT5_SW_jjP12ihipStream_tbEUlT_E0_NS1_11comp_targetILNS1_3genE10ELNS1_11target_archE1201ELNS1_3gpuE5ELNS1_3repE0EEENS1_60segmented_radix_sort_warp_sort_medium_config_static_selectorELNS0_4arch9wavefront6targetE0EEEvSK_ ; -- Begin function _ZN7rocprim17ROCPRIM_400000_NS6detail17trampoline_kernelINS0_14default_configENS1_36segmented_radix_sort_config_selectorIhlEEZNS1_25segmented_radix_sort_implIS3_Lb0EPKhPhPKlPlN2at6native12_GLOBAL__N_18offset_tEEE10hipError_tPvRmT1_PNSt15iterator_traitsISK_E10value_typeET2_T3_PNSL_ISQ_E10value_typeET4_jRbjT5_SW_jjP12ihipStream_tbEUlT_E0_NS1_11comp_targetILNS1_3genE10ELNS1_11target_archE1201ELNS1_3gpuE5ELNS1_3repE0EEENS1_60segmented_radix_sort_warp_sort_medium_config_static_selectorELNS0_4arch9wavefront6targetE0EEEvSK_
	.p2align	8
	.type	_ZN7rocprim17ROCPRIM_400000_NS6detail17trampoline_kernelINS0_14default_configENS1_36segmented_radix_sort_config_selectorIhlEEZNS1_25segmented_radix_sort_implIS3_Lb0EPKhPhPKlPlN2at6native12_GLOBAL__N_18offset_tEEE10hipError_tPvRmT1_PNSt15iterator_traitsISK_E10value_typeET2_T3_PNSL_ISQ_E10value_typeET4_jRbjT5_SW_jjP12ihipStream_tbEUlT_E0_NS1_11comp_targetILNS1_3genE10ELNS1_11target_archE1201ELNS1_3gpuE5ELNS1_3repE0EEENS1_60segmented_radix_sort_warp_sort_medium_config_static_selectorELNS0_4arch9wavefront6targetE0EEEvSK_,@function
_ZN7rocprim17ROCPRIM_400000_NS6detail17trampoline_kernelINS0_14default_configENS1_36segmented_radix_sort_config_selectorIhlEEZNS1_25segmented_radix_sort_implIS3_Lb0EPKhPhPKlPlN2at6native12_GLOBAL__N_18offset_tEEE10hipError_tPvRmT1_PNSt15iterator_traitsISK_E10value_typeET2_T3_PNSL_ISQ_E10value_typeET4_jRbjT5_SW_jjP12ihipStream_tbEUlT_E0_NS1_11comp_targetILNS1_3genE10ELNS1_11target_archE1201ELNS1_3gpuE5ELNS1_3repE0EEENS1_60segmented_radix_sort_warp_sort_medium_config_static_selectorELNS0_4arch9wavefront6targetE0EEEvSK_: ; @_ZN7rocprim17ROCPRIM_400000_NS6detail17trampoline_kernelINS0_14default_configENS1_36segmented_radix_sort_config_selectorIhlEEZNS1_25segmented_radix_sort_implIS3_Lb0EPKhPhPKlPlN2at6native12_GLOBAL__N_18offset_tEEE10hipError_tPvRmT1_PNSt15iterator_traitsISK_E10value_typeET2_T3_PNSL_ISQ_E10value_typeET4_jRbjT5_SW_jjP12ihipStream_tbEUlT_E0_NS1_11comp_targetILNS1_3genE10ELNS1_11target_archE1201ELNS1_3gpuE5ELNS1_3repE0EEENS1_60segmented_radix_sort_warp_sort_medium_config_static_selectorELNS0_4arch9wavefront6targetE0EEEvSK_
; %bb.0:
	.section	.rodata,"a",@progbits
	.p2align	6, 0x0
	.amdhsa_kernel _ZN7rocprim17ROCPRIM_400000_NS6detail17trampoline_kernelINS0_14default_configENS1_36segmented_radix_sort_config_selectorIhlEEZNS1_25segmented_radix_sort_implIS3_Lb0EPKhPhPKlPlN2at6native12_GLOBAL__N_18offset_tEEE10hipError_tPvRmT1_PNSt15iterator_traitsISK_E10value_typeET2_T3_PNSL_ISQ_E10value_typeET4_jRbjT5_SW_jjP12ihipStream_tbEUlT_E0_NS1_11comp_targetILNS1_3genE10ELNS1_11target_archE1201ELNS1_3gpuE5ELNS1_3repE0EEENS1_60segmented_radix_sort_warp_sort_medium_config_static_selectorELNS0_4arch9wavefront6targetE0EEEvSK_
		.amdhsa_group_segment_fixed_size 0
		.amdhsa_private_segment_fixed_size 0
		.amdhsa_kernarg_size 88
		.amdhsa_user_sgpr_count 6
		.amdhsa_user_sgpr_private_segment_buffer 1
		.amdhsa_user_sgpr_dispatch_ptr 0
		.amdhsa_user_sgpr_queue_ptr 0
		.amdhsa_user_sgpr_kernarg_segment_ptr 1
		.amdhsa_user_sgpr_dispatch_id 0
		.amdhsa_user_sgpr_flat_scratch_init 0
		.amdhsa_user_sgpr_private_segment_size 0
		.amdhsa_wavefront_size32 1
		.amdhsa_uses_dynamic_stack 0
		.amdhsa_system_sgpr_private_segment_wavefront_offset 0
		.amdhsa_system_sgpr_workgroup_id_x 1
		.amdhsa_system_sgpr_workgroup_id_y 0
		.amdhsa_system_sgpr_workgroup_id_z 0
		.amdhsa_system_sgpr_workgroup_info 0
		.amdhsa_system_vgpr_workitem_id 0
		.amdhsa_next_free_vgpr 1
		.amdhsa_next_free_sgpr 1
		.amdhsa_reserve_vcc 0
		.amdhsa_reserve_flat_scratch 0
		.amdhsa_float_round_mode_32 0
		.amdhsa_float_round_mode_16_64 0
		.amdhsa_float_denorm_mode_32 3
		.amdhsa_float_denorm_mode_16_64 3
		.amdhsa_dx10_clamp 1
		.amdhsa_ieee_mode 1
		.amdhsa_fp16_overflow 0
		.amdhsa_workgroup_processor_mode 1
		.amdhsa_memory_ordered 1
		.amdhsa_forward_progress 1
		.amdhsa_shared_vgpr_count 0
		.amdhsa_exception_fp_ieee_invalid_op 0
		.amdhsa_exception_fp_denorm_src 0
		.amdhsa_exception_fp_ieee_div_zero 0
		.amdhsa_exception_fp_ieee_overflow 0
		.amdhsa_exception_fp_ieee_underflow 0
		.amdhsa_exception_fp_ieee_inexact 0
		.amdhsa_exception_int_div_zero 0
	.end_amdhsa_kernel
	.section	.text._ZN7rocprim17ROCPRIM_400000_NS6detail17trampoline_kernelINS0_14default_configENS1_36segmented_radix_sort_config_selectorIhlEEZNS1_25segmented_radix_sort_implIS3_Lb0EPKhPhPKlPlN2at6native12_GLOBAL__N_18offset_tEEE10hipError_tPvRmT1_PNSt15iterator_traitsISK_E10value_typeET2_T3_PNSL_ISQ_E10value_typeET4_jRbjT5_SW_jjP12ihipStream_tbEUlT_E0_NS1_11comp_targetILNS1_3genE10ELNS1_11target_archE1201ELNS1_3gpuE5ELNS1_3repE0EEENS1_60segmented_radix_sort_warp_sort_medium_config_static_selectorELNS0_4arch9wavefront6targetE0EEEvSK_,"axG",@progbits,_ZN7rocprim17ROCPRIM_400000_NS6detail17trampoline_kernelINS0_14default_configENS1_36segmented_radix_sort_config_selectorIhlEEZNS1_25segmented_radix_sort_implIS3_Lb0EPKhPhPKlPlN2at6native12_GLOBAL__N_18offset_tEEE10hipError_tPvRmT1_PNSt15iterator_traitsISK_E10value_typeET2_T3_PNSL_ISQ_E10value_typeET4_jRbjT5_SW_jjP12ihipStream_tbEUlT_E0_NS1_11comp_targetILNS1_3genE10ELNS1_11target_archE1201ELNS1_3gpuE5ELNS1_3repE0EEENS1_60segmented_radix_sort_warp_sort_medium_config_static_selectorELNS0_4arch9wavefront6targetE0EEEvSK_,comdat
.Lfunc_end200:
	.size	_ZN7rocprim17ROCPRIM_400000_NS6detail17trampoline_kernelINS0_14default_configENS1_36segmented_radix_sort_config_selectorIhlEEZNS1_25segmented_radix_sort_implIS3_Lb0EPKhPhPKlPlN2at6native12_GLOBAL__N_18offset_tEEE10hipError_tPvRmT1_PNSt15iterator_traitsISK_E10value_typeET2_T3_PNSL_ISQ_E10value_typeET4_jRbjT5_SW_jjP12ihipStream_tbEUlT_E0_NS1_11comp_targetILNS1_3genE10ELNS1_11target_archE1201ELNS1_3gpuE5ELNS1_3repE0EEENS1_60segmented_radix_sort_warp_sort_medium_config_static_selectorELNS0_4arch9wavefront6targetE0EEEvSK_, .Lfunc_end200-_ZN7rocprim17ROCPRIM_400000_NS6detail17trampoline_kernelINS0_14default_configENS1_36segmented_radix_sort_config_selectorIhlEEZNS1_25segmented_radix_sort_implIS3_Lb0EPKhPhPKlPlN2at6native12_GLOBAL__N_18offset_tEEE10hipError_tPvRmT1_PNSt15iterator_traitsISK_E10value_typeET2_T3_PNSL_ISQ_E10value_typeET4_jRbjT5_SW_jjP12ihipStream_tbEUlT_E0_NS1_11comp_targetILNS1_3genE10ELNS1_11target_archE1201ELNS1_3gpuE5ELNS1_3repE0EEENS1_60segmented_radix_sort_warp_sort_medium_config_static_selectorELNS0_4arch9wavefront6targetE0EEEvSK_
                                        ; -- End function
	.set _ZN7rocprim17ROCPRIM_400000_NS6detail17trampoline_kernelINS0_14default_configENS1_36segmented_radix_sort_config_selectorIhlEEZNS1_25segmented_radix_sort_implIS3_Lb0EPKhPhPKlPlN2at6native12_GLOBAL__N_18offset_tEEE10hipError_tPvRmT1_PNSt15iterator_traitsISK_E10value_typeET2_T3_PNSL_ISQ_E10value_typeET4_jRbjT5_SW_jjP12ihipStream_tbEUlT_E0_NS1_11comp_targetILNS1_3genE10ELNS1_11target_archE1201ELNS1_3gpuE5ELNS1_3repE0EEENS1_60segmented_radix_sort_warp_sort_medium_config_static_selectorELNS0_4arch9wavefront6targetE0EEEvSK_.num_vgpr, 0
	.set _ZN7rocprim17ROCPRIM_400000_NS6detail17trampoline_kernelINS0_14default_configENS1_36segmented_radix_sort_config_selectorIhlEEZNS1_25segmented_radix_sort_implIS3_Lb0EPKhPhPKlPlN2at6native12_GLOBAL__N_18offset_tEEE10hipError_tPvRmT1_PNSt15iterator_traitsISK_E10value_typeET2_T3_PNSL_ISQ_E10value_typeET4_jRbjT5_SW_jjP12ihipStream_tbEUlT_E0_NS1_11comp_targetILNS1_3genE10ELNS1_11target_archE1201ELNS1_3gpuE5ELNS1_3repE0EEENS1_60segmented_radix_sort_warp_sort_medium_config_static_selectorELNS0_4arch9wavefront6targetE0EEEvSK_.num_agpr, 0
	.set _ZN7rocprim17ROCPRIM_400000_NS6detail17trampoline_kernelINS0_14default_configENS1_36segmented_radix_sort_config_selectorIhlEEZNS1_25segmented_radix_sort_implIS3_Lb0EPKhPhPKlPlN2at6native12_GLOBAL__N_18offset_tEEE10hipError_tPvRmT1_PNSt15iterator_traitsISK_E10value_typeET2_T3_PNSL_ISQ_E10value_typeET4_jRbjT5_SW_jjP12ihipStream_tbEUlT_E0_NS1_11comp_targetILNS1_3genE10ELNS1_11target_archE1201ELNS1_3gpuE5ELNS1_3repE0EEENS1_60segmented_radix_sort_warp_sort_medium_config_static_selectorELNS0_4arch9wavefront6targetE0EEEvSK_.numbered_sgpr, 0
	.set _ZN7rocprim17ROCPRIM_400000_NS6detail17trampoline_kernelINS0_14default_configENS1_36segmented_radix_sort_config_selectorIhlEEZNS1_25segmented_radix_sort_implIS3_Lb0EPKhPhPKlPlN2at6native12_GLOBAL__N_18offset_tEEE10hipError_tPvRmT1_PNSt15iterator_traitsISK_E10value_typeET2_T3_PNSL_ISQ_E10value_typeET4_jRbjT5_SW_jjP12ihipStream_tbEUlT_E0_NS1_11comp_targetILNS1_3genE10ELNS1_11target_archE1201ELNS1_3gpuE5ELNS1_3repE0EEENS1_60segmented_radix_sort_warp_sort_medium_config_static_selectorELNS0_4arch9wavefront6targetE0EEEvSK_.num_named_barrier, 0
	.set _ZN7rocprim17ROCPRIM_400000_NS6detail17trampoline_kernelINS0_14default_configENS1_36segmented_radix_sort_config_selectorIhlEEZNS1_25segmented_radix_sort_implIS3_Lb0EPKhPhPKlPlN2at6native12_GLOBAL__N_18offset_tEEE10hipError_tPvRmT1_PNSt15iterator_traitsISK_E10value_typeET2_T3_PNSL_ISQ_E10value_typeET4_jRbjT5_SW_jjP12ihipStream_tbEUlT_E0_NS1_11comp_targetILNS1_3genE10ELNS1_11target_archE1201ELNS1_3gpuE5ELNS1_3repE0EEENS1_60segmented_radix_sort_warp_sort_medium_config_static_selectorELNS0_4arch9wavefront6targetE0EEEvSK_.private_seg_size, 0
	.set _ZN7rocprim17ROCPRIM_400000_NS6detail17trampoline_kernelINS0_14default_configENS1_36segmented_radix_sort_config_selectorIhlEEZNS1_25segmented_radix_sort_implIS3_Lb0EPKhPhPKlPlN2at6native12_GLOBAL__N_18offset_tEEE10hipError_tPvRmT1_PNSt15iterator_traitsISK_E10value_typeET2_T3_PNSL_ISQ_E10value_typeET4_jRbjT5_SW_jjP12ihipStream_tbEUlT_E0_NS1_11comp_targetILNS1_3genE10ELNS1_11target_archE1201ELNS1_3gpuE5ELNS1_3repE0EEENS1_60segmented_radix_sort_warp_sort_medium_config_static_selectorELNS0_4arch9wavefront6targetE0EEEvSK_.uses_vcc, 0
	.set _ZN7rocprim17ROCPRIM_400000_NS6detail17trampoline_kernelINS0_14default_configENS1_36segmented_radix_sort_config_selectorIhlEEZNS1_25segmented_radix_sort_implIS3_Lb0EPKhPhPKlPlN2at6native12_GLOBAL__N_18offset_tEEE10hipError_tPvRmT1_PNSt15iterator_traitsISK_E10value_typeET2_T3_PNSL_ISQ_E10value_typeET4_jRbjT5_SW_jjP12ihipStream_tbEUlT_E0_NS1_11comp_targetILNS1_3genE10ELNS1_11target_archE1201ELNS1_3gpuE5ELNS1_3repE0EEENS1_60segmented_radix_sort_warp_sort_medium_config_static_selectorELNS0_4arch9wavefront6targetE0EEEvSK_.uses_flat_scratch, 0
	.set _ZN7rocprim17ROCPRIM_400000_NS6detail17trampoline_kernelINS0_14default_configENS1_36segmented_radix_sort_config_selectorIhlEEZNS1_25segmented_radix_sort_implIS3_Lb0EPKhPhPKlPlN2at6native12_GLOBAL__N_18offset_tEEE10hipError_tPvRmT1_PNSt15iterator_traitsISK_E10value_typeET2_T3_PNSL_ISQ_E10value_typeET4_jRbjT5_SW_jjP12ihipStream_tbEUlT_E0_NS1_11comp_targetILNS1_3genE10ELNS1_11target_archE1201ELNS1_3gpuE5ELNS1_3repE0EEENS1_60segmented_radix_sort_warp_sort_medium_config_static_selectorELNS0_4arch9wavefront6targetE0EEEvSK_.has_dyn_sized_stack, 0
	.set _ZN7rocprim17ROCPRIM_400000_NS6detail17trampoline_kernelINS0_14default_configENS1_36segmented_radix_sort_config_selectorIhlEEZNS1_25segmented_radix_sort_implIS3_Lb0EPKhPhPKlPlN2at6native12_GLOBAL__N_18offset_tEEE10hipError_tPvRmT1_PNSt15iterator_traitsISK_E10value_typeET2_T3_PNSL_ISQ_E10value_typeET4_jRbjT5_SW_jjP12ihipStream_tbEUlT_E0_NS1_11comp_targetILNS1_3genE10ELNS1_11target_archE1201ELNS1_3gpuE5ELNS1_3repE0EEENS1_60segmented_radix_sort_warp_sort_medium_config_static_selectorELNS0_4arch9wavefront6targetE0EEEvSK_.has_recursion, 0
	.set _ZN7rocprim17ROCPRIM_400000_NS6detail17trampoline_kernelINS0_14default_configENS1_36segmented_radix_sort_config_selectorIhlEEZNS1_25segmented_radix_sort_implIS3_Lb0EPKhPhPKlPlN2at6native12_GLOBAL__N_18offset_tEEE10hipError_tPvRmT1_PNSt15iterator_traitsISK_E10value_typeET2_T3_PNSL_ISQ_E10value_typeET4_jRbjT5_SW_jjP12ihipStream_tbEUlT_E0_NS1_11comp_targetILNS1_3genE10ELNS1_11target_archE1201ELNS1_3gpuE5ELNS1_3repE0EEENS1_60segmented_radix_sort_warp_sort_medium_config_static_selectorELNS0_4arch9wavefront6targetE0EEEvSK_.has_indirect_call, 0
	.section	.AMDGPU.csdata,"",@progbits
; Kernel info:
; codeLenInByte = 0
; TotalNumSgprs: 0
; NumVgprs: 0
; ScratchSize: 0
; MemoryBound: 0
; FloatMode: 240
; IeeeMode: 1
; LDSByteSize: 0 bytes/workgroup (compile time only)
; SGPRBlocks: 0
; VGPRBlocks: 0
; NumSGPRsForWavesPerEU: 1
; NumVGPRsForWavesPerEU: 1
; Occupancy: 16
; WaveLimiterHint : 0
; COMPUTE_PGM_RSRC2:SCRATCH_EN: 0
; COMPUTE_PGM_RSRC2:USER_SGPR: 6
; COMPUTE_PGM_RSRC2:TRAP_HANDLER: 0
; COMPUTE_PGM_RSRC2:TGID_X_EN: 1
; COMPUTE_PGM_RSRC2:TGID_Y_EN: 0
; COMPUTE_PGM_RSRC2:TGID_Z_EN: 0
; COMPUTE_PGM_RSRC2:TIDIG_COMP_CNT: 0
	.section	.text._ZN7rocprim17ROCPRIM_400000_NS6detail17trampoline_kernelINS0_14default_configENS1_36segmented_radix_sort_config_selectorIhlEEZNS1_25segmented_radix_sort_implIS3_Lb0EPKhPhPKlPlN2at6native12_GLOBAL__N_18offset_tEEE10hipError_tPvRmT1_PNSt15iterator_traitsISK_E10value_typeET2_T3_PNSL_ISQ_E10value_typeET4_jRbjT5_SW_jjP12ihipStream_tbEUlT_E0_NS1_11comp_targetILNS1_3genE10ELNS1_11target_archE1200ELNS1_3gpuE4ELNS1_3repE0EEENS1_60segmented_radix_sort_warp_sort_medium_config_static_selectorELNS0_4arch9wavefront6targetE0EEEvSK_,"axG",@progbits,_ZN7rocprim17ROCPRIM_400000_NS6detail17trampoline_kernelINS0_14default_configENS1_36segmented_radix_sort_config_selectorIhlEEZNS1_25segmented_radix_sort_implIS3_Lb0EPKhPhPKlPlN2at6native12_GLOBAL__N_18offset_tEEE10hipError_tPvRmT1_PNSt15iterator_traitsISK_E10value_typeET2_T3_PNSL_ISQ_E10value_typeET4_jRbjT5_SW_jjP12ihipStream_tbEUlT_E0_NS1_11comp_targetILNS1_3genE10ELNS1_11target_archE1200ELNS1_3gpuE4ELNS1_3repE0EEENS1_60segmented_radix_sort_warp_sort_medium_config_static_selectorELNS0_4arch9wavefront6targetE0EEEvSK_,comdat
	.globl	_ZN7rocprim17ROCPRIM_400000_NS6detail17trampoline_kernelINS0_14default_configENS1_36segmented_radix_sort_config_selectorIhlEEZNS1_25segmented_radix_sort_implIS3_Lb0EPKhPhPKlPlN2at6native12_GLOBAL__N_18offset_tEEE10hipError_tPvRmT1_PNSt15iterator_traitsISK_E10value_typeET2_T3_PNSL_ISQ_E10value_typeET4_jRbjT5_SW_jjP12ihipStream_tbEUlT_E0_NS1_11comp_targetILNS1_3genE10ELNS1_11target_archE1200ELNS1_3gpuE4ELNS1_3repE0EEENS1_60segmented_radix_sort_warp_sort_medium_config_static_selectorELNS0_4arch9wavefront6targetE0EEEvSK_ ; -- Begin function _ZN7rocprim17ROCPRIM_400000_NS6detail17trampoline_kernelINS0_14default_configENS1_36segmented_radix_sort_config_selectorIhlEEZNS1_25segmented_radix_sort_implIS3_Lb0EPKhPhPKlPlN2at6native12_GLOBAL__N_18offset_tEEE10hipError_tPvRmT1_PNSt15iterator_traitsISK_E10value_typeET2_T3_PNSL_ISQ_E10value_typeET4_jRbjT5_SW_jjP12ihipStream_tbEUlT_E0_NS1_11comp_targetILNS1_3genE10ELNS1_11target_archE1200ELNS1_3gpuE4ELNS1_3repE0EEENS1_60segmented_radix_sort_warp_sort_medium_config_static_selectorELNS0_4arch9wavefront6targetE0EEEvSK_
	.p2align	8
	.type	_ZN7rocprim17ROCPRIM_400000_NS6detail17trampoline_kernelINS0_14default_configENS1_36segmented_radix_sort_config_selectorIhlEEZNS1_25segmented_radix_sort_implIS3_Lb0EPKhPhPKlPlN2at6native12_GLOBAL__N_18offset_tEEE10hipError_tPvRmT1_PNSt15iterator_traitsISK_E10value_typeET2_T3_PNSL_ISQ_E10value_typeET4_jRbjT5_SW_jjP12ihipStream_tbEUlT_E0_NS1_11comp_targetILNS1_3genE10ELNS1_11target_archE1200ELNS1_3gpuE4ELNS1_3repE0EEENS1_60segmented_radix_sort_warp_sort_medium_config_static_selectorELNS0_4arch9wavefront6targetE0EEEvSK_,@function
_ZN7rocprim17ROCPRIM_400000_NS6detail17trampoline_kernelINS0_14default_configENS1_36segmented_radix_sort_config_selectorIhlEEZNS1_25segmented_radix_sort_implIS3_Lb0EPKhPhPKlPlN2at6native12_GLOBAL__N_18offset_tEEE10hipError_tPvRmT1_PNSt15iterator_traitsISK_E10value_typeET2_T3_PNSL_ISQ_E10value_typeET4_jRbjT5_SW_jjP12ihipStream_tbEUlT_E0_NS1_11comp_targetILNS1_3genE10ELNS1_11target_archE1200ELNS1_3gpuE4ELNS1_3repE0EEENS1_60segmented_radix_sort_warp_sort_medium_config_static_selectorELNS0_4arch9wavefront6targetE0EEEvSK_: ; @_ZN7rocprim17ROCPRIM_400000_NS6detail17trampoline_kernelINS0_14default_configENS1_36segmented_radix_sort_config_selectorIhlEEZNS1_25segmented_radix_sort_implIS3_Lb0EPKhPhPKlPlN2at6native12_GLOBAL__N_18offset_tEEE10hipError_tPvRmT1_PNSt15iterator_traitsISK_E10value_typeET2_T3_PNSL_ISQ_E10value_typeET4_jRbjT5_SW_jjP12ihipStream_tbEUlT_E0_NS1_11comp_targetILNS1_3genE10ELNS1_11target_archE1200ELNS1_3gpuE4ELNS1_3repE0EEENS1_60segmented_radix_sort_warp_sort_medium_config_static_selectorELNS0_4arch9wavefront6targetE0EEEvSK_
; %bb.0:
	.section	.rodata,"a",@progbits
	.p2align	6, 0x0
	.amdhsa_kernel _ZN7rocprim17ROCPRIM_400000_NS6detail17trampoline_kernelINS0_14default_configENS1_36segmented_radix_sort_config_selectorIhlEEZNS1_25segmented_radix_sort_implIS3_Lb0EPKhPhPKlPlN2at6native12_GLOBAL__N_18offset_tEEE10hipError_tPvRmT1_PNSt15iterator_traitsISK_E10value_typeET2_T3_PNSL_ISQ_E10value_typeET4_jRbjT5_SW_jjP12ihipStream_tbEUlT_E0_NS1_11comp_targetILNS1_3genE10ELNS1_11target_archE1200ELNS1_3gpuE4ELNS1_3repE0EEENS1_60segmented_radix_sort_warp_sort_medium_config_static_selectorELNS0_4arch9wavefront6targetE0EEEvSK_
		.amdhsa_group_segment_fixed_size 0
		.amdhsa_private_segment_fixed_size 0
		.amdhsa_kernarg_size 88
		.amdhsa_user_sgpr_count 6
		.amdhsa_user_sgpr_private_segment_buffer 1
		.amdhsa_user_sgpr_dispatch_ptr 0
		.amdhsa_user_sgpr_queue_ptr 0
		.amdhsa_user_sgpr_kernarg_segment_ptr 1
		.amdhsa_user_sgpr_dispatch_id 0
		.amdhsa_user_sgpr_flat_scratch_init 0
		.amdhsa_user_sgpr_private_segment_size 0
		.amdhsa_wavefront_size32 1
		.amdhsa_uses_dynamic_stack 0
		.amdhsa_system_sgpr_private_segment_wavefront_offset 0
		.amdhsa_system_sgpr_workgroup_id_x 1
		.amdhsa_system_sgpr_workgroup_id_y 0
		.amdhsa_system_sgpr_workgroup_id_z 0
		.amdhsa_system_sgpr_workgroup_info 0
		.amdhsa_system_vgpr_workitem_id 0
		.amdhsa_next_free_vgpr 1
		.amdhsa_next_free_sgpr 1
		.amdhsa_reserve_vcc 0
		.amdhsa_reserve_flat_scratch 0
		.amdhsa_float_round_mode_32 0
		.amdhsa_float_round_mode_16_64 0
		.amdhsa_float_denorm_mode_32 3
		.amdhsa_float_denorm_mode_16_64 3
		.amdhsa_dx10_clamp 1
		.amdhsa_ieee_mode 1
		.amdhsa_fp16_overflow 0
		.amdhsa_workgroup_processor_mode 1
		.amdhsa_memory_ordered 1
		.amdhsa_forward_progress 1
		.amdhsa_shared_vgpr_count 0
		.amdhsa_exception_fp_ieee_invalid_op 0
		.amdhsa_exception_fp_denorm_src 0
		.amdhsa_exception_fp_ieee_div_zero 0
		.amdhsa_exception_fp_ieee_overflow 0
		.amdhsa_exception_fp_ieee_underflow 0
		.amdhsa_exception_fp_ieee_inexact 0
		.amdhsa_exception_int_div_zero 0
	.end_amdhsa_kernel
	.section	.text._ZN7rocprim17ROCPRIM_400000_NS6detail17trampoline_kernelINS0_14default_configENS1_36segmented_radix_sort_config_selectorIhlEEZNS1_25segmented_radix_sort_implIS3_Lb0EPKhPhPKlPlN2at6native12_GLOBAL__N_18offset_tEEE10hipError_tPvRmT1_PNSt15iterator_traitsISK_E10value_typeET2_T3_PNSL_ISQ_E10value_typeET4_jRbjT5_SW_jjP12ihipStream_tbEUlT_E0_NS1_11comp_targetILNS1_3genE10ELNS1_11target_archE1200ELNS1_3gpuE4ELNS1_3repE0EEENS1_60segmented_radix_sort_warp_sort_medium_config_static_selectorELNS0_4arch9wavefront6targetE0EEEvSK_,"axG",@progbits,_ZN7rocprim17ROCPRIM_400000_NS6detail17trampoline_kernelINS0_14default_configENS1_36segmented_radix_sort_config_selectorIhlEEZNS1_25segmented_radix_sort_implIS3_Lb0EPKhPhPKlPlN2at6native12_GLOBAL__N_18offset_tEEE10hipError_tPvRmT1_PNSt15iterator_traitsISK_E10value_typeET2_T3_PNSL_ISQ_E10value_typeET4_jRbjT5_SW_jjP12ihipStream_tbEUlT_E0_NS1_11comp_targetILNS1_3genE10ELNS1_11target_archE1200ELNS1_3gpuE4ELNS1_3repE0EEENS1_60segmented_radix_sort_warp_sort_medium_config_static_selectorELNS0_4arch9wavefront6targetE0EEEvSK_,comdat
.Lfunc_end201:
	.size	_ZN7rocprim17ROCPRIM_400000_NS6detail17trampoline_kernelINS0_14default_configENS1_36segmented_radix_sort_config_selectorIhlEEZNS1_25segmented_radix_sort_implIS3_Lb0EPKhPhPKlPlN2at6native12_GLOBAL__N_18offset_tEEE10hipError_tPvRmT1_PNSt15iterator_traitsISK_E10value_typeET2_T3_PNSL_ISQ_E10value_typeET4_jRbjT5_SW_jjP12ihipStream_tbEUlT_E0_NS1_11comp_targetILNS1_3genE10ELNS1_11target_archE1200ELNS1_3gpuE4ELNS1_3repE0EEENS1_60segmented_radix_sort_warp_sort_medium_config_static_selectorELNS0_4arch9wavefront6targetE0EEEvSK_, .Lfunc_end201-_ZN7rocprim17ROCPRIM_400000_NS6detail17trampoline_kernelINS0_14default_configENS1_36segmented_radix_sort_config_selectorIhlEEZNS1_25segmented_radix_sort_implIS3_Lb0EPKhPhPKlPlN2at6native12_GLOBAL__N_18offset_tEEE10hipError_tPvRmT1_PNSt15iterator_traitsISK_E10value_typeET2_T3_PNSL_ISQ_E10value_typeET4_jRbjT5_SW_jjP12ihipStream_tbEUlT_E0_NS1_11comp_targetILNS1_3genE10ELNS1_11target_archE1200ELNS1_3gpuE4ELNS1_3repE0EEENS1_60segmented_radix_sort_warp_sort_medium_config_static_selectorELNS0_4arch9wavefront6targetE0EEEvSK_
                                        ; -- End function
	.set _ZN7rocprim17ROCPRIM_400000_NS6detail17trampoline_kernelINS0_14default_configENS1_36segmented_radix_sort_config_selectorIhlEEZNS1_25segmented_radix_sort_implIS3_Lb0EPKhPhPKlPlN2at6native12_GLOBAL__N_18offset_tEEE10hipError_tPvRmT1_PNSt15iterator_traitsISK_E10value_typeET2_T3_PNSL_ISQ_E10value_typeET4_jRbjT5_SW_jjP12ihipStream_tbEUlT_E0_NS1_11comp_targetILNS1_3genE10ELNS1_11target_archE1200ELNS1_3gpuE4ELNS1_3repE0EEENS1_60segmented_radix_sort_warp_sort_medium_config_static_selectorELNS0_4arch9wavefront6targetE0EEEvSK_.num_vgpr, 0
	.set _ZN7rocprim17ROCPRIM_400000_NS6detail17trampoline_kernelINS0_14default_configENS1_36segmented_radix_sort_config_selectorIhlEEZNS1_25segmented_radix_sort_implIS3_Lb0EPKhPhPKlPlN2at6native12_GLOBAL__N_18offset_tEEE10hipError_tPvRmT1_PNSt15iterator_traitsISK_E10value_typeET2_T3_PNSL_ISQ_E10value_typeET4_jRbjT5_SW_jjP12ihipStream_tbEUlT_E0_NS1_11comp_targetILNS1_3genE10ELNS1_11target_archE1200ELNS1_3gpuE4ELNS1_3repE0EEENS1_60segmented_radix_sort_warp_sort_medium_config_static_selectorELNS0_4arch9wavefront6targetE0EEEvSK_.num_agpr, 0
	.set _ZN7rocprim17ROCPRIM_400000_NS6detail17trampoline_kernelINS0_14default_configENS1_36segmented_radix_sort_config_selectorIhlEEZNS1_25segmented_radix_sort_implIS3_Lb0EPKhPhPKlPlN2at6native12_GLOBAL__N_18offset_tEEE10hipError_tPvRmT1_PNSt15iterator_traitsISK_E10value_typeET2_T3_PNSL_ISQ_E10value_typeET4_jRbjT5_SW_jjP12ihipStream_tbEUlT_E0_NS1_11comp_targetILNS1_3genE10ELNS1_11target_archE1200ELNS1_3gpuE4ELNS1_3repE0EEENS1_60segmented_radix_sort_warp_sort_medium_config_static_selectorELNS0_4arch9wavefront6targetE0EEEvSK_.numbered_sgpr, 0
	.set _ZN7rocprim17ROCPRIM_400000_NS6detail17trampoline_kernelINS0_14default_configENS1_36segmented_radix_sort_config_selectorIhlEEZNS1_25segmented_radix_sort_implIS3_Lb0EPKhPhPKlPlN2at6native12_GLOBAL__N_18offset_tEEE10hipError_tPvRmT1_PNSt15iterator_traitsISK_E10value_typeET2_T3_PNSL_ISQ_E10value_typeET4_jRbjT5_SW_jjP12ihipStream_tbEUlT_E0_NS1_11comp_targetILNS1_3genE10ELNS1_11target_archE1200ELNS1_3gpuE4ELNS1_3repE0EEENS1_60segmented_radix_sort_warp_sort_medium_config_static_selectorELNS0_4arch9wavefront6targetE0EEEvSK_.num_named_barrier, 0
	.set _ZN7rocprim17ROCPRIM_400000_NS6detail17trampoline_kernelINS0_14default_configENS1_36segmented_radix_sort_config_selectorIhlEEZNS1_25segmented_radix_sort_implIS3_Lb0EPKhPhPKlPlN2at6native12_GLOBAL__N_18offset_tEEE10hipError_tPvRmT1_PNSt15iterator_traitsISK_E10value_typeET2_T3_PNSL_ISQ_E10value_typeET4_jRbjT5_SW_jjP12ihipStream_tbEUlT_E0_NS1_11comp_targetILNS1_3genE10ELNS1_11target_archE1200ELNS1_3gpuE4ELNS1_3repE0EEENS1_60segmented_radix_sort_warp_sort_medium_config_static_selectorELNS0_4arch9wavefront6targetE0EEEvSK_.private_seg_size, 0
	.set _ZN7rocprim17ROCPRIM_400000_NS6detail17trampoline_kernelINS0_14default_configENS1_36segmented_radix_sort_config_selectorIhlEEZNS1_25segmented_radix_sort_implIS3_Lb0EPKhPhPKlPlN2at6native12_GLOBAL__N_18offset_tEEE10hipError_tPvRmT1_PNSt15iterator_traitsISK_E10value_typeET2_T3_PNSL_ISQ_E10value_typeET4_jRbjT5_SW_jjP12ihipStream_tbEUlT_E0_NS1_11comp_targetILNS1_3genE10ELNS1_11target_archE1200ELNS1_3gpuE4ELNS1_3repE0EEENS1_60segmented_radix_sort_warp_sort_medium_config_static_selectorELNS0_4arch9wavefront6targetE0EEEvSK_.uses_vcc, 0
	.set _ZN7rocprim17ROCPRIM_400000_NS6detail17trampoline_kernelINS0_14default_configENS1_36segmented_radix_sort_config_selectorIhlEEZNS1_25segmented_radix_sort_implIS3_Lb0EPKhPhPKlPlN2at6native12_GLOBAL__N_18offset_tEEE10hipError_tPvRmT1_PNSt15iterator_traitsISK_E10value_typeET2_T3_PNSL_ISQ_E10value_typeET4_jRbjT5_SW_jjP12ihipStream_tbEUlT_E0_NS1_11comp_targetILNS1_3genE10ELNS1_11target_archE1200ELNS1_3gpuE4ELNS1_3repE0EEENS1_60segmented_radix_sort_warp_sort_medium_config_static_selectorELNS0_4arch9wavefront6targetE0EEEvSK_.uses_flat_scratch, 0
	.set _ZN7rocprim17ROCPRIM_400000_NS6detail17trampoline_kernelINS0_14default_configENS1_36segmented_radix_sort_config_selectorIhlEEZNS1_25segmented_radix_sort_implIS3_Lb0EPKhPhPKlPlN2at6native12_GLOBAL__N_18offset_tEEE10hipError_tPvRmT1_PNSt15iterator_traitsISK_E10value_typeET2_T3_PNSL_ISQ_E10value_typeET4_jRbjT5_SW_jjP12ihipStream_tbEUlT_E0_NS1_11comp_targetILNS1_3genE10ELNS1_11target_archE1200ELNS1_3gpuE4ELNS1_3repE0EEENS1_60segmented_radix_sort_warp_sort_medium_config_static_selectorELNS0_4arch9wavefront6targetE0EEEvSK_.has_dyn_sized_stack, 0
	.set _ZN7rocprim17ROCPRIM_400000_NS6detail17trampoline_kernelINS0_14default_configENS1_36segmented_radix_sort_config_selectorIhlEEZNS1_25segmented_radix_sort_implIS3_Lb0EPKhPhPKlPlN2at6native12_GLOBAL__N_18offset_tEEE10hipError_tPvRmT1_PNSt15iterator_traitsISK_E10value_typeET2_T3_PNSL_ISQ_E10value_typeET4_jRbjT5_SW_jjP12ihipStream_tbEUlT_E0_NS1_11comp_targetILNS1_3genE10ELNS1_11target_archE1200ELNS1_3gpuE4ELNS1_3repE0EEENS1_60segmented_radix_sort_warp_sort_medium_config_static_selectorELNS0_4arch9wavefront6targetE0EEEvSK_.has_recursion, 0
	.set _ZN7rocprim17ROCPRIM_400000_NS6detail17trampoline_kernelINS0_14default_configENS1_36segmented_radix_sort_config_selectorIhlEEZNS1_25segmented_radix_sort_implIS3_Lb0EPKhPhPKlPlN2at6native12_GLOBAL__N_18offset_tEEE10hipError_tPvRmT1_PNSt15iterator_traitsISK_E10value_typeET2_T3_PNSL_ISQ_E10value_typeET4_jRbjT5_SW_jjP12ihipStream_tbEUlT_E0_NS1_11comp_targetILNS1_3genE10ELNS1_11target_archE1200ELNS1_3gpuE4ELNS1_3repE0EEENS1_60segmented_radix_sort_warp_sort_medium_config_static_selectorELNS0_4arch9wavefront6targetE0EEEvSK_.has_indirect_call, 0
	.section	.AMDGPU.csdata,"",@progbits
; Kernel info:
; codeLenInByte = 0
; TotalNumSgprs: 0
; NumVgprs: 0
; ScratchSize: 0
; MemoryBound: 0
; FloatMode: 240
; IeeeMode: 1
; LDSByteSize: 0 bytes/workgroup (compile time only)
; SGPRBlocks: 0
; VGPRBlocks: 0
; NumSGPRsForWavesPerEU: 1
; NumVGPRsForWavesPerEU: 1
; Occupancy: 16
; WaveLimiterHint : 0
; COMPUTE_PGM_RSRC2:SCRATCH_EN: 0
; COMPUTE_PGM_RSRC2:USER_SGPR: 6
; COMPUTE_PGM_RSRC2:TRAP_HANDLER: 0
; COMPUTE_PGM_RSRC2:TGID_X_EN: 1
; COMPUTE_PGM_RSRC2:TGID_Y_EN: 0
; COMPUTE_PGM_RSRC2:TGID_Z_EN: 0
; COMPUTE_PGM_RSRC2:TIDIG_COMP_CNT: 0
	.section	.text._ZN7rocprim17ROCPRIM_400000_NS6detail17trampoline_kernelINS0_14default_configENS1_36segmented_radix_sort_config_selectorIhlEEZNS1_25segmented_radix_sort_implIS3_Lb0EPKhPhPKlPlN2at6native12_GLOBAL__N_18offset_tEEE10hipError_tPvRmT1_PNSt15iterator_traitsISK_E10value_typeET2_T3_PNSL_ISQ_E10value_typeET4_jRbjT5_SW_jjP12ihipStream_tbEUlT_E0_NS1_11comp_targetILNS1_3genE9ELNS1_11target_archE1100ELNS1_3gpuE3ELNS1_3repE0EEENS1_60segmented_radix_sort_warp_sort_medium_config_static_selectorELNS0_4arch9wavefront6targetE0EEEvSK_,"axG",@progbits,_ZN7rocprim17ROCPRIM_400000_NS6detail17trampoline_kernelINS0_14default_configENS1_36segmented_radix_sort_config_selectorIhlEEZNS1_25segmented_radix_sort_implIS3_Lb0EPKhPhPKlPlN2at6native12_GLOBAL__N_18offset_tEEE10hipError_tPvRmT1_PNSt15iterator_traitsISK_E10value_typeET2_T3_PNSL_ISQ_E10value_typeET4_jRbjT5_SW_jjP12ihipStream_tbEUlT_E0_NS1_11comp_targetILNS1_3genE9ELNS1_11target_archE1100ELNS1_3gpuE3ELNS1_3repE0EEENS1_60segmented_radix_sort_warp_sort_medium_config_static_selectorELNS0_4arch9wavefront6targetE0EEEvSK_,comdat
	.globl	_ZN7rocprim17ROCPRIM_400000_NS6detail17trampoline_kernelINS0_14default_configENS1_36segmented_radix_sort_config_selectorIhlEEZNS1_25segmented_radix_sort_implIS3_Lb0EPKhPhPKlPlN2at6native12_GLOBAL__N_18offset_tEEE10hipError_tPvRmT1_PNSt15iterator_traitsISK_E10value_typeET2_T3_PNSL_ISQ_E10value_typeET4_jRbjT5_SW_jjP12ihipStream_tbEUlT_E0_NS1_11comp_targetILNS1_3genE9ELNS1_11target_archE1100ELNS1_3gpuE3ELNS1_3repE0EEENS1_60segmented_radix_sort_warp_sort_medium_config_static_selectorELNS0_4arch9wavefront6targetE0EEEvSK_ ; -- Begin function _ZN7rocprim17ROCPRIM_400000_NS6detail17trampoline_kernelINS0_14default_configENS1_36segmented_radix_sort_config_selectorIhlEEZNS1_25segmented_radix_sort_implIS3_Lb0EPKhPhPKlPlN2at6native12_GLOBAL__N_18offset_tEEE10hipError_tPvRmT1_PNSt15iterator_traitsISK_E10value_typeET2_T3_PNSL_ISQ_E10value_typeET4_jRbjT5_SW_jjP12ihipStream_tbEUlT_E0_NS1_11comp_targetILNS1_3genE9ELNS1_11target_archE1100ELNS1_3gpuE3ELNS1_3repE0EEENS1_60segmented_radix_sort_warp_sort_medium_config_static_selectorELNS0_4arch9wavefront6targetE0EEEvSK_
	.p2align	8
	.type	_ZN7rocprim17ROCPRIM_400000_NS6detail17trampoline_kernelINS0_14default_configENS1_36segmented_radix_sort_config_selectorIhlEEZNS1_25segmented_radix_sort_implIS3_Lb0EPKhPhPKlPlN2at6native12_GLOBAL__N_18offset_tEEE10hipError_tPvRmT1_PNSt15iterator_traitsISK_E10value_typeET2_T3_PNSL_ISQ_E10value_typeET4_jRbjT5_SW_jjP12ihipStream_tbEUlT_E0_NS1_11comp_targetILNS1_3genE9ELNS1_11target_archE1100ELNS1_3gpuE3ELNS1_3repE0EEENS1_60segmented_radix_sort_warp_sort_medium_config_static_selectorELNS0_4arch9wavefront6targetE0EEEvSK_,@function
_ZN7rocprim17ROCPRIM_400000_NS6detail17trampoline_kernelINS0_14default_configENS1_36segmented_radix_sort_config_selectorIhlEEZNS1_25segmented_radix_sort_implIS3_Lb0EPKhPhPKlPlN2at6native12_GLOBAL__N_18offset_tEEE10hipError_tPvRmT1_PNSt15iterator_traitsISK_E10value_typeET2_T3_PNSL_ISQ_E10value_typeET4_jRbjT5_SW_jjP12ihipStream_tbEUlT_E0_NS1_11comp_targetILNS1_3genE9ELNS1_11target_archE1100ELNS1_3gpuE3ELNS1_3repE0EEENS1_60segmented_radix_sort_warp_sort_medium_config_static_selectorELNS0_4arch9wavefront6targetE0EEEvSK_: ; @_ZN7rocprim17ROCPRIM_400000_NS6detail17trampoline_kernelINS0_14default_configENS1_36segmented_radix_sort_config_selectorIhlEEZNS1_25segmented_radix_sort_implIS3_Lb0EPKhPhPKlPlN2at6native12_GLOBAL__N_18offset_tEEE10hipError_tPvRmT1_PNSt15iterator_traitsISK_E10value_typeET2_T3_PNSL_ISQ_E10value_typeET4_jRbjT5_SW_jjP12ihipStream_tbEUlT_E0_NS1_11comp_targetILNS1_3genE9ELNS1_11target_archE1100ELNS1_3gpuE3ELNS1_3repE0EEENS1_60segmented_radix_sort_warp_sort_medium_config_static_selectorELNS0_4arch9wavefront6targetE0EEEvSK_
; %bb.0:
	.section	.rodata,"a",@progbits
	.p2align	6, 0x0
	.amdhsa_kernel _ZN7rocprim17ROCPRIM_400000_NS6detail17trampoline_kernelINS0_14default_configENS1_36segmented_radix_sort_config_selectorIhlEEZNS1_25segmented_radix_sort_implIS3_Lb0EPKhPhPKlPlN2at6native12_GLOBAL__N_18offset_tEEE10hipError_tPvRmT1_PNSt15iterator_traitsISK_E10value_typeET2_T3_PNSL_ISQ_E10value_typeET4_jRbjT5_SW_jjP12ihipStream_tbEUlT_E0_NS1_11comp_targetILNS1_3genE9ELNS1_11target_archE1100ELNS1_3gpuE3ELNS1_3repE0EEENS1_60segmented_radix_sort_warp_sort_medium_config_static_selectorELNS0_4arch9wavefront6targetE0EEEvSK_
		.amdhsa_group_segment_fixed_size 0
		.amdhsa_private_segment_fixed_size 0
		.amdhsa_kernarg_size 88
		.amdhsa_user_sgpr_count 6
		.amdhsa_user_sgpr_private_segment_buffer 1
		.amdhsa_user_sgpr_dispatch_ptr 0
		.amdhsa_user_sgpr_queue_ptr 0
		.amdhsa_user_sgpr_kernarg_segment_ptr 1
		.amdhsa_user_sgpr_dispatch_id 0
		.amdhsa_user_sgpr_flat_scratch_init 0
		.amdhsa_user_sgpr_private_segment_size 0
		.amdhsa_wavefront_size32 1
		.amdhsa_uses_dynamic_stack 0
		.amdhsa_system_sgpr_private_segment_wavefront_offset 0
		.amdhsa_system_sgpr_workgroup_id_x 1
		.amdhsa_system_sgpr_workgroup_id_y 0
		.amdhsa_system_sgpr_workgroup_id_z 0
		.amdhsa_system_sgpr_workgroup_info 0
		.amdhsa_system_vgpr_workitem_id 0
		.amdhsa_next_free_vgpr 1
		.amdhsa_next_free_sgpr 1
		.amdhsa_reserve_vcc 0
		.amdhsa_reserve_flat_scratch 0
		.amdhsa_float_round_mode_32 0
		.amdhsa_float_round_mode_16_64 0
		.amdhsa_float_denorm_mode_32 3
		.amdhsa_float_denorm_mode_16_64 3
		.amdhsa_dx10_clamp 1
		.amdhsa_ieee_mode 1
		.amdhsa_fp16_overflow 0
		.amdhsa_workgroup_processor_mode 1
		.amdhsa_memory_ordered 1
		.amdhsa_forward_progress 1
		.amdhsa_shared_vgpr_count 0
		.amdhsa_exception_fp_ieee_invalid_op 0
		.amdhsa_exception_fp_denorm_src 0
		.amdhsa_exception_fp_ieee_div_zero 0
		.amdhsa_exception_fp_ieee_overflow 0
		.amdhsa_exception_fp_ieee_underflow 0
		.amdhsa_exception_fp_ieee_inexact 0
		.amdhsa_exception_int_div_zero 0
	.end_amdhsa_kernel
	.section	.text._ZN7rocprim17ROCPRIM_400000_NS6detail17trampoline_kernelINS0_14default_configENS1_36segmented_radix_sort_config_selectorIhlEEZNS1_25segmented_radix_sort_implIS3_Lb0EPKhPhPKlPlN2at6native12_GLOBAL__N_18offset_tEEE10hipError_tPvRmT1_PNSt15iterator_traitsISK_E10value_typeET2_T3_PNSL_ISQ_E10value_typeET4_jRbjT5_SW_jjP12ihipStream_tbEUlT_E0_NS1_11comp_targetILNS1_3genE9ELNS1_11target_archE1100ELNS1_3gpuE3ELNS1_3repE0EEENS1_60segmented_radix_sort_warp_sort_medium_config_static_selectorELNS0_4arch9wavefront6targetE0EEEvSK_,"axG",@progbits,_ZN7rocprim17ROCPRIM_400000_NS6detail17trampoline_kernelINS0_14default_configENS1_36segmented_radix_sort_config_selectorIhlEEZNS1_25segmented_radix_sort_implIS3_Lb0EPKhPhPKlPlN2at6native12_GLOBAL__N_18offset_tEEE10hipError_tPvRmT1_PNSt15iterator_traitsISK_E10value_typeET2_T3_PNSL_ISQ_E10value_typeET4_jRbjT5_SW_jjP12ihipStream_tbEUlT_E0_NS1_11comp_targetILNS1_3genE9ELNS1_11target_archE1100ELNS1_3gpuE3ELNS1_3repE0EEENS1_60segmented_radix_sort_warp_sort_medium_config_static_selectorELNS0_4arch9wavefront6targetE0EEEvSK_,comdat
.Lfunc_end202:
	.size	_ZN7rocprim17ROCPRIM_400000_NS6detail17trampoline_kernelINS0_14default_configENS1_36segmented_radix_sort_config_selectorIhlEEZNS1_25segmented_radix_sort_implIS3_Lb0EPKhPhPKlPlN2at6native12_GLOBAL__N_18offset_tEEE10hipError_tPvRmT1_PNSt15iterator_traitsISK_E10value_typeET2_T3_PNSL_ISQ_E10value_typeET4_jRbjT5_SW_jjP12ihipStream_tbEUlT_E0_NS1_11comp_targetILNS1_3genE9ELNS1_11target_archE1100ELNS1_3gpuE3ELNS1_3repE0EEENS1_60segmented_radix_sort_warp_sort_medium_config_static_selectorELNS0_4arch9wavefront6targetE0EEEvSK_, .Lfunc_end202-_ZN7rocprim17ROCPRIM_400000_NS6detail17trampoline_kernelINS0_14default_configENS1_36segmented_radix_sort_config_selectorIhlEEZNS1_25segmented_radix_sort_implIS3_Lb0EPKhPhPKlPlN2at6native12_GLOBAL__N_18offset_tEEE10hipError_tPvRmT1_PNSt15iterator_traitsISK_E10value_typeET2_T3_PNSL_ISQ_E10value_typeET4_jRbjT5_SW_jjP12ihipStream_tbEUlT_E0_NS1_11comp_targetILNS1_3genE9ELNS1_11target_archE1100ELNS1_3gpuE3ELNS1_3repE0EEENS1_60segmented_radix_sort_warp_sort_medium_config_static_selectorELNS0_4arch9wavefront6targetE0EEEvSK_
                                        ; -- End function
	.set _ZN7rocprim17ROCPRIM_400000_NS6detail17trampoline_kernelINS0_14default_configENS1_36segmented_radix_sort_config_selectorIhlEEZNS1_25segmented_radix_sort_implIS3_Lb0EPKhPhPKlPlN2at6native12_GLOBAL__N_18offset_tEEE10hipError_tPvRmT1_PNSt15iterator_traitsISK_E10value_typeET2_T3_PNSL_ISQ_E10value_typeET4_jRbjT5_SW_jjP12ihipStream_tbEUlT_E0_NS1_11comp_targetILNS1_3genE9ELNS1_11target_archE1100ELNS1_3gpuE3ELNS1_3repE0EEENS1_60segmented_radix_sort_warp_sort_medium_config_static_selectorELNS0_4arch9wavefront6targetE0EEEvSK_.num_vgpr, 0
	.set _ZN7rocprim17ROCPRIM_400000_NS6detail17trampoline_kernelINS0_14default_configENS1_36segmented_radix_sort_config_selectorIhlEEZNS1_25segmented_radix_sort_implIS3_Lb0EPKhPhPKlPlN2at6native12_GLOBAL__N_18offset_tEEE10hipError_tPvRmT1_PNSt15iterator_traitsISK_E10value_typeET2_T3_PNSL_ISQ_E10value_typeET4_jRbjT5_SW_jjP12ihipStream_tbEUlT_E0_NS1_11comp_targetILNS1_3genE9ELNS1_11target_archE1100ELNS1_3gpuE3ELNS1_3repE0EEENS1_60segmented_radix_sort_warp_sort_medium_config_static_selectorELNS0_4arch9wavefront6targetE0EEEvSK_.num_agpr, 0
	.set _ZN7rocprim17ROCPRIM_400000_NS6detail17trampoline_kernelINS0_14default_configENS1_36segmented_radix_sort_config_selectorIhlEEZNS1_25segmented_radix_sort_implIS3_Lb0EPKhPhPKlPlN2at6native12_GLOBAL__N_18offset_tEEE10hipError_tPvRmT1_PNSt15iterator_traitsISK_E10value_typeET2_T3_PNSL_ISQ_E10value_typeET4_jRbjT5_SW_jjP12ihipStream_tbEUlT_E0_NS1_11comp_targetILNS1_3genE9ELNS1_11target_archE1100ELNS1_3gpuE3ELNS1_3repE0EEENS1_60segmented_radix_sort_warp_sort_medium_config_static_selectorELNS0_4arch9wavefront6targetE0EEEvSK_.numbered_sgpr, 0
	.set _ZN7rocprim17ROCPRIM_400000_NS6detail17trampoline_kernelINS0_14default_configENS1_36segmented_radix_sort_config_selectorIhlEEZNS1_25segmented_radix_sort_implIS3_Lb0EPKhPhPKlPlN2at6native12_GLOBAL__N_18offset_tEEE10hipError_tPvRmT1_PNSt15iterator_traitsISK_E10value_typeET2_T3_PNSL_ISQ_E10value_typeET4_jRbjT5_SW_jjP12ihipStream_tbEUlT_E0_NS1_11comp_targetILNS1_3genE9ELNS1_11target_archE1100ELNS1_3gpuE3ELNS1_3repE0EEENS1_60segmented_radix_sort_warp_sort_medium_config_static_selectorELNS0_4arch9wavefront6targetE0EEEvSK_.num_named_barrier, 0
	.set _ZN7rocprim17ROCPRIM_400000_NS6detail17trampoline_kernelINS0_14default_configENS1_36segmented_radix_sort_config_selectorIhlEEZNS1_25segmented_radix_sort_implIS3_Lb0EPKhPhPKlPlN2at6native12_GLOBAL__N_18offset_tEEE10hipError_tPvRmT1_PNSt15iterator_traitsISK_E10value_typeET2_T3_PNSL_ISQ_E10value_typeET4_jRbjT5_SW_jjP12ihipStream_tbEUlT_E0_NS1_11comp_targetILNS1_3genE9ELNS1_11target_archE1100ELNS1_3gpuE3ELNS1_3repE0EEENS1_60segmented_radix_sort_warp_sort_medium_config_static_selectorELNS0_4arch9wavefront6targetE0EEEvSK_.private_seg_size, 0
	.set _ZN7rocprim17ROCPRIM_400000_NS6detail17trampoline_kernelINS0_14default_configENS1_36segmented_radix_sort_config_selectorIhlEEZNS1_25segmented_radix_sort_implIS3_Lb0EPKhPhPKlPlN2at6native12_GLOBAL__N_18offset_tEEE10hipError_tPvRmT1_PNSt15iterator_traitsISK_E10value_typeET2_T3_PNSL_ISQ_E10value_typeET4_jRbjT5_SW_jjP12ihipStream_tbEUlT_E0_NS1_11comp_targetILNS1_3genE9ELNS1_11target_archE1100ELNS1_3gpuE3ELNS1_3repE0EEENS1_60segmented_radix_sort_warp_sort_medium_config_static_selectorELNS0_4arch9wavefront6targetE0EEEvSK_.uses_vcc, 0
	.set _ZN7rocprim17ROCPRIM_400000_NS6detail17trampoline_kernelINS0_14default_configENS1_36segmented_radix_sort_config_selectorIhlEEZNS1_25segmented_radix_sort_implIS3_Lb0EPKhPhPKlPlN2at6native12_GLOBAL__N_18offset_tEEE10hipError_tPvRmT1_PNSt15iterator_traitsISK_E10value_typeET2_T3_PNSL_ISQ_E10value_typeET4_jRbjT5_SW_jjP12ihipStream_tbEUlT_E0_NS1_11comp_targetILNS1_3genE9ELNS1_11target_archE1100ELNS1_3gpuE3ELNS1_3repE0EEENS1_60segmented_radix_sort_warp_sort_medium_config_static_selectorELNS0_4arch9wavefront6targetE0EEEvSK_.uses_flat_scratch, 0
	.set _ZN7rocprim17ROCPRIM_400000_NS6detail17trampoline_kernelINS0_14default_configENS1_36segmented_radix_sort_config_selectorIhlEEZNS1_25segmented_radix_sort_implIS3_Lb0EPKhPhPKlPlN2at6native12_GLOBAL__N_18offset_tEEE10hipError_tPvRmT1_PNSt15iterator_traitsISK_E10value_typeET2_T3_PNSL_ISQ_E10value_typeET4_jRbjT5_SW_jjP12ihipStream_tbEUlT_E0_NS1_11comp_targetILNS1_3genE9ELNS1_11target_archE1100ELNS1_3gpuE3ELNS1_3repE0EEENS1_60segmented_radix_sort_warp_sort_medium_config_static_selectorELNS0_4arch9wavefront6targetE0EEEvSK_.has_dyn_sized_stack, 0
	.set _ZN7rocprim17ROCPRIM_400000_NS6detail17trampoline_kernelINS0_14default_configENS1_36segmented_radix_sort_config_selectorIhlEEZNS1_25segmented_radix_sort_implIS3_Lb0EPKhPhPKlPlN2at6native12_GLOBAL__N_18offset_tEEE10hipError_tPvRmT1_PNSt15iterator_traitsISK_E10value_typeET2_T3_PNSL_ISQ_E10value_typeET4_jRbjT5_SW_jjP12ihipStream_tbEUlT_E0_NS1_11comp_targetILNS1_3genE9ELNS1_11target_archE1100ELNS1_3gpuE3ELNS1_3repE0EEENS1_60segmented_radix_sort_warp_sort_medium_config_static_selectorELNS0_4arch9wavefront6targetE0EEEvSK_.has_recursion, 0
	.set _ZN7rocprim17ROCPRIM_400000_NS6detail17trampoline_kernelINS0_14default_configENS1_36segmented_radix_sort_config_selectorIhlEEZNS1_25segmented_radix_sort_implIS3_Lb0EPKhPhPKlPlN2at6native12_GLOBAL__N_18offset_tEEE10hipError_tPvRmT1_PNSt15iterator_traitsISK_E10value_typeET2_T3_PNSL_ISQ_E10value_typeET4_jRbjT5_SW_jjP12ihipStream_tbEUlT_E0_NS1_11comp_targetILNS1_3genE9ELNS1_11target_archE1100ELNS1_3gpuE3ELNS1_3repE0EEENS1_60segmented_radix_sort_warp_sort_medium_config_static_selectorELNS0_4arch9wavefront6targetE0EEEvSK_.has_indirect_call, 0
	.section	.AMDGPU.csdata,"",@progbits
; Kernel info:
; codeLenInByte = 0
; TotalNumSgprs: 0
; NumVgprs: 0
; ScratchSize: 0
; MemoryBound: 0
; FloatMode: 240
; IeeeMode: 1
; LDSByteSize: 0 bytes/workgroup (compile time only)
; SGPRBlocks: 0
; VGPRBlocks: 0
; NumSGPRsForWavesPerEU: 1
; NumVGPRsForWavesPerEU: 1
; Occupancy: 16
; WaveLimiterHint : 0
; COMPUTE_PGM_RSRC2:SCRATCH_EN: 0
; COMPUTE_PGM_RSRC2:USER_SGPR: 6
; COMPUTE_PGM_RSRC2:TRAP_HANDLER: 0
; COMPUTE_PGM_RSRC2:TGID_X_EN: 1
; COMPUTE_PGM_RSRC2:TGID_Y_EN: 0
; COMPUTE_PGM_RSRC2:TGID_Z_EN: 0
; COMPUTE_PGM_RSRC2:TIDIG_COMP_CNT: 0
	.text
	.p2align	2                               ; -- Begin function _ZN7rocprim17ROCPRIM_400000_NS6detail26segmented_warp_sort_helperINS1_20WarpSortHelperConfigILj32ELj4ELj256EEEhlLi256ELb0EvE4sortIPKhPhPKlPlEEvT_T0_T1_T2_jjjjRNS5_12storage_typeE
	.type	_ZN7rocprim17ROCPRIM_400000_NS6detail26segmented_warp_sort_helperINS1_20WarpSortHelperConfigILj32ELj4ELj256EEEhlLi256ELb0EvE4sortIPKhPhPKlPlEEvT_T0_T1_T2_jjjjRNS5_12storage_typeE,@function
_ZN7rocprim17ROCPRIM_400000_NS6detail26segmented_warp_sort_helperINS1_20WarpSortHelperConfigILj32ELj4ELj256EEEhlLi256ELb0EvE4sortIPKhPhPKlPlEEvT_T0_T1_T2_jjjjRNS5_12storage_typeE: ; @_ZN7rocprim17ROCPRIM_400000_NS6detail26segmented_warp_sort_helperINS1_20WarpSortHelperConfigILj32ELj4ELj256EEEhlLi256ELb0EvE4sortIPKhPhPKlPlEEvT_T0_T1_T2_jjjjRNS5_12storage_typeE
; %bb.0:
	s_waitcnt vmcnt(0) expcnt(0) lgkmcnt(0)
	v_mbcnt_lo_u32_b32 v15, -1, 0
	v_add_co_u32 v0, vcc_lo, v0, v8
	v_sub_nc_u32_e32 v14, v9, v8
	v_add_co_ci_u32_e64 v1, null, 0, v1, vcc_lo
	v_lshlrev_b32_e32 v22, 2, v15
	v_mov_b32_e32 v9, 0
	v_mov_b32_e32 v27, 0xff
	;; [unrolled: 1-line block ×4, first 2 shown]
	v_add_co_u32 v0, vcc_lo, v0, v22
	v_add_co_ci_u32_e64 v1, null, 0, v1, vcc_lo
	v_cmp_lt_u32_e32 vcc_lo, v22, v14
	v_mov_b32_e32 v26, 0xff
	s_and_saveexec_b32 s4, vcc_lo
	s_cbranch_execz .LBB203_2
; %bb.1:
	flat_load_ubyte v24, v[0:1]
	v_mov_b32_e32 v27, 0xff
	v_mov_b32_e32 v25, 0xff
	;; [unrolled: 1-line block ×3, first 2 shown]
.LBB203_2:
	s_or_b32 exec_lo, exec_lo, s4
	v_or_b32_e32 v15, 1, v22
	v_cmp_lt_u32_e64 s4, v15, v14
	s_and_saveexec_b32 s5, s4
	s_cbranch_execz .LBB203_4
; %bb.3:
	flat_load_ubyte v25, v[0:1] offset:1
.LBB203_4:
	s_or_b32 exec_lo, exec_lo, s5
	v_or_b32_e32 v15, 2, v22
	v_cmp_lt_u32_e64 s5, v15, v14
	s_and_saveexec_b32 s6, s5
	s_cbranch_execz .LBB203_6
; %bb.5:
	flat_load_ubyte v26, v[0:1] offset:2
.LBB203_6:
	;; [unrolled: 8-line block ×3, first 2 shown]
	s_or_b32 exec_lo, exec_lo, s7
	v_lshlrev_b64 v[0:1], 3, v[8:9]
	v_lshlrev_b32_e32 v23, 3, v22
	; wave barrier
	v_add_co_u32 v4, s7, v4, v0
	v_add_co_ci_u32_e64 v5, null, v5, v1, s7
	v_add_co_u32 v20, s7, v4, v23
	v_add_co_ci_u32_e64 v21, null, 0, v5, s7
                                        ; implicit-def: $vgpr4_vgpr5
	s_and_saveexec_b32 s7, vcc_lo
	s_cbranch_execnz .LBB203_147
; %bb.9:
	s_or_b32 exec_lo, exec_lo, s7
                                        ; implicit-def: $vgpr14_vgpr15
	s_and_saveexec_b32 s7, s4
	s_cbranch_execnz .LBB203_148
.LBB203_10:
	s_or_b32 exec_lo, exec_lo, s7
                                        ; implicit-def: $vgpr18_vgpr19
	s_and_saveexec_b32 s7, s5
	s_cbranch_execnz .LBB203_149
.LBB203_11:
	s_or_b32 exec_lo, exec_lo, s7
                                        ; implicit-def: $vgpr16_vgpr17
	s_and_saveexec_b32 s7, s6
	s_cbranch_execz .LBB203_13
.LBB203_12:
	flat_load_dwordx2 v[16:17], v[20:21] offset:24
.LBB203_13:
	s_or_b32 exec_lo, exec_lo, s7
	v_cmp_ne_u32_e64 s7, 0, v10
	v_cmp_ne_u32_e64 s10, 8, v11
	v_bfe_u32 v20, v31, 10, 10
	v_bfe_u32 v21, v31, 20, 10
	v_and_b32_e32 v9, 0x3ff, v31
	s_or_b32 s7, s7, s10
	; wave barrier
	s_and_saveexec_b32 s10, s7
	s_xor_b32 s16, exec_lo, s10
	s_cbranch_execz .LBB203_75
; %bb.14:
	s_load_dwordx2 s[10:11], s[8:9], 0x0
	v_mov_b32_e32 v28, 0
	v_lshlrev_b32_e64 v10, v10, -1
	s_waitcnt lgkmcnt(0)
	s_cmp_lt_u32 s13, s11
	s_cselect_b32 s7, 14, 20
	s_add_u32 s14, s8, s7
	s_addc_u32 s15, s9, 0
	s_cmp_lt_u32 s12, s10
	global_load_ushort v29, v28, s[14:15]
	s_cselect_b32 s7, 12, 18
	s_add_u32 s10, s8, s7
	s_addc_u32 s11, s9, 0
	global_load_ushort v28, v28, s[10:11]
	s_mov_b32 s11, exec_lo
	s_waitcnt vmcnt(1)
	v_mad_u32_u24 v20, v21, v29, v20
	v_lshlrev_b32_e64 v21, v11, -1
	s_waitcnt vmcnt(0)
	v_mul_lo_u32 v20, v20, v28
	v_xor_b32_e32 v28, v21, v10
	v_add_lshl_u32 v11, v20, v9, 2
	v_cmpx_gt_u32_e32 0x400, v11
	s_cbranch_execz .LBB203_24
; %bb.15:
	v_perm_b32 v9, v26, v27, 0xc0c0004
	v_perm_b32 v10, v25, v24, 0xc0c0004
	;; [unrolled: 1-line block ×3, first 2 shown]
	v_and_b32_e32 v21, v25, v28
	v_and_b32_e32 v24, v24, v28
	v_lshlrev_b32_e32 v9, 16, v9
	v_cmp_gt_u16_sdwa s7, v24, v21 src0_sel:BYTE_0 src1_sel:BYTE_0
	v_or_b32_e32 v10, v10, v9
	v_or_b32_e32 v9, v20, v9
	v_cndmask_b32_e64 v24, v9, v10, s7
	v_mov_b32_e32 v9, v18
	v_mov_b32_e32 v10, v19
	v_lshrrev_b32_e32 v20, 24, v24
	v_lshrrev_b32_e32 v25, 16, v24
	;; [unrolled: 1-line block ×3, first 2 shown]
	v_and_b32_e32 v21, v20, v28
	v_and_b32_e32 v30, v25, v28
	v_mov_b32_e32 v27, v20
	v_cmp_gt_u16_sdwa s14, v30, v21 src0_sel:BYTE_0 src1_sel:DWORD
	s_and_saveexec_b32 s10, s14
	s_cbranch_execz .LBB203_17
; %bb.16:
	v_mov_b32_e32 v9, v16
	v_mov_b32_e32 v10, v17
	;; [unrolled: 1-line block ×7, first 2 shown]
.LBB203_17:
	s_or_b32 exec_lo, exec_lo, s10
	v_cndmask_b32_e64 v20, v14, v4, s7
	v_cndmask_b32_e64 v21, v15, v5, s7
	v_and_b32_e32 v29, v26, v28
	v_mov_b32_e32 v18, v20
	v_mov_b32_e32 v19, v21
	v_cmp_gt_u16_sdwa s10, v29, v30 src0_sel:BYTE_0 src1_sel:BYTE_0
	s_and_saveexec_b32 s14, s10
	s_xor_b32 s10, exec_lo, s14
	s_cbranch_execz .LBB203_19
; %bb.18:
	v_mov_b32_e32 v30, v26
	v_mov_b32_e32 v19, v10
	;; [unrolled: 1-line block ×4, first 2 shown]
	v_and_b32_e32 v29, v25, v28
	v_mov_b32_e32 v10, v21
	v_mov_b32_e32 v26, v25
	;; [unrolled: 1-line block ×3, first 2 shown]
.LBB203_19:
	s_or_b32 exec_lo, exec_lo, s10
	v_perm_b32 v20, v25, v27, 0xc0c0004
	v_perm_b32 v21, v26, v24, 0xc0c0004
	;; [unrolled: 1-line block ×3, first 2 shown]
	v_and_b32_e32 v24, v24, v28
	v_lshlrev_b32_e32 v20, 16, v20
	v_cmp_gt_u16_sdwa s10, v24, v29 src0_sel:BYTE_0 src1_sel:BYTE_0
	v_or_b32_e32 v21, v21, v20
	v_or_b32_e32 v20, v25, v20
	v_cndmask_b32_e64 v24, v20, v21, s10
	v_mov_b32_e32 v21, v10
	v_mov_b32_e32 v20, v9
	v_lshrrev_b32_e32 v30, 24, v24
	v_lshrrev_b32_e32 v26, 16, v24
	;; [unrolled: 1-line block ×3, first 2 shown]
	v_and_b32_e32 v31, v30, v28
	v_and_b32_e32 v29, v26, v28
	v_mov_b32_e32 v27, v30
	v_cmp_gt_u16_sdwa s15, v29, v31 src0_sel:BYTE_0 src1_sel:DWORD
	s_and_saveexec_b32 s14, s15
	s_cbranch_execz .LBB203_21
; %bb.20:
	v_mov_b32_e32 v21, v17
	v_mov_b32_e32 v20, v16
	;; [unrolled: 1-line block ×7, first 2 shown]
.LBB203_21:
	s_or_b32 exec_lo, exec_lo, s14
	v_cndmask_b32_e64 v9, v5, v15, s7
	v_cndmask_b32_e64 v10, v4, v14, s7
	v_and_b32_e32 v30, v25, v28
	v_cndmask_b32_e64 v5, v9, v19, s10
	v_cndmask_b32_e64 v4, v10, v18, s10
	;; [unrolled: 1-line block ×4, first 2 shown]
	v_mov_b32_e32 v18, v20
	v_cmp_gt_u16_sdwa s10, v30, v29 src0_sel:BYTE_0 src1_sel:BYTE_0
	v_mov_b32_e32 v19, v21
	s_and_saveexec_b32 s7, s10
; %bb.22:
	v_mov_b32_e32 v19, v15
	v_mov_b32_e32 v9, v25
	v_swap_b32 v25, v26
	v_mov_b32_e32 v18, v14
	v_mov_b32_e32 v14, v20
	;; [unrolled: 1-line block ×3, first 2 shown]
; %bb.23:
	s_or_b32 exec_lo, exec_lo, s7
.LBB203_24:
	s_or_b32 exec_lo, exec_lo, s11
	v_and_b32_e32 v9, 0xffffff80, v11
	v_or_b32_e32 v10, 4, v22
	v_and_b32_e32 v32, 0x78, v22
	v_perm_b32 v21, v24, v25, 0xc0c0004
	v_perm_b32 v29, v26, v27, 0xc0c0004
	v_sub_nc_u32_e64 v20, 0x400, v9 clamp
	v_add_co_u32 v11, s7, v12, v9
	v_add_co_ci_u32_e64 v12, null, 0, v13, s7
	v_min_u32_e32 v30, v20, v10
	v_and_b32_e32 v13, 4, v22
	v_lshl_or_b32 v21, v29, 16, v21
	s_mov_b32 s10, exec_lo
	v_add_nc_u32_e32 v10, 4, v30
	v_min_u32_e32 v33, v20, v13
	v_sub_nc_u32_e32 v35, v30, v32
	v_min_u32_e32 v31, v20, v10
	v_mad_u64_u32 v[9:10], null, v9, 7, v[11:12]
	v_add_co_u32 v10, null, v11, v22
	v_sub_nc_u32_e32 v13, v31, v30
	v_lshl_add_u32 v12, v22, 3, v9
	v_sub_nc_u32_e64 v34, v33, v13 clamp
	v_min_u32_e32 v13, v33, v35
	ds_write2_b64 v12, v[4:5], v[14:15] offset0:128 offset1:129
	ds_write_b64 v12, v[18:19] offset:1040
	ds_write_b32 v10, v21
	ds_write_b64 v12, v[16:17] offset:1048
	; wave barrier
	v_cmpx_lt_u32_e64 v34, v13
	s_cbranch_execz .LBB203_28
; %bb.25:
	v_add_co_u32 v21, null, v11, v32
	v_add_co_u32 v29, null, v11, v30
	s_mov_b32 s11, 0
	.p2align	6
.LBB203_26:                             ; =>This Inner Loop Header: Depth=1
	v_add_nc_u32_e32 v35, v13, v34
	v_lshrrev_b32_e32 v35, 1, v35
	v_not_b32_e32 v36, v35
	v_add_nc_u32_e32 v37, v21, v35
	v_add_nc_u32_e32 v38, 1, v35
	v_add3_u32 v36, v33, v36, v29
	ds_read_u8 v37, v37
	ds_read_u8 v36, v36
	s_waitcnt lgkmcnt(1)
	v_and_b32_e32 v37, v37, v28
	s_waitcnt lgkmcnt(0)
	v_and_b32_e32 v36, v36, v28
	v_cmp_gt_u16_sdwa s7, v37, v36 src0_sel:BYTE_0 src1_sel:BYTE_0
	v_cndmask_b32_e64 v13, v13, v35, s7
	v_cndmask_b32_e64 v34, v38, v34, s7
	v_cmp_ge_u32_e64 s7, v34, v13
	s_or_b32 s11, s7, s11
	s_andn2_b32 exec_lo, exec_lo, s11
	s_cbranch_execnz .LBB203_26
; %bb.27:
	s_or_b32 exec_lo, exec_lo, s11
.LBB203_28:
	s_or_b32 exec_lo, exec_lo, s10
	v_add_nc_u32_e32 v35, v30, v33
	v_add_nc_u32_e32 v33, v34, v32
	;; [unrolled: 1-line block ×5, first 2 shown]
	v_sub_nc_u32_e32 v32, v35, v34
	v_cmp_le_u32_e64 s7, v33, v30
	v_add_nc_u32_e32 v12, 0x418, v12
	v_cmp_le_u32_e64 s10, v32, v31
	s_or_b32 s7, s7, s10
	s_and_saveexec_b32 s17, s7
	s_cbranch_execz .LBB203_34
; %bb.29:
	v_cmp_lt_u32_e64 s7, v33, v30
                                        ; implicit-def: $vgpr24
	s_and_saveexec_b32 s10, s7
; %bb.30:
	v_add_nc_u32_e32 v4, v11, v33
	ds_read_u8 v24, v4
; %bb.31:
	s_or_b32 exec_lo, exec_lo, s10
	v_cmp_ge_u32_e64 s10, v32, v31
	s_mov_b32 s14, exec_lo
                                        ; implicit-def: $vgpr25
	v_cmpx_lt_u32_e64 v32, v31
; %bb.32:
	v_add_nc_u32_e32 v4, v11, v32
	ds_read_u8 v25, v4
; %bb.33:
	s_or_b32 exec_lo, exec_lo, s14
	s_waitcnt lgkmcnt(0)
	v_and_b32_e32 v4, v25, v28
	v_and_b32_e32 v5, v24, v28
	v_cmp_le_u16_sdwa s11, v5, v4 src0_sel:BYTE_0 src1_sel:BYTE_0
	s_and_b32 s7, s7, s11
	s_or_b32 s7, s10, s7
	v_cndmask_b32_e64 v4, v32, v33, s7
	v_cndmask_b32_e64 v5, v31, v30, s7
	v_add_nc_u32_e32 v14, 1, v4
	v_add_nc_u32_e32 v5, -1, v5
	v_lshl_add_u32 v4, v4, 3, v9
	v_min_u32_e32 v5, v14, v5
	v_add_nc_u32_e32 v5, v11, v5
	ds_read_u8 v5, v5
	s_waitcnt lgkmcnt(0)
	v_cndmask_b32_e64 v26, v5, v25, s7
	v_cndmask_b32_e64 v27, v24, v5, s7
	;; [unrolled: 1-line block ×5, first 2 shown]
	v_and_b32_e32 v15, v26, v28
	v_and_b32_e32 v16, v27, v28
	v_cmp_lt_u32_e64 s10, v5, v30
	v_cmp_ge_u32_e64 s11, v14, v31
	v_cmp_le_u16_sdwa s14, v16, v15 src0_sel:BYTE_0 src1_sel:BYTE_0
	s_and_b32 s10, s10, s14
	s_or_b32 s10, s11, s10
	v_cndmask_b32_e64 v15, v14, v5, s10
	v_cndmask_b32_e64 v16, v31, v30, s10
	;; [unrolled: 1-line block ×3, first 2 shown]
	v_add_nc_u32_e32 v17, 1, v15
	v_add_nc_u32_e32 v16, -1, v16
	v_cndmask_b32_e64 v5, v5, v17, s10
	v_min_u32_e32 v16, v17, v16
	v_cndmask_b32_e64 v14, v17, v14, s10
	v_cmp_lt_u32_e64 s11, v5, v30
	v_add_nc_u32_e32 v16, v11, v16
	v_cmp_ge_u32_e64 s14, v14, v31
	ds_read_u8 v16, v16
	s_waitcnt lgkmcnt(0)
	v_cndmask_b32_e64 v32, v16, v26, s10
	v_cndmask_b32_e64 v33, v27, v16, s10
	v_and_b32_e32 v16, v32, v28
	v_and_b32_e32 v18, v33, v28
	v_cmp_le_u16_sdwa s15, v18, v16 src0_sel:BYTE_0 src1_sel:BYTE_0
	s_and_b32 s11, s11, s15
	s_or_b32 s11, s14, s11
	v_cndmask_b32_e64 v16, v14, v5, s11
	v_cndmask_b32_e64 v17, v31, v30, s11
	;; [unrolled: 1-line block ×3, first 2 shown]
	v_add_nc_u32_e32 v18, 1, v16
	v_add_nc_u32_e32 v17, -1, v17
	v_lshl_add_u32 v16, v16, 3, v9
	v_cndmask_b32_e64 v5, v5, v18, s11
	v_min_u32_e32 v17, v18, v17
	v_cndmask_b32_e64 v14, v18, v14, s11
	v_cmp_lt_u32_e64 s14, v5, v30
	v_add_nc_u32_e32 v17, v11, v17
	v_cmp_ge_u32_e64 s15, v14, v31
	ds_read_u8 v17, v17
	s_waitcnt lgkmcnt(0)
	v_cndmask_b32_e64 v34, v17, v32, s11
	v_cndmask_b32_e64 v35, v33, v17, s11
	v_and_b32_e32 v17, v34, v28
	v_and_b32_e32 v19, v35, v28
	v_cmp_le_u16_sdwa s18, v19, v17 src0_sel:BYTE_0 src1_sel:BYTE_0
	s_and_b32 s14, s14, s18
	s_or_b32 s14, s15, s14
	v_cndmask_b32_e64 v5, v14, v5, s14
	v_lshl_add_u32 v14, v15, 3, v9
	v_cndmask_b32_e64 v27, v34, v35, s14
	v_lshl_add_u32 v17, v5, 3, v9
	ds_read_b64 v[4:5], v4 offset:1024
	ds_read_b64 v[14:15], v14 offset:1024
	;; [unrolled: 1-line block ×4, first 2 shown]
.LBB203_34:
	s_or_b32 exec_lo, exec_lo, s17
	v_and_b32_e32 v35, 0x70, v22
	v_and_b32_e32 v31, 12, v22
	s_mov_b32 s10, exec_lo
	; wave barrier
	v_or_b32_e32 v30, 8, v35
	v_min_u32_e32 v36, v20, v31
	ds_write_b8 v10, v24
	s_waitcnt lgkmcnt(4)
	ds_write_b64 v29, v[4:5]
	ds_write_b8 v10, v25 offset:1
	s_waitcnt lgkmcnt(5)
	ds_write_b64 v21, v[14:15]
	ds_write_b8 v10, v26 offset:2
	;; [unrolled: 3-line block ×3, first 2 shown]
	s_waitcnt lgkmcnt(7)
	ds_write_b64 v12, v[16:17]
	v_min_u32_e32 v33, v20, v30
	; wave barrier
	v_add_nc_u32_e32 v30, 8, v33
	v_sub_nc_u32_e32 v31, v33, v35
	v_min_u32_e32 v34, v20, v30
	v_sub_nc_u32_e32 v30, v34, v33
	v_sub_nc_u32_e64 v37, v36, v30 clamp
	v_min_u32_e32 v30, v36, v31
	v_cmpx_lt_u32_e64 v37, v30
	s_cbranch_execz .LBB203_38
; %bb.35:
	v_add_co_u32 v31, null, v11, v35
	v_add_co_u32 v32, null, v11, v33
	s_mov_b32 s11, 0
	.p2align	6
.LBB203_36:                             ; =>This Inner Loop Header: Depth=1
	v_add_nc_u32_e32 v38, v30, v37
	v_lshrrev_b32_e32 v38, 1, v38
	v_not_b32_e32 v39, v38
	v_add_nc_u32_e32 v48, v31, v38
	v_add_nc_u32_e32 v49, 1, v38
	v_add3_u32 v39, v36, v39, v32
	ds_read_u8 v48, v48
	ds_read_u8 v39, v39
	s_waitcnt lgkmcnt(1)
	v_and_b32_e32 v48, v48, v28
	s_waitcnt lgkmcnt(0)
	v_and_b32_e32 v39, v39, v28
	v_cmp_gt_u16_sdwa s7, v48, v39 src0_sel:BYTE_0 src1_sel:BYTE_0
	v_cndmask_b32_e64 v30, v30, v38, s7
	v_cndmask_b32_e64 v37, v49, v37, s7
	v_cmp_ge_u32_e64 s7, v37, v30
	s_or_b32 s11, s7, s11
	s_andn2_b32 exec_lo, exec_lo, s11
	s_cbranch_execnz .LBB203_36
; %bb.37:
	s_or_b32 exec_lo, exec_lo, s11
.LBB203_38:
	s_or_b32 exec_lo, exec_lo, s10
	v_add_nc_u32_e32 v38, v33, v36
	v_add_nc_u32_e32 v36, v37, v35
	v_add_nc_u32_e32 v32, 1, v10
	v_add_nc_u32_e32 v31, 2, v10
	v_add_nc_u32_e32 v30, 3, v10
	v_sub_nc_u32_e32 v35, v38, v37
	v_cmp_le_u32_e64 s7, v36, v33
	v_cmp_le_u32_e64 s10, v35, v34
	s_or_b32 s7, s7, s10
	s_and_saveexec_b32 s17, s7
	s_cbranch_execz .LBB203_44
; %bb.39:
	v_cmp_lt_u32_e64 s7, v36, v33
                                        ; implicit-def: $vgpr24
	s_and_saveexec_b32 s10, s7
; %bb.40:
	v_add_nc_u32_e32 v4, v11, v36
	ds_read_u8 v24, v4
; %bb.41:
	s_or_b32 exec_lo, exec_lo, s10
	v_cmp_ge_u32_e64 s10, v35, v34
	s_mov_b32 s14, exec_lo
                                        ; implicit-def: $vgpr25
	v_cmpx_lt_u32_e64 v35, v34
; %bb.42:
	v_add_nc_u32_e32 v4, v11, v35
	ds_read_u8 v25, v4
; %bb.43:
	s_or_b32 exec_lo, exec_lo, s14
	s_waitcnt lgkmcnt(0)
	v_and_b32_e32 v4, v25, v28
	v_and_b32_e32 v5, v24, v28
	v_cmp_le_u16_sdwa s11, v5, v4 src0_sel:BYTE_0 src1_sel:BYTE_0
	s_and_b32 s7, s7, s11
	s_or_b32 s7, s10, s7
	v_cndmask_b32_e64 v4, v35, v36, s7
	v_cndmask_b32_e64 v5, v34, v33, s7
	v_add_nc_u32_e32 v14, 1, v4
	v_add_nc_u32_e32 v5, -1, v5
	v_lshl_add_u32 v4, v4, 3, v9
	v_min_u32_e32 v5, v14, v5
	v_add_nc_u32_e32 v5, v11, v5
	ds_read_u8 v5, v5
	s_waitcnt lgkmcnt(0)
	v_cndmask_b32_e64 v26, v5, v25, s7
	v_cndmask_b32_e64 v27, v24, v5, s7
	;; [unrolled: 1-line block ×5, first 2 shown]
	v_and_b32_e32 v15, v26, v28
	v_and_b32_e32 v16, v27, v28
	v_cmp_lt_u32_e64 s10, v5, v33
	v_cmp_ge_u32_e64 s11, v14, v34
	v_cmp_le_u16_sdwa s14, v16, v15 src0_sel:BYTE_0 src1_sel:BYTE_0
	s_and_b32 s10, s10, s14
	s_or_b32 s10, s11, s10
	v_cndmask_b32_e64 v15, v14, v5, s10
	v_cndmask_b32_e64 v16, v34, v33, s10
	;; [unrolled: 1-line block ×3, first 2 shown]
	v_add_nc_u32_e32 v17, 1, v15
	v_add_nc_u32_e32 v16, -1, v16
	v_cndmask_b32_e64 v5, v5, v17, s10
	v_min_u32_e32 v16, v17, v16
	v_cndmask_b32_e64 v14, v17, v14, s10
	v_cmp_lt_u32_e64 s11, v5, v33
	v_add_nc_u32_e32 v16, v11, v16
	v_cmp_ge_u32_e64 s14, v14, v34
	ds_read_u8 v16, v16
	s_waitcnt lgkmcnt(0)
	v_cndmask_b32_e64 v35, v16, v26, s10
	v_cndmask_b32_e64 v36, v27, v16, s10
	v_and_b32_e32 v16, v35, v28
	v_and_b32_e32 v18, v36, v28
	v_cmp_le_u16_sdwa s15, v18, v16 src0_sel:BYTE_0 src1_sel:BYTE_0
	s_and_b32 s11, s11, s15
	s_or_b32 s11, s14, s11
	v_cndmask_b32_e64 v16, v14, v5, s11
	v_cndmask_b32_e64 v17, v34, v33, s11
	;; [unrolled: 1-line block ×3, first 2 shown]
	v_add_nc_u32_e32 v18, 1, v16
	v_add_nc_u32_e32 v17, -1, v17
	v_lshl_add_u32 v16, v16, 3, v9
	v_cndmask_b32_e64 v5, v5, v18, s11
	v_min_u32_e32 v17, v18, v17
	v_cndmask_b32_e64 v14, v18, v14, s11
	v_cmp_lt_u32_e64 s14, v5, v33
	v_add_nc_u32_e32 v17, v11, v17
	v_cmp_ge_u32_e64 s15, v14, v34
	ds_read_u8 v17, v17
	s_waitcnt lgkmcnt(0)
	v_cndmask_b32_e64 v37, v17, v35, s11
	v_cndmask_b32_e64 v38, v36, v17, s11
	v_and_b32_e32 v17, v37, v28
	v_and_b32_e32 v19, v38, v28
	v_cmp_le_u16_sdwa s18, v19, v17 src0_sel:BYTE_0 src1_sel:BYTE_0
	s_and_b32 s14, s14, s18
	s_or_b32 s14, s15, s14
	v_cndmask_b32_e64 v5, v14, v5, s14
	v_lshl_add_u32 v14, v15, 3, v9
	v_cndmask_b32_e64 v27, v37, v38, s14
	v_lshl_add_u32 v17, v5, 3, v9
	ds_read_b64 v[4:5], v4 offset:1024
	ds_read_b64 v[14:15], v14 offset:1024
	;; [unrolled: 1-line block ×4, first 2 shown]
.LBB203_44:
	s_or_b32 exec_lo, exec_lo, s17
	v_and_b32_e32 v35, 0x60, v22
	v_and_b32_e32 v36, 28, v22
	s_mov_b32 s10, exec_lo
	; wave barrier
	v_or_b32_e32 v33, 16, v35
	v_min_u32_e32 v36, v20, v36
	ds_write_b8 v10, v24
	s_waitcnt lgkmcnt(4)
	ds_write_b64 v29, v[4:5]
	ds_write_b8 v32, v25
	s_waitcnt lgkmcnt(5)
	ds_write_b64 v21, v[14:15]
	;; [unrolled: 3-line block ×4, first 2 shown]
	v_min_u32_e32 v33, v20, v33
	; wave barrier
	v_add_nc_u32_e32 v34, 16, v33
	v_sub_nc_u32_e32 v38, v33, v35
	v_min_u32_e32 v34, v20, v34
	v_min_u32_e32 v38, v36, v38
	v_sub_nc_u32_e32 v37, v34, v33
	v_sub_nc_u32_e64 v37, v36, v37 clamp
	v_cmpx_lt_u32_e64 v37, v38
	s_cbranch_execz .LBB203_48
; %bb.45:
	v_add_co_u32 v39, null, v11, v35
	v_add_co_u32 v48, null, v11, v33
	s_mov_b32 s11, 0
	.p2align	6
.LBB203_46:                             ; =>This Inner Loop Header: Depth=1
	v_add_nc_u32_e32 v49, v38, v37
	v_lshrrev_b32_e32 v49, 1, v49
	v_not_b32_e32 v50, v49
	v_add_nc_u32_e32 v51, v39, v49
	v_add_nc_u32_e32 v52, 1, v49
	v_add3_u32 v50, v36, v50, v48
	ds_read_u8 v51, v51
	ds_read_u8 v50, v50
	s_waitcnt lgkmcnt(1)
	v_and_b32_e32 v51, v51, v28
	s_waitcnt lgkmcnt(0)
	v_and_b32_e32 v50, v50, v28
	v_cmp_gt_u16_sdwa s7, v51, v50 src0_sel:BYTE_0 src1_sel:BYTE_0
	v_cndmask_b32_e64 v38, v38, v49, s7
	v_cndmask_b32_e64 v37, v52, v37, s7
	v_cmp_ge_u32_e64 s7, v37, v38
	s_or_b32 s11, s7, s11
	s_andn2_b32 exec_lo, exec_lo, s11
	s_cbranch_execnz .LBB203_46
; %bb.47:
	s_or_b32 exec_lo, exec_lo, s11
.LBB203_48:
	s_or_b32 exec_lo, exec_lo, s10
	v_add_nc_u32_e32 v38, v33, v36
	v_add_nc_u32_e32 v36, v37, v35
	v_sub_nc_u32_e32 v35, v38, v37
	v_cmp_le_u32_e64 s7, v36, v33
	v_cmp_le_u32_e64 s10, v35, v34
	s_or_b32 s7, s7, s10
	s_and_saveexec_b32 s17, s7
	s_cbranch_execz .LBB203_54
; %bb.49:
	v_cmp_lt_u32_e64 s7, v36, v33
                                        ; implicit-def: $vgpr24
	s_and_saveexec_b32 s10, s7
; %bb.50:
	v_add_nc_u32_e32 v4, v11, v36
	ds_read_u8 v24, v4
; %bb.51:
	s_or_b32 exec_lo, exec_lo, s10
	v_cmp_ge_u32_e64 s10, v35, v34
	s_mov_b32 s14, exec_lo
                                        ; implicit-def: $vgpr25
	v_cmpx_lt_u32_e64 v35, v34
; %bb.52:
	v_add_nc_u32_e32 v4, v11, v35
	ds_read_u8 v25, v4
; %bb.53:
	s_or_b32 exec_lo, exec_lo, s14
	s_waitcnt lgkmcnt(0)
	v_and_b32_e32 v4, v25, v28
	v_and_b32_e32 v5, v24, v28
	v_cmp_le_u16_sdwa s11, v5, v4 src0_sel:BYTE_0 src1_sel:BYTE_0
	s_and_b32 s7, s7, s11
	s_or_b32 s7, s10, s7
	v_cndmask_b32_e64 v4, v35, v36, s7
	v_cndmask_b32_e64 v5, v34, v33, s7
	v_add_nc_u32_e32 v14, 1, v4
	v_add_nc_u32_e32 v5, -1, v5
	v_lshl_add_u32 v4, v4, 3, v9
	v_min_u32_e32 v5, v14, v5
	v_add_nc_u32_e32 v5, v11, v5
	ds_read_u8 v5, v5
	s_waitcnt lgkmcnt(0)
	v_cndmask_b32_e64 v26, v5, v25, s7
	v_cndmask_b32_e64 v27, v24, v5, s7
	;; [unrolled: 1-line block ×5, first 2 shown]
	v_and_b32_e32 v15, v26, v28
	v_and_b32_e32 v16, v27, v28
	v_cmp_lt_u32_e64 s10, v5, v33
	v_cmp_ge_u32_e64 s11, v14, v34
	v_cmp_le_u16_sdwa s14, v16, v15 src0_sel:BYTE_0 src1_sel:BYTE_0
	s_and_b32 s10, s10, s14
	s_or_b32 s10, s11, s10
	v_cndmask_b32_e64 v15, v14, v5, s10
	v_cndmask_b32_e64 v16, v34, v33, s10
	v_cndmask_b32_e64 v25, v26, v27, s10
	v_add_nc_u32_e32 v17, 1, v15
	v_add_nc_u32_e32 v16, -1, v16
	v_cndmask_b32_e64 v5, v5, v17, s10
	v_min_u32_e32 v16, v17, v16
	v_cndmask_b32_e64 v14, v17, v14, s10
	v_cmp_lt_u32_e64 s11, v5, v33
	v_add_nc_u32_e32 v16, v11, v16
	v_cmp_ge_u32_e64 s14, v14, v34
	ds_read_u8 v16, v16
	s_waitcnt lgkmcnt(0)
	v_cndmask_b32_e64 v35, v16, v26, s10
	v_cndmask_b32_e64 v36, v27, v16, s10
	v_and_b32_e32 v16, v35, v28
	v_and_b32_e32 v18, v36, v28
	v_cmp_le_u16_sdwa s15, v18, v16 src0_sel:BYTE_0 src1_sel:BYTE_0
	s_and_b32 s11, s11, s15
	s_or_b32 s11, s14, s11
	v_cndmask_b32_e64 v16, v14, v5, s11
	v_cndmask_b32_e64 v17, v34, v33, s11
	;; [unrolled: 1-line block ×3, first 2 shown]
	v_add_nc_u32_e32 v18, 1, v16
	v_add_nc_u32_e32 v17, -1, v17
	v_lshl_add_u32 v16, v16, 3, v9
	v_cndmask_b32_e64 v5, v5, v18, s11
	v_min_u32_e32 v17, v18, v17
	v_cndmask_b32_e64 v14, v18, v14, s11
	v_cmp_lt_u32_e64 s14, v5, v33
	v_add_nc_u32_e32 v17, v11, v17
	v_cmp_ge_u32_e64 s15, v14, v34
	ds_read_u8 v17, v17
	s_waitcnt lgkmcnt(0)
	v_cndmask_b32_e64 v37, v17, v35, s11
	v_cndmask_b32_e64 v38, v36, v17, s11
	v_and_b32_e32 v17, v37, v28
	v_and_b32_e32 v19, v38, v28
	v_cmp_le_u16_sdwa s18, v19, v17 src0_sel:BYTE_0 src1_sel:BYTE_0
	s_and_b32 s14, s14, s18
	s_or_b32 s14, s15, s14
	v_cndmask_b32_e64 v5, v14, v5, s14
	v_lshl_add_u32 v14, v15, 3, v9
	v_cndmask_b32_e64 v27, v37, v38, s14
	v_lshl_add_u32 v17, v5, 3, v9
	ds_read_b64 v[4:5], v4 offset:1024
	ds_read_b64 v[14:15], v14 offset:1024
	;; [unrolled: 1-line block ×4, first 2 shown]
.LBB203_54:
	s_or_b32 exec_lo, exec_lo, s17
	v_and_b32_e32 v35, 64, v22
	v_and_b32_e32 v36, 60, v22
	s_mov_b32 s10, exec_lo
	; wave barrier
	v_or_b32_e32 v33, 32, v35
	v_min_u32_e32 v36, v20, v36
	ds_write_b8 v10, v24
	s_waitcnt lgkmcnt(4)
	ds_write_b64 v29, v[4:5]
	ds_write_b8 v32, v25
	s_waitcnt lgkmcnt(5)
	ds_write_b64 v21, v[14:15]
	;; [unrolled: 3-line block ×4, first 2 shown]
	v_min_u32_e32 v33, v20, v33
	; wave barrier
	v_add_nc_u32_e32 v34, 32, v33
	v_sub_nc_u32_e32 v38, v33, v35
	v_min_u32_e32 v34, v20, v34
	v_min_u32_e32 v38, v36, v38
	v_sub_nc_u32_e32 v37, v34, v33
	v_sub_nc_u32_e64 v37, v36, v37 clamp
	v_cmpx_lt_u32_e64 v37, v38
	s_cbranch_execz .LBB203_58
; %bb.55:
	v_add_co_u32 v39, null, v11, v35
	v_add_co_u32 v48, null, v11, v33
	s_mov_b32 s11, 0
	.p2align	6
.LBB203_56:                             ; =>This Inner Loop Header: Depth=1
	v_add_nc_u32_e32 v49, v38, v37
	v_lshrrev_b32_e32 v49, 1, v49
	v_not_b32_e32 v50, v49
	v_add_nc_u32_e32 v51, v39, v49
	v_add_nc_u32_e32 v52, 1, v49
	v_add3_u32 v50, v36, v50, v48
	ds_read_u8 v51, v51
	ds_read_u8 v50, v50
	s_waitcnt lgkmcnt(1)
	v_and_b32_e32 v51, v51, v28
	s_waitcnt lgkmcnt(0)
	v_and_b32_e32 v50, v50, v28
	v_cmp_gt_u16_sdwa s7, v51, v50 src0_sel:BYTE_0 src1_sel:BYTE_0
	v_cndmask_b32_e64 v38, v38, v49, s7
	v_cndmask_b32_e64 v37, v52, v37, s7
	v_cmp_ge_u32_e64 s7, v37, v38
	s_or_b32 s11, s7, s11
	s_andn2_b32 exec_lo, exec_lo, s11
	s_cbranch_execnz .LBB203_56
; %bb.57:
	s_or_b32 exec_lo, exec_lo, s11
.LBB203_58:
	s_or_b32 exec_lo, exec_lo, s10
	v_add_nc_u32_e32 v38, v33, v36
	v_add_nc_u32_e32 v36, v37, v35
	v_sub_nc_u32_e32 v35, v38, v37
	v_cmp_le_u32_e64 s7, v36, v33
	v_cmp_le_u32_e64 s10, v35, v34
	s_or_b32 s7, s7, s10
	s_and_saveexec_b32 s17, s7
	s_cbranch_execz .LBB203_64
; %bb.59:
	v_cmp_lt_u32_e64 s7, v36, v33
                                        ; implicit-def: $vgpr24
	s_and_saveexec_b32 s10, s7
; %bb.60:
	v_add_nc_u32_e32 v4, v11, v36
	ds_read_u8 v24, v4
; %bb.61:
	s_or_b32 exec_lo, exec_lo, s10
	v_cmp_ge_u32_e64 s10, v35, v34
	s_mov_b32 s14, exec_lo
                                        ; implicit-def: $vgpr25
	v_cmpx_lt_u32_e64 v35, v34
; %bb.62:
	v_add_nc_u32_e32 v4, v11, v35
	ds_read_u8 v25, v4
; %bb.63:
	s_or_b32 exec_lo, exec_lo, s14
	s_waitcnt lgkmcnt(0)
	v_and_b32_e32 v4, v25, v28
	v_and_b32_e32 v5, v24, v28
	v_cmp_le_u16_sdwa s11, v5, v4 src0_sel:BYTE_0 src1_sel:BYTE_0
	s_and_b32 s7, s7, s11
	s_or_b32 s7, s10, s7
	v_cndmask_b32_e64 v4, v35, v36, s7
	v_cndmask_b32_e64 v5, v34, v33, s7
	v_add_nc_u32_e32 v14, 1, v4
	v_add_nc_u32_e32 v5, -1, v5
	v_lshl_add_u32 v4, v4, 3, v9
	v_min_u32_e32 v5, v14, v5
	v_add_nc_u32_e32 v5, v11, v5
	ds_read_u8 v5, v5
	s_waitcnt lgkmcnt(0)
	v_cndmask_b32_e64 v26, v5, v25, s7
	v_cndmask_b32_e64 v27, v24, v5, s7
	;; [unrolled: 1-line block ×5, first 2 shown]
	v_and_b32_e32 v15, v26, v28
	v_and_b32_e32 v16, v27, v28
	v_cmp_lt_u32_e64 s10, v5, v33
	v_cmp_ge_u32_e64 s11, v14, v34
	v_cmp_le_u16_sdwa s14, v16, v15 src0_sel:BYTE_0 src1_sel:BYTE_0
	s_and_b32 s10, s10, s14
	s_or_b32 s10, s11, s10
	v_cndmask_b32_e64 v15, v14, v5, s10
	v_cndmask_b32_e64 v16, v34, v33, s10
	;; [unrolled: 1-line block ×3, first 2 shown]
	v_add_nc_u32_e32 v17, 1, v15
	v_add_nc_u32_e32 v16, -1, v16
	v_cndmask_b32_e64 v5, v5, v17, s10
	v_min_u32_e32 v16, v17, v16
	v_cndmask_b32_e64 v14, v17, v14, s10
	v_cmp_lt_u32_e64 s11, v5, v33
	v_add_nc_u32_e32 v16, v11, v16
	v_cmp_ge_u32_e64 s14, v14, v34
	ds_read_u8 v16, v16
	s_waitcnt lgkmcnt(0)
	v_cndmask_b32_e64 v35, v16, v26, s10
	v_cndmask_b32_e64 v36, v27, v16, s10
	v_and_b32_e32 v16, v35, v28
	v_and_b32_e32 v18, v36, v28
	v_cmp_le_u16_sdwa s15, v18, v16 src0_sel:BYTE_0 src1_sel:BYTE_0
	s_and_b32 s11, s11, s15
	s_or_b32 s11, s14, s11
	v_cndmask_b32_e64 v16, v14, v5, s11
	v_cndmask_b32_e64 v17, v34, v33, s11
	;; [unrolled: 1-line block ×3, first 2 shown]
	v_add_nc_u32_e32 v18, 1, v16
	v_add_nc_u32_e32 v17, -1, v17
	v_lshl_add_u32 v16, v16, 3, v9
	v_cndmask_b32_e64 v5, v5, v18, s11
	v_min_u32_e32 v17, v18, v17
	v_cndmask_b32_e64 v14, v18, v14, s11
	v_cmp_lt_u32_e64 s14, v5, v33
	v_add_nc_u32_e32 v17, v11, v17
	v_cmp_ge_u32_e64 s15, v14, v34
	ds_read_u8 v17, v17
	s_waitcnt lgkmcnt(0)
	v_cndmask_b32_e64 v37, v17, v35, s11
	v_cndmask_b32_e64 v38, v36, v17, s11
	v_and_b32_e32 v17, v37, v28
	v_and_b32_e32 v19, v38, v28
	v_cmp_le_u16_sdwa s18, v19, v17 src0_sel:BYTE_0 src1_sel:BYTE_0
	s_and_b32 s14, s14, s18
	s_or_b32 s14, s15, s14
	v_cndmask_b32_e64 v5, v14, v5, s14
	v_lshl_add_u32 v14, v15, 3, v9
	v_cndmask_b32_e64 v27, v37, v38, s14
	v_lshl_add_u32 v17, v5, 3, v9
	ds_read_b64 v[4:5], v4 offset:1024
	ds_read_b64 v[14:15], v14 offset:1024
	;; [unrolled: 1-line block ×4, first 2 shown]
.LBB203_64:
	s_or_b32 exec_lo, exec_lo, s17
	v_min_u32_e32 v33, 64, v20
	; wave barrier
	ds_write_b8 v10, v24
	s_waitcnt lgkmcnt(4)
	ds_write_b64 v29, v[4:5]
	s_mov_b32 s10, exec_lo
	v_add_nc_u32_e32 v34, 64, v33
	ds_write_b8 v32, v25
	s_waitcnt lgkmcnt(5)
	ds_write_b64 v21, v[14:15]
	ds_write_b8 v31, v26
	s_waitcnt lgkmcnt(6)
	ds_write_b64 v13, v[18:19]
	;; [unrolled: 3-line block ×3, first 2 shown]
	; wave barrier
	v_min_u32_e32 v34, v20, v34
	v_min_u32_e32 v20, v20, v22
	v_sub_nc_u32_e32 v35, v34, v33
	v_min_u32_e32 v29, v20, v33
	v_sub_nc_u32_e64 v10, v20, v35 clamp
	v_cmpx_lt_u32_e64 v10, v29
	s_cbranch_execz .LBB203_68
; %bb.65:
	v_add_co_u32 v12, null, v11, v33
	s_mov_b32 s11, 0
	.p2align	6
.LBB203_66:                             ; =>This Inner Loop Header: Depth=1
	v_add_nc_u32_e32 v13, v29, v10
	v_lshrrev_b32_e32 v13, 1, v13
	v_not_b32_e32 v21, v13
	v_add_nc_u32_e32 v30, v11, v13
	v_add_nc_u32_e32 v31, 1, v13
	v_add3_u32 v21, v20, v21, v12
	ds_read_u8 v30, v30
	ds_read_u8 v21, v21
	s_waitcnt lgkmcnt(1)
	v_and_b32_e32 v30, v30, v28
	s_waitcnt lgkmcnt(0)
	v_and_b32_e32 v21, v21, v28
	v_cmp_gt_u16_sdwa s7, v30, v21 src0_sel:BYTE_0 src1_sel:BYTE_0
	v_cndmask_b32_e64 v29, v29, v13, s7
	v_cndmask_b32_e64 v10, v31, v10, s7
	v_cmp_ge_u32_e64 s7, v10, v29
	s_or_b32 s11, s7, s11
	s_andn2_b32 exec_lo, exec_lo, s11
	s_cbranch_execnz .LBB203_66
; %bb.67:
	s_or_b32 exec_lo, exec_lo, s11
.LBB203_68:
	s_or_b32 exec_lo, exec_lo, s10
	v_add_nc_u32_e32 v12, v33, v20
	v_cmp_le_u32_e64 s7, v10, v33
	v_sub_nc_u32_e32 v20, v12, v10
	v_cmp_le_u32_e64 s10, v20, v34
	s_or_b32 s7, s7, s10
	s_and_saveexec_b32 s17, s7
	s_cbranch_execz .LBB203_74
; %bb.69:
	v_cmp_lt_u32_e64 s7, v10, v33
                                        ; implicit-def: $vgpr12
	s_and_saveexec_b32 s10, s7
; %bb.70:
	v_add_nc_u32_e32 v4, v11, v10
	ds_read_u8 v12, v4
; %bb.71:
	s_or_b32 exec_lo, exec_lo, s10
	v_cmp_ge_u32_e64 s10, v20, v34
	s_mov_b32 s14, exec_lo
                                        ; implicit-def: $vgpr13
	v_cmpx_lt_u32_e64 v20, v34
; %bb.72:
	v_add_nc_u32_e32 v4, v11, v20
	ds_read_u8 v13, v4
; %bb.73:
	s_or_b32 exec_lo, exec_lo, s14
	s_waitcnt lgkmcnt(0)
	v_and_b32_e32 v4, v13, v28
	v_and_b32_e32 v5, v12, v28
	v_cmp_le_u16_sdwa s11, v5, v4 src0_sel:BYTE_0 src1_sel:BYTE_0
	s_and_b32 s7, s7, s11
	s_or_b32 s7, s10, s7
	v_cndmask_b32_e64 v4, v20, v10, s7
	v_cndmask_b32_e64 v5, v34, v33, s7
	;; [unrolled: 1-line block ×3, first 2 shown]
	v_add_nc_u32_e32 v14, 1, v4
	v_add_nc_u32_e32 v5, -1, v5
	v_lshl_add_u32 v4, v4, 3, v9
	v_min_u32_e32 v5, v14, v5
	v_add_nc_u32_e32 v5, v11, v5
	ds_read_u8 v5, v5
	s_waitcnt lgkmcnt(0)
	v_cndmask_b32_e64 v21, v5, v13, s7
	v_cndmask_b32_e64 v25, v12, v5, s7
	;; [unrolled: 1-line block ×4, first 2 shown]
	v_and_b32_e32 v10, v21, v28
	v_and_b32_e32 v15, v25, v28
	v_cmp_lt_u32_e64 s10, v5, v33
	v_cmp_ge_u32_e64 s11, v14, v34
	v_cmp_le_u16_sdwa s14, v15, v10 src0_sel:BYTE_0 src1_sel:BYTE_0
	s_and_b32 s10, s10, s14
	s_or_b32 s10, s11, s10
	v_cndmask_b32_e64 v10, v14, v5, s10
	v_cndmask_b32_e64 v15, v34, v33, s10
	v_add_nc_u32_e32 v16, 1, v10
	v_add_nc_u32_e32 v15, -1, v15
	v_lshl_add_u32 v10, v10, 3, v9
	v_cndmask_b32_e64 v5, v5, v16, s10
	v_min_u32_e32 v15, v16, v15
	v_cndmask_b32_e64 v14, v16, v14, s10
	v_cmp_lt_u32_e64 s11, v5, v33
	v_add_nc_u32_e32 v15, v11, v15
	v_cmp_ge_u32_e64 s14, v14, v34
	ds_read_u8 v15, v15
	s_waitcnt lgkmcnt(0)
	v_cndmask_b32_e64 v20, v15, v21, s10
	v_cndmask_b32_e64 v26, v25, v15, s10
	v_cndmask_b32_e64 v25, v21, v25, s10
	v_and_b32_e32 v15, v20, v28
	v_and_b32_e32 v17, v26, v28
	v_cmp_le_u16_sdwa s15, v17, v15 src0_sel:BYTE_0 src1_sel:BYTE_0
	s_and_b32 s11, s11, s15
	s_or_b32 s11, s14, s11
	v_cndmask_b32_e64 v15, v14, v5, s11
	v_cndmask_b32_e64 v16, v34, v33, s11
	v_add_nc_u32_e32 v17, 1, v15
	v_add_nc_u32_e32 v16, -1, v16
	v_cndmask_b32_e64 v5, v5, v17, s11
	v_min_u32_e32 v16, v17, v16
	v_cndmask_b32_e64 v14, v17, v14, s11
	v_cmp_lt_u32_e64 s14, v5, v33
	v_add_nc_u32_e32 v11, v11, v16
	v_cmp_ge_u32_e64 s15, v14, v34
	ds_read_u8 v11, v11
	s_waitcnt lgkmcnt(0)
	v_cndmask_b32_e64 v27, v11, v20, s11
	v_cndmask_b32_e64 v11, v26, v11, s11
	;; [unrolled: 1-line block ×3, first 2 shown]
	v_and_b32_e32 v16, v27, v28
	v_and_b32_e32 v18, v11, v28
	v_cmp_le_u16_sdwa s18, v18, v16 src0_sel:BYTE_0 src1_sel:BYTE_0
	v_lshl_add_u32 v16, v15, 3, v9
	s_and_b32 s14, s14, s18
	s_or_b32 s14, s15, s14
	v_cndmask_b32_e64 v5, v14, v5, s14
	v_cndmask_b32_e64 v27, v27, v11, s14
	v_lshl_add_u32 v9, v5, 3, v9
	ds_read_b64 v[4:5], v4 offset:1024
	ds_read_b64 v[14:15], v10 offset:1024
	;; [unrolled: 1-line block ×4, first 2 shown]
.LBB203_74:
	s_or_b32 exec_lo, exec_lo, s17
	; wave barrier
	s_waitcnt lgkmcnt(0)
	s_waitcnt_vscnt null, 0x0
	s_barrier
                                        ; implicit-def: $vgpr12
                                        ; implicit-def: $vgpr13
                                        ; implicit-def: $vgpr20
                                        ; implicit-def: $vgpr21
                                        ; implicit-def: $vgpr9
.LBB203_75:
	s_andn2_saveexec_b32 s14, s16
	s_cbranch_execz .LBB203_137
; %bb.76:
	s_load_dwordx2 s[10:11], s[8:9], 0x0
	v_mov_b32_e32 v10, 0
	s_waitcnt lgkmcnt(0)
	s_cmp_lt_u32 s13, s11
	s_cselect_b32 s7, 14, 20
	s_add_u32 s16, s8, s7
	s_addc_u32 s17, s9, 0
	s_cmp_lt_u32 s12, s10
	global_load_ushort v11, v10, s[16:17]
	s_cselect_b32 s7, 12, 18
	s_add_u32 s8, s8, s7
	s_addc_u32 s9, s9, 0
	global_load_ushort v10, v10, s[8:9]
	s_mov_b32 s9, exec_lo
	s_waitcnt vmcnt(1)
	v_mad_u32_u24 v11, v21, v11, v20
	s_waitcnt vmcnt(0)
	v_mul_lo_u32 v10, v11, v10
	v_add_lshl_u32 v11, v10, v9, 2
	v_cmpx_gt_u32_e32 0x400, v11
	s_cbranch_execz .LBB203_86
; %bb.77:
	v_perm_b32 v9, v26, v27, 0xc0c0004
	v_perm_b32 v10, v25, v24, 0xc0c0004
	;; [unrolled: 1-line block ×3, first 2 shown]
	v_cmp_gt_u16_sdwa s7, v24, v25 src0_sel:BYTE_0 src1_sel:BYTE_0
	v_lshlrev_b32_e32 v9, 16, v9
	v_or_b32_e32 v10, v10, v9
	v_or_b32_e32 v9, v20, v9
	v_cndmask_b32_e64 v24, v9, v10, s7
	v_mov_b32_e32 v9, v18
	v_mov_b32_e32 v10, v19
	v_lshrrev_b32_e32 v26, 16, v24
	v_lshrrev_b32_e32 v20, 24, v24
	;; [unrolled: 1-line block ×3, first 2 shown]
	v_cmp_gt_u16_sdwa s10, v26, v20 src0_sel:BYTE_0 src1_sel:DWORD
	v_mov_b32_e32 v27, v20
	s_and_saveexec_b32 s8, s10
; %bb.78:
	v_mov_b32_e32 v9, v16
	v_mov_b32_e32 v10, v17
	;; [unrolled: 1-line block ×6, first 2 shown]
; %bb.79:
	s_or_b32 exec_lo, exec_lo, s8
	v_cndmask_b32_e64 v20, v14, v4, s7
	v_cndmask_b32_e64 v21, v15, v5, s7
	v_cmp_gt_u16_sdwa s8, v25, v26 src0_sel:BYTE_0 src1_sel:BYTE_0
	v_mov_b32_e32 v18, v20
	v_mov_b32_e32 v19, v21
	s_and_saveexec_b32 s10, s8
	s_xor_b32 s8, exec_lo, s10
; %bb.80:
	v_mov_b32_e32 v19, v10
	v_mov_b32_e32 v28, v25
	;; [unrolled: 1-line block ×4, first 2 shown]
	v_swap_b32 v25, v26
	v_mov_b32_e32 v10, v21
; %bb.81:
	s_or_b32 exec_lo, exec_lo, s8
	v_perm_b32 v20, v26, v27, 0xc0c0004
	v_perm_b32 v21, v25, v24, 0xc0c0004
	;; [unrolled: 1-line block ×3, first 2 shown]
	v_cmp_gt_u16_sdwa s8, v24, v25 src0_sel:BYTE_0 src1_sel:BYTE_0
	v_lshlrev_b32_e32 v20, 16, v20
	v_or_b32_e32 v21, v21, v20
	v_or_b32_e32 v20, v26, v20
	v_cndmask_b32_e64 v24, v20, v21, s8
	v_mov_b32_e32 v21, v10
	v_mov_b32_e32 v20, v9
	v_lshrrev_b32_e32 v26, 16, v24
	v_lshrrev_b32_e32 v28, 24, v24
	;; [unrolled: 1-line block ×3, first 2 shown]
	v_cmp_gt_u16_sdwa s11, v26, v28 src0_sel:BYTE_0 src1_sel:DWORD
	v_mov_b32_e32 v27, v28
	s_and_saveexec_b32 s10, s11
; %bb.82:
	v_mov_b32_e32 v21, v17
	v_mov_b32_e32 v20, v16
	;; [unrolled: 1-line block ×6, first 2 shown]
; %bb.83:
	s_or_b32 exec_lo, exec_lo, s10
	v_cndmask_b32_e64 v9, v5, v15, s7
	v_cndmask_b32_e64 v10, v4, v14, s7
	;; [unrolled: 1-line block ×6, first 2 shown]
	v_mov_b32_e32 v18, v20
	v_cmp_gt_u16_sdwa s8, v25, v26 src0_sel:BYTE_0 src1_sel:BYTE_0
	v_mov_b32_e32 v19, v21
	s_and_saveexec_b32 s7, s8
; %bb.84:
	v_mov_b32_e32 v19, v15
	v_mov_b32_e32 v9, v25
	v_swap_b32 v25, v26
	v_mov_b32_e32 v18, v14
	v_mov_b32_e32 v14, v20
	;; [unrolled: 1-line block ×3, first 2 shown]
; %bb.85:
	s_or_b32 exec_lo, exec_lo, s7
.LBB203_86:
	s_or_b32 exec_lo, exec_lo, s9
	v_and_b32_e32 v9, 0xffffff80, v11
	v_or_b32_e32 v10, 4, v22
	v_and_b32_e32 v31, 0x78, v22
	v_perm_b32 v21, v24, v25, 0xc0c0004
	v_perm_b32 v28, v26, v27, 0xc0c0004
	v_sub_nc_u32_e64 v20, 0x400, v9 clamp
	v_add_co_u32 v11, s7, v12, v9
	v_add_co_ci_u32_e64 v12, null, 0, v13, s7
	v_min_u32_e32 v29, v20, v10
	v_and_b32_e32 v13, 4, v22
	v_lshl_or_b32 v21, v28, 16, v21
	s_mov_b32 s8, exec_lo
	v_add_nc_u32_e32 v10, 4, v29
	v_min_u32_e32 v32, v20, v13
	v_sub_nc_u32_e32 v34, v29, v31
	v_min_u32_e32 v30, v20, v10
	v_mad_u64_u32 v[9:10], null, v9, 7, v[11:12]
	v_add_co_u32 v10, null, v11, v22
	v_sub_nc_u32_e32 v13, v30, v29
	v_lshl_add_u32 v12, v22, 3, v9
	v_sub_nc_u32_e64 v33, v32, v13 clamp
	v_min_u32_e32 v13, v32, v34
	ds_write2_b64 v12, v[4:5], v[14:15] offset0:128 offset1:129
	ds_write_b64 v12, v[18:19] offset:1040
	ds_write_b32 v10, v21
	ds_write_b64 v12, v[16:17] offset:1048
	; wave barrier
	v_cmpx_lt_u32_e64 v33, v13
	s_cbranch_execz .LBB203_90
; %bb.87:
	v_add_co_u32 v21, null, v11, v31
	v_add_co_u32 v28, null, v11, v29
	s_mov_b32 s9, 0
	.p2align	6
.LBB203_88:                             ; =>This Inner Loop Header: Depth=1
	v_add_nc_u32_e32 v34, v13, v33
	v_lshrrev_b32_e32 v34, 1, v34
	v_not_b32_e32 v35, v34
	v_add_nc_u32_e32 v36, v21, v34
	v_add_nc_u32_e32 v37, 1, v34
	v_add3_u32 v35, v32, v35, v28
	ds_read_u8 v36, v36
	ds_read_u8 v35, v35
	s_waitcnt lgkmcnt(0)
	v_cmp_gt_u16_e64 s7, v36, v35
	v_cndmask_b32_e64 v13, v13, v34, s7
	v_cndmask_b32_e64 v33, v37, v33, s7
	v_cmp_ge_u32_e64 s7, v33, v13
	s_or_b32 s9, s7, s9
	s_andn2_b32 exec_lo, exec_lo, s9
	s_cbranch_execnz .LBB203_88
; %bb.89:
	s_or_b32 exec_lo, exec_lo, s9
.LBB203_90:
	s_or_b32 exec_lo, exec_lo, s8
	v_add_nc_u32_e32 v34, v29, v32
	v_add_nc_u32_e32 v32, v33, v31
	;; [unrolled: 1-line block ×5, first 2 shown]
	v_sub_nc_u32_e32 v31, v34, v33
	v_cmp_le_u32_e64 s7, v32, v29
	v_add_nc_u32_e32 v12, 0x418, v12
	v_cmp_le_u32_e64 s8, v31, v30
	s_or_b32 s7, s7, s8
	s_and_saveexec_b32 s12, s7
	s_cbranch_execz .LBB203_96
; %bb.91:
	v_cmp_lt_u32_e64 s7, v32, v29
                                        ; implicit-def: $vgpr24
	s_and_saveexec_b32 s8, s7
; %bb.92:
	v_add_nc_u32_e32 v4, v11, v32
	ds_read_u8 v24, v4
; %bb.93:
	s_or_b32 exec_lo, exec_lo, s8
	v_cmp_ge_u32_e64 s8, v31, v30
	s_mov_b32 s10, exec_lo
                                        ; implicit-def: $vgpr25
	v_cmpx_lt_u32_e64 v31, v30
; %bb.94:
	v_add_nc_u32_e32 v4, v11, v31
	ds_read_u8 v25, v4
; %bb.95:
	s_or_b32 exec_lo, exec_lo, s10
	s_waitcnt lgkmcnt(0)
	v_cmp_le_u16_sdwa s9, v24, v25 src0_sel:BYTE_0 src1_sel:BYTE_0
	s_and_b32 s7, s7, s9
	s_or_b32 s7, s8, s7
	v_cndmask_b32_e64 v4, v31, v32, s7
	v_cndmask_b32_e64 v5, v30, v29, s7
	v_add_nc_u32_e32 v14, 1, v4
	v_add_nc_u32_e32 v5, -1, v5
	v_lshl_add_u32 v4, v4, 3, v9
	v_cndmask_b32_e64 v15, v32, v14, s7
	v_min_u32_e32 v5, v14, v5
	v_cmp_lt_u32_e64 s8, v15, v29
	v_add_nc_u32_e32 v5, v11, v5
	ds_read_u8 v5, v5
	s_waitcnt lgkmcnt(0)
	v_cndmask_b32_e64 v26, v5, v25, s7
	v_cndmask_b32_e64 v27, v24, v5, s7
	;; [unrolled: 1-line block ×4, first 2 shown]
	v_cmp_le_u16_sdwa s10, v27, v26 src0_sel:BYTE_0 src1_sel:BYTE_0
	v_cmp_ge_u32_e64 s9, v5, v30
	s_and_b32 s8, s8, s10
	s_or_b32 s8, s9, s8
	v_cndmask_b32_e64 v14, v5, v15, s8
	v_cndmask_b32_e64 v16, v30, v29, s8
	;; [unrolled: 1-line block ×3, first 2 shown]
	v_add_nc_u32_e32 v17, 1, v14
	v_add_nc_u32_e32 v16, -1, v16
	v_lshl_add_u32 v14, v14, 3, v9
	v_cndmask_b32_e64 v15, v15, v17, s8
	v_min_u32_e32 v16, v17, v16
	v_cndmask_b32_e64 v5, v17, v5, s8
	v_cmp_lt_u32_e64 s9, v15, v29
	v_add_nc_u32_e32 v16, v11, v16
	v_cmp_ge_u32_e64 s10, v5, v30
	ds_read_u8 v16, v16
	s_waitcnt lgkmcnt(0)
	v_cndmask_b32_e64 v31, v16, v26, s8
	v_cndmask_b32_e64 v32, v27, v16, s8
	v_cmp_le_u16_sdwa s11, v32, v31 src0_sel:BYTE_0 src1_sel:BYTE_0
	s_and_b32 s9, s9, s11
	s_or_b32 s9, s10, s9
	v_cndmask_b32_e64 v16, v5, v15, s9
	v_cndmask_b32_e64 v17, v30, v29, s9
	;; [unrolled: 1-line block ×3, first 2 shown]
	v_add_nc_u32_e32 v18, 1, v16
	v_add_nc_u32_e32 v17, -1, v17
	v_lshl_add_u32 v16, v16, 3, v9
	v_cndmask_b32_e64 v15, v15, v18, s9
	v_min_u32_e32 v17, v18, v17
	v_cndmask_b32_e64 v5, v18, v5, s9
	v_cmp_lt_u32_e64 s10, v15, v29
	v_add_nc_u32_e32 v17, v11, v17
	v_cmp_ge_u32_e64 s11, v5, v30
	ds_read_u8 v17, v17
	s_waitcnt lgkmcnt(0)
	v_cndmask_b32_e64 v33, v17, v31, s9
	v_cndmask_b32_e64 v34, v32, v17, s9
	v_cmp_le_u16_sdwa s13, v34, v33 src0_sel:BYTE_0 src1_sel:BYTE_0
	s_and_b32 s10, s10, s13
	s_or_b32 s10, s11, s10
	v_cndmask_b32_e64 v5, v5, v15, s10
	v_cndmask_b32_e64 v27, v33, v34, s10
	v_lshl_add_u32 v17, v5, 3, v9
	ds_read_b64 v[4:5], v4 offset:1024
	ds_read_b64 v[14:15], v14 offset:1024
	;; [unrolled: 1-line block ×4, first 2 shown]
.LBB203_96:
	s_or_b32 exec_lo, exec_lo, s12
	v_and_b32_e32 v34, 0x70, v22
	v_and_b32_e32 v30, 12, v22
	s_mov_b32 s8, exec_lo
	; wave barrier
	v_or_b32_e32 v29, 8, v34
	v_min_u32_e32 v35, v20, v30
	ds_write_b8 v10, v24
	s_waitcnt lgkmcnt(4)
	ds_write_b64 v28, v[4:5]
	ds_write_b8 v10, v25 offset:1
	s_waitcnt lgkmcnt(5)
	ds_write_b64 v21, v[14:15]
	ds_write_b8 v10, v26 offset:2
	;; [unrolled: 3-line block ×3, first 2 shown]
	s_waitcnt lgkmcnt(7)
	ds_write_b64 v12, v[16:17]
	v_min_u32_e32 v32, v20, v29
	; wave barrier
	v_add_nc_u32_e32 v29, 8, v32
	v_sub_nc_u32_e32 v30, v32, v34
	v_min_u32_e32 v33, v20, v29
	v_sub_nc_u32_e32 v29, v33, v32
	v_sub_nc_u32_e64 v36, v35, v29 clamp
	v_min_u32_e32 v29, v35, v30
	v_cmpx_lt_u32_e64 v36, v29
	s_cbranch_execz .LBB203_100
; %bb.97:
	v_add_co_u32 v30, null, v11, v34
	v_add_co_u32 v31, null, v11, v32
	s_mov_b32 s9, 0
	.p2align	6
.LBB203_98:                             ; =>This Inner Loop Header: Depth=1
	v_add_nc_u32_e32 v37, v29, v36
	v_lshrrev_b32_e32 v37, 1, v37
	v_not_b32_e32 v38, v37
	v_add_nc_u32_e32 v39, v30, v37
	v_add_nc_u32_e32 v48, 1, v37
	v_add3_u32 v38, v35, v38, v31
	ds_read_u8 v39, v39
	ds_read_u8 v38, v38
	s_waitcnt lgkmcnt(0)
	v_cmp_gt_u16_e64 s7, v39, v38
	v_cndmask_b32_e64 v29, v29, v37, s7
	v_cndmask_b32_e64 v36, v48, v36, s7
	v_cmp_ge_u32_e64 s7, v36, v29
	s_or_b32 s9, s7, s9
	s_andn2_b32 exec_lo, exec_lo, s9
	s_cbranch_execnz .LBB203_98
; %bb.99:
	s_or_b32 exec_lo, exec_lo, s9
.LBB203_100:
	s_or_b32 exec_lo, exec_lo, s8
	v_add_nc_u32_e32 v37, v32, v35
	v_add_nc_u32_e32 v35, v36, v34
	;; [unrolled: 1-line block ×5, first 2 shown]
	v_sub_nc_u32_e32 v34, v37, v36
	v_cmp_le_u32_e64 s7, v35, v32
	v_cmp_le_u32_e64 s8, v34, v33
	s_or_b32 s7, s7, s8
	s_and_saveexec_b32 s12, s7
	s_cbranch_execz .LBB203_106
; %bb.101:
	v_cmp_lt_u32_e64 s7, v35, v32
                                        ; implicit-def: $vgpr24
	s_and_saveexec_b32 s8, s7
; %bb.102:
	v_add_nc_u32_e32 v4, v11, v35
	ds_read_u8 v24, v4
; %bb.103:
	s_or_b32 exec_lo, exec_lo, s8
	v_cmp_ge_u32_e64 s8, v34, v33
	s_mov_b32 s10, exec_lo
                                        ; implicit-def: $vgpr25
	v_cmpx_lt_u32_e64 v34, v33
; %bb.104:
	v_add_nc_u32_e32 v4, v11, v34
	ds_read_u8 v25, v4
; %bb.105:
	s_or_b32 exec_lo, exec_lo, s10
	s_waitcnt lgkmcnt(0)
	v_cmp_le_u16_sdwa s9, v24, v25 src0_sel:BYTE_0 src1_sel:BYTE_0
	s_and_b32 s7, s7, s9
	s_or_b32 s7, s8, s7
	v_cndmask_b32_e64 v4, v34, v35, s7
	v_cndmask_b32_e64 v5, v33, v32, s7
	v_add_nc_u32_e32 v14, 1, v4
	v_add_nc_u32_e32 v5, -1, v5
	v_lshl_add_u32 v4, v4, 3, v9
	v_cndmask_b32_e64 v15, v35, v14, s7
	v_min_u32_e32 v5, v14, v5
	v_cmp_lt_u32_e64 s8, v15, v32
	v_add_nc_u32_e32 v5, v11, v5
	ds_read_u8 v5, v5
	s_waitcnt lgkmcnt(0)
	v_cndmask_b32_e64 v26, v5, v25, s7
	v_cndmask_b32_e64 v27, v24, v5, s7
	;; [unrolled: 1-line block ×4, first 2 shown]
	v_cmp_le_u16_sdwa s10, v27, v26 src0_sel:BYTE_0 src1_sel:BYTE_0
	v_cmp_ge_u32_e64 s9, v5, v33
	s_and_b32 s8, s8, s10
	s_or_b32 s8, s9, s8
	v_cndmask_b32_e64 v14, v5, v15, s8
	v_cndmask_b32_e64 v16, v33, v32, s8
	;; [unrolled: 1-line block ×3, first 2 shown]
	v_add_nc_u32_e32 v17, 1, v14
	v_add_nc_u32_e32 v16, -1, v16
	v_lshl_add_u32 v14, v14, 3, v9
	v_cndmask_b32_e64 v15, v15, v17, s8
	v_min_u32_e32 v16, v17, v16
	v_cndmask_b32_e64 v5, v17, v5, s8
	v_cmp_lt_u32_e64 s9, v15, v32
	v_add_nc_u32_e32 v16, v11, v16
	v_cmp_ge_u32_e64 s10, v5, v33
	ds_read_u8 v16, v16
	s_waitcnt lgkmcnt(0)
	v_cndmask_b32_e64 v34, v16, v26, s8
	v_cndmask_b32_e64 v35, v27, v16, s8
	v_cmp_le_u16_sdwa s11, v35, v34 src0_sel:BYTE_0 src1_sel:BYTE_0
	s_and_b32 s9, s9, s11
	s_or_b32 s9, s10, s9
	v_cndmask_b32_e64 v16, v5, v15, s9
	v_cndmask_b32_e64 v17, v33, v32, s9
	;; [unrolled: 1-line block ×3, first 2 shown]
	v_add_nc_u32_e32 v18, 1, v16
	v_add_nc_u32_e32 v17, -1, v17
	v_lshl_add_u32 v16, v16, 3, v9
	v_cndmask_b32_e64 v15, v15, v18, s9
	v_min_u32_e32 v17, v18, v17
	v_cndmask_b32_e64 v5, v18, v5, s9
	v_cmp_lt_u32_e64 s10, v15, v32
	v_add_nc_u32_e32 v17, v11, v17
	v_cmp_ge_u32_e64 s11, v5, v33
	ds_read_u8 v17, v17
	s_waitcnt lgkmcnt(0)
	v_cndmask_b32_e64 v36, v17, v34, s9
	v_cndmask_b32_e64 v37, v35, v17, s9
	v_cmp_le_u16_sdwa s13, v37, v36 src0_sel:BYTE_0 src1_sel:BYTE_0
	s_and_b32 s10, s10, s13
	s_or_b32 s10, s11, s10
	v_cndmask_b32_e64 v5, v5, v15, s10
	v_cndmask_b32_e64 v27, v36, v37, s10
	v_lshl_add_u32 v17, v5, 3, v9
	ds_read_b64 v[4:5], v4 offset:1024
	ds_read_b64 v[14:15], v14 offset:1024
	;; [unrolled: 1-line block ×4, first 2 shown]
.LBB203_106:
	s_or_b32 exec_lo, exec_lo, s12
	v_and_b32_e32 v34, 0x60, v22
	v_and_b32_e32 v35, 28, v22
	s_mov_b32 s8, exec_lo
	; wave barrier
	v_or_b32_e32 v32, 16, v34
	v_min_u32_e32 v35, v20, v35
	ds_write_b8 v10, v24
	s_waitcnt lgkmcnt(4)
	ds_write_b64 v28, v[4:5]
	ds_write_b8 v31, v25
	s_waitcnt lgkmcnt(5)
	ds_write_b64 v21, v[14:15]
	;; [unrolled: 3-line block ×4, first 2 shown]
	v_min_u32_e32 v32, v20, v32
	; wave barrier
	v_add_nc_u32_e32 v33, 16, v32
	v_sub_nc_u32_e32 v37, v32, v34
	v_min_u32_e32 v33, v20, v33
	v_min_u32_e32 v37, v35, v37
	v_sub_nc_u32_e32 v36, v33, v32
	v_sub_nc_u32_e64 v36, v35, v36 clamp
	v_cmpx_lt_u32_e64 v36, v37
	s_cbranch_execz .LBB203_110
; %bb.107:
	v_add_co_u32 v38, null, v11, v34
	v_add_co_u32 v39, null, v11, v32
	s_mov_b32 s9, 0
	.p2align	6
.LBB203_108:                            ; =>This Inner Loop Header: Depth=1
	v_add_nc_u32_e32 v48, v37, v36
	v_lshrrev_b32_e32 v48, 1, v48
	v_not_b32_e32 v49, v48
	v_add_nc_u32_e32 v50, v38, v48
	v_add_nc_u32_e32 v51, 1, v48
	v_add3_u32 v49, v35, v49, v39
	ds_read_u8 v50, v50
	ds_read_u8 v49, v49
	s_waitcnt lgkmcnt(0)
	v_cmp_gt_u16_e64 s7, v50, v49
	v_cndmask_b32_e64 v37, v37, v48, s7
	v_cndmask_b32_e64 v36, v51, v36, s7
	v_cmp_ge_u32_e64 s7, v36, v37
	s_or_b32 s9, s7, s9
	s_andn2_b32 exec_lo, exec_lo, s9
	s_cbranch_execnz .LBB203_108
; %bb.109:
	s_or_b32 exec_lo, exec_lo, s9
.LBB203_110:
	s_or_b32 exec_lo, exec_lo, s8
	v_add_nc_u32_e32 v37, v32, v35
	v_add_nc_u32_e32 v35, v36, v34
	v_sub_nc_u32_e32 v34, v37, v36
	v_cmp_le_u32_e64 s7, v35, v32
	v_cmp_le_u32_e64 s8, v34, v33
	s_or_b32 s7, s7, s8
	s_and_saveexec_b32 s12, s7
	s_cbranch_execz .LBB203_116
; %bb.111:
	v_cmp_lt_u32_e64 s7, v35, v32
                                        ; implicit-def: $vgpr24
	s_and_saveexec_b32 s8, s7
; %bb.112:
	v_add_nc_u32_e32 v4, v11, v35
	ds_read_u8 v24, v4
; %bb.113:
	s_or_b32 exec_lo, exec_lo, s8
	v_cmp_ge_u32_e64 s8, v34, v33
	s_mov_b32 s10, exec_lo
                                        ; implicit-def: $vgpr25
	v_cmpx_lt_u32_e64 v34, v33
; %bb.114:
	v_add_nc_u32_e32 v4, v11, v34
	ds_read_u8 v25, v4
; %bb.115:
	s_or_b32 exec_lo, exec_lo, s10
	s_waitcnt lgkmcnt(0)
	v_cmp_le_u16_sdwa s9, v24, v25 src0_sel:BYTE_0 src1_sel:BYTE_0
	s_and_b32 s7, s7, s9
	s_or_b32 s7, s8, s7
	v_cndmask_b32_e64 v4, v34, v35, s7
	v_cndmask_b32_e64 v5, v33, v32, s7
	v_add_nc_u32_e32 v14, 1, v4
	v_add_nc_u32_e32 v5, -1, v5
	v_lshl_add_u32 v4, v4, 3, v9
	v_cndmask_b32_e64 v15, v35, v14, s7
	v_min_u32_e32 v5, v14, v5
	v_cmp_lt_u32_e64 s8, v15, v32
	v_add_nc_u32_e32 v5, v11, v5
	ds_read_u8 v5, v5
	s_waitcnt lgkmcnt(0)
	v_cndmask_b32_e64 v26, v5, v25, s7
	v_cndmask_b32_e64 v27, v24, v5, s7
	v_cndmask_b32_e64 v5, v14, v34, s7
	v_cndmask_b32_e64 v24, v25, v24, s7
	v_cmp_le_u16_sdwa s10, v27, v26 src0_sel:BYTE_0 src1_sel:BYTE_0
	v_cmp_ge_u32_e64 s9, v5, v33
	s_and_b32 s8, s8, s10
	s_or_b32 s8, s9, s8
	v_cndmask_b32_e64 v14, v5, v15, s8
	v_cndmask_b32_e64 v16, v33, v32, s8
	;; [unrolled: 1-line block ×3, first 2 shown]
	v_add_nc_u32_e32 v17, 1, v14
	v_add_nc_u32_e32 v16, -1, v16
	v_lshl_add_u32 v14, v14, 3, v9
	v_cndmask_b32_e64 v15, v15, v17, s8
	v_min_u32_e32 v16, v17, v16
	v_cndmask_b32_e64 v5, v17, v5, s8
	v_cmp_lt_u32_e64 s9, v15, v32
	v_add_nc_u32_e32 v16, v11, v16
	v_cmp_ge_u32_e64 s10, v5, v33
	ds_read_u8 v16, v16
	s_waitcnt lgkmcnt(0)
	v_cndmask_b32_e64 v34, v16, v26, s8
	v_cndmask_b32_e64 v35, v27, v16, s8
	v_cmp_le_u16_sdwa s11, v35, v34 src0_sel:BYTE_0 src1_sel:BYTE_0
	s_and_b32 s9, s9, s11
	s_or_b32 s9, s10, s9
	v_cndmask_b32_e64 v16, v5, v15, s9
	v_cndmask_b32_e64 v17, v33, v32, s9
	;; [unrolled: 1-line block ×3, first 2 shown]
	v_add_nc_u32_e32 v18, 1, v16
	v_add_nc_u32_e32 v17, -1, v17
	v_lshl_add_u32 v16, v16, 3, v9
	v_cndmask_b32_e64 v15, v15, v18, s9
	v_min_u32_e32 v17, v18, v17
	v_cndmask_b32_e64 v5, v18, v5, s9
	v_cmp_lt_u32_e64 s10, v15, v32
	v_add_nc_u32_e32 v17, v11, v17
	v_cmp_ge_u32_e64 s11, v5, v33
	ds_read_u8 v17, v17
	s_waitcnt lgkmcnt(0)
	v_cndmask_b32_e64 v36, v17, v34, s9
	v_cndmask_b32_e64 v37, v35, v17, s9
	v_cmp_le_u16_sdwa s13, v37, v36 src0_sel:BYTE_0 src1_sel:BYTE_0
	s_and_b32 s10, s10, s13
	s_or_b32 s10, s11, s10
	v_cndmask_b32_e64 v5, v5, v15, s10
	v_cndmask_b32_e64 v27, v36, v37, s10
	v_lshl_add_u32 v17, v5, 3, v9
	ds_read_b64 v[4:5], v4 offset:1024
	ds_read_b64 v[14:15], v14 offset:1024
	;; [unrolled: 1-line block ×4, first 2 shown]
.LBB203_116:
	s_or_b32 exec_lo, exec_lo, s12
	v_and_b32_e32 v34, 64, v22
	v_and_b32_e32 v35, 60, v22
	s_mov_b32 s8, exec_lo
	; wave barrier
	v_or_b32_e32 v32, 32, v34
	v_min_u32_e32 v35, v20, v35
	ds_write_b8 v10, v24
	s_waitcnt lgkmcnt(4)
	ds_write_b64 v28, v[4:5]
	ds_write_b8 v31, v25
	s_waitcnt lgkmcnt(5)
	ds_write_b64 v21, v[14:15]
	;; [unrolled: 3-line block ×4, first 2 shown]
	v_min_u32_e32 v32, v20, v32
	; wave barrier
	v_add_nc_u32_e32 v33, 32, v32
	v_sub_nc_u32_e32 v37, v32, v34
	v_min_u32_e32 v33, v20, v33
	v_min_u32_e32 v37, v35, v37
	v_sub_nc_u32_e32 v36, v33, v32
	v_sub_nc_u32_e64 v36, v35, v36 clamp
	v_cmpx_lt_u32_e64 v36, v37
	s_cbranch_execz .LBB203_120
; %bb.117:
	v_add_co_u32 v38, null, v11, v34
	v_add_co_u32 v39, null, v11, v32
	s_mov_b32 s9, 0
	.p2align	6
.LBB203_118:                            ; =>This Inner Loop Header: Depth=1
	v_add_nc_u32_e32 v48, v37, v36
	v_lshrrev_b32_e32 v48, 1, v48
	v_not_b32_e32 v49, v48
	v_add_nc_u32_e32 v50, v38, v48
	v_add_nc_u32_e32 v51, 1, v48
	v_add3_u32 v49, v35, v49, v39
	ds_read_u8 v50, v50
	ds_read_u8 v49, v49
	s_waitcnt lgkmcnt(0)
	v_cmp_gt_u16_e64 s7, v50, v49
	v_cndmask_b32_e64 v37, v37, v48, s7
	v_cndmask_b32_e64 v36, v51, v36, s7
	v_cmp_ge_u32_e64 s7, v36, v37
	s_or_b32 s9, s7, s9
	s_andn2_b32 exec_lo, exec_lo, s9
	s_cbranch_execnz .LBB203_118
; %bb.119:
	s_or_b32 exec_lo, exec_lo, s9
.LBB203_120:
	s_or_b32 exec_lo, exec_lo, s8
	v_add_nc_u32_e32 v37, v32, v35
	v_add_nc_u32_e32 v35, v36, v34
	v_sub_nc_u32_e32 v34, v37, v36
	v_cmp_le_u32_e64 s7, v35, v32
	v_cmp_le_u32_e64 s8, v34, v33
	s_or_b32 s7, s7, s8
	s_and_saveexec_b32 s12, s7
	s_cbranch_execz .LBB203_126
; %bb.121:
	v_cmp_lt_u32_e64 s7, v35, v32
                                        ; implicit-def: $vgpr24
	s_and_saveexec_b32 s8, s7
; %bb.122:
	v_add_nc_u32_e32 v4, v11, v35
	ds_read_u8 v24, v4
; %bb.123:
	s_or_b32 exec_lo, exec_lo, s8
	v_cmp_ge_u32_e64 s8, v34, v33
	s_mov_b32 s10, exec_lo
                                        ; implicit-def: $vgpr25
	v_cmpx_lt_u32_e64 v34, v33
; %bb.124:
	v_add_nc_u32_e32 v4, v11, v34
	ds_read_u8 v25, v4
; %bb.125:
	s_or_b32 exec_lo, exec_lo, s10
	s_waitcnt lgkmcnt(0)
	v_cmp_le_u16_sdwa s9, v24, v25 src0_sel:BYTE_0 src1_sel:BYTE_0
	s_and_b32 s7, s7, s9
	s_or_b32 s7, s8, s7
	v_cndmask_b32_e64 v4, v34, v35, s7
	v_cndmask_b32_e64 v5, v33, v32, s7
	v_add_nc_u32_e32 v14, 1, v4
	v_add_nc_u32_e32 v5, -1, v5
	v_lshl_add_u32 v4, v4, 3, v9
	v_cndmask_b32_e64 v15, v35, v14, s7
	v_min_u32_e32 v5, v14, v5
	v_cmp_lt_u32_e64 s8, v15, v32
	v_add_nc_u32_e32 v5, v11, v5
	ds_read_u8 v5, v5
	s_waitcnt lgkmcnt(0)
	v_cndmask_b32_e64 v26, v5, v25, s7
	v_cndmask_b32_e64 v27, v24, v5, s7
	;; [unrolled: 1-line block ×4, first 2 shown]
	v_cmp_le_u16_sdwa s10, v27, v26 src0_sel:BYTE_0 src1_sel:BYTE_0
	v_cmp_ge_u32_e64 s9, v5, v33
	s_and_b32 s8, s8, s10
	s_or_b32 s8, s9, s8
	v_cndmask_b32_e64 v14, v5, v15, s8
	v_cndmask_b32_e64 v16, v33, v32, s8
	;; [unrolled: 1-line block ×3, first 2 shown]
	v_add_nc_u32_e32 v17, 1, v14
	v_add_nc_u32_e32 v16, -1, v16
	v_lshl_add_u32 v14, v14, 3, v9
	v_cndmask_b32_e64 v15, v15, v17, s8
	v_min_u32_e32 v16, v17, v16
	v_cndmask_b32_e64 v5, v17, v5, s8
	v_cmp_lt_u32_e64 s9, v15, v32
	v_add_nc_u32_e32 v16, v11, v16
	v_cmp_ge_u32_e64 s10, v5, v33
	ds_read_u8 v16, v16
	s_waitcnt lgkmcnt(0)
	v_cndmask_b32_e64 v34, v16, v26, s8
	v_cndmask_b32_e64 v35, v27, v16, s8
	v_cmp_le_u16_sdwa s11, v35, v34 src0_sel:BYTE_0 src1_sel:BYTE_0
	s_and_b32 s9, s9, s11
	s_or_b32 s9, s10, s9
	v_cndmask_b32_e64 v16, v5, v15, s9
	v_cndmask_b32_e64 v17, v33, v32, s9
	;; [unrolled: 1-line block ×3, first 2 shown]
	v_add_nc_u32_e32 v18, 1, v16
	v_add_nc_u32_e32 v17, -1, v17
	v_lshl_add_u32 v16, v16, 3, v9
	v_cndmask_b32_e64 v15, v15, v18, s9
	v_min_u32_e32 v17, v18, v17
	v_cndmask_b32_e64 v5, v18, v5, s9
	v_cmp_lt_u32_e64 s10, v15, v32
	v_add_nc_u32_e32 v17, v11, v17
	v_cmp_ge_u32_e64 s11, v5, v33
	ds_read_u8 v17, v17
	s_waitcnt lgkmcnt(0)
	v_cndmask_b32_e64 v36, v17, v34, s9
	v_cndmask_b32_e64 v37, v35, v17, s9
	v_cmp_le_u16_sdwa s13, v37, v36 src0_sel:BYTE_0 src1_sel:BYTE_0
	s_and_b32 s10, s10, s13
	s_or_b32 s10, s11, s10
	v_cndmask_b32_e64 v5, v5, v15, s10
	v_cndmask_b32_e64 v27, v36, v37, s10
	v_lshl_add_u32 v17, v5, 3, v9
	ds_read_b64 v[4:5], v4 offset:1024
	ds_read_b64 v[14:15], v14 offset:1024
	;; [unrolled: 1-line block ×4, first 2 shown]
.LBB203_126:
	s_or_b32 exec_lo, exec_lo, s12
	v_min_u32_e32 v32, 64, v20
	; wave barrier
	ds_write_b8 v10, v24
	s_waitcnt lgkmcnt(4)
	ds_write_b64 v28, v[4:5]
	s_mov_b32 s8, exec_lo
	v_add_nc_u32_e32 v33, 64, v32
	ds_write_b8 v31, v25
	s_waitcnt lgkmcnt(5)
	ds_write_b64 v21, v[14:15]
	ds_write_b8 v30, v26
	s_waitcnt lgkmcnt(6)
	ds_write_b64 v13, v[18:19]
	;; [unrolled: 3-line block ×3, first 2 shown]
	; wave barrier
	v_min_u32_e32 v33, v20, v33
	v_min_u32_e32 v20, v20, v22
	v_sub_nc_u32_e32 v34, v33, v32
	v_min_u32_e32 v28, v20, v32
	v_sub_nc_u32_e64 v10, v20, v34 clamp
	v_cmpx_lt_u32_e64 v10, v28
	s_cbranch_execz .LBB203_130
; %bb.127:
	v_add_co_u32 v12, null, v11, v32
	s_mov_b32 s9, 0
	.p2align	6
.LBB203_128:                            ; =>This Inner Loop Header: Depth=1
	v_add_nc_u32_e32 v13, v28, v10
	v_lshrrev_b32_e32 v13, 1, v13
	v_not_b32_e32 v21, v13
	v_add_nc_u32_e32 v29, v11, v13
	v_add_nc_u32_e32 v30, 1, v13
	v_add3_u32 v21, v20, v21, v12
	ds_read_u8 v29, v29
	ds_read_u8 v21, v21
	s_waitcnt lgkmcnt(0)
	v_cmp_gt_u16_e64 s7, v29, v21
	v_cndmask_b32_e64 v28, v28, v13, s7
	v_cndmask_b32_e64 v10, v30, v10, s7
	v_cmp_ge_u32_e64 s7, v10, v28
	s_or_b32 s9, s7, s9
	s_andn2_b32 exec_lo, exec_lo, s9
	s_cbranch_execnz .LBB203_128
; %bb.129:
	s_or_b32 exec_lo, exec_lo, s9
.LBB203_130:
	s_or_b32 exec_lo, exec_lo, s8
	v_add_nc_u32_e32 v12, v32, v20
	v_cmp_le_u32_e64 s7, v10, v32
	v_sub_nc_u32_e32 v20, v12, v10
	v_cmp_le_u32_e64 s8, v20, v33
	s_or_b32 s7, s7, s8
	s_and_saveexec_b32 s12, s7
	s_cbranch_execz .LBB203_136
; %bb.131:
	v_cmp_lt_u32_e64 s7, v10, v32
                                        ; implicit-def: $vgpr12
	s_and_saveexec_b32 s8, s7
; %bb.132:
	v_add_nc_u32_e32 v4, v11, v10
	ds_read_u8 v12, v4
; %bb.133:
	s_or_b32 exec_lo, exec_lo, s8
	v_cmp_ge_u32_e64 s8, v20, v33
	s_mov_b32 s10, exec_lo
                                        ; implicit-def: $vgpr13
	v_cmpx_lt_u32_e64 v20, v33
; %bb.134:
	v_add_nc_u32_e32 v4, v11, v20
	ds_read_u8 v13, v4
; %bb.135:
	s_or_b32 exec_lo, exec_lo, s10
	s_waitcnt lgkmcnt(0)
	v_cmp_le_u16_sdwa s9, v12, v13 src0_sel:BYTE_0 src1_sel:BYTE_0
	s_and_b32 s7, s7, s9
	s_or_b32 s7, s8, s7
	v_cndmask_b32_e64 v4, v20, v10, s7
	v_cndmask_b32_e64 v5, v33, v32, s7
	v_cndmask_b32_e64 v24, v13, v12, s7
	v_add_nc_u32_e32 v14, 1, v4
	v_add_nc_u32_e32 v5, -1, v5
	v_lshl_add_u32 v4, v4, 3, v9
	v_cndmask_b32_e64 v10, v10, v14, s7
	v_min_u32_e32 v5, v14, v5
	v_cmp_lt_u32_e64 s8, v10, v32
	v_add_nc_u32_e32 v5, v11, v5
	ds_read_u8 v5, v5
	s_waitcnt lgkmcnt(0)
	v_cndmask_b32_e64 v21, v5, v13, s7
	v_cndmask_b32_e64 v25, v12, v5, s7
	;; [unrolled: 1-line block ×3, first 2 shown]
	v_cmp_le_u16_sdwa s10, v25, v21 src0_sel:BYTE_0 src1_sel:BYTE_0
	v_cmp_ge_u32_e64 s9, v5, v33
	s_and_b32 s8, s8, s10
	s_or_b32 s8, s9, s8
	v_cndmask_b32_e64 v14, v5, v10, s8
	v_cndmask_b32_e64 v15, v33, v32, s8
	v_add_nc_u32_e32 v16, 1, v14
	v_add_nc_u32_e32 v15, -1, v15
	v_cndmask_b32_e64 v10, v10, v16, s8
	v_min_u32_e32 v15, v16, v15
	v_cndmask_b32_e64 v5, v16, v5, s8
	v_cmp_lt_u32_e64 s9, v10, v32
	v_add_nc_u32_e32 v15, v11, v15
	v_cmp_ge_u32_e64 s10, v5, v33
	ds_read_u8 v15, v15
	s_waitcnt lgkmcnt(0)
	v_cndmask_b32_e64 v20, v15, v21, s8
	v_cndmask_b32_e64 v26, v25, v15, s8
	;; [unrolled: 1-line block ×3, first 2 shown]
	v_cmp_le_u16_sdwa s11, v26, v20 src0_sel:BYTE_0 src1_sel:BYTE_0
	s_and_b32 s9, s9, s11
	s_or_b32 s9, s10, s9
	v_cndmask_b32_e64 v15, v5, v10, s9
	v_cndmask_b32_e64 v16, v33, v32, s9
	v_add_nc_u32_e32 v17, 1, v15
	v_add_nc_u32_e32 v16, -1, v16
	v_cndmask_b32_e64 v10, v10, v17, s9
	v_min_u32_e32 v16, v17, v16
	v_cndmask_b32_e64 v5, v17, v5, s9
	v_cmp_lt_u32_e64 s10, v10, v32
	v_add_nc_u32_e32 v11, v11, v16
	v_cmp_ge_u32_e64 s11, v5, v33
	v_lshl_add_u32 v16, v15, 3, v9
	ds_read_u8 v11, v11
	s_waitcnt lgkmcnt(0)
	v_cndmask_b32_e64 v27, v11, v20, s9
	v_cndmask_b32_e64 v11, v26, v11, s9
	;; [unrolled: 1-line block ×3, first 2 shown]
	v_cmp_le_u16_sdwa s13, v11, v27 src0_sel:BYTE_0 src1_sel:BYTE_0
	s_and_b32 s10, s10, s13
	s_or_b32 s10, s11, s10
	v_cndmask_b32_e64 v5, v5, v10, s10
	v_lshl_add_u32 v10, v14, 3, v9
	v_cndmask_b32_e64 v27, v27, v11, s10
	v_lshl_add_u32 v9, v5, 3, v9
	ds_read_b64 v[4:5], v4 offset:1024
	ds_read_b64 v[14:15], v10 offset:1024
	;; [unrolled: 1-line block ×4, first 2 shown]
.LBB203_136:
	s_or_b32 exec_lo, exec_lo, s12
	; wave barrier
	s_waitcnt lgkmcnt(0)
	s_waitcnt_vscnt null, 0x0
	s_barrier
.LBB203_137:
	s_or_b32 exec_lo, exec_lo, s14
	v_add_co_u32 v2, s7, v2, v8
	v_add_co_ci_u32_e64 v3, null, 0, v3, s7
	s_waitcnt vmcnt(0) lgkmcnt(0)
	s_waitcnt_vscnt null, 0x0
	buffer_gl0_inv
	v_add_co_u32 v2, s7, v2, v22
	v_add_co_ci_u32_e64 v3, null, 0, v3, s7
	; wave barrier
	s_and_saveexec_b32 s7, vcc_lo
	s_cbranch_execnz .LBB203_150
; %bb.138:
	s_or_b32 exec_lo, exec_lo, s7
	s_and_saveexec_b32 s7, s4
	s_cbranch_execnz .LBB203_151
.LBB203_139:
	s_or_b32 exec_lo, exec_lo, s7
	s_and_saveexec_b32 s7, s5
	s_cbranch_execnz .LBB203_152
.LBB203_140:
	s_or_b32 exec_lo, exec_lo, s7
	s_and_saveexec_b32 s7, s6
	s_cbranch_execz .LBB203_142
.LBB203_141:
	flat_store_byte v[2:3], v27 offset:3
.LBB203_142:
	s_or_b32 exec_lo, exec_lo, s7
	v_add_co_u32 v0, s7, v6, v0
	v_add_co_ci_u32_e64 v1, null, v7, v1, s7
	v_add_co_u32 v0, s7, v0, v23
	v_add_co_ci_u32_e64 v1, null, 0, v1, s7
	; wave barrier
	s_and_saveexec_b32 s7, vcc_lo
	s_cbranch_execnz .LBB203_153
; %bb.143:
	s_or_b32 exec_lo, exec_lo, s7
	s_and_saveexec_b32 s7, s4
	s_cbranch_execnz .LBB203_154
.LBB203_144:
	s_or_b32 exec_lo, exec_lo, s7
	s_and_saveexec_b32 s4, s5
	s_cbranch_execnz .LBB203_155
.LBB203_145:
	s_or_b32 exec_lo, exec_lo, s4
	s_and_saveexec_b32 s4, s6
	s_cbranch_execnz .LBB203_156
.LBB203_146:
	s_or_b32 exec_lo, exec_lo, s4
	s_waitcnt lgkmcnt(0)
	s_setpc_b64 s[30:31]
.LBB203_147:
	flat_load_dwordx2 v[4:5], v[20:21]
	s_or_b32 exec_lo, exec_lo, s7
                                        ; implicit-def: $vgpr14_vgpr15
	s_and_saveexec_b32 s7, s4
	s_cbranch_execz .LBB203_10
.LBB203_148:
	flat_load_dwordx2 v[14:15], v[20:21] offset:8
	s_or_b32 exec_lo, exec_lo, s7
                                        ; implicit-def: $vgpr18_vgpr19
	s_and_saveexec_b32 s7, s5
	s_cbranch_execz .LBB203_11
.LBB203_149:
	flat_load_dwordx2 v[18:19], v[20:21] offset:16
	s_or_b32 exec_lo, exec_lo, s7
                                        ; implicit-def: $vgpr16_vgpr17
	s_and_saveexec_b32 s7, s6
	s_cbranch_execnz .LBB203_12
	s_branch .LBB203_13
.LBB203_150:
	flat_store_byte v[2:3], v24
	s_or_b32 exec_lo, exec_lo, s7
	s_and_saveexec_b32 s7, s4
	s_cbranch_execz .LBB203_139
.LBB203_151:
	flat_store_byte v[2:3], v25 offset:1
	s_or_b32 exec_lo, exec_lo, s7
	s_and_saveexec_b32 s7, s5
	s_cbranch_execz .LBB203_140
.LBB203_152:
	flat_store_byte v[2:3], v26 offset:2
	s_or_b32 exec_lo, exec_lo, s7
	s_and_saveexec_b32 s7, s6
	s_cbranch_execnz .LBB203_141
	s_branch .LBB203_142
.LBB203_153:
	flat_store_dwordx2 v[0:1], v[4:5]
	s_or_b32 exec_lo, exec_lo, s7
	s_and_saveexec_b32 s7, s4
	s_cbranch_execz .LBB203_144
.LBB203_154:
	flat_store_dwordx2 v[0:1], v[14:15] offset:8
	s_or_b32 exec_lo, exec_lo, s7
	s_and_saveexec_b32 s4, s5
	s_cbranch_execz .LBB203_145
.LBB203_155:
	flat_store_dwordx2 v[0:1], v[18:19] offset:16
	s_or_b32 exec_lo, exec_lo, s4
	s_and_saveexec_b32 s4, s6
	s_cbranch_execz .LBB203_146
.LBB203_156:
	flat_store_dwordx2 v[0:1], v[16:17] offset:24
	s_or_b32 exec_lo, exec_lo, s4
	s_waitcnt lgkmcnt(0)
	s_setpc_b64 s[30:31]
.Lfunc_end203:
	.size	_ZN7rocprim17ROCPRIM_400000_NS6detail26segmented_warp_sort_helperINS1_20WarpSortHelperConfigILj32ELj4ELj256EEEhlLi256ELb0EvE4sortIPKhPhPKlPlEEvT_T0_T1_T2_jjjjRNS5_12storage_typeE, .Lfunc_end203-_ZN7rocprim17ROCPRIM_400000_NS6detail26segmented_warp_sort_helperINS1_20WarpSortHelperConfigILj32ELj4ELj256EEEhlLi256ELb0EvE4sortIPKhPhPKlPlEEvT_T0_T1_T2_jjjjRNS5_12storage_typeE
                                        ; -- End function
	.set .L_ZN7rocprim17ROCPRIM_400000_NS6detail26segmented_warp_sort_helperINS1_20WarpSortHelperConfigILj32ELj4ELj256EEEhlLi256ELb0EvE4sortIPKhPhPKlPlEEvT_T0_T1_T2_jjjjRNS5_12storage_typeE.num_vgpr, 53
	.set .L_ZN7rocprim17ROCPRIM_400000_NS6detail26segmented_warp_sort_helperINS1_20WarpSortHelperConfigILj32ELj4ELj256EEEhlLi256ELb0EvE4sortIPKhPhPKlPlEEvT_T0_T1_T2_jjjjRNS5_12storage_typeE.num_agpr, 0
	.set .L_ZN7rocprim17ROCPRIM_400000_NS6detail26segmented_warp_sort_helperINS1_20WarpSortHelperConfigILj32ELj4ELj256EEEhlLi256ELb0EvE4sortIPKhPhPKlPlEEvT_T0_T1_T2_jjjjRNS5_12storage_typeE.numbered_sgpr, 32
	.set .L_ZN7rocprim17ROCPRIM_400000_NS6detail26segmented_warp_sort_helperINS1_20WarpSortHelperConfigILj32ELj4ELj256EEEhlLi256ELb0EvE4sortIPKhPhPKlPlEEvT_T0_T1_T2_jjjjRNS5_12storage_typeE.num_named_barrier, 0
	.set .L_ZN7rocprim17ROCPRIM_400000_NS6detail26segmented_warp_sort_helperINS1_20WarpSortHelperConfigILj32ELj4ELj256EEEhlLi256ELb0EvE4sortIPKhPhPKlPlEEvT_T0_T1_T2_jjjjRNS5_12storage_typeE.private_seg_size, 0
	.set .L_ZN7rocprim17ROCPRIM_400000_NS6detail26segmented_warp_sort_helperINS1_20WarpSortHelperConfigILj32ELj4ELj256EEEhlLi256ELb0EvE4sortIPKhPhPKlPlEEvT_T0_T1_T2_jjjjRNS5_12storage_typeE.uses_vcc, 1
	.set .L_ZN7rocprim17ROCPRIM_400000_NS6detail26segmented_warp_sort_helperINS1_20WarpSortHelperConfigILj32ELj4ELj256EEEhlLi256ELb0EvE4sortIPKhPhPKlPlEEvT_T0_T1_T2_jjjjRNS5_12storage_typeE.uses_flat_scratch, 0
	.set .L_ZN7rocprim17ROCPRIM_400000_NS6detail26segmented_warp_sort_helperINS1_20WarpSortHelperConfigILj32ELj4ELj256EEEhlLi256ELb0EvE4sortIPKhPhPKlPlEEvT_T0_T1_T2_jjjjRNS5_12storage_typeE.has_dyn_sized_stack, 0
	.set .L_ZN7rocprim17ROCPRIM_400000_NS6detail26segmented_warp_sort_helperINS1_20WarpSortHelperConfigILj32ELj4ELj256EEEhlLi256ELb0EvE4sortIPKhPhPKlPlEEvT_T0_T1_T2_jjjjRNS5_12storage_typeE.has_recursion, 0
	.set .L_ZN7rocprim17ROCPRIM_400000_NS6detail26segmented_warp_sort_helperINS1_20WarpSortHelperConfigILj32ELj4ELj256EEEhlLi256ELb0EvE4sortIPKhPhPKlPlEEvT_T0_T1_T2_jjjjRNS5_12storage_typeE.has_indirect_call, 0
	.section	.AMDGPU.csdata,"",@progbits
; Function info:
; codeLenInByte = 10924
; TotalNumSgprs: 34
; NumVgprs: 53
; ScratchSize: 0
; MemoryBound: 0
	.section	.text._ZN7rocprim17ROCPRIM_400000_NS6detail17trampoline_kernelINS0_14default_configENS1_36segmented_radix_sort_config_selectorIhlEEZNS1_25segmented_radix_sort_implIS3_Lb0EPKhPhPKlPlN2at6native12_GLOBAL__N_18offset_tEEE10hipError_tPvRmT1_PNSt15iterator_traitsISK_E10value_typeET2_T3_PNSL_ISQ_E10value_typeET4_jRbjT5_SW_jjP12ihipStream_tbEUlT_E0_NS1_11comp_targetILNS1_3genE8ELNS1_11target_archE1030ELNS1_3gpuE2ELNS1_3repE0EEENS1_60segmented_radix_sort_warp_sort_medium_config_static_selectorELNS0_4arch9wavefront6targetE0EEEvSK_,"axG",@progbits,_ZN7rocprim17ROCPRIM_400000_NS6detail17trampoline_kernelINS0_14default_configENS1_36segmented_radix_sort_config_selectorIhlEEZNS1_25segmented_radix_sort_implIS3_Lb0EPKhPhPKlPlN2at6native12_GLOBAL__N_18offset_tEEE10hipError_tPvRmT1_PNSt15iterator_traitsISK_E10value_typeET2_T3_PNSL_ISQ_E10value_typeET4_jRbjT5_SW_jjP12ihipStream_tbEUlT_E0_NS1_11comp_targetILNS1_3genE8ELNS1_11target_archE1030ELNS1_3gpuE2ELNS1_3repE0EEENS1_60segmented_radix_sort_warp_sort_medium_config_static_selectorELNS0_4arch9wavefront6targetE0EEEvSK_,comdat
	.globl	_ZN7rocprim17ROCPRIM_400000_NS6detail17trampoline_kernelINS0_14default_configENS1_36segmented_radix_sort_config_selectorIhlEEZNS1_25segmented_radix_sort_implIS3_Lb0EPKhPhPKlPlN2at6native12_GLOBAL__N_18offset_tEEE10hipError_tPvRmT1_PNSt15iterator_traitsISK_E10value_typeET2_T3_PNSL_ISQ_E10value_typeET4_jRbjT5_SW_jjP12ihipStream_tbEUlT_E0_NS1_11comp_targetILNS1_3genE8ELNS1_11target_archE1030ELNS1_3gpuE2ELNS1_3repE0EEENS1_60segmented_radix_sort_warp_sort_medium_config_static_selectorELNS0_4arch9wavefront6targetE0EEEvSK_ ; -- Begin function _ZN7rocprim17ROCPRIM_400000_NS6detail17trampoline_kernelINS0_14default_configENS1_36segmented_radix_sort_config_selectorIhlEEZNS1_25segmented_radix_sort_implIS3_Lb0EPKhPhPKlPlN2at6native12_GLOBAL__N_18offset_tEEE10hipError_tPvRmT1_PNSt15iterator_traitsISK_E10value_typeET2_T3_PNSL_ISQ_E10value_typeET4_jRbjT5_SW_jjP12ihipStream_tbEUlT_E0_NS1_11comp_targetILNS1_3genE8ELNS1_11target_archE1030ELNS1_3gpuE2ELNS1_3repE0EEENS1_60segmented_radix_sort_warp_sort_medium_config_static_selectorELNS0_4arch9wavefront6targetE0EEEvSK_
	.p2align	8
	.type	_ZN7rocprim17ROCPRIM_400000_NS6detail17trampoline_kernelINS0_14default_configENS1_36segmented_radix_sort_config_selectorIhlEEZNS1_25segmented_radix_sort_implIS3_Lb0EPKhPhPKlPlN2at6native12_GLOBAL__N_18offset_tEEE10hipError_tPvRmT1_PNSt15iterator_traitsISK_E10value_typeET2_T3_PNSL_ISQ_E10value_typeET4_jRbjT5_SW_jjP12ihipStream_tbEUlT_E0_NS1_11comp_targetILNS1_3genE8ELNS1_11target_archE1030ELNS1_3gpuE2ELNS1_3repE0EEENS1_60segmented_radix_sort_warp_sort_medium_config_static_selectorELNS0_4arch9wavefront6targetE0EEEvSK_,@function
_ZN7rocprim17ROCPRIM_400000_NS6detail17trampoline_kernelINS0_14default_configENS1_36segmented_radix_sort_config_selectorIhlEEZNS1_25segmented_radix_sort_implIS3_Lb0EPKhPhPKlPlN2at6native12_GLOBAL__N_18offset_tEEE10hipError_tPvRmT1_PNSt15iterator_traitsISK_E10value_typeET2_T3_PNSL_ISQ_E10value_typeET4_jRbjT5_SW_jjP12ihipStream_tbEUlT_E0_NS1_11comp_targetILNS1_3genE8ELNS1_11target_archE1030ELNS1_3gpuE2ELNS1_3repE0EEENS1_60segmented_radix_sort_warp_sort_medium_config_static_selectorELNS0_4arch9wavefront6targetE0EEEvSK_: ; @_ZN7rocprim17ROCPRIM_400000_NS6detail17trampoline_kernelINS0_14default_configENS1_36segmented_radix_sort_config_selectorIhlEEZNS1_25segmented_radix_sort_implIS3_Lb0EPKhPhPKlPlN2at6native12_GLOBAL__N_18offset_tEEE10hipError_tPvRmT1_PNSt15iterator_traitsISK_E10value_typeET2_T3_PNSL_ISQ_E10value_typeET4_jRbjT5_SW_jjP12ihipStream_tbEUlT_E0_NS1_11comp_targetILNS1_3genE8ELNS1_11target_archE1030ELNS1_3gpuE2ELNS1_3repE0EEENS1_60segmented_radix_sort_warp_sort_medium_config_static_selectorELNS0_4arch9wavefront6targetE0EEEvSK_
; %bb.0:
	s_add_u32 s0, s0, s8
	s_load_dword s8, s[4:5], 0x64
	s_addc_u32 s1, s1, 0
	s_mov_b32 s32, 0
	s_waitcnt lgkmcnt(0)
	s_lshr_b32 s9, s8, 16
	s_and_b32 s8, s8, 0xffff
	v_mad_u32_u24 v3, v2, s9, v1
	s_load_dword s9, s[4:5], 0x34
	v_mad_u64_u32 v[3:4], null, v3, s8, v[0:1]
	s_mov_b32 s8, exec_lo
	v_lshrrev_b32_e32 v3, 5, v3
	v_lshl_add_u32 v3, s6, 3, v3
	s_waitcnt lgkmcnt(0)
	v_cmpx_gt_u32_e64 s9, v3
	s_cbranch_execz .LBB204_6
; %bb.1:
	s_clause 0x1
	s_load_dwordx2 s[12:13], s[4:5], 0x38
	s_load_dwordx4 s[8:11], s[4:5], 0x40
	v_mov_b32_e32 v4, 0
	v_lshlrev_b64 v[3:4], 2, v[3:4]
	s_waitcnt lgkmcnt(0)
	v_add_co_u32 v3, vcc_lo, s12, v3
	v_add_co_ci_u32_e64 v4, null, s13, v4, vcc_lo
	global_load_dword v3, v[3:4], off
	s_waitcnt vmcnt(0)
	v_add_nc_u32_e32 v4, s9, v3
	v_add_nc_u32_e32 v3, s11, v3
	v_mul_lo_u32 v8, v4, s8
	v_mul_lo_u32 v40, v3, s10
	v_cmp_gt_u32_e32 vcc_lo, v40, v8
	s_and_b32 exec_lo, exec_lo, vcc_lo
	s_cbranch_execz .LBB204_6
; %bb.2:
	s_clause 0x3
	s_load_dword s8, s[4:5], 0x30
	s_load_dwordx4 s[36:39], s[4:5], 0x20
	s_load_dwordx8 s[20:27], s[4:5], 0x0
	s_load_dwordx2 s[28:29], s[4:5], 0x50
	v_lshlrev_b32_e32 v42, 20, v2
	v_lshlrev_b32_e32 v43, 10, v1
	s_waitcnt lgkmcnt(0)
	s_bitcmp0_b32 s8, 0
	s_mov_b32 s8, -1
	s_cbranch_scc0 .LBB204_4
; %bb.3:
	s_mov_b64 s[10:11], src_shared_base
	v_or3_b32 v31, v0, v43, v42
	v_mov_b32_e32 v41, v0
	v_mov_b32_e32 v0, s20
	v_mov_b32_e32 v1, s21
	v_mov_b32_e32 v2, s22
	v_mov_b32_e32 v3, s23
	v_mov_b32_e32 v4, s26
	v_mov_b32_e32 v5, s27
	v_mov_b32_e32 v6, s36
	v_mov_b32_e32 v7, s37
	v_mov_b32_e32 v9, v40
	v_mov_b32_e32 v10, s28
	v_mov_b32_e32 v11, s29
	v_mov_b32_e32 v12, 0
	v_mov_b32_e32 v13, s11
	s_add_u32 s8, s4, 0x58
	s_addc_u32 s9, s5, 0
	s_getpc_b64 s[14:15]
	s_add_u32 s14, s14, _ZN7rocprim17ROCPRIM_400000_NS6detail26segmented_warp_sort_helperINS1_20WarpSortHelperConfigILj32ELj4ELj256EEEhlLi256ELb0EvE4sortIPKhPhPKlPlEEvT_T0_T1_T2_jjjjRNS5_12storage_typeE@rel32@lo+4
	s_addc_u32 s15, s15, _ZN7rocprim17ROCPRIM_400000_NS6detail26segmented_warp_sort_helperINS1_20WarpSortHelperConfigILj32ELj4ELj256EEEhlLi256ELb0EvE4sortIPKhPhPKlPlEEvT_T0_T1_T2_jjjjRNS5_12storage_typeE@rel32@hi+12
	s_mov_b32 s12, s6
	s_mov_b32 s13, s7
	s_mov_b64 s[22:23], s[4:5]
	s_mov_b32 s19, s7
	s_mov_b32 s33, s6
	s_swappc_b64 s[30:31], s[14:15]
	v_mov_b32_e32 v0, v41
	s_mov_b32 s6, s33
	s_mov_b32 s7, s19
	s_mov_b64 s[4:5], s[22:23]
	s_mov_b32 s8, 0
.LBB204_4:
	s_andn2_b32 vcc_lo, exec_lo, s8
	s_cbranch_vccnz .LBB204_6
; %bb.5:
	s_mov_b64 s[10:11], src_shared_base
	v_or3_b32 v31, v0, v43, v42
	v_mov_b32_e32 v0, s20
	v_mov_b32_e32 v1, s21
	;; [unrolled: 1-line block ×13, first 2 shown]
	s_add_u32 s8, s4, 0x58
	s_addc_u32 s9, s5, 0
	s_getpc_b64 s[4:5]
	s_add_u32 s4, s4, _ZN7rocprim17ROCPRIM_400000_NS6detail26segmented_warp_sort_helperINS1_20WarpSortHelperConfigILj32ELj4ELj256EEEhlLi256ELb0EvE4sortIPKhPhPKlPlEEvT_T0_T1_T2_jjjjRNS5_12storage_typeE@rel32@lo+4
	s_addc_u32 s5, s5, _ZN7rocprim17ROCPRIM_400000_NS6detail26segmented_warp_sort_helperINS1_20WarpSortHelperConfigILj32ELj4ELj256EEEhlLi256ELb0EvE4sortIPKhPhPKlPlEEvT_T0_T1_T2_jjjjRNS5_12storage_typeE@rel32@hi+12
	s_mov_b32 s12, s6
	s_mov_b32 s13, s7
	s_swappc_b64 s[30:31], s[4:5]
.LBB204_6:
	s_endpgm
	.section	.rodata,"a",@progbits
	.p2align	6, 0x0
	.amdhsa_kernel _ZN7rocprim17ROCPRIM_400000_NS6detail17trampoline_kernelINS0_14default_configENS1_36segmented_radix_sort_config_selectorIhlEEZNS1_25segmented_radix_sort_implIS3_Lb0EPKhPhPKlPlN2at6native12_GLOBAL__N_18offset_tEEE10hipError_tPvRmT1_PNSt15iterator_traitsISK_E10value_typeET2_T3_PNSL_ISQ_E10value_typeET4_jRbjT5_SW_jjP12ihipStream_tbEUlT_E0_NS1_11comp_targetILNS1_3genE8ELNS1_11target_archE1030ELNS1_3gpuE2ELNS1_3repE0EEENS1_60segmented_radix_sort_warp_sort_medium_config_static_selectorELNS0_4arch9wavefront6targetE0EEEvSK_
		.amdhsa_group_segment_fixed_size 9216
		.amdhsa_private_segment_fixed_size 0
		.amdhsa_kernarg_size 344
		.amdhsa_user_sgpr_count 6
		.amdhsa_user_sgpr_private_segment_buffer 1
		.amdhsa_user_sgpr_dispatch_ptr 0
		.amdhsa_user_sgpr_queue_ptr 0
		.amdhsa_user_sgpr_kernarg_segment_ptr 1
		.amdhsa_user_sgpr_dispatch_id 0
		.amdhsa_user_sgpr_flat_scratch_init 0
		.amdhsa_user_sgpr_private_segment_size 0
		.amdhsa_wavefront_size32 1
		.amdhsa_uses_dynamic_stack 0
		.amdhsa_system_sgpr_private_segment_wavefront_offset 0
		.amdhsa_system_sgpr_workgroup_id_x 1
		.amdhsa_system_sgpr_workgroup_id_y 1
		.amdhsa_system_sgpr_workgroup_id_z 0
		.amdhsa_system_sgpr_workgroup_info 0
		.amdhsa_system_vgpr_workitem_id 2
		.amdhsa_next_free_vgpr 53
		.amdhsa_next_free_sgpr 40
		.amdhsa_reserve_vcc 1
		.amdhsa_reserve_flat_scratch 0
		.amdhsa_float_round_mode_32 0
		.amdhsa_float_round_mode_16_64 0
		.amdhsa_float_denorm_mode_32 3
		.amdhsa_float_denorm_mode_16_64 3
		.amdhsa_dx10_clamp 1
		.amdhsa_ieee_mode 1
		.amdhsa_fp16_overflow 0
		.amdhsa_workgroup_processor_mode 1
		.amdhsa_memory_ordered 1
		.amdhsa_forward_progress 1
		.amdhsa_shared_vgpr_count 0
		.amdhsa_exception_fp_ieee_invalid_op 0
		.amdhsa_exception_fp_denorm_src 0
		.amdhsa_exception_fp_ieee_div_zero 0
		.amdhsa_exception_fp_ieee_overflow 0
		.amdhsa_exception_fp_ieee_underflow 0
		.amdhsa_exception_fp_ieee_inexact 0
		.amdhsa_exception_int_div_zero 0
	.end_amdhsa_kernel
	.section	.text._ZN7rocprim17ROCPRIM_400000_NS6detail17trampoline_kernelINS0_14default_configENS1_36segmented_radix_sort_config_selectorIhlEEZNS1_25segmented_radix_sort_implIS3_Lb0EPKhPhPKlPlN2at6native12_GLOBAL__N_18offset_tEEE10hipError_tPvRmT1_PNSt15iterator_traitsISK_E10value_typeET2_T3_PNSL_ISQ_E10value_typeET4_jRbjT5_SW_jjP12ihipStream_tbEUlT_E0_NS1_11comp_targetILNS1_3genE8ELNS1_11target_archE1030ELNS1_3gpuE2ELNS1_3repE0EEENS1_60segmented_radix_sort_warp_sort_medium_config_static_selectorELNS0_4arch9wavefront6targetE0EEEvSK_,"axG",@progbits,_ZN7rocprim17ROCPRIM_400000_NS6detail17trampoline_kernelINS0_14default_configENS1_36segmented_radix_sort_config_selectorIhlEEZNS1_25segmented_radix_sort_implIS3_Lb0EPKhPhPKlPlN2at6native12_GLOBAL__N_18offset_tEEE10hipError_tPvRmT1_PNSt15iterator_traitsISK_E10value_typeET2_T3_PNSL_ISQ_E10value_typeET4_jRbjT5_SW_jjP12ihipStream_tbEUlT_E0_NS1_11comp_targetILNS1_3genE8ELNS1_11target_archE1030ELNS1_3gpuE2ELNS1_3repE0EEENS1_60segmented_radix_sort_warp_sort_medium_config_static_selectorELNS0_4arch9wavefront6targetE0EEEvSK_,comdat
.Lfunc_end204:
	.size	_ZN7rocprim17ROCPRIM_400000_NS6detail17trampoline_kernelINS0_14default_configENS1_36segmented_radix_sort_config_selectorIhlEEZNS1_25segmented_radix_sort_implIS3_Lb0EPKhPhPKlPlN2at6native12_GLOBAL__N_18offset_tEEE10hipError_tPvRmT1_PNSt15iterator_traitsISK_E10value_typeET2_T3_PNSL_ISQ_E10value_typeET4_jRbjT5_SW_jjP12ihipStream_tbEUlT_E0_NS1_11comp_targetILNS1_3genE8ELNS1_11target_archE1030ELNS1_3gpuE2ELNS1_3repE0EEENS1_60segmented_radix_sort_warp_sort_medium_config_static_selectorELNS0_4arch9wavefront6targetE0EEEvSK_, .Lfunc_end204-_ZN7rocprim17ROCPRIM_400000_NS6detail17trampoline_kernelINS0_14default_configENS1_36segmented_radix_sort_config_selectorIhlEEZNS1_25segmented_radix_sort_implIS3_Lb0EPKhPhPKlPlN2at6native12_GLOBAL__N_18offset_tEEE10hipError_tPvRmT1_PNSt15iterator_traitsISK_E10value_typeET2_T3_PNSL_ISQ_E10value_typeET4_jRbjT5_SW_jjP12ihipStream_tbEUlT_E0_NS1_11comp_targetILNS1_3genE8ELNS1_11target_archE1030ELNS1_3gpuE2ELNS1_3repE0EEENS1_60segmented_radix_sort_warp_sort_medium_config_static_selectorELNS0_4arch9wavefront6targetE0EEEvSK_
                                        ; -- End function
	.set _ZN7rocprim17ROCPRIM_400000_NS6detail17trampoline_kernelINS0_14default_configENS1_36segmented_radix_sort_config_selectorIhlEEZNS1_25segmented_radix_sort_implIS3_Lb0EPKhPhPKlPlN2at6native12_GLOBAL__N_18offset_tEEE10hipError_tPvRmT1_PNSt15iterator_traitsISK_E10value_typeET2_T3_PNSL_ISQ_E10value_typeET4_jRbjT5_SW_jjP12ihipStream_tbEUlT_E0_NS1_11comp_targetILNS1_3genE8ELNS1_11target_archE1030ELNS1_3gpuE2ELNS1_3repE0EEENS1_60segmented_radix_sort_warp_sort_medium_config_static_selectorELNS0_4arch9wavefront6targetE0EEEvSK_.num_vgpr, max(44, .L_ZN7rocprim17ROCPRIM_400000_NS6detail26segmented_warp_sort_helperINS1_20WarpSortHelperConfigILj32ELj4ELj256EEEhlLi256ELb0EvE4sortIPKhPhPKlPlEEvT_T0_T1_T2_jjjjRNS5_12storage_typeE.num_vgpr)
	.set _ZN7rocprim17ROCPRIM_400000_NS6detail17trampoline_kernelINS0_14default_configENS1_36segmented_radix_sort_config_selectorIhlEEZNS1_25segmented_radix_sort_implIS3_Lb0EPKhPhPKlPlN2at6native12_GLOBAL__N_18offset_tEEE10hipError_tPvRmT1_PNSt15iterator_traitsISK_E10value_typeET2_T3_PNSL_ISQ_E10value_typeET4_jRbjT5_SW_jjP12ihipStream_tbEUlT_E0_NS1_11comp_targetILNS1_3genE8ELNS1_11target_archE1030ELNS1_3gpuE2ELNS1_3repE0EEENS1_60segmented_radix_sort_warp_sort_medium_config_static_selectorELNS0_4arch9wavefront6targetE0EEEvSK_.num_agpr, max(0, .L_ZN7rocprim17ROCPRIM_400000_NS6detail26segmented_warp_sort_helperINS1_20WarpSortHelperConfigILj32ELj4ELj256EEEhlLi256ELb0EvE4sortIPKhPhPKlPlEEvT_T0_T1_T2_jjjjRNS5_12storage_typeE.num_agpr)
	.set _ZN7rocprim17ROCPRIM_400000_NS6detail17trampoline_kernelINS0_14default_configENS1_36segmented_radix_sort_config_selectorIhlEEZNS1_25segmented_radix_sort_implIS3_Lb0EPKhPhPKlPlN2at6native12_GLOBAL__N_18offset_tEEE10hipError_tPvRmT1_PNSt15iterator_traitsISK_E10value_typeET2_T3_PNSL_ISQ_E10value_typeET4_jRbjT5_SW_jjP12ihipStream_tbEUlT_E0_NS1_11comp_targetILNS1_3genE8ELNS1_11target_archE1030ELNS1_3gpuE2ELNS1_3repE0EEENS1_60segmented_radix_sort_warp_sort_medium_config_static_selectorELNS0_4arch9wavefront6targetE0EEEvSK_.numbered_sgpr, max(40, .L_ZN7rocprim17ROCPRIM_400000_NS6detail26segmented_warp_sort_helperINS1_20WarpSortHelperConfigILj32ELj4ELj256EEEhlLi256ELb0EvE4sortIPKhPhPKlPlEEvT_T0_T1_T2_jjjjRNS5_12storage_typeE.numbered_sgpr)
	.set _ZN7rocprim17ROCPRIM_400000_NS6detail17trampoline_kernelINS0_14default_configENS1_36segmented_radix_sort_config_selectorIhlEEZNS1_25segmented_radix_sort_implIS3_Lb0EPKhPhPKlPlN2at6native12_GLOBAL__N_18offset_tEEE10hipError_tPvRmT1_PNSt15iterator_traitsISK_E10value_typeET2_T3_PNSL_ISQ_E10value_typeET4_jRbjT5_SW_jjP12ihipStream_tbEUlT_E0_NS1_11comp_targetILNS1_3genE8ELNS1_11target_archE1030ELNS1_3gpuE2ELNS1_3repE0EEENS1_60segmented_radix_sort_warp_sort_medium_config_static_selectorELNS0_4arch9wavefront6targetE0EEEvSK_.num_named_barrier, max(0, .L_ZN7rocprim17ROCPRIM_400000_NS6detail26segmented_warp_sort_helperINS1_20WarpSortHelperConfigILj32ELj4ELj256EEEhlLi256ELb0EvE4sortIPKhPhPKlPlEEvT_T0_T1_T2_jjjjRNS5_12storage_typeE.num_named_barrier)
	.set _ZN7rocprim17ROCPRIM_400000_NS6detail17trampoline_kernelINS0_14default_configENS1_36segmented_radix_sort_config_selectorIhlEEZNS1_25segmented_radix_sort_implIS3_Lb0EPKhPhPKlPlN2at6native12_GLOBAL__N_18offset_tEEE10hipError_tPvRmT1_PNSt15iterator_traitsISK_E10value_typeET2_T3_PNSL_ISQ_E10value_typeET4_jRbjT5_SW_jjP12ihipStream_tbEUlT_E0_NS1_11comp_targetILNS1_3genE8ELNS1_11target_archE1030ELNS1_3gpuE2ELNS1_3repE0EEENS1_60segmented_radix_sort_warp_sort_medium_config_static_selectorELNS0_4arch9wavefront6targetE0EEEvSK_.private_seg_size, 0+max(.L_ZN7rocprim17ROCPRIM_400000_NS6detail26segmented_warp_sort_helperINS1_20WarpSortHelperConfigILj32ELj4ELj256EEEhlLi256ELb0EvE4sortIPKhPhPKlPlEEvT_T0_T1_T2_jjjjRNS5_12storage_typeE.private_seg_size)
	.set _ZN7rocprim17ROCPRIM_400000_NS6detail17trampoline_kernelINS0_14default_configENS1_36segmented_radix_sort_config_selectorIhlEEZNS1_25segmented_radix_sort_implIS3_Lb0EPKhPhPKlPlN2at6native12_GLOBAL__N_18offset_tEEE10hipError_tPvRmT1_PNSt15iterator_traitsISK_E10value_typeET2_T3_PNSL_ISQ_E10value_typeET4_jRbjT5_SW_jjP12ihipStream_tbEUlT_E0_NS1_11comp_targetILNS1_3genE8ELNS1_11target_archE1030ELNS1_3gpuE2ELNS1_3repE0EEENS1_60segmented_radix_sort_warp_sort_medium_config_static_selectorELNS0_4arch9wavefront6targetE0EEEvSK_.uses_vcc, or(1, .L_ZN7rocprim17ROCPRIM_400000_NS6detail26segmented_warp_sort_helperINS1_20WarpSortHelperConfigILj32ELj4ELj256EEEhlLi256ELb0EvE4sortIPKhPhPKlPlEEvT_T0_T1_T2_jjjjRNS5_12storage_typeE.uses_vcc)
	.set _ZN7rocprim17ROCPRIM_400000_NS6detail17trampoline_kernelINS0_14default_configENS1_36segmented_radix_sort_config_selectorIhlEEZNS1_25segmented_radix_sort_implIS3_Lb0EPKhPhPKlPlN2at6native12_GLOBAL__N_18offset_tEEE10hipError_tPvRmT1_PNSt15iterator_traitsISK_E10value_typeET2_T3_PNSL_ISQ_E10value_typeET4_jRbjT5_SW_jjP12ihipStream_tbEUlT_E0_NS1_11comp_targetILNS1_3genE8ELNS1_11target_archE1030ELNS1_3gpuE2ELNS1_3repE0EEENS1_60segmented_radix_sort_warp_sort_medium_config_static_selectorELNS0_4arch9wavefront6targetE0EEEvSK_.uses_flat_scratch, or(0, .L_ZN7rocprim17ROCPRIM_400000_NS6detail26segmented_warp_sort_helperINS1_20WarpSortHelperConfigILj32ELj4ELj256EEEhlLi256ELb0EvE4sortIPKhPhPKlPlEEvT_T0_T1_T2_jjjjRNS5_12storage_typeE.uses_flat_scratch)
	.set _ZN7rocprim17ROCPRIM_400000_NS6detail17trampoline_kernelINS0_14default_configENS1_36segmented_radix_sort_config_selectorIhlEEZNS1_25segmented_radix_sort_implIS3_Lb0EPKhPhPKlPlN2at6native12_GLOBAL__N_18offset_tEEE10hipError_tPvRmT1_PNSt15iterator_traitsISK_E10value_typeET2_T3_PNSL_ISQ_E10value_typeET4_jRbjT5_SW_jjP12ihipStream_tbEUlT_E0_NS1_11comp_targetILNS1_3genE8ELNS1_11target_archE1030ELNS1_3gpuE2ELNS1_3repE0EEENS1_60segmented_radix_sort_warp_sort_medium_config_static_selectorELNS0_4arch9wavefront6targetE0EEEvSK_.has_dyn_sized_stack, or(0, .L_ZN7rocprim17ROCPRIM_400000_NS6detail26segmented_warp_sort_helperINS1_20WarpSortHelperConfigILj32ELj4ELj256EEEhlLi256ELb0EvE4sortIPKhPhPKlPlEEvT_T0_T1_T2_jjjjRNS5_12storage_typeE.has_dyn_sized_stack)
	.set _ZN7rocprim17ROCPRIM_400000_NS6detail17trampoline_kernelINS0_14default_configENS1_36segmented_radix_sort_config_selectorIhlEEZNS1_25segmented_radix_sort_implIS3_Lb0EPKhPhPKlPlN2at6native12_GLOBAL__N_18offset_tEEE10hipError_tPvRmT1_PNSt15iterator_traitsISK_E10value_typeET2_T3_PNSL_ISQ_E10value_typeET4_jRbjT5_SW_jjP12ihipStream_tbEUlT_E0_NS1_11comp_targetILNS1_3genE8ELNS1_11target_archE1030ELNS1_3gpuE2ELNS1_3repE0EEENS1_60segmented_radix_sort_warp_sort_medium_config_static_selectorELNS0_4arch9wavefront6targetE0EEEvSK_.has_recursion, or(0, .L_ZN7rocprim17ROCPRIM_400000_NS6detail26segmented_warp_sort_helperINS1_20WarpSortHelperConfigILj32ELj4ELj256EEEhlLi256ELb0EvE4sortIPKhPhPKlPlEEvT_T0_T1_T2_jjjjRNS5_12storage_typeE.has_recursion)
	.set _ZN7rocprim17ROCPRIM_400000_NS6detail17trampoline_kernelINS0_14default_configENS1_36segmented_radix_sort_config_selectorIhlEEZNS1_25segmented_radix_sort_implIS3_Lb0EPKhPhPKlPlN2at6native12_GLOBAL__N_18offset_tEEE10hipError_tPvRmT1_PNSt15iterator_traitsISK_E10value_typeET2_T3_PNSL_ISQ_E10value_typeET4_jRbjT5_SW_jjP12ihipStream_tbEUlT_E0_NS1_11comp_targetILNS1_3genE8ELNS1_11target_archE1030ELNS1_3gpuE2ELNS1_3repE0EEENS1_60segmented_radix_sort_warp_sort_medium_config_static_selectorELNS0_4arch9wavefront6targetE0EEEvSK_.has_indirect_call, or(0, .L_ZN7rocprim17ROCPRIM_400000_NS6detail26segmented_warp_sort_helperINS1_20WarpSortHelperConfigILj32ELj4ELj256EEEhlLi256ELb0EvE4sortIPKhPhPKlPlEEvT_T0_T1_T2_jjjjRNS5_12storage_typeE.has_indirect_call)
	.section	.AMDGPU.csdata,"",@progbits
; Kernel info:
; codeLenInByte = 516
; TotalNumSgprs: 42
; NumVgprs: 53
; ScratchSize: 0
; MemoryBound: 0
; FloatMode: 240
; IeeeMode: 1
; LDSByteSize: 9216 bytes/workgroup (compile time only)
; SGPRBlocks: 0
; VGPRBlocks: 6
; NumSGPRsForWavesPerEU: 42
; NumVGPRsForWavesPerEU: 53
; Occupancy: 16
; WaveLimiterHint : 0
; COMPUTE_PGM_RSRC2:SCRATCH_EN: 0
; COMPUTE_PGM_RSRC2:USER_SGPR: 6
; COMPUTE_PGM_RSRC2:TRAP_HANDLER: 0
; COMPUTE_PGM_RSRC2:TGID_X_EN: 1
; COMPUTE_PGM_RSRC2:TGID_Y_EN: 1
; COMPUTE_PGM_RSRC2:TGID_Z_EN: 0
; COMPUTE_PGM_RSRC2:TIDIG_COMP_CNT: 2
	.section	.text._ZN7rocprim17ROCPRIM_400000_NS6detail17trampoline_kernelINS0_14default_configENS1_36segmented_radix_sort_config_selectorIhlEEZNS1_25segmented_radix_sort_implIS3_Lb0EPKhPhPKlPlN2at6native12_GLOBAL__N_18offset_tEEE10hipError_tPvRmT1_PNSt15iterator_traitsISK_E10value_typeET2_T3_PNSL_ISQ_E10value_typeET4_jRbjT5_SW_jjP12ihipStream_tbEUlT_E1_NS1_11comp_targetILNS1_3genE0ELNS1_11target_archE4294967295ELNS1_3gpuE0ELNS1_3repE0EEENS1_59segmented_radix_sort_warp_sort_small_config_static_selectorELNS0_4arch9wavefront6targetE0EEEvSK_,"axG",@progbits,_ZN7rocprim17ROCPRIM_400000_NS6detail17trampoline_kernelINS0_14default_configENS1_36segmented_radix_sort_config_selectorIhlEEZNS1_25segmented_radix_sort_implIS3_Lb0EPKhPhPKlPlN2at6native12_GLOBAL__N_18offset_tEEE10hipError_tPvRmT1_PNSt15iterator_traitsISK_E10value_typeET2_T3_PNSL_ISQ_E10value_typeET4_jRbjT5_SW_jjP12ihipStream_tbEUlT_E1_NS1_11comp_targetILNS1_3genE0ELNS1_11target_archE4294967295ELNS1_3gpuE0ELNS1_3repE0EEENS1_59segmented_radix_sort_warp_sort_small_config_static_selectorELNS0_4arch9wavefront6targetE0EEEvSK_,comdat
	.globl	_ZN7rocprim17ROCPRIM_400000_NS6detail17trampoline_kernelINS0_14default_configENS1_36segmented_radix_sort_config_selectorIhlEEZNS1_25segmented_radix_sort_implIS3_Lb0EPKhPhPKlPlN2at6native12_GLOBAL__N_18offset_tEEE10hipError_tPvRmT1_PNSt15iterator_traitsISK_E10value_typeET2_T3_PNSL_ISQ_E10value_typeET4_jRbjT5_SW_jjP12ihipStream_tbEUlT_E1_NS1_11comp_targetILNS1_3genE0ELNS1_11target_archE4294967295ELNS1_3gpuE0ELNS1_3repE0EEENS1_59segmented_radix_sort_warp_sort_small_config_static_selectorELNS0_4arch9wavefront6targetE0EEEvSK_ ; -- Begin function _ZN7rocprim17ROCPRIM_400000_NS6detail17trampoline_kernelINS0_14default_configENS1_36segmented_radix_sort_config_selectorIhlEEZNS1_25segmented_radix_sort_implIS3_Lb0EPKhPhPKlPlN2at6native12_GLOBAL__N_18offset_tEEE10hipError_tPvRmT1_PNSt15iterator_traitsISK_E10value_typeET2_T3_PNSL_ISQ_E10value_typeET4_jRbjT5_SW_jjP12ihipStream_tbEUlT_E1_NS1_11comp_targetILNS1_3genE0ELNS1_11target_archE4294967295ELNS1_3gpuE0ELNS1_3repE0EEENS1_59segmented_radix_sort_warp_sort_small_config_static_selectorELNS0_4arch9wavefront6targetE0EEEvSK_
	.p2align	8
	.type	_ZN7rocprim17ROCPRIM_400000_NS6detail17trampoline_kernelINS0_14default_configENS1_36segmented_radix_sort_config_selectorIhlEEZNS1_25segmented_radix_sort_implIS3_Lb0EPKhPhPKlPlN2at6native12_GLOBAL__N_18offset_tEEE10hipError_tPvRmT1_PNSt15iterator_traitsISK_E10value_typeET2_T3_PNSL_ISQ_E10value_typeET4_jRbjT5_SW_jjP12ihipStream_tbEUlT_E1_NS1_11comp_targetILNS1_3genE0ELNS1_11target_archE4294967295ELNS1_3gpuE0ELNS1_3repE0EEENS1_59segmented_radix_sort_warp_sort_small_config_static_selectorELNS0_4arch9wavefront6targetE0EEEvSK_,@function
_ZN7rocprim17ROCPRIM_400000_NS6detail17trampoline_kernelINS0_14default_configENS1_36segmented_radix_sort_config_selectorIhlEEZNS1_25segmented_radix_sort_implIS3_Lb0EPKhPhPKlPlN2at6native12_GLOBAL__N_18offset_tEEE10hipError_tPvRmT1_PNSt15iterator_traitsISK_E10value_typeET2_T3_PNSL_ISQ_E10value_typeET4_jRbjT5_SW_jjP12ihipStream_tbEUlT_E1_NS1_11comp_targetILNS1_3genE0ELNS1_11target_archE4294967295ELNS1_3gpuE0ELNS1_3repE0EEENS1_59segmented_radix_sort_warp_sort_small_config_static_selectorELNS0_4arch9wavefront6targetE0EEEvSK_: ; @_ZN7rocprim17ROCPRIM_400000_NS6detail17trampoline_kernelINS0_14default_configENS1_36segmented_radix_sort_config_selectorIhlEEZNS1_25segmented_radix_sort_implIS3_Lb0EPKhPhPKlPlN2at6native12_GLOBAL__N_18offset_tEEE10hipError_tPvRmT1_PNSt15iterator_traitsISK_E10value_typeET2_T3_PNSL_ISQ_E10value_typeET4_jRbjT5_SW_jjP12ihipStream_tbEUlT_E1_NS1_11comp_targetILNS1_3genE0ELNS1_11target_archE4294967295ELNS1_3gpuE0ELNS1_3repE0EEENS1_59segmented_radix_sort_warp_sort_small_config_static_selectorELNS0_4arch9wavefront6targetE0EEEvSK_
; %bb.0:
	.section	.rodata,"a",@progbits
	.p2align	6, 0x0
	.amdhsa_kernel _ZN7rocprim17ROCPRIM_400000_NS6detail17trampoline_kernelINS0_14default_configENS1_36segmented_radix_sort_config_selectorIhlEEZNS1_25segmented_radix_sort_implIS3_Lb0EPKhPhPKlPlN2at6native12_GLOBAL__N_18offset_tEEE10hipError_tPvRmT1_PNSt15iterator_traitsISK_E10value_typeET2_T3_PNSL_ISQ_E10value_typeET4_jRbjT5_SW_jjP12ihipStream_tbEUlT_E1_NS1_11comp_targetILNS1_3genE0ELNS1_11target_archE4294967295ELNS1_3gpuE0ELNS1_3repE0EEENS1_59segmented_radix_sort_warp_sort_small_config_static_selectorELNS0_4arch9wavefront6targetE0EEEvSK_
		.amdhsa_group_segment_fixed_size 0
		.amdhsa_private_segment_fixed_size 0
		.amdhsa_kernarg_size 88
		.amdhsa_user_sgpr_count 6
		.amdhsa_user_sgpr_private_segment_buffer 1
		.amdhsa_user_sgpr_dispatch_ptr 0
		.amdhsa_user_sgpr_queue_ptr 0
		.amdhsa_user_sgpr_kernarg_segment_ptr 1
		.amdhsa_user_sgpr_dispatch_id 0
		.amdhsa_user_sgpr_flat_scratch_init 0
		.amdhsa_user_sgpr_private_segment_size 0
		.amdhsa_wavefront_size32 1
		.amdhsa_uses_dynamic_stack 0
		.amdhsa_system_sgpr_private_segment_wavefront_offset 0
		.amdhsa_system_sgpr_workgroup_id_x 1
		.amdhsa_system_sgpr_workgroup_id_y 0
		.amdhsa_system_sgpr_workgroup_id_z 0
		.amdhsa_system_sgpr_workgroup_info 0
		.amdhsa_system_vgpr_workitem_id 0
		.amdhsa_next_free_vgpr 1
		.amdhsa_next_free_sgpr 1
		.amdhsa_reserve_vcc 0
		.amdhsa_reserve_flat_scratch 0
		.amdhsa_float_round_mode_32 0
		.amdhsa_float_round_mode_16_64 0
		.amdhsa_float_denorm_mode_32 3
		.amdhsa_float_denorm_mode_16_64 3
		.amdhsa_dx10_clamp 1
		.amdhsa_ieee_mode 1
		.amdhsa_fp16_overflow 0
		.amdhsa_workgroup_processor_mode 1
		.amdhsa_memory_ordered 1
		.amdhsa_forward_progress 1
		.amdhsa_shared_vgpr_count 0
		.amdhsa_exception_fp_ieee_invalid_op 0
		.amdhsa_exception_fp_denorm_src 0
		.amdhsa_exception_fp_ieee_div_zero 0
		.amdhsa_exception_fp_ieee_overflow 0
		.amdhsa_exception_fp_ieee_underflow 0
		.amdhsa_exception_fp_ieee_inexact 0
		.amdhsa_exception_int_div_zero 0
	.end_amdhsa_kernel
	.section	.text._ZN7rocprim17ROCPRIM_400000_NS6detail17trampoline_kernelINS0_14default_configENS1_36segmented_radix_sort_config_selectorIhlEEZNS1_25segmented_radix_sort_implIS3_Lb0EPKhPhPKlPlN2at6native12_GLOBAL__N_18offset_tEEE10hipError_tPvRmT1_PNSt15iterator_traitsISK_E10value_typeET2_T3_PNSL_ISQ_E10value_typeET4_jRbjT5_SW_jjP12ihipStream_tbEUlT_E1_NS1_11comp_targetILNS1_3genE0ELNS1_11target_archE4294967295ELNS1_3gpuE0ELNS1_3repE0EEENS1_59segmented_radix_sort_warp_sort_small_config_static_selectorELNS0_4arch9wavefront6targetE0EEEvSK_,"axG",@progbits,_ZN7rocprim17ROCPRIM_400000_NS6detail17trampoline_kernelINS0_14default_configENS1_36segmented_radix_sort_config_selectorIhlEEZNS1_25segmented_radix_sort_implIS3_Lb0EPKhPhPKlPlN2at6native12_GLOBAL__N_18offset_tEEE10hipError_tPvRmT1_PNSt15iterator_traitsISK_E10value_typeET2_T3_PNSL_ISQ_E10value_typeET4_jRbjT5_SW_jjP12ihipStream_tbEUlT_E1_NS1_11comp_targetILNS1_3genE0ELNS1_11target_archE4294967295ELNS1_3gpuE0ELNS1_3repE0EEENS1_59segmented_radix_sort_warp_sort_small_config_static_selectorELNS0_4arch9wavefront6targetE0EEEvSK_,comdat
.Lfunc_end205:
	.size	_ZN7rocprim17ROCPRIM_400000_NS6detail17trampoline_kernelINS0_14default_configENS1_36segmented_radix_sort_config_selectorIhlEEZNS1_25segmented_radix_sort_implIS3_Lb0EPKhPhPKlPlN2at6native12_GLOBAL__N_18offset_tEEE10hipError_tPvRmT1_PNSt15iterator_traitsISK_E10value_typeET2_T3_PNSL_ISQ_E10value_typeET4_jRbjT5_SW_jjP12ihipStream_tbEUlT_E1_NS1_11comp_targetILNS1_3genE0ELNS1_11target_archE4294967295ELNS1_3gpuE0ELNS1_3repE0EEENS1_59segmented_radix_sort_warp_sort_small_config_static_selectorELNS0_4arch9wavefront6targetE0EEEvSK_, .Lfunc_end205-_ZN7rocprim17ROCPRIM_400000_NS6detail17trampoline_kernelINS0_14default_configENS1_36segmented_radix_sort_config_selectorIhlEEZNS1_25segmented_radix_sort_implIS3_Lb0EPKhPhPKlPlN2at6native12_GLOBAL__N_18offset_tEEE10hipError_tPvRmT1_PNSt15iterator_traitsISK_E10value_typeET2_T3_PNSL_ISQ_E10value_typeET4_jRbjT5_SW_jjP12ihipStream_tbEUlT_E1_NS1_11comp_targetILNS1_3genE0ELNS1_11target_archE4294967295ELNS1_3gpuE0ELNS1_3repE0EEENS1_59segmented_radix_sort_warp_sort_small_config_static_selectorELNS0_4arch9wavefront6targetE0EEEvSK_
                                        ; -- End function
	.set _ZN7rocprim17ROCPRIM_400000_NS6detail17trampoline_kernelINS0_14default_configENS1_36segmented_radix_sort_config_selectorIhlEEZNS1_25segmented_radix_sort_implIS3_Lb0EPKhPhPKlPlN2at6native12_GLOBAL__N_18offset_tEEE10hipError_tPvRmT1_PNSt15iterator_traitsISK_E10value_typeET2_T3_PNSL_ISQ_E10value_typeET4_jRbjT5_SW_jjP12ihipStream_tbEUlT_E1_NS1_11comp_targetILNS1_3genE0ELNS1_11target_archE4294967295ELNS1_3gpuE0ELNS1_3repE0EEENS1_59segmented_radix_sort_warp_sort_small_config_static_selectorELNS0_4arch9wavefront6targetE0EEEvSK_.num_vgpr, 0
	.set _ZN7rocprim17ROCPRIM_400000_NS6detail17trampoline_kernelINS0_14default_configENS1_36segmented_radix_sort_config_selectorIhlEEZNS1_25segmented_radix_sort_implIS3_Lb0EPKhPhPKlPlN2at6native12_GLOBAL__N_18offset_tEEE10hipError_tPvRmT1_PNSt15iterator_traitsISK_E10value_typeET2_T3_PNSL_ISQ_E10value_typeET4_jRbjT5_SW_jjP12ihipStream_tbEUlT_E1_NS1_11comp_targetILNS1_3genE0ELNS1_11target_archE4294967295ELNS1_3gpuE0ELNS1_3repE0EEENS1_59segmented_radix_sort_warp_sort_small_config_static_selectorELNS0_4arch9wavefront6targetE0EEEvSK_.num_agpr, 0
	.set _ZN7rocprim17ROCPRIM_400000_NS6detail17trampoline_kernelINS0_14default_configENS1_36segmented_radix_sort_config_selectorIhlEEZNS1_25segmented_radix_sort_implIS3_Lb0EPKhPhPKlPlN2at6native12_GLOBAL__N_18offset_tEEE10hipError_tPvRmT1_PNSt15iterator_traitsISK_E10value_typeET2_T3_PNSL_ISQ_E10value_typeET4_jRbjT5_SW_jjP12ihipStream_tbEUlT_E1_NS1_11comp_targetILNS1_3genE0ELNS1_11target_archE4294967295ELNS1_3gpuE0ELNS1_3repE0EEENS1_59segmented_radix_sort_warp_sort_small_config_static_selectorELNS0_4arch9wavefront6targetE0EEEvSK_.numbered_sgpr, 0
	.set _ZN7rocprim17ROCPRIM_400000_NS6detail17trampoline_kernelINS0_14default_configENS1_36segmented_radix_sort_config_selectorIhlEEZNS1_25segmented_radix_sort_implIS3_Lb0EPKhPhPKlPlN2at6native12_GLOBAL__N_18offset_tEEE10hipError_tPvRmT1_PNSt15iterator_traitsISK_E10value_typeET2_T3_PNSL_ISQ_E10value_typeET4_jRbjT5_SW_jjP12ihipStream_tbEUlT_E1_NS1_11comp_targetILNS1_3genE0ELNS1_11target_archE4294967295ELNS1_3gpuE0ELNS1_3repE0EEENS1_59segmented_radix_sort_warp_sort_small_config_static_selectorELNS0_4arch9wavefront6targetE0EEEvSK_.num_named_barrier, 0
	.set _ZN7rocprim17ROCPRIM_400000_NS6detail17trampoline_kernelINS0_14default_configENS1_36segmented_radix_sort_config_selectorIhlEEZNS1_25segmented_radix_sort_implIS3_Lb0EPKhPhPKlPlN2at6native12_GLOBAL__N_18offset_tEEE10hipError_tPvRmT1_PNSt15iterator_traitsISK_E10value_typeET2_T3_PNSL_ISQ_E10value_typeET4_jRbjT5_SW_jjP12ihipStream_tbEUlT_E1_NS1_11comp_targetILNS1_3genE0ELNS1_11target_archE4294967295ELNS1_3gpuE0ELNS1_3repE0EEENS1_59segmented_radix_sort_warp_sort_small_config_static_selectorELNS0_4arch9wavefront6targetE0EEEvSK_.private_seg_size, 0
	.set _ZN7rocprim17ROCPRIM_400000_NS6detail17trampoline_kernelINS0_14default_configENS1_36segmented_radix_sort_config_selectorIhlEEZNS1_25segmented_radix_sort_implIS3_Lb0EPKhPhPKlPlN2at6native12_GLOBAL__N_18offset_tEEE10hipError_tPvRmT1_PNSt15iterator_traitsISK_E10value_typeET2_T3_PNSL_ISQ_E10value_typeET4_jRbjT5_SW_jjP12ihipStream_tbEUlT_E1_NS1_11comp_targetILNS1_3genE0ELNS1_11target_archE4294967295ELNS1_3gpuE0ELNS1_3repE0EEENS1_59segmented_radix_sort_warp_sort_small_config_static_selectorELNS0_4arch9wavefront6targetE0EEEvSK_.uses_vcc, 0
	.set _ZN7rocprim17ROCPRIM_400000_NS6detail17trampoline_kernelINS0_14default_configENS1_36segmented_radix_sort_config_selectorIhlEEZNS1_25segmented_radix_sort_implIS3_Lb0EPKhPhPKlPlN2at6native12_GLOBAL__N_18offset_tEEE10hipError_tPvRmT1_PNSt15iterator_traitsISK_E10value_typeET2_T3_PNSL_ISQ_E10value_typeET4_jRbjT5_SW_jjP12ihipStream_tbEUlT_E1_NS1_11comp_targetILNS1_3genE0ELNS1_11target_archE4294967295ELNS1_3gpuE0ELNS1_3repE0EEENS1_59segmented_radix_sort_warp_sort_small_config_static_selectorELNS0_4arch9wavefront6targetE0EEEvSK_.uses_flat_scratch, 0
	.set _ZN7rocprim17ROCPRIM_400000_NS6detail17trampoline_kernelINS0_14default_configENS1_36segmented_radix_sort_config_selectorIhlEEZNS1_25segmented_radix_sort_implIS3_Lb0EPKhPhPKlPlN2at6native12_GLOBAL__N_18offset_tEEE10hipError_tPvRmT1_PNSt15iterator_traitsISK_E10value_typeET2_T3_PNSL_ISQ_E10value_typeET4_jRbjT5_SW_jjP12ihipStream_tbEUlT_E1_NS1_11comp_targetILNS1_3genE0ELNS1_11target_archE4294967295ELNS1_3gpuE0ELNS1_3repE0EEENS1_59segmented_radix_sort_warp_sort_small_config_static_selectorELNS0_4arch9wavefront6targetE0EEEvSK_.has_dyn_sized_stack, 0
	.set _ZN7rocprim17ROCPRIM_400000_NS6detail17trampoline_kernelINS0_14default_configENS1_36segmented_radix_sort_config_selectorIhlEEZNS1_25segmented_radix_sort_implIS3_Lb0EPKhPhPKlPlN2at6native12_GLOBAL__N_18offset_tEEE10hipError_tPvRmT1_PNSt15iterator_traitsISK_E10value_typeET2_T3_PNSL_ISQ_E10value_typeET4_jRbjT5_SW_jjP12ihipStream_tbEUlT_E1_NS1_11comp_targetILNS1_3genE0ELNS1_11target_archE4294967295ELNS1_3gpuE0ELNS1_3repE0EEENS1_59segmented_radix_sort_warp_sort_small_config_static_selectorELNS0_4arch9wavefront6targetE0EEEvSK_.has_recursion, 0
	.set _ZN7rocprim17ROCPRIM_400000_NS6detail17trampoline_kernelINS0_14default_configENS1_36segmented_radix_sort_config_selectorIhlEEZNS1_25segmented_radix_sort_implIS3_Lb0EPKhPhPKlPlN2at6native12_GLOBAL__N_18offset_tEEE10hipError_tPvRmT1_PNSt15iterator_traitsISK_E10value_typeET2_T3_PNSL_ISQ_E10value_typeET4_jRbjT5_SW_jjP12ihipStream_tbEUlT_E1_NS1_11comp_targetILNS1_3genE0ELNS1_11target_archE4294967295ELNS1_3gpuE0ELNS1_3repE0EEENS1_59segmented_radix_sort_warp_sort_small_config_static_selectorELNS0_4arch9wavefront6targetE0EEEvSK_.has_indirect_call, 0
	.section	.AMDGPU.csdata,"",@progbits
; Kernel info:
; codeLenInByte = 0
; TotalNumSgprs: 0
; NumVgprs: 0
; ScratchSize: 0
; MemoryBound: 0
; FloatMode: 240
; IeeeMode: 1
; LDSByteSize: 0 bytes/workgroup (compile time only)
; SGPRBlocks: 0
; VGPRBlocks: 0
; NumSGPRsForWavesPerEU: 1
; NumVGPRsForWavesPerEU: 1
; Occupancy: 16
; WaveLimiterHint : 0
; COMPUTE_PGM_RSRC2:SCRATCH_EN: 0
; COMPUTE_PGM_RSRC2:USER_SGPR: 6
; COMPUTE_PGM_RSRC2:TRAP_HANDLER: 0
; COMPUTE_PGM_RSRC2:TGID_X_EN: 1
; COMPUTE_PGM_RSRC2:TGID_Y_EN: 0
; COMPUTE_PGM_RSRC2:TGID_Z_EN: 0
; COMPUTE_PGM_RSRC2:TIDIG_COMP_CNT: 0
	.section	.text._ZN7rocprim17ROCPRIM_400000_NS6detail17trampoline_kernelINS0_14default_configENS1_36segmented_radix_sort_config_selectorIhlEEZNS1_25segmented_radix_sort_implIS3_Lb0EPKhPhPKlPlN2at6native12_GLOBAL__N_18offset_tEEE10hipError_tPvRmT1_PNSt15iterator_traitsISK_E10value_typeET2_T3_PNSL_ISQ_E10value_typeET4_jRbjT5_SW_jjP12ihipStream_tbEUlT_E1_NS1_11comp_targetILNS1_3genE5ELNS1_11target_archE942ELNS1_3gpuE9ELNS1_3repE0EEENS1_59segmented_radix_sort_warp_sort_small_config_static_selectorELNS0_4arch9wavefront6targetE0EEEvSK_,"axG",@progbits,_ZN7rocprim17ROCPRIM_400000_NS6detail17trampoline_kernelINS0_14default_configENS1_36segmented_radix_sort_config_selectorIhlEEZNS1_25segmented_radix_sort_implIS3_Lb0EPKhPhPKlPlN2at6native12_GLOBAL__N_18offset_tEEE10hipError_tPvRmT1_PNSt15iterator_traitsISK_E10value_typeET2_T3_PNSL_ISQ_E10value_typeET4_jRbjT5_SW_jjP12ihipStream_tbEUlT_E1_NS1_11comp_targetILNS1_3genE5ELNS1_11target_archE942ELNS1_3gpuE9ELNS1_3repE0EEENS1_59segmented_radix_sort_warp_sort_small_config_static_selectorELNS0_4arch9wavefront6targetE0EEEvSK_,comdat
	.globl	_ZN7rocprim17ROCPRIM_400000_NS6detail17trampoline_kernelINS0_14default_configENS1_36segmented_radix_sort_config_selectorIhlEEZNS1_25segmented_radix_sort_implIS3_Lb0EPKhPhPKlPlN2at6native12_GLOBAL__N_18offset_tEEE10hipError_tPvRmT1_PNSt15iterator_traitsISK_E10value_typeET2_T3_PNSL_ISQ_E10value_typeET4_jRbjT5_SW_jjP12ihipStream_tbEUlT_E1_NS1_11comp_targetILNS1_3genE5ELNS1_11target_archE942ELNS1_3gpuE9ELNS1_3repE0EEENS1_59segmented_radix_sort_warp_sort_small_config_static_selectorELNS0_4arch9wavefront6targetE0EEEvSK_ ; -- Begin function _ZN7rocprim17ROCPRIM_400000_NS6detail17trampoline_kernelINS0_14default_configENS1_36segmented_radix_sort_config_selectorIhlEEZNS1_25segmented_radix_sort_implIS3_Lb0EPKhPhPKlPlN2at6native12_GLOBAL__N_18offset_tEEE10hipError_tPvRmT1_PNSt15iterator_traitsISK_E10value_typeET2_T3_PNSL_ISQ_E10value_typeET4_jRbjT5_SW_jjP12ihipStream_tbEUlT_E1_NS1_11comp_targetILNS1_3genE5ELNS1_11target_archE942ELNS1_3gpuE9ELNS1_3repE0EEENS1_59segmented_radix_sort_warp_sort_small_config_static_selectorELNS0_4arch9wavefront6targetE0EEEvSK_
	.p2align	8
	.type	_ZN7rocprim17ROCPRIM_400000_NS6detail17trampoline_kernelINS0_14default_configENS1_36segmented_radix_sort_config_selectorIhlEEZNS1_25segmented_radix_sort_implIS3_Lb0EPKhPhPKlPlN2at6native12_GLOBAL__N_18offset_tEEE10hipError_tPvRmT1_PNSt15iterator_traitsISK_E10value_typeET2_T3_PNSL_ISQ_E10value_typeET4_jRbjT5_SW_jjP12ihipStream_tbEUlT_E1_NS1_11comp_targetILNS1_3genE5ELNS1_11target_archE942ELNS1_3gpuE9ELNS1_3repE0EEENS1_59segmented_radix_sort_warp_sort_small_config_static_selectorELNS0_4arch9wavefront6targetE0EEEvSK_,@function
_ZN7rocprim17ROCPRIM_400000_NS6detail17trampoline_kernelINS0_14default_configENS1_36segmented_radix_sort_config_selectorIhlEEZNS1_25segmented_radix_sort_implIS3_Lb0EPKhPhPKlPlN2at6native12_GLOBAL__N_18offset_tEEE10hipError_tPvRmT1_PNSt15iterator_traitsISK_E10value_typeET2_T3_PNSL_ISQ_E10value_typeET4_jRbjT5_SW_jjP12ihipStream_tbEUlT_E1_NS1_11comp_targetILNS1_3genE5ELNS1_11target_archE942ELNS1_3gpuE9ELNS1_3repE0EEENS1_59segmented_radix_sort_warp_sort_small_config_static_selectorELNS0_4arch9wavefront6targetE0EEEvSK_: ; @_ZN7rocprim17ROCPRIM_400000_NS6detail17trampoline_kernelINS0_14default_configENS1_36segmented_radix_sort_config_selectorIhlEEZNS1_25segmented_radix_sort_implIS3_Lb0EPKhPhPKlPlN2at6native12_GLOBAL__N_18offset_tEEE10hipError_tPvRmT1_PNSt15iterator_traitsISK_E10value_typeET2_T3_PNSL_ISQ_E10value_typeET4_jRbjT5_SW_jjP12ihipStream_tbEUlT_E1_NS1_11comp_targetILNS1_3genE5ELNS1_11target_archE942ELNS1_3gpuE9ELNS1_3repE0EEENS1_59segmented_radix_sort_warp_sort_small_config_static_selectorELNS0_4arch9wavefront6targetE0EEEvSK_
; %bb.0:
	.section	.rodata,"a",@progbits
	.p2align	6, 0x0
	.amdhsa_kernel _ZN7rocprim17ROCPRIM_400000_NS6detail17trampoline_kernelINS0_14default_configENS1_36segmented_radix_sort_config_selectorIhlEEZNS1_25segmented_radix_sort_implIS3_Lb0EPKhPhPKlPlN2at6native12_GLOBAL__N_18offset_tEEE10hipError_tPvRmT1_PNSt15iterator_traitsISK_E10value_typeET2_T3_PNSL_ISQ_E10value_typeET4_jRbjT5_SW_jjP12ihipStream_tbEUlT_E1_NS1_11comp_targetILNS1_3genE5ELNS1_11target_archE942ELNS1_3gpuE9ELNS1_3repE0EEENS1_59segmented_radix_sort_warp_sort_small_config_static_selectorELNS0_4arch9wavefront6targetE0EEEvSK_
		.amdhsa_group_segment_fixed_size 0
		.amdhsa_private_segment_fixed_size 0
		.amdhsa_kernarg_size 88
		.amdhsa_user_sgpr_count 6
		.amdhsa_user_sgpr_private_segment_buffer 1
		.amdhsa_user_sgpr_dispatch_ptr 0
		.amdhsa_user_sgpr_queue_ptr 0
		.amdhsa_user_sgpr_kernarg_segment_ptr 1
		.amdhsa_user_sgpr_dispatch_id 0
		.amdhsa_user_sgpr_flat_scratch_init 0
		.amdhsa_user_sgpr_private_segment_size 0
		.amdhsa_wavefront_size32 1
		.amdhsa_uses_dynamic_stack 0
		.amdhsa_system_sgpr_private_segment_wavefront_offset 0
		.amdhsa_system_sgpr_workgroup_id_x 1
		.amdhsa_system_sgpr_workgroup_id_y 0
		.amdhsa_system_sgpr_workgroup_id_z 0
		.amdhsa_system_sgpr_workgroup_info 0
		.amdhsa_system_vgpr_workitem_id 0
		.amdhsa_next_free_vgpr 1
		.amdhsa_next_free_sgpr 1
		.amdhsa_reserve_vcc 0
		.amdhsa_reserve_flat_scratch 0
		.amdhsa_float_round_mode_32 0
		.amdhsa_float_round_mode_16_64 0
		.amdhsa_float_denorm_mode_32 3
		.amdhsa_float_denorm_mode_16_64 3
		.amdhsa_dx10_clamp 1
		.amdhsa_ieee_mode 1
		.amdhsa_fp16_overflow 0
		.amdhsa_workgroup_processor_mode 1
		.amdhsa_memory_ordered 1
		.amdhsa_forward_progress 1
		.amdhsa_shared_vgpr_count 0
		.amdhsa_exception_fp_ieee_invalid_op 0
		.amdhsa_exception_fp_denorm_src 0
		.amdhsa_exception_fp_ieee_div_zero 0
		.amdhsa_exception_fp_ieee_overflow 0
		.amdhsa_exception_fp_ieee_underflow 0
		.amdhsa_exception_fp_ieee_inexact 0
		.amdhsa_exception_int_div_zero 0
	.end_amdhsa_kernel
	.section	.text._ZN7rocprim17ROCPRIM_400000_NS6detail17trampoline_kernelINS0_14default_configENS1_36segmented_radix_sort_config_selectorIhlEEZNS1_25segmented_radix_sort_implIS3_Lb0EPKhPhPKlPlN2at6native12_GLOBAL__N_18offset_tEEE10hipError_tPvRmT1_PNSt15iterator_traitsISK_E10value_typeET2_T3_PNSL_ISQ_E10value_typeET4_jRbjT5_SW_jjP12ihipStream_tbEUlT_E1_NS1_11comp_targetILNS1_3genE5ELNS1_11target_archE942ELNS1_3gpuE9ELNS1_3repE0EEENS1_59segmented_radix_sort_warp_sort_small_config_static_selectorELNS0_4arch9wavefront6targetE0EEEvSK_,"axG",@progbits,_ZN7rocprim17ROCPRIM_400000_NS6detail17trampoline_kernelINS0_14default_configENS1_36segmented_radix_sort_config_selectorIhlEEZNS1_25segmented_radix_sort_implIS3_Lb0EPKhPhPKlPlN2at6native12_GLOBAL__N_18offset_tEEE10hipError_tPvRmT1_PNSt15iterator_traitsISK_E10value_typeET2_T3_PNSL_ISQ_E10value_typeET4_jRbjT5_SW_jjP12ihipStream_tbEUlT_E1_NS1_11comp_targetILNS1_3genE5ELNS1_11target_archE942ELNS1_3gpuE9ELNS1_3repE0EEENS1_59segmented_radix_sort_warp_sort_small_config_static_selectorELNS0_4arch9wavefront6targetE0EEEvSK_,comdat
.Lfunc_end206:
	.size	_ZN7rocprim17ROCPRIM_400000_NS6detail17trampoline_kernelINS0_14default_configENS1_36segmented_radix_sort_config_selectorIhlEEZNS1_25segmented_radix_sort_implIS3_Lb0EPKhPhPKlPlN2at6native12_GLOBAL__N_18offset_tEEE10hipError_tPvRmT1_PNSt15iterator_traitsISK_E10value_typeET2_T3_PNSL_ISQ_E10value_typeET4_jRbjT5_SW_jjP12ihipStream_tbEUlT_E1_NS1_11comp_targetILNS1_3genE5ELNS1_11target_archE942ELNS1_3gpuE9ELNS1_3repE0EEENS1_59segmented_radix_sort_warp_sort_small_config_static_selectorELNS0_4arch9wavefront6targetE0EEEvSK_, .Lfunc_end206-_ZN7rocprim17ROCPRIM_400000_NS6detail17trampoline_kernelINS0_14default_configENS1_36segmented_radix_sort_config_selectorIhlEEZNS1_25segmented_radix_sort_implIS3_Lb0EPKhPhPKlPlN2at6native12_GLOBAL__N_18offset_tEEE10hipError_tPvRmT1_PNSt15iterator_traitsISK_E10value_typeET2_T3_PNSL_ISQ_E10value_typeET4_jRbjT5_SW_jjP12ihipStream_tbEUlT_E1_NS1_11comp_targetILNS1_3genE5ELNS1_11target_archE942ELNS1_3gpuE9ELNS1_3repE0EEENS1_59segmented_radix_sort_warp_sort_small_config_static_selectorELNS0_4arch9wavefront6targetE0EEEvSK_
                                        ; -- End function
	.set _ZN7rocprim17ROCPRIM_400000_NS6detail17trampoline_kernelINS0_14default_configENS1_36segmented_radix_sort_config_selectorIhlEEZNS1_25segmented_radix_sort_implIS3_Lb0EPKhPhPKlPlN2at6native12_GLOBAL__N_18offset_tEEE10hipError_tPvRmT1_PNSt15iterator_traitsISK_E10value_typeET2_T3_PNSL_ISQ_E10value_typeET4_jRbjT5_SW_jjP12ihipStream_tbEUlT_E1_NS1_11comp_targetILNS1_3genE5ELNS1_11target_archE942ELNS1_3gpuE9ELNS1_3repE0EEENS1_59segmented_radix_sort_warp_sort_small_config_static_selectorELNS0_4arch9wavefront6targetE0EEEvSK_.num_vgpr, 0
	.set _ZN7rocprim17ROCPRIM_400000_NS6detail17trampoline_kernelINS0_14default_configENS1_36segmented_radix_sort_config_selectorIhlEEZNS1_25segmented_radix_sort_implIS3_Lb0EPKhPhPKlPlN2at6native12_GLOBAL__N_18offset_tEEE10hipError_tPvRmT1_PNSt15iterator_traitsISK_E10value_typeET2_T3_PNSL_ISQ_E10value_typeET4_jRbjT5_SW_jjP12ihipStream_tbEUlT_E1_NS1_11comp_targetILNS1_3genE5ELNS1_11target_archE942ELNS1_3gpuE9ELNS1_3repE0EEENS1_59segmented_radix_sort_warp_sort_small_config_static_selectorELNS0_4arch9wavefront6targetE0EEEvSK_.num_agpr, 0
	.set _ZN7rocprim17ROCPRIM_400000_NS6detail17trampoline_kernelINS0_14default_configENS1_36segmented_radix_sort_config_selectorIhlEEZNS1_25segmented_radix_sort_implIS3_Lb0EPKhPhPKlPlN2at6native12_GLOBAL__N_18offset_tEEE10hipError_tPvRmT1_PNSt15iterator_traitsISK_E10value_typeET2_T3_PNSL_ISQ_E10value_typeET4_jRbjT5_SW_jjP12ihipStream_tbEUlT_E1_NS1_11comp_targetILNS1_3genE5ELNS1_11target_archE942ELNS1_3gpuE9ELNS1_3repE0EEENS1_59segmented_radix_sort_warp_sort_small_config_static_selectorELNS0_4arch9wavefront6targetE0EEEvSK_.numbered_sgpr, 0
	.set _ZN7rocprim17ROCPRIM_400000_NS6detail17trampoline_kernelINS0_14default_configENS1_36segmented_radix_sort_config_selectorIhlEEZNS1_25segmented_radix_sort_implIS3_Lb0EPKhPhPKlPlN2at6native12_GLOBAL__N_18offset_tEEE10hipError_tPvRmT1_PNSt15iterator_traitsISK_E10value_typeET2_T3_PNSL_ISQ_E10value_typeET4_jRbjT5_SW_jjP12ihipStream_tbEUlT_E1_NS1_11comp_targetILNS1_3genE5ELNS1_11target_archE942ELNS1_3gpuE9ELNS1_3repE0EEENS1_59segmented_radix_sort_warp_sort_small_config_static_selectorELNS0_4arch9wavefront6targetE0EEEvSK_.num_named_barrier, 0
	.set _ZN7rocprim17ROCPRIM_400000_NS6detail17trampoline_kernelINS0_14default_configENS1_36segmented_radix_sort_config_selectorIhlEEZNS1_25segmented_radix_sort_implIS3_Lb0EPKhPhPKlPlN2at6native12_GLOBAL__N_18offset_tEEE10hipError_tPvRmT1_PNSt15iterator_traitsISK_E10value_typeET2_T3_PNSL_ISQ_E10value_typeET4_jRbjT5_SW_jjP12ihipStream_tbEUlT_E1_NS1_11comp_targetILNS1_3genE5ELNS1_11target_archE942ELNS1_3gpuE9ELNS1_3repE0EEENS1_59segmented_radix_sort_warp_sort_small_config_static_selectorELNS0_4arch9wavefront6targetE0EEEvSK_.private_seg_size, 0
	.set _ZN7rocprim17ROCPRIM_400000_NS6detail17trampoline_kernelINS0_14default_configENS1_36segmented_radix_sort_config_selectorIhlEEZNS1_25segmented_radix_sort_implIS3_Lb0EPKhPhPKlPlN2at6native12_GLOBAL__N_18offset_tEEE10hipError_tPvRmT1_PNSt15iterator_traitsISK_E10value_typeET2_T3_PNSL_ISQ_E10value_typeET4_jRbjT5_SW_jjP12ihipStream_tbEUlT_E1_NS1_11comp_targetILNS1_3genE5ELNS1_11target_archE942ELNS1_3gpuE9ELNS1_3repE0EEENS1_59segmented_radix_sort_warp_sort_small_config_static_selectorELNS0_4arch9wavefront6targetE0EEEvSK_.uses_vcc, 0
	.set _ZN7rocprim17ROCPRIM_400000_NS6detail17trampoline_kernelINS0_14default_configENS1_36segmented_radix_sort_config_selectorIhlEEZNS1_25segmented_radix_sort_implIS3_Lb0EPKhPhPKlPlN2at6native12_GLOBAL__N_18offset_tEEE10hipError_tPvRmT1_PNSt15iterator_traitsISK_E10value_typeET2_T3_PNSL_ISQ_E10value_typeET4_jRbjT5_SW_jjP12ihipStream_tbEUlT_E1_NS1_11comp_targetILNS1_3genE5ELNS1_11target_archE942ELNS1_3gpuE9ELNS1_3repE0EEENS1_59segmented_radix_sort_warp_sort_small_config_static_selectorELNS0_4arch9wavefront6targetE0EEEvSK_.uses_flat_scratch, 0
	.set _ZN7rocprim17ROCPRIM_400000_NS6detail17trampoline_kernelINS0_14default_configENS1_36segmented_radix_sort_config_selectorIhlEEZNS1_25segmented_radix_sort_implIS3_Lb0EPKhPhPKlPlN2at6native12_GLOBAL__N_18offset_tEEE10hipError_tPvRmT1_PNSt15iterator_traitsISK_E10value_typeET2_T3_PNSL_ISQ_E10value_typeET4_jRbjT5_SW_jjP12ihipStream_tbEUlT_E1_NS1_11comp_targetILNS1_3genE5ELNS1_11target_archE942ELNS1_3gpuE9ELNS1_3repE0EEENS1_59segmented_radix_sort_warp_sort_small_config_static_selectorELNS0_4arch9wavefront6targetE0EEEvSK_.has_dyn_sized_stack, 0
	.set _ZN7rocprim17ROCPRIM_400000_NS6detail17trampoline_kernelINS0_14default_configENS1_36segmented_radix_sort_config_selectorIhlEEZNS1_25segmented_radix_sort_implIS3_Lb0EPKhPhPKlPlN2at6native12_GLOBAL__N_18offset_tEEE10hipError_tPvRmT1_PNSt15iterator_traitsISK_E10value_typeET2_T3_PNSL_ISQ_E10value_typeET4_jRbjT5_SW_jjP12ihipStream_tbEUlT_E1_NS1_11comp_targetILNS1_3genE5ELNS1_11target_archE942ELNS1_3gpuE9ELNS1_3repE0EEENS1_59segmented_radix_sort_warp_sort_small_config_static_selectorELNS0_4arch9wavefront6targetE0EEEvSK_.has_recursion, 0
	.set _ZN7rocprim17ROCPRIM_400000_NS6detail17trampoline_kernelINS0_14default_configENS1_36segmented_radix_sort_config_selectorIhlEEZNS1_25segmented_radix_sort_implIS3_Lb0EPKhPhPKlPlN2at6native12_GLOBAL__N_18offset_tEEE10hipError_tPvRmT1_PNSt15iterator_traitsISK_E10value_typeET2_T3_PNSL_ISQ_E10value_typeET4_jRbjT5_SW_jjP12ihipStream_tbEUlT_E1_NS1_11comp_targetILNS1_3genE5ELNS1_11target_archE942ELNS1_3gpuE9ELNS1_3repE0EEENS1_59segmented_radix_sort_warp_sort_small_config_static_selectorELNS0_4arch9wavefront6targetE0EEEvSK_.has_indirect_call, 0
	.section	.AMDGPU.csdata,"",@progbits
; Kernel info:
; codeLenInByte = 0
; TotalNumSgprs: 0
; NumVgprs: 0
; ScratchSize: 0
; MemoryBound: 0
; FloatMode: 240
; IeeeMode: 1
; LDSByteSize: 0 bytes/workgroup (compile time only)
; SGPRBlocks: 0
; VGPRBlocks: 0
; NumSGPRsForWavesPerEU: 1
; NumVGPRsForWavesPerEU: 1
; Occupancy: 16
; WaveLimiterHint : 0
; COMPUTE_PGM_RSRC2:SCRATCH_EN: 0
; COMPUTE_PGM_RSRC2:USER_SGPR: 6
; COMPUTE_PGM_RSRC2:TRAP_HANDLER: 0
; COMPUTE_PGM_RSRC2:TGID_X_EN: 1
; COMPUTE_PGM_RSRC2:TGID_Y_EN: 0
; COMPUTE_PGM_RSRC2:TGID_Z_EN: 0
; COMPUTE_PGM_RSRC2:TIDIG_COMP_CNT: 0
	.section	.text._ZN7rocprim17ROCPRIM_400000_NS6detail17trampoline_kernelINS0_14default_configENS1_36segmented_radix_sort_config_selectorIhlEEZNS1_25segmented_radix_sort_implIS3_Lb0EPKhPhPKlPlN2at6native12_GLOBAL__N_18offset_tEEE10hipError_tPvRmT1_PNSt15iterator_traitsISK_E10value_typeET2_T3_PNSL_ISQ_E10value_typeET4_jRbjT5_SW_jjP12ihipStream_tbEUlT_E1_NS1_11comp_targetILNS1_3genE4ELNS1_11target_archE910ELNS1_3gpuE8ELNS1_3repE0EEENS1_59segmented_radix_sort_warp_sort_small_config_static_selectorELNS0_4arch9wavefront6targetE0EEEvSK_,"axG",@progbits,_ZN7rocprim17ROCPRIM_400000_NS6detail17trampoline_kernelINS0_14default_configENS1_36segmented_radix_sort_config_selectorIhlEEZNS1_25segmented_radix_sort_implIS3_Lb0EPKhPhPKlPlN2at6native12_GLOBAL__N_18offset_tEEE10hipError_tPvRmT1_PNSt15iterator_traitsISK_E10value_typeET2_T3_PNSL_ISQ_E10value_typeET4_jRbjT5_SW_jjP12ihipStream_tbEUlT_E1_NS1_11comp_targetILNS1_3genE4ELNS1_11target_archE910ELNS1_3gpuE8ELNS1_3repE0EEENS1_59segmented_radix_sort_warp_sort_small_config_static_selectorELNS0_4arch9wavefront6targetE0EEEvSK_,comdat
	.globl	_ZN7rocprim17ROCPRIM_400000_NS6detail17trampoline_kernelINS0_14default_configENS1_36segmented_radix_sort_config_selectorIhlEEZNS1_25segmented_radix_sort_implIS3_Lb0EPKhPhPKlPlN2at6native12_GLOBAL__N_18offset_tEEE10hipError_tPvRmT1_PNSt15iterator_traitsISK_E10value_typeET2_T3_PNSL_ISQ_E10value_typeET4_jRbjT5_SW_jjP12ihipStream_tbEUlT_E1_NS1_11comp_targetILNS1_3genE4ELNS1_11target_archE910ELNS1_3gpuE8ELNS1_3repE0EEENS1_59segmented_radix_sort_warp_sort_small_config_static_selectorELNS0_4arch9wavefront6targetE0EEEvSK_ ; -- Begin function _ZN7rocprim17ROCPRIM_400000_NS6detail17trampoline_kernelINS0_14default_configENS1_36segmented_radix_sort_config_selectorIhlEEZNS1_25segmented_radix_sort_implIS3_Lb0EPKhPhPKlPlN2at6native12_GLOBAL__N_18offset_tEEE10hipError_tPvRmT1_PNSt15iterator_traitsISK_E10value_typeET2_T3_PNSL_ISQ_E10value_typeET4_jRbjT5_SW_jjP12ihipStream_tbEUlT_E1_NS1_11comp_targetILNS1_3genE4ELNS1_11target_archE910ELNS1_3gpuE8ELNS1_3repE0EEENS1_59segmented_radix_sort_warp_sort_small_config_static_selectorELNS0_4arch9wavefront6targetE0EEEvSK_
	.p2align	8
	.type	_ZN7rocprim17ROCPRIM_400000_NS6detail17trampoline_kernelINS0_14default_configENS1_36segmented_radix_sort_config_selectorIhlEEZNS1_25segmented_radix_sort_implIS3_Lb0EPKhPhPKlPlN2at6native12_GLOBAL__N_18offset_tEEE10hipError_tPvRmT1_PNSt15iterator_traitsISK_E10value_typeET2_T3_PNSL_ISQ_E10value_typeET4_jRbjT5_SW_jjP12ihipStream_tbEUlT_E1_NS1_11comp_targetILNS1_3genE4ELNS1_11target_archE910ELNS1_3gpuE8ELNS1_3repE0EEENS1_59segmented_radix_sort_warp_sort_small_config_static_selectorELNS0_4arch9wavefront6targetE0EEEvSK_,@function
_ZN7rocprim17ROCPRIM_400000_NS6detail17trampoline_kernelINS0_14default_configENS1_36segmented_radix_sort_config_selectorIhlEEZNS1_25segmented_radix_sort_implIS3_Lb0EPKhPhPKlPlN2at6native12_GLOBAL__N_18offset_tEEE10hipError_tPvRmT1_PNSt15iterator_traitsISK_E10value_typeET2_T3_PNSL_ISQ_E10value_typeET4_jRbjT5_SW_jjP12ihipStream_tbEUlT_E1_NS1_11comp_targetILNS1_3genE4ELNS1_11target_archE910ELNS1_3gpuE8ELNS1_3repE0EEENS1_59segmented_radix_sort_warp_sort_small_config_static_selectorELNS0_4arch9wavefront6targetE0EEEvSK_: ; @_ZN7rocprim17ROCPRIM_400000_NS6detail17trampoline_kernelINS0_14default_configENS1_36segmented_radix_sort_config_selectorIhlEEZNS1_25segmented_radix_sort_implIS3_Lb0EPKhPhPKlPlN2at6native12_GLOBAL__N_18offset_tEEE10hipError_tPvRmT1_PNSt15iterator_traitsISK_E10value_typeET2_T3_PNSL_ISQ_E10value_typeET4_jRbjT5_SW_jjP12ihipStream_tbEUlT_E1_NS1_11comp_targetILNS1_3genE4ELNS1_11target_archE910ELNS1_3gpuE8ELNS1_3repE0EEENS1_59segmented_radix_sort_warp_sort_small_config_static_selectorELNS0_4arch9wavefront6targetE0EEEvSK_
; %bb.0:
	.section	.rodata,"a",@progbits
	.p2align	6, 0x0
	.amdhsa_kernel _ZN7rocprim17ROCPRIM_400000_NS6detail17trampoline_kernelINS0_14default_configENS1_36segmented_radix_sort_config_selectorIhlEEZNS1_25segmented_radix_sort_implIS3_Lb0EPKhPhPKlPlN2at6native12_GLOBAL__N_18offset_tEEE10hipError_tPvRmT1_PNSt15iterator_traitsISK_E10value_typeET2_T3_PNSL_ISQ_E10value_typeET4_jRbjT5_SW_jjP12ihipStream_tbEUlT_E1_NS1_11comp_targetILNS1_3genE4ELNS1_11target_archE910ELNS1_3gpuE8ELNS1_3repE0EEENS1_59segmented_radix_sort_warp_sort_small_config_static_selectorELNS0_4arch9wavefront6targetE0EEEvSK_
		.amdhsa_group_segment_fixed_size 0
		.amdhsa_private_segment_fixed_size 0
		.amdhsa_kernarg_size 88
		.amdhsa_user_sgpr_count 6
		.amdhsa_user_sgpr_private_segment_buffer 1
		.amdhsa_user_sgpr_dispatch_ptr 0
		.amdhsa_user_sgpr_queue_ptr 0
		.amdhsa_user_sgpr_kernarg_segment_ptr 1
		.amdhsa_user_sgpr_dispatch_id 0
		.amdhsa_user_sgpr_flat_scratch_init 0
		.amdhsa_user_sgpr_private_segment_size 0
		.amdhsa_wavefront_size32 1
		.amdhsa_uses_dynamic_stack 0
		.amdhsa_system_sgpr_private_segment_wavefront_offset 0
		.amdhsa_system_sgpr_workgroup_id_x 1
		.amdhsa_system_sgpr_workgroup_id_y 0
		.amdhsa_system_sgpr_workgroup_id_z 0
		.amdhsa_system_sgpr_workgroup_info 0
		.amdhsa_system_vgpr_workitem_id 0
		.amdhsa_next_free_vgpr 1
		.amdhsa_next_free_sgpr 1
		.amdhsa_reserve_vcc 0
		.amdhsa_reserve_flat_scratch 0
		.amdhsa_float_round_mode_32 0
		.amdhsa_float_round_mode_16_64 0
		.amdhsa_float_denorm_mode_32 3
		.amdhsa_float_denorm_mode_16_64 3
		.amdhsa_dx10_clamp 1
		.amdhsa_ieee_mode 1
		.amdhsa_fp16_overflow 0
		.amdhsa_workgroup_processor_mode 1
		.amdhsa_memory_ordered 1
		.amdhsa_forward_progress 1
		.amdhsa_shared_vgpr_count 0
		.amdhsa_exception_fp_ieee_invalid_op 0
		.amdhsa_exception_fp_denorm_src 0
		.amdhsa_exception_fp_ieee_div_zero 0
		.amdhsa_exception_fp_ieee_overflow 0
		.amdhsa_exception_fp_ieee_underflow 0
		.amdhsa_exception_fp_ieee_inexact 0
		.amdhsa_exception_int_div_zero 0
	.end_amdhsa_kernel
	.section	.text._ZN7rocprim17ROCPRIM_400000_NS6detail17trampoline_kernelINS0_14default_configENS1_36segmented_radix_sort_config_selectorIhlEEZNS1_25segmented_radix_sort_implIS3_Lb0EPKhPhPKlPlN2at6native12_GLOBAL__N_18offset_tEEE10hipError_tPvRmT1_PNSt15iterator_traitsISK_E10value_typeET2_T3_PNSL_ISQ_E10value_typeET4_jRbjT5_SW_jjP12ihipStream_tbEUlT_E1_NS1_11comp_targetILNS1_3genE4ELNS1_11target_archE910ELNS1_3gpuE8ELNS1_3repE0EEENS1_59segmented_radix_sort_warp_sort_small_config_static_selectorELNS0_4arch9wavefront6targetE0EEEvSK_,"axG",@progbits,_ZN7rocprim17ROCPRIM_400000_NS6detail17trampoline_kernelINS0_14default_configENS1_36segmented_radix_sort_config_selectorIhlEEZNS1_25segmented_radix_sort_implIS3_Lb0EPKhPhPKlPlN2at6native12_GLOBAL__N_18offset_tEEE10hipError_tPvRmT1_PNSt15iterator_traitsISK_E10value_typeET2_T3_PNSL_ISQ_E10value_typeET4_jRbjT5_SW_jjP12ihipStream_tbEUlT_E1_NS1_11comp_targetILNS1_3genE4ELNS1_11target_archE910ELNS1_3gpuE8ELNS1_3repE0EEENS1_59segmented_radix_sort_warp_sort_small_config_static_selectorELNS0_4arch9wavefront6targetE0EEEvSK_,comdat
.Lfunc_end207:
	.size	_ZN7rocprim17ROCPRIM_400000_NS6detail17trampoline_kernelINS0_14default_configENS1_36segmented_radix_sort_config_selectorIhlEEZNS1_25segmented_radix_sort_implIS3_Lb0EPKhPhPKlPlN2at6native12_GLOBAL__N_18offset_tEEE10hipError_tPvRmT1_PNSt15iterator_traitsISK_E10value_typeET2_T3_PNSL_ISQ_E10value_typeET4_jRbjT5_SW_jjP12ihipStream_tbEUlT_E1_NS1_11comp_targetILNS1_3genE4ELNS1_11target_archE910ELNS1_3gpuE8ELNS1_3repE0EEENS1_59segmented_radix_sort_warp_sort_small_config_static_selectorELNS0_4arch9wavefront6targetE0EEEvSK_, .Lfunc_end207-_ZN7rocprim17ROCPRIM_400000_NS6detail17trampoline_kernelINS0_14default_configENS1_36segmented_radix_sort_config_selectorIhlEEZNS1_25segmented_radix_sort_implIS3_Lb0EPKhPhPKlPlN2at6native12_GLOBAL__N_18offset_tEEE10hipError_tPvRmT1_PNSt15iterator_traitsISK_E10value_typeET2_T3_PNSL_ISQ_E10value_typeET4_jRbjT5_SW_jjP12ihipStream_tbEUlT_E1_NS1_11comp_targetILNS1_3genE4ELNS1_11target_archE910ELNS1_3gpuE8ELNS1_3repE0EEENS1_59segmented_radix_sort_warp_sort_small_config_static_selectorELNS0_4arch9wavefront6targetE0EEEvSK_
                                        ; -- End function
	.set _ZN7rocprim17ROCPRIM_400000_NS6detail17trampoline_kernelINS0_14default_configENS1_36segmented_radix_sort_config_selectorIhlEEZNS1_25segmented_radix_sort_implIS3_Lb0EPKhPhPKlPlN2at6native12_GLOBAL__N_18offset_tEEE10hipError_tPvRmT1_PNSt15iterator_traitsISK_E10value_typeET2_T3_PNSL_ISQ_E10value_typeET4_jRbjT5_SW_jjP12ihipStream_tbEUlT_E1_NS1_11comp_targetILNS1_3genE4ELNS1_11target_archE910ELNS1_3gpuE8ELNS1_3repE0EEENS1_59segmented_radix_sort_warp_sort_small_config_static_selectorELNS0_4arch9wavefront6targetE0EEEvSK_.num_vgpr, 0
	.set _ZN7rocprim17ROCPRIM_400000_NS6detail17trampoline_kernelINS0_14default_configENS1_36segmented_radix_sort_config_selectorIhlEEZNS1_25segmented_radix_sort_implIS3_Lb0EPKhPhPKlPlN2at6native12_GLOBAL__N_18offset_tEEE10hipError_tPvRmT1_PNSt15iterator_traitsISK_E10value_typeET2_T3_PNSL_ISQ_E10value_typeET4_jRbjT5_SW_jjP12ihipStream_tbEUlT_E1_NS1_11comp_targetILNS1_3genE4ELNS1_11target_archE910ELNS1_3gpuE8ELNS1_3repE0EEENS1_59segmented_radix_sort_warp_sort_small_config_static_selectorELNS0_4arch9wavefront6targetE0EEEvSK_.num_agpr, 0
	.set _ZN7rocprim17ROCPRIM_400000_NS6detail17trampoline_kernelINS0_14default_configENS1_36segmented_radix_sort_config_selectorIhlEEZNS1_25segmented_radix_sort_implIS3_Lb0EPKhPhPKlPlN2at6native12_GLOBAL__N_18offset_tEEE10hipError_tPvRmT1_PNSt15iterator_traitsISK_E10value_typeET2_T3_PNSL_ISQ_E10value_typeET4_jRbjT5_SW_jjP12ihipStream_tbEUlT_E1_NS1_11comp_targetILNS1_3genE4ELNS1_11target_archE910ELNS1_3gpuE8ELNS1_3repE0EEENS1_59segmented_radix_sort_warp_sort_small_config_static_selectorELNS0_4arch9wavefront6targetE0EEEvSK_.numbered_sgpr, 0
	.set _ZN7rocprim17ROCPRIM_400000_NS6detail17trampoline_kernelINS0_14default_configENS1_36segmented_radix_sort_config_selectorIhlEEZNS1_25segmented_radix_sort_implIS3_Lb0EPKhPhPKlPlN2at6native12_GLOBAL__N_18offset_tEEE10hipError_tPvRmT1_PNSt15iterator_traitsISK_E10value_typeET2_T3_PNSL_ISQ_E10value_typeET4_jRbjT5_SW_jjP12ihipStream_tbEUlT_E1_NS1_11comp_targetILNS1_3genE4ELNS1_11target_archE910ELNS1_3gpuE8ELNS1_3repE0EEENS1_59segmented_radix_sort_warp_sort_small_config_static_selectorELNS0_4arch9wavefront6targetE0EEEvSK_.num_named_barrier, 0
	.set _ZN7rocprim17ROCPRIM_400000_NS6detail17trampoline_kernelINS0_14default_configENS1_36segmented_radix_sort_config_selectorIhlEEZNS1_25segmented_radix_sort_implIS3_Lb0EPKhPhPKlPlN2at6native12_GLOBAL__N_18offset_tEEE10hipError_tPvRmT1_PNSt15iterator_traitsISK_E10value_typeET2_T3_PNSL_ISQ_E10value_typeET4_jRbjT5_SW_jjP12ihipStream_tbEUlT_E1_NS1_11comp_targetILNS1_3genE4ELNS1_11target_archE910ELNS1_3gpuE8ELNS1_3repE0EEENS1_59segmented_radix_sort_warp_sort_small_config_static_selectorELNS0_4arch9wavefront6targetE0EEEvSK_.private_seg_size, 0
	.set _ZN7rocprim17ROCPRIM_400000_NS6detail17trampoline_kernelINS0_14default_configENS1_36segmented_radix_sort_config_selectorIhlEEZNS1_25segmented_radix_sort_implIS3_Lb0EPKhPhPKlPlN2at6native12_GLOBAL__N_18offset_tEEE10hipError_tPvRmT1_PNSt15iterator_traitsISK_E10value_typeET2_T3_PNSL_ISQ_E10value_typeET4_jRbjT5_SW_jjP12ihipStream_tbEUlT_E1_NS1_11comp_targetILNS1_3genE4ELNS1_11target_archE910ELNS1_3gpuE8ELNS1_3repE0EEENS1_59segmented_radix_sort_warp_sort_small_config_static_selectorELNS0_4arch9wavefront6targetE0EEEvSK_.uses_vcc, 0
	.set _ZN7rocprim17ROCPRIM_400000_NS6detail17trampoline_kernelINS0_14default_configENS1_36segmented_radix_sort_config_selectorIhlEEZNS1_25segmented_radix_sort_implIS3_Lb0EPKhPhPKlPlN2at6native12_GLOBAL__N_18offset_tEEE10hipError_tPvRmT1_PNSt15iterator_traitsISK_E10value_typeET2_T3_PNSL_ISQ_E10value_typeET4_jRbjT5_SW_jjP12ihipStream_tbEUlT_E1_NS1_11comp_targetILNS1_3genE4ELNS1_11target_archE910ELNS1_3gpuE8ELNS1_3repE0EEENS1_59segmented_radix_sort_warp_sort_small_config_static_selectorELNS0_4arch9wavefront6targetE0EEEvSK_.uses_flat_scratch, 0
	.set _ZN7rocprim17ROCPRIM_400000_NS6detail17trampoline_kernelINS0_14default_configENS1_36segmented_radix_sort_config_selectorIhlEEZNS1_25segmented_radix_sort_implIS3_Lb0EPKhPhPKlPlN2at6native12_GLOBAL__N_18offset_tEEE10hipError_tPvRmT1_PNSt15iterator_traitsISK_E10value_typeET2_T3_PNSL_ISQ_E10value_typeET4_jRbjT5_SW_jjP12ihipStream_tbEUlT_E1_NS1_11comp_targetILNS1_3genE4ELNS1_11target_archE910ELNS1_3gpuE8ELNS1_3repE0EEENS1_59segmented_radix_sort_warp_sort_small_config_static_selectorELNS0_4arch9wavefront6targetE0EEEvSK_.has_dyn_sized_stack, 0
	.set _ZN7rocprim17ROCPRIM_400000_NS6detail17trampoline_kernelINS0_14default_configENS1_36segmented_radix_sort_config_selectorIhlEEZNS1_25segmented_radix_sort_implIS3_Lb0EPKhPhPKlPlN2at6native12_GLOBAL__N_18offset_tEEE10hipError_tPvRmT1_PNSt15iterator_traitsISK_E10value_typeET2_T3_PNSL_ISQ_E10value_typeET4_jRbjT5_SW_jjP12ihipStream_tbEUlT_E1_NS1_11comp_targetILNS1_3genE4ELNS1_11target_archE910ELNS1_3gpuE8ELNS1_3repE0EEENS1_59segmented_radix_sort_warp_sort_small_config_static_selectorELNS0_4arch9wavefront6targetE0EEEvSK_.has_recursion, 0
	.set _ZN7rocprim17ROCPRIM_400000_NS6detail17trampoline_kernelINS0_14default_configENS1_36segmented_radix_sort_config_selectorIhlEEZNS1_25segmented_radix_sort_implIS3_Lb0EPKhPhPKlPlN2at6native12_GLOBAL__N_18offset_tEEE10hipError_tPvRmT1_PNSt15iterator_traitsISK_E10value_typeET2_T3_PNSL_ISQ_E10value_typeET4_jRbjT5_SW_jjP12ihipStream_tbEUlT_E1_NS1_11comp_targetILNS1_3genE4ELNS1_11target_archE910ELNS1_3gpuE8ELNS1_3repE0EEENS1_59segmented_radix_sort_warp_sort_small_config_static_selectorELNS0_4arch9wavefront6targetE0EEEvSK_.has_indirect_call, 0
	.section	.AMDGPU.csdata,"",@progbits
; Kernel info:
; codeLenInByte = 0
; TotalNumSgprs: 0
; NumVgprs: 0
; ScratchSize: 0
; MemoryBound: 0
; FloatMode: 240
; IeeeMode: 1
; LDSByteSize: 0 bytes/workgroup (compile time only)
; SGPRBlocks: 0
; VGPRBlocks: 0
; NumSGPRsForWavesPerEU: 1
; NumVGPRsForWavesPerEU: 1
; Occupancy: 16
; WaveLimiterHint : 0
; COMPUTE_PGM_RSRC2:SCRATCH_EN: 0
; COMPUTE_PGM_RSRC2:USER_SGPR: 6
; COMPUTE_PGM_RSRC2:TRAP_HANDLER: 0
; COMPUTE_PGM_RSRC2:TGID_X_EN: 1
; COMPUTE_PGM_RSRC2:TGID_Y_EN: 0
; COMPUTE_PGM_RSRC2:TGID_Z_EN: 0
; COMPUTE_PGM_RSRC2:TIDIG_COMP_CNT: 0
	.section	.text._ZN7rocprim17ROCPRIM_400000_NS6detail17trampoline_kernelINS0_14default_configENS1_36segmented_radix_sort_config_selectorIhlEEZNS1_25segmented_radix_sort_implIS3_Lb0EPKhPhPKlPlN2at6native12_GLOBAL__N_18offset_tEEE10hipError_tPvRmT1_PNSt15iterator_traitsISK_E10value_typeET2_T3_PNSL_ISQ_E10value_typeET4_jRbjT5_SW_jjP12ihipStream_tbEUlT_E1_NS1_11comp_targetILNS1_3genE3ELNS1_11target_archE908ELNS1_3gpuE7ELNS1_3repE0EEENS1_59segmented_radix_sort_warp_sort_small_config_static_selectorELNS0_4arch9wavefront6targetE0EEEvSK_,"axG",@progbits,_ZN7rocprim17ROCPRIM_400000_NS6detail17trampoline_kernelINS0_14default_configENS1_36segmented_radix_sort_config_selectorIhlEEZNS1_25segmented_radix_sort_implIS3_Lb0EPKhPhPKlPlN2at6native12_GLOBAL__N_18offset_tEEE10hipError_tPvRmT1_PNSt15iterator_traitsISK_E10value_typeET2_T3_PNSL_ISQ_E10value_typeET4_jRbjT5_SW_jjP12ihipStream_tbEUlT_E1_NS1_11comp_targetILNS1_3genE3ELNS1_11target_archE908ELNS1_3gpuE7ELNS1_3repE0EEENS1_59segmented_radix_sort_warp_sort_small_config_static_selectorELNS0_4arch9wavefront6targetE0EEEvSK_,comdat
	.globl	_ZN7rocprim17ROCPRIM_400000_NS6detail17trampoline_kernelINS0_14default_configENS1_36segmented_radix_sort_config_selectorIhlEEZNS1_25segmented_radix_sort_implIS3_Lb0EPKhPhPKlPlN2at6native12_GLOBAL__N_18offset_tEEE10hipError_tPvRmT1_PNSt15iterator_traitsISK_E10value_typeET2_T3_PNSL_ISQ_E10value_typeET4_jRbjT5_SW_jjP12ihipStream_tbEUlT_E1_NS1_11comp_targetILNS1_3genE3ELNS1_11target_archE908ELNS1_3gpuE7ELNS1_3repE0EEENS1_59segmented_radix_sort_warp_sort_small_config_static_selectorELNS0_4arch9wavefront6targetE0EEEvSK_ ; -- Begin function _ZN7rocprim17ROCPRIM_400000_NS6detail17trampoline_kernelINS0_14default_configENS1_36segmented_radix_sort_config_selectorIhlEEZNS1_25segmented_radix_sort_implIS3_Lb0EPKhPhPKlPlN2at6native12_GLOBAL__N_18offset_tEEE10hipError_tPvRmT1_PNSt15iterator_traitsISK_E10value_typeET2_T3_PNSL_ISQ_E10value_typeET4_jRbjT5_SW_jjP12ihipStream_tbEUlT_E1_NS1_11comp_targetILNS1_3genE3ELNS1_11target_archE908ELNS1_3gpuE7ELNS1_3repE0EEENS1_59segmented_radix_sort_warp_sort_small_config_static_selectorELNS0_4arch9wavefront6targetE0EEEvSK_
	.p2align	8
	.type	_ZN7rocprim17ROCPRIM_400000_NS6detail17trampoline_kernelINS0_14default_configENS1_36segmented_radix_sort_config_selectorIhlEEZNS1_25segmented_radix_sort_implIS3_Lb0EPKhPhPKlPlN2at6native12_GLOBAL__N_18offset_tEEE10hipError_tPvRmT1_PNSt15iterator_traitsISK_E10value_typeET2_T3_PNSL_ISQ_E10value_typeET4_jRbjT5_SW_jjP12ihipStream_tbEUlT_E1_NS1_11comp_targetILNS1_3genE3ELNS1_11target_archE908ELNS1_3gpuE7ELNS1_3repE0EEENS1_59segmented_radix_sort_warp_sort_small_config_static_selectorELNS0_4arch9wavefront6targetE0EEEvSK_,@function
_ZN7rocprim17ROCPRIM_400000_NS6detail17trampoline_kernelINS0_14default_configENS1_36segmented_radix_sort_config_selectorIhlEEZNS1_25segmented_radix_sort_implIS3_Lb0EPKhPhPKlPlN2at6native12_GLOBAL__N_18offset_tEEE10hipError_tPvRmT1_PNSt15iterator_traitsISK_E10value_typeET2_T3_PNSL_ISQ_E10value_typeET4_jRbjT5_SW_jjP12ihipStream_tbEUlT_E1_NS1_11comp_targetILNS1_3genE3ELNS1_11target_archE908ELNS1_3gpuE7ELNS1_3repE0EEENS1_59segmented_radix_sort_warp_sort_small_config_static_selectorELNS0_4arch9wavefront6targetE0EEEvSK_: ; @_ZN7rocprim17ROCPRIM_400000_NS6detail17trampoline_kernelINS0_14default_configENS1_36segmented_radix_sort_config_selectorIhlEEZNS1_25segmented_radix_sort_implIS3_Lb0EPKhPhPKlPlN2at6native12_GLOBAL__N_18offset_tEEE10hipError_tPvRmT1_PNSt15iterator_traitsISK_E10value_typeET2_T3_PNSL_ISQ_E10value_typeET4_jRbjT5_SW_jjP12ihipStream_tbEUlT_E1_NS1_11comp_targetILNS1_3genE3ELNS1_11target_archE908ELNS1_3gpuE7ELNS1_3repE0EEENS1_59segmented_radix_sort_warp_sort_small_config_static_selectorELNS0_4arch9wavefront6targetE0EEEvSK_
; %bb.0:
	.section	.rodata,"a",@progbits
	.p2align	6, 0x0
	.amdhsa_kernel _ZN7rocprim17ROCPRIM_400000_NS6detail17trampoline_kernelINS0_14default_configENS1_36segmented_radix_sort_config_selectorIhlEEZNS1_25segmented_radix_sort_implIS3_Lb0EPKhPhPKlPlN2at6native12_GLOBAL__N_18offset_tEEE10hipError_tPvRmT1_PNSt15iterator_traitsISK_E10value_typeET2_T3_PNSL_ISQ_E10value_typeET4_jRbjT5_SW_jjP12ihipStream_tbEUlT_E1_NS1_11comp_targetILNS1_3genE3ELNS1_11target_archE908ELNS1_3gpuE7ELNS1_3repE0EEENS1_59segmented_radix_sort_warp_sort_small_config_static_selectorELNS0_4arch9wavefront6targetE0EEEvSK_
		.amdhsa_group_segment_fixed_size 0
		.amdhsa_private_segment_fixed_size 0
		.amdhsa_kernarg_size 88
		.amdhsa_user_sgpr_count 6
		.amdhsa_user_sgpr_private_segment_buffer 1
		.amdhsa_user_sgpr_dispatch_ptr 0
		.amdhsa_user_sgpr_queue_ptr 0
		.amdhsa_user_sgpr_kernarg_segment_ptr 1
		.amdhsa_user_sgpr_dispatch_id 0
		.amdhsa_user_sgpr_flat_scratch_init 0
		.amdhsa_user_sgpr_private_segment_size 0
		.amdhsa_wavefront_size32 1
		.amdhsa_uses_dynamic_stack 0
		.amdhsa_system_sgpr_private_segment_wavefront_offset 0
		.amdhsa_system_sgpr_workgroup_id_x 1
		.amdhsa_system_sgpr_workgroup_id_y 0
		.amdhsa_system_sgpr_workgroup_id_z 0
		.amdhsa_system_sgpr_workgroup_info 0
		.amdhsa_system_vgpr_workitem_id 0
		.amdhsa_next_free_vgpr 1
		.amdhsa_next_free_sgpr 1
		.amdhsa_reserve_vcc 0
		.amdhsa_reserve_flat_scratch 0
		.amdhsa_float_round_mode_32 0
		.amdhsa_float_round_mode_16_64 0
		.amdhsa_float_denorm_mode_32 3
		.amdhsa_float_denorm_mode_16_64 3
		.amdhsa_dx10_clamp 1
		.amdhsa_ieee_mode 1
		.amdhsa_fp16_overflow 0
		.amdhsa_workgroup_processor_mode 1
		.amdhsa_memory_ordered 1
		.amdhsa_forward_progress 1
		.amdhsa_shared_vgpr_count 0
		.amdhsa_exception_fp_ieee_invalid_op 0
		.amdhsa_exception_fp_denorm_src 0
		.amdhsa_exception_fp_ieee_div_zero 0
		.amdhsa_exception_fp_ieee_overflow 0
		.amdhsa_exception_fp_ieee_underflow 0
		.amdhsa_exception_fp_ieee_inexact 0
		.amdhsa_exception_int_div_zero 0
	.end_amdhsa_kernel
	.section	.text._ZN7rocprim17ROCPRIM_400000_NS6detail17trampoline_kernelINS0_14default_configENS1_36segmented_radix_sort_config_selectorIhlEEZNS1_25segmented_radix_sort_implIS3_Lb0EPKhPhPKlPlN2at6native12_GLOBAL__N_18offset_tEEE10hipError_tPvRmT1_PNSt15iterator_traitsISK_E10value_typeET2_T3_PNSL_ISQ_E10value_typeET4_jRbjT5_SW_jjP12ihipStream_tbEUlT_E1_NS1_11comp_targetILNS1_3genE3ELNS1_11target_archE908ELNS1_3gpuE7ELNS1_3repE0EEENS1_59segmented_radix_sort_warp_sort_small_config_static_selectorELNS0_4arch9wavefront6targetE0EEEvSK_,"axG",@progbits,_ZN7rocprim17ROCPRIM_400000_NS6detail17trampoline_kernelINS0_14default_configENS1_36segmented_radix_sort_config_selectorIhlEEZNS1_25segmented_radix_sort_implIS3_Lb0EPKhPhPKlPlN2at6native12_GLOBAL__N_18offset_tEEE10hipError_tPvRmT1_PNSt15iterator_traitsISK_E10value_typeET2_T3_PNSL_ISQ_E10value_typeET4_jRbjT5_SW_jjP12ihipStream_tbEUlT_E1_NS1_11comp_targetILNS1_3genE3ELNS1_11target_archE908ELNS1_3gpuE7ELNS1_3repE0EEENS1_59segmented_radix_sort_warp_sort_small_config_static_selectorELNS0_4arch9wavefront6targetE0EEEvSK_,comdat
.Lfunc_end208:
	.size	_ZN7rocprim17ROCPRIM_400000_NS6detail17trampoline_kernelINS0_14default_configENS1_36segmented_radix_sort_config_selectorIhlEEZNS1_25segmented_radix_sort_implIS3_Lb0EPKhPhPKlPlN2at6native12_GLOBAL__N_18offset_tEEE10hipError_tPvRmT1_PNSt15iterator_traitsISK_E10value_typeET2_T3_PNSL_ISQ_E10value_typeET4_jRbjT5_SW_jjP12ihipStream_tbEUlT_E1_NS1_11comp_targetILNS1_3genE3ELNS1_11target_archE908ELNS1_3gpuE7ELNS1_3repE0EEENS1_59segmented_radix_sort_warp_sort_small_config_static_selectorELNS0_4arch9wavefront6targetE0EEEvSK_, .Lfunc_end208-_ZN7rocprim17ROCPRIM_400000_NS6detail17trampoline_kernelINS0_14default_configENS1_36segmented_radix_sort_config_selectorIhlEEZNS1_25segmented_radix_sort_implIS3_Lb0EPKhPhPKlPlN2at6native12_GLOBAL__N_18offset_tEEE10hipError_tPvRmT1_PNSt15iterator_traitsISK_E10value_typeET2_T3_PNSL_ISQ_E10value_typeET4_jRbjT5_SW_jjP12ihipStream_tbEUlT_E1_NS1_11comp_targetILNS1_3genE3ELNS1_11target_archE908ELNS1_3gpuE7ELNS1_3repE0EEENS1_59segmented_radix_sort_warp_sort_small_config_static_selectorELNS0_4arch9wavefront6targetE0EEEvSK_
                                        ; -- End function
	.set _ZN7rocprim17ROCPRIM_400000_NS6detail17trampoline_kernelINS0_14default_configENS1_36segmented_radix_sort_config_selectorIhlEEZNS1_25segmented_radix_sort_implIS3_Lb0EPKhPhPKlPlN2at6native12_GLOBAL__N_18offset_tEEE10hipError_tPvRmT1_PNSt15iterator_traitsISK_E10value_typeET2_T3_PNSL_ISQ_E10value_typeET4_jRbjT5_SW_jjP12ihipStream_tbEUlT_E1_NS1_11comp_targetILNS1_3genE3ELNS1_11target_archE908ELNS1_3gpuE7ELNS1_3repE0EEENS1_59segmented_radix_sort_warp_sort_small_config_static_selectorELNS0_4arch9wavefront6targetE0EEEvSK_.num_vgpr, 0
	.set _ZN7rocprim17ROCPRIM_400000_NS6detail17trampoline_kernelINS0_14default_configENS1_36segmented_radix_sort_config_selectorIhlEEZNS1_25segmented_radix_sort_implIS3_Lb0EPKhPhPKlPlN2at6native12_GLOBAL__N_18offset_tEEE10hipError_tPvRmT1_PNSt15iterator_traitsISK_E10value_typeET2_T3_PNSL_ISQ_E10value_typeET4_jRbjT5_SW_jjP12ihipStream_tbEUlT_E1_NS1_11comp_targetILNS1_3genE3ELNS1_11target_archE908ELNS1_3gpuE7ELNS1_3repE0EEENS1_59segmented_radix_sort_warp_sort_small_config_static_selectorELNS0_4arch9wavefront6targetE0EEEvSK_.num_agpr, 0
	.set _ZN7rocprim17ROCPRIM_400000_NS6detail17trampoline_kernelINS0_14default_configENS1_36segmented_radix_sort_config_selectorIhlEEZNS1_25segmented_radix_sort_implIS3_Lb0EPKhPhPKlPlN2at6native12_GLOBAL__N_18offset_tEEE10hipError_tPvRmT1_PNSt15iterator_traitsISK_E10value_typeET2_T3_PNSL_ISQ_E10value_typeET4_jRbjT5_SW_jjP12ihipStream_tbEUlT_E1_NS1_11comp_targetILNS1_3genE3ELNS1_11target_archE908ELNS1_3gpuE7ELNS1_3repE0EEENS1_59segmented_radix_sort_warp_sort_small_config_static_selectorELNS0_4arch9wavefront6targetE0EEEvSK_.numbered_sgpr, 0
	.set _ZN7rocprim17ROCPRIM_400000_NS6detail17trampoline_kernelINS0_14default_configENS1_36segmented_radix_sort_config_selectorIhlEEZNS1_25segmented_radix_sort_implIS3_Lb0EPKhPhPKlPlN2at6native12_GLOBAL__N_18offset_tEEE10hipError_tPvRmT1_PNSt15iterator_traitsISK_E10value_typeET2_T3_PNSL_ISQ_E10value_typeET4_jRbjT5_SW_jjP12ihipStream_tbEUlT_E1_NS1_11comp_targetILNS1_3genE3ELNS1_11target_archE908ELNS1_3gpuE7ELNS1_3repE0EEENS1_59segmented_radix_sort_warp_sort_small_config_static_selectorELNS0_4arch9wavefront6targetE0EEEvSK_.num_named_barrier, 0
	.set _ZN7rocprim17ROCPRIM_400000_NS6detail17trampoline_kernelINS0_14default_configENS1_36segmented_radix_sort_config_selectorIhlEEZNS1_25segmented_radix_sort_implIS3_Lb0EPKhPhPKlPlN2at6native12_GLOBAL__N_18offset_tEEE10hipError_tPvRmT1_PNSt15iterator_traitsISK_E10value_typeET2_T3_PNSL_ISQ_E10value_typeET4_jRbjT5_SW_jjP12ihipStream_tbEUlT_E1_NS1_11comp_targetILNS1_3genE3ELNS1_11target_archE908ELNS1_3gpuE7ELNS1_3repE0EEENS1_59segmented_radix_sort_warp_sort_small_config_static_selectorELNS0_4arch9wavefront6targetE0EEEvSK_.private_seg_size, 0
	.set _ZN7rocprim17ROCPRIM_400000_NS6detail17trampoline_kernelINS0_14default_configENS1_36segmented_radix_sort_config_selectorIhlEEZNS1_25segmented_radix_sort_implIS3_Lb0EPKhPhPKlPlN2at6native12_GLOBAL__N_18offset_tEEE10hipError_tPvRmT1_PNSt15iterator_traitsISK_E10value_typeET2_T3_PNSL_ISQ_E10value_typeET4_jRbjT5_SW_jjP12ihipStream_tbEUlT_E1_NS1_11comp_targetILNS1_3genE3ELNS1_11target_archE908ELNS1_3gpuE7ELNS1_3repE0EEENS1_59segmented_radix_sort_warp_sort_small_config_static_selectorELNS0_4arch9wavefront6targetE0EEEvSK_.uses_vcc, 0
	.set _ZN7rocprim17ROCPRIM_400000_NS6detail17trampoline_kernelINS0_14default_configENS1_36segmented_radix_sort_config_selectorIhlEEZNS1_25segmented_radix_sort_implIS3_Lb0EPKhPhPKlPlN2at6native12_GLOBAL__N_18offset_tEEE10hipError_tPvRmT1_PNSt15iterator_traitsISK_E10value_typeET2_T3_PNSL_ISQ_E10value_typeET4_jRbjT5_SW_jjP12ihipStream_tbEUlT_E1_NS1_11comp_targetILNS1_3genE3ELNS1_11target_archE908ELNS1_3gpuE7ELNS1_3repE0EEENS1_59segmented_radix_sort_warp_sort_small_config_static_selectorELNS0_4arch9wavefront6targetE0EEEvSK_.uses_flat_scratch, 0
	.set _ZN7rocprim17ROCPRIM_400000_NS6detail17trampoline_kernelINS0_14default_configENS1_36segmented_radix_sort_config_selectorIhlEEZNS1_25segmented_radix_sort_implIS3_Lb0EPKhPhPKlPlN2at6native12_GLOBAL__N_18offset_tEEE10hipError_tPvRmT1_PNSt15iterator_traitsISK_E10value_typeET2_T3_PNSL_ISQ_E10value_typeET4_jRbjT5_SW_jjP12ihipStream_tbEUlT_E1_NS1_11comp_targetILNS1_3genE3ELNS1_11target_archE908ELNS1_3gpuE7ELNS1_3repE0EEENS1_59segmented_radix_sort_warp_sort_small_config_static_selectorELNS0_4arch9wavefront6targetE0EEEvSK_.has_dyn_sized_stack, 0
	.set _ZN7rocprim17ROCPRIM_400000_NS6detail17trampoline_kernelINS0_14default_configENS1_36segmented_radix_sort_config_selectorIhlEEZNS1_25segmented_radix_sort_implIS3_Lb0EPKhPhPKlPlN2at6native12_GLOBAL__N_18offset_tEEE10hipError_tPvRmT1_PNSt15iterator_traitsISK_E10value_typeET2_T3_PNSL_ISQ_E10value_typeET4_jRbjT5_SW_jjP12ihipStream_tbEUlT_E1_NS1_11comp_targetILNS1_3genE3ELNS1_11target_archE908ELNS1_3gpuE7ELNS1_3repE0EEENS1_59segmented_radix_sort_warp_sort_small_config_static_selectorELNS0_4arch9wavefront6targetE0EEEvSK_.has_recursion, 0
	.set _ZN7rocprim17ROCPRIM_400000_NS6detail17trampoline_kernelINS0_14default_configENS1_36segmented_radix_sort_config_selectorIhlEEZNS1_25segmented_radix_sort_implIS3_Lb0EPKhPhPKlPlN2at6native12_GLOBAL__N_18offset_tEEE10hipError_tPvRmT1_PNSt15iterator_traitsISK_E10value_typeET2_T3_PNSL_ISQ_E10value_typeET4_jRbjT5_SW_jjP12ihipStream_tbEUlT_E1_NS1_11comp_targetILNS1_3genE3ELNS1_11target_archE908ELNS1_3gpuE7ELNS1_3repE0EEENS1_59segmented_radix_sort_warp_sort_small_config_static_selectorELNS0_4arch9wavefront6targetE0EEEvSK_.has_indirect_call, 0
	.section	.AMDGPU.csdata,"",@progbits
; Kernel info:
; codeLenInByte = 0
; TotalNumSgprs: 0
; NumVgprs: 0
; ScratchSize: 0
; MemoryBound: 0
; FloatMode: 240
; IeeeMode: 1
; LDSByteSize: 0 bytes/workgroup (compile time only)
; SGPRBlocks: 0
; VGPRBlocks: 0
; NumSGPRsForWavesPerEU: 1
; NumVGPRsForWavesPerEU: 1
; Occupancy: 16
; WaveLimiterHint : 0
; COMPUTE_PGM_RSRC2:SCRATCH_EN: 0
; COMPUTE_PGM_RSRC2:USER_SGPR: 6
; COMPUTE_PGM_RSRC2:TRAP_HANDLER: 0
; COMPUTE_PGM_RSRC2:TGID_X_EN: 1
; COMPUTE_PGM_RSRC2:TGID_Y_EN: 0
; COMPUTE_PGM_RSRC2:TGID_Z_EN: 0
; COMPUTE_PGM_RSRC2:TIDIG_COMP_CNT: 0
	.section	.text._ZN7rocprim17ROCPRIM_400000_NS6detail17trampoline_kernelINS0_14default_configENS1_36segmented_radix_sort_config_selectorIhlEEZNS1_25segmented_radix_sort_implIS3_Lb0EPKhPhPKlPlN2at6native12_GLOBAL__N_18offset_tEEE10hipError_tPvRmT1_PNSt15iterator_traitsISK_E10value_typeET2_T3_PNSL_ISQ_E10value_typeET4_jRbjT5_SW_jjP12ihipStream_tbEUlT_E1_NS1_11comp_targetILNS1_3genE2ELNS1_11target_archE906ELNS1_3gpuE6ELNS1_3repE0EEENS1_59segmented_radix_sort_warp_sort_small_config_static_selectorELNS0_4arch9wavefront6targetE0EEEvSK_,"axG",@progbits,_ZN7rocprim17ROCPRIM_400000_NS6detail17trampoline_kernelINS0_14default_configENS1_36segmented_radix_sort_config_selectorIhlEEZNS1_25segmented_radix_sort_implIS3_Lb0EPKhPhPKlPlN2at6native12_GLOBAL__N_18offset_tEEE10hipError_tPvRmT1_PNSt15iterator_traitsISK_E10value_typeET2_T3_PNSL_ISQ_E10value_typeET4_jRbjT5_SW_jjP12ihipStream_tbEUlT_E1_NS1_11comp_targetILNS1_3genE2ELNS1_11target_archE906ELNS1_3gpuE6ELNS1_3repE0EEENS1_59segmented_radix_sort_warp_sort_small_config_static_selectorELNS0_4arch9wavefront6targetE0EEEvSK_,comdat
	.globl	_ZN7rocprim17ROCPRIM_400000_NS6detail17trampoline_kernelINS0_14default_configENS1_36segmented_radix_sort_config_selectorIhlEEZNS1_25segmented_radix_sort_implIS3_Lb0EPKhPhPKlPlN2at6native12_GLOBAL__N_18offset_tEEE10hipError_tPvRmT1_PNSt15iterator_traitsISK_E10value_typeET2_T3_PNSL_ISQ_E10value_typeET4_jRbjT5_SW_jjP12ihipStream_tbEUlT_E1_NS1_11comp_targetILNS1_3genE2ELNS1_11target_archE906ELNS1_3gpuE6ELNS1_3repE0EEENS1_59segmented_radix_sort_warp_sort_small_config_static_selectorELNS0_4arch9wavefront6targetE0EEEvSK_ ; -- Begin function _ZN7rocprim17ROCPRIM_400000_NS6detail17trampoline_kernelINS0_14default_configENS1_36segmented_radix_sort_config_selectorIhlEEZNS1_25segmented_radix_sort_implIS3_Lb0EPKhPhPKlPlN2at6native12_GLOBAL__N_18offset_tEEE10hipError_tPvRmT1_PNSt15iterator_traitsISK_E10value_typeET2_T3_PNSL_ISQ_E10value_typeET4_jRbjT5_SW_jjP12ihipStream_tbEUlT_E1_NS1_11comp_targetILNS1_3genE2ELNS1_11target_archE906ELNS1_3gpuE6ELNS1_3repE0EEENS1_59segmented_radix_sort_warp_sort_small_config_static_selectorELNS0_4arch9wavefront6targetE0EEEvSK_
	.p2align	8
	.type	_ZN7rocprim17ROCPRIM_400000_NS6detail17trampoline_kernelINS0_14default_configENS1_36segmented_radix_sort_config_selectorIhlEEZNS1_25segmented_radix_sort_implIS3_Lb0EPKhPhPKlPlN2at6native12_GLOBAL__N_18offset_tEEE10hipError_tPvRmT1_PNSt15iterator_traitsISK_E10value_typeET2_T3_PNSL_ISQ_E10value_typeET4_jRbjT5_SW_jjP12ihipStream_tbEUlT_E1_NS1_11comp_targetILNS1_3genE2ELNS1_11target_archE906ELNS1_3gpuE6ELNS1_3repE0EEENS1_59segmented_radix_sort_warp_sort_small_config_static_selectorELNS0_4arch9wavefront6targetE0EEEvSK_,@function
_ZN7rocprim17ROCPRIM_400000_NS6detail17trampoline_kernelINS0_14default_configENS1_36segmented_radix_sort_config_selectorIhlEEZNS1_25segmented_radix_sort_implIS3_Lb0EPKhPhPKlPlN2at6native12_GLOBAL__N_18offset_tEEE10hipError_tPvRmT1_PNSt15iterator_traitsISK_E10value_typeET2_T3_PNSL_ISQ_E10value_typeET4_jRbjT5_SW_jjP12ihipStream_tbEUlT_E1_NS1_11comp_targetILNS1_3genE2ELNS1_11target_archE906ELNS1_3gpuE6ELNS1_3repE0EEENS1_59segmented_radix_sort_warp_sort_small_config_static_selectorELNS0_4arch9wavefront6targetE0EEEvSK_: ; @_ZN7rocprim17ROCPRIM_400000_NS6detail17trampoline_kernelINS0_14default_configENS1_36segmented_radix_sort_config_selectorIhlEEZNS1_25segmented_radix_sort_implIS3_Lb0EPKhPhPKlPlN2at6native12_GLOBAL__N_18offset_tEEE10hipError_tPvRmT1_PNSt15iterator_traitsISK_E10value_typeET2_T3_PNSL_ISQ_E10value_typeET4_jRbjT5_SW_jjP12ihipStream_tbEUlT_E1_NS1_11comp_targetILNS1_3genE2ELNS1_11target_archE906ELNS1_3gpuE6ELNS1_3repE0EEENS1_59segmented_radix_sort_warp_sort_small_config_static_selectorELNS0_4arch9wavefront6targetE0EEEvSK_
; %bb.0:
	.section	.rodata,"a",@progbits
	.p2align	6, 0x0
	.amdhsa_kernel _ZN7rocprim17ROCPRIM_400000_NS6detail17trampoline_kernelINS0_14default_configENS1_36segmented_radix_sort_config_selectorIhlEEZNS1_25segmented_radix_sort_implIS3_Lb0EPKhPhPKlPlN2at6native12_GLOBAL__N_18offset_tEEE10hipError_tPvRmT1_PNSt15iterator_traitsISK_E10value_typeET2_T3_PNSL_ISQ_E10value_typeET4_jRbjT5_SW_jjP12ihipStream_tbEUlT_E1_NS1_11comp_targetILNS1_3genE2ELNS1_11target_archE906ELNS1_3gpuE6ELNS1_3repE0EEENS1_59segmented_radix_sort_warp_sort_small_config_static_selectorELNS0_4arch9wavefront6targetE0EEEvSK_
		.amdhsa_group_segment_fixed_size 0
		.amdhsa_private_segment_fixed_size 0
		.amdhsa_kernarg_size 88
		.amdhsa_user_sgpr_count 6
		.amdhsa_user_sgpr_private_segment_buffer 1
		.amdhsa_user_sgpr_dispatch_ptr 0
		.amdhsa_user_sgpr_queue_ptr 0
		.amdhsa_user_sgpr_kernarg_segment_ptr 1
		.amdhsa_user_sgpr_dispatch_id 0
		.amdhsa_user_sgpr_flat_scratch_init 0
		.amdhsa_user_sgpr_private_segment_size 0
		.amdhsa_wavefront_size32 1
		.amdhsa_uses_dynamic_stack 0
		.amdhsa_system_sgpr_private_segment_wavefront_offset 0
		.amdhsa_system_sgpr_workgroup_id_x 1
		.amdhsa_system_sgpr_workgroup_id_y 0
		.amdhsa_system_sgpr_workgroup_id_z 0
		.amdhsa_system_sgpr_workgroup_info 0
		.amdhsa_system_vgpr_workitem_id 0
		.amdhsa_next_free_vgpr 1
		.amdhsa_next_free_sgpr 1
		.amdhsa_reserve_vcc 0
		.amdhsa_reserve_flat_scratch 0
		.amdhsa_float_round_mode_32 0
		.amdhsa_float_round_mode_16_64 0
		.amdhsa_float_denorm_mode_32 3
		.amdhsa_float_denorm_mode_16_64 3
		.amdhsa_dx10_clamp 1
		.amdhsa_ieee_mode 1
		.amdhsa_fp16_overflow 0
		.amdhsa_workgroup_processor_mode 1
		.amdhsa_memory_ordered 1
		.amdhsa_forward_progress 1
		.amdhsa_shared_vgpr_count 0
		.amdhsa_exception_fp_ieee_invalid_op 0
		.amdhsa_exception_fp_denorm_src 0
		.amdhsa_exception_fp_ieee_div_zero 0
		.amdhsa_exception_fp_ieee_overflow 0
		.amdhsa_exception_fp_ieee_underflow 0
		.amdhsa_exception_fp_ieee_inexact 0
		.amdhsa_exception_int_div_zero 0
	.end_amdhsa_kernel
	.section	.text._ZN7rocprim17ROCPRIM_400000_NS6detail17trampoline_kernelINS0_14default_configENS1_36segmented_radix_sort_config_selectorIhlEEZNS1_25segmented_radix_sort_implIS3_Lb0EPKhPhPKlPlN2at6native12_GLOBAL__N_18offset_tEEE10hipError_tPvRmT1_PNSt15iterator_traitsISK_E10value_typeET2_T3_PNSL_ISQ_E10value_typeET4_jRbjT5_SW_jjP12ihipStream_tbEUlT_E1_NS1_11comp_targetILNS1_3genE2ELNS1_11target_archE906ELNS1_3gpuE6ELNS1_3repE0EEENS1_59segmented_radix_sort_warp_sort_small_config_static_selectorELNS0_4arch9wavefront6targetE0EEEvSK_,"axG",@progbits,_ZN7rocprim17ROCPRIM_400000_NS6detail17trampoline_kernelINS0_14default_configENS1_36segmented_radix_sort_config_selectorIhlEEZNS1_25segmented_radix_sort_implIS3_Lb0EPKhPhPKlPlN2at6native12_GLOBAL__N_18offset_tEEE10hipError_tPvRmT1_PNSt15iterator_traitsISK_E10value_typeET2_T3_PNSL_ISQ_E10value_typeET4_jRbjT5_SW_jjP12ihipStream_tbEUlT_E1_NS1_11comp_targetILNS1_3genE2ELNS1_11target_archE906ELNS1_3gpuE6ELNS1_3repE0EEENS1_59segmented_radix_sort_warp_sort_small_config_static_selectorELNS0_4arch9wavefront6targetE0EEEvSK_,comdat
.Lfunc_end209:
	.size	_ZN7rocprim17ROCPRIM_400000_NS6detail17trampoline_kernelINS0_14default_configENS1_36segmented_radix_sort_config_selectorIhlEEZNS1_25segmented_radix_sort_implIS3_Lb0EPKhPhPKlPlN2at6native12_GLOBAL__N_18offset_tEEE10hipError_tPvRmT1_PNSt15iterator_traitsISK_E10value_typeET2_T3_PNSL_ISQ_E10value_typeET4_jRbjT5_SW_jjP12ihipStream_tbEUlT_E1_NS1_11comp_targetILNS1_3genE2ELNS1_11target_archE906ELNS1_3gpuE6ELNS1_3repE0EEENS1_59segmented_radix_sort_warp_sort_small_config_static_selectorELNS0_4arch9wavefront6targetE0EEEvSK_, .Lfunc_end209-_ZN7rocprim17ROCPRIM_400000_NS6detail17trampoline_kernelINS0_14default_configENS1_36segmented_radix_sort_config_selectorIhlEEZNS1_25segmented_radix_sort_implIS3_Lb0EPKhPhPKlPlN2at6native12_GLOBAL__N_18offset_tEEE10hipError_tPvRmT1_PNSt15iterator_traitsISK_E10value_typeET2_T3_PNSL_ISQ_E10value_typeET4_jRbjT5_SW_jjP12ihipStream_tbEUlT_E1_NS1_11comp_targetILNS1_3genE2ELNS1_11target_archE906ELNS1_3gpuE6ELNS1_3repE0EEENS1_59segmented_radix_sort_warp_sort_small_config_static_selectorELNS0_4arch9wavefront6targetE0EEEvSK_
                                        ; -- End function
	.set _ZN7rocprim17ROCPRIM_400000_NS6detail17trampoline_kernelINS0_14default_configENS1_36segmented_radix_sort_config_selectorIhlEEZNS1_25segmented_radix_sort_implIS3_Lb0EPKhPhPKlPlN2at6native12_GLOBAL__N_18offset_tEEE10hipError_tPvRmT1_PNSt15iterator_traitsISK_E10value_typeET2_T3_PNSL_ISQ_E10value_typeET4_jRbjT5_SW_jjP12ihipStream_tbEUlT_E1_NS1_11comp_targetILNS1_3genE2ELNS1_11target_archE906ELNS1_3gpuE6ELNS1_3repE0EEENS1_59segmented_radix_sort_warp_sort_small_config_static_selectorELNS0_4arch9wavefront6targetE0EEEvSK_.num_vgpr, 0
	.set _ZN7rocprim17ROCPRIM_400000_NS6detail17trampoline_kernelINS0_14default_configENS1_36segmented_radix_sort_config_selectorIhlEEZNS1_25segmented_radix_sort_implIS3_Lb0EPKhPhPKlPlN2at6native12_GLOBAL__N_18offset_tEEE10hipError_tPvRmT1_PNSt15iterator_traitsISK_E10value_typeET2_T3_PNSL_ISQ_E10value_typeET4_jRbjT5_SW_jjP12ihipStream_tbEUlT_E1_NS1_11comp_targetILNS1_3genE2ELNS1_11target_archE906ELNS1_3gpuE6ELNS1_3repE0EEENS1_59segmented_radix_sort_warp_sort_small_config_static_selectorELNS0_4arch9wavefront6targetE0EEEvSK_.num_agpr, 0
	.set _ZN7rocprim17ROCPRIM_400000_NS6detail17trampoline_kernelINS0_14default_configENS1_36segmented_radix_sort_config_selectorIhlEEZNS1_25segmented_radix_sort_implIS3_Lb0EPKhPhPKlPlN2at6native12_GLOBAL__N_18offset_tEEE10hipError_tPvRmT1_PNSt15iterator_traitsISK_E10value_typeET2_T3_PNSL_ISQ_E10value_typeET4_jRbjT5_SW_jjP12ihipStream_tbEUlT_E1_NS1_11comp_targetILNS1_3genE2ELNS1_11target_archE906ELNS1_3gpuE6ELNS1_3repE0EEENS1_59segmented_radix_sort_warp_sort_small_config_static_selectorELNS0_4arch9wavefront6targetE0EEEvSK_.numbered_sgpr, 0
	.set _ZN7rocprim17ROCPRIM_400000_NS6detail17trampoline_kernelINS0_14default_configENS1_36segmented_radix_sort_config_selectorIhlEEZNS1_25segmented_radix_sort_implIS3_Lb0EPKhPhPKlPlN2at6native12_GLOBAL__N_18offset_tEEE10hipError_tPvRmT1_PNSt15iterator_traitsISK_E10value_typeET2_T3_PNSL_ISQ_E10value_typeET4_jRbjT5_SW_jjP12ihipStream_tbEUlT_E1_NS1_11comp_targetILNS1_3genE2ELNS1_11target_archE906ELNS1_3gpuE6ELNS1_3repE0EEENS1_59segmented_radix_sort_warp_sort_small_config_static_selectorELNS0_4arch9wavefront6targetE0EEEvSK_.num_named_barrier, 0
	.set _ZN7rocprim17ROCPRIM_400000_NS6detail17trampoline_kernelINS0_14default_configENS1_36segmented_radix_sort_config_selectorIhlEEZNS1_25segmented_radix_sort_implIS3_Lb0EPKhPhPKlPlN2at6native12_GLOBAL__N_18offset_tEEE10hipError_tPvRmT1_PNSt15iterator_traitsISK_E10value_typeET2_T3_PNSL_ISQ_E10value_typeET4_jRbjT5_SW_jjP12ihipStream_tbEUlT_E1_NS1_11comp_targetILNS1_3genE2ELNS1_11target_archE906ELNS1_3gpuE6ELNS1_3repE0EEENS1_59segmented_radix_sort_warp_sort_small_config_static_selectorELNS0_4arch9wavefront6targetE0EEEvSK_.private_seg_size, 0
	.set _ZN7rocprim17ROCPRIM_400000_NS6detail17trampoline_kernelINS0_14default_configENS1_36segmented_radix_sort_config_selectorIhlEEZNS1_25segmented_radix_sort_implIS3_Lb0EPKhPhPKlPlN2at6native12_GLOBAL__N_18offset_tEEE10hipError_tPvRmT1_PNSt15iterator_traitsISK_E10value_typeET2_T3_PNSL_ISQ_E10value_typeET4_jRbjT5_SW_jjP12ihipStream_tbEUlT_E1_NS1_11comp_targetILNS1_3genE2ELNS1_11target_archE906ELNS1_3gpuE6ELNS1_3repE0EEENS1_59segmented_radix_sort_warp_sort_small_config_static_selectorELNS0_4arch9wavefront6targetE0EEEvSK_.uses_vcc, 0
	.set _ZN7rocprim17ROCPRIM_400000_NS6detail17trampoline_kernelINS0_14default_configENS1_36segmented_radix_sort_config_selectorIhlEEZNS1_25segmented_radix_sort_implIS3_Lb0EPKhPhPKlPlN2at6native12_GLOBAL__N_18offset_tEEE10hipError_tPvRmT1_PNSt15iterator_traitsISK_E10value_typeET2_T3_PNSL_ISQ_E10value_typeET4_jRbjT5_SW_jjP12ihipStream_tbEUlT_E1_NS1_11comp_targetILNS1_3genE2ELNS1_11target_archE906ELNS1_3gpuE6ELNS1_3repE0EEENS1_59segmented_radix_sort_warp_sort_small_config_static_selectorELNS0_4arch9wavefront6targetE0EEEvSK_.uses_flat_scratch, 0
	.set _ZN7rocprim17ROCPRIM_400000_NS6detail17trampoline_kernelINS0_14default_configENS1_36segmented_radix_sort_config_selectorIhlEEZNS1_25segmented_radix_sort_implIS3_Lb0EPKhPhPKlPlN2at6native12_GLOBAL__N_18offset_tEEE10hipError_tPvRmT1_PNSt15iterator_traitsISK_E10value_typeET2_T3_PNSL_ISQ_E10value_typeET4_jRbjT5_SW_jjP12ihipStream_tbEUlT_E1_NS1_11comp_targetILNS1_3genE2ELNS1_11target_archE906ELNS1_3gpuE6ELNS1_3repE0EEENS1_59segmented_radix_sort_warp_sort_small_config_static_selectorELNS0_4arch9wavefront6targetE0EEEvSK_.has_dyn_sized_stack, 0
	.set _ZN7rocprim17ROCPRIM_400000_NS6detail17trampoline_kernelINS0_14default_configENS1_36segmented_radix_sort_config_selectorIhlEEZNS1_25segmented_radix_sort_implIS3_Lb0EPKhPhPKlPlN2at6native12_GLOBAL__N_18offset_tEEE10hipError_tPvRmT1_PNSt15iterator_traitsISK_E10value_typeET2_T3_PNSL_ISQ_E10value_typeET4_jRbjT5_SW_jjP12ihipStream_tbEUlT_E1_NS1_11comp_targetILNS1_3genE2ELNS1_11target_archE906ELNS1_3gpuE6ELNS1_3repE0EEENS1_59segmented_radix_sort_warp_sort_small_config_static_selectorELNS0_4arch9wavefront6targetE0EEEvSK_.has_recursion, 0
	.set _ZN7rocprim17ROCPRIM_400000_NS6detail17trampoline_kernelINS0_14default_configENS1_36segmented_radix_sort_config_selectorIhlEEZNS1_25segmented_radix_sort_implIS3_Lb0EPKhPhPKlPlN2at6native12_GLOBAL__N_18offset_tEEE10hipError_tPvRmT1_PNSt15iterator_traitsISK_E10value_typeET2_T3_PNSL_ISQ_E10value_typeET4_jRbjT5_SW_jjP12ihipStream_tbEUlT_E1_NS1_11comp_targetILNS1_3genE2ELNS1_11target_archE906ELNS1_3gpuE6ELNS1_3repE0EEENS1_59segmented_radix_sort_warp_sort_small_config_static_selectorELNS0_4arch9wavefront6targetE0EEEvSK_.has_indirect_call, 0
	.section	.AMDGPU.csdata,"",@progbits
; Kernel info:
; codeLenInByte = 0
; TotalNumSgprs: 0
; NumVgprs: 0
; ScratchSize: 0
; MemoryBound: 0
; FloatMode: 240
; IeeeMode: 1
; LDSByteSize: 0 bytes/workgroup (compile time only)
; SGPRBlocks: 0
; VGPRBlocks: 0
; NumSGPRsForWavesPerEU: 1
; NumVGPRsForWavesPerEU: 1
; Occupancy: 16
; WaveLimiterHint : 0
; COMPUTE_PGM_RSRC2:SCRATCH_EN: 0
; COMPUTE_PGM_RSRC2:USER_SGPR: 6
; COMPUTE_PGM_RSRC2:TRAP_HANDLER: 0
; COMPUTE_PGM_RSRC2:TGID_X_EN: 1
; COMPUTE_PGM_RSRC2:TGID_Y_EN: 0
; COMPUTE_PGM_RSRC2:TGID_Z_EN: 0
; COMPUTE_PGM_RSRC2:TIDIG_COMP_CNT: 0
	.section	.text._ZN7rocprim17ROCPRIM_400000_NS6detail17trampoline_kernelINS0_14default_configENS1_36segmented_radix_sort_config_selectorIhlEEZNS1_25segmented_radix_sort_implIS3_Lb0EPKhPhPKlPlN2at6native12_GLOBAL__N_18offset_tEEE10hipError_tPvRmT1_PNSt15iterator_traitsISK_E10value_typeET2_T3_PNSL_ISQ_E10value_typeET4_jRbjT5_SW_jjP12ihipStream_tbEUlT_E1_NS1_11comp_targetILNS1_3genE10ELNS1_11target_archE1201ELNS1_3gpuE5ELNS1_3repE0EEENS1_59segmented_radix_sort_warp_sort_small_config_static_selectorELNS0_4arch9wavefront6targetE0EEEvSK_,"axG",@progbits,_ZN7rocprim17ROCPRIM_400000_NS6detail17trampoline_kernelINS0_14default_configENS1_36segmented_radix_sort_config_selectorIhlEEZNS1_25segmented_radix_sort_implIS3_Lb0EPKhPhPKlPlN2at6native12_GLOBAL__N_18offset_tEEE10hipError_tPvRmT1_PNSt15iterator_traitsISK_E10value_typeET2_T3_PNSL_ISQ_E10value_typeET4_jRbjT5_SW_jjP12ihipStream_tbEUlT_E1_NS1_11comp_targetILNS1_3genE10ELNS1_11target_archE1201ELNS1_3gpuE5ELNS1_3repE0EEENS1_59segmented_radix_sort_warp_sort_small_config_static_selectorELNS0_4arch9wavefront6targetE0EEEvSK_,comdat
	.globl	_ZN7rocprim17ROCPRIM_400000_NS6detail17trampoline_kernelINS0_14default_configENS1_36segmented_radix_sort_config_selectorIhlEEZNS1_25segmented_radix_sort_implIS3_Lb0EPKhPhPKlPlN2at6native12_GLOBAL__N_18offset_tEEE10hipError_tPvRmT1_PNSt15iterator_traitsISK_E10value_typeET2_T3_PNSL_ISQ_E10value_typeET4_jRbjT5_SW_jjP12ihipStream_tbEUlT_E1_NS1_11comp_targetILNS1_3genE10ELNS1_11target_archE1201ELNS1_3gpuE5ELNS1_3repE0EEENS1_59segmented_radix_sort_warp_sort_small_config_static_selectorELNS0_4arch9wavefront6targetE0EEEvSK_ ; -- Begin function _ZN7rocprim17ROCPRIM_400000_NS6detail17trampoline_kernelINS0_14default_configENS1_36segmented_radix_sort_config_selectorIhlEEZNS1_25segmented_radix_sort_implIS3_Lb0EPKhPhPKlPlN2at6native12_GLOBAL__N_18offset_tEEE10hipError_tPvRmT1_PNSt15iterator_traitsISK_E10value_typeET2_T3_PNSL_ISQ_E10value_typeET4_jRbjT5_SW_jjP12ihipStream_tbEUlT_E1_NS1_11comp_targetILNS1_3genE10ELNS1_11target_archE1201ELNS1_3gpuE5ELNS1_3repE0EEENS1_59segmented_radix_sort_warp_sort_small_config_static_selectorELNS0_4arch9wavefront6targetE0EEEvSK_
	.p2align	8
	.type	_ZN7rocprim17ROCPRIM_400000_NS6detail17trampoline_kernelINS0_14default_configENS1_36segmented_radix_sort_config_selectorIhlEEZNS1_25segmented_radix_sort_implIS3_Lb0EPKhPhPKlPlN2at6native12_GLOBAL__N_18offset_tEEE10hipError_tPvRmT1_PNSt15iterator_traitsISK_E10value_typeET2_T3_PNSL_ISQ_E10value_typeET4_jRbjT5_SW_jjP12ihipStream_tbEUlT_E1_NS1_11comp_targetILNS1_3genE10ELNS1_11target_archE1201ELNS1_3gpuE5ELNS1_3repE0EEENS1_59segmented_radix_sort_warp_sort_small_config_static_selectorELNS0_4arch9wavefront6targetE0EEEvSK_,@function
_ZN7rocprim17ROCPRIM_400000_NS6detail17trampoline_kernelINS0_14default_configENS1_36segmented_radix_sort_config_selectorIhlEEZNS1_25segmented_radix_sort_implIS3_Lb0EPKhPhPKlPlN2at6native12_GLOBAL__N_18offset_tEEE10hipError_tPvRmT1_PNSt15iterator_traitsISK_E10value_typeET2_T3_PNSL_ISQ_E10value_typeET4_jRbjT5_SW_jjP12ihipStream_tbEUlT_E1_NS1_11comp_targetILNS1_3genE10ELNS1_11target_archE1201ELNS1_3gpuE5ELNS1_3repE0EEENS1_59segmented_radix_sort_warp_sort_small_config_static_selectorELNS0_4arch9wavefront6targetE0EEEvSK_: ; @_ZN7rocprim17ROCPRIM_400000_NS6detail17trampoline_kernelINS0_14default_configENS1_36segmented_radix_sort_config_selectorIhlEEZNS1_25segmented_radix_sort_implIS3_Lb0EPKhPhPKlPlN2at6native12_GLOBAL__N_18offset_tEEE10hipError_tPvRmT1_PNSt15iterator_traitsISK_E10value_typeET2_T3_PNSL_ISQ_E10value_typeET4_jRbjT5_SW_jjP12ihipStream_tbEUlT_E1_NS1_11comp_targetILNS1_3genE10ELNS1_11target_archE1201ELNS1_3gpuE5ELNS1_3repE0EEENS1_59segmented_radix_sort_warp_sort_small_config_static_selectorELNS0_4arch9wavefront6targetE0EEEvSK_
; %bb.0:
	.section	.rodata,"a",@progbits
	.p2align	6, 0x0
	.amdhsa_kernel _ZN7rocprim17ROCPRIM_400000_NS6detail17trampoline_kernelINS0_14default_configENS1_36segmented_radix_sort_config_selectorIhlEEZNS1_25segmented_radix_sort_implIS3_Lb0EPKhPhPKlPlN2at6native12_GLOBAL__N_18offset_tEEE10hipError_tPvRmT1_PNSt15iterator_traitsISK_E10value_typeET2_T3_PNSL_ISQ_E10value_typeET4_jRbjT5_SW_jjP12ihipStream_tbEUlT_E1_NS1_11comp_targetILNS1_3genE10ELNS1_11target_archE1201ELNS1_3gpuE5ELNS1_3repE0EEENS1_59segmented_radix_sort_warp_sort_small_config_static_selectorELNS0_4arch9wavefront6targetE0EEEvSK_
		.amdhsa_group_segment_fixed_size 0
		.amdhsa_private_segment_fixed_size 0
		.amdhsa_kernarg_size 88
		.amdhsa_user_sgpr_count 6
		.amdhsa_user_sgpr_private_segment_buffer 1
		.amdhsa_user_sgpr_dispatch_ptr 0
		.amdhsa_user_sgpr_queue_ptr 0
		.amdhsa_user_sgpr_kernarg_segment_ptr 1
		.amdhsa_user_sgpr_dispatch_id 0
		.amdhsa_user_sgpr_flat_scratch_init 0
		.amdhsa_user_sgpr_private_segment_size 0
		.amdhsa_wavefront_size32 1
		.amdhsa_uses_dynamic_stack 0
		.amdhsa_system_sgpr_private_segment_wavefront_offset 0
		.amdhsa_system_sgpr_workgroup_id_x 1
		.amdhsa_system_sgpr_workgroup_id_y 0
		.amdhsa_system_sgpr_workgroup_id_z 0
		.amdhsa_system_sgpr_workgroup_info 0
		.amdhsa_system_vgpr_workitem_id 0
		.amdhsa_next_free_vgpr 1
		.amdhsa_next_free_sgpr 1
		.amdhsa_reserve_vcc 0
		.amdhsa_reserve_flat_scratch 0
		.amdhsa_float_round_mode_32 0
		.amdhsa_float_round_mode_16_64 0
		.amdhsa_float_denorm_mode_32 3
		.amdhsa_float_denorm_mode_16_64 3
		.amdhsa_dx10_clamp 1
		.amdhsa_ieee_mode 1
		.amdhsa_fp16_overflow 0
		.amdhsa_workgroup_processor_mode 1
		.amdhsa_memory_ordered 1
		.amdhsa_forward_progress 1
		.amdhsa_shared_vgpr_count 0
		.amdhsa_exception_fp_ieee_invalid_op 0
		.amdhsa_exception_fp_denorm_src 0
		.amdhsa_exception_fp_ieee_div_zero 0
		.amdhsa_exception_fp_ieee_overflow 0
		.amdhsa_exception_fp_ieee_underflow 0
		.amdhsa_exception_fp_ieee_inexact 0
		.amdhsa_exception_int_div_zero 0
	.end_amdhsa_kernel
	.section	.text._ZN7rocprim17ROCPRIM_400000_NS6detail17trampoline_kernelINS0_14default_configENS1_36segmented_radix_sort_config_selectorIhlEEZNS1_25segmented_radix_sort_implIS3_Lb0EPKhPhPKlPlN2at6native12_GLOBAL__N_18offset_tEEE10hipError_tPvRmT1_PNSt15iterator_traitsISK_E10value_typeET2_T3_PNSL_ISQ_E10value_typeET4_jRbjT5_SW_jjP12ihipStream_tbEUlT_E1_NS1_11comp_targetILNS1_3genE10ELNS1_11target_archE1201ELNS1_3gpuE5ELNS1_3repE0EEENS1_59segmented_radix_sort_warp_sort_small_config_static_selectorELNS0_4arch9wavefront6targetE0EEEvSK_,"axG",@progbits,_ZN7rocprim17ROCPRIM_400000_NS6detail17trampoline_kernelINS0_14default_configENS1_36segmented_radix_sort_config_selectorIhlEEZNS1_25segmented_radix_sort_implIS3_Lb0EPKhPhPKlPlN2at6native12_GLOBAL__N_18offset_tEEE10hipError_tPvRmT1_PNSt15iterator_traitsISK_E10value_typeET2_T3_PNSL_ISQ_E10value_typeET4_jRbjT5_SW_jjP12ihipStream_tbEUlT_E1_NS1_11comp_targetILNS1_3genE10ELNS1_11target_archE1201ELNS1_3gpuE5ELNS1_3repE0EEENS1_59segmented_radix_sort_warp_sort_small_config_static_selectorELNS0_4arch9wavefront6targetE0EEEvSK_,comdat
.Lfunc_end210:
	.size	_ZN7rocprim17ROCPRIM_400000_NS6detail17trampoline_kernelINS0_14default_configENS1_36segmented_radix_sort_config_selectorIhlEEZNS1_25segmented_radix_sort_implIS3_Lb0EPKhPhPKlPlN2at6native12_GLOBAL__N_18offset_tEEE10hipError_tPvRmT1_PNSt15iterator_traitsISK_E10value_typeET2_T3_PNSL_ISQ_E10value_typeET4_jRbjT5_SW_jjP12ihipStream_tbEUlT_E1_NS1_11comp_targetILNS1_3genE10ELNS1_11target_archE1201ELNS1_3gpuE5ELNS1_3repE0EEENS1_59segmented_radix_sort_warp_sort_small_config_static_selectorELNS0_4arch9wavefront6targetE0EEEvSK_, .Lfunc_end210-_ZN7rocprim17ROCPRIM_400000_NS6detail17trampoline_kernelINS0_14default_configENS1_36segmented_radix_sort_config_selectorIhlEEZNS1_25segmented_radix_sort_implIS3_Lb0EPKhPhPKlPlN2at6native12_GLOBAL__N_18offset_tEEE10hipError_tPvRmT1_PNSt15iterator_traitsISK_E10value_typeET2_T3_PNSL_ISQ_E10value_typeET4_jRbjT5_SW_jjP12ihipStream_tbEUlT_E1_NS1_11comp_targetILNS1_3genE10ELNS1_11target_archE1201ELNS1_3gpuE5ELNS1_3repE0EEENS1_59segmented_radix_sort_warp_sort_small_config_static_selectorELNS0_4arch9wavefront6targetE0EEEvSK_
                                        ; -- End function
	.set _ZN7rocprim17ROCPRIM_400000_NS6detail17trampoline_kernelINS0_14default_configENS1_36segmented_radix_sort_config_selectorIhlEEZNS1_25segmented_radix_sort_implIS3_Lb0EPKhPhPKlPlN2at6native12_GLOBAL__N_18offset_tEEE10hipError_tPvRmT1_PNSt15iterator_traitsISK_E10value_typeET2_T3_PNSL_ISQ_E10value_typeET4_jRbjT5_SW_jjP12ihipStream_tbEUlT_E1_NS1_11comp_targetILNS1_3genE10ELNS1_11target_archE1201ELNS1_3gpuE5ELNS1_3repE0EEENS1_59segmented_radix_sort_warp_sort_small_config_static_selectorELNS0_4arch9wavefront6targetE0EEEvSK_.num_vgpr, 0
	.set _ZN7rocprim17ROCPRIM_400000_NS6detail17trampoline_kernelINS0_14default_configENS1_36segmented_radix_sort_config_selectorIhlEEZNS1_25segmented_radix_sort_implIS3_Lb0EPKhPhPKlPlN2at6native12_GLOBAL__N_18offset_tEEE10hipError_tPvRmT1_PNSt15iterator_traitsISK_E10value_typeET2_T3_PNSL_ISQ_E10value_typeET4_jRbjT5_SW_jjP12ihipStream_tbEUlT_E1_NS1_11comp_targetILNS1_3genE10ELNS1_11target_archE1201ELNS1_3gpuE5ELNS1_3repE0EEENS1_59segmented_radix_sort_warp_sort_small_config_static_selectorELNS0_4arch9wavefront6targetE0EEEvSK_.num_agpr, 0
	.set _ZN7rocprim17ROCPRIM_400000_NS6detail17trampoline_kernelINS0_14default_configENS1_36segmented_radix_sort_config_selectorIhlEEZNS1_25segmented_radix_sort_implIS3_Lb0EPKhPhPKlPlN2at6native12_GLOBAL__N_18offset_tEEE10hipError_tPvRmT1_PNSt15iterator_traitsISK_E10value_typeET2_T3_PNSL_ISQ_E10value_typeET4_jRbjT5_SW_jjP12ihipStream_tbEUlT_E1_NS1_11comp_targetILNS1_3genE10ELNS1_11target_archE1201ELNS1_3gpuE5ELNS1_3repE0EEENS1_59segmented_radix_sort_warp_sort_small_config_static_selectorELNS0_4arch9wavefront6targetE0EEEvSK_.numbered_sgpr, 0
	.set _ZN7rocprim17ROCPRIM_400000_NS6detail17trampoline_kernelINS0_14default_configENS1_36segmented_radix_sort_config_selectorIhlEEZNS1_25segmented_radix_sort_implIS3_Lb0EPKhPhPKlPlN2at6native12_GLOBAL__N_18offset_tEEE10hipError_tPvRmT1_PNSt15iterator_traitsISK_E10value_typeET2_T3_PNSL_ISQ_E10value_typeET4_jRbjT5_SW_jjP12ihipStream_tbEUlT_E1_NS1_11comp_targetILNS1_3genE10ELNS1_11target_archE1201ELNS1_3gpuE5ELNS1_3repE0EEENS1_59segmented_radix_sort_warp_sort_small_config_static_selectorELNS0_4arch9wavefront6targetE0EEEvSK_.num_named_barrier, 0
	.set _ZN7rocprim17ROCPRIM_400000_NS6detail17trampoline_kernelINS0_14default_configENS1_36segmented_radix_sort_config_selectorIhlEEZNS1_25segmented_radix_sort_implIS3_Lb0EPKhPhPKlPlN2at6native12_GLOBAL__N_18offset_tEEE10hipError_tPvRmT1_PNSt15iterator_traitsISK_E10value_typeET2_T3_PNSL_ISQ_E10value_typeET4_jRbjT5_SW_jjP12ihipStream_tbEUlT_E1_NS1_11comp_targetILNS1_3genE10ELNS1_11target_archE1201ELNS1_3gpuE5ELNS1_3repE0EEENS1_59segmented_radix_sort_warp_sort_small_config_static_selectorELNS0_4arch9wavefront6targetE0EEEvSK_.private_seg_size, 0
	.set _ZN7rocprim17ROCPRIM_400000_NS6detail17trampoline_kernelINS0_14default_configENS1_36segmented_radix_sort_config_selectorIhlEEZNS1_25segmented_radix_sort_implIS3_Lb0EPKhPhPKlPlN2at6native12_GLOBAL__N_18offset_tEEE10hipError_tPvRmT1_PNSt15iterator_traitsISK_E10value_typeET2_T3_PNSL_ISQ_E10value_typeET4_jRbjT5_SW_jjP12ihipStream_tbEUlT_E1_NS1_11comp_targetILNS1_3genE10ELNS1_11target_archE1201ELNS1_3gpuE5ELNS1_3repE0EEENS1_59segmented_radix_sort_warp_sort_small_config_static_selectorELNS0_4arch9wavefront6targetE0EEEvSK_.uses_vcc, 0
	.set _ZN7rocprim17ROCPRIM_400000_NS6detail17trampoline_kernelINS0_14default_configENS1_36segmented_radix_sort_config_selectorIhlEEZNS1_25segmented_radix_sort_implIS3_Lb0EPKhPhPKlPlN2at6native12_GLOBAL__N_18offset_tEEE10hipError_tPvRmT1_PNSt15iterator_traitsISK_E10value_typeET2_T3_PNSL_ISQ_E10value_typeET4_jRbjT5_SW_jjP12ihipStream_tbEUlT_E1_NS1_11comp_targetILNS1_3genE10ELNS1_11target_archE1201ELNS1_3gpuE5ELNS1_3repE0EEENS1_59segmented_radix_sort_warp_sort_small_config_static_selectorELNS0_4arch9wavefront6targetE0EEEvSK_.uses_flat_scratch, 0
	.set _ZN7rocprim17ROCPRIM_400000_NS6detail17trampoline_kernelINS0_14default_configENS1_36segmented_radix_sort_config_selectorIhlEEZNS1_25segmented_radix_sort_implIS3_Lb0EPKhPhPKlPlN2at6native12_GLOBAL__N_18offset_tEEE10hipError_tPvRmT1_PNSt15iterator_traitsISK_E10value_typeET2_T3_PNSL_ISQ_E10value_typeET4_jRbjT5_SW_jjP12ihipStream_tbEUlT_E1_NS1_11comp_targetILNS1_3genE10ELNS1_11target_archE1201ELNS1_3gpuE5ELNS1_3repE0EEENS1_59segmented_radix_sort_warp_sort_small_config_static_selectorELNS0_4arch9wavefront6targetE0EEEvSK_.has_dyn_sized_stack, 0
	.set _ZN7rocprim17ROCPRIM_400000_NS6detail17trampoline_kernelINS0_14default_configENS1_36segmented_radix_sort_config_selectorIhlEEZNS1_25segmented_radix_sort_implIS3_Lb0EPKhPhPKlPlN2at6native12_GLOBAL__N_18offset_tEEE10hipError_tPvRmT1_PNSt15iterator_traitsISK_E10value_typeET2_T3_PNSL_ISQ_E10value_typeET4_jRbjT5_SW_jjP12ihipStream_tbEUlT_E1_NS1_11comp_targetILNS1_3genE10ELNS1_11target_archE1201ELNS1_3gpuE5ELNS1_3repE0EEENS1_59segmented_radix_sort_warp_sort_small_config_static_selectorELNS0_4arch9wavefront6targetE0EEEvSK_.has_recursion, 0
	.set _ZN7rocprim17ROCPRIM_400000_NS6detail17trampoline_kernelINS0_14default_configENS1_36segmented_radix_sort_config_selectorIhlEEZNS1_25segmented_radix_sort_implIS3_Lb0EPKhPhPKlPlN2at6native12_GLOBAL__N_18offset_tEEE10hipError_tPvRmT1_PNSt15iterator_traitsISK_E10value_typeET2_T3_PNSL_ISQ_E10value_typeET4_jRbjT5_SW_jjP12ihipStream_tbEUlT_E1_NS1_11comp_targetILNS1_3genE10ELNS1_11target_archE1201ELNS1_3gpuE5ELNS1_3repE0EEENS1_59segmented_radix_sort_warp_sort_small_config_static_selectorELNS0_4arch9wavefront6targetE0EEEvSK_.has_indirect_call, 0
	.section	.AMDGPU.csdata,"",@progbits
; Kernel info:
; codeLenInByte = 0
; TotalNumSgprs: 0
; NumVgprs: 0
; ScratchSize: 0
; MemoryBound: 0
; FloatMode: 240
; IeeeMode: 1
; LDSByteSize: 0 bytes/workgroup (compile time only)
; SGPRBlocks: 0
; VGPRBlocks: 0
; NumSGPRsForWavesPerEU: 1
; NumVGPRsForWavesPerEU: 1
; Occupancy: 16
; WaveLimiterHint : 0
; COMPUTE_PGM_RSRC2:SCRATCH_EN: 0
; COMPUTE_PGM_RSRC2:USER_SGPR: 6
; COMPUTE_PGM_RSRC2:TRAP_HANDLER: 0
; COMPUTE_PGM_RSRC2:TGID_X_EN: 1
; COMPUTE_PGM_RSRC2:TGID_Y_EN: 0
; COMPUTE_PGM_RSRC2:TGID_Z_EN: 0
; COMPUTE_PGM_RSRC2:TIDIG_COMP_CNT: 0
	.section	.text._ZN7rocprim17ROCPRIM_400000_NS6detail17trampoline_kernelINS0_14default_configENS1_36segmented_radix_sort_config_selectorIhlEEZNS1_25segmented_radix_sort_implIS3_Lb0EPKhPhPKlPlN2at6native12_GLOBAL__N_18offset_tEEE10hipError_tPvRmT1_PNSt15iterator_traitsISK_E10value_typeET2_T3_PNSL_ISQ_E10value_typeET4_jRbjT5_SW_jjP12ihipStream_tbEUlT_E1_NS1_11comp_targetILNS1_3genE10ELNS1_11target_archE1200ELNS1_3gpuE4ELNS1_3repE0EEENS1_59segmented_radix_sort_warp_sort_small_config_static_selectorELNS0_4arch9wavefront6targetE0EEEvSK_,"axG",@progbits,_ZN7rocprim17ROCPRIM_400000_NS6detail17trampoline_kernelINS0_14default_configENS1_36segmented_radix_sort_config_selectorIhlEEZNS1_25segmented_radix_sort_implIS3_Lb0EPKhPhPKlPlN2at6native12_GLOBAL__N_18offset_tEEE10hipError_tPvRmT1_PNSt15iterator_traitsISK_E10value_typeET2_T3_PNSL_ISQ_E10value_typeET4_jRbjT5_SW_jjP12ihipStream_tbEUlT_E1_NS1_11comp_targetILNS1_3genE10ELNS1_11target_archE1200ELNS1_3gpuE4ELNS1_3repE0EEENS1_59segmented_radix_sort_warp_sort_small_config_static_selectorELNS0_4arch9wavefront6targetE0EEEvSK_,comdat
	.globl	_ZN7rocprim17ROCPRIM_400000_NS6detail17trampoline_kernelINS0_14default_configENS1_36segmented_radix_sort_config_selectorIhlEEZNS1_25segmented_radix_sort_implIS3_Lb0EPKhPhPKlPlN2at6native12_GLOBAL__N_18offset_tEEE10hipError_tPvRmT1_PNSt15iterator_traitsISK_E10value_typeET2_T3_PNSL_ISQ_E10value_typeET4_jRbjT5_SW_jjP12ihipStream_tbEUlT_E1_NS1_11comp_targetILNS1_3genE10ELNS1_11target_archE1200ELNS1_3gpuE4ELNS1_3repE0EEENS1_59segmented_radix_sort_warp_sort_small_config_static_selectorELNS0_4arch9wavefront6targetE0EEEvSK_ ; -- Begin function _ZN7rocprim17ROCPRIM_400000_NS6detail17trampoline_kernelINS0_14default_configENS1_36segmented_radix_sort_config_selectorIhlEEZNS1_25segmented_radix_sort_implIS3_Lb0EPKhPhPKlPlN2at6native12_GLOBAL__N_18offset_tEEE10hipError_tPvRmT1_PNSt15iterator_traitsISK_E10value_typeET2_T3_PNSL_ISQ_E10value_typeET4_jRbjT5_SW_jjP12ihipStream_tbEUlT_E1_NS1_11comp_targetILNS1_3genE10ELNS1_11target_archE1200ELNS1_3gpuE4ELNS1_3repE0EEENS1_59segmented_radix_sort_warp_sort_small_config_static_selectorELNS0_4arch9wavefront6targetE0EEEvSK_
	.p2align	8
	.type	_ZN7rocprim17ROCPRIM_400000_NS6detail17trampoline_kernelINS0_14default_configENS1_36segmented_radix_sort_config_selectorIhlEEZNS1_25segmented_radix_sort_implIS3_Lb0EPKhPhPKlPlN2at6native12_GLOBAL__N_18offset_tEEE10hipError_tPvRmT1_PNSt15iterator_traitsISK_E10value_typeET2_T3_PNSL_ISQ_E10value_typeET4_jRbjT5_SW_jjP12ihipStream_tbEUlT_E1_NS1_11comp_targetILNS1_3genE10ELNS1_11target_archE1200ELNS1_3gpuE4ELNS1_3repE0EEENS1_59segmented_radix_sort_warp_sort_small_config_static_selectorELNS0_4arch9wavefront6targetE0EEEvSK_,@function
_ZN7rocprim17ROCPRIM_400000_NS6detail17trampoline_kernelINS0_14default_configENS1_36segmented_radix_sort_config_selectorIhlEEZNS1_25segmented_radix_sort_implIS3_Lb0EPKhPhPKlPlN2at6native12_GLOBAL__N_18offset_tEEE10hipError_tPvRmT1_PNSt15iterator_traitsISK_E10value_typeET2_T3_PNSL_ISQ_E10value_typeET4_jRbjT5_SW_jjP12ihipStream_tbEUlT_E1_NS1_11comp_targetILNS1_3genE10ELNS1_11target_archE1200ELNS1_3gpuE4ELNS1_3repE0EEENS1_59segmented_radix_sort_warp_sort_small_config_static_selectorELNS0_4arch9wavefront6targetE0EEEvSK_: ; @_ZN7rocprim17ROCPRIM_400000_NS6detail17trampoline_kernelINS0_14default_configENS1_36segmented_radix_sort_config_selectorIhlEEZNS1_25segmented_radix_sort_implIS3_Lb0EPKhPhPKlPlN2at6native12_GLOBAL__N_18offset_tEEE10hipError_tPvRmT1_PNSt15iterator_traitsISK_E10value_typeET2_T3_PNSL_ISQ_E10value_typeET4_jRbjT5_SW_jjP12ihipStream_tbEUlT_E1_NS1_11comp_targetILNS1_3genE10ELNS1_11target_archE1200ELNS1_3gpuE4ELNS1_3repE0EEENS1_59segmented_radix_sort_warp_sort_small_config_static_selectorELNS0_4arch9wavefront6targetE0EEEvSK_
; %bb.0:
	.section	.rodata,"a",@progbits
	.p2align	6, 0x0
	.amdhsa_kernel _ZN7rocprim17ROCPRIM_400000_NS6detail17trampoline_kernelINS0_14default_configENS1_36segmented_radix_sort_config_selectorIhlEEZNS1_25segmented_radix_sort_implIS3_Lb0EPKhPhPKlPlN2at6native12_GLOBAL__N_18offset_tEEE10hipError_tPvRmT1_PNSt15iterator_traitsISK_E10value_typeET2_T3_PNSL_ISQ_E10value_typeET4_jRbjT5_SW_jjP12ihipStream_tbEUlT_E1_NS1_11comp_targetILNS1_3genE10ELNS1_11target_archE1200ELNS1_3gpuE4ELNS1_3repE0EEENS1_59segmented_radix_sort_warp_sort_small_config_static_selectorELNS0_4arch9wavefront6targetE0EEEvSK_
		.amdhsa_group_segment_fixed_size 0
		.amdhsa_private_segment_fixed_size 0
		.amdhsa_kernarg_size 88
		.amdhsa_user_sgpr_count 6
		.amdhsa_user_sgpr_private_segment_buffer 1
		.amdhsa_user_sgpr_dispatch_ptr 0
		.amdhsa_user_sgpr_queue_ptr 0
		.amdhsa_user_sgpr_kernarg_segment_ptr 1
		.amdhsa_user_sgpr_dispatch_id 0
		.amdhsa_user_sgpr_flat_scratch_init 0
		.amdhsa_user_sgpr_private_segment_size 0
		.amdhsa_wavefront_size32 1
		.amdhsa_uses_dynamic_stack 0
		.amdhsa_system_sgpr_private_segment_wavefront_offset 0
		.amdhsa_system_sgpr_workgroup_id_x 1
		.amdhsa_system_sgpr_workgroup_id_y 0
		.amdhsa_system_sgpr_workgroup_id_z 0
		.amdhsa_system_sgpr_workgroup_info 0
		.amdhsa_system_vgpr_workitem_id 0
		.amdhsa_next_free_vgpr 1
		.amdhsa_next_free_sgpr 1
		.amdhsa_reserve_vcc 0
		.amdhsa_reserve_flat_scratch 0
		.amdhsa_float_round_mode_32 0
		.amdhsa_float_round_mode_16_64 0
		.amdhsa_float_denorm_mode_32 3
		.amdhsa_float_denorm_mode_16_64 3
		.amdhsa_dx10_clamp 1
		.amdhsa_ieee_mode 1
		.amdhsa_fp16_overflow 0
		.amdhsa_workgroup_processor_mode 1
		.amdhsa_memory_ordered 1
		.amdhsa_forward_progress 1
		.amdhsa_shared_vgpr_count 0
		.amdhsa_exception_fp_ieee_invalid_op 0
		.amdhsa_exception_fp_denorm_src 0
		.amdhsa_exception_fp_ieee_div_zero 0
		.amdhsa_exception_fp_ieee_overflow 0
		.amdhsa_exception_fp_ieee_underflow 0
		.amdhsa_exception_fp_ieee_inexact 0
		.amdhsa_exception_int_div_zero 0
	.end_amdhsa_kernel
	.section	.text._ZN7rocprim17ROCPRIM_400000_NS6detail17trampoline_kernelINS0_14default_configENS1_36segmented_radix_sort_config_selectorIhlEEZNS1_25segmented_radix_sort_implIS3_Lb0EPKhPhPKlPlN2at6native12_GLOBAL__N_18offset_tEEE10hipError_tPvRmT1_PNSt15iterator_traitsISK_E10value_typeET2_T3_PNSL_ISQ_E10value_typeET4_jRbjT5_SW_jjP12ihipStream_tbEUlT_E1_NS1_11comp_targetILNS1_3genE10ELNS1_11target_archE1200ELNS1_3gpuE4ELNS1_3repE0EEENS1_59segmented_radix_sort_warp_sort_small_config_static_selectorELNS0_4arch9wavefront6targetE0EEEvSK_,"axG",@progbits,_ZN7rocprim17ROCPRIM_400000_NS6detail17trampoline_kernelINS0_14default_configENS1_36segmented_radix_sort_config_selectorIhlEEZNS1_25segmented_radix_sort_implIS3_Lb0EPKhPhPKlPlN2at6native12_GLOBAL__N_18offset_tEEE10hipError_tPvRmT1_PNSt15iterator_traitsISK_E10value_typeET2_T3_PNSL_ISQ_E10value_typeET4_jRbjT5_SW_jjP12ihipStream_tbEUlT_E1_NS1_11comp_targetILNS1_3genE10ELNS1_11target_archE1200ELNS1_3gpuE4ELNS1_3repE0EEENS1_59segmented_radix_sort_warp_sort_small_config_static_selectorELNS0_4arch9wavefront6targetE0EEEvSK_,comdat
.Lfunc_end211:
	.size	_ZN7rocprim17ROCPRIM_400000_NS6detail17trampoline_kernelINS0_14default_configENS1_36segmented_radix_sort_config_selectorIhlEEZNS1_25segmented_radix_sort_implIS3_Lb0EPKhPhPKlPlN2at6native12_GLOBAL__N_18offset_tEEE10hipError_tPvRmT1_PNSt15iterator_traitsISK_E10value_typeET2_T3_PNSL_ISQ_E10value_typeET4_jRbjT5_SW_jjP12ihipStream_tbEUlT_E1_NS1_11comp_targetILNS1_3genE10ELNS1_11target_archE1200ELNS1_3gpuE4ELNS1_3repE0EEENS1_59segmented_radix_sort_warp_sort_small_config_static_selectorELNS0_4arch9wavefront6targetE0EEEvSK_, .Lfunc_end211-_ZN7rocprim17ROCPRIM_400000_NS6detail17trampoline_kernelINS0_14default_configENS1_36segmented_radix_sort_config_selectorIhlEEZNS1_25segmented_radix_sort_implIS3_Lb0EPKhPhPKlPlN2at6native12_GLOBAL__N_18offset_tEEE10hipError_tPvRmT1_PNSt15iterator_traitsISK_E10value_typeET2_T3_PNSL_ISQ_E10value_typeET4_jRbjT5_SW_jjP12ihipStream_tbEUlT_E1_NS1_11comp_targetILNS1_3genE10ELNS1_11target_archE1200ELNS1_3gpuE4ELNS1_3repE0EEENS1_59segmented_radix_sort_warp_sort_small_config_static_selectorELNS0_4arch9wavefront6targetE0EEEvSK_
                                        ; -- End function
	.set _ZN7rocprim17ROCPRIM_400000_NS6detail17trampoline_kernelINS0_14default_configENS1_36segmented_radix_sort_config_selectorIhlEEZNS1_25segmented_radix_sort_implIS3_Lb0EPKhPhPKlPlN2at6native12_GLOBAL__N_18offset_tEEE10hipError_tPvRmT1_PNSt15iterator_traitsISK_E10value_typeET2_T3_PNSL_ISQ_E10value_typeET4_jRbjT5_SW_jjP12ihipStream_tbEUlT_E1_NS1_11comp_targetILNS1_3genE10ELNS1_11target_archE1200ELNS1_3gpuE4ELNS1_3repE0EEENS1_59segmented_radix_sort_warp_sort_small_config_static_selectorELNS0_4arch9wavefront6targetE0EEEvSK_.num_vgpr, 0
	.set _ZN7rocprim17ROCPRIM_400000_NS6detail17trampoline_kernelINS0_14default_configENS1_36segmented_radix_sort_config_selectorIhlEEZNS1_25segmented_radix_sort_implIS3_Lb0EPKhPhPKlPlN2at6native12_GLOBAL__N_18offset_tEEE10hipError_tPvRmT1_PNSt15iterator_traitsISK_E10value_typeET2_T3_PNSL_ISQ_E10value_typeET4_jRbjT5_SW_jjP12ihipStream_tbEUlT_E1_NS1_11comp_targetILNS1_3genE10ELNS1_11target_archE1200ELNS1_3gpuE4ELNS1_3repE0EEENS1_59segmented_radix_sort_warp_sort_small_config_static_selectorELNS0_4arch9wavefront6targetE0EEEvSK_.num_agpr, 0
	.set _ZN7rocprim17ROCPRIM_400000_NS6detail17trampoline_kernelINS0_14default_configENS1_36segmented_radix_sort_config_selectorIhlEEZNS1_25segmented_radix_sort_implIS3_Lb0EPKhPhPKlPlN2at6native12_GLOBAL__N_18offset_tEEE10hipError_tPvRmT1_PNSt15iterator_traitsISK_E10value_typeET2_T3_PNSL_ISQ_E10value_typeET4_jRbjT5_SW_jjP12ihipStream_tbEUlT_E1_NS1_11comp_targetILNS1_3genE10ELNS1_11target_archE1200ELNS1_3gpuE4ELNS1_3repE0EEENS1_59segmented_radix_sort_warp_sort_small_config_static_selectorELNS0_4arch9wavefront6targetE0EEEvSK_.numbered_sgpr, 0
	.set _ZN7rocprim17ROCPRIM_400000_NS6detail17trampoline_kernelINS0_14default_configENS1_36segmented_radix_sort_config_selectorIhlEEZNS1_25segmented_radix_sort_implIS3_Lb0EPKhPhPKlPlN2at6native12_GLOBAL__N_18offset_tEEE10hipError_tPvRmT1_PNSt15iterator_traitsISK_E10value_typeET2_T3_PNSL_ISQ_E10value_typeET4_jRbjT5_SW_jjP12ihipStream_tbEUlT_E1_NS1_11comp_targetILNS1_3genE10ELNS1_11target_archE1200ELNS1_3gpuE4ELNS1_3repE0EEENS1_59segmented_radix_sort_warp_sort_small_config_static_selectorELNS0_4arch9wavefront6targetE0EEEvSK_.num_named_barrier, 0
	.set _ZN7rocprim17ROCPRIM_400000_NS6detail17trampoline_kernelINS0_14default_configENS1_36segmented_radix_sort_config_selectorIhlEEZNS1_25segmented_radix_sort_implIS3_Lb0EPKhPhPKlPlN2at6native12_GLOBAL__N_18offset_tEEE10hipError_tPvRmT1_PNSt15iterator_traitsISK_E10value_typeET2_T3_PNSL_ISQ_E10value_typeET4_jRbjT5_SW_jjP12ihipStream_tbEUlT_E1_NS1_11comp_targetILNS1_3genE10ELNS1_11target_archE1200ELNS1_3gpuE4ELNS1_3repE0EEENS1_59segmented_radix_sort_warp_sort_small_config_static_selectorELNS0_4arch9wavefront6targetE0EEEvSK_.private_seg_size, 0
	.set _ZN7rocprim17ROCPRIM_400000_NS6detail17trampoline_kernelINS0_14default_configENS1_36segmented_radix_sort_config_selectorIhlEEZNS1_25segmented_radix_sort_implIS3_Lb0EPKhPhPKlPlN2at6native12_GLOBAL__N_18offset_tEEE10hipError_tPvRmT1_PNSt15iterator_traitsISK_E10value_typeET2_T3_PNSL_ISQ_E10value_typeET4_jRbjT5_SW_jjP12ihipStream_tbEUlT_E1_NS1_11comp_targetILNS1_3genE10ELNS1_11target_archE1200ELNS1_3gpuE4ELNS1_3repE0EEENS1_59segmented_radix_sort_warp_sort_small_config_static_selectorELNS0_4arch9wavefront6targetE0EEEvSK_.uses_vcc, 0
	.set _ZN7rocprim17ROCPRIM_400000_NS6detail17trampoline_kernelINS0_14default_configENS1_36segmented_radix_sort_config_selectorIhlEEZNS1_25segmented_radix_sort_implIS3_Lb0EPKhPhPKlPlN2at6native12_GLOBAL__N_18offset_tEEE10hipError_tPvRmT1_PNSt15iterator_traitsISK_E10value_typeET2_T3_PNSL_ISQ_E10value_typeET4_jRbjT5_SW_jjP12ihipStream_tbEUlT_E1_NS1_11comp_targetILNS1_3genE10ELNS1_11target_archE1200ELNS1_3gpuE4ELNS1_3repE0EEENS1_59segmented_radix_sort_warp_sort_small_config_static_selectorELNS0_4arch9wavefront6targetE0EEEvSK_.uses_flat_scratch, 0
	.set _ZN7rocprim17ROCPRIM_400000_NS6detail17trampoline_kernelINS0_14default_configENS1_36segmented_radix_sort_config_selectorIhlEEZNS1_25segmented_radix_sort_implIS3_Lb0EPKhPhPKlPlN2at6native12_GLOBAL__N_18offset_tEEE10hipError_tPvRmT1_PNSt15iterator_traitsISK_E10value_typeET2_T3_PNSL_ISQ_E10value_typeET4_jRbjT5_SW_jjP12ihipStream_tbEUlT_E1_NS1_11comp_targetILNS1_3genE10ELNS1_11target_archE1200ELNS1_3gpuE4ELNS1_3repE0EEENS1_59segmented_radix_sort_warp_sort_small_config_static_selectorELNS0_4arch9wavefront6targetE0EEEvSK_.has_dyn_sized_stack, 0
	.set _ZN7rocprim17ROCPRIM_400000_NS6detail17trampoline_kernelINS0_14default_configENS1_36segmented_radix_sort_config_selectorIhlEEZNS1_25segmented_radix_sort_implIS3_Lb0EPKhPhPKlPlN2at6native12_GLOBAL__N_18offset_tEEE10hipError_tPvRmT1_PNSt15iterator_traitsISK_E10value_typeET2_T3_PNSL_ISQ_E10value_typeET4_jRbjT5_SW_jjP12ihipStream_tbEUlT_E1_NS1_11comp_targetILNS1_3genE10ELNS1_11target_archE1200ELNS1_3gpuE4ELNS1_3repE0EEENS1_59segmented_radix_sort_warp_sort_small_config_static_selectorELNS0_4arch9wavefront6targetE0EEEvSK_.has_recursion, 0
	.set _ZN7rocprim17ROCPRIM_400000_NS6detail17trampoline_kernelINS0_14default_configENS1_36segmented_radix_sort_config_selectorIhlEEZNS1_25segmented_radix_sort_implIS3_Lb0EPKhPhPKlPlN2at6native12_GLOBAL__N_18offset_tEEE10hipError_tPvRmT1_PNSt15iterator_traitsISK_E10value_typeET2_T3_PNSL_ISQ_E10value_typeET4_jRbjT5_SW_jjP12ihipStream_tbEUlT_E1_NS1_11comp_targetILNS1_3genE10ELNS1_11target_archE1200ELNS1_3gpuE4ELNS1_3repE0EEENS1_59segmented_radix_sort_warp_sort_small_config_static_selectorELNS0_4arch9wavefront6targetE0EEEvSK_.has_indirect_call, 0
	.section	.AMDGPU.csdata,"",@progbits
; Kernel info:
; codeLenInByte = 0
; TotalNumSgprs: 0
; NumVgprs: 0
; ScratchSize: 0
; MemoryBound: 0
; FloatMode: 240
; IeeeMode: 1
; LDSByteSize: 0 bytes/workgroup (compile time only)
; SGPRBlocks: 0
; VGPRBlocks: 0
; NumSGPRsForWavesPerEU: 1
; NumVGPRsForWavesPerEU: 1
; Occupancy: 16
; WaveLimiterHint : 0
; COMPUTE_PGM_RSRC2:SCRATCH_EN: 0
; COMPUTE_PGM_RSRC2:USER_SGPR: 6
; COMPUTE_PGM_RSRC2:TRAP_HANDLER: 0
; COMPUTE_PGM_RSRC2:TGID_X_EN: 1
; COMPUTE_PGM_RSRC2:TGID_Y_EN: 0
; COMPUTE_PGM_RSRC2:TGID_Z_EN: 0
; COMPUTE_PGM_RSRC2:TIDIG_COMP_CNT: 0
	.section	.text._ZN7rocprim17ROCPRIM_400000_NS6detail17trampoline_kernelINS0_14default_configENS1_36segmented_radix_sort_config_selectorIhlEEZNS1_25segmented_radix_sort_implIS3_Lb0EPKhPhPKlPlN2at6native12_GLOBAL__N_18offset_tEEE10hipError_tPvRmT1_PNSt15iterator_traitsISK_E10value_typeET2_T3_PNSL_ISQ_E10value_typeET4_jRbjT5_SW_jjP12ihipStream_tbEUlT_E1_NS1_11comp_targetILNS1_3genE9ELNS1_11target_archE1100ELNS1_3gpuE3ELNS1_3repE0EEENS1_59segmented_radix_sort_warp_sort_small_config_static_selectorELNS0_4arch9wavefront6targetE0EEEvSK_,"axG",@progbits,_ZN7rocprim17ROCPRIM_400000_NS6detail17trampoline_kernelINS0_14default_configENS1_36segmented_radix_sort_config_selectorIhlEEZNS1_25segmented_radix_sort_implIS3_Lb0EPKhPhPKlPlN2at6native12_GLOBAL__N_18offset_tEEE10hipError_tPvRmT1_PNSt15iterator_traitsISK_E10value_typeET2_T3_PNSL_ISQ_E10value_typeET4_jRbjT5_SW_jjP12ihipStream_tbEUlT_E1_NS1_11comp_targetILNS1_3genE9ELNS1_11target_archE1100ELNS1_3gpuE3ELNS1_3repE0EEENS1_59segmented_radix_sort_warp_sort_small_config_static_selectorELNS0_4arch9wavefront6targetE0EEEvSK_,comdat
	.globl	_ZN7rocprim17ROCPRIM_400000_NS6detail17trampoline_kernelINS0_14default_configENS1_36segmented_radix_sort_config_selectorIhlEEZNS1_25segmented_radix_sort_implIS3_Lb0EPKhPhPKlPlN2at6native12_GLOBAL__N_18offset_tEEE10hipError_tPvRmT1_PNSt15iterator_traitsISK_E10value_typeET2_T3_PNSL_ISQ_E10value_typeET4_jRbjT5_SW_jjP12ihipStream_tbEUlT_E1_NS1_11comp_targetILNS1_3genE9ELNS1_11target_archE1100ELNS1_3gpuE3ELNS1_3repE0EEENS1_59segmented_radix_sort_warp_sort_small_config_static_selectorELNS0_4arch9wavefront6targetE0EEEvSK_ ; -- Begin function _ZN7rocprim17ROCPRIM_400000_NS6detail17trampoline_kernelINS0_14default_configENS1_36segmented_radix_sort_config_selectorIhlEEZNS1_25segmented_radix_sort_implIS3_Lb0EPKhPhPKlPlN2at6native12_GLOBAL__N_18offset_tEEE10hipError_tPvRmT1_PNSt15iterator_traitsISK_E10value_typeET2_T3_PNSL_ISQ_E10value_typeET4_jRbjT5_SW_jjP12ihipStream_tbEUlT_E1_NS1_11comp_targetILNS1_3genE9ELNS1_11target_archE1100ELNS1_3gpuE3ELNS1_3repE0EEENS1_59segmented_radix_sort_warp_sort_small_config_static_selectorELNS0_4arch9wavefront6targetE0EEEvSK_
	.p2align	8
	.type	_ZN7rocprim17ROCPRIM_400000_NS6detail17trampoline_kernelINS0_14default_configENS1_36segmented_radix_sort_config_selectorIhlEEZNS1_25segmented_radix_sort_implIS3_Lb0EPKhPhPKlPlN2at6native12_GLOBAL__N_18offset_tEEE10hipError_tPvRmT1_PNSt15iterator_traitsISK_E10value_typeET2_T3_PNSL_ISQ_E10value_typeET4_jRbjT5_SW_jjP12ihipStream_tbEUlT_E1_NS1_11comp_targetILNS1_3genE9ELNS1_11target_archE1100ELNS1_3gpuE3ELNS1_3repE0EEENS1_59segmented_radix_sort_warp_sort_small_config_static_selectorELNS0_4arch9wavefront6targetE0EEEvSK_,@function
_ZN7rocprim17ROCPRIM_400000_NS6detail17trampoline_kernelINS0_14default_configENS1_36segmented_radix_sort_config_selectorIhlEEZNS1_25segmented_radix_sort_implIS3_Lb0EPKhPhPKlPlN2at6native12_GLOBAL__N_18offset_tEEE10hipError_tPvRmT1_PNSt15iterator_traitsISK_E10value_typeET2_T3_PNSL_ISQ_E10value_typeET4_jRbjT5_SW_jjP12ihipStream_tbEUlT_E1_NS1_11comp_targetILNS1_3genE9ELNS1_11target_archE1100ELNS1_3gpuE3ELNS1_3repE0EEENS1_59segmented_radix_sort_warp_sort_small_config_static_selectorELNS0_4arch9wavefront6targetE0EEEvSK_: ; @_ZN7rocprim17ROCPRIM_400000_NS6detail17trampoline_kernelINS0_14default_configENS1_36segmented_radix_sort_config_selectorIhlEEZNS1_25segmented_radix_sort_implIS3_Lb0EPKhPhPKlPlN2at6native12_GLOBAL__N_18offset_tEEE10hipError_tPvRmT1_PNSt15iterator_traitsISK_E10value_typeET2_T3_PNSL_ISQ_E10value_typeET4_jRbjT5_SW_jjP12ihipStream_tbEUlT_E1_NS1_11comp_targetILNS1_3genE9ELNS1_11target_archE1100ELNS1_3gpuE3ELNS1_3repE0EEENS1_59segmented_radix_sort_warp_sort_small_config_static_selectorELNS0_4arch9wavefront6targetE0EEEvSK_
; %bb.0:
	.section	.rodata,"a",@progbits
	.p2align	6, 0x0
	.amdhsa_kernel _ZN7rocprim17ROCPRIM_400000_NS6detail17trampoline_kernelINS0_14default_configENS1_36segmented_radix_sort_config_selectorIhlEEZNS1_25segmented_radix_sort_implIS3_Lb0EPKhPhPKlPlN2at6native12_GLOBAL__N_18offset_tEEE10hipError_tPvRmT1_PNSt15iterator_traitsISK_E10value_typeET2_T3_PNSL_ISQ_E10value_typeET4_jRbjT5_SW_jjP12ihipStream_tbEUlT_E1_NS1_11comp_targetILNS1_3genE9ELNS1_11target_archE1100ELNS1_3gpuE3ELNS1_3repE0EEENS1_59segmented_radix_sort_warp_sort_small_config_static_selectorELNS0_4arch9wavefront6targetE0EEEvSK_
		.amdhsa_group_segment_fixed_size 0
		.amdhsa_private_segment_fixed_size 0
		.amdhsa_kernarg_size 88
		.amdhsa_user_sgpr_count 6
		.amdhsa_user_sgpr_private_segment_buffer 1
		.amdhsa_user_sgpr_dispatch_ptr 0
		.amdhsa_user_sgpr_queue_ptr 0
		.amdhsa_user_sgpr_kernarg_segment_ptr 1
		.amdhsa_user_sgpr_dispatch_id 0
		.amdhsa_user_sgpr_flat_scratch_init 0
		.amdhsa_user_sgpr_private_segment_size 0
		.amdhsa_wavefront_size32 1
		.amdhsa_uses_dynamic_stack 0
		.amdhsa_system_sgpr_private_segment_wavefront_offset 0
		.amdhsa_system_sgpr_workgroup_id_x 1
		.amdhsa_system_sgpr_workgroup_id_y 0
		.amdhsa_system_sgpr_workgroup_id_z 0
		.amdhsa_system_sgpr_workgroup_info 0
		.amdhsa_system_vgpr_workitem_id 0
		.amdhsa_next_free_vgpr 1
		.amdhsa_next_free_sgpr 1
		.amdhsa_reserve_vcc 0
		.amdhsa_reserve_flat_scratch 0
		.amdhsa_float_round_mode_32 0
		.amdhsa_float_round_mode_16_64 0
		.amdhsa_float_denorm_mode_32 3
		.amdhsa_float_denorm_mode_16_64 3
		.amdhsa_dx10_clamp 1
		.amdhsa_ieee_mode 1
		.amdhsa_fp16_overflow 0
		.amdhsa_workgroup_processor_mode 1
		.amdhsa_memory_ordered 1
		.amdhsa_forward_progress 1
		.amdhsa_shared_vgpr_count 0
		.amdhsa_exception_fp_ieee_invalid_op 0
		.amdhsa_exception_fp_denorm_src 0
		.amdhsa_exception_fp_ieee_div_zero 0
		.amdhsa_exception_fp_ieee_overflow 0
		.amdhsa_exception_fp_ieee_underflow 0
		.amdhsa_exception_fp_ieee_inexact 0
		.amdhsa_exception_int_div_zero 0
	.end_amdhsa_kernel
	.section	.text._ZN7rocprim17ROCPRIM_400000_NS6detail17trampoline_kernelINS0_14default_configENS1_36segmented_radix_sort_config_selectorIhlEEZNS1_25segmented_radix_sort_implIS3_Lb0EPKhPhPKlPlN2at6native12_GLOBAL__N_18offset_tEEE10hipError_tPvRmT1_PNSt15iterator_traitsISK_E10value_typeET2_T3_PNSL_ISQ_E10value_typeET4_jRbjT5_SW_jjP12ihipStream_tbEUlT_E1_NS1_11comp_targetILNS1_3genE9ELNS1_11target_archE1100ELNS1_3gpuE3ELNS1_3repE0EEENS1_59segmented_radix_sort_warp_sort_small_config_static_selectorELNS0_4arch9wavefront6targetE0EEEvSK_,"axG",@progbits,_ZN7rocprim17ROCPRIM_400000_NS6detail17trampoline_kernelINS0_14default_configENS1_36segmented_radix_sort_config_selectorIhlEEZNS1_25segmented_radix_sort_implIS3_Lb0EPKhPhPKlPlN2at6native12_GLOBAL__N_18offset_tEEE10hipError_tPvRmT1_PNSt15iterator_traitsISK_E10value_typeET2_T3_PNSL_ISQ_E10value_typeET4_jRbjT5_SW_jjP12ihipStream_tbEUlT_E1_NS1_11comp_targetILNS1_3genE9ELNS1_11target_archE1100ELNS1_3gpuE3ELNS1_3repE0EEENS1_59segmented_radix_sort_warp_sort_small_config_static_selectorELNS0_4arch9wavefront6targetE0EEEvSK_,comdat
.Lfunc_end212:
	.size	_ZN7rocprim17ROCPRIM_400000_NS6detail17trampoline_kernelINS0_14default_configENS1_36segmented_radix_sort_config_selectorIhlEEZNS1_25segmented_radix_sort_implIS3_Lb0EPKhPhPKlPlN2at6native12_GLOBAL__N_18offset_tEEE10hipError_tPvRmT1_PNSt15iterator_traitsISK_E10value_typeET2_T3_PNSL_ISQ_E10value_typeET4_jRbjT5_SW_jjP12ihipStream_tbEUlT_E1_NS1_11comp_targetILNS1_3genE9ELNS1_11target_archE1100ELNS1_3gpuE3ELNS1_3repE0EEENS1_59segmented_radix_sort_warp_sort_small_config_static_selectorELNS0_4arch9wavefront6targetE0EEEvSK_, .Lfunc_end212-_ZN7rocprim17ROCPRIM_400000_NS6detail17trampoline_kernelINS0_14default_configENS1_36segmented_radix_sort_config_selectorIhlEEZNS1_25segmented_radix_sort_implIS3_Lb0EPKhPhPKlPlN2at6native12_GLOBAL__N_18offset_tEEE10hipError_tPvRmT1_PNSt15iterator_traitsISK_E10value_typeET2_T3_PNSL_ISQ_E10value_typeET4_jRbjT5_SW_jjP12ihipStream_tbEUlT_E1_NS1_11comp_targetILNS1_3genE9ELNS1_11target_archE1100ELNS1_3gpuE3ELNS1_3repE0EEENS1_59segmented_radix_sort_warp_sort_small_config_static_selectorELNS0_4arch9wavefront6targetE0EEEvSK_
                                        ; -- End function
	.set _ZN7rocprim17ROCPRIM_400000_NS6detail17trampoline_kernelINS0_14default_configENS1_36segmented_radix_sort_config_selectorIhlEEZNS1_25segmented_radix_sort_implIS3_Lb0EPKhPhPKlPlN2at6native12_GLOBAL__N_18offset_tEEE10hipError_tPvRmT1_PNSt15iterator_traitsISK_E10value_typeET2_T3_PNSL_ISQ_E10value_typeET4_jRbjT5_SW_jjP12ihipStream_tbEUlT_E1_NS1_11comp_targetILNS1_3genE9ELNS1_11target_archE1100ELNS1_3gpuE3ELNS1_3repE0EEENS1_59segmented_radix_sort_warp_sort_small_config_static_selectorELNS0_4arch9wavefront6targetE0EEEvSK_.num_vgpr, 0
	.set _ZN7rocprim17ROCPRIM_400000_NS6detail17trampoline_kernelINS0_14default_configENS1_36segmented_radix_sort_config_selectorIhlEEZNS1_25segmented_radix_sort_implIS3_Lb0EPKhPhPKlPlN2at6native12_GLOBAL__N_18offset_tEEE10hipError_tPvRmT1_PNSt15iterator_traitsISK_E10value_typeET2_T3_PNSL_ISQ_E10value_typeET4_jRbjT5_SW_jjP12ihipStream_tbEUlT_E1_NS1_11comp_targetILNS1_3genE9ELNS1_11target_archE1100ELNS1_3gpuE3ELNS1_3repE0EEENS1_59segmented_radix_sort_warp_sort_small_config_static_selectorELNS0_4arch9wavefront6targetE0EEEvSK_.num_agpr, 0
	.set _ZN7rocprim17ROCPRIM_400000_NS6detail17trampoline_kernelINS0_14default_configENS1_36segmented_radix_sort_config_selectorIhlEEZNS1_25segmented_radix_sort_implIS3_Lb0EPKhPhPKlPlN2at6native12_GLOBAL__N_18offset_tEEE10hipError_tPvRmT1_PNSt15iterator_traitsISK_E10value_typeET2_T3_PNSL_ISQ_E10value_typeET4_jRbjT5_SW_jjP12ihipStream_tbEUlT_E1_NS1_11comp_targetILNS1_3genE9ELNS1_11target_archE1100ELNS1_3gpuE3ELNS1_3repE0EEENS1_59segmented_radix_sort_warp_sort_small_config_static_selectorELNS0_4arch9wavefront6targetE0EEEvSK_.numbered_sgpr, 0
	.set _ZN7rocprim17ROCPRIM_400000_NS6detail17trampoline_kernelINS0_14default_configENS1_36segmented_radix_sort_config_selectorIhlEEZNS1_25segmented_radix_sort_implIS3_Lb0EPKhPhPKlPlN2at6native12_GLOBAL__N_18offset_tEEE10hipError_tPvRmT1_PNSt15iterator_traitsISK_E10value_typeET2_T3_PNSL_ISQ_E10value_typeET4_jRbjT5_SW_jjP12ihipStream_tbEUlT_E1_NS1_11comp_targetILNS1_3genE9ELNS1_11target_archE1100ELNS1_3gpuE3ELNS1_3repE0EEENS1_59segmented_radix_sort_warp_sort_small_config_static_selectorELNS0_4arch9wavefront6targetE0EEEvSK_.num_named_barrier, 0
	.set _ZN7rocprim17ROCPRIM_400000_NS6detail17trampoline_kernelINS0_14default_configENS1_36segmented_radix_sort_config_selectorIhlEEZNS1_25segmented_radix_sort_implIS3_Lb0EPKhPhPKlPlN2at6native12_GLOBAL__N_18offset_tEEE10hipError_tPvRmT1_PNSt15iterator_traitsISK_E10value_typeET2_T3_PNSL_ISQ_E10value_typeET4_jRbjT5_SW_jjP12ihipStream_tbEUlT_E1_NS1_11comp_targetILNS1_3genE9ELNS1_11target_archE1100ELNS1_3gpuE3ELNS1_3repE0EEENS1_59segmented_radix_sort_warp_sort_small_config_static_selectorELNS0_4arch9wavefront6targetE0EEEvSK_.private_seg_size, 0
	.set _ZN7rocprim17ROCPRIM_400000_NS6detail17trampoline_kernelINS0_14default_configENS1_36segmented_radix_sort_config_selectorIhlEEZNS1_25segmented_radix_sort_implIS3_Lb0EPKhPhPKlPlN2at6native12_GLOBAL__N_18offset_tEEE10hipError_tPvRmT1_PNSt15iterator_traitsISK_E10value_typeET2_T3_PNSL_ISQ_E10value_typeET4_jRbjT5_SW_jjP12ihipStream_tbEUlT_E1_NS1_11comp_targetILNS1_3genE9ELNS1_11target_archE1100ELNS1_3gpuE3ELNS1_3repE0EEENS1_59segmented_radix_sort_warp_sort_small_config_static_selectorELNS0_4arch9wavefront6targetE0EEEvSK_.uses_vcc, 0
	.set _ZN7rocprim17ROCPRIM_400000_NS6detail17trampoline_kernelINS0_14default_configENS1_36segmented_radix_sort_config_selectorIhlEEZNS1_25segmented_radix_sort_implIS3_Lb0EPKhPhPKlPlN2at6native12_GLOBAL__N_18offset_tEEE10hipError_tPvRmT1_PNSt15iterator_traitsISK_E10value_typeET2_T3_PNSL_ISQ_E10value_typeET4_jRbjT5_SW_jjP12ihipStream_tbEUlT_E1_NS1_11comp_targetILNS1_3genE9ELNS1_11target_archE1100ELNS1_3gpuE3ELNS1_3repE0EEENS1_59segmented_radix_sort_warp_sort_small_config_static_selectorELNS0_4arch9wavefront6targetE0EEEvSK_.uses_flat_scratch, 0
	.set _ZN7rocprim17ROCPRIM_400000_NS6detail17trampoline_kernelINS0_14default_configENS1_36segmented_radix_sort_config_selectorIhlEEZNS1_25segmented_radix_sort_implIS3_Lb0EPKhPhPKlPlN2at6native12_GLOBAL__N_18offset_tEEE10hipError_tPvRmT1_PNSt15iterator_traitsISK_E10value_typeET2_T3_PNSL_ISQ_E10value_typeET4_jRbjT5_SW_jjP12ihipStream_tbEUlT_E1_NS1_11comp_targetILNS1_3genE9ELNS1_11target_archE1100ELNS1_3gpuE3ELNS1_3repE0EEENS1_59segmented_radix_sort_warp_sort_small_config_static_selectorELNS0_4arch9wavefront6targetE0EEEvSK_.has_dyn_sized_stack, 0
	.set _ZN7rocprim17ROCPRIM_400000_NS6detail17trampoline_kernelINS0_14default_configENS1_36segmented_radix_sort_config_selectorIhlEEZNS1_25segmented_radix_sort_implIS3_Lb0EPKhPhPKlPlN2at6native12_GLOBAL__N_18offset_tEEE10hipError_tPvRmT1_PNSt15iterator_traitsISK_E10value_typeET2_T3_PNSL_ISQ_E10value_typeET4_jRbjT5_SW_jjP12ihipStream_tbEUlT_E1_NS1_11comp_targetILNS1_3genE9ELNS1_11target_archE1100ELNS1_3gpuE3ELNS1_3repE0EEENS1_59segmented_radix_sort_warp_sort_small_config_static_selectorELNS0_4arch9wavefront6targetE0EEEvSK_.has_recursion, 0
	.set _ZN7rocprim17ROCPRIM_400000_NS6detail17trampoline_kernelINS0_14default_configENS1_36segmented_radix_sort_config_selectorIhlEEZNS1_25segmented_radix_sort_implIS3_Lb0EPKhPhPKlPlN2at6native12_GLOBAL__N_18offset_tEEE10hipError_tPvRmT1_PNSt15iterator_traitsISK_E10value_typeET2_T3_PNSL_ISQ_E10value_typeET4_jRbjT5_SW_jjP12ihipStream_tbEUlT_E1_NS1_11comp_targetILNS1_3genE9ELNS1_11target_archE1100ELNS1_3gpuE3ELNS1_3repE0EEENS1_59segmented_radix_sort_warp_sort_small_config_static_selectorELNS0_4arch9wavefront6targetE0EEEvSK_.has_indirect_call, 0
	.section	.AMDGPU.csdata,"",@progbits
; Kernel info:
; codeLenInByte = 0
; TotalNumSgprs: 0
; NumVgprs: 0
; ScratchSize: 0
; MemoryBound: 0
; FloatMode: 240
; IeeeMode: 1
; LDSByteSize: 0 bytes/workgroup (compile time only)
; SGPRBlocks: 0
; VGPRBlocks: 0
; NumSGPRsForWavesPerEU: 1
; NumVGPRsForWavesPerEU: 1
; Occupancy: 16
; WaveLimiterHint : 0
; COMPUTE_PGM_RSRC2:SCRATCH_EN: 0
; COMPUTE_PGM_RSRC2:USER_SGPR: 6
; COMPUTE_PGM_RSRC2:TRAP_HANDLER: 0
; COMPUTE_PGM_RSRC2:TGID_X_EN: 1
; COMPUTE_PGM_RSRC2:TGID_Y_EN: 0
; COMPUTE_PGM_RSRC2:TGID_Z_EN: 0
; COMPUTE_PGM_RSRC2:TIDIG_COMP_CNT: 0
	.section	.text._ZN7rocprim17ROCPRIM_400000_NS6detail17trampoline_kernelINS0_14default_configENS1_36segmented_radix_sort_config_selectorIhlEEZNS1_25segmented_radix_sort_implIS3_Lb0EPKhPhPKlPlN2at6native12_GLOBAL__N_18offset_tEEE10hipError_tPvRmT1_PNSt15iterator_traitsISK_E10value_typeET2_T3_PNSL_ISQ_E10value_typeET4_jRbjT5_SW_jjP12ihipStream_tbEUlT_E1_NS1_11comp_targetILNS1_3genE8ELNS1_11target_archE1030ELNS1_3gpuE2ELNS1_3repE0EEENS1_59segmented_radix_sort_warp_sort_small_config_static_selectorELNS0_4arch9wavefront6targetE0EEEvSK_,"axG",@progbits,_ZN7rocprim17ROCPRIM_400000_NS6detail17trampoline_kernelINS0_14default_configENS1_36segmented_radix_sort_config_selectorIhlEEZNS1_25segmented_radix_sort_implIS3_Lb0EPKhPhPKlPlN2at6native12_GLOBAL__N_18offset_tEEE10hipError_tPvRmT1_PNSt15iterator_traitsISK_E10value_typeET2_T3_PNSL_ISQ_E10value_typeET4_jRbjT5_SW_jjP12ihipStream_tbEUlT_E1_NS1_11comp_targetILNS1_3genE8ELNS1_11target_archE1030ELNS1_3gpuE2ELNS1_3repE0EEENS1_59segmented_radix_sort_warp_sort_small_config_static_selectorELNS0_4arch9wavefront6targetE0EEEvSK_,comdat
	.globl	_ZN7rocprim17ROCPRIM_400000_NS6detail17trampoline_kernelINS0_14default_configENS1_36segmented_radix_sort_config_selectorIhlEEZNS1_25segmented_radix_sort_implIS3_Lb0EPKhPhPKlPlN2at6native12_GLOBAL__N_18offset_tEEE10hipError_tPvRmT1_PNSt15iterator_traitsISK_E10value_typeET2_T3_PNSL_ISQ_E10value_typeET4_jRbjT5_SW_jjP12ihipStream_tbEUlT_E1_NS1_11comp_targetILNS1_3genE8ELNS1_11target_archE1030ELNS1_3gpuE2ELNS1_3repE0EEENS1_59segmented_radix_sort_warp_sort_small_config_static_selectorELNS0_4arch9wavefront6targetE0EEEvSK_ ; -- Begin function _ZN7rocprim17ROCPRIM_400000_NS6detail17trampoline_kernelINS0_14default_configENS1_36segmented_radix_sort_config_selectorIhlEEZNS1_25segmented_radix_sort_implIS3_Lb0EPKhPhPKlPlN2at6native12_GLOBAL__N_18offset_tEEE10hipError_tPvRmT1_PNSt15iterator_traitsISK_E10value_typeET2_T3_PNSL_ISQ_E10value_typeET4_jRbjT5_SW_jjP12ihipStream_tbEUlT_E1_NS1_11comp_targetILNS1_3genE8ELNS1_11target_archE1030ELNS1_3gpuE2ELNS1_3repE0EEENS1_59segmented_radix_sort_warp_sort_small_config_static_selectorELNS0_4arch9wavefront6targetE0EEEvSK_
	.p2align	8
	.type	_ZN7rocprim17ROCPRIM_400000_NS6detail17trampoline_kernelINS0_14default_configENS1_36segmented_radix_sort_config_selectorIhlEEZNS1_25segmented_radix_sort_implIS3_Lb0EPKhPhPKlPlN2at6native12_GLOBAL__N_18offset_tEEE10hipError_tPvRmT1_PNSt15iterator_traitsISK_E10value_typeET2_T3_PNSL_ISQ_E10value_typeET4_jRbjT5_SW_jjP12ihipStream_tbEUlT_E1_NS1_11comp_targetILNS1_3genE8ELNS1_11target_archE1030ELNS1_3gpuE2ELNS1_3repE0EEENS1_59segmented_radix_sort_warp_sort_small_config_static_selectorELNS0_4arch9wavefront6targetE0EEEvSK_,@function
_ZN7rocprim17ROCPRIM_400000_NS6detail17trampoline_kernelINS0_14default_configENS1_36segmented_radix_sort_config_selectorIhlEEZNS1_25segmented_radix_sort_implIS3_Lb0EPKhPhPKlPlN2at6native12_GLOBAL__N_18offset_tEEE10hipError_tPvRmT1_PNSt15iterator_traitsISK_E10value_typeET2_T3_PNSL_ISQ_E10value_typeET4_jRbjT5_SW_jjP12ihipStream_tbEUlT_E1_NS1_11comp_targetILNS1_3genE8ELNS1_11target_archE1030ELNS1_3gpuE2ELNS1_3repE0EEENS1_59segmented_radix_sort_warp_sort_small_config_static_selectorELNS0_4arch9wavefront6targetE0EEEvSK_: ; @_ZN7rocprim17ROCPRIM_400000_NS6detail17trampoline_kernelINS0_14default_configENS1_36segmented_radix_sort_config_selectorIhlEEZNS1_25segmented_radix_sort_implIS3_Lb0EPKhPhPKlPlN2at6native12_GLOBAL__N_18offset_tEEE10hipError_tPvRmT1_PNSt15iterator_traitsISK_E10value_typeET2_T3_PNSL_ISQ_E10value_typeET4_jRbjT5_SW_jjP12ihipStream_tbEUlT_E1_NS1_11comp_targetILNS1_3genE8ELNS1_11target_archE1030ELNS1_3gpuE2ELNS1_3repE0EEENS1_59segmented_radix_sort_warp_sort_small_config_static_selectorELNS0_4arch9wavefront6targetE0EEEvSK_
; %bb.0:
	s_add_u32 s0, s0, s8
	s_load_dword s8, s[4:5], 0x64
	s_addc_u32 s1, s1, 0
	s_mov_b32 s32, 0
	s_waitcnt lgkmcnt(0)
	s_lshr_b32 s9, s8, 16
	s_and_b32 s8, s8, 0xffff
	v_mad_u32_u24 v3, v2, s9, v1
	s_load_dword s9, s[4:5], 0x34
	v_mad_u64_u32 v[3:4], null, v3, s8, v[0:1]
	s_mov_b32 s8, exec_lo
	v_lshrrev_b32_e32 v3, 5, v3
	v_lshl_add_u32 v3, s6, 3, v3
	s_waitcnt lgkmcnt(0)
	v_cmpx_gt_u32_e64 s9, v3
	s_cbranch_execz .LBB213_6
; %bb.1:
	s_clause 0x1
	s_load_dwordx2 s[12:13], s[4:5], 0x38
	s_load_dwordx4 s[8:11], s[4:5], 0x40
	v_mov_b32_e32 v4, 0
	v_lshlrev_b64 v[3:4], 2, v[3:4]
	s_waitcnt lgkmcnt(0)
	v_sub_co_u32 v3, vcc_lo, s12, v3
	v_sub_co_ci_u32_e64 v4, null, s13, v4, vcc_lo
	global_load_dword v3, v[3:4], off offset:-4
	s_waitcnt vmcnt(0)
	v_add_nc_u32_e32 v4, s9, v3
	v_add_nc_u32_e32 v3, s11, v3
	v_mul_lo_u32 v8, v4, s8
	v_mul_lo_u32 v40, v3, s10
	v_cmp_gt_u32_e32 vcc_lo, v40, v8
	s_and_b32 exec_lo, exec_lo, vcc_lo
	s_cbranch_execz .LBB213_6
; %bb.2:
	s_clause 0x3
	s_load_dword s8, s[4:5], 0x30
	s_load_dwordx4 s[36:39], s[4:5], 0x20
	s_load_dwordx8 s[20:27], s[4:5], 0x0
	s_load_dwordx2 s[28:29], s[4:5], 0x50
	v_lshlrev_b32_e32 v42, 20, v2
	v_lshlrev_b32_e32 v43, 10, v1
	s_waitcnt lgkmcnt(0)
	s_bitcmp0_b32 s8, 0
	s_mov_b32 s8, -1
	s_cbranch_scc0 .LBB213_4
; %bb.3:
	s_mov_b64 s[10:11], src_shared_base
	v_or3_b32 v31, v0, v43, v42
	v_mov_b32_e32 v41, v0
	v_mov_b32_e32 v0, s20
	;; [unrolled: 1-line block ×14, first 2 shown]
	s_add_u32 s8, s4, 0x58
	s_addc_u32 s9, s5, 0
	s_getpc_b64 s[14:15]
	s_add_u32 s14, s14, _ZN7rocprim17ROCPRIM_400000_NS6detail26segmented_warp_sort_helperINS1_20WarpSortHelperConfigILj32ELj4ELj256EEEhlLi256ELb0EvE4sortIPKhPhPKlPlEEvT_T0_T1_T2_jjjjRNS5_12storage_typeE@rel32@lo+4
	s_addc_u32 s15, s15, _ZN7rocprim17ROCPRIM_400000_NS6detail26segmented_warp_sort_helperINS1_20WarpSortHelperConfigILj32ELj4ELj256EEEhlLi256ELb0EvE4sortIPKhPhPKlPlEEvT_T0_T1_T2_jjjjRNS5_12storage_typeE@rel32@hi+12
	s_mov_b32 s12, s6
	s_mov_b32 s13, s7
	s_mov_b64 s[22:23], s[4:5]
	s_mov_b32 s19, s7
	s_mov_b32 s33, s6
	s_swappc_b64 s[30:31], s[14:15]
	v_mov_b32_e32 v0, v41
	s_mov_b32 s6, s33
	s_mov_b32 s7, s19
	s_mov_b64 s[4:5], s[22:23]
	s_mov_b32 s8, 0
.LBB213_4:
	s_andn2_b32 vcc_lo, exec_lo, s8
	s_cbranch_vccnz .LBB213_6
; %bb.5:
	s_mov_b64 s[10:11], src_shared_base
	v_or3_b32 v31, v0, v43, v42
	v_mov_b32_e32 v0, s20
	v_mov_b32_e32 v1, s21
	;; [unrolled: 1-line block ×13, first 2 shown]
	s_add_u32 s8, s4, 0x58
	s_addc_u32 s9, s5, 0
	s_getpc_b64 s[4:5]
	s_add_u32 s4, s4, _ZN7rocprim17ROCPRIM_400000_NS6detail26segmented_warp_sort_helperINS1_20WarpSortHelperConfigILj32ELj4ELj256EEEhlLi256ELb0EvE4sortIPKhPhPKlPlEEvT_T0_T1_T2_jjjjRNS5_12storage_typeE@rel32@lo+4
	s_addc_u32 s5, s5, _ZN7rocprim17ROCPRIM_400000_NS6detail26segmented_warp_sort_helperINS1_20WarpSortHelperConfigILj32ELj4ELj256EEEhlLi256ELb0EvE4sortIPKhPhPKlPlEEvT_T0_T1_T2_jjjjRNS5_12storage_typeE@rel32@hi+12
	s_mov_b32 s12, s6
	s_mov_b32 s13, s7
	s_swappc_b64 s[30:31], s[4:5]
.LBB213_6:
	s_endpgm
	.section	.rodata,"a",@progbits
	.p2align	6, 0x0
	.amdhsa_kernel _ZN7rocprim17ROCPRIM_400000_NS6detail17trampoline_kernelINS0_14default_configENS1_36segmented_radix_sort_config_selectorIhlEEZNS1_25segmented_radix_sort_implIS3_Lb0EPKhPhPKlPlN2at6native12_GLOBAL__N_18offset_tEEE10hipError_tPvRmT1_PNSt15iterator_traitsISK_E10value_typeET2_T3_PNSL_ISQ_E10value_typeET4_jRbjT5_SW_jjP12ihipStream_tbEUlT_E1_NS1_11comp_targetILNS1_3genE8ELNS1_11target_archE1030ELNS1_3gpuE2ELNS1_3repE0EEENS1_59segmented_radix_sort_warp_sort_small_config_static_selectorELNS0_4arch9wavefront6targetE0EEEvSK_
		.amdhsa_group_segment_fixed_size 9216
		.amdhsa_private_segment_fixed_size 0
		.amdhsa_kernarg_size 344
		.amdhsa_user_sgpr_count 6
		.amdhsa_user_sgpr_private_segment_buffer 1
		.amdhsa_user_sgpr_dispatch_ptr 0
		.amdhsa_user_sgpr_queue_ptr 0
		.amdhsa_user_sgpr_kernarg_segment_ptr 1
		.amdhsa_user_sgpr_dispatch_id 0
		.amdhsa_user_sgpr_flat_scratch_init 0
		.amdhsa_user_sgpr_private_segment_size 0
		.amdhsa_wavefront_size32 1
		.amdhsa_uses_dynamic_stack 0
		.amdhsa_system_sgpr_private_segment_wavefront_offset 0
		.amdhsa_system_sgpr_workgroup_id_x 1
		.amdhsa_system_sgpr_workgroup_id_y 1
		.amdhsa_system_sgpr_workgroup_id_z 0
		.amdhsa_system_sgpr_workgroup_info 0
		.amdhsa_system_vgpr_workitem_id 2
		.amdhsa_next_free_vgpr 53
		.amdhsa_next_free_sgpr 40
		.amdhsa_reserve_vcc 1
		.amdhsa_reserve_flat_scratch 0
		.amdhsa_float_round_mode_32 0
		.amdhsa_float_round_mode_16_64 0
		.amdhsa_float_denorm_mode_32 3
		.amdhsa_float_denorm_mode_16_64 3
		.amdhsa_dx10_clamp 1
		.amdhsa_ieee_mode 1
		.amdhsa_fp16_overflow 0
		.amdhsa_workgroup_processor_mode 1
		.amdhsa_memory_ordered 1
		.amdhsa_forward_progress 1
		.amdhsa_shared_vgpr_count 0
		.amdhsa_exception_fp_ieee_invalid_op 0
		.amdhsa_exception_fp_denorm_src 0
		.amdhsa_exception_fp_ieee_div_zero 0
		.amdhsa_exception_fp_ieee_overflow 0
		.amdhsa_exception_fp_ieee_underflow 0
		.amdhsa_exception_fp_ieee_inexact 0
		.amdhsa_exception_int_div_zero 0
	.end_amdhsa_kernel
	.section	.text._ZN7rocprim17ROCPRIM_400000_NS6detail17trampoline_kernelINS0_14default_configENS1_36segmented_radix_sort_config_selectorIhlEEZNS1_25segmented_radix_sort_implIS3_Lb0EPKhPhPKlPlN2at6native12_GLOBAL__N_18offset_tEEE10hipError_tPvRmT1_PNSt15iterator_traitsISK_E10value_typeET2_T3_PNSL_ISQ_E10value_typeET4_jRbjT5_SW_jjP12ihipStream_tbEUlT_E1_NS1_11comp_targetILNS1_3genE8ELNS1_11target_archE1030ELNS1_3gpuE2ELNS1_3repE0EEENS1_59segmented_radix_sort_warp_sort_small_config_static_selectorELNS0_4arch9wavefront6targetE0EEEvSK_,"axG",@progbits,_ZN7rocprim17ROCPRIM_400000_NS6detail17trampoline_kernelINS0_14default_configENS1_36segmented_radix_sort_config_selectorIhlEEZNS1_25segmented_radix_sort_implIS3_Lb0EPKhPhPKlPlN2at6native12_GLOBAL__N_18offset_tEEE10hipError_tPvRmT1_PNSt15iterator_traitsISK_E10value_typeET2_T3_PNSL_ISQ_E10value_typeET4_jRbjT5_SW_jjP12ihipStream_tbEUlT_E1_NS1_11comp_targetILNS1_3genE8ELNS1_11target_archE1030ELNS1_3gpuE2ELNS1_3repE0EEENS1_59segmented_radix_sort_warp_sort_small_config_static_selectorELNS0_4arch9wavefront6targetE0EEEvSK_,comdat
.Lfunc_end213:
	.size	_ZN7rocprim17ROCPRIM_400000_NS6detail17trampoline_kernelINS0_14default_configENS1_36segmented_radix_sort_config_selectorIhlEEZNS1_25segmented_radix_sort_implIS3_Lb0EPKhPhPKlPlN2at6native12_GLOBAL__N_18offset_tEEE10hipError_tPvRmT1_PNSt15iterator_traitsISK_E10value_typeET2_T3_PNSL_ISQ_E10value_typeET4_jRbjT5_SW_jjP12ihipStream_tbEUlT_E1_NS1_11comp_targetILNS1_3genE8ELNS1_11target_archE1030ELNS1_3gpuE2ELNS1_3repE0EEENS1_59segmented_radix_sort_warp_sort_small_config_static_selectorELNS0_4arch9wavefront6targetE0EEEvSK_, .Lfunc_end213-_ZN7rocprim17ROCPRIM_400000_NS6detail17trampoline_kernelINS0_14default_configENS1_36segmented_radix_sort_config_selectorIhlEEZNS1_25segmented_radix_sort_implIS3_Lb0EPKhPhPKlPlN2at6native12_GLOBAL__N_18offset_tEEE10hipError_tPvRmT1_PNSt15iterator_traitsISK_E10value_typeET2_T3_PNSL_ISQ_E10value_typeET4_jRbjT5_SW_jjP12ihipStream_tbEUlT_E1_NS1_11comp_targetILNS1_3genE8ELNS1_11target_archE1030ELNS1_3gpuE2ELNS1_3repE0EEENS1_59segmented_radix_sort_warp_sort_small_config_static_selectorELNS0_4arch9wavefront6targetE0EEEvSK_
                                        ; -- End function
	.set _ZN7rocprim17ROCPRIM_400000_NS6detail17trampoline_kernelINS0_14default_configENS1_36segmented_radix_sort_config_selectorIhlEEZNS1_25segmented_radix_sort_implIS3_Lb0EPKhPhPKlPlN2at6native12_GLOBAL__N_18offset_tEEE10hipError_tPvRmT1_PNSt15iterator_traitsISK_E10value_typeET2_T3_PNSL_ISQ_E10value_typeET4_jRbjT5_SW_jjP12ihipStream_tbEUlT_E1_NS1_11comp_targetILNS1_3genE8ELNS1_11target_archE1030ELNS1_3gpuE2ELNS1_3repE0EEENS1_59segmented_radix_sort_warp_sort_small_config_static_selectorELNS0_4arch9wavefront6targetE0EEEvSK_.num_vgpr, max(44, .L_ZN7rocprim17ROCPRIM_400000_NS6detail26segmented_warp_sort_helperINS1_20WarpSortHelperConfigILj32ELj4ELj256EEEhlLi256ELb0EvE4sortIPKhPhPKlPlEEvT_T0_T1_T2_jjjjRNS5_12storage_typeE.num_vgpr)
	.set _ZN7rocprim17ROCPRIM_400000_NS6detail17trampoline_kernelINS0_14default_configENS1_36segmented_radix_sort_config_selectorIhlEEZNS1_25segmented_radix_sort_implIS3_Lb0EPKhPhPKlPlN2at6native12_GLOBAL__N_18offset_tEEE10hipError_tPvRmT1_PNSt15iterator_traitsISK_E10value_typeET2_T3_PNSL_ISQ_E10value_typeET4_jRbjT5_SW_jjP12ihipStream_tbEUlT_E1_NS1_11comp_targetILNS1_3genE8ELNS1_11target_archE1030ELNS1_3gpuE2ELNS1_3repE0EEENS1_59segmented_radix_sort_warp_sort_small_config_static_selectorELNS0_4arch9wavefront6targetE0EEEvSK_.num_agpr, max(0, .L_ZN7rocprim17ROCPRIM_400000_NS6detail26segmented_warp_sort_helperINS1_20WarpSortHelperConfigILj32ELj4ELj256EEEhlLi256ELb0EvE4sortIPKhPhPKlPlEEvT_T0_T1_T2_jjjjRNS5_12storage_typeE.num_agpr)
	.set _ZN7rocprim17ROCPRIM_400000_NS6detail17trampoline_kernelINS0_14default_configENS1_36segmented_radix_sort_config_selectorIhlEEZNS1_25segmented_radix_sort_implIS3_Lb0EPKhPhPKlPlN2at6native12_GLOBAL__N_18offset_tEEE10hipError_tPvRmT1_PNSt15iterator_traitsISK_E10value_typeET2_T3_PNSL_ISQ_E10value_typeET4_jRbjT5_SW_jjP12ihipStream_tbEUlT_E1_NS1_11comp_targetILNS1_3genE8ELNS1_11target_archE1030ELNS1_3gpuE2ELNS1_3repE0EEENS1_59segmented_radix_sort_warp_sort_small_config_static_selectorELNS0_4arch9wavefront6targetE0EEEvSK_.numbered_sgpr, max(40, .L_ZN7rocprim17ROCPRIM_400000_NS6detail26segmented_warp_sort_helperINS1_20WarpSortHelperConfigILj32ELj4ELj256EEEhlLi256ELb0EvE4sortIPKhPhPKlPlEEvT_T0_T1_T2_jjjjRNS5_12storage_typeE.numbered_sgpr)
	.set _ZN7rocprim17ROCPRIM_400000_NS6detail17trampoline_kernelINS0_14default_configENS1_36segmented_radix_sort_config_selectorIhlEEZNS1_25segmented_radix_sort_implIS3_Lb0EPKhPhPKlPlN2at6native12_GLOBAL__N_18offset_tEEE10hipError_tPvRmT1_PNSt15iterator_traitsISK_E10value_typeET2_T3_PNSL_ISQ_E10value_typeET4_jRbjT5_SW_jjP12ihipStream_tbEUlT_E1_NS1_11comp_targetILNS1_3genE8ELNS1_11target_archE1030ELNS1_3gpuE2ELNS1_3repE0EEENS1_59segmented_radix_sort_warp_sort_small_config_static_selectorELNS0_4arch9wavefront6targetE0EEEvSK_.num_named_barrier, max(0, .L_ZN7rocprim17ROCPRIM_400000_NS6detail26segmented_warp_sort_helperINS1_20WarpSortHelperConfigILj32ELj4ELj256EEEhlLi256ELb0EvE4sortIPKhPhPKlPlEEvT_T0_T1_T2_jjjjRNS5_12storage_typeE.num_named_barrier)
	.set _ZN7rocprim17ROCPRIM_400000_NS6detail17trampoline_kernelINS0_14default_configENS1_36segmented_radix_sort_config_selectorIhlEEZNS1_25segmented_radix_sort_implIS3_Lb0EPKhPhPKlPlN2at6native12_GLOBAL__N_18offset_tEEE10hipError_tPvRmT1_PNSt15iterator_traitsISK_E10value_typeET2_T3_PNSL_ISQ_E10value_typeET4_jRbjT5_SW_jjP12ihipStream_tbEUlT_E1_NS1_11comp_targetILNS1_3genE8ELNS1_11target_archE1030ELNS1_3gpuE2ELNS1_3repE0EEENS1_59segmented_radix_sort_warp_sort_small_config_static_selectorELNS0_4arch9wavefront6targetE0EEEvSK_.private_seg_size, 0+max(.L_ZN7rocprim17ROCPRIM_400000_NS6detail26segmented_warp_sort_helperINS1_20WarpSortHelperConfigILj32ELj4ELj256EEEhlLi256ELb0EvE4sortIPKhPhPKlPlEEvT_T0_T1_T2_jjjjRNS5_12storage_typeE.private_seg_size)
	.set _ZN7rocprim17ROCPRIM_400000_NS6detail17trampoline_kernelINS0_14default_configENS1_36segmented_radix_sort_config_selectorIhlEEZNS1_25segmented_radix_sort_implIS3_Lb0EPKhPhPKlPlN2at6native12_GLOBAL__N_18offset_tEEE10hipError_tPvRmT1_PNSt15iterator_traitsISK_E10value_typeET2_T3_PNSL_ISQ_E10value_typeET4_jRbjT5_SW_jjP12ihipStream_tbEUlT_E1_NS1_11comp_targetILNS1_3genE8ELNS1_11target_archE1030ELNS1_3gpuE2ELNS1_3repE0EEENS1_59segmented_radix_sort_warp_sort_small_config_static_selectorELNS0_4arch9wavefront6targetE0EEEvSK_.uses_vcc, or(1, .L_ZN7rocprim17ROCPRIM_400000_NS6detail26segmented_warp_sort_helperINS1_20WarpSortHelperConfigILj32ELj4ELj256EEEhlLi256ELb0EvE4sortIPKhPhPKlPlEEvT_T0_T1_T2_jjjjRNS5_12storage_typeE.uses_vcc)
	.set _ZN7rocprim17ROCPRIM_400000_NS6detail17trampoline_kernelINS0_14default_configENS1_36segmented_radix_sort_config_selectorIhlEEZNS1_25segmented_radix_sort_implIS3_Lb0EPKhPhPKlPlN2at6native12_GLOBAL__N_18offset_tEEE10hipError_tPvRmT1_PNSt15iterator_traitsISK_E10value_typeET2_T3_PNSL_ISQ_E10value_typeET4_jRbjT5_SW_jjP12ihipStream_tbEUlT_E1_NS1_11comp_targetILNS1_3genE8ELNS1_11target_archE1030ELNS1_3gpuE2ELNS1_3repE0EEENS1_59segmented_radix_sort_warp_sort_small_config_static_selectorELNS0_4arch9wavefront6targetE0EEEvSK_.uses_flat_scratch, or(0, .L_ZN7rocprim17ROCPRIM_400000_NS6detail26segmented_warp_sort_helperINS1_20WarpSortHelperConfigILj32ELj4ELj256EEEhlLi256ELb0EvE4sortIPKhPhPKlPlEEvT_T0_T1_T2_jjjjRNS5_12storage_typeE.uses_flat_scratch)
	.set _ZN7rocprim17ROCPRIM_400000_NS6detail17trampoline_kernelINS0_14default_configENS1_36segmented_radix_sort_config_selectorIhlEEZNS1_25segmented_radix_sort_implIS3_Lb0EPKhPhPKlPlN2at6native12_GLOBAL__N_18offset_tEEE10hipError_tPvRmT1_PNSt15iterator_traitsISK_E10value_typeET2_T3_PNSL_ISQ_E10value_typeET4_jRbjT5_SW_jjP12ihipStream_tbEUlT_E1_NS1_11comp_targetILNS1_3genE8ELNS1_11target_archE1030ELNS1_3gpuE2ELNS1_3repE0EEENS1_59segmented_radix_sort_warp_sort_small_config_static_selectorELNS0_4arch9wavefront6targetE0EEEvSK_.has_dyn_sized_stack, or(0, .L_ZN7rocprim17ROCPRIM_400000_NS6detail26segmented_warp_sort_helperINS1_20WarpSortHelperConfigILj32ELj4ELj256EEEhlLi256ELb0EvE4sortIPKhPhPKlPlEEvT_T0_T1_T2_jjjjRNS5_12storage_typeE.has_dyn_sized_stack)
	.set _ZN7rocprim17ROCPRIM_400000_NS6detail17trampoline_kernelINS0_14default_configENS1_36segmented_radix_sort_config_selectorIhlEEZNS1_25segmented_radix_sort_implIS3_Lb0EPKhPhPKlPlN2at6native12_GLOBAL__N_18offset_tEEE10hipError_tPvRmT1_PNSt15iterator_traitsISK_E10value_typeET2_T3_PNSL_ISQ_E10value_typeET4_jRbjT5_SW_jjP12ihipStream_tbEUlT_E1_NS1_11comp_targetILNS1_3genE8ELNS1_11target_archE1030ELNS1_3gpuE2ELNS1_3repE0EEENS1_59segmented_radix_sort_warp_sort_small_config_static_selectorELNS0_4arch9wavefront6targetE0EEEvSK_.has_recursion, or(0, .L_ZN7rocprim17ROCPRIM_400000_NS6detail26segmented_warp_sort_helperINS1_20WarpSortHelperConfigILj32ELj4ELj256EEEhlLi256ELb0EvE4sortIPKhPhPKlPlEEvT_T0_T1_T2_jjjjRNS5_12storage_typeE.has_recursion)
	.set _ZN7rocprim17ROCPRIM_400000_NS6detail17trampoline_kernelINS0_14default_configENS1_36segmented_radix_sort_config_selectorIhlEEZNS1_25segmented_radix_sort_implIS3_Lb0EPKhPhPKlPlN2at6native12_GLOBAL__N_18offset_tEEE10hipError_tPvRmT1_PNSt15iterator_traitsISK_E10value_typeET2_T3_PNSL_ISQ_E10value_typeET4_jRbjT5_SW_jjP12ihipStream_tbEUlT_E1_NS1_11comp_targetILNS1_3genE8ELNS1_11target_archE1030ELNS1_3gpuE2ELNS1_3repE0EEENS1_59segmented_radix_sort_warp_sort_small_config_static_selectorELNS0_4arch9wavefront6targetE0EEEvSK_.has_indirect_call, or(0, .L_ZN7rocprim17ROCPRIM_400000_NS6detail26segmented_warp_sort_helperINS1_20WarpSortHelperConfigILj32ELj4ELj256EEEhlLi256ELb0EvE4sortIPKhPhPKlPlEEvT_T0_T1_T2_jjjjRNS5_12storage_typeE.has_indirect_call)
	.section	.AMDGPU.csdata,"",@progbits
; Kernel info:
; codeLenInByte = 516
; TotalNumSgprs: 42
; NumVgprs: 53
; ScratchSize: 0
; MemoryBound: 0
; FloatMode: 240
; IeeeMode: 1
; LDSByteSize: 9216 bytes/workgroup (compile time only)
; SGPRBlocks: 0
; VGPRBlocks: 6
; NumSGPRsForWavesPerEU: 42
; NumVGPRsForWavesPerEU: 53
; Occupancy: 16
; WaveLimiterHint : 0
; COMPUTE_PGM_RSRC2:SCRATCH_EN: 0
; COMPUTE_PGM_RSRC2:USER_SGPR: 6
; COMPUTE_PGM_RSRC2:TRAP_HANDLER: 0
; COMPUTE_PGM_RSRC2:TGID_X_EN: 1
; COMPUTE_PGM_RSRC2:TGID_Y_EN: 1
; COMPUTE_PGM_RSRC2:TGID_Z_EN: 0
; COMPUTE_PGM_RSRC2:TIDIG_COMP_CNT: 2
	.section	.text._ZN7rocprim17ROCPRIM_400000_NS6detail17trampoline_kernelINS0_14default_configENS1_36segmented_radix_sort_config_selectorIhlEEZNS1_25segmented_radix_sort_implIS3_Lb0EPKhPhPKlPlN2at6native12_GLOBAL__N_18offset_tEEE10hipError_tPvRmT1_PNSt15iterator_traitsISK_E10value_typeET2_T3_PNSL_ISQ_E10value_typeET4_jRbjT5_SW_jjP12ihipStream_tbEUlT_E2_NS1_11comp_targetILNS1_3genE0ELNS1_11target_archE4294967295ELNS1_3gpuE0ELNS1_3repE0EEENS1_30default_config_static_selectorELNS0_4arch9wavefront6targetE0EEEvSK_,"axG",@progbits,_ZN7rocprim17ROCPRIM_400000_NS6detail17trampoline_kernelINS0_14default_configENS1_36segmented_radix_sort_config_selectorIhlEEZNS1_25segmented_radix_sort_implIS3_Lb0EPKhPhPKlPlN2at6native12_GLOBAL__N_18offset_tEEE10hipError_tPvRmT1_PNSt15iterator_traitsISK_E10value_typeET2_T3_PNSL_ISQ_E10value_typeET4_jRbjT5_SW_jjP12ihipStream_tbEUlT_E2_NS1_11comp_targetILNS1_3genE0ELNS1_11target_archE4294967295ELNS1_3gpuE0ELNS1_3repE0EEENS1_30default_config_static_selectorELNS0_4arch9wavefront6targetE0EEEvSK_,comdat
	.globl	_ZN7rocprim17ROCPRIM_400000_NS6detail17trampoline_kernelINS0_14default_configENS1_36segmented_radix_sort_config_selectorIhlEEZNS1_25segmented_radix_sort_implIS3_Lb0EPKhPhPKlPlN2at6native12_GLOBAL__N_18offset_tEEE10hipError_tPvRmT1_PNSt15iterator_traitsISK_E10value_typeET2_T3_PNSL_ISQ_E10value_typeET4_jRbjT5_SW_jjP12ihipStream_tbEUlT_E2_NS1_11comp_targetILNS1_3genE0ELNS1_11target_archE4294967295ELNS1_3gpuE0ELNS1_3repE0EEENS1_30default_config_static_selectorELNS0_4arch9wavefront6targetE0EEEvSK_ ; -- Begin function _ZN7rocprim17ROCPRIM_400000_NS6detail17trampoline_kernelINS0_14default_configENS1_36segmented_radix_sort_config_selectorIhlEEZNS1_25segmented_radix_sort_implIS3_Lb0EPKhPhPKlPlN2at6native12_GLOBAL__N_18offset_tEEE10hipError_tPvRmT1_PNSt15iterator_traitsISK_E10value_typeET2_T3_PNSL_ISQ_E10value_typeET4_jRbjT5_SW_jjP12ihipStream_tbEUlT_E2_NS1_11comp_targetILNS1_3genE0ELNS1_11target_archE4294967295ELNS1_3gpuE0ELNS1_3repE0EEENS1_30default_config_static_selectorELNS0_4arch9wavefront6targetE0EEEvSK_
	.p2align	8
	.type	_ZN7rocprim17ROCPRIM_400000_NS6detail17trampoline_kernelINS0_14default_configENS1_36segmented_radix_sort_config_selectorIhlEEZNS1_25segmented_radix_sort_implIS3_Lb0EPKhPhPKlPlN2at6native12_GLOBAL__N_18offset_tEEE10hipError_tPvRmT1_PNSt15iterator_traitsISK_E10value_typeET2_T3_PNSL_ISQ_E10value_typeET4_jRbjT5_SW_jjP12ihipStream_tbEUlT_E2_NS1_11comp_targetILNS1_3genE0ELNS1_11target_archE4294967295ELNS1_3gpuE0ELNS1_3repE0EEENS1_30default_config_static_selectorELNS0_4arch9wavefront6targetE0EEEvSK_,@function
_ZN7rocprim17ROCPRIM_400000_NS6detail17trampoline_kernelINS0_14default_configENS1_36segmented_radix_sort_config_selectorIhlEEZNS1_25segmented_radix_sort_implIS3_Lb0EPKhPhPKlPlN2at6native12_GLOBAL__N_18offset_tEEE10hipError_tPvRmT1_PNSt15iterator_traitsISK_E10value_typeET2_T3_PNSL_ISQ_E10value_typeET4_jRbjT5_SW_jjP12ihipStream_tbEUlT_E2_NS1_11comp_targetILNS1_3genE0ELNS1_11target_archE4294967295ELNS1_3gpuE0ELNS1_3repE0EEENS1_30default_config_static_selectorELNS0_4arch9wavefront6targetE0EEEvSK_: ; @_ZN7rocprim17ROCPRIM_400000_NS6detail17trampoline_kernelINS0_14default_configENS1_36segmented_radix_sort_config_selectorIhlEEZNS1_25segmented_radix_sort_implIS3_Lb0EPKhPhPKlPlN2at6native12_GLOBAL__N_18offset_tEEE10hipError_tPvRmT1_PNSt15iterator_traitsISK_E10value_typeET2_T3_PNSL_ISQ_E10value_typeET4_jRbjT5_SW_jjP12ihipStream_tbEUlT_E2_NS1_11comp_targetILNS1_3genE0ELNS1_11target_archE4294967295ELNS1_3gpuE0ELNS1_3repE0EEENS1_30default_config_static_selectorELNS0_4arch9wavefront6targetE0EEEvSK_
; %bb.0:
	.section	.rodata,"a",@progbits
	.p2align	6, 0x0
	.amdhsa_kernel _ZN7rocprim17ROCPRIM_400000_NS6detail17trampoline_kernelINS0_14default_configENS1_36segmented_radix_sort_config_selectorIhlEEZNS1_25segmented_radix_sort_implIS3_Lb0EPKhPhPKlPlN2at6native12_GLOBAL__N_18offset_tEEE10hipError_tPvRmT1_PNSt15iterator_traitsISK_E10value_typeET2_T3_PNSL_ISQ_E10value_typeET4_jRbjT5_SW_jjP12ihipStream_tbEUlT_E2_NS1_11comp_targetILNS1_3genE0ELNS1_11target_archE4294967295ELNS1_3gpuE0ELNS1_3repE0EEENS1_30default_config_static_selectorELNS0_4arch9wavefront6targetE0EEEvSK_
		.amdhsa_group_segment_fixed_size 0
		.amdhsa_private_segment_fixed_size 0
		.amdhsa_kernarg_size 80
		.amdhsa_user_sgpr_count 6
		.amdhsa_user_sgpr_private_segment_buffer 1
		.amdhsa_user_sgpr_dispatch_ptr 0
		.amdhsa_user_sgpr_queue_ptr 0
		.amdhsa_user_sgpr_kernarg_segment_ptr 1
		.amdhsa_user_sgpr_dispatch_id 0
		.amdhsa_user_sgpr_flat_scratch_init 0
		.amdhsa_user_sgpr_private_segment_size 0
		.amdhsa_wavefront_size32 1
		.amdhsa_uses_dynamic_stack 0
		.amdhsa_system_sgpr_private_segment_wavefront_offset 0
		.amdhsa_system_sgpr_workgroup_id_x 1
		.amdhsa_system_sgpr_workgroup_id_y 0
		.amdhsa_system_sgpr_workgroup_id_z 0
		.amdhsa_system_sgpr_workgroup_info 0
		.amdhsa_system_vgpr_workitem_id 0
		.amdhsa_next_free_vgpr 1
		.amdhsa_next_free_sgpr 1
		.amdhsa_reserve_vcc 0
		.amdhsa_reserve_flat_scratch 0
		.amdhsa_float_round_mode_32 0
		.amdhsa_float_round_mode_16_64 0
		.amdhsa_float_denorm_mode_32 3
		.amdhsa_float_denorm_mode_16_64 3
		.amdhsa_dx10_clamp 1
		.amdhsa_ieee_mode 1
		.amdhsa_fp16_overflow 0
		.amdhsa_workgroup_processor_mode 1
		.amdhsa_memory_ordered 1
		.amdhsa_forward_progress 1
		.amdhsa_shared_vgpr_count 0
		.amdhsa_exception_fp_ieee_invalid_op 0
		.amdhsa_exception_fp_denorm_src 0
		.amdhsa_exception_fp_ieee_div_zero 0
		.amdhsa_exception_fp_ieee_overflow 0
		.amdhsa_exception_fp_ieee_underflow 0
		.amdhsa_exception_fp_ieee_inexact 0
		.amdhsa_exception_int_div_zero 0
	.end_amdhsa_kernel
	.section	.text._ZN7rocprim17ROCPRIM_400000_NS6detail17trampoline_kernelINS0_14default_configENS1_36segmented_radix_sort_config_selectorIhlEEZNS1_25segmented_radix_sort_implIS3_Lb0EPKhPhPKlPlN2at6native12_GLOBAL__N_18offset_tEEE10hipError_tPvRmT1_PNSt15iterator_traitsISK_E10value_typeET2_T3_PNSL_ISQ_E10value_typeET4_jRbjT5_SW_jjP12ihipStream_tbEUlT_E2_NS1_11comp_targetILNS1_3genE0ELNS1_11target_archE4294967295ELNS1_3gpuE0ELNS1_3repE0EEENS1_30default_config_static_selectorELNS0_4arch9wavefront6targetE0EEEvSK_,"axG",@progbits,_ZN7rocprim17ROCPRIM_400000_NS6detail17trampoline_kernelINS0_14default_configENS1_36segmented_radix_sort_config_selectorIhlEEZNS1_25segmented_radix_sort_implIS3_Lb0EPKhPhPKlPlN2at6native12_GLOBAL__N_18offset_tEEE10hipError_tPvRmT1_PNSt15iterator_traitsISK_E10value_typeET2_T3_PNSL_ISQ_E10value_typeET4_jRbjT5_SW_jjP12ihipStream_tbEUlT_E2_NS1_11comp_targetILNS1_3genE0ELNS1_11target_archE4294967295ELNS1_3gpuE0ELNS1_3repE0EEENS1_30default_config_static_selectorELNS0_4arch9wavefront6targetE0EEEvSK_,comdat
.Lfunc_end214:
	.size	_ZN7rocprim17ROCPRIM_400000_NS6detail17trampoline_kernelINS0_14default_configENS1_36segmented_radix_sort_config_selectorIhlEEZNS1_25segmented_radix_sort_implIS3_Lb0EPKhPhPKlPlN2at6native12_GLOBAL__N_18offset_tEEE10hipError_tPvRmT1_PNSt15iterator_traitsISK_E10value_typeET2_T3_PNSL_ISQ_E10value_typeET4_jRbjT5_SW_jjP12ihipStream_tbEUlT_E2_NS1_11comp_targetILNS1_3genE0ELNS1_11target_archE4294967295ELNS1_3gpuE0ELNS1_3repE0EEENS1_30default_config_static_selectorELNS0_4arch9wavefront6targetE0EEEvSK_, .Lfunc_end214-_ZN7rocprim17ROCPRIM_400000_NS6detail17trampoline_kernelINS0_14default_configENS1_36segmented_radix_sort_config_selectorIhlEEZNS1_25segmented_radix_sort_implIS3_Lb0EPKhPhPKlPlN2at6native12_GLOBAL__N_18offset_tEEE10hipError_tPvRmT1_PNSt15iterator_traitsISK_E10value_typeET2_T3_PNSL_ISQ_E10value_typeET4_jRbjT5_SW_jjP12ihipStream_tbEUlT_E2_NS1_11comp_targetILNS1_3genE0ELNS1_11target_archE4294967295ELNS1_3gpuE0ELNS1_3repE0EEENS1_30default_config_static_selectorELNS0_4arch9wavefront6targetE0EEEvSK_
                                        ; -- End function
	.set _ZN7rocprim17ROCPRIM_400000_NS6detail17trampoline_kernelINS0_14default_configENS1_36segmented_radix_sort_config_selectorIhlEEZNS1_25segmented_radix_sort_implIS3_Lb0EPKhPhPKlPlN2at6native12_GLOBAL__N_18offset_tEEE10hipError_tPvRmT1_PNSt15iterator_traitsISK_E10value_typeET2_T3_PNSL_ISQ_E10value_typeET4_jRbjT5_SW_jjP12ihipStream_tbEUlT_E2_NS1_11comp_targetILNS1_3genE0ELNS1_11target_archE4294967295ELNS1_3gpuE0ELNS1_3repE0EEENS1_30default_config_static_selectorELNS0_4arch9wavefront6targetE0EEEvSK_.num_vgpr, 0
	.set _ZN7rocprim17ROCPRIM_400000_NS6detail17trampoline_kernelINS0_14default_configENS1_36segmented_radix_sort_config_selectorIhlEEZNS1_25segmented_radix_sort_implIS3_Lb0EPKhPhPKlPlN2at6native12_GLOBAL__N_18offset_tEEE10hipError_tPvRmT1_PNSt15iterator_traitsISK_E10value_typeET2_T3_PNSL_ISQ_E10value_typeET4_jRbjT5_SW_jjP12ihipStream_tbEUlT_E2_NS1_11comp_targetILNS1_3genE0ELNS1_11target_archE4294967295ELNS1_3gpuE0ELNS1_3repE0EEENS1_30default_config_static_selectorELNS0_4arch9wavefront6targetE0EEEvSK_.num_agpr, 0
	.set _ZN7rocprim17ROCPRIM_400000_NS6detail17trampoline_kernelINS0_14default_configENS1_36segmented_radix_sort_config_selectorIhlEEZNS1_25segmented_radix_sort_implIS3_Lb0EPKhPhPKlPlN2at6native12_GLOBAL__N_18offset_tEEE10hipError_tPvRmT1_PNSt15iterator_traitsISK_E10value_typeET2_T3_PNSL_ISQ_E10value_typeET4_jRbjT5_SW_jjP12ihipStream_tbEUlT_E2_NS1_11comp_targetILNS1_3genE0ELNS1_11target_archE4294967295ELNS1_3gpuE0ELNS1_3repE0EEENS1_30default_config_static_selectorELNS0_4arch9wavefront6targetE0EEEvSK_.numbered_sgpr, 0
	.set _ZN7rocprim17ROCPRIM_400000_NS6detail17trampoline_kernelINS0_14default_configENS1_36segmented_radix_sort_config_selectorIhlEEZNS1_25segmented_radix_sort_implIS3_Lb0EPKhPhPKlPlN2at6native12_GLOBAL__N_18offset_tEEE10hipError_tPvRmT1_PNSt15iterator_traitsISK_E10value_typeET2_T3_PNSL_ISQ_E10value_typeET4_jRbjT5_SW_jjP12ihipStream_tbEUlT_E2_NS1_11comp_targetILNS1_3genE0ELNS1_11target_archE4294967295ELNS1_3gpuE0ELNS1_3repE0EEENS1_30default_config_static_selectorELNS0_4arch9wavefront6targetE0EEEvSK_.num_named_barrier, 0
	.set _ZN7rocprim17ROCPRIM_400000_NS6detail17trampoline_kernelINS0_14default_configENS1_36segmented_radix_sort_config_selectorIhlEEZNS1_25segmented_radix_sort_implIS3_Lb0EPKhPhPKlPlN2at6native12_GLOBAL__N_18offset_tEEE10hipError_tPvRmT1_PNSt15iterator_traitsISK_E10value_typeET2_T3_PNSL_ISQ_E10value_typeET4_jRbjT5_SW_jjP12ihipStream_tbEUlT_E2_NS1_11comp_targetILNS1_3genE0ELNS1_11target_archE4294967295ELNS1_3gpuE0ELNS1_3repE0EEENS1_30default_config_static_selectorELNS0_4arch9wavefront6targetE0EEEvSK_.private_seg_size, 0
	.set _ZN7rocprim17ROCPRIM_400000_NS6detail17trampoline_kernelINS0_14default_configENS1_36segmented_radix_sort_config_selectorIhlEEZNS1_25segmented_radix_sort_implIS3_Lb0EPKhPhPKlPlN2at6native12_GLOBAL__N_18offset_tEEE10hipError_tPvRmT1_PNSt15iterator_traitsISK_E10value_typeET2_T3_PNSL_ISQ_E10value_typeET4_jRbjT5_SW_jjP12ihipStream_tbEUlT_E2_NS1_11comp_targetILNS1_3genE0ELNS1_11target_archE4294967295ELNS1_3gpuE0ELNS1_3repE0EEENS1_30default_config_static_selectorELNS0_4arch9wavefront6targetE0EEEvSK_.uses_vcc, 0
	.set _ZN7rocprim17ROCPRIM_400000_NS6detail17trampoline_kernelINS0_14default_configENS1_36segmented_radix_sort_config_selectorIhlEEZNS1_25segmented_radix_sort_implIS3_Lb0EPKhPhPKlPlN2at6native12_GLOBAL__N_18offset_tEEE10hipError_tPvRmT1_PNSt15iterator_traitsISK_E10value_typeET2_T3_PNSL_ISQ_E10value_typeET4_jRbjT5_SW_jjP12ihipStream_tbEUlT_E2_NS1_11comp_targetILNS1_3genE0ELNS1_11target_archE4294967295ELNS1_3gpuE0ELNS1_3repE0EEENS1_30default_config_static_selectorELNS0_4arch9wavefront6targetE0EEEvSK_.uses_flat_scratch, 0
	.set _ZN7rocprim17ROCPRIM_400000_NS6detail17trampoline_kernelINS0_14default_configENS1_36segmented_radix_sort_config_selectorIhlEEZNS1_25segmented_radix_sort_implIS3_Lb0EPKhPhPKlPlN2at6native12_GLOBAL__N_18offset_tEEE10hipError_tPvRmT1_PNSt15iterator_traitsISK_E10value_typeET2_T3_PNSL_ISQ_E10value_typeET4_jRbjT5_SW_jjP12ihipStream_tbEUlT_E2_NS1_11comp_targetILNS1_3genE0ELNS1_11target_archE4294967295ELNS1_3gpuE0ELNS1_3repE0EEENS1_30default_config_static_selectorELNS0_4arch9wavefront6targetE0EEEvSK_.has_dyn_sized_stack, 0
	.set _ZN7rocprim17ROCPRIM_400000_NS6detail17trampoline_kernelINS0_14default_configENS1_36segmented_radix_sort_config_selectorIhlEEZNS1_25segmented_radix_sort_implIS3_Lb0EPKhPhPKlPlN2at6native12_GLOBAL__N_18offset_tEEE10hipError_tPvRmT1_PNSt15iterator_traitsISK_E10value_typeET2_T3_PNSL_ISQ_E10value_typeET4_jRbjT5_SW_jjP12ihipStream_tbEUlT_E2_NS1_11comp_targetILNS1_3genE0ELNS1_11target_archE4294967295ELNS1_3gpuE0ELNS1_3repE0EEENS1_30default_config_static_selectorELNS0_4arch9wavefront6targetE0EEEvSK_.has_recursion, 0
	.set _ZN7rocprim17ROCPRIM_400000_NS6detail17trampoline_kernelINS0_14default_configENS1_36segmented_radix_sort_config_selectorIhlEEZNS1_25segmented_radix_sort_implIS3_Lb0EPKhPhPKlPlN2at6native12_GLOBAL__N_18offset_tEEE10hipError_tPvRmT1_PNSt15iterator_traitsISK_E10value_typeET2_T3_PNSL_ISQ_E10value_typeET4_jRbjT5_SW_jjP12ihipStream_tbEUlT_E2_NS1_11comp_targetILNS1_3genE0ELNS1_11target_archE4294967295ELNS1_3gpuE0ELNS1_3repE0EEENS1_30default_config_static_selectorELNS0_4arch9wavefront6targetE0EEEvSK_.has_indirect_call, 0
	.section	.AMDGPU.csdata,"",@progbits
; Kernel info:
; codeLenInByte = 0
; TotalNumSgprs: 0
; NumVgprs: 0
; ScratchSize: 0
; MemoryBound: 0
; FloatMode: 240
; IeeeMode: 1
; LDSByteSize: 0 bytes/workgroup (compile time only)
; SGPRBlocks: 0
; VGPRBlocks: 0
; NumSGPRsForWavesPerEU: 1
; NumVGPRsForWavesPerEU: 1
; Occupancy: 16
; WaveLimiterHint : 0
; COMPUTE_PGM_RSRC2:SCRATCH_EN: 0
; COMPUTE_PGM_RSRC2:USER_SGPR: 6
; COMPUTE_PGM_RSRC2:TRAP_HANDLER: 0
; COMPUTE_PGM_RSRC2:TGID_X_EN: 1
; COMPUTE_PGM_RSRC2:TGID_Y_EN: 0
; COMPUTE_PGM_RSRC2:TGID_Z_EN: 0
; COMPUTE_PGM_RSRC2:TIDIG_COMP_CNT: 0
	.section	.text._ZN7rocprim17ROCPRIM_400000_NS6detail17trampoline_kernelINS0_14default_configENS1_36segmented_radix_sort_config_selectorIhlEEZNS1_25segmented_radix_sort_implIS3_Lb0EPKhPhPKlPlN2at6native12_GLOBAL__N_18offset_tEEE10hipError_tPvRmT1_PNSt15iterator_traitsISK_E10value_typeET2_T3_PNSL_ISQ_E10value_typeET4_jRbjT5_SW_jjP12ihipStream_tbEUlT_E2_NS1_11comp_targetILNS1_3genE5ELNS1_11target_archE942ELNS1_3gpuE9ELNS1_3repE0EEENS1_30default_config_static_selectorELNS0_4arch9wavefront6targetE0EEEvSK_,"axG",@progbits,_ZN7rocprim17ROCPRIM_400000_NS6detail17trampoline_kernelINS0_14default_configENS1_36segmented_radix_sort_config_selectorIhlEEZNS1_25segmented_radix_sort_implIS3_Lb0EPKhPhPKlPlN2at6native12_GLOBAL__N_18offset_tEEE10hipError_tPvRmT1_PNSt15iterator_traitsISK_E10value_typeET2_T3_PNSL_ISQ_E10value_typeET4_jRbjT5_SW_jjP12ihipStream_tbEUlT_E2_NS1_11comp_targetILNS1_3genE5ELNS1_11target_archE942ELNS1_3gpuE9ELNS1_3repE0EEENS1_30default_config_static_selectorELNS0_4arch9wavefront6targetE0EEEvSK_,comdat
	.globl	_ZN7rocprim17ROCPRIM_400000_NS6detail17trampoline_kernelINS0_14default_configENS1_36segmented_radix_sort_config_selectorIhlEEZNS1_25segmented_radix_sort_implIS3_Lb0EPKhPhPKlPlN2at6native12_GLOBAL__N_18offset_tEEE10hipError_tPvRmT1_PNSt15iterator_traitsISK_E10value_typeET2_T3_PNSL_ISQ_E10value_typeET4_jRbjT5_SW_jjP12ihipStream_tbEUlT_E2_NS1_11comp_targetILNS1_3genE5ELNS1_11target_archE942ELNS1_3gpuE9ELNS1_3repE0EEENS1_30default_config_static_selectorELNS0_4arch9wavefront6targetE0EEEvSK_ ; -- Begin function _ZN7rocprim17ROCPRIM_400000_NS6detail17trampoline_kernelINS0_14default_configENS1_36segmented_radix_sort_config_selectorIhlEEZNS1_25segmented_radix_sort_implIS3_Lb0EPKhPhPKlPlN2at6native12_GLOBAL__N_18offset_tEEE10hipError_tPvRmT1_PNSt15iterator_traitsISK_E10value_typeET2_T3_PNSL_ISQ_E10value_typeET4_jRbjT5_SW_jjP12ihipStream_tbEUlT_E2_NS1_11comp_targetILNS1_3genE5ELNS1_11target_archE942ELNS1_3gpuE9ELNS1_3repE0EEENS1_30default_config_static_selectorELNS0_4arch9wavefront6targetE0EEEvSK_
	.p2align	8
	.type	_ZN7rocprim17ROCPRIM_400000_NS6detail17trampoline_kernelINS0_14default_configENS1_36segmented_radix_sort_config_selectorIhlEEZNS1_25segmented_radix_sort_implIS3_Lb0EPKhPhPKlPlN2at6native12_GLOBAL__N_18offset_tEEE10hipError_tPvRmT1_PNSt15iterator_traitsISK_E10value_typeET2_T3_PNSL_ISQ_E10value_typeET4_jRbjT5_SW_jjP12ihipStream_tbEUlT_E2_NS1_11comp_targetILNS1_3genE5ELNS1_11target_archE942ELNS1_3gpuE9ELNS1_3repE0EEENS1_30default_config_static_selectorELNS0_4arch9wavefront6targetE0EEEvSK_,@function
_ZN7rocprim17ROCPRIM_400000_NS6detail17trampoline_kernelINS0_14default_configENS1_36segmented_radix_sort_config_selectorIhlEEZNS1_25segmented_radix_sort_implIS3_Lb0EPKhPhPKlPlN2at6native12_GLOBAL__N_18offset_tEEE10hipError_tPvRmT1_PNSt15iterator_traitsISK_E10value_typeET2_T3_PNSL_ISQ_E10value_typeET4_jRbjT5_SW_jjP12ihipStream_tbEUlT_E2_NS1_11comp_targetILNS1_3genE5ELNS1_11target_archE942ELNS1_3gpuE9ELNS1_3repE0EEENS1_30default_config_static_selectorELNS0_4arch9wavefront6targetE0EEEvSK_: ; @_ZN7rocprim17ROCPRIM_400000_NS6detail17trampoline_kernelINS0_14default_configENS1_36segmented_radix_sort_config_selectorIhlEEZNS1_25segmented_radix_sort_implIS3_Lb0EPKhPhPKlPlN2at6native12_GLOBAL__N_18offset_tEEE10hipError_tPvRmT1_PNSt15iterator_traitsISK_E10value_typeET2_T3_PNSL_ISQ_E10value_typeET4_jRbjT5_SW_jjP12ihipStream_tbEUlT_E2_NS1_11comp_targetILNS1_3genE5ELNS1_11target_archE942ELNS1_3gpuE9ELNS1_3repE0EEENS1_30default_config_static_selectorELNS0_4arch9wavefront6targetE0EEEvSK_
; %bb.0:
	.section	.rodata,"a",@progbits
	.p2align	6, 0x0
	.amdhsa_kernel _ZN7rocprim17ROCPRIM_400000_NS6detail17trampoline_kernelINS0_14default_configENS1_36segmented_radix_sort_config_selectorIhlEEZNS1_25segmented_radix_sort_implIS3_Lb0EPKhPhPKlPlN2at6native12_GLOBAL__N_18offset_tEEE10hipError_tPvRmT1_PNSt15iterator_traitsISK_E10value_typeET2_T3_PNSL_ISQ_E10value_typeET4_jRbjT5_SW_jjP12ihipStream_tbEUlT_E2_NS1_11comp_targetILNS1_3genE5ELNS1_11target_archE942ELNS1_3gpuE9ELNS1_3repE0EEENS1_30default_config_static_selectorELNS0_4arch9wavefront6targetE0EEEvSK_
		.amdhsa_group_segment_fixed_size 0
		.amdhsa_private_segment_fixed_size 0
		.amdhsa_kernarg_size 80
		.amdhsa_user_sgpr_count 6
		.amdhsa_user_sgpr_private_segment_buffer 1
		.amdhsa_user_sgpr_dispatch_ptr 0
		.amdhsa_user_sgpr_queue_ptr 0
		.amdhsa_user_sgpr_kernarg_segment_ptr 1
		.amdhsa_user_sgpr_dispatch_id 0
		.amdhsa_user_sgpr_flat_scratch_init 0
		.amdhsa_user_sgpr_private_segment_size 0
		.amdhsa_wavefront_size32 1
		.amdhsa_uses_dynamic_stack 0
		.amdhsa_system_sgpr_private_segment_wavefront_offset 0
		.amdhsa_system_sgpr_workgroup_id_x 1
		.amdhsa_system_sgpr_workgroup_id_y 0
		.amdhsa_system_sgpr_workgroup_id_z 0
		.amdhsa_system_sgpr_workgroup_info 0
		.amdhsa_system_vgpr_workitem_id 0
		.amdhsa_next_free_vgpr 1
		.amdhsa_next_free_sgpr 1
		.amdhsa_reserve_vcc 0
		.amdhsa_reserve_flat_scratch 0
		.amdhsa_float_round_mode_32 0
		.amdhsa_float_round_mode_16_64 0
		.amdhsa_float_denorm_mode_32 3
		.amdhsa_float_denorm_mode_16_64 3
		.amdhsa_dx10_clamp 1
		.amdhsa_ieee_mode 1
		.amdhsa_fp16_overflow 0
		.amdhsa_workgroup_processor_mode 1
		.amdhsa_memory_ordered 1
		.amdhsa_forward_progress 1
		.amdhsa_shared_vgpr_count 0
		.amdhsa_exception_fp_ieee_invalid_op 0
		.amdhsa_exception_fp_denorm_src 0
		.amdhsa_exception_fp_ieee_div_zero 0
		.amdhsa_exception_fp_ieee_overflow 0
		.amdhsa_exception_fp_ieee_underflow 0
		.amdhsa_exception_fp_ieee_inexact 0
		.amdhsa_exception_int_div_zero 0
	.end_amdhsa_kernel
	.section	.text._ZN7rocprim17ROCPRIM_400000_NS6detail17trampoline_kernelINS0_14default_configENS1_36segmented_radix_sort_config_selectorIhlEEZNS1_25segmented_radix_sort_implIS3_Lb0EPKhPhPKlPlN2at6native12_GLOBAL__N_18offset_tEEE10hipError_tPvRmT1_PNSt15iterator_traitsISK_E10value_typeET2_T3_PNSL_ISQ_E10value_typeET4_jRbjT5_SW_jjP12ihipStream_tbEUlT_E2_NS1_11comp_targetILNS1_3genE5ELNS1_11target_archE942ELNS1_3gpuE9ELNS1_3repE0EEENS1_30default_config_static_selectorELNS0_4arch9wavefront6targetE0EEEvSK_,"axG",@progbits,_ZN7rocprim17ROCPRIM_400000_NS6detail17trampoline_kernelINS0_14default_configENS1_36segmented_radix_sort_config_selectorIhlEEZNS1_25segmented_radix_sort_implIS3_Lb0EPKhPhPKlPlN2at6native12_GLOBAL__N_18offset_tEEE10hipError_tPvRmT1_PNSt15iterator_traitsISK_E10value_typeET2_T3_PNSL_ISQ_E10value_typeET4_jRbjT5_SW_jjP12ihipStream_tbEUlT_E2_NS1_11comp_targetILNS1_3genE5ELNS1_11target_archE942ELNS1_3gpuE9ELNS1_3repE0EEENS1_30default_config_static_selectorELNS0_4arch9wavefront6targetE0EEEvSK_,comdat
.Lfunc_end215:
	.size	_ZN7rocprim17ROCPRIM_400000_NS6detail17trampoline_kernelINS0_14default_configENS1_36segmented_radix_sort_config_selectorIhlEEZNS1_25segmented_radix_sort_implIS3_Lb0EPKhPhPKlPlN2at6native12_GLOBAL__N_18offset_tEEE10hipError_tPvRmT1_PNSt15iterator_traitsISK_E10value_typeET2_T3_PNSL_ISQ_E10value_typeET4_jRbjT5_SW_jjP12ihipStream_tbEUlT_E2_NS1_11comp_targetILNS1_3genE5ELNS1_11target_archE942ELNS1_3gpuE9ELNS1_3repE0EEENS1_30default_config_static_selectorELNS0_4arch9wavefront6targetE0EEEvSK_, .Lfunc_end215-_ZN7rocprim17ROCPRIM_400000_NS6detail17trampoline_kernelINS0_14default_configENS1_36segmented_radix_sort_config_selectorIhlEEZNS1_25segmented_radix_sort_implIS3_Lb0EPKhPhPKlPlN2at6native12_GLOBAL__N_18offset_tEEE10hipError_tPvRmT1_PNSt15iterator_traitsISK_E10value_typeET2_T3_PNSL_ISQ_E10value_typeET4_jRbjT5_SW_jjP12ihipStream_tbEUlT_E2_NS1_11comp_targetILNS1_3genE5ELNS1_11target_archE942ELNS1_3gpuE9ELNS1_3repE0EEENS1_30default_config_static_selectorELNS0_4arch9wavefront6targetE0EEEvSK_
                                        ; -- End function
	.set _ZN7rocprim17ROCPRIM_400000_NS6detail17trampoline_kernelINS0_14default_configENS1_36segmented_radix_sort_config_selectorIhlEEZNS1_25segmented_radix_sort_implIS3_Lb0EPKhPhPKlPlN2at6native12_GLOBAL__N_18offset_tEEE10hipError_tPvRmT1_PNSt15iterator_traitsISK_E10value_typeET2_T3_PNSL_ISQ_E10value_typeET4_jRbjT5_SW_jjP12ihipStream_tbEUlT_E2_NS1_11comp_targetILNS1_3genE5ELNS1_11target_archE942ELNS1_3gpuE9ELNS1_3repE0EEENS1_30default_config_static_selectorELNS0_4arch9wavefront6targetE0EEEvSK_.num_vgpr, 0
	.set _ZN7rocprim17ROCPRIM_400000_NS6detail17trampoline_kernelINS0_14default_configENS1_36segmented_radix_sort_config_selectorIhlEEZNS1_25segmented_radix_sort_implIS3_Lb0EPKhPhPKlPlN2at6native12_GLOBAL__N_18offset_tEEE10hipError_tPvRmT1_PNSt15iterator_traitsISK_E10value_typeET2_T3_PNSL_ISQ_E10value_typeET4_jRbjT5_SW_jjP12ihipStream_tbEUlT_E2_NS1_11comp_targetILNS1_3genE5ELNS1_11target_archE942ELNS1_3gpuE9ELNS1_3repE0EEENS1_30default_config_static_selectorELNS0_4arch9wavefront6targetE0EEEvSK_.num_agpr, 0
	.set _ZN7rocprim17ROCPRIM_400000_NS6detail17trampoline_kernelINS0_14default_configENS1_36segmented_radix_sort_config_selectorIhlEEZNS1_25segmented_radix_sort_implIS3_Lb0EPKhPhPKlPlN2at6native12_GLOBAL__N_18offset_tEEE10hipError_tPvRmT1_PNSt15iterator_traitsISK_E10value_typeET2_T3_PNSL_ISQ_E10value_typeET4_jRbjT5_SW_jjP12ihipStream_tbEUlT_E2_NS1_11comp_targetILNS1_3genE5ELNS1_11target_archE942ELNS1_3gpuE9ELNS1_3repE0EEENS1_30default_config_static_selectorELNS0_4arch9wavefront6targetE0EEEvSK_.numbered_sgpr, 0
	.set _ZN7rocprim17ROCPRIM_400000_NS6detail17trampoline_kernelINS0_14default_configENS1_36segmented_radix_sort_config_selectorIhlEEZNS1_25segmented_radix_sort_implIS3_Lb0EPKhPhPKlPlN2at6native12_GLOBAL__N_18offset_tEEE10hipError_tPvRmT1_PNSt15iterator_traitsISK_E10value_typeET2_T3_PNSL_ISQ_E10value_typeET4_jRbjT5_SW_jjP12ihipStream_tbEUlT_E2_NS1_11comp_targetILNS1_3genE5ELNS1_11target_archE942ELNS1_3gpuE9ELNS1_3repE0EEENS1_30default_config_static_selectorELNS0_4arch9wavefront6targetE0EEEvSK_.num_named_barrier, 0
	.set _ZN7rocprim17ROCPRIM_400000_NS6detail17trampoline_kernelINS0_14default_configENS1_36segmented_radix_sort_config_selectorIhlEEZNS1_25segmented_radix_sort_implIS3_Lb0EPKhPhPKlPlN2at6native12_GLOBAL__N_18offset_tEEE10hipError_tPvRmT1_PNSt15iterator_traitsISK_E10value_typeET2_T3_PNSL_ISQ_E10value_typeET4_jRbjT5_SW_jjP12ihipStream_tbEUlT_E2_NS1_11comp_targetILNS1_3genE5ELNS1_11target_archE942ELNS1_3gpuE9ELNS1_3repE0EEENS1_30default_config_static_selectorELNS0_4arch9wavefront6targetE0EEEvSK_.private_seg_size, 0
	.set _ZN7rocprim17ROCPRIM_400000_NS6detail17trampoline_kernelINS0_14default_configENS1_36segmented_radix_sort_config_selectorIhlEEZNS1_25segmented_radix_sort_implIS3_Lb0EPKhPhPKlPlN2at6native12_GLOBAL__N_18offset_tEEE10hipError_tPvRmT1_PNSt15iterator_traitsISK_E10value_typeET2_T3_PNSL_ISQ_E10value_typeET4_jRbjT5_SW_jjP12ihipStream_tbEUlT_E2_NS1_11comp_targetILNS1_3genE5ELNS1_11target_archE942ELNS1_3gpuE9ELNS1_3repE0EEENS1_30default_config_static_selectorELNS0_4arch9wavefront6targetE0EEEvSK_.uses_vcc, 0
	.set _ZN7rocprim17ROCPRIM_400000_NS6detail17trampoline_kernelINS0_14default_configENS1_36segmented_radix_sort_config_selectorIhlEEZNS1_25segmented_radix_sort_implIS3_Lb0EPKhPhPKlPlN2at6native12_GLOBAL__N_18offset_tEEE10hipError_tPvRmT1_PNSt15iterator_traitsISK_E10value_typeET2_T3_PNSL_ISQ_E10value_typeET4_jRbjT5_SW_jjP12ihipStream_tbEUlT_E2_NS1_11comp_targetILNS1_3genE5ELNS1_11target_archE942ELNS1_3gpuE9ELNS1_3repE0EEENS1_30default_config_static_selectorELNS0_4arch9wavefront6targetE0EEEvSK_.uses_flat_scratch, 0
	.set _ZN7rocprim17ROCPRIM_400000_NS6detail17trampoline_kernelINS0_14default_configENS1_36segmented_radix_sort_config_selectorIhlEEZNS1_25segmented_radix_sort_implIS3_Lb0EPKhPhPKlPlN2at6native12_GLOBAL__N_18offset_tEEE10hipError_tPvRmT1_PNSt15iterator_traitsISK_E10value_typeET2_T3_PNSL_ISQ_E10value_typeET4_jRbjT5_SW_jjP12ihipStream_tbEUlT_E2_NS1_11comp_targetILNS1_3genE5ELNS1_11target_archE942ELNS1_3gpuE9ELNS1_3repE0EEENS1_30default_config_static_selectorELNS0_4arch9wavefront6targetE0EEEvSK_.has_dyn_sized_stack, 0
	.set _ZN7rocprim17ROCPRIM_400000_NS6detail17trampoline_kernelINS0_14default_configENS1_36segmented_radix_sort_config_selectorIhlEEZNS1_25segmented_radix_sort_implIS3_Lb0EPKhPhPKlPlN2at6native12_GLOBAL__N_18offset_tEEE10hipError_tPvRmT1_PNSt15iterator_traitsISK_E10value_typeET2_T3_PNSL_ISQ_E10value_typeET4_jRbjT5_SW_jjP12ihipStream_tbEUlT_E2_NS1_11comp_targetILNS1_3genE5ELNS1_11target_archE942ELNS1_3gpuE9ELNS1_3repE0EEENS1_30default_config_static_selectorELNS0_4arch9wavefront6targetE0EEEvSK_.has_recursion, 0
	.set _ZN7rocprim17ROCPRIM_400000_NS6detail17trampoline_kernelINS0_14default_configENS1_36segmented_radix_sort_config_selectorIhlEEZNS1_25segmented_radix_sort_implIS3_Lb0EPKhPhPKlPlN2at6native12_GLOBAL__N_18offset_tEEE10hipError_tPvRmT1_PNSt15iterator_traitsISK_E10value_typeET2_T3_PNSL_ISQ_E10value_typeET4_jRbjT5_SW_jjP12ihipStream_tbEUlT_E2_NS1_11comp_targetILNS1_3genE5ELNS1_11target_archE942ELNS1_3gpuE9ELNS1_3repE0EEENS1_30default_config_static_selectorELNS0_4arch9wavefront6targetE0EEEvSK_.has_indirect_call, 0
	.section	.AMDGPU.csdata,"",@progbits
; Kernel info:
; codeLenInByte = 0
; TotalNumSgprs: 0
; NumVgprs: 0
; ScratchSize: 0
; MemoryBound: 0
; FloatMode: 240
; IeeeMode: 1
; LDSByteSize: 0 bytes/workgroup (compile time only)
; SGPRBlocks: 0
; VGPRBlocks: 0
; NumSGPRsForWavesPerEU: 1
; NumVGPRsForWavesPerEU: 1
; Occupancy: 16
; WaveLimiterHint : 0
; COMPUTE_PGM_RSRC2:SCRATCH_EN: 0
; COMPUTE_PGM_RSRC2:USER_SGPR: 6
; COMPUTE_PGM_RSRC2:TRAP_HANDLER: 0
; COMPUTE_PGM_RSRC2:TGID_X_EN: 1
; COMPUTE_PGM_RSRC2:TGID_Y_EN: 0
; COMPUTE_PGM_RSRC2:TGID_Z_EN: 0
; COMPUTE_PGM_RSRC2:TIDIG_COMP_CNT: 0
	.section	.text._ZN7rocprim17ROCPRIM_400000_NS6detail17trampoline_kernelINS0_14default_configENS1_36segmented_radix_sort_config_selectorIhlEEZNS1_25segmented_radix_sort_implIS3_Lb0EPKhPhPKlPlN2at6native12_GLOBAL__N_18offset_tEEE10hipError_tPvRmT1_PNSt15iterator_traitsISK_E10value_typeET2_T3_PNSL_ISQ_E10value_typeET4_jRbjT5_SW_jjP12ihipStream_tbEUlT_E2_NS1_11comp_targetILNS1_3genE4ELNS1_11target_archE910ELNS1_3gpuE8ELNS1_3repE0EEENS1_30default_config_static_selectorELNS0_4arch9wavefront6targetE0EEEvSK_,"axG",@progbits,_ZN7rocprim17ROCPRIM_400000_NS6detail17trampoline_kernelINS0_14default_configENS1_36segmented_radix_sort_config_selectorIhlEEZNS1_25segmented_radix_sort_implIS3_Lb0EPKhPhPKlPlN2at6native12_GLOBAL__N_18offset_tEEE10hipError_tPvRmT1_PNSt15iterator_traitsISK_E10value_typeET2_T3_PNSL_ISQ_E10value_typeET4_jRbjT5_SW_jjP12ihipStream_tbEUlT_E2_NS1_11comp_targetILNS1_3genE4ELNS1_11target_archE910ELNS1_3gpuE8ELNS1_3repE0EEENS1_30default_config_static_selectorELNS0_4arch9wavefront6targetE0EEEvSK_,comdat
	.globl	_ZN7rocprim17ROCPRIM_400000_NS6detail17trampoline_kernelINS0_14default_configENS1_36segmented_radix_sort_config_selectorIhlEEZNS1_25segmented_radix_sort_implIS3_Lb0EPKhPhPKlPlN2at6native12_GLOBAL__N_18offset_tEEE10hipError_tPvRmT1_PNSt15iterator_traitsISK_E10value_typeET2_T3_PNSL_ISQ_E10value_typeET4_jRbjT5_SW_jjP12ihipStream_tbEUlT_E2_NS1_11comp_targetILNS1_3genE4ELNS1_11target_archE910ELNS1_3gpuE8ELNS1_3repE0EEENS1_30default_config_static_selectorELNS0_4arch9wavefront6targetE0EEEvSK_ ; -- Begin function _ZN7rocprim17ROCPRIM_400000_NS6detail17trampoline_kernelINS0_14default_configENS1_36segmented_radix_sort_config_selectorIhlEEZNS1_25segmented_radix_sort_implIS3_Lb0EPKhPhPKlPlN2at6native12_GLOBAL__N_18offset_tEEE10hipError_tPvRmT1_PNSt15iterator_traitsISK_E10value_typeET2_T3_PNSL_ISQ_E10value_typeET4_jRbjT5_SW_jjP12ihipStream_tbEUlT_E2_NS1_11comp_targetILNS1_3genE4ELNS1_11target_archE910ELNS1_3gpuE8ELNS1_3repE0EEENS1_30default_config_static_selectorELNS0_4arch9wavefront6targetE0EEEvSK_
	.p2align	8
	.type	_ZN7rocprim17ROCPRIM_400000_NS6detail17trampoline_kernelINS0_14default_configENS1_36segmented_radix_sort_config_selectorIhlEEZNS1_25segmented_radix_sort_implIS3_Lb0EPKhPhPKlPlN2at6native12_GLOBAL__N_18offset_tEEE10hipError_tPvRmT1_PNSt15iterator_traitsISK_E10value_typeET2_T3_PNSL_ISQ_E10value_typeET4_jRbjT5_SW_jjP12ihipStream_tbEUlT_E2_NS1_11comp_targetILNS1_3genE4ELNS1_11target_archE910ELNS1_3gpuE8ELNS1_3repE0EEENS1_30default_config_static_selectorELNS0_4arch9wavefront6targetE0EEEvSK_,@function
_ZN7rocprim17ROCPRIM_400000_NS6detail17trampoline_kernelINS0_14default_configENS1_36segmented_radix_sort_config_selectorIhlEEZNS1_25segmented_radix_sort_implIS3_Lb0EPKhPhPKlPlN2at6native12_GLOBAL__N_18offset_tEEE10hipError_tPvRmT1_PNSt15iterator_traitsISK_E10value_typeET2_T3_PNSL_ISQ_E10value_typeET4_jRbjT5_SW_jjP12ihipStream_tbEUlT_E2_NS1_11comp_targetILNS1_3genE4ELNS1_11target_archE910ELNS1_3gpuE8ELNS1_3repE0EEENS1_30default_config_static_selectorELNS0_4arch9wavefront6targetE0EEEvSK_: ; @_ZN7rocprim17ROCPRIM_400000_NS6detail17trampoline_kernelINS0_14default_configENS1_36segmented_radix_sort_config_selectorIhlEEZNS1_25segmented_radix_sort_implIS3_Lb0EPKhPhPKlPlN2at6native12_GLOBAL__N_18offset_tEEE10hipError_tPvRmT1_PNSt15iterator_traitsISK_E10value_typeET2_T3_PNSL_ISQ_E10value_typeET4_jRbjT5_SW_jjP12ihipStream_tbEUlT_E2_NS1_11comp_targetILNS1_3genE4ELNS1_11target_archE910ELNS1_3gpuE8ELNS1_3repE0EEENS1_30default_config_static_selectorELNS0_4arch9wavefront6targetE0EEEvSK_
; %bb.0:
	.section	.rodata,"a",@progbits
	.p2align	6, 0x0
	.amdhsa_kernel _ZN7rocprim17ROCPRIM_400000_NS6detail17trampoline_kernelINS0_14default_configENS1_36segmented_radix_sort_config_selectorIhlEEZNS1_25segmented_radix_sort_implIS3_Lb0EPKhPhPKlPlN2at6native12_GLOBAL__N_18offset_tEEE10hipError_tPvRmT1_PNSt15iterator_traitsISK_E10value_typeET2_T3_PNSL_ISQ_E10value_typeET4_jRbjT5_SW_jjP12ihipStream_tbEUlT_E2_NS1_11comp_targetILNS1_3genE4ELNS1_11target_archE910ELNS1_3gpuE8ELNS1_3repE0EEENS1_30default_config_static_selectorELNS0_4arch9wavefront6targetE0EEEvSK_
		.amdhsa_group_segment_fixed_size 0
		.amdhsa_private_segment_fixed_size 0
		.amdhsa_kernarg_size 80
		.amdhsa_user_sgpr_count 6
		.amdhsa_user_sgpr_private_segment_buffer 1
		.amdhsa_user_sgpr_dispatch_ptr 0
		.amdhsa_user_sgpr_queue_ptr 0
		.amdhsa_user_sgpr_kernarg_segment_ptr 1
		.amdhsa_user_sgpr_dispatch_id 0
		.amdhsa_user_sgpr_flat_scratch_init 0
		.amdhsa_user_sgpr_private_segment_size 0
		.amdhsa_wavefront_size32 1
		.amdhsa_uses_dynamic_stack 0
		.amdhsa_system_sgpr_private_segment_wavefront_offset 0
		.amdhsa_system_sgpr_workgroup_id_x 1
		.amdhsa_system_sgpr_workgroup_id_y 0
		.amdhsa_system_sgpr_workgroup_id_z 0
		.amdhsa_system_sgpr_workgroup_info 0
		.amdhsa_system_vgpr_workitem_id 0
		.amdhsa_next_free_vgpr 1
		.amdhsa_next_free_sgpr 1
		.amdhsa_reserve_vcc 0
		.amdhsa_reserve_flat_scratch 0
		.amdhsa_float_round_mode_32 0
		.amdhsa_float_round_mode_16_64 0
		.amdhsa_float_denorm_mode_32 3
		.amdhsa_float_denorm_mode_16_64 3
		.amdhsa_dx10_clamp 1
		.amdhsa_ieee_mode 1
		.amdhsa_fp16_overflow 0
		.amdhsa_workgroup_processor_mode 1
		.amdhsa_memory_ordered 1
		.amdhsa_forward_progress 1
		.amdhsa_shared_vgpr_count 0
		.amdhsa_exception_fp_ieee_invalid_op 0
		.amdhsa_exception_fp_denorm_src 0
		.amdhsa_exception_fp_ieee_div_zero 0
		.amdhsa_exception_fp_ieee_overflow 0
		.amdhsa_exception_fp_ieee_underflow 0
		.amdhsa_exception_fp_ieee_inexact 0
		.amdhsa_exception_int_div_zero 0
	.end_amdhsa_kernel
	.section	.text._ZN7rocprim17ROCPRIM_400000_NS6detail17trampoline_kernelINS0_14default_configENS1_36segmented_radix_sort_config_selectorIhlEEZNS1_25segmented_radix_sort_implIS3_Lb0EPKhPhPKlPlN2at6native12_GLOBAL__N_18offset_tEEE10hipError_tPvRmT1_PNSt15iterator_traitsISK_E10value_typeET2_T3_PNSL_ISQ_E10value_typeET4_jRbjT5_SW_jjP12ihipStream_tbEUlT_E2_NS1_11comp_targetILNS1_3genE4ELNS1_11target_archE910ELNS1_3gpuE8ELNS1_3repE0EEENS1_30default_config_static_selectorELNS0_4arch9wavefront6targetE0EEEvSK_,"axG",@progbits,_ZN7rocprim17ROCPRIM_400000_NS6detail17trampoline_kernelINS0_14default_configENS1_36segmented_radix_sort_config_selectorIhlEEZNS1_25segmented_radix_sort_implIS3_Lb0EPKhPhPKlPlN2at6native12_GLOBAL__N_18offset_tEEE10hipError_tPvRmT1_PNSt15iterator_traitsISK_E10value_typeET2_T3_PNSL_ISQ_E10value_typeET4_jRbjT5_SW_jjP12ihipStream_tbEUlT_E2_NS1_11comp_targetILNS1_3genE4ELNS1_11target_archE910ELNS1_3gpuE8ELNS1_3repE0EEENS1_30default_config_static_selectorELNS0_4arch9wavefront6targetE0EEEvSK_,comdat
.Lfunc_end216:
	.size	_ZN7rocprim17ROCPRIM_400000_NS6detail17trampoline_kernelINS0_14default_configENS1_36segmented_radix_sort_config_selectorIhlEEZNS1_25segmented_radix_sort_implIS3_Lb0EPKhPhPKlPlN2at6native12_GLOBAL__N_18offset_tEEE10hipError_tPvRmT1_PNSt15iterator_traitsISK_E10value_typeET2_T3_PNSL_ISQ_E10value_typeET4_jRbjT5_SW_jjP12ihipStream_tbEUlT_E2_NS1_11comp_targetILNS1_3genE4ELNS1_11target_archE910ELNS1_3gpuE8ELNS1_3repE0EEENS1_30default_config_static_selectorELNS0_4arch9wavefront6targetE0EEEvSK_, .Lfunc_end216-_ZN7rocprim17ROCPRIM_400000_NS6detail17trampoline_kernelINS0_14default_configENS1_36segmented_radix_sort_config_selectorIhlEEZNS1_25segmented_radix_sort_implIS3_Lb0EPKhPhPKlPlN2at6native12_GLOBAL__N_18offset_tEEE10hipError_tPvRmT1_PNSt15iterator_traitsISK_E10value_typeET2_T3_PNSL_ISQ_E10value_typeET4_jRbjT5_SW_jjP12ihipStream_tbEUlT_E2_NS1_11comp_targetILNS1_3genE4ELNS1_11target_archE910ELNS1_3gpuE8ELNS1_3repE0EEENS1_30default_config_static_selectorELNS0_4arch9wavefront6targetE0EEEvSK_
                                        ; -- End function
	.set _ZN7rocprim17ROCPRIM_400000_NS6detail17trampoline_kernelINS0_14default_configENS1_36segmented_radix_sort_config_selectorIhlEEZNS1_25segmented_radix_sort_implIS3_Lb0EPKhPhPKlPlN2at6native12_GLOBAL__N_18offset_tEEE10hipError_tPvRmT1_PNSt15iterator_traitsISK_E10value_typeET2_T3_PNSL_ISQ_E10value_typeET4_jRbjT5_SW_jjP12ihipStream_tbEUlT_E2_NS1_11comp_targetILNS1_3genE4ELNS1_11target_archE910ELNS1_3gpuE8ELNS1_3repE0EEENS1_30default_config_static_selectorELNS0_4arch9wavefront6targetE0EEEvSK_.num_vgpr, 0
	.set _ZN7rocprim17ROCPRIM_400000_NS6detail17trampoline_kernelINS0_14default_configENS1_36segmented_radix_sort_config_selectorIhlEEZNS1_25segmented_radix_sort_implIS3_Lb0EPKhPhPKlPlN2at6native12_GLOBAL__N_18offset_tEEE10hipError_tPvRmT1_PNSt15iterator_traitsISK_E10value_typeET2_T3_PNSL_ISQ_E10value_typeET4_jRbjT5_SW_jjP12ihipStream_tbEUlT_E2_NS1_11comp_targetILNS1_3genE4ELNS1_11target_archE910ELNS1_3gpuE8ELNS1_3repE0EEENS1_30default_config_static_selectorELNS0_4arch9wavefront6targetE0EEEvSK_.num_agpr, 0
	.set _ZN7rocprim17ROCPRIM_400000_NS6detail17trampoline_kernelINS0_14default_configENS1_36segmented_radix_sort_config_selectorIhlEEZNS1_25segmented_radix_sort_implIS3_Lb0EPKhPhPKlPlN2at6native12_GLOBAL__N_18offset_tEEE10hipError_tPvRmT1_PNSt15iterator_traitsISK_E10value_typeET2_T3_PNSL_ISQ_E10value_typeET4_jRbjT5_SW_jjP12ihipStream_tbEUlT_E2_NS1_11comp_targetILNS1_3genE4ELNS1_11target_archE910ELNS1_3gpuE8ELNS1_3repE0EEENS1_30default_config_static_selectorELNS0_4arch9wavefront6targetE0EEEvSK_.numbered_sgpr, 0
	.set _ZN7rocprim17ROCPRIM_400000_NS6detail17trampoline_kernelINS0_14default_configENS1_36segmented_radix_sort_config_selectorIhlEEZNS1_25segmented_radix_sort_implIS3_Lb0EPKhPhPKlPlN2at6native12_GLOBAL__N_18offset_tEEE10hipError_tPvRmT1_PNSt15iterator_traitsISK_E10value_typeET2_T3_PNSL_ISQ_E10value_typeET4_jRbjT5_SW_jjP12ihipStream_tbEUlT_E2_NS1_11comp_targetILNS1_3genE4ELNS1_11target_archE910ELNS1_3gpuE8ELNS1_3repE0EEENS1_30default_config_static_selectorELNS0_4arch9wavefront6targetE0EEEvSK_.num_named_barrier, 0
	.set _ZN7rocprim17ROCPRIM_400000_NS6detail17trampoline_kernelINS0_14default_configENS1_36segmented_radix_sort_config_selectorIhlEEZNS1_25segmented_radix_sort_implIS3_Lb0EPKhPhPKlPlN2at6native12_GLOBAL__N_18offset_tEEE10hipError_tPvRmT1_PNSt15iterator_traitsISK_E10value_typeET2_T3_PNSL_ISQ_E10value_typeET4_jRbjT5_SW_jjP12ihipStream_tbEUlT_E2_NS1_11comp_targetILNS1_3genE4ELNS1_11target_archE910ELNS1_3gpuE8ELNS1_3repE0EEENS1_30default_config_static_selectorELNS0_4arch9wavefront6targetE0EEEvSK_.private_seg_size, 0
	.set _ZN7rocprim17ROCPRIM_400000_NS6detail17trampoline_kernelINS0_14default_configENS1_36segmented_radix_sort_config_selectorIhlEEZNS1_25segmented_radix_sort_implIS3_Lb0EPKhPhPKlPlN2at6native12_GLOBAL__N_18offset_tEEE10hipError_tPvRmT1_PNSt15iterator_traitsISK_E10value_typeET2_T3_PNSL_ISQ_E10value_typeET4_jRbjT5_SW_jjP12ihipStream_tbEUlT_E2_NS1_11comp_targetILNS1_3genE4ELNS1_11target_archE910ELNS1_3gpuE8ELNS1_3repE0EEENS1_30default_config_static_selectorELNS0_4arch9wavefront6targetE0EEEvSK_.uses_vcc, 0
	.set _ZN7rocprim17ROCPRIM_400000_NS6detail17trampoline_kernelINS0_14default_configENS1_36segmented_radix_sort_config_selectorIhlEEZNS1_25segmented_radix_sort_implIS3_Lb0EPKhPhPKlPlN2at6native12_GLOBAL__N_18offset_tEEE10hipError_tPvRmT1_PNSt15iterator_traitsISK_E10value_typeET2_T3_PNSL_ISQ_E10value_typeET4_jRbjT5_SW_jjP12ihipStream_tbEUlT_E2_NS1_11comp_targetILNS1_3genE4ELNS1_11target_archE910ELNS1_3gpuE8ELNS1_3repE0EEENS1_30default_config_static_selectorELNS0_4arch9wavefront6targetE0EEEvSK_.uses_flat_scratch, 0
	.set _ZN7rocprim17ROCPRIM_400000_NS6detail17trampoline_kernelINS0_14default_configENS1_36segmented_radix_sort_config_selectorIhlEEZNS1_25segmented_radix_sort_implIS3_Lb0EPKhPhPKlPlN2at6native12_GLOBAL__N_18offset_tEEE10hipError_tPvRmT1_PNSt15iterator_traitsISK_E10value_typeET2_T3_PNSL_ISQ_E10value_typeET4_jRbjT5_SW_jjP12ihipStream_tbEUlT_E2_NS1_11comp_targetILNS1_3genE4ELNS1_11target_archE910ELNS1_3gpuE8ELNS1_3repE0EEENS1_30default_config_static_selectorELNS0_4arch9wavefront6targetE0EEEvSK_.has_dyn_sized_stack, 0
	.set _ZN7rocprim17ROCPRIM_400000_NS6detail17trampoline_kernelINS0_14default_configENS1_36segmented_radix_sort_config_selectorIhlEEZNS1_25segmented_radix_sort_implIS3_Lb0EPKhPhPKlPlN2at6native12_GLOBAL__N_18offset_tEEE10hipError_tPvRmT1_PNSt15iterator_traitsISK_E10value_typeET2_T3_PNSL_ISQ_E10value_typeET4_jRbjT5_SW_jjP12ihipStream_tbEUlT_E2_NS1_11comp_targetILNS1_3genE4ELNS1_11target_archE910ELNS1_3gpuE8ELNS1_3repE0EEENS1_30default_config_static_selectorELNS0_4arch9wavefront6targetE0EEEvSK_.has_recursion, 0
	.set _ZN7rocprim17ROCPRIM_400000_NS6detail17trampoline_kernelINS0_14default_configENS1_36segmented_radix_sort_config_selectorIhlEEZNS1_25segmented_radix_sort_implIS3_Lb0EPKhPhPKlPlN2at6native12_GLOBAL__N_18offset_tEEE10hipError_tPvRmT1_PNSt15iterator_traitsISK_E10value_typeET2_T3_PNSL_ISQ_E10value_typeET4_jRbjT5_SW_jjP12ihipStream_tbEUlT_E2_NS1_11comp_targetILNS1_3genE4ELNS1_11target_archE910ELNS1_3gpuE8ELNS1_3repE0EEENS1_30default_config_static_selectorELNS0_4arch9wavefront6targetE0EEEvSK_.has_indirect_call, 0
	.section	.AMDGPU.csdata,"",@progbits
; Kernel info:
; codeLenInByte = 0
; TotalNumSgprs: 0
; NumVgprs: 0
; ScratchSize: 0
; MemoryBound: 0
; FloatMode: 240
; IeeeMode: 1
; LDSByteSize: 0 bytes/workgroup (compile time only)
; SGPRBlocks: 0
; VGPRBlocks: 0
; NumSGPRsForWavesPerEU: 1
; NumVGPRsForWavesPerEU: 1
; Occupancy: 16
; WaveLimiterHint : 0
; COMPUTE_PGM_RSRC2:SCRATCH_EN: 0
; COMPUTE_PGM_RSRC2:USER_SGPR: 6
; COMPUTE_PGM_RSRC2:TRAP_HANDLER: 0
; COMPUTE_PGM_RSRC2:TGID_X_EN: 1
; COMPUTE_PGM_RSRC2:TGID_Y_EN: 0
; COMPUTE_PGM_RSRC2:TGID_Z_EN: 0
; COMPUTE_PGM_RSRC2:TIDIG_COMP_CNT: 0
	.section	.text._ZN7rocprim17ROCPRIM_400000_NS6detail17trampoline_kernelINS0_14default_configENS1_36segmented_radix_sort_config_selectorIhlEEZNS1_25segmented_radix_sort_implIS3_Lb0EPKhPhPKlPlN2at6native12_GLOBAL__N_18offset_tEEE10hipError_tPvRmT1_PNSt15iterator_traitsISK_E10value_typeET2_T3_PNSL_ISQ_E10value_typeET4_jRbjT5_SW_jjP12ihipStream_tbEUlT_E2_NS1_11comp_targetILNS1_3genE3ELNS1_11target_archE908ELNS1_3gpuE7ELNS1_3repE0EEENS1_30default_config_static_selectorELNS0_4arch9wavefront6targetE0EEEvSK_,"axG",@progbits,_ZN7rocprim17ROCPRIM_400000_NS6detail17trampoline_kernelINS0_14default_configENS1_36segmented_radix_sort_config_selectorIhlEEZNS1_25segmented_radix_sort_implIS3_Lb0EPKhPhPKlPlN2at6native12_GLOBAL__N_18offset_tEEE10hipError_tPvRmT1_PNSt15iterator_traitsISK_E10value_typeET2_T3_PNSL_ISQ_E10value_typeET4_jRbjT5_SW_jjP12ihipStream_tbEUlT_E2_NS1_11comp_targetILNS1_3genE3ELNS1_11target_archE908ELNS1_3gpuE7ELNS1_3repE0EEENS1_30default_config_static_selectorELNS0_4arch9wavefront6targetE0EEEvSK_,comdat
	.globl	_ZN7rocprim17ROCPRIM_400000_NS6detail17trampoline_kernelINS0_14default_configENS1_36segmented_radix_sort_config_selectorIhlEEZNS1_25segmented_radix_sort_implIS3_Lb0EPKhPhPKlPlN2at6native12_GLOBAL__N_18offset_tEEE10hipError_tPvRmT1_PNSt15iterator_traitsISK_E10value_typeET2_T3_PNSL_ISQ_E10value_typeET4_jRbjT5_SW_jjP12ihipStream_tbEUlT_E2_NS1_11comp_targetILNS1_3genE3ELNS1_11target_archE908ELNS1_3gpuE7ELNS1_3repE0EEENS1_30default_config_static_selectorELNS0_4arch9wavefront6targetE0EEEvSK_ ; -- Begin function _ZN7rocprim17ROCPRIM_400000_NS6detail17trampoline_kernelINS0_14default_configENS1_36segmented_radix_sort_config_selectorIhlEEZNS1_25segmented_radix_sort_implIS3_Lb0EPKhPhPKlPlN2at6native12_GLOBAL__N_18offset_tEEE10hipError_tPvRmT1_PNSt15iterator_traitsISK_E10value_typeET2_T3_PNSL_ISQ_E10value_typeET4_jRbjT5_SW_jjP12ihipStream_tbEUlT_E2_NS1_11comp_targetILNS1_3genE3ELNS1_11target_archE908ELNS1_3gpuE7ELNS1_3repE0EEENS1_30default_config_static_selectorELNS0_4arch9wavefront6targetE0EEEvSK_
	.p2align	8
	.type	_ZN7rocprim17ROCPRIM_400000_NS6detail17trampoline_kernelINS0_14default_configENS1_36segmented_radix_sort_config_selectorIhlEEZNS1_25segmented_radix_sort_implIS3_Lb0EPKhPhPKlPlN2at6native12_GLOBAL__N_18offset_tEEE10hipError_tPvRmT1_PNSt15iterator_traitsISK_E10value_typeET2_T3_PNSL_ISQ_E10value_typeET4_jRbjT5_SW_jjP12ihipStream_tbEUlT_E2_NS1_11comp_targetILNS1_3genE3ELNS1_11target_archE908ELNS1_3gpuE7ELNS1_3repE0EEENS1_30default_config_static_selectorELNS0_4arch9wavefront6targetE0EEEvSK_,@function
_ZN7rocprim17ROCPRIM_400000_NS6detail17trampoline_kernelINS0_14default_configENS1_36segmented_radix_sort_config_selectorIhlEEZNS1_25segmented_radix_sort_implIS3_Lb0EPKhPhPKlPlN2at6native12_GLOBAL__N_18offset_tEEE10hipError_tPvRmT1_PNSt15iterator_traitsISK_E10value_typeET2_T3_PNSL_ISQ_E10value_typeET4_jRbjT5_SW_jjP12ihipStream_tbEUlT_E2_NS1_11comp_targetILNS1_3genE3ELNS1_11target_archE908ELNS1_3gpuE7ELNS1_3repE0EEENS1_30default_config_static_selectorELNS0_4arch9wavefront6targetE0EEEvSK_: ; @_ZN7rocprim17ROCPRIM_400000_NS6detail17trampoline_kernelINS0_14default_configENS1_36segmented_radix_sort_config_selectorIhlEEZNS1_25segmented_radix_sort_implIS3_Lb0EPKhPhPKlPlN2at6native12_GLOBAL__N_18offset_tEEE10hipError_tPvRmT1_PNSt15iterator_traitsISK_E10value_typeET2_T3_PNSL_ISQ_E10value_typeET4_jRbjT5_SW_jjP12ihipStream_tbEUlT_E2_NS1_11comp_targetILNS1_3genE3ELNS1_11target_archE908ELNS1_3gpuE7ELNS1_3repE0EEENS1_30default_config_static_selectorELNS0_4arch9wavefront6targetE0EEEvSK_
; %bb.0:
	.section	.rodata,"a",@progbits
	.p2align	6, 0x0
	.amdhsa_kernel _ZN7rocprim17ROCPRIM_400000_NS6detail17trampoline_kernelINS0_14default_configENS1_36segmented_radix_sort_config_selectorIhlEEZNS1_25segmented_radix_sort_implIS3_Lb0EPKhPhPKlPlN2at6native12_GLOBAL__N_18offset_tEEE10hipError_tPvRmT1_PNSt15iterator_traitsISK_E10value_typeET2_T3_PNSL_ISQ_E10value_typeET4_jRbjT5_SW_jjP12ihipStream_tbEUlT_E2_NS1_11comp_targetILNS1_3genE3ELNS1_11target_archE908ELNS1_3gpuE7ELNS1_3repE0EEENS1_30default_config_static_selectorELNS0_4arch9wavefront6targetE0EEEvSK_
		.amdhsa_group_segment_fixed_size 0
		.amdhsa_private_segment_fixed_size 0
		.amdhsa_kernarg_size 80
		.amdhsa_user_sgpr_count 6
		.amdhsa_user_sgpr_private_segment_buffer 1
		.amdhsa_user_sgpr_dispatch_ptr 0
		.amdhsa_user_sgpr_queue_ptr 0
		.amdhsa_user_sgpr_kernarg_segment_ptr 1
		.amdhsa_user_sgpr_dispatch_id 0
		.amdhsa_user_sgpr_flat_scratch_init 0
		.amdhsa_user_sgpr_private_segment_size 0
		.amdhsa_wavefront_size32 1
		.amdhsa_uses_dynamic_stack 0
		.amdhsa_system_sgpr_private_segment_wavefront_offset 0
		.amdhsa_system_sgpr_workgroup_id_x 1
		.amdhsa_system_sgpr_workgroup_id_y 0
		.amdhsa_system_sgpr_workgroup_id_z 0
		.amdhsa_system_sgpr_workgroup_info 0
		.amdhsa_system_vgpr_workitem_id 0
		.amdhsa_next_free_vgpr 1
		.amdhsa_next_free_sgpr 1
		.amdhsa_reserve_vcc 0
		.amdhsa_reserve_flat_scratch 0
		.amdhsa_float_round_mode_32 0
		.amdhsa_float_round_mode_16_64 0
		.amdhsa_float_denorm_mode_32 3
		.amdhsa_float_denorm_mode_16_64 3
		.amdhsa_dx10_clamp 1
		.amdhsa_ieee_mode 1
		.amdhsa_fp16_overflow 0
		.amdhsa_workgroup_processor_mode 1
		.amdhsa_memory_ordered 1
		.amdhsa_forward_progress 1
		.amdhsa_shared_vgpr_count 0
		.amdhsa_exception_fp_ieee_invalid_op 0
		.amdhsa_exception_fp_denorm_src 0
		.amdhsa_exception_fp_ieee_div_zero 0
		.amdhsa_exception_fp_ieee_overflow 0
		.amdhsa_exception_fp_ieee_underflow 0
		.amdhsa_exception_fp_ieee_inexact 0
		.amdhsa_exception_int_div_zero 0
	.end_amdhsa_kernel
	.section	.text._ZN7rocprim17ROCPRIM_400000_NS6detail17trampoline_kernelINS0_14default_configENS1_36segmented_radix_sort_config_selectorIhlEEZNS1_25segmented_radix_sort_implIS3_Lb0EPKhPhPKlPlN2at6native12_GLOBAL__N_18offset_tEEE10hipError_tPvRmT1_PNSt15iterator_traitsISK_E10value_typeET2_T3_PNSL_ISQ_E10value_typeET4_jRbjT5_SW_jjP12ihipStream_tbEUlT_E2_NS1_11comp_targetILNS1_3genE3ELNS1_11target_archE908ELNS1_3gpuE7ELNS1_3repE0EEENS1_30default_config_static_selectorELNS0_4arch9wavefront6targetE0EEEvSK_,"axG",@progbits,_ZN7rocprim17ROCPRIM_400000_NS6detail17trampoline_kernelINS0_14default_configENS1_36segmented_radix_sort_config_selectorIhlEEZNS1_25segmented_radix_sort_implIS3_Lb0EPKhPhPKlPlN2at6native12_GLOBAL__N_18offset_tEEE10hipError_tPvRmT1_PNSt15iterator_traitsISK_E10value_typeET2_T3_PNSL_ISQ_E10value_typeET4_jRbjT5_SW_jjP12ihipStream_tbEUlT_E2_NS1_11comp_targetILNS1_3genE3ELNS1_11target_archE908ELNS1_3gpuE7ELNS1_3repE0EEENS1_30default_config_static_selectorELNS0_4arch9wavefront6targetE0EEEvSK_,comdat
.Lfunc_end217:
	.size	_ZN7rocprim17ROCPRIM_400000_NS6detail17trampoline_kernelINS0_14default_configENS1_36segmented_radix_sort_config_selectorIhlEEZNS1_25segmented_radix_sort_implIS3_Lb0EPKhPhPKlPlN2at6native12_GLOBAL__N_18offset_tEEE10hipError_tPvRmT1_PNSt15iterator_traitsISK_E10value_typeET2_T3_PNSL_ISQ_E10value_typeET4_jRbjT5_SW_jjP12ihipStream_tbEUlT_E2_NS1_11comp_targetILNS1_3genE3ELNS1_11target_archE908ELNS1_3gpuE7ELNS1_3repE0EEENS1_30default_config_static_selectorELNS0_4arch9wavefront6targetE0EEEvSK_, .Lfunc_end217-_ZN7rocprim17ROCPRIM_400000_NS6detail17trampoline_kernelINS0_14default_configENS1_36segmented_radix_sort_config_selectorIhlEEZNS1_25segmented_radix_sort_implIS3_Lb0EPKhPhPKlPlN2at6native12_GLOBAL__N_18offset_tEEE10hipError_tPvRmT1_PNSt15iterator_traitsISK_E10value_typeET2_T3_PNSL_ISQ_E10value_typeET4_jRbjT5_SW_jjP12ihipStream_tbEUlT_E2_NS1_11comp_targetILNS1_3genE3ELNS1_11target_archE908ELNS1_3gpuE7ELNS1_3repE0EEENS1_30default_config_static_selectorELNS0_4arch9wavefront6targetE0EEEvSK_
                                        ; -- End function
	.set _ZN7rocprim17ROCPRIM_400000_NS6detail17trampoline_kernelINS0_14default_configENS1_36segmented_radix_sort_config_selectorIhlEEZNS1_25segmented_radix_sort_implIS3_Lb0EPKhPhPKlPlN2at6native12_GLOBAL__N_18offset_tEEE10hipError_tPvRmT1_PNSt15iterator_traitsISK_E10value_typeET2_T3_PNSL_ISQ_E10value_typeET4_jRbjT5_SW_jjP12ihipStream_tbEUlT_E2_NS1_11comp_targetILNS1_3genE3ELNS1_11target_archE908ELNS1_3gpuE7ELNS1_3repE0EEENS1_30default_config_static_selectorELNS0_4arch9wavefront6targetE0EEEvSK_.num_vgpr, 0
	.set _ZN7rocprim17ROCPRIM_400000_NS6detail17trampoline_kernelINS0_14default_configENS1_36segmented_radix_sort_config_selectorIhlEEZNS1_25segmented_radix_sort_implIS3_Lb0EPKhPhPKlPlN2at6native12_GLOBAL__N_18offset_tEEE10hipError_tPvRmT1_PNSt15iterator_traitsISK_E10value_typeET2_T3_PNSL_ISQ_E10value_typeET4_jRbjT5_SW_jjP12ihipStream_tbEUlT_E2_NS1_11comp_targetILNS1_3genE3ELNS1_11target_archE908ELNS1_3gpuE7ELNS1_3repE0EEENS1_30default_config_static_selectorELNS0_4arch9wavefront6targetE0EEEvSK_.num_agpr, 0
	.set _ZN7rocprim17ROCPRIM_400000_NS6detail17trampoline_kernelINS0_14default_configENS1_36segmented_radix_sort_config_selectorIhlEEZNS1_25segmented_radix_sort_implIS3_Lb0EPKhPhPKlPlN2at6native12_GLOBAL__N_18offset_tEEE10hipError_tPvRmT1_PNSt15iterator_traitsISK_E10value_typeET2_T3_PNSL_ISQ_E10value_typeET4_jRbjT5_SW_jjP12ihipStream_tbEUlT_E2_NS1_11comp_targetILNS1_3genE3ELNS1_11target_archE908ELNS1_3gpuE7ELNS1_3repE0EEENS1_30default_config_static_selectorELNS0_4arch9wavefront6targetE0EEEvSK_.numbered_sgpr, 0
	.set _ZN7rocprim17ROCPRIM_400000_NS6detail17trampoline_kernelINS0_14default_configENS1_36segmented_radix_sort_config_selectorIhlEEZNS1_25segmented_radix_sort_implIS3_Lb0EPKhPhPKlPlN2at6native12_GLOBAL__N_18offset_tEEE10hipError_tPvRmT1_PNSt15iterator_traitsISK_E10value_typeET2_T3_PNSL_ISQ_E10value_typeET4_jRbjT5_SW_jjP12ihipStream_tbEUlT_E2_NS1_11comp_targetILNS1_3genE3ELNS1_11target_archE908ELNS1_3gpuE7ELNS1_3repE0EEENS1_30default_config_static_selectorELNS0_4arch9wavefront6targetE0EEEvSK_.num_named_barrier, 0
	.set _ZN7rocprim17ROCPRIM_400000_NS6detail17trampoline_kernelINS0_14default_configENS1_36segmented_radix_sort_config_selectorIhlEEZNS1_25segmented_radix_sort_implIS3_Lb0EPKhPhPKlPlN2at6native12_GLOBAL__N_18offset_tEEE10hipError_tPvRmT1_PNSt15iterator_traitsISK_E10value_typeET2_T3_PNSL_ISQ_E10value_typeET4_jRbjT5_SW_jjP12ihipStream_tbEUlT_E2_NS1_11comp_targetILNS1_3genE3ELNS1_11target_archE908ELNS1_3gpuE7ELNS1_3repE0EEENS1_30default_config_static_selectorELNS0_4arch9wavefront6targetE0EEEvSK_.private_seg_size, 0
	.set _ZN7rocprim17ROCPRIM_400000_NS6detail17trampoline_kernelINS0_14default_configENS1_36segmented_radix_sort_config_selectorIhlEEZNS1_25segmented_radix_sort_implIS3_Lb0EPKhPhPKlPlN2at6native12_GLOBAL__N_18offset_tEEE10hipError_tPvRmT1_PNSt15iterator_traitsISK_E10value_typeET2_T3_PNSL_ISQ_E10value_typeET4_jRbjT5_SW_jjP12ihipStream_tbEUlT_E2_NS1_11comp_targetILNS1_3genE3ELNS1_11target_archE908ELNS1_3gpuE7ELNS1_3repE0EEENS1_30default_config_static_selectorELNS0_4arch9wavefront6targetE0EEEvSK_.uses_vcc, 0
	.set _ZN7rocprim17ROCPRIM_400000_NS6detail17trampoline_kernelINS0_14default_configENS1_36segmented_radix_sort_config_selectorIhlEEZNS1_25segmented_radix_sort_implIS3_Lb0EPKhPhPKlPlN2at6native12_GLOBAL__N_18offset_tEEE10hipError_tPvRmT1_PNSt15iterator_traitsISK_E10value_typeET2_T3_PNSL_ISQ_E10value_typeET4_jRbjT5_SW_jjP12ihipStream_tbEUlT_E2_NS1_11comp_targetILNS1_3genE3ELNS1_11target_archE908ELNS1_3gpuE7ELNS1_3repE0EEENS1_30default_config_static_selectorELNS0_4arch9wavefront6targetE0EEEvSK_.uses_flat_scratch, 0
	.set _ZN7rocprim17ROCPRIM_400000_NS6detail17trampoline_kernelINS0_14default_configENS1_36segmented_radix_sort_config_selectorIhlEEZNS1_25segmented_radix_sort_implIS3_Lb0EPKhPhPKlPlN2at6native12_GLOBAL__N_18offset_tEEE10hipError_tPvRmT1_PNSt15iterator_traitsISK_E10value_typeET2_T3_PNSL_ISQ_E10value_typeET4_jRbjT5_SW_jjP12ihipStream_tbEUlT_E2_NS1_11comp_targetILNS1_3genE3ELNS1_11target_archE908ELNS1_3gpuE7ELNS1_3repE0EEENS1_30default_config_static_selectorELNS0_4arch9wavefront6targetE0EEEvSK_.has_dyn_sized_stack, 0
	.set _ZN7rocprim17ROCPRIM_400000_NS6detail17trampoline_kernelINS0_14default_configENS1_36segmented_radix_sort_config_selectorIhlEEZNS1_25segmented_radix_sort_implIS3_Lb0EPKhPhPKlPlN2at6native12_GLOBAL__N_18offset_tEEE10hipError_tPvRmT1_PNSt15iterator_traitsISK_E10value_typeET2_T3_PNSL_ISQ_E10value_typeET4_jRbjT5_SW_jjP12ihipStream_tbEUlT_E2_NS1_11comp_targetILNS1_3genE3ELNS1_11target_archE908ELNS1_3gpuE7ELNS1_3repE0EEENS1_30default_config_static_selectorELNS0_4arch9wavefront6targetE0EEEvSK_.has_recursion, 0
	.set _ZN7rocprim17ROCPRIM_400000_NS6detail17trampoline_kernelINS0_14default_configENS1_36segmented_radix_sort_config_selectorIhlEEZNS1_25segmented_radix_sort_implIS3_Lb0EPKhPhPKlPlN2at6native12_GLOBAL__N_18offset_tEEE10hipError_tPvRmT1_PNSt15iterator_traitsISK_E10value_typeET2_T3_PNSL_ISQ_E10value_typeET4_jRbjT5_SW_jjP12ihipStream_tbEUlT_E2_NS1_11comp_targetILNS1_3genE3ELNS1_11target_archE908ELNS1_3gpuE7ELNS1_3repE0EEENS1_30default_config_static_selectorELNS0_4arch9wavefront6targetE0EEEvSK_.has_indirect_call, 0
	.section	.AMDGPU.csdata,"",@progbits
; Kernel info:
; codeLenInByte = 0
; TotalNumSgprs: 0
; NumVgprs: 0
; ScratchSize: 0
; MemoryBound: 0
; FloatMode: 240
; IeeeMode: 1
; LDSByteSize: 0 bytes/workgroup (compile time only)
; SGPRBlocks: 0
; VGPRBlocks: 0
; NumSGPRsForWavesPerEU: 1
; NumVGPRsForWavesPerEU: 1
; Occupancy: 16
; WaveLimiterHint : 0
; COMPUTE_PGM_RSRC2:SCRATCH_EN: 0
; COMPUTE_PGM_RSRC2:USER_SGPR: 6
; COMPUTE_PGM_RSRC2:TRAP_HANDLER: 0
; COMPUTE_PGM_RSRC2:TGID_X_EN: 1
; COMPUTE_PGM_RSRC2:TGID_Y_EN: 0
; COMPUTE_PGM_RSRC2:TGID_Z_EN: 0
; COMPUTE_PGM_RSRC2:TIDIG_COMP_CNT: 0
	.section	.text._ZN7rocprim17ROCPRIM_400000_NS6detail17trampoline_kernelINS0_14default_configENS1_36segmented_radix_sort_config_selectorIhlEEZNS1_25segmented_radix_sort_implIS3_Lb0EPKhPhPKlPlN2at6native12_GLOBAL__N_18offset_tEEE10hipError_tPvRmT1_PNSt15iterator_traitsISK_E10value_typeET2_T3_PNSL_ISQ_E10value_typeET4_jRbjT5_SW_jjP12ihipStream_tbEUlT_E2_NS1_11comp_targetILNS1_3genE2ELNS1_11target_archE906ELNS1_3gpuE6ELNS1_3repE0EEENS1_30default_config_static_selectorELNS0_4arch9wavefront6targetE0EEEvSK_,"axG",@progbits,_ZN7rocprim17ROCPRIM_400000_NS6detail17trampoline_kernelINS0_14default_configENS1_36segmented_radix_sort_config_selectorIhlEEZNS1_25segmented_radix_sort_implIS3_Lb0EPKhPhPKlPlN2at6native12_GLOBAL__N_18offset_tEEE10hipError_tPvRmT1_PNSt15iterator_traitsISK_E10value_typeET2_T3_PNSL_ISQ_E10value_typeET4_jRbjT5_SW_jjP12ihipStream_tbEUlT_E2_NS1_11comp_targetILNS1_3genE2ELNS1_11target_archE906ELNS1_3gpuE6ELNS1_3repE0EEENS1_30default_config_static_selectorELNS0_4arch9wavefront6targetE0EEEvSK_,comdat
	.globl	_ZN7rocprim17ROCPRIM_400000_NS6detail17trampoline_kernelINS0_14default_configENS1_36segmented_radix_sort_config_selectorIhlEEZNS1_25segmented_radix_sort_implIS3_Lb0EPKhPhPKlPlN2at6native12_GLOBAL__N_18offset_tEEE10hipError_tPvRmT1_PNSt15iterator_traitsISK_E10value_typeET2_T3_PNSL_ISQ_E10value_typeET4_jRbjT5_SW_jjP12ihipStream_tbEUlT_E2_NS1_11comp_targetILNS1_3genE2ELNS1_11target_archE906ELNS1_3gpuE6ELNS1_3repE0EEENS1_30default_config_static_selectorELNS0_4arch9wavefront6targetE0EEEvSK_ ; -- Begin function _ZN7rocprim17ROCPRIM_400000_NS6detail17trampoline_kernelINS0_14default_configENS1_36segmented_radix_sort_config_selectorIhlEEZNS1_25segmented_radix_sort_implIS3_Lb0EPKhPhPKlPlN2at6native12_GLOBAL__N_18offset_tEEE10hipError_tPvRmT1_PNSt15iterator_traitsISK_E10value_typeET2_T3_PNSL_ISQ_E10value_typeET4_jRbjT5_SW_jjP12ihipStream_tbEUlT_E2_NS1_11comp_targetILNS1_3genE2ELNS1_11target_archE906ELNS1_3gpuE6ELNS1_3repE0EEENS1_30default_config_static_selectorELNS0_4arch9wavefront6targetE0EEEvSK_
	.p2align	8
	.type	_ZN7rocprim17ROCPRIM_400000_NS6detail17trampoline_kernelINS0_14default_configENS1_36segmented_radix_sort_config_selectorIhlEEZNS1_25segmented_radix_sort_implIS3_Lb0EPKhPhPKlPlN2at6native12_GLOBAL__N_18offset_tEEE10hipError_tPvRmT1_PNSt15iterator_traitsISK_E10value_typeET2_T3_PNSL_ISQ_E10value_typeET4_jRbjT5_SW_jjP12ihipStream_tbEUlT_E2_NS1_11comp_targetILNS1_3genE2ELNS1_11target_archE906ELNS1_3gpuE6ELNS1_3repE0EEENS1_30default_config_static_selectorELNS0_4arch9wavefront6targetE0EEEvSK_,@function
_ZN7rocprim17ROCPRIM_400000_NS6detail17trampoline_kernelINS0_14default_configENS1_36segmented_radix_sort_config_selectorIhlEEZNS1_25segmented_radix_sort_implIS3_Lb0EPKhPhPKlPlN2at6native12_GLOBAL__N_18offset_tEEE10hipError_tPvRmT1_PNSt15iterator_traitsISK_E10value_typeET2_T3_PNSL_ISQ_E10value_typeET4_jRbjT5_SW_jjP12ihipStream_tbEUlT_E2_NS1_11comp_targetILNS1_3genE2ELNS1_11target_archE906ELNS1_3gpuE6ELNS1_3repE0EEENS1_30default_config_static_selectorELNS0_4arch9wavefront6targetE0EEEvSK_: ; @_ZN7rocprim17ROCPRIM_400000_NS6detail17trampoline_kernelINS0_14default_configENS1_36segmented_radix_sort_config_selectorIhlEEZNS1_25segmented_radix_sort_implIS3_Lb0EPKhPhPKlPlN2at6native12_GLOBAL__N_18offset_tEEE10hipError_tPvRmT1_PNSt15iterator_traitsISK_E10value_typeET2_T3_PNSL_ISQ_E10value_typeET4_jRbjT5_SW_jjP12ihipStream_tbEUlT_E2_NS1_11comp_targetILNS1_3genE2ELNS1_11target_archE906ELNS1_3gpuE6ELNS1_3repE0EEENS1_30default_config_static_selectorELNS0_4arch9wavefront6targetE0EEEvSK_
; %bb.0:
	.section	.rodata,"a",@progbits
	.p2align	6, 0x0
	.amdhsa_kernel _ZN7rocprim17ROCPRIM_400000_NS6detail17trampoline_kernelINS0_14default_configENS1_36segmented_radix_sort_config_selectorIhlEEZNS1_25segmented_radix_sort_implIS3_Lb0EPKhPhPKlPlN2at6native12_GLOBAL__N_18offset_tEEE10hipError_tPvRmT1_PNSt15iterator_traitsISK_E10value_typeET2_T3_PNSL_ISQ_E10value_typeET4_jRbjT5_SW_jjP12ihipStream_tbEUlT_E2_NS1_11comp_targetILNS1_3genE2ELNS1_11target_archE906ELNS1_3gpuE6ELNS1_3repE0EEENS1_30default_config_static_selectorELNS0_4arch9wavefront6targetE0EEEvSK_
		.amdhsa_group_segment_fixed_size 0
		.amdhsa_private_segment_fixed_size 0
		.amdhsa_kernarg_size 80
		.amdhsa_user_sgpr_count 6
		.amdhsa_user_sgpr_private_segment_buffer 1
		.amdhsa_user_sgpr_dispatch_ptr 0
		.amdhsa_user_sgpr_queue_ptr 0
		.amdhsa_user_sgpr_kernarg_segment_ptr 1
		.amdhsa_user_sgpr_dispatch_id 0
		.amdhsa_user_sgpr_flat_scratch_init 0
		.amdhsa_user_sgpr_private_segment_size 0
		.amdhsa_wavefront_size32 1
		.amdhsa_uses_dynamic_stack 0
		.amdhsa_system_sgpr_private_segment_wavefront_offset 0
		.amdhsa_system_sgpr_workgroup_id_x 1
		.amdhsa_system_sgpr_workgroup_id_y 0
		.amdhsa_system_sgpr_workgroup_id_z 0
		.amdhsa_system_sgpr_workgroup_info 0
		.amdhsa_system_vgpr_workitem_id 0
		.amdhsa_next_free_vgpr 1
		.amdhsa_next_free_sgpr 1
		.amdhsa_reserve_vcc 0
		.amdhsa_reserve_flat_scratch 0
		.amdhsa_float_round_mode_32 0
		.amdhsa_float_round_mode_16_64 0
		.amdhsa_float_denorm_mode_32 3
		.amdhsa_float_denorm_mode_16_64 3
		.amdhsa_dx10_clamp 1
		.amdhsa_ieee_mode 1
		.amdhsa_fp16_overflow 0
		.amdhsa_workgroup_processor_mode 1
		.amdhsa_memory_ordered 1
		.amdhsa_forward_progress 1
		.amdhsa_shared_vgpr_count 0
		.amdhsa_exception_fp_ieee_invalid_op 0
		.amdhsa_exception_fp_denorm_src 0
		.amdhsa_exception_fp_ieee_div_zero 0
		.amdhsa_exception_fp_ieee_overflow 0
		.amdhsa_exception_fp_ieee_underflow 0
		.amdhsa_exception_fp_ieee_inexact 0
		.amdhsa_exception_int_div_zero 0
	.end_amdhsa_kernel
	.section	.text._ZN7rocprim17ROCPRIM_400000_NS6detail17trampoline_kernelINS0_14default_configENS1_36segmented_radix_sort_config_selectorIhlEEZNS1_25segmented_radix_sort_implIS3_Lb0EPKhPhPKlPlN2at6native12_GLOBAL__N_18offset_tEEE10hipError_tPvRmT1_PNSt15iterator_traitsISK_E10value_typeET2_T3_PNSL_ISQ_E10value_typeET4_jRbjT5_SW_jjP12ihipStream_tbEUlT_E2_NS1_11comp_targetILNS1_3genE2ELNS1_11target_archE906ELNS1_3gpuE6ELNS1_3repE0EEENS1_30default_config_static_selectorELNS0_4arch9wavefront6targetE0EEEvSK_,"axG",@progbits,_ZN7rocprim17ROCPRIM_400000_NS6detail17trampoline_kernelINS0_14default_configENS1_36segmented_radix_sort_config_selectorIhlEEZNS1_25segmented_radix_sort_implIS3_Lb0EPKhPhPKlPlN2at6native12_GLOBAL__N_18offset_tEEE10hipError_tPvRmT1_PNSt15iterator_traitsISK_E10value_typeET2_T3_PNSL_ISQ_E10value_typeET4_jRbjT5_SW_jjP12ihipStream_tbEUlT_E2_NS1_11comp_targetILNS1_3genE2ELNS1_11target_archE906ELNS1_3gpuE6ELNS1_3repE0EEENS1_30default_config_static_selectorELNS0_4arch9wavefront6targetE0EEEvSK_,comdat
.Lfunc_end218:
	.size	_ZN7rocprim17ROCPRIM_400000_NS6detail17trampoline_kernelINS0_14default_configENS1_36segmented_radix_sort_config_selectorIhlEEZNS1_25segmented_radix_sort_implIS3_Lb0EPKhPhPKlPlN2at6native12_GLOBAL__N_18offset_tEEE10hipError_tPvRmT1_PNSt15iterator_traitsISK_E10value_typeET2_T3_PNSL_ISQ_E10value_typeET4_jRbjT5_SW_jjP12ihipStream_tbEUlT_E2_NS1_11comp_targetILNS1_3genE2ELNS1_11target_archE906ELNS1_3gpuE6ELNS1_3repE0EEENS1_30default_config_static_selectorELNS0_4arch9wavefront6targetE0EEEvSK_, .Lfunc_end218-_ZN7rocprim17ROCPRIM_400000_NS6detail17trampoline_kernelINS0_14default_configENS1_36segmented_radix_sort_config_selectorIhlEEZNS1_25segmented_radix_sort_implIS3_Lb0EPKhPhPKlPlN2at6native12_GLOBAL__N_18offset_tEEE10hipError_tPvRmT1_PNSt15iterator_traitsISK_E10value_typeET2_T3_PNSL_ISQ_E10value_typeET4_jRbjT5_SW_jjP12ihipStream_tbEUlT_E2_NS1_11comp_targetILNS1_3genE2ELNS1_11target_archE906ELNS1_3gpuE6ELNS1_3repE0EEENS1_30default_config_static_selectorELNS0_4arch9wavefront6targetE0EEEvSK_
                                        ; -- End function
	.set _ZN7rocprim17ROCPRIM_400000_NS6detail17trampoline_kernelINS0_14default_configENS1_36segmented_radix_sort_config_selectorIhlEEZNS1_25segmented_radix_sort_implIS3_Lb0EPKhPhPKlPlN2at6native12_GLOBAL__N_18offset_tEEE10hipError_tPvRmT1_PNSt15iterator_traitsISK_E10value_typeET2_T3_PNSL_ISQ_E10value_typeET4_jRbjT5_SW_jjP12ihipStream_tbEUlT_E2_NS1_11comp_targetILNS1_3genE2ELNS1_11target_archE906ELNS1_3gpuE6ELNS1_3repE0EEENS1_30default_config_static_selectorELNS0_4arch9wavefront6targetE0EEEvSK_.num_vgpr, 0
	.set _ZN7rocprim17ROCPRIM_400000_NS6detail17trampoline_kernelINS0_14default_configENS1_36segmented_radix_sort_config_selectorIhlEEZNS1_25segmented_radix_sort_implIS3_Lb0EPKhPhPKlPlN2at6native12_GLOBAL__N_18offset_tEEE10hipError_tPvRmT1_PNSt15iterator_traitsISK_E10value_typeET2_T3_PNSL_ISQ_E10value_typeET4_jRbjT5_SW_jjP12ihipStream_tbEUlT_E2_NS1_11comp_targetILNS1_3genE2ELNS1_11target_archE906ELNS1_3gpuE6ELNS1_3repE0EEENS1_30default_config_static_selectorELNS0_4arch9wavefront6targetE0EEEvSK_.num_agpr, 0
	.set _ZN7rocprim17ROCPRIM_400000_NS6detail17trampoline_kernelINS0_14default_configENS1_36segmented_radix_sort_config_selectorIhlEEZNS1_25segmented_radix_sort_implIS3_Lb0EPKhPhPKlPlN2at6native12_GLOBAL__N_18offset_tEEE10hipError_tPvRmT1_PNSt15iterator_traitsISK_E10value_typeET2_T3_PNSL_ISQ_E10value_typeET4_jRbjT5_SW_jjP12ihipStream_tbEUlT_E2_NS1_11comp_targetILNS1_3genE2ELNS1_11target_archE906ELNS1_3gpuE6ELNS1_3repE0EEENS1_30default_config_static_selectorELNS0_4arch9wavefront6targetE0EEEvSK_.numbered_sgpr, 0
	.set _ZN7rocprim17ROCPRIM_400000_NS6detail17trampoline_kernelINS0_14default_configENS1_36segmented_radix_sort_config_selectorIhlEEZNS1_25segmented_radix_sort_implIS3_Lb0EPKhPhPKlPlN2at6native12_GLOBAL__N_18offset_tEEE10hipError_tPvRmT1_PNSt15iterator_traitsISK_E10value_typeET2_T3_PNSL_ISQ_E10value_typeET4_jRbjT5_SW_jjP12ihipStream_tbEUlT_E2_NS1_11comp_targetILNS1_3genE2ELNS1_11target_archE906ELNS1_3gpuE6ELNS1_3repE0EEENS1_30default_config_static_selectorELNS0_4arch9wavefront6targetE0EEEvSK_.num_named_barrier, 0
	.set _ZN7rocprim17ROCPRIM_400000_NS6detail17trampoline_kernelINS0_14default_configENS1_36segmented_radix_sort_config_selectorIhlEEZNS1_25segmented_radix_sort_implIS3_Lb0EPKhPhPKlPlN2at6native12_GLOBAL__N_18offset_tEEE10hipError_tPvRmT1_PNSt15iterator_traitsISK_E10value_typeET2_T3_PNSL_ISQ_E10value_typeET4_jRbjT5_SW_jjP12ihipStream_tbEUlT_E2_NS1_11comp_targetILNS1_3genE2ELNS1_11target_archE906ELNS1_3gpuE6ELNS1_3repE0EEENS1_30default_config_static_selectorELNS0_4arch9wavefront6targetE0EEEvSK_.private_seg_size, 0
	.set _ZN7rocprim17ROCPRIM_400000_NS6detail17trampoline_kernelINS0_14default_configENS1_36segmented_radix_sort_config_selectorIhlEEZNS1_25segmented_radix_sort_implIS3_Lb0EPKhPhPKlPlN2at6native12_GLOBAL__N_18offset_tEEE10hipError_tPvRmT1_PNSt15iterator_traitsISK_E10value_typeET2_T3_PNSL_ISQ_E10value_typeET4_jRbjT5_SW_jjP12ihipStream_tbEUlT_E2_NS1_11comp_targetILNS1_3genE2ELNS1_11target_archE906ELNS1_3gpuE6ELNS1_3repE0EEENS1_30default_config_static_selectorELNS0_4arch9wavefront6targetE0EEEvSK_.uses_vcc, 0
	.set _ZN7rocprim17ROCPRIM_400000_NS6detail17trampoline_kernelINS0_14default_configENS1_36segmented_radix_sort_config_selectorIhlEEZNS1_25segmented_radix_sort_implIS3_Lb0EPKhPhPKlPlN2at6native12_GLOBAL__N_18offset_tEEE10hipError_tPvRmT1_PNSt15iterator_traitsISK_E10value_typeET2_T3_PNSL_ISQ_E10value_typeET4_jRbjT5_SW_jjP12ihipStream_tbEUlT_E2_NS1_11comp_targetILNS1_3genE2ELNS1_11target_archE906ELNS1_3gpuE6ELNS1_3repE0EEENS1_30default_config_static_selectorELNS0_4arch9wavefront6targetE0EEEvSK_.uses_flat_scratch, 0
	.set _ZN7rocprim17ROCPRIM_400000_NS6detail17trampoline_kernelINS0_14default_configENS1_36segmented_radix_sort_config_selectorIhlEEZNS1_25segmented_radix_sort_implIS3_Lb0EPKhPhPKlPlN2at6native12_GLOBAL__N_18offset_tEEE10hipError_tPvRmT1_PNSt15iterator_traitsISK_E10value_typeET2_T3_PNSL_ISQ_E10value_typeET4_jRbjT5_SW_jjP12ihipStream_tbEUlT_E2_NS1_11comp_targetILNS1_3genE2ELNS1_11target_archE906ELNS1_3gpuE6ELNS1_3repE0EEENS1_30default_config_static_selectorELNS0_4arch9wavefront6targetE0EEEvSK_.has_dyn_sized_stack, 0
	.set _ZN7rocprim17ROCPRIM_400000_NS6detail17trampoline_kernelINS0_14default_configENS1_36segmented_radix_sort_config_selectorIhlEEZNS1_25segmented_radix_sort_implIS3_Lb0EPKhPhPKlPlN2at6native12_GLOBAL__N_18offset_tEEE10hipError_tPvRmT1_PNSt15iterator_traitsISK_E10value_typeET2_T3_PNSL_ISQ_E10value_typeET4_jRbjT5_SW_jjP12ihipStream_tbEUlT_E2_NS1_11comp_targetILNS1_3genE2ELNS1_11target_archE906ELNS1_3gpuE6ELNS1_3repE0EEENS1_30default_config_static_selectorELNS0_4arch9wavefront6targetE0EEEvSK_.has_recursion, 0
	.set _ZN7rocprim17ROCPRIM_400000_NS6detail17trampoline_kernelINS0_14default_configENS1_36segmented_radix_sort_config_selectorIhlEEZNS1_25segmented_radix_sort_implIS3_Lb0EPKhPhPKlPlN2at6native12_GLOBAL__N_18offset_tEEE10hipError_tPvRmT1_PNSt15iterator_traitsISK_E10value_typeET2_T3_PNSL_ISQ_E10value_typeET4_jRbjT5_SW_jjP12ihipStream_tbEUlT_E2_NS1_11comp_targetILNS1_3genE2ELNS1_11target_archE906ELNS1_3gpuE6ELNS1_3repE0EEENS1_30default_config_static_selectorELNS0_4arch9wavefront6targetE0EEEvSK_.has_indirect_call, 0
	.section	.AMDGPU.csdata,"",@progbits
; Kernel info:
; codeLenInByte = 0
; TotalNumSgprs: 0
; NumVgprs: 0
; ScratchSize: 0
; MemoryBound: 0
; FloatMode: 240
; IeeeMode: 1
; LDSByteSize: 0 bytes/workgroup (compile time only)
; SGPRBlocks: 0
; VGPRBlocks: 0
; NumSGPRsForWavesPerEU: 1
; NumVGPRsForWavesPerEU: 1
; Occupancy: 16
; WaveLimiterHint : 0
; COMPUTE_PGM_RSRC2:SCRATCH_EN: 0
; COMPUTE_PGM_RSRC2:USER_SGPR: 6
; COMPUTE_PGM_RSRC2:TRAP_HANDLER: 0
; COMPUTE_PGM_RSRC2:TGID_X_EN: 1
; COMPUTE_PGM_RSRC2:TGID_Y_EN: 0
; COMPUTE_PGM_RSRC2:TGID_Z_EN: 0
; COMPUTE_PGM_RSRC2:TIDIG_COMP_CNT: 0
	.section	.text._ZN7rocprim17ROCPRIM_400000_NS6detail17trampoline_kernelINS0_14default_configENS1_36segmented_radix_sort_config_selectorIhlEEZNS1_25segmented_radix_sort_implIS3_Lb0EPKhPhPKlPlN2at6native12_GLOBAL__N_18offset_tEEE10hipError_tPvRmT1_PNSt15iterator_traitsISK_E10value_typeET2_T3_PNSL_ISQ_E10value_typeET4_jRbjT5_SW_jjP12ihipStream_tbEUlT_E2_NS1_11comp_targetILNS1_3genE10ELNS1_11target_archE1201ELNS1_3gpuE5ELNS1_3repE0EEENS1_30default_config_static_selectorELNS0_4arch9wavefront6targetE0EEEvSK_,"axG",@progbits,_ZN7rocprim17ROCPRIM_400000_NS6detail17trampoline_kernelINS0_14default_configENS1_36segmented_radix_sort_config_selectorIhlEEZNS1_25segmented_radix_sort_implIS3_Lb0EPKhPhPKlPlN2at6native12_GLOBAL__N_18offset_tEEE10hipError_tPvRmT1_PNSt15iterator_traitsISK_E10value_typeET2_T3_PNSL_ISQ_E10value_typeET4_jRbjT5_SW_jjP12ihipStream_tbEUlT_E2_NS1_11comp_targetILNS1_3genE10ELNS1_11target_archE1201ELNS1_3gpuE5ELNS1_3repE0EEENS1_30default_config_static_selectorELNS0_4arch9wavefront6targetE0EEEvSK_,comdat
	.globl	_ZN7rocprim17ROCPRIM_400000_NS6detail17trampoline_kernelINS0_14default_configENS1_36segmented_radix_sort_config_selectorIhlEEZNS1_25segmented_radix_sort_implIS3_Lb0EPKhPhPKlPlN2at6native12_GLOBAL__N_18offset_tEEE10hipError_tPvRmT1_PNSt15iterator_traitsISK_E10value_typeET2_T3_PNSL_ISQ_E10value_typeET4_jRbjT5_SW_jjP12ihipStream_tbEUlT_E2_NS1_11comp_targetILNS1_3genE10ELNS1_11target_archE1201ELNS1_3gpuE5ELNS1_3repE0EEENS1_30default_config_static_selectorELNS0_4arch9wavefront6targetE0EEEvSK_ ; -- Begin function _ZN7rocprim17ROCPRIM_400000_NS6detail17trampoline_kernelINS0_14default_configENS1_36segmented_radix_sort_config_selectorIhlEEZNS1_25segmented_radix_sort_implIS3_Lb0EPKhPhPKlPlN2at6native12_GLOBAL__N_18offset_tEEE10hipError_tPvRmT1_PNSt15iterator_traitsISK_E10value_typeET2_T3_PNSL_ISQ_E10value_typeET4_jRbjT5_SW_jjP12ihipStream_tbEUlT_E2_NS1_11comp_targetILNS1_3genE10ELNS1_11target_archE1201ELNS1_3gpuE5ELNS1_3repE0EEENS1_30default_config_static_selectorELNS0_4arch9wavefront6targetE0EEEvSK_
	.p2align	8
	.type	_ZN7rocprim17ROCPRIM_400000_NS6detail17trampoline_kernelINS0_14default_configENS1_36segmented_radix_sort_config_selectorIhlEEZNS1_25segmented_radix_sort_implIS3_Lb0EPKhPhPKlPlN2at6native12_GLOBAL__N_18offset_tEEE10hipError_tPvRmT1_PNSt15iterator_traitsISK_E10value_typeET2_T3_PNSL_ISQ_E10value_typeET4_jRbjT5_SW_jjP12ihipStream_tbEUlT_E2_NS1_11comp_targetILNS1_3genE10ELNS1_11target_archE1201ELNS1_3gpuE5ELNS1_3repE0EEENS1_30default_config_static_selectorELNS0_4arch9wavefront6targetE0EEEvSK_,@function
_ZN7rocprim17ROCPRIM_400000_NS6detail17trampoline_kernelINS0_14default_configENS1_36segmented_radix_sort_config_selectorIhlEEZNS1_25segmented_radix_sort_implIS3_Lb0EPKhPhPKlPlN2at6native12_GLOBAL__N_18offset_tEEE10hipError_tPvRmT1_PNSt15iterator_traitsISK_E10value_typeET2_T3_PNSL_ISQ_E10value_typeET4_jRbjT5_SW_jjP12ihipStream_tbEUlT_E2_NS1_11comp_targetILNS1_3genE10ELNS1_11target_archE1201ELNS1_3gpuE5ELNS1_3repE0EEENS1_30default_config_static_selectorELNS0_4arch9wavefront6targetE0EEEvSK_: ; @_ZN7rocprim17ROCPRIM_400000_NS6detail17trampoline_kernelINS0_14default_configENS1_36segmented_radix_sort_config_selectorIhlEEZNS1_25segmented_radix_sort_implIS3_Lb0EPKhPhPKlPlN2at6native12_GLOBAL__N_18offset_tEEE10hipError_tPvRmT1_PNSt15iterator_traitsISK_E10value_typeET2_T3_PNSL_ISQ_E10value_typeET4_jRbjT5_SW_jjP12ihipStream_tbEUlT_E2_NS1_11comp_targetILNS1_3genE10ELNS1_11target_archE1201ELNS1_3gpuE5ELNS1_3repE0EEENS1_30default_config_static_selectorELNS0_4arch9wavefront6targetE0EEEvSK_
; %bb.0:
	.section	.rodata,"a",@progbits
	.p2align	6, 0x0
	.amdhsa_kernel _ZN7rocprim17ROCPRIM_400000_NS6detail17trampoline_kernelINS0_14default_configENS1_36segmented_radix_sort_config_selectorIhlEEZNS1_25segmented_radix_sort_implIS3_Lb0EPKhPhPKlPlN2at6native12_GLOBAL__N_18offset_tEEE10hipError_tPvRmT1_PNSt15iterator_traitsISK_E10value_typeET2_T3_PNSL_ISQ_E10value_typeET4_jRbjT5_SW_jjP12ihipStream_tbEUlT_E2_NS1_11comp_targetILNS1_3genE10ELNS1_11target_archE1201ELNS1_3gpuE5ELNS1_3repE0EEENS1_30default_config_static_selectorELNS0_4arch9wavefront6targetE0EEEvSK_
		.amdhsa_group_segment_fixed_size 0
		.amdhsa_private_segment_fixed_size 0
		.amdhsa_kernarg_size 80
		.amdhsa_user_sgpr_count 6
		.amdhsa_user_sgpr_private_segment_buffer 1
		.amdhsa_user_sgpr_dispatch_ptr 0
		.amdhsa_user_sgpr_queue_ptr 0
		.amdhsa_user_sgpr_kernarg_segment_ptr 1
		.amdhsa_user_sgpr_dispatch_id 0
		.amdhsa_user_sgpr_flat_scratch_init 0
		.amdhsa_user_sgpr_private_segment_size 0
		.amdhsa_wavefront_size32 1
		.amdhsa_uses_dynamic_stack 0
		.amdhsa_system_sgpr_private_segment_wavefront_offset 0
		.amdhsa_system_sgpr_workgroup_id_x 1
		.amdhsa_system_sgpr_workgroup_id_y 0
		.amdhsa_system_sgpr_workgroup_id_z 0
		.amdhsa_system_sgpr_workgroup_info 0
		.amdhsa_system_vgpr_workitem_id 0
		.amdhsa_next_free_vgpr 1
		.amdhsa_next_free_sgpr 1
		.amdhsa_reserve_vcc 0
		.amdhsa_reserve_flat_scratch 0
		.amdhsa_float_round_mode_32 0
		.amdhsa_float_round_mode_16_64 0
		.amdhsa_float_denorm_mode_32 3
		.amdhsa_float_denorm_mode_16_64 3
		.amdhsa_dx10_clamp 1
		.amdhsa_ieee_mode 1
		.amdhsa_fp16_overflow 0
		.amdhsa_workgroup_processor_mode 1
		.amdhsa_memory_ordered 1
		.amdhsa_forward_progress 1
		.amdhsa_shared_vgpr_count 0
		.amdhsa_exception_fp_ieee_invalid_op 0
		.amdhsa_exception_fp_denorm_src 0
		.amdhsa_exception_fp_ieee_div_zero 0
		.amdhsa_exception_fp_ieee_overflow 0
		.amdhsa_exception_fp_ieee_underflow 0
		.amdhsa_exception_fp_ieee_inexact 0
		.amdhsa_exception_int_div_zero 0
	.end_amdhsa_kernel
	.section	.text._ZN7rocprim17ROCPRIM_400000_NS6detail17trampoline_kernelINS0_14default_configENS1_36segmented_radix_sort_config_selectorIhlEEZNS1_25segmented_radix_sort_implIS3_Lb0EPKhPhPKlPlN2at6native12_GLOBAL__N_18offset_tEEE10hipError_tPvRmT1_PNSt15iterator_traitsISK_E10value_typeET2_T3_PNSL_ISQ_E10value_typeET4_jRbjT5_SW_jjP12ihipStream_tbEUlT_E2_NS1_11comp_targetILNS1_3genE10ELNS1_11target_archE1201ELNS1_3gpuE5ELNS1_3repE0EEENS1_30default_config_static_selectorELNS0_4arch9wavefront6targetE0EEEvSK_,"axG",@progbits,_ZN7rocprim17ROCPRIM_400000_NS6detail17trampoline_kernelINS0_14default_configENS1_36segmented_radix_sort_config_selectorIhlEEZNS1_25segmented_radix_sort_implIS3_Lb0EPKhPhPKlPlN2at6native12_GLOBAL__N_18offset_tEEE10hipError_tPvRmT1_PNSt15iterator_traitsISK_E10value_typeET2_T3_PNSL_ISQ_E10value_typeET4_jRbjT5_SW_jjP12ihipStream_tbEUlT_E2_NS1_11comp_targetILNS1_3genE10ELNS1_11target_archE1201ELNS1_3gpuE5ELNS1_3repE0EEENS1_30default_config_static_selectorELNS0_4arch9wavefront6targetE0EEEvSK_,comdat
.Lfunc_end219:
	.size	_ZN7rocprim17ROCPRIM_400000_NS6detail17trampoline_kernelINS0_14default_configENS1_36segmented_radix_sort_config_selectorIhlEEZNS1_25segmented_radix_sort_implIS3_Lb0EPKhPhPKlPlN2at6native12_GLOBAL__N_18offset_tEEE10hipError_tPvRmT1_PNSt15iterator_traitsISK_E10value_typeET2_T3_PNSL_ISQ_E10value_typeET4_jRbjT5_SW_jjP12ihipStream_tbEUlT_E2_NS1_11comp_targetILNS1_3genE10ELNS1_11target_archE1201ELNS1_3gpuE5ELNS1_3repE0EEENS1_30default_config_static_selectorELNS0_4arch9wavefront6targetE0EEEvSK_, .Lfunc_end219-_ZN7rocprim17ROCPRIM_400000_NS6detail17trampoline_kernelINS0_14default_configENS1_36segmented_radix_sort_config_selectorIhlEEZNS1_25segmented_radix_sort_implIS3_Lb0EPKhPhPKlPlN2at6native12_GLOBAL__N_18offset_tEEE10hipError_tPvRmT1_PNSt15iterator_traitsISK_E10value_typeET2_T3_PNSL_ISQ_E10value_typeET4_jRbjT5_SW_jjP12ihipStream_tbEUlT_E2_NS1_11comp_targetILNS1_3genE10ELNS1_11target_archE1201ELNS1_3gpuE5ELNS1_3repE0EEENS1_30default_config_static_selectorELNS0_4arch9wavefront6targetE0EEEvSK_
                                        ; -- End function
	.set _ZN7rocprim17ROCPRIM_400000_NS6detail17trampoline_kernelINS0_14default_configENS1_36segmented_radix_sort_config_selectorIhlEEZNS1_25segmented_radix_sort_implIS3_Lb0EPKhPhPKlPlN2at6native12_GLOBAL__N_18offset_tEEE10hipError_tPvRmT1_PNSt15iterator_traitsISK_E10value_typeET2_T3_PNSL_ISQ_E10value_typeET4_jRbjT5_SW_jjP12ihipStream_tbEUlT_E2_NS1_11comp_targetILNS1_3genE10ELNS1_11target_archE1201ELNS1_3gpuE5ELNS1_3repE0EEENS1_30default_config_static_selectorELNS0_4arch9wavefront6targetE0EEEvSK_.num_vgpr, 0
	.set _ZN7rocprim17ROCPRIM_400000_NS6detail17trampoline_kernelINS0_14default_configENS1_36segmented_radix_sort_config_selectorIhlEEZNS1_25segmented_radix_sort_implIS3_Lb0EPKhPhPKlPlN2at6native12_GLOBAL__N_18offset_tEEE10hipError_tPvRmT1_PNSt15iterator_traitsISK_E10value_typeET2_T3_PNSL_ISQ_E10value_typeET4_jRbjT5_SW_jjP12ihipStream_tbEUlT_E2_NS1_11comp_targetILNS1_3genE10ELNS1_11target_archE1201ELNS1_3gpuE5ELNS1_3repE0EEENS1_30default_config_static_selectorELNS0_4arch9wavefront6targetE0EEEvSK_.num_agpr, 0
	.set _ZN7rocprim17ROCPRIM_400000_NS6detail17trampoline_kernelINS0_14default_configENS1_36segmented_radix_sort_config_selectorIhlEEZNS1_25segmented_radix_sort_implIS3_Lb0EPKhPhPKlPlN2at6native12_GLOBAL__N_18offset_tEEE10hipError_tPvRmT1_PNSt15iterator_traitsISK_E10value_typeET2_T3_PNSL_ISQ_E10value_typeET4_jRbjT5_SW_jjP12ihipStream_tbEUlT_E2_NS1_11comp_targetILNS1_3genE10ELNS1_11target_archE1201ELNS1_3gpuE5ELNS1_3repE0EEENS1_30default_config_static_selectorELNS0_4arch9wavefront6targetE0EEEvSK_.numbered_sgpr, 0
	.set _ZN7rocprim17ROCPRIM_400000_NS6detail17trampoline_kernelINS0_14default_configENS1_36segmented_radix_sort_config_selectorIhlEEZNS1_25segmented_radix_sort_implIS3_Lb0EPKhPhPKlPlN2at6native12_GLOBAL__N_18offset_tEEE10hipError_tPvRmT1_PNSt15iterator_traitsISK_E10value_typeET2_T3_PNSL_ISQ_E10value_typeET4_jRbjT5_SW_jjP12ihipStream_tbEUlT_E2_NS1_11comp_targetILNS1_3genE10ELNS1_11target_archE1201ELNS1_3gpuE5ELNS1_3repE0EEENS1_30default_config_static_selectorELNS0_4arch9wavefront6targetE0EEEvSK_.num_named_barrier, 0
	.set _ZN7rocprim17ROCPRIM_400000_NS6detail17trampoline_kernelINS0_14default_configENS1_36segmented_radix_sort_config_selectorIhlEEZNS1_25segmented_radix_sort_implIS3_Lb0EPKhPhPKlPlN2at6native12_GLOBAL__N_18offset_tEEE10hipError_tPvRmT1_PNSt15iterator_traitsISK_E10value_typeET2_T3_PNSL_ISQ_E10value_typeET4_jRbjT5_SW_jjP12ihipStream_tbEUlT_E2_NS1_11comp_targetILNS1_3genE10ELNS1_11target_archE1201ELNS1_3gpuE5ELNS1_3repE0EEENS1_30default_config_static_selectorELNS0_4arch9wavefront6targetE0EEEvSK_.private_seg_size, 0
	.set _ZN7rocprim17ROCPRIM_400000_NS6detail17trampoline_kernelINS0_14default_configENS1_36segmented_radix_sort_config_selectorIhlEEZNS1_25segmented_radix_sort_implIS3_Lb0EPKhPhPKlPlN2at6native12_GLOBAL__N_18offset_tEEE10hipError_tPvRmT1_PNSt15iterator_traitsISK_E10value_typeET2_T3_PNSL_ISQ_E10value_typeET4_jRbjT5_SW_jjP12ihipStream_tbEUlT_E2_NS1_11comp_targetILNS1_3genE10ELNS1_11target_archE1201ELNS1_3gpuE5ELNS1_3repE0EEENS1_30default_config_static_selectorELNS0_4arch9wavefront6targetE0EEEvSK_.uses_vcc, 0
	.set _ZN7rocprim17ROCPRIM_400000_NS6detail17trampoline_kernelINS0_14default_configENS1_36segmented_radix_sort_config_selectorIhlEEZNS1_25segmented_radix_sort_implIS3_Lb0EPKhPhPKlPlN2at6native12_GLOBAL__N_18offset_tEEE10hipError_tPvRmT1_PNSt15iterator_traitsISK_E10value_typeET2_T3_PNSL_ISQ_E10value_typeET4_jRbjT5_SW_jjP12ihipStream_tbEUlT_E2_NS1_11comp_targetILNS1_3genE10ELNS1_11target_archE1201ELNS1_3gpuE5ELNS1_3repE0EEENS1_30default_config_static_selectorELNS0_4arch9wavefront6targetE0EEEvSK_.uses_flat_scratch, 0
	.set _ZN7rocprim17ROCPRIM_400000_NS6detail17trampoline_kernelINS0_14default_configENS1_36segmented_radix_sort_config_selectorIhlEEZNS1_25segmented_radix_sort_implIS3_Lb0EPKhPhPKlPlN2at6native12_GLOBAL__N_18offset_tEEE10hipError_tPvRmT1_PNSt15iterator_traitsISK_E10value_typeET2_T3_PNSL_ISQ_E10value_typeET4_jRbjT5_SW_jjP12ihipStream_tbEUlT_E2_NS1_11comp_targetILNS1_3genE10ELNS1_11target_archE1201ELNS1_3gpuE5ELNS1_3repE0EEENS1_30default_config_static_selectorELNS0_4arch9wavefront6targetE0EEEvSK_.has_dyn_sized_stack, 0
	.set _ZN7rocprim17ROCPRIM_400000_NS6detail17trampoline_kernelINS0_14default_configENS1_36segmented_radix_sort_config_selectorIhlEEZNS1_25segmented_radix_sort_implIS3_Lb0EPKhPhPKlPlN2at6native12_GLOBAL__N_18offset_tEEE10hipError_tPvRmT1_PNSt15iterator_traitsISK_E10value_typeET2_T3_PNSL_ISQ_E10value_typeET4_jRbjT5_SW_jjP12ihipStream_tbEUlT_E2_NS1_11comp_targetILNS1_3genE10ELNS1_11target_archE1201ELNS1_3gpuE5ELNS1_3repE0EEENS1_30default_config_static_selectorELNS0_4arch9wavefront6targetE0EEEvSK_.has_recursion, 0
	.set _ZN7rocprim17ROCPRIM_400000_NS6detail17trampoline_kernelINS0_14default_configENS1_36segmented_radix_sort_config_selectorIhlEEZNS1_25segmented_radix_sort_implIS3_Lb0EPKhPhPKlPlN2at6native12_GLOBAL__N_18offset_tEEE10hipError_tPvRmT1_PNSt15iterator_traitsISK_E10value_typeET2_T3_PNSL_ISQ_E10value_typeET4_jRbjT5_SW_jjP12ihipStream_tbEUlT_E2_NS1_11comp_targetILNS1_3genE10ELNS1_11target_archE1201ELNS1_3gpuE5ELNS1_3repE0EEENS1_30default_config_static_selectorELNS0_4arch9wavefront6targetE0EEEvSK_.has_indirect_call, 0
	.section	.AMDGPU.csdata,"",@progbits
; Kernel info:
; codeLenInByte = 0
; TotalNumSgprs: 0
; NumVgprs: 0
; ScratchSize: 0
; MemoryBound: 0
; FloatMode: 240
; IeeeMode: 1
; LDSByteSize: 0 bytes/workgroup (compile time only)
; SGPRBlocks: 0
; VGPRBlocks: 0
; NumSGPRsForWavesPerEU: 1
; NumVGPRsForWavesPerEU: 1
; Occupancy: 16
; WaveLimiterHint : 0
; COMPUTE_PGM_RSRC2:SCRATCH_EN: 0
; COMPUTE_PGM_RSRC2:USER_SGPR: 6
; COMPUTE_PGM_RSRC2:TRAP_HANDLER: 0
; COMPUTE_PGM_RSRC2:TGID_X_EN: 1
; COMPUTE_PGM_RSRC2:TGID_Y_EN: 0
; COMPUTE_PGM_RSRC2:TGID_Z_EN: 0
; COMPUTE_PGM_RSRC2:TIDIG_COMP_CNT: 0
	.section	.text._ZN7rocprim17ROCPRIM_400000_NS6detail17trampoline_kernelINS0_14default_configENS1_36segmented_radix_sort_config_selectorIhlEEZNS1_25segmented_radix_sort_implIS3_Lb0EPKhPhPKlPlN2at6native12_GLOBAL__N_18offset_tEEE10hipError_tPvRmT1_PNSt15iterator_traitsISK_E10value_typeET2_T3_PNSL_ISQ_E10value_typeET4_jRbjT5_SW_jjP12ihipStream_tbEUlT_E2_NS1_11comp_targetILNS1_3genE10ELNS1_11target_archE1200ELNS1_3gpuE4ELNS1_3repE0EEENS1_30default_config_static_selectorELNS0_4arch9wavefront6targetE0EEEvSK_,"axG",@progbits,_ZN7rocprim17ROCPRIM_400000_NS6detail17trampoline_kernelINS0_14default_configENS1_36segmented_radix_sort_config_selectorIhlEEZNS1_25segmented_radix_sort_implIS3_Lb0EPKhPhPKlPlN2at6native12_GLOBAL__N_18offset_tEEE10hipError_tPvRmT1_PNSt15iterator_traitsISK_E10value_typeET2_T3_PNSL_ISQ_E10value_typeET4_jRbjT5_SW_jjP12ihipStream_tbEUlT_E2_NS1_11comp_targetILNS1_3genE10ELNS1_11target_archE1200ELNS1_3gpuE4ELNS1_3repE0EEENS1_30default_config_static_selectorELNS0_4arch9wavefront6targetE0EEEvSK_,comdat
	.globl	_ZN7rocprim17ROCPRIM_400000_NS6detail17trampoline_kernelINS0_14default_configENS1_36segmented_radix_sort_config_selectorIhlEEZNS1_25segmented_radix_sort_implIS3_Lb0EPKhPhPKlPlN2at6native12_GLOBAL__N_18offset_tEEE10hipError_tPvRmT1_PNSt15iterator_traitsISK_E10value_typeET2_T3_PNSL_ISQ_E10value_typeET4_jRbjT5_SW_jjP12ihipStream_tbEUlT_E2_NS1_11comp_targetILNS1_3genE10ELNS1_11target_archE1200ELNS1_3gpuE4ELNS1_3repE0EEENS1_30default_config_static_selectorELNS0_4arch9wavefront6targetE0EEEvSK_ ; -- Begin function _ZN7rocprim17ROCPRIM_400000_NS6detail17trampoline_kernelINS0_14default_configENS1_36segmented_radix_sort_config_selectorIhlEEZNS1_25segmented_radix_sort_implIS3_Lb0EPKhPhPKlPlN2at6native12_GLOBAL__N_18offset_tEEE10hipError_tPvRmT1_PNSt15iterator_traitsISK_E10value_typeET2_T3_PNSL_ISQ_E10value_typeET4_jRbjT5_SW_jjP12ihipStream_tbEUlT_E2_NS1_11comp_targetILNS1_3genE10ELNS1_11target_archE1200ELNS1_3gpuE4ELNS1_3repE0EEENS1_30default_config_static_selectorELNS0_4arch9wavefront6targetE0EEEvSK_
	.p2align	8
	.type	_ZN7rocprim17ROCPRIM_400000_NS6detail17trampoline_kernelINS0_14default_configENS1_36segmented_radix_sort_config_selectorIhlEEZNS1_25segmented_radix_sort_implIS3_Lb0EPKhPhPKlPlN2at6native12_GLOBAL__N_18offset_tEEE10hipError_tPvRmT1_PNSt15iterator_traitsISK_E10value_typeET2_T3_PNSL_ISQ_E10value_typeET4_jRbjT5_SW_jjP12ihipStream_tbEUlT_E2_NS1_11comp_targetILNS1_3genE10ELNS1_11target_archE1200ELNS1_3gpuE4ELNS1_3repE0EEENS1_30default_config_static_selectorELNS0_4arch9wavefront6targetE0EEEvSK_,@function
_ZN7rocprim17ROCPRIM_400000_NS6detail17trampoline_kernelINS0_14default_configENS1_36segmented_radix_sort_config_selectorIhlEEZNS1_25segmented_radix_sort_implIS3_Lb0EPKhPhPKlPlN2at6native12_GLOBAL__N_18offset_tEEE10hipError_tPvRmT1_PNSt15iterator_traitsISK_E10value_typeET2_T3_PNSL_ISQ_E10value_typeET4_jRbjT5_SW_jjP12ihipStream_tbEUlT_E2_NS1_11comp_targetILNS1_3genE10ELNS1_11target_archE1200ELNS1_3gpuE4ELNS1_3repE0EEENS1_30default_config_static_selectorELNS0_4arch9wavefront6targetE0EEEvSK_: ; @_ZN7rocprim17ROCPRIM_400000_NS6detail17trampoline_kernelINS0_14default_configENS1_36segmented_radix_sort_config_selectorIhlEEZNS1_25segmented_radix_sort_implIS3_Lb0EPKhPhPKlPlN2at6native12_GLOBAL__N_18offset_tEEE10hipError_tPvRmT1_PNSt15iterator_traitsISK_E10value_typeET2_T3_PNSL_ISQ_E10value_typeET4_jRbjT5_SW_jjP12ihipStream_tbEUlT_E2_NS1_11comp_targetILNS1_3genE10ELNS1_11target_archE1200ELNS1_3gpuE4ELNS1_3repE0EEENS1_30default_config_static_selectorELNS0_4arch9wavefront6targetE0EEEvSK_
; %bb.0:
	.section	.rodata,"a",@progbits
	.p2align	6, 0x0
	.amdhsa_kernel _ZN7rocprim17ROCPRIM_400000_NS6detail17trampoline_kernelINS0_14default_configENS1_36segmented_radix_sort_config_selectorIhlEEZNS1_25segmented_radix_sort_implIS3_Lb0EPKhPhPKlPlN2at6native12_GLOBAL__N_18offset_tEEE10hipError_tPvRmT1_PNSt15iterator_traitsISK_E10value_typeET2_T3_PNSL_ISQ_E10value_typeET4_jRbjT5_SW_jjP12ihipStream_tbEUlT_E2_NS1_11comp_targetILNS1_3genE10ELNS1_11target_archE1200ELNS1_3gpuE4ELNS1_3repE0EEENS1_30default_config_static_selectorELNS0_4arch9wavefront6targetE0EEEvSK_
		.amdhsa_group_segment_fixed_size 0
		.amdhsa_private_segment_fixed_size 0
		.amdhsa_kernarg_size 80
		.amdhsa_user_sgpr_count 6
		.amdhsa_user_sgpr_private_segment_buffer 1
		.amdhsa_user_sgpr_dispatch_ptr 0
		.amdhsa_user_sgpr_queue_ptr 0
		.amdhsa_user_sgpr_kernarg_segment_ptr 1
		.amdhsa_user_sgpr_dispatch_id 0
		.amdhsa_user_sgpr_flat_scratch_init 0
		.amdhsa_user_sgpr_private_segment_size 0
		.amdhsa_wavefront_size32 1
		.amdhsa_uses_dynamic_stack 0
		.amdhsa_system_sgpr_private_segment_wavefront_offset 0
		.amdhsa_system_sgpr_workgroup_id_x 1
		.amdhsa_system_sgpr_workgroup_id_y 0
		.amdhsa_system_sgpr_workgroup_id_z 0
		.amdhsa_system_sgpr_workgroup_info 0
		.amdhsa_system_vgpr_workitem_id 0
		.amdhsa_next_free_vgpr 1
		.amdhsa_next_free_sgpr 1
		.amdhsa_reserve_vcc 0
		.amdhsa_reserve_flat_scratch 0
		.amdhsa_float_round_mode_32 0
		.amdhsa_float_round_mode_16_64 0
		.amdhsa_float_denorm_mode_32 3
		.amdhsa_float_denorm_mode_16_64 3
		.amdhsa_dx10_clamp 1
		.amdhsa_ieee_mode 1
		.amdhsa_fp16_overflow 0
		.amdhsa_workgroup_processor_mode 1
		.amdhsa_memory_ordered 1
		.amdhsa_forward_progress 1
		.amdhsa_shared_vgpr_count 0
		.amdhsa_exception_fp_ieee_invalid_op 0
		.amdhsa_exception_fp_denorm_src 0
		.amdhsa_exception_fp_ieee_div_zero 0
		.amdhsa_exception_fp_ieee_overflow 0
		.amdhsa_exception_fp_ieee_underflow 0
		.amdhsa_exception_fp_ieee_inexact 0
		.amdhsa_exception_int_div_zero 0
	.end_amdhsa_kernel
	.section	.text._ZN7rocprim17ROCPRIM_400000_NS6detail17trampoline_kernelINS0_14default_configENS1_36segmented_radix_sort_config_selectorIhlEEZNS1_25segmented_radix_sort_implIS3_Lb0EPKhPhPKlPlN2at6native12_GLOBAL__N_18offset_tEEE10hipError_tPvRmT1_PNSt15iterator_traitsISK_E10value_typeET2_T3_PNSL_ISQ_E10value_typeET4_jRbjT5_SW_jjP12ihipStream_tbEUlT_E2_NS1_11comp_targetILNS1_3genE10ELNS1_11target_archE1200ELNS1_3gpuE4ELNS1_3repE0EEENS1_30default_config_static_selectorELNS0_4arch9wavefront6targetE0EEEvSK_,"axG",@progbits,_ZN7rocprim17ROCPRIM_400000_NS6detail17trampoline_kernelINS0_14default_configENS1_36segmented_radix_sort_config_selectorIhlEEZNS1_25segmented_radix_sort_implIS3_Lb0EPKhPhPKlPlN2at6native12_GLOBAL__N_18offset_tEEE10hipError_tPvRmT1_PNSt15iterator_traitsISK_E10value_typeET2_T3_PNSL_ISQ_E10value_typeET4_jRbjT5_SW_jjP12ihipStream_tbEUlT_E2_NS1_11comp_targetILNS1_3genE10ELNS1_11target_archE1200ELNS1_3gpuE4ELNS1_3repE0EEENS1_30default_config_static_selectorELNS0_4arch9wavefront6targetE0EEEvSK_,comdat
.Lfunc_end220:
	.size	_ZN7rocprim17ROCPRIM_400000_NS6detail17trampoline_kernelINS0_14default_configENS1_36segmented_radix_sort_config_selectorIhlEEZNS1_25segmented_radix_sort_implIS3_Lb0EPKhPhPKlPlN2at6native12_GLOBAL__N_18offset_tEEE10hipError_tPvRmT1_PNSt15iterator_traitsISK_E10value_typeET2_T3_PNSL_ISQ_E10value_typeET4_jRbjT5_SW_jjP12ihipStream_tbEUlT_E2_NS1_11comp_targetILNS1_3genE10ELNS1_11target_archE1200ELNS1_3gpuE4ELNS1_3repE0EEENS1_30default_config_static_selectorELNS0_4arch9wavefront6targetE0EEEvSK_, .Lfunc_end220-_ZN7rocprim17ROCPRIM_400000_NS6detail17trampoline_kernelINS0_14default_configENS1_36segmented_radix_sort_config_selectorIhlEEZNS1_25segmented_radix_sort_implIS3_Lb0EPKhPhPKlPlN2at6native12_GLOBAL__N_18offset_tEEE10hipError_tPvRmT1_PNSt15iterator_traitsISK_E10value_typeET2_T3_PNSL_ISQ_E10value_typeET4_jRbjT5_SW_jjP12ihipStream_tbEUlT_E2_NS1_11comp_targetILNS1_3genE10ELNS1_11target_archE1200ELNS1_3gpuE4ELNS1_3repE0EEENS1_30default_config_static_selectorELNS0_4arch9wavefront6targetE0EEEvSK_
                                        ; -- End function
	.set _ZN7rocprim17ROCPRIM_400000_NS6detail17trampoline_kernelINS0_14default_configENS1_36segmented_radix_sort_config_selectorIhlEEZNS1_25segmented_radix_sort_implIS3_Lb0EPKhPhPKlPlN2at6native12_GLOBAL__N_18offset_tEEE10hipError_tPvRmT1_PNSt15iterator_traitsISK_E10value_typeET2_T3_PNSL_ISQ_E10value_typeET4_jRbjT5_SW_jjP12ihipStream_tbEUlT_E2_NS1_11comp_targetILNS1_3genE10ELNS1_11target_archE1200ELNS1_3gpuE4ELNS1_3repE0EEENS1_30default_config_static_selectorELNS0_4arch9wavefront6targetE0EEEvSK_.num_vgpr, 0
	.set _ZN7rocprim17ROCPRIM_400000_NS6detail17trampoline_kernelINS0_14default_configENS1_36segmented_radix_sort_config_selectorIhlEEZNS1_25segmented_radix_sort_implIS3_Lb0EPKhPhPKlPlN2at6native12_GLOBAL__N_18offset_tEEE10hipError_tPvRmT1_PNSt15iterator_traitsISK_E10value_typeET2_T3_PNSL_ISQ_E10value_typeET4_jRbjT5_SW_jjP12ihipStream_tbEUlT_E2_NS1_11comp_targetILNS1_3genE10ELNS1_11target_archE1200ELNS1_3gpuE4ELNS1_3repE0EEENS1_30default_config_static_selectorELNS0_4arch9wavefront6targetE0EEEvSK_.num_agpr, 0
	.set _ZN7rocprim17ROCPRIM_400000_NS6detail17trampoline_kernelINS0_14default_configENS1_36segmented_radix_sort_config_selectorIhlEEZNS1_25segmented_radix_sort_implIS3_Lb0EPKhPhPKlPlN2at6native12_GLOBAL__N_18offset_tEEE10hipError_tPvRmT1_PNSt15iterator_traitsISK_E10value_typeET2_T3_PNSL_ISQ_E10value_typeET4_jRbjT5_SW_jjP12ihipStream_tbEUlT_E2_NS1_11comp_targetILNS1_3genE10ELNS1_11target_archE1200ELNS1_3gpuE4ELNS1_3repE0EEENS1_30default_config_static_selectorELNS0_4arch9wavefront6targetE0EEEvSK_.numbered_sgpr, 0
	.set _ZN7rocprim17ROCPRIM_400000_NS6detail17trampoline_kernelINS0_14default_configENS1_36segmented_radix_sort_config_selectorIhlEEZNS1_25segmented_radix_sort_implIS3_Lb0EPKhPhPKlPlN2at6native12_GLOBAL__N_18offset_tEEE10hipError_tPvRmT1_PNSt15iterator_traitsISK_E10value_typeET2_T3_PNSL_ISQ_E10value_typeET4_jRbjT5_SW_jjP12ihipStream_tbEUlT_E2_NS1_11comp_targetILNS1_3genE10ELNS1_11target_archE1200ELNS1_3gpuE4ELNS1_3repE0EEENS1_30default_config_static_selectorELNS0_4arch9wavefront6targetE0EEEvSK_.num_named_barrier, 0
	.set _ZN7rocprim17ROCPRIM_400000_NS6detail17trampoline_kernelINS0_14default_configENS1_36segmented_radix_sort_config_selectorIhlEEZNS1_25segmented_radix_sort_implIS3_Lb0EPKhPhPKlPlN2at6native12_GLOBAL__N_18offset_tEEE10hipError_tPvRmT1_PNSt15iterator_traitsISK_E10value_typeET2_T3_PNSL_ISQ_E10value_typeET4_jRbjT5_SW_jjP12ihipStream_tbEUlT_E2_NS1_11comp_targetILNS1_3genE10ELNS1_11target_archE1200ELNS1_3gpuE4ELNS1_3repE0EEENS1_30default_config_static_selectorELNS0_4arch9wavefront6targetE0EEEvSK_.private_seg_size, 0
	.set _ZN7rocprim17ROCPRIM_400000_NS6detail17trampoline_kernelINS0_14default_configENS1_36segmented_radix_sort_config_selectorIhlEEZNS1_25segmented_radix_sort_implIS3_Lb0EPKhPhPKlPlN2at6native12_GLOBAL__N_18offset_tEEE10hipError_tPvRmT1_PNSt15iterator_traitsISK_E10value_typeET2_T3_PNSL_ISQ_E10value_typeET4_jRbjT5_SW_jjP12ihipStream_tbEUlT_E2_NS1_11comp_targetILNS1_3genE10ELNS1_11target_archE1200ELNS1_3gpuE4ELNS1_3repE0EEENS1_30default_config_static_selectorELNS0_4arch9wavefront6targetE0EEEvSK_.uses_vcc, 0
	.set _ZN7rocprim17ROCPRIM_400000_NS6detail17trampoline_kernelINS0_14default_configENS1_36segmented_radix_sort_config_selectorIhlEEZNS1_25segmented_radix_sort_implIS3_Lb0EPKhPhPKlPlN2at6native12_GLOBAL__N_18offset_tEEE10hipError_tPvRmT1_PNSt15iterator_traitsISK_E10value_typeET2_T3_PNSL_ISQ_E10value_typeET4_jRbjT5_SW_jjP12ihipStream_tbEUlT_E2_NS1_11comp_targetILNS1_3genE10ELNS1_11target_archE1200ELNS1_3gpuE4ELNS1_3repE0EEENS1_30default_config_static_selectorELNS0_4arch9wavefront6targetE0EEEvSK_.uses_flat_scratch, 0
	.set _ZN7rocprim17ROCPRIM_400000_NS6detail17trampoline_kernelINS0_14default_configENS1_36segmented_radix_sort_config_selectorIhlEEZNS1_25segmented_radix_sort_implIS3_Lb0EPKhPhPKlPlN2at6native12_GLOBAL__N_18offset_tEEE10hipError_tPvRmT1_PNSt15iterator_traitsISK_E10value_typeET2_T3_PNSL_ISQ_E10value_typeET4_jRbjT5_SW_jjP12ihipStream_tbEUlT_E2_NS1_11comp_targetILNS1_3genE10ELNS1_11target_archE1200ELNS1_3gpuE4ELNS1_3repE0EEENS1_30default_config_static_selectorELNS0_4arch9wavefront6targetE0EEEvSK_.has_dyn_sized_stack, 0
	.set _ZN7rocprim17ROCPRIM_400000_NS6detail17trampoline_kernelINS0_14default_configENS1_36segmented_radix_sort_config_selectorIhlEEZNS1_25segmented_radix_sort_implIS3_Lb0EPKhPhPKlPlN2at6native12_GLOBAL__N_18offset_tEEE10hipError_tPvRmT1_PNSt15iterator_traitsISK_E10value_typeET2_T3_PNSL_ISQ_E10value_typeET4_jRbjT5_SW_jjP12ihipStream_tbEUlT_E2_NS1_11comp_targetILNS1_3genE10ELNS1_11target_archE1200ELNS1_3gpuE4ELNS1_3repE0EEENS1_30default_config_static_selectorELNS0_4arch9wavefront6targetE0EEEvSK_.has_recursion, 0
	.set _ZN7rocprim17ROCPRIM_400000_NS6detail17trampoline_kernelINS0_14default_configENS1_36segmented_radix_sort_config_selectorIhlEEZNS1_25segmented_radix_sort_implIS3_Lb0EPKhPhPKlPlN2at6native12_GLOBAL__N_18offset_tEEE10hipError_tPvRmT1_PNSt15iterator_traitsISK_E10value_typeET2_T3_PNSL_ISQ_E10value_typeET4_jRbjT5_SW_jjP12ihipStream_tbEUlT_E2_NS1_11comp_targetILNS1_3genE10ELNS1_11target_archE1200ELNS1_3gpuE4ELNS1_3repE0EEENS1_30default_config_static_selectorELNS0_4arch9wavefront6targetE0EEEvSK_.has_indirect_call, 0
	.section	.AMDGPU.csdata,"",@progbits
; Kernel info:
; codeLenInByte = 0
; TotalNumSgprs: 0
; NumVgprs: 0
; ScratchSize: 0
; MemoryBound: 0
; FloatMode: 240
; IeeeMode: 1
; LDSByteSize: 0 bytes/workgroup (compile time only)
; SGPRBlocks: 0
; VGPRBlocks: 0
; NumSGPRsForWavesPerEU: 1
; NumVGPRsForWavesPerEU: 1
; Occupancy: 16
; WaveLimiterHint : 0
; COMPUTE_PGM_RSRC2:SCRATCH_EN: 0
; COMPUTE_PGM_RSRC2:USER_SGPR: 6
; COMPUTE_PGM_RSRC2:TRAP_HANDLER: 0
; COMPUTE_PGM_RSRC2:TGID_X_EN: 1
; COMPUTE_PGM_RSRC2:TGID_Y_EN: 0
; COMPUTE_PGM_RSRC2:TGID_Z_EN: 0
; COMPUTE_PGM_RSRC2:TIDIG_COMP_CNT: 0
	.section	.text._ZN7rocprim17ROCPRIM_400000_NS6detail17trampoline_kernelINS0_14default_configENS1_36segmented_radix_sort_config_selectorIhlEEZNS1_25segmented_radix_sort_implIS3_Lb0EPKhPhPKlPlN2at6native12_GLOBAL__N_18offset_tEEE10hipError_tPvRmT1_PNSt15iterator_traitsISK_E10value_typeET2_T3_PNSL_ISQ_E10value_typeET4_jRbjT5_SW_jjP12ihipStream_tbEUlT_E2_NS1_11comp_targetILNS1_3genE9ELNS1_11target_archE1100ELNS1_3gpuE3ELNS1_3repE0EEENS1_30default_config_static_selectorELNS0_4arch9wavefront6targetE0EEEvSK_,"axG",@progbits,_ZN7rocprim17ROCPRIM_400000_NS6detail17trampoline_kernelINS0_14default_configENS1_36segmented_radix_sort_config_selectorIhlEEZNS1_25segmented_radix_sort_implIS3_Lb0EPKhPhPKlPlN2at6native12_GLOBAL__N_18offset_tEEE10hipError_tPvRmT1_PNSt15iterator_traitsISK_E10value_typeET2_T3_PNSL_ISQ_E10value_typeET4_jRbjT5_SW_jjP12ihipStream_tbEUlT_E2_NS1_11comp_targetILNS1_3genE9ELNS1_11target_archE1100ELNS1_3gpuE3ELNS1_3repE0EEENS1_30default_config_static_selectorELNS0_4arch9wavefront6targetE0EEEvSK_,comdat
	.globl	_ZN7rocprim17ROCPRIM_400000_NS6detail17trampoline_kernelINS0_14default_configENS1_36segmented_radix_sort_config_selectorIhlEEZNS1_25segmented_radix_sort_implIS3_Lb0EPKhPhPKlPlN2at6native12_GLOBAL__N_18offset_tEEE10hipError_tPvRmT1_PNSt15iterator_traitsISK_E10value_typeET2_T3_PNSL_ISQ_E10value_typeET4_jRbjT5_SW_jjP12ihipStream_tbEUlT_E2_NS1_11comp_targetILNS1_3genE9ELNS1_11target_archE1100ELNS1_3gpuE3ELNS1_3repE0EEENS1_30default_config_static_selectorELNS0_4arch9wavefront6targetE0EEEvSK_ ; -- Begin function _ZN7rocprim17ROCPRIM_400000_NS6detail17trampoline_kernelINS0_14default_configENS1_36segmented_radix_sort_config_selectorIhlEEZNS1_25segmented_radix_sort_implIS3_Lb0EPKhPhPKlPlN2at6native12_GLOBAL__N_18offset_tEEE10hipError_tPvRmT1_PNSt15iterator_traitsISK_E10value_typeET2_T3_PNSL_ISQ_E10value_typeET4_jRbjT5_SW_jjP12ihipStream_tbEUlT_E2_NS1_11comp_targetILNS1_3genE9ELNS1_11target_archE1100ELNS1_3gpuE3ELNS1_3repE0EEENS1_30default_config_static_selectorELNS0_4arch9wavefront6targetE0EEEvSK_
	.p2align	8
	.type	_ZN7rocprim17ROCPRIM_400000_NS6detail17trampoline_kernelINS0_14default_configENS1_36segmented_radix_sort_config_selectorIhlEEZNS1_25segmented_radix_sort_implIS3_Lb0EPKhPhPKlPlN2at6native12_GLOBAL__N_18offset_tEEE10hipError_tPvRmT1_PNSt15iterator_traitsISK_E10value_typeET2_T3_PNSL_ISQ_E10value_typeET4_jRbjT5_SW_jjP12ihipStream_tbEUlT_E2_NS1_11comp_targetILNS1_3genE9ELNS1_11target_archE1100ELNS1_3gpuE3ELNS1_3repE0EEENS1_30default_config_static_selectorELNS0_4arch9wavefront6targetE0EEEvSK_,@function
_ZN7rocprim17ROCPRIM_400000_NS6detail17trampoline_kernelINS0_14default_configENS1_36segmented_radix_sort_config_selectorIhlEEZNS1_25segmented_radix_sort_implIS3_Lb0EPKhPhPKlPlN2at6native12_GLOBAL__N_18offset_tEEE10hipError_tPvRmT1_PNSt15iterator_traitsISK_E10value_typeET2_T3_PNSL_ISQ_E10value_typeET4_jRbjT5_SW_jjP12ihipStream_tbEUlT_E2_NS1_11comp_targetILNS1_3genE9ELNS1_11target_archE1100ELNS1_3gpuE3ELNS1_3repE0EEENS1_30default_config_static_selectorELNS0_4arch9wavefront6targetE0EEEvSK_: ; @_ZN7rocprim17ROCPRIM_400000_NS6detail17trampoline_kernelINS0_14default_configENS1_36segmented_radix_sort_config_selectorIhlEEZNS1_25segmented_radix_sort_implIS3_Lb0EPKhPhPKlPlN2at6native12_GLOBAL__N_18offset_tEEE10hipError_tPvRmT1_PNSt15iterator_traitsISK_E10value_typeET2_T3_PNSL_ISQ_E10value_typeET4_jRbjT5_SW_jjP12ihipStream_tbEUlT_E2_NS1_11comp_targetILNS1_3genE9ELNS1_11target_archE1100ELNS1_3gpuE3ELNS1_3repE0EEENS1_30default_config_static_selectorELNS0_4arch9wavefront6targetE0EEEvSK_
; %bb.0:
	.section	.rodata,"a",@progbits
	.p2align	6, 0x0
	.amdhsa_kernel _ZN7rocprim17ROCPRIM_400000_NS6detail17trampoline_kernelINS0_14default_configENS1_36segmented_radix_sort_config_selectorIhlEEZNS1_25segmented_radix_sort_implIS3_Lb0EPKhPhPKlPlN2at6native12_GLOBAL__N_18offset_tEEE10hipError_tPvRmT1_PNSt15iterator_traitsISK_E10value_typeET2_T3_PNSL_ISQ_E10value_typeET4_jRbjT5_SW_jjP12ihipStream_tbEUlT_E2_NS1_11comp_targetILNS1_3genE9ELNS1_11target_archE1100ELNS1_3gpuE3ELNS1_3repE0EEENS1_30default_config_static_selectorELNS0_4arch9wavefront6targetE0EEEvSK_
		.amdhsa_group_segment_fixed_size 0
		.amdhsa_private_segment_fixed_size 0
		.amdhsa_kernarg_size 80
		.amdhsa_user_sgpr_count 6
		.amdhsa_user_sgpr_private_segment_buffer 1
		.amdhsa_user_sgpr_dispatch_ptr 0
		.amdhsa_user_sgpr_queue_ptr 0
		.amdhsa_user_sgpr_kernarg_segment_ptr 1
		.amdhsa_user_sgpr_dispatch_id 0
		.amdhsa_user_sgpr_flat_scratch_init 0
		.amdhsa_user_sgpr_private_segment_size 0
		.amdhsa_wavefront_size32 1
		.amdhsa_uses_dynamic_stack 0
		.amdhsa_system_sgpr_private_segment_wavefront_offset 0
		.amdhsa_system_sgpr_workgroup_id_x 1
		.amdhsa_system_sgpr_workgroup_id_y 0
		.amdhsa_system_sgpr_workgroup_id_z 0
		.amdhsa_system_sgpr_workgroup_info 0
		.amdhsa_system_vgpr_workitem_id 0
		.amdhsa_next_free_vgpr 1
		.amdhsa_next_free_sgpr 1
		.amdhsa_reserve_vcc 0
		.amdhsa_reserve_flat_scratch 0
		.amdhsa_float_round_mode_32 0
		.amdhsa_float_round_mode_16_64 0
		.amdhsa_float_denorm_mode_32 3
		.amdhsa_float_denorm_mode_16_64 3
		.amdhsa_dx10_clamp 1
		.amdhsa_ieee_mode 1
		.amdhsa_fp16_overflow 0
		.amdhsa_workgroup_processor_mode 1
		.amdhsa_memory_ordered 1
		.amdhsa_forward_progress 1
		.amdhsa_shared_vgpr_count 0
		.amdhsa_exception_fp_ieee_invalid_op 0
		.amdhsa_exception_fp_denorm_src 0
		.amdhsa_exception_fp_ieee_div_zero 0
		.amdhsa_exception_fp_ieee_overflow 0
		.amdhsa_exception_fp_ieee_underflow 0
		.amdhsa_exception_fp_ieee_inexact 0
		.amdhsa_exception_int_div_zero 0
	.end_amdhsa_kernel
	.section	.text._ZN7rocprim17ROCPRIM_400000_NS6detail17trampoline_kernelINS0_14default_configENS1_36segmented_radix_sort_config_selectorIhlEEZNS1_25segmented_radix_sort_implIS3_Lb0EPKhPhPKlPlN2at6native12_GLOBAL__N_18offset_tEEE10hipError_tPvRmT1_PNSt15iterator_traitsISK_E10value_typeET2_T3_PNSL_ISQ_E10value_typeET4_jRbjT5_SW_jjP12ihipStream_tbEUlT_E2_NS1_11comp_targetILNS1_3genE9ELNS1_11target_archE1100ELNS1_3gpuE3ELNS1_3repE0EEENS1_30default_config_static_selectorELNS0_4arch9wavefront6targetE0EEEvSK_,"axG",@progbits,_ZN7rocprim17ROCPRIM_400000_NS6detail17trampoline_kernelINS0_14default_configENS1_36segmented_radix_sort_config_selectorIhlEEZNS1_25segmented_radix_sort_implIS3_Lb0EPKhPhPKlPlN2at6native12_GLOBAL__N_18offset_tEEE10hipError_tPvRmT1_PNSt15iterator_traitsISK_E10value_typeET2_T3_PNSL_ISQ_E10value_typeET4_jRbjT5_SW_jjP12ihipStream_tbEUlT_E2_NS1_11comp_targetILNS1_3genE9ELNS1_11target_archE1100ELNS1_3gpuE3ELNS1_3repE0EEENS1_30default_config_static_selectorELNS0_4arch9wavefront6targetE0EEEvSK_,comdat
.Lfunc_end221:
	.size	_ZN7rocprim17ROCPRIM_400000_NS6detail17trampoline_kernelINS0_14default_configENS1_36segmented_radix_sort_config_selectorIhlEEZNS1_25segmented_radix_sort_implIS3_Lb0EPKhPhPKlPlN2at6native12_GLOBAL__N_18offset_tEEE10hipError_tPvRmT1_PNSt15iterator_traitsISK_E10value_typeET2_T3_PNSL_ISQ_E10value_typeET4_jRbjT5_SW_jjP12ihipStream_tbEUlT_E2_NS1_11comp_targetILNS1_3genE9ELNS1_11target_archE1100ELNS1_3gpuE3ELNS1_3repE0EEENS1_30default_config_static_selectorELNS0_4arch9wavefront6targetE0EEEvSK_, .Lfunc_end221-_ZN7rocprim17ROCPRIM_400000_NS6detail17trampoline_kernelINS0_14default_configENS1_36segmented_radix_sort_config_selectorIhlEEZNS1_25segmented_radix_sort_implIS3_Lb0EPKhPhPKlPlN2at6native12_GLOBAL__N_18offset_tEEE10hipError_tPvRmT1_PNSt15iterator_traitsISK_E10value_typeET2_T3_PNSL_ISQ_E10value_typeET4_jRbjT5_SW_jjP12ihipStream_tbEUlT_E2_NS1_11comp_targetILNS1_3genE9ELNS1_11target_archE1100ELNS1_3gpuE3ELNS1_3repE0EEENS1_30default_config_static_selectorELNS0_4arch9wavefront6targetE0EEEvSK_
                                        ; -- End function
	.set _ZN7rocprim17ROCPRIM_400000_NS6detail17trampoline_kernelINS0_14default_configENS1_36segmented_radix_sort_config_selectorIhlEEZNS1_25segmented_radix_sort_implIS3_Lb0EPKhPhPKlPlN2at6native12_GLOBAL__N_18offset_tEEE10hipError_tPvRmT1_PNSt15iterator_traitsISK_E10value_typeET2_T3_PNSL_ISQ_E10value_typeET4_jRbjT5_SW_jjP12ihipStream_tbEUlT_E2_NS1_11comp_targetILNS1_3genE9ELNS1_11target_archE1100ELNS1_3gpuE3ELNS1_3repE0EEENS1_30default_config_static_selectorELNS0_4arch9wavefront6targetE0EEEvSK_.num_vgpr, 0
	.set _ZN7rocprim17ROCPRIM_400000_NS6detail17trampoline_kernelINS0_14default_configENS1_36segmented_radix_sort_config_selectorIhlEEZNS1_25segmented_radix_sort_implIS3_Lb0EPKhPhPKlPlN2at6native12_GLOBAL__N_18offset_tEEE10hipError_tPvRmT1_PNSt15iterator_traitsISK_E10value_typeET2_T3_PNSL_ISQ_E10value_typeET4_jRbjT5_SW_jjP12ihipStream_tbEUlT_E2_NS1_11comp_targetILNS1_3genE9ELNS1_11target_archE1100ELNS1_3gpuE3ELNS1_3repE0EEENS1_30default_config_static_selectorELNS0_4arch9wavefront6targetE0EEEvSK_.num_agpr, 0
	.set _ZN7rocprim17ROCPRIM_400000_NS6detail17trampoline_kernelINS0_14default_configENS1_36segmented_radix_sort_config_selectorIhlEEZNS1_25segmented_radix_sort_implIS3_Lb0EPKhPhPKlPlN2at6native12_GLOBAL__N_18offset_tEEE10hipError_tPvRmT1_PNSt15iterator_traitsISK_E10value_typeET2_T3_PNSL_ISQ_E10value_typeET4_jRbjT5_SW_jjP12ihipStream_tbEUlT_E2_NS1_11comp_targetILNS1_3genE9ELNS1_11target_archE1100ELNS1_3gpuE3ELNS1_3repE0EEENS1_30default_config_static_selectorELNS0_4arch9wavefront6targetE0EEEvSK_.numbered_sgpr, 0
	.set _ZN7rocprim17ROCPRIM_400000_NS6detail17trampoline_kernelINS0_14default_configENS1_36segmented_radix_sort_config_selectorIhlEEZNS1_25segmented_radix_sort_implIS3_Lb0EPKhPhPKlPlN2at6native12_GLOBAL__N_18offset_tEEE10hipError_tPvRmT1_PNSt15iterator_traitsISK_E10value_typeET2_T3_PNSL_ISQ_E10value_typeET4_jRbjT5_SW_jjP12ihipStream_tbEUlT_E2_NS1_11comp_targetILNS1_3genE9ELNS1_11target_archE1100ELNS1_3gpuE3ELNS1_3repE0EEENS1_30default_config_static_selectorELNS0_4arch9wavefront6targetE0EEEvSK_.num_named_barrier, 0
	.set _ZN7rocprim17ROCPRIM_400000_NS6detail17trampoline_kernelINS0_14default_configENS1_36segmented_radix_sort_config_selectorIhlEEZNS1_25segmented_radix_sort_implIS3_Lb0EPKhPhPKlPlN2at6native12_GLOBAL__N_18offset_tEEE10hipError_tPvRmT1_PNSt15iterator_traitsISK_E10value_typeET2_T3_PNSL_ISQ_E10value_typeET4_jRbjT5_SW_jjP12ihipStream_tbEUlT_E2_NS1_11comp_targetILNS1_3genE9ELNS1_11target_archE1100ELNS1_3gpuE3ELNS1_3repE0EEENS1_30default_config_static_selectorELNS0_4arch9wavefront6targetE0EEEvSK_.private_seg_size, 0
	.set _ZN7rocprim17ROCPRIM_400000_NS6detail17trampoline_kernelINS0_14default_configENS1_36segmented_radix_sort_config_selectorIhlEEZNS1_25segmented_radix_sort_implIS3_Lb0EPKhPhPKlPlN2at6native12_GLOBAL__N_18offset_tEEE10hipError_tPvRmT1_PNSt15iterator_traitsISK_E10value_typeET2_T3_PNSL_ISQ_E10value_typeET4_jRbjT5_SW_jjP12ihipStream_tbEUlT_E2_NS1_11comp_targetILNS1_3genE9ELNS1_11target_archE1100ELNS1_3gpuE3ELNS1_3repE0EEENS1_30default_config_static_selectorELNS0_4arch9wavefront6targetE0EEEvSK_.uses_vcc, 0
	.set _ZN7rocprim17ROCPRIM_400000_NS6detail17trampoline_kernelINS0_14default_configENS1_36segmented_radix_sort_config_selectorIhlEEZNS1_25segmented_radix_sort_implIS3_Lb0EPKhPhPKlPlN2at6native12_GLOBAL__N_18offset_tEEE10hipError_tPvRmT1_PNSt15iterator_traitsISK_E10value_typeET2_T3_PNSL_ISQ_E10value_typeET4_jRbjT5_SW_jjP12ihipStream_tbEUlT_E2_NS1_11comp_targetILNS1_3genE9ELNS1_11target_archE1100ELNS1_3gpuE3ELNS1_3repE0EEENS1_30default_config_static_selectorELNS0_4arch9wavefront6targetE0EEEvSK_.uses_flat_scratch, 0
	.set _ZN7rocprim17ROCPRIM_400000_NS6detail17trampoline_kernelINS0_14default_configENS1_36segmented_radix_sort_config_selectorIhlEEZNS1_25segmented_radix_sort_implIS3_Lb0EPKhPhPKlPlN2at6native12_GLOBAL__N_18offset_tEEE10hipError_tPvRmT1_PNSt15iterator_traitsISK_E10value_typeET2_T3_PNSL_ISQ_E10value_typeET4_jRbjT5_SW_jjP12ihipStream_tbEUlT_E2_NS1_11comp_targetILNS1_3genE9ELNS1_11target_archE1100ELNS1_3gpuE3ELNS1_3repE0EEENS1_30default_config_static_selectorELNS0_4arch9wavefront6targetE0EEEvSK_.has_dyn_sized_stack, 0
	.set _ZN7rocprim17ROCPRIM_400000_NS6detail17trampoline_kernelINS0_14default_configENS1_36segmented_radix_sort_config_selectorIhlEEZNS1_25segmented_radix_sort_implIS3_Lb0EPKhPhPKlPlN2at6native12_GLOBAL__N_18offset_tEEE10hipError_tPvRmT1_PNSt15iterator_traitsISK_E10value_typeET2_T3_PNSL_ISQ_E10value_typeET4_jRbjT5_SW_jjP12ihipStream_tbEUlT_E2_NS1_11comp_targetILNS1_3genE9ELNS1_11target_archE1100ELNS1_3gpuE3ELNS1_3repE0EEENS1_30default_config_static_selectorELNS0_4arch9wavefront6targetE0EEEvSK_.has_recursion, 0
	.set _ZN7rocprim17ROCPRIM_400000_NS6detail17trampoline_kernelINS0_14default_configENS1_36segmented_radix_sort_config_selectorIhlEEZNS1_25segmented_radix_sort_implIS3_Lb0EPKhPhPKlPlN2at6native12_GLOBAL__N_18offset_tEEE10hipError_tPvRmT1_PNSt15iterator_traitsISK_E10value_typeET2_T3_PNSL_ISQ_E10value_typeET4_jRbjT5_SW_jjP12ihipStream_tbEUlT_E2_NS1_11comp_targetILNS1_3genE9ELNS1_11target_archE1100ELNS1_3gpuE3ELNS1_3repE0EEENS1_30default_config_static_selectorELNS0_4arch9wavefront6targetE0EEEvSK_.has_indirect_call, 0
	.section	.AMDGPU.csdata,"",@progbits
; Kernel info:
; codeLenInByte = 0
; TotalNumSgprs: 0
; NumVgprs: 0
; ScratchSize: 0
; MemoryBound: 0
; FloatMode: 240
; IeeeMode: 1
; LDSByteSize: 0 bytes/workgroup (compile time only)
; SGPRBlocks: 0
; VGPRBlocks: 0
; NumSGPRsForWavesPerEU: 1
; NumVGPRsForWavesPerEU: 1
; Occupancy: 16
; WaveLimiterHint : 0
; COMPUTE_PGM_RSRC2:SCRATCH_EN: 0
; COMPUTE_PGM_RSRC2:USER_SGPR: 6
; COMPUTE_PGM_RSRC2:TRAP_HANDLER: 0
; COMPUTE_PGM_RSRC2:TGID_X_EN: 1
; COMPUTE_PGM_RSRC2:TGID_Y_EN: 0
; COMPUTE_PGM_RSRC2:TGID_Z_EN: 0
; COMPUTE_PGM_RSRC2:TIDIG_COMP_CNT: 0
	.section	.text._ZN7rocprim17ROCPRIM_400000_NS6detail17trampoline_kernelINS0_14default_configENS1_36segmented_radix_sort_config_selectorIhlEEZNS1_25segmented_radix_sort_implIS3_Lb0EPKhPhPKlPlN2at6native12_GLOBAL__N_18offset_tEEE10hipError_tPvRmT1_PNSt15iterator_traitsISK_E10value_typeET2_T3_PNSL_ISQ_E10value_typeET4_jRbjT5_SW_jjP12ihipStream_tbEUlT_E2_NS1_11comp_targetILNS1_3genE8ELNS1_11target_archE1030ELNS1_3gpuE2ELNS1_3repE0EEENS1_30default_config_static_selectorELNS0_4arch9wavefront6targetE0EEEvSK_,"axG",@progbits,_ZN7rocprim17ROCPRIM_400000_NS6detail17trampoline_kernelINS0_14default_configENS1_36segmented_radix_sort_config_selectorIhlEEZNS1_25segmented_radix_sort_implIS3_Lb0EPKhPhPKlPlN2at6native12_GLOBAL__N_18offset_tEEE10hipError_tPvRmT1_PNSt15iterator_traitsISK_E10value_typeET2_T3_PNSL_ISQ_E10value_typeET4_jRbjT5_SW_jjP12ihipStream_tbEUlT_E2_NS1_11comp_targetILNS1_3genE8ELNS1_11target_archE1030ELNS1_3gpuE2ELNS1_3repE0EEENS1_30default_config_static_selectorELNS0_4arch9wavefront6targetE0EEEvSK_,comdat
	.globl	_ZN7rocprim17ROCPRIM_400000_NS6detail17trampoline_kernelINS0_14default_configENS1_36segmented_radix_sort_config_selectorIhlEEZNS1_25segmented_radix_sort_implIS3_Lb0EPKhPhPKlPlN2at6native12_GLOBAL__N_18offset_tEEE10hipError_tPvRmT1_PNSt15iterator_traitsISK_E10value_typeET2_T3_PNSL_ISQ_E10value_typeET4_jRbjT5_SW_jjP12ihipStream_tbEUlT_E2_NS1_11comp_targetILNS1_3genE8ELNS1_11target_archE1030ELNS1_3gpuE2ELNS1_3repE0EEENS1_30default_config_static_selectorELNS0_4arch9wavefront6targetE0EEEvSK_ ; -- Begin function _ZN7rocprim17ROCPRIM_400000_NS6detail17trampoline_kernelINS0_14default_configENS1_36segmented_radix_sort_config_selectorIhlEEZNS1_25segmented_radix_sort_implIS3_Lb0EPKhPhPKlPlN2at6native12_GLOBAL__N_18offset_tEEE10hipError_tPvRmT1_PNSt15iterator_traitsISK_E10value_typeET2_T3_PNSL_ISQ_E10value_typeET4_jRbjT5_SW_jjP12ihipStream_tbEUlT_E2_NS1_11comp_targetILNS1_3genE8ELNS1_11target_archE1030ELNS1_3gpuE2ELNS1_3repE0EEENS1_30default_config_static_selectorELNS0_4arch9wavefront6targetE0EEEvSK_
	.p2align	8
	.type	_ZN7rocprim17ROCPRIM_400000_NS6detail17trampoline_kernelINS0_14default_configENS1_36segmented_radix_sort_config_selectorIhlEEZNS1_25segmented_radix_sort_implIS3_Lb0EPKhPhPKlPlN2at6native12_GLOBAL__N_18offset_tEEE10hipError_tPvRmT1_PNSt15iterator_traitsISK_E10value_typeET2_T3_PNSL_ISQ_E10value_typeET4_jRbjT5_SW_jjP12ihipStream_tbEUlT_E2_NS1_11comp_targetILNS1_3genE8ELNS1_11target_archE1030ELNS1_3gpuE2ELNS1_3repE0EEENS1_30default_config_static_selectorELNS0_4arch9wavefront6targetE0EEEvSK_,@function
_ZN7rocprim17ROCPRIM_400000_NS6detail17trampoline_kernelINS0_14default_configENS1_36segmented_radix_sort_config_selectorIhlEEZNS1_25segmented_radix_sort_implIS3_Lb0EPKhPhPKlPlN2at6native12_GLOBAL__N_18offset_tEEE10hipError_tPvRmT1_PNSt15iterator_traitsISK_E10value_typeET2_T3_PNSL_ISQ_E10value_typeET4_jRbjT5_SW_jjP12ihipStream_tbEUlT_E2_NS1_11comp_targetILNS1_3genE8ELNS1_11target_archE1030ELNS1_3gpuE2ELNS1_3repE0EEENS1_30default_config_static_selectorELNS0_4arch9wavefront6targetE0EEEvSK_: ; @_ZN7rocprim17ROCPRIM_400000_NS6detail17trampoline_kernelINS0_14default_configENS1_36segmented_radix_sort_config_selectorIhlEEZNS1_25segmented_radix_sort_implIS3_Lb0EPKhPhPKlPlN2at6native12_GLOBAL__N_18offset_tEEE10hipError_tPvRmT1_PNSt15iterator_traitsISK_E10value_typeET2_T3_PNSL_ISQ_E10value_typeET4_jRbjT5_SW_jjP12ihipStream_tbEUlT_E2_NS1_11comp_targetILNS1_3genE8ELNS1_11target_archE1030ELNS1_3gpuE2ELNS1_3repE0EEENS1_30default_config_static_selectorELNS0_4arch9wavefront6targetE0EEEvSK_
; %bb.0:
	s_add_u32 s0, s0, s8
	s_load_dwordx4 s[8:11], s[4:5], 0x34
	s_addc_u32 s1, s1, 0
	s_mov_b32 s32, 0
	s_waitcnt lgkmcnt(0)
	s_add_i32 s58, s9, s6
	s_add_i32 s59, s11, s6
	s_mul_i32 s58, s58, s8
	s_mul_i32 s59, s59, s10
	s_cmp_le_u32 s59, s58
	s_cbranch_scc1 .LBB222_1262
; %bb.1:
	s_clause 0x3
	s_load_dword s8, s[4:5], 0x30
	s_load_dwordx4 s[52:55], s[4:5], 0x20
	s_load_dwordx4 s[40:43], s[4:5], 0x44
	s_load_dwordx8 s[44:51], s[4:5], 0x0
	s_waitcnt lgkmcnt(0)
	s_bitcmp1_b32 s8, 0
	s_mov_b32 s8, -1
	s_cselect_b32 s43, -1, 0
	s_sub_i32 s60, s59, s58
	s_cmpk_lt_u32 s60, 0x1101
	s_cbranch_scc0 .LBB222_15
; %bb.2:
	s_cmpk_lt_u32 s60, 0x81
	s_cbranch_scc0 .LBB222_9
; %bb.3:
	s_load_dword s8, s[4:5], 0x5c
	s_mov_b32 s19, exec_lo
	s_waitcnt lgkmcnt(0)
	s_lshr_b32 s9, s8, 16
	s_and_b32 s8, s8, 0xffff
	v_mad_u32_u24 v3, v2, s9, v1
	v_mad_u64_u32 v[3:4], null, v3, s8, v[0:1]
	v_cmpx_gt_u32_e32 32, v3
	s_cbranch_execz .LBB222_8
; %bb.4:
	v_cndmask_b32_e64 v3, 0, 1, s43
	s_and_b32 s8, s40, 1
	v_cmp_ne_u32_e32 vcc_lo, s8, v3
	s_mov_b32 s8, -1
	s_cbranch_vccnz .LBB222_6
; %bb.5:
	v_lshlrev_b32_e32 v3, 20, v2
	v_lshlrev_b32_e32 v4, 10, v1
	s_mov_b64 s[10:11], src_shared_base
	v_mov_b32_e32 v40, v0
	v_mov_b32_e32 v41, v1
	;; [unrolled: 1-line block ×3, first 2 shown]
	v_or3_b32 v31, v0, v4, v3
	v_mov_b32_e32 v0, s44
	v_mov_b32_e32 v42, v2
	v_mov_b32_e32 v2, s48
	v_mov_b32_e32 v3, s49
	v_mov_b32_e32 v4, s50
	v_mov_b32_e32 v5, s51
	v_mov_b32_e32 v6, s54
	v_mov_b32_e32 v7, s55
	v_mov_b32_e32 v8, s58
	v_mov_b32_e32 v9, s59
	v_mov_b32_e32 v10, s41
	v_mov_b32_e32 v11, s42
	v_mov_b32_e32 v12, 0
	v_mov_b32_e32 v13, s11
	s_add_u32 s8, s4, 0x50
	s_addc_u32 s9, s5, 0
	s_getpc_b64 s[14:15]
	s_add_u32 s14, s14, _ZN7rocprim17ROCPRIM_400000_NS6detail26segmented_warp_sort_helperINS1_20WarpSortHelperConfigILj32ELj4ELj256EEEhlLi256ELb0EvE4sortIPKhPhPKlPlEEvT_T0_T1_T2_jjjjRNS5_12storage_typeE@rel32@lo+4
	s_addc_u32 s15, s15, _ZN7rocprim17ROCPRIM_400000_NS6detail26segmented_warp_sort_helperINS1_20WarpSortHelperConfigILj32ELj4ELj256EEEhlLi256ELb0EvE4sortIPKhPhPKlPlEEvT_T0_T1_T2_jjjjRNS5_12storage_typeE@rel32@hi+12
	s_mov_b32 s12, s6
	s_mov_b32 s13, s7
	s_mov_b64 s[20:21], s[4:5]
	s_mov_b32 s22, s7
	s_mov_b32 s23, s6
	s_swappc_b64 s[30:31], s[14:15]
	v_mov_b32_e32 v1, v41
	v_mov_b32_e32 v2, v42
	;; [unrolled: 1-line block ×3, first 2 shown]
	s_mov_b32 s6, s23
	s_mov_b32 s7, s22
	s_mov_b64 s[4:5], s[20:21]
	s_mov_b32 s8, 0
.LBB222_6:
	s_andn2_b32 vcc_lo, exec_lo, s8
	s_cbranch_vccnz .LBB222_8
; %bb.7:
	v_lshlrev_b32_e32 v3, 20, v2
	v_lshlrev_b32_e32 v4, 10, v1
	s_mov_b64 s[10:11], src_shared_base
	v_mov_b32_e32 v40, v0
	v_mov_b32_e32 v41, v1
	;; [unrolled: 1-line block ×3, first 2 shown]
	v_or3_b32 v31, v0, v4, v3
	v_mov_b32_e32 v0, s44
	v_mov_b32_e32 v42, v2
	;; [unrolled: 1-line block ×14, first 2 shown]
	s_add_u32 s8, s4, 0x50
	s_addc_u32 s9, s5, 0
	s_getpc_b64 s[14:15]
	s_add_u32 s14, s14, _ZN7rocprim17ROCPRIM_400000_NS6detail26segmented_warp_sort_helperINS1_20WarpSortHelperConfigILj32ELj4ELj256EEEhlLi256ELb0EvE4sortIPKhPhPKlPlEEvT_T0_T1_T2_jjjjRNS5_12storage_typeE@rel32@lo+4
	s_addc_u32 s15, s15, _ZN7rocprim17ROCPRIM_400000_NS6detail26segmented_warp_sort_helperINS1_20WarpSortHelperConfigILj32ELj4ELj256EEEhlLi256ELb0EvE4sortIPKhPhPKlPlEEvT_T0_T1_T2_jjjjRNS5_12storage_typeE@rel32@hi+12
	s_mov_b32 s12, s6
	s_mov_b32 s13, s7
	s_mov_b64 s[20:21], s[4:5]
	s_mov_b32 s23, s7
	s_mov_b32 s22, s6
	s_swappc_b64 s[30:31], s[14:15]
	v_mov_b32_e32 v1, v41
	v_mov_b32_e32 v2, v42
	;; [unrolled: 1-line block ×3, first 2 shown]
	s_mov_b32 s6, s22
	s_mov_b32 s7, s23
	s_mov_b64 s[4:5], s[20:21]
.LBB222_8:
	s_or_b32 exec_lo, exec_lo, s19
	s_mov_b32 s8, 0
.LBB222_9:
	s_andn2_b32 vcc_lo, exec_lo, s8
	s_cbranch_vccnz .LBB222_14
; %bb.10:
	v_cndmask_b32_e64 v3, 0, 1, s43
	s_and_b32 s8, s40, 1
	v_lshlrev_b32_e32 v41, 20, v2
	v_lshlrev_b32_e32 v42, 10, v1
	v_cmp_ne_u32_e32 vcc_lo, s8, v3
	s_mov_b32 s8, -1
	s_cbranch_vccnz .LBB222_12
; %bb.11:
	s_mov_b64 s[10:11], src_shared_base
	v_or3_b32 v31, v0, v42, v41
	v_mov_b32_e32 v40, v0
	v_mov_b32_e32 v0, s44
	;; [unrolled: 1-line block ×17, first 2 shown]
	s_add_u32 s8, s4, 0x50
	s_addc_u32 s9, s5, 0
	s_getpc_b64 s[14:15]
	s_add_u32 s14, s14, _ZN7rocprim17ROCPRIM_400000_NS6detail40segmented_radix_sort_single_block_helperIhlLj256ELj17ELb0EE4sortIPKhPhPKlPlEEbT_T0_T1_T2_jjjjRNS3_12storage_typeE@rel32@lo+4
	s_addc_u32 s15, s15, _ZN7rocprim17ROCPRIM_400000_NS6detail40segmented_radix_sort_single_block_helperIhlLj256ELj17ELb0EE4sortIPKhPhPKlPlEEbT_T0_T1_T2_jjjjRNS3_12storage_typeE@rel32@hi+12
	s_mov_b32 s12, s6
	s_mov_b32 s13, s7
	s_mov_b64 s[28:29], s[4:5]
	s_mov_b32 s33, s7
	s_mov_b32 s34, s6
	s_swappc_b64 s[30:31], s[14:15]
	v_mov_b32_e32 v1, v43
	v_mov_b32_e32 v2, v44
	;; [unrolled: 1-line block ×3, first 2 shown]
	s_mov_b32 s6, s34
	s_mov_b32 s7, s33
	s_mov_b64 s[4:5], s[28:29]
	s_mov_b32 s8, 0
.LBB222_12:
	s_andn2_b32 vcc_lo, exec_lo, s8
	s_cbranch_vccnz .LBB222_14
; %bb.13:
	s_mov_b64 s[10:11], src_shared_base
	v_or3_b32 v31, v0, v42, v41
	v_mov_b32_e32 v40, v0
	v_mov_b32_e32 v0, s44
	;; [unrolled: 1-line block ×17, first 2 shown]
	s_add_u32 s8, s4, 0x50
	s_addc_u32 s9, s5, 0
	s_getpc_b64 s[14:15]
	s_add_u32 s14, s14, _ZN7rocprim17ROCPRIM_400000_NS6detail40segmented_radix_sort_single_block_helperIhlLj256ELj17ELb0EE4sortIPKhPhPKlPlEEbT_T0_T1_T2_jjjjRNS3_12storage_typeE@rel32@lo+4
	s_addc_u32 s15, s15, _ZN7rocprim17ROCPRIM_400000_NS6detail40segmented_radix_sort_single_block_helperIhlLj256ELj17ELb0EE4sortIPKhPhPKlPlEEbT_T0_T1_T2_jjjjRNS3_12storage_typeE@rel32@hi+12
	s_mov_b32 s12, s6
	s_mov_b32 s13, s7
	s_mov_b64 s[28:29], s[4:5]
	s_mov_b32 s34, s7
	s_mov_b32 s33, s6
	s_swappc_b64 s[30:31], s[14:15]
	v_mov_b32_e32 v1, v41
	v_mov_b32_e32 v2, v42
	;; [unrolled: 1-line block ×3, first 2 shown]
	s_mov_b32 s6, s33
	s_mov_b32 s7, s34
	s_mov_b64 s[4:5], s[28:29]
.LBB222_14:
	s_mov_b32 s8, 0
.LBB222_15:
	s_andn2_b32 vcc_lo, exec_lo, s8
	s_cbranch_vccnz .LBB222_1262
; %bb.16:
	s_cmp_ge_u32 s41, s42
	s_cbranch_scc1 .LBB222_1262
; %bb.17:
	v_lshlrev_b32_e32 v43, 2, v0
	v_and_b32_e32 v3, 3, v0
	v_and_b32_e32 v5, 0xe0, v0
	s_add_u32 s56, s4, 0x50
	v_lshrrev_b32_e32 v7, 3, v0
	v_mad_u32_u24 v64, v0, 12, v43
	v_lshlrev_b32_e32 v63, 2, v3
	v_min_u32_e32 v6, 0x60, v5
	v_or_b32_e32 v3, 31, v5
	v_mul_u32_u24_e32 v68, 17, v5
	v_add_nc_u32_e32 v69, v64, v43
	v_lshlrev_b32_e32 v5, 4, v0
	v_or_b32_e32 v6, 31, v6
	v_cmp_eq_u32_e64 s4, v0, v3
	v_add_nc_u32_e32 v3, 1, v0
	v_mbcnt_lo_u32_b32 v86, -1, 0
	v_sub_nc_u32_e32 v70, v69, v5
	v_lshlrev_b32_e32 v5, 3, v68
	v_cmp_eq_u32_e64 s9, v0, v6
	v_mul_u32_u24_e32 v71, 36, v3
	v_cmp_ne_u32_e64 s14, 0x80, v3
	v_and_b32_e32 v62, 28, v7
	v_add_co_u32 v73, s15, s54, v5
	v_add_co_ci_u32_e64 v74, null, s55, 0, s15
	v_add_co_u32 v3, s15, s48, v68
	v_add_co_ci_u32_e64 v6, null, s49, 0, s15
	;; [unrolled: 2-line block ×6, first 2 shown]
	v_add_co_u32 v84, s15, s50, v5
	v_add_co_u32 v45, s8, s48, v0
	v_add_co_ci_u32_e64 v85, null, s51, 0, s15
	v_add_co_u32 v87, s15, s44, v68
	v_add_co_u32 v90, vcc_lo, v3, v86
	v_mov_b32_e32 v4, 0
	v_or_b32_e32 v44, 0x100, v0
	v_add_co_ci_u32_e64 v46, null, s49, 0, s8
	v_or_b32_e32 v47, 0x200, v0
	v_or_b32_e32 v48, 0x300, v0
	;; [unrolled: 1-line block ×15, first 2 shown]
	v_cmp_gt_u32_e64 s8, 0x80, v0
	v_or_b32_e32 v65, 0x8a00, v62
	v_cmp_gt_u32_e64 s10, 4, v0
	v_add_nc_u32_e32 v66, 0x8a00, v43
	v_cmp_lt_u32_e64 s11, 31, v0
	v_add_nc_u32_e32 v67, 0x89fc, v62
	v_cmp_gt_u32_e64 s12, 8, v0
	v_cmp_eq_u32_e64 s13, 0, v0
	v_lshlrev_b32_e32 v72, 5, v0
	v_mul_u32_u24_e32 v75, 7, v0
	v_add_co_ci_u32_e64 v88, null, s45, 0, s15
	v_mov_b32_e32 v89, 1
	v_add_co_ci_u32_e64 v91, null, 0, v6, vcc_lo
	s_addc_u32 s57, s5, 0
	s_mov_b32 s51, 0
	s_mov_b32 s61, s41
	s_branch .LBB222_20
.LBB222_18:                             ;   in Loop: Header=BB222_20 Depth=1
	s_waitcnt lgkmcnt(0)
	s_barrier
.LBB222_19:                             ;   in Loop: Header=BB222_20 Depth=1
	s_add_i32 s61, s61, 7
	buffer_gl0_inv
	s_cmp_ge_u32 s61, s42
	s_cbranch_scc1 .LBB222_1262
.LBB222_20:                             ; =>This Loop Header: Depth=1
                                        ;     Child Loop BB222_24 Depth 2
                                        ;     Child Loop BB222_108 Depth 2
	;; [unrolled: 1-line block ×8, first 2 shown]
	s_sub_i32 s5, s42, s61
	s_xor_b32 s43, s43, -1
	s_min_u32 s5, s5, 7
	ds_write2st64_b32 v43, v4, v4 offset1:4
	s_lshl_b32 s5, -1, s5
	s_waitcnt lgkmcnt(0)
	s_waitcnt_vscnt null, 0x0
	s_not_b32 s62, s5
	s_cmp_lg_u32 s61, s41
	s_mov_b32 s5, -1
	s_cbranch_scc0 .LBB222_642
; %bb.21:                               ;   in Loop: Header=BB222_20 Depth=1
	s_and_b32 vcc_lo, exec_lo, s43
	s_cbranch_vccz .LBB222_331
; %bb.22:                               ;   in Loop: Header=BB222_20 Depth=1
	v_mov_b32_e32 v17, 0
	v_mov_b32_e32 v20, 0
	;; [unrolled: 1-line block ×17, first 2 shown]
	s_mov_b32 s5, s60
	s_mov_b32 s17, s58
	s_barrier
	buffer_gl0_inv
	s_branch .LBB222_24
.LBB222_23:                             ;   in Loop: Header=BB222_24 Depth=2
	s_or_b32 exec_lo, exec_lo, s16
	s_addk_i32 s5, 0xef00
	s_cmp_ge_u32 s15, s59
	s_mov_b32 s17, s15
	s_cbranch_scc1 .LBB222_96
.LBB222_24:                             ;   Parent Loop BB222_20 Depth=1
                                        ; =>  This Inner Loop Header: Depth=2
	s_add_i32 s15, s17, 0x1100
	s_mov_b32 s16, -1
	s_cmp_gt_u32 s15, s59
                                        ; implicit-def: $vgpr21
                                        ; implicit-def: $vgpr22
                                        ; implicit-def: $vgpr23
                                        ; implicit-def: $vgpr24
                                        ; implicit-def: $vgpr25
                                        ; implicit-def: $vgpr26
                                        ; implicit-def: $vgpr27
                                        ; implicit-def: $vgpr28
                                        ; implicit-def: $vgpr29
                                        ; implicit-def: $vgpr30
                                        ; implicit-def: $vgpr31
                                        ; implicit-def: $vgpr32
                                        ; implicit-def: $vgpr33
                                        ; implicit-def: $vgpr34
                                        ; implicit-def: $vgpr35
                                        ; implicit-def: $vgpr36
                                        ; implicit-def: $vgpr37
	s_cbranch_scc1 .LBB222_26
; %bb.25:                               ;   in Loop: Header=BB222_24 Depth=2
	v_add_co_u32 v38, vcc_lo, v45, s17
	v_add_co_ci_u32_e64 v39, null, 0, v46, vcc_lo
	s_mov_b32 s16, 0
	v_add_co_u32 v21, vcc_lo, 0x800, v38
	v_add_co_ci_u32_e64 v22, null, 0, v39, vcc_lo
	v_add_co_u32 v23, vcc_lo, 0x1000, v38
	v_add_co_ci_u32_e64 v24, null, 0, v39, vcc_lo
	s_clause 0x10
	global_load_ubyte v36, v[21:22], off offset:1792
	global_load_ubyte v37, v[23:24], off
	global_load_ubyte v35, v[21:22], off offset:1536
	global_load_ubyte v34, v[21:22], off offset:1280
	global_load_ubyte v33, v[21:22], off offset:1024
	global_load_ubyte v32, v[21:22], off offset:768
	global_load_ubyte v31, v[21:22], off offset:512
	global_load_ubyte v30, v[21:22], off offset:256
	global_load_ubyte v29, v[21:22], off
	global_load_ubyte v28, v[38:39], off offset:1792
	global_load_ubyte v27, v[38:39], off offset:1536
	;; [unrolled: 1-line block ×7, first 2 shown]
	global_load_ubyte v21, v[38:39], off
.LBB222_26:                             ;   in Loop: Header=BB222_24 Depth=2
	s_andn2_b32 vcc_lo, exec_lo, s16
	s_movk_i32 s16, 0x1100
	s_cbranch_vccnz .LBB222_46
; %bb.27:                               ;   in Loop: Header=BB222_24 Depth=2
	s_add_u32 s16, s48, s17
	s_addc_u32 s17, s49, 0
	s_mov_b32 s18, exec_lo
	v_cmpx_gt_u32_e64 s5, v0
	s_cbranch_execnz .LBB222_80
; %bb.28:                               ;   in Loop: Header=BB222_24 Depth=2
	s_or_b32 exec_lo, exec_lo, s18
	s_mov_b32 s18, exec_lo
	v_cmpx_gt_u32_e64 s5, v44
	s_cbranch_execnz .LBB222_81
.LBB222_29:                             ;   in Loop: Header=BB222_24 Depth=2
	s_or_b32 exec_lo, exec_lo, s18
	s_mov_b32 s18, exec_lo
	v_cmpx_gt_u32_e64 s5, v47
	s_cbranch_execnz .LBB222_82
.LBB222_30:                             ;   in Loop: Header=BB222_24 Depth=2
	s_or_b32 exec_lo, exec_lo, s18
	s_mov_b32 s18, exec_lo
	v_cmpx_gt_u32_e64 s5, v48
	s_cbranch_execnz .LBB222_83
.LBB222_31:                             ;   in Loop: Header=BB222_24 Depth=2
	s_or_b32 exec_lo, exec_lo, s18
	s_mov_b32 s18, exec_lo
	v_cmpx_gt_u32_e64 s5, v49
	s_cbranch_execnz .LBB222_84
.LBB222_32:                             ;   in Loop: Header=BB222_24 Depth=2
	s_or_b32 exec_lo, exec_lo, s18
	s_mov_b32 s18, exec_lo
	v_cmpx_gt_u32_e64 s5, v50
	s_cbranch_execnz .LBB222_85
.LBB222_33:                             ;   in Loop: Header=BB222_24 Depth=2
	s_or_b32 exec_lo, exec_lo, s18
	s_mov_b32 s18, exec_lo
	v_cmpx_gt_u32_e64 s5, v51
	s_cbranch_execnz .LBB222_86
.LBB222_34:                             ;   in Loop: Header=BB222_24 Depth=2
	s_or_b32 exec_lo, exec_lo, s18
	s_mov_b32 s18, exec_lo
	v_cmpx_gt_u32_e64 s5, v52
	s_cbranch_execnz .LBB222_87
.LBB222_35:                             ;   in Loop: Header=BB222_24 Depth=2
	s_or_b32 exec_lo, exec_lo, s18
	s_mov_b32 s18, exec_lo
	v_cmpx_gt_u32_e64 s5, v53
	s_cbranch_execnz .LBB222_88
.LBB222_36:                             ;   in Loop: Header=BB222_24 Depth=2
	s_or_b32 exec_lo, exec_lo, s18
	s_mov_b32 s18, exec_lo
	v_cmpx_gt_u32_e64 s5, v54
	s_cbranch_execnz .LBB222_89
.LBB222_37:                             ;   in Loop: Header=BB222_24 Depth=2
	s_or_b32 exec_lo, exec_lo, s18
	s_mov_b32 s18, exec_lo
	v_cmpx_gt_u32_e64 s5, v55
	s_cbranch_execnz .LBB222_90
.LBB222_38:                             ;   in Loop: Header=BB222_24 Depth=2
	s_or_b32 exec_lo, exec_lo, s18
	s_mov_b32 s18, exec_lo
	v_cmpx_gt_u32_e64 s5, v56
	s_cbranch_execnz .LBB222_91
.LBB222_39:                             ;   in Loop: Header=BB222_24 Depth=2
	s_or_b32 exec_lo, exec_lo, s18
	s_mov_b32 s18, exec_lo
	v_cmpx_gt_u32_e64 s5, v57
	s_cbranch_execnz .LBB222_92
.LBB222_40:                             ;   in Loop: Header=BB222_24 Depth=2
	s_or_b32 exec_lo, exec_lo, s18
	s_mov_b32 s18, exec_lo
	v_cmpx_gt_u32_e64 s5, v58
	s_cbranch_execnz .LBB222_93
.LBB222_41:                             ;   in Loop: Header=BB222_24 Depth=2
	s_or_b32 exec_lo, exec_lo, s18
	s_mov_b32 s18, exec_lo
	v_cmpx_gt_u32_e64 s5, v59
	s_cbranch_execnz .LBB222_94
.LBB222_42:                             ;   in Loop: Header=BB222_24 Depth=2
	s_or_b32 exec_lo, exec_lo, s18
	s_mov_b32 s18, exec_lo
	v_cmpx_gt_u32_e64 s5, v60
	s_cbranch_execnz .LBB222_95
.LBB222_43:                             ;   in Loop: Header=BB222_24 Depth=2
	s_or_b32 exec_lo, exec_lo, s18
	s_mov_b32 s18, exec_lo
	v_cmpx_gt_u32_e64 s5, v61
	s_cbranch_execz .LBB222_45
.LBB222_44:                             ;   in Loop: Header=BB222_24 Depth=2
	s_waitcnt vmcnt(0)
	v_add_co_u32 v21, s16, s16, v61
	v_add_co_ci_u32_e64 v22, null, s17, 0, s16
	global_load_ubyte v3, v[21:22], off
.LBB222_45:                             ;   in Loop: Header=BB222_24 Depth=2
	s_or_b32 exec_lo, exec_lo, s18
	s_waitcnt vmcnt(0)
	v_mov_b32_e32 v21, v17
	v_mov_b32_e32 v22, v20
	;; [unrolled: 1-line block ×17, first 2 shown]
	s_mov_b32 s16, s5
.LBB222_46:                             ;   in Loop: Header=BB222_24 Depth=2
	s_waitcnt vmcnt(15)
	v_mov_b32_e32 v3, v37
	v_mov_b32_e32 v5, v36
	s_waitcnt vmcnt(14)
	v_mov_b32_e32 v6, v35
	s_waitcnt vmcnt(13)
	v_mov_b32_e32 v7, v34
	s_waitcnt vmcnt(12)
	v_mov_b32_e32 v8, v33
	s_waitcnt vmcnt(11)
	v_mov_b32_e32 v9, v32
	s_waitcnt vmcnt(10)
	v_mov_b32_e32 v10, v31
	s_waitcnt vmcnt(9)
	v_mov_b32_e32 v11, v30
	s_waitcnt vmcnt(8)
	v_mov_b32_e32 v12, v29
	s_waitcnt vmcnt(7)
	v_mov_b32_e32 v13, v28
	s_waitcnt vmcnt(6)
	v_mov_b32_e32 v14, v27
	s_waitcnt vmcnt(5)
	v_mov_b32_e32 v15, v26
	s_waitcnt vmcnt(4)
	v_mov_b32_e32 v16, v25
	s_waitcnt vmcnt(3)
	v_mov_b32_e32 v18, v24
	s_waitcnt vmcnt(2)
	v_mov_b32_e32 v19, v23
	s_waitcnt vmcnt(1)
	v_mov_b32_e32 v20, v22
	s_waitcnt vmcnt(0)
	v_mov_b32_e32 v17, v21
	s_mov_b32 s17, exec_lo
	v_cmpx_gt_u32_e64 s16, v0
	s_cbranch_execnz .LBB222_63
; %bb.47:                               ;   in Loop: Header=BB222_24 Depth=2
	s_or_b32 exec_lo, exec_lo, s17
	s_mov_b32 s17, exec_lo
	v_cmpx_gt_u32_e64 s16, v44
	s_cbranch_execnz .LBB222_64
.LBB222_48:                             ;   in Loop: Header=BB222_24 Depth=2
	s_or_b32 exec_lo, exec_lo, s17
	s_mov_b32 s17, exec_lo
	v_cmpx_gt_u32_e64 s16, v47
	s_cbranch_execnz .LBB222_65
.LBB222_49:                             ;   in Loop: Header=BB222_24 Depth=2
	s_or_b32 exec_lo, exec_lo, s17
	s_mov_b32 s17, exec_lo
	v_cmpx_gt_u32_e64 s16, v48
	s_cbranch_execnz .LBB222_66
.LBB222_50:                             ;   in Loop: Header=BB222_24 Depth=2
	s_or_b32 exec_lo, exec_lo, s17
	s_mov_b32 s17, exec_lo
	v_cmpx_gt_u32_e64 s16, v49
	s_cbranch_execnz .LBB222_67
.LBB222_51:                             ;   in Loop: Header=BB222_24 Depth=2
	s_or_b32 exec_lo, exec_lo, s17
	s_mov_b32 s17, exec_lo
	v_cmpx_gt_u32_e64 s16, v50
	s_cbranch_execnz .LBB222_68
.LBB222_52:                             ;   in Loop: Header=BB222_24 Depth=2
	s_or_b32 exec_lo, exec_lo, s17
	s_mov_b32 s17, exec_lo
	v_cmpx_gt_u32_e64 s16, v51
	s_cbranch_execnz .LBB222_69
.LBB222_53:                             ;   in Loop: Header=BB222_24 Depth=2
	s_or_b32 exec_lo, exec_lo, s17
	s_mov_b32 s17, exec_lo
	v_cmpx_gt_u32_e64 s16, v52
	s_cbranch_execnz .LBB222_70
.LBB222_54:                             ;   in Loop: Header=BB222_24 Depth=2
	s_or_b32 exec_lo, exec_lo, s17
	s_mov_b32 s17, exec_lo
	v_cmpx_gt_u32_e64 s16, v53
	s_cbranch_execnz .LBB222_71
.LBB222_55:                             ;   in Loop: Header=BB222_24 Depth=2
	s_or_b32 exec_lo, exec_lo, s17
	s_mov_b32 s17, exec_lo
	v_cmpx_gt_u32_e64 s16, v54
	s_cbranch_execnz .LBB222_72
.LBB222_56:                             ;   in Loop: Header=BB222_24 Depth=2
	s_or_b32 exec_lo, exec_lo, s17
	s_mov_b32 s17, exec_lo
	v_cmpx_gt_u32_e64 s16, v55
	s_cbranch_execnz .LBB222_73
.LBB222_57:                             ;   in Loop: Header=BB222_24 Depth=2
	s_or_b32 exec_lo, exec_lo, s17
	s_mov_b32 s17, exec_lo
	v_cmpx_gt_u32_e64 s16, v56
	s_cbranch_execnz .LBB222_74
.LBB222_58:                             ;   in Loop: Header=BB222_24 Depth=2
	s_or_b32 exec_lo, exec_lo, s17
	s_mov_b32 s17, exec_lo
	v_cmpx_gt_u32_e64 s16, v57
	s_cbranch_execnz .LBB222_75
.LBB222_59:                             ;   in Loop: Header=BB222_24 Depth=2
	s_or_b32 exec_lo, exec_lo, s17
	s_mov_b32 s17, exec_lo
	v_cmpx_gt_u32_e64 s16, v58
	s_cbranch_execnz .LBB222_76
.LBB222_60:                             ;   in Loop: Header=BB222_24 Depth=2
	s_or_b32 exec_lo, exec_lo, s17
	s_mov_b32 s17, exec_lo
	v_cmpx_gt_u32_e64 s16, v59
	s_cbranch_execnz .LBB222_77
.LBB222_61:                             ;   in Loop: Header=BB222_24 Depth=2
	s_or_b32 exec_lo, exec_lo, s17
	s_mov_b32 s17, exec_lo
	v_cmpx_gt_u32_e64 s16, v60
	s_cbranch_execnz .LBB222_78
.LBB222_62:                             ;   in Loop: Header=BB222_24 Depth=2
	s_or_b32 exec_lo, exec_lo, s17
	v_cmp_gt_u32_e32 vcc_lo, s16, v61
	s_and_saveexec_b32 s16, vcc_lo
	s_cbranch_execz .LBB222_23
	s_branch .LBB222_79
.LBB222_63:                             ;   in Loop: Header=BB222_24 Depth=2
	v_lshrrev_b32_sdwa v21, s61, v17 dst_sel:DWORD dst_unused:UNUSED_PAD src0_sel:DWORD src1_sel:BYTE_0
	v_and_b32_e32 v21, s62, v21
	v_lshl_or_b32 v21, v21, 4, v63
	ds_add_u32 v21, v89
	s_or_b32 exec_lo, exec_lo, s17
	s_mov_b32 s17, exec_lo
	v_cmpx_gt_u32_e64 s16, v44
	s_cbranch_execz .LBB222_48
.LBB222_64:                             ;   in Loop: Header=BB222_24 Depth=2
	v_lshrrev_b32_sdwa v21, s61, v20 dst_sel:DWORD dst_unused:UNUSED_PAD src0_sel:DWORD src1_sel:BYTE_0
	v_and_b32_e32 v21, s62, v21
	v_lshl_or_b32 v21, v21, 4, v63
	ds_add_u32 v21, v89
	s_or_b32 exec_lo, exec_lo, s17
	s_mov_b32 s17, exec_lo
	v_cmpx_gt_u32_e64 s16, v47
	s_cbranch_execz .LBB222_49
.LBB222_65:                             ;   in Loop: Header=BB222_24 Depth=2
	v_lshrrev_b32_sdwa v21, s61, v19 dst_sel:DWORD dst_unused:UNUSED_PAD src0_sel:DWORD src1_sel:BYTE_0
	v_and_b32_e32 v21, s62, v21
	v_lshl_or_b32 v21, v21, 4, v63
	ds_add_u32 v21, v89
	s_or_b32 exec_lo, exec_lo, s17
	s_mov_b32 s17, exec_lo
	v_cmpx_gt_u32_e64 s16, v48
	s_cbranch_execz .LBB222_50
.LBB222_66:                             ;   in Loop: Header=BB222_24 Depth=2
	v_lshrrev_b32_sdwa v21, s61, v18 dst_sel:DWORD dst_unused:UNUSED_PAD src0_sel:DWORD src1_sel:BYTE_0
	v_and_b32_e32 v21, s62, v21
	v_lshl_or_b32 v21, v21, 4, v63
	ds_add_u32 v21, v89
	s_or_b32 exec_lo, exec_lo, s17
	s_mov_b32 s17, exec_lo
	v_cmpx_gt_u32_e64 s16, v49
	s_cbranch_execz .LBB222_51
.LBB222_67:                             ;   in Loop: Header=BB222_24 Depth=2
	v_lshrrev_b32_sdwa v21, s61, v16 dst_sel:DWORD dst_unused:UNUSED_PAD src0_sel:DWORD src1_sel:BYTE_0
	v_and_b32_e32 v21, s62, v21
	v_lshl_or_b32 v21, v21, 4, v63
	ds_add_u32 v21, v89
	s_or_b32 exec_lo, exec_lo, s17
	s_mov_b32 s17, exec_lo
	v_cmpx_gt_u32_e64 s16, v50
	s_cbranch_execz .LBB222_52
.LBB222_68:                             ;   in Loop: Header=BB222_24 Depth=2
	v_lshrrev_b32_sdwa v21, s61, v15 dst_sel:DWORD dst_unused:UNUSED_PAD src0_sel:DWORD src1_sel:BYTE_0
	v_and_b32_e32 v21, s62, v21
	v_lshl_or_b32 v21, v21, 4, v63
	ds_add_u32 v21, v89
	s_or_b32 exec_lo, exec_lo, s17
	s_mov_b32 s17, exec_lo
	v_cmpx_gt_u32_e64 s16, v51
	s_cbranch_execz .LBB222_53
.LBB222_69:                             ;   in Loop: Header=BB222_24 Depth=2
	v_lshrrev_b32_sdwa v21, s61, v14 dst_sel:DWORD dst_unused:UNUSED_PAD src0_sel:DWORD src1_sel:BYTE_0
	v_and_b32_e32 v21, s62, v21
	v_lshl_or_b32 v21, v21, 4, v63
	ds_add_u32 v21, v89
	s_or_b32 exec_lo, exec_lo, s17
	s_mov_b32 s17, exec_lo
	v_cmpx_gt_u32_e64 s16, v52
	s_cbranch_execz .LBB222_54
.LBB222_70:                             ;   in Loop: Header=BB222_24 Depth=2
	v_lshrrev_b32_sdwa v21, s61, v13 dst_sel:DWORD dst_unused:UNUSED_PAD src0_sel:DWORD src1_sel:BYTE_0
	v_and_b32_e32 v21, s62, v21
	v_lshl_or_b32 v21, v21, 4, v63
	ds_add_u32 v21, v89
	s_or_b32 exec_lo, exec_lo, s17
	s_mov_b32 s17, exec_lo
	v_cmpx_gt_u32_e64 s16, v53
	s_cbranch_execz .LBB222_55
.LBB222_71:                             ;   in Loop: Header=BB222_24 Depth=2
	v_lshrrev_b32_sdwa v21, s61, v12 dst_sel:DWORD dst_unused:UNUSED_PAD src0_sel:DWORD src1_sel:BYTE_0
	v_and_b32_e32 v21, s62, v21
	v_lshl_or_b32 v21, v21, 4, v63
	ds_add_u32 v21, v89
	s_or_b32 exec_lo, exec_lo, s17
	s_mov_b32 s17, exec_lo
	v_cmpx_gt_u32_e64 s16, v54
	s_cbranch_execz .LBB222_56
.LBB222_72:                             ;   in Loop: Header=BB222_24 Depth=2
	v_lshrrev_b32_sdwa v21, s61, v11 dst_sel:DWORD dst_unused:UNUSED_PAD src0_sel:DWORD src1_sel:BYTE_0
	v_and_b32_e32 v21, s62, v21
	v_lshl_or_b32 v21, v21, 4, v63
	ds_add_u32 v21, v89
	s_or_b32 exec_lo, exec_lo, s17
	s_mov_b32 s17, exec_lo
	v_cmpx_gt_u32_e64 s16, v55
	s_cbranch_execz .LBB222_57
.LBB222_73:                             ;   in Loop: Header=BB222_24 Depth=2
	v_lshrrev_b32_sdwa v21, s61, v10 dst_sel:DWORD dst_unused:UNUSED_PAD src0_sel:DWORD src1_sel:BYTE_0
	v_and_b32_e32 v21, s62, v21
	v_lshl_or_b32 v21, v21, 4, v63
	ds_add_u32 v21, v89
	s_or_b32 exec_lo, exec_lo, s17
	s_mov_b32 s17, exec_lo
	v_cmpx_gt_u32_e64 s16, v56
	s_cbranch_execz .LBB222_58
.LBB222_74:                             ;   in Loop: Header=BB222_24 Depth=2
	v_lshrrev_b32_sdwa v21, s61, v9 dst_sel:DWORD dst_unused:UNUSED_PAD src0_sel:DWORD src1_sel:BYTE_0
	v_and_b32_e32 v21, s62, v21
	v_lshl_or_b32 v21, v21, 4, v63
	ds_add_u32 v21, v89
	s_or_b32 exec_lo, exec_lo, s17
	s_mov_b32 s17, exec_lo
	v_cmpx_gt_u32_e64 s16, v57
	s_cbranch_execz .LBB222_59
.LBB222_75:                             ;   in Loop: Header=BB222_24 Depth=2
	v_lshrrev_b32_sdwa v21, s61, v8 dst_sel:DWORD dst_unused:UNUSED_PAD src0_sel:DWORD src1_sel:BYTE_0
	v_and_b32_e32 v21, s62, v21
	v_lshl_or_b32 v21, v21, 4, v63
	ds_add_u32 v21, v89
	s_or_b32 exec_lo, exec_lo, s17
	s_mov_b32 s17, exec_lo
	v_cmpx_gt_u32_e64 s16, v58
	s_cbranch_execz .LBB222_60
.LBB222_76:                             ;   in Loop: Header=BB222_24 Depth=2
	v_lshrrev_b32_sdwa v21, s61, v7 dst_sel:DWORD dst_unused:UNUSED_PAD src0_sel:DWORD src1_sel:BYTE_0
	v_and_b32_e32 v21, s62, v21
	v_lshl_or_b32 v21, v21, 4, v63
	ds_add_u32 v21, v89
	s_or_b32 exec_lo, exec_lo, s17
	s_mov_b32 s17, exec_lo
	v_cmpx_gt_u32_e64 s16, v59
	s_cbranch_execz .LBB222_61
.LBB222_77:                             ;   in Loop: Header=BB222_24 Depth=2
	v_lshrrev_b32_sdwa v21, s61, v6 dst_sel:DWORD dst_unused:UNUSED_PAD src0_sel:DWORD src1_sel:BYTE_0
	v_and_b32_e32 v21, s62, v21
	v_lshl_or_b32 v21, v21, 4, v63
	ds_add_u32 v21, v89
	s_or_b32 exec_lo, exec_lo, s17
	s_mov_b32 s17, exec_lo
	v_cmpx_gt_u32_e64 s16, v60
	s_cbranch_execz .LBB222_62
.LBB222_78:                             ;   in Loop: Header=BB222_24 Depth=2
	v_lshrrev_b32_sdwa v21, s61, v5 dst_sel:DWORD dst_unused:UNUSED_PAD src0_sel:DWORD src1_sel:BYTE_0
	v_and_b32_e32 v21, s62, v21
	v_lshl_or_b32 v21, v21, 4, v63
	ds_add_u32 v21, v89
	s_or_b32 exec_lo, exec_lo, s17
	v_cmp_gt_u32_e32 vcc_lo, s16, v61
	s_and_saveexec_b32 s16, vcc_lo
	s_cbranch_execz .LBB222_23
.LBB222_79:                             ;   in Loop: Header=BB222_24 Depth=2
	v_lshrrev_b32_sdwa v21, s61, v3 dst_sel:DWORD dst_unused:UNUSED_PAD src0_sel:DWORD src1_sel:BYTE_0
	v_and_b32_e32 v21, s62, v21
	v_lshl_or_b32 v21, v21, 4, v63
	ds_add_u32 v21, v89
	s_branch .LBB222_23
.LBB222_80:                             ;   in Loop: Header=BB222_24 Depth=2
	s_waitcnt vmcnt(0)
	v_add_co_u32 v21, s19, s16, v0
	v_add_co_ci_u32_e64 v22, null, s17, 0, s19
	global_load_ubyte v17, v[21:22], off
	s_or_b32 exec_lo, exec_lo, s18
	s_mov_b32 s18, exec_lo
	v_cmpx_gt_u32_e64 s5, v44
	s_cbranch_execz .LBB222_29
.LBB222_81:                             ;   in Loop: Header=BB222_24 Depth=2
	v_add_co_u32 v20, s19, s16, v0
	s_waitcnt vmcnt(0)
	v_add_co_ci_u32_e64 v21, null, s17, 0, s19
	global_load_ubyte v20, v[20:21], off offset:256
	s_or_b32 exec_lo, exec_lo, s18
	s_mov_b32 s18, exec_lo
	v_cmpx_gt_u32_e64 s5, v47
	s_cbranch_execz .LBB222_30
.LBB222_82:                             ;   in Loop: Header=BB222_24 Depth=2
	s_waitcnt vmcnt(0)
	v_add_co_u32 v21, s19, s16, v0
	v_add_co_ci_u32_e64 v22, null, s17, 0, s19
	global_load_ubyte v19, v[21:22], off offset:512
	s_or_b32 exec_lo, exec_lo, s18
	s_mov_b32 s18, exec_lo
	v_cmpx_gt_u32_e64 s5, v48
	s_cbranch_execz .LBB222_31
.LBB222_83:                             ;   in Loop: Header=BB222_24 Depth=2
	s_waitcnt vmcnt(0)
	v_add_co_u32 v21, s19, s16, v0
	v_add_co_ci_u32_e64 v22, null, s17, 0, s19
	global_load_ubyte v18, v[21:22], off offset:768
	s_or_b32 exec_lo, exec_lo, s18
	s_mov_b32 s18, exec_lo
	v_cmpx_gt_u32_e64 s5, v49
	s_cbranch_execz .LBB222_32
.LBB222_84:                             ;   in Loop: Header=BB222_24 Depth=2
	s_waitcnt vmcnt(0)
	v_add_co_u32 v21, s19, s16, v0
	v_add_co_ci_u32_e64 v22, null, s17, 0, s19
	global_load_ubyte v16, v[21:22], off offset:1024
	s_or_b32 exec_lo, exec_lo, s18
	s_mov_b32 s18, exec_lo
	v_cmpx_gt_u32_e64 s5, v50
	s_cbranch_execz .LBB222_33
.LBB222_85:                             ;   in Loop: Header=BB222_24 Depth=2
	s_waitcnt vmcnt(0)
	v_add_co_u32 v21, s19, s16, v0
	v_add_co_ci_u32_e64 v22, null, s17, 0, s19
	global_load_ubyte v15, v[21:22], off offset:1280
	s_or_b32 exec_lo, exec_lo, s18
	s_mov_b32 s18, exec_lo
	v_cmpx_gt_u32_e64 s5, v51
	s_cbranch_execz .LBB222_34
.LBB222_86:                             ;   in Loop: Header=BB222_24 Depth=2
	s_waitcnt vmcnt(0)
	v_add_co_u32 v21, s19, s16, v0
	v_add_co_ci_u32_e64 v22, null, s17, 0, s19
	global_load_ubyte v14, v[21:22], off offset:1536
	s_or_b32 exec_lo, exec_lo, s18
	s_mov_b32 s18, exec_lo
	v_cmpx_gt_u32_e64 s5, v52
	s_cbranch_execz .LBB222_35
.LBB222_87:                             ;   in Loop: Header=BB222_24 Depth=2
	s_waitcnt vmcnt(0)
	v_add_co_u32 v21, s19, s16, v0
	v_add_co_ci_u32_e64 v22, null, s17, 0, s19
	global_load_ubyte v13, v[21:22], off offset:1792
	s_or_b32 exec_lo, exec_lo, s18
	s_mov_b32 s18, exec_lo
	v_cmpx_gt_u32_e64 s5, v53
	s_cbranch_execz .LBB222_36
.LBB222_88:                             ;   in Loop: Header=BB222_24 Depth=2
	s_waitcnt vmcnt(0)
	v_add_co_u32 v21, s19, s16, v53
	v_add_co_ci_u32_e64 v22, null, s17, 0, s19
	global_load_ubyte v12, v[21:22], off
	s_or_b32 exec_lo, exec_lo, s18
	s_mov_b32 s18, exec_lo
	v_cmpx_gt_u32_e64 s5, v54
	s_cbranch_execz .LBB222_37
.LBB222_89:                             ;   in Loop: Header=BB222_24 Depth=2
	s_waitcnt vmcnt(0)
	v_add_co_u32 v21, s19, s16, v54
	v_add_co_ci_u32_e64 v22, null, s17, 0, s19
	global_load_ubyte v11, v[21:22], off
	s_or_b32 exec_lo, exec_lo, s18
	s_mov_b32 s18, exec_lo
	v_cmpx_gt_u32_e64 s5, v55
	s_cbranch_execz .LBB222_38
.LBB222_90:                             ;   in Loop: Header=BB222_24 Depth=2
	s_waitcnt vmcnt(0)
	v_add_co_u32 v21, s19, s16, v55
	v_add_co_ci_u32_e64 v22, null, s17, 0, s19
	global_load_ubyte v10, v[21:22], off
	s_or_b32 exec_lo, exec_lo, s18
	s_mov_b32 s18, exec_lo
	v_cmpx_gt_u32_e64 s5, v56
	s_cbranch_execz .LBB222_39
.LBB222_91:                             ;   in Loop: Header=BB222_24 Depth=2
	s_waitcnt vmcnt(0)
	v_add_co_u32 v21, s19, s16, v56
	v_add_co_ci_u32_e64 v22, null, s17, 0, s19
	global_load_ubyte v9, v[21:22], off
	s_or_b32 exec_lo, exec_lo, s18
	s_mov_b32 s18, exec_lo
	v_cmpx_gt_u32_e64 s5, v57
	s_cbranch_execz .LBB222_40
.LBB222_92:                             ;   in Loop: Header=BB222_24 Depth=2
	s_waitcnt vmcnt(0)
	v_add_co_u32 v21, s19, s16, v57
	v_add_co_ci_u32_e64 v22, null, s17, 0, s19
	global_load_ubyte v8, v[21:22], off
	s_or_b32 exec_lo, exec_lo, s18
	s_mov_b32 s18, exec_lo
	v_cmpx_gt_u32_e64 s5, v58
	s_cbranch_execz .LBB222_41
.LBB222_93:                             ;   in Loop: Header=BB222_24 Depth=2
	s_waitcnt vmcnt(0)
	v_add_co_u32 v21, s19, s16, v58
	v_add_co_ci_u32_e64 v22, null, s17, 0, s19
	global_load_ubyte v7, v[21:22], off
	s_or_b32 exec_lo, exec_lo, s18
	s_mov_b32 s18, exec_lo
	v_cmpx_gt_u32_e64 s5, v59
	s_cbranch_execz .LBB222_42
.LBB222_94:                             ;   in Loop: Header=BB222_24 Depth=2
	s_waitcnt vmcnt(0)
	v_add_co_u32 v21, s19, s16, v59
	v_add_co_ci_u32_e64 v22, null, s17, 0, s19
	global_load_ubyte v6, v[21:22], off
	s_or_b32 exec_lo, exec_lo, s18
	s_mov_b32 s18, exec_lo
	v_cmpx_gt_u32_e64 s5, v60
	s_cbranch_execz .LBB222_43
.LBB222_95:                             ;   in Loop: Header=BB222_24 Depth=2
	s_waitcnt vmcnt(0)
	v_add_co_u32 v21, s19, s16, v60
	v_add_co_ci_u32_e64 v22, null, s17, 0, s19
	global_load_ubyte v5, v[21:22], off
	s_or_b32 exec_lo, exec_lo, s18
	s_mov_b32 s18, exec_lo
	v_cmpx_gt_u32_e64 s5, v61
	s_cbranch_execnz .LBB222_44
	s_branch .LBB222_45
.LBB222_96:                             ;   in Loop: Header=BB222_20 Depth=1
	v_mov_b32_e32 v3, 0
	s_waitcnt lgkmcnt(0)
	s_barrier
	buffer_gl0_inv
	s_and_saveexec_b32 s5, s8
	s_cbranch_execz .LBB222_98
; %bb.97:                               ;   in Loop: Header=BB222_20 Depth=1
	ds_read2_b64 v[5:8], v64 offset1:1
	s_waitcnt lgkmcnt(0)
	v_add_nc_u32_e32 v3, v6, v5
	v_add3_u32 v3, v3, v7, v8
.LBB222_98:                             ;   in Loop: Header=BB222_20 Depth=1
	s_or_b32 exec_lo, exec_lo, s5
	v_and_b32_e32 v5, 15, v86
	v_mov_b32_dpp v6, v3 row_shr:1 row_mask:0xf bank_mask:0xf
	v_and_b32_e32 v7, 16, v86
	v_cmp_eq_u32_e64 s5, 0, v5
	v_cmp_lt_u32_e64 s15, 1, v5
	v_cmp_lt_u32_e64 s16, 3, v5
	;; [unrolled: 1-line block ×3, first 2 shown]
	v_cmp_eq_u32_e64 s18, 0, v7
	v_cndmask_b32_e64 v6, v6, 0, s5
	v_add_nc_u32_e32 v3, v6, v3
	v_mov_b32_dpp v6, v3 row_shr:2 row_mask:0xf bank_mask:0xf
	v_cndmask_b32_e64 v6, 0, v6, s15
	v_add_nc_u32_e32 v3, v3, v6
	v_mov_b32_dpp v6, v3 row_shr:4 row_mask:0xf bank_mask:0xf
	;; [unrolled: 3-line block ×3, first 2 shown]
	v_cndmask_b32_e64 v5, 0, v6, s17
	v_bfe_i32 v6, v86, 4, 1
	v_add_nc_u32_e32 v3, v3, v5
	ds_swizzle_b32 v5, v3 offset:swizzle(BROADCAST,32,15)
	s_waitcnt lgkmcnt(0)
	v_and_b32_e32 v5, v6, v5
	v_add_nc_u32_e32 v3, v3, v5
	s_and_saveexec_b32 s19, s9
; %bb.99:                               ;   in Loop: Header=BB222_20 Depth=1
	ds_write_b32 v65, v3
; %bb.100:                              ;   in Loop: Header=BB222_20 Depth=1
	s_or_b32 exec_lo, exec_lo, s19
	s_waitcnt lgkmcnt(0)
	s_barrier
	buffer_gl0_inv
	s_and_saveexec_b32 s19, s10
	s_cbranch_execz .LBB222_102
; %bb.101:                              ;   in Loop: Header=BB222_20 Depth=1
	ds_read_b32 v5, v66
	v_and_b32_e32 v6, 3, v86
	v_cmp_ne_u32_e32 vcc_lo, 0, v6
	s_waitcnt lgkmcnt(0)
	v_mov_b32_dpp v7, v5 row_shr:1 row_mask:0xf bank_mask:0xf
	v_cndmask_b32_e32 v7, 0, v7, vcc_lo
	v_cmp_lt_u32_e32 vcc_lo, 1, v6
	v_add_nc_u32_e32 v5, v7, v5
	v_mov_b32_dpp v7, v5 row_shr:2 row_mask:0xf bank_mask:0xf
	v_cndmask_b32_e32 v6, 0, v7, vcc_lo
	v_add_nc_u32_e32 v5, v5, v6
	ds_write_b32 v66, v5
.LBB222_102:                            ;   in Loop: Header=BB222_20 Depth=1
	s_or_b32 exec_lo, exec_lo, s19
	v_mov_b32_e32 v5, 0
	s_waitcnt lgkmcnt(0)
	s_barrier
	buffer_gl0_inv
	s_and_saveexec_b32 s19, s11
; %bb.103:                              ;   in Loop: Header=BB222_20 Depth=1
	ds_read_b32 v5, v67
; %bb.104:                              ;   in Loop: Header=BB222_20 Depth=1
	s_or_b32 exec_lo, exec_lo, s19
	v_sub_co_u32 v6, s19, v86, 1
	s_waitcnt lgkmcnt(0)
	v_add_nc_u32_e32 v3, v5, v3
	s_barrier
	v_cmp_gt_i32_e32 vcc_lo, 0, v6
	buffer_gl0_inv
	v_cndmask_b32_e32 v6, v6, v86, vcc_lo
	v_lshlrev_b32_e32 v92, 2, v6
	ds_bpermute_b32 v3, v92, v3
	s_and_saveexec_b32 s20, s8
	s_cbranch_execz .LBB222_106
; %bb.105:                              ;   in Loop: Header=BB222_20 Depth=1
	s_waitcnt lgkmcnt(0)
	v_cndmask_b32_e64 v3, v3, v5, s19
	v_add_nc_u32_e32 v3, s58, v3
	ds_write_b32 v43, v3
.LBB222_106:                            ;   in Loop: Header=BB222_20 Depth=1
	s_or_b32 exec_lo, exec_lo, s20
	s_clause 0x1
	s_load_dword s20, s[56:57], 0x4
	s_load_dword s23, s[56:57], 0xc
	v_and_b32_e32 v5, 7, v86
	v_lshlrev_b32_e32 v6, 3, v86
	v_or_b32_e32 v93, v86, v68
	s_mov_b32 s63, s60
	s_mov_b32 s50, s58
	v_cmp_lt_u32_e64 s22, 3, v5
	v_add_co_u32 v94, vcc_lo, v73, v6
	v_add_co_ci_u32_e64 v95, null, 0, v74, vcc_lo
	v_add_nc_u32_e32 v96, 32, v93
	v_add_nc_u32_e32 v97, 64, v93
	v_add_nc_u32_e32 v98, 0x60, v93
	v_add_nc_u32_e32 v99, 0x80, v93
	v_add_nc_u32_e32 v100, 0xa0, v93
	v_add_nc_u32_e32 v101, 0xc0, v93
	v_add_nc_u32_e32 v102, 0xe0, v93
	v_add_nc_u32_e32 v103, 0x100, v93
	s_waitcnt lgkmcnt(0)
	s_cmp_lt_u32 s7, s20
	v_add_nc_u32_e32 v104, 0x120, v93
	s_cselect_b32 s20, 14, 20
	v_add_nc_u32_e32 v105, 0x140, v93
	s_add_u32 s20, s56, s20
	s_addc_u32 s21, s57, 0
	s_and_b32 s23, s23, 0xffff
	global_load_ushort v3, v4, s[20:21]
	v_cmp_eq_u32_e64 s20, 0, v5
	v_cmp_lt_u32_e64 s21, 1, v5
	v_add_nc_u32_e32 v106, 0x160, v93
	v_add_nc_u32_e32 v107, 0x180, v93
	v_add_nc_u32_e32 v108, 0x1a0, v93
	v_add_nc_u32_e32 v109, 0x1c0, v93
	v_add_nc_u32_e32 v110, 0x1e0, v93
	v_add_nc_u32_e32 v111, 0x200, v93
                                        ; implicit-def: $vgpr7_vgpr8
                                        ; implicit-def: $vgpr9_vgpr10
                                        ; implicit-def: $vgpr11_vgpr12
                                        ; implicit-def: $vgpr13_vgpr14
                                        ; implicit-def: $vgpr15_vgpr16
                                        ; implicit-def: $vgpr19_vgpr20
                                        ; implicit-def: $vgpr23_vgpr24
                                        ; implicit-def: $vgpr27_vgpr28
                                        ; implicit-def: $vgpr17_vgpr18
                                        ; implicit-def: $vgpr21_vgpr22
                                        ; implicit-def: $vgpr25_vgpr26
                                        ; implicit-def: $vgpr29_vgpr30
                                        ; implicit-def: $vgpr31_vgpr32
                                        ; implicit-def: $vgpr33_vgpr34
                                        ; implicit-def: $vgpr35_vgpr36
                                        ; implicit-def: $vgpr37_vgpr38
                                        ; implicit-def: $vgpr113
                                        ; implicit-def: $vgpr114
                                        ; implicit-def: $vgpr115
                                        ; implicit-def: $vgpr116
                                        ; implicit-def: $vgpr117
                                        ; implicit-def: $vgpr118
                                        ; implicit-def: $vgpr119
                                        ; implicit-def: $vgpr120
                                        ; implicit-def: $vgpr121
                                        ; implicit-def: $vgpr122
                                        ; implicit-def: $vgpr123
                                        ; implicit-def: $vgpr124
                                        ; implicit-def: $vgpr125
                                        ; implicit-def: $vgpr126
                                        ; implicit-def: $vgpr127
                                        ; implicit-def: $vgpr128
                                        ; implicit-def: $vgpr129
                                        ; implicit-def: $vgpr130
                                        ; implicit-def: $vgpr131
	s_waitcnt vmcnt(0)
	v_mad_u32_u24 v3, v2, v3, v1
	v_mad_u64_u32 v[5:6], null, v3, s23, v[0:1]
	v_lshrrev_b32_e32 v3, 3, v5
                                        ; implicit-def: $vgpr5_vgpr6
	v_and_b32_e32 v112, 0x1ffffffc, v3
	s_branch .LBB222_108
.LBB222_107:                            ;   in Loop: Header=BB222_108 Depth=2
	s_or_b32 exec_lo, exec_lo, s23
	s_addk_i32 s63, 0xef00
	s_cmp_lt_u32 s64, s59
	s_mov_b32 s50, s64
	s_cbranch_scc0 .LBB222_330
.LBB222_108:                            ;   Parent Loop BB222_20 Depth=1
                                        ; =>  This Inner Loop Header: Depth=2
	s_add_i32 s64, s50, 0x1100
	s_cmp_gt_u32 s64, s59
	s_cbranch_scc1 .LBB222_110
; %bb.109:                              ;   in Loop: Header=BB222_108 Depth=2
	v_add_co_u32 v39, vcc_lo, v90, s50
	v_add_co_ci_u32_e64 v40, null, 0, v91, vcc_lo
	s_mov_b32 s23, -1
	s_clause 0xf
	global_load_ubyte v132, v[39:40], off
	global_load_ubyte v133, v[39:40], off offset:32
	global_load_ubyte v134, v[39:40], off offset:64
	;; [unrolled: 1-line block ×15, first 2 shown]
	s_movk_i32 s24, 0x1100
	s_cbranch_execz .LBB222_111
	s_branch .LBB222_144
.LBB222_110:                            ;   in Loop: Header=BB222_108 Depth=2
	s_mov_b32 s23, 0
                                        ; implicit-def: $vgpr132
                                        ; implicit-def: $vgpr133
                                        ; implicit-def: $vgpr134
                                        ; implicit-def: $vgpr135
                                        ; implicit-def: $vgpr136
                                        ; implicit-def: $vgpr137
                                        ; implicit-def: $vgpr138
                                        ; implicit-def: $vgpr139
                                        ; implicit-def: $vgpr140
                                        ; implicit-def: $vgpr141
                                        ; implicit-def: $vgpr142
                                        ; implicit-def: $vgpr143
                                        ; implicit-def: $vgpr144
                                        ; implicit-def: $vgpr145
                                        ; implicit-def: $vgpr146
                                        ; implicit-def: $vgpr147
	s_movk_i32 s24, 0x1100
.LBB222_111:                            ;   in Loop: Header=BB222_108 Depth=2
	v_add_co_u32 v39, vcc_lo, v90, s50
	v_add_co_ci_u32_e64 v40, null, 0, v91, vcc_lo
	s_waitcnt vmcnt(14)
	v_mov_b32_e32 v133, 0xff
	v_mov_b32_e32 v132, 0xff
	s_mov_b32 s23, exec_lo
	v_cmpx_gt_u32_e64 s63, v93
	s_cbranch_execz .LBB222_113
; %bb.112:                              ;   in Loop: Header=BB222_108 Depth=2
	global_load_ubyte v132, v[39:40], off
.LBB222_113:                            ;   in Loop: Header=BB222_108 Depth=2
	s_or_b32 exec_lo, exec_lo, s23
	s_mov_b32 s23, exec_lo
	v_cmpx_gt_u32_e64 s63, v96
	s_cbranch_execz .LBB222_115
; %bb.114:                              ;   in Loop: Header=BB222_108 Depth=2
	global_load_ubyte v133, v[39:40], off offset:32
.LBB222_115:                            ;   in Loop: Header=BB222_108 Depth=2
	s_or_b32 exec_lo, exec_lo, s23
	s_waitcnt vmcnt(12)
	v_mov_b32_e32 v135, 0xff
	v_mov_b32_e32 v134, 0xff
	s_mov_b32 s23, exec_lo
	v_cmpx_gt_u32_e64 s63, v97
	s_cbranch_execz .LBB222_117
; %bb.116:                              ;   in Loop: Header=BB222_108 Depth=2
	global_load_ubyte v134, v[39:40], off offset:64
.LBB222_117:                            ;   in Loop: Header=BB222_108 Depth=2
	s_or_b32 exec_lo, exec_lo, s23
	s_mov_b32 s23, exec_lo
	v_cmpx_gt_u32_e64 s63, v98
	s_cbranch_execz .LBB222_119
; %bb.118:                              ;   in Loop: Header=BB222_108 Depth=2
	global_load_ubyte v135, v[39:40], off offset:96
.LBB222_119:                            ;   in Loop: Header=BB222_108 Depth=2
	s_or_b32 exec_lo, exec_lo, s23
	s_waitcnt vmcnt(10)
	v_mov_b32_e32 v137, 0xff
	v_mov_b32_e32 v136, 0xff
	s_mov_b32 s23, exec_lo
	v_cmpx_gt_u32_e64 s63, v99
	s_cbranch_execz .LBB222_121
; %bb.120:                              ;   in Loop: Header=BB222_108 Depth=2
	global_load_ubyte v136, v[39:40], off offset:128
.LBB222_121:                            ;   in Loop: Header=BB222_108 Depth=2
	;; [unrolled: 17-line block ×7, first 2 shown]
	s_or_b32 exec_lo, exec_lo, s23
	s_mov_b32 s23, exec_lo
	v_cmpx_gt_u32_e64 s63, v110
	s_cbranch_execz .LBB222_143
; %bb.142:                              ;   in Loop: Header=BB222_108 Depth=2
	global_load_ubyte v147, v[39:40], off offset:480
.LBB222_143:                            ;   in Loop: Header=BB222_108 Depth=2
	s_or_b32 exec_lo, exec_lo, s23
	v_cmp_gt_u32_e64 s23, s63, v111
	s_sub_i32 s24, s59, s50
.LBB222_144:                            ;   in Loop: Header=BB222_108 Depth=2
	v_mov_b32_e32 v148, 0xff
	v_mov_b32_e32 v3, s63
	s_and_saveexec_b32 s25, s23
	s_cbranch_execz .LBB222_146
; %bb.145:                              ;   in Loop: Header=BB222_108 Depth=2
	v_add_co_u32 v39, vcc_lo, v90, s50
	v_add_co_ci_u32_e64 v40, null, s51, v91, vcc_lo
	v_mov_b32_e32 v3, s24
	global_load_ubyte v148, v[39:40], off offset:512
.LBB222_146:                            ;   in Loop: Header=BB222_108 Depth=2
	s_or_b32 exec_lo, exec_lo, s25
	s_waitcnt vmcnt(15)
	v_lshrrev_b32_sdwa v39, s61, v132 dst_sel:DWORD dst_unused:UNUSED_PAD src0_sel:DWORD src1_sel:BYTE_0
	ds_write2_b32 v69, v4, v4 offset0:136 offset1:137
	ds_write2_b32 v69, v4, v4 offset0:138 offset1:139
	ds_write_b32 v69, v4 offset:560
	s_waitcnt vmcnt(0) lgkmcnt(0)
	s_barrier
	v_and_b32_e32 v40, s62, v39
	buffer_gl0_inv
	; wave barrier
	v_and_b32_e32 v39, 1, v40
	v_lshlrev_b32_e32 v41, 30, v40
	v_lshlrev_b32_e32 v42, 29, v40
	;; [unrolled: 1-line block ×4, first 2 shown]
	v_add_co_u32 v39, s23, v39, -1
	v_cndmask_b32_e64 v149, 0, 1, s23
	v_not_b32_e32 v153, v41
	v_cmp_gt_i32_e64 s23, 0, v41
	v_not_b32_e32 v41, v42
	v_lshlrev_b32_e32 v152, 26, v40
	v_cmp_ne_u32_e32 vcc_lo, 0, v149
	v_ashrrev_i32_e32 v153, 31, v153
	v_lshlrev_b32_e32 v149, 25, v40
	v_ashrrev_i32_e32 v41, 31, v41
	v_mul_u32_u24_e32 v40, 36, v40
	v_xor_b32_e32 v39, vcc_lo, v39
	v_cmp_gt_i32_e32 vcc_lo, 0, v42
	v_not_b32_e32 v42, v150
	v_xor_b32_e32 v153, s23, v153
	v_cmp_gt_i32_e64 s23, 0, v150
	v_and_b32_e32 v39, exec_lo, v39
	v_not_b32_e32 v150, v151
	v_ashrrev_i32_e32 v42, 31, v42
	v_xor_b32_e32 v41, vcc_lo, v41
	v_cmp_gt_i32_e32 vcc_lo, 0, v151
	v_and_b32_e32 v39, v39, v153
	v_not_b32_e32 v151, v152
	v_ashrrev_i32_e32 v150, 31, v150
	v_xor_b32_e32 v42, s23, v42
	v_cmp_gt_i32_e64 s23, 0, v152
	v_and_b32_e32 v39, v39, v41
	v_not_b32_e32 v41, v149
	v_ashrrev_i32_e32 v151, 31, v151
	v_xor_b32_e32 v150, vcc_lo, v150
	v_cmp_gt_i32_e32 vcc_lo, 0, v149
	v_and_b32_e32 v39, v39, v42
	v_ashrrev_i32_e32 v41, 31, v41
	v_xor_b32_e32 v42, s23, v151
	v_and_b32_e32 v39, v39, v150
	v_xor_b32_e32 v41, vcc_lo, v41
	v_add_nc_u32_e32 v150, v112, v40
	v_and_b32_e32 v39, v39, v42
	v_and_b32_e32 v39, v39, v41
	v_mbcnt_lo_u32_b32 v149, v39, 0
	v_cmp_ne_u32_e64 s23, 0, v39
	v_cmp_eq_u32_e32 vcc_lo, 0, v149
	s_and_b32 s24, s23, vcc_lo
	s_and_saveexec_b32 s23, s24
; %bb.147:                              ;   in Loop: Header=BB222_108 Depth=2
	v_bcnt_u32_b32 v39, v39, 0
	ds_write_b32 v150, v39 offset:544
; %bb.148:                              ;   in Loop: Header=BB222_108 Depth=2
	s_or_b32 exec_lo, exec_lo, s23
	v_lshrrev_b32_sdwa v39, s61, v133 dst_sel:DWORD dst_unused:UNUSED_PAD src0_sel:DWORD src1_sel:BYTE_0
	; wave barrier
	v_and_b32_e32 v40, s62, v39
	v_and_b32_e32 v39, 1, v40
	v_lshlrev_b32_e32 v41, 30, v40
	v_lshlrev_b32_e32 v42, 29, v40
	v_lshlrev_b32_e32 v152, 28, v40
	v_lshlrev_b32_e32 v153, 27, v40
	v_add_co_u32 v39, s23, v39, -1
	v_cndmask_b32_e64 v151, 0, 1, s23
	v_not_b32_e32 v155, v41
	v_cmp_gt_i32_e64 s23, 0, v41
	v_not_b32_e32 v41, v42
	v_lshlrev_b32_e32 v154, 26, v40
	v_cmp_ne_u32_e32 vcc_lo, 0, v151
	v_ashrrev_i32_e32 v155, 31, v155
	v_lshlrev_b32_e32 v151, 25, v40
	v_ashrrev_i32_e32 v41, 31, v41
	v_xor_b32_e32 v39, vcc_lo, v39
	v_cmp_gt_i32_e32 vcc_lo, 0, v42
	v_not_b32_e32 v42, v152
	v_xor_b32_e32 v155, s23, v155
	v_cmp_gt_i32_e64 s23, 0, v152
	v_and_b32_e32 v39, exec_lo, v39
	v_not_b32_e32 v152, v153
	v_ashrrev_i32_e32 v42, 31, v42
	v_xor_b32_e32 v41, vcc_lo, v41
	v_cmp_gt_i32_e32 vcc_lo, 0, v153
	v_and_b32_e32 v39, v39, v155
	v_not_b32_e32 v153, v154
	v_ashrrev_i32_e32 v152, 31, v152
	v_xor_b32_e32 v42, s23, v42
	v_cmp_gt_i32_e64 s23, 0, v154
	v_and_b32_e32 v39, v39, v41
	v_not_b32_e32 v41, v151
	v_ashrrev_i32_e32 v153, 31, v153
	v_xor_b32_e32 v152, vcc_lo, v152
	v_cmp_gt_i32_e32 vcc_lo, 0, v151
	v_and_b32_e32 v39, v39, v42
	v_ashrrev_i32_e32 v41, 31, v41
	v_xor_b32_e32 v42, s23, v153
	v_mad_u32_u24 v151, v40, 36, v112
	v_mul_u32_u24_e32 v40, 36, v40
	v_and_b32_e32 v39, v39, v152
	v_xor_b32_e32 v41, vcc_lo, v41
	ds_read_b32 v151, v151 offset:544
	v_add_nc_u32_e32 v153, v112, v40
	v_and_b32_e32 v39, v39, v42
	; wave barrier
	v_and_b32_e32 v39, v39, v41
	v_mbcnt_lo_u32_b32 v152, v39, 0
	v_cmp_ne_u32_e64 s23, 0, v39
	v_cmp_eq_u32_e32 vcc_lo, 0, v152
	s_and_b32 s24, s23, vcc_lo
	s_and_saveexec_b32 s23, s24
	s_cbranch_execz .LBB222_150
; %bb.149:                              ;   in Loop: Header=BB222_108 Depth=2
	s_waitcnt lgkmcnt(0)
	v_bcnt_u32_b32 v39, v39, v151
	ds_write_b32 v153, v39 offset:544
.LBB222_150:                            ;   in Loop: Header=BB222_108 Depth=2
	s_or_b32 exec_lo, exec_lo, s23
	v_lshrrev_b32_sdwa v39, s61, v134 dst_sel:DWORD dst_unused:UNUSED_PAD src0_sel:DWORD src1_sel:BYTE_0
	; wave barrier
	v_and_b32_e32 v40, s62, v39
	v_and_b32_e32 v39, 1, v40
	v_lshlrev_b32_e32 v41, 30, v40
	v_lshlrev_b32_e32 v42, 29, v40
	v_lshlrev_b32_e32 v155, 28, v40
	v_lshlrev_b32_e32 v156, 27, v40
	v_add_co_u32 v39, s23, v39, -1
	v_cndmask_b32_e64 v154, 0, 1, s23
	v_not_b32_e32 v158, v41
	v_cmp_gt_i32_e64 s23, 0, v41
	v_not_b32_e32 v41, v42
	v_lshlrev_b32_e32 v157, 26, v40
	v_cmp_ne_u32_e32 vcc_lo, 0, v154
	v_ashrrev_i32_e32 v158, 31, v158
	v_lshlrev_b32_e32 v154, 25, v40
	v_ashrrev_i32_e32 v41, 31, v41
	v_xor_b32_e32 v39, vcc_lo, v39
	v_cmp_gt_i32_e32 vcc_lo, 0, v42
	v_not_b32_e32 v42, v155
	v_xor_b32_e32 v158, s23, v158
	v_cmp_gt_i32_e64 s23, 0, v155
	v_and_b32_e32 v39, exec_lo, v39
	v_not_b32_e32 v155, v156
	v_ashrrev_i32_e32 v42, 31, v42
	v_xor_b32_e32 v41, vcc_lo, v41
	v_cmp_gt_i32_e32 vcc_lo, 0, v156
	v_and_b32_e32 v39, v39, v158
	v_not_b32_e32 v156, v157
	v_ashrrev_i32_e32 v155, 31, v155
	v_xor_b32_e32 v42, s23, v42
	v_cmp_gt_i32_e64 s23, 0, v157
	v_and_b32_e32 v39, v39, v41
	v_not_b32_e32 v41, v154
	v_ashrrev_i32_e32 v156, 31, v156
	v_xor_b32_e32 v155, vcc_lo, v155
	v_cmp_gt_i32_e32 vcc_lo, 0, v154
	v_and_b32_e32 v39, v39, v42
	v_ashrrev_i32_e32 v41, 31, v41
	v_xor_b32_e32 v42, s23, v156
	v_mad_u32_u24 v154, v40, 36, v112
	v_mul_u32_u24_e32 v40, 36, v40
	v_and_b32_e32 v39, v39, v155
	v_xor_b32_e32 v41, vcc_lo, v41
	ds_read_b32 v154, v154 offset:544
	v_add_nc_u32_e32 v156, v112, v40
	v_and_b32_e32 v39, v39, v42
	; wave barrier
	v_and_b32_e32 v39, v39, v41
	v_mbcnt_lo_u32_b32 v155, v39, 0
	v_cmp_ne_u32_e64 s23, 0, v39
	v_cmp_eq_u32_e32 vcc_lo, 0, v155
	s_and_b32 s24, s23, vcc_lo
	s_and_saveexec_b32 s23, s24
	s_cbranch_execz .LBB222_152
; %bb.151:                              ;   in Loop: Header=BB222_108 Depth=2
	s_waitcnt lgkmcnt(0)
	v_bcnt_u32_b32 v39, v39, v154
	ds_write_b32 v156, v39 offset:544
.LBB222_152:                            ;   in Loop: Header=BB222_108 Depth=2
	s_or_b32 exec_lo, exec_lo, s23
	v_lshrrev_b32_sdwa v39, s61, v135 dst_sel:DWORD dst_unused:UNUSED_PAD src0_sel:DWORD src1_sel:BYTE_0
	; wave barrier
	v_and_b32_e32 v40, s62, v39
	v_and_b32_e32 v39, 1, v40
	v_lshlrev_b32_e32 v41, 30, v40
	v_lshlrev_b32_e32 v42, 29, v40
	v_lshlrev_b32_e32 v158, 28, v40
	v_lshlrev_b32_e32 v159, 27, v40
	v_add_co_u32 v39, s23, v39, -1
	v_cndmask_b32_e64 v157, 0, 1, s23
	v_not_b32_e32 v161, v41
	v_cmp_gt_i32_e64 s23, 0, v41
	v_not_b32_e32 v41, v42
	v_lshlrev_b32_e32 v160, 26, v40
	v_cmp_ne_u32_e32 vcc_lo, 0, v157
	v_ashrrev_i32_e32 v161, 31, v161
	v_lshlrev_b32_e32 v157, 25, v40
	v_ashrrev_i32_e32 v41, 31, v41
	v_xor_b32_e32 v39, vcc_lo, v39
	v_cmp_gt_i32_e32 vcc_lo, 0, v42
	v_not_b32_e32 v42, v158
	v_xor_b32_e32 v161, s23, v161
	v_cmp_gt_i32_e64 s23, 0, v158
	v_and_b32_e32 v39, exec_lo, v39
	v_not_b32_e32 v158, v159
	v_ashrrev_i32_e32 v42, 31, v42
	v_xor_b32_e32 v41, vcc_lo, v41
	v_cmp_gt_i32_e32 vcc_lo, 0, v159
	v_and_b32_e32 v39, v39, v161
	v_not_b32_e32 v159, v160
	v_ashrrev_i32_e32 v158, 31, v158
	v_xor_b32_e32 v42, s23, v42
	v_cmp_gt_i32_e64 s23, 0, v160
	v_and_b32_e32 v39, v39, v41
	v_not_b32_e32 v41, v157
	v_ashrrev_i32_e32 v159, 31, v159
	v_xor_b32_e32 v158, vcc_lo, v158
	v_cmp_gt_i32_e32 vcc_lo, 0, v157
	v_and_b32_e32 v39, v39, v42
	v_ashrrev_i32_e32 v41, 31, v41
	v_xor_b32_e32 v42, s23, v159
	v_mad_u32_u24 v157, v40, 36, v112
	v_mul_u32_u24_e32 v40, 36, v40
	v_and_b32_e32 v39, v39, v158
	v_xor_b32_e32 v41, vcc_lo, v41
	ds_read_b32 v157, v157 offset:544
	v_add_nc_u32_e32 v159, v112, v40
	v_and_b32_e32 v39, v39, v42
	; wave barrier
	v_and_b32_e32 v39, v39, v41
	v_mbcnt_lo_u32_b32 v158, v39, 0
	v_cmp_ne_u32_e64 s23, 0, v39
	v_cmp_eq_u32_e32 vcc_lo, 0, v158
	s_and_b32 s24, s23, vcc_lo
	s_and_saveexec_b32 s23, s24
	s_cbranch_execz .LBB222_154
; %bb.153:                              ;   in Loop: Header=BB222_108 Depth=2
	s_waitcnt lgkmcnt(0)
	v_bcnt_u32_b32 v39, v39, v157
	ds_write_b32 v159, v39 offset:544
.LBB222_154:                            ;   in Loop: Header=BB222_108 Depth=2
	s_or_b32 exec_lo, exec_lo, s23
	v_lshrrev_b32_sdwa v39, s61, v136 dst_sel:DWORD dst_unused:UNUSED_PAD src0_sel:DWORD src1_sel:BYTE_0
	; wave barrier
	v_and_b32_e32 v40, s62, v39
	v_and_b32_e32 v39, 1, v40
	v_lshlrev_b32_e32 v41, 30, v40
	v_lshlrev_b32_e32 v42, 29, v40
	v_lshlrev_b32_e32 v161, 28, v40
	v_lshlrev_b32_e32 v162, 27, v40
	v_add_co_u32 v39, s23, v39, -1
	v_cndmask_b32_e64 v160, 0, 1, s23
	v_not_b32_e32 v164, v41
	v_cmp_gt_i32_e64 s23, 0, v41
	v_not_b32_e32 v41, v42
	v_lshlrev_b32_e32 v163, 26, v40
	v_cmp_ne_u32_e32 vcc_lo, 0, v160
	v_ashrrev_i32_e32 v164, 31, v164
	v_lshlrev_b32_e32 v160, 25, v40
	v_ashrrev_i32_e32 v41, 31, v41
	v_xor_b32_e32 v39, vcc_lo, v39
	v_cmp_gt_i32_e32 vcc_lo, 0, v42
	v_not_b32_e32 v42, v161
	v_xor_b32_e32 v164, s23, v164
	v_cmp_gt_i32_e64 s23, 0, v161
	v_and_b32_e32 v39, exec_lo, v39
	v_not_b32_e32 v161, v162
	v_ashrrev_i32_e32 v42, 31, v42
	v_xor_b32_e32 v41, vcc_lo, v41
	v_cmp_gt_i32_e32 vcc_lo, 0, v162
	v_and_b32_e32 v39, v39, v164
	v_not_b32_e32 v162, v163
	v_ashrrev_i32_e32 v161, 31, v161
	v_xor_b32_e32 v42, s23, v42
	v_cmp_gt_i32_e64 s23, 0, v163
	v_and_b32_e32 v39, v39, v41
	v_not_b32_e32 v41, v160
	v_ashrrev_i32_e32 v162, 31, v162
	v_xor_b32_e32 v161, vcc_lo, v161
	v_cmp_gt_i32_e32 vcc_lo, 0, v160
	v_and_b32_e32 v39, v39, v42
	v_ashrrev_i32_e32 v41, 31, v41
	v_xor_b32_e32 v42, s23, v162
	v_mad_u32_u24 v160, v40, 36, v112
	v_mul_u32_u24_e32 v40, 36, v40
	v_and_b32_e32 v39, v39, v161
	v_xor_b32_e32 v41, vcc_lo, v41
	ds_read_b32 v160, v160 offset:544
	v_add_nc_u32_e32 v162, v112, v40
	v_and_b32_e32 v39, v39, v42
	; wave barrier
	v_and_b32_e32 v39, v39, v41
	v_mbcnt_lo_u32_b32 v161, v39, 0
	v_cmp_ne_u32_e64 s23, 0, v39
	v_cmp_eq_u32_e32 vcc_lo, 0, v161
	s_and_b32 s24, s23, vcc_lo
	s_and_saveexec_b32 s23, s24
	s_cbranch_execz .LBB222_156
; %bb.155:                              ;   in Loop: Header=BB222_108 Depth=2
	s_waitcnt lgkmcnt(0)
	v_bcnt_u32_b32 v39, v39, v160
	ds_write_b32 v162, v39 offset:544
.LBB222_156:                            ;   in Loop: Header=BB222_108 Depth=2
	s_or_b32 exec_lo, exec_lo, s23
	v_lshrrev_b32_sdwa v39, s61, v137 dst_sel:DWORD dst_unused:UNUSED_PAD src0_sel:DWORD src1_sel:BYTE_0
	; wave barrier
	v_and_b32_e32 v40, s62, v39
	v_and_b32_e32 v39, 1, v40
	v_lshlrev_b32_e32 v41, 30, v40
	v_lshlrev_b32_e32 v42, 29, v40
	v_lshlrev_b32_e32 v164, 28, v40
	v_lshlrev_b32_e32 v165, 27, v40
	v_add_co_u32 v39, s23, v39, -1
	v_cndmask_b32_e64 v163, 0, 1, s23
	v_not_b32_e32 v167, v41
	v_cmp_gt_i32_e64 s23, 0, v41
	v_not_b32_e32 v41, v42
	v_lshlrev_b32_e32 v166, 26, v40
	v_cmp_ne_u32_e32 vcc_lo, 0, v163
	v_ashrrev_i32_e32 v167, 31, v167
	v_lshlrev_b32_e32 v163, 25, v40
	v_ashrrev_i32_e32 v41, 31, v41
	v_xor_b32_e32 v39, vcc_lo, v39
	v_cmp_gt_i32_e32 vcc_lo, 0, v42
	v_not_b32_e32 v42, v164
	v_xor_b32_e32 v167, s23, v167
	v_cmp_gt_i32_e64 s23, 0, v164
	v_and_b32_e32 v39, exec_lo, v39
	v_not_b32_e32 v164, v165
	v_ashrrev_i32_e32 v42, 31, v42
	v_xor_b32_e32 v41, vcc_lo, v41
	v_cmp_gt_i32_e32 vcc_lo, 0, v165
	v_and_b32_e32 v39, v39, v167
	v_not_b32_e32 v165, v166
	v_ashrrev_i32_e32 v164, 31, v164
	v_xor_b32_e32 v42, s23, v42
	v_cmp_gt_i32_e64 s23, 0, v166
	v_and_b32_e32 v39, v39, v41
	v_not_b32_e32 v41, v163
	v_ashrrev_i32_e32 v165, 31, v165
	v_xor_b32_e32 v164, vcc_lo, v164
	v_cmp_gt_i32_e32 vcc_lo, 0, v163
	v_and_b32_e32 v39, v39, v42
	v_ashrrev_i32_e32 v41, 31, v41
	v_xor_b32_e32 v42, s23, v165
	v_mad_u32_u24 v163, v40, 36, v112
	v_mul_u32_u24_e32 v40, 36, v40
	v_and_b32_e32 v39, v39, v164
	v_xor_b32_e32 v41, vcc_lo, v41
	ds_read_b32 v163, v163 offset:544
	v_add_nc_u32_e32 v165, v112, v40
	v_and_b32_e32 v39, v39, v42
	; wave barrier
	v_and_b32_e32 v39, v39, v41
	v_mbcnt_lo_u32_b32 v164, v39, 0
	v_cmp_ne_u32_e64 s23, 0, v39
	v_cmp_eq_u32_e32 vcc_lo, 0, v164
	s_and_b32 s24, s23, vcc_lo
	s_and_saveexec_b32 s23, s24
	s_cbranch_execz .LBB222_158
; %bb.157:                              ;   in Loop: Header=BB222_108 Depth=2
	s_waitcnt lgkmcnt(0)
	v_bcnt_u32_b32 v39, v39, v163
	ds_write_b32 v165, v39 offset:544
.LBB222_158:                            ;   in Loop: Header=BB222_108 Depth=2
	s_or_b32 exec_lo, exec_lo, s23
	v_lshrrev_b32_sdwa v39, s61, v138 dst_sel:DWORD dst_unused:UNUSED_PAD src0_sel:DWORD src1_sel:BYTE_0
	; wave barrier
	v_and_b32_e32 v40, s62, v39
	v_and_b32_e32 v39, 1, v40
	v_lshlrev_b32_e32 v41, 30, v40
	v_lshlrev_b32_e32 v42, 29, v40
	v_lshlrev_b32_e32 v167, 28, v40
	v_lshlrev_b32_e32 v168, 27, v40
	v_add_co_u32 v39, s23, v39, -1
	v_cndmask_b32_e64 v166, 0, 1, s23
	v_not_b32_e32 v170, v41
	v_cmp_gt_i32_e64 s23, 0, v41
	v_not_b32_e32 v41, v42
	v_lshlrev_b32_e32 v169, 26, v40
	v_cmp_ne_u32_e32 vcc_lo, 0, v166
	v_ashrrev_i32_e32 v170, 31, v170
	v_lshlrev_b32_e32 v166, 25, v40
	v_ashrrev_i32_e32 v41, 31, v41
	v_xor_b32_e32 v39, vcc_lo, v39
	v_cmp_gt_i32_e32 vcc_lo, 0, v42
	v_not_b32_e32 v42, v167
	v_xor_b32_e32 v170, s23, v170
	v_cmp_gt_i32_e64 s23, 0, v167
	v_and_b32_e32 v39, exec_lo, v39
	v_not_b32_e32 v167, v168
	v_ashrrev_i32_e32 v42, 31, v42
	v_xor_b32_e32 v41, vcc_lo, v41
	v_cmp_gt_i32_e32 vcc_lo, 0, v168
	v_and_b32_e32 v39, v39, v170
	v_not_b32_e32 v168, v169
	v_ashrrev_i32_e32 v167, 31, v167
	v_xor_b32_e32 v42, s23, v42
	v_cmp_gt_i32_e64 s23, 0, v169
	v_and_b32_e32 v39, v39, v41
	v_not_b32_e32 v41, v166
	v_ashrrev_i32_e32 v168, 31, v168
	v_xor_b32_e32 v167, vcc_lo, v167
	v_cmp_gt_i32_e32 vcc_lo, 0, v166
	v_and_b32_e32 v39, v39, v42
	v_ashrrev_i32_e32 v41, 31, v41
	v_xor_b32_e32 v42, s23, v168
	v_mad_u32_u24 v166, v40, 36, v112
	v_mul_u32_u24_e32 v40, 36, v40
	v_and_b32_e32 v39, v39, v167
	v_xor_b32_e32 v41, vcc_lo, v41
	ds_read_b32 v166, v166 offset:544
	v_add_nc_u32_e32 v168, v112, v40
	v_and_b32_e32 v39, v39, v42
	; wave barrier
	v_and_b32_e32 v39, v39, v41
	v_mbcnt_lo_u32_b32 v167, v39, 0
	v_cmp_ne_u32_e64 s23, 0, v39
	v_cmp_eq_u32_e32 vcc_lo, 0, v167
	s_and_b32 s24, s23, vcc_lo
	s_and_saveexec_b32 s23, s24
	s_cbranch_execz .LBB222_160
; %bb.159:                              ;   in Loop: Header=BB222_108 Depth=2
	s_waitcnt lgkmcnt(0)
	v_bcnt_u32_b32 v39, v39, v166
	ds_write_b32 v168, v39 offset:544
.LBB222_160:                            ;   in Loop: Header=BB222_108 Depth=2
	s_or_b32 exec_lo, exec_lo, s23
	v_lshrrev_b32_sdwa v39, s61, v139 dst_sel:DWORD dst_unused:UNUSED_PAD src0_sel:DWORD src1_sel:BYTE_0
	; wave barrier
	v_and_b32_e32 v40, s62, v39
	v_and_b32_e32 v39, 1, v40
	v_lshlrev_b32_e32 v41, 30, v40
	v_lshlrev_b32_e32 v42, 29, v40
	v_lshlrev_b32_e32 v170, 28, v40
	v_lshlrev_b32_e32 v171, 27, v40
	v_add_co_u32 v39, s23, v39, -1
	v_cndmask_b32_e64 v169, 0, 1, s23
	v_not_b32_e32 v173, v41
	v_cmp_gt_i32_e64 s23, 0, v41
	v_not_b32_e32 v41, v42
	v_lshlrev_b32_e32 v172, 26, v40
	v_cmp_ne_u32_e32 vcc_lo, 0, v169
	v_ashrrev_i32_e32 v173, 31, v173
	v_lshlrev_b32_e32 v169, 25, v40
	v_ashrrev_i32_e32 v41, 31, v41
	v_xor_b32_e32 v39, vcc_lo, v39
	v_cmp_gt_i32_e32 vcc_lo, 0, v42
	v_not_b32_e32 v42, v170
	v_xor_b32_e32 v173, s23, v173
	v_cmp_gt_i32_e64 s23, 0, v170
	v_and_b32_e32 v39, exec_lo, v39
	v_not_b32_e32 v170, v171
	v_ashrrev_i32_e32 v42, 31, v42
	v_xor_b32_e32 v41, vcc_lo, v41
	v_cmp_gt_i32_e32 vcc_lo, 0, v171
	v_and_b32_e32 v39, v39, v173
	v_not_b32_e32 v171, v172
	v_ashrrev_i32_e32 v170, 31, v170
	v_xor_b32_e32 v42, s23, v42
	v_cmp_gt_i32_e64 s23, 0, v172
	v_and_b32_e32 v39, v39, v41
	v_not_b32_e32 v41, v169
	v_ashrrev_i32_e32 v171, 31, v171
	v_xor_b32_e32 v170, vcc_lo, v170
	v_cmp_gt_i32_e32 vcc_lo, 0, v169
	v_and_b32_e32 v39, v39, v42
	v_ashrrev_i32_e32 v41, 31, v41
	v_xor_b32_e32 v42, s23, v171
	v_mad_u32_u24 v169, v40, 36, v112
	v_mul_u32_u24_e32 v40, 36, v40
	v_and_b32_e32 v39, v39, v170
	v_xor_b32_e32 v41, vcc_lo, v41
	ds_read_b32 v169, v169 offset:544
	v_add_nc_u32_e32 v171, v112, v40
	v_and_b32_e32 v39, v39, v42
	; wave barrier
	v_and_b32_e32 v39, v39, v41
	v_mbcnt_lo_u32_b32 v170, v39, 0
	v_cmp_ne_u32_e64 s23, 0, v39
	v_cmp_eq_u32_e32 vcc_lo, 0, v170
	s_and_b32 s24, s23, vcc_lo
	s_and_saveexec_b32 s23, s24
	s_cbranch_execz .LBB222_162
; %bb.161:                              ;   in Loop: Header=BB222_108 Depth=2
	s_waitcnt lgkmcnt(0)
	v_bcnt_u32_b32 v39, v39, v169
	ds_write_b32 v171, v39 offset:544
.LBB222_162:                            ;   in Loop: Header=BB222_108 Depth=2
	s_or_b32 exec_lo, exec_lo, s23
	v_lshrrev_b32_sdwa v39, s61, v140 dst_sel:DWORD dst_unused:UNUSED_PAD src0_sel:DWORD src1_sel:BYTE_0
	; wave barrier
	v_and_b32_e32 v40, s62, v39
	v_and_b32_e32 v39, 1, v40
	v_lshlrev_b32_e32 v41, 30, v40
	v_lshlrev_b32_e32 v42, 29, v40
	v_lshlrev_b32_e32 v173, 28, v40
	v_lshlrev_b32_e32 v174, 27, v40
	v_add_co_u32 v39, s23, v39, -1
	v_cndmask_b32_e64 v172, 0, 1, s23
	v_not_b32_e32 v176, v41
	v_cmp_gt_i32_e64 s23, 0, v41
	v_not_b32_e32 v41, v42
	v_lshlrev_b32_e32 v175, 26, v40
	v_cmp_ne_u32_e32 vcc_lo, 0, v172
	v_ashrrev_i32_e32 v176, 31, v176
	v_lshlrev_b32_e32 v172, 25, v40
	v_ashrrev_i32_e32 v41, 31, v41
	v_xor_b32_e32 v39, vcc_lo, v39
	v_cmp_gt_i32_e32 vcc_lo, 0, v42
	v_not_b32_e32 v42, v173
	v_xor_b32_e32 v176, s23, v176
	v_cmp_gt_i32_e64 s23, 0, v173
	v_and_b32_e32 v39, exec_lo, v39
	v_not_b32_e32 v173, v174
	v_ashrrev_i32_e32 v42, 31, v42
	v_xor_b32_e32 v41, vcc_lo, v41
	v_cmp_gt_i32_e32 vcc_lo, 0, v174
	v_and_b32_e32 v39, v39, v176
	v_not_b32_e32 v174, v175
	v_ashrrev_i32_e32 v173, 31, v173
	v_xor_b32_e32 v42, s23, v42
	v_cmp_gt_i32_e64 s23, 0, v175
	v_and_b32_e32 v39, v39, v41
	v_not_b32_e32 v41, v172
	v_ashrrev_i32_e32 v174, 31, v174
	v_xor_b32_e32 v173, vcc_lo, v173
	v_cmp_gt_i32_e32 vcc_lo, 0, v172
	v_and_b32_e32 v39, v39, v42
	v_ashrrev_i32_e32 v41, 31, v41
	v_xor_b32_e32 v42, s23, v174
	v_mad_u32_u24 v172, v40, 36, v112
	v_mul_u32_u24_e32 v40, 36, v40
	v_and_b32_e32 v39, v39, v173
	v_xor_b32_e32 v41, vcc_lo, v41
	ds_read_b32 v172, v172 offset:544
	v_add_nc_u32_e32 v174, v112, v40
	v_and_b32_e32 v39, v39, v42
	; wave barrier
	v_and_b32_e32 v39, v39, v41
	v_mbcnt_lo_u32_b32 v173, v39, 0
	v_cmp_ne_u32_e64 s23, 0, v39
	v_cmp_eq_u32_e32 vcc_lo, 0, v173
	s_and_b32 s24, s23, vcc_lo
	s_and_saveexec_b32 s23, s24
	s_cbranch_execz .LBB222_164
; %bb.163:                              ;   in Loop: Header=BB222_108 Depth=2
	s_waitcnt lgkmcnt(0)
	v_bcnt_u32_b32 v39, v39, v172
	ds_write_b32 v174, v39 offset:544
.LBB222_164:                            ;   in Loop: Header=BB222_108 Depth=2
	s_or_b32 exec_lo, exec_lo, s23
	v_lshrrev_b32_sdwa v39, s61, v141 dst_sel:DWORD dst_unused:UNUSED_PAD src0_sel:DWORD src1_sel:BYTE_0
	; wave barrier
	v_and_b32_e32 v40, s62, v39
	v_and_b32_e32 v39, 1, v40
	v_lshlrev_b32_e32 v41, 30, v40
	v_lshlrev_b32_e32 v42, 29, v40
	v_lshlrev_b32_e32 v176, 28, v40
	v_lshlrev_b32_e32 v177, 27, v40
	v_add_co_u32 v39, s23, v39, -1
	v_cndmask_b32_e64 v175, 0, 1, s23
	v_not_b32_e32 v179, v41
	v_cmp_gt_i32_e64 s23, 0, v41
	v_not_b32_e32 v41, v42
	v_lshlrev_b32_e32 v178, 26, v40
	v_cmp_ne_u32_e32 vcc_lo, 0, v175
	v_ashrrev_i32_e32 v179, 31, v179
	v_lshlrev_b32_e32 v175, 25, v40
	v_ashrrev_i32_e32 v41, 31, v41
	v_xor_b32_e32 v39, vcc_lo, v39
	v_cmp_gt_i32_e32 vcc_lo, 0, v42
	v_not_b32_e32 v42, v176
	v_xor_b32_e32 v179, s23, v179
	v_cmp_gt_i32_e64 s23, 0, v176
	v_and_b32_e32 v39, exec_lo, v39
	v_not_b32_e32 v176, v177
	v_ashrrev_i32_e32 v42, 31, v42
	v_xor_b32_e32 v41, vcc_lo, v41
	v_cmp_gt_i32_e32 vcc_lo, 0, v177
	v_and_b32_e32 v39, v39, v179
	v_not_b32_e32 v177, v178
	v_ashrrev_i32_e32 v176, 31, v176
	v_xor_b32_e32 v42, s23, v42
	v_cmp_gt_i32_e64 s23, 0, v178
	v_and_b32_e32 v39, v39, v41
	v_not_b32_e32 v41, v175
	v_ashrrev_i32_e32 v177, 31, v177
	v_xor_b32_e32 v176, vcc_lo, v176
	v_cmp_gt_i32_e32 vcc_lo, 0, v175
	v_and_b32_e32 v39, v39, v42
	v_ashrrev_i32_e32 v41, 31, v41
	v_xor_b32_e32 v42, s23, v177
	v_mad_u32_u24 v175, v40, 36, v112
	v_mul_u32_u24_e32 v40, 36, v40
	v_and_b32_e32 v39, v39, v176
	v_xor_b32_e32 v41, vcc_lo, v41
	ds_read_b32 v175, v175 offset:544
	v_add_nc_u32_e32 v177, v112, v40
	v_and_b32_e32 v39, v39, v42
	; wave barrier
	v_and_b32_e32 v39, v39, v41
	v_mbcnt_lo_u32_b32 v176, v39, 0
	v_cmp_ne_u32_e64 s23, 0, v39
	v_cmp_eq_u32_e32 vcc_lo, 0, v176
	s_and_b32 s24, s23, vcc_lo
	s_and_saveexec_b32 s23, s24
	s_cbranch_execz .LBB222_166
; %bb.165:                              ;   in Loop: Header=BB222_108 Depth=2
	s_waitcnt lgkmcnt(0)
	v_bcnt_u32_b32 v39, v39, v175
	ds_write_b32 v177, v39 offset:544
.LBB222_166:                            ;   in Loop: Header=BB222_108 Depth=2
	s_or_b32 exec_lo, exec_lo, s23
	v_lshrrev_b32_sdwa v39, s61, v142 dst_sel:DWORD dst_unused:UNUSED_PAD src0_sel:DWORD src1_sel:BYTE_0
	; wave barrier
	v_and_b32_e32 v40, s62, v39
	v_and_b32_e32 v39, 1, v40
	v_lshlrev_b32_e32 v41, 30, v40
	v_lshlrev_b32_e32 v42, 29, v40
	v_lshlrev_b32_e32 v179, 28, v40
	v_lshlrev_b32_e32 v180, 27, v40
	v_add_co_u32 v39, s23, v39, -1
	v_cndmask_b32_e64 v178, 0, 1, s23
	v_not_b32_e32 v182, v41
	v_cmp_gt_i32_e64 s23, 0, v41
	v_not_b32_e32 v41, v42
	v_lshlrev_b32_e32 v181, 26, v40
	v_cmp_ne_u32_e32 vcc_lo, 0, v178
	v_ashrrev_i32_e32 v182, 31, v182
	v_lshlrev_b32_e32 v178, 25, v40
	v_ashrrev_i32_e32 v41, 31, v41
	v_xor_b32_e32 v39, vcc_lo, v39
	v_cmp_gt_i32_e32 vcc_lo, 0, v42
	v_not_b32_e32 v42, v179
	v_xor_b32_e32 v182, s23, v182
	v_cmp_gt_i32_e64 s23, 0, v179
	v_and_b32_e32 v39, exec_lo, v39
	v_not_b32_e32 v179, v180
	v_ashrrev_i32_e32 v42, 31, v42
	v_xor_b32_e32 v41, vcc_lo, v41
	v_cmp_gt_i32_e32 vcc_lo, 0, v180
	v_and_b32_e32 v39, v39, v182
	v_not_b32_e32 v180, v181
	v_ashrrev_i32_e32 v179, 31, v179
	v_xor_b32_e32 v42, s23, v42
	v_cmp_gt_i32_e64 s23, 0, v181
	v_and_b32_e32 v39, v39, v41
	v_not_b32_e32 v41, v178
	v_ashrrev_i32_e32 v180, 31, v180
	v_xor_b32_e32 v179, vcc_lo, v179
	v_cmp_gt_i32_e32 vcc_lo, 0, v178
	v_and_b32_e32 v39, v39, v42
	v_ashrrev_i32_e32 v41, 31, v41
	v_xor_b32_e32 v42, s23, v180
	v_mad_u32_u24 v178, v40, 36, v112
	v_mul_u32_u24_e32 v40, 36, v40
	v_and_b32_e32 v39, v39, v179
	v_xor_b32_e32 v41, vcc_lo, v41
	ds_read_b32 v178, v178 offset:544
	v_add_nc_u32_e32 v180, v112, v40
	v_and_b32_e32 v39, v39, v42
	; wave barrier
	v_and_b32_e32 v39, v39, v41
	v_mbcnt_lo_u32_b32 v179, v39, 0
	v_cmp_ne_u32_e64 s23, 0, v39
	v_cmp_eq_u32_e32 vcc_lo, 0, v179
	s_and_b32 s24, s23, vcc_lo
	s_and_saveexec_b32 s23, s24
	s_cbranch_execz .LBB222_168
; %bb.167:                              ;   in Loop: Header=BB222_108 Depth=2
	s_waitcnt lgkmcnt(0)
	v_bcnt_u32_b32 v39, v39, v178
	ds_write_b32 v180, v39 offset:544
.LBB222_168:                            ;   in Loop: Header=BB222_108 Depth=2
	s_or_b32 exec_lo, exec_lo, s23
	v_lshrrev_b32_sdwa v39, s61, v143 dst_sel:DWORD dst_unused:UNUSED_PAD src0_sel:DWORD src1_sel:BYTE_0
	; wave barrier
	v_and_b32_e32 v40, s62, v39
	v_and_b32_e32 v39, 1, v40
	v_lshlrev_b32_e32 v41, 30, v40
	v_lshlrev_b32_e32 v42, 29, v40
	v_lshlrev_b32_e32 v182, 28, v40
	v_lshlrev_b32_e32 v183, 27, v40
	v_add_co_u32 v39, s23, v39, -1
	v_cndmask_b32_e64 v181, 0, 1, s23
	v_not_b32_e32 v185, v41
	v_cmp_gt_i32_e64 s23, 0, v41
	v_not_b32_e32 v41, v42
	v_lshlrev_b32_e32 v184, 26, v40
	v_cmp_ne_u32_e32 vcc_lo, 0, v181
	v_ashrrev_i32_e32 v185, 31, v185
	v_lshlrev_b32_e32 v181, 25, v40
	v_ashrrev_i32_e32 v41, 31, v41
	v_xor_b32_e32 v39, vcc_lo, v39
	v_cmp_gt_i32_e32 vcc_lo, 0, v42
	v_not_b32_e32 v42, v182
	v_xor_b32_e32 v185, s23, v185
	v_cmp_gt_i32_e64 s23, 0, v182
	v_and_b32_e32 v39, exec_lo, v39
	v_not_b32_e32 v182, v183
	v_ashrrev_i32_e32 v42, 31, v42
	v_xor_b32_e32 v41, vcc_lo, v41
	v_cmp_gt_i32_e32 vcc_lo, 0, v183
	v_and_b32_e32 v39, v39, v185
	v_not_b32_e32 v183, v184
	v_ashrrev_i32_e32 v182, 31, v182
	v_xor_b32_e32 v42, s23, v42
	v_cmp_gt_i32_e64 s23, 0, v184
	v_and_b32_e32 v39, v39, v41
	v_not_b32_e32 v41, v181
	v_ashrrev_i32_e32 v183, 31, v183
	v_xor_b32_e32 v182, vcc_lo, v182
	v_cmp_gt_i32_e32 vcc_lo, 0, v181
	v_and_b32_e32 v39, v39, v42
	v_ashrrev_i32_e32 v41, 31, v41
	v_xor_b32_e32 v42, s23, v183
	v_mad_u32_u24 v181, v40, 36, v112
	v_mul_u32_u24_e32 v40, 36, v40
	v_and_b32_e32 v39, v39, v182
	v_xor_b32_e32 v41, vcc_lo, v41
	ds_read_b32 v181, v181 offset:544
	v_add_nc_u32_e32 v183, v112, v40
	v_and_b32_e32 v39, v39, v42
	; wave barrier
	v_and_b32_e32 v39, v39, v41
	v_mbcnt_lo_u32_b32 v182, v39, 0
	v_cmp_ne_u32_e64 s23, 0, v39
	v_cmp_eq_u32_e32 vcc_lo, 0, v182
	s_and_b32 s24, s23, vcc_lo
	s_and_saveexec_b32 s23, s24
	s_cbranch_execz .LBB222_170
; %bb.169:                              ;   in Loop: Header=BB222_108 Depth=2
	s_waitcnt lgkmcnt(0)
	v_bcnt_u32_b32 v39, v39, v181
	ds_write_b32 v183, v39 offset:544
.LBB222_170:                            ;   in Loop: Header=BB222_108 Depth=2
	s_or_b32 exec_lo, exec_lo, s23
	v_lshrrev_b32_sdwa v39, s61, v144 dst_sel:DWORD dst_unused:UNUSED_PAD src0_sel:DWORD src1_sel:BYTE_0
	; wave barrier
	v_and_b32_e32 v40, s62, v39
	v_and_b32_e32 v39, 1, v40
	v_lshlrev_b32_e32 v41, 30, v40
	v_lshlrev_b32_e32 v42, 29, v40
	v_lshlrev_b32_e32 v185, 28, v40
	v_lshlrev_b32_e32 v186, 27, v40
	v_add_co_u32 v39, s23, v39, -1
	v_cndmask_b32_e64 v184, 0, 1, s23
	v_not_b32_e32 v188, v41
	v_cmp_gt_i32_e64 s23, 0, v41
	v_not_b32_e32 v41, v42
	v_lshlrev_b32_e32 v187, 26, v40
	v_cmp_ne_u32_e32 vcc_lo, 0, v184
	v_ashrrev_i32_e32 v188, 31, v188
	v_lshlrev_b32_e32 v184, 25, v40
	v_ashrrev_i32_e32 v41, 31, v41
	v_xor_b32_e32 v39, vcc_lo, v39
	v_cmp_gt_i32_e32 vcc_lo, 0, v42
	v_not_b32_e32 v42, v185
	v_xor_b32_e32 v188, s23, v188
	v_cmp_gt_i32_e64 s23, 0, v185
	v_and_b32_e32 v39, exec_lo, v39
	v_not_b32_e32 v185, v186
	v_ashrrev_i32_e32 v42, 31, v42
	v_xor_b32_e32 v41, vcc_lo, v41
	v_cmp_gt_i32_e32 vcc_lo, 0, v186
	v_and_b32_e32 v39, v39, v188
	v_not_b32_e32 v186, v187
	v_ashrrev_i32_e32 v185, 31, v185
	v_xor_b32_e32 v42, s23, v42
	v_cmp_gt_i32_e64 s23, 0, v187
	v_and_b32_e32 v39, v39, v41
	v_not_b32_e32 v41, v184
	v_ashrrev_i32_e32 v186, 31, v186
	v_xor_b32_e32 v185, vcc_lo, v185
	v_cmp_gt_i32_e32 vcc_lo, 0, v184
	v_and_b32_e32 v39, v39, v42
	v_ashrrev_i32_e32 v41, 31, v41
	v_xor_b32_e32 v42, s23, v186
	v_mad_u32_u24 v184, v40, 36, v112
	v_mul_u32_u24_e32 v40, 36, v40
	v_and_b32_e32 v39, v39, v185
	v_xor_b32_e32 v41, vcc_lo, v41
	ds_read_b32 v184, v184 offset:544
	v_add_nc_u32_e32 v186, v112, v40
	v_and_b32_e32 v39, v39, v42
	; wave barrier
	v_and_b32_e32 v39, v39, v41
	v_mbcnt_lo_u32_b32 v185, v39, 0
	v_cmp_ne_u32_e64 s23, 0, v39
	v_cmp_eq_u32_e32 vcc_lo, 0, v185
	s_and_b32 s24, s23, vcc_lo
	s_and_saveexec_b32 s23, s24
	s_cbranch_execz .LBB222_172
; %bb.171:                              ;   in Loop: Header=BB222_108 Depth=2
	s_waitcnt lgkmcnt(0)
	v_bcnt_u32_b32 v39, v39, v184
	ds_write_b32 v186, v39 offset:544
.LBB222_172:                            ;   in Loop: Header=BB222_108 Depth=2
	s_or_b32 exec_lo, exec_lo, s23
	v_lshrrev_b32_sdwa v39, s61, v145 dst_sel:DWORD dst_unused:UNUSED_PAD src0_sel:DWORD src1_sel:BYTE_0
	; wave barrier
	v_and_b32_e32 v40, s62, v39
	v_and_b32_e32 v39, 1, v40
	v_lshlrev_b32_e32 v41, 30, v40
	v_lshlrev_b32_e32 v42, 29, v40
	v_lshlrev_b32_e32 v188, 28, v40
	v_lshlrev_b32_e32 v189, 27, v40
	v_add_co_u32 v39, s23, v39, -1
	v_cndmask_b32_e64 v187, 0, 1, s23
	v_not_b32_e32 v191, v41
	v_cmp_gt_i32_e64 s23, 0, v41
	v_not_b32_e32 v41, v42
	v_lshlrev_b32_e32 v190, 26, v40
	v_cmp_ne_u32_e32 vcc_lo, 0, v187
	v_ashrrev_i32_e32 v191, 31, v191
	v_lshlrev_b32_e32 v187, 25, v40
	v_ashrrev_i32_e32 v41, 31, v41
	v_xor_b32_e32 v39, vcc_lo, v39
	v_cmp_gt_i32_e32 vcc_lo, 0, v42
	v_not_b32_e32 v42, v188
	v_xor_b32_e32 v191, s23, v191
	v_cmp_gt_i32_e64 s23, 0, v188
	v_and_b32_e32 v39, exec_lo, v39
	v_not_b32_e32 v188, v189
	v_ashrrev_i32_e32 v42, 31, v42
	v_xor_b32_e32 v41, vcc_lo, v41
	v_cmp_gt_i32_e32 vcc_lo, 0, v189
	v_and_b32_e32 v39, v39, v191
	v_not_b32_e32 v189, v190
	v_ashrrev_i32_e32 v188, 31, v188
	v_xor_b32_e32 v42, s23, v42
	v_cmp_gt_i32_e64 s23, 0, v190
	v_and_b32_e32 v39, v39, v41
	v_not_b32_e32 v41, v187
	v_ashrrev_i32_e32 v189, 31, v189
	v_xor_b32_e32 v188, vcc_lo, v188
	v_cmp_gt_i32_e32 vcc_lo, 0, v187
	v_and_b32_e32 v39, v39, v42
	v_ashrrev_i32_e32 v41, 31, v41
	v_xor_b32_e32 v42, s23, v189
	v_mad_u32_u24 v187, v40, 36, v112
	v_mul_u32_u24_e32 v40, 36, v40
	v_and_b32_e32 v39, v39, v188
	v_xor_b32_e32 v41, vcc_lo, v41
	ds_read_b32 v187, v187 offset:544
	v_add_nc_u32_e32 v189, v112, v40
	v_and_b32_e32 v39, v39, v42
	; wave barrier
	v_and_b32_e32 v39, v39, v41
	v_mbcnt_lo_u32_b32 v188, v39, 0
	v_cmp_ne_u32_e64 s23, 0, v39
	v_cmp_eq_u32_e32 vcc_lo, 0, v188
	s_and_b32 s24, s23, vcc_lo
	s_and_saveexec_b32 s23, s24
	s_cbranch_execz .LBB222_174
; %bb.173:                              ;   in Loop: Header=BB222_108 Depth=2
	s_waitcnt lgkmcnt(0)
	v_bcnt_u32_b32 v39, v39, v187
	ds_write_b32 v189, v39 offset:544
.LBB222_174:                            ;   in Loop: Header=BB222_108 Depth=2
	s_or_b32 exec_lo, exec_lo, s23
	v_lshrrev_b32_sdwa v39, s61, v146 dst_sel:DWORD dst_unused:UNUSED_PAD src0_sel:DWORD src1_sel:BYTE_0
	; wave barrier
	v_and_b32_e32 v40, s62, v39
	v_and_b32_e32 v39, 1, v40
	v_lshlrev_b32_e32 v41, 30, v40
	v_lshlrev_b32_e32 v42, 29, v40
	v_lshlrev_b32_e32 v191, 28, v40
	v_lshlrev_b32_e32 v192, 27, v40
	v_add_co_u32 v39, s23, v39, -1
	v_cndmask_b32_e64 v190, 0, 1, s23
	v_not_b32_e32 v194, v41
	v_cmp_gt_i32_e64 s23, 0, v41
	v_not_b32_e32 v41, v42
	v_lshlrev_b32_e32 v193, 26, v40
	v_cmp_ne_u32_e32 vcc_lo, 0, v190
	v_ashrrev_i32_e32 v194, 31, v194
	v_lshlrev_b32_e32 v190, 25, v40
	v_ashrrev_i32_e32 v41, 31, v41
	v_xor_b32_e32 v39, vcc_lo, v39
	v_cmp_gt_i32_e32 vcc_lo, 0, v42
	v_not_b32_e32 v42, v191
	v_xor_b32_e32 v194, s23, v194
	v_cmp_gt_i32_e64 s23, 0, v191
	v_and_b32_e32 v39, exec_lo, v39
	v_not_b32_e32 v191, v192
	v_ashrrev_i32_e32 v42, 31, v42
	v_xor_b32_e32 v41, vcc_lo, v41
	v_cmp_gt_i32_e32 vcc_lo, 0, v192
	v_and_b32_e32 v39, v39, v194
	v_not_b32_e32 v192, v193
	v_ashrrev_i32_e32 v191, 31, v191
	v_xor_b32_e32 v42, s23, v42
	v_cmp_gt_i32_e64 s23, 0, v193
	v_and_b32_e32 v39, v39, v41
	v_not_b32_e32 v41, v190
	v_ashrrev_i32_e32 v192, 31, v192
	v_xor_b32_e32 v191, vcc_lo, v191
	v_cmp_gt_i32_e32 vcc_lo, 0, v190
	v_and_b32_e32 v39, v39, v42
	v_ashrrev_i32_e32 v41, 31, v41
	v_xor_b32_e32 v42, s23, v192
	v_mad_u32_u24 v190, v40, 36, v112
	v_mul_u32_u24_e32 v40, 36, v40
	v_and_b32_e32 v39, v39, v191
	v_xor_b32_e32 v41, vcc_lo, v41
	ds_read_b32 v190, v190 offset:544
	v_add_nc_u32_e32 v192, v112, v40
	v_and_b32_e32 v39, v39, v42
	; wave barrier
	v_and_b32_e32 v39, v39, v41
	v_mbcnt_lo_u32_b32 v191, v39, 0
	v_cmp_ne_u32_e64 s23, 0, v39
	v_cmp_eq_u32_e32 vcc_lo, 0, v191
	s_and_b32 s24, s23, vcc_lo
	s_and_saveexec_b32 s23, s24
	s_cbranch_execz .LBB222_176
; %bb.175:                              ;   in Loop: Header=BB222_108 Depth=2
	s_waitcnt lgkmcnt(0)
	v_bcnt_u32_b32 v39, v39, v190
	ds_write_b32 v192, v39 offset:544
.LBB222_176:                            ;   in Loop: Header=BB222_108 Depth=2
	s_or_b32 exec_lo, exec_lo, s23
	v_lshrrev_b32_sdwa v39, s61, v147 dst_sel:DWORD dst_unused:UNUSED_PAD src0_sel:DWORD src1_sel:BYTE_0
	; wave barrier
	v_and_b32_e32 v40, s62, v39
	v_and_b32_e32 v39, 1, v40
	v_lshlrev_b32_e32 v41, 30, v40
	v_lshlrev_b32_e32 v42, 29, v40
	v_lshlrev_b32_e32 v194, 28, v40
	v_lshlrev_b32_e32 v195, 27, v40
	v_add_co_u32 v39, s23, v39, -1
	v_cndmask_b32_e64 v193, 0, 1, s23
	v_not_b32_e32 v197, v41
	v_cmp_gt_i32_e64 s23, 0, v41
	v_not_b32_e32 v41, v42
	v_lshlrev_b32_e32 v196, 26, v40
	v_cmp_ne_u32_e32 vcc_lo, 0, v193
	v_ashrrev_i32_e32 v197, 31, v197
	v_lshlrev_b32_e32 v193, 25, v40
	v_ashrrev_i32_e32 v41, 31, v41
	v_xor_b32_e32 v39, vcc_lo, v39
	v_cmp_gt_i32_e32 vcc_lo, 0, v42
	v_not_b32_e32 v42, v194
	v_xor_b32_e32 v197, s23, v197
	v_cmp_gt_i32_e64 s23, 0, v194
	v_and_b32_e32 v39, exec_lo, v39
	v_not_b32_e32 v194, v195
	v_ashrrev_i32_e32 v42, 31, v42
	v_xor_b32_e32 v41, vcc_lo, v41
	v_cmp_gt_i32_e32 vcc_lo, 0, v195
	v_and_b32_e32 v39, v39, v197
	v_not_b32_e32 v195, v196
	v_ashrrev_i32_e32 v194, 31, v194
	v_xor_b32_e32 v42, s23, v42
	v_cmp_gt_i32_e64 s23, 0, v196
	v_and_b32_e32 v39, v39, v41
	v_not_b32_e32 v41, v193
	v_ashrrev_i32_e32 v195, 31, v195
	v_xor_b32_e32 v194, vcc_lo, v194
	v_cmp_gt_i32_e32 vcc_lo, 0, v193
	v_and_b32_e32 v39, v39, v42
	v_ashrrev_i32_e32 v41, 31, v41
	v_xor_b32_e32 v42, s23, v195
	v_mad_u32_u24 v193, v40, 36, v112
	v_mul_u32_u24_e32 v40, 36, v40
	v_and_b32_e32 v39, v39, v194
	v_xor_b32_e32 v41, vcc_lo, v41
	ds_read_b32 v193, v193 offset:544
	v_add_nc_u32_e32 v195, v112, v40
	v_and_b32_e32 v39, v39, v42
	; wave barrier
	v_and_b32_e32 v39, v39, v41
	v_mbcnt_lo_u32_b32 v194, v39, 0
	v_cmp_ne_u32_e64 s23, 0, v39
	v_cmp_eq_u32_e32 vcc_lo, 0, v194
	s_and_b32 s24, s23, vcc_lo
	s_and_saveexec_b32 s23, s24
	s_cbranch_execz .LBB222_178
; %bb.177:                              ;   in Loop: Header=BB222_108 Depth=2
	s_waitcnt lgkmcnt(0)
	v_bcnt_u32_b32 v39, v39, v193
	ds_write_b32 v195, v39 offset:544
.LBB222_178:                            ;   in Loop: Header=BB222_108 Depth=2
	s_or_b32 exec_lo, exec_lo, s23
	v_lshrrev_b32_sdwa v39, s61, v148 dst_sel:DWORD dst_unused:UNUSED_PAD src0_sel:DWORD src1_sel:BYTE_0
	; wave barrier
	v_and_b32_e32 v40, s62, v39
	v_and_b32_e32 v39, 1, v40
	v_lshlrev_b32_e32 v41, 30, v40
	v_lshlrev_b32_e32 v42, 29, v40
	v_lshlrev_b32_e32 v197, 28, v40
	v_lshlrev_b32_e32 v198, 27, v40
	v_add_co_u32 v39, s23, v39, -1
	v_cndmask_b32_e64 v196, 0, 1, s23
	v_not_b32_e32 v200, v41
	v_cmp_gt_i32_e64 s23, 0, v41
	v_not_b32_e32 v41, v42
	v_lshlrev_b32_e32 v199, 26, v40
	v_cmp_ne_u32_e32 vcc_lo, 0, v196
	v_ashrrev_i32_e32 v200, 31, v200
	v_lshlrev_b32_e32 v196, 25, v40
	v_ashrrev_i32_e32 v41, 31, v41
	v_xor_b32_e32 v39, vcc_lo, v39
	v_cmp_gt_i32_e32 vcc_lo, 0, v42
	v_not_b32_e32 v42, v197
	v_xor_b32_e32 v200, s23, v200
	v_cmp_gt_i32_e64 s23, 0, v197
	v_and_b32_e32 v39, exec_lo, v39
	v_not_b32_e32 v197, v198
	v_ashrrev_i32_e32 v42, 31, v42
	v_xor_b32_e32 v41, vcc_lo, v41
	v_cmp_gt_i32_e32 vcc_lo, 0, v198
	v_and_b32_e32 v39, v39, v200
	v_not_b32_e32 v198, v199
	v_ashrrev_i32_e32 v197, 31, v197
	v_xor_b32_e32 v42, s23, v42
	v_cmp_gt_i32_e64 s23, 0, v199
	v_and_b32_e32 v39, v39, v41
	v_not_b32_e32 v41, v196
	v_ashrrev_i32_e32 v198, 31, v198
	v_xor_b32_e32 v197, vcc_lo, v197
	v_cmp_gt_i32_e32 vcc_lo, 0, v196
	v_and_b32_e32 v39, v39, v42
	v_ashrrev_i32_e32 v41, 31, v41
	v_xor_b32_e32 v42, s23, v198
	v_mad_u32_u24 v196, v40, 36, v112
	v_mul_u32_u24_e32 v40, 36, v40
	v_and_b32_e32 v39, v39, v197
	v_xor_b32_e32 v41, vcc_lo, v41
	ds_read_b32 v196, v196 offset:544
	v_add_nc_u32_e32 v198, v112, v40
	v_and_b32_e32 v39, v39, v42
	; wave barrier
	v_and_b32_e32 v39, v39, v41
	v_mbcnt_lo_u32_b32 v197, v39, 0
	v_cmp_ne_u32_e64 s23, 0, v39
	v_cmp_eq_u32_e32 vcc_lo, 0, v197
	s_and_b32 s24, s23, vcc_lo
	s_and_saveexec_b32 s23, s24
	s_cbranch_execz .LBB222_180
; %bb.179:                              ;   in Loop: Header=BB222_108 Depth=2
	s_waitcnt lgkmcnt(0)
	v_bcnt_u32_b32 v39, v39, v196
	ds_write_b32 v198, v39 offset:544
.LBB222_180:                            ;   in Loop: Header=BB222_108 Depth=2
	s_or_b32 exec_lo, exec_lo, s23
	; wave barrier
	s_waitcnt lgkmcnt(0)
	s_barrier
	buffer_gl0_inv
	ds_read2_b32 v[41:42], v69 offset0:136 offset1:137
	ds_read2_b32 v[39:40], v69 offset0:138 offset1:139
	ds_read_b32 v199, v69 offset:560
	s_waitcnt lgkmcnt(1)
	v_add3_u32 v200, v42, v41, v39
	s_waitcnt lgkmcnt(0)
	v_add3_u32 v199, v200, v40, v199
	v_mov_b32_dpp v200, v199 row_shr:1 row_mask:0xf bank_mask:0xf
	v_cndmask_b32_e64 v200, v200, 0, s5
	v_add_nc_u32_e32 v199, v200, v199
	v_mov_b32_dpp v200, v199 row_shr:2 row_mask:0xf bank_mask:0xf
	v_cndmask_b32_e64 v200, 0, v200, s15
	v_add_nc_u32_e32 v199, v199, v200
	;; [unrolled: 3-line block ×4, first 2 shown]
	ds_swizzle_b32 v200, v199 offset:swizzle(BROADCAST,32,15)
	s_waitcnt lgkmcnt(0)
	v_cndmask_b32_e64 v200, v200, 0, s18
	v_add_nc_u32_e32 v199, v199, v200
	s_and_saveexec_b32 s23, s4
; %bb.181:                              ;   in Loop: Header=BB222_108 Depth=2
	ds_write_b32 v62, v199 offset:512
; %bb.182:                              ;   in Loop: Header=BB222_108 Depth=2
	s_or_b32 exec_lo, exec_lo, s23
	s_waitcnt lgkmcnt(0)
	s_barrier
	buffer_gl0_inv
	s_and_saveexec_b32 s23, s12
	s_cbranch_execz .LBB222_184
; %bb.183:                              ;   in Loop: Header=BB222_108 Depth=2
	ds_read_b32 v200, v70 offset:512
	s_waitcnt lgkmcnt(0)
	v_mov_b32_dpp v201, v200 row_shr:1 row_mask:0xf bank_mask:0xf
	v_cndmask_b32_e64 v201, v201, 0, s20
	v_add_nc_u32_e32 v200, v201, v200
	v_mov_b32_dpp v201, v200 row_shr:2 row_mask:0xf bank_mask:0xf
	v_cndmask_b32_e64 v201, 0, v201, s21
	v_add_nc_u32_e32 v200, v200, v201
	;; [unrolled: 3-line block ×3, first 2 shown]
	ds_write_b32 v70, v200 offset:512
.LBB222_184:                            ;   in Loop: Header=BB222_108 Depth=2
	s_or_b32 exec_lo, exec_lo, s23
	v_mov_b32_e32 v200, 0
	s_waitcnt lgkmcnt(0)
	s_barrier
	buffer_gl0_inv
	s_and_saveexec_b32 s23, s11
; %bb.185:                              ;   in Loop: Header=BB222_108 Depth=2
	ds_read_b32 v200, v62 offset:508
; %bb.186:                              ;   in Loop: Header=BB222_108 Depth=2
	s_or_b32 exec_lo, exec_lo, s23
	s_waitcnt lgkmcnt(0)
	v_add_nc_u32_e32 v199, v200, v199
	ds_bpermute_b32 v199, v92, v199
	s_waitcnt lgkmcnt(0)
	v_cndmask_b32_e64 v199, v199, v200, s19
	v_cndmask_b32_e64 v199, v199, 0, s13
	v_add_nc_u32_e32 v41, v199, v41
	v_add_nc_u32_e32 v42, v41, v42
	;; [unrolled: 1-line block ×4, first 2 shown]
	ds_write2_b32 v69, v199, v41 offset0:136 offset1:137
	ds_write2_b32 v69, v42, v39 offset0:138 offset1:139
	ds_write_b32 v69, v40 offset:560
	s_waitcnt lgkmcnt(0)
	s_barrier
	buffer_gl0_inv
	ds_read_b32 v39, v150 offset:544
	ds_read_b32 v40, v153 offset:544
	;; [unrolled: 1-line block ×17, first 2 shown]
	s_and_saveexec_b32 s23, s8
	s_cbranch_execz .LBB222_190
; %bb.187:                              ;   in Loop: Header=BB222_108 Depth=2
	v_add_nc_u32_e32 v130, v70, v72
	v_mov_b32_e32 v131, 0x1100
	ds_read_b32 v130, v130 offset:544
	s_and_saveexec_b32 s24, s14
; %bb.188:                              ;   in Loop: Header=BB222_108 Depth=2
	ds_read_b32 v131, v71 offset:544
; %bb.189:                              ;   in Loop: Header=BB222_108 Depth=2
	s_or_b32 exec_lo, exec_lo, s24
	s_waitcnt lgkmcnt(0)
	v_sub_nc_u32_e32 v131, v131, v130
.LBB222_190:                            ;   in Loop: Header=BB222_108 Depth=2
	s_or_b32 exec_lo, exec_lo, s23
	s_waitcnt lgkmcnt(0)
	s_barrier
	buffer_gl0_inv
	s_and_saveexec_b32 s23, s8
	s_cbranch_execz .LBB222_192
; %bb.191:                              ;   in Loop: Header=BB222_108 Depth=2
	ds_read_b32 v159, v43
	s_waitcnt lgkmcnt(0)
	v_sub_nc_u32_e32 v159, v159, v130
	ds_write_b32 v43, v159
.LBB222_192:                            ;   in Loop: Header=BB222_108 Depth=2
	s_or_b32 exec_lo, exec_lo, s23
	v_add_nc_u32_e32 v171, v39, v149
	v_add3_u32 v168, v152, v151, v40
	v_add3_u32 v165, v155, v154, v41
	;; [unrolled: 1-line block ×16, first 2 shown]
	v_cmp_lt_u32_e64 s39, v0, v3
	ds_write_b8 v171, v132 offset:512
	ds_write_b8 v168, v133 offset:512
	;; [unrolled: 1-line block ×17, first 2 shown]
	s_waitcnt lgkmcnt(0)
	s_barrier
	buffer_gl0_inv
	s_and_saveexec_b32 s23, s39
	s_cbranch_execnz .LBB222_265
; %bb.193:                              ;   in Loop: Header=BB222_108 Depth=2
	s_or_b32 exec_lo, exec_lo, s23
	v_cmp_lt_u32_e64 s38, v44, v3
	s_and_saveexec_b32 s23, s38
	s_cbranch_execnz .LBB222_266
.LBB222_194:                            ;   in Loop: Header=BB222_108 Depth=2
	s_or_b32 exec_lo, exec_lo, s23
	v_cmp_lt_u32_e64 s37, v47, v3
	s_and_saveexec_b32 s23, s37
	s_cbranch_execnz .LBB222_267
.LBB222_195:                            ;   in Loop: Header=BB222_108 Depth=2
	s_or_b32 exec_lo, exec_lo, s23
	v_cmp_lt_u32_e64 s36, v48, v3
	s_and_saveexec_b32 s23, s36
	s_cbranch_execnz .LBB222_268
.LBB222_196:                            ;   in Loop: Header=BB222_108 Depth=2
	s_or_b32 exec_lo, exec_lo, s23
	v_cmp_lt_u32_e64 s35, v49, v3
	s_and_saveexec_b32 s23, s35
	s_cbranch_execnz .LBB222_269
.LBB222_197:                            ;   in Loop: Header=BB222_108 Depth=2
	s_or_b32 exec_lo, exec_lo, s23
	v_cmp_lt_u32_e64 s34, v50, v3
	s_and_saveexec_b32 s23, s34
	s_cbranch_execnz .LBB222_270
.LBB222_198:                            ;   in Loop: Header=BB222_108 Depth=2
	s_or_b32 exec_lo, exec_lo, s23
	v_cmp_lt_u32_e64 s33, v51, v3
	s_and_saveexec_b32 s23, s33
	s_cbranch_execnz .LBB222_271
.LBB222_199:                            ;   in Loop: Header=BB222_108 Depth=2
	s_or_b32 exec_lo, exec_lo, s23
	v_cmp_lt_u32_e64 s31, v52, v3
	s_and_saveexec_b32 s23, s31
	s_cbranch_execnz .LBB222_272
.LBB222_200:                            ;   in Loop: Header=BB222_108 Depth=2
	s_or_b32 exec_lo, exec_lo, s23
	v_cmp_lt_u32_e64 s30, v53, v3
	s_and_saveexec_b32 s23, s30
	s_cbranch_execnz .LBB222_273
.LBB222_201:                            ;   in Loop: Header=BB222_108 Depth=2
	s_or_b32 exec_lo, exec_lo, s23
	v_cmp_lt_u32_e64 s29, v54, v3
	s_and_saveexec_b32 s23, s29
	s_cbranch_execnz .LBB222_274
.LBB222_202:                            ;   in Loop: Header=BB222_108 Depth=2
	s_or_b32 exec_lo, exec_lo, s23
	v_cmp_lt_u32_e64 s28, v55, v3
	s_and_saveexec_b32 s23, s28
	s_cbranch_execnz .LBB222_275
.LBB222_203:                            ;   in Loop: Header=BB222_108 Depth=2
	s_or_b32 exec_lo, exec_lo, s23
	v_cmp_lt_u32_e64 s27, v56, v3
	s_and_saveexec_b32 s23, s27
	s_cbranch_execnz .LBB222_276
.LBB222_204:                            ;   in Loop: Header=BB222_108 Depth=2
	s_or_b32 exec_lo, exec_lo, s23
	v_cmp_lt_u32_e64 s26, v57, v3
	s_and_saveexec_b32 s23, s26
	s_cbranch_execnz .LBB222_277
.LBB222_205:                            ;   in Loop: Header=BB222_108 Depth=2
	s_or_b32 exec_lo, exec_lo, s23
	v_cmp_lt_u32_e64 s25, v58, v3
	s_and_saveexec_b32 s23, s25
	s_cbranch_execnz .LBB222_278
.LBB222_206:                            ;   in Loop: Header=BB222_108 Depth=2
	s_or_b32 exec_lo, exec_lo, s23
	v_cmp_lt_u32_e64 s24, v59, v3
	s_and_saveexec_b32 s23, s24
	s_cbranch_execnz .LBB222_279
.LBB222_207:                            ;   in Loop: Header=BB222_108 Depth=2
	s_or_b32 exec_lo, exec_lo, s23
	v_cmp_lt_u32_e64 s23, v60, v3
	s_and_saveexec_b32 s40, s23
	s_cbranch_execnz .LBB222_280
.LBB222_208:                            ;   in Loop: Header=BB222_108 Depth=2
	s_or_b32 exec_lo, exec_lo, s40
	v_cmp_lt_u32_e32 vcc_lo, v61, v3
	s_and_saveexec_b32 s40, vcc_lo
	s_cbranch_execz .LBB222_210
.LBB222_209:                            ;   in Loop: Header=BB222_108 Depth=2
	ds_read_u8 v39, v0 offset:4608
	s_waitcnt lgkmcnt(0)
	v_lshrrev_b32_sdwa v40, s61, v39 dst_sel:DWORD dst_unused:UNUSED_PAD src0_sel:DWORD src1_sel:BYTE_0
	v_and_b32_e32 v40, s62, v40
	v_lshlrev_b32_e32 v40, 2, v40
	ds_read_b32 v40, v40
	s_waitcnt lgkmcnt(0)
	v_add_nc_u32_e32 v40, v40, v61
	global_store_byte v40, v39, s[46:47]
.LBB222_210:                            ;   in Loop: Header=BB222_108 Depth=2
	s_or_b32 exec_lo, exec_lo, s40
	s_lshl_b64 s[66:67], s[50:51], 3
	v_add_co_u32 v39, s40, v94, s66
	v_add_co_ci_u32_e64 v40, null, s67, v95, s40
	v_cmp_lt_u32_e64 s40, v93, v3
	s_and_saveexec_b32 s50, s40
	s_xor_b32 s40, exec_lo, s50
	s_cbranch_execnz .LBB222_281
; %bb.211:                              ;   in Loop: Header=BB222_108 Depth=2
	s_or_b32 exec_lo, exec_lo, s40
	s_mov_b32 s50, exec_lo
	v_cmpx_lt_u32_e64 v96, v3
	s_cbranch_execnz .LBB222_282
.LBB222_212:                            ;   in Loop: Header=BB222_108 Depth=2
	s_or_b32 exec_lo, exec_lo, s50
	s_mov_b32 s50, exec_lo
	v_cmpx_lt_u32_e64 v97, v3
	s_cbranch_execnz .LBB222_283
.LBB222_213:                            ;   in Loop: Header=BB222_108 Depth=2
	s_or_b32 exec_lo, exec_lo, s50
	s_mov_b32 s50, exec_lo
	v_cmpx_lt_u32_e64 v98, v3
	s_cbranch_execnz .LBB222_284
.LBB222_214:                            ;   in Loop: Header=BB222_108 Depth=2
	s_or_b32 exec_lo, exec_lo, s50
	s_mov_b32 s50, exec_lo
	v_cmpx_lt_u32_e64 v99, v3
	s_cbranch_execnz .LBB222_285
.LBB222_215:                            ;   in Loop: Header=BB222_108 Depth=2
	s_or_b32 exec_lo, exec_lo, s50
	s_mov_b32 s50, exec_lo
	v_cmpx_lt_u32_e64 v100, v3
	s_cbranch_execnz .LBB222_286
.LBB222_216:                            ;   in Loop: Header=BB222_108 Depth=2
	s_or_b32 exec_lo, exec_lo, s50
	s_mov_b32 s50, exec_lo
	v_cmpx_lt_u32_e64 v101, v3
	s_cbranch_execnz .LBB222_287
.LBB222_217:                            ;   in Loop: Header=BB222_108 Depth=2
	s_or_b32 exec_lo, exec_lo, s50
	s_mov_b32 s50, exec_lo
	v_cmpx_lt_u32_e64 v102, v3
	s_cbranch_execnz .LBB222_288
.LBB222_218:                            ;   in Loop: Header=BB222_108 Depth=2
	s_or_b32 exec_lo, exec_lo, s50
	s_mov_b32 s50, exec_lo
	v_cmpx_lt_u32_e64 v103, v3
	s_cbranch_execnz .LBB222_289
.LBB222_219:                            ;   in Loop: Header=BB222_108 Depth=2
	s_or_b32 exec_lo, exec_lo, s50
	s_mov_b32 s50, exec_lo
	v_cmpx_lt_u32_e64 v104, v3
	s_cbranch_execnz .LBB222_290
.LBB222_220:                            ;   in Loop: Header=BB222_108 Depth=2
	s_or_b32 exec_lo, exec_lo, s50
	s_mov_b32 s50, exec_lo
	v_cmpx_lt_u32_e64 v105, v3
	s_cbranch_execnz .LBB222_291
.LBB222_221:                            ;   in Loop: Header=BB222_108 Depth=2
	s_or_b32 exec_lo, exec_lo, s50
	s_mov_b32 s50, exec_lo
	v_cmpx_lt_u32_e64 v106, v3
	s_cbranch_execnz .LBB222_292
.LBB222_222:                            ;   in Loop: Header=BB222_108 Depth=2
	s_or_b32 exec_lo, exec_lo, s50
	s_mov_b32 s50, exec_lo
	v_cmpx_lt_u32_e64 v107, v3
	s_cbranch_execnz .LBB222_293
.LBB222_223:                            ;   in Loop: Header=BB222_108 Depth=2
	s_or_b32 exec_lo, exec_lo, s50
	s_mov_b32 s50, exec_lo
	v_cmpx_lt_u32_e64 v108, v3
	s_cbranch_execnz .LBB222_294
.LBB222_224:                            ;   in Loop: Header=BB222_108 Depth=2
	s_or_b32 exec_lo, exec_lo, s50
	s_mov_b32 s50, exec_lo
	v_cmpx_lt_u32_e64 v109, v3
	s_cbranch_execnz .LBB222_295
.LBB222_225:                            ;   in Loop: Header=BB222_108 Depth=2
	s_or_b32 exec_lo, exec_lo, s50
	s_mov_b32 s50, exec_lo
	v_cmpx_lt_u32_e64 v110, v3
	s_cbranch_execnz .LBB222_296
.LBB222_226:                            ;   in Loop: Header=BB222_108 Depth=2
	s_or_b32 exec_lo, exec_lo, s50
	s_mov_b32 s50, exec_lo
	v_cmpx_lt_u32_e64 v111, v3
	s_cbranch_execnz .LBB222_297
.LBB222_227:                            ;   in Loop: Header=BB222_108 Depth=2
	s_or_b32 exec_lo, exec_lo, s50
	s_and_saveexec_b32 s40, s39
	s_cbranch_execnz .LBB222_298
.LBB222_228:                            ;   in Loop: Header=BB222_108 Depth=2
	s_or_b32 exec_lo, exec_lo, s40
	s_and_saveexec_b32 s40, s38
	s_cbranch_execnz .LBB222_299
.LBB222_229:                            ;   in Loop: Header=BB222_108 Depth=2
	s_or_b32 exec_lo, exec_lo, s40
	s_and_saveexec_b32 s40, s37
	s_cbranch_execnz .LBB222_300
.LBB222_230:                            ;   in Loop: Header=BB222_108 Depth=2
	s_or_b32 exec_lo, exec_lo, s40
	s_and_saveexec_b32 s40, s36
	s_cbranch_execnz .LBB222_301
.LBB222_231:                            ;   in Loop: Header=BB222_108 Depth=2
	s_or_b32 exec_lo, exec_lo, s40
	s_and_saveexec_b32 s40, s35
	s_cbranch_execnz .LBB222_302
.LBB222_232:                            ;   in Loop: Header=BB222_108 Depth=2
	s_or_b32 exec_lo, exec_lo, s40
	s_and_saveexec_b32 s40, s34
	s_cbranch_execnz .LBB222_303
.LBB222_233:                            ;   in Loop: Header=BB222_108 Depth=2
	s_or_b32 exec_lo, exec_lo, s40
	s_and_saveexec_b32 s40, s33
	s_cbranch_execnz .LBB222_304
.LBB222_234:                            ;   in Loop: Header=BB222_108 Depth=2
	s_or_b32 exec_lo, exec_lo, s40
	s_and_saveexec_b32 s40, s31
	s_cbranch_execnz .LBB222_305
.LBB222_235:                            ;   in Loop: Header=BB222_108 Depth=2
	s_or_b32 exec_lo, exec_lo, s40
	s_and_saveexec_b32 s40, s30
	s_cbranch_execnz .LBB222_306
.LBB222_236:                            ;   in Loop: Header=BB222_108 Depth=2
	s_or_b32 exec_lo, exec_lo, s40
	s_and_saveexec_b32 s40, s29
	s_cbranch_execnz .LBB222_307
.LBB222_237:                            ;   in Loop: Header=BB222_108 Depth=2
	s_or_b32 exec_lo, exec_lo, s40
	s_and_saveexec_b32 s40, s28
	s_cbranch_execnz .LBB222_308
.LBB222_238:                            ;   in Loop: Header=BB222_108 Depth=2
	s_or_b32 exec_lo, exec_lo, s40
	s_and_saveexec_b32 s40, s27
	s_cbranch_execnz .LBB222_309
.LBB222_239:                            ;   in Loop: Header=BB222_108 Depth=2
	s_or_b32 exec_lo, exec_lo, s40
	s_and_saveexec_b32 s40, s26
	s_cbranch_execnz .LBB222_310
.LBB222_240:                            ;   in Loop: Header=BB222_108 Depth=2
	s_or_b32 exec_lo, exec_lo, s40
	s_and_saveexec_b32 s40, s25
	s_cbranch_execnz .LBB222_311
.LBB222_241:                            ;   in Loop: Header=BB222_108 Depth=2
	s_or_b32 exec_lo, exec_lo, s40
	s_and_saveexec_b32 s40, s24
	s_cbranch_execnz .LBB222_312
.LBB222_242:                            ;   in Loop: Header=BB222_108 Depth=2
	s_or_b32 exec_lo, exec_lo, s40
	s_and_saveexec_b32 s40, s23
	s_cbranch_execnz .LBB222_313
.LBB222_243:                            ;   in Loop: Header=BB222_108 Depth=2
	s_or_b32 exec_lo, exec_lo, s40
	s_and_saveexec_b32 s40, vcc_lo
	s_cbranch_execz .LBB222_245
.LBB222_244:                            ;   in Loop: Header=BB222_108 Depth=2
	ds_read_u8 v3, v0 offset:4608
	s_waitcnt lgkmcnt(0)
	v_lshrrev_b32_e32 v3, s61, v3
	v_and_b32_e32 v113, s62, v3
.LBB222_245:                            ;   in Loop: Header=BB222_108 Depth=2
	s_or_b32 exec_lo, exec_lo, s40
	v_lshlrev_b32_e32 v3, 3, v171
	v_lshlrev_b32_e32 v39, 3, v168
	s_waitcnt vmcnt(0)
	s_waitcnt_vscnt null, 0x0
	s_barrier
	buffer_gl0_inv
	ds_write_b64 v3, v[37:38] offset:512
	ds_write_b64 v39, v[35:36] offset:512
	v_lshlrev_b32_e32 v3, 3, v165
	v_lshlrev_b32_e32 v39, 3, v162
	v_lshlrev_b32_e32 v40, 3, v159
	v_lshlrev_b32_e32 v132, 3, v158
	v_lshlrev_b32_e32 v133, 3, v157
	ds_write_b64 v3, v[33:34] offset:512
	ds_write_b64 v39, v[31:32] offset:512
	ds_write_b64 v40, v[29:30] offset:512
	ds_write_b64 v132, v[25:26] offset:512
	ds_write_b64 v133, v[21:22] offset:512
	v_lshlrev_b32_e32 v3, 3, v156
	v_lshlrev_b32_e32 v39, 3, v155
	v_lshlrev_b32_e32 v40, 3, v154
	v_lshlrev_b32_e32 v132, 3, v153
	v_lshlrev_b32_e32 v133, 3, v152
	ds_write_b64 v3, v[17:18] offset:512
	ds_write_b64 v39, v[27:28] offset:512
	ds_write_b64 v40, v[23:24] offset:512
	;; [unrolled: 10-line block ×3, first 2 shown]
	ds_write_b64 v42, v[7:8] offset:512
	ds_write_b64 v41, v[5:6] offset:512
	s_waitcnt lgkmcnt(0)
	s_barrier
	buffer_gl0_inv
	s_and_saveexec_b32 s40, s39
	s_cbranch_execnz .LBB222_314
; %bb.246:                              ;   in Loop: Header=BB222_108 Depth=2
	s_or_b32 exec_lo, exec_lo, s40
	s_and_saveexec_b32 s39, s38
	s_cbranch_execnz .LBB222_315
.LBB222_247:                            ;   in Loop: Header=BB222_108 Depth=2
	s_or_b32 exec_lo, exec_lo, s39
	s_and_saveexec_b32 s38, s37
	s_cbranch_execnz .LBB222_316
.LBB222_248:                            ;   in Loop: Header=BB222_108 Depth=2
	s_or_b32 exec_lo, exec_lo, s38
	s_and_saveexec_b32 s37, s36
	s_cbranch_execnz .LBB222_317
.LBB222_249:                            ;   in Loop: Header=BB222_108 Depth=2
	s_or_b32 exec_lo, exec_lo, s37
	s_and_saveexec_b32 s36, s35
	s_cbranch_execnz .LBB222_318
.LBB222_250:                            ;   in Loop: Header=BB222_108 Depth=2
	s_or_b32 exec_lo, exec_lo, s36
	s_and_saveexec_b32 s35, s34
	s_cbranch_execnz .LBB222_319
.LBB222_251:                            ;   in Loop: Header=BB222_108 Depth=2
	s_or_b32 exec_lo, exec_lo, s35
	s_and_saveexec_b32 s34, s33
	s_cbranch_execnz .LBB222_320
.LBB222_252:                            ;   in Loop: Header=BB222_108 Depth=2
	s_or_b32 exec_lo, exec_lo, s34
	s_and_saveexec_b32 s33, s31
	s_cbranch_execnz .LBB222_321
.LBB222_253:                            ;   in Loop: Header=BB222_108 Depth=2
	s_or_b32 exec_lo, exec_lo, s33
	s_and_saveexec_b32 s31, s30
	s_cbranch_execnz .LBB222_322
.LBB222_254:                            ;   in Loop: Header=BB222_108 Depth=2
	s_or_b32 exec_lo, exec_lo, s31
	s_and_saveexec_b32 s30, s29
	s_cbranch_execnz .LBB222_323
.LBB222_255:                            ;   in Loop: Header=BB222_108 Depth=2
	s_or_b32 exec_lo, exec_lo, s30
	s_and_saveexec_b32 s29, s28
	s_cbranch_execnz .LBB222_324
.LBB222_256:                            ;   in Loop: Header=BB222_108 Depth=2
	s_or_b32 exec_lo, exec_lo, s29
	s_and_saveexec_b32 s28, s27
	s_cbranch_execnz .LBB222_325
.LBB222_257:                            ;   in Loop: Header=BB222_108 Depth=2
	s_or_b32 exec_lo, exec_lo, s28
	s_and_saveexec_b32 s27, s26
	s_cbranch_execnz .LBB222_326
.LBB222_258:                            ;   in Loop: Header=BB222_108 Depth=2
	s_or_b32 exec_lo, exec_lo, s27
	s_and_saveexec_b32 s26, s25
	s_cbranch_execnz .LBB222_327
.LBB222_259:                            ;   in Loop: Header=BB222_108 Depth=2
	s_or_b32 exec_lo, exec_lo, s26
	s_and_saveexec_b32 s25, s24
	s_cbranch_execnz .LBB222_328
.LBB222_260:                            ;   in Loop: Header=BB222_108 Depth=2
	s_or_b32 exec_lo, exec_lo, s25
	s_and_saveexec_b32 s24, s23
	s_cbranch_execnz .LBB222_329
.LBB222_261:                            ;   in Loop: Header=BB222_108 Depth=2
	s_or_b32 exec_lo, exec_lo, s24
	s_and_saveexec_b32 s23, vcc_lo
	s_cbranch_execz .LBB222_263
.LBB222_262:                            ;   in Loop: Header=BB222_108 Depth=2
	v_lshlrev_b32_e32 v3, 2, v113
	v_add_nc_u32_e32 v39, v0, v75
	ds_read_b32 v3, v3
	ds_read_b64 v[39:40], v39 offset:33280
	s_waitcnt lgkmcnt(1)
	v_add_nc_u32_e32 v3, v3, v61
	v_lshlrev_b64 v[41:42], 3, v[3:4]
	v_add_co_u32 v41, vcc_lo, s52, v41
	v_add_co_ci_u32_e64 v42, null, s53, v42, vcc_lo
	s_waitcnt lgkmcnt(0)
	global_store_dwordx2 v[41:42], v[39:40], off
.LBB222_263:                            ;   in Loop: Header=BB222_108 Depth=2
	s_or_b32 exec_lo, exec_lo, s23
	s_waitcnt_vscnt null, 0x0
	s_barrier
	buffer_gl0_inv
	s_and_saveexec_b32 s23, s8
	s_cbranch_execz .LBB222_107
; %bb.264:                              ;   in Loop: Header=BB222_108 Depth=2
	ds_read_b32 v3, v43
	s_waitcnt lgkmcnt(0)
	v_add3_u32 v3, v130, v131, v3
	ds_write_b32 v43, v3
	s_branch .LBB222_107
.LBB222_265:                            ;   in Loop: Header=BB222_108 Depth=2
	ds_read_u8 v39, v0 offset:512
	s_waitcnt lgkmcnt(0)
	v_lshrrev_b32_sdwa v40, s61, v39 dst_sel:DWORD dst_unused:UNUSED_PAD src0_sel:DWORD src1_sel:BYTE_0
	v_and_b32_e32 v40, s62, v40
	v_lshlrev_b32_e32 v40, 2, v40
	ds_read_b32 v40, v40
	s_waitcnt lgkmcnt(0)
	v_add_nc_u32_e32 v40, v40, v0
	global_store_byte v40, v39, s[46:47]
	s_or_b32 exec_lo, exec_lo, s23
	v_cmp_lt_u32_e64 s38, v44, v3
	s_and_saveexec_b32 s23, s38
	s_cbranch_execz .LBB222_194
.LBB222_266:                            ;   in Loop: Header=BB222_108 Depth=2
	ds_read_u8 v39, v0 offset:768
	s_waitcnt lgkmcnt(0)
	v_lshrrev_b32_sdwa v40, s61, v39 dst_sel:DWORD dst_unused:UNUSED_PAD src0_sel:DWORD src1_sel:BYTE_0
	v_and_b32_e32 v40, s62, v40
	v_lshlrev_b32_e32 v40, 2, v40
	ds_read_b32 v40, v40
	s_waitcnt lgkmcnt(0)
	v_add_nc_u32_e32 v40, v40, v44
	global_store_byte v40, v39, s[46:47]
	s_or_b32 exec_lo, exec_lo, s23
	v_cmp_lt_u32_e64 s37, v47, v3
	s_and_saveexec_b32 s23, s37
	s_cbranch_execz .LBB222_195
.LBB222_267:                            ;   in Loop: Header=BB222_108 Depth=2
	ds_read_u8 v39, v0 offset:1024
	s_waitcnt lgkmcnt(0)
	v_lshrrev_b32_sdwa v40, s61, v39 dst_sel:DWORD dst_unused:UNUSED_PAD src0_sel:DWORD src1_sel:BYTE_0
	v_and_b32_e32 v40, s62, v40
	v_lshlrev_b32_e32 v40, 2, v40
	ds_read_b32 v40, v40
	s_waitcnt lgkmcnt(0)
	v_add_nc_u32_e32 v40, v40, v47
	global_store_byte v40, v39, s[46:47]
	s_or_b32 exec_lo, exec_lo, s23
	v_cmp_lt_u32_e64 s36, v48, v3
	s_and_saveexec_b32 s23, s36
	s_cbranch_execz .LBB222_196
.LBB222_268:                            ;   in Loop: Header=BB222_108 Depth=2
	ds_read_u8 v39, v0 offset:1280
	s_waitcnt lgkmcnt(0)
	v_lshrrev_b32_sdwa v40, s61, v39 dst_sel:DWORD dst_unused:UNUSED_PAD src0_sel:DWORD src1_sel:BYTE_0
	v_and_b32_e32 v40, s62, v40
	v_lshlrev_b32_e32 v40, 2, v40
	ds_read_b32 v40, v40
	s_waitcnt lgkmcnt(0)
	v_add_nc_u32_e32 v40, v40, v48
	global_store_byte v40, v39, s[46:47]
	s_or_b32 exec_lo, exec_lo, s23
	v_cmp_lt_u32_e64 s35, v49, v3
	s_and_saveexec_b32 s23, s35
	s_cbranch_execz .LBB222_197
.LBB222_269:                            ;   in Loop: Header=BB222_108 Depth=2
	ds_read_u8 v39, v0 offset:1536
	s_waitcnt lgkmcnt(0)
	v_lshrrev_b32_sdwa v40, s61, v39 dst_sel:DWORD dst_unused:UNUSED_PAD src0_sel:DWORD src1_sel:BYTE_0
	v_and_b32_e32 v40, s62, v40
	v_lshlrev_b32_e32 v40, 2, v40
	ds_read_b32 v40, v40
	s_waitcnt lgkmcnt(0)
	v_add_nc_u32_e32 v40, v40, v49
	global_store_byte v40, v39, s[46:47]
	s_or_b32 exec_lo, exec_lo, s23
	v_cmp_lt_u32_e64 s34, v50, v3
	s_and_saveexec_b32 s23, s34
	s_cbranch_execz .LBB222_198
.LBB222_270:                            ;   in Loop: Header=BB222_108 Depth=2
	ds_read_u8 v39, v0 offset:1792
	s_waitcnt lgkmcnt(0)
	v_lshrrev_b32_sdwa v40, s61, v39 dst_sel:DWORD dst_unused:UNUSED_PAD src0_sel:DWORD src1_sel:BYTE_0
	v_and_b32_e32 v40, s62, v40
	v_lshlrev_b32_e32 v40, 2, v40
	ds_read_b32 v40, v40
	s_waitcnt lgkmcnt(0)
	v_add_nc_u32_e32 v40, v40, v50
	global_store_byte v40, v39, s[46:47]
	s_or_b32 exec_lo, exec_lo, s23
	v_cmp_lt_u32_e64 s33, v51, v3
	s_and_saveexec_b32 s23, s33
	s_cbranch_execz .LBB222_199
.LBB222_271:                            ;   in Loop: Header=BB222_108 Depth=2
	ds_read_u8 v39, v0 offset:2048
	s_waitcnt lgkmcnt(0)
	v_lshrrev_b32_sdwa v40, s61, v39 dst_sel:DWORD dst_unused:UNUSED_PAD src0_sel:DWORD src1_sel:BYTE_0
	v_and_b32_e32 v40, s62, v40
	v_lshlrev_b32_e32 v40, 2, v40
	ds_read_b32 v40, v40
	s_waitcnt lgkmcnt(0)
	v_add_nc_u32_e32 v40, v40, v51
	global_store_byte v40, v39, s[46:47]
	s_or_b32 exec_lo, exec_lo, s23
	v_cmp_lt_u32_e64 s31, v52, v3
	s_and_saveexec_b32 s23, s31
	s_cbranch_execz .LBB222_200
.LBB222_272:                            ;   in Loop: Header=BB222_108 Depth=2
	ds_read_u8 v39, v0 offset:2304
	s_waitcnt lgkmcnt(0)
	v_lshrrev_b32_sdwa v40, s61, v39 dst_sel:DWORD dst_unused:UNUSED_PAD src0_sel:DWORD src1_sel:BYTE_0
	v_and_b32_e32 v40, s62, v40
	v_lshlrev_b32_e32 v40, 2, v40
	ds_read_b32 v40, v40
	s_waitcnt lgkmcnt(0)
	v_add_nc_u32_e32 v40, v40, v52
	global_store_byte v40, v39, s[46:47]
	s_or_b32 exec_lo, exec_lo, s23
	v_cmp_lt_u32_e64 s30, v53, v3
	s_and_saveexec_b32 s23, s30
	s_cbranch_execz .LBB222_201
.LBB222_273:                            ;   in Loop: Header=BB222_108 Depth=2
	ds_read_u8 v39, v0 offset:2560
	s_waitcnt lgkmcnt(0)
	v_lshrrev_b32_sdwa v40, s61, v39 dst_sel:DWORD dst_unused:UNUSED_PAD src0_sel:DWORD src1_sel:BYTE_0
	v_and_b32_e32 v40, s62, v40
	v_lshlrev_b32_e32 v40, 2, v40
	ds_read_b32 v40, v40
	s_waitcnt lgkmcnt(0)
	v_add_nc_u32_e32 v40, v40, v53
	global_store_byte v40, v39, s[46:47]
	s_or_b32 exec_lo, exec_lo, s23
	v_cmp_lt_u32_e64 s29, v54, v3
	s_and_saveexec_b32 s23, s29
	s_cbranch_execz .LBB222_202
.LBB222_274:                            ;   in Loop: Header=BB222_108 Depth=2
	ds_read_u8 v39, v0 offset:2816
	s_waitcnt lgkmcnt(0)
	v_lshrrev_b32_sdwa v40, s61, v39 dst_sel:DWORD dst_unused:UNUSED_PAD src0_sel:DWORD src1_sel:BYTE_0
	v_and_b32_e32 v40, s62, v40
	v_lshlrev_b32_e32 v40, 2, v40
	ds_read_b32 v40, v40
	s_waitcnt lgkmcnt(0)
	v_add_nc_u32_e32 v40, v40, v54
	global_store_byte v40, v39, s[46:47]
	s_or_b32 exec_lo, exec_lo, s23
	v_cmp_lt_u32_e64 s28, v55, v3
	s_and_saveexec_b32 s23, s28
	s_cbranch_execz .LBB222_203
.LBB222_275:                            ;   in Loop: Header=BB222_108 Depth=2
	ds_read_u8 v39, v0 offset:3072
	s_waitcnt lgkmcnt(0)
	v_lshrrev_b32_sdwa v40, s61, v39 dst_sel:DWORD dst_unused:UNUSED_PAD src0_sel:DWORD src1_sel:BYTE_0
	v_and_b32_e32 v40, s62, v40
	v_lshlrev_b32_e32 v40, 2, v40
	ds_read_b32 v40, v40
	s_waitcnt lgkmcnt(0)
	v_add_nc_u32_e32 v40, v40, v55
	global_store_byte v40, v39, s[46:47]
	s_or_b32 exec_lo, exec_lo, s23
	v_cmp_lt_u32_e64 s27, v56, v3
	s_and_saveexec_b32 s23, s27
	s_cbranch_execz .LBB222_204
.LBB222_276:                            ;   in Loop: Header=BB222_108 Depth=2
	ds_read_u8 v39, v0 offset:3328
	s_waitcnt lgkmcnt(0)
	v_lshrrev_b32_sdwa v40, s61, v39 dst_sel:DWORD dst_unused:UNUSED_PAD src0_sel:DWORD src1_sel:BYTE_0
	v_and_b32_e32 v40, s62, v40
	v_lshlrev_b32_e32 v40, 2, v40
	ds_read_b32 v40, v40
	s_waitcnt lgkmcnt(0)
	v_add_nc_u32_e32 v40, v40, v56
	global_store_byte v40, v39, s[46:47]
	s_or_b32 exec_lo, exec_lo, s23
	v_cmp_lt_u32_e64 s26, v57, v3
	s_and_saveexec_b32 s23, s26
	s_cbranch_execz .LBB222_205
.LBB222_277:                            ;   in Loop: Header=BB222_108 Depth=2
	ds_read_u8 v39, v0 offset:3584
	s_waitcnt lgkmcnt(0)
	v_lshrrev_b32_sdwa v40, s61, v39 dst_sel:DWORD dst_unused:UNUSED_PAD src0_sel:DWORD src1_sel:BYTE_0
	v_and_b32_e32 v40, s62, v40
	v_lshlrev_b32_e32 v40, 2, v40
	ds_read_b32 v40, v40
	s_waitcnt lgkmcnt(0)
	v_add_nc_u32_e32 v40, v40, v57
	global_store_byte v40, v39, s[46:47]
	s_or_b32 exec_lo, exec_lo, s23
	v_cmp_lt_u32_e64 s25, v58, v3
	s_and_saveexec_b32 s23, s25
	s_cbranch_execz .LBB222_206
.LBB222_278:                            ;   in Loop: Header=BB222_108 Depth=2
	ds_read_u8 v39, v0 offset:3840
	s_waitcnt lgkmcnt(0)
	v_lshrrev_b32_sdwa v40, s61, v39 dst_sel:DWORD dst_unused:UNUSED_PAD src0_sel:DWORD src1_sel:BYTE_0
	v_and_b32_e32 v40, s62, v40
	v_lshlrev_b32_e32 v40, 2, v40
	ds_read_b32 v40, v40
	s_waitcnt lgkmcnt(0)
	v_add_nc_u32_e32 v40, v40, v58
	global_store_byte v40, v39, s[46:47]
	s_or_b32 exec_lo, exec_lo, s23
	v_cmp_lt_u32_e64 s24, v59, v3
	s_and_saveexec_b32 s23, s24
	s_cbranch_execz .LBB222_207
.LBB222_279:                            ;   in Loop: Header=BB222_108 Depth=2
	ds_read_u8 v39, v0 offset:4096
	s_waitcnt lgkmcnt(0)
	v_lshrrev_b32_sdwa v40, s61, v39 dst_sel:DWORD dst_unused:UNUSED_PAD src0_sel:DWORD src1_sel:BYTE_0
	v_and_b32_e32 v40, s62, v40
	v_lshlrev_b32_e32 v40, 2, v40
	ds_read_b32 v40, v40
	s_waitcnt lgkmcnt(0)
	v_add_nc_u32_e32 v40, v40, v59
	global_store_byte v40, v39, s[46:47]
	s_or_b32 exec_lo, exec_lo, s23
	v_cmp_lt_u32_e64 s23, v60, v3
	s_and_saveexec_b32 s40, s23
	s_cbranch_execz .LBB222_208
.LBB222_280:                            ;   in Loop: Header=BB222_108 Depth=2
	ds_read_u8 v39, v0 offset:4352
	s_waitcnt lgkmcnt(0)
	v_lshrrev_b32_sdwa v40, s61, v39 dst_sel:DWORD dst_unused:UNUSED_PAD src0_sel:DWORD src1_sel:BYTE_0
	v_and_b32_e32 v40, s62, v40
	v_lshlrev_b32_e32 v40, 2, v40
	ds_read_b32 v40, v40
	s_waitcnt lgkmcnt(0)
	v_add_nc_u32_e32 v40, v40, v60
	global_store_byte v40, v39, s[46:47]
	s_or_b32 exec_lo, exec_lo, s40
	v_cmp_lt_u32_e32 vcc_lo, v61, v3
	s_and_saveexec_b32 s40, vcc_lo
	s_cbranch_execnz .LBB222_209
	s_branch .LBB222_210
.LBB222_281:                            ;   in Loop: Header=BB222_108 Depth=2
	global_load_dwordx2 v[37:38], v[39:40], off
	s_or_b32 exec_lo, exec_lo, s40
	s_mov_b32 s50, exec_lo
	v_cmpx_lt_u32_e64 v96, v3
	s_cbranch_execz .LBB222_212
.LBB222_282:                            ;   in Loop: Header=BB222_108 Depth=2
	global_load_dwordx2 v[35:36], v[39:40], off offset:256
	s_or_b32 exec_lo, exec_lo, s50
	s_mov_b32 s50, exec_lo
	v_cmpx_lt_u32_e64 v97, v3
	s_cbranch_execz .LBB222_213
.LBB222_283:                            ;   in Loop: Header=BB222_108 Depth=2
	global_load_dwordx2 v[33:34], v[39:40], off offset:512
	s_or_b32 exec_lo, exec_lo, s50
	s_mov_b32 s50, exec_lo
	v_cmpx_lt_u32_e64 v98, v3
	s_cbranch_execz .LBB222_214
.LBB222_284:                            ;   in Loop: Header=BB222_108 Depth=2
	global_load_dwordx2 v[31:32], v[39:40], off offset:768
	s_or_b32 exec_lo, exec_lo, s50
	s_mov_b32 s50, exec_lo
	v_cmpx_lt_u32_e64 v99, v3
	s_cbranch_execz .LBB222_215
.LBB222_285:                            ;   in Loop: Header=BB222_108 Depth=2
	global_load_dwordx2 v[29:30], v[39:40], off offset:1024
	s_or_b32 exec_lo, exec_lo, s50
	s_mov_b32 s50, exec_lo
	v_cmpx_lt_u32_e64 v100, v3
	s_cbranch_execz .LBB222_216
.LBB222_286:                            ;   in Loop: Header=BB222_108 Depth=2
	global_load_dwordx2 v[25:26], v[39:40], off offset:1280
	s_or_b32 exec_lo, exec_lo, s50
	s_mov_b32 s50, exec_lo
	v_cmpx_lt_u32_e64 v101, v3
	s_cbranch_execz .LBB222_217
.LBB222_287:                            ;   in Loop: Header=BB222_108 Depth=2
	global_load_dwordx2 v[21:22], v[39:40], off offset:1536
	s_or_b32 exec_lo, exec_lo, s50
	s_mov_b32 s50, exec_lo
	v_cmpx_lt_u32_e64 v102, v3
	s_cbranch_execz .LBB222_218
.LBB222_288:                            ;   in Loop: Header=BB222_108 Depth=2
	global_load_dwordx2 v[17:18], v[39:40], off offset:1792
	s_or_b32 exec_lo, exec_lo, s50
	s_mov_b32 s50, exec_lo
	v_cmpx_lt_u32_e64 v103, v3
	s_cbranch_execz .LBB222_219
.LBB222_289:                            ;   in Loop: Header=BB222_108 Depth=2
	v_add_co_u32 v27, s40, 0x800, v39
	v_add_co_ci_u32_e64 v28, null, 0, v40, s40
	global_load_dwordx2 v[27:28], v[27:28], off
	s_or_b32 exec_lo, exec_lo, s50
	s_mov_b32 s50, exec_lo
	v_cmpx_lt_u32_e64 v104, v3
	s_cbranch_execz .LBB222_220
.LBB222_290:                            ;   in Loop: Header=BB222_108 Depth=2
	v_add_co_u32 v23, s40, 0x800, v39
	v_add_co_ci_u32_e64 v24, null, 0, v40, s40
	global_load_dwordx2 v[23:24], v[23:24], off offset:256
	s_or_b32 exec_lo, exec_lo, s50
	s_mov_b32 s50, exec_lo
	v_cmpx_lt_u32_e64 v105, v3
	s_cbranch_execz .LBB222_221
.LBB222_291:                            ;   in Loop: Header=BB222_108 Depth=2
	v_add_co_u32 v19, s40, 0x800, v39
	v_add_co_ci_u32_e64 v20, null, 0, v40, s40
	global_load_dwordx2 v[19:20], v[19:20], off offset:512
	s_or_b32 exec_lo, exec_lo, s50
	s_mov_b32 s50, exec_lo
	v_cmpx_lt_u32_e64 v106, v3
	s_cbranch_execz .LBB222_222
.LBB222_292:                            ;   in Loop: Header=BB222_108 Depth=2
	v_add_co_u32 v15, s40, 0x800, v39
	v_add_co_ci_u32_e64 v16, null, 0, v40, s40
	global_load_dwordx2 v[15:16], v[15:16], off offset:768
	s_or_b32 exec_lo, exec_lo, s50
	s_mov_b32 s50, exec_lo
	v_cmpx_lt_u32_e64 v107, v3
	s_cbranch_execz .LBB222_223
.LBB222_293:                            ;   in Loop: Header=BB222_108 Depth=2
	v_add_co_u32 v13, s40, 0x800, v39
	v_add_co_ci_u32_e64 v14, null, 0, v40, s40
	global_load_dwordx2 v[13:14], v[13:14], off offset:1024
	s_or_b32 exec_lo, exec_lo, s50
	s_mov_b32 s50, exec_lo
	v_cmpx_lt_u32_e64 v108, v3
	s_cbranch_execz .LBB222_224
.LBB222_294:                            ;   in Loop: Header=BB222_108 Depth=2
	v_add_co_u32 v11, s40, 0x800, v39
	v_add_co_ci_u32_e64 v12, null, 0, v40, s40
	global_load_dwordx2 v[11:12], v[11:12], off offset:1280
	s_or_b32 exec_lo, exec_lo, s50
	s_mov_b32 s50, exec_lo
	v_cmpx_lt_u32_e64 v109, v3
	s_cbranch_execz .LBB222_225
.LBB222_295:                            ;   in Loop: Header=BB222_108 Depth=2
	v_add_co_u32 v9, s40, 0x800, v39
	v_add_co_ci_u32_e64 v10, null, 0, v40, s40
	global_load_dwordx2 v[9:10], v[9:10], off offset:1536
	s_or_b32 exec_lo, exec_lo, s50
	s_mov_b32 s50, exec_lo
	v_cmpx_lt_u32_e64 v110, v3
	s_cbranch_execz .LBB222_226
.LBB222_296:                            ;   in Loop: Header=BB222_108 Depth=2
	v_add_co_u32 v7, s40, 0x800, v39
	v_add_co_ci_u32_e64 v8, null, 0, v40, s40
	global_load_dwordx2 v[7:8], v[7:8], off offset:1792
	s_or_b32 exec_lo, exec_lo, s50
	s_mov_b32 s50, exec_lo
	v_cmpx_lt_u32_e64 v111, v3
	s_cbranch_execz .LBB222_227
.LBB222_297:                            ;   in Loop: Header=BB222_108 Depth=2
	v_add_co_u32 v5, s40, 0x1000, v39
	v_add_co_ci_u32_e64 v6, null, 0, v40, s40
	global_load_dwordx2 v[5:6], v[5:6], off
	s_or_b32 exec_lo, exec_lo, s50
	s_and_saveexec_b32 s40, s39
	s_cbranch_execz .LBB222_228
.LBB222_298:                            ;   in Loop: Header=BB222_108 Depth=2
	ds_read_u8 v3, v0 offset:512
	s_waitcnt lgkmcnt(0)
	v_lshrrev_b32_e32 v3, s61, v3
	v_and_b32_e32 v129, s62, v3
	s_or_b32 exec_lo, exec_lo, s40
	s_and_saveexec_b32 s40, s38
	s_cbranch_execz .LBB222_229
.LBB222_299:                            ;   in Loop: Header=BB222_108 Depth=2
	ds_read_u8 v3, v0 offset:768
	s_waitcnt lgkmcnt(0)
	v_lshrrev_b32_e32 v3, s61, v3
	v_and_b32_e32 v128, s62, v3
	s_or_b32 exec_lo, exec_lo, s40
	s_and_saveexec_b32 s40, s37
	s_cbranch_execz .LBB222_230
.LBB222_300:                            ;   in Loop: Header=BB222_108 Depth=2
	ds_read_u8 v3, v0 offset:1024
	s_waitcnt lgkmcnt(0)
	v_lshrrev_b32_e32 v3, s61, v3
	v_and_b32_e32 v127, s62, v3
	s_or_b32 exec_lo, exec_lo, s40
	s_and_saveexec_b32 s40, s36
	s_cbranch_execz .LBB222_231
.LBB222_301:                            ;   in Loop: Header=BB222_108 Depth=2
	ds_read_u8 v3, v0 offset:1280
	s_waitcnt lgkmcnt(0)
	v_lshrrev_b32_e32 v3, s61, v3
	v_and_b32_e32 v126, s62, v3
	s_or_b32 exec_lo, exec_lo, s40
	s_and_saveexec_b32 s40, s35
	s_cbranch_execz .LBB222_232
.LBB222_302:                            ;   in Loop: Header=BB222_108 Depth=2
	ds_read_u8 v3, v0 offset:1536
	s_waitcnt lgkmcnt(0)
	v_lshrrev_b32_e32 v3, s61, v3
	v_and_b32_e32 v125, s62, v3
	s_or_b32 exec_lo, exec_lo, s40
	s_and_saveexec_b32 s40, s34
	s_cbranch_execz .LBB222_233
.LBB222_303:                            ;   in Loop: Header=BB222_108 Depth=2
	ds_read_u8 v3, v0 offset:1792
	s_waitcnt lgkmcnt(0)
	v_lshrrev_b32_e32 v3, s61, v3
	v_and_b32_e32 v124, s62, v3
	s_or_b32 exec_lo, exec_lo, s40
	s_and_saveexec_b32 s40, s33
	s_cbranch_execz .LBB222_234
.LBB222_304:                            ;   in Loop: Header=BB222_108 Depth=2
	ds_read_u8 v3, v0 offset:2048
	s_waitcnt lgkmcnt(0)
	v_lshrrev_b32_e32 v3, s61, v3
	v_and_b32_e32 v123, s62, v3
	s_or_b32 exec_lo, exec_lo, s40
	s_and_saveexec_b32 s40, s31
	s_cbranch_execz .LBB222_235
.LBB222_305:                            ;   in Loop: Header=BB222_108 Depth=2
	ds_read_u8 v3, v0 offset:2304
	s_waitcnt lgkmcnt(0)
	v_lshrrev_b32_e32 v3, s61, v3
	v_and_b32_e32 v122, s62, v3
	s_or_b32 exec_lo, exec_lo, s40
	s_and_saveexec_b32 s40, s30
	s_cbranch_execz .LBB222_236
.LBB222_306:                            ;   in Loop: Header=BB222_108 Depth=2
	ds_read_u8 v3, v0 offset:2560
	s_waitcnt lgkmcnt(0)
	v_lshrrev_b32_e32 v3, s61, v3
	v_and_b32_e32 v121, s62, v3
	s_or_b32 exec_lo, exec_lo, s40
	s_and_saveexec_b32 s40, s29
	s_cbranch_execz .LBB222_237
.LBB222_307:                            ;   in Loop: Header=BB222_108 Depth=2
	ds_read_u8 v3, v0 offset:2816
	s_waitcnt lgkmcnt(0)
	v_lshrrev_b32_e32 v3, s61, v3
	v_and_b32_e32 v120, s62, v3
	s_or_b32 exec_lo, exec_lo, s40
	s_and_saveexec_b32 s40, s28
	s_cbranch_execz .LBB222_238
.LBB222_308:                            ;   in Loop: Header=BB222_108 Depth=2
	ds_read_u8 v3, v0 offset:3072
	s_waitcnt lgkmcnt(0)
	v_lshrrev_b32_e32 v3, s61, v3
	v_and_b32_e32 v119, s62, v3
	s_or_b32 exec_lo, exec_lo, s40
	s_and_saveexec_b32 s40, s27
	s_cbranch_execz .LBB222_239
.LBB222_309:                            ;   in Loop: Header=BB222_108 Depth=2
	ds_read_u8 v3, v0 offset:3328
	s_waitcnt lgkmcnt(0)
	v_lshrrev_b32_e32 v3, s61, v3
	v_and_b32_e32 v118, s62, v3
	s_or_b32 exec_lo, exec_lo, s40
	s_and_saveexec_b32 s40, s26
	s_cbranch_execz .LBB222_240
.LBB222_310:                            ;   in Loop: Header=BB222_108 Depth=2
	ds_read_u8 v3, v0 offset:3584
	s_waitcnt lgkmcnt(0)
	v_lshrrev_b32_e32 v3, s61, v3
	v_and_b32_e32 v117, s62, v3
	s_or_b32 exec_lo, exec_lo, s40
	s_and_saveexec_b32 s40, s25
	s_cbranch_execz .LBB222_241
.LBB222_311:                            ;   in Loop: Header=BB222_108 Depth=2
	ds_read_u8 v3, v0 offset:3840
	s_waitcnt lgkmcnt(0)
	v_lshrrev_b32_e32 v3, s61, v3
	v_and_b32_e32 v116, s62, v3
	s_or_b32 exec_lo, exec_lo, s40
	s_and_saveexec_b32 s40, s24
	s_cbranch_execz .LBB222_242
.LBB222_312:                            ;   in Loop: Header=BB222_108 Depth=2
	ds_read_u8 v3, v0 offset:4096
	s_waitcnt lgkmcnt(0)
	v_lshrrev_b32_e32 v3, s61, v3
	v_and_b32_e32 v115, s62, v3
	s_or_b32 exec_lo, exec_lo, s40
	s_and_saveexec_b32 s40, s23
	s_cbranch_execz .LBB222_243
.LBB222_313:                            ;   in Loop: Header=BB222_108 Depth=2
	ds_read_u8 v3, v0 offset:4352
	s_waitcnt lgkmcnt(0)
	v_lshrrev_b32_e32 v3, s61, v3
	v_and_b32_e32 v114, s62, v3
	s_or_b32 exec_lo, exec_lo, s40
	s_and_saveexec_b32 s40, vcc_lo
	s_cbranch_execnz .LBB222_244
	s_branch .LBB222_245
.LBB222_314:                            ;   in Loop: Header=BB222_108 Depth=2
	v_lshlrev_b32_e32 v3, 2, v129
	v_add_nc_u32_e32 v39, v0, v75
	ds_read_b32 v3, v3
	ds_read_b64 v[39:40], v39 offset:512
	s_waitcnt lgkmcnt(1)
	v_add_nc_u32_e32 v3, v3, v0
	v_lshlrev_b64 v[41:42], 3, v[3:4]
	v_add_co_u32 v41, s39, s52, v41
	v_add_co_ci_u32_e64 v42, null, s53, v42, s39
	s_waitcnt lgkmcnt(0)
	global_store_dwordx2 v[41:42], v[39:40], off
	s_or_b32 exec_lo, exec_lo, s40
	s_and_saveexec_b32 s39, s38
	s_cbranch_execz .LBB222_247
.LBB222_315:                            ;   in Loop: Header=BB222_108 Depth=2
	v_lshlrev_b32_e32 v3, 2, v128
	v_add_nc_u32_e32 v39, v0, v75
	ds_read_b32 v3, v3
	ds_read_b64 v[39:40], v39 offset:2560
	s_waitcnt lgkmcnt(1)
	v_add_nc_u32_e32 v3, v3, v44
	v_lshlrev_b64 v[41:42], 3, v[3:4]
	v_add_co_u32 v41, s38, s52, v41
	v_add_co_ci_u32_e64 v42, null, s53, v42, s38
	s_waitcnt lgkmcnt(0)
	global_store_dwordx2 v[41:42], v[39:40], off
	s_or_b32 exec_lo, exec_lo, s39
	s_and_saveexec_b32 s38, s37
	s_cbranch_execz .LBB222_248
.LBB222_316:                            ;   in Loop: Header=BB222_108 Depth=2
	v_lshlrev_b32_e32 v3, 2, v127
	v_add_nc_u32_e32 v39, v0, v75
	ds_read_b32 v3, v3
	ds_read_b64 v[39:40], v39 offset:4608
	s_waitcnt lgkmcnt(1)
	v_add_nc_u32_e32 v3, v3, v47
	v_lshlrev_b64 v[41:42], 3, v[3:4]
	v_add_co_u32 v41, s37, s52, v41
	v_add_co_ci_u32_e64 v42, null, s53, v42, s37
	s_waitcnt lgkmcnt(0)
	global_store_dwordx2 v[41:42], v[39:40], off
	s_or_b32 exec_lo, exec_lo, s38
	s_and_saveexec_b32 s37, s36
	s_cbranch_execz .LBB222_249
.LBB222_317:                            ;   in Loop: Header=BB222_108 Depth=2
	v_lshlrev_b32_e32 v3, 2, v126
	v_add_nc_u32_e32 v39, v0, v75
	ds_read_b32 v3, v3
	ds_read_b64 v[39:40], v39 offset:6656
	s_waitcnt lgkmcnt(1)
	v_add_nc_u32_e32 v3, v3, v48
	v_lshlrev_b64 v[41:42], 3, v[3:4]
	v_add_co_u32 v41, s36, s52, v41
	v_add_co_ci_u32_e64 v42, null, s53, v42, s36
	s_waitcnt lgkmcnt(0)
	global_store_dwordx2 v[41:42], v[39:40], off
	s_or_b32 exec_lo, exec_lo, s37
	s_and_saveexec_b32 s36, s35
	s_cbranch_execz .LBB222_250
.LBB222_318:                            ;   in Loop: Header=BB222_108 Depth=2
	v_lshlrev_b32_e32 v3, 2, v125
	v_add_nc_u32_e32 v39, v0, v75
	ds_read_b32 v3, v3
	ds_read_b64 v[39:40], v39 offset:8704
	s_waitcnt lgkmcnt(1)
	v_add_nc_u32_e32 v3, v3, v49
	v_lshlrev_b64 v[41:42], 3, v[3:4]
	v_add_co_u32 v41, s35, s52, v41
	v_add_co_ci_u32_e64 v42, null, s53, v42, s35
	s_waitcnt lgkmcnt(0)
	global_store_dwordx2 v[41:42], v[39:40], off
	s_or_b32 exec_lo, exec_lo, s36
	s_and_saveexec_b32 s35, s34
	s_cbranch_execz .LBB222_251
.LBB222_319:                            ;   in Loop: Header=BB222_108 Depth=2
	v_lshlrev_b32_e32 v3, 2, v124
	v_add_nc_u32_e32 v39, v0, v75
	ds_read_b32 v3, v3
	ds_read_b64 v[39:40], v39 offset:10752
	s_waitcnt lgkmcnt(1)
	v_add_nc_u32_e32 v3, v3, v50
	v_lshlrev_b64 v[41:42], 3, v[3:4]
	v_add_co_u32 v41, s34, s52, v41
	v_add_co_ci_u32_e64 v42, null, s53, v42, s34
	s_waitcnt lgkmcnt(0)
	global_store_dwordx2 v[41:42], v[39:40], off
	s_or_b32 exec_lo, exec_lo, s35
	s_and_saveexec_b32 s34, s33
	s_cbranch_execz .LBB222_252
.LBB222_320:                            ;   in Loop: Header=BB222_108 Depth=2
	v_lshlrev_b32_e32 v3, 2, v123
	v_add_nc_u32_e32 v39, v0, v75
	ds_read_b32 v3, v3
	ds_read_b64 v[39:40], v39 offset:12800
	s_waitcnt lgkmcnt(1)
	v_add_nc_u32_e32 v3, v3, v51
	v_lshlrev_b64 v[41:42], 3, v[3:4]
	v_add_co_u32 v41, s33, s52, v41
	v_add_co_ci_u32_e64 v42, null, s53, v42, s33
	s_waitcnt lgkmcnt(0)
	global_store_dwordx2 v[41:42], v[39:40], off
	s_or_b32 exec_lo, exec_lo, s34
	s_and_saveexec_b32 s33, s31
	s_cbranch_execz .LBB222_253
.LBB222_321:                            ;   in Loop: Header=BB222_108 Depth=2
	v_lshlrev_b32_e32 v3, 2, v122
	v_add_nc_u32_e32 v39, v0, v75
	ds_read_b32 v3, v3
	ds_read_b64 v[39:40], v39 offset:14848
	s_waitcnt lgkmcnt(1)
	v_add_nc_u32_e32 v3, v3, v52
	v_lshlrev_b64 v[41:42], 3, v[3:4]
	v_add_co_u32 v41, s31, s52, v41
	v_add_co_ci_u32_e64 v42, null, s53, v42, s31
	s_waitcnt lgkmcnt(0)
	global_store_dwordx2 v[41:42], v[39:40], off
	s_or_b32 exec_lo, exec_lo, s33
	s_and_saveexec_b32 s31, s30
	s_cbranch_execz .LBB222_254
.LBB222_322:                            ;   in Loop: Header=BB222_108 Depth=2
	v_lshlrev_b32_e32 v3, 2, v121
	v_add_nc_u32_e32 v39, v0, v75
	ds_read_b32 v3, v3
	ds_read_b64 v[39:40], v39 offset:16896
	s_waitcnt lgkmcnt(1)
	v_add_nc_u32_e32 v3, v3, v53
	v_lshlrev_b64 v[41:42], 3, v[3:4]
	v_add_co_u32 v41, s30, s52, v41
	v_add_co_ci_u32_e64 v42, null, s53, v42, s30
	s_waitcnt lgkmcnt(0)
	global_store_dwordx2 v[41:42], v[39:40], off
	s_or_b32 exec_lo, exec_lo, s31
	s_and_saveexec_b32 s30, s29
	s_cbranch_execz .LBB222_255
.LBB222_323:                            ;   in Loop: Header=BB222_108 Depth=2
	v_lshlrev_b32_e32 v3, 2, v120
	v_add_nc_u32_e32 v39, v0, v75
	ds_read_b32 v3, v3
	ds_read_b64 v[39:40], v39 offset:18944
	s_waitcnt lgkmcnt(1)
	v_add_nc_u32_e32 v3, v3, v54
	v_lshlrev_b64 v[41:42], 3, v[3:4]
	v_add_co_u32 v41, s29, s52, v41
	v_add_co_ci_u32_e64 v42, null, s53, v42, s29
	s_waitcnt lgkmcnt(0)
	global_store_dwordx2 v[41:42], v[39:40], off
	s_or_b32 exec_lo, exec_lo, s30
	s_and_saveexec_b32 s29, s28
	s_cbranch_execz .LBB222_256
.LBB222_324:                            ;   in Loop: Header=BB222_108 Depth=2
	v_lshlrev_b32_e32 v3, 2, v119
	v_add_nc_u32_e32 v39, v0, v75
	ds_read_b32 v3, v3
	ds_read_b64 v[39:40], v39 offset:20992
	s_waitcnt lgkmcnt(1)
	v_add_nc_u32_e32 v3, v3, v55
	v_lshlrev_b64 v[41:42], 3, v[3:4]
	v_add_co_u32 v41, s28, s52, v41
	v_add_co_ci_u32_e64 v42, null, s53, v42, s28
	s_waitcnt lgkmcnt(0)
	global_store_dwordx2 v[41:42], v[39:40], off
	s_or_b32 exec_lo, exec_lo, s29
	s_and_saveexec_b32 s28, s27
	s_cbranch_execz .LBB222_257
.LBB222_325:                            ;   in Loop: Header=BB222_108 Depth=2
	v_lshlrev_b32_e32 v3, 2, v118
	v_add_nc_u32_e32 v39, v0, v75
	ds_read_b32 v3, v3
	ds_read_b64 v[39:40], v39 offset:23040
	s_waitcnt lgkmcnt(1)
	v_add_nc_u32_e32 v3, v3, v56
	v_lshlrev_b64 v[41:42], 3, v[3:4]
	v_add_co_u32 v41, s27, s52, v41
	v_add_co_ci_u32_e64 v42, null, s53, v42, s27
	s_waitcnt lgkmcnt(0)
	global_store_dwordx2 v[41:42], v[39:40], off
	s_or_b32 exec_lo, exec_lo, s28
	s_and_saveexec_b32 s27, s26
	s_cbranch_execz .LBB222_258
.LBB222_326:                            ;   in Loop: Header=BB222_108 Depth=2
	v_lshlrev_b32_e32 v3, 2, v117
	v_add_nc_u32_e32 v39, v0, v75
	ds_read_b32 v3, v3
	ds_read_b64 v[39:40], v39 offset:25088
	s_waitcnt lgkmcnt(1)
	v_add_nc_u32_e32 v3, v3, v57
	v_lshlrev_b64 v[41:42], 3, v[3:4]
	v_add_co_u32 v41, s26, s52, v41
	v_add_co_ci_u32_e64 v42, null, s53, v42, s26
	s_waitcnt lgkmcnt(0)
	global_store_dwordx2 v[41:42], v[39:40], off
	s_or_b32 exec_lo, exec_lo, s27
	s_and_saveexec_b32 s26, s25
	s_cbranch_execz .LBB222_259
.LBB222_327:                            ;   in Loop: Header=BB222_108 Depth=2
	v_lshlrev_b32_e32 v3, 2, v116
	v_add_nc_u32_e32 v39, v0, v75
	ds_read_b32 v3, v3
	ds_read_b64 v[39:40], v39 offset:27136
	s_waitcnt lgkmcnt(1)
	v_add_nc_u32_e32 v3, v3, v58
	v_lshlrev_b64 v[41:42], 3, v[3:4]
	v_add_co_u32 v41, s25, s52, v41
	v_add_co_ci_u32_e64 v42, null, s53, v42, s25
	s_waitcnt lgkmcnt(0)
	global_store_dwordx2 v[41:42], v[39:40], off
	s_or_b32 exec_lo, exec_lo, s26
	s_and_saveexec_b32 s25, s24
	s_cbranch_execz .LBB222_260
.LBB222_328:                            ;   in Loop: Header=BB222_108 Depth=2
	v_lshlrev_b32_e32 v3, 2, v115
	v_add_nc_u32_e32 v39, v0, v75
	ds_read_b32 v3, v3
	ds_read_b64 v[39:40], v39 offset:29184
	s_waitcnt lgkmcnt(1)
	v_add_nc_u32_e32 v3, v3, v59
	v_lshlrev_b64 v[41:42], 3, v[3:4]
	v_add_co_u32 v41, s24, s52, v41
	v_add_co_ci_u32_e64 v42, null, s53, v42, s24
	s_waitcnt lgkmcnt(0)
	global_store_dwordx2 v[41:42], v[39:40], off
	s_or_b32 exec_lo, exec_lo, s25
	s_and_saveexec_b32 s24, s23
	s_cbranch_execz .LBB222_261
.LBB222_329:                            ;   in Loop: Header=BB222_108 Depth=2
	v_lshlrev_b32_e32 v3, 2, v114
	v_add_nc_u32_e32 v39, v0, v75
	ds_read_b32 v3, v3
	ds_read_b64 v[39:40], v39 offset:31232
	s_waitcnt lgkmcnt(1)
	v_add_nc_u32_e32 v3, v3, v60
	v_lshlrev_b64 v[41:42], 3, v[3:4]
	v_add_co_u32 v41, s23, s52, v41
	v_add_co_ci_u32_e64 v42, null, s53, v42, s23
	s_waitcnt lgkmcnt(0)
	global_store_dwordx2 v[41:42], v[39:40], off
	s_or_b32 exec_lo, exec_lo, s24
	s_and_saveexec_b32 s23, vcc_lo
	s_cbranch_execnz .LBB222_262
	s_branch .LBB222_263
.LBB222_330:                            ;   in Loop: Header=BB222_20 Depth=1
	s_waitcnt lgkmcnt(0)
	s_mov_b32 s5, 0
	s_barrier
.LBB222_331:                            ;   in Loop: Header=BB222_20 Depth=1
	s_and_b32 vcc_lo, exec_lo, s5
	s_cbranch_vccz .LBB222_641
; %bb.332:                              ;   in Loop: Header=BB222_20 Depth=1
	v_mov_b32_e32 v17, 0
	v_mov_b32_e32 v20, 0
	;; [unrolled: 1-line block ×17, first 2 shown]
	s_mov_b32 s5, s60
	s_mov_b32 s17, s58
	s_barrier
	buffer_gl0_inv
	s_branch .LBB222_334
.LBB222_333:                            ;   in Loop: Header=BB222_334 Depth=2
	s_or_b32 exec_lo, exec_lo, s16
	s_addk_i32 s5, 0xef00
	s_cmp_ge_u32 s15, s59
	s_mov_b32 s17, s15
	s_cbranch_scc1 .LBB222_406
.LBB222_334:                            ;   Parent Loop BB222_20 Depth=1
                                        ; =>  This Inner Loop Header: Depth=2
	s_add_i32 s15, s17, 0x1100
	s_mov_b32 s16, -1
	s_cmp_gt_u32 s15, s59
                                        ; implicit-def: $vgpr21
                                        ; implicit-def: $vgpr22
                                        ; implicit-def: $vgpr23
                                        ; implicit-def: $vgpr24
                                        ; implicit-def: $vgpr25
                                        ; implicit-def: $vgpr26
                                        ; implicit-def: $vgpr27
                                        ; implicit-def: $vgpr28
                                        ; implicit-def: $vgpr29
                                        ; implicit-def: $vgpr30
                                        ; implicit-def: $vgpr31
                                        ; implicit-def: $vgpr32
                                        ; implicit-def: $vgpr33
                                        ; implicit-def: $vgpr34
                                        ; implicit-def: $vgpr35
                                        ; implicit-def: $vgpr36
                                        ; implicit-def: $vgpr37
	s_cbranch_scc1 .LBB222_336
; %bb.335:                              ;   in Loop: Header=BB222_334 Depth=2
	v_add_co_u32 v38, vcc_lo, v76, s17
	v_add_co_ci_u32_e64 v39, null, 0, v77, vcc_lo
	s_mov_b32 s16, 0
	v_add_co_u32 v21, vcc_lo, 0x800, v38
	v_add_co_ci_u32_e64 v22, null, 0, v39, vcc_lo
	v_add_co_u32 v23, vcc_lo, 0x1000, v38
	v_add_co_ci_u32_e64 v24, null, 0, v39, vcc_lo
	s_clause 0x10
	global_load_ubyte v36, v[21:22], off offset:1792
	global_load_ubyte v37, v[23:24], off
	global_load_ubyte v35, v[21:22], off offset:1536
	global_load_ubyte v34, v[21:22], off offset:1280
	;; [unrolled: 1-line block ×6, first 2 shown]
	global_load_ubyte v29, v[21:22], off
	global_load_ubyte v28, v[38:39], off offset:1792
	global_load_ubyte v27, v[38:39], off offset:1536
	;; [unrolled: 1-line block ×7, first 2 shown]
	global_load_ubyte v21, v[38:39], off
.LBB222_336:                            ;   in Loop: Header=BB222_334 Depth=2
	s_andn2_b32 vcc_lo, exec_lo, s16
	s_movk_i32 s16, 0x1100
	s_cbranch_vccnz .LBB222_356
; %bb.337:                              ;   in Loop: Header=BB222_334 Depth=2
	s_add_u32 s16, s46, s17
	s_addc_u32 s17, s47, 0
	s_mov_b32 s18, exec_lo
	v_cmpx_gt_u32_e64 s5, v0
	s_cbranch_execnz .LBB222_390
; %bb.338:                              ;   in Loop: Header=BB222_334 Depth=2
	s_or_b32 exec_lo, exec_lo, s18
	s_mov_b32 s18, exec_lo
	v_cmpx_gt_u32_e64 s5, v44
	s_cbranch_execnz .LBB222_391
.LBB222_339:                            ;   in Loop: Header=BB222_334 Depth=2
	s_or_b32 exec_lo, exec_lo, s18
	s_mov_b32 s18, exec_lo
	v_cmpx_gt_u32_e64 s5, v47
	s_cbranch_execnz .LBB222_392
.LBB222_340:                            ;   in Loop: Header=BB222_334 Depth=2
	s_or_b32 exec_lo, exec_lo, s18
	s_mov_b32 s18, exec_lo
	v_cmpx_gt_u32_e64 s5, v48
	s_cbranch_execnz .LBB222_393
.LBB222_341:                            ;   in Loop: Header=BB222_334 Depth=2
	s_or_b32 exec_lo, exec_lo, s18
	s_mov_b32 s18, exec_lo
	v_cmpx_gt_u32_e64 s5, v49
	s_cbranch_execnz .LBB222_394
.LBB222_342:                            ;   in Loop: Header=BB222_334 Depth=2
	s_or_b32 exec_lo, exec_lo, s18
	s_mov_b32 s18, exec_lo
	v_cmpx_gt_u32_e64 s5, v50
	s_cbranch_execnz .LBB222_395
.LBB222_343:                            ;   in Loop: Header=BB222_334 Depth=2
	s_or_b32 exec_lo, exec_lo, s18
	s_mov_b32 s18, exec_lo
	v_cmpx_gt_u32_e64 s5, v51
	s_cbranch_execnz .LBB222_396
.LBB222_344:                            ;   in Loop: Header=BB222_334 Depth=2
	s_or_b32 exec_lo, exec_lo, s18
	s_mov_b32 s18, exec_lo
	v_cmpx_gt_u32_e64 s5, v52
	s_cbranch_execnz .LBB222_397
.LBB222_345:                            ;   in Loop: Header=BB222_334 Depth=2
	s_or_b32 exec_lo, exec_lo, s18
	s_mov_b32 s18, exec_lo
	v_cmpx_gt_u32_e64 s5, v53
	s_cbranch_execnz .LBB222_398
.LBB222_346:                            ;   in Loop: Header=BB222_334 Depth=2
	s_or_b32 exec_lo, exec_lo, s18
	s_mov_b32 s18, exec_lo
	v_cmpx_gt_u32_e64 s5, v54
	s_cbranch_execnz .LBB222_399
.LBB222_347:                            ;   in Loop: Header=BB222_334 Depth=2
	s_or_b32 exec_lo, exec_lo, s18
	s_mov_b32 s18, exec_lo
	v_cmpx_gt_u32_e64 s5, v55
	s_cbranch_execnz .LBB222_400
.LBB222_348:                            ;   in Loop: Header=BB222_334 Depth=2
	s_or_b32 exec_lo, exec_lo, s18
	s_mov_b32 s18, exec_lo
	v_cmpx_gt_u32_e64 s5, v56
	s_cbranch_execnz .LBB222_401
.LBB222_349:                            ;   in Loop: Header=BB222_334 Depth=2
	s_or_b32 exec_lo, exec_lo, s18
	s_mov_b32 s18, exec_lo
	v_cmpx_gt_u32_e64 s5, v57
	s_cbranch_execnz .LBB222_402
.LBB222_350:                            ;   in Loop: Header=BB222_334 Depth=2
	s_or_b32 exec_lo, exec_lo, s18
	s_mov_b32 s18, exec_lo
	v_cmpx_gt_u32_e64 s5, v58
	s_cbranch_execnz .LBB222_403
.LBB222_351:                            ;   in Loop: Header=BB222_334 Depth=2
	s_or_b32 exec_lo, exec_lo, s18
	s_mov_b32 s18, exec_lo
	v_cmpx_gt_u32_e64 s5, v59
	s_cbranch_execnz .LBB222_404
.LBB222_352:                            ;   in Loop: Header=BB222_334 Depth=2
	s_or_b32 exec_lo, exec_lo, s18
	s_mov_b32 s18, exec_lo
	v_cmpx_gt_u32_e64 s5, v60
	s_cbranch_execnz .LBB222_405
.LBB222_353:                            ;   in Loop: Header=BB222_334 Depth=2
	s_or_b32 exec_lo, exec_lo, s18
	s_mov_b32 s18, exec_lo
	v_cmpx_gt_u32_e64 s5, v61
	s_cbranch_execz .LBB222_355
.LBB222_354:                            ;   in Loop: Header=BB222_334 Depth=2
	s_waitcnt vmcnt(0)
	v_add_co_u32 v21, s16, s16, v61
	v_add_co_ci_u32_e64 v22, null, s17, 0, s16
	global_load_ubyte v3, v[21:22], off
.LBB222_355:                            ;   in Loop: Header=BB222_334 Depth=2
	s_or_b32 exec_lo, exec_lo, s18
	s_waitcnt vmcnt(0)
	v_mov_b32_e32 v21, v17
	v_mov_b32_e32 v22, v20
	;; [unrolled: 1-line block ×17, first 2 shown]
	s_mov_b32 s16, s5
.LBB222_356:                            ;   in Loop: Header=BB222_334 Depth=2
	s_waitcnt vmcnt(15)
	v_mov_b32_e32 v3, v37
	v_mov_b32_e32 v5, v36
	s_waitcnt vmcnt(14)
	v_mov_b32_e32 v6, v35
	s_waitcnt vmcnt(13)
	;; [unrolled: 2-line block ×15, first 2 shown]
	v_mov_b32_e32 v17, v21
	s_mov_b32 s17, exec_lo
	v_cmpx_gt_u32_e64 s16, v0
	s_cbranch_execnz .LBB222_373
; %bb.357:                              ;   in Loop: Header=BB222_334 Depth=2
	s_or_b32 exec_lo, exec_lo, s17
	s_mov_b32 s17, exec_lo
	v_cmpx_gt_u32_e64 s16, v44
	s_cbranch_execnz .LBB222_374
.LBB222_358:                            ;   in Loop: Header=BB222_334 Depth=2
	s_or_b32 exec_lo, exec_lo, s17
	s_mov_b32 s17, exec_lo
	v_cmpx_gt_u32_e64 s16, v47
	s_cbranch_execnz .LBB222_375
.LBB222_359:                            ;   in Loop: Header=BB222_334 Depth=2
	s_or_b32 exec_lo, exec_lo, s17
	s_mov_b32 s17, exec_lo
	v_cmpx_gt_u32_e64 s16, v48
	s_cbranch_execnz .LBB222_376
.LBB222_360:                            ;   in Loop: Header=BB222_334 Depth=2
	s_or_b32 exec_lo, exec_lo, s17
	s_mov_b32 s17, exec_lo
	v_cmpx_gt_u32_e64 s16, v49
	s_cbranch_execnz .LBB222_377
.LBB222_361:                            ;   in Loop: Header=BB222_334 Depth=2
	s_or_b32 exec_lo, exec_lo, s17
	s_mov_b32 s17, exec_lo
	v_cmpx_gt_u32_e64 s16, v50
	s_cbranch_execnz .LBB222_378
.LBB222_362:                            ;   in Loop: Header=BB222_334 Depth=2
	s_or_b32 exec_lo, exec_lo, s17
	s_mov_b32 s17, exec_lo
	v_cmpx_gt_u32_e64 s16, v51
	s_cbranch_execnz .LBB222_379
.LBB222_363:                            ;   in Loop: Header=BB222_334 Depth=2
	s_or_b32 exec_lo, exec_lo, s17
	s_mov_b32 s17, exec_lo
	v_cmpx_gt_u32_e64 s16, v52
	s_cbranch_execnz .LBB222_380
.LBB222_364:                            ;   in Loop: Header=BB222_334 Depth=2
	s_or_b32 exec_lo, exec_lo, s17
	s_mov_b32 s17, exec_lo
	v_cmpx_gt_u32_e64 s16, v53
	s_cbranch_execnz .LBB222_381
.LBB222_365:                            ;   in Loop: Header=BB222_334 Depth=2
	s_or_b32 exec_lo, exec_lo, s17
	s_mov_b32 s17, exec_lo
	v_cmpx_gt_u32_e64 s16, v54
	s_cbranch_execnz .LBB222_382
.LBB222_366:                            ;   in Loop: Header=BB222_334 Depth=2
	s_or_b32 exec_lo, exec_lo, s17
	s_mov_b32 s17, exec_lo
	v_cmpx_gt_u32_e64 s16, v55
	s_cbranch_execnz .LBB222_383
.LBB222_367:                            ;   in Loop: Header=BB222_334 Depth=2
	s_or_b32 exec_lo, exec_lo, s17
	s_mov_b32 s17, exec_lo
	v_cmpx_gt_u32_e64 s16, v56
	s_cbranch_execnz .LBB222_384
.LBB222_368:                            ;   in Loop: Header=BB222_334 Depth=2
	s_or_b32 exec_lo, exec_lo, s17
	s_mov_b32 s17, exec_lo
	v_cmpx_gt_u32_e64 s16, v57
	s_cbranch_execnz .LBB222_385
.LBB222_369:                            ;   in Loop: Header=BB222_334 Depth=2
	s_or_b32 exec_lo, exec_lo, s17
	s_mov_b32 s17, exec_lo
	v_cmpx_gt_u32_e64 s16, v58
	s_cbranch_execnz .LBB222_386
.LBB222_370:                            ;   in Loop: Header=BB222_334 Depth=2
	s_or_b32 exec_lo, exec_lo, s17
	s_mov_b32 s17, exec_lo
	v_cmpx_gt_u32_e64 s16, v59
	s_cbranch_execnz .LBB222_387
.LBB222_371:                            ;   in Loop: Header=BB222_334 Depth=2
	s_or_b32 exec_lo, exec_lo, s17
	s_mov_b32 s17, exec_lo
	v_cmpx_gt_u32_e64 s16, v60
	s_cbranch_execnz .LBB222_388
.LBB222_372:                            ;   in Loop: Header=BB222_334 Depth=2
	s_or_b32 exec_lo, exec_lo, s17
	v_cmp_gt_u32_e32 vcc_lo, s16, v61
	s_and_saveexec_b32 s16, vcc_lo
	s_cbranch_execz .LBB222_333
	s_branch .LBB222_389
.LBB222_373:                            ;   in Loop: Header=BB222_334 Depth=2
	v_lshrrev_b32_sdwa v21, s61, v17 dst_sel:DWORD dst_unused:UNUSED_PAD src0_sel:DWORD src1_sel:BYTE_0
	v_and_b32_e32 v21, s62, v21
	v_lshl_or_b32 v21, v21, 4, v63
	ds_add_u32 v21, v89
	s_or_b32 exec_lo, exec_lo, s17
	s_mov_b32 s17, exec_lo
	v_cmpx_gt_u32_e64 s16, v44
	s_cbranch_execz .LBB222_358
.LBB222_374:                            ;   in Loop: Header=BB222_334 Depth=2
	v_lshrrev_b32_sdwa v21, s61, v20 dst_sel:DWORD dst_unused:UNUSED_PAD src0_sel:DWORD src1_sel:BYTE_0
	v_and_b32_e32 v21, s62, v21
	v_lshl_or_b32 v21, v21, 4, v63
	ds_add_u32 v21, v89
	s_or_b32 exec_lo, exec_lo, s17
	s_mov_b32 s17, exec_lo
	v_cmpx_gt_u32_e64 s16, v47
	s_cbranch_execz .LBB222_359
.LBB222_375:                            ;   in Loop: Header=BB222_334 Depth=2
	v_lshrrev_b32_sdwa v21, s61, v19 dst_sel:DWORD dst_unused:UNUSED_PAD src0_sel:DWORD src1_sel:BYTE_0
	v_and_b32_e32 v21, s62, v21
	v_lshl_or_b32 v21, v21, 4, v63
	ds_add_u32 v21, v89
	s_or_b32 exec_lo, exec_lo, s17
	s_mov_b32 s17, exec_lo
	v_cmpx_gt_u32_e64 s16, v48
	s_cbranch_execz .LBB222_360
.LBB222_376:                            ;   in Loop: Header=BB222_334 Depth=2
	v_lshrrev_b32_sdwa v21, s61, v18 dst_sel:DWORD dst_unused:UNUSED_PAD src0_sel:DWORD src1_sel:BYTE_0
	v_and_b32_e32 v21, s62, v21
	v_lshl_or_b32 v21, v21, 4, v63
	ds_add_u32 v21, v89
	s_or_b32 exec_lo, exec_lo, s17
	s_mov_b32 s17, exec_lo
	v_cmpx_gt_u32_e64 s16, v49
	s_cbranch_execz .LBB222_361
.LBB222_377:                            ;   in Loop: Header=BB222_334 Depth=2
	v_lshrrev_b32_sdwa v21, s61, v16 dst_sel:DWORD dst_unused:UNUSED_PAD src0_sel:DWORD src1_sel:BYTE_0
	v_and_b32_e32 v21, s62, v21
	v_lshl_or_b32 v21, v21, 4, v63
	ds_add_u32 v21, v89
	s_or_b32 exec_lo, exec_lo, s17
	s_mov_b32 s17, exec_lo
	v_cmpx_gt_u32_e64 s16, v50
	s_cbranch_execz .LBB222_362
.LBB222_378:                            ;   in Loop: Header=BB222_334 Depth=2
	v_lshrrev_b32_sdwa v21, s61, v15 dst_sel:DWORD dst_unused:UNUSED_PAD src0_sel:DWORD src1_sel:BYTE_0
	v_and_b32_e32 v21, s62, v21
	v_lshl_or_b32 v21, v21, 4, v63
	ds_add_u32 v21, v89
	s_or_b32 exec_lo, exec_lo, s17
	s_mov_b32 s17, exec_lo
	v_cmpx_gt_u32_e64 s16, v51
	s_cbranch_execz .LBB222_363
.LBB222_379:                            ;   in Loop: Header=BB222_334 Depth=2
	v_lshrrev_b32_sdwa v21, s61, v14 dst_sel:DWORD dst_unused:UNUSED_PAD src0_sel:DWORD src1_sel:BYTE_0
	v_and_b32_e32 v21, s62, v21
	v_lshl_or_b32 v21, v21, 4, v63
	ds_add_u32 v21, v89
	s_or_b32 exec_lo, exec_lo, s17
	s_mov_b32 s17, exec_lo
	v_cmpx_gt_u32_e64 s16, v52
	s_cbranch_execz .LBB222_364
.LBB222_380:                            ;   in Loop: Header=BB222_334 Depth=2
	v_lshrrev_b32_sdwa v21, s61, v13 dst_sel:DWORD dst_unused:UNUSED_PAD src0_sel:DWORD src1_sel:BYTE_0
	v_and_b32_e32 v21, s62, v21
	v_lshl_or_b32 v21, v21, 4, v63
	ds_add_u32 v21, v89
	s_or_b32 exec_lo, exec_lo, s17
	s_mov_b32 s17, exec_lo
	v_cmpx_gt_u32_e64 s16, v53
	s_cbranch_execz .LBB222_365
.LBB222_381:                            ;   in Loop: Header=BB222_334 Depth=2
	v_lshrrev_b32_sdwa v21, s61, v12 dst_sel:DWORD dst_unused:UNUSED_PAD src0_sel:DWORD src1_sel:BYTE_0
	v_and_b32_e32 v21, s62, v21
	v_lshl_or_b32 v21, v21, 4, v63
	ds_add_u32 v21, v89
	s_or_b32 exec_lo, exec_lo, s17
	s_mov_b32 s17, exec_lo
	v_cmpx_gt_u32_e64 s16, v54
	s_cbranch_execz .LBB222_366
.LBB222_382:                            ;   in Loop: Header=BB222_334 Depth=2
	v_lshrrev_b32_sdwa v21, s61, v11 dst_sel:DWORD dst_unused:UNUSED_PAD src0_sel:DWORD src1_sel:BYTE_0
	v_and_b32_e32 v21, s62, v21
	v_lshl_or_b32 v21, v21, 4, v63
	ds_add_u32 v21, v89
	s_or_b32 exec_lo, exec_lo, s17
	s_mov_b32 s17, exec_lo
	v_cmpx_gt_u32_e64 s16, v55
	s_cbranch_execz .LBB222_367
.LBB222_383:                            ;   in Loop: Header=BB222_334 Depth=2
	v_lshrrev_b32_sdwa v21, s61, v10 dst_sel:DWORD dst_unused:UNUSED_PAD src0_sel:DWORD src1_sel:BYTE_0
	v_and_b32_e32 v21, s62, v21
	v_lshl_or_b32 v21, v21, 4, v63
	ds_add_u32 v21, v89
	s_or_b32 exec_lo, exec_lo, s17
	s_mov_b32 s17, exec_lo
	v_cmpx_gt_u32_e64 s16, v56
	s_cbranch_execz .LBB222_368
.LBB222_384:                            ;   in Loop: Header=BB222_334 Depth=2
	v_lshrrev_b32_sdwa v21, s61, v9 dst_sel:DWORD dst_unused:UNUSED_PAD src0_sel:DWORD src1_sel:BYTE_0
	v_and_b32_e32 v21, s62, v21
	v_lshl_or_b32 v21, v21, 4, v63
	ds_add_u32 v21, v89
	s_or_b32 exec_lo, exec_lo, s17
	s_mov_b32 s17, exec_lo
	v_cmpx_gt_u32_e64 s16, v57
	s_cbranch_execz .LBB222_369
.LBB222_385:                            ;   in Loop: Header=BB222_334 Depth=2
	v_lshrrev_b32_sdwa v21, s61, v8 dst_sel:DWORD dst_unused:UNUSED_PAD src0_sel:DWORD src1_sel:BYTE_0
	v_and_b32_e32 v21, s62, v21
	v_lshl_or_b32 v21, v21, 4, v63
	ds_add_u32 v21, v89
	s_or_b32 exec_lo, exec_lo, s17
	s_mov_b32 s17, exec_lo
	v_cmpx_gt_u32_e64 s16, v58
	s_cbranch_execz .LBB222_370
.LBB222_386:                            ;   in Loop: Header=BB222_334 Depth=2
	v_lshrrev_b32_sdwa v21, s61, v7 dst_sel:DWORD dst_unused:UNUSED_PAD src0_sel:DWORD src1_sel:BYTE_0
	v_and_b32_e32 v21, s62, v21
	v_lshl_or_b32 v21, v21, 4, v63
	ds_add_u32 v21, v89
	s_or_b32 exec_lo, exec_lo, s17
	s_mov_b32 s17, exec_lo
	v_cmpx_gt_u32_e64 s16, v59
	s_cbranch_execz .LBB222_371
.LBB222_387:                            ;   in Loop: Header=BB222_334 Depth=2
	v_lshrrev_b32_sdwa v21, s61, v6 dst_sel:DWORD dst_unused:UNUSED_PAD src0_sel:DWORD src1_sel:BYTE_0
	v_and_b32_e32 v21, s62, v21
	v_lshl_or_b32 v21, v21, 4, v63
	ds_add_u32 v21, v89
	s_or_b32 exec_lo, exec_lo, s17
	s_mov_b32 s17, exec_lo
	v_cmpx_gt_u32_e64 s16, v60
	s_cbranch_execz .LBB222_372
.LBB222_388:                            ;   in Loop: Header=BB222_334 Depth=2
	v_lshrrev_b32_sdwa v21, s61, v5 dst_sel:DWORD dst_unused:UNUSED_PAD src0_sel:DWORD src1_sel:BYTE_0
	v_and_b32_e32 v21, s62, v21
	v_lshl_or_b32 v21, v21, 4, v63
	ds_add_u32 v21, v89
	s_or_b32 exec_lo, exec_lo, s17
	v_cmp_gt_u32_e32 vcc_lo, s16, v61
	s_and_saveexec_b32 s16, vcc_lo
	s_cbranch_execz .LBB222_333
.LBB222_389:                            ;   in Loop: Header=BB222_334 Depth=2
	v_lshrrev_b32_sdwa v21, s61, v3 dst_sel:DWORD dst_unused:UNUSED_PAD src0_sel:DWORD src1_sel:BYTE_0
	v_and_b32_e32 v21, s62, v21
	v_lshl_or_b32 v21, v21, 4, v63
	ds_add_u32 v21, v89
	s_branch .LBB222_333
.LBB222_390:                            ;   in Loop: Header=BB222_334 Depth=2
	s_waitcnt vmcnt(0)
	v_add_co_u32 v21, s19, s16, v0
	v_add_co_ci_u32_e64 v22, null, s17, 0, s19
	global_load_ubyte v17, v[21:22], off
	s_or_b32 exec_lo, exec_lo, s18
	s_mov_b32 s18, exec_lo
	v_cmpx_gt_u32_e64 s5, v44
	s_cbranch_execz .LBB222_339
.LBB222_391:                            ;   in Loop: Header=BB222_334 Depth=2
	v_add_co_u32 v20, s19, s16, v0
	s_waitcnt vmcnt(0)
	v_add_co_ci_u32_e64 v21, null, s17, 0, s19
	global_load_ubyte v20, v[20:21], off offset:256
	s_or_b32 exec_lo, exec_lo, s18
	s_mov_b32 s18, exec_lo
	v_cmpx_gt_u32_e64 s5, v47
	s_cbranch_execz .LBB222_340
.LBB222_392:                            ;   in Loop: Header=BB222_334 Depth=2
	s_waitcnt vmcnt(0)
	v_add_co_u32 v21, s19, s16, v0
	v_add_co_ci_u32_e64 v22, null, s17, 0, s19
	global_load_ubyte v19, v[21:22], off offset:512
	s_or_b32 exec_lo, exec_lo, s18
	s_mov_b32 s18, exec_lo
	v_cmpx_gt_u32_e64 s5, v48
	s_cbranch_execz .LBB222_341
.LBB222_393:                            ;   in Loop: Header=BB222_334 Depth=2
	s_waitcnt vmcnt(0)
	v_add_co_u32 v21, s19, s16, v0
	v_add_co_ci_u32_e64 v22, null, s17, 0, s19
	global_load_ubyte v18, v[21:22], off offset:768
	s_or_b32 exec_lo, exec_lo, s18
	s_mov_b32 s18, exec_lo
	v_cmpx_gt_u32_e64 s5, v49
	s_cbranch_execz .LBB222_342
.LBB222_394:                            ;   in Loop: Header=BB222_334 Depth=2
	s_waitcnt vmcnt(0)
	v_add_co_u32 v21, s19, s16, v0
	v_add_co_ci_u32_e64 v22, null, s17, 0, s19
	global_load_ubyte v16, v[21:22], off offset:1024
	s_or_b32 exec_lo, exec_lo, s18
	s_mov_b32 s18, exec_lo
	v_cmpx_gt_u32_e64 s5, v50
	s_cbranch_execz .LBB222_343
.LBB222_395:                            ;   in Loop: Header=BB222_334 Depth=2
	s_waitcnt vmcnt(0)
	v_add_co_u32 v21, s19, s16, v0
	v_add_co_ci_u32_e64 v22, null, s17, 0, s19
	global_load_ubyte v15, v[21:22], off offset:1280
	s_or_b32 exec_lo, exec_lo, s18
	s_mov_b32 s18, exec_lo
	v_cmpx_gt_u32_e64 s5, v51
	s_cbranch_execz .LBB222_344
.LBB222_396:                            ;   in Loop: Header=BB222_334 Depth=2
	s_waitcnt vmcnt(0)
	v_add_co_u32 v21, s19, s16, v0
	v_add_co_ci_u32_e64 v22, null, s17, 0, s19
	global_load_ubyte v14, v[21:22], off offset:1536
	s_or_b32 exec_lo, exec_lo, s18
	s_mov_b32 s18, exec_lo
	v_cmpx_gt_u32_e64 s5, v52
	s_cbranch_execz .LBB222_345
.LBB222_397:                            ;   in Loop: Header=BB222_334 Depth=2
	s_waitcnt vmcnt(0)
	v_add_co_u32 v21, s19, s16, v0
	v_add_co_ci_u32_e64 v22, null, s17, 0, s19
	global_load_ubyte v13, v[21:22], off offset:1792
	s_or_b32 exec_lo, exec_lo, s18
	s_mov_b32 s18, exec_lo
	v_cmpx_gt_u32_e64 s5, v53
	s_cbranch_execz .LBB222_346
.LBB222_398:                            ;   in Loop: Header=BB222_334 Depth=2
	s_waitcnt vmcnt(0)
	v_add_co_u32 v21, s19, s16, v53
	v_add_co_ci_u32_e64 v22, null, s17, 0, s19
	global_load_ubyte v12, v[21:22], off
	s_or_b32 exec_lo, exec_lo, s18
	s_mov_b32 s18, exec_lo
	v_cmpx_gt_u32_e64 s5, v54
	s_cbranch_execz .LBB222_347
.LBB222_399:                            ;   in Loop: Header=BB222_334 Depth=2
	s_waitcnt vmcnt(0)
	v_add_co_u32 v21, s19, s16, v54
	v_add_co_ci_u32_e64 v22, null, s17, 0, s19
	global_load_ubyte v11, v[21:22], off
	s_or_b32 exec_lo, exec_lo, s18
	s_mov_b32 s18, exec_lo
	v_cmpx_gt_u32_e64 s5, v55
	s_cbranch_execz .LBB222_348
.LBB222_400:                            ;   in Loop: Header=BB222_334 Depth=2
	s_waitcnt vmcnt(0)
	v_add_co_u32 v21, s19, s16, v55
	v_add_co_ci_u32_e64 v22, null, s17, 0, s19
	global_load_ubyte v10, v[21:22], off
	s_or_b32 exec_lo, exec_lo, s18
	s_mov_b32 s18, exec_lo
	v_cmpx_gt_u32_e64 s5, v56
	s_cbranch_execz .LBB222_349
.LBB222_401:                            ;   in Loop: Header=BB222_334 Depth=2
	s_waitcnt vmcnt(0)
	v_add_co_u32 v21, s19, s16, v56
	v_add_co_ci_u32_e64 v22, null, s17, 0, s19
	global_load_ubyte v9, v[21:22], off
	s_or_b32 exec_lo, exec_lo, s18
	s_mov_b32 s18, exec_lo
	v_cmpx_gt_u32_e64 s5, v57
	s_cbranch_execz .LBB222_350
.LBB222_402:                            ;   in Loop: Header=BB222_334 Depth=2
	s_waitcnt vmcnt(0)
	v_add_co_u32 v21, s19, s16, v57
	v_add_co_ci_u32_e64 v22, null, s17, 0, s19
	global_load_ubyte v8, v[21:22], off
	s_or_b32 exec_lo, exec_lo, s18
	s_mov_b32 s18, exec_lo
	v_cmpx_gt_u32_e64 s5, v58
	s_cbranch_execz .LBB222_351
.LBB222_403:                            ;   in Loop: Header=BB222_334 Depth=2
	s_waitcnt vmcnt(0)
	v_add_co_u32 v21, s19, s16, v58
	v_add_co_ci_u32_e64 v22, null, s17, 0, s19
	global_load_ubyte v7, v[21:22], off
	s_or_b32 exec_lo, exec_lo, s18
	s_mov_b32 s18, exec_lo
	v_cmpx_gt_u32_e64 s5, v59
	s_cbranch_execz .LBB222_352
.LBB222_404:                            ;   in Loop: Header=BB222_334 Depth=2
	s_waitcnt vmcnt(0)
	v_add_co_u32 v21, s19, s16, v59
	v_add_co_ci_u32_e64 v22, null, s17, 0, s19
	global_load_ubyte v6, v[21:22], off
	s_or_b32 exec_lo, exec_lo, s18
	s_mov_b32 s18, exec_lo
	v_cmpx_gt_u32_e64 s5, v60
	s_cbranch_execz .LBB222_353
.LBB222_405:                            ;   in Loop: Header=BB222_334 Depth=2
	s_waitcnt vmcnt(0)
	v_add_co_u32 v21, s19, s16, v60
	v_add_co_ci_u32_e64 v22, null, s17, 0, s19
	global_load_ubyte v5, v[21:22], off
	s_or_b32 exec_lo, exec_lo, s18
	s_mov_b32 s18, exec_lo
	v_cmpx_gt_u32_e64 s5, v61
	s_cbranch_execnz .LBB222_354
	s_branch .LBB222_355
.LBB222_406:                            ;   in Loop: Header=BB222_20 Depth=1
	v_mov_b32_e32 v3, 0
	s_waitcnt lgkmcnt(0)
	s_barrier
	buffer_gl0_inv
	s_and_saveexec_b32 s5, s8
	s_cbranch_execz .LBB222_408
; %bb.407:                              ;   in Loop: Header=BB222_20 Depth=1
	ds_read2_b64 v[5:8], v64 offset1:1
	s_waitcnt lgkmcnt(0)
	v_add_nc_u32_e32 v3, v6, v5
	v_add3_u32 v3, v3, v7, v8
.LBB222_408:                            ;   in Loop: Header=BB222_20 Depth=1
	s_or_b32 exec_lo, exec_lo, s5
	v_and_b32_e32 v5, 15, v86
	v_mov_b32_dpp v6, v3 row_shr:1 row_mask:0xf bank_mask:0xf
	v_and_b32_e32 v7, 16, v86
	v_cmp_eq_u32_e64 s5, 0, v5
	v_cmp_lt_u32_e64 s15, 1, v5
	v_cmp_lt_u32_e64 s16, 3, v5
	;; [unrolled: 1-line block ×3, first 2 shown]
	v_cmp_eq_u32_e64 s18, 0, v7
	v_cndmask_b32_e64 v6, v6, 0, s5
	v_add_nc_u32_e32 v3, v6, v3
	v_mov_b32_dpp v6, v3 row_shr:2 row_mask:0xf bank_mask:0xf
	v_cndmask_b32_e64 v6, 0, v6, s15
	v_add_nc_u32_e32 v3, v3, v6
	v_mov_b32_dpp v6, v3 row_shr:4 row_mask:0xf bank_mask:0xf
	;; [unrolled: 3-line block ×3, first 2 shown]
	v_cndmask_b32_e64 v5, 0, v6, s17
	v_bfe_i32 v6, v86, 4, 1
	v_add_nc_u32_e32 v3, v3, v5
	ds_swizzle_b32 v5, v3 offset:swizzle(BROADCAST,32,15)
	s_waitcnt lgkmcnt(0)
	v_and_b32_e32 v5, v6, v5
	v_add_nc_u32_e32 v3, v3, v5
	s_and_saveexec_b32 s19, s9
; %bb.409:                              ;   in Loop: Header=BB222_20 Depth=1
	ds_write_b32 v65, v3
; %bb.410:                              ;   in Loop: Header=BB222_20 Depth=1
	s_or_b32 exec_lo, exec_lo, s19
	s_waitcnt lgkmcnt(0)
	s_barrier
	buffer_gl0_inv
	s_and_saveexec_b32 s19, s10
	s_cbranch_execz .LBB222_412
; %bb.411:                              ;   in Loop: Header=BB222_20 Depth=1
	ds_read_b32 v5, v66
	v_and_b32_e32 v6, 3, v86
	v_cmp_ne_u32_e32 vcc_lo, 0, v6
	s_waitcnt lgkmcnt(0)
	v_mov_b32_dpp v7, v5 row_shr:1 row_mask:0xf bank_mask:0xf
	v_cndmask_b32_e32 v7, 0, v7, vcc_lo
	v_cmp_lt_u32_e32 vcc_lo, 1, v6
	v_add_nc_u32_e32 v5, v7, v5
	v_mov_b32_dpp v7, v5 row_shr:2 row_mask:0xf bank_mask:0xf
	v_cndmask_b32_e32 v6, 0, v7, vcc_lo
	v_add_nc_u32_e32 v5, v5, v6
	ds_write_b32 v66, v5
.LBB222_412:                            ;   in Loop: Header=BB222_20 Depth=1
	s_or_b32 exec_lo, exec_lo, s19
	v_mov_b32_e32 v5, 0
	s_waitcnt lgkmcnt(0)
	s_barrier
	buffer_gl0_inv
	s_and_saveexec_b32 s19, s11
; %bb.413:                              ;   in Loop: Header=BB222_20 Depth=1
	ds_read_b32 v5, v67
; %bb.414:                              ;   in Loop: Header=BB222_20 Depth=1
	s_or_b32 exec_lo, exec_lo, s19
	v_sub_co_u32 v6, s19, v86, 1
	s_waitcnt lgkmcnt(0)
	v_add_nc_u32_e32 v3, v5, v3
	s_barrier
	v_cmp_gt_i32_e32 vcc_lo, 0, v6
	buffer_gl0_inv
	v_cndmask_b32_e32 v6, v6, v86, vcc_lo
	v_lshlrev_b32_e32 v92, 2, v6
	ds_bpermute_b32 v3, v92, v3
	s_and_saveexec_b32 s20, s8
	s_cbranch_execz .LBB222_416
; %bb.415:                              ;   in Loop: Header=BB222_20 Depth=1
	s_waitcnt lgkmcnt(0)
	v_cndmask_b32_e64 v3, v3, v5, s19
	v_add_nc_u32_e32 v3, s58, v3
	ds_write_b32 v43, v3
.LBB222_416:                            ;   in Loop: Header=BB222_20 Depth=1
	s_or_b32 exec_lo, exec_lo, s20
	s_load_dwordx2 s[20:21], s[56:57], 0x0
	v_and_b32_e32 v6, 7, v86
	v_lshlrev_b32_e32 v7, 3, v86
	v_or_b32_e32 v93, v86, v68
	s_mov_b32 s63, s60
	s_mov_b32 s50, s58
                                        ; implicit-def: $vgpr9_vgpr10
                                        ; implicit-def: $vgpr11_vgpr12
                                        ; implicit-def: $vgpr13_vgpr14
                                        ; implicit-def: $vgpr15_vgpr16
                                        ; implicit-def: $vgpr19_vgpr20
                                        ; implicit-def: $vgpr23_vgpr24
                                        ; implicit-def: $vgpr27_vgpr28
                                        ; implicit-def: $vgpr17_vgpr18
                                        ; implicit-def: $vgpr21_vgpr22
                                        ; implicit-def: $vgpr25_vgpr26
                                        ; implicit-def: $vgpr29_vgpr30
                                        ; implicit-def: $vgpr31_vgpr32
                                        ; implicit-def: $vgpr33_vgpr34
                                        ; implicit-def: $vgpr35_vgpr36
                                        ; implicit-def: $vgpr37_vgpr38
                                        ; implicit-def: $vgpr115
                                        ; implicit-def: $vgpr116
                                        ; implicit-def: $vgpr117
                                        ; implicit-def: $vgpr118
                                        ; implicit-def: $vgpr119
                                        ; implicit-def: $vgpr120
                                        ; implicit-def: $vgpr121
                                        ; implicit-def: $vgpr122
                                        ; implicit-def: $vgpr123
                                        ; implicit-def: $vgpr124
                                        ; implicit-def: $vgpr125
                                        ; implicit-def: $vgpr126
                                        ; implicit-def: $vgpr127
                                        ; implicit-def: $vgpr128
                                        ; implicit-def: $vgpr129
                                        ; implicit-def: $vgpr130
                                        ; implicit-def: $vgpr131
                                        ; implicit-def: $vgpr132
                                        ; implicit-def: $vgpr133
	v_add_co_u32 v94, vcc_lo, v78, v7
	v_add_co_ci_u32_e64 v95, null, 0, v79, vcc_lo
	v_add_co_u32 v112, vcc_lo, v80, v86
	v_add_nc_u32_e32 v96, 32, v93
	v_add_nc_u32_e32 v97, 64, v93
	;; [unrolled: 1-line block ×7, first 2 shown]
	s_waitcnt lgkmcnt(0)
	s_cmp_lt_u32 s7, s21
	v_add_nc_u32_e32 v103, 0x100, v93
	s_cselect_b32 s21, 14, 20
	v_add_nc_u32_e32 v104, 0x120, v93
	s_add_u32 s22, s56, s21
	s_addc_u32 s23, s57, 0
	s_cmp_lt_u32 s6, s20
	global_load_ushort v3, v4, s[22:23]
	s_cselect_b32 s20, 12, 18
	v_add_nc_u32_e32 v105, 0x140, v93
	s_add_u32 s20, s56, s20
	s_addc_u32 s21, s57, 0
	v_add_nc_u32_e32 v106, 0x160, v93
	global_load_ushort v5, v4, s[20:21]
	v_cmp_eq_u32_e64 s20, 0, v6
	v_cmp_lt_u32_e64 s21, 1, v6
	v_cmp_lt_u32_e64 s22, 3, v6
	v_add_nc_u32_e32 v107, 0x180, v93
	v_add_nc_u32_e32 v108, 0x1a0, v93
	;; [unrolled: 1-line block ×5, first 2 shown]
	v_add_co_ci_u32_e64 v113, null, 0, v81, vcc_lo
                                        ; implicit-def: $vgpr7_vgpr8
	s_waitcnt vmcnt(1)
	v_mad_u32_u24 v3, v2, v3, v1
	s_waitcnt vmcnt(0)
	v_mad_u64_u32 v[5:6], null, v3, v5, v[0:1]
	v_lshrrev_b32_e32 v3, 3, v5
                                        ; implicit-def: $vgpr5_vgpr6
	v_and_b32_e32 v114, 0x1ffffffc, v3
	s_branch .LBB222_418
.LBB222_417:                            ;   in Loop: Header=BB222_418 Depth=2
	s_or_b32 exec_lo, exec_lo, s23
	s_addk_i32 s63, 0xef00
	s_cmp_lt_u32 s64, s59
	s_mov_b32 s50, s64
	s_cbranch_scc0 .LBB222_640
.LBB222_418:                            ;   Parent Loop BB222_20 Depth=1
                                        ; =>  This Inner Loop Header: Depth=2
	s_add_i32 s64, s50, 0x1100
	s_cmp_gt_u32 s64, s59
	s_cbranch_scc1 .LBB222_420
; %bb.419:                              ;   in Loop: Header=BB222_418 Depth=2
	v_add_co_u32 v39, vcc_lo, v112, s50
	v_add_co_ci_u32_e64 v40, null, 0, v113, vcc_lo
	s_mov_b32 s23, -1
	s_clause 0xf
	global_load_ubyte v134, v[39:40], off
	global_load_ubyte v135, v[39:40], off offset:32
	global_load_ubyte v136, v[39:40], off offset:64
	;; [unrolled: 1-line block ×15, first 2 shown]
	s_movk_i32 s24, 0x1100
	s_cbranch_execz .LBB222_421
	s_branch .LBB222_454
.LBB222_420:                            ;   in Loop: Header=BB222_418 Depth=2
	s_mov_b32 s23, 0
                                        ; implicit-def: $vgpr134
                                        ; implicit-def: $vgpr135
                                        ; implicit-def: $vgpr136
                                        ; implicit-def: $vgpr137
                                        ; implicit-def: $vgpr138
                                        ; implicit-def: $vgpr139
                                        ; implicit-def: $vgpr140
                                        ; implicit-def: $vgpr141
                                        ; implicit-def: $vgpr142
                                        ; implicit-def: $vgpr143
                                        ; implicit-def: $vgpr144
                                        ; implicit-def: $vgpr145
                                        ; implicit-def: $vgpr146
                                        ; implicit-def: $vgpr147
                                        ; implicit-def: $vgpr148
                                        ; implicit-def: $vgpr149
	s_movk_i32 s24, 0x1100
.LBB222_421:                            ;   in Loop: Header=BB222_418 Depth=2
	v_add_co_u32 v39, vcc_lo, v112, s50
	v_add_co_ci_u32_e64 v40, null, 0, v113, vcc_lo
	s_waitcnt vmcnt(14)
	v_mov_b32_e32 v135, 0xff
	v_mov_b32_e32 v134, 0xff
	s_mov_b32 s23, exec_lo
	v_cmpx_gt_u32_e64 s63, v93
	s_cbranch_execz .LBB222_423
; %bb.422:                              ;   in Loop: Header=BB222_418 Depth=2
	global_load_ubyte v134, v[39:40], off
.LBB222_423:                            ;   in Loop: Header=BB222_418 Depth=2
	s_or_b32 exec_lo, exec_lo, s23
	s_mov_b32 s23, exec_lo
	v_cmpx_gt_u32_e64 s63, v96
	s_cbranch_execz .LBB222_425
; %bb.424:                              ;   in Loop: Header=BB222_418 Depth=2
	global_load_ubyte v135, v[39:40], off offset:32
.LBB222_425:                            ;   in Loop: Header=BB222_418 Depth=2
	s_or_b32 exec_lo, exec_lo, s23
	s_waitcnt vmcnt(12)
	v_mov_b32_e32 v137, 0xff
	v_mov_b32_e32 v136, 0xff
	s_mov_b32 s23, exec_lo
	v_cmpx_gt_u32_e64 s63, v97
	s_cbranch_execz .LBB222_427
; %bb.426:                              ;   in Loop: Header=BB222_418 Depth=2
	global_load_ubyte v136, v[39:40], off offset:64
.LBB222_427:                            ;   in Loop: Header=BB222_418 Depth=2
	s_or_b32 exec_lo, exec_lo, s23
	s_mov_b32 s23, exec_lo
	v_cmpx_gt_u32_e64 s63, v98
	s_cbranch_execz .LBB222_429
; %bb.428:                              ;   in Loop: Header=BB222_418 Depth=2
	global_load_ubyte v137, v[39:40], off offset:96
.LBB222_429:                            ;   in Loop: Header=BB222_418 Depth=2
	s_or_b32 exec_lo, exec_lo, s23
	s_waitcnt vmcnt(10)
	v_mov_b32_e32 v139, 0xff
	v_mov_b32_e32 v138, 0xff
	s_mov_b32 s23, exec_lo
	v_cmpx_gt_u32_e64 s63, v99
	s_cbranch_execz .LBB222_431
; %bb.430:                              ;   in Loop: Header=BB222_418 Depth=2
	global_load_ubyte v138, v[39:40], off offset:128
.LBB222_431:                            ;   in Loop: Header=BB222_418 Depth=2
	;; [unrolled: 17-line block ×7, first 2 shown]
	s_or_b32 exec_lo, exec_lo, s23
	s_mov_b32 s23, exec_lo
	v_cmpx_gt_u32_e64 s63, v110
	s_cbranch_execz .LBB222_453
; %bb.452:                              ;   in Loop: Header=BB222_418 Depth=2
	global_load_ubyte v149, v[39:40], off offset:480
.LBB222_453:                            ;   in Loop: Header=BB222_418 Depth=2
	s_or_b32 exec_lo, exec_lo, s23
	v_cmp_gt_u32_e64 s23, s63, v111
	s_sub_i32 s24, s59, s50
.LBB222_454:                            ;   in Loop: Header=BB222_418 Depth=2
	v_mov_b32_e32 v150, 0xff
	v_mov_b32_e32 v3, s63
	s_and_saveexec_b32 s25, s23
	s_cbranch_execz .LBB222_456
; %bb.455:                              ;   in Loop: Header=BB222_418 Depth=2
	v_add_co_u32 v39, vcc_lo, v112, s50
	v_add_co_ci_u32_e64 v40, null, s51, v113, vcc_lo
	v_mov_b32_e32 v3, s24
	global_load_ubyte v150, v[39:40], off offset:512
.LBB222_456:                            ;   in Loop: Header=BB222_418 Depth=2
	s_or_b32 exec_lo, exec_lo, s25
	s_waitcnt vmcnt(15)
	v_lshrrev_b32_sdwa v39, s61, v134 dst_sel:DWORD dst_unused:UNUSED_PAD src0_sel:DWORD src1_sel:BYTE_0
	ds_write2_b32 v69, v4, v4 offset0:136 offset1:137
	ds_write2_b32 v69, v4, v4 offset0:138 offset1:139
	ds_write_b32 v69, v4 offset:560
	s_waitcnt vmcnt(0) lgkmcnt(0)
	s_barrier
	v_and_b32_e32 v40, s62, v39
	buffer_gl0_inv
	; wave barrier
	v_and_b32_e32 v39, 1, v40
	v_lshlrev_b32_e32 v41, 30, v40
	v_lshlrev_b32_e32 v42, 29, v40
	;; [unrolled: 1-line block ×4, first 2 shown]
	v_add_co_u32 v39, s23, v39, -1
	v_cndmask_b32_e64 v151, 0, 1, s23
	v_not_b32_e32 v155, v41
	v_cmp_gt_i32_e64 s23, 0, v41
	v_not_b32_e32 v41, v42
	v_lshlrev_b32_e32 v154, 26, v40
	v_cmp_ne_u32_e32 vcc_lo, 0, v151
	v_ashrrev_i32_e32 v155, 31, v155
	v_lshlrev_b32_e32 v151, 25, v40
	v_ashrrev_i32_e32 v41, 31, v41
	v_mul_u32_u24_e32 v40, 36, v40
	v_xor_b32_e32 v39, vcc_lo, v39
	v_cmp_gt_i32_e32 vcc_lo, 0, v42
	v_not_b32_e32 v42, v152
	v_xor_b32_e32 v155, s23, v155
	v_cmp_gt_i32_e64 s23, 0, v152
	v_and_b32_e32 v39, exec_lo, v39
	v_not_b32_e32 v152, v153
	v_ashrrev_i32_e32 v42, 31, v42
	v_xor_b32_e32 v41, vcc_lo, v41
	v_cmp_gt_i32_e32 vcc_lo, 0, v153
	v_and_b32_e32 v39, v39, v155
	v_not_b32_e32 v153, v154
	v_ashrrev_i32_e32 v152, 31, v152
	v_xor_b32_e32 v42, s23, v42
	v_cmp_gt_i32_e64 s23, 0, v154
	v_and_b32_e32 v39, v39, v41
	v_not_b32_e32 v41, v151
	v_ashrrev_i32_e32 v153, 31, v153
	v_xor_b32_e32 v152, vcc_lo, v152
	v_cmp_gt_i32_e32 vcc_lo, 0, v151
	v_and_b32_e32 v39, v39, v42
	v_ashrrev_i32_e32 v41, 31, v41
	v_xor_b32_e32 v42, s23, v153
	v_and_b32_e32 v39, v39, v152
	v_xor_b32_e32 v41, vcc_lo, v41
	v_add_nc_u32_e32 v152, v114, v40
	v_and_b32_e32 v39, v39, v42
	v_and_b32_e32 v39, v39, v41
	v_mbcnt_lo_u32_b32 v151, v39, 0
	v_cmp_ne_u32_e64 s23, 0, v39
	v_cmp_eq_u32_e32 vcc_lo, 0, v151
	s_and_b32 s24, s23, vcc_lo
	s_and_saveexec_b32 s23, s24
; %bb.457:                              ;   in Loop: Header=BB222_418 Depth=2
	v_bcnt_u32_b32 v39, v39, 0
	ds_write_b32 v152, v39 offset:544
; %bb.458:                              ;   in Loop: Header=BB222_418 Depth=2
	s_or_b32 exec_lo, exec_lo, s23
	v_lshrrev_b32_sdwa v39, s61, v135 dst_sel:DWORD dst_unused:UNUSED_PAD src0_sel:DWORD src1_sel:BYTE_0
	; wave barrier
	v_and_b32_e32 v40, s62, v39
	v_and_b32_e32 v39, 1, v40
	v_lshlrev_b32_e32 v41, 30, v40
	v_lshlrev_b32_e32 v42, 29, v40
	v_lshlrev_b32_e32 v154, 28, v40
	v_lshlrev_b32_e32 v155, 27, v40
	v_add_co_u32 v39, s23, v39, -1
	v_cndmask_b32_e64 v153, 0, 1, s23
	v_not_b32_e32 v157, v41
	v_cmp_gt_i32_e64 s23, 0, v41
	v_not_b32_e32 v41, v42
	v_lshlrev_b32_e32 v156, 26, v40
	v_cmp_ne_u32_e32 vcc_lo, 0, v153
	v_ashrrev_i32_e32 v157, 31, v157
	v_lshlrev_b32_e32 v153, 25, v40
	v_ashrrev_i32_e32 v41, 31, v41
	v_xor_b32_e32 v39, vcc_lo, v39
	v_cmp_gt_i32_e32 vcc_lo, 0, v42
	v_not_b32_e32 v42, v154
	v_xor_b32_e32 v157, s23, v157
	v_cmp_gt_i32_e64 s23, 0, v154
	v_and_b32_e32 v39, exec_lo, v39
	v_not_b32_e32 v154, v155
	v_ashrrev_i32_e32 v42, 31, v42
	v_xor_b32_e32 v41, vcc_lo, v41
	v_cmp_gt_i32_e32 vcc_lo, 0, v155
	v_and_b32_e32 v39, v39, v157
	v_not_b32_e32 v155, v156
	v_ashrrev_i32_e32 v154, 31, v154
	v_xor_b32_e32 v42, s23, v42
	v_cmp_gt_i32_e64 s23, 0, v156
	v_and_b32_e32 v39, v39, v41
	v_not_b32_e32 v41, v153
	v_ashrrev_i32_e32 v155, 31, v155
	v_xor_b32_e32 v154, vcc_lo, v154
	v_cmp_gt_i32_e32 vcc_lo, 0, v153
	v_and_b32_e32 v39, v39, v42
	v_ashrrev_i32_e32 v41, 31, v41
	v_xor_b32_e32 v42, s23, v155
	v_mad_u32_u24 v153, v40, 36, v114
	v_mul_u32_u24_e32 v40, 36, v40
	v_and_b32_e32 v39, v39, v154
	v_xor_b32_e32 v41, vcc_lo, v41
	ds_read_b32 v153, v153 offset:544
	v_add_nc_u32_e32 v155, v114, v40
	v_and_b32_e32 v39, v39, v42
	; wave barrier
	v_and_b32_e32 v39, v39, v41
	v_mbcnt_lo_u32_b32 v154, v39, 0
	v_cmp_ne_u32_e64 s23, 0, v39
	v_cmp_eq_u32_e32 vcc_lo, 0, v154
	s_and_b32 s24, s23, vcc_lo
	s_and_saveexec_b32 s23, s24
	s_cbranch_execz .LBB222_460
; %bb.459:                              ;   in Loop: Header=BB222_418 Depth=2
	s_waitcnt lgkmcnt(0)
	v_bcnt_u32_b32 v39, v39, v153
	ds_write_b32 v155, v39 offset:544
.LBB222_460:                            ;   in Loop: Header=BB222_418 Depth=2
	s_or_b32 exec_lo, exec_lo, s23
	v_lshrrev_b32_sdwa v39, s61, v136 dst_sel:DWORD dst_unused:UNUSED_PAD src0_sel:DWORD src1_sel:BYTE_0
	; wave barrier
	v_and_b32_e32 v40, s62, v39
	v_and_b32_e32 v39, 1, v40
	v_lshlrev_b32_e32 v41, 30, v40
	v_lshlrev_b32_e32 v42, 29, v40
	v_lshlrev_b32_e32 v157, 28, v40
	v_lshlrev_b32_e32 v158, 27, v40
	v_add_co_u32 v39, s23, v39, -1
	v_cndmask_b32_e64 v156, 0, 1, s23
	v_not_b32_e32 v160, v41
	v_cmp_gt_i32_e64 s23, 0, v41
	v_not_b32_e32 v41, v42
	v_lshlrev_b32_e32 v159, 26, v40
	v_cmp_ne_u32_e32 vcc_lo, 0, v156
	v_ashrrev_i32_e32 v160, 31, v160
	v_lshlrev_b32_e32 v156, 25, v40
	v_ashrrev_i32_e32 v41, 31, v41
	v_xor_b32_e32 v39, vcc_lo, v39
	v_cmp_gt_i32_e32 vcc_lo, 0, v42
	v_not_b32_e32 v42, v157
	v_xor_b32_e32 v160, s23, v160
	v_cmp_gt_i32_e64 s23, 0, v157
	v_and_b32_e32 v39, exec_lo, v39
	v_not_b32_e32 v157, v158
	v_ashrrev_i32_e32 v42, 31, v42
	v_xor_b32_e32 v41, vcc_lo, v41
	v_cmp_gt_i32_e32 vcc_lo, 0, v158
	v_and_b32_e32 v39, v39, v160
	v_not_b32_e32 v158, v159
	v_ashrrev_i32_e32 v157, 31, v157
	v_xor_b32_e32 v42, s23, v42
	v_cmp_gt_i32_e64 s23, 0, v159
	v_and_b32_e32 v39, v39, v41
	v_not_b32_e32 v41, v156
	v_ashrrev_i32_e32 v158, 31, v158
	v_xor_b32_e32 v157, vcc_lo, v157
	v_cmp_gt_i32_e32 vcc_lo, 0, v156
	v_and_b32_e32 v39, v39, v42
	v_ashrrev_i32_e32 v41, 31, v41
	v_xor_b32_e32 v42, s23, v158
	v_mad_u32_u24 v156, v40, 36, v114
	v_mul_u32_u24_e32 v40, 36, v40
	v_and_b32_e32 v39, v39, v157
	v_xor_b32_e32 v41, vcc_lo, v41
	ds_read_b32 v156, v156 offset:544
	v_add_nc_u32_e32 v158, v114, v40
	v_and_b32_e32 v39, v39, v42
	; wave barrier
	v_and_b32_e32 v39, v39, v41
	v_mbcnt_lo_u32_b32 v157, v39, 0
	v_cmp_ne_u32_e64 s23, 0, v39
	v_cmp_eq_u32_e32 vcc_lo, 0, v157
	s_and_b32 s24, s23, vcc_lo
	s_and_saveexec_b32 s23, s24
	s_cbranch_execz .LBB222_462
; %bb.461:                              ;   in Loop: Header=BB222_418 Depth=2
	s_waitcnt lgkmcnt(0)
	v_bcnt_u32_b32 v39, v39, v156
	ds_write_b32 v158, v39 offset:544
.LBB222_462:                            ;   in Loop: Header=BB222_418 Depth=2
	;; [unrolled: 62-line block ×16, first 2 shown]
	s_or_b32 exec_lo, exec_lo, s23
	; wave barrier
	s_waitcnt lgkmcnt(0)
	s_barrier
	buffer_gl0_inv
	ds_read2_b32 v[41:42], v69 offset0:136 offset1:137
	ds_read2_b32 v[39:40], v69 offset0:138 offset1:139
	ds_read_b32 v201, v69 offset:560
	s_waitcnt lgkmcnt(1)
	v_add3_u32 v202, v42, v41, v39
	s_waitcnt lgkmcnt(0)
	v_add3_u32 v201, v202, v40, v201
	v_mov_b32_dpp v202, v201 row_shr:1 row_mask:0xf bank_mask:0xf
	v_cndmask_b32_e64 v202, v202, 0, s5
	v_add_nc_u32_e32 v201, v202, v201
	v_mov_b32_dpp v202, v201 row_shr:2 row_mask:0xf bank_mask:0xf
	v_cndmask_b32_e64 v202, 0, v202, s15
	v_add_nc_u32_e32 v201, v201, v202
	;; [unrolled: 3-line block ×4, first 2 shown]
	ds_swizzle_b32 v202, v201 offset:swizzle(BROADCAST,32,15)
	s_waitcnt lgkmcnt(0)
	v_cndmask_b32_e64 v202, v202, 0, s18
	v_add_nc_u32_e32 v201, v201, v202
	s_and_saveexec_b32 s23, s4
; %bb.491:                              ;   in Loop: Header=BB222_418 Depth=2
	ds_write_b32 v62, v201 offset:512
; %bb.492:                              ;   in Loop: Header=BB222_418 Depth=2
	s_or_b32 exec_lo, exec_lo, s23
	s_waitcnt lgkmcnt(0)
	s_barrier
	buffer_gl0_inv
	s_and_saveexec_b32 s23, s12
	s_cbranch_execz .LBB222_494
; %bb.493:                              ;   in Loop: Header=BB222_418 Depth=2
	ds_read_b32 v202, v70 offset:512
	s_waitcnt lgkmcnt(0)
	v_mov_b32_dpp v203, v202 row_shr:1 row_mask:0xf bank_mask:0xf
	v_cndmask_b32_e64 v203, v203, 0, s20
	v_add_nc_u32_e32 v202, v203, v202
	v_mov_b32_dpp v203, v202 row_shr:2 row_mask:0xf bank_mask:0xf
	v_cndmask_b32_e64 v203, 0, v203, s21
	v_add_nc_u32_e32 v202, v202, v203
	;; [unrolled: 3-line block ×3, first 2 shown]
	ds_write_b32 v70, v202 offset:512
.LBB222_494:                            ;   in Loop: Header=BB222_418 Depth=2
	s_or_b32 exec_lo, exec_lo, s23
	v_mov_b32_e32 v202, 0
	s_waitcnt lgkmcnt(0)
	s_barrier
	buffer_gl0_inv
	s_and_saveexec_b32 s23, s11
; %bb.495:                              ;   in Loop: Header=BB222_418 Depth=2
	ds_read_b32 v202, v62 offset:508
; %bb.496:                              ;   in Loop: Header=BB222_418 Depth=2
	s_or_b32 exec_lo, exec_lo, s23
	s_waitcnt lgkmcnt(0)
	v_add_nc_u32_e32 v201, v202, v201
	ds_bpermute_b32 v201, v92, v201
	s_waitcnt lgkmcnt(0)
	v_cndmask_b32_e64 v201, v201, v202, s19
	v_cndmask_b32_e64 v201, v201, 0, s13
	v_add_nc_u32_e32 v41, v201, v41
	v_add_nc_u32_e32 v42, v41, v42
	;; [unrolled: 1-line block ×4, first 2 shown]
	ds_write2_b32 v69, v201, v41 offset0:136 offset1:137
	ds_write2_b32 v69, v42, v39 offset0:138 offset1:139
	ds_write_b32 v69, v40 offset:560
	s_waitcnt lgkmcnt(0)
	s_barrier
	buffer_gl0_inv
	ds_read_b32 v39, v152 offset:544
	ds_read_b32 v40, v155 offset:544
	;; [unrolled: 1-line block ×17, first 2 shown]
	s_and_saveexec_b32 s23, s8
	s_cbranch_execz .LBB222_500
; %bb.497:                              ;   in Loop: Header=BB222_418 Depth=2
	v_add_nc_u32_e32 v132, v70, v72
	v_mov_b32_e32 v133, 0x1100
	ds_read_b32 v132, v132 offset:544
	s_and_saveexec_b32 s24, s14
; %bb.498:                              ;   in Loop: Header=BB222_418 Depth=2
	ds_read_b32 v133, v71 offset:544
; %bb.499:                              ;   in Loop: Header=BB222_418 Depth=2
	s_or_b32 exec_lo, exec_lo, s24
	s_waitcnt lgkmcnt(0)
	v_sub_nc_u32_e32 v133, v133, v132
.LBB222_500:                            ;   in Loop: Header=BB222_418 Depth=2
	s_or_b32 exec_lo, exec_lo, s23
	s_waitcnt lgkmcnt(0)
	s_barrier
	buffer_gl0_inv
	s_and_saveexec_b32 s23, s8
	s_cbranch_execz .LBB222_502
; %bb.501:                              ;   in Loop: Header=BB222_418 Depth=2
	ds_read_b32 v161, v43
	s_waitcnt lgkmcnt(0)
	v_sub_nc_u32_e32 v161, v161, v132
	ds_write_b32 v43, v161
.LBB222_502:                            ;   in Loop: Header=BB222_418 Depth=2
	s_or_b32 exec_lo, exec_lo, s23
	v_add_nc_u32_e32 v173, v39, v151
	v_add3_u32 v170, v154, v153, v40
	v_add3_u32 v167, v157, v156, v41
	;; [unrolled: 1-line block ×16, first 2 shown]
	v_cmp_lt_u32_e64 s39, v0, v3
	ds_write_b8 v173, v134 offset:512
	ds_write_b8 v170, v135 offset:512
	;; [unrolled: 1-line block ×17, first 2 shown]
	s_waitcnt lgkmcnt(0)
	s_barrier
	buffer_gl0_inv
	s_and_saveexec_b32 s23, s39
	s_cbranch_execnz .LBB222_575
; %bb.503:                              ;   in Loop: Header=BB222_418 Depth=2
	s_or_b32 exec_lo, exec_lo, s23
	v_cmp_lt_u32_e64 s38, v44, v3
	s_and_saveexec_b32 s23, s38
	s_cbranch_execnz .LBB222_576
.LBB222_504:                            ;   in Loop: Header=BB222_418 Depth=2
	s_or_b32 exec_lo, exec_lo, s23
	v_cmp_lt_u32_e64 s37, v47, v3
	s_and_saveexec_b32 s23, s37
	s_cbranch_execnz .LBB222_577
.LBB222_505:                            ;   in Loop: Header=BB222_418 Depth=2
	s_or_b32 exec_lo, exec_lo, s23
	v_cmp_lt_u32_e64 s36, v48, v3
	s_and_saveexec_b32 s23, s36
	s_cbranch_execnz .LBB222_578
.LBB222_506:                            ;   in Loop: Header=BB222_418 Depth=2
	s_or_b32 exec_lo, exec_lo, s23
	v_cmp_lt_u32_e64 s35, v49, v3
	s_and_saveexec_b32 s23, s35
	s_cbranch_execnz .LBB222_579
.LBB222_507:                            ;   in Loop: Header=BB222_418 Depth=2
	s_or_b32 exec_lo, exec_lo, s23
	v_cmp_lt_u32_e64 s34, v50, v3
	s_and_saveexec_b32 s23, s34
	s_cbranch_execnz .LBB222_580
.LBB222_508:                            ;   in Loop: Header=BB222_418 Depth=2
	s_or_b32 exec_lo, exec_lo, s23
	v_cmp_lt_u32_e64 s33, v51, v3
	s_and_saveexec_b32 s23, s33
	s_cbranch_execnz .LBB222_581
.LBB222_509:                            ;   in Loop: Header=BB222_418 Depth=2
	s_or_b32 exec_lo, exec_lo, s23
	v_cmp_lt_u32_e64 s31, v52, v3
	s_and_saveexec_b32 s23, s31
	s_cbranch_execnz .LBB222_582
.LBB222_510:                            ;   in Loop: Header=BB222_418 Depth=2
	s_or_b32 exec_lo, exec_lo, s23
	v_cmp_lt_u32_e64 s30, v53, v3
	s_and_saveexec_b32 s23, s30
	s_cbranch_execnz .LBB222_583
.LBB222_511:                            ;   in Loop: Header=BB222_418 Depth=2
	s_or_b32 exec_lo, exec_lo, s23
	v_cmp_lt_u32_e64 s29, v54, v3
	s_and_saveexec_b32 s23, s29
	s_cbranch_execnz .LBB222_584
.LBB222_512:                            ;   in Loop: Header=BB222_418 Depth=2
	s_or_b32 exec_lo, exec_lo, s23
	v_cmp_lt_u32_e64 s28, v55, v3
	s_and_saveexec_b32 s23, s28
	s_cbranch_execnz .LBB222_585
.LBB222_513:                            ;   in Loop: Header=BB222_418 Depth=2
	s_or_b32 exec_lo, exec_lo, s23
	v_cmp_lt_u32_e64 s27, v56, v3
	s_and_saveexec_b32 s23, s27
	s_cbranch_execnz .LBB222_586
.LBB222_514:                            ;   in Loop: Header=BB222_418 Depth=2
	s_or_b32 exec_lo, exec_lo, s23
	v_cmp_lt_u32_e64 s26, v57, v3
	s_and_saveexec_b32 s23, s26
	s_cbranch_execnz .LBB222_587
.LBB222_515:                            ;   in Loop: Header=BB222_418 Depth=2
	s_or_b32 exec_lo, exec_lo, s23
	v_cmp_lt_u32_e64 s25, v58, v3
	s_and_saveexec_b32 s23, s25
	s_cbranch_execnz .LBB222_588
.LBB222_516:                            ;   in Loop: Header=BB222_418 Depth=2
	s_or_b32 exec_lo, exec_lo, s23
	v_cmp_lt_u32_e64 s24, v59, v3
	s_and_saveexec_b32 s23, s24
	s_cbranch_execnz .LBB222_589
.LBB222_517:                            ;   in Loop: Header=BB222_418 Depth=2
	s_or_b32 exec_lo, exec_lo, s23
	v_cmp_lt_u32_e64 s23, v60, v3
	s_and_saveexec_b32 s40, s23
	s_cbranch_execnz .LBB222_590
.LBB222_518:                            ;   in Loop: Header=BB222_418 Depth=2
	s_or_b32 exec_lo, exec_lo, s40
	v_cmp_lt_u32_e32 vcc_lo, v61, v3
	s_and_saveexec_b32 s40, vcc_lo
	s_cbranch_execz .LBB222_520
.LBB222_519:                            ;   in Loop: Header=BB222_418 Depth=2
	ds_read_u8 v39, v0 offset:4608
	s_waitcnt lgkmcnt(0)
	v_lshrrev_b32_sdwa v40, s61, v39 dst_sel:DWORD dst_unused:UNUSED_PAD src0_sel:DWORD src1_sel:BYTE_0
	v_and_b32_e32 v40, s62, v40
	v_lshlrev_b32_e32 v40, 2, v40
	ds_read_b32 v40, v40
	s_waitcnt lgkmcnt(0)
	v_add_nc_u32_e32 v40, v40, v61
	global_store_byte v40, v39, s[48:49]
.LBB222_520:                            ;   in Loop: Header=BB222_418 Depth=2
	s_or_b32 exec_lo, exec_lo, s40
	s_lshl_b64 s[66:67], s[50:51], 3
	v_add_co_u32 v39, s40, v94, s66
	v_add_co_ci_u32_e64 v40, null, s67, v95, s40
	v_cmp_lt_u32_e64 s40, v93, v3
	s_and_saveexec_b32 s50, s40
	s_xor_b32 s40, exec_lo, s50
	s_cbranch_execnz .LBB222_591
; %bb.521:                              ;   in Loop: Header=BB222_418 Depth=2
	s_or_b32 exec_lo, exec_lo, s40
	s_mov_b32 s50, exec_lo
	v_cmpx_lt_u32_e64 v96, v3
	s_cbranch_execnz .LBB222_592
.LBB222_522:                            ;   in Loop: Header=BB222_418 Depth=2
	s_or_b32 exec_lo, exec_lo, s50
	s_mov_b32 s50, exec_lo
	v_cmpx_lt_u32_e64 v97, v3
	s_cbranch_execnz .LBB222_593
.LBB222_523:                            ;   in Loop: Header=BB222_418 Depth=2
	s_or_b32 exec_lo, exec_lo, s50
	s_mov_b32 s50, exec_lo
	v_cmpx_lt_u32_e64 v98, v3
	s_cbranch_execnz .LBB222_594
.LBB222_524:                            ;   in Loop: Header=BB222_418 Depth=2
	s_or_b32 exec_lo, exec_lo, s50
	s_mov_b32 s50, exec_lo
	v_cmpx_lt_u32_e64 v99, v3
	s_cbranch_execnz .LBB222_595
.LBB222_525:                            ;   in Loop: Header=BB222_418 Depth=2
	s_or_b32 exec_lo, exec_lo, s50
	s_mov_b32 s50, exec_lo
	v_cmpx_lt_u32_e64 v100, v3
	s_cbranch_execnz .LBB222_596
.LBB222_526:                            ;   in Loop: Header=BB222_418 Depth=2
	s_or_b32 exec_lo, exec_lo, s50
	s_mov_b32 s50, exec_lo
	v_cmpx_lt_u32_e64 v101, v3
	s_cbranch_execnz .LBB222_597
.LBB222_527:                            ;   in Loop: Header=BB222_418 Depth=2
	s_or_b32 exec_lo, exec_lo, s50
	s_mov_b32 s50, exec_lo
	v_cmpx_lt_u32_e64 v102, v3
	s_cbranch_execnz .LBB222_598
.LBB222_528:                            ;   in Loop: Header=BB222_418 Depth=2
	s_or_b32 exec_lo, exec_lo, s50
	s_mov_b32 s50, exec_lo
	v_cmpx_lt_u32_e64 v103, v3
	s_cbranch_execnz .LBB222_599
.LBB222_529:                            ;   in Loop: Header=BB222_418 Depth=2
	s_or_b32 exec_lo, exec_lo, s50
	s_mov_b32 s50, exec_lo
	v_cmpx_lt_u32_e64 v104, v3
	s_cbranch_execnz .LBB222_600
.LBB222_530:                            ;   in Loop: Header=BB222_418 Depth=2
	s_or_b32 exec_lo, exec_lo, s50
	s_mov_b32 s50, exec_lo
	v_cmpx_lt_u32_e64 v105, v3
	s_cbranch_execnz .LBB222_601
.LBB222_531:                            ;   in Loop: Header=BB222_418 Depth=2
	s_or_b32 exec_lo, exec_lo, s50
	s_mov_b32 s50, exec_lo
	v_cmpx_lt_u32_e64 v106, v3
	s_cbranch_execnz .LBB222_602
.LBB222_532:                            ;   in Loop: Header=BB222_418 Depth=2
	s_or_b32 exec_lo, exec_lo, s50
	s_mov_b32 s50, exec_lo
	v_cmpx_lt_u32_e64 v107, v3
	s_cbranch_execnz .LBB222_603
.LBB222_533:                            ;   in Loop: Header=BB222_418 Depth=2
	s_or_b32 exec_lo, exec_lo, s50
	s_mov_b32 s50, exec_lo
	v_cmpx_lt_u32_e64 v108, v3
	s_cbranch_execnz .LBB222_604
.LBB222_534:                            ;   in Loop: Header=BB222_418 Depth=2
	s_or_b32 exec_lo, exec_lo, s50
	s_mov_b32 s50, exec_lo
	v_cmpx_lt_u32_e64 v109, v3
	s_cbranch_execnz .LBB222_605
.LBB222_535:                            ;   in Loop: Header=BB222_418 Depth=2
	s_or_b32 exec_lo, exec_lo, s50
	s_mov_b32 s50, exec_lo
	v_cmpx_lt_u32_e64 v110, v3
	s_cbranch_execnz .LBB222_606
.LBB222_536:                            ;   in Loop: Header=BB222_418 Depth=2
	s_or_b32 exec_lo, exec_lo, s50
	s_mov_b32 s50, exec_lo
	v_cmpx_lt_u32_e64 v111, v3
	s_cbranch_execnz .LBB222_607
.LBB222_537:                            ;   in Loop: Header=BB222_418 Depth=2
	s_or_b32 exec_lo, exec_lo, s50
	s_and_saveexec_b32 s40, s39
	s_cbranch_execnz .LBB222_608
.LBB222_538:                            ;   in Loop: Header=BB222_418 Depth=2
	s_or_b32 exec_lo, exec_lo, s40
	s_and_saveexec_b32 s40, s38
	s_cbranch_execnz .LBB222_609
.LBB222_539:                            ;   in Loop: Header=BB222_418 Depth=2
	s_or_b32 exec_lo, exec_lo, s40
	s_and_saveexec_b32 s40, s37
	s_cbranch_execnz .LBB222_610
.LBB222_540:                            ;   in Loop: Header=BB222_418 Depth=2
	s_or_b32 exec_lo, exec_lo, s40
	s_and_saveexec_b32 s40, s36
	s_cbranch_execnz .LBB222_611
.LBB222_541:                            ;   in Loop: Header=BB222_418 Depth=2
	s_or_b32 exec_lo, exec_lo, s40
	s_and_saveexec_b32 s40, s35
	s_cbranch_execnz .LBB222_612
.LBB222_542:                            ;   in Loop: Header=BB222_418 Depth=2
	s_or_b32 exec_lo, exec_lo, s40
	s_and_saveexec_b32 s40, s34
	s_cbranch_execnz .LBB222_613
.LBB222_543:                            ;   in Loop: Header=BB222_418 Depth=2
	s_or_b32 exec_lo, exec_lo, s40
	s_and_saveexec_b32 s40, s33
	s_cbranch_execnz .LBB222_614
.LBB222_544:                            ;   in Loop: Header=BB222_418 Depth=2
	s_or_b32 exec_lo, exec_lo, s40
	s_and_saveexec_b32 s40, s31
	s_cbranch_execnz .LBB222_615
.LBB222_545:                            ;   in Loop: Header=BB222_418 Depth=2
	s_or_b32 exec_lo, exec_lo, s40
	s_and_saveexec_b32 s40, s30
	s_cbranch_execnz .LBB222_616
.LBB222_546:                            ;   in Loop: Header=BB222_418 Depth=2
	s_or_b32 exec_lo, exec_lo, s40
	s_and_saveexec_b32 s40, s29
	s_cbranch_execnz .LBB222_617
.LBB222_547:                            ;   in Loop: Header=BB222_418 Depth=2
	s_or_b32 exec_lo, exec_lo, s40
	s_and_saveexec_b32 s40, s28
	s_cbranch_execnz .LBB222_618
.LBB222_548:                            ;   in Loop: Header=BB222_418 Depth=2
	s_or_b32 exec_lo, exec_lo, s40
	s_and_saveexec_b32 s40, s27
	s_cbranch_execnz .LBB222_619
.LBB222_549:                            ;   in Loop: Header=BB222_418 Depth=2
	s_or_b32 exec_lo, exec_lo, s40
	s_and_saveexec_b32 s40, s26
	s_cbranch_execnz .LBB222_620
.LBB222_550:                            ;   in Loop: Header=BB222_418 Depth=2
	s_or_b32 exec_lo, exec_lo, s40
	s_and_saveexec_b32 s40, s25
	s_cbranch_execnz .LBB222_621
.LBB222_551:                            ;   in Loop: Header=BB222_418 Depth=2
	s_or_b32 exec_lo, exec_lo, s40
	s_and_saveexec_b32 s40, s24
	s_cbranch_execnz .LBB222_622
.LBB222_552:                            ;   in Loop: Header=BB222_418 Depth=2
	s_or_b32 exec_lo, exec_lo, s40
	s_and_saveexec_b32 s40, s23
	s_cbranch_execnz .LBB222_623
.LBB222_553:                            ;   in Loop: Header=BB222_418 Depth=2
	s_or_b32 exec_lo, exec_lo, s40
	s_and_saveexec_b32 s40, vcc_lo
	s_cbranch_execz .LBB222_555
.LBB222_554:                            ;   in Loop: Header=BB222_418 Depth=2
	ds_read_u8 v3, v0 offset:4608
	s_waitcnt lgkmcnt(0)
	v_lshrrev_b32_e32 v3, s61, v3
	v_and_b32_e32 v115, s62, v3
.LBB222_555:                            ;   in Loop: Header=BB222_418 Depth=2
	s_or_b32 exec_lo, exec_lo, s40
	v_lshlrev_b32_e32 v3, 3, v173
	v_lshlrev_b32_e32 v39, 3, v170
	s_waitcnt vmcnt(0)
	s_waitcnt_vscnt null, 0x0
	s_barrier
	buffer_gl0_inv
	ds_write_b64 v3, v[37:38] offset:512
	ds_write_b64 v39, v[35:36] offset:512
	v_lshlrev_b32_e32 v3, 3, v167
	v_lshlrev_b32_e32 v39, 3, v164
	v_lshlrev_b32_e32 v40, 3, v161
	v_lshlrev_b32_e32 v134, 3, v160
	v_lshlrev_b32_e32 v135, 3, v159
	ds_write_b64 v3, v[33:34] offset:512
	ds_write_b64 v39, v[31:32] offset:512
	ds_write_b64 v40, v[29:30] offset:512
	ds_write_b64 v134, v[25:26] offset:512
	ds_write_b64 v135, v[21:22] offset:512
	v_lshlrev_b32_e32 v3, 3, v158
	v_lshlrev_b32_e32 v39, 3, v157
	v_lshlrev_b32_e32 v40, 3, v156
	v_lshlrev_b32_e32 v134, 3, v155
	v_lshlrev_b32_e32 v135, 3, v154
	ds_write_b64 v3, v[17:18] offset:512
	ds_write_b64 v39, v[27:28] offset:512
	ds_write_b64 v40, v[23:24] offset:512
	;; [unrolled: 10-line block ×3, first 2 shown]
	ds_write_b64 v42, v[7:8] offset:512
	ds_write_b64 v41, v[5:6] offset:512
	s_waitcnt lgkmcnt(0)
	s_barrier
	buffer_gl0_inv
	s_and_saveexec_b32 s40, s39
	s_cbranch_execnz .LBB222_624
; %bb.556:                              ;   in Loop: Header=BB222_418 Depth=2
	s_or_b32 exec_lo, exec_lo, s40
	s_and_saveexec_b32 s39, s38
	s_cbranch_execnz .LBB222_625
.LBB222_557:                            ;   in Loop: Header=BB222_418 Depth=2
	s_or_b32 exec_lo, exec_lo, s39
	s_and_saveexec_b32 s38, s37
	s_cbranch_execnz .LBB222_626
.LBB222_558:                            ;   in Loop: Header=BB222_418 Depth=2
	s_or_b32 exec_lo, exec_lo, s38
	s_and_saveexec_b32 s37, s36
	s_cbranch_execnz .LBB222_627
.LBB222_559:                            ;   in Loop: Header=BB222_418 Depth=2
	s_or_b32 exec_lo, exec_lo, s37
	s_and_saveexec_b32 s36, s35
	s_cbranch_execnz .LBB222_628
.LBB222_560:                            ;   in Loop: Header=BB222_418 Depth=2
	s_or_b32 exec_lo, exec_lo, s36
	s_and_saveexec_b32 s35, s34
	s_cbranch_execnz .LBB222_629
.LBB222_561:                            ;   in Loop: Header=BB222_418 Depth=2
	s_or_b32 exec_lo, exec_lo, s35
	s_and_saveexec_b32 s34, s33
	s_cbranch_execnz .LBB222_630
.LBB222_562:                            ;   in Loop: Header=BB222_418 Depth=2
	s_or_b32 exec_lo, exec_lo, s34
	s_and_saveexec_b32 s33, s31
	s_cbranch_execnz .LBB222_631
.LBB222_563:                            ;   in Loop: Header=BB222_418 Depth=2
	s_or_b32 exec_lo, exec_lo, s33
	s_and_saveexec_b32 s31, s30
	s_cbranch_execnz .LBB222_632
.LBB222_564:                            ;   in Loop: Header=BB222_418 Depth=2
	s_or_b32 exec_lo, exec_lo, s31
	s_and_saveexec_b32 s30, s29
	s_cbranch_execnz .LBB222_633
.LBB222_565:                            ;   in Loop: Header=BB222_418 Depth=2
	s_or_b32 exec_lo, exec_lo, s30
	s_and_saveexec_b32 s29, s28
	s_cbranch_execnz .LBB222_634
.LBB222_566:                            ;   in Loop: Header=BB222_418 Depth=2
	s_or_b32 exec_lo, exec_lo, s29
	s_and_saveexec_b32 s28, s27
	s_cbranch_execnz .LBB222_635
.LBB222_567:                            ;   in Loop: Header=BB222_418 Depth=2
	s_or_b32 exec_lo, exec_lo, s28
	s_and_saveexec_b32 s27, s26
	s_cbranch_execnz .LBB222_636
.LBB222_568:                            ;   in Loop: Header=BB222_418 Depth=2
	s_or_b32 exec_lo, exec_lo, s27
	s_and_saveexec_b32 s26, s25
	s_cbranch_execnz .LBB222_637
.LBB222_569:                            ;   in Loop: Header=BB222_418 Depth=2
	s_or_b32 exec_lo, exec_lo, s26
	s_and_saveexec_b32 s25, s24
	s_cbranch_execnz .LBB222_638
.LBB222_570:                            ;   in Loop: Header=BB222_418 Depth=2
	s_or_b32 exec_lo, exec_lo, s25
	s_and_saveexec_b32 s24, s23
	s_cbranch_execnz .LBB222_639
.LBB222_571:                            ;   in Loop: Header=BB222_418 Depth=2
	s_or_b32 exec_lo, exec_lo, s24
	s_and_saveexec_b32 s23, vcc_lo
	s_cbranch_execz .LBB222_573
.LBB222_572:                            ;   in Loop: Header=BB222_418 Depth=2
	v_lshlrev_b32_e32 v3, 2, v115
	v_add_nc_u32_e32 v39, v0, v75
	ds_read_b32 v3, v3
	ds_read_b64 v[39:40], v39 offset:33280
	s_waitcnt lgkmcnt(1)
	v_add_nc_u32_e32 v3, v3, v61
	v_lshlrev_b64 v[41:42], 3, v[3:4]
	v_add_co_u32 v41, vcc_lo, s54, v41
	v_add_co_ci_u32_e64 v42, null, s55, v42, vcc_lo
	s_waitcnt lgkmcnt(0)
	global_store_dwordx2 v[41:42], v[39:40], off
.LBB222_573:                            ;   in Loop: Header=BB222_418 Depth=2
	s_or_b32 exec_lo, exec_lo, s23
	s_waitcnt_vscnt null, 0x0
	s_barrier
	buffer_gl0_inv
	s_and_saveexec_b32 s23, s8
	s_cbranch_execz .LBB222_417
; %bb.574:                              ;   in Loop: Header=BB222_418 Depth=2
	ds_read_b32 v3, v43
	s_waitcnt lgkmcnt(0)
	v_add3_u32 v3, v132, v133, v3
	ds_write_b32 v43, v3
	s_branch .LBB222_417
.LBB222_575:                            ;   in Loop: Header=BB222_418 Depth=2
	ds_read_u8 v39, v0 offset:512
	s_waitcnt lgkmcnt(0)
	v_lshrrev_b32_sdwa v40, s61, v39 dst_sel:DWORD dst_unused:UNUSED_PAD src0_sel:DWORD src1_sel:BYTE_0
	v_and_b32_e32 v40, s62, v40
	v_lshlrev_b32_e32 v40, 2, v40
	ds_read_b32 v40, v40
	s_waitcnt lgkmcnt(0)
	v_add_nc_u32_e32 v40, v40, v0
	global_store_byte v40, v39, s[48:49]
	s_or_b32 exec_lo, exec_lo, s23
	v_cmp_lt_u32_e64 s38, v44, v3
	s_and_saveexec_b32 s23, s38
	s_cbranch_execz .LBB222_504
.LBB222_576:                            ;   in Loop: Header=BB222_418 Depth=2
	ds_read_u8 v39, v0 offset:768
	s_waitcnt lgkmcnt(0)
	v_lshrrev_b32_sdwa v40, s61, v39 dst_sel:DWORD dst_unused:UNUSED_PAD src0_sel:DWORD src1_sel:BYTE_0
	v_and_b32_e32 v40, s62, v40
	v_lshlrev_b32_e32 v40, 2, v40
	ds_read_b32 v40, v40
	s_waitcnt lgkmcnt(0)
	v_add_nc_u32_e32 v40, v40, v44
	global_store_byte v40, v39, s[48:49]
	s_or_b32 exec_lo, exec_lo, s23
	v_cmp_lt_u32_e64 s37, v47, v3
	s_and_saveexec_b32 s23, s37
	s_cbranch_execz .LBB222_505
.LBB222_577:                            ;   in Loop: Header=BB222_418 Depth=2
	ds_read_u8 v39, v0 offset:1024
	s_waitcnt lgkmcnt(0)
	v_lshrrev_b32_sdwa v40, s61, v39 dst_sel:DWORD dst_unused:UNUSED_PAD src0_sel:DWORD src1_sel:BYTE_0
	v_and_b32_e32 v40, s62, v40
	v_lshlrev_b32_e32 v40, 2, v40
	ds_read_b32 v40, v40
	s_waitcnt lgkmcnt(0)
	v_add_nc_u32_e32 v40, v40, v47
	global_store_byte v40, v39, s[48:49]
	s_or_b32 exec_lo, exec_lo, s23
	v_cmp_lt_u32_e64 s36, v48, v3
	s_and_saveexec_b32 s23, s36
	s_cbranch_execz .LBB222_506
.LBB222_578:                            ;   in Loop: Header=BB222_418 Depth=2
	ds_read_u8 v39, v0 offset:1280
	s_waitcnt lgkmcnt(0)
	v_lshrrev_b32_sdwa v40, s61, v39 dst_sel:DWORD dst_unused:UNUSED_PAD src0_sel:DWORD src1_sel:BYTE_0
	v_and_b32_e32 v40, s62, v40
	v_lshlrev_b32_e32 v40, 2, v40
	ds_read_b32 v40, v40
	s_waitcnt lgkmcnt(0)
	v_add_nc_u32_e32 v40, v40, v48
	global_store_byte v40, v39, s[48:49]
	s_or_b32 exec_lo, exec_lo, s23
	v_cmp_lt_u32_e64 s35, v49, v3
	s_and_saveexec_b32 s23, s35
	s_cbranch_execz .LBB222_507
.LBB222_579:                            ;   in Loop: Header=BB222_418 Depth=2
	ds_read_u8 v39, v0 offset:1536
	s_waitcnt lgkmcnt(0)
	v_lshrrev_b32_sdwa v40, s61, v39 dst_sel:DWORD dst_unused:UNUSED_PAD src0_sel:DWORD src1_sel:BYTE_0
	v_and_b32_e32 v40, s62, v40
	v_lshlrev_b32_e32 v40, 2, v40
	ds_read_b32 v40, v40
	s_waitcnt lgkmcnt(0)
	v_add_nc_u32_e32 v40, v40, v49
	global_store_byte v40, v39, s[48:49]
	s_or_b32 exec_lo, exec_lo, s23
	v_cmp_lt_u32_e64 s34, v50, v3
	s_and_saveexec_b32 s23, s34
	s_cbranch_execz .LBB222_508
.LBB222_580:                            ;   in Loop: Header=BB222_418 Depth=2
	ds_read_u8 v39, v0 offset:1792
	s_waitcnt lgkmcnt(0)
	v_lshrrev_b32_sdwa v40, s61, v39 dst_sel:DWORD dst_unused:UNUSED_PAD src0_sel:DWORD src1_sel:BYTE_0
	v_and_b32_e32 v40, s62, v40
	v_lshlrev_b32_e32 v40, 2, v40
	ds_read_b32 v40, v40
	s_waitcnt lgkmcnt(0)
	v_add_nc_u32_e32 v40, v40, v50
	global_store_byte v40, v39, s[48:49]
	s_or_b32 exec_lo, exec_lo, s23
	v_cmp_lt_u32_e64 s33, v51, v3
	s_and_saveexec_b32 s23, s33
	s_cbranch_execz .LBB222_509
.LBB222_581:                            ;   in Loop: Header=BB222_418 Depth=2
	ds_read_u8 v39, v0 offset:2048
	s_waitcnt lgkmcnt(0)
	v_lshrrev_b32_sdwa v40, s61, v39 dst_sel:DWORD dst_unused:UNUSED_PAD src0_sel:DWORD src1_sel:BYTE_0
	v_and_b32_e32 v40, s62, v40
	v_lshlrev_b32_e32 v40, 2, v40
	ds_read_b32 v40, v40
	s_waitcnt lgkmcnt(0)
	v_add_nc_u32_e32 v40, v40, v51
	global_store_byte v40, v39, s[48:49]
	s_or_b32 exec_lo, exec_lo, s23
	v_cmp_lt_u32_e64 s31, v52, v3
	s_and_saveexec_b32 s23, s31
	s_cbranch_execz .LBB222_510
.LBB222_582:                            ;   in Loop: Header=BB222_418 Depth=2
	ds_read_u8 v39, v0 offset:2304
	s_waitcnt lgkmcnt(0)
	v_lshrrev_b32_sdwa v40, s61, v39 dst_sel:DWORD dst_unused:UNUSED_PAD src0_sel:DWORD src1_sel:BYTE_0
	v_and_b32_e32 v40, s62, v40
	v_lshlrev_b32_e32 v40, 2, v40
	ds_read_b32 v40, v40
	s_waitcnt lgkmcnt(0)
	v_add_nc_u32_e32 v40, v40, v52
	global_store_byte v40, v39, s[48:49]
	s_or_b32 exec_lo, exec_lo, s23
	v_cmp_lt_u32_e64 s30, v53, v3
	s_and_saveexec_b32 s23, s30
	s_cbranch_execz .LBB222_511
.LBB222_583:                            ;   in Loop: Header=BB222_418 Depth=2
	ds_read_u8 v39, v0 offset:2560
	s_waitcnt lgkmcnt(0)
	v_lshrrev_b32_sdwa v40, s61, v39 dst_sel:DWORD dst_unused:UNUSED_PAD src0_sel:DWORD src1_sel:BYTE_0
	v_and_b32_e32 v40, s62, v40
	v_lshlrev_b32_e32 v40, 2, v40
	ds_read_b32 v40, v40
	s_waitcnt lgkmcnt(0)
	v_add_nc_u32_e32 v40, v40, v53
	global_store_byte v40, v39, s[48:49]
	s_or_b32 exec_lo, exec_lo, s23
	v_cmp_lt_u32_e64 s29, v54, v3
	s_and_saveexec_b32 s23, s29
	s_cbranch_execz .LBB222_512
.LBB222_584:                            ;   in Loop: Header=BB222_418 Depth=2
	ds_read_u8 v39, v0 offset:2816
	s_waitcnt lgkmcnt(0)
	v_lshrrev_b32_sdwa v40, s61, v39 dst_sel:DWORD dst_unused:UNUSED_PAD src0_sel:DWORD src1_sel:BYTE_0
	v_and_b32_e32 v40, s62, v40
	v_lshlrev_b32_e32 v40, 2, v40
	ds_read_b32 v40, v40
	s_waitcnt lgkmcnt(0)
	v_add_nc_u32_e32 v40, v40, v54
	global_store_byte v40, v39, s[48:49]
	s_or_b32 exec_lo, exec_lo, s23
	v_cmp_lt_u32_e64 s28, v55, v3
	s_and_saveexec_b32 s23, s28
	s_cbranch_execz .LBB222_513
.LBB222_585:                            ;   in Loop: Header=BB222_418 Depth=2
	ds_read_u8 v39, v0 offset:3072
	s_waitcnt lgkmcnt(0)
	v_lshrrev_b32_sdwa v40, s61, v39 dst_sel:DWORD dst_unused:UNUSED_PAD src0_sel:DWORD src1_sel:BYTE_0
	v_and_b32_e32 v40, s62, v40
	v_lshlrev_b32_e32 v40, 2, v40
	ds_read_b32 v40, v40
	s_waitcnt lgkmcnt(0)
	v_add_nc_u32_e32 v40, v40, v55
	global_store_byte v40, v39, s[48:49]
	s_or_b32 exec_lo, exec_lo, s23
	v_cmp_lt_u32_e64 s27, v56, v3
	s_and_saveexec_b32 s23, s27
	s_cbranch_execz .LBB222_514
.LBB222_586:                            ;   in Loop: Header=BB222_418 Depth=2
	ds_read_u8 v39, v0 offset:3328
	s_waitcnt lgkmcnt(0)
	v_lshrrev_b32_sdwa v40, s61, v39 dst_sel:DWORD dst_unused:UNUSED_PAD src0_sel:DWORD src1_sel:BYTE_0
	v_and_b32_e32 v40, s62, v40
	v_lshlrev_b32_e32 v40, 2, v40
	ds_read_b32 v40, v40
	s_waitcnt lgkmcnt(0)
	v_add_nc_u32_e32 v40, v40, v56
	global_store_byte v40, v39, s[48:49]
	s_or_b32 exec_lo, exec_lo, s23
	v_cmp_lt_u32_e64 s26, v57, v3
	s_and_saveexec_b32 s23, s26
	s_cbranch_execz .LBB222_515
.LBB222_587:                            ;   in Loop: Header=BB222_418 Depth=2
	ds_read_u8 v39, v0 offset:3584
	s_waitcnt lgkmcnt(0)
	v_lshrrev_b32_sdwa v40, s61, v39 dst_sel:DWORD dst_unused:UNUSED_PAD src0_sel:DWORD src1_sel:BYTE_0
	v_and_b32_e32 v40, s62, v40
	v_lshlrev_b32_e32 v40, 2, v40
	ds_read_b32 v40, v40
	s_waitcnt lgkmcnt(0)
	v_add_nc_u32_e32 v40, v40, v57
	global_store_byte v40, v39, s[48:49]
	s_or_b32 exec_lo, exec_lo, s23
	v_cmp_lt_u32_e64 s25, v58, v3
	s_and_saveexec_b32 s23, s25
	s_cbranch_execz .LBB222_516
.LBB222_588:                            ;   in Loop: Header=BB222_418 Depth=2
	ds_read_u8 v39, v0 offset:3840
	s_waitcnt lgkmcnt(0)
	v_lshrrev_b32_sdwa v40, s61, v39 dst_sel:DWORD dst_unused:UNUSED_PAD src0_sel:DWORD src1_sel:BYTE_0
	v_and_b32_e32 v40, s62, v40
	v_lshlrev_b32_e32 v40, 2, v40
	ds_read_b32 v40, v40
	s_waitcnt lgkmcnt(0)
	v_add_nc_u32_e32 v40, v40, v58
	global_store_byte v40, v39, s[48:49]
	s_or_b32 exec_lo, exec_lo, s23
	v_cmp_lt_u32_e64 s24, v59, v3
	s_and_saveexec_b32 s23, s24
	s_cbranch_execz .LBB222_517
.LBB222_589:                            ;   in Loop: Header=BB222_418 Depth=2
	ds_read_u8 v39, v0 offset:4096
	s_waitcnt lgkmcnt(0)
	v_lshrrev_b32_sdwa v40, s61, v39 dst_sel:DWORD dst_unused:UNUSED_PAD src0_sel:DWORD src1_sel:BYTE_0
	v_and_b32_e32 v40, s62, v40
	v_lshlrev_b32_e32 v40, 2, v40
	ds_read_b32 v40, v40
	s_waitcnt lgkmcnt(0)
	v_add_nc_u32_e32 v40, v40, v59
	global_store_byte v40, v39, s[48:49]
	s_or_b32 exec_lo, exec_lo, s23
	v_cmp_lt_u32_e64 s23, v60, v3
	s_and_saveexec_b32 s40, s23
	s_cbranch_execz .LBB222_518
.LBB222_590:                            ;   in Loop: Header=BB222_418 Depth=2
	ds_read_u8 v39, v0 offset:4352
	s_waitcnt lgkmcnt(0)
	v_lshrrev_b32_sdwa v40, s61, v39 dst_sel:DWORD dst_unused:UNUSED_PAD src0_sel:DWORD src1_sel:BYTE_0
	v_and_b32_e32 v40, s62, v40
	v_lshlrev_b32_e32 v40, 2, v40
	ds_read_b32 v40, v40
	s_waitcnt lgkmcnt(0)
	v_add_nc_u32_e32 v40, v40, v60
	global_store_byte v40, v39, s[48:49]
	s_or_b32 exec_lo, exec_lo, s40
	v_cmp_lt_u32_e32 vcc_lo, v61, v3
	s_and_saveexec_b32 s40, vcc_lo
	s_cbranch_execnz .LBB222_519
	s_branch .LBB222_520
.LBB222_591:                            ;   in Loop: Header=BB222_418 Depth=2
	global_load_dwordx2 v[37:38], v[39:40], off
	s_or_b32 exec_lo, exec_lo, s40
	s_mov_b32 s50, exec_lo
	v_cmpx_lt_u32_e64 v96, v3
	s_cbranch_execz .LBB222_522
.LBB222_592:                            ;   in Loop: Header=BB222_418 Depth=2
	global_load_dwordx2 v[35:36], v[39:40], off offset:256
	s_or_b32 exec_lo, exec_lo, s50
	s_mov_b32 s50, exec_lo
	v_cmpx_lt_u32_e64 v97, v3
	s_cbranch_execz .LBB222_523
.LBB222_593:                            ;   in Loop: Header=BB222_418 Depth=2
	global_load_dwordx2 v[33:34], v[39:40], off offset:512
	s_or_b32 exec_lo, exec_lo, s50
	s_mov_b32 s50, exec_lo
	v_cmpx_lt_u32_e64 v98, v3
	s_cbranch_execz .LBB222_524
.LBB222_594:                            ;   in Loop: Header=BB222_418 Depth=2
	global_load_dwordx2 v[31:32], v[39:40], off offset:768
	s_or_b32 exec_lo, exec_lo, s50
	s_mov_b32 s50, exec_lo
	v_cmpx_lt_u32_e64 v99, v3
	s_cbranch_execz .LBB222_525
.LBB222_595:                            ;   in Loop: Header=BB222_418 Depth=2
	global_load_dwordx2 v[29:30], v[39:40], off offset:1024
	s_or_b32 exec_lo, exec_lo, s50
	s_mov_b32 s50, exec_lo
	v_cmpx_lt_u32_e64 v100, v3
	s_cbranch_execz .LBB222_526
.LBB222_596:                            ;   in Loop: Header=BB222_418 Depth=2
	global_load_dwordx2 v[25:26], v[39:40], off offset:1280
	s_or_b32 exec_lo, exec_lo, s50
	s_mov_b32 s50, exec_lo
	v_cmpx_lt_u32_e64 v101, v3
	s_cbranch_execz .LBB222_527
.LBB222_597:                            ;   in Loop: Header=BB222_418 Depth=2
	global_load_dwordx2 v[21:22], v[39:40], off offset:1536
	s_or_b32 exec_lo, exec_lo, s50
	s_mov_b32 s50, exec_lo
	v_cmpx_lt_u32_e64 v102, v3
	s_cbranch_execz .LBB222_528
.LBB222_598:                            ;   in Loop: Header=BB222_418 Depth=2
	global_load_dwordx2 v[17:18], v[39:40], off offset:1792
	s_or_b32 exec_lo, exec_lo, s50
	s_mov_b32 s50, exec_lo
	v_cmpx_lt_u32_e64 v103, v3
	s_cbranch_execz .LBB222_529
.LBB222_599:                            ;   in Loop: Header=BB222_418 Depth=2
	v_add_co_u32 v27, s40, 0x800, v39
	v_add_co_ci_u32_e64 v28, null, 0, v40, s40
	global_load_dwordx2 v[27:28], v[27:28], off
	s_or_b32 exec_lo, exec_lo, s50
	s_mov_b32 s50, exec_lo
	v_cmpx_lt_u32_e64 v104, v3
	s_cbranch_execz .LBB222_530
.LBB222_600:                            ;   in Loop: Header=BB222_418 Depth=2
	v_add_co_u32 v23, s40, 0x800, v39
	v_add_co_ci_u32_e64 v24, null, 0, v40, s40
	global_load_dwordx2 v[23:24], v[23:24], off offset:256
	s_or_b32 exec_lo, exec_lo, s50
	s_mov_b32 s50, exec_lo
	v_cmpx_lt_u32_e64 v105, v3
	s_cbranch_execz .LBB222_531
.LBB222_601:                            ;   in Loop: Header=BB222_418 Depth=2
	v_add_co_u32 v19, s40, 0x800, v39
	v_add_co_ci_u32_e64 v20, null, 0, v40, s40
	global_load_dwordx2 v[19:20], v[19:20], off offset:512
	s_or_b32 exec_lo, exec_lo, s50
	s_mov_b32 s50, exec_lo
	v_cmpx_lt_u32_e64 v106, v3
	s_cbranch_execz .LBB222_532
.LBB222_602:                            ;   in Loop: Header=BB222_418 Depth=2
	v_add_co_u32 v15, s40, 0x800, v39
	v_add_co_ci_u32_e64 v16, null, 0, v40, s40
	global_load_dwordx2 v[15:16], v[15:16], off offset:768
	s_or_b32 exec_lo, exec_lo, s50
	s_mov_b32 s50, exec_lo
	v_cmpx_lt_u32_e64 v107, v3
	s_cbranch_execz .LBB222_533
.LBB222_603:                            ;   in Loop: Header=BB222_418 Depth=2
	v_add_co_u32 v13, s40, 0x800, v39
	v_add_co_ci_u32_e64 v14, null, 0, v40, s40
	global_load_dwordx2 v[13:14], v[13:14], off offset:1024
	s_or_b32 exec_lo, exec_lo, s50
	s_mov_b32 s50, exec_lo
	v_cmpx_lt_u32_e64 v108, v3
	s_cbranch_execz .LBB222_534
.LBB222_604:                            ;   in Loop: Header=BB222_418 Depth=2
	v_add_co_u32 v11, s40, 0x800, v39
	v_add_co_ci_u32_e64 v12, null, 0, v40, s40
	global_load_dwordx2 v[11:12], v[11:12], off offset:1280
	s_or_b32 exec_lo, exec_lo, s50
	s_mov_b32 s50, exec_lo
	v_cmpx_lt_u32_e64 v109, v3
	s_cbranch_execz .LBB222_535
.LBB222_605:                            ;   in Loop: Header=BB222_418 Depth=2
	v_add_co_u32 v9, s40, 0x800, v39
	v_add_co_ci_u32_e64 v10, null, 0, v40, s40
	global_load_dwordx2 v[9:10], v[9:10], off offset:1536
	s_or_b32 exec_lo, exec_lo, s50
	s_mov_b32 s50, exec_lo
	v_cmpx_lt_u32_e64 v110, v3
	s_cbranch_execz .LBB222_536
.LBB222_606:                            ;   in Loop: Header=BB222_418 Depth=2
	v_add_co_u32 v7, s40, 0x800, v39
	v_add_co_ci_u32_e64 v8, null, 0, v40, s40
	global_load_dwordx2 v[7:8], v[7:8], off offset:1792
	s_or_b32 exec_lo, exec_lo, s50
	s_mov_b32 s50, exec_lo
	v_cmpx_lt_u32_e64 v111, v3
	s_cbranch_execz .LBB222_537
.LBB222_607:                            ;   in Loop: Header=BB222_418 Depth=2
	v_add_co_u32 v5, s40, 0x1000, v39
	v_add_co_ci_u32_e64 v6, null, 0, v40, s40
	global_load_dwordx2 v[5:6], v[5:6], off
	s_or_b32 exec_lo, exec_lo, s50
	s_and_saveexec_b32 s40, s39
	s_cbranch_execz .LBB222_538
.LBB222_608:                            ;   in Loop: Header=BB222_418 Depth=2
	ds_read_u8 v3, v0 offset:512
	s_waitcnt lgkmcnt(0)
	v_lshrrev_b32_e32 v3, s61, v3
	v_and_b32_e32 v131, s62, v3
	s_or_b32 exec_lo, exec_lo, s40
	s_and_saveexec_b32 s40, s38
	s_cbranch_execz .LBB222_539
.LBB222_609:                            ;   in Loop: Header=BB222_418 Depth=2
	ds_read_u8 v3, v0 offset:768
	s_waitcnt lgkmcnt(0)
	v_lshrrev_b32_e32 v3, s61, v3
	v_and_b32_e32 v130, s62, v3
	s_or_b32 exec_lo, exec_lo, s40
	s_and_saveexec_b32 s40, s37
	s_cbranch_execz .LBB222_540
.LBB222_610:                            ;   in Loop: Header=BB222_418 Depth=2
	ds_read_u8 v3, v0 offset:1024
	s_waitcnt lgkmcnt(0)
	v_lshrrev_b32_e32 v3, s61, v3
	v_and_b32_e32 v129, s62, v3
	s_or_b32 exec_lo, exec_lo, s40
	s_and_saveexec_b32 s40, s36
	s_cbranch_execz .LBB222_541
.LBB222_611:                            ;   in Loop: Header=BB222_418 Depth=2
	ds_read_u8 v3, v0 offset:1280
	s_waitcnt lgkmcnt(0)
	v_lshrrev_b32_e32 v3, s61, v3
	v_and_b32_e32 v128, s62, v3
	s_or_b32 exec_lo, exec_lo, s40
	s_and_saveexec_b32 s40, s35
	s_cbranch_execz .LBB222_542
.LBB222_612:                            ;   in Loop: Header=BB222_418 Depth=2
	ds_read_u8 v3, v0 offset:1536
	s_waitcnt lgkmcnt(0)
	v_lshrrev_b32_e32 v3, s61, v3
	v_and_b32_e32 v127, s62, v3
	s_or_b32 exec_lo, exec_lo, s40
	s_and_saveexec_b32 s40, s34
	s_cbranch_execz .LBB222_543
.LBB222_613:                            ;   in Loop: Header=BB222_418 Depth=2
	ds_read_u8 v3, v0 offset:1792
	s_waitcnt lgkmcnt(0)
	v_lshrrev_b32_e32 v3, s61, v3
	v_and_b32_e32 v126, s62, v3
	s_or_b32 exec_lo, exec_lo, s40
	s_and_saveexec_b32 s40, s33
	s_cbranch_execz .LBB222_544
.LBB222_614:                            ;   in Loop: Header=BB222_418 Depth=2
	ds_read_u8 v3, v0 offset:2048
	s_waitcnt lgkmcnt(0)
	v_lshrrev_b32_e32 v3, s61, v3
	v_and_b32_e32 v125, s62, v3
	s_or_b32 exec_lo, exec_lo, s40
	s_and_saveexec_b32 s40, s31
	s_cbranch_execz .LBB222_545
.LBB222_615:                            ;   in Loop: Header=BB222_418 Depth=2
	ds_read_u8 v3, v0 offset:2304
	s_waitcnt lgkmcnt(0)
	v_lshrrev_b32_e32 v3, s61, v3
	v_and_b32_e32 v124, s62, v3
	s_or_b32 exec_lo, exec_lo, s40
	s_and_saveexec_b32 s40, s30
	s_cbranch_execz .LBB222_546
.LBB222_616:                            ;   in Loop: Header=BB222_418 Depth=2
	ds_read_u8 v3, v0 offset:2560
	s_waitcnt lgkmcnt(0)
	v_lshrrev_b32_e32 v3, s61, v3
	v_and_b32_e32 v123, s62, v3
	s_or_b32 exec_lo, exec_lo, s40
	s_and_saveexec_b32 s40, s29
	s_cbranch_execz .LBB222_547
.LBB222_617:                            ;   in Loop: Header=BB222_418 Depth=2
	ds_read_u8 v3, v0 offset:2816
	s_waitcnt lgkmcnt(0)
	v_lshrrev_b32_e32 v3, s61, v3
	v_and_b32_e32 v122, s62, v3
	s_or_b32 exec_lo, exec_lo, s40
	s_and_saveexec_b32 s40, s28
	s_cbranch_execz .LBB222_548
.LBB222_618:                            ;   in Loop: Header=BB222_418 Depth=2
	ds_read_u8 v3, v0 offset:3072
	s_waitcnt lgkmcnt(0)
	v_lshrrev_b32_e32 v3, s61, v3
	v_and_b32_e32 v121, s62, v3
	s_or_b32 exec_lo, exec_lo, s40
	s_and_saveexec_b32 s40, s27
	s_cbranch_execz .LBB222_549
.LBB222_619:                            ;   in Loop: Header=BB222_418 Depth=2
	ds_read_u8 v3, v0 offset:3328
	s_waitcnt lgkmcnt(0)
	v_lshrrev_b32_e32 v3, s61, v3
	v_and_b32_e32 v120, s62, v3
	s_or_b32 exec_lo, exec_lo, s40
	s_and_saveexec_b32 s40, s26
	s_cbranch_execz .LBB222_550
.LBB222_620:                            ;   in Loop: Header=BB222_418 Depth=2
	ds_read_u8 v3, v0 offset:3584
	s_waitcnt lgkmcnt(0)
	v_lshrrev_b32_e32 v3, s61, v3
	v_and_b32_e32 v119, s62, v3
	s_or_b32 exec_lo, exec_lo, s40
	s_and_saveexec_b32 s40, s25
	s_cbranch_execz .LBB222_551
.LBB222_621:                            ;   in Loop: Header=BB222_418 Depth=2
	ds_read_u8 v3, v0 offset:3840
	s_waitcnt lgkmcnt(0)
	v_lshrrev_b32_e32 v3, s61, v3
	v_and_b32_e32 v118, s62, v3
	s_or_b32 exec_lo, exec_lo, s40
	s_and_saveexec_b32 s40, s24
	s_cbranch_execz .LBB222_552
.LBB222_622:                            ;   in Loop: Header=BB222_418 Depth=2
	ds_read_u8 v3, v0 offset:4096
	s_waitcnt lgkmcnt(0)
	v_lshrrev_b32_e32 v3, s61, v3
	v_and_b32_e32 v117, s62, v3
	s_or_b32 exec_lo, exec_lo, s40
	s_and_saveexec_b32 s40, s23
	s_cbranch_execz .LBB222_553
.LBB222_623:                            ;   in Loop: Header=BB222_418 Depth=2
	ds_read_u8 v3, v0 offset:4352
	s_waitcnt lgkmcnt(0)
	v_lshrrev_b32_e32 v3, s61, v3
	v_and_b32_e32 v116, s62, v3
	s_or_b32 exec_lo, exec_lo, s40
	s_and_saveexec_b32 s40, vcc_lo
	s_cbranch_execnz .LBB222_554
	s_branch .LBB222_555
.LBB222_624:                            ;   in Loop: Header=BB222_418 Depth=2
	v_lshlrev_b32_e32 v3, 2, v131
	v_add_nc_u32_e32 v39, v0, v75
	ds_read_b32 v3, v3
	ds_read_b64 v[39:40], v39 offset:512
	s_waitcnt lgkmcnt(1)
	v_add_nc_u32_e32 v3, v3, v0
	v_lshlrev_b64 v[41:42], 3, v[3:4]
	v_add_co_u32 v41, s39, s54, v41
	v_add_co_ci_u32_e64 v42, null, s55, v42, s39
	s_waitcnt lgkmcnt(0)
	global_store_dwordx2 v[41:42], v[39:40], off
	s_or_b32 exec_lo, exec_lo, s40
	s_and_saveexec_b32 s39, s38
	s_cbranch_execz .LBB222_557
.LBB222_625:                            ;   in Loop: Header=BB222_418 Depth=2
	v_lshlrev_b32_e32 v3, 2, v130
	v_add_nc_u32_e32 v39, v0, v75
	ds_read_b32 v3, v3
	ds_read_b64 v[39:40], v39 offset:2560
	s_waitcnt lgkmcnt(1)
	v_add_nc_u32_e32 v3, v3, v44
	v_lshlrev_b64 v[41:42], 3, v[3:4]
	v_add_co_u32 v41, s38, s54, v41
	v_add_co_ci_u32_e64 v42, null, s55, v42, s38
	s_waitcnt lgkmcnt(0)
	global_store_dwordx2 v[41:42], v[39:40], off
	s_or_b32 exec_lo, exec_lo, s39
	s_and_saveexec_b32 s38, s37
	s_cbranch_execz .LBB222_558
.LBB222_626:                            ;   in Loop: Header=BB222_418 Depth=2
	v_lshlrev_b32_e32 v3, 2, v129
	v_add_nc_u32_e32 v39, v0, v75
	ds_read_b32 v3, v3
	ds_read_b64 v[39:40], v39 offset:4608
	s_waitcnt lgkmcnt(1)
	v_add_nc_u32_e32 v3, v3, v47
	v_lshlrev_b64 v[41:42], 3, v[3:4]
	v_add_co_u32 v41, s37, s54, v41
	v_add_co_ci_u32_e64 v42, null, s55, v42, s37
	s_waitcnt lgkmcnt(0)
	global_store_dwordx2 v[41:42], v[39:40], off
	s_or_b32 exec_lo, exec_lo, s38
	s_and_saveexec_b32 s37, s36
	s_cbranch_execz .LBB222_559
.LBB222_627:                            ;   in Loop: Header=BB222_418 Depth=2
	v_lshlrev_b32_e32 v3, 2, v128
	v_add_nc_u32_e32 v39, v0, v75
	ds_read_b32 v3, v3
	ds_read_b64 v[39:40], v39 offset:6656
	s_waitcnt lgkmcnt(1)
	v_add_nc_u32_e32 v3, v3, v48
	v_lshlrev_b64 v[41:42], 3, v[3:4]
	v_add_co_u32 v41, s36, s54, v41
	v_add_co_ci_u32_e64 v42, null, s55, v42, s36
	s_waitcnt lgkmcnt(0)
	global_store_dwordx2 v[41:42], v[39:40], off
	s_or_b32 exec_lo, exec_lo, s37
	s_and_saveexec_b32 s36, s35
	s_cbranch_execz .LBB222_560
.LBB222_628:                            ;   in Loop: Header=BB222_418 Depth=2
	v_lshlrev_b32_e32 v3, 2, v127
	v_add_nc_u32_e32 v39, v0, v75
	ds_read_b32 v3, v3
	ds_read_b64 v[39:40], v39 offset:8704
	s_waitcnt lgkmcnt(1)
	v_add_nc_u32_e32 v3, v3, v49
	v_lshlrev_b64 v[41:42], 3, v[3:4]
	v_add_co_u32 v41, s35, s54, v41
	v_add_co_ci_u32_e64 v42, null, s55, v42, s35
	s_waitcnt lgkmcnt(0)
	global_store_dwordx2 v[41:42], v[39:40], off
	s_or_b32 exec_lo, exec_lo, s36
	s_and_saveexec_b32 s35, s34
	s_cbranch_execz .LBB222_561
.LBB222_629:                            ;   in Loop: Header=BB222_418 Depth=2
	v_lshlrev_b32_e32 v3, 2, v126
	v_add_nc_u32_e32 v39, v0, v75
	ds_read_b32 v3, v3
	ds_read_b64 v[39:40], v39 offset:10752
	s_waitcnt lgkmcnt(1)
	v_add_nc_u32_e32 v3, v3, v50
	v_lshlrev_b64 v[41:42], 3, v[3:4]
	v_add_co_u32 v41, s34, s54, v41
	v_add_co_ci_u32_e64 v42, null, s55, v42, s34
	s_waitcnt lgkmcnt(0)
	global_store_dwordx2 v[41:42], v[39:40], off
	s_or_b32 exec_lo, exec_lo, s35
	s_and_saveexec_b32 s34, s33
	s_cbranch_execz .LBB222_562
.LBB222_630:                            ;   in Loop: Header=BB222_418 Depth=2
	v_lshlrev_b32_e32 v3, 2, v125
	v_add_nc_u32_e32 v39, v0, v75
	ds_read_b32 v3, v3
	ds_read_b64 v[39:40], v39 offset:12800
	s_waitcnt lgkmcnt(1)
	v_add_nc_u32_e32 v3, v3, v51
	v_lshlrev_b64 v[41:42], 3, v[3:4]
	v_add_co_u32 v41, s33, s54, v41
	v_add_co_ci_u32_e64 v42, null, s55, v42, s33
	s_waitcnt lgkmcnt(0)
	global_store_dwordx2 v[41:42], v[39:40], off
	s_or_b32 exec_lo, exec_lo, s34
	s_and_saveexec_b32 s33, s31
	s_cbranch_execz .LBB222_563
.LBB222_631:                            ;   in Loop: Header=BB222_418 Depth=2
	v_lshlrev_b32_e32 v3, 2, v124
	v_add_nc_u32_e32 v39, v0, v75
	ds_read_b32 v3, v3
	ds_read_b64 v[39:40], v39 offset:14848
	s_waitcnt lgkmcnt(1)
	v_add_nc_u32_e32 v3, v3, v52
	v_lshlrev_b64 v[41:42], 3, v[3:4]
	v_add_co_u32 v41, s31, s54, v41
	v_add_co_ci_u32_e64 v42, null, s55, v42, s31
	s_waitcnt lgkmcnt(0)
	global_store_dwordx2 v[41:42], v[39:40], off
	s_or_b32 exec_lo, exec_lo, s33
	s_and_saveexec_b32 s31, s30
	s_cbranch_execz .LBB222_564
.LBB222_632:                            ;   in Loop: Header=BB222_418 Depth=2
	v_lshlrev_b32_e32 v3, 2, v123
	v_add_nc_u32_e32 v39, v0, v75
	ds_read_b32 v3, v3
	ds_read_b64 v[39:40], v39 offset:16896
	s_waitcnt lgkmcnt(1)
	v_add_nc_u32_e32 v3, v3, v53
	v_lshlrev_b64 v[41:42], 3, v[3:4]
	v_add_co_u32 v41, s30, s54, v41
	v_add_co_ci_u32_e64 v42, null, s55, v42, s30
	s_waitcnt lgkmcnt(0)
	global_store_dwordx2 v[41:42], v[39:40], off
	s_or_b32 exec_lo, exec_lo, s31
	s_and_saveexec_b32 s30, s29
	s_cbranch_execz .LBB222_565
.LBB222_633:                            ;   in Loop: Header=BB222_418 Depth=2
	v_lshlrev_b32_e32 v3, 2, v122
	v_add_nc_u32_e32 v39, v0, v75
	ds_read_b32 v3, v3
	ds_read_b64 v[39:40], v39 offset:18944
	s_waitcnt lgkmcnt(1)
	v_add_nc_u32_e32 v3, v3, v54
	v_lshlrev_b64 v[41:42], 3, v[3:4]
	v_add_co_u32 v41, s29, s54, v41
	v_add_co_ci_u32_e64 v42, null, s55, v42, s29
	s_waitcnt lgkmcnt(0)
	global_store_dwordx2 v[41:42], v[39:40], off
	s_or_b32 exec_lo, exec_lo, s30
	s_and_saveexec_b32 s29, s28
	s_cbranch_execz .LBB222_566
.LBB222_634:                            ;   in Loop: Header=BB222_418 Depth=2
	v_lshlrev_b32_e32 v3, 2, v121
	v_add_nc_u32_e32 v39, v0, v75
	ds_read_b32 v3, v3
	ds_read_b64 v[39:40], v39 offset:20992
	s_waitcnt lgkmcnt(1)
	v_add_nc_u32_e32 v3, v3, v55
	v_lshlrev_b64 v[41:42], 3, v[3:4]
	v_add_co_u32 v41, s28, s54, v41
	v_add_co_ci_u32_e64 v42, null, s55, v42, s28
	s_waitcnt lgkmcnt(0)
	global_store_dwordx2 v[41:42], v[39:40], off
	s_or_b32 exec_lo, exec_lo, s29
	s_and_saveexec_b32 s28, s27
	s_cbranch_execz .LBB222_567
.LBB222_635:                            ;   in Loop: Header=BB222_418 Depth=2
	v_lshlrev_b32_e32 v3, 2, v120
	v_add_nc_u32_e32 v39, v0, v75
	ds_read_b32 v3, v3
	ds_read_b64 v[39:40], v39 offset:23040
	s_waitcnt lgkmcnt(1)
	v_add_nc_u32_e32 v3, v3, v56
	v_lshlrev_b64 v[41:42], 3, v[3:4]
	v_add_co_u32 v41, s27, s54, v41
	v_add_co_ci_u32_e64 v42, null, s55, v42, s27
	s_waitcnt lgkmcnt(0)
	global_store_dwordx2 v[41:42], v[39:40], off
	s_or_b32 exec_lo, exec_lo, s28
	s_and_saveexec_b32 s27, s26
	s_cbranch_execz .LBB222_568
.LBB222_636:                            ;   in Loop: Header=BB222_418 Depth=2
	v_lshlrev_b32_e32 v3, 2, v119
	v_add_nc_u32_e32 v39, v0, v75
	ds_read_b32 v3, v3
	ds_read_b64 v[39:40], v39 offset:25088
	s_waitcnt lgkmcnt(1)
	v_add_nc_u32_e32 v3, v3, v57
	v_lshlrev_b64 v[41:42], 3, v[3:4]
	v_add_co_u32 v41, s26, s54, v41
	v_add_co_ci_u32_e64 v42, null, s55, v42, s26
	s_waitcnt lgkmcnt(0)
	global_store_dwordx2 v[41:42], v[39:40], off
	s_or_b32 exec_lo, exec_lo, s27
	s_and_saveexec_b32 s26, s25
	s_cbranch_execz .LBB222_569
.LBB222_637:                            ;   in Loop: Header=BB222_418 Depth=2
	v_lshlrev_b32_e32 v3, 2, v118
	v_add_nc_u32_e32 v39, v0, v75
	ds_read_b32 v3, v3
	ds_read_b64 v[39:40], v39 offset:27136
	s_waitcnt lgkmcnt(1)
	v_add_nc_u32_e32 v3, v3, v58
	v_lshlrev_b64 v[41:42], 3, v[3:4]
	v_add_co_u32 v41, s25, s54, v41
	v_add_co_ci_u32_e64 v42, null, s55, v42, s25
	s_waitcnt lgkmcnt(0)
	global_store_dwordx2 v[41:42], v[39:40], off
	s_or_b32 exec_lo, exec_lo, s26
	s_and_saveexec_b32 s25, s24
	s_cbranch_execz .LBB222_570
.LBB222_638:                            ;   in Loop: Header=BB222_418 Depth=2
	v_lshlrev_b32_e32 v3, 2, v117
	v_add_nc_u32_e32 v39, v0, v75
	ds_read_b32 v3, v3
	ds_read_b64 v[39:40], v39 offset:29184
	s_waitcnt lgkmcnt(1)
	v_add_nc_u32_e32 v3, v3, v59
	v_lshlrev_b64 v[41:42], 3, v[3:4]
	v_add_co_u32 v41, s24, s54, v41
	v_add_co_ci_u32_e64 v42, null, s55, v42, s24
	s_waitcnt lgkmcnt(0)
	global_store_dwordx2 v[41:42], v[39:40], off
	s_or_b32 exec_lo, exec_lo, s25
	s_and_saveexec_b32 s24, s23
	s_cbranch_execz .LBB222_571
.LBB222_639:                            ;   in Loop: Header=BB222_418 Depth=2
	v_lshlrev_b32_e32 v3, 2, v116
	v_add_nc_u32_e32 v39, v0, v75
	ds_read_b32 v3, v3
	ds_read_b64 v[39:40], v39 offset:31232
	s_waitcnt lgkmcnt(1)
	v_add_nc_u32_e32 v3, v3, v60
	v_lshlrev_b64 v[41:42], 3, v[3:4]
	v_add_co_u32 v41, s23, s54, v41
	v_add_co_ci_u32_e64 v42, null, s55, v42, s23
	s_waitcnt lgkmcnt(0)
	global_store_dwordx2 v[41:42], v[39:40], off
	s_or_b32 exec_lo, exec_lo, s24
	s_and_saveexec_b32 s23, vcc_lo
	s_cbranch_execnz .LBB222_572
	s_branch .LBB222_573
.LBB222_640:                            ;   in Loop: Header=BB222_20 Depth=1
	s_waitcnt lgkmcnt(0)
	s_barrier
.LBB222_641:                            ;   in Loop: Header=BB222_20 Depth=1
	s_mov_b32 s5, 0
.LBB222_642:                            ;   in Loop: Header=BB222_20 Depth=1
	s_andn2_b32 vcc_lo, exec_lo, s5
	s_cbranch_vccnz .LBB222_19
; %bb.643:                              ;   in Loop: Header=BB222_20 Depth=1
	s_and_b32 vcc_lo, exec_lo, s43
	s_mov_b32 s5, -1
	s_cbranch_vccz .LBB222_953
; %bb.644:                              ;   in Loop: Header=BB222_20 Depth=1
	v_mov_b32_e32 v17, 0
	v_mov_b32_e32 v20, 0
	;; [unrolled: 1-line block ×17, first 2 shown]
	s_mov_b32 s5, s60
	s_mov_b32 s17, s58
	s_barrier
	buffer_gl0_inv
	s_branch .LBB222_646
.LBB222_645:                            ;   in Loop: Header=BB222_646 Depth=2
	s_or_b32 exec_lo, exec_lo, s16
	s_addk_i32 s5, 0xef00
	s_cmp_ge_u32 s15, s59
	s_mov_b32 s17, s15
	s_cbranch_scc1 .LBB222_718
.LBB222_646:                            ;   Parent Loop BB222_20 Depth=1
                                        ; =>  This Inner Loop Header: Depth=2
	s_add_i32 s15, s17, 0x1100
	s_mov_b32 s16, -1
	s_cmp_gt_u32 s15, s59
                                        ; implicit-def: $vgpr21
                                        ; implicit-def: $vgpr22
                                        ; implicit-def: $vgpr23
                                        ; implicit-def: $vgpr24
                                        ; implicit-def: $vgpr25
                                        ; implicit-def: $vgpr26
                                        ; implicit-def: $vgpr27
                                        ; implicit-def: $vgpr28
                                        ; implicit-def: $vgpr29
                                        ; implicit-def: $vgpr30
                                        ; implicit-def: $vgpr31
                                        ; implicit-def: $vgpr32
                                        ; implicit-def: $vgpr33
                                        ; implicit-def: $vgpr34
                                        ; implicit-def: $vgpr35
                                        ; implicit-def: $vgpr36
                                        ; implicit-def: $vgpr37
	s_cbranch_scc1 .LBB222_648
; %bb.647:                              ;   in Loop: Header=BB222_646 Depth=2
	v_add_co_u32 v38, vcc_lo, v82, s17
	v_add_co_ci_u32_e64 v39, null, 0, v83, vcc_lo
	s_mov_b32 s16, 0
	v_add_co_u32 v21, vcc_lo, 0x800, v38
	v_add_co_ci_u32_e64 v22, null, 0, v39, vcc_lo
	v_add_co_u32 v23, vcc_lo, 0x1000, v38
	v_add_co_ci_u32_e64 v24, null, 0, v39, vcc_lo
	s_clause 0x10
	global_load_ubyte v36, v[21:22], off offset:1792
	global_load_ubyte v37, v[23:24], off
	global_load_ubyte v35, v[21:22], off offset:1536
	global_load_ubyte v34, v[21:22], off offset:1280
	global_load_ubyte v33, v[21:22], off offset:1024
	global_load_ubyte v32, v[21:22], off offset:768
	global_load_ubyte v31, v[21:22], off offset:512
	global_load_ubyte v30, v[21:22], off offset:256
	global_load_ubyte v29, v[21:22], off
	global_load_ubyte v28, v[38:39], off offset:1792
	global_load_ubyte v27, v[38:39], off offset:1536
	;; [unrolled: 1-line block ×7, first 2 shown]
	global_load_ubyte v21, v[38:39], off
.LBB222_648:                            ;   in Loop: Header=BB222_646 Depth=2
	s_andn2_b32 vcc_lo, exec_lo, s16
	s_movk_i32 s16, 0x1100
	s_cbranch_vccnz .LBB222_668
; %bb.649:                              ;   in Loop: Header=BB222_646 Depth=2
	s_add_u32 s16, s44, s17
	s_addc_u32 s17, s45, 0
	s_mov_b32 s18, exec_lo
	v_cmpx_gt_u32_e64 s5, v0
	s_cbranch_execnz .LBB222_702
; %bb.650:                              ;   in Loop: Header=BB222_646 Depth=2
	s_or_b32 exec_lo, exec_lo, s18
	s_mov_b32 s18, exec_lo
	v_cmpx_gt_u32_e64 s5, v44
	s_cbranch_execnz .LBB222_703
.LBB222_651:                            ;   in Loop: Header=BB222_646 Depth=2
	s_or_b32 exec_lo, exec_lo, s18
	s_mov_b32 s18, exec_lo
	v_cmpx_gt_u32_e64 s5, v47
	s_cbranch_execnz .LBB222_704
.LBB222_652:                            ;   in Loop: Header=BB222_646 Depth=2
	s_or_b32 exec_lo, exec_lo, s18
	s_mov_b32 s18, exec_lo
	v_cmpx_gt_u32_e64 s5, v48
	s_cbranch_execnz .LBB222_705
.LBB222_653:                            ;   in Loop: Header=BB222_646 Depth=2
	s_or_b32 exec_lo, exec_lo, s18
	s_mov_b32 s18, exec_lo
	v_cmpx_gt_u32_e64 s5, v49
	s_cbranch_execnz .LBB222_706
.LBB222_654:                            ;   in Loop: Header=BB222_646 Depth=2
	s_or_b32 exec_lo, exec_lo, s18
	s_mov_b32 s18, exec_lo
	v_cmpx_gt_u32_e64 s5, v50
	s_cbranch_execnz .LBB222_707
.LBB222_655:                            ;   in Loop: Header=BB222_646 Depth=2
	s_or_b32 exec_lo, exec_lo, s18
	s_mov_b32 s18, exec_lo
	v_cmpx_gt_u32_e64 s5, v51
	s_cbranch_execnz .LBB222_708
.LBB222_656:                            ;   in Loop: Header=BB222_646 Depth=2
	s_or_b32 exec_lo, exec_lo, s18
	s_mov_b32 s18, exec_lo
	v_cmpx_gt_u32_e64 s5, v52
	s_cbranch_execnz .LBB222_709
.LBB222_657:                            ;   in Loop: Header=BB222_646 Depth=2
	s_or_b32 exec_lo, exec_lo, s18
	s_mov_b32 s18, exec_lo
	v_cmpx_gt_u32_e64 s5, v53
	s_cbranch_execnz .LBB222_710
.LBB222_658:                            ;   in Loop: Header=BB222_646 Depth=2
	s_or_b32 exec_lo, exec_lo, s18
	s_mov_b32 s18, exec_lo
	v_cmpx_gt_u32_e64 s5, v54
	s_cbranch_execnz .LBB222_711
.LBB222_659:                            ;   in Loop: Header=BB222_646 Depth=2
	s_or_b32 exec_lo, exec_lo, s18
	s_mov_b32 s18, exec_lo
	v_cmpx_gt_u32_e64 s5, v55
	s_cbranch_execnz .LBB222_712
.LBB222_660:                            ;   in Loop: Header=BB222_646 Depth=2
	s_or_b32 exec_lo, exec_lo, s18
	s_mov_b32 s18, exec_lo
	v_cmpx_gt_u32_e64 s5, v56
	s_cbranch_execnz .LBB222_713
.LBB222_661:                            ;   in Loop: Header=BB222_646 Depth=2
	s_or_b32 exec_lo, exec_lo, s18
	s_mov_b32 s18, exec_lo
	v_cmpx_gt_u32_e64 s5, v57
	s_cbranch_execnz .LBB222_714
.LBB222_662:                            ;   in Loop: Header=BB222_646 Depth=2
	s_or_b32 exec_lo, exec_lo, s18
	s_mov_b32 s18, exec_lo
	v_cmpx_gt_u32_e64 s5, v58
	s_cbranch_execnz .LBB222_715
.LBB222_663:                            ;   in Loop: Header=BB222_646 Depth=2
	s_or_b32 exec_lo, exec_lo, s18
	s_mov_b32 s18, exec_lo
	v_cmpx_gt_u32_e64 s5, v59
	s_cbranch_execnz .LBB222_716
.LBB222_664:                            ;   in Loop: Header=BB222_646 Depth=2
	s_or_b32 exec_lo, exec_lo, s18
	s_mov_b32 s18, exec_lo
	v_cmpx_gt_u32_e64 s5, v60
	s_cbranch_execnz .LBB222_717
.LBB222_665:                            ;   in Loop: Header=BB222_646 Depth=2
	s_or_b32 exec_lo, exec_lo, s18
	s_mov_b32 s18, exec_lo
	v_cmpx_gt_u32_e64 s5, v61
	s_cbranch_execz .LBB222_667
.LBB222_666:                            ;   in Loop: Header=BB222_646 Depth=2
	s_waitcnt vmcnt(0)
	v_add_co_u32 v21, s16, s16, v61
	v_add_co_ci_u32_e64 v22, null, s17, 0, s16
	global_load_ubyte v3, v[21:22], off
.LBB222_667:                            ;   in Loop: Header=BB222_646 Depth=2
	s_or_b32 exec_lo, exec_lo, s18
	s_waitcnt vmcnt(0)
	v_mov_b32_e32 v21, v17
	v_mov_b32_e32 v22, v20
	;; [unrolled: 1-line block ×17, first 2 shown]
	s_mov_b32 s16, s5
.LBB222_668:                            ;   in Loop: Header=BB222_646 Depth=2
	s_waitcnt vmcnt(15)
	v_mov_b32_e32 v3, v37
	v_mov_b32_e32 v5, v36
	s_waitcnt vmcnt(14)
	v_mov_b32_e32 v6, v35
	s_waitcnt vmcnt(13)
	;; [unrolled: 2-line block ×15, first 2 shown]
	v_mov_b32_e32 v17, v21
	s_mov_b32 s17, exec_lo
	v_cmpx_gt_u32_e64 s16, v0
	s_cbranch_execnz .LBB222_685
; %bb.669:                              ;   in Loop: Header=BB222_646 Depth=2
	s_or_b32 exec_lo, exec_lo, s17
	s_mov_b32 s17, exec_lo
	v_cmpx_gt_u32_e64 s16, v44
	s_cbranch_execnz .LBB222_686
.LBB222_670:                            ;   in Loop: Header=BB222_646 Depth=2
	s_or_b32 exec_lo, exec_lo, s17
	s_mov_b32 s17, exec_lo
	v_cmpx_gt_u32_e64 s16, v47
	s_cbranch_execnz .LBB222_687
.LBB222_671:                            ;   in Loop: Header=BB222_646 Depth=2
	s_or_b32 exec_lo, exec_lo, s17
	s_mov_b32 s17, exec_lo
	v_cmpx_gt_u32_e64 s16, v48
	s_cbranch_execnz .LBB222_688
.LBB222_672:                            ;   in Loop: Header=BB222_646 Depth=2
	s_or_b32 exec_lo, exec_lo, s17
	s_mov_b32 s17, exec_lo
	v_cmpx_gt_u32_e64 s16, v49
	s_cbranch_execnz .LBB222_689
.LBB222_673:                            ;   in Loop: Header=BB222_646 Depth=2
	s_or_b32 exec_lo, exec_lo, s17
	s_mov_b32 s17, exec_lo
	v_cmpx_gt_u32_e64 s16, v50
	s_cbranch_execnz .LBB222_690
.LBB222_674:                            ;   in Loop: Header=BB222_646 Depth=2
	s_or_b32 exec_lo, exec_lo, s17
	s_mov_b32 s17, exec_lo
	v_cmpx_gt_u32_e64 s16, v51
	s_cbranch_execnz .LBB222_691
.LBB222_675:                            ;   in Loop: Header=BB222_646 Depth=2
	s_or_b32 exec_lo, exec_lo, s17
	s_mov_b32 s17, exec_lo
	v_cmpx_gt_u32_e64 s16, v52
	s_cbranch_execnz .LBB222_692
.LBB222_676:                            ;   in Loop: Header=BB222_646 Depth=2
	s_or_b32 exec_lo, exec_lo, s17
	s_mov_b32 s17, exec_lo
	v_cmpx_gt_u32_e64 s16, v53
	s_cbranch_execnz .LBB222_693
.LBB222_677:                            ;   in Loop: Header=BB222_646 Depth=2
	s_or_b32 exec_lo, exec_lo, s17
	s_mov_b32 s17, exec_lo
	v_cmpx_gt_u32_e64 s16, v54
	s_cbranch_execnz .LBB222_694
.LBB222_678:                            ;   in Loop: Header=BB222_646 Depth=2
	s_or_b32 exec_lo, exec_lo, s17
	s_mov_b32 s17, exec_lo
	v_cmpx_gt_u32_e64 s16, v55
	s_cbranch_execnz .LBB222_695
.LBB222_679:                            ;   in Loop: Header=BB222_646 Depth=2
	s_or_b32 exec_lo, exec_lo, s17
	s_mov_b32 s17, exec_lo
	v_cmpx_gt_u32_e64 s16, v56
	s_cbranch_execnz .LBB222_696
.LBB222_680:                            ;   in Loop: Header=BB222_646 Depth=2
	s_or_b32 exec_lo, exec_lo, s17
	s_mov_b32 s17, exec_lo
	v_cmpx_gt_u32_e64 s16, v57
	s_cbranch_execnz .LBB222_697
.LBB222_681:                            ;   in Loop: Header=BB222_646 Depth=2
	s_or_b32 exec_lo, exec_lo, s17
	s_mov_b32 s17, exec_lo
	v_cmpx_gt_u32_e64 s16, v58
	s_cbranch_execnz .LBB222_698
.LBB222_682:                            ;   in Loop: Header=BB222_646 Depth=2
	s_or_b32 exec_lo, exec_lo, s17
	s_mov_b32 s17, exec_lo
	v_cmpx_gt_u32_e64 s16, v59
	s_cbranch_execnz .LBB222_699
.LBB222_683:                            ;   in Loop: Header=BB222_646 Depth=2
	s_or_b32 exec_lo, exec_lo, s17
	s_mov_b32 s17, exec_lo
	v_cmpx_gt_u32_e64 s16, v60
	s_cbranch_execnz .LBB222_700
.LBB222_684:                            ;   in Loop: Header=BB222_646 Depth=2
	s_or_b32 exec_lo, exec_lo, s17
	v_cmp_gt_u32_e32 vcc_lo, s16, v61
	s_and_saveexec_b32 s16, vcc_lo
	s_cbranch_execz .LBB222_645
	s_branch .LBB222_701
.LBB222_685:                            ;   in Loop: Header=BB222_646 Depth=2
	v_lshrrev_b32_sdwa v21, s41, v17 dst_sel:DWORD dst_unused:UNUSED_PAD src0_sel:DWORD src1_sel:BYTE_0
	v_and_b32_e32 v21, s62, v21
	v_lshl_or_b32 v21, v21, 4, v63
	ds_add_u32 v21, v89
	s_or_b32 exec_lo, exec_lo, s17
	s_mov_b32 s17, exec_lo
	v_cmpx_gt_u32_e64 s16, v44
	s_cbranch_execz .LBB222_670
.LBB222_686:                            ;   in Loop: Header=BB222_646 Depth=2
	v_lshrrev_b32_sdwa v21, s41, v20 dst_sel:DWORD dst_unused:UNUSED_PAD src0_sel:DWORD src1_sel:BYTE_0
	v_and_b32_e32 v21, s62, v21
	v_lshl_or_b32 v21, v21, 4, v63
	ds_add_u32 v21, v89
	s_or_b32 exec_lo, exec_lo, s17
	s_mov_b32 s17, exec_lo
	v_cmpx_gt_u32_e64 s16, v47
	s_cbranch_execz .LBB222_671
.LBB222_687:                            ;   in Loop: Header=BB222_646 Depth=2
	v_lshrrev_b32_sdwa v21, s41, v19 dst_sel:DWORD dst_unused:UNUSED_PAD src0_sel:DWORD src1_sel:BYTE_0
	v_and_b32_e32 v21, s62, v21
	v_lshl_or_b32 v21, v21, 4, v63
	ds_add_u32 v21, v89
	s_or_b32 exec_lo, exec_lo, s17
	s_mov_b32 s17, exec_lo
	v_cmpx_gt_u32_e64 s16, v48
	s_cbranch_execz .LBB222_672
.LBB222_688:                            ;   in Loop: Header=BB222_646 Depth=2
	v_lshrrev_b32_sdwa v21, s41, v18 dst_sel:DWORD dst_unused:UNUSED_PAD src0_sel:DWORD src1_sel:BYTE_0
	v_and_b32_e32 v21, s62, v21
	v_lshl_or_b32 v21, v21, 4, v63
	ds_add_u32 v21, v89
	s_or_b32 exec_lo, exec_lo, s17
	s_mov_b32 s17, exec_lo
	v_cmpx_gt_u32_e64 s16, v49
	s_cbranch_execz .LBB222_673
.LBB222_689:                            ;   in Loop: Header=BB222_646 Depth=2
	v_lshrrev_b32_sdwa v21, s41, v16 dst_sel:DWORD dst_unused:UNUSED_PAD src0_sel:DWORD src1_sel:BYTE_0
	v_and_b32_e32 v21, s62, v21
	v_lshl_or_b32 v21, v21, 4, v63
	ds_add_u32 v21, v89
	s_or_b32 exec_lo, exec_lo, s17
	s_mov_b32 s17, exec_lo
	v_cmpx_gt_u32_e64 s16, v50
	s_cbranch_execz .LBB222_674
.LBB222_690:                            ;   in Loop: Header=BB222_646 Depth=2
	v_lshrrev_b32_sdwa v21, s41, v15 dst_sel:DWORD dst_unused:UNUSED_PAD src0_sel:DWORD src1_sel:BYTE_0
	v_and_b32_e32 v21, s62, v21
	v_lshl_or_b32 v21, v21, 4, v63
	ds_add_u32 v21, v89
	s_or_b32 exec_lo, exec_lo, s17
	s_mov_b32 s17, exec_lo
	v_cmpx_gt_u32_e64 s16, v51
	s_cbranch_execz .LBB222_675
.LBB222_691:                            ;   in Loop: Header=BB222_646 Depth=2
	v_lshrrev_b32_sdwa v21, s41, v14 dst_sel:DWORD dst_unused:UNUSED_PAD src0_sel:DWORD src1_sel:BYTE_0
	v_and_b32_e32 v21, s62, v21
	v_lshl_or_b32 v21, v21, 4, v63
	ds_add_u32 v21, v89
	s_or_b32 exec_lo, exec_lo, s17
	s_mov_b32 s17, exec_lo
	v_cmpx_gt_u32_e64 s16, v52
	s_cbranch_execz .LBB222_676
.LBB222_692:                            ;   in Loop: Header=BB222_646 Depth=2
	v_lshrrev_b32_sdwa v21, s41, v13 dst_sel:DWORD dst_unused:UNUSED_PAD src0_sel:DWORD src1_sel:BYTE_0
	v_and_b32_e32 v21, s62, v21
	v_lshl_or_b32 v21, v21, 4, v63
	ds_add_u32 v21, v89
	s_or_b32 exec_lo, exec_lo, s17
	s_mov_b32 s17, exec_lo
	v_cmpx_gt_u32_e64 s16, v53
	s_cbranch_execz .LBB222_677
.LBB222_693:                            ;   in Loop: Header=BB222_646 Depth=2
	v_lshrrev_b32_sdwa v21, s41, v12 dst_sel:DWORD dst_unused:UNUSED_PAD src0_sel:DWORD src1_sel:BYTE_0
	v_and_b32_e32 v21, s62, v21
	v_lshl_or_b32 v21, v21, 4, v63
	ds_add_u32 v21, v89
	s_or_b32 exec_lo, exec_lo, s17
	s_mov_b32 s17, exec_lo
	v_cmpx_gt_u32_e64 s16, v54
	s_cbranch_execz .LBB222_678
.LBB222_694:                            ;   in Loop: Header=BB222_646 Depth=2
	v_lshrrev_b32_sdwa v21, s41, v11 dst_sel:DWORD dst_unused:UNUSED_PAD src0_sel:DWORD src1_sel:BYTE_0
	v_and_b32_e32 v21, s62, v21
	v_lshl_or_b32 v21, v21, 4, v63
	ds_add_u32 v21, v89
	s_or_b32 exec_lo, exec_lo, s17
	s_mov_b32 s17, exec_lo
	v_cmpx_gt_u32_e64 s16, v55
	s_cbranch_execz .LBB222_679
.LBB222_695:                            ;   in Loop: Header=BB222_646 Depth=2
	v_lshrrev_b32_sdwa v21, s41, v10 dst_sel:DWORD dst_unused:UNUSED_PAD src0_sel:DWORD src1_sel:BYTE_0
	v_and_b32_e32 v21, s62, v21
	v_lshl_or_b32 v21, v21, 4, v63
	ds_add_u32 v21, v89
	s_or_b32 exec_lo, exec_lo, s17
	s_mov_b32 s17, exec_lo
	v_cmpx_gt_u32_e64 s16, v56
	s_cbranch_execz .LBB222_680
.LBB222_696:                            ;   in Loop: Header=BB222_646 Depth=2
	v_lshrrev_b32_sdwa v21, s41, v9 dst_sel:DWORD dst_unused:UNUSED_PAD src0_sel:DWORD src1_sel:BYTE_0
	v_and_b32_e32 v21, s62, v21
	v_lshl_or_b32 v21, v21, 4, v63
	ds_add_u32 v21, v89
	s_or_b32 exec_lo, exec_lo, s17
	s_mov_b32 s17, exec_lo
	v_cmpx_gt_u32_e64 s16, v57
	s_cbranch_execz .LBB222_681
.LBB222_697:                            ;   in Loop: Header=BB222_646 Depth=2
	v_lshrrev_b32_sdwa v21, s41, v8 dst_sel:DWORD dst_unused:UNUSED_PAD src0_sel:DWORD src1_sel:BYTE_0
	v_and_b32_e32 v21, s62, v21
	v_lshl_or_b32 v21, v21, 4, v63
	ds_add_u32 v21, v89
	s_or_b32 exec_lo, exec_lo, s17
	s_mov_b32 s17, exec_lo
	v_cmpx_gt_u32_e64 s16, v58
	s_cbranch_execz .LBB222_682
.LBB222_698:                            ;   in Loop: Header=BB222_646 Depth=2
	v_lshrrev_b32_sdwa v21, s41, v7 dst_sel:DWORD dst_unused:UNUSED_PAD src0_sel:DWORD src1_sel:BYTE_0
	v_and_b32_e32 v21, s62, v21
	v_lshl_or_b32 v21, v21, 4, v63
	ds_add_u32 v21, v89
	s_or_b32 exec_lo, exec_lo, s17
	s_mov_b32 s17, exec_lo
	v_cmpx_gt_u32_e64 s16, v59
	s_cbranch_execz .LBB222_683
.LBB222_699:                            ;   in Loop: Header=BB222_646 Depth=2
	v_lshrrev_b32_sdwa v21, s41, v6 dst_sel:DWORD dst_unused:UNUSED_PAD src0_sel:DWORD src1_sel:BYTE_0
	v_and_b32_e32 v21, s62, v21
	v_lshl_or_b32 v21, v21, 4, v63
	ds_add_u32 v21, v89
	s_or_b32 exec_lo, exec_lo, s17
	s_mov_b32 s17, exec_lo
	v_cmpx_gt_u32_e64 s16, v60
	s_cbranch_execz .LBB222_684
.LBB222_700:                            ;   in Loop: Header=BB222_646 Depth=2
	v_lshrrev_b32_sdwa v21, s41, v5 dst_sel:DWORD dst_unused:UNUSED_PAD src0_sel:DWORD src1_sel:BYTE_0
	v_and_b32_e32 v21, s62, v21
	v_lshl_or_b32 v21, v21, 4, v63
	ds_add_u32 v21, v89
	s_or_b32 exec_lo, exec_lo, s17
	v_cmp_gt_u32_e32 vcc_lo, s16, v61
	s_and_saveexec_b32 s16, vcc_lo
	s_cbranch_execz .LBB222_645
.LBB222_701:                            ;   in Loop: Header=BB222_646 Depth=2
	v_lshrrev_b32_sdwa v21, s41, v3 dst_sel:DWORD dst_unused:UNUSED_PAD src0_sel:DWORD src1_sel:BYTE_0
	v_and_b32_e32 v21, s62, v21
	v_lshl_or_b32 v21, v21, 4, v63
	ds_add_u32 v21, v89
	s_branch .LBB222_645
.LBB222_702:                            ;   in Loop: Header=BB222_646 Depth=2
	s_waitcnt vmcnt(0)
	v_add_co_u32 v21, s19, s16, v0
	v_add_co_ci_u32_e64 v22, null, s17, 0, s19
	global_load_ubyte v17, v[21:22], off
	s_or_b32 exec_lo, exec_lo, s18
	s_mov_b32 s18, exec_lo
	v_cmpx_gt_u32_e64 s5, v44
	s_cbranch_execz .LBB222_651
.LBB222_703:                            ;   in Loop: Header=BB222_646 Depth=2
	v_add_co_u32 v20, s19, s16, v0
	s_waitcnt vmcnt(0)
	v_add_co_ci_u32_e64 v21, null, s17, 0, s19
	global_load_ubyte v20, v[20:21], off offset:256
	s_or_b32 exec_lo, exec_lo, s18
	s_mov_b32 s18, exec_lo
	v_cmpx_gt_u32_e64 s5, v47
	s_cbranch_execz .LBB222_652
.LBB222_704:                            ;   in Loop: Header=BB222_646 Depth=2
	s_waitcnt vmcnt(0)
	v_add_co_u32 v21, s19, s16, v0
	v_add_co_ci_u32_e64 v22, null, s17, 0, s19
	global_load_ubyte v19, v[21:22], off offset:512
	s_or_b32 exec_lo, exec_lo, s18
	s_mov_b32 s18, exec_lo
	v_cmpx_gt_u32_e64 s5, v48
	s_cbranch_execz .LBB222_653
.LBB222_705:                            ;   in Loop: Header=BB222_646 Depth=2
	s_waitcnt vmcnt(0)
	v_add_co_u32 v21, s19, s16, v0
	v_add_co_ci_u32_e64 v22, null, s17, 0, s19
	global_load_ubyte v18, v[21:22], off offset:768
	s_or_b32 exec_lo, exec_lo, s18
	s_mov_b32 s18, exec_lo
	v_cmpx_gt_u32_e64 s5, v49
	s_cbranch_execz .LBB222_654
.LBB222_706:                            ;   in Loop: Header=BB222_646 Depth=2
	s_waitcnt vmcnt(0)
	v_add_co_u32 v21, s19, s16, v0
	v_add_co_ci_u32_e64 v22, null, s17, 0, s19
	global_load_ubyte v16, v[21:22], off offset:1024
	s_or_b32 exec_lo, exec_lo, s18
	s_mov_b32 s18, exec_lo
	v_cmpx_gt_u32_e64 s5, v50
	s_cbranch_execz .LBB222_655
.LBB222_707:                            ;   in Loop: Header=BB222_646 Depth=2
	s_waitcnt vmcnt(0)
	v_add_co_u32 v21, s19, s16, v0
	v_add_co_ci_u32_e64 v22, null, s17, 0, s19
	global_load_ubyte v15, v[21:22], off offset:1280
	s_or_b32 exec_lo, exec_lo, s18
	s_mov_b32 s18, exec_lo
	v_cmpx_gt_u32_e64 s5, v51
	s_cbranch_execz .LBB222_656
.LBB222_708:                            ;   in Loop: Header=BB222_646 Depth=2
	s_waitcnt vmcnt(0)
	v_add_co_u32 v21, s19, s16, v0
	v_add_co_ci_u32_e64 v22, null, s17, 0, s19
	global_load_ubyte v14, v[21:22], off offset:1536
	s_or_b32 exec_lo, exec_lo, s18
	s_mov_b32 s18, exec_lo
	v_cmpx_gt_u32_e64 s5, v52
	s_cbranch_execz .LBB222_657
.LBB222_709:                            ;   in Loop: Header=BB222_646 Depth=2
	s_waitcnt vmcnt(0)
	v_add_co_u32 v21, s19, s16, v0
	v_add_co_ci_u32_e64 v22, null, s17, 0, s19
	global_load_ubyte v13, v[21:22], off offset:1792
	s_or_b32 exec_lo, exec_lo, s18
	s_mov_b32 s18, exec_lo
	v_cmpx_gt_u32_e64 s5, v53
	s_cbranch_execz .LBB222_658
.LBB222_710:                            ;   in Loop: Header=BB222_646 Depth=2
	s_waitcnt vmcnt(0)
	v_add_co_u32 v21, s19, s16, v53
	v_add_co_ci_u32_e64 v22, null, s17, 0, s19
	global_load_ubyte v12, v[21:22], off
	s_or_b32 exec_lo, exec_lo, s18
	s_mov_b32 s18, exec_lo
	v_cmpx_gt_u32_e64 s5, v54
	s_cbranch_execz .LBB222_659
.LBB222_711:                            ;   in Loop: Header=BB222_646 Depth=2
	s_waitcnt vmcnt(0)
	v_add_co_u32 v21, s19, s16, v54
	v_add_co_ci_u32_e64 v22, null, s17, 0, s19
	global_load_ubyte v11, v[21:22], off
	s_or_b32 exec_lo, exec_lo, s18
	s_mov_b32 s18, exec_lo
	v_cmpx_gt_u32_e64 s5, v55
	s_cbranch_execz .LBB222_660
.LBB222_712:                            ;   in Loop: Header=BB222_646 Depth=2
	s_waitcnt vmcnt(0)
	v_add_co_u32 v21, s19, s16, v55
	v_add_co_ci_u32_e64 v22, null, s17, 0, s19
	global_load_ubyte v10, v[21:22], off
	s_or_b32 exec_lo, exec_lo, s18
	s_mov_b32 s18, exec_lo
	v_cmpx_gt_u32_e64 s5, v56
	s_cbranch_execz .LBB222_661
.LBB222_713:                            ;   in Loop: Header=BB222_646 Depth=2
	s_waitcnt vmcnt(0)
	v_add_co_u32 v21, s19, s16, v56
	v_add_co_ci_u32_e64 v22, null, s17, 0, s19
	global_load_ubyte v9, v[21:22], off
	s_or_b32 exec_lo, exec_lo, s18
	s_mov_b32 s18, exec_lo
	v_cmpx_gt_u32_e64 s5, v57
	s_cbranch_execz .LBB222_662
.LBB222_714:                            ;   in Loop: Header=BB222_646 Depth=2
	s_waitcnt vmcnt(0)
	v_add_co_u32 v21, s19, s16, v57
	v_add_co_ci_u32_e64 v22, null, s17, 0, s19
	global_load_ubyte v8, v[21:22], off
	s_or_b32 exec_lo, exec_lo, s18
	s_mov_b32 s18, exec_lo
	v_cmpx_gt_u32_e64 s5, v58
	s_cbranch_execz .LBB222_663
.LBB222_715:                            ;   in Loop: Header=BB222_646 Depth=2
	s_waitcnt vmcnt(0)
	v_add_co_u32 v21, s19, s16, v58
	v_add_co_ci_u32_e64 v22, null, s17, 0, s19
	global_load_ubyte v7, v[21:22], off
	s_or_b32 exec_lo, exec_lo, s18
	s_mov_b32 s18, exec_lo
	v_cmpx_gt_u32_e64 s5, v59
	s_cbranch_execz .LBB222_664
.LBB222_716:                            ;   in Loop: Header=BB222_646 Depth=2
	s_waitcnt vmcnt(0)
	v_add_co_u32 v21, s19, s16, v59
	v_add_co_ci_u32_e64 v22, null, s17, 0, s19
	global_load_ubyte v6, v[21:22], off
	s_or_b32 exec_lo, exec_lo, s18
	s_mov_b32 s18, exec_lo
	v_cmpx_gt_u32_e64 s5, v60
	s_cbranch_execz .LBB222_665
.LBB222_717:                            ;   in Loop: Header=BB222_646 Depth=2
	s_waitcnt vmcnt(0)
	v_add_co_u32 v21, s19, s16, v60
	v_add_co_ci_u32_e64 v22, null, s17, 0, s19
	global_load_ubyte v5, v[21:22], off
	s_or_b32 exec_lo, exec_lo, s18
	s_mov_b32 s18, exec_lo
	v_cmpx_gt_u32_e64 s5, v61
	s_cbranch_execnz .LBB222_666
	s_branch .LBB222_667
.LBB222_718:                            ;   in Loop: Header=BB222_20 Depth=1
	v_mov_b32_e32 v3, 0
	s_waitcnt lgkmcnt(0)
	s_barrier
	buffer_gl0_inv
	s_and_saveexec_b32 s5, s8
	s_cbranch_execz .LBB222_720
; %bb.719:                              ;   in Loop: Header=BB222_20 Depth=1
	ds_read2_b64 v[5:8], v64 offset1:1
	s_waitcnt lgkmcnt(0)
	v_add_nc_u32_e32 v3, v6, v5
	v_add3_u32 v3, v3, v7, v8
.LBB222_720:                            ;   in Loop: Header=BB222_20 Depth=1
	s_or_b32 exec_lo, exec_lo, s5
	v_and_b32_e32 v5, 15, v86
	v_mov_b32_dpp v6, v3 row_shr:1 row_mask:0xf bank_mask:0xf
	v_and_b32_e32 v7, 16, v86
	v_cmp_eq_u32_e64 s5, 0, v5
	v_cmp_lt_u32_e64 s15, 1, v5
	v_cmp_lt_u32_e64 s16, 3, v5
	;; [unrolled: 1-line block ×3, first 2 shown]
	v_cmp_eq_u32_e64 s18, 0, v7
	v_cndmask_b32_e64 v6, v6, 0, s5
	v_add_nc_u32_e32 v3, v6, v3
	v_mov_b32_dpp v6, v3 row_shr:2 row_mask:0xf bank_mask:0xf
	v_cndmask_b32_e64 v6, 0, v6, s15
	v_add_nc_u32_e32 v3, v3, v6
	v_mov_b32_dpp v6, v3 row_shr:4 row_mask:0xf bank_mask:0xf
	;; [unrolled: 3-line block ×3, first 2 shown]
	v_cndmask_b32_e64 v5, 0, v6, s17
	v_bfe_i32 v6, v86, 4, 1
	v_add_nc_u32_e32 v3, v3, v5
	ds_swizzle_b32 v5, v3 offset:swizzle(BROADCAST,32,15)
	s_waitcnt lgkmcnt(0)
	v_and_b32_e32 v5, v6, v5
	v_add_nc_u32_e32 v3, v3, v5
	s_and_saveexec_b32 s19, s9
; %bb.721:                              ;   in Loop: Header=BB222_20 Depth=1
	ds_write_b32 v65, v3
; %bb.722:                              ;   in Loop: Header=BB222_20 Depth=1
	s_or_b32 exec_lo, exec_lo, s19
	s_waitcnt lgkmcnt(0)
	s_barrier
	buffer_gl0_inv
	s_and_saveexec_b32 s19, s10
	s_cbranch_execz .LBB222_724
; %bb.723:                              ;   in Loop: Header=BB222_20 Depth=1
	ds_read_b32 v5, v66
	v_and_b32_e32 v6, 3, v86
	v_cmp_ne_u32_e32 vcc_lo, 0, v6
	s_waitcnt lgkmcnt(0)
	v_mov_b32_dpp v7, v5 row_shr:1 row_mask:0xf bank_mask:0xf
	v_cndmask_b32_e32 v7, 0, v7, vcc_lo
	v_cmp_lt_u32_e32 vcc_lo, 1, v6
	v_add_nc_u32_e32 v5, v7, v5
	v_mov_b32_dpp v7, v5 row_shr:2 row_mask:0xf bank_mask:0xf
	v_cndmask_b32_e32 v6, 0, v7, vcc_lo
	v_add_nc_u32_e32 v5, v5, v6
	ds_write_b32 v66, v5
.LBB222_724:                            ;   in Loop: Header=BB222_20 Depth=1
	s_or_b32 exec_lo, exec_lo, s19
	v_mov_b32_e32 v5, 0
	s_waitcnt lgkmcnt(0)
	s_barrier
	buffer_gl0_inv
	s_and_saveexec_b32 s19, s11
; %bb.725:                              ;   in Loop: Header=BB222_20 Depth=1
	ds_read_b32 v5, v67
; %bb.726:                              ;   in Loop: Header=BB222_20 Depth=1
	s_or_b32 exec_lo, exec_lo, s19
	v_sub_co_u32 v6, s19, v86, 1
	s_waitcnt lgkmcnt(0)
	v_add_nc_u32_e32 v3, v5, v3
	s_barrier
	v_cmp_gt_i32_e32 vcc_lo, 0, v6
	buffer_gl0_inv
	v_cndmask_b32_e32 v6, v6, v86, vcc_lo
	v_lshlrev_b32_e32 v92, 2, v6
	ds_bpermute_b32 v3, v92, v3
	s_and_saveexec_b32 s20, s8
	s_cbranch_execz .LBB222_728
; %bb.727:                              ;   in Loop: Header=BB222_20 Depth=1
	s_waitcnt lgkmcnt(0)
	v_cndmask_b32_e64 v3, v3, v5, s19
	v_add_nc_u32_e32 v3, s58, v3
	ds_write_b32 v43, v3
.LBB222_728:                            ;   in Loop: Header=BB222_20 Depth=1
	s_or_b32 exec_lo, exec_lo, s20
	s_load_dwordx2 s[20:21], s[56:57], 0x0
	v_and_b32_e32 v6, 7, v86
	v_lshlrev_b32_e32 v7, 3, v86
	v_or_b32_e32 v93, v86, v68
	s_mov_b32 s63, s60
	s_mov_b32 s50, s58
                                        ; implicit-def: $vgpr9_vgpr10
                                        ; implicit-def: $vgpr11_vgpr12
                                        ; implicit-def: $vgpr13_vgpr14
                                        ; implicit-def: $vgpr15_vgpr16
                                        ; implicit-def: $vgpr19_vgpr20
                                        ; implicit-def: $vgpr23_vgpr24
                                        ; implicit-def: $vgpr27_vgpr28
                                        ; implicit-def: $vgpr17_vgpr18
                                        ; implicit-def: $vgpr21_vgpr22
                                        ; implicit-def: $vgpr25_vgpr26
                                        ; implicit-def: $vgpr29_vgpr30
                                        ; implicit-def: $vgpr31_vgpr32
                                        ; implicit-def: $vgpr33_vgpr34
                                        ; implicit-def: $vgpr35_vgpr36
                                        ; implicit-def: $vgpr37_vgpr38
                                        ; implicit-def: $vgpr115
                                        ; implicit-def: $vgpr116
                                        ; implicit-def: $vgpr117
                                        ; implicit-def: $vgpr118
                                        ; implicit-def: $vgpr119
                                        ; implicit-def: $vgpr120
                                        ; implicit-def: $vgpr121
                                        ; implicit-def: $vgpr122
                                        ; implicit-def: $vgpr123
                                        ; implicit-def: $vgpr124
                                        ; implicit-def: $vgpr125
                                        ; implicit-def: $vgpr126
                                        ; implicit-def: $vgpr127
                                        ; implicit-def: $vgpr128
                                        ; implicit-def: $vgpr129
                                        ; implicit-def: $vgpr130
                                        ; implicit-def: $vgpr131
                                        ; implicit-def: $vgpr132
                                        ; implicit-def: $vgpr133
	v_add_co_u32 v94, vcc_lo, v84, v7
	v_add_co_ci_u32_e64 v95, null, 0, v85, vcc_lo
	v_add_co_u32 v112, vcc_lo, v87, v86
	v_add_nc_u32_e32 v96, 32, v93
	v_add_nc_u32_e32 v97, 64, v93
	v_add_nc_u32_e32 v98, 0x60, v93
	v_add_nc_u32_e32 v99, 0x80, v93
	v_add_nc_u32_e32 v100, 0xa0, v93
	v_add_nc_u32_e32 v101, 0xc0, v93
	v_add_nc_u32_e32 v102, 0xe0, v93
	s_waitcnt lgkmcnt(0)
	s_cmp_lt_u32 s7, s21
	v_add_nc_u32_e32 v103, 0x100, v93
	s_cselect_b32 s21, 14, 20
	v_add_nc_u32_e32 v104, 0x120, v93
	s_add_u32 s22, s56, s21
	s_addc_u32 s23, s57, 0
	s_cmp_lt_u32 s6, s20
	global_load_ushort v3, v4, s[22:23]
	s_cselect_b32 s20, 12, 18
	v_add_nc_u32_e32 v105, 0x140, v93
	s_add_u32 s20, s56, s20
	s_addc_u32 s21, s57, 0
	v_add_nc_u32_e32 v106, 0x160, v93
	global_load_ushort v5, v4, s[20:21]
	v_cmp_eq_u32_e64 s20, 0, v6
	v_cmp_lt_u32_e64 s21, 1, v6
	v_cmp_lt_u32_e64 s22, 3, v6
	v_add_nc_u32_e32 v107, 0x180, v93
	v_add_nc_u32_e32 v108, 0x1a0, v93
	;; [unrolled: 1-line block ×5, first 2 shown]
	v_add_co_ci_u32_e64 v113, null, 0, v88, vcc_lo
                                        ; implicit-def: $vgpr7_vgpr8
	s_waitcnt vmcnt(1)
	v_mad_u32_u24 v3, v2, v3, v1
	s_waitcnt vmcnt(0)
	v_mad_u64_u32 v[5:6], null, v3, v5, v[0:1]
	v_lshrrev_b32_e32 v3, 3, v5
                                        ; implicit-def: $vgpr5_vgpr6
	v_and_b32_e32 v114, 0x1ffffffc, v3
	s_branch .LBB222_730
.LBB222_729:                            ;   in Loop: Header=BB222_730 Depth=2
	s_or_b32 exec_lo, exec_lo, s23
	s_addk_i32 s63, 0xef00
	s_cmp_lt_u32 s64, s59
	s_mov_b32 s50, s64
	s_cbranch_scc0 .LBB222_952
.LBB222_730:                            ;   Parent Loop BB222_20 Depth=1
                                        ; =>  This Inner Loop Header: Depth=2
	s_add_i32 s64, s50, 0x1100
	s_cmp_gt_u32 s64, s59
	s_cbranch_scc1 .LBB222_732
; %bb.731:                              ;   in Loop: Header=BB222_730 Depth=2
	v_add_co_u32 v39, vcc_lo, v112, s50
	v_add_co_ci_u32_e64 v40, null, 0, v113, vcc_lo
	s_mov_b32 s23, -1
	s_clause 0xf
	global_load_ubyte v134, v[39:40], off
	global_load_ubyte v135, v[39:40], off offset:32
	global_load_ubyte v136, v[39:40], off offset:64
	;; [unrolled: 1-line block ×15, first 2 shown]
	s_movk_i32 s24, 0x1100
	s_cbranch_execz .LBB222_733
	s_branch .LBB222_766
.LBB222_732:                            ;   in Loop: Header=BB222_730 Depth=2
	s_mov_b32 s23, 0
                                        ; implicit-def: $vgpr134
                                        ; implicit-def: $vgpr135
                                        ; implicit-def: $vgpr136
                                        ; implicit-def: $vgpr137
                                        ; implicit-def: $vgpr138
                                        ; implicit-def: $vgpr139
                                        ; implicit-def: $vgpr140
                                        ; implicit-def: $vgpr141
                                        ; implicit-def: $vgpr142
                                        ; implicit-def: $vgpr143
                                        ; implicit-def: $vgpr144
                                        ; implicit-def: $vgpr145
                                        ; implicit-def: $vgpr146
                                        ; implicit-def: $vgpr147
                                        ; implicit-def: $vgpr148
                                        ; implicit-def: $vgpr149
	s_movk_i32 s24, 0x1100
.LBB222_733:                            ;   in Loop: Header=BB222_730 Depth=2
	v_add_co_u32 v39, vcc_lo, v112, s50
	v_add_co_ci_u32_e64 v40, null, 0, v113, vcc_lo
	s_waitcnt vmcnt(14)
	v_mov_b32_e32 v135, 0xff
	v_mov_b32_e32 v134, 0xff
	s_mov_b32 s23, exec_lo
	v_cmpx_gt_u32_e64 s63, v93
	s_cbranch_execz .LBB222_735
; %bb.734:                              ;   in Loop: Header=BB222_730 Depth=2
	global_load_ubyte v134, v[39:40], off
.LBB222_735:                            ;   in Loop: Header=BB222_730 Depth=2
	s_or_b32 exec_lo, exec_lo, s23
	s_mov_b32 s23, exec_lo
	v_cmpx_gt_u32_e64 s63, v96
	s_cbranch_execz .LBB222_737
; %bb.736:                              ;   in Loop: Header=BB222_730 Depth=2
	global_load_ubyte v135, v[39:40], off offset:32
.LBB222_737:                            ;   in Loop: Header=BB222_730 Depth=2
	s_or_b32 exec_lo, exec_lo, s23
	s_waitcnt vmcnt(12)
	v_mov_b32_e32 v137, 0xff
	v_mov_b32_e32 v136, 0xff
	s_mov_b32 s23, exec_lo
	v_cmpx_gt_u32_e64 s63, v97
	s_cbranch_execz .LBB222_739
; %bb.738:                              ;   in Loop: Header=BB222_730 Depth=2
	global_load_ubyte v136, v[39:40], off offset:64
.LBB222_739:                            ;   in Loop: Header=BB222_730 Depth=2
	s_or_b32 exec_lo, exec_lo, s23
	s_mov_b32 s23, exec_lo
	v_cmpx_gt_u32_e64 s63, v98
	s_cbranch_execz .LBB222_741
; %bb.740:                              ;   in Loop: Header=BB222_730 Depth=2
	global_load_ubyte v137, v[39:40], off offset:96
.LBB222_741:                            ;   in Loop: Header=BB222_730 Depth=2
	s_or_b32 exec_lo, exec_lo, s23
	s_waitcnt vmcnt(10)
	v_mov_b32_e32 v139, 0xff
	v_mov_b32_e32 v138, 0xff
	s_mov_b32 s23, exec_lo
	v_cmpx_gt_u32_e64 s63, v99
	s_cbranch_execz .LBB222_743
; %bb.742:                              ;   in Loop: Header=BB222_730 Depth=2
	global_load_ubyte v138, v[39:40], off offset:128
.LBB222_743:                            ;   in Loop: Header=BB222_730 Depth=2
	;; [unrolled: 17-line block ×7, first 2 shown]
	s_or_b32 exec_lo, exec_lo, s23
	s_mov_b32 s23, exec_lo
	v_cmpx_gt_u32_e64 s63, v110
	s_cbranch_execz .LBB222_765
; %bb.764:                              ;   in Loop: Header=BB222_730 Depth=2
	global_load_ubyte v149, v[39:40], off offset:480
.LBB222_765:                            ;   in Loop: Header=BB222_730 Depth=2
	s_or_b32 exec_lo, exec_lo, s23
	v_cmp_gt_u32_e64 s23, s63, v111
	s_sub_i32 s24, s59, s50
.LBB222_766:                            ;   in Loop: Header=BB222_730 Depth=2
	v_mov_b32_e32 v150, 0xff
	v_mov_b32_e32 v3, s63
	s_and_saveexec_b32 s25, s23
	s_cbranch_execz .LBB222_768
; %bb.767:                              ;   in Loop: Header=BB222_730 Depth=2
	v_add_co_u32 v39, vcc_lo, v112, s50
	v_add_co_ci_u32_e64 v40, null, s51, v113, vcc_lo
	v_mov_b32_e32 v3, s24
	global_load_ubyte v150, v[39:40], off offset:512
.LBB222_768:                            ;   in Loop: Header=BB222_730 Depth=2
	s_or_b32 exec_lo, exec_lo, s25
	s_waitcnt vmcnt(15)
	v_lshrrev_b32_sdwa v39, s41, v134 dst_sel:DWORD dst_unused:UNUSED_PAD src0_sel:DWORD src1_sel:BYTE_0
	ds_write2_b32 v69, v4, v4 offset0:136 offset1:137
	ds_write2_b32 v69, v4, v4 offset0:138 offset1:139
	ds_write_b32 v69, v4 offset:560
	s_waitcnt vmcnt(0) lgkmcnt(0)
	s_barrier
	v_and_b32_e32 v40, s62, v39
	buffer_gl0_inv
	; wave barrier
	v_and_b32_e32 v39, 1, v40
	v_lshlrev_b32_e32 v41, 30, v40
	v_lshlrev_b32_e32 v42, 29, v40
	v_lshlrev_b32_e32 v152, 28, v40
	v_lshlrev_b32_e32 v153, 27, v40
	v_add_co_u32 v39, s23, v39, -1
	v_cndmask_b32_e64 v151, 0, 1, s23
	v_not_b32_e32 v155, v41
	v_cmp_gt_i32_e64 s23, 0, v41
	v_not_b32_e32 v41, v42
	v_lshlrev_b32_e32 v154, 26, v40
	v_cmp_ne_u32_e32 vcc_lo, 0, v151
	v_ashrrev_i32_e32 v155, 31, v155
	v_lshlrev_b32_e32 v151, 25, v40
	v_ashrrev_i32_e32 v41, 31, v41
	v_mul_u32_u24_e32 v40, 36, v40
	v_xor_b32_e32 v39, vcc_lo, v39
	v_cmp_gt_i32_e32 vcc_lo, 0, v42
	v_not_b32_e32 v42, v152
	v_xor_b32_e32 v155, s23, v155
	v_cmp_gt_i32_e64 s23, 0, v152
	v_and_b32_e32 v39, exec_lo, v39
	v_not_b32_e32 v152, v153
	v_ashrrev_i32_e32 v42, 31, v42
	v_xor_b32_e32 v41, vcc_lo, v41
	v_cmp_gt_i32_e32 vcc_lo, 0, v153
	v_and_b32_e32 v39, v39, v155
	v_not_b32_e32 v153, v154
	v_ashrrev_i32_e32 v152, 31, v152
	v_xor_b32_e32 v42, s23, v42
	v_cmp_gt_i32_e64 s23, 0, v154
	v_and_b32_e32 v39, v39, v41
	v_not_b32_e32 v41, v151
	v_ashrrev_i32_e32 v153, 31, v153
	v_xor_b32_e32 v152, vcc_lo, v152
	v_cmp_gt_i32_e32 vcc_lo, 0, v151
	v_and_b32_e32 v39, v39, v42
	v_ashrrev_i32_e32 v41, 31, v41
	v_xor_b32_e32 v42, s23, v153
	v_and_b32_e32 v39, v39, v152
	v_xor_b32_e32 v41, vcc_lo, v41
	v_add_nc_u32_e32 v152, v114, v40
	v_and_b32_e32 v39, v39, v42
	v_and_b32_e32 v39, v39, v41
	v_mbcnt_lo_u32_b32 v151, v39, 0
	v_cmp_ne_u32_e64 s23, 0, v39
	v_cmp_eq_u32_e32 vcc_lo, 0, v151
	s_and_b32 s24, s23, vcc_lo
	s_and_saveexec_b32 s23, s24
; %bb.769:                              ;   in Loop: Header=BB222_730 Depth=2
	v_bcnt_u32_b32 v39, v39, 0
	ds_write_b32 v152, v39 offset:544
; %bb.770:                              ;   in Loop: Header=BB222_730 Depth=2
	s_or_b32 exec_lo, exec_lo, s23
	v_lshrrev_b32_sdwa v39, s41, v135 dst_sel:DWORD dst_unused:UNUSED_PAD src0_sel:DWORD src1_sel:BYTE_0
	; wave barrier
	v_and_b32_e32 v40, s62, v39
	v_and_b32_e32 v39, 1, v40
	v_lshlrev_b32_e32 v41, 30, v40
	v_lshlrev_b32_e32 v42, 29, v40
	v_lshlrev_b32_e32 v154, 28, v40
	v_lshlrev_b32_e32 v155, 27, v40
	v_add_co_u32 v39, s23, v39, -1
	v_cndmask_b32_e64 v153, 0, 1, s23
	v_not_b32_e32 v157, v41
	v_cmp_gt_i32_e64 s23, 0, v41
	v_not_b32_e32 v41, v42
	v_lshlrev_b32_e32 v156, 26, v40
	v_cmp_ne_u32_e32 vcc_lo, 0, v153
	v_ashrrev_i32_e32 v157, 31, v157
	v_lshlrev_b32_e32 v153, 25, v40
	v_ashrrev_i32_e32 v41, 31, v41
	v_xor_b32_e32 v39, vcc_lo, v39
	v_cmp_gt_i32_e32 vcc_lo, 0, v42
	v_not_b32_e32 v42, v154
	v_xor_b32_e32 v157, s23, v157
	v_cmp_gt_i32_e64 s23, 0, v154
	v_and_b32_e32 v39, exec_lo, v39
	v_not_b32_e32 v154, v155
	v_ashrrev_i32_e32 v42, 31, v42
	v_xor_b32_e32 v41, vcc_lo, v41
	v_cmp_gt_i32_e32 vcc_lo, 0, v155
	v_and_b32_e32 v39, v39, v157
	v_not_b32_e32 v155, v156
	v_ashrrev_i32_e32 v154, 31, v154
	v_xor_b32_e32 v42, s23, v42
	v_cmp_gt_i32_e64 s23, 0, v156
	v_and_b32_e32 v39, v39, v41
	v_not_b32_e32 v41, v153
	v_ashrrev_i32_e32 v155, 31, v155
	v_xor_b32_e32 v154, vcc_lo, v154
	v_cmp_gt_i32_e32 vcc_lo, 0, v153
	v_and_b32_e32 v39, v39, v42
	v_ashrrev_i32_e32 v41, 31, v41
	v_xor_b32_e32 v42, s23, v155
	v_mad_u32_u24 v153, v40, 36, v114
	v_mul_u32_u24_e32 v40, 36, v40
	v_and_b32_e32 v39, v39, v154
	v_xor_b32_e32 v41, vcc_lo, v41
	ds_read_b32 v153, v153 offset:544
	v_add_nc_u32_e32 v155, v114, v40
	v_and_b32_e32 v39, v39, v42
	; wave barrier
	v_and_b32_e32 v39, v39, v41
	v_mbcnt_lo_u32_b32 v154, v39, 0
	v_cmp_ne_u32_e64 s23, 0, v39
	v_cmp_eq_u32_e32 vcc_lo, 0, v154
	s_and_b32 s24, s23, vcc_lo
	s_and_saveexec_b32 s23, s24
	s_cbranch_execz .LBB222_772
; %bb.771:                              ;   in Loop: Header=BB222_730 Depth=2
	s_waitcnt lgkmcnt(0)
	v_bcnt_u32_b32 v39, v39, v153
	ds_write_b32 v155, v39 offset:544
.LBB222_772:                            ;   in Loop: Header=BB222_730 Depth=2
	s_or_b32 exec_lo, exec_lo, s23
	v_lshrrev_b32_sdwa v39, s41, v136 dst_sel:DWORD dst_unused:UNUSED_PAD src0_sel:DWORD src1_sel:BYTE_0
	; wave barrier
	v_and_b32_e32 v40, s62, v39
	v_and_b32_e32 v39, 1, v40
	v_lshlrev_b32_e32 v41, 30, v40
	v_lshlrev_b32_e32 v42, 29, v40
	v_lshlrev_b32_e32 v157, 28, v40
	v_lshlrev_b32_e32 v158, 27, v40
	v_add_co_u32 v39, s23, v39, -1
	v_cndmask_b32_e64 v156, 0, 1, s23
	v_not_b32_e32 v160, v41
	v_cmp_gt_i32_e64 s23, 0, v41
	v_not_b32_e32 v41, v42
	v_lshlrev_b32_e32 v159, 26, v40
	v_cmp_ne_u32_e32 vcc_lo, 0, v156
	v_ashrrev_i32_e32 v160, 31, v160
	v_lshlrev_b32_e32 v156, 25, v40
	v_ashrrev_i32_e32 v41, 31, v41
	v_xor_b32_e32 v39, vcc_lo, v39
	v_cmp_gt_i32_e32 vcc_lo, 0, v42
	v_not_b32_e32 v42, v157
	v_xor_b32_e32 v160, s23, v160
	v_cmp_gt_i32_e64 s23, 0, v157
	v_and_b32_e32 v39, exec_lo, v39
	v_not_b32_e32 v157, v158
	v_ashrrev_i32_e32 v42, 31, v42
	v_xor_b32_e32 v41, vcc_lo, v41
	v_cmp_gt_i32_e32 vcc_lo, 0, v158
	v_and_b32_e32 v39, v39, v160
	v_not_b32_e32 v158, v159
	v_ashrrev_i32_e32 v157, 31, v157
	v_xor_b32_e32 v42, s23, v42
	v_cmp_gt_i32_e64 s23, 0, v159
	v_and_b32_e32 v39, v39, v41
	v_not_b32_e32 v41, v156
	v_ashrrev_i32_e32 v158, 31, v158
	v_xor_b32_e32 v157, vcc_lo, v157
	v_cmp_gt_i32_e32 vcc_lo, 0, v156
	v_and_b32_e32 v39, v39, v42
	v_ashrrev_i32_e32 v41, 31, v41
	v_xor_b32_e32 v42, s23, v158
	v_mad_u32_u24 v156, v40, 36, v114
	v_mul_u32_u24_e32 v40, 36, v40
	v_and_b32_e32 v39, v39, v157
	v_xor_b32_e32 v41, vcc_lo, v41
	ds_read_b32 v156, v156 offset:544
	v_add_nc_u32_e32 v158, v114, v40
	v_and_b32_e32 v39, v39, v42
	; wave barrier
	v_and_b32_e32 v39, v39, v41
	v_mbcnt_lo_u32_b32 v157, v39, 0
	v_cmp_ne_u32_e64 s23, 0, v39
	v_cmp_eq_u32_e32 vcc_lo, 0, v157
	s_and_b32 s24, s23, vcc_lo
	s_and_saveexec_b32 s23, s24
	s_cbranch_execz .LBB222_774
; %bb.773:                              ;   in Loop: Header=BB222_730 Depth=2
	s_waitcnt lgkmcnt(0)
	v_bcnt_u32_b32 v39, v39, v156
	ds_write_b32 v158, v39 offset:544
.LBB222_774:                            ;   in Loop: Header=BB222_730 Depth=2
	;; [unrolled: 62-line block ×16, first 2 shown]
	s_or_b32 exec_lo, exec_lo, s23
	; wave barrier
	s_waitcnt lgkmcnt(0)
	s_barrier
	buffer_gl0_inv
	ds_read2_b32 v[41:42], v69 offset0:136 offset1:137
	ds_read2_b32 v[39:40], v69 offset0:138 offset1:139
	ds_read_b32 v201, v69 offset:560
	s_waitcnt lgkmcnt(1)
	v_add3_u32 v202, v42, v41, v39
	s_waitcnt lgkmcnt(0)
	v_add3_u32 v201, v202, v40, v201
	v_mov_b32_dpp v202, v201 row_shr:1 row_mask:0xf bank_mask:0xf
	v_cndmask_b32_e64 v202, v202, 0, s5
	v_add_nc_u32_e32 v201, v202, v201
	v_mov_b32_dpp v202, v201 row_shr:2 row_mask:0xf bank_mask:0xf
	v_cndmask_b32_e64 v202, 0, v202, s15
	v_add_nc_u32_e32 v201, v201, v202
	v_mov_b32_dpp v202, v201 row_shr:4 row_mask:0xf bank_mask:0xf
	v_cndmask_b32_e64 v202, 0, v202, s16
	v_add_nc_u32_e32 v201, v201, v202
	v_mov_b32_dpp v202, v201 row_shr:8 row_mask:0xf bank_mask:0xf
	v_cndmask_b32_e64 v202, 0, v202, s17
	v_add_nc_u32_e32 v201, v201, v202
	ds_swizzle_b32 v202, v201 offset:swizzle(BROADCAST,32,15)
	s_waitcnt lgkmcnt(0)
	v_cndmask_b32_e64 v202, v202, 0, s18
	v_add_nc_u32_e32 v201, v201, v202
	s_and_saveexec_b32 s23, s4
; %bb.803:                              ;   in Loop: Header=BB222_730 Depth=2
	ds_write_b32 v62, v201 offset:512
; %bb.804:                              ;   in Loop: Header=BB222_730 Depth=2
	s_or_b32 exec_lo, exec_lo, s23
	s_waitcnt lgkmcnt(0)
	s_barrier
	buffer_gl0_inv
	s_and_saveexec_b32 s23, s12
	s_cbranch_execz .LBB222_806
; %bb.805:                              ;   in Loop: Header=BB222_730 Depth=2
	ds_read_b32 v202, v70 offset:512
	s_waitcnt lgkmcnt(0)
	v_mov_b32_dpp v203, v202 row_shr:1 row_mask:0xf bank_mask:0xf
	v_cndmask_b32_e64 v203, v203, 0, s20
	v_add_nc_u32_e32 v202, v203, v202
	v_mov_b32_dpp v203, v202 row_shr:2 row_mask:0xf bank_mask:0xf
	v_cndmask_b32_e64 v203, 0, v203, s21
	v_add_nc_u32_e32 v202, v202, v203
	;; [unrolled: 3-line block ×3, first 2 shown]
	ds_write_b32 v70, v202 offset:512
.LBB222_806:                            ;   in Loop: Header=BB222_730 Depth=2
	s_or_b32 exec_lo, exec_lo, s23
	v_mov_b32_e32 v202, 0
	s_waitcnt lgkmcnt(0)
	s_barrier
	buffer_gl0_inv
	s_and_saveexec_b32 s23, s11
; %bb.807:                              ;   in Loop: Header=BB222_730 Depth=2
	ds_read_b32 v202, v62 offset:508
; %bb.808:                              ;   in Loop: Header=BB222_730 Depth=2
	s_or_b32 exec_lo, exec_lo, s23
	s_waitcnt lgkmcnt(0)
	v_add_nc_u32_e32 v201, v202, v201
	ds_bpermute_b32 v201, v92, v201
	s_waitcnt lgkmcnt(0)
	v_cndmask_b32_e64 v201, v201, v202, s19
	v_cndmask_b32_e64 v201, v201, 0, s13
	v_add_nc_u32_e32 v41, v201, v41
	v_add_nc_u32_e32 v42, v41, v42
	;; [unrolled: 1-line block ×4, first 2 shown]
	ds_write2_b32 v69, v201, v41 offset0:136 offset1:137
	ds_write2_b32 v69, v42, v39 offset0:138 offset1:139
	ds_write_b32 v69, v40 offset:560
	s_waitcnt lgkmcnt(0)
	s_barrier
	buffer_gl0_inv
	ds_read_b32 v39, v152 offset:544
	ds_read_b32 v40, v155 offset:544
	;; [unrolled: 1-line block ×17, first 2 shown]
	s_and_saveexec_b32 s23, s8
	s_cbranch_execz .LBB222_812
; %bb.809:                              ;   in Loop: Header=BB222_730 Depth=2
	v_add_nc_u32_e32 v132, v70, v72
	v_mov_b32_e32 v133, 0x1100
	ds_read_b32 v132, v132 offset:544
	s_and_saveexec_b32 s24, s14
; %bb.810:                              ;   in Loop: Header=BB222_730 Depth=2
	ds_read_b32 v133, v71 offset:544
; %bb.811:                              ;   in Loop: Header=BB222_730 Depth=2
	s_or_b32 exec_lo, exec_lo, s24
	s_waitcnt lgkmcnt(0)
	v_sub_nc_u32_e32 v133, v133, v132
.LBB222_812:                            ;   in Loop: Header=BB222_730 Depth=2
	s_or_b32 exec_lo, exec_lo, s23
	s_waitcnt lgkmcnt(0)
	s_barrier
	buffer_gl0_inv
	s_and_saveexec_b32 s23, s8
	s_cbranch_execz .LBB222_814
; %bb.813:                              ;   in Loop: Header=BB222_730 Depth=2
	ds_read_b32 v161, v43
	s_waitcnt lgkmcnt(0)
	v_sub_nc_u32_e32 v161, v161, v132
	ds_write_b32 v43, v161
.LBB222_814:                            ;   in Loop: Header=BB222_730 Depth=2
	s_or_b32 exec_lo, exec_lo, s23
	v_add_nc_u32_e32 v173, v39, v151
	v_add3_u32 v170, v154, v153, v40
	v_add3_u32 v167, v157, v156, v41
	;; [unrolled: 1-line block ×16, first 2 shown]
	v_cmp_lt_u32_e64 s39, v0, v3
	ds_write_b8 v173, v134 offset:512
	ds_write_b8 v170, v135 offset:512
	;; [unrolled: 1-line block ×17, first 2 shown]
	s_waitcnt lgkmcnt(0)
	s_barrier
	buffer_gl0_inv
	s_and_saveexec_b32 s23, s39
	s_cbranch_execnz .LBB222_887
; %bb.815:                              ;   in Loop: Header=BB222_730 Depth=2
	s_or_b32 exec_lo, exec_lo, s23
	v_cmp_lt_u32_e64 s38, v44, v3
	s_and_saveexec_b32 s23, s38
	s_cbranch_execnz .LBB222_888
.LBB222_816:                            ;   in Loop: Header=BB222_730 Depth=2
	s_or_b32 exec_lo, exec_lo, s23
	v_cmp_lt_u32_e64 s37, v47, v3
	s_and_saveexec_b32 s23, s37
	s_cbranch_execnz .LBB222_889
.LBB222_817:                            ;   in Loop: Header=BB222_730 Depth=2
	s_or_b32 exec_lo, exec_lo, s23
	v_cmp_lt_u32_e64 s36, v48, v3
	s_and_saveexec_b32 s23, s36
	s_cbranch_execnz .LBB222_890
.LBB222_818:                            ;   in Loop: Header=BB222_730 Depth=2
	s_or_b32 exec_lo, exec_lo, s23
	v_cmp_lt_u32_e64 s35, v49, v3
	s_and_saveexec_b32 s23, s35
	s_cbranch_execnz .LBB222_891
.LBB222_819:                            ;   in Loop: Header=BB222_730 Depth=2
	s_or_b32 exec_lo, exec_lo, s23
	v_cmp_lt_u32_e64 s34, v50, v3
	s_and_saveexec_b32 s23, s34
	s_cbranch_execnz .LBB222_892
.LBB222_820:                            ;   in Loop: Header=BB222_730 Depth=2
	s_or_b32 exec_lo, exec_lo, s23
	v_cmp_lt_u32_e64 s33, v51, v3
	s_and_saveexec_b32 s23, s33
	s_cbranch_execnz .LBB222_893
.LBB222_821:                            ;   in Loop: Header=BB222_730 Depth=2
	s_or_b32 exec_lo, exec_lo, s23
	v_cmp_lt_u32_e64 s31, v52, v3
	s_and_saveexec_b32 s23, s31
	s_cbranch_execnz .LBB222_894
.LBB222_822:                            ;   in Loop: Header=BB222_730 Depth=2
	s_or_b32 exec_lo, exec_lo, s23
	v_cmp_lt_u32_e64 s30, v53, v3
	s_and_saveexec_b32 s23, s30
	s_cbranch_execnz .LBB222_895
.LBB222_823:                            ;   in Loop: Header=BB222_730 Depth=2
	s_or_b32 exec_lo, exec_lo, s23
	v_cmp_lt_u32_e64 s29, v54, v3
	s_and_saveexec_b32 s23, s29
	s_cbranch_execnz .LBB222_896
.LBB222_824:                            ;   in Loop: Header=BB222_730 Depth=2
	s_or_b32 exec_lo, exec_lo, s23
	v_cmp_lt_u32_e64 s28, v55, v3
	s_and_saveexec_b32 s23, s28
	s_cbranch_execnz .LBB222_897
.LBB222_825:                            ;   in Loop: Header=BB222_730 Depth=2
	s_or_b32 exec_lo, exec_lo, s23
	v_cmp_lt_u32_e64 s27, v56, v3
	s_and_saveexec_b32 s23, s27
	s_cbranch_execnz .LBB222_898
.LBB222_826:                            ;   in Loop: Header=BB222_730 Depth=2
	s_or_b32 exec_lo, exec_lo, s23
	v_cmp_lt_u32_e64 s26, v57, v3
	s_and_saveexec_b32 s23, s26
	s_cbranch_execnz .LBB222_899
.LBB222_827:                            ;   in Loop: Header=BB222_730 Depth=2
	s_or_b32 exec_lo, exec_lo, s23
	v_cmp_lt_u32_e64 s25, v58, v3
	s_and_saveexec_b32 s23, s25
	s_cbranch_execnz .LBB222_900
.LBB222_828:                            ;   in Loop: Header=BB222_730 Depth=2
	s_or_b32 exec_lo, exec_lo, s23
	v_cmp_lt_u32_e64 s24, v59, v3
	s_and_saveexec_b32 s23, s24
	s_cbranch_execnz .LBB222_901
.LBB222_829:                            ;   in Loop: Header=BB222_730 Depth=2
	s_or_b32 exec_lo, exec_lo, s23
	v_cmp_lt_u32_e64 s23, v60, v3
	s_and_saveexec_b32 s40, s23
	s_cbranch_execnz .LBB222_902
.LBB222_830:                            ;   in Loop: Header=BB222_730 Depth=2
	s_or_b32 exec_lo, exec_lo, s40
	v_cmp_lt_u32_e32 vcc_lo, v61, v3
	s_and_saveexec_b32 s40, vcc_lo
	s_cbranch_execz .LBB222_832
.LBB222_831:                            ;   in Loop: Header=BB222_730 Depth=2
	ds_read_u8 v39, v0 offset:4608
	s_waitcnt lgkmcnt(0)
	v_lshrrev_b32_sdwa v40, s41, v39 dst_sel:DWORD dst_unused:UNUSED_PAD src0_sel:DWORD src1_sel:BYTE_0
	v_and_b32_e32 v40, s62, v40
	v_lshlrev_b32_e32 v40, 2, v40
	ds_read_b32 v40, v40
	s_waitcnt lgkmcnt(0)
	v_add_nc_u32_e32 v40, v40, v61
	global_store_byte v40, v39, s[46:47]
.LBB222_832:                            ;   in Loop: Header=BB222_730 Depth=2
	s_or_b32 exec_lo, exec_lo, s40
	s_lshl_b64 s[66:67], s[50:51], 3
	v_add_co_u32 v39, s40, v94, s66
	v_add_co_ci_u32_e64 v40, null, s67, v95, s40
	v_cmp_lt_u32_e64 s40, v93, v3
	s_and_saveexec_b32 s50, s40
	s_xor_b32 s40, exec_lo, s50
	s_cbranch_execnz .LBB222_903
; %bb.833:                              ;   in Loop: Header=BB222_730 Depth=2
	s_or_b32 exec_lo, exec_lo, s40
	s_mov_b32 s50, exec_lo
	v_cmpx_lt_u32_e64 v96, v3
	s_cbranch_execnz .LBB222_904
.LBB222_834:                            ;   in Loop: Header=BB222_730 Depth=2
	s_or_b32 exec_lo, exec_lo, s50
	s_mov_b32 s50, exec_lo
	v_cmpx_lt_u32_e64 v97, v3
	s_cbranch_execnz .LBB222_905
.LBB222_835:                            ;   in Loop: Header=BB222_730 Depth=2
	s_or_b32 exec_lo, exec_lo, s50
	s_mov_b32 s50, exec_lo
	v_cmpx_lt_u32_e64 v98, v3
	s_cbranch_execnz .LBB222_906
.LBB222_836:                            ;   in Loop: Header=BB222_730 Depth=2
	s_or_b32 exec_lo, exec_lo, s50
	s_mov_b32 s50, exec_lo
	v_cmpx_lt_u32_e64 v99, v3
	s_cbranch_execnz .LBB222_907
.LBB222_837:                            ;   in Loop: Header=BB222_730 Depth=2
	s_or_b32 exec_lo, exec_lo, s50
	s_mov_b32 s50, exec_lo
	v_cmpx_lt_u32_e64 v100, v3
	s_cbranch_execnz .LBB222_908
.LBB222_838:                            ;   in Loop: Header=BB222_730 Depth=2
	s_or_b32 exec_lo, exec_lo, s50
	s_mov_b32 s50, exec_lo
	v_cmpx_lt_u32_e64 v101, v3
	s_cbranch_execnz .LBB222_909
.LBB222_839:                            ;   in Loop: Header=BB222_730 Depth=2
	s_or_b32 exec_lo, exec_lo, s50
	s_mov_b32 s50, exec_lo
	v_cmpx_lt_u32_e64 v102, v3
	s_cbranch_execnz .LBB222_910
.LBB222_840:                            ;   in Loop: Header=BB222_730 Depth=2
	s_or_b32 exec_lo, exec_lo, s50
	s_mov_b32 s50, exec_lo
	v_cmpx_lt_u32_e64 v103, v3
	s_cbranch_execnz .LBB222_911
.LBB222_841:                            ;   in Loop: Header=BB222_730 Depth=2
	s_or_b32 exec_lo, exec_lo, s50
	s_mov_b32 s50, exec_lo
	v_cmpx_lt_u32_e64 v104, v3
	s_cbranch_execnz .LBB222_912
.LBB222_842:                            ;   in Loop: Header=BB222_730 Depth=2
	s_or_b32 exec_lo, exec_lo, s50
	s_mov_b32 s50, exec_lo
	v_cmpx_lt_u32_e64 v105, v3
	s_cbranch_execnz .LBB222_913
.LBB222_843:                            ;   in Loop: Header=BB222_730 Depth=2
	s_or_b32 exec_lo, exec_lo, s50
	s_mov_b32 s50, exec_lo
	v_cmpx_lt_u32_e64 v106, v3
	s_cbranch_execnz .LBB222_914
.LBB222_844:                            ;   in Loop: Header=BB222_730 Depth=2
	s_or_b32 exec_lo, exec_lo, s50
	s_mov_b32 s50, exec_lo
	v_cmpx_lt_u32_e64 v107, v3
	s_cbranch_execnz .LBB222_915
.LBB222_845:                            ;   in Loop: Header=BB222_730 Depth=2
	s_or_b32 exec_lo, exec_lo, s50
	s_mov_b32 s50, exec_lo
	v_cmpx_lt_u32_e64 v108, v3
	s_cbranch_execnz .LBB222_916
.LBB222_846:                            ;   in Loop: Header=BB222_730 Depth=2
	s_or_b32 exec_lo, exec_lo, s50
	s_mov_b32 s50, exec_lo
	v_cmpx_lt_u32_e64 v109, v3
	s_cbranch_execnz .LBB222_917
.LBB222_847:                            ;   in Loop: Header=BB222_730 Depth=2
	s_or_b32 exec_lo, exec_lo, s50
	s_mov_b32 s50, exec_lo
	v_cmpx_lt_u32_e64 v110, v3
	s_cbranch_execnz .LBB222_918
.LBB222_848:                            ;   in Loop: Header=BB222_730 Depth=2
	s_or_b32 exec_lo, exec_lo, s50
	s_mov_b32 s50, exec_lo
	v_cmpx_lt_u32_e64 v111, v3
	s_cbranch_execnz .LBB222_919
.LBB222_849:                            ;   in Loop: Header=BB222_730 Depth=2
	s_or_b32 exec_lo, exec_lo, s50
	s_and_saveexec_b32 s40, s39
	s_cbranch_execnz .LBB222_920
.LBB222_850:                            ;   in Loop: Header=BB222_730 Depth=2
	s_or_b32 exec_lo, exec_lo, s40
	s_and_saveexec_b32 s40, s38
	s_cbranch_execnz .LBB222_921
.LBB222_851:                            ;   in Loop: Header=BB222_730 Depth=2
	s_or_b32 exec_lo, exec_lo, s40
	s_and_saveexec_b32 s40, s37
	s_cbranch_execnz .LBB222_922
.LBB222_852:                            ;   in Loop: Header=BB222_730 Depth=2
	s_or_b32 exec_lo, exec_lo, s40
	s_and_saveexec_b32 s40, s36
	s_cbranch_execnz .LBB222_923
.LBB222_853:                            ;   in Loop: Header=BB222_730 Depth=2
	s_or_b32 exec_lo, exec_lo, s40
	s_and_saveexec_b32 s40, s35
	s_cbranch_execnz .LBB222_924
.LBB222_854:                            ;   in Loop: Header=BB222_730 Depth=2
	s_or_b32 exec_lo, exec_lo, s40
	s_and_saveexec_b32 s40, s34
	s_cbranch_execnz .LBB222_925
.LBB222_855:                            ;   in Loop: Header=BB222_730 Depth=2
	s_or_b32 exec_lo, exec_lo, s40
	s_and_saveexec_b32 s40, s33
	s_cbranch_execnz .LBB222_926
.LBB222_856:                            ;   in Loop: Header=BB222_730 Depth=2
	s_or_b32 exec_lo, exec_lo, s40
	s_and_saveexec_b32 s40, s31
	s_cbranch_execnz .LBB222_927
.LBB222_857:                            ;   in Loop: Header=BB222_730 Depth=2
	s_or_b32 exec_lo, exec_lo, s40
	s_and_saveexec_b32 s40, s30
	s_cbranch_execnz .LBB222_928
.LBB222_858:                            ;   in Loop: Header=BB222_730 Depth=2
	s_or_b32 exec_lo, exec_lo, s40
	s_and_saveexec_b32 s40, s29
	s_cbranch_execnz .LBB222_929
.LBB222_859:                            ;   in Loop: Header=BB222_730 Depth=2
	s_or_b32 exec_lo, exec_lo, s40
	s_and_saveexec_b32 s40, s28
	s_cbranch_execnz .LBB222_930
.LBB222_860:                            ;   in Loop: Header=BB222_730 Depth=2
	s_or_b32 exec_lo, exec_lo, s40
	s_and_saveexec_b32 s40, s27
	s_cbranch_execnz .LBB222_931
.LBB222_861:                            ;   in Loop: Header=BB222_730 Depth=2
	s_or_b32 exec_lo, exec_lo, s40
	s_and_saveexec_b32 s40, s26
	s_cbranch_execnz .LBB222_932
.LBB222_862:                            ;   in Loop: Header=BB222_730 Depth=2
	s_or_b32 exec_lo, exec_lo, s40
	s_and_saveexec_b32 s40, s25
	s_cbranch_execnz .LBB222_933
.LBB222_863:                            ;   in Loop: Header=BB222_730 Depth=2
	s_or_b32 exec_lo, exec_lo, s40
	s_and_saveexec_b32 s40, s24
	s_cbranch_execnz .LBB222_934
.LBB222_864:                            ;   in Loop: Header=BB222_730 Depth=2
	s_or_b32 exec_lo, exec_lo, s40
	s_and_saveexec_b32 s40, s23
	s_cbranch_execnz .LBB222_935
.LBB222_865:                            ;   in Loop: Header=BB222_730 Depth=2
	s_or_b32 exec_lo, exec_lo, s40
	s_and_saveexec_b32 s40, vcc_lo
	s_cbranch_execz .LBB222_867
.LBB222_866:                            ;   in Loop: Header=BB222_730 Depth=2
	ds_read_u8 v3, v0 offset:4608
	s_waitcnt lgkmcnt(0)
	v_lshrrev_b32_e32 v3, s41, v3
	v_and_b32_e32 v115, s62, v3
.LBB222_867:                            ;   in Loop: Header=BB222_730 Depth=2
	s_or_b32 exec_lo, exec_lo, s40
	v_lshlrev_b32_e32 v3, 3, v173
	v_lshlrev_b32_e32 v39, 3, v170
	s_waitcnt vmcnt(0)
	s_waitcnt_vscnt null, 0x0
	s_barrier
	buffer_gl0_inv
	ds_write_b64 v3, v[37:38] offset:512
	ds_write_b64 v39, v[35:36] offset:512
	v_lshlrev_b32_e32 v3, 3, v167
	v_lshlrev_b32_e32 v39, 3, v164
	v_lshlrev_b32_e32 v40, 3, v161
	v_lshlrev_b32_e32 v134, 3, v160
	v_lshlrev_b32_e32 v135, 3, v159
	ds_write_b64 v3, v[33:34] offset:512
	ds_write_b64 v39, v[31:32] offset:512
	ds_write_b64 v40, v[29:30] offset:512
	ds_write_b64 v134, v[25:26] offset:512
	ds_write_b64 v135, v[21:22] offset:512
	v_lshlrev_b32_e32 v3, 3, v158
	v_lshlrev_b32_e32 v39, 3, v157
	v_lshlrev_b32_e32 v40, 3, v156
	v_lshlrev_b32_e32 v134, 3, v155
	v_lshlrev_b32_e32 v135, 3, v154
	ds_write_b64 v3, v[17:18] offset:512
	ds_write_b64 v39, v[27:28] offset:512
	ds_write_b64 v40, v[23:24] offset:512
	;; [unrolled: 10-line block ×3, first 2 shown]
	ds_write_b64 v42, v[7:8] offset:512
	ds_write_b64 v41, v[5:6] offset:512
	s_waitcnt lgkmcnt(0)
	s_barrier
	buffer_gl0_inv
	s_and_saveexec_b32 s40, s39
	s_cbranch_execnz .LBB222_936
; %bb.868:                              ;   in Loop: Header=BB222_730 Depth=2
	s_or_b32 exec_lo, exec_lo, s40
	s_and_saveexec_b32 s39, s38
	s_cbranch_execnz .LBB222_937
.LBB222_869:                            ;   in Loop: Header=BB222_730 Depth=2
	s_or_b32 exec_lo, exec_lo, s39
	s_and_saveexec_b32 s38, s37
	s_cbranch_execnz .LBB222_938
.LBB222_870:                            ;   in Loop: Header=BB222_730 Depth=2
	s_or_b32 exec_lo, exec_lo, s38
	s_and_saveexec_b32 s37, s36
	s_cbranch_execnz .LBB222_939
.LBB222_871:                            ;   in Loop: Header=BB222_730 Depth=2
	s_or_b32 exec_lo, exec_lo, s37
	s_and_saveexec_b32 s36, s35
	s_cbranch_execnz .LBB222_940
.LBB222_872:                            ;   in Loop: Header=BB222_730 Depth=2
	s_or_b32 exec_lo, exec_lo, s36
	s_and_saveexec_b32 s35, s34
	s_cbranch_execnz .LBB222_941
.LBB222_873:                            ;   in Loop: Header=BB222_730 Depth=2
	s_or_b32 exec_lo, exec_lo, s35
	s_and_saveexec_b32 s34, s33
	s_cbranch_execnz .LBB222_942
.LBB222_874:                            ;   in Loop: Header=BB222_730 Depth=2
	s_or_b32 exec_lo, exec_lo, s34
	s_and_saveexec_b32 s33, s31
	s_cbranch_execnz .LBB222_943
.LBB222_875:                            ;   in Loop: Header=BB222_730 Depth=2
	s_or_b32 exec_lo, exec_lo, s33
	s_and_saveexec_b32 s31, s30
	s_cbranch_execnz .LBB222_944
.LBB222_876:                            ;   in Loop: Header=BB222_730 Depth=2
	s_or_b32 exec_lo, exec_lo, s31
	s_and_saveexec_b32 s30, s29
	s_cbranch_execnz .LBB222_945
.LBB222_877:                            ;   in Loop: Header=BB222_730 Depth=2
	s_or_b32 exec_lo, exec_lo, s30
	s_and_saveexec_b32 s29, s28
	s_cbranch_execnz .LBB222_946
.LBB222_878:                            ;   in Loop: Header=BB222_730 Depth=2
	s_or_b32 exec_lo, exec_lo, s29
	s_and_saveexec_b32 s28, s27
	s_cbranch_execnz .LBB222_947
.LBB222_879:                            ;   in Loop: Header=BB222_730 Depth=2
	s_or_b32 exec_lo, exec_lo, s28
	s_and_saveexec_b32 s27, s26
	s_cbranch_execnz .LBB222_948
.LBB222_880:                            ;   in Loop: Header=BB222_730 Depth=2
	s_or_b32 exec_lo, exec_lo, s27
	s_and_saveexec_b32 s26, s25
	s_cbranch_execnz .LBB222_949
.LBB222_881:                            ;   in Loop: Header=BB222_730 Depth=2
	s_or_b32 exec_lo, exec_lo, s26
	s_and_saveexec_b32 s25, s24
	s_cbranch_execnz .LBB222_950
.LBB222_882:                            ;   in Loop: Header=BB222_730 Depth=2
	s_or_b32 exec_lo, exec_lo, s25
	s_and_saveexec_b32 s24, s23
	s_cbranch_execnz .LBB222_951
.LBB222_883:                            ;   in Loop: Header=BB222_730 Depth=2
	s_or_b32 exec_lo, exec_lo, s24
	s_and_saveexec_b32 s23, vcc_lo
	s_cbranch_execz .LBB222_885
.LBB222_884:                            ;   in Loop: Header=BB222_730 Depth=2
	v_lshlrev_b32_e32 v3, 2, v115
	v_add_nc_u32_e32 v39, v0, v75
	ds_read_b32 v3, v3
	ds_read_b64 v[39:40], v39 offset:33280
	s_waitcnt lgkmcnt(1)
	v_add_nc_u32_e32 v3, v3, v61
	v_lshlrev_b64 v[41:42], 3, v[3:4]
	v_add_co_u32 v41, vcc_lo, s52, v41
	v_add_co_ci_u32_e64 v42, null, s53, v42, vcc_lo
	s_waitcnt lgkmcnt(0)
	global_store_dwordx2 v[41:42], v[39:40], off
.LBB222_885:                            ;   in Loop: Header=BB222_730 Depth=2
	s_or_b32 exec_lo, exec_lo, s23
	s_waitcnt_vscnt null, 0x0
	s_barrier
	buffer_gl0_inv
	s_and_saveexec_b32 s23, s8
	s_cbranch_execz .LBB222_729
; %bb.886:                              ;   in Loop: Header=BB222_730 Depth=2
	ds_read_b32 v3, v43
	s_waitcnt lgkmcnt(0)
	v_add3_u32 v3, v132, v133, v3
	ds_write_b32 v43, v3
	s_branch .LBB222_729
.LBB222_887:                            ;   in Loop: Header=BB222_730 Depth=2
	ds_read_u8 v39, v0 offset:512
	s_waitcnt lgkmcnt(0)
	v_lshrrev_b32_sdwa v40, s41, v39 dst_sel:DWORD dst_unused:UNUSED_PAD src0_sel:DWORD src1_sel:BYTE_0
	v_and_b32_e32 v40, s62, v40
	v_lshlrev_b32_e32 v40, 2, v40
	ds_read_b32 v40, v40
	s_waitcnt lgkmcnt(0)
	v_add_nc_u32_e32 v40, v40, v0
	global_store_byte v40, v39, s[46:47]
	s_or_b32 exec_lo, exec_lo, s23
	v_cmp_lt_u32_e64 s38, v44, v3
	s_and_saveexec_b32 s23, s38
	s_cbranch_execz .LBB222_816
.LBB222_888:                            ;   in Loop: Header=BB222_730 Depth=2
	ds_read_u8 v39, v0 offset:768
	s_waitcnt lgkmcnt(0)
	v_lshrrev_b32_sdwa v40, s41, v39 dst_sel:DWORD dst_unused:UNUSED_PAD src0_sel:DWORD src1_sel:BYTE_0
	v_and_b32_e32 v40, s62, v40
	v_lshlrev_b32_e32 v40, 2, v40
	ds_read_b32 v40, v40
	s_waitcnt lgkmcnt(0)
	v_add_nc_u32_e32 v40, v40, v44
	global_store_byte v40, v39, s[46:47]
	s_or_b32 exec_lo, exec_lo, s23
	v_cmp_lt_u32_e64 s37, v47, v3
	s_and_saveexec_b32 s23, s37
	s_cbranch_execz .LBB222_817
.LBB222_889:                            ;   in Loop: Header=BB222_730 Depth=2
	ds_read_u8 v39, v0 offset:1024
	s_waitcnt lgkmcnt(0)
	v_lshrrev_b32_sdwa v40, s41, v39 dst_sel:DWORD dst_unused:UNUSED_PAD src0_sel:DWORD src1_sel:BYTE_0
	v_and_b32_e32 v40, s62, v40
	v_lshlrev_b32_e32 v40, 2, v40
	ds_read_b32 v40, v40
	s_waitcnt lgkmcnt(0)
	v_add_nc_u32_e32 v40, v40, v47
	global_store_byte v40, v39, s[46:47]
	s_or_b32 exec_lo, exec_lo, s23
	v_cmp_lt_u32_e64 s36, v48, v3
	s_and_saveexec_b32 s23, s36
	s_cbranch_execz .LBB222_818
.LBB222_890:                            ;   in Loop: Header=BB222_730 Depth=2
	ds_read_u8 v39, v0 offset:1280
	s_waitcnt lgkmcnt(0)
	v_lshrrev_b32_sdwa v40, s41, v39 dst_sel:DWORD dst_unused:UNUSED_PAD src0_sel:DWORD src1_sel:BYTE_0
	v_and_b32_e32 v40, s62, v40
	v_lshlrev_b32_e32 v40, 2, v40
	ds_read_b32 v40, v40
	s_waitcnt lgkmcnt(0)
	v_add_nc_u32_e32 v40, v40, v48
	global_store_byte v40, v39, s[46:47]
	s_or_b32 exec_lo, exec_lo, s23
	v_cmp_lt_u32_e64 s35, v49, v3
	s_and_saveexec_b32 s23, s35
	s_cbranch_execz .LBB222_819
.LBB222_891:                            ;   in Loop: Header=BB222_730 Depth=2
	ds_read_u8 v39, v0 offset:1536
	s_waitcnt lgkmcnt(0)
	v_lshrrev_b32_sdwa v40, s41, v39 dst_sel:DWORD dst_unused:UNUSED_PAD src0_sel:DWORD src1_sel:BYTE_0
	v_and_b32_e32 v40, s62, v40
	v_lshlrev_b32_e32 v40, 2, v40
	ds_read_b32 v40, v40
	s_waitcnt lgkmcnt(0)
	v_add_nc_u32_e32 v40, v40, v49
	global_store_byte v40, v39, s[46:47]
	s_or_b32 exec_lo, exec_lo, s23
	v_cmp_lt_u32_e64 s34, v50, v3
	s_and_saveexec_b32 s23, s34
	s_cbranch_execz .LBB222_820
.LBB222_892:                            ;   in Loop: Header=BB222_730 Depth=2
	ds_read_u8 v39, v0 offset:1792
	s_waitcnt lgkmcnt(0)
	v_lshrrev_b32_sdwa v40, s41, v39 dst_sel:DWORD dst_unused:UNUSED_PAD src0_sel:DWORD src1_sel:BYTE_0
	v_and_b32_e32 v40, s62, v40
	v_lshlrev_b32_e32 v40, 2, v40
	ds_read_b32 v40, v40
	s_waitcnt lgkmcnt(0)
	v_add_nc_u32_e32 v40, v40, v50
	global_store_byte v40, v39, s[46:47]
	s_or_b32 exec_lo, exec_lo, s23
	v_cmp_lt_u32_e64 s33, v51, v3
	s_and_saveexec_b32 s23, s33
	s_cbranch_execz .LBB222_821
.LBB222_893:                            ;   in Loop: Header=BB222_730 Depth=2
	ds_read_u8 v39, v0 offset:2048
	s_waitcnt lgkmcnt(0)
	v_lshrrev_b32_sdwa v40, s41, v39 dst_sel:DWORD dst_unused:UNUSED_PAD src0_sel:DWORD src1_sel:BYTE_0
	v_and_b32_e32 v40, s62, v40
	v_lshlrev_b32_e32 v40, 2, v40
	ds_read_b32 v40, v40
	s_waitcnt lgkmcnt(0)
	v_add_nc_u32_e32 v40, v40, v51
	global_store_byte v40, v39, s[46:47]
	s_or_b32 exec_lo, exec_lo, s23
	v_cmp_lt_u32_e64 s31, v52, v3
	s_and_saveexec_b32 s23, s31
	s_cbranch_execz .LBB222_822
.LBB222_894:                            ;   in Loop: Header=BB222_730 Depth=2
	ds_read_u8 v39, v0 offset:2304
	s_waitcnt lgkmcnt(0)
	v_lshrrev_b32_sdwa v40, s41, v39 dst_sel:DWORD dst_unused:UNUSED_PAD src0_sel:DWORD src1_sel:BYTE_0
	v_and_b32_e32 v40, s62, v40
	v_lshlrev_b32_e32 v40, 2, v40
	ds_read_b32 v40, v40
	s_waitcnt lgkmcnt(0)
	v_add_nc_u32_e32 v40, v40, v52
	global_store_byte v40, v39, s[46:47]
	s_or_b32 exec_lo, exec_lo, s23
	v_cmp_lt_u32_e64 s30, v53, v3
	s_and_saveexec_b32 s23, s30
	s_cbranch_execz .LBB222_823
.LBB222_895:                            ;   in Loop: Header=BB222_730 Depth=2
	ds_read_u8 v39, v0 offset:2560
	s_waitcnt lgkmcnt(0)
	v_lshrrev_b32_sdwa v40, s41, v39 dst_sel:DWORD dst_unused:UNUSED_PAD src0_sel:DWORD src1_sel:BYTE_0
	v_and_b32_e32 v40, s62, v40
	v_lshlrev_b32_e32 v40, 2, v40
	ds_read_b32 v40, v40
	s_waitcnt lgkmcnt(0)
	v_add_nc_u32_e32 v40, v40, v53
	global_store_byte v40, v39, s[46:47]
	s_or_b32 exec_lo, exec_lo, s23
	v_cmp_lt_u32_e64 s29, v54, v3
	s_and_saveexec_b32 s23, s29
	s_cbranch_execz .LBB222_824
.LBB222_896:                            ;   in Loop: Header=BB222_730 Depth=2
	ds_read_u8 v39, v0 offset:2816
	s_waitcnt lgkmcnt(0)
	v_lshrrev_b32_sdwa v40, s41, v39 dst_sel:DWORD dst_unused:UNUSED_PAD src0_sel:DWORD src1_sel:BYTE_0
	v_and_b32_e32 v40, s62, v40
	v_lshlrev_b32_e32 v40, 2, v40
	ds_read_b32 v40, v40
	s_waitcnt lgkmcnt(0)
	v_add_nc_u32_e32 v40, v40, v54
	global_store_byte v40, v39, s[46:47]
	s_or_b32 exec_lo, exec_lo, s23
	v_cmp_lt_u32_e64 s28, v55, v3
	s_and_saveexec_b32 s23, s28
	s_cbranch_execz .LBB222_825
.LBB222_897:                            ;   in Loop: Header=BB222_730 Depth=2
	ds_read_u8 v39, v0 offset:3072
	s_waitcnt lgkmcnt(0)
	v_lshrrev_b32_sdwa v40, s41, v39 dst_sel:DWORD dst_unused:UNUSED_PAD src0_sel:DWORD src1_sel:BYTE_0
	v_and_b32_e32 v40, s62, v40
	v_lshlrev_b32_e32 v40, 2, v40
	ds_read_b32 v40, v40
	s_waitcnt lgkmcnt(0)
	v_add_nc_u32_e32 v40, v40, v55
	global_store_byte v40, v39, s[46:47]
	s_or_b32 exec_lo, exec_lo, s23
	v_cmp_lt_u32_e64 s27, v56, v3
	s_and_saveexec_b32 s23, s27
	s_cbranch_execz .LBB222_826
.LBB222_898:                            ;   in Loop: Header=BB222_730 Depth=2
	ds_read_u8 v39, v0 offset:3328
	s_waitcnt lgkmcnt(0)
	v_lshrrev_b32_sdwa v40, s41, v39 dst_sel:DWORD dst_unused:UNUSED_PAD src0_sel:DWORD src1_sel:BYTE_0
	v_and_b32_e32 v40, s62, v40
	v_lshlrev_b32_e32 v40, 2, v40
	ds_read_b32 v40, v40
	s_waitcnt lgkmcnt(0)
	v_add_nc_u32_e32 v40, v40, v56
	global_store_byte v40, v39, s[46:47]
	s_or_b32 exec_lo, exec_lo, s23
	v_cmp_lt_u32_e64 s26, v57, v3
	s_and_saveexec_b32 s23, s26
	s_cbranch_execz .LBB222_827
.LBB222_899:                            ;   in Loop: Header=BB222_730 Depth=2
	ds_read_u8 v39, v0 offset:3584
	s_waitcnt lgkmcnt(0)
	v_lshrrev_b32_sdwa v40, s41, v39 dst_sel:DWORD dst_unused:UNUSED_PAD src0_sel:DWORD src1_sel:BYTE_0
	v_and_b32_e32 v40, s62, v40
	v_lshlrev_b32_e32 v40, 2, v40
	ds_read_b32 v40, v40
	s_waitcnt lgkmcnt(0)
	v_add_nc_u32_e32 v40, v40, v57
	global_store_byte v40, v39, s[46:47]
	s_or_b32 exec_lo, exec_lo, s23
	v_cmp_lt_u32_e64 s25, v58, v3
	s_and_saveexec_b32 s23, s25
	s_cbranch_execz .LBB222_828
.LBB222_900:                            ;   in Loop: Header=BB222_730 Depth=2
	ds_read_u8 v39, v0 offset:3840
	s_waitcnt lgkmcnt(0)
	v_lshrrev_b32_sdwa v40, s41, v39 dst_sel:DWORD dst_unused:UNUSED_PAD src0_sel:DWORD src1_sel:BYTE_0
	v_and_b32_e32 v40, s62, v40
	v_lshlrev_b32_e32 v40, 2, v40
	ds_read_b32 v40, v40
	s_waitcnt lgkmcnt(0)
	v_add_nc_u32_e32 v40, v40, v58
	global_store_byte v40, v39, s[46:47]
	s_or_b32 exec_lo, exec_lo, s23
	v_cmp_lt_u32_e64 s24, v59, v3
	s_and_saveexec_b32 s23, s24
	s_cbranch_execz .LBB222_829
.LBB222_901:                            ;   in Loop: Header=BB222_730 Depth=2
	ds_read_u8 v39, v0 offset:4096
	s_waitcnt lgkmcnt(0)
	v_lshrrev_b32_sdwa v40, s41, v39 dst_sel:DWORD dst_unused:UNUSED_PAD src0_sel:DWORD src1_sel:BYTE_0
	v_and_b32_e32 v40, s62, v40
	v_lshlrev_b32_e32 v40, 2, v40
	ds_read_b32 v40, v40
	s_waitcnt lgkmcnt(0)
	v_add_nc_u32_e32 v40, v40, v59
	global_store_byte v40, v39, s[46:47]
	s_or_b32 exec_lo, exec_lo, s23
	v_cmp_lt_u32_e64 s23, v60, v3
	s_and_saveexec_b32 s40, s23
	s_cbranch_execz .LBB222_830
.LBB222_902:                            ;   in Loop: Header=BB222_730 Depth=2
	ds_read_u8 v39, v0 offset:4352
	s_waitcnt lgkmcnt(0)
	v_lshrrev_b32_sdwa v40, s41, v39 dst_sel:DWORD dst_unused:UNUSED_PAD src0_sel:DWORD src1_sel:BYTE_0
	v_and_b32_e32 v40, s62, v40
	v_lshlrev_b32_e32 v40, 2, v40
	ds_read_b32 v40, v40
	s_waitcnt lgkmcnt(0)
	v_add_nc_u32_e32 v40, v40, v60
	global_store_byte v40, v39, s[46:47]
	s_or_b32 exec_lo, exec_lo, s40
	v_cmp_lt_u32_e32 vcc_lo, v61, v3
	s_and_saveexec_b32 s40, vcc_lo
	s_cbranch_execnz .LBB222_831
	s_branch .LBB222_832
.LBB222_903:                            ;   in Loop: Header=BB222_730 Depth=2
	global_load_dwordx2 v[37:38], v[39:40], off
	s_or_b32 exec_lo, exec_lo, s40
	s_mov_b32 s50, exec_lo
	v_cmpx_lt_u32_e64 v96, v3
	s_cbranch_execz .LBB222_834
.LBB222_904:                            ;   in Loop: Header=BB222_730 Depth=2
	global_load_dwordx2 v[35:36], v[39:40], off offset:256
	s_or_b32 exec_lo, exec_lo, s50
	s_mov_b32 s50, exec_lo
	v_cmpx_lt_u32_e64 v97, v3
	s_cbranch_execz .LBB222_835
.LBB222_905:                            ;   in Loop: Header=BB222_730 Depth=2
	global_load_dwordx2 v[33:34], v[39:40], off offset:512
	s_or_b32 exec_lo, exec_lo, s50
	s_mov_b32 s50, exec_lo
	v_cmpx_lt_u32_e64 v98, v3
	s_cbranch_execz .LBB222_836
.LBB222_906:                            ;   in Loop: Header=BB222_730 Depth=2
	global_load_dwordx2 v[31:32], v[39:40], off offset:768
	s_or_b32 exec_lo, exec_lo, s50
	s_mov_b32 s50, exec_lo
	v_cmpx_lt_u32_e64 v99, v3
	s_cbranch_execz .LBB222_837
.LBB222_907:                            ;   in Loop: Header=BB222_730 Depth=2
	global_load_dwordx2 v[29:30], v[39:40], off offset:1024
	s_or_b32 exec_lo, exec_lo, s50
	s_mov_b32 s50, exec_lo
	v_cmpx_lt_u32_e64 v100, v3
	s_cbranch_execz .LBB222_838
.LBB222_908:                            ;   in Loop: Header=BB222_730 Depth=2
	global_load_dwordx2 v[25:26], v[39:40], off offset:1280
	s_or_b32 exec_lo, exec_lo, s50
	s_mov_b32 s50, exec_lo
	v_cmpx_lt_u32_e64 v101, v3
	s_cbranch_execz .LBB222_839
.LBB222_909:                            ;   in Loop: Header=BB222_730 Depth=2
	global_load_dwordx2 v[21:22], v[39:40], off offset:1536
	s_or_b32 exec_lo, exec_lo, s50
	s_mov_b32 s50, exec_lo
	v_cmpx_lt_u32_e64 v102, v3
	s_cbranch_execz .LBB222_840
.LBB222_910:                            ;   in Loop: Header=BB222_730 Depth=2
	global_load_dwordx2 v[17:18], v[39:40], off offset:1792
	s_or_b32 exec_lo, exec_lo, s50
	s_mov_b32 s50, exec_lo
	v_cmpx_lt_u32_e64 v103, v3
	s_cbranch_execz .LBB222_841
.LBB222_911:                            ;   in Loop: Header=BB222_730 Depth=2
	v_add_co_u32 v27, s40, 0x800, v39
	v_add_co_ci_u32_e64 v28, null, 0, v40, s40
	global_load_dwordx2 v[27:28], v[27:28], off
	s_or_b32 exec_lo, exec_lo, s50
	s_mov_b32 s50, exec_lo
	v_cmpx_lt_u32_e64 v104, v3
	s_cbranch_execz .LBB222_842
.LBB222_912:                            ;   in Loop: Header=BB222_730 Depth=2
	v_add_co_u32 v23, s40, 0x800, v39
	v_add_co_ci_u32_e64 v24, null, 0, v40, s40
	global_load_dwordx2 v[23:24], v[23:24], off offset:256
	s_or_b32 exec_lo, exec_lo, s50
	s_mov_b32 s50, exec_lo
	v_cmpx_lt_u32_e64 v105, v3
	s_cbranch_execz .LBB222_843
.LBB222_913:                            ;   in Loop: Header=BB222_730 Depth=2
	v_add_co_u32 v19, s40, 0x800, v39
	v_add_co_ci_u32_e64 v20, null, 0, v40, s40
	global_load_dwordx2 v[19:20], v[19:20], off offset:512
	s_or_b32 exec_lo, exec_lo, s50
	s_mov_b32 s50, exec_lo
	v_cmpx_lt_u32_e64 v106, v3
	s_cbranch_execz .LBB222_844
.LBB222_914:                            ;   in Loop: Header=BB222_730 Depth=2
	v_add_co_u32 v15, s40, 0x800, v39
	v_add_co_ci_u32_e64 v16, null, 0, v40, s40
	global_load_dwordx2 v[15:16], v[15:16], off offset:768
	s_or_b32 exec_lo, exec_lo, s50
	s_mov_b32 s50, exec_lo
	v_cmpx_lt_u32_e64 v107, v3
	s_cbranch_execz .LBB222_845
.LBB222_915:                            ;   in Loop: Header=BB222_730 Depth=2
	v_add_co_u32 v13, s40, 0x800, v39
	v_add_co_ci_u32_e64 v14, null, 0, v40, s40
	global_load_dwordx2 v[13:14], v[13:14], off offset:1024
	s_or_b32 exec_lo, exec_lo, s50
	s_mov_b32 s50, exec_lo
	v_cmpx_lt_u32_e64 v108, v3
	s_cbranch_execz .LBB222_846
.LBB222_916:                            ;   in Loop: Header=BB222_730 Depth=2
	v_add_co_u32 v11, s40, 0x800, v39
	v_add_co_ci_u32_e64 v12, null, 0, v40, s40
	global_load_dwordx2 v[11:12], v[11:12], off offset:1280
	s_or_b32 exec_lo, exec_lo, s50
	s_mov_b32 s50, exec_lo
	v_cmpx_lt_u32_e64 v109, v3
	s_cbranch_execz .LBB222_847
.LBB222_917:                            ;   in Loop: Header=BB222_730 Depth=2
	v_add_co_u32 v9, s40, 0x800, v39
	v_add_co_ci_u32_e64 v10, null, 0, v40, s40
	global_load_dwordx2 v[9:10], v[9:10], off offset:1536
	s_or_b32 exec_lo, exec_lo, s50
	s_mov_b32 s50, exec_lo
	v_cmpx_lt_u32_e64 v110, v3
	s_cbranch_execz .LBB222_848
.LBB222_918:                            ;   in Loop: Header=BB222_730 Depth=2
	v_add_co_u32 v7, s40, 0x800, v39
	v_add_co_ci_u32_e64 v8, null, 0, v40, s40
	global_load_dwordx2 v[7:8], v[7:8], off offset:1792
	s_or_b32 exec_lo, exec_lo, s50
	s_mov_b32 s50, exec_lo
	v_cmpx_lt_u32_e64 v111, v3
	s_cbranch_execz .LBB222_849
.LBB222_919:                            ;   in Loop: Header=BB222_730 Depth=2
	v_add_co_u32 v5, s40, 0x1000, v39
	v_add_co_ci_u32_e64 v6, null, 0, v40, s40
	global_load_dwordx2 v[5:6], v[5:6], off
	s_or_b32 exec_lo, exec_lo, s50
	s_and_saveexec_b32 s40, s39
	s_cbranch_execz .LBB222_850
.LBB222_920:                            ;   in Loop: Header=BB222_730 Depth=2
	ds_read_u8 v3, v0 offset:512
	s_waitcnt lgkmcnt(0)
	v_lshrrev_b32_e32 v3, s41, v3
	v_and_b32_e32 v131, s62, v3
	s_or_b32 exec_lo, exec_lo, s40
	s_and_saveexec_b32 s40, s38
	s_cbranch_execz .LBB222_851
.LBB222_921:                            ;   in Loop: Header=BB222_730 Depth=2
	ds_read_u8 v3, v0 offset:768
	s_waitcnt lgkmcnt(0)
	v_lshrrev_b32_e32 v3, s41, v3
	v_and_b32_e32 v130, s62, v3
	s_or_b32 exec_lo, exec_lo, s40
	s_and_saveexec_b32 s40, s37
	s_cbranch_execz .LBB222_852
.LBB222_922:                            ;   in Loop: Header=BB222_730 Depth=2
	ds_read_u8 v3, v0 offset:1024
	s_waitcnt lgkmcnt(0)
	v_lshrrev_b32_e32 v3, s41, v3
	v_and_b32_e32 v129, s62, v3
	s_or_b32 exec_lo, exec_lo, s40
	s_and_saveexec_b32 s40, s36
	s_cbranch_execz .LBB222_853
.LBB222_923:                            ;   in Loop: Header=BB222_730 Depth=2
	ds_read_u8 v3, v0 offset:1280
	s_waitcnt lgkmcnt(0)
	v_lshrrev_b32_e32 v3, s41, v3
	v_and_b32_e32 v128, s62, v3
	s_or_b32 exec_lo, exec_lo, s40
	s_and_saveexec_b32 s40, s35
	s_cbranch_execz .LBB222_854
.LBB222_924:                            ;   in Loop: Header=BB222_730 Depth=2
	ds_read_u8 v3, v0 offset:1536
	s_waitcnt lgkmcnt(0)
	v_lshrrev_b32_e32 v3, s41, v3
	v_and_b32_e32 v127, s62, v3
	s_or_b32 exec_lo, exec_lo, s40
	s_and_saveexec_b32 s40, s34
	s_cbranch_execz .LBB222_855
.LBB222_925:                            ;   in Loop: Header=BB222_730 Depth=2
	ds_read_u8 v3, v0 offset:1792
	s_waitcnt lgkmcnt(0)
	v_lshrrev_b32_e32 v3, s41, v3
	v_and_b32_e32 v126, s62, v3
	s_or_b32 exec_lo, exec_lo, s40
	s_and_saveexec_b32 s40, s33
	s_cbranch_execz .LBB222_856
.LBB222_926:                            ;   in Loop: Header=BB222_730 Depth=2
	ds_read_u8 v3, v0 offset:2048
	s_waitcnt lgkmcnt(0)
	v_lshrrev_b32_e32 v3, s41, v3
	v_and_b32_e32 v125, s62, v3
	s_or_b32 exec_lo, exec_lo, s40
	s_and_saveexec_b32 s40, s31
	s_cbranch_execz .LBB222_857
.LBB222_927:                            ;   in Loop: Header=BB222_730 Depth=2
	ds_read_u8 v3, v0 offset:2304
	s_waitcnt lgkmcnt(0)
	v_lshrrev_b32_e32 v3, s41, v3
	v_and_b32_e32 v124, s62, v3
	s_or_b32 exec_lo, exec_lo, s40
	s_and_saveexec_b32 s40, s30
	s_cbranch_execz .LBB222_858
.LBB222_928:                            ;   in Loop: Header=BB222_730 Depth=2
	ds_read_u8 v3, v0 offset:2560
	s_waitcnt lgkmcnt(0)
	v_lshrrev_b32_e32 v3, s41, v3
	v_and_b32_e32 v123, s62, v3
	s_or_b32 exec_lo, exec_lo, s40
	s_and_saveexec_b32 s40, s29
	s_cbranch_execz .LBB222_859
.LBB222_929:                            ;   in Loop: Header=BB222_730 Depth=2
	ds_read_u8 v3, v0 offset:2816
	s_waitcnt lgkmcnt(0)
	v_lshrrev_b32_e32 v3, s41, v3
	v_and_b32_e32 v122, s62, v3
	s_or_b32 exec_lo, exec_lo, s40
	s_and_saveexec_b32 s40, s28
	s_cbranch_execz .LBB222_860
.LBB222_930:                            ;   in Loop: Header=BB222_730 Depth=2
	ds_read_u8 v3, v0 offset:3072
	s_waitcnt lgkmcnt(0)
	v_lshrrev_b32_e32 v3, s41, v3
	v_and_b32_e32 v121, s62, v3
	s_or_b32 exec_lo, exec_lo, s40
	s_and_saveexec_b32 s40, s27
	s_cbranch_execz .LBB222_861
.LBB222_931:                            ;   in Loop: Header=BB222_730 Depth=2
	ds_read_u8 v3, v0 offset:3328
	s_waitcnt lgkmcnt(0)
	v_lshrrev_b32_e32 v3, s41, v3
	v_and_b32_e32 v120, s62, v3
	s_or_b32 exec_lo, exec_lo, s40
	s_and_saveexec_b32 s40, s26
	s_cbranch_execz .LBB222_862
.LBB222_932:                            ;   in Loop: Header=BB222_730 Depth=2
	ds_read_u8 v3, v0 offset:3584
	s_waitcnt lgkmcnt(0)
	v_lshrrev_b32_e32 v3, s41, v3
	v_and_b32_e32 v119, s62, v3
	s_or_b32 exec_lo, exec_lo, s40
	s_and_saveexec_b32 s40, s25
	s_cbranch_execz .LBB222_863
.LBB222_933:                            ;   in Loop: Header=BB222_730 Depth=2
	ds_read_u8 v3, v0 offset:3840
	s_waitcnt lgkmcnt(0)
	v_lshrrev_b32_e32 v3, s41, v3
	v_and_b32_e32 v118, s62, v3
	s_or_b32 exec_lo, exec_lo, s40
	s_and_saveexec_b32 s40, s24
	s_cbranch_execz .LBB222_864
.LBB222_934:                            ;   in Loop: Header=BB222_730 Depth=2
	ds_read_u8 v3, v0 offset:4096
	s_waitcnt lgkmcnt(0)
	v_lshrrev_b32_e32 v3, s41, v3
	v_and_b32_e32 v117, s62, v3
	s_or_b32 exec_lo, exec_lo, s40
	s_and_saveexec_b32 s40, s23
	s_cbranch_execz .LBB222_865
.LBB222_935:                            ;   in Loop: Header=BB222_730 Depth=2
	ds_read_u8 v3, v0 offset:4352
	s_waitcnt lgkmcnt(0)
	v_lshrrev_b32_e32 v3, s41, v3
	v_and_b32_e32 v116, s62, v3
	s_or_b32 exec_lo, exec_lo, s40
	s_and_saveexec_b32 s40, vcc_lo
	s_cbranch_execnz .LBB222_866
	s_branch .LBB222_867
.LBB222_936:                            ;   in Loop: Header=BB222_730 Depth=2
	v_lshlrev_b32_e32 v3, 2, v131
	v_add_nc_u32_e32 v39, v0, v75
	ds_read_b32 v3, v3
	ds_read_b64 v[39:40], v39 offset:512
	s_waitcnt lgkmcnt(1)
	v_add_nc_u32_e32 v3, v3, v0
	v_lshlrev_b64 v[41:42], 3, v[3:4]
	v_add_co_u32 v41, s39, s52, v41
	v_add_co_ci_u32_e64 v42, null, s53, v42, s39
	s_waitcnt lgkmcnt(0)
	global_store_dwordx2 v[41:42], v[39:40], off
	s_or_b32 exec_lo, exec_lo, s40
	s_and_saveexec_b32 s39, s38
	s_cbranch_execz .LBB222_869
.LBB222_937:                            ;   in Loop: Header=BB222_730 Depth=2
	v_lshlrev_b32_e32 v3, 2, v130
	v_add_nc_u32_e32 v39, v0, v75
	ds_read_b32 v3, v3
	ds_read_b64 v[39:40], v39 offset:2560
	s_waitcnt lgkmcnt(1)
	v_add_nc_u32_e32 v3, v3, v44
	v_lshlrev_b64 v[41:42], 3, v[3:4]
	v_add_co_u32 v41, s38, s52, v41
	v_add_co_ci_u32_e64 v42, null, s53, v42, s38
	s_waitcnt lgkmcnt(0)
	global_store_dwordx2 v[41:42], v[39:40], off
	s_or_b32 exec_lo, exec_lo, s39
	s_and_saveexec_b32 s38, s37
	s_cbranch_execz .LBB222_870
.LBB222_938:                            ;   in Loop: Header=BB222_730 Depth=2
	v_lshlrev_b32_e32 v3, 2, v129
	v_add_nc_u32_e32 v39, v0, v75
	ds_read_b32 v3, v3
	ds_read_b64 v[39:40], v39 offset:4608
	s_waitcnt lgkmcnt(1)
	v_add_nc_u32_e32 v3, v3, v47
	v_lshlrev_b64 v[41:42], 3, v[3:4]
	v_add_co_u32 v41, s37, s52, v41
	v_add_co_ci_u32_e64 v42, null, s53, v42, s37
	s_waitcnt lgkmcnt(0)
	global_store_dwordx2 v[41:42], v[39:40], off
	s_or_b32 exec_lo, exec_lo, s38
	s_and_saveexec_b32 s37, s36
	s_cbranch_execz .LBB222_871
.LBB222_939:                            ;   in Loop: Header=BB222_730 Depth=2
	v_lshlrev_b32_e32 v3, 2, v128
	v_add_nc_u32_e32 v39, v0, v75
	ds_read_b32 v3, v3
	ds_read_b64 v[39:40], v39 offset:6656
	s_waitcnt lgkmcnt(1)
	v_add_nc_u32_e32 v3, v3, v48
	v_lshlrev_b64 v[41:42], 3, v[3:4]
	v_add_co_u32 v41, s36, s52, v41
	v_add_co_ci_u32_e64 v42, null, s53, v42, s36
	s_waitcnt lgkmcnt(0)
	global_store_dwordx2 v[41:42], v[39:40], off
	s_or_b32 exec_lo, exec_lo, s37
	s_and_saveexec_b32 s36, s35
	s_cbranch_execz .LBB222_872
.LBB222_940:                            ;   in Loop: Header=BB222_730 Depth=2
	v_lshlrev_b32_e32 v3, 2, v127
	v_add_nc_u32_e32 v39, v0, v75
	ds_read_b32 v3, v3
	ds_read_b64 v[39:40], v39 offset:8704
	s_waitcnt lgkmcnt(1)
	v_add_nc_u32_e32 v3, v3, v49
	v_lshlrev_b64 v[41:42], 3, v[3:4]
	v_add_co_u32 v41, s35, s52, v41
	v_add_co_ci_u32_e64 v42, null, s53, v42, s35
	s_waitcnt lgkmcnt(0)
	global_store_dwordx2 v[41:42], v[39:40], off
	s_or_b32 exec_lo, exec_lo, s36
	s_and_saveexec_b32 s35, s34
	s_cbranch_execz .LBB222_873
.LBB222_941:                            ;   in Loop: Header=BB222_730 Depth=2
	v_lshlrev_b32_e32 v3, 2, v126
	v_add_nc_u32_e32 v39, v0, v75
	ds_read_b32 v3, v3
	ds_read_b64 v[39:40], v39 offset:10752
	s_waitcnt lgkmcnt(1)
	v_add_nc_u32_e32 v3, v3, v50
	v_lshlrev_b64 v[41:42], 3, v[3:4]
	v_add_co_u32 v41, s34, s52, v41
	v_add_co_ci_u32_e64 v42, null, s53, v42, s34
	s_waitcnt lgkmcnt(0)
	global_store_dwordx2 v[41:42], v[39:40], off
	s_or_b32 exec_lo, exec_lo, s35
	s_and_saveexec_b32 s34, s33
	s_cbranch_execz .LBB222_874
.LBB222_942:                            ;   in Loop: Header=BB222_730 Depth=2
	v_lshlrev_b32_e32 v3, 2, v125
	v_add_nc_u32_e32 v39, v0, v75
	ds_read_b32 v3, v3
	ds_read_b64 v[39:40], v39 offset:12800
	s_waitcnt lgkmcnt(1)
	v_add_nc_u32_e32 v3, v3, v51
	v_lshlrev_b64 v[41:42], 3, v[3:4]
	v_add_co_u32 v41, s33, s52, v41
	v_add_co_ci_u32_e64 v42, null, s53, v42, s33
	s_waitcnt lgkmcnt(0)
	global_store_dwordx2 v[41:42], v[39:40], off
	s_or_b32 exec_lo, exec_lo, s34
	s_and_saveexec_b32 s33, s31
	s_cbranch_execz .LBB222_875
.LBB222_943:                            ;   in Loop: Header=BB222_730 Depth=2
	v_lshlrev_b32_e32 v3, 2, v124
	v_add_nc_u32_e32 v39, v0, v75
	ds_read_b32 v3, v3
	ds_read_b64 v[39:40], v39 offset:14848
	s_waitcnt lgkmcnt(1)
	v_add_nc_u32_e32 v3, v3, v52
	v_lshlrev_b64 v[41:42], 3, v[3:4]
	v_add_co_u32 v41, s31, s52, v41
	v_add_co_ci_u32_e64 v42, null, s53, v42, s31
	s_waitcnt lgkmcnt(0)
	global_store_dwordx2 v[41:42], v[39:40], off
	s_or_b32 exec_lo, exec_lo, s33
	s_and_saveexec_b32 s31, s30
	s_cbranch_execz .LBB222_876
.LBB222_944:                            ;   in Loop: Header=BB222_730 Depth=2
	v_lshlrev_b32_e32 v3, 2, v123
	v_add_nc_u32_e32 v39, v0, v75
	ds_read_b32 v3, v3
	ds_read_b64 v[39:40], v39 offset:16896
	s_waitcnt lgkmcnt(1)
	v_add_nc_u32_e32 v3, v3, v53
	v_lshlrev_b64 v[41:42], 3, v[3:4]
	v_add_co_u32 v41, s30, s52, v41
	v_add_co_ci_u32_e64 v42, null, s53, v42, s30
	s_waitcnt lgkmcnt(0)
	global_store_dwordx2 v[41:42], v[39:40], off
	s_or_b32 exec_lo, exec_lo, s31
	s_and_saveexec_b32 s30, s29
	s_cbranch_execz .LBB222_877
.LBB222_945:                            ;   in Loop: Header=BB222_730 Depth=2
	v_lshlrev_b32_e32 v3, 2, v122
	v_add_nc_u32_e32 v39, v0, v75
	ds_read_b32 v3, v3
	ds_read_b64 v[39:40], v39 offset:18944
	s_waitcnt lgkmcnt(1)
	v_add_nc_u32_e32 v3, v3, v54
	v_lshlrev_b64 v[41:42], 3, v[3:4]
	v_add_co_u32 v41, s29, s52, v41
	v_add_co_ci_u32_e64 v42, null, s53, v42, s29
	s_waitcnt lgkmcnt(0)
	global_store_dwordx2 v[41:42], v[39:40], off
	s_or_b32 exec_lo, exec_lo, s30
	s_and_saveexec_b32 s29, s28
	s_cbranch_execz .LBB222_878
.LBB222_946:                            ;   in Loop: Header=BB222_730 Depth=2
	v_lshlrev_b32_e32 v3, 2, v121
	v_add_nc_u32_e32 v39, v0, v75
	ds_read_b32 v3, v3
	ds_read_b64 v[39:40], v39 offset:20992
	s_waitcnt lgkmcnt(1)
	v_add_nc_u32_e32 v3, v3, v55
	v_lshlrev_b64 v[41:42], 3, v[3:4]
	v_add_co_u32 v41, s28, s52, v41
	v_add_co_ci_u32_e64 v42, null, s53, v42, s28
	s_waitcnt lgkmcnt(0)
	global_store_dwordx2 v[41:42], v[39:40], off
	s_or_b32 exec_lo, exec_lo, s29
	s_and_saveexec_b32 s28, s27
	s_cbranch_execz .LBB222_879
.LBB222_947:                            ;   in Loop: Header=BB222_730 Depth=2
	v_lshlrev_b32_e32 v3, 2, v120
	v_add_nc_u32_e32 v39, v0, v75
	ds_read_b32 v3, v3
	ds_read_b64 v[39:40], v39 offset:23040
	s_waitcnt lgkmcnt(1)
	v_add_nc_u32_e32 v3, v3, v56
	v_lshlrev_b64 v[41:42], 3, v[3:4]
	v_add_co_u32 v41, s27, s52, v41
	v_add_co_ci_u32_e64 v42, null, s53, v42, s27
	s_waitcnt lgkmcnt(0)
	global_store_dwordx2 v[41:42], v[39:40], off
	s_or_b32 exec_lo, exec_lo, s28
	s_and_saveexec_b32 s27, s26
	s_cbranch_execz .LBB222_880
.LBB222_948:                            ;   in Loop: Header=BB222_730 Depth=2
	v_lshlrev_b32_e32 v3, 2, v119
	v_add_nc_u32_e32 v39, v0, v75
	ds_read_b32 v3, v3
	ds_read_b64 v[39:40], v39 offset:25088
	s_waitcnt lgkmcnt(1)
	v_add_nc_u32_e32 v3, v3, v57
	v_lshlrev_b64 v[41:42], 3, v[3:4]
	v_add_co_u32 v41, s26, s52, v41
	v_add_co_ci_u32_e64 v42, null, s53, v42, s26
	s_waitcnt lgkmcnt(0)
	global_store_dwordx2 v[41:42], v[39:40], off
	s_or_b32 exec_lo, exec_lo, s27
	s_and_saveexec_b32 s26, s25
	s_cbranch_execz .LBB222_881
.LBB222_949:                            ;   in Loop: Header=BB222_730 Depth=2
	v_lshlrev_b32_e32 v3, 2, v118
	v_add_nc_u32_e32 v39, v0, v75
	ds_read_b32 v3, v3
	ds_read_b64 v[39:40], v39 offset:27136
	s_waitcnt lgkmcnt(1)
	v_add_nc_u32_e32 v3, v3, v58
	v_lshlrev_b64 v[41:42], 3, v[3:4]
	v_add_co_u32 v41, s25, s52, v41
	v_add_co_ci_u32_e64 v42, null, s53, v42, s25
	s_waitcnt lgkmcnt(0)
	global_store_dwordx2 v[41:42], v[39:40], off
	s_or_b32 exec_lo, exec_lo, s26
	s_and_saveexec_b32 s25, s24
	s_cbranch_execz .LBB222_882
.LBB222_950:                            ;   in Loop: Header=BB222_730 Depth=2
	v_lshlrev_b32_e32 v3, 2, v117
	v_add_nc_u32_e32 v39, v0, v75
	ds_read_b32 v3, v3
	ds_read_b64 v[39:40], v39 offset:29184
	s_waitcnt lgkmcnt(1)
	v_add_nc_u32_e32 v3, v3, v59
	v_lshlrev_b64 v[41:42], 3, v[3:4]
	v_add_co_u32 v41, s24, s52, v41
	v_add_co_ci_u32_e64 v42, null, s53, v42, s24
	s_waitcnt lgkmcnt(0)
	global_store_dwordx2 v[41:42], v[39:40], off
	s_or_b32 exec_lo, exec_lo, s25
	s_and_saveexec_b32 s24, s23
	s_cbranch_execz .LBB222_883
.LBB222_951:                            ;   in Loop: Header=BB222_730 Depth=2
	v_lshlrev_b32_e32 v3, 2, v116
	v_add_nc_u32_e32 v39, v0, v75
	ds_read_b32 v3, v3
	ds_read_b64 v[39:40], v39 offset:31232
	s_waitcnt lgkmcnt(1)
	v_add_nc_u32_e32 v3, v3, v60
	v_lshlrev_b64 v[41:42], 3, v[3:4]
	v_add_co_u32 v41, s23, s52, v41
	v_add_co_ci_u32_e64 v42, null, s53, v42, s23
	s_waitcnt lgkmcnt(0)
	global_store_dwordx2 v[41:42], v[39:40], off
	s_or_b32 exec_lo, exec_lo, s24
	s_and_saveexec_b32 s23, vcc_lo
	s_cbranch_execnz .LBB222_884
	s_branch .LBB222_885
.LBB222_952:                            ;   in Loop: Header=BB222_20 Depth=1
	s_waitcnt lgkmcnt(0)
	s_mov_b32 s5, 0
	s_barrier
.LBB222_953:                            ;   in Loop: Header=BB222_20 Depth=1
	s_and_b32 vcc_lo, exec_lo, s5
	s_cbranch_vccz .LBB222_19
; %bb.954:                              ;   in Loop: Header=BB222_20 Depth=1
	v_mov_b32_e32 v17, 0
	v_mov_b32_e32 v20, 0
	;; [unrolled: 1-line block ×17, first 2 shown]
	s_mov_b32 s5, s60
	s_mov_b32 s17, s58
	s_barrier
	buffer_gl0_inv
	s_branch .LBB222_956
.LBB222_955:                            ;   in Loop: Header=BB222_956 Depth=2
	s_or_b32 exec_lo, exec_lo, s16
	s_addk_i32 s5, 0xef00
	s_cmp_ge_u32 s15, s59
	s_mov_b32 s17, s15
	s_cbranch_scc1 .LBB222_1028
.LBB222_956:                            ;   Parent Loop BB222_20 Depth=1
                                        ; =>  This Inner Loop Header: Depth=2
	s_add_i32 s15, s17, 0x1100
	s_mov_b32 s16, -1
	s_cmp_gt_u32 s15, s59
                                        ; implicit-def: $vgpr21
                                        ; implicit-def: $vgpr22
                                        ; implicit-def: $vgpr23
                                        ; implicit-def: $vgpr24
                                        ; implicit-def: $vgpr25
                                        ; implicit-def: $vgpr26
                                        ; implicit-def: $vgpr27
                                        ; implicit-def: $vgpr28
                                        ; implicit-def: $vgpr29
                                        ; implicit-def: $vgpr30
                                        ; implicit-def: $vgpr31
                                        ; implicit-def: $vgpr32
                                        ; implicit-def: $vgpr33
                                        ; implicit-def: $vgpr34
                                        ; implicit-def: $vgpr35
                                        ; implicit-def: $vgpr36
                                        ; implicit-def: $vgpr37
	s_cbranch_scc1 .LBB222_958
; %bb.957:                              ;   in Loop: Header=BB222_956 Depth=2
	v_add_co_u32 v38, vcc_lo, v82, s17
	v_add_co_ci_u32_e64 v39, null, 0, v83, vcc_lo
	s_mov_b32 s16, 0
	v_add_co_u32 v21, vcc_lo, 0x800, v38
	v_add_co_ci_u32_e64 v22, null, 0, v39, vcc_lo
	v_add_co_u32 v23, vcc_lo, 0x1000, v38
	v_add_co_ci_u32_e64 v24, null, 0, v39, vcc_lo
	s_clause 0x10
	global_load_ubyte v36, v[21:22], off offset:1792
	global_load_ubyte v37, v[23:24], off
	global_load_ubyte v35, v[21:22], off offset:1536
	global_load_ubyte v34, v[21:22], off offset:1280
	;; [unrolled: 1-line block ×6, first 2 shown]
	global_load_ubyte v29, v[21:22], off
	global_load_ubyte v28, v[38:39], off offset:1792
	global_load_ubyte v27, v[38:39], off offset:1536
	;; [unrolled: 1-line block ×7, first 2 shown]
	global_load_ubyte v21, v[38:39], off
.LBB222_958:                            ;   in Loop: Header=BB222_956 Depth=2
	s_andn2_b32 vcc_lo, exec_lo, s16
	s_movk_i32 s16, 0x1100
	s_cbranch_vccnz .LBB222_978
; %bb.959:                              ;   in Loop: Header=BB222_956 Depth=2
	s_add_u32 s16, s44, s17
	s_addc_u32 s17, s45, 0
	s_mov_b32 s18, exec_lo
	v_cmpx_gt_u32_e64 s5, v0
	s_cbranch_execnz .LBB222_1012
; %bb.960:                              ;   in Loop: Header=BB222_956 Depth=2
	s_or_b32 exec_lo, exec_lo, s18
	s_mov_b32 s18, exec_lo
	v_cmpx_gt_u32_e64 s5, v44
	s_cbranch_execnz .LBB222_1013
.LBB222_961:                            ;   in Loop: Header=BB222_956 Depth=2
	s_or_b32 exec_lo, exec_lo, s18
	s_mov_b32 s18, exec_lo
	v_cmpx_gt_u32_e64 s5, v47
	s_cbranch_execnz .LBB222_1014
.LBB222_962:                            ;   in Loop: Header=BB222_956 Depth=2
	s_or_b32 exec_lo, exec_lo, s18
	s_mov_b32 s18, exec_lo
	v_cmpx_gt_u32_e64 s5, v48
	s_cbranch_execnz .LBB222_1015
.LBB222_963:                            ;   in Loop: Header=BB222_956 Depth=2
	s_or_b32 exec_lo, exec_lo, s18
	s_mov_b32 s18, exec_lo
	v_cmpx_gt_u32_e64 s5, v49
	s_cbranch_execnz .LBB222_1016
.LBB222_964:                            ;   in Loop: Header=BB222_956 Depth=2
	s_or_b32 exec_lo, exec_lo, s18
	s_mov_b32 s18, exec_lo
	v_cmpx_gt_u32_e64 s5, v50
	s_cbranch_execnz .LBB222_1017
.LBB222_965:                            ;   in Loop: Header=BB222_956 Depth=2
	s_or_b32 exec_lo, exec_lo, s18
	s_mov_b32 s18, exec_lo
	v_cmpx_gt_u32_e64 s5, v51
	s_cbranch_execnz .LBB222_1018
.LBB222_966:                            ;   in Loop: Header=BB222_956 Depth=2
	s_or_b32 exec_lo, exec_lo, s18
	s_mov_b32 s18, exec_lo
	v_cmpx_gt_u32_e64 s5, v52
	s_cbranch_execnz .LBB222_1019
.LBB222_967:                            ;   in Loop: Header=BB222_956 Depth=2
	s_or_b32 exec_lo, exec_lo, s18
	s_mov_b32 s18, exec_lo
	v_cmpx_gt_u32_e64 s5, v53
	s_cbranch_execnz .LBB222_1020
.LBB222_968:                            ;   in Loop: Header=BB222_956 Depth=2
	s_or_b32 exec_lo, exec_lo, s18
	s_mov_b32 s18, exec_lo
	v_cmpx_gt_u32_e64 s5, v54
	s_cbranch_execnz .LBB222_1021
.LBB222_969:                            ;   in Loop: Header=BB222_956 Depth=2
	s_or_b32 exec_lo, exec_lo, s18
	s_mov_b32 s18, exec_lo
	v_cmpx_gt_u32_e64 s5, v55
	s_cbranch_execnz .LBB222_1022
.LBB222_970:                            ;   in Loop: Header=BB222_956 Depth=2
	s_or_b32 exec_lo, exec_lo, s18
	s_mov_b32 s18, exec_lo
	v_cmpx_gt_u32_e64 s5, v56
	s_cbranch_execnz .LBB222_1023
.LBB222_971:                            ;   in Loop: Header=BB222_956 Depth=2
	s_or_b32 exec_lo, exec_lo, s18
	s_mov_b32 s18, exec_lo
	v_cmpx_gt_u32_e64 s5, v57
	s_cbranch_execnz .LBB222_1024
.LBB222_972:                            ;   in Loop: Header=BB222_956 Depth=2
	s_or_b32 exec_lo, exec_lo, s18
	s_mov_b32 s18, exec_lo
	v_cmpx_gt_u32_e64 s5, v58
	s_cbranch_execnz .LBB222_1025
.LBB222_973:                            ;   in Loop: Header=BB222_956 Depth=2
	s_or_b32 exec_lo, exec_lo, s18
	s_mov_b32 s18, exec_lo
	v_cmpx_gt_u32_e64 s5, v59
	s_cbranch_execnz .LBB222_1026
.LBB222_974:                            ;   in Loop: Header=BB222_956 Depth=2
	s_or_b32 exec_lo, exec_lo, s18
	s_mov_b32 s18, exec_lo
	v_cmpx_gt_u32_e64 s5, v60
	s_cbranch_execnz .LBB222_1027
.LBB222_975:                            ;   in Loop: Header=BB222_956 Depth=2
	s_or_b32 exec_lo, exec_lo, s18
	s_mov_b32 s18, exec_lo
	v_cmpx_gt_u32_e64 s5, v61
	s_cbranch_execz .LBB222_977
.LBB222_976:                            ;   in Loop: Header=BB222_956 Depth=2
	s_waitcnt vmcnt(0)
	v_add_co_u32 v21, s16, s16, v61
	v_add_co_ci_u32_e64 v22, null, s17, 0, s16
	global_load_ubyte v3, v[21:22], off
.LBB222_977:                            ;   in Loop: Header=BB222_956 Depth=2
	s_or_b32 exec_lo, exec_lo, s18
	s_waitcnt vmcnt(0)
	v_mov_b32_e32 v21, v17
	v_mov_b32_e32 v22, v20
	;; [unrolled: 1-line block ×17, first 2 shown]
	s_mov_b32 s16, s5
.LBB222_978:                            ;   in Loop: Header=BB222_956 Depth=2
	s_waitcnt vmcnt(15)
	v_mov_b32_e32 v3, v37
	v_mov_b32_e32 v5, v36
	s_waitcnt vmcnt(14)
	v_mov_b32_e32 v6, v35
	s_waitcnt vmcnt(13)
	;; [unrolled: 2-line block ×15, first 2 shown]
	v_mov_b32_e32 v17, v21
	s_mov_b32 s17, exec_lo
	v_cmpx_gt_u32_e64 s16, v0
	s_cbranch_execnz .LBB222_995
; %bb.979:                              ;   in Loop: Header=BB222_956 Depth=2
	s_or_b32 exec_lo, exec_lo, s17
	s_mov_b32 s17, exec_lo
	v_cmpx_gt_u32_e64 s16, v44
	s_cbranch_execnz .LBB222_996
.LBB222_980:                            ;   in Loop: Header=BB222_956 Depth=2
	s_or_b32 exec_lo, exec_lo, s17
	s_mov_b32 s17, exec_lo
	v_cmpx_gt_u32_e64 s16, v47
	s_cbranch_execnz .LBB222_997
.LBB222_981:                            ;   in Loop: Header=BB222_956 Depth=2
	s_or_b32 exec_lo, exec_lo, s17
	s_mov_b32 s17, exec_lo
	v_cmpx_gt_u32_e64 s16, v48
	s_cbranch_execnz .LBB222_998
.LBB222_982:                            ;   in Loop: Header=BB222_956 Depth=2
	s_or_b32 exec_lo, exec_lo, s17
	s_mov_b32 s17, exec_lo
	v_cmpx_gt_u32_e64 s16, v49
	s_cbranch_execnz .LBB222_999
.LBB222_983:                            ;   in Loop: Header=BB222_956 Depth=2
	s_or_b32 exec_lo, exec_lo, s17
	s_mov_b32 s17, exec_lo
	v_cmpx_gt_u32_e64 s16, v50
	s_cbranch_execnz .LBB222_1000
.LBB222_984:                            ;   in Loop: Header=BB222_956 Depth=2
	s_or_b32 exec_lo, exec_lo, s17
	s_mov_b32 s17, exec_lo
	v_cmpx_gt_u32_e64 s16, v51
	s_cbranch_execnz .LBB222_1001
.LBB222_985:                            ;   in Loop: Header=BB222_956 Depth=2
	s_or_b32 exec_lo, exec_lo, s17
	s_mov_b32 s17, exec_lo
	v_cmpx_gt_u32_e64 s16, v52
	s_cbranch_execnz .LBB222_1002
.LBB222_986:                            ;   in Loop: Header=BB222_956 Depth=2
	s_or_b32 exec_lo, exec_lo, s17
	s_mov_b32 s17, exec_lo
	v_cmpx_gt_u32_e64 s16, v53
	s_cbranch_execnz .LBB222_1003
.LBB222_987:                            ;   in Loop: Header=BB222_956 Depth=2
	s_or_b32 exec_lo, exec_lo, s17
	s_mov_b32 s17, exec_lo
	v_cmpx_gt_u32_e64 s16, v54
	s_cbranch_execnz .LBB222_1004
.LBB222_988:                            ;   in Loop: Header=BB222_956 Depth=2
	s_or_b32 exec_lo, exec_lo, s17
	s_mov_b32 s17, exec_lo
	v_cmpx_gt_u32_e64 s16, v55
	s_cbranch_execnz .LBB222_1005
.LBB222_989:                            ;   in Loop: Header=BB222_956 Depth=2
	s_or_b32 exec_lo, exec_lo, s17
	s_mov_b32 s17, exec_lo
	v_cmpx_gt_u32_e64 s16, v56
	s_cbranch_execnz .LBB222_1006
.LBB222_990:                            ;   in Loop: Header=BB222_956 Depth=2
	s_or_b32 exec_lo, exec_lo, s17
	s_mov_b32 s17, exec_lo
	v_cmpx_gt_u32_e64 s16, v57
	s_cbranch_execnz .LBB222_1007
.LBB222_991:                            ;   in Loop: Header=BB222_956 Depth=2
	s_or_b32 exec_lo, exec_lo, s17
	s_mov_b32 s17, exec_lo
	v_cmpx_gt_u32_e64 s16, v58
	s_cbranch_execnz .LBB222_1008
.LBB222_992:                            ;   in Loop: Header=BB222_956 Depth=2
	s_or_b32 exec_lo, exec_lo, s17
	s_mov_b32 s17, exec_lo
	v_cmpx_gt_u32_e64 s16, v59
	s_cbranch_execnz .LBB222_1009
.LBB222_993:                            ;   in Loop: Header=BB222_956 Depth=2
	s_or_b32 exec_lo, exec_lo, s17
	s_mov_b32 s17, exec_lo
	v_cmpx_gt_u32_e64 s16, v60
	s_cbranch_execnz .LBB222_1010
.LBB222_994:                            ;   in Loop: Header=BB222_956 Depth=2
	s_or_b32 exec_lo, exec_lo, s17
	v_cmp_gt_u32_e32 vcc_lo, s16, v61
	s_and_saveexec_b32 s16, vcc_lo
	s_cbranch_execz .LBB222_955
	s_branch .LBB222_1011
.LBB222_995:                            ;   in Loop: Header=BB222_956 Depth=2
	v_lshrrev_b32_sdwa v21, s41, v17 dst_sel:DWORD dst_unused:UNUSED_PAD src0_sel:DWORD src1_sel:BYTE_0
	v_and_b32_e32 v21, s62, v21
	v_lshl_or_b32 v21, v21, 4, v63
	ds_add_u32 v21, v89
	s_or_b32 exec_lo, exec_lo, s17
	s_mov_b32 s17, exec_lo
	v_cmpx_gt_u32_e64 s16, v44
	s_cbranch_execz .LBB222_980
.LBB222_996:                            ;   in Loop: Header=BB222_956 Depth=2
	v_lshrrev_b32_sdwa v21, s41, v20 dst_sel:DWORD dst_unused:UNUSED_PAD src0_sel:DWORD src1_sel:BYTE_0
	v_and_b32_e32 v21, s62, v21
	v_lshl_or_b32 v21, v21, 4, v63
	ds_add_u32 v21, v89
	s_or_b32 exec_lo, exec_lo, s17
	s_mov_b32 s17, exec_lo
	v_cmpx_gt_u32_e64 s16, v47
	s_cbranch_execz .LBB222_981
.LBB222_997:                            ;   in Loop: Header=BB222_956 Depth=2
	v_lshrrev_b32_sdwa v21, s41, v19 dst_sel:DWORD dst_unused:UNUSED_PAD src0_sel:DWORD src1_sel:BYTE_0
	v_and_b32_e32 v21, s62, v21
	v_lshl_or_b32 v21, v21, 4, v63
	ds_add_u32 v21, v89
	s_or_b32 exec_lo, exec_lo, s17
	s_mov_b32 s17, exec_lo
	v_cmpx_gt_u32_e64 s16, v48
	s_cbranch_execz .LBB222_982
.LBB222_998:                            ;   in Loop: Header=BB222_956 Depth=2
	v_lshrrev_b32_sdwa v21, s41, v18 dst_sel:DWORD dst_unused:UNUSED_PAD src0_sel:DWORD src1_sel:BYTE_0
	v_and_b32_e32 v21, s62, v21
	v_lshl_or_b32 v21, v21, 4, v63
	ds_add_u32 v21, v89
	s_or_b32 exec_lo, exec_lo, s17
	s_mov_b32 s17, exec_lo
	v_cmpx_gt_u32_e64 s16, v49
	s_cbranch_execz .LBB222_983
.LBB222_999:                            ;   in Loop: Header=BB222_956 Depth=2
	v_lshrrev_b32_sdwa v21, s41, v16 dst_sel:DWORD dst_unused:UNUSED_PAD src0_sel:DWORD src1_sel:BYTE_0
	v_and_b32_e32 v21, s62, v21
	v_lshl_or_b32 v21, v21, 4, v63
	ds_add_u32 v21, v89
	s_or_b32 exec_lo, exec_lo, s17
	s_mov_b32 s17, exec_lo
	v_cmpx_gt_u32_e64 s16, v50
	s_cbranch_execz .LBB222_984
.LBB222_1000:                           ;   in Loop: Header=BB222_956 Depth=2
	v_lshrrev_b32_sdwa v21, s41, v15 dst_sel:DWORD dst_unused:UNUSED_PAD src0_sel:DWORD src1_sel:BYTE_0
	v_and_b32_e32 v21, s62, v21
	v_lshl_or_b32 v21, v21, 4, v63
	ds_add_u32 v21, v89
	s_or_b32 exec_lo, exec_lo, s17
	s_mov_b32 s17, exec_lo
	v_cmpx_gt_u32_e64 s16, v51
	s_cbranch_execz .LBB222_985
.LBB222_1001:                           ;   in Loop: Header=BB222_956 Depth=2
	v_lshrrev_b32_sdwa v21, s41, v14 dst_sel:DWORD dst_unused:UNUSED_PAD src0_sel:DWORD src1_sel:BYTE_0
	v_and_b32_e32 v21, s62, v21
	v_lshl_or_b32 v21, v21, 4, v63
	ds_add_u32 v21, v89
	s_or_b32 exec_lo, exec_lo, s17
	s_mov_b32 s17, exec_lo
	v_cmpx_gt_u32_e64 s16, v52
	s_cbranch_execz .LBB222_986
.LBB222_1002:                           ;   in Loop: Header=BB222_956 Depth=2
	v_lshrrev_b32_sdwa v21, s41, v13 dst_sel:DWORD dst_unused:UNUSED_PAD src0_sel:DWORD src1_sel:BYTE_0
	v_and_b32_e32 v21, s62, v21
	v_lshl_or_b32 v21, v21, 4, v63
	ds_add_u32 v21, v89
	s_or_b32 exec_lo, exec_lo, s17
	s_mov_b32 s17, exec_lo
	v_cmpx_gt_u32_e64 s16, v53
	s_cbranch_execz .LBB222_987
.LBB222_1003:                           ;   in Loop: Header=BB222_956 Depth=2
	v_lshrrev_b32_sdwa v21, s41, v12 dst_sel:DWORD dst_unused:UNUSED_PAD src0_sel:DWORD src1_sel:BYTE_0
	v_and_b32_e32 v21, s62, v21
	v_lshl_or_b32 v21, v21, 4, v63
	ds_add_u32 v21, v89
	s_or_b32 exec_lo, exec_lo, s17
	s_mov_b32 s17, exec_lo
	v_cmpx_gt_u32_e64 s16, v54
	s_cbranch_execz .LBB222_988
.LBB222_1004:                           ;   in Loop: Header=BB222_956 Depth=2
	v_lshrrev_b32_sdwa v21, s41, v11 dst_sel:DWORD dst_unused:UNUSED_PAD src0_sel:DWORD src1_sel:BYTE_0
	v_and_b32_e32 v21, s62, v21
	v_lshl_or_b32 v21, v21, 4, v63
	ds_add_u32 v21, v89
	s_or_b32 exec_lo, exec_lo, s17
	s_mov_b32 s17, exec_lo
	v_cmpx_gt_u32_e64 s16, v55
	s_cbranch_execz .LBB222_989
.LBB222_1005:                           ;   in Loop: Header=BB222_956 Depth=2
	v_lshrrev_b32_sdwa v21, s41, v10 dst_sel:DWORD dst_unused:UNUSED_PAD src0_sel:DWORD src1_sel:BYTE_0
	v_and_b32_e32 v21, s62, v21
	v_lshl_or_b32 v21, v21, 4, v63
	ds_add_u32 v21, v89
	s_or_b32 exec_lo, exec_lo, s17
	s_mov_b32 s17, exec_lo
	v_cmpx_gt_u32_e64 s16, v56
	s_cbranch_execz .LBB222_990
.LBB222_1006:                           ;   in Loop: Header=BB222_956 Depth=2
	v_lshrrev_b32_sdwa v21, s41, v9 dst_sel:DWORD dst_unused:UNUSED_PAD src0_sel:DWORD src1_sel:BYTE_0
	v_and_b32_e32 v21, s62, v21
	v_lshl_or_b32 v21, v21, 4, v63
	ds_add_u32 v21, v89
	s_or_b32 exec_lo, exec_lo, s17
	s_mov_b32 s17, exec_lo
	v_cmpx_gt_u32_e64 s16, v57
	s_cbranch_execz .LBB222_991
.LBB222_1007:                           ;   in Loop: Header=BB222_956 Depth=2
	v_lshrrev_b32_sdwa v21, s41, v8 dst_sel:DWORD dst_unused:UNUSED_PAD src0_sel:DWORD src1_sel:BYTE_0
	v_and_b32_e32 v21, s62, v21
	v_lshl_or_b32 v21, v21, 4, v63
	ds_add_u32 v21, v89
	s_or_b32 exec_lo, exec_lo, s17
	s_mov_b32 s17, exec_lo
	v_cmpx_gt_u32_e64 s16, v58
	s_cbranch_execz .LBB222_992
.LBB222_1008:                           ;   in Loop: Header=BB222_956 Depth=2
	v_lshrrev_b32_sdwa v21, s41, v7 dst_sel:DWORD dst_unused:UNUSED_PAD src0_sel:DWORD src1_sel:BYTE_0
	v_and_b32_e32 v21, s62, v21
	v_lshl_or_b32 v21, v21, 4, v63
	ds_add_u32 v21, v89
	s_or_b32 exec_lo, exec_lo, s17
	s_mov_b32 s17, exec_lo
	v_cmpx_gt_u32_e64 s16, v59
	s_cbranch_execz .LBB222_993
.LBB222_1009:                           ;   in Loop: Header=BB222_956 Depth=2
	v_lshrrev_b32_sdwa v21, s41, v6 dst_sel:DWORD dst_unused:UNUSED_PAD src0_sel:DWORD src1_sel:BYTE_0
	v_and_b32_e32 v21, s62, v21
	v_lshl_or_b32 v21, v21, 4, v63
	ds_add_u32 v21, v89
	s_or_b32 exec_lo, exec_lo, s17
	s_mov_b32 s17, exec_lo
	v_cmpx_gt_u32_e64 s16, v60
	s_cbranch_execz .LBB222_994
.LBB222_1010:                           ;   in Loop: Header=BB222_956 Depth=2
	v_lshrrev_b32_sdwa v21, s41, v5 dst_sel:DWORD dst_unused:UNUSED_PAD src0_sel:DWORD src1_sel:BYTE_0
	v_and_b32_e32 v21, s62, v21
	v_lshl_or_b32 v21, v21, 4, v63
	ds_add_u32 v21, v89
	s_or_b32 exec_lo, exec_lo, s17
	v_cmp_gt_u32_e32 vcc_lo, s16, v61
	s_and_saveexec_b32 s16, vcc_lo
	s_cbranch_execz .LBB222_955
.LBB222_1011:                           ;   in Loop: Header=BB222_956 Depth=2
	v_lshrrev_b32_sdwa v21, s41, v3 dst_sel:DWORD dst_unused:UNUSED_PAD src0_sel:DWORD src1_sel:BYTE_0
	v_and_b32_e32 v21, s62, v21
	v_lshl_or_b32 v21, v21, 4, v63
	ds_add_u32 v21, v89
	s_branch .LBB222_955
.LBB222_1012:                           ;   in Loop: Header=BB222_956 Depth=2
	s_waitcnt vmcnt(0)
	v_add_co_u32 v21, s19, s16, v0
	v_add_co_ci_u32_e64 v22, null, s17, 0, s19
	global_load_ubyte v17, v[21:22], off
	s_or_b32 exec_lo, exec_lo, s18
	s_mov_b32 s18, exec_lo
	v_cmpx_gt_u32_e64 s5, v44
	s_cbranch_execz .LBB222_961
.LBB222_1013:                           ;   in Loop: Header=BB222_956 Depth=2
	v_add_co_u32 v20, s19, s16, v0
	s_waitcnt vmcnt(0)
	v_add_co_ci_u32_e64 v21, null, s17, 0, s19
	global_load_ubyte v20, v[20:21], off offset:256
	s_or_b32 exec_lo, exec_lo, s18
	s_mov_b32 s18, exec_lo
	v_cmpx_gt_u32_e64 s5, v47
	s_cbranch_execz .LBB222_962
.LBB222_1014:                           ;   in Loop: Header=BB222_956 Depth=2
	s_waitcnt vmcnt(0)
	v_add_co_u32 v21, s19, s16, v0
	v_add_co_ci_u32_e64 v22, null, s17, 0, s19
	global_load_ubyte v19, v[21:22], off offset:512
	s_or_b32 exec_lo, exec_lo, s18
	s_mov_b32 s18, exec_lo
	v_cmpx_gt_u32_e64 s5, v48
	s_cbranch_execz .LBB222_963
.LBB222_1015:                           ;   in Loop: Header=BB222_956 Depth=2
	s_waitcnt vmcnt(0)
	v_add_co_u32 v21, s19, s16, v0
	v_add_co_ci_u32_e64 v22, null, s17, 0, s19
	global_load_ubyte v18, v[21:22], off offset:768
	s_or_b32 exec_lo, exec_lo, s18
	s_mov_b32 s18, exec_lo
	v_cmpx_gt_u32_e64 s5, v49
	s_cbranch_execz .LBB222_964
.LBB222_1016:                           ;   in Loop: Header=BB222_956 Depth=2
	s_waitcnt vmcnt(0)
	v_add_co_u32 v21, s19, s16, v0
	v_add_co_ci_u32_e64 v22, null, s17, 0, s19
	global_load_ubyte v16, v[21:22], off offset:1024
	s_or_b32 exec_lo, exec_lo, s18
	s_mov_b32 s18, exec_lo
	v_cmpx_gt_u32_e64 s5, v50
	s_cbranch_execz .LBB222_965
.LBB222_1017:                           ;   in Loop: Header=BB222_956 Depth=2
	s_waitcnt vmcnt(0)
	v_add_co_u32 v21, s19, s16, v0
	v_add_co_ci_u32_e64 v22, null, s17, 0, s19
	global_load_ubyte v15, v[21:22], off offset:1280
	s_or_b32 exec_lo, exec_lo, s18
	s_mov_b32 s18, exec_lo
	v_cmpx_gt_u32_e64 s5, v51
	s_cbranch_execz .LBB222_966
.LBB222_1018:                           ;   in Loop: Header=BB222_956 Depth=2
	s_waitcnt vmcnt(0)
	v_add_co_u32 v21, s19, s16, v0
	v_add_co_ci_u32_e64 v22, null, s17, 0, s19
	global_load_ubyte v14, v[21:22], off offset:1536
	s_or_b32 exec_lo, exec_lo, s18
	s_mov_b32 s18, exec_lo
	v_cmpx_gt_u32_e64 s5, v52
	s_cbranch_execz .LBB222_967
.LBB222_1019:                           ;   in Loop: Header=BB222_956 Depth=2
	s_waitcnt vmcnt(0)
	v_add_co_u32 v21, s19, s16, v0
	v_add_co_ci_u32_e64 v22, null, s17, 0, s19
	global_load_ubyte v13, v[21:22], off offset:1792
	s_or_b32 exec_lo, exec_lo, s18
	s_mov_b32 s18, exec_lo
	v_cmpx_gt_u32_e64 s5, v53
	s_cbranch_execz .LBB222_968
.LBB222_1020:                           ;   in Loop: Header=BB222_956 Depth=2
	s_waitcnt vmcnt(0)
	v_add_co_u32 v21, s19, s16, v53
	v_add_co_ci_u32_e64 v22, null, s17, 0, s19
	global_load_ubyte v12, v[21:22], off
	s_or_b32 exec_lo, exec_lo, s18
	s_mov_b32 s18, exec_lo
	v_cmpx_gt_u32_e64 s5, v54
	s_cbranch_execz .LBB222_969
.LBB222_1021:                           ;   in Loop: Header=BB222_956 Depth=2
	s_waitcnt vmcnt(0)
	v_add_co_u32 v21, s19, s16, v54
	v_add_co_ci_u32_e64 v22, null, s17, 0, s19
	global_load_ubyte v11, v[21:22], off
	s_or_b32 exec_lo, exec_lo, s18
	s_mov_b32 s18, exec_lo
	v_cmpx_gt_u32_e64 s5, v55
	s_cbranch_execz .LBB222_970
.LBB222_1022:                           ;   in Loop: Header=BB222_956 Depth=2
	s_waitcnt vmcnt(0)
	v_add_co_u32 v21, s19, s16, v55
	v_add_co_ci_u32_e64 v22, null, s17, 0, s19
	global_load_ubyte v10, v[21:22], off
	s_or_b32 exec_lo, exec_lo, s18
	s_mov_b32 s18, exec_lo
	v_cmpx_gt_u32_e64 s5, v56
	s_cbranch_execz .LBB222_971
.LBB222_1023:                           ;   in Loop: Header=BB222_956 Depth=2
	s_waitcnt vmcnt(0)
	v_add_co_u32 v21, s19, s16, v56
	v_add_co_ci_u32_e64 v22, null, s17, 0, s19
	global_load_ubyte v9, v[21:22], off
	s_or_b32 exec_lo, exec_lo, s18
	s_mov_b32 s18, exec_lo
	v_cmpx_gt_u32_e64 s5, v57
	s_cbranch_execz .LBB222_972
.LBB222_1024:                           ;   in Loop: Header=BB222_956 Depth=2
	s_waitcnt vmcnt(0)
	v_add_co_u32 v21, s19, s16, v57
	v_add_co_ci_u32_e64 v22, null, s17, 0, s19
	global_load_ubyte v8, v[21:22], off
	s_or_b32 exec_lo, exec_lo, s18
	s_mov_b32 s18, exec_lo
	v_cmpx_gt_u32_e64 s5, v58
	s_cbranch_execz .LBB222_973
.LBB222_1025:                           ;   in Loop: Header=BB222_956 Depth=2
	s_waitcnt vmcnt(0)
	v_add_co_u32 v21, s19, s16, v58
	v_add_co_ci_u32_e64 v22, null, s17, 0, s19
	global_load_ubyte v7, v[21:22], off
	s_or_b32 exec_lo, exec_lo, s18
	s_mov_b32 s18, exec_lo
	v_cmpx_gt_u32_e64 s5, v59
	s_cbranch_execz .LBB222_974
.LBB222_1026:                           ;   in Loop: Header=BB222_956 Depth=2
	s_waitcnt vmcnt(0)
	v_add_co_u32 v21, s19, s16, v59
	v_add_co_ci_u32_e64 v22, null, s17, 0, s19
	global_load_ubyte v6, v[21:22], off
	s_or_b32 exec_lo, exec_lo, s18
	s_mov_b32 s18, exec_lo
	v_cmpx_gt_u32_e64 s5, v60
	s_cbranch_execz .LBB222_975
.LBB222_1027:                           ;   in Loop: Header=BB222_956 Depth=2
	s_waitcnt vmcnt(0)
	v_add_co_u32 v21, s19, s16, v60
	v_add_co_ci_u32_e64 v22, null, s17, 0, s19
	global_load_ubyte v5, v[21:22], off
	s_or_b32 exec_lo, exec_lo, s18
	s_mov_b32 s18, exec_lo
	v_cmpx_gt_u32_e64 s5, v61
	s_cbranch_execnz .LBB222_976
	s_branch .LBB222_977
.LBB222_1028:                           ;   in Loop: Header=BB222_20 Depth=1
	v_mov_b32_e32 v3, 0
	s_waitcnt lgkmcnt(0)
	s_barrier
	buffer_gl0_inv
	s_and_saveexec_b32 s5, s8
	s_cbranch_execz .LBB222_1030
; %bb.1029:                             ;   in Loop: Header=BB222_20 Depth=1
	ds_read2_b64 v[5:8], v64 offset1:1
	s_waitcnt lgkmcnt(0)
	v_add_nc_u32_e32 v3, v6, v5
	v_add3_u32 v3, v3, v7, v8
.LBB222_1030:                           ;   in Loop: Header=BB222_20 Depth=1
	s_or_b32 exec_lo, exec_lo, s5
	v_and_b32_e32 v5, 15, v86
	v_mov_b32_dpp v6, v3 row_shr:1 row_mask:0xf bank_mask:0xf
	v_and_b32_e32 v7, 16, v86
	v_cmp_eq_u32_e64 s5, 0, v5
	v_cmp_lt_u32_e64 s15, 1, v5
	v_cmp_lt_u32_e64 s16, 3, v5
	;; [unrolled: 1-line block ×3, first 2 shown]
	v_cmp_eq_u32_e64 s18, 0, v7
	v_cndmask_b32_e64 v6, v6, 0, s5
	v_add_nc_u32_e32 v3, v6, v3
	v_mov_b32_dpp v6, v3 row_shr:2 row_mask:0xf bank_mask:0xf
	v_cndmask_b32_e64 v6, 0, v6, s15
	v_add_nc_u32_e32 v3, v3, v6
	v_mov_b32_dpp v6, v3 row_shr:4 row_mask:0xf bank_mask:0xf
	;; [unrolled: 3-line block ×3, first 2 shown]
	v_cndmask_b32_e64 v5, 0, v6, s17
	v_bfe_i32 v6, v86, 4, 1
	v_add_nc_u32_e32 v3, v3, v5
	ds_swizzle_b32 v5, v3 offset:swizzle(BROADCAST,32,15)
	s_waitcnt lgkmcnt(0)
	v_and_b32_e32 v5, v6, v5
	v_add_nc_u32_e32 v3, v3, v5
	s_and_saveexec_b32 s19, s9
; %bb.1031:                             ;   in Loop: Header=BB222_20 Depth=1
	ds_write_b32 v65, v3
; %bb.1032:                             ;   in Loop: Header=BB222_20 Depth=1
	s_or_b32 exec_lo, exec_lo, s19
	s_waitcnt lgkmcnt(0)
	s_barrier
	buffer_gl0_inv
	s_and_saveexec_b32 s19, s10
	s_cbranch_execz .LBB222_1034
; %bb.1033:                             ;   in Loop: Header=BB222_20 Depth=1
	ds_read_b32 v5, v66
	v_and_b32_e32 v6, 3, v86
	v_cmp_ne_u32_e32 vcc_lo, 0, v6
	s_waitcnt lgkmcnt(0)
	v_mov_b32_dpp v7, v5 row_shr:1 row_mask:0xf bank_mask:0xf
	v_cndmask_b32_e32 v7, 0, v7, vcc_lo
	v_cmp_lt_u32_e32 vcc_lo, 1, v6
	v_add_nc_u32_e32 v5, v7, v5
	v_mov_b32_dpp v7, v5 row_shr:2 row_mask:0xf bank_mask:0xf
	v_cndmask_b32_e32 v6, 0, v7, vcc_lo
	v_add_nc_u32_e32 v5, v5, v6
	ds_write_b32 v66, v5
.LBB222_1034:                           ;   in Loop: Header=BB222_20 Depth=1
	s_or_b32 exec_lo, exec_lo, s19
	v_mov_b32_e32 v5, 0
	s_waitcnt lgkmcnt(0)
	s_barrier
	buffer_gl0_inv
	s_and_saveexec_b32 s19, s11
; %bb.1035:                             ;   in Loop: Header=BB222_20 Depth=1
	ds_read_b32 v5, v67
; %bb.1036:                             ;   in Loop: Header=BB222_20 Depth=1
	s_or_b32 exec_lo, exec_lo, s19
	v_sub_co_u32 v6, s19, v86, 1
	s_waitcnt lgkmcnt(0)
	v_add_nc_u32_e32 v3, v5, v3
	s_barrier
	v_cmp_gt_i32_e32 vcc_lo, 0, v6
	buffer_gl0_inv
	v_cndmask_b32_e32 v6, v6, v86, vcc_lo
	v_lshlrev_b32_e32 v92, 2, v6
	ds_bpermute_b32 v3, v92, v3
	s_and_saveexec_b32 s20, s8
	s_cbranch_execz .LBB222_1038
; %bb.1037:                             ;   in Loop: Header=BB222_20 Depth=1
	s_waitcnt lgkmcnt(0)
	v_cndmask_b32_e64 v3, v3, v5, s19
	v_add_nc_u32_e32 v3, s58, v3
	ds_write_b32 v43, v3
.LBB222_1038:                           ;   in Loop: Header=BB222_20 Depth=1
	s_or_b32 exec_lo, exec_lo, s20
	s_load_dwordx2 s[20:21], s[56:57], 0x0
	v_and_b32_e32 v6, 7, v86
	v_lshlrev_b32_e32 v7, 3, v86
	v_or_b32_e32 v93, v86, v68
	s_mov_b32 s63, s60
	s_mov_b32 s50, s58
                                        ; implicit-def: $vgpr9_vgpr10
                                        ; implicit-def: $vgpr11_vgpr12
                                        ; implicit-def: $vgpr13_vgpr14
                                        ; implicit-def: $vgpr15_vgpr16
                                        ; implicit-def: $vgpr19_vgpr20
                                        ; implicit-def: $vgpr23_vgpr24
                                        ; implicit-def: $vgpr27_vgpr28
                                        ; implicit-def: $vgpr17_vgpr18
                                        ; implicit-def: $vgpr21_vgpr22
                                        ; implicit-def: $vgpr25_vgpr26
                                        ; implicit-def: $vgpr29_vgpr30
                                        ; implicit-def: $vgpr31_vgpr32
                                        ; implicit-def: $vgpr33_vgpr34
                                        ; implicit-def: $vgpr35_vgpr36
                                        ; implicit-def: $vgpr37_vgpr38
                                        ; implicit-def: $vgpr115
                                        ; implicit-def: $vgpr116
                                        ; implicit-def: $vgpr117
                                        ; implicit-def: $vgpr118
                                        ; implicit-def: $vgpr119
                                        ; implicit-def: $vgpr120
                                        ; implicit-def: $vgpr121
                                        ; implicit-def: $vgpr122
                                        ; implicit-def: $vgpr123
                                        ; implicit-def: $vgpr124
                                        ; implicit-def: $vgpr125
                                        ; implicit-def: $vgpr126
                                        ; implicit-def: $vgpr127
                                        ; implicit-def: $vgpr128
                                        ; implicit-def: $vgpr129
                                        ; implicit-def: $vgpr130
                                        ; implicit-def: $vgpr131
                                        ; implicit-def: $vgpr132
                                        ; implicit-def: $vgpr133
	v_add_co_u32 v94, vcc_lo, v84, v7
	v_add_co_ci_u32_e64 v95, null, 0, v85, vcc_lo
	v_add_co_u32 v112, vcc_lo, v87, v86
	v_add_nc_u32_e32 v96, 32, v93
	v_add_nc_u32_e32 v97, 64, v93
	;; [unrolled: 1-line block ×7, first 2 shown]
	s_waitcnt lgkmcnt(0)
	s_cmp_lt_u32 s7, s21
	v_add_nc_u32_e32 v103, 0x100, v93
	s_cselect_b32 s21, 14, 20
	v_add_nc_u32_e32 v104, 0x120, v93
	s_add_u32 s22, s56, s21
	s_addc_u32 s23, s57, 0
	s_cmp_lt_u32 s6, s20
	global_load_ushort v3, v4, s[22:23]
	s_cselect_b32 s20, 12, 18
	v_add_nc_u32_e32 v105, 0x140, v93
	s_add_u32 s20, s56, s20
	s_addc_u32 s21, s57, 0
	v_add_nc_u32_e32 v106, 0x160, v93
	global_load_ushort v5, v4, s[20:21]
	v_cmp_eq_u32_e64 s20, 0, v6
	v_cmp_lt_u32_e64 s21, 1, v6
	v_cmp_lt_u32_e64 s22, 3, v6
	v_add_nc_u32_e32 v107, 0x180, v93
	v_add_nc_u32_e32 v108, 0x1a0, v93
	;; [unrolled: 1-line block ×5, first 2 shown]
	v_add_co_ci_u32_e64 v113, null, 0, v88, vcc_lo
                                        ; implicit-def: $vgpr7_vgpr8
	s_waitcnt vmcnt(1)
	v_mad_u32_u24 v3, v2, v3, v1
	s_waitcnt vmcnt(0)
	v_mad_u64_u32 v[5:6], null, v3, v5, v[0:1]
	v_lshrrev_b32_e32 v3, 3, v5
                                        ; implicit-def: $vgpr5_vgpr6
	v_and_b32_e32 v114, 0x1ffffffc, v3
	s_branch .LBB222_1040
.LBB222_1039:                           ;   in Loop: Header=BB222_1040 Depth=2
	s_or_b32 exec_lo, exec_lo, s23
	s_addk_i32 s63, 0xef00
	s_cmp_lt_u32 s64, s59
	s_mov_b32 s50, s64
	s_cbranch_scc0 .LBB222_18
.LBB222_1040:                           ;   Parent Loop BB222_20 Depth=1
                                        ; =>  This Inner Loop Header: Depth=2
	s_add_i32 s64, s50, 0x1100
	s_cmp_gt_u32 s64, s59
	s_cbranch_scc1 .LBB222_1042
; %bb.1041:                             ;   in Loop: Header=BB222_1040 Depth=2
	v_add_co_u32 v39, vcc_lo, v112, s50
	v_add_co_ci_u32_e64 v40, null, 0, v113, vcc_lo
	s_mov_b32 s23, -1
	s_clause 0xf
	global_load_ubyte v134, v[39:40], off
	global_load_ubyte v135, v[39:40], off offset:32
	global_load_ubyte v136, v[39:40], off offset:64
	global_load_ubyte v137, v[39:40], off offset:96
	global_load_ubyte v138, v[39:40], off offset:128
	global_load_ubyte v139, v[39:40], off offset:160
	global_load_ubyte v140, v[39:40], off offset:192
	global_load_ubyte v141, v[39:40], off offset:224
	global_load_ubyte v142, v[39:40], off offset:256
	global_load_ubyte v143, v[39:40], off offset:288
	global_load_ubyte v144, v[39:40], off offset:320
	global_load_ubyte v145, v[39:40], off offset:352
	global_load_ubyte v146, v[39:40], off offset:384
	global_load_ubyte v147, v[39:40], off offset:416
	global_load_ubyte v148, v[39:40], off offset:448
	global_load_ubyte v149, v[39:40], off offset:480
	s_movk_i32 s24, 0x1100
	s_cbranch_execz .LBB222_1043
	s_branch .LBB222_1076
.LBB222_1042:                           ;   in Loop: Header=BB222_1040 Depth=2
	s_mov_b32 s23, 0
                                        ; implicit-def: $vgpr134
                                        ; implicit-def: $vgpr135
                                        ; implicit-def: $vgpr136
                                        ; implicit-def: $vgpr137
                                        ; implicit-def: $vgpr138
                                        ; implicit-def: $vgpr139
                                        ; implicit-def: $vgpr140
                                        ; implicit-def: $vgpr141
                                        ; implicit-def: $vgpr142
                                        ; implicit-def: $vgpr143
                                        ; implicit-def: $vgpr144
                                        ; implicit-def: $vgpr145
                                        ; implicit-def: $vgpr146
                                        ; implicit-def: $vgpr147
                                        ; implicit-def: $vgpr148
                                        ; implicit-def: $vgpr149
	s_movk_i32 s24, 0x1100
.LBB222_1043:                           ;   in Loop: Header=BB222_1040 Depth=2
	v_add_co_u32 v39, vcc_lo, v112, s50
	v_add_co_ci_u32_e64 v40, null, 0, v113, vcc_lo
	s_waitcnt vmcnt(14)
	v_mov_b32_e32 v135, 0xff
	v_mov_b32_e32 v134, 0xff
	s_mov_b32 s23, exec_lo
	v_cmpx_gt_u32_e64 s63, v93
	s_cbranch_execz .LBB222_1045
; %bb.1044:                             ;   in Loop: Header=BB222_1040 Depth=2
	global_load_ubyte v134, v[39:40], off
.LBB222_1045:                           ;   in Loop: Header=BB222_1040 Depth=2
	s_or_b32 exec_lo, exec_lo, s23
	s_mov_b32 s23, exec_lo
	v_cmpx_gt_u32_e64 s63, v96
	s_cbranch_execz .LBB222_1047
; %bb.1046:                             ;   in Loop: Header=BB222_1040 Depth=2
	global_load_ubyte v135, v[39:40], off offset:32
.LBB222_1047:                           ;   in Loop: Header=BB222_1040 Depth=2
	s_or_b32 exec_lo, exec_lo, s23
	s_waitcnt vmcnt(12)
	v_mov_b32_e32 v137, 0xff
	v_mov_b32_e32 v136, 0xff
	s_mov_b32 s23, exec_lo
	v_cmpx_gt_u32_e64 s63, v97
	s_cbranch_execz .LBB222_1049
; %bb.1048:                             ;   in Loop: Header=BB222_1040 Depth=2
	global_load_ubyte v136, v[39:40], off offset:64
.LBB222_1049:                           ;   in Loop: Header=BB222_1040 Depth=2
	s_or_b32 exec_lo, exec_lo, s23
	s_mov_b32 s23, exec_lo
	v_cmpx_gt_u32_e64 s63, v98
	s_cbranch_execz .LBB222_1051
; %bb.1050:                             ;   in Loop: Header=BB222_1040 Depth=2
	global_load_ubyte v137, v[39:40], off offset:96
.LBB222_1051:                           ;   in Loop: Header=BB222_1040 Depth=2
	s_or_b32 exec_lo, exec_lo, s23
	s_waitcnt vmcnt(10)
	v_mov_b32_e32 v139, 0xff
	v_mov_b32_e32 v138, 0xff
	s_mov_b32 s23, exec_lo
	v_cmpx_gt_u32_e64 s63, v99
	s_cbranch_execz .LBB222_1053
; %bb.1052:                             ;   in Loop: Header=BB222_1040 Depth=2
	global_load_ubyte v138, v[39:40], off offset:128
.LBB222_1053:                           ;   in Loop: Header=BB222_1040 Depth=2
	;; [unrolled: 17-line block ×7, first 2 shown]
	s_or_b32 exec_lo, exec_lo, s23
	s_mov_b32 s23, exec_lo
	v_cmpx_gt_u32_e64 s63, v110
	s_cbranch_execz .LBB222_1075
; %bb.1074:                             ;   in Loop: Header=BB222_1040 Depth=2
	global_load_ubyte v149, v[39:40], off offset:480
.LBB222_1075:                           ;   in Loop: Header=BB222_1040 Depth=2
	s_or_b32 exec_lo, exec_lo, s23
	v_cmp_gt_u32_e64 s23, s63, v111
	s_sub_i32 s24, s59, s50
.LBB222_1076:                           ;   in Loop: Header=BB222_1040 Depth=2
	v_mov_b32_e32 v150, 0xff
	v_mov_b32_e32 v3, s63
	s_and_saveexec_b32 s25, s23
	s_cbranch_execz .LBB222_1078
; %bb.1077:                             ;   in Loop: Header=BB222_1040 Depth=2
	v_add_co_u32 v39, vcc_lo, v112, s50
	v_add_co_ci_u32_e64 v40, null, s51, v113, vcc_lo
	v_mov_b32_e32 v3, s24
	global_load_ubyte v150, v[39:40], off offset:512
.LBB222_1078:                           ;   in Loop: Header=BB222_1040 Depth=2
	s_or_b32 exec_lo, exec_lo, s25
	s_waitcnt vmcnt(15)
	v_lshrrev_b32_sdwa v39, s41, v134 dst_sel:DWORD dst_unused:UNUSED_PAD src0_sel:DWORD src1_sel:BYTE_0
	ds_write2_b32 v69, v4, v4 offset0:136 offset1:137
	ds_write2_b32 v69, v4, v4 offset0:138 offset1:139
	ds_write_b32 v69, v4 offset:560
	s_waitcnt vmcnt(0) lgkmcnt(0)
	s_barrier
	v_and_b32_e32 v40, s62, v39
	buffer_gl0_inv
	; wave barrier
	v_and_b32_e32 v39, 1, v40
	v_lshlrev_b32_e32 v41, 30, v40
	v_lshlrev_b32_e32 v42, 29, v40
	;; [unrolled: 1-line block ×4, first 2 shown]
	v_add_co_u32 v39, s23, v39, -1
	v_cndmask_b32_e64 v151, 0, 1, s23
	v_not_b32_e32 v155, v41
	v_cmp_gt_i32_e64 s23, 0, v41
	v_not_b32_e32 v41, v42
	v_lshlrev_b32_e32 v154, 26, v40
	v_cmp_ne_u32_e32 vcc_lo, 0, v151
	v_ashrrev_i32_e32 v155, 31, v155
	v_lshlrev_b32_e32 v151, 25, v40
	v_ashrrev_i32_e32 v41, 31, v41
	v_mul_u32_u24_e32 v40, 36, v40
	v_xor_b32_e32 v39, vcc_lo, v39
	v_cmp_gt_i32_e32 vcc_lo, 0, v42
	v_not_b32_e32 v42, v152
	v_xor_b32_e32 v155, s23, v155
	v_cmp_gt_i32_e64 s23, 0, v152
	v_and_b32_e32 v39, exec_lo, v39
	v_not_b32_e32 v152, v153
	v_ashrrev_i32_e32 v42, 31, v42
	v_xor_b32_e32 v41, vcc_lo, v41
	v_cmp_gt_i32_e32 vcc_lo, 0, v153
	v_and_b32_e32 v39, v39, v155
	v_not_b32_e32 v153, v154
	v_ashrrev_i32_e32 v152, 31, v152
	v_xor_b32_e32 v42, s23, v42
	v_cmp_gt_i32_e64 s23, 0, v154
	v_and_b32_e32 v39, v39, v41
	v_not_b32_e32 v41, v151
	v_ashrrev_i32_e32 v153, 31, v153
	v_xor_b32_e32 v152, vcc_lo, v152
	v_cmp_gt_i32_e32 vcc_lo, 0, v151
	v_and_b32_e32 v39, v39, v42
	v_ashrrev_i32_e32 v41, 31, v41
	v_xor_b32_e32 v42, s23, v153
	v_and_b32_e32 v39, v39, v152
	v_xor_b32_e32 v41, vcc_lo, v41
	v_add_nc_u32_e32 v152, v114, v40
	v_and_b32_e32 v39, v39, v42
	v_and_b32_e32 v39, v39, v41
	v_mbcnt_lo_u32_b32 v151, v39, 0
	v_cmp_ne_u32_e64 s23, 0, v39
	v_cmp_eq_u32_e32 vcc_lo, 0, v151
	s_and_b32 s24, s23, vcc_lo
	s_and_saveexec_b32 s23, s24
; %bb.1079:                             ;   in Loop: Header=BB222_1040 Depth=2
	v_bcnt_u32_b32 v39, v39, 0
	ds_write_b32 v152, v39 offset:544
; %bb.1080:                             ;   in Loop: Header=BB222_1040 Depth=2
	s_or_b32 exec_lo, exec_lo, s23
	v_lshrrev_b32_sdwa v39, s41, v135 dst_sel:DWORD dst_unused:UNUSED_PAD src0_sel:DWORD src1_sel:BYTE_0
	; wave barrier
	v_and_b32_e32 v40, s62, v39
	v_and_b32_e32 v39, 1, v40
	v_lshlrev_b32_e32 v41, 30, v40
	v_lshlrev_b32_e32 v42, 29, v40
	v_lshlrev_b32_e32 v154, 28, v40
	v_lshlrev_b32_e32 v155, 27, v40
	v_add_co_u32 v39, s23, v39, -1
	v_cndmask_b32_e64 v153, 0, 1, s23
	v_not_b32_e32 v157, v41
	v_cmp_gt_i32_e64 s23, 0, v41
	v_not_b32_e32 v41, v42
	v_lshlrev_b32_e32 v156, 26, v40
	v_cmp_ne_u32_e32 vcc_lo, 0, v153
	v_ashrrev_i32_e32 v157, 31, v157
	v_lshlrev_b32_e32 v153, 25, v40
	v_ashrrev_i32_e32 v41, 31, v41
	v_xor_b32_e32 v39, vcc_lo, v39
	v_cmp_gt_i32_e32 vcc_lo, 0, v42
	v_not_b32_e32 v42, v154
	v_xor_b32_e32 v157, s23, v157
	v_cmp_gt_i32_e64 s23, 0, v154
	v_and_b32_e32 v39, exec_lo, v39
	v_not_b32_e32 v154, v155
	v_ashrrev_i32_e32 v42, 31, v42
	v_xor_b32_e32 v41, vcc_lo, v41
	v_cmp_gt_i32_e32 vcc_lo, 0, v155
	v_and_b32_e32 v39, v39, v157
	v_not_b32_e32 v155, v156
	v_ashrrev_i32_e32 v154, 31, v154
	v_xor_b32_e32 v42, s23, v42
	v_cmp_gt_i32_e64 s23, 0, v156
	v_and_b32_e32 v39, v39, v41
	v_not_b32_e32 v41, v153
	v_ashrrev_i32_e32 v155, 31, v155
	v_xor_b32_e32 v154, vcc_lo, v154
	v_cmp_gt_i32_e32 vcc_lo, 0, v153
	v_and_b32_e32 v39, v39, v42
	v_ashrrev_i32_e32 v41, 31, v41
	v_xor_b32_e32 v42, s23, v155
	v_mad_u32_u24 v153, v40, 36, v114
	v_mul_u32_u24_e32 v40, 36, v40
	v_and_b32_e32 v39, v39, v154
	v_xor_b32_e32 v41, vcc_lo, v41
	ds_read_b32 v153, v153 offset:544
	v_add_nc_u32_e32 v155, v114, v40
	v_and_b32_e32 v39, v39, v42
	; wave barrier
	v_and_b32_e32 v39, v39, v41
	v_mbcnt_lo_u32_b32 v154, v39, 0
	v_cmp_ne_u32_e64 s23, 0, v39
	v_cmp_eq_u32_e32 vcc_lo, 0, v154
	s_and_b32 s24, s23, vcc_lo
	s_and_saveexec_b32 s23, s24
	s_cbranch_execz .LBB222_1082
; %bb.1081:                             ;   in Loop: Header=BB222_1040 Depth=2
	s_waitcnt lgkmcnt(0)
	v_bcnt_u32_b32 v39, v39, v153
	ds_write_b32 v155, v39 offset:544
.LBB222_1082:                           ;   in Loop: Header=BB222_1040 Depth=2
	s_or_b32 exec_lo, exec_lo, s23
	v_lshrrev_b32_sdwa v39, s41, v136 dst_sel:DWORD dst_unused:UNUSED_PAD src0_sel:DWORD src1_sel:BYTE_0
	; wave barrier
	v_and_b32_e32 v40, s62, v39
	v_and_b32_e32 v39, 1, v40
	v_lshlrev_b32_e32 v41, 30, v40
	v_lshlrev_b32_e32 v42, 29, v40
	v_lshlrev_b32_e32 v157, 28, v40
	v_lshlrev_b32_e32 v158, 27, v40
	v_add_co_u32 v39, s23, v39, -1
	v_cndmask_b32_e64 v156, 0, 1, s23
	v_not_b32_e32 v160, v41
	v_cmp_gt_i32_e64 s23, 0, v41
	v_not_b32_e32 v41, v42
	v_lshlrev_b32_e32 v159, 26, v40
	v_cmp_ne_u32_e32 vcc_lo, 0, v156
	v_ashrrev_i32_e32 v160, 31, v160
	v_lshlrev_b32_e32 v156, 25, v40
	v_ashrrev_i32_e32 v41, 31, v41
	v_xor_b32_e32 v39, vcc_lo, v39
	v_cmp_gt_i32_e32 vcc_lo, 0, v42
	v_not_b32_e32 v42, v157
	v_xor_b32_e32 v160, s23, v160
	v_cmp_gt_i32_e64 s23, 0, v157
	v_and_b32_e32 v39, exec_lo, v39
	v_not_b32_e32 v157, v158
	v_ashrrev_i32_e32 v42, 31, v42
	v_xor_b32_e32 v41, vcc_lo, v41
	v_cmp_gt_i32_e32 vcc_lo, 0, v158
	v_and_b32_e32 v39, v39, v160
	v_not_b32_e32 v158, v159
	v_ashrrev_i32_e32 v157, 31, v157
	v_xor_b32_e32 v42, s23, v42
	v_cmp_gt_i32_e64 s23, 0, v159
	v_and_b32_e32 v39, v39, v41
	v_not_b32_e32 v41, v156
	v_ashrrev_i32_e32 v158, 31, v158
	v_xor_b32_e32 v157, vcc_lo, v157
	v_cmp_gt_i32_e32 vcc_lo, 0, v156
	v_and_b32_e32 v39, v39, v42
	v_ashrrev_i32_e32 v41, 31, v41
	v_xor_b32_e32 v42, s23, v158
	v_mad_u32_u24 v156, v40, 36, v114
	v_mul_u32_u24_e32 v40, 36, v40
	v_and_b32_e32 v39, v39, v157
	v_xor_b32_e32 v41, vcc_lo, v41
	ds_read_b32 v156, v156 offset:544
	v_add_nc_u32_e32 v158, v114, v40
	v_and_b32_e32 v39, v39, v42
	; wave barrier
	v_and_b32_e32 v39, v39, v41
	v_mbcnt_lo_u32_b32 v157, v39, 0
	v_cmp_ne_u32_e64 s23, 0, v39
	v_cmp_eq_u32_e32 vcc_lo, 0, v157
	s_and_b32 s24, s23, vcc_lo
	s_and_saveexec_b32 s23, s24
	s_cbranch_execz .LBB222_1084
; %bb.1083:                             ;   in Loop: Header=BB222_1040 Depth=2
	s_waitcnt lgkmcnt(0)
	v_bcnt_u32_b32 v39, v39, v156
	ds_write_b32 v158, v39 offset:544
.LBB222_1084:                           ;   in Loop: Header=BB222_1040 Depth=2
	;; [unrolled: 62-line block ×16, first 2 shown]
	s_or_b32 exec_lo, exec_lo, s23
	; wave barrier
	s_waitcnt lgkmcnt(0)
	s_barrier
	buffer_gl0_inv
	ds_read2_b32 v[41:42], v69 offset0:136 offset1:137
	ds_read2_b32 v[39:40], v69 offset0:138 offset1:139
	ds_read_b32 v201, v69 offset:560
	s_waitcnt lgkmcnt(1)
	v_add3_u32 v202, v42, v41, v39
	s_waitcnt lgkmcnt(0)
	v_add3_u32 v201, v202, v40, v201
	v_mov_b32_dpp v202, v201 row_shr:1 row_mask:0xf bank_mask:0xf
	v_cndmask_b32_e64 v202, v202, 0, s5
	v_add_nc_u32_e32 v201, v202, v201
	v_mov_b32_dpp v202, v201 row_shr:2 row_mask:0xf bank_mask:0xf
	v_cndmask_b32_e64 v202, 0, v202, s15
	v_add_nc_u32_e32 v201, v201, v202
	;; [unrolled: 3-line block ×4, first 2 shown]
	ds_swizzle_b32 v202, v201 offset:swizzle(BROADCAST,32,15)
	s_waitcnt lgkmcnt(0)
	v_cndmask_b32_e64 v202, v202, 0, s18
	v_add_nc_u32_e32 v201, v201, v202
	s_and_saveexec_b32 s23, s4
; %bb.1113:                             ;   in Loop: Header=BB222_1040 Depth=2
	ds_write_b32 v62, v201 offset:512
; %bb.1114:                             ;   in Loop: Header=BB222_1040 Depth=2
	s_or_b32 exec_lo, exec_lo, s23
	s_waitcnt lgkmcnt(0)
	s_barrier
	buffer_gl0_inv
	s_and_saveexec_b32 s23, s12
	s_cbranch_execz .LBB222_1116
; %bb.1115:                             ;   in Loop: Header=BB222_1040 Depth=2
	ds_read_b32 v202, v70 offset:512
	s_waitcnt lgkmcnt(0)
	v_mov_b32_dpp v203, v202 row_shr:1 row_mask:0xf bank_mask:0xf
	v_cndmask_b32_e64 v203, v203, 0, s20
	v_add_nc_u32_e32 v202, v203, v202
	v_mov_b32_dpp v203, v202 row_shr:2 row_mask:0xf bank_mask:0xf
	v_cndmask_b32_e64 v203, 0, v203, s21
	v_add_nc_u32_e32 v202, v202, v203
	;; [unrolled: 3-line block ×3, first 2 shown]
	ds_write_b32 v70, v202 offset:512
.LBB222_1116:                           ;   in Loop: Header=BB222_1040 Depth=2
	s_or_b32 exec_lo, exec_lo, s23
	v_mov_b32_e32 v202, 0
	s_waitcnt lgkmcnt(0)
	s_barrier
	buffer_gl0_inv
	s_and_saveexec_b32 s23, s11
; %bb.1117:                             ;   in Loop: Header=BB222_1040 Depth=2
	ds_read_b32 v202, v62 offset:508
; %bb.1118:                             ;   in Loop: Header=BB222_1040 Depth=2
	s_or_b32 exec_lo, exec_lo, s23
	s_waitcnt lgkmcnt(0)
	v_add_nc_u32_e32 v201, v202, v201
	ds_bpermute_b32 v201, v92, v201
	s_waitcnt lgkmcnt(0)
	v_cndmask_b32_e64 v201, v201, v202, s19
	v_cndmask_b32_e64 v201, v201, 0, s13
	v_add_nc_u32_e32 v41, v201, v41
	v_add_nc_u32_e32 v42, v41, v42
	;; [unrolled: 1-line block ×4, first 2 shown]
	ds_write2_b32 v69, v201, v41 offset0:136 offset1:137
	ds_write2_b32 v69, v42, v39 offset0:138 offset1:139
	ds_write_b32 v69, v40 offset:560
	s_waitcnt lgkmcnt(0)
	s_barrier
	buffer_gl0_inv
	ds_read_b32 v39, v152 offset:544
	ds_read_b32 v40, v155 offset:544
	;; [unrolled: 1-line block ×17, first 2 shown]
	s_and_saveexec_b32 s23, s8
	s_cbranch_execz .LBB222_1122
; %bb.1119:                             ;   in Loop: Header=BB222_1040 Depth=2
	v_add_nc_u32_e32 v132, v70, v72
	v_mov_b32_e32 v133, 0x1100
	ds_read_b32 v132, v132 offset:544
	s_and_saveexec_b32 s24, s14
; %bb.1120:                             ;   in Loop: Header=BB222_1040 Depth=2
	ds_read_b32 v133, v71 offset:544
; %bb.1121:                             ;   in Loop: Header=BB222_1040 Depth=2
	s_or_b32 exec_lo, exec_lo, s24
	s_waitcnt lgkmcnt(0)
	v_sub_nc_u32_e32 v133, v133, v132
.LBB222_1122:                           ;   in Loop: Header=BB222_1040 Depth=2
	s_or_b32 exec_lo, exec_lo, s23
	s_waitcnt lgkmcnt(0)
	s_barrier
	buffer_gl0_inv
	s_and_saveexec_b32 s23, s8
	s_cbranch_execz .LBB222_1124
; %bb.1123:                             ;   in Loop: Header=BB222_1040 Depth=2
	ds_read_b32 v161, v43
	s_waitcnt lgkmcnt(0)
	v_sub_nc_u32_e32 v161, v161, v132
	ds_write_b32 v43, v161
.LBB222_1124:                           ;   in Loop: Header=BB222_1040 Depth=2
	s_or_b32 exec_lo, exec_lo, s23
	v_add_nc_u32_e32 v173, v39, v151
	v_add3_u32 v170, v154, v153, v40
	v_add3_u32 v167, v157, v156, v41
	;; [unrolled: 1-line block ×16, first 2 shown]
	v_cmp_lt_u32_e64 s39, v0, v3
	ds_write_b8 v173, v134 offset:512
	ds_write_b8 v170, v135 offset:512
	;; [unrolled: 1-line block ×17, first 2 shown]
	s_waitcnt lgkmcnt(0)
	s_barrier
	buffer_gl0_inv
	s_and_saveexec_b32 s23, s39
	s_cbranch_execnz .LBB222_1197
; %bb.1125:                             ;   in Loop: Header=BB222_1040 Depth=2
	s_or_b32 exec_lo, exec_lo, s23
	v_cmp_lt_u32_e64 s38, v44, v3
	s_and_saveexec_b32 s23, s38
	s_cbranch_execnz .LBB222_1198
.LBB222_1126:                           ;   in Loop: Header=BB222_1040 Depth=2
	s_or_b32 exec_lo, exec_lo, s23
	v_cmp_lt_u32_e64 s37, v47, v3
	s_and_saveexec_b32 s23, s37
	s_cbranch_execnz .LBB222_1199
.LBB222_1127:                           ;   in Loop: Header=BB222_1040 Depth=2
	s_or_b32 exec_lo, exec_lo, s23
	v_cmp_lt_u32_e64 s36, v48, v3
	s_and_saveexec_b32 s23, s36
	s_cbranch_execnz .LBB222_1200
.LBB222_1128:                           ;   in Loop: Header=BB222_1040 Depth=2
	s_or_b32 exec_lo, exec_lo, s23
	v_cmp_lt_u32_e64 s35, v49, v3
	s_and_saveexec_b32 s23, s35
	s_cbranch_execnz .LBB222_1201
.LBB222_1129:                           ;   in Loop: Header=BB222_1040 Depth=2
	s_or_b32 exec_lo, exec_lo, s23
	v_cmp_lt_u32_e64 s34, v50, v3
	s_and_saveexec_b32 s23, s34
	s_cbranch_execnz .LBB222_1202
.LBB222_1130:                           ;   in Loop: Header=BB222_1040 Depth=2
	s_or_b32 exec_lo, exec_lo, s23
	v_cmp_lt_u32_e64 s33, v51, v3
	s_and_saveexec_b32 s23, s33
	s_cbranch_execnz .LBB222_1203
.LBB222_1131:                           ;   in Loop: Header=BB222_1040 Depth=2
	s_or_b32 exec_lo, exec_lo, s23
	v_cmp_lt_u32_e64 s31, v52, v3
	s_and_saveexec_b32 s23, s31
	s_cbranch_execnz .LBB222_1204
.LBB222_1132:                           ;   in Loop: Header=BB222_1040 Depth=2
	s_or_b32 exec_lo, exec_lo, s23
	v_cmp_lt_u32_e64 s30, v53, v3
	s_and_saveexec_b32 s23, s30
	s_cbranch_execnz .LBB222_1205
.LBB222_1133:                           ;   in Loop: Header=BB222_1040 Depth=2
	s_or_b32 exec_lo, exec_lo, s23
	v_cmp_lt_u32_e64 s29, v54, v3
	s_and_saveexec_b32 s23, s29
	s_cbranch_execnz .LBB222_1206
.LBB222_1134:                           ;   in Loop: Header=BB222_1040 Depth=2
	s_or_b32 exec_lo, exec_lo, s23
	v_cmp_lt_u32_e64 s28, v55, v3
	s_and_saveexec_b32 s23, s28
	s_cbranch_execnz .LBB222_1207
.LBB222_1135:                           ;   in Loop: Header=BB222_1040 Depth=2
	s_or_b32 exec_lo, exec_lo, s23
	v_cmp_lt_u32_e64 s27, v56, v3
	s_and_saveexec_b32 s23, s27
	s_cbranch_execnz .LBB222_1208
.LBB222_1136:                           ;   in Loop: Header=BB222_1040 Depth=2
	s_or_b32 exec_lo, exec_lo, s23
	v_cmp_lt_u32_e64 s26, v57, v3
	s_and_saveexec_b32 s23, s26
	s_cbranch_execnz .LBB222_1209
.LBB222_1137:                           ;   in Loop: Header=BB222_1040 Depth=2
	s_or_b32 exec_lo, exec_lo, s23
	v_cmp_lt_u32_e64 s25, v58, v3
	s_and_saveexec_b32 s23, s25
	s_cbranch_execnz .LBB222_1210
.LBB222_1138:                           ;   in Loop: Header=BB222_1040 Depth=2
	s_or_b32 exec_lo, exec_lo, s23
	v_cmp_lt_u32_e64 s24, v59, v3
	s_and_saveexec_b32 s23, s24
	s_cbranch_execnz .LBB222_1211
.LBB222_1139:                           ;   in Loop: Header=BB222_1040 Depth=2
	s_or_b32 exec_lo, exec_lo, s23
	v_cmp_lt_u32_e64 s23, v60, v3
	s_and_saveexec_b32 s40, s23
	s_cbranch_execnz .LBB222_1212
.LBB222_1140:                           ;   in Loop: Header=BB222_1040 Depth=2
	s_or_b32 exec_lo, exec_lo, s40
	v_cmp_lt_u32_e32 vcc_lo, v61, v3
	s_and_saveexec_b32 s40, vcc_lo
	s_cbranch_execz .LBB222_1142
.LBB222_1141:                           ;   in Loop: Header=BB222_1040 Depth=2
	ds_read_u8 v39, v0 offset:4608
	s_waitcnt lgkmcnt(0)
	v_lshrrev_b32_sdwa v40, s41, v39 dst_sel:DWORD dst_unused:UNUSED_PAD src0_sel:DWORD src1_sel:BYTE_0
	v_and_b32_e32 v40, s62, v40
	v_lshlrev_b32_e32 v40, 2, v40
	ds_read_b32 v40, v40
	s_waitcnt lgkmcnt(0)
	v_add_nc_u32_e32 v40, v40, v61
	global_store_byte v40, v39, s[48:49]
.LBB222_1142:                           ;   in Loop: Header=BB222_1040 Depth=2
	s_or_b32 exec_lo, exec_lo, s40
	s_lshl_b64 s[66:67], s[50:51], 3
	v_add_co_u32 v39, s40, v94, s66
	v_add_co_ci_u32_e64 v40, null, s67, v95, s40
	v_cmp_lt_u32_e64 s40, v93, v3
	s_and_saveexec_b32 s50, s40
	s_xor_b32 s40, exec_lo, s50
	s_cbranch_execnz .LBB222_1213
; %bb.1143:                             ;   in Loop: Header=BB222_1040 Depth=2
	s_or_b32 exec_lo, exec_lo, s40
	s_mov_b32 s50, exec_lo
	v_cmpx_lt_u32_e64 v96, v3
	s_cbranch_execnz .LBB222_1214
.LBB222_1144:                           ;   in Loop: Header=BB222_1040 Depth=2
	s_or_b32 exec_lo, exec_lo, s50
	s_mov_b32 s50, exec_lo
	v_cmpx_lt_u32_e64 v97, v3
	s_cbranch_execnz .LBB222_1215
.LBB222_1145:                           ;   in Loop: Header=BB222_1040 Depth=2
	s_or_b32 exec_lo, exec_lo, s50
	s_mov_b32 s50, exec_lo
	v_cmpx_lt_u32_e64 v98, v3
	s_cbranch_execnz .LBB222_1216
.LBB222_1146:                           ;   in Loop: Header=BB222_1040 Depth=2
	s_or_b32 exec_lo, exec_lo, s50
	s_mov_b32 s50, exec_lo
	v_cmpx_lt_u32_e64 v99, v3
	s_cbranch_execnz .LBB222_1217
.LBB222_1147:                           ;   in Loop: Header=BB222_1040 Depth=2
	s_or_b32 exec_lo, exec_lo, s50
	s_mov_b32 s50, exec_lo
	v_cmpx_lt_u32_e64 v100, v3
	s_cbranch_execnz .LBB222_1218
.LBB222_1148:                           ;   in Loop: Header=BB222_1040 Depth=2
	s_or_b32 exec_lo, exec_lo, s50
	s_mov_b32 s50, exec_lo
	v_cmpx_lt_u32_e64 v101, v3
	s_cbranch_execnz .LBB222_1219
.LBB222_1149:                           ;   in Loop: Header=BB222_1040 Depth=2
	s_or_b32 exec_lo, exec_lo, s50
	s_mov_b32 s50, exec_lo
	v_cmpx_lt_u32_e64 v102, v3
	s_cbranch_execnz .LBB222_1220
.LBB222_1150:                           ;   in Loop: Header=BB222_1040 Depth=2
	s_or_b32 exec_lo, exec_lo, s50
	s_mov_b32 s50, exec_lo
	v_cmpx_lt_u32_e64 v103, v3
	s_cbranch_execnz .LBB222_1221
.LBB222_1151:                           ;   in Loop: Header=BB222_1040 Depth=2
	s_or_b32 exec_lo, exec_lo, s50
	s_mov_b32 s50, exec_lo
	v_cmpx_lt_u32_e64 v104, v3
	s_cbranch_execnz .LBB222_1222
.LBB222_1152:                           ;   in Loop: Header=BB222_1040 Depth=2
	s_or_b32 exec_lo, exec_lo, s50
	s_mov_b32 s50, exec_lo
	v_cmpx_lt_u32_e64 v105, v3
	s_cbranch_execnz .LBB222_1223
.LBB222_1153:                           ;   in Loop: Header=BB222_1040 Depth=2
	s_or_b32 exec_lo, exec_lo, s50
	s_mov_b32 s50, exec_lo
	v_cmpx_lt_u32_e64 v106, v3
	s_cbranch_execnz .LBB222_1224
.LBB222_1154:                           ;   in Loop: Header=BB222_1040 Depth=2
	s_or_b32 exec_lo, exec_lo, s50
	s_mov_b32 s50, exec_lo
	v_cmpx_lt_u32_e64 v107, v3
	s_cbranch_execnz .LBB222_1225
.LBB222_1155:                           ;   in Loop: Header=BB222_1040 Depth=2
	s_or_b32 exec_lo, exec_lo, s50
	s_mov_b32 s50, exec_lo
	v_cmpx_lt_u32_e64 v108, v3
	s_cbranch_execnz .LBB222_1226
.LBB222_1156:                           ;   in Loop: Header=BB222_1040 Depth=2
	s_or_b32 exec_lo, exec_lo, s50
	s_mov_b32 s50, exec_lo
	v_cmpx_lt_u32_e64 v109, v3
	s_cbranch_execnz .LBB222_1227
.LBB222_1157:                           ;   in Loop: Header=BB222_1040 Depth=2
	s_or_b32 exec_lo, exec_lo, s50
	s_mov_b32 s50, exec_lo
	v_cmpx_lt_u32_e64 v110, v3
	s_cbranch_execnz .LBB222_1228
.LBB222_1158:                           ;   in Loop: Header=BB222_1040 Depth=2
	s_or_b32 exec_lo, exec_lo, s50
	s_mov_b32 s50, exec_lo
	v_cmpx_lt_u32_e64 v111, v3
	s_cbranch_execnz .LBB222_1229
.LBB222_1159:                           ;   in Loop: Header=BB222_1040 Depth=2
	s_or_b32 exec_lo, exec_lo, s50
	s_and_saveexec_b32 s40, s39
	s_cbranch_execnz .LBB222_1230
.LBB222_1160:                           ;   in Loop: Header=BB222_1040 Depth=2
	s_or_b32 exec_lo, exec_lo, s40
	s_and_saveexec_b32 s40, s38
	s_cbranch_execnz .LBB222_1231
.LBB222_1161:                           ;   in Loop: Header=BB222_1040 Depth=2
	s_or_b32 exec_lo, exec_lo, s40
	s_and_saveexec_b32 s40, s37
	s_cbranch_execnz .LBB222_1232
.LBB222_1162:                           ;   in Loop: Header=BB222_1040 Depth=2
	s_or_b32 exec_lo, exec_lo, s40
	s_and_saveexec_b32 s40, s36
	s_cbranch_execnz .LBB222_1233
.LBB222_1163:                           ;   in Loop: Header=BB222_1040 Depth=2
	s_or_b32 exec_lo, exec_lo, s40
	s_and_saveexec_b32 s40, s35
	s_cbranch_execnz .LBB222_1234
.LBB222_1164:                           ;   in Loop: Header=BB222_1040 Depth=2
	s_or_b32 exec_lo, exec_lo, s40
	s_and_saveexec_b32 s40, s34
	s_cbranch_execnz .LBB222_1235
.LBB222_1165:                           ;   in Loop: Header=BB222_1040 Depth=2
	s_or_b32 exec_lo, exec_lo, s40
	s_and_saveexec_b32 s40, s33
	s_cbranch_execnz .LBB222_1236
.LBB222_1166:                           ;   in Loop: Header=BB222_1040 Depth=2
	s_or_b32 exec_lo, exec_lo, s40
	s_and_saveexec_b32 s40, s31
	s_cbranch_execnz .LBB222_1237
.LBB222_1167:                           ;   in Loop: Header=BB222_1040 Depth=2
	s_or_b32 exec_lo, exec_lo, s40
	s_and_saveexec_b32 s40, s30
	s_cbranch_execnz .LBB222_1238
.LBB222_1168:                           ;   in Loop: Header=BB222_1040 Depth=2
	s_or_b32 exec_lo, exec_lo, s40
	s_and_saveexec_b32 s40, s29
	s_cbranch_execnz .LBB222_1239
.LBB222_1169:                           ;   in Loop: Header=BB222_1040 Depth=2
	s_or_b32 exec_lo, exec_lo, s40
	s_and_saveexec_b32 s40, s28
	s_cbranch_execnz .LBB222_1240
.LBB222_1170:                           ;   in Loop: Header=BB222_1040 Depth=2
	s_or_b32 exec_lo, exec_lo, s40
	s_and_saveexec_b32 s40, s27
	s_cbranch_execnz .LBB222_1241
.LBB222_1171:                           ;   in Loop: Header=BB222_1040 Depth=2
	s_or_b32 exec_lo, exec_lo, s40
	s_and_saveexec_b32 s40, s26
	s_cbranch_execnz .LBB222_1242
.LBB222_1172:                           ;   in Loop: Header=BB222_1040 Depth=2
	s_or_b32 exec_lo, exec_lo, s40
	s_and_saveexec_b32 s40, s25
	s_cbranch_execnz .LBB222_1243
.LBB222_1173:                           ;   in Loop: Header=BB222_1040 Depth=2
	s_or_b32 exec_lo, exec_lo, s40
	s_and_saveexec_b32 s40, s24
	s_cbranch_execnz .LBB222_1244
.LBB222_1174:                           ;   in Loop: Header=BB222_1040 Depth=2
	s_or_b32 exec_lo, exec_lo, s40
	s_and_saveexec_b32 s40, s23
	s_cbranch_execnz .LBB222_1245
.LBB222_1175:                           ;   in Loop: Header=BB222_1040 Depth=2
	s_or_b32 exec_lo, exec_lo, s40
	s_and_saveexec_b32 s40, vcc_lo
	s_cbranch_execz .LBB222_1177
.LBB222_1176:                           ;   in Loop: Header=BB222_1040 Depth=2
	ds_read_u8 v3, v0 offset:4608
	s_waitcnt lgkmcnt(0)
	v_lshrrev_b32_e32 v3, s41, v3
	v_and_b32_e32 v115, s62, v3
.LBB222_1177:                           ;   in Loop: Header=BB222_1040 Depth=2
	s_or_b32 exec_lo, exec_lo, s40
	v_lshlrev_b32_e32 v3, 3, v173
	v_lshlrev_b32_e32 v39, 3, v170
	s_waitcnt vmcnt(0)
	s_waitcnt_vscnt null, 0x0
	s_barrier
	buffer_gl0_inv
	ds_write_b64 v3, v[37:38] offset:512
	v_lshlrev_b32_e32 v3, 3, v167
	ds_write_b64 v39, v[35:36] offset:512
	v_lshlrev_b32_e32 v39, 3, v164
	v_lshlrev_b32_e32 v40, 3, v161
	;; [unrolled: 1-line block ×3, first 2 shown]
	ds_write_b64 v3, v[33:34] offset:512
	v_lshlrev_b32_e32 v3, 3, v159
	ds_write_b64 v39, v[31:32] offset:512
	ds_write_b64 v40, v[29:30] offset:512
	;; [unrolled: 1-line block ×3, first 2 shown]
	v_lshlrev_b32_e32 v39, 3, v158
	v_lshlrev_b32_e32 v40, 3, v156
	;; [unrolled: 1-line block ×3, first 2 shown]
	ds_write_b64 v3, v[21:22] offset:512
	v_lshlrev_b32_e32 v3, 3, v157
	ds_write_b64 v39, v[17:18] offset:512
	v_lshlrev_b32_e32 v39, 3, v154
	ds_write_b64 v3, v[27:28] offset:512
	ds_write_b64 v40, v[23:24] offset:512
	;; [unrolled: 1-line block ×3, first 2 shown]
	v_lshlrev_b32_e32 v3, 3, v153
	ds_write_b64 v39, v[15:16] offset:512
	v_lshlrev_b32_e32 v39, 3, v152
	v_lshlrev_b32_e32 v40, 3, v151
	;; [unrolled: 1-line block ×3, first 2 shown]
	ds_write_b64 v3, v[13:14] offset:512
	v_lshlrev_b32_e32 v3, 3, v41
	ds_write_b64 v39, v[11:12] offset:512
	ds_write_b64 v40, v[9:10] offset:512
	;; [unrolled: 1-line block ×3, first 2 shown]
	v_add_nc_u32_e32 v39, v0, v75
	ds_write_b64 v3, v[5:6] offset:512
	s_waitcnt lgkmcnt(0)
	s_barrier
	buffer_gl0_inv
	s_and_saveexec_b32 s40, s39
	s_cbranch_execnz .LBB222_1246
; %bb.1178:                             ;   in Loop: Header=BB222_1040 Depth=2
	s_or_b32 exec_lo, exec_lo, s40
	s_and_saveexec_b32 s39, s38
	s_cbranch_execnz .LBB222_1247
.LBB222_1179:                           ;   in Loop: Header=BB222_1040 Depth=2
	s_or_b32 exec_lo, exec_lo, s39
	s_and_saveexec_b32 s38, s37
	s_cbranch_execnz .LBB222_1248
.LBB222_1180:                           ;   in Loop: Header=BB222_1040 Depth=2
	s_or_b32 exec_lo, exec_lo, s38
	s_and_saveexec_b32 s37, s36
	s_cbranch_execnz .LBB222_1249
.LBB222_1181:                           ;   in Loop: Header=BB222_1040 Depth=2
	s_or_b32 exec_lo, exec_lo, s37
	s_and_saveexec_b32 s36, s35
	s_cbranch_execnz .LBB222_1250
.LBB222_1182:                           ;   in Loop: Header=BB222_1040 Depth=2
	s_or_b32 exec_lo, exec_lo, s36
	s_and_saveexec_b32 s35, s34
	s_cbranch_execnz .LBB222_1251
.LBB222_1183:                           ;   in Loop: Header=BB222_1040 Depth=2
	s_or_b32 exec_lo, exec_lo, s35
	s_and_saveexec_b32 s34, s33
	s_cbranch_execnz .LBB222_1252
.LBB222_1184:                           ;   in Loop: Header=BB222_1040 Depth=2
	s_or_b32 exec_lo, exec_lo, s34
	s_and_saveexec_b32 s33, s31
	s_cbranch_execnz .LBB222_1253
.LBB222_1185:                           ;   in Loop: Header=BB222_1040 Depth=2
	s_or_b32 exec_lo, exec_lo, s33
	s_and_saveexec_b32 s31, s30
	s_cbranch_execnz .LBB222_1254
.LBB222_1186:                           ;   in Loop: Header=BB222_1040 Depth=2
	s_or_b32 exec_lo, exec_lo, s31
	s_and_saveexec_b32 s30, s29
	s_cbranch_execnz .LBB222_1255
.LBB222_1187:                           ;   in Loop: Header=BB222_1040 Depth=2
	s_or_b32 exec_lo, exec_lo, s30
	s_and_saveexec_b32 s29, s28
	s_cbranch_execnz .LBB222_1256
.LBB222_1188:                           ;   in Loop: Header=BB222_1040 Depth=2
	s_or_b32 exec_lo, exec_lo, s29
	s_and_saveexec_b32 s28, s27
	s_cbranch_execnz .LBB222_1257
.LBB222_1189:                           ;   in Loop: Header=BB222_1040 Depth=2
	s_or_b32 exec_lo, exec_lo, s28
	s_and_saveexec_b32 s27, s26
	s_cbranch_execnz .LBB222_1258
.LBB222_1190:                           ;   in Loop: Header=BB222_1040 Depth=2
	s_or_b32 exec_lo, exec_lo, s27
	s_and_saveexec_b32 s26, s25
	s_cbranch_execnz .LBB222_1259
.LBB222_1191:                           ;   in Loop: Header=BB222_1040 Depth=2
	s_or_b32 exec_lo, exec_lo, s26
	s_and_saveexec_b32 s25, s24
	s_cbranch_execnz .LBB222_1260
.LBB222_1192:                           ;   in Loop: Header=BB222_1040 Depth=2
	s_or_b32 exec_lo, exec_lo, s25
	s_and_saveexec_b32 s24, s23
	s_cbranch_execnz .LBB222_1261
.LBB222_1193:                           ;   in Loop: Header=BB222_1040 Depth=2
	s_or_b32 exec_lo, exec_lo, s24
	s_and_saveexec_b32 s23, vcc_lo
	s_cbranch_execz .LBB222_1195
.LBB222_1194:                           ;   in Loop: Header=BB222_1040 Depth=2
	v_lshlrev_b32_e32 v3, 2, v115
	ds_read_b32 v3, v3
	ds_read_b64 v[39:40], v39 offset:33280
	s_waitcnt lgkmcnt(1)
	v_add_nc_u32_e32 v3, v3, v61
	v_lshlrev_b64 v[41:42], 3, v[3:4]
	v_add_co_u32 v41, vcc_lo, s54, v41
	v_add_co_ci_u32_e64 v42, null, s55, v42, vcc_lo
	s_waitcnt lgkmcnt(0)
	global_store_dwordx2 v[41:42], v[39:40], off
.LBB222_1195:                           ;   in Loop: Header=BB222_1040 Depth=2
	s_or_b32 exec_lo, exec_lo, s23
	s_waitcnt_vscnt null, 0x0
	s_barrier
	buffer_gl0_inv
	s_and_saveexec_b32 s23, s8
	s_cbranch_execz .LBB222_1039
; %bb.1196:                             ;   in Loop: Header=BB222_1040 Depth=2
	ds_read_b32 v3, v43
	s_waitcnt lgkmcnt(0)
	v_add3_u32 v3, v132, v133, v3
	ds_write_b32 v43, v3
	s_branch .LBB222_1039
.LBB222_1197:                           ;   in Loop: Header=BB222_1040 Depth=2
	ds_read_u8 v39, v0 offset:512
	s_waitcnt lgkmcnt(0)
	v_lshrrev_b32_sdwa v40, s41, v39 dst_sel:DWORD dst_unused:UNUSED_PAD src0_sel:DWORD src1_sel:BYTE_0
	v_and_b32_e32 v40, s62, v40
	v_lshlrev_b32_e32 v40, 2, v40
	ds_read_b32 v40, v40
	s_waitcnt lgkmcnt(0)
	v_add_nc_u32_e32 v40, v40, v0
	global_store_byte v40, v39, s[48:49]
	s_or_b32 exec_lo, exec_lo, s23
	v_cmp_lt_u32_e64 s38, v44, v3
	s_and_saveexec_b32 s23, s38
	s_cbranch_execz .LBB222_1126
.LBB222_1198:                           ;   in Loop: Header=BB222_1040 Depth=2
	ds_read_u8 v39, v0 offset:768
	s_waitcnt lgkmcnt(0)
	v_lshrrev_b32_sdwa v40, s41, v39 dst_sel:DWORD dst_unused:UNUSED_PAD src0_sel:DWORD src1_sel:BYTE_0
	v_and_b32_e32 v40, s62, v40
	v_lshlrev_b32_e32 v40, 2, v40
	ds_read_b32 v40, v40
	s_waitcnt lgkmcnt(0)
	v_add_nc_u32_e32 v40, v40, v44
	global_store_byte v40, v39, s[48:49]
	s_or_b32 exec_lo, exec_lo, s23
	v_cmp_lt_u32_e64 s37, v47, v3
	s_and_saveexec_b32 s23, s37
	s_cbranch_execz .LBB222_1127
.LBB222_1199:                           ;   in Loop: Header=BB222_1040 Depth=2
	ds_read_u8 v39, v0 offset:1024
	s_waitcnt lgkmcnt(0)
	v_lshrrev_b32_sdwa v40, s41, v39 dst_sel:DWORD dst_unused:UNUSED_PAD src0_sel:DWORD src1_sel:BYTE_0
	v_and_b32_e32 v40, s62, v40
	v_lshlrev_b32_e32 v40, 2, v40
	ds_read_b32 v40, v40
	s_waitcnt lgkmcnt(0)
	v_add_nc_u32_e32 v40, v40, v47
	global_store_byte v40, v39, s[48:49]
	s_or_b32 exec_lo, exec_lo, s23
	v_cmp_lt_u32_e64 s36, v48, v3
	s_and_saveexec_b32 s23, s36
	s_cbranch_execz .LBB222_1128
.LBB222_1200:                           ;   in Loop: Header=BB222_1040 Depth=2
	ds_read_u8 v39, v0 offset:1280
	s_waitcnt lgkmcnt(0)
	v_lshrrev_b32_sdwa v40, s41, v39 dst_sel:DWORD dst_unused:UNUSED_PAD src0_sel:DWORD src1_sel:BYTE_0
	v_and_b32_e32 v40, s62, v40
	v_lshlrev_b32_e32 v40, 2, v40
	ds_read_b32 v40, v40
	s_waitcnt lgkmcnt(0)
	v_add_nc_u32_e32 v40, v40, v48
	global_store_byte v40, v39, s[48:49]
	s_or_b32 exec_lo, exec_lo, s23
	v_cmp_lt_u32_e64 s35, v49, v3
	s_and_saveexec_b32 s23, s35
	s_cbranch_execz .LBB222_1129
.LBB222_1201:                           ;   in Loop: Header=BB222_1040 Depth=2
	ds_read_u8 v39, v0 offset:1536
	s_waitcnt lgkmcnt(0)
	v_lshrrev_b32_sdwa v40, s41, v39 dst_sel:DWORD dst_unused:UNUSED_PAD src0_sel:DWORD src1_sel:BYTE_0
	v_and_b32_e32 v40, s62, v40
	v_lshlrev_b32_e32 v40, 2, v40
	ds_read_b32 v40, v40
	s_waitcnt lgkmcnt(0)
	v_add_nc_u32_e32 v40, v40, v49
	global_store_byte v40, v39, s[48:49]
	s_or_b32 exec_lo, exec_lo, s23
	v_cmp_lt_u32_e64 s34, v50, v3
	s_and_saveexec_b32 s23, s34
	s_cbranch_execz .LBB222_1130
.LBB222_1202:                           ;   in Loop: Header=BB222_1040 Depth=2
	ds_read_u8 v39, v0 offset:1792
	s_waitcnt lgkmcnt(0)
	v_lshrrev_b32_sdwa v40, s41, v39 dst_sel:DWORD dst_unused:UNUSED_PAD src0_sel:DWORD src1_sel:BYTE_0
	v_and_b32_e32 v40, s62, v40
	v_lshlrev_b32_e32 v40, 2, v40
	ds_read_b32 v40, v40
	s_waitcnt lgkmcnt(0)
	v_add_nc_u32_e32 v40, v40, v50
	global_store_byte v40, v39, s[48:49]
	s_or_b32 exec_lo, exec_lo, s23
	v_cmp_lt_u32_e64 s33, v51, v3
	s_and_saveexec_b32 s23, s33
	s_cbranch_execz .LBB222_1131
.LBB222_1203:                           ;   in Loop: Header=BB222_1040 Depth=2
	ds_read_u8 v39, v0 offset:2048
	s_waitcnt lgkmcnt(0)
	v_lshrrev_b32_sdwa v40, s41, v39 dst_sel:DWORD dst_unused:UNUSED_PAD src0_sel:DWORD src1_sel:BYTE_0
	v_and_b32_e32 v40, s62, v40
	v_lshlrev_b32_e32 v40, 2, v40
	ds_read_b32 v40, v40
	s_waitcnt lgkmcnt(0)
	v_add_nc_u32_e32 v40, v40, v51
	global_store_byte v40, v39, s[48:49]
	s_or_b32 exec_lo, exec_lo, s23
	v_cmp_lt_u32_e64 s31, v52, v3
	s_and_saveexec_b32 s23, s31
	s_cbranch_execz .LBB222_1132
.LBB222_1204:                           ;   in Loop: Header=BB222_1040 Depth=2
	ds_read_u8 v39, v0 offset:2304
	s_waitcnt lgkmcnt(0)
	v_lshrrev_b32_sdwa v40, s41, v39 dst_sel:DWORD dst_unused:UNUSED_PAD src0_sel:DWORD src1_sel:BYTE_0
	v_and_b32_e32 v40, s62, v40
	v_lshlrev_b32_e32 v40, 2, v40
	ds_read_b32 v40, v40
	s_waitcnt lgkmcnt(0)
	v_add_nc_u32_e32 v40, v40, v52
	global_store_byte v40, v39, s[48:49]
	s_or_b32 exec_lo, exec_lo, s23
	v_cmp_lt_u32_e64 s30, v53, v3
	s_and_saveexec_b32 s23, s30
	s_cbranch_execz .LBB222_1133
.LBB222_1205:                           ;   in Loop: Header=BB222_1040 Depth=2
	ds_read_u8 v39, v0 offset:2560
	s_waitcnt lgkmcnt(0)
	v_lshrrev_b32_sdwa v40, s41, v39 dst_sel:DWORD dst_unused:UNUSED_PAD src0_sel:DWORD src1_sel:BYTE_0
	v_and_b32_e32 v40, s62, v40
	v_lshlrev_b32_e32 v40, 2, v40
	ds_read_b32 v40, v40
	s_waitcnt lgkmcnt(0)
	v_add_nc_u32_e32 v40, v40, v53
	global_store_byte v40, v39, s[48:49]
	s_or_b32 exec_lo, exec_lo, s23
	v_cmp_lt_u32_e64 s29, v54, v3
	s_and_saveexec_b32 s23, s29
	s_cbranch_execz .LBB222_1134
.LBB222_1206:                           ;   in Loop: Header=BB222_1040 Depth=2
	ds_read_u8 v39, v0 offset:2816
	s_waitcnt lgkmcnt(0)
	v_lshrrev_b32_sdwa v40, s41, v39 dst_sel:DWORD dst_unused:UNUSED_PAD src0_sel:DWORD src1_sel:BYTE_0
	v_and_b32_e32 v40, s62, v40
	v_lshlrev_b32_e32 v40, 2, v40
	ds_read_b32 v40, v40
	s_waitcnt lgkmcnt(0)
	v_add_nc_u32_e32 v40, v40, v54
	global_store_byte v40, v39, s[48:49]
	s_or_b32 exec_lo, exec_lo, s23
	v_cmp_lt_u32_e64 s28, v55, v3
	s_and_saveexec_b32 s23, s28
	s_cbranch_execz .LBB222_1135
.LBB222_1207:                           ;   in Loop: Header=BB222_1040 Depth=2
	ds_read_u8 v39, v0 offset:3072
	s_waitcnt lgkmcnt(0)
	v_lshrrev_b32_sdwa v40, s41, v39 dst_sel:DWORD dst_unused:UNUSED_PAD src0_sel:DWORD src1_sel:BYTE_0
	v_and_b32_e32 v40, s62, v40
	v_lshlrev_b32_e32 v40, 2, v40
	ds_read_b32 v40, v40
	s_waitcnt lgkmcnt(0)
	v_add_nc_u32_e32 v40, v40, v55
	global_store_byte v40, v39, s[48:49]
	s_or_b32 exec_lo, exec_lo, s23
	v_cmp_lt_u32_e64 s27, v56, v3
	s_and_saveexec_b32 s23, s27
	s_cbranch_execz .LBB222_1136
.LBB222_1208:                           ;   in Loop: Header=BB222_1040 Depth=2
	ds_read_u8 v39, v0 offset:3328
	s_waitcnt lgkmcnt(0)
	v_lshrrev_b32_sdwa v40, s41, v39 dst_sel:DWORD dst_unused:UNUSED_PAD src0_sel:DWORD src1_sel:BYTE_0
	v_and_b32_e32 v40, s62, v40
	v_lshlrev_b32_e32 v40, 2, v40
	ds_read_b32 v40, v40
	s_waitcnt lgkmcnt(0)
	v_add_nc_u32_e32 v40, v40, v56
	global_store_byte v40, v39, s[48:49]
	s_or_b32 exec_lo, exec_lo, s23
	v_cmp_lt_u32_e64 s26, v57, v3
	s_and_saveexec_b32 s23, s26
	s_cbranch_execz .LBB222_1137
.LBB222_1209:                           ;   in Loop: Header=BB222_1040 Depth=2
	ds_read_u8 v39, v0 offset:3584
	s_waitcnt lgkmcnt(0)
	v_lshrrev_b32_sdwa v40, s41, v39 dst_sel:DWORD dst_unused:UNUSED_PAD src0_sel:DWORD src1_sel:BYTE_0
	v_and_b32_e32 v40, s62, v40
	v_lshlrev_b32_e32 v40, 2, v40
	ds_read_b32 v40, v40
	s_waitcnt lgkmcnt(0)
	v_add_nc_u32_e32 v40, v40, v57
	global_store_byte v40, v39, s[48:49]
	s_or_b32 exec_lo, exec_lo, s23
	v_cmp_lt_u32_e64 s25, v58, v3
	s_and_saveexec_b32 s23, s25
	s_cbranch_execz .LBB222_1138
.LBB222_1210:                           ;   in Loop: Header=BB222_1040 Depth=2
	ds_read_u8 v39, v0 offset:3840
	s_waitcnt lgkmcnt(0)
	v_lshrrev_b32_sdwa v40, s41, v39 dst_sel:DWORD dst_unused:UNUSED_PAD src0_sel:DWORD src1_sel:BYTE_0
	v_and_b32_e32 v40, s62, v40
	v_lshlrev_b32_e32 v40, 2, v40
	ds_read_b32 v40, v40
	s_waitcnt lgkmcnt(0)
	v_add_nc_u32_e32 v40, v40, v58
	global_store_byte v40, v39, s[48:49]
	s_or_b32 exec_lo, exec_lo, s23
	v_cmp_lt_u32_e64 s24, v59, v3
	s_and_saveexec_b32 s23, s24
	s_cbranch_execz .LBB222_1139
.LBB222_1211:                           ;   in Loop: Header=BB222_1040 Depth=2
	ds_read_u8 v39, v0 offset:4096
	s_waitcnt lgkmcnt(0)
	v_lshrrev_b32_sdwa v40, s41, v39 dst_sel:DWORD dst_unused:UNUSED_PAD src0_sel:DWORD src1_sel:BYTE_0
	v_and_b32_e32 v40, s62, v40
	v_lshlrev_b32_e32 v40, 2, v40
	ds_read_b32 v40, v40
	s_waitcnt lgkmcnt(0)
	v_add_nc_u32_e32 v40, v40, v59
	global_store_byte v40, v39, s[48:49]
	s_or_b32 exec_lo, exec_lo, s23
	v_cmp_lt_u32_e64 s23, v60, v3
	s_and_saveexec_b32 s40, s23
	s_cbranch_execz .LBB222_1140
.LBB222_1212:                           ;   in Loop: Header=BB222_1040 Depth=2
	ds_read_u8 v39, v0 offset:4352
	s_waitcnt lgkmcnt(0)
	v_lshrrev_b32_sdwa v40, s41, v39 dst_sel:DWORD dst_unused:UNUSED_PAD src0_sel:DWORD src1_sel:BYTE_0
	v_and_b32_e32 v40, s62, v40
	v_lshlrev_b32_e32 v40, 2, v40
	ds_read_b32 v40, v40
	s_waitcnt lgkmcnt(0)
	v_add_nc_u32_e32 v40, v40, v60
	global_store_byte v40, v39, s[48:49]
	s_or_b32 exec_lo, exec_lo, s40
	v_cmp_lt_u32_e32 vcc_lo, v61, v3
	s_and_saveexec_b32 s40, vcc_lo
	s_cbranch_execnz .LBB222_1141
	s_branch .LBB222_1142
.LBB222_1213:                           ;   in Loop: Header=BB222_1040 Depth=2
	global_load_dwordx2 v[37:38], v[39:40], off
	s_or_b32 exec_lo, exec_lo, s40
	s_mov_b32 s50, exec_lo
	v_cmpx_lt_u32_e64 v96, v3
	s_cbranch_execz .LBB222_1144
.LBB222_1214:                           ;   in Loop: Header=BB222_1040 Depth=2
	global_load_dwordx2 v[35:36], v[39:40], off offset:256
	s_or_b32 exec_lo, exec_lo, s50
	s_mov_b32 s50, exec_lo
	v_cmpx_lt_u32_e64 v97, v3
	s_cbranch_execz .LBB222_1145
.LBB222_1215:                           ;   in Loop: Header=BB222_1040 Depth=2
	global_load_dwordx2 v[33:34], v[39:40], off offset:512
	s_or_b32 exec_lo, exec_lo, s50
	s_mov_b32 s50, exec_lo
	v_cmpx_lt_u32_e64 v98, v3
	s_cbranch_execz .LBB222_1146
.LBB222_1216:                           ;   in Loop: Header=BB222_1040 Depth=2
	global_load_dwordx2 v[31:32], v[39:40], off offset:768
	s_or_b32 exec_lo, exec_lo, s50
	s_mov_b32 s50, exec_lo
	v_cmpx_lt_u32_e64 v99, v3
	s_cbranch_execz .LBB222_1147
.LBB222_1217:                           ;   in Loop: Header=BB222_1040 Depth=2
	global_load_dwordx2 v[29:30], v[39:40], off offset:1024
	s_or_b32 exec_lo, exec_lo, s50
	s_mov_b32 s50, exec_lo
	v_cmpx_lt_u32_e64 v100, v3
	s_cbranch_execz .LBB222_1148
.LBB222_1218:                           ;   in Loop: Header=BB222_1040 Depth=2
	global_load_dwordx2 v[25:26], v[39:40], off offset:1280
	s_or_b32 exec_lo, exec_lo, s50
	s_mov_b32 s50, exec_lo
	v_cmpx_lt_u32_e64 v101, v3
	s_cbranch_execz .LBB222_1149
.LBB222_1219:                           ;   in Loop: Header=BB222_1040 Depth=2
	global_load_dwordx2 v[21:22], v[39:40], off offset:1536
	s_or_b32 exec_lo, exec_lo, s50
	s_mov_b32 s50, exec_lo
	v_cmpx_lt_u32_e64 v102, v3
	s_cbranch_execz .LBB222_1150
.LBB222_1220:                           ;   in Loop: Header=BB222_1040 Depth=2
	global_load_dwordx2 v[17:18], v[39:40], off offset:1792
	s_or_b32 exec_lo, exec_lo, s50
	s_mov_b32 s50, exec_lo
	v_cmpx_lt_u32_e64 v103, v3
	s_cbranch_execz .LBB222_1151
.LBB222_1221:                           ;   in Loop: Header=BB222_1040 Depth=2
	v_add_co_u32 v27, s40, 0x800, v39
	v_add_co_ci_u32_e64 v28, null, 0, v40, s40
	global_load_dwordx2 v[27:28], v[27:28], off
	s_or_b32 exec_lo, exec_lo, s50
	s_mov_b32 s50, exec_lo
	v_cmpx_lt_u32_e64 v104, v3
	s_cbranch_execz .LBB222_1152
.LBB222_1222:                           ;   in Loop: Header=BB222_1040 Depth=2
	v_add_co_u32 v23, s40, 0x800, v39
	v_add_co_ci_u32_e64 v24, null, 0, v40, s40
	global_load_dwordx2 v[23:24], v[23:24], off offset:256
	s_or_b32 exec_lo, exec_lo, s50
	s_mov_b32 s50, exec_lo
	v_cmpx_lt_u32_e64 v105, v3
	s_cbranch_execz .LBB222_1153
.LBB222_1223:                           ;   in Loop: Header=BB222_1040 Depth=2
	v_add_co_u32 v19, s40, 0x800, v39
	v_add_co_ci_u32_e64 v20, null, 0, v40, s40
	global_load_dwordx2 v[19:20], v[19:20], off offset:512
	s_or_b32 exec_lo, exec_lo, s50
	s_mov_b32 s50, exec_lo
	v_cmpx_lt_u32_e64 v106, v3
	s_cbranch_execz .LBB222_1154
.LBB222_1224:                           ;   in Loop: Header=BB222_1040 Depth=2
	v_add_co_u32 v15, s40, 0x800, v39
	v_add_co_ci_u32_e64 v16, null, 0, v40, s40
	global_load_dwordx2 v[15:16], v[15:16], off offset:768
	s_or_b32 exec_lo, exec_lo, s50
	s_mov_b32 s50, exec_lo
	v_cmpx_lt_u32_e64 v107, v3
	s_cbranch_execz .LBB222_1155
.LBB222_1225:                           ;   in Loop: Header=BB222_1040 Depth=2
	v_add_co_u32 v13, s40, 0x800, v39
	v_add_co_ci_u32_e64 v14, null, 0, v40, s40
	global_load_dwordx2 v[13:14], v[13:14], off offset:1024
	s_or_b32 exec_lo, exec_lo, s50
	s_mov_b32 s50, exec_lo
	v_cmpx_lt_u32_e64 v108, v3
	s_cbranch_execz .LBB222_1156
.LBB222_1226:                           ;   in Loop: Header=BB222_1040 Depth=2
	v_add_co_u32 v11, s40, 0x800, v39
	v_add_co_ci_u32_e64 v12, null, 0, v40, s40
	global_load_dwordx2 v[11:12], v[11:12], off offset:1280
	s_or_b32 exec_lo, exec_lo, s50
	s_mov_b32 s50, exec_lo
	v_cmpx_lt_u32_e64 v109, v3
	s_cbranch_execz .LBB222_1157
.LBB222_1227:                           ;   in Loop: Header=BB222_1040 Depth=2
	v_add_co_u32 v9, s40, 0x800, v39
	v_add_co_ci_u32_e64 v10, null, 0, v40, s40
	global_load_dwordx2 v[9:10], v[9:10], off offset:1536
	s_or_b32 exec_lo, exec_lo, s50
	s_mov_b32 s50, exec_lo
	v_cmpx_lt_u32_e64 v110, v3
	s_cbranch_execz .LBB222_1158
.LBB222_1228:                           ;   in Loop: Header=BB222_1040 Depth=2
	v_add_co_u32 v7, s40, 0x800, v39
	v_add_co_ci_u32_e64 v8, null, 0, v40, s40
	global_load_dwordx2 v[7:8], v[7:8], off offset:1792
	s_or_b32 exec_lo, exec_lo, s50
	s_mov_b32 s50, exec_lo
	v_cmpx_lt_u32_e64 v111, v3
	s_cbranch_execz .LBB222_1159
.LBB222_1229:                           ;   in Loop: Header=BB222_1040 Depth=2
	v_add_co_u32 v5, s40, 0x1000, v39
	v_add_co_ci_u32_e64 v6, null, 0, v40, s40
	global_load_dwordx2 v[5:6], v[5:6], off
	s_or_b32 exec_lo, exec_lo, s50
	s_and_saveexec_b32 s40, s39
	s_cbranch_execz .LBB222_1160
.LBB222_1230:                           ;   in Loop: Header=BB222_1040 Depth=2
	ds_read_u8 v3, v0 offset:512
	s_waitcnt lgkmcnt(0)
	v_lshrrev_b32_e32 v3, s41, v3
	v_and_b32_e32 v131, s62, v3
	s_or_b32 exec_lo, exec_lo, s40
	s_and_saveexec_b32 s40, s38
	s_cbranch_execz .LBB222_1161
.LBB222_1231:                           ;   in Loop: Header=BB222_1040 Depth=2
	ds_read_u8 v3, v0 offset:768
	s_waitcnt lgkmcnt(0)
	v_lshrrev_b32_e32 v3, s41, v3
	v_and_b32_e32 v130, s62, v3
	s_or_b32 exec_lo, exec_lo, s40
	s_and_saveexec_b32 s40, s37
	s_cbranch_execz .LBB222_1162
.LBB222_1232:                           ;   in Loop: Header=BB222_1040 Depth=2
	ds_read_u8 v3, v0 offset:1024
	s_waitcnt lgkmcnt(0)
	v_lshrrev_b32_e32 v3, s41, v3
	v_and_b32_e32 v129, s62, v3
	s_or_b32 exec_lo, exec_lo, s40
	s_and_saveexec_b32 s40, s36
	s_cbranch_execz .LBB222_1163
.LBB222_1233:                           ;   in Loop: Header=BB222_1040 Depth=2
	ds_read_u8 v3, v0 offset:1280
	s_waitcnt lgkmcnt(0)
	v_lshrrev_b32_e32 v3, s41, v3
	v_and_b32_e32 v128, s62, v3
	s_or_b32 exec_lo, exec_lo, s40
	s_and_saveexec_b32 s40, s35
	s_cbranch_execz .LBB222_1164
.LBB222_1234:                           ;   in Loop: Header=BB222_1040 Depth=2
	ds_read_u8 v3, v0 offset:1536
	s_waitcnt lgkmcnt(0)
	v_lshrrev_b32_e32 v3, s41, v3
	v_and_b32_e32 v127, s62, v3
	s_or_b32 exec_lo, exec_lo, s40
	s_and_saveexec_b32 s40, s34
	s_cbranch_execz .LBB222_1165
.LBB222_1235:                           ;   in Loop: Header=BB222_1040 Depth=2
	ds_read_u8 v3, v0 offset:1792
	s_waitcnt lgkmcnt(0)
	v_lshrrev_b32_e32 v3, s41, v3
	v_and_b32_e32 v126, s62, v3
	s_or_b32 exec_lo, exec_lo, s40
	s_and_saveexec_b32 s40, s33
	s_cbranch_execz .LBB222_1166
.LBB222_1236:                           ;   in Loop: Header=BB222_1040 Depth=2
	ds_read_u8 v3, v0 offset:2048
	s_waitcnt lgkmcnt(0)
	v_lshrrev_b32_e32 v3, s41, v3
	v_and_b32_e32 v125, s62, v3
	s_or_b32 exec_lo, exec_lo, s40
	s_and_saveexec_b32 s40, s31
	s_cbranch_execz .LBB222_1167
.LBB222_1237:                           ;   in Loop: Header=BB222_1040 Depth=2
	ds_read_u8 v3, v0 offset:2304
	s_waitcnt lgkmcnt(0)
	v_lshrrev_b32_e32 v3, s41, v3
	v_and_b32_e32 v124, s62, v3
	s_or_b32 exec_lo, exec_lo, s40
	s_and_saveexec_b32 s40, s30
	s_cbranch_execz .LBB222_1168
.LBB222_1238:                           ;   in Loop: Header=BB222_1040 Depth=2
	ds_read_u8 v3, v0 offset:2560
	s_waitcnt lgkmcnt(0)
	v_lshrrev_b32_e32 v3, s41, v3
	v_and_b32_e32 v123, s62, v3
	s_or_b32 exec_lo, exec_lo, s40
	s_and_saveexec_b32 s40, s29
	s_cbranch_execz .LBB222_1169
.LBB222_1239:                           ;   in Loop: Header=BB222_1040 Depth=2
	ds_read_u8 v3, v0 offset:2816
	s_waitcnt lgkmcnt(0)
	v_lshrrev_b32_e32 v3, s41, v3
	v_and_b32_e32 v122, s62, v3
	s_or_b32 exec_lo, exec_lo, s40
	s_and_saveexec_b32 s40, s28
	s_cbranch_execz .LBB222_1170
.LBB222_1240:                           ;   in Loop: Header=BB222_1040 Depth=2
	ds_read_u8 v3, v0 offset:3072
	s_waitcnt lgkmcnt(0)
	v_lshrrev_b32_e32 v3, s41, v3
	v_and_b32_e32 v121, s62, v3
	s_or_b32 exec_lo, exec_lo, s40
	s_and_saveexec_b32 s40, s27
	s_cbranch_execz .LBB222_1171
.LBB222_1241:                           ;   in Loop: Header=BB222_1040 Depth=2
	ds_read_u8 v3, v0 offset:3328
	s_waitcnt lgkmcnt(0)
	v_lshrrev_b32_e32 v3, s41, v3
	v_and_b32_e32 v120, s62, v3
	s_or_b32 exec_lo, exec_lo, s40
	s_and_saveexec_b32 s40, s26
	s_cbranch_execz .LBB222_1172
.LBB222_1242:                           ;   in Loop: Header=BB222_1040 Depth=2
	ds_read_u8 v3, v0 offset:3584
	s_waitcnt lgkmcnt(0)
	v_lshrrev_b32_e32 v3, s41, v3
	v_and_b32_e32 v119, s62, v3
	s_or_b32 exec_lo, exec_lo, s40
	s_and_saveexec_b32 s40, s25
	s_cbranch_execz .LBB222_1173
.LBB222_1243:                           ;   in Loop: Header=BB222_1040 Depth=2
	ds_read_u8 v3, v0 offset:3840
	s_waitcnt lgkmcnt(0)
	v_lshrrev_b32_e32 v3, s41, v3
	v_and_b32_e32 v118, s62, v3
	s_or_b32 exec_lo, exec_lo, s40
	s_and_saveexec_b32 s40, s24
	s_cbranch_execz .LBB222_1174
.LBB222_1244:                           ;   in Loop: Header=BB222_1040 Depth=2
	ds_read_u8 v3, v0 offset:4096
	s_waitcnt lgkmcnt(0)
	v_lshrrev_b32_e32 v3, s41, v3
	v_and_b32_e32 v117, s62, v3
	s_or_b32 exec_lo, exec_lo, s40
	s_and_saveexec_b32 s40, s23
	s_cbranch_execz .LBB222_1175
.LBB222_1245:                           ;   in Loop: Header=BB222_1040 Depth=2
	ds_read_u8 v3, v0 offset:4352
	s_waitcnt lgkmcnt(0)
	v_lshrrev_b32_e32 v3, s41, v3
	v_and_b32_e32 v116, s62, v3
	s_or_b32 exec_lo, exec_lo, s40
	s_and_saveexec_b32 s40, vcc_lo
	s_cbranch_execnz .LBB222_1176
	s_branch .LBB222_1177
.LBB222_1246:                           ;   in Loop: Header=BB222_1040 Depth=2
	v_lshlrev_b32_e32 v3, 2, v131
	ds_read_b32 v3, v3
	ds_read_b64 v[40:41], v39 offset:512
	s_waitcnt lgkmcnt(1)
	v_add_nc_u32_e32 v3, v3, v0
	v_lshlrev_b64 v[134:135], 3, v[3:4]
	v_add_co_u32 v134, s39, s54, v134
	v_add_co_ci_u32_e64 v135, null, s55, v135, s39
	s_waitcnt lgkmcnt(0)
	global_store_dwordx2 v[134:135], v[40:41], off
	s_or_b32 exec_lo, exec_lo, s40
	s_and_saveexec_b32 s39, s38
	s_cbranch_execz .LBB222_1179
.LBB222_1247:                           ;   in Loop: Header=BB222_1040 Depth=2
	v_lshlrev_b32_e32 v3, 2, v130
	ds_read_b32 v3, v3
	ds_read_b64 v[40:41], v39 offset:2560
	s_waitcnt lgkmcnt(1)
	v_add_nc_u32_e32 v3, v3, v44
	v_lshlrev_b64 v[134:135], 3, v[3:4]
	v_add_co_u32 v134, s38, s54, v134
	v_add_co_ci_u32_e64 v135, null, s55, v135, s38
	s_waitcnt lgkmcnt(0)
	global_store_dwordx2 v[134:135], v[40:41], off
	s_or_b32 exec_lo, exec_lo, s39
	s_and_saveexec_b32 s38, s37
	s_cbranch_execz .LBB222_1180
.LBB222_1248:                           ;   in Loop: Header=BB222_1040 Depth=2
	v_lshlrev_b32_e32 v3, 2, v129
	ds_read_b32 v3, v3
	ds_read_b64 v[40:41], v39 offset:4608
	s_waitcnt lgkmcnt(1)
	v_add_nc_u32_e32 v3, v3, v47
	v_lshlrev_b64 v[134:135], 3, v[3:4]
	v_add_co_u32 v134, s37, s54, v134
	v_add_co_ci_u32_e64 v135, null, s55, v135, s37
	s_waitcnt lgkmcnt(0)
	global_store_dwordx2 v[134:135], v[40:41], off
	s_or_b32 exec_lo, exec_lo, s38
	s_and_saveexec_b32 s37, s36
	s_cbranch_execz .LBB222_1181
.LBB222_1249:                           ;   in Loop: Header=BB222_1040 Depth=2
	v_lshlrev_b32_e32 v3, 2, v128
	ds_read_b32 v3, v3
	ds_read_b64 v[40:41], v39 offset:6656
	s_waitcnt lgkmcnt(1)
	v_add_nc_u32_e32 v3, v3, v48
	v_lshlrev_b64 v[134:135], 3, v[3:4]
	v_add_co_u32 v134, s36, s54, v134
	v_add_co_ci_u32_e64 v135, null, s55, v135, s36
	s_waitcnt lgkmcnt(0)
	global_store_dwordx2 v[134:135], v[40:41], off
	s_or_b32 exec_lo, exec_lo, s37
	s_and_saveexec_b32 s36, s35
	s_cbranch_execz .LBB222_1182
.LBB222_1250:                           ;   in Loop: Header=BB222_1040 Depth=2
	v_lshlrev_b32_e32 v3, 2, v127
	ds_read_b32 v3, v3
	ds_read_b64 v[40:41], v39 offset:8704
	s_waitcnt lgkmcnt(1)
	v_add_nc_u32_e32 v3, v3, v49
	v_lshlrev_b64 v[134:135], 3, v[3:4]
	v_add_co_u32 v134, s35, s54, v134
	v_add_co_ci_u32_e64 v135, null, s55, v135, s35
	s_waitcnt lgkmcnt(0)
	global_store_dwordx2 v[134:135], v[40:41], off
	s_or_b32 exec_lo, exec_lo, s36
	s_and_saveexec_b32 s35, s34
	s_cbranch_execz .LBB222_1183
.LBB222_1251:                           ;   in Loop: Header=BB222_1040 Depth=2
	v_lshlrev_b32_e32 v3, 2, v126
	ds_read_b32 v3, v3
	ds_read_b64 v[40:41], v39 offset:10752
	s_waitcnt lgkmcnt(1)
	v_add_nc_u32_e32 v3, v3, v50
	v_lshlrev_b64 v[134:135], 3, v[3:4]
	v_add_co_u32 v134, s34, s54, v134
	v_add_co_ci_u32_e64 v135, null, s55, v135, s34
	s_waitcnt lgkmcnt(0)
	global_store_dwordx2 v[134:135], v[40:41], off
	s_or_b32 exec_lo, exec_lo, s35
	s_and_saveexec_b32 s34, s33
	s_cbranch_execz .LBB222_1184
.LBB222_1252:                           ;   in Loop: Header=BB222_1040 Depth=2
	v_lshlrev_b32_e32 v3, 2, v125
	ds_read_b32 v3, v3
	ds_read_b64 v[40:41], v39 offset:12800
	s_waitcnt lgkmcnt(1)
	v_add_nc_u32_e32 v3, v3, v51
	v_lshlrev_b64 v[134:135], 3, v[3:4]
	v_add_co_u32 v134, s33, s54, v134
	v_add_co_ci_u32_e64 v135, null, s55, v135, s33
	s_waitcnt lgkmcnt(0)
	global_store_dwordx2 v[134:135], v[40:41], off
	s_or_b32 exec_lo, exec_lo, s34
	s_and_saveexec_b32 s33, s31
	s_cbranch_execz .LBB222_1185
.LBB222_1253:                           ;   in Loop: Header=BB222_1040 Depth=2
	v_lshlrev_b32_e32 v3, 2, v124
	ds_read_b32 v3, v3
	ds_read_b64 v[40:41], v39 offset:14848
	s_waitcnt lgkmcnt(1)
	v_add_nc_u32_e32 v3, v3, v52
	v_lshlrev_b64 v[134:135], 3, v[3:4]
	v_add_co_u32 v134, s31, s54, v134
	v_add_co_ci_u32_e64 v135, null, s55, v135, s31
	s_waitcnt lgkmcnt(0)
	global_store_dwordx2 v[134:135], v[40:41], off
	s_or_b32 exec_lo, exec_lo, s33
	s_and_saveexec_b32 s31, s30
	s_cbranch_execz .LBB222_1186
.LBB222_1254:                           ;   in Loop: Header=BB222_1040 Depth=2
	v_lshlrev_b32_e32 v3, 2, v123
	ds_read_b32 v3, v3
	ds_read_b64 v[40:41], v39 offset:16896
	s_waitcnt lgkmcnt(1)
	v_add_nc_u32_e32 v3, v3, v53
	v_lshlrev_b64 v[134:135], 3, v[3:4]
	v_add_co_u32 v134, s30, s54, v134
	v_add_co_ci_u32_e64 v135, null, s55, v135, s30
	s_waitcnt lgkmcnt(0)
	global_store_dwordx2 v[134:135], v[40:41], off
	s_or_b32 exec_lo, exec_lo, s31
	s_and_saveexec_b32 s30, s29
	s_cbranch_execz .LBB222_1187
.LBB222_1255:                           ;   in Loop: Header=BB222_1040 Depth=2
	v_lshlrev_b32_e32 v3, 2, v122
	ds_read_b32 v3, v3
	ds_read_b64 v[40:41], v39 offset:18944
	s_waitcnt lgkmcnt(1)
	v_add_nc_u32_e32 v3, v3, v54
	v_lshlrev_b64 v[134:135], 3, v[3:4]
	v_add_co_u32 v134, s29, s54, v134
	v_add_co_ci_u32_e64 v135, null, s55, v135, s29
	s_waitcnt lgkmcnt(0)
	global_store_dwordx2 v[134:135], v[40:41], off
	s_or_b32 exec_lo, exec_lo, s30
	s_and_saveexec_b32 s29, s28
	s_cbranch_execz .LBB222_1188
.LBB222_1256:                           ;   in Loop: Header=BB222_1040 Depth=2
	v_lshlrev_b32_e32 v3, 2, v121
	ds_read_b32 v3, v3
	ds_read_b64 v[40:41], v39 offset:20992
	s_waitcnt lgkmcnt(1)
	v_add_nc_u32_e32 v3, v3, v55
	v_lshlrev_b64 v[134:135], 3, v[3:4]
	v_add_co_u32 v134, s28, s54, v134
	v_add_co_ci_u32_e64 v135, null, s55, v135, s28
	s_waitcnt lgkmcnt(0)
	global_store_dwordx2 v[134:135], v[40:41], off
	s_or_b32 exec_lo, exec_lo, s29
	s_and_saveexec_b32 s28, s27
	s_cbranch_execz .LBB222_1189
.LBB222_1257:                           ;   in Loop: Header=BB222_1040 Depth=2
	v_lshlrev_b32_e32 v3, 2, v120
	ds_read_b32 v3, v3
	ds_read_b64 v[40:41], v39 offset:23040
	s_waitcnt lgkmcnt(1)
	v_add_nc_u32_e32 v3, v3, v56
	v_lshlrev_b64 v[134:135], 3, v[3:4]
	v_add_co_u32 v134, s27, s54, v134
	v_add_co_ci_u32_e64 v135, null, s55, v135, s27
	s_waitcnt lgkmcnt(0)
	global_store_dwordx2 v[134:135], v[40:41], off
	s_or_b32 exec_lo, exec_lo, s28
	s_and_saveexec_b32 s27, s26
	s_cbranch_execz .LBB222_1190
.LBB222_1258:                           ;   in Loop: Header=BB222_1040 Depth=2
	v_lshlrev_b32_e32 v3, 2, v119
	ds_read_b32 v3, v3
	ds_read_b64 v[40:41], v39 offset:25088
	s_waitcnt lgkmcnt(1)
	v_add_nc_u32_e32 v3, v3, v57
	v_lshlrev_b64 v[134:135], 3, v[3:4]
	v_add_co_u32 v134, s26, s54, v134
	v_add_co_ci_u32_e64 v135, null, s55, v135, s26
	s_waitcnt lgkmcnt(0)
	global_store_dwordx2 v[134:135], v[40:41], off
	s_or_b32 exec_lo, exec_lo, s27
	s_and_saveexec_b32 s26, s25
	s_cbranch_execz .LBB222_1191
.LBB222_1259:                           ;   in Loop: Header=BB222_1040 Depth=2
	v_lshlrev_b32_e32 v3, 2, v118
	ds_read_b32 v3, v3
	ds_read_b64 v[40:41], v39 offset:27136
	s_waitcnt lgkmcnt(1)
	v_add_nc_u32_e32 v3, v3, v58
	v_lshlrev_b64 v[134:135], 3, v[3:4]
	v_add_co_u32 v134, s25, s54, v134
	v_add_co_ci_u32_e64 v135, null, s55, v135, s25
	s_waitcnt lgkmcnt(0)
	global_store_dwordx2 v[134:135], v[40:41], off
	s_or_b32 exec_lo, exec_lo, s26
	s_and_saveexec_b32 s25, s24
	s_cbranch_execz .LBB222_1192
.LBB222_1260:                           ;   in Loop: Header=BB222_1040 Depth=2
	v_lshlrev_b32_e32 v3, 2, v117
	ds_read_b32 v3, v3
	ds_read_b64 v[40:41], v39 offset:29184
	s_waitcnt lgkmcnt(1)
	v_add_nc_u32_e32 v3, v3, v59
	v_lshlrev_b64 v[134:135], 3, v[3:4]
	v_add_co_u32 v134, s24, s54, v134
	v_add_co_ci_u32_e64 v135, null, s55, v135, s24
	s_waitcnt lgkmcnt(0)
	global_store_dwordx2 v[134:135], v[40:41], off
	s_or_b32 exec_lo, exec_lo, s25
	s_and_saveexec_b32 s24, s23
	s_cbranch_execz .LBB222_1193
.LBB222_1261:                           ;   in Loop: Header=BB222_1040 Depth=2
	v_lshlrev_b32_e32 v3, 2, v116
	ds_read_b32 v3, v3
	ds_read_b64 v[40:41], v39 offset:31232
	s_waitcnt lgkmcnt(1)
	v_add_nc_u32_e32 v3, v3, v60
	v_lshlrev_b64 v[134:135], 3, v[3:4]
	v_add_co_u32 v134, s23, s54, v134
	v_add_co_ci_u32_e64 v135, null, s55, v135, s23
	s_waitcnt lgkmcnt(0)
	global_store_dwordx2 v[134:135], v[40:41], off
	s_or_b32 exec_lo, exec_lo, s24
	s_and_saveexec_b32 s23, vcc_lo
	s_cbranch_execnz .LBB222_1194
	s_branch .LBB222_1195
.LBB222_1262:
	s_endpgm
	.section	.rodata,"a",@progbits
	.p2align	6, 0x0
	.amdhsa_kernel _ZN7rocprim17ROCPRIM_400000_NS6detail17trampoline_kernelINS0_14default_configENS1_36segmented_radix_sort_config_selectorIhlEEZNS1_25segmented_radix_sort_implIS3_Lb0EPKhPhPKlPlN2at6native12_GLOBAL__N_18offset_tEEE10hipError_tPvRmT1_PNSt15iterator_traitsISK_E10value_typeET2_T3_PNSL_ISQ_E10value_typeET4_jRbjT5_SW_jjP12ihipStream_tbEUlT_E2_NS1_11comp_targetILNS1_3genE8ELNS1_11target_archE1030ELNS1_3gpuE2ELNS1_3repE0EEENS1_30default_config_static_selectorELNS0_4arch9wavefront6targetE0EEEvSK_
		.amdhsa_group_segment_fixed_size 35344
		.amdhsa_private_segment_fixed_size 196
		.amdhsa_kernarg_size 336
		.amdhsa_user_sgpr_count 6
		.amdhsa_user_sgpr_private_segment_buffer 1
		.amdhsa_user_sgpr_dispatch_ptr 0
		.amdhsa_user_sgpr_queue_ptr 0
		.amdhsa_user_sgpr_kernarg_segment_ptr 1
		.amdhsa_user_sgpr_dispatch_id 0
		.amdhsa_user_sgpr_flat_scratch_init 0
		.amdhsa_user_sgpr_private_segment_size 0
		.amdhsa_wavefront_size32 1
		.amdhsa_uses_dynamic_stack 0
		.amdhsa_system_sgpr_private_segment_wavefront_offset 1
		.amdhsa_system_sgpr_workgroup_id_x 1
		.amdhsa_system_sgpr_workgroup_id_y 1
		.amdhsa_system_sgpr_workgroup_id_z 0
		.amdhsa_system_sgpr_workgroup_info 0
		.amdhsa_system_vgpr_workitem_id 2
		.amdhsa_next_free_vgpr 248
		.amdhsa_next_free_sgpr 68
		.amdhsa_reserve_vcc 1
		.amdhsa_reserve_flat_scratch 0
		.amdhsa_float_round_mode_32 0
		.amdhsa_float_round_mode_16_64 0
		.amdhsa_float_denorm_mode_32 3
		.amdhsa_float_denorm_mode_16_64 3
		.amdhsa_dx10_clamp 1
		.amdhsa_ieee_mode 1
		.amdhsa_fp16_overflow 0
		.amdhsa_workgroup_processor_mode 1
		.amdhsa_memory_ordered 1
		.amdhsa_forward_progress 1
		.amdhsa_shared_vgpr_count 0
		.amdhsa_exception_fp_ieee_invalid_op 0
		.amdhsa_exception_fp_denorm_src 0
		.amdhsa_exception_fp_ieee_div_zero 0
		.amdhsa_exception_fp_ieee_overflow 0
		.amdhsa_exception_fp_ieee_underflow 0
		.amdhsa_exception_fp_ieee_inexact 0
		.amdhsa_exception_int_div_zero 0
	.end_amdhsa_kernel
	.section	.text._ZN7rocprim17ROCPRIM_400000_NS6detail17trampoline_kernelINS0_14default_configENS1_36segmented_radix_sort_config_selectorIhlEEZNS1_25segmented_radix_sort_implIS3_Lb0EPKhPhPKlPlN2at6native12_GLOBAL__N_18offset_tEEE10hipError_tPvRmT1_PNSt15iterator_traitsISK_E10value_typeET2_T3_PNSL_ISQ_E10value_typeET4_jRbjT5_SW_jjP12ihipStream_tbEUlT_E2_NS1_11comp_targetILNS1_3genE8ELNS1_11target_archE1030ELNS1_3gpuE2ELNS1_3repE0EEENS1_30default_config_static_selectorELNS0_4arch9wavefront6targetE0EEEvSK_,"axG",@progbits,_ZN7rocprim17ROCPRIM_400000_NS6detail17trampoline_kernelINS0_14default_configENS1_36segmented_radix_sort_config_selectorIhlEEZNS1_25segmented_radix_sort_implIS3_Lb0EPKhPhPKlPlN2at6native12_GLOBAL__N_18offset_tEEE10hipError_tPvRmT1_PNSt15iterator_traitsISK_E10value_typeET2_T3_PNSL_ISQ_E10value_typeET4_jRbjT5_SW_jjP12ihipStream_tbEUlT_E2_NS1_11comp_targetILNS1_3genE8ELNS1_11target_archE1030ELNS1_3gpuE2ELNS1_3repE0EEENS1_30default_config_static_selectorELNS0_4arch9wavefront6targetE0EEEvSK_,comdat
.Lfunc_end222:
	.size	_ZN7rocprim17ROCPRIM_400000_NS6detail17trampoline_kernelINS0_14default_configENS1_36segmented_radix_sort_config_selectorIhlEEZNS1_25segmented_radix_sort_implIS3_Lb0EPKhPhPKlPlN2at6native12_GLOBAL__N_18offset_tEEE10hipError_tPvRmT1_PNSt15iterator_traitsISK_E10value_typeET2_T3_PNSL_ISQ_E10value_typeET4_jRbjT5_SW_jjP12ihipStream_tbEUlT_E2_NS1_11comp_targetILNS1_3genE8ELNS1_11target_archE1030ELNS1_3gpuE2ELNS1_3repE0EEENS1_30default_config_static_selectorELNS0_4arch9wavefront6targetE0EEEvSK_, .Lfunc_end222-_ZN7rocprim17ROCPRIM_400000_NS6detail17trampoline_kernelINS0_14default_configENS1_36segmented_radix_sort_config_selectorIhlEEZNS1_25segmented_radix_sort_implIS3_Lb0EPKhPhPKlPlN2at6native12_GLOBAL__N_18offset_tEEE10hipError_tPvRmT1_PNSt15iterator_traitsISK_E10value_typeET2_T3_PNSL_ISQ_E10value_typeET4_jRbjT5_SW_jjP12ihipStream_tbEUlT_E2_NS1_11comp_targetILNS1_3genE8ELNS1_11target_archE1030ELNS1_3gpuE2ELNS1_3repE0EEENS1_30default_config_static_selectorELNS0_4arch9wavefront6targetE0EEEvSK_
                                        ; -- End function
	.set _ZN7rocprim17ROCPRIM_400000_NS6detail17trampoline_kernelINS0_14default_configENS1_36segmented_radix_sort_config_selectorIhlEEZNS1_25segmented_radix_sort_implIS3_Lb0EPKhPhPKlPlN2at6native12_GLOBAL__N_18offset_tEEE10hipError_tPvRmT1_PNSt15iterator_traitsISK_E10value_typeET2_T3_PNSL_ISQ_E10value_typeET4_jRbjT5_SW_jjP12ihipStream_tbEUlT_E2_NS1_11comp_targetILNS1_3genE8ELNS1_11target_archE1030ELNS1_3gpuE2ELNS1_3repE0EEENS1_30default_config_static_selectorELNS0_4arch9wavefront6targetE0EEEvSK_.num_vgpr, max(204, .L_ZN7rocprim17ROCPRIM_400000_NS6detail26segmented_warp_sort_helperINS1_20WarpSortHelperConfigILj32ELj4ELj256EEEhlLi256ELb0EvE4sortIPKhPhPKlPlEEvT_T0_T1_T2_jjjjRNS5_12storage_typeE.num_vgpr, .L_ZN7rocprim17ROCPRIM_400000_NS6detail40segmented_radix_sort_single_block_helperIhlLj256ELj17ELb0EE4sortIPKhPhPKlPlEEbT_T0_T1_T2_jjjjRNS3_12storage_typeE.num_vgpr)
	.set _ZN7rocprim17ROCPRIM_400000_NS6detail17trampoline_kernelINS0_14default_configENS1_36segmented_radix_sort_config_selectorIhlEEZNS1_25segmented_radix_sort_implIS3_Lb0EPKhPhPKlPlN2at6native12_GLOBAL__N_18offset_tEEE10hipError_tPvRmT1_PNSt15iterator_traitsISK_E10value_typeET2_T3_PNSL_ISQ_E10value_typeET4_jRbjT5_SW_jjP12ihipStream_tbEUlT_E2_NS1_11comp_targetILNS1_3genE8ELNS1_11target_archE1030ELNS1_3gpuE2ELNS1_3repE0EEENS1_30default_config_static_selectorELNS0_4arch9wavefront6targetE0EEEvSK_.num_agpr, max(0, .L_ZN7rocprim17ROCPRIM_400000_NS6detail26segmented_warp_sort_helperINS1_20WarpSortHelperConfigILj32ELj4ELj256EEEhlLi256ELb0EvE4sortIPKhPhPKlPlEEvT_T0_T1_T2_jjjjRNS5_12storage_typeE.num_agpr, .L_ZN7rocprim17ROCPRIM_400000_NS6detail40segmented_radix_sort_single_block_helperIhlLj256ELj17ELb0EE4sortIPKhPhPKlPlEEbT_T0_T1_T2_jjjjRNS3_12storage_typeE.num_agpr)
	.set _ZN7rocprim17ROCPRIM_400000_NS6detail17trampoline_kernelINS0_14default_configENS1_36segmented_radix_sort_config_selectorIhlEEZNS1_25segmented_radix_sort_implIS3_Lb0EPKhPhPKlPlN2at6native12_GLOBAL__N_18offset_tEEE10hipError_tPvRmT1_PNSt15iterator_traitsISK_E10value_typeET2_T3_PNSL_ISQ_E10value_typeET4_jRbjT5_SW_jjP12ihipStream_tbEUlT_E2_NS1_11comp_targetILNS1_3genE8ELNS1_11target_archE1030ELNS1_3gpuE2ELNS1_3repE0EEENS1_30default_config_static_selectorELNS0_4arch9wavefront6targetE0EEEvSK_.numbered_sgpr, max(68, .L_ZN7rocprim17ROCPRIM_400000_NS6detail26segmented_warp_sort_helperINS1_20WarpSortHelperConfigILj32ELj4ELj256EEEhlLi256ELb0EvE4sortIPKhPhPKlPlEEvT_T0_T1_T2_jjjjRNS5_12storage_typeE.numbered_sgpr, .L_ZN7rocprim17ROCPRIM_400000_NS6detail40segmented_radix_sort_single_block_helperIhlLj256ELj17ELb0EE4sortIPKhPhPKlPlEEbT_T0_T1_T2_jjjjRNS3_12storage_typeE.numbered_sgpr)
	.set _ZN7rocprim17ROCPRIM_400000_NS6detail17trampoline_kernelINS0_14default_configENS1_36segmented_radix_sort_config_selectorIhlEEZNS1_25segmented_radix_sort_implIS3_Lb0EPKhPhPKlPlN2at6native12_GLOBAL__N_18offset_tEEE10hipError_tPvRmT1_PNSt15iterator_traitsISK_E10value_typeET2_T3_PNSL_ISQ_E10value_typeET4_jRbjT5_SW_jjP12ihipStream_tbEUlT_E2_NS1_11comp_targetILNS1_3genE8ELNS1_11target_archE1030ELNS1_3gpuE2ELNS1_3repE0EEENS1_30default_config_static_selectorELNS0_4arch9wavefront6targetE0EEEvSK_.num_named_barrier, max(0, .L_ZN7rocprim17ROCPRIM_400000_NS6detail26segmented_warp_sort_helperINS1_20WarpSortHelperConfigILj32ELj4ELj256EEEhlLi256ELb0EvE4sortIPKhPhPKlPlEEvT_T0_T1_T2_jjjjRNS5_12storage_typeE.num_named_barrier, .L_ZN7rocprim17ROCPRIM_400000_NS6detail40segmented_radix_sort_single_block_helperIhlLj256ELj17ELb0EE4sortIPKhPhPKlPlEEbT_T0_T1_T2_jjjjRNS3_12storage_typeE.num_named_barrier)
	.set _ZN7rocprim17ROCPRIM_400000_NS6detail17trampoline_kernelINS0_14default_configENS1_36segmented_radix_sort_config_selectorIhlEEZNS1_25segmented_radix_sort_implIS3_Lb0EPKhPhPKlPlN2at6native12_GLOBAL__N_18offset_tEEE10hipError_tPvRmT1_PNSt15iterator_traitsISK_E10value_typeET2_T3_PNSL_ISQ_E10value_typeET4_jRbjT5_SW_jjP12ihipStream_tbEUlT_E2_NS1_11comp_targetILNS1_3genE8ELNS1_11target_archE1030ELNS1_3gpuE2ELNS1_3repE0EEENS1_30default_config_static_selectorELNS0_4arch9wavefront6targetE0EEEvSK_.private_seg_size, 0+max(.L_ZN7rocprim17ROCPRIM_400000_NS6detail26segmented_warp_sort_helperINS1_20WarpSortHelperConfigILj32ELj4ELj256EEEhlLi256ELb0EvE4sortIPKhPhPKlPlEEvT_T0_T1_T2_jjjjRNS5_12storage_typeE.private_seg_size, .L_ZN7rocprim17ROCPRIM_400000_NS6detail40segmented_radix_sort_single_block_helperIhlLj256ELj17ELb0EE4sortIPKhPhPKlPlEEbT_T0_T1_T2_jjjjRNS3_12storage_typeE.private_seg_size)
	.set _ZN7rocprim17ROCPRIM_400000_NS6detail17trampoline_kernelINS0_14default_configENS1_36segmented_radix_sort_config_selectorIhlEEZNS1_25segmented_radix_sort_implIS3_Lb0EPKhPhPKlPlN2at6native12_GLOBAL__N_18offset_tEEE10hipError_tPvRmT1_PNSt15iterator_traitsISK_E10value_typeET2_T3_PNSL_ISQ_E10value_typeET4_jRbjT5_SW_jjP12ihipStream_tbEUlT_E2_NS1_11comp_targetILNS1_3genE8ELNS1_11target_archE1030ELNS1_3gpuE2ELNS1_3repE0EEENS1_30default_config_static_selectorELNS0_4arch9wavefront6targetE0EEEvSK_.uses_vcc, or(1, .L_ZN7rocprim17ROCPRIM_400000_NS6detail26segmented_warp_sort_helperINS1_20WarpSortHelperConfigILj32ELj4ELj256EEEhlLi256ELb0EvE4sortIPKhPhPKlPlEEvT_T0_T1_T2_jjjjRNS5_12storage_typeE.uses_vcc, .L_ZN7rocprim17ROCPRIM_400000_NS6detail40segmented_radix_sort_single_block_helperIhlLj256ELj17ELb0EE4sortIPKhPhPKlPlEEbT_T0_T1_T2_jjjjRNS3_12storage_typeE.uses_vcc)
	.set _ZN7rocprim17ROCPRIM_400000_NS6detail17trampoline_kernelINS0_14default_configENS1_36segmented_radix_sort_config_selectorIhlEEZNS1_25segmented_radix_sort_implIS3_Lb0EPKhPhPKlPlN2at6native12_GLOBAL__N_18offset_tEEE10hipError_tPvRmT1_PNSt15iterator_traitsISK_E10value_typeET2_T3_PNSL_ISQ_E10value_typeET4_jRbjT5_SW_jjP12ihipStream_tbEUlT_E2_NS1_11comp_targetILNS1_3genE8ELNS1_11target_archE1030ELNS1_3gpuE2ELNS1_3repE0EEENS1_30default_config_static_selectorELNS0_4arch9wavefront6targetE0EEEvSK_.uses_flat_scratch, or(0, .L_ZN7rocprim17ROCPRIM_400000_NS6detail26segmented_warp_sort_helperINS1_20WarpSortHelperConfigILj32ELj4ELj256EEEhlLi256ELb0EvE4sortIPKhPhPKlPlEEvT_T0_T1_T2_jjjjRNS5_12storage_typeE.uses_flat_scratch, .L_ZN7rocprim17ROCPRIM_400000_NS6detail40segmented_radix_sort_single_block_helperIhlLj256ELj17ELb0EE4sortIPKhPhPKlPlEEbT_T0_T1_T2_jjjjRNS3_12storage_typeE.uses_flat_scratch)
	.set _ZN7rocprim17ROCPRIM_400000_NS6detail17trampoline_kernelINS0_14default_configENS1_36segmented_radix_sort_config_selectorIhlEEZNS1_25segmented_radix_sort_implIS3_Lb0EPKhPhPKlPlN2at6native12_GLOBAL__N_18offset_tEEE10hipError_tPvRmT1_PNSt15iterator_traitsISK_E10value_typeET2_T3_PNSL_ISQ_E10value_typeET4_jRbjT5_SW_jjP12ihipStream_tbEUlT_E2_NS1_11comp_targetILNS1_3genE8ELNS1_11target_archE1030ELNS1_3gpuE2ELNS1_3repE0EEENS1_30default_config_static_selectorELNS0_4arch9wavefront6targetE0EEEvSK_.has_dyn_sized_stack, or(0, .L_ZN7rocprim17ROCPRIM_400000_NS6detail26segmented_warp_sort_helperINS1_20WarpSortHelperConfigILj32ELj4ELj256EEEhlLi256ELb0EvE4sortIPKhPhPKlPlEEvT_T0_T1_T2_jjjjRNS5_12storage_typeE.has_dyn_sized_stack, .L_ZN7rocprim17ROCPRIM_400000_NS6detail40segmented_radix_sort_single_block_helperIhlLj256ELj17ELb0EE4sortIPKhPhPKlPlEEbT_T0_T1_T2_jjjjRNS3_12storage_typeE.has_dyn_sized_stack)
	.set _ZN7rocprim17ROCPRIM_400000_NS6detail17trampoline_kernelINS0_14default_configENS1_36segmented_radix_sort_config_selectorIhlEEZNS1_25segmented_radix_sort_implIS3_Lb0EPKhPhPKlPlN2at6native12_GLOBAL__N_18offset_tEEE10hipError_tPvRmT1_PNSt15iterator_traitsISK_E10value_typeET2_T3_PNSL_ISQ_E10value_typeET4_jRbjT5_SW_jjP12ihipStream_tbEUlT_E2_NS1_11comp_targetILNS1_3genE8ELNS1_11target_archE1030ELNS1_3gpuE2ELNS1_3repE0EEENS1_30default_config_static_selectorELNS0_4arch9wavefront6targetE0EEEvSK_.has_recursion, or(0, .L_ZN7rocprim17ROCPRIM_400000_NS6detail26segmented_warp_sort_helperINS1_20WarpSortHelperConfigILj32ELj4ELj256EEEhlLi256ELb0EvE4sortIPKhPhPKlPlEEvT_T0_T1_T2_jjjjRNS5_12storage_typeE.has_recursion, .L_ZN7rocprim17ROCPRIM_400000_NS6detail40segmented_radix_sort_single_block_helperIhlLj256ELj17ELb0EE4sortIPKhPhPKlPlEEbT_T0_T1_T2_jjjjRNS3_12storage_typeE.has_recursion)
	.set _ZN7rocprim17ROCPRIM_400000_NS6detail17trampoline_kernelINS0_14default_configENS1_36segmented_radix_sort_config_selectorIhlEEZNS1_25segmented_radix_sort_implIS3_Lb0EPKhPhPKlPlN2at6native12_GLOBAL__N_18offset_tEEE10hipError_tPvRmT1_PNSt15iterator_traitsISK_E10value_typeET2_T3_PNSL_ISQ_E10value_typeET4_jRbjT5_SW_jjP12ihipStream_tbEUlT_E2_NS1_11comp_targetILNS1_3genE8ELNS1_11target_archE1030ELNS1_3gpuE2ELNS1_3repE0EEENS1_30default_config_static_selectorELNS0_4arch9wavefront6targetE0EEEvSK_.has_indirect_call, or(0, .L_ZN7rocprim17ROCPRIM_400000_NS6detail26segmented_warp_sort_helperINS1_20WarpSortHelperConfigILj32ELj4ELj256EEEhlLi256ELb0EvE4sortIPKhPhPKlPlEEvT_T0_T1_T2_jjjjRNS5_12storage_typeE.has_indirect_call, .L_ZN7rocprim17ROCPRIM_400000_NS6detail40segmented_radix_sort_single_block_helperIhlLj256ELj17ELb0EE4sortIPKhPhPKlPlEEbT_T0_T1_T2_jjjjRNS3_12storage_typeE.has_indirect_call)
	.section	.AMDGPU.csdata,"",@progbits
; Kernel info:
; codeLenInByte = 62872
; TotalNumSgprs: 70
; NumVgprs: 248
; ScratchSize: 196
; MemoryBound: 0
; FloatMode: 240
; IeeeMode: 1
; LDSByteSize: 35344 bytes/workgroup (compile time only)
; SGPRBlocks: 0
; VGPRBlocks: 30
; NumSGPRsForWavesPerEU: 70
; NumVGPRsForWavesPerEU: 248
; Occupancy: 4
; WaveLimiterHint : 1
; COMPUTE_PGM_RSRC2:SCRATCH_EN: 1
; COMPUTE_PGM_RSRC2:USER_SGPR: 6
; COMPUTE_PGM_RSRC2:TRAP_HANDLER: 0
; COMPUTE_PGM_RSRC2:TGID_X_EN: 1
; COMPUTE_PGM_RSRC2:TGID_Y_EN: 1
; COMPUTE_PGM_RSRC2:TGID_Z_EN: 0
; COMPUTE_PGM_RSRC2:TIDIG_COMP_CNT: 2
	.section	.text._ZN2at6native12_GLOBAL__N_123sort_postprocess_kernelIaEEvPKT_PS3_PlPK15HIP_vector_typeIiLj2EEii,"axG",@progbits,_ZN2at6native12_GLOBAL__N_123sort_postprocess_kernelIaEEvPKT_PS3_PlPK15HIP_vector_typeIiLj2EEii,comdat
	.globl	_ZN2at6native12_GLOBAL__N_123sort_postprocess_kernelIaEEvPKT_PS3_PlPK15HIP_vector_typeIiLj2EEii ; -- Begin function _ZN2at6native12_GLOBAL__N_123sort_postprocess_kernelIaEEvPKT_PS3_PlPK15HIP_vector_typeIiLj2EEii
	.p2align	8
	.type	_ZN2at6native12_GLOBAL__N_123sort_postprocess_kernelIaEEvPKT_PS3_PlPK15HIP_vector_typeIiLj2EEii,@function
_ZN2at6native12_GLOBAL__N_123sort_postprocess_kernelIaEEvPKT_PS3_PlPK15HIP_vector_typeIiLj2EEii: ; @_ZN2at6native12_GLOBAL__N_123sort_postprocess_kernelIaEEvPKT_PS3_PlPK15HIP_vector_typeIiLj2EEii
; %bb.0:
	s_clause 0x1
	s_load_dword s2, s[4:5], 0x34
	s_load_dwordx2 s[8:9], s[4:5], 0x20
	s_add_u32 s0, s4, 40
	s_addc_u32 s1, s5, 0
	s_waitcnt lgkmcnt(0)
	s_and_b32 s15, s2, 0xffff
	s_mul_i32 s13, s15, s6
	s_mul_hi_u32 s12, s15, s6
	v_add_co_u32 v1, s2, s13, v0
	v_add_co_ci_u32_e64 v2, null, s12, 0, s2
	s_mul_i32 s2, s9, s8
	s_ashr_i32 s3, s2, 31
	v_cmp_gt_i64_e32 vcc_lo, s[2:3], v[1:2]
	v_mov_b32_e32 v1, 0
	s_and_saveexec_b32 s6, vcc_lo
	s_cbranch_execz .LBB223_3
; %bb.1:
	s_abs_i32 s14, s9
	s_load_dword s0, s[0:1], 0x0
	v_cvt_f32_u32_e32 v2, s14
	s_sub_i32 s1, 0, s14
	s_load_dwordx8 s[4:11], s[4:5], 0x0
	v_rcp_iflag_f32_e32 v2, v2
	v_mul_f32_e32 v2, 0x4f7ffffe, v2
	v_cvt_u32_f32_e32 v2, v2
	v_mul_lo_u32 v3, s1, v2
	s_waitcnt lgkmcnt(0)
	s_mul_i32 s1, s0, s15
	s_mov_b32 s15, 0
	v_mul_hi_u32 v3, v2, v3
	v_add_nc_u32_e32 v2, v2, v3
.LBB223_2:                              ; =>This Inner Loop Header: Depth=1
	v_add_nc_u32_e32 v3, s13, v0
	v_sub_nc_u32_e32 v4, 0, v3
	v_max_i32_e32 v4, v3, v4
	v_mul_hi_u32 v5, v4, v2
	v_mul_lo_u32 v5, v5, s14
	v_sub_nc_u32_e32 v4, v4, v5
	v_subrev_nc_u32_e32 v5, s14, v4
	v_cmp_le_u32_e32 vcc_lo, s14, v4
	v_cndmask_b32_e32 v4, v4, v5, vcc_lo
	v_ashrrev_i32_e32 v5, 31, v3
	v_subrev_nc_u32_e32 v6, s14, v4
	v_cmp_le_u32_e32 vcc_lo, s14, v4
	v_add_nc_u32_e32 v3, v3, v5
	v_cndmask_b32_e32 v4, v4, v6, vcc_lo
	v_xor_b32_e32 v4, v4, v5
	v_sub_nc_u32_e32 v3, v3, v4
	v_sub_nc_u32_e32 v5, v4, v5
	v_ashrrev_i32_e32 v4, 31, v3
	v_ashrrev_i32_e32 v6, 31, v5
	v_lshlrev_b64 v[7:8], 3, v[3:4]
	v_lshlrev_b64 v[9:10], 3, v[5:6]
	v_add_co_u32 v11, vcc_lo, s10, v7
	v_add_co_ci_u32_e64 v12, null, s11, v8, vcc_lo
	v_add_co_u32 v11, vcc_lo, v11, v9
	v_add_co_ci_u32_e64 v12, null, v12, v10, vcc_lo
	;; [unrolled: 2-line block ×3, first 2 shown]
	global_load_dword v11, v[11:12], off offset:4
	v_add_co_u32 v7, vcc_lo, s8, v7
	v_add_co_ci_u32_e64 v8, null, s9, v8, vcc_lo
	v_add_co_u32 v7, vcc_lo, v7, v9
	v_add_co_ci_u32_e64 v8, null, v8, v10, vcc_lo
	s_waitcnt vmcnt(0)
	v_ashrrev_i32_e32 v12, 31, v11
	v_add_co_u32 v9, vcc_lo, v13, v11
	v_add_co_ci_u32_e64 v10, null, v14, v12, vcc_lo
	global_store_dwordx2 v[7:8], v[11:12], off
	v_add_co_u32 v0, vcc_lo, v0, s1
	global_load_ubyte v9, v[9:10], off
	v_add_co_ci_u32_e64 v1, null, 0, v1, vcc_lo
	v_add_co_u32 v7, vcc_lo, s13, v0
	v_add_co_ci_u32_e64 v8, null, s12, v1, vcc_lo
	v_add_co_u32 v3, vcc_lo, s6, v3
	v_add_co_ci_u32_e64 v4, null, s7, v4, vcc_lo
	v_cmp_le_i64_e32 vcc_lo, s[2:3], v[7:8]
	v_add_co_u32 v3, s0, v3, v5
	v_add_co_ci_u32_e64 v4, null, v4, v6, s0
	s_or_b32 s15, vcc_lo, s15
	s_waitcnt vmcnt(0)
	global_store_byte v[3:4], v9, off
	s_andn2_b32 exec_lo, exec_lo, s15
	s_cbranch_execnz .LBB223_2
.LBB223_3:
	s_endpgm
	.section	.rodata,"a",@progbits
	.p2align	6, 0x0
	.amdhsa_kernel _ZN2at6native12_GLOBAL__N_123sort_postprocess_kernelIaEEvPKT_PS3_PlPK15HIP_vector_typeIiLj2EEii
		.amdhsa_group_segment_fixed_size 0
		.amdhsa_private_segment_fixed_size 0
		.amdhsa_kernarg_size 296
		.amdhsa_user_sgpr_count 6
		.amdhsa_user_sgpr_private_segment_buffer 1
		.amdhsa_user_sgpr_dispatch_ptr 0
		.amdhsa_user_sgpr_queue_ptr 0
		.amdhsa_user_sgpr_kernarg_segment_ptr 1
		.amdhsa_user_sgpr_dispatch_id 0
		.amdhsa_user_sgpr_flat_scratch_init 0
		.amdhsa_user_sgpr_private_segment_size 0
		.amdhsa_wavefront_size32 1
		.amdhsa_uses_dynamic_stack 0
		.amdhsa_system_sgpr_private_segment_wavefront_offset 0
		.amdhsa_system_sgpr_workgroup_id_x 1
		.amdhsa_system_sgpr_workgroup_id_y 0
		.amdhsa_system_sgpr_workgroup_id_z 0
		.amdhsa_system_sgpr_workgroup_info 0
		.amdhsa_system_vgpr_workitem_id 0
		.amdhsa_next_free_vgpr 15
		.amdhsa_next_free_sgpr 16
		.amdhsa_reserve_vcc 1
		.amdhsa_reserve_flat_scratch 0
		.amdhsa_float_round_mode_32 0
		.amdhsa_float_round_mode_16_64 0
		.amdhsa_float_denorm_mode_32 3
		.amdhsa_float_denorm_mode_16_64 3
		.amdhsa_dx10_clamp 1
		.amdhsa_ieee_mode 1
		.amdhsa_fp16_overflow 0
		.amdhsa_workgroup_processor_mode 1
		.amdhsa_memory_ordered 1
		.amdhsa_forward_progress 1
		.amdhsa_shared_vgpr_count 0
		.amdhsa_exception_fp_ieee_invalid_op 0
		.amdhsa_exception_fp_denorm_src 0
		.amdhsa_exception_fp_ieee_div_zero 0
		.amdhsa_exception_fp_ieee_overflow 0
		.amdhsa_exception_fp_ieee_underflow 0
		.amdhsa_exception_fp_ieee_inexact 0
		.amdhsa_exception_int_div_zero 0
	.end_amdhsa_kernel
	.section	.text._ZN2at6native12_GLOBAL__N_123sort_postprocess_kernelIaEEvPKT_PS3_PlPK15HIP_vector_typeIiLj2EEii,"axG",@progbits,_ZN2at6native12_GLOBAL__N_123sort_postprocess_kernelIaEEvPKT_PS3_PlPK15HIP_vector_typeIiLj2EEii,comdat
.Lfunc_end223:
	.size	_ZN2at6native12_GLOBAL__N_123sort_postprocess_kernelIaEEvPKT_PS3_PlPK15HIP_vector_typeIiLj2EEii, .Lfunc_end223-_ZN2at6native12_GLOBAL__N_123sort_postprocess_kernelIaEEvPKT_PS3_PlPK15HIP_vector_typeIiLj2EEii
                                        ; -- End function
	.set _ZN2at6native12_GLOBAL__N_123sort_postprocess_kernelIaEEvPKT_PS3_PlPK15HIP_vector_typeIiLj2EEii.num_vgpr, 15
	.set _ZN2at6native12_GLOBAL__N_123sort_postprocess_kernelIaEEvPKT_PS3_PlPK15HIP_vector_typeIiLj2EEii.num_agpr, 0
	.set _ZN2at6native12_GLOBAL__N_123sort_postprocess_kernelIaEEvPKT_PS3_PlPK15HIP_vector_typeIiLj2EEii.numbered_sgpr, 16
	.set _ZN2at6native12_GLOBAL__N_123sort_postprocess_kernelIaEEvPKT_PS3_PlPK15HIP_vector_typeIiLj2EEii.num_named_barrier, 0
	.set _ZN2at6native12_GLOBAL__N_123sort_postprocess_kernelIaEEvPKT_PS3_PlPK15HIP_vector_typeIiLj2EEii.private_seg_size, 0
	.set _ZN2at6native12_GLOBAL__N_123sort_postprocess_kernelIaEEvPKT_PS3_PlPK15HIP_vector_typeIiLj2EEii.uses_vcc, 1
	.set _ZN2at6native12_GLOBAL__N_123sort_postprocess_kernelIaEEvPKT_PS3_PlPK15HIP_vector_typeIiLj2EEii.uses_flat_scratch, 0
	.set _ZN2at6native12_GLOBAL__N_123sort_postprocess_kernelIaEEvPKT_PS3_PlPK15HIP_vector_typeIiLj2EEii.has_dyn_sized_stack, 0
	.set _ZN2at6native12_GLOBAL__N_123sort_postprocess_kernelIaEEvPKT_PS3_PlPK15HIP_vector_typeIiLj2EEii.has_recursion, 0
	.set _ZN2at6native12_GLOBAL__N_123sort_postprocess_kernelIaEEvPKT_PS3_PlPK15HIP_vector_typeIiLj2EEii.has_indirect_call, 0
	.section	.AMDGPU.csdata,"",@progbits
; Kernel info:
; codeLenInByte = 488
; TotalNumSgprs: 18
; NumVgprs: 15
; ScratchSize: 0
; MemoryBound: 0
; FloatMode: 240
; IeeeMode: 1
; LDSByteSize: 0 bytes/workgroup (compile time only)
; SGPRBlocks: 0
; VGPRBlocks: 1
; NumSGPRsForWavesPerEU: 18
; NumVGPRsForWavesPerEU: 15
; Occupancy: 16
; WaveLimiterHint : 1
; COMPUTE_PGM_RSRC2:SCRATCH_EN: 0
; COMPUTE_PGM_RSRC2:USER_SGPR: 6
; COMPUTE_PGM_RSRC2:TRAP_HANDLER: 0
; COMPUTE_PGM_RSRC2:TGID_X_EN: 1
; COMPUTE_PGM_RSRC2:TGID_Y_EN: 0
; COMPUTE_PGM_RSRC2:TGID_Z_EN: 0
; COMPUTE_PGM_RSRC2:TIDIG_COMP_CNT: 0
	.section	.text._ZN7rocprim17ROCPRIM_400000_NS6detail17trampoline_kernelINS0_13select_configILj256ELj13ELNS0_17block_load_methodE3ELS4_3ELS4_3ELNS0_20block_scan_algorithmE0ELj4294967295EEENS1_25partition_config_selectorILNS1_17partition_subalgoE4EjNS0_10empty_typeEbEEZZNS1_14partition_implILS8_4ELb0ES6_15HIP_vector_typeIjLj2EENS0_17counting_iteratorIjlEEPS9_SG_NS0_5tupleIJPjSI_NS0_16reverse_iteratorISI_EEEEENSH_IJSG_SG_SG_EEES9_SI_JZNS1_25segmented_radix_sort_implINS0_14default_configELb1EPKaPaPKlPlN2at6native12_GLOBAL__N_18offset_tEEE10hipError_tPvRmT1_PNSt15iterator_traitsIS12_E10value_typeET2_T3_PNS13_IS18_E10value_typeET4_jRbjT5_S1E_jjP12ihipStream_tbEUljE_ZNSN_ISO_Lb1ESQ_SR_ST_SU_SY_EESZ_S10_S11_S12_S16_S17_S18_S1B_S1C_jS1D_jS1E_S1E_jjS1G_bEUljE0_EEESZ_S10_S11_S18_S1C_S1E_T6_T7_T9_mT8_S1G_bDpT10_ENKUlT_T0_E_clISt17integral_constantIbLb0EES1U_EEDaS1P_S1Q_EUlS1P_E_NS1_11comp_targetILNS1_3genE0ELNS1_11target_archE4294967295ELNS1_3gpuE0ELNS1_3repE0EEENS1_30default_config_static_selectorELNS0_4arch9wavefront6targetE0EEEvS12_,"axG",@progbits,_ZN7rocprim17ROCPRIM_400000_NS6detail17trampoline_kernelINS0_13select_configILj256ELj13ELNS0_17block_load_methodE3ELS4_3ELS4_3ELNS0_20block_scan_algorithmE0ELj4294967295EEENS1_25partition_config_selectorILNS1_17partition_subalgoE4EjNS0_10empty_typeEbEEZZNS1_14partition_implILS8_4ELb0ES6_15HIP_vector_typeIjLj2EENS0_17counting_iteratorIjlEEPS9_SG_NS0_5tupleIJPjSI_NS0_16reverse_iteratorISI_EEEEENSH_IJSG_SG_SG_EEES9_SI_JZNS1_25segmented_radix_sort_implINS0_14default_configELb1EPKaPaPKlPlN2at6native12_GLOBAL__N_18offset_tEEE10hipError_tPvRmT1_PNSt15iterator_traitsIS12_E10value_typeET2_T3_PNS13_IS18_E10value_typeET4_jRbjT5_S1E_jjP12ihipStream_tbEUljE_ZNSN_ISO_Lb1ESQ_SR_ST_SU_SY_EESZ_S10_S11_S12_S16_S17_S18_S1B_S1C_jS1D_jS1E_S1E_jjS1G_bEUljE0_EEESZ_S10_S11_S18_S1C_S1E_T6_T7_T9_mT8_S1G_bDpT10_ENKUlT_T0_E_clISt17integral_constantIbLb0EES1U_EEDaS1P_S1Q_EUlS1P_E_NS1_11comp_targetILNS1_3genE0ELNS1_11target_archE4294967295ELNS1_3gpuE0ELNS1_3repE0EEENS1_30default_config_static_selectorELNS0_4arch9wavefront6targetE0EEEvS12_,comdat
	.globl	_ZN7rocprim17ROCPRIM_400000_NS6detail17trampoline_kernelINS0_13select_configILj256ELj13ELNS0_17block_load_methodE3ELS4_3ELS4_3ELNS0_20block_scan_algorithmE0ELj4294967295EEENS1_25partition_config_selectorILNS1_17partition_subalgoE4EjNS0_10empty_typeEbEEZZNS1_14partition_implILS8_4ELb0ES6_15HIP_vector_typeIjLj2EENS0_17counting_iteratorIjlEEPS9_SG_NS0_5tupleIJPjSI_NS0_16reverse_iteratorISI_EEEEENSH_IJSG_SG_SG_EEES9_SI_JZNS1_25segmented_radix_sort_implINS0_14default_configELb1EPKaPaPKlPlN2at6native12_GLOBAL__N_18offset_tEEE10hipError_tPvRmT1_PNSt15iterator_traitsIS12_E10value_typeET2_T3_PNS13_IS18_E10value_typeET4_jRbjT5_S1E_jjP12ihipStream_tbEUljE_ZNSN_ISO_Lb1ESQ_SR_ST_SU_SY_EESZ_S10_S11_S12_S16_S17_S18_S1B_S1C_jS1D_jS1E_S1E_jjS1G_bEUljE0_EEESZ_S10_S11_S18_S1C_S1E_T6_T7_T9_mT8_S1G_bDpT10_ENKUlT_T0_E_clISt17integral_constantIbLb0EES1U_EEDaS1P_S1Q_EUlS1P_E_NS1_11comp_targetILNS1_3genE0ELNS1_11target_archE4294967295ELNS1_3gpuE0ELNS1_3repE0EEENS1_30default_config_static_selectorELNS0_4arch9wavefront6targetE0EEEvS12_ ; -- Begin function _ZN7rocprim17ROCPRIM_400000_NS6detail17trampoline_kernelINS0_13select_configILj256ELj13ELNS0_17block_load_methodE3ELS4_3ELS4_3ELNS0_20block_scan_algorithmE0ELj4294967295EEENS1_25partition_config_selectorILNS1_17partition_subalgoE4EjNS0_10empty_typeEbEEZZNS1_14partition_implILS8_4ELb0ES6_15HIP_vector_typeIjLj2EENS0_17counting_iteratorIjlEEPS9_SG_NS0_5tupleIJPjSI_NS0_16reverse_iteratorISI_EEEEENSH_IJSG_SG_SG_EEES9_SI_JZNS1_25segmented_radix_sort_implINS0_14default_configELb1EPKaPaPKlPlN2at6native12_GLOBAL__N_18offset_tEEE10hipError_tPvRmT1_PNSt15iterator_traitsIS12_E10value_typeET2_T3_PNS13_IS18_E10value_typeET4_jRbjT5_S1E_jjP12ihipStream_tbEUljE_ZNSN_ISO_Lb1ESQ_SR_ST_SU_SY_EESZ_S10_S11_S12_S16_S17_S18_S1B_S1C_jS1D_jS1E_S1E_jjS1G_bEUljE0_EEESZ_S10_S11_S18_S1C_S1E_T6_T7_T9_mT8_S1G_bDpT10_ENKUlT_T0_E_clISt17integral_constantIbLb0EES1U_EEDaS1P_S1Q_EUlS1P_E_NS1_11comp_targetILNS1_3genE0ELNS1_11target_archE4294967295ELNS1_3gpuE0ELNS1_3repE0EEENS1_30default_config_static_selectorELNS0_4arch9wavefront6targetE0EEEvS12_
	.p2align	8
	.type	_ZN7rocprim17ROCPRIM_400000_NS6detail17trampoline_kernelINS0_13select_configILj256ELj13ELNS0_17block_load_methodE3ELS4_3ELS4_3ELNS0_20block_scan_algorithmE0ELj4294967295EEENS1_25partition_config_selectorILNS1_17partition_subalgoE4EjNS0_10empty_typeEbEEZZNS1_14partition_implILS8_4ELb0ES6_15HIP_vector_typeIjLj2EENS0_17counting_iteratorIjlEEPS9_SG_NS0_5tupleIJPjSI_NS0_16reverse_iteratorISI_EEEEENSH_IJSG_SG_SG_EEES9_SI_JZNS1_25segmented_radix_sort_implINS0_14default_configELb1EPKaPaPKlPlN2at6native12_GLOBAL__N_18offset_tEEE10hipError_tPvRmT1_PNSt15iterator_traitsIS12_E10value_typeET2_T3_PNS13_IS18_E10value_typeET4_jRbjT5_S1E_jjP12ihipStream_tbEUljE_ZNSN_ISO_Lb1ESQ_SR_ST_SU_SY_EESZ_S10_S11_S12_S16_S17_S18_S1B_S1C_jS1D_jS1E_S1E_jjS1G_bEUljE0_EEESZ_S10_S11_S18_S1C_S1E_T6_T7_T9_mT8_S1G_bDpT10_ENKUlT_T0_E_clISt17integral_constantIbLb0EES1U_EEDaS1P_S1Q_EUlS1P_E_NS1_11comp_targetILNS1_3genE0ELNS1_11target_archE4294967295ELNS1_3gpuE0ELNS1_3repE0EEENS1_30default_config_static_selectorELNS0_4arch9wavefront6targetE0EEEvS12_,@function
_ZN7rocprim17ROCPRIM_400000_NS6detail17trampoline_kernelINS0_13select_configILj256ELj13ELNS0_17block_load_methodE3ELS4_3ELS4_3ELNS0_20block_scan_algorithmE0ELj4294967295EEENS1_25partition_config_selectorILNS1_17partition_subalgoE4EjNS0_10empty_typeEbEEZZNS1_14partition_implILS8_4ELb0ES6_15HIP_vector_typeIjLj2EENS0_17counting_iteratorIjlEEPS9_SG_NS0_5tupleIJPjSI_NS0_16reverse_iteratorISI_EEEEENSH_IJSG_SG_SG_EEES9_SI_JZNS1_25segmented_radix_sort_implINS0_14default_configELb1EPKaPaPKlPlN2at6native12_GLOBAL__N_18offset_tEEE10hipError_tPvRmT1_PNSt15iterator_traitsIS12_E10value_typeET2_T3_PNS13_IS18_E10value_typeET4_jRbjT5_S1E_jjP12ihipStream_tbEUljE_ZNSN_ISO_Lb1ESQ_SR_ST_SU_SY_EESZ_S10_S11_S12_S16_S17_S18_S1B_S1C_jS1D_jS1E_S1E_jjS1G_bEUljE0_EEESZ_S10_S11_S18_S1C_S1E_T6_T7_T9_mT8_S1G_bDpT10_ENKUlT_T0_E_clISt17integral_constantIbLb0EES1U_EEDaS1P_S1Q_EUlS1P_E_NS1_11comp_targetILNS1_3genE0ELNS1_11target_archE4294967295ELNS1_3gpuE0ELNS1_3repE0EEENS1_30default_config_static_selectorELNS0_4arch9wavefront6targetE0EEEvS12_: ; @_ZN7rocprim17ROCPRIM_400000_NS6detail17trampoline_kernelINS0_13select_configILj256ELj13ELNS0_17block_load_methodE3ELS4_3ELS4_3ELNS0_20block_scan_algorithmE0ELj4294967295EEENS1_25partition_config_selectorILNS1_17partition_subalgoE4EjNS0_10empty_typeEbEEZZNS1_14partition_implILS8_4ELb0ES6_15HIP_vector_typeIjLj2EENS0_17counting_iteratorIjlEEPS9_SG_NS0_5tupleIJPjSI_NS0_16reverse_iteratorISI_EEEEENSH_IJSG_SG_SG_EEES9_SI_JZNS1_25segmented_radix_sort_implINS0_14default_configELb1EPKaPaPKlPlN2at6native12_GLOBAL__N_18offset_tEEE10hipError_tPvRmT1_PNSt15iterator_traitsIS12_E10value_typeET2_T3_PNS13_IS18_E10value_typeET4_jRbjT5_S1E_jjP12ihipStream_tbEUljE_ZNSN_ISO_Lb1ESQ_SR_ST_SU_SY_EESZ_S10_S11_S12_S16_S17_S18_S1B_S1C_jS1D_jS1E_S1E_jjS1G_bEUljE0_EEESZ_S10_S11_S18_S1C_S1E_T6_T7_T9_mT8_S1G_bDpT10_ENKUlT_T0_E_clISt17integral_constantIbLb0EES1U_EEDaS1P_S1Q_EUlS1P_E_NS1_11comp_targetILNS1_3genE0ELNS1_11target_archE4294967295ELNS1_3gpuE0ELNS1_3repE0EEENS1_30default_config_static_selectorELNS0_4arch9wavefront6targetE0EEEvS12_
; %bb.0:
	.section	.rodata,"a",@progbits
	.p2align	6, 0x0
	.amdhsa_kernel _ZN7rocprim17ROCPRIM_400000_NS6detail17trampoline_kernelINS0_13select_configILj256ELj13ELNS0_17block_load_methodE3ELS4_3ELS4_3ELNS0_20block_scan_algorithmE0ELj4294967295EEENS1_25partition_config_selectorILNS1_17partition_subalgoE4EjNS0_10empty_typeEbEEZZNS1_14partition_implILS8_4ELb0ES6_15HIP_vector_typeIjLj2EENS0_17counting_iteratorIjlEEPS9_SG_NS0_5tupleIJPjSI_NS0_16reverse_iteratorISI_EEEEENSH_IJSG_SG_SG_EEES9_SI_JZNS1_25segmented_radix_sort_implINS0_14default_configELb1EPKaPaPKlPlN2at6native12_GLOBAL__N_18offset_tEEE10hipError_tPvRmT1_PNSt15iterator_traitsIS12_E10value_typeET2_T3_PNS13_IS18_E10value_typeET4_jRbjT5_S1E_jjP12ihipStream_tbEUljE_ZNSN_ISO_Lb1ESQ_SR_ST_SU_SY_EESZ_S10_S11_S12_S16_S17_S18_S1B_S1C_jS1D_jS1E_S1E_jjS1G_bEUljE0_EEESZ_S10_S11_S18_S1C_S1E_T6_T7_T9_mT8_S1G_bDpT10_ENKUlT_T0_E_clISt17integral_constantIbLb0EES1U_EEDaS1P_S1Q_EUlS1P_E_NS1_11comp_targetILNS1_3genE0ELNS1_11target_archE4294967295ELNS1_3gpuE0ELNS1_3repE0EEENS1_30default_config_static_selectorELNS0_4arch9wavefront6targetE0EEEvS12_
		.amdhsa_group_segment_fixed_size 0
		.amdhsa_private_segment_fixed_size 0
		.amdhsa_kernarg_size 176
		.amdhsa_user_sgpr_count 6
		.amdhsa_user_sgpr_private_segment_buffer 1
		.amdhsa_user_sgpr_dispatch_ptr 0
		.amdhsa_user_sgpr_queue_ptr 0
		.amdhsa_user_sgpr_kernarg_segment_ptr 1
		.amdhsa_user_sgpr_dispatch_id 0
		.amdhsa_user_sgpr_flat_scratch_init 0
		.amdhsa_user_sgpr_private_segment_size 0
		.amdhsa_wavefront_size32 1
		.amdhsa_uses_dynamic_stack 0
		.amdhsa_system_sgpr_private_segment_wavefront_offset 0
		.amdhsa_system_sgpr_workgroup_id_x 1
		.amdhsa_system_sgpr_workgroup_id_y 0
		.amdhsa_system_sgpr_workgroup_id_z 0
		.amdhsa_system_sgpr_workgroup_info 0
		.amdhsa_system_vgpr_workitem_id 0
		.amdhsa_next_free_vgpr 1
		.amdhsa_next_free_sgpr 1
		.amdhsa_reserve_vcc 0
		.amdhsa_reserve_flat_scratch 0
		.amdhsa_float_round_mode_32 0
		.amdhsa_float_round_mode_16_64 0
		.amdhsa_float_denorm_mode_32 3
		.amdhsa_float_denorm_mode_16_64 3
		.amdhsa_dx10_clamp 1
		.amdhsa_ieee_mode 1
		.amdhsa_fp16_overflow 0
		.amdhsa_workgroup_processor_mode 1
		.amdhsa_memory_ordered 1
		.amdhsa_forward_progress 1
		.amdhsa_shared_vgpr_count 0
		.amdhsa_exception_fp_ieee_invalid_op 0
		.amdhsa_exception_fp_denorm_src 0
		.amdhsa_exception_fp_ieee_div_zero 0
		.amdhsa_exception_fp_ieee_overflow 0
		.amdhsa_exception_fp_ieee_underflow 0
		.amdhsa_exception_fp_ieee_inexact 0
		.amdhsa_exception_int_div_zero 0
	.end_amdhsa_kernel
	.section	.text._ZN7rocprim17ROCPRIM_400000_NS6detail17trampoline_kernelINS0_13select_configILj256ELj13ELNS0_17block_load_methodE3ELS4_3ELS4_3ELNS0_20block_scan_algorithmE0ELj4294967295EEENS1_25partition_config_selectorILNS1_17partition_subalgoE4EjNS0_10empty_typeEbEEZZNS1_14partition_implILS8_4ELb0ES6_15HIP_vector_typeIjLj2EENS0_17counting_iteratorIjlEEPS9_SG_NS0_5tupleIJPjSI_NS0_16reverse_iteratorISI_EEEEENSH_IJSG_SG_SG_EEES9_SI_JZNS1_25segmented_radix_sort_implINS0_14default_configELb1EPKaPaPKlPlN2at6native12_GLOBAL__N_18offset_tEEE10hipError_tPvRmT1_PNSt15iterator_traitsIS12_E10value_typeET2_T3_PNS13_IS18_E10value_typeET4_jRbjT5_S1E_jjP12ihipStream_tbEUljE_ZNSN_ISO_Lb1ESQ_SR_ST_SU_SY_EESZ_S10_S11_S12_S16_S17_S18_S1B_S1C_jS1D_jS1E_S1E_jjS1G_bEUljE0_EEESZ_S10_S11_S18_S1C_S1E_T6_T7_T9_mT8_S1G_bDpT10_ENKUlT_T0_E_clISt17integral_constantIbLb0EES1U_EEDaS1P_S1Q_EUlS1P_E_NS1_11comp_targetILNS1_3genE0ELNS1_11target_archE4294967295ELNS1_3gpuE0ELNS1_3repE0EEENS1_30default_config_static_selectorELNS0_4arch9wavefront6targetE0EEEvS12_,"axG",@progbits,_ZN7rocprim17ROCPRIM_400000_NS6detail17trampoline_kernelINS0_13select_configILj256ELj13ELNS0_17block_load_methodE3ELS4_3ELS4_3ELNS0_20block_scan_algorithmE0ELj4294967295EEENS1_25partition_config_selectorILNS1_17partition_subalgoE4EjNS0_10empty_typeEbEEZZNS1_14partition_implILS8_4ELb0ES6_15HIP_vector_typeIjLj2EENS0_17counting_iteratorIjlEEPS9_SG_NS0_5tupleIJPjSI_NS0_16reverse_iteratorISI_EEEEENSH_IJSG_SG_SG_EEES9_SI_JZNS1_25segmented_radix_sort_implINS0_14default_configELb1EPKaPaPKlPlN2at6native12_GLOBAL__N_18offset_tEEE10hipError_tPvRmT1_PNSt15iterator_traitsIS12_E10value_typeET2_T3_PNS13_IS18_E10value_typeET4_jRbjT5_S1E_jjP12ihipStream_tbEUljE_ZNSN_ISO_Lb1ESQ_SR_ST_SU_SY_EESZ_S10_S11_S12_S16_S17_S18_S1B_S1C_jS1D_jS1E_S1E_jjS1G_bEUljE0_EEESZ_S10_S11_S18_S1C_S1E_T6_T7_T9_mT8_S1G_bDpT10_ENKUlT_T0_E_clISt17integral_constantIbLb0EES1U_EEDaS1P_S1Q_EUlS1P_E_NS1_11comp_targetILNS1_3genE0ELNS1_11target_archE4294967295ELNS1_3gpuE0ELNS1_3repE0EEENS1_30default_config_static_selectorELNS0_4arch9wavefront6targetE0EEEvS12_,comdat
.Lfunc_end224:
	.size	_ZN7rocprim17ROCPRIM_400000_NS6detail17trampoline_kernelINS0_13select_configILj256ELj13ELNS0_17block_load_methodE3ELS4_3ELS4_3ELNS0_20block_scan_algorithmE0ELj4294967295EEENS1_25partition_config_selectorILNS1_17partition_subalgoE4EjNS0_10empty_typeEbEEZZNS1_14partition_implILS8_4ELb0ES6_15HIP_vector_typeIjLj2EENS0_17counting_iteratorIjlEEPS9_SG_NS0_5tupleIJPjSI_NS0_16reverse_iteratorISI_EEEEENSH_IJSG_SG_SG_EEES9_SI_JZNS1_25segmented_radix_sort_implINS0_14default_configELb1EPKaPaPKlPlN2at6native12_GLOBAL__N_18offset_tEEE10hipError_tPvRmT1_PNSt15iterator_traitsIS12_E10value_typeET2_T3_PNS13_IS18_E10value_typeET4_jRbjT5_S1E_jjP12ihipStream_tbEUljE_ZNSN_ISO_Lb1ESQ_SR_ST_SU_SY_EESZ_S10_S11_S12_S16_S17_S18_S1B_S1C_jS1D_jS1E_S1E_jjS1G_bEUljE0_EEESZ_S10_S11_S18_S1C_S1E_T6_T7_T9_mT8_S1G_bDpT10_ENKUlT_T0_E_clISt17integral_constantIbLb0EES1U_EEDaS1P_S1Q_EUlS1P_E_NS1_11comp_targetILNS1_3genE0ELNS1_11target_archE4294967295ELNS1_3gpuE0ELNS1_3repE0EEENS1_30default_config_static_selectorELNS0_4arch9wavefront6targetE0EEEvS12_, .Lfunc_end224-_ZN7rocprim17ROCPRIM_400000_NS6detail17trampoline_kernelINS0_13select_configILj256ELj13ELNS0_17block_load_methodE3ELS4_3ELS4_3ELNS0_20block_scan_algorithmE0ELj4294967295EEENS1_25partition_config_selectorILNS1_17partition_subalgoE4EjNS0_10empty_typeEbEEZZNS1_14partition_implILS8_4ELb0ES6_15HIP_vector_typeIjLj2EENS0_17counting_iteratorIjlEEPS9_SG_NS0_5tupleIJPjSI_NS0_16reverse_iteratorISI_EEEEENSH_IJSG_SG_SG_EEES9_SI_JZNS1_25segmented_radix_sort_implINS0_14default_configELb1EPKaPaPKlPlN2at6native12_GLOBAL__N_18offset_tEEE10hipError_tPvRmT1_PNSt15iterator_traitsIS12_E10value_typeET2_T3_PNS13_IS18_E10value_typeET4_jRbjT5_S1E_jjP12ihipStream_tbEUljE_ZNSN_ISO_Lb1ESQ_SR_ST_SU_SY_EESZ_S10_S11_S12_S16_S17_S18_S1B_S1C_jS1D_jS1E_S1E_jjS1G_bEUljE0_EEESZ_S10_S11_S18_S1C_S1E_T6_T7_T9_mT8_S1G_bDpT10_ENKUlT_T0_E_clISt17integral_constantIbLb0EES1U_EEDaS1P_S1Q_EUlS1P_E_NS1_11comp_targetILNS1_3genE0ELNS1_11target_archE4294967295ELNS1_3gpuE0ELNS1_3repE0EEENS1_30default_config_static_selectorELNS0_4arch9wavefront6targetE0EEEvS12_
                                        ; -- End function
	.set _ZN7rocprim17ROCPRIM_400000_NS6detail17trampoline_kernelINS0_13select_configILj256ELj13ELNS0_17block_load_methodE3ELS4_3ELS4_3ELNS0_20block_scan_algorithmE0ELj4294967295EEENS1_25partition_config_selectorILNS1_17partition_subalgoE4EjNS0_10empty_typeEbEEZZNS1_14partition_implILS8_4ELb0ES6_15HIP_vector_typeIjLj2EENS0_17counting_iteratorIjlEEPS9_SG_NS0_5tupleIJPjSI_NS0_16reverse_iteratorISI_EEEEENSH_IJSG_SG_SG_EEES9_SI_JZNS1_25segmented_radix_sort_implINS0_14default_configELb1EPKaPaPKlPlN2at6native12_GLOBAL__N_18offset_tEEE10hipError_tPvRmT1_PNSt15iterator_traitsIS12_E10value_typeET2_T3_PNS13_IS18_E10value_typeET4_jRbjT5_S1E_jjP12ihipStream_tbEUljE_ZNSN_ISO_Lb1ESQ_SR_ST_SU_SY_EESZ_S10_S11_S12_S16_S17_S18_S1B_S1C_jS1D_jS1E_S1E_jjS1G_bEUljE0_EEESZ_S10_S11_S18_S1C_S1E_T6_T7_T9_mT8_S1G_bDpT10_ENKUlT_T0_E_clISt17integral_constantIbLb0EES1U_EEDaS1P_S1Q_EUlS1P_E_NS1_11comp_targetILNS1_3genE0ELNS1_11target_archE4294967295ELNS1_3gpuE0ELNS1_3repE0EEENS1_30default_config_static_selectorELNS0_4arch9wavefront6targetE0EEEvS12_.num_vgpr, 0
	.set _ZN7rocprim17ROCPRIM_400000_NS6detail17trampoline_kernelINS0_13select_configILj256ELj13ELNS0_17block_load_methodE3ELS4_3ELS4_3ELNS0_20block_scan_algorithmE0ELj4294967295EEENS1_25partition_config_selectorILNS1_17partition_subalgoE4EjNS0_10empty_typeEbEEZZNS1_14partition_implILS8_4ELb0ES6_15HIP_vector_typeIjLj2EENS0_17counting_iteratorIjlEEPS9_SG_NS0_5tupleIJPjSI_NS0_16reverse_iteratorISI_EEEEENSH_IJSG_SG_SG_EEES9_SI_JZNS1_25segmented_radix_sort_implINS0_14default_configELb1EPKaPaPKlPlN2at6native12_GLOBAL__N_18offset_tEEE10hipError_tPvRmT1_PNSt15iterator_traitsIS12_E10value_typeET2_T3_PNS13_IS18_E10value_typeET4_jRbjT5_S1E_jjP12ihipStream_tbEUljE_ZNSN_ISO_Lb1ESQ_SR_ST_SU_SY_EESZ_S10_S11_S12_S16_S17_S18_S1B_S1C_jS1D_jS1E_S1E_jjS1G_bEUljE0_EEESZ_S10_S11_S18_S1C_S1E_T6_T7_T9_mT8_S1G_bDpT10_ENKUlT_T0_E_clISt17integral_constantIbLb0EES1U_EEDaS1P_S1Q_EUlS1P_E_NS1_11comp_targetILNS1_3genE0ELNS1_11target_archE4294967295ELNS1_3gpuE0ELNS1_3repE0EEENS1_30default_config_static_selectorELNS0_4arch9wavefront6targetE0EEEvS12_.num_agpr, 0
	.set _ZN7rocprim17ROCPRIM_400000_NS6detail17trampoline_kernelINS0_13select_configILj256ELj13ELNS0_17block_load_methodE3ELS4_3ELS4_3ELNS0_20block_scan_algorithmE0ELj4294967295EEENS1_25partition_config_selectorILNS1_17partition_subalgoE4EjNS0_10empty_typeEbEEZZNS1_14partition_implILS8_4ELb0ES6_15HIP_vector_typeIjLj2EENS0_17counting_iteratorIjlEEPS9_SG_NS0_5tupleIJPjSI_NS0_16reverse_iteratorISI_EEEEENSH_IJSG_SG_SG_EEES9_SI_JZNS1_25segmented_radix_sort_implINS0_14default_configELb1EPKaPaPKlPlN2at6native12_GLOBAL__N_18offset_tEEE10hipError_tPvRmT1_PNSt15iterator_traitsIS12_E10value_typeET2_T3_PNS13_IS18_E10value_typeET4_jRbjT5_S1E_jjP12ihipStream_tbEUljE_ZNSN_ISO_Lb1ESQ_SR_ST_SU_SY_EESZ_S10_S11_S12_S16_S17_S18_S1B_S1C_jS1D_jS1E_S1E_jjS1G_bEUljE0_EEESZ_S10_S11_S18_S1C_S1E_T6_T7_T9_mT8_S1G_bDpT10_ENKUlT_T0_E_clISt17integral_constantIbLb0EES1U_EEDaS1P_S1Q_EUlS1P_E_NS1_11comp_targetILNS1_3genE0ELNS1_11target_archE4294967295ELNS1_3gpuE0ELNS1_3repE0EEENS1_30default_config_static_selectorELNS0_4arch9wavefront6targetE0EEEvS12_.numbered_sgpr, 0
	.set _ZN7rocprim17ROCPRIM_400000_NS6detail17trampoline_kernelINS0_13select_configILj256ELj13ELNS0_17block_load_methodE3ELS4_3ELS4_3ELNS0_20block_scan_algorithmE0ELj4294967295EEENS1_25partition_config_selectorILNS1_17partition_subalgoE4EjNS0_10empty_typeEbEEZZNS1_14partition_implILS8_4ELb0ES6_15HIP_vector_typeIjLj2EENS0_17counting_iteratorIjlEEPS9_SG_NS0_5tupleIJPjSI_NS0_16reverse_iteratorISI_EEEEENSH_IJSG_SG_SG_EEES9_SI_JZNS1_25segmented_radix_sort_implINS0_14default_configELb1EPKaPaPKlPlN2at6native12_GLOBAL__N_18offset_tEEE10hipError_tPvRmT1_PNSt15iterator_traitsIS12_E10value_typeET2_T3_PNS13_IS18_E10value_typeET4_jRbjT5_S1E_jjP12ihipStream_tbEUljE_ZNSN_ISO_Lb1ESQ_SR_ST_SU_SY_EESZ_S10_S11_S12_S16_S17_S18_S1B_S1C_jS1D_jS1E_S1E_jjS1G_bEUljE0_EEESZ_S10_S11_S18_S1C_S1E_T6_T7_T9_mT8_S1G_bDpT10_ENKUlT_T0_E_clISt17integral_constantIbLb0EES1U_EEDaS1P_S1Q_EUlS1P_E_NS1_11comp_targetILNS1_3genE0ELNS1_11target_archE4294967295ELNS1_3gpuE0ELNS1_3repE0EEENS1_30default_config_static_selectorELNS0_4arch9wavefront6targetE0EEEvS12_.num_named_barrier, 0
	.set _ZN7rocprim17ROCPRIM_400000_NS6detail17trampoline_kernelINS0_13select_configILj256ELj13ELNS0_17block_load_methodE3ELS4_3ELS4_3ELNS0_20block_scan_algorithmE0ELj4294967295EEENS1_25partition_config_selectorILNS1_17partition_subalgoE4EjNS0_10empty_typeEbEEZZNS1_14partition_implILS8_4ELb0ES6_15HIP_vector_typeIjLj2EENS0_17counting_iteratorIjlEEPS9_SG_NS0_5tupleIJPjSI_NS0_16reverse_iteratorISI_EEEEENSH_IJSG_SG_SG_EEES9_SI_JZNS1_25segmented_radix_sort_implINS0_14default_configELb1EPKaPaPKlPlN2at6native12_GLOBAL__N_18offset_tEEE10hipError_tPvRmT1_PNSt15iterator_traitsIS12_E10value_typeET2_T3_PNS13_IS18_E10value_typeET4_jRbjT5_S1E_jjP12ihipStream_tbEUljE_ZNSN_ISO_Lb1ESQ_SR_ST_SU_SY_EESZ_S10_S11_S12_S16_S17_S18_S1B_S1C_jS1D_jS1E_S1E_jjS1G_bEUljE0_EEESZ_S10_S11_S18_S1C_S1E_T6_T7_T9_mT8_S1G_bDpT10_ENKUlT_T0_E_clISt17integral_constantIbLb0EES1U_EEDaS1P_S1Q_EUlS1P_E_NS1_11comp_targetILNS1_3genE0ELNS1_11target_archE4294967295ELNS1_3gpuE0ELNS1_3repE0EEENS1_30default_config_static_selectorELNS0_4arch9wavefront6targetE0EEEvS12_.private_seg_size, 0
	.set _ZN7rocprim17ROCPRIM_400000_NS6detail17trampoline_kernelINS0_13select_configILj256ELj13ELNS0_17block_load_methodE3ELS4_3ELS4_3ELNS0_20block_scan_algorithmE0ELj4294967295EEENS1_25partition_config_selectorILNS1_17partition_subalgoE4EjNS0_10empty_typeEbEEZZNS1_14partition_implILS8_4ELb0ES6_15HIP_vector_typeIjLj2EENS0_17counting_iteratorIjlEEPS9_SG_NS0_5tupleIJPjSI_NS0_16reverse_iteratorISI_EEEEENSH_IJSG_SG_SG_EEES9_SI_JZNS1_25segmented_radix_sort_implINS0_14default_configELb1EPKaPaPKlPlN2at6native12_GLOBAL__N_18offset_tEEE10hipError_tPvRmT1_PNSt15iterator_traitsIS12_E10value_typeET2_T3_PNS13_IS18_E10value_typeET4_jRbjT5_S1E_jjP12ihipStream_tbEUljE_ZNSN_ISO_Lb1ESQ_SR_ST_SU_SY_EESZ_S10_S11_S12_S16_S17_S18_S1B_S1C_jS1D_jS1E_S1E_jjS1G_bEUljE0_EEESZ_S10_S11_S18_S1C_S1E_T6_T7_T9_mT8_S1G_bDpT10_ENKUlT_T0_E_clISt17integral_constantIbLb0EES1U_EEDaS1P_S1Q_EUlS1P_E_NS1_11comp_targetILNS1_3genE0ELNS1_11target_archE4294967295ELNS1_3gpuE0ELNS1_3repE0EEENS1_30default_config_static_selectorELNS0_4arch9wavefront6targetE0EEEvS12_.uses_vcc, 0
	.set _ZN7rocprim17ROCPRIM_400000_NS6detail17trampoline_kernelINS0_13select_configILj256ELj13ELNS0_17block_load_methodE3ELS4_3ELS4_3ELNS0_20block_scan_algorithmE0ELj4294967295EEENS1_25partition_config_selectorILNS1_17partition_subalgoE4EjNS0_10empty_typeEbEEZZNS1_14partition_implILS8_4ELb0ES6_15HIP_vector_typeIjLj2EENS0_17counting_iteratorIjlEEPS9_SG_NS0_5tupleIJPjSI_NS0_16reverse_iteratorISI_EEEEENSH_IJSG_SG_SG_EEES9_SI_JZNS1_25segmented_radix_sort_implINS0_14default_configELb1EPKaPaPKlPlN2at6native12_GLOBAL__N_18offset_tEEE10hipError_tPvRmT1_PNSt15iterator_traitsIS12_E10value_typeET2_T3_PNS13_IS18_E10value_typeET4_jRbjT5_S1E_jjP12ihipStream_tbEUljE_ZNSN_ISO_Lb1ESQ_SR_ST_SU_SY_EESZ_S10_S11_S12_S16_S17_S18_S1B_S1C_jS1D_jS1E_S1E_jjS1G_bEUljE0_EEESZ_S10_S11_S18_S1C_S1E_T6_T7_T9_mT8_S1G_bDpT10_ENKUlT_T0_E_clISt17integral_constantIbLb0EES1U_EEDaS1P_S1Q_EUlS1P_E_NS1_11comp_targetILNS1_3genE0ELNS1_11target_archE4294967295ELNS1_3gpuE0ELNS1_3repE0EEENS1_30default_config_static_selectorELNS0_4arch9wavefront6targetE0EEEvS12_.uses_flat_scratch, 0
	.set _ZN7rocprim17ROCPRIM_400000_NS6detail17trampoline_kernelINS0_13select_configILj256ELj13ELNS0_17block_load_methodE3ELS4_3ELS4_3ELNS0_20block_scan_algorithmE0ELj4294967295EEENS1_25partition_config_selectorILNS1_17partition_subalgoE4EjNS0_10empty_typeEbEEZZNS1_14partition_implILS8_4ELb0ES6_15HIP_vector_typeIjLj2EENS0_17counting_iteratorIjlEEPS9_SG_NS0_5tupleIJPjSI_NS0_16reverse_iteratorISI_EEEEENSH_IJSG_SG_SG_EEES9_SI_JZNS1_25segmented_radix_sort_implINS0_14default_configELb1EPKaPaPKlPlN2at6native12_GLOBAL__N_18offset_tEEE10hipError_tPvRmT1_PNSt15iterator_traitsIS12_E10value_typeET2_T3_PNS13_IS18_E10value_typeET4_jRbjT5_S1E_jjP12ihipStream_tbEUljE_ZNSN_ISO_Lb1ESQ_SR_ST_SU_SY_EESZ_S10_S11_S12_S16_S17_S18_S1B_S1C_jS1D_jS1E_S1E_jjS1G_bEUljE0_EEESZ_S10_S11_S18_S1C_S1E_T6_T7_T9_mT8_S1G_bDpT10_ENKUlT_T0_E_clISt17integral_constantIbLb0EES1U_EEDaS1P_S1Q_EUlS1P_E_NS1_11comp_targetILNS1_3genE0ELNS1_11target_archE4294967295ELNS1_3gpuE0ELNS1_3repE0EEENS1_30default_config_static_selectorELNS0_4arch9wavefront6targetE0EEEvS12_.has_dyn_sized_stack, 0
	.set _ZN7rocprim17ROCPRIM_400000_NS6detail17trampoline_kernelINS0_13select_configILj256ELj13ELNS0_17block_load_methodE3ELS4_3ELS4_3ELNS0_20block_scan_algorithmE0ELj4294967295EEENS1_25partition_config_selectorILNS1_17partition_subalgoE4EjNS0_10empty_typeEbEEZZNS1_14partition_implILS8_4ELb0ES6_15HIP_vector_typeIjLj2EENS0_17counting_iteratorIjlEEPS9_SG_NS0_5tupleIJPjSI_NS0_16reverse_iteratorISI_EEEEENSH_IJSG_SG_SG_EEES9_SI_JZNS1_25segmented_radix_sort_implINS0_14default_configELb1EPKaPaPKlPlN2at6native12_GLOBAL__N_18offset_tEEE10hipError_tPvRmT1_PNSt15iterator_traitsIS12_E10value_typeET2_T3_PNS13_IS18_E10value_typeET4_jRbjT5_S1E_jjP12ihipStream_tbEUljE_ZNSN_ISO_Lb1ESQ_SR_ST_SU_SY_EESZ_S10_S11_S12_S16_S17_S18_S1B_S1C_jS1D_jS1E_S1E_jjS1G_bEUljE0_EEESZ_S10_S11_S18_S1C_S1E_T6_T7_T9_mT8_S1G_bDpT10_ENKUlT_T0_E_clISt17integral_constantIbLb0EES1U_EEDaS1P_S1Q_EUlS1P_E_NS1_11comp_targetILNS1_3genE0ELNS1_11target_archE4294967295ELNS1_3gpuE0ELNS1_3repE0EEENS1_30default_config_static_selectorELNS0_4arch9wavefront6targetE0EEEvS12_.has_recursion, 0
	.set _ZN7rocprim17ROCPRIM_400000_NS6detail17trampoline_kernelINS0_13select_configILj256ELj13ELNS0_17block_load_methodE3ELS4_3ELS4_3ELNS0_20block_scan_algorithmE0ELj4294967295EEENS1_25partition_config_selectorILNS1_17partition_subalgoE4EjNS0_10empty_typeEbEEZZNS1_14partition_implILS8_4ELb0ES6_15HIP_vector_typeIjLj2EENS0_17counting_iteratorIjlEEPS9_SG_NS0_5tupleIJPjSI_NS0_16reverse_iteratorISI_EEEEENSH_IJSG_SG_SG_EEES9_SI_JZNS1_25segmented_radix_sort_implINS0_14default_configELb1EPKaPaPKlPlN2at6native12_GLOBAL__N_18offset_tEEE10hipError_tPvRmT1_PNSt15iterator_traitsIS12_E10value_typeET2_T3_PNS13_IS18_E10value_typeET4_jRbjT5_S1E_jjP12ihipStream_tbEUljE_ZNSN_ISO_Lb1ESQ_SR_ST_SU_SY_EESZ_S10_S11_S12_S16_S17_S18_S1B_S1C_jS1D_jS1E_S1E_jjS1G_bEUljE0_EEESZ_S10_S11_S18_S1C_S1E_T6_T7_T9_mT8_S1G_bDpT10_ENKUlT_T0_E_clISt17integral_constantIbLb0EES1U_EEDaS1P_S1Q_EUlS1P_E_NS1_11comp_targetILNS1_3genE0ELNS1_11target_archE4294967295ELNS1_3gpuE0ELNS1_3repE0EEENS1_30default_config_static_selectorELNS0_4arch9wavefront6targetE0EEEvS12_.has_indirect_call, 0
	.section	.AMDGPU.csdata,"",@progbits
; Kernel info:
; codeLenInByte = 0
; TotalNumSgprs: 0
; NumVgprs: 0
; ScratchSize: 0
; MemoryBound: 0
; FloatMode: 240
; IeeeMode: 1
; LDSByteSize: 0 bytes/workgroup (compile time only)
; SGPRBlocks: 0
; VGPRBlocks: 0
; NumSGPRsForWavesPerEU: 1
; NumVGPRsForWavesPerEU: 1
; Occupancy: 16
; WaveLimiterHint : 0
; COMPUTE_PGM_RSRC2:SCRATCH_EN: 0
; COMPUTE_PGM_RSRC2:USER_SGPR: 6
; COMPUTE_PGM_RSRC2:TRAP_HANDLER: 0
; COMPUTE_PGM_RSRC2:TGID_X_EN: 1
; COMPUTE_PGM_RSRC2:TGID_Y_EN: 0
; COMPUTE_PGM_RSRC2:TGID_Z_EN: 0
; COMPUTE_PGM_RSRC2:TIDIG_COMP_CNT: 0
	.section	.text._ZN7rocprim17ROCPRIM_400000_NS6detail17trampoline_kernelINS0_13select_configILj256ELj13ELNS0_17block_load_methodE3ELS4_3ELS4_3ELNS0_20block_scan_algorithmE0ELj4294967295EEENS1_25partition_config_selectorILNS1_17partition_subalgoE4EjNS0_10empty_typeEbEEZZNS1_14partition_implILS8_4ELb0ES6_15HIP_vector_typeIjLj2EENS0_17counting_iteratorIjlEEPS9_SG_NS0_5tupleIJPjSI_NS0_16reverse_iteratorISI_EEEEENSH_IJSG_SG_SG_EEES9_SI_JZNS1_25segmented_radix_sort_implINS0_14default_configELb1EPKaPaPKlPlN2at6native12_GLOBAL__N_18offset_tEEE10hipError_tPvRmT1_PNSt15iterator_traitsIS12_E10value_typeET2_T3_PNS13_IS18_E10value_typeET4_jRbjT5_S1E_jjP12ihipStream_tbEUljE_ZNSN_ISO_Lb1ESQ_SR_ST_SU_SY_EESZ_S10_S11_S12_S16_S17_S18_S1B_S1C_jS1D_jS1E_S1E_jjS1G_bEUljE0_EEESZ_S10_S11_S18_S1C_S1E_T6_T7_T9_mT8_S1G_bDpT10_ENKUlT_T0_E_clISt17integral_constantIbLb0EES1U_EEDaS1P_S1Q_EUlS1P_E_NS1_11comp_targetILNS1_3genE5ELNS1_11target_archE942ELNS1_3gpuE9ELNS1_3repE0EEENS1_30default_config_static_selectorELNS0_4arch9wavefront6targetE0EEEvS12_,"axG",@progbits,_ZN7rocprim17ROCPRIM_400000_NS6detail17trampoline_kernelINS0_13select_configILj256ELj13ELNS0_17block_load_methodE3ELS4_3ELS4_3ELNS0_20block_scan_algorithmE0ELj4294967295EEENS1_25partition_config_selectorILNS1_17partition_subalgoE4EjNS0_10empty_typeEbEEZZNS1_14partition_implILS8_4ELb0ES6_15HIP_vector_typeIjLj2EENS0_17counting_iteratorIjlEEPS9_SG_NS0_5tupleIJPjSI_NS0_16reverse_iteratorISI_EEEEENSH_IJSG_SG_SG_EEES9_SI_JZNS1_25segmented_radix_sort_implINS0_14default_configELb1EPKaPaPKlPlN2at6native12_GLOBAL__N_18offset_tEEE10hipError_tPvRmT1_PNSt15iterator_traitsIS12_E10value_typeET2_T3_PNS13_IS18_E10value_typeET4_jRbjT5_S1E_jjP12ihipStream_tbEUljE_ZNSN_ISO_Lb1ESQ_SR_ST_SU_SY_EESZ_S10_S11_S12_S16_S17_S18_S1B_S1C_jS1D_jS1E_S1E_jjS1G_bEUljE0_EEESZ_S10_S11_S18_S1C_S1E_T6_T7_T9_mT8_S1G_bDpT10_ENKUlT_T0_E_clISt17integral_constantIbLb0EES1U_EEDaS1P_S1Q_EUlS1P_E_NS1_11comp_targetILNS1_3genE5ELNS1_11target_archE942ELNS1_3gpuE9ELNS1_3repE0EEENS1_30default_config_static_selectorELNS0_4arch9wavefront6targetE0EEEvS12_,comdat
	.globl	_ZN7rocprim17ROCPRIM_400000_NS6detail17trampoline_kernelINS0_13select_configILj256ELj13ELNS0_17block_load_methodE3ELS4_3ELS4_3ELNS0_20block_scan_algorithmE0ELj4294967295EEENS1_25partition_config_selectorILNS1_17partition_subalgoE4EjNS0_10empty_typeEbEEZZNS1_14partition_implILS8_4ELb0ES6_15HIP_vector_typeIjLj2EENS0_17counting_iteratorIjlEEPS9_SG_NS0_5tupleIJPjSI_NS0_16reverse_iteratorISI_EEEEENSH_IJSG_SG_SG_EEES9_SI_JZNS1_25segmented_radix_sort_implINS0_14default_configELb1EPKaPaPKlPlN2at6native12_GLOBAL__N_18offset_tEEE10hipError_tPvRmT1_PNSt15iterator_traitsIS12_E10value_typeET2_T3_PNS13_IS18_E10value_typeET4_jRbjT5_S1E_jjP12ihipStream_tbEUljE_ZNSN_ISO_Lb1ESQ_SR_ST_SU_SY_EESZ_S10_S11_S12_S16_S17_S18_S1B_S1C_jS1D_jS1E_S1E_jjS1G_bEUljE0_EEESZ_S10_S11_S18_S1C_S1E_T6_T7_T9_mT8_S1G_bDpT10_ENKUlT_T0_E_clISt17integral_constantIbLb0EES1U_EEDaS1P_S1Q_EUlS1P_E_NS1_11comp_targetILNS1_3genE5ELNS1_11target_archE942ELNS1_3gpuE9ELNS1_3repE0EEENS1_30default_config_static_selectorELNS0_4arch9wavefront6targetE0EEEvS12_ ; -- Begin function _ZN7rocprim17ROCPRIM_400000_NS6detail17trampoline_kernelINS0_13select_configILj256ELj13ELNS0_17block_load_methodE3ELS4_3ELS4_3ELNS0_20block_scan_algorithmE0ELj4294967295EEENS1_25partition_config_selectorILNS1_17partition_subalgoE4EjNS0_10empty_typeEbEEZZNS1_14partition_implILS8_4ELb0ES6_15HIP_vector_typeIjLj2EENS0_17counting_iteratorIjlEEPS9_SG_NS0_5tupleIJPjSI_NS0_16reverse_iteratorISI_EEEEENSH_IJSG_SG_SG_EEES9_SI_JZNS1_25segmented_radix_sort_implINS0_14default_configELb1EPKaPaPKlPlN2at6native12_GLOBAL__N_18offset_tEEE10hipError_tPvRmT1_PNSt15iterator_traitsIS12_E10value_typeET2_T3_PNS13_IS18_E10value_typeET4_jRbjT5_S1E_jjP12ihipStream_tbEUljE_ZNSN_ISO_Lb1ESQ_SR_ST_SU_SY_EESZ_S10_S11_S12_S16_S17_S18_S1B_S1C_jS1D_jS1E_S1E_jjS1G_bEUljE0_EEESZ_S10_S11_S18_S1C_S1E_T6_T7_T9_mT8_S1G_bDpT10_ENKUlT_T0_E_clISt17integral_constantIbLb0EES1U_EEDaS1P_S1Q_EUlS1P_E_NS1_11comp_targetILNS1_3genE5ELNS1_11target_archE942ELNS1_3gpuE9ELNS1_3repE0EEENS1_30default_config_static_selectorELNS0_4arch9wavefront6targetE0EEEvS12_
	.p2align	8
	.type	_ZN7rocprim17ROCPRIM_400000_NS6detail17trampoline_kernelINS0_13select_configILj256ELj13ELNS0_17block_load_methodE3ELS4_3ELS4_3ELNS0_20block_scan_algorithmE0ELj4294967295EEENS1_25partition_config_selectorILNS1_17partition_subalgoE4EjNS0_10empty_typeEbEEZZNS1_14partition_implILS8_4ELb0ES6_15HIP_vector_typeIjLj2EENS0_17counting_iteratorIjlEEPS9_SG_NS0_5tupleIJPjSI_NS0_16reverse_iteratorISI_EEEEENSH_IJSG_SG_SG_EEES9_SI_JZNS1_25segmented_radix_sort_implINS0_14default_configELb1EPKaPaPKlPlN2at6native12_GLOBAL__N_18offset_tEEE10hipError_tPvRmT1_PNSt15iterator_traitsIS12_E10value_typeET2_T3_PNS13_IS18_E10value_typeET4_jRbjT5_S1E_jjP12ihipStream_tbEUljE_ZNSN_ISO_Lb1ESQ_SR_ST_SU_SY_EESZ_S10_S11_S12_S16_S17_S18_S1B_S1C_jS1D_jS1E_S1E_jjS1G_bEUljE0_EEESZ_S10_S11_S18_S1C_S1E_T6_T7_T9_mT8_S1G_bDpT10_ENKUlT_T0_E_clISt17integral_constantIbLb0EES1U_EEDaS1P_S1Q_EUlS1P_E_NS1_11comp_targetILNS1_3genE5ELNS1_11target_archE942ELNS1_3gpuE9ELNS1_3repE0EEENS1_30default_config_static_selectorELNS0_4arch9wavefront6targetE0EEEvS12_,@function
_ZN7rocprim17ROCPRIM_400000_NS6detail17trampoline_kernelINS0_13select_configILj256ELj13ELNS0_17block_load_methodE3ELS4_3ELS4_3ELNS0_20block_scan_algorithmE0ELj4294967295EEENS1_25partition_config_selectorILNS1_17partition_subalgoE4EjNS0_10empty_typeEbEEZZNS1_14partition_implILS8_4ELb0ES6_15HIP_vector_typeIjLj2EENS0_17counting_iteratorIjlEEPS9_SG_NS0_5tupleIJPjSI_NS0_16reverse_iteratorISI_EEEEENSH_IJSG_SG_SG_EEES9_SI_JZNS1_25segmented_radix_sort_implINS0_14default_configELb1EPKaPaPKlPlN2at6native12_GLOBAL__N_18offset_tEEE10hipError_tPvRmT1_PNSt15iterator_traitsIS12_E10value_typeET2_T3_PNS13_IS18_E10value_typeET4_jRbjT5_S1E_jjP12ihipStream_tbEUljE_ZNSN_ISO_Lb1ESQ_SR_ST_SU_SY_EESZ_S10_S11_S12_S16_S17_S18_S1B_S1C_jS1D_jS1E_S1E_jjS1G_bEUljE0_EEESZ_S10_S11_S18_S1C_S1E_T6_T7_T9_mT8_S1G_bDpT10_ENKUlT_T0_E_clISt17integral_constantIbLb0EES1U_EEDaS1P_S1Q_EUlS1P_E_NS1_11comp_targetILNS1_3genE5ELNS1_11target_archE942ELNS1_3gpuE9ELNS1_3repE0EEENS1_30default_config_static_selectorELNS0_4arch9wavefront6targetE0EEEvS12_: ; @_ZN7rocprim17ROCPRIM_400000_NS6detail17trampoline_kernelINS0_13select_configILj256ELj13ELNS0_17block_load_methodE3ELS4_3ELS4_3ELNS0_20block_scan_algorithmE0ELj4294967295EEENS1_25partition_config_selectorILNS1_17partition_subalgoE4EjNS0_10empty_typeEbEEZZNS1_14partition_implILS8_4ELb0ES6_15HIP_vector_typeIjLj2EENS0_17counting_iteratorIjlEEPS9_SG_NS0_5tupleIJPjSI_NS0_16reverse_iteratorISI_EEEEENSH_IJSG_SG_SG_EEES9_SI_JZNS1_25segmented_radix_sort_implINS0_14default_configELb1EPKaPaPKlPlN2at6native12_GLOBAL__N_18offset_tEEE10hipError_tPvRmT1_PNSt15iterator_traitsIS12_E10value_typeET2_T3_PNS13_IS18_E10value_typeET4_jRbjT5_S1E_jjP12ihipStream_tbEUljE_ZNSN_ISO_Lb1ESQ_SR_ST_SU_SY_EESZ_S10_S11_S12_S16_S17_S18_S1B_S1C_jS1D_jS1E_S1E_jjS1G_bEUljE0_EEESZ_S10_S11_S18_S1C_S1E_T6_T7_T9_mT8_S1G_bDpT10_ENKUlT_T0_E_clISt17integral_constantIbLb0EES1U_EEDaS1P_S1Q_EUlS1P_E_NS1_11comp_targetILNS1_3genE5ELNS1_11target_archE942ELNS1_3gpuE9ELNS1_3repE0EEENS1_30default_config_static_selectorELNS0_4arch9wavefront6targetE0EEEvS12_
; %bb.0:
	.section	.rodata,"a",@progbits
	.p2align	6, 0x0
	.amdhsa_kernel _ZN7rocprim17ROCPRIM_400000_NS6detail17trampoline_kernelINS0_13select_configILj256ELj13ELNS0_17block_load_methodE3ELS4_3ELS4_3ELNS0_20block_scan_algorithmE0ELj4294967295EEENS1_25partition_config_selectorILNS1_17partition_subalgoE4EjNS0_10empty_typeEbEEZZNS1_14partition_implILS8_4ELb0ES6_15HIP_vector_typeIjLj2EENS0_17counting_iteratorIjlEEPS9_SG_NS0_5tupleIJPjSI_NS0_16reverse_iteratorISI_EEEEENSH_IJSG_SG_SG_EEES9_SI_JZNS1_25segmented_radix_sort_implINS0_14default_configELb1EPKaPaPKlPlN2at6native12_GLOBAL__N_18offset_tEEE10hipError_tPvRmT1_PNSt15iterator_traitsIS12_E10value_typeET2_T3_PNS13_IS18_E10value_typeET4_jRbjT5_S1E_jjP12ihipStream_tbEUljE_ZNSN_ISO_Lb1ESQ_SR_ST_SU_SY_EESZ_S10_S11_S12_S16_S17_S18_S1B_S1C_jS1D_jS1E_S1E_jjS1G_bEUljE0_EEESZ_S10_S11_S18_S1C_S1E_T6_T7_T9_mT8_S1G_bDpT10_ENKUlT_T0_E_clISt17integral_constantIbLb0EES1U_EEDaS1P_S1Q_EUlS1P_E_NS1_11comp_targetILNS1_3genE5ELNS1_11target_archE942ELNS1_3gpuE9ELNS1_3repE0EEENS1_30default_config_static_selectorELNS0_4arch9wavefront6targetE0EEEvS12_
		.amdhsa_group_segment_fixed_size 0
		.amdhsa_private_segment_fixed_size 0
		.amdhsa_kernarg_size 176
		.amdhsa_user_sgpr_count 6
		.amdhsa_user_sgpr_private_segment_buffer 1
		.amdhsa_user_sgpr_dispatch_ptr 0
		.amdhsa_user_sgpr_queue_ptr 0
		.amdhsa_user_sgpr_kernarg_segment_ptr 1
		.amdhsa_user_sgpr_dispatch_id 0
		.amdhsa_user_sgpr_flat_scratch_init 0
		.amdhsa_user_sgpr_private_segment_size 0
		.amdhsa_wavefront_size32 1
		.amdhsa_uses_dynamic_stack 0
		.amdhsa_system_sgpr_private_segment_wavefront_offset 0
		.amdhsa_system_sgpr_workgroup_id_x 1
		.amdhsa_system_sgpr_workgroup_id_y 0
		.amdhsa_system_sgpr_workgroup_id_z 0
		.amdhsa_system_sgpr_workgroup_info 0
		.amdhsa_system_vgpr_workitem_id 0
		.amdhsa_next_free_vgpr 1
		.amdhsa_next_free_sgpr 1
		.amdhsa_reserve_vcc 0
		.amdhsa_reserve_flat_scratch 0
		.amdhsa_float_round_mode_32 0
		.amdhsa_float_round_mode_16_64 0
		.amdhsa_float_denorm_mode_32 3
		.amdhsa_float_denorm_mode_16_64 3
		.amdhsa_dx10_clamp 1
		.amdhsa_ieee_mode 1
		.amdhsa_fp16_overflow 0
		.amdhsa_workgroup_processor_mode 1
		.amdhsa_memory_ordered 1
		.amdhsa_forward_progress 1
		.amdhsa_shared_vgpr_count 0
		.amdhsa_exception_fp_ieee_invalid_op 0
		.amdhsa_exception_fp_denorm_src 0
		.amdhsa_exception_fp_ieee_div_zero 0
		.amdhsa_exception_fp_ieee_overflow 0
		.amdhsa_exception_fp_ieee_underflow 0
		.amdhsa_exception_fp_ieee_inexact 0
		.amdhsa_exception_int_div_zero 0
	.end_amdhsa_kernel
	.section	.text._ZN7rocprim17ROCPRIM_400000_NS6detail17trampoline_kernelINS0_13select_configILj256ELj13ELNS0_17block_load_methodE3ELS4_3ELS4_3ELNS0_20block_scan_algorithmE0ELj4294967295EEENS1_25partition_config_selectorILNS1_17partition_subalgoE4EjNS0_10empty_typeEbEEZZNS1_14partition_implILS8_4ELb0ES6_15HIP_vector_typeIjLj2EENS0_17counting_iteratorIjlEEPS9_SG_NS0_5tupleIJPjSI_NS0_16reverse_iteratorISI_EEEEENSH_IJSG_SG_SG_EEES9_SI_JZNS1_25segmented_radix_sort_implINS0_14default_configELb1EPKaPaPKlPlN2at6native12_GLOBAL__N_18offset_tEEE10hipError_tPvRmT1_PNSt15iterator_traitsIS12_E10value_typeET2_T3_PNS13_IS18_E10value_typeET4_jRbjT5_S1E_jjP12ihipStream_tbEUljE_ZNSN_ISO_Lb1ESQ_SR_ST_SU_SY_EESZ_S10_S11_S12_S16_S17_S18_S1B_S1C_jS1D_jS1E_S1E_jjS1G_bEUljE0_EEESZ_S10_S11_S18_S1C_S1E_T6_T7_T9_mT8_S1G_bDpT10_ENKUlT_T0_E_clISt17integral_constantIbLb0EES1U_EEDaS1P_S1Q_EUlS1P_E_NS1_11comp_targetILNS1_3genE5ELNS1_11target_archE942ELNS1_3gpuE9ELNS1_3repE0EEENS1_30default_config_static_selectorELNS0_4arch9wavefront6targetE0EEEvS12_,"axG",@progbits,_ZN7rocprim17ROCPRIM_400000_NS6detail17trampoline_kernelINS0_13select_configILj256ELj13ELNS0_17block_load_methodE3ELS4_3ELS4_3ELNS0_20block_scan_algorithmE0ELj4294967295EEENS1_25partition_config_selectorILNS1_17partition_subalgoE4EjNS0_10empty_typeEbEEZZNS1_14partition_implILS8_4ELb0ES6_15HIP_vector_typeIjLj2EENS0_17counting_iteratorIjlEEPS9_SG_NS0_5tupleIJPjSI_NS0_16reverse_iteratorISI_EEEEENSH_IJSG_SG_SG_EEES9_SI_JZNS1_25segmented_radix_sort_implINS0_14default_configELb1EPKaPaPKlPlN2at6native12_GLOBAL__N_18offset_tEEE10hipError_tPvRmT1_PNSt15iterator_traitsIS12_E10value_typeET2_T3_PNS13_IS18_E10value_typeET4_jRbjT5_S1E_jjP12ihipStream_tbEUljE_ZNSN_ISO_Lb1ESQ_SR_ST_SU_SY_EESZ_S10_S11_S12_S16_S17_S18_S1B_S1C_jS1D_jS1E_S1E_jjS1G_bEUljE0_EEESZ_S10_S11_S18_S1C_S1E_T6_T7_T9_mT8_S1G_bDpT10_ENKUlT_T0_E_clISt17integral_constantIbLb0EES1U_EEDaS1P_S1Q_EUlS1P_E_NS1_11comp_targetILNS1_3genE5ELNS1_11target_archE942ELNS1_3gpuE9ELNS1_3repE0EEENS1_30default_config_static_selectorELNS0_4arch9wavefront6targetE0EEEvS12_,comdat
.Lfunc_end225:
	.size	_ZN7rocprim17ROCPRIM_400000_NS6detail17trampoline_kernelINS0_13select_configILj256ELj13ELNS0_17block_load_methodE3ELS4_3ELS4_3ELNS0_20block_scan_algorithmE0ELj4294967295EEENS1_25partition_config_selectorILNS1_17partition_subalgoE4EjNS0_10empty_typeEbEEZZNS1_14partition_implILS8_4ELb0ES6_15HIP_vector_typeIjLj2EENS0_17counting_iteratorIjlEEPS9_SG_NS0_5tupleIJPjSI_NS0_16reverse_iteratorISI_EEEEENSH_IJSG_SG_SG_EEES9_SI_JZNS1_25segmented_radix_sort_implINS0_14default_configELb1EPKaPaPKlPlN2at6native12_GLOBAL__N_18offset_tEEE10hipError_tPvRmT1_PNSt15iterator_traitsIS12_E10value_typeET2_T3_PNS13_IS18_E10value_typeET4_jRbjT5_S1E_jjP12ihipStream_tbEUljE_ZNSN_ISO_Lb1ESQ_SR_ST_SU_SY_EESZ_S10_S11_S12_S16_S17_S18_S1B_S1C_jS1D_jS1E_S1E_jjS1G_bEUljE0_EEESZ_S10_S11_S18_S1C_S1E_T6_T7_T9_mT8_S1G_bDpT10_ENKUlT_T0_E_clISt17integral_constantIbLb0EES1U_EEDaS1P_S1Q_EUlS1P_E_NS1_11comp_targetILNS1_3genE5ELNS1_11target_archE942ELNS1_3gpuE9ELNS1_3repE0EEENS1_30default_config_static_selectorELNS0_4arch9wavefront6targetE0EEEvS12_, .Lfunc_end225-_ZN7rocprim17ROCPRIM_400000_NS6detail17trampoline_kernelINS0_13select_configILj256ELj13ELNS0_17block_load_methodE3ELS4_3ELS4_3ELNS0_20block_scan_algorithmE0ELj4294967295EEENS1_25partition_config_selectorILNS1_17partition_subalgoE4EjNS0_10empty_typeEbEEZZNS1_14partition_implILS8_4ELb0ES6_15HIP_vector_typeIjLj2EENS0_17counting_iteratorIjlEEPS9_SG_NS0_5tupleIJPjSI_NS0_16reverse_iteratorISI_EEEEENSH_IJSG_SG_SG_EEES9_SI_JZNS1_25segmented_radix_sort_implINS0_14default_configELb1EPKaPaPKlPlN2at6native12_GLOBAL__N_18offset_tEEE10hipError_tPvRmT1_PNSt15iterator_traitsIS12_E10value_typeET2_T3_PNS13_IS18_E10value_typeET4_jRbjT5_S1E_jjP12ihipStream_tbEUljE_ZNSN_ISO_Lb1ESQ_SR_ST_SU_SY_EESZ_S10_S11_S12_S16_S17_S18_S1B_S1C_jS1D_jS1E_S1E_jjS1G_bEUljE0_EEESZ_S10_S11_S18_S1C_S1E_T6_T7_T9_mT8_S1G_bDpT10_ENKUlT_T0_E_clISt17integral_constantIbLb0EES1U_EEDaS1P_S1Q_EUlS1P_E_NS1_11comp_targetILNS1_3genE5ELNS1_11target_archE942ELNS1_3gpuE9ELNS1_3repE0EEENS1_30default_config_static_selectorELNS0_4arch9wavefront6targetE0EEEvS12_
                                        ; -- End function
	.set _ZN7rocprim17ROCPRIM_400000_NS6detail17trampoline_kernelINS0_13select_configILj256ELj13ELNS0_17block_load_methodE3ELS4_3ELS4_3ELNS0_20block_scan_algorithmE0ELj4294967295EEENS1_25partition_config_selectorILNS1_17partition_subalgoE4EjNS0_10empty_typeEbEEZZNS1_14partition_implILS8_4ELb0ES6_15HIP_vector_typeIjLj2EENS0_17counting_iteratorIjlEEPS9_SG_NS0_5tupleIJPjSI_NS0_16reverse_iteratorISI_EEEEENSH_IJSG_SG_SG_EEES9_SI_JZNS1_25segmented_radix_sort_implINS0_14default_configELb1EPKaPaPKlPlN2at6native12_GLOBAL__N_18offset_tEEE10hipError_tPvRmT1_PNSt15iterator_traitsIS12_E10value_typeET2_T3_PNS13_IS18_E10value_typeET4_jRbjT5_S1E_jjP12ihipStream_tbEUljE_ZNSN_ISO_Lb1ESQ_SR_ST_SU_SY_EESZ_S10_S11_S12_S16_S17_S18_S1B_S1C_jS1D_jS1E_S1E_jjS1G_bEUljE0_EEESZ_S10_S11_S18_S1C_S1E_T6_T7_T9_mT8_S1G_bDpT10_ENKUlT_T0_E_clISt17integral_constantIbLb0EES1U_EEDaS1P_S1Q_EUlS1P_E_NS1_11comp_targetILNS1_3genE5ELNS1_11target_archE942ELNS1_3gpuE9ELNS1_3repE0EEENS1_30default_config_static_selectorELNS0_4arch9wavefront6targetE0EEEvS12_.num_vgpr, 0
	.set _ZN7rocprim17ROCPRIM_400000_NS6detail17trampoline_kernelINS0_13select_configILj256ELj13ELNS0_17block_load_methodE3ELS4_3ELS4_3ELNS0_20block_scan_algorithmE0ELj4294967295EEENS1_25partition_config_selectorILNS1_17partition_subalgoE4EjNS0_10empty_typeEbEEZZNS1_14partition_implILS8_4ELb0ES6_15HIP_vector_typeIjLj2EENS0_17counting_iteratorIjlEEPS9_SG_NS0_5tupleIJPjSI_NS0_16reverse_iteratorISI_EEEEENSH_IJSG_SG_SG_EEES9_SI_JZNS1_25segmented_radix_sort_implINS0_14default_configELb1EPKaPaPKlPlN2at6native12_GLOBAL__N_18offset_tEEE10hipError_tPvRmT1_PNSt15iterator_traitsIS12_E10value_typeET2_T3_PNS13_IS18_E10value_typeET4_jRbjT5_S1E_jjP12ihipStream_tbEUljE_ZNSN_ISO_Lb1ESQ_SR_ST_SU_SY_EESZ_S10_S11_S12_S16_S17_S18_S1B_S1C_jS1D_jS1E_S1E_jjS1G_bEUljE0_EEESZ_S10_S11_S18_S1C_S1E_T6_T7_T9_mT8_S1G_bDpT10_ENKUlT_T0_E_clISt17integral_constantIbLb0EES1U_EEDaS1P_S1Q_EUlS1P_E_NS1_11comp_targetILNS1_3genE5ELNS1_11target_archE942ELNS1_3gpuE9ELNS1_3repE0EEENS1_30default_config_static_selectorELNS0_4arch9wavefront6targetE0EEEvS12_.num_agpr, 0
	.set _ZN7rocprim17ROCPRIM_400000_NS6detail17trampoline_kernelINS0_13select_configILj256ELj13ELNS0_17block_load_methodE3ELS4_3ELS4_3ELNS0_20block_scan_algorithmE0ELj4294967295EEENS1_25partition_config_selectorILNS1_17partition_subalgoE4EjNS0_10empty_typeEbEEZZNS1_14partition_implILS8_4ELb0ES6_15HIP_vector_typeIjLj2EENS0_17counting_iteratorIjlEEPS9_SG_NS0_5tupleIJPjSI_NS0_16reverse_iteratorISI_EEEEENSH_IJSG_SG_SG_EEES9_SI_JZNS1_25segmented_radix_sort_implINS0_14default_configELb1EPKaPaPKlPlN2at6native12_GLOBAL__N_18offset_tEEE10hipError_tPvRmT1_PNSt15iterator_traitsIS12_E10value_typeET2_T3_PNS13_IS18_E10value_typeET4_jRbjT5_S1E_jjP12ihipStream_tbEUljE_ZNSN_ISO_Lb1ESQ_SR_ST_SU_SY_EESZ_S10_S11_S12_S16_S17_S18_S1B_S1C_jS1D_jS1E_S1E_jjS1G_bEUljE0_EEESZ_S10_S11_S18_S1C_S1E_T6_T7_T9_mT8_S1G_bDpT10_ENKUlT_T0_E_clISt17integral_constantIbLb0EES1U_EEDaS1P_S1Q_EUlS1P_E_NS1_11comp_targetILNS1_3genE5ELNS1_11target_archE942ELNS1_3gpuE9ELNS1_3repE0EEENS1_30default_config_static_selectorELNS0_4arch9wavefront6targetE0EEEvS12_.numbered_sgpr, 0
	.set _ZN7rocprim17ROCPRIM_400000_NS6detail17trampoline_kernelINS0_13select_configILj256ELj13ELNS0_17block_load_methodE3ELS4_3ELS4_3ELNS0_20block_scan_algorithmE0ELj4294967295EEENS1_25partition_config_selectorILNS1_17partition_subalgoE4EjNS0_10empty_typeEbEEZZNS1_14partition_implILS8_4ELb0ES6_15HIP_vector_typeIjLj2EENS0_17counting_iteratorIjlEEPS9_SG_NS0_5tupleIJPjSI_NS0_16reverse_iteratorISI_EEEEENSH_IJSG_SG_SG_EEES9_SI_JZNS1_25segmented_radix_sort_implINS0_14default_configELb1EPKaPaPKlPlN2at6native12_GLOBAL__N_18offset_tEEE10hipError_tPvRmT1_PNSt15iterator_traitsIS12_E10value_typeET2_T3_PNS13_IS18_E10value_typeET4_jRbjT5_S1E_jjP12ihipStream_tbEUljE_ZNSN_ISO_Lb1ESQ_SR_ST_SU_SY_EESZ_S10_S11_S12_S16_S17_S18_S1B_S1C_jS1D_jS1E_S1E_jjS1G_bEUljE0_EEESZ_S10_S11_S18_S1C_S1E_T6_T7_T9_mT8_S1G_bDpT10_ENKUlT_T0_E_clISt17integral_constantIbLb0EES1U_EEDaS1P_S1Q_EUlS1P_E_NS1_11comp_targetILNS1_3genE5ELNS1_11target_archE942ELNS1_3gpuE9ELNS1_3repE0EEENS1_30default_config_static_selectorELNS0_4arch9wavefront6targetE0EEEvS12_.num_named_barrier, 0
	.set _ZN7rocprim17ROCPRIM_400000_NS6detail17trampoline_kernelINS0_13select_configILj256ELj13ELNS0_17block_load_methodE3ELS4_3ELS4_3ELNS0_20block_scan_algorithmE0ELj4294967295EEENS1_25partition_config_selectorILNS1_17partition_subalgoE4EjNS0_10empty_typeEbEEZZNS1_14partition_implILS8_4ELb0ES6_15HIP_vector_typeIjLj2EENS0_17counting_iteratorIjlEEPS9_SG_NS0_5tupleIJPjSI_NS0_16reverse_iteratorISI_EEEEENSH_IJSG_SG_SG_EEES9_SI_JZNS1_25segmented_radix_sort_implINS0_14default_configELb1EPKaPaPKlPlN2at6native12_GLOBAL__N_18offset_tEEE10hipError_tPvRmT1_PNSt15iterator_traitsIS12_E10value_typeET2_T3_PNS13_IS18_E10value_typeET4_jRbjT5_S1E_jjP12ihipStream_tbEUljE_ZNSN_ISO_Lb1ESQ_SR_ST_SU_SY_EESZ_S10_S11_S12_S16_S17_S18_S1B_S1C_jS1D_jS1E_S1E_jjS1G_bEUljE0_EEESZ_S10_S11_S18_S1C_S1E_T6_T7_T9_mT8_S1G_bDpT10_ENKUlT_T0_E_clISt17integral_constantIbLb0EES1U_EEDaS1P_S1Q_EUlS1P_E_NS1_11comp_targetILNS1_3genE5ELNS1_11target_archE942ELNS1_3gpuE9ELNS1_3repE0EEENS1_30default_config_static_selectorELNS0_4arch9wavefront6targetE0EEEvS12_.private_seg_size, 0
	.set _ZN7rocprim17ROCPRIM_400000_NS6detail17trampoline_kernelINS0_13select_configILj256ELj13ELNS0_17block_load_methodE3ELS4_3ELS4_3ELNS0_20block_scan_algorithmE0ELj4294967295EEENS1_25partition_config_selectorILNS1_17partition_subalgoE4EjNS0_10empty_typeEbEEZZNS1_14partition_implILS8_4ELb0ES6_15HIP_vector_typeIjLj2EENS0_17counting_iteratorIjlEEPS9_SG_NS0_5tupleIJPjSI_NS0_16reverse_iteratorISI_EEEEENSH_IJSG_SG_SG_EEES9_SI_JZNS1_25segmented_radix_sort_implINS0_14default_configELb1EPKaPaPKlPlN2at6native12_GLOBAL__N_18offset_tEEE10hipError_tPvRmT1_PNSt15iterator_traitsIS12_E10value_typeET2_T3_PNS13_IS18_E10value_typeET4_jRbjT5_S1E_jjP12ihipStream_tbEUljE_ZNSN_ISO_Lb1ESQ_SR_ST_SU_SY_EESZ_S10_S11_S12_S16_S17_S18_S1B_S1C_jS1D_jS1E_S1E_jjS1G_bEUljE0_EEESZ_S10_S11_S18_S1C_S1E_T6_T7_T9_mT8_S1G_bDpT10_ENKUlT_T0_E_clISt17integral_constantIbLb0EES1U_EEDaS1P_S1Q_EUlS1P_E_NS1_11comp_targetILNS1_3genE5ELNS1_11target_archE942ELNS1_3gpuE9ELNS1_3repE0EEENS1_30default_config_static_selectorELNS0_4arch9wavefront6targetE0EEEvS12_.uses_vcc, 0
	.set _ZN7rocprim17ROCPRIM_400000_NS6detail17trampoline_kernelINS0_13select_configILj256ELj13ELNS0_17block_load_methodE3ELS4_3ELS4_3ELNS0_20block_scan_algorithmE0ELj4294967295EEENS1_25partition_config_selectorILNS1_17partition_subalgoE4EjNS0_10empty_typeEbEEZZNS1_14partition_implILS8_4ELb0ES6_15HIP_vector_typeIjLj2EENS0_17counting_iteratorIjlEEPS9_SG_NS0_5tupleIJPjSI_NS0_16reverse_iteratorISI_EEEEENSH_IJSG_SG_SG_EEES9_SI_JZNS1_25segmented_radix_sort_implINS0_14default_configELb1EPKaPaPKlPlN2at6native12_GLOBAL__N_18offset_tEEE10hipError_tPvRmT1_PNSt15iterator_traitsIS12_E10value_typeET2_T3_PNS13_IS18_E10value_typeET4_jRbjT5_S1E_jjP12ihipStream_tbEUljE_ZNSN_ISO_Lb1ESQ_SR_ST_SU_SY_EESZ_S10_S11_S12_S16_S17_S18_S1B_S1C_jS1D_jS1E_S1E_jjS1G_bEUljE0_EEESZ_S10_S11_S18_S1C_S1E_T6_T7_T9_mT8_S1G_bDpT10_ENKUlT_T0_E_clISt17integral_constantIbLb0EES1U_EEDaS1P_S1Q_EUlS1P_E_NS1_11comp_targetILNS1_3genE5ELNS1_11target_archE942ELNS1_3gpuE9ELNS1_3repE0EEENS1_30default_config_static_selectorELNS0_4arch9wavefront6targetE0EEEvS12_.uses_flat_scratch, 0
	.set _ZN7rocprim17ROCPRIM_400000_NS6detail17trampoline_kernelINS0_13select_configILj256ELj13ELNS0_17block_load_methodE3ELS4_3ELS4_3ELNS0_20block_scan_algorithmE0ELj4294967295EEENS1_25partition_config_selectorILNS1_17partition_subalgoE4EjNS0_10empty_typeEbEEZZNS1_14partition_implILS8_4ELb0ES6_15HIP_vector_typeIjLj2EENS0_17counting_iteratorIjlEEPS9_SG_NS0_5tupleIJPjSI_NS0_16reverse_iteratorISI_EEEEENSH_IJSG_SG_SG_EEES9_SI_JZNS1_25segmented_radix_sort_implINS0_14default_configELb1EPKaPaPKlPlN2at6native12_GLOBAL__N_18offset_tEEE10hipError_tPvRmT1_PNSt15iterator_traitsIS12_E10value_typeET2_T3_PNS13_IS18_E10value_typeET4_jRbjT5_S1E_jjP12ihipStream_tbEUljE_ZNSN_ISO_Lb1ESQ_SR_ST_SU_SY_EESZ_S10_S11_S12_S16_S17_S18_S1B_S1C_jS1D_jS1E_S1E_jjS1G_bEUljE0_EEESZ_S10_S11_S18_S1C_S1E_T6_T7_T9_mT8_S1G_bDpT10_ENKUlT_T0_E_clISt17integral_constantIbLb0EES1U_EEDaS1P_S1Q_EUlS1P_E_NS1_11comp_targetILNS1_3genE5ELNS1_11target_archE942ELNS1_3gpuE9ELNS1_3repE0EEENS1_30default_config_static_selectorELNS0_4arch9wavefront6targetE0EEEvS12_.has_dyn_sized_stack, 0
	.set _ZN7rocprim17ROCPRIM_400000_NS6detail17trampoline_kernelINS0_13select_configILj256ELj13ELNS0_17block_load_methodE3ELS4_3ELS4_3ELNS0_20block_scan_algorithmE0ELj4294967295EEENS1_25partition_config_selectorILNS1_17partition_subalgoE4EjNS0_10empty_typeEbEEZZNS1_14partition_implILS8_4ELb0ES6_15HIP_vector_typeIjLj2EENS0_17counting_iteratorIjlEEPS9_SG_NS0_5tupleIJPjSI_NS0_16reverse_iteratorISI_EEEEENSH_IJSG_SG_SG_EEES9_SI_JZNS1_25segmented_radix_sort_implINS0_14default_configELb1EPKaPaPKlPlN2at6native12_GLOBAL__N_18offset_tEEE10hipError_tPvRmT1_PNSt15iterator_traitsIS12_E10value_typeET2_T3_PNS13_IS18_E10value_typeET4_jRbjT5_S1E_jjP12ihipStream_tbEUljE_ZNSN_ISO_Lb1ESQ_SR_ST_SU_SY_EESZ_S10_S11_S12_S16_S17_S18_S1B_S1C_jS1D_jS1E_S1E_jjS1G_bEUljE0_EEESZ_S10_S11_S18_S1C_S1E_T6_T7_T9_mT8_S1G_bDpT10_ENKUlT_T0_E_clISt17integral_constantIbLb0EES1U_EEDaS1P_S1Q_EUlS1P_E_NS1_11comp_targetILNS1_3genE5ELNS1_11target_archE942ELNS1_3gpuE9ELNS1_3repE0EEENS1_30default_config_static_selectorELNS0_4arch9wavefront6targetE0EEEvS12_.has_recursion, 0
	.set _ZN7rocprim17ROCPRIM_400000_NS6detail17trampoline_kernelINS0_13select_configILj256ELj13ELNS0_17block_load_methodE3ELS4_3ELS4_3ELNS0_20block_scan_algorithmE0ELj4294967295EEENS1_25partition_config_selectorILNS1_17partition_subalgoE4EjNS0_10empty_typeEbEEZZNS1_14partition_implILS8_4ELb0ES6_15HIP_vector_typeIjLj2EENS0_17counting_iteratorIjlEEPS9_SG_NS0_5tupleIJPjSI_NS0_16reverse_iteratorISI_EEEEENSH_IJSG_SG_SG_EEES9_SI_JZNS1_25segmented_radix_sort_implINS0_14default_configELb1EPKaPaPKlPlN2at6native12_GLOBAL__N_18offset_tEEE10hipError_tPvRmT1_PNSt15iterator_traitsIS12_E10value_typeET2_T3_PNS13_IS18_E10value_typeET4_jRbjT5_S1E_jjP12ihipStream_tbEUljE_ZNSN_ISO_Lb1ESQ_SR_ST_SU_SY_EESZ_S10_S11_S12_S16_S17_S18_S1B_S1C_jS1D_jS1E_S1E_jjS1G_bEUljE0_EEESZ_S10_S11_S18_S1C_S1E_T6_T7_T9_mT8_S1G_bDpT10_ENKUlT_T0_E_clISt17integral_constantIbLb0EES1U_EEDaS1P_S1Q_EUlS1P_E_NS1_11comp_targetILNS1_3genE5ELNS1_11target_archE942ELNS1_3gpuE9ELNS1_3repE0EEENS1_30default_config_static_selectorELNS0_4arch9wavefront6targetE0EEEvS12_.has_indirect_call, 0
	.section	.AMDGPU.csdata,"",@progbits
; Kernel info:
; codeLenInByte = 0
; TotalNumSgprs: 0
; NumVgprs: 0
; ScratchSize: 0
; MemoryBound: 0
; FloatMode: 240
; IeeeMode: 1
; LDSByteSize: 0 bytes/workgroup (compile time only)
; SGPRBlocks: 0
; VGPRBlocks: 0
; NumSGPRsForWavesPerEU: 1
; NumVGPRsForWavesPerEU: 1
; Occupancy: 16
; WaveLimiterHint : 0
; COMPUTE_PGM_RSRC2:SCRATCH_EN: 0
; COMPUTE_PGM_RSRC2:USER_SGPR: 6
; COMPUTE_PGM_RSRC2:TRAP_HANDLER: 0
; COMPUTE_PGM_RSRC2:TGID_X_EN: 1
; COMPUTE_PGM_RSRC2:TGID_Y_EN: 0
; COMPUTE_PGM_RSRC2:TGID_Z_EN: 0
; COMPUTE_PGM_RSRC2:TIDIG_COMP_CNT: 0
	.section	.text._ZN7rocprim17ROCPRIM_400000_NS6detail17trampoline_kernelINS0_13select_configILj256ELj13ELNS0_17block_load_methodE3ELS4_3ELS4_3ELNS0_20block_scan_algorithmE0ELj4294967295EEENS1_25partition_config_selectorILNS1_17partition_subalgoE4EjNS0_10empty_typeEbEEZZNS1_14partition_implILS8_4ELb0ES6_15HIP_vector_typeIjLj2EENS0_17counting_iteratorIjlEEPS9_SG_NS0_5tupleIJPjSI_NS0_16reverse_iteratorISI_EEEEENSH_IJSG_SG_SG_EEES9_SI_JZNS1_25segmented_radix_sort_implINS0_14default_configELb1EPKaPaPKlPlN2at6native12_GLOBAL__N_18offset_tEEE10hipError_tPvRmT1_PNSt15iterator_traitsIS12_E10value_typeET2_T3_PNS13_IS18_E10value_typeET4_jRbjT5_S1E_jjP12ihipStream_tbEUljE_ZNSN_ISO_Lb1ESQ_SR_ST_SU_SY_EESZ_S10_S11_S12_S16_S17_S18_S1B_S1C_jS1D_jS1E_S1E_jjS1G_bEUljE0_EEESZ_S10_S11_S18_S1C_S1E_T6_T7_T9_mT8_S1G_bDpT10_ENKUlT_T0_E_clISt17integral_constantIbLb0EES1U_EEDaS1P_S1Q_EUlS1P_E_NS1_11comp_targetILNS1_3genE4ELNS1_11target_archE910ELNS1_3gpuE8ELNS1_3repE0EEENS1_30default_config_static_selectorELNS0_4arch9wavefront6targetE0EEEvS12_,"axG",@progbits,_ZN7rocprim17ROCPRIM_400000_NS6detail17trampoline_kernelINS0_13select_configILj256ELj13ELNS0_17block_load_methodE3ELS4_3ELS4_3ELNS0_20block_scan_algorithmE0ELj4294967295EEENS1_25partition_config_selectorILNS1_17partition_subalgoE4EjNS0_10empty_typeEbEEZZNS1_14partition_implILS8_4ELb0ES6_15HIP_vector_typeIjLj2EENS0_17counting_iteratorIjlEEPS9_SG_NS0_5tupleIJPjSI_NS0_16reverse_iteratorISI_EEEEENSH_IJSG_SG_SG_EEES9_SI_JZNS1_25segmented_radix_sort_implINS0_14default_configELb1EPKaPaPKlPlN2at6native12_GLOBAL__N_18offset_tEEE10hipError_tPvRmT1_PNSt15iterator_traitsIS12_E10value_typeET2_T3_PNS13_IS18_E10value_typeET4_jRbjT5_S1E_jjP12ihipStream_tbEUljE_ZNSN_ISO_Lb1ESQ_SR_ST_SU_SY_EESZ_S10_S11_S12_S16_S17_S18_S1B_S1C_jS1D_jS1E_S1E_jjS1G_bEUljE0_EEESZ_S10_S11_S18_S1C_S1E_T6_T7_T9_mT8_S1G_bDpT10_ENKUlT_T0_E_clISt17integral_constantIbLb0EES1U_EEDaS1P_S1Q_EUlS1P_E_NS1_11comp_targetILNS1_3genE4ELNS1_11target_archE910ELNS1_3gpuE8ELNS1_3repE0EEENS1_30default_config_static_selectorELNS0_4arch9wavefront6targetE0EEEvS12_,comdat
	.globl	_ZN7rocprim17ROCPRIM_400000_NS6detail17trampoline_kernelINS0_13select_configILj256ELj13ELNS0_17block_load_methodE3ELS4_3ELS4_3ELNS0_20block_scan_algorithmE0ELj4294967295EEENS1_25partition_config_selectorILNS1_17partition_subalgoE4EjNS0_10empty_typeEbEEZZNS1_14partition_implILS8_4ELb0ES6_15HIP_vector_typeIjLj2EENS0_17counting_iteratorIjlEEPS9_SG_NS0_5tupleIJPjSI_NS0_16reverse_iteratorISI_EEEEENSH_IJSG_SG_SG_EEES9_SI_JZNS1_25segmented_radix_sort_implINS0_14default_configELb1EPKaPaPKlPlN2at6native12_GLOBAL__N_18offset_tEEE10hipError_tPvRmT1_PNSt15iterator_traitsIS12_E10value_typeET2_T3_PNS13_IS18_E10value_typeET4_jRbjT5_S1E_jjP12ihipStream_tbEUljE_ZNSN_ISO_Lb1ESQ_SR_ST_SU_SY_EESZ_S10_S11_S12_S16_S17_S18_S1B_S1C_jS1D_jS1E_S1E_jjS1G_bEUljE0_EEESZ_S10_S11_S18_S1C_S1E_T6_T7_T9_mT8_S1G_bDpT10_ENKUlT_T0_E_clISt17integral_constantIbLb0EES1U_EEDaS1P_S1Q_EUlS1P_E_NS1_11comp_targetILNS1_3genE4ELNS1_11target_archE910ELNS1_3gpuE8ELNS1_3repE0EEENS1_30default_config_static_selectorELNS0_4arch9wavefront6targetE0EEEvS12_ ; -- Begin function _ZN7rocprim17ROCPRIM_400000_NS6detail17trampoline_kernelINS0_13select_configILj256ELj13ELNS0_17block_load_methodE3ELS4_3ELS4_3ELNS0_20block_scan_algorithmE0ELj4294967295EEENS1_25partition_config_selectorILNS1_17partition_subalgoE4EjNS0_10empty_typeEbEEZZNS1_14partition_implILS8_4ELb0ES6_15HIP_vector_typeIjLj2EENS0_17counting_iteratorIjlEEPS9_SG_NS0_5tupleIJPjSI_NS0_16reverse_iteratorISI_EEEEENSH_IJSG_SG_SG_EEES9_SI_JZNS1_25segmented_radix_sort_implINS0_14default_configELb1EPKaPaPKlPlN2at6native12_GLOBAL__N_18offset_tEEE10hipError_tPvRmT1_PNSt15iterator_traitsIS12_E10value_typeET2_T3_PNS13_IS18_E10value_typeET4_jRbjT5_S1E_jjP12ihipStream_tbEUljE_ZNSN_ISO_Lb1ESQ_SR_ST_SU_SY_EESZ_S10_S11_S12_S16_S17_S18_S1B_S1C_jS1D_jS1E_S1E_jjS1G_bEUljE0_EEESZ_S10_S11_S18_S1C_S1E_T6_T7_T9_mT8_S1G_bDpT10_ENKUlT_T0_E_clISt17integral_constantIbLb0EES1U_EEDaS1P_S1Q_EUlS1P_E_NS1_11comp_targetILNS1_3genE4ELNS1_11target_archE910ELNS1_3gpuE8ELNS1_3repE0EEENS1_30default_config_static_selectorELNS0_4arch9wavefront6targetE0EEEvS12_
	.p2align	8
	.type	_ZN7rocprim17ROCPRIM_400000_NS6detail17trampoline_kernelINS0_13select_configILj256ELj13ELNS0_17block_load_methodE3ELS4_3ELS4_3ELNS0_20block_scan_algorithmE0ELj4294967295EEENS1_25partition_config_selectorILNS1_17partition_subalgoE4EjNS0_10empty_typeEbEEZZNS1_14partition_implILS8_4ELb0ES6_15HIP_vector_typeIjLj2EENS0_17counting_iteratorIjlEEPS9_SG_NS0_5tupleIJPjSI_NS0_16reverse_iteratorISI_EEEEENSH_IJSG_SG_SG_EEES9_SI_JZNS1_25segmented_radix_sort_implINS0_14default_configELb1EPKaPaPKlPlN2at6native12_GLOBAL__N_18offset_tEEE10hipError_tPvRmT1_PNSt15iterator_traitsIS12_E10value_typeET2_T3_PNS13_IS18_E10value_typeET4_jRbjT5_S1E_jjP12ihipStream_tbEUljE_ZNSN_ISO_Lb1ESQ_SR_ST_SU_SY_EESZ_S10_S11_S12_S16_S17_S18_S1B_S1C_jS1D_jS1E_S1E_jjS1G_bEUljE0_EEESZ_S10_S11_S18_S1C_S1E_T6_T7_T9_mT8_S1G_bDpT10_ENKUlT_T0_E_clISt17integral_constantIbLb0EES1U_EEDaS1P_S1Q_EUlS1P_E_NS1_11comp_targetILNS1_3genE4ELNS1_11target_archE910ELNS1_3gpuE8ELNS1_3repE0EEENS1_30default_config_static_selectorELNS0_4arch9wavefront6targetE0EEEvS12_,@function
_ZN7rocprim17ROCPRIM_400000_NS6detail17trampoline_kernelINS0_13select_configILj256ELj13ELNS0_17block_load_methodE3ELS4_3ELS4_3ELNS0_20block_scan_algorithmE0ELj4294967295EEENS1_25partition_config_selectorILNS1_17partition_subalgoE4EjNS0_10empty_typeEbEEZZNS1_14partition_implILS8_4ELb0ES6_15HIP_vector_typeIjLj2EENS0_17counting_iteratorIjlEEPS9_SG_NS0_5tupleIJPjSI_NS0_16reverse_iteratorISI_EEEEENSH_IJSG_SG_SG_EEES9_SI_JZNS1_25segmented_radix_sort_implINS0_14default_configELb1EPKaPaPKlPlN2at6native12_GLOBAL__N_18offset_tEEE10hipError_tPvRmT1_PNSt15iterator_traitsIS12_E10value_typeET2_T3_PNS13_IS18_E10value_typeET4_jRbjT5_S1E_jjP12ihipStream_tbEUljE_ZNSN_ISO_Lb1ESQ_SR_ST_SU_SY_EESZ_S10_S11_S12_S16_S17_S18_S1B_S1C_jS1D_jS1E_S1E_jjS1G_bEUljE0_EEESZ_S10_S11_S18_S1C_S1E_T6_T7_T9_mT8_S1G_bDpT10_ENKUlT_T0_E_clISt17integral_constantIbLb0EES1U_EEDaS1P_S1Q_EUlS1P_E_NS1_11comp_targetILNS1_3genE4ELNS1_11target_archE910ELNS1_3gpuE8ELNS1_3repE0EEENS1_30default_config_static_selectorELNS0_4arch9wavefront6targetE0EEEvS12_: ; @_ZN7rocprim17ROCPRIM_400000_NS6detail17trampoline_kernelINS0_13select_configILj256ELj13ELNS0_17block_load_methodE3ELS4_3ELS4_3ELNS0_20block_scan_algorithmE0ELj4294967295EEENS1_25partition_config_selectorILNS1_17partition_subalgoE4EjNS0_10empty_typeEbEEZZNS1_14partition_implILS8_4ELb0ES6_15HIP_vector_typeIjLj2EENS0_17counting_iteratorIjlEEPS9_SG_NS0_5tupleIJPjSI_NS0_16reverse_iteratorISI_EEEEENSH_IJSG_SG_SG_EEES9_SI_JZNS1_25segmented_radix_sort_implINS0_14default_configELb1EPKaPaPKlPlN2at6native12_GLOBAL__N_18offset_tEEE10hipError_tPvRmT1_PNSt15iterator_traitsIS12_E10value_typeET2_T3_PNS13_IS18_E10value_typeET4_jRbjT5_S1E_jjP12ihipStream_tbEUljE_ZNSN_ISO_Lb1ESQ_SR_ST_SU_SY_EESZ_S10_S11_S12_S16_S17_S18_S1B_S1C_jS1D_jS1E_S1E_jjS1G_bEUljE0_EEESZ_S10_S11_S18_S1C_S1E_T6_T7_T9_mT8_S1G_bDpT10_ENKUlT_T0_E_clISt17integral_constantIbLb0EES1U_EEDaS1P_S1Q_EUlS1P_E_NS1_11comp_targetILNS1_3genE4ELNS1_11target_archE910ELNS1_3gpuE8ELNS1_3repE0EEENS1_30default_config_static_selectorELNS0_4arch9wavefront6targetE0EEEvS12_
; %bb.0:
	.section	.rodata,"a",@progbits
	.p2align	6, 0x0
	.amdhsa_kernel _ZN7rocprim17ROCPRIM_400000_NS6detail17trampoline_kernelINS0_13select_configILj256ELj13ELNS0_17block_load_methodE3ELS4_3ELS4_3ELNS0_20block_scan_algorithmE0ELj4294967295EEENS1_25partition_config_selectorILNS1_17partition_subalgoE4EjNS0_10empty_typeEbEEZZNS1_14partition_implILS8_4ELb0ES6_15HIP_vector_typeIjLj2EENS0_17counting_iteratorIjlEEPS9_SG_NS0_5tupleIJPjSI_NS0_16reverse_iteratorISI_EEEEENSH_IJSG_SG_SG_EEES9_SI_JZNS1_25segmented_radix_sort_implINS0_14default_configELb1EPKaPaPKlPlN2at6native12_GLOBAL__N_18offset_tEEE10hipError_tPvRmT1_PNSt15iterator_traitsIS12_E10value_typeET2_T3_PNS13_IS18_E10value_typeET4_jRbjT5_S1E_jjP12ihipStream_tbEUljE_ZNSN_ISO_Lb1ESQ_SR_ST_SU_SY_EESZ_S10_S11_S12_S16_S17_S18_S1B_S1C_jS1D_jS1E_S1E_jjS1G_bEUljE0_EEESZ_S10_S11_S18_S1C_S1E_T6_T7_T9_mT8_S1G_bDpT10_ENKUlT_T0_E_clISt17integral_constantIbLb0EES1U_EEDaS1P_S1Q_EUlS1P_E_NS1_11comp_targetILNS1_3genE4ELNS1_11target_archE910ELNS1_3gpuE8ELNS1_3repE0EEENS1_30default_config_static_selectorELNS0_4arch9wavefront6targetE0EEEvS12_
		.amdhsa_group_segment_fixed_size 0
		.amdhsa_private_segment_fixed_size 0
		.amdhsa_kernarg_size 176
		.amdhsa_user_sgpr_count 6
		.amdhsa_user_sgpr_private_segment_buffer 1
		.amdhsa_user_sgpr_dispatch_ptr 0
		.amdhsa_user_sgpr_queue_ptr 0
		.amdhsa_user_sgpr_kernarg_segment_ptr 1
		.amdhsa_user_sgpr_dispatch_id 0
		.amdhsa_user_sgpr_flat_scratch_init 0
		.amdhsa_user_sgpr_private_segment_size 0
		.amdhsa_wavefront_size32 1
		.amdhsa_uses_dynamic_stack 0
		.amdhsa_system_sgpr_private_segment_wavefront_offset 0
		.amdhsa_system_sgpr_workgroup_id_x 1
		.amdhsa_system_sgpr_workgroup_id_y 0
		.amdhsa_system_sgpr_workgroup_id_z 0
		.amdhsa_system_sgpr_workgroup_info 0
		.amdhsa_system_vgpr_workitem_id 0
		.amdhsa_next_free_vgpr 1
		.amdhsa_next_free_sgpr 1
		.amdhsa_reserve_vcc 0
		.amdhsa_reserve_flat_scratch 0
		.amdhsa_float_round_mode_32 0
		.amdhsa_float_round_mode_16_64 0
		.amdhsa_float_denorm_mode_32 3
		.amdhsa_float_denorm_mode_16_64 3
		.amdhsa_dx10_clamp 1
		.amdhsa_ieee_mode 1
		.amdhsa_fp16_overflow 0
		.amdhsa_workgroup_processor_mode 1
		.amdhsa_memory_ordered 1
		.amdhsa_forward_progress 1
		.amdhsa_shared_vgpr_count 0
		.amdhsa_exception_fp_ieee_invalid_op 0
		.amdhsa_exception_fp_denorm_src 0
		.amdhsa_exception_fp_ieee_div_zero 0
		.amdhsa_exception_fp_ieee_overflow 0
		.amdhsa_exception_fp_ieee_underflow 0
		.amdhsa_exception_fp_ieee_inexact 0
		.amdhsa_exception_int_div_zero 0
	.end_amdhsa_kernel
	.section	.text._ZN7rocprim17ROCPRIM_400000_NS6detail17trampoline_kernelINS0_13select_configILj256ELj13ELNS0_17block_load_methodE3ELS4_3ELS4_3ELNS0_20block_scan_algorithmE0ELj4294967295EEENS1_25partition_config_selectorILNS1_17partition_subalgoE4EjNS0_10empty_typeEbEEZZNS1_14partition_implILS8_4ELb0ES6_15HIP_vector_typeIjLj2EENS0_17counting_iteratorIjlEEPS9_SG_NS0_5tupleIJPjSI_NS0_16reverse_iteratorISI_EEEEENSH_IJSG_SG_SG_EEES9_SI_JZNS1_25segmented_radix_sort_implINS0_14default_configELb1EPKaPaPKlPlN2at6native12_GLOBAL__N_18offset_tEEE10hipError_tPvRmT1_PNSt15iterator_traitsIS12_E10value_typeET2_T3_PNS13_IS18_E10value_typeET4_jRbjT5_S1E_jjP12ihipStream_tbEUljE_ZNSN_ISO_Lb1ESQ_SR_ST_SU_SY_EESZ_S10_S11_S12_S16_S17_S18_S1B_S1C_jS1D_jS1E_S1E_jjS1G_bEUljE0_EEESZ_S10_S11_S18_S1C_S1E_T6_T7_T9_mT8_S1G_bDpT10_ENKUlT_T0_E_clISt17integral_constantIbLb0EES1U_EEDaS1P_S1Q_EUlS1P_E_NS1_11comp_targetILNS1_3genE4ELNS1_11target_archE910ELNS1_3gpuE8ELNS1_3repE0EEENS1_30default_config_static_selectorELNS0_4arch9wavefront6targetE0EEEvS12_,"axG",@progbits,_ZN7rocprim17ROCPRIM_400000_NS6detail17trampoline_kernelINS0_13select_configILj256ELj13ELNS0_17block_load_methodE3ELS4_3ELS4_3ELNS0_20block_scan_algorithmE0ELj4294967295EEENS1_25partition_config_selectorILNS1_17partition_subalgoE4EjNS0_10empty_typeEbEEZZNS1_14partition_implILS8_4ELb0ES6_15HIP_vector_typeIjLj2EENS0_17counting_iteratorIjlEEPS9_SG_NS0_5tupleIJPjSI_NS0_16reverse_iteratorISI_EEEEENSH_IJSG_SG_SG_EEES9_SI_JZNS1_25segmented_radix_sort_implINS0_14default_configELb1EPKaPaPKlPlN2at6native12_GLOBAL__N_18offset_tEEE10hipError_tPvRmT1_PNSt15iterator_traitsIS12_E10value_typeET2_T3_PNS13_IS18_E10value_typeET4_jRbjT5_S1E_jjP12ihipStream_tbEUljE_ZNSN_ISO_Lb1ESQ_SR_ST_SU_SY_EESZ_S10_S11_S12_S16_S17_S18_S1B_S1C_jS1D_jS1E_S1E_jjS1G_bEUljE0_EEESZ_S10_S11_S18_S1C_S1E_T6_T7_T9_mT8_S1G_bDpT10_ENKUlT_T0_E_clISt17integral_constantIbLb0EES1U_EEDaS1P_S1Q_EUlS1P_E_NS1_11comp_targetILNS1_3genE4ELNS1_11target_archE910ELNS1_3gpuE8ELNS1_3repE0EEENS1_30default_config_static_selectorELNS0_4arch9wavefront6targetE0EEEvS12_,comdat
.Lfunc_end226:
	.size	_ZN7rocprim17ROCPRIM_400000_NS6detail17trampoline_kernelINS0_13select_configILj256ELj13ELNS0_17block_load_methodE3ELS4_3ELS4_3ELNS0_20block_scan_algorithmE0ELj4294967295EEENS1_25partition_config_selectorILNS1_17partition_subalgoE4EjNS0_10empty_typeEbEEZZNS1_14partition_implILS8_4ELb0ES6_15HIP_vector_typeIjLj2EENS0_17counting_iteratorIjlEEPS9_SG_NS0_5tupleIJPjSI_NS0_16reverse_iteratorISI_EEEEENSH_IJSG_SG_SG_EEES9_SI_JZNS1_25segmented_radix_sort_implINS0_14default_configELb1EPKaPaPKlPlN2at6native12_GLOBAL__N_18offset_tEEE10hipError_tPvRmT1_PNSt15iterator_traitsIS12_E10value_typeET2_T3_PNS13_IS18_E10value_typeET4_jRbjT5_S1E_jjP12ihipStream_tbEUljE_ZNSN_ISO_Lb1ESQ_SR_ST_SU_SY_EESZ_S10_S11_S12_S16_S17_S18_S1B_S1C_jS1D_jS1E_S1E_jjS1G_bEUljE0_EEESZ_S10_S11_S18_S1C_S1E_T6_T7_T9_mT8_S1G_bDpT10_ENKUlT_T0_E_clISt17integral_constantIbLb0EES1U_EEDaS1P_S1Q_EUlS1P_E_NS1_11comp_targetILNS1_3genE4ELNS1_11target_archE910ELNS1_3gpuE8ELNS1_3repE0EEENS1_30default_config_static_selectorELNS0_4arch9wavefront6targetE0EEEvS12_, .Lfunc_end226-_ZN7rocprim17ROCPRIM_400000_NS6detail17trampoline_kernelINS0_13select_configILj256ELj13ELNS0_17block_load_methodE3ELS4_3ELS4_3ELNS0_20block_scan_algorithmE0ELj4294967295EEENS1_25partition_config_selectorILNS1_17partition_subalgoE4EjNS0_10empty_typeEbEEZZNS1_14partition_implILS8_4ELb0ES6_15HIP_vector_typeIjLj2EENS0_17counting_iteratorIjlEEPS9_SG_NS0_5tupleIJPjSI_NS0_16reverse_iteratorISI_EEEEENSH_IJSG_SG_SG_EEES9_SI_JZNS1_25segmented_radix_sort_implINS0_14default_configELb1EPKaPaPKlPlN2at6native12_GLOBAL__N_18offset_tEEE10hipError_tPvRmT1_PNSt15iterator_traitsIS12_E10value_typeET2_T3_PNS13_IS18_E10value_typeET4_jRbjT5_S1E_jjP12ihipStream_tbEUljE_ZNSN_ISO_Lb1ESQ_SR_ST_SU_SY_EESZ_S10_S11_S12_S16_S17_S18_S1B_S1C_jS1D_jS1E_S1E_jjS1G_bEUljE0_EEESZ_S10_S11_S18_S1C_S1E_T6_T7_T9_mT8_S1G_bDpT10_ENKUlT_T0_E_clISt17integral_constantIbLb0EES1U_EEDaS1P_S1Q_EUlS1P_E_NS1_11comp_targetILNS1_3genE4ELNS1_11target_archE910ELNS1_3gpuE8ELNS1_3repE0EEENS1_30default_config_static_selectorELNS0_4arch9wavefront6targetE0EEEvS12_
                                        ; -- End function
	.set _ZN7rocprim17ROCPRIM_400000_NS6detail17trampoline_kernelINS0_13select_configILj256ELj13ELNS0_17block_load_methodE3ELS4_3ELS4_3ELNS0_20block_scan_algorithmE0ELj4294967295EEENS1_25partition_config_selectorILNS1_17partition_subalgoE4EjNS0_10empty_typeEbEEZZNS1_14partition_implILS8_4ELb0ES6_15HIP_vector_typeIjLj2EENS0_17counting_iteratorIjlEEPS9_SG_NS0_5tupleIJPjSI_NS0_16reverse_iteratorISI_EEEEENSH_IJSG_SG_SG_EEES9_SI_JZNS1_25segmented_radix_sort_implINS0_14default_configELb1EPKaPaPKlPlN2at6native12_GLOBAL__N_18offset_tEEE10hipError_tPvRmT1_PNSt15iterator_traitsIS12_E10value_typeET2_T3_PNS13_IS18_E10value_typeET4_jRbjT5_S1E_jjP12ihipStream_tbEUljE_ZNSN_ISO_Lb1ESQ_SR_ST_SU_SY_EESZ_S10_S11_S12_S16_S17_S18_S1B_S1C_jS1D_jS1E_S1E_jjS1G_bEUljE0_EEESZ_S10_S11_S18_S1C_S1E_T6_T7_T9_mT8_S1G_bDpT10_ENKUlT_T0_E_clISt17integral_constantIbLb0EES1U_EEDaS1P_S1Q_EUlS1P_E_NS1_11comp_targetILNS1_3genE4ELNS1_11target_archE910ELNS1_3gpuE8ELNS1_3repE0EEENS1_30default_config_static_selectorELNS0_4arch9wavefront6targetE0EEEvS12_.num_vgpr, 0
	.set _ZN7rocprim17ROCPRIM_400000_NS6detail17trampoline_kernelINS0_13select_configILj256ELj13ELNS0_17block_load_methodE3ELS4_3ELS4_3ELNS0_20block_scan_algorithmE0ELj4294967295EEENS1_25partition_config_selectorILNS1_17partition_subalgoE4EjNS0_10empty_typeEbEEZZNS1_14partition_implILS8_4ELb0ES6_15HIP_vector_typeIjLj2EENS0_17counting_iteratorIjlEEPS9_SG_NS0_5tupleIJPjSI_NS0_16reverse_iteratorISI_EEEEENSH_IJSG_SG_SG_EEES9_SI_JZNS1_25segmented_radix_sort_implINS0_14default_configELb1EPKaPaPKlPlN2at6native12_GLOBAL__N_18offset_tEEE10hipError_tPvRmT1_PNSt15iterator_traitsIS12_E10value_typeET2_T3_PNS13_IS18_E10value_typeET4_jRbjT5_S1E_jjP12ihipStream_tbEUljE_ZNSN_ISO_Lb1ESQ_SR_ST_SU_SY_EESZ_S10_S11_S12_S16_S17_S18_S1B_S1C_jS1D_jS1E_S1E_jjS1G_bEUljE0_EEESZ_S10_S11_S18_S1C_S1E_T6_T7_T9_mT8_S1G_bDpT10_ENKUlT_T0_E_clISt17integral_constantIbLb0EES1U_EEDaS1P_S1Q_EUlS1P_E_NS1_11comp_targetILNS1_3genE4ELNS1_11target_archE910ELNS1_3gpuE8ELNS1_3repE0EEENS1_30default_config_static_selectorELNS0_4arch9wavefront6targetE0EEEvS12_.num_agpr, 0
	.set _ZN7rocprim17ROCPRIM_400000_NS6detail17trampoline_kernelINS0_13select_configILj256ELj13ELNS0_17block_load_methodE3ELS4_3ELS4_3ELNS0_20block_scan_algorithmE0ELj4294967295EEENS1_25partition_config_selectorILNS1_17partition_subalgoE4EjNS0_10empty_typeEbEEZZNS1_14partition_implILS8_4ELb0ES6_15HIP_vector_typeIjLj2EENS0_17counting_iteratorIjlEEPS9_SG_NS0_5tupleIJPjSI_NS0_16reverse_iteratorISI_EEEEENSH_IJSG_SG_SG_EEES9_SI_JZNS1_25segmented_radix_sort_implINS0_14default_configELb1EPKaPaPKlPlN2at6native12_GLOBAL__N_18offset_tEEE10hipError_tPvRmT1_PNSt15iterator_traitsIS12_E10value_typeET2_T3_PNS13_IS18_E10value_typeET4_jRbjT5_S1E_jjP12ihipStream_tbEUljE_ZNSN_ISO_Lb1ESQ_SR_ST_SU_SY_EESZ_S10_S11_S12_S16_S17_S18_S1B_S1C_jS1D_jS1E_S1E_jjS1G_bEUljE0_EEESZ_S10_S11_S18_S1C_S1E_T6_T7_T9_mT8_S1G_bDpT10_ENKUlT_T0_E_clISt17integral_constantIbLb0EES1U_EEDaS1P_S1Q_EUlS1P_E_NS1_11comp_targetILNS1_3genE4ELNS1_11target_archE910ELNS1_3gpuE8ELNS1_3repE0EEENS1_30default_config_static_selectorELNS0_4arch9wavefront6targetE0EEEvS12_.numbered_sgpr, 0
	.set _ZN7rocprim17ROCPRIM_400000_NS6detail17trampoline_kernelINS0_13select_configILj256ELj13ELNS0_17block_load_methodE3ELS4_3ELS4_3ELNS0_20block_scan_algorithmE0ELj4294967295EEENS1_25partition_config_selectorILNS1_17partition_subalgoE4EjNS0_10empty_typeEbEEZZNS1_14partition_implILS8_4ELb0ES6_15HIP_vector_typeIjLj2EENS0_17counting_iteratorIjlEEPS9_SG_NS0_5tupleIJPjSI_NS0_16reverse_iteratorISI_EEEEENSH_IJSG_SG_SG_EEES9_SI_JZNS1_25segmented_radix_sort_implINS0_14default_configELb1EPKaPaPKlPlN2at6native12_GLOBAL__N_18offset_tEEE10hipError_tPvRmT1_PNSt15iterator_traitsIS12_E10value_typeET2_T3_PNS13_IS18_E10value_typeET4_jRbjT5_S1E_jjP12ihipStream_tbEUljE_ZNSN_ISO_Lb1ESQ_SR_ST_SU_SY_EESZ_S10_S11_S12_S16_S17_S18_S1B_S1C_jS1D_jS1E_S1E_jjS1G_bEUljE0_EEESZ_S10_S11_S18_S1C_S1E_T6_T7_T9_mT8_S1G_bDpT10_ENKUlT_T0_E_clISt17integral_constantIbLb0EES1U_EEDaS1P_S1Q_EUlS1P_E_NS1_11comp_targetILNS1_3genE4ELNS1_11target_archE910ELNS1_3gpuE8ELNS1_3repE0EEENS1_30default_config_static_selectorELNS0_4arch9wavefront6targetE0EEEvS12_.num_named_barrier, 0
	.set _ZN7rocprim17ROCPRIM_400000_NS6detail17trampoline_kernelINS0_13select_configILj256ELj13ELNS0_17block_load_methodE3ELS4_3ELS4_3ELNS0_20block_scan_algorithmE0ELj4294967295EEENS1_25partition_config_selectorILNS1_17partition_subalgoE4EjNS0_10empty_typeEbEEZZNS1_14partition_implILS8_4ELb0ES6_15HIP_vector_typeIjLj2EENS0_17counting_iteratorIjlEEPS9_SG_NS0_5tupleIJPjSI_NS0_16reverse_iteratorISI_EEEEENSH_IJSG_SG_SG_EEES9_SI_JZNS1_25segmented_radix_sort_implINS0_14default_configELb1EPKaPaPKlPlN2at6native12_GLOBAL__N_18offset_tEEE10hipError_tPvRmT1_PNSt15iterator_traitsIS12_E10value_typeET2_T3_PNS13_IS18_E10value_typeET4_jRbjT5_S1E_jjP12ihipStream_tbEUljE_ZNSN_ISO_Lb1ESQ_SR_ST_SU_SY_EESZ_S10_S11_S12_S16_S17_S18_S1B_S1C_jS1D_jS1E_S1E_jjS1G_bEUljE0_EEESZ_S10_S11_S18_S1C_S1E_T6_T7_T9_mT8_S1G_bDpT10_ENKUlT_T0_E_clISt17integral_constantIbLb0EES1U_EEDaS1P_S1Q_EUlS1P_E_NS1_11comp_targetILNS1_3genE4ELNS1_11target_archE910ELNS1_3gpuE8ELNS1_3repE0EEENS1_30default_config_static_selectorELNS0_4arch9wavefront6targetE0EEEvS12_.private_seg_size, 0
	.set _ZN7rocprim17ROCPRIM_400000_NS6detail17trampoline_kernelINS0_13select_configILj256ELj13ELNS0_17block_load_methodE3ELS4_3ELS4_3ELNS0_20block_scan_algorithmE0ELj4294967295EEENS1_25partition_config_selectorILNS1_17partition_subalgoE4EjNS0_10empty_typeEbEEZZNS1_14partition_implILS8_4ELb0ES6_15HIP_vector_typeIjLj2EENS0_17counting_iteratorIjlEEPS9_SG_NS0_5tupleIJPjSI_NS0_16reverse_iteratorISI_EEEEENSH_IJSG_SG_SG_EEES9_SI_JZNS1_25segmented_radix_sort_implINS0_14default_configELb1EPKaPaPKlPlN2at6native12_GLOBAL__N_18offset_tEEE10hipError_tPvRmT1_PNSt15iterator_traitsIS12_E10value_typeET2_T3_PNS13_IS18_E10value_typeET4_jRbjT5_S1E_jjP12ihipStream_tbEUljE_ZNSN_ISO_Lb1ESQ_SR_ST_SU_SY_EESZ_S10_S11_S12_S16_S17_S18_S1B_S1C_jS1D_jS1E_S1E_jjS1G_bEUljE0_EEESZ_S10_S11_S18_S1C_S1E_T6_T7_T9_mT8_S1G_bDpT10_ENKUlT_T0_E_clISt17integral_constantIbLb0EES1U_EEDaS1P_S1Q_EUlS1P_E_NS1_11comp_targetILNS1_3genE4ELNS1_11target_archE910ELNS1_3gpuE8ELNS1_3repE0EEENS1_30default_config_static_selectorELNS0_4arch9wavefront6targetE0EEEvS12_.uses_vcc, 0
	.set _ZN7rocprim17ROCPRIM_400000_NS6detail17trampoline_kernelINS0_13select_configILj256ELj13ELNS0_17block_load_methodE3ELS4_3ELS4_3ELNS0_20block_scan_algorithmE0ELj4294967295EEENS1_25partition_config_selectorILNS1_17partition_subalgoE4EjNS0_10empty_typeEbEEZZNS1_14partition_implILS8_4ELb0ES6_15HIP_vector_typeIjLj2EENS0_17counting_iteratorIjlEEPS9_SG_NS0_5tupleIJPjSI_NS0_16reverse_iteratorISI_EEEEENSH_IJSG_SG_SG_EEES9_SI_JZNS1_25segmented_radix_sort_implINS0_14default_configELb1EPKaPaPKlPlN2at6native12_GLOBAL__N_18offset_tEEE10hipError_tPvRmT1_PNSt15iterator_traitsIS12_E10value_typeET2_T3_PNS13_IS18_E10value_typeET4_jRbjT5_S1E_jjP12ihipStream_tbEUljE_ZNSN_ISO_Lb1ESQ_SR_ST_SU_SY_EESZ_S10_S11_S12_S16_S17_S18_S1B_S1C_jS1D_jS1E_S1E_jjS1G_bEUljE0_EEESZ_S10_S11_S18_S1C_S1E_T6_T7_T9_mT8_S1G_bDpT10_ENKUlT_T0_E_clISt17integral_constantIbLb0EES1U_EEDaS1P_S1Q_EUlS1P_E_NS1_11comp_targetILNS1_3genE4ELNS1_11target_archE910ELNS1_3gpuE8ELNS1_3repE0EEENS1_30default_config_static_selectorELNS0_4arch9wavefront6targetE0EEEvS12_.uses_flat_scratch, 0
	.set _ZN7rocprim17ROCPRIM_400000_NS6detail17trampoline_kernelINS0_13select_configILj256ELj13ELNS0_17block_load_methodE3ELS4_3ELS4_3ELNS0_20block_scan_algorithmE0ELj4294967295EEENS1_25partition_config_selectorILNS1_17partition_subalgoE4EjNS0_10empty_typeEbEEZZNS1_14partition_implILS8_4ELb0ES6_15HIP_vector_typeIjLj2EENS0_17counting_iteratorIjlEEPS9_SG_NS0_5tupleIJPjSI_NS0_16reverse_iteratorISI_EEEEENSH_IJSG_SG_SG_EEES9_SI_JZNS1_25segmented_radix_sort_implINS0_14default_configELb1EPKaPaPKlPlN2at6native12_GLOBAL__N_18offset_tEEE10hipError_tPvRmT1_PNSt15iterator_traitsIS12_E10value_typeET2_T3_PNS13_IS18_E10value_typeET4_jRbjT5_S1E_jjP12ihipStream_tbEUljE_ZNSN_ISO_Lb1ESQ_SR_ST_SU_SY_EESZ_S10_S11_S12_S16_S17_S18_S1B_S1C_jS1D_jS1E_S1E_jjS1G_bEUljE0_EEESZ_S10_S11_S18_S1C_S1E_T6_T7_T9_mT8_S1G_bDpT10_ENKUlT_T0_E_clISt17integral_constantIbLb0EES1U_EEDaS1P_S1Q_EUlS1P_E_NS1_11comp_targetILNS1_3genE4ELNS1_11target_archE910ELNS1_3gpuE8ELNS1_3repE0EEENS1_30default_config_static_selectorELNS0_4arch9wavefront6targetE0EEEvS12_.has_dyn_sized_stack, 0
	.set _ZN7rocprim17ROCPRIM_400000_NS6detail17trampoline_kernelINS0_13select_configILj256ELj13ELNS0_17block_load_methodE3ELS4_3ELS4_3ELNS0_20block_scan_algorithmE0ELj4294967295EEENS1_25partition_config_selectorILNS1_17partition_subalgoE4EjNS0_10empty_typeEbEEZZNS1_14partition_implILS8_4ELb0ES6_15HIP_vector_typeIjLj2EENS0_17counting_iteratorIjlEEPS9_SG_NS0_5tupleIJPjSI_NS0_16reverse_iteratorISI_EEEEENSH_IJSG_SG_SG_EEES9_SI_JZNS1_25segmented_radix_sort_implINS0_14default_configELb1EPKaPaPKlPlN2at6native12_GLOBAL__N_18offset_tEEE10hipError_tPvRmT1_PNSt15iterator_traitsIS12_E10value_typeET2_T3_PNS13_IS18_E10value_typeET4_jRbjT5_S1E_jjP12ihipStream_tbEUljE_ZNSN_ISO_Lb1ESQ_SR_ST_SU_SY_EESZ_S10_S11_S12_S16_S17_S18_S1B_S1C_jS1D_jS1E_S1E_jjS1G_bEUljE0_EEESZ_S10_S11_S18_S1C_S1E_T6_T7_T9_mT8_S1G_bDpT10_ENKUlT_T0_E_clISt17integral_constantIbLb0EES1U_EEDaS1P_S1Q_EUlS1P_E_NS1_11comp_targetILNS1_3genE4ELNS1_11target_archE910ELNS1_3gpuE8ELNS1_3repE0EEENS1_30default_config_static_selectorELNS0_4arch9wavefront6targetE0EEEvS12_.has_recursion, 0
	.set _ZN7rocprim17ROCPRIM_400000_NS6detail17trampoline_kernelINS0_13select_configILj256ELj13ELNS0_17block_load_methodE3ELS4_3ELS4_3ELNS0_20block_scan_algorithmE0ELj4294967295EEENS1_25partition_config_selectorILNS1_17partition_subalgoE4EjNS0_10empty_typeEbEEZZNS1_14partition_implILS8_4ELb0ES6_15HIP_vector_typeIjLj2EENS0_17counting_iteratorIjlEEPS9_SG_NS0_5tupleIJPjSI_NS0_16reverse_iteratorISI_EEEEENSH_IJSG_SG_SG_EEES9_SI_JZNS1_25segmented_radix_sort_implINS0_14default_configELb1EPKaPaPKlPlN2at6native12_GLOBAL__N_18offset_tEEE10hipError_tPvRmT1_PNSt15iterator_traitsIS12_E10value_typeET2_T3_PNS13_IS18_E10value_typeET4_jRbjT5_S1E_jjP12ihipStream_tbEUljE_ZNSN_ISO_Lb1ESQ_SR_ST_SU_SY_EESZ_S10_S11_S12_S16_S17_S18_S1B_S1C_jS1D_jS1E_S1E_jjS1G_bEUljE0_EEESZ_S10_S11_S18_S1C_S1E_T6_T7_T9_mT8_S1G_bDpT10_ENKUlT_T0_E_clISt17integral_constantIbLb0EES1U_EEDaS1P_S1Q_EUlS1P_E_NS1_11comp_targetILNS1_3genE4ELNS1_11target_archE910ELNS1_3gpuE8ELNS1_3repE0EEENS1_30default_config_static_selectorELNS0_4arch9wavefront6targetE0EEEvS12_.has_indirect_call, 0
	.section	.AMDGPU.csdata,"",@progbits
; Kernel info:
; codeLenInByte = 0
; TotalNumSgprs: 0
; NumVgprs: 0
; ScratchSize: 0
; MemoryBound: 0
; FloatMode: 240
; IeeeMode: 1
; LDSByteSize: 0 bytes/workgroup (compile time only)
; SGPRBlocks: 0
; VGPRBlocks: 0
; NumSGPRsForWavesPerEU: 1
; NumVGPRsForWavesPerEU: 1
; Occupancy: 16
; WaveLimiterHint : 0
; COMPUTE_PGM_RSRC2:SCRATCH_EN: 0
; COMPUTE_PGM_RSRC2:USER_SGPR: 6
; COMPUTE_PGM_RSRC2:TRAP_HANDLER: 0
; COMPUTE_PGM_RSRC2:TGID_X_EN: 1
; COMPUTE_PGM_RSRC2:TGID_Y_EN: 0
; COMPUTE_PGM_RSRC2:TGID_Z_EN: 0
; COMPUTE_PGM_RSRC2:TIDIG_COMP_CNT: 0
	.section	.text._ZN7rocprim17ROCPRIM_400000_NS6detail17trampoline_kernelINS0_13select_configILj256ELj13ELNS0_17block_load_methodE3ELS4_3ELS4_3ELNS0_20block_scan_algorithmE0ELj4294967295EEENS1_25partition_config_selectorILNS1_17partition_subalgoE4EjNS0_10empty_typeEbEEZZNS1_14partition_implILS8_4ELb0ES6_15HIP_vector_typeIjLj2EENS0_17counting_iteratorIjlEEPS9_SG_NS0_5tupleIJPjSI_NS0_16reverse_iteratorISI_EEEEENSH_IJSG_SG_SG_EEES9_SI_JZNS1_25segmented_radix_sort_implINS0_14default_configELb1EPKaPaPKlPlN2at6native12_GLOBAL__N_18offset_tEEE10hipError_tPvRmT1_PNSt15iterator_traitsIS12_E10value_typeET2_T3_PNS13_IS18_E10value_typeET4_jRbjT5_S1E_jjP12ihipStream_tbEUljE_ZNSN_ISO_Lb1ESQ_SR_ST_SU_SY_EESZ_S10_S11_S12_S16_S17_S18_S1B_S1C_jS1D_jS1E_S1E_jjS1G_bEUljE0_EEESZ_S10_S11_S18_S1C_S1E_T6_T7_T9_mT8_S1G_bDpT10_ENKUlT_T0_E_clISt17integral_constantIbLb0EES1U_EEDaS1P_S1Q_EUlS1P_E_NS1_11comp_targetILNS1_3genE3ELNS1_11target_archE908ELNS1_3gpuE7ELNS1_3repE0EEENS1_30default_config_static_selectorELNS0_4arch9wavefront6targetE0EEEvS12_,"axG",@progbits,_ZN7rocprim17ROCPRIM_400000_NS6detail17trampoline_kernelINS0_13select_configILj256ELj13ELNS0_17block_load_methodE3ELS4_3ELS4_3ELNS0_20block_scan_algorithmE0ELj4294967295EEENS1_25partition_config_selectorILNS1_17partition_subalgoE4EjNS0_10empty_typeEbEEZZNS1_14partition_implILS8_4ELb0ES6_15HIP_vector_typeIjLj2EENS0_17counting_iteratorIjlEEPS9_SG_NS0_5tupleIJPjSI_NS0_16reverse_iteratorISI_EEEEENSH_IJSG_SG_SG_EEES9_SI_JZNS1_25segmented_radix_sort_implINS0_14default_configELb1EPKaPaPKlPlN2at6native12_GLOBAL__N_18offset_tEEE10hipError_tPvRmT1_PNSt15iterator_traitsIS12_E10value_typeET2_T3_PNS13_IS18_E10value_typeET4_jRbjT5_S1E_jjP12ihipStream_tbEUljE_ZNSN_ISO_Lb1ESQ_SR_ST_SU_SY_EESZ_S10_S11_S12_S16_S17_S18_S1B_S1C_jS1D_jS1E_S1E_jjS1G_bEUljE0_EEESZ_S10_S11_S18_S1C_S1E_T6_T7_T9_mT8_S1G_bDpT10_ENKUlT_T0_E_clISt17integral_constantIbLb0EES1U_EEDaS1P_S1Q_EUlS1P_E_NS1_11comp_targetILNS1_3genE3ELNS1_11target_archE908ELNS1_3gpuE7ELNS1_3repE0EEENS1_30default_config_static_selectorELNS0_4arch9wavefront6targetE0EEEvS12_,comdat
	.globl	_ZN7rocprim17ROCPRIM_400000_NS6detail17trampoline_kernelINS0_13select_configILj256ELj13ELNS0_17block_load_methodE3ELS4_3ELS4_3ELNS0_20block_scan_algorithmE0ELj4294967295EEENS1_25partition_config_selectorILNS1_17partition_subalgoE4EjNS0_10empty_typeEbEEZZNS1_14partition_implILS8_4ELb0ES6_15HIP_vector_typeIjLj2EENS0_17counting_iteratorIjlEEPS9_SG_NS0_5tupleIJPjSI_NS0_16reverse_iteratorISI_EEEEENSH_IJSG_SG_SG_EEES9_SI_JZNS1_25segmented_radix_sort_implINS0_14default_configELb1EPKaPaPKlPlN2at6native12_GLOBAL__N_18offset_tEEE10hipError_tPvRmT1_PNSt15iterator_traitsIS12_E10value_typeET2_T3_PNS13_IS18_E10value_typeET4_jRbjT5_S1E_jjP12ihipStream_tbEUljE_ZNSN_ISO_Lb1ESQ_SR_ST_SU_SY_EESZ_S10_S11_S12_S16_S17_S18_S1B_S1C_jS1D_jS1E_S1E_jjS1G_bEUljE0_EEESZ_S10_S11_S18_S1C_S1E_T6_T7_T9_mT8_S1G_bDpT10_ENKUlT_T0_E_clISt17integral_constantIbLb0EES1U_EEDaS1P_S1Q_EUlS1P_E_NS1_11comp_targetILNS1_3genE3ELNS1_11target_archE908ELNS1_3gpuE7ELNS1_3repE0EEENS1_30default_config_static_selectorELNS0_4arch9wavefront6targetE0EEEvS12_ ; -- Begin function _ZN7rocprim17ROCPRIM_400000_NS6detail17trampoline_kernelINS0_13select_configILj256ELj13ELNS0_17block_load_methodE3ELS4_3ELS4_3ELNS0_20block_scan_algorithmE0ELj4294967295EEENS1_25partition_config_selectorILNS1_17partition_subalgoE4EjNS0_10empty_typeEbEEZZNS1_14partition_implILS8_4ELb0ES6_15HIP_vector_typeIjLj2EENS0_17counting_iteratorIjlEEPS9_SG_NS0_5tupleIJPjSI_NS0_16reverse_iteratorISI_EEEEENSH_IJSG_SG_SG_EEES9_SI_JZNS1_25segmented_radix_sort_implINS0_14default_configELb1EPKaPaPKlPlN2at6native12_GLOBAL__N_18offset_tEEE10hipError_tPvRmT1_PNSt15iterator_traitsIS12_E10value_typeET2_T3_PNS13_IS18_E10value_typeET4_jRbjT5_S1E_jjP12ihipStream_tbEUljE_ZNSN_ISO_Lb1ESQ_SR_ST_SU_SY_EESZ_S10_S11_S12_S16_S17_S18_S1B_S1C_jS1D_jS1E_S1E_jjS1G_bEUljE0_EEESZ_S10_S11_S18_S1C_S1E_T6_T7_T9_mT8_S1G_bDpT10_ENKUlT_T0_E_clISt17integral_constantIbLb0EES1U_EEDaS1P_S1Q_EUlS1P_E_NS1_11comp_targetILNS1_3genE3ELNS1_11target_archE908ELNS1_3gpuE7ELNS1_3repE0EEENS1_30default_config_static_selectorELNS0_4arch9wavefront6targetE0EEEvS12_
	.p2align	8
	.type	_ZN7rocprim17ROCPRIM_400000_NS6detail17trampoline_kernelINS0_13select_configILj256ELj13ELNS0_17block_load_methodE3ELS4_3ELS4_3ELNS0_20block_scan_algorithmE0ELj4294967295EEENS1_25partition_config_selectorILNS1_17partition_subalgoE4EjNS0_10empty_typeEbEEZZNS1_14partition_implILS8_4ELb0ES6_15HIP_vector_typeIjLj2EENS0_17counting_iteratorIjlEEPS9_SG_NS0_5tupleIJPjSI_NS0_16reverse_iteratorISI_EEEEENSH_IJSG_SG_SG_EEES9_SI_JZNS1_25segmented_radix_sort_implINS0_14default_configELb1EPKaPaPKlPlN2at6native12_GLOBAL__N_18offset_tEEE10hipError_tPvRmT1_PNSt15iterator_traitsIS12_E10value_typeET2_T3_PNS13_IS18_E10value_typeET4_jRbjT5_S1E_jjP12ihipStream_tbEUljE_ZNSN_ISO_Lb1ESQ_SR_ST_SU_SY_EESZ_S10_S11_S12_S16_S17_S18_S1B_S1C_jS1D_jS1E_S1E_jjS1G_bEUljE0_EEESZ_S10_S11_S18_S1C_S1E_T6_T7_T9_mT8_S1G_bDpT10_ENKUlT_T0_E_clISt17integral_constantIbLb0EES1U_EEDaS1P_S1Q_EUlS1P_E_NS1_11comp_targetILNS1_3genE3ELNS1_11target_archE908ELNS1_3gpuE7ELNS1_3repE0EEENS1_30default_config_static_selectorELNS0_4arch9wavefront6targetE0EEEvS12_,@function
_ZN7rocprim17ROCPRIM_400000_NS6detail17trampoline_kernelINS0_13select_configILj256ELj13ELNS0_17block_load_methodE3ELS4_3ELS4_3ELNS0_20block_scan_algorithmE0ELj4294967295EEENS1_25partition_config_selectorILNS1_17partition_subalgoE4EjNS0_10empty_typeEbEEZZNS1_14partition_implILS8_4ELb0ES6_15HIP_vector_typeIjLj2EENS0_17counting_iteratorIjlEEPS9_SG_NS0_5tupleIJPjSI_NS0_16reverse_iteratorISI_EEEEENSH_IJSG_SG_SG_EEES9_SI_JZNS1_25segmented_radix_sort_implINS0_14default_configELb1EPKaPaPKlPlN2at6native12_GLOBAL__N_18offset_tEEE10hipError_tPvRmT1_PNSt15iterator_traitsIS12_E10value_typeET2_T3_PNS13_IS18_E10value_typeET4_jRbjT5_S1E_jjP12ihipStream_tbEUljE_ZNSN_ISO_Lb1ESQ_SR_ST_SU_SY_EESZ_S10_S11_S12_S16_S17_S18_S1B_S1C_jS1D_jS1E_S1E_jjS1G_bEUljE0_EEESZ_S10_S11_S18_S1C_S1E_T6_T7_T9_mT8_S1G_bDpT10_ENKUlT_T0_E_clISt17integral_constantIbLb0EES1U_EEDaS1P_S1Q_EUlS1P_E_NS1_11comp_targetILNS1_3genE3ELNS1_11target_archE908ELNS1_3gpuE7ELNS1_3repE0EEENS1_30default_config_static_selectorELNS0_4arch9wavefront6targetE0EEEvS12_: ; @_ZN7rocprim17ROCPRIM_400000_NS6detail17trampoline_kernelINS0_13select_configILj256ELj13ELNS0_17block_load_methodE3ELS4_3ELS4_3ELNS0_20block_scan_algorithmE0ELj4294967295EEENS1_25partition_config_selectorILNS1_17partition_subalgoE4EjNS0_10empty_typeEbEEZZNS1_14partition_implILS8_4ELb0ES6_15HIP_vector_typeIjLj2EENS0_17counting_iteratorIjlEEPS9_SG_NS0_5tupleIJPjSI_NS0_16reverse_iteratorISI_EEEEENSH_IJSG_SG_SG_EEES9_SI_JZNS1_25segmented_radix_sort_implINS0_14default_configELb1EPKaPaPKlPlN2at6native12_GLOBAL__N_18offset_tEEE10hipError_tPvRmT1_PNSt15iterator_traitsIS12_E10value_typeET2_T3_PNS13_IS18_E10value_typeET4_jRbjT5_S1E_jjP12ihipStream_tbEUljE_ZNSN_ISO_Lb1ESQ_SR_ST_SU_SY_EESZ_S10_S11_S12_S16_S17_S18_S1B_S1C_jS1D_jS1E_S1E_jjS1G_bEUljE0_EEESZ_S10_S11_S18_S1C_S1E_T6_T7_T9_mT8_S1G_bDpT10_ENKUlT_T0_E_clISt17integral_constantIbLb0EES1U_EEDaS1P_S1Q_EUlS1P_E_NS1_11comp_targetILNS1_3genE3ELNS1_11target_archE908ELNS1_3gpuE7ELNS1_3repE0EEENS1_30default_config_static_selectorELNS0_4arch9wavefront6targetE0EEEvS12_
; %bb.0:
	.section	.rodata,"a",@progbits
	.p2align	6, 0x0
	.amdhsa_kernel _ZN7rocprim17ROCPRIM_400000_NS6detail17trampoline_kernelINS0_13select_configILj256ELj13ELNS0_17block_load_methodE3ELS4_3ELS4_3ELNS0_20block_scan_algorithmE0ELj4294967295EEENS1_25partition_config_selectorILNS1_17partition_subalgoE4EjNS0_10empty_typeEbEEZZNS1_14partition_implILS8_4ELb0ES6_15HIP_vector_typeIjLj2EENS0_17counting_iteratorIjlEEPS9_SG_NS0_5tupleIJPjSI_NS0_16reverse_iteratorISI_EEEEENSH_IJSG_SG_SG_EEES9_SI_JZNS1_25segmented_radix_sort_implINS0_14default_configELb1EPKaPaPKlPlN2at6native12_GLOBAL__N_18offset_tEEE10hipError_tPvRmT1_PNSt15iterator_traitsIS12_E10value_typeET2_T3_PNS13_IS18_E10value_typeET4_jRbjT5_S1E_jjP12ihipStream_tbEUljE_ZNSN_ISO_Lb1ESQ_SR_ST_SU_SY_EESZ_S10_S11_S12_S16_S17_S18_S1B_S1C_jS1D_jS1E_S1E_jjS1G_bEUljE0_EEESZ_S10_S11_S18_S1C_S1E_T6_T7_T9_mT8_S1G_bDpT10_ENKUlT_T0_E_clISt17integral_constantIbLb0EES1U_EEDaS1P_S1Q_EUlS1P_E_NS1_11comp_targetILNS1_3genE3ELNS1_11target_archE908ELNS1_3gpuE7ELNS1_3repE0EEENS1_30default_config_static_selectorELNS0_4arch9wavefront6targetE0EEEvS12_
		.amdhsa_group_segment_fixed_size 0
		.amdhsa_private_segment_fixed_size 0
		.amdhsa_kernarg_size 176
		.amdhsa_user_sgpr_count 6
		.amdhsa_user_sgpr_private_segment_buffer 1
		.amdhsa_user_sgpr_dispatch_ptr 0
		.amdhsa_user_sgpr_queue_ptr 0
		.amdhsa_user_sgpr_kernarg_segment_ptr 1
		.amdhsa_user_sgpr_dispatch_id 0
		.amdhsa_user_sgpr_flat_scratch_init 0
		.amdhsa_user_sgpr_private_segment_size 0
		.amdhsa_wavefront_size32 1
		.amdhsa_uses_dynamic_stack 0
		.amdhsa_system_sgpr_private_segment_wavefront_offset 0
		.amdhsa_system_sgpr_workgroup_id_x 1
		.amdhsa_system_sgpr_workgroup_id_y 0
		.amdhsa_system_sgpr_workgroup_id_z 0
		.amdhsa_system_sgpr_workgroup_info 0
		.amdhsa_system_vgpr_workitem_id 0
		.amdhsa_next_free_vgpr 1
		.amdhsa_next_free_sgpr 1
		.amdhsa_reserve_vcc 0
		.amdhsa_reserve_flat_scratch 0
		.amdhsa_float_round_mode_32 0
		.amdhsa_float_round_mode_16_64 0
		.amdhsa_float_denorm_mode_32 3
		.amdhsa_float_denorm_mode_16_64 3
		.amdhsa_dx10_clamp 1
		.amdhsa_ieee_mode 1
		.amdhsa_fp16_overflow 0
		.amdhsa_workgroup_processor_mode 1
		.amdhsa_memory_ordered 1
		.amdhsa_forward_progress 1
		.amdhsa_shared_vgpr_count 0
		.amdhsa_exception_fp_ieee_invalid_op 0
		.amdhsa_exception_fp_denorm_src 0
		.amdhsa_exception_fp_ieee_div_zero 0
		.amdhsa_exception_fp_ieee_overflow 0
		.amdhsa_exception_fp_ieee_underflow 0
		.amdhsa_exception_fp_ieee_inexact 0
		.amdhsa_exception_int_div_zero 0
	.end_amdhsa_kernel
	.section	.text._ZN7rocprim17ROCPRIM_400000_NS6detail17trampoline_kernelINS0_13select_configILj256ELj13ELNS0_17block_load_methodE3ELS4_3ELS4_3ELNS0_20block_scan_algorithmE0ELj4294967295EEENS1_25partition_config_selectorILNS1_17partition_subalgoE4EjNS0_10empty_typeEbEEZZNS1_14partition_implILS8_4ELb0ES6_15HIP_vector_typeIjLj2EENS0_17counting_iteratorIjlEEPS9_SG_NS0_5tupleIJPjSI_NS0_16reverse_iteratorISI_EEEEENSH_IJSG_SG_SG_EEES9_SI_JZNS1_25segmented_radix_sort_implINS0_14default_configELb1EPKaPaPKlPlN2at6native12_GLOBAL__N_18offset_tEEE10hipError_tPvRmT1_PNSt15iterator_traitsIS12_E10value_typeET2_T3_PNS13_IS18_E10value_typeET4_jRbjT5_S1E_jjP12ihipStream_tbEUljE_ZNSN_ISO_Lb1ESQ_SR_ST_SU_SY_EESZ_S10_S11_S12_S16_S17_S18_S1B_S1C_jS1D_jS1E_S1E_jjS1G_bEUljE0_EEESZ_S10_S11_S18_S1C_S1E_T6_T7_T9_mT8_S1G_bDpT10_ENKUlT_T0_E_clISt17integral_constantIbLb0EES1U_EEDaS1P_S1Q_EUlS1P_E_NS1_11comp_targetILNS1_3genE3ELNS1_11target_archE908ELNS1_3gpuE7ELNS1_3repE0EEENS1_30default_config_static_selectorELNS0_4arch9wavefront6targetE0EEEvS12_,"axG",@progbits,_ZN7rocprim17ROCPRIM_400000_NS6detail17trampoline_kernelINS0_13select_configILj256ELj13ELNS0_17block_load_methodE3ELS4_3ELS4_3ELNS0_20block_scan_algorithmE0ELj4294967295EEENS1_25partition_config_selectorILNS1_17partition_subalgoE4EjNS0_10empty_typeEbEEZZNS1_14partition_implILS8_4ELb0ES6_15HIP_vector_typeIjLj2EENS0_17counting_iteratorIjlEEPS9_SG_NS0_5tupleIJPjSI_NS0_16reverse_iteratorISI_EEEEENSH_IJSG_SG_SG_EEES9_SI_JZNS1_25segmented_radix_sort_implINS0_14default_configELb1EPKaPaPKlPlN2at6native12_GLOBAL__N_18offset_tEEE10hipError_tPvRmT1_PNSt15iterator_traitsIS12_E10value_typeET2_T3_PNS13_IS18_E10value_typeET4_jRbjT5_S1E_jjP12ihipStream_tbEUljE_ZNSN_ISO_Lb1ESQ_SR_ST_SU_SY_EESZ_S10_S11_S12_S16_S17_S18_S1B_S1C_jS1D_jS1E_S1E_jjS1G_bEUljE0_EEESZ_S10_S11_S18_S1C_S1E_T6_T7_T9_mT8_S1G_bDpT10_ENKUlT_T0_E_clISt17integral_constantIbLb0EES1U_EEDaS1P_S1Q_EUlS1P_E_NS1_11comp_targetILNS1_3genE3ELNS1_11target_archE908ELNS1_3gpuE7ELNS1_3repE0EEENS1_30default_config_static_selectorELNS0_4arch9wavefront6targetE0EEEvS12_,comdat
.Lfunc_end227:
	.size	_ZN7rocprim17ROCPRIM_400000_NS6detail17trampoline_kernelINS0_13select_configILj256ELj13ELNS0_17block_load_methodE3ELS4_3ELS4_3ELNS0_20block_scan_algorithmE0ELj4294967295EEENS1_25partition_config_selectorILNS1_17partition_subalgoE4EjNS0_10empty_typeEbEEZZNS1_14partition_implILS8_4ELb0ES6_15HIP_vector_typeIjLj2EENS0_17counting_iteratorIjlEEPS9_SG_NS0_5tupleIJPjSI_NS0_16reverse_iteratorISI_EEEEENSH_IJSG_SG_SG_EEES9_SI_JZNS1_25segmented_radix_sort_implINS0_14default_configELb1EPKaPaPKlPlN2at6native12_GLOBAL__N_18offset_tEEE10hipError_tPvRmT1_PNSt15iterator_traitsIS12_E10value_typeET2_T3_PNS13_IS18_E10value_typeET4_jRbjT5_S1E_jjP12ihipStream_tbEUljE_ZNSN_ISO_Lb1ESQ_SR_ST_SU_SY_EESZ_S10_S11_S12_S16_S17_S18_S1B_S1C_jS1D_jS1E_S1E_jjS1G_bEUljE0_EEESZ_S10_S11_S18_S1C_S1E_T6_T7_T9_mT8_S1G_bDpT10_ENKUlT_T0_E_clISt17integral_constantIbLb0EES1U_EEDaS1P_S1Q_EUlS1P_E_NS1_11comp_targetILNS1_3genE3ELNS1_11target_archE908ELNS1_3gpuE7ELNS1_3repE0EEENS1_30default_config_static_selectorELNS0_4arch9wavefront6targetE0EEEvS12_, .Lfunc_end227-_ZN7rocprim17ROCPRIM_400000_NS6detail17trampoline_kernelINS0_13select_configILj256ELj13ELNS0_17block_load_methodE3ELS4_3ELS4_3ELNS0_20block_scan_algorithmE0ELj4294967295EEENS1_25partition_config_selectorILNS1_17partition_subalgoE4EjNS0_10empty_typeEbEEZZNS1_14partition_implILS8_4ELb0ES6_15HIP_vector_typeIjLj2EENS0_17counting_iteratorIjlEEPS9_SG_NS0_5tupleIJPjSI_NS0_16reverse_iteratorISI_EEEEENSH_IJSG_SG_SG_EEES9_SI_JZNS1_25segmented_radix_sort_implINS0_14default_configELb1EPKaPaPKlPlN2at6native12_GLOBAL__N_18offset_tEEE10hipError_tPvRmT1_PNSt15iterator_traitsIS12_E10value_typeET2_T3_PNS13_IS18_E10value_typeET4_jRbjT5_S1E_jjP12ihipStream_tbEUljE_ZNSN_ISO_Lb1ESQ_SR_ST_SU_SY_EESZ_S10_S11_S12_S16_S17_S18_S1B_S1C_jS1D_jS1E_S1E_jjS1G_bEUljE0_EEESZ_S10_S11_S18_S1C_S1E_T6_T7_T9_mT8_S1G_bDpT10_ENKUlT_T0_E_clISt17integral_constantIbLb0EES1U_EEDaS1P_S1Q_EUlS1P_E_NS1_11comp_targetILNS1_3genE3ELNS1_11target_archE908ELNS1_3gpuE7ELNS1_3repE0EEENS1_30default_config_static_selectorELNS0_4arch9wavefront6targetE0EEEvS12_
                                        ; -- End function
	.set _ZN7rocprim17ROCPRIM_400000_NS6detail17trampoline_kernelINS0_13select_configILj256ELj13ELNS0_17block_load_methodE3ELS4_3ELS4_3ELNS0_20block_scan_algorithmE0ELj4294967295EEENS1_25partition_config_selectorILNS1_17partition_subalgoE4EjNS0_10empty_typeEbEEZZNS1_14partition_implILS8_4ELb0ES6_15HIP_vector_typeIjLj2EENS0_17counting_iteratorIjlEEPS9_SG_NS0_5tupleIJPjSI_NS0_16reverse_iteratorISI_EEEEENSH_IJSG_SG_SG_EEES9_SI_JZNS1_25segmented_radix_sort_implINS0_14default_configELb1EPKaPaPKlPlN2at6native12_GLOBAL__N_18offset_tEEE10hipError_tPvRmT1_PNSt15iterator_traitsIS12_E10value_typeET2_T3_PNS13_IS18_E10value_typeET4_jRbjT5_S1E_jjP12ihipStream_tbEUljE_ZNSN_ISO_Lb1ESQ_SR_ST_SU_SY_EESZ_S10_S11_S12_S16_S17_S18_S1B_S1C_jS1D_jS1E_S1E_jjS1G_bEUljE0_EEESZ_S10_S11_S18_S1C_S1E_T6_T7_T9_mT8_S1G_bDpT10_ENKUlT_T0_E_clISt17integral_constantIbLb0EES1U_EEDaS1P_S1Q_EUlS1P_E_NS1_11comp_targetILNS1_3genE3ELNS1_11target_archE908ELNS1_3gpuE7ELNS1_3repE0EEENS1_30default_config_static_selectorELNS0_4arch9wavefront6targetE0EEEvS12_.num_vgpr, 0
	.set _ZN7rocprim17ROCPRIM_400000_NS6detail17trampoline_kernelINS0_13select_configILj256ELj13ELNS0_17block_load_methodE3ELS4_3ELS4_3ELNS0_20block_scan_algorithmE0ELj4294967295EEENS1_25partition_config_selectorILNS1_17partition_subalgoE4EjNS0_10empty_typeEbEEZZNS1_14partition_implILS8_4ELb0ES6_15HIP_vector_typeIjLj2EENS0_17counting_iteratorIjlEEPS9_SG_NS0_5tupleIJPjSI_NS0_16reverse_iteratorISI_EEEEENSH_IJSG_SG_SG_EEES9_SI_JZNS1_25segmented_radix_sort_implINS0_14default_configELb1EPKaPaPKlPlN2at6native12_GLOBAL__N_18offset_tEEE10hipError_tPvRmT1_PNSt15iterator_traitsIS12_E10value_typeET2_T3_PNS13_IS18_E10value_typeET4_jRbjT5_S1E_jjP12ihipStream_tbEUljE_ZNSN_ISO_Lb1ESQ_SR_ST_SU_SY_EESZ_S10_S11_S12_S16_S17_S18_S1B_S1C_jS1D_jS1E_S1E_jjS1G_bEUljE0_EEESZ_S10_S11_S18_S1C_S1E_T6_T7_T9_mT8_S1G_bDpT10_ENKUlT_T0_E_clISt17integral_constantIbLb0EES1U_EEDaS1P_S1Q_EUlS1P_E_NS1_11comp_targetILNS1_3genE3ELNS1_11target_archE908ELNS1_3gpuE7ELNS1_3repE0EEENS1_30default_config_static_selectorELNS0_4arch9wavefront6targetE0EEEvS12_.num_agpr, 0
	.set _ZN7rocprim17ROCPRIM_400000_NS6detail17trampoline_kernelINS0_13select_configILj256ELj13ELNS0_17block_load_methodE3ELS4_3ELS4_3ELNS0_20block_scan_algorithmE0ELj4294967295EEENS1_25partition_config_selectorILNS1_17partition_subalgoE4EjNS0_10empty_typeEbEEZZNS1_14partition_implILS8_4ELb0ES6_15HIP_vector_typeIjLj2EENS0_17counting_iteratorIjlEEPS9_SG_NS0_5tupleIJPjSI_NS0_16reverse_iteratorISI_EEEEENSH_IJSG_SG_SG_EEES9_SI_JZNS1_25segmented_radix_sort_implINS0_14default_configELb1EPKaPaPKlPlN2at6native12_GLOBAL__N_18offset_tEEE10hipError_tPvRmT1_PNSt15iterator_traitsIS12_E10value_typeET2_T3_PNS13_IS18_E10value_typeET4_jRbjT5_S1E_jjP12ihipStream_tbEUljE_ZNSN_ISO_Lb1ESQ_SR_ST_SU_SY_EESZ_S10_S11_S12_S16_S17_S18_S1B_S1C_jS1D_jS1E_S1E_jjS1G_bEUljE0_EEESZ_S10_S11_S18_S1C_S1E_T6_T7_T9_mT8_S1G_bDpT10_ENKUlT_T0_E_clISt17integral_constantIbLb0EES1U_EEDaS1P_S1Q_EUlS1P_E_NS1_11comp_targetILNS1_3genE3ELNS1_11target_archE908ELNS1_3gpuE7ELNS1_3repE0EEENS1_30default_config_static_selectorELNS0_4arch9wavefront6targetE0EEEvS12_.numbered_sgpr, 0
	.set _ZN7rocprim17ROCPRIM_400000_NS6detail17trampoline_kernelINS0_13select_configILj256ELj13ELNS0_17block_load_methodE3ELS4_3ELS4_3ELNS0_20block_scan_algorithmE0ELj4294967295EEENS1_25partition_config_selectorILNS1_17partition_subalgoE4EjNS0_10empty_typeEbEEZZNS1_14partition_implILS8_4ELb0ES6_15HIP_vector_typeIjLj2EENS0_17counting_iteratorIjlEEPS9_SG_NS0_5tupleIJPjSI_NS0_16reverse_iteratorISI_EEEEENSH_IJSG_SG_SG_EEES9_SI_JZNS1_25segmented_radix_sort_implINS0_14default_configELb1EPKaPaPKlPlN2at6native12_GLOBAL__N_18offset_tEEE10hipError_tPvRmT1_PNSt15iterator_traitsIS12_E10value_typeET2_T3_PNS13_IS18_E10value_typeET4_jRbjT5_S1E_jjP12ihipStream_tbEUljE_ZNSN_ISO_Lb1ESQ_SR_ST_SU_SY_EESZ_S10_S11_S12_S16_S17_S18_S1B_S1C_jS1D_jS1E_S1E_jjS1G_bEUljE0_EEESZ_S10_S11_S18_S1C_S1E_T6_T7_T9_mT8_S1G_bDpT10_ENKUlT_T0_E_clISt17integral_constantIbLb0EES1U_EEDaS1P_S1Q_EUlS1P_E_NS1_11comp_targetILNS1_3genE3ELNS1_11target_archE908ELNS1_3gpuE7ELNS1_3repE0EEENS1_30default_config_static_selectorELNS0_4arch9wavefront6targetE0EEEvS12_.num_named_barrier, 0
	.set _ZN7rocprim17ROCPRIM_400000_NS6detail17trampoline_kernelINS0_13select_configILj256ELj13ELNS0_17block_load_methodE3ELS4_3ELS4_3ELNS0_20block_scan_algorithmE0ELj4294967295EEENS1_25partition_config_selectorILNS1_17partition_subalgoE4EjNS0_10empty_typeEbEEZZNS1_14partition_implILS8_4ELb0ES6_15HIP_vector_typeIjLj2EENS0_17counting_iteratorIjlEEPS9_SG_NS0_5tupleIJPjSI_NS0_16reverse_iteratorISI_EEEEENSH_IJSG_SG_SG_EEES9_SI_JZNS1_25segmented_radix_sort_implINS0_14default_configELb1EPKaPaPKlPlN2at6native12_GLOBAL__N_18offset_tEEE10hipError_tPvRmT1_PNSt15iterator_traitsIS12_E10value_typeET2_T3_PNS13_IS18_E10value_typeET4_jRbjT5_S1E_jjP12ihipStream_tbEUljE_ZNSN_ISO_Lb1ESQ_SR_ST_SU_SY_EESZ_S10_S11_S12_S16_S17_S18_S1B_S1C_jS1D_jS1E_S1E_jjS1G_bEUljE0_EEESZ_S10_S11_S18_S1C_S1E_T6_T7_T9_mT8_S1G_bDpT10_ENKUlT_T0_E_clISt17integral_constantIbLb0EES1U_EEDaS1P_S1Q_EUlS1P_E_NS1_11comp_targetILNS1_3genE3ELNS1_11target_archE908ELNS1_3gpuE7ELNS1_3repE0EEENS1_30default_config_static_selectorELNS0_4arch9wavefront6targetE0EEEvS12_.private_seg_size, 0
	.set _ZN7rocprim17ROCPRIM_400000_NS6detail17trampoline_kernelINS0_13select_configILj256ELj13ELNS0_17block_load_methodE3ELS4_3ELS4_3ELNS0_20block_scan_algorithmE0ELj4294967295EEENS1_25partition_config_selectorILNS1_17partition_subalgoE4EjNS0_10empty_typeEbEEZZNS1_14partition_implILS8_4ELb0ES6_15HIP_vector_typeIjLj2EENS0_17counting_iteratorIjlEEPS9_SG_NS0_5tupleIJPjSI_NS0_16reverse_iteratorISI_EEEEENSH_IJSG_SG_SG_EEES9_SI_JZNS1_25segmented_radix_sort_implINS0_14default_configELb1EPKaPaPKlPlN2at6native12_GLOBAL__N_18offset_tEEE10hipError_tPvRmT1_PNSt15iterator_traitsIS12_E10value_typeET2_T3_PNS13_IS18_E10value_typeET4_jRbjT5_S1E_jjP12ihipStream_tbEUljE_ZNSN_ISO_Lb1ESQ_SR_ST_SU_SY_EESZ_S10_S11_S12_S16_S17_S18_S1B_S1C_jS1D_jS1E_S1E_jjS1G_bEUljE0_EEESZ_S10_S11_S18_S1C_S1E_T6_T7_T9_mT8_S1G_bDpT10_ENKUlT_T0_E_clISt17integral_constantIbLb0EES1U_EEDaS1P_S1Q_EUlS1P_E_NS1_11comp_targetILNS1_3genE3ELNS1_11target_archE908ELNS1_3gpuE7ELNS1_3repE0EEENS1_30default_config_static_selectorELNS0_4arch9wavefront6targetE0EEEvS12_.uses_vcc, 0
	.set _ZN7rocprim17ROCPRIM_400000_NS6detail17trampoline_kernelINS0_13select_configILj256ELj13ELNS0_17block_load_methodE3ELS4_3ELS4_3ELNS0_20block_scan_algorithmE0ELj4294967295EEENS1_25partition_config_selectorILNS1_17partition_subalgoE4EjNS0_10empty_typeEbEEZZNS1_14partition_implILS8_4ELb0ES6_15HIP_vector_typeIjLj2EENS0_17counting_iteratorIjlEEPS9_SG_NS0_5tupleIJPjSI_NS0_16reverse_iteratorISI_EEEEENSH_IJSG_SG_SG_EEES9_SI_JZNS1_25segmented_radix_sort_implINS0_14default_configELb1EPKaPaPKlPlN2at6native12_GLOBAL__N_18offset_tEEE10hipError_tPvRmT1_PNSt15iterator_traitsIS12_E10value_typeET2_T3_PNS13_IS18_E10value_typeET4_jRbjT5_S1E_jjP12ihipStream_tbEUljE_ZNSN_ISO_Lb1ESQ_SR_ST_SU_SY_EESZ_S10_S11_S12_S16_S17_S18_S1B_S1C_jS1D_jS1E_S1E_jjS1G_bEUljE0_EEESZ_S10_S11_S18_S1C_S1E_T6_T7_T9_mT8_S1G_bDpT10_ENKUlT_T0_E_clISt17integral_constantIbLb0EES1U_EEDaS1P_S1Q_EUlS1P_E_NS1_11comp_targetILNS1_3genE3ELNS1_11target_archE908ELNS1_3gpuE7ELNS1_3repE0EEENS1_30default_config_static_selectorELNS0_4arch9wavefront6targetE0EEEvS12_.uses_flat_scratch, 0
	.set _ZN7rocprim17ROCPRIM_400000_NS6detail17trampoline_kernelINS0_13select_configILj256ELj13ELNS0_17block_load_methodE3ELS4_3ELS4_3ELNS0_20block_scan_algorithmE0ELj4294967295EEENS1_25partition_config_selectorILNS1_17partition_subalgoE4EjNS0_10empty_typeEbEEZZNS1_14partition_implILS8_4ELb0ES6_15HIP_vector_typeIjLj2EENS0_17counting_iteratorIjlEEPS9_SG_NS0_5tupleIJPjSI_NS0_16reverse_iteratorISI_EEEEENSH_IJSG_SG_SG_EEES9_SI_JZNS1_25segmented_radix_sort_implINS0_14default_configELb1EPKaPaPKlPlN2at6native12_GLOBAL__N_18offset_tEEE10hipError_tPvRmT1_PNSt15iterator_traitsIS12_E10value_typeET2_T3_PNS13_IS18_E10value_typeET4_jRbjT5_S1E_jjP12ihipStream_tbEUljE_ZNSN_ISO_Lb1ESQ_SR_ST_SU_SY_EESZ_S10_S11_S12_S16_S17_S18_S1B_S1C_jS1D_jS1E_S1E_jjS1G_bEUljE0_EEESZ_S10_S11_S18_S1C_S1E_T6_T7_T9_mT8_S1G_bDpT10_ENKUlT_T0_E_clISt17integral_constantIbLb0EES1U_EEDaS1P_S1Q_EUlS1P_E_NS1_11comp_targetILNS1_3genE3ELNS1_11target_archE908ELNS1_3gpuE7ELNS1_3repE0EEENS1_30default_config_static_selectorELNS0_4arch9wavefront6targetE0EEEvS12_.has_dyn_sized_stack, 0
	.set _ZN7rocprim17ROCPRIM_400000_NS6detail17trampoline_kernelINS0_13select_configILj256ELj13ELNS0_17block_load_methodE3ELS4_3ELS4_3ELNS0_20block_scan_algorithmE0ELj4294967295EEENS1_25partition_config_selectorILNS1_17partition_subalgoE4EjNS0_10empty_typeEbEEZZNS1_14partition_implILS8_4ELb0ES6_15HIP_vector_typeIjLj2EENS0_17counting_iteratorIjlEEPS9_SG_NS0_5tupleIJPjSI_NS0_16reverse_iteratorISI_EEEEENSH_IJSG_SG_SG_EEES9_SI_JZNS1_25segmented_radix_sort_implINS0_14default_configELb1EPKaPaPKlPlN2at6native12_GLOBAL__N_18offset_tEEE10hipError_tPvRmT1_PNSt15iterator_traitsIS12_E10value_typeET2_T3_PNS13_IS18_E10value_typeET4_jRbjT5_S1E_jjP12ihipStream_tbEUljE_ZNSN_ISO_Lb1ESQ_SR_ST_SU_SY_EESZ_S10_S11_S12_S16_S17_S18_S1B_S1C_jS1D_jS1E_S1E_jjS1G_bEUljE0_EEESZ_S10_S11_S18_S1C_S1E_T6_T7_T9_mT8_S1G_bDpT10_ENKUlT_T0_E_clISt17integral_constantIbLb0EES1U_EEDaS1P_S1Q_EUlS1P_E_NS1_11comp_targetILNS1_3genE3ELNS1_11target_archE908ELNS1_3gpuE7ELNS1_3repE0EEENS1_30default_config_static_selectorELNS0_4arch9wavefront6targetE0EEEvS12_.has_recursion, 0
	.set _ZN7rocprim17ROCPRIM_400000_NS6detail17trampoline_kernelINS0_13select_configILj256ELj13ELNS0_17block_load_methodE3ELS4_3ELS4_3ELNS0_20block_scan_algorithmE0ELj4294967295EEENS1_25partition_config_selectorILNS1_17partition_subalgoE4EjNS0_10empty_typeEbEEZZNS1_14partition_implILS8_4ELb0ES6_15HIP_vector_typeIjLj2EENS0_17counting_iteratorIjlEEPS9_SG_NS0_5tupleIJPjSI_NS0_16reverse_iteratorISI_EEEEENSH_IJSG_SG_SG_EEES9_SI_JZNS1_25segmented_radix_sort_implINS0_14default_configELb1EPKaPaPKlPlN2at6native12_GLOBAL__N_18offset_tEEE10hipError_tPvRmT1_PNSt15iterator_traitsIS12_E10value_typeET2_T3_PNS13_IS18_E10value_typeET4_jRbjT5_S1E_jjP12ihipStream_tbEUljE_ZNSN_ISO_Lb1ESQ_SR_ST_SU_SY_EESZ_S10_S11_S12_S16_S17_S18_S1B_S1C_jS1D_jS1E_S1E_jjS1G_bEUljE0_EEESZ_S10_S11_S18_S1C_S1E_T6_T7_T9_mT8_S1G_bDpT10_ENKUlT_T0_E_clISt17integral_constantIbLb0EES1U_EEDaS1P_S1Q_EUlS1P_E_NS1_11comp_targetILNS1_3genE3ELNS1_11target_archE908ELNS1_3gpuE7ELNS1_3repE0EEENS1_30default_config_static_selectorELNS0_4arch9wavefront6targetE0EEEvS12_.has_indirect_call, 0
	.section	.AMDGPU.csdata,"",@progbits
; Kernel info:
; codeLenInByte = 0
; TotalNumSgprs: 0
; NumVgprs: 0
; ScratchSize: 0
; MemoryBound: 0
; FloatMode: 240
; IeeeMode: 1
; LDSByteSize: 0 bytes/workgroup (compile time only)
; SGPRBlocks: 0
; VGPRBlocks: 0
; NumSGPRsForWavesPerEU: 1
; NumVGPRsForWavesPerEU: 1
; Occupancy: 16
; WaveLimiterHint : 0
; COMPUTE_PGM_RSRC2:SCRATCH_EN: 0
; COMPUTE_PGM_RSRC2:USER_SGPR: 6
; COMPUTE_PGM_RSRC2:TRAP_HANDLER: 0
; COMPUTE_PGM_RSRC2:TGID_X_EN: 1
; COMPUTE_PGM_RSRC2:TGID_Y_EN: 0
; COMPUTE_PGM_RSRC2:TGID_Z_EN: 0
; COMPUTE_PGM_RSRC2:TIDIG_COMP_CNT: 0
	.section	.text._ZN7rocprim17ROCPRIM_400000_NS6detail17trampoline_kernelINS0_13select_configILj256ELj13ELNS0_17block_load_methodE3ELS4_3ELS4_3ELNS0_20block_scan_algorithmE0ELj4294967295EEENS1_25partition_config_selectorILNS1_17partition_subalgoE4EjNS0_10empty_typeEbEEZZNS1_14partition_implILS8_4ELb0ES6_15HIP_vector_typeIjLj2EENS0_17counting_iteratorIjlEEPS9_SG_NS0_5tupleIJPjSI_NS0_16reverse_iteratorISI_EEEEENSH_IJSG_SG_SG_EEES9_SI_JZNS1_25segmented_radix_sort_implINS0_14default_configELb1EPKaPaPKlPlN2at6native12_GLOBAL__N_18offset_tEEE10hipError_tPvRmT1_PNSt15iterator_traitsIS12_E10value_typeET2_T3_PNS13_IS18_E10value_typeET4_jRbjT5_S1E_jjP12ihipStream_tbEUljE_ZNSN_ISO_Lb1ESQ_SR_ST_SU_SY_EESZ_S10_S11_S12_S16_S17_S18_S1B_S1C_jS1D_jS1E_S1E_jjS1G_bEUljE0_EEESZ_S10_S11_S18_S1C_S1E_T6_T7_T9_mT8_S1G_bDpT10_ENKUlT_T0_E_clISt17integral_constantIbLb0EES1U_EEDaS1P_S1Q_EUlS1P_E_NS1_11comp_targetILNS1_3genE2ELNS1_11target_archE906ELNS1_3gpuE6ELNS1_3repE0EEENS1_30default_config_static_selectorELNS0_4arch9wavefront6targetE0EEEvS12_,"axG",@progbits,_ZN7rocprim17ROCPRIM_400000_NS6detail17trampoline_kernelINS0_13select_configILj256ELj13ELNS0_17block_load_methodE3ELS4_3ELS4_3ELNS0_20block_scan_algorithmE0ELj4294967295EEENS1_25partition_config_selectorILNS1_17partition_subalgoE4EjNS0_10empty_typeEbEEZZNS1_14partition_implILS8_4ELb0ES6_15HIP_vector_typeIjLj2EENS0_17counting_iteratorIjlEEPS9_SG_NS0_5tupleIJPjSI_NS0_16reverse_iteratorISI_EEEEENSH_IJSG_SG_SG_EEES9_SI_JZNS1_25segmented_radix_sort_implINS0_14default_configELb1EPKaPaPKlPlN2at6native12_GLOBAL__N_18offset_tEEE10hipError_tPvRmT1_PNSt15iterator_traitsIS12_E10value_typeET2_T3_PNS13_IS18_E10value_typeET4_jRbjT5_S1E_jjP12ihipStream_tbEUljE_ZNSN_ISO_Lb1ESQ_SR_ST_SU_SY_EESZ_S10_S11_S12_S16_S17_S18_S1B_S1C_jS1D_jS1E_S1E_jjS1G_bEUljE0_EEESZ_S10_S11_S18_S1C_S1E_T6_T7_T9_mT8_S1G_bDpT10_ENKUlT_T0_E_clISt17integral_constantIbLb0EES1U_EEDaS1P_S1Q_EUlS1P_E_NS1_11comp_targetILNS1_3genE2ELNS1_11target_archE906ELNS1_3gpuE6ELNS1_3repE0EEENS1_30default_config_static_selectorELNS0_4arch9wavefront6targetE0EEEvS12_,comdat
	.globl	_ZN7rocprim17ROCPRIM_400000_NS6detail17trampoline_kernelINS0_13select_configILj256ELj13ELNS0_17block_load_methodE3ELS4_3ELS4_3ELNS0_20block_scan_algorithmE0ELj4294967295EEENS1_25partition_config_selectorILNS1_17partition_subalgoE4EjNS0_10empty_typeEbEEZZNS1_14partition_implILS8_4ELb0ES6_15HIP_vector_typeIjLj2EENS0_17counting_iteratorIjlEEPS9_SG_NS0_5tupleIJPjSI_NS0_16reverse_iteratorISI_EEEEENSH_IJSG_SG_SG_EEES9_SI_JZNS1_25segmented_radix_sort_implINS0_14default_configELb1EPKaPaPKlPlN2at6native12_GLOBAL__N_18offset_tEEE10hipError_tPvRmT1_PNSt15iterator_traitsIS12_E10value_typeET2_T3_PNS13_IS18_E10value_typeET4_jRbjT5_S1E_jjP12ihipStream_tbEUljE_ZNSN_ISO_Lb1ESQ_SR_ST_SU_SY_EESZ_S10_S11_S12_S16_S17_S18_S1B_S1C_jS1D_jS1E_S1E_jjS1G_bEUljE0_EEESZ_S10_S11_S18_S1C_S1E_T6_T7_T9_mT8_S1G_bDpT10_ENKUlT_T0_E_clISt17integral_constantIbLb0EES1U_EEDaS1P_S1Q_EUlS1P_E_NS1_11comp_targetILNS1_3genE2ELNS1_11target_archE906ELNS1_3gpuE6ELNS1_3repE0EEENS1_30default_config_static_selectorELNS0_4arch9wavefront6targetE0EEEvS12_ ; -- Begin function _ZN7rocprim17ROCPRIM_400000_NS6detail17trampoline_kernelINS0_13select_configILj256ELj13ELNS0_17block_load_methodE3ELS4_3ELS4_3ELNS0_20block_scan_algorithmE0ELj4294967295EEENS1_25partition_config_selectorILNS1_17partition_subalgoE4EjNS0_10empty_typeEbEEZZNS1_14partition_implILS8_4ELb0ES6_15HIP_vector_typeIjLj2EENS0_17counting_iteratorIjlEEPS9_SG_NS0_5tupleIJPjSI_NS0_16reverse_iteratorISI_EEEEENSH_IJSG_SG_SG_EEES9_SI_JZNS1_25segmented_radix_sort_implINS0_14default_configELb1EPKaPaPKlPlN2at6native12_GLOBAL__N_18offset_tEEE10hipError_tPvRmT1_PNSt15iterator_traitsIS12_E10value_typeET2_T3_PNS13_IS18_E10value_typeET4_jRbjT5_S1E_jjP12ihipStream_tbEUljE_ZNSN_ISO_Lb1ESQ_SR_ST_SU_SY_EESZ_S10_S11_S12_S16_S17_S18_S1B_S1C_jS1D_jS1E_S1E_jjS1G_bEUljE0_EEESZ_S10_S11_S18_S1C_S1E_T6_T7_T9_mT8_S1G_bDpT10_ENKUlT_T0_E_clISt17integral_constantIbLb0EES1U_EEDaS1P_S1Q_EUlS1P_E_NS1_11comp_targetILNS1_3genE2ELNS1_11target_archE906ELNS1_3gpuE6ELNS1_3repE0EEENS1_30default_config_static_selectorELNS0_4arch9wavefront6targetE0EEEvS12_
	.p2align	8
	.type	_ZN7rocprim17ROCPRIM_400000_NS6detail17trampoline_kernelINS0_13select_configILj256ELj13ELNS0_17block_load_methodE3ELS4_3ELS4_3ELNS0_20block_scan_algorithmE0ELj4294967295EEENS1_25partition_config_selectorILNS1_17partition_subalgoE4EjNS0_10empty_typeEbEEZZNS1_14partition_implILS8_4ELb0ES6_15HIP_vector_typeIjLj2EENS0_17counting_iteratorIjlEEPS9_SG_NS0_5tupleIJPjSI_NS0_16reverse_iteratorISI_EEEEENSH_IJSG_SG_SG_EEES9_SI_JZNS1_25segmented_radix_sort_implINS0_14default_configELb1EPKaPaPKlPlN2at6native12_GLOBAL__N_18offset_tEEE10hipError_tPvRmT1_PNSt15iterator_traitsIS12_E10value_typeET2_T3_PNS13_IS18_E10value_typeET4_jRbjT5_S1E_jjP12ihipStream_tbEUljE_ZNSN_ISO_Lb1ESQ_SR_ST_SU_SY_EESZ_S10_S11_S12_S16_S17_S18_S1B_S1C_jS1D_jS1E_S1E_jjS1G_bEUljE0_EEESZ_S10_S11_S18_S1C_S1E_T6_T7_T9_mT8_S1G_bDpT10_ENKUlT_T0_E_clISt17integral_constantIbLb0EES1U_EEDaS1P_S1Q_EUlS1P_E_NS1_11comp_targetILNS1_3genE2ELNS1_11target_archE906ELNS1_3gpuE6ELNS1_3repE0EEENS1_30default_config_static_selectorELNS0_4arch9wavefront6targetE0EEEvS12_,@function
_ZN7rocprim17ROCPRIM_400000_NS6detail17trampoline_kernelINS0_13select_configILj256ELj13ELNS0_17block_load_methodE3ELS4_3ELS4_3ELNS0_20block_scan_algorithmE0ELj4294967295EEENS1_25partition_config_selectorILNS1_17partition_subalgoE4EjNS0_10empty_typeEbEEZZNS1_14partition_implILS8_4ELb0ES6_15HIP_vector_typeIjLj2EENS0_17counting_iteratorIjlEEPS9_SG_NS0_5tupleIJPjSI_NS0_16reverse_iteratorISI_EEEEENSH_IJSG_SG_SG_EEES9_SI_JZNS1_25segmented_radix_sort_implINS0_14default_configELb1EPKaPaPKlPlN2at6native12_GLOBAL__N_18offset_tEEE10hipError_tPvRmT1_PNSt15iterator_traitsIS12_E10value_typeET2_T3_PNS13_IS18_E10value_typeET4_jRbjT5_S1E_jjP12ihipStream_tbEUljE_ZNSN_ISO_Lb1ESQ_SR_ST_SU_SY_EESZ_S10_S11_S12_S16_S17_S18_S1B_S1C_jS1D_jS1E_S1E_jjS1G_bEUljE0_EEESZ_S10_S11_S18_S1C_S1E_T6_T7_T9_mT8_S1G_bDpT10_ENKUlT_T0_E_clISt17integral_constantIbLb0EES1U_EEDaS1P_S1Q_EUlS1P_E_NS1_11comp_targetILNS1_3genE2ELNS1_11target_archE906ELNS1_3gpuE6ELNS1_3repE0EEENS1_30default_config_static_selectorELNS0_4arch9wavefront6targetE0EEEvS12_: ; @_ZN7rocprim17ROCPRIM_400000_NS6detail17trampoline_kernelINS0_13select_configILj256ELj13ELNS0_17block_load_methodE3ELS4_3ELS4_3ELNS0_20block_scan_algorithmE0ELj4294967295EEENS1_25partition_config_selectorILNS1_17partition_subalgoE4EjNS0_10empty_typeEbEEZZNS1_14partition_implILS8_4ELb0ES6_15HIP_vector_typeIjLj2EENS0_17counting_iteratorIjlEEPS9_SG_NS0_5tupleIJPjSI_NS0_16reverse_iteratorISI_EEEEENSH_IJSG_SG_SG_EEES9_SI_JZNS1_25segmented_radix_sort_implINS0_14default_configELb1EPKaPaPKlPlN2at6native12_GLOBAL__N_18offset_tEEE10hipError_tPvRmT1_PNSt15iterator_traitsIS12_E10value_typeET2_T3_PNS13_IS18_E10value_typeET4_jRbjT5_S1E_jjP12ihipStream_tbEUljE_ZNSN_ISO_Lb1ESQ_SR_ST_SU_SY_EESZ_S10_S11_S12_S16_S17_S18_S1B_S1C_jS1D_jS1E_S1E_jjS1G_bEUljE0_EEESZ_S10_S11_S18_S1C_S1E_T6_T7_T9_mT8_S1G_bDpT10_ENKUlT_T0_E_clISt17integral_constantIbLb0EES1U_EEDaS1P_S1Q_EUlS1P_E_NS1_11comp_targetILNS1_3genE2ELNS1_11target_archE906ELNS1_3gpuE6ELNS1_3repE0EEENS1_30default_config_static_selectorELNS0_4arch9wavefront6targetE0EEEvS12_
; %bb.0:
	.section	.rodata,"a",@progbits
	.p2align	6, 0x0
	.amdhsa_kernel _ZN7rocprim17ROCPRIM_400000_NS6detail17trampoline_kernelINS0_13select_configILj256ELj13ELNS0_17block_load_methodE3ELS4_3ELS4_3ELNS0_20block_scan_algorithmE0ELj4294967295EEENS1_25partition_config_selectorILNS1_17partition_subalgoE4EjNS0_10empty_typeEbEEZZNS1_14partition_implILS8_4ELb0ES6_15HIP_vector_typeIjLj2EENS0_17counting_iteratorIjlEEPS9_SG_NS0_5tupleIJPjSI_NS0_16reverse_iteratorISI_EEEEENSH_IJSG_SG_SG_EEES9_SI_JZNS1_25segmented_radix_sort_implINS0_14default_configELb1EPKaPaPKlPlN2at6native12_GLOBAL__N_18offset_tEEE10hipError_tPvRmT1_PNSt15iterator_traitsIS12_E10value_typeET2_T3_PNS13_IS18_E10value_typeET4_jRbjT5_S1E_jjP12ihipStream_tbEUljE_ZNSN_ISO_Lb1ESQ_SR_ST_SU_SY_EESZ_S10_S11_S12_S16_S17_S18_S1B_S1C_jS1D_jS1E_S1E_jjS1G_bEUljE0_EEESZ_S10_S11_S18_S1C_S1E_T6_T7_T9_mT8_S1G_bDpT10_ENKUlT_T0_E_clISt17integral_constantIbLb0EES1U_EEDaS1P_S1Q_EUlS1P_E_NS1_11comp_targetILNS1_3genE2ELNS1_11target_archE906ELNS1_3gpuE6ELNS1_3repE0EEENS1_30default_config_static_selectorELNS0_4arch9wavefront6targetE0EEEvS12_
		.amdhsa_group_segment_fixed_size 0
		.amdhsa_private_segment_fixed_size 0
		.amdhsa_kernarg_size 176
		.amdhsa_user_sgpr_count 6
		.amdhsa_user_sgpr_private_segment_buffer 1
		.amdhsa_user_sgpr_dispatch_ptr 0
		.amdhsa_user_sgpr_queue_ptr 0
		.amdhsa_user_sgpr_kernarg_segment_ptr 1
		.amdhsa_user_sgpr_dispatch_id 0
		.amdhsa_user_sgpr_flat_scratch_init 0
		.amdhsa_user_sgpr_private_segment_size 0
		.amdhsa_wavefront_size32 1
		.amdhsa_uses_dynamic_stack 0
		.amdhsa_system_sgpr_private_segment_wavefront_offset 0
		.amdhsa_system_sgpr_workgroup_id_x 1
		.amdhsa_system_sgpr_workgroup_id_y 0
		.amdhsa_system_sgpr_workgroup_id_z 0
		.amdhsa_system_sgpr_workgroup_info 0
		.amdhsa_system_vgpr_workitem_id 0
		.amdhsa_next_free_vgpr 1
		.amdhsa_next_free_sgpr 1
		.amdhsa_reserve_vcc 0
		.amdhsa_reserve_flat_scratch 0
		.amdhsa_float_round_mode_32 0
		.amdhsa_float_round_mode_16_64 0
		.amdhsa_float_denorm_mode_32 3
		.amdhsa_float_denorm_mode_16_64 3
		.amdhsa_dx10_clamp 1
		.amdhsa_ieee_mode 1
		.amdhsa_fp16_overflow 0
		.amdhsa_workgroup_processor_mode 1
		.amdhsa_memory_ordered 1
		.amdhsa_forward_progress 1
		.amdhsa_shared_vgpr_count 0
		.amdhsa_exception_fp_ieee_invalid_op 0
		.amdhsa_exception_fp_denorm_src 0
		.amdhsa_exception_fp_ieee_div_zero 0
		.amdhsa_exception_fp_ieee_overflow 0
		.amdhsa_exception_fp_ieee_underflow 0
		.amdhsa_exception_fp_ieee_inexact 0
		.amdhsa_exception_int_div_zero 0
	.end_amdhsa_kernel
	.section	.text._ZN7rocprim17ROCPRIM_400000_NS6detail17trampoline_kernelINS0_13select_configILj256ELj13ELNS0_17block_load_methodE3ELS4_3ELS4_3ELNS0_20block_scan_algorithmE0ELj4294967295EEENS1_25partition_config_selectorILNS1_17partition_subalgoE4EjNS0_10empty_typeEbEEZZNS1_14partition_implILS8_4ELb0ES6_15HIP_vector_typeIjLj2EENS0_17counting_iteratorIjlEEPS9_SG_NS0_5tupleIJPjSI_NS0_16reverse_iteratorISI_EEEEENSH_IJSG_SG_SG_EEES9_SI_JZNS1_25segmented_radix_sort_implINS0_14default_configELb1EPKaPaPKlPlN2at6native12_GLOBAL__N_18offset_tEEE10hipError_tPvRmT1_PNSt15iterator_traitsIS12_E10value_typeET2_T3_PNS13_IS18_E10value_typeET4_jRbjT5_S1E_jjP12ihipStream_tbEUljE_ZNSN_ISO_Lb1ESQ_SR_ST_SU_SY_EESZ_S10_S11_S12_S16_S17_S18_S1B_S1C_jS1D_jS1E_S1E_jjS1G_bEUljE0_EEESZ_S10_S11_S18_S1C_S1E_T6_T7_T9_mT8_S1G_bDpT10_ENKUlT_T0_E_clISt17integral_constantIbLb0EES1U_EEDaS1P_S1Q_EUlS1P_E_NS1_11comp_targetILNS1_3genE2ELNS1_11target_archE906ELNS1_3gpuE6ELNS1_3repE0EEENS1_30default_config_static_selectorELNS0_4arch9wavefront6targetE0EEEvS12_,"axG",@progbits,_ZN7rocprim17ROCPRIM_400000_NS6detail17trampoline_kernelINS0_13select_configILj256ELj13ELNS0_17block_load_methodE3ELS4_3ELS4_3ELNS0_20block_scan_algorithmE0ELj4294967295EEENS1_25partition_config_selectorILNS1_17partition_subalgoE4EjNS0_10empty_typeEbEEZZNS1_14partition_implILS8_4ELb0ES6_15HIP_vector_typeIjLj2EENS0_17counting_iteratorIjlEEPS9_SG_NS0_5tupleIJPjSI_NS0_16reverse_iteratorISI_EEEEENSH_IJSG_SG_SG_EEES9_SI_JZNS1_25segmented_radix_sort_implINS0_14default_configELb1EPKaPaPKlPlN2at6native12_GLOBAL__N_18offset_tEEE10hipError_tPvRmT1_PNSt15iterator_traitsIS12_E10value_typeET2_T3_PNS13_IS18_E10value_typeET4_jRbjT5_S1E_jjP12ihipStream_tbEUljE_ZNSN_ISO_Lb1ESQ_SR_ST_SU_SY_EESZ_S10_S11_S12_S16_S17_S18_S1B_S1C_jS1D_jS1E_S1E_jjS1G_bEUljE0_EEESZ_S10_S11_S18_S1C_S1E_T6_T7_T9_mT8_S1G_bDpT10_ENKUlT_T0_E_clISt17integral_constantIbLb0EES1U_EEDaS1P_S1Q_EUlS1P_E_NS1_11comp_targetILNS1_3genE2ELNS1_11target_archE906ELNS1_3gpuE6ELNS1_3repE0EEENS1_30default_config_static_selectorELNS0_4arch9wavefront6targetE0EEEvS12_,comdat
.Lfunc_end228:
	.size	_ZN7rocprim17ROCPRIM_400000_NS6detail17trampoline_kernelINS0_13select_configILj256ELj13ELNS0_17block_load_methodE3ELS4_3ELS4_3ELNS0_20block_scan_algorithmE0ELj4294967295EEENS1_25partition_config_selectorILNS1_17partition_subalgoE4EjNS0_10empty_typeEbEEZZNS1_14partition_implILS8_4ELb0ES6_15HIP_vector_typeIjLj2EENS0_17counting_iteratorIjlEEPS9_SG_NS0_5tupleIJPjSI_NS0_16reverse_iteratorISI_EEEEENSH_IJSG_SG_SG_EEES9_SI_JZNS1_25segmented_radix_sort_implINS0_14default_configELb1EPKaPaPKlPlN2at6native12_GLOBAL__N_18offset_tEEE10hipError_tPvRmT1_PNSt15iterator_traitsIS12_E10value_typeET2_T3_PNS13_IS18_E10value_typeET4_jRbjT5_S1E_jjP12ihipStream_tbEUljE_ZNSN_ISO_Lb1ESQ_SR_ST_SU_SY_EESZ_S10_S11_S12_S16_S17_S18_S1B_S1C_jS1D_jS1E_S1E_jjS1G_bEUljE0_EEESZ_S10_S11_S18_S1C_S1E_T6_T7_T9_mT8_S1G_bDpT10_ENKUlT_T0_E_clISt17integral_constantIbLb0EES1U_EEDaS1P_S1Q_EUlS1P_E_NS1_11comp_targetILNS1_3genE2ELNS1_11target_archE906ELNS1_3gpuE6ELNS1_3repE0EEENS1_30default_config_static_selectorELNS0_4arch9wavefront6targetE0EEEvS12_, .Lfunc_end228-_ZN7rocprim17ROCPRIM_400000_NS6detail17trampoline_kernelINS0_13select_configILj256ELj13ELNS0_17block_load_methodE3ELS4_3ELS4_3ELNS0_20block_scan_algorithmE0ELj4294967295EEENS1_25partition_config_selectorILNS1_17partition_subalgoE4EjNS0_10empty_typeEbEEZZNS1_14partition_implILS8_4ELb0ES6_15HIP_vector_typeIjLj2EENS0_17counting_iteratorIjlEEPS9_SG_NS0_5tupleIJPjSI_NS0_16reverse_iteratorISI_EEEEENSH_IJSG_SG_SG_EEES9_SI_JZNS1_25segmented_radix_sort_implINS0_14default_configELb1EPKaPaPKlPlN2at6native12_GLOBAL__N_18offset_tEEE10hipError_tPvRmT1_PNSt15iterator_traitsIS12_E10value_typeET2_T3_PNS13_IS18_E10value_typeET4_jRbjT5_S1E_jjP12ihipStream_tbEUljE_ZNSN_ISO_Lb1ESQ_SR_ST_SU_SY_EESZ_S10_S11_S12_S16_S17_S18_S1B_S1C_jS1D_jS1E_S1E_jjS1G_bEUljE0_EEESZ_S10_S11_S18_S1C_S1E_T6_T7_T9_mT8_S1G_bDpT10_ENKUlT_T0_E_clISt17integral_constantIbLb0EES1U_EEDaS1P_S1Q_EUlS1P_E_NS1_11comp_targetILNS1_3genE2ELNS1_11target_archE906ELNS1_3gpuE6ELNS1_3repE0EEENS1_30default_config_static_selectorELNS0_4arch9wavefront6targetE0EEEvS12_
                                        ; -- End function
	.set _ZN7rocprim17ROCPRIM_400000_NS6detail17trampoline_kernelINS0_13select_configILj256ELj13ELNS0_17block_load_methodE3ELS4_3ELS4_3ELNS0_20block_scan_algorithmE0ELj4294967295EEENS1_25partition_config_selectorILNS1_17partition_subalgoE4EjNS0_10empty_typeEbEEZZNS1_14partition_implILS8_4ELb0ES6_15HIP_vector_typeIjLj2EENS0_17counting_iteratorIjlEEPS9_SG_NS0_5tupleIJPjSI_NS0_16reverse_iteratorISI_EEEEENSH_IJSG_SG_SG_EEES9_SI_JZNS1_25segmented_radix_sort_implINS0_14default_configELb1EPKaPaPKlPlN2at6native12_GLOBAL__N_18offset_tEEE10hipError_tPvRmT1_PNSt15iterator_traitsIS12_E10value_typeET2_T3_PNS13_IS18_E10value_typeET4_jRbjT5_S1E_jjP12ihipStream_tbEUljE_ZNSN_ISO_Lb1ESQ_SR_ST_SU_SY_EESZ_S10_S11_S12_S16_S17_S18_S1B_S1C_jS1D_jS1E_S1E_jjS1G_bEUljE0_EEESZ_S10_S11_S18_S1C_S1E_T6_T7_T9_mT8_S1G_bDpT10_ENKUlT_T0_E_clISt17integral_constantIbLb0EES1U_EEDaS1P_S1Q_EUlS1P_E_NS1_11comp_targetILNS1_3genE2ELNS1_11target_archE906ELNS1_3gpuE6ELNS1_3repE0EEENS1_30default_config_static_selectorELNS0_4arch9wavefront6targetE0EEEvS12_.num_vgpr, 0
	.set _ZN7rocprim17ROCPRIM_400000_NS6detail17trampoline_kernelINS0_13select_configILj256ELj13ELNS0_17block_load_methodE3ELS4_3ELS4_3ELNS0_20block_scan_algorithmE0ELj4294967295EEENS1_25partition_config_selectorILNS1_17partition_subalgoE4EjNS0_10empty_typeEbEEZZNS1_14partition_implILS8_4ELb0ES6_15HIP_vector_typeIjLj2EENS0_17counting_iteratorIjlEEPS9_SG_NS0_5tupleIJPjSI_NS0_16reverse_iteratorISI_EEEEENSH_IJSG_SG_SG_EEES9_SI_JZNS1_25segmented_radix_sort_implINS0_14default_configELb1EPKaPaPKlPlN2at6native12_GLOBAL__N_18offset_tEEE10hipError_tPvRmT1_PNSt15iterator_traitsIS12_E10value_typeET2_T3_PNS13_IS18_E10value_typeET4_jRbjT5_S1E_jjP12ihipStream_tbEUljE_ZNSN_ISO_Lb1ESQ_SR_ST_SU_SY_EESZ_S10_S11_S12_S16_S17_S18_S1B_S1C_jS1D_jS1E_S1E_jjS1G_bEUljE0_EEESZ_S10_S11_S18_S1C_S1E_T6_T7_T9_mT8_S1G_bDpT10_ENKUlT_T0_E_clISt17integral_constantIbLb0EES1U_EEDaS1P_S1Q_EUlS1P_E_NS1_11comp_targetILNS1_3genE2ELNS1_11target_archE906ELNS1_3gpuE6ELNS1_3repE0EEENS1_30default_config_static_selectorELNS0_4arch9wavefront6targetE0EEEvS12_.num_agpr, 0
	.set _ZN7rocprim17ROCPRIM_400000_NS6detail17trampoline_kernelINS0_13select_configILj256ELj13ELNS0_17block_load_methodE3ELS4_3ELS4_3ELNS0_20block_scan_algorithmE0ELj4294967295EEENS1_25partition_config_selectorILNS1_17partition_subalgoE4EjNS0_10empty_typeEbEEZZNS1_14partition_implILS8_4ELb0ES6_15HIP_vector_typeIjLj2EENS0_17counting_iteratorIjlEEPS9_SG_NS0_5tupleIJPjSI_NS0_16reverse_iteratorISI_EEEEENSH_IJSG_SG_SG_EEES9_SI_JZNS1_25segmented_radix_sort_implINS0_14default_configELb1EPKaPaPKlPlN2at6native12_GLOBAL__N_18offset_tEEE10hipError_tPvRmT1_PNSt15iterator_traitsIS12_E10value_typeET2_T3_PNS13_IS18_E10value_typeET4_jRbjT5_S1E_jjP12ihipStream_tbEUljE_ZNSN_ISO_Lb1ESQ_SR_ST_SU_SY_EESZ_S10_S11_S12_S16_S17_S18_S1B_S1C_jS1D_jS1E_S1E_jjS1G_bEUljE0_EEESZ_S10_S11_S18_S1C_S1E_T6_T7_T9_mT8_S1G_bDpT10_ENKUlT_T0_E_clISt17integral_constantIbLb0EES1U_EEDaS1P_S1Q_EUlS1P_E_NS1_11comp_targetILNS1_3genE2ELNS1_11target_archE906ELNS1_3gpuE6ELNS1_3repE0EEENS1_30default_config_static_selectorELNS0_4arch9wavefront6targetE0EEEvS12_.numbered_sgpr, 0
	.set _ZN7rocprim17ROCPRIM_400000_NS6detail17trampoline_kernelINS0_13select_configILj256ELj13ELNS0_17block_load_methodE3ELS4_3ELS4_3ELNS0_20block_scan_algorithmE0ELj4294967295EEENS1_25partition_config_selectorILNS1_17partition_subalgoE4EjNS0_10empty_typeEbEEZZNS1_14partition_implILS8_4ELb0ES6_15HIP_vector_typeIjLj2EENS0_17counting_iteratorIjlEEPS9_SG_NS0_5tupleIJPjSI_NS0_16reverse_iteratorISI_EEEEENSH_IJSG_SG_SG_EEES9_SI_JZNS1_25segmented_radix_sort_implINS0_14default_configELb1EPKaPaPKlPlN2at6native12_GLOBAL__N_18offset_tEEE10hipError_tPvRmT1_PNSt15iterator_traitsIS12_E10value_typeET2_T3_PNS13_IS18_E10value_typeET4_jRbjT5_S1E_jjP12ihipStream_tbEUljE_ZNSN_ISO_Lb1ESQ_SR_ST_SU_SY_EESZ_S10_S11_S12_S16_S17_S18_S1B_S1C_jS1D_jS1E_S1E_jjS1G_bEUljE0_EEESZ_S10_S11_S18_S1C_S1E_T6_T7_T9_mT8_S1G_bDpT10_ENKUlT_T0_E_clISt17integral_constantIbLb0EES1U_EEDaS1P_S1Q_EUlS1P_E_NS1_11comp_targetILNS1_3genE2ELNS1_11target_archE906ELNS1_3gpuE6ELNS1_3repE0EEENS1_30default_config_static_selectorELNS0_4arch9wavefront6targetE0EEEvS12_.num_named_barrier, 0
	.set _ZN7rocprim17ROCPRIM_400000_NS6detail17trampoline_kernelINS0_13select_configILj256ELj13ELNS0_17block_load_methodE3ELS4_3ELS4_3ELNS0_20block_scan_algorithmE0ELj4294967295EEENS1_25partition_config_selectorILNS1_17partition_subalgoE4EjNS0_10empty_typeEbEEZZNS1_14partition_implILS8_4ELb0ES6_15HIP_vector_typeIjLj2EENS0_17counting_iteratorIjlEEPS9_SG_NS0_5tupleIJPjSI_NS0_16reverse_iteratorISI_EEEEENSH_IJSG_SG_SG_EEES9_SI_JZNS1_25segmented_radix_sort_implINS0_14default_configELb1EPKaPaPKlPlN2at6native12_GLOBAL__N_18offset_tEEE10hipError_tPvRmT1_PNSt15iterator_traitsIS12_E10value_typeET2_T3_PNS13_IS18_E10value_typeET4_jRbjT5_S1E_jjP12ihipStream_tbEUljE_ZNSN_ISO_Lb1ESQ_SR_ST_SU_SY_EESZ_S10_S11_S12_S16_S17_S18_S1B_S1C_jS1D_jS1E_S1E_jjS1G_bEUljE0_EEESZ_S10_S11_S18_S1C_S1E_T6_T7_T9_mT8_S1G_bDpT10_ENKUlT_T0_E_clISt17integral_constantIbLb0EES1U_EEDaS1P_S1Q_EUlS1P_E_NS1_11comp_targetILNS1_3genE2ELNS1_11target_archE906ELNS1_3gpuE6ELNS1_3repE0EEENS1_30default_config_static_selectorELNS0_4arch9wavefront6targetE0EEEvS12_.private_seg_size, 0
	.set _ZN7rocprim17ROCPRIM_400000_NS6detail17trampoline_kernelINS0_13select_configILj256ELj13ELNS0_17block_load_methodE3ELS4_3ELS4_3ELNS0_20block_scan_algorithmE0ELj4294967295EEENS1_25partition_config_selectorILNS1_17partition_subalgoE4EjNS0_10empty_typeEbEEZZNS1_14partition_implILS8_4ELb0ES6_15HIP_vector_typeIjLj2EENS0_17counting_iteratorIjlEEPS9_SG_NS0_5tupleIJPjSI_NS0_16reverse_iteratorISI_EEEEENSH_IJSG_SG_SG_EEES9_SI_JZNS1_25segmented_radix_sort_implINS0_14default_configELb1EPKaPaPKlPlN2at6native12_GLOBAL__N_18offset_tEEE10hipError_tPvRmT1_PNSt15iterator_traitsIS12_E10value_typeET2_T3_PNS13_IS18_E10value_typeET4_jRbjT5_S1E_jjP12ihipStream_tbEUljE_ZNSN_ISO_Lb1ESQ_SR_ST_SU_SY_EESZ_S10_S11_S12_S16_S17_S18_S1B_S1C_jS1D_jS1E_S1E_jjS1G_bEUljE0_EEESZ_S10_S11_S18_S1C_S1E_T6_T7_T9_mT8_S1G_bDpT10_ENKUlT_T0_E_clISt17integral_constantIbLb0EES1U_EEDaS1P_S1Q_EUlS1P_E_NS1_11comp_targetILNS1_3genE2ELNS1_11target_archE906ELNS1_3gpuE6ELNS1_3repE0EEENS1_30default_config_static_selectorELNS0_4arch9wavefront6targetE0EEEvS12_.uses_vcc, 0
	.set _ZN7rocprim17ROCPRIM_400000_NS6detail17trampoline_kernelINS0_13select_configILj256ELj13ELNS0_17block_load_methodE3ELS4_3ELS4_3ELNS0_20block_scan_algorithmE0ELj4294967295EEENS1_25partition_config_selectorILNS1_17partition_subalgoE4EjNS0_10empty_typeEbEEZZNS1_14partition_implILS8_4ELb0ES6_15HIP_vector_typeIjLj2EENS0_17counting_iteratorIjlEEPS9_SG_NS0_5tupleIJPjSI_NS0_16reverse_iteratorISI_EEEEENSH_IJSG_SG_SG_EEES9_SI_JZNS1_25segmented_radix_sort_implINS0_14default_configELb1EPKaPaPKlPlN2at6native12_GLOBAL__N_18offset_tEEE10hipError_tPvRmT1_PNSt15iterator_traitsIS12_E10value_typeET2_T3_PNS13_IS18_E10value_typeET4_jRbjT5_S1E_jjP12ihipStream_tbEUljE_ZNSN_ISO_Lb1ESQ_SR_ST_SU_SY_EESZ_S10_S11_S12_S16_S17_S18_S1B_S1C_jS1D_jS1E_S1E_jjS1G_bEUljE0_EEESZ_S10_S11_S18_S1C_S1E_T6_T7_T9_mT8_S1G_bDpT10_ENKUlT_T0_E_clISt17integral_constantIbLb0EES1U_EEDaS1P_S1Q_EUlS1P_E_NS1_11comp_targetILNS1_3genE2ELNS1_11target_archE906ELNS1_3gpuE6ELNS1_3repE0EEENS1_30default_config_static_selectorELNS0_4arch9wavefront6targetE0EEEvS12_.uses_flat_scratch, 0
	.set _ZN7rocprim17ROCPRIM_400000_NS6detail17trampoline_kernelINS0_13select_configILj256ELj13ELNS0_17block_load_methodE3ELS4_3ELS4_3ELNS0_20block_scan_algorithmE0ELj4294967295EEENS1_25partition_config_selectorILNS1_17partition_subalgoE4EjNS0_10empty_typeEbEEZZNS1_14partition_implILS8_4ELb0ES6_15HIP_vector_typeIjLj2EENS0_17counting_iteratorIjlEEPS9_SG_NS0_5tupleIJPjSI_NS0_16reverse_iteratorISI_EEEEENSH_IJSG_SG_SG_EEES9_SI_JZNS1_25segmented_radix_sort_implINS0_14default_configELb1EPKaPaPKlPlN2at6native12_GLOBAL__N_18offset_tEEE10hipError_tPvRmT1_PNSt15iterator_traitsIS12_E10value_typeET2_T3_PNS13_IS18_E10value_typeET4_jRbjT5_S1E_jjP12ihipStream_tbEUljE_ZNSN_ISO_Lb1ESQ_SR_ST_SU_SY_EESZ_S10_S11_S12_S16_S17_S18_S1B_S1C_jS1D_jS1E_S1E_jjS1G_bEUljE0_EEESZ_S10_S11_S18_S1C_S1E_T6_T7_T9_mT8_S1G_bDpT10_ENKUlT_T0_E_clISt17integral_constantIbLb0EES1U_EEDaS1P_S1Q_EUlS1P_E_NS1_11comp_targetILNS1_3genE2ELNS1_11target_archE906ELNS1_3gpuE6ELNS1_3repE0EEENS1_30default_config_static_selectorELNS0_4arch9wavefront6targetE0EEEvS12_.has_dyn_sized_stack, 0
	.set _ZN7rocprim17ROCPRIM_400000_NS6detail17trampoline_kernelINS0_13select_configILj256ELj13ELNS0_17block_load_methodE3ELS4_3ELS4_3ELNS0_20block_scan_algorithmE0ELj4294967295EEENS1_25partition_config_selectorILNS1_17partition_subalgoE4EjNS0_10empty_typeEbEEZZNS1_14partition_implILS8_4ELb0ES6_15HIP_vector_typeIjLj2EENS0_17counting_iteratorIjlEEPS9_SG_NS0_5tupleIJPjSI_NS0_16reverse_iteratorISI_EEEEENSH_IJSG_SG_SG_EEES9_SI_JZNS1_25segmented_radix_sort_implINS0_14default_configELb1EPKaPaPKlPlN2at6native12_GLOBAL__N_18offset_tEEE10hipError_tPvRmT1_PNSt15iterator_traitsIS12_E10value_typeET2_T3_PNS13_IS18_E10value_typeET4_jRbjT5_S1E_jjP12ihipStream_tbEUljE_ZNSN_ISO_Lb1ESQ_SR_ST_SU_SY_EESZ_S10_S11_S12_S16_S17_S18_S1B_S1C_jS1D_jS1E_S1E_jjS1G_bEUljE0_EEESZ_S10_S11_S18_S1C_S1E_T6_T7_T9_mT8_S1G_bDpT10_ENKUlT_T0_E_clISt17integral_constantIbLb0EES1U_EEDaS1P_S1Q_EUlS1P_E_NS1_11comp_targetILNS1_3genE2ELNS1_11target_archE906ELNS1_3gpuE6ELNS1_3repE0EEENS1_30default_config_static_selectorELNS0_4arch9wavefront6targetE0EEEvS12_.has_recursion, 0
	.set _ZN7rocprim17ROCPRIM_400000_NS6detail17trampoline_kernelINS0_13select_configILj256ELj13ELNS0_17block_load_methodE3ELS4_3ELS4_3ELNS0_20block_scan_algorithmE0ELj4294967295EEENS1_25partition_config_selectorILNS1_17partition_subalgoE4EjNS0_10empty_typeEbEEZZNS1_14partition_implILS8_4ELb0ES6_15HIP_vector_typeIjLj2EENS0_17counting_iteratorIjlEEPS9_SG_NS0_5tupleIJPjSI_NS0_16reverse_iteratorISI_EEEEENSH_IJSG_SG_SG_EEES9_SI_JZNS1_25segmented_radix_sort_implINS0_14default_configELb1EPKaPaPKlPlN2at6native12_GLOBAL__N_18offset_tEEE10hipError_tPvRmT1_PNSt15iterator_traitsIS12_E10value_typeET2_T3_PNS13_IS18_E10value_typeET4_jRbjT5_S1E_jjP12ihipStream_tbEUljE_ZNSN_ISO_Lb1ESQ_SR_ST_SU_SY_EESZ_S10_S11_S12_S16_S17_S18_S1B_S1C_jS1D_jS1E_S1E_jjS1G_bEUljE0_EEESZ_S10_S11_S18_S1C_S1E_T6_T7_T9_mT8_S1G_bDpT10_ENKUlT_T0_E_clISt17integral_constantIbLb0EES1U_EEDaS1P_S1Q_EUlS1P_E_NS1_11comp_targetILNS1_3genE2ELNS1_11target_archE906ELNS1_3gpuE6ELNS1_3repE0EEENS1_30default_config_static_selectorELNS0_4arch9wavefront6targetE0EEEvS12_.has_indirect_call, 0
	.section	.AMDGPU.csdata,"",@progbits
; Kernel info:
; codeLenInByte = 0
; TotalNumSgprs: 0
; NumVgprs: 0
; ScratchSize: 0
; MemoryBound: 0
; FloatMode: 240
; IeeeMode: 1
; LDSByteSize: 0 bytes/workgroup (compile time only)
; SGPRBlocks: 0
; VGPRBlocks: 0
; NumSGPRsForWavesPerEU: 1
; NumVGPRsForWavesPerEU: 1
; Occupancy: 16
; WaveLimiterHint : 0
; COMPUTE_PGM_RSRC2:SCRATCH_EN: 0
; COMPUTE_PGM_RSRC2:USER_SGPR: 6
; COMPUTE_PGM_RSRC2:TRAP_HANDLER: 0
; COMPUTE_PGM_RSRC2:TGID_X_EN: 1
; COMPUTE_PGM_RSRC2:TGID_Y_EN: 0
; COMPUTE_PGM_RSRC2:TGID_Z_EN: 0
; COMPUTE_PGM_RSRC2:TIDIG_COMP_CNT: 0
	.section	.text._ZN7rocprim17ROCPRIM_400000_NS6detail17trampoline_kernelINS0_13select_configILj256ELj13ELNS0_17block_load_methodE3ELS4_3ELS4_3ELNS0_20block_scan_algorithmE0ELj4294967295EEENS1_25partition_config_selectorILNS1_17partition_subalgoE4EjNS0_10empty_typeEbEEZZNS1_14partition_implILS8_4ELb0ES6_15HIP_vector_typeIjLj2EENS0_17counting_iteratorIjlEEPS9_SG_NS0_5tupleIJPjSI_NS0_16reverse_iteratorISI_EEEEENSH_IJSG_SG_SG_EEES9_SI_JZNS1_25segmented_radix_sort_implINS0_14default_configELb1EPKaPaPKlPlN2at6native12_GLOBAL__N_18offset_tEEE10hipError_tPvRmT1_PNSt15iterator_traitsIS12_E10value_typeET2_T3_PNS13_IS18_E10value_typeET4_jRbjT5_S1E_jjP12ihipStream_tbEUljE_ZNSN_ISO_Lb1ESQ_SR_ST_SU_SY_EESZ_S10_S11_S12_S16_S17_S18_S1B_S1C_jS1D_jS1E_S1E_jjS1G_bEUljE0_EEESZ_S10_S11_S18_S1C_S1E_T6_T7_T9_mT8_S1G_bDpT10_ENKUlT_T0_E_clISt17integral_constantIbLb0EES1U_EEDaS1P_S1Q_EUlS1P_E_NS1_11comp_targetILNS1_3genE10ELNS1_11target_archE1200ELNS1_3gpuE4ELNS1_3repE0EEENS1_30default_config_static_selectorELNS0_4arch9wavefront6targetE0EEEvS12_,"axG",@progbits,_ZN7rocprim17ROCPRIM_400000_NS6detail17trampoline_kernelINS0_13select_configILj256ELj13ELNS0_17block_load_methodE3ELS4_3ELS4_3ELNS0_20block_scan_algorithmE0ELj4294967295EEENS1_25partition_config_selectorILNS1_17partition_subalgoE4EjNS0_10empty_typeEbEEZZNS1_14partition_implILS8_4ELb0ES6_15HIP_vector_typeIjLj2EENS0_17counting_iteratorIjlEEPS9_SG_NS0_5tupleIJPjSI_NS0_16reverse_iteratorISI_EEEEENSH_IJSG_SG_SG_EEES9_SI_JZNS1_25segmented_radix_sort_implINS0_14default_configELb1EPKaPaPKlPlN2at6native12_GLOBAL__N_18offset_tEEE10hipError_tPvRmT1_PNSt15iterator_traitsIS12_E10value_typeET2_T3_PNS13_IS18_E10value_typeET4_jRbjT5_S1E_jjP12ihipStream_tbEUljE_ZNSN_ISO_Lb1ESQ_SR_ST_SU_SY_EESZ_S10_S11_S12_S16_S17_S18_S1B_S1C_jS1D_jS1E_S1E_jjS1G_bEUljE0_EEESZ_S10_S11_S18_S1C_S1E_T6_T7_T9_mT8_S1G_bDpT10_ENKUlT_T0_E_clISt17integral_constantIbLb0EES1U_EEDaS1P_S1Q_EUlS1P_E_NS1_11comp_targetILNS1_3genE10ELNS1_11target_archE1200ELNS1_3gpuE4ELNS1_3repE0EEENS1_30default_config_static_selectorELNS0_4arch9wavefront6targetE0EEEvS12_,comdat
	.globl	_ZN7rocprim17ROCPRIM_400000_NS6detail17trampoline_kernelINS0_13select_configILj256ELj13ELNS0_17block_load_methodE3ELS4_3ELS4_3ELNS0_20block_scan_algorithmE0ELj4294967295EEENS1_25partition_config_selectorILNS1_17partition_subalgoE4EjNS0_10empty_typeEbEEZZNS1_14partition_implILS8_4ELb0ES6_15HIP_vector_typeIjLj2EENS0_17counting_iteratorIjlEEPS9_SG_NS0_5tupleIJPjSI_NS0_16reverse_iteratorISI_EEEEENSH_IJSG_SG_SG_EEES9_SI_JZNS1_25segmented_radix_sort_implINS0_14default_configELb1EPKaPaPKlPlN2at6native12_GLOBAL__N_18offset_tEEE10hipError_tPvRmT1_PNSt15iterator_traitsIS12_E10value_typeET2_T3_PNS13_IS18_E10value_typeET4_jRbjT5_S1E_jjP12ihipStream_tbEUljE_ZNSN_ISO_Lb1ESQ_SR_ST_SU_SY_EESZ_S10_S11_S12_S16_S17_S18_S1B_S1C_jS1D_jS1E_S1E_jjS1G_bEUljE0_EEESZ_S10_S11_S18_S1C_S1E_T6_T7_T9_mT8_S1G_bDpT10_ENKUlT_T0_E_clISt17integral_constantIbLb0EES1U_EEDaS1P_S1Q_EUlS1P_E_NS1_11comp_targetILNS1_3genE10ELNS1_11target_archE1200ELNS1_3gpuE4ELNS1_3repE0EEENS1_30default_config_static_selectorELNS0_4arch9wavefront6targetE0EEEvS12_ ; -- Begin function _ZN7rocprim17ROCPRIM_400000_NS6detail17trampoline_kernelINS0_13select_configILj256ELj13ELNS0_17block_load_methodE3ELS4_3ELS4_3ELNS0_20block_scan_algorithmE0ELj4294967295EEENS1_25partition_config_selectorILNS1_17partition_subalgoE4EjNS0_10empty_typeEbEEZZNS1_14partition_implILS8_4ELb0ES6_15HIP_vector_typeIjLj2EENS0_17counting_iteratorIjlEEPS9_SG_NS0_5tupleIJPjSI_NS0_16reverse_iteratorISI_EEEEENSH_IJSG_SG_SG_EEES9_SI_JZNS1_25segmented_radix_sort_implINS0_14default_configELb1EPKaPaPKlPlN2at6native12_GLOBAL__N_18offset_tEEE10hipError_tPvRmT1_PNSt15iterator_traitsIS12_E10value_typeET2_T3_PNS13_IS18_E10value_typeET4_jRbjT5_S1E_jjP12ihipStream_tbEUljE_ZNSN_ISO_Lb1ESQ_SR_ST_SU_SY_EESZ_S10_S11_S12_S16_S17_S18_S1B_S1C_jS1D_jS1E_S1E_jjS1G_bEUljE0_EEESZ_S10_S11_S18_S1C_S1E_T6_T7_T9_mT8_S1G_bDpT10_ENKUlT_T0_E_clISt17integral_constantIbLb0EES1U_EEDaS1P_S1Q_EUlS1P_E_NS1_11comp_targetILNS1_3genE10ELNS1_11target_archE1200ELNS1_3gpuE4ELNS1_3repE0EEENS1_30default_config_static_selectorELNS0_4arch9wavefront6targetE0EEEvS12_
	.p2align	8
	.type	_ZN7rocprim17ROCPRIM_400000_NS6detail17trampoline_kernelINS0_13select_configILj256ELj13ELNS0_17block_load_methodE3ELS4_3ELS4_3ELNS0_20block_scan_algorithmE0ELj4294967295EEENS1_25partition_config_selectorILNS1_17partition_subalgoE4EjNS0_10empty_typeEbEEZZNS1_14partition_implILS8_4ELb0ES6_15HIP_vector_typeIjLj2EENS0_17counting_iteratorIjlEEPS9_SG_NS0_5tupleIJPjSI_NS0_16reverse_iteratorISI_EEEEENSH_IJSG_SG_SG_EEES9_SI_JZNS1_25segmented_radix_sort_implINS0_14default_configELb1EPKaPaPKlPlN2at6native12_GLOBAL__N_18offset_tEEE10hipError_tPvRmT1_PNSt15iterator_traitsIS12_E10value_typeET2_T3_PNS13_IS18_E10value_typeET4_jRbjT5_S1E_jjP12ihipStream_tbEUljE_ZNSN_ISO_Lb1ESQ_SR_ST_SU_SY_EESZ_S10_S11_S12_S16_S17_S18_S1B_S1C_jS1D_jS1E_S1E_jjS1G_bEUljE0_EEESZ_S10_S11_S18_S1C_S1E_T6_T7_T9_mT8_S1G_bDpT10_ENKUlT_T0_E_clISt17integral_constantIbLb0EES1U_EEDaS1P_S1Q_EUlS1P_E_NS1_11comp_targetILNS1_3genE10ELNS1_11target_archE1200ELNS1_3gpuE4ELNS1_3repE0EEENS1_30default_config_static_selectorELNS0_4arch9wavefront6targetE0EEEvS12_,@function
_ZN7rocprim17ROCPRIM_400000_NS6detail17trampoline_kernelINS0_13select_configILj256ELj13ELNS0_17block_load_methodE3ELS4_3ELS4_3ELNS0_20block_scan_algorithmE0ELj4294967295EEENS1_25partition_config_selectorILNS1_17partition_subalgoE4EjNS0_10empty_typeEbEEZZNS1_14partition_implILS8_4ELb0ES6_15HIP_vector_typeIjLj2EENS0_17counting_iteratorIjlEEPS9_SG_NS0_5tupleIJPjSI_NS0_16reverse_iteratorISI_EEEEENSH_IJSG_SG_SG_EEES9_SI_JZNS1_25segmented_radix_sort_implINS0_14default_configELb1EPKaPaPKlPlN2at6native12_GLOBAL__N_18offset_tEEE10hipError_tPvRmT1_PNSt15iterator_traitsIS12_E10value_typeET2_T3_PNS13_IS18_E10value_typeET4_jRbjT5_S1E_jjP12ihipStream_tbEUljE_ZNSN_ISO_Lb1ESQ_SR_ST_SU_SY_EESZ_S10_S11_S12_S16_S17_S18_S1B_S1C_jS1D_jS1E_S1E_jjS1G_bEUljE0_EEESZ_S10_S11_S18_S1C_S1E_T6_T7_T9_mT8_S1G_bDpT10_ENKUlT_T0_E_clISt17integral_constantIbLb0EES1U_EEDaS1P_S1Q_EUlS1P_E_NS1_11comp_targetILNS1_3genE10ELNS1_11target_archE1200ELNS1_3gpuE4ELNS1_3repE0EEENS1_30default_config_static_selectorELNS0_4arch9wavefront6targetE0EEEvS12_: ; @_ZN7rocprim17ROCPRIM_400000_NS6detail17trampoline_kernelINS0_13select_configILj256ELj13ELNS0_17block_load_methodE3ELS4_3ELS4_3ELNS0_20block_scan_algorithmE0ELj4294967295EEENS1_25partition_config_selectorILNS1_17partition_subalgoE4EjNS0_10empty_typeEbEEZZNS1_14partition_implILS8_4ELb0ES6_15HIP_vector_typeIjLj2EENS0_17counting_iteratorIjlEEPS9_SG_NS0_5tupleIJPjSI_NS0_16reverse_iteratorISI_EEEEENSH_IJSG_SG_SG_EEES9_SI_JZNS1_25segmented_radix_sort_implINS0_14default_configELb1EPKaPaPKlPlN2at6native12_GLOBAL__N_18offset_tEEE10hipError_tPvRmT1_PNSt15iterator_traitsIS12_E10value_typeET2_T3_PNS13_IS18_E10value_typeET4_jRbjT5_S1E_jjP12ihipStream_tbEUljE_ZNSN_ISO_Lb1ESQ_SR_ST_SU_SY_EESZ_S10_S11_S12_S16_S17_S18_S1B_S1C_jS1D_jS1E_S1E_jjS1G_bEUljE0_EEESZ_S10_S11_S18_S1C_S1E_T6_T7_T9_mT8_S1G_bDpT10_ENKUlT_T0_E_clISt17integral_constantIbLb0EES1U_EEDaS1P_S1Q_EUlS1P_E_NS1_11comp_targetILNS1_3genE10ELNS1_11target_archE1200ELNS1_3gpuE4ELNS1_3repE0EEENS1_30default_config_static_selectorELNS0_4arch9wavefront6targetE0EEEvS12_
; %bb.0:
	.section	.rodata,"a",@progbits
	.p2align	6, 0x0
	.amdhsa_kernel _ZN7rocprim17ROCPRIM_400000_NS6detail17trampoline_kernelINS0_13select_configILj256ELj13ELNS0_17block_load_methodE3ELS4_3ELS4_3ELNS0_20block_scan_algorithmE0ELj4294967295EEENS1_25partition_config_selectorILNS1_17partition_subalgoE4EjNS0_10empty_typeEbEEZZNS1_14partition_implILS8_4ELb0ES6_15HIP_vector_typeIjLj2EENS0_17counting_iteratorIjlEEPS9_SG_NS0_5tupleIJPjSI_NS0_16reverse_iteratorISI_EEEEENSH_IJSG_SG_SG_EEES9_SI_JZNS1_25segmented_radix_sort_implINS0_14default_configELb1EPKaPaPKlPlN2at6native12_GLOBAL__N_18offset_tEEE10hipError_tPvRmT1_PNSt15iterator_traitsIS12_E10value_typeET2_T3_PNS13_IS18_E10value_typeET4_jRbjT5_S1E_jjP12ihipStream_tbEUljE_ZNSN_ISO_Lb1ESQ_SR_ST_SU_SY_EESZ_S10_S11_S12_S16_S17_S18_S1B_S1C_jS1D_jS1E_S1E_jjS1G_bEUljE0_EEESZ_S10_S11_S18_S1C_S1E_T6_T7_T9_mT8_S1G_bDpT10_ENKUlT_T0_E_clISt17integral_constantIbLb0EES1U_EEDaS1P_S1Q_EUlS1P_E_NS1_11comp_targetILNS1_3genE10ELNS1_11target_archE1200ELNS1_3gpuE4ELNS1_3repE0EEENS1_30default_config_static_selectorELNS0_4arch9wavefront6targetE0EEEvS12_
		.amdhsa_group_segment_fixed_size 0
		.amdhsa_private_segment_fixed_size 0
		.amdhsa_kernarg_size 176
		.amdhsa_user_sgpr_count 6
		.amdhsa_user_sgpr_private_segment_buffer 1
		.amdhsa_user_sgpr_dispatch_ptr 0
		.amdhsa_user_sgpr_queue_ptr 0
		.amdhsa_user_sgpr_kernarg_segment_ptr 1
		.amdhsa_user_sgpr_dispatch_id 0
		.amdhsa_user_sgpr_flat_scratch_init 0
		.amdhsa_user_sgpr_private_segment_size 0
		.amdhsa_wavefront_size32 1
		.amdhsa_uses_dynamic_stack 0
		.amdhsa_system_sgpr_private_segment_wavefront_offset 0
		.amdhsa_system_sgpr_workgroup_id_x 1
		.amdhsa_system_sgpr_workgroup_id_y 0
		.amdhsa_system_sgpr_workgroup_id_z 0
		.amdhsa_system_sgpr_workgroup_info 0
		.amdhsa_system_vgpr_workitem_id 0
		.amdhsa_next_free_vgpr 1
		.amdhsa_next_free_sgpr 1
		.amdhsa_reserve_vcc 0
		.amdhsa_reserve_flat_scratch 0
		.amdhsa_float_round_mode_32 0
		.amdhsa_float_round_mode_16_64 0
		.amdhsa_float_denorm_mode_32 3
		.amdhsa_float_denorm_mode_16_64 3
		.amdhsa_dx10_clamp 1
		.amdhsa_ieee_mode 1
		.amdhsa_fp16_overflow 0
		.amdhsa_workgroup_processor_mode 1
		.amdhsa_memory_ordered 1
		.amdhsa_forward_progress 1
		.amdhsa_shared_vgpr_count 0
		.amdhsa_exception_fp_ieee_invalid_op 0
		.amdhsa_exception_fp_denorm_src 0
		.amdhsa_exception_fp_ieee_div_zero 0
		.amdhsa_exception_fp_ieee_overflow 0
		.amdhsa_exception_fp_ieee_underflow 0
		.amdhsa_exception_fp_ieee_inexact 0
		.amdhsa_exception_int_div_zero 0
	.end_amdhsa_kernel
	.section	.text._ZN7rocprim17ROCPRIM_400000_NS6detail17trampoline_kernelINS0_13select_configILj256ELj13ELNS0_17block_load_methodE3ELS4_3ELS4_3ELNS0_20block_scan_algorithmE0ELj4294967295EEENS1_25partition_config_selectorILNS1_17partition_subalgoE4EjNS0_10empty_typeEbEEZZNS1_14partition_implILS8_4ELb0ES6_15HIP_vector_typeIjLj2EENS0_17counting_iteratorIjlEEPS9_SG_NS0_5tupleIJPjSI_NS0_16reverse_iteratorISI_EEEEENSH_IJSG_SG_SG_EEES9_SI_JZNS1_25segmented_radix_sort_implINS0_14default_configELb1EPKaPaPKlPlN2at6native12_GLOBAL__N_18offset_tEEE10hipError_tPvRmT1_PNSt15iterator_traitsIS12_E10value_typeET2_T3_PNS13_IS18_E10value_typeET4_jRbjT5_S1E_jjP12ihipStream_tbEUljE_ZNSN_ISO_Lb1ESQ_SR_ST_SU_SY_EESZ_S10_S11_S12_S16_S17_S18_S1B_S1C_jS1D_jS1E_S1E_jjS1G_bEUljE0_EEESZ_S10_S11_S18_S1C_S1E_T6_T7_T9_mT8_S1G_bDpT10_ENKUlT_T0_E_clISt17integral_constantIbLb0EES1U_EEDaS1P_S1Q_EUlS1P_E_NS1_11comp_targetILNS1_3genE10ELNS1_11target_archE1200ELNS1_3gpuE4ELNS1_3repE0EEENS1_30default_config_static_selectorELNS0_4arch9wavefront6targetE0EEEvS12_,"axG",@progbits,_ZN7rocprim17ROCPRIM_400000_NS6detail17trampoline_kernelINS0_13select_configILj256ELj13ELNS0_17block_load_methodE3ELS4_3ELS4_3ELNS0_20block_scan_algorithmE0ELj4294967295EEENS1_25partition_config_selectorILNS1_17partition_subalgoE4EjNS0_10empty_typeEbEEZZNS1_14partition_implILS8_4ELb0ES6_15HIP_vector_typeIjLj2EENS0_17counting_iteratorIjlEEPS9_SG_NS0_5tupleIJPjSI_NS0_16reverse_iteratorISI_EEEEENSH_IJSG_SG_SG_EEES9_SI_JZNS1_25segmented_radix_sort_implINS0_14default_configELb1EPKaPaPKlPlN2at6native12_GLOBAL__N_18offset_tEEE10hipError_tPvRmT1_PNSt15iterator_traitsIS12_E10value_typeET2_T3_PNS13_IS18_E10value_typeET4_jRbjT5_S1E_jjP12ihipStream_tbEUljE_ZNSN_ISO_Lb1ESQ_SR_ST_SU_SY_EESZ_S10_S11_S12_S16_S17_S18_S1B_S1C_jS1D_jS1E_S1E_jjS1G_bEUljE0_EEESZ_S10_S11_S18_S1C_S1E_T6_T7_T9_mT8_S1G_bDpT10_ENKUlT_T0_E_clISt17integral_constantIbLb0EES1U_EEDaS1P_S1Q_EUlS1P_E_NS1_11comp_targetILNS1_3genE10ELNS1_11target_archE1200ELNS1_3gpuE4ELNS1_3repE0EEENS1_30default_config_static_selectorELNS0_4arch9wavefront6targetE0EEEvS12_,comdat
.Lfunc_end229:
	.size	_ZN7rocprim17ROCPRIM_400000_NS6detail17trampoline_kernelINS0_13select_configILj256ELj13ELNS0_17block_load_methodE3ELS4_3ELS4_3ELNS0_20block_scan_algorithmE0ELj4294967295EEENS1_25partition_config_selectorILNS1_17partition_subalgoE4EjNS0_10empty_typeEbEEZZNS1_14partition_implILS8_4ELb0ES6_15HIP_vector_typeIjLj2EENS0_17counting_iteratorIjlEEPS9_SG_NS0_5tupleIJPjSI_NS0_16reverse_iteratorISI_EEEEENSH_IJSG_SG_SG_EEES9_SI_JZNS1_25segmented_radix_sort_implINS0_14default_configELb1EPKaPaPKlPlN2at6native12_GLOBAL__N_18offset_tEEE10hipError_tPvRmT1_PNSt15iterator_traitsIS12_E10value_typeET2_T3_PNS13_IS18_E10value_typeET4_jRbjT5_S1E_jjP12ihipStream_tbEUljE_ZNSN_ISO_Lb1ESQ_SR_ST_SU_SY_EESZ_S10_S11_S12_S16_S17_S18_S1B_S1C_jS1D_jS1E_S1E_jjS1G_bEUljE0_EEESZ_S10_S11_S18_S1C_S1E_T6_T7_T9_mT8_S1G_bDpT10_ENKUlT_T0_E_clISt17integral_constantIbLb0EES1U_EEDaS1P_S1Q_EUlS1P_E_NS1_11comp_targetILNS1_3genE10ELNS1_11target_archE1200ELNS1_3gpuE4ELNS1_3repE0EEENS1_30default_config_static_selectorELNS0_4arch9wavefront6targetE0EEEvS12_, .Lfunc_end229-_ZN7rocprim17ROCPRIM_400000_NS6detail17trampoline_kernelINS0_13select_configILj256ELj13ELNS0_17block_load_methodE3ELS4_3ELS4_3ELNS0_20block_scan_algorithmE0ELj4294967295EEENS1_25partition_config_selectorILNS1_17partition_subalgoE4EjNS0_10empty_typeEbEEZZNS1_14partition_implILS8_4ELb0ES6_15HIP_vector_typeIjLj2EENS0_17counting_iteratorIjlEEPS9_SG_NS0_5tupleIJPjSI_NS0_16reverse_iteratorISI_EEEEENSH_IJSG_SG_SG_EEES9_SI_JZNS1_25segmented_radix_sort_implINS0_14default_configELb1EPKaPaPKlPlN2at6native12_GLOBAL__N_18offset_tEEE10hipError_tPvRmT1_PNSt15iterator_traitsIS12_E10value_typeET2_T3_PNS13_IS18_E10value_typeET4_jRbjT5_S1E_jjP12ihipStream_tbEUljE_ZNSN_ISO_Lb1ESQ_SR_ST_SU_SY_EESZ_S10_S11_S12_S16_S17_S18_S1B_S1C_jS1D_jS1E_S1E_jjS1G_bEUljE0_EEESZ_S10_S11_S18_S1C_S1E_T6_T7_T9_mT8_S1G_bDpT10_ENKUlT_T0_E_clISt17integral_constantIbLb0EES1U_EEDaS1P_S1Q_EUlS1P_E_NS1_11comp_targetILNS1_3genE10ELNS1_11target_archE1200ELNS1_3gpuE4ELNS1_3repE0EEENS1_30default_config_static_selectorELNS0_4arch9wavefront6targetE0EEEvS12_
                                        ; -- End function
	.set _ZN7rocprim17ROCPRIM_400000_NS6detail17trampoline_kernelINS0_13select_configILj256ELj13ELNS0_17block_load_methodE3ELS4_3ELS4_3ELNS0_20block_scan_algorithmE0ELj4294967295EEENS1_25partition_config_selectorILNS1_17partition_subalgoE4EjNS0_10empty_typeEbEEZZNS1_14partition_implILS8_4ELb0ES6_15HIP_vector_typeIjLj2EENS0_17counting_iteratorIjlEEPS9_SG_NS0_5tupleIJPjSI_NS0_16reverse_iteratorISI_EEEEENSH_IJSG_SG_SG_EEES9_SI_JZNS1_25segmented_radix_sort_implINS0_14default_configELb1EPKaPaPKlPlN2at6native12_GLOBAL__N_18offset_tEEE10hipError_tPvRmT1_PNSt15iterator_traitsIS12_E10value_typeET2_T3_PNS13_IS18_E10value_typeET4_jRbjT5_S1E_jjP12ihipStream_tbEUljE_ZNSN_ISO_Lb1ESQ_SR_ST_SU_SY_EESZ_S10_S11_S12_S16_S17_S18_S1B_S1C_jS1D_jS1E_S1E_jjS1G_bEUljE0_EEESZ_S10_S11_S18_S1C_S1E_T6_T7_T9_mT8_S1G_bDpT10_ENKUlT_T0_E_clISt17integral_constantIbLb0EES1U_EEDaS1P_S1Q_EUlS1P_E_NS1_11comp_targetILNS1_3genE10ELNS1_11target_archE1200ELNS1_3gpuE4ELNS1_3repE0EEENS1_30default_config_static_selectorELNS0_4arch9wavefront6targetE0EEEvS12_.num_vgpr, 0
	.set _ZN7rocprim17ROCPRIM_400000_NS6detail17trampoline_kernelINS0_13select_configILj256ELj13ELNS0_17block_load_methodE3ELS4_3ELS4_3ELNS0_20block_scan_algorithmE0ELj4294967295EEENS1_25partition_config_selectorILNS1_17partition_subalgoE4EjNS0_10empty_typeEbEEZZNS1_14partition_implILS8_4ELb0ES6_15HIP_vector_typeIjLj2EENS0_17counting_iteratorIjlEEPS9_SG_NS0_5tupleIJPjSI_NS0_16reverse_iteratorISI_EEEEENSH_IJSG_SG_SG_EEES9_SI_JZNS1_25segmented_radix_sort_implINS0_14default_configELb1EPKaPaPKlPlN2at6native12_GLOBAL__N_18offset_tEEE10hipError_tPvRmT1_PNSt15iterator_traitsIS12_E10value_typeET2_T3_PNS13_IS18_E10value_typeET4_jRbjT5_S1E_jjP12ihipStream_tbEUljE_ZNSN_ISO_Lb1ESQ_SR_ST_SU_SY_EESZ_S10_S11_S12_S16_S17_S18_S1B_S1C_jS1D_jS1E_S1E_jjS1G_bEUljE0_EEESZ_S10_S11_S18_S1C_S1E_T6_T7_T9_mT8_S1G_bDpT10_ENKUlT_T0_E_clISt17integral_constantIbLb0EES1U_EEDaS1P_S1Q_EUlS1P_E_NS1_11comp_targetILNS1_3genE10ELNS1_11target_archE1200ELNS1_3gpuE4ELNS1_3repE0EEENS1_30default_config_static_selectorELNS0_4arch9wavefront6targetE0EEEvS12_.num_agpr, 0
	.set _ZN7rocprim17ROCPRIM_400000_NS6detail17trampoline_kernelINS0_13select_configILj256ELj13ELNS0_17block_load_methodE3ELS4_3ELS4_3ELNS0_20block_scan_algorithmE0ELj4294967295EEENS1_25partition_config_selectorILNS1_17partition_subalgoE4EjNS0_10empty_typeEbEEZZNS1_14partition_implILS8_4ELb0ES6_15HIP_vector_typeIjLj2EENS0_17counting_iteratorIjlEEPS9_SG_NS0_5tupleIJPjSI_NS0_16reverse_iteratorISI_EEEEENSH_IJSG_SG_SG_EEES9_SI_JZNS1_25segmented_radix_sort_implINS0_14default_configELb1EPKaPaPKlPlN2at6native12_GLOBAL__N_18offset_tEEE10hipError_tPvRmT1_PNSt15iterator_traitsIS12_E10value_typeET2_T3_PNS13_IS18_E10value_typeET4_jRbjT5_S1E_jjP12ihipStream_tbEUljE_ZNSN_ISO_Lb1ESQ_SR_ST_SU_SY_EESZ_S10_S11_S12_S16_S17_S18_S1B_S1C_jS1D_jS1E_S1E_jjS1G_bEUljE0_EEESZ_S10_S11_S18_S1C_S1E_T6_T7_T9_mT8_S1G_bDpT10_ENKUlT_T0_E_clISt17integral_constantIbLb0EES1U_EEDaS1P_S1Q_EUlS1P_E_NS1_11comp_targetILNS1_3genE10ELNS1_11target_archE1200ELNS1_3gpuE4ELNS1_3repE0EEENS1_30default_config_static_selectorELNS0_4arch9wavefront6targetE0EEEvS12_.numbered_sgpr, 0
	.set _ZN7rocprim17ROCPRIM_400000_NS6detail17trampoline_kernelINS0_13select_configILj256ELj13ELNS0_17block_load_methodE3ELS4_3ELS4_3ELNS0_20block_scan_algorithmE0ELj4294967295EEENS1_25partition_config_selectorILNS1_17partition_subalgoE4EjNS0_10empty_typeEbEEZZNS1_14partition_implILS8_4ELb0ES6_15HIP_vector_typeIjLj2EENS0_17counting_iteratorIjlEEPS9_SG_NS0_5tupleIJPjSI_NS0_16reverse_iteratorISI_EEEEENSH_IJSG_SG_SG_EEES9_SI_JZNS1_25segmented_radix_sort_implINS0_14default_configELb1EPKaPaPKlPlN2at6native12_GLOBAL__N_18offset_tEEE10hipError_tPvRmT1_PNSt15iterator_traitsIS12_E10value_typeET2_T3_PNS13_IS18_E10value_typeET4_jRbjT5_S1E_jjP12ihipStream_tbEUljE_ZNSN_ISO_Lb1ESQ_SR_ST_SU_SY_EESZ_S10_S11_S12_S16_S17_S18_S1B_S1C_jS1D_jS1E_S1E_jjS1G_bEUljE0_EEESZ_S10_S11_S18_S1C_S1E_T6_T7_T9_mT8_S1G_bDpT10_ENKUlT_T0_E_clISt17integral_constantIbLb0EES1U_EEDaS1P_S1Q_EUlS1P_E_NS1_11comp_targetILNS1_3genE10ELNS1_11target_archE1200ELNS1_3gpuE4ELNS1_3repE0EEENS1_30default_config_static_selectorELNS0_4arch9wavefront6targetE0EEEvS12_.num_named_barrier, 0
	.set _ZN7rocprim17ROCPRIM_400000_NS6detail17trampoline_kernelINS0_13select_configILj256ELj13ELNS0_17block_load_methodE3ELS4_3ELS4_3ELNS0_20block_scan_algorithmE0ELj4294967295EEENS1_25partition_config_selectorILNS1_17partition_subalgoE4EjNS0_10empty_typeEbEEZZNS1_14partition_implILS8_4ELb0ES6_15HIP_vector_typeIjLj2EENS0_17counting_iteratorIjlEEPS9_SG_NS0_5tupleIJPjSI_NS0_16reverse_iteratorISI_EEEEENSH_IJSG_SG_SG_EEES9_SI_JZNS1_25segmented_radix_sort_implINS0_14default_configELb1EPKaPaPKlPlN2at6native12_GLOBAL__N_18offset_tEEE10hipError_tPvRmT1_PNSt15iterator_traitsIS12_E10value_typeET2_T3_PNS13_IS18_E10value_typeET4_jRbjT5_S1E_jjP12ihipStream_tbEUljE_ZNSN_ISO_Lb1ESQ_SR_ST_SU_SY_EESZ_S10_S11_S12_S16_S17_S18_S1B_S1C_jS1D_jS1E_S1E_jjS1G_bEUljE0_EEESZ_S10_S11_S18_S1C_S1E_T6_T7_T9_mT8_S1G_bDpT10_ENKUlT_T0_E_clISt17integral_constantIbLb0EES1U_EEDaS1P_S1Q_EUlS1P_E_NS1_11comp_targetILNS1_3genE10ELNS1_11target_archE1200ELNS1_3gpuE4ELNS1_3repE0EEENS1_30default_config_static_selectorELNS0_4arch9wavefront6targetE0EEEvS12_.private_seg_size, 0
	.set _ZN7rocprim17ROCPRIM_400000_NS6detail17trampoline_kernelINS0_13select_configILj256ELj13ELNS0_17block_load_methodE3ELS4_3ELS4_3ELNS0_20block_scan_algorithmE0ELj4294967295EEENS1_25partition_config_selectorILNS1_17partition_subalgoE4EjNS0_10empty_typeEbEEZZNS1_14partition_implILS8_4ELb0ES6_15HIP_vector_typeIjLj2EENS0_17counting_iteratorIjlEEPS9_SG_NS0_5tupleIJPjSI_NS0_16reverse_iteratorISI_EEEEENSH_IJSG_SG_SG_EEES9_SI_JZNS1_25segmented_radix_sort_implINS0_14default_configELb1EPKaPaPKlPlN2at6native12_GLOBAL__N_18offset_tEEE10hipError_tPvRmT1_PNSt15iterator_traitsIS12_E10value_typeET2_T3_PNS13_IS18_E10value_typeET4_jRbjT5_S1E_jjP12ihipStream_tbEUljE_ZNSN_ISO_Lb1ESQ_SR_ST_SU_SY_EESZ_S10_S11_S12_S16_S17_S18_S1B_S1C_jS1D_jS1E_S1E_jjS1G_bEUljE0_EEESZ_S10_S11_S18_S1C_S1E_T6_T7_T9_mT8_S1G_bDpT10_ENKUlT_T0_E_clISt17integral_constantIbLb0EES1U_EEDaS1P_S1Q_EUlS1P_E_NS1_11comp_targetILNS1_3genE10ELNS1_11target_archE1200ELNS1_3gpuE4ELNS1_3repE0EEENS1_30default_config_static_selectorELNS0_4arch9wavefront6targetE0EEEvS12_.uses_vcc, 0
	.set _ZN7rocprim17ROCPRIM_400000_NS6detail17trampoline_kernelINS0_13select_configILj256ELj13ELNS0_17block_load_methodE3ELS4_3ELS4_3ELNS0_20block_scan_algorithmE0ELj4294967295EEENS1_25partition_config_selectorILNS1_17partition_subalgoE4EjNS0_10empty_typeEbEEZZNS1_14partition_implILS8_4ELb0ES6_15HIP_vector_typeIjLj2EENS0_17counting_iteratorIjlEEPS9_SG_NS0_5tupleIJPjSI_NS0_16reverse_iteratorISI_EEEEENSH_IJSG_SG_SG_EEES9_SI_JZNS1_25segmented_radix_sort_implINS0_14default_configELb1EPKaPaPKlPlN2at6native12_GLOBAL__N_18offset_tEEE10hipError_tPvRmT1_PNSt15iterator_traitsIS12_E10value_typeET2_T3_PNS13_IS18_E10value_typeET4_jRbjT5_S1E_jjP12ihipStream_tbEUljE_ZNSN_ISO_Lb1ESQ_SR_ST_SU_SY_EESZ_S10_S11_S12_S16_S17_S18_S1B_S1C_jS1D_jS1E_S1E_jjS1G_bEUljE0_EEESZ_S10_S11_S18_S1C_S1E_T6_T7_T9_mT8_S1G_bDpT10_ENKUlT_T0_E_clISt17integral_constantIbLb0EES1U_EEDaS1P_S1Q_EUlS1P_E_NS1_11comp_targetILNS1_3genE10ELNS1_11target_archE1200ELNS1_3gpuE4ELNS1_3repE0EEENS1_30default_config_static_selectorELNS0_4arch9wavefront6targetE0EEEvS12_.uses_flat_scratch, 0
	.set _ZN7rocprim17ROCPRIM_400000_NS6detail17trampoline_kernelINS0_13select_configILj256ELj13ELNS0_17block_load_methodE3ELS4_3ELS4_3ELNS0_20block_scan_algorithmE0ELj4294967295EEENS1_25partition_config_selectorILNS1_17partition_subalgoE4EjNS0_10empty_typeEbEEZZNS1_14partition_implILS8_4ELb0ES6_15HIP_vector_typeIjLj2EENS0_17counting_iteratorIjlEEPS9_SG_NS0_5tupleIJPjSI_NS0_16reverse_iteratorISI_EEEEENSH_IJSG_SG_SG_EEES9_SI_JZNS1_25segmented_radix_sort_implINS0_14default_configELb1EPKaPaPKlPlN2at6native12_GLOBAL__N_18offset_tEEE10hipError_tPvRmT1_PNSt15iterator_traitsIS12_E10value_typeET2_T3_PNS13_IS18_E10value_typeET4_jRbjT5_S1E_jjP12ihipStream_tbEUljE_ZNSN_ISO_Lb1ESQ_SR_ST_SU_SY_EESZ_S10_S11_S12_S16_S17_S18_S1B_S1C_jS1D_jS1E_S1E_jjS1G_bEUljE0_EEESZ_S10_S11_S18_S1C_S1E_T6_T7_T9_mT8_S1G_bDpT10_ENKUlT_T0_E_clISt17integral_constantIbLb0EES1U_EEDaS1P_S1Q_EUlS1P_E_NS1_11comp_targetILNS1_3genE10ELNS1_11target_archE1200ELNS1_3gpuE4ELNS1_3repE0EEENS1_30default_config_static_selectorELNS0_4arch9wavefront6targetE0EEEvS12_.has_dyn_sized_stack, 0
	.set _ZN7rocprim17ROCPRIM_400000_NS6detail17trampoline_kernelINS0_13select_configILj256ELj13ELNS0_17block_load_methodE3ELS4_3ELS4_3ELNS0_20block_scan_algorithmE0ELj4294967295EEENS1_25partition_config_selectorILNS1_17partition_subalgoE4EjNS0_10empty_typeEbEEZZNS1_14partition_implILS8_4ELb0ES6_15HIP_vector_typeIjLj2EENS0_17counting_iteratorIjlEEPS9_SG_NS0_5tupleIJPjSI_NS0_16reverse_iteratorISI_EEEEENSH_IJSG_SG_SG_EEES9_SI_JZNS1_25segmented_radix_sort_implINS0_14default_configELb1EPKaPaPKlPlN2at6native12_GLOBAL__N_18offset_tEEE10hipError_tPvRmT1_PNSt15iterator_traitsIS12_E10value_typeET2_T3_PNS13_IS18_E10value_typeET4_jRbjT5_S1E_jjP12ihipStream_tbEUljE_ZNSN_ISO_Lb1ESQ_SR_ST_SU_SY_EESZ_S10_S11_S12_S16_S17_S18_S1B_S1C_jS1D_jS1E_S1E_jjS1G_bEUljE0_EEESZ_S10_S11_S18_S1C_S1E_T6_T7_T9_mT8_S1G_bDpT10_ENKUlT_T0_E_clISt17integral_constantIbLb0EES1U_EEDaS1P_S1Q_EUlS1P_E_NS1_11comp_targetILNS1_3genE10ELNS1_11target_archE1200ELNS1_3gpuE4ELNS1_3repE0EEENS1_30default_config_static_selectorELNS0_4arch9wavefront6targetE0EEEvS12_.has_recursion, 0
	.set _ZN7rocprim17ROCPRIM_400000_NS6detail17trampoline_kernelINS0_13select_configILj256ELj13ELNS0_17block_load_methodE3ELS4_3ELS4_3ELNS0_20block_scan_algorithmE0ELj4294967295EEENS1_25partition_config_selectorILNS1_17partition_subalgoE4EjNS0_10empty_typeEbEEZZNS1_14partition_implILS8_4ELb0ES6_15HIP_vector_typeIjLj2EENS0_17counting_iteratorIjlEEPS9_SG_NS0_5tupleIJPjSI_NS0_16reverse_iteratorISI_EEEEENSH_IJSG_SG_SG_EEES9_SI_JZNS1_25segmented_radix_sort_implINS0_14default_configELb1EPKaPaPKlPlN2at6native12_GLOBAL__N_18offset_tEEE10hipError_tPvRmT1_PNSt15iterator_traitsIS12_E10value_typeET2_T3_PNS13_IS18_E10value_typeET4_jRbjT5_S1E_jjP12ihipStream_tbEUljE_ZNSN_ISO_Lb1ESQ_SR_ST_SU_SY_EESZ_S10_S11_S12_S16_S17_S18_S1B_S1C_jS1D_jS1E_S1E_jjS1G_bEUljE0_EEESZ_S10_S11_S18_S1C_S1E_T6_T7_T9_mT8_S1G_bDpT10_ENKUlT_T0_E_clISt17integral_constantIbLb0EES1U_EEDaS1P_S1Q_EUlS1P_E_NS1_11comp_targetILNS1_3genE10ELNS1_11target_archE1200ELNS1_3gpuE4ELNS1_3repE0EEENS1_30default_config_static_selectorELNS0_4arch9wavefront6targetE0EEEvS12_.has_indirect_call, 0
	.section	.AMDGPU.csdata,"",@progbits
; Kernel info:
; codeLenInByte = 0
; TotalNumSgprs: 0
; NumVgprs: 0
; ScratchSize: 0
; MemoryBound: 0
; FloatMode: 240
; IeeeMode: 1
; LDSByteSize: 0 bytes/workgroup (compile time only)
; SGPRBlocks: 0
; VGPRBlocks: 0
; NumSGPRsForWavesPerEU: 1
; NumVGPRsForWavesPerEU: 1
; Occupancy: 16
; WaveLimiterHint : 0
; COMPUTE_PGM_RSRC2:SCRATCH_EN: 0
; COMPUTE_PGM_RSRC2:USER_SGPR: 6
; COMPUTE_PGM_RSRC2:TRAP_HANDLER: 0
; COMPUTE_PGM_RSRC2:TGID_X_EN: 1
; COMPUTE_PGM_RSRC2:TGID_Y_EN: 0
; COMPUTE_PGM_RSRC2:TGID_Z_EN: 0
; COMPUTE_PGM_RSRC2:TIDIG_COMP_CNT: 0
	.section	.text._ZN7rocprim17ROCPRIM_400000_NS6detail17trampoline_kernelINS0_13select_configILj256ELj13ELNS0_17block_load_methodE3ELS4_3ELS4_3ELNS0_20block_scan_algorithmE0ELj4294967295EEENS1_25partition_config_selectorILNS1_17partition_subalgoE4EjNS0_10empty_typeEbEEZZNS1_14partition_implILS8_4ELb0ES6_15HIP_vector_typeIjLj2EENS0_17counting_iteratorIjlEEPS9_SG_NS0_5tupleIJPjSI_NS0_16reverse_iteratorISI_EEEEENSH_IJSG_SG_SG_EEES9_SI_JZNS1_25segmented_radix_sort_implINS0_14default_configELb1EPKaPaPKlPlN2at6native12_GLOBAL__N_18offset_tEEE10hipError_tPvRmT1_PNSt15iterator_traitsIS12_E10value_typeET2_T3_PNS13_IS18_E10value_typeET4_jRbjT5_S1E_jjP12ihipStream_tbEUljE_ZNSN_ISO_Lb1ESQ_SR_ST_SU_SY_EESZ_S10_S11_S12_S16_S17_S18_S1B_S1C_jS1D_jS1E_S1E_jjS1G_bEUljE0_EEESZ_S10_S11_S18_S1C_S1E_T6_T7_T9_mT8_S1G_bDpT10_ENKUlT_T0_E_clISt17integral_constantIbLb0EES1U_EEDaS1P_S1Q_EUlS1P_E_NS1_11comp_targetILNS1_3genE9ELNS1_11target_archE1100ELNS1_3gpuE3ELNS1_3repE0EEENS1_30default_config_static_selectorELNS0_4arch9wavefront6targetE0EEEvS12_,"axG",@progbits,_ZN7rocprim17ROCPRIM_400000_NS6detail17trampoline_kernelINS0_13select_configILj256ELj13ELNS0_17block_load_methodE3ELS4_3ELS4_3ELNS0_20block_scan_algorithmE0ELj4294967295EEENS1_25partition_config_selectorILNS1_17partition_subalgoE4EjNS0_10empty_typeEbEEZZNS1_14partition_implILS8_4ELb0ES6_15HIP_vector_typeIjLj2EENS0_17counting_iteratorIjlEEPS9_SG_NS0_5tupleIJPjSI_NS0_16reverse_iteratorISI_EEEEENSH_IJSG_SG_SG_EEES9_SI_JZNS1_25segmented_radix_sort_implINS0_14default_configELb1EPKaPaPKlPlN2at6native12_GLOBAL__N_18offset_tEEE10hipError_tPvRmT1_PNSt15iterator_traitsIS12_E10value_typeET2_T3_PNS13_IS18_E10value_typeET4_jRbjT5_S1E_jjP12ihipStream_tbEUljE_ZNSN_ISO_Lb1ESQ_SR_ST_SU_SY_EESZ_S10_S11_S12_S16_S17_S18_S1B_S1C_jS1D_jS1E_S1E_jjS1G_bEUljE0_EEESZ_S10_S11_S18_S1C_S1E_T6_T7_T9_mT8_S1G_bDpT10_ENKUlT_T0_E_clISt17integral_constantIbLb0EES1U_EEDaS1P_S1Q_EUlS1P_E_NS1_11comp_targetILNS1_3genE9ELNS1_11target_archE1100ELNS1_3gpuE3ELNS1_3repE0EEENS1_30default_config_static_selectorELNS0_4arch9wavefront6targetE0EEEvS12_,comdat
	.globl	_ZN7rocprim17ROCPRIM_400000_NS6detail17trampoline_kernelINS0_13select_configILj256ELj13ELNS0_17block_load_methodE3ELS4_3ELS4_3ELNS0_20block_scan_algorithmE0ELj4294967295EEENS1_25partition_config_selectorILNS1_17partition_subalgoE4EjNS0_10empty_typeEbEEZZNS1_14partition_implILS8_4ELb0ES6_15HIP_vector_typeIjLj2EENS0_17counting_iteratorIjlEEPS9_SG_NS0_5tupleIJPjSI_NS0_16reverse_iteratorISI_EEEEENSH_IJSG_SG_SG_EEES9_SI_JZNS1_25segmented_radix_sort_implINS0_14default_configELb1EPKaPaPKlPlN2at6native12_GLOBAL__N_18offset_tEEE10hipError_tPvRmT1_PNSt15iterator_traitsIS12_E10value_typeET2_T3_PNS13_IS18_E10value_typeET4_jRbjT5_S1E_jjP12ihipStream_tbEUljE_ZNSN_ISO_Lb1ESQ_SR_ST_SU_SY_EESZ_S10_S11_S12_S16_S17_S18_S1B_S1C_jS1D_jS1E_S1E_jjS1G_bEUljE0_EEESZ_S10_S11_S18_S1C_S1E_T6_T7_T9_mT8_S1G_bDpT10_ENKUlT_T0_E_clISt17integral_constantIbLb0EES1U_EEDaS1P_S1Q_EUlS1P_E_NS1_11comp_targetILNS1_3genE9ELNS1_11target_archE1100ELNS1_3gpuE3ELNS1_3repE0EEENS1_30default_config_static_selectorELNS0_4arch9wavefront6targetE0EEEvS12_ ; -- Begin function _ZN7rocprim17ROCPRIM_400000_NS6detail17trampoline_kernelINS0_13select_configILj256ELj13ELNS0_17block_load_methodE3ELS4_3ELS4_3ELNS0_20block_scan_algorithmE0ELj4294967295EEENS1_25partition_config_selectorILNS1_17partition_subalgoE4EjNS0_10empty_typeEbEEZZNS1_14partition_implILS8_4ELb0ES6_15HIP_vector_typeIjLj2EENS0_17counting_iteratorIjlEEPS9_SG_NS0_5tupleIJPjSI_NS0_16reverse_iteratorISI_EEEEENSH_IJSG_SG_SG_EEES9_SI_JZNS1_25segmented_radix_sort_implINS0_14default_configELb1EPKaPaPKlPlN2at6native12_GLOBAL__N_18offset_tEEE10hipError_tPvRmT1_PNSt15iterator_traitsIS12_E10value_typeET2_T3_PNS13_IS18_E10value_typeET4_jRbjT5_S1E_jjP12ihipStream_tbEUljE_ZNSN_ISO_Lb1ESQ_SR_ST_SU_SY_EESZ_S10_S11_S12_S16_S17_S18_S1B_S1C_jS1D_jS1E_S1E_jjS1G_bEUljE0_EEESZ_S10_S11_S18_S1C_S1E_T6_T7_T9_mT8_S1G_bDpT10_ENKUlT_T0_E_clISt17integral_constantIbLb0EES1U_EEDaS1P_S1Q_EUlS1P_E_NS1_11comp_targetILNS1_3genE9ELNS1_11target_archE1100ELNS1_3gpuE3ELNS1_3repE0EEENS1_30default_config_static_selectorELNS0_4arch9wavefront6targetE0EEEvS12_
	.p2align	8
	.type	_ZN7rocprim17ROCPRIM_400000_NS6detail17trampoline_kernelINS0_13select_configILj256ELj13ELNS0_17block_load_methodE3ELS4_3ELS4_3ELNS0_20block_scan_algorithmE0ELj4294967295EEENS1_25partition_config_selectorILNS1_17partition_subalgoE4EjNS0_10empty_typeEbEEZZNS1_14partition_implILS8_4ELb0ES6_15HIP_vector_typeIjLj2EENS0_17counting_iteratorIjlEEPS9_SG_NS0_5tupleIJPjSI_NS0_16reverse_iteratorISI_EEEEENSH_IJSG_SG_SG_EEES9_SI_JZNS1_25segmented_radix_sort_implINS0_14default_configELb1EPKaPaPKlPlN2at6native12_GLOBAL__N_18offset_tEEE10hipError_tPvRmT1_PNSt15iterator_traitsIS12_E10value_typeET2_T3_PNS13_IS18_E10value_typeET4_jRbjT5_S1E_jjP12ihipStream_tbEUljE_ZNSN_ISO_Lb1ESQ_SR_ST_SU_SY_EESZ_S10_S11_S12_S16_S17_S18_S1B_S1C_jS1D_jS1E_S1E_jjS1G_bEUljE0_EEESZ_S10_S11_S18_S1C_S1E_T6_T7_T9_mT8_S1G_bDpT10_ENKUlT_T0_E_clISt17integral_constantIbLb0EES1U_EEDaS1P_S1Q_EUlS1P_E_NS1_11comp_targetILNS1_3genE9ELNS1_11target_archE1100ELNS1_3gpuE3ELNS1_3repE0EEENS1_30default_config_static_selectorELNS0_4arch9wavefront6targetE0EEEvS12_,@function
_ZN7rocprim17ROCPRIM_400000_NS6detail17trampoline_kernelINS0_13select_configILj256ELj13ELNS0_17block_load_methodE3ELS4_3ELS4_3ELNS0_20block_scan_algorithmE0ELj4294967295EEENS1_25partition_config_selectorILNS1_17partition_subalgoE4EjNS0_10empty_typeEbEEZZNS1_14partition_implILS8_4ELb0ES6_15HIP_vector_typeIjLj2EENS0_17counting_iteratorIjlEEPS9_SG_NS0_5tupleIJPjSI_NS0_16reverse_iteratorISI_EEEEENSH_IJSG_SG_SG_EEES9_SI_JZNS1_25segmented_radix_sort_implINS0_14default_configELb1EPKaPaPKlPlN2at6native12_GLOBAL__N_18offset_tEEE10hipError_tPvRmT1_PNSt15iterator_traitsIS12_E10value_typeET2_T3_PNS13_IS18_E10value_typeET4_jRbjT5_S1E_jjP12ihipStream_tbEUljE_ZNSN_ISO_Lb1ESQ_SR_ST_SU_SY_EESZ_S10_S11_S12_S16_S17_S18_S1B_S1C_jS1D_jS1E_S1E_jjS1G_bEUljE0_EEESZ_S10_S11_S18_S1C_S1E_T6_T7_T9_mT8_S1G_bDpT10_ENKUlT_T0_E_clISt17integral_constantIbLb0EES1U_EEDaS1P_S1Q_EUlS1P_E_NS1_11comp_targetILNS1_3genE9ELNS1_11target_archE1100ELNS1_3gpuE3ELNS1_3repE0EEENS1_30default_config_static_selectorELNS0_4arch9wavefront6targetE0EEEvS12_: ; @_ZN7rocprim17ROCPRIM_400000_NS6detail17trampoline_kernelINS0_13select_configILj256ELj13ELNS0_17block_load_methodE3ELS4_3ELS4_3ELNS0_20block_scan_algorithmE0ELj4294967295EEENS1_25partition_config_selectorILNS1_17partition_subalgoE4EjNS0_10empty_typeEbEEZZNS1_14partition_implILS8_4ELb0ES6_15HIP_vector_typeIjLj2EENS0_17counting_iteratorIjlEEPS9_SG_NS0_5tupleIJPjSI_NS0_16reverse_iteratorISI_EEEEENSH_IJSG_SG_SG_EEES9_SI_JZNS1_25segmented_radix_sort_implINS0_14default_configELb1EPKaPaPKlPlN2at6native12_GLOBAL__N_18offset_tEEE10hipError_tPvRmT1_PNSt15iterator_traitsIS12_E10value_typeET2_T3_PNS13_IS18_E10value_typeET4_jRbjT5_S1E_jjP12ihipStream_tbEUljE_ZNSN_ISO_Lb1ESQ_SR_ST_SU_SY_EESZ_S10_S11_S12_S16_S17_S18_S1B_S1C_jS1D_jS1E_S1E_jjS1G_bEUljE0_EEESZ_S10_S11_S18_S1C_S1E_T6_T7_T9_mT8_S1G_bDpT10_ENKUlT_T0_E_clISt17integral_constantIbLb0EES1U_EEDaS1P_S1Q_EUlS1P_E_NS1_11comp_targetILNS1_3genE9ELNS1_11target_archE1100ELNS1_3gpuE3ELNS1_3repE0EEENS1_30default_config_static_selectorELNS0_4arch9wavefront6targetE0EEEvS12_
; %bb.0:
	.section	.rodata,"a",@progbits
	.p2align	6, 0x0
	.amdhsa_kernel _ZN7rocprim17ROCPRIM_400000_NS6detail17trampoline_kernelINS0_13select_configILj256ELj13ELNS0_17block_load_methodE3ELS4_3ELS4_3ELNS0_20block_scan_algorithmE0ELj4294967295EEENS1_25partition_config_selectorILNS1_17partition_subalgoE4EjNS0_10empty_typeEbEEZZNS1_14partition_implILS8_4ELb0ES6_15HIP_vector_typeIjLj2EENS0_17counting_iteratorIjlEEPS9_SG_NS0_5tupleIJPjSI_NS0_16reverse_iteratorISI_EEEEENSH_IJSG_SG_SG_EEES9_SI_JZNS1_25segmented_radix_sort_implINS0_14default_configELb1EPKaPaPKlPlN2at6native12_GLOBAL__N_18offset_tEEE10hipError_tPvRmT1_PNSt15iterator_traitsIS12_E10value_typeET2_T3_PNS13_IS18_E10value_typeET4_jRbjT5_S1E_jjP12ihipStream_tbEUljE_ZNSN_ISO_Lb1ESQ_SR_ST_SU_SY_EESZ_S10_S11_S12_S16_S17_S18_S1B_S1C_jS1D_jS1E_S1E_jjS1G_bEUljE0_EEESZ_S10_S11_S18_S1C_S1E_T6_T7_T9_mT8_S1G_bDpT10_ENKUlT_T0_E_clISt17integral_constantIbLb0EES1U_EEDaS1P_S1Q_EUlS1P_E_NS1_11comp_targetILNS1_3genE9ELNS1_11target_archE1100ELNS1_3gpuE3ELNS1_3repE0EEENS1_30default_config_static_selectorELNS0_4arch9wavefront6targetE0EEEvS12_
		.amdhsa_group_segment_fixed_size 0
		.amdhsa_private_segment_fixed_size 0
		.amdhsa_kernarg_size 176
		.amdhsa_user_sgpr_count 6
		.amdhsa_user_sgpr_private_segment_buffer 1
		.amdhsa_user_sgpr_dispatch_ptr 0
		.amdhsa_user_sgpr_queue_ptr 0
		.amdhsa_user_sgpr_kernarg_segment_ptr 1
		.amdhsa_user_sgpr_dispatch_id 0
		.amdhsa_user_sgpr_flat_scratch_init 0
		.amdhsa_user_sgpr_private_segment_size 0
		.amdhsa_wavefront_size32 1
		.amdhsa_uses_dynamic_stack 0
		.amdhsa_system_sgpr_private_segment_wavefront_offset 0
		.amdhsa_system_sgpr_workgroup_id_x 1
		.amdhsa_system_sgpr_workgroup_id_y 0
		.amdhsa_system_sgpr_workgroup_id_z 0
		.amdhsa_system_sgpr_workgroup_info 0
		.amdhsa_system_vgpr_workitem_id 0
		.amdhsa_next_free_vgpr 1
		.amdhsa_next_free_sgpr 1
		.amdhsa_reserve_vcc 0
		.amdhsa_reserve_flat_scratch 0
		.amdhsa_float_round_mode_32 0
		.amdhsa_float_round_mode_16_64 0
		.amdhsa_float_denorm_mode_32 3
		.amdhsa_float_denorm_mode_16_64 3
		.amdhsa_dx10_clamp 1
		.amdhsa_ieee_mode 1
		.amdhsa_fp16_overflow 0
		.amdhsa_workgroup_processor_mode 1
		.amdhsa_memory_ordered 1
		.amdhsa_forward_progress 1
		.amdhsa_shared_vgpr_count 0
		.amdhsa_exception_fp_ieee_invalid_op 0
		.amdhsa_exception_fp_denorm_src 0
		.amdhsa_exception_fp_ieee_div_zero 0
		.amdhsa_exception_fp_ieee_overflow 0
		.amdhsa_exception_fp_ieee_underflow 0
		.amdhsa_exception_fp_ieee_inexact 0
		.amdhsa_exception_int_div_zero 0
	.end_amdhsa_kernel
	.section	.text._ZN7rocprim17ROCPRIM_400000_NS6detail17trampoline_kernelINS0_13select_configILj256ELj13ELNS0_17block_load_methodE3ELS4_3ELS4_3ELNS0_20block_scan_algorithmE0ELj4294967295EEENS1_25partition_config_selectorILNS1_17partition_subalgoE4EjNS0_10empty_typeEbEEZZNS1_14partition_implILS8_4ELb0ES6_15HIP_vector_typeIjLj2EENS0_17counting_iteratorIjlEEPS9_SG_NS0_5tupleIJPjSI_NS0_16reverse_iteratorISI_EEEEENSH_IJSG_SG_SG_EEES9_SI_JZNS1_25segmented_radix_sort_implINS0_14default_configELb1EPKaPaPKlPlN2at6native12_GLOBAL__N_18offset_tEEE10hipError_tPvRmT1_PNSt15iterator_traitsIS12_E10value_typeET2_T3_PNS13_IS18_E10value_typeET4_jRbjT5_S1E_jjP12ihipStream_tbEUljE_ZNSN_ISO_Lb1ESQ_SR_ST_SU_SY_EESZ_S10_S11_S12_S16_S17_S18_S1B_S1C_jS1D_jS1E_S1E_jjS1G_bEUljE0_EEESZ_S10_S11_S18_S1C_S1E_T6_T7_T9_mT8_S1G_bDpT10_ENKUlT_T0_E_clISt17integral_constantIbLb0EES1U_EEDaS1P_S1Q_EUlS1P_E_NS1_11comp_targetILNS1_3genE9ELNS1_11target_archE1100ELNS1_3gpuE3ELNS1_3repE0EEENS1_30default_config_static_selectorELNS0_4arch9wavefront6targetE0EEEvS12_,"axG",@progbits,_ZN7rocprim17ROCPRIM_400000_NS6detail17trampoline_kernelINS0_13select_configILj256ELj13ELNS0_17block_load_methodE3ELS4_3ELS4_3ELNS0_20block_scan_algorithmE0ELj4294967295EEENS1_25partition_config_selectorILNS1_17partition_subalgoE4EjNS0_10empty_typeEbEEZZNS1_14partition_implILS8_4ELb0ES6_15HIP_vector_typeIjLj2EENS0_17counting_iteratorIjlEEPS9_SG_NS0_5tupleIJPjSI_NS0_16reverse_iteratorISI_EEEEENSH_IJSG_SG_SG_EEES9_SI_JZNS1_25segmented_radix_sort_implINS0_14default_configELb1EPKaPaPKlPlN2at6native12_GLOBAL__N_18offset_tEEE10hipError_tPvRmT1_PNSt15iterator_traitsIS12_E10value_typeET2_T3_PNS13_IS18_E10value_typeET4_jRbjT5_S1E_jjP12ihipStream_tbEUljE_ZNSN_ISO_Lb1ESQ_SR_ST_SU_SY_EESZ_S10_S11_S12_S16_S17_S18_S1B_S1C_jS1D_jS1E_S1E_jjS1G_bEUljE0_EEESZ_S10_S11_S18_S1C_S1E_T6_T7_T9_mT8_S1G_bDpT10_ENKUlT_T0_E_clISt17integral_constantIbLb0EES1U_EEDaS1P_S1Q_EUlS1P_E_NS1_11comp_targetILNS1_3genE9ELNS1_11target_archE1100ELNS1_3gpuE3ELNS1_3repE0EEENS1_30default_config_static_selectorELNS0_4arch9wavefront6targetE0EEEvS12_,comdat
.Lfunc_end230:
	.size	_ZN7rocprim17ROCPRIM_400000_NS6detail17trampoline_kernelINS0_13select_configILj256ELj13ELNS0_17block_load_methodE3ELS4_3ELS4_3ELNS0_20block_scan_algorithmE0ELj4294967295EEENS1_25partition_config_selectorILNS1_17partition_subalgoE4EjNS0_10empty_typeEbEEZZNS1_14partition_implILS8_4ELb0ES6_15HIP_vector_typeIjLj2EENS0_17counting_iteratorIjlEEPS9_SG_NS0_5tupleIJPjSI_NS0_16reverse_iteratorISI_EEEEENSH_IJSG_SG_SG_EEES9_SI_JZNS1_25segmented_radix_sort_implINS0_14default_configELb1EPKaPaPKlPlN2at6native12_GLOBAL__N_18offset_tEEE10hipError_tPvRmT1_PNSt15iterator_traitsIS12_E10value_typeET2_T3_PNS13_IS18_E10value_typeET4_jRbjT5_S1E_jjP12ihipStream_tbEUljE_ZNSN_ISO_Lb1ESQ_SR_ST_SU_SY_EESZ_S10_S11_S12_S16_S17_S18_S1B_S1C_jS1D_jS1E_S1E_jjS1G_bEUljE0_EEESZ_S10_S11_S18_S1C_S1E_T6_T7_T9_mT8_S1G_bDpT10_ENKUlT_T0_E_clISt17integral_constantIbLb0EES1U_EEDaS1P_S1Q_EUlS1P_E_NS1_11comp_targetILNS1_3genE9ELNS1_11target_archE1100ELNS1_3gpuE3ELNS1_3repE0EEENS1_30default_config_static_selectorELNS0_4arch9wavefront6targetE0EEEvS12_, .Lfunc_end230-_ZN7rocprim17ROCPRIM_400000_NS6detail17trampoline_kernelINS0_13select_configILj256ELj13ELNS0_17block_load_methodE3ELS4_3ELS4_3ELNS0_20block_scan_algorithmE0ELj4294967295EEENS1_25partition_config_selectorILNS1_17partition_subalgoE4EjNS0_10empty_typeEbEEZZNS1_14partition_implILS8_4ELb0ES6_15HIP_vector_typeIjLj2EENS0_17counting_iteratorIjlEEPS9_SG_NS0_5tupleIJPjSI_NS0_16reverse_iteratorISI_EEEEENSH_IJSG_SG_SG_EEES9_SI_JZNS1_25segmented_radix_sort_implINS0_14default_configELb1EPKaPaPKlPlN2at6native12_GLOBAL__N_18offset_tEEE10hipError_tPvRmT1_PNSt15iterator_traitsIS12_E10value_typeET2_T3_PNS13_IS18_E10value_typeET4_jRbjT5_S1E_jjP12ihipStream_tbEUljE_ZNSN_ISO_Lb1ESQ_SR_ST_SU_SY_EESZ_S10_S11_S12_S16_S17_S18_S1B_S1C_jS1D_jS1E_S1E_jjS1G_bEUljE0_EEESZ_S10_S11_S18_S1C_S1E_T6_T7_T9_mT8_S1G_bDpT10_ENKUlT_T0_E_clISt17integral_constantIbLb0EES1U_EEDaS1P_S1Q_EUlS1P_E_NS1_11comp_targetILNS1_3genE9ELNS1_11target_archE1100ELNS1_3gpuE3ELNS1_3repE0EEENS1_30default_config_static_selectorELNS0_4arch9wavefront6targetE0EEEvS12_
                                        ; -- End function
	.set _ZN7rocprim17ROCPRIM_400000_NS6detail17trampoline_kernelINS0_13select_configILj256ELj13ELNS0_17block_load_methodE3ELS4_3ELS4_3ELNS0_20block_scan_algorithmE0ELj4294967295EEENS1_25partition_config_selectorILNS1_17partition_subalgoE4EjNS0_10empty_typeEbEEZZNS1_14partition_implILS8_4ELb0ES6_15HIP_vector_typeIjLj2EENS0_17counting_iteratorIjlEEPS9_SG_NS0_5tupleIJPjSI_NS0_16reverse_iteratorISI_EEEEENSH_IJSG_SG_SG_EEES9_SI_JZNS1_25segmented_radix_sort_implINS0_14default_configELb1EPKaPaPKlPlN2at6native12_GLOBAL__N_18offset_tEEE10hipError_tPvRmT1_PNSt15iterator_traitsIS12_E10value_typeET2_T3_PNS13_IS18_E10value_typeET4_jRbjT5_S1E_jjP12ihipStream_tbEUljE_ZNSN_ISO_Lb1ESQ_SR_ST_SU_SY_EESZ_S10_S11_S12_S16_S17_S18_S1B_S1C_jS1D_jS1E_S1E_jjS1G_bEUljE0_EEESZ_S10_S11_S18_S1C_S1E_T6_T7_T9_mT8_S1G_bDpT10_ENKUlT_T0_E_clISt17integral_constantIbLb0EES1U_EEDaS1P_S1Q_EUlS1P_E_NS1_11comp_targetILNS1_3genE9ELNS1_11target_archE1100ELNS1_3gpuE3ELNS1_3repE0EEENS1_30default_config_static_selectorELNS0_4arch9wavefront6targetE0EEEvS12_.num_vgpr, 0
	.set _ZN7rocprim17ROCPRIM_400000_NS6detail17trampoline_kernelINS0_13select_configILj256ELj13ELNS0_17block_load_methodE3ELS4_3ELS4_3ELNS0_20block_scan_algorithmE0ELj4294967295EEENS1_25partition_config_selectorILNS1_17partition_subalgoE4EjNS0_10empty_typeEbEEZZNS1_14partition_implILS8_4ELb0ES6_15HIP_vector_typeIjLj2EENS0_17counting_iteratorIjlEEPS9_SG_NS0_5tupleIJPjSI_NS0_16reverse_iteratorISI_EEEEENSH_IJSG_SG_SG_EEES9_SI_JZNS1_25segmented_radix_sort_implINS0_14default_configELb1EPKaPaPKlPlN2at6native12_GLOBAL__N_18offset_tEEE10hipError_tPvRmT1_PNSt15iterator_traitsIS12_E10value_typeET2_T3_PNS13_IS18_E10value_typeET4_jRbjT5_S1E_jjP12ihipStream_tbEUljE_ZNSN_ISO_Lb1ESQ_SR_ST_SU_SY_EESZ_S10_S11_S12_S16_S17_S18_S1B_S1C_jS1D_jS1E_S1E_jjS1G_bEUljE0_EEESZ_S10_S11_S18_S1C_S1E_T6_T7_T9_mT8_S1G_bDpT10_ENKUlT_T0_E_clISt17integral_constantIbLb0EES1U_EEDaS1P_S1Q_EUlS1P_E_NS1_11comp_targetILNS1_3genE9ELNS1_11target_archE1100ELNS1_3gpuE3ELNS1_3repE0EEENS1_30default_config_static_selectorELNS0_4arch9wavefront6targetE0EEEvS12_.num_agpr, 0
	.set _ZN7rocprim17ROCPRIM_400000_NS6detail17trampoline_kernelINS0_13select_configILj256ELj13ELNS0_17block_load_methodE3ELS4_3ELS4_3ELNS0_20block_scan_algorithmE0ELj4294967295EEENS1_25partition_config_selectorILNS1_17partition_subalgoE4EjNS0_10empty_typeEbEEZZNS1_14partition_implILS8_4ELb0ES6_15HIP_vector_typeIjLj2EENS0_17counting_iteratorIjlEEPS9_SG_NS0_5tupleIJPjSI_NS0_16reverse_iteratorISI_EEEEENSH_IJSG_SG_SG_EEES9_SI_JZNS1_25segmented_radix_sort_implINS0_14default_configELb1EPKaPaPKlPlN2at6native12_GLOBAL__N_18offset_tEEE10hipError_tPvRmT1_PNSt15iterator_traitsIS12_E10value_typeET2_T3_PNS13_IS18_E10value_typeET4_jRbjT5_S1E_jjP12ihipStream_tbEUljE_ZNSN_ISO_Lb1ESQ_SR_ST_SU_SY_EESZ_S10_S11_S12_S16_S17_S18_S1B_S1C_jS1D_jS1E_S1E_jjS1G_bEUljE0_EEESZ_S10_S11_S18_S1C_S1E_T6_T7_T9_mT8_S1G_bDpT10_ENKUlT_T0_E_clISt17integral_constantIbLb0EES1U_EEDaS1P_S1Q_EUlS1P_E_NS1_11comp_targetILNS1_3genE9ELNS1_11target_archE1100ELNS1_3gpuE3ELNS1_3repE0EEENS1_30default_config_static_selectorELNS0_4arch9wavefront6targetE0EEEvS12_.numbered_sgpr, 0
	.set _ZN7rocprim17ROCPRIM_400000_NS6detail17trampoline_kernelINS0_13select_configILj256ELj13ELNS0_17block_load_methodE3ELS4_3ELS4_3ELNS0_20block_scan_algorithmE0ELj4294967295EEENS1_25partition_config_selectorILNS1_17partition_subalgoE4EjNS0_10empty_typeEbEEZZNS1_14partition_implILS8_4ELb0ES6_15HIP_vector_typeIjLj2EENS0_17counting_iteratorIjlEEPS9_SG_NS0_5tupleIJPjSI_NS0_16reverse_iteratorISI_EEEEENSH_IJSG_SG_SG_EEES9_SI_JZNS1_25segmented_radix_sort_implINS0_14default_configELb1EPKaPaPKlPlN2at6native12_GLOBAL__N_18offset_tEEE10hipError_tPvRmT1_PNSt15iterator_traitsIS12_E10value_typeET2_T3_PNS13_IS18_E10value_typeET4_jRbjT5_S1E_jjP12ihipStream_tbEUljE_ZNSN_ISO_Lb1ESQ_SR_ST_SU_SY_EESZ_S10_S11_S12_S16_S17_S18_S1B_S1C_jS1D_jS1E_S1E_jjS1G_bEUljE0_EEESZ_S10_S11_S18_S1C_S1E_T6_T7_T9_mT8_S1G_bDpT10_ENKUlT_T0_E_clISt17integral_constantIbLb0EES1U_EEDaS1P_S1Q_EUlS1P_E_NS1_11comp_targetILNS1_3genE9ELNS1_11target_archE1100ELNS1_3gpuE3ELNS1_3repE0EEENS1_30default_config_static_selectorELNS0_4arch9wavefront6targetE0EEEvS12_.num_named_barrier, 0
	.set _ZN7rocprim17ROCPRIM_400000_NS6detail17trampoline_kernelINS0_13select_configILj256ELj13ELNS0_17block_load_methodE3ELS4_3ELS4_3ELNS0_20block_scan_algorithmE0ELj4294967295EEENS1_25partition_config_selectorILNS1_17partition_subalgoE4EjNS0_10empty_typeEbEEZZNS1_14partition_implILS8_4ELb0ES6_15HIP_vector_typeIjLj2EENS0_17counting_iteratorIjlEEPS9_SG_NS0_5tupleIJPjSI_NS0_16reverse_iteratorISI_EEEEENSH_IJSG_SG_SG_EEES9_SI_JZNS1_25segmented_radix_sort_implINS0_14default_configELb1EPKaPaPKlPlN2at6native12_GLOBAL__N_18offset_tEEE10hipError_tPvRmT1_PNSt15iterator_traitsIS12_E10value_typeET2_T3_PNS13_IS18_E10value_typeET4_jRbjT5_S1E_jjP12ihipStream_tbEUljE_ZNSN_ISO_Lb1ESQ_SR_ST_SU_SY_EESZ_S10_S11_S12_S16_S17_S18_S1B_S1C_jS1D_jS1E_S1E_jjS1G_bEUljE0_EEESZ_S10_S11_S18_S1C_S1E_T6_T7_T9_mT8_S1G_bDpT10_ENKUlT_T0_E_clISt17integral_constantIbLb0EES1U_EEDaS1P_S1Q_EUlS1P_E_NS1_11comp_targetILNS1_3genE9ELNS1_11target_archE1100ELNS1_3gpuE3ELNS1_3repE0EEENS1_30default_config_static_selectorELNS0_4arch9wavefront6targetE0EEEvS12_.private_seg_size, 0
	.set _ZN7rocprim17ROCPRIM_400000_NS6detail17trampoline_kernelINS0_13select_configILj256ELj13ELNS0_17block_load_methodE3ELS4_3ELS4_3ELNS0_20block_scan_algorithmE0ELj4294967295EEENS1_25partition_config_selectorILNS1_17partition_subalgoE4EjNS0_10empty_typeEbEEZZNS1_14partition_implILS8_4ELb0ES6_15HIP_vector_typeIjLj2EENS0_17counting_iteratorIjlEEPS9_SG_NS0_5tupleIJPjSI_NS0_16reverse_iteratorISI_EEEEENSH_IJSG_SG_SG_EEES9_SI_JZNS1_25segmented_radix_sort_implINS0_14default_configELb1EPKaPaPKlPlN2at6native12_GLOBAL__N_18offset_tEEE10hipError_tPvRmT1_PNSt15iterator_traitsIS12_E10value_typeET2_T3_PNS13_IS18_E10value_typeET4_jRbjT5_S1E_jjP12ihipStream_tbEUljE_ZNSN_ISO_Lb1ESQ_SR_ST_SU_SY_EESZ_S10_S11_S12_S16_S17_S18_S1B_S1C_jS1D_jS1E_S1E_jjS1G_bEUljE0_EEESZ_S10_S11_S18_S1C_S1E_T6_T7_T9_mT8_S1G_bDpT10_ENKUlT_T0_E_clISt17integral_constantIbLb0EES1U_EEDaS1P_S1Q_EUlS1P_E_NS1_11comp_targetILNS1_3genE9ELNS1_11target_archE1100ELNS1_3gpuE3ELNS1_3repE0EEENS1_30default_config_static_selectorELNS0_4arch9wavefront6targetE0EEEvS12_.uses_vcc, 0
	.set _ZN7rocprim17ROCPRIM_400000_NS6detail17trampoline_kernelINS0_13select_configILj256ELj13ELNS0_17block_load_methodE3ELS4_3ELS4_3ELNS0_20block_scan_algorithmE0ELj4294967295EEENS1_25partition_config_selectorILNS1_17partition_subalgoE4EjNS0_10empty_typeEbEEZZNS1_14partition_implILS8_4ELb0ES6_15HIP_vector_typeIjLj2EENS0_17counting_iteratorIjlEEPS9_SG_NS0_5tupleIJPjSI_NS0_16reverse_iteratorISI_EEEEENSH_IJSG_SG_SG_EEES9_SI_JZNS1_25segmented_radix_sort_implINS0_14default_configELb1EPKaPaPKlPlN2at6native12_GLOBAL__N_18offset_tEEE10hipError_tPvRmT1_PNSt15iterator_traitsIS12_E10value_typeET2_T3_PNS13_IS18_E10value_typeET4_jRbjT5_S1E_jjP12ihipStream_tbEUljE_ZNSN_ISO_Lb1ESQ_SR_ST_SU_SY_EESZ_S10_S11_S12_S16_S17_S18_S1B_S1C_jS1D_jS1E_S1E_jjS1G_bEUljE0_EEESZ_S10_S11_S18_S1C_S1E_T6_T7_T9_mT8_S1G_bDpT10_ENKUlT_T0_E_clISt17integral_constantIbLb0EES1U_EEDaS1P_S1Q_EUlS1P_E_NS1_11comp_targetILNS1_3genE9ELNS1_11target_archE1100ELNS1_3gpuE3ELNS1_3repE0EEENS1_30default_config_static_selectorELNS0_4arch9wavefront6targetE0EEEvS12_.uses_flat_scratch, 0
	.set _ZN7rocprim17ROCPRIM_400000_NS6detail17trampoline_kernelINS0_13select_configILj256ELj13ELNS0_17block_load_methodE3ELS4_3ELS4_3ELNS0_20block_scan_algorithmE0ELj4294967295EEENS1_25partition_config_selectorILNS1_17partition_subalgoE4EjNS0_10empty_typeEbEEZZNS1_14partition_implILS8_4ELb0ES6_15HIP_vector_typeIjLj2EENS0_17counting_iteratorIjlEEPS9_SG_NS0_5tupleIJPjSI_NS0_16reverse_iteratorISI_EEEEENSH_IJSG_SG_SG_EEES9_SI_JZNS1_25segmented_radix_sort_implINS0_14default_configELb1EPKaPaPKlPlN2at6native12_GLOBAL__N_18offset_tEEE10hipError_tPvRmT1_PNSt15iterator_traitsIS12_E10value_typeET2_T3_PNS13_IS18_E10value_typeET4_jRbjT5_S1E_jjP12ihipStream_tbEUljE_ZNSN_ISO_Lb1ESQ_SR_ST_SU_SY_EESZ_S10_S11_S12_S16_S17_S18_S1B_S1C_jS1D_jS1E_S1E_jjS1G_bEUljE0_EEESZ_S10_S11_S18_S1C_S1E_T6_T7_T9_mT8_S1G_bDpT10_ENKUlT_T0_E_clISt17integral_constantIbLb0EES1U_EEDaS1P_S1Q_EUlS1P_E_NS1_11comp_targetILNS1_3genE9ELNS1_11target_archE1100ELNS1_3gpuE3ELNS1_3repE0EEENS1_30default_config_static_selectorELNS0_4arch9wavefront6targetE0EEEvS12_.has_dyn_sized_stack, 0
	.set _ZN7rocprim17ROCPRIM_400000_NS6detail17trampoline_kernelINS0_13select_configILj256ELj13ELNS0_17block_load_methodE3ELS4_3ELS4_3ELNS0_20block_scan_algorithmE0ELj4294967295EEENS1_25partition_config_selectorILNS1_17partition_subalgoE4EjNS0_10empty_typeEbEEZZNS1_14partition_implILS8_4ELb0ES6_15HIP_vector_typeIjLj2EENS0_17counting_iteratorIjlEEPS9_SG_NS0_5tupleIJPjSI_NS0_16reverse_iteratorISI_EEEEENSH_IJSG_SG_SG_EEES9_SI_JZNS1_25segmented_radix_sort_implINS0_14default_configELb1EPKaPaPKlPlN2at6native12_GLOBAL__N_18offset_tEEE10hipError_tPvRmT1_PNSt15iterator_traitsIS12_E10value_typeET2_T3_PNS13_IS18_E10value_typeET4_jRbjT5_S1E_jjP12ihipStream_tbEUljE_ZNSN_ISO_Lb1ESQ_SR_ST_SU_SY_EESZ_S10_S11_S12_S16_S17_S18_S1B_S1C_jS1D_jS1E_S1E_jjS1G_bEUljE0_EEESZ_S10_S11_S18_S1C_S1E_T6_T7_T9_mT8_S1G_bDpT10_ENKUlT_T0_E_clISt17integral_constantIbLb0EES1U_EEDaS1P_S1Q_EUlS1P_E_NS1_11comp_targetILNS1_3genE9ELNS1_11target_archE1100ELNS1_3gpuE3ELNS1_3repE0EEENS1_30default_config_static_selectorELNS0_4arch9wavefront6targetE0EEEvS12_.has_recursion, 0
	.set _ZN7rocprim17ROCPRIM_400000_NS6detail17trampoline_kernelINS0_13select_configILj256ELj13ELNS0_17block_load_methodE3ELS4_3ELS4_3ELNS0_20block_scan_algorithmE0ELj4294967295EEENS1_25partition_config_selectorILNS1_17partition_subalgoE4EjNS0_10empty_typeEbEEZZNS1_14partition_implILS8_4ELb0ES6_15HIP_vector_typeIjLj2EENS0_17counting_iteratorIjlEEPS9_SG_NS0_5tupleIJPjSI_NS0_16reverse_iteratorISI_EEEEENSH_IJSG_SG_SG_EEES9_SI_JZNS1_25segmented_radix_sort_implINS0_14default_configELb1EPKaPaPKlPlN2at6native12_GLOBAL__N_18offset_tEEE10hipError_tPvRmT1_PNSt15iterator_traitsIS12_E10value_typeET2_T3_PNS13_IS18_E10value_typeET4_jRbjT5_S1E_jjP12ihipStream_tbEUljE_ZNSN_ISO_Lb1ESQ_SR_ST_SU_SY_EESZ_S10_S11_S12_S16_S17_S18_S1B_S1C_jS1D_jS1E_S1E_jjS1G_bEUljE0_EEESZ_S10_S11_S18_S1C_S1E_T6_T7_T9_mT8_S1G_bDpT10_ENKUlT_T0_E_clISt17integral_constantIbLb0EES1U_EEDaS1P_S1Q_EUlS1P_E_NS1_11comp_targetILNS1_3genE9ELNS1_11target_archE1100ELNS1_3gpuE3ELNS1_3repE0EEENS1_30default_config_static_selectorELNS0_4arch9wavefront6targetE0EEEvS12_.has_indirect_call, 0
	.section	.AMDGPU.csdata,"",@progbits
; Kernel info:
; codeLenInByte = 0
; TotalNumSgprs: 0
; NumVgprs: 0
; ScratchSize: 0
; MemoryBound: 0
; FloatMode: 240
; IeeeMode: 1
; LDSByteSize: 0 bytes/workgroup (compile time only)
; SGPRBlocks: 0
; VGPRBlocks: 0
; NumSGPRsForWavesPerEU: 1
; NumVGPRsForWavesPerEU: 1
; Occupancy: 16
; WaveLimiterHint : 0
; COMPUTE_PGM_RSRC2:SCRATCH_EN: 0
; COMPUTE_PGM_RSRC2:USER_SGPR: 6
; COMPUTE_PGM_RSRC2:TRAP_HANDLER: 0
; COMPUTE_PGM_RSRC2:TGID_X_EN: 1
; COMPUTE_PGM_RSRC2:TGID_Y_EN: 0
; COMPUTE_PGM_RSRC2:TGID_Z_EN: 0
; COMPUTE_PGM_RSRC2:TIDIG_COMP_CNT: 0
	.section	.text._ZN7rocprim17ROCPRIM_400000_NS6detail17trampoline_kernelINS0_13select_configILj256ELj13ELNS0_17block_load_methodE3ELS4_3ELS4_3ELNS0_20block_scan_algorithmE0ELj4294967295EEENS1_25partition_config_selectorILNS1_17partition_subalgoE4EjNS0_10empty_typeEbEEZZNS1_14partition_implILS8_4ELb0ES6_15HIP_vector_typeIjLj2EENS0_17counting_iteratorIjlEEPS9_SG_NS0_5tupleIJPjSI_NS0_16reverse_iteratorISI_EEEEENSH_IJSG_SG_SG_EEES9_SI_JZNS1_25segmented_radix_sort_implINS0_14default_configELb1EPKaPaPKlPlN2at6native12_GLOBAL__N_18offset_tEEE10hipError_tPvRmT1_PNSt15iterator_traitsIS12_E10value_typeET2_T3_PNS13_IS18_E10value_typeET4_jRbjT5_S1E_jjP12ihipStream_tbEUljE_ZNSN_ISO_Lb1ESQ_SR_ST_SU_SY_EESZ_S10_S11_S12_S16_S17_S18_S1B_S1C_jS1D_jS1E_S1E_jjS1G_bEUljE0_EEESZ_S10_S11_S18_S1C_S1E_T6_T7_T9_mT8_S1G_bDpT10_ENKUlT_T0_E_clISt17integral_constantIbLb0EES1U_EEDaS1P_S1Q_EUlS1P_E_NS1_11comp_targetILNS1_3genE8ELNS1_11target_archE1030ELNS1_3gpuE2ELNS1_3repE0EEENS1_30default_config_static_selectorELNS0_4arch9wavefront6targetE0EEEvS12_,"axG",@progbits,_ZN7rocprim17ROCPRIM_400000_NS6detail17trampoline_kernelINS0_13select_configILj256ELj13ELNS0_17block_load_methodE3ELS4_3ELS4_3ELNS0_20block_scan_algorithmE0ELj4294967295EEENS1_25partition_config_selectorILNS1_17partition_subalgoE4EjNS0_10empty_typeEbEEZZNS1_14partition_implILS8_4ELb0ES6_15HIP_vector_typeIjLj2EENS0_17counting_iteratorIjlEEPS9_SG_NS0_5tupleIJPjSI_NS0_16reverse_iteratorISI_EEEEENSH_IJSG_SG_SG_EEES9_SI_JZNS1_25segmented_radix_sort_implINS0_14default_configELb1EPKaPaPKlPlN2at6native12_GLOBAL__N_18offset_tEEE10hipError_tPvRmT1_PNSt15iterator_traitsIS12_E10value_typeET2_T3_PNS13_IS18_E10value_typeET4_jRbjT5_S1E_jjP12ihipStream_tbEUljE_ZNSN_ISO_Lb1ESQ_SR_ST_SU_SY_EESZ_S10_S11_S12_S16_S17_S18_S1B_S1C_jS1D_jS1E_S1E_jjS1G_bEUljE0_EEESZ_S10_S11_S18_S1C_S1E_T6_T7_T9_mT8_S1G_bDpT10_ENKUlT_T0_E_clISt17integral_constantIbLb0EES1U_EEDaS1P_S1Q_EUlS1P_E_NS1_11comp_targetILNS1_3genE8ELNS1_11target_archE1030ELNS1_3gpuE2ELNS1_3repE0EEENS1_30default_config_static_selectorELNS0_4arch9wavefront6targetE0EEEvS12_,comdat
	.globl	_ZN7rocprim17ROCPRIM_400000_NS6detail17trampoline_kernelINS0_13select_configILj256ELj13ELNS0_17block_load_methodE3ELS4_3ELS4_3ELNS0_20block_scan_algorithmE0ELj4294967295EEENS1_25partition_config_selectorILNS1_17partition_subalgoE4EjNS0_10empty_typeEbEEZZNS1_14partition_implILS8_4ELb0ES6_15HIP_vector_typeIjLj2EENS0_17counting_iteratorIjlEEPS9_SG_NS0_5tupleIJPjSI_NS0_16reverse_iteratorISI_EEEEENSH_IJSG_SG_SG_EEES9_SI_JZNS1_25segmented_radix_sort_implINS0_14default_configELb1EPKaPaPKlPlN2at6native12_GLOBAL__N_18offset_tEEE10hipError_tPvRmT1_PNSt15iterator_traitsIS12_E10value_typeET2_T3_PNS13_IS18_E10value_typeET4_jRbjT5_S1E_jjP12ihipStream_tbEUljE_ZNSN_ISO_Lb1ESQ_SR_ST_SU_SY_EESZ_S10_S11_S12_S16_S17_S18_S1B_S1C_jS1D_jS1E_S1E_jjS1G_bEUljE0_EEESZ_S10_S11_S18_S1C_S1E_T6_T7_T9_mT8_S1G_bDpT10_ENKUlT_T0_E_clISt17integral_constantIbLb0EES1U_EEDaS1P_S1Q_EUlS1P_E_NS1_11comp_targetILNS1_3genE8ELNS1_11target_archE1030ELNS1_3gpuE2ELNS1_3repE0EEENS1_30default_config_static_selectorELNS0_4arch9wavefront6targetE0EEEvS12_ ; -- Begin function _ZN7rocprim17ROCPRIM_400000_NS6detail17trampoline_kernelINS0_13select_configILj256ELj13ELNS0_17block_load_methodE3ELS4_3ELS4_3ELNS0_20block_scan_algorithmE0ELj4294967295EEENS1_25partition_config_selectorILNS1_17partition_subalgoE4EjNS0_10empty_typeEbEEZZNS1_14partition_implILS8_4ELb0ES6_15HIP_vector_typeIjLj2EENS0_17counting_iteratorIjlEEPS9_SG_NS0_5tupleIJPjSI_NS0_16reverse_iteratorISI_EEEEENSH_IJSG_SG_SG_EEES9_SI_JZNS1_25segmented_radix_sort_implINS0_14default_configELb1EPKaPaPKlPlN2at6native12_GLOBAL__N_18offset_tEEE10hipError_tPvRmT1_PNSt15iterator_traitsIS12_E10value_typeET2_T3_PNS13_IS18_E10value_typeET4_jRbjT5_S1E_jjP12ihipStream_tbEUljE_ZNSN_ISO_Lb1ESQ_SR_ST_SU_SY_EESZ_S10_S11_S12_S16_S17_S18_S1B_S1C_jS1D_jS1E_S1E_jjS1G_bEUljE0_EEESZ_S10_S11_S18_S1C_S1E_T6_T7_T9_mT8_S1G_bDpT10_ENKUlT_T0_E_clISt17integral_constantIbLb0EES1U_EEDaS1P_S1Q_EUlS1P_E_NS1_11comp_targetILNS1_3genE8ELNS1_11target_archE1030ELNS1_3gpuE2ELNS1_3repE0EEENS1_30default_config_static_selectorELNS0_4arch9wavefront6targetE0EEEvS12_
	.p2align	8
	.type	_ZN7rocprim17ROCPRIM_400000_NS6detail17trampoline_kernelINS0_13select_configILj256ELj13ELNS0_17block_load_methodE3ELS4_3ELS4_3ELNS0_20block_scan_algorithmE0ELj4294967295EEENS1_25partition_config_selectorILNS1_17partition_subalgoE4EjNS0_10empty_typeEbEEZZNS1_14partition_implILS8_4ELb0ES6_15HIP_vector_typeIjLj2EENS0_17counting_iteratorIjlEEPS9_SG_NS0_5tupleIJPjSI_NS0_16reverse_iteratorISI_EEEEENSH_IJSG_SG_SG_EEES9_SI_JZNS1_25segmented_radix_sort_implINS0_14default_configELb1EPKaPaPKlPlN2at6native12_GLOBAL__N_18offset_tEEE10hipError_tPvRmT1_PNSt15iterator_traitsIS12_E10value_typeET2_T3_PNS13_IS18_E10value_typeET4_jRbjT5_S1E_jjP12ihipStream_tbEUljE_ZNSN_ISO_Lb1ESQ_SR_ST_SU_SY_EESZ_S10_S11_S12_S16_S17_S18_S1B_S1C_jS1D_jS1E_S1E_jjS1G_bEUljE0_EEESZ_S10_S11_S18_S1C_S1E_T6_T7_T9_mT8_S1G_bDpT10_ENKUlT_T0_E_clISt17integral_constantIbLb0EES1U_EEDaS1P_S1Q_EUlS1P_E_NS1_11comp_targetILNS1_3genE8ELNS1_11target_archE1030ELNS1_3gpuE2ELNS1_3repE0EEENS1_30default_config_static_selectorELNS0_4arch9wavefront6targetE0EEEvS12_,@function
_ZN7rocprim17ROCPRIM_400000_NS6detail17trampoline_kernelINS0_13select_configILj256ELj13ELNS0_17block_load_methodE3ELS4_3ELS4_3ELNS0_20block_scan_algorithmE0ELj4294967295EEENS1_25partition_config_selectorILNS1_17partition_subalgoE4EjNS0_10empty_typeEbEEZZNS1_14partition_implILS8_4ELb0ES6_15HIP_vector_typeIjLj2EENS0_17counting_iteratorIjlEEPS9_SG_NS0_5tupleIJPjSI_NS0_16reverse_iteratorISI_EEEEENSH_IJSG_SG_SG_EEES9_SI_JZNS1_25segmented_radix_sort_implINS0_14default_configELb1EPKaPaPKlPlN2at6native12_GLOBAL__N_18offset_tEEE10hipError_tPvRmT1_PNSt15iterator_traitsIS12_E10value_typeET2_T3_PNS13_IS18_E10value_typeET4_jRbjT5_S1E_jjP12ihipStream_tbEUljE_ZNSN_ISO_Lb1ESQ_SR_ST_SU_SY_EESZ_S10_S11_S12_S16_S17_S18_S1B_S1C_jS1D_jS1E_S1E_jjS1G_bEUljE0_EEESZ_S10_S11_S18_S1C_S1E_T6_T7_T9_mT8_S1G_bDpT10_ENKUlT_T0_E_clISt17integral_constantIbLb0EES1U_EEDaS1P_S1Q_EUlS1P_E_NS1_11comp_targetILNS1_3genE8ELNS1_11target_archE1030ELNS1_3gpuE2ELNS1_3repE0EEENS1_30default_config_static_selectorELNS0_4arch9wavefront6targetE0EEEvS12_: ; @_ZN7rocprim17ROCPRIM_400000_NS6detail17trampoline_kernelINS0_13select_configILj256ELj13ELNS0_17block_load_methodE3ELS4_3ELS4_3ELNS0_20block_scan_algorithmE0ELj4294967295EEENS1_25partition_config_selectorILNS1_17partition_subalgoE4EjNS0_10empty_typeEbEEZZNS1_14partition_implILS8_4ELb0ES6_15HIP_vector_typeIjLj2EENS0_17counting_iteratorIjlEEPS9_SG_NS0_5tupleIJPjSI_NS0_16reverse_iteratorISI_EEEEENSH_IJSG_SG_SG_EEES9_SI_JZNS1_25segmented_radix_sort_implINS0_14default_configELb1EPKaPaPKlPlN2at6native12_GLOBAL__N_18offset_tEEE10hipError_tPvRmT1_PNSt15iterator_traitsIS12_E10value_typeET2_T3_PNS13_IS18_E10value_typeET4_jRbjT5_S1E_jjP12ihipStream_tbEUljE_ZNSN_ISO_Lb1ESQ_SR_ST_SU_SY_EESZ_S10_S11_S12_S16_S17_S18_S1B_S1C_jS1D_jS1E_S1E_jjS1G_bEUljE0_EEESZ_S10_S11_S18_S1C_S1E_T6_T7_T9_mT8_S1G_bDpT10_ENKUlT_T0_E_clISt17integral_constantIbLb0EES1U_EEDaS1P_S1Q_EUlS1P_E_NS1_11comp_targetILNS1_3genE8ELNS1_11target_archE1030ELNS1_3gpuE2ELNS1_3repE0EEENS1_30default_config_static_selectorELNS0_4arch9wavefront6targetE0EEEvS12_
; %bb.0:
	s_clause 0x6
	s_load_dword s3, s[4:5], 0x80
	s_load_dwordx2 s[34:35], s[4:5], 0x10
	s_load_dwordx2 s[0:1], s[4:5], 0x68
	s_load_dword s7, s[4:5], 0x8
	s_load_dwordx4 s[24:27], s[4:5], 0x58
	s_load_dwordx2 s[40:41], s[4:5], 0xa8
	s_load_dwordx8 s[16:23], s[4:5], 0x88
	s_mul_i32 s42, s6, 0xd00
	s_waitcnt lgkmcnt(0)
	s_mul_i32 s2, s3, 0xd00
	s_add_i32 s3, s3, -1
	s_add_u32 s8, s34, s2
	s_addc_u32 s9, s35, 0
	s_load_dwordx4 s[28:31], s[26:27], 0x0
	s_cmp_eq_u32 s6, s3
	v_cmp_gt_u64_e64 s1, s[0:1], s[8:9]
	s_cselect_b32 s33, -1, 0
	s_cmp_lg_u32 s6, s3
	s_cselect_b32 s3, -1, 0
	s_add_i32 s7, s7, s42
	s_or_b32 s1, s3, s1
	s_add_i32 s7, s7, s34
	s_and_b32 vcc_lo, exec_lo, s1
	v_add_nc_u32_e32 v1, s7, v0
	s_mov_b32 s3, -1
	v_add_nc_u32_e32 v2, 0x100, v1
	v_add_nc_u32_e32 v3, 0x200, v1
	;; [unrolled: 1-line block ×12, first 2 shown]
	s_cbranch_vccz .LBB231_2
; %bb.1:
	v_lshlrev_b32_e32 v14, 2, v0
	s_mov_b32 s3, 0
	ds_write2st64_b32 v14, v1, v2 offset1:4
	ds_write2st64_b32 v14, v3, v4 offset0:8 offset1:12
	ds_write2st64_b32 v14, v5, v6 offset0:16 offset1:20
	;; [unrolled: 1-line block ×5, first 2 shown]
	ds_write_b32 v14, v13 offset:12288
	s_waitcnt lgkmcnt(0)
	s_barrier
.LBB231_2:
	s_andn2_b32 vcc_lo, exec_lo, s3
	s_add_i32 s2, s2, s34
	s_cbranch_vccnz .LBB231_4
; %bb.3:
	v_lshlrev_b32_e32 v14, 2, v0
	ds_write2st64_b32 v14, v1, v2 offset1:4
	ds_write2st64_b32 v14, v3, v4 offset0:8 offset1:12
	ds_write2st64_b32 v14, v5, v6 offset0:16 offset1:20
	;; [unrolled: 1-line block ×5, first 2 shown]
	ds_write_b32 v14, v13 offset:12288
	s_waitcnt lgkmcnt(0)
	s_barrier
.LBB231_4:
	v_mul_u32_u24_e32 v29, 13, v0
	s_clause 0x1
	s_load_dwordx4 s[36:39], s[4:5], 0x28
	s_load_dwordx2 s[26:27], s[4:5], 0x38
	s_waitcnt lgkmcnt(0)
	buffer_gl0_inv
	v_cndmask_b32_e64 v27, 0, 1, s1
	s_sub_i32 s43, s0, s2
	v_lshlrev_b32_e32 v1, 2, v29
	s_andn2_b32 vcc_lo, exec_lo, s1
	ds_read_b32 v28, v1 offset:48
	ds_read2_b32 v[9:10], v1 offset0:10 offset1:11
	ds_read2_b32 v[11:12], v1 offset0:8 offset1:9
	;; [unrolled: 1-line block ×4, first 2 shown]
	ds_read2_b32 v[19:20], v1 offset1:1
	ds_read2_b32 v[17:18], v1 offset0:2 offset1:3
	s_waitcnt lgkmcnt(0)
	s_barrier
	buffer_gl0_inv
	s_cbranch_vccnz .LBB231_32
; %bb.5:
	v_add_nc_u32_e32 v1, s17, v19
	v_add_nc_u32_e32 v2, s19, v19
	s_mov_b32 s45, 0
	s_mov_b32 s44, 0
	s_mov_b32 s1, exec_lo
	v_mul_lo_u32 v1, v1, s16
	v_mul_lo_u32 v2, v2, s18
	v_sub_nc_u32_e32 v1, v1, v2
	v_cmp_lt_u32_e32 vcc_lo, s20, v1
	v_cmpx_ge_u32_e64 s20, v1
	s_cbranch_execz .LBB231_7
; %bb.6:
	v_add_nc_u32_e32 v1, s22, v19
	v_add_nc_u32_e32 v2, s40, v19
	v_mul_lo_u32 v1, v1, s21
	v_mul_lo_u32 v2, v2, s23
	v_sub_nc_u32_e32 v1, v1, v2
	v_cmp_lt_u32_e64 s0, s41, v1
	s_and_b32 s44, s0, exec_lo
.LBB231_7:
	s_or_b32 exec_lo, exec_lo, s1
	v_add_nc_u32_e32 v1, s17, v20
	v_add_nc_u32_e32 v2, s19, v20
	s_mov_b32 s2, exec_lo
	v_mul_lo_u32 v1, v1, s16
	v_mul_lo_u32 v2, v2, s18
	v_sub_nc_u32_e32 v1, v1, v2
	v_cmp_lt_u32_e64 s0, s20, v1
	v_cmpx_ge_u32_e64 s20, v1
	s_cbranch_execz .LBB231_9
; %bb.8:
	v_add_nc_u32_e32 v1, s22, v20
	v_add_nc_u32_e32 v2, s40, v20
	v_mul_lo_u32 v1, v1, s21
	v_mul_lo_u32 v2, v2, s23
	v_sub_nc_u32_e32 v1, v1, v2
	v_cmp_lt_u32_e64 s1, s41, v1
	s_and_b32 s45, s1, exec_lo
.LBB231_9:
	s_or_b32 exec_lo, exec_lo, s2
	v_add_nc_u32_e32 v1, s17, v17
	v_add_nc_u32_e32 v2, s19, v17
	s_mov_b32 s47, 0
	s_mov_b32 s46, 0
	s_mov_b32 s3, exec_lo
	v_mul_lo_u32 v1, v1, s16
	v_mul_lo_u32 v2, v2, s18
	v_sub_nc_u32_e32 v1, v1, v2
	v_cmp_lt_u32_e64 s1, s20, v1
	v_cmpx_ge_u32_e64 s20, v1
	s_cbranch_execz .LBB231_11
; %bb.10:
	v_add_nc_u32_e32 v1, s22, v17
	v_add_nc_u32_e32 v2, s40, v17
	v_mul_lo_u32 v1, v1, s21
	v_mul_lo_u32 v2, v2, s23
	v_sub_nc_u32_e32 v1, v1, v2
	v_cmp_lt_u32_e64 s2, s41, v1
	s_and_b32 s46, s2, exec_lo
.LBB231_11:
	s_or_b32 exec_lo, exec_lo, s3
	v_add_nc_u32_e32 v1, s17, v18
	v_add_nc_u32_e32 v2, s19, v18
	s_mov_b32 s7, exec_lo
	v_mul_lo_u32 v1, v1, s16
	v_mul_lo_u32 v2, v2, s18
	v_sub_nc_u32_e32 v1, v1, v2
	v_cmp_lt_u32_e64 s2, s20, v1
	v_cmpx_ge_u32_e64 s20, v1
	s_cbranch_execz .LBB231_13
; %bb.12:
	v_add_nc_u32_e32 v1, s22, v18
	v_add_nc_u32_e32 v2, s40, v18
	v_mul_lo_u32 v1, v1, s21
	v_mul_lo_u32 v2, v2, s23
	v_sub_nc_u32_e32 v1, v1, v2
	v_cmp_lt_u32_e64 s3, s41, v1
	s_and_b32 s47, s3, exec_lo
.LBB231_13:
	s_or_b32 exec_lo, exec_lo, s7
	v_add_nc_u32_e32 v1, s17, v15
	v_add_nc_u32_e32 v2, s19, v15
	s_mov_b32 s49, 0
	s_mov_b32 s48, 0
	s_mov_b32 s8, exec_lo
	v_mul_lo_u32 v1, v1, s16
	v_mul_lo_u32 v2, v2, s18
	v_sub_nc_u32_e32 v1, v1, v2
	v_cmp_lt_u32_e64 s3, s20, v1
	;; [unrolled: 40-line block ×6, first 2 shown]
	v_cmpx_ge_u32_e64 s20, v1
	s_cbranch_execz .LBB231_31
; %bb.30:
	v_add_nc_u32_e32 v1, s22, v28
	v_add_nc_u32_e32 v2, s40, v28
	v_mul_lo_u32 v1, v1, s21
	v_mul_lo_u32 v2, v2, s23
	v_sub_nc_u32_e32 v1, v1, v2
	v_cmp_lt_u32_e64 s15, s41, v1
	s_and_b32 s57, s15, exec_lo
.LBB231_31:
	s_or_b32 exec_lo, exec_lo, s58
	v_cndmask_b32_e64 v2, 0, 1, s0
	v_cndmask_b32_e64 v4, 0, 1, s2
	v_cndmask_b32_e64 v1, 0, 1, vcc_lo
	v_cndmask_b32_e64 v3, 0, 1, s1
	v_cndmask_b32_e64 v6, 0, 1, s7
	v_lshlrev_b16 v2, 8, v2
	v_lshlrev_b16 v4, 8, v4
	v_cndmask_b32_e64 v8, 0, 1, s9
	v_cndmask_b32_e64 v22, 0, 1, s11
	;; [unrolled: 1-line block ×3, first 2 shown]
	v_or_b32_e32 v1, v1, v2
	v_or_b32_sdwa v2, v3, v4 dst_sel:WORD_1 dst_unused:UNUSED_PAD src0_sel:DWORD src1_sel:DWORD
	v_cndmask_b32_e64 v3, 0, 1, s44
	v_cndmask_b32_e64 v5, 0, 1, s3
	;; [unrolled: 1-line block ×11, first 2 shown]
	v_or_b32_sdwa v30, v1, v2 dst_sel:DWORD dst_unused:UNUSED_PAD src0_sel:WORD_0 src1_sel:DWORD
	v_lshlrev_b16 v1, 8, v6
	v_lshlrev_b16 v2, 8, v8
	;; [unrolled: 1-line block ×5, first 2 shown]
	v_cndmask_b32_e64 v26, 0, 1, s53
	v_cndmask_b32_e64 v32, 0, 1, s51
	;; [unrolled: 1-line block ×5, first 2 shown]
	v_or_b32_e32 v1, v5, v1
	v_or_b32_sdwa v2, v7, v2 dst_sel:WORD_1 dst_unused:UNUSED_PAD src0_sel:DWORD src1_sel:DWORD
	v_or_b32_e32 v5, v21, v6
	v_or_b32_sdwa v6, v23, v8 dst_sel:WORD_1 dst_unused:UNUSED_PAD src0_sel:DWORD src1_sel:DWORD
	v_or_b32_e32 v3, v4, v3
	v_lshlrev_b16 v4, 8, v39
	v_lshlrev_b16 v7, 8, v36
	;; [unrolled: 1-line block ×5, first 2 shown]
	v_or_b32_sdwa v4, v40, v4 dst_sel:WORD_1 dst_unused:UNUSED_PAD src0_sel:DWORD src1_sel:DWORD
	v_or_b32_e32 v7, v38, v7
	v_or_b32_sdwa v8, v35, v8 dst_sel:WORD_1 dst_unused:UNUSED_PAD src0_sel:DWORD src1_sel:DWORD
	v_or_b32_e32 v21, v32, v21
	v_or_b32_sdwa v22, v26, v22 dst_sel:WORD_1 dst_unused:UNUSED_PAD src0_sel:DWORD src1_sel:DWORD
	v_cndmask_b32_e64 v34, 0, 1, s55
	v_cndmask_b32_e64 v37, 0, 1, s57
	v_or_b32_sdwa v32, v1, v2 dst_sel:DWORD dst_unused:UNUSED_PAD src0_sel:WORD_0 src1_sel:DWORD
	v_or_b32_sdwa v35, v5, v6 dst_sel:DWORD dst_unused:UNUSED_PAD src0_sel:WORD_0 src1_sel:DWORD
	;; [unrolled: 1-line block ×5, first 2 shown]
	s_load_dwordx2 s[4:5], s[4:5], 0x78
	s_and_b32 vcc_lo, exec_lo, s54
	s_add_i32 s7, s43, 0xd00
	s_cbranch_vccnz .LBB231_33
	s_branch .LBB231_110
.LBB231_32:
                                        ; implicit-def: $vgpr37
                                        ; implicit-def: $vgpr34
                                        ; implicit-def: $vgpr33
                                        ; implicit-def: $vgpr31
                                        ; implicit-def: $vgpr36
                                        ; implicit-def: $vgpr35
                                        ; implicit-def: $vgpr32
                                        ; implicit-def: $vgpr30
	s_load_dwordx2 s[4:5], s[4:5], 0x78
	s_add_i32 s7, s43, 0xd00
	s_cbranch_execz .LBB231_110
.LBB231_33:
	v_mov_b32_e32 v2, 0
	v_mov_b32_e32 v1, 0
	s_mov_b32 s1, exec_lo
	v_cmpx_gt_u32_e64 s7, v29
	s_cbranch_execz .LBB231_37
; %bb.34:
	v_add_nc_u32_e32 v1, s17, v19
	v_add_nc_u32_e32 v2, s19, v19
	s_mov_b32 s3, 0
	s_mov_b32 s2, exec_lo
	v_mul_lo_u32 v1, v1, s16
	v_mul_lo_u32 v2, v2, s18
	v_sub_nc_u32_e32 v1, v1, v2
	v_cmp_lt_u32_e32 vcc_lo, s20, v1
	v_cmpx_ge_u32_e64 s20, v1
	s_cbranch_execz .LBB231_36
; %bb.35:
	v_add_nc_u32_e32 v1, s22, v19
	v_add_nc_u32_e32 v2, s40, v19
	v_mul_lo_u32 v1, v1, s21
	v_mul_lo_u32 v2, v2, s23
	v_sub_nc_u32_e32 v1, v1, v2
	v_cmp_lt_u32_e64 s0, s41, v1
	s_and_b32 s3, s0, exec_lo
.LBB231_36:
	s_or_b32 exec_lo, exec_lo, s2
	v_cndmask_b32_e64 v2, 0, 1, s3
	v_cndmask_b32_e64 v1, 0, 1, vcc_lo
.LBB231_37:
	s_or_b32 exec_lo, exec_lo, s1
	v_add_nc_u32_e32 v3, 1, v29
	v_lshlrev_b16 v21, 8, v2
	v_and_b32_e32 v6, 0xff, v1
	v_lshlrev_b16 v7, 8, 0
                                        ; implicit-def: $vgpr5
                                        ; implicit-def: $vgpr8
                                        ; implicit-def: $vgpr2
                                        ; implicit-def: $vgpr4
	v_cmp_le_u32_e32 vcc_lo, s7, v3
                                        ; implicit-def: $vgpr3
	s_and_saveexec_b32 s0, vcc_lo
	s_xor_b32 s0, exec_lo, s0
	s_cbranch_execz .LBB231_39
; %bb.38:
	v_mov_b32_e32 v1, 8
	v_mov_b32_e32 v2, 0xff
	;; [unrolled: 1-line block ×3, first 2 shown]
	v_and_b32_e32 v4, 0xffff, v7
	v_and_b32_e32 v3, 0xffff, v7
	v_lshrrev_b32_sdwa v1, v1, v21 dst_sel:BYTE_1 dst_unused:UNUSED_PAD src0_sel:DWORD src1_sel:WORD_0
	v_and_b32_sdwa v2, v21, v2 dst_sel:DWORD dst_unused:UNUSED_PAD src0_sel:WORD_0 src1_sel:DWORD
                                        ; implicit-def: $vgpr21
	v_or_b32_e32 v1, v2, v1
	v_and_b32_e32 v2, 0xffff, v7
                                        ; implicit-def: $vgpr7
	v_and_b32_e32 v8, 0xffff, v1
                                        ; implicit-def: $vgpr1
.LBB231_39:
	s_andn2_saveexec_b32 s1, s0
	s_cbranch_execz .LBB231_43
; %bb.40:
	v_add_nc_u32_e32 v2, s17, v20
	v_add_nc_u32_e32 v3, s19, v20
	s_mov_b32 s2, 0
	s_mov_b32 s3, exec_lo
	v_mul_lo_u32 v2, v2, s16
	v_mul_lo_u32 v3, v3, s18
	v_sub_nc_u32_e32 v2, v2, v3
	v_cmp_lt_u32_e32 vcc_lo, s20, v2
	v_cmpx_ge_u32_e64 s20, v2
	s_cbranch_execz .LBB231_42
; %bb.41:
	v_add_nc_u32_e32 v2, s22, v20
	v_add_nc_u32_e32 v3, s40, v20
	v_mul_lo_u32 v2, v2, s21
	v_mul_lo_u32 v3, v3, s23
	v_sub_nc_u32_e32 v2, v2, v3
	v_cmp_lt_u32_e64 s0, s41, v2
	s_and_b32 s2, s0, exec_lo
.LBB231_42:
	s_or_b32 exec_lo, exec_lo, s3
	v_mov_b32_e32 v2, 0xff
	v_mov_b32_e32 v3, 8
	v_cndmask_b32_e64 v4, 0, 1, vcc_lo
	v_mov_b32_e32 v5, 0
	v_and_b32_sdwa v2, v21, v2 dst_sel:DWORD dst_unused:UNUSED_PAD src0_sel:WORD_0 src1_sel:DWORD
	v_lshrrev_b32_sdwa v3, v3, v21 dst_sel:BYTE_1 dst_unused:UNUSED_PAD src0_sel:DWORD src1_sel:WORD_0
	v_lshlrev_b16 v4, 8, v4
	v_or_b32_e32 v2, v2, v3
	v_cndmask_b32_e64 v3, 0, 1, s2
	v_or_b32_sdwa v1, v1, v4 dst_sel:DWORD dst_unused:UNUSED_PAD src0_sel:BYTE_0 src1_sel:DWORD
	v_and_b32_e32 v4, 0xffff, v7
	v_and_b32_e32 v8, 0xffff, v2
	v_mov_b32_e32 v2, 0
	v_and_b32_e32 v6, 0xffff, v1
	v_lshl_or_b32 v8, v3, 16, v8
	v_and_b32_e32 v3, 0xffff, v7
.LBB231_43:
	s_or_b32 exec_lo, exec_lo, s1
	v_add_nc_u32_e32 v1, 2, v29
                                        ; implicit-def: $vgpr7
	v_cmp_le_u32_e32 vcc_lo, s7, v1
                                        ; implicit-def: $vgpr1
	s_and_saveexec_b32 s0, vcc_lo
	s_xor_b32 s0, exec_lo, s0
	s_cbranch_execz .LBB231_45
; %bb.44:
	v_lshrrev_b32_e32 v1, 24, v6
	v_mov_b32_e32 v7, 8
	v_and_b32_e32 v21, 0xff0000, v8
	v_perm_b32 v4, v4, v4, 0x3060504
	v_perm_b32 v1, v1, v6, 0x40c0100
	v_lshrrev_b32_sdwa v6, v7, v1 dst_sel:BYTE_1 dst_unused:UNUSED_PAD src0_sel:DWORD src1_sel:DWORD
	v_or_b32_sdwa v6, v1, v6 dst_sel:DWORD dst_unused:UNUSED_PAD src0_sel:BYTE_0 src1_sel:DWORD
	v_and_b32_e32 v6, 0xffff, v6
	v_and_or_b32 v7, 0xff000000, v1, v6
	v_perm_b32 v1, v8, v21, 0x3020504
                                        ; implicit-def: $vgpr6
                                        ; implicit-def: $vgpr8
.LBB231_45:
	s_andn2_saveexec_b32 s1, s0
	s_cbranch_execz .LBB231_49
; %bb.46:
	v_add_nc_u32_e32 v1, s17, v17
	v_add_nc_u32_e32 v7, s19, v17
	s_mov_b32 s2, 0
	s_mov_b32 s3, exec_lo
	v_mul_lo_u32 v1, v1, s16
	v_mul_lo_u32 v7, v7, s18
	v_sub_nc_u32_e32 v1, v1, v7
	v_cmp_lt_u32_e32 vcc_lo, s20, v1
	v_cmpx_ge_u32_e64 s20, v1
	s_cbranch_execz .LBB231_48
; %bb.47:
	v_add_nc_u32_e32 v1, s22, v17
	v_add_nc_u32_e32 v7, s40, v17
	v_mul_lo_u32 v1, v1, s21
	v_mul_lo_u32 v7, v7, s23
	v_sub_nc_u32_e32 v1, v1, v7
	v_cmp_lt_u32_e64 s0, s41, v1
	s_and_b32 s2, s0, exec_lo
.LBB231_48:
	s_or_b32 exec_lo, exec_lo, s3
	v_mov_b32_e32 v1, 8
	v_mov_b32_e32 v7, 24
	v_cndmask_b32_e64 v22, 0, 1, s2
	v_mov_b32_e32 v23, 0xff
	v_cndmask_b32_e64 v21, 0, 1, vcc_lo
	v_lshrrev_b32_sdwa v24, v1, v6 dst_sel:BYTE_1 dst_unused:UNUSED_PAD src0_sel:DWORD src1_sel:DWORD
	v_lshrrev_b32_sdwa v7, v7, v6 dst_sel:BYTE_1 dst_unused:UNUSED_PAD src0_sel:DWORD src1_sel:DWORD
	;; [unrolled: 1-line block ×3, first 2 shown]
	v_lshlrev_b16 v22, 8, v22
	v_and_b32_sdwa v23, v8, v23 dst_sel:DWORD dst_unused:UNUSED_PAD src0_sel:WORD_1 src1_sel:DWORD
	v_or_b32_sdwa v6, v6, v24 dst_sel:DWORD dst_unused:UNUSED_PAD src0_sel:BYTE_0 src1_sel:DWORD
	v_or_b32_sdwa v7, v21, v7 dst_sel:WORD_1 dst_unused:UNUSED_PAD src0_sel:DWORD src1_sel:DWORD
	v_or_b32_sdwa v1, v8, v1 dst_sel:DWORD dst_unused:UNUSED_PAD src0_sel:BYTE_0 src1_sel:DWORD
	v_or_b32_sdwa v8, v23, v22 dst_sel:WORD_1 dst_unused:UNUSED_PAD src0_sel:DWORD src1_sel:DWORD
	v_or_b32_sdwa v7, v6, v7 dst_sel:DWORD dst_unused:UNUSED_PAD src0_sel:WORD_0 src1_sel:DWORD
	v_or_b32_sdwa v1, v1, v8 dst_sel:DWORD dst_unused:UNUSED_PAD src0_sel:WORD_0 src1_sel:DWORD
.LBB231_49:
	s_or_b32 exec_lo, exec_lo, s1
	v_add_nc_u32_e32 v6, 3, v29
                                        ; implicit-def: $vgpr30
	v_cmp_le_u32_e32 vcc_lo, s7, v6
                                        ; implicit-def: $vgpr6
	s_and_saveexec_b32 s0, vcc_lo
	s_xor_b32 s0, exec_lo, s0
	s_cbranch_execz .LBB231_51
; %bb.50:
	v_mov_b32_e32 v6, 24
	v_mov_b32_e32 v8, 0xff
	;; [unrolled: 1-line block ×3, first 2 shown]
	v_and_b32_e32 v22, 0xff0000, v7
	v_perm_b32 v4, v4, v4, 0x3060504
	v_lshrrev_b32_sdwa v6, v6, v5 dst_sel:BYTE_1 dst_unused:UNUSED_PAD src0_sel:DWORD src1_sel:DWORD
	v_and_b32_sdwa v8, v5, v8 dst_sel:DWORD dst_unused:UNUSED_PAD src0_sel:WORD_1 src1_sel:DWORD
	v_lshrrev_b32_sdwa v5, v21, v5 dst_sel:BYTE_1 dst_unused:UNUSED_PAD src0_sel:DWORD src1_sel:DWORD
	v_perm_b32 v30, v7, v22, 0x3020504
	v_perm_b32 v3, v3, v3, 0x3060504
                                        ; implicit-def: $vgpr7
	v_or_b32_sdwa v6, v8, v6 dst_sel:WORD_1 dst_unused:UNUSED_PAD src0_sel:DWORD src1_sel:DWORD
	v_or_b32_sdwa v6, v5, v6 dst_sel:DWORD dst_unused:UNUSED_PAD src0_sel:WORD_0 src1_sel:DWORD
                                        ; implicit-def: $vgpr5
.LBB231_51:
	s_andn2_saveexec_b32 s1, s0
	s_cbranch_execz .LBB231_55
; %bb.52:
	v_add_nc_u32_e32 v6, s17, v18
	v_add_nc_u32_e32 v8, s19, v18
	s_mov_b32 s2, 0
	s_mov_b32 s3, exec_lo
	v_mul_lo_u32 v6, v6, s16
	v_mul_lo_u32 v8, v8, s18
	v_sub_nc_u32_e32 v6, v6, v8
	v_cmp_lt_u32_e32 vcc_lo, s20, v6
	v_cmpx_ge_u32_e64 s20, v6
	s_cbranch_execz .LBB231_54
; %bb.53:
	v_add_nc_u32_e32 v6, s22, v18
	v_add_nc_u32_e32 v8, s40, v18
	v_mul_lo_u32 v6, v6, s21
	v_mul_lo_u32 v8, v8, s23
	v_sub_nc_u32_e32 v6, v6, v8
	v_cmp_lt_u32_e64 s0, s41, v6
	s_and_b32 s2, s0, exec_lo
.LBB231_54:
	s_or_b32 exec_lo, exec_lo, s3
	v_mov_b32_e32 v6, 8
	v_cndmask_b32_e64 v8, 0, 1, vcc_lo
	v_mov_b32_e32 v21, 0xff
	v_mov_b32_e32 v22, 24
	v_cndmask_b32_e64 v23, 0, 1, s2
	v_lshrrev_b32_sdwa v24, v6, v7 dst_sel:BYTE_1 dst_unused:UNUSED_PAD src0_sel:DWORD src1_sel:DWORD
	v_lshlrev_b16 v8, 8, v8
	v_and_b32_sdwa v25, v7, v21 dst_sel:DWORD dst_unused:UNUSED_PAD src0_sel:WORD_1 src1_sel:DWORD
	v_lshrrev_b32_sdwa v22, v22, v5 dst_sel:BYTE_1 dst_unused:UNUSED_PAD src0_sel:DWORD src1_sel:DWORD
	v_and_b32_sdwa v21, v5, v21 dst_sel:DWORD dst_unused:UNUSED_PAD src0_sel:WORD_1 src1_sel:DWORD
	v_lshrrev_b32_sdwa v5, v6, v5 dst_sel:BYTE_1 dst_unused:UNUSED_PAD src0_sel:DWORD src1_sel:DWORD
	v_or_b32_sdwa v6, v7, v24 dst_sel:DWORD dst_unused:UNUSED_PAD src0_sel:BYTE_0 src1_sel:DWORD
	v_or_b32_sdwa v7, v25, v8 dst_sel:WORD_1 dst_unused:UNUSED_PAD src0_sel:DWORD src1_sel:DWORD
	v_or_b32_sdwa v8, v21, v22 dst_sel:WORD_1 dst_unused:UNUSED_PAD src0_sel:DWORD src1_sel:DWORD
	v_or_b32_e32 v5, v23, v5
	v_or_b32_sdwa v30, v6, v7 dst_sel:DWORD dst_unused:UNUSED_PAD src0_sel:WORD_0 src1_sel:DWORD
	v_or_b32_sdwa v6, v5, v8 dst_sel:DWORD dst_unused:UNUSED_PAD src0_sel:WORD_0 src1_sel:DWORD
.LBB231_55:
	s_or_b32 exec_lo, exec_lo, s1
	v_add_nc_u32_e32 v5, 4, v29
                                        ; implicit-def: $vgpr7
	v_cmp_le_u32_e32 vcc_lo, s7, v5
                                        ; implicit-def: $vgpr5
	s_and_saveexec_b32 s0, vcc_lo
	s_xor_b32 s0, exec_lo, s0
	s_cbranch_execz .LBB231_57
; %bb.56:
	v_mov_b32_e32 v5, 24
	v_mov_b32_e32 v7, 0xff
	;; [unrolled: 1-line block ×3, first 2 shown]
	v_perm_b32 v3, v3, v3, 0x3060504
	v_lshrrev_b32_sdwa v21, v5, v4 dst_sel:BYTE_1 dst_unused:UNUSED_PAD src0_sel:DWORD src1_sel:DWORD
	v_and_b32_sdwa v22, v4, v7 dst_sel:DWORD dst_unused:UNUSED_PAD src0_sel:WORD_1 src1_sel:DWORD
	v_lshrrev_b32_sdwa v5, v5, v6 dst_sel:BYTE_1 dst_unused:UNUSED_PAD src0_sel:DWORD src1_sel:DWORD
	v_and_b32_sdwa v7, v6, v7 dst_sel:DWORD dst_unused:UNUSED_PAD src0_sel:WORD_1 src1_sel:DWORD
	v_lshrrev_b32_sdwa v4, v8, v4 dst_sel:BYTE_1 dst_unused:UNUSED_PAD src0_sel:DWORD src1_sel:DWORD
	v_or_b32_sdwa v8, v22, v21 dst_sel:WORD_1 dst_unused:UNUSED_PAD src0_sel:DWORD src1_sel:DWORD
	v_or_b32_e32 v7, v7, v5
	v_or_b32_sdwa v5, v4, v8 dst_sel:DWORD dst_unused:UNUSED_PAD src0_sel:WORD_0 src1_sel:DWORD
                                        ; implicit-def: $vgpr4
	v_perm_b32 v7, v7, v6, 0x5040c00
                                        ; implicit-def: $vgpr6
.LBB231_57:
	s_andn2_saveexec_b32 s1, s0
	s_cbranch_execz .LBB231_61
; %bb.58:
	v_add_nc_u32_e32 v5, s17, v15
	v_add_nc_u32_e32 v7, s19, v15
	s_mov_b32 s2, 0
	s_mov_b32 s3, exec_lo
	v_mul_lo_u32 v5, v5, s16
	v_mul_lo_u32 v7, v7, s18
	v_sub_nc_u32_e32 v5, v5, v7
	v_cmp_lt_u32_e32 vcc_lo, s20, v5
	v_cmpx_ge_u32_e64 s20, v5
	s_cbranch_execz .LBB231_60
; %bb.59:
	v_add_nc_u32_e32 v5, s22, v15
	v_add_nc_u32_e32 v7, s40, v15
	v_mul_lo_u32 v5, v5, s21
	v_mul_lo_u32 v7, v7, s23
	v_sub_nc_u32_e32 v5, v5, v7
	v_cmp_lt_u32_e64 s0, s41, v5
	s_and_b32 s2, s0, exec_lo
.LBB231_60:
	s_or_b32 exec_lo, exec_lo, s3
	v_mov_b32_e32 v5, 24
	v_mov_b32_e32 v7, 0xff
	v_mov_b32_e32 v8, 8
	v_cndmask_b32_e64 v21, 0, 1, s2
	v_cndmask_b32_e64 v22, 0, 1, vcc_lo
	v_lshrrev_b32_sdwa v23, v5, v4 dst_sel:BYTE_1 dst_unused:UNUSED_PAD src0_sel:DWORD src1_sel:DWORD
	v_and_b32_sdwa v24, v4, v7 dst_sel:DWORD dst_unused:UNUSED_PAD src0_sel:WORD_1 src1_sel:DWORD
	v_lshrrev_b32_sdwa v4, v8, v4 dst_sel:BYTE_1 dst_unused:UNUSED_PAD src0_sel:DWORD src1_sel:DWORD
	v_lshlrev_b16 v8, 8, v21
	v_lshrrev_b32_sdwa v5, v5, v6 dst_sel:BYTE_1 dst_unused:UNUSED_PAD src0_sel:DWORD src1_sel:DWORD
	v_and_b32_sdwa v7, v6, v7 dst_sel:DWORD dst_unused:UNUSED_PAD src0_sel:WORD_1 src1_sel:DWORD
	v_or_b32_sdwa v21, v24, v23 dst_sel:WORD_1 dst_unused:UNUSED_PAD src0_sel:DWORD src1_sel:DWORD
	v_or_b32_e32 v4, v22, v4
	v_or_b32_sdwa v6, v6, v8 dst_sel:DWORD dst_unused:UNUSED_PAD src0_sel:BYTE_0 src1_sel:DWORD
	v_or_b32_sdwa v7, v7, v5 dst_sel:WORD_1 dst_unused:UNUSED_PAD src0_sel:DWORD src1_sel:DWORD
	v_or_b32_sdwa v5, v4, v21 dst_sel:DWORD dst_unused:UNUSED_PAD src0_sel:WORD_0 src1_sel:DWORD
	v_or_b32_sdwa v7, v6, v7 dst_sel:DWORD dst_unused:UNUSED_PAD src0_sel:WORD_0 src1_sel:DWORD
.LBB231_61:
	s_or_b32 exec_lo, exec_lo, s1
	v_add_nc_u32_e32 v4, 5, v29
                                        ; implicit-def: $vgpr6
	v_cmp_le_u32_e32 vcc_lo, s7, v4
                                        ; implicit-def: $vgpr4
	s_and_saveexec_b32 s0, vcc_lo
	s_xor_b32 s0, exec_lo, s0
	s_cbranch_execz .LBB231_63
; %bb.62:
	v_lshrrev_b32_e32 v4, 24, v7
	v_mov_b32_e32 v6, 8
	v_mov_b32_e32 v8, 0xff
	v_perm_b32 v3, v3, v3, 0x3060504
	v_perm_b32 v4, v4, v7, 0x40c0100
	v_mov_b32_e32 v7, 24
	v_and_b32_sdwa v8, v5, v8 dst_sel:DWORD dst_unused:UNUSED_PAD src0_sel:WORD_1 src1_sel:DWORD
	v_lshrrev_b32_sdwa v6, v6, v4 dst_sel:BYTE_1 dst_unused:UNUSED_PAD src0_sel:DWORD src1_sel:DWORD
	v_lshrrev_b32_sdwa v7, v7, v5 dst_sel:BYTE_1 dst_unused:UNUSED_PAD src0_sel:DWORD src1_sel:DWORD
	v_or_b32_sdwa v6, v4, v6 dst_sel:DWORD dst_unused:UNUSED_PAD src0_sel:BYTE_0 src1_sel:DWORD
	v_or_b32_e32 v7, v8, v7
	v_and_b32_e32 v8, 0xffff, v6
	v_perm_b32 v6, v7, v5, 0x5040c00
                                        ; implicit-def: $vgpr5
                                        ; implicit-def: $vgpr7
	v_and_or_b32 v4, 0xff000000, v4, v8
.LBB231_63:
	s_andn2_saveexec_b32 s1, s0
	s_cbranch_execz .LBB231_67
; %bb.64:
	v_add_nc_u32_e32 v4, s17, v16
	v_add_nc_u32_e32 v6, s19, v16
	s_mov_b32 s2, 0
	s_mov_b32 s3, exec_lo
	v_mul_lo_u32 v4, v4, s16
	v_mul_lo_u32 v6, v6, s18
	v_sub_nc_u32_e32 v4, v4, v6
	v_cmp_lt_u32_e32 vcc_lo, s20, v4
	v_cmpx_ge_u32_e64 s20, v4
	s_cbranch_execz .LBB231_66
; %bb.65:
	v_add_nc_u32_e32 v4, s22, v16
	v_add_nc_u32_e32 v6, s40, v16
	v_mul_lo_u32 v4, v4, s21
	v_mul_lo_u32 v6, v6, s23
	v_sub_nc_u32_e32 v4, v4, v6
	v_cmp_lt_u32_e64 s0, s41, v4
	s_and_b32 s2, s0, exec_lo
.LBB231_66:
	s_or_b32 exec_lo, exec_lo, s3
	v_cndmask_b32_e64 v4, 0, 1, vcc_lo
	v_mov_b32_e32 v6, 24
	v_mov_b32_e32 v8, 0xff
	v_mov_b32_e32 v21, 8
	v_cndmask_b32_e64 v22, 0, 1, s2
	v_lshlrev_b16 v4, 8, v4
	v_lshrrev_b32_sdwa v23, v6, v5 dst_sel:BYTE_1 dst_unused:UNUSED_PAD src0_sel:DWORD src1_sel:DWORD
	v_and_b32_sdwa v8, v5, v8 dst_sel:DWORD dst_unused:UNUSED_PAD src0_sel:WORD_1 src1_sel:DWORD
	v_lshrrev_b32_sdwa v21, v21, v7 dst_sel:BYTE_1 dst_unused:UNUSED_PAD src0_sel:DWORD src1_sel:DWORD
	v_lshrrev_b32_sdwa v6, v6, v7 dst_sel:BYTE_1 dst_unused:UNUSED_PAD src0_sel:DWORD src1_sel:DWORD
	v_or_b32_sdwa v4, v5, v4 dst_sel:DWORD dst_unused:UNUSED_PAD src0_sel:BYTE_0 src1_sel:DWORD
	v_or_b32_sdwa v5, v8, v23 dst_sel:WORD_1 dst_unused:UNUSED_PAD src0_sel:DWORD src1_sel:DWORD
	v_or_b32_sdwa v7, v7, v21 dst_sel:DWORD dst_unused:UNUSED_PAD src0_sel:BYTE_0 src1_sel:DWORD
	v_or_b32_sdwa v8, v22, v6 dst_sel:WORD_1 dst_unused:UNUSED_PAD src0_sel:DWORD src1_sel:DWORD
	v_or_b32_sdwa v6, v4, v5 dst_sel:DWORD dst_unused:UNUSED_PAD src0_sel:WORD_0 src1_sel:DWORD
	v_or_b32_sdwa v4, v7, v8 dst_sel:DWORD dst_unused:UNUSED_PAD src0_sel:WORD_0 src1_sel:DWORD
.LBB231_67:
	s_or_b32 exec_lo, exec_lo, s1
	v_add_nc_u32_e32 v5, 6, v29
                                        ; implicit-def: $vgpr31
	v_cmp_le_u32_e32 vcc_lo, s7, v5
                                        ; implicit-def: $vgpr5
	s_and_saveexec_b32 s0, vcc_lo
	s_xor_b32 s0, exec_lo, s0
	s_cbranch_execz .LBB231_69
; %bb.68:
	v_lshrrev_b32_e32 v5, 24, v6
	v_mov_b32_e32 v7, 8
	v_perm_b32 v3, v3, v3, 0x3060504
	v_perm_b32 v5, v5, v6, 0x40c0100
	v_lshrrev_b32_sdwa v6, v7, v5 dst_sel:BYTE_1 dst_unused:UNUSED_PAD src0_sel:DWORD src1_sel:DWORD
	v_and_b32_e32 v7, 0xff0000, v4
	v_or_b32_sdwa v6, v5, v6 dst_sel:DWORD dst_unused:UNUSED_PAD src0_sel:BYTE_0 src1_sel:DWORD
	v_perm_b32 v31, v4, v7, 0x3020504
                                        ; implicit-def: $vgpr4
	v_and_b32_e32 v6, 0xffff, v6
	v_and_or_b32 v5, 0xff000000, v5, v6
                                        ; implicit-def: $vgpr6
.LBB231_69:
	s_andn2_saveexec_b32 s1, s0
	s_cbranch_execz .LBB231_73
; %bb.70:
	v_add_nc_u32_e32 v5, s17, v13
	v_add_nc_u32_e32 v7, s19, v13
	s_mov_b32 s2, 0
	s_mov_b32 s3, exec_lo
	v_mul_lo_u32 v5, v5, s16
	v_mul_lo_u32 v7, v7, s18
	v_sub_nc_u32_e32 v5, v5, v7
	v_cmp_lt_u32_e32 vcc_lo, s20, v5
	v_cmpx_ge_u32_e64 s20, v5
	s_cbranch_execz .LBB231_72
; %bb.71:
	v_add_nc_u32_e32 v5, s22, v13
	v_add_nc_u32_e32 v7, s40, v13
	v_mul_lo_u32 v5, v5, s21
	v_mul_lo_u32 v7, v7, s23
	v_sub_nc_u32_e32 v5, v5, v7
	v_cmp_lt_u32_e64 s0, s41, v5
	s_and_b32 s2, s0, exec_lo
.LBB231_72:
	s_or_b32 exec_lo, exec_lo, s3
	v_mov_b32_e32 v5, 8
	v_mov_b32_e32 v7, 24
	v_cndmask_b32_e64 v21, 0, 1, s2
	v_mov_b32_e32 v22, 0xff
	v_cndmask_b32_e64 v8, 0, 1, vcc_lo
	v_lshrrev_b32_sdwa v23, v5, v6 dst_sel:BYTE_1 dst_unused:UNUSED_PAD src0_sel:DWORD src1_sel:DWORD
	v_lshrrev_b32_sdwa v7, v7, v6 dst_sel:BYTE_1 dst_unused:UNUSED_PAD src0_sel:DWORD src1_sel:DWORD
	;; [unrolled: 1-line block ×3, first 2 shown]
	v_lshlrev_b16 v21, 8, v21
	v_and_b32_sdwa v22, v4, v22 dst_sel:DWORD dst_unused:UNUSED_PAD src0_sel:WORD_1 src1_sel:DWORD
	v_or_b32_sdwa v6, v6, v23 dst_sel:DWORD dst_unused:UNUSED_PAD src0_sel:BYTE_0 src1_sel:DWORD
	v_or_b32_sdwa v7, v8, v7 dst_sel:WORD_1 dst_unused:UNUSED_PAD src0_sel:DWORD src1_sel:DWORD
	v_or_b32_sdwa v4, v4, v5 dst_sel:DWORD dst_unused:UNUSED_PAD src0_sel:BYTE_0 src1_sel:DWORD
	v_or_b32_sdwa v8, v22, v21 dst_sel:WORD_1 dst_unused:UNUSED_PAD src0_sel:DWORD src1_sel:DWORD
	v_or_b32_sdwa v5, v6, v7 dst_sel:DWORD dst_unused:UNUSED_PAD src0_sel:WORD_0 src1_sel:DWORD
	v_or_b32_sdwa v31, v4, v8 dst_sel:DWORD dst_unused:UNUSED_PAD src0_sel:WORD_0 src1_sel:DWORD
.LBB231_73:
	s_or_b32 exec_lo, exec_lo, s1
	v_add_nc_u32_e32 v4, 7, v29
                                        ; implicit-def: $vgpr32
	v_cmp_le_u32_e32 vcc_lo, s7, v4
                                        ; implicit-def: $vgpr4
	s_and_saveexec_b32 s0, vcc_lo
	s_xor_b32 s0, exec_lo, s0
	s_cbranch_execz .LBB231_75
; %bb.74:
	v_mov_b32_e32 v4, 24
	v_mov_b32_e32 v6, 0xff
	;; [unrolled: 1-line block ×3, first 2 shown]
	v_lshrrev_b32_sdwa v4, v4, v3 dst_sel:BYTE_1 dst_unused:UNUSED_PAD src0_sel:DWORD src1_sel:DWORD
	v_and_b32_sdwa v6, v3, v6 dst_sel:DWORD dst_unused:UNUSED_PAD src0_sel:WORD_1 src1_sel:DWORD
	v_lshrrev_b32_sdwa v3, v7, v3 dst_sel:BYTE_1 dst_unused:UNUSED_PAD src0_sel:DWORD src1_sel:DWORD
	v_and_b32_e32 v7, 0xff0000, v5
	v_or_b32_sdwa v4, v6, v4 dst_sel:WORD_1 dst_unused:UNUSED_PAD src0_sel:DWORD src1_sel:DWORD
	v_perm_b32 v32, v5, v7, 0x3020504
                                        ; implicit-def: $vgpr5
	v_or_b32_sdwa v4, v3, v4 dst_sel:DWORD dst_unused:UNUSED_PAD src0_sel:WORD_0 src1_sel:DWORD
                                        ; implicit-def: $vgpr3
.LBB231_75:
	s_andn2_saveexec_b32 s1, s0
	s_cbranch_execz .LBB231_79
; %bb.76:
	v_add_nc_u32_e32 v4, s17, v14
	v_add_nc_u32_e32 v6, s19, v14
	s_mov_b32 s2, 0
	s_mov_b32 s3, exec_lo
	v_mul_lo_u32 v4, v4, s16
	v_mul_lo_u32 v6, v6, s18
	v_sub_nc_u32_e32 v4, v4, v6
	v_cmp_lt_u32_e32 vcc_lo, s20, v4
	v_cmpx_ge_u32_e64 s20, v4
	s_cbranch_execz .LBB231_78
; %bb.77:
	v_add_nc_u32_e32 v4, s22, v14
	v_add_nc_u32_e32 v6, s40, v14
	v_mul_lo_u32 v4, v4, s21
	v_mul_lo_u32 v6, v6, s23
	v_sub_nc_u32_e32 v4, v4, v6
	v_cmp_lt_u32_e64 s0, s41, v4
	s_and_b32 s2, s0, exec_lo
.LBB231_78:
	s_or_b32 exec_lo, exec_lo, s3
	v_mov_b32_e32 v4, 8
	v_cndmask_b32_e64 v6, 0, 1, vcc_lo
	v_mov_b32_e32 v7, 0xff
	v_mov_b32_e32 v8, 24
	v_cndmask_b32_e64 v21, 0, 1, s2
	v_lshrrev_b32_sdwa v22, v4, v5 dst_sel:BYTE_1 dst_unused:UNUSED_PAD src0_sel:DWORD src1_sel:DWORD
	v_lshlrev_b16 v6, 8, v6
	v_and_b32_sdwa v23, v5, v7 dst_sel:DWORD dst_unused:UNUSED_PAD src0_sel:WORD_1 src1_sel:DWORD
	v_lshrrev_b32_sdwa v8, v8, v3 dst_sel:BYTE_1 dst_unused:UNUSED_PAD src0_sel:DWORD src1_sel:DWORD
	v_and_b32_sdwa v7, v3, v7 dst_sel:DWORD dst_unused:UNUSED_PAD src0_sel:WORD_1 src1_sel:DWORD
	v_lshrrev_b32_sdwa v3, v4, v3 dst_sel:BYTE_1 dst_unused:UNUSED_PAD src0_sel:DWORD src1_sel:DWORD
	v_or_b32_sdwa v4, v5, v22 dst_sel:DWORD dst_unused:UNUSED_PAD src0_sel:BYTE_0 src1_sel:DWORD
	v_or_b32_sdwa v5, v23, v6 dst_sel:WORD_1 dst_unused:UNUSED_PAD src0_sel:DWORD src1_sel:DWORD
	v_or_b32_sdwa v6, v7, v8 dst_sel:WORD_1 dst_unused:UNUSED_PAD src0_sel:DWORD src1_sel:DWORD
	v_or_b32_e32 v3, v21, v3
	v_or_b32_sdwa v32, v4, v5 dst_sel:DWORD dst_unused:UNUSED_PAD src0_sel:WORD_0 src1_sel:DWORD
	v_or_b32_sdwa v4, v3, v6 dst_sel:DWORD dst_unused:UNUSED_PAD src0_sel:WORD_0 src1_sel:DWORD
.LBB231_79:
	s_or_b32 exec_lo, exec_lo, s1
	v_add_nc_u32_e32 v3, 8, v29
                                        ; implicit-def: $vgpr5
	v_cmp_le_u32_e32 vcc_lo, s7, v3
                                        ; implicit-def: $vgpr3
	s_and_saveexec_b32 s0, vcc_lo
	s_xor_b32 s0, exec_lo, s0
	s_cbranch_execz .LBB231_81
; %bb.80:
	v_mov_b32_e32 v3, 24
	v_mov_b32_e32 v5, 0xff
	;; [unrolled: 1-line block ×3, first 2 shown]
	v_perm_b32 v1, v1, v1, 0x3060504
	v_lshrrev_b32_sdwa v7, v3, v4 dst_sel:BYTE_1 dst_unused:UNUSED_PAD src0_sel:DWORD src1_sel:DWORD
	v_lshrrev_b32_sdwa v3, v3, v2 dst_sel:BYTE_1 dst_unused:UNUSED_PAD src0_sel:DWORD src1_sel:DWORD
	v_and_b32_sdwa v8, v2, v5 dst_sel:DWORD dst_unused:UNUSED_PAD src0_sel:WORD_1 src1_sel:DWORD
	v_and_b32_sdwa v5, v4, v5 dst_sel:DWORD dst_unused:UNUSED_PAD src0_sel:WORD_1 src1_sel:DWORD
	v_lshrrev_b32_sdwa v2, v6, v2 dst_sel:BYTE_1 dst_unused:UNUSED_PAD src0_sel:DWORD src1_sel:DWORD
	v_or_b32_sdwa v3, v8, v3 dst_sel:WORD_1 dst_unused:UNUSED_PAD src0_sel:DWORD src1_sel:DWORD
	v_or_b32_e32 v5, v5, v7
	v_or_b32_sdwa v3, v2, v3 dst_sel:DWORD dst_unused:UNUSED_PAD src0_sel:WORD_0 src1_sel:DWORD
	v_perm_b32 v5, v5, v4, 0x5040c00
                                        ; implicit-def: $vgpr2
                                        ; implicit-def: $vgpr4
.LBB231_81:
	s_andn2_saveexec_b32 s1, s0
	s_cbranch_execz .LBB231_85
; %bb.82:
	v_add_nc_u32_e32 v3, s17, v11
	v_add_nc_u32_e32 v5, s19, v11
	s_mov_b32 s2, 0
	s_mov_b32 s3, exec_lo
	v_mul_lo_u32 v3, v3, s16
	v_mul_lo_u32 v5, v5, s18
	v_sub_nc_u32_e32 v3, v3, v5
	v_cmp_lt_u32_e32 vcc_lo, s20, v3
	v_cmpx_ge_u32_e64 s20, v3
	s_cbranch_execz .LBB231_84
; %bb.83:
	v_add_nc_u32_e32 v3, s22, v11
	v_add_nc_u32_e32 v5, s40, v11
	v_mul_lo_u32 v3, v3, s21
	v_mul_lo_u32 v5, v5, s23
	v_sub_nc_u32_e32 v3, v3, v5
	v_cmp_lt_u32_e64 s0, s41, v3
	s_and_b32 s2, s0, exec_lo
.LBB231_84:
	s_or_b32 exec_lo, exec_lo, s3
	v_mov_b32_e32 v3, 24
	v_mov_b32_e32 v5, 0xff
	v_mov_b32_e32 v6, 8
	v_cndmask_b32_e64 v7, 0, 1, s2
	v_cndmask_b32_e64 v8, 0, 1, vcc_lo
	v_lshrrev_b32_sdwa v21, v3, v2 dst_sel:BYTE_1 dst_unused:UNUSED_PAD src0_sel:DWORD src1_sel:DWORD
	v_and_b32_sdwa v22, v2, v5 dst_sel:DWORD dst_unused:UNUSED_PAD src0_sel:WORD_1 src1_sel:DWORD
	v_lshrrev_b32_sdwa v2, v6, v2 dst_sel:BYTE_1 dst_unused:UNUSED_PAD src0_sel:DWORD src1_sel:DWORD
	v_lshlrev_b16 v6, 8, v7
	v_lshrrev_b32_sdwa v3, v3, v4 dst_sel:BYTE_1 dst_unused:UNUSED_PAD src0_sel:DWORD src1_sel:DWORD
	v_and_b32_sdwa v5, v4, v5 dst_sel:DWORD dst_unused:UNUSED_PAD src0_sel:WORD_1 src1_sel:DWORD
	v_or_b32_sdwa v7, v22, v21 dst_sel:WORD_1 dst_unused:UNUSED_PAD src0_sel:DWORD src1_sel:DWORD
	v_or_b32_e32 v2, v8, v2
	v_or_b32_sdwa v4, v4, v6 dst_sel:DWORD dst_unused:UNUSED_PAD src0_sel:BYTE_0 src1_sel:DWORD
	v_or_b32_sdwa v5, v5, v3 dst_sel:WORD_1 dst_unused:UNUSED_PAD src0_sel:DWORD src1_sel:DWORD
	v_or_b32_sdwa v3, v2, v7 dst_sel:DWORD dst_unused:UNUSED_PAD src0_sel:WORD_0 src1_sel:DWORD
	v_or_b32_sdwa v5, v4, v5 dst_sel:DWORD dst_unused:UNUSED_PAD src0_sel:WORD_0 src1_sel:DWORD
.LBB231_85:
	s_or_b32 exec_lo, exec_lo, s1
	v_add_nc_u32_e32 v2, 9, v29
                                        ; implicit-def: $vgpr4
	v_cmp_le_u32_e32 vcc_lo, s7, v2
                                        ; implicit-def: $vgpr2
	s_and_saveexec_b32 s0, vcc_lo
	s_xor_b32 s0, exec_lo, s0
	s_cbranch_execz .LBB231_87
; %bb.86:
	v_lshrrev_b32_e32 v2, 24, v5
	v_mov_b32_e32 v4, 8
	v_mov_b32_e32 v6, 0xff
	v_perm_b32 v1, v1, v1, 0x3060504
	v_perm_b32 v2, v2, v5, 0x40c0100
	v_mov_b32_e32 v5, 24
	v_and_b32_sdwa v6, v3, v6 dst_sel:DWORD dst_unused:UNUSED_PAD src0_sel:WORD_1 src1_sel:DWORD
	v_lshrrev_b32_sdwa v4, v4, v2 dst_sel:BYTE_1 dst_unused:UNUSED_PAD src0_sel:DWORD src1_sel:DWORD
	v_lshrrev_b32_sdwa v5, v5, v3 dst_sel:BYTE_1 dst_unused:UNUSED_PAD src0_sel:DWORD src1_sel:DWORD
	v_or_b32_sdwa v4, v2, v4 dst_sel:DWORD dst_unused:UNUSED_PAD src0_sel:BYTE_0 src1_sel:DWORD
	v_or_b32_e32 v5, v6, v5
	v_and_b32_e32 v6, 0xffff, v4
	v_perm_b32 v4, v5, v3, 0x5040c00
                                        ; implicit-def: $vgpr3
                                        ; implicit-def: $vgpr5
	v_and_or_b32 v2, 0xff000000, v2, v6
.LBB231_87:
	s_andn2_saveexec_b32 s1, s0
	s_cbranch_execz .LBB231_91
; %bb.88:
	v_add_nc_u32_e32 v2, s17, v12
	v_add_nc_u32_e32 v4, s19, v12
	s_mov_b32 s2, 0
	s_mov_b32 s3, exec_lo
	v_mul_lo_u32 v2, v2, s16
	v_mul_lo_u32 v4, v4, s18
	v_sub_nc_u32_e32 v2, v2, v4
	v_cmp_lt_u32_e32 vcc_lo, s20, v2
	v_cmpx_ge_u32_e64 s20, v2
	s_cbranch_execz .LBB231_90
; %bb.89:
	v_add_nc_u32_e32 v2, s22, v12
	v_add_nc_u32_e32 v4, s40, v12
	v_mul_lo_u32 v2, v2, s21
	v_mul_lo_u32 v4, v4, s23
	v_sub_nc_u32_e32 v2, v2, v4
	v_cmp_lt_u32_e64 s0, s41, v2
	s_and_b32 s2, s0, exec_lo
.LBB231_90:
	s_or_b32 exec_lo, exec_lo, s3
	v_cndmask_b32_e64 v2, 0, 1, vcc_lo
	v_mov_b32_e32 v4, 24
	v_mov_b32_e32 v6, 0xff
	;; [unrolled: 1-line block ×3, first 2 shown]
	v_cndmask_b32_e64 v8, 0, 1, s2
	v_lshlrev_b16 v2, 8, v2
	v_lshrrev_b32_sdwa v21, v4, v3 dst_sel:BYTE_1 dst_unused:UNUSED_PAD src0_sel:DWORD src1_sel:DWORD
	v_and_b32_sdwa v6, v3, v6 dst_sel:DWORD dst_unused:UNUSED_PAD src0_sel:WORD_1 src1_sel:DWORD
	v_lshrrev_b32_sdwa v7, v7, v5 dst_sel:BYTE_1 dst_unused:UNUSED_PAD src0_sel:DWORD src1_sel:DWORD
	v_lshrrev_b32_sdwa v4, v4, v5 dst_sel:BYTE_1 dst_unused:UNUSED_PAD src0_sel:DWORD src1_sel:DWORD
	v_or_b32_sdwa v2, v3, v2 dst_sel:DWORD dst_unused:UNUSED_PAD src0_sel:BYTE_0 src1_sel:DWORD
	v_or_b32_sdwa v3, v6, v21 dst_sel:WORD_1 dst_unused:UNUSED_PAD src0_sel:DWORD src1_sel:DWORD
	v_or_b32_sdwa v5, v5, v7 dst_sel:DWORD dst_unused:UNUSED_PAD src0_sel:BYTE_0 src1_sel:DWORD
	v_or_b32_sdwa v6, v8, v4 dst_sel:WORD_1 dst_unused:UNUSED_PAD src0_sel:DWORD src1_sel:DWORD
	v_or_b32_sdwa v4, v2, v3 dst_sel:DWORD dst_unused:UNUSED_PAD src0_sel:WORD_0 src1_sel:DWORD
	v_or_b32_sdwa v2, v5, v6 dst_sel:DWORD dst_unused:UNUSED_PAD src0_sel:WORD_0 src1_sel:DWORD
.LBB231_91:
	s_or_b32 exec_lo, exec_lo, s1
	v_add_nc_u32_e32 v3, 10, v29
                                        ; implicit-def: $vgpr33
	v_cmp_le_u32_e32 vcc_lo, s7, v3
                                        ; implicit-def: $vgpr3
	s_and_saveexec_b32 s0, vcc_lo
	s_xor_b32 s0, exec_lo, s0
	s_cbranch_execz .LBB231_93
; %bb.92:
	v_lshrrev_b32_e32 v3, 24, v4
	v_mov_b32_e32 v5, 8
	v_perm_b32 v1, v1, v1, 0x3060504
	v_perm_b32 v3, v3, v4, 0x40c0100
	v_lshrrev_b32_sdwa v4, v5, v3 dst_sel:BYTE_1 dst_unused:UNUSED_PAD src0_sel:DWORD src1_sel:DWORD
	v_and_b32_e32 v5, 0xff0000, v2
	v_or_b32_sdwa v4, v3, v4 dst_sel:DWORD dst_unused:UNUSED_PAD src0_sel:BYTE_0 src1_sel:DWORD
	v_perm_b32 v33, v2, v5, 0x3020504
                                        ; implicit-def: $vgpr2
	v_and_b32_e32 v4, 0xffff, v4
	v_and_or_b32 v3, 0xff000000, v3, v4
                                        ; implicit-def: $vgpr4
.LBB231_93:
	s_andn2_saveexec_b32 s1, s0
	s_cbranch_execz .LBB231_97
; %bb.94:
	v_add_nc_u32_e32 v3, s17, v9
	v_add_nc_u32_e32 v5, s19, v9
	s_mov_b32 s2, 0
	s_mov_b32 s3, exec_lo
	v_mul_lo_u32 v3, v3, s16
	v_mul_lo_u32 v5, v5, s18
	v_sub_nc_u32_e32 v3, v3, v5
	v_cmp_lt_u32_e32 vcc_lo, s20, v3
	v_cmpx_ge_u32_e64 s20, v3
	s_cbranch_execz .LBB231_96
; %bb.95:
	v_add_nc_u32_e32 v3, s22, v9
	v_add_nc_u32_e32 v5, s40, v9
	v_mul_lo_u32 v3, v3, s21
	v_mul_lo_u32 v5, v5, s23
	v_sub_nc_u32_e32 v3, v3, v5
	v_cmp_lt_u32_e64 s0, s41, v3
	s_and_b32 s2, s0, exec_lo
.LBB231_96:
	s_or_b32 exec_lo, exec_lo, s3
	v_mov_b32_e32 v3, 8
	v_mov_b32_e32 v5, 24
	v_cndmask_b32_e64 v7, 0, 1, s2
	v_mov_b32_e32 v8, 0xff
	v_cndmask_b32_e64 v6, 0, 1, vcc_lo
	v_lshrrev_b32_sdwa v21, v3, v4 dst_sel:BYTE_1 dst_unused:UNUSED_PAD src0_sel:DWORD src1_sel:DWORD
	v_lshrrev_b32_sdwa v5, v5, v4 dst_sel:BYTE_1 dst_unused:UNUSED_PAD src0_sel:DWORD src1_sel:DWORD
	;; [unrolled: 1-line block ×3, first 2 shown]
	v_lshlrev_b16 v7, 8, v7
	v_and_b32_sdwa v8, v2, v8 dst_sel:DWORD dst_unused:UNUSED_PAD src0_sel:WORD_1 src1_sel:DWORD
	v_or_b32_sdwa v4, v4, v21 dst_sel:DWORD dst_unused:UNUSED_PAD src0_sel:BYTE_0 src1_sel:DWORD
	v_or_b32_sdwa v5, v6, v5 dst_sel:WORD_1 dst_unused:UNUSED_PAD src0_sel:DWORD src1_sel:DWORD
	v_or_b32_sdwa v2, v2, v3 dst_sel:DWORD dst_unused:UNUSED_PAD src0_sel:BYTE_0 src1_sel:DWORD
	v_or_b32_sdwa v6, v8, v7 dst_sel:WORD_1 dst_unused:UNUSED_PAD src0_sel:DWORD src1_sel:DWORD
	v_or_b32_sdwa v3, v4, v5 dst_sel:DWORD dst_unused:UNUSED_PAD src0_sel:WORD_0 src1_sel:DWORD
	v_or_b32_sdwa v33, v2, v6 dst_sel:DWORD dst_unused:UNUSED_PAD src0_sel:WORD_0 src1_sel:DWORD
.LBB231_97:
	s_or_b32 exec_lo, exec_lo, s1
	v_add_nc_u32_e32 v2, 11, v29
	v_mov_b32_e32 v34, 0
	s_mov_b32 s0, exec_lo
                                        ; implicit-def: $vgpr35
	v_cmpx_le_u32_e64 s7, v2
	s_xor_b32 s0, exec_lo, s0
; %bb.98:
	v_and_b32_e32 v2, 0xff0000, v3
	v_perm_b32 v1, v1, v1, 0x3060504
	v_perm_b32 v35, v3, v2, 0x3020504
                                        ; implicit-def: $vgpr3
; %bb.99:
	s_andn2_saveexec_b32 s1, s0
	s_cbranch_execz .LBB231_103
; %bb.100:
	v_add_nc_u32_e32 v2, s17, v10
	v_add_nc_u32_e32 v4, s19, v10
	s_mov_b32 s2, 0
	s_mov_b32 s3, exec_lo
	v_mul_lo_u32 v2, v2, s16
	v_mul_lo_u32 v4, v4, s18
	v_sub_nc_u32_e32 v2, v2, v4
	v_cmp_lt_u32_e32 vcc_lo, s20, v2
	v_cmpx_ge_u32_e64 s20, v2
	s_cbranch_execz .LBB231_102
; %bb.101:
	v_add_nc_u32_e32 v2, s22, v10
	v_add_nc_u32_e32 v4, s40, v10
	v_mul_lo_u32 v2, v2, s21
	v_mul_lo_u32 v4, v4, s23
	v_sub_nc_u32_e32 v2, v2, v4
	v_cmp_lt_u32_e64 s0, s41, v2
	s_and_b32 s2, s0, exec_lo
.LBB231_102:
	s_or_b32 exec_lo, exec_lo, s3
	v_mov_b32_e32 v2, 8
	v_cndmask_b32_e64 v4, 0, 1, vcc_lo
	v_mov_b32_e32 v5, 0xff
	v_cndmask_b32_e64 v34, 0, 1, s2
	v_lshrrev_b32_sdwa v2, v2, v3 dst_sel:BYTE_1 dst_unused:UNUSED_PAD src0_sel:DWORD src1_sel:DWORD
	v_lshlrev_b16 v4, 8, v4
	v_and_b32_sdwa v5, v3, v5 dst_sel:DWORD dst_unused:UNUSED_PAD src0_sel:WORD_1 src1_sel:DWORD
	v_or_b32_sdwa v2, v3, v2 dst_sel:DWORD dst_unused:UNUSED_PAD src0_sel:BYTE_0 src1_sel:DWORD
	v_or_b32_sdwa v3, v5, v4 dst_sel:WORD_1 dst_unused:UNUSED_PAD src0_sel:DWORD src1_sel:DWORD
	v_or_b32_sdwa v35, v2, v3 dst_sel:DWORD dst_unused:UNUSED_PAD src0_sel:WORD_0 src1_sel:DWORD
.LBB231_103:
	s_or_b32 exec_lo, exec_lo, s1
	v_add_nc_u32_e32 v2, 12, v29
	s_mov_b32 s0, exec_lo
                                        ; implicit-def: $vgpr36
	v_cmpx_le_u32_e64 s7, v2
	s_xor_b32 s0, exec_lo, s0
	s_cbranch_execz .LBB231_105
; %bb.104:
	v_mov_b32_e32 v2, 24
	v_mov_b32_e32 v3, 0xff
	;; [unrolled: 1-line block ×3, first 2 shown]
	v_lshrrev_b32_sdwa v2, v2, v1 dst_sel:BYTE_1 dst_unused:UNUSED_PAD src0_sel:DWORD src1_sel:DWORD
	v_and_b32_sdwa v3, v1, v3 dst_sel:DWORD dst_unused:UNUSED_PAD src0_sel:WORD_1 src1_sel:DWORD
	v_lshrrev_b32_sdwa v1, v4, v1 dst_sel:BYTE_1 dst_unused:UNUSED_PAD src0_sel:DWORD src1_sel:DWORD
	v_or_b32_sdwa v2, v3, v2 dst_sel:WORD_1 dst_unused:UNUSED_PAD src0_sel:DWORD src1_sel:DWORD
	v_or_b32_sdwa v36, v1, v2 dst_sel:DWORD dst_unused:UNUSED_PAD src0_sel:WORD_0 src1_sel:DWORD
                                        ; implicit-def: $vgpr1
.LBB231_105:
	s_or_saveexec_b32 s1, s0
	v_mov_b32_e32 v37, 0
	s_xor_b32 exec_lo, exec_lo, s1
	s_cbranch_execz .LBB231_109
; %bb.106:
	v_add_nc_u32_e32 v2, s17, v28
	v_add_nc_u32_e32 v3, s19, v28
	s_mov_b32 s2, 0
	s_mov_b32 s3, exec_lo
	v_mul_lo_u32 v2, v2, s16
	v_mul_lo_u32 v3, v3, s18
	v_sub_nc_u32_e32 v2, v2, v3
	v_cmp_lt_u32_e32 vcc_lo, s20, v2
	v_cmpx_ge_u32_e64 s20, v2
	s_cbranch_execz .LBB231_108
; %bb.107:
	v_add_nc_u32_e32 v2, s22, v28
	v_add_nc_u32_e32 v3, s40, v28
	v_mul_lo_u32 v2, v2, s21
	v_mul_lo_u32 v3, v3, s23
	v_sub_nc_u32_e32 v2, v2, v3
	v_cmp_lt_u32_e64 s0, s41, v2
	s_and_b32 s2, s0, exec_lo
.LBB231_108:
	s_or_b32 exec_lo, exec_lo, s3
	v_mov_b32_e32 v2, 24
	v_mov_b32_e32 v3, 0xff
	;; [unrolled: 1-line block ×3, first 2 shown]
	v_cndmask_b32_e64 v5, 0, 1, vcc_lo
	v_cndmask_b32_e64 v37, 0, 1, s2
	v_lshrrev_b32_sdwa v2, v2, v1 dst_sel:BYTE_1 dst_unused:UNUSED_PAD src0_sel:DWORD src1_sel:DWORD
	v_and_b32_sdwa v3, v1, v3 dst_sel:DWORD dst_unused:UNUSED_PAD src0_sel:WORD_1 src1_sel:DWORD
	v_lshrrev_b32_sdwa v1, v4, v1 dst_sel:BYTE_1 dst_unused:UNUSED_PAD src0_sel:DWORD src1_sel:DWORD
	v_or_b32_sdwa v2, v3, v2 dst_sel:WORD_1 dst_unused:UNUSED_PAD src0_sel:DWORD src1_sel:DWORD
	v_or_b32_e32 v1, v5, v1
	v_or_b32_sdwa v36, v1, v2 dst_sel:DWORD dst_unused:UNUSED_PAD src0_sel:WORD_0 src1_sel:DWORD
.LBB231_109:
	s_or_b32 exec_lo, exec_lo, s1
.LBB231_110:
	v_and_b32_e32 v60, 0xff, v30
	v_bfe_u32 v61, v36, 8, 8
	v_bfe_u32 v57, v30, 8, 8
	;; [unrolled: 1-line block ×4, first 2 shown]
	v_lshrrev_b32_e32 v43, 24, v36
	v_lshrrev_b32_e32 v42, 24, v30
	v_and_b32_e32 v56, 0xff, v31
	v_and_b32_e32 v54, 0xff, v32
	v_bfe_u32 v55, v31, 8, 8
	v_add3_u32 v1, v57, v60, v59
	v_add3_u32 v2, v58, v61, v43
	v_bfe_u32 v52, v32, 8, 8
	v_bfe_u32 v53, v31, 16, 8
	;; [unrolled: 1-line block ×3, first 2 shown]
	v_lshrrev_b32_e32 v41, 24, v31
	v_add3_u32 v1, v1, v42, v54
	v_add3_u32 v2, v2, v56, v55
	v_lshrrev_b32_e32 v40, 24, v32
	v_and_b32_e32 v51, 0xff, v33
	v_and_b32_e32 v49, 0xff, v35
	v_bfe_u32 v50, v33, 8, 8
	v_add3_u32 v1, v1, v52, v46
	v_add3_u32 v2, v2, v53, v41
	v_bfe_u32 v47, v35, 8, 8
	v_bfe_u32 v48, v33, 16, 8
	v_bfe_u32 v45, v35, 16, 8
	v_lshrrev_b32_e32 v39, 24, v33
	v_add3_u32 v1, v1, v40, v49
	v_add3_u32 v2, v2, v51, v50
	v_mbcnt_lo_u32_b32 v62, -1, 0
	v_lshrrev_b32_e32 v38, 24, v35
	v_and_b32_e32 v44, 0xff, v34
	v_and_b32_e32 v3, 0xff, v36
	;; [unrolled: 1-line block ×3, first 2 shown]
	v_add3_u32 v1, v1, v47, v45
	v_add3_u32 v2, v2, v48, v39
	v_and_b32_e32 v64, 15, v62
	v_and_b32_e32 v66, 16, v62
	v_lshrrev_b32_e32 v63, 5, v0
	v_add3_u32 v67, v1, v38, v3
	v_add3_u32 v68, v2, v44, v4
	v_cmp_eq_u32_e64 s1, 0, v64
	v_cmp_lt_u32_e64 s0, 1, v64
	v_cmp_lt_u32_e64 s2, 3, v64
	v_or_b32_e32 v65, 31, v0
	s_cmp_lg_u32 s6, 0
	s_mov_b32 s3, -1
	v_cmp_lt_u32_e32 vcc_lo, 7, v64
	s_cbranch_scc0 .LBB231_132
; %bb.111:
	v_mov_b32_dpp v1, v68 row_shr:1 row_mask:0xf bank_mask:0xf
	v_mov_b32_dpp v2, v67 row_shr:1 row_mask:0xf bank_mask:0xf
	s_mov_b32 s3, exec_lo
	v_add_nc_u32_e32 v1, v1, v68
	v_add_nc_u32_e32 v2, v2, v67
	v_cndmask_b32_e64 v1, v1, v68, s1
	v_cndmask_b32_e64 v2, v2, v67, s1
	v_mov_b32_dpp v3, v1 row_shr:2 row_mask:0xf bank_mask:0xf
	v_mov_b32_dpp v4, v2 row_shr:2 row_mask:0xf bank_mask:0xf
	v_add_nc_u32_e32 v3, v1, v3
	v_add_nc_u32_e32 v4, v2, v4
	v_cndmask_b32_e64 v1, v1, v3, s0
	v_cndmask_b32_e64 v2, v2, v4, s0
	v_mov_b32_dpp v3, v1 row_shr:4 row_mask:0xf bank_mask:0xf
	v_mov_b32_dpp v4, v2 row_shr:4 row_mask:0xf bank_mask:0xf
	;; [unrolled: 6-line block ×3, first 2 shown]
	v_add_nc_u32_e32 v3, v1, v3
	v_add_nc_u32_e32 v4, v2, v4
	v_cndmask_b32_e32 v1, v1, v3, vcc_lo
	v_cndmask_b32_e32 v2, v2, v4, vcc_lo
	v_cmp_eq_u32_e32 vcc_lo, 0, v66
	ds_swizzle_b32 v3, v1 offset:swizzle(BROADCAST,32,15)
	ds_swizzle_b32 v4, v2 offset:swizzle(BROADCAST,32,15)
	s_waitcnt lgkmcnt(0)
	v_add_nc_u32_e32 v3, v1, v3
	v_add_nc_u32_e32 v4, v2, v4
	v_cmpx_eq_u32_e64 v0, v65
	s_cbranch_execz .LBB231_113
; %bb.112:
	v_lshlrev_b32_e32 v7, 3, v63
	v_cndmask_b32_e32 v6, v3, v1, vcc_lo
	v_cndmask_b32_e32 v5, v4, v2, vcc_lo
	ds_write_b64 v7, v[5:6]
.LBB231_113:
	s_or_b32 exec_lo, exec_lo, s3
	s_mov_b32 s3, exec_lo
	s_waitcnt lgkmcnt(0)
	s_barrier
	buffer_gl0_inv
	v_cmpx_gt_u32_e32 8, v0
	s_cbranch_execz .LBB231_115
; %bb.114:
	v_lshlrev_b32_e32 v7, 3, v0
	v_and_b32_e32 v22, 7, v62
	ds_read_b64 v[5:6], v7
	v_cmp_eq_u32_e64 s2, 0, v22
	s_waitcnt lgkmcnt(0)
	v_mov_b32_dpp v8, v5 row_shr:1 row_mask:0xf bank_mask:0xf
	v_mov_b32_dpp v21, v6 row_shr:1 row_mask:0xf bank_mask:0xf
	v_add_nc_u32_e32 v8, v8, v5
	v_add_nc_u32_e32 v21, v21, v6
	v_cndmask_b32_e64 v5, v8, v5, s2
	v_cndmask_b32_e64 v6, v21, v6, s2
	v_cmp_lt_u32_e64 s2, 1, v22
	v_mov_b32_dpp v8, v5 row_shr:2 row_mask:0xf bank_mask:0xf
	v_mov_b32_dpp v21, v6 row_shr:2 row_mask:0xf bank_mask:0xf
	v_add_nc_u32_e32 v8, v5, v8
	v_add_nc_u32_e32 v21, v6, v21
	v_cndmask_b32_e64 v5, v5, v8, s2
	v_cndmask_b32_e64 v6, v6, v21, s2
	v_cmp_lt_u32_e64 s2, 3, v22
	v_mov_b32_dpp v8, v5 row_shr:4 row_mask:0xf bank_mask:0xf
	v_mov_b32_dpp v21, v6 row_shr:4 row_mask:0xf bank_mask:0xf
	v_cndmask_b32_e64 v8, 0, v8, s2
	v_cndmask_b32_e64 v21, 0, v21, s2
	v_add_nc_u32_e32 v5, v8, v5
	v_add_nc_u32_e32 v6, v21, v6
	ds_write_b64 v7, v[5:6]
.LBB231_115:
	s_or_b32 exec_lo, exec_lo, s3
	v_cndmask_b32_e32 v1, v3, v1, vcc_lo
	v_cndmask_b32_e32 v2, v4, v2, vcc_lo
	s_mov_b32 s3, exec_lo
	v_cmp_gt_u32_e32 vcc_lo, 32, v0
	s_waitcnt lgkmcnt(0)
	s_barrier
	buffer_gl0_inv
                                        ; implicit-def: $vgpr21
	v_cmpx_lt_u32_e32 31, v0
	s_cbranch_execz .LBB231_117
; %bb.116:
	v_lshl_add_u32 v3, v63, 3, -8
	ds_read_b64 v[21:22], v3
	s_waitcnt lgkmcnt(0)
	v_add_nc_u32_e32 v1, v22, v1
	v_add_nc_u32_e32 v2, v21, v2
.LBB231_117:
	s_or_b32 exec_lo, exec_lo, s3
	v_sub_co_u32 v3, s2, v62, 1
	v_cmp_gt_i32_e64 s3, 0, v3
	v_cndmask_b32_e64 v3, v3, v62, s3
	v_lshlrev_b32_e32 v3, 2, v3
	ds_bpermute_b32 v69, v3, v2
	ds_bpermute_b32 v70, v3, v1
	s_and_saveexec_b32 s3, vcc_lo
	s_cbranch_execz .LBB231_137
; %bb.118:
	v_mov_b32_e32 v4, 0
	ds_read_b64 v[1:2], v4 offset:56
	s_and_saveexec_b32 s8, s2
	s_cbranch_execz .LBB231_120
; %bb.119:
	s_add_i32 s10, s6, 32
	s_mov_b32 s11, 0
	v_mov_b32_e32 v3, 1
	s_lshl_b64 s[10:11], s[10:11], 4
	s_add_u32 s10, s4, s10
	s_addc_u32 s11, s5, s11
	v_mov_b32_e32 v5, s10
	v_mov_b32_e32 v6, s11
	s_waitcnt lgkmcnt(0)
	;;#ASMSTART
	global_store_dwordx4 v[5:6], v[1:4] off	
s_waitcnt vmcnt(0)
	;;#ASMEND
.LBB231_120:
	s_or_b32 exec_lo, exec_lo, s8
	v_xad_u32 v23, v62, -1, s6
	s_mov_b32 s9, 0
	v_add_nc_u32_e32 v3, 32, v23
	v_lshlrev_b64 v[5:6], 4, v[3:4]
	v_add_co_u32 v24, vcc_lo, s4, v5
	v_add_co_ci_u32_e64 v25, null, s5, v6, vcc_lo
	;;#ASMSTART
	global_load_dwordx4 v[5:8], v[24:25] off glc dlc	
s_waitcnt vmcnt(0)
	;;#ASMEND
	v_cmp_eq_u16_sdwa s10, v7, v4 src0_sel:BYTE_0 src1_sel:DWORD
	s_and_saveexec_b32 s8, s10
	s_cbranch_execz .LBB231_124
; %bb.121:
	v_mov_b32_e32 v3, 0
.LBB231_122:                            ; =>This Inner Loop Header: Depth=1
	;;#ASMSTART
	global_load_dwordx4 v[5:8], v[24:25] off glc dlc	
s_waitcnt vmcnt(0)
	;;#ASMEND
	v_cmp_ne_u16_sdwa s10, v7, v3 src0_sel:BYTE_0 src1_sel:DWORD
	s_or_b32 s9, s10, s9
	s_andn2_b32 exec_lo, exec_lo, s9
	s_cbranch_execnz .LBB231_122
; %bb.123:
	s_or_b32 exec_lo, exec_lo, s9
.LBB231_124:
	s_or_b32 exec_lo, exec_lo, s8
	v_cmp_ne_u32_e32 vcc_lo, 31, v62
	v_mov_b32_e32 v72, 2
	v_lshlrev_b32_e64 v73, v62, -1
	v_add_nc_u32_e32 v75, 2, v62
	v_add_nc_u32_e32 v77, 4, v62
	v_add_co_ci_u32_e64 v3, null, 0, v62, vcc_lo
	v_cmp_eq_u16_sdwa s8, v7, v72 src0_sel:BYTE_0 src1_sel:DWORD
	v_cmp_gt_u32_e32 vcc_lo, 30, v62
	v_add_nc_u32_e32 v79, 8, v62
	v_lshlrev_b32_e32 v71, 2, v3
	v_lshl_or_b32 v80, v62, 2, 64
	v_and_b32_e32 v8, s8, v73
	v_cndmask_b32_e64 v24, 0, 2, vcc_lo
	v_add_nc_u32_e32 v81, 16, v62
	ds_bpermute_b32 v3, v71, v6
	ds_bpermute_b32 v4, v71, v5
	v_or_b32_e32 v8, 0x80000000, v8
	v_add_lshl_u32 v74, v24, v62, 2
	v_ffbl_b32_e32 v8, v8
	v_cmp_lt_u32_e32 vcc_lo, v62, v8
	s_waitcnt lgkmcnt(1)
	v_add_nc_u32_e32 v3, v3, v6
	s_waitcnt lgkmcnt(0)
	v_add_nc_u32_e32 v4, v4, v5
	v_cndmask_b32_e32 v3, v6, v3, vcc_lo
	v_cndmask_b32_e32 v4, v5, v4, vcc_lo
	v_cmp_gt_u32_e32 vcc_lo, 28, v62
	ds_bpermute_b32 v5, v74, v3
	ds_bpermute_b32 v6, v74, v4
	v_cndmask_b32_e64 v24, 0, 4, vcc_lo
	v_cmp_gt_u32_e32 vcc_lo, v75, v8
	v_add_lshl_u32 v76, v24, v62, 2
	s_waitcnt lgkmcnt(1)
	v_add_nc_u32_e32 v5, v3, v5
	s_waitcnt lgkmcnt(0)
	v_add_nc_u32_e32 v6, v4, v6
	v_cndmask_b32_e32 v3, v5, v3, vcc_lo
	v_cndmask_b32_e32 v4, v6, v4, vcc_lo
	v_cmp_gt_u32_e32 vcc_lo, 24, v62
	ds_bpermute_b32 v5, v76, v3
	ds_bpermute_b32 v6, v76, v4
	v_cndmask_b32_e64 v24, 0, 8, vcc_lo
	v_cmp_gt_u32_e32 vcc_lo, v77, v8
	v_add_lshl_u32 v78, v24, v62, 2
	v_mov_b32_e32 v24, 0
	s_waitcnt lgkmcnt(1)
	v_add_nc_u32_e32 v5, v3, v5
	s_waitcnt lgkmcnt(0)
	v_add_nc_u32_e32 v6, v4, v6
	v_cndmask_b32_e32 v3, v5, v3, vcc_lo
	v_cndmask_b32_e32 v4, v6, v4, vcc_lo
	v_cmp_gt_u32_e32 vcc_lo, v79, v8
	ds_bpermute_b32 v5, v78, v3
	ds_bpermute_b32 v6, v78, v4
	s_waitcnt lgkmcnt(1)
	v_add_nc_u32_e32 v5, v3, v5
	s_waitcnt lgkmcnt(0)
	v_add_nc_u32_e32 v6, v4, v6
	v_cndmask_b32_e32 v3, v5, v3, vcc_lo
	v_cndmask_b32_e32 v4, v6, v4, vcc_lo
	v_cmp_le_u32_e32 vcc_lo, v81, v8
	ds_bpermute_b32 v6, v80, v3
	ds_bpermute_b32 v5, v80, v4
	s_waitcnt lgkmcnt(1)
	v_cndmask_b32_e32 v6, 0, v6, vcc_lo
	s_waitcnt lgkmcnt(0)
	v_cndmask_b32_e32 v5, 0, v5, vcc_lo
	v_add_nc_u32_e32 v6, v6, v3
	v_add_nc_u32_e32 v5, v5, v4
	s_branch .LBB231_128
.LBB231_125:                            ;   in Loop: Header=BB231_128 Depth=1
	s_or_b32 exec_lo, exec_lo, s9
.LBB231_126:                            ;   in Loop: Header=BB231_128 Depth=1
	s_or_b32 exec_lo, exec_lo, s8
	ds_bpermute_b32 v8, v71, v5
	ds_bpermute_b32 v25, v71, v6
	v_cmp_eq_u16_sdwa s8, v7, v72 src0_sel:BYTE_0 src1_sel:DWORD
	v_subrev_nc_u32_e32 v23, 32, v23
	v_and_or_b32 v26, s8, v73, 0x80000000
	s_mov_b32 s8, 0
	v_ffbl_b32_e32 v26, v26
	v_cmp_lt_u32_e32 vcc_lo, v62, v26
	s_waitcnt lgkmcnt(1)
	v_add_nc_u32_e32 v8, v8, v5
	s_waitcnt lgkmcnt(0)
	v_add_nc_u32_e32 v25, v25, v6
	v_cndmask_b32_e32 v5, v5, v8, vcc_lo
	v_cndmask_b32_e32 v6, v6, v25, vcc_lo
	v_cmp_gt_u32_e32 vcc_lo, v75, v26
	ds_bpermute_b32 v8, v74, v5
	ds_bpermute_b32 v25, v74, v6
	s_waitcnt lgkmcnt(1)
	v_add_nc_u32_e32 v8, v5, v8
	s_waitcnt lgkmcnt(0)
	v_add_nc_u32_e32 v25, v6, v25
	v_cndmask_b32_e32 v5, v8, v5, vcc_lo
	v_cndmask_b32_e32 v6, v25, v6, vcc_lo
	v_cmp_gt_u32_e32 vcc_lo, v77, v26
	ds_bpermute_b32 v8, v76, v5
	ds_bpermute_b32 v25, v76, v6
	s_waitcnt lgkmcnt(1)
	v_add_nc_u32_e32 v8, v5, v8
	s_waitcnt lgkmcnt(0)
	v_add_nc_u32_e32 v25, v6, v25
	v_cndmask_b32_e32 v5, v8, v5, vcc_lo
	v_cndmask_b32_e32 v6, v25, v6, vcc_lo
	v_cmp_gt_u32_e32 vcc_lo, v79, v26
	ds_bpermute_b32 v8, v78, v5
	ds_bpermute_b32 v25, v78, v6
	s_waitcnt lgkmcnt(1)
	v_add_nc_u32_e32 v8, v5, v8
	s_waitcnt lgkmcnt(0)
	v_add_nc_u32_e32 v25, v6, v25
	v_cndmask_b32_e32 v5, v8, v5, vcc_lo
	v_cndmask_b32_e32 v6, v25, v6, vcc_lo
	v_cmp_le_u32_e32 vcc_lo, v81, v26
	ds_bpermute_b32 v8, v80, v5
	ds_bpermute_b32 v25, v80, v6
	s_waitcnt lgkmcnt(1)
	v_cndmask_b32_e32 v8, 0, v8, vcc_lo
	s_waitcnt lgkmcnt(0)
	v_cndmask_b32_e32 v25, 0, v25, vcc_lo
	v_add3_u32 v5, v5, v3, v8
	v_add3_u32 v6, v6, v4, v25
.LBB231_127:                            ;   in Loop: Header=BB231_128 Depth=1
	s_and_b32 vcc_lo, exec_lo, s8
	s_cbranch_vccnz .LBB231_133
.LBB231_128:                            ; =>This Loop Header: Depth=1
                                        ;     Child Loop BB231_131 Depth 2
	v_cmp_ne_u16_sdwa s8, v7, v72 src0_sel:BYTE_0 src1_sel:DWORD
	v_mov_b32_e32 v3, v5
	v_mov_b32_e32 v4, v6
                                        ; implicit-def: $vgpr7
                                        ; implicit-def: $vgpr5_vgpr6
	s_cmp_lg_u32 s8, exec_lo
	s_mov_b32 s8, -1
	s_cbranch_scc1 .LBB231_127
; %bb.129:                              ;   in Loop: Header=BB231_128 Depth=1
	v_lshlrev_b64 v[5:6], 4, v[23:24]
	v_add_co_u32 v25, vcc_lo, s4, v5
	v_add_co_ci_u32_e64 v26, null, s5, v6, vcc_lo
	;;#ASMSTART
	global_load_dwordx4 v[5:8], v[25:26] off glc dlc	
s_waitcnt vmcnt(0)
	;;#ASMEND
	v_cmp_eq_u16_sdwa s9, v7, v24 src0_sel:BYTE_0 src1_sel:DWORD
	s_and_saveexec_b32 s8, s9
	s_cbranch_execz .LBB231_126
; %bb.130:                              ;   in Loop: Header=BB231_128 Depth=1
	s_mov_b32 s9, 0
.LBB231_131:                            ;   Parent Loop BB231_128 Depth=1
                                        ; =>  This Inner Loop Header: Depth=2
	;;#ASMSTART
	global_load_dwordx4 v[5:8], v[25:26] off glc dlc	
s_waitcnt vmcnt(0)
	;;#ASMEND
	v_cmp_ne_u16_sdwa s10, v7, v24 src0_sel:BYTE_0 src1_sel:DWORD
	s_or_b32 s9, s10, s9
	s_andn2_b32 exec_lo, exec_lo, s9
	s_cbranch_execnz .LBB231_131
	s_branch .LBB231_125
.LBB231_132:
                                        ; implicit-def: $vgpr23
                                        ; implicit-def: $vgpr3
                                        ; implicit-def: $vgpr24
	s_and_b32 vcc_lo, exec_lo, s3
	s_cbranch_vccnz .LBB231_138
	s_branch .LBB231_147
.LBB231_133:
	s_and_saveexec_b32 s8, s2
	s_cbranch_execnz .LBB231_375
; %bb.134:
	s_or_b32 exec_lo, exec_lo, s8
	s_and_saveexec_b32 s6, s2
	s_cbranch_execnz .LBB231_376
.LBB231_135:
	s_or_b32 exec_lo, exec_lo, s6
	v_cmp_eq_u32_e32 vcc_lo, 0, v0
	s_and_b32 exec_lo, exec_lo, vcc_lo
.LBB231_136:
	v_mov_b32_e32 v1, 0
	ds_write_b64 v1, v[3:4] offset:56
.LBB231_137:
	s_or_b32 exec_lo, exec_lo, s3
	v_mov_b32_e32 v1, 0
	s_waitcnt lgkmcnt(0)
	s_barrier
	buffer_gl0_inv
	v_cndmask_b32_e64 v7, v69, v21, s2
	ds_read_b64 v[5:6], v1 offset:56
	s_waitcnt lgkmcnt(0)
	s_barrier
	buffer_gl0_inv
	ds_read_b128 v[1:4], v1 offset:13312
	v_cndmask_b32_e64 v8, v70, v22, s2
	v_cmp_eq_u32_e32 vcc_lo, 0, v0
	v_add_nc_u32_e32 v7, v5, v7
	v_add_nc_u32_e32 v8, v6, v8
	v_cndmask_b32_e32 v24, v7, v5, vcc_lo
	v_cndmask_b32_e32 v23, v8, v6, vcc_lo
	s_branch .LBB231_147
.LBB231_138:
	s_waitcnt lgkmcnt(0)
	v_mov_b32_dpp v1, v67 row_shr:1 row_mask:0xf bank_mask:0xf
	v_mov_b32_dpp v2, v68 row_shr:1 row_mask:0xf bank_mask:0xf
	v_cmp_lt_u32_e32 vcc_lo, 3, v64
	v_add_nc_u32_e32 v1, v1, v67
	v_add_nc_u32_e32 v2, v2, v68
	v_cndmask_b32_e64 v1, v1, v67, s1
	v_cndmask_b32_e64 v2, v2, v68, s1
	s_mov_b32 s1, exec_lo
	v_mov_b32_dpp v3, v1 row_shr:2 row_mask:0xf bank_mask:0xf
	v_mov_b32_dpp v4, v2 row_shr:2 row_mask:0xf bank_mask:0xf
	v_add_nc_u32_e32 v3, v1, v3
	v_add_nc_u32_e32 v4, v2, v4
	v_cndmask_b32_e64 v1, v1, v3, s0
	v_cndmask_b32_e64 v2, v2, v4, s0
	v_mov_b32_dpp v3, v1 row_shr:4 row_mask:0xf bank_mask:0xf
	v_mov_b32_dpp v4, v2 row_shr:4 row_mask:0xf bank_mask:0xf
	v_add_nc_u32_e32 v3, v1, v3
	v_add_nc_u32_e32 v4, v2, v4
	v_cndmask_b32_e32 v3, v1, v3, vcc_lo
	v_cndmask_b32_e32 v2, v2, v4, vcc_lo
	v_cmp_lt_u32_e32 vcc_lo, 7, v64
	v_mov_b32_dpp v1, v3 row_shr:8 row_mask:0xf bank_mask:0xf
	v_mov_b32_dpp v4, v2 row_shr:8 row_mask:0xf bank_mask:0xf
	v_add_nc_u32_e32 v5, v3, v1
	v_add_nc_u32_e32 v1, v2, v4
	v_cndmask_b32_e32 v1, v2, v1, vcc_lo
	v_cndmask_b32_e32 v2, v3, v5, vcc_lo
	v_cmp_eq_u32_e32 vcc_lo, 0, v66
	ds_swizzle_b32 v3, v1 offset:swizzle(BROADCAST,32,15)
	ds_swizzle_b32 v4, v2 offset:swizzle(BROADCAST,32,15)
	s_waitcnt lgkmcnt(1)
	v_add_nc_u32_e32 v3, v1, v3
	s_waitcnt lgkmcnt(0)
	v_add_nc_u32_e32 v4, v2, v4
	v_cmpx_eq_u32_e64 v0, v65
	s_cbranch_execz .LBB231_140
; %bb.139:
	v_cndmask_b32_e32 v5, v4, v2, vcc_lo
	v_cndmask_b32_e32 v6, v3, v1, vcc_lo
	v_lshlrev_b32_e32 v7, 3, v63
	ds_write_b64 v7, v[5:6]
.LBB231_140:
	s_or_b32 exec_lo, exec_lo, s1
	s_mov_b32 s1, exec_lo
	s_waitcnt lgkmcnt(0)
	s_barrier
	buffer_gl0_inv
	v_cmpx_gt_u32_e32 8, v0
	s_cbranch_execz .LBB231_142
; %bb.141:
	v_lshlrev_b32_e32 v7, 3, v0
	v_and_b32_e32 v22, 7, v62
	ds_read_b64 v[5:6], v7
	v_cmp_eq_u32_e64 s0, 0, v22
	s_waitcnt lgkmcnt(0)
	v_mov_b32_dpp v8, v5 row_shr:1 row_mask:0xf bank_mask:0xf
	v_mov_b32_dpp v21, v6 row_shr:1 row_mask:0xf bank_mask:0xf
	v_add_nc_u32_e32 v8, v8, v5
	v_add_nc_u32_e32 v21, v21, v6
	v_cndmask_b32_e64 v5, v8, v5, s0
	v_cndmask_b32_e64 v6, v21, v6, s0
	v_cmp_lt_u32_e64 s0, 1, v22
	v_mov_b32_dpp v8, v5 row_shr:2 row_mask:0xf bank_mask:0xf
	v_mov_b32_dpp v21, v6 row_shr:2 row_mask:0xf bank_mask:0xf
	v_add_nc_u32_e32 v8, v5, v8
	v_add_nc_u32_e32 v21, v6, v21
	v_cndmask_b32_e64 v5, v5, v8, s0
	v_cndmask_b32_e64 v6, v6, v21, s0
	v_cmp_lt_u32_e64 s0, 3, v22
	v_mov_b32_dpp v8, v5 row_shr:4 row_mask:0xf bank_mask:0xf
	v_mov_b32_dpp v21, v6 row_shr:4 row_mask:0xf bank_mask:0xf
	v_cndmask_b32_e64 v8, 0, v8, s0
	v_cndmask_b32_e64 v21, 0, v21, s0
	v_add_nc_u32_e32 v5, v8, v5
	v_add_nc_u32_e32 v6, v21, v6
	ds_write_b64 v7, v[5:6]
.LBB231_142:
	s_or_b32 exec_lo, exec_lo, s1
	v_mov_b32_e32 v7, 0
	v_mov_b32_e32 v5, 0
	;; [unrolled: 1-line block ×3, first 2 shown]
	s_mov_b32 s1, exec_lo
	s_waitcnt lgkmcnt(0)
	s_barrier
	buffer_gl0_inv
	v_cmpx_lt_u32_e32 31, v0
; %bb.143:
	v_lshl_add_u32 v5, v63, 3, -8
	ds_read_b64 v[5:6], v5
; %bb.144:
	s_or_b32 exec_lo, exec_lo, s1
	v_sub_co_u32 v8, s0, v62, 1
	v_cndmask_b32_e32 v2, v4, v2, vcc_lo
	v_cndmask_b32_e32 v1, v3, v1, vcc_lo
	v_cmp_eq_u32_e32 vcc_lo, 0, v0
	v_cmp_gt_i32_e64 s1, 0, v8
	s_waitcnt lgkmcnt(0)
	v_add_nc_u32_e32 v2, v5, v2
	v_add_nc_u32_e32 v1, v6, v1
	v_cndmask_b32_e64 v4, v8, v62, s1
	v_lshlrev_b32_e32 v3, 2, v4
	ds_bpermute_b32 v8, v3, v2
	ds_bpermute_b32 v21, v3, v1
	ds_read_b64 v[1:2], v7 offset:56
	s_and_saveexec_b32 s1, vcc_lo
	s_cbranch_execz .LBB231_146
; %bb.145:
	s_add_u32 s2, s4, 0x200
	s_addc_u32 s3, s5, 0
	v_mov_b32_e32 v3, 2
	v_mov_b32_e32 v23, s3
	;; [unrolled: 1-line block ×4, first 2 shown]
	s_waitcnt lgkmcnt(0)
	;;#ASMSTART
	global_store_dwordx4 v[22:23], v[1:4] off	
s_waitcnt vmcnt(0)
	;;#ASMEND
.LBB231_146:
	s_or_b32 exec_lo, exec_lo, s1
	s_waitcnt lgkmcnt(1)
	v_cndmask_b32_e64 v3, v21, v6, s0
	v_cndmask_b32_e64 v5, v8, v5, s0
	v_mov_b32_e32 v4, 0
	s_waitcnt lgkmcnt(0)
	s_barrier
	v_cndmask_b32_e64 v23, v3, 0, vcc_lo
	v_cndmask_b32_e64 v24, v5, 0, vcc_lo
	v_mov_b32_e32 v3, 0
	buffer_gl0_inv
.LBB231_147:
	v_add_nc_u32_e32 v61, v23, v61
	v_add_nc_u32_e32 v60, v24, v60
	s_waitcnt lgkmcnt(0)
	v_sub_nc_u32_e32 v23, v23, v4
	v_lshrrev_b32_e32 v26, 8, v36
	v_lshlrev_b32_e32 v66, 1, v1
	v_add_nc_u32_e32 v58, v61, v58
	v_sub_nc_u32_e32 v61, v61, v4
	v_add_nc_u32_e32 v57, v60, v57
	v_sub_nc_u32_e32 v24, v24, v3
	v_sub_nc_u32_e32 v60, v60, v3
	v_add_nc_u32_e32 v23, v23, v1
	v_add_nc_u32_e32 v61, v61, v1
	v_and_b32_e32 v26, 1, v26
	v_mov_b32_e32 v68, 1
	v_add3_u32 v29, v66, v2, v29
	v_add_nc_u32_e32 v73, v24, v23
	v_add_nc_u32_e32 v72, v61, v60
	v_cmp_eq_u32_e32 vcc_lo, 1, v26
	v_and_b32_sdwa v71, v68, v36 dst_sel:DWORD dst_unused:UNUSED_PAD src0_sel:DWORD src1_sel:WORD_1
	v_lshrrev_b32_e32 v25, 8, v30
	v_sub_nc_u32_e32 v73, v29, v73
	v_sub_nc_u32_e32 v72, v29, v72
	v_and_b32_e32 v67, 1, v30
	v_add_nc_u32_e32 v62, v58, v43
	v_and_b32_e32 v25, 1, v25
	v_cndmask_b32_e32 v23, v73, v23, vcc_lo
	v_add_nc_u32_e32 v72, 1, v72
	v_cmp_eq_u32_e32 vcc_lo, 1, v71
	v_sub_nc_u32_e32 v58, v58, v4
	v_add_nc_u32_e32 v59, v57, v59
	v_sub_nc_u32_e32 v57, v57, v3
	v_add_co_u32 v5, s0, s28, v3
	v_cndmask_b32_e32 v26, v72, v61, vcc_lo
	v_cmp_eq_u32_e32 vcc_lo, 1, v67
	v_add_nc_u32_e32 v58, v58, v1
	v_add_co_ci_u32_e64 v6, null, s29, 0, s0
	v_sub_co_u32 v64, s0, s30, v1
	v_cndmask_b32_e32 v67, v23, v24, vcc_lo
	v_cmp_eq_u32_e32 vcc_lo, 1, v25
	v_sub_co_ci_u32_e64 v65, null, s31, 0, s0
	v_and_b32_e32 v43, 1, v43
	v_add_nc_u32_e32 v56, v62, v56
	v_cndmask_b32_e32 v25, v26, v60, vcc_lo
	v_add_nc_u32_e32 v26, v58, v57
	v_add_co_u32 v23, vcc_lo, v64, v4
	v_add_co_ci_u32_e64 v24, null, 0, v65, vcc_lo
	v_sub_nc_u32_e32 v26, v29, v26
	v_sub_nc_u32_e32 v62, v62, v4
	v_and_b32_sdwa v30, v68, v30 dst_sel:DWORD dst_unused:UNUSED_PAD src0_sel:DWORD src1_sel:WORD_1
	v_cmp_eq_u32_e32 vcc_lo, 1, v43
	v_add_nc_u32_e32 v63, v59, v42
	v_add_nc_u32_e32 v26, 2, v26
	v_sub_nc_u32_e32 v59, v59, v3
	v_add_nc_u32_e32 v62, v62, v1
	v_add_nc_u32_e32 v55, v56, v55
	v_lshlrev_b32_e32 v60, 2, v67
	v_cndmask_b32_e32 v26, v26, v58, vcc_lo
	v_cmp_eq_u32_e32 vcc_lo, 1, v30
	v_lshlrev_b32_e32 v25, 2, v25
	v_sub_nc_u32_e32 v56, v56, v4
	v_add_nc_u32_e32 v43, v59, v62
	v_sub_nc_u32_e32 v58, v63, v3
	v_cndmask_b32_e32 v26, v26, v57, vcc_lo
	ds_write_b32 v60, v19
	v_add_nc_u32_e32 v56, v56, v1
	v_sub_nc_u32_e32 v19, v29, v43
	ds_write_b32 v25, v20
	v_lshlrev_b32_e32 v25, 2, v26
	v_and_b32_e32 v26, 1, v31
	v_lshrrev_b32_e32 v22, 8, v31
	v_add_nc_u32_e32 v54, v63, v54
	v_add_nc_u32_e32 v20, v58, v56
	;; [unrolled: 1-line block ×3, first 2 shown]
	v_and_b32_e32 v30, 1, v42
	v_sub_nc_u32_e32 v42, v55, v4
	v_cmp_eq_u32_e32 vcc_lo, 1, v26
	v_sub_nc_u32_e32 v20, v29, v20
	v_and_b32_e32 v22, 1, v22
	v_sub_nc_u32_e32 v26, v54, v3
	v_add_nc_u32_e32 v42, v42, v1
	v_cndmask_b32_e32 v19, v19, v62, vcc_lo
	v_cmp_eq_u32_e32 vcc_lo, 1, v30
	v_add_nc_u32_e32 v20, 4, v20
	v_and_b32_e32 v30, 1, v32
	v_add_nc_u32_e32 v43, v26, v42
	v_lshrrev_b32_e32 v21, 8, v32
	v_cndmask_b32_e32 v19, v19, v59, vcc_lo
	v_cmp_eq_u32_e32 vcc_lo, 1, v22
	v_add_nc_u32_e32 v53, v55, v53
	ds_write_b32 v25, v17
	v_and_b32_sdwa v25, v68, v31 dst_sel:DWORD dst_unused:UNUSED_PAD src0_sel:DWORD src1_sel:WORD_1
	v_lshlrev_b32_e32 v17, 2, v19
	v_cndmask_b32_e32 v20, v20, v56, vcc_lo
	v_sub_nc_u32_e32 v19, v29, v43
	v_cmp_eq_u32_e32 vcc_lo, 1, v30
	v_add_nc_u32_e32 v52, v54, v52
	v_add_nc_u32_e32 v69, v53, v41
	v_and_b32_e32 v21, 1, v21
	v_sub_nc_u32_e32 v22, v53, v4
	v_cndmask_b32_e32 v20, v20, v58, vcc_lo
	v_add_nc_u32_e32 v19, 5, v19
	v_cmp_eq_u32_e32 vcc_lo, 1, v25
	v_add_nc_u32_e32 v46, v52, v46
	v_sub_nc_u32_e32 v30, v52, v3
	v_sub_nc_u32_e32 v31, v69, v4
	v_add_nc_u32_e32 v22, v22, v1
	v_cndmask_b32_e32 v19, v19, v42, vcc_lo
	v_cmp_eq_u32_e32 vcc_lo, 1, v21
	v_sub_nc_u32_e32 v25, v46, v3
	v_add_nc_u32_e32 v31, v31, v1
	v_lshlrev_b32_e32 v20, 2, v20
	v_add_nc_u32_e32 v42, v30, v22
	v_cndmask_b32_e32 v19, v19, v26, vcc_lo
	ds_write_b32 v17, v18
	v_add_nc_u32_e32 v21, v25, v31
	ds_write_b32 v20, v15
	v_sub_nc_u32_e32 v17, v29, v42
	v_lshlrev_b32_e32 v15, 2, v19
	v_and_b32_e32 v19, 1, v41
	v_sub_nc_u32_e32 v18, v29, v21
	v_and_b32_e32 v21, 1, v33
	v_add_nc_u32_e32 v17, 6, v17
	v_add_nc_u32_e32 v51, v69, v51
	v_cmp_eq_u32_e32 vcc_lo, 1, v19
	v_and_b32_sdwa v20, v68, v32 dst_sel:DWORD dst_unused:UNUSED_PAD src0_sel:DWORD src1_sel:WORD_1
	v_add_nc_u32_e32 v18, 7, v18
	v_add_nc_u32_e32 v70, v46, v40
	v_sub_nc_u32_e32 v19, v51, v4
	v_cndmask_b32_e32 v17, v17, v22, vcc_lo
	v_cmp_eq_u32_e32 vcc_lo, 1, v21
	v_and_b32_e32 v22, 1, v40
	v_add_nc_u32_e32 v50, v51, v50
	v_sub_nc_u32_e32 v21, v70, v3
	v_add_nc_u32_e32 v19, v19, v1
	v_cndmask_b32_e32 v18, v18, v31, vcc_lo
	v_cmp_eq_u32_e32 vcc_lo, 1, v20
	v_lshrrev_b32_e32 v8, 8, v33
	v_add_nc_u32_e32 v49, v70, v49
	v_add_nc_u32_e32 v20, v21, v19
	ds_write_b32 v15, v16
	v_cndmask_b32_e32 v17, v17, v30, vcc_lo
	v_cmp_eq_u32_e32 vcc_lo, 1, v22
	v_sub_nc_u32_e32 v15, v50, v4
	v_add_nc_u32_e32 v48, v50, v48
	v_and_b32_e32 v8, 1, v8
	v_lshlrev_b32_e32 v16, 2, v17
	v_cndmask_b32_e32 v18, v18, v25, vcc_lo
	v_add_nc_u32_e32 v15, v15, v1
	v_add_nc_u32_e32 v47, v49, v47
	v_cmp_eq_u32_e32 vcc_lo, 1, v8
	v_lshrrev_b32_e32 v7, 8, v35
	v_lshlrev_b32_e32 v17, 2, v18
	v_sub_nc_u32_e32 v18, v29, v20
	v_sub_nc_u32_e32 v20, v49, v3
	ds_write_b32 v16, v13
	ds_write_b32 v17, v14
	v_and_b32_e32 v16, 1, v35
	v_add_nc_u32_e32 v13, 8, v18
	v_add_nc_u32_e32 v14, v20, v15
	v_sub_nc_u32_e32 v17, v48, v4
	v_add_nc_u32_e32 v74, v48, v39
	v_add_nc_u32_e32 v45, v47, v45
	v_cndmask_b32_e32 v8, v13, v19, vcc_lo
	v_sub_nc_u32_e32 v13, v29, v14
	v_sub_nc_u32_e32 v14, v47, v3
	v_add_nc_u32_e32 v17, v17, v1
	v_cmp_eq_u32_e32 vcc_lo, 1, v16
	v_and_b32_sdwa v16, v68, v33 dst_sel:DWORD dst_unused:UNUSED_PAD src0_sel:DWORD src1_sel:WORD_1
	v_add_nc_u32_e32 v44, v74, v44
	v_add_nc_u32_e32 v13, 9, v13
	v_and_b32_e32 v7, 1, v7
	v_cndmask_b32_e32 v8, v8, v21, vcc_lo
	v_add_nc_u32_e32 v18, v14, v17
	v_sub_nc_u32_e32 v19, v74, v4
	v_cmp_eq_u32_e32 vcc_lo, 1, v16
	v_add_nc_u32_e32 v61, v45, v38
	v_and_b32_e32 v25, 1, v37
	v_sub_nc_u32_e32 v16, v29, v18
	v_sub_nc_u32_e32 v18, v45, v3
	v_cndmask_b32_e32 v13, v13, v15, vcc_lo
	v_sub_nc_u32_e32 v15, v44, v4
	v_add_nc_u32_e32 v19, v19, v1
	v_cmp_eq_u32_e32 vcc_lo, 1, v7
	v_sub_nc_u32_e32 v3, v61, v3
	v_add_nc_u32_e32 v16, 10, v16
	v_add_nc_u32_e32 v15, v15, v1
	v_and_b32_sdwa v22, v68, v35 dst_sel:DWORD dst_unused:UNUSED_PAD src0_sel:DWORD src1_sel:WORD_1
	v_cndmask_b32_e32 v7, v13, v20, vcc_lo
	v_add_nc_u32_e32 v13, v18, v19
	v_and_b32_e32 v20, 1, v39
	v_add_nc_u32_e32 v21, v3, v15
	v_lshlrev_b32_e32 v8, 2, v8
	v_lshlrev_b32_e32 v7, 2, v7
	v_sub_nc_u32_e32 v13, v29, v13
	v_cmp_eq_u32_e32 vcc_lo, 1, v20
	v_and_b32_e32 v20, 1, v34
	v_add_nc_u32_e32 v13, 11, v13
	v_cndmask_b32_e32 v16, v16, v17, vcc_lo
	v_sub_nc_u32_e32 v17, v29, v21
	v_cmp_eq_u32_e32 vcc_lo, 1, v20
	v_and_b32_e32 v21, 1, v38
	v_add_nc_u32_e32 v17, 12, v17
	v_cndmask_b32_e32 v13, v13, v19, vcc_lo
	v_cmp_eq_u32_e32 vcc_lo, 1, v25
	v_and_b32_e32 v19, 1, v36
	v_cndmask_b32_e32 v15, v17, v15, vcc_lo
	v_cmp_eq_u32_e32 vcc_lo, 1, v22
	v_cndmask_b32_e32 v14, v16, v14, vcc_lo
	v_cmp_eq_u32_e32 vcc_lo, 1, v21
	v_lshlrev_b32_e32 v14, 2, v14
	v_cndmask_b32_e32 v13, v13, v18, vcc_lo
	v_cmp_eq_u32_e32 vcc_lo, 1, v19
	v_lshlrev_b32_e32 v13, 2, v13
	v_cndmask_b32_e32 v3, v15, v3, vcc_lo
	v_lshlrev_b32_e32 v3, 2, v3
	ds_write_b32 v8, v11
	ds_write_b32 v7, v12
	;; [unrolled: 1-line block ×5, first 2 shown]
	v_add_co_u32 v3, s0, v2, v66
	v_add_co_ci_u32_e64 v7, null, 0, 0, s0
	s_add_u32 s0, s34, s42
	v_add_co_u32 v3, vcc_lo, v3, v23
	v_add_co_ci_u32_e64 v7, null, v7, v24, vcc_lo
	s_addc_u32 s1, s35, 0
	v_add_co_u32 v3, vcc_lo, v3, v5
	v_add_co_ci_u32_e64 v9, null, v7, v6, vcc_lo
	v_lshlrev_b64 v[7:8], 2, v[23:24]
	v_sub_co_u32 v3, vcc_lo, s0, v3
	v_sub_co_ci_u32_e64 v11, null, s1, v9, vcc_lo
	v_lshlrev_b64 v[9:10], 2, v[5:6]
	v_add_co_u32 v7, vcc_lo, s38, v7
	v_add_co_ci_u32_e64 v8, null, s39, v8, vcc_lo
	v_cmp_ne_u32_e32 vcc_lo, 1, v27
	v_add_co_u32 v9, s0, s36, v9
	v_add_nc_u32_e32 v12, v1, v2
	v_add_co_ci_u32_e64 v10, null, s37, v10, s0
	s_and_b32 vcc_lo, exec_lo, vcc_lo
	s_mov_b32 s0, -1
	s_waitcnt lgkmcnt(0)
	s_barrier
	buffer_gl0_inv
	s_cbranch_vccz .LBB231_151
; %bb.148:
	s_and_b32 vcc_lo, exec_lo, s0
	s_cbranch_vccnz .LBB231_256
.LBB231_149:
	v_cmp_eq_u32_e32 vcc_lo, 0, v0
	s_and_b32 s0, vcc_lo, s33
	s_and_saveexec_b32 s1, s0
	s_cbranch_execnz .LBB231_374
.LBB231_150:
	s_endpgm
.LBB231_151:
	s_mov_b32 s0, exec_lo
	v_cmpx_ge_u32_e64 v0, v1
	s_xor_b32 s0, exec_lo, s0
	s_cbranch_execz .LBB231_157
; %bb.152:
	s_mov_b32 s1, exec_lo
	v_cmpx_ge_u32_e64 v0, v12
	s_xor_b32 s1, exec_lo, s1
	s_cbranch_execz .LBB231_154
; %bb.153:
	v_lshlrev_b32_e32 v13, 2, v0
	ds_read_b32 v15, v13
	v_add_co_u32 v13, vcc_lo, v3, v0
	v_add_co_ci_u32_e64 v14, null, 0, v11, vcc_lo
	v_lshlrev_b64 v[13:14], 2, v[13:14]
	v_sub_co_u32 v13, vcc_lo, s26, v13
	v_sub_co_ci_u32_e64 v14, null, s27, v14, vcc_lo
	s_waitcnt lgkmcnt(0)
	global_store_dword v[13:14], v15, off offset:-4
.LBB231_154:
	s_andn2_saveexec_b32 s1, s1
	s_cbranch_execz .LBB231_156
; %bb.155:
	v_lshlrev_b32_e32 v13, 2, v0
	v_readfirstlane_b32 s2, v7
	v_readfirstlane_b32 s3, v8
	ds_read_b32 v14, v13
	s_waitcnt lgkmcnt(0)
	global_store_dword v13, v14, s[2:3]
.LBB231_156:
	s_or_b32 exec_lo, exec_lo, s1
.LBB231_157:
	s_andn2_saveexec_b32 s0, s0
	s_cbranch_execz .LBB231_159
; %bb.158:
	v_lshlrev_b32_e32 v13, 2, v0
	v_readfirstlane_b32 s2, v9
	v_readfirstlane_b32 s3, v10
	ds_read_b32 v14, v13
	s_waitcnt lgkmcnt(0)
	global_store_dword v13, v14, s[2:3]
.LBB231_159:
	s_or_b32 exec_lo, exec_lo, s0
	v_or_b32_e32 v13, 0x100, v0
	s_mov_b32 s0, exec_lo
	v_cmpx_ge_u32_e64 v13, v1
	s_xor_b32 s0, exec_lo, s0
	s_cbranch_execz .LBB231_165
; %bb.160:
	s_mov_b32 s1, exec_lo
	v_cmpx_ge_u32_e64 v13, v12
	s_xor_b32 s1, exec_lo, s1
	s_cbranch_execz .LBB231_162
; %bb.161:
	v_lshlrev_b32_e32 v13, 2, v0
	ds_read_b32 v15, v13 offset:1024
	v_add_co_u32 v13, vcc_lo, v3, v0
	v_add_co_ci_u32_e64 v14, null, 0, v11, vcc_lo
	v_lshlrev_b64 v[13:14], 2, v[13:14]
	v_sub_co_u32 v13, vcc_lo, s26, v13
	v_sub_co_ci_u32_e64 v14, null, s27, v14, vcc_lo
	s_waitcnt lgkmcnt(0)
	global_store_dword v[13:14], v15, off offset:-1028
.LBB231_162:
	s_andn2_saveexec_b32 s1, s1
	s_cbranch_execz .LBB231_164
; %bb.163:
	v_lshlrev_b32_e32 v13, 2, v0
	v_readfirstlane_b32 s2, v7
	v_readfirstlane_b32 s3, v8
	ds_read_b32 v14, v13 offset:1024
	s_waitcnt lgkmcnt(0)
	global_store_dword v13, v14, s[2:3] offset:1024
.LBB231_164:
	s_or_b32 exec_lo, exec_lo, s1
.LBB231_165:
	s_andn2_saveexec_b32 s0, s0
	s_cbranch_execz .LBB231_167
; %bb.166:
	v_lshlrev_b32_e32 v13, 2, v0
	v_readfirstlane_b32 s2, v9
	v_readfirstlane_b32 s3, v10
	ds_read_b32 v14, v13 offset:1024
	s_waitcnt lgkmcnt(0)
	global_store_dword v13, v14, s[2:3] offset:1024
.LBB231_167:
	s_or_b32 exec_lo, exec_lo, s0
	v_or_b32_e32 v13, 0x200, v0
	s_mov_b32 s0, exec_lo
	v_cmpx_ge_u32_e64 v13, v1
	s_xor_b32 s0, exec_lo, s0
	s_cbranch_execz .LBB231_173
; %bb.168:
	s_mov_b32 s1, exec_lo
	v_cmpx_ge_u32_e64 v13, v12
	s_xor_b32 s1, exec_lo, s1
	s_cbranch_execz .LBB231_170
; %bb.169:
	v_lshlrev_b32_e32 v15, 2, v0
	v_add_co_u32 v13, vcc_lo, v3, v0
	v_add_co_ci_u32_e64 v14, null, 0, v11, vcc_lo
	ds_read_b32 v15, v15 offset:2048
	v_lshlrev_b64 v[13:14], 2, v[13:14]
	v_sub_co_u32 v13, vcc_lo, s26, v13
	v_sub_co_ci_u32_e64 v14, null, s27, v14, vcc_lo
	v_add_co_u32 v13, vcc_lo, 0xfffff800, v13
	v_add_co_ci_u32_e64 v14, null, -1, v14, vcc_lo
	s_waitcnt lgkmcnt(0)
	global_store_dword v[13:14], v15, off offset:-4
                                        ; implicit-def: $vgpr13
.LBB231_170:
	s_andn2_saveexec_b32 s1, s1
	s_cbranch_execz .LBB231_172
; %bb.171:
	v_lshlrev_b32_e32 v14, 2, v0
	v_lshlrev_b32_e32 v13, 2, v13
	v_readfirstlane_b32 s2, v7
	v_readfirstlane_b32 s3, v8
	ds_read_b32 v14, v14 offset:2048
	s_waitcnt lgkmcnt(0)
	global_store_dword v13, v14, s[2:3]
.LBB231_172:
	s_or_b32 exec_lo, exec_lo, s1
                                        ; implicit-def: $vgpr13
.LBB231_173:
	s_andn2_saveexec_b32 s0, s0
	s_cbranch_execz .LBB231_175
; %bb.174:
	v_lshlrev_b32_e32 v14, 2, v0
	v_lshlrev_b32_e32 v13, 2, v13
	v_readfirstlane_b32 s2, v9
	v_readfirstlane_b32 s3, v10
	ds_read_b32 v14, v14 offset:2048
	s_waitcnt lgkmcnt(0)
	global_store_dword v13, v14, s[2:3]
.LBB231_175:
	s_or_b32 exec_lo, exec_lo, s0
	v_or_b32_e32 v13, 0x300, v0
	s_mov_b32 s0, exec_lo
	v_cmpx_ge_u32_e64 v13, v1
	s_xor_b32 s0, exec_lo, s0
	s_cbranch_execz .LBB231_181
; %bb.176:
	s_mov_b32 s1, exec_lo
	v_cmpx_ge_u32_e64 v13, v12
	s_xor_b32 s1, exec_lo, s1
	s_cbranch_execz .LBB231_178
; %bb.177:
	v_lshlrev_b32_e32 v14, 2, v0
	v_add_co_u32 v13, vcc_lo, v3, v13
	ds_read_b32 v15, v14 offset:3072
	v_add_co_ci_u32_e64 v14, null, 0, v11, vcc_lo
	v_lshlrev_b64 v[13:14], 2, v[13:14]
	v_sub_co_u32 v13, vcc_lo, s26, v13
	v_sub_co_ci_u32_e64 v14, null, s27, v14, vcc_lo
	s_waitcnt lgkmcnt(0)
	global_store_dword v[13:14], v15, off offset:-4
                                        ; implicit-def: $vgpr13
.LBB231_178:
	s_andn2_saveexec_b32 s1, s1
	s_cbranch_execz .LBB231_180
; %bb.179:
	v_lshlrev_b32_e32 v14, 2, v0
	v_lshlrev_b32_e32 v13, 2, v13
	v_readfirstlane_b32 s2, v7
	v_readfirstlane_b32 s3, v8
	ds_read_b32 v14, v14 offset:3072
	s_waitcnt lgkmcnt(0)
	global_store_dword v13, v14, s[2:3]
.LBB231_180:
	s_or_b32 exec_lo, exec_lo, s1
                                        ; implicit-def: $vgpr13
.LBB231_181:
	s_andn2_saveexec_b32 s0, s0
	s_cbranch_execz .LBB231_183
; %bb.182:
	v_lshlrev_b32_e32 v14, 2, v0
	v_lshlrev_b32_e32 v13, 2, v13
	v_readfirstlane_b32 s2, v9
	v_readfirstlane_b32 s3, v10
	ds_read_b32 v14, v14 offset:3072
	s_waitcnt lgkmcnt(0)
	global_store_dword v13, v14, s[2:3]
.LBB231_183:
	s_or_b32 exec_lo, exec_lo, s0
	v_or_b32_e32 v13, 0x400, v0
	s_mov_b32 s0, exec_lo
	v_cmpx_ge_u32_e64 v13, v1
	s_xor_b32 s0, exec_lo, s0
	s_cbranch_execz .LBB231_189
; %bb.184:
	s_mov_b32 s1, exec_lo
	v_cmpx_ge_u32_e64 v13, v12
	s_xor_b32 s1, exec_lo, s1
	s_cbranch_execz .LBB231_186
; %bb.185:
	v_lshlrev_b32_e32 v14, 2, v0
	v_add_co_u32 v13, vcc_lo, v3, v13
	ds_read_b32 v15, v14 offset:4096
	v_add_co_ci_u32_e64 v14, null, 0, v11, vcc_lo
	v_lshlrev_b64 v[13:14], 2, v[13:14]
	v_sub_co_u32 v13, vcc_lo, s26, v13
	v_sub_co_ci_u32_e64 v14, null, s27, v14, vcc_lo
	s_waitcnt lgkmcnt(0)
	global_store_dword v[13:14], v15, off offset:-4
                                        ; implicit-def: $vgpr13
.LBB231_186:
	s_andn2_saveexec_b32 s1, s1
	s_cbranch_execz .LBB231_188
; %bb.187:
	v_lshlrev_b32_e32 v14, 2, v0
	v_lshlrev_b32_e32 v13, 2, v13
	v_readfirstlane_b32 s2, v7
	v_readfirstlane_b32 s3, v8
	ds_read_b32 v14, v14 offset:4096
	s_waitcnt lgkmcnt(0)
	global_store_dword v13, v14, s[2:3]
.LBB231_188:
	s_or_b32 exec_lo, exec_lo, s1
                                        ; implicit-def: $vgpr13
.LBB231_189:
	s_andn2_saveexec_b32 s0, s0
	s_cbranch_execz .LBB231_191
; %bb.190:
	v_lshlrev_b32_e32 v14, 2, v0
	v_lshlrev_b32_e32 v13, 2, v13
	v_readfirstlane_b32 s2, v9
	v_readfirstlane_b32 s3, v10
	ds_read_b32 v14, v14 offset:4096
	s_waitcnt lgkmcnt(0)
	global_store_dword v13, v14, s[2:3]
.LBB231_191:
	s_or_b32 exec_lo, exec_lo, s0
	v_or_b32_e32 v13, 0x500, v0
	s_mov_b32 s0, exec_lo
	v_cmpx_ge_u32_e64 v13, v1
	s_xor_b32 s0, exec_lo, s0
	s_cbranch_execz .LBB231_197
; %bb.192:
	s_mov_b32 s1, exec_lo
	v_cmpx_ge_u32_e64 v13, v12
	s_xor_b32 s1, exec_lo, s1
	s_cbranch_execz .LBB231_194
; %bb.193:
	v_lshlrev_b32_e32 v14, 2, v0
	v_add_co_u32 v13, vcc_lo, v3, v13
	ds_read_b32 v15, v14 offset:5120
	v_add_co_ci_u32_e64 v14, null, 0, v11, vcc_lo
	v_lshlrev_b64 v[13:14], 2, v[13:14]
	v_sub_co_u32 v13, vcc_lo, s26, v13
	v_sub_co_ci_u32_e64 v14, null, s27, v14, vcc_lo
	s_waitcnt lgkmcnt(0)
	global_store_dword v[13:14], v15, off offset:-4
                                        ; implicit-def: $vgpr13
.LBB231_194:
	s_andn2_saveexec_b32 s1, s1
	s_cbranch_execz .LBB231_196
; %bb.195:
	v_lshlrev_b32_e32 v14, 2, v0
	v_lshlrev_b32_e32 v13, 2, v13
	v_readfirstlane_b32 s2, v7
	v_readfirstlane_b32 s3, v8
	ds_read_b32 v14, v14 offset:5120
	s_waitcnt lgkmcnt(0)
	global_store_dword v13, v14, s[2:3]
.LBB231_196:
	s_or_b32 exec_lo, exec_lo, s1
                                        ; implicit-def: $vgpr13
.LBB231_197:
	s_andn2_saveexec_b32 s0, s0
	s_cbranch_execz .LBB231_199
; %bb.198:
	v_lshlrev_b32_e32 v14, 2, v0
	v_lshlrev_b32_e32 v13, 2, v13
	v_readfirstlane_b32 s2, v9
	v_readfirstlane_b32 s3, v10
	ds_read_b32 v14, v14 offset:5120
	s_waitcnt lgkmcnt(0)
	global_store_dword v13, v14, s[2:3]
.LBB231_199:
	s_or_b32 exec_lo, exec_lo, s0
	v_or_b32_e32 v13, 0x600, v0
	s_mov_b32 s0, exec_lo
	v_cmpx_ge_u32_e64 v13, v1
	s_xor_b32 s0, exec_lo, s0
	s_cbranch_execz .LBB231_205
; %bb.200:
	s_mov_b32 s1, exec_lo
	v_cmpx_ge_u32_e64 v13, v12
	s_xor_b32 s1, exec_lo, s1
	s_cbranch_execz .LBB231_202
; %bb.201:
	v_lshlrev_b32_e32 v14, 2, v0
	v_add_co_u32 v13, vcc_lo, v3, v13
	ds_read_b32 v15, v14 offset:6144
	v_add_co_ci_u32_e64 v14, null, 0, v11, vcc_lo
	v_lshlrev_b64 v[13:14], 2, v[13:14]
	v_sub_co_u32 v13, vcc_lo, s26, v13
	v_sub_co_ci_u32_e64 v14, null, s27, v14, vcc_lo
	s_waitcnt lgkmcnt(0)
	global_store_dword v[13:14], v15, off offset:-4
                                        ; implicit-def: $vgpr13
.LBB231_202:
	s_andn2_saveexec_b32 s1, s1
	s_cbranch_execz .LBB231_204
; %bb.203:
	v_lshlrev_b32_e32 v14, 2, v0
	v_lshlrev_b32_e32 v13, 2, v13
	v_readfirstlane_b32 s2, v7
	v_readfirstlane_b32 s3, v8
	ds_read_b32 v14, v14 offset:6144
	s_waitcnt lgkmcnt(0)
	global_store_dword v13, v14, s[2:3]
.LBB231_204:
	s_or_b32 exec_lo, exec_lo, s1
                                        ; implicit-def: $vgpr13
.LBB231_205:
	s_andn2_saveexec_b32 s0, s0
	s_cbranch_execz .LBB231_207
; %bb.206:
	v_lshlrev_b32_e32 v14, 2, v0
	v_lshlrev_b32_e32 v13, 2, v13
	v_readfirstlane_b32 s2, v9
	v_readfirstlane_b32 s3, v10
	ds_read_b32 v14, v14 offset:6144
	s_waitcnt lgkmcnt(0)
	global_store_dword v13, v14, s[2:3]
.LBB231_207:
	s_or_b32 exec_lo, exec_lo, s0
	v_or_b32_e32 v13, 0x700, v0
	s_mov_b32 s0, exec_lo
	v_cmpx_ge_u32_e64 v13, v1
	s_xor_b32 s0, exec_lo, s0
	s_cbranch_execz .LBB231_213
; %bb.208:
	s_mov_b32 s1, exec_lo
	v_cmpx_ge_u32_e64 v13, v12
	s_xor_b32 s1, exec_lo, s1
	s_cbranch_execz .LBB231_210
; %bb.209:
	v_lshlrev_b32_e32 v14, 2, v0
	v_add_co_u32 v13, vcc_lo, v3, v13
	ds_read_b32 v15, v14 offset:7168
	v_add_co_ci_u32_e64 v14, null, 0, v11, vcc_lo
	v_lshlrev_b64 v[13:14], 2, v[13:14]
	v_sub_co_u32 v13, vcc_lo, s26, v13
	v_sub_co_ci_u32_e64 v14, null, s27, v14, vcc_lo
	s_waitcnt lgkmcnt(0)
	global_store_dword v[13:14], v15, off offset:-4
                                        ; implicit-def: $vgpr13
.LBB231_210:
	s_andn2_saveexec_b32 s1, s1
	s_cbranch_execz .LBB231_212
; %bb.211:
	v_lshlrev_b32_e32 v14, 2, v0
	v_lshlrev_b32_e32 v13, 2, v13
	v_readfirstlane_b32 s2, v7
	v_readfirstlane_b32 s3, v8
	ds_read_b32 v14, v14 offset:7168
	s_waitcnt lgkmcnt(0)
	global_store_dword v13, v14, s[2:3]
.LBB231_212:
	s_or_b32 exec_lo, exec_lo, s1
                                        ; implicit-def: $vgpr13
.LBB231_213:
	s_andn2_saveexec_b32 s0, s0
	s_cbranch_execz .LBB231_215
; %bb.214:
	v_lshlrev_b32_e32 v14, 2, v0
	v_lshlrev_b32_e32 v13, 2, v13
	v_readfirstlane_b32 s2, v9
	v_readfirstlane_b32 s3, v10
	ds_read_b32 v14, v14 offset:7168
	s_waitcnt lgkmcnt(0)
	global_store_dword v13, v14, s[2:3]
.LBB231_215:
	s_or_b32 exec_lo, exec_lo, s0
	v_or_b32_e32 v13, 0x800, v0
	s_mov_b32 s0, exec_lo
	v_cmpx_ge_u32_e64 v13, v1
	s_xor_b32 s0, exec_lo, s0
	s_cbranch_execz .LBB231_221
; %bb.216:
	s_mov_b32 s1, exec_lo
	v_cmpx_ge_u32_e64 v13, v12
	s_xor_b32 s1, exec_lo, s1
	s_cbranch_execz .LBB231_218
; %bb.217:
	v_lshlrev_b32_e32 v14, 2, v0
	v_add_co_u32 v13, vcc_lo, v3, v13
	ds_read_b32 v15, v14 offset:8192
	v_add_co_ci_u32_e64 v14, null, 0, v11, vcc_lo
	v_lshlrev_b64 v[13:14], 2, v[13:14]
	v_sub_co_u32 v13, vcc_lo, s26, v13
	v_sub_co_ci_u32_e64 v14, null, s27, v14, vcc_lo
	s_waitcnt lgkmcnt(0)
	global_store_dword v[13:14], v15, off offset:-4
                                        ; implicit-def: $vgpr13
.LBB231_218:
	s_andn2_saveexec_b32 s1, s1
	s_cbranch_execz .LBB231_220
; %bb.219:
	v_lshlrev_b32_e32 v14, 2, v0
	v_lshlrev_b32_e32 v13, 2, v13
	v_readfirstlane_b32 s2, v7
	v_readfirstlane_b32 s3, v8
	ds_read_b32 v14, v14 offset:8192
	s_waitcnt lgkmcnt(0)
	global_store_dword v13, v14, s[2:3]
.LBB231_220:
	s_or_b32 exec_lo, exec_lo, s1
                                        ; implicit-def: $vgpr13
.LBB231_221:
	s_andn2_saveexec_b32 s0, s0
	s_cbranch_execz .LBB231_223
; %bb.222:
	v_lshlrev_b32_e32 v14, 2, v0
	v_lshlrev_b32_e32 v13, 2, v13
	v_readfirstlane_b32 s2, v9
	v_readfirstlane_b32 s3, v10
	ds_read_b32 v14, v14 offset:8192
	s_waitcnt lgkmcnt(0)
	global_store_dword v13, v14, s[2:3]
.LBB231_223:
	s_or_b32 exec_lo, exec_lo, s0
	v_or_b32_e32 v13, 0x900, v0
	s_mov_b32 s0, exec_lo
	v_cmpx_ge_u32_e64 v13, v1
	s_xor_b32 s0, exec_lo, s0
	s_cbranch_execz .LBB231_229
; %bb.224:
	s_mov_b32 s1, exec_lo
	v_cmpx_ge_u32_e64 v13, v12
	s_xor_b32 s1, exec_lo, s1
	s_cbranch_execz .LBB231_226
; %bb.225:
	v_lshlrev_b32_e32 v14, 2, v0
	v_add_co_u32 v13, vcc_lo, v3, v13
	ds_read_b32 v15, v14 offset:9216
	v_add_co_ci_u32_e64 v14, null, 0, v11, vcc_lo
	v_lshlrev_b64 v[13:14], 2, v[13:14]
	v_sub_co_u32 v13, vcc_lo, s26, v13
	v_sub_co_ci_u32_e64 v14, null, s27, v14, vcc_lo
	s_waitcnt lgkmcnt(0)
	global_store_dword v[13:14], v15, off offset:-4
                                        ; implicit-def: $vgpr13
.LBB231_226:
	s_andn2_saveexec_b32 s1, s1
	s_cbranch_execz .LBB231_228
; %bb.227:
	v_lshlrev_b32_e32 v14, 2, v0
	v_lshlrev_b32_e32 v13, 2, v13
	v_readfirstlane_b32 s2, v7
	v_readfirstlane_b32 s3, v8
	ds_read_b32 v14, v14 offset:9216
	s_waitcnt lgkmcnt(0)
	global_store_dword v13, v14, s[2:3]
.LBB231_228:
	s_or_b32 exec_lo, exec_lo, s1
                                        ; implicit-def: $vgpr13
.LBB231_229:
	s_andn2_saveexec_b32 s0, s0
	s_cbranch_execz .LBB231_231
; %bb.230:
	v_lshlrev_b32_e32 v14, 2, v0
	v_lshlrev_b32_e32 v13, 2, v13
	v_readfirstlane_b32 s2, v9
	v_readfirstlane_b32 s3, v10
	ds_read_b32 v14, v14 offset:9216
	s_waitcnt lgkmcnt(0)
	global_store_dword v13, v14, s[2:3]
.LBB231_231:
	s_or_b32 exec_lo, exec_lo, s0
	v_or_b32_e32 v13, 0xa00, v0
	s_mov_b32 s0, exec_lo
	v_cmpx_ge_u32_e64 v13, v1
	s_xor_b32 s0, exec_lo, s0
	s_cbranch_execz .LBB231_237
; %bb.232:
	s_mov_b32 s1, exec_lo
	v_cmpx_ge_u32_e64 v13, v12
	s_xor_b32 s1, exec_lo, s1
	s_cbranch_execz .LBB231_234
; %bb.233:
	v_lshlrev_b32_e32 v14, 2, v0
	v_add_co_u32 v13, vcc_lo, v3, v13
	ds_read_b32 v15, v14 offset:10240
	v_add_co_ci_u32_e64 v14, null, 0, v11, vcc_lo
	v_lshlrev_b64 v[13:14], 2, v[13:14]
	v_sub_co_u32 v13, vcc_lo, s26, v13
	v_sub_co_ci_u32_e64 v14, null, s27, v14, vcc_lo
	s_waitcnt lgkmcnt(0)
	global_store_dword v[13:14], v15, off offset:-4
                                        ; implicit-def: $vgpr13
.LBB231_234:
	s_andn2_saveexec_b32 s1, s1
	s_cbranch_execz .LBB231_236
; %bb.235:
	v_lshlrev_b32_e32 v14, 2, v0
	v_lshlrev_b32_e32 v13, 2, v13
	v_readfirstlane_b32 s2, v7
	v_readfirstlane_b32 s3, v8
	ds_read_b32 v14, v14 offset:10240
	s_waitcnt lgkmcnt(0)
	global_store_dword v13, v14, s[2:3]
.LBB231_236:
	s_or_b32 exec_lo, exec_lo, s1
                                        ; implicit-def: $vgpr13
.LBB231_237:
	s_andn2_saveexec_b32 s0, s0
	s_cbranch_execz .LBB231_239
; %bb.238:
	v_lshlrev_b32_e32 v14, 2, v0
	v_lshlrev_b32_e32 v13, 2, v13
	v_readfirstlane_b32 s2, v9
	v_readfirstlane_b32 s3, v10
	ds_read_b32 v14, v14 offset:10240
	s_waitcnt lgkmcnt(0)
	global_store_dword v13, v14, s[2:3]
.LBB231_239:
	s_or_b32 exec_lo, exec_lo, s0
	v_or_b32_e32 v13, 0xb00, v0
	s_mov_b32 s0, exec_lo
	v_cmpx_ge_u32_e64 v13, v1
	s_xor_b32 s0, exec_lo, s0
	s_cbranch_execz .LBB231_245
; %bb.240:
	s_mov_b32 s1, exec_lo
	v_cmpx_ge_u32_e64 v13, v12
	s_xor_b32 s1, exec_lo, s1
	s_cbranch_execz .LBB231_242
; %bb.241:
	v_lshlrev_b32_e32 v14, 2, v0
	v_add_co_u32 v13, vcc_lo, v3, v13
	ds_read_b32 v15, v14 offset:11264
	v_add_co_ci_u32_e64 v14, null, 0, v11, vcc_lo
	v_lshlrev_b64 v[13:14], 2, v[13:14]
	v_sub_co_u32 v13, vcc_lo, s26, v13
	v_sub_co_ci_u32_e64 v14, null, s27, v14, vcc_lo
	s_waitcnt lgkmcnt(0)
	global_store_dword v[13:14], v15, off offset:-4
                                        ; implicit-def: $vgpr13
.LBB231_242:
	s_andn2_saveexec_b32 s1, s1
	s_cbranch_execz .LBB231_244
; %bb.243:
	v_lshlrev_b32_e32 v14, 2, v0
	v_lshlrev_b32_e32 v13, 2, v13
	v_readfirstlane_b32 s2, v7
	v_readfirstlane_b32 s3, v8
	ds_read_b32 v14, v14 offset:11264
	s_waitcnt lgkmcnt(0)
	global_store_dword v13, v14, s[2:3]
.LBB231_244:
	s_or_b32 exec_lo, exec_lo, s1
                                        ; implicit-def: $vgpr13
.LBB231_245:
	s_andn2_saveexec_b32 s0, s0
	s_cbranch_execz .LBB231_247
; %bb.246:
	v_lshlrev_b32_e32 v14, 2, v0
	v_lshlrev_b32_e32 v13, 2, v13
	v_readfirstlane_b32 s2, v9
	v_readfirstlane_b32 s3, v10
	ds_read_b32 v14, v14 offset:11264
	s_waitcnt lgkmcnt(0)
	global_store_dword v13, v14, s[2:3]
.LBB231_247:
	s_or_b32 exec_lo, exec_lo, s0
	v_or_b32_e32 v13, 0xc00, v0
	s_mov_b32 s0, exec_lo
	v_cmpx_ge_u32_e64 v13, v1
	s_xor_b32 s0, exec_lo, s0
	s_cbranch_execz .LBB231_253
; %bb.248:
	s_mov_b32 s1, exec_lo
	v_cmpx_ge_u32_e64 v13, v12
	s_xor_b32 s1, exec_lo, s1
	s_cbranch_execz .LBB231_250
; %bb.249:
	v_lshlrev_b32_e32 v14, 2, v0
	v_add_co_u32 v13, vcc_lo, v3, v13
	ds_read_b32 v15, v14 offset:12288
	v_add_co_ci_u32_e64 v14, null, 0, v11, vcc_lo
	v_lshlrev_b64 v[13:14], 2, v[13:14]
	v_sub_co_u32 v13, vcc_lo, s26, v13
	v_sub_co_ci_u32_e64 v14, null, s27, v14, vcc_lo
	s_waitcnt lgkmcnt(0)
	global_store_dword v[13:14], v15, off offset:-4
                                        ; implicit-def: $vgpr13
.LBB231_250:
	s_andn2_saveexec_b32 s1, s1
	s_cbranch_execz .LBB231_252
; %bb.251:
	v_lshlrev_b32_e32 v14, 2, v0
	v_lshlrev_b32_e32 v13, 2, v13
	v_readfirstlane_b32 s2, v7
	v_readfirstlane_b32 s3, v8
	ds_read_b32 v14, v14 offset:12288
	s_waitcnt lgkmcnt(0)
	global_store_dword v13, v14, s[2:3]
.LBB231_252:
	s_or_b32 exec_lo, exec_lo, s1
                                        ; implicit-def: $vgpr13
.LBB231_253:
	s_andn2_saveexec_b32 s0, s0
	s_cbranch_execz .LBB231_255
; %bb.254:
	v_lshlrev_b32_e32 v14, 2, v0
	v_lshlrev_b32_e32 v13, 2, v13
	v_readfirstlane_b32 s2, v9
	v_readfirstlane_b32 s3, v10
	ds_read_b32 v14, v14 offset:12288
	s_waitcnt lgkmcnt(0)
	global_store_dword v13, v14, s[2:3]
.LBB231_255:
	s_or_b32 exec_lo, exec_lo, s0
	s_branch .LBB231_149
.LBB231_256:
	s_mov_b32 s0, exec_lo
	v_cmpx_gt_u32_e64 s7, v0
	s_cbranch_execz .LBB231_265
; %bb.257:
	s_mov_b32 s1, exec_lo
	v_cmpx_ge_u32_e64 v0, v1
	s_xor_b32 s1, exec_lo, s1
	s_cbranch_execz .LBB231_263
; %bb.258:
	s_mov_b32 s2, exec_lo
	v_cmpx_ge_u32_e64 v0, v12
	s_xor_b32 s2, exec_lo, s2
	s_cbranch_execz .LBB231_260
; %bb.259:
	v_lshlrev_b32_e32 v13, 2, v0
	ds_read_b32 v15, v13
	v_add_co_u32 v13, vcc_lo, v3, v0
	v_add_co_ci_u32_e64 v14, null, 0, v11, vcc_lo
	v_lshlrev_b64 v[13:14], 2, v[13:14]
	v_sub_co_u32 v13, vcc_lo, s26, v13
	v_sub_co_ci_u32_e64 v14, null, s27, v14, vcc_lo
	s_waitcnt lgkmcnt(0)
	global_store_dword v[13:14], v15, off offset:-4
.LBB231_260:
	s_andn2_saveexec_b32 s2, s2
	s_cbranch_execz .LBB231_262
; %bb.261:
	v_lshlrev_b32_e32 v13, 2, v0
	v_readfirstlane_b32 s4, v7
	v_readfirstlane_b32 s5, v8
	ds_read_b32 v14, v13
	s_waitcnt lgkmcnt(0)
	global_store_dword v13, v14, s[4:5]
.LBB231_262:
	s_or_b32 exec_lo, exec_lo, s2
.LBB231_263:
	s_andn2_saveexec_b32 s1, s1
	s_cbranch_execz .LBB231_265
; %bb.264:
	v_lshlrev_b32_e32 v13, 2, v0
	v_readfirstlane_b32 s2, v9
	v_readfirstlane_b32 s3, v10
	ds_read_b32 v14, v13
	s_waitcnt lgkmcnt(0)
	global_store_dword v13, v14, s[2:3]
.LBB231_265:
	s_or_b32 exec_lo, exec_lo, s0
	v_or_b32_e32 v13, 0x100, v0
	s_mov_b32 s0, exec_lo
	v_cmpx_gt_u32_e64 s7, v13
	s_cbranch_execz .LBB231_274
; %bb.266:
	s_mov_b32 s1, exec_lo
	v_cmpx_ge_u32_e64 v13, v1
	s_xor_b32 s1, exec_lo, s1
	s_cbranch_execz .LBB231_272
; %bb.267:
	s_mov_b32 s2, exec_lo
	v_cmpx_ge_u32_e64 v13, v12
	s_xor_b32 s2, exec_lo, s2
	s_cbranch_execz .LBB231_269
; %bb.268:
	v_lshlrev_b32_e32 v13, 2, v0
	ds_read_b32 v15, v13 offset:1024
	v_add_co_u32 v13, vcc_lo, v3, v0
	v_add_co_ci_u32_e64 v14, null, 0, v11, vcc_lo
	v_lshlrev_b64 v[13:14], 2, v[13:14]
	v_sub_co_u32 v13, vcc_lo, s26, v13
	v_sub_co_ci_u32_e64 v14, null, s27, v14, vcc_lo
	s_waitcnt lgkmcnt(0)
	global_store_dword v[13:14], v15, off offset:-1028
.LBB231_269:
	s_andn2_saveexec_b32 s2, s2
	s_cbranch_execz .LBB231_271
; %bb.270:
	v_lshlrev_b32_e32 v13, 2, v0
	v_readfirstlane_b32 s4, v7
	v_readfirstlane_b32 s5, v8
	ds_read_b32 v14, v13 offset:1024
	s_waitcnt lgkmcnt(0)
	global_store_dword v13, v14, s[4:5] offset:1024
.LBB231_271:
	s_or_b32 exec_lo, exec_lo, s2
.LBB231_272:
	s_andn2_saveexec_b32 s1, s1
	s_cbranch_execz .LBB231_274
; %bb.273:
	v_lshlrev_b32_e32 v13, 2, v0
	v_readfirstlane_b32 s2, v9
	v_readfirstlane_b32 s3, v10
	ds_read_b32 v14, v13 offset:1024
	s_waitcnt lgkmcnt(0)
	global_store_dword v13, v14, s[2:3] offset:1024
.LBB231_274:
	s_or_b32 exec_lo, exec_lo, s0
	v_or_b32_e32 v13, 0x200, v0
	s_mov_b32 s0, exec_lo
	v_cmpx_gt_u32_e64 s7, v13
	s_cbranch_execz .LBB231_283
; %bb.275:
	s_mov_b32 s1, exec_lo
	v_cmpx_ge_u32_e64 v13, v1
	s_xor_b32 s1, exec_lo, s1
	s_cbranch_execz .LBB231_281
; %bb.276:
	s_mov_b32 s2, exec_lo
	v_cmpx_ge_u32_e64 v13, v12
	s_xor_b32 s2, exec_lo, s2
	s_cbranch_execz .LBB231_278
; %bb.277:
	v_lshlrev_b32_e32 v15, 2, v0
	v_add_co_u32 v13, vcc_lo, v3, v0
	v_add_co_ci_u32_e64 v14, null, 0, v11, vcc_lo
	ds_read_b32 v15, v15 offset:2048
	v_lshlrev_b64 v[13:14], 2, v[13:14]
	v_sub_co_u32 v13, vcc_lo, s26, v13
	v_sub_co_ci_u32_e64 v14, null, s27, v14, vcc_lo
	v_add_co_u32 v13, vcc_lo, 0xfffff800, v13
	v_add_co_ci_u32_e64 v14, null, -1, v14, vcc_lo
	s_waitcnt lgkmcnt(0)
	global_store_dword v[13:14], v15, off offset:-4
                                        ; implicit-def: $vgpr13
.LBB231_278:
	s_andn2_saveexec_b32 s2, s2
	s_cbranch_execz .LBB231_280
; %bb.279:
	v_lshlrev_b32_e32 v14, 2, v0
	v_lshlrev_b32_e32 v13, 2, v13
	v_readfirstlane_b32 s4, v7
	v_readfirstlane_b32 s5, v8
	ds_read_b32 v14, v14 offset:2048
	s_waitcnt lgkmcnt(0)
	global_store_dword v13, v14, s[4:5]
.LBB231_280:
	s_or_b32 exec_lo, exec_lo, s2
                                        ; implicit-def: $vgpr13
.LBB231_281:
	s_andn2_saveexec_b32 s1, s1
	s_cbranch_execz .LBB231_283
; %bb.282:
	v_lshlrev_b32_e32 v14, 2, v0
	v_lshlrev_b32_e32 v13, 2, v13
	v_readfirstlane_b32 s2, v9
	v_readfirstlane_b32 s3, v10
	ds_read_b32 v14, v14 offset:2048
	s_waitcnt lgkmcnt(0)
	global_store_dword v13, v14, s[2:3]
.LBB231_283:
	s_or_b32 exec_lo, exec_lo, s0
	v_or_b32_e32 v13, 0x300, v0
	s_mov_b32 s0, exec_lo
	v_cmpx_gt_u32_e64 s7, v13
	s_cbranch_execz .LBB231_292
; %bb.284:
	s_mov_b32 s1, exec_lo
	v_cmpx_ge_u32_e64 v13, v1
	s_xor_b32 s1, exec_lo, s1
	s_cbranch_execz .LBB231_290
; %bb.285:
	s_mov_b32 s2, exec_lo
	v_cmpx_ge_u32_e64 v13, v12
	s_xor_b32 s2, exec_lo, s2
	s_cbranch_execz .LBB231_287
; %bb.286:
	v_lshlrev_b32_e32 v14, 2, v0
	v_add_co_u32 v13, vcc_lo, v3, v13
	ds_read_b32 v15, v14 offset:3072
	v_add_co_ci_u32_e64 v14, null, 0, v11, vcc_lo
	v_lshlrev_b64 v[13:14], 2, v[13:14]
	v_sub_co_u32 v13, vcc_lo, s26, v13
	v_sub_co_ci_u32_e64 v14, null, s27, v14, vcc_lo
	s_waitcnt lgkmcnt(0)
	global_store_dword v[13:14], v15, off offset:-4
                                        ; implicit-def: $vgpr13
.LBB231_287:
	s_andn2_saveexec_b32 s2, s2
	s_cbranch_execz .LBB231_289
; %bb.288:
	v_lshlrev_b32_e32 v14, 2, v0
	v_lshlrev_b32_e32 v13, 2, v13
	v_readfirstlane_b32 s4, v7
	v_readfirstlane_b32 s5, v8
	ds_read_b32 v14, v14 offset:3072
	s_waitcnt lgkmcnt(0)
	global_store_dword v13, v14, s[4:5]
.LBB231_289:
	s_or_b32 exec_lo, exec_lo, s2
                                        ; implicit-def: $vgpr13
.LBB231_290:
	s_andn2_saveexec_b32 s1, s1
	s_cbranch_execz .LBB231_292
; %bb.291:
	v_lshlrev_b32_e32 v14, 2, v0
	v_lshlrev_b32_e32 v13, 2, v13
	v_readfirstlane_b32 s2, v9
	v_readfirstlane_b32 s3, v10
	ds_read_b32 v14, v14 offset:3072
	s_waitcnt lgkmcnt(0)
	global_store_dword v13, v14, s[2:3]
.LBB231_292:
	s_or_b32 exec_lo, exec_lo, s0
	v_or_b32_e32 v13, 0x400, v0
	s_mov_b32 s0, exec_lo
	v_cmpx_gt_u32_e64 s7, v13
	s_cbranch_execz .LBB231_301
; %bb.293:
	s_mov_b32 s1, exec_lo
	v_cmpx_ge_u32_e64 v13, v1
	s_xor_b32 s1, exec_lo, s1
	s_cbranch_execz .LBB231_299
; %bb.294:
	s_mov_b32 s2, exec_lo
	v_cmpx_ge_u32_e64 v13, v12
	s_xor_b32 s2, exec_lo, s2
	s_cbranch_execz .LBB231_296
; %bb.295:
	v_lshlrev_b32_e32 v14, 2, v0
	v_add_co_u32 v13, vcc_lo, v3, v13
	ds_read_b32 v15, v14 offset:4096
	v_add_co_ci_u32_e64 v14, null, 0, v11, vcc_lo
	v_lshlrev_b64 v[13:14], 2, v[13:14]
	v_sub_co_u32 v13, vcc_lo, s26, v13
	v_sub_co_ci_u32_e64 v14, null, s27, v14, vcc_lo
	s_waitcnt lgkmcnt(0)
	global_store_dword v[13:14], v15, off offset:-4
                                        ; implicit-def: $vgpr13
.LBB231_296:
	s_andn2_saveexec_b32 s2, s2
	s_cbranch_execz .LBB231_298
; %bb.297:
	v_lshlrev_b32_e32 v14, 2, v0
	v_lshlrev_b32_e32 v13, 2, v13
	v_readfirstlane_b32 s4, v7
	v_readfirstlane_b32 s5, v8
	ds_read_b32 v14, v14 offset:4096
	s_waitcnt lgkmcnt(0)
	global_store_dword v13, v14, s[4:5]
.LBB231_298:
	s_or_b32 exec_lo, exec_lo, s2
                                        ; implicit-def: $vgpr13
.LBB231_299:
	s_andn2_saveexec_b32 s1, s1
	s_cbranch_execz .LBB231_301
; %bb.300:
	v_lshlrev_b32_e32 v14, 2, v0
	v_lshlrev_b32_e32 v13, 2, v13
	v_readfirstlane_b32 s2, v9
	v_readfirstlane_b32 s3, v10
	ds_read_b32 v14, v14 offset:4096
	s_waitcnt lgkmcnt(0)
	global_store_dword v13, v14, s[2:3]
.LBB231_301:
	;; [unrolled: 52-line block ×9, first 2 shown]
	s_or_b32 exec_lo, exec_lo, s0
	v_or_b32_e32 v13, 0xc00, v0
	s_mov_b32 s0, exec_lo
	v_cmpx_gt_u32_e64 s7, v13
	s_cbranch_execz .LBB231_373
; %bb.365:
	s_mov_b32 s1, exec_lo
	v_cmpx_ge_u32_e64 v13, v1
	s_xor_b32 s1, exec_lo, s1
	s_cbranch_execz .LBB231_371
; %bb.366:
	s_mov_b32 s2, exec_lo
	v_cmpx_ge_u32_e64 v13, v12
	s_xor_b32 s2, exec_lo, s2
	s_cbranch_execz .LBB231_368
; %bb.367:
	v_lshlrev_b32_e32 v7, 2, v0
	ds_read_b32 v9, v7 offset:12288
	v_add_co_u32 v7, vcc_lo, v3, v13
	v_add_co_ci_u32_e64 v8, null, 0, v11, vcc_lo
                                        ; implicit-def: $vgpr13
	v_lshlrev_b64 v[7:8], 2, v[7:8]
	v_sub_co_u32 v7, vcc_lo, s26, v7
	v_sub_co_ci_u32_e64 v8, null, s27, v8, vcc_lo
	s_waitcnt lgkmcnt(0)
	global_store_dword v[7:8], v9, off offset:-4
                                        ; implicit-def: $vgpr7_vgpr8
.LBB231_368:
	s_andn2_saveexec_b32 s2, s2
	s_cbranch_execz .LBB231_370
; %bb.369:
	v_lshlrev_b32_e32 v3, 2, v0
	v_lshlrev_b32_e32 v9, 2, v13
	v_readfirstlane_b32 s4, v7
	v_readfirstlane_b32 s5, v8
	ds_read_b32 v3, v3 offset:12288
	s_waitcnt lgkmcnt(0)
	global_store_dword v9, v3, s[4:5]
.LBB231_370:
	s_or_b32 exec_lo, exec_lo, s2
                                        ; implicit-def: $vgpr13
                                        ; implicit-def: $vgpr9_vgpr10
.LBB231_371:
	s_andn2_saveexec_b32 s1, s1
	s_cbranch_execz .LBB231_373
; %bb.372:
	v_lshlrev_b32_e32 v3, 2, v0
	v_lshlrev_b32_e32 v7, 2, v13
	v_readfirstlane_b32 s2, v9
	v_readfirstlane_b32 s3, v10
	ds_read_b32 v3, v3 offset:12288
	s_waitcnt lgkmcnt(0)
	global_store_dword v7, v3, s[2:3]
.LBB231_373:
	s_or_b32 exec_lo, exec_lo, s0
	v_cmp_eq_u32_e32 vcc_lo, 0, v0
	s_and_b32 s0, vcc_lo, s33
	s_and_saveexec_b32 s1, s0
	s_cbranch_execz .LBB231_150
.LBB231_374:
	v_add_co_u32 v0, s0, s30, v2
	v_add_co_ci_u32_e64 v3, null, s31, 0, s0
	v_mov_b32_e32 v7, 0
	v_add_co_u32 v2, vcc_lo, v0, v4
	v_add_co_ci_u32_e64 v3, null, 0, v3, vcc_lo
	v_add_co_u32 v0, vcc_lo, v5, v1
	v_add_co_ci_u32_e64 v1, null, 0, v6, vcc_lo
	global_store_dwordx4 v7, v[0:3], s[24:25]
	s_endpgm
.LBB231_375:
	s_add_i32 s10, s6, 32
	s_mov_b32 s11, 0
	v_add_nc_u32_e32 v6, v4, v2
	s_lshl_b64 s[10:11], s[10:11], 4
	v_add_nc_u32_e32 v5, v3, v1
	s_add_u32 s10, s4, s10
	s_addc_u32 s11, s5, s11
	v_mov_b32_e32 v7, 2
	v_mov_b32_e32 v24, s11
	;; [unrolled: 1-line block ×4, first 2 shown]
	;;#ASMSTART
	global_store_dwordx4 v[23:24], v[5:8] off	
s_waitcnt vmcnt(0)
	;;#ASMEND
	s_or_b32 exec_lo, exec_lo, s8
	s_and_saveexec_b32 s6, s2
	s_cbranch_execz .LBB231_135
.LBB231_376:
	v_mov_b32_e32 v5, 0
	ds_write_b128 v5, v[1:4] offset:13312
	s_or_b32 exec_lo, exec_lo, s6
	v_cmp_eq_u32_e32 vcc_lo, 0, v0
	s_and_b32 exec_lo, exec_lo, vcc_lo
	s_cbranch_execnz .LBB231_136
	s_branch .LBB231_137
	.section	.rodata,"a",@progbits
	.p2align	6, 0x0
	.amdhsa_kernel _ZN7rocprim17ROCPRIM_400000_NS6detail17trampoline_kernelINS0_13select_configILj256ELj13ELNS0_17block_load_methodE3ELS4_3ELS4_3ELNS0_20block_scan_algorithmE0ELj4294967295EEENS1_25partition_config_selectorILNS1_17partition_subalgoE4EjNS0_10empty_typeEbEEZZNS1_14partition_implILS8_4ELb0ES6_15HIP_vector_typeIjLj2EENS0_17counting_iteratorIjlEEPS9_SG_NS0_5tupleIJPjSI_NS0_16reverse_iteratorISI_EEEEENSH_IJSG_SG_SG_EEES9_SI_JZNS1_25segmented_radix_sort_implINS0_14default_configELb1EPKaPaPKlPlN2at6native12_GLOBAL__N_18offset_tEEE10hipError_tPvRmT1_PNSt15iterator_traitsIS12_E10value_typeET2_T3_PNS13_IS18_E10value_typeET4_jRbjT5_S1E_jjP12ihipStream_tbEUljE_ZNSN_ISO_Lb1ESQ_SR_ST_SU_SY_EESZ_S10_S11_S12_S16_S17_S18_S1B_S1C_jS1D_jS1E_S1E_jjS1G_bEUljE0_EEESZ_S10_S11_S18_S1C_S1E_T6_T7_T9_mT8_S1G_bDpT10_ENKUlT_T0_E_clISt17integral_constantIbLb0EES1U_EEDaS1P_S1Q_EUlS1P_E_NS1_11comp_targetILNS1_3genE8ELNS1_11target_archE1030ELNS1_3gpuE2ELNS1_3repE0EEENS1_30default_config_static_selectorELNS0_4arch9wavefront6targetE0EEEvS12_
		.amdhsa_group_segment_fixed_size 13328
		.amdhsa_private_segment_fixed_size 0
		.amdhsa_kernarg_size 176
		.amdhsa_user_sgpr_count 6
		.amdhsa_user_sgpr_private_segment_buffer 1
		.amdhsa_user_sgpr_dispatch_ptr 0
		.amdhsa_user_sgpr_queue_ptr 0
		.amdhsa_user_sgpr_kernarg_segment_ptr 1
		.amdhsa_user_sgpr_dispatch_id 0
		.amdhsa_user_sgpr_flat_scratch_init 0
		.amdhsa_user_sgpr_private_segment_size 0
		.amdhsa_wavefront_size32 1
		.amdhsa_uses_dynamic_stack 0
		.amdhsa_system_sgpr_private_segment_wavefront_offset 0
		.amdhsa_system_sgpr_workgroup_id_x 1
		.amdhsa_system_sgpr_workgroup_id_y 0
		.amdhsa_system_sgpr_workgroup_id_z 0
		.amdhsa_system_sgpr_workgroup_info 0
		.amdhsa_system_vgpr_workitem_id 0
		.amdhsa_next_free_vgpr 82
		.amdhsa_next_free_sgpr 59
		.amdhsa_reserve_vcc 1
		.amdhsa_reserve_flat_scratch 0
		.amdhsa_float_round_mode_32 0
		.amdhsa_float_round_mode_16_64 0
		.amdhsa_float_denorm_mode_32 3
		.amdhsa_float_denorm_mode_16_64 3
		.amdhsa_dx10_clamp 1
		.amdhsa_ieee_mode 1
		.amdhsa_fp16_overflow 0
		.amdhsa_workgroup_processor_mode 1
		.amdhsa_memory_ordered 1
		.amdhsa_forward_progress 1
		.amdhsa_shared_vgpr_count 0
		.amdhsa_exception_fp_ieee_invalid_op 0
		.amdhsa_exception_fp_denorm_src 0
		.amdhsa_exception_fp_ieee_div_zero 0
		.amdhsa_exception_fp_ieee_overflow 0
		.amdhsa_exception_fp_ieee_underflow 0
		.amdhsa_exception_fp_ieee_inexact 0
		.amdhsa_exception_int_div_zero 0
	.end_amdhsa_kernel
	.section	.text._ZN7rocprim17ROCPRIM_400000_NS6detail17trampoline_kernelINS0_13select_configILj256ELj13ELNS0_17block_load_methodE3ELS4_3ELS4_3ELNS0_20block_scan_algorithmE0ELj4294967295EEENS1_25partition_config_selectorILNS1_17partition_subalgoE4EjNS0_10empty_typeEbEEZZNS1_14partition_implILS8_4ELb0ES6_15HIP_vector_typeIjLj2EENS0_17counting_iteratorIjlEEPS9_SG_NS0_5tupleIJPjSI_NS0_16reverse_iteratorISI_EEEEENSH_IJSG_SG_SG_EEES9_SI_JZNS1_25segmented_radix_sort_implINS0_14default_configELb1EPKaPaPKlPlN2at6native12_GLOBAL__N_18offset_tEEE10hipError_tPvRmT1_PNSt15iterator_traitsIS12_E10value_typeET2_T3_PNS13_IS18_E10value_typeET4_jRbjT5_S1E_jjP12ihipStream_tbEUljE_ZNSN_ISO_Lb1ESQ_SR_ST_SU_SY_EESZ_S10_S11_S12_S16_S17_S18_S1B_S1C_jS1D_jS1E_S1E_jjS1G_bEUljE0_EEESZ_S10_S11_S18_S1C_S1E_T6_T7_T9_mT8_S1G_bDpT10_ENKUlT_T0_E_clISt17integral_constantIbLb0EES1U_EEDaS1P_S1Q_EUlS1P_E_NS1_11comp_targetILNS1_3genE8ELNS1_11target_archE1030ELNS1_3gpuE2ELNS1_3repE0EEENS1_30default_config_static_selectorELNS0_4arch9wavefront6targetE0EEEvS12_,"axG",@progbits,_ZN7rocprim17ROCPRIM_400000_NS6detail17trampoline_kernelINS0_13select_configILj256ELj13ELNS0_17block_load_methodE3ELS4_3ELS4_3ELNS0_20block_scan_algorithmE0ELj4294967295EEENS1_25partition_config_selectorILNS1_17partition_subalgoE4EjNS0_10empty_typeEbEEZZNS1_14partition_implILS8_4ELb0ES6_15HIP_vector_typeIjLj2EENS0_17counting_iteratorIjlEEPS9_SG_NS0_5tupleIJPjSI_NS0_16reverse_iteratorISI_EEEEENSH_IJSG_SG_SG_EEES9_SI_JZNS1_25segmented_radix_sort_implINS0_14default_configELb1EPKaPaPKlPlN2at6native12_GLOBAL__N_18offset_tEEE10hipError_tPvRmT1_PNSt15iterator_traitsIS12_E10value_typeET2_T3_PNS13_IS18_E10value_typeET4_jRbjT5_S1E_jjP12ihipStream_tbEUljE_ZNSN_ISO_Lb1ESQ_SR_ST_SU_SY_EESZ_S10_S11_S12_S16_S17_S18_S1B_S1C_jS1D_jS1E_S1E_jjS1G_bEUljE0_EEESZ_S10_S11_S18_S1C_S1E_T6_T7_T9_mT8_S1G_bDpT10_ENKUlT_T0_E_clISt17integral_constantIbLb0EES1U_EEDaS1P_S1Q_EUlS1P_E_NS1_11comp_targetILNS1_3genE8ELNS1_11target_archE1030ELNS1_3gpuE2ELNS1_3repE0EEENS1_30default_config_static_selectorELNS0_4arch9wavefront6targetE0EEEvS12_,comdat
.Lfunc_end231:
	.size	_ZN7rocprim17ROCPRIM_400000_NS6detail17trampoline_kernelINS0_13select_configILj256ELj13ELNS0_17block_load_methodE3ELS4_3ELS4_3ELNS0_20block_scan_algorithmE0ELj4294967295EEENS1_25partition_config_selectorILNS1_17partition_subalgoE4EjNS0_10empty_typeEbEEZZNS1_14partition_implILS8_4ELb0ES6_15HIP_vector_typeIjLj2EENS0_17counting_iteratorIjlEEPS9_SG_NS0_5tupleIJPjSI_NS0_16reverse_iteratorISI_EEEEENSH_IJSG_SG_SG_EEES9_SI_JZNS1_25segmented_radix_sort_implINS0_14default_configELb1EPKaPaPKlPlN2at6native12_GLOBAL__N_18offset_tEEE10hipError_tPvRmT1_PNSt15iterator_traitsIS12_E10value_typeET2_T3_PNS13_IS18_E10value_typeET4_jRbjT5_S1E_jjP12ihipStream_tbEUljE_ZNSN_ISO_Lb1ESQ_SR_ST_SU_SY_EESZ_S10_S11_S12_S16_S17_S18_S1B_S1C_jS1D_jS1E_S1E_jjS1G_bEUljE0_EEESZ_S10_S11_S18_S1C_S1E_T6_T7_T9_mT8_S1G_bDpT10_ENKUlT_T0_E_clISt17integral_constantIbLb0EES1U_EEDaS1P_S1Q_EUlS1P_E_NS1_11comp_targetILNS1_3genE8ELNS1_11target_archE1030ELNS1_3gpuE2ELNS1_3repE0EEENS1_30default_config_static_selectorELNS0_4arch9wavefront6targetE0EEEvS12_, .Lfunc_end231-_ZN7rocprim17ROCPRIM_400000_NS6detail17trampoline_kernelINS0_13select_configILj256ELj13ELNS0_17block_load_methodE3ELS4_3ELS4_3ELNS0_20block_scan_algorithmE0ELj4294967295EEENS1_25partition_config_selectorILNS1_17partition_subalgoE4EjNS0_10empty_typeEbEEZZNS1_14partition_implILS8_4ELb0ES6_15HIP_vector_typeIjLj2EENS0_17counting_iteratorIjlEEPS9_SG_NS0_5tupleIJPjSI_NS0_16reverse_iteratorISI_EEEEENSH_IJSG_SG_SG_EEES9_SI_JZNS1_25segmented_radix_sort_implINS0_14default_configELb1EPKaPaPKlPlN2at6native12_GLOBAL__N_18offset_tEEE10hipError_tPvRmT1_PNSt15iterator_traitsIS12_E10value_typeET2_T3_PNS13_IS18_E10value_typeET4_jRbjT5_S1E_jjP12ihipStream_tbEUljE_ZNSN_ISO_Lb1ESQ_SR_ST_SU_SY_EESZ_S10_S11_S12_S16_S17_S18_S1B_S1C_jS1D_jS1E_S1E_jjS1G_bEUljE0_EEESZ_S10_S11_S18_S1C_S1E_T6_T7_T9_mT8_S1G_bDpT10_ENKUlT_T0_E_clISt17integral_constantIbLb0EES1U_EEDaS1P_S1Q_EUlS1P_E_NS1_11comp_targetILNS1_3genE8ELNS1_11target_archE1030ELNS1_3gpuE2ELNS1_3repE0EEENS1_30default_config_static_selectorELNS0_4arch9wavefront6targetE0EEEvS12_
                                        ; -- End function
	.set _ZN7rocprim17ROCPRIM_400000_NS6detail17trampoline_kernelINS0_13select_configILj256ELj13ELNS0_17block_load_methodE3ELS4_3ELS4_3ELNS0_20block_scan_algorithmE0ELj4294967295EEENS1_25partition_config_selectorILNS1_17partition_subalgoE4EjNS0_10empty_typeEbEEZZNS1_14partition_implILS8_4ELb0ES6_15HIP_vector_typeIjLj2EENS0_17counting_iteratorIjlEEPS9_SG_NS0_5tupleIJPjSI_NS0_16reverse_iteratorISI_EEEEENSH_IJSG_SG_SG_EEES9_SI_JZNS1_25segmented_radix_sort_implINS0_14default_configELb1EPKaPaPKlPlN2at6native12_GLOBAL__N_18offset_tEEE10hipError_tPvRmT1_PNSt15iterator_traitsIS12_E10value_typeET2_T3_PNS13_IS18_E10value_typeET4_jRbjT5_S1E_jjP12ihipStream_tbEUljE_ZNSN_ISO_Lb1ESQ_SR_ST_SU_SY_EESZ_S10_S11_S12_S16_S17_S18_S1B_S1C_jS1D_jS1E_S1E_jjS1G_bEUljE0_EEESZ_S10_S11_S18_S1C_S1E_T6_T7_T9_mT8_S1G_bDpT10_ENKUlT_T0_E_clISt17integral_constantIbLb0EES1U_EEDaS1P_S1Q_EUlS1P_E_NS1_11comp_targetILNS1_3genE8ELNS1_11target_archE1030ELNS1_3gpuE2ELNS1_3repE0EEENS1_30default_config_static_selectorELNS0_4arch9wavefront6targetE0EEEvS12_.num_vgpr, 82
	.set _ZN7rocprim17ROCPRIM_400000_NS6detail17trampoline_kernelINS0_13select_configILj256ELj13ELNS0_17block_load_methodE3ELS4_3ELS4_3ELNS0_20block_scan_algorithmE0ELj4294967295EEENS1_25partition_config_selectorILNS1_17partition_subalgoE4EjNS0_10empty_typeEbEEZZNS1_14partition_implILS8_4ELb0ES6_15HIP_vector_typeIjLj2EENS0_17counting_iteratorIjlEEPS9_SG_NS0_5tupleIJPjSI_NS0_16reverse_iteratorISI_EEEEENSH_IJSG_SG_SG_EEES9_SI_JZNS1_25segmented_radix_sort_implINS0_14default_configELb1EPKaPaPKlPlN2at6native12_GLOBAL__N_18offset_tEEE10hipError_tPvRmT1_PNSt15iterator_traitsIS12_E10value_typeET2_T3_PNS13_IS18_E10value_typeET4_jRbjT5_S1E_jjP12ihipStream_tbEUljE_ZNSN_ISO_Lb1ESQ_SR_ST_SU_SY_EESZ_S10_S11_S12_S16_S17_S18_S1B_S1C_jS1D_jS1E_S1E_jjS1G_bEUljE0_EEESZ_S10_S11_S18_S1C_S1E_T6_T7_T9_mT8_S1G_bDpT10_ENKUlT_T0_E_clISt17integral_constantIbLb0EES1U_EEDaS1P_S1Q_EUlS1P_E_NS1_11comp_targetILNS1_3genE8ELNS1_11target_archE1030ELNS1_3gpuE2ELNS1_3repE0EEENS1_30default_config_static_selectorELNS0_4arch9wavefront6targetE0EEEvS12_.num_agpr, 0
	.set _ZN7rocprim17ROCPRIM_400000_NS6detail17trampoline_kernelINS0_13select_configILj256ELj13ELNS0_17block_load_methodE3ELS4_3ELS4_3ELNS0_20block_scan_algorithmE0ELj4294967295EEENS1_25partition_config_selectorILNS1_17partition_subalgoE4EjNS0_10empty_typeEbEEZZNS1_14partition_implILS8_4ELb0ES6_15HIP_vector_typeIjLj2EENS0_17counting_iteratorIjlEEPS9_SG_NS0_5tupleIJPjSI_NS0_16reverse_iteratorISI_EEEEENSH_IJSG_SG_SG_EEES9_SI_JZNS1_25segmented_radix_sort_implINS0_14default_configELb1EPKaPaPKlPlN2at6native12_GLOBAL__N_18offset_tEEE10hipError_tPvRmT1_PNSt15iterator_traitsIS12_E10value_typeET2_T3_PNS13_IS18_E10value_typeET4_jRbjT5_S1E_jjP12ihipStream_tbEUljE_ZNSN_ISO_Lb1ESQ_SR_ST_SU_SY_EESZ_S10_S11_S12_S16_S17_S18_S1B_S1C_jS1D_jS1E_S1E_jjS1G_bEUljE0_EEESZ_S10_S11_S18_S1C_S1E_T6_T7_T9_mT8_S1G_bDpT10_ENKUlT_T0_E_clISt17integral_constantIbLb0EES1U_EEDaS1P_S1Q_EUlS1P_E_NS1_11comp_targetILNS1_3genE8ELNS1_11target_archE1030ELNS1_3gpuE2ELNS1_3repE0EEENS1_30default_config_static_selectorELNS0_4arch9wavefront6targetE0EEEvS12_.numbered_sgpr, 59
	.set _ZN7rocprim17ROCPRIM_400000_NS6detail17trampoline_kernelINS0_13select_configILj256ELj13ELNS0_17block_load_methodE3ELS4_3ELS4_3ELNS0_20block_scan_algorithmE0ELj4294967295EEENS1_25partition_config_selectorILNS1_17partition_subalgoE4EjNS0_10empty_typeEbEEZZNS1_14partition_implILS8_4ELb0ES6_15HIP_vector_typeIjLj2EENS0_17counting_iteratorIjlEEPS9_SG_NS0_5tupleIJPjSI_NS0_16reverse_iteratorISI_EEEEENSH_IJSG_SG_SG_EEES9_SI_JZNS1_25segmented_radix_sort_implINS0_14default_configELb1EPKaPaPKlPlN2at6native12_GLOBAL__N_18offset_tEEE10hipError_tPvRmT1_PNSt15iterator_traitsIS12_E10value_typeET2_T3_PNS13_IS18_E10value_typeET4_jRbjT5_S1E_jjP12ihipStream_tbEUljE_ZNSN_ISO_Lb1ESQ_SR_ST_SU_SY_EESZ_S10_S11_S12_S16_S17_S18_S1B_S1C_jS1D_jS1E_S1E_jjS1G_bEUljE0_EEESZ_S10_S11_S18_S1C_S1E_T6_T7_T9_mT8_S1G_bDpT10_ENKUlT_T0_E_clISt17integral_constantIbLb0EES1U_EEDaS1P_S1Q_EUlS1P_E_NS1_11comp_targetILNS1_3genE8ELNS1_11target_archE1030ELNS1_3gpuE2ELNS1_3repE0EEENS1_30default_config_static_selectorELNS0_4arch9wavefront6targetE0EEEvS12_.num_named_barrier, 0
	.set _ZN7rocprim17ROCPRIM_400000_NS6detail17trampoline_kernelINS0_13select_configILj256ELj13ELNS0_17block_load_methodE3ELS4_3ELS4_3ELNS0_20block_scan_algorithmE0ELj4294967295EEENS1_25partition_config_selectorILNS1_17partition_subalgoE4EjNS0_10empty_typeEbEEZZNS1_14partition_implILS8_4ELb0ES6_15HIP_vector_typeIjLj2EENS0_17counting_iteratorIjlEEPS9_SG_NS0_5tupleIJPjSI_NS0_16reverse_iteratorISI_EEEEENSH_IJSG_SG_SG_EEES9_SI_JZNS1_25segmented_radix_sort_implINS0_14default_configELb1EPKaPaPKlPlN2at6native12_GLOBAL__N_18offset_tEEE10hipError_tPvRmT1_PNSt15iterator_traitsIS12_E10value_typeET2_T3_PNS13_IS18_E10value_typeET4_jRbjT5_S1E_jjP12ihipStream_tbEUljE_ZNSN_ISO_Lb1ESQ_SR_ST_SU_SY_EESZ_S10_S11_S12_S16_S17_S18_S1B_S1C_jS1D_jS1E_S1E_jjS1G_bEUljE0_EEESZ_S10_S11_S18_S1C_S1E_T6_T7_T9_mT8_S1G_bDpT10_ENKUlT_T0_E_clISt17integral_constantIbLb0EES1U_EEDaS1P_S1Q_EUlS1P_E_NS1_11comp_targetILNS1_3genE8ELNS1_11target_archE1030ELNS1_3gpuE2ELNS1_3repE0EEENS1_30default_config_static_selectorELNS0_4arch9wavefront6targetE0EEEvS12_.private_seg_size, 0
	.set _ZN7rocprim17ROCPRIM_400000_NS6detail17trampoline_kernelINS0_13select_configILj256ELj13ELNS0_17block_load_methodE3ELS4_3ELS4_3ELNS0_20block_scan_algorithmE0ELj4294967295EEENS1_25partition_config_selectorILNS1_17partition_subalgoE4EjNS0_10empty_typeEbEEZZNS1_14partition_implILS8_4ELb0ES6_15HIP_vector_typeIjLj2EENS0_17counting_iteratorIjlEEPS9_SG_NS0_5tupleIJPjSI_NS0_16reverse_iteratorISI_EEEEENSH_IJSG_SG_SG_EEES9_SI_JZNS1_25segmented_radix_sort_implINS0_14default_configELb1EPKaPaPKlPlN2at6native12_GLOBAL__N_18offset_tEEE10hipError_tPvRmT1_PNSt15iterator_traitsIS12_E10value_typeET2_T3_PNS13_IS18_E10value_typeET4_jRbjT5_S1E_jjP12ihipStream_tbEUljE_ZNSN_ISO_Lb1ESQ_SR_ST_SU_SY_EESZ_S10_S11_S12_S16_S17_S18_S1B_S1C_jS1D_jS1E_S1E_jjS1G_bEUljE0_EEESZ_S10_S11_S18_S1C_S1E_T6_T7_T9_mT8_S1G_bDpT10_ENKUlT_T0_E_clISt17integral_constantIbLb0EES1U_EEDaS1P_S1Q_EUlS1P_E_NS1_11comp_targetILNS1_3genE8ELNS1_11target_archE1030ELNS1_3gpuE2ELNS1_3repE0EEENS1_30default_config_static_selectorELNS0_4arch9wavefront6targetE0EEEvS12_.uses_vcc, 1
	.set _ZN7rocprim17ROCPRIM_400000_NS6detail17trampoline_kernelINS0_13select_configILj256ELj13ELNS0_17block_load_methodE3ELS4_3ELS4_3ELNS0_20block_scan_algorithmE0ELj4294967295EEENS1_25partition_config_selectorILNS1_17partition_subalgoE4EjNS0_10empty_typeEbEEZZNS1_14partition_implILS8_4ELb0ES6_15HIP_vector_typeIjLj2EENS0_17counting_iteratorIjlEEPS9_SG_NS0_5tupleIJPjSI_NS0_16reverse_iteratorISI_EEEEENSH_IJSG_SG_SG_EEES9_SI_JZNS1_25segmented_radix_sort_implINS0_14default_configELb1EPKaPaPKlPlN2at6native12_GLOBAL__N_18offset_tEEE10hipError_tPvRmT1_PNSt15iterator_traitsIS12_E10value_typeET2_T3_PNS13_IS18_E10value_typeET4_jRbjT5_S1E_jjP12ihipStream_tbEUljE_ZNSN_ISO_Lb1ESQ_SR_ST_SU_SY_EESZ_S10_S11_S12_S16_S17_S18_S1B_S1C_jS1D_jS1E_S1E_jjS1G_bEUljE0_EEESZ_S10_S11_S18_S1C_S1E_T6_T7_T9_mT8_S1G_bDpT10_ENKUlT_T0_E_clISt17integral_constantIbLb0EES1U_EEDaS1P_S1Q_EUlS1P_E_NS1_11comp_targetILNS1_3genE8ELNS1_11target_archE1030ELNS1_3gpuE2ELNS1_3repE0EEENS1_30default_config_static_selectorELNS0_4arch9wavefront6targetE0EEEvS12_.uses_flat_scratch, 0
	.set _ZN7rocprim17ROCPRIM_400000_NS6detail17trampoline_kernelINS0_13select_configILj256ELj13ELNS0_17block_load_methodE3ELS4_3ELS4_3ELNS0_20block_scan_algorithmE0ELj4294967295EEENS1_25partition_config_selectorILNS1_17partition_subalgoE4EjNS0_10empty_typeEbEEZZNS1_14partition_implILS8_4ELb0ES6_15HIP_vector_typeIjLj2EENS0_17counting_iteratorIjlEEPS9_SG_NS0_5tupleIJPjSI_NS0_16reverse_iteratorISI_EEEEENSH_IJSG_SG_SG_EEES9_SI_JZNS1_25segmented_radix_sort_implINS0_14default_configELb1EPKaPaPKlPlN2at6native12_GLOBAL__N_18offset_tEEE10hipError_tPvRmT1_PNSt15iterator_traitsIS12_E10value_typeET2_T3_PNS13_IS18_E10value_typeET4_jRbjT5_S1E_jjP12ihipStream_tbEUljE_ZNSN_ISO_Lb1ESQ_SR_ST_SU_SY_EESZ_S10_S11_S12_S16_S17_S18_S1B_S1C_jS1D_jS1E_S1E_jjS1G_bEUljE0_EEESZ_S10_S11_S18_S1C_S1E_T6_T7_T9_mT8_S1G_bDpT10_ENKUlT_T0_E_clISt17integral_constantIbLb0EES1U_EEDaS1P_S1Q_EUlS1P_E_NS1_11comp_targetILNS1_3genE8ELNS1_11target_archE1030ELNS1_3gpuE2ELNS1_3repE0EEENS1_30default_config_static_selectorELNS0_4arch9wavefront6targetE0EEEvS12_.has_dyn_sized_stack, 0
	.set _ZN7rocprim17ROCPRIM_400000_NS6detail17trampoline_kernelINS0_13select_configILj256ELj13ELNS0_17block_load_methodE3ELS4_3ELS4_3ELNS0_20block_scan_algorithmE0ELj4294967295EEENS1_25partition_config_selectorILNS1_17partition_subalgoE4EjNS0_10empty_typeEbEEZZNS1_14partition_implILS8_4ELb0ES6_15HIP_vector_typeIjLj2EENS0_17counting_iteratorIjlEEPS9_SG_NS0_5tupleIJPjSI_NS0_16reverse_iteratorISI_EEEEENSH_IJSG_SG_SG_EEES9_SI_JZNS1_25segmented_radix_sort_implINS0_14default_configELb1EPKaPaPKlPlN2at6native12_GLOBAL__N_18offset_tEEE10hipError_tPvRmT1_PNSt15iterator_traitsIS12_E10value_typeET2_T3_PNS13_IS18_E10value_typeET4_jRbjT5_S1E_jjP12ihipStream_tbEUljE_ZNSN_ISO_Lb1ESQ_SR_ST_SU_SY_EESZ_S10_S11_S12_S16_S17_S18_S1B_S1C_jS1D_jS1E_S1E_jjS1G_bEUljE0_EEESZ_S10_S11_S18_S1C_S1E_T6_T7_T9_mT8_S1G_bDpT10_ENKUlT_T0_E_clISt17integral_constantIbLb0EES1U_EEDaS1P_S1Q_EUlS1P_E_NS1_11comp_targetILNS1_3genE8ELNS1_11target_archE1030ELNS1_3gpuE2ELNS1_3repE0EEENS1_30default_config_static_selectorELNS0_4arch9wavefront6targetE0EEEvS12_.has_recursion, 0
	.set _ZN7rocprim17ROCPRIM_400000_NS6detail17trampoline_kernelINS0_13select_configILj256ELj13ELNS0_17block_load_methodE3ELS4_3ELS4_3ELNS0_20block_scan_algorithmE0ELj4294967295EEENS1_25partition_config_selectorILNS1_17partition_subalgoE4EjNS0_10empty_typeEbEEZZNS1_14partition_implILS8_4ELb0ES6_15HIP_vector_typeIjLj2EENS0_17counting_iteratorIjlEEPS9_SG_NS0_5tupleIJPjSI_NS0_16reverse_iteratorISI_EEEEENSH_IJSG_SG_SG_EEES9_SI_JZNS1_25segmented_radix_sort_implINS0_14default_configELb1EPKaPaPKlPlN2at6native12_GLOBAL__N_18offset_tEEE10hipError_tPvRmT1_PNSt15iterator_traitsIS12_E10value_typeET2_T3_PNS13_IS18_E10value_typeET4_jRbjT5_S1E_jjP12ihipStream_tbEUljE_ZNSN_ISO_Lb1ESQ_SR_ST_SU_SY_EESZ_S10_S11_S12_S16_S17_S18_S1B_S1C_jS1D_jS1E_S1E_jjS1G_bEUljE0_EEESZ_S10_S11_S18_S1C_S1E_T6_T7_T9_mT8_S1G_bDpT10_ENKUlT_T0_E_clISt17integral_constantIbLb0EES1U_EEDaS1P_S1Q_EUlS1P_E_NS1_11comp_targetILNS1_3genE8ELNS1_11target_archE1030ELNS1_3gpuE2ELNS1_3repE0EEENS1_30default_config_static_selectorELNS0_4arch9wavefront6targetE0EEEvS12_.has_indirect_call, 0
	.section	.AMDGPU.csdata,"",@progbits
; Kernel info:
; codeLenInByte = 16236
; TotalNumSgprs: 61
; NumVgprs: 82
; ScratchSize: 0
; MemoryBound: 0
; FloatMode: 240
; IeeeMode: 1
; LDSByteSize: 13328 bytes/workgroup (compile time only)
; SGPRBlocks: 0
; VGPRBlocks: 10
; NumSGPRsForWavesPerEU: 61
; NumVGPRsForWavesPerEU: 82
; Occupancy: 10
; WaveLimiterHint : 1
; COMPUTE_PGM_RSRC2:SCRATCH_EN: 0
; COMPUTE_PGM_RSRC2:USER_SGPR: 6
; COMPUTE_PGM_RSRC2:TRAP_HANDLER: 0
; COMPUTE_PGM_RSRC2:TGID_X_EN: 1
; COMPUTE_PGM_RSRC2:TGID_Y_EN: 0
; COMPUTE_PGM_RSRC2:TGID_Z_EN: 0
; COMPUTE_PGM_RSRC2:TIDIG_COMP_CNT: 0
	.section	.text._ZN7rocprim17ROCPRIM_400000_NS6detail17trampoline_kernelINS0_13select_configILj256ELj13ELNS0_17block_load_methodE3ELS4_3ELS4_3ELNS0_20block_scan_algorithmE0ELj4294967295EEENS1_25partition_config_selectorILNS1_17partition_subalgoE4EjNS0_10empty_typeEbEEZZNS1_14partition_implILS8_4ELb0ES6_15HIP_vector_typeIjLj2EENS0_17counting_iteratorIjlEEPS9_SG_NS0_5tupleIJPjSI_NS0_16reverse_iteratorISI_EEEEENSH_IJSG_SG_SG_EEES9_SI_JZNS1_25segmented_radix_sort_implINS0_14default_configELb1EPKaPaPKlPlN2at6native12_GLOBAL__N_18offset_tEEE10hipError_tPvRmT1_PNSt15iterator_traitsIS12_E10value_typeET2_T3_PNS13_IS18_E10value_typeET4_jRbjT5_S1E_jjP12ihipStream_tbEUljE_ZNSN_ISO_Lb1ESQ_SR_ST_SU_SY_EESZ_S10_S11_S12_S16_S17_S18_S1B_S1C_jS1D_jS1E_S1E_jjS1G_bEUljE0_EEESZ_S10_S11_S18_S1C_S1E_T6_T7_T9_mT8_S1G_bDpT10_ENKUlT_T0_E_clISt17integral_constantIbLb1EES1U_EEDaS1P_S1Q_EUlS1P_E_NS1_11comp_targetILNS1_3genE0ELNS1_11target_archE4294967295ELNS1_3gpuE0ELNS1_3repE0EEENS1_30default_config_static_selectorELNS0_4arch9wavefront6targetE0EEEvS12_,"axG",@progbits,_ZN7rocprim17ROCPRIM_400000_NS6detail17trampoline_kernelINS0_13select_configILj256ELj13ELNS0_17block_load_methodE3ELS4_3ELS4_3ELNS0_20block_scan_algorithmE0ELj4294967295EEENS1_25partition_config_selectorILNS1_17partition_subalgoE4EjNS0_10empty_typeEbEEZZNS1_14partition_implILS8_4ELb0ES6_15HIP_vector_typeIjLj2EENS0_17counting_iteratorIjlEEPS9_SG_NS0_5tupleIJPjSI_NS0_16reverse_iteratorISI_EEEEENSH_IJSG_SG_SG_EEES9_SI_JZNS1_25segmented_radix_sort_implINS0_14default_configELb1EPKaPaPKlPlN2at6native12_GLOBAL__N_18offset_tEEE10hipError_tPvRmT1_PNSt15iterator_traitsIS12_E10value_typeET2_T3_PNS13_IS18_E10value_typeET4_jRbjT5_S1E_jjP12ihipStream_tbEUljE_ZNSN_ISO_Lb1ESQ_SR_ST_SU_SY_EESZ_S10_S11_S12_S16_S17_S18_S1B_S1C_jS1D_jS1E_S1E_jjS1G_bEUljE0_EEESZ_S10_S11_S18_S1C_S1E_T6_T7_T9_mT8_S1G_bDpT10_ENKUlT_T0_E_clISt17integral_constantIbLb1EES1U_EEDaS1P_S1Q_EUlS1P_E_NS1_11comp_targetILNS1_3genE0ELNS1_11target_archE4294967295ELNS1_3gpuE0ELNS1_3repE0EEENS1_30default_config_static_selectorELNS0_4arch9wavefront6targetE0EEEvS12_,comdat
	.globl	_ZN7rocprim17ROCPRIM_400000_NS6detail17trampoline_kernelINS0_13select_configILj256ELj13ELNS0_17block_load_methodE3ELS4_3ELS4_3ELNS0_20block_scan_algorithmE0ELj4294967295EEENS1_25partition_config_selectorILNS1_17partition_subalgoE4EjNS0_10empty_typeEbEEZZNS1_14partition_implILS8_4ELb0ES6_15HIP_vector_typeIjLj2EENS0_17counting_iteratorIjlEEPS9_SG_NS0_5tupleIJPjSI_NS0_16reverse_iteratorISI_EEEEENSH_IJSG_SG_SG_EEES9_SI_JZNS1_25segmented_radix_sort_implINS0_14default_configELb1EPKaPaPKlPlN2at6native12_GLOBAL__N_18offset_tEEE10hipError_tPvRmT1_PNSt15iterator_traitsIS12_E10value_typeET2_T3_PNS13_IS18_E10value_typeET4_jRbjT5_S1E_jjP12ihipStream_tbEUljE_ZNSN_ISO_Lb1ESQ_SR_ST_SU_SY_EESZ_S10_S11_S12_S16_S17_S18_S1B_S1C_jS1D_jS1E_S1E_jjS1G_bEUljE0_EEESZ_S10_S11_S18_S1C_S1E_T6_T7_T9_mT8_S1G_bDpT10_ENKUlT_T0_E_clISt17integral_constantIbLb1EES1U_EEDaS1P_S1Q_EUlS1P_E_NS1_11comp_targetILNS1_3genE0ELNS1_11target_archE4294967295ELNS1_3gpuE0ELNS1_3repE0EEENS1_30default_config_static_selectorELNS0_4arch9wavefront6targetE0EEEvS12_ ; -- Begin function _ZN7rocprim17ROCPRIM_400000_NS6detail17trampoline_kernelINS0_13select_configILj256ELj13ELNS0_17block_load_methodE3ELS4_3ELS4_3ELNS0_20block_scan_algorithmE0ELj4294967295EEENS1_25partition_config_selectorILNS1_17partition_subalgoE4EjNS0_10empty_typeEbEEZZNS1_14partition_implILS8_4ELb0ES6_15HIP_vector_typeIjLj2EENS0_17counting_iteratorIjlEEPS9_SG_NS0_5tupleIJPjSI_NS0_16reverse_iteratorISI_EEEEENSH_IJSG_SG_SG_EEES9_SI_JZNS1_25segmented_radix_sort_implINS0_14default_configELb1EPKaPaPKlPlN2at6native12_GLOBAL__N_18offset_tEEE10hipError_tPvRmT1_PNSt15iterator_traitsIS12_E10value_typeET2_T3_PNS13_IS18_E10value_typeET4_jRbjT5_S1E_jjP12ihipStream_tbEUljE_ZNSN_ISO_Lb1ESQ_SR_ST_SU_SY_EESZ_S10_S11_S12_S16_S17_S18_S1B_S1C_jS1D_jS1E_S1E_jjS1G_bEUljE0_EEESZ_S10_S11_S18_S1C_S1E_T6_T7_T9_mT8_S1G_bDpT10_ENKUlT_T0_E_clISt17integral_constantIbLb1EES1U_EEDaS1P_S1Q_EUlS1P_E_NS1_11comp_targetILNS1_3genE0ELNS1_11target_archE4294967295ELNS1_3gpuE0ELNS1_3repE0EEENS1_30default_config_static_selectorELNS0_4arch9wavefront6targetE0EEEvS12_
	.p2align	8
	.type	_ZN7rocprim17ROCPRIM_400000_NS6detail17trampoline_kernelINS0_13select_configILj256ELj13ELNS0_17block_load_methodE3ELS4_3ELS4_3ELNS0_20block_scan_algorithmE0ELj4294967295EEENS1_25partition_config_selectorILNS1_17partition_subalgoE4EjNS0_10empty_typeEbEEZZNS1_14partition_implILS8_4ELb0ES6_15HIP_vector_typeIjLj2EENS0_17counting_iteratorIjlEEPS9_SG_NS0_5tupleIJPjSI_NS0_16reverse_iteratorISI_EEEEENSH_IJSG_SG_SG_EEES9_SI_JZNS1_25segmented_radix_sort_implINS0_14default_configELb1EPKaPaPKlPlN2at6native12_GLOBAL__N_18offset_tEEE10hipError_tPvRmT1_PNSt15iterator_traitsIS12_E10value_typeET2_T3_PNS13_IS18_E10value_typeET4_jRbjT5_S1E_jjP12ihipStream_tbEUljE_ZNSN_ISO_Lb1ESQ_SR_ST_SU_SY_EESZ_S10_S11_S12_S16_S17_S18_S1B_S1C_jS1D_jS1E_S1E_jjS1G_bEUljE0_EEESZ_S10_S11_S18_S1C_S1E_T6_T7_T9_mT8_S1G_bDpT10_ENKUlT_T0_E_clISt17integral_constantIbLb1EES1U_EEDaS1P_S1Q_EUlS1P_E_NS1_11comp_targetILNS1_3genE0ELNS1_11target_archE4294967295ELNS1_3gpuE0ELNS1_3repE0EEENS1_30default_config_static_selectorELNS0_4arch9wavefront6targetE0EEEvS12_,@function
_ZN7rocprim17ROCPRIM_400000_NS6detail17trampoline_kernelINS0_13select_configILj256ELj13ELNS0_17block_load_methodE3ELS4_3ELS4_3ELNS0_20block_scan_algorithmE0ELj4294967295EEENS1_25partition_config_selectorILNS1_17partition_subalgoE4EjNS0_10empty_typeEbEEZZNS1_14partition_implILS8_4ELb0ES6_15HIP_vector_typeIjLj2EENS0_17counting_iteratorIjlEEPS9_SG_NS0_5tupleIJPjSI_NS0_16reverse_iteratorISI_EEEEENSH_IJSG_SG_SG_EEES9_SI_JZNS1_25segmented_radix_sort_implINS0_14default_configELb1EPKaPaPKlPlN2at6native12_GLOBAL__N_18offset_tEEE10hipError_tPvRmT1_PNSt15iterator_traitsIS12_E10value_typeET2_T3_PNS13_IS18_E10value_typeET4_jRbjT5_S1E_jjP12ihipStream_tbEUljE_ZNSN_ISO_Lb1ESQ_SR_ST_SU_SY_EESZ_S10_S11_S12_S16_S17_S18_S1B_S1C_jS1D_jS1E_S1E_jjS1G_bEUljE0_EEESZ_S10_S11_S18_S1C_S1E_T6_T7_T9_mT8_S1G_bDpT10_ENKUlT_T0_E_clISt17integral_constantIbLb1EES1U_EEDaS1P_S1Q_EUlS1P_E_NS1_11comp_targetILNS1_3genE0ELNS1_11target_archE4294967295ELNS1_3gpuE0ELNS1_3repE0EEENS1_30default_config_static_selectorELNS0_4arch9wavefront6targetE0EEEvS12_: ; @_ZN7rocprim17ROCPRIM_400000_NS6detail17trampoline_kernelINS0_13select_configILj256ELj13ELNS0_17block_load_methodE3ELS4_3ELS4_3ELNS0_20block_scan_algorithmE0ELj4294967295EEENS1_25partition_config_selectorILNS1_17partition_subalgoE4EjNS0_10empty_typeEbEEZZNS1_14partition_implILS8_4ELb0ES6_15HIP_vector_typeIjLj2EENS0_17counting_iteratorIjlEEPS9_SG_NS0_5tupleIJPjSI_NS0_16reverse_iteratorISI_EEEEENSH_IJSG_SG_SG_EEES9_SI_JZNS1_25segmented_radix_sort_implINS0_14default_configELb1EPKaPaPKlPlN2at6native12_GLOBAL__N_18offset_tEEE10hipError_tPvRmT1_PNSt15iterator_traitsIS12_E10value_typeET2_T3_PNS13_IS18_E10value_typeET4_jRbjT5_S1E_jjP12ihipStream_tbEUljE_ZNSN_ISO_Lb1ESQ_SR_ST_SU_SY_EESZ_S10_S11_S12_S16_S17_S18_S1B_S1C_jS1D_jS1E_S1E_jjS1G_bEUljE0_EEESZ_S10_S11_S18_S1C_S1E_T6_T7_T9_mT8_S1G_bDpT10_ENKUlT_T0_E_clISt17integral_constantIbLb1EES1U_EEDaS1P_S1Q_EUlS1P_E_NS1_11comp_targetILNS1_3genE0ELNS1_11target_archE4294967295ELNS1_3gpuE0ELNS1_3repE0EEENS1_30default_config_static_selectorELNS0_4arch9wavefront6targetE0EEEvS12_
; %bb.0:
	.section	.rodata,"a",@progbits
	.p2align	6, 0x0
	.amdhsa_kernel _ZN7rocprim17ROCPRIM_400000_NS6detail17trampoline_kernelINS0_13select_configILj256ELj13ELNS0_17block_load_methodE3ELS4_3ELS4_3ELNS0_20block_scan_algorithmE0ELj4294967295EEENS1_25partition_config_selectorILNS1_17partition_subalgoE4EjNS0_10empty_typeEbEEZZNS1_14partition_implILS8_4ELb0ES6_15HIP_vector_typeIjLj2EENS0_17counting_iteratorIjlEEPS9_SG_NS0_5tupleIJPjSI_NS0_16reverse_iteratorISI_EEEEENSH_IJSG_SG_SG_EEES9_SI_JZNS1_25segmented_radix_sort_implINS0_14default_configELb1EPKaPaPKlPlN2at6native12_GLOBAL__N_18offset_tEEE10hipError_tPvRmT1_PNSt15iterator_traitsIS12_E10value_typeET2_T3_PNS13_IS18_E10value_typeET4_jRbjT5_S1E_jjP12ihipStream_tbEUljE_ZNSN_ISO_Lb1ESQ_SR_ST_SU_SY_EESZ_S10_S11_S12_S16_S17_S18_S1B_S1C_jS1D_jS1E_S1E_jjS1G_bEUljE0_EEESZ_S10_S11_S18_S1C_S1E_T6_T7_T9_mT8_S1G_bDpT10_ENKUlT_T0_E_clISt17integral_constantIbLb1EES1U_EEDaS1P_S1Q_EUlS1P_E_NS1_11comp_targetILNS1_3genE0ELNS1_11target_archE4294967295ELNS1_3gpuE0ELNS1_3repE0EEENS1_30default_config_static_selectorELNS0_4arch9wavefront6targetE0EEEvS12_
		.amdhsa_group_segment_fixed_size 0
		.amdhsa_private_segment_fixed_size 0
		.amdhsa_kernarg_size 184
		.amdhsa_user_sgpr_count 6
		.amdhsa_user_sgpr_private_segment_buffer 1
		.amdhsa_user_sgpr_dispatch_ptr 0
		.amdhsa_user_sgpr_queue_ptr 0
		.amdhsa_user_sgpr_kernarg_segment_ptr 1
		.amdhsa_user_sgpr_dispatch_id 0
		.amdhsa_user_sgpr_flat_scratch_init 0
		.amdhsa_user_sgpr_private_segment_size 0
		.amdhsa_wavefront_size32 1
		.amdhsa_uses_dynamic_stack 0
		.amdhsa_system_sgpr_private_segment_wavefront_offset 0
		.amdhsa_system_sgpr_workgroup_id_x 1
		.amdhsa_system_sgpr_workgroup_id_y 0
		.amdhsa_system_sgpr_workgroup_id_z 0
		.amdhsa_system_sgpr_workgroup_info 0
		.amdhsa_system_vgpr_workitem_id 0
		.amdhsa_next_free_vgpr 1
		.amdhsa_next_free_sgpr 1
		.amdhsa_reserve_vcc 0
		.amdhsa_reserve_flat_scratch 0
		.amdhsa_float_round_mode_32 0
		.amdhsa_float_round_mode_16_64 0
		.amdhsa_float_denorm_mode_32 3
		.amdhsa_float_denorm_mode_16_64 3
		.amdhsa_dx10_clamp 1
		.amdhsa_ieee_mode 1
		.amdhsa_fp16_overflow 0
		.amdhsa_workgroup_processor_mode 1
		.amdhsa_memory_ordered 1
		.amdhsa_forward_progress 1
		.amdhsa_shared_vgpr_count 0
		.amdhsa_exception_fp_ieee_invalid_op 0
		.amdhsa_exception_fp_denorm_src 0
		.amdhsa_exception_fp_ieee_div_zero 0
		.amdhsa_exception_fp_ieee_overflow 0
		.amdhsa_exception_fp_ieee_underflow 0
		.amdhsa_exception_fp_ieee_inexact 0
		.amdhsa_exception_int_div_zero 0
	.end_amdhsa_kernel
	.section	.text._ZN7rocprim17ROCPRIM_400000_NS6detail17trampoline_kernelINS0_13select_configILj256ELj13ELNS0_17block_load_methodE3ELS4_3ELS4_3ELNS0_20block_scan_algorithmE0ELj4294967295EEENS1_25partition_config_selectorILNS1_17partition_subalgoE4EjNS0_10empty_typeEbEEZZNS1_14partition_implILS8_4ELb0ES6_15HIP_vector_typeIjLj2EENS0_17counting_iteratorIjlEEPS9_SG_NS0_5tupleIJPjSI_NS0_16reverse_iteratorISI_EEEEENSH_IJSG_SG_SG_EEES9_SI_JZNS1_25segmented_radix_sort_implINS0_14default_configELb1EPKaPaPKlPlN2at6native12_GLOBAL__N_18offset_tEEE10hipError_tPvRmT1_PNSt15iterator_traitsIS12_E10value_typeET2_T3_PNS13_IS18_E10value_typeET4_jRbjT5_S1E_jjP12ihipStream_tbEUljE_ZNSN_ISO_Lb1ESQ_SR_ST_SU_SY_EESZ_S10_S11_S12_S16_S17_S18_S1B_S1C_jS1D_jS1E_S1E_jjS1G_bEUljE0_EEESZ_S10_S11_S18_S1C_S1E_T6_T7_T9_mT8_S1G_bDpT10_ENKUlT_T0_E_clISt17integral_constantIbLb1EES1U_EEDaS1P_S1Q_EUlS1P_E_NS1_11comp_targetILNS1_3genE0ELNS1_11target_archE4294967295ELNS1_3gpuE0ELNS1_3repE0EEENS1_30default_config_static_selectorELNS0_4arch9wavefront6targetE0EEEvS12_,"axG",@progbits,_ZN7rocprim17ROCPRIM_400000_NS6detail17trampoline_kernelINS0_13select_configILj256ELj13ELNS0_17block_load_methodE3ELS4_3ELS4_3ELNS0_20block_scan_algorithmE0ELj4294967295EEENS1_25partition_config_selectorILNS1_17partition_subalgoE4EjNS0_10empty_typeEbEEZZNS1_14partition_implILS8_4ELb0ES6_15HIP_vector_typeIjLj2EENS0_17counting_iteratorIjlEEPS9_SG_NS0_5tupleIJPjSI_NS0_16reverse_iteratorISI_EEEEENSH_IJSG_SG_SG_EEES9_SI_JZNS1_25segmented_radix_sort_implINS0_14default_configELb1EPKaPaPKlPlN2at6native12_GLOBAL__N_18offset_tEEE10hipError_tPvRmT1_PNSt15iterator_traitsIS12_E10value_typeET2_T3_PNS13_IS18_E10value_typeET4_jRbjT5_S1E_jjP12ihipStream_tbEUljE_ZNSN_ISO_Lb1ESQ_SR_ST_SU_SY_EESZ_S10_S11_S12_S16_S17_S18_S1B_S1C_jS1D_jS1E_S1E_jjS1G_bEUljE0_EEESZ_S10_S11_S18_S1C_S1E_T6_T7_T9_mT8_S1G_bDpT10_ENKUlT_T0_E_clISt17integral_constantIbLb1EES1U_EEDaS1P_S1Q_EUlS1P_E_NS1_11comp_targetILNS1_3genE0ELNS1_11target_archE4294967295ELNS1_3gpuE0ELNS1_3repE0EEENS1_30default_config_static_selectorELNS0_4arch9wavefront6targetE0EEEvS12_,comdat
.Lfunc_end232:
	.size	_ZN7rocprim17ROCPRIM_400000_NS6detail17trampoline_kernelINS0_13select_configILj256ELj13ELNS0_17block_load_methodE3ELS4_3ELS4_3ELNS0_20block_scan_algorithmE0ELj4294967295EEENS1_25partition_config_selectorILNS1_17partition_subalgoE4EjNS0_10empty_typeEbEEZZNS1_14partition_implILS8_4ELb0ES6_15HIP_vector_typeIjLj2EENS0_17counting_iteratorIjlEEPS9_SG_NS0_5tupleIJPjSI_NS0_16reverse_iteratorISI_EEEEENSH_IJSG_SG_SG_EEES9_SI_JZNS1_25segmented_radix_sort_implINS0_14default_configELb1EPKaPaPKlPlN2at6native12_GLOBAL__N_18offset_tEEE10hipError_tPvRmT1_PNSt15iterator_traitsIS12_E10value_typeET2_T3_PNS13_IS18_E10value_typeET4_jRbjT5_S1E_jjP12ihipStream_tbEUljE_ZNSN_ISO_Lb1ESQ_SR_ST_SU_SY_EESZ_S10_S11_S12_S16_S17_S18_S1B_S1C_jS1D_jS1E_S1E_jjS1G_bEUljE0_EEESZ_S10_S11_S18_S1C_S1E_T6_T7_T9_mT8_S1G_bDpT10_ENKUlT_T0_E_clISt17integral_constantIbLb1EES1U_EEDaS1P_S1Q_EUlS1P_E_NS1_11comp_targetILNS1_3genE0ELNS1_11target_archE4294967295ELNS1_3gpuE0ELNS1_3repE0EEENS1_30default_config_static_selectorELNS0_4arch9wavefront6targetE0EEEvS12_, .Lfunc_end232-_ZN7rocprim17ROCPRIM_400000_NS6detail17trampoline_kernelINS0_13select_configILj256ELj13ELNS0_17block_load_methodE3ELS4_3ELS4_3ELNS0_20block_scan_algorithmE0ELj4294967295EEENS1_25partition_config_selectorILNS1_17partition_subalgoE4EjNS0_10empty_typeEbEEZZNS1_14partition_implILS8_4ELb0ES6_15HIP_vector_typeIjLj2EENS0_17counting_iteratorIjlEEPS9_SG_NS0_5tupleIJPjSI_NS0_16reverse_iteratorISI_EEEEENSH_IJSG_SG_SG_EEES9_SI_JZNS1_25segmented_radix_sort_implINS0_14default_configELb1EPKaPaPKlPlN2at6native12_GLOBAL__N_18offset_tEEE10hipError_tPvRmT1_PNSt15iterator_traitsIS12_E10value_typeET2_T3_PNS13_IS18_E10value_typeET4_jRbjT5_S1E_jjP12ihipStream_tbEUljE_ZNSN_ISO_Lb1ESQ_SR_ST_SU_SY_EESZ_S10_S11_S12_S16_S17_S18_S1B_S1C_jS1D_jS1E_S1E_jjS1G_bEUljE0_EEESZ_S10_S11_S18_S1C_S1E_T6_T7_T9_mT8_S1G_bDpT10_ENKUlT_T0_E_clISt17integral_constantIbLb1EES1U_EEDaS1P_S1Q_EUlS1P_E_NS1_11comp_targetILNS1_3genE0ELNS1_11target_archE4294967295ELNS1_3gpuE0ELNS1_3repE0EEENS1_30default_config_static_selectorELNS0_4arch9wavefront6targetE0EEEvS12_
                                        ; -- End function
	.set _ZN7rocprim17ROCPRIM_400000_NS6detail17trampoline_kernelINS0_13select_configILj256ELj13ELNS0_17block_load_methodE3ELS4_3ELS4_3ELNS0_20block_scan_algorithmE0ELj4294967295EEENS1_25partition_config_selectorILNS1_17partition_subalgoE4EjNS0_10empty_typeEbEEZZNS1_14partition_implILS8_4ELb0ES6_15HIP_vector_typeIjLj2EENS0_17counting_iteratorIjlEEPS9_SG_NS0_5tupleIJPjSI_NS0_16reverse_iteratorISI_EEEEENSH_IJSG_SG_SG_EEES9_SI_JZNS1_25segmented_radix_sort_implINS0_14default_configELb1EPKaPaPKlPlN2at6native12_GLOBAL__N_18offset_tEEE10hipError_tPvRmT1_PNSt15iterator_traitsIS12_E10value_typeET2_T3_PNS13_IS18_E10value_typeET4_jRbjT5_S1E_jjP12ihipStream_tbEUljE_ZNSN_ISO_Lb1ESQ_SR_ST_SU_SY_EESZ_S10_S11_S12_S16_S17_S18_S1B_S1C_jS1D_jS1E_S1E_jjS1G_bEUljE0_EEESZ_S10_S11_S18_S1C_S1E_T6_T7_T9_mT8_S1G_bDpT10_ENKUlT_T0_E_clISt17integral_constantIbLb1EES1U_EEDaS1P_S1Q_EUlS1P_E_NS1_11comp_targetILNS1_3genE0ELNS1_11target_archE4294967295ELNS1_3gpuE0ELNS1_3repE0EEENS1_30default_config_static_selectorELNS0_4arch9wavefront6targetE0EEEvS12_.num_vgpr, 0
	.set _ZN7rocprim17ROCPRIM_400000_NS6detail17trampoline_kernelINS0_13select_configILj256ELj13ELNS0_17block_load_methodE3ELS4_3ELS4_3ELNS0_20block_scan_algorithmE0ELj4294967295EEENS1_25partition_config_selectorILNS1_17partition_subalgoE4EjNS0_10empty_typeEbEEZZNS1_14partition_implILS8_4ELb0ES6_15HIP_vector_typeIjLj2EENS0_17counting_iteratorIjlEEPS9_SG_NS0_5tupleIJPjSI_NS0_16reverse_iteratorISI_EEEEENSH_IJSG_SG_SG_EEES9_SI_JZNS1_25segmented_radix_sort_implINS0_14default_configELb1EPKaPaPKlPlN2at6native12_GLOBAL__N_18offset_tEEE10hipError_tPvRmT1_PNSt15iterator_traitsIS12_E10value_typeET2_T3_PNS13_IS18_E10value_typeET4_jRbjT5_S1E_jjP12ihipStream_tbEUljE_ZNSN_ISO_Lb1ESQ_SR_ST_SU_SY_EESZ_S10_S11_S12_S16_S17_S18_S1B_S1C_jS1D_jS1E_S1E_jjS1G_bEUljE0_EEESZ_S10_S11_S18_S1C_S1E_T6_T7_T9_mT8_S1G_bDpT10_ENKUlT_T0_E_clISt17integral_constantIbLb1EES1U_EEDaS1P_S1Q_EUlS1P_E_NS1_11comp_targetILNS1_3genE0ELNS1_11target_archE4294967295ELNS1_3gpuE0ELNS1_3repE0EEENS1_30default_config_static_selectorELNS0_4arch9wavefront6targetE0EEEvS12_.num_agpr, 0
	.set _ZN7rocprim17ROCPRIM_400000_NS6detail17trampoline_kernelINS0_13select_configILj256ELj13ELNS0_17block_load_methodE3ELS4_3ELS4_3ELNS0_20block_scan_algorithmE0ELj4294967295EEENS1_25partition_config_selectorILNS1_17partition_subalgoE4EjNS0_10empty_typeEbEEZZNS1_14partition_implILS8_4ELb0ES6_15HIP_vector_typeIjLj2EENS0_17counting_iteratorIjlEEPS9_SG_NS0_5tupleIJPjSI_NS0_16reverse_iteratorISI_EEEEENSH_IJSG_SG_SG_EEES9_SI_JZNS1_25segmented_radix_sort_implINS0_14default_configELb1EPKaPaPKlPlN2at6native12_GLOBAL__N_18offset_tEEE10hipError_tPvRmT1_PNSt15iterator_traitsIS12_E10value_typeET2_T3_PNS13_IS18_E10value_typeET4_jRbjT5_S1E_jjP12ihipStream_tbEUljE_ZNSN_ISO_Lb1ESQ_SR_ST_SU_SY_EESZ_S10_S11_S12_S16_S17_S18_S1B_S1C_jS1D_jS1E_S1E_jjS1G_bEUljE0_EEESZ_S10_S11_S18_S1C_S1E_T6_T7_T9_mT8_S1G_bDpT10_ENKUlT_T0_E_clISt17integral_constantIbLb1EES1U_EEDaS1P_S1Q_EUlS1P_E_NS1_11comp_targetILNS1_3genE0ELNS1_11target_archE4294967295ELNS1_3gpuE0ELNS1_3repE0EEENS1_30default_config_static_selectorELNS0_4arch9wavefront6targetE0EEEvS12_.numbered_sgpr, 0
	.set _ZN7rocprim17ROCPRIM_400000_NS6detail17trampoline_kernelINS0_13select_configILj256ELj13ELNS0_17block_load_methodE3ELS4_3ELS4_3ELNS0_20block_scan_algorithmE0ELj4294967295EEENS1_25partition_config_selectorILNS1_17partition_subalgoE4EjNS0_10empty_typeEbEEZZNS1_14partition_implILS8_4ELb0ES6_15HIP_vector_typeIjLj2EENS0_17counting_iteratorIjlEEPS9_SG_NS0_5tupleIJPjSI_NS0_16reverse_iteratorISI_EEEEENSH_IJSG_SG_SG_EEES9_SI_JZNS1_25segmented_radix_sort_implINS0_14default_configELb1EPKaPaPKlPlN2at6native12_GLOBAL__N_18offset_tEEE10hipError_tPvRmT1_PNSt15iterator_traitsIS12_E10value_typeET2_T3_PNS13_IS18_E10value_typeET4_jRbjT5_S1E_jjP12ihipStream_tbEUljE_ZNSN_ISO_Lb1ESQ_SR_ST_SU_SY_EESZ_S10_S11_S12_S16_S17_S18_S1B_S1C_jS1D_jS1E_S1E_jjS1G_bEUljE0_EEESZ_S10_S11_S18_S1C_S1E_T6_T7_T9_mT8_S1G_bDpT10_ENKUlT_T0_E_clISt17integral_constantIbLb1EES1U_EEDaS1P_S1Q_EUlS1P_E_NS1_11comp_targetILNS1_3genE0ELNS1_11target_archE4294967295ELNS1_3gpuE0ELNS1_3repE0EEENS1_30default_config_static_selectorELNS0_4arch9wavefront6targetE0EEEvS12_.num_named_barrier, 0
	.set _ZN7rocprim17ROCPRIM_400000_NS6detail17trampoline_kernelINS0_13select_configILj256ELj13ELNS0_17block_load_methodE3ELS4_3ELS4_3ELNS0_20block_scan_algorithmE0ELj4294967295EEENS1_25partition_config_selectorILNS1_17partition_subalgoE4EjNS0_10empty_typeEbEEZZNS1_14partition_implILS8_4ELb0ES6_15HIP_vector_typeIjLj2EENS0_17counting_iteratorIjlEEPS9_SG_NS0_5tupleIJPjSI_NS0_16reverse_iteratorISI_EEEEENSH_IJSG_SG_SG_EEES9_SI_JZNS1_25segmented_radix_sort_implINS0_14default_configELb1EPKaPaPKlPlN2at6native12_GLOBAL__N_18offset_tEEE10hipError_tPvRmT1_PNSt15iterator_traitsIS12_E10value_typeET2_T3_PNS13_IS18_E10value_typeET4_jRbjT5_S1E_jjP12ihipStream_tbEUljE_ZNSN_ISO_Lb1ESQ_SR_ST_SU_SY_EESZ_S10_S11_S12_S16_S17_S18_S1B_S1C_jS1D_jS1E_S1E_jjS1G_bEUljE0_EEESZ_S10_S11_S18_S1C_S1E_T6_T7_T9_mT8_S1G_bDpT10_ENKUlT_T0_E_clISt17integral_constantIbLb1EES1U_EEDaS1P_S1Q_EUlS1P_E_NS1_11comp_targetILNS1_3genE0ELNS1_11target_archE4294967295ELNS1_3gpuE0ELNS1_3repE0EEENS1_30default_config_static_selectorELNS0_4arch9wavefront6targetE0EEEvS12_.private_seg_size, 0
	.set _ZN7rocprim17ROCPRIM_400000_NS6detail17trampoline_kernelINS0_13select_configILj256ELj13ELNS0_17block_load_methodE3ELS4_3ELS4_3ELNS0_20block_scan_algorithmE0ELj4294967295EEENS1_25partition_config_selectorILNS1_17partition_subalgoE4EjNS0_10empty_typeEbEEZZNS1_14partition_implILS8_4ELb0ES6_15HIP_vector_typeIjLj2EENS0_17counting_iteratorIjlEEPS9_SG_NS0_5tupleIJPjSI_NS0_16reverse_iteratorISI_EEEEENSH_IJSG_SG_SG_EEES9_SI_JZNS1_25segmented_radix_sort_implINS0_14default_configELb1EPKaPaPKlPlN2at6native12_GLOBAL__N_18offset_tEEE10hipError_tPvRmT1_PNSt15iterator_traitsIS12_E10value_typeET2_T3_PNS13_IS18_E10value_typeET4_jRbjT5_S1E_jjP12ihipStream_tbEUljE_ZNSN_ISO_Lb1ESQ_SR_ST_SU_SY_EESZ_S10_S11_S12_S16_S17_S18_S1B_S1C_jS1D_jS1E_S1E_jjS1G_bEUljE0_EEESZ_S10_S11_S18_S1C_S1E_T6_T7_T9_mT8_S1G_bDpT10_ENKUlT_T0_E_clISt17integral_constantIbLb1EES1U_EEDaS1P_S1Q_EUlS1P_E_NS1_11comp_targetILNS1_3genE0ELNS1_11target_archE4294967295ELNS1_3gpuE0ELNS1_3repE0EEENS1_30default_config_static_selectorELNS0_4arch9wavefront6targetE0EEEvS12_.uses_vcc, 0
	.set _ZN7rocprim17ROCPRIM_400000_NS6detail17trampoline_kernelINS0_13select_configILj256ELj13ELNS0_17block_load_methodE3ELS4_3ELS4_3ELNS0_20block_scan_algorithmE0ELj4294967295EEENS1_25partition_config_selectorILNS1_17partition_subalgoE4EjNS0_10empty_typeEbEEZZNS1_14partition_implILS8_4ELb0ES6_15HIP_vector_typeIjLj2EENS0_17counting_iteratorIjlEEPS9_SG_NS0_5tupleIJPjSI_NS0_16reverse_iteratorISI_EEEEENSH_IJSG_SG_SG_EEES9_SI_JZNS1_25segmented_radix_sort_implINS0_14default_configELb1EPKaPaPKlPlN2at6native12_GLOBAL__N_18offset_tEEE10hipError_tPvRmT1_PNSt15iterator_traitsIS12_E10value_typeET2_T3_PNS13_IS18_E10value_typeET4_jRbjT5_S1E_jjP12ihipStream_tbEUljE_ZNSN_ISO_Lb1ESQ_SR_ST_SU_SY_EESZ_S10_S11_S12_S16_S17_S18_S1B_S1C_jS1D_jS1E_S1E_jjS1G_bEUljE0_EEESZ_S10_S11_S18_S1C_S1E_T6_T7_T9_mT8_S1G_bDpT10_ENKUlT_T0_E_clISt17integral_constantIbLb1EES1U_EEDaS1P_S1Q_EUlS1P_E_NS1_11comp_targetILNS1_3genE0ELNS1_11target_archE4294967295ELNS1_3gpuE0ELNS1_3repE0EEENS1_30default_config_static_selectorELNS0_4arch9wavefront6targetE0EEEvS12_.uses_flat_scratch, 0
	.set _ZN7rocprim17ROCPRIM_400000_NS6detail17trampoline_kernelINS0_13select_configILj256ELj13ELNS0_17block_load_methodE3ELS4_3ELS4_3ELNS0_20block_scan_algorithmE0ELj4294967295EEENS1_25partition_config_selectorILNS1_17partition_subalgoE4EjNS0_10empty_typeEbEEZZNS1_14partition_implILS8_4ELb0ES6_15HIP_vector_typeIjLj2EENS0_17counting_iteratorIjlEEPS9_SG_NS0_5tupleIJPjSI_NS0_16reverse_iteratorISI_EEEEENSH_IJSG_SG_SG_EEES9_SI_JZNS1_25segmented_radix_sort_implINS0_14default_configELb1EPKaPaPKlPlN2at6native12_GLOBAL__N_18offset_tEEE10hipError_tPvRmT1_PNSt15iterator_traitsIS12_E10value_typeET2_T3_PNS13_IS18_E10value_typeET4_jRbjT5_S1E_jjP12ihipStream_tbEUljE_ZNSN_ISO_Lb1ESQ_SR_ST_SU_SY_EESZ_S10_S11_S12_S16_S17_S18_S1B_S1C_jS1D_jS1E_S1E_jjS1G_bEUljE0_EEESZ_S10_S11_S18_S1C_S1E_T6_T7_T9_mT8_S1G_bDpT10_ENKUlT_T0_E_clISt17integral_constantIbLb1EES1U_EEDaS1P_S1Q_EUlS1P_E_NS1_11comp_targetILNS1_3genE0ELNS1_11target_archE4294967295ELNS1_3gpuE0ELNS1_3repE0EEENS1_30default_config_static_selectorELNS0_4arch9wavefront6targetE0EEEvS12_.has_dyn_sized_stack, 0
	.set _ZN7rocprim17ROCPRIM_400000_NS6detail17trampoline_kernelINS0_13select_configILj256ELj13ELNS0_17block_load_methodE3ELS4_3ELS4_3ELNS0_20block_scan_algorithmE0ELj4294967295EEENS1_25partition_config_selectorILNS1_17partition_subalgoE4EjNS0_10empty_typeEbEEZZNS1_14partition_implILS8_4ELb0ES6_15HIP_vector_typeIjLj2EENS0_17counting_iteratorIjlEEPS9_SG_NS0_5tupleIJPjSI_NS0_16reverse_iteratorISI_EEEEENSH_IJSG_SG_SG_EEES9_SI_JZNS1_25segmented_radix_sort_implINS0_14default_configELb1EPKaPaPKlPlN2at6native12_GLOBAL__N_18offset_tEEE10hipError_tPvRmT1_PNSt15iterator_traitsIS12_E10value_typeET2_T3_PNS13_IS18_E10value_typeET4_jRbjT5_S1E_jjP12ihipStream_tbEUljE_ZNSN_ISO_Lb1ESQ_SR_ST_SU_SY_EESZ_S10_S11_S12_S16_S17_S18_S1B_S1C_jS1D_jS1E_S1E_jjS1G_bEUljE0_EEESZ_S10_S11_S18_S1C_S1E_T6_T7_T9_mT8_S1G_bDpT10_ENKUlT_T0_E_clISt17integral_constantIbLb1EES1U_EEDaS1P_S1Q_EUlS1P_E_NS1_11comp_targetILNS1_3genE0ELNS1_11target_archE4294967295ELNS1_3gpuE0ELNS1_3repE0EEENS1_30default_config_static_selectorELNS0_4arch9wavefront6targetE0EEEvS12_.has_recursion, 0
	.set _ZN7rocprim17ROCPRIM_400000_NS6detail17trampoline_kernelINS0_13select_configILj256ELj13ELNS0_17block_load_methodE3ELS4_3ELS4_3ELNS0_20block_scan_algorithmE0ELj4294967295EEENS1_25partition_config_selectorILNS1_17partition_subalgoE4EjNS0_10empty_typeEbEEZZNS1_14partition_implILS8_4ELb0ES6_15HIP_vector_typeIjLj2EENS0_17counting_iteratorIjlEEPS9_SG_NS0_5tupleIJPjSI_NS0_16reverse_iteratorISI_EEEEENSH_IJSG_SG_SG_EEES9_SI_JZNS1_25segmented_radix_sort_implINS0_14default_configELb1EPKaPaPKlPlN2at6native12_GLOBAL__N_18offset_tEEE10hipError_tPvRmT1_PNSt15iterator_traitsIS12_E10value_typeET2_T3_PNS13_IS18_E10value_typeET4_jRbjT5_S1E_jjP12ihipStream_tbEUljE_ZNSN_ISO_Lb1ESQ_SR_ST_SU_SY_EESZ_S10_S11_S12_S16_S17_S18_S1B_S1C_jS1D_jS1E_S1E_jjS1G_bEUljE0_EEESZ_S10_S11_S18_S1C_S1E_T6_T7_T9_mT8_S1G_bDpT10_ENKUlT_T0_E_clISt17integral_constantIbLb1EES1U_EEDaS1P_S1Q_EUlS1P_E_NS1_11comp_targetILNS1_3genE0ELNS1_11target_archE4294967295ELNS1_3gpuE0ELNS1_3repE0EEENS1_30default_config_static_selectorELNS0_4arch9wavefront6targetE0EEEvS12_.has_indirect_call, 0
	.section	.AMDGPU.csdata,"",@progbits
; Kernel info:
; codeLenInByte = 0
; TotalNumSgprs: 0
; NumVgprs: 0
; ScratchSize: 0
; MemoryBound: 0
; FloatMode: 240
; IeeeMode: 1
; LDSByteSize: 0 bytes/workgroup (compile time only)
; SGPRBlocks: 0
; VGPRBlocks: 0
; NumSGPRsForWavesPerEU: 1
; NumVGPRsForWavesPerEU: 1
; Occupancy: 16
; WaveLimiterHint : 0
; COMPUTE_PGM_RSRC2:SCRATCH_EN: 0
; COMPUTE_PGM_RSRC2:USER_SGPR: 6
; COMPUTE_PGM_RSRC2:TRAP_HANDLER: 0
; COMPUTE_PGM_RSRC2:TGID_X_EN: 1
; COMPUTE_PGM_RSRC2:TGID_Y_EN: 0
; COMPUTE_PGM_RSRC2:TGID_Z_EN: 0
; COMPUTE_PGM_RSRC2:TIDIG_COMP_CNT: 0
	.section	.text._ZN7rocprim17ROCPRIM_400000_NS6detail17trampoline_kernelINS0_13select_configILj256ELj13ELNS0_17block_load_methodE3ELS4_3ELS4_3ELNS0_20block_scan_algorithmE0ELj4294967295EEENS1_25partition_config_selectorILNS1_17partition_subalgoE4EjNS0_10empty_typeEbEEZZNS1_14partition_implILS8_4ELb0ES6_15HIP_vector_typeIjLj2EENS0_17counting_iteratorIjlEEPS9_SG_NS0_5tupleIJPjSI_NS0_16reverse_iteratorISI_EEEEENSH_IJSG_SG_SG_EEES9_SI_JZNS1_25segmented_radix_sort_implINS0_14default_configELb1EPKaPaPKlPlN2at6native12_GLOBAL__N_18offset_tEEE10hipError_tPvRmT1_PNSt15iterator_traitsIS12_E10value_typeET2_T3_PNS13_IS18_E10value_typeET4_jRbjT5_S1E_jjP12ihipStream_tbEUljE_ZNSN_ISO_Lb1ESQ_SR_ST_SU_SY_EESZ_S10_S11_S12_S16_S17_S18_S1B_S1C_jS1D_jS1E_S1E_jjS1G_bEUljE0_EEESZ_S10_S11_S18_S1C_S1E_T6_T7_T9_mT8_S1G_bDpT10_ENKUlT_T0_E_clISt17integral_constantIbLb1EES1U_EEDaS1P_S1Q_EUlS1P_E_NS1_11comp_targetILNS1_3genE5ELNS1_11target_archE942ELNS1_3gpuE9ELNS1_3repE0EEENS1_30default_config_static_selectorELNS0_4arch9wavefront6targetE0EEEvS12_,"axG",@progbits,_ZN7rocprim17ROCPRIM_400000_NS6detail17trampoline_kernelINS0_13select_configILj256ELj13ELNS0_17block_load_methodE3ELS4_3ELS4_3ELNS0_20block_scan_algorithmE0ELj4294967295EEENS1_25partition_config_selectorILNS1_17partition_subalgoE4EjNS0_10empty_typeEbEEZZNS1_14partition_implILS8_4ELb0ES6_15HIP_vector_typeIjLj2EENS0_17counting_iteratorIjlEEPS9_SG_NS0_5tupleIJPjSI_NS0_16reverse_iteratorISI_EEEEENSH_IJSG_SG_SG_EEES9_SI_JZNS1_25segmented_radix_sort_implINS0_14default_configELb1EPKaPaPKlPlN2at6native12_GLOBAL__N_18offset_tEEE10hipError_tPvRmT1_PNSt15iterator_traitsIS12_E10value_typeET2_T3_PNS13_IS18_E10value_typeET4_jRbjT5_S1E_jjP12ihipStream_tbEUljE_ZNSN_ISO_Lb1ESQ_SR_ST_SU_SY_EESZ_S10_S11_S12_S16_S17_S18_S1B_S1C_jS1D_jS1E_S1E_jjS1G_bEUljE0_EEESZ_S10_S11_S18_S1C_S1E_T6_T7_T9_mT8_S1G_bDpT10_ENKUlT_T0_E_clISt17integral_constantIbLb1EES1U_EEDaS1P_S1Q_EUlS1P_E_NS1_11comp_targetILNS1_3genE5ELNS1_11target_archE942ELNS1_3gpuE9ELNS1_3repE0EEENS1_30default_config_static_selectorELNS0_4arch9wavefront6targetE0EEEvS12_,comdat
	.globl	_ZN7rocprim17ROCPRIM_400000_NS6detail17trampoline_kernelINS0_13select_configILj256ELj13ELNS0_17block_load_methodE3ELS4_3ELS4_3ELNS0_20block_scan_algorithmE0ELj4294967295EEENS1_25partition_config_selectorILNS1_17partition_subalgoE4EjNS0_10empty_typeEbEEZZNS1_14partition_implILS8_4ELb0ES6_15HIP_vector_typeIjLj2EENS0_17counting_iteratorIjlEEPS9_SG_NS0_5tupleIJPjSI_NS0_16reverse_iteratorISI_EEEEENSH_IJSG_SG_SG_EEES9_SI_JZNS1_25segmented_radix_sort_implINS0_14default_configELb1EPKaPaPKlPlN2at6native12_GLOBAL__N_18offset_tEEE10hipError_tPvRmT1_PNSt15iterator_traitsIS12_E10value_typeET2_T3_PNS13_IS18_E10value_typeET4_jRbjT5_S1E_jjP12ihipStream_tbEUljE_ZNSN_ISO_Lb1ESQ_SR_ST_SU_SY_EESZ_S10_S11_S12_S16_S17_S18_S1B_S1C_jS1D_jS1E_S1E_jjS1G_bEUljE0_EEESZ_S10_S11_S18_S1C_S1E_T6_T7_T9_mT8_S1G_bDpT10_ENKUlT_T0_E_clISt17integral_constantIbLb1EES1U_EEDaS1P_S1Q_EUlS1P_E_NS1_11comp_targetILNS1_3genE5ELNS1_11target_archE942ELNS1_3gpuE9ELNS1_3repE0EEENS1_30default_config_static_selectorELNS0_4arch9wavefront6targetE0EEEvS12_ ; -- Begin function _ZN7rocprim17ROCPRIM_400000_NS6detail17trampoline_kernelINS0_13select_configILj256ELj13ELNS0_17block_load_methodE3ELS4_3ELS4_3ELNS0_20block_scan_algorithmE0ELj4294967295EEENS1_25partition_config_selectorILNS1_17partition_subalgoE4EjNS0_10empty_typeEbEEZZNS1_14partition_implILS8_4ELb0ES6_15HIP_vector_typeIjLj2EENS0_17counting_iteratorIjlEEPS9_SG_NS0_5tupleIJPjSI_NS0_16reverse_iteratorISI_EEEEENSH_IJSG_SG_SG_EEES9_SI_JZNS1_25segmented_radix_sort_implINS0_14default_configELb1EPKaPaPKlPlN2at6native12_GLOBAL__N_18offset_tEEE10hipError_tPvRmT1_PNSt15iterator_traitsIS12_E10value_typeET2_T3_PNS13_IS18_E10value_typeET4_jRbjT5_S1E_jjP12ihipStream_tbEUljE_ZNSN_ISO_Lb1ESQ_SR_ST_SU_SY_EESZ_S10_S11_S12_S16_S17_S18_S1B_S1C_jS1D_jS1E_S1E_jjS1G_bEUljE0_EEESZ_S10_S11_S18_S1C_S1E_T6_T7_T9_mT8_S1G_bDpT10_ENKUlT_T0_E_clISt17integral_constantIbLb1EES1U_EEDaS1P_S1Q_EUlS1P_E_NS1_11comp_targetILNS1_3genE5ELNS1_11target_archE942ELNS1_3gpuE9ELNS1_3repE0EEENS1_30default_config_static_selectorELNS0_4arch9wavefront6targetE0EEEvS12_
	.p2align	8
	.type	_ZN7rocprim17ROCPRIM_400000_NS6detail17trampoline_kernelINS0_13select_configILj256ELj13ELNS0_17block_load_methodE3ELS4_3ELS4_3ELNS0_20block_scan_algorithmE0ELj4294967295EEENS1_25partition_config_selectorILNS1_17partition_subalgoE4EjNS0_10empty_typeEbEEZZNS1_14partition_implILS8_4ELb0ES6_15HIP_vector_typeIjLj2EENS0_17counting_iteratorIjlEEPS9_SG_NS0_5tupleIJPjSI_NS0_16reverse_iteratorISI_EEEEENSH_IJSG_SG_SG_EEES9_SI_JZNS1_25segmented_radix_sort_implINS0_14default_configELb1EPKaPaPKlPlN2at6native12_GLOBAL__N_18offset_tEEE10hipError_tPvRmT1_PNSt15iterator_traitsIS12_E10value_typeET2_T3_PNS13_IS18_E10value_typeET4_jRbjT5_S1E_jjP12ihipStream_tbEUljE_ZNSN_ISO_Lb1ESQ_SR_ST_SU_SY_EESZ_S10_S11_S12_S16_S17_S18_S1B_S1C_jS1D_jS1E_S1E_jjS1G_bEUljE0_EEESZ_S10_S11_S18_S1C_S1E_T6_T7_T9_mT8_S1G_bDpT10_ENKUlT_T0_E_clISt17integral_constantIbLb1EES1U_EEDaS1P_S1Q_EUlS1P_E_NS1_11comp_targetILNS1_3genE5ELNS1_11target_archE942ELNS1_3gpuE9ELNS1_3repE0EEENS1_30default_config_static_selectorELNS0_4arch9wavefront6targetE0EEEvS12_,@function
_ZN7rocprim17ROCPRIM_400000_NS6detail17trampoline_kernelINS0_13select_configILj256ELj13ELNS0_17block_load_methodE3ELS4_3ELS4_3ELNS0_20block_scan_algorithmE0ELj4294967295EEENS1_25partition_config_selectorILNS1_17partition_subalgoE4EjNS0_10empty_typeEbEEZZNS1_14partition_implILS8_4ELb0ES6_15HIP_vector_typeIjLj2EENS0_17counting_iteratorIjlEEPS9_SG_NS0_5tupleIJPjSI_NS0_16reverse_iteratorISI_EEEEENSH_IJSG_SG_SG_EEES9_SI_JZNS1_25segmented_radix_sort_implINS0_14default_configELb1EPKaPaPKlPlN2at6native12_GLOBAL__N_18offset_tEEE10hipError_tPvRmT1_PNSt15iterator_traitsIS12_E10value_typeET2_T3_PNS13_IS18_E10value_typeET4_jRbjT5_S1E_jjP12ihipStream_tbEUljE_ZNSN_ISO_Lb1ESQ_SR_ST_SU_SY_EESZ_S10_S11_S12_S16_S17_S18_S1B_S1C_jS1D_jS1E_S1E_jjS1G_bEUljE0_EEESZ_S10_S11_S18_S1C_S1E_T6_T7_T9_mT8_S1G_bDpT10_ENKUlT_T0_E_clISt17integral_constantIbLb1EES1U_EEDaS1P_S1Q_EUlS1P_E_NS1_11comp_targetILNS1_3genE5ELNS1_11target_archE942ELNS1_3gpuE9ELNS1_3repE0EEENS1_30default_config_static_selectorELNS0_4arch9wavefront6targetE0EEEvS12_: ; @_ZN7rocprim17ROCPRIM_400000_NS6detail17trampoline_kernelINS0_13select_configILj256ELj13ELNS0_17block_load_methodE3ELS4_3ELS4_3ELNS0_20block_scan_algorithmE0ELj4294967295EEENS1_25partition_config_selectorILNS1_17partition_subalgoE4EjNS0_10empty_typeEbEEZZNS1_14partition_implILS8_4ELb0ES6_15HIP_vector_typeIjLj2EENS0_17counting_iteratorIjlEEPS9_SG_NS0_5tupleIJPjSI_NS0_16reverse_iteratorISI_EEEEENSH_IJSG_SG_SG_EEES9_SI_JZNS1_25segmented_radix_sort_implINS0_14default_configELb1EPKaPaPKlPlN2at6native12_GLOBAL__N_18offset_tEEE10hipError_tPvRmT1_PNSt15iterator_traitsIS12_E10value_typeET2_T3_PNS13_IS18_E10value_typeET4_jRbjT5_S1E_jjP12ihipStream_tbEUljE_ZNSN_ISO_Lb1ESQ_SR_ST_SU_SY_EESZ_S10_S11_S12_S16_S17_S18_S1B_S1C_jS1D_jS1E_S1E_jjS1G_bEUljE0_EEESZ_S10_S11_S18_S1C_S1E_T6_T7_T9_mT8_S1G_bDpT10_ENKUlT_T0_E_clISt17integral_constantIbLb1EES1U_EEDaS1P_S1Q_EUlS1P_E_NS1_11comp_targetILNS1_3genE5ELNS1_11target_archE942ELNS1_3gpuE9ELNS1_3repE0EEENS1_30default_config_static_selectorELNS0_4arch9wavefront6targetE0EEEvS12_
; %bb.0:
	.section	.rodata,"a",@progbits
	.p2align	6, 0x0
	.amdhsa_kernel _ZN7rocprim17ROCPRIM_400000_NS6detail17trampoline_kernelINS0_13select_configILj256ELj13ELNS0_17block_load_methodE3ELS4_3ELS4_3ELNS0_20block_scan_algorithmE0ELj4294967295EEENS1_25partition_config_selectorILNS1_17partition_subalgoE4EjNS0_10empty_typeEbEEZZNS1_14partition_implILS8_4ELb0ES6_15HIP_vector_typeIjLj2EENS0_17counting_iteratorIjlEEPS9_SG_NS0_5tupleIJPjSI_NS0_16reverse_iteratorISI_EEEEENSH_IJSG_SG_SG_EEES9_SI_JZNS1_25segmented_radix_sort_implINS0_14default_configELb1EPKaPaPKlPlN2at6native12_GLOBAL__N_18offset_tEEE10hipError_tPvRmT1_PNSt15iterator_traitsIS12_E10value_typeET2_T3_PNS13_IS18_E10value_typeET4_jRbjT5_S1E_jjP12ihipStream_tbEUljE_ZNSN_ISO_Lb1ESQ_SR_ST_SU_SY_EESZ_S10_S11_S12_S16_S17_S18_S1B_S1C_jS1D_jS1E_S1E_jjS1G_bEUljE0_EEESZ_S10_S11_S18_S1C_S1E_T6_T7_T9_mT8_S1G_bDpT10_ENKUlT_T0_E_clISt17integral_constantIbLb1EES1U_EEDaS1P_S1Q_EUlS1P_E_NS1_11comp_targetILNS1_3genE5ELNS1_11target_archE942ELNS1_3gpuE9ELNS1_3repE0EEENS1_30default_config_static_selectorELNS0_4arch9wavefront6targetE0EEEvS12_
		.amdhsa_group_segment_fixed_size 0
		.amdhsa_private_segment_fixed_size 0
		.amdhsa_kernarg_size 184
		.amdhsa_user_sgpr_count 6
		.amdhsa_user_sgpr_private_segment_buffer 1
		.amdhsa_user_sgpr_dispatch_ptr 0
		.amdhsa_user_sgpr_queue_ptr 0
		.amdhsa_user_sgpr_kernarg_segment_ptr 1
		.amdhsa_user_sgpr_dispatch_id 0
		.amdhsa_user_sgpr_flat_scratch_init 0
		.amdhsa_user_sgpr_private_segment_size 0
		.amdhsa_wavefront_size32 1
		.amdhsa_uses_dynamic_stack 0
		.amdhsa_system_sgpr_private_segment_wavefront_offset 0
		.amdhsa_system_sgpr_workgroup_id_x 1
		.amdhsa_system_sgpr_workgroup_id_y 0
		.amdhsa_system_sgpr_workgroup_id_z 0
		.amdhsa_system_sgpr_workgroup_info 0
		.amdhsa_system_vgpr_workitem_id 0
		.amdhsa_next_free_vgpr 1
		.amdhsa_next_free_sgpr 1
		.amdhsa_reserve_vcc 0
		.amdhsa_reserve_flat_scratch 0
		.amdhsa_float_round_mode_32 0
		.amdhsa_float_round_mode_16_64 0
		.amdhsa_float_denorm_mode_32 3
		.amdhsa_float_denorm_mode_16_64 3
		.amdhsa_dx10_clamp 1
		.amdhsa_ieee_mode 1
		.amdhsa_fp16_overflow 0
		.amdhsa_workgroup_processor_mode 1
		.amdhsa_memory_ordered 1
		.amdhsa_forward_progress 1
		.amdhsa_shared_vgpr_count 0
		.amdhsa_exception_fp_ieee_invalid_op 0
		.amdhsa_exception_fp_denorm_src 0
		.amdhsa_exception_fp_ieee_div_zero 0
		.amdhsa_exception_fp_ieee_overflow 0
		.amdhsa_exception_fp_ieee_underflow 0
		.amdhsa_exception_fp_ieee_inexact 0
		.amdhsa_exception_int_div_zero 0
	.end_amdhsa_kernel
	.section	.text._ZN7rocprim17ROCPRIM_400000_NS6detail17trampoline_kernelINS0_13select_configILj256ELj13ELNS0_17block_load_methodE3ELS4_3ELS4_3ELNS0_20block_scan_algorithmE0ELj4294967295EEENS1_25partition_config_selectorILNS1_17partition_subalgoE4EjNS0_10empty_typeEbEEZZNS1_14partition_implILS8_4ELb0ES6_15HIP_vector_typeIjLj2EENS0_17counting_iteratorIjlEEPS9_SG_NS0_5tupleIJPjSI_NS0_16reverse_iteratorISI_EEEEENSH_IJSG_SG_SG_EEES9_SI_JZNS1_25segmented_radix_sort_implINS0_14default_configELb1EPKaPaPKlPlN2at6native12_GLOBAL__N_18offset_tEEE10hipError_tPvRmT1_PNSt15iterator_traitsIS12_E10value_typeET2_T3_PNS13_IS18_E10value_typeET4_jRbjT5_S1E_jjP12ihipStream_tbEUljE_ZNSN_ISO_Lb1ESQ_SR_ST_SU_SY_EESZ_S10_S11_S12_S16_S17_S18_S1B_S1C_jS1D_jS1E_S1E_jjS1G_bEUljE0_EEESZ_S10_S11_S18_S1C_S1E_T6_T7_T9_mT8_S1G_bDpT10_ENKUlT_T0_E_clISt17integral_constantIbLb1EES1U_EEDaS1P_S1Q_EUlS1P_E_NS1_11comp_targetILNS1_3genE5ELNS1_11target_archE942ELNS1_3gpuE9ELNS1_3repE0EEENS1_30default_config_static_selectorELNS0_4arch9wavefront6targetE0EEEvS12_,"axG",@progbits,_ZN7rocprim17ROCPRIM_400000_NS6detail17trampoline_kernelINS0_13select_configILj256ELj13ELNS0_17block_load_methodE3ELS4_3ELS4_3ELNS0_20block_scan_algorithmE0ELj4294967295EEENS1_25partition_config_selectorILNS1_17partition_subalgoE4EjNS0_10empty_typeEbEEZZNS1_14partition_implILS8_4ELb0ES6_15HIP_vector_typeIjLj2EENS0_17counting_iteratorIjlEEPS9_SG_NS0_5tupleIJPjSI_NS0_16reverse_iteratorISI_EEEEENSH_IJSG_SG_SG_EEES9_SI_JZNS1_25segmented_radix_sort_implINS0_14default_configELb1EPKaPaPKlPlN2at6native12_GLOBAL__N_18offset_tEEE10hipError_tPvRmT1_PNSt15iterator_traitsIS12_E10value_typeET2_T3_PNS13_IS18_E10value_typeET4_jRbjT5_S1E_jjP12ihipStream_tbEUljE_ZNSN_ISO_Lb1ESQ_SR_ST_SU_SY_EESZ_S10_S11_S12_S16_S17_S18_S1B_S1C_jS1D_jS1E_S1E_jjS1G_bEUljE0_EEESZ_S10_S11_S18_S1C_S1E_T6_T7_T9_mT8_S1G_bDpT10_ENKUlT_T0_E_clISt17integral_constantIbLb1EES1U_EEDaS1P_S1Q_EUlS1P_E_NS1_11comp_targetILNS1_3genE5ELNS1_11target_archE942ELNS1_3gpuE9ELNS1_3repE0EEENS1_30default_config_static_selectorELNS0_4arch9wavefront6targetE0EEEvS12_,comdat
.Lfunc_end233:
	.size	_ZN7rocprim17ROCPRIM_400000_NS6detail17trampoline_kernelINS0_13select_configILj256ELj13ELNS0_17block_load_methodE3ELS4_3ELS4_3ELNS0_20block_scan_algorithmE0ELj4294967295EEENS1_25partition_config_selectorILNS1_17partition_subalgoE4EjNS0_10empty_typeEbEEZZNS1_14partition_implILS8_4ELb0ES6_15HIP_vector_typeIjLj2EENS0_17counting_iteratorIjlEEPS9_SG_NS0_5tupleIJPjSI_NS0_16reverse_iteratorISI_EEEEENSH_IJSG_SG_SG_EEES9_SI_JZNS1_25segmented_radix_sort_implINS0_14default_configELb1EPKaPaPKlPlN2at6native12_GLOBAL__N_18offset_tEEE10hipError_tPvRmT1_PNSt15iterator_traitsIS12_E10value_typeET2_T3_PNS13_IS18_E10value_typeET4_jRbjT5_S1E_jjP12ihipStream_tbEUljE_ZNSN_ISO_Lb1ESQ_SR_ST_SU_SY_EESZ_S10_S11_S12_S16_S17_S18_S1B_S1C_jS1D_jS1E_S1E_jjS1G_bEUljE0_EEESZ_S10_S11_S18_S1C_S1E_T6_T7_T9_mT8_S1G_bDpT10_ENKUlT_T0_E_clISt17integral_constantIbLb1EES1U_EEDaS1P_S1Q_EUlS1P_E_NS1_11comp_targetILNS1_3genE5ELNS1_11target_archE942ELNS1_3gpuE9ELNS1_3repE0EEENS1_30default_config_static_selectorELNS0_4arch9wavefront6targetE0EEEvS12_, .Lfunc_end233-_ZN7rocprim17ROCPRIM_400000_NS6detail17trampoline_kernelINS0_13select_configILj256ELj13ELNS0_17block_load_methodE3ELS4_3ELS4_3ELNS0_20block_scan_algorithmE0ELj4294967295EEENS1_25partition_config_selectorILNS1_17partition_subalgoE4EjNS0_10empty_typeEbEEZZNS1_14partition_implILS8_4ELb0ES6_15HIP_vector_typeIjLj2EENS0_17counting_iteratorIjlEEPS9_SG_NS0_5tupleIJPjSI_NS0_16reverse_iteratorISI_EEEEENSH_IJSG_SG_SG_EEES9_SI_JZNS1_25segmented_radix_sort_implINS0_14default_configELb1EPKaPaPKlPlN2at6native12_GLOBAL__N_18offset_tEEE10hipError_tPvRmT1_PNSt15iterator_traitsIS12_E10value_typeET2_T3_PNS13_IS18_E10value_typeET4_jRbjT5_S1E_jjP12ihipStream_tbEUljE_ZNSN_ISO_Lb1ESQ_SR_ST_SU_SY_EESZ_S10_S11_S12_S16_S17_S18_S1B_S1C_jS1D_jS1E_S1E_jjS1G_bEUljE0_EEESZ_S10_S11_S18_S1C_S1E_T6_T7_T9_mT8_S1G_bDpT10_ENKUlT_T0_E_clISt17integral_constantIbLb1EES1U_EEDaS1P_S1Q_EUlS1P_E_NS1_11comp_targetILNS1_3genE5ELNS1_11target_archE942ELNS1_3gpuE9ELNS1_3repE0EEENS1_30default_config_static_selectorELNS0_4arch9wavefront6targetE0EEEvS12_
                                        ; -- End function
	.set _ZN7rocprim17ROCPRIM_400000_NS6detail17trampoline_kernelINS0_13select_configILj256ELj13ELNS0_17block_load_methodE3ELS4_3ELS4_3ELNS0_20block_scan_algorithmE0ELj4294967295EEENS1_25partition_config_selectorILNS1_17partition_subalgoE4EjNS0_10empty_typeEbEEZZNS1_14partition_implILS8_4ELb0ES6_15HIP_vector_typeIjLj2EENS0_17counting_iteratorIjlEEPS9_SG_NS0_5tupleIJPjSI_NS0_16reverse_iteratorISI_EEEEENSH_IJSG_SG_SG_EEES9_SI_JZNS1_25segmented_radix_sort_implINS0_14default_configELb1EPKaPaPKlPlN2at6native12_GLOBAL__N_18offset_tEEE10hipError_tPvRmT1_PNSt15iterator_traitsIS12_E10value_typeET2_T3_PNS13_IS18_E10value_typeET4_jRbjT5_S1E_jjP12ihipStream_tbEUljE_ZNSN_ISO_Lb1ESQ_SR_ST_SU_SY_EESZ_S10_S11_S12_S16_S17_S18_S1B_S1C_jS1D_jS1E_S1E_jjS1G_bEUljE0_EEESZ_S10_S11_S18_S1C_S1E_T6_T7_T9_mT8_S1G_bDpT10_ENKUlT_T0_E_clISt17integral_constantIbLb1EES1U_EEDaS1P_S1Q_EUlS1P_E_NS1_11comp_targetILNS1_3genE5ELNS1_11target_archE942ELNS1_3gpuE9ELNS1_3repE0EEENS1_30default_config_static_selectorELNS0_4arch9wavefront6targetE0EEEvS12_.num_vgpr, 0
	.set _ZN7rocprim17ROCPRIM_400000_NS6detail17trampoline_kernelINS0_13select_configILj256ELj13ELNS0_17block_load_methodE3ELS4_3ELS4_3ELNS0_20block_scan_algorithmE0ELj4294967295EEENS1_25partition_config_selectorILNS1_17partition_subalgoE4EjNS0_10empty_typeEbEEZZNS1_14partition_implILS8_4ELb0ES6_15HIP_vector_typeIjLj2EENS0_17counting_iteratorIjlEEPS9_SG_NS0_5tupleIJPjSI_NS0_16reverse_iteratorISI_EEEEENSH_IJSG_SG_SG_EEES9_SI_JZNS1_25segmented_radix_sort_implINS0_14default_configELb1EPKaPaPKlPlN2at6native12_GLOBAL__N_18offset_tEEE10hipError_tPvRmT1_PNSt15iterator_traitsIS12_E10value_typeET2_T3_PNS13_IS18_E10value_typeET4_jRbjT5_S1E_jjP12ihipStream_tbEUljE_ZNSN_ISO_Lb1ESQ_SR_ST_SU_SY_EESZ_S10_S11_S12_S16_S17_S18_S1B_S1C_jS1D_jS1E_S1E_jjS1G_bEUljE0_EEESZ_S10_S11_S18_S1C_S1E_T6_T7_T9_mT8_S1G_bDpT10_ENKUlT_T0_E_clISt17integral_constantIbLb1EES1U_EEDaS1P_S1Q_EUlS1P_E_NS1_11comp_targetILNS1_3genE5ELNS1_11target_archE942ELNS1_3gpuE9ELNS1_3repE0EEENS1_30default_config_static_selectorELNS0_4arch9wavefront6targetE0EEEvS12_.num_agpr, 0
	.set _ZN7rocprim17ROCPRIM_400000_NS6detail17trampoline_kernelINS0_13select_configILj256ELj13ELNS0_17block_load_methodE3ELS4_3ELS4_3ELNS0_20block_scan_algorithmE0ELj4294967295EEENS1_25partition_config_selectorILNS1_17partition_subalgoE4EjNS0_10empty_typeEbEEZZNS1_14partition_implILS8_4ELb0ES6_15HIP_vector_typeIjLj2EENS0_17counting_iteratorIjlEEPS9_SG_NS0_5tupleIJPjSI_NS0_16reverse_iteratorISI_EEEEENSH_IJSG_SG_SG_EEES9_SI_JZNS1_25segmented_radix_sort_implINS0_14default_configELb1EPKaPaPKlPlN2at6native12_GLOBAL__N_18offset_tEEE10hipError_tPvRmT1_PNSt15iterator_traitsIS12_E10value_typeET2_T3_PNS13_IS18_E10value_typeET4_jRbjT5_S1E_jjP12ihipStream_tbEUljE_ZNSN_ISO_Lb1ESQ_SR_ST_SU_SY_EESZ_S10_S11_S12_S16_S17_S18_S1B_S1C_jS1D_jS1E_S1E_jjS1G_bEUljE0_EEESZ_S10_S11_S18_S1C_S1E_T6_T7_T9_mT8_S1G_bDpT10_ENKUlT_T0_E_clISt17integral_constantIbLb1EES1U_EEDaS1P_S1Q_EUlS1P_E_NS1_11comp_targetILNS1_3genE5ELNS1_11target_archE942ELNS1_3gpuE9ELNS1_3repE0EEENS1_30default_config_static_selectorELNS0_4arch9wavefront6targetE0EEEvS12_.numbered_sgpr, 0
	.set _ZN7rocprim17ROCPRIM_400000_NS6detail17trampoline_kernelINS0_13select_configILj256ELj13ELNS0_17block_load_methodE3ELS4_3ELS4_3ELNS0_20block_scan_algorithmE0ELj4294967295EEENS1_25partition_config_selectorILNS1_17partition_subalgoE4EjNS0_10empty_typeEbEEZZNS1_14partition_implILS8_4ELb0ES6_15HIP_vector_typeIjLj2EENS0_17counting_iteratorIjlEEPS9_SG_NS0_5tupleIJPjSI_NS0_16reverse_iteratorISI_EEEEENSH_IJSG_SG_SG_EEES9_SI_JZNS1_25segmented_radix_sort_implINS0_14default_configELb1EPKaPaPKlPlN2at6native12_GLOBAL__N_18offset_tEEE10hipError_tPvRmT1_PNSt15iterator_traitsIS12_E10value_typeET2_T3_PNS13_IS18_E10value_typeET4_jRbjT5_S1E_jjP12ihipStream_tbEUljE_ZNSN_ISO_Lb1ESQ_SR_ST_SU_SY_EESZ_S10_S11_S12_S16_S17_S18_S1B_S1C_jS1D_jS1E_S1E_jjS1G_bEUljE0_EEESZ_S10_S11_S18_S1C_S1E_T6_T7_T9_mT8_S1G_bDpT10_ENKUlT_T0_E_clISt17integral_constantIbLb1EES1U_EEDaS1P_S1Q_EUlS1P_E_NS1_11comp_targetILNS1_3genE5ELNS1_11target_archE942ELNS1_3gpuE9ELNS1_3repE0EEENS1_30default_config_static_selectorELNS0_4arch9wavefront6targetE0EEEvS12_.num_named_barrier, 0
	.set _ZN7rocprim17ROCPRIM_400000_NS6detail17trampoline_kernelINS0_13select_configILj256ELj13ELNS0_17block_load_methodE3ELS4_3ELS4_3ELNS0_20block_scan_algorithmE0ELj4294967295EEENS1_25partition_config_selectorILNS1_17partition_subalgoE4EjNS0_10empty_typeEbEEZZNS1_14partition_implILS8_4ELb0ES6_15HIP_vector_typeIjLj2EENS0_17counting_iteratorIjlEEPS9_SG_NS0_5tupleIJPjSI_NS0_16reverse_iteratorISI_EEEEENSH_IJSG_SG_SG_EEES9_SI_JZNS1_25segmented_radix_sort_implINS0_14default_configELb1EPKaPaPKlPlN2at6native12_GLOBAL__N_18offset_tEEE10hipError_tPvRmT1_PNSt15iterator_traitsIS12_E10value_typeET2_T3_PNS13_IS18_E10value_typeET4_jRbjT5_S1E_jjP12ihipStream_tbEUljE_ZNSN_ISO_Lb1ESQ_SR_ST_SU_SY_EESZ_S10_S11_S12_S16_S17_S18_S1B_S1C_jS1D_jS1E_S1E_jjS1G_bEUljE0_EEESZ_S10_S11_S18_S1C_S1E_T6_T7_T9_mT8_S1G_bDpT10_ENKUlT_T0_E_clISt17integral_constantIbLb1EES1U_EEDaS1P_S1Q_EUlS1P_E_NS1_11comp_targetILNS1_3genE5ELNS1_11target_archE942ELNS1_3gpuE9ELNS1_3repE0EEENS1_30default_config_static_selectorELNS0_4arch9wavefront6targetE0EEEvS12_.private_seg_size, 0
	.set _ZN7rocprim17ROCPRIM_400000_NS6detail17trampoline_kernelINS0_13select_configILj256ELj13ELNS0_17block_load_methodE3ELS4_3ELS4_3ELNS0_20block_scan_algorithmE0ELj4294967295EEENS1_25partition_config_selectorILNS1_17partition_subalgoE4EjNS0_10empty_typeEbEEZZNS1_14partition_implILS8_4ELb0ES6_15HIP_vector_typeIjLj2EENS0_17counting_iteratorIjlEEPS9_SG_NS0_5tupleIJPjSI_NS0_16reverse_iteratorISI_EEEEENSH_IJSG_SG_SG_EEES9_SI_JZNS1_25segmented_radix_sort_implINS0_14default_configELb1EPKaPaPKlPlN2at6native12_GLOBAL__N_18offset_tEEE10hipError_tPvRmT1_PNSt15iterator_traitsIS12_E10value_typeET2_T3_PNS13_IS18_E10value_typeET4_jRbjT5_S1E_jjP12ihipStream_tbEUljE_ZNSN_ISO_Lb1ESQ_SR_ST_SU_SY_EESZ_S10_S11_S12_S16_S17_S18_S1B_S1C_jS1D_jS1E_S1E_jjS1G_bEUljE0_EEESZ_S10_S11_S18_S1C_S1E_T6_T7_T9_mT8_S1G_bDpT10_ENKUlT_T0_E_clISt17integral_constantIbLb1EES1U_EEDaS1P_S1Q_EUlS1P_E_NS1_11comp_targetILNS1_3genE5ELNS1_11target_archE942ELNS1_3gpuE9ELNS1_3repE0EEENS1_30default_config_static_selectorELNS0_4arch9wavefront6targetE0EEEvS12_.uses_vcc, 0
	.set _ZN7rocprim17ROCPRIM_400000_NS6detail17trampoline_kernelINS0_13select_configILj256ELj13ELNS0_17block_load_methodE3ELS4_3ELS4_3ELNS0_20block_scan_algorithmE0ELj4294967295EEENS1_25partition_config_selectorILNS1_17partition_subalgoE4EjNS0_10empty_typeEbEEZZNS1_14partition_implILS8_4ELb0ES6_15HIP_vector_typeIjLj2EENS0_17counting_iteratorIjlEEPS9_SG_NS0_5tupleIJPjSI_NS0_16reverse_iteratorISI_EEEEENSH_IJSG_SG_SG_EEES9_SI_JZNS1_25segmented_radix_sort_implINS0_14default_configELb1EPKaPaPKlPlN2at6native12_GLOBAL__N_18offset_tEEE10hipError_tPvRmT1_PNSt15iterator_traitsIS12_E10value_typeET2_T3_PNS13_IS18_E10value_typeET4_jRbjT5_S1E_jjP12ihipStream_tbEUljE_ZNSN_ISO_Lb1ESQ_SR_ST_SU_SY_EESZ_S10_S11_S12_S16_S17_S18_S1B_S1C_jS1D_jS1E_S1E_jjS1G_bEUljE0_EEESZ_S10_S11_S18_S1C_S1E_T6_T7_T9_mT8_S1G_bDpT10_ENKUlT_T0_E_clISt17integral_constantIbLb1EES1U_EEDaS1P_S1Q_EUlS1P_E_NS1_11comp_targetILNS1_3genE5ELNS1_11target_archE942ELNS1_3gpuE9ELNS1_3repE0EEENS1_30default_config_static_selectorELNS0_4arch9wavefront6targetE0EEEvS12_.uses_flat_scratch, 0
	.set _ZN7rocprim17ROCPRIM_400000_NS6detail17trampoline_kernelINS0_13select_configILj256ELj13ELNS0_17block_load_methodE3ELS4_3ELS4_3ELNS0_20block_scan_algorithmE0ELj4294967295EEENS1_25partition_config_selectorILNS1_17partition_subalgoE4EjNS0_10empty_typeEbEEZZNS1_14partition_implILS8_4ELb0ES6_15HIP_vector_typeIjLj2EENS0_17counting_iteratorIjlEEPS9_SG_NS0_5tupleIJPjSI_NS0_16reverse_iteratorISI_EEEEENSH_IJSG_SG_SG_EEES9_SI_JZNS1_25segmented_radix_sort_implINS0_14default_configELb1EPKaPaPKlPlN2at6native12_GLOBAL__N_18offset_tEEE10hipError_tPvRmT1_PNSt15iterator_traitsIS12_E10value_typeET2_T3_PNS13_IS18_E10value_typeET4_jRbjT5_S1E_jjP12ihipStream_tbEUljE_ZNSN_ISO_Lb1ESQ_SR_ST_SU_SY_EESZ_S10_S11_S12_S16_S17_S18_S1B_S1C_jS1D_jS1E_S1E_jjS1G_bEUljE0_EEESZ_S10_S11_S18_S1C_S1E_T6_T7_T9_mT8_S1G_bDpT10_ENKUlT_T0_E_clISt17integral_constantIbLb1EES1U_EEDaS1P_S1Q_EUlS1P_E_NS1_11comp_targetILNS1_3genE5ELNS1_11target_archE942ELNS1_3gpuE9ELNS1_3repE0EEENS1_30default_config_static_selectorELNS0_4arch9wavefront6targetE0EEEvS12_.has_dyn_sized_stack, 0
	.set _ZN7rocprim17ROCPRIM_400000_NS6detail17trampoline_kernelINS0_13select_configILj256ELj13ELNS0_17block_load_methodE3ELS4_3ELS4_3ELNS0_20block_scan_algorithmE0ELj4294967295EEENS1_25partition_config_selectorILNS1_17partition_subalgoE4EjNS0_10empty_typeEbEEZZNS1_14partition_implILS8_4ELb0ES6_15HIP_vector_typeIjLj2EENS0_17counting_iteratorIjlEEPS9_SG_NS0_5tupleIJPjSI_NS0_16reverse_iteratorISI_EEEEENSH_IJSG_SG_SG_EEES9_SI_JZNS1_25segmented_radix_sort_implINS0_14default_configELb1EPKaPaPKlPlN2at6native12_GLOBAL__N_18offset_tEEE10hipError_tPvRmT1_PNSt15iterator_traitsIS12_E10value_typeET2_T3_PNS13_IS18_E10value_typeET4_jRbjT5_S1E_jjP12ihipStream_tbEUljE_ZNSN_ISO_Lb1ESQ_SR_ST_SU_SY_EESZ_S10_S11_S12_S16_S17_S18_S1B_S1C_jS1D_jS1E_S1E_jjS1G_bEUljE0_EEESZ_S10_S11_S18_S1C_S1E_T6_T7_T9_mT8_S1G_bDpT10_ENKUlT_T0_E_clISt17integral_constantIbLb1EES1U_EEDaS1P_S1Q_EUlS1P_E_NS1_11comp_targetILNS1_3genE5ELNS1_11target_archE942ELNS1_3gpuE9ELNS1_3repE0EEENS1_30default_config_static_selectorELNS0_4arch9wavefront6targetE0EEEvS12_.has_recursion, 0
	.set _ZN7rocprim17ROCPRIM_400000_NS6detail17trampoline_kernelINS0_13select_configILj256ELj13ELNS0_17block_load_methodE3ELS4_3ELS4_3ELNS0_20block_scan_algorithmE0ELj4294967295EEENS1_25partition_config_selectorILNS1_17partition_subalgoE4EjNS0_10empty_typeEbEEZZNS1_14partition_implILS8_4ELb0ES6_15HIP_vector_typeIjLj2EENS0_17counting_iteratorIjlEEPS9_SG_NS0_5tupleIJPjSI_NS0_16reverse_iteratorISI_EEEEENSH_IJSG_SG_SG_EEES9_SI_JZNS1_25segmented_radix_sort_implINS0_14default_configELb1EPKaPaPKlPlN2at6native12_GLOBAL__N_18offset_tEEE10hipError_tPvRmT1_PNSt15iterator_traitsIS12_E10value_typeET2_T3_PNS13_IS18_E10value_typeET4_jRbjT5_S1E_jjP12ihipStream_tbEUljE_ZNSN_ISO_Lb1ESQ_SR_ST_SU_SY_EESZ_S10_S11_S12_S16_S17_S18_S1B_S1C_jS1D_jS1E_S1E_jjS1G_bEUljE0_EEESZ_S10_S11_S18_S1C_S1E_T6_T7_T9_mT8_S1G_bDpT10_ENKUlT_T0_E_clISt17integral_constantIbLb1EES1U_EEDaS1P_S1Q_EUlS1P_E_NS1_11comp_targetILNS1_3genE5ELNS1_11target_archE942ELNS1_3gpuE9ELNS1_3repE0EEENS1_30default_config_static_selectorELNS0_4arch9wavefront6targetE0EEEvS12_.has_indirect_call, 0
	.section	.AMDGPU.csdata,"",@progbits
; Kernel info:
; codeLenInByte = 0
; TotalNumSgprs: 0
; NumVgprs: 0
; ScratchSize: 0
; MemoryBound: 0
; FloatMode: 240
; IeeeMode: 1
; LDSByteSize: 0 bytes/workgroup (compile time only)
; SGPRBlocks: 0
; VGPRBlocks: 0
; NumSGPRsForWavesPerEU: 1
; NumVGPRsForWavesPerEU: 1
; Occupancy: 16
; WaveLimiterHint : 0
; COMPUTE_PGM_RSRC2:SCRATCH_EN: 0
; COMPUTE_PGM_RSRC2:USER_SGPR: 6
; COMPUTE_PGM_RSRC2:TRAP_HANDLER: 0
; COMPUTE_PGM_RSRC2:TGID_X_EN: 1
; COMPUTE_PGM_RSRC2:TGID_Y_EN: 0
; COMPUTE_PGM_RSRC2:TGID_Z_EN: 0
; COMPUTE_PGM_RSRC2:TIDIG_COMP_CNT: 0
	.section	.text._ZN7rocprim17ROCPRIM_400000_NS6detail17trampoline_kernelINS0_13select_configILj256ELj13ELNS0_17block_load_methodE3ELS4_3ELS4_3ELNS0_20block_scan_algorithmE0ELj4294967295EEENS1_25partition_config_selectorILNS1_17partition_subalgoE4EjNS0_10empty_typeEbEEZZNS1_14partition_implILS8_4ELb0ES6_15HIP_vector_typeIjLj2EENS0_17counting_iteratorIjlEEPS9_SG_NS0_5tupleIJPjSI_NS0_16reverse_iteratorISI_EEEEENSH_IJSG_SG_SG_EEES9_SI_JZNS1_25segmented_radix_sort_implINS0_14default_configELb1EPKaPaPKlPlN2at6native12_GLOBAL__N_18offset_tEEE10hipError_tPvRmT1_PNSt15iterator_traitsIS12_E10value_typeET2_T3_PNS13_IS18_E10value_typeET4_jRbjT5_S1E_jjP12ihipStream_tbEUljE_ZNSN_ISO_Lb1ESQ_SR_ST_SU_SY_EESZ_S10_S11_S12_S16_S17_S18_S1B_S1C_jS1D_jS1E_S1E_jjS1G_bEUljE0_EEESZ_S10_S11_S18_S1C_S1E_T6_T7_T9_mT8_S1G_bDpT10_ENKUlT_T0_E_clISt17integral_constantIbLb1EES1U_EEDaS1P_S1Q_EUlS1P_E_NS1_11comp_targetILNS1_3genE4ELNS1_11target_archE910ELNS1_3gpuE8ELNS1_3repE0EEENS1_30default_config_static_selectorELNS0_4arch9wavefront6targetE0EEEvS12_,"axG",@progbits,_ZN7rocprim17ROCPRIM_400000_NS6detail17trampoline_kernelINS0_13select_configILj256ELj13ELNS0_17block_load_methodE3ELS4_3ELS4_3ELNS0_20block_scan_algorithmE0ELj4294967295EEENS1_25partition_config_selectorILNS1_17partition_subalgoE4EjNS0_10empty_typeEbEEZZNS1_14partition_implILS8_4ELb0ES6_15HIP_vector_typeIjLj2EENS0_17counting_iteratorIjlEEPS9_SG_NS0_5tupleIJPjSI_NS0_16reverse_iteratorISI_EEEEENSH_IJSG_SG_SG_EEES9_SI_JZNS1_25segmented_radix_sort_implINS0_14default_configELb1EPKaPaPKlPlN2at6native12_GLOBAL__N_18offset_tEEE10hipError_tPvRmT1_PNSt15iterator_traitsIS12_E10value_typeET2_T3_PNS13_IS18_E10value_typeET4_jRbjT5_S1E_jjP12ihipStream_tbEUljE_ZNSN_ISO_Lb1ESQ_SR_ST_SU_SY_EESZ_S10_S11_S12_S16_S17_S18_S1B_S1C_jS1D_jS1E_S1E_jjS1G_bEUljE0_EEESZ_S10_S11_S18_S1C_S1E_T6_T7_T9_mT8_S1G_bDpT10_ENKUlT_T0_E_clISt17integral_constantIbLb1EES1U_EEDaS1P_S1Q_EUlS1P_E_NS1_11comp_targetILNS1_3genE4ELNS1_11target_archE910ELNS1_3gpuE8ELNS1_3repE0EEENS1_30default_config_static_selectorELNS0_4arch9wavefront6targetE0EEEvS12_,comdat
	.globl	_ZN7rocprim17ROCPRIM_400000_NS6detail17trampoline_kernelINS0_13select_configILj256ELj13ELNS0_17block_load_methodE3ELS4_3ELS4_3ELNS0_20block_scan_algorithmE0ELj4294967295EEENS1_25partition_config_selectorILNS1_17partition_subalgoE4EjNS0_10empty_typeEbEEZZNS1_14partition_implILS8_4ELb0ES6_15HIP_vector_typeIjLj2EENS0_17counting_iteratorIjlEEPS9_SG_NS0_5tupleIJPjSI_NS0_16reverse_iteratorISI_EEEEENSH_IJSG_SG_SG_EEES9_SI_JZNS1_25segmented_radix_sort_implINS0_14default_configELb1EPKaPaPKlPlN2at6native12_GLOBAL__N_18offset_tEEE10hipError_tPvRmT1_PNSt15iterator_traitsIS12_E10value_typeET2_T3_PNS13_IS18_E10value_typeET4_jRbjT5_S1E_jjP12ihipStream_tbEUljE_ZNSN_ISO_Lb1ESQ_SR_ST_SU_SY_EESZ_S10_S11_S12_S16_S17_S18_S1B_S1C_jS1D_jS1E_S1E_jjS1G_bEUljE0_EEESZ_S10_S11_S18_S1C_S1E_T6_T7_T9_mT8_S1G_bDpT10_ENKUlT_T0_E_clISt17integral_constantIbLb1EES1U_EEDaS1P_S1Q_EUlS1P_E_NS1_11comp_targetILNS1_3genE4ELNS1_11target_archE910ELNS1_3gpuE8ELNS1_3repE0EEENS1_30default_config_static_selectorELNS0_4arch9wavefront6targetE0EEEvS12_ ; -- Begin function _ZN7rocprim17ROCPRIM_400000_NS6detail17trampoline_kernelINS0_13select_configILj256ELj13ELNS0_17block_load_methodE3ELS4_3ELS4_3ELNS0_20block_scan_algorithmE0ELj4294967295EEENS1_25partition_config_selectorILNS1_17partition_subalgoE4EjNS0_10empty_typeEbEEZZNS1_14partition_implILS8_4ELb0ES6_15HIP_vector_typeIjLj2EENS0_17counting_iteratorIjlEEPS9_SG_NS0_5tupleIJPjSI_NS0_16reverse_iteratorISI_EEEEENSH_IJSG_SG_SG_EEES9_SI_JZNS1_25segmented_radix_sort_implINS0_14default_configELb1EPKaPaPKlPlN2at6native12_GLOBAL__N_18offset_tEEE10hipError_tPvRmT1_PNSt15iterator_traitsIS12_E10value_typeET2_T3_PNS13_IS18_E10value_typeET4_jRbjT5_S1E_jjP12ihipStream_tbEUljE_ZNSN_ISO_Lb1ESQ_SR_ST_SU_SY_EESZ_S10_S11_S12_S16_S17_S18_S1B_S1C_jS1D_jS1E_S1E_jjS1G_bEUljE0_EEESZ_S10_S11_S18_S1C_S1E_T6_T7_T9_mT8_S1G_bDpT10_ENKUlT_T0_E_clISt17integral_constantIbLb1EES1U_EEDaS1P_S1Q_EUlS1P_E_NS1_11comp_targetILNS1_3genE4ELNS1_11target_archE910ELNS1_3gpuE8ELNS1_3repE0EEENS1_30default_config_static_selectorELNS0_4arch9wavefront6targetE0EEEvS12_
	.p2align	8
	.type	_ZN7rocprim17ROCPRIM_400000_NS6detail17trampoline_kernelINS0_13select_configILj256ELj13ELNS0_17block_load_methodE3ELS4_3ELS4_3ELNS0_20block_scan_algorithmE0ELj4294967295EEENS1_25partition_config_selectorILNS1_17partition_subalgoE4EjNS0_10empty_typeEbEEZZNS1_14partition_implILS8_4ELb0ES6_15HIP_vector_typeIjLj2EENS0_17counting_iteratorIjlEEPS9_SG_NS0_5tupleIJPjSI_NS0_16reverse_iteratorISI_EEEEENSH_IJSG_SG_SG_EEES9_SI_JZNS1_25segmented_radix_sort_implINS0_14default_configELb1EPKaPaPKlPlN2at6native12_GLOBAL__N_18offset_tEEE10hipError_tPvRmT1_PNSt15iterator_traitsIS12_E10value_typeET2_T3_PNS13_IS18_E10value_typeET4_jRbjT5_S1E_jjP12ihipStream_tbEUljE_ZNSN_ISO_Lb1ESQ_SR_ST_SU_SY_EESZ_S10_S11_S12_S16_S17_S18_S1B_S1C_jS1D_jS1E_S1E_jjS1G_bEUljE0_EEESZ_S10_S11_S18_S1C_S1E_T6_T7_T9_mT8_S1G_bDpT10_ENKUlT_T0_E_clISt17integral_constantIbLb1EES1U_EEDaS1P_S1Q_EUlS1P_E_NS1_11comp_targetILNS1_3genE4ELNS1_11target_archE910ELNS1_3gpuE8ELNS1_3repE0EEENS1_30default_config_static_selectorELNS0_4arch9wavefront6targetE0EEEvS12_,@function
_ZN7rocprim17ROCPRIM_400000_NS6detail17trampoline_kernelINS0_13select_configILj256ELj13ELNS0_17block_load_methodE3ELS4_3ELS4_3ELNS0_20block_scan_algorithmE0ELj4294967295EEENS1_25partition_config_selectorILNS1_17partition_subalgoE4EjNS0_10empty_typeEbEEZZNS1_14partition_implILS8_4ELb0ES6_15HIP_vector_typeIjLj2EENS0_17counting_iteratorIjlEEPS9_SG_NS0_5tupleIJPjSI_NS0_16reverse_iteratorISI_EEEEENSH_IJSG_SG_SG_EEES9_SI_JZNS1_25segmented_radix_sort_implINS0_14default_configELb1EPKaPaPKlPlN2at6native12_GLOBAL__N_18offset_tEEE10hipError_tPvRmT1_PNSt15iterator_traitsIS12_E10value_typeET2_T3_PNS13_IS18_E10value_typeET4_jRbjT5_S1E_jjP12ihipStream_tbEUljE_ZNSN_ISO_Lb1ESQ_SR_ST_SU_SY_EESZ_S10_S11_S12_S16_S17_S18_S1B_S1C_jS1D_jS1E_S1E_jjS1G_bEUljE0_EEESZ_S10_S11_S18_S1C_S1E_T6_T7_T9_mT8_S1G_bDpT10_ENKUlT_T0_E_clISt17integral_constantIbLb1EES1U_EEDaS1P_S1Q_EUlS1P_E_NS1_11comp_targetILNS1_3genE4ELNS1_11target_archE910ELNS1_3gpuE8ELNS1_3repE0EEENS1_30default_config_static_selectorELNS0_4arch9wavefront6targetE0EEEvS12_: ; @_ZN7rocprim17ROCPRIM_400000_NS6detail17trampoline_kernelINS0_13select_configILj256ELj13ELNS0_17block_load_methodE3ELS4_3ELS4_3ELNS0_20block_scan_algorithmE0ELj4294967295EEENS1_25partition_config_selectorILNS1_17partition_subalgoE4EjNS0_10empty_typeEbEEZZNS1_14partition_implILS8_4ELb0ES6_15HIP_vector_typeIjLj2EENS0_17counting_iteratorIjlEEPS9_SG_NS0_5tupleIJPjSI_NS0_16reverse_iteratorISI_EEEEENSH_IJSG_SG_SG_EEES9_SI_JZNS1_25segmented_radix_sort_implINS0_14default_configELb1EPKaPaPKlPlN2at6native12_GLOBAL__N_18offset_tEEE10hipError_tPvRmT1_PNSt15iterator_traitsIS12_E10value_typeET2_T3_PNS13_IS18_E10value_typeET4_jRbjT5_S1E_jjP12ihipStream_tbEUljE_ZNSN_ISO_Lb1ESQ_SR_ST_SU_SY_EESZ_S10_S11_S12_S16_S17_S18_S1B_S1C_jS1D_jS1E_S1E_jjS1G_bEUljE0_EEESZ_S10_S11_S18_S1C_S1E_T6_T7_T9_mT8_S1G_bDpT10_ENKUlT_T0_E_clISt17integral_constantIbLb1EES1U_EEDaS1P_S1Q_EUlS1P_E_NS1_11comp_targetILNS1_3genE4ELNS1_11target_archE910ELNS1_3gpuE8ELNS1_3repE0EEENS1_30default_config_static_selectorELNS0_4arch9wavefront6targetE0EEEvS12_
; %bb.0:
	.section	.rodata,"a",@progbits
	.p2align	6, 0x0
	.amdhsa_kernel _ZN7rocprim17ROCPRIM_400000_NS6detail17trampoline_kernelINS0_13select_configILj256ELj13ELNS0_17block_load_methodE3ELS4_3ELS4_3ELNS0_20block_scan_algorithmE0ELj4294967295EEENS1_25partition_config_selectorILNS1_17partition_subalgoE4EjNS0_10empty_typeEbEEZZNS1_14partition_implILS8_4ELb0ES6_15HIP_vector_typeIjLj2EENS0_17counting_iteratorIjlEEPS9_SG_NS0_5tupleIJPjSI_NS0_16reverse_iteratorISI_EEEEENSH_IJSG_SG_SG_EEES9_SI_JZNS1_25segmented_radix_sort_implINS0_14default_configELb1EPKaPaPKlPlN2at6native12_GLOBAL__N_18offset_tEEE10hipError_tPvRmT1_PNSt15iterator_traitsIS12_E10value_typeET2_T3_PNS13_IS18_E10value_typeET4_jRbjT5_S1E_jjP12ihipStream_tbEUljE_ZNSN_ISO_Lb1ESQ_SR_ST_SU_SY_EESZ_S10_S11_S12_S16_S17_S18_S1B_S1C_jS1D_jS1E_S1E_jjS1G_bEUljE0_EEESZ_S10_S11_S18_S1C_S1E_T6_T7_T9_mT8_S1G_bDpT10_ENKUlT_T0_E_clISt17integral_constantIbLb1EES1U_EEDaS1P_S1Q_EUlS1P_E_NS1_11comp_targetILNS1_3genE4ELNS1_11target_archE910ELNS1_3gpuE8ELNS1_3repE0EEENS1_30default_config_static_selectorELNS0_4arch9wavefront6targetE0EEEvS12_
		.amdhsa_group_segment_fixed_size 0
		.amdhsa_private_segment_fixed_size 0
		.amdhsa_kernarg_size 184
		.amdhsa_user_sgpr_count 6
		.amdhsa_user_sgpr_private_segment_buffer 1
		.amdhsa_user_sgpr_dispatch_ptr 0
		.amdhsa_user_sgpr_queue_ptr 0
		.amdhsa_user_sgpr_kernarg_segment_ptr 1
		.amdhsa_user_sgpr_dispatch_id 0
		.amdhsa_user_sgpr_flat_scratch_init 0
		.amdhsa_user_sgpr_private_segment_size 0
		.amdhsa_wavefront_size32 1
		.amdhsa_uses_dynamic_stack 0
		.amdhsa_system_sgpr_private_segment_wavefront_offset 0
		.amdhsa_system_sgpr_workgroup_id_x 1
		.amdhsa_system_sgpr_workgroup_id_y 0
		.amdhsa_system_sgpr_workgroup_id_z 0
		.amdhsa_system_sgpr_workgroup_info 0
		.amdhsa_system_vgpr_workitem_id 0
		.amdhsa_next_free_vgpr 1
		.amdhsa_next_free_sgpr 1
		.amdhsa_reserve_vcc 0
		.amdhsa_reserve_flat_scratch 0
		.amdhsa_float_round_mode_32 0
		.amdhsa_float_round_mode_16_64 0
		.amdhsa_float_denorm_mode_32 3
		.amdhsa_float_denorm_mode_16_64 3
		.amdhsa_dx10_clamp 1
		.amdhsa_ieee_mode 1
		.amdhsa_fp16_overflow 0
		.amdhsa_workgroup_processor_mode 1
		.amdhsa_memory_ordered 1
		.amdhsa_forward_progress 1
		.amdhsa_shared_vgpr_count 0
		.amdhsa_exception_fp_ieee_invalid_op 0
		.amdhsa_exception_fp_denorm_src 0
		.amdhsa_exception_fp_ieee_div_zero 0
		.amdhsa_exception_fp_ieee_overflow 0
		.amdhsa_exception_fp_ieee_underflow 0
		.amdhsa_exception_fp_ieee_inexact 0
		.amdhsa_exception_int_div_zero 0
	.end_amdhsa_kernel
	.section	.text._ZN7rocprim17ROCPRIM_400000_NS6detail17trampoline_kernelINS0_13select_configILj256ELj13ELNS0_17block_load_methodE3ELS4_3ELS4_3ELNS0_20block_scan_algorithmE0ELj4294967295EEENS1_25partition_config_selectorILNS1_17partition_subalgoE4EjNS0_10empty_typeEbEEZZNS1_14partition_implILS8_4ELb0ES6_15HIP_vector_typeIjLj2EENS0_17counting_iteratorIjlEEPS9_SG_NS0_5tupleIJPjSI_NS0_16reverse_iteratorISI_EEEEENSH_IJSG_SG_SG_EEES9_SI_JZNS1_25segmented_radix_sort_implINS0_14default_configELb1EPKaPaPKlPlN2at6native12_GLOBAL__N_18offset_tEEE10hipError_tPvRmT1_PNSt15iterator_traitsIS12_E10value_typeET2_T3_PNS13_IS18_E10value_typeET4_jRbjT5_S1E_jjP12ihipStream_tbEUljE_ZNSN_ISO_Lb1ESQ_SR_ST_SU_SY_EESZ_S10_S11_S12_S16_S17_S18_S1B_S1C_jS1D_jS1E_S1E_jjS1G_bEUljE0_EEESZ_S10_S11_S18_S1C_S1E_T6_T7_T9_mT8_S1G_bDpT10_ENKUlT_T0_E_clISt17integral_constantIbLb1EES1U_EEDaS1P_S1Q_EUlS1P_E_NS1_11comp_targetILNS1_3genE4ELNS1_11target_archE910ELNS1_3gpuE8ELNS1_3repE0EEENS1_30default_config_static_selectorELNS0_4arch9wavefront6targetE0EEEvS12_,"axG",@progbits,_ZN7rocprim17ROCPRIM_400000_NS6detail17trampoline_kernelINS0_13select_configILj256ELj13ELNS0_17block_load_methodE3ELS4_3ELS4_3ELNS0_20block_scan_algorithmE0ELj4294967295EEENS1_25partition_config_selectorILNS1_17partition_subalgoE4EjNS0_10empty_typeEbEEZZNS1_14partition_implILS8_4ELb0ES6_15HIP_vector_typeIjLj2EENS0_17counting_iteratorIjlEEPS9_SG_NS0_5tupleIJPjSI_NS0_16reverse_iteratorISI_EEEEENSH_IJSG_SG_SG_EEES9_SI_JZNS1_25segmented_radix_sort_implINS0_14default_configELb1EPKaPaPKlPlN2at6native12_GLOBAL__N_18offset_tEEE10hipError_tPvRmT1_PNSt15iterator_traitsIS12_E10value_typeET2_T3_PNS13_IS18_E10value_typeET4_jRbjT5_S1E_jjP12ihipStream_tbEUljE_ZNSN_ISO_Lb1ESQ_SR_ST_SU_SY_EESZ_S10_S11_S12_S16_S17_S18_S1B_S1C_jS1D_jS1E_S1E_jjS1G_bEUljE0_EEESZ_S10_S11_S18_S1C_S1E_T6_T7_T9_mT8_S1G_bDpT10_ENKUlT_T0_E_clISt17integral_constantIbLb1EES1U_EEDaS1P_S1Q_EUlS1P_E_NS1_11comp_targetILNS1_3genE4ELNS1_11target_archE910ELNS1_3gpuE8ELNS1_3repE0EEENS1_30default_config_static_selectorELNS0_4arch9wavefront6targetE0EEEvS12_,comdat
.Lfunc_end234:
	.size	_ZN7rocprim17ROCPRIM_400000_NS6detail17trampoline_kernelINS0_13select_configILj256ELj13ELNS0_17block_load_methodE3ELS4_3ELS4_3ELNS0_20block_scan_algorithmE0ELj4294967295EEENS1_25partition_config_selectorILNS1_17partition_subalgoE4EjNS0_10empty_typeEbEEZZNS1_14partition_implILS8_4ELb0ES6_15HIP_vector_typeIjLj2EENS0_17counting_iteratorIjlEEPS9_SG_NS0_5tupleIJPjSI_NS0_16reverse_iteratorISI_EEEEENSH_IJSG_SG_SG_EEES9_SI_JZNS1_25segmented_radix_sort_implINS0_14default_configELb1EPKaPaPKlPlN2at6native12_GLOBAL__N_18offset_tEEE10hipError_tPvRmT1_PNSt15iterator_traitsIS12_E10value_typeET2_T3_PNS13_IS18_E10value_typeET4_jRbjT5_S1E_jjP12ihipStream_tbEUljE_ZNSN_ISO_Lb1ESQ_SR_ST_SU_SY_EESZ_S10_S11_S12_S16_S17_S18_S1B_S1C_jS1D_jS1E_S1E_jjS1G_bEUljE0_EEESZ_S10_S11_S18_S1C_S1E_T6_T7_T9_mT8_S1G_bDpT10_ENKUlT_T0_E_clISt17integral_constantIbLb1EES1U_EEDaS1P_S1Q_EUlS1P_E_NS1_11comp_targetILNS1_3genE4ELNS1_11target_archE910ELNS1_3gpuE8ELNS1_3repE0EEENS1_30default_config_static_selectorELNS0_4arch9wavefront6targetE0EEEvS12_, .Lfunc_end234-_ZN7rocprim17ROCPRIM_400000_NS6detail17trampoline_kernelINS0_13select_configILj256ELj13ELNS0_17block_load_methodE3ELS4_3ELS4_3ELNS0_20block_scan_algorithmE0ELj4294967295EEENS1_25partition_config_selectorILNS1_17partition_subalgoE4EjNS0_10empty_typeEbEEZZNS1_14partition_implILS8_4ELb0ES6_15HIP_vector_typeIjLj2EENS0_17counting_iteratorIjlEEPS9_SG_NS0_5tupleIJPjSI_NS0_16reverse_iteratorISI_EEEEENSH_IJSG_SG_SG_EEES9_SI_JZNS1_25segmented_radix_sort_implINS0_14default_configELb1EPKaPaPKlPlN2at6native12_GLOBAL__N_18offset_tEEE10hipError_tPvRmT1_PNSt15iterator_traitsIS12_E10value_typeET2_T3_PNS13_IS18_E10value_typeET4_jRbjT5_S1E_jjP12ihipStream_tbEUljE_ZNSN_ISO_Lb1ESQ_SR_ST_SU_SY_EESZ_S10_S11_S12_S16_S17_S18_S1B_S1C_jS1D_jS1E_S1E_jjS1G_bEUljE0_EEESZ_S10_S11_S18_S1C_S1E_T6_T7_T9_mT8_S1G_bDpT10_ENKUlT_T0_E_clISt17integral_constantIbLb1EES1U_EEDaS1P_S1Q_EUlS1P_E_NS1_11comp_targetILNS1_3genE4ELNS1_11target_archE910ELNS1_3gpuE8ELNS1_3repE0EEENS1_30default_config_static_selectorELNS0_4arch9wavefront6targetE0EEEvS12_
                                        ; -- End function
	.set _ZN7rocprim17ROCPRIM_400000_NS6detail17trampoline_kernelINS0_13select_configILj256ELj13ELNS0_17block_load_methodE3ELS4_3ELS4_3ELNS0_20block_scan_algorithmE0ELj4294967295EEENS1_25partition_config_selectorILNS1_17partition_subalgoE4EjNS0_10empty_typeEbEEZZNS1_14partition_implILS8_4ELb0ES6_15HIP_vector_typeIjLj2EENS0_17counting_iteratorIjlEEPS9_SG_NS0_5tupleIJPjSI_NS0_16reverse_iteratorISI_EEEEENSH_IJSG_SG_SG_EEES9_SI_JZNS1_25segmented_radix_sort_implINS0_14default_configELb1EPKaPaPKlPlN2at6native12_GLOBAL__N_18offset_tEEE10hipError_tPvRmT1_PNSt15iterator_traitsIS12_E10value_typeET2_T3_PNS13_IS18_E10value_typeET4_jRbjT5_S1E_jjP12ihipStream_tbEUljE_ZNSN_ISO_Lb1ESQ_SR_ST_SU_SY_EESZ_S10_S11_S12_S16_S17_S18_S1B_S1C_jS1D_jS1E_S1E_jjS1G_bEUljE0_EEESZ_S10_S11_S18_S1C_S1E_T6_T7_T9_mT8_S1G_bDpT10_ENKUlT_T0_E_clISt17integral_constantIbLb1EES1U_EEDaS1P_S1Q_EUlS1P_E_NS1_11comp_targetILNS1_3genE4ELNS1_11target_archE910ELNS1_3gpuE8ELNS1_3repE0EEENS1_30default_config_static_selectorELNS0_4arch9wavefront6targetE0EEEvS12_.num_vgpr, 0
	.set _ZN7rocprim17ROCPRIM_400000_NS6detail17trampoline_kernelINS0_13select_configILj256ELj13ELNS0_17block_load_methodE3ELS4_3ELS4_3ELNS0_20block_scan_algorithmE0ELj4294967295EEENS1_25partition_config_selectorILNS1_17partition_subalgoE4EjNS0_10empty_typeEbEEZZNS1_14partition_implILS8_4ELb0ES6_15HIP_vector_typeIjLj2EENS0_17counting_iteratorIjlEEPS9_SG_NS0_5tupleIJPjSI_NS0_16reverse_iteratorISI_EEEEENSH_IJSG_SG_SG_EEES9_SI_JZNS1_25segmented_radix_sort_implINS0_14default_configELb1EPKaPaPKlPlN2at6native12_GLOBAL__N_18offset_tEEE10hipError_tPvRmT1_PNSt15iterator_traitsIS12_E10value_typeET2_T3_PNS13_IS18_E10value_typeET4_jRbjT5_S1E_jjP12ihipStream_tbEUljE_ZNSN_ISO_Lb1ESQ_SR_ST_SU_SY_EESZ_S10_S11_S12_S16_S17_S18_S1B_S1C_jS1D_jS1E_S1E_jjS1G_bEUljE0_EEESZ_S10_S11_S18_S1C_S1E_T6_T7_T9_mT8_S1G_bDpT10_ENKUlT_T0_E_clISt17integral_constantIbLb1EES1U_EEDaS1P_S1Q_EUlS1P_E_NS1_11comp_targetILNS1_3genE4ELNS1_11target_archE910ELNS1_3gpuE8ELNS1_3repE0EEENS1_30default_config_static_selectorELNS0_4arch9wavefront6targetE0EEEvS12_.num_agpr, 0
	.set _ZN7rocprim17ROCPRIM_400000_NS6detail17trampoline_kernelINS0_13select_configILj256ELj13ELNS0_17block_load_methodE3ELS4_3ELS4_3ELNS0_20block_scan_algorithmE0ELj4294967295EEENS1_25partition_config_selectorILNS1_17partition_subalgoE4EjNS0_10empty_typeEbEEZZNS1_14partition_implILS8_4ELb0ES6_15HIP_vector_typeIjLj2EENS0_17counting_iteratorIjlEEPS9_SG_NS0_5tupleIJPjSI_NS0_16reverse_iteratorISI_EEEEENSH_IJSG_SG_SG_EEES9_SI_JZNS1_25segmented_radix_sort_implINS0_14default_configELb1EPKaPaPKlPlN2at6native12_GLOBAL__N_18offset_tEEE10hipError_tPvRmT1_PNSt15iterator_traitsIS12_E10value_typeET2_T3_PNS13_IS18_E10value_typeET4_jRbjT5_S1E_jjP12ihipStream_tbEUljE_ZNSN_ISO_Lb1ESQ_SR_ST_SU_SY_EESZ_S10_S11_S12_S16_S17_S18_S1B_S1C_jS1D_jS1E_S1E_jjS1G_bEUljE0_EEESZ_S10_S11_S18_S1C_S1E_T6_T7_T9_mT8_S1G_bDpT10_ENKUlT_T0_E_clISt17integral_constantIbLb1EES1U_EEDaS1P_S1Q_EUlS1P_E_NS1_11comp_targetILNS1_3genE4ELNS1_11target_archE910ELNS1_3gpuE8ELNS1_3repE0EEENS1_30default_config_static_selectorELNS0_4arch9wavefront6targetE0EEEvS12_.numbered_sgpr, 0
	.set _ZN7rocprim17ROCPRIM_400000_NS6detail17trampoline_kernelINS0_13select_configILj256ELj13ELNS0_17block_load_methodE3ELS4_3ELS4_3ELNS0_20block_scan_algorithmE0ELj4294967295EEENS1_25partition_config_selectorILNS1_17partition_subalgoE4EjNS0_10empty_typeEbEEZZNS1_14partition_implILS8_4ELb0ES6_15HIP_vector_typeIjLj2EENS0_17counting_iteratorIjlEEPS9_SG_NS0_5tupleIJPjSI_NS0_16reverse_iteratorISI_EEEEENSH_IJSG_SG_SG_EEES9_SI_JZNS1_25segmented_radix_sort_implINS0_14default_configELb1EPKaPaPKlPlN2at6native12_GLOBAL__N_18offset_tEEE10hipError_tPvRmT1_PNSt15iterator_traitsIS12_E10value_typeET2_T3_PNS13_IS18_E10value_typeET4_jRbjT5_S1E_jjP12ihipStream_tbEUljE_ZNSN_ISO_Lb1ESQ_SR_ST_SU_SY_EESZ_S10_S11_S12_S16_S17_S18_S1B_S1C_jS1D_jS1E_S1E_jjS1G_bEUljE0_EEESZ_S10_S11_S18_S1C_S1E_T6_T7_T9_mT8_S1G_bDpT10_ENKUlT_T0_E_clISt17integral_constantIbLb1EES1U_EEDaS1P_S1Q_EUlS1P_E_NS1_11comp_targetILNS1_3genE4ELNS1_11target_archE910ELNS1_3gpuE8ELNS1_3repE0EEENS1_30default_config_static_selectorELNS0_4arch9wavefront6targetE0EEEvS12_.num_named_barrier, 0
	.set _ZN7rocprim17ROCPRIM_400000_NS6detail17trampoline_kernelINS0_13select_configILj256ELj13ELNS0_17block_load_methodE3ELS4_3ELS4_3ELNS0_20block_scan_algorithmE0ELj4294967295EEENS1_25partition_config_selectorILNS1_17partition_subalgoE4EjNS0_10empty_typeEbEEZZNS1_14partition_implILS8_4ELb0ES6_15HIP_vector_typeIjLj2EENS0_17counting_iteratorIjlEEPS9_SG_NS0_5tupleIJPjSI_NS0_16reverse_iteratorISI_EEEEENSH_IJSG_SG_SG_EEES9_SI_JZNS1_25segmented_radix_sort_implINS0_14default_configELb1EPKaPaPKlPlN2at6native12_GLOBAL__N_18offset_tEEE10hipError_tPvRmT1_PNSt15iterator_traitsIS12_E10value_typeET2_T3_PNS13_IS18_E10value_typeET4_jRbjT5_S1E_jjP12ihipStream_tbEUljE_ZNSN_ISO_Lb1ESQ_SR_ST_SU_SY_EESZ_S10_S11_S12_S16_S17_S18_S1B_S1C_jS1D_jS1E_S1E_jjS1G_bEUljE0_EEESZ_S10_S11_S18_S1C_S1E_T6_T7_T9_mT8_S1G_bDpT10_ENKUlT_T0_E_clISt17integral_constantIbLb1EES1U_EEDaS1P_S1Q_EUlS1P_E_NS1_11comp_targetILNS1_3genE4ELNS1_11target_archE910ELNS1_3gpuE8ELNS1_3repE0EEENS1_30default_config_static_selectorELNS0_4arch9wavefront6targetE0EEEvS12_.private_seg_size, 0
	.set _ZN7rocprim17ROCPRIM_400000_NS6detail17trampoline_kernelINS0_13select_configILj256ELj13ELNS0_17block_load_methodE3ELS4_3ELS4_3ELNS0_20block_scan_algorithmE0ELj4294967295EEENS1_25partition_config_selectorILNS1_17partition_subalgoE4EjNS0_10empty_typeEbEEZZNS1_14partition_implILS8_4ELb0ES6_15HIP_vector_typeIjLj2EENS0_17counting_iteratorIjlEEPS9_SG_NS0_5tupleIJPjSI_NS0_16reverse_iteratorISI_EEEEENSH_IJSG_SG_SG_EEES9_SI_JZNS1_25segmented_radix_sort_implINS0_14default_configELb1EPKaPaPKlPlN2at6native12_GLOBAL__N_18offset_tEEE10hipError_tPvRmT1_PNSt15iterator_traitsIS12_E10value_typeET2_T3_PNS13_IS18_E10value_typeET4_jRbjT5_S1E_jjP12ihipStream_tbEUljE_ZNSN_ISO_Lb1ESQ_SR_ST_SU_SY_EESZ_S10_S11_S12_S16_S17_S18_S1B_S1C_jS1D_jS1E_S1E_jjS1G_bEUljE0_EEESZ_S10_S11_S18_S1C_S1E_T6_T7_T9_mT8_S1G_bDpT10_ENKUlT_T0_E_clISt17integral_constantIbLb1EES1U_EEDaS1P_S1Q_EUlS1P_E_NS1_11comp_targetILNS1_3genE4ELNS1_11target_archE910ELNS1_3gpuE8ELNS1_3repE0EEENS1_30default_config_static_selectorELNS0_4arch9wavefront6targetE0EEEvS12_.uses_vcc, 0
	.set _ZN7rocprim17ROCPRIM_400000_NS6detail17trampoline_kernelINS0_13select_configILj256ELj13ELNS0_17block_load_methodE3ELS4_3ELS4_3ELNS0_20block_scan_algorithmE0ELj4294967295EEENS1_25partition_config_selectorILNS1_17partition_subalgoE4EjNS0_10empty_typeEbEEZZNS1_14partition_implILS8_4ELb0ES6_15HIP_vector_typeIjLj2EENS0_17counting_iteratorIjlEEPS9_SG_NS0_5tupleIJPjSI_NS0_16reverse_iteratorISI_EEEEENSH_IJSG_SG_SG_EEES9_SI_JZNS1_25segmented_radix_sort_implINS0_14default_configELb1EPKaPaPKlPlN2at6native12_GLOBAL__N_18offset_tEEE10hipError_tPvRmT1_PNSt15iterator_traitsIS12_E10value_typeET2_T3_PNS13_IS18_E10value_typeET4_jRbjT5_S1E_jjP12ihipStream_tbEUljE_ZNSN_ISO_Lb1ESQ_SR_ST_SU_SY_EESZ_S10_S11_S12_S16_S17_S18_S1B_S1C_jS1D_jS1E_S1E_jjS1G_bEUljE0_EEESZ_S10_S11_S18_S1C_S1E_T6_T7_T9_mT8_S1G_bDpT10_ENKUlT_T0_E_clISt17integral_constantIbLb1EES1U_EEDaS1P_S1Q_EUlS1P_E_NS1_11comp_targetILNS1_3genE4ELNS1_11target_archE910ELNS1_3gpuE8ELNS1_3repE0EEENS1_30default_config_static_selectorELNS0_4arch9wavefront6targetE0EEEvS12_.uses_flat_scratch, 0
	.set _ZN7rocprim17ROCPRIM_400000_NS6detail17trampoline_kernelINS0_13select_configILj256ELj13ELNS0_17block_load_methodE3ELS4_3ELS4_3ELNS0_20block_scan_algorithmE0ELj4294967295EEENS1_25partition_config_selectorILNS1_17partition_subalgoE4EjNS0_10empty_typeEbEEZZNS1_14partition_implILS8_4ELb0ES6_15HIP_vector_typeIjLj2EENS0_17counting_iteratorIjlEEPS9_SG_NS0_5tupleIJPjSI_NS0_16reverse_iteratorISI_EEEEENSH_IJSG_SG_SG_EEES9_SI_JZNS1_25segmented_radix_sort_implINS0_14default_configELb1EPKaPaPKlPlN2at6native12_GLOBAL__N_18offset_tEEE10hipError_tPvRmT1_PNSt15iterator_traitsIS12_E10value_typeET2_T3_PNS13_IS18_E10value_typeET4_jRbjT5_S1E_jjP12ihipStream_tbEUljE_ZNSN_ISO_Lb1ESQ_SR_ST_SU_SY_EESZ_S10_S11_S12_S16_S17_S18_S1B_S1C_jS1D_jS1E_S1E_jjS1G_bEUljE0_EEESZ_S10_S11_S18_S1C_S1E_T6_T7_T9_mT8_S1G_bDpT10_ENKUlT_T0_E_clISt17integral_constantIbLb1EES1U_EEDaS1P_S1Q_EUlS1P_E_NS1_11comp_targetILNS1_3genE4ELNS1_11target_archE910ELNS1_3gpuE8ELNS1_3repE0EEENS1_30default_config_static_selectorELNS0_4arch9wavefront6targetE0EEEvS12_.has_dyn_sized_stack, 0
	.set _ZN7rocprim17ROCPRIM_400000_NS6detail17trampoline_kernelINS0_13select_configILj256ELj13ELNS0_17block_load_methodE3ELS4_3ELS4_3ELNS0_20block_scan_algorithmE0ELj4294967295EEENS1_25partition_config_selectorILNS1_17partition_subalgoE4EjNS0_10empty_typeEbEEZZNS1_14partition_implILS8_4ELb0ES6_15HIP_vector_typeIjLj2EENS0_17counting_iteratorIjlEEPS9_SG_NS0_5tupleIJPjSI_NS0_16reverse_iteratorISI_EEEEENSH_IJSG_SG_SG_EEES9_SI_JZNS1_25segmented_radix_sort_implINS0_14default_configELb1EPKaPaPKlPlN2at6native12_GLOBAL__N_18offset_tEEE10hipError_tPvRmT1_PNSt15iterator_traitsIS12_E10value_typeET2_T3_PNS13_IS18_E10value_typeET4_jRbjT5_S1E_jjP12ihipStream_tbEUljE_ZNSN_ISO_Lb1ESQ_SR_ST_SU_SY_EESZ_S10_S11_S12_S16_S17_S18_S1B_S1C_jS1D_jS1E_S1E_jjS1G_bEUljE0_EEESZ_S10_S11_S18_S1C_S1E_T6_T7_T9_mT8_S1G_bDpT10_ENKUlT_T0_E_clISt17integral_constantIbLb1EES1U_EEDaS1P_S1Q_EUlS1P_E_NS1_11comp_targetILNS1_3genE4ELNS1_11target_archE910ELNS1_3gpuE8ELNS1_3repE0EEENS1_30default_config_static_selectorELNS0_4arch9wavefront6targetE0EEEvS12_.has_recursion, 0
	.set _ZN7rocprim17ROCPRIM_400000_NS6detail17trampoline_kernelINS0_13select_configILj256ELj13ELNS0_17block_load_methodE3ELS4_3ELS4_3ELNS0_20block_scan_algorithmE0ELj4294967295EEENS1_25partition_config_selectorILNS1_17partition_subalgoE4EjNS0_10empty_typeEbEEZZNS1_14partition_implILS8_4ELb0ES6_15HIP_vector_typeIjLj2EENS0_17counting_iteratorIjlEEPS9_SG_NS0_5tupleIJPjSI_NS0_16reverse_iteratorISI_EEEEENSH_IJSG_SG_SG_EEES9_SI_JZNS1_25segmented_radix_sort_implINS0_14default_configELb1EPKaPaPKlPlN2at6native12_GLOBAL__N_18offset_tEEE10hipError_tPvRmT1_PNSt15iterator_traitsIS12_E10value_typeET2_T3_PNS13_IS18_E10value_typeET4_jRbjT5_S1E_jjP12ihipStream_tbEUljE_ZNSN_ISO_Lb1ESQ_SR_ST_SU_SY_EESZ_S10_S11_S12_S16_S17_S18_S1B_S1C_jS1D_jS1E_S1E_jjS1G_bEUljE0_EEESZ_S10_S11_S18_S1C_S1E_T6_T7_T9_mT8_S1G_bDpT10_ENKUlT_T0_E_clISt17integral_constantIbLb1EES1U_EEDaS1P_S1Q_EUlS1P_E_NS1_11comp_targetILNS1_3genE4ELNS1_11target_archE910ELNS1_3gpuE8ELNS1_3repE0EEENS1_30default_config_static_selectorELNS0_4arch9wavefront6targetE0EEEvS12_.has_indirect_call, 0
	.section	.AMDGPU.csdata,"",@progbits
; Kernel info:
; codeLenInByte = 0
; TotalNumSgprs: 0
; NumVgprs: 0
; ScratchSize: 0
; MemoryBound: 0
; FloatMode: 240
; IeeeMode: 1
; LDSByteSize: 0 bytes/workgroup (compile time only)
; SGPRBlocks: 0
; VGPRBlocks: 0
; NumSGPRsForWavesPerEU: 1
; NumVGPRsForWavesPerEU: 1
; Occupancy: 16
; WaveLimiterHint : 0
; COMPUTE_PGM_RSRC2:SCRATCH_EN: 0
; COMPUTE_PGM_RSRC2:USER_SGPR: 6
; COMPUTE_PGM_RSRC2:TRAP_HANDLER: 0
; COMPUTE_PGM_RSRC2:TGID_X_EN: 1
; COMPUTE_PGM_RSRC2:TGID_Y_EN: 0
; COMPUTE_PGM_RSRC2:TGID_Z_EN: 0
; COMPUTE_PGM_RSRC2:TIDIG_COMP_CNT: 0
	.section	.text._ZN7rocprim17ROCPRIM_400000_NS6detail17trampoline_kernelINS0_13select_configILj256ELj13ELNS0_17block_load_methodE3ELS4_3ELS4_3ELNS0_20block_scan_algorithmE0ELj4294967295EEENS1_25partition_config_selectorILNS1_17partition_subalgoE4EjNS0_10empty_typeEbEEZZNS1_14partition_implILS8_4ELb0ES6_15HIP_vector_typeIjLj2EENS0_17counting_iteratorIjlEEPS9_SG_NS0_5tupleIJPjSI_NS0_16reverse_iteratorISI_EEEEENSH_IJSG_SG_SG_EEES9_SI_JZNS1_25segmented_radix_sort_implINS0_14default_configELb1EPKaPaPKlPlN2at6native12_GLOBAL__N_18offset_tEEE10hipError_tPvRmT1_PNSt15iterator_traitsIS12_E10value_typeET2_T3_PNS13_IS18_E10value_typeET4_jRbjT5_S1E_jjP12ihipStream_tbEUljE_ZNSN_ISO_Lb1ESQ_SR_ST_SU_SY_EESZ_S10_S11_S12_S16_S17_S18_S1B_S1C_jS1D_jS1E_S1E_jjS1G_bEUljE0_EEESZ_S10_S11_S18_S1C_S1E_T6_T7_T9_mT8_S1G_bDpT10_ENKUlT_T0_E_clISt17integral_constantIbLb1EES1U_EEDaS1P_S1Q_EUlS1P_E_NS1_11comp_targetILNS1_3genE3ELNS1_11target_archE908ELNS1_3gpuE7ELNS1_3repE0EEENS1_30default_config_static_selectorELNS0_4arch9wavefront6targetE0EEEvS12_,"axG",@progbits,_ZN7rocprim17ROCPRIM_400000_NS6detail17trampoline_kernelINS0_13select_configILj256ELj13ELNS0_17block_load_methodE3ELS4_3ELS4_3ELNS0_20block_scan_algorithmE0ELj4294967295EEENS1_25partition_config_selectorILNS1_17partition_subalgoE4EjNS0_10empty_typeEbEEZZNS1_14partition_implILS8_4ELb0ES6_15HIP_vector_typeIjLj2EENS0_17counting_iteratorIjlEEPS9_SG_NS0_5tupleIJPjSI_NS0_16reverse_iteratorISI_EEEEENSH_IJSG_SG_SG_EEES9_SI_JZNS1_25segmented_radix_sort_implINS0_14default_configELb1EPKaPaPKlPlN2at6native12_GLOBAL__N_18offset_tEEE10hipError_tPvRmT1_PNSt15iterator_traitsIS12_E10value_typeET2_T3_PNS13_IS18_E10value_typeET4_jRbjT5_S1E_jjP12ihipStream_tbEUljE_ZNSN_ISO_Lb1ESQ_SR_ST_SU_SY_EESZ_S10_S11_S12_S16_S17_S18_S1B_S1C_jS1D_jS1E_S1E_jjS1G_bEUljE0_EEESZ_S10_S11_S18_S1C_S1E_T6_T7_T9_mT8_S1G_bDpT10_ENKUlT_T0_E_clISt17integral_constantIbLb1EES1U_EEDaS1P_S1Q_EUlS1P_E_NS1_11comp_targetILNS1_3genE3ELNS1_11target_archE908ELNS1_3gpuE7ELNS1_3repE0EEENS1_30default_config_static_selectorELNS0_4arch9wavefront6targetE0EEEvS12_,comdat
	.globl	_ZN7rocprim17ROCPRIM_400000_NS6detail17trampoline_kernelINS0_13select_configILj256ELj13ELNS0_17block_load_methodE3ELS4_3ELS4_3ELNS0_20block_scan_algorithmE0ELj4294967295EEENS1_25partition_config_selectorILNS1_17partition_subalgoE4EjNS0_10empty_typeEbEEZZNS1_14partition_implILS8_4ELb0ES6_15HIP_vector_typeIjLj2EENS0_17counting_iteratorIjlEEPS9_SG_NS0_5tupleIJPjSI_NS0_16reverse_iteratorISI_EEEEENSH_IJSG_SG_SG_EEES9_SI_JZNS1_25segmented_radix_sort_implINS0_14default_configELb1EPKaPaPKlPlN2at6native12_GLOBAL__N_18offset_tEEE10hipError_tPvRmT1_PNSt15iterator_traitsIS12_E10value_typeET2_T3_PNS13_IS18_E10value_typeET4_jRbjT5_S1E_jjP12ihipStream_tbEUljE_ZNSN_ISO_Lb1ESQ_SR_ST_SU_SY_EESZ_S10_S11_S12_S16_S17_S18_S1B_S1C_jS1D_jS1E_S1E_jjS1G_bEUljE0_EEESZ_S10_S11_S18_S1C_S1E_T6_T7_T9_mT8_S1G_bDpT10_ENKUlT_T0_E_clISt17integral_constantIbLb1EES1U_EEDaS1P_S1Q_EUlS1P_E_NS1_11comp_targetILNS1_3genE3ELNS1_11target_archE908ELNS1_3gpuE7ELNS1_3repE0EEENS1_30default_config_static_selectorELNS0_4arch9wavefront6targetE0EEEvS12_ ; -- Begin function _ZN7rocprim17ROCPRIM_400000_NS6detail17trampoline_kernelINS0_13select_configILj256ELj13ELNS0_17block_load_methodE3ELS4_3ELS4_3ELNS0_20block_scan_algorithmE0ELj4294967295EEENS1_25partition_config_selectorILNS1_17partition_subalgoE4EjNS0_10empty_typeEbEEZZNS1_14partition_implILS8_4ELb0ES6_15HIP_vector_typeIjLj2EENS0_17counting_iteratorIjlEEPS9_SG_NS0_5tupleIJPjSI_NS0_16reverse_iteratorISI_EEEEENSH_IJSG_SG_SG_EEES9_SI_JZNS1_25segmented_radix_sort_implINS0_14default_configELb1EPKaPaPKlPlN2at6native12_GLOBAL__N_18offset_tEEE10hipError_tPvRmT1_PNSt15iterator_traitsIS12_E10value_typeET2_T3_PNS13_IS18_E10value_typeET4_jRbjT5_S1E_jjP12ihipStream_tbEUljE_ZNSN_ISO_Lb1ESQ_SR_ST_SU_SY_EESZ_S10_S11_S12_S16_S17_S18_S1B_S1C_jS1D_jS1E_S1E_jjS1G_bEUljE0_EEESZ_S10_S11_S18_S1C_S1E_T6_T7_T9_mT8_S1G_bDpT10_ENKUlT_T0_E_clISt17integral_constantIbLb1EES1U_EEDaS1P_S1Q_EUlS1P_E_NS1_11comp_targetILNS1_3genE3ELNS1_11target_archE908ELNS1_3gpuE7ELNS1_3repE0EEENS1_30default_config_static_selectorELNS0_4arch9wavefront6targetE0EEEvS12_
	.p2align	8
	.type	_ZN7rocprim17ROCPRIM_400000_NS6detail17trampoline_kernelINS0_13select_configILj256ELj13ELNS0_17block_load_methodE3ELS4_3ELS4_3ELNS0_20block_scan_algorithmE0ELj4294967295EEENS1_25partition_config_selectorILNS1_17partition_subalgoE4EjNS0_10empty_typeEbEEZZNS1_14partition_implILS8_4ELb0ES6_15HIP_vector_typeIjLj2EENS0_17counting_iteratorIjlEEPS9_SG_NS0_5tupleIJPjSI_NS0_16reverse_iteratorISI_EEEEENSH_IJSG_SG_SG_EEES9_SI_JZNS1_25segmented_radix_sort_implINS0_14default_configELb1EPKaPaPKlPlN2at6native12_GLOBAL__N_18offset_tEEE10hipError_tPvRmT1_PNSt15iterator_traitsIS12_E10value_typeET2_T3_PNS13_IS18_E10value_typeET4_jRbjT5_S1E_jjP12ihipStream_tbEUljE_ZNSN_ISO_Lb1ESQ_SR_ST_SU_SY_EESZ_S10_S11_S12_S16_S17_S18_S1B_S1C_jS1D_jS1E_S1E_jjS1G_bEUljE0_EEESZ_S10_S11_S18_S1C_S1E_T6_T7_T9_mT8_S1G_bDpT10_ENKUlT_T0_E_clISt17integral_constantIbLb1EES1U_EEDaS1P_S1Q_EUlS1P_E_NS1_11comp_targetILNS1_3genE3ELNS1_11target_archE908ELNS1_3gpuE7ELNS1_3repE0EEENS1_30default_config_static_selectorELNS0_4arch9wavefront6targetE0EEEvS12_,@function
_ZN7rocprim17ROCPRIM_400000_NS6detail17trampoline_kernelINS0_13select_configILj256ELj13ELNS0_17block_load_methodE3ELS4_3ELS4_3ELNS0_20block_scan_algorithmE0ELj4294967295EEENS1_25partition_config_selectorILNS1_17partition_subalgoE4EjNS0_10empty_typeEbEEZZNS1_14partition_implILS8_4ELb0ES6_15HIP_vector_typeIjLj2EENS0_17counting_iteratorIjlEEPS9_SG_NS0_5tupleIJPjSI_NS0_16reverse_iteratorISI_EEEEENSH_IJSG_SG_SG_EEES9_SI_JZNS1_25segmented_radix_sort_implINS0_14default_configELb1EPKaPaPKlPlN2at6native12_GLOBAL__N_18offset_tEEE10hipError_tPvRmT1_PNSt15iterator_traitsIS12_E10value_typeET2_T3_PNS13_IS18_E10value_typeET4_jRbjT5_S1E_jjP12ihipStream_tbEUljE_ZNSN_ISO_Lb1ESQ_SR_ST_SU_SY_EESZ_S10_S11_S12_S16_S17_S18_S1B_S1C_jS1D_jS1E_S1E_jjS1G_bEUljE0_EEESZ_S10_S11_S18_S1C_S1E_T6_T7_T9_mT8_S1G_bDpT10_ENKUlT_T0_E_clISt17integral_constantIbLb1EES1U_EEDaS1P_S1Q_EUlS1P_E_NS1_11comp_targetILNS1_3genE3ELNS1_11target_archE908ELNS1_3gpuE7ELNS1_3repE0EEENS1_30default_config_static_selectorELNS0_4arch9wavefront6targetE0EEEvS12_: ; @_ZN7rocprim17ROCPRIM_400000_NS6detail17trampoline_kernelINS0_13select_configILj256ELj13ELNS0_17block_load_methodE3ELS4_3ELS4_3ELNS0_20block_scan_algorithmE0ELj4294967295EEENS1_25partition_config_selectorILNS1_17partition_subalgoE4EjNS0_10empty_typeEbEEZZNS1_14partition_implILS8_4ELb0ES6_15HIP_vector_typeIjLj2EENS0_17counting_iteratorIjlEEPS9_SG_NS0_5tupleIJPjSI_NS0_16reverse_iteratorISI_EEEEENSH_IJSG_SG_SG_EEES9_SI_JZNS1_25segmented_radix_sort_implINS0_14default_configELb1EPKaPaPKlPlN2at6native12_GLOBAL__N_18offset_tEEE10hipError_tPvRmT1_PNSt15iterator_traitsIS12_E10value_typeET2_T3_PNS13_IS18_E10value_typeET4_jRbjT5_S1E_jjP12ihipStream_tbEUljE_ZNSN_ISO_Lb1ESQ_SR_ST_SU_SY_EESZ_S10_S11_S12_S16_S17_S18_S1B_S1C_jS1D_jS1E_S1E_jjS1G_bEUljE0_EEESZ_S10_S11_S18_S1C_S1E_T6_T7_T9_mT8_S1G_bDpT10_ENKUlT_T0_E_clISt17integral_constantIbLb1EES1U_EEDaS1P_S1Q_EUlS1P_E_NS1_11comp_targetILNS1_3genE3ELNS1_11target_archE908ELNS1_3gpuE7ELNS1_3repE0EEENS1_30default_config_static_selectorELNS0_4arch9wavefront6targetE0EEEvS12_
; %bb.0:
	.section	.rodata,"a",@progbits
	.p2align	6, 0x0
	.amdhsa_kernel _ZN7rocprim17ROCPRIM_400000_NS6detail17trampoline_kernelINS0_13select_configILj256ELj13ELNS0_17block_load_methodE3ELS4_3ELS4_3ELNS0_20block_scan_algorithmE0ELj4294967295EEENS1_25partition_config_selectorILNS1_17partition_subalgoE4EjNS0_10empty_typeEbEEZZNS1_14partition_implILS8_4ELb0ES6_15HIP_vector_typeIjLj2EENS0_17counting_iteratorIjlEEPS9_SG_NS0_5tupleIJPjSI_NS0_16reverse_iteratorISI_EEEEENSH_IJSG_SG_SG_EEES9_SI_JZNS1_25segmented_radix_sort_implINS0_14default_configELb1EPKaPaPKlPlN2at6native12_GLOBAL__N_18offset_tEEE10hipError_tPvRmT1_PNSt15iterator_traitsIS12_E10value_typeET2_T3_PNS13_IS18_E10value_typeET4_jRbjT5_S1E_jjP12ihipStream_tbEUljE_ZNSN_ISO_Lb1ESQ_SR_ST_SU_SY_EESZ_S10_S11_S12_S16_S17_S18_S1B_S1C_jS1D_jS1E_S1E_jjS1G_bEUljE0_EEESZ_S10_S11_S18_S1C_S1E_T6_T7_T9_mT8_S1G_bDpT10_ENKUlT_T0_E_clISt17integral_constantIbLb1EES1U_EEDaS1P_S1Q_EUlS1P_E_NS1_11comp_targetILNS1_3genE3ELNS1_11target_archE908ELNS1_3gpuE7ELNS1_3repE0EEENS1_30default_config_static_selectorELNS0_4arch9wavefront6targetE0EEEvS12_
		.amdhsa_group_segment_fixed_size 0
		.amdhsa_private_segment_fixed_size 0
		.amdhsa_kernarg_size 184
		.amdhsa_user_sgpr_count 6
		.amdhsa_user_sgpr_private_segment_buffer 1
		.amdhsa_user_sgpr_dispatch_ptr 0
		.amdhsa_user_sgpr_queue_ptr 0
		.amdhsa_user_sgpr_kernarg_segment_ptr 1
		.amdhsa_user_sgpr_dispatch_id 0
		.amdhsa_user_sgpr_flat_scratch_init 0
		.amdhsa_user_sgpr_private_segment_size 0
		.amdhsa_wavefront_size32 1
		.amdhsa_uses_dynamic_stack 0
		.amdhsa_system_sgpr_private_segment_wavefront_offset 0
		.amdhsa_system_sgpr_workgroup_id_x 1
		.amdhsa_system_sgpr_workgroup_id_y 0
		.amdhsa_system_sgpr_workgroup_id_z 0
		.amdhsa_system_sgpr_workgroup_info 0
		.amdhsa_system_vgpr_workitem_id 0
		.amdhsa_next_free_vgpr 1
		.amdhsa_next_free_sgpr 1
		.amdhsa_reserve_vcc 0
		.amdhsa_reserve_flat_scratch 0
		.amdhsa_float_round_mode_32 0
		.amdhsa_float_round_mode_16_64 0
		.amdhsa_float_denorm_mode_32 3
		.amdhsa_float_denorm_mode_16_64 3
		.amdhsa_dx10_clamp 1
		.amdhsa_ieee_mode 1
		.amdhsa_fp16_overflow 0
		.amdhsa_workgroup_processor_mode 1
		.amdhsa_memory_ordered 1
		.amdhsa_forward_progress 1
		.amdhsa_shared_vgpr_count 0
		.amdhsa_exception_fp_ieee_invalid_op 0
		.amdhsa_exception_fp_denorm_src 0
		.amdhsa_exception_fp_ieee_div_zero 0
		.amdhsa_exception_fp_ieee_overflow 0
		.amdhsa_exception_fp_ieee_underflow 0
		.amdhsa_exception_fp_ieee_inexact 0
		.amdhsa_exception_int_div_zero 0
	.end_amdhsa_kernel
	.section	.text._ZN7rocprim17ROCPRIM_400000_NS6detail17trampoline_kernelINS0_13select_configILj256ELj13ELNS0_17block_load_methodE3ELS4_3ELS4_3ELNS0_20block_scan_algorithmE0ELj4294967295EEENS1_25partition_config_selectorILNS1_17partition_subalgoE4EjNS0_10empty_typeEbEEZZNS1_14partition_implILS8_4ELb0ES6_15HIP_vector_typeIjLj2EENS0_17counting_iteratorIjlEEPS9_SG_NS0_5tupleIJPjSI_NS0_16reverse_iteratorISI_EEEEENSH_IJSG_SG_SG_EEES9_SI_JZNS1_25segmented_radix_sort_implINS0_14default_configELb1EPKaPaPKlPlN2at6native12_GLOBAL__N_18offset_tEEE10hipError_tPvRmT1_PNSt15iterator_traitsIS12_E10value_typeET2_T3_PNS13_IS18_E10value_typeET4_jRbjT5_S1E_jjP12ihipStream_tbEUljE_ZNSN_ISO_Lb1ESQ_SR_ST_SU_SY_EESZ_S10_S11_S12_S16_S17_S18_S1B_S1C_jS1D_jS1E_S1E_jjS1G_bEUljE0_EEESZ_S10_S11_S18_S1C_S1E_T6_T7_T9_mT8_S1G_bDpT10_ENKUlT_T0_E_clISt17integral_constantIbLb1EES1U_EEDaS1P_S1Q_EUlS1P_E_NS1_11comp_targetILNS1_3genE3ELNS1_11target_archE908ELNS1_3gpuE7ELNS1_3repE0EEENS1_30default_config_static_selectorELNS0_4arch9wavefront6targetE0EEEvS12_,"axG",@progbits,_ZN7rocprim17ROCPRIM_400000_NS6detail17trampoline_kernelINS0_13select_configILj256ELj13ELNS0_17block_load_methodE3ELS4_3ELS4_3ELNS0_20block_scan_algorithmE0ELj4294967295EEENS1_25partition_config_selectorILNS1_17partition_subalgoE4EjNS0_10empty_typeEbEEZZNS1_14partition_implILS8_4ELb0ES6_15HIP_vector_typeIjLj2EENS0_17counting_iteratorIjlEEPS9_SG_NS0_5tupleIJPjSI_NS0_16reverse_iteratorISI_EEEEENSH_IJSG_SG_SG_EEES9_SI_JZNS1_25segmented_radix_sort_implINS0_14default_configELb1EPKaPaPKlPlN2at6native12_GLOBAL__N_18offset_tEEE10hipError_tPvRmT1_PNSt15iterator_traitsIS12_E10value_typeET2_T3_PNS13_IS18_E10value_typeET4_jRbjT5_S1E_jjP12ihipStream_tbEUljE_ZNSN_ISO_Lb1ESQ_SR_ST_SU_SY_EESZ_S10_S11_S12_S16_S17_S18_S1B_S1C_jS1D_jS1E_S1E_jjS1G_bEUljE0_EEESZ_S10_S11_S18_S1C_S1E_T6_T7_T9_mT8_S1G_bDpT10_ENKUlT_T0_E_clISt17integral_constantIbLb1EES1U_EEDaS1P_S1Q_EUlS1P_E_NS1_11comp_targetILNS1_3genE3ELNS1_11target_archE908ELNS1_3gpuE7ELNS1_3repE0EEENS1_30default_config_static_selectorELNS0_4arch9wavefront6targetE0EEEvS12_,comdat
.Lfunc_end235:
	.size	_ZN7rocprim17ROCPRIM_400000_NS6detail17trampoline_kernelINS0_13select_configILj256ELj13ELNS0_17block_load_methodE3ELS4_3ELS4_3ELNS0_20block_scan_algorithmE0ELj4294967295EEENS1_25partition_config_selectorILNS1_17partition_subalgoE4EjNS0_10empty_typeEbEEZZNS1_14partition_implILS8_4ELb0ES6_15HIP_vector_typeIjLj2EENS0_17counting_iteratorIjlEEPS9_SG_NS0_5tupleIJPjSI_NS0_16reverse_iteratorISI_EEEEENSH_IJSG_SG_SG_EEES9_SI_JZNS1_25segmented_radix_sort_implINS0_14default_configELb1EPKaPaPKlPlN2at6native12_GLOBAL__N_18offset_tEEE10hipError_tPvRmT1_PNSt15iterator_traitsIS12_E10value_typeET2_T3_PNS13_IS18_E10value_typeET4_jRbjT5_S1E_jjP12ihipStream_tbEUljE_ZNSN_ISO_Lb1ESQ_SR_ST_SU_SY_EESZ_S10_S11_S12_S16_S17_S18_S1B_S1C_jS1D_jS1E_S1E_jjS1G_bEUljE0_EEESZ_S10_S11_S18_S1C_S1E_T6_T7_T9_mT8_S1G_bDpT10_ENKUlT_T0_E_clISt17integral_constantIbLb1EES1U_EEDaS1P_S1Q_EUlS1P_E_NS1_11comp_targetILNS1_3genE3ELNS1_11target_archE908ELNS1_3gpuE7ELNS1_3repE0EEENS1_30default_config_static_selectorELNS0_4arch9wavefront6targetE0EEEvS12_, .Lfunc_end235-_ZN7rocprim17ROCPRIM_400000_NS6detail17trampoline_kernelINS0_13select_configILj256ELj13ELNS0_17block_load_methodE3ELS4_3ELS4_3ELNS0_20block_scan_algorithmE0ELj4294967295EEENS1_25partition_config_selectorILNS1_17partition_subalgoE4EjNS0_10empty_typeEbEEZZNS1_14partition_implILS8_4ELb0ES6_15HIP_vector_typeIjLj2EENS0_17counting_iteratorIjlEEPS9_SG_NS0_5tupleIJPjSI_NS0_16reverse_iteratorISI_EEEEENSH_IJSG_SG_SG_EEES9_SI_JZNS1_25segmented_radix_sort_implINS0_14default_configELb1EPKaPaPKlPlN2at6native12_GLOBAL__N_18offset_tEEE10hipError_tPvRmT1_PNSt15iterator_traitsIS12_E10value_typeET2_T3_PNS13_IS18_E10value_typeET4_jRbjT5_S1E_jjP12ihipStream_tbEUljE_ZNSN_ISO_Lb1ESQ_SR_ST_SU_SY_EESZ_S10_S11_S12_S16_S17_S18_S1B_S1C_jS1D_jS1E_S1E_jjS1G_bEUljE0_EEESZ_S10_S11_S18_S1C_S1E_T6_T7_T9_mT8_S1G_bDpT10_ENKUlT_T0_E_clISt17integral_constantIbLb1EES1U_EEDaS1P_S1Q_EUlS1P_E_NS1_11comp_targetILNS1_3genE3ELNS1_11target_archE908ELNS1_3gpuE7ELNS1_3repE0EEENS1_30default_config_static_selectorELNS0_4arch9wavefront6targetE0EEEvS12_
                                        ; -- End function
	.set _ZN7rocprim17ROCPRIM_400000_NS6detail17trampoline_kernelINS0_13select_configILj256ELj13ELNS0_17block_load_methodE3ELS4_3ELS4_3ELNS0_20block_scan_algorithmE0ELj4294967295EEENS1_25partition_config_selectorILNS1_17partition_subalgoE4EjNS0_10empty_typeEbEEZZNS1_14partition_implILS8_4ELb0ES6_15HIP_vector_typeIjLj2EENS0_17counting_iteratorIjlEEPS9_SG_NS0_5tupleIJPjSI_NS0_16reverse_iteratorISI_EEEEENSH_IJSG_SG_SG_EEES9_SI_JZNS1_25segmented_radix_sort_implINS0_14default_configELb1EPKaPaPKlPlN2at6native12_GLOBAL__N_18offset_tEEE10hipError_tPvRmT1_PNSt15iterator_traitsIS12_E10value_typeET2_T3_PNS13_IS18_E10value_typeET4_jRbjT5_S1E_jjP12ihipStream_tbEUljE_ZNSN_ISO_Lb1ESQ_SR_ST_SU_SY_EESZ_S10_S11_S12_S16_S17_S18_S1B_S1C_jS1D_jS1E_S1E_jjS1G_bEUljE0_EEESZ_S10_S11_S18_S1C_S1E_T6_T7_T9_mT8_S1G_bDpT10_ENKUlT_T0_E_clISt17integral_constantIbLb1EES1U_EEDaS1P_S1Q_EUlS1P_E_NS1_11comp_targetILNS1_3genE3ELNS1_11target_archE908ELNS1_3gpuE7ELNS1_3repE0EEENS1_30default_config_static_selectorELNS0_4arch9wavefront6targetE0EEEvS12_.num_vgpr, 0
	.set _ZN7rocprim17ROCPRIM_400000_NS6detail17trampoline_kernelINS0_13select_configILj256ELj13ELNS0_17block_load_methodE3ELS4_3ELS4_3ELNS0_20block_scan_algorithmE0ELj4294967295EEENS1_25partition_config_selectorILNS1_17partition_subalgoE4EjNS0_10empty_typeEbEEZZNS1_14partition_implILS8_4ELb0ES6_15HIP_vector_typeIjLj2EENS0_17counting_iteratorIjlEEPS9_SG_NS0_5tupleIJPjSI_NS0_16reverse_iteratorISI_EEEEENSH_IJSG_SG_SG_EEES9_SI_JZNS1_25segmented_radix_sort_implINS0_14default_configELb1EPKaPaPKlPlN2at6native12_GLOBAL__N_18offset_tEEE10hipError_tPvRmT1_PNSt15iterator_traitsIS12_E10value_typeET2_T3_PNS13_IS18_E10value_typeET4_jRbjT5_S1E_jjP12ihipStream_tbEUljE_ZNSN_ISO_Lb1ESQ_SR_ST_SU_SY_EESZ_S10_S11_S12_S16_S17_S18_S1B_S1C_jS1D_jS1E_S1E_jjS1G_bEUljE0_EEESZ_S10_S11_S18_S1C_S1E_T6_T7_T9_mT8_S1G_bDpT10_ENKUlT_T0_E_clISt17integral_constantIbLb1EES1U_EEDaS1P_S1Q_EUlS1P_E_NS1_11comp_targetILNS1_3genE3ELNS1_11target_archE908ELNS1_3gpuE7ELNS1_3repE0EEENS1_30default_config_static_selectorELNS0_4arch9wavefront6targetE0EEEvS12_.num_agpr, 0
	.set _ZN7rocprim17ROCPRIM_400000_NS6detail17trampoline_kernelINS0_13select_configILj256ELj13ELNS0_17block_load_methodE3ELS4_3ELS4_3ELNS0_20block_scan_algorithmE0ELj4294967295EEENS1_25partition_config_selectorILNS1_17partition_subalgoE4EjNS0_10empty_typeEbEEZZNS1_14partition_implILS8_4ELb0ES6_15HIP_vector_typeIjLj2EENS0_17counting_iteratorIjlEEPS9_SG_NS0_5tupleIJPjSI_NS0_16reverse_iteratorISI_EEEEENSH_IJSG_SG_SG_EEES9_SI_JZNS1_25segmented_radix_sort_implINS0_14default_configELb1EPKaPaPKlPlN2at6native12_GLOBAL__N_18offset_tEEE10hipError_tPvRmT1_PNSt15iterator_traitsIS12_E10value_typeET2_T3_PNS13_IS18_E10value_typeET4_jRbjT5_S1E_jjP12ihipStream_tbEUljE_ZNSN_ISO_Lb1ESQ_SR_ST_SU_SY_EESZ_S10_S11_S12_S16_S17_S18_S1B_S1C_jS1D_jS1E_S1E_jjS1G_bEUljE0_EEESZ_S10_S11_S18_S1C_S1E_T6_T7_T9_mT8_S1G_bDpT10_ENKUlT_T0_E_clISt17integral_constantIbLb1EES1U_EEDaS1P_S1Q_EUlS1P_E_NS1_11comp_targetILNS1_3genE3ELNS1_11target_archE908ELNS1_3gpuE7ELNS1_3repE0EEENS1_30default_config_static_selectorELNS0_4arch9wavefront6targetE0EEEvS12_.numbered_sgpr, 0
	.set _ZN7rocprim17ROCPRIM_400000_NS6detail17trampoline_kernelINS0_13select_configILj256ELj13ELNS0_17block_load_methodE3ELS4_3ELS4_3ELNS0_20block_scan_algorithmE0ELj4294967295EEENS1_25partition_config_selectorILNS1_17partition_subalgoE4EjNS0_10empty_typeEbEEZZNS1_14partition_implILS8_4ELb0ES6_15HIP_vector_typeIjLj2EENS0_17counting_iteratorIjlEEPS9_SG_NS0_5tupleIJPjSI_NS0_16reverse_iteratorISI_EEEEENSH_IJSG_SG_SG_EEES9_SI_JZNS1_25segmented_radix_sort_implINS0_14default_configELb1EPKaPaPKlPlN2at6native12_GLOBAL__N_18offset_tEEE10hipError_tPvRmT1_PNSt15iterator_traitsIS12_E10value_typeET2_T3_PNS13_IS18_E10value_typeET4_jRbjT5_S1E_jjP12ihipStream_tbEUljE_ZNSN_ISO_Lb1ESQ_SR_ST_SU_SY_EESZ_S10_S11_S12_S16_S17_S18_S1B_S1C_jS1D_jS1E_S1E_jjS1G_bEUljE0_EEESZ_S10_S11_S18_S1C_S1E_T6_T7_T9_mT8_S1G_bDpT10_ENKUlT_T0_E_clISt17integral_constantIbLb1EES1U_EEDaS1P_S1Q_EUlS1P_E_NS1_11comp_targetILNS1_3genE3ELNS1_11target_archE908ELNS1_3gpuE7ELNS1_3repE0EEENS1_30default_config_static_selectorELNS0_4arch9wavefront6targetE0EEEvS12_.num_named_barrier, 0
	.set _ZN7rocprim17ROCPRIM_400000_NS6detail17trampoline_kernelINS0_13select_configILj256ELj13ELNS0_17block_load_methodE3ELS4_3ELS4_3ELNS0_20block_scan_algorithmE0ELj4294967295EEENS1_25partition_config_selectorILNS1_17partition_subalgoE4EjNS0_10empty_typeEbEEZZNS1_14partition_implILS8_4ELb0ES6_15HIP_vector_typeIjLj2EENS0_17counting_iteratorIjlEEPS9_SG_NS0_5tupleIJPjSI_NS0_16reverse_iteratorISI_EEEEENSH_IJSG_SG_SG_EEES9_SI_JZNS1_25segmented_radix_sort_implINS0_14default_configELb1EPKaPaPKlPlN2at6native12_GLOBAL__N_18offset_tEEE10hipError_tPvRmT1_PNSt15iterator_traitsIS12_E10value_typeET2_T3_PNS13_IS18_E10value_typeET4_jRbjT5_S1E_jjP12ihipStream_tbEUljE_ZNSN_ISO_Lb1ESQ_SR_ST_SU_SY_EESZ_S10_S11_S12_S16_S17_S18_S1B_S1C_jS1D_jS1E_S1E_jjS1G_bEUljE0_EEESZ_S10_S11_S18_S1C_S1E_T6_T7_T9_mT8_S1G_bDpT10_ENKUlT_T0_E_clISt17integral_constantIbLb1EES1U_EEDaS1P_S1Q_EUlS1P_E_NS1_11comp_targetILNS1_3genE3ELNS1_11target_archE908ELNS1_3gpuE7ELNS1_3repE0EEENS1_30default_config_static_selectorELNS0_4arch9wavefront6targetE0EEEvS12_.private_seg_size, 0
	.set _ZN7rocprim17ROCPRIM_400000_NS6detail17trampoline_kernelINS0_13select_configILj256ELj13ELNS0_17block_load_methodE3ELS4_3ELS4_3ELNS0_20block_scan_algorithmE0ELj4294967295EEENS1_25partition_config_selectorILNS1_17partition_subalgoE4EjNS0_10empty_typeEbEEZZNS1_14partition_implILS8_4ELb0ES6_15HIP_vector_typeIjLj2EENS0_17counting_iteratorIjlEEPS9_SG_NS0_5tupleIJPjSI_NS0_16reverse_iteratorISI_EEEEENSH_IJSG_SG_SG_EEES9_SI_JZNS1_25segmented_radix_sort_implINS0_14default_configELb1EPKaPaPKlPlN2at6native12_GLOBAL__N_18offset_tEEE10hipError_tPvRmT1_PNSt15iterator_traitsIS12_E10value_typeET2_T3_PNS13_IS18_E10value_typeET4_jRbjT5_S1E_jjP12ihipStream_tbEUljE_ZNSN_ISO_Lb1ESQ_SR_ST_SU_SY_EESZ_S10_S11_S12_S16_S17_S18_S1B_S1C_jS1D_jS1E_S1E_jjS1G_bEUljE0_EEESZ_S10_S11_S18_S1C_S1E_T6_T7_T9_mT8_S1G_bDpT10_ENKUlT_T0_E_clISt17integral_constantIbLb1EES1U_EEDaS1P_S1Q_EUlS1P_E_NS1_11comp_targetILNS1_3genE3ELNS1_11target_archE908ELNS1_3gpuE7ELNS1_3repE0EEENS1_30default_config_static_selectorELNS0_4arch9wavefront6targetE0EEEvS12_.uses_vcc, 0
	.set _ZN7rocprim17ROCPRIM_400000_NS6detail17trampoline_kernelINS0_13select_configILj256ELj13ELNS0_17block_load_methodE3ELS4_3ELS4_3ELNS0_20block_scan_algorithmE0ELj4294967295EEENS1_25partition_config_selectorILNS1_17partition_subalgoE4EjNS0_10empty_typeEbEEZZNS1_14partition_implILS8_4ELb0ES6_15HIP_vector_typeIjLj2EENS0_17counting_iteratorIjlEEPS9_SG_NS0_5tupleIJPjSI_NS0_16reverse_iteratorISI_EEEEENSH_IJSG_SG_SG_EEES9_SI_JZNS1_25segmented_radix_sort_implINS0_14default_configELb1EPKaPaPKlPlN2at6native12_GLOBAL__N_18offset_tEEE10hipError_tPvRmT1_PNSt15iterator_traitsIS12_E10value_typeET2_T3_PNS13_IS18_E10value_typeET4_jRbjT5_S1E_jjP12ihipStream_tbEUljE_ZNSN_ISO_Lb1ESQ_SR_ST_SU_SY_EESZ_S10_S11_S12_S16_S17_S18_S1B_S1C_jS1D_jS1E_S1E_jjS1G_bEUljE0_EEESZ_S10_S11_S18_S1C_S1E_T6_T7_T9_mT8_S1G_bDpT10_ENKUlT_T0_E_clISt17integral_constantIbLb1EES1U_EEDaS1P_S1Q_EUlS1P_E_NS1_11comp_targetILNS1_3genE3ELNS1_11target_archE908ELNS1_3gpuE7ELNS1_3repE0EEENS1_30default_config_static_selectorELNS0_4arch9wavefront6targetE0EEEvS12_.uses_flat_scratch, 0
	.set _ZN7rocprim17ROCPRIM_400000_NS6detail17trampoline_kernelINS0_13select_configILj256ELj13ELNS0_17block_load_methodE3ELS4_3ELS4_3ELNS0_20block_scan_algorithmE0ELj4294967295EEENS1_25partition_config_selectorILNS1_17partition_subalgoE4EjNS0_10empty_typeEbEEZZNS1_14partition_implILS8_4ELb0ES6_15HIP_vector_typeIjLj2EENS0_17counting_iteratorIjlEEPS9_SG_NS0_5tupleIJPjSI_NS0_16reverse_iteratorISI_EEEEENSH_IJSG_SG_SG_EEES9_SI_JZNS1_25segmented_radix_sort_implINS0_14default_configELb1EPKaPaPKlPlN2at6native12_GLOBAL__N_18offset_tEEE10hipError_tPvRmT1_PNSt15iterator_traitsIS12_E10value_typeET2_T3_PNS13_IS18_E10value_typeET4_jRbjT5_S1E_jjP12ihipStream_tbEUljE_ZNSN_ISO_Lb1ESQ_SR_ST_SU_SY_EESZ_S10_S11_S12_S16_S17_S18_S1B_S1C_jS1D_jS1E_S1E_jjS1G_bEUljE0_EEESZ_S10_S11_S18_S1C_S1E_T6_T7_T9_mT8_S1G_bDpT10_ENKUlT_T0_E_clISt17integral_constantIbLb1EES1U_EEDaS1P_S1Q_EUlS1P_E_NS1_11comp_targetILNS1_3genE3ELNS1_11target_archE908ELNS1_3gpuE7ELNS1_3repE0EEENS1_30default_config_static_selectorELNS0_4arch9wavefront6targetE0EEEvS12_.has_dyn_sized_stack, 0
	.set _ZN7rocprim17ROCPRIM_400000_NS6detail17trampoline_kernelINS0_13select_configILj256ELj13ELNS0_17block_load_methodE3ELS4_3ELS4_3ELNS0_20block_scan_algorithmE0ELj4294967295EEENS1_25partition_config_selectorILNS1_17partition_subalgoE4EjNS0_10empty_typeEbEEZZNS1_14partition_implILS8_4ELb0ES6_15HIP_vector_typeIjLj2EENS0_17counting_iteratorIjlEEPS9_SG_NS0_5tupleIJPjSI_NS0_16reverse_iteratorISI_EEEEENSH_IJSG_SG_SG_EEES9_SI_JZNS1_25segmented_radix_sort_implINS0_14default_configELb1EPKaPaPKlPlN2at6native12_GLOBAL__N_18offset_tEEE10hipError_tPvRmT1_PNSt15iterator_traitsIS12_E10value_typeET2_T3_PNS13_IS18_E10value_typeET4_jRbjT5_S1E_jjP12ihipStream_tbEUljE_ZNSN_ISO_Lb1ESQ_SR_ST_SU_SY_EESZ_S10_S11_S12_S16_S17_S18_S1B_S1C_jS1D_jS1E_S1E_jjS1G_bEUljE0_EEESZ_S10_S11_S18_S1C_S1E_T6_T7_T9_mT8_S1G_bDpT10_ENKUlT_T0_E_clISt17integral_constantIbLb1EES1U_EEDaS1P_S1Q_EUlS1P_E_NS1_11comp_targetILNS1_3genE3ELNS1_11target_archE908ELNS1_3gpuE7ELNS1_3repE0EEENS1_30default_config_static_selectorELNS0_4arch9wavefront6targetE0EEEvS12_.has_recursion, 0
	.set _ZN7rocprim17ROCPRIM_400000_NS6detail17trampoline_kernelINS0_13select_configILj256ELj13ELNS0_17block_load_methodE3ELS4_3ELS4_3ELNS0_20block_scan_algorithmE0ELj4294967295EEENS1_25partition_config_selectorILNS1_17partition_subalgoE4EjNS0_10empty_typeEbEEZZNS1_14partition_implILS8_4ELb0ES6_15HIP_vector_typeIjLj2EENS0_17counting_iteratorIjlEEPS9_SG_NS0_5tupleIJPjSI_NS0_16reverse_iteratorISI_EEEEENSH_IJSG_SG_SG_EEES9_SI_JZNS1_25segmented_radix_sort_implINS0_14default_configELb1EPKaPaPKlPlN2at6native12_GLOBAL__N_18offset_tEEE10hipError_tPvRmT1_PNSt15iterator_traitsIS12_E10value_typeET2_T3_PNS13_IS18_E10value_typeET4_jRbjT5_S1E_jjP12ihipStream_tbEUljE_ZNSN_ISO_Lb1ESQ_SR_ST_SU_SY_EESZ_S10_S11_S12_S16_S17_S18_S1B_S1C_jS1D_jS1E_S1E_jjS1G_bEUljE0_EEESZ_S10_S11_S18_S1C_S1E_T6_T7_T9_mT8_S1G_bDpT10_ENKUlT_T0_E_clISt17integral_constantIbLb1EES1U_EEDaS1P_S1Q_EUlS1P_E_NS1_11comp_targetILNS1_3genE3ELNS1_11target_archE908ELNS1_3gpuE7ELNS1_3repE0EEENS1_30default_config_static_selectorELNS0_4arch9wavefront6targetE0EEEvS12_.has_indirect_call, 0
	.section	.AMDGPU.csdata,"",@progbits
; Kernel info:
; codeLenInByte = 0
; TotalNumSgprs: 0
; NumVgprs: 0
; ScratchSize: 0
; MemoryBound: 0
; FloatMode: 240
; IeeeMode: 1
; LDSByteSize: 0 bytes/workgroup (compile time only)
; SGPRBlocks: 0
; VGPRBlocks: 0
; NumSGPRsForWavesPerEU: 1
; NumVGPRsForWavesPerEU: 1
; Occupancy: 16
; WaveLimiterHint : 0
; COMPUTE_PGM_RSRC2:SCRATCH_EN: 0
; COMPUTE_PGM_RSRC2:USER_SGPR: 6
; COMPUTE_PGM_RSRC2:TRAP_HANDLER: 0
; COMPUTE_PGM_RSRC2:TGID_X_EN: 1
; COMPUTE_PGM_RSRC2:TGID_Y_EN: 0
; COMPUTE_PGM_RSRC2:TGID_Z_EN: 0
; COMPUTE_PGM_RSRC2:TIDIG_COMP_CNT: 0
	.section	.text._ZN7rocprim17ROCPRIM_400000_NS6detail17trampoline_kernelINS0_13select_configILj256ELj13ELNS0_17block_load_methodE3ELS4_3ELS4_3ELNS0_20block_scan_algorithmE0ELj4294967295EEENS1_25partition_config_selectorILNS1_17partition_subalgoE4EjNS0_10empty_typeEbEEZZNS1_14partition_implILS8_4ELb0ES6_15HIP_vector_typeIjLj2EENS0_17counting_iteratorIjlEEPS9_SG_NS0_5tupleIJPjSI_NS0_16reverse_iteratorISI_EEEEENSH_IJSG_SG_SG_EEES9_SI_JZNS1_25segmented_radix_sort_implINS0_14default_configELb1EPKaPaPKlPlN2at6native12_GLOBAL__N_18offset_tEEE10hipError_tPvRmT1_PNSt15iterator_traitsIS12_E10value_typeET2_T3_PNS13_IS18_E10value_typeET4_jRbjT5_S1E_jjP12ihipStream_tbEUljE_ZNSN_ISO_Lb1ESQ_SR_ST_SU_SY_EESZ_S10_S11_S12_S16_S17_S18_S1B_S1C_jS1D_jS1E_S1E_jjS1G_bEUljE0_EEESZ_S10_S11_S18_S1C_S1E_T6_T7_T9_mT8_S1G_bDpT10_ENKUlT_T0_E_clISt17integral_constantIbLb1EES1U_EEDaS1P_S1Q_EUlS1P_E_NS1_11comp_targetILNS1_3genE2ELNS1_11target_archE906ELNS1_3gpuE6ELNS1_3repE0EEENS1_30default_config_static_selectorELNS0_4arch9wavefront6targetE0EEEvS12_,"axG",@progbits,_ZN7rocprim17ROCPRIM_400000_NS6detail17trampoline_kernelINS0_13select_configILj256ELj13ELNS0_17block_load_methodE3ELS4_3ELS4_3ELNS0_20block_scan_algorithmE0ELj4294967295EEENS1_25partition_config_selectorILNS1_17partition_subalgoE4EjNS0_10empty_typeEbEEZZNS1_14partition_implILS8_4ELb0ES6_15HIP_vector_typeIjLj2EENS0_17counting_iteratorIjlEEPS9_SG_NS0_5tupleIJPjSI_NS0_16reverse_iteratorISI_EEEEENSH_IJSG_SG_SG_EEES9_SI_JZNS1_25segmented_radix_sort_implINS0_14default_configELb1EPKaPaPKlPlN2at6native12_GLOBAL__N_18offset_tEEE10hipError_tPvRmT1_PNSt15iterator_traitsIS12_E10value_typeET2_T3_PNS13_IS18_E10value_typeET4_jRbjT5_S1E_jjP12ihipStream_tbEUljE_ZNSN_ISO_Lb1ESQ_SR_ST_SU_SY_EESZ_S10_S11_S12_S16_S17_S18_S1B_S1C_jS1D_jS1E_S1E_jjS1G_bEUljE0_EEESZ_S10_S11_S18_S1C_S1E_T6_T7_T9_mT8_S1G_bDpT10_ENKUlT_T0_E_clISt17integral_constantIbLb1EES1U_EEDaS1P_S1Q_EUlS1P_E_NS1_11comp_targetILNS1_3genE2ELNS1_11target_archE906ELNS1_3gpuE6ELNS1_3repE0EEENS1_30default_config_static_selectorELNS0_4arch9wavefront6targetE0EEEvS12_,comdat
	.globl	_ZN7rocprim17ROCPRIM_400000_NS6detail17trampoline_kernelINS0_13select_configILj256ELj13ELNS0_17block_load_methodE3ELS4_3ELS4_3ELNS0_20block_scan_algorithmE0ELj4294967295EEENS1_25partition_config_selectorILNS1_17partition_subalgoE4EjNS0_10empty_typeEbEEZZNS1_14partition_implILS8_4ELb0ES6_15HIP_vector_typeIjLj2EENS0_17counting_iteratorIjlEEPS9_SG_NS0_5tupleIJPjSI_NS0_16reverse_iteratorISI_EEEEENSH_IJSG_SG_SG_EEES9_SI_JZNS1_25segmented_radix_sort_implINS0_14default_configELb1EPKaPaPKlPlN2at6native12_GLOBAL__N_18offset_tEEE10hipError_tPvRmT1_PNSt15iterator_traitsIS12_E10value_typeET2_T3_PNS13_IS18_E10value_typeET4_jRbjT5_S1E_jjP12ihipStream_tbEUljE_ZNSN_ISO_Lb1ESQ_SR_ST_SU_SY_EESZ_S10_S11_S12_S16_S17_S18_S1B_S1C_jS1D_jS1E_S1E_jjS1G_bEUljE0_EEESZ_S10_S11_S18_S1C_S1E_T6_T7_T9_mT8_S1G_bDpT10_ENKUlT_T0_E_clISt17integral_constantIbLb1EES1U_EEDaS1P_S1Q_EUlS1P_E_NS1_11comp_targetILNS1_3genE2ELNS1_11target_archE906ELNS1_3gpuE6ELNS1_3repE0EEENS1_30default_config_static_selectorELNS0_4arch9wavefront6targetE0EEEvS12_ ; -- Begin function _ZN7rocprim17ROCPRIM_400000_NS6detail17trampoline_kernelINS0_13select_configILj256ELj13ELNS0_17block_load_methodE3ELS4_3ELS4_3ELNS0_20block_scan_algorithmE0ELj4294967295EEENS1_25partition_config_selectorILNS1_17partition_subalgoE4EjNS0_10empty_typeEbEEZZNS1_14partition_implILS8_4ELb0ES6_15HIP_vector_typeIjLj2EENS0_17counting_iteratorIjlEEPS9_SG_NS0_5tupleIJPjSI_NS0_16reverse_iteratorISI_EEEEENSH_IJSG_SG_SG_EEES9_SI_JZNS1_25segmented_radix_sort_implINS0_14default_configELb1EPKaPaPKlPlN2at6native12_GLOBAL__N_18offset_tEEE10hipError_tPvRmT1_PNSt15iterator_traitsIS12_E10value_typeET2_T3_PNS13_IS18_E10value_typeET4_jRbjT5_S1E_jjP12ihipStream_tbEUljE_ZNSN_ISO_Lb1ESQ_SR_ST_SU_SY_EESZ_S10_S11_S12_S16_S17_S18_S1B_S1C_jS1D_jS1E_S1E_jjS1G_bEUljE0_EEESZ_S10_S11_S18_S1C_S1E_T6_T7_T9_mT8_S1G_bDpT10_ENKUlT_T0_E_clISt17integral_constantIbLb1EES1U_EEDaS1P_S1Q_EUlS1P_E_NS1_11comp_targetILNS1_3genE2ELNS1_11target_archE906ELNS1_3gpuE6ELNS1_3repE0EEENS1_30default_config_static_selectorELNS0_4arch9wavefront6targetE0EEEvS12_
	.p2align	8
	.type	_ZN7rocprim17ROCPRIM_400000_NS6detail17trampoline_kernelINS0_13select_configILj256ELj13ELNS0_17block_load_methodE3ELS4_3ELS4_3ELNS0_20block_scan_algorithmE0ELj4294967295EEENS1_25partition_config_selectorILNS1_17partition_subalgoE4EjNS0_10empty_typeEbEEZZNS1_14partition_implILS8_4ELb0ES6_15HIP_vector_typeIjLj2EENS0_17counting_iteratorIjlEEPS9_SG_NS0_5tupleIJPjSI_NS0_16reverse_iteratorISI_EEEEENSH_IJSG_SG_SG_EEES9_SI_JZNS1_25segmented_radix_sort_implINS0_14default_configELb1EPKaPaPKlPlN2at6native12_GLOBAL__N_18offset_tEEE10hipError_tPvRmT1_PNSt15iterator_traitsIS12_E10value_typeET2_T3_PNS13_IS18_E10value_typeET4_jRbjT5_S1E_jjP12ihipStream_tbEUljE_ZNSN_ISO_Lb1ESQ_SR_ST_SU_SY_EESZ_S10_S11_S12_S16_S17_S18_S1B_S1C_jS1D_jS1E_S1E_jjS1G_bEUljE0_EEESZ_S10_S11_S18_S1C_S1E_T6_T7_T9_mT8_S1G_bDpT10_ENKUlT_T0_E_clISt17integral_constantIbLb1EES1U_EEDaS1P_S1Q_EUlS1P_E_NS1_11comp_targetILNS1_3genE2ELNS1_11target_archE906ELNS1_3gpuE6ELNS1_3repE0EEENS1_30default_config_static_selectorELNS0_4arch9wavefront6targetE0EEEvS12_,@function
_ZN7rocprim17ROCPRIM_400000_NS6detail17trampoline_kernelINS0_13select_configILj256ELj13ELNS0_17block_load_methodE3ELS4_3ELS4_3ELNS0_20block_scan_algorithmE0ELj4294967295EEENS1_25partition_config_selectorILNS1_17partition_subalgoE4EjNS0_10empty_typeEbEEZZNS1_14partition_implILS8_4ELb0ES6_15HIP_vector_typeIjLj2EENS0_17counting_iteratorIjlEEPS9_SG_NS0_5tupleIJPjSI_NS0_16reverse_iteratorISI_EEEEENSH_IJSG_SG_SG_EEES9_SI_JZNS1_25segmented_radix_sort_implINS0_14default_configELb1EPKaPaPKlPlN2at6native12_GLOBAL__N_18offset_tEEE10hipError_tPvRmT1_PNSt15iterator_traitsIS12_E10value_typeET2_T3_PNS13_IS18_E10value_typeET4_jRbjT5_S1E_jjP12ihipStream_tbEUljE_ZNSN_ISO_Lb1ESQ_SR_ST_SU_SY_EESZ_S10_S11_S12_S16_S17_S18_S1B_S1C_jS1D_jS1E_S1E_jjS1G_bEUljE0_EEESZ_S10_S11_S18_S1C_S1E_T6_T7_T9_mT8_S1G_bDpT10_ENKUlT_T0_E_clISt17integral_constantIbLb1EES1U_EEDaS1P_S1Q_EUlS1P_E_NS1_11comp_targetILNS1_3genE2ELNS1_11target_archE906ELNS1_3gpuE6ELNS1_3repE0EEENS1_30default_config_static_selectorELNS0_4arch9wavefront6targetE0EEEvS12_: ; @_ZN7rocprim17ROCPRIM_400000_NS6detail17trampoline_kernelINS0_13select_configILj256ELj13ELNS0_17block_load_methodE3ELS4_3ELS4_3ELNS0_20block_scan_algorithmE0ELj4294967295EEENS1_25partition_config_selectorILNS1_17partition_subalgoE4EjNS0_10empty_typeEbEEZZNS1_14partition_implILS8_4ELb0ES6_15HIP_vector_typeIjLj2EENS0_17counting_iteratorIjlEEPS9_SG_NS0_5tupleIJPjSI_NS0_16reverse_iteratorISI_EEEEENSH_IJSG_SG_SG_EEES9_SI_JZNS1_25segmented_radix_sort_implINS0_14default_configELb1EPKaPaPKlPlN2at6native12_GLOBAL__N_18offset_tEEE10hipError_tPvRmT1_PNSt15iterator_traitsIS12_E10value_typeET2_T3_PNS13_IS18_E10value_typeET4_jRbjT5_S1E_jjP12ihipStream_tbEUljE_ZNSN_ISO_Lb1ESQ_SR_ST_SU_SY_EESZ_S10_S11_S12_S16_S17_S18_S1B_S1C_jS1D_jS1E_S1E_jjS1G_bEUljE0_EEESZ_S10_S11_S18_S1C_S1E_T6_T7_T9_mT8_S1G_bDpT10_ENKUlT_T0_E_clISt17integral_constantIbLb1EES1U_EEDaS1P_S1Q_EUlS1P_E_NS1_11comp_targetILNS1_3genE2ELNS1_11target_archE906ELNS1_3gpuE6ELNS1_3repE0EEENS1_30default_config_static_selectorELNS0_4arch9wavefront6targetE0EEEvS12_
; %bb.0:
	.section	.rodata,"a",@progbits
	.p2align	6, 0x0
	.amdhsa_kernel _ZN7rocprim17ROCPRIM_400000_NS6detail17trampoline_kernelINS0_13select_configILj256ELj13ELNS0_17block_load_methodE3ELS4_3ELS4_3ELNS0_20block_scan_algorithmE0ELj4294967295EEENS1_25partition_config_selectorILNS1_17partition_subalgoE4EjNS0_10empty_typeEbEEZZNS1_14partition_implILS8_4ELb0ES6_15HIP_vector_typeIjLj2EENS0_17counting_iteratorIjlEEPS9_SG_NS0_5tupleIJPjSI_NS0_16reverse_iteratorISI_EEEEENSH_IJSG_SG_SG_EEES9_SI_JZNS1_25segmented_radix_sort_implINS0_14default_configELb1EPKaPaPKlPlN2at6native12_GLOBAL__N_18offset_tEEE10hipError_tPvRmT1_PNSt15iterator_traitsIS12_E10value_typeET2_T3_PNS13_IS18_E10value_typeET4_jRbjT5_S1E_jjP12ihipStream_tbEUljE_ZNSN_ISO_Lb1ESQ_SR_ST_SU_SY_EESZ_S10_S11_S12_S16_S17_S18_S1B_S1C_jS1D_jS1E_S1E_jjS1G_bEUljE0_EEESZ_S10_S11_S18_S1C_S1E_T6_T7_T9_mT8_S1G_bDpT10_ENKUlT_T0_E_clISt17integral_constantIbLb1EES1U_EEDaS1P_S1Q_EUlS1P_E_NS1_11comp_targetILNS1_3genE2ELNS1_11target_archE906ELNS1_3gpuE6ELNS1_3repE0EEENS1_30default_config_static_selectorELNS0_4arch9wavefront6targetE0EEEvS12_
		.amdhsa_group_segment_fixed_size 0
		.amdhsa_private_segment_fixed_size 0
		.amdhsa_kernarg_size 184
		.amdhsa_user_sgpr_count 6
		.amdhsa_user_sgpr_private_segment_buffer 1
		.amdhsa_user_sgpr_dispatch_ptr 0
		.amdhsa_user_sgpr_queue_ptr 0
		.amdhsa_user_sgpr_kernarg_segment_ptr 1
		.amdhsa_user_sgpr_dispatch_id 0
		.amdhsa_user_sgpr_flat_scratch_init 0
		.amdhsa_user_sgpr_private_segment_size 0
		.amdhsa_wavefront_size32 1
		.amdhsa_uses_dynamic_stack 0
		.amdhsa_system_sgpr_private_segment_wavefront_offset 0
		.amdhsa_system_sgpr_workgroup_id_x 1
		.amdhsa_system_sgpr_workgroup_id_y 0
		.amdhsa_system_sgpr_workgroup_id_z 0
		.amdhsa_system_sgpr_workgroup_info 0
		.amdhsa_system_vgpr_workitem_id 0
		.amdhsa_next_free_vgpr 1
		.amdhsa_next_free_sgpr 1
		.amdhsa_reserve_vcc 0
		.amdhsa_reserve_flat_scratch 0
		.amdhsa_float_round_mode_32 0
		.amdhsa_float_round_mode_16_64 0
		.amdhsa_float_denorm_mode_32 3
		.amdhsa_float_denorm_mode_16_64 3
		.amdhsa_dx10_clamp 1
		.amdhsa_ieee_mode 1
		.amdhsa_fp16_overflow 0
		.amdhsa_workgroup_processor_mode 1
		.amdhsa_memory_ordered 1
		.amdhsa_forward_progress 1
		.amdhsa_shared_vgpr_count 0
		.amdhsa_exception_fp_ieee_invalid_op 0
		.amdhsa_exception_fp_denorm_src 0
		.amdhsa_exception_fp_ieee_div_zero 0
		.amdhsa_exception_fp_ieee_overflow 0
		.amdhsa_exception_fp_ieee_underflow 0
		.amdhsa_exception_fp_ieee_inexact 0
		.amdhsa_exception_int_div_zero 0
	.end_amdhsa_kernel
	.section	.text._ZN7rocprim17ROCPRIM_400000_NS6detail17trampoline_kernelINS0_13select_configILj256ELj13ELNS0_17block_load_methodE3ELS4_3ELS4_3ELNS0_20block_scan_algorithmE0ELj4294967295EEENS1_25partition_config_selectorILNS1_17partition_subalgoE4EjNS0_10empty_typeEbEEZZNS1_14partition_implILS8_4ELb0ES6_15HIP_vector_typeIjLj2EENS0_17counting_iteratorIjlEEPS9_SG_NS0_5tupleIJPjSI_NS0_16reverse_iteratorISI_EEEEENSH_IJSG_SG_SG_EEES9_SI_JZNS1_25segmented_radix_sort_implINS0_14default_configELb1EPKaPaPKlPlN2at6native12_GLOBAL__N_18offset_tEEE10hipError_tPvRmT1_PNSt15iterator_traitsIS12_E10value_typeET2_T3_PNS13_IS18_E10value_typeET4_jRbjT5_S1E_jjP12ihipStream_tbEUljE_ZNSN_ISO_Lb1ESQ_SR_ST_SU_SY_EESZ_S10_S11_S12_S16_S17_S18_S1B_S1C_jS1D_jS1E_S1E_jjS1G_bEUljE0_EEESZ_S10_S11_S18_S1C_S1E_T6_T7_T9_mT8_S1G_bDpT10_ENKUlT_T0_E_clISt17integral_constantIbLb1EES1U_EEDaS1P_S1Q_EUlS1P_E_NS1_11comp_targetILNS1_3genE2ELNS1_11target_archE906ELNS1_3gpuE6ELNS1_3repE0EEENS1_30default_config_static_selectorELNS0_4arch9wavefront6targetE0EEEvS12_,"axG",@progbits,_ZN7rocprim17ROCPRIM_400000_NS6detail17trampoline_kernelINS0_13select_configILj256ELj13ELNS0_17block_load_methodE3ELS4_3ELS4_3ELNS0_20block_scan_algorithmE0ELj4294967295EEENS1_25partition_config_selectorILNS1_17partition_subalgoE4EjNS0_10empty_typeEbEEZZNS1_14partition_implILS8_4ELb0ES6_15HIP_vector_typeIjLj2EENS0_17counting_iteratorIjlEEPS9_SG_NS0_5tupleIJPjSI_NS0_16reverse_iteratorISI_EEEEENSH_IJSG_SG_SG_EEES9_SI_JZNS1_25segmented_radix_sort_implINS0_14default_configELb1EPKaPaPKlPlN2at6native12_GLOBAL__N_18offset_tEEE10hipError_tPvRmT1_PNSt15iterator_traitsIS12_E10value_typeET2_T3_PNS13_IS18_E10value_typeET4_jRbjT5_S1E_jjP12ihipStream_tbEUljE_ZNSN_ISO_Lb1ESQ_SR_ST_SU_SY_EESZ_S10_S11_S12_S16_S17_S18_S1B_S1C_jS1D_jS1E_S1E_jjS1G_bEUljE0_EEESZ_S10_S11_S18_S1C_S1E_T6_T7_T9_mT8_S1G_bDpT10_ENKUlT_T0_E_clISt17integral_constantIbLb1EES1U_EEDaS1P_S1Q_EUlS1P_E_NS1_11comp_targetILNS1_3genE2ELNS1_11target_archE906ELNS1_3gpuE6ELNS1_3repE0EEENS1_30default_config_static_selectorELNS0_4arch9wavefront6targetE0EEEvS12_,comdat
.Lfunc_end236:
	.size	_ZN7rocprim17ROCPRIM_400000_NS6detail17trampoline_kernelINS0_13select_configILj256ELj13ELNS0_17block_load_methodE3ELS4_3ELS4_3ELNS0_20block_scan_algorithmE0ELj4294967295EEENS1_25partition_config_selectorILNS1_17partition_subalgoE4EjNS0_10empty_typeEbEEZZNS1_14partition_implILS8_4ELb0ES6_15HIP_vector_typeIjLj2EENS0_17counting_iteratorIjlEEPS9_SG_NS0_5tupleIJPjSI_NS0_16reverse_iteratorISI_EEEEENSH_IJSG_SG_SG_EEES9_SI_JZNS1_25segmented_radix_sort_implINS0_14default_configELb1EPKaPaPKlPlN2at6native12_GLOBAL__N_18offset_tEEE10hipError_tPvRmT1_PNSt15iterator_traitsIS12_E10value_typeET2_T3_PNS13_IS18_E10value_typeET4_jRbjT5_S1E_jjP12ihipStream_tbEUljE_ZNSN_ISO_Lb1ESQ_SR_ST_SU_SY_EESZ_S10_S11_S12_S16_S17_S18_S1B_S1C_jS1D_jS1E_S1E_jjS1G_bEUljE0_EEESZ_S10_S11_S18_S1C_S1E_T6_T7_T9_mT8_S1G_bDpT10_ENKUlT_T0_E_clISt17integral_constantIbLb1EES1U_EEDaS1P_S1Q_EUlS1P_E_NS1_11comp_targetILNS1_3genE2ELNS1_11target_archE906ELNS1_3gpuE6ELNS1_3repE0EEENS1_30default_config_static_selectorELNS0_4arch9wavefront6targetE0EEEvS12_, .Lfunc_end236-_ZN7rocprim17ROCPRIM_400000_NS6detail17trampoline_kernelINS0_13select_configILj256ELj13ELNS0_17block_load_methodE3ELS4_3ELS4_3ELNS0_20block_scan_algorithmE0ELj4294967295EEENS1_25partition_config_selectorILNS1_17partition_subalgoE4EjNS0_10empty_typeEbEEZZNS1_14partition_implILS8_4ELb0ES6_15HIP_vector_typeIjLj2EENS0_17counting_iteratorIjlEEPS9_SG_NS0_5tupleIJPjSI_NS0_16reverse_iteratorISI_EEEEENSH_IJSG_SG_SG_EEES9_SI_JZNS1_25segmented_radix_sort_implINS0_14default_configELb1EPKaPaPKlPlN2at6native12_GLOBAL__N_18offset_tEEE10hipError_tPvRmT1_PNSt15iterator_traitsIS12_E10value_typeET2_T3_PNS13_IS18_E10value_typeET4_jRbjT5_S1E_jjP12ihipStream_tbEUljE_ZNSN_ISO_Lb1ESQ_SR_ST_SU_SY_EESZ_S10_S11_S12_S16_S17_S18_S1B_S1C_jS1D_jS1E_S1E_jjS1G_bEUljE0_EEESZ_S10_S11_S18_S1C_S1E_T6_T7_T9_mT8_S1G_bDpT10_ENKUlT_T0_E_clISt17integral_constantIbLb1EES1U_EEDaS1P_S1Q_EUlS1P_E_NS1_11comp_targetILNS1_3genE2ELNS1_11target_archE906ELNS1_3gpuE6ELNS1_3repE0EEENS1_30default_config_static_selectorELNS0_4arch9wavefront6targetE0EEEvS12_
                                        ; -- End function
	.set _ZN7rocprim17ROCPRIM_400000_NS6detail17trampoline_kernelINS0_13select_configILj256ELj13ELNS0_17block_load_methodE3ELS4_3ELS4_3ELNS0_20block_scan_algorithmE0ELj4294967295EEENS1_25partition_config_selectorILNS1_17partition_subalgoE4EjNS0_10empty_typeEbEEZZNS1_14partition_implILS8_4ELb0ES6_15HIP_vector_typeIjLj2EENS0_17counting_iteratorIjlEEPS9_SG_NS0_5tupleIJPjSI_NS0_16reverse_iteratorISI_EEEEENSH_IJSG_SG_SG_EEES9_SI_JZNS1_25segmented_radix_sort_implINS0_14default_configELb1EPKaPaPKlPlN2at6native12_GLOBAL__N_18offset_tEEE10hipError_tPvRmT1_PNSt15iterator_traitsIS12_E10value_typeET2_T3_PNS13_IS18_E10value_typeET4_jRbjT5_S1E_jjP12ihipStream_tbEUljE_ZNSN_ISO_Lb1ESQ_SR_ST_SU_SY_EESZ_S10_S11_S12_S16_S17_S18_S1B_S1C_jS1D_jS1E_S1E_jjS1G_bEUljE0_EEESZ_S10_S11_S18_S1C_S1E_T6_T7_T9_mT8_S1G_bDpT10_ENKUlT_T0_E_clISt17integral_constantIbLb1EES1U_EEDaS1P_S1Q_EUlS1P_E_NS1_11comp_targetILNS1_3genE2ELNS1_11target_archE906ELNS1_3gpuE6ELNS1_3repE0EEENS1_30default_config_static_selectorELNS0_4arch9wavefront6targetE0EEEvS12_.num_vgpr, 0
	.set _ZN7rocprim17ROCPRIM_400000_NS6detail17trampoline_kernelINS0_13select_configILj256ELj13ELNS0_17block_load_methodE3ELS4_3ELS4_3ELNS0_20block_scan_algorithmE0ELj4294967295EEENS1_25partition_config_selectorILNS1_17partition_subalgoE4EjNS0_10empty_typeEbEEZZNS1_14partition_implILS8_4ELb0ES6_15HIP_vector_typeIjLj2EENS0_17counting_iteratorIjlEEPS9_SG_NS0_5tupleIJPjSI_NS0_16reverse_iteratorISI_EEEEENSH_IJSG_SG_SG_EEES9_SI_JZNS1_25segmented_radix_sort_implINS0_14default_configELb1EPKaPaPKlPlN2at6native12_GLOBAL__N_18offset_tEEE10hipError_tPvRmT1_PNSt15iterator_traitsIS12_E10value_typeET2_T3_PNS13_IS18_E10value_typeET4_jRbjT5_S1E_jjP12ihipStream_tbEUljE_ZNSN_ISO_Lb1ESQ_SR_ST_SU_SY_EESZ_S10_S11_S12_S16_S17_S18_S1B_S1C_jS1D_jS1E_S1E_jjS1G_bEUljE0_EEESZ_S10_S11_S18_S1C_S1E_T6_T7_T9_mT8_S1G_bDpT10_ENKUlT_T0_E_clISt17integral_constantIbLb1EES1U_EEDaS1P_S1Q_EUlS1P_E_NS1_11comp_targetILNS1_3genE2ELNS1_11target_archE906ELNS1_3gpuE6ELNS1_3repE0EEENS1_30default_config_static_selectorELNS0_4arch9wavefront6targetE0EEEvS12_.num_agpr, 0
	.set _ZN7rocprim17ROCPRIM_400000_NS6detail17trampoline_kernelINS0_13select_configILj256ELj13ELNS0_17block_load_methodE3ELS4_3ELS4_3ELNS0_20block_scan_algorithmE0ELj4294967295EEENS1_25partition_config_selectorILNS1_17partition_subalgoE4EjNS0_10empty_typeEbEEZZNS1_14partition_implILS8_4ELb0ES6_15HIP_vector_typeIjLj2EENS0_17counting_iteratorIjlEEPS9_SG_NS0_5tupleIJPjSI_NS0_16reverse_iteratorISI_EEEEENSH_IJSG_SG_SG_EEES9_SI_JZNS1_25segmented_radix_sort_implINS0_14default_configELb1EPKaPaPKlPlN2at6native12_GLOBAL__N_18offset_tEEE10hipError_tPvRmT1_PNSt15iterator_traitsIS12_E10value_typeET2_T3_PNS13_IS18_E10value_typeET4_jRbjT5_S1E_jjP12ihipStream_tbEUljE_ZNSN_ISO_Lb1ESQ_SR_ST_SU_SY_EESZ_S10_S11_S12_S16_S17_S18_S1B_S1C_jS1D_jS1E_S1E_jjS1G_bEUljE0_EEESZ_S10_S11_S18_S1C_S1E_T6_T7_T9_mT8_S1G_bDpT10_ENKUlT_T0_E_clISt17integral_constantIbLb1EES1U_EEDaS1P_S1Q_EUlS1P_E_NS1_11comp_targetILNS1_3genE2ELNS1_11target_archE906ELNS1_3gpuE6ELNS1_3repE0EEENS1_30default_config_static_selectorELNS0_4arch9wavefront6targetE0EEEvS12_.numbered_sgpr, 0
	.set _ZN7rocprim17ROCPRIM_400000_NS6detail17trampoline_kernelINS0_13select_configILj256ELj13ELNS0_17block_load_methodE3ELS4_3ELS4_3ELNS0_20block_scan_algorithmE0ELj4294967295EEENS1_25partition_config_selectorILNS1_17partition_subalgoE4EjNS0_10empty_typeEbEEZZNS1_14partition_implILS8_4ELb0ES6_15HIP_vector_typeIjLj2EENS0_17counting_iteratorIjlEEPS9_SG_NS0_5tupleIJPjSI_NS0_16reverse_iteratorISI_EEEEENSH_IJSG_SG_SG_EEES9_SI_JZNS1_25segmented_radix_sort_implINS0_14default_configELb1EPKaPaPKlPlN2at6native12_GLOBAL__N_18offset_tEEE10hipError_tPvRmT1_PNSt15iterator_traitsIS12_E10value_typeET2_T3_PNS13_IS18_E10value_typeET4_jRbjT5_S1E_jjP12ihipStream_tbEUljE_ZNSN_ISO_Lb1ESQ_SR_ST_SU_SY_EESZ_S10_S11_S12_S16_S17_S18_S1B_S1C_jS1D_jS1E_S1E_jjS1G_bEUljE0_EEESZ_S10_S11_S18_S1C_S1E_T6_T7_T9_mT8_S1G_bDpT10_ENKUlT_T0_E_clISt17integral_constantIbLb1EES1U_EEDaS1P_S1Q_EUlS1P_E_NS1_11comp_targetILNS1_3genE2ELNS1_11target_archE906ELNS1_3gpuE6ELNS1_3repE0EEENS1_30default_config_static_selectorELNS0_4arch9wavefront6targetE0EEEvS12_.num_named_barrier, 0
	.set _ZN7rocprim17ROCPRIM_400000_NS6detail17trampoline_kernelINS0_13select_configILj256ELj13ELNS0_17block_load_methodE3ELS4_3ELS4_3ELNS0_20block_scan_algorithmE0ELj4294967295EEENS1_25partition_config_selectorILNS1_17partition_subalgoE4EjNS0_10empty_typeEbEEZZNS1_14partition_implILS8_4ELb0ES6_15HIP_vector_typeIjLj2EENS0_17counting_iteratorIjlEEPS9_SG_NS0_5tupleIJPjSI_NS0_16reverse_iteratorISI_EEEEENSH_IJSG_SG_SG_EEES9_SI_JZNS1_25segmented_radix_sort_implINS0_14default_configELb1EPKaPaPKlPlN2at6native12_GLOBAL__N_18offset_tEEE10hipError_tPvRmT1_PNSt15iterator_traitsIS12_E10value_typeET2_T3_PNS13_IS18_E10value_typeET4_jRbjT5_S1E_jjP12ihipStream_tbEUljE_ZNSN_ISO_Lb1ESQ_SR_ST_SU_SY_EESZ_S10_S11_S12_S16_S17_S18_S1B_S1C_jS1D_jS1E_S1E_jjS1G_bEUljE0_EEESZ_S10_S11_S18_S1C_S1E_T6_T7_T9_mT8_S1G_bDpT10_ENKUlT_T0_E_clISt17integral_constantIbLb1EES1U_EEDaS1P_S1Q_EUlS1P_E_NS1_11comp_targetILNS1_3genE2ELNS1_11target_archE906ELNS1_3gpuE6ELNS1_3repE0EEENS1_30default_config_static_selectorELNS0_4arch9wavefront6targetE0EEEvS12_.private_seg_size, 0
	.set _ZN7rocprim17ROCPRIM_400000_NS6detail17trampoline_kernelINS0_13select_configILj256ELj13ELNS0_17block_load_methodE3ELS4_3ELS4_3ELNS0_20block_scan_algorithmE0ELj4294967295EEENS1_25partition_config_selectorILNS1_17partition_subalgoE4EjNS0_10empty_typeEbEEZZNS1_14partition_implILS8_4ELb0ES6_15HIP_vector_typeIjLj2EENS0_17counting_iteratorIjlEEPS9_SG_NS0_5tupleIJPjSI_NS0_16reverse_iteratorISI_EEEEENSH_IJSG_SG_SG_EEES9_SI_JZNS1_25segmented_radix_sort_implINS0_14default_configELb1EPKaPaPKlPlN2at6native12_GLOBAL__N_18offset_tEEE10hipError_tPvRmT1_PNSt15iterator_traitsIS12_E10value_typeET2_T3_PNS13_IS18_E10value_typeET4_jRbjT5_S1E_jjP12ihipStream_tbEUljE_ZNSN_ISO_Lb1ESQ_SR_ST_SU_SY_EESZ_S10_S11_S12_S16_S17_S18_S1B_S1C_jS1D_jS1E_S1E_jjS1G_bEUljE0_EEESZ_S10_S11_S18_S1C_S1E_T6_T7_T9_mT8_S1G_bDpT10_ENKUlT_T0_E_clISt17integral_constantIbLb1EES1U_EEDaS1P_S1Q_EUlS1P_E_NS1_11comp_targetILNS1_3genE2ELNS1_11target_archE906ELNS1_3gpuE6ELNS1_3repE0EEENS1_30default_config_static_selectorELNS0_4arch9wavefront6targetE0EEEvS12_.uses_vcc, 0
	.set _ZN7rocprim17ROCPRIM_400000_NS6detail17trampoline_kernelINS0_13select_configILj256ELj13ELNS0_17block_load_methodE3ELS4_3ELS4_3ELNS0_20block_scan_algorithmE0ELj4294967295EEENS1_25partition_config_selectorILNS1_17partition_subalgoE4EjNS0_10empty_typeEbEEZZNS1_14partition_implILS8_4ELb0ES6_15HIP_vector_typeIjLj2EENS0_17counting_iteratorIjlEEPS9_SG_NS0_5tupleIJPjSI_NS0_16reverse_iteratorISI_EEEEENSH_IJSG_SG_SG_EEES9_SI_JZNS1_25segmented_radix_sort_implINS0_14default_configELb1EPKaPaPKlPlN2at6native12_GLOBAL__N_18offset_tEEE10hipError_tPvRmT1_PNSt15iterator_traitsIS12_E10value_typeET2_T3_PNS13_IS18_E10value_typeET4_jRbjT5_S1E_jjP12ihipStream_tbEUljE_ZNSN_ISO_Lb1ESQ_SR_ST_SU_SY_EESZ_S10_S11_S12_S16_S17_S18_S1B_S1C_jS1D_jS1E_S1E_jjS1G_bEUljE0_EEESZ_S10_S11_S18_S1C_S1E_T6_T7_T9_mT8_S1G_bDpT10_ENKUlT_T0_E_clISt17integral_constantIbLb1EES1U_EEDaS1P_S1Q_EUlS1P_E_NS1_11comp_targetILNS1_3genE2ELNS1_11target_archE906ELNS1_3gpuE6ELNS1_3repE0EEENS1_30default_config_static_selectorELNS0_4arch9wavefront6targetE0EEEvS12_.uses_flat_scratch, 0
	.set _ZN7rocprim17ROCPRIM_400000_NS6detail17trampoline_kernelINS0_13select_configILj256ELj13ELNS0_17block_load_methodE3ELS4_3ELS4_3ELNS0_20block_scan_algorithmE0ELj4294967295EEENS1_25partition_config_selectorILNS1_17partition_subalgoE4EjNS0_10empty_typeEbEEZZNS1_14partition_implILS8_4ELb0ES6_15HIP_vector_typeIjLj2EENS0_17counting_iteratorIjlEEPS9_SG_NS0_5tupleIJPjSI_NS0_16reverse_iteratorISI_EEEEENSH_IJSG_SG_SG_EEES9_SI_JZNS1_25segmented_radix_sort_implINS0_14default_configELb1EPKaPaPKlPlN2at6native12_GLOBAL__N_18offset_tEEE10hipError_tPvRmT1_PNSt15iterator_traitsIS12_E10value_typeET2_T3_PNS13_IS18_E10value_typeET4_jRbjT5_S1E_jjP12ihipStream_tbEUljE_ZNSN_ISO_Lb1ESQ_SR_ST_SU_SY_EESZ_S10_S11_S12_S16_S17_S18_S1B_S1C_jS1D_jS1E_S1E_jjS1G_bEUljE0_EEESZ_S10_S11_S18_S1C_S1E_T6_T7_T9_mT8_S1G_bDpT10_ENKUlT_T0_E_clISt17integral_constantIbLb1EES1U_EEDaS1P_S1Q_EUlS1P_E_NS1_11comp_targetILNS1_3genE2ELNS1_11target_archE906ELNS1_3gpuE6ELNS1_3repE0EEENS1_30default_config_static_selectorELNS0_4arch9wavefront6targetE0EEEvS12_.has_dyn_sized_stack, 0
	.set _ZN7rocprim17ROCPRIM_400000_NS6detail17trampoline_kernelINS0_13select_configILj256ELj13ELNS0_17block_load_methodE3ELS4_3ELS4_3ELNS0_20block_scan_algorithmE0ELj4294967295EEENS1_25partition_config_selectorILNS1_17partition_subalgoE4EjNS0_10empty_typeEbEEZZNS1_14partition_implILS8_4ELb0ES6_15HIP_vector_typeIjLj2EENS0_17counting_iteratorIjlEEPS9_SG_NS0_5tupleIJPjSI_NS0_16reverse_iteratorISI_EEEEENSH_IJSG_SG_SG_EEES9_SI_JZNS1_25segmented_radix_sort_implINS0_14default_configELb1EPKaPaPKlPlN2at6native12_GLOBAL__N_18offset_tEEE10hipError_tPvRmT1_PNSt15iterator_traitsIS12_E10value_typeET2_T3_PNS13_IS18_E10value_typeET4_jRbjT5_S1E_jjP12ihipStream_tbEUljE_ZNSN_ISO_Lb1ESQ_SR_ST_SU_SY_EESZ_S10_S11_S12_S16_S17_S18_S1B_S1C_jS1D_jS1E_S1E_jjS1G_bEUljE0_EEESZ_S10_S11_S18_S1C_S1E_T6_T7_T9_mT8_S1G_bDpT10_ENKUlT_T0_E_clISt17integral_constantIbLb1EES1U_EEDaS1P_S1Q_EUlS1P_E_NS1_11comp_targetILNS1_3genE2ELNS1_11target_archE906ELNS1_3gpuE6ELNS1_3repE0EEENS1_30default_config_static_selectorELNS0_4arch9wavefront6targetE0EEEvS12_.has_recursion, 0
	.set _ZN7rocprim17ROCPRIM_400000_NS6detail17trampoline_kernelINS0_13select_configILj256ELj13ELNS0_17block_load_methodE3ELS4_3ELS4_3ELNS0_20block_scan_algorithmE0ELj4294967295EEENS1_25partition_config_selectorILNS1_17partition_subalgoE4EjNS0_10empty_typeEbEEZZNS1_14partition_implILS8_4ELb0ES6_15HIP_vector_typeIjLj2EENS0_17counting_iteratorIjlEEPS9_SG_NS0_5tupleIJPjSI_NS0_16reverse_iteratorISI_EEEEENSH_IJSG_SG_SG_EEES9_SI_JZNS1_25segmented_radix_sort_implINS0_14default_configELb1EPKaPaPKlPlN2at6native12_GLOBAL__N_18offset_tEEE10hipError_tPvRmT1_PNSt15iterator_traitsIS12_E10value_typeET2_T3_PNS13_IS18_E10value_typeET4_jRbjT5_S1E_jjP12ihipStream_tbEUljE_ZNSN_ISO_Lb1ESQ_SR_ST_SU_SY_EESZ_S10_S11_S12_S16_S17_S18_S1B_S1C_jS1D_jS1E_S1E_jjS1G_bEUljE0_EEESZ_S10_S11_S18_S1C_S1E_T6_T7_T9_mT8_S1G_bDpT10_ENKUlT_T0_E_clISt17integral_constantIbLb1EES1U_EEDaS1P_S1Q_EUlS1P_E_NS1_11comp_targetILNS1_3genE2ELNS1_11target_archE906ELNS1_3gpuE6ELNS1_3repE0EEENS1_30default_config_static_selectorELNS0_4arch9wavefront6targetE0EEEvS12_.has_indirect_call, 0
	.section	.AMDGPU.csdata,"",@progbits
; Kernel info:
; codeLenInByte = 0
; TotalNumSgprs: 0
; NumVgprs: 0
; ScratchSize: 0
; MemoryBound: 0
; FloatMode: 240
; IeeeMode: 1
; LDSByteSize: 0 bytes/workgroup (compile time only)
; SGPRBlocks: 0
; VGPRBlocks: 0
; NumSGPRsForWavesPerEU: 1
; NumVGPRsForWavesPerEU: 1
; Occupancy: 16
; WaveLimiterHint : 0
; COMPUTE_PGM_RSRC2:SCRATCH_EN: 0
; COMPUTE_PGM_RSRC2:USER_SGPR: 6
; COMPUTE_PGM_RSRC2:TRAP_HANDLER: 0
; COMPUTE_PGM_RSRC2:TGID_X_EN: 1
; COMPUTE_PGM_RSRC2:TGID_Y_EN: 0
; COMPUTE_PGM_RSRC2:TGID_Z_EN: 0
; COMPUTE_PGM_RSRC2:TIDIG_COMP_CNT: 0
	.section	.text._ZN7rocprim17ROCPRIM_400000_NS6detail17trampoline_kernelINS0_13select_configILj256ELj13ELNS0_17block_load_methodE3ELS4_3ELS4_3ELNS0_20block_scan_algorithmE0ELj4294967295EEENS1_25partition_config_selectorILNS1_17partition_subalgoE4EjNS0_10empty_typeEbEEZZNS1_14partition_implILS8_4ELb0ES6_15HIP_vector_typeIjLj2EENS0_17counting_iteratorIjlEEPS9_SG_NS0_5tupleIJPjSI_NS0_16reverse_iteratorISI_EEEEENSH_IJSG_SG_SG_EEES9_SI_JZNS1_25segmented_radix_sort_implINS0_14default_configELb1EPKaPaPKlPlN2at6native12_GLOBAL__N_18offset_tEEE10hipError_tPvRmT1_PNSt15iterator_traitsIS12_E10value_typeET2_T3_PNS13_IS18_E10value_typeET4_jRbjT5_S1E_jjP12ihipStream_tbEUljE_ZNSN_ISO_Lb1ESQ_SR_ST_SU_SY_EESZ_S10_S11_S12_S16_S17_S18_S1B_S1C_jS1D_jS1E_S1E_jjS1G_bEUljE0_EEESZ_S10_S11_S18_S1C_S1E_T6_T7_T9_mT8_S1G_bDpT10_ENKUlT_T0_E_clISt17integral_constantIbLb1EES1U_EEDaS1P_S1Q_EUlS1P_E_NS1_11comp_targetILNS1_3genE10ELNS1_11target_archE1200ELNS1_3gpuE4ELNS1_3repE0EEENS1_30default_config_static_selectorELNS0_4arch9wavefront6targetE0EEEvS12_,"axG",@progbits,_ZN7rocprim17ROCPRIM_400000_NS6detail17trampoline_kernelINS0_13select_configILj256ELj13ELNS0_17block_load_methodE3ELS4_3ELS4_3ELNS0_20block_scan_algorithmE0ELj4294967295EEENS1_25partition_config_selectorILNS1_17partition_subalgoE4EjNS0_10empty_typeEbEEZZNS1_14partition_implILS8_4ELb0ES6_15HIP_vector_typeIjLj2EENS0_17counting_iteratorIjlEEPS9_SG_NS0_5tupleIJPjSI_NS0_16reverse_iteratorISI_EEEEENSH_IJSG_SG_SG_EEES9_SI_JZNS1_25segmented_radix_sort_implINS0_14default_configELb1EPKaPaPKlPlN2at6native12_GLOBAL__N_18offset_tEEE10hipError_tPvRmT1_PNSt15iterator_traitsIS12_E10value_typeET2_T3_PNS13_IS18_E10value_typeET4_jRbjT5_S1E_jjP12ihipStream_tbEUljE_ZNSN_ISO_Lb1ESQ_SR_ST_SU_SY_EESZ_S10_S11_S12_S16_S17_S18_S1B_S1C_jS1D_jS1E_S1E_jjS1G_bEUljE0_EEESZ_S10_S11_S18_S1C_S1E_T6_T7_T9_mT8_S1G_bDpT10_ENKUlT_T0_E_clISt17integral_constantIbLb1EES1U_EEDaS1P_S1Q_EUlS1P_E_NS1_11comp_targetILNS1_3genE10ELNS1_11target_archE1200ELNS1_3gpuE4ELNS1_3repE0EEENS1_30default_config_static_selectorELNS0_4arch9wavefront6targetE0EEEvS12_,comdat
	.globl	_ZN7rocprim17ROCPRIM_400000_NS6detail17trampoline_kernelINS0_13select_configILj256ELj13ELNS0_17block_load_methodE3ELS4_3ELS4_3ELNS0_20block_scan_algorithmE0ELj4294967295EEENS1_25partition_config_selectorILNS1_17partition_subalgoE4EjNS0_10empty_typeEbEEZZNS1_14partition_implILS8_4ELb0ES6_15HIP_vector_typeIjLj2EENS0_17counting_iteratorIjlEEPS9_SG_NS0_5tupleIJPjSI_NS0_16reverse_iteratorISI_EEEEENSH_IJSG_SG_SG_EEES9_SI_JZNS1_25segmented_radix_sort_implINS0_14default_configELb1EPKaPaPKlPlN2at6native12_GLOBAL__N_18offset_tEEE10hipError_tPvRmT1_PNSt15iterator_traitsIS12_E10value_typeET2_T3_PNS13_IS18_E10value_typeET4_jRbjT5_S1E_jjP12ihipStream_tbEUljE_ZNSN_ISO_Lb1ESQ_SR_ST_SU_SY_EESZ_S10_S11_S12_S16_S17_S18_S1B_S1C_jS1D_jS1E_S1E_jjS1G_bEUljE0_EEESZ_S10_S11_S18_S1C_S1E_T6_T7_T9_mT8_S1G_bDpT10_ENKUlT_T0_E_clISt17integral_constantIbLb1EES1U_EEDaS1P_S1Q_EUlS1P_E_NS1_11comp_targetILNS1_3genE10ELNS1_11target_archE1200ELNS1_3gpuE4ELNS1_3repE0EEENS1_30default_config_static_selectorELNS0_4arch9wavefront6targetE0EEEvS12_ ; -- Begin function _ZN7rocprim17ROCPRIM_400000_NS6detail17trampoline_kernelINS0_13select_configILj256ELj13ELNS0_17block_load_methodE3ELS4_3ELS4_3ELNS0_20block_scan_algorithmE0ELj4294967295EEENS1_25partition_config_selectorILNS1_17partition_subalgoE4EjNS0_10empty_typeEbEEZZNS1_14partition_implILS8_4ELb0ES6_15HIP_vector_typeIjLj2EENS0_17counting_iteratorIjlEEPS9_SG_NS0_5tupleIJPjSI_NS0_16reverse_iteratorISI_EEEEENSH_IJSG_SG_SG_EEES9_SI_JZNS1_25segmented_radix_sort_implINS0_14default_configELb1EPKaPaPKlPlN2at6native12_GLOBAL__N_18offset_tEEE10hipError_tPvRmT1_PNSt15iterator_traitsIS12_E10value_typeET2_T3_PNS13_IS18_E10value_typeET4_jRbjT5_S1E_jjP12ihipStream_tbEUljE_ZNSN_ISO_Lb1ESQ_SR_ST_SU_SY_EESZ_S10_S11_S12_S16_S17_S18_S1B_S1C_jS1D_jS1E_S1E_jjS1G_bEUljE0_EEESZ_S10_S11_S18_S1C_S1E_T6_T7_T9_mT8_S1G_bDpT10_ENKUlT_T0_E_clISt17integral_constantIbLb1EES1U_EEDaS1P_S1Q_EUlS1P_E_NS1_11comp_targetILNS1_3genE10ELNS1_11target_archE1200ELNS1_3gpuE4ELNS1_3repE0EEENS1_30default_config_static_selectorELNS0_4arch9wavefront6targetE0EEEvS12_
	.p2align	8
	.type	_ZN7rocprim17ROCPRIM_400000_NS6detail17trampoline_kernelINS0_13select_configILj256ELj13ELNS0_17block_load_methodE3ELS4_3ELS4_3ELNS0_20block_scan_algorithmE0ELj4294967295EEENS1_25partition_config_selectorILNS1_17partition_subalgoE4EjNS0_10empty_typeEbEEZZNS1_14partition_implILS8_4ELb0ES6_15HIP_vector_typeIjLj2EENS0_17counting_iteratorIjlEEPS9_SG_NS0_5tupleIJPjSI_NS0_16reverse_iteratorISI_EEEEENSH_IJSG_SG_SG_EEES9_SI_JZNS1_25segmented_radix_sort_implINS0_14default_configELb1EPKaPaPKlPlN2at6native12_GLOBAL__N_18offset_tEEE10hipError_tPvRmT1_PNSt15iterator_traitsIS12_E10value_typeET2_T3_PNS13_IS18_E10value_typeET4_jRbjT5_S1E_jjP12ihipStream_tbEUljE_ZNSN_ISO_Lb1ESQ_SR_ST_SU_SY_EESZ_S10_S11_S12_S16_S17_S18_S1B_S1C_jS1D_jS1E_S1E_jjS1G_bEUljE0_EEESZ_S10_S11_S18_S1C_S1E_T6_T7_T9_mT8_S1G_bDpT10_ENKUlT_T0_E_clISt17integral_constantIbLb1EES1U_EEDaS1P_S1Q_EUlS1P_E_NS1_11comp_targetILNS1_3genE10ELNS1_11target_archE1200ELNS1_3gpuE4ELNS1_3repE0EEENS1_30default_config_static_selectorELNS0_4arch9wavefront6targetE0EEEvS12_,@function
_ZN7rocprim17ROCPRIM_400000_NS6detail17trampoline_kernelINS0_13select_configILj256ELj13ELNS0_17block_load_methodE3ELS4_3ELS4_3ELNS0_20block_scan_algorithmE0ELj4294967295EEENS1_25partition_config_selectorILNS1_17partition_subalgoE4EjNS0_10empty_typeEbEEZZNS1_14partition_implILS8_4ELb0ES6_15HIP_vector_typeIjLj2EENS0_17counting_iteratorIjlEEPS9_SG_NS0_5tupleIJPjSI_NS0_16reverse_iteratorISI_EEEEENSH_IJSG_SG_SG_EEES9_SI_JZNS1_25segmented_radix_sort_implINS0_14default_configELb1EPKaPaPKlPlN2at6native12_GLOBAL__N_18offset_tEEE10hipError_tPvRmT1_PNSt15iterator_traitsIS12_E10value_typeET2_T3_PNS13_IS18_E10value_typeET4_jRbjT5_S1E_jjP12ihipStream_tbEUljE_ZNSN_ISO_Lb1ESQ_SR_ST_SU_SY_EESZ_S10_S11_S12_S16_S17_S18_S1B_S1C_jS1D_jS1E_S1E_jjS1G_bEUljE0_EEESZ_S10_S11_S18_S1C_S1E_T6_T7_T9_mT8_S1G_bDpT10_ENKUlT_T0_E_clISt17integral_constantIbLb1EES1U_EEDaS1P_S1Q_EUlS1P_E_NS1_11comp_targetILNS1_3genE10ELNS1_11target_archE1200ELNS1_3gpuE4ELNS1_3repE0EEENS1_30default_config_static_selectorELNS0_4arch9wavefront6targetE0EEEvS12_: ; @_ZN7rocprim17ROCPRIM_400000_NS6detail17trampoline_kernelINS0_13select_configILj256ELj13ELNS0_17block_load_methodE3ELS4_3ELS4_3ELNS0_20block_scan_algorithmE0ELj4294967295EEENS1_25partition_config_selectorILNS1_17partition_subalgoE4EjNS0_10empty_typeEbEEZZNS1_14partition_implILS8_4ELb0ES6_15HIP_vector_typeIjLj2EENS0_17counting_iteratorIjlEEPS9_SG_NS0_5tupleIJPjSI_NS0_16reverse_iteratorISI_EEEEENSH_IJSG_SG_SG_EEES9_SI_JZNS1_25segmented_radix_sort_implINS0_14default_configELb1EPKaPaPKlPlN2at6native12_GLOBAL__N_18offset_tEEE10hipError_tPvRmT1_PNSt15iterator_traitsIS12_E10value_typeET2_T3_PNS13_IS18_E10value_typeET4_jRbjT5_S1E_jjP12ihipStream_tbEUljE_ZNSN_ISO_Lb1ESQ_SR_ST_SU_SY_EESZ_S10_S11_S12_S16_S17_S18_S1B_S1C_jS1D_jS1E_S1E_jjS1G_bEUljE0_EEESZ_S10_S11_S18_S1C_S1E_T6_T7_T9_mT8_S1G_bDpT10_ENKUlT_T0_E_clISt17integral_constantIbLb1EES1U_EEDaS1P_S1Q_EUlS1P_E_NS1_11comp_targetILNS1_3genE10ELNS1_11target_archE1200ELNS1_3gpuE4ELNS1_3repE0EEENS1_30default_config_static_selectorELNS0_4arch9wavefront6targetE0EEEvS12_
; %bb.0:
	.section	.rodata,"a",@progbits
	.p2align	6, 0x0
	.amdhsa_kernel _ZN7rocprim17ROCPRIM_400000_NS6detail17trampoline_kernelINS0_13select_configILj256ELj13ELNS0_17block_load_methodE3ELS4_3ELS4_3ELNS0_20block_scan_algorithmE0ELj4294967295EEENS1_25partition_config_selectorILNS1_17partition_subalgoE4EjNS0_10empty_typeEbEEZZNS1_14partition_implILS8_4ELb0ES6_15HIP_vector_typeIjLj2EENS0_17counting_iteratorIjlEEPS9_SG_NS0_5tupleIJPjSI_NS0_16reverse_iteratorISI_EEEEENSH_IJSG_SG_SG_EEES9_SI_JZNS1_25segmented_radix_sort_implINS0_14default_configELb1EPKaPaPKlPlN2at6native12_GLOBAL__N_18offset_tEEE10hipError_tPvRmT1_PNSt15iterator_traitsIS12_E10value_typeET2_T3_PNS13_IS18_E10value_typeET4_jRbjT5_S1E_jjP12ihipStream_tbEUljE_ZNSN_ISO_Lb1ESQ_SR_ST_SU_SY_EESZ_S10_S11_S12_S16_S17_S18_S1B_S1C_jS1D_jS1E_S1E_jjS1G_bEUljE0_EEESZ_S10_S11_S18_S1C_S1E_T6_T7_T9_mT8_S1G_bDpT10_ENKUlT_T0_E_clISt17integral_constantIbLb1EES1U_EEDaS1P_S1Q_EUlS1P_E_NS1_11comp_targetILNS1_3genE10ELNS1_11target_archE1200ELNS1_3gpuE4ELNS1_3repE0EEENS1_30default_config_static_selectorELNS0_4arch9wavefront6targetE0EEEvS12_
		.amdhsa_group_segment_fixed_size 0
		.amdhsa_private_segment_fixed_size 0
		.amdhsa_kernarg_size 184
		.amdhsa_user_sgpr_count 6
		.amdhsa_user_sgpr_private_segment_buffer 1
		.amdhsa_user_sgpr_dispatch_ptr 0
		.amdhsa_user_sgpr_queue_ptr 0
		.amdhsa_user_sgpr_kernarg_segment_ptr 1
		.amdhsa_user_sgpr_dispatch_id 0
		.amdhsa_user_sgpr_flat_scratch_init 0
		.amdhsa_user_sgpr_private_segment_size 0
		.amdhsa_wavefront_size32 1
		.amdhsa_uses_dynamic_stack 0
		.amdhsa_system_sgpr_private_segment_wavefront_offset 0
		.amdhsa_system_sgpr_workgroup_id_x 1
		.amdhsa_system_sgpr_workgroup_id_y 0
		.amdhsa_system_sgpr_workgroup_id_z 0
		.amdhsa_system_sgpr_workgroup_info 0
		.amdhsa_system_vgpr_workitem_id 0
		.amdhsa_next_free_vgpr 1
		.amdhsa_next_free_sgpr 1
		.amdhsa_reserve_vcc 0
		.amdhsa_reserve_flat_scratch 0
		.amdhsa_float_round_mode_32 0
		.amdhsa_float_round_mode_16_64 0
		.amdhsa_float_denorm_mode_32 3
		.amdhsa_float_denorm_mode_16_64 3
		.amdhsa_dx10_clamp 1
		.amdhsa_ieee_mode 1
		.amdhsa_fp16_overflow 0
		.amdhsa_workgroup_processor_mode 1
		.amdhsa_memory_ordered 1
		.amdhsa_forward_progress 1
		.amdhsa_shared_vgpr_count 0
		.amdhsa_exception_fp_ieee_invalid_op 0
		.amdhsa_exception_fp_denorm_src 0
		.amdhsa_exception_fp_ieee_div_zero 0
		.amdhsa_exception_fp_ieee_overflow 0
		.amdhsa_exception_fp_ieee_underflow 0
		.amdhsa_exception_fp_ieee_inexact 0
		.amdhsa_exception_int_div_zero 0
	.end_amdhsa_kernel
	.section	.text._ZN7rocprim17ROCPRIM_400000_NS6detail17trampoline_kernelINS0_13select_configILj256ELj13ELNS0_17block_load_methodE3ELS4_3ELS4_3ELNS0_20block_scan_algorithmE0ELj4294967295EEENS1_25partition_config_selectorILNS1_17partition_subalgoE4EjNS0_10empty_typeEbEEZZNS1_14partition_implILS8_4ELb0ES6_15HIP_vector_typeIjLj2EENS0_17counting_iteratorIjlEEPS9_SG_NS0_5tupleIJPjSI_NS0_16reverse_iteratorISI_EEEEENSH_IJSG_SG_SG_EEES9_SI_JZNS1_25segmented_radix_sort_implINS0_14default_configELb1EPKaPaPKlPlN2at6native12_GLOBAL__N_18offset_tEEE10hipError_tPvRmT1_PNSt15iterator_traitsIS12_E10value_typeET2_T3_PNS13_IS18_E10value_typeET4_jRbjT5_S1E_jjP12ihipStream_tbEUljE_ZNSN_ISO_Lb1ESQ_SR_ST_SU_SY_EESZ_S10_S11_S12_S16_S17_S18_S1B_S1C_jS1D_jS1E_S1E_jjS1G_bEUljE0_EEESZ_S10_S11_S18_S1C_S1E_T6_T7_T9_mT8_S1G_bDpT10_ENKUlT_T0_E_clISt17integral_constantIbLb1EES1U_EEDaS1P_S1Q_EUlS1P_E_NS1_11comp_targetILNS1_3genE10ELNS1_11target_archE1200ELNS1_3gpuE4ELNS1_3repE0EEENS1_30default_config_static_selectorELNS0_4arch9wavefront6targetE0EEEvS12_,"axG",@progbits,_ZN7rocprim17ROCPRIM_400000_NS6detail17trampoline_kernelINS0_13select_configILj256ELj13ELNS0_17block_load_methodE3ELS4_3ELS4_3ELNS0_20block_scan_algorithmE0ELj4294967295EEENS1_25partition_config_selectorILNS1_17partition_subalgoE4EjNS0_10empty_typeEbEEZZNS1_14partition_implILS8_4ELb0ES6_15HIP_vector_typeIjLj2EENS0_17counting_iteratorIjlEEPS9_SG_NS0_5tupleIJPjSI_NS0_16reverse_iteratorISI_EEEEENSH_IJSG_SG_SG_EEES9_SI_JZNS1_25segmented_radix_sort_implINS0_14default_configELb1EPKaPaPKlPlN2at6native12_GLOBAL__N_18offset_tEEE10hipError_tPvRmT1_PNSt15iterator_traitsIS12_E10value_typeET2_T3_PNS13_IS18_E10value_typeET4_jRbjT5_S1E_jjP12ihipStream_tbEUljE_ZNSN_ISO_Lb1ESQ_SR_ST_SU_SY_EESZ_S10_S11_S12_S16_S17_S18_S1B_S1C_jS1D_jS1E_S1E_jjS1G_bEUljE0_EEESZ_S10_S11_S18_S1C_S1E_T6_T7_T9_mT8_S1G_bDpT10_ENKUlT_T0_E_clISt17integral_constantIbLb1EES1U_EEDaS1P_S1Q_EUlS1P_E_NS1_11comp_targetILNS1_3genE10ELNS1_11target_archE1200ELNS1_3gpuE4ELNS1_3repE0EEENS1_30default_config_static_selectorELNS0_4arch9wavefront6targetE0EEEvS12_,comdat
.Lfunc_end237:
	.size	_ZN7rocprim17ROCPRIM_400000_NS6detail17trampoline_kernelINS0_13select_configILj256ELj13ELNS0_17block_load_methodE3ELS4_3ELS4_3ELNS0_20block_scan_algorithmE0ELj4294967295EEENS1_25partition_config_selectorILNS1_17partition_subalgoE4EjNS0_10empty_typeEbEEZZNS1_14partition_implILS8_4ELb0ES6_15HIP_vector_typeIjLj2EENS0_17counting_iteratorIjlEEPS9_SG_NS0_5tupleIJPjSI_NS0_16reverse_iteratorISI_EEEEENSH_IJSG_SG_SG_EEES9_SI_JZNS1_25segmented_radix_sort_implINS0_14default_configELb1EPKaPaPKlPlN2at6native12_GLOBAL__N_18offset_tEEE10hipError_tPvRmT1_PNSt15iterator_traitsIS12_E10value_typeET2_T3_PNS13_IS18_E10value_typeET4_jRbjT5_S1E_jjP12ihipStream_tbEUljE_ZNSN_ISO_Lb1ESQ_SR_ST_SU_SY_EESZ_S10_S11_S12_S16_S17_S18_S1B_S1C_jS1D_jS1E_S1E_jjS1G_bEUljE0_EEESZ_S10_S11_S18_S1C_S1E_T6_T7_T9_mT8_S1G_bDpT10_ENKUlT_T0_E_clISt17integral_constantIbLb1EES1U_EEDaS1P_S1Q_EUlS1P_E_NS1_11comp_targetILNS1_3genE10ELNS1_11target_archE1200ELNS1_3gpuE4ELNS1_3repE0EEENS1_30default_config_static_selectorELNS0_4arch9wavefront6targetE0EEEvS12_, .Lfunc_end237-_ZN7rocprim17ROCPRIM_400000_NS6detail17trampoline_kernelINS0_13select_configILj256ELj13ELNS0_17block_load_methodE3ELS4_3ELS4_3ELNS0_20block_scan_algorithmE0ELj4294967295EEENS1_25partition_config_selectorILNS1_17partition_subalgoE4EjNS0_10empty_typeEbEEZZNS1_14partition_implILS8_4ELb0ES6_15HIP_vector_typeIjLj2EENS0_17counting_iteratorIjlEEPS9_SG_NS0_5tupleIJPjSI_NS0_16reverse_iteratorISI_EEEEENSH_IJSG_SG_SG_EEES9_SI_JZNS1_25segmented_radix_sort_implINS0_14default_configELb1EPKaPaPKlPlN2at6native12_GLOBAL__N_18offset_tEEE10hipError_tPvRmT1_PNSt15iterator_traitsIS12_E10value_typeET2_T3_PNS13_IS18_E10value_typeET4_jRbjT5_S1E_jjP12ihipStream_tbEUljE_ZNSN_ISO_Lb1ESQ_SR_ST_SU_SY_EESZ_S10_S11_S12_S16_S17_S18_S1B_S1C_jS1D_jS1E_S1E_jjS1G_bEUljE0_EEESZ_S10_S11_S18_S1C_S1E_T6_T7_T9_mT8_S1G_bDpT10_ENKUlT_T0_E_clISt17integral_constantIbLb1EES1U_EEDaS1P_S1Q_EUlS1P_E_NS1_11comp_targetILNS1_3genE10ELNS1_11target_archE1200ELNS1_3gpuE4ELNS1_3repE0EEENS1_30default_config_static_selectorELNS0_4arch9wavefront6targetE0EEEvS12_
                                        ; -- End function
	.set _ZN7rocprim17ROCPRIM_400000_NS6detail17trampoline_kernelINS0_13select_configILj256ELj13ELNS0_17block_load_methodE3ELS4_3ELS4_3ELNS0_20block_scan_algorithmE0ELj4294967295EEENS1_25partition_config_selectorILNS1_17partition_subalgoE4EjNS0_10empty_typeEbEEZZNS1_14partition_implILS8_4ELb0ES6_15HIP_vector_typeIjLj2EENS0_17counting_iteratorIjlEEPS9_SG_NS0_5tupleIJPjSI_NS0_16reverse_iteratorISI_EEEEENSH_IJSG_SG_SG_EEES9_SI_JZNS1_25segmented_radix_sort_implINS0_14default_configELb1EPKaPaPKlPlN2at6native12_GLOBAL__N_18offset_tEEE10hipError_tPvRmT1_PNSt15iterator_traitsIS12_E10value_typeET2_T3_PNS13_IS18_E10value_typeET4_jRbjT5_S1E_jjP12ihipStream_tbEUljE_ZNSN_ISO_Lb1ESQ_SR_ST_SU_SY_EESZ_S10_S11_S12_S16_S17_S18_S1B_S1C_jS1D_jS1E_S1E_jjS1G_bEUljE0_EEESZ_S10_S11_S18_S1C_S1E_T6_T7_T9_mT8_S1G_bDpT10_ENKUlT_T0_E_clISt17integral_constantIbLb1EES1U_EEDaS1P_S1Q_EUlS1P_E_NS1_11comp_targetILNS1_3genE10ELNS1_11target_archE1200ELNS1_3gpuE4ELNS1_3repE0EEENS1_30default_config_static_selectorELNS0_4arch9wavefront6targetE0EEEvS12_.num_vgpr, 0
	.set _ZN7rocprim17ROCPRIM_400000_NS6detail17trampoline_kernelINS0_13select_configILj256ELj13ELNS0_17block_load_methodE3ELS4_3ELS4_3ELNS0_20block_scan_algorithmE0ELj4294967295EEENS1_25partition_config_selectorILNS1_17partition_subalgoE4EjNS0_10empty_typeEbEEZZNS1_14partition_implILS8_4ELb0ES6_15HIP_vector_typeIjLj2EENS0_17counting_iteratorIjlEEPS9_SG_NS0_5tupleIJPjSI_NS0_16reverse_iteratorISI_EEEEENSH_IJSG_SG_SG_EEES9_SI_JZNS1_25segmented_radix_sort_implINS0_14default_configELb1EPKaPaPKlPlN2at6native12_GLOBAL__N_18offset_tEEE10hipError_tPvRmT1_PNSt15iterator_traitsIS12_E10value_typeET2_T3_PNS13_IS18_E10value_typeET4_jRbjT5_S1E_jjP12ihipStream_tbEUljE_ZNSN_ISO_Lb1ESQ_SR_ST_SU_SY_EESZ_S10_S11_S12_S16_S17_S18_S1B_S1C_jS1D_jS1E_S1E_jjS1G_bEUljE0_EEESZ_S10_S11_S18_S1C_S1E_T6_T7_T9_mT8_S1G_bDpT10_ENKUlT_T0_E_clISt17integral_constantIbLb1EES1U_EEDaS1P_S1Q_EUlS1P_E_NS1_11comp_targetILNS1_3genE10ELNS1_11target_archE1200ELNS1_3gpuE4ELNS1_3repE0EEENS1_30default_config_static_selectorELNS0_4arch9wavefront6targetE0EEEvS12_.num_agpr, 0
	.set _ZN7rocprim17ROCPRIM_400000_NS6detail17trampoline_kernelINS0_13select_configILj256ELj13ELNS0_17block_load_methodE3ELS4_3ELS4_3ELNS0_20block_scan_algorithmE0ELj4294967295EEENS1_25partition_config_selectorILNS1_17partition_subalgoE4EjNS0_10empty_typeEbEEZZNS1_14partition_implILS8_4ELb0ES6_15HIP_vector_typeIjLj2EENS0_17counting_iteratorIjlEEPS9_SG_NS0_5tupleIJPjSI_NS0_16reverse_iteratorISI_EEEEENSH_IJSG_SG_SG_EEES9_SI_JZNS1_25segmented_radix_sort_implINS0_14default_configELb1EPKaPaPKlPlN2at6native12_GLOBAL__N_18offset_tEEE10hipError_tPvRmT1_PNSt15iterator_traitsIS12_E10value_typeET2_T3_PNS13_IS18_E10value_typeET4_jRbjT5_S1E_jjP12ihipStream_tbEUljE_ZNSN_ISO_Lb1ESQ_SR_ST_SU_SY_EESZ_S10_S11_S12_S16_S17_S18_S1B_S1C_jS1D_jS1E_S1E_jjS1G_bEUljE0_EEESZ_S10_S11_S18_S1C_S1E_T6_T7_T9_mT8_S1G_bDpT10_ENKUlT_T0_E_clISt17integral_constantIbLb1EES1U_EEDaS1P_S1Q_EUlS1P_E_NS1_11comp_targetILNS1_3genE10ELNS1_11target_archE1200ELNS1_3gpuE4ELNS1_3repE0EEENS1_30default_config_static_selectorELNS0_4arch9wavefront6targetE0EEEvS12_.numbered_sgpr, 0
	.set _ZN7rocprim17ROCPRIM_400000_NS6detail17trampoline_kernelINS0_13select_configILj256ELj13ELNS0_17block_load_methodE3ELS4_3ELS4_3ELNS0_20block_scan_algorithmE0ELj4294967295EEENS1_25partition_config_selectorILNS1_17partition_subalgoE4EjNS0_10empty_typeEbEEZZNS1_14partition_implILS8_4ELb0ES6_15HIP_vector_typeIjLj2EENS0_17counting_iteratorIjlEEPS9_SG_NS0_5tupleIJPjSI_NS0_16reverse_iteratorISI_EEEEENSH_IJSG_SG_SG_EEES9_SI_JZNS1_25segmented_radix_sort_implINS0_14default_configELb1EPKaPaPKlPlN2at6native12_GLOBAL__N_18offset_tEEE10hipError_tPvRmT1_PNSt15iterator_traitsIS12_E10value_typeET2_T3_PNS13_IS18_E10value_typeET4_jRbjT5_S1E_jjP12ihipStream_tbEUljE_ZNSN_ISO_Lb1ESQ_SR_ST_SU_SY_EESZ_S10_S11_S12_S16_S17_S18_S1B_S1C_jS1D_jS1E_S1E_jjS1G_bEUljE0_EEESZ_S10_S11_S18_S1C_S1E_T6_T7_T9_mT8_S1G_bDpT10_ENKUlT_T0_E_clISt17integral_constantIbLb1EES1U_EEDaS1P_S1Q_EUlS1P_E_NS1_11comp_targetILNS1_3genE10ELNS1_11target_archE1200ELNS1_3gpuE4ELNS1_3repE0EEENS1_30default_config_static_selectorELNS0_4arch9wavefront6targetE0EEEvS12_.num_named_barrier, 0
	.set _ZN7rocprim17ROCPRIM_400000_NS6detail17trampoline_kernelINS0_13select_configILj256ELj13ELNS0_17block_load_methodE3ELS4_3ELS4_3ELNS0_20block_scan_algorithmE0ELj4294967295EEENS1_25partition_config_selectorILNS1_17partition_subalgoE4EjNS0_10empty_typeEbEEZZNS1_14partition_implILS8_4ELb0ES6_15HIP_vector_typeIjLj2EENS0_17counting_iteratorIjlEEPS9_SG_NS0_5tupleIJPjSI_NS0_16reverse_iteratorISI_EEEEENSH_IJSG_SG_SG_EEES9_SI_JZNS1_25segmented_radix_sort_implINS0_14default_configELb1EPKaPaPKlPlN2at6native12_GLOBAL__N_18offset_tEEE10hipError_tPvRmT1_PNSt15iterator_traitsIS12_E10value_typeET2_T3_PNS13_IS18_E10value_typeET4_jRbjT5_S1E_jjP12ihipStream_tbEUljE_ZNSN_ISO_Lb1ESQ_SR_ST_SU_SY_EESZ_S10_S11_S12_S16_S17_S18_S1B_S1C_jS1D_jS1E_S1E_jjS1G_bEUljE0_EEESZ_S10_S11_S18_S1C_S1E_T6_T7_T9_mT8_S1G_bDpT10_ENKUlT_T0_E_clISt17integral_constantIbLb1EES1U_EEDaS1P_S1Q_EUlS1P_E_NS1_11comp_targetILNS1_3genE10ELNS1_11target_archE1200ELNS1_3gpuE4ELNS1_3repE0EEENS1_30default_config_static_selectorELNS0_4arch9wavefront6targetE0EEEvS12_.private_seg_size, 0
	.set _ZN7rocprim17ROCPRIM_400000_NS6detail17trampoline_kernelINS0_13select_configILj256ELj13ELNS0_17block_load_methodE3ELS4_3ELS4_3ELNS0_20block_scan_algorithmE0ELj4294967295EEENS1_25partition_config_selectorILNS1_17partition_subalgoE4EjNS0_10empty_typeEbEEZZNS1_14partition_implILS8_4ELb0ES6_15HIP_vector_typeIjLj2EENS0_17counting_iteratorIjlEEPS9_SG_NS0_5tupleIJPjSI_NS0_16reverse_iteratorISI_EEEEENSH_IJSG_SG_SG_EEES9_SI_JZNS1_25segmented_radix_sort_implINS0_14default_configELb1EPKaPaPKlPlN2at6native12_GLOBAL__N_18offset_tEEE10hipError_tPvRmT1_PNSt15iterator_traitsIS12_E10value_typeET2_T3_PNS13_IS18_E10value_typeET4_jRbjT5_S1E_jjP12ihipStream_tbEUljE_ZNSN_ISO_Lb1ESQ_SR_ST_SU_SY_EESZ_S10_S11_S12_S16_S17_S18_S1B_S1C_jS1D_jS1E_S1E_jjS1G_bEUljE0_EEESZ_S10_S11_S18_S1C_S1E_T6_T7_T9_mT8_S1G_bDpT10_ENKUlT_T0_E_clISt17integral_constantIbLb1EES1U_EEDaS1P_S1Q_EUlS1P_E_NS1_11comp_targetILNS1_3genE10ELNS1_11target_archE1200ELNS1_3gpuE4ELNS1_3repE0EEENS1_30default_config_static_selectorELNS0_4arch9wavefront6targetE0EEEvS12_.uses_vcc, 0
	.set _ZN7rocprim17ROCPRIM_400000_NS6detail17trampoline_kernelINS0_13select_configILj256ELj13ELNS0_17block_load_methodE3ELS4_3ELS4_3ELNS0_20block_scan_algorithmE0ELj4294967295EEENS1_25partition_config_selectorILNS1_17partition_subalgoE4EjNS0_10empty_typeEbEEZZNS1_14partition_implILS8_4ELb0ES6_15HIP_vector_typeIjLj2EENS0_17counting_iteratorIjlEEPS9_SG_NS0_5tupleIJPjSI_NS0_16reverse_iteratorISI_EEEEENSH_IJSG_SG_SG_EEES9_SI_JZNS1_25segmented_radix_sort_implINS0_14default_configELb1EPKaPaPKlPlN2at6native12_GLOBAL__N_18offset_tEEE10hipError_tPvRmT1_PNSt15iterator_traitsIS12_E10value_typeET2_T3_PNS13_IS18_E10value_typeET4_jRbjT5_S1E_jjP12ihipStream_tbEUljE_ZNSN_ISO_Lb1ESQ_SR_ST_SU_SY_EESZ_S10_S11_S12_S16_S17_S18_S1B_S1C_jS1D_jS1E_S1E_jjS1G_bEUljE0_EEESZ_S10_S11_S18_S1C_S1E_T6_T7_T9_mT8_S1G_bDpT10_ENKUlT_T0_E_clISt17integral_constantIbLb1EES1U_EEDaS1P_S1Q_EUlS1P_E_NS1_11comp_targetILNS1_3genE10ELNS1_11target_archE1200ELNS1_3gpuE4ELNS1_3repE0EEENS1_30default_config_static_selectorELNS0_4arch9wavefront6targetE0EEEvS12_.uses_flat_scratch, 0
	.set _ZN7rocprim17ROCPRIM_400000_NS6detail17trampoline_kernelINS0_13select_configILj256ELj13ELNS0_17block_load_methodE3ELS4_3ELS4_3ELNS0_20block_scan_algorithmE0ELj4294967295EEENS1_25partition_config_selectorILNS1_17partition_subalgoE4EjNS0_10empty_typeEbEEZZNS1_14partition_implILS8_4ELb0ES6_15HIP_vector_typeIjLj2EENS0_17counting_iteratorIjlEEPS9_SG_NS0_5tupleIJPjSI_NS0_16reverse_iteratorISI_EEEEENSH_IJSG_SG_SG_EEES9_SI_JZNS1_25segmented_radix_sort_implINS0_14default_configELb1EPKaPaPKlPlN2at6native12_GLOBAL__N_18offset_tEEE10hipError_tPvRmT1_PNSt15iterator_traitsIS12_E10value_typeET2_T3_PNS13_IS18_E10value_typeET4_jRbjT5_S1E_jjP12ihipStream_tbEUljE_ZNSN_ISO_Lb1ESQ_SR_ST_SU_SY_EESZ_S10_S11_S12_S16_S17_S18_S1B_S1C_jS1D_jS1E_S1E_jjS1G_bEUljE0_EEESZ_S10_S11_S18_S1C_S1E_T6_T7_T9_mT8_S1G_bDpT10_ENKUlT_T0_E_clISt17integral_constantIbLb1EES1U_EEDaS1P_S1Q_EUlS1P_E_NS1_11comp_targetILNS1_3genE10ELNS1_11target_archE1200ELNS1_3gpuE4ELNS1_3repE0EEENS1_30default_config_static_selectorELNS0_4arch9wavefront6targetE0EEEvS12_.has_dyn_sized_stack, 0
	.set _ZN7rocprim17ROCPRIM_400000_NS6detail17trampoline_kernelINS0_13select_configILj256ELj13ELNS0_17block_load_methodE3ELS4_3ELS4_3ELNS0_20block_scan_algorithmE0ELj4294967295EEENS1_25partition_config_selectorILNS1_17partition_subalgoE4EjNS0_10empty_typeEbEEZZNS1_14partition_implILS8_4ELb0ES6_15HIP_vector_typeIjLj2EENS0_17counting_iteratorIjlEEPS9_SG_NS0_5tupleIJPjSI_NS0_16reverse_iteratorISI_EEEEENSH_IJSG_SG_SG_EEES9_SI_JZNS1_25segmented_radix_sort_implINS0_14default_configELb1EPKaPaPKlPlN2at6native12_GLOBAL__N_18offset_tEEE10hipError_tPvRmT1_PNSt15iterator_traitsIS12_E10value_typeET2_T3_PNS13_IS18_E10value_typeET4_jRbjT5_S1E_jjP12ihipStream_tbEUljE_ZNSN_ISO_Lb1ESQ_SR_ST_SU_SY_EESZ_S10_S11_S12_S16_S17_S18_S1B_S1C_jS1D_jS1E_S1E_jjS1G_bEUljE0_EEESZ_S10_S11_S18_S1C_S1E_T6_T7_T9_mT8_S1G_bDpT10_ENKUlT_T0_E_clISt17integral_constantIbLb1EES1U_EEDaS1P_S1Q_EUlS1P_E_NS1_11comp_targetILNS1_3genE10ELNS1_11target_archE1200ELNS1_3gpuE4ELNS1_3repE0EEENS1_30default_config_static_selectorELNS0_4arch9wavefront6targetE0EEEvS12_.has_recursion, 0
	.set _ZN7rocprim17ROCPRIM_400000_NS6detail17trampoline_kernelINS0_13select_configILj256ELj13ELNS0_17block_load_methodE3ELS4_3ELS4_3ELNS0_20block_scan_algorithmE0ELj4294967295EEENS1_25partition_config_selectorILNS1_17partition_subalgoE4EjNS0_10empty_typeEbEEZZNS1_14partition_implILS8_4ELb0ES6_15HIP_vector_typeIjLj2EENS0_17counting_iteratorIjlEEPS9_SG_NS0_5tupleIJPjSI_NS0_16reverse_iteratorISI_EEEEENSH_IJSG_SG_SG_EEES9_SI_JZNS1_25segmented_radix_sort_implINS0_14default_configELb1EPKaPaPKlPlN2at6native12_GLOBAL__N_18offset_tEEE10hipError_tPvRmT1_PNSt15iterator_traitsIS12_E10value_typeET2_T3_PNS13_IS18_E10value_typeET4_jRbjT5_S1E_jjP12ihipStream_tbEUljE_ZNSN_ISO_Lb1ESQ_SR_ST_SU_SY_EESZ_S10_S11_S12_S16_S17_S18_S1B_S1C_jS1D_jS1E_S1E_jjS1G_bEUljE0_EEESZ_S10_S11_S18_S1C_S1E_T6_T7_T9_mT8_S1G_bDpT10_ENKUlT_T0_E_clISt17integral_constantIbLb1EES1U_EEDaS1P_S1Q_EUlS1P_E_NS1_11comp_targetILNS1_3genE10ELNS1_11target_archE1200ELNS1_3gpuE4ELNS1_3repE0EEENS1_30default_config_static_selectorELNS0_4arch9wavefront6targetE0EEEvS12_.has_indirect_call, 0
	.section	.AMDGPU.csdata,"",@progbits
; Kernel info:
; codeLenInByte = 0
; TotalNumSgprs: 0
; NumVgprs: 0
; ScratchSize: 0
; MemoryBound: 0
; FloatMode: 240
; IeeeMode: 1
; LDSByteSize: 0 bytes/workgroup (compile time only)
; SGPRBlocks: 0
; VGPRBlocks: 0
; NumSGPRsForWavesPerEU: 1
; NumVGPRsForWavesPerEU: 1
; Occupancy: 16
; WaveLimiterHint : 0
; COMPUTE_PGM_RSRC2:SCRATCH_EN: 0
; COMPUTE_PGM_RSRC2:USER_SGPR: 6
; COMPUTE_PGM_RSRC2:TRAP_HANDLER: 0
; COMPUTE_PGM_RSRC2:TGID_X_EN: 1
; COMPUTE_PGM_RSRC2:TGID_Y_EN: 0
; COMPUTE_PGM_RSRC2:TGID_Z_EN: 0
; COMPUTE_PGM_RSRC2:TIDIG_COMP_CNT: 0
	.section	.text._ZN7rocprim17ROCPRIM_400000_NS6detail17trampoline_kernelINS0_13select_configILj256ELj13ELNS0_17block_load_methodE3ELS4_3ELS4_3ELNS0_20block_scan_algorithmE0ELj4294967295EEENS1_25partition_config_selectorILNS1_17partition_subalgoE4EjNS0_10empty_typeEbEEZZNS1_14partition_implILS8_4ELb0ES6_15HIP_vector_typeIjLj2EENS0_17counting_iteratorIjlEEPS9_SG_NS0_5tupleIJPjSI_NS0_16reverse_iteratorISI_EEEEENSH_IJSG_SG_SG_EEES9_SI_JZNS1_25segmented_radix_sort_implINS0_14default_configELb1EPKaPaPKlPlN2at6native12_GLOBAL__N_18offset_tEEE10hipError_tPvRmT1_PNSt15iterator_traitsIS12_E10value_typeET2_T3_PNS13_IS18_E10value_typeET4_jRbjT5_S1E_jjP12ihipStream_tbEUljE_ZNSN_ISO_Lb1ESQ_SR_ST_SU_SY_EESZ_S10_S11_S12_S16_S17_S18_S1B_S1C_jS1D_jS1E_S1E_jjS1G_bEUljE0_EEESZ_S10_S11_S18_S1C_S1E_T6_T7_T9_mT8_S1G_bDpT10_ENKUlT_T0_E_clISt17integral_constantIbLb1EES1U_EEDaS1P_S1Q_EUlS1P_E_NS1_11comp_targetILNS1_3genE9ELNS1_11target_archE1100ELNS1_3gpuE3ELNS1_3repE0EEENS1_30default_config_static_selectorELNS0_4arch9wavefront6targetE0EEEvS12_,"axG",@progbits,_ZN7rocprim17ROCPRIM_400000_NS6detail17trampoline_kernelINS0_13select_configILj256ELj13ELNS0_17block_load_methodE3ELS4_3ELS4_3ELNS0_20block_scan_algorithmE0ELj4294967295EEENS1_25partition_config_selectorILNS1_17partition_subalgoE4EjNS0_10empty_typeEbEEZZNS1_14partition_implILS8_4ELb0ES6_15HIP_vector_typeIjLj2EENS0_17counting_iteratorIjlEEPS9_SG_NS0_5tupleIJPjSI_NS0_16reverse_iteratorISI_EEEEENSH_IJSG_SG_SG_EEES9_SI_JZNS1_25segmented_radix_sort_implINS0_14default_configELb1EPKaPaPKlPlN2at6native12_GLOBAL__N_18offset_tEEE10hipError_tPvRmT1_PNSt15iterator_traitsIS12_E10value_typeET2_T3_PNS13_IS18_E10value_typeET4_jRbjT5_S1E_jjP12ihipStream_tbEUljE_ZNSN_ISO_Lb1ESQ_SR_ST_SU_SY_EESZ_S10_S11_S12_S16_S17_S18_S1B_S1C_jS1D_jS1E_S1E_jjS1G_bEUljE0_EEESZ_S10_S11_S18_S1C_S1E_T6_T7_T9_mT8_S1G_bDpT10_ENKUlT_T0_E_clISt17integral_constantIbLb1EES1U_EEDaS1P_S1Q_EUlS1P_E_NS1_11comp_targetILNS1_3genE9ELNS1_11target_archE1100ELNS1_3gpuE3ELNS1_3repE0EEENS1_30default_config_static_selectorELNS0_4arch9wavefront6targetE0EEEvS12_,comdat
	.globl	_ZN7rocprim17ROCPRIM_400000_NS6detail17trampoline_kernelINS0_13select_configILj256ELj13ELNS0_17block_load_methodE3ELS4_3ELS4_3ELNS0_20block_scan_algorithmE0ELj4294967295EEENS1_25partition_config_selectorILNS1_17partition_subalgoE4EjNS0_10empty_typeEbEEZZNS1_14partition_implILS8_4ELb0ES6_15HIP_vector_typeIjLj2EENS0_17counting_iteratorIjlEEPS9_SG_NS0_5tupleIJPjSI_NS0_16reverse_iteratorISI_EEEEENSH_IJSG_SG_SG_EEES9_SI_JZNS1_25segmented_radix_sort_implINS0_14default_configELb1EPKaPaPKlPlN2at6native12_GLOBAL__N_18offset_tEEE10hipError_tPvRmT1_PNSt15iterator_traitsIS12_E10value_typeET2_T3_PNS13_IS18_E10value_typeET4_jRbjT5_S1E_jjP12ihipStream_tbEUljE_ZNSN_ISO_Lb1ESQ_SR_ST_SU_SY_EESZ_S10_S11_S12_S16_S17_S18_S1B_S1C_jS1D_jS1E_S1E_jjS1G_bEUljE0_EEESZ_S10_S11_S18_S1C_S1E_T6_T7_T9_mT8_S1G_bDpT10_ENKUlT_T0_E_clISt17integral_constantIbLb1EES1U_EEDaS1P_S1Q_EUlS1P_E_NS1_11comp_targetILNS1_3genE9ELNS1_11target_archE1100ELNS1_3gpuE3ELNS1_3repE0EEENS1_30default_config_static_selectorELNS0_4arch9wavefront6targetE0EEEvS12_ ; -- Begin function _ZN7rocprim17ROCPRIM_400000_NS6detail17trampoline_kernelINS0_13select_configILj256ELj13ELNS0_17block_load_methodE3ELS4_3ELS4_3ELNS0_20block_scan_algorithmE0ELj4294967295EEENS1_25partition_config_selectorILNS1_17partition_subalgoE4EjNS0_10empty_typeEbEEZZNS1_14partition_implILS8_4ELb0ES6_15HIP_vector_typeIjLj2EENS0_17counting_iteratorIjlEEPS9_SG_NS0_5tupleIJPjSI_NS0_16reverse_iteratorISI_EEEEENSH_IJSG_SG_SG_EEES9_SI_JZNS1_25segmented_radix_sort_implINS0_14default_configELb1EPKaPaPKlPlN2at6native12_GLOBAL__N_18offset_tEEE10hipError_tPvRmT1_PNSt15iterator_traitsIS12_E10value_typeET2_T3_PNS13_IS18_E10value_typeET4_jRbjT5_S1E_jjP12ihipStream_tbEUljE_ZNSN_ISO_Lb1ESQ_SR_ST_SU_SY_EESZ_S10_S11_S12_S16_S17_S18_S1B_S1C_jS1D_jS1E_S1E_jjS1G_bEUljE0_EEESZ_S10_S11_S18_S1C_S1E_T6_T7_T9_mT8_S1G_bDpT10_ENKUlT_T0_E_clISt17integral_constantIbLb1EES1U_EEDaS1P_S1Q_EUlS1P_E_NS1_11comp_targetILNS1_3genE9ELNS1_11target_archE1100ELNS1_3gpuE3ELNS1_3repE0EEENS1_30default_config_static_selectorELNS0_4arch9wavefront6targetE0EEEvS12_
	.p2align	8
	.type	_ZN7rocprim17ROCPRIM_400000_NS6detail17trampoline_kernelINS0_13select_configILj256ELj13ELNS0_17block_load_methodE3ELS4_3ELS4_3ELNS0_20block_scan_algorithmE0ELj4294967295EEENS1_25partition_config_selectorILNS1_17partition_subalgoE4EjNS0_10empty_typeEbEEZZNS1_14partition_implILS8_4ELb0ES6_15HIP_vector_typeIjLj2EENS0_17counting_iteratorIjlEEPS9_SG_NS0_5tupleIJPjSI_NS0_16reverse_iteratorISI_EEEEENSH_IJSG_SG_SG_EEES9_SI_JZNS1_25segmented_radix_sort_implINS0_14default_configELb1EPKaPaPKlPlN2at6native12_GLOBAL__N_18offset_tEEE10hipError_tPvRmT1_PNSt15iterator_traitsIS12_E10value_typeET2_T3_PNS13_IS18_E10value_typeET4_jRbjT5_S1E_jjP12ihipStream_tbEUljE_ZNSN_ISO_Lb1ESQ_SR_ST_SU_SY_EESZ_S10_S11_S12_S16_S17_S18_S1B_S1C_jS1D_jS1E_S1E_jjS1G_bEUljE0_EEESZ_S10_S11_S18_S1C_S1E_T6_T7_T9_mT8_S1G_bDpT10_ENKUlT_T0_E_clISt17integral_constantIbLb1EES1U_EEDaS1P_S1Q_EUlS1P_E_NS1_11comp_targetILNS1_3genE9ELNS1_11target_archE1100ELNS1_3gpuE3ELNS1_3repE0EEENS1_30default_config_static_selectorELNS0_4arch9wavefront6targetE0EEEvS12_,@function
_ZN7rocprim17ROCPRIM_400000_NS6detail17trampoline_kernelINS0_13select_configILj256ELj13ELNS0_17block_load_methodE3ELS4_3ELS4_3ELNS0_20block_scan_algorithmE0ELj4294967295EEENS1_25partition_config_selectorILNS1_17partition_subalgoE4EjNS0_10empty_typeEbEEZZNS1_14partition_implILS8_4ELb0ES6_15HIP_vector_typeIjLj2EENS0_17counting_iteratorIjlEEPS9_SG_NS0_5tupleIJPjSI_NS0_16reverse_iteratorISI_EEEEENSH_IJSG_SG_SG_EEES9_SI_JZNS1_25segmented_radix_sort_implINS0_14default_configELb1EPKaPaPKlPlN2at6native12_GLOBAL__N_18offset_tEEE10hipError_tPvRmT1_PNSt15iterator_traitsIS12_E10value_typeET2_T3_PNS13_IS18_E10value_typeET4_jRbjT5_S1E_jjP12ihipStream_tbEUljE_ZNSN_ISO_Lb1ESQ_SR_ST_SU_SY_EESZ_S10_S11_S12_S16_S17_S18_S1B_S1C_jS1D_jS1E_S1E_jjS1G_bEUljE0_EEESZ_S10_S11_S18_S1C_S1E_T6_T7_T9_mT8_S1G_bDpT10_ENKUlT_T0_E_clISt17integral_constantIbLb1EES1U_EEDaS1P_S1Q_EUlS1P_E_NS1_11comp_targetILNS1_3genE9ELNS1_11target_archE1100ELNS1_3gpuE3ELNS1_3repE0EEENS1_30default_config_static_selectorELNS0_4arch9wavefront6targetE0EEEvS12_: ; @_ZN7rocprim17ROCPRIM_400000_NS6detail17trampoline_kernelINS0_13select_configILj256ELj13ELNS0_17block_load_methodE3ELS4_3ELS4_3ELNS0_20block_scan_algorithmE0ELj4294967295EEENS1_25partition_config_selectorILNS1_17partition_subalgoE4EjNS0_10empty_typeEbEEZZNS1_14partition_implILS8_4ELb0ES6_15HIP_vector_typeIjLj2EENS0_17counting_iteratorIjlEEPS9_SG_NS0_5tupleIJPjSI_NS0_16reverse_iteratorISI_EEEEENSH_IJSG_SG_SG_EEES9_SI_JZNS1_25segmented_radix_sort_implINS0_14default_configELb1EPKaPaPKlPlN2at6native12_GLOBAL__N_18offset_tEEE10hipError_tPvRmT1_PNSt15iterator_traitsIS12_E10value_typeET2_T3_PNS13_IS18_E10value_typeET4_jRbjT5_S1E_jjP12ihipStream_tbEUljE_ZNSN_ISO_Lb1ESQ_SR_ST_SU_SY_EESZ_S10_S11_S12_S16_S17_S18_S1B_S1C_jS1D_jS1E_S1E_jjS1G_bEUljE0_EEESZ_S10_S11_S18_S1C_S1E_T6_T7_T9_mT8_S1G_bDpT10_ENKUlT_T0_E_clISt17integral_constantIbLb1EES1U_EEDaS1P_S1Q_EUlS1P_E_NS1_11comp_targetILNS1_3genE9ELNS1_11target_archE1100ELNS1_3gpuE3ELNS1_3repE0EEENS1_30default_config_static_selectorELNS0_4arch9wavefront6targetE0EEEvS12_
; %bb.0:
	.section	.rodata,"a",@progbits
	.p2align	6, 0x0
	.amdhsa_kernel _ZN7rocprim17ROCPRIM_400000_NS6detail17trampoline_kernelINS0_13select_configILj256ELj13ELNS0_17block_load_methodE3ELS4_3ELS4_3ELNS0_20block_scan_algorithmE0ELj4294967295EEENS1_25partition_config_selectorILNS1_17partition_subalgoE4EjNS0_10empty_typeEbEEZZNS1_14partition_implILS8_4ELb0ES6_15HIP_vector_typeIjLj2EENS0_17counting_iteratorIjlEEPS9_SG_NS0_5tupleIJPjSI_NS0_16reverse_iteratorISI_EEEEENSH_IJSG_SG_SG_EEES9_SI_JZNS1_25segmented_radix_sort_implINS0_14default_configELb1EPKaPaPKlPlN2at6native12_GLOBAL__N_18offset_tEEE10hipError_tPvRmT1_PNSt15iterator_traitsIS12_E10value_typeET2_T3_PNS13_IS18_E10value_typeET4_jRbjT5_S1E_jjP12ihipStream_tbEUljE_ZNSN_ISO_Lb1ESQ_SR_ST_SU_SY_EESZ_S10_S11_S12_S16_S17_S18_S1B_S1C_jS1D_jS1E_S1E_jjS1G_bEUljE0_EEESZ_S10_S11_S18_S1C_S1E_T6_T7_T9_mT8_S1G_bDpT10_ENKUlT_T0_E_clISt17integral_constantIbLb1EES1U_EEDaS1P_S1Q_EUlS1P_E_NS1_11comp_targetILNS1_3genE9ELNS1_11target_archE1100ELNS1_3gpuE3ELNS1_3repE0EEENS1_30default_config_static_selectorELNS0_4arch9wavefront6targetE0EEEvS12_
		.amdhsa_group_segment_fixed_size 0
		.amdhsa_private_segment_fixed_size 0
		.amdhsa_kernarg_size 184
		.amdhsa_user_sgpr_count 6
		.amdhsa_user_sgpr_private_segment_buffer 1
		.amdhsa_user_sgpr_dispatch_ptr 0
		.amdhsa_user_sgpr_queue_ptr 0
		.amdhsa_user_sgpr_kernarg_segment_ptr 1
		.amdhsa_user_sgpr_dispatch_id 0
		.amdhsa_user_sgpr_flat_scratch_init 0
		.amdhsa_user_sgpr_private_segment_size 0
		.amdhsa_wavefront_size32 1
		.amdhsa_uses_dynamic_stack 0
		.amdhsa_system_sgpr_private_segment_wavefront_offset 0
		.amdhsa_system_sgpr_workgroup_id_x 1
		.amdhsa_system_sgpr_workgroup_id_y 0
		.amdhsa_system_sgpr_workgroup_id_z 0
		.amdhsa_system_sgpr_workgroup_info 0
		.amdhsa_system_vgpr_workitem_id 0
		.amdhsa_next_free_vgpr 1
		.amdhsa_next_free_sgpr 1
		.amdhsa_reserve_vcc 0
		.amdhsa_reserve_flat_scratch 0
		.amdhsa_float_round_mode_32 0
		.amdhsa_float_round_mode_16_64 0
		.amdhsa_float_denorm_mode_32 3
		.amdhsa_float_denorm_mode_16_64 3
		.amdhsa_dx10_clamp 1
		.amdhsa_ieee_mode 1
		.amdhsa_fp16_overflow 0
		.amdhsa_workgroup_processor_mode 1
		.amdhsa_memory_ordered 1
		.amdhsa_forward_progress 1
		.amdhsa_shared_vgpr_count 0
		.amdhsa_exception_fp_ieee_invalid_op 0
		.amdhsa_exception_fp_denorm_src 0
		.amdhsa_exception_fp_ieee_div_zero 0
		.amdhsa_exception_fp_ieee_overflow 0
		.amdhsa_exception_fp_ieee_underflow 0
		.amdhsa_exception_fp_ieee_inexact 0
		.amdhsa_exception_int_div_zero 0
	.end_amdhsa_kernel
	.section	.text._ZN7rocprim17ROCPRIM_400000_NS6detail17trampoline_kernelINS0_13select_configILj256ELj13ELNS0_17block_load_methodE3ELS4_3ELS4_3ELNS0_20block_scan_algorithmE0ELj4294967295EEENS1_25partition_config_selectorILNS1_17partition_subalgoE4EjNS0_10empty_typeEbEEZZNS1_14partition_implILS8_4ELb0ES6_15HIP_vector_typeIjLj2EENS0_17counting_iteratorIjlEEPS9_SG_NS0_5tupleIJPjSI_NS0_16reverse_iteratorISI_EEEEENSH_IJSG_SG_SG_EEES9_SI_JZNS1_25segmented_radix_sort_implINS0_14default_configELb1EPKaPaPKlPlN2at6native12_GLOBAL__N_18offset_tEEE10hipError_tPvRmT1_PNSt15iterator_traitsIS12_E10value_typeET2_T3_PNS13_IS18_E10value_typeET4_jRbjT5_S1E_jjP12ihipStream_tbEUljE_ZNSN_ISO_Lb1ESQ_SR_ST_SU_SY_EESZ_S10_S11_S12_S16_S17_S18_S1B_S1C_jS1D_jS1E_S1E_jjS1G_bEUljE0_EEESZ_S10_S11_S18_S1C_S1E_T6_T7_T9_mT8_S1G_bDpT10_ENKUlT_T0_E_clISt17integral_constantIbLb1EES1U_EEDaS1P_S1Q_EUlS1P_E_NS1_11comp_targetILNS1_3genE9ELNS1_11target_archE1100ELNS1_3gpuE3ELNS1_3repE0EEENS1_30default_config_static_selectorELNS0_4arch9wavefront6targetE0EEEvS12_,"axG",@progbits,_ZN7rocprim17ROCPRIM_400000_NS6detail17trampoline_kernelINS0_13select_configILj256ELj13ELNS0_17block_load_methodE3ELS4_3ELS4_3ELNS0_20block_scan_algorithmE0ELj4294967295EEENS1_25partition_config_selectorILNS1_17partition_subalgoE4EjNS0_10empty_typeEbEEZZNS1_14partition_implILS8_4ELb0ES6_15HIP_vector_typeIjLj2EENS0_17counting_iteratorIjlEEPS9_SG_NS0_5tupleIJPjSI_NS0_16reverse_iteratorISI_EEEEENSH_IJSG_SG_SG_EEES9_SI_JZNS1_25segmented_radix_sort_implINS0_14default_configELb1EPKaPaPKlPlN2at6native12_GLOBAL__N_18offset_tEEE10hipError_tPvRmT1_PNSt15iterator_traitsIS12_E10value_typeET2_T3_PNS13_IS18_E10value_typeET4_jRbjT5_S1E_jjP12ihipStream_tbEUljE_ZNSN_ISO_Lb1ESQ_SR_ST_SU_SY_EESZ_S10_S11_S12_S16_S17_S18_S1B_S1C_jS1D_jS1E_S1E_jjS1G_bEUljE0_EEESZ_S10_S11_S18_S1C_S1E_T6_T7_T9_mT8_S1G_bDpT10_ENKUlT_T0_E_clISt17integral_constantIbLb1EES1U_EEDaS1P_S1Q_EUlS1P_E_NS1_11comp_targetILNS1_3genE9ELNS1_11target_archE1100ELNS1_3gpuE3ELNS1_3repE0EEENS1_30default_config_static_selectorELNS0_4arch9wavefront6targetE0EEEvS12_,comdat
.Lfunc_end238:
	.size	_ZN7rocprim17ROCPRIM_400000_NS6detail17trampoline_kernelINS0_13select_configILj256ELj13ELNS0_17block_load_methodE3ELS4_3ELS4_3ELNS0_20block_scan_algorithmE0ELj4294967295EEENS1_25partition_config_selectorILNS1_17partition_subalgoE4EjNS0_10empty_typeEbEEZZNS1_14partition_implILS8_4ELb0ES6_15HIP_vector_typeIjLj2EENS0_17counting_iteratorIjlEEPS9_SG_NS0_5tupleIJPjSI_NS0_16reverse_iteratorISI_EEEEENSH_IJSG_SG_SG_EEES9_SI_JZNS1_25segmented_radix_sort_implINS0_14default_configELb1EPKaPaPKlPlN2at6native12_GLOBAL__N_18offset_tEEE10hipError_tPvRmT1_PNSt15iterator_traitsIS12_E10value_typeET2_T3_PNS13_IS18_E10value_typeET4_jRbjT5_S1E_jjP12ihipStream_tbEUljE_ZNSN_ISO_Lb1ESQ_SR_ST_SU_SY_EESZ_S10_S11_S12_S16_S17_S18_S1B_S1C_jS1D_jS1E_S1E_jjS1G_bEUljE0_EEESZ_S10_S11_S18_S1C_S1E_T6_T7_T9_mT8_S1G_bDpT10_ENKUlT_T0_E_clISt17integral_constantIbLb1EES1U_EEDaS1P_S1Q_EUlS1P_E_NS1_11comp_targetILNS1_3genE9ELNS1_11target_archE1100ELNS1_3gpuE3ELNS1_3repE0EEENS1_30default_config_static_selectorELNS0_4arch9wavefront6targetE0EEEvS12_, .Lfunc_end238-_ZN7rocprim17ROCPRIM_400000_NS6detail17trampoline_kernelINS0_13select_configILj256ELj13ELNS0_17block_load_methodE3ELS4_3ELS4_3ELNS0_20block_scan_algorithmE0ELj4294967295EEENS1_25partition_config_selectorILNS1_17partition_subalgoE4EjNS0_10empty_typeEbEEZZNS1_14partition_implILS8_4ELb0ES6_15HIP_vector_typeIjLj2EENS0_17counting_iteratorIjlEEPS9_SG_NS0_5tupleIJPjSI_NS0_16reverse_iteratorISI_EEEEENSH_IJSG_SG_SG_EEES9_SI_JZNS1_25segmented_radix_sort_implINS0_14default_configELb1EPKaPaPKlPlN2at6native12_GLOBAL__N_18offset_tEEE10hipError_tPvRmT1_PNSt15iterator_traitsIS12_E10value_typeET2_T3_PNS13_IS18_E10value_typeET4_jRbjT5_S1E_jjP12ihipStream_tbEUljE_ZNSN_ISO_Lb1ESQ_SR_ST_SU_SY_EESZ_S10_S11_S12_S16_S17_S18_S1B_S1C_jS1D_jS1E_S1E_jjS1G_bEUljE0_EEESZ_S10_S11_S18_S1C_S1E_T6_T7_T9_mT8_S1G_bDpT10_ENKUlT_T0_E_clISt17integral_constantIbLb1EES1U_EEDaS1P_S1Q_EUlS1P_E_NS1_11comp_targetILNS1_3genE9ELNS1_11target_archE1100ELNS1_3gpuE3ELNS1_3repE0EEENS1_30default_config_static_selectorELNS0_4arch9wavefront6targetE0EEEvS12_
                                        ; -- End function
	.set _ZN7rocprim17ROCPRIM_400000_NS6detail17trampoline_kernelINS0_13select_configILj256ELj13ELNS0_17block_load_methodE3ELS4_3ELS4_3ELNS0_20block_scan_algorithmE0ELj4294967295EEENS1_25partition_config_selectorILNS1_17partition_subalgoE4EjNS0_10empty_typeEbEEZZNS1_14partition_implILS8_4ELb0ES6_15HIP_vector_typeIjLj2EENS0_17counting_iteratorIjlEEPS9_SG_NS0_5tupleIJPjSI_NS0_16reverse_iteratorISI_EEEEENSH_IJSG_SG_SG_EEES9_SI_JZNS1_25segmented_radix_sort_implINS0_14default_configELb1EPKaPaPKlPlN2at6native12_GLOBAL__N_18offset_tEEE10hipError_tPvRmT1_PNSt15iterator_traitsIS12_E10value_typeET2_T3_PNS13_IS18_E10value_typeET4_jRbjT5_S1E_jjP12ihipStream_tbEUljE_ZNSN_ISO_Lb1ESQ_SR_ST_SU_SY_EESZ_S10_S11_S12_S16_S17_S18_S1B_S1C_jS1D_jS1E_S1E_jjS1G_bEUljE0_EEESZ_S10_S11_S18_S1C_S1E_T6_T7_T9_mT8_S1G_bDpT10_ENKUlT_T0_E_clISt17integral_constantIbLb1EES1U_EEDaS1P_S1Q_EUlS1P_E_NS1_11comp_targetILNS1_3genE9ELNS1_11target_archE1100ELNS1_3gpuE3ELNS1_3repE0EEENS1_30default_config_static_selectorELNS0_4arch9wavefront6targetE0EEEvS12_.num_vgpr, 0
	.set _ZN7rocprim17ROCPRIM_400000_NS6detail17trampoline_kernelINS0_13select_configILj256ELj13ELNS0_17block_load_methodE3ELS4_3ELS4_3ELNS0_20block_scan_algorithmE0ELj4294967295EEENS1_25partition_config_selectorILNS1_17partition_subalgoE4EjNS0_10empty_typeEbEEZZNS1_14partition_implILS8_4ELb0ES6_15HIP_vector_typeIjLj2EENS0_17counting_iteratorIjlEEPS9_SG_NS0_5tupleIJPjSI_NS0_16reverse_iteratorISI_EEEEENSH_IJSG_SG_SG_EEES9_SI_JZNS1_25segmented_radix_sort_implINS0_14default_configELb1EPKaPaPKlPlN2at6native12_GLOBAL__N_18offset_tEEE10hipError_tPvRmT1_PNSt15iterator_traitsIS12_E10value_typeET2_T3_PNS13_IS18_E10value_typeET4_jRbjT5_S1E_jjP12ihipStream_tbEUljE_ZNSN_ISO_Lb1ESQ_SR_ST_SU_SY_EESZ_S10_S11_S12_S16_S17_S18_S1B_S1C_jS1D_jS1E_S1E_jjS1G_bEUljE0_EEESZ_S10_S11_S18_S1C_S1E_T6_T7_T9_mT8_S1G_bDpT10_ENKUlT_T0_E_clISt17integral_constantIbLb1EES1U_EEDaS1P_S1Q_EUlS1P_E_NS1_11comp_targetILNS1_3genE9ELNS1_11target_archE1100ELNS1_3gpuE3ELNS1_3repE0EEENS1_30default_config_static_selectorELNS0_4arch9wavefront6targetE0EEEvS12_.num_agpr, 0
	.set _ZN7rocprim17ROCPRIM_400000_NS6detail17trampoline_kernelINS0_13select_configILj256ELj13ELNS0_17block_load_methodE3ELS4_3ELS4_3ELNS0_20block_scan_algorithmE0ELj4294967295EEENS1_25partition_config_selectorILNS1_17partition_subalgoE4EjNS0_10empty_typeEbEEZZNS1_14partition_implILS8_4ELb0ES6_15HIP_vector_typeIjLj2EENS0_17counting_iteratorIjlEEPS9_SG_NS0_5tupleIJPjSI_NS0_16reverse_iteratorISI_EEEEENSH_IJSG_SG_SG_EEES9_SI_JZNS1_25segmented_radix_sort_implINS0_14default_configELb1EPKaPaPKlPlN2at6native12_GLOBAL__N_18offset_tEEE10hipError_tPvRmT1_PNSt15iterator_traitsIS12_E10value_typeET2_T3_PNS13_IS18_E10value_typeET4_jRbjT5_S1E_jjP12ihipStream_tbEUljE_ZNSN_ISO_Lb1ESQ_SR_ST_SU_SY_EESZ_S10_S11_S12_S16_S17_S18_S1B_S1C_jS1D_jS1E_S1E_jjS1G_bEUljE0_EEESZ_S10_S11_S18_S1C_S1E_T6_T7_T9_mT8_S1G_bDpT10_ENKUlT_T0_E_clISt17integral_constantIbLb1EES1U_EEDaS1P_S1Q_EUlS1P_E_NS1_11comp_targetILNS1_3genE9ELNS1_11target_archE1100ELNS1_3gpuE3ELNS1_3repE0EEENS1_30default_config_static_selectorELNS0_4arch9wavefront6targetE0EEEvS12_.numbered_sgpr, 0
	.set _ZN7rocprim17ROCPRIM_400000_NS6detail17trampoline_kernelINS0_13select_configILj256ELj13ELNS0_17block_load_methodE3ELS4_3ELS4_3ELNS0_20block_scan_algorithmE0ELj4294967295EEENS1_25partition_config_selectorILNS1_17partition_subalgoE4EjNS0_10empty_typeEbEEZZNS1_14partition_implILS8_4ELb0ES6_15HIP_vector_typeIjLj2EENS0_17counting_iteratorIjlEEPS9_SG_NS0_5tupleIJPjSI_NS0_16reverse_iteratorISI_EEEEENSH_IJSG_SG_SG_EEES9_SI_JZNS1_25segmented_radix_sort_implINS0_14default_configELb1EPKaPaPKlPlN2at6native12_GLOBAL__N_18offset_tEEE10hipError_tPvRmT1_PNSt15iterator_traitsIS12_E10value_typeET2_T3_PNS13_IS18_E10value_typeET4_jRbjT5_S1E_jjP12ihipStream_tbEUljE_ZNSN_ISO_Lb1ESQ_SR_ST_SU_SY_EESZ_S10_S11_S12_S16_S17_S18_S1B_S1C_jS1D_jS1E_S1E_jjS1G_bEUljE0_EEESZ_S10_S11_S18_S1C_S1E_T6_T7_T9_mT8_S1G_bDpT10_ENKUlT_T0_E_clISt17integral_constantIbLb1EES1U_EEDaS1P_S1Q_EUlS1P_E_NS1_11comp_targetILNS1_3genE9ELNS1_11target_archE1100ELNS1_3gpuE3ELNS1_3repE0EEENS1_30default_config_static_selectorELNS0_4arch9wavefront6targetE0EEEvS12_.num_named_barrier, 0
	.set _ZN7rocprim17ROCPRIM_400000_NS6detail17trampoline_kernelINS0_13select_configILj256ELj13ELNS0_17block_load_methodE3ELS4_3ELS4_3ELNS0_20block_scan_algorithmE0ELj4294967295EEENS1_25partition_config_selectorILNS1_17partition_subalgoE4EjNS0_10empty_typeEbEEZZNS1_14partition_implILS8_4ELb0ES6_15HIP_vector_typeIjLj2EENS0_17counting_iteratorIjlEEPS9_SG_NS0_5tupleIJPjSI_NS0_16reverse_iteratorISI_EEEEENSH_IJSG_SG_SG_EEES9_SI_JZNS1_25segmented_radix_sort_implINS0_14default_configELb1EPKaPaPKlPlN2at6native12_GLOBAL__N_18offset_tEEE10hipError_tPvRmT1_PNSt15iterator_traitsIS12_E10value_typeET2_T3_PNS13_IS18_E10value_typeET4_jRbjT5_S1E_jjP12ihipStream_tbEUljE_ZNSN_ISO_Lb1ESQ_SR_ST_SU_SY_EESZ_S10_S11_S12_S16_S17_S18_S1B_S1C_jS1D_jS1E_S1E_jjS1G_bEUljE0_EEESZ_S10_S11_S18_S1C_S1E_T6_T7_T9_mT8_S1G_bDpT10_ENKUlT_T0_E_clISt17integral_constantIbLb1EES1U_EEDaS1P_S1Q_EUlS1P_E_NS1_11comp_targetILNS1_3genE9ELNS1_11target_archE1100ELNS1_3gpuE3ELNS1_3repE0EEENS1_30default_config_static_selectorELNS0_4arch9wavefront6targetE0EEEvS12_.private_seg_size, 0
	.set _ZN7rocprim17ROCPRIM_400000_NS6detail17trampoline_kernelINS0_13select_configILj256ELj13ELNS0_17block_load_methodE3ELS4_3ELS4_3ELNS0_20block_scan_algorithmE0ELj4294967295EEENS1_25partition_config_selectorILNS1_17partition_subalgoE4EjNS0_10empty_typeEbEEZZNS1_14partition_implILS8_4ELb0ES6_15HIP_vector_typeIjLj2EENS0_17counting_iteratorIjlEEPS9_SG_NS0_5tupleIJPjSI_NS0_16reverse_iteratorISI_EEEEENSH_IJSG_SG_SG_EEES9_SI_JZNS1_25segmented_radix_sort_implINS0_14default_configELb1EPKaPaPKlPlN2at6native12_GLOBAL__N_18offset_tEEE10hipError_tPvRmT1_PNSt15iterator_traitsIS12_E10value_typeET2_T3_PNS13_IS18_E10value_typeET4_jRbjT5_S1E_jjP12ihipStream_tbEUljE_ZNSN_ISO_Lb1ESQ_SR_ST_SU_SY_EESZ_S10_S11_S12_S16_S17_S18_S1B_S1C_jS1D_jS1E_S1E_jjS1G_bEUljE0_EEESZ_S10_S11_S18_S1C_S1E_T6_T7_T9_mT8_S1G_bDpT10_ENKUlT_T0_E_clISt17integral_constantIbLb1EES1U_EEDaS1P_S1Q_EUlS1P_E_NS1_11comp_targetILNS1_3genE9ELNS1_11target_archE1100ELNS1_3gpuE3ELNS1_3repE0EEENS1_30default_config_static_selectorELNS0_4arch9wavefront6targetE0EEEvS12_.uses_vcc, 0
	.set _ZN7rocprim17ROCPRIM_400000_NS6detail17trampoline_kernelINS0_13select_configILj256ELj13ELNS0_17block_load_methodE3ELS4_3ELS4_3ELNS0_20block_scan_algorithmE0ELj4294967295EEENS1_25partition_config_selectorILNS1_17partition_subalgoE4EjNS0_10empty_typeEbEEZZNS1_14partition_implILS8_4ELb0ES6_15HIP_vector_typeIjLj2EENS0_17counting_iteratorIjlEEPS9_SG_NS0_5tupleIJPjSI_NS0_16reverse_iteratorISI_EEEEENSH_IJSG_SG_SG_EEES9_SI_JZNS1_25segmented_radix_sort_implINS0_14default_configELb1EPKaPaPKlPlN2at6native12_GLOBAL__N_18offset_tEEE10hipError_tPvRmT1_PNSt15iterator_traitsIS12_E10value_typeET2_T3_PNS13_IS18_E10value_typeET4_jRbjT5_S1E_jjP12ihipStream_tbEUljE_ZNSN_ISO_Lb1ESQ_SR_ST_SU_SY_EESZ_S10_S11_S12_S16_S17_S18_S1B_S1C_jS1D_jS1E_S1E_jjS1G_bEUljE0_EEESZ_S10_S11_S18_S1C_S1E_T6_T7_T9_mT8_S1G_bDpT10_ENKUlT_T0_E_clISt17integral_constantIbLb1EES1U_EEDaS1P_S1Q_EUlS1P_E_NS1_11comp_targetILNS1_3genE9ELNS1_11target_archE1100ELNS1_3gpuE3ELNS1_3repE0EEENS1_30default_config_static_selectorELNS0_4arch9wavefront6targetE0EEEvS12_.uses_flat_scratch, 0
	.set _ZN7rocprim17ROCPRIM_400000_NS6detail17trampoline_kernelINS0_13select_configILj256ELj13ELNS0_17block_load_methodE3ELS4_3ELS4_3ELNS0_20block_scan_algorithmE0ELj4294967295EEENS1_25partition_config_selectorILNS1_17partition_subalgoE4EjNS0_10empty_typeEbEEZZNS1_14partition_implILS8_4ELb0ES6_15HIP_vector_typeIjLj2EENS0_17counting_iteratorIjlEEPS9_SG_NS0_5tupleIJPjSI_NS0_16reverse_iteratorISI_EEEEENSH_IJSG_SG_SG_EEES9_SI_JZNS1_25segmented_radix_sort_implINS0_14default_configELb1EPKaPaPKlPlN2at6native12_GLOBAL__N_18offset_tEEE10hipError_tPvRmT1_PNSt15iterator_traitsIS12_E10value_typeET2_T3_PNS13_IS18_E10value_typeET4_jRbjT5_S1E_jjP12ihipStream_tbEUljE_ZNSN_ISO_Lb1ESQ_SR_ST_SU_SY_EESZ_S10_S11_S12_S16_S17_S18_S1B_S1C_jS1D_jS1E_S1E_jjS1G_bEUljE0_EEESZ_S10_S11_S18_S1C_S1E_T6_T7_T9_mT8_S1G_bDpT10_ENKUlT_T0_E_clISt17integral_constantIbLb1EES1U_EEDaS1P_S1Q_EUlS1P_E_NS1_11comp_targetILNS1_3genE9ELNS1_11target_archE1100ELNS1_3gpuE3ELNS1_3repE0EEENS1_30default_config_static_selectorELNS0_4arch9wavefront6targetE0EEEvS12_.has_dyn_sized_stack, 0
	.set _ZN7rocprim17ROCPRIM_400000_NS6detail17trampoline_kernelINS0_13select_configILj256ELj13ELNS0_17block_load_methodE3ELS4_3ELS4_3ELNS0_20block_scan_algorithmE0ELj4294967295EEENS1_25partition_config_selectorILNS1_17partition_subalgoE4EjNS0_10empty_typeEbEEZZNS1_14partition_implILS8_4ELb0ES6_15HIP_vector_typeIjLj2EENS0_17counting_iteratorIjlEEPS9_SG_NS0_5tupleIJPjSI_NS0_16reverse_iteratorISI_EEEEENSH_IJSG_SG_SG_EEES9_SI_JZNS1_25segmented_radix_sort_implINS0_14default_configELb1EPKaPaPKlPlN2at6native12_GLOBAL__N_18offset_tEEE10hipError_tPvRmT1_PNSt15iterator_traitsIS12_E10value_typeET2_T3_PNS13_IS18_E10value_typeET4_jRbjT5_S1E_jjP12ihipStream_tbEUljE_ZNSN_ISO_Lb1ESQ_SR_ST_SU_SY_EESZ_S10_S11_S12_S16_S17_S18_S1B_S1C_jS1D_jS1E_S1E_jjS1G_bEUljE0_EEESZ_S10_S11_S18_S1C_S1E_T6_T7_T9_mT8_S1G_bDpT10_ENKUlT_T0_E_clISt17integral_constantIbLb1EES1U_EEDaS1P_S1Q_EUlS1P_E_NS1_11comp_targetILNS1_3genE9ELNS1_11target_archE1100ELNS1_3gpuE3ELNS1_3repE0EEENS1_30default_config_static_selectorELNS0_4arch9wavefront6targetE0EEEvS12_.has_recursion, 0
	.set _ZN7rocprim17ROCPRIM_400000_NS6detail17trampoline_kernelINS0_13select_configILj256ELj13ELNS0_17block_load_methodE3ELS4_3ELS4_3ELNS0_20block_scan_algorithmE0ELj4294967295EEENS1_25partition_config_selectorILNS1_17partition_subalgoE4EjNS0_10empty_typeEbEEZZNS1_14partition_implILS8_4ELb0ES6_15HIP_vector_typeIjLj2EENS0_17counting_iteratorIjlEEPS9_SG_NS0_5tupleIJPjSI_NS0_16reverse_iteratorISI_EEEEENSH_IJSG_SG_SG_EEES9_SI_JZNS1_25segmented_radix_sort_implINS0_14default_configELb1EPKaPaPKlPlN2at6native12_GLOBAL__N_18offset_tEEE10hipError_tPvRmT1_PNSt15iterator_traitsIS12_E10value_typeET2_T3_PNS13_IS18_E10value_typeET4_jRbjT5_S1E_jjP12ihipStream_tbEUljE_ZNSN_ISO_Lb1ESQ_SR_ST_SU_SY_EESZ_S10_S11_S12_S16_S17_S18_S1B_S1C_jS1D_jS1E_S1E_jjS1G_bEUljE0_EEESZ_S10_S11_S18_S1C_S1E_T6_T7_T9_mT8_S1G_bDpT10_ENKUlT_T0_E_clISt17integral_constantIbLb1EES1U_EEDaS1P_S1Q_EUlS1P_E_NS1_11comp_targetILNS1_3genE9ELNS1_11target_archE1100ELNS1_3gpuE3ELNS1_3repE0EEENS1_30default_config_static_selectorELNS0_4arch9wavefront6targetE0EEEvS12_.has_indirect_call, 0
	.section	.AMDGPU.csdata,"",@progbits
; Kernel info:
; codeLenInByte = 0
; TotalNumSgprs: 0
; NumVgprs: 0
; ScratchSize: 0
; MemoryBound: 0
; FloatMode: 240
; IeeeMode: 1
; LDSByteSize: 0 bytes/workgroup (compile time only)
; SGPRBlocks: 0
; VGPRBlocks: 0
; NumSGPRsForWavesPerEU: 1
; NumVGPRsForWavesPerEU: 1
; Occupancy: 16
; WaveLimiterHint : 0
; COMPUTE_PGM_RSRC2:SCRATCH_EN: 0
; COMPUTE_PGM_RSRC2:USER_SGPR: 6
; COMPUTE_PGM_RSRC2:TRAP_HANDLER: 0
; COMPUTE_PGM_RSRC2:TGID_X_EN: 1
; COMPUTE_PGM_RSRC2:TGID_Y_EN: 0
; COMPUTE_PGM_RSRC2:TGID_Z_EN: 0
; COMPUTE_PGM_RSRC2:TIDIG_COMP_CNT: 0
	.section	.text._ZN7rocprim17ROCPRIM_400000_NS6detail17trampoline_kernelINS0_13select_configILj256ELj13ELNS0_17block_load_methodE3ELS4_3ELS4_3ELNS0_20block_scan_algorithmE0ELj4294967295EEENS1_25partition_config_selectorILNS1_17partition_subalgoE4EjNS0_10empty_typeEbEEZZNS1_14partition_implILS8_4ELb0ES6_15HIP_vector_typeIjLj2EENS0_17counting_iteratorIjlEEPS9_SG_NS0_5tupleIJPjSI_NS0_16reverse_iteratorISI_EEEEENSH_IJSG_SG_SG_EEES9_SI_JZNS1_25segmented_radix_sort_implINS0_14default_configELb1EPKaPaPKlPlN2at6native12_GLOBAL__N_18offset_tEEE10hipError_tPvRmT1_PNSt15iterator_traitsIS12_E10value_typeET2_T3_PNS13_IS18_E10value_typeET4_jRbjT5_S1E_jjP12ihipStream_tbEUljE_ZNSN_ISO_Lb1ESQ_SR_ST_SU_SY_EESZ_S10_S11_S12_S16_S17_S18_S1B_S1C_jS1D_jS1E_S1E_jjS1G_bEUljE0_EEESZ_S10_S11_S18_S1C_S1E_T6_T7_T9_mT8_S1G_bDpT10_ENKUlT_T0_E_clISt17integral_constantIbLb1EES1U_EEDaS1P_S1Q_EUlS1P_E_NS1_11comp_targetILNS1_3genE8ELNS1_11target_archE1030ELNS1_3gpuE2ELNS1_3repE0EEENS1_30default_config_static_selectorELNS0_4arch9wavefront6targetE0EEEvS12_,"axG",@progbits,_ZN7rocprim17ROCPRIM_400000_NS6detail17trampoline_kernelINS0_13select_configILj256ELj13ELNS0_17block_load_methodE3ELS4_3ELS4_3ELNS0_20block_scan_algorithmE0ELj4294967295EEENS1_25partition_config_selectorILNS1_17partition_subalgoE4EjNS0_10empty_typeEbEEZZNS1_14partition_implILS8_4ELb0ES6_15HIP_vector_typeIjLj2EENS0_17counting_iteratorIjlEEPS9_SG_NS0_5tupleIJPjSI_NS0_16reverse_iteratorISI_EEEEENSH_IJSG_SG_SG_EEES9_SI_JZNS1_25segmented_radix_sort_implINS0_14default_configELb1EPKaPaPKlPlN2at6native12_GLOBAL__N_18offset_tEEE10hipError_tPvRmT1_PNSt15iterator_traitsIS12_E10value_typeET2_T3_PNS13_IS18_E10value_typeET4_jRbjT5_S1E_jjP12ihipStream_tbEUljE_ZNSN_ISO_Lb1ESQ_SR_ST_SU_SY_EESZ_S10_S11_S12_S16_S17_S18_S1B_S1C_jS1D_jS1E_S1E_jjS1G_bEUljE0_EEESZ_S10_S11_S18_S1C_S1E_T6_T7_T9_mT8_S1G_bDpT10_ENKUlT_T0_E_clISt17integral_constantIbLb1EES1U_EEDaS1P_S1Q_EUlS1P_E_NS1_11comp_targetILNS1_3genE8ELNS1_11target_archE1030ELNS1_3gpuE2ELNS1_3repE0EEENS1_30default_config_static_selectorELNS0_4arch9wavefront6targetE0EEEvS12_,comdat
	.globl	_ZN7rocprim17ROCPRIM_400000_NS6detail17trampoline_kernelINS0_13select_configILj256ELj13ELNS0_17block_load_methodE3ELS4_3ELS4_3ELNS0_20block_scan_algorithmE0ELj4294967295EEENS1_25partition_config_selectorILNS1_17partition_subalgoE4EjNS0_10empty_typeEbEEZZNS1_14partition_implILS8_4ELb0ES6_15HIP_vector_typeIjLj2EENS0_17counting_iteratorIjlEEPS9_SG_NS0_5tupleIJPjSI_NS0_16reverse_iteratorISI_EEEEENSH_IJSG_SG_SG_EEES9_SI_JZNS1_25segmented_radix_sort_implINS0_14default_configELb1EPKaPaPKlPlN2at6native12_GLOBAL__N_18offset_tEEE10hipError_tPvRmT1_PNSt15iterator_traitsIS12_E10value_typeET2_T3_PNS13_IS18_E10value_typeET4_jRbjT5_S1E_jjP12ihipStream_tbEUljE_ZNSN_ISO_Lb1ESQ_SR_ST_SU_SY_EESZ_S10_S11_S12_S16_S17_S18_S1B_S1C_jS1D_jS1E_S1E_jjS1G_bEUljE0_EEESZ_S10_S11_S18_S1C_S1E_T6_T7_T9_mT8_S1G_bDpT10_ENKUlT_T0_E_clISt17integral_constantIbLb1EES1U_EEDaS1P_S1Q_EUlS1P_E_NS1_11comp_targetILNS1_3genE8ELNS1_11target_archE1030ELNS1_3gpuE2ELNS1_3repE0EEENS1_30default_config_static_selectorELNS0_4arch9wavefront6targetE0EEEvS12_ ; -- Begin function _ZN7rocprim17ROCPRIM_400000_NS6detail17trampoline_kernelINS0_13select_configILj256ELj13ELNS0_17block_load_methodE3ELS4_3ELS4_3ELNS0_20block_scan_algorithmE0ELj4294967295EEENS1_25partition_config_selectorILNS1_17partition_subalgoE4EjNS0_10empty_typeEbEEZZNS1_14partition_implILS8_4ELb0ES6_15HIP_vector_typeIjLj2EENS0_17counting_iteratorIjlEEPS9_SG_NS0_5tupleIJPjSI_NS0_16reverse_iteratorISI_EEEEENSH_IJSG_SG_SG_EEES9_SI_JZNS1_25segmented_radix_sort_implINS0_14default_configELb1EPKaPaPKlPlN2at6native12_GLOBAL__N_18offset_tEEE10hipError_tPvRmT1_PNSt15iterator_traitsIS12_E10value_typeET2_T3_PNS13_IS18_E10value_typeET4_jRbjT5_S1E_jjP12ihipStream_tbEUljE_ZNSN_ISO_Lb1ESQ_SR_ST_SU_SY_EESZ_S10_S11_S12_S16_S17_S18_S1B_S1C_jS1D_jS1E_S1E_jjS1G_bEUljE0_EEESZ_S10_S11_S18_S1C_S1E_T6_T7_T9_mT8_S1G_bDpT10_ENKUlT_T0_E_clISt17integral_constantIbLb1EES1U_EEDaS1P_S1Q_EUlS1P_E_NS1_11comp_targetILNS1_3genE8ELNS1_11target_archE1030ELNS1_3gpuE2ELNS1_3repE0EEENS1_30default_config_static_selectorELNS0_4arch9wavefront6targetE0EEEvS12_
	.p2align	8
	.type	_ZN7rocprim17ROCPRIM_400000_NS6detail17trampoline_kernelINS0_13select_configILj256ELj13ELNS0_17block_load_methodE3ELS4_3ELS4_3ELNS0_20block_scan_algorithmE0ELj4294967295EEENS1_25partition_config_selectorILNS1_17partition_subalgoE4EjNS0_10empty_typeEbEEZZNS1_14partition_implILS8_4ELb0ES6_15HIP_vector_typeIjLj2EENS0_17counting_iteratorIjlEEPS9_SG_NS0_5tupleIJPjSI_NS0_16reverse_iteratorISI_EEEEENSH_IJSG_SG_SG_EEES9_SI_JZNS1_25segmented_radix_sort_implINS0_14default_configELb1EPKaPaPKlPlN2at6native12_GLOBAL__N_18offset_tEEE10hipError_tPvRmT1_PNSt15iterator_traitsIS12_E10value_typeET2_T3_PNS13_IS18_E10value_typeET4_jRbjT5_S1E_jjP12ihipStream_tbEUljE_ZNSN_ISO_Lb1ESQ_SR_ST_SU_SY_EESZ_S10_S11_S12_S16_S17_S18_S1B_S1C_jS1D_jS1E_S1E_jjS1G_bEUljE0_EEESZ_S10_S11_S18_S1C_S1E_T6_T7_T9_mT8_S1G_bDpT10_ENKUlT_T0_E_clISt17integral_constantIbLb1EES1U_EEDaS1P_S1Q_EUlS1P_E_NS1_11comp_targetILNS1_3genE8ELNS1_11target_archE1030ELNS1_3gpuE2ELNS1_3repE0EEENS1_30default_config_static_selectorELNS0_4arch9wavefront6targetE0EEEvS12_,@function
_ZN7rocprim17ROCPRIM_400000_NS6detail17trampoline_kernelINS0_13select_configILj256ELj13ELNS0_17block_load_methodE3ELS4_3ELS4_3ELNS0_20block_scan_algorithmE0ELj4294967295EEENS1_25partition_config_selectorILNS1_17partition_subalgoE4EjNS0_10empty_typeEbEEZZNS1_14partition_implILS8_4ELb0ES6_15HIP_vector_typeIjLj2EENS0_17counting_iteratorIjlEEPS9_SG_NS0_5tupleIJPjSI_NS0_16reverse_iteratorISI_EEEEENSH_IJSG_SG_SG_EEES9_SI_JZNS1_25segmented_radix_sort_implINS0_14default_configELb1EPKaPaPKlPlN2at6native12_GLOBAL__N_18offset_tEEE10hipError_tPvRmT1_PNSt15iterator_traitsIS12_E10value_typeET2_T3_PNS13_IS18_E10value_typeET4_jRbjT5_S1E_jjP12ihipStream_tbEUljE_ZNSN_ISO_Lb1ESQ_SR_ST_SU_SY_EESZ_S10_S11_S12_S16_S17_S18_S1B_S1C_jS1D_jS1E_S1E_jjS1G_bEUljE0_EEESZ_S10_S11_S18_S1C_S1E_T6_T7_T9_mT8_S1G_bDpT10_ENKUlT_T0_E_clISt17integral_constantIbLb1EES1U_EEDaS1P_S1Q_EUlS1P_E_NS1_11comp_targetILNS1_3genE8ELNS1_11target_archE1030ELNS1_3gpuE2ELNS1_3repE0EEENS1_30default_config_static_selectorELNS0_4arch9wavefront6targetE0EEEvS12_: ; @_ZN7rocprim17ROCPRIM_400000_NS6detail17trampoline_kernelINS0_13select_configILj256ELj13ELNS0_17block_load_methodE3ELS4_3ELS4_3ELNS0_20block_scan_algorithmE0ELj4294967295EEENS1_25partition_config_selectorILNS1_17partition_subalgoE4EjNS0_10empty_typeEbEEZZNS1_14partition_implILS8_4ELb0ES6_15HIP_vector_typeIjLj2EENS0_17counting_iteratorIjlEEPS9_SG_NS0_5tupleIJPjSI_NS0_16reverse_iteratorISI_EEEEENSH_IJSG_SG_SG_EEES9_SI_JZNS1_25segmented_radix_sort_implINS0_14default_configELb1EPKaPaPKlPlN2at6native12_GLOBAL__N_18offset_tEEE10hipError_tPvRmT1_PNSt15iterator_traitsIS12_E10value_typeET2_T3_PNS13_IS18_E10value_typeET4_jRbjT5_S1E_jjP12ihipStream_tbEUljE_ZNSN_ISO_Lb1ESQ_SR_ST_SU_SY_EESZ_S10_S11_S12_S16_S17_S18_S1B_S1C_jS1D_jS1E_S1E_jjS1G_bEUljE0_EEESZ_S10_S11_S18_S1C_S1E_T6_T7_T9_mT8_S1G_bDpT10_ENKUlT_T0_E_clISt17integral_constantIbLb1EES1U_EEDaS1P_S1Q_EUlS1P_E_NS1_11comp_targetILNS1_3genE8ELNS1_11target_archE1030ELNS1_3gpuE2ELNS1_3repE0EEENS1_30default_config_static_selectorELNS0_4arch9wavefront6targetE0EEEvS12_
; %bb.0:
	s_endpgm
	.section	.rodata,"a",@progbits
	.p2align	6, 0x0
	.amdhsa_kernel _ZN7rocprim17ROCPRIM_400000_NS6detail17trampoline_kernelINS0_13select_configILj256ELj13ELNS0_17block_load_methodE3ELS4_3ELS4_3ELNS0_20block_scan_algorithmE0ELj4294967295EEENS1_25partition_config_selectorILNS1_17partition_subalgoE4EjNS0_10empty_typeEbEEZZNS1_14partition_implILS8_4ELb0ES6_15HIP_vector_typeIjLj2EENS0_17counting_iteratorIjlEEPS9_SG_NS0_5tupleIJPjSI_NS0_16reverse_iteratorISI_EEEEENSH_IJSG_SG_SG_EEES9_SI_JZNS1_25segmented_radix_sort_implINS0_14default_configELb1EPKaPaPKlPlN2at6native12_GLOBAL__N_18offset_tEEE10hipError_tPvRmT1_PNSt15iterator_traitsIS12_E10value_typeET2_T3_PNS13_IS18_E10value_typeET4_jRbjT5_S1E_jjP12ihipStream_tbEUljE_ZNSN_ISO_Lb1ESQ_SR_ST_SU_SY_EESZ_S10_S11_S12_S16_S17_S18_S1B_S1C_jS1D_jS1E_S1E_jjS1G_bEUljE0_EEESZ_S10_S11_S18_S1C_S1E_T6_T7_T9_mT8_S1G_bDpT10_ENKUlT_T0_E_clISt17integral_constantIbLb1EES1U_EEDaS1P_S1Q_EUlS1P_E_NS1_11comp_targetILNS1_3genE8ELNS1_11target_archE1030ELNS1_3gpuE2ELNS1_3repE0EEENS1_30default_config_static_selectorELNS0_4arch9wavefront6targetE0EEEvS12_
		.amdhsa_group_segment_fixed_size 0
		.amdhsa_private_segment_fixed_size 0
		.amdhsa_kernarg_size 184
		.amdhsa_user_sgpr_count 6
		.amdhsa_user_sgpr_private_segment_buffer 1
		.amdhsa_user_sgpr_dispatch_ptr 0
		.amdhsa_user_sgpr_queue_ptr 0
		.amdhsa_user_sgpr_kernarg_segment_ptr 1
		.amdhsa_user_sgpr_dispatch_id 0
		.amdhsa_user_sgpr_flat_scratch_init 0
		.amdhsa_user_sgpr_private_segment_size 0
		.amdhsa_wavefront_size32 1
		.amdhsa_uses_dynamic_stack 0
		.amdhsa_system_sgpr_private_segment_wavefront_offset 0
		.amdhsa_system_sgpr_workgroup_id_x 1
		.amdhsa_system_sgpr_workgroup_id_y 0
		.amdhsa_system_sgpr_workgroup_id_z 0
		.amdhsa_system_sgpr_workgroup_info 0
		.amdhsa_system_vgpr_workitem_id 0
		.amdhsa_next_free_vgpr 1
		.amdhsa_next_free_sgpr 1
		.amdhsa_reserve_vcc 0
		.amdhsa_reserve_flat_scratch 0
		.amdhsa_float_round_mode_32 0
		.amdhsa_float_round_mode_16_64 0
		.amdhsa_float_denorm_mode_32 3
		.amdhsa_float_denorm_mode_16_64 3
		.amdhsa_dx10_clamp 1
		.amdhsa_ieee_mode 1
		.amdhsa_fp16_overflow 0
		.amdhsa_workgroup_processor_mode 1
		.amdhsa_memory_ordered 1
		.amdhsa_forward_progress 1
		.amdhsa_shared_vgpr_count 0
		.amdhsa_exception_fp_ieee_invalid_op 0
		.amdhsa_exception_fp_denorm_src 0
		.amdhsa_exception_fp_ieee_div_zero 0
		.amdhsa_exception_fp_ieee_overflow 0
		.amdhsa_exception_fp_ieee_underflow 0
		.amdhsa_exception_fp_ieee_inexact 0
		.amdhsa_exception_int_div_zero 0
	.end_amdhsa_kernel
	.section	.text._ZN7rocprim17ROCPRIM_400000_NS6detail17trampoline_kernelINS0_13select_configILj256ELj13ELNS0_17block_load_methodE3ELS4_3ELS4_3ELNS0_20block_scan_algorithmE0ELj4294967295EEENS1_25partition_config_selectorILNS1_17partition_subalgoE4EjNS0_10empty_typeEbEEZZNS1_14partition_implILS8_4ELb0ES6_15HIP_vector_typeIjLj2EENS0_17counting_iteratorIjlEEPS9_SG_NS0_5tupleIJPjSI_NS0_16reverse_iteratorISI_EEEEENSH_IJSG_SG_SG_EEES9_SI_JZNS1_25segmented_radix_sort_implINS0_14default_configELb1EPKaPaPKlPlN2at6native12_GLOBAL__N_18offset_tEEE10hipError_tPvRmT1_PNSt15iterator_traitsIS12_E10value_typeET2_T3_PNS13_IS18_E10value_typeET4_jRbjT5_S1E_jjP12ihipStream_tbEUljE_ZNSN_ISO_Lb1ESQ_SR_ST_SU_SY_EESZ_S10_S11_S12_S16_S17_S18_S1B_S1C_jS1D_jS1E_S1E_jjS1G_bEUljE0_EEESZ_S10_S11_S18_S1C_S1E_T6_T7_T9_mT8_S1G_bDpT10_ENKUlT_T0_E_clISt17integral_constantIbLb1EES1U_EEDaS1P_S1Q_EUlS1P_E_NS1_11comp_targetILNS1_3genE8ELNS1_11target_archE1030ELNS1_3gpuE2ELNS1_3repE0EEENS1_30default_config_static_selectorELNS0_4arch9wavefront6targetE0EEEvS12_,"axG",@progbits,_ZN7rocprim17ROCPRIM_400000_NS6detail17trampoline_kernelINS0_13select_configILj256ELj13ELNS0_17block_load_methodE3ELS4_3ELS4_3ELNS0_20block_scan_algorithmE0ELj4294967295EEENS1_25partition_config_selectorILNS1_17partition_subalgoE4EjNS0_10empty_typeEbEEZZNS1_14partition_implILS8_4ELb0ES6_15HIP_vector_typeIjLj2EENS0_17counting_iteratorIjlEEPS9_SG_NS0_5tupleIJPjSI_NS0_16reverse_iteratorISI_EEEEENSH_IJSG_SG_SG_EEES9_SI_JZNS1_25segmented_radix_sort_implINS0_14default_configELb1EPKaPaPKlPlN2at6native12_GLOBAL__N_18offset_tEEE10hipError_tPvRmT1_PNSt15iterator_traitsIS12_E10value_typeET2_T3_PNS13_IS18_E10value_typeET4_jRbjT5_S1E_jjP12ihipStream_tbEUljE_ZNSN_ISO_Lb1ESQ_SR_ST_SU_SY_EESZ_S10_S11_S12_S16_S17_S18_S1B_S1C_jS1D_jS1E_S1E_jjS1G_bEUljE0_EEESZ_S10_S11_S18_S1C_S1E_T6_T7_T9_mT8_S1G_bDpT10_ENKUlT_T0_E_clISt17integral_constantIbLb1EES1U_EEDaS1P_S1Q_EUlS1P_E_NS1_11comp_targetILNS1_3genE8ELNS1_11target_archE1030ELNS1_3gpuE2ELNS1_3repE0EEENS1_30default_config_static_selectorELNS0_4arch9wavefront6targetE0EEEvS12_,comdat
.Lfunc_end239:
	.size	_ZN7rocprim17ROCPRIM_400000_NS6detail17trampoline_kernelINS0_13select_configILj256ELj13ELNS0_17block_load_methodE3ELS4_3ELS4_3ELNS0_20block_scan_algorithmE0ELj4294967295EEENS1_25partition_config_selectorILNS1_17partition_subalgoE4EjNS0_10empty_typeEbEEZZNS1_14partition_implILS8_4ELb0ES6_15HIP_vector_typeIjLj2EENS0_17counting_iteratorIjlEEPS9_SG_NS0_5tupleIJPjSI_NS0_16reverse_iteratorISI_EEEEENSH_IJSG_SG_SG_EEES9_SI_JZNS1_25segmented_radix_sort_implINS0_14default_configELb1EPKaPaPKlPlN2at6native12_GLOBAL__N_18offset_tEEE10hipError_tPvRmT1_PNSt15iterator_traitsIS12_E10value_typeET2_T3_PNS13_IS18_E10value_typeET4_jRbjT5_S1E_jjP12ihipStream_tbEUljE_ZNSN_ISO_Lb1ESQ_SR_ST_SU_SY_EESZ_S10_S11_S12_S16_S17_S18_S1B_S1C_jS1D_jS1E_S1E_jjS1G_bEUljE0_EEESZ_S10_S11_S18_S1C_S1E_T6_T7_T9_mT8_S1G_bDpT10_ENKUlT_T0_E_clISt17integral_constantIbLb1EES1U_EEDaS1P_S1Q_EUlS1P_E_NS1_11comp_targetILNS1_3genE8ELNS1_11target_archE1030ELNS1_3gpuE2ELNS1_3repE0EEENS1_30default_config_static_selectorELNS0_4arch9wavefront6targetE0EEEvS12_, .Lfunc_end239-_ZN7rocprim17ROCPRIM_400000_NS6detail17trampoline_kernelINS0_13select_configILj256ELj13ELNS0_17block_load_methodE3ELS4_3ELS4_3ELNS0_20block_scan_algorithmE0ELj4294967295EEENS1_25partition_config_selectorILNS1_17partition_subalgoE4EjNS0_10empty_typeEbEEZZNS1_14partition_implILS8_4ELb0ES6_15HIP_vector_typeIjLj2EENS0_17counting_iteratorIjlEEPS9_SG_NS0_5tupleIJPjSI_NS0_16reverse_iteratorISI_EEEEENSH_IJSG_SG_SG_EEES9_SI_JZNS1_25segmented_radix_sort_implINS0_14default_configELb1EPKaPaPKlPlN2at6native12_GLOBAL__N_18offset_tEEE10hipError_tPvRmT1_PNSt15iterator_traitsIS12_E10value_typeET2_T3_PNS13_IS18_E10value_typeET4_jRbjT5_S1E_jjP12ihipStream_tbEUljE_ZNSN_ISO_Lb1ESQ_SR_ST_SU_SY_EESZ_S10_S11_S12_S16_S17_S18_S1B_S1C_jS1D_jS1E_S1E_jjS1G_bEUljE0_EEESZ_S10_S11_S18_S1C_S1E_T6_T7_T9_mT8_S1G_bDpT10_ENKUlT_T0_E_clISt17integral_constantIbLb1EES1U_EEDaS1P_S1Q_EUlS1P_E_NS1_11comp_targetILNS1_3genE8ELNS1_11target_archE1030ELNS1_3gpuE2ELNS1_3repE0EEENS1_30default_config_static_selectorELNS0_4arch9wavefront6targetE0EEEvS12_
                                        ; -- End function
	.set _ZN7rocprim17ROCPRIM_400000_NS6detail17trampoline_kernelINS0_13select_configILj256ELj13ELNS0_17block_load_methodE3ELS4_3ELS4_3ELNS0_20block_scan_algorithmE0ELj4294967295EEENS1_25partition_config_selectorILNS1_17partition_subalgoE4EjNS0_10empty_typeEbEEZZNS1_14partition_implILS8_4ELb0ES6_15HIP_vector_typeIjLj2EENS0_17counting_iteratorIjlEEPS9_SG_NS0_5tupleIJPjSI_NS0_16reverse_iteratorISI_EEEEENSH_IJSG_SG_SG_EEES9_SI_JZNS1_25segmented_radix_sort_implINS0_14default_configELb1EPKaPaPKlPlN2at6native12_GLOBAL__N_18offset_tEEE10hipError_tPvRmT1_PNSt15iterator_traitsIS12_E10value_typeET2_T3_PNS13_IS18_E10value_typeET4_jRbjT5_S1E_jjP12ihipStream_tbEUljE_ZNSN_ISO_Lb1ESQ_SR_ST_SU_SY_EESZ_S10_S11_S12_S16_S17_S18_S1B_S1C_jS1D_jS1E_S1E_jjS1G_bEUljE0_EEESZ_S10_S11_S18_S1C_S1E_T6_T7_T9_mT8_S1G_bDpT10_ENKUlT_T0_E_clISt17integral_constantIbLb1EES1U_EEDaS1P_S1Q_EUlS1P_E_NS1_11comp_targetILNS1_3genE8ELNS1_11target_archE1030ELNS1_3gpuE2ELNS1_3repE0EEENS1_30default_config_static_selectorELNS0_4arch9wavefront6targetE0EEEvS12_.num_vgpr, 0
	.set _ZN7rocprim17ROCPRIM_400000_NS6detail17trampoline_kernelINS0_13select_configILj256ELj13ELNS0_17block_load_methodE3ELS4_3ELS4_3ELNS0_20block_scan_algorithmE0ELj4294967295EEENS1_25partition_config_selectorILNS1_17partition_subalgoE4EjNS0_10empty_typeEbEEZZNS1_14partition_implILS8_4ELb0ES6_15HIP_vector_typeIjLj2EENS0_17counting_iteratorIjlEEPS9_SG_NS0_5tupleIJPjSI_NS0_16reverse_iteratorISI_EEEEENSH_IJSG_SG_SG_EEES9_SI_JZNS1_25segmented_radix_sort_implINS0_14default_configELb1EPKaPaPKlPlN2at6native12_GLOBAL__N_18offset_tEEE10hipError_tPvRmT1_PNSt15iterator_traitsIS12_E10value_typeET2_T3_PNS13_IS18_E10value_typeET4_jRbjT5_S1E_jjP12ihipStream_tbEUljE_ZNSN_ISO_Lb1ESQ_SR_ST_SU_SY_EESZ_S10_S11_S12_S16_S17_S18_S1B_S1C_jS1D_jS1E_S1E_jjS1G_bEUljE0_EEESZ_S10_S11_S18_S1C_S1E_T6_T7_T9_mT8_S1G_bDpT10_ENKUlT_T0_E_clISt17integral_constantIbLb1EES1U_EEDaS1P_S1Q_EUlS1P_E_NS1_11comp_targetILNS1_3genE8ELNS1_11target_archE1030ELNS1_3gpuE2ELNS1_3repE0EEENS1_30default_config_static_selectorELNS0_4arch9wavefront6targetE0EEEvS12_.num_agpr, 0
	.set _ZN7rocprim17ROCPRIM_400000_NS6detail17trampoline_kernelINS0_13select_configILj256ELj13ELNS0_17block_load_methodE3ELS4_3ELS4_3ELNS0_20block_scan_algorithmE0ELj4294967295EEENS1_25partition_config_selectorILNS1_17partition_subalgoE4EjNS0_10empty_typeEbEEZZNS1_14partition_implILS8_4ELb0ES6_15HIP_vector_typeIjLj2EENS0_17counting_iteratorIjlEEPS9_SG_NS0_5tupleIJPjSI_NS0_16reverse_iteratorISI_EEEEENSH_IJSG_SG_SG_EEES9_SI_JZNS1_25segmented_radix_sort_implINS0_14default_configELb1EPKaPaPKlPlN2at6native12_GLOBAL__N_18offset_tEEE10hipError_tPvRmT1_PNSt15iterator_traitsIS12_E10value_typeET2_T3_PNS13_IS18_E10value_typeET4_jRbjT5_S1E_jjP12ihipStream_tbEUljE_ZNSN_ISO_Lb1ESQ_SR_ST_SU_SY_EESZ_S10_S11_S12_S16_S17_S18_S1B_S1C_jS1D_jS1E_S1E_jjS1G_bEUljE0_EEESZ_S10_S11_S18_S1C_S1E_T6_T7_T9_mT8_S1G_bDpT10_ENKUlT_T0_E_clISt17integral_constantIbLb1EES1U_EEDaS1P_S1Q_EUlS1P_E_NS1_11comp_targetILNS1_3genE8ELNS1_11target_archE1030ELNS1_3gpuE2ELNS1_3repE0EEENS1_30default_config_static_selectorELNS0_4arch9wavefront6targetE0EEEvS12_.numbered_sgpr, 0
	.set _ZN7rocprim17ROCPRIM_400000_NS6detail17trampoline_kernelINS0_13select_configILj256ELj13ELNS0_17block_load_methodE3ELS4_3ELS4_3ELNS0_20block_scan_algorithmE0ELj4294967295EEENS1_25partition_config_selectorILNS1_17partition_subalgoE4EjNS0_10empty_typeEbEEZZNS1_14partition_implILS8_4ELb0ES6_15HIP_vector_typeIjLj2EENS0_17counting_iteratorIjlEEPS9_SG_NS0_5tupleIJPjSI_NS0_16reverse_iteratorISI_EEEEENSH_IJSG_SG_SG_EEES9_SI_JZNS1_25segmented_radix_sort_implINS0_14default_configELb1EPKaPaPKlPlN2at6native12_GLOBAL__N_18offset_tEEE10hipError_tPvRmT1_PNSt15iterator_traitsIS12_E10value_typeET2_T3_PNS13_IS18_E10value_typeET4_jRbjT5_S1E_jjP12ihipStream_tbEUljE_ZNSN_ISO_Lb1ESQ_SR_ST_SU_SY_EESZ_S10_S11_S12_S16_S17_S18_S1B_S1C_jS1D_jS1E_S1E_jjS1G_bEUljE0_EEESZ_S10_S11_S18_S1C_S1E_T6_T7_T9_mT8_S1G_bDpT10_ENKUlT_T0_E_clISt17integral_constantIbLb1EES1U_EEDaS1P_S1Q_EUlS1P_E_NS1_11comp_targetILNS1_3genE8ELNS1_11target_archE1030ELNS1_3gpuE2ELNS1_3repE0EEENS1_30default_config_static_selectorELNS0_4arch9wavefront6targetE0EEEvS12_.num_named_barrier, 0
	.set _ZN7rocprim17ROCPRIM_400000_NS6detail17trampoline_kernelINS0_13select_configILj256ELj13ELNS0_17block_load_methodE3ELS4_3ELS4_3ELNS0_20block_scan_algorithmE0ELj4294967295EEENS1_25partition_config_selectorILNS1_17partition_subalgoE4EjNS0_10empty_typeEbEEZZNS1_14partition_implILS8_4ELb0ES6_15HIP_vector_typeIjLj2EENS0_17counting_iteratorIjlEEPS9_SG_NS0_5tupleIJPjSI_NS0_16reverse_iteratorISI_EEEEENSH_IJSG_SG_SG_EEES9_SI_JZNS1_25segmented_radix_sort_implINS0_14default_configELb1EPKaPaPKlPlN2at6native12_GLOBAL__N_18offset_tEEE10hipError_tPvRmT1_PNSt15iterator_traitsIS12_E10value_typeET2_T3_PNS13_IS18_E10value_typeET4_jRbjT5_S1E_jjP12ihipStream_tbEUljE_ZNSN_ISO_Lb1ESQ_SR_ST_SU_SY_EESZ_S10_S11_S12_S16_S17_S18_S1B_S1C_jS1D_jS1E_S1E_jjS1G_bEUljE0_EEESZ_S10_S11_S18_S1C_S1E_T6_T7_T9_mT8_S1G_bDpT10_ENKUlT_T0_E_clISt17integral_constantIbLb1EES1U_EEDaS1P_S1Q_EUlS1P_E_NS1_11comp_targetILNS1_3genE8ELNS1_11target_archE1030ELNS1_3gpuE2ELNS1_3repE0EEENS1_30default_config_static_selectorELNS0_4arch9wavefront6targetE0EEEvS12_.private_seg_size, 0
	.set _ZN7rocprim17ROCPRIM_400000_NS6detail17trampoline_kernelINS0_13select_configILj256ELj13ELNS0_17block_load_methodE3ELS4_3ELS4_3ELNS0_20block_scan_algorithmE0ELj4294967295EEENS1_25partition_config_selectorILNS1_17partition_subalgoE4EjNS0_10empty_typeEbEEZZNS1_14partition_implILS8_4ELb0ES6_15HIP_vector_typeIjLj2EENS0_17counting_iteratorIjlEEPS9_SG_NS0_5tupleIJPjSI_NS0_16reverse_iteratorISI_EEEEENSH_IJSG_SG_SG_EEES9_SI_JZNS1_25segmented_radix_sort_implINS0_14default_configELb1EPKaPaPKlPlN2at6native12_GLOBAL__N_18offset_tEEE10hipError_tPvRmT1_PNSt15iterator_traitsIS12_E10value_typeET2_T3_PNS13_IS18_E10value_typeET4_jRbjT5_S1E_jjP12ihipStream_tbEUljE_ZNSN_ISO_Lb1ESQ_SR_ST_SU_SY_EESZ_S10_S11_S12_S16_S17_S18_S1B_S1C_jS1D_jS1E_S1E_jjS1G_bEUljE0_EEESZ_S10_S11_S18_S1C_S1E_T6_T7_T9_mT8_S1G_bDpT10_ENKUlT_T0_E_clISt17integral_constantIbLb1EES1U_EEDaS1P_S1Q_EUlS1P_E_NS1_11comp_targetILNS1_3genE8ELNS1_11target_archE1030ELNS1_3gpuE2ELNS1_3repE0EEENS1_30default_config_static_selectorELNS0_4arch9wavefront6targetE0EEEvS12_.uses_vcc, 0
	.set _ZN7rocprim17ROCPRIM_400000_NS6detail17trampoline_kernelINS0_13select_configILj256ELj13ELNS0_17block_load_methodE3ELS4_3ELS4_3ELNS0_20block_scan_algorithmE0ELj4294967295EEENS1_25partition_config_selectorILNS1_17partition_subalgoE4EjNS0_10empty_typeEbEEZZNS1_14partition_implILS8_4ELb0ES6_15HIP_vector_typeIjLj2EENS0_17counting_iteratorIjlEEPS9_SG_NS0_5tupleIJPjSI_NS0_16reverse_iteratorISI_EEEEENSH_IJSG_SG_SG_EEES9_SI_JZNS1_25segmented_radix_sort_implINS0_14default_configELb1EPKaPaPKlPlN2at6native12_GLOBAL__N_18offset_tEEE10hipError_tPvRmT1_PNSt15iterator_traitsIS12_E10value_typeET2_T3_PNS13_IS18_E10value_typeET4_jRbjT5_S1E_jjP12ihipStream_tbEUljE_ZNSN_ISO_Lb1ESQ_SR_ST_SU_SY_EESZ_S10_S11_S12_S16_S17_S18_S1B_S1C_jS1D_jS1E_S1E_jjS1G_bEUljE0_EEESZ_S10_S11_S18_S1C_S1E_T6_T7_T9_mT8_S1G_bDpT10_ENKUlT_T0_E_clISt17integral_constantIbLb1EES1U_EEDaS1P_S1Q_EUlS1P_E_NS1_11comp_targetILNS1_3genE8ELNS1_11target_archE1030ELNS1_3gpuE2ELNS1_3repE0EEENS1_30default_config_static_selectorELNS0_4arch9wavefront6targetE0EEEvS12_.uses_flat_scratch, 0
	.set _ZN7rocprim17ROCPRIM_400000_NS6detail17trampoline_kernelINS0_13select_configILj256ELj13ELNS0_17block_load_methodE3ELS4_3ELS4_3ELNS0_20block_scan_algorithmE0ELj4294967295EEENS1_25partition_config_selectorILNS1_17partition_subalgoE4EjNS0_10empty_typeEbEEZZNS1_14partition_implILS8_4ELb0ES6_15HIP_vector_typeIjLj2EENS0_17counting_iteratorIjlEEPS9_SG_NS0_5tupleIJPjSI_NS0_16reverse_iteratorISI_EEEEENSH_IJSG_SG_SG_EEES9_SI_JZNS1_25segmented_radix_sort_implINS0_14default_configELb1EPKaPaPKlPlN2at6native12_GLOBAL__N_18offset_tEEE10hipError_tPvRmT1_PNSt15iterator_traitsIS12_E10value_typeET2_T3_PNS13_IS18_E10value_typeET4_jRbjT5_S1E_jjP12ihipStream_tbEUljE_ZNSN_ISO_Lb1ESQ_SR_ST_SU_SY_EESZ_S10_S11_S12_S16_S17_S18_S1B_S1C_jS1D_jS1E_S1E_jjS1G_bEUljE0_EEESZ_S10_S11_S18_S1C_S1E_T6_T7_T9_mT8_S1G_bDpT10_ENKUlT_T0_E_clISt17integral_constantIbLb1EES1U_EEDaS1P_S1Q_EUlS1P_E_NS1_11comp_targetILNS1_3genE8ELNS1_11target_archE1030ELNS1_3gpuE2ELNS1_3repE0EEENS1_30default_config_static_selectorELNS0_4arch9wavefront6targetE0EEEvS12_.has_dyn_sized_stack, 0
	.set _ZN7rocprim17ROCPRIM_400000_NS6detail17trampoline_kernelINS0_13select_configILj256ELj13ELNS0_17block_load_methodE3ELS4_3ELS4_3ELNS0_20block_scan_algorithmE0ELj4294967295EEENS1_25partition_config_selectorILNS1_17partition_subalgoE4EjNS0_10empty_typeEbEEZZNS1_14partition_implILS8_4ELb0ES6_15HIP_vector_typeIjLj2EENS0_17counting_iteratorIjlEEPS9_SG_NS0_5tupleIJPjSI_NS0_16reverse_iteratorISI_EEEEENSH_IJSG_SG_SG_EEES9_SI_JZNS1_25segmented_radix_sort_implINS0_14default_configELb1EPKaPaPKlPlN2at6native12_GLOBAL__N_18offset_tEEE10hipError_tPvRmT1_PNSt15iterator_traitsIS12_E10value_typeET2_T3_PNS13_IS18_E10value_typeET4_jRbjT5_S1E_jjP12ihipStream_tbEUljE_ZNSN_ISO_Lb1ESQ_SR_ST_SU_SY_EESZ_S10_S11_S12_S16_S17_S18_S1B_S1C_jS1D_jS1E_S1E_jjS1G_bEUljE0_EEESZ_S10_S11_S18_S1C_S1E_T6_T7_T9_mT8_S1G_bDpT10_ENKUlT_T0_E_clISt17integral_constantIbLb1EES1U_EEDaS1P_S1Q_EUlS1P_E_NS1_11comp_targetILNS1_3genE8ELNS1_11target_archE1030ELNS1_3gpuE2ELNS1_3repE0EEENS1_30default_config_static_selectorELNS0_4arch9wavefront6targetE0EEEvS12_.has_recursion, 0
	.set _ZN7rocprim17ROCPRIM_400000_NS6detail17trampoline_kernelINS0_13select_configILj256ELj13ELNS0_17block_load_methodE3ELS4_3ELS4_3ELNS0_20block_scan_algorithmE0ELj4294967295EEENS1_25partition_config_selectorILNS1_17partition_subalgoE4EjNS0_10empty_typeEbEEZZNS1_14partition_implILS8_4ELb0ES6_15HIP_vector_typeIjLj2EENS0_17counting_iteratorIjlEEPS9_SG_NS0_5tupleIJPjSI_NS0_16reverse_iteratorISI_EEEEENSH_IJSG_SG_SG_EEES9_SI_JZNS1_25segmented_radix_sort_implINS0_14default_configELb1EPKaPaPKlPlN2at6native12_GLOBAL__N_18offset_tEEE10hipError_tPvRmT1_PNSt15iterator_traitsIS12_E10value_typeET2_T3_PNS13_IS18_E10value_typeET4_jRbjT5_S1E_jjP12ihipStream_tbEUljE_ZNSN_ISO_Lb1ESQ_SR_ST_SU_SY_EESZ_S10_S11_S12_S16_S17_S18_S1B_S1C_jS1D_jS1E_S1E_jjS1G_bEUljE0_EEESZ_S10_S11_S18_S1C_S1E_T6_T7_T9_mT8_S1G_bDpT10_ENKUlT_T0_E_clISt17integral_constantIbLb1EES1U_EEDaS1P_S1Q_EUlS1P_E_NS1_11comp_targetILNS1_3genE8ELNS1_11target_archE1030ELNS1_3gpuE2ELNS1_3repE0EEENS1_30default_config_static_selectorELNS0_4arch9wavefront6targetE0EEEvS12_.has_indirect_call, 0
	.section	.AMDGPU.csdata,"",@progbits
; Kernel info:
; codeLenInByte = 4
; TotalNumSgprs: 0
; NumVgprs: 0
; ScratchSize: 0
; MemoryBound: 0
; FloatMode: 240
; IeeeMode: 1
; LDSByteSize: 0 bytes/workgroup (compile time only)
; SGPRBlocks: 0
; VGPRBlocks: 0
; NumSGPRsForWavesPerEU: 1
; NumVGPRsForWavesPerEU: 1
; Occupancy: 16
; WaveLimiterHint : 0
; COMPUTE_PGM_RSRC2:SCRATCH_EN: 0
; COMPUTE_PGM_RSRC2:USER_SGPR: 6
; COMPUTE_PGM_RSRC2:TRAP_HANDLER: 0
; COMPUTE_PGM_RSRC2:TGID_X_EN: 1
; COMPUTE_PGM_RSRC2:TGID_Y_EN: 0
; COMPUTE_PGM_RSRC2:TGID_Z_EN: 0
; COMPUTE_PGM_RSRC2:TIDIG_COMP_CNT: 0
	.section	.text._ZN7rocprim17ROCPRIM_400000_NS6detail17trampoline_kernelINS0_13select_configILj256ELj13ELNS0_17block_load_methodE3ELS4_3ELS4_3ELNS0_20block_scan_algorithmE0ELj4294967295EEENS1_25partition_config_selectorILNS1_17partition_subalgoE4EjNS0_10empty_typeEbEEZZNS1_14partition_implILS8_4ELb0ES6_15HIP_vector_typeIjLj2EENS0_17counting_iteratorIjlEEPS9_SG_NS0_5tupleIJPjSI_NS0_16reverse_iteratorISI_EEEEENSH_IJSG_SG_SG_EEES9_SI_JZNS1_25segmented_radix_sort_implINS0_14default_configELb1EPKaPaPKlPlN2at6native12_GLOBAL__N_18offset_tEEE10hipError_tPvRmT1_PNSt15iterator_traitsIS12_E10value_typeET2_T3_PNS13_IS18_E10value_typeET4_jRbjT5_S1E_jjP12ihipStream_tbEUljE_ZNSN_ISO_Lb1ESQ_SR_ST_SU_SY_EESZ_S10_S11_S12_S16_S17_S18_S1B_S1C_jS1D_jS1E_S1E_jjS1G_bEUljE0_EEESZ_S10_S11_S18_S1C_S1E_T6_T7_T9_mT8_S1G_bDpT10_ENKUlT_T0_E_clISt17integral_constantIbLb1EES1T_IbLb0EEEEDaS1P_S1Q_EUlS1P_E_NS1_11comp_targetILNS1_3genE0ELNS1_11target_archE4294967295ELNS1_3gpuE0ELNS1_3repE0EEENS1_30default_config_static_selectorELNS0_4arch9wavefront6targetE0EEEvS12_,"axG",@progbits,_ZN7rocprim17ROCPRIM_400000_NS6detail17trampoline_kernelINS0_13select_configILj256ELj13ELNS0_17block_load_methodE3ELS4_3ELS4_3ELNS0_20block_scan_algorithmE0ELj4294967295EEENS1_25partition_config_selectorILNS1_17partition_subalgoE4EjNS0_10empty_typeEbEEZZNS1_14partition_implILS8_4ELb0ES6_15HIP_vector_typeIjLj2EENS0_17counting_iteratorIjlEEPS9_SG_NS0_5tupleIJPjSI_NS0_16reverse_iteratorISI_EEEEENSH_IJSG_SG_SG_EEES9_SI_JZNS1_25segmented_radix_sort_implINS0_14default_configELb1EPKaPaPKlPlN2at6native12_GLOBAL__N_18offset_tEEE10hipError_tPvRmT1_PNSt15iterator_traitsIS12_E10value_typeET2_T3_PNS13_IS18_E10value_typeET4_jRbjT5_S1E_jjP12ihipStream_tbEUljE_ZNSN_ISO_Lb1ESQ_SR_ST_SU_SY_EESZ_S10_S11_S12_S16_S17_S18_S1B_S1C_jS1D_jS1E_S1E_jjS1G_bEUljE0_EEESZ_S10_S11_S18_S1C_S1E_T6_T7_T9_mT8_S1G_bDpT10_ENKUlT_T0_E_clISt17integral_constantIbLb1EES1T_IbLb0EEEEDaS1P_S1Q_EUlS1P_E_NS1_11comp_targetILNS1_3genE0ELNS1_11target_archE4294967295ELNS1_3gpuE0ELNS1_3repE0EEENS1_30default_config_static_selectorELNS0_4arch9wavefront6targetE0EEEvS12_,comdat
	.globl	_ZN7rocprim17ROCPRIM_400000_NS6detail17trampoline_kernelINS0_13select_configILj256ELj13ELNS0_17block_load_methodE3ELS4_3ELS4_3ELNS0_20block_scan_algorithmE0ELj4294967295EEENS1_25partition_config_selectorILNS1_17partition_subalgoE4EjNS0_10empty_typeEbEEZZNS1_14partition_implILS8_4ELb0ES6_15HIP_vector_typeIjLj2EENS0_17counting_iteratorIjlEEPS9_SG_NS0_5tupleIJPjSI_NS0_16reverse_iteratorISI_EEEEENSH_IJSG_SG_SG_EEES9_SI_JZNS1_25segmented_radix_sort_implINS0_14default_configELb1EPKaPaPKlPlN2at6native12_GLOBAL__N_18offset_tEEE10hipError_tPvRmT1_PNSt15iterator_traitsIS12_E10value_typeET2_T3_PNS13_IS18_E10value_typeET4_jRbjT5_S1E_jjP12ihipStream_tbEUljE_ZNSN_ISO_Lb1ESQ_SR_ST_SU_SY_EESZ_S10_S11_S12_S16_S17_S18_S1B_S1C_jS1D_jS1E_S1E_jjS1G_bEUljE0_EEESZ_S10_S11_S18_S1C_S1E_T6_T7_T9_mT8_S1G_bDpT10_ENKUlT_T0_E_clISt17integral_constantIbLb1EES1T_IbLb0EEEEDaS1P_S1Q_EUlS1P_E_NS1_11comp_targetILNS1_3genE0ELNS1_11target_archE4294967295ELNS1_3gpuE0ELNS1_3repE0EEENS1_30default_config_static_selectorELNS0_4arch9wavefront6targetE0EEEvS12_ ; -- Begin function _ZN7rocprim17ROCPRIM_400000_NS6detail17trampoline_kernelINS0_13select_configILj256ELj13ELNS0_17block_load_methodE3ELS4_3ELS4_3ELNS0_20block_scan_algorithmE0ELj4294967295EEENS1_25partition_config_selectorILNS1_17partition_subalgoE4EjNS0_10empty_typeEbEEZZNS1_14partition_implILS8_4ELb0ES6_15HIP_vector_typeIjLj2EENS0_17counting_iteratorIjlEEPS9_SG_NS0_5tupleIJPjSI_NS0_16reverse_iteratorISI_EEEEENSH_IJSG_SG_SG_EEES9_SI_JZNS1_25segmented_radix_sort_implINS0_14default_configELb1EPKaPaPKlPlN2at6native12_GLOBAL__N_18offset_tEEE10hipError_tPvRmT1_PNSt15iterator_traitsIS12_E10value_typeET2_T3_PNS13_IS18_E10value_typeET4_jRbjT5_S1E_jjP12ihipStream_tbEUljE_ZNSN_ISO_Lb1ESQ_SR_ST_SU_SY_EESZ_S10_S11_S12_S16_S17_S18_S1B_S1C_jS1D_jS1E_S1E_jjS1G_bEUljE0_EEESZ_S10_S11_S18_S1C_S1E_T6_T7_T9_mT8_S1G_bDpT10_ENKUlT_T0_E_clISt17integral_constantIbLb1EES1T_IbLb0EEEEDaS1P_S1Q_EUlS1P_E_NS1_11comp_targetILNS1_3genE0ELNS1_11target_archE4294967295ELNS1_3gpuE0ELNS1_3repE0EEENS1_30default_config_static_selectorELNS0_4arch9wavefront6targetE0EEEvS12_
	.p2align	8
	.type	_ZN7rocprim17ROCPRIM_400000_NS6detail17trampoline_kernelINS0_13select_configILj256ELj13ELNS0_17block_load_methodE3ELS4_3ELS4_3ELNS0_20block_scan_algorithmE0ELj4294967295EEENS1_25partition_config_selectorILNS1_17partition_subalgoE4EjNS0_10empty_typeEbEEZZNS1_14partition_implILS8_4ELb0ES6_15HIP_vector_typeIjLj2EENS0_17counting_iteratorIjlEEPS9_SG_NS0_5tupleIJPjSI_NS0_16reverse_iteratorISI_EEEEENSH_IJSG_SG_SG_EEES9_SI_JZNS1_25segmented_radix_sort_implINS0_14default_configELb1EPKaPaPKlPlN2at6native12_GLOBAL__N_18offset_tEEE10hipError_tPvRmT1_PNSt15iterator_traitsIS12_E10value_typeET2_T3_PNS13_IS18_E10value_typeET4_jRbjT5_S1E_jjP12ihipStream_tbEUljE_ZNSN_ISO_Lb1ESQ_SR_ST_SU_SY_EESZ_S10_S11_S12_S16_S17_S18_S1B_S1C_jS1D_jS1E_S1E_jjS1G_bEUljE0_EEESZ_S10_S11_S18_S1C_S1E_T6_T7_T9_mT8_S1G_bDpT10_ENKUlT_T0_E_clISt17integral_constantIbLb1EES1T_IbLb0EEEEDaS1P_S1Q_EUlS1P_E_NS1_11comp_targetILNS1_3genE0ELNS1_11target_archE4294967295ELNS1_3gpuE0ELNS1_3repE0EEENS1_30default_config_static_selectorELNS0_4arch9wavefront6targetE0EEEvS12_,@function
_ZN7rocprim17ROCPRIM_400000_NS6detail17trampoline_kernelINS0_13select_configILj256ELj13ELNS0_17block_load_methodE3ELS4_3ELS4_3ELNS0_20block_scan_algorithmE0ELj4294967295EEENS1_25partition_config_selectorILNS1_17partition_subalgoE4EjNS0_10empty_typeEbEEZZNS1_14partition_implILS8_4ELb0ES6_15HIP_vector_typeIjLj2EENS0_17counting_iteratorIjlEEPS9_SG_NS0_5tupleIJPjSI_NS0_16reverse_iteratorISI_EEEEENSH_IJSG_SG_SG_EEES9_SI_JZNS1_25segmented_radix_sort_implINS0_14default_configELb1EPKaPaPKlPlN2at6native12_GLOBAL__N_18offset_tEEE10hipError_tPvRmT1_PNSt15iterator_traitsIS12_E10value_typeET2_T3_PNS13_IS18_E10value_typeET4_jRbjT5_S1E_jjP12ihipStream_tbEUljE_ZNSN_ISO_Lb1ESQ_SR_ST_SU_SY_EESZ_S10_S11_S12_S16_S17_S18_S1B_S1C_jS1D_jS1E_S1E_jjS1G_bEUljE0_EEESZ_S10_S11_S18_S1C_S1E_T6_T7_T9_mT8_S1G_bDpT10_ENKUlT_T0_E_clISt17integral_constantIbLb1EES1T_IbLb0EEEEDaS1P_S1Q_EUlS1P_E_NS1_11comp_targetILNS1_3genE0ELNS1_11target_archE4294967295ELNS1_3gpuE0ELNS1_3repE0EEENS1_30default_config_static_selectorELNS0_4arch9wavefront6targetE0EEEvS12_: ; @_ZN7rocprim17ROCPRIM_400000_NS6detail17trampoline_kernelINS0_13select_configILj256ELj13ELNS0_17block_load_methodE3ELS4_3ELS4_3ELNS0_20block_scan_algorithmE0ELj4294967295EEENS1_25partition_config_selectorILNS1_17partition_subalgoE4EjNS0_10empty_typeEbEEZZNS1_14partition_implILS8_4ELb0ES6_15HIP_vector_typeIjLj2EENS0_17counting_iteratorIjlEEPS9_SG_NS0_5tupleIJPjSI_NS0_16reverse_iteratorISI_EEEEENSH_IJSG_SG_SG_EEES9_SI_JZNS1_25segmented_radix_sort_implINS0_14default_configELb1EPKaPaPKlPlN2at6native12_GLOBAL__N_18offset_tEEE10hipError_tPvRmT1_PNSt15iterator_traitsIS12_E10value_typeET2_T3_PNS13_IS18_E10value_typeET4_jRbjT5_S1E_jjP12ihipStream_tbEUljE_ZNSN_ISO_Lb1ESQ_SR_ST_SU_SY_EESZ_S10_S11_S12_S16_S17_S18_S1B_S1C_jS1D_jS1E_S1E_jjS1G_bEUljE0_EEESZ_S10_S11_S18_S1C_S1E_T6_T7_T9_mT8_S1G_bDpT10_ENKUlT_T0_E_clISt17integral_constantIbLb1EES1T_IbLb0EEEEDaS1P_S1Q_EUlS1P_E_NS1_11comp_targetILNS1_3genE0ELNS1_11target_archE4294967295ELNS1_3gpuE0ELNS1_3repE0EEENS1_30default_config_static_selectorELNS0_4arch9wavefront6targetE0EEEvS12_
; %bb.0:
	.section	.rodata,"a",@progbits
	.p2align	6, 0x0
	.amdhsa_kernel _ZN7rocprim17ROCPRIM_400000_NS6detail17trampoline_kernelINS0_13select_configILj256ELj13ELNS0_17block_load_methodE3ELS4_3ELS4_3ELNS0_20block_scan_algorithmE0ELj4294967295EEENS1_25partition_config_selectorILNS1_17partition_subalgoE4EjNS0_10empty_typeEbEEZZNS1_14partition_implILS8_4ELb0ES6_15HIP_vector_typeIjLj2EENS0_17counting_iteratorIjlEEPS9_SG_NS0_5tupleIJPjSI_NS0_16reverse_iteratorISI_EEEEENSH_IJSG_SG_SG_EEES9_SI_JZNS1_25segmented_radix_sort_implINS0_14default_configELb1EPKaPaPKlPlN2at6native12_GLOBAL__N_18offset_tEEE10hipError_tPvRmT1_PNSt15iterator_traitsIS12_E10value_typeET2_T3_PNS13_IS18_E10value_typeET4_jRbjT5_S1E_jjP12ihipStream_tbEUljE_ZNSN_ISO_Lb1ESQ_SR_ST_SU_SY_EESZ_S10_S11_S12_S16_S17_S18_S1B_S1C_jS1D_jS1E_S1E_jjS1G_bEUljE0_EEESZ_S10_S11_S18_S1C_S1E_T6_T7_T9_mT8_S1G_bDpT10_ENKUlT_T0_E_clISt17integral_constantIbLb1EES1T_IbLb0EEEEDaS1P_S1Q_EUlS1P_E_NS1_11comp_targetILNS1_3genE0ELNS1_11target_archE4294967295ELNS1_3gpuE0ELNS1_3repE0EEENS1_30default_config_static_selectorELNS0_4arch9wavefront6targetE0EEEvS12_
		.amdhsa_group_segment_fixed_size 0
		.amdhsa_private_segment_fixed_size 0
		.amdhsa_kernarg_size 176
		.amdhsa_user_sgpr_count 6
		.amdhsa_user_sgpr_private_segment_buffer 1
		.amdhsa_user_sgpr_dispatch_ptr 0
		.amdhsa_user_sgpr_queue_ptr 0
		.amdhsa_user_sgpr_kernarg_segment_ptr 1
		.amdhsa_user_sgpr_dispatch_id 0
		.amdhsa_user_sgpr_flat_scratch_init 0
		.amdhsa_user_sgpr_private_segment_size 0
		.amdhsa_wavefront_size32 1
		.amdhsa_uses_dynamic_stack 0
		.amdhsa_system_sgpr_private_segment_wavefront_offset 0
		.amdhsa_system_sgpr_workgroup_id_x 1
		.amdhsa_system_sgpr_workgroup_id_y 0
		.amdhsa_system_sgpr_workgroup_id_z 0
		.amdhsa_system_sgpr_workgroup_info 0
		.amdhsa_system_vgpr_workitem_id 0
		.amdhsa_next_free_vgpr 1
		.amdhsa_next_free_sgpr 1
		.amdhsa_reserve_vcc 0
		.amdhsa_reserve_flat_scratch 0
		.amdhsa_float_round_mode_32 0
		.amdhsa_float_round_mode_16_64 0
		.amdhsa_float_denorm_mode_32 3
		.amdhsa_float_denorm_mode_16_64 3
		.amdhsa_dx10_clamp 1
		.amdhsa_ieee_mode 1
		.amdhsa_fp16_overflow 0
		.amdhsa_workgroup_processor_mode 1
		.amdhsa_memory_ordered 1
		.amdhsa_forward_progress 1
		.amdhsa_shared_vgpr_count 0
		.amdhsa_exception_fp_ieee_invalid_op 0
		.amdhsa_exception_fp_denorm_src 0
		.amdhsa_exception_fp_ieee_div_zero 0
		.amdhsa_exception_fp_ieee_overflow 0
		.amdhsa_exception_fp_ieee_underflow 0
		.amdhsa_exception_fp_ieee_inexact 0
		.amdhsa_exception_int_div_zero 0
	.end_amdhsa_kernel
	.section	.text._ZN7rocprim17ROCPRIM_400000_NS6detail17trampoline_kernelINS0_13select_configILj256ELj13ELNS0_17block_load_methodE3ELS4_3ELS4_3ELNS0_20block_scan_algorithmE0ELj4294967295EEENS1_25partition_config_selectorILNS1_17partition_subalgoE4EjNS0_10empty_typeEbEEZZNS1_14partition_implILS8_4ELb0ES6_15HIP_vector_typeIjLj2EENS0_17counting_iteratorIjlEEPS9_SG_NS0_5tupleIJPjSI_NS0_16reverse_iteratorISI_EEEEENSH_IJSG_SG_SG_EEES9_SI_JZNS1_25segmented_radix_sort_implINS0_14default_configELb1EPKaPaPKlPlN2at6native12_GLOBAL__N_18offset_tEEE10hipError_tPvRmT1_PNSt15iterator_traitsIS12_E10value_typeET2_T3_PNS13_IS18_E10value_typeET4_jRbjT5_S1E_jjP12ihipStream_tbEUljE_ZNSN_ISO_Lb1ESQ_SR_ST_SU_SY_EESZ_S10_S11_S12_S16_S17_S18_S1B_S1C_jS1D_jS1E_S1E_jjS1G_bEUljE0_EEESZ_S10_S11_S18_S1C_S1E_T6_T7_T9_mT8_S1G_bDpT10_ENKUlT_T0_E_clISt17integral_constantIbLb1EES1T_IbLb0EEEEDaS1P_S1Q_EUlS1P_E_NS1_11comp_targetILNS1_3genE0ELNS1_11target_archE4294967295ELNS1_3gpuE0ELNS1_3repE0EEENS1_30default_config_static_selectorELNS0_4arch9wavefront6targetE0EEEvS12_,"axG",@progbits,_ZN7rocprim17ROCPRIM_400000_NS6detail17trampoline_kernelINS0_13select_configILj256ELj13ELNS0_17block_load_methodE3ELS4_3ELS4_3ELNS0_20block_scan_algorithmE0ELj4294967295EEENS1_25partition_config_selectorILNS1_17partition_subalgoE4EjNS0_10empty_typeEbEEZZNS1_14partition_implILS8_4ELb0ES6_15HIP_vector_typeIjLj2EENS0_17counting_iteratorIjlEEPS9_SG_NS0_5tupleIJPjSI_NS0_16reverse_iteratorISI_EEEEENSH_IJSG_SG_SG_EEES9_SI_JZNS1_25segmented_radix_sort_implINS0_14default_configELb1EPKaPaPKlPlN2at6native12_GLOBAL__N_18offset_tEEE10hipError_tPvRmT1_PNSt15iterator_traitsIS12_E10value_typeET2_T3_PNS13_IS18_E10value_typeET4_jRbjT5_S1E_jjP12ihipStream_tbEUljE_ZNSN_ISO_Lb1ESQ_SR_ST_SU_SY_EESZ_S10_S11_S12_S16_S17_S18_S1B_S1C_jS1D_jS1E_S1E_jjS1G_bEUljE0_EEESZ_S10_S11_S18_S1C_S1E_T6_T7_T9_mT8_S1G_bDpT10_ENKUlT_T0_E_clISt17integral_constantIbLb1EES1T_IbLb0EEEEDaS1P_S1Q_EUlS1P_E_NS1_11comp_targetILNS1_3genE0ELNS1_11target_archE4294967295ELNS1_3gpuE0ELNS1_3repE0EEENS1_30default_config_static_selectorELNS0_4arch9wavefront6targetE0EEEvS12_,comdat
.Lfunc_end240:
	.size	_ZN7rocprim17ROCPRIM_400000_NS6detail17trampoline_kernelINS0_13select_configILj256ELj13ELNS0_17block_load_methodE3ELS4_3ELS4_3ELNS0_20block_scan_algorithmE0ELj4294967295EEENS1_25partition_config_selectorILNS1_17partition_subalgoE4EjNS0_10empty_typeEbEEZZNS1_14partition_implILS8_4ELb0ES6_15HIP_vector_typeIjLj2EENS0_17counting_iteratorIjlEEPS9_SG_NS0_5tupleIJPjSI_NS0_16reverse_iteratorISI_EEEEENSH_IJSG_SG_SG_EEES9_SI_JZNS1_25segmented_radix_sort_implINS0_14default_configELb1EPKaPaPKlPlN2at6native12_GLOBAL__N_18offset_tEEE10hipError_tPvRmT1_PNSt15iterator_traitsIS12_E10value_typeET2_T3_PNS13_IS18_E10value_typeET4_jRbjT5_S1E_jjP12ihipStream_tbEUljE_ZNSN_ISO_Lb1ESQ_SR_ST_SU_SY_EESZ_S10_S11_S12_S16_S17_S18_S1B_S1C_jS1D_jS1E_S1E_jjS1G_bEUljE0_EEESZ_S10_S11_S18_S1C_S1E_T6_T7_T9_mT8_S1G_bDpT10_ENKUlT_T0_E_clISt17integral_constantIbLb1EES1T_IbLb0EEEEDaS1P_S1Q_EUlS1P_E_NS1_11comp_targetILNS1_3genE0ELNS1_11target_archE4294967295ELNS1_3gpuE0ELNS1_3repE0EEENS1_30default_config_static_selectorELNS0_4arch9wavefront6targetE0EEEvS12_, .Lfunc_end240-_ZN7rocprim17ROCPRIM_400000_NS6detail17trampoline_kernelINS0_13select_configILj256ELj13ELNS0_17block_load_methodE3ELS4_3ELS4_3ELNS0_20block_scan_algorithmE0ELj4294967295EEENS1_25partition_config_selectorILNS1_17partition_subalgoE4EjNS0_10empty_typeEbEEZZNS1_14partition_implILS8_4ELb0ES6_15HIP_vector_typeIjLj2EENS0_17counting_iteratorIjlEEPS9_SG_NS0_5tupleIJPjSI_NS0_16reverse_iteratorISI_EEEEENSH_IJSG_SG_SG_EEES9_SI_JZNS1_25segmented_radix_sort_implINS0_14default_configELb1EPKaPaPKlPlN2at6native12_GLOBAL__N_18offset_tEEE10hipError_tPvRmT1_PNSt15iterator_traitsIS12_E10value_typeET2_T3_PNS13_IS18_E10value_typeET4_jRbjT5_S1E_jjP12ihipStream_tbEUljE_ZNSN_ISO_Lb1ESQ_SR_ST_SU_SY_EESZ_S10_S11_S12_S16_S17_S18_S1B_S1C_jS1D_jS1E_S1E_jjS1G_bEUljE0_EEESZ_S10_S11_S18_S1C_S1E_T6_T7_T9_mT8_S1G_bDpT10_ENKUlT_T0_E_clISt17integral_constantIbLb1EES1T_IbLb0EEEEDaS1P_S1Q_EUlS1P_E_NS1_11comp_targetILNS1_3genE0ELNS1_11target_archE4294967295ELNS1_3gpuE0ELNS1_3repE0EEENS1_30default_config_static_selectorELNS0_4arch9wavefront6targetE0EEEvS12_
                                        ; -- End function
	.set _ZN7rocprim17ROCPRIM_400000_NS6detail17trampoline_kernelINS0_13select_configILj256ELj13ELNS0_17block_load_methodE3ELS4_3ELS4_3ELNS0_20block_scan_algorithmE0ELj4294967295EEENS1_25partition_config_selectorILNS1_17partition_subalgoE4EjNS0_10empty_typeEbEEZZNS1_14partition_implILS8_4ELb0ES6_15HIP_vector_typeIjLj2EENS0_17counting_iteratorIjlEEPS9_SG_NS0_5tupleIJPjSI_NS0_16reverse_iteratorISI_EEEEENSH_IJSG_SG_SG_EEES9_SI_JZNS1_25segmented_radix_sort_implINS0_14default_configELb1EPKaPaPKlPlN2at6native12_GLOBAL__N_18offset_tEEE10hipError_tPvRmT1_PNSt15iterator_traitsIS12_E10value_typeET2_T3_PNS13_IS18_E10value_typeET4_jRbjT5_S1E_jjP12ihipStream_tbEUljE_ZNSN_ISO_Lb1ESQ_SR_ST_SU_SY_EESZ_S10_S11_S12_S16_S17_S18_S1B_S1C_jS1D_jS1E_S1E_jjS1G_bEUljE0_EEESZ_S10_S11_S18_S1C_S1E_T6_T7_T9_mT8_S1G_bDpT10_ENKUlT_T0_E_clISt17integral_constantIbLb1EES1T_IbLb0EEEEDaS1P_S1Q_EUlS1P_E_NS1_11comp_targetILNS1_3genE0ELNS1_11target_archE4294967295ELNS1_3gpuE0ELNS1_3repE0EEENS1_30default_config_static_selectorELNS0_4arch9wavefront6targetE0EEEvS12_.num_vgpr, 0
	.set _ZN7rocprim17ROCPRIM_400000_NS6detail17trampoline_kernelINS0_13select_configILj256ELj13ELNS0_17block_load_methodE3ELS4_3ELS4_3ELNS0_20block_scan_algorithmE0ELj4294967295EEENS1_25partition_config_selectorILNS1_17partition_subalgoE4EjNS0_10empty_typeEbEEZZNS1_14partition_implILS8_4ELb0ES6_15HIP_vector_typeIjLj2EENS0_17counting_iteratorIjlEEPS9_SG_NS0_5tupleIJPjSI_NS0_16reverse_iteratorISI_EEEEENSH_IJSG_SG_SG_EEES9_SI_JZNS1_25segmented_radix_sort_implINS0_14default_configELb1EPKaPaPKlPlN2at6native12_GLOBAL__N_18offset_tEEE10hipError_tPvRmT1_PNSt15iterator_traitsIS12_E10value_typeET2_T3_PNS13_IS18_E10value_typeET4_jRbjT5_S1E_jjP12ihipStream_tbEUljE_ZNSN_ISO_Lb1ESQ_SR_ST_SU_SY_EESZ_S10_S11_S12_S16_S17_S18_S1B_S1C_jS1D_jS1E_S1E_jjS1G_bEUljE0_EEESZ_S10_S11_S18_S1C_S1E_T6_T7_T9_mT8_S1G_bDpT10_ENKUlT_T0_E_clISt17integral_constantIbLb1EES1T_IbLb0EEEEDaS1P_S1Q_EUlS1P_E_NS1_11comp_targetILNS1_3genE0ELNS1_11target_archE4294967295ELNS1_3gpuE0ELNS1_3repE0EEENS1_30default_config_static_selectorELNS0_4arch9wavefront6targetE0EEEvS12_.num_agpr, 0
	.set _ZN7rocprim17ROCPRIM_400000_NS6detail17trampoline_kernelINS0_13select_configILj256ELj13ELNS0_17block_load_methodE3ELS4_3ELS4_3ELNS0_20block_scan_algorithmE0ELj4294967295EEENS1_25partition_config_selectorILNS1_17partition_subalgoE4EjNS0_10empty_typeEbEEZZNS1_14partition_implILS8_4ELb0ES6_15HIP_vector_typeIjLj2EENS0_17counting_iteratorIjlEEPS9_SG_NS0_5tupleIJPjSI_NS0_16reverse_iteratorISI_EEEEENSH_IJSG_SG_SG_EEES9_SI_JZNS1_25segmented_radix_sort_implINS0_14default_configELb1EPKaPaPKlPlN2at6native12_GLOBAL__N_18offset_tEEE10hipError_tPvRmT1_PNSt15iterator_traitsIS12_E10value_typeET2_T3_PNS13_IS18_E10value_typeET4_jRbjT5_S1E_jjP12ihipStream_tbEUljE_ZNSN_ISO_Lb1ESQ_SR_ST_SU_SY_EESZ_S10_S11_S12_S16_S17_S18_S1B_S1C_jS1D_jS1E_S1E_jjS1G_bEUljE0_EEESZ_S10_S11_S18_S1C_S1E_T6_T7_T9_mT8_S1G_bDpT10_ENKUlT_T0_E_clISt17integral_constantIbLb1EES1T_IbLb0EEEEDaS1P_S1Q_EUlS1P_E_NS1_11comp_targetILNS1_3genE0ELNS1_11target_archE4294967295ELNS1_3gpuE0ELNS1_3repE0EEENS1_30default_config_static_selectorELNS0_4arch9wavefront6targetE0EEEvS12_.numbered_sgpr, 0
	.set _ZN7rocprim17ROCPRIM_400000_NS6detail17trampoline_kernelINS0_13select_configILj256ELj13ELNS0_17block_load_methodE3ELS4_3ELS4_3ELNS0_20block_scan_algorithmE0ELj4294967295EEENS1_25partition_config_selectorILNS1_17partition_subalgoE4EjNS0_10empty_typeEbEEZZNS1_14partition_implILS8_4ELb0ES6_15HIP_vector_typeIjLj2EENS0_17counting_iteratorIjlEEPS9_SG_NS0_5tupleIJPjSI_NS0_16reverse_iteratorISI_EEEEENSH_IJSG_SG_SG_EEES9_SI_JZNS1_25segmented_radix_sort_implINS0_14default_configELb1EPKaPaPKlPlN2at6native12_GLOBAL__N_18offset_tEEE10hipError_tPvRmT1_PNSt15iterator_traitsIS12_E10value_typeET2_T3_PNS13_IS18_E10value_typeET4_jRbjT5_S1E_jjP12ihipStream_tbEUljE_ZNSN_ISO_Lb1ESQ_SR_ST_SU_SY_EESZ_S10_S11_S12_S16_S17_S18_S1B_S1C_jS1D_jS1E_S1E_jjS1G_bEUljE0_EEESZ_S10_S11_S18_S1C_S1E_T6_T7_T9_mT8_S1G_bDpT10_ENKUlT_T0_E_clISt17integral_constantIbLb1EES1T_IbLb0EEEEDaS1P_S1Q_EUlS1P_E_NS1_11comp_targetILNS1_3genE0ELNS1_11target_archE4294967295ELNS1_3gpuE0ELNS1_3repE0EEENS1_30default_config_static_selectorELNS0_4arch9wavefront6targetE0EEEvS12_.num_named_barrier, 0
	.set _ZN7rocprim17ROCPRIM_400000_NS6detail17trampoline_kernelINS0_13select_configILj256ELj13ELNS0_17block_load_methodE3ELS4_3ELS4_3ELNS0_20block_scan_algorithmE0ELj4294967295EEENS1_25partition_config_selectorILNS1_17partition_subalgoE4EjNS0_10empty_typeEbEEZZNS1_14partition_implILS8_4ELb0ES6_15HIP_vector_typeIjLj2EENS0_17counting_iteratorIjlEEPS9_SG_NS0_5tupleIJPjSI_NS0_16reverse_iteratorISI_EEEEENSH_IJSG_SG_SG_EEES9_SI_JZNS1_25segmented_radix_sort_implINS0_14default_configELb1EPKaPaPKlPlN2at6native12_GLOBAL__N_18offset_tEEE10hipError_tPvRmT1_PNSt15iterator_traitsIS12_E10value_typeET2_T3_PNS13_IS18_E10value_typeET4_jRbjT5_S1E_jjP12ihipStream_tbEUljE_ZNSN_ISO_Lb1ESQ_SR_ST_SU_SY_EESZ_S10_S11_S12_S16_S17_S18_S1B_S1C_jS1D_jS1E_S1E_jjS1G_bEUljE0_EEESZ_S10_S11_S18_S1C_S1E_T6_T7_T9_mT8_S1G_bDpT10_ENKUlT_T0_E_clISt17integral_constantIbLb1EES1T_IbLb0EEEEDaS1P_S1Q_EUlS1P_E_NS1_11comp_targetILNS1_3genE0ELNS1_11target_archE4294967295ELNS1_3gpuE0ELNS1_3repE0EEENS1_30default_config_static_selectorELNS0_4arch9wavefront6targetE0EEEvS12_.private_seg_size, 0
	.set _ZN7rocprim17ROCPRIM_400000_NS6detail17trampoline_kernelINS0_13select_configILj256ELj13ELNS0_17block_load_methodE3ELS4_3ELS4_3ELNS0_20block_scan_algorithmE0ELj4294967295EEENS1_25partition_config_selectorILNS1_17partition_subalgoE4EjNS0_10empty_typeEbEEZZNS1_14partition_implILS8_4ELb0ES6_15HIP_vector_typeIjLj2EENS0_17counting_iteratorIjlEEPS9_SG_NS0_5tupleIJPjSI_NS0_16reverse_iteratorISI_EEEEENSH_IJSG_SG_SG_EEES9_SI_JZNS1_25segmented_radix_sort_implINS0_14default_configELb1EPKaPaPKlPlN2at6native12_GLOBAL__N_18offset_tEEE10hipError_tPvRmT1_PNSt15iterator_traitsIS12_E10value_typeET2_T3_PNS13_IS18_E10value_typeET4_jRbjT5_S1E_jjP12ihipStream_tbEUljE_ZNSN_ISO_Lb1ESQ_SR_ST_SU_SY_EESZ_S10_S11_S12_S16_S17_S18_S1B_S1C_jS1D_jS1E_S1E_jjS1G_bEUljE0_EEESZ_S10_S11_S18_S1C_S1E_T6_T7_T9_mT8_S1G_bDpT10_ENKUlT_T0_E_clISt17integral_constantIbLb1EES1T_IbLb0EEEEDaS1P_S1Q_EUlS1P_E_NS1_11comp_targetILNS1_3genE0ELNS1_11target_archE4294967295ELNS1_3gpuE0ELNS1_3repE0EEENS1_30default_config_static_selectorELNS0_4arch9wavefront6targetE0EEEvS12_.uses_vcc, 0
	.set _ZN7rocprim17ROCPRIM_400000_NS6detail17trampoline_kernelINS0_13select_configILj256ELj13ELNS0_17block_load_methodE3ELS4_3ELS4_3ELNS0_20block_scan_algorithmE0ELj4294967295EEENS1_25partition_config_selectorILNS1_17partition_subalgoE4EjNS0_10empty_typeEbEEZZNS1_14partition_implILS8_4ELb0ES6_15HIP_vector_typeIjLj2EENS0_17counting_iteratorIjlEEPS9_SG_NS0_5tupleIJPjSI_NS0_16reverse_iteratorISI_EEEEENSH_IJSG_SG_SG_EEES9_SI_JZNS1_25segmented_radix_sort_implINS0_14default_configELb1EPKaPaPKlPlN2at6native12_GLOBAL__N_18offset_tEEE10hipError_tPvRmT1_PNSt15iterator_traitsIS12_E10value_typeET2_T3_PNS13_IS18_E10value_typeET4_jRbjT5_S1E_jjP12ihipStream_tbEUljE_ZNSN_ISO_Lb1ESQ_SR_ST_SU_SY_EESZ_S10_S11_S12_S16_S17_S18_S1B_S1C_jS1D_jS1E_S1E_jjS1G_bEUljE0_EEESZ_S10_S11_S18_S1C_S1E_T6_T7_T9_mT8_S1G_bDpT10_ENKUlT_T0_E_clISt17integral_constantIbLb1EES1T_IbLb0EEEEDaS1P_S1Q_EUlS1P_E_NS1_11comp_targetILNS1_3genE0ELNS1_11target_archE4294967295ELNS1_3gpuE0ELNS1_3repE0EEENS1_30default_config_static_selectorELNS0_4arch9wavefront6targetE0EEEvS12_.uses_flat_scratch, 0
	.set _ZN7rocprim17ROCPRIM_400000_NS6detail17trampoline_kernelINS0_13select_configILj256ELj13ELNS0_17block_load_methodE3ELS4_3ELS4_3ELNS0_20block_scan_algorithmE0ELj4294967295EEENS1_25partition_config_selectorILNS1_17partition_subalgoE4EjNS0_10empty_typeEbEEZZNS1_14partition_implILS8_4ELb0ES6_15HIP_vector_typeIjLj2EENS0_17counting_iteratorIjlEEPS9_SG_NS0_5tupleIJPjSI_NS0_16reverse_iteratorISI_EEEEENSH_IJSG_SG_SG_EEES9_SI_JZNS1_25segmented_radix_sort_implINS0_14default_configELb1EPKaPaPKlPlN2at6native12_GLOBAL__N_18offset_tEEE10hipError_tPvRmT1_PNSt15iterator_traitsIS12_E10value_typeET2_T3_PNS13_IS18_E10value_typeET4_jRbjT5_S1E_jjP12ihipStream_tbEUljE_ZNSN_ISO_Lb1ESQ_SR_ST_SU_SY_EESZ_S10_S11_S12_S16_S17_S18_S1B_S1C_jS1D_jS1E_S1E_jjS1G_bEUljE0_EEESZ_S10_S11_S18_S1C_S1E_T6_T7_T9_mT8_S1G_bDpT10_ENKUlT_T0_E_clISt17integral_constantIbLb1EES1T_IbLb0EEEEDaS1P_S1Q_EUlS1P_E_NS1_11comp_targetILNS1_3genE0ELNS1_11target_archE4294967295ELNS1_3gpuE0ELNS1_3repE0EEENS1_30default_config_static_selectorELNS0_4arch9wavefront6targetE0EEEvS12_.has_dyn_sized_stack, 0
	.set _ZN7rocprim17ROCPRIM_400000_NS6detail17trampoline_kernelINS0_13select_configILj256ELj13ELNS0_17block_load_methodE3ELS4_3ELS4_3ELNS0_20block_scan_algorithmE0ELj4294967295EEENS1_25partition_config_selectorILNS1_17partition_subalgoE4EjNS0_10empty_typeEbEEZZNS1_14partition_implILS8_4ELb0ES6_15HIP_vector_typeIjLj2EENS0_17counting_iteratorIjlEEPS9_SG_NS0_5tupleIJPjSI_NS0_16reverse_iteratorISI_EEEEENSH_IJSG_SG_SG_EEES9_SI_JZNS1_25segmented_radix_sort_implINS0_14default_configELb1EPKaPaPKlPlN2at6native12_GLOBAL__N_18offset_tEEE10hipError_tPvRmT1_PNSt15iterator_traitsIS12_E10value_typeET2_T3_PNS13_IS18_E10value_typeET4_jRbjT5_S1E_jjP12ihipStream_tbEUljE_ZNSN_ISO_Lb1ESQ_SR_ST_SU_SY_EESZ_S10_S11_S12_S16_S17_S18_S1B_S1C_jS1D_jS1E_S1E_jjS1G_bEUljE0_EEESZ_S10_S11_S18_S1C_S1E_T6_T7_T9_mT8_S1G_bDpT10_ENKUlT_T0_E_clISt17integral_constantIbLb1EES1T_IbLb0EEEEDaS1P_S1Q_EUlS1P_E_NS1_11comp_targetILNS1_3genE0ELNS1_11target_archE4294967295ELNS1_3gpuE0ELNS1_3repE0EEENS1_30default_config_static_selectorELNS0_4arch9wavefront6targetE0EEEvS12_.has_recursion, 0
	.set _ZN7rocprim17ROCPRIM_400000_NS6detail17trampoline_kernelINS0_13select_configILj256ELj13ELNS0_17block_load_methodE3ELS4_3ELS4_3ELNS0_20block_scan_algorithmE0ELj4294967295EEENS1_25partition_config_selectorILNS1_17partition_subalgoE4EjNS0_10empty_typeEbEEZZNS1_14partition_implILS8_4ELb0ES6_15HIP_vector_typeIjLj2EENS0_17counting_iteratorIjlEEPS9_SG_NS0_5tupleIJPjSI_NS0_16reverse_iteratorISI_EEEEENSH_IJSG_SG_SG_EEES9_SI_JZNS1_25segmented_radix_sort_implINS0_14default_configELb1EPKaPaPKlPlN2at6native12_GLOBAL__N_18offset_tEEE10hipError_tPvRmT1_PNSt15iterator_traitsIS12_E10value_typeET2_T3_PNS13_IS18_E10value_typeET4_jRbjT5_S1E_jjP12ihipStream_tbEUljE_ZNSN_ISO_Lb1ESQ_SR_ST_SU_SY_EESZ_S10_S11_S12_S16_S17_S18_S1B_S1C_jS1D_jS1E_S1E_jjS1G_bEUljE0_EEESZ_S10_S11_S18_S1C_S1E_T6_T7_T9_mT8_S1G_bDpT10_ENKUlT_T0_E_clISt17integral_constantIbLb1EES1T_IbLb0EEEEDaS1P_S1Q_EUlS1P_E_NS1_11comp_targetILNS1_3genE0ELNS1_11target_archE4294967295ELNS1_3gpuE0ELNS1_3repE0EEENS1_30default_config_static_selectorELNS0_4arch9wavefront6targetE0EEEvS12_.has_indirect_call, 0
	.section	.AMDGPU.csdata,"",@progbits
; Kernel info:
; codeLenInByte = 0
; TotalNumSgprs: 0
; NumVgprs: 0
; ScratchSize: 0
; MemoryBound: 0
; FloatMode: 240
; IeeeMode: 1
; LDSByteSize: 0 bytes/workgroup (compile time only)
; SGPRBlocks: 0
; VGPRBlocks: 0
; NumSGPRsForWavesPerEU: 1
; NumVGPRsForWavesPerEU: 1
; Occupancy: 16
; WaveLimiterHint : 0
; COMPUTE_PGM_RSRC2:SCRATCH_EN: 0
; COMPUTE_PGM_RSRC2:USER_SGPR: 6
; COMPUTE_PGM_RSRC2:TRAP_HANDLER: 0
; COMPUTE_PGM_RSRC2:TGID_X_EN: 1
; COMPUTE_PGM_RSRC2:TGID_Y_EN: 0
; COMPUTE_PGM_RSRC2:TGID_Z_EN: 0
; COMPUTE_PGM_RSRC2:TIDIG_COMP_CNT: 0
	.section	.text._ZN7rocprim17ROCPRIM_400000_NS6detail17trampoline_kernelINS0_13select_configILj256ELj13ELNS0_17block_load_methodE3ELS4_3ELS4_3ELNS0_20block_scan_algorithmE0ELj4294967295EEENS1_25partition_config_selectorILNS1_17partition_subalgoE4EjNS0_10empty_typeEbEEZZNS1_14partition_implILS8_4ELb0ES6_15HIP_vector_typeIjLj2EENS0_17counting_iteratorIjlEEPS9_SG_NS0_5tupleIJPjSI_NS0_16reverse_iteratorISI_EEEEENSH_IJSG_SG_SG_EEES9_SI_JZNS1_25segmented_radix_sort_implINS0_14default_configELb1EPKaPaPKlPlN2at6native12_GLOBAL__N_18offset_tEEE10hipError_tPvRmT1_PNSt15iterator_traitsIS12_E10value_typeET2_T3_PNS13_IS18_E10value_typeET4_jRbjT5_S1E_jjP12ihipStream_tbEUljE_ZNSN_ISO_Lb1ESQ_SR_ST_SU_SY_EESZ_S10_S11_S12_S16_S17_S18_S1B_S1C_jS1D_jS1E_S1E_jjS1G_bEUljE0_EEESZ_S10_S11_S18_S1C_S1E_T6_T7_T9_mT8_S1G_bDpT10_ENKUlT_T0_E_clISt17integral_constantIbLb1EES1T_IbLb0EEEEDaS1P_S1Q_EUlS1P_E_NS1_11comp_targetILNS1_3genE5ELNS1_11target_archE942ELNS1_3gpuE9ELNS1_3repE0EEENS1_30default_config_static_selectorELNS0_4arch9wavefront6targetE0EEEvS12_,"axG",@progbits,_ZN7rocprim17ROCPRIM_400000_NS6detail17trampoline_kernelINS0_13select_configILj256ELj13ELNS0_17block_load_methodE3ELS4_3ELS4_3ELNS0_20block_scan_algorithmE0ELj4294967295EEENS1_25partition_config_selectorILNS1_17partition_subalgoE4EjNS0_10empty_typeEbEEZZNS1_14partition_implILS8_4ELb0ES6_15HIP_vector_typeIjLj2EENS0_17counting_iteratorIjlEEPS9_SG_NS0_5tupleIJPjSI_NS0_16reverse_iteratorISI_EEEEENSH_IJSG_SG_SG_EEES9_SI_JZNS1_25segmented_radix_sort_implINS0_14default_configELb1EPKaPaPKlPlN2at6native12_GLOBAL__N_18offset_tEEE10hipError_tPvRmT1_PNSt15iterator_traitsIS12_E10value_typeET2_T3_PNS13_IS18_E10value_typeET4_jRbjT5_S1E_jjP12ihipStream_tbEUljE_ZNSN_ISO_Lb1ESQ_SR_ST_SU_SY_EESZ_S10_S11_S12_S16_S17_S18_S1B_S1C_jS1D_jS1E_S1E_jjS1G_bEUljE0_EEESZ_S10_S11_S18_S1C_S1E_T6_T7_T9_mT8_S1G_bDpT10_ENKUlT_T0_E_clISt17integral_constantIbLb1EES1T_IbLb0EEEEDaS1P_S1Q_EUlS1P_E_NS1_11comp_targetILNS1_3genE5ELNS1_11target_archE942ELNS1_3gpuE9ELNS1_3repE0EEENS1_30default_config_static_selectorELNS0_4arch9wavefront6targetE0EEEvS12_,comdat
	.globl	_ZN7rocprim17ROCPRIM_400000_NS6detail17trampoline_kernelINS0_13select_configILj256ELj13ELNS0_17block_load_methodE3ELS4_3ELS4_3ELNS0_20block_scan_algorithmE0ELj4294967295EEENS1_25partition_config_selectorILNS1_17partition_subalgoE4EjNS0_10empty_typeEbEEZZNS1_14partition_implILS8_4ELb0ES6_15HIP_vector_typeIjLj2EENS0_17counting_iteratorIjlEEPS9_SG_NS0_5tupleIJPjSI_NS0_16reverse_iteratorISI_EEEEENSH_IJSG_SG_SG_EEES9_SI_JZNS1_25segmented_radix_sort_implINS0_14default_configELb1EPKaPaPKlPlN2at6native12_GLOBAL__N_18offset_tEEE10hipError_tPvRmT1_PNSt15iterator_traitsIS12_E10value_typeET2_T3_PNS13_IS18_E10value_typeET4_jRbjT5_S1E_jjP12ihipStream_tbEUljE_ZNSN_ISO_Lb1ESQ_SR_ST_SU_SY_EESZ_S10_S11_S12_S16_S17_S18_S1B_S1C_jS1D_jS1E_S1E_jjS1G_bEUljE0_EEESZ_S10_S11_S18_S1C_S1E_T6_T7_T9_mT8_S1G_bDpT10_ENKUlT_T0_E_clISt17integral_constantIbLb1EES1T_IbLb0EEEEDaS1P_S1Q_EUlS1P_E_NS1_11comp_targetILNS1_3genE5ELNS1_11target_archE942ELNS1_3gpuE9ELNS1_3repE0EEENS1_30default_config_static_selectorELNS0_4arch9wavefront6targetE0EEEvS12_ ; -- Begin function _ZN7rocprim17ROCPRIM_400000_NS6detail17trampoline_kernelINS0_13select_configILj256ELj13ELNS0_17block_load_methodE3ELS4_3ELS4_3ELNS0_20block_scan_algorithmE0ELj4294967295EEENS1_25partition_config_selectorILNS1_17partition_subalgoE4EjNS0_10empty_typeEbEEZZNS1_14partition_implILS8_4ELb0ES6_15HIP_vector_typeIjLj2EENS0_17counting_iteratorIjlEEPS9_SG_NS0_5tupleIJPjSI_NS0_16reverse_iteratorISI_EEEEENSH_IJSG_SG_SG_EEES9_SI_JZNS1_25segmented_radix_sort_implINS0_14default_configELb1EPKaPaPKlPlN2at6native12_GLOBAL__N_18offset_tEEE10hipError_tPvRmT1_PNSt15iterator_traitsIS12_E10value_typeET2_T3_PNS13_IS18_E10value_typeET4_jRbjT5_S1E_jjP12ihipStream_tbEUljE_ZNSN_ISO_Lb1ESQ_SR_ST_SU_SY_EESZ_S10_S11_S12_S16_S17_S18_S1B_S1C_jS1D_jS1E_S1E_jjS1G_bEUljE0_EEESZ_S10_S11_S18_S1C_S1E_T6_T7_T9_mT8_S1G_bDpT10_ENKUlT_T0_E_clISt17integral_constantIbLb1EES1T_IbLb0EEEEDaS1P_S1Q_EUlS1P_E_NS1_11comp_targetILNS1_3genE5ELNS1_11target_archE942ELNS1_3gpuE9ELNS1_3repE0EEENS1_30default_config_static_selectorELNS0_4arch9wavefront6targetE0EEEvS12_
	.p2align	8
	.type	_ZN7rocprim17ROCPRIM_400000_NS6detail17trampoline_kernelINS0_13select_configILj256ELj13ELNS0_17block_load_methodE3ELS4_3ELS4_3ELNS0_20block_scan_algorithmE0ELj4294967295EEENS1_25partition_config_selectorILNS1_17partition_subalgoE4EjNS0_10empty_typeEbEEZZNS1_14partition_implILS8_4ELb0ES6_15HIP_vector_typeIjLj2EENS0_17counting_iteratorIjlEEPS9_SG_NS0_5tupleIJPjSI_NS0_16reverse_iteratorISI_EEEEENSH_IJSG_SG_SG_EEES9_SI_JZNS1_25segmented_radix_sort_implINS0_14default_configELb1EPKaPaPKlPlN2at6native12_GLOBAL__N_18offset_tEEE10hipError_tPvRmT1_PNSt15iterator_traitsIS12_E10value_typeET2_T3_PNS13_IS18_E10value_typeET4_jRbjT5_S1E_jjP12ihipStream_tbEUljE_ZNSN_ISO_Lb1ESQ_SR_ST_SU_SY_EESZ_S10_S11_S12_S16_S17_S18_S1B_S1C_jS1D_jS1E_S1E_jjS1G_bEUljE0_EEESZ_S10_S11_S18_S1C_S1E_T6_T7_T9_mT8_S1G_bDpT10_ENKUlT_T0_E_clISt17integral_constantIbLb1EES1T_IbLb0EEEEDaS1P_S1Q_EUlS1P_E_NS1_11comp_targetILNS1_3genE5ELNS1_11target_archE942ELNS1_3gpuE9ELNS1_3repE0EEENS1_30default_config_static_selectorELNS0_4arch9wavefront6targetE0EEEvS12_,@function
_ZN7rocprim17ROCPRIM_400000_NS6detail17trampoline_kernelINS0_13select_configILj256ELj13ELNS0_17block_load_methodE3ELS4_3ELS4_3ELNS0_20block_scan_algorithmE0ELj4294967295EEENS1_25partition_config_selectorILNS1_17partition_subalgoE4EjNS0_10empty_typeEbEEZZNS1_14partition_implILS8_4ELb0ES6_15HIP_vector_typeIjLj2EENS0_17counting_iteratorIjlEEPS9_SG_NS0_5tupleIJPjSI_NS0_16reverse_iteratorISI_EEEEENSH_IJSG_SG_SG_EEES9_SI_JZNS1_25segmented_radix_sort_implINS0_14default_configELb1EPKaPaPKlPlN2at6native12_GLOBAL__N_18offset_tEEE10hipError_tPvRmT1_PNSt15iterator_traitsIS12_E10value_typeET2_T3_PNS13_IS18_E10value_typeET4_jRbjT5_S1E_jjP12ihipStream_tbEUljE_ZNSN_ISO_Lb1ESQ_SR_ST_SU_SY_EESZ_S10_S11_S12_S16_S17_S18_S1B_S1C_jS1D_jS1E_S1E_jjS1G_bEUljE0_EEESZ_S10_S11_S18_S1C_S1E_T6_T7_T9_mT8_S1G_bDpT10_ENKUlT_T0_E_clISt17integral_constantIbLb1EES1T_IbLb0EEEEDaS1P_S1Q_EUlS1P_E_NS1_11comp_targetILNS1_3genE5ELNS1_11target_archE942ELNS1_3gpuE9ELNS1_3repE0EEENS1_30default_config_static_selectorELNS0_4arch9wavefront6targetE0EEEvS12_: ; @_ZN7rocprim17ROCPRIM_400000_NS6detail17trampoline_kernelINS0_13select_configILj256ELj13ELNS0_17block_load_methodE3ELS4_3ELS4_3ELNS0_20block_scan_algorithmE0ELj4294967295EEENS1_25partition_config_selectorILNS1_17partition_subalgoE4EjNS0_10empty_typeEbEEZZNS1_14partition_implILS8_4ELb0ES6_15HIP_vector_typeIjLj2EENS0_17counting_iteratorIjlEEPS9_SG_NS0_5tupleIJPjSI_NS0_16reverse_iteratorISI_EEEEENSH_IJSG_SG_SG_EEES9_SI_JZNS1_25segmented_radix_sort_implINS0_14default_configELb1EPKaPaPKlPlN2at6native12_GLOBAL__N_18offset_tEEE10hipError_tPvRmT1_PNSt15iterator_traitsIS12_E10value_typeET2_T3_PNS13_IS18_E10value_typeET4_jRbjT5_S1E_jjP12ihipStream_tbEUljE_ZNSN_ISO_Lb1ESQ_SR_ST_SU_SY_EESZ_S10_S11_S12_S16_S17_S18_S1B_S1C_jS1D_jS1E_S1E_jjS1G_bEUljE0_EEESZ_S10_S11_S18_S1C_S1E_T6_T7_T9_mT8_S1G_bDpT10_ENKUlT_T0_E_clISt17integral_constantIbLb1EES1T_IbLb0EEEEDaS1P_S1Q_EUlS1P_E_NS1_11comp_targetILNS1_3genE5ELNS1_11target_archE942ELNS1_3gpuE9ELNS1_3repE0EEENS1_30default_config_static_selectorELNS0_4arch9wavefront6targetE0EEEvS12_
; %bb.0:
	.section	.rodata,"a",@progbits
	.p2align	6, 0x0
	.amdhsa_kernel _ZN7rocprim17ROCPRIM_400000_NS6detail17trampoline_kernelINS0_13select_configILj256ELj13ELNS0_17block_load_methodE3ELS4_3ELS4_3ELNS0_20block_scan_algorithmE0ELj4294967295EEENS1_25partition_config_selectorILNS1_17partition_subalgoE4EjNS0_10empty_typeEbEEZZNS1_14partition_implILS8_4ELb0ES6_15HIP_vector_typeIjLj2EENS0_17counting_iteratorIjlEEPS9_SG_NS0_5tupleIJPjSI_NS0_16reverse_iteratorISI_EEEEENSH_IJSG_SG_SG_EEES9_SI_JZNS1_25segmented_radix_sort_implINS0_14default_configELb1EPKaPaPKlPlN2at6native12_GLOBAL__N_18offset_tEEE10hipError_tPvRmT1_PNSt15iterator_traitsIS12_E10value_typeET2_T3_PNS13_IS18_E10value_typeET4_jRbjT5_S1E_jjP12ihipStream_tbEUljE_ZNSN_ISO_Lb1ESQ_SR_ST_SU_SY_EESZ_S10_S11_S12_S16_S17_S18_S1B_S1C_jS1D_jS1E_S1E_jjS1G_bEUljE0_EEESZ_S10_S11_S18_S1C_S1E_T6_T7_T9_mT8_S1G_bDpT10_ENKUlT_T0_E_clISt17integral_constantIbLb1EES1T_IbLb0EEEEDaS1P_S1Q_EUlS1P_E_NS1_11comp_targetILNS1_3genE5ELNS1_11target_archE942ELNS1_3gpuE9ELNS1_3repE0EEENS1_30default_config_static_selectorELNS0_4arch9wavefront6targetE0EEEvS12_
		.amdhsa_group_segment_fixed_size 0
		.amdhsa_private_segment_fixed_size 0
		.amdhsa_kernarg_size 176
		.amdhsa_user_sgpr_count 6
		.amdhsa_user_sgpr_private_segment_buffer 1
		.amdhsa_user_sgpr_dispatch_ptr 0
		.amdhsa_user_sgpr_queue_ptr 0
		.amdhsa_user_sgpr_kernarg_segment_ptr 1
		.amdhsa_user_sgpr_dispatch_id 0
		.amdhsa_user_sgpr_flat_scratch_init 0
		.amdhsa_user_sgpr_private_segment_size 0
		.amdhsa_wavefront_size32 1
		.amdhsa_uses_dynamic_stack 0
		.amdhsa_system_sgpr_private_segment_wavefront_offset 0
		.amdhsa_system_sgpr_workgroup_id_x 1
		.amdhsa_system_sgpr_workgroup_id_y 0
		.amdhsa_system_sgpr_workgroup_id_z 0
		.amdhsa_system_sgpr_workgroup_info 0
		.amdhsa_system_vgpr_workitem_id 0
		.amdhsa_next_free_vgpr 1
		.amdhsa_next_free_sgpr 1
		.amdhsa_reserve_vcc 0
		.amdhsa_reserve_flat_scratch 0
		.amdhsa_float_round_mode_32 0
		.amdhsa_float_round_mode_16_64 0
		.amdhsa_float_denorm_mode_32 3
		.amdhsa_float_denorm_mode_16_64 3
		.amdhsa_dx10_clamp 1
		.amdhsa_ieee_mode 1
		.amdhsa_fp16_overflow 0
		.amdhsa_workgroup_processor_mode 1
		.amdhsa_memory_ordered 1
		.amdhsa_forward_progress 1
		.amdhsa_shared_vgpr_count 0
		.amdhsa_exception_fp_ieee_invalid_op 0
		.amdhsa_exception_fp_denorm_src 0
		.amdhsa_exception_fp_ieee_div_zero 0
		.amdhsa_exception_fp_ieee_overflow 0
		.amdhsa_exception_fp_ieee_underflow 0
		.amdhsa_exception_fp_ieee_inexact 0
		.amdhsa_exception_int_div_zero 0
	.end_amdhsa_kernel
	.section	.text._ZN7rocprim17ROCPRIM_400000_NS6detail17trampoline_kernelINS0_13select_configILj256ELj13ELNS0_17block_load_methodE3ELS4_3ELS4_3ELNS0_20block_scan_algorithmE0ELj4294967295EEENS1_25partition_config_selectorILNS1_17partition_subalgoE4EjNS0_10empty_typeEbEEZZNS1_14partition_implILS8_4ELb0ES6_15HIP_vector_typeIjLj2EENS0_17counting_iteratorIjlEEPS9_SG_NS0_5tupleIJPjSI_NS0_16reverse_iteratorISI_EEEEENSH_IJSG_SG_SG_EEES9_SI_JZNS1_25segmented_radix_sort_implINS0_14default_configELb1EPKaPaPKlPlN2at6native12_GLOBAL__N_18offset_tEEE10hipError_tPvRmT1_PNSt15iterator_traitsIS12_E10value_typeET2_T3_PNS13_IS18_E10value_typeET4_jRbjT5_S1E_jjP12ihipStream_tbEUljE_ZNSN_ISO_Lb1ESQ_SR_ST_SU_SY_EESZ_S10_S11_S12_S16_S17_S18_S1B_S1C_jS1D_jS1E_S1E_jjS1G_bEUljE0_EEESZ_S10_S11_S18_S1C_S1E_T6_T7_T9_mT8_S1G_bDpT10_ENKUlT_T0_E_clISt17integral_constantIbLb1EES1T_IbLb0EEEEDaS1P_S1Q_EUlS1P_E_NS1_11comp_targetILNS1_3genE5ELNS1_11target_archE942ELNS1_3gpuE9ELNS1_3repE0EEENS1_30default_config_static_selectorELNS0_4arch9wavefront6targetE0EEEvS12_,"axG",@progbits,_ZN7rocprim17ROCPRIM_400000_NS6detail17trampoline_kernelINS0_13select_configILj256ELj13ELNS0_17block_load_methodE3ELS4_3ELS4_3ELNS0_20block_scan_algorithmE0ELj4294967295EEENS1_25partition_config_selectorILNS1_17partition_subalgoE4EjNS0_10empty_typeEbEEZZNS1_14partition_implILS8_4ELb0ES6_15HIP_vector_typeIjLj2EENS0_17counting_iteratorIjlEEPS9_SG_NS0_5tupleIJPjSI_NS0_16reverse_iteratorISI_EEEEENSH_IJSG_SG_SG_EEES9_SI_JZNS1_25segmented_radix_sort_implINS0_14default_configELb1EPKaPaPKlPlN2at6native12_GLOBAL__N_18offset_tEEE10hipError_tPvRmT1_PNSt15iterator_traitsIS12_E10value_typeET2_T3_PNS13_IS18_E10value_typeET4_jRbjT5_S1E_jjP12ihipStream_tbEUljE_ZNSN_ISO_Lb1ESQ_SR_ST_SU_SY_EESZ_S10_S11_S12_S16_S17_S18_S1B_S1C_jS1D_jS1E_S1E_jjS1G_bEUljE0_EEESZ_S10_S11_S18_S1C_S1E_T6_T7_T9_mT8_S1G_bDpT10_ENKUlT_T0_E_clISt17integral_constantIbLb1EES1T_IbLb0EEEEDaS1P_S1Q_EUlS1P_E_NS1_11comp_targetILNS1_3genE5ELNS1_11target_archE942ELNS1_3gpuE9ELNS1_3repE0EEENS1_30default_config_static_selectorELNS0_4arch9wavefront6targetE0EEEvS12_,comdat
.Lfunc_end241:
	.size	_ZN7rocprim17ROCPRIM_400000_NS6detail17trampoline_kernelINS0_13select_configILj256ELj13ELNS0_17block_load_methodE3ELS4_3ELS4_3ELNS0_20block_scan_algorithmE0ELj4294967295EEENS1_25partition_config_selectorILNS1_17partition_subalgoE4EjNS0_10empty_typeEbEEZZNS1_14partition_implILS8_4ELb0ES6_15HIP_vector_typeIjLj2EENS0_17counting_iteratorIjlEEPS9_SG_NS0_5tupleIJPjSI_NS0_16reverse_iteratorISI_EEEEENSH_IJSG_SG_SG_EEES9_SI_JZNS1_25segmented_radix_sort_implINS0_14default_configELb1EPKaPaPKlPlN2at6native12_GLOBAL__N_18offset_tEEE10hipError_tPvRmT1_PNSt15iterator_traitsIS12_E10value_typeET2_T3_PNS13_IS18_E10value_typeET4_jRbjT5_S1E_jjP12ihipStream_tbEUljE_ZNSN_ISO_Lb1ESQ_SR_ST_SU_SY_EESZ_S10_S11_S12_S16_S17_S18_S1B_S1C_jS1D_jS1E_S1E_jjS1G_bEUljE0_EEESZ_S10_S11_S18_S1C_S1E_T6_T7_T9_mT8_S1G_bDpT10_ENKUlT_T0_E_clISt17integral_constantIbLb1EES1T_IbLb0EEEEDaS1P_S1Q_EUlS1P_E_NS1_11comp_targetILNS1_3genE5ELNS1_11target_archE942ELNS1_3gpuE9ELNS1_3repE0EEENS1_30default_config_static_selectorELNS0_4arch9wavefront6targetE0EEEvS12_, .Lfunc_end241-_ZN7rocprim17ROCPRIM_400000_NS6detail17trampoline_kernelINS0_13select_configILj256ELj13ELNS0_17block_load_methodE3ELS4_3ELS4_3ELNS0_20block_scan_algorithmE0ELj4294967295EEENS1_25partition_config_selectorILNS1_17partition_subalgoE4EjNS0_10empty_typeEbEEZZNS1_14partition_implILS8_4ELb0ES6_15HIP_vector_typeIjLj2EENS0_17counting_iteratorIjlEEPS9_SG_NS0_5tupleIJPjSI_NS0_16reverse_iteratorISI_EEEEENSH_IJSG_SG_SG_EEES9_SI_JZNS1_25segmented_radix_sort_implINS0_14default_configELb1EPKaPaPKlPlN2at6native12_GLOBAL__N_18offset_tEEE10hipError_tPvRmT1_PNSt15iterator_traitsIS12_E10value_typeET2_T3_PNS13_IS18_E10value_typeET4_jRbjT5_S1E_jjP12ihipStream_tbEUljE_ZNSN_ISO_Lb1ESQ_SR_ST_SU_SY_EESZ_S10_S11_S12_S16_S17_S18_S1B_S1C_jS1D_jS1E_S1E_jjS1G_bEUljE0_EEESZ_S10_S11_S18_S1C_S1E_T6_T7_T9_mT8_S1G_bDpT10_ENKUlT_T0_E_clISt17integral_constantIbLb1EES1T_IbLb0EEEEDaS1P_S1Q_EUlS1P_E_NS1_11comp_targetILNS1_3genE5ELNS1_11target_archE942ELNS1_3gpuE9ELNS1_3repE0EEENS1_30default_config_static_selectorELNS0_4arch9wavefront6targetE0EEEvS12_
                                        ; -- End function
	.set _ZN7rocprim17ROCPRIM_400000_NS6detail17trampoline_kernelINS0_13select_configILj256ELj13ELNS0_17block_load_methodE3ELS4_3ELS4_3ELNS0_20block_scan_algorithmE0ELj4294967295EEENS1_25partition_config_selectorILNS1_17partition_subalgoE4EjNS0_10empty_typeEbEEZZNS1_14partition_implILS8_4ELb0ES6_15HIP_vector_typeIjLj2EENS0_17counting_iteratorIjlEEPS9_SG_NS0_5tupleIJPjSI_NS0_16reverse_iteratorISI_EEEEENSH_IJSG_SG_SG_EEES9_SI_JZNS1_25segmented_radix_sort_implINS0_14default_configELb1EPKaPaPKlPlN2at6native12_GLOBAL__N_18offset_tEEE10hipError_tPvRmT1_PNSt15iterator_traitsIS12_E10value_typeET2_T3_PNS13_IS18_E10value_typeET4_jRbjT5_S1E_jjP12ihipStream_tbEUljE_ZNSN_ISO_Lb1ESQ_SR_ST_SU_SY_EESZ_S10_S11_S12_S16_S17_S18_S1B_S1C_jS1D_jS1E_S1E_jjS1G_bEUljE0_EEESZ_S10_S11_S18_S1C_S1E_T6_T7_T9_mT8_S1G_bDpT10_ENKUlT_T0_E_clISt17integral_constantIbLb1EES1T_IbLb0EEEEDaS1P_S1Q_EUlS1P_E_NS1_11comp_targetILNS1_3genE5ELNS1_11target_archE942ELNS1_3gpuE9ELNS1_3repE0EEENS1_30default_config_static_selectorELNS0_4arch9wavefront6targetE0EEEvS12_.num_vgpr, 0
	.set _ZN7rocprim17ROCPRIM_400000_NS6detail17trampoline_kernelINS0_13select_configILj256ELj13ELNS0_17block_load_methodE3ELS4_3ELS4_3ELNS0_20block_scan_algorithmE0ELj4294967295EEENS1_25partition_config_selectorILNS1_17partition_subalgoE4EjNS0_10empty_typeEbEEZZNS1_14partition_implILS8_4ELb0ES6_15HIP_vector_typeIjLj2EENS0_17counting_iteratorIjlEEPS9_SG_NS0_5tupleIJPjSI_NS0_16reverse_iteratorISI_EEEEENSH_IJSG_SG_SG_EEES9_SI_JZNS1_25segmented_radix_sort_implINS0_14default_configELb1EPKaPaPKlPlN2at6native12_GLOBAL__N_18offset_tEEE10hipError_tPvRmT1_PNSt15iterator_traitsIS12_E10value_typeET2_T3_PNS13_IS18_E10value_typeET4_jRbjT5_S1E_jjP12ihipStream_tbEUljE_ZNSN_ISO_Lb1ESQ_SR_ST_SU_SY_EESZ_S10_S11_S12_S16_S17_S18_S1B_S1C_jS1D_jS1E_S1E_jjS1G_bEUljE0_EEESZ_S10_S11_S18_S1C_S1E_T6_T7_T9_mT8_S1G_bDpT10_ENKUlT_T0_E_clISt17integral_constantIbLb1EES1T_IbLb0EEEEDaS1P_S1Q_EUlS1P_E_NS1_11comp_targetILNS1_3genE5ELNS1_11target_archE942ELNS1_3gpuE9ELNS1_3repE0EEENS1_30default_config_static_selectorELNS0_4arch9wavefront6targetE0EEEvS12_.num_agpr, 0
	.set _ZN7rocprim17ROCPRIM_400000_NS6detail17trampoline_kernelINS0_13select_configILj256ELj13ELNS0_17block_load_methodE3ELS4_3ELS4_3ELNS0_20block_scan_algorithmE0ELj4294967295EEENS1_25partition_config_selectorILNS1_17partition_subalgoE4EjNS0_10empty_typeEbEEZZNS1_14partition_implILS8_4ELb0ES6_15HIP_vector_typeIjLj2EENS0_17counting_iteratorIjlEEPS9_SG_NS0_5tupleIJPjSI_NS0_16reverse_iteratorISI_EEEEENSH_IJSG_SG_SG_EEES9_SI_JZNS1_25segmented_radix_sort_implINS0_14default_configELb1EPKaPaPKlPlN2at6native12_GLOBAL__N_18offset_tEEE10hipError_tPvRmT1_PNSt15iterator_traitsIS12_E10value_typeET2_T3_PNS13_IS18_E10value_typeET4_jRbjT5_S1E_jjP12ihipStream_tbEUljE_ZNSN_ISO_Lb1ESQ_SR_ST_SU_SY_EESZ_S10_S11_S12_S16_S17_S18_S1B_S1C_jS1D_jS1E_S1E_jjS1G_bEUljE0_EEESZ_S10_S11_S18_S1C_S1E_T6_T7_T9_mT8_S1G_bDpT10_ENKUlT_T0_E_clISt17integral_constantIbLb1EES1T_IbLb0EEEEDaS1P_S1Q_EUlS1P_E_NS1_11comp_targetILNS1_3genE5ELNS1_11target_archE942ELNS1_3gpuE9ELNS1_3repE0EEENS1_30default_config_static_selectorELNS0_4arch9wavefront6targetE0EEEvS12_.numbered_sgpr, 0
	.set _ZN7rocprim17ROCPRIM_400000_NS6detail17trampoline_kernelINS0_13select_configILj256ELj13ELNS0_17block_load_methodE3ELS4_3ELS4_3ELNS0_20block_scan_algorithmE0ELj4294967295EEENS1_25partition_config_selectorILNS1_17partition_subalgoE4EjNS0_10empty_typeEbEEZZNS1_14partition_implILS8_4ELb0ES6_15HIP_vector_typeIjLj2EENS0_17counting_iteratorIjlEEPS9_SG_NS0_5tupleIJPjSI_NS0_16reverse_iteratorISI_EEEEENSH_IJSG_SG_SG_EEES9_SI_JZNS1_25segmented_radix_sort_implINS0_14default_configELb1EPKaPaPKlPlN2at6native12_GLOBAL__N_18offset_tEEE10hipError_tPvRmT1_PNSt15iterator_traitsIS12_E10value_typeET2_T3_PNS13_IS18_E10value_typeET4_jRbjT5_S1E_jjP12ihipStream_tbEUljE_ZNSN_ISO_Lb1ESQ_SR_ST_SU_SY_EESZ_S10_S11_S12_S16_S17_S18_S1B_S1C_jS1D_jS1E_S1E_jjS1G_bEUljE0_EEESZ_S10_S11_S18_S1C_S1E_T6_T7_T9_mT8_S1G_bDpT10_ENKUlT_T0_E_clISt17integral_constantIbLb1EES1T_IbLb0EEEEDaS1P_S1Q_EUlS1P_E_NS1_11comp_targetILNS1_3genE5ELNS1_11target_archE942ELNS1_3gpuE9ELNS1_3repE0EEENS1_30default_config_static_selectorELNS0_4arch9wavefront6targetE0EEEvS12_.num_named_barrier, 0
	.set _ZN7rocprim17ROCPRIM_400000_NS6detail17trampoline_kernelINS0_13select_configILj256ELj13ELNS0_17block_load_methodE3ELS4_3ELS4_3ELNS0_20block_scan_algorithmE0ELj4294967295EEENS1_25partition_config_selectorILNS1_17partition_subalgoE4EjNS0_10empty_typeEbEEZZNS1_14partition_implILS8_4ELb0ES6_15HIP_vector_typeIjLj2EENS0_17counting_iteratorIjlEEPS9_SG_NS0_5tupleIJPjSI_NS0_16reverse_iteratorISI_EEEEENSH_IJSG_SG_SG_EEES9_SI_JZNS1_25segmented_radix_sort_implINS0_14default_configELb1EPKaPaPKlPlN2at6native12_GLOBAL__N_18offset_tEEE10hipError_tPvRmT1_PNSt15iterator_traitsIS12_E10value_typeET2_T3_PNS13_IS18_E10value_typeET4_jRbjT5_S1E_jjP12ihipStream_tbEUljE_ZNSN_ISO_Lb1ESQ_SR_ST_SU_SY_EESZ_S10_S11_S12_S16_S17_S18_S1B_S1C_jS1D_jS1E_S1E_jjS1G_bEUljE0_EEESZ_S10_S11_S18_S1C_S1E_T6_T7_T9_mT8_S1G_bDpT10_ENKUlT_T0_E_clISt17integral_constantIbLb1EES1T_IbLb0EEEEDaS1P_S1Q_EUlS1P_E_NS1_11comp_targetILNS1_3genE5ELNS1_11target_archE942ELNS1_3gpuE9ELNS1_3repE0EEENS1_30default_config_static_selectorELNS0_4arch9wavefront6targetE0EEEvS12_.private_seg_size, 0
	.set _ZN7rocprim17ROCPRIM_400000_NS6detail17trampoline_kernelINS0_13select_configILj256ELj13ELNS0_17block_load_methodE3ELS4_3ELS4_3ELNS0_20block_scan_algorithmE0ELj4294967295EEENS1_25partition_config_selectorILNS1_17partition_subalgoE4EjNS0_10empty_typeEbEEZZNS1_14partition_implILS8_4ELb0ES6_15HIP_vector_typeIjLj2EENS0_17counting_iteratorIjlEEPS9_SG_NS0_5tupleIJPjSI_NS0_16reverse_iteratorISI_EEEEENSH_IJSG_SG_SG_EEES9_SI_JZNS1_25segmented_radix_sort_implINS0_14default_configELb1EPKaPaPKlPlN2at6native12_GLOBAL__N_18offset_tEEE10hipError_tPvRmT1_PNSt15iterator_traitsIS12_E10value_typeET2_T3_PNS13_IS18_E10value_typeET4_jRbjT5_S1E_jjP12ihipStream_tbEUljE_ZNSN_ISO_Lb1ESQ_SR_ST_SU_SY_EESZ_S10_S11_S12_S16_S17_S18_S1B_S1C_jS1D_jS1E_S1E_jjS1G_bEUljE0_EEESZ_S10_S11_S18_S1C_S1E_T6_T7_T9_mT8_S1G_bDpT10_ENKUlT_T0_E_clISt17integral_constantIbLb1EES1T_IbLb0EEEEDaS1P_S1Q_EUlS1P_E_NS1_11comp_targetILNS1_3genE5ELNS1_11target_archE942ELNS1_3gpuE9ELNS1_3repE0EEENS1_30default_config_static_selectorELNS0_4arch9wavefront6targetE0EEEvS12_.uses_vcc, 0
	.set _ZN7rocprim17ROCPRIM_400000_NS6detail17trampoline_kernelINS0_13select_configILj256ELj13ELNS0_17block_load_methodE3ELS4_3ELS4_3ELNS0_20block_scan_algorithmE0ELj4294967295EEENS1_25partition_config_selectorILNS1_17partition_subalgoE4EjNS0_10empty_typeEbEEZZNS1_14partition_implILS8_4ELb0ES6_15HIP_vector_typeIjLj2EENS0_17counting_iteratorIjlEEPS9_SG_NS0_5tupleIJPjSI_NS0_16reverse_iteratorISI_EEEEENSH_IJSG_SG_SG_EEES9_SI_JZNS1_25segmented_radix_sort_implINS0_14default_configELb1EPKaPaPKlPlN2at6native12_GLOBAL__N_18offset_tEEE10hipError_tPvRmT1_PNSt15iterator_traitsIS12_E10value_typeET2_T3_PNS13_IS18_E10value_typeET4_jRbjT5_S1E_jjP12ihipStream_tbEUljE_ZNSN_ISO_Lb1ESQ_SR_ST_SU_SY_EESZ_S10_S11_S12_S16_S17_S18_S1B_S1C_jS1D_jS1E_S1E_jjS1G_bEUljE0_EEESZ_S10_S11_S18_S1C_S1E_T6_T7_T9_mT8_S1G_bDpT10_ENKUlT_T0_E_clISt17integral_constantIbLb1EES1T_IbLb0EEEEDaS1P_S1Q_EUlS1P_E_NS1_11comp_targetILNS1_3genE5ELNS1_11target_archE942ELNS1_3gpuE9ELNS1_3repE0EEENS1_30default_config_static_selectorELNS0_4arch9wavefront6targetE0EEEvS12_.uses_flat_scratch, 0
	.set _ZN7rocprim17ROCPRIM_400000_NS6detail17trampoline_kernelINS0_13select_configILj256ELj13ELNS0_17block_load_methodE3ELS4_3ELS4_3ELNS0_20block_scan_algorithmE0ELj4294967295EEENS1_25partition_config_selectorILNS1_17partition_subalgoE4EjNS0_10empty_typeEbEEZZNS1_14partition_implILS8_4ELb0ES6_15HIP_vector_typeIjLj2EENS0_17counting_iteratorIjlEEPS9_SG_NS0_5tupleIJPjSI_NS0_16reverse_iteratorISI_EEEEENSH_IJSG_SG_SG_EEES9_SI_JZNS1_25segmented_radix_sort_implINS0_14default_configELb1EPKaPaPKlPlN2at6native12_GLOBAL__N_18offset_tEEE10hipError_tPvRmT1_PNSt15iterator_traitsIS12_E10value_typeET2_T3_PNS13_IS18_E10value_typeET4_jRbjT5_S1E_jjP12ihipStream_tbEUljE_ZNSN_ISO_Lb1ESQ_SR_ST_SU_SY_EESZ_S10_S11_S12_S16_S17_S18_S1B_S1C_jS1D_jS1E_S1E_jjS1G_bEUljE0_EEESZ_S10_S11_S18_S1C_S1E_T6_T7_T9_mT8_S1G_bDpT10_ENKUlT_T0_E_clISt17integral_constantIbLb1EES1T_IbLb0EEEEDaS1P_S1Q_EUlS1P_E_NS1_11comp_targetILNS1_3genE5ELNS1_11target_archE942ELNS1_3gpuE9ELNS1_3repE0EEENS1_30default_config_static_selectorELNS0_4arch9wavefront6targetE0EEEvS12_.has_dyn_sized_stack, 0
	.set _ZN7rocprim17ROCPRIM_400000_NS6detail17trampoline_kernelINS0_13select_configILj256ELj13ELNS0_17block_load_methodE3ELS4_3ELS4_3ELNS0_20block_scan_algorithmE0ELj4294967295EEENS1_25partition_config_selectorILNS1_17partition_subalgoE4EjNS0_10empty_typeEbEEZZNS1_14partition_implILS8_4ELb0ES6_15HIP_vector_typeIjLj2EENS0_17counting_iteratorIjlEEPS9_SG_NS0_5tupleIJPjSI_NS0_16reverse_iteratorISI_EEEEENSH_IJSG_SG_SG_EEES9_SI_JZNS1_25segmented_radix_sort_implINS0_14default_configELb1EPKaPaPKlPlN2at6native12_GLOBAL__N_18offset_tEEE10hipError_tPvRmT1_PNSt15iterator_traitsIS12_E10value_typeET2_T3_PNS13_IS18_E10value_typeET4_jRbjT5_S1E_jjP12ihipStream_tbEUljE_ZNSN_ISO_Lb1ESQ_SR_ST_SU_SY_EESZ_S10_S11_S12_S16_S17_S18_S1B_S1C_jS1D_jS1E_S1E_jjS1G_bEUljE0_EEESZ_S10_S11_S18_S1C_S1E_T6_T7_T9_mT8_S1G_bDpT10_ENKUlT_T0_E_clISt17integral_constantIbLb1EES1T_IbLb0EEEEDaS1P_S1Q_EUlS1P_E_NS1_11comp_targetILNS1_3genE5ELNS1_11target_archE942ELNS1_3gpuE9ELNS1_3repE0EEENS1_30default_config_static_selectorELNS0_4arch9wavefront6targetE0EEEvS12_.has_recursion, 0
	.set _ZN7rocprim17ROCPRIM_400000_NS6detail17trampoline_kernelINS0_13select_configILj256ELj13ELNS0_17block_load_methodE3ELS4_3ELS4_3ELNS0_20block_scan_algorithmE0ELj4294967295EEENS1_25partition_config_selectorILNS1_17partition_subalgoE4EjNS0_10empty_typeEbEEZZNS1_14partition_implILS8_4ELb0ES6_15HIP_vector_typeIjLj2EENS0_17counting_iteratorIjlEEPS9_SG_NS0_5tupleIJPjSI_NS0_16reverse_iteratorISI_EEEEENSH_IJSG_SG_SG_EEES9_SI_JZNS1_25segmented_radix_sort_implINS0_14default_configELb1EPKaPaPKlPlN2at6native12_GLOBAL__N_18offset_tEEE10hipError_tPvRmT1_PNSt15iterator_traitsIS12_E10value_typeET2_T3_PNS13_IS18_E10value_typeET4_jRbjT5_S1E_jjP12ihipStream_tbEUljE_ZNSN_ISO_Lb1ESQ_SR_ST_SU_SY_EESZ_S10_S11_S12_S16_S17_S18_S1B_S1C_jS1D_jS1E_S1E_jjS1G_bEUljE0_EEESZ_S10_S11_S18_S1C_S1E_T6_T7_T9_mT8_S1G_bDpT10_ENKUlT_T0_E_clISt17integral_constantIbLb1EES1T_IbLb0EEEEDaS1P_S1Q_EUlS1P_E_NS1_11comp_targetILNS1_3genE5ELNS1_11target_archE942ELNS1_3gpuE9ELNS1_3repE0EEENS1_30default_config_static_selectorELNS0_4arch9wavefront6targetE0EEEvS12_.has_indirect_call, 0
	.section	.AMDGPU.csdata,"",@progbits
; Kernel info:
; codeLenInByte = 0
; TotalNumSgprs: 0
; NumVgprs: 0
; ScratchSize: 0
; MemoryBound: 0
; FloatMode: 240
; IeeeMode: 1
; LDSByteSize: 0 bytes/workgroup (compile time only)
; SGPRBlocks: 0
; VGPRBlocks: 0
; NumSGPRsForWavesPerEU: 1
; NumVGPRsForWavesPerEU: 1
; Occupancy: 16
; WaveLimiterHint : 0
; COMPUTE_PGM_RSRC2:SCRATCH_EN: 0
; COMPUTE_PGM_RSRC2:USER_SGPR: 6
; COMPUTE_PGM_RSRC2:TRAP_HANDLER: 0
; COMPUTE_PGM_RSRC2:TGID_X_EN: 1
; COMPUTE_PGM_RSRC2:TGID_Y_EN: 0
; COMPUTE_PGM_RSRC2:TGID_Z_EN: 0
; COMPUTE_PGM_RSRC2:TIDIG_COMP_CNT: 0
	.section	.text._ZN7rocprim17ROCPRIM_400000_NS6detail17trampoline_kernelINS0_13select_configILj256ELj13ELNS0_17block_load_methodE3ELS4_3ELS4_3ELNS0_20block_scan_algorithmE0ELj4294967295EEENS1_25partition_config_selectorILNS1_17partition_subalgoE4EjNS0_10empty_typeEbEEZZNS1_14partition_implILS8_4ELb0ES6_15HIP_vector_typeIjLj2EENS0_17counting_iteratorIjlEEPS9_SG_NS0_5tupleIJPjSI_NS0_16reverse_iteratorISI_EEEEENSH_IJSG_SG_SG_EEES9_SI_JZNS1_25segmented_radix_sort_implINS0_14default_configELb1EPKaPaPKlPlN2at6native12_GLOBAL__N_18offset_tEEE10hipError_tPvRmT1_PNSt15iterator_traitsIS12_E10value_typeET2_T3_PNS13_IS18_E10value_typeET4_jRbjT5_S1E_jjP12ihipStream_tbEUljE_ZNSN_ISO_Lb1ESQ_SR_ST_SU_SY_EESZ_S10_S11_S12_S16_S17_S18_S1B_S1C_jS1D_jS1E_S1E_jjS1G_bEUljE0_EEESZ_S10_S11_S18_S1C_S1E_T6_T7_T9_mT8_S1G_bDpT10_ENKUlT_T0_E_clISt17integral_constantIbLb1EES1T_IbLb0EEEEDaS1P_S1Q_EUlS1P_E_NS1_11comp_targetILNS1_3genE4ELNS1_11target_archE910ELNS1_3gpuE8ELNS1_3repE0EEENS1_30default_config_static_selectorELNS0_4arch9wavefront6targetE0EEEvS12_,"axG",@progbits,_ZN7rocprim17ROCPRIM_400000_NS6detail17trampoline_kernelINS0_13select_configILj256ELj13ELNS0_17block_load_methodE3ELS4_3ELS4_3ELNS0_20block_scan_algorithmE0ELj4294967295EEENS1_25partition_config_selectorILNS1_17partition_subalgoE4EjNS0_10empty_typeEbEEZZNS1_14partition_implILS8_4ELb0ES6_15HIP_vector_typeIjLj2EENS0_17counting_iteratorIjlEEPS9_SG_NS0_5tupleIJPjSI_NS0_16reverse_iteratorISI_EEEEENSH_IJSG_SG_SG_EEES9_SI_JZNS1_25segmented_radix_sort_implINS0_14default_configELb1EPKaPaPKlPlN2at6native12_GLOBAL__N_18offset_tEEE10hipError_tPvRmT1_PNSt15iterator_traitsIS12_E10value_typeET2_T3_PNS13_IS18_E10value_typeET4_jRbjT5_S1E_jjP12ihipStream_tbEUljE_ZNSN_ISO_Lb1ESQ_SR_ST_SU_SY_EESZ_S10_S11_S12_S16_S17_S18_S1B_S1C_jS1D_jS1E_S1E_jjS1G_bEUljE0_EEESZ_S10_S11_S18_S1C_S1E_T6_T7_T9_mT8_S1G_bDpT10_ENKUlT_T0_E_clISt17integral_constantIbLb1EES1T_IbLb0EEEEDaS1P_S1Q_EUlS1P_E_NS1_11comp_targetILNS1_3genE4ELNS1_11target_archE910ELNS1_3gpuE8ELNS1_3repE0EEENS1_30default_config_static_selectorELNS0_4arch9wavefront6targetE0EEEvS12_,comdat
	.globl	_ZN7rocprim17ROCPRIM_400000_NS6detail17trampoline_kernelINS0_13select_configILj256ELj13ELNS0_17block_load_methodE3ELS4_3ELS4_3ELNS0_20block_scan_algorithmE0ELj4294967295EEENS1_25partition_config_selectorILNS1_17partition_subalgoE4EjNS0_10empty_typeEbEEZZNS1_14partition_implILS8_4ELb0ES6_15HIP_vector_typeIjLj2EENS0_17counting_iteratorIjlEEPS9_SG_NS0_5tupleIJPjSI_NS0_16reverse_iteratorISI_EEEEENSH_IJSG_SG_SG_EEES9_SI_JZNS1_25segmented_radix_sort_implINS0_14default_configELb1EPKaPaPKlPlN2at6native12_GLOBAL__N_18offset_tEEE10hipError_tPvRmT1_PNSt15iterator_traitsIS12_E10value_typeET2_T3_PNS13_IS18_E10value_typeET4_jRbjT5_S1E_jjP12ihipStream_tbEUljE_ZNSN_ISO_Lb1ESQ_SR_ST_SU_SY_EESZ_S10_S11_S12_S16_S17_S18_S1B_S1C_jS1D_jS1E_S1E_jjS1G_bEUljE0_EEESZ_S10_S11_S18_S1C_S1E_T6_T7_T9_mT8_S1G_bDpT10_ENKUlT_T0_E_clISt17integral_constantIbLb1EES1T_IbLb0EEEEDaS1P_S1Q_EUlS1P_E_NS1_11comp_targetILNS1_3genE4ELNS1_11target_archE910ELNS1_3gpuE8ELNS1_3repE0EEENS1_30default_config_static_selectorELNS0_4arch9wavefront6targetE0EEEvS12_ ; -- Begin function _ZN7rocprim17ROCPRIM_400000_NS6detail17trampoline_kernelINS0_13select_configILj256ELj13ELNS0_17block_load_methodE3ELS4_3ELS4_3ELNS0_20block_scan_algorithmE0ELj4294967295EEENS1_25partition_config_selectorILNS1_17partition_subalgoE4EjNS0_10empty_typeEbEEZZNS1_14partition_implILS8_4ELb0ES6_15HIP_vector_typeIjLj2EENS0_17counting_iteratorIjlEEPS9_SG_NS0_5tupleIJPjSI_NS0_16reverse_iteratorISI_EEEEENSH_IJSG_SG_SG_EEES9_SI_JZNS1_25segmented_radix_sort_implINS0_14default_configELb1EPKaPaPKlPlN2at6native12_GLOBAL__N_18offset_tEEE10hipError_tPvRmT1_PNSt15iterator_traitsIS12_E10value_typeET2_T3_PNS13_IS18_E10value_typeET4_jRbjT5_S1E_jjP12ihipStream_tbEUljE_ZNSN_ISO_Lb1ESQ_SR_ST_SU_SY_EESZ_S10_S11_S12_S16_S17_S18_S1B_S1C_jS1D_jS1E_S1E_jjS1G_bEUljE0_EEESZ_S10_S11_S18_S1C_S1E_T6_T7_T9_mT8_S1G_bDpT10_ENKUlT_T0_E_clISt17integral_constantIbLb1EES1T_IbLb0EEEEDaS1P_S1Q_EUlS1P_E_NS1_11comp_targetILNS1_3genE4ELNS1_11target_archE910ELNS1_3gpuE8ELNS1_3repE0EEENS1_30default_config_static_selectorELNS0_4arch9wavefront6targetE0EEEvS12_
	.p2align	8
	.type	_ZN7rocprim17ROCPRIM_400000_NS6detail17trampoline_kernelINS0_13select_configILj256ELj13ELNS0_17block_load_methodE3ELS4_3ELS4_3ELNS0_20block_scan_algorithmE0ELj4294967295EEENS1_25partition_config_selectorILNS1_17partition_subalgoE4EjNS0_10empty_typeEbEEZZNS1_14partition_implILS8_4ELb0ES6_15HIP_vector_typeIjLj2EENS0_17counting_iteratorIjlEEPS9_SG_NS0_5tupleIJPjSI_NS0_16reverse_iteratorISI_EEEEENSH_IJSG_SG_SG_EEES9_SI_JZNS1_25segmented_radix_sort_implINS0_14default_configELb1EPKaPaPKlPlN2at6native12_GLOBAL__N_18offset_tEEE10hipError_tPvRmT1_PNSt15iterator_traitsIS12_E10value_typeET2_T3_PNS13_IS18_E10value_typeET4_jRbjT5_S1E_jjP12ihipStream_tbEUljE_ZNSN_ISO_Lb1ESQ_SR_ST_SU_SY_EESZ_S10_S11_S12_S16_S17_S18_S1B_S1C_jS1D_jS1E_S1E_jjS1G_bEUljE0_EEESZ_S10_S11_S18_S1C_S1E_T6_T7_T9_mT8_S1G_bDpT10_ENKUlT_T0_E_clISt17integral_constantIbLb1EES1T_IbLb0EEEEDaS1P_S1Q_EUlS1P_E_NS1_11comp_targetILNS1_3genE4ELNS1_11target_archE910ELNS1_3gpuE8ELNS1_3repE0EEENS1_30default_config_static_selectorELNS0_4arch9wavefront6targetE0EEEvS12_,@function
_ZN7rocprim17ROCPRIM_400000_NS6detail17trampoline_kernelINS0_13select_configILj256ELj13ELNS0_17block_load_methodE3ELS4_3ELS4_3ELNS0_20block_scan_algorithmE0ELj4294967295EEENS1_25partition_config_selectorILNS1_17partition_subalgoE4EjNS0_10empty_typeEbEEZZNS1_14partition_implILS8_4ELb0ES6_15HIP_vector_typeIjLj2EENS0_17counting_iteratorIjlEEPS9_SG_NS0_5tupleIJPjSI_NS0_16reverse_iteratorISI_EEEEENSH_IJSG_SG_SG_EEES9_SI_JZNS1_25segmented_radix_sort_implINS0_14default_configELb1EPKaPaPKlPlN2at6native12_GLOBAL__N_18offset_tEEE10hipError_tPvRmT1_PNSt15iterator_traitsIS12_E10value_typeET2_T3_PNS13_IS18_E10value_typeET4_jRbjT5_S1E_jjP12ihipStream_tbEUljE_ZNSN_ISO_Lb1ESQ_SR_ST_SU_SY_EESZ_S10_S11_S12_S16_S17_S18_S1B_S1C_jS1D_jS1E_S1E_jjS1G_bEUljE0_EEESZ_S10_S11_S18_S1C_S1E_T6_T7_T9_mT8_S1G_bDpT10_ENKUlT_T0_E_clISt17integral_constantIbLb1EES1T_IbLb0EEEEDaS1P_S1Q_EUlS1P_E_NS1_11comp_targetILNS1_3genE4ELNS1_11target_archE910ELNS1_3gpuE8ELNS1_3repE0EEENS1_30default_config_static_selectorELNS0_4arch9wavefront6targetE0EEEvS12_: ; @_ZN7rocprim17ROCPRIM_400000_NS6detail17trampoline_kernelINS0_13select_configILj256ELj13ELNS0_17block_load_methodE3ELS4_3ELS4_3ELNS0_20block_scan_algorithmE0ELj4294967295EEENS1_25partition_config_selectorILNS1_17partition_subalgoE4EjNS0_10empty_typeEbEEZZNS1_14partition_implILS8_4ELb0ES6_15HIP_vector_typeIjLj2EENS0_17counting_iteratorIjlEEPS9_SG_NS0_5tupleIJPjSI_NS0_16reverse_iteratorISI_EEEEENSH_IJSG_SG_SG_EEES9_SI_JZNS1_25segmented_radix_sort_implINS0_14default_configELb1EPKaPaPKlPlN2at6native12_GLOBAL__N_18offset_tEEE10hipError_tPvRmT1_PNSt15iterator_traitsIS12_E10value_typeET2_T3_PNS13_IS18_E10value_typeET4_jRbjT5_S1E_jjP12ihipStream_tbEUljE_ZNSN_ISO_Lb1ESQ_SR_ST_SU_SY_EESZ_S10_S11_S12_S16_S17_S18_S1B_S1C_jS1D_jS1E_S1E_jjS1G_bEUljE0_EEESZ_S10_S11_S18_S1C_S1E_T6_T7_T9_mT8_S1G_bDpT10_ENKUlT_T0_E_clISt17integral_constantIbLb1EES1T_IbLb0EEEEDaS1P_S1Q_EUlS1P_E_NS1_11comp_targetILNS1_3genE4ELNS1_11target_archE910ELNS1_3gpuE8ELNS1_3repE0EEENS1_30default_config_static_selectorELNS0_4arch9wavefront6targetE0EEEvS12_
; %bb.0:
	.section	.rodata,"a",@progbits
	.p2align	6, 0x0
	.amdhsa_kernel _ZN7rocprim17ROCPRIM_400000_NS6detail17trampoline_kernelINS0_13select_configILj256ELj13ELNS0_17block_load_methodE3ELS4_3ELS4_3ELNS0_20block_scan_algorithmE0ELj4294967295EEENS1_25partition_config_selectorILNS1_17partition_subalgoE4EjNS0_10empty_typeEbEEZZNS1_14partition_implILS8_4ELb0ES6_15HIP_vector_typeIjLj2EENS0_17counting_iteratorIjlEEPS9_SG_NS0_5tupleIJPjSI_NS0_16reverse_iteratorISI_EEEEENSH_IJSG_SG_SG_EEES9_SI_JZNS1_25segmented_radix_sort_implINS0_14default_configELb1EPKaPaPKlPlN2at6native12_GLOBAL__N_18offset_tEEE10hipError_tPvRmT1_PNSt15iterator_traitsIS12_E10value_typeET2_T3_PNS13_IS18_E10value_typeET4_jRbjT5_S1E_jjP12ihipStream_tbEUljE_ZNSN_ISO_Lb1ESQ_SR_ST_SU_SY_EESZ_S10_S11_S12_S16_S17_S18_S1B_S1C_jS1D_jS1E_S1E_jjS1G_bEUljE0_EEESZ_S10_S11_S18_S1C_S1E_T6_T7_T9_mT8_S1G_bDpT10_ENKUlT_T0_E_clISt17integral_constantIbLb1EES1T_IbLb0EEEEDaS1P_S1Q_EUlS1P_E_NS1_11comp_targetILNS1_3genE4ELNS1_11target_archE910ELNS1_3gpuE8ELNS1_3repE0EEENS1_30default_config_static_selectorELNS0_4arch9wavefront6targetE0EEEvS12_
		.amdhsa_group_segment_fixed_size 0
		.amdhsa_private_segment_fixed_size 0
		.amdhsa_kernarg_size 176
		.amdhsa_user_sgpr_count 6
		.amdhsa_user_sgpr_private_segment_buffer 1
		.amdhsa_user_sgpr_dispatch_ptr 0
		.amdhsa_user_sgpr_queue_ptr 0
		.amdhsa_user_sgpr_kernarg_segment_ptr 1
		.amdhsa_user_sgpr_dispatch_id 0
		.amdhsa_user_sgpr_flat_scratch_init 0
		.amdhsa_user_sgpr_private_segment_size 0
		.amdhsa_wavefront_size32 1
		.amdhsa_uses_dynamic_stack 0
		.amdhsa_system_sgpr_private_segment_wavefront_offset 0
		.amdhsa_system_sgpr_workgroup_id_x 1
		.amdhsa_system_sgpr_workgroup_id_y 0
		.amdhsa_system_sgpr_workgroup_id_z 0
		.amdhsa_system_sgpr_workgroup_info 0
		.amdhsa_system_vgpr_workitem_id 0
		.amdhsa_next_free_vgpr 1
		.amdhsa_next_free_sgpr 1
		.amdhsa_reserve_vcc 0
		.amdhsa_reserve_flat_scratch 0
		.amdhsa_float_round_mode_32 0
		.amdhsa_float_round_mode_16_64 0
		.amdhsa_float_denorm_mode_32 3
		.amdhsa_float_denorm_mode_16_64 3
		.amdhsa_dx10_clamp 1
		.amdhsa_ieee_mode 1
		.amdhsa_fp16_overflow 0
		.amdhsa_workgroup_processor_mode 1
		.amdhsa_memory_ordered 1
		.amdhsa_forward_progress 1
		.amdhsa_shared_vgpr_count 0
		.amdhsa_exception_fp_ieee_invalid_op 0
		.amdhsa_exception_fp_denorm_src 0
		.amdhsa_exception_fp_ieee_div_zero 0
		.amdhsa_exception_fp_ieee_overflow 0
		.amdhsa_exception_fp_ieee_underflow 0
		.amdhsa_exception_fp_ieee_inexact 0
		.amdhsa_exception_int_div_zero 0
	.end_amdhsa_kernel
	.section	.text._ZN7rocprim17ROCPRIM_400000_NS6detail17trampoline_kernelINS0_13select_configILj256ELj13ELNS0_17block_load_methodE3ELS4_3ELS4_3ELNS0_20block_scan_algorithmE0ELj4294967295EEENS1_25partition_config_selectorILNS1_17partition_subalgoE4EjNS0_10empty_typeEbEEZZNS1_14partition_implILS8_4ELb0ES6_15HIP_vector_typeIjLj2EENS0_17counting_iteratorIjlEEPS9_SG_NS0_5tupleIJPjSI_NS0_16reverse_iteratorISI_EEEEENSH_IJSG_SG_SG_EEES9_SI_JZNS1_25segmented_radix_sort_implINS0_14default_configELb1EPKaPaPKlPlN2at6native12_GLOBAL__N_18offset_tEEE10hipError_tPvRmT1_PNSt15iterator_traitsIS12_E10value_typeET2_T3_PNS13_IS18_E10value_typeET4_jRbjT5_S1E_jjP12ihipStream_tbEUljE_ZNSN_ISO_Lb1ESQ_SR_ST_SU_SY_EESZ_S10_S11_S12_S16_S17_S18_S1B_S1C_jS1D_jS1E_S1E_jjS1G_bEUljE0_EEESZ_S10_S11_S18_S1C_S1E_T6_T7_T9_mT8_S1G_bDpT10_ENKUlT_T0_E_clISt17integral_constantIbLb1EES1T_IbLb0EEEEDaS1P_S1Q_EUlS1P_E_NS1_11comp_targetILNS1_3genE4ELNS1_11target_archE910ELNS1_3gpuE8ELNS1_3repE0EEENS1_30default_config_static_selectorELNS0_4arch9wavefront6targetE0EEEvS12_,"axG",@progbits,_ZN7rocprim17ROCPRIM_400000_NS6detail17trampoline_kernelINS0_13select_configILj256ELj13ELNS0_17block_load_methodE3ELS4_3ELS4_3ELNS0_20block_scan_algorithmE0ELj4294967295EEENS1_25partition_config_selectorILNS1_17partition_subalgoE4EjNS0_10empty_typeEbEEZZNS1_14partition_implILS8_4ELb0ES6_15HIP_vector_typeIjLj2EENS0_17counting_iteratorIjlEEPS9_SG_NS0_5tupleIJPjSI_NS0_16reverse_iteratorISI_EEEEENSH_IJSG_SG_SG_EEES9_SI_JZNS1_25segmented_radix_sort_implINS0_14default_configELb1EPKaPaPKlPlN2at6native12_GLOBAL__N_18offset_tEEE10hipError_tPvRmT1_PNSt15iterator_traitsIS12_E10value_typeET2_T3_PNS13_IS18_E10value_typeET4_jRbjT5_S1E_jjP12ihipStream_tbEUljE_ZNSN_ISO_Lb1ESQ_SR_ST_SU_SY_EESZ_S10_S11_S12_S16_S17_S18_S1B_S1C_jS1D_jS1E_S1E_jjS1G_bEUljE0_EEESZ_S10_S11_S18_S1C_S1E_T6_T7_T9_mT8_S1G_bDpT10_ENKUlT_T0_E_clISt17integral_constantIbLb1EES1T_IbLb0EEEEDaS1P_S1Q_EUlS1P_E_NS1_11comp_targetILNS1_3genE4ELNS1_11target_archE910ELNS1_3gpuE8ELNS1_3repE0EEENS1_30default_config_static_selectorELNS0_4arch9wavefront6targetE0EEEvS12_,comdat
.Lfunc_end242:
	.size	_ZN7rocprim17ROCPRIM_400000_NS6detail17trampoline_kernelINS0_13select_configILj256ELj13ELNS0_17block_load_methodE3ELS4_3ELS4_3ELNS0_20block_scan_algorithmE0ELj4294967295EEENS1_25partition_config_selectorILNS1_17partition_subalgoE4EjNS0_10empty_typeEbEEZZNS1_14partition_implILS8_4ELb0ES6_15HIP_vector_typeIjLj2EENS0_17counting_iteratorIjlEEPS9_SG_NS0_5tupleIJPjSI_NS0_16reverse_iteratorISI_EEEEENSH_IJSG_SG_SG_EEES9_SI_JZNS1_25segmented_radix_sort_implINS0_14default_configELb1EPKaPaPKlPlN2at6native12_GLOBAL__N_18offset_tEEE10hipError_tPvRmT1_PNSt15iterator_traitsIS12_E10value_typeET2_T3_PNS13_IS18_E10value_typeET4_jRbjT5_S1E_jjP12ihipStream_tbEUljE_ZNSN_ISO_Lb1ESQ_SR_ST_SU_SY_EESZ_S10_S11_S12_S16_S17_S18_S1B_S1C_jS1D_jS1E_S1E_jjS1G_bEUljE0_EEESZ_S10_S11_S18_S1C_S1E_T6_T7_T9_mT8_S1G_bDpT10_ENKUlT_T0_E_clISt17integral_constantIbLb1EES1T_IbLb0EEEEDaS1P_S1Q_EUlS1P_E_NS1_11comp_targetILNS1_3genE4ELNS1_11target_archE910ELNS1_3gpuE8ELNS1_3repE0EEENS1_30default_config_static_selectorELNS0_4arch9wavefront6targetE0EEEvS12_, .Lfunc_end242-_ZN7rocprim17ROCPRIM_400000_NS6detail17trampoline_kernelINS0_13select_configILj256ELj13ELNS0_17block_load_methodE3ELS4_3ELS4_3ELNS0_20block_scan_algorithmE0ELj4294967295EEENS1_25partition_config_selectorILNS1_17partition_subalgoE4EjNS0_10empty_typeEbEEZZNS1_14partition_implILS8_4ELb0ES6_15HIP_vector_typeIjLj2EENS0_17counting_iteratorIjlEEPS9_SG_NS0_5tupleIJPjSI_NS0_16reverse_iteratorISI_EEEEENSH_IJSG_SG_SG_EEES9_SI_JZNS1_25segmented_radix_sort_implINS0_14default_configELb1EPKaPaPKlPlN2at6native12_GLOBAL__N_18offset_tEEE10hipError_tPvRmT1_PNSt15iterator_traitsIS12_E10value_typeET2_T3_PNS13_IS18_E10value_typeET4_jRbjT5_S1E_jjP12ihipStream_tbEUljE_ZNSN_ISO_Lb1ESQ_SR_ST_SU_SY_EESZ_S10_S11_S12_S16_S17_S18_S1B_S1C_jS1D_jS1E_S1E_jjS1G_bEUljE0_EEESZ_S10_S11_S18_S1C_S1E_T6_T7_T9_mT8_S1G_bDpT10_ENKUlT_T0_E_clISt17integral_constantIbLb1EES1T_IbLb0EEEEDaS1P_S1Q_EUlS1P_E_NS1_11comp_targetILNS1_3genE4ELNS1_11target_archE910ELNS1_3gpuE8ELNS1_3repE0EEENS1_30default_config_static_selectorELNS0_4arch9wavefront6targetE0EEEvS12_
                                        ; -- End function
	.set _ZN7rocprim17ROCPRIM_400000_NS6detail17trampoline_kernelINS0_13select_configILj256ELj13ELNS0_17block_load_methodE3ELS4_3ELS4_3ELNS0_20block_scan_algorithmE0ELj4294967295EEENS1_25partition_config_selectorILNS1_17partition_subalgoE4EjNS0_10empty_typeEbEEZZNS1_14partition_implILS8_4ELb0ES6_15HIP_vector_typeIjLj2EENS0_17counting_iteratorIjlEEPS9_SG_NS0_5tupleIJPjSI_NS0_16reverse_iteratorISI_EEEEENSH_IJSG_SG_SG_EEES9_SI_JZNS1_25segmented_radix_sort_implINS0_14default_configELb1EPKaPaPKlPlN2at6native12_GLOBAL__N_18offset_tEEE10hipError_tPvRmT1_PNSt15iterator_traitsIS12_E10value_typeET2_T3_PNS13_IS18_E10value_typeET4_jRbjT5_S1E_jjP12ihipStream_tbEUljE_ZNSN_ISO_Lb1ESQ_SR_ST_SU_SY_EESZ_S10_S11_S12_S16_S17_S18_S1B_S1C_jS1D_jS1E_S1E_jjS1G_bEUljE0_EEESZ_S10_S11_S18_S1C_S1E_T6_T7_T9_mT8_S1G_bDpT10_ENKUlT_T0_E_clISt17integral_constantIbLb1EES1T_IbLb0EEEEDaS1P_S1Q_EUlS1P_E_NS1_11comp_targetILNS1_3genE4ELNS1_11target_archE910ELNS1_3gpuE8ELNS1_3repE0EEENS1_30default_config_static_selectorELNS0_4arch9wavefront6targetE0EEEvS12_.num_vgpr, 0
	.set _ZN7rocprim17ROCPRIM_400000_NS6detail17trampoline_kernelINS0_13select_configILj256ELj13ELNS0_17block_load_methodE3ELS4_3ELS4_3ELNS0_20block_scan_algorithmE0ELj4294967295EEENS1_25partition_config_selectorILNS1_17partition_subalgoE4EjNS0_10empty_typeEbEEZZNS1_14partition_implILS8_4ELb0ES6_15HIP_vector_typeIjLj2EENS0_17counting_iteratorIjlEEPS9_SG_NS0_5tupleIJPjSI_NS0_16reverse_iteratorISI_EEEEENSH_IJSG_SG_SG_EEES9_SI_JZNS1_25segmented_radix_sort_implINS0_14default_configELb1EPKaPaPKlPlN2at6native12_GLOBAL__N_18offset_tEEE10hipError_tPvRmT1_PNSt15iterator_traitsIS12_E10value_typeET2_T3_PNS13_IS18_E10value_typeET4_jRbjT5_S1E_jjP12ihipStream_tbEUljE_ZNSN_ISO_Lb1ESQ_SR_ST_SU_SY_EESZ_S10_S11_S12_S16_S17_S18_S1B_S1C_jS1D_jS1E_S1E_jjS1G_bEUljE0_EEESZ_S10_S11_S18_S1C_S1E_T6_T7_T9_mT8_S1G_bDpT10_ENKUlT_T0_E_clISt17integral_constantIbLb1EES1T_IbLb0EEEEDaS1P_S1Q_EUlS1P_E_NS1_11comp_targetILNS1_3genE4ELNS1_11target_archE910ELNS1_3gpuE8ELNS1_3repE0EEENS1_30default_config_static_selectorELNS0_4arch9wavefront6targetE0EEEvS12_.num_agpr, 0
	.set _ZN7rocprim17ROCPRIM_400000_NS6detail17trampoline_kernelINS0_13select_configILj256ELj13ELNS0_17block_load_methodE3ELS4_3ELS4_3ELNS0_20block_scan_algorithmE0ELj4294967295EEENS1_25partition_config_selectorILNS1_17partition_subalgoE4EjNS0_10empty_typeEbEEZZNS1_14partition_implILS8_4ELb0ES6_15HIP_vector_typeIjLj2EENS0_17counting_iteratorIjlEEPS9_SG_NS0_5tupleIJPjSI_NS0_16reverse_iteratorISI_EEEEENSH_IJSG_SG_SG_EEES9_SI_JZNS1_25segmented_radix_sort_implINS0_14default_configELb1EPKaPaPKlPlN2at6native12_GLOBAL__N_18offset_tEEE10hipError_tPvRmT1_PNSt15iterator_traitsIS12_E10value_typeET2_T3_PNS13_IS18_E10value_typeET4_jRbjT5_S1E_jjP12ihipStream_tbEUljE_ZNSN_ISO_Lb1ESQ_SR_ST_SU_SY_EESZ_S10_S11_S12_S16_S17_S18_S1B_S1C_jS1D_jS1E_S1E_jjS1G_bEUljE0_EEESZ_S10_S11_S18_S1C_S1E_T6_T7_T9_mT8_S1G_bDpT10_ENKUlT_T0_E_clISt17integral_constantIbLb1EES1T_IbLb0EEEEDaS1P_S1Q_EUlS1P_E_NS1_11comp_targetILNS1_3genE4ELNS1_11target_archE910ELNS1_3gpuE8ELNS1_3repE0EEENS1_30default_config_static_selectorELNS0_4arch9wavefront6targetE0EEEvS12_.numbered_sgpr, 0
	.set _ZN7rocprim17ROCPRIM_400000_NS6detail17trampoline_kernelINS0_13select_configILj256ELj13ELNS0_17block_load_methodE3ELS4_3ELS4_3ELNS0_20block_scan_algorithmE0ELj4294967295EEENS1_25partition_config_selectorILNS1_17partition_subalgoE4EjNS0_10empty_typeEbEEZZNS1_14partition_implILS8_4ELb0ES6_15HIP_vector_typeIjLj2EENS0_17counting_iteratorIjlEEPS9_SG_NS0_5tupleIJPjSI_NS0_16reverse_iteratorISI_EEEEENSH_IJSG_SG_SG_EEES9_SI_JZNS1_25segmented_radix_sort_implINS0_14default_configELb1EPKaPaPKlPlN2at6native12_GLOBAL__N_18offset_tEEE10hipError_tPvRmT1_PNSt15iterator_traitsIS12_E10value_typeET2_T3_PNS13_IS18_E10value_typeET4_jRbjT5_S1E_jjP12ihipStream_tbEUljE_ZNSN_ISO_Lb1ESQ_SR_ST_SU_SY_EESZ_S10_S11_S12_S16_S17_S18_S1B_S1C_jS1D_jS1E_S1E_jjS1G_bEUljE0_EEESZ_S10_S11_S18_S1C_S1E_T6_T7_T9_mT8_S1G_bDpT10_ENKUlT_T0_E_clISt17integral_constantIbLb1EES1T_IbLb0EEEEDaS1P_S1Q_EUlS1P_E_NS1_11comp_targetILNS1_3genE4ELNS1_11target_archE910ELNS1_3gpuE8ELNS1_3repE0EEENS1_30default_config_static_selectorELNS0_4arch9wavefront6targetE0EEEvS12_.num_named_barrier, 0
	.set _ZN7rocprim17ROCPRIM_400000_NS6detail17trampoline_kernelINS0_13select_configILj256ELj13ELNS0_17block_load_methodE3ELS4_3ELS4_3ELNS0_20block_scan_algorithmE0ELj4294967295EEENS1_25partition_config_selectorILNS1_17partition_subalgoE4EjNS0_10empty_typeEbEEZZNS1_14partition_implILS8_4ELb0ES6_15HIP_vector_typeIjLj2EENS0_17counting_iteratorIjlEEPS9_SG_NS0_5tupleIJPjSI_NS0_16reverse_iteratorISI_EEEEENSH_IJSG_SG_SG_EEES9_SI_JZNS1_25segmented_radix_sort_implINS0_14default_configELb1EPKaPaPKlPlN2at6native12_GLOBAL__N_18offset_tEEE10hipError_tPvRmT1_PNSt15iterator_traitsIS12_E10value_typeET2_T3_PNS13_IS18_E10value_typeET4_jRbjT5_S1E_jjP12ihipStream_tbEUljE_ZNSN_ISO_Lb1ESQ_SR_ST_SU_SY_EESZ_S10_S11_S12_S16_S17_S18_S1B_S1C_jS1D_jS1E_S1E_jjS1G_bEUljE0_EEESZ_S10_S11_S18_S1C_S1E_T6_T7_T9_mT8_S1G_bDpT10_ENKUlT_T0_E_clISt17integral_constantIbLb1EES1T_IbLb0EEEEDaS1P_S1Q_EUlS1P_E_NS1_11comp_targetILNS1_3genE4ELNS1_11target_archE910ELNS1_3gpuE8ELNS1_3repE0EEENS1_30default_config_static_selectorELNS0_4arch9wavefront6targetE0EEEvS12_.private_seg_size, 0
	.set _ZN7rocprim17ROCPRIM_400000_NS6detail17trampoline_kernelINS0_13select_configILj256ELj13ELNS0_17block_load_methodE3ELS4_3ELS4_3ELNS0_20block_scan_algorithmE0ELj4294967295EEENS1_25partition_config_selectorILNS1_17partition_subalgoE4EjNS0_10empty_typeEbEEZZNS1_14partition_implILS8_4ELb0ES6_15HIP_vector_typeIjLj2EENS0_17counting_iteratorIjlEEPS9_SG_NS0_5tupleIJPjSI_NS0_16reverse_iteratorISI_EEEEENSH_IJSG_SG_SG_EEES9_SI_JZNS1_25segmented_radix_sort_implINS0_14default_configELb1EPKaPaPKlPlN2at6native12_GLOBAL__N_18offset_tEEE10hipError_tPvRmT1_PNSt15iterator_traitsIS12_E10value_typeET2_T3_PNS13_IS18_E10value_typeET4_jRbjT5_S1E_jjP12ihipStream_tbEUljE_ZNSN_ISO_Lb1ESQ_SR_ST_SU_SY_EESZ_S10_S11_S12_S16_S17_S18_S1B_S1C_jS1D_jS1E_S1E_jjS1G_bEUljE0_EEESZ_S10_S11_S18_S1C_S1E_T6_T7_T9_mT8_S1G_bDpT10_ENKUlT_T0_E_clISt17integral_constantIbLb1EES1T_IbLb0EEEEDaS1P_S1Q_EUlS1P_E_NS1_11comp_targetILNS1_3genE4ELNS1_11target_archE910ELNS1_3gpuE8ELNS1_3repE0EEENS1_30default_config_static_selectorELNS0_4arch9wavefront6targetE0EEEvS12_.uses_vcc, 0
	.set _ZN7rocprim17ROCPRIM_400000_NS6detail17trampoline_kernelINS0_13select_configILj256ELj13ELNS0_17block_load_methodE3ELS4_3ELS4_3ELNS0_20block_scan_algorithmE0ELj4294967295EEENS1_25partition_config_selectorILNS1_17partition_subalgoE4EjNS0_10empty_typeEbEEZZNS1_14partition_implILS8_4ELb0ES6_15HIP_vector_typeIjLj2EENS0_17counting_iteratorIjlEEPS9_SG_NS0_5tupleIJPjSI_NS0_16reverse_iteratorISI_EEEEENSH_IJSG_SG_SG_EEES9_SI_JZNS1_25segmented_radix_sort_implINS0_14default_configELb1EPKaPaPKlPlN2at6native12_GLOBAL__N_18offset_tEEE10hipError_tPvRmT1_PNSt15iterator_traitsIS12_E10value_typeET2_T3_PNS13_IS18_E10value_typeET4_jRbjT5_S1E_jjP12ihipStream_tbEUljE_ZNSN_ISO_Lb1ESQ_SR_ST_SU_SY_EESZ_S10_S11_S12_S16_S17_S18_S1B_S1C_jS1D_jS1E_S1E_jjS1G_bEUljE0_EEESZ_S10_S11_S18_S1C_S1E_T6_T7_T9_mT8_S1G_bDpT10_ENKUlT_T0_E_clISt17integral_constantIbLb1EES1T_IbLb0EEEEDaS1P_S1Q_EUlS1P_E_NS1_11comp_targetILNS1_3genE4ELNS1_11target_archE910ELNS1_3gpuE8ELNS1_3repE0EEENS1_30default_config_static_selectorELNS0_4arch9wavefront6targetE0EEEvS12_.uses_flat_scratch, 0
	.set _ZN7rocprim17ROCPRIM_400000_NS6detail17trampoline_kernelINS0_13select_configILj256ELj13ELNS0_17block_load_methodE3ELS4_3ELS4_3ELNS0_20block_scan_algorithmE0ELj4294967295EEENS1_25partition_config_selectorILNS1_17partition_subalgoE4EjNS0_10empty_typeEbEEZZNS1_14partition_implILS8_4ELb0ES6_15HIP_vector_typeIjLj2EENS0_17counting_iteratorIjlEEPS9_SG_NS0_5tupleIJPjSI_NS0_16reverse_iteratorISI_EEEEENSH_IJSG_SG_SG_EEES9_SI_JZNS1_25segmented_radix_sort_implINS0_14default_configELb1EPKaPaPKlPlN2at6native12_GLOBAL__N_18offset_tEEE10hipError_tPvRmT1_PNSt15iterator_traitsIS12_E10value_typeET2_T3_PNS13_IS18_E10value_typeET4_jRbjT5_S1E_jjP12ihipStream_tbEUljE_ZNSN_ISO_Lb1ESQ_SR_ST_SU_SY_EESZ_S10_S11_S12_S16_S17_S18_S1B_S1C_jS1D_jS1E_S1E_jjS1G_bEUljE0_EEESZ_S10_S11_S18_S1C_S1E_T6_T7_T9_mT8_S1G_bDpT10_ENKUlT_T0_E_clISt17integral_constantIbLb1EES1T_IbLb0EEEEDaS1P_S1Q_EUlS1P_E_NS1_11comp_targetILNS1_3genE4ELNS1_11target_archE910ELNS1_3gpuE8ELNS1_3repE0EEENS1_30default_config_static_selectorELNS0_4arch9wavefront6targetE0EEEvS12_.has_dyn_sized_stack, 0
	.set _ZN7rocprim17ROCPRIM_400000_NS6detail17trampoline_kernelINS0_13select_configILj256ELj13ELNS0_17block_load_methodE3ELS4_3ELS4_3ELNS0_20block_scan_algorithmE0ELj4294967295EEENS1_25partition_config_selectorILNS1_17partition_subalgoE4EjNS0_10empty_typeEbEEZZNS1_14partition_implILS8_4ELb0ES6_15HIP_vector_typeIjLj2EENS0_17counting_iteratorIjlEEPS9_SG_NS0_5tupleIJPjSI_NS0_16reverse_iteratorISI_EEEEENSH_IJSG_SG_SG_EEES9_SI_JZNS1_25segmented_radix_sort_implINS0_14default_configELb1EPKaPaPKlPlN2at6native12_GLOBAL__N_18offset_tEEE10hipError_tPvRmT1_PNSt15iterator_traitsIS12_E10value_typeET2_T3_PNS13_IS18_E10value_typeET4_jRbjT5_S1E_jjP12ihipStream_tbEUljE_ZNSN_ISO_Lb1ESQ_SR_ST_SU_SY_EESZ_S10_S11_S12_S16_S17_S18_S1B_S1C_jS1D_jS1E_S1E_jjS1G_bEUljE0_EEESZ_S10_S11_S18_S1C_S1E_T6_T7_T9_mT8_S1G_bDpT10_ENKUlT_T0_E_clISt17integral_constantIbLb1EES1T_IbLb0EEEEDaS1P_S1Q_EUlS1P_E_NS1_11comp_targetILNS1_3genE4ELNS1_11target_archE910ELNS1_3gpuE8ELNS1_3repE0EEENS1_30default_config_static_selectorELNS0_4arch9wavefront6targetE0EEEvS12_.has_recursion, 0
	.set _ZN7rocprim17ROCPRIM_400000_NS6detail17trampoline_kernelINS0_13select_configILj256ELj13ELNS0_17block_load_methodE3ELS4_3ELS4_3ELNS0_20block_scan_algorithmE0ELj4294967295EEENS1_25partition_config_selectorILNS1_17partition_subalgoE4EjNS0_10empty_typeEbEEZZNS1_14partition_implILS8_4ELb0ES6_15HIP_vector_typeIjLj2EENS0_17counting_iteratorIjlEEPS9_SG_NS0_5tupleIJPjSI_NS0_16reverse_iteratorISI_EEEEENSH_IJSG_SG_SG_EEES9_SI_JZNS1_25segmented_radix_sort_implINS0_14default_configELb1EPKaPaPKlPlN2at6native12_GLOBAL__N_18offset_tEEE10hipError_tPvRmT1_PNSt15iterator_traitsIS12_E10value_typeET2_T3_PNS13_IS18_E10value_typeET4_jRbjT5_S1E_jjP12ihipStream_tbEUljE_ZNSN_ISO_Lb1ESQ_SR_ST_SU_SY_EESZ_S10_S11_S12_S16_S17_S18_S1B_S1C_jS1D_jS1E_S1E_jjS1G_bEUljE0_EEESZ_S10_S11_S18_S1C_S1E_T6_T7_T9_mT8_S1G_bDpT10_ENKUlT_T0_E_clISt17integral_constantIbLb1EES1T_IbLb0EEEEDaS1P_S1Q_EUlS1P_E_NS1_11comp_targetILNS1_3genE4ELNS1_11target_archE910ELNS1_3gpuE8ELNS1_3repE0EEENS1_30default_config_static_selectorELNS0_4arch9wavefront6targetE0EEEvS12_.has_indirect_call, 0
	.section	.AMDGPU.csdata,"",@progbits
; Kernel info:
; codeLenInByte = 0
; TotalNumSgprs: 0
; NumVgprs: 0
; ScratchSize: 0
; MemoryBound: 0
; FloatMode: 240
; IeeeMode: 1
; LDSByteSize: 0 bytes/workgroup (compile time only)
; SGPRBlocks: 0
; VGPRBlocks: 0
; NumSGPRsForWavesPerEU: 1
; NumVGPRsForWavesPerEU: 1
; Occupancy: 16
; WaveLimiterHint : 0
; COMPUTE_PGM_RSRC2:SCRATCH_EN: 0
; COMPUTE_PGM_RSRC2:USER_SGPR: 6
; COMPUTE_PGM_RSRC2:TRAP_HANDLER: 0
; COMPUTE_PGM_RSRC2:TGID_X_EN: 1
; COMPUTE_PGM_RSRC2:TGID_Y_EN: 0
; COMPUTE_PGM_RSRC2:TGID_Z_EN: 0
; COMPUTE_PGM_RSRC2:TIDIG_COMP_CNT: 0
	.section	.text._ZN7rocprim17ROCPRIM_400000_NS6detail17trampoline_kernelINS0_13select_configILj256ELj13ELNS0_17block_load_methodE3ELS4_3ELS4_3ELNS0_20block_scan_algorithmE0ELj4294967295EEENS1_25partition_config_selectorILNS1_17partition_subalgoE4EjNS0_10empty_typeEbEEZZNS1_14partition_implILS8_4ELb0ES6_15HIP_vector_typeIjLj2EENS0_17counting_iteratorIjlEEPS9_SG_NS0_5tupleIJPjSI_NS0_16reverse_iteratorISI_EEEEENSH_IJSG_SG_SG_EEES9_SI_JZNS1_25segmented_radix_sort_implINS0_14default_configELb1EPKaPaPKlPlN2at6native12_GLOBAL__N_18offset_tEEE10hipError_tPvRmT1_PNSt15iterator_traitsIS12_E10value_typeET2_T3_PNS13_IS18_E10value_typeET4_jRbjT5_S1E_jjP12ihipStream_tbEUljE_ZNSN_ISO_Lb1ESQ_SR_ST_SU_SY_EESZ_S10_S11_S12_S16_S17_S18_S1B_S1C_jS1D_jS1E_S1E_jjS1G_bEUljE0_EEESZ_S10_S11_S18_S1C_S1E_T6_T7_T9_mT8_S1G_bDpT10_ENKUlT_T0_E_clISt17integral_constantIbLb1EES1T_IbLb0EEEEDaS1P_S1Q_EUlS1P_E_NS1_11comp_targetILNS1_3genE3ELNS1_11target_archE908ELNS1_3gpuE7ELNS1_3repE0EEENS1_30default_config_static_selectorELNS0_4arch9wavefront6targetE0EEEvS12_,"axG",@progbits,_ZN7rocprim17ROCPRIM_400000_NS6detail17trampoline_kernelINS0_13select_configILj256ELj13ELNS0_17block_load_methodE3ELS4_3ELS4_3ELNS0_20block_scan_algorithmE0ELj4294967295EEENS1_25partition_config_selectorILNS1_17partition_subalgoE4EjNS0_10empty_typeEbEEZZNS1_14partition_implILS8_4ELb0ES6_15HIP_vector_typeIjLj2EENS0_17counting_iteratorIjlEEPS9_SG_NS0_5tupleIJPjSI_NS0_16reverse_iteratorISI_EEEEENSH_IJSG_SG_SG_EEES9_SI_JZNS1_25segmented_radix_sort_implINS0_14default_configELb1EPKaPaPKlPlN2at6native12_GLOBAL__N_18offset_tEEE10hipError_tPvRmT1_PNSt15iterator_traitsIS12_E10value_typeET2_T3_PNS13_IS18_E10value_typeET4_jRbjT5_S1E_jjP12ihipStream_tbEUljE_ZNSN_ISO_Lb1ESQ_SR_ST_SU_SY_EESZ_S10_S11_S12_S16_S17_S18_S1B_S1C_jS1D_jS1E_S1E_jjS1G_bEUljE0_EEESZ_S10_S11_S18_S1C_S1E_T6_T7_T9_mT8_S1G_bDpT10_ENKUlT_T0_E_clISt17integral_constantIbLb1EES1T_IbLb0EEEEDaS1P_S1Q_EUlS1P_E_NS1_11comp_targetILNS1_3genE3ELNS1_11target_archE908ELNS1_3gpuE7ELNS1_3repE0EEENS1_30default_config_static_selectorELNS0_4arch9wavefront6targetE0EEEvS12_,comdat
	.globl	_ZN7rocprim17ROCPRIM_400000_NS6detail17trampoline_kernelINS0_13select_configILj256ELj13ELNS0_17block_load_methodE3ELS4_3ELS4_3ELNS0_20block_scan_algorithmE0ELj4294967295EEENS1_25partition_config_selectorILNS1_17partition_subalgoE4EjNS0_10empty_typeEbEEZZNS1_14partition_implILS8_4ELb0ES6_15HIP_vector_typeIjLj2EENS0_17counting_iteratorIjlEEPS9_SG_NS0_5tupleIJPjSI_NS0_16reverse_iteratorISI_EEEEENSH_IJSG_SG_SG_EEES9_SI_JZNS1_25segmented_radix_sort_implINS0_14default_configELb1EPKaPaPKlPlN2at6native12_GLOBAL__N_18offset_tEEE10hipError_tPvRmT1_PNSt15iterator_traitsIS12_E10value_typeET2_T3_PNS13_IS18_E10value_typeET4_jRbjT5_S1E_jjP12ihipStream_tbEUljE_ZNSN_ISO_Lb1ESQ_SR_ST_SU_SY_EESZ_S10_S11_S12_S16_S17_S18_S1B_S1C_jS1D_jS1E_S1E_jjS1G_bEUljE0_EEESZ_S10_S11_S18_S1C_S1E_T6_T7_T9_mT8_S1G_bDpT10_ENKUlT_T0_E_clISt17integral_constantIbLb1EES1T_IbLb0EEEEDaS1P_S1Q_EUlS1P_E_NS1_11comp_targetILNS1_3genE3ELNS1_11target_archE908ELNS1_3gpuE7ELNS1_3repE0EEENS1_30default_config_static_selectorELNS0_4arch9wavefront6targetE0EEEvS12_ ; -- Begin function _ZN7rocprim17ROCPRIM_400000_NS6detail17trampoline_kernelINS0_13select_configILj256ELj13ELNS0_17block_load_methodE3ELS4_3ELS4_3ELNS0_20block_scan_algorithmE0ELj4294967295EEENS1_25partition_config_selectorILNS1_17partition_subalgoE4EjNS0_10empty_typeEbEEZZNS1_14partition_implILS8_4ELb0ES6_15HIP_vector_typeIjLj2EENS0_17counting_iteratorIjlEEPS9_SG_NS0_5tupleIJPjSI_NS0_16reverse_iteratorISI_EEEEENSH_IJSG_SG_SG_EEES9_SI_JZNS1_25segmented_radix_sort_implINS0_14default_configELb1EPKaPaPKlPlN2at6native12_GLOBAL__N_18offset_tEEE10hipError_tPvRmT1_PNSt15iterator_traitsIS12_E10value_typeET2_T3_PNS13_IS18_E10value_typeET4_jRbjT5_S1E_jjP12ihipStream_tbEUljE_ZNSN_ISO_Lb1ESQ_SR_ST_SU_SY_EESZ_S10_S11_S12_S16_S17_S18_S1B_S1C_jS1D_jS1E_S1E_jjS1G_bEUljE0_EEESZ_S10_S11_S18_S1C_S1E_T6_T7_T9_mT8_S1G_bDpT10_ENKUlT_T0_E_clISt17integral_constantIbLb1EES1T_IbLb0EEEEDaS1P_S1Q_EUlS1P_E_NS1_11comp_targetILNS1_3genE3ELNS1_11target_archE908ELNS1_3gpuE7ELNS1_3repE0EEENS1_30default_config_static_selectorELNS0_4arch9wavefront6targetE0EEEvS12_
	.p2align	8
	.type	_ZN7rocprim17ROCPRIM_400000_NS6detail17trampoline_kernelINS0_13select_configILj256ELj13ELNS0_17block_load_methodE3ELS4_3ELS4_3ELNS0_20block_scan_algorithmE0ELj4294967295EEENS1_25partition_config_selectorILNS1_17partition_subalgoE4EjNS0_10empty_typeEbEEZZNS1_14partition_implILS8_4ELb0ES6_15HIP_vector_typeIjLj2EENS0_17counting_iteratorIjlEEPS9_SG_NS0_5tupleIJPjSI_NS0_16reverse_iteratorISI_EEEEENSH_IJSG_SG_SG_EEES9_SI_JZNS1_25segmented_radix_sort_implINS0_14default_configELb1EPKaPaPKlPlN2at6native12_GLOBAL__N_18offset_tEEE10hipError_tPvRmT1_PNSt15iterator_traitsIS12_E10value_typeET2_T3_PNS13_IS18_E10value_typeET4_jRbjT5_S1E_jjP12ihipStream_tbEUljE_ZNSN_ISO_Lb1ESQ_SR_ST_SU_SY_EESZ_S10_S11_S12_S16_S17_S18_S1B_S1C_jS1D_jS1E_S1E_jjS1G_bEUljE0_EEESZ_S10_S11_S18_S1C_S1E_T6_T7_T9_mT8_S1G_bDpT10_ENKUlT_T0_E_clISt17integral_constantIbLb1EES1T_IbLb0EEEEDaS1P_S1Q_EUlS1P_E_NS1_11comp_targetILNS1_3genE3ELNS1_11target_archE908ELNS1_3gpuE7ELNS1_3repE0EEENS1_30default_config_static_selectorELNS0_4arch9wavefront6targetE0EEEvS12_,@function
_ZN7rocprim17ROCPRIM_400000_NS6detail17trampoline_kernelINS0_13select_configILj256ELj13ELNS0_17block_load_methodE3ELS4_3ELS4_3ELNS0_20block_scan_algorithmE0ELj4294967295EEENS1_25partition_config_selectorILNS1_17partition_subalgoE4EjNS0_10empty_typeEbEEZZNS1_14partition_implILS8_4ELb0ES6_15HIP_vector_typeIjLj2EENS0_17counting_iteratorIjlEEPS9_SG_NS0_5tupleIJPjSI_NS0_16reverse_iteratorISI_EEEEENSH_IJSG_SG_SG_EEES9_SI_JZNS1_25segmented_radix_sort_implINS0_14default_configELb1EPKaPaPKlPlN2at6native12_GLOBAL__N_18offset_tEEE10hipError_tPvRmT1_PNSt15iterator_traitsIS12_E10value_typeET2_T3_PNS13_IS18_E10value_typeET4_jRbjT5_S1E_jjP12ihipStream_tbEUljE_ZNSN_ISO_Lb1ESQ_SR_ST_SU_SY_EESZ_S10_S11_S12_S16_S17_S18_S1B_S1C_jS1D_jS1E_S1E_jjS1G_bEUljE0_EEESZ_S10_S11_S18_S1C_S1E_T6_T7_T9_mT8_S1G_bDpT10_ENKUlT_T0_E_clISt17integral_constantIbLb1EES1T_IbLb0EEEEDaS1P_S1Q_EUlS1P_E_NS1_11comp_targetILNS1_3genE3ELNS1_11target_archE908ELNS1_3gpuE7ELNS1_3repE0EEENS1_30default_config_static_selectorELNS0_4arch9wavefront6targetE0EEEvS12_: ; @_ZN7rocprim17ROCPRIM_400000_NS6detail17trampoline_kernelINS0_13select_configILj256ELj13ELNS0_17block_load_methodE3ELS4_3ELS4_3ELNS0_20block_scan_algorithmE0ELj4294967295EEENS1_25partition_config_selectorILNS1_17partition_subalgoE4EjNS0_10empty_typeEbEEZZNS1_14partition_implILS8_4ELb0ES6_15HIP_vector_typeIjLj2EENS0_17counting_iteratorIjlEEPS9_SG_NS0_5tupleIJPjSI_NS0_16reverse_iteratorISI_EEEEENSH_IJSG_SG_SG_EEES9_SI_JZNS1_25segmented_radix_sort_implINS0_14default_configELb1EPKaPaPKlPlN2at6native12_GLOBAL__N_18offset_tEEE10hipError_tPvRmT1_PNSt15iterator_traitsIS12_E10value_typeET2_T3_PNS13_IS18_E10value_typeET4_jRbjT5_S1E_jjP12ihipStream_tbEUljE_ZNSN_ISO_Lb1ESQ_SR_ST_SU_SY_EESZ_S10_S11_S12_S16_S17_S18_S1B_S1C_jS1D_jS1E_S1E_jjS1G_bEUljE0_EEESZ_S10_S11_S18_S1C_S1E_T6_T7_T9_mT8_S1G_bDpT10_ENKUlT_T0_E_clISt17integral_constantIbLb1EES1T_IbLb0EEEEDaS1P_S1Q_EUlS1P_E_NS1_11comp_targetILNS1_3genE3ELNS1_11target_archE908ELNS1_3gpuE7ELNS1_3repE0EEENS1_30default_config_static_selectorELNS0_4arch9wavefront6targetE0EEEvS12_
; %bb.0:
	.section	.rodata,"a",@progbits
	.p2align	6, 0x0
	.amdhsa_kernel _ZN7rocprim17ROCPRIM_400000_NS6detail17trampoline_kernelINS0_13select_configILj256ELj13ELNS0_17block_load_methodE3ELS4_3ELS4_3ELNS0_20block_scan_algorithmE0ELj4294967295EEENS1_25partition_config_selectorILNS1_17partition_subalgoE4EjNS0_10empty_typeEbEEZZNS1_14partition_implILS8_4ELb0ES6_15HIP_vector_typeIjLj2EENS0_17counting_iteratorIjlEEPS9_SG_NS0_5tupleIJPjSI_NS0_16reverse_iteratorISI_EEEEENSH_IJSG_SG_SG_EEES9_SI_JZNS1_25segmented_radix_sort_implINS0_14default_configELb1EPKaPaPKlPlN2at6native12_GLOBAL__N_18offset_tEEE10hipError_tPvRmT1_PNSt15iterator_traitsIS12_E10value_typeET2_T3_PNS13_IS18_E10value_typeET4_jRbjT5_S1E_jjP12ihipStream_tbEUljE_ZNSN_ISO_Lb1ESQ_SR_ST_SU_SY_EESZ_S10_S11_S12_S16_S17_S18_S1B_S1C_jS1D_jS1E_S1E_jjS1G_bEUljE0_EEESZ_S10_S11_S18_S1C_S1E_T6_T7_T9_mT8_S1G_bDpT10_ENKUlT_T0_E_clISt17integral_constantIbLb1EES1T_IbLb0EEEEDaS1P_S1Q_EUlS1P_E_NS1_11comp_targetILNS1_3genE3ELNS1_11target_archE908ELNS1_3gpuE7ELNS1_3repE0EEENS1_30default_config_static_selectorELNS0_4arch9wavefront6targetE0EEEvS12_
		.amdhsa_group_segment_fixed_size 0
		.amdhsa_private_segment_fixed_size 0
		.amdhsa_kernarg_size 176
		.amdhsa_user_sgpr_count 6
		.amdhsa_user_sgpr_private_segment_buffer 1
		.amdhsa_user_sgpr_dispatch_ptr 0
		.amdhsa_user_sgpr_queue_ptr 0
		.amdhsa_user_sgpr_kernarg_segment_ptr 1
		.amdhsa_user_sgpr_dispatch_id 0
		.amdhsa_user_sgpr_flat_scratch_init 0
		.amdhsa_user_sgpr_private_segment_size 0
		.amdhsa_wavefront_size32 1
		.amdhsa_uses_dynamic_stack 0
		.amdhsa_system_sgpr_private_segment_wavefront_offset 0
		.amdhsa_system_sgpr_workgroup_id_x 1
		.amdhsa_system_sgpr_workgroup_id_y 0
		.amdhsa_system_sgpr_workgroup_id_z 0
		.amdhsa_system_sgpr_workgroup_info 0
		.amdhsa_system_vgpr_workitem_id 0
		.amdhsa_next_free_vgpr 1
		.amdhsa_next_free_sgpr 1
		.amdhsa_reserve_vcc 0
		.amdhsa_reserve_flat_scratch 0
		.amdhsa_float_round_mode_32 0
		.amdhsa_float_round_mode_16_64 0
		.amdhsa_float_denorm_mode_32 3
		.amdhsa_float_denorm_mode_16_64 3
		.amdhsa_dx10_clamp 1
		.amdhsa_ieee_mode 1
		.amdhsa_fp16_overflow 0
		.amdhsa_workgroup_processor_mode 1
		.amdhsa_memory_ordered 1
		.amdhsa_forward_progress 1
		.amdhsa_shared_vgpr_count 0
		.amdhsa_exception_fp_ieee_invalid_op 0
		.amdhsa_exception_fp_denorm_src 0
		.amdhsa_exception_fp_ieee_div_zero 0
		.amdhsa_exception_fp_ieee_overflow 0
		.amdhsa_exception_fp_ieee_underflow 0
		.amdhsa_exception_fp_ieee_inexact 0
		.amdhsa_exception_int_div_zero 0
	.end_amdhsa_kernel
	.section	.text._ZN7rocprim17ROCPRIM_400000_NS6detail17trampoline_kernelINS0_13select_configILj256ELj13ELNS0_17block_load_methodE3ELS4_3ELS4_3ELNS0_20block_scan_algorithmE0ELj4294967295EEENS1_25partition_config_selectorILNS1_17partition_subalgoE4EjNS0_10empty_typeEbEEZZNS1_14partition_implILS8_4ELb0ES6_15HIP_vector_typeIjLj2EENS0_17counting_iteratorIjlEEPS9_SG_NS0_5tupleIJPjSI_NS0_16reverse_iteratorISI_EEEEENSH_IJSG_SG_SG_EEES9_SI_JZNS1_25segmented_radix_sort_implINS0_14default_configELb1EPKaPaPKlPlN2at6native12_GLOBAL__N_18offset_tEEE10hipError_tPvRmT1_PNSt15iterator_traitsIS12_E10value_typeET2_T3_PNS13_IS18_E10value_typeET4_jRbjT5_S1E_jjP12ihipStream_tbEUljE_ZNSN_ISO_Lb1ESQ_SR_ST_SU_SY_EESZ_S10_S11_S12_S16_S17_S18_S1B_S1C_jS1D_jS1E_S1E_jjS1G_bEUljE0_EEESZ_S10_S11_S18_S1C_S1E_T6_T7_T9_mT8_S1G_bDpT10_ENKUlT_T0_E_clISt17integral_constantIbLb1EES1T_IbLb0EEEEDaS1P_S1Q_EUlS1P_E_NS1_11comp_targetILNS1_3genE3ELNS1_11target_archE908ELNS1_3gpuE7ELNS1_3repE0EEENS1_30default_config_static_selectorELNS0_4arch9wavefront6targetE0EEEvS12_,"axG",@progbits,_ZN7rocprim17ROCPRIM_400000_NS6detail17trampoline_kernelINS0_13select_configILj256ELj13ELNS0_17block_load_methodE3ELS4_3ELS4_3ELNS0_20block_scan_algorithmE0ELj4294967295EEENS1_25partition_config_selectorILNS1_17partition_subalgoE4EjNS0_10empty_typeEbEEZZNS1_14partition_implILS8_4ELb0ES6_15HIP_vector_typeIjLj2EENS0_17counting_iteratorIjlEEPS9_SG_NS0_5tupleIJPjSI_NS0_16reverse_iteratorISI_EEEEENSH_IJSG_SG_SG_EEES9_SI_JZNS1_25segmented_radix_sort_implINS0_14default_configELb1EPKaPaPKlPlN2at6native12_GLOBAL__N_18offset_tEEE10hipError_tPvRmT1_PNSt15iterator_traitsIS12_E10value_typeET2_T3_PNS13_IS18_E10value_typeET4_jRbjT5_S1E_jjP12ihipStream_tbEUljE_ZNSN_ISO_Lb1ESQ_SR_ST_SU_SY_EESZ_S10_S11_S12_S16_S17_S18_S1B_S1C_jS1D_jS1E_S1E_jjS1G_bEUljE0_EEESZ_S10_S11_S18_S1C_S1E_T6_T7_T9_mT8_S1G_bDpT10_ENKUlT_T0_E_clISt17integral_constantIbLb1EES1T_IbLb0EEEEDaS1P_S1Q_EUlS1P_E_NS1_11comp_targetILNS1_3genE3ELNS1_11target_archE908ELNS1_3gpuE7ELNS1_3repE0EEENS1_30default_config_static_selectorELNS0_4arch9wavefront6targetE0EEEvS12_,comdat
.Lfunc_end243:
	.size	_ZN7rocprim17ROCPRIM_400000_NS6detail17trampoline_kernelINS0_13select_configILj256ELj13ELNS0_17block_load_methodE3ELS4_3ELS4_3ELNS0_20block_scan_algorithmE0ELj4294967295EEENS1_25partition_config_selectorILNS1_17partition_subalgoE4EjNS0_10empty_typeEbEEZZNS1_14partition_implILS8_4ELb0ES6_15HIP_vector_typeIjLj2EENS0_17counting_iteratorIjlEEPS9_SG_NS0_5tupleIJPjSI_NS0_16reverse_iteratorISI_EEEEENSH_IJSG_SG_SG_EEES9_SI_JZNS1_25segmented_radix_sort_implINS0_14default_configELb1EPKaPaPKlPlN2at6native12_GLOBAL__N_18offset_tEEE10hipError_tPvRmT1_PNSt15iterator_traitsIS12_E10value_typeET2_T3_PNS13_IS18_E10value_typeET4_jRbjT5_S1E_jjP12ihipStream_tbEUljE_ZNSN_ISO_Lb1ESQ_SR_ST_SU_SY_EESZ_S10_S11_S12_S16_S17_S18_S1B_S1C_jS1D_jS1E_S1E_jjS1G_bEUljE0_EEESZ_S10_S11_S18_S1C_S1E_T6_T7_T9_mT8_S1G_bDpT10_ENKUlT_T0_E_clISt17integral_constantIbLb1EES1T_IbLb0EEEEDaS1P_S1Q_EUlS1P_E_NS1_11comp_targetILNS1_3genE3ELNS1_11target_archE908ELNS1_3gpuE7ELNS1_3repE0EEENS1_30default_config_static_selectorELNS0_4arch9wavefront6targetE0EEEvS12_, .Lfunc_end243-_ZN7rocprim17ROCPRIM_400000_NS6detail17trampoline_kernelINS0_13select_configILj256ELj13ELNS0_17block_load_methodE3ELS4_3ELS4_3ELNS0_20block_scan_algorithmE0ELj4294967295EEENS1_25partition_config_selectorILNS1_17partition_subalgoE4EjNS0_10empty_typeEbEEZZNS1_14partition_implILS8_4ELb0ES6_15HIP_vector_typeIjLj2EENS0_17counting_iteratorIjlEEPS9_SG_NS0_5tupleIJPjSI_NS0_16reverse_iteratorISI_EEEEENSH_IJSG_SG_SG_EEES9_SI_JZNS1_25segmented_radix_sort_implINS0_14default_configELb1EPKaPaPKlPlN2at6native12_GLOBAL__N_18offset_tEEE10hipError_tPvRmT1_PNSt15iterator_traitsIS12_E10value_typeET2_T3_PNS13_IS18_E10value_typeET4_jRbjT5_S1E_jjP12ihipStream_tbEUljE_ZNSN_ISO_Lb1ESQ_SR_ST_SU_SY_EESZ_S10_S11_S12_S16_S17_S18_S1B_S1C_jS1D_jS1E_S1E_jjS1G_bEUljE0_EEESZ_S10_S11_S18_S1C_S1E_T6_T7_T9_mT8_S1G_bDpT10_ENKUlT_T0_E_clISt17integral_constantIbLb1EES1T_IbLb0EEEEDaS1P_S1Q_EUlS1P_E_NS1_11comp_targetILNS1_3genE3ELNS1_11target_archE908ELNS1_3gpuE7ELNS1_3repE0EEENS1_30default_config_static_selectorELNS0_4arch9wavefront6targetE0EEEvS12_
                                        ; -- End function
	.set _ZN7rocprim17ROCPRIM_400000_NS6detail17trampoline_kernelINS0_13select_configILj256ELj13ELNS0_17block_load_methodE3ELS4_3ELS4_3ELNS0_20block_scan_algorithmE0ELj4294967295EEENS1_25partition_config_selectorILNS1_17partition_subalgoE4EjNS0_10empty_typeEbEEZZNS1_14partition_implILS8_4ELb0ES6_15HIP_vector_typeIjLj2EENS0_17counting_iteratorIjlEEPS9_SG_NS0_5tupleIJPjSI_NS0_16reverse_iteratorISI_EEEEENSH_IJSG_SG_SG_EEES9_SI_JZNS1_25segmented_radix_sort_implINS0_14default_configELb1EPKaPaPKlPlN2at6native12_GLOBAL__N_18offset_tEEE10hipError_tPvRmT1_PNSt15iterator_traitsIS12_E10value_typeET2_T3_PNS13_IS18_E10value_typeET4_jRbjT5_S1E_jjP12ihipStream_tbEUljE_ZNSN_ISO_Lb1ESQ_SR_ST_SU_SY_EESZ_S10_S11_S12_S16_S17_S18_S1B_S1C_jS1D_jS1E_S1E_jjS1G_bEUljE0_EEESZ_S10_S11_S18_S1C_S1E_T6_T7_T9_mT8_S1G_bDpT10_ENKUlT_T0_E_clISt17integral_constantIbLb1EES1T_IbLb0EEEEDaS1P_S1Q_EUlS1P_E_NS1_11comp_targetILNS1_3genE3ELNS1_11target_archE908ELNS1_3gpuE7ELNS1_3repE0EEENS1_30default_config_static_selectorELNS0_4arch9wavefront6targetE0EEEvS12_.num_vgpr, 0
	.set _ZN7rocprim17ROCPRIM_400000_NS6detail17trampoline_kernelINS0_13select_configILj256ELj13ELNS0_17block_load_methodE3ELS4_3ELS4_3ELNS0_20block_scan_algorithmE0ELj4294967295EEENS1_25partition_config_selectorILNS1_17partition_subalgoE4EjNS0_10empty_typeEbEEZZNS1_14partition_implILS8_4ELb0ES6_15HIP_vector_typeIjLj2EENS0_17counting_iteratorIjlEEPS9_SG_NS0_5tupleIJPjSI_NS0_16reverse_iteratorISI_EEEEENSH_IJSG_SG_SG_EEES9_SI_JZNS1_25segmented_radix_sort_implINS0_14default_configELb1EPKaPaPKlPlN2at6native12_GLOBAL__N_18offset_tEEE10hipError_tPvRmT1_PNSt15iterator_traitsIS12_E10value_typeET2_T3_PNS13_IS18_E10value_typeET4_jRbjT5_S1E_jjP12ihipStream_tbEUljE_ZNSN_ISO_Lb1ESQ_SR_ST_SU_SY_EESZ_S10_S11_S12_S16_S17_S18_S1B_S1C_jS1D_jS1E_S1E_jjS1G_bEUljE0_EEESZ_S10_S11_S18_S1C_S1E_T6_T7_T9_mT8_S1G_bDpT10_ENKUlT_T0_E_clISt17integral_constantIbLb1EES1T_IbLb0EEEEDaS1P_S1Q_EUlS1P_E_NS1_11comp_targetILNS1_3genE3ELNS1_11target_archE908ELNS1_3gpuE7ELNS1_3repE0EEENS1_30default_config_static_selectorELNS0_4arch9wavefront6targetE0EEEvS12_.num_agpr, 0
	.set _ZN7rocprim17ROCPRIM_400000_NS6detail17trampoline_kernelINS0_13select_configILj256ELj13ELNS0_17block_load_methodE3ELS4_3ELS4_3ELNS0_20block_scan_algorithmE0ELj4294967295EEENS1_25partition_config_selectorILNS1_17partition_subalgoE4EjNS0_10empty_typeEbEEZZNS1_14partition_implILS8_4ELb0ES6_15HIP_vector_typeIjLj2EENS0_17counting_iteratorIjlEEPS9_SG_NS0_5tupleIJPjSI_NS0_16reverse_iteratorISI_EEEEENSH_IJSG_SG_SG_EEES9_SI_JZNS1_25segmented_radix_sort_implINS0_14default_configELb1EPKaPaPKlPlN2at6native12_GLOBAL__N_18offset_tEEE10hipError_tPvRmT1_PNSt15iterator_traitsIS12_E10value_typeET2_T3_PNS13_IS18_E10value_typeET4_jRbjT5_S1E_jjP12ihipStream_tbEUljE_ZNSN_ISO_Lb1ESQ_SR_ST_SU_SY_EESZ_S10_S11_S12_S16_S17_S18_S1B_S1C_jS1D_jS1E_S1E_jjS1G_bEUljE0_EEESZ_S10_S11_S18_S1C_S1E_T6_T7_T9_mT8_S1G_bDpT10_ENKUlT_T0_E_clISt17integral_constantIbLb1EES1T_IbLb0EEEEDaS1P_S1Q_EUlS1P_E_NS1_11comp_targetILNS1_3genE3ELNS1_11target_archE908ELNS1_3gpuE7ELNS1_3repE0EEENS1_30default_config_static_selectorELNS0_4arch9wavefront6targetE0EEEvS12_.numbered_sgpr, 0
	.set _ZN7rocprim17ROCPRIM_400000_NS6detail17trampoline_kernelINS0_13select_configILj256ELj13ELNS0_17block_load_methodE3ELS4_3ELS4_3ELNS0_20block_scan_algorithmE0ELj4294967295EEENS1_25partition_config_selectorILNS1_17partition_subalgoE4EjNS0_10empty_typeEbEEZZNS1_14partition_implILS8_4ELb0ES6_15HIP_vector_typeIjLj2EENS0_17counting_iteratorIjlEEPS9_SG_NS0_5tupleIJPjSI_NS0_16reverse_iteratorISI_EEEEENSH_IJSG_SG_SG_EEES9_SI_JZNS1_25segmented_radix_sort_implINS0_14default_configELb1EPKaPaPKlPlN2at6native12_GLOBAL__N_18offset_tEEE10hipError_tPvRmT1_PNSt15iterator_traitsIS12_E10value_typeET2_T3_PNS13_IS18_E10value_typeET4_jRbjT5_S1E_jjP12ihipStream_tbEUljE_ZNSN_ISO_Lb1ESQ_SR_ST_SU_SY_EESZ_S10_S11_S12_S16_S17_S18_S1B_S1C_jS1D_jS1E_S1E_jjS1G_bEUljE0_EEESZ_S10_S11_S18_S1C_S1E_T6_T7_T9_mT8_S1G_bDpT10_ENKUlT_T0_E_clISt17integral_constantIbLb1EES1T_IbLb0EEEEDaS1P_S1Q_EUlS1P_E_NS1_11comp_targetILNS1_3genE3ELNS1_11target_archE908ELNS1_3gpuE7ELNS1_3repE0EEENS1_30default_config_static_selectorELNS0_4arch9wavefront6targetE0EEEvS12_.num_named_barrier, 0
	.set _ZN7rocprim17ROCPRIM_400000_NS6detail17trampoline_kernelINS0_13select_configILj256ELj13ELNS0_17block_load_methodE3ELS4_3ELS4_3ELNS0_20block_scan_algorithmE0ELj4294967295EEENS1_25partition_config_selectorILNS1_17partition_subalgoE4EjNS0_10empty_typeEbEEZZNS1_14partition_implILS8_4ELb0ES6_15HIP_vector_typeIjLj2EENS0_17counting_iteratorIjlEEPS9_SG_NS0_5tupleIJPjSI_NS0_16reverse_iteratorISI_EEEEENSH_IJSG_SG_SG_EEES9_SI_JZNS1_25segmented_radix_sort_implINS0_14default_configELb1EPKaPaPKlPlN2at6native12_GLOBAL__N_18offset_tEEE10hipError_tPvRmT1_PNSt15iterator_traitsIS12_E10value_typeET2_T3_PNS13_IS18_E10value_typeET4_jRbjT5_S1E_jjP12ihipStream_tbEUljE_ZNSN_ISO_Lb1ESQ_SR_ST_SU_SY_EESZ_S10_S11_S12_S16_S17_S18_S1B_S1C_jS1D_jS1E_S1E_jjS1G_bEUljE0_EEESZ_S10_S11_S18_S1C_S1E_T6_T7_T9_mT8_S1G_bDpT10_ENKUlT_T0_E_clISt17integral_constantIbLb1EES1T_IbLb0EEEEDaS1P_S1Q_EUlS1P_E_NS1_11comp_targetILNS1_3genE3ELNS1_11target_archE908ELNS1_3gpuE7ELNS1_3repE0EEENS1_30default_config_static_selectorELNS0_4arch9wavefront6targetE0EEEvS12_.private_seg_size, 0
	.set _ZN7rocprim17ROCPRIM_400000_NS6detail17trampoline_kernelINS0_13select_configILj256ELj13ELNS0_17block_load_methodE3ELS4_3ELS4_3ELNS0_20block_scan_algorithmE0ELj4294967295EEENS1_25partition_config_selectorILNS1_17partition_subalgoE4EjNS0_10empty_typeEbEEZZNS1_14partition_implILS8_4ELb0ES6_15HIP_vector_typeIjLj2EENS0_17counting_iteratorIjlEEPS9_SG_NS0_5tupleIJPjSI_NS0_16reverse_iteratorISI_EEEEENSH_IJSG_SG_SG_EEES9_SI_JZNS1_25segmented_radix_sort_implINS0_14default_configELb1EPKaPaPKlPlN2at6native12_GLOBAL__N_18offset_tEEE10hipError_tPvRmT1_PNSt15iterator_traitsIS12_E10value_typeET2_T3_PNS13_IS18_E10value_typeET4_jRbjT5_S1E_jjP12ihipStream_tbEUljE_ZNSN_ISO_Lb1ESQ_SR_ST_SU_SY_EESZ_S10_S11_S12_S16_S17_S18_S1B_S1C_jS1D_jS1E_S1E_jjS1G_bEUljE0_EEESZ_S10_S11_S18_S1C_S1E_T6_T7_T9_mT8_S1G_bDpT10_ENKUlT_T0_E_clISt17integral_constantIbLb1EES1T_IbLb0EEEEDaS1P_S1Q_EUlS1P_E_NS1_11comp_targetILNS1_3genE3ELNS1_11target_archE908ELNS1_3gpuE7ELNS1_3repE0EEENS1_30default_config_static_selectorELNS0_4arch9wavefront6targetE0EEEvS12_.uses_vcc, 0
	.set _ZN7rocprim17ROCPRIM_400000_NS6detail17trampoline_kernelINS0_13select_configILj256ELj13ELNS0_17block_load_methodE3ELS4_3ELS4_3ELNS0_20block_scan_algorithmE0ELj4294967295EEENS1_25partition_config_selectorILNS1_17partition_subalgoE4EjNS0_10empty_typeEbEEZZNS1_14partition_implILS8_4ELb0ES6_15HIP_vector_typeIjLj2EENS0_17counting_iteratorIjlEEPS9_SG_NS0_5tupleIJPjSI_NS0_16reverse_iteratorISI_EEEEENSH_IJSG_SG_SG_EEES9_SI_JZNS1_25segmented_radix_sort_implINS0_14default_configELb1EPKaPaPKlPlN2at6native12_GLOBAL__N_18offset_tEEE10hipError_tPvRmT1_PNSt15iterator_traitsIS12_E10value_typeET2_T3_PNS13_IS18_E10value_typeET4_jRbjT5_S1E_jjP12ihipStream_tbEUljE_ZNSN_ISO_Lb1ESQ_SR_ST_SU_SY_EESZ_S10_S11_S12_S16_S17_S18_S1B_S1C_jS1D_jS1E_S1E_jjS1G_bEUljE0_EEESZ_S10_S11_S18_S1C_S1E_T6_T7_T9_mT8_S1G_bDpT10_ENKUlT_T0_E_clISt17integral_constantIbLb1EES1T_IbLb0EEEEDaS1P_S1Q_EUlS1P_E_NS1_11comp_targetILNS1_3genE3ELNS1_11target_archE908ELNS1_3gpuE7ELNS1_3repE0EEENS1_30default_config_static_selectorELNS0_4arch9wavefront6targetE0EEEvS12_.uses_flat_scratch, 0
	.set _ZN7rocprim17ROCPRIM_400000_NS6detail17trampoline_kernelINS0_13select_configILj256ELj13ELNS0_17block_load_methodE3ELS4_3ELS4_3ELNS0_20block_scan_algorithmE0ELj4294967295EEENS1_25partition_config_selectorILNS1_17partition_subalgoE4EjNS0_10empty_typeEbEEZZNS1_14partition_implILS8_4ELb0ES6_15HIP_vector_typeIjLj2EENS0_17counting_iteratorIjlEEPS9_SG_NS0_5tupleIJPjSI_NS0_16reverse_iteratorISI_EEEEENSH_IJSG_SG_SG_EEES9_SI_JZNS1_25segmented_radix_sort_implINS0_14default_configELb1EPKaPaPKlPlN2at6native12_GLOBAL__N_18offset_tEEE10hipError_tPvRmT1_PNSt15iterator_traitsIS12_E10value_typeET2_T3_PNS13_IS18_E10value_typeET4_jRbjT5_S1E_jjP12ihipStream_tbEUljE_ZNSN_ISO_Lb1ESQ_SR_ST_SU_SY_EESZ_S10_S11_S12_S16_S17_S18_S1B_S1C_jS1D_jS1E_S1E_jjS1G_bEUljE0_EEESZ_S10_S11_S18_S1C_S1E_T6_T7_T9_mT8_S1G_bDpT10_ENKUlT_T0_E_clISt17integral_constantIbLb1EES1T_IbLb0EEEEDaS1P_S1Q_EUlS1P_E_NS1_11comp_targetILNS1_3genE3ELNS1_11target_archE908ELNS1_3gpuE7ELNS1_3repE0EEENS1_30default_config_static_selectorELNS0_4arch9wavefront6targetE0EEEvS12_.has_dyn_sized_stack, 0
	.set _ZN7rocprim17ROCPRIM_400000_NS6detail17trampoline_kernelINS0_13select_configILj256ELj13ELNS0_17block_load_methodE3ELS4_3ELS4_3ELNS0_20block_scan_algorithmE0ELj4294967295EEENS1_25partition_config_selectorILNS1_17partition_subalgoE4EjNS0_10empty_typeEbEEZZNS1_14partition_implILS8_4ELb0ES6_15HIP_vector_typeIjLj2EENS0_17counting_iteratorIjlEEPS9_SG_NS0_5tupleIJPjSI_NS0_16reverse_iteratorISI_EEEEENSH_IJSG_SG_SG_EEES9_SI_JZNS1_25segmented_radix_sort_implINS0_14default_configELb1EPKaPaPKlPlN2at6native12_GLOBAL__N_18offset_tEEE10hipError_tPvRmT1_PNSt15iterator_traitsIS12_E10value_typeET2_T3_PNS13_IS18_E10value_typeET4_jRbjT5_S1E_jjP12ihipStream_tbEUljE_ZNSN_ISO_Lb1ESQ_SR_ST_SU_SY_EESZ_S10_S11_S12_S16_S17_S18_S1B_S1C_jS1D_jS1E_S1E_jjS1G_bEUljE0_EEESZ_S10_S11_S18_S1C_S1E_T6_T7_T9_mT8_S1G_bDpT10_ENKUlT_T0_E_clISt17integral_constantIbLb1EES1T_IbLb0EEEEDaS1P_S1Q_EUlS1P_E_NS1_11comp_targetILNS1_3genE3ELNS1_11target_archE908ELNS1_3gpuE7ELNS1_3repE0EEENS1_30default_config_static_selectorELNS0_4arch9wavefront6targetE0EEEvS12_.has_recursion, 0
	.set _ZN7rocprim17ROCPRIM_400000_NS6detail17trampoline_kernelINS0_13select_configILj256ELj13ELNS0_17block_load_methodE3ELS4_3ELS4_3ELNS0_20block_scan_algorithmE0ELj4294967295EEENS1_25partition_config_selectorILNS1_17partition_subalgoE4EjNS0_10empty_typeEbEEZZNS1_14partition_implILS8_4ELb0ES6_15HIP_vector_typeIjLj2EENS0_17counting_iteratorIjlEEPS9_SG_NS0_5tupleIJPjSI_NS0_16reverse_iteratorISI_EEEEENSH_IJSG_SG_SG_EEES9_SI_JZNS1_25segmented_radix_sort_implINS0_14default_configELb1EPKaPaPKlPlN2at6native12_GLOBAL__N_18offset_tEEE10hipError_tPvRmT1_PNSt15iterator_traitsIS12_E10value_typeET2_T3_PNS13_IS18_E10value_typeET4_jRbjT5_S1E_jjP12ihipStream_tbEUljE_ZNSN_ISO_Lb1ESQ_SR_ST_SU_SY_EESZ_S10_S11_S12_S16_S17_S18_S1B_S1C_jS1D_jS1E_S1E_jjS1G_bEUljE0_EEESZ_S10_S11_S18_S1C_S1E_T6_T7_T9_mT8_S1G_bDpT10_ENKUlT_T0_E_clISt17integral_constantIbLb1EES1T_IbLb0EEEEDaS1P_S1Q_EUlS1P_E_NS1_11comp_targetILNS1_3genE3ELNS1_11target_archE908ELNS1_3gpuE7ELNS1_3repE0EEENS1_30default_config_static_selectorELNS0_4arch9wavefront6targetE0EEEvS12_.has_indirect_call, 0
	.section	.AMDGPU.csdata,"",@progbits
; Kernel info:
; codeLenInByte = 0
; TotalNumSgprs: 0
; NumVgprs: 0
; ScratchSize: 0
; MemoryBound: 0
; FloatMode: 240
; IeeeMode: 1
; LDSByteSize: 0 bytes/workgroup (compile time only)
; SGPRBlocks: 0
; VGPRBlocks: 0
; NumSGPRsForWavesPerEU: 1
; NumVGPRsForWavesPerEU: 1
; Occupancy: 16
; WaveLimiterHint : 0
; COMPUTE_PGM_RSRC2:SCRATCH_EN: 0
; COMPUTE_PGM_RSRC2:USER_SGPR: 6
; COMPUTE_PGM_RSRC2:TRAP_HANDLER: 0
; COMPUTE_PGM_RSRC2:TGID_X_EN: 1
; COMPUTE_PGM_RSRC2:TGID_Y_EN: 0
; COMPUTE_PGM_RSRC2:TGID_Z_EN: 0
; COMPUTE_PGM_RSRC2:TIDIG_COMP_CNT: 0
	.section	.text._ZN7rocprim17ROCPRIM_400000_NS6detail17trampoline_kernelINS0_13select_configILj256ELj13ELNS0_17block_load_methodE3ELS4_3ELS4_3ELNS0_20block_scan_algorithmE0ELj4294967295EEENS1_25partition_config_selectorILNS1_17partition_subalgoE4EjNS0_10empty_typeEbEEZZNS1_14partition_implILS8_4ELb0ES6_15HIP_vector_typeIjLj2EENS0_17counting_iteratorIjlEEPS9_SG_NS0_5tupleIJPjSI_NS0_16reverse_iteratorISI_EEEEENSH_IJSG_SG_SG_EEES9_SI_JZNS1_25segmented_radix_sort_implINS0_14default_configELb1EPKaPaPKlPlN2at6native12_GLOBAL__N_18offset_tEEE10hipError_tPvRmT1_PNSt15iterator_traitsIS12_E10value_typeET2_T3_PNS13_IS18_E10value_typeET4_jRbjT5_S1E_jjP12ihipStream_tbEUljE_ZNSN_ISO_Lb1ESQ_SR_ST_SU_SY_EESZ_S10_S11_S12_S16_S17_S18_S1B_S1C_jS1D_jS1E_S1E_jjS1G_bEUljE0_EEESZ_S10_S11_S18_S1C_S1E_T6_T7_T9_mT8_S1G_bDpT10_ENKUlT_T0_E_clISt17integral_constantIbLb1EES1T_IbLb0EEEEDaS1P_S1Q_EUlS1P_E_NS1_11comp_targetILNS1_3genE2ELNS1_11target_archE906ELNS1_3gpuE6ELNS1_3repE0EEENS1_30default_config_static_selectorELNS0_4arch9wavefront6targetE0EEEvS12_,"axG",@progbits,_ZN7rocprim17ROCPRIM_400000_NS6detail17trampoline_kernelINS0_13select_configILj256ELj13ELNS0_17block_load_methodE3ELS4_3ELS4_3ELNS0_20block_scan_algorithmE0ELj4294967295EEENS1_25partition_config_selectorILNS1_17partition_subalgoE4EjNS0_10empty_typeEbEEZZNS1_14partition_implILS8_4ELb0ES6_15HIP_vector_typeIjLj2EENS0_17counting_iteratorIjlEEPS9_SG_NS0_5tupleIJPjSI_NS0_16reverse_iteratorISI_EEEEENSH_IJSG_SG_SG_EEES9_SI_JZNS1_25segmented_radix_sort_implINS0_14default_configELb1EPKaPaPKlPlN2at6native12_GLOBAL__N_18offset_tEEE10hipError_tPvRmT1_PNSt15iterator_traitsIS12_E10value_typeET2_T3_PNS13_IS18_E10value_typeET4_jRbjT5_S1E_jjP12ihipStream_tbEUljE_ZNSN_ISO_Lb1ESQ_SR_ST_SU_SY_EESZ_S10_S11_S12_S16_S17_S18_S1B_S1C_jS1D_jS1E_S1E_jjS1G_bEUljE0_EEESZ_S10_S11_S18_S1C_S1E_T6_T7_T9_mT8_S1G_bDpT10_ENKUlT_T0_E_clISt17integral_constantIbLb1EES1T_IbLb0EEEEDaS1P_S1Q_EUlS1P_E_NS1_11comp_targetILNS1_3genE2ELNS1_11target_archE906ELNS1_3gpuE6ELNS1_3repE0EEENS1_30default_config_static_selectorELNS0_4arch9wavefront6targetE0EEEvS12_,comdat
	.globl	_ZN7rocprim17ROCPRIM_400000_NS6detail17trampoline_kernelINS0_13select_configILj256ELj13ELNS0_17block_load_methodE3ELS4_3ELS4_3ELNS0_20block_scan_algorithmE0ELj4294967295EEENS1_25partition_config_selectorILNS1_17partition_subalgoE4EjNS0_10empty_typeEbEEZZNS1_14partition_implILS8_4ELb0ES6_15HIP_vector_typeIjLj2EENS0_17counting_iteratorIjlEEPS9_SG_NS0_5tupleIJPjSI_NS0_16reverse_iteratorISI_EEEEENSH_IJSG_SG_SG_EEES9_SI_JZNS1_25segmented_radix_sort_implINS0_14default_configELb1EPKaPaPKlPlN2at6native12_GLOBAL__N_18offset_tEEE10hipError_tPvRmT1_PNSt15iterator_traitsIS12_E10value_typeET2_T3_PNS13_IS18_E10value_typeET4_jRbjT5_S1E_jjP12ihipStream_tbEUljE_ZNSN_ISO_Lb1ESQ_SR_ST_SU_SY_EESZ_S10_S11_S12_S16_S17_S18_S1B_S1C_jS1D_jS1E_S1E_jjS1G_bEUljE0_EEESZ_S10_S11_S18_S1C_S1E_T6_T7_T9_mT8_S1G_bDpT10_ENKUlT_T0_E_clISt17integral_constantIbLb1EES1T_IbLb0EEEEDaS1P_S1Q_EUlS1P_E_NS1_11comp_targetILNS1_3genE2ELNS1_11target_archE906ELNS1_3gpuE6ELNS1_3repE0EEENS1_30default_config_static_selectorELNS0_4arch9wavefront6targetE0EEEvS12_ ; -- Begin function _ZN7rocprim17ROCPRIM_400000_NS6detail17trampoline_kernelINS0_13select_configILj256ELj13ELNS0_17block_load_methodE3ELS4_3ELS4_3ELNS0_20block_scan_algorithmE0ELj4294967295EEENS1_25partition_config_selectorILNS1_17partition_subalgoE4EjNS0_10empty_typeEbEEZZNS1_14partition_implILS8_4ELb0ES6_15HIP_vector_typeIjLj2EENS0_17counting_iteratorIjlEEPS9_SG_NS0_5tupleIJPjSI_NS0_16reverse_iteratorISI_EEEEENSH_IJSG_SG_SG_EEES9_SI_JZNS1_25segmented_radix_sort_implINS0_14default_configELb1EPKaPaPKlPlN2at6native12_GLOBAL__N_18offset_tEEE10hipError_tPvRmT1_PNSt15iterator_traitsIS12_E10value_typeET2_T3_PNS13_IS18_E10value_typeET4_jRbjT5_S1E_jjP12ihipStream_tbEUljE_ZNSN_ISO_Lb1ESQ_SR_ST_SU_SY_EESZ_S10_S11_S12_S16_S17_S18_S1B_S1C_jS1D_jS1E_S1E_jjS1G_bEUljE0_EEESZ_S10_S11_S18_S1C_S1E_T6_T7_T9_mT8_S1G_bDpT10_ENKUlT_T0_E_clISt17integral_constantIbLb1EES1T_IbLb0EEEEDaS1P_S1Q_EUlS1P_E_NS1_11comp_targetILNS1_3genE2ELNS1_11target_archE906ELNS1_3gpuE6ELNS1_3repE0EEENS1_30default_config_static_selectorELNS0_4arch9wavefront6targetE0EEEvS12_
	.p2align	8
	.type	_ZN7rocprim17ROCPRIM_400000_NS6detail17trampoline_kernelINS0_13select_configILj256ELj13ELNS0_17block_load_methodE3ELS4_3ELS4_3ELNS0_20block_scan_algorithmE0ELj4294967295EEENS1_25partition_config_selectorILNS1_17partition_subalgoE4EjNS0_10empty_typeEbEEZZNS1_14partition_implILS8_4ELb0ES6_15HIP_vector_typeIjLj2EENS0_17counting_iteratorIjlEEPS9_SG_NS0_5tupleIJPjSI_NS0_16reverse_iteratorISI_EEEEENSH_IJSG_SG_SG_EEES9_SI_JZNS1_25segmented_radix_sort_implINS0_14default_configELb1EPKaPaPKlPlN2at6native12_GLOBAL__N_18offset_tEEE10hipError_tPvRmT1_PNSt15iterator_traitsIS12_E10value_typeET2_T3_PNS13_IS18_E10value_typeET4_jRbjT5_S1E_jjP12ihipStream_tbEUljE_ZNSN_ISO_Lb1ESQ_SR_ST_SU_SY_EESZ_S10_S11_S12_S16_S17_S18_S1B_S1C_jS1D_jS1E_S1E_jjS1G_bEUljE0_EEESZ_S10_S11_S18_S1C_S1E_T6_T7_T9_mT8_S1G_bDpT10_ENKUlT_T0_E_clISt17integral_constantIbLb1EES1T_IbLb0EEEEDaS1P_S1Q_EUlS1P_E_NS1_11comp_targetILNS1_3genE2ELNS1_11target_archE906ELNS1_3gpuE6ELNS1_3repE0EEENS1_30default_config_static_selectorELNS0_4arch9wavefront6targetE0EEEvS12_,@function
_ZN7rocprim17ROCPRIM_400000_NS6detail17trampoline_kernelINS0_13select_configILj256ELj13ELNS0_17block_load_methodE3ELS4_3ELS4_3ELNS0_20block_scan_algorithmE0ELj4294967295EEENS1_25partition_config_selectorILNS1_17partition_subalgoE4EjNS0_10empty_typeEbEEZZNS1_14partition_implILS8_4ELb0ES6_15HIP_vector_typeIjLj2EENS0_17counting_iteratorIjlEEPS9_SG_NS0_5tupleIJPjSI_NS0_16reverse_iteratorISI_EEEEENSH_IJSG_SG_SG_EEES9_SI_JZNS1_25segmented_radix_sort_implINS0_14default_configELb1EPKaPaPKlPlN2at6native12_GLOBAL__N_18offset_tEEE10hipError_tPvRmT1_PNSt15iterator_traitsIS12_E10value_typeET2_T3_PNS13_IS18_E10value_typeET4_jRbjT5_S1E_jjP12ihipStream_tbEUljE_ZNSN_ISO_Lb1ESQ_SR_ST_SU_SY_EESZ_S10_S11_S12_S16_S17_S18_S1B_S1C_jS1D_jS1E_S1E_jjS1G_bEUljE0_EEESZ_S10_S11_S18_S1C_S1E_T6_T7_T9_mT8_S1G_bDpT10_ENKUlT_T0_E_clISt17integral_constantIbLb1EES1T_IbLb0EEEEDaS1P_S1Q_EUlS1P_E_NS1_11comp_targetILNS1_3genE2ELNS1_11target_archE906ELNS1_3gpuE6ELNS1_3repE0EEENS1_30default_config_static_selectorELNS0_4arch9wavefront6targetE0EEEvS12_: ; @_ZN7rocprim17ROCPRIM_400000_NS6detail17trampoline_kernelINS0_13select_configILj256ELj13ELNS0_17block_load_methodE3ELS4_3ELS4_3ELNS0_20block_scan_algorithmE0ELj4294967295EEENS1_25partition_config_selectorILNS1_17partition_subalgoE4EjNS0_10empty_typeEbEEZZNS1_14partition_implILS8_4ELb0ES6_15HIP_vector_typeIjLj2EENS0_17counting_iteratorIjlEEPS9_SG_NS0_5tupleIJPjSI_NS0_16reverse_iteratorISI_EEEEENSH_IJSG_SG_SG_EEES9_SI_JZNS1_25segmented_radix_sort_implINS0_14default_configELb1EPKaPaPKlPlN2at6native12_GLOBAL__N_18offset_tEEE10hipError_tPvRmT1_PNSt15iterator_traitsIS12_E10value_typeET2_T3_PNS13_IS18_E10value_typeET4_jRbjT5_S1E_jjP12ihipStream_tbEUljE_ZNSN_ISO_Lb1ESQ_SR_ST_SU_SY_EESZ_S10_S11_S12_S16_S17_S18_S1B_S1C_jS1D_jS1E_S1E_jjS1G_bEUljE0_EEESZ_S10_S11_S18_S1C_S1E_T6_T7_T9_mT8_S1G_bDpT10_ENKUlT_T0_E_clISt17integral_constantIbLb1EES1T_IbLb0EEEEDaS1P_S1Q_EUlS1P_E_NS1_11comp_targetILNS1_3genE2ELNS1_11target_archE906ELNS1_3gpuE6ELNS1_3repE0EEENS1_30default_config_static_selectorELNS0_4arch9wavefront6targetE0EEEvS12_
; %bb.0:
	.section	.rodata,"a",@progbits
	.p2align	6, 0x0
	.amdhsa_kernel _ZN7rocprim17ROCPRIM_400000_NS6detail17trampoline_kernelINS0_13select_configILj256ELj13ELNS0_17block_load_methodE3ELS4_3ELS4_3ELNS0_20block_scan_algorithmE0ELj4294967295EEENS1_25partition_config_selectorILNS1_17partition_subalgoE4EjNS0_10empty_typeEbEEZZNS1_14partition_implILS8_4ELb0ES6_15HIP_vector_typeIjLj2EENS0_17counting_iteratorIjlEEPS9_SG_NS0_5tupleIJPjSI_NS0_16reverse_iteratorISI_EEEEENSH_IJSG_SG_SG_EEES9_SI_JZNS1_25segmented_radix_sort_implINS0_14default_configELb1EPKaPaPKlPlN2at6native12_GLOBAL__N_18offset_tEEE10hipError_tPvRmT1_PNSt15iterator_traitsIS12_E10value_typeET2_T3_PNS13_IS18_E10value_typeET4_jRbjT5_S1E_jjP12ihipStream_tbEUljE_ZNSN_ISO_Lb1ESQ_SR_ST_SU_SY_EESZ_S10_S11_S12_S16_S17_S18_S1B_S1C_jS1D_jS1E_S1E_jjS1G_bEUljE0_EEESZ_S10_S11_S18_S1C_S1E_T6_T7_T9_mT8_S1G_bDpT10_ENKUlT_T0_E_clISt17integral_constantIbLb1EES1T_IbLb0EEEEDaS1P_S1Q_EUlS1P_E_NS1_11comp_targetILNS1_3genE2ELNS1_11target_archE906ELNS1_3gpuE6ELNS1_3repE0EEENS1_30default_config_static_selectorELNS0_4arch9wavefront6targetE0EEEvS12_
		.amdhsa_group_segment_fixed_size 0
		.amdhsa_private_segment_fixed_size 0
		.amdhsa_kernarg_size 176
		.amdhsa_user_sgpr_count 6
		.amdhsa_user_sgpr_private_segment_buffer 1
		.amdhsa_user_sgpr_dispatch_ptr 0
		.amdhsa_user_sgpr_queue_ptr 0
		.amdhsa_user_sgpr_kernarg_segment_ptr 1
		.amdhsa_user_sgpr_dispatch_id 0
		.amdhsa_user_sgpr_flat_scratch_init 0
		.amdhsa_user_sgpr_private_segment_size 0
		.amdhsa_wavefront_size32 1
		.amdhsa_uses_dynamic_stack 0
		.amdhsa_system_sgpr_private_segment_wavefront_offset 0
		.amdhsa_system_sgpr_workgroup_id_x 1
		.amdhsa_system_sgpr_workgroup_id_y 0
		.amdhsa_system_sgpr_workgroup_id_z 0
		.amdhsa_system_sgpr_workgroup_info 0
		.amdhsa_system_vgpr_workitem_id 0
		.amdhsa_next_free_vgpr 1
		.amdhsa_next_free_sgpr 1
		.amdhsa_reserve_vcc 0
		.amdhsa_reserve_flat_scratch 0
		.amdhsa_float_round_mode_32 0
		.amdhsa_float_round_mode_16_64 0
		.amdhsa_float_denorm_mode_32 3
		.amdhsa_float_denorm_mode_16_64 3
		.amdhsa_dx10_clamp 1
		.amdhsa_ieee_mode 1
		.amdhsa_fp16_overflow 0
		.amdhsa_workgroup_processor_mode 1
		.amdhsa_memory_ordered 1
		.amdhsa_forward_progress 1
		.amdhsa_shared_vgpr_count 0
		.amdhsa_exception_fp_ieee_invalid_op 0
		.amdhsa_exception_fp_denorm_src 0
		.amdhsa_exception_fp_ieee_div_zero 0
		.amdhsa_exception_fp_ieee_overflow 0
		.amdhsa_exception_fp_ieee_underflow 0
		.amdhsa_exception_fp_ieee_inexact 0
		.amdhsa_exception_int_div_zero 0
	.end_amdhsa_kernel
	.section	.text._ZN7rocprim17ROCPRIM_400000_NS6detail17trampoline_kernelINS0_13select_configILj256ELj13ELNS0_17block_load_methodE3ELS4_3ELS4_3ELNS0_20block_scan_algorithmE0ELj4294967295EEENS1_25partition_config_selectorILNS1_17partition_subalgoE4EjNS0_10empty_typeEbEEZZNS1_14partition_implILS8_4ELb0ES6_15HIP_vector_typeIjLj2EENS0_17counting_iteratorIjlEEPS9_SG_NS0_5tupleIJPjSI_NS0_16reverse_iteratorISI_EEEEENSH_IJSG_SG_SG_EEES9_SI_JZNS1_25segmented_radix_sort_implINS0_14default_configELb1EPKaPaPKlPlN2at6native12_GLOBAL__N_18offset_tEEE10hipError_tPvRmT1_PNSt15iterator_traitsIS12_E10value_typeET2_T3_PNS13_IS18_E10value_typeET4_jRbjT5_S1E_jjP12ihipStream_tbEUljE_ZNSN_ISO_Lb1ESQ_SR_ST_SU_SY_EESZ_S10_S11_S12_S16_S17_S18_S1B_S1C_jS1D_jS1E_S1E_jjS1G_bEUljE0_EEESZ_S10_S11_S18_S1C_S1E_T6_T7_T9_mT8_S1G_bDpT10_ENKUlT_T0_E_clISt17integral_constantIbLb1EES1T_IbLb0EEEEDaS1P_S1Q_EUlS1P_E_NS1_11comp_targetILNS1_3genE2ELNS1_11target_archE906ELNS1_3gpuE6ELNS1_3repE0EEENS1_30default_config_static_selectorELNS0_4arch9wavefront6targetE0EEEvS12_,"axG",@progbits,_ZN7rocprim17ROCPRIM_400000_NS6detail17trampoline_kernelINS0_13select_configILj256ELj13ELNS0_17block_load_methodE3ELS4_3ELS4_3ELNS0_20block_scan_algorithmE0ELj4294967295EEENS1_25partition_config_selectorILNS1_17partition_subalgoE4EjNS0_10empty_typeEbEEZZNS1_14partition_implILS8_4ELb0ES6_15HIP_vector_typeIjLj2EENS0_17counting_iteratorIjlEEPS9_SG_NS0_5tupleIJPjSI_NS0_16reverse_iteratorISI_EEEEENSH_IJSG_SG_SG_EEES9_SI_JZNS1_25segmented_radix_sort_implINS0_14default_configELb1EPKaPaPKlPlN2at6native12_GLOBAL__N_18offset_tEEE10hipError_tPvRmT1_PNSt15iterator_traitsIS12_E10value_typeET2_T3_PNS13_IS18_E10value_typeET4_jRbjT5_S1E_jjP12ihipStream_tbEUljE_ZNSN_ISO_Lb1ESQ_SR_ST_SU_SY_EESZ_S10_S11_S12_S16_S17_S18_S1B_S1C_jS1D_jS1E_S1E_jjS1G_bEUljE0_EEESZ_S10_S11_S18_S1C_S1E_T6_T7_T9_mT8_S1G_bDpT10_ENKUlT_T0_E_clISt17integral_constantIbLb1EES1T_IbLb0EEEEDaS1P_S1Q_EUlS1P_E_NS1_11comp_targetILNS1_3genE2ELNS1_11target_archE906ELNS1_3gpuE6ELNS1_3repE0EEENS1_30default_config_static_selectorELNS0_4arch9wavefront6targetE0EEEvS12_,comdat
.Lfunc_end244:
	.size	_ZN7rocprim17ROCPRIM_400000_NS6detail17trampoline_kernelINS0_13select_configILj256ELj13ELNS0_17block_load_methodE3ELS4_3ELS4_3ELNS0_20block_scan_algorithmE0ELj4294967295EEENS1_25partition_config_selectorILNS1_17partition_subalgoE4EjNS0_10empty_typeEbEEZZNS1_14partition_implILS8_4ELb0ES6_15HIP_vector_typeIjLj2EENS0_17counting_iteratorIjlEEPS9_SG_NS0_5tupleIJPjSI_NS0_16reverse_iteratorISI_EEEEENSH_IJSG_SG_SG_EEES9_SI_JZNS1_25segmented_radix_sort_implINS0_14default_configELb1EPKaPaPKlPlN2at6native12_GLOBAL__N_18offset_tEEE10hipError_tPvRmT1_PNSt15iterator_traitsIS12_E10value_typeET2_T3_PNS13_IS18_E10value_typeET4_jRbjT5_S1E_jjP12ihipStream_tbEUljE_ZNSN_ISO_Lb1ESQ_SR_ST_SU_SY_EESZ_S10_S11_S12_S16_S17_S18_S1B_S1C_jS1D_jS1E_S1E_jjS1G_bEUljE0_EEESZ_S10_S11_S18_S1C_S1E_T6_T7_T9_mT8_S1G_bDpT10_ENKUlT_T0_E_clISt17integral_constantIbLb1EES1T_IbLb0EEEEDaS1P_S1Q_EUlS1P_E_NS1_11comp_targetILNS1_3genE2ELNS1_11target_archE906ELNS1_3gpuE6ELNS1_3repE0EEENS1_30default_config_static_selectorELNS0_4arch9wavefront6targetE0EEEvS12_, .Lfunc_end244-_ZN7rocprim17ROCPRIM_400000_NS6detail17trampoline_kernelINS0_13select_configILj256ELj13ELNS0_17block_load_methodE3ELS4_3ELS4_3ELNS0_20block_scan_algorithmE0ELj4294967295EEENS1_25partition_config_selectorILNS1_17partition_subalgoE4EjNS0_10empty_typeEbEEZZNS1_14partition_implILS8_4ELb0ES6_15HIP_vector_typeIjLj2EENS0_17counting_iteratorIjlEEPS9_SG_NS0_5tupleIJPjSI_NS0_16reverse_iteratorISI_EEEEENSH_IJSG_SG_SG_EEES9_SI_JZNS1_25segmented_radix_sort_implINS0_14default_configELb1EPKaPaPKlPlN2at6native12_GLOBAL__N_18offset_tEEE10hipError_tPvRmT1_PNSt15iterator_traitsIS12_E10value_typeET2_T3_PNS13_IS18_E10value_typeET4_jRbjT5_S1E_jjP12ihipStream_tbEUljE_ZNSN_ISO_Lb1ESQ_SR_ST_SU_SY_EESZ_S10_S11_S12_S16_S17_S18_S1B_S1C_jS1D_jS1E_S1E_jjS1G_bEUljE0_EEESZ_S10_S11_S18_S1C_S1E_T6_T7_T9_mT8_S1G_bDpT10_ENKUlT_T0_E_clISt17integral_constantIbLb1EES1T_IbLb0EEEEDaS1P_S1Q_EUlS1P_E_NS1_11comp_targetILNS1_3genE2ELNS1_11target_archE906ELNS1_3gpuE6ELNS1_3repE0EEENS1_30default_config_static_selectorELNS0_4arch9wavefront6targetE0EEEvS12_
                                        ; -- End function
	.set _ZN7rocprim17ROCPRIM_400000_NS6detail17trampoline_kernelINS0_13select_configILj256ELj13ELNS0_17block_load_methodE3ELS4_3ELS4_3ELNS0_20block_scan_algorithmE0ELj4294967295EEENS1_25partition_config_selectorILNS1_17partition_subalgoE4EjNS0_10empty_typeEbEEZZNS1_14partition_implILS8_4ELb0ES6_15HIP_vector_typeIjLj2EENS0_17counting_iteratorIjlEEPS9_SG_NS0_5tupleIJPjSI_NS0_16reverse_iteratorISI_EEEEENSH_IJSG_SG_SG_EEES9_SI_JZNS1_25segmented_radix_sort_implINS0_14default_configELb1EPKaPaPKlPlN2at6native12_GLOBAL__N_18offset_tEEE10hipError_tPvRmT1_PNSt15iterator_traitsIS12_E10value_typeET2_T3_PNS13_IS18_E10value_typeET4_jRbjT5_S1E_jjP12ihipStream_tbEUljE_ZNSN_ISO_Lb1ESQ_SR_ST_SU_SY_EESZ_S10_S11_S12_S16_S17_S18_S1B_S1C_jS1D_jS1E_S1E_jjS1G_bEUljE0_EEESZ_S10_S11_S18_S1C_S1E_T6_T7_T9_mT8_S1G_bDpT10_ENKUlT_T0_E_clISt17integral_constantIbLb1EES1T_IbLb0EEEEDaS1P_S1Q_EUlS1P_E_NS1_11comp_targetILNS1_3genE2ELNS1_11target_archE906ELNS1_3gpuE6ELNS1_3repE0EEENS1_30default_config_static_selectorELNS0_4arch9wavefront6targetE0EEEvS12_.num_vgpr, 0
	.set _ZN7rocprim17ROCPRIM_400000_NS6detail17trampoline_kernelINS0_13select_configILj256ELj13ELNS0_17block_load_methodE3ELS4_3ELS4_3ELNS0_20block_scan_algorithmE0ELj4294967295EEENS1_25partition_config_selectorILNS1_17partition_subalgoE4EjNS0_10empty_typeEbEEZZNS1_14partition_implILS8_4ELb0ES6_15HIP_vector_typeIjLj2EENS0_17counting_iteratorIjlEEPS9_SG_NS0_5tupleIJPjSI_NS0_16reverse_iteratorISI_EEEEENSH_IJSG_SG_SG_EEES9_SI_JZNS1_25segmented_radix_sort_implINS0_14default_configELb1EPKaPaPKlPlN2at6native12_GLOBAL__N_18offset_tEEE10hipError_tPvRmT1_PNSt15iterator_traitsIS12_E10value_typeET2_T3_PNS13_IS18_E10value_typeET4_jRbjT5_S1E_jjP12ihipStream_tbEUljE_ZNSN_ISO_Lb1ESQ_SR_ST_SU_SY_EESZ_S10_S11_S12_S16_S17_S18_S1B_S1C_jS1D_jS1E_S1E_jjS1G_bEUljE0_EEESZ_S10_S11_S18_S1C_S1E_T6_T7_T9_mT8_S1G_bDpT10_ENKUlT_T0_E_clISt17integral_constantIbLb1EES1T_IbLb0EEEEDaS1P_S1Q_EUlS1P_E_NS1_11comp_targetILNS1_3genE2ELNS1_11target_archE906ELNS1_3gpuE6ELNS1_3repE0EEENS1_30default_config_static_selectorELNS0_4arch9wavefront6targetE0EEEvS12_.num_agpr, 0
	.set _ZN7rocprim17ROCPRIM_400000_NS6detail17trampoline_kernelINS0_13select_configILj256ELj13ELNS0_17block_load_methodE3ELS4_3ELS4_3ELNS0_20block_scan_algorithmE0ELj4294967295EEENS1_25partition_config_selectorILNS1_17partition_subalgoE4EjNS0_10empty_typeEbEEZZNS1_14partition_implILS8_4ELb0ES6_15HIP_vector_typeIjLj2EENS0_17counting_iteratorIjlEEPS9_SG_NS0_5tupleIJPjSI_NS0_16reverse_iteratorISI_EEEEENSH_IJSG_SG_SG_EEES9_SI_JZNS1_25segmented_radix_sort_implINS0_14default_configELb1EPKaPaPKlPlN2at6native12_GLOBAL__N_18offset_tEEE10hipError_tPvRmT1_PNSt15iterator_traitsIS12_E10value_typeET2_T3_PNS13_IS18_E10value_typeET4_jRbjT5_S1E_jjP12ihipStream_tbEUljE_ZNSN_ISO_Lb1ESQ_SR_ST_SU_SY_EESZ_S10_S11_S12_S16_S17_S18_S1B_S1C_jS1D_jS1E_S1E_jjS1G_bEUljE0_EEESZ_S10_S11_S18_S1C_S1E_T6_T7_T9_mT8_S1G_bDpT10_ENKUlT_T0_E_clISt17integral_constantIbLb1EES1T_IbLb0EEEEDaS1P_S1Q_EUlS1P_E_NS1_11comp_targetILNS1_3genE2ELNS1_11target_archE906ELNS1_3gpuE6ELNS1_3repE0EEENS1_30default_config_static_selectorELNS0_4arch9wavefront6targetE0EEEvS12_.numbered_sgpr, 0
	.set _ZN7rocprim17ROCPRIM_400000_NS6detail17trampoline_kernelINS0_13select_configILj256ELj13ELNS0_17block_load_methodE3ELS4_3ELS4_3ELNS0_20block_scan_algorithmE0ELj4294967295EEENS1_25partition_config_selectorILNS1_17partition_subalgoE4EjNS0_10empty_typeEbEEZZNS1_14partition_implILS8_4ELb0ES6_15HIP_vector_typeIjLj2EENS0_17counting_iteratorIjlEEPS9_SG_NS0_5tupleIJPjSI_NS0_16reverse_iteratorISI_EEEEENSH_IJSG_SG_SG_EEES9_SI_JZNS1_25segmented_radix_sort_implINS0_14default_configELb1EPKaPaPKlPlN2at6native12_GLOBAL__N_18offset_tEEE10hipError_tPvRmT1_PNSt15iterator_traitsIS12_E10value_typeET2_T3_PNS13_IS18_E10value_typeET4_jRbjT5_S1E_jjP12ihipStream_tbEUljE_ZNSN_ISO_Lb1ESQ_SR_ST_SU_SY_EESZ_S10_S11_S12_S16_S17_S18_S1B_S1C_jS1D_jS1E_S1E_jjS1G_bEUljE0_EEESZ_S10_S11_S18_S1C_S1E_T6_T7_T9_mT8_S1G_bDpT10_ENKUlT_T0_E_clISt17integral_constantIbLb1EES1T_IbLb0EEEEDaS1P_S1Q_EUlS1P_E_NS1_11comp_targetILNS1_3genE2ELNS1_11target_archE906ELNS1_3gpuE6ELNS1_3repE0EEENS1_30default_config_static_selectorELNS0_4arch9wavefront6targetE0EEEvS12_.num_named_barrier, 0
	.set _ZN7rocprim17ROCPRIM_400000_NS6detail17trampoline_kernelINS0_13select_configILj256ELj13ELNS0_17block_load_methodE3ELS4_3ELS4_3ELNS0_20block_scan_algorithmE0ELj4294967295EEENS1_25partition_config_selectorILNS1_17partition_subalgoE4EjNS0_10empty_typeEbEEZZNS1_14partition_implILS8_4ELb0ES6_15HIP_vector_typeIjLj2EENS0_17counting_iteratorIjlEEPS9_SG_NS0_5tupleIJPjSI_NS0_16reverse_iteratorISI_EEEEENSH_IJSG_SG_SG_EEES9_SI_JZNS1_25segmented_radix_sort_implINS0_14default_configELb1EPKaPaPKlPlN2at6native12_GLOBAL__N_18offset_tEEE10hipError_tPvRmT1_PNSt15iterator_traitsIS12_E10value_typeET2_T3_PNS13_IS18_E10value_typeET4_jRbjT5_S1E_jjP12ihipStream_tbEUljE_ZNSN_ISO_Lb1ESQ_SR_ST_SU_SY_EESZ_S10_S11_S12_S16_S17_S18_S1B_S1C_jS1D_jS1E_S1E_jjS1G_bEUljE0_EEESZ_S10_S11_S18_S1C_S1E_T6_T7_T9_mT8_S1G_bDpT10_ENKUlT_T0_E_clISt17integral_constantIbLb1EES1T_IbLb0EEEEDaS1P_S1Q_EUlS1P_E_NS1_11comp_targetILNS1_3genE2ELNS1_11target_archE906ELNS1_3gpuE6ELNS1_3repE0EEENS1_30default_config_static_selectorELNS0_4arch9wavefront6targetE0EEEvS12_.private_seg_size, 0
	.set _ZN7rocprim17ROCPRIM_400000_NS6detail17trampoline_kernelINS0_13select_configILj256ELj13ELNS0_17block_load_methodE3ELS4_3ELS4_3ELNS0_20block_scan_algorithmE0ELj4294967295EEENS1_25partition_config_selectorILNS1_17partition_subalgoE4EjNS0_10empty_typeEbEEZZNS1_14partition_implILS8_4ELb0ES6_15HIP_vector_typeIjLj2EENS0_17counting_iteratorIjlEEPS9_SG_NS0_5tupleIJPjSI_NS0_16reverse_iteratorISI_EEEEENSH_IJSG_SG_SG_EEES9_SI_JZNS1_25segmented_radix_sort_implINS0_14default_configELb1EPKaPaPKlPlN2at6native12_GLOBAL__N_18offset_tEEE10hipError_tPvRmT1_PNSt15iterator_traitsIS12_E10value_typeET2_T3_PNS13_IS18_E10value_typeET4_jRbjT5_S1E_jjP12ihipStream_tbEUljE_ZNSN_ISO_Lb1ESQ_SR_ST_SU_SY_EESZ_S10_S11_S12_S16_S17_S18_S1B_S1C_jS1D_jS1E_S1E_jjS1G_bEUljE0_EEESZ_S10_S11_S18_S1C_S1E_T6_T7_T9_mT8_S1G_bDpT10_ENKUlT_T0_E_clISt17integral_constantIbLb1EES1T_IbLb0EEEEDaS1P_S1Q_EUlS1P_E_NS1_11comp_targetILNS1_3genE2ELNS1_11target_archE906ELNS1_3gpuE6ELNS1_3repE0EEENS1_30default_config_static_selectorELNS0_4arch9wavefront6targetE0EEEvS12_.uses_vcc, 0
	.set _ZN7rocprim17ROCPRIM_400000_NS6detail17trampoline_kernelINS0_13select_configILj256ELj13ELNS0_17block_load_methodE3ELS4_3ELS4_3ELNS0_20block_scan_algorithmE0ELj4294967295EEENS1_25partition_config_selectorILNS1_17partition_subalgoE4EjNS0_10empty_typeEbEEZZNS1_14partition_implILS8_4ELb0ES6_15HIP_vector_typeIjLj2EENS0_17counting_iteratorIjlEEPS9_SG_NS0_5tupleIJPjSI_NS0_16reverse_iteratorISI_EEEEENSH_IJSG_SG_SG_EEES9_SI_JZNS1_25segmented_radix_sort_implINS0_14default_configELb1EPKaPaPKlPlN2at6native12_GLOBAL__N_18offset_tEEE10hipError_tPvRmT1_PNSt15iterator_traitsIS12_E10value_typeET2_T3_PNS13_IS18_E10value_typeET4_jRbjT5_S1E_jjP12ihipStream_tbEUljE_ZNSN_ISO_Lb1ESQ_SR_ST_SU_SY_EESZ_S10_S11_S12_S16_S17_S18_S1B_S1C_jS1D_jS1E_S1E_jjS1G_bEUljE0_EEESZ_S10_S11_S18_S1C_S1E_T6_T7_T9_mT8_S1G_bDpT10_ENKUlT_T0_E_clISt17integral_constantIbLb1EES1T_IbLb0EEEEDaS1P_S1Q_EUlS1P_E_NS1_11comp_targetILNS1_3genE2ELNS1_11target_archE906ELNS1_3gpuE6ELNS1_3repE0EEENS1_30default_config_static_selectorELNS0_4arch9wavefront6targetE0EEEvS12_.uses_flat_scratch, 0
	.set _ZN7rocprim17ROCPRIM_400000_NS6detail17trampoline_kernelINS0_13select_configILj256ELj13ELNS0_17block_load_methodE3ELS4_3ELS4_3ELNS0_20block_scan_algorithmE0ELj4294967295EEENS1_25partition_config_selectorILNS1_17partition_subalgoE4EjNS0_10empty_typeEbEEZZNS1_14partition_implILS8_4ELb0ES6_15HIP_vector_typeIjLj2EENS0_17counting_iteratorIjlEEPS9_SG_NS0_5tupleIJPjSI_NS0_16reverse_iteratorISI_EEEEENSH_IJSG_SG_SG_EEES9_SI_JZNS1_25segmented_radix_sort_implINS0_14default_configELb1EPKaPaPKlPlN2at6native12_GLOBAL__N_18offset_tEEE10hipError_tPvRmT1_PNSt15iterator_traitsIS12_E10value_typeET2_T3_PNS13_IS18_E10value_typeET4_jRbjT5_S1E_jjP12ihipStream_tbEUljE_ZNSN_ISO_Lb1ESQ_SR_ST_SU_SY_EESZ_S10_S11_S12_S16_S17_S18_S1B_S1C_jS1D_jS1E_S1E_jjS1G_bEUljE0_EEESZ_S10_S11_S18_S1C_S1E_T6_T7_T9_mT8_S1G_bDpT10_ENKUlT_T0_E_clISt17integral_constantIbLb1EES1T_IbLb0EEEEDaS1P_S1Q_EUlS1P_E_NS1_11comp_targetILNS1_3genE2ELNS1_11target_archE906ELNS1_3gpuE6ELNS1_3repE0EEENS1_30default_config_static_selectorELNS0_4arch9wavefront6targetE0EEEvS12_.has_dyn_sized_stack, 0
	.set _ZN7rocprim17ROCPRIM_400000_NS6detail17trampoline_kernelINS0_13select_configILj256ELj13ELNS0_17block_load_methodE3ELS4_3ELS4_3ELNS0_20block_scan_algorithmE0ELj4294967295EEENS1_25partition_config_selectorILNS1_17partition_subalgoE4EjNS0_10empty_typeEbEEZZNS1_14partition_implILS8_4ELb0ES6_15HIP_vector_typeIjLj2EENS0_17counting_iteratorIjlEEPS9_SG_NS0_5tupleIJPjSI_NS0_16reverse_iteratorISI_EEEEENSH_IJSG_SG_SG_EEES9_SI_JZNS1_25segmented_radix_sort_implINS0_14default_configELb1EPKaPaPKlPlN2at6native12_GLOBAL__N_18offset_tEEE10hipError_tPvRmT1_PNSt15iterator_traitsIS12_E10value_typeET2_T3_PNS13_IS18_E10value_typeET4_jRbjT5_S1E_jjP12ihipStream_tbEUljE_ZNSN_ISO_Lb1ESQ_SR_ST_SU_SY_EESZ_S10_S11_S12_S16_S17_S18_S1B_S1C_jS1D_jS1E_S1E_jjS1G_bEUljE0_EEESZ_S10_S11_S18_S1C_S1E_T6_T7_T9_mT8_S1G_bDpT10_ENKUlT_T0_E_clISt17integral_constantIbLb1EES1T_IbLb0EEEEDaS1P_S1Q_EUlS1P_E_NS1_11comp_targetILNS1_3genE2ELNS1_11target_archE906ELNS1_3gpuE6ELNS1_3repE0EEENS1_30default_config_static_selectorELNS0_4arch9wavefront6targetE0EEEvS12_.has_recursion, 0
	.set _ZN7rocprim17ROCPRIM_400000_NS6detail17trampoline_kernelINS0_13select_configILj256ELj13ELNS0_17block_load_methodE3ELS4_3ELS4_3ELNS0_20block_scan_algorithmE0ELj4294967295EEENS1_25partition_config_selectorILNS1_17partition_subalgoE4EjNS0_10empty_typeEbEEZZNS1_14partition_implILS8_4ELb0ES6_15HIP_vector_typeIjLj2EENS0_17counting_iteratorIjlEEPS9_SG_NS0_5tupleIJPjSI_NS0_16reverse_iteratorISI_EEEEENSH_IJSG_SG_SG_EEES9_SI_JZNS1_25segmented_radix_sort_implINS0_14default_configELb1EPKaPaPKlPlN2at6native12_GLOBAL__N_18offset_tEEE10hipError_tPvRmT1_PNSt15iterator_traitsIS12_E10value_typeET2_T3_PNS13_IS18_E10value_typeET4_jRbjT5_S1E_jjP12ihipStream_tbEUljE_ZNSN_ISO_Lb1ESQ_SR_ST_SU_SY_EESZ_S10_S11_S12_S16_S17_S18_S1B_S1C_jS1D_jS1E_S1E_jjS1G_bEUljE0_EEESZ_S10_S11_S18_S1C_S1E_T6_T7_T9_mT8_S1G_bDpT10_ENKUlT_T0_E_clISt17integral_constantIbLb1EES1T_IbLb0EEEEDaS1P_S1Q_EUlS1P_E_NS1_11comp_targetILNS1_3genE2ELNS1_11target_archE906ELNS1_3gpuE6ELNS1_3repE0EEENS1_30default_config_static_selectorELNS0_4arch9wavefront6targetE0EEEvS12_.has_indirect_call, 0
	.section	.AMDGPU.csdata,"",@progbits
; Kernel info:
; codeLenInByte = 0
; TotalNumSgprs: 0
; NumVgprs: 0
; ScratchSize: 0
; MemoryBound: 0
; FloatMode: 240
; IeeeMode: 1
; LDSByteSize: 0 bytes/workgroup (compile time only)
; SGPRBlocks: 0
; VGPRBlocks: 0
; NumSGPRsForWavesPerEU: 1
; NumVGPRsForWavesPerEU: 1
; Occupancy: 16
; WaveLimiterHint : 0
; COMPUTE_PGM_RSRC2:SCRATCH_EN: 0
; COMPUTE_PGM_RSRC2:USER_SGPR: 6
; COMPUTE_PGM_RSRC2:TRAP_HANDLER: 0
; COMPUTE_PGM_RSRC2:TGID_X_EN: 1
; COMPUTE_PGM_RSRC2:TGID_Y_EN: 0
; COMPUTE_PGM_RSRC2:TGID_Z_EN: 0
; COMPUTE_PGM_RSRC2:TIDIG_COMP_CNT: 0
	.section	.text._ZN7rocprim17ROCPRIM_400000_NS6detail17trampoline_kernelINS0_13select_configILj256ELj13ELNS0_17block_load_methodE3ELS4_3ELS4_3ELNS0_20block_scan_algorithmE0ELj4294967295EEENS1_25partition_config_selectorILNS1_17partition_subalgoE4EjNS0_10empty_typeEbEEZZNS1_14partition_implILS8_4ELb0ES6_15HIP_vector_typeIjLj2EENS0_17counting_iteratorIjlEEPS9_SG_NS0_5tupleIJPjSI_NS0_16reverse_iteratorISI_EEEEENSH_IJSG_SG_SG_EEES9_SI_JZNS1_25segmented_radix_sort_implINS0_14default_configELb1EPKaPaPKlPlN2at6native12_GLOBAL__N_18offset_tEEE10hipError_tPvRmT1_PNSt15iterator_traitsIS12_E10value_typeET2_T3_PNS13_IS18_E10value_typeET4_jRbjT5_S1E_jjP12ihipStream_tbEUljE_ZNSN_ISO_Lb1ESQ_SR_ST_SU_SY_EESZ_S10_S11_S12_S16_S17_S18_S1B_S1C_jS1D_jS1E_S1E_jjS1G_bEUljE0_EEESZ_S10_S11_S18_S1C_S1E_T6_T7_T9_mT8_S1G_bDpT10_ENKUlT_T0_E_clISt17integral_constantIbLb1EES1T_IbLb0EEEEDaS1P_S1Q_EUlS1P_E_NS1_11comp_targetILNS1_3genE10ELNS1_11target_archE1200ELNS1_3gpuE4ELNS1_3repE0EEENS1_30default_config_static_selectorELNS0_4arch9wavefront6targetE0EEEvS12_,"axG",@progbits,_ZN7rocprim17ROCPRIM_400000_NS6detail17trampoline_kernelINS0_13select_configILj256ELj13ELNS0_17block_load_methodE3ELS4_3ELS4_3ELNS0_20block_scan_algorithmE0ELj4294967295EEENS1_25partition_config_selectorILNS1_17partition_subalgoE4EjNS0_10empty_typeEbEEZZNS1_14partition_implILS8_4ELb0ES6_15HIP_vector_typeIjLj2EENS0_17counting_iteratorIjlEEPS9_SG_NS0_5tupleIJPjSI_NS0_16reverse_iteratorISI_EEEEENSH_IJSG_SG_SG_EEES9_SI_JZNS1_25segmented_radix_sort_implINS0_14default_configELb1EPKaPaPKlPlN2at6native12_GLOBAL__N_18offset_tEEE10hipError_tPvRmT1_PNSt15iterator_traitsIS12_E10value_typeET2_T3_PNS13_IS18_E10value_typeET4_jRbjT5_S1E_jjP12ihipStream_tbEUljE_ZNSN_ISO_Lb1ESQ_SR_ST_SU_SY_EESZ_S10_S11_S12_S16_S17_S18_S1B_S1C_jS1D_jS1E_S1E_jjS1G_bEUljE0_EEESZ_S10_S11_S18_S1C_S1E_T6_T7_T9_mT8_S1G_bDpT10_ENKUlT_T0_E_clISt17integral_constantIbLb1EES1T_IbLb0EEEEDaS1P_S1Q_EUlS1P_E_NS1_11comp_targetILNS1_3genE10ELNS1_11target_archE1200ELNS1_3gpuE4ELNS1_3repE0EEENS1_30default_config_static_selectorELNS0_4arch9wavefront6targetE0EEEvS12_,comdat
	.globl	_ZN7rocprim17ROCPRIM_400000_NS6detail17trampoline_kernelINS0_13select_configILj256ELj13ELNS0_17block_load_methodE3ELS4_3ELS4_3ELNS0_20block_scan_algorithmE0ELj4294967295EEENS1_25partition_config_selectorILNS1_17partition_subalgoE4EjNS0_10empty_typeEbEEZZNS1_14partition_implILS8_4ELb0ES6_15HIP_vector_typeIjLj2EENS0_17counting_iteratorIjlEEPS9_SG_NS0_5tupleIJPjSI_NS0_16reverse_iteratorISI_EEEEENSH_IJSG_SG_SG_EEES9_SI_JZNS1_25segmented_radix_sort_implINS0_14default_configELb1EPKaPaPKlPlN2at6native12_GLOBAL__N_18offset_tEEE10hipError_tPvRmT1_PNSt15iterator_traitsIS12_E10value_typeET2_T3_PNS13_IS18_E10value_typeET4_jRbjT5_S1E_jjP12ihipStream_tbEUljE_ZNSN_ISO_Lb1ESQ_SR_ST_SU_SY_EESZ_S10_S11_S12_S16_S17_S18_S1B_S1C_jS1D_jS1E_S1E_jjS1G_bEUljE0_EEESZ_S10_S11_S18_S1C_S1E_T6_T7_T9_mT8_S1G_bDpT10_ENKUlT_T0_E_clISt17integral_constantIbLb1EES1T_IbLb0EEEEDaS1P_S1Q_EUlS1P_E_NS1_11comp_targetILNS1_3genE10ELNS1_11target_archE1200ELNS1_3gpuE4ELNS1_3repE0EEENS1_30default_config_static_selectorELNS0_4arch9wavefront6targetE0EEEvS12_ ; -- Begin function _ZN7rocprim17ROCPRIM_400000_NS6detail17trampoline_kernelINS0_13select_configILj256ELj13ELNS0_17block_load_methodE3ELS4_3ELS4_3ELNS0_20block_scan_algorithmE0ELj4294967295EEENS1_25partition_config_selectorILNS1_17partition_subalgoE4EjNS0_10empty_typeEbEEZZNS1_14partition_implILS8_4ELb0ES6_15HIP_vector_typeIjLj2EENS0_17counting_iteratorIjlEEPS9_SG_NS0_5tupleIJPjSI_NS0_16reverse_iteratorISI_EEEEENSH_IJSG_SG_SG_EEES9_SI_JZNS1_25segmented_radix_sort_implINS0_14default_configELb1EPKaPaPKlPlN2at6native12_GLOBAL__N_18offset_tEEE10hipError_tPvRmT1_PNSt15iterator_traitsIS12_E10value_typeET2_T3_PNS13_IS18_E10value_typeET4_jRbjT5_S1E_jjP12ihipStream_tbEUljE_ZNSN_ISO_Lb1ESQ_SR_ST_SU_SY_EESZ_S10_S11_S12_S16_S17_S18_S1B_S1C_jS1D_jS1E_S1E_jjS1G_bEUljE0_EEESZ_S10_S11_S18_S1C_S1E_T6_T7_T9_mT8_S1G_bDpT10_ENKUlT_T0_E_clISt17integral_constantIbLb1EES1T_IbLb0EEEEDaS1P_S1Q_EUlS1P_E_NS1_11comp_targetILNS1_3genE10ELNS1_11target_archE1200ELNS1_3gpuE4ELNS1_3repE0EEENS1_30default_config_static_selectorELNS0_4arch9wavefront6targetE0EEEvS12_
	.p2align	8
	.type	_ZN7rocprim17ROCPRIM_400000_NS6detail17trampoline_kernelINS0_13select_configILj256ELj13ELNS0_17block_load_methodE3ELS4_3ELS4_3ELNS0_20block_scan_algorithmE0ELj4294967295EEENS1_25partition_config_selectorILNS1_17partition_subalgoE4EjNS0_10empty_typeEbEEZZNS1_14partition_implILS8_4ELb0ES6_15HIP_vector_typeIjLj2EENS0_17counting_iteratorIjlEEPS9_SG_NS0_5tupleIJPjSI_NS0_16reverse_iteratorISI_EEEEENSH_IJSG_SG_SG_EEES9_SI_JZNS1_25segmented_radix_sort_implINS0_14default_configELb1EPKaPaPKlPlN2at6native12_GLOBAL__N_18offset_tEEE10hipError_tPvRmT1_PNSt15iterator_traitsIS12_E10value_typeET2_T3_PNS13_IS18_E10value_typeET4_jRbjT5_S1E_jjP12ihipStream_tbEUljE_ZNSN_ISO_Lb1ESQ_SR_ST_SU_SY_EESZ_S10_S11_S12_S16_S17_S18_S1B_S1C_jS1D_jS1E_S1E_jjS1G_bEUljE0_EEESZ_S10_S11_S18_S1C_S1E_T6_T7_T9_mT8_S1G_bDpT10_ENKUlT_T0_E_clISt17integral_constantIbLb1EES1T_IbLb0EEEEDaS1P_S1Q_EUlS1P_E_NS1_11comp_targetILNS1_3genE10ELNS1_11target_archE1200ELNS1_3gpuE4ELNS1_3repE0EEENS1_30default_config_static_selectorELNS0_4arch9wavefront6targetE0EEEvS12_,@function
_ZN7rocprim17ROCPRIM_400000_NS6detail17trampoline_kernelINS0_13select_configILj256ELj13ELNS0_17block_load_methodE3ELS4_3ELS4_3ELNS0_20block_scan_algorithmE0ELj4294967295EEENS1_25partition_config_selectorILNS1_17partition_subalgoE4EjNS0_10empty_typeEbEEZZNS1_14partition_implILS8_4ELb0ES6_15HIP_vector_typeIjLj2EENS0_17counting_iteratorIjlEEPS9_SG_NS0_5tupleIJPjSI_NS0_16reverse_iteratorISI_EEEEENSH_IJSG_SG_SG_EEES9_SI_JZNS1_25segmented_radix_sort_implINS0_14default_configELb1EPKaPaPKlPlN2at6native12_GLOBAL__N_18offset_tEEE10hipError_tPvRmT1_PNSt15iterator_traitsIS12_E10value_typeET2_T3_PNS13_IS18_E10value_typeET4_jRbjT5_S1E_jjP12ihipStream_tbEUljE_ZNSN_ISO_Lb1ESQ_SR_ST_SU_SY_EESZ_S10_S11_S12_S16_S17_S18_S1B_S1C_jS1D_jS1E_S1E_jjS1G_bEUljE0_EEESZ_S10_S11_S18_S1C_S1E_T6_T7_T9_mT8_S1G_bDpT10_ENKUlT_T0_E_clISt17integral_constantIbLb1EES1T_IbLb0EEEEDaS1P_S1Q_EUlS1P_E_NS1_11comp_targetILNS1_3genE10ELNS1_11target_archE1200ELNS1_3gpuE4ELNS1_3repE0EEENS1_30default_config_static_selectorELNS0_4arch9wavefront6targetE0EEEvS12_: ; @_ZN7rocprim17ROCPRIM_400000_NS6detail17trampoline_kernelINS0_13select_configILj256ELj13ELNS0_17block_load_methodE3ELS4_3ELS4_3ELNS0_20block_scan_algorithmE0ELj4294967295EEENS1_25partition_config_selectorILNS1_17partition_subalgoE4EjNS0_10empty_typeEbEEZZNS1_14partition_implILS8_4ELb0ES6_15HIP_vector_typeIjLj2EENS0_17counting_iteratorIjlEEPS9_SG_NS0_5tupleIJPjSI_NS0_16reverse_iteratorISI_EEEEENSH_IJSG_SG_SG_EEES9_SI_JZNS1_25segmented_radix_sort_implINS0_14default_configELb1EPKaPaPKlPlN2at6native12_GLOBAL__N_18offset_tEEE10hipError_tPvRmT1_PNSt15iterator_traitsIS12_E10value_typeET2_T3_PNS13_IS18_E10value_typeET4_jRbjT5_S1E_jjP12ihipStream_tbEUljE_ZNSN_ISO_Lb1ESQ_SR_ST_SU_SY_EESZ_S10_S11_S12_S16_S17_S18_S1B_S1C_jS1D_jS1E_S1E_jjS1G_bEUljE0_EEESZ_S10_S11_S18_S1C_S1E_T6_T7_T9_mT8_S1G_bDpT10_ENKUlT_T0_E_clISt17integral_constantIbLb1EES1T_IbLb0EEEEDaS1P_S1Q_EUlS1P_E_NS1_11comp_targetILNS1_3genE10ELNS1_11target_archE1200ELNS1_3gpuE4ELNS1_3repE0EEENS1_30default_config_static_selectorELNS0_4arch9wavefront6targetE0EEEvS12_
; %bb.0:
	.section	.rodata,"a",@progbits
	.p2align	6, 0x0
	.amdhsa_kernel _ZN7rocprim17ROCPRIM_400000_NS6detail17trampoline_kernelINS0_13select_configILj256ELj13ELNS0_17block_load_methodE3ELS4_3ELS4_3ELNS0_20block_scan_algorithmE0ELj4294967295EEENS1_25partition_config_selectorILNS1_17partition_subalgoE4EjNS0_10empty_typeEbEEZZNS1_14partition_implILS8_4ELb0ES6_15HIP_vector_typeIjLj2EENS0_17counting_iteratorIjlEEPS9_SG_NS0_5tupleIJPjSI_NS0_16reverse_iteratorISI_EEEEENSH_IJSG_SG_SG_EEES9_SI_JZNS1_25segmented_radix_sort_implINS0_14default_configELb1EPKaPaPKlPlN2at6native12_GLOBAL__N_18offset_tEEE10hipError_tPvRmT1_PNSt15iterator_traitsIS12_E10value_typeET2_T3_PNS13_IS18_E10value_typeET4_jRbjT5_S1E_jjP12ihipStream_tbEUljE_ZNSN_ISO_Lb1ESQ_SR_ST_SU_SY_EESZ_S10_S11_S12_S16_S17_S18_S1B_S1C_jS1D_jS1E_S1E_jjS1G_bEUljE0_EEESZ_S10_S11_S18_S1C_S1E_T6_T7_T9_mT8_S1G_bDpT10_ENKUlT_T0_E_clISt17integral_constantIbLb1EES1T_IbLb0EEEEDaS1P_S1Q_EUlS1P_E_NS1_11comp_targetILNS1_3genE10ELNS1_11target_archE1200ELNS1_3gpuE4ELNS1_3repE0EEENS1_30default_config_static_selectorELNS0_4arch9wavefront6targetE0EEEvS12_
		.amdhsa_group_segment_fixed_size 0
		.amdhsa_private_segment_fixed_size 0
		.amdhsa_kernarg_size 176
		.amdhsa_user_sgpr_count 6
		.amdhsa_user_sgpr_private_segment_buffer 1
		.amdhsa_user_sgpr_dispatch_ptr 0
		.amdhsa_user_sgpr_queue_ptr 0
		.amdhsa_user_sgpr_kernarg_segment_ptr 1
		.amdhsa_user_sgpr_dispatch_id 0
		.amdhsa_user_sgpr_flat_scratch_init 0
		.amdhsa_user_sgpr_private_segment_size 0
		.amdhsa_wavefront_size32 1
		.amdhsa_uses_dynamic_stack 0
		.amdhsa_system_sgpr_private_segment_wavefront_offset 0
		.amdhsa_system_sgpr_workgroup_id_x 1
		.amdhsa_system_sgpr_workgroup_id_y 0
		.amdhsa_system_sgpr_workgroup_id_z 0
		.amdhsa_system_sgpr_workgroup_info 0
		.amdhsa_system_vgpr_workitem_id 0
		.amdhsa_next_free_vgpr 1
		.amdhsa_next_free_sgpr 1
		.amdhsa_reserve_vcc 0
		.amdhsa_reserve_flat_scratch 0
		.amdhsa_float_round_mode_32 0
		.amdhsa_float_round_mode_16_64 0
		.amdhsa_float_denorm_mode_32 3
		.amdhsa_float_denorm_mode_16_64 3
		.amdhsa_dx10_clamp 1
		.amdhsa_ieee_mode 1
		.amdhsa_fp16_overflow 0
		.amdhsa_workgroup_processor_mode 1
		.amdhsa_memory_ordered 1
		.amdhsa_forward_progress 1
		.amdhsa_shared_vgpr_count 0
		.amdhsa_exception_fp_ieee_invalid_op 0
		.amdhsa_exception_fp_denorm_src 0
		.amdhsa_exception_fp_ieee_div_zero 0
		.amdhsa_exception_fp_ieee_overflow 0
		.amdhsa_exception_fp_ieee_underflow 0
		.amdhsa_exception_fp_ieee_inexact 0
		.amdhsa_exception_int_div_zero 0
	.end_amdhsa_kernel
	.section	.text._ZN7rocprim17ROCPRIM_400000_NS6detail17trampoline_kernelINS0_13select_configILj256ELj13ELNS0_17block_load_methodE3ELS4_3ELS4_3ELNS0_20block_scan_algorithmE0ELj4294967295EEENS1_25partition_config_selectorILNS1_17partition_subalgoE4EjNS0_10empty_typeEbEEZZNS1_14partition_implILS8_4ELb0ES6_15HIP_vector_typeIjLj2EENS0_17counting_iteratorIjlEEPS9_SG_NS0_5tupleIJPjSI_NS0_16reverse_iteratorISI_EEEEENSH_IJSG_SG_SG_EEES9_SI_JZNS1_25segmented_radix_sort_implINS0_14default_configELb1EPKaPaPKlPlN2at6native12_GLOBAL__N_18offset_tEEE10hipError_tPvRmT1_PNSt15iterator_traitsIS12_E10value_typeET2_T3_PNS13_IS18_E10value_typeET4_jRbjT5_S1E_jjP12ihipStream_tbEUljE_ZNSN_ISO_Lb1ESQ_SR_ST_SU_SY_EESZ_S10_S11_S12_S16_S17_S18_S1B_S1C_jS1D_jS1E_S1E_jjS1G_bEUljE0_EEESZ_S10_S11_S18_S1C_S1E_T6_T7_T9_mT8_S1G_bDpT10_ENKUlT_T0_E_clISt17integral_constantIbLb1EES1T_IbLb0EEEEDaS1P_S1Q_EUlS1P_E_NS1_11comp_targetILNS1_3genE10ELNS1_11target_archE1200ELNS1_3gpuE4ELNS1_3repE0EEENS1_30default_config_static_selectorELNS0_4arch9wavefront6targetE0EEEvS12_,"axG",@progbits,_ZN7rocprim17ROCPRIM_400000_NS6detail17trampoline_kernelINS0_13select_configILj256ELj13ELNS0_17block_load_methodE3ELS4_3ELS4_3ELNS0_20block_scan_algorithmE0ELj4294967295EEENS1_25partition_config_selectorILNS1_17partition_subalgoE4EjNS0_10empty_typeEbEEZZNS1_14partition_implILS8_4ELb0ES6_15HIP_vector_typeIjLj2EENS0_17counting_iteratorIjlEEPS9_SG_NS0_5tupleIJPjSI_NS0_16reverse_iteratorISI_EEEEENSH_IJSG_SG_SG_EEES9_SI_JZNS1_25segmented_radix_sort_implINS0_14default_configELb1EPKaPaPKlPlN2at6native12_GLOBAL__N_18offset_tEEE10hipError_tPvRmT1_PNSt15iterator_traitsIS12_E10value_typeET2_T3_PNS13_IS18_E10value_typeET4_jRbjT5_S1E_jjP12ihipStream_tbEUljE_ZNSN_ISO_Lb1ESQ_SR_ST_SU_SY_EESZ_S10_S11_S12_S16_S17_S18_S1B_S1C_jS1D_jS1E_S1E_jjS1G_bEUljE0_EEESZ_S10_S11_S18_S1C_S1E_T6_T7_T9_mT8_S1G_bDpT10_ENKUlT_T0_E_clISt17integral_constantIbLb1EES1T_IbLb0EEEEDaS1P_S1Q_EUlS1P_E_NS1_11comp_targetILNS1_3genE10ELNS1_11target_archE1200ELNS1_3gpuE4ELNS1_3repE0EEENS1_30default_config_static_selectorELNS0_4arch9wavefront6targetE0EEEvS12_,comdat
.Lfunc_end245:
	.size	_ZN7rocprim17ROCPRIM_400000_NS6detail17trampoline_kernelINS0_13select_configILj256ELj13ELNS0_17block_load_methodE3ELS4_3ELS4_3ELNS0_20block_scan_algorithmE0ELj4294967295EEENS1_25partition_config_selectorILNS1_17partition_subalgoE4EjNS0_10empty_typeEbEEZZNS1_14partition_implILS8_4ELb0ES6_15HIP_vector_typeIjLj2EENS0_17counting_iteratorIjlEEPS9_SG_NS0_5tupleIJPjSI_NS0_16reverse_iteratorISI_EEEEENSH_IJSG_SG_SG_EEES9_SI_JZNS1_25segmented_radix_sort_implINS0_14default_configELb1EPKaPaPKlPlN2at6native12_GLOBAL__N_18offset_tEEE10hipError_tPvRmT1_PNSt15iterator_traitsIS12_E10value_typeET2_T3_PNS13_IS18_E10value_typeET4_jRbjT5_S1E_jjP12ihipStream_tbEUljE_ZNSN_ISO_Lb1ESQ_SR_ST_SU_SY_EESZ_S10_S11_S12_S16_S17_S18_S1B_S1C_jS1D_jS1E_S1E_jjS1G_bEUljE0_EEESZ_S10_S11_S18_S1C_S1E_T6_T7_T9_mT8_S1G_bDpT10_ENKUlT_T0_E_clISt17integral_constantIbLb1EES1T_IbLb0EEEEDaS1P_S1Q_EUlS1P_E_NS1_11comp_targetILNS1_3genE10ELNS1_11target_archE1200ELNS1_3gpuE4ELNS1_3repE0EEENS1_30default_config_static_selectorELNS0_4arch9wavefront6targetE0EEEvS12_, .Lfunc_end245-_ZN7rocprim17ROCPRIM_400000_NS6detail17trampoline_kernelINS0_13select_configILj256ELj13ELNS0_17block_load_methodE3ELS4_3ELS4_3ELNS0_20block_scan_algorithmE0ELj4294967295EEENS1_25partition_config_selectorILNS1_17partition_subalgoE4EjNS0_10empty_typeEbEEZZNS1_14partition_implILS8_4ELb0ES6_15HIP_vector_typeIjLj2EENS0_17counting_iteratorIjlEEPS9_SG_NS0_5tupleIJPjSI_NS0_16reverse_iteratorISI_EEEEENSH_IJSG_SG_SG_EEES9_SI_JZNS1_25segmented_radix_sort_implINS0_14default_configELb1EPKaPaPKlPlN2at6native12_GLOBAL__N_18offset_tEEE10hipError_tPvRmT1_PNSt15iterator_traitsIS12_E10value_typeET2_T3_PNS13_IS18_E10value_typeET4_jRbjT5_S1E_jjP12ihipStream_tbEUljE_ZNSN_ISO_Lb1ESQ_SR_ST_SU_SY_EESZ_S10_S11_S12_S16_S17_S18_S1B_S1C_jS1D_jS1E_S1E_jjS1G_bEUljE0_EEESZ_S10_S11_S18_S1C_S1E_T6_T7_T9_mT8_S1G_bDpT10_ENKUlT_T0_E_clISt17integral_constantIbLb1EES1T_IbLb0EEEEDaS1P_S1Q_EUlS1P_E_NS1_11comp_targetILNS1_3genE10ELNS1_11target_archE1200ELNS1_3gpuE4ELNS1_3repE0EEENS1_30default_config_static_selectorELNS0_4arch9wavefront6targetE0EEEvS12_
                                        ; -- End function
	.set _ZN7rocprim17ROCPRIM_400000_NS6detail17trampoline_kernelINS0_13select_configILj256ELj13ELNS0_17block_load_methodE3ELS4_3ELS4_3ELNS0_20block_scan_algorithmE0ELj4294967295EEENS1_25partition_config_selectorILNS1_17partition_subalgoE4EjNS0_10empty_typeEbEEZZNS1_14partition_implILS8_4ELb0ES6_15HIP_vector_typeIjLj2EENS0_17counting_iteratorIjlEEPS9_SG_NS0_5tupleIJPjSI_NS0_16reverse_iteratorISI_EEEEENSH_IJSG_SG_SG_EEES9_SI_JZNS1_25segmented_radix_sort_implINS0_14default_configELb1EPKaPaPKlPlN2at6native12_GLOBAL__N_18offset_tEEE10hipError_tPvRmT1_PNSt15iterator_traitsIS12_E10value_typeET2_T3_PNS13_IS18_E10value_typeET4_jRbjT5_S1E_jjP12ihipStream_tbEUljE_ZNSN_ISO_Lb1ESQ_SR_ST_SU_SY_EESZ_S10_S11_S12_S16_S17_S18_S1B_S1C_jS1D_jS1E_S1E_jjS1G_bEUljE0_EEESZ_S10_S11_S18_S1C_S1E_T6_T7_T9_mT8_S1G_bDpT10_ENKUlT_T0_E_clISt17integral_constantIbLb1EES1T_IbLb0EEEEDaS1P_S1Q_EUlS1P_E_NS1_11comp_targetILNS1_3genE10ELNS1_11target_archE1200ELNS1_3gpuE4ELNS1_3repE0EEENS1_30default_config_static_selectorELNS0_4arch9wavefront6targetE0EEEvS12_.num_vgpr, 0
	.set _ZN7rocprim17ROCPRIM_400000_NS6detail17trampoline_kernelINS0_13select_configILj256ELj13ELNS0_17block_load_methodE3ELS4_3ELS4_3ELNS0_20block_scan_algorithmE0ELj4294967295EEENS1_25partition_config_selectorILNS1_17partition_subalgoE4EjNS0_10empty_typeEbEEZZNS1_14partition_implILS8_4ELb0ES6_15HIP_vector_typeIjLj2EENS0_17counting_iteratorIjlEEPS9_SG_NS0_5tupleIJPjSI_NS0_16reverse_iteratorISI_EEEEENSH_IJSG_SG_SG_EEES9_SI_JZNS1_25segmented_radix_sort_implINS0_14default_configELb1EPKaPaPKlPlN2at6native12_GLOBAL__N_18offset_tEEE10hipError_tPvRmT1_PNSt15iterator_traitsIS12_E10value_typeET2_T3_PNS13_IS18_E10value_typeET4_jRbjT5_S1E_jjP12ihipStream_tbEUljE_ZNSN_ISO_Lb1ESQ_SR_ST_SU_SY_EESZ_S10_S11_S12_S16_S17_S18_S1B_S1C_jS1D_jS1E_S1E_jjS1G_bEUljE0_EEESZ_S10_S11_S18_S1C_S1E_T6_T7_T9_mT8_S1G_bDpT10_ENKUlT_T0_E_clISt17integral_constantIbLb1EES1T_IbLb0EEEEDaS1P_S1Q_EUlS1P_E_NS1_11comp_targetILNS1_3genE10ELNS1_11target_archE1200ELNS1_3gpuE4ELNS1_3repE0EEENS1_30default_config_static_selectorELNS0_4arch9wavefront6targetE0EEEvS12_.num_agpr, 0
	.set _ZN7rocprim17ROCPRIM_400000_NS6detail17trampoline_kernelINS0_13select_configILj256ELj13ELNS0_17block_load_methodE3ELS4_3ELS4_3ELNS0_20block_scan_algorithmE0ELj4294967295EEENS1_25partition_config_selectorILNS1_17partition_subalgoE4EjNS0_10empty_typeEbEEZZNS1_14partition_implILS8_4ELb0ES6_15HIP_vector_typeIjLj2EENS0_17counting_iteratorIjlEEPS9_SG_NS0_5tupleIJPjSI_NS0_16reverse_iteratorISI_EEEEENSH_IJSG_SG_SG_EEES9_SI_JZNS1_25segmented_radix_sort_implINS0_14default_configELb1EPKaPaPKlPlN2at6native12_GLOBAL__N_18offset_tEEE10hipError_tPvRmT1_PNSt15iterator_traitsIS12_E10value_typeET2_T3_PNS13_IS18_E10value_typeET4_jRbjT5_S1E_jjP12ihipStream_tbEUljE_ZNSN_ISO_Lb1ESQ_SR_ST_SU_SY_EESZ_S10_S11_S12_S16_S17_S18_S1B_S1C_jS1D_jS1E_S1E_jjS1G_bEUljE0_EEESZ_S10_S11_S18_S1C_S1E_T6_T7_T9_mT8_S1G_bDpT10_ENKUlT_T0_E_clISt17integral_constantIbLb1EES1T_IbLb0EEEEDaS1P_S1Q_EUlS1P_E_NS1_11comp_targetILNS1_3genE10ELNS1_11target_archE1200ELNS1_3gpuE4ELNS1_3repE0EEENS1_30default_config_static_selectorELNS0_4arch9wavefront6targetE0EEEvS12_.numbered_sgpr, 0
	.set _ZN7rocprim17ROCPRIM_400000_NS6detail17trampoline_kernelINS0_13select_configILj256ELj13ELNS0_17block_load_methodE3ELS4_3ELS4_3ELNS0_20block_scan_algorithmE0ELj4294967295EEENS1_25partition_config_selectorILNS1_17partition_subalgoE4EjNS0_10empty_typeEbEEZZNS1_14partition_implILS8_4ELb0ES6_15HIP_vector_typeIjLj2EENS0_17counting_iteratorIjlEEPS9_SG_NS0_5tupleIJPjSI_NS0_16reverse_iteratorISI_EEEEENSH_IJSG_SG_SG_EEES9_SI_JZNS1_25segmented_radix_sort_implINS0_14default_configELb1EPKaPaPKlPlN2at6native12_GLOBAL__N_18offset_tEEE10hipError_tPvRmT1_PNSt15iterator_traitsIS12_E10value_typeET2_T3_PNS13_IS18_E10value_typeET4_jRbjT5_S1E_jjP12ihipStream_tbEUljE_ZNSN_ISO_Lb1ESQ_SR_ST_SU_SY_EESZ_S10_S11_S12_S16_S17_S18_S1B_S1C_jS1D_jS1E_S1E_jjS1G_bEUljE0_EEESZ_S10_S11_S18_S1C_S1E_T6_T7_T9_mT8_S1G_bDpT10_ENKUlT_T0_E_clISt17integral_constantIbLb1EES1T_IbLb0EEEEDaS1P_S1Q_EUlS1P_E_NS1_11comp_targetILNS1_3genE10ELNS1_11target_archE1200ELNS1_3gpuE4ELNS1_3repE0EEENS1_30default_config_static_selectorELNS0_4arch9wavefront6targetE0EEEvS12_.num_named_barrier, 0
	.set _ZN7rocprim17ROCPRIM_400000_NS6detail17trampoline_kernelINS0_13select_configILj256ELj13ELNS0_17block_load_methodE3ELS4_3ELS4_3ELNS0_20block_scan_algorithmE0ELj4294967295EEENS1_25partition_config_selectorILNS1_17partition_subalgoE4EjNS0_10empty_typeEbEEZZNS1_14partition_implILS8_4ELb0ES6_15HIP_vector_typeIjLj2EENS0_17counting_iteratorIjlEEPS9_SG_NS0_5tupleIJPjSI_NS0_16reverse_iteratorISI_EEEEENSH_IJSG_SG_SG_EEES9_SI_JZNS1_25segmented_radix_sort_implINS0_14default_configELb1EPKaPaPKlPlN2at6native12_GLOBAL__N_18offset_tEEE10hipError_tPvRmT1_PNSt15iterator_traitsIS12_E10value_typeET2_T3_PNS13_IS18_E10value_typeET4_jRbjT5_S1E_jjP12ihipStream_tbEUljE_ZNSN_ISO_Lb1ESQ_SR_ST_SU_SY_EESZ_S10_S11_S12_S16_S17_S18_S1B_S1C_jS1D_jS1E_S1E_jjS1G_bEUljE0_EEESZ_S10_S11_S18_S1C_S1E_T6_T7_T9_mT8_S1G_bDpT10_ENKUlT_T0_E_clISt17integral_constantIbLb1EES1T_IbLb0EEEEDaS1P_S1Q_EUlS1P_E_NS1_11comp_targetILNS1_3genE10ELNS1_11target_archE1200ELNS1_3gpuE4ELNS1_3repE0EEENS1_30default_config_static_selectorELNS0_4arch9wavefront6targetE0EEEvS12_.private_seg_size, 0
	.set _ZN7rocprim17ROCPRIM_400000_NS6detail17trampoline_kernelINS0_13select_configILj256ELj13ELNS0_17block_load_methodE3ELS4_3ELS4_3ELNS0_20block_scan_algorithmE0ELj4294967295EEENS1_25partition_config_selectorILNS1_17partition_subalgoE4EjNS0_10empty_typeEbEEZZNS1_14partition_implILS8_4ELb0ES6_15HIP_vector_typeIjLj2EENS0_17counting_iteratorIjlEEPS9_SG_NS0_5tupleIJPjSI_NS0_16reverse_iteratorISI_EEEEENSH_IJSG_SG_SG_EEES9_SI_JZNS1_25segmented_radix_sort_implINS0_14default_configELb1EPKaPaPKlPlN2at6native12_GLOBAL__N_18offset_tEEE10hipError_tPvRmT1_PNSt15iterator_traitsIS12_E10value_typeET2_T3_PNS13_IS18_E10value_typeET4_jRbjT5_S1E_jjP12ihipStream_tbEUljE_ZNSN_ISO_Lb1ESQ_SR_ST_SU_SY_EESZ_S10_S11_S12_S16_S17_S18_S1B_S1C_jS1D_jS1E_S1E_jjS1G_bEUljE0_EEESZ_S10_S11_S18_S1C_S1E_T6_T7_T9_mT8_S1G_bDpT10_ENKUlT_T0_E_clISt17integral_constantIbLb1EES1T_IbLb0EEEEDaS1P_S1Q_EUlS1P_E_NS1_11comp_targetILNS1_3genE10ELNS1_11target_archE1200ELNS1_3gpuE4ELNS1_3repE0EEENS1_30default_config_static_selectorELNS0_4arch9wavefront6targetE0EEEvS12_.uses_vcc, 0
	.set _ZN7rocprim17ROCPRIM_400000_NS6detail17trampoline_kernelINS0_13select_configILj256ELj13ELNS0_17block_load_methodE3ELS4_3ELS4_3ELNS0_20block_scan_algorithmE0ELj4294967295EEENS1_25partition_config_selectorILNS1_17partition_subalgoE4EjNS0_10empty_typeEbEEZZNS1_14partition_implILS8_4ELb0ES6_15HIP_vector_typeIjLj2EENS0_17counting_iteratorIjlEEPS9_SG_NS0_5tupleIJPjSI_NS0_16reverse_iteratorISI_EEEEENSH_IJSG_SG_SG_EEES9_SI_JZNS1_25segmented_radix_sort_implINS0_14default_configELb1EPKaPaPKlPlN2at6native12_GLOBAL__N_18offset_tEEE10hipError_tPvRmT1_PNSt15iterator_traitsIS12_E10value_typeET2_T3_PNS13_IS18_E10value_typeET4_jRbjT5_S1E_jjP12ihipStream_tbEUljE_ZNSN_ISO_Lb1ESQ_SR_ST_SU_SY_EESZ_S10_S11_S12_S16_S17_S18_S1B_S1C_jS1D_jS1E_S1E_jjS1G_bEUljE0_EEESZ_S10_S11_S18_S1C_S1E_T6_T7_T9_mT8_S1G_bDpT10_ENKUlT_T0_E_clISt17integral_constantIbLb1EES1T_IbLb0EEEEDaS1P_S1Q_EUlS1P_E_NS1_11comp_targetILNS1_3genE10ELNS1_11target_archE1200ELNS1_3gpuE4ELNS1_3repE0EEENS1_30default_config_static_selectorELNS0_4arch9wavefront6targetE0EEEvS12_.uses_flat_scratch, 0
	.set _ZN7rocprim17ROCPRIM_400000_NS6detail17trampoline_kernelINS0_13select_configILj256ELj13ELNS0_17block_load_methodE3ELS4_3ELS4_3ELNS0_20block_scan_algorithmE0ELj4294967295EEENS1_25partition_config_selectorILNS1_17partition_subalgoE4EjNS0_10empty_typeEbEEZZNS1_14partition_implILS8_4ELb0ES6_15HIP_vector_typeIjLj2EENS0_17counting_iteratorIjlEEPS9_SG_NS0_5tupleIJPjSI_NS0_16reverse_iteratorISI_EEEEENSH_IJSG_SG_SG_EEES9_SI_JZNS1_25segmented_radix_sort_implINS0_14default_configELb1EPKaPaPKlPlN2at6native12_GLOBAL__N_18offset_tEEE10hipError_tPvRmT1_PNSt15iterator_traitsIS12_E10value_typeET2_T3_PNS13_IS18_E10value_typeET4_jRbjT5_S1E_jjP12ihipStream_tbEUljE_ZNSN_ISO_Lb1ESQ_SR_ST_SU_SY_EESZ_S10_S11_S12_S16_S17_S18_S1B_S1C_jS1D_jS1E_S1E_jjS1G_bEUljE0_EEESZ_S10_S11_S18_S1C_S1E_T6_T7_T9_mT8_S1G_bDpT10_ENKUlT_T0_E_clISt17integral_constantIbLb1EES1T_IbLb0EEEEDaS1P_S1Q_EUlS1P_E_NS1_11comp_targetILNS1_3genE10ELNS1_11target_archE1200ELNS1_3gpuE4ELNS1_3repE0EEENS1_30default_config_static_selectorELNS0_4arch9wavefront6targetE0EEEvS12_.has_dyn_sized_stack, 0
	.set _ZN7rocprim17ROCPRIM_400000_NS6detail17trampoline_kernelINS0_13select_configILj256ELj13ELNS0_17block_load_methodE3ELS4_3ELS4_3ELNS0_20block_scan_algorithmE0ELj4294967295EEENS1_25partition_config_selectorILNS1_17partition_subalgoE4EjNS0_10empty_typeEbEEZZNS1_14partition_implILS8_4ELb0ES6_15HIP_vector_typeIjLj2EENS0_17counting_iteratorIjlEEPS9_SG_NS0_5tupleIJPjSI_NS0_16reverse_iteratorISI_EEEEENSH_IJSG_SG_SG_EEES9_SI_JZNS1_25segmented_radix_sort_implINS0_14default_configELb1EPKaPaPKlPlN2at6native12_GLOBAL__N_18offset_tEEE10hipError_tPvRmT1_PNSt15iterator_traitsIS12_E10value_typeET2_T3_PNS13_IS18_E10value_typeET4_jRbjT5_S1E_jjP12ihipStream_tbEUljE_ZNSN_ISO_Lb1ESQ_SR_ST_SU_SY_EESZ_S10_S11_S12_S16_S17_S18_S1B_S1C_jS1D_jS1E_S1E_jjS1G_bEUljE0_EEESZ_S10_S11_S18_S1C_S1E_T6_T7_T9_mT8_S1G_bDpT10_ENKUlT_T0_E_clISt17integral_constantIbLb1EES1T_IbLb0EEEEDaS1P_S1Q_EUlS1P_E_NS1_11comp_targetILNS1_3genE10ELNS1_11target_archE1200ELNS1_3gpuE4ELNS1_3repE0EEENS1_30default_config_static_selectorELNS0_4arch9wavefront6targetE0EEEvS12_.has_recursion, 0
	.set _ZN7rocprim17ROCPRIM_400000_NS6detail17trampoline_kernelINS0_13select_configILj256ELj13ELNS0_17block_load_methodE3ELS4_3ELS4_3ELNS0_20block_scan_algorithmE0ELj4294967295EEENS1_25partition_config_selectorILNS1_17partition_subalgoE4EjNS0_10empty_typeEbEEZZNS1_14partition_implILS8_4ELb0ES6_15HIP_vector_typeIjLj2EENS0_17counting_iteratorIjlEEPS9_SG_NS0_5tupleIJPjSI_NS0_16reverse_iteratorISI_EEEEENSH_IJSG_SG_SG_EEES9_SI_JZNS1_25segmented_radix_sort_implINS0_14default_configELb1EPKaPaPKlPlN2at6native12_GLOBAL__N_18offset_tEEE10hipError_tPvRmT1_PNSt15iterator_traitsIS12_E10value_typeET2_T3_PNS13_IS18_E10value_typeET4_jRbjT5_S1E_jjP12ihipStream_tbEUljE_ZNSN_ISO_Lb1ESQ_SR_ST_SU_SY_EESZ_S10_S11_S12_S16_S17_S18_S1B_S1C_jS1D_jS1E_S1E_jjS1G_bEUljE0_EEESZ_S10_S11_S18_S1C_S1E_T6_T7_T9_mT8_S1G_bDpT10_ENKUlT_T0_E_clISt17integral_constantIbLb1EES1T_IbLb0EEEEDaS1P_S1Q_EUlS1P_E_NS1_11comp_targetILNS1_3genE10ELNS1_11target_archE1200ELNS1_3gpuE4ELNS1_3repE0EEENS1_30default_config_static_selectorELNS0_4arch9wavefront6targetE0EEEvS12_.has_indirect_call, 0
	.section	.AMDGPU.csdata,"",@progbits
; Kernel info:
; codeLenInByte = 0
; TotalNumSgprs: 0
; NumVgprs: 0
; ScratchSize: 0
; MemoryBound: 0
; FloatMode: 240
; IeeeMode: 1
; LDSByteSize: 0 bytes/workgroup (compile time only)
; SGPRBlocks: 0
; VGPRBlocks: 0
; NumSGPRsForWavesPerEU: 1
; NumVGPRsForWavesPerEU: 1
; Occupancy: 16
; WaveLimiterHint : 0
; COMPUTE_PGM_RSRC2:SCRATCH_EN: 0
; COMPUTE_PGM_RSRC2:USER_SGPR: 6
; COMPUTE_PGM_RSRC2:TRAP_HANDLER: 0
; COMPUTE_PGM_RSRC2:TGID_X_EN: 1
; COMPUTE_PGM_RSRC2:TGID_Y_EN: 0
; COMPUTE_PGM_RSRC2:TGID_Z_EN: 0
; COMPUTE_PGM_RSRC2:TIDIG_COMP_CNT: 0
	.section	.text._ZN7rocprim17ROCPRIM_400000_NS6detail17trampoline_kernelINS0_13select_configILj256ELj13ELNS0_17block_load_methodE3ELS4_3ELS4_3ELNS0_20block_scan_algorithmE0ELj4294967295EEENS1_25partition_config_selectorILNS1_17partition_subalgoE4EjNS0_10empty_typeEbEEZZNS1_14partition_implILS8_4ELb0ES6_15HIP_vector_typeIjLj2EENS0_17counting_iteratorIjlEEPS9_SG_NS0_5tupleIJPjSI_NS0_16reverse_iteratorISI_EEEEENSH_IJSG_SG_SG_EEES9_SI_JZNS1_25segmented_radix_sort_implINS0_14default_configELb1EPKaPaPKlPlN2at6native12_GLOBAL__N_18offset_tEEE10hipError_tPvRmT1_PNSt15iterator_traitsIS12_E10value_typeET2_T3_PNS13_IS18_E10value_typeET4_jRbjT5_S1E_jjP12ihipStream_tbEUljE_ZNSN_ISO_Lb1ESQ_SR_ST_SU_SY_EESZ_S10_S11_S12_S16_S17_S18_S1B_S1C_jS1D_jS1E_S1E_jjS1G_bEUljE0_EEESZ_S10_S11_S18_S1C_S1E_T6_T7_T9_mT8_S1G_bDpT10_ENKUlT_T0_E_clISt17integral_constantIbLb1EES1T_IbLb0EEEEDaS1P_S1Q_EUlS1P_E_NS1_11comp_targetILNS1_3genE9ELNS1_11target_archE1100ELNS1_3gpuE3ELNS1_3repE0EEENS1_30default_config_static_selectorELNS0_4arch9wavefront6targetE0EEEvS12_,"axG",@progbits,_ZN7rocprim17ROCPRIM_400000_NS6detail17trampoline_kernelINS0_13select_configILj256ELj13ELNS0_17block_load_methodE3ELS4_3ELS4_3ELNS0_20block_scan_algorithmE0ELj4294967295EEENS1_25partition_config_selectorILNS1_17partition_subalgoE4EjNS0_10empty_typeEbEEZZNS1_14partition_implILS8_4ELb0ES6_15HIP_vector_typeIjLj2EENS0_17counting_iteratorIjlEEPS9_SG_NS0_5tupleIJPjSI_NS0_16reverse_iteratorISI_EEEEENSH_IJSG_SG_SG_EEES9_SI_JZNS1_25segmented_radix_sort_implINS0_14default_configELb1EPKaPaPKlPlN2at6native12_GLOBAL__N_18offset_tEEE10hipError_tPvRmT1_PNSt15iterator_traitsIS12_E10value_typeET2_T3_PNS13_IS18_E10value_typeET4_jRbjT5_S1E_jjP12ihipStream_tbEUljE_ZNSN_ISO_Lb1ESQ_SR_ST_SU_SY_EESZ_S10_S11_S12_S16_S17_S18_S1B_S1C_jS1D_jS1E_S1E_jjS1G_bEUljE0_EEESZ_S10_S11_S18_S1C_S1E_T6_T7_T9_mT8_S1G_bDpT10_ENKUlT_T0_E_clISt17integral_constantIbLb1EES1T_IbLb0EEEEDaS1P_S1Q_EUlS1P_E_NS1_11comp_targetILNS1_3genE9ELNS1_11target_archE1100ELNS1_3gpuE3ELNS1_3repE0EEENS1_30default_config_static_selectorELNS0_4arch9wavefront6targetE0EEEvS12_,comdat
	.globl	_ZN7rocprim17ROCPRIM_400000_NS6detail17trampoline_kernelINS0_13select_configILj256ELj13ELNS0_17block_load_methodE3ELS4_3ELS4_3ELNS0_20block_scan_algorithmE0ELj4294967295EEENS1_25partition_config_selectorILNS1_17partition_subalgoE4EjNS0_10empty_typeEbEEZZNS1_14partition_implILS8_4ELb0ES6_15HIP_vector_typeIjLj2EENS0_17counting_iteratorIjlEEPS9_SG_NS0_5tupleIJPjSI_NS0_16reverse_iteratorISI_EEEEENSH_IJSG_SG_SG_EEES9_SI_JZNS1_25segmented_radix_sort_implINS0_14default_configELb1EPKaPaPKlPlN2at6native12_GLOBAL__N_18offset_tEEE10hipError_tPvRmT1_PNSt15iterator_traitsIS12_E10value_typeET2_T3_PNS13_IS18_E10value_typeET4_jRbjT5_S1E_jjP12ihipStream_tbEUljE_ZNSN_ISO_Lb1ESQ_SR_ST_SU_SY_EESZ_S10_S11_S12_S16_S17_S18_S1B_S1C_jS1D_jS1E_S1E_jjS1G_bEUljE0_EEESZ_S10_S11_S18_S1C_S1E_T6_T7_T9_mT8_S1G_bDpT10_ENKUlT_T0_E_clISt17integral_constantIbLb1EES1T_IbLb0EEEEDaS1P_S1Q_EUlS1P_E_NS1_11comp_targetILNS1_3genE9ELNS1_11target_archE1100ELNS1_3gpuE3ELNS1_3repE0EEENS1_30default_config_static_selectorELNS0_4arch9wavefront6targetE0EEEvS12_ ; -- Begin function _ZN7rocprim17ROCPRIM_400000_NS6detail17trampoline_kernelINS0_13select_configILj256ELj13ELNS0_17block_load_methodE3ELS4_3ELS4_3ELNS0_20block_scan_algorithmE0ELj4294967295EEENS1_25partition_config_selectorILNS1_17partition_subalgoE4EjNS0_10empty_typeEbEEZZNS1_14partition_implILS8_4ELb0ES6_15HIP_vector_typeIjLj2EENS0_17counting_iteratorIjlEEPS9_SG_NS0_5tupleIJPjSI_NS0_16reverse_iteratorISI_EEEEENSH_IJSG_SG_SG_EEES9_SI_JZNS1_25segmented_radix_sort_implINS0_14default_configELb1EPKaPaPKlPlN2at6native12_GLOBAL__N_18offset_tEEE10hipError_tPvRmT1_PNSt15iterator_traitsIS12_E10value_typeET2_T3_PNS13_IS18_E10value_typeET4_jRbjT5_S1E_jjP12ihipStream_tbEUljE_ZNSN_ISO_Lb1ESQ_SR_ST_SU_SY_EESZ_S10_S11_S12_S16_S17_S18_S1B_S1C_jS1D_jS1E_S1E_jjS1G_bEUljE0_EEESZ_S10_S11_S18_S1C_S1E_T6_T7_T9_mT8_S1G_bDpT10_ENKUlT_T0_E_clISt17integral_constantIbLb1EES1T_IbLb0EEEEDaS1P_S1Q_EUlS1P_E_NS1_11comp_targetILNS1_3genE9ELNS1_11target_archE1100ELNS1_3gpuE3ELNS1_3repE0EEENS1_30default_config_static_selectorELNS0_4arch9wavefront6targetE0EEEvS12_
	.p2align	8
	.type	_ZN7rocprim17ROCPRIM_400000_NS6detail17trampoline_kernelINS0_13select_configILj256ELj13ELNS0_17block_load_methodE3ELS4_3ELS4_3ELNS0_20block_scan_algorithmE0ELj4294967295EEENS1_25partition_config_selectorILNS1_17partition_subalgoE4EjNS0_10empty_typeEbEEZZNS1_14partition_implILS8_4ELb0ES6_15HIP_vector_typeIjLj2EENS0_17counting_iteratorIjlEEPS9_SG_NS0_5tupleIJPjSI_NS0_16reverse_iteratorISI_EEEEENSH_IJSG_SG_SG_EEES9_SI_JZNS1_25segmented_radix_sort_implINS0_14default_configELb1EPKaPaPKlPlN2at6native12_GLOBAL__N_18offset_tEEE10hipError_tPvRmT1_PNSt15iterator_traitsIS12_E10value_typeET2_T3_PNS13_IS18_E10value_typeET4_jRbjT5_S1E_jjP12ihipStream_tbEUljE_ZNSN_ISO_Lb1ESQ_SR_ST_SU_SY_EESZ_S10_S11_S12_S16_S17_S18_S1B_S1C_jS1D_jS1E_S1E_jjS1G_bEUljE0_EEESZ_S10_S11_S18_S1C_S1E_T6_T7_T9_mT8_S1G_bDpT10_ENKUlT_T0_E_clISt17integral_constantIbLb1EES1T_IbLb0EEEEDaS1P_S1Q_EUlS1P_E_NS1_11comp_targetILNS1_3genE9ELNS1_11target_archE1100ELNS1_3gpuE3ELNS1_3repE0EEENS1_30default_config_static_selectorELNS0_4arch9wavefront6targetE0EEEvS12_,@function
_ZN7rocprim17ROCPRIM_400000_NS6detail17trampoline_kernelINS0_13select_configILj256ELj13ELNS0_17block_load_methodE3ELS4_3ELS4_3ELNS0_20block_scan_algorithmE0ELj4294967295EEENS1_25partition_config_selectorILNS1_17partition_subalgoE4EjNS0_10empty_typeEbEEZZNS1_14partition_implILS8_4ELb0ES6_15HIP_vector_typeIjLj2EENS0_17counting_iteratorIjlEEPS9_SG_NS0_5tupleIJPjSI_NS0_16reverse_iteratorISI_EEEEENSH_IJSG_SG_SG_EEES9_SI_JZNS1_25segmented_radix_sort_implINS0_14default_configELb1EPKaPaPKlPlN2at6native12_GLOBAL__N_18offset_tEEE10hipError_tPvRmT1_PNSt15iterator_traitsIS12_E10value_typeET2_T3_PNS13_IS18_E10value_typeET4_jRbjT5_S1E_jjP12ihipStream_tbEUljE_ZNSN_ISO_Lb1ESQ_SR_ST_SU_SY_EESZ_S10_S11_S12_S16_S17_S18_S1B_S1C_jS1D_jS1E_S1E_jjS1G_bEUljE0_EEESZ_S10_S11_S18_S1C_S1E_T6_T7_T9_mT8_S1G_bDpT10_ENKUlT_T0_E_clISt17integral_constantIbLb1EES1T_IbLb0EEEEDaS1P_S1Q_EUlS1P_E_NS1_11comp_targetILNS1_3genE9ELNS1_11target_archE1100ELNS1_3gpuE3ELNS1_3repE0EEENS1_30default_config_static_selectorELNS0_4arch9wavefront6targetE0EEEvS12_: ; @_ZN7rocprim17ROCPRIM_400000_NS6detail17trampoline_kernelINS0_13select_configILj256ELj13ELNS0_17block_load_methodE3ELS4_3ELS4_3ELNS0_20block_scan_algorithmE0ELj4294967295EEENS1_25partition_config_selectorILNS1_17partition_subalgoE4EjNS0_10empty_typeEbEEZZNS1_14partition_implILS8_4ELb0ES6_15HIP_vector_typeIjLj2EENS0_17counting_iteratorIjlEEPS9_SG_NS0_5tupleIJPjSI_NS0_16reverse_iteratorISI_EEEEENSH_IJSG_SG_SG_EEES9_SI_JZNS1_25segmented_radix_sort_implINS0_14default_configELb1EPKaPaPKlPlN2at6native12_GLOBAL__N_18offset_tEEE10hipError_tPvRmT1_PNSt15iterator_traitsIS12_E10value_typeET2_T3_PNS13_IS18_E10value_typeET4_jRbjT5_S1E_jjP12ihipStream_tbEUljE_ZNSN_ISO_Lb1ESQ_SR_ST_SU_SY_EESZ_S10_S11_S12_S16_S17_S18_S1B_S1C_jS1D_jS1E_S1E_jjS1G_bEUljE0_EEESZ_S10_S11_S18_S1C_S1E_T6_T7_T9_mT8_S1G_bDpT10_ENKUlT_T0_E_clISt17integral_constantIbLb1EES1T_IbLb0EEEEDaS1P_S1Q_EUlS1P_E_NS1_11comp_targetILNS1_3genE9ELNS1_11target_archE1100ELNS1_3gpuE3ELNS1_3repE0EEENS1_30default_config_static_selectorELNS0_4arch9wavefront6targetE0EEEvS12_
; %bb.0:
	.section	.rodata,"a",@progbits
	.p2align	6, 0x0
	.amdhsa_kernel _ZN7rocprim17ROCPRIM_400000_NS6detail17trampoline_kernelINS0_13select_configILj256ELj13ELNS0_17block_load_methodE3ELS4_3ELS4_3ELNS0_20block_scan_algorithmE0ELj4294967295EEENS1_25partition_config_selectorILNS1_17partition_subalgoE4EjNS0_10empty_typeEbEEZZNS1_14partition_implILS8_4ELb0ES6_15HIP_vector_typeIjLj2EENS0_17counting_iteratorIjlEEPS9_SG_NS0_5tupleIJPjSI_NS0_16reverse_iteratorISI_EEEEENSH_IJSG_SG_SG_EEES9_SI_JZNS1_25segmented_radix_sort_implINS0_14default_configELb1EPKaPaPKlPlN2at6native12_GLOBAL__N_18offset_tEEE10hipError_tPvRmT1_PNSt15iterator_traitsIS12_E10value_typeET2_T3_PNS13_IS18_E10value_typeET4_jRbjT5_S1E_jjP12ihipStream_tbEUljE_ZNSN_ISO_Lb1ESQ_SR_ST_SU_SY_EESZ_S10_S11_S12_S16_S17_S18_S1B_S1C_jS1D_jS1E_S1E_jjS1G_bEUljE0_EEESZ_S10_S11_S18_S1C_S1E_T6_T7_T9_mT8_S1G_bDpT10_ENKUlT_T0_E_clISt17integral_constantIbLb1EES1T_IbLb0EEEEDaS1P_S1Q_EUlS1P_E_NS1_11comp_targetILNS1_3genE9ELNS1_11target_archE1100ELNS1_3gpuE3ELNS1_3repE0EEENS1_30default_config_static_selectorELNS0_4arch9wavefront6targetE0EEEvS12_
		.amdhsa_group_segment_fixed_size 0
		.amdhsa_private_segment_fixed_size 0
		.amdhsa_kernarg_size 176
		.amdhsa_user_sgpr_count 6
		.amdhsa_user_sgpr_private_segment_buffer 1
		.amdhsa_user_sgpr_dispatch_ptr 0
		.amdhsa_user_sgpr_queue_ptr 0
		.amdhsa_user_sgpr_kernarg_segment_ptr 1
		.amdhsa_user_sgpr_dispatch_id 0
		.amdhsa_user_sgpr_flat_scratch_init 0
		.amdhsa_user_sgpr_private_segment_size 0
		.amdhsa_wavefront_size32 1
		.amdhsa_uses_dynamic_stack 0
		.amdhsa_system_sgpr_private_segment_wavefront_offset 0
		.amdhsa_system_sgpr_workgroup_id_x 1
		.amdhsa_system_sgpr_workgroup_id_y 0
		.amdhsa_system_sgpr_workgroup_id_z 0
		.amdhsa_system_sgpr_workgroup_info 0
		.amdhsa_system_vgpr_workitem_id 0
		.amdhsa_next_free_vgpr 1
		.amdhsa_next_free_sgpr 1
		.amdhsa_reserve_vcc 0
		.amdhsa_reserve_flat_scratch 0
		.amdhsa_float_round_mode_32 0
		.amdhsa_float_round_mode_16_64 0
		.amdhsa_float_denorm_mode_32 3
		.amdhsa_float_denorm_mode_16_64 3
		.amdhsa_dx10_clamp 1
		.amdhsa_ieee_mode 1
		.amdhsa_fp16_overflow 0
		.amdhsa_workgroup_processor_mode 1
		.amdhsa_memory_ordered 1
		.amdhsa_forward_progress 1
		.amdhsa_shared_vgpr_count 0
		.amdhsa_exception_fp_ieee_invalid_op 0
		.amdhsa_exception_fp_denorm_src 0
		.amdhsa_exception_fp_ieee_div_zero 0
		.amdhsa_exception_fp_ieee_overflow 0
		.amdhsa_exception_fp_ieee_underflow 0
		.amdhsa_exception_fp_ieee_inexact 0
		.amdhsa_exception_int_div_zero 0
	.end_amdhsa_kernel
	.section	.text._ZN7rocprim17ROCPRIM_400000_NS6detail17trampoline_kernelINS0_13select_configILj256ELj13ELNS0_17block_load_methodE3ELS4_3ELS4_3ELNS0_20block_scan_algorithmE0ELj4294967295EEENS1_25partition_config_selectorILNS1_17partition_subalgoE4EjNS0_10empty_typeEbEEZZNS1_14partition_implILS8_4ELb0ES6_15HIP_vector_typeIjLj2EENS0_17counting_iteratorIjlEEPS9_SG_NS0_5tupleIJPjSI_NS0_16reverse_iteratorISI_EEEEENSH_IJSG_SG_SG_EEES9_SI_JZNS1_25segmented_radix_sort_implINS0_14default_configELb1EPKaPaPKlPlN2at6native12_GLOBAL__N_18offset_tEEE10hipError_tPvRmT1_PNSt15iterator_traitsIS12_E10value_typeET2_T3_PNS13_IS18_E10value_typeET4_jRbjT5_S1E_jjP12ihipStream_tbEUljE_ZNSN_ISO_Lb1ESQ_SR_ST_SU_SY_EESZ_S10_S11_S12_S16_S17_S18_S1B_S1C_jS1D_jS1E_S1E_jjS1G_bEUljE0_EEESZ_S10_S11_S18_S1C_S1E_T6_T7_T9_mT8_S1G_bDpT10_ENKUlT_T0_E_clISt17integral_constantIbLb1EES1T_IbLb0EEEEDaS1P_S1Q_EUlS1P_E_NS1_11comp_targetILNS1_3genE9ELNS1_11target_archE1100ELNS1_3gpuE3ELNS1_3repE0EEENS1_30default_config_static_selectorELNS0_4arch9wavefront6targetE0EEEvS12_,"axG",@progbits,_ZN7rocprim17ROCPRIM_400000_NS6detail17trampoline_kernelINS0_13select_configILj256ELj13ELNS0_17block_load_methodE3ELS4_3ELS4_3ELNS0_20block_scan_algorithmE0ELj4294967295EEENS1_25partition_config_selectorILNS1_17partition_subalgoE4EjNS0_10empty_typeEbEEZZNS1_14partition_implILS8_4ELb0ES6_15HIP_vector_typeIjLj2EENS0_17counting_iteratorIjlEEPS9_SG_NS0_5tupleIJPjSI_NS0_16reverse_iteratorISI_EEEEENSH_IJSG_SG_SG_EEES9_SI_JZNS1_25segmented_radix_sort_implINS0_14default_configELb1EPKaPaPKlPlN2at6native12_GLOBAL__N_18offset_tEEE10hipError_tPvRmT1_PNSt15iterator_traitsIS12_E10value_typeET2_T3_PNS13_IS18_E10value_typeET4_jRbjT5_S1E_jjP12ihipStream_tbEUljE_ZNSN_ISO_Lb1ESQ_SR_ST_SU_SY_EESZ_S10_S11_S12_S16_S17_S18_S1B_S1C_jS1D_jS1E_S1E_jjS1G_bEUljE0_EEESZ_S10_S11_S18_S1C_S1E_T6_T7_T9_mT8_S1G_bDpT10_ENKUlT_T0_E_clISt17integral_constantIbLb1EES1T_IbLb0EEEEDaS1P_S1Q_EUlS1P_E_NS1_11comp_targetILNS1_3genE9ELNS1_11target_archE1100ELNS1_3gpuE3ELNS1_3repE0EEENS1_30default_config_static_selectorELNS0_4arch9wavefront6targetE0EEEvS12_,comdat
.Lfunc_end246:
	.size	_ZN7rocprim17ROCPRIM_400000_NS6detail17trampoline_kernelINS0_13select_configILj256ELj13ELNS0_17block_load_methodE3ELS4_3ELS4_3ELNS0_20block_scan_algorithmE0ELj4294967295EEENS1_25partition_config_selectorILNS1_17partition_subalgoE4EjNS0_10empty_typeEbEEZZNS1_14partition_implILS8_4ELb0ES6_15HIP_vector_typeIjLj2EENS0_17counting_iteratorIjlEEPS9_SG_NS0_5tupleIJPjSI_NS0_16reverse_iteratorISI_EEEEENSH_IJSG_SG_SG_EEES9_SI_JZNS1_25segmented_radix_sort_implINS0_14default_configELb1EPKaPaPKlPlN2at6native12_GLOBAL__N_18offset_tEEE10hipError_tPvRmT1_PNSt15iterator_traitsIS12_E10value_typeET2_T3_PNS13_IS18_E10value_typeET4_jRbjT5_S1E_jjP12ihipStream_tbEUljE_ZNSN_ISO_Lb1ESQ_SR_ST_SU_SY_EESZ_S10_S11_S12_S16_S17_S18_S1B_S1C_jS1D_jS1E_S1E_jjS1G_bEUljE0_EEESZ_S10_S11_S18_S1C_S1E_T6_T7_T9_mT8_S1G_bDpT10_ENKUlT_T0_E_clISt17integral_constantIbLb1EES1T_IbLb0EEEEDaS1P_S1Q_EUlS1P_E_NS1_11comp_targetILNS1_3genE9ELNS1_11target_archE1100ELNS1_3gpuE3ELNS1_3repE0EEENS1_30default_config_static_selectorELNS0_4arch9wavefront6targetE0EEEvS12_, .Lfunc_end246-_ZN7rocprim17ROCPRIM_400000_NS6detail17trampoline_kernelINS0_13select_configILj256ELj13ELNS0_17block_load_methodE3ELS4_3ELS4_3ELNS0_20block_scan_algorithmE0ELj4294967295EEENS1_25partition_config_selectorILNS1_17partition_subalgoE4EjNS0_10empty_typeEbEEZZNS1_14partition_implILS8_4ELb0ES6_15HIP_vector_typeIjLj2EENS0_17counting_iteratorIjlEEPS9_SG_NS0_5tupleIJPjSI_NS0_16reverse_iteratorISI_EEEEENSH_IJSG_SG_SG_EEES9_SI_JZNS1_25segmented_radix_sort_implINS0_14default_configELb1EPKaPaPKlPlN2at6native12_GLOBAL__N_18offset_tEEE10hipError_tPvRmT1_PNSt15iterator_traitsIS12_E10value_typeET2_T3_PNS13_IS18_E10value_typeET4_jRbjT5_S1E_jjP12ihipStream_tbEUljE_ZNSN_ISO_Lb1ESQ_SR_ST_SU_SY_EESZ_S10_S11_S12_S16_S17_S18_S1B_S1C_jS1D_jS1E_S1E_jjS1G_bEUljE0_EEESZ_S10_S11_S18_S1C_S1E_T6_T7_T9_mT8_S1G_bDpT10_ENKUlT_T0_E_clISt17integral_constantIbLb1EES1T_IbLb0EEEEDaS1P_S1Q_EUlS1P_E_NS1_11comp_targetILNS1_3genE9ELNS1_11target_archE1100ELNS1_3gpuE3ELNS1_3repE0EEENS1_30default_config_static_selectorELNS0_4arch9wavefront6targetE0EEEvS12_
                                        ; -- End function
	.set _ZN7rocprim17ROCPRIM_400000_NS6detail17trampoline_kernelINS0_13select_configILj256ELj13ELNS0_17block_load_methodE3ELS4_3ELS4_3ELNS0_20block_scan_algorithmE0ELj4294967295EEENS1_25partition_config_selectorILNS1_17partition_subalgoE4EjNS0_10empty_typeEbEEZZNS1_14partition_implILS8_4ELb0ES6_15HIP_vector_typeIjLj2EENS0_17counting_iteratorIjlEEPS9_SG_NS0_5tupleIJPjSI_NS0_16reverse_iteratorISI_EEEEENSH_IJSG_SG_SG_EEES9_SI_JZNS1_25segmented_radix_sort_implINS0_14default_configELb1EPKaPaPKlPlN2at6native12_GLOBAL__N_18offset_tEEE10hipError_tPvRmT1_PNSt15iterator_traitsIS12_E10value_typeET2_T3_PNS13_IS18_E10value_typeET4_jRbjT5_S1E_jjP12ihipStream_tbEUljE_ZNSN_ISO_Lb1ESQ_SR_ST_SU_SY_EESZ_S10_S11_S12_S16_S17_S18_S1B_S1C_jS1D_jS1E_S1E_jjS1G_bEUljE0_EEESZ_S10_S11_S18_S1C_S1E_T6_T7_T9_mT8_S1G_bDpT10_ENKUlT_T0_E_clISt17integral_constantIbLb1EES1T_IbLb0EEEEDaS1P_S1Q_EUlS1P_E_NS1_11comp_targetILNS1_3genE9ELNS1_11target_archE1100ELNS1_3gpuE3ELNS1_3repE0EEENS1_30default_config_static_selectorELNS0_4arch9wavefront6targetE0EEEvS12_.num_vgpr, 0
	.set _ZN7rocprim17ROCPRIM_400000_NS6detail17trampoline_kernelINS0_13select_configILj256ELj13ELNS0_17block_load_methodE3ELS4_3ELS4_3ELNS0_20block_scan_algorithmE0ELj4294967295EEENS1_25partition_config_selectorILNS1_17partition_subalgoE4EjNS0_10empty_typeEbEEZZNS1_14partition_implILS8_4ELb0ES6_15HIP_vector_typeIjLj2EENS0_17counting_iteratorIjlEEPS9_SG_NS0_5tupleIJPjSI_NS0_16reverse_iteratorISI_EEEEENSH_IJSG_SG_SG_EEES9_SI_JZNS1_25segmented_radix_sort_implINS0_14default_configELb1EPKaPaPKlPlN2at6native12_GLOBAL__N_18offset_tEEE10hipError_tPvRmT1_PNSt15iterator_traitsIS12_E10value_typeET2_T3_PNS13_IS18_E10value_typeET4_jRbjT5_S1E_jjP12ihipStream_tbEUljE_ZNSN_ISO_Lb1ESQ_SR_ST_SU_SY_EESZ_S10_S11_S12_S16_S17_S18_S1B_S1C_jS1D_jS1E_S1E_jjS1G_bEUljE0_EEESZ_S10_S11_S18_S1C_S1E_T6_T7_T9_mT8_S1G_bDpT10_ENKUlT_T0_E_clISt17integral_constantIbLb1EES1T_IbLb0EEEEDaS1P_S1Q_EUlS1P_E_NS1_11comp_targetILNS1_3genE9ELNS1_11target_archE1100ELNS1_3gpuE3ELNS1_3repE0EEENS1_30default_config_static_selectorELNS0_4arch9wavefront6targetE0EEEvS12_.num_agpr, 0
	.set _ZN7rocprim17ROCPRIM_400000_NS6detail17trampoline_kernelINS0_13select_configILj256ELj13ELNS0_17block_load_methodE3ELS4_3ELS4_3ELNS0_20block_scan_algorithmE0ELj4294967295EEENS1_25partition_config_selectorILNS1_17partition_subalgoE4EjNS0_10empty_typeEbEEZZNS1_14partition_implILS8_4ELb0ES6_15HIP_vector_typeIjLj2EENS0_17counting_iteratorIjlEEPS9_SG_NS0_5tupleIJPjSI_NS0_16reverse_iteratorISI_EEEEENSH_IJSG_SG_SG_EEES9_SI_JZNS1_25segmented_radix_sort_implINS0_14default_configELb1EPKaPaPKlPlN2at6native12_GLOBAL__N_18offset_tEEE10hipError_tPvRmT1_PNSt15iterator_traitsIS12_E10value_typeET2_T3_PNS13_IS18_E10value_typeET4_jRbjT5_S1E_jjP12ihipStream_tbEUljE_ZNSN_ISO_Lb1ESQ_SR_ST_SU_SY_EESZ_S10_S11_S12_S16_S17_S18_S1B_S1C_jS1D_jS1E_S1E_jjS1G_bEUljE0_EEESZ_S10_S11_S18_S1C_S1E_T6_T7_T9_mT8_S1G_bDpT10_ENKUlT_T0_E_clISt17integral_constantIbLb1EES1T_IbLb0EEEEDaS1P_S1Q_EUlS1P_E_NS1_11comp_targetILNS1_3genE9ELNS1_11target_archE1100ELNS1_3gpuE3ELNS1_3repE0EEENS1_30default_config_static_selectorELNS0_4arch9wavefront6targetE0EEEvS12_.numbered_sgpr, 0
	.set _ZN7rocprim17ROCPRIM_400000_NS6detail17trampoline_kernelINS0_13select_configILj256ELj13ELNS0_17block_load_methodE3ELS4_3ELS4_3ELNS0_20block_scan_algorithmE0ELj4294967295EEENS1_25partition_config_selectorILNS1_17partition_subalgoE4EjNS0_10empty_typeEbEEZZNS1_14partition_implILS8_4ELb0ES6_15HIP_vector_typeIjLj2EENS0_17counting_iteratorIjlEEPS9_SG_NS0_5tupleIJPjSI_NS0_16reverse_iteratorISI_EEEEENSH_IJSG_SG_SG_EEES9_SI_JZNS1_25segmented_radix_sort_implINS0_14default_configELb1EPKaPaPKlPlN2at6native12_GLOBAL__N_18offset_tEEE10hipError_tPvRmT1_PNSt15iterator_traitsIS12_E10value_typeET2_T3_PNS13_IS18_E10value_typeET4_jRbjT5_S1E_jjP12ihipStream_tbEUljE_ZNSN_ISO_Lb1ESQ_SR_ST_SU_SY_EESZ_S10_S11_S12_S16_S17_S18_S1B_S1C_jS1D_jS1E_S1E_jjS1G_bEUljE0_EEESZ_S10_S11_S18_S1C_S1E_T6_T7_T9_mT8_S1G_bDpT10_ENKUlT_T0_E_clISt17integral_constantIbLb1EES1T_IbLb0EEEEDaS1P_S1Q_EUlS1P_E_NS1_11comp_targetILNS1_3genE9ELNS1_11target_archE1100ELNS1_3gpuE3ELNS1_3repE0EEENS1_30default_config_static_selectorELNS0_4arch9wavefront6targetE0EEEvS12_.num_named_barrier, 0
	.set _ZN7rocprim17ROCPRIM_400000_NS6detail17trampoline_kernelINS0_13select_configILj256ELj13ELNS0_17block_load_methodE3ELS4_3ELS4_3ELNS0_20block_scan_algorithmE0ELj4294967295EEENS1_25partition_config_selectorILNS1_17partition_subalgoE4EjNS0_10empty_typeEbEEZZNS1_14partition_implILS8_4ELb0ES6_15HIP_vector_typeIjLj2EENS0_17counting_iteratorIjlEEPS9_SG_NS0_5tupleIJPjSI_NS0_16reverse_iteratorISI_EEEEENSH_IJSG_SG_SG_EEES9_SI_JZNS1_25segmented_radix_sort_implINS0_14default_configELb1EPKaPaPKlPlN2at6native12_GLOBAL__N_18offset_tEEE10hipError_tPvRmT1_PNSt15iterator_traitsIS12_E10value_typeET2_T3_PNS13_IS18_E10value_typeET4_jRbjT5_S1E_jjP12ihipStream_tbEUljE_ZNSN_ISO_Lb1ESQ_SR_ST_SU_SY_EESZ_S10_S11_S12_S16_S17_S18_S1B_S1C_jS1D_jS1E_S1E_jjS1G_bEUljE0_EEESZ_S10_S11_S18_S1C_S1E_T6_T7_T9_mT8_S1G_bDpT10_ENKUlT_T0_E_clISt17integral_constantIbLb1EES1T_IbLb0EEEEDaS1P_S1Q_EUlS1P_E_NS1_11comp_targetILNS1_3genE9ELNS1_11target_archE1100ELNS1_3gpuE3ELNS1_3repE0EEENS1_30default_config_static_selectorELNS0_4arch9wavefront6targetE0EEEvS12_.private_seg_size, 0
	.set _ZN7rocprim17ROCPRIM_400000_NS6detail17trampoline_kernelINS0_13select_configILj256ELj13ELNS0_17block_load_methodE3ELS4_3ELS4_3ELNS0_20block_scan_algorithmE0ELj4294967295EEENS1_25partition_config_selectorILNS1_17partition_subalgoE4EjNS0_10empty_typeEbEEZZNS1_14partition_implILS8_4ELb0ES6_15HIP_vector_typeIjLj2EENS0_17counting_iteratorIjlEEPS9_SG_NS0_5tupleIJPjSI_NS0_16reverse_iteratorISI_EEEEENSH_IJSG_SG_SG_EEES9_SI_JZNS1_25segmented_radix_sort_implINS0_14default_configELb1EPKaPaPKlPlN2at6native12_GLOBAL__N_18offset_tEEE10hipError_tPvRmT1_PNSt15iterator_traitsIS12_E10value_typeET2_T3_PNS13_IS18_E10value_typeET4_jRbjT5_S1E_jjP12ihipStream_tbEUljE_ZNSN_ISO_Lb1ESQ_SR_ST_SU_SY_EESZ_S10_S11_S12_S16_S17_S18_S1B_S1C_jS1D_jS1E_S1E_jjS1G_bEUljE0_EEESZ_S10_S11_S18_S1C_S1E_T6_T7_T9_mT8_S1G_bDpT10_ENKUlT_T0_E_clISt17integral_constantIbLb1EES1T_IbLb0EEEEDaS1P_S1Q_EUlS1P_E_NS1_11comp_targetILNS1_3genE9ELNS1_11target_archE1100ELNS1_3gpuE3ELNS1_3repE0EEENS1_30default_config_static_selectorELNS0_4arch9wavefront6targetE0EEEvS12_.uses_vcc, 0
	.set _ZN7rocprim17ROCPRIM_400000_NS6detail17trampoline_kernelINS0_13select_configILj256ELj13ELNS0_17block_load_methodE3ELS4_3ELS4_3ELNS0_20block_scan_algorithmE0ELj4294967295EEENS1_25partition_config_selectorILNS1_17partition_subalgoE4EjNS0_10empty_typeEbEEZZNS1_14partition_implILS8_4ELb0ES6_15HIP_vector_typeIjLj2EENS0_17counting_iteratorIjlEEPS9_SG_NS0_5tupleIJPjSI_NS0_16reverse_iteratorISI_EEEEENSH_IJSG_SG_SG_EEES9_SI_JZNS1_25segmented_radix_sort_implINS0_14default_configELb1EPKaPaPKlPlN2at6native12_GLOBAL__N_18offset_tEEE10hipError_tPvRmT1_PNSt15iterator_traitsIS12_E10value_typeET2_T3_PNS13_IS18_E10value_typeET4_jRbjT5_S1E_jjP12ihipStream_tbEUljE_ZNSN_ISO_Lb1ESQ_SR_ST_SU_SY_EESZ_S10_S11_S12_S16_S17_S18_S1B_S1C_jS1D_jS1E_S1E_jjS1G_bEUljE0_EEESZ_S10_S11_S18_S1C_S1E_T6_T7_T9_mT8_S1G_bDpT10_ENKUlT_T0_E_clISt17integral_constantIbLb1EES1T_IbLb0EEEEDaS1P_S1Q_EUlS1P_E_NS1_11comp_targetILNS1_3genE9ELNS1_11target_archE1100ELNS1_3gpuE3ELNS1_3repE0EEENS1_30default_config_static_selectorELNS0_4arch9wavefront6targetE0EEEvS12_.uses_flat_scratch, 0
	.set _ZN7rocprim17ROCPRIM_400000_NS6detail17trampoline_kernelINS0_13select_configILj256ELj13ELNS0_17block_load_methodE3ELS4_3ELS4_3ELNS0_20block_scan_algorithmE0ELj4294967295EEENS1_25partition_config_selectorILNS1_17partition_subalgoE4EjNS0_10empty_typeEbEEZZNS1_14partition_implILS8_4ELb0ES6_15HIP_vector_typeIjLj2EENS0_17counting_iteratorIjlEEPS9_SG_NS0_5tupleIJPjSI_NS0_16reverse_iteratorISI_EEEEENSH_IJSG_SG_SG_EEES9_SI_JZNS1_25segmented_radix_sort_implINS0_14default_configELb1EPKaPaPKlPlN2at6native12_GLOBAL__N_18offset_tEEE10hipError_tPvRmT1_PNSt15iterator_traitsIS12_E10value_typeET2_T3_PNS13_IS18_E10value_typeET4_jRbjT5_S1E_jjP12ihipStream_tbEUljE_ZNSN_ISO_Lb1ESQ_SR_ST_SU_SY_EESZ_S10_S11_S12_S16_S17_S18_S1B_S1C_jS1D_jS1E_S1E_jjS1G_bEUljE0_EEESZ_S10_S11_S18_S1C_S1E_T6_T7_T9_mT8_S1G_bDpT10_ENKUlT_T0_E_clISt17integral_constantIbLb1EES1T_IbLb0EEEEDaS1P_S1Q_EUlS1P_E_NS1_11comp_targetILNS1_3genE9ELNS1_11target_archE1100ELNS1_3gpuE3ELNS1_3repE0EEENS1_30default_config_static_selectorELNS0_4arch9wavefront6targetE0EEEvS12_.has_dyn_sized_stack, 0
	.set _ZN7rocprim17ROCPRIM_400000_NS6detail17trampoline_kernelINS0_13select_configILj256ELj13ELNS0_17block_load_methodE3ELS4_3ELS4_3ELNS0_20block_scan_algorithmE0ELj4294967295EEENS1_25partition_config_selectorILNS1_17partition_subalgoE4EjNS0_10empty_typeEbEEZZNS1_14partition_implILS8_4ELb0ES6_15HIP_vector_typeIjLj2EENS0_17counting_iteratorIjlEEPS9_SG_NS0_5tupleIJPjSI_NS0_16reverse_iteratorISI_EEEEENSH_IJSG_SG_SG_EEES9_SI_JZNS1_25segmented_radix_sort_implINS0_14default_configELb1EPKaPaPKlPlN2at6native12_GLOBAL__N_18offset_tEEE10hipError_tPvRmT1_PNSt15iterator_traitsIS12_E10value_typeET2_T3_PNS13_IS18_E10value_typeET4_jRbjT5_S1E_jjP12ihipStream_tbEUljE_ZNSN_ISO_Lb1ESQ_SR_ST_SU_SY_EESZ_S10_S11_S12_S16_S17_S18_S1B_S1C_jS1D_jS1E_S1E_jjS1G_bEUljE0_EEESZ_S10_S11_S18_S1C_S1E_T6_T7_T9_mT8_S1G_bDpT10_ENKUlT_T0_E_clISt17integral_constantIbLb1EES1T_IbLb0EEEEDaS1P_S1Q_EUlS1P_E_NS1_11comp_targetILNS1_3genE9ELNS1_11target_archE1100ELNS1_3gpuE3ELNS1_3repE0EEENS1_30default_config_static_selectorELNS0_4arch9wavefront6targetE0EEEvS12_.has_recursion, 0
	.set _ZN7rocprim17ROCPRIM_400000_NS6detail17trampoline_kernelINS0_13select_configILj256ELj13ELNS0_17block_load_methodE3ELS4_3ELS4_3ELNS0_20block_scan_algorithmE0ELj4294967295EEENS1_25partition_config_selectorILNS1_17partition_subalgoE4EjNS0_10empty_typeEbEEZZNS1_14partition_implILS8_4ELb0ES6_15HIP_vector_typeIjLj2EENS0_17counting_iteratorIjlEEPS9_SG_NS0_5tupleIJPjSI_NS0_16reverse_iteratorISI_EEEEENSH_IJSG_SG_SG_EEES9_SI_JZNS1_25segmented_radix_sort_implINS0_14default_configELb1EPKaPaPKlPlN2at6native12_GLOBAL__N_18offset_tEEE10hipError_tPvRmT1_PNSt15iterator_traitsIS12_E10value_typeET2_T3_PNS13_IS18_E10value_typeET4_jRbjT5_S1E_jjP12ihipStream_tbEUljE_ZNSN_ISO_Lb1ESQ_SR_ST_SU_SY_EESZ_S10_S11_S12_S16_S17_S18_S1B_S1C_jS1D_jS1E_S1E_jjS1G_bEUljE0_EEESZ_S10_S11_S18_S1C_S1E_T6_T7_T9_mT8_S1G_bDpT10_ENKUlT_T0_E_clISt17integral_constantIbLb1EES1T_IbLb0EEEEDaS1P_S1Q_EUlS1P_E_NS1_11comp_targetILNS1_3genE9ELNS1_11target_archE1100ELNS1_3gpuE3ELNS1_3repE0EEENS1_30default_config_static_selectorELNS0_4arch9wavefront6targetE0EEEvS12_.has_indirect_call, 0
	.section	.AMDGPU.csdata,"",@progbits
; Kernel info:
; codeLenInByte = 0
; TotalNumSgprs: 0
; NumVgprs: 0
; ScratchSize: 0
; MemoryBound: 0
; FloatMode: 240
; IeeeMode: 1
; LDSByteSize: 0 bytes/workgroup (compile time only)
; SGPRBlocks: 0
; VGPRBlocks: 0
; NumSGPRsForWavesPerEU: 1
; NumVGPRsForWavesPerEU: 1
; Occupancy: 16
; WaveLimiterHint : 0
; COMPUTE_PGM_RSRC2:SCRATCH_EN: 0
; COMPUTE_PGM_RSRC2:USER_SGPR: 6
; COMPUTE_PGM_RSRC2:TRAP_HANDLER: 0
; COMPUTE_PGM_RSRC2:TGID_X_EN: 1
; COMPUTE_PGM_RSRC2:TGID_Y_EN: 0
; COMPUTE_PGM_RSRC2:TGID_Z_EN: 0
; COMPUTE_PGM_RSRC2:TIDIG_COMP_CNT: 0
	.section	.text._ZN7rocprim17ROCPRIM_400000_NS6detail17trampoline_kernelINS0_13select_configILj256ELj13ELNS0_17block_load_methodE3ELS4_3ELS4_3ELNS0_20block_scan_algorithmE0ELj4294967295EEENS1_25partition_config_selectorILNS1_17partition_subalgoE4EjNS0_10empty_typeEbEEZZNS1_14partition_implILS8_4ELb0ES6_15HIP_vector_typeIjLj2EENS0_17counting_iteratorIjlEEPS9_SG_NS0_5tupleIJPjSI_NS0_16reverse_iteratorISI_EEEEENSH_IJSG_SG_SG_EEES9_SI_JZNS1_25segmented_radix_sort_implINS0_14default_configELb1EPKaPaPKlPlN2at6native12_GLOBAL__N_18offset_tEEE10hipError_tPvRmT1_PNSt15iterator_traitsIS12_E10value_typeET2_T3_PNS13_IS18_E10value_typeET4_jRbjT5_S1E_jjP12ihipStream_tbEUljE_ZNSN_ISO_Lb1ESQ_SR_ST_SU_SY_EESZ_S10_S11_S12_S16_S17_S18_S1B_S1C_jS1D_jS1E_S1E_jjS1G_bEUljE0_EEESZ_S10_S11_S18_S1C_S1E_T6_T7_T9_mT8_S1G_bDpT10_ENKUlT_T0_E_clISt17integral_constantIbLb1EES1T_IbLb0EEEEDaS1P_S1Q_EUlS1P_E_NS1_11comp_targetILNS1_3genE8ELNS1_11target_archE1030ELNS1_3gpuE2ELNS1_3repE0EEENS1_30default_config_static_selectorELNS0_4arch9wavefront6targetE0EEEvS12_,"axG",@progbits,_ZN7rocprim17ROCPRIM_400000_NS6detail17trampoline_kernelINS0_13select_configILj256ELj13ELNS0_17block_load_methodE3ELS4_3ELS4_3ELNS0_20block_scan_algorithmE0ELj4294967295EEENS1_25partition_config_selectorILNS1_17partition_subalgoE4EjNS0_10empty_typeEbEEZZNS1_14partition_implILS8_4ELb0ES6_15HIP_vector_typeIjLj2EENS0_17counting_iteratorIjlEEPS9_SG_NS0_5tupleIJPjSI_NS0_16reverse_iteratorISI_EEEEENSH_IJSG_SG_SG_EEES9_SI_JZNS1_25segmented_radix_sort_implINS0_14default_configELb1EPKaPaPKlPlN2at6native12_GLOBAL__N_18offset_tEEE10hipError_tPvRmT1_PNSt15iterator_traitsIS12_E10value_typeET2_T3_PNS13_IS18_E10value_typeET4_jRbjT5_S1E_jjP12ihipStream_tbEUljE_ZNSN_ISO_Lb1ESQ_SR_ST_SU_SY_EESZ_S10_S11_S12_S16_S17_S18_S1B_S1C_jS1D_jS1E_S1E_jjS1G_bEUljE0_EEESZ_S10_S11_S18_S1C_S1E_T6_T7_T9_mT8_S1G_bDpT10_ENKUlT_T0_E_clISt17integral_constantIbLb1EES1T_IbLb0EEEEDaS1P_S1Q_EUlS1P_E_NS1_11comp_targetILNS1_3genE8ELNS1_11target_archE1030ELNS1_3gpuE2ELNS1_3repE0EEENS1_30default_config_static_selectorELNS0_4arch9wavefront6targetE0EEEvS12_,comdat
	.globl	_ZN7rocprim17ROCPRIM_400000_NS6detail17trampoline_kernelINS0_13select_configILj256ELj13ELNS0_17block_load_methodE3ELS4_3ELS4_3ELNS0_20block_scan_algorithmE0ELj4294967295EEENS1_25partition_config_selectorILNS1_17partition_subalgoE4EjNS0_10empty_typeEbEEZZNS1_14partition_implILS8_4ELb0ES6_15HIP_vector_typeIjLj2EENS0_17counting_iteratorIjlEEPS9_SG_NS0_5tupleIJPjSI_NS0_16reverse_iteratorISI_EEEEENSH_IJSG_SG_SG_EEES9_SI_JZNS1_25segmented_radix_sort_implINS0_14default_configELb1EPKaPaPKlPlN2at6native12_GLOBAL__N_18offset_tEEE10hipError_tPvRmT1_PNSt15iterator_traitsIS12_E10value_typeET2_T3_PNS13_IS18_E10value_typeET4_jRbjT5_S1E_jjP12ihipStream_tbEUljE_ZNSN_ISO_Lb1ESQ_SR_ST_SU_SY_EESZ_S10_S11_S12_S16_S17_S18_S1B_S1C_jS1D_jS1E_S1E_jjS1G_bEUljE0_EEESZ_S10_S11_S18_S1C_S1E_T6_T7_T9_mT8_S1G_bDpT10_ENKUlT_T0_E_clISt17integral_constantIbLb1EES1T_IbLb0EEEEDaS1P_S1Q_EUlS1P_E_NS1_11comp_targetILNS1_3genE8ELNS1_11target_archE1030ELNS1_3gpuE2ELNS1_3repE0EEENS1_30default_config_static_selectorELNS0_4arch9wavefront6targetE0EEEvS12_ ; -- Begin function _ZN7rocprim17ROCPRIM_400000_NS6detail17trampoline_kernelINS0_13select_configILj256ELj13ELNS0_17block_load_methodE3ELS4_3ELS4_3ELNS0_20block_scan_algorithmE0ELj4294967295EEENS1_25partition_config_selectorILNS1_17partition_subalgoE4EjNS0_10empty_typeEbEEZZNS1_14partition_implILS8_4ELb0ES6_15HIP_vector_typeIjLj2EENS0_17counting_iteratorIjlEEPS9_SG_NS0_5tupleIJPjSI_NS0_16reverse_iteratorISI_EEEEENSH_IJSG_SG_SG_EEES9_SI_JZNS1_25segmented_radix_sort_implINS0_14default_configELb1EPKaPaPKlPlN2at6native12_GLOBAL__N_18offset_tEEE10hipError_tPvRmT1_PNSt15iterator_traitsIS12_E10value_typeET2_T3_PNS13_IS18_E10value_typeET4_jRbjT5_S1E_jjP12ihipStream_tbEUljE_ZNSN_ISO_Lb1ESQ_SR_ST_SU_SY_EESZ_S10_S11_S12_S16_S17_S18_S1B_S1C_jS1D_jS1E_S1E_jjS1G_bEUljE0_EEESZ_S10_S11_S18_S1C_S1E_T6_T7_T9_mT8_S1G_bDpT10_ENKUlT_T0_E_clISt17integral_constantIbLb1EES1T_IbLb0EEEEDaS1P_S1Q_EUlS1P_E_NS1_11comp_targetILNS1_3genE8ELNS1_11target_archE1030ELNS1_3gpuE2ELNS1_3repE0EEENS1_30default_config_static_selectorELNS0_4arch9wavefront6targetE0EEEvS12_
	.p2align	8
	.type	_ZN7rocprim17ROCPRIM_400000_NS6detail17trampoline_kernelINS0_13select_configILj256ELj13ELNS0_17block_load_methodE3ELS4_3ELS4_3ELNS0_20block_scan_algorithmE0ELj4294967295EEENS1_25partition_config_selectorILNS1_17partition_subalgoE4EjNS0_10empty_typeEbEEZZNS1_14partition_implILS8_4ELb0ES6_15HIP_vector_typeIjLj2EENS0_17counting_iteratorIjlEEPS9_SG_NS0_5tupleIJPjSI_NS0_16reverse_iteratorISI_EEEEENSH_IJSG_SG_SG_EEES9_SI_JZNS1_25segmented_radix_sort_implINS0_14default_configELb1EPKaPaPKlPlN2at6native12_GLOBAL__N_18offset_tEEE10hipError_tPvRmT1_PNSt15iterator_traitsIS12_E10value_typeET2_T3_PNS13_IS18_E10value_typeET4_jRbjT5_S1E_jjP12ihipStream_tbEUljE_ZNSN_ISO_Lb1ESQ_SR_ST_SU_SY_EESZ_S10_S11_S12_S16_S17_S18_S1B_S1C_jS1D_jS1E_S1E_jjS1G_bEUljE0_EEESZ_S10_S11_S18_S1C_S1E_T6_T7_T9_mT8_S1G_bDpT10_ENKUlT_T0_E_clISt17integral_constantIbLb1EES1T_IbLb0EEEEDaS1P_S1Q_EUlS1P_E_NS1_11comp_targetILNS1_3genE8ELNS1_11target_archE1030ELNS1_3gpuE2ELNS1_3repE0EEENS1_30default_config_static_selectorELNS0_4arch9wavefront6targetE0EEEvS12_,@function
_ZN7rocprim17ROCPRIM_400000_NS6detail17trampoline_kernelINS0_13select_configILj256ELj13ELNS0_17block_load_methodE3ELS4_3ELS4_3ELNS0_20block_scan_algorithmE0ELj4294967295EEENS1_25partition_config_selectorILNS1_17partition_subalgoE4EjNS0_10empty_typeEbEEZZNS1_14partition_implILS8_4ELb0ES6_15HIP_vector_typeIjLj2EENS0_17counting_iteratorIjlEEPS9_SG_NS0_5tupleIJPjSI_NS0_16reverse_iteratorISI_EEEEENSH_IJSG_SG_SG_EEES9_SI_JZNS1_25segmented_radix_sort_implINS0_14default_configELb1EPKaPaPKlPlN2at6native12_GLOBAL__N_18offset_tEEE10hipError_tPvRmT1_PNSt15iterator_traitsIS12_E10value_typeET2_T3_PNS13_IS18_E10value_typeET4_jRbjT5_S1E_jjP12ihipStream_tbEUljE_ZNSN_ISO_Lb1ESQ_SR_ST_SU_SY_EESZ_S10_S11_S12_S16_S17_S18_S1B_S1C_jS1D_jS1E_S1E_jjS1G_bEUljE0_EEESZ_S10_S11_S18_S1C_S1E_T6_T7_T9_mT8_S1G_bDpT10_ENKUlT_T0_E_clISt17integral_constantIbLb1EES1T_IbLb0EEEEDaS1P_S1Q_EUlS1P_E_NS1_11comp_targetILNS1_3genE8ELNS1_11target_archE1030ELNS1_3gpuE2ELNS1_3repE0EEENS1_30default_config_static_selectorELNS0_4arch9wavefront6targetE0EEEvS12_: ; @_ZN7rocprim17ROCPRIM_400000_NS6detail17trampoline_kernelINS0_13select_configILj256ELj13ELNS0_17block_load_methodE3ELS4_3ELS4_3ELNS0_20block_scan_algorithmE0ELj4294967295EEENS1_25partition_config_selectorILNS1_17partition_subalgoE4EjNS0_10empty_typeEbEEZZNS1_14partition_implILS8_4ELb0ES6_15HIP_vector_typeIjLj2EENS0_17counting_iteratorIjlEEPS9_SG_NS0_5tupleIJPjSI_NS0_16reverse_iteratorISI_EEEEENSH_IJSG_SG_SG_EEES9_SI_JZNS1_25segmented_radix_sort_implINS0_14default_configELb1EPKaPaPKlPlN2at6native12_GLOBAL__N_18offset_tEEE10hipError_tPvRmT1_PNSt15iterator_traitsIS12_E10value_typeET2_T3_PNS13_IS18_E10value_typeET4_jRbjT5_S1E_jjP12ihipStream_tbEUljE_ZNSN_ISO_Lb1ESQ_SR_ST_SU_SY_EESZ_S10_S11_S12_S16_S17_S18_S1B_S1C_jS1D_jS1E_S1E_jjS1G_bEUljE0_EEESZ_S10_S11_S18_S1C_S1E_T6_T7_T9_mT8_S1G_bDpT10_ENKUlT_T0_E_clISt17integral_constantIbLb1EES1T_IbLb0EEEEDaS1P_S1Q_EUlS1P_E_NS1_11comp_targetILNS1_3genE8ELNS1_11target_archE1030ELNS1_3gpuE2ELNS1_3repE0EEENS1_30default_config_static_selectorELNS0_4arch9wavefront6targetE0EEEvS12_
; %bb.0:
	s_endpgm
	.section	.rodata,"a",@progbits
	.p2align	6, 0x0
	.amdhsa_kernel _ZN7rocprim17ROCPRIM_400000_NS6detail17trampoline_kernelINS0_13select_configILj256ELj13ELNS0_17block_load_methodE3ELS4_3ELS4_3ELNS0_20block_scan_algorithmE0ELj4294967295EEENS1_25partition_config_selectorILNS1_17partition_subalgoE4EjNS0_10empty_typeEbEEZZNS1_14partition_implILS8_4ELb0ES6_15HIP_vector_typeIjLj2EENS0_17counting_iteratorIjlEEPS9_SG_NS0_5tupleIJPjSI_NS0_16reverse_iteratorISI_EEEEENSH_IJSG_SG_SG_EEES9_SI_JZNS1_25segmented_radix_sort_implINS0_14default_configELb1EPKaPaPKlPlN2at6native12_GLOBAL__N_18offset_tEEE10hipError_tPvRmT1_PNSt15iterator_traitsIS12_E10value_typeET2_T3_PNS13_IS18_E10value_typeET4_jRbjT5_S1E_jjP12ihipStream_tbEUljE_ZNSN_ISO_Lb1ESQ_SR_ST_SU_SY_EESZ_S10_S11_S12_S16_S17_S18_S1B_S1C_jS1D_jS1E_S1E_jjS1G_bEUljE0_EEESZ_S10_S11_S18_S1C_S1E_T6_T7_T9_mT8_S1G_bDpT10_ENKUlT_T0_E_clISt17integral_constantIbLb1EES1T_IbLb0EEEEDaS1P_S1Q_EUlS1P_E_NS1_11comp_targetILNS1_3genE8ELNS1_11target_archE1030ELNS1_3gpuE2ELNS1_3repE0EEENS1_30default_config_static_selectorELNS0_4arch9wavefront6targetE0EEEvS12_
		.amdhsa_group_segment_fixed_size 0
		.amdhsa_private_segment_fixed_size 0
		.amdhsa_kernarg_size 176
		.amdhsa_user_sgpr_count 6
		.amdhsa_user_sgpr_private_segment_buffer 1
		.amdhsa_user_sgpr_dispatch_ptr 0
		.amdhsa_user_sgpr_queue_ptr 0
		.amdhsa_user_sgpr_kernarg_segment_ptr 1
		.amdhsa_user_sgpr_dispatch_id 0
		.amdhsa_user_sgpr_flat_scratch_init 0
		.amdhsa_user_sgpr_private_segment_size 0
		.amdhsa_wavefront_size32 1
		.amdhsa_uses_dynamic_stack 0
		.amdhsa_system_sgpr_private_segment_wavefront_offset 0
		.amdhsa_system_sgpr_workgroup_id_x 1
		.amdhsa_system_sgpr_workgroup_id_y 0
		.amdhsa_system_sgpr_workgroup_id_z 0
		.amdhsa_system_sgpr_workgroup_info 0
		.amdhsa_system_vgpr_workitem_id 0
		.amdhsa_next_free_vgpr 1
		.amdhsa_next_free_sgpr 1
		.amdhsa_reserve_vcc 0
		.amdhsa_reserve_flat_scratch 0
		.amdhsa_float_round_mode_32 0
		.amdhsa_float_round_mode_16_64 0
		.amdhsa_float_denorm_mode_32 3
		.amdhsa_float_denorm_mode_16_64 3
		.amdhsa_dx10_clamp 1
		.amdhsa_ieee_mode 1
		.amdhsa_fp16_overflow 0
		.amdhsa_workgroup_processor_mode 1
		.amdhsa_memory_ordered 1
		.amdhsa_forward_progress 1
		.amdhsa_shared_vgpr_count 0
		.amdhsa_exception_fp_ieee_invalid_op 0
		.amdhsa_exception_fp_denorm_src 0
		.amdhsa_exception_fp_ieee_div_zero 0
		.amdhsa_exception_fp_ieee_overflow 0
		.amdhsa_exception_fp_ieee_underflow 0
		.amdhsa_exception_fp_ieee_inexact 0
		.amdhsa_exception_int_div_zero 0
	.end_amdhsa_kernel
	.section	.text._ZN7rocprim17ROCPRIM_400000_NS6detail17trampoline_kernelINS0_13select_configILj256ELj13ELNS0_17block_load_methodE3ELS4_3ELS4_3ELNS0_20block_scan_algorithmE0ELj4294967295EEENS1_25partition_config_selectorILNS1_17partition_subalgoE4EjNS0_10empty_typeEbEEZZNS1_14partition_implILS8_4ELb0ES6_15HIP_vector_typeIjLj2EENS0_17counting_iteratorIjlEEPS9_SG_NS0_5tupleIJPjSI_NS0_16reverse_iteratorISI_EEEEENSH_IJSG_SG_SG_EEES9_SI_JZNS1_25segmented_radix_sort_implINS0_14default_configELb1EPKaPaPKlPlN2at6native12_GLOBAL__N_18offset_tEEE10hipError_tPvRmT1_PNSt15iterator_traitsIS12_E10value_typeET2_T3_PNS13_IS18_E10value_typeET4_jRbjT5_S1E_jjP12ihipStream_tbEUljE_ZNSN_ISO_Lb1ESQ_SR_ST_SU_SY_EESZ_S10_S11_S12_S16_S17_S18_S1B_S1C_jS1D_jS1E_S1E_jjS1G_bEUljE0_EEESZ_S10_S11_S18_S1C_S1E_T6_T7_T9_mT8_S1G_bDpT10_ENKUlT_T0_E_clISt17integral_constantIbLb1EES1T_IbLb0EEEEDaS1P_S1Q_EUlS1P_E_NS1_11comp_targetILNS1_3genE8ELNS1_11target_archE1030ELNS1_3gpuE2ELNS1_3repE0EEENS1_30default_config_static_selectorELNS0_4arch9wavefront6targetE0EEEvS12_,"axG",@progbits,_ZN7rocprim17ROCPRIM_400000_NS6detail17trampoline_kernelINS0_13select_configILj256ELj13ELNS0_17block_load_methodE3ELS4_3ELS4_3ELNS0_20block_scan_algorithmE0ELj4294967295EEENS1_25partition_config_selectorILNS1_17partition_subalgoE4EjNS0_10empty_typeEbEEZZNS1_14partition_implILS8_4ELb0ES6_15HIP_vector_typeIjLj2EENS0_17counting_iteratorIjlEEPS9_SG_NS0_5tupleIJPjSI_NS0_16reverse_iteratorISI_EEEEENSH_IJSG_SG_SG_EEES9_SI_JZNS1_25segmented_radix_sort_implINS0_14default_configELb1EPKaPaPKlPlN2at6native12_GLOBAL__N_18offset_tEEE10hipError_tPvRmT1_PNSt15iterator_traitsIS12_E10value_typeET2_T3_PNS13_IS18_E10value_typeET4_jRbjT5_S1E_jjP12ihipStream_tbEUljE_ZNSN_ISO_Lb1ESQ_SR_ST_SU_SY_EESZ_S10_S11_S12_S16_S17_S18_S1B_S1C_jS1D_jS1E_S1E_jjS1G_bEUljE0_EEESZ_S10_S11_S18_S1C_S1E_T6_T7_T9_mT8_S1G_bDpT10_ENKUlT_T0_E_clISt17integral_constantIbLb1EES1T_IbLb0EEEEDaS1P_S1Q_EUlS1P_E_NS1_11comp_targetILNS1_3genE8ELNS1_11target_archE1030ELNS1_3gpuE2ELNS1_3repE0EEENS1_30default_config_static_selectorELNS0_4arch9wavefront6targetE0EEEvS12_,comdat
.Lfunc_end247:
	.size	_ZN7rocprim17ROCPRIM_400000_NS6detail17trampoline_kernelINS0_13select_configILj256ELj13ELNS0_17block_load_methodE3ELS4_3ELS4_3ELNS0_20block_scan_algorithmE0ELj4294967295EEENS1_25partition_config_selectorILNS1_17partition_subalgoE4EjNS0_10empty_typeEbEEZZNS1_14partition_implILS8_4ELb0ES6_15HIP_vector_typeIjLj2EENS0_17counting_iteratorIjlEEPS9_SG_NS0_5tupleIJPjSI_NS0_16reverse_iteratorISI_EEEEENSH_IJSG_SG_SG_EEES9_SI_JZNS1_25segmented_radix_sort_implINS0_14default_configELb1EPKaPaPKlPlN2at6native12_GLOBAL__N_18offset_tEEE10hipError_tPvRmT1_PNSt15iterator_traitsIS12_E10value_typeET2_T3_PNS13_IS18_E10value_typeET4_jRbjT5_S1E_jjP12ihipStream_tbEUljE_ZNSN_ISO_Lb1ESQ_SR_ST_SU_SY_EESZ_S10_S11_S12_S16_S17_S18_S1B_S1C_jS1D_jS1E_S1E_jjS1G_bEUljE0_EEESZ_S10_S11_S18_S1C_S1E_T6_T7_T9_mT8_S1G_bDpT10_ENKUlT_T0_E_clISt17integral_constantIbLb1EES1T_IbLb0EEEEDaS1P_S1Q_EUlS1P_E_NS1_11comp_targetILNS1_3genE8ELNS1_11target_archE1030ELNS1_3gpuE2ELNS1_3repE0EEENS1_30default_config_static_selectorELNS0_4arch9wavefront6targetE0EEEvS12_, .Lfunc_end247-_ZN7rocprim17ROCPRIM_400000_NS6detail17trampoline_kernelINS0_13select_configILj256ELj13ELNS0_17block_load_methodE3ELS4_3ELS4_3ELNS0_20block_scan_algorithmE0ELj4294967295EEENS1_25partition_config_selectorILNS1_17partition_subalgoE4EjNS0_10empty_typeEbEEZZNS1_14partition_implILS8_4ELb0ES6_15HIP_vector_typeIjLj2EENS0_17counting_iteratorIjlEEPS9_SG_NS0_5tupleIJPjSI_NS0_16reverse_iteratorISI_EEEEENSH_IJSG_SG_SG_EEES9_SI_JZNS1_25segmented_radix_sort_implINS0_14default_configELb1EPKaPaPKlPlN2at6native12_GLOBAL__N_18offset_tEEE10hipError_tPvRmT1_PNSt15iterator_traitsIS12_E10value_typeET2_T3_PNS13_IS18_E10value_typeET4_jRbjT5_S1E_jjP12ihipStream_tbEUljE_ZNSN_ISO_Lb1ESQ_SR_ST_SU_SY_EESZ_S10_S11_S12_S16_S17_S18_S1B_S1C_jS1D_jS1E_S1E_jjS1G_bEUljE0_EEESZ_S10_S11_S18_S1C_S1E_T6_T7_T9_mT8_S1G_bDpT10_ENKUlT_T0_E_clISt17integral_constantIbLb1EES1T_IbLb0EEEEDaS1P_S1Q_EUlS1P_E_NS1_11comp_targetILNS1_3genE8ELNS1_11target_archE1030ELNS1_3gpuE2ELNS1_3repE0EEENS1_30default_config_static_selectorELNS0_4arch9wavefront6targetE0EEEvS12_
                                        ; -- End function
	.set _ZN7rocprim17ROCPRIM_400000_NS6detail17trampoline_kernelINS0_13select_configILj256ELj13ELNS0_17block_load_methodE3ELS4_3ELS4_3ELNS0_20block_scan_algorithmE0ELj4294967295EEENS1_25partition_config_selectorILNS1_17partition_subalgoE4EjNS0_10empty_typeEbEEZZNS1_14partition_implILS8_4ELb0ES6_15HIP_vector_typeIjLj2EENS0_17counting_iteratorIjlEEPS9_SG_NS0_5tupleIJPjSI_NS0_16reverse_iteratorISI_EEEEENSH_IJSG_SG_SG_EEES9_SI_JZNS1_25segmented_radix_sort_implINS0_14default_configELb1EPKaPaPKlPlN2at6native12_GLOBAL__N_18offset_tEEE10hipError_tPvRmT1_PNSt15iterator_traitsIS12_E10value_typeET2_T3_PNS13_IS18_E10value_typeET4_jRbjT5_S1E_jjP12ihipStream_tbEUljE_ZNSN_ISO_Lb1ESQ_SR_ST_SU_SY_EESZ_S10_S11_S12_S16_S17_S18_S1B_S1C_jS1D_jS1E_S1E_jjS1G_bEUljE0_EEESZ_S10_S11_S18_S1C_S1E_T6_T7_T9_mT8_S1G_bDpT10_ENKUlT_T0_E_clISt17integral_constantIbLb1EES1T_IbLb0EEEEDaS1P_S1Q_EUlS1P_E_NS1_11comp_targetILNS1_3genE8ELNS1_11target_archE1030ELNS1_3gpuE2ELNS1_3repE0EEENS1_30default_config_static_selectorELNS0_4arch9wavefront6targetE0EEEvS12_.num_vgpr, 0
	.set _ZN7rocprim17ROCPRIM_400000_NS6detail17trampoline_kernelINS0_13select_configILj256ELj13ELNS0_17block_load_methodE3ELS4_3ELS4_3ELNS0_20block_scan_algorithmE0ELj4294967295EEENS1_25partition_config_selectorILNS1_17partition_subalgoE4EjNS0_10empty_typeEbEEZZNS1_14partition_implILS8_4ELb0ES6_15HIP_vector_typeIjLj2EENS0_17counting_iteratorIjlEEPS9_SG_NS0_5tupleIJPjSI_NS0_16reverse_iteratorISI_EEEEENSH_IJSG_SG_SG_EEES9_SI_JZNS1_25segmented_radix_sort_implINS0_14default_configELb1EPKaPaPKlPlN2at6native12_GLOBAL__N_18offset_tEEE10hipError_tPvRmT1_PNSt15iterator_traitsIS12_E10value_typeET2_T3_PNS13_IS18_E10value_typeET4_jRbjT5_S1E_jjP12ihipStream_tbEUljE_ZNSN_ISO_Lb1ESQ_SR_ST_SU_SY_EESZ_S10_S11_S12_S16_S17_S18_S1B_S1C_jS1D_jS1E_S1E_jjS1G_bEUljE0_EEESZ_S10_S11_S18_S1C_S1E_T6_T7_T9_mT8_S1G_bDpT10_ENKUlT_T0_E_clISt17integral_constantIbLb1EES1T_IbLb0EEEEDaS1P_S1Q_EUlS1P_E_NS1_11comp_targetILNS1_3genE8ELNS1_11target_archE1030ELNS1_3gpuE2ELNS1_3repE0EEENS1_30default_config_static_selectorELNS0_4arch9wavefront6targetE0EEEvS12_.num_agpr, 0
	.set _ZN7rocprim17ROCPRIM_400000_NS6detail17trampoline_kernelINS0_13select_configILj256ELj13ELNS0_17block_load_methodE3ELS4_3ELS4_3ELNS0_20block_scan_algorithmE0ELj4294967295EEENS1_25partition_config_selectorILNS1_17partition_subalgoE4EjNS0_10empty_typeEbEEZZNS1_14partition_implILS8_4ELb0ES6_15HIP_vector_typeIjLj2EENS0_17counting_iteratorIjlEEPS9_SG_NS0_5tupleIJPjSI_NS0_16reverse_iteratorISI_EEEEENSH_IJSG_SG_SG_EEES9_SI_JZNS1_25segmented_radix_sort_implINS0_14default_configELb1EPKaPaPKlPlN2at6native12_GLOBAL__N_18offset_tEEE10hipError_tPvRmT1_PNSt15iterator_traitsIS12_E10value_typeET2_T3_PNS13_IS18_E10value_typeET4_jRbjT5_S1E_jjP12ihipStream_tbEUljE_ZNSN_ISO_Lb1ESQ_SR_ST_SU_SY_EESZ_S10_S11_S12_S16_S17_S18_S1B_S1C_jS1D_jS1E_S1E_jjS1G_bEUljE0_EEESZ_S10_S11_S18_S1C_S1E_T6_T7_T9_mT8_S1G_bDpT10_ENKUlT_T0_E_clISt17integral_constantIbLb1EES1T_IbLb0EEEEDaS1P_S1Q_EUlS1P_E_NS1_11comp_targetILNS1_3genE8ELNS1_11target_archE1030ELNS1_3gpuE2ELNS1_3repE0EEENS1_30default_config_static_selectorELNS0_4arch9wavefront6targetE0EEEvS12_.numbered_sgpr, 0
	.set _ZN7rocprim17ROCPRIM_400000_NS6detail17trampoline_kernelINS0_13select_configILj256ELj13ELNS0_17block_load_methodE3ELS4_3ELS4_3ELNS0_20block_scan_algorithmE0ELj4294967295EEENS1_25partition_config_selectorILNS1_17partition_subalgoE4EjNS0_10empty_typeEbEEZZNS1_14partition_implILS8_4ELb0ES6_15HIP_vector_typeIjLj2EENS0_17counting_iteratorIjlEEPS9_SG_NS0_5tupleIJPjSI_NS0_16reverse_iteratorISI_EEEEENSH_IJSG_SG_SG_EEES9_SI_JZNS1_25segmented_radix_sort_implINS0_14default_configELb1EPKaPaPKlPlN2at6native12_GLOBAL__N_18offset_tEEE10hipError_tPvRmT1_PNSt15iterator_traitsIS12_E10value_typeET2_T3_PNS13_IS18_E10value_typeET4_jRbjT5_S1E_jjP12ihipStream_tbEUljE_ZNSN_ISO_Lb1ESQ_SR_ST_SU_SY_EESZ_S10_S11_S12_S16_S17_S18_S1B_S1C_jS1D_jS1E_S1E_jjS1G_bEUljE0_EEESZ_S10_S11_S18_S1C_S1E_T6_T7_T9_mT8_S1G_bDpT10_ENKUlT_T0_E_clISt17integral_constantIbLb1EES1T_IbLb0EEEEDaS1P_S1Q_EUlS1P_E_NS1_11comp_targetILNS1_3genE8ELNS1_11target_archE1030ELNS1_3gpuE2ELNS1_3repE0EEENS1_30default_config_static_selectorELNS0_4arch9wavefront6targetE0EEEvS12_.num_named_barrier, 0
	.set _ZN7rocprim17ROCPRIM_400000_NS6detail17trampoline_kernelINS0_13select_configILj256ELj13ELNS0_17block_load_methodE3ELS4_3ELS4_3ELNS0_20block_scan_algorithmE0ELj4294967295EEENS1_25partition_config_selectorILNS1_17partition_subalgoE4EjNS0_10empty_typeEbEEZZNS1_14partition_implILS8_4ELb0ES6_15HIP_vector_typeIjLj2EENS0_17counting_iteratorIjlEEPS9_SG_NS0_5tupleIJPjSI_NS0_16reverse_iteratorISI_EEEEENSH_IJSG_SG_SG_EEES9_SI_JZNS1_25segmented_radix_sort_implINS0_14default_configELb1EPKaPaPKlPlN2at6native12_GLOBAL__N_18offset_tEEE10hipError_tPvRmT1_PNSt15iterator_traitsIS12_E10value_typeET2_T3_PNS13_IS18_E10value_typeET4_jRbjT5_S1E_jjP12ihipStream_tbEUljE_ZNSN_ISO_Lb1ESQ_SR_ST_SU_SY_EESZ_S10_S11_S12_S16_S17_S18_S1B_S1C_jS1D_jS1E_S1E_jjS1G_bEUljE0_EEESZ_S10_S11_S18_S1C_S1E_T6_T7_T9_mT8_S1G_bDpT10_ENKUlT_T0_E_clISt17integral_constantIbLb1EES1T_IbLb0EEEEDaS1P_S1Q_EUlS1P_E_NS1_11comp_targetILNS1_3genE8ELNS1_11target_archE1030ELNS1_3gpuE2ELNS1_3repE0EEENS1_30default_config_static_selectorELNS0_4arch9wavefront6targetE0EEEvS12_.private_seg_size, 0
	.set _ZN7rocprim17ROCPRIM_400000_NS6detail17trampoline_kernelINS0_13select_configILj256ELj13ELNS0_17block_load_methodE3ELS4_3ELS4_3ELNS0_20block_scan_algorithmE0ELj4294967295EEENS1_25partition_config_selectorILNS1_17partition_subalgoE4EjNS0_10empty_typeEbEEZZNS1_14partition_implILS8_4ELb0ES6_15HIP_vector_typeIjLj2EENS0_17counting_iteratorIjlEEPS9_SG_NS0_5tupleIJPjSI_NS0_16reverse_iteratorISI_EEEEENSH_IJSG_SG_SG_EEES9_SI_JZNS1_25segmented_radix_sort_implINS0_14default_configELb1EPKaPaPKlPlN2at6native12_GLOBAL__N_18offset_tEEE10hipError_tPvRmT1_PNSt15iterator_traitsIS12_E10value_typeET2_T3_PNS13_IS18_E10value_typeET4_jRbjT5_S1E_jjP12ihipStream_tbEUljE_ZNSN_ISO_Lb1ESQ_SR_ST_SU_SY_EESZ_S10_S11_S12_S16_S17_S18_S1B_S1C_jS1D_jS1E_S1E_jjS1G_bEUljE0_EEESZ_S10_S11_S18_S1C_S1E_T6_T7_T9_mT8_S1G_bDpT10_ENKUlT_T0_E_clISt17integral_constantIbLb1EES1T_IbLb0EEEEDaS1P_S1Q_EUlS1P_E_NS1_11comp_targetILNS1_3genE8ELNS1_11target_archE1030ELNS1_3gpuE2ELNS1_3repE0EEENS1_30default_config_static_selectorELNS0_4arch9wavefront6targetE0EEEvS12_.uses_vcc, 0
	.set _ZN7rocprim17ROCPRIM_400000_NS6detail17trampoline_kernelINS0_13select_configILj256ELj13ELNS0_17block_load_methodE3ELS4_3ELS4_3ELNS0_20block_scan_algorithmE0ELj4294967295EEENS1_25partition_config_selectorILNS1_17partition_subalgoE4EjNS0_10empty_typeEbEEZZNS1_14partition_implILS8_4ELb0ES6_15HIP_vector_typeIjLj2EENS0_17counting_iteratorIjlEEPS9_SG_NS0_5tupleIJPjSI_NS0_16reverse_iteratorISI_EEEEENSH_IJSG_SG_SG_EEES9_SI_JZNS1_25segmented_radix_sort_implINS0_14default_configELb1EPKaPaPKlPlN2at6native12_GLOBAL__N_18offset_tEEE10hipError_tPvRmT1_PNSt15iterator_traitsIS12_E10value_typeET2_T3_PNS13_IS18_E10value_typeET4_jRbjT5_S1E_jjP12ihipStream_tbEUljE_ZNSN_ISO_Lb1ESQ_SR_ST_SU_SY_EESZ_S10_S11_S12_S16_S17_S18_S1B_S1C_jS1D_jS1E_S1E_jjS1G_bEUljE0_EEESZ_S10_S11_S18_S1C_S1E_T6_T7_T9_mT8_S1G_bDpT10_ENKUlT_T0_E_clISt17integral_constantIbLb1EES1T_IbLb0EEEEDaS1P_S1Q_EUlS1P_E_NS1_11comp_targetILNS1_3genE8ELNS1_11target_archE1030ELNS1_3gpuE2ELNS1_3repE0EEENS1_30default_config_static_selectorELNS0_4arch9wavefront6targetE0EEEvS12_.uses_flat_scratch, 0
	.set _ZN7rocprim17ROCPRIM_400000_NS6detail17trampoline_kernelINS0_13select_configILj256ELj13ELNS0_17block_load_methodE3ELS4_3ELS4_3ELNS0_20block_scan_algorithmE0ELj4294967295EEENS1_25partition_config_selectorILNS1_17partition_subalgoE4EjNS0_10empty_typeEbEEZZNS1_14partition_implILS8_4ELb0ES6_15HIP_vector_typeIjLj2EENS0_17counting_iteratorIjlEEPS9_SG_NS0_5tupleIJPjSI_NS0_16reverse_iteratorISI_EEEEENSH_IJSG_SG_SG_EEES9_SI_JZNS1_25segmented_radix_sort_implINS0_14default_configELb1EPKaPaPKlPlN2at6native12_GLOBAL__N_18offset_tEEE10hipError_tPvRmT1_PNSt15iterator_traitsIS12_E10value_typeET2_T3_PNS13_IS18_E10value_typeET4_jRbjT5_S1E_jjP12ihipStream_tbEUljE_ZNSN_ISO_Lb1ESQ_SR_ST_SU_SY_EESZ_S10_S11_S12_S16_S17_S18_S1B_S1C_jS1D_jS1E_S1E_jjS1G_bEUljE0_EEESZ_S10_S11_S18_S1C_S1E_T6_T7_T9_mT8_S1G_bDpT10_ENKUlT_T0_E_clISt17integral_constantIbLb1EES1T_IbLb0EEEEDaS1P_S1Q_EUlS1P_E_NS1_11comp_targetILNS1_3genE8ELNS1_11target_archE1030ELNS1_3gpuE2ELNS1_3repE0EEENS1_30default_config_static_selectorELNS0_4arch9wavefront6targetE0EEEvS12_.has_dyn_sized_stack, 0
	.set _ZN7rocprim17ROCPRIM_400000_NS6detail17trampoline_kernelINS0_13select_configILj256ELj13ELNS0_17block_load_methodE3ELS4_3ELS4_3ELNS0_20block_scan_algorithmE0ELj4294967295EEENS1_25partition_config_selectorILNS1_17partition_subalgoE4EjNS0_10empty_typeEbEEZZNS1_14partition_implILS8_4ELb0ES6_15HIP_vector_typeIjLj2EENS0_17counting_iteratorIjlEEPS9_SG_NS0_5tupleIJPjSI_NS0_16reverse_iteratorISI_EEEEENSH_IJSG_SG_SG_EEES9_SI_JZNS1_25segmented_radix_sort_implINS0_14default_configELb1EPKaPaPKlPlN2at6native12_GLOBAL__N_18offset_tEEE10hipError_tPvRmT1_PNSt15iterator_traitsIS12_E10value_typeET2_T3_PNS13_IS18_E10value_typeET4_jRbjT5_S1E_jjP12ihipStream_tbEUljE_ZNSN_ISO_Lb1ESQ_SR_ST_SU_SY_EESZ_S10_S11_S12_S16_S17_S18_S1B_S1C_jS1D_jS1E_S1E_jjS1G_bEUljE0_EEESZ_S10_S11_S18_S1C_S1E_T6_T7_T9_mT8_S1G_bDpT10_ENKUlT_T0_E_clISt17integral_constantIbLb1EES1T_IbLb0EEEEDaS1P_S1Q_EUlS1P_E_NS1_11comp_targetILNS1_3genE8ELNS1_11target_archE1030ELNS1_3gpuE2ELNS1_3repE0EEENS1_30default_config_static_selectorELNS0_4arch9wavefront6targetE0EEEvS12_.has_recursion, 0
	.set _ZN7rocprim17ROCPRIM_400000_NS6detail17trampoline_kernelINS0_13select_configILj256ELj13ELNS0_17block_load_methodE3ELS4_3ELS4_3ELNS0_20block_scan_algorithmE0ELj4294967295EEENS1_25partition_config_selectorILNS1_17partition_subalgoE4EjNS0_10empty_typeEbEEZZNS1_14partition_implILS8_4ELb0ES6_15HIP_vector_typeIjLj2EENS0_17counting_iteratorIjlEEPS9_SG_NS0_5tupleIJPjSI_NS0_16reverse_iteratorISI_EEEEENSH_IJSG_SG_SG_EEES9_SI_JZNS1_25segmented_radix_sort_implINS0_14default_configELb1EPKaPaPKlPlN2at6native12_GLOBAL__N_18offset_tEEE10hipError_tPvRmT1_PNSt15iterator_traitsIS12_E10value_typeET2_T3_PNS13_IS18_E10value_typeET4_jRbjT5_S1E_jjP12ihipStream_tbEUljE_ZNSN_ISO_Lb1ESQ_SR_ST_SU_SY_EESZ_S10_S11_S12_S16_S17_S18_S1B_S1C_jS1D_jS1E_S1E_jjS1G_bEUljE0_EEESZ_S10_S11_S18_S1C_S1E_T6_T7_T9_mT8_S1G_bDpT10_ENKUlT_T0_E_clISt17integral_constantIbLb1EES1T_IbLb0EEEEDaS1P_S1Q_EUlS1P_E_NS1_11comp_targetILNS1_3genE8ELNS1_11target_archE1030ELNS1_3gpuE2ELNS1_3repE0EEENS1_30default_config_static_selectorELNS0_4arch9wavefront6targetE0EEEvS12_.has_indirect_call, 0
	.section	.AMDGPU.csdata,"",@progbits
; Kernel info:
; codeLenInByte = 4
; TotalNumSgprs: 0
; NumVgprs: 0
; ScratchSize: 0
; MemoryBound: 0
; FloatMode: 240
; IeeeMode: 1
; LDSByteSize: 0 bytes/workgroup (compile time only)
; SGPRBlocks: 0
; VGPRBlocks: 0
; NumSGPRsForWavesPerEU: 1
; NumVGPRsForWavesPerEU: 1
; Occupancy: 16
; WaveLimiterHint : 0
; COMPUTE_PGM_RSRC2:SCRATCH_EN: 0
; COMPUTE_PGM_RSRC2:USER_SGPR: 6
; COMPUTE_PGM_RSRC2:TRAP_HANDLER: 0
; COMPUTE_PGM_RSRC2:TGID_X_EN: 1
; COMPUTE_PGM_RSRC2:TGID_Y_EN: 0
; COMPUTE_PGM_RSRC2:TGID_Z_EN: 0
; COMPUTE_PGM_RSRC2:TIDIG_COMP_CNT: 0
	.section	.text._ZN7rocprim17ROCPRIM_400000_NS6detail17trampoline_kernelINS0_13select_configILj256ELj13ELNS0_17block_load_methodE3ELS4_3ELS4_3ELNS0_20block_scan_algorithmE0ELj4294967295EEENS1_25partition_config_selectorILNS1_17partition_subalgoE4EjNS0_10empty_typeEbEEZZNS1_14partition_implILS8_4ELb0ES6_15HIP_vector_typeIjLj2EENS0_17counting_iteratorIjlEEPS9_SG_NS0_5tupleIJPjSI_NS0_16reverse_iteratorISI_EEEEENSH_IJSG_SG_SG_EEES9_SI_JZNS1_25segmented_radix_sort_implINS0_14default_configELb1EPKaPaPKlPlN2at6native12_GLOBAL__N_18offset_tEEE10hipError_tPvRmT1_PNSt15iterator_traitsIS12_E10value_typeET2_T3_PNS13_IS18_E10value_typeET4_jRbjT5_S1E_jjP12ihipStream_tbEUljE_ZNSN_ISO_Lb1ESQ_SR_ST_SU_SY_EESZ_S10_S11_S12_S16_S17_S18_S1B_S1C_jS1D_jS1E_S1E_jjS1G_bEUljE0_EEESZ_S10_S11_S18_S1C_S1E_T6_T7_T9_mT8_S1G_bDpT10_ENKUlT_T0_E_clISt17integral_constantIbLb0EES1T_IbLb1EEEEDaS1P_S1Q_EUlS1P_E_NS1_11comp_targetILNS1_3genE0ELNS1_11target_archE4294967295ELNS1_3gpuE0ELNS1_3repE0EEENS1_30default_config_static_selectorELNS0_4arch9wavefront6targetE0EEEvS12_,"axG",@progbits,_ZN7rocprim17ROCPRIM_400000_NS6detail17trampoline_kernelINS0_13select_configILj256ELj13ELNS0_17block_load_methodE3ELS4_3ELS4_3ELNS0_20block_scan_algorithmE0ELj4294967295EEENS1_25partition_config_selectorILNS1_17partition_subalgoE4EjNS0_10empty_typeEbEEZZNS1_14partition_implILS8_4ELb0ES6_15HIP_vector_typeIjLj2EENS0_17counting_iteratorIjlEEPS9_SG_NS0_5tupleIJPjSI_NS0_16reverse_iteratorISI_EEEEENSH_IJSG_SG_SG_EEES9_SI_JZNS1_25segmented_radix_sort_implINS0_14default_configELb1EPKaPaPKlPlN2at6native12_GLOBAL__N_18offset_tEEE10hipError_tPvRmT1_PNSt15iterator_traitsIS12_E10value_typeET2_T3_PNS13_IS18_E10value_typeET4_jRbjT5_S1E_jjP12ihipStream_tbEUljE_ZNSN_ISO_Lb1ESQ_SR_ST_SU_SY_EESZ_S10_S11_S12_S16_S17_S18_S1B_S1C_jS1D_jS1E_S1E_jjS1G_bEUljE0_EEESZ_S10_S11_S18_S1C_S1E_T6_T7_T9_mT8_S1G_bDpT10_ENKUlT_T0_E_clISt17integral_constantIbLb0EES1T_IbLb1EEEEDaS1P_S1Q_EUlS1P_E_NS1_11comp_targetILNS1_3genE0ELNS1_11target_archE4294967295ELNS1_3gpuE0ELNS1_3repE0EEENS1_30default_config_static_selectorELNS0_4arch9wavefront6targetE0EEEvS12_,comdat
	.globl	_ZN7rocprim17ROCPRIM_400000_NS6detail17trampoline_kernelINS0_13select_configILj256ELj13ELNS0_17block_load_methodE3ELS4_3ELS4_3ELNS0_20block_scan_algorithmE0ELj4294967295EEENS1_25partition_config_selectorILNS1_17partition_subalgoE4EjNS0_10empty_typeEbEEZZNS1_14partition_implILS8_4ELb0ES6_15HIP_vector_typeIjLj2EENS0_17counting_iteratorIjlEEPS9_SG_NS0_5tupleIJPjSI_NS0_16reverse_iteratorISI_EEEEENSH_IJSG_SG_SG_EEES9_SI_JZNS1_25segmented_radix_sort_implINS0_14default_configELb1EPKaPaPKlPlN2at6native12_GLOBAL__N_18offset_tEEE10hipError_tPvRmT1_PNSt15iterator_traitsIS12_E10value_typeET2_T3_PNS13_IS18_E10value_typeET4_jRbjT5_S1E_jjP12ihipStream_tbEUljE_ZNSN_ISO_Lb1ESQ_SR_ST_SU_SY_EESZ_S10_S11_S12_S16_S17_S18_S1B_S1C_jS1D_jS1E_S1E_jjS1G_bEUljE0_EEESZ_S10_S11_S18_S1C_S1E_T6_T7_T9_mT8_S1G_bDpT10_ENKUlT_T0_E_clISt17integral_constantIbLb0EES1T_IbLb1EEEEDaS1P_S1Q_EUlS1P_E_NS1_11comp_targetILNS1_3genE0ELNS1_11target_archE4294967295ELNS1_3gpuE0ELNS1_3repE0EEENS1_30default_config_static_selectorELNS0_4arch9wavefront6targetE0EEEvS12_ ; -- Begin function _ZN7rocprim17ROCPRIM_400000_NS6detail17trampoline_kernelINS0_13select_configILj256ELj13ELNS0_17block_load_methodE3ELS4_3ELS4_3ELNS0_20block_scan_algorithmE0ELj4294967295EEENS1_25partition_config_selectorILNS1_17partition_subalgoE4EjNS0_10empty_typeEbEEZZNS1_14partition_implILS8_4ELb0ES6_15HIP_vector_typeIjLj2EENS0_17counting_iteratorIjlEEPS9_SG_NS0_5tupleIJPjSI_NS0_16reverse_iteratorISI_EEEEENSH_IJSG_SG_SG_EEES9_SI_JZNS1_25segmented_radix_sort_implINS0_14default_configELb1EPKaPaPKlPlN2at6native12_GLOBAL__N_18offset_tEEE10hipError_tPvRmT1_PNSt15iterator_traitsIS12_E10value_typeET2_T3_PNS13_IS18_E10value_typeET4_jRbjT5_S1E_jjP12ihipStream_tbEUljE_ZNSN_ISO_Lb1ESQ_SR_ST_SU_SY_EESZ_S10_S11_S12_S16_S17_S18_S1B_S1C_jS1D_jS1E_S1E_jjS1G_bEUljE0_EEESZ_S10_S11_S18_S1C_S1E_T6_T7_T9_mT8_S1G_bDpT10_ENKUlT_T0_E_clISt17integral_constantIbLb0EES1T_IbLb1EEEEDaS1P_S1Q_EUlS1P_E_NS1_11comp_targetILNS1_3genE0ELNS1_11target_archE4294967295ELNS1_3gpuE0ELNS1_3repE0EEENS1_30default_config_static_selectorELNS0_4arch9wavefront6targetE0EEEvS12_
	.p2align	8
	.type	_ZN7rocprim17ROCPRIM_400000_NS6detail17trampoline_kernelINS0_13select_configILj256ELj13ELNS0_17block_load_methodE3ELS4_3ELS4_3ELNS0_20block_scan_algorithmE0ELj4294967295EEENS1_25partition_config_selectorILNS1_17partition_subalgoE4EjNS0_10empty_typeEbEEZZNS1_14partition_implILS8_4ELb0ES6_15HIP_vector_typeIjLj2EENS0_17counting_iteratorIjlEEPS9_SG_NS0_5tupleIJPjSI_NS0_16reverse_iteratorISI_EEEEENSH_IJSG_SG_SG_EEES9_SI_JZNS1_25segmented_radix_sort_implINS0_14default_configELb1EPKaPaPKlPlN2at6native12_GLOBAL__N_18offset_tEEE10hipError_tPvRmT1_PNSt15iterator_traitsIS12_E10value_typeET2_T3_PNS13_IS18_E10value_typeET4_jRbjT5_S1E_jjP12ihipStream_tbEUljE_ZNSN_ISO_Lb1ESQ_SR_ST_SU_SY_EESZ_S10_S11_S12_S16_S17_S18_S1B_S1C_jS1D_jS1E_S1E_jjS1G_bEUljE0_EEESZ_S10_S11_S18_S1C_S1E_T6_T7_T9_mT8_S1G_bDpT10_ENKUlT_T0_E_clISt17integral_constantIbLb0EES1T_IbLb1EEEEDaS1P_S1Q_EUlS1P_E_NS1_11comp_targetILNS1_3genE0ELNS1_11target_archE4294967295ELNS1_3gpuE0ELNS1_3repE0EEENS1_30default_config_static_selectorELNS0_4arch9wavefront6targetE0EEEvS12_,@function
_ZN7rocprim17ROCPRIM_400000_NS6detail17trampoline_kernelINS0_13select_configILj256ELj13ELNS0_17block_load_methodE3ELS4_3ELS4_3ELNS0_20block_scan_algorithmE0ELj4294967295EEENS1_25partition_config_selectorILNS1_17partition_subalgoE4EjNS0_10empty_typeEbEEZZNS1_14partition_implILS8_4ELb0ES6_15HIP_vector_typeIjLj2EENS0_17counting_iteratorIjlEEPS9_SG_NS0_5tupleIJPjSI_NS0_16reverse_iteratorISI_EEEEENSH_IJSG_SG_SG_EEES9_SI_JZNS1_25segmented_radix_sort_implINS0_14default_configELb1EPKaPaPKlPlN2at6native12_GLOBAL__N_18offset_tEEE10hipError_tPvRmT1_PNSt15iterator_traitsIS12_E10value_typeET2_T3_PNS13_IS18_E10value_typeET4_jRbjT5_S1E_jjP12ihipStream_tbEUljE_ZNSN_ISO_Lb1ESQ_SR_ST_SU_SY_EESZ_S10_S11_S12_S16_S17_S18_S1B_S1C_jS1D_jS1E_S1E_jjS1G_bEUljE0_EEESZ_S10_S11_S18_S1C_S1E_T6_T7_T9_mT8_S1G_bDpT10_ENKUlT_T0_E_clISt17integral_constantIbLb0EES1T_IbLb1EEEEDaS1P_S1Q_EUlS1P_E_NS1_11comp_targetILNS1_3genE0ELNS1_11target_archE4294967295ELNS1_3gpuE0ELNS1_3repE0EEENS1_30default_config_static_selectorELNS0_4arch9wavefront6targetE0EEEvS12_: ; @_ZN7rocprim17ROCPRIM_400000_NS6detail17trampoline_kernelINS0_13select_configILj256ELj13ELNS0_17block_load_methodE3ELS4_3ELS4_3ELNS0_20block_scan_algorithmE0ELj4294967295EEENS1_25partition_config_selectorILNS1_17partition_subalgoE4EjNS0_10empty_typeEbEEZZNS1_14partition_implILS8_4ELb0ES6_15HIP_vector_typeIjLj2EENS0_17counting_iteratorIjlEEPS9_SG_NS0_5tupleIJPjSI_NS0_16reverse_iteratorISI_EEEEENSH_IJSG_SG_SG_EEES9_SI_JZNS1_25segmented_radix_sort_implINS0_14default_configELb1EPKaPaPKlPlN2at6native12_GLOBAL__N_18offset_tEEE10hipError_tPvRmT1_PNSt15iterator_traitsIS12_E10value_typeET2_T3_PNS13_IS18_E10value_typeET4_jRbjT5_S1E_jjP12ihipStream_tbEUljE_ZNSN_ISO_Lb1ESQ_SR_ST_SU_SY_EESZ_S10_S11_S12_S16_S17_S18_S1B_S1C_jS1D_jS1E_S1E_jjS1G_bEUljE0_EEESZ_S10_S11_S18_S1C_S1E_T6_T7_T9_mT8_S1G_bDpT10_ENKUlT_T0_E_clISt17integral_constantIbLb0EES1T_IbLb1EEEEDaS1P_S1Q_EUlS1P_E_NS1_11comp_targetILNS1_3genE0ELNS1_11target_archE4294967295ELNS1_3gpuE0ELNS1_3repE0EEENS1_30default_config_static_selectorELNS0_4arch9wavefront6targetE0EEEvS12_
; %bb.0:
	.section	.rodata,"a",@progbits
	.p2align	6, 0x0
	.amdhsa_kernel _ZN7rocprim17ROCPRIM_400000_NS6detail17trampoline_kernelINS0_13select_configILj256ELj13ELNS0_17block_load_methodE3ELS4_3ELS4_3ELNS0_20block_scan_algorithmE0ELj4294967295EEENS1_25partition_config_selectorILNS1_17partition_subalgoE4EjNS0_10empty_typeEbEEZZNS1_14partition_implILS8_4ELb0ES6_15HIP_vector_typeIjLj2EENS0_17counting_iteratorIjlEEPS9_SG_NS0_5tupleIJPjSI_NS0_16reverse_iteratorISI_EEEEENSH_IJSG_SG_SG_EEES9_SI_JZNS1_25segmented_radix_sort_implINS0_14default_configELb1EPKaPaPKlPlN2at6native12_GLOBAL__N_18offset_tEEE10hipError_tPvRmT1_PNSt15iterator_traitsIS12_E10value_typeET2_T3_PNS13_IS18_E10value_typeET4_jRbjT5_S1E_jjP12ihipStream_tbEUljE_ZNSN_ISO_Lb1ESQ_SR_ST_SU_SY_EESZ_S10_S11_S12_S16_S17_S18_S1B_S1C_jS1D_jS1E_S1E_jjS1G_bEUljE0_EEESZ_S10_S11_S18_S1C_S1E_T6_T7_T9_mT8_S1G_bDpT10_ENKUlT_T0_E_clISt17integral_constantIbLb0EES1T_IbLb1EEEEDaS1P_S1Q_EUlS1P_E_NS1_11comp_targetILNS1_3genE0ELNS1_11target_archE4294967295ELNS1_3gpuE0ELNS1_3repE0EEENS1_30default_config_static_selectorELNS0_4arch9wavefront6targetE0EEEvS12_
		.amdhsa_group_segment_fixed_size 0
		.amdhsa_private_segment_fixed_size 0
		.amdhsa_kernarg_size 184
		.amdhsa_user_sgpr_count 6
		.amdhsa_user_sgpr_private_segment_buffer 1
		.amdhsa_user_sgpr_dispatch_ptr 0
		.amdhsa_user_sgpr_queue_ptr 0
		.amdhsa_user_sgpr_kernarg_segment_ptr 1
		.amdhsa_user_sgpr_dispatch_id 0
		.amdhsa_user_sgpr_flat_scratch_init 0
		.amdhsa_user_sgpr_private_segment_size 0
		.amdhsa_wavefront_size32 1
		.amdhsa_uses_dynamic_stack 0
		.amdhsa_system_sgpr_private_segment_wavefront_offset 0
		.amdhsa_system_sgpr_workgroup_id_x 1
		.amdhsa_system_sgpr_workgroup_id_y 0
		.amdhsa_system_sgpr_workgroup_id_z 0
		.amdhsa_system_sgpr_workgroup_info 0
		.amdhsa_system_vgpr_workitem_id 0
		.amdhsa_next_free_vgpr 1
		.amdhsa_next_free_sgpr 1
		.amdhsa_reserve_vcc 0
		.amdhsa_reserve_flat_scratch 0
		.amdhsa_float_round_mode_32 0
		.amdhsa_float_round_mode_16_64 0
		.amdhsa_float_denorm_mode_32 3
		.amdhsa_float_denorm_mode_16_64 3
		.amdhsa_dx10_clamp 1
		.amdhsa_ieee_mode 1
		.amdhsa_fp16_overflow 0
		.amdhsa_workgroup_processor_mode 1
		.amdhsa_memory_ordered 1
		.amdhsa_forward_progress 1
		.amdhsa_shared_vgpr_count 0
		.amdhsa_exception_fp_ieee_invalid_op 0
		.amdhsa_exception_fp_denorm_src 0
		.amdhsa_exception_fp_ieee_div_zero 0
		.amdhsa_exception_fp_ieee_overflow 0
		.amdhsa_exception_fp_ieee_underflow 0
		.amdhsa_exception_fp_ieee_inexact 0
		.amdhsa_exception_int_div_zero 0
	.end_amdhsa_kernel
	.section	.text._ZN7rocprim17ROCPRIM_400000_NS6detail17trampoline_kernelINS0_13select_configILj256ELj13ELNS0_17block_load_methodE3ELS4_3ELS4_3ELNS0_20block_scan_algorithmE0ELj4294967295EEENS1_25partition_config_selectorILNS1_17partition_subalgoE4EjNS0_10empty_typeEbEEZZNS1_14partition_implILS8_4ELb0ES6_15HIP_vector_typeIjLj2EENS0_17counting_iteratorIjlEEPS9_SG_NS0_5tupleIJPjSI_NS0_16reverse_iteratorISI_EEEEENSH_IJSG_SG_SG_EEES9_SI_JZNS1_25segmented_radix_sort_implINS0_14default_configELb1EPKaPaPKlPlN2at6native12_GLOBAL__N_18offset_tEEE10hipError_tPvRmT1_PNSt15iterator_traitsIS12_E10value_typeET2_T3_PNS13_IS18_E10value_typeET4_jRbjT5_S1E_jjP12ihipStream_tbEUljE_ZNSN_ISO_Lb1ESQ_SR_ST_SU_SY_EESZ_S10_S11_S12_S16_S17_S18_S1B_S1C_jS1D_jS1E_S1E_jjS1G_bEUljE0_EEESZ_S10_S11_S18_S1C_S1E_T6_T7_T9_mT8_S1G_bDpT10_ENKUlT_T0_E_clISt17integral_constantIbLb0EES1T_IbLb1EEEEDaS1P_S1Q_EUlS1P_E_NS1_11comp_targetILNS1_3genE0ELNS1_11target_archE4294967295ELNS1_3gpuE0ELNS1_3repE0EEENS1_30default_config_static_selectorELNS0_4arch9wavefront6targetE0EEEvS12_,"axG",@progbits,_ZN7rocprim17ROCPRIM_400000_NS6detail17trampoline_kernelINS0_13select_configILj256ELj13ELNS0_17block_load_methodE3ELS4_3ELS4_3ELNS0_20block_scan_algorithmE0ELj4294967295EEENS1_25partition_config_selectorILNS1_17partition_subalgoE4EjNS0_10empty_typeEbEEZZNS1_14partition_implILS8_4ELb0ES6_15HIP_vector_typeIjLj2EENS0_17counting_iteratorIjlEEPS9_SG_NS0_5tupleIJPjSI_NS0_16reverse_iteratorISI_EEEEENSH_IJSG_SG_SG_EEES9_SI_JZNS1_25segmented_radix_sort_implINS0_14default_configELb1EPKaPaPKlPlN2at6native12_GLOBAL__N_18offset_tEEE10hipError_tPvRmT1_PNSt15iterator_traitsIS12_E10value_typeET2_T3_PNS13_IS18_E10value_typeET4_jRbjT5_S1E_jjP12ihipStream_tbEUljE_ZNSN_ISO_Lb1ESQ_SR_ST_SU_SY_EESZ_S10_S11_S12_S16_S17_S18_S1B_S1C_jS1D_jS1E_S1E_jjS1G_bEUljE0_EEESZ_S10_S11_S18_S1C_S1E_T6_T7_T9_mT8_S1G_bDpT10_ENKUlT_T0_E_clISt17integral_constantIbLb0EES1T_IbLb1EEEEDaS1P_S1Q_EUlS1P_E_NS1_11comp_targetILNS1_3genE0ELNS1_11target_archE4294967295ELNS1_3gpuE0ELNS1_3repE0EEENS1_30default_config_static_selectorELNS0_4arch9wavefront6targetE0EEEvS12_,comdat
.Lfunc_end248:
	.size	_ZN7rocprim17ROCPRIM_400000_NS6detail17trampoline_kernelINS0_13select_configILj256ELj13ELNS0_17block_load_methodE3ELS4_3ELS4_3ELNS0_20block_scan_algorithmE0ELj4294967295EEENS1_25partition_config_selectorILNS1_17partition_subalgoE4EjNS0_10empty_typeEbEEZZNS1_14partition_implILS8_4ELb0ES6_15HIP_vector_typeIjLj2EENS0_17counting_iteratorIjlEEPS9_SG_NS0_5tupleIJPjSI_NS0_16reverse_iteratorISI_EEEEENSH_IJSG_SG_SG_EEES9_SI_JZNS1_25segmented_radix_sort_implINS0_14default_configELb1EPKaPaPKlPlN2at6native12_GLOBAL__N_18offset_tEEE10hipError_tPvRmT1_PNSt15iterator_traitsIS12_E10value_typeET2_T3_PNS13_IS18_E10value_typeET4_jRbjT5_S1E_jjP12ihipStream_tbEUljE_ZNSN_ISO_Lb1ESQ_SR_ST_SU_SY_EESZ_S10_S11_S12_S16_S17_S18_S1B_S1C_jS1D_jS1E_S1E_jjS1G_bEUljE0_EEESZ_S10_S11_S18_S1C_S1E_T6_T7_T9_mT8_S1G_bDpT10_ENKUlT_T0_E_clISt17integral_constantIbLb0EES1T_IbLb1EEEEDaS1P_S1Q_EUlS1P_E_NS1_11comp_targetILNS1_3genE0ELNS1_11target_archE4294967295ELNS1_3gpuE0ELNS1_3repE0EEENS1_30default_config_static_selectorELNS0_4arch9wavefront6targetE0EEEvS12_, .Lfunc_end248-_ZN7rocprim17ROCPRIM_400000_NS6detail17trampoline_kernelINS0_13select_configILj256ELj13ELNS0_17block_load_methodE3ELS4_3ELS4_3ELNS0_20block_scan_algorithmE0ELj4294967295EEENS1_25partition_config_selectorILNS1_17partition_subalgoE4EjNS0_10empty_typeEbEEZZNS1_14partition_implILS8_4ELb0ES6_15HIP_vector_typeIjLj2EENS0_17counting_iteratorIjlEEPS9_SG_NS0_5tupleIJPjSI_NS0_16reverse_iteratorISI_EEEEENSH_IJSG_SG_SG_EEES9_SI_JZNS1_25segmented_radix_sort_implINS0_14default_configELb1EPKaPaPKlPlN2at6native12_GLOBAL__N_18offset_tEEE10hipError_tPvRmT1_PNSt15iterator_traitsIS12_E10value_typeET2_T3_PNS13_IS18_E10value_typeET4_jRbjT5_S1E_jjP12ihipStream_tbEUljE_ZNSN_ISO_Lb1ESQ_SR_ST_SU_SY_EESZ_S10_S11_S12_S16_S17_S18_S1B_S1C_jS1D_jS1E_S1E_jjS1G_bEUljE0_EEESZ_S10_S11_S18_S1C_S1E_T6_T7_T9_mT8_S1G_bDpT10_ENKUlT_T0_E_clISt17integral_constantIbLb0EES1T_IbLb1EEEEDaS1P_S1Q_EUlS1P_E_NS1_11comp_targetILNS1_3genE0ELNS1_11target_archE4294967295ELNS1_3gpuE0ELNS1_3repE0EEENS1_30default_config_static_selectorELNS0_4arch9wavefront6targetE0EEEvS12_
                                        ; -- End function
	.set _ZN7rocprim17ROCPRIM_400000_NS6detail17trampoline_kernelINS0_13select_configILj256ELj13ELNS0_17block_load_methodE3ELS4_3ELS4_3ELNS0_20block_scan_algorithmE0ELj4294967295EEENS1_25partition_config_selectorILNS1_17partition_subalgoE4EjNS0_10empty_typeEbEEZZNS1_14partition_implILS8_4ELb0ES6_15HIP_vector_typeIjLj2EENS0_17counting_iteratorIjlEEPS9_SG_NS0_5tupleIJPjSI_NS0_16reverse_iteratorISI_EEEEENSH_IJSG_SG_SG_EEES9_SI_JZNS1_25segmented_radix_sort_implINS0_14default_configELb1EPKaPaPKlPlN2at6native12_GLOBAL__N_18offset_tEEE10hipError_tPvRmT1_PNSt15iterator_traitsIS12_E10value_typeET2_T3_PNS13_IS18_E10value_typeET4_jRbjT5_S1E_jjP12ihipStream_tbEUljE_ZNSN_ISO_Lb1ESQ_SR_ST_SU_SY_EESZ_S10_S11_S12_S16_S17_S18_S1B_S1C_jS1D_jS1E_S1E_jjS1G_bEUljE0_EEESZ_S10_S11_S18_S1C_S1E_T6_T7_T9_mT8_S1G_bDpT10_ENKUlT_T0_E_clISt17integral_constantIbLb0EES1T_IbLb1EEEEDaS1P_S1Q_EUlS1P_E_NS1_11comp_targetILNS1_3genE0ELNS1_11target_archE4294967295ELNS1_3gpuE0ELNS1_3repE0EEENS1_30default_config_static_selectorELNS0_4arch9wavefront6targetE0EEEvS12_.num_vgpr, 0
	.set _ZN7rocprim17ROCPRIM_400000_NS6detail17trampoline_kernelINS0_13select_configILj256ELj13ELNS0_17block_load_methodE3ELS4_3ELS4_3ELNS0_20block_scan_algorithmE0ELj4294967295EEENS1_25partition_config_selectorILNS1_17partition_subalgoE4EjNS0_10empty_typeEbEEZZNS1_14partition_implILS8_4ELb0ES6_15HIP_vector_typeIjLj2EENS0_17counting_iteratorIjlEEPS9_SG_NS0_5tupleIJPjSI_NS0_16reverse_iteratorISI_EEEEENSH_IJSG_SG_SG_EEES9_SI_JZNS1_25segmented_radix_sort_implINS0_14default_configELb1EPKaPaPKlPlN2at6native12_GLOBAL__N_18offset_tEEE10hipError_tPvRmT1_PNSt15iterator_traitsIS12_E10value_typeET2_T3_PNS13_IS18_E10value_typeET4_jRbjT5_S1E_jjP12ihipStream_tbEUljE_ZNSN_ISO_Lb1ESQ_SR_ST_SU_SY_EESZ_S10_S11_S12_S16_S17_S18_S1B_S1C_jS1D_jS1E_S1E_jjS1G_bEUljE0_EEESZ_S10_S11_S18_S1C_S1E_T6_T7_T9_mT8_S1G_bDpT10_ENKUlT_T0_E_clISt17integral_constantIbLb0EES1T_IbLb1EEEEDaS1P_S1Q_EUlS1P_E_NS1_11comp_targetILNS1_3genE0ELNS1_11target_archE4294967295ELNS1_3gpuE0ELNS1_3repE0EEENS1_30default_config_static_selectorELNS0_4arch9wavefront6targetE0EEEvS12_.num_agpr, 0
	.set _ZN7rocprim17ROCPRIM_400000_NS6detail17trampoline_kernelINS0_13select_configILj256ELj13ELNS0_17block_load_methodE3ELS4_3ELS4_3ELNS0_20block_scan_algorithmE0ELj4294967295EEENS1_25partition_config_selectorILNS1_17partition_subalgoE4EjNS0_10empty_typeEbEEZZNS1_14partition_implILS8_4ELb0ES6_15HIP_vector_typeIjLj2EENS0_17counting_iteratorIjlEEPS9_SG_NS0_5tupleIJPjSI_NS0_16reverse_iteratorISI_EEEEENSH_IJSG_SG_SG_EEES9_SI_JZNS1_25segmented_radix_sort_implINS0_14default_configELb1EPKaPaPKlPlN2at6native12_GLOBAL__N_18offset_tEEE10hipError_tPvRmT1_PNSt15iterator_traitsIS12_E10value_typeET2_T3_PNS13_IS18_E10value_typeET4_jRbjT5_S1E_jjP12ihipStream_tbEUljE_ZNSN_ISO_Lb1ESQ_SR_ST_SU_SY_EESZ_S10_S11_S12_S16_S17_S18_S1B_S1C_jS1D_jS1E_S1E_jjS1G_bEUljE0_EEESZ_S10_S11_S18_S1C_S1E_T6_T7_T9_mT8_S1G_bDpT10_ENKUlT_T0_E_clISt17integral_constantIbLb0EES1T_IbLb1EEEEDaS1P_S1Q_EUlS1P_E_NS1_11comp_targetILNS1_3genE0ELNS1_11target_archE4294967295ELNS1_3gpuE0ELNS1_3repE0EEENS1_30default_config_static_selectorELNS0_4arch9wavefront6targetE0EEEvS12_.numbered_sgpr, 0
	.set _ZN7rocprim17ROCPRIM_400000_NS6detail17trampoline_kernelINS0_13select_configILj256ELj13ELNS0_17block_load_methodE3ELS4_3ELS4_3ELNS0_20block_scan_algorithmE0ELj4294967295EEENS1_25partition_config_selectorILNS1_17partition_subalgoE4EjNS0_10empty_typeEbEEZZNS1_14partition_implILS8_4ELb0ES6_15HIP_vector_typeIjLj2EENS0_17counting_iteratorIjlEEPS9_SG_NS0_5tupleIJPjSI_NS0_16reverse_iteratorISI_EEEEENSH_IJSG_SG_SG_EEES9_SI_JZNS1_25segmented_radix_sort_implINS0_14default_configELb1EPKaPaPKlPlN2at6native12_GLOBAL__N_18offset_tEEE10hipError_tPvRmT1_PNSt15iterator_traitsIS12_E10value_typeET2_T3_PNS13_IS18_E10value_typeET4_jRbjT5_S1E_jjP12ihipStream_tbEUljE_ZNSN_ISO_Lb1ESQ_SR_ST_SU_SY_EESZ_S10_S11_S12_S16_S17_S18_S1B_S1C_jS1D_jS1E_S1E_jjS1G_bEUljE0_EEESZ_S10_S11_S18_S1C_S1E_T6_T7_T9_mT8_S1G_bDpT10_ENKUlT_T0_E_clISt17integral_constantIbLb0EES1T_IbLb1EEEEDaS1P_S1Q_EUlS1P_E_NS1_11comp_targetILNS1_3genE0ELNS1_11target_archE4294967295ELNS1_3gpuE0ELNS1_3repE0EEENS1_30default_config_static_selectorELNS0_4arch9wavefront6targetE0EEEvS12_.num_named_barrier, 0
	.set _ZN7rocprim17ROCPRIM_400000_NS6detail17trampoline_kernelINS0_13select_configILj256ELj13ELNS0_17block_load_methodE3ELS4_3ELS4_3ELNS0_20block_scan_algorithmE0ELj4294967295EEENS1_25partition_config_selectorILNS1_17partition_subalgoE4EjNS0_10empty_typeEbEEZZNS1_14partition_implILS8_4ELb0ES6_15HIP_vector_typeIjLj2EENS0_17counting_iteratorIjlEEPS9_SG_NS0_5tupleIJPjSI_NS0_16reverse_iteratorISI_EEEEENSH_IJSG_SG_SG_EEES9_SI_JZNS1_25segmented_radix_sort_implINS0_14default_configELb1EPKaPaPKlPlN2at6native12_GLOBAL__N_18offset_tEEE10hipError_tPvRmT1_PNSt15iterator_traitsIS12_E10value_typeET2_T3_PNS13_IS18_E10value_typeET4_jRbjT5_S1E_jjP12ihipStream_tbEUljE_ZNSN_ISO_Lb1ESQ_SR_ST_SU_SY_EESZ_S10_S11_S12_S16_S17_S18_S1B_S1C_jS1D_jS1E_S1E_jjS1G_bEUljE0_EEESZ_S10_S11_S18_S1C_S1E_T6_T7_T9_mT8_S1G_bDpT10_ENKUlT_T0_E_clISt17integral_constantIbLb0EES1T_IbLb1EEEEDaS1P_S1Q_EUlS1P_E_NS1_11comp_targetILNS1_3genE0ELNS1_11target_archE4294967295ELNS1_3gpuE0ELNS1_3repE0EEENS1_30default_config_static_selectorELNS0_4arch9wavefront6targetE0EEEvS12_.private_seg_size, 0
	.set _ZN7rocprim17ROCPRIM_400000_NS6detail17trampoline_kernelINS0_13select_configILj256ELj13ELNS0_17block_load_methodE3ELS4_3ELS4_3ELNS0_20block_scan_algorithmE0ELj4294967295EEENS1_25partition_config_selectorILNS1_17partition_subalgoE4EjNS0_10empty_typeEbEEZZNS1_14partition_implILS8_4ELb0ES6_15HIP_vector_typeIjLj2EENS0_17counting_iteratorIjlEEPS9_SG_NS0_5tupleIJPjSI_NS0_16reverse_iteratorISI_EEEEENSH_IJSG_SG_SG_EEES9_SI_JZNS1_25segmented_radix_sort_implINS0_14default_configELb1EPKaPaPKlPlN2at6native12_GLOBAL__N_18offset_tEEE10hipError_tPvRmT1_PNSt15iterator_traitsIS12_E10value_typeET2_T3_PNS13_IS18_E10value_typeET4_jRbjT5_S1E_jjP12ihipStream_tbEUljE_ZNSN_ISO_Lb1ESQ_SR_ST_SU_SY_EESZ_S10_S11_S12_S16_S17_S18_S1B_S1C_jS1D_jS1E_S1E_jjS1G_bEUljE0_EEESZ_S10_S11_S18_S1C_S1E_T6_T7_T9_mT8_S1G_bDpT10_ENKUlT_T0_E_clISt17integral_constantIbLb0EES1T_IbLb1EEEEDaS1P_S1Q_EUlS1P_E_NS1_11comp_targetILNS1_3genE0ELNS1_11target_archE4294967295ELNS1_3gpuE0ELNS1_3repE0EEENS1_30default_config_static_selectorELNS0_4arch9wavefront6targetE0EEEvS12_.uses_vcc, 0
	.set _ZN7rocprim17ROCPRIM_400000_NS6detail17trampoline_kernelINS0_13select_configILj256ELj13ELNS0_17block_load_methodE3ELS4_3ELS4_3ELNS0_20block_scan_algorithmE0ELj4294967295EEENS1_25partition_config_selectorILNS1_17partition_subalgoE4EjNS0_10empty_typeEbEEZZNS1_14partition_implILS8_4ELb0ES6_15HIP_vector_typeIjLj2EENS0_17counting_iteratorIjlEEPS9_SG_NS0_5tupleIJPjSI_NS0_16reverse_iteratorISI_EEEEENSH_IJSG_SG_SG_EEES9_SI_JZNS1_25segmented_radix_sort_implINS0_14default_configELb1EPKaPaPKlPlN2at6native12_GLOBAL__N_18offset_tEEE10hipError_tPvRmT1_PNSt15iterator_traitsIS12_E10value_typeET2_T3_PNS13_IS18_E10value_typeET4_jRbjT5_S1E_jjP12ihipStream_tbEUljE_ZNSN_ISO_Lb1ESQ_SR_ST_SU_SY_EESZ_S10_S11_S12_S16_S17_S18_S1B_S1C_jS1D_jS1E_S1E_jjS1G_bEUljE0_EEESZ_S10_S11_S18_S1C_S1E_T6_T7_T9_mT8_S1G_bDpT10_ENKUlT_T0_E_clISt17integral_constantIbLb0EES1T_IbLb1EEEEDaS1P_S1Q_EUlS1P_E_NS1_11comp_targetILNS1_3genE0ELNS1_11target_archE4294967295ELNS1_3gpuE0ELNS1_3repE0EEENS1_30default_config_static_selectorELNS0_4arch9wavefront6targetE0EEEvS12_.uses_flat_scratch, 0
	.set _ZN7rocprim17ROCPRIM_400000_NS6detail17trampoline_kernelINS0_13select_configILj256ELj13ELNS0_17block_load_methodE3ELS4_3ELS4_3ELNS0_20block_scan_algorithmE0ELj4294967295EEENS1_25partition_config_selectorILNS1_17partition_subalgoE4EjNS0_10empty_typeEbEEZZNS1_14partition_implILS8_4ELb0ES6_15HIP_vector_typeIjLj2EENS0_17counting_iteratorIjlEEPS9_SG_NS0_5tupleIJPjSI_NS0_16reverse_iteratorISI_EEEEENSH_IJSG_SG_SG_EEES9_SI_JZNS1_25segmented_radix_sort_implINS0_14default_configELb1EPKaPaPKlPlN2at6native12_GLOBAL__N_18offset_tEEE10hipError_tPvRmT1_PNSt15iterator_traitsIS12_E10value_typeET2_T3_PNS13_IS18_E10value_typeET4_jRbjT5_S1E_jjP12ihipStream_tbEUljE_ZNSN_ISO_Lb1ESQ_SR_ST_SU_SY_EESZ_S10_S11_S12_S16_S17_S18_S1B_S1C_jS1D_jS1E_S1E_jjS1G_bEUljE0_EEESZ_S10_S11_S18_S1C_S1E_T6_T7_T9_mT8_S1G_bDpT10_ENKUlT_T0_E_clISt17integral_constantIbLb0EES1T_IbLb1EEEEDaS1P_S1Q_EUlS1P_E_NS1_11comp_targetILNS1_3genE0ELNS1_11target_archE4294967295ELNS1_3gpuE0ELNS1_3repE0EEENS1_30default_config_static_selectorELNS0_4arch9wavefront6targetE0EEEvS12_.has_dyn_sized_stack, 0
	.set _ZN7rocprim17ROCPRIM_400000_NS6detail17trampoline_kernelINS0_13select_configILj256ELj13ELNS0_17block_load_methodE3ELS4_3ELS4_3ELNS0_20block_scan_algorithmE0ELj4294967295EEENS1_25partition_config_selectorILNS1_17partition_subalgoE4EjNS0_10empty_typeEbEEZZNS1_14partition_implILS8_4ELb0ES6_15HIP_vector_typeIjLj2EENS0_17counting_iteratorIjlEEPS9_SG_NS0_5tupleIJPjSI_NS0_16reverse_iteratorISI_EEEEENSH_IJSG_SG_SG_EEES9_SI_JZNS1_25segmented_radix_sort_implINS0_14default_configELb1EPKaPaPKlPlN2at6native12_GLOBAL__N_18offset_tEEE10hipError_tPvRmT1_PNSt15iterator_traitsIS12_E10value_typeET2_T3_PNS13_IS18_E10value_typeET4_jRbjT5_S1E_jjP12ihipStream_tbEUljE_ZNSN_ISO_Lb1ESQ_SR_ST_SU_SY_EESZ_S10_S11_S12_S16_S17_S18_S1B_S1C_jS1D_jS1E_S1E_jjS1G_bEUljE0_EEESZ_S10_S11_S18_S1C_S1E_T6_T7_T9_mT8_S1G_bDpT10_ENKUlT_T0_E_clISt17integral_constantIbLb0EES1T_IbLb1EEEEDaS1P_S1Q_EUlS1P_E_NS1_11comp_targetILNS1_3genE0ELNS1_11target_archE4294967295ELNS1_3gpuE0ELNS1_3repE0EEENS1_30default_config_static_selectorELNS0_4arch9wavefront6targetE0EEEvS12_.has_recursion, 0
	.set _ZN7rocprim17ROCPRIM_400000_NS6detail17trampoline_kernelINS0_13select_configILj256ELj13ELNS0_17block_load_methodE3ELS4_3ELS4_3ELNS0_20block_scan_algorithmE0ELj4294967295EEENS1_25partition_config_selectorILNS1_17partition_subalgoE4EjNS0_10empty_typeEbEEZZNS1_14partition_implILS8_4ELb0ES6_15HIP_vector_typeIjLj2EENS0_17counting_iteratorIjlEEPS9_SG_NS0_5tupleIJPjSI_NS0_16reverse_iteratorISI_EEEEENSH_IJSG_SG_SG_EEES9_SI_JZNS1_25segmented_radix_sort_implINS0_14default_configELb1EPKaPaPKlPlN2at6native12_GLOBAL__N_18offset_tEEE10hipError_tPvRmT1_PNSt15iterator_traitsIS12_E10value_typeET2_T3_PNS13_IS18_E10value_typeET4_jRbjT5_S1E_jjP12ihipStream_tbEUljE_ZNSN_ISO_Lb1ESQ_SR_ST_SU_SY_EESZ_S10_S11_S12_S16_S17_S18_S1B_S1C_jS1D_jS1E_S1E_jjS1G_bEUljE0_EEESZ_S10_S11_S18_S1C_S1E_T6_T7_T9_mT8_S1G_bDpT10_ENKUlT_T0_E_clISt17integral_constantIbLb0EES1T_IbLb1EEEEDaS1P_S1Q_EUlS1P_E_NS1_11comp_targetILNS1_3genE0ELNS1_11target_archE4294967295ELNS1_3gpuE0ELNS1_3repE0EEENS1_30default_config_static_selectorELNS0_4arch9wavefront6targetE0EEEvS12_.has_indirect_call, 0
	.section	.AMDGPU.csdata,"",@progbits
; Kernel info:
; codeLenInByte = 0
; TotalNumSgprs: 0
; NumVgprs: 0
; ScratchSize: 0
; MemoryBound: 0
; FloatMode: 240
; IeeeMode: 1
; LDSByteSize: 0 bytes/workgroup (compile time only)
; SGPRBlocks: 0
; VGPRBlocks: 0
; NumSGPRsForWavesPerEU: 1
; NumVGPRsForWavesPerEU: 1
; Occupancy: 16
; WaveLimiterHint : 0
; COMPUTE_PGM_RSRC2:SCRATCH_EN: 0
; COMPUTE_PGM_RSRC2:USER_SGPR: 6
; COMPUTE_PGM_RSRC2:TRAP_HANDLER: 0
; COMPUTE_PGM_RSRC2:TGID_X_EN: 1
; COMPUTE_PGM_RSRC2:TGID_Y_EN: 0
; COMPUTE_PGM_RSRC2:TGID_Z_EN: 0
; COMPUTE_PGM_RSRC2:TIDIG_COMP_CNT: 0
	.section	.text._ZN7rocprim17ROCPRIM_400000_NS6detail17trampoline_kernelINS0_13select_configILj256ELj13ELNS0_17block_load_methodE3ELS4_3ELS4_3ELNS0_20block_scan_algorithmE0ELj4294967295EEENS1_25partition_config_selectorILNS1_17partition_subalgoE4EjNS0_10empty_typeEbEEZZNS1_14partition_implILS8_4ELb0ES6_15HIP_vector_typeIjLj2EENS0_17counting_iteratorIjlEEPS9_SG_NS0_5tupleIJPjSI_NS0_16reverse_iteratorISI_EEEEENSH_IJSG_SG_SG_EEES9_SI_JZNS1_25segmented_radix_sort_implINS0_14default_configELb1EPKaPaPKlPlN2at6native12_GLOBAL__N_18offset_tEEE10hipError_tPvRmT1_PNSt15iterator_traitsIS12_E10value_typeET2_T3_PNS13_IS18_E10value_typeET4_jRbjT5_S1E_jjP12ihipStream_tbEUljE_ZNSN_ISO_Lb1ESQ_SR_ST_SU_SY_EESZ_S10_S11_S12_S16_S17_S18_S1B_S1C_jS1D_jS1E_S1E_jjS1G_bEUljE0_EEESZ_S10_S11_S18_S1C_S1E_T6_T7_T9_mT8_S1G_bDpT10_ENKUlT_T0_E_clISt17integral_constantIbLb0EES1T_IbLb1EEEEDaS1P_S1Q_EUlS1P_E_NS1_11comp_targetILNS1_3genE5ELNS1_11target_archE942ELNS1_3gpuE9ELNS1_3repE0EEENS1_30default_config_static_selectorELNS0_4arch9wavefront6targetE0EEEvS12_,"axG",@progbits,_ZN7rocprim17ROCPRIM_400000_NS6detail17trampoline_kernelINS0_13select_configILj256ELj13ELNS0_17block_load_methodE3ELS4_3ELS4_3ELNS0_20block_scan_algorithmE0ELj4294967295EEENS1_25partition_config_selectorILNS1_17partition_subalgoE4EjNS0_10empty_typeEbEEZZNS1_14partition_implILS8_4ELb0ES6_15HIP_vector_typeIjLj2EENS0_17counting_iteratorIjlEEPS9_SG_NS0_5tupleIJPjSI_NS0_16reverse_iteratorISI_EEEEENSH_IJSG_SG_SG_EEES9_SI_JZNS1_25segmented_radix_sort_implINS0_14default_configELb1EPKaPaPKlPlN2at6native12_GLOBAL__N_18offset_tEEE10hipError_tPvRmT1_PNSt15iterator_traitsIS12_E10value_typeET2_T3_PNS13_IS18_E10value_typeET4_jRbjT5_S1E_jjP12ihipStream_tbEUljE_ZNSN_ISO_Lb1ESQ_SR_ST_SU_SY_EESZ_S10_S11_S12_S16_S17_S18_S1B_S1C_jS1D_jS1E_S1E_jjS1G_bEUljE0_EEESZ_S10_S11_S18_S1C_S1E_T6_T7_T9_mT8_S1G_bDpT10_ENKUlT_T0_E_clISt17integral_constantIbLb0EES1T_IbLb1EEEEDaS1P_S1Q_EUlS1P_E_NS1_11comp_targetILNS1_3genE5ELNS1_11target_archE942ELNS1_3gpuE9ELNS1_3repE0EEENS1_30default_config_static_selectorELNS0_4arch9wavefront6targetE0EEEvS12_,comdat
	.globl	_ZN7rocprim17ROCPRIM_400000_NS6detail17trampoline_kernelINS0_13select_configILj256ELj13ELNS0_17block_load_methodE3ELS4_3ELS4_3ELNS0_20block_scan_algorithmE0ELj4294967295EEENS1_25partition_config_selectorILNS1_17partition_subalgoE4EjNS0_10empty_typeEbEEZZNS1_14partition_implILS8_4ELb0ES6_15HIP_vector_typeIjLj2EENS0_17counting_iteratorIjlEEPS9_SG_NS0_5tupleIJPjSI_NS0_16reverse_iteratorISI_EEEEENSH_IJSG_SG_SG_EEES9_SI_JZNS1_25segmented_radix_sort_implINS0_14default_configELb1EPKaPaPKlPlN2at6native12_GLOBAL__N_18offset_tEEE10hipError_tPvRmT1_PNSt15iterator_traitsIS12_E10value_typeET2_T3_PNS13_IS18_E10value_typeET4_jRbjT5_S1E_jjP12ihipStream_tbEUljE_ZNSN_ISO_Lb1ESQ_SR_ST_SU_SY_EESZ_S10_S11_S12_S16_S17_S18_S1B_S1C_jS1D_jS1E_S1E_jjS1G_bEUljE0_EEESZ_S10_S11_S18_S1C_S1E_T6_T7_T9_mT8_S1G_bDpT10_ENKUlT_T0_E_clISt17integral_constantIbLb0EES1T_IbLb1EEEEDaS1P_S1Q_EUlS1P_E_NS1_11comp_targetILNS1_3genE5ELNS1_11target_archE942ELNS1_3gpuE9ELNS1_3repE0EEENS1_30default_config_static_selectorELNS0_4arch9wavefront6targetE0EEEvS12_ ; -- Begin function _ZN7rocprim17ROCPRIM_400000_NS6detail17trampoline_kernelINS0_13select_configILj256ELj13ELNS0_17block_load_methodE3ELS4_3ELS4_3ELNS0_20block_scan_algorithmE0ELj4294967295EEENS1_25partition_config_selectorILNS1_17partition_subalgoE4EjNS0_10empty_typeEbEEZZNS1_14partition_implILS8_4ELb0ES6_15HIP_vector_typeIjLj2EENS0_17counting_iteratorIjlEEPS9_SG_NS0_5tupleIJPjSI_NS0_16reverse_iteratorISI_EEEEENSH_IJSG_SG_SG_EEES9_SI_JZNS1_25segmented_radix_sort_implINS0_14default_configELb1EPKaPaPKlPlN2at6native12_GLOBAL__N_18offset_tEEE10hipError_tPvRmT1_PNSt15iterator_traitsIS12_E10value_typeET2_T3_PNS13_IS18_E10value_typeET4_jRbjT5_S1E_jjP12ihipStream_tbEUljE_ZNSN_ISO_Lb1ESQ_SR_ST_SU_SY_EESZ_S10_S11_S12_S16_S17_S18_S1B_S1C_jS1D_jS1E_S1E_jjS1G_bEUljE0_EEESZ_S10_S11_S18_S1C_S1E_T6_T7_T9_mT8_S1G_bDpT10_ENKUlT_T0_E_clISt17integral_constantIbLb0EES1T_IbLb1EEEEDaS1P_S1Q_EUlS1P_E_NS1_11comp_targetILNS1_3genE5ELNS1_11target_archE942ELNS1_3gpuE9ELNS1_3repE0EEENS1_30default_config_static_selectorELNS0_4arch9wavefront6targetE0EEEvS12_
	.p2align	8
	.type	_ZN7rocprim17ROCPRIM_400000_NS6detail17trampoline_kernelINS0_13select_configILj256ELj13ELNS0_17block_load_methodE3ELS4_3ELS4_3ELNS0_20block_scan_algorithmE0ELj4294967295EEENS1_25partition_config_selectorILNS1_17partition_subalgoE4EjNS0_10empty_typeEbEEZZNS1_14partition_implILS8_4ELb0ES6_15HIP_vector_typeIjLj2EENS0_17counting_iteratorIjlEEPS9_SG_NS0_5tupleIJPjSI_NS0_16reverse_iteratorISI_EEEEENSH_IJSG_SG_SG_EEES9_SI_JZNS1_25segmented_radix_sort_implINS0_14default_configELb1EPKaPaPKlPlN2at6native12_GLOBAL__N_18offset_tEEE10hipError_tPvRmT1_PNSt15iterator_traitsIS12_E10value_typeET2_T3_PNS13_IS18_E10value_typeET4_jRbjT5_S1E_jjP12ihipStream_tbEUljE_ZNSN_ISO_Lb1ESQ_SR_ST_SU_SY_EESZ_S10_S11_S12_S16_S17_S18_S1B_S1C_jS1D_jS1E_S1E_jjS1G_bEUljE0_EEESZ_S10_S11_S18_S1C_S1E_T6_T7_T9_mT8_S1G_bDpT10_ENKUlT_T0_E_clISt17integral_constantIbLb0EES1T_IbLb1EEEEDaS1P_S1Q_EUlS1P_E_NS1_11comp_targetILNS1_3genE5ELNS1_11target_archE942ELNS1_3gpuE9ELNS1_3repE0EEENS1_30default_config_static_selectorELNS0_4arch9wavefront6targetE0EEEvS12_,@function
_ZN7rocprim17ROCPRIM_400000_NS6detail17trampoline_kernelINS0_13select_configILj256ELj13ELNS0_17block_load_methodE3ELS4_3ELS4_3ELNS0_20block_scan_algorithmE0ELj4294967295EEENS1_25partition_config_selectorILNS1_17partition_subalgoE4EjNS0_10empty_typeEbEEZZNS1_14partition_implILS8_4ELb0ES6_15HIP_vector_typeIjLj2EENS0_17counting_iteratorIjlEEPS9_SG_NS0_5tupleIJPjSI_NS0_16reverse_iteratorISI_EEEEENSH_IJSG_SG_SG_EEES9_SI_JZNS1_25segmented_radix_sort_implINS0_14default_configELb1EPKaPaPKlPlN2at6native12_GLOBAL__N_18offset_tEEE10hipError_tPvRmT1_PNSt15iterator_traitsIS12_E10value_typeET2_T3_PNS13_IS18_E10value_typeET4_jRbjT5_S1E_jjP12ihipStream_tbEUljE_ZNSN_ISO_Lb1ESQ_SR_ST_SU_SY_EESZ_S10_S11_S12_S16_S17_S18_S1B_S1C_jS1D_jS1E_S1E_jjS1G_bEUljE0_EEESZ_S10_S11_S18_S1C_S1E_T6_T7_T9_mT8_S1G_bDpT10_ENKUlT_T0_E_clISt17integral_constantIbLb0EES1T_IbLb1EEEEDaS1P_S1Q_EUlS1P_E_NS1_11comp_targetILNS1_3genE5ELNS1_11target_archE942ELNS1_3gpuE9ELNS1_3repE0EEENS1_30default_config_static_selectorELNS0_4arch9wavefront6targetE0EEEvS12_: ; @_ZN7rocprim17ROCPRIM_400000_NS6detail17trampoline_kernelINS0_13select_configILj256ELj13ELNS0_17block_load_methodE3ELS4_3ELS4_3ELNS0_20block_scan_algorithmE0ELj4294967295EEENS1_25partition_config_selectorILNS1_17partition_subalgoE4EjNS0_10empty_typeEbEEZZNS1_14partition_implILS8_4ELb0ES6_15HIP_vector_typeIjLj2EENS0_17counting_iteratorIjlEEPS9_SG_NS0_5tupleIJPjSI_NS0_16reverse_iteratorISI_EEEEENSH_IJSG_SG_SG_EEES9_SI_JZNS1_25segmented_radix_sort_implINS0_14default_configELb1EPKaPaPKlPlN2at6native12_GLOBAL__N_18offset_tEEE10hipError_tPvRmT1_PNSt15iterator_traitsIS12_E10value_typeET2_T3_PNS13_IS18_E10value_typeET4_jRbjT5_S1E_jjP12ihipStream_tbEUljE_ZNSN_ISO_Lb1ESQ_SR_ST_SU_SY_EESZ_S10_S11_S12_S16_S17_S18_S1B_S1C_jS1D_jS1E_S1E_jjS1G_bEUljE0_EEESZ_S10_S11_S18_S1C_S1E_T6_T7_T9_mT8_S1G_bDpT10_ENKUlT_T0_E_clISt17integral_constantIbLb0EES1T_IbLb1EEEEDaS1P_S1Q_EUlS1P_E_NS1_11comp_targetILNS1_3genE5ELNS1_11target_archE942ELNS1_3gpuE9ELNS1_3repE0EEENS1_30default_config_static_selectorELNS0_4arch9wavefront6targetE0EEEvS12_
; %bb.0:
	.section	.rodata,"a",@progbits
	.p2align	6, 0x0
	.amdhsa_kernel _ZN7rocprim17ROCPRIM_400000_NS6detail17trampoline_kernelINS0_13select_configILj256ELj13ELNS0_17block_load_methodE3ELS4_3ELS4_3ELNS0_20block_scan_algorithmE0ELj4294967295EEENS1_25partition_config_selectorILNS1_17partition_subalgoE4EjNS0_10empty_typeEbEEZZNS1_14partition_implILS8_4ELb0ES6_15HIP_vector_typeIjLj2EENS0_17counting_iteratorIjlEEPS9_SG_NS0_5tupleIJPjSI_NS0_16reverse_iteratorISI_EEEEENSH_IJSG_SG_SG_EEES9_SI_JZNS1_25segmented_radix_sort_implINS0_14default_configELb1EPKaPaPKlPlN2at6native12_GLOBAL__N_18offset_tEEE10hipError_tPvRmT1_PNSt15iterator_traitsIS12_E10value_typeET2_T3_PNS13_IS18_E10value_typeET4_jRbjT5_S1E_jjP12ihipStream_tbEUljE_ZNSN_ISO_Lb1ESQ_SR_ST_SU_SY_EESZ_S10_S11_S12_S16_S17_S18_S1B_S1C_jS1D_jS1E_S1E_jjS1G_bEUljE0_EEESZ_S10_S11_S18_S1C_S1E_T6_T7_T9_mT8_S1G_bDpT10_ENKUlT_T0_E_clISt17integral_constantIbLb0EES1T_IbLb1EEEEDaS1P_S1Q_EUlS1P_E_NS1_11comp_targetILNS1_3genE5ELNS1_11target_archE942ELNS1_3gpuE9ELNS1_3repE0EEENS1_30default_config_static_selectorELNS0_4arch9wavefront6targetE0EEEvS12_
		.amdhsa_group_segment_fixed_size 0
		.amdhsa_private_segment_fixed_size 0
		.amdhsa_kernarg_size 184
		.amdhsa_user_sgpr_count 6
		.amdhsa_user_sgpr_private_segment_buffer 1
		.amdhsa_user_sgpr_dispatch_ptr 0
		.amdhsa_user_sgpr_queue_ptr 0
		.amdhsa_user_sgpr_kernarg_segment_ptr 1
		.amdhsa_user_sgpr_dispatch_id 0
		.amdhsa_user_sgpr_flat_scratch_init 0
		.amdhsa_user_sgpr_private_segment_size 0
		.amdhsa_wavefront_size32 1
		.amdhsa_uses_dynamic_stack 0
		.amdhsa_system_sgpr_private_segment_wavefront_offset 0
		.amdhsa_system_sgpr_workgroup_id_x 1
		.amdhsa_system_sgpr_workgroup_id_y 0
		.amdhsa_system_sgpr_workgroup_id_z 0
		.amdhsa_system_sgpr_workgroup_info 0
		.amdhsa_system_vgpr_workitem_id 0
		.amdhsa_next_free_vgpr 1
		.amdhsa_next_free_sgpr 1
		.amdhsa_reserve_vcc 0
		.amdhsa_reserve_flat_scratch 0
		.amdhsa_float_round_mode_32 0
		.amdhsa_float_round_mode_16_64 0
		.amdhsa_float_denorm_mode_32 3
		.amdhsa_float_denorm_mode_16_64 3
		.amdhsa_dx10_clamp 1
		.amdhsa_ieee_mode 1
		.amdhsa_fp16_overflow 0
		.amdhsa_workgroup_processor_mode 1
		.amdhsa_memory_ordered 1
		.amdhsa_forward_progress 1
		.amdhsa_shared_vgpr_count 0
		.amdhsa_exception_fp_ieee_invalid_op 0
		.amdhsa_exception_fp_denorm_src 0
		.amdhsa_exception_fp_ieee_div_zero 0
		.amdhsa_exception_fp_ieee_overflow 0
		.amdhsa_exception_fp_ieee_underflow 0
		.amdhsa_exception_fp_ieee_inexact 0
		.amdhsa_exception_int_div_zero 0
	.end_amdhsa_kernel
	.section	.text._ZN7rocprim17ROCPRIM_400000_NS6detail17trampoline_kernelINS0_13select_configILj256ELj13ELNS0_17block_load_methodE3ELS4_3ELS4_3ELNS0_20block_scan_algorithmE0ELj4294967295EEENS1_25partition_config_selectorILNS1_17partition_subalgoE4EjNS0_10empty_typeEbEEZZNS1_14partition_implILS8_4ELb0ES6_15HIP_vector_typeIjLj2EENS0_17counting_iteratorIjlEEPS9_SG_NS0_5tupleIJPjSI_NS0_16reverse_iteratorISI_EEEEENSH_IJSG_SG_SG_EEES9_SI_JZNS1_25segmented_radix_sort_implINS0_14default_configELb1EPKaPaPKlPlN2at6native12_GLOBAL__N_18offset_tEEE10hipError_tPvRmT1_PNSt15iterator_traitsIS12_E10value_typeET2_T3_PNS13_IS18_E10value_typeET4_jRbjT5_S1E_jjP12ihipStream_tbEUljE_ZNSN_ISO_Lb1ESQ_SR_ST_SU_SY_EESZ_S10_S11_S12_S16_S17_S18_S1B_S1C_jS1D_jS1E_S1E_jjS1G_bEUljE0_EEESZ_S10_S11_S18_S1C_S1E_T6_T7_T9_mT8_S1G_bDpT10_ENKUlT_T0_E_clISt17integral_constantIbLb0EES1T_IbLb1EEEEDaS1P_S1Q_EUlS1P_E_NS1_11comp_targetILNS1_3genE5ELNS1_11target_archE942ELNS1_3gpuE9ELNS1_3repE0EEENS1_30default_config_static_selectorELNS0_4arch9wavefront6targetE0EEEvS12_,"axG",@progbits,_ZN7rocprim17ROCPRIM_400000_NS6detail17trampoline_kernelINS0_13select_configILj256ELj13ELNS0_17block_load_methodE3ELS4_3ELS4_3ELNS0_20block_scan_algorithmE0ELj4294967295EEENS1_25partition_config_selectorILNS1_17partition_subalgoE4EjNS0_10empty_typeEbEEZZNS1_14partition_implILS8_4ELb0ES6_15HIP_vector_typeIjLj2EENS0_17counting_iteratorIjlEEPS9_SG_NS0_5tupleIJPjSI_NS0_16reverse_iteratorISI_EEEEENSH_IJSG_SG_SG_EEES9_SI_JZNS1_25segmented_radix_sort_implINS0_14default_configELb1EPKaPaPKlPlN2at6native12_GLOBAL__N_18offset_tEEE10hipError_tPvRmT1_PNSt15iterator_traitsIS12_E10value_typeET2_T3_PNS13_IS18_E10value_typeET4_jRbjT5_S1E_jjP12ihipStream_tbEUljE_ZNSN_ISO_Lb1ESQ_SR_ST_SU_SY_EESZ_S10_S11_S12_S16_S17_S18_S1B_S1C_jS1D_jS1E_S1E_jjS1G_bEUljE0_EEESZ_S10_S11_S18_S1C_S1E_T6_T7_T9_mT8_S1G_bDpT10_ENKUlT_T0_E_clISt17integral_constantIbLb0EES1T_IbLb1EEEEDaS1P_S1Q_EUlS1P_E_NS1_11comp_targetILNS1_3genE5ELNS1_11target_archE942ELNS1_3gpuE9ELNS1_3repE0EEENS1_30default_config_static_selectorELNS0_4arch9wavefront6targetE0EEEvS12_,comdat
.Lfunc_end249:
	.size	_ZN7rocprim17ROCPRIM_400000_NS6detail17trampoline_kernelINS0_13select_configILj256ELj13ELNS0_17block_load_methodE3ELS4_3ELS4_3ELNS0_20block_scan_algorithmE0ELj4294967295EEENS1_25partition_config_selectorILNS1_17partition_subalgoE4EjNS0_10empty_typeEbEEZZNS1_14partition_implILS8_4ELb0ES6_15HIP_vector_typeIjLj2EENS0_17counting_iteratorIjlEEPS9_SG_NS0_5tupleIJPjSI_NS0_16reverse_iteratorISI_EEEEENSH_IJSG_SG_SG_EEES9_SI_JZNS1_25segmented_radix_sort_implINS0_14default_configELb1EPKaPaPKlPlN2at6native12_GLOBAL__N_18offset_tEEE10hipError_tPvRmT1_PNSt15iterator_traitsIS12_E10value_typeET2_T3_PNS13_IS18_E10value_typeET4_jRbjT5_S1E_jjP12ihipStream_tbEUljE_ZNSN_ISO_Lb1ESQ_SR_ST_SU_SY_EESZ_S10_S11_S12_S16_S17_S18_S1B_S1C_jS1D_jS1E_S1E_jjS1G_bEUljE0_EEESZ_S10_S11_S18_S1C_S1E_T6_T7_T9_mT8_S1G_bDpT10_ENKUlT_T0_E_clISt17integral_constantIbLb0EES1T_IbLb1EEEEDaS1P_S1Q_EUlS1P_E_NS1_11comp_targetILNS1_3genE5ELNS1_11target_archE942ELNS1_3gpuE9ELNS1_3repE0EEENS1_30default_config_static_selectorELNS0_4arch9wavefront6targetE0EEEvS12_, .Lfunc_end249-_ZN7rocprim17ROCPRIM_400000_NS6detail17trampoline_kernelINS0_13select_configILj256ELj13ELNS0_17block_load_methodE3ELS4_3ELS4_3ELNS0_20block_scan_algorithmE0ELj4294967295EEENS1_25partition_config_selectorILNS1_17partition_subalgoE4EjNS0_10empty_typeEbEEZZNS1_14partition_implILS8_4ELb0ES6_15HIP_vector_typeIjLj2EENS0_17counting_iteratorIjlEEPS9_SG_NS0_5tupleIJPjSI_NS0_16reverse_iteratorISI_EEEEENSH_IJSG_SG_SG_EEES9_SI_JZNS1_25segmented_radix_sort_implINS0_14default_configELb1EPKaPaPKlPlN2at6native12_GLOBAL__N_18offset_tEEE10hipError_tPvRmT1_PNSt15iterator_traitsIS12_E10value_typeET2_T3_PNS13_IS18_E10value_typeET4_jRbjT5_S1E_jjP12ihipStream_tbEUljE_ZNSN_ISO_Lb1ESQ_SR_ST_SU_SY_EESZ_S10_S11_S12_S16_S17_S18_S1B_S1C_jS1D_jS1E_S1E_jjS1G_bEUljE0_EEESZ_S10_S11_S18_S1C_S1E_T6_T7_T9_mT8_S1G_bDpT10_ENKUlT_T0_E_clISt17integral_constantIbLb0EES1T_IbLb1EEEEDaS1P_S1Q_EUlS1P_E_NS1_11comp_targetILNS1_3genE5ELNS1_11target_archE942ELNS1_3gpuE9ELNS1_3repE0EEENS1_30default_config_static_selectorELNS0_4arch9wavefront6targetE0EEEvS12_
                                        ; -- End function
	.set _ZN7rocprim17ROCPRIM_400000_NS6detail17trampoline_kernelINS0_13select_configILj256ELj13ELNS0_17block_load_methodE3ELS4_3ELS4_3ELNS0_20block_scan_algorithmE0ELj4294967295EEENS1_25partition_config_selectorILNS1_17partition_subalgoE4EjNS0_10empty_typeEbEEZZNS1_14partition_implILS8_4ELb0ES6_15HIP_vector_typeIjLj2EENS0_17counting_iteratorIjlEEPS9_SG_NS0_5tupleIJPjSI_NS0_16reverse_iteratorISI_EEEEENSH_IJSG_SG_SG_EEES9_SI_JZNS1_25segmented_radix_sort_implINS0_14default_configELb1EPKaPaPKlPlN2at6native12_GLOBAL__N_18offset_tEEE10hipError_tPvRmT1_PNSt15iterator_traitsIS12_E10value_typeET2_T3_PNS13_IS18_E10value_typeET4_jRbjT5_S1E_jjP12ihipStream_tbEUljE_ZNSN_ISO_Lb1ESQ_SR_ST_SU_SY_EESZ_S10_S11_S12_S16_S17_S18_S1B_S1C_jS1D_jS1E_S1E_jjS1G_bEUljE0_EEESZ_S10_S11_S18_S1C_S1E_T6_T7_T9_mT8_S1G_bDpT10_ENKUlT_T0_E_clISt17integral_constantIbLb0EES1T_IbLb1EEEEDaS1P_S1Q_EUlS1P_E_NS1_11comp_targetILNS1_3genE5ELNS1_11target_archE942ELNS1_3gpuE9ELNS1_3repE0EEENS1_30default_config_static_selectorELNS0_4arch9wavefront6targetE0EEEvS12_.num_vgpr, 0
	.set _ZN7rocprim17ROCPRIM_400000_NS6detail17trampoline_kernelINS0_13select_configILj256ELj13ELNS0_17block_load_methodE3ELS4_3ELS4_3ELNS0_20block_scan_algorithmE0ELj4294967295EEENS1_25partition_config_selectorILNS1_17partition_subalgoE4EjNS0_10empty_typeEbEEZZNS1_14partition_implILS8_4ELb0ES6_15HIP_vector_typeIjLj2EENS0_17counting_iteratorIjlEEPS9_SG_NS0_5tupleIJPjSI_NS0_16reverse_iteratorISI_EEEEENSH_IJSG_SG_SG_EEES9_SI_JZNS1_25segmented_radix_sort_implINS0_14default_configELb1EPKaPaPKlPlN2at6native12_GLOBAL__N_18offset_tEEE10hipError_tPvRmT1_PNSt15iterator_traitsIS12_E10value_typeET2_T3_PNS13_IS18_E10value_typeET4_jRbjT5_S1E_jjP12ihipStream_tbEUljE_ZNSN_ISO_Lb1ESQ_SR_ST_SU_SY_EESZ_S10_S11_S12_S16_S17_S18_S1B_S1C_jS1D_jS1E_S1E_jjS1G_bEUljE0_EEESZ_S10_S11_S18_S1C_S1E_T6_T7_T9_mT8_S1G_bDpT10_ENKUlT_T0_E_clISt17integral_constantIbLb0EES1T_IbLb1EEEEDaS1P_S1Q_EUlS1P_E_NS1_11comp_targetILNS1_3genE5ELNS1_11target_archE942ELNS1_3gpuE9ELNS1_3repE0EEENS1_30default_config_static_selectorELNS0_4arch9wavefront6targetE0EEEvS12_.num_agpr, 0
	.set _ZN7rocprim17ROCPRIM_400000_NS6detail17trampoline_kernelINS0_13select_configILj256ELj13ELNS0_17block_load_methodE3ELS4_3ELS4_3ELNS0_20block_scan_algorithmE0ELj4294967295EEENS1_25partition_config_selectorILNS1_17partition_subalgoE4EjNS0_10empty_typeEbEEZZNS1_14partition_implILS8_4ELb0ES6_15HIP_vector_typeIjLj2EENS0_17counting_iteratorIjlEEPS9_SG_NS0_5tupleIJPjSI_NS0_16reverse_iteratorISI_EEEEENSH_IJSG_SG_SG_EEES9_SI_JZNS1_25segmented_radix_sort_implINS0_14default_configELb1EPKaPaPKlPlN2at6native12_GLOBAL__N_18offset_tEEE10hipError_tPvRmT1_PNSt15iterator_traitsIS12_E10value_typeET2_T3_PNS13_IS18_E10value_typeET4_jRbjT5_S1E_jjP12ihipStream_tbEUljE_ZNSN_ISO_Lb1ESQ_SR_ST_SU_SY_EESZ_S10_S11_S12_S16_S17_S18_S1B_S1C_jS1D_jS1E_S1E_jjS1G_bEUljE0_EEESZ_S10_S11_S18_S1C_S1E_T6_T7_T9_mT8_S1G_bDpT10_ENKUlT_T0_E_clISt17integral_constantIbLb0EES1T_IbLb1EEEEDaS1P_S1Q_EUlS1P_E_NS1_11comp_targetILNS1_3genE5ELNS1_11target_archE942ELNS1_3gpuE9ELNS1_3repE0EEENS1_30default_config_static_selectorELNS0_4arch9wavefront6targetE0EEEvS12_.numbered_sgpr, 0
	.set _ZN7rocprim17ROCPRIM_400000_NS6detail17trampoline_kernelINS0_13select_configILj256ELj13ELNS0_17block_load_methodE3ELS4_3ELS4_3ELNS0_20block_scan_algorithmE0ELj4294967295EEENS1_25partition_config_selectorILNS1_17partition_subalgoE4EjNS0_10empty_typeEbEEZZNS1_14partition_implILS8_4ELb0ES6_15HIP_vector_typeIjLj2EENS0_17counting_iteratorIjlEEPS9_SG_NS0_5tupleIJPjSI_NS0_16reverse_iteratorISI_EEEEENSH_IJSG_SG_SG_EEES9_SI_JZNS1_25segmented_radix_sort_implINS0_14default_configELb1EPKaPaPKlPlN2at6native12_GLOBAL__N_18offset_tEEE10hipError_tPvRmT1_PNSt15iterator_traitsIS12_E10value_typeET2_T3_PNS13_IS18_E10value_typeET4_jRbjT5_S1E_jjP12ihipStream_tbEUljE_ZNSN_ISO_Lb1ESQ_SR_ST_SU_SY_EESZ_S10_S11_S12_S16_S17_S18_S1B_S1C_jS1D_jS1E_S1E_jjS1G_bEUljE0_EEESZ_S10_S11_S18_S1C_S1E_T6_T7_T9_mT8_S1G_bDpT10_ENKUlT_T0_E_clISt17integral_constantIbLb0EES1T_IbLb1EEEEDaS1P_S1Q_EUlS1P_E_NS1_11comp_targetILNS1_3genE5ELNS1_11target_archE942ELNS1_3gpuE9ELNS1_3repE0EEENS1_30default_config_static_selectorELNS0_4arch9wavefront6targetE0EEEvS12_.num_named_barrier, 0
	.set _ZN7rocprim17ROCPRIM_400000_NS6detail17trampoline_kernelINS0_13select_configILj256ELj13ELNS0_17block_load_methodE3ELS4_3ELS4_3ELNS0_20block_scan_algorithmE0ELj4294967295EEENS1_25partition_config_selectorILNS1_17partition_subalgoE4EjNS0_10empty_typeEbEEZZNS1_14partition_implILS8_4ELb0ES6_15HIP_vector_typeIjLj2EENS0_17counting_iteratorIjlEEPS9_SG_NS0_5tupleIJPjSI_NS0_16reverse_iteratorISI_EEEEENSH_IJSG_SG_SG_EEES9_SI_JZNS1_25segmented_radix_sort_implINS0_14default_configELb1EPKaPaPKlPlN2at6native12_GLOBAL__N_18offset_tEEE10hipError_tPvRmT1_PNSt15iterator_traitsIS12_E10value_typeET2_T3_PNS13_IS18_E10value_typeET4_jRbjT5_S1E_jjP12ihipStream_tbEUljE_ZNSN_ISO_Lb1ESQ_SR_ST_SU_SY_EESZ_S10_S11_S12_S16_S17_S18_S1B_S1C_jS1D_jS1E_S1E_jjS1G_bEUljE0_EEESZ_S10_S11_S18_S1C_S1E_T6_T7_T9_mT8_S1G_bDpT10_ENKUlT_T0_E_clISt17integral_constantIbLb0EES1T_IbLb1EEEEDaS1P_S1Q_EUlS1P_E_NS1_11comp_targetILNS1_3genE5ELNS1_11target_archE942ELNS1_3gpuE9ELNS1_3repE0EEENS1_30default_config_static_selectorELNS0_4arch9wavefront6targetE0EEEvS12_.private_seg_size, 0
	.set _ZN7rocprim17ROCPRIM_400000_NS6detail17trampoline_kernelINS0_13select_configILj256ELj13ELNS0_17block_load_methodE3ELS4_3ELS4_3ELNS0_20block_scan_algorithmE0ELj4294967295EEENS1_25partition_config_selectorILNS1_17partition_subalgoE4EjNS0_10empty_typeEbEEZZNS1_14partition_implILS8_4ELb0ES6_15HIP_vector_typeIjLj2EENS0_17counting_iteratorIjlEEPS9_SG_NS0_5tupleIJPjSI_NS0_16reverse_iteratorISI_EEEEENSH_IJSG_SG_SG_EEES9_SI_JZNS1_25segmented_radix_sort_implINS0_14default_configELb1EPKaPaPKlPlN2at6native12_GLOBAL__N_18offset_tEEE10hipError_tPvRmT1_PNSt15iterator_traitsIS12_E10value_typeET2_T3_PNS13_IS18_E10value_typeET4_jRbjT5_S1E_jjP12ihipStream_tbEUljE_ZNSN_ISO_Lb1ESQ_SR_ST_SU_SY_EESZ_S10_S11_S12_S16_S17_S18_S1B_S1C_jS1D_jS1E_S1E_jjS1G_bEUljE0_EEESZ_S10_S11_S18_S1C_S1E_T6_T7_T9_mT8_S1G_bDpT10_ENKUlT_T0_E_clISt17integral_constantIbLb0EES1T_IbLb1EEEEDaS1P_S1Q_EUlS1P_E_NS1_11comp_targetILNS1_3genE5ELNS1_11target_archE942ELNS1_3gpuE9ELNS1_3repE0EEENS1_30default_config_static_selectorELNS0_4arch9wavefront6targetE0EEEvS12_.uses_vcc, 0
	.set _ZN7rocprim17ROCPRIM_400000_NS6detail17trampoline_kernelINS0_13select_configILj256ELj13ELNS0_17block_load_methodE3ELS4_3ELS4_3ELNS0_20block_scan_algorithmE0ELj4294967295EEENS1_25partition_config_selectorILNS1_17partition_subalgoE4EjNS0_10empty_typeEbEEZZNS1_14partition_implILS8_4ELb0ES6_15HIP_vector_typeIjLj2EENS0_17counting_iteratorIjlEEPS9_SG_NS0_5tupleIJPjSI_NS0_16reverse_iteratorISI_EEEEENSH_IJSG_SG_SG_EEES9_SI_JZNS1_25segmented_radix_sort_implINS0_14default_configELb1EPKaPaPKlPlN2at6native12_GLOBAL__N_18offset_tEEE10hipError_tPvRmT1_PNSt15iterator_traitsIS12_E10value_typeET2_T3_PNS13_IS18_E10value_typeET4_jRbjT5_S1E_jjP12ihipStream_tbEUljE_ZNSN_ISO_Lb1ESQ_SR_ST_SU_SY_EESZ_S10_S11_S12_S16_S17_S18_S1B_S1C_jS1D_jS1E_S1E_jjS1G_bEUljE0_EEESZ_S10_S11_S18_S1C_S1E_T6_T7_T9_mT8_S1G_bDpT10_ENKUlT_T0_E_clISt17integral_constantIbLb0EES1T_IbLb1EEEEDaS1P_S1Q_EUlS1P_E_NS1_11comp_targetILNS1_3genE5ELNS1_11target_archE942ELNS1_3gpuE9ELNS1_3repE0EEENS1_30default_config_static_selectorELNS0_4arch9wavefront6targetE0EEEvS12_.uses_flat_scratch, 0
	.set _ZN7rocprim17ROCPRIM_400000_NS6detail17trampoline_kernelINS0_13select_configILj256ELj13ELNS0_17block_load_methodE3ELS4_3ELS4_3ELNS0_20block_scan_algorithmE0ELj4294967295EEENS1_25partition_config_selectorILNS1_17partition_subalgoE4EjNS0_10empty_typeEbEEZZNS1_14partition_implILS8_4ELb0ES6_15HIP_vector_typeIjLj2EENS0_17counting_iteratorIjlEEPS9_SG_NS0_5tupleIJPjSI_NS0_16reverse_iteratorISI_EEEEENSH_IJSG_SG_SG_EEES9_SI_JZNS1_25segmented_radix_sort_implINS0_14default_configELb1EPKaPaPKlPlN2at6native12_GLOBAL__N_18offset_tEEE10hipError_tPvRmT1_PNSt15iterator_traitsIS12_E10value_typeET2_T3_PNS13_IS18_E10value_typeET4_jRbjT5_S1E_jjP12ihipStream_tbEUljE_ZNSN_ISO_Lb1ESQ_SR_ST_SU_SY_EESZ_S10_S11_S12_S16_S17_S18_S1B_S1C_jS1D_jS1E_S1E_jjS1G_bEUljE0_EEESZ_S10_S11_S18_S1C_S1E_T6_T7_T9_mT8_S1G_bDpT10_ENKUlT_T0_E_clISt17integral_constantIbLb0EES1T_IbLb1EEEEDaS1P_S1Q_EUlS1P_E_NS1_11comp_targetILNS1_3genE5ELNS1_11target_archE942ELNS1_3gpuE9ELNS1_3repE0EEENS1_30default_config_static_selectorELNS0_4arch9wavefront6targetE0EEEvS12_.has_dyn_sized_stack, 0
	.set _ZN7rocprim17ROCPRIM_400000_NS6detail17trampoline_kernelINS0_13select_configILj256ELj13ELNS0_17block_load_methodE3ELS4_3ELS4_3ELNS0_20block_scan_algorithmE0ELj4294967295EEENS1_25partition_config_selectorILNS1_17partition_subalgoE4EjNS0_10empty_typeEbEEZZNS1_14partition_implILS8_4ELb0ES6_15HIP_vector_typeIjLj2EENS0_17counting_iteratorIjlEEPS9_SG_NS0_5tupleIJPjSI_NS0_16reverse_iteratorISI_EEEEENSH_IJSG_SG_SG_EEES9_SI_JZNS1_25segmented_radix_sort_implINS0_14default_configELb1EPKaPaPKlPlN2at6native12_GLOBAL__N_18offset_tEEE10hipError_tPvRmT1_PNSt15iterator_traitsIS12_E10value_typeET2_T3_PNS13_IS18_E10value_typeET4_jRbjT5_S1E_jjP12ihipStream_tbEUljE_ZNSN_ISO_Lb1ESQ_SR_ST_SU_SY_EESZ_S10_S11_S12_S16_S17_S18_S1B_S1C_jS1D_jS1E_S1E_jjS1G_bEUljE0_EEESZ_S10_S11_S18_S1C_S1E_T6_T7_T9_mT8_S1G_bDpT10_ENKUlT_T0_E_clISt17integral_constantIbLb0EES1T_IbLb1EEEEDaS1P_S1Q_EUlS1P_E_NS1_11comp_targetILNS1_3genE5ELNS1_11target_archE942ELNS1_3gpuE9ELNS1_3repE0EEENS1_30default_config_static_selectorELNS0_4arch9wavefront6targetE0EEEvS12_.has_recursion, 0
	.set _ZN7rocprim17ROCPRIM_400000_NS6detail17trampoline_kernelINS0_13select_configILj256ELj13ELNS0_17block_load_methodE3ELS4_3ELS4_3ELNS0_20block_scan_algorithmE0ELj4294967295EEENS1_25partition_config_selectorILNS1_17partition_subalgoE4EjNS0_10empty_typeEbEEZZNS1_14partition_implILS8_4ELb0ES6_15HIP_vector_typeIjLj2EENS0_17counting_iteratorIjlEEPS9_SG_NS0_5tupleIJPjSI_NS0_16reverse_iteratorISI_EEEEENSH_IJSG_SG_SG_EEES9_SI_JZNS1_25segmented_radix_sort_implINS0_14default_configELb1EPKaPaPKlPlN2at6native12_GLOBAL__N_18offset_tEEE10hipError_tPvRmT1_PNSt15iterator_traitsIS12_E10value_typeET2_T3_PNS13_IS18_E10value_typeET4_jRbjT5_S1E_jjP12ihipStream_tbEUljE_ZNSN_ISO_Lb1ESQ_SR_ST_SU_SY_EESZ_S10_S11_S12_S16_S17_S18_S1B_S1C_jS1D_jS1E_S1E_jjS1G_bEUljE0_EEESZ_S10_S11_S18_S1C_S1E_T6_T7_T9_mT8_S1G_bDpT10_ENKUlT_T0_E_clISt17integral_constantIbLb0EES1T_IbLb1EEEEDaS1P_S1Q_EUlS1P_E_NS1_11comp_targetILNS1_3genE5ELNS1_11target_archE942ELNS1_3gpuE9ELNS1_3repE0EEENS1_30default_config_static_selectorELNS0_4arch9wavefront6targetE0EEEvS12_.has_indirect_call, 0
	.section	.AMDGPU.csdata,"",@progbits
; Kernel info:
; codeLenInByte = 0
; TotalNumSgprs: 0
; NumVgprs: 0
; ScratchSize: 0
; MemoryBound: 0
; FloatMode: 240
; IeeeMode: 1
; LDSByteSize: 0 bytes/workgroup (compile time only)
; SGPRBlocks: 0
; VGPRBlocks: 0
; NumSGPRsForWavesPerEU: 1
; NumVGPRsForWavesPerEU: 1
; Occupancy: 16
; WaveLimiterHint : 0
; COMPUTE_PGM_RSRC2:SCRATCH_EN: 0
; COMPUTE_PGM_RSRC2:USER_SGPR: 6
; COMPUTE_PGM_RSRC2:TRAP_HANDLER: 0
; COMPUTE_PGM_RSRC2:TGID_X_EN: 1
; COMPUTE_PGM_RSRC2:TGID_Y_EN: 0
; COMPUTE_PGM_RSRC2:TGID_Z_EN: 0
; COMPUTE_PGM_RSRC2:TIDIG_COMP_CNT: 0
	.section	.text._ZN7rocprim17ROCPRIM_400000_NS6detail17trampoline_kernelINS0_13select_configILj256ELj13ELNS0_17block_load_methodE3ELS4_3ELS4_3ELNS0_20block_scan_algorithmE0ELj4294967295EEENS1_25partition_config_selectorILNS1_17partition_subalgoE4EjNS0_10empty_typeEbEEZZNS1_14partition_implILS8_4ELb0ES6_15HIP_vector_typeIjLj2EENS0_17counting_iteratorIjlEEPS9_SG_NS0_5tupleIJPjSI_NS0_16reverse_iteratorISI_EEEEENSH_IJSG_SG_SG_EEES9_SI_JZNS1_25segmented_radix_sort_implINS0_14default_configELb1EPKaPaPKlPlN2at6native12_GLOBAL__N_18offset_tEEE10hipError_tPvRmT1_PNSt15iterator_traitsIS12_E10value_typeET2_T3_PNS13_IS18_E10value_typeET4_jRbjT5_S1E_jjP12ihipStream_tbEUljE_ZNSN_ISO_Lb1ESQ_SR_ST_SU_SY_EESZ_S10_S11_S12_S16_S17_S18_S1B_S1C_jS1D_jS1E_S1E_jjS1G_bEUljE0_EEESZ_S10_S11_S18_S1C_S1E_T6_T7_T9_mT8_S1G_bDpT10_ENKUlT_T0_E_clISt17integral_constantIbLb0EES1T_IbLb1EEEEDaS1P_S1Q_EUlS1P_E_NS1_11comp_targetILNS1_3genE4ELNS1_11target_archE910ELNS1_3gpuE8ELNS1_3repE0EEENS1_30default_config_static_selectorELNS0_4arch9wavefront6targetE0EEEvS12_,"axG",@progbits,_ZN7rocprim17ROCPRIM_400000_NS6detail17trampoline_kernelINS0_13select_configILj256ELj13ELNS0_17block_load_methodE3ELS4_3ELS4_3ELNS0_20block_scan_algorithmE0ELj4294967295EEENS1_25partition_config_selectorILNS1_17partition_subalgoE4EjNS0_10empty_typeEbEEZZNS1_14partition_implILS8_4ELb0ES6_15HIP_vector_typeIjLj2EENS0_17counting_iteratorIjlEEPS9_SG_NS0_5tupleIJPjSI_NS0_16reverse_iteratorISI_EEEEENSH_IJSG_SG_SG_EEES9_SI_JZNS1_25segmented_radix_sort_implINS0_14default_configELb1EPKaPaPKlPlN2at6native12_GLOBAL__N_18offset_tEEE10hipError_tPvRmT1_PNSt15iterator_traitsIS12_E10value_typeET2_T3_PNS13_IS18_E10value_typeET4_jRbjT5_S1E_jjP12ihipStream_tbEUljE_ZNSN_ISO_Lb1ESQ_SR_ST_SU_SY_EESZ_S10_S11_S12_S16_S17_S18_S1B_S1C_jS1D_jS1E_S1E_jjS1G_bEUljE0_EEESZ_S10_S11_S18_S1C_S1E_T6_T7_T9_mT8_S1G_bDpT10_ENKUlT_T0_E_clISt17integral_constantIbLb0EES1T_IbLb1EEEEDaS1P_S1Q_EUlS1P_E_NS1_11comp_targetILNS1_3genE4ELNS1_11target_archE910ELNS1_3gpuE8ELNS1_3repE0EEENS1_30default_config_static_selectorELNS0_4arch9wavefront6targetE0EEEvS12_,comdat
	.globl	_ZN7rocprim17ROCPRIM_400000_NS6detail17trampoline_kernelINS0_13select_configILj256ELj13ELNS0_17block_load_methodE3ELS4_3ELS4_3ELNS0_20block_scan_algorithmE0ELj4294967295EEENS1_25partition_config_selectorILNS1_17partition_subalgoE4EjNS0_10empty_typeEbEEZZNS1_14partition_implILS8_4ELb0ES6_15HIP_vector_typeIjLj2EENS0_17counting_iteratorIjlEEPS9_SG_NS0_5tupleIJPjSI_NS0_16reverse_iteratorISI_EEEEENSH_IJSG_SG_SG_EEES9_SI_JZNS1_25segmented_radix_sort_implINS0_14default_configELb1EPKaPaPKlPlN2at6native12_GLOBAL__N_18offset_tEEE10hipError_tPvRmT1_PNSt15iterator_traitsIS12_E10value_typeET2_T3_PNS13_IS18_E10value_typeET4_jRbjT5_S1E_jjP12ihipStream_tbEUljE_ZNSN_ISO_Lb1ESQ_SR_ST_SU_SY_EESZ_S10_S11_S12_S16_S17_S18_S1B_S1C_jS1D_jS1E_S1E_jjS1G_bEUljE0_EEESZ_S10_S11_S18_S1C_S1E_T6_T7_T9_mT8_S1G_bDpT10_ENKUlT_T0_E_clISt17integral_constantIbLb0EES1T_IbLb1EEEEDaS1P_S1Q_EUlS1P_E_NS1_11comp_targetILNS1_3genE4ELNS1_11target_archE910ELNS1_3gpuE8ELNS1_3repE0EEENS1_30default_config_static_selectorELNS0_4arch9wavefront6targetE0EEEvS12_ ; -- Begin function _ZN7rocprim17ROCPRIM_400000_NS6detail17trampoline_kernelINS0_13select_configILj256ELj13ELNS0_17block_load_methodE3ELS4_3ELS4_3ELNS0_20block_scan_algorithmE0ELj4294967295EEENS1_25partition_config_selectorILNS1_17partition_subalgoE4EjNS0_10empty_typeEbEEZZNS1_14partition_implILS8_4ELb0ES6_15HIP_vector_typeIjLj2EENS0_17counting_iteratorIjlEEPS9_SG_NS0_5tupleIJPjSI_NS0_16reverse_iteratorISI_EEEEENSH_IJSG_SG_SG_EEES9_SI_JZNS1_25segmented_radix_sort_implINS0_14default_configELb1EPKaPaPKlPlN2at6native12_GLOBAL__N_18offset_tEEE10hipError_tPvRmT1_PNSt15iterator_traitsIS12_E10value_typeET2_T3_PNS13_IS18_E10value_typeET4_jRbjT5_S1E_jjP12ihipStream_tbEUljE_ZNSN_ISO_Lb1ESQ_SR_ST_SU_SY_EESZ_S10_S11_S12_S16_S17_S18_S1B_S1C_jS1D_jS1E_S1E_jjS1G_bEUljE0_EEESZ_S10_S11_S18_S1C_S1E_T6_T7_T9_mT8_S1G_bDpT10_ENKUlT_T0_E_clISt17integral_constantIbLb0EES1T_IbLb1EEEEDaS1P_S1Q_EUlS1P_E_NS1_11comp_targetILNS1_3genE4ELNS1_11target_archE910ELNS1_3gpuE8ELNS1_3repE0EEENS1_30default_config_static_selectorELNS0_4arch9wavefront6targetE0EEEvS12_
	.p2align	8
	.type	_ZN7rocprim17ROCPRIM_400000_NS6detail17trampoline_kernelINS0_13select_configILj256ELj13ELNS0_17block_load_methodE3ELS4_3ELS4_3ELNS0_20block_scan_algorithmE0ELj4294967295EEENS1_25partition_config_selectorILNS1_17partition_subalgoE4EjNS0_10empty_typeEbEEZZNS1_14partition_implILS8_4ELb0ES6_15HIP_vector_typeIjLj2EENS0_17counting_iteratorIjlEEPS9_SG_NS0_5tupleIJPjSI_NS0_16reverse_iteratorISI_EEEEENSH_IJSG_SG_SG_EEES9_SI_JZNS1_25segmented_radix_sort_implINS0_14default_configELb1EPKaPaPKlPlN2at6native12_GLOBAL__N_18offset_tEEE10hipError_tPvRmT1_PNSt15iterator_traitsIS12_E10value_typeET2_T3_PNS13_IS18_E10value_typeET4_jRbjT5_S1E_jjP12ihipStream_tbEUljE_ZNSN_ISO_Lb1ESQ_SR_ST_SU_SY_EESZ_S10_S11_S12_S16_S17_S18_S1B_S1C_jS1D_jS1E_S1E_jjS1G_bEUljE0_EEESZ_S10_S11_S18_S1C_S1E_T6_T7_T9_mT8_S1G_bDpT10_ENKUlT_T0_E_clISt17integral_constantIbLb0EES1T_IbLb1EEEEDaS1P_S1Q_EUlS1P_E_NS1_11comp_targetILNS1_3genE4ELNS1_11target_archE910ELNS1_3gpuE8ELNS1_3repE0EEENS1_30default_config_static_selectorELNS0_4arch9wavefront6targetE0EEEvS12_,@function
_ZN7rocprim17ROCPRIM_400000_NS6detail17trampoline_kernelINS0_13select_configILj256ELj13ELNS0_17block_load_methodE3ELS4_3ELS4_3ELNS0_20block_scan_algorithmE0ELj4294967295EEENS1_25partition_config_selectorILNS1_17partition_subalgoE4EjNS0_10empty_typeEbEEZZNS1_14partition_implILS8_4ELb0ES6_15HIP_vector_typeIjLj2EENS0_17counting_iteratorIjlEEPS9_SG_NS0_5tupleIJPjSI_NS0_16reverse_iteratorISI_EEEEENSH_IJSG_SG_SG_EEES9_SI_JZNS1_25segmented_radix_sort_implINS0_14default_configELb1EPKaPaPKlPlN2at6native12_GLOBAL__N_18offset_tEEE10hipError_tPvRmT1_PNSt15iterator_traitsIS12_E10value_typeET2_T3_PNS13_IS18_E10value_typeET4_jRbjT5_S1E_jjP12ihipStream_tbEUljE_ZNSN_ISO_Lb1ESQ_SR_ST_SU_SY_EESZ_S10_S11_S12_S16_S17_S18_S1B_S1C_jS1D_jS1E_S1E_jjS1G_bEUljE0_EEESZ_S10_S11_S18_S1C_S1E_T6_T7_T9_mT8_S1G_bDpT10_ENKUlT_T0_E_clISt17integral_constantIbLb0EES1T_IbLb1EEEEDaS1P_S1Q_EUlS1P_E_NS1_11comp_targetILNS1_3genE4ELNS1_11target_archE910ELNS1_3gpuE8ELNS1_3repE0EEENS1_30default_config_static_selectorELNS0_4arch9wavefront6targetE0EEEvS12_: ; @_ZN7rocprim17ROCPRIM_400000_NS6detail17trampoline_kernelINS0_13select_configILj256ELj13ELNS0_17block_load_methodE3ELS4_3ELS4_3ELNS0_20block_scan_algorithmE0ELj4294967295EEENS1_25partition_config_selectorILNS1_17partition_subalgoE4EjNS0_10empty_typeEbEEZZNS1_14partition_implILS8_4ELb0ES6_15HIP_vector_typeIjLj2EENS0_17counting_iteratorIjlEEPS9_SG_NS0_5tupleIJPjSI_NS0_16reverse_iteratorISI_EEEEENSH_IJSG_SG_SG_EEES9_SI_JZNS1_25segmented_radix_sort_implINS0_14default_configELb1EPKaPaPKlPlN2at6native12_GLOBAL__N_18offset_tEEE10hipError_tPvRmT1_PNSt15iterator_traitsIS12_E10value_typeET2_T3_PNS13_IS18_E10value_typeET4_jRbjT5_S1E_jjP12ihipStream_tbEUljE_ZNSN_ISO_Lb1ESQ_SR_ST_SU_SY_EESZ_S10_S11_S12_S16_S17_S18_S1B_S1C_jS1D_jS1E_S1E_jjS1G_bEUljE0_EEESZ_S10_S11_S18_S1C_S1E_T6_T7_T9_mT8_S1G_bDpT10_ENKUlT_T0_E_clISt17integral_constantIbLb0EES1T_IbLb1EEEEDaS1P_S1Q_EUlS1P_E_NS1_11comp_targetILNS1_3genE4ELNS1_11target_archE910ELNS1_3gpuE8ELNS1_3repE0EEENS1_30default_config_static_selectorELNS0_4arch9wavefront6targetE0EEEvS12_
; %bb.0:
	.section	.rodata,"a",@progbits
	.p2align	6, 0x0
	.amdhsa_kernel _ZN7rocprim17ROCPRIM_400000_NS6detail17trampoline_kernelINS0_13select_configILj256ELj13ELNS0_17block_load_methodE3ELS4_3ELS4_3ELNS0_20block_scan_algorithmE0ELj4294967295EEENS1_25partition_config_selectorILNS1_17partition_subalgoE4EjNS0_10empty_typeEbEEZZNS1_14partition_implILS8_4ELb0ES6_15HIP_vector_typeIjLj2EENS0_17counting_iteratorIjlEEPS9_SG_NS0_5tupleIJPjSI_NS0_16reverse_iteratorISI_EEEEENSH_IJSG_SG_SG_EEES9_SI_JZNS1_25segmented_radix_sort_implINS0_14default_configELb1EPKaPaPKlPlN2at6native12_GLOBAL__N_18offset_tEEE10hipError_tPvRmT1_PNSt15iterator_traitsIS12_E10value_typeET2_T3_PNS13_IS18_E10value_typeET4_jRbjT5_S1E_jjP12ihipStream_tbEUljE_ZNSN_ISO_Lb1ESQ_SR_ST_SU_SY_EESZ_S10_S11_S12_S16_S17_S18_S1B_S1C_jS1D_jS1E_S1E_jjS1G_bEUljE0_EEESZ_S10_S11_S18_S1C_S1E_T6_T7_T9_mT8_S1G_bDpT10_ENKUlT_T0_E_clISt17integral_constantIbLb0EES1T_IbLb1EEEEDaS1P_S1Q_EUlS1P_E_NS1_11comp_targetILNS1_3genE4ELNS1_11target_archE910ELNS1_3gpuE8ELNS1_3repE0EEENS1_30default_config_static_selectorELNS0_4arch9wavefront6targetE0EEEvS12_
		.amdhsa_group_segment_fixed_size 0
		.amdhsa_private_segment_fixed_size 0
		.amdhsa_kernarg_size 184
		.amdhsa_user_sgpr_count 6
		.amdhsa_user_sgpr_private_segment_buffer 1
		.amdhsa_user_sgpr_dispatch_ptr 0
		.amdhsa_user_sgpr_queue_ptr 0
		.amdhsa_user_sgpr_kernarg_segment_ptr 1
		.amdhsa_user_sgpr_dispatch_id 0
		.amdhsa_user_sgpr_flat_scratch_init 0
		.amdhsa_user_sgpr_private_segment_size 0
		.amdhsa_wavefront_size32 1
		.amdhsa_uses_dynamic_stack 0
		.amdhsa_system_sgpr_private_segment_wavefront_offset 0
		.amdhsa_system_sgpr_workgroup_id_x 1
		.amdhsa_system_sgpr_workgroup_id_y 0
		.amdhsa_system_sgpr_workgroup_id_z 0
		.amdhsa_system_sgpr_workgroup_info 0
		.amdhsa_system_vgpr_workitem_id 0
		.amdhsa_next_free_vgpr 1
		.amdhsa_next_free_sgpr 1
		.amdhsa_reserve_vcc 0
		.amdhsa_reserve_flat_scratch 0
		.amdhsa_float_round_mode_32 0
		.amdhsa_float_round_mode_16_64 0
		.amdhsa_float_denorm_mode_32 3
		.amdhsa_float_denorm_mode_16_64 3
		.amdhsa_dx10_clamp 1
		.amdhsa_ieee_mode 1
		.amdhsa_fp16_overflow 0
		.amdhsa_workgroup_processor_mode 1
		.amdhsa_memory_ordered 1
		.amdhsa_forward_progress 1
		.amdhsa_shared_vgpr_count 0
		.amdhsa_exception_fp_ieee_invalid_op 0
		.amdhsa_exception_fp_denorm_src 0
		.amdhsa_exception_fp_ieee_div_zero 0
		.amdhsa_exception_fp_ieee_overflow 0
		.amdhsa_exception_fp_ieee_underflow 0
		.amdhsa_exception_fp_ieee_inexact 0
		.amdhsa_exception_int_div_zero 0
	.end_amdhsa_kernel
	.section	.text._ZN7rocprim17ROCPRIM_400000_NS6detail17trampoline_kernelINS0_13select_configILj256ELj13ELNS0_17block_load_methodE3ELS4_3ELS4_3ELNS0_20block_scan_algorithmE0ELj4294967295EEENS1_25partition_config_selectorILNS1_17partition_subalgoE4EjNS0_10empty_typeEbEEZZNS1_14partition_implILS8_4ELb0ES6_15HIP_vector_typeIjLj2EENS0_17counting_iteratorIjlEEPS9_SG_NS0_5tupleIJPjSI_NS0_16reverse_iteratorISI_EEEEENSH_IJSG_SG_SG_EEES9_SI_JZNS1_25segmented_radix_sort_implINS0_14default_configELb1EPKaPaPKlPlN2at6native12_GLOBAL__N_18offset_tEEE10hipError_tPvRmT1_PNSt15iterator_traitsIS12_E10value_typeET2_T3_PNS13_IS18_E10value_typeET4_jRbjT5_S1E_jjP12ihipStream_tbEUljE_ZNSN_ISO_Lb1ESQ_SR_ST_SU_SY_EESZ_S10_S11_S12_S16_S17_S18_S1B_S1C_jS1D_jS1E_S1E_jjS1G_bEUljE0_EEESZ_S10_S11_S18_S1C_S1E_T6_T7_T9_mT8_S1G_bDpT10_ENKUlT_T0_E_clISt17integral_constantIbLb0EES1T_IbLb1EEEEDaS1P_S1Q_EUlS1P_E_NS1_11comp_targetILNS1_3genE4ELNS1_11target_archE910ELNS1_3gpuE8ELNS1_3repE0EEENS1_30default_config_static_selectorELNS0_4arch9wavefront6targetE0EEEvS12_,"axG",@progbits,_ZN7rocprim17ROCPRIM_400000_NS6detail17trampoline_kernelINS0_13select_configILj256ELj13ELNS0_17block_load_methodE3ELS4_3ELS4_3ELNS0_20block_scan_algorithmE0ELj4294967295EEENS1_25partition_config_selectorILNS1_17partition_subalgoE4EjNS0_10empty_typeEbEEZZNS1_14partition_implILS8_4ELb0ES6_15HIP_vector_typeIjLj2EENS0_17counting_iteratorIjlEEPS9_SG_NS0_5tupleIJPjSI_NS0_16reverse_iteratorISI_EEEEENSH_IJSG_SG_SG_EEES9_SI_JZNS1_25segmented_radix_sort_implINS0_14default_configELb1EPKaPaPKlPlN2at6native12_GLOBAL__N_18offset_tEEE10hipError_tPvRmT1_PNSt15iterator_traitsIS12_E10value_typeET2_T3_PNS13_IS18_E10value_typeET4_jRbjT5_S1E_jjP12ihipStream_tbEUljE_ZNSN_ISO_Lb1ESQ_SR_ST_SU_SY_EESZ_S10_S11_S12_S16_S17_S18_S1B_S1C_jS1D_jS1E_S1E_jjS1G_bEUljE0_EEESZ_S10_S11_S18_S1C_S1E_T6_T7_T9_mT8_S1G_bDpT10_ENKUlT_T0_E_clISt17integral_constantIbLb0EES1T_IbLb1EEEEDaS1P_S1Q_EUlS1P_E_NS1_11comp_targetILNS1_3genE4ELNS1_11target_archE910ELNS1_3gpuE8ELNS1_3repE0EEENS1_30default_config_static_selectorELNS0_4arch9wavefront6targetE0EEEvS12_,comdat
.Lfunc_end250:
	.size	_ZN7rocprim17ROCPRIM_400000_NS6detail17trampoline_kernelINS0_13select_configILj256ELj13ELNS0_17block_load_methodE3ELS4_3ELS4_3ELNS0_20block_scan_algorithmE0ELj4294967295EEENS1_25partition_config_selectorILNS1_17partition_subalgoE4EjNS0_10empty_typeEbEEZZNS1_14partition_implILS8_4ELb0ES6_15HIP_vector_typeIjLj2EENS0_17counting_iteratorIjlEEPS9_SG_NS0_5tupleIJPjSI_NS0_16reverse_iteratorISI_EEEEENSH_IJSG_SG_SG_EEES9_SI_JZNS1_25segmented_radix_sort_implINS0_14default_configELb1EPKaPaPKlPlN2at6native12_GLOBAL__N_18offset_tEEE10hipError_tPvRmT1_PNSt15iterator_traitsIS12_E10value_typeET2_T3_PNS13_IS18_E10value_typeET4_jRbjT5_S1E_jjP12ihipStream_tbEUljE_ZNSN_ISO_Lb1ESQ_SR_ST_SU_SY_EESZ_S10_S11_S12_S16_S17_S18_S1B_S1C_jS1D_jS1E_S1E_jjS1G_bEUljE0_EEESZ_S10_S11_S18_S1C_S1E_T6_T7_T9_mT8_S1G_bDpT10_ENKUlT_T0_E_clISt17integral_constantIbLb0EES1T_IbLb1EEEEDaS1P_S1Q_EUlS1P_E_NS1_11comp_targetILNS1_3genE4ELNS1_11target_archE910ELNS1_3gpuE8ELNS1_3repE0EEENS1_30default_config_static_selectorELNS0_4arch9wavefront6targetE0EEEvS12_, .Lfunc_end250-_ZN7rocprim17ROCPRIM_400000_NS6detail17trampoline_kernelINS0_13select_configILj256ELj13ELNS0_17block_load_methodE3ELS4_3ELS4_3ELNS0_20block_scan_algorithmE0ELj4294967295EEENS1_25partition_config_selectorILNS1_17partition_subalgoE4EjNS0_10empty_typeEbEEZZNS1_14partition_implILS8_4ELb0ES6_15HIP_vector_typeIjLj2EENS0_17counting_iteratorIjlEEPS9_SG_NS0_5tupleIJPjSI_NS0_16reverse_iteratorISI_EEEEENSH_IJSG_SG_SG_EEES9_SI_JZNS1_25segmented_radix_sort_implINS0_14default_configELb1EPKaPaPKlPlN2at6native12_GLOBAL__N_18offset_tEEE10hipError_tPvRmT1_PNSt15iterator_traitsIS12_E10value_typeET2_T3_PNS13_IS18_E10value_typeET4_jRbjT5_S1E_jjP12ihipStream_tbEUljE_ZNSN_ISO_Lb1ESQ_SR_ST_SU_SY_EESZ_S10_S11_S12_S16_S17_S18_S1B_S1C_jS1D_jS1E_S1E_jjS1G_bEUljE0_EEESZ_S10_S11_S18_S1C_S1E_T6_T7_T9_mT8_S1G_bDpT10_ENKUlT_T0_E_clISt17integral_constantIbLb0EES1T_IbLb1EEEEDaS1P_S1Q_EUlS1P_E_NS1_11comp_targetILNS1_3genE4ELNS1_11target_archE910ELNS1_3gpuE8ELNS1_3repE0EEENS1_30default_config_static_selectorELNS0_4arch9wavefront6targetE0EEEvS12_
                                        ; -- End function
	.set _ZN7rocprim17ROCPRIM_400000_NS6detail17trampoline_kernelINS0_13select_configILj256ELj13ELNS0_17block_load_methodE3ELS4_3ELS4_3ELNS0_20block_scan_algorithmE0ELj4294967295EEENS1_25partition_config_selectorILNS1_17partition_subalgoE4EjNS0_10empty_typeEbEEZZNS1_14partition_implILS8_4ELb0ES6_15HIP_vector_typeIjLj2EENS0_17counting_iteratorIjlEEPS9_SG_NS0_5tupleIJPjSI_NS0_16reverse_iteratorISI_EEEEENSH_IJSG_SG_SG_EEES9_SI_JZNS1_25segmented_radix_sort_implINS0_14default_configELb1EPKaPaPKlPlN2at6native12_GLOBAL__N_18offset_tEEE10hipError_tPvRmT1_PNSt15iterator_traitsIS12_E10value_typeET2_T3_PNS13_IS18_E10value_typeET4_jRbjT5_S1E_jjP12ihipStream_tbEUljE_ZNSN_ISO_Lb1ESQ_SR_ST_SU_SY_EESZ_S10_S11_S12_S16_S17_S18_S1B_S1C_jS1D_jS1E_S1E_jjS1G_bEUljE0_EEESZ_S10_S11_S18_S1C_S1E_T6_T7_T9_mT8_S1G_bDpT10_ENKUlT_T0_E_clISt17integral_constantIbLb0EES1T_IbLb1EEEEDaS1P_S1Q_EUlS1P_E_NS1_11comp_targetILNS1_3genE4ELNS1_11target_archE910ELNS1_3gpuE8ELNS1_3repE0EEENS1_30default_config_static_selectorELNS0_4arch9wavefront6targetE0EEEvS12_.num_vgpr, 0
	.set _ZN7rocprim17ROCPRIM_400000_NS6detail17trampoline_kernelINS0_13select_configILj256ELj13ELNS0_17block_load_methodE3ELS4_3ELS4_3ELNS0_20block_scan_algorithmE0ELj4294967295EEENS1_25partition_config_selectorILNS1_17partition_subalgoE4EjNS0_10empty_typeEbEEZZNS1_14partition_implILS8_4ELb0ES6_15HIP_vector_typeIjLj2EENS0_17counting_iteratorIjlEEPS9_SG_NS0_5tupleIJPjSI_NS0_16reverse_iteratorISI_EEEEENSH_IJSG_SG_SG_EEES9_SI_JZNS1_25segmented_radix_sort_implINS0_14default_configELb1EPKaPaPKlPlN2at6native12_GLOBAL__N_18offset_tEEE10hipError_tPvRmT1_PNSt15iterator_traitsIS12_E10value_typeET2_T3_PNS13_IS18_E10value_typeET4_jRbjT5_S1E_jjP12ihipStream_tbEUljE_ZNSN_ISO_Lb1ESQ_SR_ST_SU_SY_EESZ_S10_S11_S12_S16_S17_S18_S1B_S1C_jS1D_jS1E_S1E_jjS1G_bEUljE0_EEESZ_S10_S11_S18_S1C_S1E_T6_T7_T9_mT8_S1G_bDpT10_ENKUlT_T0_E_clISt17integral_constantIbLb0EES1T_IbLb1EEEEDaS1P_S1Q_EUlS1P_E_NS1_11comp_targetILNS1_3genE4ELNS1_11target_archE910ELNS1_3gpuE8ELNS1_3repE0EEENS1_30default_config_static_selectorELNS0_4arch9wavefront6targetE0EEEvS12_.num_agpr, 0
	.set _ZN7rocprim17ROCPRIM_400000_NS6detail17trampoline_kernelINS0_13select_configILj256ELj13ELNS0_17block_load_methodE3ELS4_3ELS4_3ELNS0_20block_scan_algorithmE0ELj4294967295EEENS1_25partition_config_selectorILNS1_17partition_subalgoE4EjNS0_10empty_typeEbEEZZNS1_14partition_implILS8_4ELb0ES6_15HIP_vector_typeIjLj2EENS0_17counting_iteratorIjlEEPS9_SG_NS0_5tupleIJPjSI_NS0_16reverse_iteratorISI_EEEEENSH_IJSG_SG_SG_EEES9_SI_JZNS1_25segmented_radix_sort_implINS0_14default_configELb1EPKaPaPKlPlN2at6native12_GLOBAL__N_18offset_tEEE10hipError_tPvRmT1_PNSt15iterator_traitsIS12_E10value_typeET2_T3_PNS13_IS18_E10value_typeET4_jRbjT5_S1E_jjP12ihipStream_tbEUljE_ZNSN_ISO_Lb1ESQ_SR_ST_SU_SY_EESZ_S10_S11_S12_S16_S17_S18_S1B_S1C_jS1D_jS1E_S1E_jjS1G_bEUljE0_EEESZ_S10_S11_S18_S1C_S1E_T6_T7_T9_mT8_S1G_bDpT10_ENKUlT_T0_E_clISt17integral_constantIbLb0EES1T_IbLb1EEEEDaS1P_S1Q_EUlS1P_E_NS1_11comp_targetILNS1_3genE4ELNS1_11target_archE910ELNS1_3gpuE8ELNS1_3repE0EEENS1_30default_config_static_selectorELNS0_4arch9wavefront6targetE0EEEvS12_.numbered_sgpr, 0
	.set _ZN7rocprim17ROCPRIM_400000_NS6detail17trampoline_kernelINS0_13select_configILj256ELj13ELNS0_17block_load_methodE3ELS4_3ELS4_3ELNS0_20block_scan_algorithmE0ELj4294967295EEENS1_25partition_config_selectorILNS1_17partition_subalgoE4EjNS0_10empty_typeEbEEZZNS1_14partition_implILS8_4ELb0ES6_15HIP_vector_typeIjLj2EENS0_17counting_iteratorIjlEEPS9_SG_NS0_5tupleIJPjSI_NS0_16reverse_iteratorISI_EEEEENSH_IJSG_SG_SG_EEES9_SI_JZNS1_25segmented_radix_sort_implINS0_14default_configELb1EPKaPaPKlPlN2at6native12_GLOBAL__N_18offset_tEEE10hipError_tPvRmT1_PNSt15iterator_traitsIS12_E10value_typeET2_T3_PNS13_IS18_E10value_typeET4_jRbjT5_S1E_jjP12ihipStream_tbEUljE_ZNSN_ISO_Lb1ESQ_SR_ST_SU_SY_EESZ_S10_S11_S12_S16_S17_S18_S1B_S1C_jS1D_jS1E_S1E_jjS1G_bEUljE0_EEESZ_S10_S11_S18_S1C_S1E_T6_T7_T9_mT8_S1G_bDpT10_ENKUlT_T0_E_clISt17integral_constantIbLb0EES1T_IbLb1EEEEDaS1P_S1Q_EUlS1P_E_NS1_11comp_targetILNS1_3genE4ELNS1_11target_archE910ELNS1_3gpuE8ELNS1_3repE0EEENS1_30default_config_static_selectorELNS0_4arch9wavefront6targetE0EEEvS12_.num_named_barrier, 0
	.set _ZN7rocprim17ROCPRIM_400000_NS6detail17trampoline_kernelINS0_13select_configILj256ELj13ELNS0_17block_load_methodE3ELS4_3ELS4_3ELNS0_20block_scan_algorithmE0ELj4294967295EEENS1_25partition_config_selectorILNS1_17partition_subalgoE4EjNS0_10empty_typeEbEEZZNS1_14partition_implILS8_4ELb0ES6_15HIP_vector_typeIjLj2EENS0_17counting_iteratorIjlEEPS9_SG_NS0_5tupleIJPjSI_NS0_16reverse_iteratorISI_EEEEENSH_IJSG_SG_SG_EEES9_SI_JZNS1_25segmented_radix_sort_implINS0_14default_configELb1EPKaPaPKlPlN2at6native12_GLOBAL__N_18offset_tEEE10hipError_tPvRmT1_PNSt15iterator_traitsIS12_E10value_typeET2_T3_PNS13_IS18_E10value_typeET4_jRbjT5_S1E_jjP12ihipStream_tbEUljE_ZNSN_ISO_Lb1ESQ_SR_ST_SU_SY_EESZ_S10_S11_S12_S16_S17_S18_S1B_S1C_jS1D_jS1E_S1E_jjS1G_bEUljE0_EEESZ_S10_S11_S18_S1C_S1E_T6_T7_T9_mT8_S1G_bDpT10_ENKUlT_T0_E_clISt17integral_constantIbLb0EES1T_IbLb1EEEEDaS1P_S1Q_EUlS1P_E_NS1_11comp_targetILNS1_3genE4ELNS1_11target_archE910ELNS1_3gpuE8ELNS1_3repE0EEENS1_30default_config_static_selectorELNS0_4arch9wavefront6targetE0EEEvS12_.private_seg_size, 0
	.set _ZN7rocprim17ROCPRIM_400000_NS6detail17trampoline_kernelINS0_13select_configILj256ELj13ELNS0_17block_load_methodE3ELS4_3ELS4_3ELNS0_20block_scan_algorithmE0ELj4294967295EEENS1_25partition_config_selectorILNS1_17partition_subalgoE4EjNS0_10empty_typeEbEEZZNS1_14partition_implILS8_4ELb0ES6_15HIP_vector_typeIjLj2EENS0_17counting_iteratorIjlEEPS9_SG_NS0_5tupleIJPjSI_NS0_16reverse_iteratorISI_EEEEENSH_IJSG_SG_SG_EEES9_SI_JZNS1_25segmented_radix_sort_implINS0_14default_configELb1EPKaPaPKlPlN2at6native12_GLOBAL__N_18offset_tEEE10hipError_tPvRmT1_PNSt15iterator_traitsIS12_E10value_typeET2_T3_PNS13_IS18_E10value_typeET4_jRbjT5_S1E_jjP12ihipStream_tbEUljE_ZNSN_ISO_Lb1ESQ_SR_ST_SU_SY_EESZ_S10_S11_S12_S16_S17_S18_S1B_S1C_jS1D_jS1E_S1E_jjS1G_bEUljE0_EEESZ_S10_S11_S18_S1C_S1E_T6_T7_T9_mT8_S1G_bDpT10_ENKUlT_T0_E_clISt17integral_constantIbLb0EES1T_IbLb1EEEEDaS1P_S1Q_EUlS1P_E_NS1_11comp_targetILNS1_3genE4ELNS1_11target_archE910ELNS1_3gpuE8ELNS1_3repE0EEENS1_30default_config_static_selectorELNS0_4arch9wavefront6targetE0EEEvS12_.uses_vcc, 0
	.set _ZN7rocprim17ROCPRIM_400000_NS6detail17trampoline_kernelINS0_13select_configILj256ELj13ELNS0_17block_load_methodE3ELS4_3ELS4_3ELNS0_20block_scan_algorithmE0ELj4294967295EEENS1_25partition_config_selectorILNS1_17partition_subalgoE4EjNS0_10empty_typeEbEEZZNS1_14partition_implILS8_4ELb0ES6_15HIP_vector_typeIjLj2EENS0_17counting_iteratorIjlEEPS9_SG_NS0_5tupleIJPjSI_NS0_16reverse_iteratorISI_EEEEENSH_IJSG_SG_SG_EEES9_SI_JZNS1_25segmented_radix_sort_implINS0_14default_configELb1EPKaPaPKlPlN2at6native12_GLOBAL__N_18offset_tEEE10hipError_tPvRmT1_PNSt15iterator_traitsIS12_E10value_typeET2_T3_PNS13_IS18_E10value_typeET4_jRbjT5_S1E_jjP12ihipStream_tbEUljE_ZNSN_ISO_Lb1ESQ_SR_ST_SU_SY_EESZ_S10_S11_S12_S16_S17_S18_S1B_S1C_jS1D_jS1E_S1E_jjS1G_bEUljE0_EEESZ_S10_S11_S18_S1C_S1E_T6_T7_T9_mT8_S1G_bDpT10_ENKUlT_T0_E_clISt17integral_constantIbLb0EES1T_IbLb1EEEEDaS1P_S1Q_EUlS1P_E_NS1_11comp_targetILNS1_3genE4ELNS1_11target_archE910ELNS1_3gpuE8ELNS1_3repE0EEENS1_30default_config_static_selectorELNS0_4arch9wavefront6targetE0EEEvS12_.uses_flat_scratch, 0
	.set _ZN7rocprim17ROCPRIM_400000_NS6detail17trampoline_kernelINS0_13select_configILj256ELj13ELNS0_17block_load_methodE3ELS4_3ELS4_3ELNS0_20block_scan_algorithmE0ELj4294967295EEENS1_25partition_config_selectorILNS1_17partition_subalgoE4EjNS0_10empty_typeEbEEZZNS1_14partition_implILS8_4ELb0ES6_15HIP_vector_typeIjLj2EENS0_17counting_iteratorIjlEEPS9_SG_NS0_5tupleIJPjSI_NS0_16reverse_iteratorISI_EEEEENSH_IJSG_SG_SG_EEES9_SI_JZNS1_25segmented_radix_sort_implINS0_14default_configELb1EPKaPaPKlPlN2at6native12_GLOBAL__N_18offset_tEEE10hipError_tPvRmT1_PNSt15iterator_traitsIS12_E10value_typeET2_T3_PNS13_IS18_E10value_typeET4_jRbjT5_S1E_jjP12ihipStream_tbEUljE_ZNSN_ISO_Lb1ESQ_SR_ST_SU_SY_EESZ_S10_S11_S12_S16_S17_S18_S1B_S1C_jS1D_jS1E_S1E_jjS1G_bEUljE0_EEESZ_S10_S11_S18_S1C_S1E_T6_T7_T9_mT8_S1G_bDpT10_ENKUlT_T0_E_clISt17integral_constantIbLb0EES1T_IbLb1EEEEDaS1P_S1Q_EUlS1P_E_NS1_11comp_targetILNS1_3genE4ELNS1_11target_archE910ELNS1_3gpuE8ELNS1_3repE0EEENS1_30default_config_static_selectorELNS0_4arch9wavefront6targetE0EEEvS12_.has_dyn_sized_stack, 0
	.set _ZN7rocprim17ROCPRIM_400000_NS6detail17trampoline_kernelINS0_13select_configILj256ELj13ELNS0_17block_load_methodE3ELS4_3ELS4_3ELNS0_20block_scan_algorithmE0ELj4294967295EEENS1_25partition_config_selectorILNS1_17partition_subalgoE4EjNS0_10empty_typeEbEEZZNS1_14partition_implILS8_4ELb0ES6_15HIP_vector_typeIjLj2EENS0_17counting_iteratorIjlEEPS9_SG_NS0_5tupleIJPjSI_NS0_16reverse_iteratorISI_EEEEENSH_IJSG_SG_SG_EEES9_SI_JZNS1_25segmented_radix_sort_implINS0_14default_configELb1EPKaPaPKlPlN2at6native12_GLOBAL__N_18offset_tEEE10hipError_tPvRmT1_PNSt15iterator_traitsIS12_E10value_typeET2_T3_PNS13_IS18_E10value_typeET4_jRbjT5_S1E_jjP12ihipStream_tbEUljE_ZNSN_ISO_Lb1ESQ_SR_ST_SU_SY_EESZ_S10_S11_S12_S16_S17_S18_S1B_S1C_jS1D_jS1E_S1E_jjS1G_bEUljE0_EEESZ_S10_S11_S18_S1C_S1E_T6_T7_T9_mT8_S1G_bDpT10_ENKUlT_T0_E_clISt17integral_constantIbLb0EES1T_IbLb1EEEEDaS1P_S1Q_EUlS1P_E_NS1_11comp_targetILNS1_3genE4ELNS1_11target_archE910ELNS1_3gpuE8ELNS1_3repE0EEENS1_30default_config_static_selectorELNS0_4arch9wavefront6targetE0EEEvS12_.has_recursion, 0
	.set _ZN7rocprim17ROCPRIM_400000_NS6detail17trampoline_kernelINS0_13select_configILj256ELj13ELNS0_17block_load_methodE3ELS4_3ELS4_3ELNS0_20block_scan_algorithmE0ELj4294967295EEENS1_25partition_config_selectorILNS1_17partition_subalgoE4EjNS0_10empty_typeEbEEZZNS1_14partition_implILS8_4ELb0ES6_15HIP_vector_typeIjLj2EENS0_17counting_iteratorIjlEEPS9_SG_NS0_5tupleIJPjSI_NS0_16reverse_iteratorISI_EEEEENSH_IJSG_SG_SG_EEES9_SI_JZNS1_25segmented_radix_sort_implINS0_14default_configELb1EPKaPaPKlPlN2at6native12_GLOBAL__N_18offset_tEEE10hipError_tPvRmT1_PNSt15iterator_traitsIS12_E10value_typeET2_T3_PNS13_IS18_E10value_typeET4_jRbjT5_S1E_jjP12ihipStream_tbEUljE_ZNSN_ISO_Lb1ESQ_SR_ST_SU_SY_EESZ_S10_S11_S12_S16_S17_S18_S1B_S1C_jS1D_jS1E_S1E_jjS1G_bEUljE0_EEESZ_S10_S11_S18_S1C_S1E_T6_T7_T9_mT8_S1G_bDpT10_ENKUlT_T0_E_clISt17integral_constantIbLb0EES1T_IbLb1EEEEDaS1P_S1Q_EUlS1P_E_NS1_11comp_targetILNS1_3genE4ELNS1_11target_archE910ELNS1_3gpuE8ELNS1_3repE0EEENS1_30default_config_static_selectorELNS0_4arch9wavefront6targetE0EEEvS12_.has_indirect_call, 0
	.section	.AMDGPU.csdata,"",@progbits
; Kernel info:
; codeLenInByte = 0
; TotalNumSgprs: 0
; NumVgprs: 0
; ScratchSize: 0
; MemoryBound: 0
; FloatMode: 240
; IeeeMode: 1
; LDSByteSize: 0 bytes/workgroup (compile time only)
; SGPRBlocks: 0
; VGPRBlocks: 0
; NumSGPRsForWavesPerEU: 1
; NumVGPRsForWavesPerEU: 1
; Occupancy: 16
; WaveLimiterHint : 0
; COMPUTE_PGM_RSRC2:SCRATCH_EN: 0
; COMPUTE_PGM_RSRC2:USER_SGPR: 6
; COMPUTE_PGM_RSRC2:TRAP_HANDLER: 0
; COMPUTE_PGM_RSRC2:TGID_X_EN: 1
; COMPUTE_PGM_RSRC2:TGID_Y_EN: 0
; COMPUTE_PGM_RSRC2:TGID_Z_EN: 0
; COMPUTE_PGM_RSRC2:TIDIG_COMP_CNT: 0
	.section	.text._ZN7rocprim17ROCPRIM_400000_NS6detail17trampoline_kernelINS0_13select_configILj256ELj13ELNS0_17block_load_methodE3ELS4_3ELS4_3ELNS0_20block_scan_algorithmE0ELj4294967295EEENS1_25partition_config_selectorILNS1_17partition_subalgoE4EjNS0_10empty_typeEbEEZZNS1_14partition_implILS8_4ELb0ES6_15HIP_vector_typeIjLj2EENS0_17counting_iteratorIjlEEPS9_SG_NS0_5tupleIJPjSI_NS0_16reverse_iteratorISI_EEEEENSH_IJSG_SG_SG_EEES9_SI_JZNS1_25segmented_radix_sort_implINS0_14default_configELb1EPKaPaPKlPlN2at6native12_GLOBAL__N_18offset_tEEE10hipError_tPvRmT1_PNSt15iterator_traitsIS12_E10value_typeET2_T3_PNS13_IS18_E10value_typeET4_jRbjT5_S1E_jjP12ihipStream_tbEUljE_ZNSN_ISO_Lb1ESQ_SR_ST_SU_SY_EESZ_S10_S11_S12_S16_S17_S18_S1B_S1C_jS1D_jS1E_S1E_jjS1G_bEUljE0_EEESZ_S10_S11_S18_S1C_S1E_T6_T7_T9_mT8_S1G_bDpT10_ENKUlT_T0_E_clISt17integral_constantIbLb0EES1T_IbLb1EEEEDaS1P_S1Q_EUlS1P_E_NS1_11comp_targetILNS1_3genE3ELNS1_11target_archE908ELNS1_3gpuE7ELNS1_3repE0EEENS1_30default_config_static_selectorELNS0_4arch9wavefront6targetE0EEEvS12_,"axG",@progbits,_ZN7rocprim17ROCPRIM_400000_NS6detail17trampoline_kernelINS0_13select_configILj256ELj13ELNS0_17block_load_methodE3ELS4_3ELS4_3ELNS0_20block_scan_algorithmE0ELj4294967295EEENS1_25partition_config_selectorILNS1_17partition_subalgoE4EjNS0_10empty_typeEbEEZZNS1_14partition_implILS8_4ELb0ES6_15HIP_vector_typeIjLj2EENS0_17counting_iteratorIjlEEPS9_SG_NS0_5tupleIJPjSI_NS0_16reverse_iteratorISI_EEEEENSH_IJSG_SG_SG_EEES9_SI_JZNS1_25segmented_radix_sort_implINS0_14default_configELb1EPKaPaPKlPlN2at6native12_GLOBAL__N_18offset_tEEE10hipError_tPvRmT1_PNSt15iterator_traitsIS12_E10value_typeET2_T3_PNS13_IS18_E10value_typeET4_jRbjT5_S1E_jjP12ihipStream_tbEUljE_ZNSN_ISO_Lb1ESQ_SR_ST_SU_SY_EESZ_S10_S11_S12_S16_S17_S18_S1B_S1C_jS1D_jS1E_S1E_jjS1G_bEUljE0_EEESZ_S10_S11_S18_S1C_S1E_T6_T7_T9_mT8_S1G_bDpT10_ENKUlT_T0_E_clISt17integral_constantIbLb0EES1T_IbLb1EEEEDaS1P_S1Q_EUlS1P_E_NS1_11comp_targetILNS1_3genE3ELNS1_11target_archE908ELNS1_3gpuE7ELNS1_3repE0EEENS1_30default_config_static_selectorELNS0_4arch9wavefront6targetE0EEEvS12_,comdat
	.globl	_ZN7rocprim17ROCPRIM_400000_NS6detail17trampoline_kernelINS0_13select_configILj256ELj13ELNS0_17block_load_methodE3ELS4_3ELS4_3ELNS0_20block_scan_algorithmE0ELj4294967295EEENS1_25partition_config_selectorILNS1_17partition_subalgoE4EjNS0_10empty_typeEbEEZZNS1_14partition_implILS8_4ELb0ES6_15HIP_vector_typeIjLj2EENS0_17counting_iteratorIjlEEPS9_SG_NS0_5tupleIJPjSI_NS0_16reverse_iteratorISI_EEEEENSH_IJSG_SG_SG_EEES9_SI_JZNS1_25segmented_radix_sort_implINS0_14default_configELb1EPKaPaPKlPlN2at6native12_GLOBAL__N_18offset_tEEE10hipError_tPvRmT1_PNSt15iterator_traitsIS12_E10value_typeET2_T3_PNS13_IS18_E10value_typeET4_jRbjT5_S1E_jjP12ihipStream_tbEUljE_ZNSN_ISO_Lb1ESQ_SR_ST_SU_SY_EESZ_S10_S11_S12_S16_S17_S18_S1B_S1C_jS1D_jS1E_S1E_jjS1G_bEUljE0_EEESZ_S10_S11_S18_S1C_S1E_T6_T7_T9_mT8_S1G_bDpT10_ENKUlT_T0_E_clISt17integral_constantIbLb0EES1T_IbLb1EEEEDaS1P_S1Q_EUlS1P_E_NS1_11comp_targetILNS1_3genE3ELNS1_11target_archE908ELNS1_3gpuE7ELNS1_3repE0EEENS1_30default_config_static_selectorELNS0_4arch9wavefront6targetE0EEEvS12_ ; -- Begin function _ZN7rocprim17ROCPRIM_400000_NS6detail17trampoline_kernelINS0_13select_configILj256ELj13ELNS0_17block_load_methodE3ELS4_3ELS4_3ELNS0_20block_scan_algorithmE0ELj4294967295EEENS1_25partition_config_selectorILNS1_17partition_subalgoE4EjNS0_10empty_typeEbEEZZNS1_14partition_implILS8_4ELb0ES6_15HIP_vector_typeIjLj2EENS0_17counting_iteratorIjlEEPS9_SG_NS0_5tupleIJPjSI_NS0_16reverse_iteratorISI_EEEEENSH_IJSG_SG_SG_EEES9_SI_JZNS1_25segmented_radix_sort_implINS0_14default_configELb1EPKaPaPKlPlN2at6native12_GLOBAL__N_18offset_tEEE10hipError_tPvRmT1_PNSt15iterator_traitsIS12_E10value_typeET2_T3_PNS13_IS18_E10value_typeET4_jRbjT5_S1E_jjP12ihipStream_tbEUljE_ZNSN_ISO_Lb1ESQ_SR_ST_SU_SY_EESZ_S10_S11_S12_S16_S17_S18_S1B_S1C_jS1D_jS1E_S1E_jjS1G_bEUljE0_EEESZ_S10_S11_S18_S1C_S1E_T6_T7_T9_mT8_S1G_bDpT10_ENKUlT_T0_E_clISt17integral_constantIbLb0EES1T_IbLb1EEEEDaS1P_S1Q_EUlS1P_E_NS1_11comp_targetILNS1_3genE3ELNS1_11target_archE908ELNS1_3gpuE7ELNS1_3repE0EEENS1_30default_config_static_selectorELNS0_4arch9wavefront6targetE0EEEvS12_
	.p2align	8
	.type	_ZN7rocprim17ROCPRIM_400000_NS6detail17trampoline_kernelINS0_13select_configILj256ELj13ELNS0_17block_load_methodE3ELS4_3ELS4_3ELNS0_20block_scan_algorithmE0ELj4294967295EEENS1_25partition_config_selectorILNS1_17partition_subalgoE4EjNS0_10empty_typeEbEEZZNS1_14partition_implILS8_4ELb0ES6_15HIP_vector_typeIjLj2EENS0_17counting_iteratorIjlEEPS9_SG_NS0_5tupleIJPjSI_NS0_16reverse_iteratorISI_EEEEENSH_IJSG_SG_SG_EEES9_SI_JZNS1_25segmented_radix_sort_implINS0_14default_configELb1EPKaPaPKlPlN2at6native12_GLOBAL__N_18offset_tEEE10hipError_tPvRmT1_PNSt15iterator_traitsIS12_E10value_typeET2_T3_PNS13_IS18_E10value_typeET4_jRbjT5_S1E_jjP12ihipStream_tbEUljE_ZNSN_ISO_Lb1ESQ_SR_ST_SU_SY_EESZ_S10_S11_S12_S16_S17_S18_S1B_S1C_jS1D_jS1E_S1E_jjS1G_bEUljE0_EEESZ_S10_S11_S18_S1C_S1E_T6_T7_T9_mT8_S1G_bDpT10_ENKUlT_T0_E_clISt17integral_constantIbLb0EES1T_IbLb1EEEEDaS1P_S1Q_EUlS1P_E_NS1_11comp_targetILNS1_3genE3ELNS1_11target_archE908ELNS1_3gpuE7ELNS1_3repE0EEENS1_30default_config_static_selectorELNS0_4arch9wavefront6targetE0EEEvS12_,@function
_ZN7rocprim17ROCPRIM_400000_NS6detail17trampoline_kernelINS0_13select_configILj256ELj13ELNS0_17block_load_methodE3ELS4_3ELS4_3ELNS0_20block_scan_algorithmE0ELj4294967295EEENS1_25partition_config_selectorILNS1_17partition_subalgoE4EjNS0_10empty_typeEbEEZZNS1_14partition_implILS8_4ELb0ES6_15HIP_vector_typeIjLj2EENS0_17counting_iteratorIjlEEPS9_SG_NS0_5tupleIJPjSI_NS0_16reverse_iteratorISI_EEEEENSH_IJSG_SG_SG_EEES9_SI_JZNS1_25segmented_radix_sort_implINS0_14default_configELb1EPKaPaPKlPlN2at6native12_GLOBAL__N_18offset_tEEE10hipError_tPvRmT1_PNSt15iterator_traitsIS12_E10value_typeET2_T3_PNS13_IS18_E10value_typeET4_jRbjT5_S1E_jjP12ihipStream_tbEUljE_ZNSN_ISO_Lb1ESQ_SR_ST_SU_SY_EESZ_S10_S11_S12_S16_S17_S18_S1B_S1C_jS1D_jS1E_S1E_jjS1G_bEUljE0_EEESZ_S10_S11_S18_S1C_S1E_T6_T7_T9_mT8_S1G_bDpT10_ENKUlT_T0_E_clISt17integral_constantIbLb0EES1T_IbLb1EEEEDaS1P_S1Q_EUlS1P_E_NS1_11comp_targetILNS1_3genE3ELNS1_11target_archE908ELNS1_3gpuE7ELNS1_3repE0EEENS1_30default_config_static_selectorELNS0_4arch9wavefront6targetE0EEEvS12_: ; @_ZN7rocprim17ROCPRIM_400000_NS6detail17trampoline_kernelINS0_13select_configILj256ELj13ELNS0_17block_load_methodE3ELS4_3ELS4_3ELNS0_20block_scan_algorithmE0ELj4294967295EEENS1_25partition_config_selectorILNS1_17partition_subalgoE4EjNS0_10empty_typeEbEEZZNS1_14partition_implILS8_4ELb0ES6_15HIP_vector_typeIjLj2EENS0_17counting_iteratorIjlEEPS9_SG_NS0_5tupleIJPjSI_NS0_16reverse_iteratorISI_EEEEENSH_IJSG_SG_SG_EEES9_SI_JZNS1_25segmented_radix_sort_implINS0_14default_configELb1EPKaPaPKlPlN2at6native12_GLOBAL__N_18offset_tEEE10hipError_tPvRmT1_PNSt15iterator_traitsIS12_E10value_typeET2_T3_PNS13_IS18_E10value_typeET4_jRbjT5_S1E_jjP12ihipStream_tbEUljE_ZNSN_ISO_Lb1ESQ_SR_ST_SU_SY_EESZ_S10_S11_S12_S16_S17_S18_S1B_S1C_jS1D_jS1E_S1E_jjS1G_bEUljE0_EEESZ_S10_S11_S18_S1C_S1E_T6_T7_T9_mT8_S1G_bDpT10_ENKUlT_T0_E_clISt17integral_constantIbLb0EES1T_IbLb1EEEEDaS1P_S1Q_EUlS1P_E_NS1_11comp_targetILNS1_3genE3ELNS1_11target_archE908ELNS1_3gpuE7ELNS1_3repE0EEENS1_30default_config_static_selectorELNS0_4arch9wavefront6targetE0EEEvS12_
; %bb.0:
	.section	.rodata,"a",@progbits
	.p2align	6, 0x0
	.amdhsa_kernel _ZN7rocprim17ROCPRIM_400000_NS6detail17trampoline_kernelINS0_13select_configILj256ELj13ELNS0_17block_load_methodE3ELS4_3ELS4_3ELNS0_20block_scan_algorithmE0ELj4294967295EEENS1_25partition_config_selectorILNS1_17partition_subalgoE4EjNS0_10empty_typeEbEEZZNS1_14partition_implILS8_4ELb0ES6_15HIP_vector_typeIjLj2EENS0_17counting_iteratorIjlEEPS9_SG_NS0_5tupleIJPjSI_NS0_16reverse_iteratorISI_EEEEENSH_IJSG_SG_SG_EEES9_SI_JZNS1_25segmented_radix_sort_implINS0_14default_configELb1EPKaPaPKlPlN2at6native12_GLOBAL__N_18offset_tEEE10hipError_tPvRmT1_PNSt15iterator_traitsIS12_E10value_typeET2_T3_PNS13_IS18_E10value_typeET4_jRbjT5_S1E_jjP12ihipStream_tbEUljE_ZNSN_ISO_Lb1ESQ_SR_ST_SU_SY_EESZ_S10_S11_S12_S16_S17_S18_S1B_S1C_jS1D_jS1E_S1E_jjS1G_bEUljE0_EEESZ_S10_S11_S18_S1C_S1E_T6_T7_T9_mT8_S1G_bDpT10_ENKUlT_T0_E_clISt17integral_constantIbLb0EES1T_IbLb1EEEEDaS1P_S1Q_EUlS1P_E_NS1_11comp_targetILNS1_3genE3ELNS1_11target_archE908ELNS1_3gpuE7ELNS1_3repE0EEENS1_30default_config_static_selectorELNS0_4arch9wavefront6targetE0EEEvS12_
		.amdhsa_group_segment_fixed_size 0
		.amdhsa_private_segment_fixed_size 0
		.amdhsa_kernarg_size 184
		.amdhsa_user_sgpr_count 6
		.amdhsa_user_sgpr_private_segment_buffer 1
		.amdhsa_user_sgpr_dispatch_ptr 0
		.amdhsa_user_sgpr_queue_ptr 0
		.amdhsa_user_sgpr_kernarg_segment_ptr 1
		.amdhsa_user_sgpr_dispatch_id 0
		.amdhsa_user_sgpr_flat_scratch_init 0
		.amdhsa_user_sgpr_private_segment_size 0
		.amdhsa_wavefront_size32 1
		.amdhsa_uses_dynamic_stack 0
		.amdhsa_system_sgpr_private_segment_wavefront_offset 0
		.amdhsa_system_sgpr_workgroup_id_x 1
		.amdhsa_system_sgpr_workgroup_id_y 0
		.amdhsa_system_sgpr_workgroup_id_z 0
		.amdhsa_system_sgpr_workgroup_info 0
		.amdhsa_system_vgpr_workitem_id 0
		.amdhsa_next_free_vgpr 1
		.amdhsa_next_free_sgpr 1
		.amdhsa_reserve_vcc 0
		.amdhsa_reserve_flat_scratch 0
		.amdhsa_float_round_mode_32 0
		.amdhsa_float_round_mode_16_64 0
		.amdhsa_float_denorm_mode_32 3
		.amdhsa_float_denorm_mode_16_64 3
		.amdhsa_dx10_clamp 1
		.amdhsa_ieee_mode 1
		.amdhsa_fp16_overflow 0
		.amdhsa_workgroup_processor_mode 1
		.amdhsa_memory_ordered 1
		.amdhsa_forward_progress 1
		.amdhsa_shared_vgpr_count 0
		.amdhsa_exception_fp_ieee_invalid_op 0
		.amdhsa_exception_fp_denorm_src 0
		.amdhsa_exception_fp_ieee_div_zero 0
		.amdhsa_exception_fp_ieee_overflow 0
		.amdhsa_exception_fp_ieee_underflow 0
		.amdhsa_exception_fp_ieee_inexact 0
		.amdhsa_exception_int_div_zero 0
	.end_amdhsa_kernel
	.section	.text._ZN7rocprim17ROCPRIM_400000_NS6detail17trampoline_kernelINS0_13select_configILj256ELj13ELNS0_17block_load_methodE3ELS4_3ELS4_3ELNS0_20block_scan_algorithmE0ELj4294967295EEENS1_25partition_config_selectorILNS1_17partition_subalgoE4EjNS0_10empty_typeEbEEZZNS1_14partition_implILS8_4ELb0ES6_15HIP_vector_typeIjLj2EENS0_17counting_iteratorIjlEEPS9_SG_NS0_5tupleIJPjSI_NS0_16reverse_iteratorISI_EEEEENSH_IJSG_SG_SG_EEES9_SI_JZNS1_25segmented_radix_sort_implINS0_14default_configELb1EPKaPaPKlPlN2at6native12_GLOBAL__N_18offset_tEEE10hipError_tPvRmT1_PNSt15iterator_traitsIS12_E10value_typeET2_T3_PNS13_IS18_E10value_typeET4_jRbjT5_S1E_jjP12ihipStream_tbEUljE_ZNSN_ISO_Lb1ESQ_SR_ST_SU_SY_EESZ_S10_S11_S12_S16_S17_S18_S1B_S1C_jS1D_jS1E_S1E_jjS1G_bEUljE0_EEESZ_S10_S11_S18_S1C_S1E_T6_T7_T9_mT8_S1G_bDpT10_ENKUlT_T0_E_clISt17integral_constantIbLb0EES1T_IbLb1EEEEDaS1P_S1Q_EUlS1P_E_NS1_11comp_targetILNS1_3genE3ELNS1_11target_archE908ELNS1_3gpuE7ELNS1_3repE0EEENS1_30default_config_static_selectorELNS0_4arch9wavefront6targetE0EEEvS12_,"axG",@progbits,_ZN7rocprim17ROCPRIM_400000_NS6detail17trampoline_kernelINS0_13select_configILj256ELj13ELNS0_17block_load_methodE3ELS4_3ELS4_3ELNS0_20block_scan_algorithmE0ELj4294967295EEENS1_25partition_config_selectorILNS1_17partition_subalgoE4EjNS0_10empty_typeEbEEZZNS1_14partition_implILS8_4ELb0ES6_15HIP_vector_typeIjLj2EENS0_17counting_iteratorIjlEEPS9_SG_NS0_5tupleIJPjSI_NS0_16reverse_iteratorISI_EEEEENSH_IJSG_SG_SG_EEES9_SI_JZNS1_25segmented_radix_sort_implINS0_14default_configELb1EPKaPaPKlPlN2at6native12_GLOBAL__N_18offset_tEEE10hipError_tPvRmT1_PNSt15iterator_traitsIS12_E10value_typeET2_T3_PNS13_IS18_E10value_typeET4_jRbjT5_S1E_jjP12ihipStream_tbEUljE_ZNSN_ISO_Lb1ESQ_SR_ST_SU_SY_EESZ_S10_S11_S12_S16_S17_S18_S1B_S1C_jS1D_jS1E_S1E_jjS1G_bEUljE0_EEESZ_S10_S11_S18_S1C_S1E_T6_T7_T9_mT8_S1G_bDpT10_ENKUlT_T0_E_clISt17integral_constantIbLb0EES1T_IbLb1EEEEDaS1P_S1Q_EUlS1P_E_NS1_11comp_targetILNS1_3genE3ELNS1_11target_archE908ELNS1_3gpuE7ELNS1_3repE0EEENS1_30default_config_static_selectorELNS0_4arch9wavefront6targetE0EEEvS12_,comdat
.Lfunc_end251:
	.size	_ZN7rocprim17ROCPRIM_400000_NS6detail17trampoline_kernelINS0_13select_configILj256ELj13ELNS0_17block_load_methodE3ELS4_3ELS4_3ELNS0_20block_scan_algorithmE0ELj4294967295EEENS1_25partition_config_selectorILNS1_17partition_subalgoE4EjNS0_10empty_typeEbEEZZNS1_14partition_implILS8_4ELb0ES6_15HIP_vector_typeIjLj2EENS0_17counting_iteratorIjlEEPS9_SG_NS0_5tupleIJPjSI_NS0_16reverse_iteratorISI_EEEEENSH_IJSG_SG_SG_EEES9_SI_JZNS1_25segmented_radix_sort_implINS0_14default_configELb1EPKaPaPKlPlN2at6native12_GLOBAL__N_18offset_tEEE10hipError_tPvRmT1_PNSt15iterator_traitsIS12_E10value_typeET2_T3_PNS13_IS18_E10value_typeET4_jRbjT5_S1E_jjP12ihipStream_tbEUljE_ZNSN_ISO_Lb1ESQ_SR_ST_SU_SY_EESZ_S10_S11_S12_S16_S17_S18_S1B_S1C_jS1D_jS1E_S1E_jjS1G_bEUljE0_EEESZ_S10_S11_S18_S1C_S1E_T6_T7_T9_mT8_S1G_bDpT10_ENKUlT_T0_E_clISt17integral_constantIbLb0EES1T_IbLb1EEEEDaS1P_S1Q_EUlS1P_E_NS1_11comp_targetILNS1_3genE3ELNS1_11target_archE908ELNS1_3gpuE7ELNS1_3repE0EEENS1_30default_config_static_selectorELNS0_4arch9wavefront6targetE0EEEvS12_, .Lfunc_end251-_ZN7rocprim17ROCPRIM_400000_NS6detail17trampoline_kernelINS0_13select_configILj256ELj13ELNS0_17block_load_methodE3ELS4_3ELS4_3ELNS0_20block_scan_algorithmE0ELj4294967295EEENS1_25partition_config_selectorILNS1_17partition_subalgoE4EjNS0_10empty_typeEbEEZZNS1_14partition_implILS8_4ELb0ES6_15HIP_vector_typeIjLj2EENS0_17counting_iteratorIjlEEPS9_SG_NS0_5tupleIJPjSI_NS0_16reverse_iteratorISI_EEEEENSH_IJSG_SG_SG_EEES9_SI_JZNS1_25segmented_radix_sort_implINS0_14default_configELb1EPKaPaPKlPlN2at6native12_GLOBAL__N_18offset_tEEE10hipError_tPvRmT1_PNSt15iterator_traitsIS12_E10value_typeET2_T3_PNS13_IS18_E10value_typeET4_jRbjT5_S1E_jjP12ihipStream_tbEUljE_ZNSN_ISO_Lb1ESQ_SR_ST_SU_SY_EESZ_S10_S11_S12_S16_S17_S18_S1B_S1C_jS1D_jS1E_S1E_jjS1G_bEUljE0_EEESZ_S10_S11_S18_S1C_S1E_T6_T7_T9_mT8_S1G_bDpT10_ENKUlT_T0_E_clISt17integral_constantIbLb0EES1T_IbLb1EEEEDaS1P_S1Q_EUlS1P_E_NS1_11comp_targetILNS1_3genE3ELNS1_11target_archE908ELNS1_3gpuE7ELNS1_3repE0EEENS1_30default_config_static_selectorELNS0_4arch9wavefront6targetE0EEEvS12_
                                        ; -- End function
	.set _ZN7rocprim17ROCPRIM_400000_NS6detail17trampoline_kernelINS0_13select_configILj256ELj13ELNS0_17block_load_methodE3ELS4_3ELS4_3ELNS0_20block_scan_algorithmE0ELj4294967295EEENS1_25partition_config_selectorILNS1_17partition_subalgoE4EjNS0_10empty_typeEbEEZZNS1_14partition_implILS8_4ELb0ES6_15HIP_vector_typeIjLj2EENS0_17counting_iteratorIjlEEPS9_SG_NS0_5tupleIJPjSI_NS0_16reverse_iteratorISI_EEEEENSH_IJSG_SG_SG_EEES9_SI_JZNS1_25segmented_radix_sort_implINS0_14default_configELb1EPKaPaPKlPlN2at6native12_GLOBAL__N_18offset_tEEE10hipError_tPvRmT1_PNSt15iterator_traitsIS12_E10value_typeET2_T3_PNS13_IS18_E10value_typeET4_jRbjT5_S1E_jjP12ihipStream_tbEUljE_ZNSN_ISO_Lb1ESQ_SR_ST_SU_SY_EESZ_S10_S11_S12_S16_S17_S18_S1B_S1C_jS1D_jS1E_S1E_jjS1G_bEUljE0_EEESZ_S10_S11_S18_S1C_S1E_T6_T7_T9_mT8_S1G_bDpT10_ENKUlT_T0_E_clISt17integral_constantIbLb0EES1T_IbLb1EEEEDaS1P_S1Q_EUlS1P_E_NS1_11comp_targetILNS1_3genE3ELNS1_11target_archE908ELNS1_3gpuE7ELNS1_3repE0EEENS1_30default_config_static_selectorELNS0_4arch9wavefront6targetE0EEEvS12_.num_vgpr, 0
	.set _ZN7rocprim17ROCPRIM_400000_NS6detail17trampoline_kernelINS0_13select_configILj256ELj13ELNS0_17block_load_methodE3ELS4_3ELS4_3ELNS0_20block_scan_algorithmE0ELj4294967295EEENS1_25partition_config_selectorILNS1_17partition_subalgoE4EjNS0_10empty_typeEbEEZZNS1_14partition_implILS8_4ELb0ES6_15HIP_vector_typeIjLj2EENS0_17counting_iteratorIjlEEPS9_SG_NS0_5tupleIJPjSI_NS0_16reverse_iteratorISI_EEEEENSH_IJSG_SG_SG_EEES9_SI_JZNS1_25segmented_radix_sort_implINS0_14default_configELb1EPKaPaPKlPlN2at6native12_GLOBAL__N_18offset_tEEE10hipError_tPvRmT1_PNSt15iterator_traitsIS12_E10value_typeET2_T3_PNS13_IS18_E10value_typeET4_jRbjT5_S1E_jjP12ihipStream_tbEUljE_ZNSN_ISO_Lb1ESQ_SR_ST_SU_SY_EESZ_S10_S11_S12_S16_S17_S18_S1B_S1C_jS1D_jS1E_S1E_jjS1G_bEUljE0_EEESZ_S10_S11_S18_S1C_S1E_T6_T7_T9_mT8_S1G_bDpT10_ENKUlT_T0_E_clISt17integral_constantIbLb0EES1T_IbLb1EEEEDaS1P_S1Q_EUlS1P_E_NS1_11comp_targetILNS1_3genE3ELNS1_11target_archE908ELNS1_3gpuE7ELNS1_3repE0EEENS1_30default_config_static_selectorELNS0_4arch9wavefront6targetE0EEEvS12_.num_agpr, 0
	.set _ZN7rocprim17ROCPRIM_400000_NS6detail17trampoline_kernelINS0_13select_configILj256ELj13ELNS0_17block_load_methodE3ELS4_3ELS4_3ELNS0_20block_scan_algorithmE0ELj4294967295EEENS1_25partition_config_selectorILNS1_17partition_subalgoE4EjNS0_10empty_typeEbEEZZNS1_14partition_implILS8_4ELb0ES6_15HIP_vector_typeIjLj2EENS0_17counting_iteratorIjlEEPS9_SG_NS0_5tupleIJPjSI_NS0_16reverse_iteratorISI_EEEEENSH_IJSG_SG_SG_EEES9_SI_JZNS1_25segmented_radix_sort_implINS0_14default_configELb1EPKaPaPKlPlN2at6native12_GLOBAL__N_18offset_tEEE10hipError_tPvRmT1_PNSt15iterator_traitsIS12_E10value_typeET2_T3_PNS13_IS18_E10value_typeET4_jRbjT5_S1E_jjP12ihipStream_tbEUljE_ZNSN_ISO_Lb1ESQ_SR_ST_SU_SY_EESZ_S10_S11_S12_S16_S17_S18_S1B_S1C_jS1D_jS1E_S1E_jjS1G_bEUljE0_EEESZ_S10_S11_S18_S1C_S1E_T6_T7_T9_mT8_S1G_bDpT10_ENKUlT_T0_E_clISt17integral_constantIbLb0EES1T_IbLb1EEEEDaS1P_S1Q_EUlS1P_E_NS1_11comp_targetILNS1_3genE3ELNS1_11target_archE908ELNS1_3gpuE7ELNS1_3repE0EEENS1_30default_config_static_selectorELNS0_4arch9wavefront6targetE0EEEvS12_.numbered_sgpr, 0
	.set _ZN7rocprim17ROCPRIM_400000_NS6detail17trampoline_kernelINS0_13select_configILj256ELj13ELNS0_17block_load_methodE3ELS4_3ELS4_3ELNS0_20block_scan_algorithmE0ELj4294967295EEENS1_25partition_config_selectorILNS1_17partition_subalgoE4EjNS0_10empty_typeEbEEZZNS1_14partition_implILS8_4ELb0ES6_15HIP_vector_typeIjLj2EENS0_17counting_iteratorIjlEEPS9_SG_NS0_5tupleIJPjSI_NS0_16reverse_iteratorISI_EEEEENSH_IJSG_SG_SG_EEES9_SI_JZNS1_25segmented_radix_sort_implINS0_14default_configELb1EPKaPaPKlPlN2at6native12_GLOBAL__N_18offset_tEEE10hipError_tPvRmT1_PNSt15iterator_traitsIS12_E10value_typeET2_T3_PNS13_IS18_E10value_typeET4_jRbjT5_S1E_jjP12ihipStream_tbEUljE_ZNSN_ISO_Lb1ESQ_SR_ST_SU_SY_EESZ_S10_S11_S12_S16_S17_S18_S1B_S1C_jS1D_jS1E_S1E_jjS1G_bEUljE0_EEESZ_S10_S11_S18_S1C_S1E_T6_T7_T9_mT8_S1G_bDpT10_ENKUlT_T0_E_clISt17integral_constantIbLb0EES1T_IbLb1EEEEDaS1P_S1Q_EUlS1P_E_NS1_11comp_targetILNS1_3genE3ELNS1_11target_archE908ELNS1_3gpuE7ELNS1_3repE0EEENS1_30default_config_static_selectorELNS0_4arch9wavefront6targetE0EEEvS12_.num_named_barrier, 0
	.set _ZN7rocprim17ROCPRIM_400000_NS6detail17trampoline_kernelINS0_13select_configILj256ELj13ELNS0_17block_load_methodE3ELS4_3ELS4_3ELNS0_20block_scan_algorithmE0ELj4294967295EEENS1_25partition_config_selectorILNS1_17partition_subalgoE4EjNS0_10empty_typeEbEEZZNS1_14partition_implILS8_4ELb0ES6_15HIP_vector_typeIjLj2EENS0_17counting_iteratorIjlEEPS9_SG_NS0_5tupleIJPjSI_NS0_16reverse_iteratorISI_EEEEENSH_IJSG_SG_SG_EEES9_SI_JZNS1_25segmented_radix_sort_implINS0_14default_configELb1EPKaPaPKlPlN2at6native12_GLOBAL__N_18offset_tEEE10hipError_tPvRmT1_PNSt15iterator_traitsIS12_E10value_typeET2_T3_PNS13_IS18_E10value_typeET4_jRbjT5_S1E_jjP12ihipStream_tbEUljE_ZNSN_ISO_Lb1ESQ_SR_ST_SU_SY_EESZ_S10_S11_S12_S16_S17_S18_S1B_S1C_jS1D_jS1E_S1E_jjS1G_bEUljE0_EEESZ_S10_S11_S18_S1C_S1E_T6_T7_T9_mT8_S1G_bDpT10_ENKUlT_T0_E_clISt17integral_constantIbLb0EES1T_IbLb1EEEEDaS1P_S1Q_EUlS1P_E_NS1_11comp_targetILNS1_3genE3ELNS1_11target_archE908ELNS1_3gpuE7ELNS1_3repE0EEENS1_30default_config_static_selectorELNS0_4arch9wavefront6targetE0EEEvS12_.private_seg_size, 0
	.set _ZN7rocprim17ROCPRIM_400000_NS6detail17trampoline_kernelINS0_13select_configILj256ELj13ELNS0_17block_load_methodE3ELS4_3ELS4_3ELNS0_20block_scan_algorithmE0ELj4294967295EEENS1_25partition_config_selectorILNS1_17partition_subalgoE4EjNS0_10empty_typeEbEEZZNS1_14partition_implILS8_4ELb0ES6_15HIP_vector_typeIjLj2EENS0_17counting_iteratorIjlEEPS9_SG_NS0_5tupleIJPjSI_NS0_16reverse_iteratorISI_EEEEENSH_IJSG_SG_SG_EEES9_SI_JZNS1_25segmented_radix_sort_implINS0_14default_configELb1EPKaPaPKlPlN2at6native12_GLOBAL__N_18offset_tEEE10hipError_tPvRmT1_PNSt15iterator_traitsIS12_E10value_typeET2_T3_PNS13_IS18_E10value_typeET4_jRbjT5_S1E_jjP12ihipStream_tbEUljE_ZNSN_ISO_Lb1ESQ_SR_ST_SU_SY_EESZ_S10_S11_S12_S16_S17_S18_S1B_S1C_jS1D_jS1E_S1E_jjS1G_bEUljE0_EEESZ_S10_S11_S18_S1C_S1E_T6_T7_T9_mT8_S1G_bDpT10_ENKUlT_T0_E_clISt17integral_constantIbLb0EES1T_IbLb1EEEEDaS1P_S1Q_EUlS1P_E_NS1_11comp_targetILNS1_3genE3ELNS1_11target_archE908ELNS1_3gpuE7ELNS1_3repE0EEENS1_30default_config_static_selectorELNS0_4arch9wavefront6targetE0EEEvS12_.uses_vcc, 0
	.set _ZN7rocprim17ROCPRIM_400000_NS6detail17trampoline_kernelINS0_13select_configILj256ELj13ELNS0_17block_load_methodE3ELS4_3ELS4_3ELNS0_20block_scan_algorithmE0ELj4294967295EEENS1_25partition_config_selectorILNS1_17partition_subalgoE4EjNS0_10empty_typeEbEEZZNS1_14partition_implILS8_4ELb0ES6_15HIP_vector_typeIjLj2EENS0_17counting_iteratorIjlEEPS9_SG_NS0_5tupleIJPjSI_NS0_16reverse_iteratorISI_EEEEENSH_IJSG_SG_SG_EEES9_SI_JZNS1_25segmented_radix_sort_implINS0_14default_configELb1EPKaPaPKlPlN2at6native12_GLOBAL__N_18offset_tEEE10hipError_tPvRmT1_PNSt15iterator_traitsIS12_E10value_typeET2_T3_PNS13_IS18_E10value_typeET4_jRbjT5_S1E_jjP12ihipStream_tbEUljE_ZNSN_ISO_Lb1ESQ_SR_ST_SU_SY_EESZ_S10_S11_S12_S16_S17_S18_S1B_S1C_jS1D_jS1E_S1E_jjS1G_bEUljE0_EEESZ_S10_S11_S18_S1C_S1E_T6_T7_T9_mT8_S1G_bDpT10_ENKUlT_T0_E_clISt17integral_constantIbLb0EES1T_IbLb1EEEEDaS1P_S1Q_EUlS1P_E_NS1_11comp_targetILNS1_3genE3ELNS1_11target_archE908ELNS1_3gpuE7ELNS1_3repE0EEENS1_30default_config_static_selectorELNS0_4arch9wavefront6targetE0EEEvS12_.uses_flat_scratch, 0
	.set _ZN7rocprim17ROCPRIM_400000_NS6detail17trampoline_kernelINS0_13select_configILj256ELj13ELNS0_17block_load_methodE3ELS4_3ELS4_3ELNS0_20block_scan_algorithmE0ELj4294967295EEENS1_25partition_config_selectorILNS1_17partition_subalgoE4EjNS0_10empty_typeEbEEZZNS1_14partition_implILS8_4ELb0ES6_15HIP_vector_typeIjLj2EENS0_17counting_iteratorIjlEEPS9_SG_NS0_5tupleIJPjSI_NS0_16reverse_iteratorISI_EEEEENSH_IJSG_SG_SG_EEES9_SI_JZNS1_25segmented_radix_sort_implINS0_14default_configELb1EPKaPaPKlPlN2at6native12_GLOBAL__N_18offset_tEEE10hipError_tPvRmT1_PNSt15iterator_traitsIS12_E10value_typeET2_T3_PNS13_IS18_E10value_typeET4_jRbjT5_S1E_jjP12ihipStream_tbEUljE_ZNSN_ISO_Lb1ESQ_SR_ST_SU_SY_EESZ_S10_S11_S12_S16_S17_S18_S1B_S1C_jS1D_jS1E_S1E_jjS1G_bEUljE0_EEESZ_S10_S11_S18_S1C_S1E_T6_T7_T9_mT8_S1G_bDpT10_ENKUlT_T0_E_clISt17integral_constantIbLb0EES1T_IbLb1EEEEDaS1P_S1Q_EUlS1P_E_NS1_11comp_targetILNS1_3genE3ELNS1_11target_archE908ELNS1_3gpuE7ELNS1_3repE0EEENS1_30default_config_static_selectorELNS0_4arch9wavefront6targetE0EEEvS12_.has_dyn_sized_stack, 0
	.set _ZN7rocprim17ROCPRIM_400000_NS6detail17trampoline_kernelINS0_13select_configILj256ELj13ELNS0_17block_load_methodE3ELS4_3ELS4_3ELNS0_20block_scan_algorithmE0ELj4294967295EEENS1_25partition_config_selectorILNS1_17partition_subalgoE4EjNS0_10empty_typeEbEEZZNS1_14partition_implILS8_4ELb0ES6_15HIP_vector_typeIjLj2EENS0_17counting_iteratorIjlEEPS9_SG_NS0_5tupleIJPjSI_NS0_16reverse_iteratorISI_EEEEENSH_IJSG_SG_SG_EEES9_SI_JZNS1_25segmented_radix_sort_implINS0_14default_configELb1EPKaPaPKlPlN2at6native12_GLOBAL__N_18offset_tEEE10hipError_tPvRmT1_PNSt15iterator_traitsIS12_E10value_typeET2_T3_PNS13_IS18_E10value_typeET4_jRbjT5_S1E_jjP12ihipStream_tbEUljE_ZNSN_ISO_Lb1ESQ_SR_ST_SU_SY_EESZ_S10_S11_S12_S16_S17_S18_S1B_S1C_jS1D_jS1E_S1E_jjS1G_bEUljE0_EEESZ_S10_S11_S18_S1C_S1E_T6_T7_T9_mT8_S1G_bDpT10_ENKUlT_T0_E_clISt17integral_constantIbLb0EES1T_IbLb1EEEEDaS1P_S1Q_EUlS1P_E_NS1_11comp_targetILNS1_3genE3ELNS1_11target_archE908ELNS1_3gpuE7ELNS1_3repE0EEENS1_30default_config_static_selectorELNS0_4arch9wavefront6targetE0EEEvS12_.has_recursion, 0
	.set _ZN7rocprim17ROCPRIM_400000_NS6detail17trampoline_kernelINS0_13select_configILj256ELj13ELNS0_17block_load_methodE3ELS4_3ELS4_3ELNS0_20block_scan_algorithmE0ELj4294967295EEENS1_25partition_config_selectorILNS1_17partition_subalgoE4EjNS0_10empty_typeEbEEZZNS1_14partition_implILS8_4ELb0ES6_15HIP_vector_typeIjLj2EENS0_17counting_iteratorIjlEEPS9_SG_NS0_5tupleIJPjSI_NS0_16reverse_iteratorISI_EEEEENSH_IJSG_SG_SG_EEES9_SI_JZNS1_25segmented_radix_sort_implINS0_14default_configELb1EPKaPaPKlPlN2at6native12_GLOBAL__N_18offset_tEEE10hipError_tPvRmT1_PNSt15iterator_traitsIS12_E10value_typeET2_T3_PNS13_IS18_E10value_typeET4_jRbjT5_S1E_jjP12ihipStream_tbEUljE_ZNSN_ISO_Lb1ESQ_SR_ST_SU_SY_EESZ_S10_S11_S12_S16_S17_S18_S1B_S1C_jS1D_jS1E_S1E_jjS1G_bEUljE0_EEESZ_S10_S11_S18_S1C_S1E_T6_T7_T9_mT8_S1G_bDpT10_ENKUlT_T0_E_clISt17integral_constantIbLb0EES1T_IbLb1EEEEDaS1P_S1Q_EUlS1P_E_NS1_11comp_targetILNS1_3genE3ELNS1_11target_archE908ELNS1_3gpuE7ELNS1_3repE0EEENS1_30default_config_static_selectorELNS0_4arch9wavefront6targetE0EEEvS12_.has_indirect_call, 0
	.section	.AMDGPU.csdata,"",@progbits
; Kernel info:
; codeLenInByte = 0
; TotalNumSgprs: 0
; NumVgprs: 0
; ScratchSize: 0
; MemoryBound: 0
; FloatMode: 240
; IeeeMode: 1
; LDSByteSize: 0 bytes/workgroup (compile time only)
; SGPRBlocks: 0
; VGPRBlocks: 0
; NumSGPRsForWavesPerEU: 1
; NumVGPRsForWavesPerEU: 1
; Occupancy: 16
; WaveLimiterHint : 0
; COMPUTE_PGM_RSRC2:SCRATCH_EN: 0
; COMPUTE_PGM_RSRC2:USER_SGPR: 6
; COMPUTE_PGM_RSRC2:TRAP_HANDLER: 0
; COMPUTE_PGM_RSRC2:TGID_X_EN: 1
; COMPUTE_PGM_RSRC2:TGID_Y_EN: 0
; COMPUTE_PGM_RSRC2:TGID_Z_EN: 0
; COMPUTE_PGM_RSRC2:TIDIG_COMP_CNT: 0
	.section	.text._ZN7rocprim17ROCPRIM_400000_NS6detail17trampoline_kernelINS0_13select_configILj256ELj13ELNS0_17block_load_methodE3ELS4_3ELS4_3ELNS0_20block_scan_algorithmE0ELj4294967295EEENS1_25partition_config_selectorILNS1_17partition_subalgoE4EjNS0_10empty_typeEbEEZZNS1_14partition_implILS8_4ELb0ES6_15HIP_vector_typeIjLj2EENS0_17counting_iteratorIjlEEPS9_SG_NS0_5tupleIJPjSI_NS0_16reverse_iteratorISI_EEEEENSH_IJSG_SG_SG_EEES9_SI_JZNS1_25segmented_radix_sort_implINS0_14default_configELb1EPKaPaPKlPlN2at6native12_GLOBAL__N_18offset_tEEE10hipError_tPvRmT1_PNSt15iterator_traitsIS12_E10value_typeET2_T3_PNS13_IS18_E10value_typeET4_jRbjT5_S1E_jjP12ihipStream_tbEUljE_ZNSN_ISO_Lb1ESQ_SR_ST_SU_SY_EESZ_S10_S11_S12_S16_S17_S18_S1B_S1C_jS1D_jS1E_S1E_jjS1G_bEUljE0_EEESZ_S10_S11_S18_S1C_S1E_T6_T7_T9_mT8_S1G_bDpT10_ENKUlT_T0_E_clISt17integral_constantIbLb0EES1T_IbLb1EEEEDaS1P_S1Q_EUlS1P_E_NS1_11comp_targetILNS1_3genE2ELNS1_11target_archE906ELNS1_3gpuE6ELNS1_3repE0EEENS1_30default_config_static_selectorELNS0_4arch9wavefront6targetE0EEEvS12_,"axG",@progbits,_ZN7rocprim17ROCPRIM_400000_NS6detail17trampoline_kernelINS0_13select_configILj256ELj13ELNS0_17block_load_methodE3ELS4_3ELS4_3ELNS0_20block_scan_algorithmE0ELj4294967295EEENS1_25partition_config_selectorILNS1_17partition_subalgoE4EjNS0_10empty_typeEbEEZZNS1_14partition_implILS8_4ELb0ES6_15HIP_vector_typeIjLj2EENS0_17counting_iteratorIjlEEPS9_SG_NS0_5tupleIJPjSI_NS0_16reverse_iteratorISI_EEEEENSH_IJSG_SG_SG_EEES9_SI_JZNS1_25segmented_radix_sort_implINS0_14default_configELb1EPKaPaPKlPlN2at6native12_GLOBAL__N_18offset_tEEE10hipError_tPvRmT1_PNSt15iterator_traitsIS12_E10value_typeET2_T3_PNS13_IS18_E10value_typeET4_jRbjT5_S1E_jjP12ihipStream_tbEUljE_ZNSN_ISO_Lb1ESQ_SR_ST_SU_SY_EESZ_S10_S11_S12_S16_S17_S18_S1B_S1C_jS1D_jS1E_S1E_jjS1G_bEUljE0_EEESZ_S10_S11_S18_S1C_S1E_T6_T7_T9_mT8_S1G_bDpT10_ENKUlT_T0_E_clISt17integral_constantIbLb0EES1T_IbLb1EEEEDaS1P_S1Q_EUlS1P_E_NS1_11comp_targetILNS1_3genE2ELNS1_11target_archE906ELNS1_3gpuE6ELNS1_3repE0EEENS1_30default_config_static_selectorELNS0_4arch9wavefront6targetE0EEEvS12_,comdat
	.globl	_ZN7rocprim17ROCPRIM_400000_NS6detail17trampoline_kernelINS0_13select_configILj256ELj13ELNS0_17block_load_methodE3ELS4_3ELS4_3ELNS0_20block_scan_algorithmE0ELj4294967295EEENS1_25partition_config_selectorILNS1_17partition_subalgoE4EjNS0_10empty_typeEbEEZZNS1_14partition_implILS8_4ELb0ES6_15HIP_vector_typeIjLj2EENS0_17counting_iteratorIjlEEPS9_SG_NS0_5tupleIJPjSI_NS0_16reverse_iteratorISI_EEEEENSH_IJSG_SG_SG_EEES9_SI_JZNS1_25segmented_radix_sort_implINS0_14default_configELb1EPKaPaPKlPlN2at6native12_GLOBAL__N_18offset_tEEE10hipError_tPvRmT1_PNSt15iterator_traitsIS12_E10value_typeET2_T3_PNS13_IS18_E10value_typeET4_jRbjT5_S1E_jjP12ihipStream_tbEUljE_ZNSN_ISO_Lb1ESQ_SR_ST_SU_SY_EESZ_S10_S11_S12_S16_S17_S18_S1B_S1C_jS1D_jS1E_S1E_jjS1G_bEUljE0_EEESZ_S10_S11_S18_S1C_S1E_T6_T7_T9_mT8_S1G_bDpT10_ENKUlT_T0_E_clISt17integral_constantIbLb0EES1T_IbLb1EEEEDaS1P_S1Q_EUlS1P_E_NS1_11comp_targetILNS1_3genE2ELNS1_11target_archE906ELNS1_3gpuE6ELNS1_3repE0EEENS1_30default_config_static_selectorELNS0_4arch9wavefront6targetE0EEEvS12_ ; -- Begin function _ZN7rocprim17ROCPRIM_400000_NS6detail17trampoline_kernelINS0_13select_configILj256ELj13ELNS0_17block_load_methodE3ELS4_3ELS4_3ELNS0_20block_scan_algorithmE0ELj4294967295EEENS1_25partition_config_selectorILNS1_17partition_subalgoE4EjNS0_10empty_typeEbEEZZNS1_14partition_implILS8_4ELb0ES6_15HIP_vector_typeIjLj2EENS0_17counting_iteratorIjlEEPS9_SG_NS0_5tupleIJPjSI_NS0_16reverse_iteratorISI_EEEEENSH_IJSG_SG_SG_EEES9_SI_JZNS1_25segmented_radix_sort_implINS0_14default_configELb1EPKaPaPKlPlN2at6native12_GLOBAL__N_18offset_tEEE10hipError_tPvRmT1_PNSt15iterator_traitsIS12_E10value_typeET2_T3_PNS13_IS18_E10value_typeET4_jRbjT5_S1E_jjP12ihipStream_tbEUljE_ZNSN_ISO_Lb1ESQ_SR_ST_SU_SY_EESZ_S10_S11_S12_S16_S17_S18_S1B_S1C_jS1D_jS1E_S1E_jjS1G_bEUljE0_EEESZ_S10_S11_S18_S1C_S1E_T6_T7_T9_mT8_S1G_bDpT10_ENKUlT_T0_E_clISt17integral_constantIbLb0EES1T_IbLb1EEEEDaS1P_S1Q_EUlS1P_E_NS1_11comp_targetILNS1_3genE2ELNS1_11target_archE906ELNS1_3gpuE6ELNS1_3repE0EEENS1_30default_config_static_selectorELNS0_4arch9wavefront6targetE0EEEvS12_
	.p2align	8
	.type	_ZN7rocprim17ROCPRIM_400000_NS6detail17trampoline_kernelINS0_13select_configILj256ELj13ELNS0_17block_load_methodE3ELS4_3ELS4_3ELNS0_20block_scan_algorithmE0ELj4294967295EEENS1_25partition_config_selectorILNS1_17partition_subalgoE4EjNS0_10empty_typeEbEEZZNS1_14partition_implILS8_4ELb0ES6_15HIP_vector_typeIjLj2EENS0_17counting_iteratorIjlEEPS9_SG_NS0_5tupleIJPjSI_NS0_16reverse_iteratorISI_EEEEENSH_IJSG_SG_SG_EEES9_SI_JZNS1_25segmented_radix_sort_implINS0_14default_configELb1EPKaPaPKlPlN2at6native12_GLOBAL__N_18offset_tEEE10hipError_tPvRmT1_PNSt15iterator_traitsIS12_E10value_typeET2_T3_PNS13_IS18_E10value_typeET4_jRbjT5_S1E_jjP12ihipStream_tbEUljE_ZNSN_ISO_Lb1ESQ_SR_ST_SU_SY_EESZ_S10_S11_S12_S16_S17_S18_S1B_S1C_jS1D_jS1E_S1E_jjS1G_bEUljE0_EEESZ_S10_S11_S18_S1C_S1E_T6_T7_T9_mT8_S1G_bDpT10_ENKUlT_T0_E_clISt17integral_constantIbLb0EES1T_IbLb1EEEEDaS1P_S1Q_EUlS1P_E_NS1_11comp_targetILNS1_3genE2ELNS1_11target_archE906ELNS1_3gpuE6ELNS1_3repE0EEENS1_30default_config_static_selectorELNS0_4arch9wavefront6targetE0EEEvS12_,@function
_ZN7rocprim17ROCPRIM_400000_NS6detail17trampoline_kernelINS0_13select_configILj256ELj13ELNS0_17block_load_methodE3ELS4_3ELS4_3ELNS0_20block_scan_algorithmE0ELj4294967295EEENS1_25partition_config_selectorILNS1_17partition_subalgoE4EjNS0_10empty_typeEbEEZZNS1_14partition_implILS8_4ELb0ES6_15HIP_vector_typeIjLj2EENS0_17counting_iteratorIjlEEPS9_SG_NS0_5tupleIJPjSI_NS0_16reverse_iteratorISI_EEEEENSH_IJSG_SG_SG_EEES9_SI_JZNS1_25segmented_radix_sort_implINS0_14default_configELb1EPKaPaPKlPlN2at6native12_GLOBAL__N_18offset_tEEE10hipError_tPvRmT1_PNSt15iterator_traitsIS12_E10value_typeET2_T3_PNS13_IS18_E10value_typeET4_jRbjT5_S1E_jjP12ihipStream_tbEUljE_ZNSN_ISO_Lb1ESQ_SR_ST_SU_SY_EESZ_S10_S11_S12_S16_S17_S18_S1B_S1C_jS1D_jS1E_S1E_jjS1G_bEUljE0_EEESZ_S10_S11_S18_S1C_S1E_T6_T7_T9_mT8_S1G_bDpT10_ENKUlT_T0_E_clISt17integral_constantIbLb0EES1T_IbLb1EEEEDaS1P_S1Q_EUlS1P_E_NS1_11comp_targetILNS1_3genE2ELNS1_11target_archE906ELNS1_3gpuE6ELNS1_3repE0EEENS1_30default_config_static_selectorELNS0_4arch9wavefront6targetE0EEEvS12_: ; @_ZN7rocprim17ROCPRIM_400000_NS6detail17trampoline_kernelINS0_13select_configILj256ELj13ELNS0_17block_load_methodE3ELS4_3ELS4_3ELNS0_20block_scan_algorithmE0ELj4294967295EEENS1_25partition_config_selectorILNS1_17partition_subalgoE4EjNS0_10empty_typeEbEEZZNS1_14partition_implILS8_4ELb0ES6_15HIP_vector_typeIjLj2EENS0_17counting_iteratorIjlEEPS9_SG_NS0_5tupleIJPjSI_NS0_16reverse_iteratorISI_EEEEENSH_IJSG_SG_SG_EEES9_SI_JZNS1_25segmented_radix_sort_implINS0_14default_configELb1EPKaPaPKlPlN2at6native12_GLOBAL__N_18offset_tEEE10hipError_tPvRmT1_PNSt15iterator_traitsIS12_E10value_typeET2_T3_PNS13_IS18_E10value_typeET4_jRbjT5_S1E_jjP12ihipStream_tbEUljE_ZNSN_ISO_Lb1ESQ_SR_ST_SU_SY_EESZ_S10_S11_S12_S16_S17_S18_S1B_S1C_jS1D_jS1E_S1E_jjS1G_bEUljE0_EEESZ_S10_S11_S18_S1C_S1E_T6_T7_T9_mT8_S1G_bDpT10_ENKUlT_T0_E_clISt17integral_constantIbLb0EES1T_IbLb1EEEEDaS1P_S1Q_EUlS1P_E_NS1_11comp_targetILNS1_3genE2ELNS1_11target_archE906ELNS1_3gpuE6ELNS1_3repE0EEENS1_30default_config_static_selectorELNS0_4arch9wavefront6targetE0EEEvS12_
; %bb.0:
	.section	.rodata,"a",@progbits
	.p2align	6, 0x0
	.amdhsa_kernel _ZN7rocprim17ROCPRIM_400000_NS6detail17trampoline_kernelINS0_13select_configILj256ELj13ELNS0_17block_load_methodE3ELS4_3ELS4_3ELNS0_20block_scan_algorithmE0ELj4294967295EEENS1_25partition_config_selectorILNS1_17partition_subalgoE4EjNS0_10empty_typeEbEEZZNS1_14partition_implILS8_4ELb0ES6_15HIP_vector_typeIjLj2EENS0_17counting_iteratorIjlEEPS9_SG_NS0_5tupleIJPjSI_NS0_16reverse_iteratorISI_EEEEENSH_IJSG_SG_SG_EEES9_SI_JZNS1_25segmented_radix_sort_implINS0_14default_configELb1EPKaPaPKlPlN2at6native12_GLOBAL__N_18offset_tEEE10hipError_tPvRmT1_PNSt15iterator_traitsIS12_E10value_typeET2_T3_PNS13_IS18_E10value_typeET4_jRbjT5_S1E_jjP12ihipStream_tbEUljE_ZNSN_ISO_Lb1ESQ_SR_ST_SU_SY_EESZ_S10_S11_S12_S16_S17_S18_S1B_S1C_jS1D_jS1E_S1E_jjS1G_bEUljE0_EEESZ_S10_S11_S18_S1C_S1E_T6_T7_T9_mT8_S1G_bDpT10_ENKUlT_T0_E_clISt17integral_constantIbLb0EES1T_IbLb1EEEEDaS1P_S1Q_EUlS1P_E_NS1_11comp_targetILNS1_3genE2ELNS1_11target_archE906ELNS1_3gpuE6ELNS1_3repE0EEENS1_30default_config_static_selectorELNS0_4arch9wavefront6targetE0EEEvS12_
		.amdhsa_group_segment_fixed_size 0
		.amdhsa_private_segment_fixed_size 0
		.amdhsa_kernarg_size 184
		.amdhsa_user_sgpr_count 6
		.amdhsa_user_sgpr_private_segment_buffer 1
		.amdhsa_user_sgpr_dispatch_ptr 0
		.amdhsa_user_sgpr_queue_ptr 0
		.amdhsa_user_sgpr_kernarg_segment_ptr 1
		.amdhsa_user_sgpr_dispatch_id 0
		.amdhsa_user_sgpr_flat_scratch_init 0
		.amdhsa_user_sgpr_private_segment_size 0
		.amdhsa_wavefront_size32 1
		.amdhsa_uses_dynamic_stack 0
		.amdhsa_system_sgpr_private_segment_wavefront_offset 0
		.amdhsa_system_sgpr_workgroup_id_x 1
		.amdhsa_system_sgpr_workgroup_id_y 0
		.amdhsa_system_sgpr_workgroup_id_z 0
		.amdhsa_system_sgpr_workgroup_info 0
		.amdhsa_system_vgpr_workitem_id 0
		.amdhsa_next_free_vgpr 1
		.amdhsa_next_free_sgpr 1
		.amdhsa_reserve_vcc 0
		.amdhsa_reserve_flat_scratch 0
		.amdhsa_float_round_mode_32 0
		.amdhsa_float_round_mode_16_64 0
		.amdhsa_float_denorm_mode_32 3
		.amdhsa_float_denorm_mode_16_64 3
		.amdhsa_dx10_clamp 1
		.amdhsa_ieee_mode 1
		.amdhsa_fp16_overflow 0
		.amdhsa_workgroup_processor_mode 1
		.amdhsa_memory_ordered 1
		.amdhsa_forward_progress 1
		.amdhsa_shared_vgpr_count 0
		.amdhsa_exception_fp_ieee_invalid_op 0
		.amdhsa_exception_fp_denorm_src 0
		.amdhsa_exception_fp_ieee_div_zero 0
		.amdhsa_exception_fp_ieee_overflow 0
		.amdhsa_exception_fp_ieee_underflow 0
		.amdhsa_exception_fp_ieee_inexact 0
		.amdhsa_exception_int_div_zero 0
	.end_amdhsa_kernel
	.section	.text._ZN7rocprim17ROCPRIM_400000_NS6detail17trampoline_kernelINS0_13select_configILj256ELj13ELNS0_17block_load_methodE3ELS4_3ELS4_3ELNS0_20block_scan_algorithmE0ELj4294967295EEENS1_25partition_config_selectorILNS1_17partition_subalgoE4EjNS0_10empty_typeEbEEZZNS1_14partition_implILS8_4ELb0ES6_15HIP_vector_typeIjLj2EENS0_17counting_iteratorIjlEEPS9_SG_NS0_5tupleIJPjSI_NS0_16reverse_iteratorISI_EEEEENSH_IJSG_SG_SG_EEES9_SI_JZNS1_25segmented_radix_sort_implINS0_14default_configELb1EPKaPaPKlPlN2at6native12_GLOBAL__N_18offset_tEEE10hipError_tPvRmT1_PNSt15iterator_traitsIS12_E10value_typeET2_T3_PNS13_IS18_E10value_typeET4_jRbjT5_S1E_jjP12ihipStream_tbEUljE_ZNSN_ISO_Lb1ESQ_SR_ST_SU_SY_EESZ_S10_S11_S12_S16_S17_S18_S1B_S1C_jS1D_jS1E_S1E_jjS1G_bEUljE0_EEESZ_S10_S11_S18_S1C_S1E_T6_T7_T9_mT8_S1G_bDpT10_ENKUlT_T0_E_clISt17integral_constantIbLb0EES1T_IbLb1EEEEDaS1P_S1Q_EUlS1P_E_NS1_11comp_targetILNS1_3genE2ELNS1_11target_archE906ELNS1_3gpuE6ELNS1_3repE0EEENS1_30default_config_static_selectorELNS0_4arch9wavefront6targetE0EEEvS12_,"axG",@progbits,_ZN7rocprim17ROCPRIM_400000_NS6detail17trampoline_kernelINS0_13select_configILj256ELj13ELNS0_17block_load_methodE3ELS4_3ELS4_3ELNS0_20block_scan_algorithmE0ELj4294967295EEENS1_25partition_config_selectorILNS1_17partition_subalgoE4EjNS0_10empty_typeEbEEZZNS1_14partition_implILS8_4ELb0ES6_15HIP_vector_typeIjLj2EENS0_17counting_iteratorIjlEEPS9_SG_NS0_5tupleIJPjSI_NS0_16reverse_iteratorISI_EEEEENSH_IJSG_SG_SG_EEES9_SI_JZNS1_25segmented_radix_sort_implINS0_14default_configELb1EPKaPaPKlPlN2at6native12_GLOBAL__N_18offset_tEEE10hipError_tPvRmT1_PNSt15iterator_traitsIS12_E10value_typeET2_T3_PNS13_IS18_E10value_typeET4_jRbjT5_S1E_jjP12ihipStream_tbEUljE_ZNSN_ISO_Lb1ESQ_SR_ST_SU_SY_EESZ_S10_S11_S12_S16_S17_S18_S1B_S1C_jS1D_jS1E_S1E_jjS1G_bEUljE0_EEESZ_S10_S11_S18_S1C_S1E_T6_T7_T9_mT8_S1G_bDpT10_ENKUlT_T0_E_clISt17integral_constantIbLb0EES1T_IbLb1EEEEDaS1P_S1Q_EUlS1P_E_NS1_11comp_targetILNS1_3genE2ELNS1_11target_archE906ELNS1_3gpuE6ELNS1_3repE0EEENS1_30default_config_static_selectorELNS0_4arch9wavefront6targetE0EEEvS12_,comdat
.Lfunc_end252:
	.size	_ZN7rocprim17ROCPRIM_400000_NS6detail17trampoline_kernelINS0_13select_configILj256ELj13ELNS0_17block_load_methodE3ELS4_3ELS4_3ELNS0_20block_scan_algorithmE0ELj4294967295EEENS1_25partition_config_selectorILNS1_17partition_subalgoE4EjNS0_10empty_typeEbEEZZNS1_14partition_implILS8_4ELb0ES6_15HIP_vector_typeIjLj2EENS0_17counting_iteratorIjlEEPS9_SG_NS0_5tupleIJPjSI_NS0_16reverse_iteratorISI_EEEEENSH_IJSG_SG_SG_EEES9_SI_JZNS1_25segmented_radix_sort_implINS0_14default_configELb1EPKaPaPKlPlN2at6native12_GLOBAL__N_18offset_tEEE10hipError_tPvRmT1_PNSt15iterator_traitsIS12_E10value_typeET2_T3_PNS13_IS18_E10value_typeET4_jRbjT5_S1E_jjP12ihipStream_tbEUljE_ZNSN_ISO_Lb1ESQ_SR_ST_SU_SY_EESZ_S10_S11_S12_S16_S17_S18_S1B_S1C_jS1D_jS1E_S1E_jjS1G_bEUljE0_EEESZ_S10_S11_S18_S1C_S1E_T6_T7_T9_mT8_S1G_bDpT10_ENKUlT_T0_E_clISt17integral_constantIbLb0EES1T_IbLb1EEEEDaS1P_S1Q_EUlS1P_E_NS1_11comp_targetILNS1_3genE2ELNS1_11target_archE906ELNS1_3gpuE6ELNS1_3repE0EEENS1_30default_config_static_selectorELNS0_4arch9wavefront6targetE0EEEvS12_, .Lfunc_end252-_ZN7rocprim17ROCPRIM_400000_NS6detail17trampoline_kernelINS0_13select_configILj256ELj13ELNS0_17block_load_methodE3ELS4_3ELS4_3ELNS0_20block_scan_algorithmE0ELj4294967295EEENS1_25partition_config_selectorILNS1_17partition_subalgoE4EjNS0_10empty_typeEbEEZZNS1_14partition_implILS8_4ELb0ES6_15HIP_vector_typeIjLj2EENS0_17counting_iteratorIjlEEPS9_SG_NS0_5tupleIJPjSI_NS0_16reverse_iteratorISI_EEEEENSH_IJSG_SG_SG_EEES9_SI_JZNS1_25segmented_radix_sort_implINS0_14default_configELb1EPKaPaPKlPlN2at6native12_GLOBAL__N_18offset_tEEE10hipError_tPvRmT1_PNSt15iterator_traitsIS12_E10value_typeET2_T3_PNS13_IS18_E10value_typeET4_jRbjT5_S1E_jjP12ihipStream_tbEUljE_ZNSN_ISO_Lb1ESQ_SR_ST_SU_SY_EESZ_S10_S11_S12_S16_S17_S18_S1B_S1C_jS1D_jS1E_S1E_jjS1G_bEUljE0_EEESZ_S10_S11_S18_S1C_S1E_T6_T7_T9_mT8_S1G_bDpT10_ENKUlT_T0_E_clISt17integral_constantIbLb0EES1T_IbLb1EEEEDaS1P_S1Q_EUlS1P_E_NS1_11comp_targetILNS1_3genE2ELNS1_11target_archE906ELNS1_3gpuE6ELNS1_3repE0EEENS1_30default_config_static_selectorELNS0_4arch9wavefront6targetE0EEEvS12_
                                        ; -- End function
	.set _ZN7rocprim17ROCPRIM_400000_NS6detail17trampoline_kernelINS0_13select_configILj256ELj13ELNS0_17block_load_methodE3ELS4_3ELS4_3ELNS0_20block_scan_algorithmE0ELj4294967295EEENS1_25partition_config_selectorILNS1_17partition_subalgoE4EjNS0_10empty_typeEbEEZZNS1_14partition_implILS8_4ELb0ES6_15HIP_vector_typeIjLj2EENS0_17counting_iteratorIjlEEPS9_SG_NS0_5tupleIJPjSI_NS0_16reverse_iteratorISI_EEEEENSH_IJSG_SG_SG_EEES9_SI_JZNS1_25segmented_radix_sort_implINS0_14default_configELb1EPKaPaPKlPlN2at6native12_GLOBAL__N_18offset_tEEE10hipError_tPvRmT1_PNSt15iterator_traitsIS12_E10value_typeET2_T3_PNS13_IS18_E10value_typeET4_jRbjT5_S1E_jjP12ihipStream_tbEUljE_ZNSN_ISO_Lb1ESQ_SR_ST_SU_SY_EESZ_S10_S11_S12_S16_S17_S18_S1B_S1C_jS1D_jS1E_S1E_jjS1G_bEUljE0_EEESZ_S10_S11_S18_S1C_S1E_T6_T7_T9_mT8_S1G_bDpT10_ENKUlT_T0_E_clISt17integral_constantIbLb0EES1T_IbLb1EEEEDaS1P_S1Q_EUlS1P_E_NS1_11comp_targetILNS1_3genE2ELNS1_11target_archE906ELNS1_3gpuE6ELNS1_3repE0EEENS1_30default_config_static_selectorELNS0_4arch9wavefront6targetE0EEEvS12_.num_vgpr, 0
	.set _ZN7rocprim17ROCPRIM_400000_NS6detail17trampoline_kernelINS0_13select_configILj256ELj13ELNS0_17block_load_methodE3ELS4_3ELS4_3ELNS0_20block_scan_algorithmE0ELj4294967295EEENS1_25partition_config_selectorILNS1_17partition_subalgoE4EjNS0_10empty_typeEbEEZZNS1_14partition_implILS8_4ELb0ES6_15HIP_vector_typeIjLj2EENS0_17counting_iteratorIjlEEPS9_SG_NS0_5tupleIJPjSI_NS0_16reverse_iteratorISI_EEEEENSH_IJSG_SG_SG_EEES9_SI_JZNS1_25segmented_radix_sort_implINS0_14default_configELb1EPKaPaPKlPlN2at6native12_GLOBAL__N_18offset_tEEE10hipError_tPvRmT1_PNSt15iterator_traitsIS12_E10value_typeET2_T3_PNS13_IS18_E10value_typeET4_jRbjT5_S1E_jjP12ihipStream_tbEUljE_ZNSN_ISO_Lb1ESQ_SR_ST_SU_SY_EESZ_S10_S11_S12_S16_S17_S18_S1B_S1C_jS1D_jS1E_S1E_jjS1G_bEUljE0_EEESZ_S10_S11_S18_S1C_S1E_T6_T7_T9_mT8_S1G_bDpT10_ENKUlT_T0_E_clISt17integral_constantIbLb0EES1T_IbLb1EEEEDaS1P_S1Q_EUlS1P_E_NS1_11comp_targetILNS1_3genE2ELNS1_11target_archE906ELNS1_3gpuE6ELNS1_3repE0EEENS1_30default_config_static_selectorELNS0_4arch9wavefront6targetE0EEEvS12_.num_agpr, 0
	.set _ZN7rocprim17ROCPRIM_400000_NS6detail17trampoline_kernelINS0_13select_configILj256ELj13ELNS0_17block_load_methodE3ELS4_3ELS4_3ELNS0_20block_scan_algorithmE0ELj4294967295EEENS1_25partition_config_selectorILNS1_17partition_subalgoE4EjNS0_10empty_typeEbEEZZNS1_14partition_implILS8_4ELb0ES6_15HIP_vector_typeIjLj2EENS0_17counting_iteratorIjlEEPS9_SG_NS0_5tupleIJPjSI_NS0_16reverse_iteratorISI_EEEEENSH_IJSG_SG_SG_EEES9_SI_JZNS1_25segmented_radix_sort_implINS0_14default_configELb1EPKaPaPKlPlN2at6native12_GLOBAL__N_18offset_tEEE10hipError_tPvRmT1_PNSt15iterator_traitsIS12_E10value_typeET2_T3_PNS13_IS18_E10value_typeET4_jRbjT5_S1E_jjP12ihipStream_tbEUljE_ZNSN_ISO_Lb1ESQ_SR_ST_SU_SY_EESZ_S10_S11_S12_S16_S17_S18_S1B_S1C_jS1D_jS1E_S1E_jjS1G_bEUljE0_EEESZ_S10_S11_S18_S1C_S1E_T6_T7_T9_mT8_S1G_bDpT10_ENKUlT_T0_E_clISt17integral_constantIbLb0EES1T_IbLb1EEEEDaS1P_S1Q_EUlS1P_E_NS1_11comp_targetILNS1_3genE2ELNS1_11target_archE906ELNS1_3gpuE6ELNS1_3repE0EEENS1_30default_config_static_selectorELNS0_4arch9wavefront6targetE0EEEvS12_.numbered_sgpr, 0
	.set _ZN7rocprim17ROCPRIM_400000_NS6detail17trampoline_kernelINS0_13select_configILj256ELj13ELNS0_17block_load_methodE3ELS4_3ELS4_3ELNS0_20block_scan_algorithmE0ELj4294967295EEENS1_25partition_config_selectorILNS1_17partition_subalgoE4EjNS0_10empty_typeEbEEZZNS1_14partition_implILS8_4ELb0ES6_15HIP_vector_typeIjLj2EENS0_17counting_iteratorIjlEEPS9_SG_NS0_5tupleIJPjSI_NS0_16reverse_iteratorISI_EEEEENSH_IJSG_SG_SG_EEES9_SI_JZNS1_25segmented_radix_sort_implINS0_14default_configELb1EPKaPaPKlPlN2at6native12_GLOBAL__N_18offset_tEEE10hipError_tPvRmT1_PNSt15iterator_traitsIS12_E10value_typeET2_T3_PNS13_IS18_E10value_typeET4_jRbjT5_S1E_jjP12ihipStream_tbEUljE_ZNSN_ISO_Lb1ESQ_SR_ST_SU_SY_EESZ_S10_S11_S12_S16_S17_S18_S1B_S1C_jS1D_jS1E_S1E_jjS1G_bEUljE0_EEESZ_S10_S11_S18_S1C_S1E_T6_T7_T9_mT8_S1G_bDpT10_ENKUlT_T0_E_clISt17integral_constantIbLb0EES1T_IbLb1EEEEDaS1P_S1Q_EUlS1P_E_NS1_11comp_targetILNS1_3genE2ELNS1_11target_archE906ELNS1_3gpuE6ELNS1_3repE0EEENS1_30default_config_static_selectorELNS0_4arch9wavefront6targetE0EEEvS12_.num_named_barrier, 0
	.set _ZN7rocprim17ROCPRIM_400000_NS6detail17trampoline_kernelINS0_13select_configILj256ELj13ELNS0_17block_load_methodE3ELS4_3ELS4_3ELNS0_20block_scan_algorithmE0ELj4294967295EEENS1_25partition_config_selectorILNS1_17partition_subalgoE4EjNS0_10empty_typeEbEEZZNS1_14partition_implILS8_4ELb0ES6_15HIP_vector_typeIjLj2EENS0_17counting_iteratorIjlEEPS9_SG_NS0_5tupleIJPjSI_NS0_16reverse_iteratorISI_EEEEENSH_IJSG_SG_SG_EEES9_SI_JZNS1_25segmented_radix_sort_implINS0_14default_configELb1EPKaPaPKlPlN2at6native12_GLOBAL__N_18offset_tEEE10hipError_tPvRmT1_PNSt15iterator_traitsIS12_E10value_typeET2_T3_PNS13_IS18_E10value_typeET4_jRbjT5_S1E_jjP12ihipStream_tbEUljE_ZNSN_ISO_Lb1ESQ_SR_ST_SU_SY_EESZ_S10_S11_S12_S16_S17_S18_S1B_S1C_jS1D_jS1E_S1E_jjS1G_bEUljE0_EEESZ_S10_S11_S18_S1C_S1E_T6_T7_T9_mT8_S1G_bDpT10_ENKUlT_T0_E_clISt17integral_constantIbLb0EES1T_IbLb1EEEEDaS1P_S1Q_EUlS1P_E_NS1_11comp_targetILNS1_3genE2ELNS1_11target_archE906ELNS1_3gpuE6ELNS1_3repE0EEENS1_30default_config_static_selectorELNS0_4arch9wavefront6targetE0EEEvS12_.private_seg_size, 0
	.set _ZN7rocprim17ROCPRIM_400000_NS6detail17trampoline_kernelINS0_13select_configILj256ELj13ELNS0_17block_load_methodE3ELS4_3ELS4_3ELNS0_20block_scan_algorithmE0ELj4294967295EEENS1_25partition_config_selectorILNS1_17partition_subalgoE4EjNS0_10empty_typeEbEEZZNS1_14partition_implILS8_4ELb0ES6_15HIP_vector_typeIjLj2EENS0_17counting_iteratorIjlEEPS9_SG_NS0_5tupleIJPjSI_NS0_16reverse_iteratorISI_EEEEENSH_IJSG_SG_SG_EEES9_SI_JZNS1_25segmented_radix_sort_implINS0_14default_configELb1EPKaPaPKlPlN2at6native12_GLOBAL__N_18offset_tEEE10hipError_tPvRmT1_PNSt15iterator_traitsIS12_E10value_typeET2_T3_PNS13_IS18_E10value_typeET4_jRbjT5_S1E_jjP12ihipStream_tbEUljE_ZNSN_ISO_Lb1ESQ_SR_ST_SU_SY_EESZ_S10_S11_S12_S16_S17_S18_S1B_S1C_jS1D_jS1E_S1E_jjS1G_bEUljE0_EEESZ_S10_S11_S18_S1C_S1E_T6_T7_T9_mT8_S1G_bDpT10_ENKUlT_T0_E_clISt17integral_constantIbLb0EES1T_IbLb1EEEEDaS1P_S1Q_EUlS1P_E_NS1_11comp_targetILNS1_3genE2ELNS1_11target_archE906ELNS1_3gpuE6ELNS1_3repE0EEENS1_30default_config_static_selectorELNS0_4arch9wavefront6targetE0EEEvS12_.uses_vcc, 0
	.set _ZN7rocprim17ROCPRIM_400000_NS6detail17trampoline_kernelINS0_13select_configILj256ELj13ELNS0_17block_load_methodE3ELS4_3ELS4_3ELNS0_20block_scan_algorithmE0ELj4294967295EEENS1_25partition_config_selectorILNS1_17partition_subalgoE4EjNS0_10empty_typeEbEEZZNS1_14partition_implILS8_4ELb0ES6_15HIP_vector_typeIjLj2EENS0_17counting_iteratorIjlEEPS9_SG_NS0_5tupleIJPjSI_NS0_16reverse_iteratorISI_EEEEENSH_IJSG_SG_SG_EEES9_SI_JZNS1_25segmented_radix_sort_implINS0_14default_configELb1EPKaPaPKlPlN2at6native12_GLOBAL__N_18offset_tEEE10hipError_tPvRmT1_PNSt15iterator_traitsIS12_E10value_typeET2_T3_PNS13_IS18_E10value_typeET4_jRbjT5_S1E_jjP12ihipStream_tbEUljE_ZNSN_ISO_Lb1ESQ_SR_ST_SU_SY_EESZ_S10_S11_S12_S16_S17_S18_S1B_S1C_jS1D_jS1E_S1E_jjS1G_bEUljE0_EEESZ_S10_S11_S18_S1C_S1E_T6_T7_T9_mT8_S1G_bDpT10_ENKUlT_T0_E_clISt17integral_constantIbLb0EES1T_IbLb1EEEEDaS1P_S1Q_EUlS1P_E_NS1_11comp_targetILNS1_3genE2ELNS1_11target_archE906ELNS1_3gpuE6ELNS1_3repE0EEENS1_30default_config_static_selectorELNS0_4arch9wavefront6targetE0EEEvS12_.uses_flat_scratch, 0
	.set _ZN7rocprim17ROCPRIM_400000_NS6detail17trampoline_kernelINS0_13select_configILj256ELj13ELNS0_17block_load_methodE3ELS4_3ELS4_3ELNS0_20block_scan_algorithmE0ELj4294967295EEENS1_25partition_config_selectorILNS1_17partition_subalgoE4EjNS0_10empty_typeEbEEZZNS1_14partition_implILS8_4ELb0ES6_15HIP_vector_typeIjLj2EENS0_17counting_iteratorIjlEEPS9_SG_NS0_5tupleIJPjSI_NS0_16reverse_iteratorISI_EEEEENSH_IJSG_SG_SG_EEES9_SI_JZNS1_25segmented_radix_sort_implINS0_14default_configELb1EPKaPaPKlPlN2at6native12_GLOBAL__N_18offset_tEEE10hipError_tPvRmT1_PNSt15iterator_traitsIS12_E10value_typeET2_T3_PNS13_IS18_E10value_typeET4_jRbjT5_S1E_jjP12ihipStream_tbEUljE_ZNSN_ISO_Lb1ESQ_SR_ST_SU_SY_EESZ_S10_S11_S12_S16_S17_S18_S1B_S1C_jS1D_jS1E_S1E_jjS1G_bEUljE0_EEESZ_S10_S11_S18_S1C_S1E_T6_T7_T9_mT8_S1G_bDpT10_ENKUlT_T0_E_clISt17integral_constantIbLb0EES1T_IbLb1EEEEDaS1P_S1Q_EUlS1P_E_NS1_11comp_targetILNS1_3genE2ELNS1_11target_archE906ELNS1_3gpuE6ELNS1_3repE0EEENS1_30default_config_static_selectorELNS0_4arch9wavefront6targetE0EEEvS12_.has_dyn_sized_stack, 0
	.set _ZN7rocprim17ROCPRIM_400000_NS6detail17trampoline_kernelINS0_13select_configILj256ELj13ELNS0_17block_load_methodE3ELS4_3ELS4_3ELNS0_20block_scan_algorithmE0ELj4294967295EEENS1_25partition_config_selectorILNS1_17partition_subalgoE4EjNS0_10empty_typeEbEEZZNS1_14partition_implILS8_4ELb0ES6_15HIP_vector_typeIjLj2EENS0_17counting_iteratorIjlEEPS9_SG_NS0_5tupleIJPjSI_NS0_16reverse_iteratorISI_EEEEENSH_IJSG_SG_SG_EEES9_SI_JZNS1_25segmented_radix_sort_implINS0_14default_configELb1EPKaPaPKlPlN2at6native12_GLOBAL__N_18offset_tEEE10hipError_tPvRmT1_PNSt15iterator_traitsIS12_E10value_typeET2_T3_PNS13_IS18_E10value_typeET4_jRbjT5_S1E_jjP12ihipStream_tbEUljE_ZNSN_ISO_Lb1ESQ_SR_ST_SU_SY_EESZ_S10_S11_S12_S16_S17_S18_S1B_S1C_jS1D_jS1E_S1E_jjS1G_bEUljE0_EEESZ_S10_S11_S18_S1C_S1E_T6_T7_T9_mT8_S1G_bDpT10_ENKUlT_T0_E_clISt17integral_constantIbLb0EES1T_IbLb1EEEEDaS1P_S1Q_EUlS1P_E_NS1_11comp_targetILNS1_3genE2ELNS1_11target_archE906ELNS1_3gpuE6ELNS1_3repE0EEENS1_30default_config_static_selectorELNS0_4arch9wavefront6targetE0EEEvS12_.has_recursion, 0
	.set _ZN7rocprim17ROCPRIM_400000_NS6detail17trampoline_kernelINS0_13select_configILj256ELj13ELNS0_17block_load_methodE3ELS4_3ELS4_3ELNS0_20block_scan_algorithmE0ELj4294967295EEENS1_25partition_config_selectorILNS1_17partition_subalgoE4EjNS0_10empty_typeEbEEZZNS1_14partition_implILS8_4ELb0ES6_15HIP_vector_typeIjLj2EENS0_17counting_iteratorIjlEEPS9_SG_NS0_5tupleIJPjSI_NS0_16reverse_iteratorISI_EEEEENSH_IJSG_SG_SG_EEES9_SI_JZNS1_25segmented_radix_sort_implINS0_14default_configELb1EPKaPaPKlPlN2at6native12_GLOBAL__N_18offset_tEEE10hipError_tPvRmT1_PNSt15iterator_traitsIS12_E10value_typeET2_T3_PNS13_IS18_E10value_typeET4_jRbjT5_S1E_jjP12ihipStream_tbEUljE_ZNSN_ISO_Lb1ESQ_SR_ST_SU_SY_EESZ_S10_S11_S12_S16_S17_S18_S1B_S1C_jS1D_jS1E_S1E_jjS1G_bEUljE0_EEESZ_S10_S11_S18_S1C_S1E_T6_T7_T9_mT8_S1G_bDpT10_ENKUlT_T0_E_clISt17integral_constantIbLb0EES1T_IbLb1EEEEDaS1P_S1Q_EUlS1P_E_NS1_11comp_targetILNS1_3genE2ELNS1_11target_archE906ELNS1_3gpuE6ELNS1_3repE0EEENS1_30default_config_static_selectorELNS0_4arch9wavefront6targetE0EEEvS12_.has_indirect_call, 0
	.section	.AMDGPU.csdata,"",@progbits
; Kernel info:
; codeLenInByte = 0
; TotalNumSgprs: 0
; NumVgprs: 0
; ScratchSize: 0
; MemoryBound: 0
; FloatMode: 240
; IeeeMode: 1
; LDSByteSize: 0 bytes/workgroup (compile time only)
; SGPRBlocks: 0
; VGPRBlocks: 0
; NumSGPRsForWavesPerEU: 1
; NumVGPRsForWavesPerEU: 1
; Occupancy: 16
; WaveLimiterHint : 0
; COMPUTE_PGM_RSRC2:SCRATCH_EN: 0
; COMPUTE_PGM_RSRC2:USER_SGPR: 6
; COMPUTE_PGM_RSRC2:TRAP_HANDLER: 0
; COMPUTE_PGM_RSRC2:TGID_X_EN: 1
; COMPUTE_PGM_RSRC2:TGID_Y_EN: 0
; COMPUTE_PGM_RSRC2:TGID_Z_EN: 0
; COMPUTE_PGM_RSRC2:TIDIG_COMP_CNT: 0
	.section	.text._ZN7rocprim17ROCPRIM_400000_NS6detail17trampoline_kernelINS0_13select_configILj256ELj13ELNS0_17block_load_methodE3ELS4_3ELS4_3ELNS0_20block_scan_algorithmE0ELj4294967295EEENS1_25partition_config_selectorILNS1_17partition_subalgoE4EjNS0_10empty_typeEbEEZZNS1_14partition_implILS8_4ELb0ES6_15HIP_vector_typeIjLj2EENS0_17counting_iteratorIjlEEPS9_SG_NS0_5tupleIJPjSI_NS0_16reverse_iteratorISI_EEEEENSH_IJSG_SG_SG_EEES9_SI_JZNS1_25segmented_radix_sort_implINS0_14default_configELb1EPKaPaPKlPlN2at6native12_GLOBAL__N_18offset_tEEE10hipError_tPvRmT1_PNSt15iterator_traitsIS12_E10value_typeET2_T3_PNS13_IS18_E10value_typeET4_jRbjT5_S1E_jjP12ihipStream_tbEUljE_ZNSN_ISO_Lb1ESQ_SR_ST_SU_SY_EESZ_S10_S11_S12_S16_S17_S18_S1B_S1C_jS1D_jS1E_S1E_jjS1G_bEUljE0_EEESZ_S10_S11_S18_S1C_S1E_T6_T7_T9_mT8_S1G_bDpT10_ENKUlT_T0_E_clISt17integral_constantIbLb0EES1T_IbLb1EEEEDaS1P_S1Q_EUlS1P_E_NS1_11comp_targetILNS1_3genE10ELNS1_11target_archE1200ELNS1_3gpuE4ELNS1_3repE0EEENS1_30default_config_static_selectorELNS0_4arch9wavefront6targetE0EEEvS12_,"axG",@progbits,_ZN7rocprim17ROCPRIM_400000_NS6detail17trampoline_kernelINS0_13select_configILj256ELj13ELNS0_17block_load_methodE3ELS4_3ELS4_3ELNS0_20block_scan_algorithmE0ELj4294967295EEENS1_25partition_config_selectorILNS1_17partition_subalgoE4EjNS0_10empty_typeEbEEZZNS1_14partition_implILS8_4ELb0ES6_15HIP_vector_typeIjLj2EENS0_17counting_iteratorIjlEEPS9_SG_NS0_5tupleIJPjSI_NS0_16reverse_iteratorISI_EEEEENSH_IJSG_SG_SG_EEES9_SI_JZNS1_25segmented_radix_sort_implINS0_14default_configELb1EPKaPaPKlPlN2at6native12_GLOBAL__N_18offset_tEEE10hipError_tPvRmT1_PNSt15iterator_traitsIS12_E10value_typeET2_T3_PNS13_IS18_E10value_typeET4_jRbjT5_S1E_jjP12ihipStream_tbEUljE_ZNSN_ISO_Lb1ESQ_SR_ST_SU_SY_EESZ_S10_S11_S12_S16_S17_S18_S1B_S1C_jS1D_jS1E_S1E_jjS1G_bEUljE0_EEESZ_S10_S11_S18_S1C_S1E_T6_T7_T9_mT8_S1G_bDpT10_ENKUlT_T0_E_clISt17integral_constantIbLb0EES1T_IbLb1EEEEDaS1P_S1Q_EUlS1P_E_NS1_11comp_targetILNS1_3genE10ELNS1_11target_archE1200ELNS1_3gpuE4ELNS1_3repE0EEENS1_30default_config_static_selectorELNS0_4arch9wavefront6targetE0EEEvS12_,comdat
	.globl	_ZN7rocprim17ROCPRIM_400000_NS6detail17trampoline_kernelINS0_13select_configILj256ELj13ELNS0_17block_load_methodE3ELS4_3ELS4_3ELNS0_20block_scan_algorithmE0ELj4294967295EEENS1_25partition_config_selectorILNS1_17partition_subalgoE4EjNS0_10empty_typeEbEEZZNS1_14partition_implILS8_4ELb0ES6_15HIP_vector_typeIjLj2EENS0_17counting_iteratorIjlEEPS9_SG_NS0_5tupleIJPjSI_NS0_16reverse_iteratorISI_EEEEENSH_IJSG_SG_SG_EEES9_SI_JZNS1_25segmented_radix_sort_implINS0_14default_configELb1EPKaPaPKlPlN2at6native12_GLOBAL__N_18offset_tEEE10hipError_tPvRmT1_PNSt15iterator_traitsIS12_E10value_typeET2_T3_PNS13_IS18_E10value_typeET4_jRbjT5_S1E_jjP12ihipStream_tbEUljE_ZNSN_ISO_Lb1ESQ_SR_ST_SU_SY_EESZ_S10_S11_S12_S16_S17_S18_S1B_S1C_jS1D_jS1E_S1E_jjS1G_bEUljE0_EEESZ_S10_S11_S18_S1C_S1E_T6_T7_T9_mT8_S1G_bDpT10_ENKUlT_T0_E_clISt17integral_constantIbLb0EES1T_IbLb1EEEEDaS1P_S1Q_EUlS1P_E_NS1_11comp_targetILNS1_3genE10ELNS1_11target_archE1200ELNS1_3gpuE4ELNS1_3repE0EEENS1_30default_config_static_selectorELNS0_4arch9wavefront6targetE0EEEvS12_ ; -- Begin function _ZN7rocprim17ROCPRIM_400000_NS6detail17trampoline_kernelINS0_13select_configILj256ELj13ELNS0_17block_load_methodE3ELS4_3ELS4_3ELNS0_20block_scan_algorithmE0ELj4294967295EEENS1_25partition_config_selectorILNS1_17partition_subalgoE4EjNS0_10empty_typeEbEEZZNS1_14partition_implILS8_4ELb0ES6_15HIP_vector_typeIjLj2EENS0_17counting_iteratorIjlEEPS9_SG_NS0_5tupleIJPjSI_NS0_16reverse_iteratorISI_EEEEENSH_IJSG_SG_SG_EEES9_SI_JZNS1_25segmented_radix_sort_implINS0_14default_configELb1EPKaPaPKlPlN2at6native12_GLOBAL__N_18offset_tEEE10hipError_tPvRmT1_PNSt15iterator_traitsIS12_E10value_typeET2_T3_PNS13_IS18_E10value_typeET4_jRbjT5_S1E_jjP12ihipStream_tbEUljE_ZNSN_ISO_Lb1ESQ_SR_ST_SU_SY_EESZ_S10_S11_S12_S16_S17_S18_S1B_S1C_jS1D_jS1E_S1E_jjS1G_bEUljE0_EEESZ_S10_S11_S18_S1C_S1E_T6_T7_T9_mT8_S1G_bDpT10_ENKUlT_T0_E_clISt17integral_constantIbLb0EES1T_IbLb1EEEEDaS1P_S1Q_EUlS1P_E_NS1_11comp_targetILNS1_3genE10ELNS1_11target_archE1200ELNS1_3gpuE4ELNS1_3repE0EEENS1_30default_config_static_selectorELNS0_4arch9wavefront6targetE0EEEvS12_
	.p2align	8
	.type	_ZN7rocprim17ROCPRIM_400000_NS6detail17trampoline_kernelINS0_13select_configILj256ELj13ELNS0_17block_load_methodE3ELS4_3ELS4_3ELNS0_20block_scan_algorithmE0ELj4294967295EEENS1_25partition_config_selectorILNS1_17partition_subalgoE4EjNS0_10empty_typeEbEEZZNS1_14partition_implILS8_4ELb0ES6_15HIP_vector_typeIjLj2EENS0_17counting_iteratorIjlEEPS9_SG_NS0_5tupleIJPjSI_NS0_16reverse_iteratorISI_EEEEENSH_IJSG_SG_SG_EEES9_SI_JZNS1_25segmented_radix_sort_implINS0_14default_configELb1EPKaPaPKlPlN2at6native12_GLOBAL__N_18offset_tEEE10hipError_tPvRmT1_PNSt15iterator_traitsIS12_E10value_typeET2_T3_PNS13_IS18_E10value_typeET4_jRbjT5_S1E_jjP12ihipStream_tbEUljE_ZNSN_ISO_Lb1ESQ_SR_ST_SU_SY_EESZ_S10_S11_S12_S16_S17_S18_S1B_S1C_jS1D_jS1E_S1E_jjS1G_bEUljE0_EEESZ_S10_S11_S18_S1C_S1E_T6_T7_T9_mT8_S1G_bDpT10_ENKUlT_T0_E_clISt17integral_constantIbLb0EES1T_IbLb1EEEEDaS1P_S1Q_EUlS1P_E_NS1_11comp_targetILNS1_3genE10ELNS1_11target_archE1200ELNS1_3gpuE4ELNS1_3repE0EEENS1_30default_config_static_selectorELNS0_4arch9wavefront6targetE0EEEvS12_,@function
_ZN7rocprim17ROCPRIM_400000_NS6detail17trampoline_kernelINS0_13select_configILj256ELj13ELNS0_17block_load_methodE3ELS4_3ELS4_3ELNS0_20block_scan_algorithmE0ELj4294967295EEENS1_25partition_config_selectorILNS1_17partition_subalgoE4EjNS0_10empty_typeEbEEZZNS1_14partition_implILS8_4ELb0ES6_15HIP_vector_typeIjLj2EENS0_17counting_iteratorIjlEEPS9_SG_NS0_5tupleIJPjSI_NS0_16reverse_iteratorISI_EEEEENSH_IJSG_SG_SG_EEES9_SI_JZNS1_25segmented_radix_sort_implINS0_14default_configELb1EPKaPaPKlPlN2at6native12_GLOBAL__N_18offset_tEEE10hipError_tPvRmT1_PNSt15iterator_traitsIS12_E10value_typeET2_T3_PNS13_IS18_E10value_typeET4_jRbjT5_S1E_jjP12ihipStream_tbEUljE_ZNSN_ISO_Lb1ESQ_SR_ST_SU_SY_EESZ_S10_S11_S12_S16_S17_S18_S1B_S1C_jS1D_jS1E_S1E_jjS1G_bEUljE0_EEESZ_S10_S11_S18_S1C_S1E_T6_T7_T9_mT8_S1G_bDpT10_ENKUlT_T0_E_clISt17integral_constantIbLb0EES1T_IbLb1EEEEDaS1P_S1Q_EUlS1P_E_NS1_11comp_targetILNS1_3genE10ELNS1_11target_archE1200ELNS1_3gpuE4ELNS1_3repE0EEENS1_30default_config_static_selectorELNS0_4arch9wavefront6targetE0EEEvS12_: ; @_ZN7rocprim17ROCPRIM_400000_NS6detail17trampoline_kernelINS0_13select_configILj256ELj13ELNS0_17block_load_methodE3ELS4_3ELS4_3ELNS0_20block_scan_algorithmE0ELj4294967295EEENS1_25partition_config_selectorILNS1_17partition_subalgoE4EjNS0_10empty_typeEbEEZZNS1_14partition_implILS8_4ELb0ES6_15HIP_vector_typeIjLj2EENS0_17counting_iteratorIjlEEPS9_SG_NS0_5tupleIJPjSI_NS0_16reverse_iteratorISI_EEEEENSH_IJSG_SG_SG_EEES9_SI_JZNS1_25segmented_radix_sort_implINS0_14default_configELb1EPKaPaPKlPlN2at6native12_GLOBAL__N_18offset_tEEE10hipError_tPvRmT1_PNSt15iterator_traitsIS12_E10value_typeET2_T3_PNS13_IS18_E10value_typeET4_jRbjT5_S1E_jjP12ihipStream_tbEUljE_ZNSN_ISO_Lb1ESQ_SR_ST_SU_SY_EESZ_S10_S11_S12_S16_S17_S18_S1B_S1C_jS1D_jS1E_S1E_jjS1G_bEUljE0_EEESZ_S10_S11_S18_S1C_S1E_T6_T7_T9_mT8_S1G_bDpT10_ENKUlT_T0_E_clISt17integral_constantIbLb0EES1T_IbLb1EEEEDaS1P_S1Q_EUlS1P_E_NS1_11comp_targetILNS1_3genE10ELNS1_11target_archE1200ELNS1_3gpuE4ELNS1_3repE0EEENS1_30default_config_static_selectorELNS0_4arch9wavefront6targetE0EEEvS12_
; %bb.0:
	.section	.rodata,"a",@progbits
	.p2align	6, 0x0
	.amdhsa_kernel _ZN7rocprim17ROCPRIM_400000_NS6detail17trampoline_kernelINS0_13select_configILj256ELj13ELNS0_17block_load_methodE3ELS4_3ELS4_3ELNS0_20block_scan_algorithmE0ELj4294967295EEENS1_25partition_config_selectorILNS1_17partition_subalgoE4EjNS0_10empty_typeEbEEZZNS1_14partition_implILS8_4ELb0ES6_15HIP_vector_typeIjLj2EENS0_17counting_iteratorIjlEEPS9_SG_NS0_5tupleIJPjSI_NS0_16reverse_iteratorISI_EEEEENSH_IJSG_SG_SG_EEES9_SI_JZNS1_25segmented_radix_sort_implINS0_14default_configELb1EPKaPaPKlPlN2at6native12_GLOBAL__N_18offset_tEEE10hipError_tPvRmT1_PNSt15iterator_traitsIS12_E10value_typeET2_T3_PNS13_IS18_E10value_typeET4_jRbjT5_S1E_jjP12ihipStream_tbEUljE_ZNSN_ISO_Lb1ESQ_SR_ST_SU_SY_EESZ_S10_S11_S12_S16_S17_S18_S1B_S1C_jS1D_jS1E_S1E_jjS1G_bEUljE0_EEESZ_S10_S11_S18_S1C_S1E_T6_T7_T9_mT8_S1G_bDpT10_ENKUlT_T0_E_clISt17integral_constantIbLb0EES1T_IbLb1EEEEDaS1P_S1Q_EUlS1P_E_NS1_11comp_targetILNS1_3genE10ELNS1_11target_archE1200ELNS1_3gpuE4ELNS1_3repE0EEENS1_30default_config_static_selectorELNS0_4arch9wavefront6targetE0EEEvS12_
		.amdhsa_group_segment_fixed_size 0
		.amdhsa_private_segment_fixed_size 0
		.amdhsa_kernarg_size 184
		.amdhsa_user_sgpr_count 6
		.amdhsa_user_sgpr_private_segment_buffer 1
		.amdhsa_user_sgpr_dispatch_ptr 0
		.amdhsa_user_sgpr_queue_ptr 0
		.amdhsa_user_sgpr_kernarg_segment_ptr 1
		.amdhsa_user_sgpr_dispatch_id 0
		.amdhsa_user_sgpr_flat_scratch_init 0
		.amdhsa_user_sgpr_private_segment_size 0
		.amdhsa_wavefront_size32 1
		.amdhsa_uses_dynamic_stack 0
		.amdhsa_system_sgpr_private_segment_wavefront_offset 0
		.amdhsa_system_sgpr_workgroup_id_x 1
		.amdhsa_system_sgpr_workgroup_id_y 0
		.amdhsa_system_sgpr_workgroup_id_z 0
		.amdhsa_system_sgpr_workgroup_info 0
		.amdhsa_system_vgpr_workitem_id 0
		.amdhsa_next_free_vgpr 1
		.amdhsa_next_free_sgpr 1
		.amdhsa_reserve_vcc 0
		.amdhsa_reserve_flat_scratch 0
		.amdhsa_float_round_mode_32 0
		.amdhsa_float_round_mode_16_64 0
		.amdhsa_float_denorm_mode_32 3
		.amdhsa_float_denorm_mode_16_64 3
		.amdhsa_dx10_clamp 1
		.amdhsa_ieee_mode 1
		.amdhsa_fp16_overflow 0
		.amdhsa_workgroup_processor_mode 1
		.amdhsa_memory_ordered 1
		.amdhsa_forward_progress 1
		.amdhsa_shared_vgpr_count 0
		.amdhsa_exception_fp_ieee_invalid_op 0
		.amdhsa_exception_fp_denorm_src 0
		.amdhsa_exception_fp_ieee_div_zero 0
		.amdhsa_exception_fp_ieee_overflow 0
		.amdhsa_exception_fp_ieee_underflow 0
		.amdhsa_exception_fp_ieee_inexact 0
		.amdhsa_exception_int_div_zero 0
	.end_amdhsa_kernel
	.section	.text._ZN7rocprim17ROCPRIM_400000_NS6detail17trampoline_kernelINS0_13select_configILj256ELj13ELNS0_17block_load_methodE3ELS4_3ELS4_3ELNS0_20block_scan_algorithmE0ELj4294967295EEENS1_25partition_config_selectorILNS1_17partition_subalgoE4EjNS0_10empty_typeEbEEZZNS1_14partition_implILS8_4ELb0ES6_15HIP_vector_typeIjLj2EENS0_17counting_iteratorIjlEEPS9_SG_NS0_5tupleIJPjSI_NS0_16reverse_iteratorISI_EEEEENSH_IJSG_SG_SG_EEES9_SI_JZNS1_25segmented_radix_sort_implINS0_14default_configELb1EPKaPaPKlPlN2at6native12_GLOBAL__N_18offset_tEEE10hipError_tPvRmT1_PNSt15iterator_traitsIS12_E10value_typeET2_T3_PNS13_IS18_E10value_typeET4_jRbjT5_S1E_jjP12ihipStream_tbEUljE_ZNSN_ISO_Lb1ESQ_SR_ST_SU_SY_EESZ_S10_S11_S12_S16_S17_S18_S1B_S1C_jS1D_jS1E_S1E_jjS1G_bEUljE0_EEESZ_S10_S11_S18_S1C_S1E_T6_T7_T9_mT8_S1G_bDpT10_ENKUlT_T0_E_clISt17integral_constantIbLb0EES1T_IbLb1EEEEDaS1P_S1Q_EUlS1P_E_NS1_11comp_targetILNS1_3genE10ELNS1_11target_archE1200ELNS1_3gpuE4ELNS1_3repE0EEENS1_30default_config_static_selectorELNS0_4arch9wavefront6targetE0EEEvS12_,"axG",@progbits,_ZN7rocprim17ROCPRIM_400000_NS6detail17trampoline_kernelINS0_13select_configILj256ELj13ELNS0_17block_load_methodE3ELS4_3ELS4_3ELNS0_20block_scan_algorithmE0ELj4294967295EEENS1_25partition_config_selectorILNS1_17partition_subalgoE4EjNS0_10empty_typeEbEEZZNS1_14partition_implILS8_4ELb0ES6_15HIP_vector_typeIjLj2EENS0_17counting_iteratorIjlEEPS9_SG_NS0_5tupleIJPjSI_NS0_16reverse_iteratorISI_EEEEENSH_IJSG_SG_SG_EEES9_SI_JZNS1_25segmented_radix_sort_implINS0_14default_configELb1EPKaPaPKlPlN2at6native12_GLOBAL__N_18offset_tEEE10hipError_tPvRmT1_PNSt15iterator_traitsIS12_E10value_typeET2_T3_PNS13_IS18_E10value_typeET4_jRbjT5_S1E_jjP12ihipStream_tbEUljE_ZNSN_ISO_Lb1ESQ_SR_ST_SU_SY_EESZ_S10_S11_S12_S16_S17_S18_S1B_S1C_jS1D_jS1E_S1E_jjS1G_bEUljE0_EEESZ_S10_S11_S18_S1C_S1E_T6_T7_T9_mT8_S1G_bDpT10_ENKUlT_T0_E_clISt17integral_constantIbLb0EES1T_IbLb1EEEEDaS1P_S1Q_EUlS1P_E_NS1_11comp_targetILNS1_3genE10ELNS1_11target_archE1200ELNS1_3gpuE4ELNS1_3repE0EEENS1_30default_config_static_selectorELNS0_4arch9wavefront6targetE0EEEvS12_,comdat
.Lfunc_end253:
	.size	_ZN7rocprim17ROCPRIM_400000_NS6detail17trampoline_kernelINS0_13select_configILj256ELj13ELNS0_17block_load_methodE3ELS4_3ELS4_3ELNS0_20block_scan_algorithmE0ELj4294967295EEENS1_25partition_config_selectorILNS1_17partition_subalgoE4EjNS0_10empty_typeEbEEZZNS1_14partition_implILS8_4ELb0ES6_15HIP_vector_typeIjLj2EENS0_17counting_iteratorIjlEEPS9_SG_NS0_5tupleIJPjSI_NS0_16reverse_iteratorISI_EEEEENSH_IJSG_SG_SG_EEES9_SI_JZNS1_25segmented_radix_sort_implINS0_14default_configELb1EPKaPaPKlPlN2at6native12_GLOBAL__N_18offset_tEEE10hipError_tPvRmT1_PNSt15iterator_traitsIS12_E10value_typeET2_T3_PNS13_IS18_E10value_typeET4_jRbjT5_S1E_jjP12ihipStream_tbEUljE_ZNSN_ISO_Lb1ESQ_SR_ST_SU_SY_EESZ_S10_S11_S12_S16_S17_S18_S1B_S1C_jS1D_jS1E_S1E_jjS1G_bEUljE0_EEESZ_S10_S11_S18_S1C_S1E_T6_T7_T9_mT8_S1G_bDpT10_ENKUlT_T0_E_clISt17integral_constantIbLb0EES1T_IbLb1EEEEDaS1P_S1Q_EUlS1P_E_NS1_11comp_targetILNS1_3genE10ELNS1_11target_archE1200ELNS1_3gpuE4ELNS1_3repE0EEENS1_30default_config_static_selectorELNS0_4arch9wavefront6targetE0EEEvS12_, .Lfunc_end253-_ZN7rocprim17ROCPRIM_400000_NS6detail17trampoline_kernelINS0_13select_configILj256ELj13ELNS0_17block_load_methodE3ELS4_3ELS4_3ELNS0_20block_scan_algorithmE0ELj4294967295EEENS1_25partition_config_selectorILNS1_17partition_subalgoE4EjNS0_10empty_typeEbEEZZNS1_14partition_implILS8_4ELb0ES6_15HIP_vector_typeIjLj2EENS0_17counting_iteratorIjlEEPS9_SG_NS0_5tupleIJPjSI_NS0_16reverse_iteratorISI_EEEEENSH_IJSG_SG_SG_EEES9_SI_JZNS1_25segmented_radix_sort_implINS0_14default_configELb1EPKaPaPKlPlN2at6native12_GLOBAL__N_18offset_tEEE10hipError_tPvRmT1_PNSt15iterator_traitsIS12_E10value_typeET2_T3_PNS13_IS18_E10value_typeET4_jRbjT5_S1E_jjP12ihipStream_tbEUljE_ZNSN_ISO_Lb1ESQ_SR_ST_SU_SY_EESZ_S10_S11_S12_S16_S17_S18_S1B_S1C_jS1D_jS1E_S1E_jjS1G_bEUljE0_EEESZ_S10_S11_S18_S1C_S1E_T6_T7_T9_mT8_S1G_bDpT10_ENKUlT_T0_E_clISt17integral_constantIbLb0EES1T_IbLb1EEEEDaS1P_S1Q_EUlS1P_E_NS1_11comp_targetILNS1_3genE10ELNS1_11target_archE1200ELNS1_3gpuE4ELNS1_3repE0EEENS1_30default_config_static_selectorELNS0_4arch9wavefront6targetE0EEEvS12_
                                        ; -- End function
	.set _ZN7rocprim17ROCPRIM_400000_NS6detail17trampoline_kernelINS0_13select_configILj256ELj13ELNS0_17block_load_methodE3ELS4_3ELS4_3ELNS0_20block_scan_algorithmE0ELj4294967295EEENS1_25partition_config_selectorILNS1_17partition_subalgoE4EjNS0_10empty_typeEbEEZZNS1_14partition_implILS8_4ELb0ES6_15HIP_vector_typeIjLj2EENS0_17counting_iteratorIjlEEPS9_SG_NS0_5tupleIJPjSI_NS0_16reverse_iteratorISI_EEEEENSH_IJSG_SG_SG_EEES9_SI_JZNS1_25segmented_radix_sort_implINS0_14default_configELb1EPKaPaPKlPlN2at6native12_GLOBAL__N_18offset_tEEE10hipError_tPvRmT1_PNSt15iterator_traitsIS12_E10value_typeET2_T3_PNS13_IS18_E10value_typeET4_jRbjT5_S1E_jjP12ihipStream_tbEUljE_ZNSN_ISO_Lb1ESQ_SR_ST_SU_SY_EESZ_S10_S11_S12_S16_S17_S18_S1B_S1C_jS1D_jS1E_S1E_jjS1G_bEUljE0_EEESZ_S10_S11_S18_S1C_S1E_T6_T7_T9_mT8_S1G_bDpT10_ENKUlT_T0_E_clISt17integral_constantIbLb0EES1T_IbLb1EEEEDaS1P_S1Q_EUlS1P_E_NS1_11comp_targetILNS1_3genE10ELNS1_11target_archE1200ELNS1_3gpuE4ELNS1_3repE0EEENS1_30default_config_static_selectorELNS0_4arch9wavefront6targetE0EEEvS12_.num_vgpr, 0
	.set _ZN7rocprim17ROCPRIM_400000_NS6detail17trampoline_kernelINS0_13select_configILj256ELj13ELNS0_17block_load_methodE3ELS4_3ELS4_3ELNS0_20block_scan_algorithmE0ELj4294967295EEENS1_25partition_config_selectorILNS1_17partition_subalgoE4EjNS0_10empty_typeEbEEZZNS1_14partition_implILS8_4ELb0ES6_15HIP_vector_typeIjLj2EENS0_17counting_iteratorIjlEEPS9_SG_NS0_5tupleIJPjSI_NS0_16reverse_iteratorISI_EEEEENSH_IJSG_SG_SG_EEES9_SI_JZNS1_25segmented_radix_sort_implINS0_14default_configELb1EPKaPaPKlPlN2at6native12_GLOBAL__N_18offset_tEEE10hipError_tPvRmT1_PNSt15iterator_traitsIS12_E10value_typeET2_T3_PNS13_IS18_E10value_typeET4_jRbjT5_S1E_jjP12ihipStream_tbEUljE_ZNSN_ISO_Lb1ESQ_SR_ST_SU_SY_EESZ_S10_S11_S12_S16_S17_S18_S1B_S1C_jS1D_jS1E_S1E_jjS1G_bEUljE0_EEESZ_S10_S11_S18_S1C_S1E_T6_T7_T9_mT8_S1G_bDpT10_ENKUlT_T0_E_clISt17integral_constantIbLb0EES1T_IbLb1EEEEDaS1P_S1Q_EUlS1P_E_NS1_11comp_targetILNS1_3genE10ELNS1_11target_archE1200ELNS1_3gpuE4ELNS1_3repE0EEENS1_30default_config_static_selectorELNS0_4arch9wavefront6targetE0EEEvS12_.num_agpr, 0
	.set _ZN7rocprim17ROCPRIM_400000_NS6detail17trampoline_kernelINS0_13select_configILj256ELj13ELNS0_17block_load_methodE3ELS4_3ELS4_3ELNS0_20block_scan_algorithmE0ELj4294967295EEENS1_25partition_config_selectorILNS1_17partition_subalgoE4EjNS0_10empty_typeEbEEZZNS1_14partition_implILS8_4ELb0ES6_15HIP_vector_typeIjLj2EENS0_17counting_iteratorIjlEEPS9_SG_NS0_5tupleIJPjSI_NS0_16reverse_iteratorISI_EEEEENSH_IJSG_SG_SG_EEES9_SI_JZNS1_25segmented_radix_sort_implINS0_14default_configELb1EPKaPaPKlPlN2at6native12_GLOBAL__N_18offset_tEEE10hipError_tPvRmT1_PNSt15iterator_traitsIS12_E10value_typeET2_T3_PNS13_IS18_E10value_typeET4_jRbjT5_S1E_jjP12ihipStream_tbEUljE_ZNSN_ISO_Lb1ESQ_SR_ST_SU_SY_EESZ_S10_S11_S12_S16_S17_S18_S1B_S1C_jS1D_jS1E_S1E_jjS1G_bEUljE0_EEESZ_S10_S11_S18_S1C_S1E_T6_T7_T9_mT8_S1G_bDpT10_ENKUlT_T0_E_clISt17integral_constantIbLb0EES1T_IbLb1EEEEDaS1P_S1Q_EUlS1P_E_NS1_11comp_targetILNS1_3genE10ELNS1_11target_archE1200ELNS1_3gpuE4ELNS1_3repE0EEENS1_30default_config_static_selectorELNS0_4arch9wavefront6targetE0EEEvS12_.numbered_sgpr, 0
	.set _ZN7rocprim17ROCPRIM_400000_NS6detail17trampoline_kernelINS0_13select_configILj256ELj13ELNS0_17block_load_methodE3ELS4_3ELS4_3ELNS0_20block_scan_algorithmE0ELj4294967295EEENS1_25partition_config_selectorILNS1_17partition_subalgoE4EjNS0_10empty_typeEbEEZZNS1_14partition_implILS8_4ELb0ES6_15HIP_vector_typeIjLj2EENS0_17counting_iteratorIjlEEPS9_SG_NS0_5tupleIJPjSI_NS0_16reverse_iteratorISI_EEEEENSH_IJSG_SG_SG_EEES9_SI_JZNS1_25segmented_radix_sort_implINS0_14default_configELb1EPKaPaPKlPlN2at6native12_GLOBAL__N_18offset_tEEE10hipError_tPvRmT1_PNSt15iterator_traitsIS12_E10value_typeET2_T3_PNS13_IS18_E10value_typeET4_jRbjT5_S1E_jjP12ihipStream_tbEUljE_ZNSN_ISO_Lb1ESQ_SR_ST_SU_SY_EESZ_S10_S11_S12_S16_S17_S18_S1B_S1C_jS1D_jS1E_S1E_jjS1G_bEUljE0_EEESZ_S10_S11_S18_S1C_S1E_T6_T7_T9_mT8_S1G_bDpT10_ENKUlT_T0_E_clISt17integral_constantIbLb0EES1T_IbLb1EEEEDaS1P_S1Q_EUlS1P_E_NS1_11comp_targetILNS1_3genE10ELNS1_11target_archE1200ELNS1_3gpuE4ELNS1_3repE0EEENS1_30default_config_static_selectorELNS0_4arch9wavefront6targetE0EEEvS12_.num_named_barrier, 0
	.set _ZN7rocprim17ROCPRIM_400000_NS6detail17trampoline_kernelINS0_13select_configILj256ELj13ELNS0_17block_load_methodE3ELS4_3ELS4_3ELNS0_20block_scan_algorithmE0ELj4294967295EEENS1_25partition_config_selectorILNS1_17partition_subalgoE4EjNS0_10empty_typeEbEEZZNS1_14partition_implILS8_4ELb0ES6_15HIP_vector_typeIjLj2EENS0_17counting_iteratorIjlEEPS9_SG_NS0_5tupleIJPjSI_NS0_16reverse_iteratorISI_EEEEENSH_IJSG_SG_SG_EEES9_SI_JZNS1_25segmented_radix_sort_implINS0_14default_configELb1EPKaPaPKlPlN2at6native12_GLOBAL__N_18offset_tEEE10hipError_tPvRmT1_PNSt15iterator_traitsIS12_E10value_typeET2_T3_PNS13_IS18_E10value_typeET4_jRbjT5_S1E_jjP12ihipStream_tbEUljE_ZNSN_ISO_Lb1ESQ_SR_ST_SU_SY_EESZ_S10_S11_S12_S16_S17_S18_S1B_S1C_jS1D_jS1E_S1E_jjS1G_bEUljE0_EEESZ_S10_S11_S18_S1C_S1E_T6_T7_T9_mT8_S1G_bDpT10_ENKUlT_T0_E_clISt17integral_constantIbLb0EES1T_IbLb1EEEEDaS1P_S1Q_EUlS1P_E_NS1_11comp_targetILNS1_3genE10ELNS1_11target_archE1200ELNS1_3gpuE4ELNS1_3repE0EEENS1_30default_config_static_selectorELNS0_4arch9wavefront6targetE0EEEvS12_.private_seg_size, 0
	.set _ZN7rocprim17ROCPRIM_400000_NS6detail17trampoline_kernelINS0_13select_configILj256ELj13ELNS0_17block_load_methodE3ELS4_3ELS4_3ELNS0_20block_scan_algorithmE0ELj4294967295EEENS1_25partition_config_selectorILNS1_17partition_subalgoE4EjNS0_10empty_typeEbEEZZNS1_14partition_implILS8_4ELb0ES6_15HIP_vector_typeIjLj2EENS0_17counting_iteratorIjlEEPS9_SG_NS0_5tupleIJPjSI_NS0_16reverse_iteratorISI_EEEEENSH_IJSG_SG_SG_EEES9_SI_JZNS1_25segmented_radix_sort_implINS0_14default_configELb1EPKaPaPKlPlN2at6native12_GLOBAL__N_18offset_tEEE10hipError_tPvRmT1_PNSt15iterator_traitsIS12_E10value_typeET2_T3_PNS13_IS18_E10value_typeET4_jRbjT5_S1E_jjP12ihipStream_tbEUljE_ZNSN_ISO_Lb1ESQ_SR_ST_SU_SY_EESZ_S10_S11_S12_S16_S17_S18_S1B_S1C_jS1D_jS1E_S1E_jjS1G_bEUljE0_EEESZ_S10_S11_S18_S1C_S1E_T6_T7_T9_mT8_S1G_bDpT10_ENKUlT_T0_E_clISt17integral_constantIbLb0EES1T_IbLb1EEEEDaS1P_S1Q_EUlS1P_E_NS1_11comp_targetILNS1_3genE10ELNS1_11target_archE1200ELNS1_3gpuE4ELNS1_3repE0EEENS1_30default_config_static_selectorELNS0_4arch9wavefront6targetE0EEEvS12_.uses_vcc, 0
	.set _ZN7rocprim17ROCPRIM_400000_NS6detail17trampoline_kernelINS0_13select_configILj256ELj13ELNS0_17block_load_methodE3ELS4_3ELS4_3ELNS0_20block_scan_algorithmE0ELj4294967295EEENS1_25partition_config_selectorILNS1_17partition_subalgoE4EjNS0_10empty_typeEbEEZZNS1_14partition_implILS8_4ELb0ES6_15HIP_vector_typeIjLj2EENS0_17counting_iteratorIjlEEPS9_SG_NS0_5tupleIJPjSI_NS0_16reverse_iteratorISI_EEEEENSH_IJSG_SG_SG_EEES9_SI_JZNS1_25segmented_radix_sort_implINS0_14default_configELb1EPKaPaPKlPlN2at6native12_GLOBAL__N_18offset_tEEE10hipError_tPvRmT1_PNSt15iterator_traitsIS12_E10value_typeET2_T3_PNS13_IS18_E10value_typeET4_jRbjT5_S1E_jjP12ihipStream_tbEUljE_ZNSN_ISO_Lb1ESQ_SR_ST_SU_SY_EESZ_S10_S11_S12_S16_S17_S18_S1B_S1C_jS1D_jS1E_S1E_jjS1G_bEUljE0_EEESZ_S10_S11_S18_S1C_S1E_T6_T7_T9_mT8_S1G_bDpT10_ENKUlT_T0_E_clISt17integral_constantIbLb0EES1T_IbLb1EEEEDaS1P_S1Q_EUlS1P_E_NS1_11comp_targetILNS1_3genE10ELNS1_11target_archE1200ELNS1_3gpuE4ELNS1_3repE0EEENS1_30default_config_static_selectorELNS0_4arch9wavefront6targetE0EEEvS12_.uses_flat_scratch, 0
	.set _ZN7rocprim17ROCPRIM_400000_NS6detail17trampoline_kernelINS0_13select_configILj256ELj13ELNS0_17block_load_methodE3ELS4_3ELS4_3ELNS0_20block_scan_algorithmE0ELj4294967295EEENS1_25partition_config_selectorILNS1_17partition_subalgoE4EjNS0_10empty_typeEbEEZZNS1_14partition_implILS8_4ELb0ES6_15HIP_vector_typeIjLj2EENS0_17counting_iteratorIjlEEPS9_SG_NS0_5tupleIJPjSI_NS0_16reverse_iteratorISI_EEEEENSH_IJSG_SG_SG_EEES9_SI_JZNS1_25segmented_radix_sort_implINS0_14default_configELb1EPKaPaPKlPlN2at6native12_GLOBAL__N_18offset_tEEE10hipError_tPvRmT1_PNSt15iterator_traitsIS12_E10value_typeET2_T3_PNS13_IS18_E10value_typeET4_jRbjT5_S1E_jjP12ihipStream_tbEUljE_ZNSN_ISO_Lb1ESQ_SR_ST_SU_SY_EESZ_S10_S11_S12_S16_S17_S18_S1B_S1C_jS1D_jS1E_S1E_jjS1G_bEUljE0_EEESZ_S10_S11_S18_S1C_S1E_T6_T7_T9_mT8_S1G_bDpT10_ENKUlT_T0_E_clISt17integral_constantIbLb0EES1T_IbLb1EEEEDaS1P_S1Q_EUlS1P_E_NS1_11comp_targetILNS1_3genE10ELNS1_11target_archE1200ELNS1_3gpuE4ELNS1_3repE0EEENS1_30default_config_static_selectorELNS0_4arch9wavefront6targetE0EEEvS12_.has_dyn_sized_stack, 0
	.set _ZN7rocprim17ROCPRIM_400000_NS6detail17trampoline_kernelINS0_13select_configILj256ELj13ELNS0_17block_load_methodE3ELS4_3ELS4_3ELNS0_20block_scan_algorithmE0ELj4294967295EEENS1_25partition_config_selectorILNS1_17partition_subalgoE4EjNS0_10empty_typeEbEEZZNS1_14partition_implILS8_4ELb0ES6_15HIP_vector_typeIjLj2EENS0_17counting_iteratorIjlEEPS9_SG_NS0_5tupleIJPjSI_NS0_16reverse_iteratorISI_EEEEENSH_IJSG_SG_SG_EEES9_SI_JZNS1_25segmented_radix_sort_implINS0_14default_configELb1EPKaPaPKlPlN2at6native12_GLOBAL__N_18offset_tEEE10hipError_tPvRmT1_PNSt15iterator_traitsIS12_E10value_typeET2_T3_PNS13_IS18_E10value_typeET4_jRbjT5_S1E_jjP12ihipStream_tbEUljE_ZNSN_ISO_Lb1ESQ_SR_ST_SU_SY_EESZ_S10_S11_S12_S16_S17_S18_S1B_S1C_jS1D_jS1E_S1E_jjS1G_bEUljE0_EEESZ_S10_S11_S18_S1C_S1E_T6_T7_T9_mT8_S1G_bDpT10_ENKUlT_T0_E_clISt17integral_constantIbLb0EES1T_IbLb1EEEEDaS1P_S1Q_EUlS1P_E_NS1_11comp_targetILNS1_3genE10ELNS1_11target_archE1200ELNS1_3gpuE4ELNS1_3repE0EEENS1_30default_config_static_selectorELNS0_4arch9wavefront6targetE0EEEvS12_.has_recursion, 0
	.set _ZN7rocprim17ROCPRIM_400000_NS6detail17trampoline_kernelINS0_13select_configILj256ELj13ELNS0_17block_load_methodE3ELS4_3ELS4_3ELNS0_20block_scan_algorithmE0ELj4294967295EEENS1_25partition_config_selectorILNS1_17partition_subalgoE4EjNS0_10empty_typeEbEEZZNS1_14partition_implILS8_4ELb0ES6_15HIP_vector_typeIjLj2EENS0_17counting_iteratorIjlEEPS9_SG_NS0_5tupleIJPjSI_NS0_16reverse_iteratorISI_EEEEENSH_IJSG_SG_SG_EEES9_SI_JZNS1_25segmented_radix_sort_implINS0_14default_configELb1EPKaPaPKlPlN2at6native12_GLOBAL__N_18offset_tEEE10hipError_tPvRmT1_PNSt15iterator_traitsIS12_E10value_typeET2_T3_PNS13_IS18_E10value_typeET4_jRbjT5_S1E_jjP12ihipStream_tbEUljE_ZNSN_ISO_Lb1ESQ_SR_ST_SU_SY_EESZ_S10_S11_S12_S16_S17_S18_S1B_S1C_jS1D_jS1E_S1E_jjS1G_bEUljE0_EEESZ_S10_S11_S18_S1C_S1E_T6_T7_T9_mT8_S1G_bDpT10_ENKUlT_T0_E_clISt17integral_constantIbLb0EES1T_IbLb1EEEEDaS1P_S1Q_EUlS1P_E_NS1_11comp_targetILNS1_3genE10ELNS1_11target_archE1200ELNS1_3gpuE4ELNS1_3repE0EEENS1_30default_config_static_selectorELNS0_4arch9wavefront6targetE0EEEvS12_.has_indirect_call, 0
	.section	.AMDGPU.csdata,"",@progbits
; Kernel info:
; codeLenInByte = 0
; TotalNumSgprs: 0
; NumVgprs: 0
; ScratchSize: 0
; MemoryBound: 0
; FloatMode: 240
; IeeeMode: 1
; LDSByteSize: 0 bytes/workgroup (compile time only)
; SGPRBlocks: 0
; VGPRBlocks: 0
; NumSGPRsForWavesPerEU: 1
; NumVGPRsForWavesPerEU: 1
; Occupancy: 16
; WaveLimiterHint : 0
; COMPUTE_PGM_RSRC2:SCRATCH_EN: 0
; COMPUTE_PGM_RSRC2:USER_SGPR: 6
; COMPUTE_PGM_RSRC2:TRAP_HANDLER: 0
; COMPUTE_PGM_RSRC2:TGID_X_EN: 1
; COMPUTE_PGM_RSRC2:TGID_Y_EN: 0
; COMPUTE_PGM_RSRC2:TGID_Z_EN: 0
; COMPUTE_PGM_RSRC2:TIDIG_COMP_CNT: 0
	.section	.text._ZN7rocprim17ROCPRIM_400000_NS6detail17trampoline_kernelINS0_13select_configILj256ELj13ELNS0_17block_load_methodE3ELS4_3ELS4_3ELNS0_20block_scan_algorithmE0ELj4294967295EEENS1_25partition_config_selectorILNS1_17partition_subalgoE4EjNS0_10empty_typeEbEEZZNS1_14partition_implILS8_4ELb0ES6_15HIP_vector_typeIjLj2EENS0_17counting_iteratorIjlEEPS9_SG_NS0_5tupleIJPjSI_NS0_16reverse_iteratorISI_EEEEENSH_IJSG_SG_SG_EEES9_SI_JZNS1_25segmented_radix_sort_implINS0_14default_configELb1EPKaPaPKlPlN2at6native12_GLOBAL__N_18offset_tEEE10hipError_tPvRmT1_PNSt15iterator_traitsIS12_E10value_typeET2_T3_PNS13_IS18_E10value_typeET4_jRbjT5_S1E_jjP12ihipStream_tbEUljE_ZNSN_ISO_Lb1ESQ_SR_ST_SU_SY_EESZ_S10_S11_S12_S16_S17_S18_S1B_S1C_jS1D_jS1E_S1E_jjS1G_bEUljE0_EEESZ_S10_S11_S18_S1C_S1E_T6_T7_T9_mT8_S1G_bDpT10_ENKUlT_T0_E_clISt17integral_constantIbLb0EES1T_IbLb1EEEEDaS1P_S1Q_EUlS1P_E_NS1_11comp_targetILNS1_3genE9ELNS1_11target_archE1100ELNS1_3gpuE3ELNS1_3repE0EEENS1_30default_config_static_selectorELNS0_4arch9wavefront6targetE0EEEvS12_,"axG",@progbits,_ZN7rocprim17ROCPRIM_400000_NS6detail17trampoline_kernelINS0_13select_configILj256ELj13ELNS0_17block_load_methodE3ELS4_3ELS4_3ELNS0_20block_scan_algorithmE0ELj4294967295EEENS1_25partition_config_selectorILNS1_17partition_subalgoE4EjNS0_10empty_typeEbEEZZNS1_14partition_implILS8_4ELb0ES6_15HIP_vector_typeIjLj2EENS0_17counting_iteratorIjlEEPS9_SG_NS0_5tupleIJPjSI_NS0_16reverse_iteratorISI_EEEEENSH_IJSG_SG_SG_EEES9_SI_JZNS1_25segmented_radix_sort_implINS0_14default_configELb1EPKaPaPKlPlN2at6native12_GLOBAL__N_18offset_tEEE10hipError_tPvRmT1_PNSt15iterator_traitsIS12_E10value_typeET2_T3_PNS13_IS18_E10value_typeET4_jRbjT5_S1E_jjP12ihipStream_tbEUljE_ZNSN_ISO_Lb1ESQ_SR_ST_SU_SY_EESZ_S10_S11_S12_S16_S17_S18_S1B_S1C_jS1D_jS1E_S1E_jjS1G_bEUljE0_EEESZ_S10_S11_S18_S1C_S1E_T6_T7_T9_mT8_S1G_bDpT10_ENKUlT_T0_E_clISt17integral_constantIbLb0EES1T_IbLb1EEEEDaS1P_S1Q_EUlS1P_E_NS1_11comp_targetILNS1_3genE9ELNS1_11target_archE1100ELNS1_3gpuE3ELNS1_3repE0EEENS1_30default_config_static_selectorELNS0_4arch9wavefront6targetE0EEEvS12_,comdat
	.globl	_ZN7rocprim17ROCPRIM_400000_NS6detail17trampoline_kernelINS0_13select_configILj256ELj13ELNS0_17block_load_methodE3ELS4_3ELS4_3ELNS0_20block_scan_algorithmE0ELj4294967295EEENS1_25partition_config_selectorILNS1_17partition_subalgoE4EjNS0_10empty_typeEbEEZZNS1_14partition_implILS8_4ELb0ES6_15HIP_vector_typeIjLj2EENS0_17counting_iteratorIjlEEPS9_SG_NS0_5tupleIJPjSI_NS0_16reverse_iteratorISI_EEEEENSH_IJSG_SG_SG_EEES9_SI_JZNS1_25segmented_radix_sort_implINS0_14default_configELb1EPKaPaPKlPlN2at6native12_GLOBAL__N_18offset_tEEE10hipError_tPvRmT1_PNSt15iterator_traitsIS12_E10value_typeET2_T3_PNS13_IS18_E10value_typeET4_jRbjT5_S1E_jjP12ihipStream_tbEUljE_ZNSN_ISO_Lb1ESQ_SR_ST_SU_SY_EESZ_S10_S11_S12_S16_S17_S18_S1B_S1C_jS1D_jS1E_S1E_jjS1G_bEUljE0_EEESZ_S10_S11_S18_S1C_S1E_T6_T7_T9_mT8_S1G_bDpT10_ENKUlT_T0_E_clISt17integral_constantIbLb0EES1T_IbLb1EEEEDaS1P_S1Q_EUlS1P_E_NS1_11comp_targetILNS1_3genE9ELNS1_11target_archE1100ELNS1_3gpuE3ELNS1_3repE0EEENS1_30default_config_static_selectorELNS0_4arch9wavefront6targetE0EEEvS12_ ; -- Begin function _ZN7rocprim17ROCPRIM_400000_NS6detail17trampoline_kernelINS0_13select_configILj256ELj13ELNS0_17block_load_methodE3ELS4_3ELS4_3ELNS0_20block_scan_algorithmE0ELj4294967295EEENS1_25partition_config_selectorILNS1_17partition_subalgoE4EjNS0_10empty_typeEbEEZZNS1_14partition_implILS8_4ELb0ES6_15HIP_vector_typeIjLj2EENS0_17counting_iteratorIjlEEPS9_SG_NS0_5tupleIJPjSI_NS0_16reverse_iteratorISI_EEEEENSH_IJSG_SG_SG_EEES9_SI_JZNS1_25segmented_radix_sort_implINS0_14default_configELb1EPKaPaPKlPlN2at6native12_GLOBAL__N_18offset_tEEE10hipError_tPvRmT1_PNSt15iterator_traitsIS12_E10value_typeET2_T3_PNS13_IS18_E10value_typeET4_jRbjT5_S1E_jjP12ihipStream_tbEUljE_ZNSN_ISO_Lb1ESQ_SR_ST_SU_SY_EESZ_S10_S11_S12_S16_S17_S18_S1B_S1C_jS1D_jS1E_S1E_jjS1G_bEUljE0_EEESZ_S10_S11_S18_S1C_S1E_T6_T7_T9_mT8_S1G_bDpT10_ENKUlT_T0_E_clISt17integral_constantIbLb0EES1T_IbLb1EEEEDaS1P_S1Q_EUlS1P_E_NS1_11comp_targetILNS1_3genE9ELNS1_11target_archE1100ELNS1_3gpuE3ELNS1_3repE0EEENS1_30default_config_static_selectorELNS0_4arch9wavefront6targetE0EEEvS12_
	.p2align	8
	.type	_ZN7rocprim17ROCPRIM_400000_NS6detail17trampoline_kernelINS0_13select_configILj256ELj13ELNS0_17block_load_methodE3ELS4_3ELS4_3ELNS0_20block_scan_algorithmE0ELj4294967295EEENS1_25partition_config_selectorILNS1_17partition_subalgoE4EjNS0_10empty_typeEbEEZZNS1_14partition_implILS8_4ELb0ES6_15HIP_vector_typeIjLj2EENS0_17counting_iteratorIjlEEPS9_SG_NS0_5tupleIJPjSI_NS0_16reverse_iteratorISI_EEEEENSH_IJSG_SG_SG_EEES9_SI_JZNS1_25segmented_radix_sort_implINS0_14default_configELb1EPKaPaPKlPlN2at6native12_GLOBAL__N_18offset_tEEE10hipError_tPvRmT1_PNSt15iterator_traitsIS12_E10value_typeET2_T3_PNS13_IS18_E10value_typeET4_jRbjT5_S1E_jjP12ihipStream_tbEUljE_ZNSN_ISO_Lb1ESQ_SR_ST_SU_SY_EESZ_S10_S11_S12_S16_S17_S18_S1B_S1C_jS1D_jS1E_S1E_jjS1G_bEUljE0_EEESZ_S10_S11_S18_S1C_S1E_T6_T7_T9_mT8_S1G_bDpT10_ENKUlT_T0_E_clISt17integral_constantIbLb0EES1T_IbLb1EEEEDaS1P_S1Q_EUlS1P_E_NS1_11comp_targetILNS1_3genE9ELNS1_11target_archE1100ELNS1_3gpuE3ELNS1_3repE0EEENS1_30default_config_static_selectorELNS0_4arch9wavefront6targetE0EEEvS12_,@function
_ZN7rocprim17ROCPRIM_400000_NS6detail17trampoline_kernelINS0_13select_configILj256ELj13ELNS0_17block_load_methodE3ELS4_3ELS4_3ELNS0_20block_scan_algorithmE0ELj4294967295EEENS1_25partition_config_selectorILNS1_17partition_subalgoE4EjNS0_10empty_typeEbEEZZNS1_14partition_implILS8_4ELb0ES6_15HIP_vector_typeIjLj2EENS0_17counting_iteratorIjlEEPS9_SG_NS0_5tupleIJPjSI_NS0_16reverse_iteratorISI_EEEEENSH_IJSG_SG_SG_EEES9_SI_JZNS1_25segmented_radix_sort_implINS0_14default_configELb1EPKaPaPKlPlN2at6native12_GLOBAL__N_18offset_tEEE10hipError_tPvRmT1_PNSt15iterator_traitsIS12_E10value_typeET2_T3_PNS13_IS18_E10value_typeET4_jRbjT5_S1E_jjP12ihipStream_tbEUljE_ZNSN_ISO_Lb1ESQ_SR_ST_SU_SY_EESZ_S10_S11_S12_S16_S17_S18_S1B_S1C_jS1D_jS1E_S1E_jjS1G_bEUljE0_EEESZ_S10_S11_S18_S1C_S1E_T6_T7_T9_mT8_S1G_bDpT10_ENKUlT_T0_E_clISt17integral_constantIbLb0EES1T_IbLb1EEEEDaS1P_S1Q_EUlS1P_E_NS1_11comp_targetILNS1_3genE9ELNS1_11target_archE1100ELNS1_3gpuE3ELNS1_3repE0EEENS1_30default_config_static_selectorELNS0_4arch9wavefront6targetE0EEEvS12_: ; @_ZN7rocprim17ROCPRIM_400000_NS6detail17trampoline_kernelINS0_13select_configILj256ELj13ELNS0_17block_load_methodE3ELS4_3ELS4_3ELNS0_20block_scan_algorithmE0ELj4294967295EEENS1_25partition_config_selectorILNS1_17partition_subalgoE4EjNS0_10empty_typeEbEEZZNS1_14partition_implILS8_4ELb0ES6_15HIP_vector_typeIjLj2EENS0_17counting_iteratorIjlEEPS9_SG_NS0_5tupleIJPjSI_NS0_16reverse_iteratorISI_EEEEENSH_IJSG_SG_SG_EEES9_SI_JZNS1_25segmented_radix_sort_implINS0_14default_configELb1EPKaPaPKlPlN2at6native12_GLOBAL__N_18offset_tEEE10hipError_tPvRmT1_PNSt15iterator_traitsIS12_E10value_typeET2_T3_PNS13_IS18_E10value_typeET4_jRbjT5_S1E_jjP12ihipStream_tbEUljE_ZNSN_ISO_Lb1ESQ_SR_ST_SU_SY_EESZ_S10_S11_S12_S16_S17_S18_S1B_S1C_jS1D_jS1E_S1E_jjS1G_bEUljE0_EEESZ_S10_S11_S18_S1C_S1E_T6_T7_T9_mT8_S1G_bDpT10_ENKUlT_T0_E_clISt17integral_constantIbLb0EES1T_IbLb1EEEEDaS1P_S1Q_EUlS1P_E_NS1_11comp_targetILNS1_3genE9ELNS1_11target_archE1100ELNS1_3gpuE3ELNS1_3repE0EEENS1_30default_config_static_selectorELNS0_4arch9wavefront6targetE0EEEvS12_
; %bb.0:
	.section	.rodata,"a",@progbits
	.p2align	6, 0x0
	.amdhsa_kernel _ZN7rocprim17ROCPRIM_400000_NS6detail17trampoline_kernelINS0_13select_configILj256ELj13ELNS0_17block_load_methodE3ELS4_3ELS4_3ELNS0_20block_scan_algorithmE0ELj4294967295EEENS1_25partition_config_selectorILNS1_17partition_subalgoE4EjNS0_10empty_typeEbEEZZNS1_14partition_implILS8_4ELb0ES6_15HIP_vector_typeIjLj2EENS0_17counting_iteratorIjlEEPS9_SG_NS0_5tupleIJPjSI_NS0_16reverse_iteratorISI_EEEEENSH_IJSG_SG_SG_EEES9_SI_JZNS1_25segmented_radix_sort_implINS0_14default_configELb1EPKaPaPKlPlN2at6native12_GLOBAL__N_18offset_tEEE10hipError_tPvRmT1_PNSt15iterator_traitsIS12_E10value_typeET2_T3_PNS13_IS18_E10value_typeET4_jRbjT5_S1E_jjP12ihipStream_tbEUljE_ZNSN_ISO_Lb1ESQ_SR_ST_SU_SY_EESZ_S10_S11_S12_S16_S17_S18_S1B_S1C_jS1D_jS1E_S1E_jjS1G_bEUljE0_EEESZ_S10_S11_S18_S1C_S1E_T6_T7_T9_mT8_S1G_bDpT10_ENKUlT_T0_E_clISt17integral_constantIbLb0EES1T_IbLb1EEEEDaS1P_S1Q_EUlS1P_E_NS1_11comp_targetILNS1_3genE9ELNS1_11target_archE1100ELNS1_3gpuE3ELNS1_3repE0EEENS1_30default_config_static_selectorELNS0_4arch9wavefront6targetE0EEEvS12_
		.amdhsa_group_segment_fixed_size 0
		.amdhsa_private_segment_fixed_size 0
		.amdhsa_kernarg_size 184
		.amdhsa_user_sgpr_count 6
		.amdhsa_user_sgpr_private_segment_buffer 1
		.amdhsa_user_sgpr_dispatch_ptr 0
		.amdhsa_user_sgpr_queue_ptr 0
		.amdhsa_user_sgpr_kernarg_segment_ptr 1
		.amdhsa_user_sgpr_dispatch_id 0
		.amdhsa_user_sgpr_flat_scratch_init 0
		.amdhsa_user_sgpr_private_segment_size 0
		.amdhsa_wavefront_size32 1
		.amdhsa_uses_dynamic_stack 0
		.amdhsa_system_sgpr_private_segment_wavefront_offset 0
		.amdhsa_system_sgpr_workgroup_id_x 1
		.amdhsa_system_sgpr_workgroup_id_y 0
		.amdhsa_system_sgpr_workgroup_id_z 0
		.amdhsa_system_sgpr_workgroup_info 0
		.amdhsa_system_vgpr_workitem_id 0
		.amdhsa_next_free_vgpr 1
		.amdhsa_next_free_sgpr 1
		.amdhsa_reserve_vcc 0
		.amdhsa_reserve_flat_scratch 0
		.amdhsa_float_round_mode_32 0
		.amdhsa_float_round_mode_16_64 0
		.amdhsa_float_denorm_mode_32 3
		.amdhsa_float_denorm_mode_16_64 3
		.amdhsa_dx10_clamp 1
		.amdhsa_ieee_mode 1
		.amdhsa_fp16_overflow 0
		.amdhsa_workgroup_processor_mode 1
		.amdhsa_memory_ordered 1
		.amdhsa_forward_progress 1
		.amdhsa_shared_vgpr_count 0
		.amdhsa_exception_fp_ieee_invalid_op 0
		.amdhsa_exception_fp_denorm_src 0
		.amdhsa_exception_fp_ieee_div_zero 0
		.amdhsa_exception_fp_ieee_overflow 0
		.amdhsa_exception_fp_ieee_underflow 0
		.amdhsa_exception_fp_ieee_inexact 0
		.amdhsa_exception_int_div_zero 0
	.end_amdhsa_kernel
	.section	.text._ZN7rocprim17ROCPRIM_400000_NS6detail17trampoline_kernelINS0_13select_configILj256ELj13ELNS0_17block_load_methodE3ELS4_3ELS4_3ELNS0_20block_scan_algorithmE0ELj4294967295EEENS1_25partition_config_selectorILNS1_17partition_subalgoE4EjNS0_10empty_typeEbEEZZNS1_14partition_implILS8_4ELb0ES6_15HIP_vector_typeIjLj2EENS0_17counting_iteratorIjlEEPS9_SG_NS0_5tupleIJPjSI_NS0_16reverse_iteratorISI_EEEEENSH_IJSG_SG_SG_EEES9_SI_JZNS1_25segmented_radix_sort_implINS0_14default_configELb1EPKaPaPKlPlN2at6native12_GLOBAL__N_18offset_tEEE10hipError_tPvRmT1_PNSt15iterator_traitsIS12_E10value_typeET2_T3_PNS13_IS18_E10value_typeET4_jRbjT5_S1E_jjP12ihipStream_tbEUljE_ZNSN_ISO_Lb1ESQ_SR_ST_SU_SY_EESZ_S10_S11_S12_S16_S17_S18_S1B_S1C_jS1D_jS1E_S1E_jjS1G_bEUljE0_EEESZ_S10_S11_S18_S1C_S1E_T6_T7_T9_mT8_S1G_bDpT10_ENKUlT_T0_E_clISt17integral_constantIbLb0EES1T_IbLb1EEEEDaS1P_S1Q_EUlS1P_E_NS1_11comp_targetILNS1_3genE9ELNS1_11target_archE1100ELNS1_3gpuE3ELNS1_3repE0EEENS1_30default_config_static_selectorELNS0_4arch9wavefront6targetE0EEEvS12_,"axG",@progbits,_ZN7rocprim17ROCPRIM_400000_NS6detail17trampoline_kernelINS0_13select_configILj256ELj13ELNS0_17block_load_methodE3ELS4_3ELS4_3ELNS0_20block_scan_algorithmE0ELj4294967295EEENS1_25partition_config_selectorILNS1_17partition_subalgoE4EjNS0_10empty_typeEbEEZZNS1_14partition_implILS8_4ELb0ES6_15HIP_vector_typeIjLj2EENS0_17counting_iteratorIjlEEPS9_SG_NS0_5tupleIJPjSI_NS0_16reverse_iteratorISI_EEEEENSH_IJSG_SG_SG_EEES9_SI_JZNS1_25segmented_radix_sort_implINS0_14default_configELb1EPKaPaPKlPlN2at6native12_GLOBAL__N_18offset_tEEE10hipError_tPvRmT1_PNSt15iterator_traitsIS12_E10value_typeET2_T3_PNS13_IS18_E10value_typeET4_jRbjT5_S1E_jjP12ihipStream_tbEUljE_ZNSN_ISO_Lb1ESQ_SR_ST_SU_SY_EESZ_S10_S11_S12_S16_S17_S18_S1B_S1C_jS1D_jS1E_S1E_jjS1G_bEUljE0_EEESZ_S10_S11_S18_S1C_S1E_T6_T7_T9_mT8_S1G_bDpT10_ENKUlT_T0_E_clISt17integral_constantIbLb0EES1T_IbLb1EEEEDaS1P_S1Q_EUlS1P_E_NS1_11comp_targetILNS1_3genE9ELNS1_11target_archE1100ELNS1_3gpuE3ELNS1_3repE0EEENS1_30default_config_static_selectorELNS0_4arch9wavefront6targetE0EEEvS12_,comdat
.Lfunc_end254:
	.size	_ZN7rocprim17ROCPRIM_400000_NS6detail17trampoline_kernelINS0_13select_configILj256ELj13ELNS0_17block_load_methodE3ELS4_3ELS4_3ELNS0_20block_scan_algorithmE0ELj4294967295EEENS1_25partition_config_selectorILNS1_17partition_subalgoE4EjNS0_10empty_typeEbEEZZNS1_14partition_implILS8_4ELb0ES6_15HIP_vector_typeIjLj2EENS0_17counting_iteratorIjlEEPS9_SG_NS0_5tupleIJPjSI_NS0_16reverse_iteratorISI_EEEEENSH_IJSG_SG_SG_EEES9_SI_JZNS1_25segmented_radix_sort_implINS0_14default_configELb1EPKaPaPKlPlN2at6native12_GLOBAL__N_18offset_tEEE10hipError_tPvRmT1_PNSt15iterator_traitsIS12_E10value_typeET2_T3_PNS13_IS18_E10value_typeET4_jRbjT5_S1E_jjP12ihipStream_tbEUljE_ZNSN_ISO_Lb1ESQ_SR_ST_SU_SY_EESZ_S10_S11_S12_S16_S17_S18_S1B_S1C_jS1D_jS1E_S1E_jjS1G_bEUljE0_EEESZ_S10_S11_S18_S1C_S1E_T6_T7_T9_mT8_S1G_bDpT10_ENKUlT_T0_E_clISt17integral_constantIbLb0EES1T_IbLb1EEEEDaS1P_S1Q_EUlS1P_E_NS1_11comp_targetILNS1_3genE9ELNS1_11target_archE1100ELNS1_3gpuE3ELNS1_3repE0EEENS1_30default_config_static_selectorELNS0_4arch9wavefront6targetE0EEEvS12_, .Lfunc_end254-_ZN7rocprim17ROCPRIM_400000_NS6detail17trampoline_kernelINS0_13select_configILj256ELj13ELNS0_17block_load_methodE3ELS4_3ELS4_3ELNS0_20block_scan_algorithmE0ELj4294967295EEENS1_25partition_config_selectorILNS1_17partition_subalgoE4EjNS0_10empty_typeEbEEZZNS1_14partition_implILS8_4ELb0ES6_15HIP_vector_typeIjLj2EENS0_17counting_iteratorIjlEEPS9_SG_NS0_5tupleIJPjSI_NS0_16reverse_iteratorISI_EEEEENSH_IJSG_SG_SG_EEES9_SI_JZNS1_25segmented_radix_sort_implINS0_14default_configELb1EPKaPaPKlPlN2at6native12_GLOBAL__N_18offset_tEEE10hipError_tPvRmT1_PNSt15iterator_traitsIS12_E10value_typeET2_T3_PNS13_IS18_E10value_typeET4_jRbjT5_S1E_jjP12ihipStream_tbEUljE_ZNSN_ISO_Lb1ESQ_SR_ST_SU_SY_EESZ_S10_S11_S12_S16_S17_S18_S1B_S1C_jS1D_jS1E_S1E_jjS1G_bEUljE0_EEESZ_S10_S11_S18_S1C_S1E_T6_T7_T9_mT8_S1G_bDpT10_ENKUlT_T0_E_clISt17integral_constantIbLb0EES1T_IbLb1EEEEDaS1P_S1Q_EUlS1P_E_NS1_11comp_targetILNS1_3genE9ELNS1_11target_archE1100ELNS1_3gpuE3ELNS1_3repE0EEENS1_30default_config_static_selectorELNS0_4arch9wavefront6targetE0EEEvS12_
                                        ; -- End function
	.set _ZN7rocprim17ROCPRIM_400000_NS6detail17trampoline_kernelINS0_13select_configILj256ELj13ELNS0_17block_load_methodE3ELS4_3ELS4_3ELNS0_20block_scan_algorithmE0ELj4294967295EEENS1_25partition_config_selectorILNS1_17partition_subalgoE4EjNS0_10empty_typeEbEEZZNS1_14partition_implILS8_4ELb0ES6_15HIP_vector_typeIjLj2EENS0_17counting_iteratorIjlEEPS9_SG_NS0_5tupleIJPjSI_NS0_16reverse_iteratorISI_EEEEENSH_IJSG_SG_SG_EEES9_SI_JZNS1_25segmented_radix_sort_implINS0_14default_configELb1EPKaPaPKlPlN2at6native12_GLOBAL__N_18offset_tEEE10hipError_tPvRmT1_PNSt15iterator_traitsIS12_E10value_typeET2_T3_PNS13_IS18_E10value_typeET4_jRbjT5_S1E_jjP12ihipStream_tbEUljE_ZNSN_ISO_Lb1ESQ_SR_ST_SU_SY_EESZ_S10_S11_S12_S16_S17_S18_S1B_S1C_jS1D_jS1E_S1E_jjS1G_bEUljE0_EEESZ_S10_S11_S18_S1C_S1E_T6_T7_T9_mT8_S1G_bDpT10_ENKUlT_T0_E_clISt17integral_constantIbLb0EES1T_IbLb1EEEEDaS1P_S1Q_EUlS1P_E_NS1_11comp_targetILNS1_3genE9ELNS1_11target_archE1100ELNS1_3gpuE3ELNS1_3repE0EEENS1_30default_config_static_selectorELNS0_4arch9wavefront6targetE0EEEvS12_.num_vgpr, 0
	.set _ZN7rocprim17ROCPRIM_400000_NS6detail17trampoline_kernelINS0_13select_configILj256ELj13ELNS0_17block_load_methodE3ELS4_3ELS4_3ELNS0_20block_scan_algorithmE0ELj4294967295EEENS1_25partition_config_selectorILNS1_17partition_subalgoE4EjNS0_10empty_typeEbEEZZNS1_14partition_implILS8_4ELb0ES6_15HIP_vector_typeIjLj2EENS0_17counting_iteratorIjlEEPS9_SG_NS0_5tupleIJPjSI_NS0_16reverse_iteratorISI_EEEEENSH_IJSG_SG_SG_EEES9_SI_JZNS1_25segmented_radix_sort_implINS0_14default_configELb1EPKaPaPKlPlN2at6native12_GLOBAL__N_18offset_tEEE10hipError_tPvRmT1_PNSt15iterator_traitsIS12_E10value_typeET2_T3_PNS13_IS18_E10value_typeET4_jRbjT5_S1E_jjP12ihipStream_tbEUljE_ZNSN_ISO_Lb1ESQ_SR_ST_SU_SY_EESZ_S10_S11_S12_S16_S17_S18_S1B_S1C_jS1D_jS1E_S1E_jjS1G_bEUljE0_EEESZ_S10_S11_S18_S1C_S1E_T6_T7_T9_mT8_S1G_bDpT10_ENKUlT_T0_E_clISt17integral_constantIbLb0EES1T_IbLb1EEEEDaS1P_S1Q_EUlS1P_E_NS1_11comp_targetILNS1_3genE9ELNS1_11target_archE1100ELNS1_3gpuE3ELNS1_3repE0EEENS1_30default_config_static_selectorELNS0_4arch9wavefront6targetE0EEEvS12_.num_agpr, 0
	.set _ZN7rocprim17ROCPRIM_400000_NS6detail17trampoline_kernelINS0_13select_configILj256ELj13ELNS0_17block_load_methodE3ELS4_3ELS4_3ELNS0_20block_scan_algorithmE0ELj4294967295EEENS1_25partition_config_selectorILNS1_17partition_subalgoE4EjNS0_10empty_typeEbEEZZNS1_14partition_implILS8_4ELb0ES6_15HIP_vector_typeIjLj2EENS0_17counting_iteratorIjlEEPS9_SG_NS0_5tupleIJPjSI_NS0_16reverse_iteratorISI_EEEEENSH_IJSG_SG_SG_EEES9_SI_JZNS1_25segmented_radix_sort_implINS0_14default_configELb1EPKaPaPKlPlN2at6native12_GLOBAL__N_18offset_tEEE10hipError_tPvRmT1_PNSt15iterator_traitsIS12_E10value_typeET2_T3_PNS13_IS18_E10value_typeET4_jRbjT5_S1E_jjP12ihipStream_tbEUljE_ZNSN_ISO_Lb1ESQ_SR_ST_SU_SY_EESZ_S10_S11_S12_S16_S17_S18_S1B_S1C_jS1D_jS1E_S1E_jjS1G_bEUljE0_EEESZ_S10_S11_S18_S1C_S1E_T6_T7_T9_mT8_S1G_bDpT10_ENKUlT_T0_E_clISt17integral_constantIbLb0EES1T_IbLb1EEEEDaS1P_S1Q_EUlS1P_E_NS1_11comp_targetILNS1_3genE9ELNS1_11target_archE1100ELNS1_3gpuE3ELNS1_3repE0EEENS1_30default_config_static_selectorELNS0_4arch9wavefront6targetE0EEEvS12_.numbered_sgpr, 0
	.set _ZN7rocprim17ROCPRIM_400000_NS6detail17trampoline_kernelINS0_13select_configILj256ELj13ELNS0_17block_load_methodE3ELS4_3ELS4_3ELNS0_20block_scan_algorithmE0ELj4294967295EEENS1_25partition_config_selectorILNS1_17partition_subalgoE4EjNS0_10empty_typeEbEEZZNS1_14partition_implILS8_4ELb0ES6_15HIP_vector_typeIjLj2EENS0_17counting_iteratorIjlEEPS9_SG_NS0_5tupleIJPjSI_NS0_16reverse_iteratorISI_EEEEENSH_IJSG_SG_SG_EEES9_SI_JZNS1_25segmented_radix_sort_implINS0_14default_configELb1EPKaPaPKlPlN2at6native12_GLOBAL__N_18offset_tEEE10hipError_tPvRmT1_PNSt15iterator_traitsIS12_E10value_typeET2_T3_PNS13_IS18_E10value_typeET4_jRbjT5_S1E_jjP12ihipStream_tbEUljE_ZNSN_ISO_Lb1ESQ_SR_ST_SU_SY_EESZ_S10_S11_S12_S16_S17_S18_S1B_S1C_jS1D_jS1E_S1E_jjS1G_bEUljE0_EEESZ_S10_S11_S18_S1C_S1E_T6_T7_T9_mT8_S1G_bDpT10_ENKUlT_T0_E_clISt17integral_constantIbLb0EES1T_IbLb1EEEEDaS1P_S1Q_EUlS1P_E_NS1_11comp_targetILNS1_3genE9ELNS1_11target_archE1100ELNS1_3gpuE3ELNS1_3repE0EEENS1_30default_config_static_selectorELNS0_4arch9wavefront6targetE0EEEvS12_.num_named_barrier, 0
	.set _ZN7rocprim17ROCPRIM_400000_NS6detail17trampoline_kernelINS0_13select_configILj256ELj13ELNS0_17block_load_methodE3ELS4_3ELS4_3ELNS0_20block_scan_algorithmE0ELj4294967295EEENS1_25partition_config_selectorILNS1_17partition_subalgoE4EjNS0_10empty_typeEbEEZZNS1_14partition_implILS8_4ELb0ES6_15HIP_vector_typeIjLj2EENS0_17counting_iteratorIjlEEPS9_SG_NS0_5tupleIJPjSI_NS0_16reverse_iteratorISI_EEEEENSH_IJSG_SG_SG_EEES9_SI_JZNS1_25segmented_radix_sort_implINS0_14default_configELb1EPKaPaPKlPlN2at6native12_GLOBAL__N_18offset_tEEE10hipError_tPvRmT1_PNSt15iterator_traitsIS12_E10value_typeET2_T3_PNS13_IS18_E10value_typeET4_jRbjT5_S1E_jjP12ihipStream_tbEUljE_ZNSN_ISO_Lb1ESQ_SR_ST_SU_SY_EESZ_S10_S11_S12_S16_S17_S18_S1B_S1C_jS1D_jS1E_S1E_jjS1G_bEUljE0_EEESZ_S10_S11_S18_S1C_S1E_T6_T7_T9_mT8_S1G_bDpT10_ENKUlT_T0_E_clISt17integral_constantIbLb0EES1T_IbLb1EEEEDaS1P_S1Q_EUlS1P_E_NS1_11comp_targetILNS1_3genE9ELNS1_11target_archE1100ELNS1_3gpuE3ELNS1_3repE0EEENS1_30default_config_static_selectorELNS0_4arch9wavefront6targetE0EEEvS12_.private_seg_size, 0
	.set _ZN7rocprim17ROCPRIM_400000_NS6detail17trampoline_kernelINS0_13select_configILj256ELj13ELNS0_17block_load_methodE3ELS4_3ELS4_3ELNS0_20block_scan_algorithmE0ELj4294967295EEENS1_25partition_config_selectorILNS1_17partition_subalgoE4EjNS0_10empty_typeEbEEZZNS1_14partition_implILS8_4ELb0ES6_15HIP_vector_typeIjLj2EENS0_17counting_iteratorIjlEEPS9_SG_NS0_5tupleIJPjSI_NS0_16reverse_iteratorISI_EEEEENSH_IJSG_SG_SG_EEES9_SI_JZNS1_25segmented_radix_sort_implINS0_14default_configELb1EPKaPaPKlPlN2at6native12_GLOBAL__N_18offset_tEEE10hipError_tPvRmT1_PNSt15iterator_traitsIS12_E10value_typeET2_T3_PNS13_IS18_E10value_typeET4_jRbjT5_S1E_jjP12ihipStream_tbEUljE_ZNSN_ISO_Lb1ESQ_SR_ST_SU_SY_EESZ_S10_S11_S12_S16_S17_S18_S1B_S1C_jS1D_jS1E_S1E_jjS1G_bEUljE0_EEESZ_S10_S11_S18_S1C_S1E_T6_T7_T9_mT8_S1G_bDpT10_ENKUlT_T0_E_clISt17integral_constantIbLb0EES1T_IbLb1EEEEDaS1P_S1Q_EUlS1P_E_NS1_11comp_targetILNS1_3genE9ELNS1_11target_archE1100ELNS1_3gpuE3ELNS1_3repE0EEENS1_30default_config_static_selectorELNS0_4arch9wavefront6targetE0EEEvS12_.uses_vcc, 0
	.set _ZN7rocprim17ROCPRIM_400000_NS6detail17trampoline_kernelINS0_13select_configILj256ELj13ELNS0_17block_load_methodE3ELS4_3ELS4_3ELNS0_20block_scan_algorithmE0ELj4294967295EEENS1_25partition_config_selectorILNS1_17partition_subalgoE4EjNS0_10empty_typeEbEEZZNS1_14partition_implILS8_4ELb0ES6_15HIP_vector_typeIjLj2EENS0_17counting_iteratorIjlEEPS9_SG_NS0_5tupleIJPjSI_NS0_16reverse_iteratorISI_EEEEENSH_IJSG_SG_SG_EEES9_SI_JZNS1_25segmented_radix_sort_implINS0_14default_configELb1EPKaPaPKlPlN2at6native12_GLOBAL__N_18offset_tEEE10hipError_tPvRmT1_PNSt15iterator_traitsIS12_E10value_typeET2_T3_PNS13_IS18_E10value_typeET4_jRbjT5_S1E_jjP12ihipStream_tbEUljE_ZNSN_ISO_Lb1ESQ_SR_ST_SU_SY_EESZ_S10_S11_S12_S16_S17_S18_S1B_S1C_jS1D_jS1E_S1E_jjS1G_bEUljE0_EEESZ_S10_S11_S18_S1C_S1E_T6_T7_T9_mT8_S1G_bDpT10_ENKUlT_T0_E_clISt17integral_constantIbLb0EES1T_IbLb1EEEEDaS1P_S1Q_EUlS1P_E_NS1_11comp_targetILNS1_3genE9ELNS1_11target_archE1100ELNS1_3gpuE3ELNS1_3repE0EEENS1_30default_config_static_selectorELNS0_4arch9wavefront6targetE0EEEvS12_.uses_flat_scratch, 0
	.set _ZN7rocprim17ROCPRIM_400000_NS6detail17trampoline_kernelINS0_13select_configILj256ELj13ELNS0_17block_load_methodE3ELS4_3ELS4_3ELNS0_20block_scan_algorithmE0ELj4294967295EEENS1_25partition_config_selectorILNS1_17partition_subalgoE4EjNS0_10empty_typeEbEEZZNS1_14partition_implILS8_4ELb0ES6_15HIP_vector_typeIjLj2EENS0_17counting_iteratorIjlEEPS9_SG_NS0_5tupleIJPjSI_NS0_16reverse_iteratorISI_EEEEENSH_IJSG_SG_SG_EEES9_SI_JZNS1_25segmented_radix_sort_implINS0_14default_configELb1EPKaPaPKlPlN2at6native12_GLOBAL__N_18offset_tEEE10hipError_tPvRmT1_PNSt15iterator_traitsIS12_E10value_typeET2_T3_PNS13_IS18_E10value_typeET4_jRbjT5_S1E_jjP12ihipStream_tbEUljE_ZNSN_ISO_Lb1ESQ_SR_ST_SU_SY_EESZ_S10_S11_S12_S16_S17_S18_S1B_S1C_jS1D_jS1E_S1E_jjS1G_bEUljE0_EEESZ_S10_S11_S18_S1C_S1E_T6_T7_T9_mT8_S1G_bDpT10_ENKUlT_T0_E_clISt17integral_constantIbLb0EES1T_IbLb1EEEEDaS1P_S1Q_EUlS1P_E_NS1_11comp_targetILNS1_3genE9ELNS1_11target_archE1100ELNS1_3gpuE3ELNS1_3repE0EEENS1_30default_config_static_selectorELNS0_4arch9wavefront6targetE0EEEvS12_.has_dyn_sized_stack, 0
	.set _ZN7rocprim17ROCPRIM_400000_NS6detail17trampoline_kernelINS0_13select_configILj256ELj13ELNS0_17block_load_methodE3ELS4_3ELS4_3ELNS0_20block_scan_algorithmE0ELj4294967295EEENS1_25partition_config_selectorILNS1_17partition_subalgoE4EjNS0_10empty_typeEbEEZZNS1_14partition_implILS8_4ELb0ES6_15HIP_vector_typeIjLj2EENS0_17counting_iteratorIjlEEPS9_SG_NS0_5tupleIJPjSI_NS0_16reverse_iteratorISI_EEEEENSH_IJSG_SG_SG_EEES9_SI_JZNS1_25segmented_radix_sort_implINS0_14default_configELb1EPKaPaPKlPlN2at6native12_GLOBAL__N_18offset_tEEE10hipError_tPvRmT1_PNSt15iterator_traitsIS12_E10value_typeET2_T3_PNS13_IS18_E10value_typeET4_jRbjT5_S1E_jjP12ihipStream_tbEUljE_ZNSN_ISO_Lb1ESQ_SR_ST_SU_SY_EESZ_S10_S11_S12_S16_S17_S18_S1B_S1C_jS1D_jS1E_S1E_jjS1G_bEUljE0_EEESZ_S10_S11_S18_S1C_S1E_T6_T7_T9_mT8_S1G_bDpT10_ENKUlT_T0_E_clISt17integral_constantIbLb0EES1T_IbLb1EEEEDaS1P_S1Q_EUlS1P_E_NS1_11comp_targetILNS1_3genE9ELNS1_11target_archE1100ELNS1_3gpuE3ELNS1_3repE0EEENS1_30default_config_static_selectorELNS0_4arch9wavefront6targetE0EEEvS12_.has_recursion, 0
	.set _ZN7rocprim17ROCPRIM_400000_NS6detail17trampoline_kernelINS0_13select_configILj256ELj13ELNS0_17block_load_methodE3ELS4_3ELS4_3ELNS0_20block_scan_algorithmE0ELj4294967295EEENS1_25partition_config_selectorILNS1_17partition_subalgoE4EjNS0_10empty_typeEbEEZZNS1_14partition_implILS8_4ELb0ES6_15HIP_vector_typeIjLj2EENS0_17counting_iteratorIjlEEPS9_SG_NS0_5tupleIJPjSI_NS0_16reverse_iteratorISI_EEEEENSH_IJSG_SG_SG_EEES9_SI_JZNS1_25segmented_radix_sort_implINS0_14default_configELb1EPKaPaPKlPlN2at6native12_GLOBAL__N_18offset_tEEE10hipError_tPvRmT1_PNSt15iterator_traitsIS12_E10value_typeET2_T3_PNS13_IS18_E10value_typeET4_jRbjT5_S1E_jjP12ihipStream_tbEUljE_ZNSN_ISO_Lb1ESQ_SR_ST_SU_SY_EESZ_S10_S11_S12_S16_S17_S18_S1B_S1C_jS1D_jS1E_S1E_jjS1G_bEUljE0_EEESZ_S10_S11_S18_S1C_S1E_T6_T7_T9_mT8_S1G_bDpT10_ENKUlT_T0_E_clISt17integral_constantIbLb0EES1T_IbLb1EEEEDaS1P_S1Q_EUlS1P_E_NS1_11comp_targetILNS1_3genE9ELNS1_11target_archE1100ELNS1_3gpuE3ELNS1_3repE0EEENS1_30default_config_static_selectorELNS0_4arch9wavefront6targetE0EEEvS12_.has_indirect_call, 0
	.section	.AMDGPU.csdata,"",@progbits
; Kernel info:
; codeLenInByte = 0
; TotalNumSgprs: 0
; NumVgprs: 0
; ScratchSize: 0
; MemoryBound: 0
; FloatMode: 240
; IeeeMode: 1
; LDSByteSize: 0 bytes/workgroup (compile time only)
; SGPRBlocks: 0
; VGPRBlocks: 0
; NumSGPRsForWavesPerEU: 1
; NumVGPRsForWavesPerEU: 1
; Occupancy: 16
; WaveLimiterHint : 0
; COMPUTE_PGM_RSRC2:SCRATCH_EN: 0
; COMPUTE_PGM_RSRC2:USER_SGPR: 6
; COMPUTE_PGM_RSRC2:TRAP_HANDLER: 0
; COMPUTE_PGM_RSRC2:TGID_X_EN: 1
; COMPUTE_PGM_RSRC2:TGID_Y_EN: 0
; COMPUTE_PGM_RSRC2:TGID_Z_EN: 0
; COMPUTE_PGM_RSRC2:TIDIG_COMP_CNT: 0
	.section	.text._ZN7rocprim17ROCPRIM_400000_NS6detail17trampoline_kernelINS0_13select_configILj256ELj13ELNS0_17block_load_methodE3ELS4_3ELS4_3ELNS0_20block_scan_algorithmE0ELj4294967295EEENS1_25partition_config_selectorILNS1_17partition_subalgoE4EjNS0_10empty_typeEbEEZZNS1_14partition_implILS8_4ELb0ES6_15HIP_vector_typeIjLj2EENS0_17counting_iteratorIjlEEPS9_SG_NS0_5tupleIJPjSI_NS0_16reverse_iteratorISI_EEEEENSH_IJSG_SG_SG_EEES9_SI_JZNS1_25segmented_radix_sort_implINS0_14default_configELb1EPKaPaPKlPlN2at6native12_GLOBAL__N_18offset_tEEE10hipError_tPvRmT1_PNSt15iterator_traitsIS12_E10value_typeET2_T3_PNS13_IS18_E10value_typeET4_jRbjT5_S1E_jjP12ihipStream_tbEUljE_ZNSN_ISO_Lb1ESQ_SR_ST_SU_SY_EESZ_S10_S11_S12_S16_S17_S18_S1B_S1C_jS1D_jS1E_S1E_jjS1G_bEUljE0_EEESZ_S10_S11_S18_S1C_S1E_T6_T7_T9_mT8_S1G_bDpT10_ENKUlT_T0_E_clISt17integral_constantIbLb0EES1T_IbLb1EEEEDaS1P_S1Q_EUlS1P_E_NS1_11comp_targetILNS1_3genE8ELNS1_11target_archE1030ELNS1_3gpuE2ELNS1_3repE0EEENS1_30default_config_static_selectorELNS0_4arch9wavefront6targetE0EEEvS12_,"axG",@progbits,_ZN7rocprim17ROCPRIM_400000_NS6detail17trampoline_kernelINS0_13select_configILj256ELj13ELNS0_17block_load_methodE3ELS4_3ELS4_3ELNS0_20block_scan_algorithmE0ELj4294967295EEENS1_25partition_config_selectorILNS1_17partition_subalgoE4EjNS0_10empty_typeEbEEZZNS1_14partition_implILS8_4ELb0ES6_15HIP_vector_typeIjLj2EENS0_17counting_iteratorIjlEEPS9_SG_NS0_5tupleIJPjSI_NS0_16reverse_iteratorISI_EEEEENSH_IJSG_SG_SG_EEES9_SI_JZNS1_25segmented_radix_sort_implINS0_14default_configELb1EPKaPaPKlPlN2at6native12_GLOBAL__N_18offset_tEEE10hipError_tPvRmT1_PNSt15iterator_traitsIS12_E10value_typeET2_T3_PNS13_IS18_E10value_typeET4_jRbjT5_S1E_jjP12ihipStream_tbEUljE_ZNSN_ISO_Lb1ESQ_SR_ST_SU_SY_EESZ_S10_S11_S12_S16_S17_S18_S1B_S1C_jS1D_jS1E_S1E_jjS1G_bEUljE0_EEESZ_S10_S11_S18_S1C_S1E_T6_T7_T9_mT8_S1G_bDpT10_ENKUlT_T0_E_clISt17integral_constantIbLb0EES1T_IbLb1EEEEDaS1P_S1Q_EUlS1P_E_NS1_11comp_targetILNS1_3genE8ELNS1_11target_archE1030ELNS1_3gpuE2ELNS1_3repE0EEENS1_30default_config_static_selectorELNS0_4arch9wavefront6targetE0EEEvS12_,comdat
	.globl	_ZN7rocprim17ROCPRIM_400000_NS6detail17trampoline_kernelINS0_13select_configILj256ELj13ELNS0_17block_load_methodE3ELS4_3ELS4_3ELNS0_20block_scan_algorithmE0ELj4294967295EEENS1_25partition_config_selectorILNS1_17partition_subalgoE4EjNS0_10empty_typeEbEEZZNS1_14partition_implILS8_4ELb0ES6_15HIP_vector_typeIjLj2EENS0_17counting_iteratorIjlEEPS9_SG_NS0_5tupleIJPjSI_NS0_16reverse_iteratorISI_EEEEENSH_IJSG_SG_SG_EEES9_SI_JZNS1_25segmented_radix_sort_implINS0_14default_configELb1EPKaPaPKlPlN2at6native12_GLOBAL__N_18offset_tEEE10hipError_tPvRmT1_PNSt15iterator_traitsIS12_E10value_typeET2_T3_PNS13_IS18_E10value_typeET4_jRbjT5_S1E_jjP12ihipStream_tbEUljE_ZNSN_ISO_Lb1ESQ_SR_ST_SU_SY_EESZ_S10_S11_S12_S16_S17_S18_S1B_S1C_jS1D_jS1E_S1E_jjS1G_bEUljE0_EEESZ_S10_S11_S18_S1C_S1E_T6_T7_T9_mT8_S1G_bDpT10_ENKUlT_T0_E_clISt17integral_constantIbLb0EES1T_IbLb1EEEEDaS1P_S1Q_EUlS1P_E_NS1_11comp_targetILNS1_3genE8ELNS1_11target_archE1030ELNS1_3gpuE2ELNS1_3repE0EEENS1_30default_config_static_selectorELNS0_4arch9wavefront6targetE0EEEvS12_ ; -- Begin function _ZN7rocprim17ROCPRIM_400000_NS6detail17trampoline_kernelINS0_13select_configILj256ELj13ELNS0_17block_load_methodE3ELS4_3ELS4_3ELNS0_20block_scan_algorithmE0ELj4294967295EEENS1_25partition_config_selectorILNS1_17partition_subalgoE4EjNS0_10empty_typeEbEEZZNS1_14partition_implILS8_4ELb0ES6_15HIP_vector_typeIjLj2EENS0_17counting_iteratorIjlEEPS9_SG_NS0_5tupleIJPjSI_NS0_16reverse_iteratorISI_EEEEENSH_IJSG_SG_SG_EEES9_SI_JZNS1_25segmented_radix_sort_implINS0_14default_configELb1EPKaPaPKlPlN2at6native12_GLOBAL__N_18offset_tEEE10hipError_tPvRmT1_PNSt15iterator_traitsIS12_E10value_typeET2_T3_PNS13_IS18_E10value_typeET4_jRbjT5_S1E_jjP12ihipStream_tbEUljE_ZNSN_ISO_Lb1ESQ_SR_ST_SU_SY_EESZ_S10_S11_S12_S16_S17_S18_S1B_S1C_jS1D_jS1E_S1E_jjS1G_bEUljE0_EEESZ_S10_S11_S18_S1C_S1E_T6_T7_T9_mT8_S1G_bDpT10_ENKUlT_T0_E_clISt17integral_constantIbLb0EES1T_IbLb1EEEEDaS1P_S1Q_EUlS1P_E_NS1_11comp_targetILNS1_3genE8ELNS1_11target_archE1030ELNS1_3gpuE2ELNS1_3repE0EEENS1_30default_config_static_selectorELNS0_4arch9wavefront6targetE0EEEvS12_
	.p2align	8
	.type	_ZN7rocprim17ROCPRIM_400000_NS6detail17trampoline_kernelINS0_13select_configILj256ELj13ELNS0_17block_load_methodE3ELS4_3ELS4_3ELNS0_20block_scan_algorithmE0ELj4294967295EEENS1_25partition_config_selectorILNS1_17partition_subalgoE4EjNS0_10empty_typeEbEEZZNS1_14partition_implILS8_4ELb0ES6_15HIP_vector_typeIjLj2EENS0_17counting_iteratorIjlEEPS9_SG_NS0_5tupleIJPjSI_NS0_16reverse_iteratorISI_EEEEENSH_IJSG_SG_SG_EEES9_SI_JZNS1_25segmented_radix_sort_implINS0_14default_configELb1EPKaPaPKlPlN2at6native12_GLOBAL__N_18offset_tEEE10hipError_tPvRmT1_PNSt15iterator_traitsIS12_E10value_typeET2_T3_PNS13_IS18_E10value_typeET4_jRbjT5_S1E_jjP12ihipStream_tbEUljE_ZNSN_ISO_Lb1ESQ_SR_ST_SU_SY_EESZ_S10_S11_S12_S16_S17_S18_S1B_S1C_jS1D_jS1E_S1E_jjS1G_bEUljE0_EEESZ_S10_S11_S18_S1C_S1E_T6_T7_T9_mT8_S1G_bDpT10_ENKUlT_T0_E_clISt17integral_constantIbLb0EES1T_IbLb1EEEEDaS1P_S1Q_EUlS1P_E_NS1_11comp_targetILNS1_3genE8ELNS1_11target_archE1030ELNS1_3gpuE2ELNS1_3repE0EEENS1_30default_config_static_selectorELNS0_4arch9wavefront6targetE0EEEvS12_,@function
_ZN7rocprim17ROCPRIM_400000_NS6detail17trampoline_kernelINS0_13select_configILj256ELj13ELNS0_17block_load_methodE3ELS4_3ELS4_3ELNS0_20block_scan_algorithmE0ELj4294967295EEENS1_25partition_config_selectorILNS1_17partition_subalgoE4EjNS0_10empty_typeEbEEZZNS1_14partition_implILS8_4ELb0ES6_15HIP_vector_typeIjLj2EENS0_17counting_iteratorIjlEEPS9_SG_NS0_5tupleIJPjSI_NS0_16reverse_iteratorISI_EEEEENSH_IJSG_SG_SG_EEES9_SI_JZNS1_25segmented_radix_sort_implINS0_14default_configELb1EPKaPaPKlPlN2at6native12_GLOBAL__N_18offset_tEEE10hipError_tPvRmT1_PNSt15iterator_traitsIS12_E10value_typeET2_T3_PNS13_IS18_E10value_typeET4_jRbjT5_S1E_jjP12ihipStream_tbEUljE_ZNSN_ISO_Lb1ESQ_SR_ST_SU_SY_EESZ_S10_S11_S12_S16_S17_S18_S1B_S1C_jS1D_jS1E_S1E_jjS1G_bEUljE0_EEESZ_S10_S11_S18_S1C_S1E_T6_T7_T9_mT8_S1G_bDpT10_ENKUlT_T0_E_clISt17integral_constantIbLb0EES1T_IbLb1EEEEDaS1P_S1Q_EUlS1P_E_NS1_11comp_targetILNS1_3genE8ELNS1_11target_archE1030ELNS1_3gpuE2ELNS1_3repE0EEENS1_30default_config_static_selectorELNS0_4arch9wavefront6targetE0EEEvS12_: ; @_ZN7rocprim17ROCPRIM_400000_NS6detail17trampoline_kernelINS0_13select_configILj256ELj13ELNS0_17block_load_methodE3ELS4_3ELS4_3ELNS0_20block_scan_algorithmE0ELj4294967295EEENS1_25partition_config_selectorILNS1_17partition_subalgoE4EjNS0_10empty_typeEbEEZZNS1_14partition_implILS8_4ELb0ES6_15HIP_vector_typeIjLj2EENS0_17counting_iteratorIjlEEPS9_SG_NS0_5tupleIJPjSI_NS0_16reverse_iteratorISI_EEEEENSH_IJSG_SG_SG_EEES9_SI_JZNS1_25segmented_radix_sort_implINS0_14default_configELb1EPKaPaPKlPlN2at6native12_GLOBAL__N_18offset_tEEE10hipError_tPvRmT1_PNSt15iterator_traitsIS12_E10value_typeET2_T3_PNS13_IS18_E10value_typeET4_jRbjT5_S1E_jjP12ihipStream_tbEUljE_ZNSN_ISO_Lb1ESQ_SR_ST_SU_SY_EESZ_S10_S11_S12_S16_S17_S18_S1B_S1C_jS1D_jS1E_S1E_jjS1G_bEUljE0_EEESZ_S10_S11_S18_S1C_S1E_T6_T7_T9_mT8_S1G_bDpT10_ENKUlT_T0_E_clISt17integral_constantIbLb0EES1T_IbLb1EEEEDaS1P_S1Q_EUlS1P_E_NS1_11comp_targetILNS1_3genE8ELNS1_11target_archE1030ELNS1_3gpuE2ELNS1_3repE0EEENS1_30default_config_static_selectorELNS0_4arch9wavefront6targetE0EEEvS12_
; %bb.0:
	s_clause 0x7
	s_load_dwordx2 s[34:35], s[4:5], 0x10
	s_load_dwordx4 s[28:31], s[4:5], 0x28
	s_load_dwordx2 s[14:15], s[4:5], 0x38
	s_load_dwordx4 s[24:27], s[4:5], 0x58
	s_load_dwordx2 s[2:3], s[4:5], 0x68
	s_load_dwordx2 s[36:37], s[4:5], 0x78
	;; [unrolled: 1-line block ×3, first 2 shown]
	s_load_dwordx8 s[16:23], s[4:5], 0x90
	v_cmp_eq_u32_e64 s0, 0, v0
	s_and_saveexec_b32 s1, s0
	s_cbranch_execz .LBB255_4
; %bb.1:
	s_mov_b32 s7, exec_lo
	s_mov_b32 s6, exec_lo
	v_mbcnt_lo_u32_b32 v1, s7, 0
                                        ; implicit-def: $vgpr2
	v_cmpx_eq_u32_e32 0, v1
	s_cbranch_execz .LBB255_3
; %bb.2:
	s_load_dwordx2 s[8:9], s[4:5], 0x88
	s_bcnt1_i32_b32 s7, s7
	v_mov_b32_e32 v2, 0
	v_mov_b32_e32 v3, s7
	s_waitcnt lgkmcnt(0)
	global_atomic_add v2, v2, v3, s[8:9] glc
.LBB255_3:
	s_or_b32 exec_lo, exec_lo, s6
	s_waitcnt vmcnt(0)
	v_readfirstlane_b32 s6, v2
	v_mov_b32_e32 v2, 0
	v_add_nc_u32_e32 v1, s6, v1
	ds_write_b32 v2, v1
.LBB255_4:
	s_or_b32 exec_lo, exec_lo, s1
	v_mov_b32_e32 v1, 0
	s_clause 0x1
	s_load_dword s6, s[4:5], 0x8
	s_load_dword s1, s[4:5], 0x80
	s_waitcnt lgkmcnt(0)
	s_barrier
	buffer_gl0_inv
	ds_read_b32 v5, v1
	s_waitcnt lgkmcnt(0)
	s_barrier
	buffer_gl0_inv
	global_load_dwordx4 v[1:4], v1, s[26:27]
	s_add_i32 s5, s6, s34
	s_mul_i32 s4, s1, 0xd00
	s_add_i32 s1, s1, -1
	s_add_u32 s6, s34, s4
	s_addc_u32 s7, s35, 0
	v_mul_lo_u32 v31, 0xd00, v5
	v_readfirstlane_b32 s27, v5
	v_cmp_gt_u64_e64 s3, s[2:3], s[6:7]
	v_cmp_ne_u32_e32 vcc_lo, s1, v5
	s_cmp_eq_u32 s27, s1
	s_cselect_b32 s26, -1, 0
	v_add3_u32 v5, v31, s5, v0
	s_or_b32 s1, s3, vcc_lo
	s_mov_b32 s3, -1
	s_and_b32 vcc_lo, exec_lo, s1
	v_add_nc_u32_e32 v6, 0x100, v5
	v_add_nc_u32_e32 v7, 0x200, v5
	;; [unrolled: 1-line block ×12, first 2 shown]
	s_cbranch_vccz .LBB255_6
; %bb.5:
	v_lshlrev_b32_e32 v18, 2, v0
	s_mov_b32 s3, 0
	ds_write2st64_b32 v18, v5, v6 offset1:4
	ds_write2st64_b32 v18, v7, v8 offset0:8 offset1:12
	ds_write2st64_b32 v18, v9, v10 offset0:16 offset1:20
	;; [unrolled: 1-line block ×5, first 2 shown]
	ds_write_b32 v18, v17 offset:12288
	s_waitcnt vmcnt(0) lgkmcnt(0)
	s_barrier
.LBB255_6:
	s_andn2_b32 vcc_lo, exec_lo, s3
	s_add_i32 s4, s4, s34
	s_cbranch_vccnz .LBB255_8
; %bb.7:
	v_lshlrev_b32_e32 v18, 2, v0
	ds_write2st64_b32 v18, v5, v6 offset1:4
	ds_write2st64_b32 v18, v7, v8 offset0:8 offset1:12
	ds_write2st64_b32 v18, v9, v10 offset0:16 offset1:20
	ds_write2st64_b32 v18, v11, v12 offset0:24 offset1:28
	ds_write2st64_b32 v18, v13, v14 offset0:32 offset1:36
	ds_write2st64_b32 v18, v15, v16 offset0:40 offset1:44
	ds_write_b32 v18, v17 offset:12288
	s_waitcnt vmcnt(0) lgkmcnt(0)
	s_barrier
.LBB255_8:
	v_mul_u32_u24_e32 v34, 13, v0
	s_waitcnt vmcnt(0)
	buffer_gl0_inv
	v_cndmask_b32_e64 v32, 0, 1, s1
	s_sub_i32 s33, s2, s4
	s_andn2_b32 vcc_lo, exec_lo, s1
	v_lshlrev_b32_e32 v5, 2, v34
	ds_read_b32 v33, v5 offset:48
	ds_read2_b32 v[13:14], v5 offset0:10 offset1:11
	ds_read2_b32 v[15:16], v5 offset0:8 offset1:9
	;; [unrolled: 1-line block ×4, first 2 shown]
	ds_read2_b32 v[23:24], v5 offset1:1
	ds_read2_b32 v[21:22], v5 offset0:2 offset1:3
	s_waitcnt lgkmcnt(0)
	s_barrier
	buffer_gl0_inv
	s_cbranch_vccnz .LBB255_36
; %bb.9:
	v_add_nc_u32_e32 v5, s17, v23
	v_add_nc_u32_e32 v6, s19, v23
	s_mov_b32 s41, 0
	s_mov_b32 s40, 0
	s_mov_b32 s2, exec_lo
	v_mul_lo_u32 v5, v5, s16
	v_mul_lo_u32 v6, v6, s18
	v_sub_nc_u32_e32 v5, v5, v6
	v_cmp_lt_u32_e32 vcc_lo, s20, v5
	v_cmpx_ge_u32_e64 s20, v5
	s_cbranch_execz .LBB255_11
; %bb.10:
	v_add_nc_u32_e32 v5, s22, v23
	v_add_nc_u32_e32 v6, s38, v23
	v_mul_lo_u32 v5, v5, s21
	v_mul_lo_u32 v6, v6, s23
	v_sub_nc_u32_e32 v5, v5, v6
	v_cmp_lt_u32_e64 s1, s39, v5
	s_and_b32 s40, s1, exec_lo
.LBB255_11:
	s_or_b32 exec_lo, exec_lo, s2
	v_add_nc_u32_e32 v5, s17, v24
	v_add_nc_u32_e32 v6, s19, v24
	s_mov_b32 s3, exec_lo
	v_mul_lo_u32 v5, v5, s16
	v_mul_lo_u32 v6, v6, s18
	v_sub_nc_u32_e32 v5, v5, v6
	v_cmp_lt_u32_e64 s1, s20, v5
	v_cmpx_ge_u32_e64 s20, v5
	s_cbranch_execz .LBB255_13
; %bb.12:
	v_add_nc_u32_e32 v5, s22, v24
	v_add_nc_u32_e32 v6, s38, v24
	v_mul_lo_u32 v5, v5, s21
	v_mul_lo_u32 v6, v6, s23
	v_sub_nc_u32_e32 v5, v5, v6
	v_cmp_lt_u32_e64 s2, s39, v5
	s_and_b32 s41, s2, exec_lo
.LBB255_13:
	s_or_b32 exec_lo, exec_lo, s3
	v_add_nc_u32_e32 v5, s17, v21
	v_add_nc_u32_e32 v6, s19, v21
	s_mov_b32 s43, 0
	s_mov_b32 s42, 0
	s_mov_b32 s4, exec_lo
	v_mul_lo_u32 v5, v5, s16
	v_mul_lo_u32 v6, v6, s18
	v_sub_nc_u32_e32 v5, v5, v6
	v_cmp_lt_u32_e64 s2, s20, v5
	v_cmpx_ge_u32_e64 s20, v5
	s_cbranch_execz .LBB255_15
; %bb.14:
	v_add_nc_u32_e32 v5, s22, v21
	v_add_nc_u32_e32 v6, s38, v21
	v_mul_lo_u32 v5, v5, s21
	v_mul_lo_u32 v6, v6, s23
	v_sub_nc_u32_e32 v5, v5, v6
	v_cmp_lt_u32_e64 s3, s39, v5
	s_and_b32 s42, s3, exec_lo
.LBB255_15:
	s_or_b32 exec_lo, exec_lo, s4
	v_add_nc_u32_e32 v5, s17, v22
	v_add_nc_u32_e32 v6, s19, v22
	s_mov_b32 s5, exec_lo
	v_mul_lo_u32 v5, v5, s16
	v_mul_lo_u32 v6, v6, s18
	v_sub_nc_u32_e32 v5, v5, v6
	v_cmp_lt_u32_e64 s3, s20, v5
	v_cmpx_ge_u32_e64 s20, v5
	s_cbranch_execz .LBB255_17
; %bb.16:
	v_add_nc_u32_e32 v5, s22, v22
	v_add_nc_u32_e32 v6, s38, v22
	v_mul_lo_u32 v5, v5, s21
	v_mul_lo_u32 v6, v6, s23
	v_sub_nc_u32_e32 v5, v5, v6
	v_cmp_lt_u32_e64 s4, s39, v5
	s_and_b32 s43, s4, exec_lo
.LBB255_17:
	s_or_b32 exec_lo, exec_lo, s5
	v_add_nc_u32_e32 v5, s17, v19
	v_add_nc_u32_e32 v6, s19, v19
	s_mov_b32 s45, 0
	s_mov_b32 s44, 0
	s_mov_b32 s6, exec_lo
	v_mul_lo_u32 v5, v5, s16
	v_mul_lo_u32 v6, v6, s18
	v_sub_nc_u32_e32 v5, v5, v6
	v_cmp_lt_u32_e64 s4, s20, v5
	;; [unrolled: 40-line block ×6, first 2 shown]
	v_cmpx_ge_u32_e64 s20, v5
	s_cbranch_execz .LBB255_35
; %bb.34:
	v_add_nc_u32_e32 v5, s22, v33
	v_add_nc_u32_e32 v6, s38, v33
	v_mul_lo_u32 v5, v5, s21
	v_mul_lo_u32 v6, v6, s23
	v_sub_nc_u32_e32 v5, v5, v6
	v_cmp_lt_u32_e64 s13, s39, v5
	s_and_b32 s53, s13, exec_lo
.LBB255_35:
	s_or_b32 exec_lo, exec_lo, s54
	v_cndmask_b32_e64 v6, 0, 1, s1
	v_cndmask_b32_e64 v8, 0, 1, s3
	v_cndmask_b32_e64 v5, 0, 1, vcc_lo
	v_cndmask_b32_e64 v7, 0, 1, s2
	v_cndmask_b32_e64 v10, 0, 1, s5
	v_lshlrev_b16 v6, 8, v6
	v_lshlrev_b16 v8, 8, v8
	v_cndmask_b32_e64 v12, 0, 1, s7
	v_cndmask_b32_e64 v26, 0, 1, s9
	v_cndmask_b32_e64 v29, 0, 1, s11
	v_or_b32_e32 v5, v5, v6
	v_or_b32_sdwa v6, v7, v8 dst_sel:WORD_1 dst_unused:UNUSED_PAD src0_sel:DWORD src1_sel:DWORD
	v_cndmask_b32_e64 v7, 0, 1, s40
	v_cndmask_b32_e64 v9, 0, 1, s4
	;; [unrolled: 1-line block ×11, first 2 shown]
	v_or_b32_sdwa v35, v5, v6 dst_sel:DWORD dst_unused:UNUSED_PAD src0_sel:WORD_0 src1_sel:DWORD
	v_lshlrev_b16 v5, 8, v10
	v_lshlrev_b16 v6, 8, v12
	;; [unrolled: 1-line block ×5, first 2 shown]
	v_cndmask_b32_e64 v30, 0, 1, s49
	v_cndmask_b32_e64 v37, 0, 1, s47
	;; [unrolled: 1-line block ×5, first 2 shown]
	v_or_b32_e32 v5, v9, v5
	v_or_b32_sdwa v6, v11, v6 dst_sel:WORD_1 dst_unused:UNUSED_PAD src0_sel:DWORD src1_sel:DWORD
	v_or_b32_e32 v9, v25, v10
	v_or_b32_sdwa v10, v27, v12 dst_sel:WORD_1 dst_unused:UNUSED_PAD src0_sel:DWORD src1_sel:DWORD
	v_or_b32_e32 v7, v8, v7
	v_lshlrev_b16 v8, 8, v44
	v_lshlrev_b16 v11, 8, v41
	;; [unrolled: 1-line block ×5, first 2 shown]
	v_or_b32_sdwa v8, v45, v8 dst_sel:WORD_1 dst_unused:UNUSED_PAD src0_sel:DWORD src1_sel:DWORD
	v_or_b32_e32 v11, v43, v11
	v_or_b32_sdwa v12, v40, v12 dst_sel:WORD_1 dst_unused:UNUSED_PAD src0_sel:DWORD src1_sel:DWORD
	v_or_b32_e32 v25, v37, v25
	v_or_b32_sdwa v26, v30, v26 dst_sel:WORD_1 dst_unused:UNUSED_PAD src0_sel:DWORD src1_sel:DWORD
	v_cndmask_b32_e64 v39, 0, 1, s51
	v_cndmask_b32_e64 v42, 0, 1, s53
	v_or_b32_sdwa v37, v5, v6 dst_sel:DWORD dst_unused:UNUSED_PAD src0_sel:WORD_0 src1_sel:DWORD
	v_or_b32_sdwa v40, v9, v10 dst_sel:DWORD dst_unused:UNUSED_PAD src0_sel:WORD_0 src1_sel:DWORD
	;; [unrolled: 1-line block ×5, first 2 shown]
	s_and_b32 vcc_lo, exec_lo, s50
	s_add_i32 s5, s33, 0xd00
	s_cbranch_vccnz .LBB255_37
	s_branch .LBB255_114
.LBB255_36:
                                        ; implicit-def: $vgpr42
                                        ; implicit-def: $vgpr39
                                        ; implicit-def: $vgpr38
                                        ; implicit-def: $vgpr36
                                        ; implicit-def: $vgpr41
                                        ; implicit-def: $vgpr40
                                        ; implicit-def: $vgpr37
                                        ; implicit-def: $vgpr35
	s_add_i32 s5, s33, 0xd00
	s_cbranch_execz .LBB255_114
.LBB255_37:
	v_mov_b32_e32 v6, 0
	v_mov_b32_e32 v5, 0
	s_mov_b32 s2, exec_lo
	v_cmpx_gt_u32_e64 s5, v34
	s_cbranch_execz .LBB255_41
; %bb.38:
	v_add_nc_u32_e32 v5, s17, v23
	v_add_nc_u32_e32 v6, s19, v23
	s_mov_b32 s4, 0
	s_mov_b32 s3, exec_lo
	v_mul_lo_u32 v5, v5, s16
	v_mul_lo_u32 v6, v6, s18
	v_sub_nc_u32_e32 v5, v5, v6
	v_cmp_lt_u32_e32 vcc_lo, s20, v5
	v_cmpx_ge_u32_e64 s20, v5
	s_cbranch_execz .LBB255_40
; %bb.39:
	v_add_nc_u32_e32 v5, s22, v23
	v_add_nc_u32_e32 v6, s38, v23
	v_mul_lo_u32 v5, v5, s21
	v_mul_lo_u32 v6, v6, s23
	v_sub_nc_u32_e32 v5, v5, v6
	v_cmp_lt_u32_e64 s1, s39, v5
	s_and_b32 s4, s1, exec_lo
.LBB255_40:
	s_or_b32 exec_lo, exec_lo, s3
	v_cndmask_b32_e64 v6, 0, 1, s4
	v_cndmask_b32_e64 v5, 0, 1, vcc_lo
.LBB255_41:
	s_or_b32 exec_lo, exec_lo, s2
	v_add_nc_u32_e32 v7, 1, v34
	v_lshlrev_b16 v25, 8, v6
	v_and_b32_e32 v10, 0xff, v5
	v_lshlrev_b16 v11, 8, 0
                                        ; implicit-def: $vgpr9
                                        ; implicit-def: $vgpr12
                                        ; implicit-def: $vgpr6
                                        ; implicit-def: $vgpr8
	v_cmp_le_u32_e32 vcc_lo, s5, v7
                                        ; implicit-def: $vgpr7
	s_and_saveexec_b32 s1, vcc_lo
	s_xor_b32 s1, exec_lo, s1
	s_cbranch_execz .LBB255_43
; %bb.42:
	v_mov_b32_e32 v5, 8
	v_mov_b32_e32 v6, 0xff
	;; [unrolled: 1-line block ×3, first 2 shown]
	v_and_b32_e32 v8, 0xffff, v11
	v_and_b32_e32 v7, 0xffff, v11
	v_lshrrev_b32_sdwa v5, v5, v25 dst_sel:BYTE_1 dst_unused:UNUSED_PAD src0_sel:DWORD src1_sel:WORD_0
	v_and_b32_sdwa v6, v25, v6 dst_sel:DWORD dst_unused:UNUSED_PAD src0_sel:WORD_0 src1_sel:DWORD
                                        ; implicit-def: $vgpr25
	v_or_b32_e32 v5, v6, v5
	v_and_b32_e32 v6, 0xffff, v11
                                        ; implicit-def: $vgpr11
	v_and_b32_e32 v12, 0xffff, v5
                                        ; implicit-def: $vgpr5
.LBB255_43:
	s_andn2_saveexec_b32 s2, s1
	s_cbranch_execz .LBB255_47
; %bb.44:
	v_add_nc_u32_e32 v6, s17, v24
	v_add_nc_u32_e32 v7, s19, v24
	s_mov_b32 s3, 0
	s_mov_b32 s4, exec_lo
	v_mul_lo_u32 v6, v6, s16
	v_mul_lo_u32 v7, v7, s18
	v_sub_nc_u32_e32 v6, v6, v7
	v_cmp_lt_u32_e32 vcc_lo, s20, v6
	v_cmpx_ge_u32_e64 s20, v6
	s_cbranch_execz .LBB255_46
; %bb.45:
	v_add_nc_u32_e32 v6, s22, v24
	v_add_nc_u32_e32 v7, s38, v24
	v_mul_lo_u32 v6, v6, s21
	v_mul_lo_u32 v7, v7, s23
	v_sub_nc_u32_e32 v6, v6, v7
	v_cmp_lt_u32_e64 s1, s39, v6
	s_and_b32 s3, s1, exec_lo
.LBB255_46:
	s_or_b32 exec_lo, exec_lo, s4
	v_mov_b32_e32 v6, 0xff
	v_mov_b32_e32 v7, 8
	v_cndmask_b32_e64 v8, 0, 1, vcc_lo
	v_mov_b32_e32 v9, 0
	v_and_b32_sdwa v6, v25, v6 dst_sel:DWORD dst_unused:UNUSED_PAD src0_sel:WORD_0 src1_sel:DWORD
	v_lshrrev_b32_sdwa v7, v7, v25 dst_sel:BYTE_1 dst_unused:UNUSED_PAD src0_sel:DWORD src1_sel:WORD_0
	v_lshlrev_b16 v8, 8, v8
	v_or_b32_e32 v6, v6, v7
	v_cndmask_b32_e64 v7, 0, 1, s3
	v_or_b32_sdwa v5, v5, v8 dst_sel:DWORD dst_unused:UNUSED_PAD src0_sel:BYTE_0 src1_sel:DWORD
	v_and_b32_e32 v8, 0xffff, v11
	v_and_b32_e32 v12, 0xffff, v6
	v_mov_b32_e32 v6, 0
	v_and_b32_e32 v10, 0xffff, v5
	v_lshl_or_b32 v12, v7, 16, v12
	v_and_b32_e32 v7, 0xffff, v11
.LBB255_47:
	s_or_b32 exec_lo, exec_lo, s2
	v_add_nc_u32_e32 v5, 2, v34
                                        ; implicit-def: $vgpr11
	v_cmp_le_u32_e32 vcc_lo, s5, v5
                                        ; implicit-def: $vgpr5
	s_and_saveexec_b32 s1, vcc_lo
	s_xor_b32 s1, exec_lo, s1
	s_cbranch_execz .LBB255_49
; %bb.48:
	v_lshrrev_b32_e32 v5, 24, v10
	v_mov_b32_e32 v11, 8
	v_and_b32_e32 v25, 0xff0000, v12
	v_perm_b32 v8, v8, v8, 0x3060504
	v_perm_b32 v5, v5, v10, 0x40c0100
	v_lshrrev_b32_sdwa v10, v11, v5 dst_sel:BYTE_1 dst_unused:UNUSED_PAD src0_sel:DWORD src1_sel:DWORD
	v_or_b32_sdwa v10, v5, v10 dst_sel:DWORD dst_unused:UNUSED_PAD src0_sel:BYTE_0 src1_sel:DWORD
	v_and_b32_e32 v10, 0xffff, v10
	v_and_or_b32 v11, 0xff000000, v5, v10
	v_perm_b32 v5, v12, v25, 0x3020504
                                        ; implicit-def: $vgpr10
                                        ; implicit-def: $vgpr12
.LBB255_49:
	s_andn2_saveexec_b32 s2, s1
	s_cbranch_execz .LBB255_53
; %bb.50:
	v_add_nc_u32_e32 v5, s17, v21
	v_add_nc_u32_e32 v11, s19, v21
	s_mov_b32 s3, 0
	s_mov_b32 s4, exec_lo
	v_mul_lo_u32 v5, v5, s16
	v_mul_lo_u32 v11, v11, s18
	v_sub_nc_u32_e32 v5, v5, v11
	v_cmp_lt_u32_e32 vcc_lo, s20, v5
	v_cmpx_ge_u32_e64 s20, v5
	s_cbranch_execz .LBB255_52
; %bb.51:
	v_add_nc_u32_e32 v5, s22, v21
	v_add_nc_u32_e32 v11, s38, v21
	v_mul_lo_u32 v5, v5, s21
	v_mul_lo_u32 v11, v11, s23
	v_sub_nc_u32_e32 v5, v5, v11
	v_cmp_lt_u32_e64 s1, s39, v5
	s_and_b32 s3, s1, exec_lo
.LBB255_52:
	s_or_b32 exec_lo, exec_lo, s4
	v_mov_b32_e32 v5, 8
	v_mov_b32_e32 v11, 24
	v_cndmask_b32_e64 v26, 0, 1, s3
	v_mov_b32_e32 v27, 0xff
	v_cndmask_b32_e64 v25, 0, 1, vcc_lo
	v_lshrrev_b32_sdwa v28, v5, v10 dst_sel:BYTE_1 dst_unused:UNUSED_PAD src0_sel:DWORD src1_sel:DWORD
	v_lshrrev_b32_sdwa v11, v11, v10 dst_sel:BYTE_1 dst_unused:UNUSED_PAD src0_sel:DWORD src1_sel:DWORD
	;; [unrolled: 1-line block ×3, first 2 shown]
	v_lshlrev_b16 v26, 8, v26
	v_and_b32_sdwa v27, v12, v27 dst_sel:DWORD dst_unused:UNUSED_PAD src0_sel:WORD_1 src1_sel:DWORD
	v_or_b32_sdwa v10, v10, v28 dst_sel:DWORD dst_unused:UNUSED_PAD src0_sel:BYTE_0 src1_sel:DWORD
	v_or_b32_sdwa v11, v25, v11 dst_sel:WORD_1 dst_unused:UNUSED_PAD src0_sel:DWORD src1_sel:DWORD
	v_or_b32_sdwa v5, v12, v5 dst_sel:DWORD dst_unused:UNUSED_PAD src0_sel:BYTE_0 src1_sel:DWORD
	v_or_b32_sdwa v12, v27, v26 dst_sel:WORD_1 dst_unused:UNUSED_PAD src0_sel:DWORD src1_sel:DWORD
	v_or_b32_sdwa v11, v10, v11 dst_sel:DWORD dst_unused:UNUSED_PAD src0_sel:WORD_0 src1_sel:DWORD
	v_or_b32_sdwa v5, v5, v12 dst_sel:DWORD dst_unused:UNUSED_PAD src0_sel:WORD_0 src1_sel:DWORD
.LBB255_53:
	s_or_b32 exec_lo, exec_lo, s2
	v_add_nc_u32_e32 v10, 3, v34
                                        ; implicit-def: $vgpr35
	v_cmp_le_u32_e32 vcc_lo, s5, v10
                                        ; implicit-def: $vgpr10
	s_and_saveexec_b32 s1, vcc_lo
	s_xor_b32 s1, exec_lo, s1
	s_cbranch_execz .LBB255_55
; %bb.54:
	v_mov_b32_e32 v10, 24
	v_mov_b32_e32 v12, 0xff
	;; [unrolled: 1-line block ×3, first 2 shown]
	v_and_b32_e32 v26, 0xff0000, v11
	v_perm_b32 v8, v8, v8, 0x3060504
	v_lshrrev_b32_sdwa v10, v10, v9 dst_sel:BYTE_1 dst_unused:UNUSED_PAD src0_sel:DWORD src1_sel:DWORD
	v_and_b32_sdwa v12, v9, v12 dst_sel:DWORD dst_unused:UNUSED_PAD src0_sel:WORD_1 src1_sel:DWORD
	v_lshrrev_b32_sdwa v9, v25, v9 dst_sel:BYTE_1 dst_unused:UNUSED_PAD src0_sel:DWORD src1_sel:DWORD
	v_perm_b32 v35, v11, v26, 0x3020504
	v_perm_b32 v7, v7, v7, 0x3060504
                                        ; implicit-def: $vgpr11
	v_or_b32_sdwa v10, v12, v10 dst_sel:WORD_1 dst_unused:UNUSED_PAD src0_sel:DWORD src1_sel:DWORD
	v_or_b32_sdwa v10, v9, v10 dst_sel:DWORD dst_unused:UNUSED_PAD src0_sel:WORD_0 src1_sel:DWORD
                                        ; implicit-def: $vgpr9
.LBB255_55:
	s_andn2_saveexec_b32 s2, s1
	s_cbranch_execz .LBB255_59
; %bb.56:
	v_add_nc_u32_e32 v10, s17, v22
	v_add_nc_u32_e32 v12, s19, v22
	s_mov_b32 s3, 0
	s_mov_b32 s4, exec_lo
	v_mul_lo_u32 v10, v10, s16
	v_mul_lo_u32 v12, v12, s18
	v_sub_nc_u32_e32 v10, v10, v12
	v_cmp_lt_u32_e32 vcc_lo, s20, v10
	v_cmpx_ge_u32_e64 s20, v10
	s_cbranch_execz .LBB255_58
; %bb.57:
	v_add_nc_u32_e32 v10, s22, v22
	v_add_nc_u32_e32 v12, s38, v22
	v_mul_lo_u32 v10, v10, s21
	v_mul_lo_u32 v12, v12, s23
	v_sub_nc_u32_e32 v10, v10, v12
	v_cmp_lt_u32_e64 s1, s39, v10
	s_and_b32 s3, s1, exec_lo
.LBB255_58:
	s_or_b32 exec_lo, exec_lo, s4
	v_mov_b32_e32 v10, 8
	v_cndmask_b32_e64 v12, 0, 1, vcc_lo
	v_mov_b32_e32 v25, 0xff
	v_mov_b32_e32 v26, 24
	v_cndmask_b32_e64 v27, 0, 1, s3
	v_lshrrev_b32_sdwa v28, v10, v11 dst_sel:BYTE_1 dst_unused:UNUSED_PAD src0_sel:DWORD src1_sel:DWORD
	v_lshlrev_b16 v12, 8, v12
	v_and_b32_sdwa v29, v11, v25 dst_sel:DWORD dst_unused:UNUSED_PAD src0_sel:WORD_1 src1_sel:DWORD
	v_lshrrev_b32_sdwa v26, v26, v9 dst_sel:BYTE_1 dst_unused:UNUSED_PAD src0_sel:DWORD src1_sel:DWORD
	v_and_b32_sdwa v25, v9, v25 dst_sel:DWORD dst_unused:UNUSED_PAD src0_sel:WORD_1 src1_sel:DWORD
	v_lshrrev_b32_sdwa v9, v10, v9 dst_sel:BYTE_1 dst_unused:UNUSED_PAD src0_sel:DWORD src1_sel:DWORD
	v_or_b32_sdwa v10, v11, v28 dst_sel:DWORD dst_unused:UNUSED_PAD src0_sel:BYTE_0 src1_sel:DWORD
	v_or_b32_sdwa v11, v29, v12 dst_sel:WORD_1 dst_unused:UNUSED_PAD src0_sel:DWORD src1_sel:DWORD
	v_or_b32_sdwa v12, v25, v26 dst_sel:WORD_1 dst_unused:UNUSED_PAD src0_sel:DWORD src1_sel:DWORD
	v_or_b32_e32 v9, v27, v9
	v_or_b32_sdwa v35, v10, v11 dst_sel:DWORD dst_unused:UNUSED_PAD src0_sel:WORD_0 src1_sel:DWORD
	v_or_b32_sdwa v10, v9, v12 dst_sel:DWORD dst_unused:UNUSED_PAD src0_sel:WORD_0 src1_sel:DWORD
.LBB255_59:
	s_or_b32 exec_lo, exec_lo, s2
	v_add_nc_u32_e32 v9, 4, v34
                                        ; implicit-def: $vgpr11
	v_cmp_le_u32_e32 vcc_lo, s5, v9
                                        ; implicit-def: $vgpr9
	s_and_saveexec_b32 s1, vcc_lo
	s_xor_b32 s1, exec_lo, s1
	s_cbranch_execz .LBB255_61
; %bb.60:
	v_mov_b32_e32 v9, 24
	v_mov_b32_e32 v11, 0xff
	;; [unrolled: 1-line block ×3, first 2 shown]
	v_perm_b32 v7, v7, v7, 0x3060504
	v_lshrrev_b32_sdwa v25, v9, v8 dst_sel:BYTE_1 dst_unused:UNUSED_PAD src0_sel:DWORD src1_sel:DWORD
	v_and_b32_sdwa v26, v8, v11 dst_sel:DWORD dst_unused:UNUSED_PAD src0_sel:WORD_1 src1_sel:DWORD
	v_lshrrev_b32_sdwa v9, v9, v10 dst_sel:BYTE_1 dst_unused:UNUSED_PAD src0_sel:DWORD src1_sel:DWORD
	v_and_b32_sdwa v11, v10, v11 dst_sel:DWORD dst_unused:UNUSED_PAD src0_sel:WORD_1 src1_sel:DWORD
	v_lshrrev_b32_sdwa v8, v12, v8 dst_sel:BYTE_1 dst_unused:UNUSED_PAD src0_sel:DWORD src1_sel:DWORD
	v_or_b32_sdwa v12, v26, v25 dst_sel:WORD_1 dst_unused:UNUSED_PAD src0_sel:DWORD src1_sel:DWORD
	v_or_b32_e32 v11, v11, v9
	v_or_b32_sdwa v9, v8, v12 dst_sel:DWORD dst_unused:UNUSED_PAD src0_sel:WORD_0 src1_sel:DWORD
                                        ; implicit-def: $vgpr8
	v_perm_b32 v11, v11, v10, 0x5040c00
                                        ; implicit-def: $vgpr10
.LBB255_61:
	s_andn2_saveexec_b32 s2, s1
	s_cbranch_execz .LBB255_65
; %bb.62:
	v_add_nc_u32_e32 v9, s17, v19
	v_add_nc_u32_e32 v11, s19, v19
	s_mov_b32 s3, 0
	s_mov_b32 s4, exec_lo
	v_mul_lo_u32 v9, v9, s16
	v_mul_lo_u32 v11, v11, s18
	v_sub_nc_u32_e32 v9, v9, v11
	v_cmp_lt_u32_e32 vcc_lo, s20, v9
	v_cmpx_ge_u32_e64 s20, v9
	s_cbranch_execz .LBB255_64
; %bb.63:
	v_add_nc_u32_e32 v9, s22, v19
	v_add_nc_u32_e32 v11, s38, v19
	v_mul_lo_u32 v9, v9, s21
	v_mul_lo_u32 v11, v11, s23
	v_sub_nc_u32_e32 v9, v9, v11
	v_cmp_lt_u32_e64 s1, s39, v9
	s_and_b32 s3, s1, exec_lo
.LBB255_64:
	s_or_b32 exec_lo, exec_lo, s4
	v_mov_b32_e32 v9, 24
	v_mov_b32_e32 v11, 0xff
	;; [unrolled: 1-line block ×3, first 2 shown]
	v_cndmask_b32_e64 v25, 0, 1, s3
	v_cndmask_b32_e64 v26, 0, 1, vcc_lo
	v_lshrrev_b32_sdwa v27, v9, v8 dst_sel:BYTE_1 dst_unused:UNUSED_PAD src0_sel:DWORD src1_sel:DWORD
	v_and_b32_sdwa v28, v8, v11 dst_sel:DWORD dst_unused:UNUSED_PAD src0_sel:WORD_1 src1_sel:DWORD
	v_lshrrev_b32_sdwa v8, v12, v8 dst_sel:BYTE_1 dst_unused:UNUSED_PAD src0_sel:DWORD src1_sel:DWORD
	v_lshlrev_b16 v12, 8, v25
	v_lshrrev_b32_sdwa v9, v9, v10 dst_sel:BYTE_1 dst_unused:UNUSED_PAD src0_sel:DWORD src1_sel:DWORD
	v_and_b32_sdwa v11, v10, v11 dst_sel:DWORD dst_unused:UNUSED_PAD src0_sel:WORD_1 src1_sel:DWORD
	v_or_b32_sdwa v25, v28, v27 dst_sel:WORD_1 dst_unused:UNUSED_PAD src0_sel:DWORD src1_sel:DWORD
	v_or_b32_e32 v8, v26, v8
	v_or_b32_sdwa v10, v10, v12 dst_sel:DWORD dst_unused:UNUSED_PAD src0_sel:BYTE_0 src1_sel:DWORD
	v_or_b32_sdwa v11, v11, v9 dst_sel:WORD_1 dst_unused:UNUSED_PAD src0_sel:DWORD src1_sel:DWORD
	v_or_b32_sdwa v9, v8, v25 dst_sel:DWORD dst_unused:UNUSED_PAD src0_sel:WORD_0 src1_sel:DWORD
	v_or_b32_sdwa v11, v10, v11 dst_sel:DWORD dst_unused:UNUSED_PAD src0_sel:WORD_0 src1_sel:DWORD
.LBB255_65:
	s_or_b32 exec_lo, exec_lo, s2
	v_add_nc_u32_e32 v8, 5, v34
                                        ; implicit-def: $vgpr10
	v_cmp_le_u32_e32 vcc_lo, s5, v8
                                        ; implicit-def: $vgpr8
	s_and_saveexec_b32 s1, vcc_lo
	s_xor_b32 s1, exec_lo, s1
	s_cbranch_execz .LBB255_67
; %bb.66:
	v_lshrrev_b32_e32 v8, 24, v11
	v_mov_b32_e32 v10, 8
	v_mov_b32_e32 v12, 0xff
	v_perm_b32 v7, v7, v7, 0x3060504
	v_perm_b32 v8, v8, v11, 0x40c0100
	v_mov_b32_e32 v11, 24
	v_and_b32_sdwa v12, v9, v12 dst_sel:DWORD dst_unused:UNUSED_PAD src0_sel:WORD_1 src1_sel:DWORD
	v_lshrrev_b32_sdwa v10, v10, v8 dst_sel:BYTE_1 dst_unused:UNUSED_PAD src0_sel:DWORD src1_sel:DWORD
	v_lshrrev_b32_sdwa v11, v11, v9 dst_sel:BYTE_1 dst_unused:UNUSED_PAD src0_sel:DWORD src1_sel:DWORD
	v_or_b32_sdwa v10, v8, v10 dst_sel:DWORD dst_unused:UNUSED_PAD src0_sel:BYTE_0 src1_sel:DWORD
	v_or_b32_e32 v11, v12, v11
	v_and_b32_e32 v12, 0xffff, v10
	v_perm_b32 v10, v11, v9, 0x5040c00
                                        ; implicit-def: $vgpr9
                                        ; implicit-def: $vgpr11
	v_and_or_b32 v8, 0xff000000, v8, v12
.LBB255_67:
	s_andn2_saveexec_b32 s2, s1
	s_cbranch_execz .LBB255_71
; %bb.68:
	v_add_nc_u32_e32 v8, s17, v20
	v_add_nc_u32_e32 v10, s19, v20
	s_mov_b32 s3, 0
	s_mov_b32 s4, exec_lo
	v_mul_lo_u32 v8, v8, s16
	v_mul_lo_u32 v10, v10, s18
	v_sub_nc_u32_e32 v8, v8, v10
	v_cmp_lt_u32_e32 vcc_lo, s20, v8
	v_cmpx_ge_u32_e64 s20, v8
	s_cbranch_execz .LBB255_70
; %bb.69:
	v_add_nc_u32_e32 v8, s22, v20
	v_add_nc_u32_e32 v10, s38, v20
	v_mul_lo_u32 v8, v8, s21
	v_mul_lo_u32 v10, v10, s23
	v_sub_nc_u32_e32 v8, v8, v10
	v_cmp_lt_u32_e64 s1, s39, v8
	s_and_b32 s3, s1, exec_lo
.LBB255_70:
	s_or_b32 exec_lo, exec_lo, s4
	v_cndmask_b32_e64 v8, 0, 1, vcc_lo
	v_mov_b32_e32 v10, 24
	v_mov_b32_e32 v12, 0xff
	;; [unrolled: 1-line block ×3, first 2 shown]
	v_cndmask_b32_e64 v26, 0, 1, s3
	v_lshlrev_b16 v8, 8, v8
	v_lshrrev_b32_sdwa v27, v10, v9 dst_sel:BYTE_1 dst_unused:UNUSED_PAD src0_sel:DWORD src1_sel:DWORD
	v_and_b32_sdwa v12, v9, v12 dst_sel:DWORD dst_unused:UNUSED_PAD src0_sel:WORD_1 src1_sel:DWORD
	v_lshrrev_b32_sdwa v25, v25, v11 dst_sel:BYTE_1 dst_unused:UNUSED_PAD src0_sel:DWORD src1_sel:DWORD
	v_lshrrev_b32_sdwa v10, v10, v11 dst_sel:BYTE_1 dst_unused:UNUSED_PAD src0_sel:DWORD src1_sel:DWORD
	v_or_b32_sdwa v8, v9, v8 dst_sel:DWORD dst_unused:UNUSED_PAD src0_sel:BYTE_0 src1_sel:DWORD
	v_or_b32_sdwa v9, v12, v27 dst_sel:WORD_1 dst_unused:UNUSED_PAD src0_sel:DWORD src1_sel:DWORD
	v_or_b32_sdwa v11, v11, v25 dst_sel:DWORD dst_unused:UNUSED_PAD src0_sel:BYTE_0 src1_sel:DWORD
	v_or_b32_sdwa v12, v26, v10 dst_sel:WORD_1 dst_unused:UNUSED_PAD src0_sel:DWORD src1_sel:DWORD
	v_or_b32_sdwa v10, v8, v9 dst_sel:DWORD dst_unused:UNUSED_PAD src0_sel:WORD_0 src1_sel:DWORD
	v_or_b32_sdwa v8, v11, v12 dst_sel:DWORD dst_unused:UNUSED_PAD src0_sel:WORD_0 src1_sel:DWORD
.LBB255_71:
	s_or_b32 exec_lo, exec_lo, s2
	v_add_nc_u32_e32 v9, 6, v34
                                        ; implicit-def: $vgpr36
	v_cmp_le_u32_e32 vcc_lo, s5, v9
                                        ; implicit-def: $vgpr9
	s_and_saveexec_b32 s1, vcc_lo
	s_xor_b32 s1, exec_lo, s1
	s_cbranch_execz .LBB255_73
; %bb.72:
	v_lshrrev_b32_e32 v9, 24, v10
	v_mov_b32_e32 v11, 8
	v_perm_b32 v7, v7, v7, 0x3060504
	v_perm_b32 v9, v9, v10, 0x40c0100
	v_lshrrev_b32_sdwa v10, v11, v9 dst_sel:BYTE_1 dst_unused:UNUSED_PAD src0_sel:DWORD src1_sel:DWORD
	v_and_b32_e32 v11, 0xff0000, v8
	v_or_b32_sdwa v10, v9, v10 dst_sel:DWORD dst_unused:UNUSED_PAD src0_sel:BYTE_0 src1_sel:DWORD
	v_perm_b32 v36, v8, v11, 0x3020504
                                        ; implicit-def: $vgpr8
	v_and_b32_e32 v10, 0xffff, v10
	v_and_or_b32 v9, 0xff000000, v9, v10
                                        ; implicit-def: $vgpr10
.LBB255_73:
	s_andn2_saveexec_b32 s2, s1
	s_cbranch_execz .LBB255_77
; %bb.74:
	v_add_nc_u32_e32 v9, s17, v17
	v_add_nc_u32_e32 v11, s19, v17
	s_mov_b32 s3, 0
	s_mov_b32 s4, exec_lo
	v_mul_lo_u32 v9, v9, s16
	v_mul_lo_u32 v11, v11, s18
	v_sub_nc_u32_e32 v9, v9, v11
	v_cmp_lt_u32_e32 vcc_lo, s20, v9
	v_cmpx_ge_u32_e64 s20, v9
	s_cbranch_execz .LBB255_76
; %bb.75:
	v_add_nc_u32_e32 v9, s22, v17
	v_add_nc_u32_e32 v11, s38, v17
	v_mul_lo_u32 v9, v9, s21
	v_mul_lo_u32 v11, v11, s23
	v_sub_nc_u32_e32 v9, v9, v11
	v_cmp_lt_u32_e64 s1, s39, v9
	s_and_b32 s3, s1, exec_lo
.LBB255_76:
	s_or_b32 exec_lo, exec_lo, s4
	v_mov_b32_e32 v9, 8
	v_mov_b32_e32 v11, 24
	v_cndmask_b32_e64 v25, 0, 1, s3
	v_mov_b32_e32 v26, 0xff
	v_cndmask_b32_e64 v12, 0, 1, vcc_lo
	v_lshrrev_b32_sdwa v27, v9, v10 dst_sel:BYTE_1 dst_unused:UNUSED_PAD src0_sel:DWORD src1_sel:DWORD
	v_lshrrev_b32_sdwa v11, v11, v10 dst_sel:BYTE_1 dst_unused:UNUSED_PAD src0_sel:DWORD src1_sel:DWORD
	;; [unrolled: 1-line block ×3, first 2 shown]
	v_lshlrev_b16 v25, 8, v25
	v_and_b32_sdwa v26, v8, v26 dst_sel:DWORD dst_unused:UNUSED_PAD src0_sel:WORD_1 src1_sel:DWORD
	v_or_b32_sdwa v10, v10, v27 dst_sel:DWORD dst_unused:UNUSED_PAD src0_sel:BYTE_0 src1_sel:DWORD
	v_or_b32_sdwa v11, v12, v11 dst_sel:WORD_1 dst_unused:UNUSED_PAD src0_sel:DWORD src1_sel:DWORD
	v_or_b32_sdwa v8, v8, v9 dst_sel:DWORD dst_unused:UNUSED_PAD src0_sel:BYTE_0 src1_sel:DWORD
	v_or_b32_sdwa v12, v26, v25 dst_sel:WORD_1 dst_unused:UNUSED_PAD src0_sel:DWORD src1_sel:DWORD
	v_or_b32_sdwa v9, v10, v11 dst_sel:DWORD dst_unused:UNUSED_PAD src0_sel:WORD_0 src1_sel:DWORD
	v_or_b32_sdwa v36, v8, v12 dst_sel:DWORD dst_unused:UNUSED_PAD src0_sel:WORD_0 src1_sel:DWORD
.LBB255_77:
	s_or_b32 exec_lo, exec_lo, s2
	v_add_nc_u32_e32 v8, 7, v34
                                        ; implicit-def: $vgpr37
	v_cmp_le_u32_e32 vcc_lo, s5, v8
                                        ; implicit-def: $vgpr8
	s_and_saveexec_b32 s1, vcc_lo
	s_xor_b32 s1, exec_lo, s1
	s_cbranch_execz .LBB255_79
; %bb.78:
	v_mov_b32_e32 v8, 24
	v_mov_b32_e32 v10, 0xff
	v_mov_b32_e32 v11, 8
	v_lshrrev_b32_sdwa v8, v8, v7 dst_sel:BYTE_1 dst_unused:UNUSED_PAD src0_sel:DWORD src1_sel:DWORD
	v_and_b32_sdwa v10, v7, v10 dst_sel:DWORD dst_unused:UNUSED_PAD src0_sel:WORD_1 src1_sel:DWORD
	v_lshrrev_b32_sdwa v7, v11, v7 dst_sel:BYTE_1 dst_unused:UNUSED_PAD src0_sel:DWORD src1_sel:DWORD
	v_and_b32_e32 v11, 0xff0000, v9
	v_or_b32_sdwa v8, v10, v8 dst_sel:WORD_1 dst_unused:UNUSED_PAD src0_sel:DWORD src1_sel:DWORD
	v_perm_b32 v37, v9, v11, 0x3020504
                                        ; implicit-def: $vgpr9
	v_or_b32_sdwa v8, v7, v8 dst_sel:DWORD dst_unused:UNUSED_PAD src0_sel:WORD_0 src1_sel:DWORD
                                        ; implicit-def: $vgpr7
.LBB255_79:
	s_andn2_saveexec_b32 s2, s1
	s_cbranch_execz .LBB255_83
; %bb.80:
	v_add_nc_u32_e32 v8, s17, v18
	v_add_nc_u32_e32 v10, s19, v18
	s_mov_b32 s3, 0
	s_mov_b32 s4, exec_lo
	v_mul_lo_u32 v8, v8, s16
	v_mul_lo_u32 v10, v10, s18
	v_sub_nc_u32_e32 v8, v8, v10
	v_cmp_lt_u32_e32 vcc_lo, s20, v8
	v_cmpx_ge_u32_e64 s20, v8
	s_cbranch_execz .LBB255_82
; %bb.81:
	v_add_nc_u32_e32 v8, s22, v18
	v_add_nc_u32_e32 v10, s38, v18
	v_mul_lo_u32 v8, v8, s21
	v_mul_lo_u32 v10, v10, s23
	v_sub_nc_u32_e32 v8, v8, v10
	v_cmp_lt_u32_e64 s1, s39, v8
	s_and_b32 s3, s1, exec_lo
.LBB255_82:
	s_or_b32 exec_lo, exec_lo, s4
	v_mov_b32_e32 v8, 8
	v_cndmask_b32_e64 v10, 0, 1, vcc_lo
	v_mov_b32_e32 v11, 0xff
	v_mov_b32_e32 v12, 24
	v_cndmask_b32_e64 v25, 0, 1, s3
	v_lshrrev_b32_sdwa v26, v8, v9 dst_sel:BYTE_1 dst_unused:UNUSED_PAD src0_sel:DWORD src1_sel:DWORD
	v_lshlrev_b16 v10, 8, v10
	v_and_b32_sdwa v27, v9, v11 dst_sel:DWORD dst_unused:UNUSED_PAD src0_sel:WORD_1 src1_sel:DWORD
	v_lshrrev_b32_sdwa v12, v12, v7 dst_sel:BYTE_1 dst_unused:UNUSED_PAD src0_sel:DWORD src1_sel:DWORD
	v_and_b32_sdwa v11, v7, v11 dst_sel:DWORD dst_unused:UNUSED_PAD src0_sel:WORD_1 src1_sel:DWORD
	v_lshrrev_b32_sdwa v7, v8, v7 dst_sel:BYTE_1 dst_unused:UNUSED_PAD src0_sel:DWORD src1_sel:DWORD
	v_or_b32_sdwa v8, v9, v26 dst_sel:DWORD dst_unused:UNUSED_PAD src0_sel:BYTE_0 src1_sel:DWORD
	v_or_b32_sdwa v9, v27, v10 dst_sel:WORD_1 dst_unused:UNUSED_PAD src0_sel:DWORD src1_sel:DWORD
	v_or_b32_sdwa v10, v11, v12 dst_sel:WORD_1 dst_unused:UNUSED_PAD src0_sel:DWORD src1_sel:DWORD
	v_or_b32_e32 v7, v25, v7
	v_or_b32_sdwa v37, v8, v9 dst_sel:DWORD dst_unused:UNUSED_PAD src0_sel:WORD_0 src1_sel:DWORD
	v_or_b32_sdwa v8, v7, v10 dst_sel:DWORD dst_unused:UNUSED_PAD src0_sel:WORD_0 src1_sel:DWORD
.LBB255_83:
	s_or_b32 exec_lo, exec_lo, s2
	v_add_nc_u32_e32 v7, 8, v34
                                        ; implicit-def: $vgpr9
	v_cmp_le_u32_e32 vcc_lo, s5, v7
                                        ; implicit-def: $vgpr7
	s_and_saveexec_b32 s1, vcc_lo
	s_xor_b32 s1, exec_lo, s1
	s_cbranch_execz .LBB255_85
; %bb.84:
	v_mov_b32_e32 v7, 24
	v_mov_b32_e32 v9, 0xff
	;; [unrolled: 1-line block ×3, first 2 shown]
	v_perm_b32 v5, v5, v5, 0x3060504
	v_lshrrev_b32_sdwa v11, v7, v8 dst_sel:BYTE_1 dst_unused:UNUSED_PAD src0_sel:DWORD src1_sel:DWORD
	v_lshrrev_b32_sdwa v7, v7, v6 dst_sel:BYTE_1 dst_unused:UNUSED_PAD src0_sel:DWORD src1_sel:DWORD
	v_and_b32_sdwa v12, v6, v9 dst_sel:DWORD dst_unused:UNUSED_PAD src0_sel:WORD_1 src1_sel:DWORD
	v_and_b32_sdwa v9, v8, v9 dst_sel:DWORD dst_unused:UNUSED_PAD src0_sel:WORD_1 src1_sel:DWORD
	v_lshrrev_b32_sdwa v6, v10, v6 dst_sel:BYTE_1 dst_unused:UNUSED_PAD src0_sel:DWORD src1_sel:DWORD
	v_or_b32_sdwa v7, v12, v7 dst_sel:WORD_1 dst_unused:UNUSED_PAD src0_sel:DWORD src1_sel:DWORD
	v_or_b32_e32 v9, v9, v11
	v_or_b32_sdwa v7, v6, v7 dst_sel:DWORD dst_unused:UNUSED_PAD src0_sel:WORD_0 src1_sel:DWORD
	v_perm_b32 v9, v9, v8, 0x5040c00
                                        ; implicit-def: $vgpr6
                                        ; implicit-def: $vgpr8
.LBB255_85:
	s_andn2_saveexec_b32 s2, s1
	s_cbranch_execz .LBB255_89
; %bb.86:
	v_add_nc_u32_e32 v7, s17, v15
	v_add_nc_u32_e32 v9, s19, v15
	s_mov_b32 s3, 0
	s_mov_b32 s4, exec_lo
	v_mul_lo_u32 v7, v7, s16
	v_mul_lo_u32 v9, v9, s18
	v_sub_nc_u32_e32 v7, v7, v9
	v_cmp_lt_u32_e32 vcc_lo, s20, v7
	v_cmpx_ge_u32_e64 s20, v7
	s_cbranch_execz .LBB255_88
; %bb.87:
	v_add_nc_u32_e32 v7, s22, v15
	v_add_nc_u32_e32 v9, s38, v15
	v_mul_lo_u32 v7, v7, s21
	v_mul_lo_u32 v9, v9, s23
	v_sub_nc_u32_e32 v7, v7, v9
	v_cmp_lt_u32_e64 s1, s39, v7
	s_and_b32 s3, s1, exec_lo
.LBB255_88:
	s_or_b32 exec_lo, exec_lo, s4
	v_mov_b32_e32 v7, 24
	v_mov_b32_e32 v9, 0xff
	;; [unrolled: 1-line block ×3, first 2 shown]
	v_cndmask_b32_e64 v11, 0, 1, s3
	v_cndmask_b32_e64 v12, 0, 1, vcc_lo
	v_lshrrev_b32_sdwa v25, v7, v6 dst_sel:BYTE_1 dst_unused:UNUSED_PAD src0_sel:DWORD src1_sel:DWORD
	v_and_b32_sdwa v26, v6, v9 dst_sel:DWORD dst_unused:UNUSED_PAD src0_sel:WORD_1 src1_sel:DWORD
	v_lshrrev_b32_sdwa v6, v10, v6 dst_sel:BYTE_1 dst_unused:UNUSED_PAD src0_sel:DWORD src1_sel:DWORD
	v_lshlrev_b16 v10, 8, v11
	v_lshrrev_b32_sdwa v7, v7, v8 dst_sel:BYTE_1 dst_unused:UNUSED_PAD src0_sel:DWORD src1_sel:DWORD
	v_and_b32_sdwa v9, v8, v9 dst_sel:DWORD dst_unused:UNUSED_PAD src0_sel:WORD_1 src1_sel:DWORD
	v_or_b32_sdwa v11, v26, v25 dst_sel:WORD_1 dst_unused:UNUSED_PAD src0_sel:DWORD src1_sel:DWORD
	v_or_b32_e32 v6, v12, v6
	v_or_b32_sdwa v8, v8, v10 dst_sel:DWORD dst_unused:UNUSED_PAD src0_sel:BYTE_0 src1_sel:DWORD
	v_or_b32_sdwa v9, v9, v7 dst_sel:WORD_1 dst_unused:UNUSED_PAD src0_sel:DWORD src1_sel:DWORD
	v_or_b32_sdwa v7, v6, v11 dst_sel:DWORD dst_unused:UNUSED_PAD src0_sel:WORD_0 src1_sel:DWORD
	v_or_b32_sdwa v9, v8, v9 dst_sel:DWORD dst_unused:UNUSED_PAD src0_sel:WORD_0 src1_sel:DWORD
.LBB255_89:
	s_or_b32 exec_lo, exec_lo, s2
	v_add_nc_u32_e32 v6, 9, v34
                                        ; implicit-def: $vgpr8
	v_cmp_le_u32_e32 vcc_lo, s5, v6
                                        ; implicit-def: $vgpr6
	s_and_saveexec_b32 s1, vcc_lo
	s_xor_b32 s1, exec_lo, s1
	s_cbranch_execz .LBB255_91
; %bb.90:
	v_lshrrev_b32_e32 v6, 24, v9
	v_mov_b32_e32 v8, 8
	v_mov_b32_e32 v10, 0xff
	v_perm_b32 v5, v5, v5, 0x3060504
	v_perm_b32 v6, v6, v9, 0x40c0100
	v_mov_b32_e32 v9, 24
	v_and_b32_sdwa v10, v7, v10 dst_sel:DWORD dst_unused:UNUSED_PAD src0_sel:WORD_1 src1_sel:DWORD
	v_lshrrev_b32_sdwa v8, v8, v6 dst_sel:BYTE_1 dst_unused:UNUSED_PAD src0_sel:DWORD src1_sel:DWORD
	v_lshrrev_b32_sdwa v9, v9, v7 dst_sel:BYTE_1 dst_unused:UNUSED_PAD src0_sel:DWORD src1_sel:DWORD
	v_or_b32_sdwa v8, v6, v8 dst_sel:DWORD dst_unused:UNUSED_PAD src0_sel:BYTE_0 src1_sel:DWORD
	v_or_b32_e32 v9, v10, v9
	v_and_b32_e32 v10, 0xffff, v8
	v_perm_b32 v8, v9, v7, 0x5040c00
                                        ; implicit-def: $vgpr7
                                        ; implicit-def: $vgpr9
	v_and_or_b32 v6, 0xff000000, v6, v10
.LBB255_91:
	s_andn2_saveexec_b32 s2, s1
	s_cbranch_execz .LBB255_95
; %bb.92:
	v_add_nc_u32_e32 v6, s17, v16
	v_add_nc_u32_e32 v8, s19, v16
	s_mov_b32 s3, 0
	s_mov_b32 s4, exec_lo
	v_mul_lo_u32 v6, v6, s16
	v_mul_lo_u32 v8, v8, s18
	v_sub_nc_u32_e32 v6, v6, v8
	v_cmp_lt_u32_e32 vcc_lo, s20, v6
	v_cmpx_ge_u32_e64 s20, v6
	s_cbranch_execz .LBB255_94
; %bb.93:
	v_add_nc_u32_e32 v6, s22, v16
	v_add_nc_u32_e32 v8, s38, v16
	v_mul_lo_u32 v6, v6, s21
	v_mul_lo_u32 v8, v8, s23
	v_sub_nc_u32_e32 v6, v6, v8
	v_cmp_lt_u32_e64 s1, s39, v6
	s_and_b32 s3, s1, exec_lo
.LBB255_94:
	s_or_b32 exec_lo, exec_lo, s4
	v_cndmask_b32_e64 v6, 0, 1, vcc_lo
	v_mov_b32_e32 v8, 24
	v_mov_b32_e32 v10, 0xff
	;; [unrolled: 1-line block ×3, first 2 shown]
	v_cndmask_b32_e64 v12, 0, 1, s3
	v_lshlrev_b16 v6, 8, v6
	v_lshrrev_b32_sdwa v25, v8, v7 dst_sel:BYTE_1 dst_unused:UNUSED_PAD src0_sel:DWORD src1_sel:DWORD
	v_and_b32_sdwa v10, v7, v10 dst_sel:DWORD dst_unused:UNUSED_PAD src0_sel:WORD_1 src1_sel:DWORD
	v_lshrrev_b32_sdwa v11, v11, v9 dst_sel:BYTE_1 dst_unused:UNUSED_PAD src0_sel:DWORD src1_sel:DWORD
	v_lshrrev_b32_sdwa v8, v8, v9 dst_sel:BYTE_1 dst_unused:UNUSED_PAD src0_sel:DWORD src1_sel:DWORD
	v_or_b32_sdwa v6, v7, v6 dst_sel:DWORD dst_unused:UNUSED_PAD src0_sel:BYTE_0 src1_sel:DWORD
	v_or_b32_sdwa v7, v10, v25 dst_sel:WORD_1 dst_unused:UNUSED_PAD src0_sel:DWORD src1_sel:DWORD
	v_or_b32_sdwa v9, v9, v11 dst_sel:DWORD dst_unused:UNUSED_PAD src0_sel:BYTE_0 src1_sel:DWORD
	v_or_b32_sdwa v10, v12, v8 dst_sel:WORD_1 dst_unused:UNUSED_PAD src0_sel:DWORD src1_sel:DWORD
	v_or_b32_sdwa v8, v6, v7 dst_sel:DWORD dst_unused:UNUSED_PAD src0_sel:WORD_0 src1_sel:DWORD
	v_or_b32_sdwa v6, v9, v10 dst_sel:DWORD dst_unused:UNUSED_PAD src0_sel:WORD_0 src1_sel:DWORD
.LBB255_95:
	s_or_b32 exec_lo, exec_lo, s2
	v_add_nc_u32_e32 v7, 10, v34
                                        ; implicit-def: $vgpr38
	v_cmp_le_u32_e32 vcc_lo, s5, v7
                                        ; implicit-def: $vgpr7
	s_and_saveexec_b32 s1, vcc_lo
	s_xor_b32 s1, exec_lo, s1
	s_cbranch_execz .LBB255_97
; %bb.96:
	v_lshrrev_b32_e32 v7, 24, v8
	v_mov_b32_e32 v9, 8
	v_perm_b32 v5, v5, v5, 0x3060504
	v_perm_b32 v7, v7, v8, 0x40c0100
	v_lshrrev_b32_sdwa v8, v9, v7 dst_sel:BYTE_1 dst_unused:UNUSED_PAD src0_sel:DWORD src1_sel:DWORD
	v_and_b32_e32 v9, 0xff0000, v6
	v_or_b32_sdwa v8, v7, v8 dst_sel:DWORD dst_unused:UNUSED_PAD src0_sel:BYTE_0 src1_sel:DWORD
	v_perm_b32 v38, v6, v9, 0x3020504
                                        ; implicit-def: $vgpr6
	v_and_b32_e32 v8, 0xffff, v8
	v_and_or_b32 v7, 0xff000000, v7, v8
                                        ; implicit-def: $vgpr8
.LBB255_97:
	s_andn2_saveexec_b32 s2, s1
	s_cbranch_execz .LBB255_101
; %bb.98:
	v_add_nc_u32_e32 v7, s17, v13
	v_add_nc_u32_e32 v9, s19, v13
	s_mov_b32 s3, 0
	s_mov_b32 s4, exec_lo
	v_mul_lo_u32 v7, v7, s16
	v_mul_lo_u32 v9, v9, s18
	v_sub_nc_u32_e32 v7, v7, v9
	v_cmp_lt_u32_e32 vcc_lo, s20, v7
	v_cmpx_ge_u32_e64 s20, v7
	s_cbranch_execz .LBB255_100
; %bb.99:
	v_add_nc_u32_e32 v7, s22, v13
	v_add_nc_u32_e32 v9, s38, v13
	v_mul_lo_u32 v7, v7, s21
	v_mul_lo_u32 v9, v9, s23
	v_sub_nc_u32_e32 v7, v7, v9
	v_cmp_lt_u32_e64 s1, s39, v7
	s_and_b32 s3, s1, exec_lo
.LBB255_100:
	s_or_b32 exec_lo, exec_lo, s4
	v_mov_b32_e32 v7, 8
	v_mov_b32_e32 v9, 24
	v_cndmask_b32_e64 v11, 0, 1, s3
	v_mov_b32_e32 v12, 0xff
	v_cndmask_b32_e64 v10, 0, 1, vcc_lo
	v_lshrrev_b32_sdwa v25, v7, v8 dst_sel:BYTE_1 dst_unused:UNUSED_PAD src0_sel:DWORD src1_sel:DWORD
	v_lshrrev_b32_sdwa v9, v9, v8 dst_sel:BYTE_1 dst_unused:UNUSED_PAD src0_sel:DWORD src1_sel:DWORD
	;; [unrolled: 1-line block ×3, first 2 shown]
	v_lshlrev_b16 v11, 8, v11
	v_and_b32_sdwa v12, v6, v12 dst_sel:DWORD dst_unused:UNUSED_PAD src0_sel:WORD_1 src1_sel:DWORD
	v_or_b32_sdwa v8, v8, v25 dst_sel:DWORD dst_unused:UNUSED_PAD src0_sel:BYTE_0 src1_sel:DWORD
	v_or_b32_sdwa v9, v10, v9 dst_sel:WORD_1 dst_unused:UNUSED_PAD src0_sel:DWORD src1_sel:DWORD
	v_or_b32_sdwa v6, v6, v7 dst_sel:DWORD dst_unused:UNUSED_PAD src0_sel:BYTE_0 src1_sel:DWORD
	v_or_b32_sdwa v10, v12, v11 dst_sel:WORD_1 dst_unused:UNUSED_PAD src0_sel:DWORD src1_sel:DWORD
	v_or_b32_sdwa v7, v8, v9 dst_sel:DWORD dst_unused:UNUSED_PAD src0_sel:WORD_0 src1_sel:DWORD
	v_or_b32_sdwa v38, v6, v10 dst_sel:DWORD dst_unused:UNUSED_PAD src0_sel:WORD_0 src1_sel:DWORD
.LBB255_101:
	s_or_b32 exec_lo, exec_lo, s2
	v_add_nc_u32_e32 v6, 11, v34
	v_mov_b32_e32 v39, 0
	s_mov_b32 s1, exec_lo
                                        ; implicit-def: $vgpr40
	v_cmpx_le_u32_e64 s5, v6
	s_xor_b32 s1, exec_lo, s1
; %bb.102:
	v_and_b32_e32 v6, 0xff0000, v7
	v_perm_b32 v5, v5, v5, 0x3060504
	v_perm_b32 v40, v7, v6, 0x3020504
                                        ; implicit-def: $vgpr7
; %bb.103:
	s_andn2_saveexec_b32 s2, s1
	s_cbranch_execz .LBB255_107
; %bb.104:
	v_add_nc_u32_e32 v6, s17, v14
	v_add_nc_u32_e32 v8, s19, v14
	s_mov_b32 s3, 0
	s_mov_b32 s4, exec_lo
	v_mul_lo_u32 v6, v6, s16
	v_mul_lo_u32 v8, v8, s18
	v_sub_nc_u32_e32 v6, v6, v8
	v_cmp_lt_u32_e32 vcc_lo, s20, v6
	v_cmpx_ge_u32_e64 s20, v6
	s_cbranch_execz .LBB255_106
; %bb.105:
	v_add_nc_u32_e32 v6, s22, v14
	v_add_nc_u32_e32 v8, s38, v14
	v_mul_lo_u32 v6, v6, s21
	v_mul_lo_u32 v8, v8, s23
	v_sub_nc_u32_e32 v6, v6, v8
	v_cmp_lt_u32_e64 s1, s39, v6
	s_and_b32 s3, s1, exec_lo
.LBB255_106:
	s_or_b32 exec_lo, exec_lo, s4
	v_mov_b32_e32 v6, 8
	v_cndmask_b32_e64 v8, 0, 1, vcc_lo
	v_mov_b32_e32 v9, 0xff
	v_cndmask_b32_e64 v39, 0, 1, s3
	v_lshrrev_b32_sdwa v6, v6, v7 dst_sel:BYTE_1 dst_unused:UNUSED_PAD src0_sel:DWORD src1_sel:DWORD
	v_lshlrev_b16 v8, 8, v8
	v_and_b32_sdwa v9, v7, v9 dst_sel:DWORD dst_unused:UNUSED_PAD src0_sel:WORD_1 src1_sel:DWORD
	v_or_b32_sdwa v6, v7, v6 dst_sel:DWORD dst_unused:UNUSED_PAD src0_sel:BYTE_0 src1_sel:DWORD
	v_or_b32_sdwa v7, v9, v8 dst_sel:WORD_1 dst_unused:UNUSED_PAD src0_sel:DWORD src1_sel:DWORD
	v_or_b32_sdwa v40, v6, v7 dst_sel:DWORD dst_unused:UNUSED_PAD src0_sel:WORD_0 src1_sel:DWORD
.LBB255_107:
	s_or_b32 exec_lo, exec_lo, s2
	v_add_nc_u32_e32 v6, 12, v34
	s_mov_b32 s1, exec_lo
                                        ; implicit-def: $vgpr41
	v_cmpx_le_u32_e64 s5, v6
	s_xor_b32 s1, exec_lo, s1
	s_cbranch_execz .LBB255_109
; %bb.108:
	v_mov_b32_e32 v6, 24
	v_mov_b32_e32 v7, 0xff
	;; [unrolled: 1-line block ×3, first 2 shown]
	v_lshrrev_b32_sdwa v6, v6, v5 dst_sel:BYTE_1 dst_unused:UNUSED_PAD src0_sel:DWORD src1_sel:DWORD
	v_and_b32_sdwa v7, v5, v7 dst_sel:DWORD dst_unused:UNUSED_PAD src0_sel:WORD_1 src1_sel:DWORD
	v_lshrrev_b32_sdwa v5, v8, v5 dst_sel:BYTE_1 dst_unused:UNUSED_PAD src0_sel:DWORD src1_sel:DWORD
	v_or_b32_sdwa v6, v7, v6 dst_sel:WORD_1 dst_unused:UNUSED_PAD src0_sel:DWORD src1_sel:DWORD
	v_or_b32_sdwa v41, v5, v6 dst_sel:DWORD dst_unused:UNUSED_PAD src0_sel:WORD_0 src1_sel:DWORD
                                        ; implicit-def: $vgpr5
.LBB255_109:
	s_or_saveexec_b32 s2, s1
	v_mov_b32_e32 v42, 0
	s_xor_b32 exec_lo, exec_lo, s2
	s_cbranch_execz .LBB255_113
; %bb.110:
	v_add_nc_u32_e32 v6, s17, v33
	v_add_nc_u32_e32 v7, s19, v33
	s_mov_b32 s3, 0
	s_mov_b32 s4, exec_lo
	v_mul_lo_u32 v6, v6, s16
	v_mul_lo_u32 v7, v7, s18
	v_sub_nc_u32_e32 v6, v6, v7
	v_cmp_lt_u32_e32 vcc_lo, s20, v6
	v_cmpx_ge_u32_e64 s20, v6
	s_cbranch_execz .LBB255_112
; %bb.111:
	v_add_nc_u32_e32 v6, s22, v33
	v_add_nc_u32_e32 v7, s38, v33
	v_mul_lo_u32 v6, v6, s21
	v_mul_lo_u32 v7, v7, s23
	v_sub_nc_u32_e32 v6, v6, v7
	v_cmp_lt_u32_e64 s1, s39, v6
	s_and_b32 s3, s1, exec_lo
.LBB255_112:
	s_or_b32 exec_lo, exec_lo, s4
	v_mov_b32_e32 v6, 24
	v_mov_b32_e32 v7, 0xff
	v_mov_b32_e32 v8, 8
	v_cndmask_b32_e64 v9, 0, 1, vcc_lo
	v_cndmask_b32_e64 v42, 0, 1, s3
	v_lshrrev_b32_sdwa v6, v6, v5 dst_sel:BYTE_1 dst_unused:UNUSED_PAD src0_sel:DWORD src1_sel:DWORD
	v_and_b32_sdwa v7, v5, v7 dst_sel:DWORD dst_unused:UNUSED_PAD src0_sel:WORD_1 src1_sel:DWORD
	v_lshrrev_b32_sdwa v5, v8, v5 dst_sel:BYTE_1 dst_unused:UNUSED_PAD src0_sel:DWORD src1_sel:DWORD
	v_or_b32_sdwa v6, v7, v6 dst_sel:WORD_1 dst_unused:UNUSED_PAD src0_sel:DWORD src1_sel:DWORD
	v_or_b32_e32 v5, v9, v5
	v_or_b32_sdwa v41, v5, v6 dst_sel:DWORD dst_unused:UNUSED_PAD src0_sel:WORD_0 src1_sel:DWORD
.LBB255_113:
	s_or_b32 exec_lo, exec_lo, s2
.LBB255_114:
	v_and_b32_e32 v65, 0xff, v35
	v_bfe_u32 v66, v41, 8, 8
	v_bfe_u32 v62, v35, 8, 8
	;; [unrolled: 1-line block ×4, first 2 shown]
	v_lshrrev_b32_e32 v48, 24, v41
	v_lshrrev_b32_e32 v47, 24, v35
	v_and_b32_e32 v61, 0xff, v36
	v_and_b32_e32 v59, 0xff, v37
	v_bfe_u32 v60, v36, 8, 8
	v_add3_u32 v5, v62, v65, v64
	v_add3_u32 v6, v63, v66, v48
	v_bfe_u32 v57, v37, 8, 8
	v_bfe_u32 v58, v36, 16, 8
	;; [unrolled: 1-line block ×3, first 2 shown]
	v_lshrrev_b32_e32 v46, 24, v36
	v_add3_u32 v5, v5, v47, v59
	v_add3_u32 v6, v6, v61, v60
	v_lshrrev_b32_e32 v45, 24, v37
	v_and_b32_e32 v56, 0xff, v38
	v_and_b32_e32 v54, 0xff, v40
	v_bfe_u32 v55, v38, 8, 8
	v_add3_u32 v5, v5, v57, v52
	v_add3_u32 v6, v6, v58, v46
	v_bfe_u32 v51, v40, 8, 8
	v_bfe_u32 v53, v38, 16, 8
	;; [unrolled: 1-line block ×3, first 2 shown]
	v_lshrrev_b32_e32 v44, 24, v38
	v_add3_u32 v5, v5, v45, v54
	v_add3_u32 v6, v6, v56, v55
	v_mbcnt_lo_u32_b32 v67, -1, 0
	v_lshrrev_b32_e32 v43, 24, v40
	v_and_b32_e32 v50, 0xff, v39
	v_and_b32_e32 v7, 0xff, v41
	;; [unrolled: 1-line block ×3, first 2 shown]
	v_add3_u32 v5, v5, v51, v49
	v_add3_u32 v6, v6, v53, v44
	v_and_b32_e32 v69, 15, v67
	v_and_b32_e32 v71, 16, v67
	v_lshrrev_b32_e32 v68, 5, v0
	v_add3_u32 v72, v5, v43, v7
	v_add3_u32 v73, v6, v50, v8
	v_cmp_eq_u32_e64 s2, 0, v69
	v_cmp_lt_u32_e64 s1, 1, v69
	v_cmp_lt_u32_e64 s3, 3, v69
	v_or_b32_e32 v70, 31, v0
	s_cmp_lg_u32 s27, 0
	s_mov_b32 s4, -1
	v_cmp_lt_u32_e32 vcc_lo, 7, v69
	s_cbranch_scc0 .LBB255_136
; %bb.115:
	v_mov_b32_dpp v5, v73 row_shr:1 row_mask:0xf bank_mask:0xf
	v_mov_b32_dpp v6, v72 row_shr:1 row_mask:0xf bank_mask:0xf
	s_mov_b32 s4, exec_lo
	v_add_nc_u32_e32 v5, v5, v73
	v_add_nc_u32_e32 v6, v6, v72
	v_cndmask_b32_e64 v5, v5, v73, s2
	v_cndmask_b32_e64 v6, v6, v72, s2
	v_mov_b32_dpp v7, v5 row_shr:2 row_mask:0xf bank_mask:0xf
	v_mov_b32_dpp v8, v6 row_shr:2 row_mask:0xf bank_mask:0xf
	v_add_nc_u32_e32 v7, v5, v7
	v_add_nc_u32_e32 v8, v6, v8
	v_cndmask_b32_e64 v5, v5, v7, s1
	v_cndmask_b32_e64 v6, v6, v8, s1
	v_mov_b32_dpp v7, v5 row_shr:4 row_mask:0xf bank_mask:0xf
	v_mov_b32_dpp v8, v6 row_shr:4 row_mask:0xf bank_mask:0xf
	;; [unrolled: 6-line block ×3, first 2 shown]
	v_add_nc_u32_e32 v7, v5, v7
	v_add_nc_u32_e32 v8, v6, v8
	v_cndmask_b32_e32 v5, v5, v7, vcc_lo
	v_cndmask_b32_e32 v6, v6, v8, vcc_lo
	v_cmp_eq_u32_e32 vcc_lo, 0, v71
	ds_swizzle_b32 v7, v5 offset:swizzle(BROADCAST,32,15)
	ds_swizzle_b32 v8, v6 offset:swizzle(BROADCAST,32,15)
	s_waitcnt lgkmcnt(1)
	v_add_nc_u32_e32 v7, v5, v7
	s_waitcnt lgkmcnt(0)
	v_add_nc_u32_e32 v8, v6, v8
	v_cmpx_eq_u32_e64 v0, v70
	s_cbranch_execz .LBB255_117
; %bb.116:
	v_lshlrev_b32_e32 v11, 3, v68
	v_cndmask_b32_e32 v10, v7, v5, vcc_lo
	v_cndmask_b32_e32 v9, v8, v6, vcc_lo
	ds_write_b64 v11, v[9:10]
.LBB255_117:
	s_or_b32 exec_lo, exec_lo, s4
	s_mov_b32 s4, exec_lo
	s_waitcnt lgkmcnt(0)
	s_barrier
	buffer_gl0_inv
	v_cmpx_gt_u32_e32 8, v0
	s_cbranch_execz .LBB255_119
; %bb.118:
	v_lshlrev_b32_e32 v11, 3, v0
	v_and_b32_e32 v26, 7, v67
	ds_read_b64 v[9:10], v11
	v_cmp_eq_u32_e64 s3, 0, v26
	s_waitcnt lgkmcnt(0)
	v_mov_b32_dpp v12, v9 row_shr:1 row_mask:0xf bank_mask:0xf
	v_mov_b32_dpp v25, v10 row_shr:1 row_mask:0xf bank_mask:0xf
	v_add_nc_u32_e32 v12, v12, v9
	v_add_nc_u32_e32 v25, v25, v10
	v_cndmask_b32_e64 v9, v12, v9, s3
	v_cndmask_b32_e64 v10, v25, v10, s3
	v_cmp_lt_u32_e64 s3, 1, v26
	v_mov_b32_dpp v12, v9 row_shr:2 row_mask:0xf bank_mask:0xf
	v_mov_b32_dpp v25, v10 row_shr:2 row_mask:0xf bank_mask:0xf
	v_add_nc_u32_e32 v12, v9, v12
	v_add_nc_u32_e32 v25, v10, v25
	v_cndmask_b32_e64 v9, v9, v12, s3
	v_cndmask_b32_e64 v10, v10, v25, s3
	v_cmp_lt_u32_e64 s3, 3, v26
	v_mov_b32_dpp v12, v9 row_shr:4 row_mask:0xf bank_mask:0xf
	v_mov_b32_dpp v25, v10 row_shr:4 row_mask:0xf bank_mask:0xf
	v_cndmask_b32_e64 v12, 0, v12, s3
	v_cndmask_b32_e64 v25, 0, v25, s3
	v_add_nc_u32_e32 v9, v12, v9
	v_add_nc_u32_e32 v10, v25, v10
	ds_write_b64 v11, v[9:10]
.LBB255_119:
	s_or_b32 exec_lo, exec_lo, s4
	v_cndmask_b32_e32 v5, v7, v5, vcc_lo
	v_cndmask_b32_e32 v6, v8, v6, vcc_lo
	s_mov_b32 s4, exec_lo
	v_cmp_gt_u32_e32 vcc_lo, 32, v0
	s_waitcnt lgkmcnt(0)
	s_barrier
	buffer_gl0_inv
                                        ; implicit-def: $vgpr25
	v_cmpx_lt_u32_e32 31, v0
	s_cbranch_execz .LBB255_121
; %bb.120:
	v_lshl_add_u32 v7, v68, 3, -8
	ds_read_b64 v[25:26], v7
	s_waitcnt lgkmcnt(0)
	v_add_nc_u32_e32 v5, v26, v5
	v_add_nc_u32_e32 v6, v25, v6
.LBB255_121:
	s_or_b32 exec_lo, exec_lo, s4
	v_sub_co_u32 v7, s3, v67, 1
	v_cmp_gt_i32_e64 s4, 0, v7
	v_cndmask_b32_e64 v7, v7, v67, s4
	v_lshlrev_b32_e32 v7, 2, v7
	ds_bpermute_b32 v74, v7, v6
	ds_bpermute_b32 v75, v7, v5
	s_and_saveexec_b32 s4, vcc_lo
	s_cbranch_execz .LBB255_141
; %bb.122:
	v_mov_b32_e32 v8, 0
	ds_read_b64 v[5:6], v8 offset:56
	s_and_saveexec_b32 s6, s3
	s_cbranch_execz .LBB255_124
; %bb.123:
	s_add_i32 s8, s27, 32
	s_mov_b32 s9, 0
	v_mov_b32_e32 v7, 1
	s_lshl_b64 s[8:9], s[8:9], 4
	s_add_u32 s8, s36, s8
	s_addc_u32 s9, s37, s9
	v_mov_b32_e32 v10, s9
	v_mov_b32_e32 v9, s8
	s_waitcnt lgkmcnt(0)
	;;#ASMSTART
	global_store_dwordx4 v[9:10], v[5:8] off	
s_waitcnt vmcnt(0)
	;;#ASMEND
.LBB255_124:
	s_or_b32 exec_lo, exec_lo, s6
	v_xad_u32 v27, v67, -1, s27
	s_mov_b32 s7, 0
	v_add_nc_u32_e32 v7, 32, v27
	v_lshlrev_b64 v[9:10], 4, v[7:8]
	v_add_co_u32 v28, vcc_lo, s36, v9
	v_add_co_ci_u32_e64 v29, null, s37, v10, vcc_lo
	;;#ASMSTART
	global_load_dwordx4 v[9:12], v[28:29] off glc dlc	
s_waitcnt vmcnt(0)
	;;#ASMEND
	v_cmp_eq_u16_sdwa s8, v11, v8 src0_sel:BYTE_0 src1_sel:DWORD
	s_and_saveexec_b32 s6, s8
	s_cbranch_execz .LBB255_128
; %bb.125:
	v_mov_b32_e32 v7, 0
.LBB255_126:                            ; =>This Inner Loop Header: Depth=1
	;;#ASMSTART
	global_load_dwordx4 v[9:12], v[28:29] off glc dlc	
s_waitcnt vmcnt(0)
	;;#ASMEND
	v_cmp_ne_u16_sdwa s8, v11, v7 src0_sel:BYTE_0 src1_sel:DWORD
	s_or_b32 s7, s8, s7
	s_andn2_b32 exec_lo, exec_lo, s7
	s_cbranch_execnz .LBB255_126
; %bb.127:
	s_or_b32 exec_lo, exec_lo, s7
.LBB255_128:
	s_or_b32 exec_lo, exec_lo, s6
	v_cmp_ne_u32_e32 vcc_lo, 31, v67
	v_mov_b32_e32 v77, 2
	v_lshlrev_b32_e64 v78, v67, -1
	v_add_nc_u32_e32 v80, 2, v67
	v_add_nc_u32_e32 v82, 4, v67
	v_add_co_ci_u32_e64 v7, null, 0, v67, vcc_lo
	v_cmp_eq_u16_sdwa s6, v11, v77 src0_sel:BYTE_0 src1_sel:DWORD
	v_cmp_gt_u32_e32 vcc_lo, 30, v67
	v_add_nc_u32_e32 v84, 8, v67
	v_lshlrev_b32_e32 v76, 2, v7
	v_lshl_or_b32 v85, v67, 2, 64
	v_and_b32_e32 v12, s6, v78
	v_cndmask_b32_e64 v28, 0, 2, vcc_lo
	v_add_nc_u32_e32 v86, 16, v67
	ds_bpermute_b32 v7, v76, v10
	ds_bpermute_b32 v8, v76, v9
	v_or_b32_e32 v12, 0x80000000, v12
	v_add_lshl_u32 v79, v28, v67, 2
	v_ffbl_b32_e32 v12, v12
	v_cmp_lt_u32_e32 vcc_lo, v67, v12
	s_waitcnt lgkmcnt(1)
	v_add_nc_u32_e32 v7, v7, v10
	s_waitcnt lgkmcnt(0)
	v_add_nc_u32_e32 v8, v8, v9
	v_cndmask_b32_e32 v7, v10, v7, vcc_lo
	v_cndmask_b32_e32 v8, v9, v8, vcc_lo
	v_cmp_gt_u32_e32 vcc_lo, 28, v67
	ds_bpermute_b32 v9, v79, v7
	ds_bpermute_b32 v10, v79, v8
	v_cndmask_b32_e64 v28, 0, 4, vcc_lo
	v_cmp_gt_u32_e32 vcc_lo, v80, v12
	v_add_lshl_u32 v81, v28, v67, 2
	s_waitcnt lgkmcnt(1)
	v_add_nc_u32_e32 v9, v7, v9
	s_waitcnt lgkmcnt(0)
	v_add_nc_u32_e32 v10, v8, v10
	v_cndmask_b32_e32 v7, v9, v7, vcc_lo
	v_cndmask_b32_e32 v8, v10, v8, vcc_lo
	v_cmp_gt_u32_e32 vcc_lo, 24, v67
	ds_bpermute_b32 v9, v81, v7
	ds_bpermute_b32 v10, v81, v8
	v_cndmask_b32_e64 v28, 0, 8, vcc_lo
	v_cmp_gt_u32_e32 vcc_lo, v82, v12
	v_add_lshl_u32 v83, v28, v67, 2
	v_mov_b32_e32 v28, 0
	s_waitcnt lgkmcnt(1)
	v_add_nc_u32_e32 v9, v7, v9
	s_waitcnt lgkmcnt(0)
	v_add_nc_u32_e32 v10, v8, v10
	v_cndmask_b32_e32 v7, v9, v7, vcc_lo
	v_cndmask_b32_e32 v8, v10, v8, vcc_lo
	v_cmp_gt_u32_e32 vcc_lo, v84, v12
	ds_bpermute_b32 v9, v83, v7
	ds_bpermute_b32 v10, v83, v8
	s_waitcnt lgkmcnt(1)
	v_add_nc_u32_e32 v9, v7, v9
	s_waitcnt lgkmcnt(0)
	v_add_nc_u32_e32 v10, v8, v10
	v_cndmask_b32_e32 v7, v9, v7, vcc_lo
	v_cndmask_b32_e32 v8, v10, v8, vcc_lo
	v_cmp_le_u32_e32 vcc_lo, v86, v12
	ds_bpermute_b32 v10, v85, v7
	ds_bpermute_b32 v9, v85, v8
	s_waitcnt lgkmcnt(1)
	v_cndmask_b32_e32 v10, 0, v10, vcc_lo
	s_waitcnt lgkmcnt(0)
	v_cndmask_b32_e32 v9, 0, v9, vcc_lo
	v_add_nc_u32_e32 v10, v10, v7
	v_add_nc_u32_e32 v9, v9, v8
	s_branch .LBB255_132
.LBB255_129:                            ;   in Loop: Header=BB255_132 Depth=1
	s_or_b32 exec_lo, exec_lo, s7
.LBB255_130:                            ;   in Loop: Header=BB255_132 Depth=1
	s_or_b32 exec_lo, exec_lo, s6
	ds_bpermute_b32 v12, v76, v9
	ds_bpermute_b32 v29, v76, v10
	v_cmp_eq_u16_sdwa s6, v11, v77 src0_sel:BYTE_0 src1_sel:DWORD
	v_subrev_nc_u32_e32 v27, 32, v27
	v_and_or_b32 v30, s6, v78, 0x80000000
	s_mov_b32 s6, 0
	v_ffbl_b32_e32 v30, v30
	v_cmp_lt_u32_e32 vcc_lo, v67, v30
	s_waitcnt lgkmcnt(1)
	v_add_nc_u32_e32 v12, v12, v9
	s_waitcnt lgkmcnt(0)
	v_add_nc_u32_e32 v29, v29, v10
	v_cndmask_b32_e32 v9, v9, v12, vcc_lo
	v_cndmask_b32_e32 v10, v10, v29, vcc_lo
	v_cmp_gt_u32_e32 vcc_lo, v80, v30
	ds_bpermute_b32 v12, v79, v9
	ds_bpermute_b32 v29, v79, v10
	s_waitcnt lgkmcnt(1)
	v_add_nc_u32_e32 v12, v9, v12
	s_waitcnt lgkmcnt(0)
	v_add_nc_u32_e32 v29, v10, v29
	v_cndmask_b32_e32 v9, v12, v9, vcc_lo
	v_cndmask_b32_e32 v10, v29, v10, vcc_lo
	v_cmp_gt_u32_e32 vcc_lo, v82, v30
	ds_bpermute_b32 v12, v81, v9
	ds_bpermute_b32 v29, v81, v10
	;; [unrolled: 9-line block ×3, first 2 shown]
	s_waitcnt lgkmcnt(1)
	v_add_nc_u32_e32 v12, v9, v12
	s_waitcnt lgkmcnt(0)
	v_add_nc_u32_e32 v29, v10, v29
	v_cndmask_b32_e32 v9, v12, v9, vcc_lo
	v_cndmask_b32_e32 v10, v29, v10, vcc_lo
	v_cmp_le_u32_e32 vcc_lo, v86, v30
	ds_bpermute_b32 v12, v85, v9
	ds_bpermute_b32 v29, v85, v10
	s_waitcnt lgkmcnt(1)
	v_cndmask_b32_e32 v12, 0, v12, vcc_lo
	s_waitcnt lgkmcnt(0)
	v_cndmask_b32_e32 v29, 0, v29, vcc_lo
	v_add3_u32 v9, v9, v7, v12
	v_add3_u32 v10, v10, v8, v29
.LBB255_131:                            ;   in Loop: Header=BB255_132 Depth=1
	s_and_b32 vcc_lo, exec_lo, s6
	s_cbranch_vccnz .LBB255_137
.LBB255_132:                            ; =>This Loop Header: Depth=1
                                        ;     Child Loop BB255_135 Depth 2
	v_cmp_ne_u16_sdwa s6, v11, v77 src0_sel:BYTE_0 src1_sel:DWORD
	v_mov_b32_e32 v7, v9
	v_mov_b32_e32 v8, v10
                                        ; implicit-def: $vgpr11
                                        ; implicit-def: $vgpr9_vgpr10
	s_cmp_lg_u32 s6, exec_lo
	s_mov_b32 s6, -1
	s_cbranch_scc1 .LBB255_131
; %bb.133:                              ;   in Loop: Header=BB255_132 Depth=1
	v_lshlrev_b64 v[9:10], 4, v[27:28]
	v_add_co_u32 v29, vcc_lo, s36, v9
	v_add_co_ci_u32_e64 v30, null, s37, v10, vcc_lo
	;;#ASMSTART
	global_load_dwordx4 v[9:12], v[29:30] off glc dlc	
s_waitcnt vmcnt(0)
	;;#ASMEND
	v_cmp_eq_u16_sdwa s7, v11, v28 src0_sel:BYTE_0 src1_sel:DWORD
	s_and_saveexec_b32 s6, s7
	s_cbranch_execz .LBB255_130
; %bb.134:                              ;   in Loop: Header=BB255_132 Depth=1
	s_mov_b32 s7, 0
.LBB255_135:                            ;   Parent Loop BB255_132 Depth=1
                                        ; =>  This Inner Loop Header: Depth=2
	;;#ASMSTART
	global_load_dwordx4 v[9:12], v[29:30] off glc dlc	
s_waitcnt vmcnt(0)
	;;#ASMEND
	v_cmp_ne_u16_sdwa s8, v11, v28 src0_sel:BYTE_0 src1_sel:DWORD
	s_or_b32 s7, s8, s7
	s_andn2_b32 exec_lo, exec_lo, s7
	s_cbranch_execnz .LBB255_135
	s_branch .LBB255_129
.LBB255_136:
                                        ; implicit-def: $vgpr25
                                        ; implicit-def: $vgpr7
                                        ; implicit-def: $vgpr26
	s_and_b32 vcc_lo, exec_lo, s4
	s_cbranch_vccnz .LBB255_142
	s_branch .LBB255_151
.LBB255_137:
	s_and_saveexec_b32 s6, s3
	s_cbranch_execnz .LBB255_379
; %bb.138:
	s_or_b32 exec_lo, exec_lo, s6
	s_and_saveexec_b32 s6, s3
	s_cbranch_execnz .LBB255_380
.LBB255_139:
	s_or_b32 exec_lo, exec_lo, s6
	s_and_b32 exec_lo, exec_lo, s0
.LBB255_140:
	v_mov_b32_e32 v5, 0
	ds_write_b64 v5, v[7:8] offset:56
.LBB255_141:
	s_or_b32 exec_lo, exec_lo, s4
	v_mov_b32_e32 v5, 0
	s_waitcnt lgkmcnt(0)
	s_barrier
	buffer_gl0_inv
	v_cndmask_b32_e64 v11, v75, v26, s3
	ds_read_b64 v[9:10], v5 offset:56
	s_waitcnt lgkmcnt(0)
	s_barrier
	buffer_gl0_inv
	ds_read_b128 v[5:8], v5 offset:13312
	v_cndmask_b32_e64 v12, v74, v25, s3
	v_add_nc_u32_e32 v11, v10, v11
	v_add_nc_u32_e32 v12, v9, v12
	v_cndmask_b32_e64 v25, v11, v10, s0
	v_cndmask_b32_e64 v26, v12, v9, s0
	s_branch .LBB255_151
.LBB255_142:
	s_waitcnt lgkmcnt(0)
	v_mov_b32_dpp v5, v72 row_shr:1 row_mask:0xf bank_mask:0xf
	v_mov_b32_dpp v6, v73 row_shr:1 row_mask:0xf bank_mask:0xf
	v_cmp_lt_u32_e32 vcc_lo, 3, v69
	v_add_nc_u32_e32 v5, v5, v72
	v_add_nc_u32_e32 v6, v6, v73
	v_cndmask_b32_e64 v5, v5, v72, s2
	v_cndmask_b32_e64 v6, v6, v73, s2
	s_mov_b32 s2, exec_lo
	v_mov_b32_dpp v7, v5 row_shr:2 row_mask:0xf bank_mask:0xf
	v_mov_b32_dpp v8, v6 row_shr:2 row_mask:0xf bank_mask:0xf
	v_add_nc_u32_e32 v7, v5, v7
	v_add_nc_u32_e32 v8, v6, v8
	v_cndmask_b32_e64 v5, v5, v7, s1
	v_cndmask_b32_e64 v6, v6, v8, s1
	v_mov_b32_dpp v7, v5 row_shr:4 row_mask:0xf bank_mask:0xf
	v_mov_b32_dpp v8, v6 row_shr:4 row_mask:0xf bank_mask:0xf
	v_add_nc_u32_e32 v7, v5, v7
	v_add_nc_u32_e32 v8, v6, v8
	v_cndmask_b32_e32 v7, v5, v7, vcc_lo
	v_cndmask_b32_e32 v6, v6, v8, vcc_lo
	v_cmp_lt_u32_e32 vcc_lo, 7, v69
	v_mov_b32_dpp v5, v7 row_shr:8 row_mask:0xf bank_mask:0xf
	v_mov_b32_dpp v8, v6 row_shr:8 row_mask:0xf bank_mask:0xf
	v_add_nc_u32_e32 v9, v7, v5
	v_add_nc_u32_e32 v5, v6, v8
	v_cndmask_b32_e32 v5, v6, v5, vcc_lo
	v_cndmask_b32_e32 v6, v7, v9, vcc_lo
	v_cmp_eq_u32_e32 vcc_lo, 0, v71
	ds_swizzle_b32 v7, v5 offset:swizzle(BROADCAST,32,15)
	ds_swizzle_b32 v8, v6 offset:swizzle(BROADCAST,32,15)
	s_waitcnt lgkmcnt(1)
	v_add_nc_u32_e32 v7, v5, v7
	s_waitcnt lgkmcnt(0)
	v_add_nc_u32_e32 v8, v6, v8
	v_cmpx_eq_u32_e64 v0, v70
	s_cbranch_execz .LBB255_144
; %bb.143:
	v_cndmask_b32_e32 v9, v8, v6, vcc_lo
	v_cndmask_b32_e32 v10, v7, v5, vcc_lo
	v_lshlrev_b32_e32 v11, 3, v68
	ds_write_b64 v11, v[9:10]
.LBB255_144:
	s_or_b32 exec_lo, exec_lo, s2
	s_mov_b32 s2, exec_lo
	s_waitcnt lgkmcnt(0)
	s_barrier
	buffer_gl0_inv
	v_cmpx_gt_u32_e32 8, v0
	s_cbranch_execz .LBB255_146
; %bb.145:
	v_lshlrev_b32_e32 v11, 3, v0
	v_and_b32_e32 v26, 7, v67
	ds_read_b64 v[9:10], v11
	v_cmp_eq_u32_e64 s1, 0, v26
	s_waitcnt lgkmcnt(0)
	v_mov_b32_dpp v12, v9 row_shr:1 row_mask:0xf bank_mask:0xf
	v_mov_b32_dpp v25, v10 row_shr:1 row_mask:0xf bank_mask:0xf
	v_add_nc_u32_e32 v12, v12, v9
	v_add_nc_u32_e32 v25, v25, v10
	v_cndmask_b32_e64 v9, v12, v9, s1
	v_cndmask_b32_e64 v10, v25, v10, s1
	v_cmp_lt_u32_e64 s1, 1, v26
	v_mov_b32_dpp v12, v9 row_shr:2 row_mask:0xf bank_mask:0xf
	v_mov_b32_dpp v25, v10 row_shr:2 row_mask:0xf bank_mask:0xf
	v_add_nc_u32_e32 v12, v9, v12
	v_add_nc_u32_e32 v25, v10, v25
	v_cndmask_b32_e64 v9, v9, v12, s1
	v_cndmask_b32_e64 v10, v10, v25, s1
	v_cmp_lt_u32_e64 s1, 3, v26
	v_mov_b32_dpp v12, v9 row_shr:4 row_mask:0xf bank_mask:0xf
	v_mov_b32_dpp v25, v10 row_shr:4 row_mask:0xf bank_mask:0xf
	v_cndmask_b32_e64 v12, 0, v12, s1
	v_cndmask_b32_e64 v25, 0, v25, s1
	v_add_nc_u32_e32 v9, v12, v9
	v_add_nc_u32_e32 v10, v25, v10
	ds_write_b64 v11, v[9:10]
.LBB255_146:
	s_or_b32 exec_lo, exec_lo, s2
	v_mov_b32_e32 v11, 0
	v_mov_b32_e32 v9, 0
	;; [unrolled: 1-line block ×3, first 2 shown]
	s_mov_b32 s2, exec_lo
	s_waitcnt lgkmcnt(0)
	s_barrier
	buffer_gl0_inv
	v_cmpx_lt_u32_e32 31, v0
; %bb.147:
	v_lshl_add_u32 v9, v68, 3, -8
	ds_read_b64 v[9:10], v9
; %bb.148:
	s_or_b32 exec_lo, exec_lo, s2
	v_sub_co_u32 v12, s1, v67, 1
	v_cndmask_b32_e32 v6, v8, v6, vcc_lo
	v_cndmask_b32_e32 v5, v7, v5, vcc_lo
	v_cmp_gt_i32_e64 s2, 0, v12
	s_waitcnt lgkmcnt(0)
	v_add_nc_u32_e32 v6, v9, v6
	v_add_nc_u32_e32 v5, v10, v5
	v_cndmask_b32_e64 v8, v12, v67, s2
	v_lshlrev_b32_e32 v7, 2, v8
	ds_bpermute_b32 v12, v7, v6
	ds_bpermute_b32 v25, v7, v5
	ds_read_b64 v[5:6], v11 offset:56
	s_and_saveexec_b32 s2, s0
	s_cbranch_execz .LBB255_150
; %bb.149:
	s_add_u32 s6, s36, 0x200
	s_addc_u32 s7, s37, 0
	v_mov_b32_e32 v7, 2
	v_mov_b32_e32 v27, s7
	;; [unrolled: 1-line block ×4, first 2 shown]
	s_waitcnt lgkmcnt(0)
	;;#ASMSTART
	global_store_dwordx4 v[26:27], v[5:8] off	
s_waitcnt vmcnt(0)
	;;#ASMEND
.LBB255_150:
	s_or_b32 exec_lo, exec_lo, s2
	s_waitcnt lgkmcnt(1)
	v_cndmask_b32_e64 v7, v25, v10, s1
	v_cndmask_b32_e64 v9, v12, v9, s1
	v_mov_b32_e32 v8, 0
	s_waitcnt lgkmcnt(0)
	s_barrier
	v_cndmask_b32_e64 v25, v7, 0, s0
	v_cndmask_b32_e64 v26, v9, 0, s0
	v_mov_b32_e32 v7, 0
	buffer_gl0_inv
.LBB255_151:
	v_add_nc_u32_e32 v30, v25, v66
	v_add_nc_u32_e32 v29, v26, v65
	s_waitcnt lgkmcnt(0)
	v_sub_nc_u32_e32 v25, v25, v8
	v_lshrrev_b32_e32 v28, 8, v41
	v_lshlrev_b32_e32 v69, 1, v5
	v_add_nc_u32_e32 v63, v30, v63
	v_sub_nc_u32_e32 v30, v30, v8
	v_add_nc_u32_e32 v62, v29, v62
	v_sub_nc_u32_e32 v26, v26, v7
	;; [unrolled: 2-line block ×3, first 2 shown]
	v_add_nc_u32_e32 v30, v30, v5
	v_and_b32_e32 v28, 1, v28
	v_mov_b32_e32 v71, 1
	v_add3_u32 v34, v69, v6, v34
	v_add_nc_u32_e32 v75, v26, v25
	v_add_nc_u32_e32 v76, v30, v29
	v_add_co_u32 v1, vcc_lo, v1, v7
	v_add_co_ci_u32_e64 v2, null, 0, v2, vcc_lo
	v_sub_co_u32 v67, vcc_lo, v3, v5
	v_subrev_co_ci_u32_e64 v68, null, 0, v4, vcc_lo
	v_and_b32_sdwa v74, v71, v41 dst_sel:DWORD dst_unused:UNUSED_PAD src0_sel:DWORD src1_sel:WORD_1
	v_sub_nc_u32_e32 v76, v34, v76
	v_sub_nc_u32_e32 v75, v34, v75
	v_cmp_eq_u32_e32 vcc_lo, 1, v28
	v_lshrrev_b32_e32 v27, 8, v35
	v_add_nc_u32_e32 v65, v63, v48
	v_and_b32_e32 v70, 1, v35
	v_sub_nc_u32_e32 v63, v63, v8
	v_add_nc_u32_e32 v76, 1, v76
	v_cndmask_b32_e32 v25, v75, v25, vcc_lo
	v_cmp_eq_u32_e32 vcc_lo, 1, v74
	v_add_nc_u32_e32 v64, v62, v64
	v_and_b32_e32 v27, 1, v27
	v_sub_nc_u32_e32 v62, v62, v7
	v_add_nc_u32_e32 v63, v63, v5
	v_cndmask_b32_e32 v30, v76, v30, vcc_lo
	v_cmp_eq_u32_e32 vcc_lo, 1, v70
	v_and_b32_e32 v48, 1, v48
	v_add_nc_u32_e32 v61, v65, v61
	v_add_nc_u32_e32 v74, v63, v62
	v_and_b32_sdwa v35, v71, v35 dst_sel:DWORD dst_unused:UNUSED_PAD src0_sel:DWORD src1_sel:WORD_1
	v_cndmask_b32_e32 v70, v25, v26, vcc_lo
	v_cmp_eq_u32_e32 vcc_lo, 1, v27
	v_sub_nc_u32_e32 v65, v65, v8
	v_add_nc_u32_e32 v66, v64, v47
	v_add_nc_u32_e32 v60, v61, v60
	v_sub_nc_u32_e32 v61, v61, v8
	v_cndmask_b32_e32 v27, v30, v29, vcc_lo
	v_sub_nc_u32_e32 v29, v34, v74
	v_add_co_u32 v25, vcc_lo, v67, v8
	v_add_co_ci_u32_e64 v26, null, 0, v68, vcc_lo
	v_add_nc_u32_e32 v29, 2, v29
	v_cmp_eq_u32_e32 vcc_lo, 1, v48
	v_sub_nc_u32_e32 v48, v64, v7
	v_lshlrev_b32_e32 v30, 2, v70
	v_add_nc_u32_e32 v61, v61, v5
	v_lshlrev_b32_e32 v27, 2, v27
	v_cndmask_b32_e32 v29, v29, v63, vcc_lo
	v_add_nc_u32_e32 v63, v65, v5
	v_cmp_eq_u32_e32 vcc_lo, 1, v35
	v_sub_nc_u32_e32 v35, v66, v7
	v_lshrrev_b32_e32 v12, 8, v36
	ds_write_b32 v30, v23
	ds_write_b32 v27, v24
	v_and_b32_e32 v30, 1, v36
	v_cndmask_b32_e32 v29, v29, v62, vcc_lo
	v_add_nc_u32_e32 v62, v48, v63
	v_add_nc_u32_e32 v24, v35, v61
	;; [unrolled: 1-line block ×3, first 2 shown]
	v_and_b32_e32 v12, 1, v12
	v_lshlrev_b32_e32 v23, 2, v29
	v_sub_nc_u32_e32 v27, v34, v62
	v_and_b32_e32 v29, 1, v47
	v_sub_nc_u32_e32 v47, v60, v8
	v_sub_nc_u32_e32 v24, v34, v24
	v_cmp_eq_u32_e32 vcc_lo, 1, v30
	v_add_nc_u32_e32 v27, 3, v27
	v_add_nc_u32_e32 v57, v59, v57
	v_sub_nc_u32_e32 v59, v59, v7
	v_add_nc_u32_e32 v47, v47, v5
	v_add_nc_u32_e32 v24, 4, v24
	v_cndmask_b32_e32 v27, v27, v63, vcc_lo
	v_cmp_eq_u32_e32 vcc_lo, 1, v12
	v_add_nc_u32_e32 v58, v60, v58
	v_and_b32_e32 v30, 1, v37
	v_add_nc_u32_e32 v60, v59, v47
	v_lshrrev_b32_e32 v11, 8, v37
	v_cndmask_b32_e32 v12, v24, v61, vcc_lo
	v_cmp_eq_u32_e32 vcc_lo, 1, v29
	ds_write_b32 v23, v21
	v_and_b32_sdwa v23, v71, v36 dst_sel:DWORD dst_unused:UNUSED_PAD src0_sel:DWORD src1_sel:WORD_1
	v_add_nc_u32_e32 v72, v58, v46
	v_and_b32_e32 v11, 1, v11
	v_cndmask_b32_e32 v24, v27, v48, vcc_lo
	v_sub_nc_u32_e32 v27, v34, v60
	v_cmp_eq_u32_e32 vcc_lo, 1, v30
	v_add_nc_u32_e32 v52, v57, v52
	v_sub_nc_u32_e32 v29, v72, v8
	v_lshlrev_b32_e32 v21, 2, v24
	v_add_nc_u32_e32 v24, 5, v27
	v_cndmask_b32_e32 v12, v12, v35, vcc_lo
	v_sub_nc_u32_e32 v27, v58, v8
	v_cmp_eq_u32_e32 vcc_lo, 1, v23
	v_add_nc_u32_e32 v29, v29, v5
	v_add_nc_u32_e32 v56, v72, v56
	v_lshlrev_b32_e32 v12, 2, v12
	v_add_nc_u32_e32 v27, v27, v5
	v_cndmask_b32_e32 v23, v24, v47, vcc_lo
	v_sub_nc_u32_e32 v24, v57, v7
	v_cmp_eq_u32_e32 vcc_lo, 1, v11
	ds_write_b32 v21, v22
	ds_write_b32 v12, v19
	v_and_b32_e32 v22, 1, v46
	v_and_b32_e32 v35, 1, v38
	v_add_nc_u32_e32 v30, v24, v27
	v_cndmask_b32_e32 v11, v23, v59, vcc_lo
	v_sub_nc_u32_e32 v23, v52, v7
	v_cmp_eq_u32_e32 vcc_lo, 1, v22
	v_add_nc_u32_e32 v73, v52, v45
	v_sub_nc_u32_e32 v19, v34, v30
	v_sub_nc_u32_e32 v30, v56, v8
	v_add_nc_u32_e32 v12, v23, v29
	v_and_b32_sdwa v21, v71, v37 dst_sel:DWORD dst_unused:UNUSED_PAD src0_sel:DWORD src1_sel:WORD_1
	v_sub_nc_u32_e32 v36, v73, v7
	v_add_nc_u32_e32 v19, 6, v19
	v_add_nc_u32_e32 v30, v30, v5
	v_sub_nc_u32_e32 v12, v34, v12
	v_and_b32_e32 v22, 1, v45
	v_lshrrev_b32_e32 v10, 8, v38
	v_cndmask_b32_e32 v19, v19, v27, vcc_lo
	v_cmp_eq_u32_e32 vcc_lo, 1, v35
	v_add_nc_u32_e32 v12, 7, v12
	v_add_nc_u32_e32 v55, v56, v55
	;; [unrolled: 1-line block ×4, first 2 shown]
	v_and_b32_e32 v10, 1, v10
	v_cndmask_b32_e32 v12, v12, v29, vcc_lo
	v_cmp_eq_u32_e32 vcc_lo, 1, v21
	v_sub_nc_u32_e32 v21, v34, v27
	v_add_nc_u32_e32 v53, v55, v53
	v_lshlrev_b32_e32 v11, 2, v11
	v_add_nc_u32_e32 v51, v54, v51
	v_cndmask_b32_e32 v19, v19, v24, vcc_lo
	v_cmp_eq_u32_e32 vcc_lo, 1, v22
	v_sub_nc_u32_e32 v22, v55, v8
	v_add_nc_u32_e32 v21, 8, v21
	v_sub_nc_u32_e32 v24, v54, v7
	v_lshlrev_b32_e32 v19, 2, v19
	v_cndmask_b32_e32 v12, v12, v23, vcc_lo
	v_add_nc_u32_e32 v22, v22, v5
	v_cmp_eq_u32_e32 vcc_lo, 1, v10
	v_add_nc_u32_e32 v77, v53, v44
	v_and_b32_e32 v23, 1, v40
	v_lshlrev_b32_e32 v12, 2, v12
	ds_write_b32 v11, v20
	ds_write_b32 v19, v17
	ds_write_b32 v12, v18
	v_cndmask_b32_e32 v10, v21, v30, vcc_lo
	v_add_nc_u32_e32 v21, v24, v22
	v_sub_nc_u32_e32 v12, v53, v8
	v_lshrrev_b32_e32 v9, 8, v40
	v_add_nc_u32_e32 v49, v51, v49
	v_cmp_eq_u32_e32 vcc_lo, 1, v23
	v_sub_nc_u32_e32 v11, v34, v21
	v_and_b32_sdwa v17, v71, v38 dst_sel:DWORD dst_unused:UNUSED_PAD src0_sel:DWORD src1_sel:WORD_1
	v_sub_nc_u32_e32 v18, v51, v7
	v_sub_nc_u32_e32 v19, v77, v8
	v_add_nc_u32_e32 v12, v12, v5
	v_cndmask_b32_e32 v10, v10, v36, vcc_lo
	v_and_b32_e32 v9, 1, v9
	v_add_nc_u32_e32 v11, 9, v11
	v_cmp_eq_u32_e32 vcc_lo, 1, v17
	v_sub_nc_u32_e32 v17, v49, v7
	v_add_nc_u32_e32 v19, v19, v5
	v_add_nc_u32_e32 v20, v18, v12
	;; [unrolled: 1-line block ×3, first 2 shown]
	v_cndmask_b32_e32 v11, v11, v22, vcc_lo
	v_cmp_eq_u32_e32 vcc_lo, 1, v9
	v_add_nc_u32_e32 v21, v17, v19
	v_sub_nc_u32_e32 v20, v34, v20
	v_and_b32_e32 v23, 1, v44
	v_add_nc_u32_e32 v50, v49, v43
	v_cndmask_b32_e32 v9, v11, v24, vcc_lo
	v_sub_nc_u32_e32 v11, v28, v8
	v_sub_nc_u32_e32 v21, v34, v21
	v_add_nc_u32_e32 v20, 10, v20
	v_and_b32_e32 v24, 1, v39
	v_cmp_eq_u32_e32 vcc_lo, 1, v23
	v_and_b32_sdwa v22, v71, v40 dst_sel:DWORD dst_unused:UNUSED_PAD src0_sel:DWORD src1_sel:WORD_1
	v_sub_nc_u32_e32 v7, v50, v7
	v_add_nc_u32_e32 v11, v11, v5
	v_add_nc_u32_e32 v21, 11, v21
	v_cndmask_b32_e32 v12, v20, v12, vcc_lo
	v_cmp_eq_u32_e32 vcc_lo, 1, v24
	v_and_b32_e32 v20, 1, v43
	v_add_nc_u32_e32 v27, v7, v11
	v_lshlrev_b32_e32 v10, 2, v10
	v_lshlrev_b32_e32 v9, 2, v9
	v_cndmask_b32_e32 v19, v21, v19, vcc_lo
	v_cmp_eq_u32_e32 vcc_lo, 1, v22
	v_sub_nc_u32_e32 v23, v34, v27
	v_cndmask_b32_e32 v12, v12, v18, vcc_lo
	v_and_b32_e32 v18, 1, v42
	v_cmp_eq_u32_e32 vcc_lo, 1, v20
	v_add_nc_u32_e32 v21, 12, v23
	v_lshlrev_b32_e32 v12, 2, v12
	v_cndmask_b32_e32 v17, v19, v17, vcc_lo
	v_and_b32_e32 v19, 1, v41
	v_cmp_eq_u32_e32 vcc_lo, 1, v18
	v_lshlrev_b32_e32 v17, 2, v17
	ds_write_b32 v10, v15
	ds_write_b32 v9, v16
	;; [unrolled: 1-line block ×4, first 2 shown]
	v_cndmask_b32_e32 v11, v21, v11, vcc_lo
	v_cmp_eq_u32_e32 vcc_lo, 1, v19
	v_add_co_u32 v9, s1, v6, v69
	v_add_co_ci_u32_e64 v10, null, 0, 0, s1
	v_cndmask_b32_e32 v7, v11, v7, vcc_lo
	v_add_co_u32 v11, s1, s34, v31
	v_add_co_ci_u32_e64 v12, null, s35, 0, s1
	v_lshlrev_b32_e32 v7, 2, v7
	v_add_nc_u32_e32 v14, v5, v6
	ds_write_b32 v7, v33
	v_add_co_u32 v7, vcc_lo, v9, v25
	v_add_co_ci_u32_e64 v9, null, v10, v26, vcc_lo
	s_waitcnt lgkmcnt(0)
	v_add_co_u32 v7, vcc_lo, v7, v1
	v_add_co_ci_u32_e64 v13, null, v9, v2, vcc_lo
	v_lshlrev_b64 v[9:10], 2, v[25:26]
	v_sub_co_u32 v7, vcc_lo, v11, v7
	v_sub_co_ci_u32_e64 v13, null, v12, v13, vcc_lo
	v_lshlrev_b64 v[11:12], 2, v[1:2]
	v_add_co_u32 v9, vcc_lo, s30, v9
	v_add_co_ci_u32_e64 v10, null, s31, v10, vcc_lo
	v_cmp_ne_u32_e32 vcc_lo, 1, v32
	v_add_co_u32 v11, s1, s28, v11
	v_add_co_ci_u32_e64 v12, null, s29, v12, s1
	s_mov_b32 s1, -1
	s_barrier
	buffer_gl0_inv
	s_cbranch_vccz .LBB255_155
; %bb.152:
	s_and_b32 vcc_lo, exec_lo, s1
	s_cbranch_vccnz .LBB255_260
.LBB255_153:
	s_and_b32 s0, s0, s26
	s_and_saveexec_b32 s1, s0
	s_cbranch_execnz .LBB255_378
.LBB255_154:
	s_endpgm
.LBB255_155:
	s_mov_b32 s1, exec_lo
	v_cmpx_ge_u32_e64 v0, v5
	s_xor_b32 s1, exec_lo, s1
	s_cbranch_execz .LBB255_161
; %bb.156:
	s_mov_b32 s2, exec_lo
	v_cmpx_ge_u32_e64 v0, v14
	s_xor_b32 s2, exec_lo, s2
	s_cbranch_execz .LBB255_158
; %bb.157:
	v_lshlrev_b32_e32 v15, 2, v0
	ds_read_b32 v17, v15
	v_add_co_u32 v15, vcc_lo, v7, v0
	v_add_co_ci_u32_e64 v16, null, 0, v13, vcc_lo
	v_lshlrev_b64 v[15:16], 2, v[15:16]
	v_sub_co_u32 v15, vcc_lo, s14, v15
	v_sub_co_ci_u32_e64 v16, null, s15, v16, vcc_lo
	s_waitcnt lgkmcnt(0)
	global_store_dword v[15:16], v17, off offset:-4
.LBB255_158:
	s_andn2_saveexec_b32 s2, s2
	s_cbranch_execz .LBB255_160
; %bb.159:
	v_lshlrev_b32_e32 v15, 2, v0
	v_readfirstlane_b32 s6, v9
	v_readfirstlane_b32 s7, v10
	ds_read_b32 v16, v15
	s_waitcnt lgkmcnt(0)
	global_store_dword v15, v16, s[6:7]
.LBB255_160:
	s_or_b32 exec_lo, exec_lo, s2
.LBB255_161:
	s_andn2_saveexec_b32 s1, s1
	s_cbranch_execz .LBB255_163
; %bb.162:
	v_lshlrev_b32_e32 v15, 2, v0
	v_readfirstlane_b32 s2, v11
	v_readfirstlane_b32 s3, v12
	ds_read_b32 v16, v15
	s_waitcnt lgkmcnt(0)
	global_store_dword v15, v16, s[2:3]
.LBB255_163:
	s_or_b32 exec_lo, exec_lo, s1
	v_or_b32_e32 v15, 0x100, v0
	s_mov_b32 s1, exec_lo
	v_cmpx_ge_u32_e64 v15, v5
	s_xor_b32 s1, exec_lo, s1
	s_cbranch_execz .LBB255_169
; %bb.164:
	s_mov_b32 s2, exec_lo
	v_cmpx_ge_u32_e64 v15, v14
	s_xor_b32 s2, exec_lo, s2
	s_cbranch_execz .LBB255_166
; %bb.165:
	v_lshlrev_b32_e32 v15, 2, v0
	ds_read_b32 v17, v15 offset:1024
	v_add_co_u32 v15, vcc_lo, v7, v0
	v_add_co_ci_u32_e64 v16, null, 0, v13, vcc_lo
	v_lshlrev_b64 v[15:16], 2, v[15:16]
	v_sub_co_u32 v15, vcc_lo, s14, v15
	v_sub_co_ci_u32_e64 v16, null, s15, v16, vcc_lo
	s_waitcnt lgkmcnt(0)
	global_store_dword v[15:16], v17, off offset:-1028
.LBB255_166:
	s_andn2_saveexec_b32 s2, s2
	s_cbranch_execz .LBB255_168
; %bb.167:
	v_lshlrev_b32_e32 v15, 2, v0
	v_readfirstlane_b32 s6, v9
	v_readfirstlane_b32 s7, v10
	ds_read_b32 v16, v15 offset:1024
	s_waitcnt lgkmcnt(0)
	global_store_dword v15, v16, s[6:7] offset:1024
.LBB255_168:
	s_or_b32 exec_lo, exec_lo, s2
.LBB255_169:
	s_andn2_saveexec_b32 s1, s1
	s_cbranch_execz .LBB255_171
; %bb.170:
	v_lshlrev_b32_e32 v15, 2, v0
	v_readfirstlane_b32 s2, v11
	v_readfirstlane_b32 s3, v12
	ds_read_b32 v16, v15 offset:1024
	s_waitcnt lgkmcnt(0)
	global_store_dword v15, v16, s[2:3] offset:1024
.LBB255_171:
	s_or_b32 exec_lo, exec_lo, s1
	v_or_b32_e32 v15, 0x200, v0
	s_mov_b32 s1, exec_lo
	v_cmpx_ge_u32_e64 v15, v5
	s_xor_b32 s1, exec_lo, s1
	s_cbranch_execz .LBB255_177
; %bb.172:
	s_mov_b32 s2, exec_lo
	v_cmpx_ge_u32_e64 v15, v14
	s_xor_b32 s2, exec_lo, s2
	s_cbranch_execz .LBB255_174
; %bb.173:
	v_lshlrev_b32_e32 v17, 2, v0
	v_add_co_u32 v15, vcc_lo, v7, v0
	v_add_co_ci_u32_e64 v16, null, 0, v13, vcc_lo
	ds_read_b32 v17, v17 offset:2048
	v_lshlrev_b64 v[15:16], 2, v[15:16]
	v_sub_co_u32 v15, vcc_lo, s14, v15
	v_sub_co_ci_u32_e64 v16, null, s15, v16, vcc_lo
	v_add_co_u32 v15, vcc_lo, 0xfffff800, v15
	v_add_co_ci_u32_e64 v16, null, -1, v16, vcc_lo
	s_waitcnt lgkmcnt(0)
	global_store_dword v[15:16], v17, off offset:-4
                                        ; implicit-def: $vgpr15
.LBB255_174:
	s_andn2_saveexec_b32 s2, s2
	s_cbranch_execz .LBB255_176
; %bb.175:
	v_lshlrev_b32_e32 v16, 2, v0
	v_lshlrev_b32_e32 v15, 2, v15
	v_readfirstlane_b32 s6, v9
	v_readfirstlane_b32 s7, v10
	ds_read_b32 v16, v16 offset:2048
	s_waitcnt lgkmcnt(0)
	global_store_dword v15, v16, s[6:7]
.LBB255_176:
	s_or_b32 exec_lo, exec_lo, s2
                                        ; implicit-def: $vgpr15
.LBB255_177:
	s_andn2_saveexec_b32 s1, s1
	s_cbranch_execz .LBB255_179
; %bb.178:
	v_lshlrev_b32_e32 v16, 2, v0
	v_lshlrev_b32_e32 v15, 2, v15
	v_readfirstlane_b32 s2, v11
	v_readfirstlane_b32 s3, v12
	ds_read_b32 v16, v16 offset:2048
	s_waitcnt lgkmcnt(0)
	global_store_dword v15, v16, s[2:3]
.LBB255_179:
	s_or_b32 exec_lo, exec_lo, s1
	v_or_b32_e32 v15, 0x300, v0
	s_mov_b32 s1, exec_lo
	v_cmpx_ge_u32_e64 v15, v5
	s_xor_b32 s1, exec_lo, s1
	s_cbranch_execz .LBB255_185
; %bb.180:
	s_mov_b32 s2, exec_lo
	v_cmpx_ge_u32_e64 v15, v14
	s_xor_b32 s2, exec_lo, s2
	s_cbranch_execz .LBB255_182
; %bb.181:
	v_lshlrev_b32_e32 v16, 2, v0
	v_add_co_u32 v15, vcc_lo, v7, v15
	ds_read_b32 v17, v16 offset:3072
	v_add_co_ci_u32_e64 v16, null, 0, v13, vcc_lo
	v_lshlrev_b64 v[15:16], 2, v[15:16]
	v_sub_co_u32 v15, vcc_lo, s14, v15
	v_sub_co_ci_u32_e64 v16, null, s15, v16, vcc_lo
	s_waitcnt lgkmcnt(0)
	global_store_dword v[15:16], v17, off offset:-4
                                        ; implicit-def: $vgpr15
.LBB255_182:
	s_andn2_saveexec_b32 s2, s2
	s_cbranch_execz .LBB255_184
; %bb.183:
	v_lshlrev_b32_e32 v16, 2, v0
	v_lshlrev_b32_e32 v15, 2, v15
	v_readfirstlane_b32 s6, v9
	v_readfirstlane_b32 s7, v10
	ds_read_b32 v16, v16 offset:3072
	s_waitcnt lgkmcnt(0)
	global_store_dword v15, v16, s[6:7]
.LBB255_184:
	s_or_b32 exec_lo, exec_lo, s2
                                        ; implicit-def: $vgpr15
.LBB255_185:
	s_andn2_saveexec_b32 s1, s1
	s_cbranch_execz .LBB255_187
; %bb.186:
	v_lshlrev_b32_e32 v16, 2, v0
	v_lshlrev_b32_e32 v15, 2, v15
	v_readfirstlane_b32 s2, v11
	v_readfirstlane_b32 s3, v12
	ds_read_b32 v16, v16 offset:3072
	s_waitcnt lgkmcnt(0)
	global_store_dword v15, v16, s[2:3]
.LBB255_187:
	s_or_b32 exec_lo, exec_lo, s1
	v_or_b32_e32 v15, 0x400, v0
	s_mov_b32 s1, exec_lo
	v_cmpx_ge_u32_e64 v15, v5
	s_xor_b32 s1, exec_lo, s1
	s_cbranch_execz .LBB255_193
; %bb.188:
	s_mov_b32 s2, exec_lo
	v_cmpx_ge_u32_e64 v15, v14
	s_xor_b32 s2, exec_lo, s2
	s_cbranch_execz .LBB255_190
; %bb.189:
	v_lshlrev_b32_e32 v16, 2, v0
	v_add_co_u32 v15, vcc_lo, v7, v15
	ds_read_b32 v17, v16 offset:4096
	v_add_co_ci_u32_e64 v16, null, 0, v13, vcc_lo
	v_lshlrev_b64 v[15:16], 2, v[15:16]
	v_sub_co_u32 v15, vcc_lo, s14, v15
	v_sub_co_ci_u32_e64 v16, null, s15, v16, vcc_lo
	s_waitcnt lgkmcnt(0)
	global_store_dword v[15:16], v17, off offset:-4
                                        ; implicit-def: $vgpr15
.LBB255_190:
	s_andn2_saveexec_b32 s2, s2
	s_cbranch_execz .LBB255_192
; %bb.191:
	v_lshlrev_b32_e32 v16, 2, v0
	v_lshlrev_b32_e32 v15, 2, v15
	v_readfirstlane_b32 s6, v9
	v_readfirstlane_b32 s7, v10
	ds_read_b32 v16, v16 offset:4096
	s_waitcnt lgkmcnt(0)
	global_store_dword v15, v16, s[6:7]
.LBB255_192:
	s_or_b32 exec_lo, exec_lo, s2
                                        ; implicit-def: $vgpr15
.LBB255_193:
	;; [unrolled: 48-line block ×10, first 2 shown]
	s_andn2_saveexec_b32 s1, s1
	s_cbranch_execz .LBB255_259
; %bb.258:
	v_lshlrev_b32_e32 v16, 2, v0
	v_lshlrev_b32_e32 v15, 2, v15
	v_readfirstlane_b32 s2, v11
	v_readfirstlane_b32 s3, v12
	ds_read_b32 v16, v16 offset:12288
	s_waitcnt lgkmcnt(0)
	global_store_dword v15, v16, s[2:3]
.LBB255_259:
	s_or_b32 exec_lo, exec_lo, s1
	s_branch .LBB255_153
.LBB255_260:
	s_mov_b32 s1, exec_lo
	v_cmpx_gt_u32_e64 s5, v0
	s_cbranch_execz .LBB255_269
; %bb.261:
	s_mov_b32 s2, exec_lo
	v_cmpx_ge_u32_e64 v0, v5
	s_xor_b32 s2, exec_lo, s2
	s_cbranch_execz .LBB255_267
; %bb.262:
	s_mov_b32 s3, exec_lo
	v_cmpx_ge_u32_e64 v0, v14
	s_xor_b32 s3, exec_lo, s3
	s_cbranch_execz .LBB255_264
; %bb.263:
	v_lshlrev_b32_e32 v15, 2, v0
	ds_read_b32 v17, v15
	v_add_co_u32 v15, vcc_lo, v7, v0
	v_add_co_ci_u32_e64 v16, null, 0, v13, vcc_lo
	v_lshlrev_b64 v[15:16], 2, v[15:16]
	v_sub_co_u32 v15, vcc_lo, s14, v15
	v_sub_co_ci_u32_e64 v16, null, s15, v16, vcc_lo
	s_waitcnt lgkmcnt(0)
	global_store_dword v[15:16], v17, off offset:-4
.LBB255_264:
	s_andn2_saveexec_b32 s3, s3
	s_cbranch_execz .LBB255_266
; %bb.265:
	v_lshlrev_b32_e32 v15, 2, v0
	v_readfirstlane_b32 s6, v9
	v_readfirstlane_b32 s7, v10
	ds_read_b32 v16, v15
	s_waitcnt lgkmcnt(0)
	global_store_dword v15, v16, s[6:7]
.LBB255_266:
	s_or_b32 exec_lo, exec_lo, s3
.LBB255_267:
	s_andn2_saveexec_b32 s2, s2
	s_cbranch_execz .LBB255_269
; %bb.268:
	v_lshlrev_b32_e32 v15, 2, v0
	v_readfirstlane_b32 s2, v11
	v_readfirstlane_b32 s3, v12
	ds_read_b32 v16, v15
	s_waitcnt lgkmcnt(0)
	global_store_dword v15, v16, s[2:3]
.LBB255_269:
	s_or_b32 exec_lo, exec_lo, s1
	v_or_b32_e32 v15, 0x100, v0
	s_mov_b32 s1, exec_lo
	v_cmpx_gt_u32_e64 s5, v15
	s_cbranch_execz .LBB255_278
; %bb.270:
	s_mov_b32 s2, exec_lo
	v_cmpx_ge_u32_e64 v15, v5
	s_xor_b32 s2, exec_lo, s2
	s_cbranch_execz .LBB255_276
; %bb.271:
	s_mov_b32 s3, exec_lo
	v_cmpx_ge_u32_e64 v15, v14
	s_xor_b32 s3, exec_lo, s3
	s_cbranch_execz .LBB255_273
; %bb.272:
	v_lshlrev_b32_e32 v15, 2, v0
	ds_read_b32 v17, v15 offset:1024
	v_add_co_u32 v15, vcc_lo, v7, v0
	v_add_co_ci_u32_e64 v16, null, 0, v13, vcc_lo
	v_lshlrev_b64 v[15:16], 2, v[15:16]
	v_sub_co_u32 v15, vcc_lo, s14, v15
	v_sub_co_ci_u32_e64 v16, null, s15, v16, vcc_lo
	s_waitcnt lgkmcnt(0)
	global_store_dword v[15:16], v17, off offset:-1028
.LBB255_273:
	s_andn2_saveexec_b32 s3, s3
	s_cbranch_execz .LBB255_275
; %bb.274:
	v_lshlrev_b32_e32 v15, 2, v0
	v_readfirstlane_b32 s6, v9
	v_readfirstlane_b32 s7, v10
	ds_read_b32 v16, v15 offset:1024
	s_waitcnt lgkmcnt(0)
	global_store_dword v15, v16, s[6:7] offset:1024
.LBB255_275:
	s_or_b32 exec_lo, exec_lo, s3
.LBB255_276:
	s_andn2_saveexec_b32 s2, s2
	s_cbranch_execz .LBB255_278
; %bb.277:
	v_lshlrev_b32_e32 v15, 2, v0
	v_readfirstlane_b32 s2, v11
	v_readfirstlane_b32 s3, v12
	ds_read_b32 v16, v15 offset:1024
	s_waitcnt lgkmcnt(0)
	global_store_dword v15, v16, s[2:3] offset:1024
.LBB255_278:
	s_or_b32 exec_lo, exec_lo, s1
	v_or_b32_e32 v15, 0x200, v0
	s_mov_b32 s1, exec_lo
	v_cmpx_gt_u32_e64 s5, v15
	s_cbranch_execz .LBB255_287
; %bb.279:
	s_mov_b32 s2, exec_lo
	v_cmpx_ge_u32_e64 v15, v5
	s_xor_b32 s2, exec_lo, s2
	s_cbranch_execz .LBB255_285
; %bb.280:
	s_mov_b32 s3, exec_lo
	v_cmpx_ge_u32_e64 v15, v14
	s_xor_b32 s3, exec_lo, s3
	s_cbranch_execz .LBB255_282
; %bb.281:
	v_lshlrev_b32_e32 v17, 2, v0
	v_add_co_u32 v15, vcc_lo, v7, v0
	v_add_co_ci_u32_e64 v16, null, 0, v13, vcc_lo
	ds_read_b32 v17, v17 offset:2048
	v_lshlrev_b64 v[15:16], 2, v[15:16]
	v_sub_co_u32 v15, vcc_lo, s14, v15
	v_sub_co_ci_u32_e64 v16, null, s15, v16, vcc_lo
	v_add_co_u32 v15, vcc_lo, 0xfffff800, v15
	v_add_co_ci_u32_e64 v16, null, -1, v16, vcc_lo
	s_waitcnt lgkmcnt(0)
	global_store_dword v[15:16], v17, off offset:-4
                                        ; implicit-def: $vgpr15
.LBB255_282:
	s_andn2_saveexec_b32 s3, s3
	s_cbranch_execz .LBB255_284
; %bb.283:
	v_lshlrev_b32_e32 v16, 2, v0
	v_lshlrev_b32_e32 v15, 2, v15
	v_readfirstlane_b32 s6, v9
	v_readfirstlane_b32 s7, v10
	ds_read_b32 v16, v16 offset:2048
	s_waitcnt lgkmcnt(0)
	global_store_dword v15, v16, s[6:7]
.LBB255_284:
	s_or_b32 exec_lo, exec_lo, s3
                                        ; implicit-def: $vgpr15
.LBB255_285:
	s_andn2_saveexec_b32 s2, s2
	s_cbranch_execz .LBB255_287
; %bb.286:
	v_lshlrev_b32_e32 v16, 2, v0
	v_lshlrev_b32_e32 v15, 2, v15
	v_readfirstlane_b32 s2, v11
	v_readfirstlane_b32 s3, v12
	ds_read_b32 v16, v16 offset:2048
	s_waitcnt lgkmcnt(0)
	global_store_dword v15, v16, s[2:3]
.LBB255_287:
	s_or_b32 exec_lo, exec_lo, s1
	v_or_b32_e32 v15, 0x300, v0
	s_mov_b32 s1, exec_lo
	v_cmpx_gt_u32_e64 s5, v15
	s_cbranch_execz .LBB255_296
; %bb.288:
	s_mov_b32 s2, exec_lo
	v_cmpx_ge_u32_e64 v15, v5
	s_xor_b32 s2, exec_lo, s2
	s_cbranch_execz .LBB255_294
; %bb.289:
	s_mov_b32 s3, exec_lo
	v_cmpx_ge_u32_e64 v15, v14
	s_xor_b32 s3, exec_lo, s3
	s_cbranch_execz .LBB255_291
; %bb.290:
	v_lshlrev_b32_e32 v16, 2, v0
	v_add_co_u32 v15, vcc_lo, v7, v15
	ds_read_b32 v17, v16 offset:3072
	v_add_co_ci_u32_e64 v16, null, 0, v13, vcc_lo
	v_lshlrev_b64 v[15:16], 2, v[15:16]
	v_sub_co_u32 v15, vcc_lo, s14, v15
	v_sub_co_ci_u32_e64 v16, null, s15, v16, vcc_lo
	s_waitcnt lgkmcnt(0)
	global_store_dword v[15:16], v17, off offset:-4
                                        ; implicit-def: $vgpr15
.LBB255_291:
	s_andn2_saveexec_b32 s3, s3
	s_cbranch_execz .LBB255_293
; %bb.292:
	v_lshlrev_b32_e32 v16, 2, v0
	v_lshlrev_b32_e32 v15, 2, v15
	v_readfirstlane_b32 s6, v9
	v_readfirstlane_b32 s7, v10
	ds_read_b32 v16, v16 offset:3072
	s_waitcnt lgkmcnt(0)
	global_store_dword v15, v16, s[6:7]
.LBB255_293:
	s_or_b32 exec_lo, exec_lo, s3
                                        ; implicit-def: $vgpr15
.LBB255_294:
	s_andn2_saveexec_b32 s2, s2
	s_cbranch_execz .LBB255_296
; %bb.295:
	v_lshlrev_b32_e32 v16, 2, v0
	v_lshlrev_b32_e32 v15, 2, v15
	v_readfirstlane_b32 s2, v11
	v_readfirstlane_b32 s3, v12
	ds_read_b32 v16, v16 offset:3072
	s_waitcnt lgkmcnt(0)
	global_store_dword v15, v16, s[2:3]
.LBB255_296:
	s_or_b32 exec_lo, exec_lo, s1
	v_or_b32_e32 v15, 0x400, v0
	s_mov_b32 s1, exec_lo
	v_cmpx_gt_u32_e64 s5, v15
	s_cbranch_execz .LBB255_305
; %bb.297:
	s_mov_b32 s2, exec_lo
	v_cmpx_ge_u32_e64 v15, v5
	s_xor_b32 s2, exec_lo, s2
	s_cbranch_execz .LBB255_303
; %bb.298:
	s_mov_b32 s3, exec_lo
	v_cmpx_ge_u32_e64 v15, v14
	s_xor_b32 s3, exec_lo, s3
	s_cbranch_execz .LBB255_300
; %bb.299:
	v_lshlrev_b32_e32 v16, 2, v0
	v_add_co_u32 v15, vcc_lo, v7, v15
	ds_read_b32 v17, v16 offset:4096
	v_add_co_ci_u32_e64 v16, null, 0, v13, vcc_lo
	v_lshlrev_b64 v[15:16], 2, v[15:16]
	v_sub_co_u32 v15, vcc_lo, s14, v15
	v_sub_co_ci_u32_e64 v16, null, s15, v16, vcc_lo
	s_waitcnt lgkmcnt(0)
	global_store_dword v[15:16], v17, off offset:-4
                                        ; implicit-def: $vgpr15
.LBB255_300:
	s_andn2_saveexec_b32 s3, s3
	s_cbranch_execz .LBB255_302
; %bb.301:
	v_lshlrev_b32_e32 v16, 2, v0
	v_lshlrev_b32_e32 v15, 2, v15
	v_readfirstlane_b32 s6, v9
	v_readfirstlane_b32 s7, v10
	ds_read_b32 v16, v16 offset:4096
	s_waitcnt lgkmcnt(0)
	global_store_dword v15, v16, s[6:7]
.LBB255_302:
	s_or_b32 exec_lo, exec_lo, s3
                                        ; implicit-def: $vgpr15
.LBB255_303:
	s_andn2_saveexec_b32 s2, s2
	s_cbranch_execz .LBB255_305
; %bb.304:
	v_lshlrev_b32_e32 v16, 2, v0
	v_lshlrev_b32_e32 v15, 2, v15
	v_readfirstlane_b32 s2, v11
	v_readfirstlane_b32 s3, v12
	ds_read_b32 v16, v16 offset:4096
	s_waitcnt lgkmcnt(0)
	global_store_dword v15, v16, s[2:3]
.LBB255_305:
	;; [unrolled: 52-line block ×9, first 2 shown]
	s_or_b32 exec_lo, exec_lo, s1
	v_or_b32_e32 v15, 0xc00, v0
	s_mov_b32 s1, exec_lo
	v_cmpx_gt_u32_e64 s5, v15
	s_cbranch_execz .LBB255_377
; %bb.369:
	s_mov_b32 s2, exec_lo
	v_cmpx_ge_u32_e64 v15, v5
	s_xor_b32 s2, exec_lo, s2
	s_cbranch_execz .LBB255_375
; %bb.370:
	s_mov_b32 s3, exec_lo
	v_cmpx_ge_u32_e64 v15, v14
	s_xor_b32 s3, exec_lo, s3
	s_cbranch_execz .LBB255_372
; %bb.371:
	v_lshlrev_b32_e32 v0, 2, v0
	v_add_co_u32 v9, vcc_lo, v7, v15
	v_add_co_ci_u32_e64 v10, null, 0, v13, vcc_lo
	ds_read_b32 v0, v0 offset:12288
                                        ; implicit-def: $vgpr15
	v_lshlrev_b64 v[9:10], 2, v[9:10]
	v_sub_co_u32 v9, vcc_lo, s14, v9
	v_sub_co_ci_u32_e64 v10, null, s15, v10, vcc_lo
	s_waitcnt lgkmcnt(0)
	global_store_dword v[9:10], v0, off offset:-4
                                        ; implicit-def: $vgpr0
                                        ; implicit-def: $vgpr9_vgpr10
.LBB255_372:
	s_andn2_saveexec_b32 s3, s3
	s_cbranch_execz .LBB255_374
; %bb.373:
	v_lshlrev_b32_e32 v0, 2, v0
	v_lshlrev_b32_e32 v7, 2, v15
	v_readfirstlane_b32 s4, v9
	v_readfirstlane_b32 s5, v10
	ds_read_b32 v0, v0 offset:12288
	s_waitcnt lgkmcnt(0)
	global_store_dword v7, v0, s[4:5]
.LBB255_374:
	s_or_b32 exec_lo, exec_lo, s3
                                        ; implicit-def: $vgpr0
                                        ; implicit-def: $vgpr15
                                        ; implicit-def: $vgpr11_vgpr12
.LBB255_375:
	s_andn2_saveexec_b32 s2, s2
	s_cbranch_execz .LBB255_377
; %bb.376:
	v_lshlrev_b32_e32 v0, 2, v0
	v_lshlrev_b32_e32 v7, 2, v15
	v_readfirstlane_b32 s2, v11
	v_readfirstlane_b32 s3, v12
	ds_read_b32 v0, v0 offset:12288
	s_waitcnt lgkmcnt(0)
	global_store_dword v7, v0, s[2:3]
.LBB255_377:
	s_or_b32 exec_lo, exec_lo, s1
	s_and_b32 s0, s0, s26
	s_and_saveexec_b32 s1, s0
	s_cbranch_execz .LBB255_154
.LBB255_378:
	v_add_co_u32 v0, vcc_lo, v3, v6
	v_add_co_ci_u32_e64 v4, null, 0, v4, vcc_lo
	v_mov_b32_e32 v6, 0
	v_add_co_u32 v3, vcc_lo, v0, v8
	v_add_co_ci_u32_e64 v4, null, 0, v4, vcc_lo
	v_add_co_u32 v1, vcc_lo, v1, v5
	v_add_co_ci_u32_e64 v2, null, 0, v2, vcc_lo
	global_store_dwordx4 v6, v[1:4], s[24:25]
	s_endpgm
.LBB255_379:
	s_add_i32 s8, s27, 32
	s_mov_b32 s9, 0
	v_add_nc_u32_e32 v10, v8, v6
	s_lshl_b64 s[8:9], s[8:9], 4
	v_add_nc_u32_e32 v9, v7, v5
	s_add_u32 s8, s36, s8
	s_addc_u32 s9, s37, s9
	v_mov_b32_e32 v11, 2
	v_mov_b32_e32 v28, s9
	;; [unrolled: 1-line block ×4, first 2 shown]
	;;#ASMSTART
	global_store_dwordx4 v[27:28], v[9:12] off	
s_waitcnt vmcnt(0)
	;;#ASMEND
	s_or_b32 exec_lo, exec_lo, s6
	s_and_saveexec_b32 s6, s3
	s_cbranch_execz .LBB255_139
.LBB255_380:
	v_mov_b32_e32 v9, 0
	ds_write_b128 v9, v[5:8] offset:13312
	s_or_b32 exec_lo, exec_lo, s6
	s_and_b32 exec_lo, exec_lo, s0
	s_cbranch_execnz .LBB255_140
	s_branch .LBB255_141
	.section	.rodata,"a",@progbits
	.p2align	6, 0x0
	.amdhsa_kernel _ZN7rocprim17ROCPRIM_400000_NS6detail17trampoline_kernelINS0_13select_configILj256ELj13ELNS0_17block_load_methodE3ELS4_3ELS4_3ELNS0_20block_scan_algorithmE0ELj4294967295EEENS1_25partition_config_selectorILNS1_17partition_subalgoE4EjNS0_10empty_typeEbEEZZNS1_14partition_implILS8_4ELb0ES6_15HIP_vector_typeIjLj2EENS0_17counting_iteratorIjlEEPS9_SG_NS0_5tupleIJPjSI_NS0_16reverse_iteratorISI_EEEEENSH_IJSG_SG_SG_EEES9_SI_JZNS1_25segmented_radix_sort_implINS0_14default_configELb1EPKaPaPKlPlN2at6native12_GLOBAL__N_18offset_tEEE10hipError_tPvRmT1_PNSt15iterator_traitsIS12_E10value_typeET2_T3_PNS13_IS18_E10value_typeET4_jRbjT5_S1E_jjP12ihipStream_tbEUljE_ZNSN_ISO_Lb1ESQ_SR_ST_SU_SY_EESZ_S10_S11_S12_S16_S17_S18_S1B_S1C_jS1D_jS1E_S1E_jjS1G_bEUljE0_EEESZ_S10_S11_S18_S1C_S1E_T6_T7_T9_mT8_S1G_bDpT10_ENKUlT_T0_E_clISt17integral_constantIbLb0EES1T_IbLb1EEEEDaS1P_S1Q_EUlS1P_E_NS1_11comp_targetILNS1_3genE8ELNS1_11target_archE1030ELNS1_3gpuE2ELNS1_3repE0EEENS1_30default_config_static_selectorELNS0_4arch9wavefront6targetE0EEEvS12_
		.amdhsa_group_segment_fixed_size 13328
		.amdhsa_private_segment_fixed_size 0
		.amdhsa_kernarg_size 184
		.amdhsa_user_sgpr_count 6
		.amdhsa_user_sgpr_private_segment_buffer 1
		.amdhsa_user_sgpr_dispatch_ptr 0
		.amdhsa_user_sgpr_queue_ptr 0
		.amdhsa_user_sgpr_kernarg_segment_ptr 1
		.amdhsa_user_sgpr_dispatch_id 0
		.amdhsa_user_sgpr_flat_scratch_init 0
		.amdhsa_user_sgpr_private_segment_size 0
		.amdhsa_wavefront_size32 1
		.amdhsa_uses_dynamic_stack 0
		.amdhsa_system_sgpr_private_segment_wavefront_offset 0
		.amdhsa_system_sgpr_workgroup_id_x 1
		.amdhsa_system_sgpr_workgroup_id_y 0
		.amdhsa_system_sgpr_workgroup_id_z 0
		.amdhsa_system_sgpr_workgroup_info 0
		.amdhsa_system_vgpr_workitem_id 0
		.amdhsa_next_free_vgpr 87
		.amdhsa_next_free_sgpr 55
		.amdhsa_reserve_vcc 1
		.amdhsa_reserve_flat_scratch 0
		.amdhsa_float_round_mode_32 0
		.amdhsa_float_round_mode_16_64 0
		.amdhsa_float_denorm_mode_32 3
		.amdhsa_float_denorm_mode_16_64 3
		.amdhsa_dx10_clamp 1
		.amdhsa_ieee_mode 1
		.amdhsa_fp16_overflow 0
		.amdhsa_workgroup_processor_mode 1
		.amdhsa_memory_ordered 1
		.amdhsa_forward_progress 1
		.amdhsa_shared_vgpr_count 0
		.amdhsa_exception_fp_ieee_invalid_op 0
		.amdhsa_exception_fp_denorm_src 0
		.amdhsa_exception_fp_ieee_div_zero 0
		.amdhsa_exception_fp_ieee_overflow 0
		.amdhsa_exception_fp_ieee_underflow 0
		.amdhsa_exception_fp_ieee_inexact 0
		.amdhsa_exception_int_div_zero 0
	.end_amdhsa_kernel
	.section	.text._ZN7rocprim17ROCPRIM_400000_NS6detail17trampoline_kernelINS0_13select_configILj256ELj13ELNS0_17block_load_methodE3ELS4_3ELS4_3ELNS0_20block_scan_algorithmE0ELj4294967295EEENS1_25partition_config_selectorILNS1_17partition_subalgoE4EjNS0_10empty_typeEbEEZZNS1_14partition_implILS8_4ELb0ES6_15HIP_vector_typeIjLj2EENS0_17counting_iteratorIjlEEPS9_SG_NS0_5tupleIJPjSI_NS0_16reverse_iteratorISI_EEEEENSH_IJSG_SG_SG_EEES9_SI_JZNS1_25segmented_radix_sort_implINS0_14default_configELb1EPKaPaPKlPlN2at6native12_GLOBAL__N_18offset_tEEE10hipError_tPvRmT1_PNSt15iterator_traitsIS12_E10value_typeET2_T3_PNS13_IS18_E10value_typeET4_jRbjT5_S1E_jjP12ihipStream_tbEUljE_ZNSN_ISO_Lb1ESQ_SR_ST_SU_SY_EESZ_S10_S11_S12_S16_S17_S18_S1B_S1C_jS1D_jS1E_S1E_jjS1G_bEUljE0_EEESZ_S10_S11_S18_S1C_S1E_T6_T7_T9_mT8_S1G_bDpT10_ENKUlT_T0_E_clISt17integral_constantIbLb0EES1T_IbLb1EEEEDaS1P_S1Q_EUlS1P_E_NS1_11comp_targetILNS1_3genE8ELNS1_11target_archE1030ELNS1_3gpuE2ELNS1_3repE0EEENS1_30default_config_static_selectorELNS0_4arch9wavefront6targetE0EEEvS12_,"axG",@progbits,_ZN7rocprim17ROCPRIM_400000_NS6detail17trampoline_kernelINS0_13select_configILj256ELj13ELNS0_17block_load_methodE3ELS4_3ELS4_3ELNS0_20block_scan_algorithmE0ELj4294967295EEENS1_25partition_config_selectorILNS1_17partition_subalgoE4EjNS0_10empty_typeEbEEZZNS1_14partition_implILS8_4ELb0ES6_15HIP_vector_typeIjLj2EENS0_17counting_iteratorIjlEEPS9_SG_NS0_5tupleIJPjSI_NS0_16reverse_iteratorISI_EEEEENSH_IJSG_SG_SG_EEES9_SI_JZNS1_25segmented_radix_sort_implINS0_14default_configELb1EPKaPaPKlPlN2at6native12_GLOBAL__N_18offset_tEEE10hipError_tPvRmT1_PNSt15iterator_traitsIS12_E10value_typeET2_T3_PNS13_IS18_E10value_typeET4_jRbjT5_S1E_jjP12ihipStream_tbEUljE_ZNSN_ISO_Lb1ESQ_SR_ST_SU_SY_EESZ_S10_S11_S12_S16_S17_S18_S1B_S1C_jS1D_jS1E_S1E_jjS1G_bEUljE0_EEESZ_S10_S11_S18_S1C_S1E_T6_T7_T9_mT8_S1G_bDpT10_ENKUlT_T0_E_clISt17integral_constantIbLb0EES1T_IbLb1EEEEDaS1P_S1Q_EUlS1P_E_NS1_11comp_targetILNS1_3genE8ELNS1_11target_archE1030ELNS1_3gpuE2ELNS1_3repE0EEENS1_30default_config_static_selectorELNS0_4arch9wavefront6targetE0EEEvS12_,comdat
.Lfunc_end255:
	.size	_ZN7rocprim17ROCPRIM_400000_NS6detail17trampoline_kernelINS0_13select_configILj256ELj13ELNS0_17block_load_methodE3ELS4_3ELS4_3ELNS0_20block_scan_algorithmE0ELj4294967295EEENS1_25partition_config_selectorILNS1_17partition_subalgoE4EjNS0_10empty_typeEbEEZZNS1_14partition_implILS8_4ELb0ES6_15HIP_vector_typeIjLj2EENS0_17counting_iteratorIjlEEPS9_SG_NS0_5tupleIJPjSI_NS0_16reverse_iteratorISI_EEEEENSH_IJSG_SG_SG_EEES9_SI_JZNS1_25segmented_radix_sort_implINS0_14default_configELb1EPKaPaPKlPlN2at6native12_GLOBAL__N_18offset_tEEE10hipError_tPvRmT1_PNSt15iterator_traitsIS12_E10value_typeET2_T3_PNS13_IS18_E10value_typeET4_jRbjT5_S1E_jjP12ihipStream_tbEUljE_ZNSN_ISO_Lb1ESQ_SR_ST_SU_SY_EESZ_S10_S11_S12_S16_S17_S18_S1B_S1C_jS1D_jS1E_S1E_jjS1G_bEUljE0_EEESZ_S10_S11_S18_S1C_S1E_T6_T7_T9_mT8_S1G_bDpT10_ENKUlT_T0_E_clISt17integral_constantIbLb0EES1T_IbLb1EEEEDaS1P_S1Q_EUlS1P_E_NS1_11comp_targetILNS1_3genE8ELNS1_11target_archE1030ELNS1_3gpuE2ELNS1_3repE0EEENS1_30default_config_static_selectorELNS0_4arch9wavefront6targetE0EEEvS12_, .Lfunc_end255-_ZN7rocprim17ROCPRIM_400000_NS6detail17trampoline_kernelINS0_13select_configILj256ELj13ELNS0_17block_load_methodE3ELS4_3ELS4_3ELNS0_20block_scan_algorithmE0ELj4294967295EEENS1_25partition_config_selectorILNS1_17partition_subalgoE4EjNS0_10empty_typeEbEEZZNS1_14partition_implILS8_4ELb0ES6_15HIP_vector_typeIjLj2EENS0_17counting_iteratorIjlEEPS9_SG_NS0_5tupleIJPjSI_NS0_16reverse_iteratorISI_EEEEENSH_IJSG_SG_SG_EEES9_SI_JZNS1_25segmented_radix_sort_implINS0_14default_configELb1EPKaPaPKlPlN2at6native12_GLOBAL__N_18offset_tEEE10hipError_tPvRmT1_PNSt15iterator_traitsIS12_E10value_typeET2_T3_PNS13_IS18_E10value_typeET4_jRbjT5_S1E_jjP12ihipStream_tbEUljE_ZNSN_ISO_Lb1ESQ_SR_ST_SU_SY_EESZ_S10_S11_S12_S16_S17_S18_S1B_S1C_jS1D_jS1E_S1E_jjS1G_bEUljE0_EEESZ_S10_S11_S18_S1C_S1E_T6_T7_T9_mT8_S1G_bDpT10_ENKUlT_T0_E_clISt17integral_constantIbLb0EES1T_IbLb1EEEEDaS1P_S1Q_EUlS1P_E_NS1_11comp_targetILNS1_3genE8ELNS1_11target_archE1030ELNS1_3gpuE2ELNS1_3repE0EEENS1_30default_config_static_selectorELNS0_4arch9wavefront6targetE0EEEvS12_
                                        ; -- End function
	.set _ZN7rocprim17ROCPRIM_400000_NS6detail17trampoline_kernelINS0_13select_configILj256ELj13ELNS0_17block_load_methodE3ELS4_3ELS4_3ELNS0_20block_scan_algorithmE0ELj4294967295EEENS1_25partition_config_selectorILNS1_17partition_subalgoE4EjNS0_10empty_typeEbEEZZNS1_14partition_implILS8_4ELb0ES6_15HIP_vector_typeIjLj2EENS0_17counting_iteratorIjlEEPS9_SG_NS0_5tupleIJPjSI_NS0_16reverse_iteratorISI_EEEEENSH_IJSG_SG_SG_EEES9_SI_JZNS1_25segmented_radix_sort_implINS0_14default_configELb1EPKaPaPKlPlN2at6native12_GLOBAL__N_18offset_tEEE10hipError_tPvRmT1_PNSt15iterator_traitsIS12_E10value_typeET2_T3_PNS13_IS18_E10value_typeET4_jRbjT5_S1E_jjP12ihipStream_tbEUljE_ZNSN_ISO_Lb1ESQ_SR_ST_SU_SY_EESZ_S10_S11_S12_S16_S17_S18_S1B_S1C_jS1D_jS1E_S1E_jjS1G_bEUljE0_EEESZ_S10_S11_S18_S1C_S1E_T6_T7_T9_mT8_S1G_bDpT10_ENKUlT_T0_E_clISt17integral_constantIbLb0EES1T_IbLb1EEEEDaS1P_S1Q_EUlS1P_E_NS1_11comp_targetILNS1_3genE8ELNS1_11target_archE1030ELNS1_3gpuE2ELNS1_3repE0EEENS1_30default_config_static_selectorELNS0_4arch9wavefront6targetE0EEEvS12_.num_vgpr, 87
	.set _ZN7rocprim17ROCPRIM_400000_NS6detail17trampoline_kernelINS0_13select_configILj256ELj13ELNS0_17block_load_methodE3ELS4_3ELS4_3ELNS0_20block_scan_algorithmE0ELj4294967295EEENS1_25partition_config_selectorILNS1_17partition_subalgoE4EjNS0_10empty_typeEbEEZZNS1_14partition_implILS8_4ELb0ES6_15HIP_vector_typeIjLj2EENS0_17counting_iteratorIjlEEPS9_SG_NS0_5tupleIJPjSI_NS0_16reverse_iteratorISI_EEEEENSH_IJSG_SG_SG_EEES9_SI_JZNS1_25segmented_radix_sort_implINS0_14default_configELb1EPKaPaPKlPlN2at6native12_GLOBAL__N_18offset_tEEE10hipError_tPvRmT1_PNSt15iterator_traitsIS12_E10value_typeET2_T3_PNS13_IS18_E10value_typeET4_jRbjT5_S1E_jjP12ihipStream_tbEUljE_ZNSN_ISO_Lb1ESQ_SR_ST_SU_SY_EESZ_S10_S11_S12_S16_S17_S18_S1B_S1C_jS1D_jS1E_S1E_jjS1G_bEUljE0_EEESZ_S10_S11_S18_S1C_S1E_T6_T7_T9_mT8_S1G_bDpT10_ENKUlT_T0_E_clISt17integral_constantIbLb0EES1T_IbLb1EEEEDaS1P_S1Q_EUlS1P_E_NS1_11comp_targetILNS1_3genE8ELNS1_11target_archE1030ELNS1_3gpuE2ELNS1_3repE0EEENS1_30default_config_static_selectorELNS0_4arch9wavefront6targetE0EEEvS12_.num_agpr, 0
	.set _ZN7rocprim17ROCPRIM_400000_NS6detail17trampoline_kernelINS0_13select_configILj256ELj13ELNS0_17block_load_methodE3ELS4_3ELS4_3ELNS0_20block_scan_algorithmE0ELj4294967295EEENS1_25partition_config_selectorILNS1_17partition_subalgoE4EjNS0_10empty_typeEbEEZZNS1_14partition_implILS8_4ELb0ES6_15HIP_vector_typeIjLj2EENS0_17counting_iteratorIjlEEPS9_SG_NS0_5tupleIJPjSI_NS0_16reverse_iteratorISI_EEEEENSH_IJSG_SG_SG_EEES9_SI_JZNS1_25segmented_radix_sort_implINS0_14default_configELb1EPKaPaPKlPlN2at6native12_GLOBAL__N_18offset_tEEE10hipError_tPvRmT1_PNSt15iterator_traitsIS12_E10value_typeET2_T3_PNS13_IS18_E10value_typeET4_jRbjT5_S1E_jjP12ihipStream_tbEUljE_ZNSN_ISO_Lb1ESQ_SR_ST_SU_SY_EESZ_S10_S11_S12_S16_S17_S18_S1B_S1C_jS1D_jS1E_S1E_jjS1G_bEUljE0_EEESZ_S10_S11_S18_S1C_S1E_T6_T7_T9_mT8_S1G_bDpT10_ENKUlT_T0_E_clISt17integral_constantIbLb0EES1T_IbLb1EEEEDaS1P_S1Q_EUlS1P_E_NS1_11comp_targetILNS1_3genE8ELNS1_11target_archE1030ELNS1_3gpuE2ELNS1_3repE0EEENS1_30default_config_static_selectorELNS0_4arch9wavefront6targetE0EEEvS12_.numbered_sgpr, 55
	.set _ZN7rocprim17ROCPRIM_400000_NS6detail17trampoline_kernelINS0_13select_configILj256ELj13ELNS0_17block_load_methodE3ELS4_3ELS4_3ELNS0_20block_scan_algorithmE0ELj4294967295EEENS1_25partition_config_selectorILNS1_17partition_subalgoE4EjNS0_10empty_typeEbEEZZNS1_14partition_implILS8_4ELb0ES6_15HIP_vector_typeIjLj2EENS0_17counting_iteratorIjlEEPS9_SG_NS0_5tupleIJPjSI_NS0_16reverse_iteratorISI_EEEEENSH_IJSG_SG_SG_EEES9_SI_JZNS1_25segmented_radix_sort_implINS0_14default_configELb1EPKaPaPKlPlN2at6native12_GLOBAL__N_18offset_tEEE10hipError_tPvRmT1_PNSt15iterator_traitsIS12_E10value_typeET2_T3_PNS13_IS18_E10value_typeET4_jRbjT5_S1E_jjP12ihipStream_tbEUljE_ZNSN_ISO_Lb1ESQ_SR_ST_SU_SY_EESZ_S10_S11_S12_S16_S17_S18_S1B_S1C_jS1D_jS1E_S1E_jjS1G_bEUljE0_EEESZ_S10_S11_S18_S1C_S1E_T6_T7_T9_mT8_S1G_bDpT10_ENKUlT_T0_E_clISt17integral_constantIbLb0EES1T_IbLb1EEEEDaS1P_S1Q_EUlS1P_E_NS1_11comp_targetILNS1_3genE8ELNS1_11target_archE1030ELNS1_3gpuE2ELNS1_3repE0EEENS1_30default_config_static_selectorELNS0_4arch9wavefront6targetE0EEEvS12_.num_named_barrier, 0
	.set _ZN7rocprim17ROCPRIM_400000_NS6detail17trampoline_kernelINS0_13select_configILj256ELj13ELNS0_17block_load_methodE3ELS4_3ELS4_3ELNS0_20block_scan_algorithmE0ELj4294967295EEENS1_25partition_config_selectorILNS1_17partition_subalgoE4EjNS0_10empty_typeEbEEZZNS1_14partition_implILS8_4ELb0ES6_15HIP_vector_typeIjLj2EENS0_17counting_iteratorIjlEEPS9_SG_NS0_5tupleIJPjSI_NS0_16reverse_iteratorISI_EEEEENSH_IJSG_SG_SG_EEES9_SI_JZNS1_25segmented_radix_sort_implINS0_14default_configELb1EPKaPaPKlPlN2at6native12_GLOBAL__N_18offset_tEEE10hipError_tPvRmT1_PNSt15iterator_traitsIS12_E10value_typeET2_T3_PNS13_IS18_E10value_typeET4_jRbjT5_S1E_jjP12ihipStream_tbEUljE_ZNSN_ISO_Lb1ESQ_SR_ST_SU_SY_EESZ_S10_S11_S12_S16_S17_S18_S1B_S1C_jS1D_jS1E_S1E_jjS1G_bEUljE0_EEESZ_S10_S11_S18_S1C_S1E_T6_T7_T9_mT8_S1G_bDpT10_ENKUlT_T0_E_clISt17integral_constantIbLb0EES1T_IbLb1EEEEDaS1P_S1Q_EUlS1P_E_NS1_11comp_targetILNS1_3genE8ELNS1_11target_archE1030ELNS1_3gpuE2ELNS1_3repE0EEENS1_30default_config_static_selectorELNS0_4arch9wavefront6targetE0EEEvS12_.private_seg_size, 0
	.set _ZN7rocprim17ROCPRIM_400000_NS6detail17trampoline_kernelINS0_13select_configILj256ELj13ELNS0_17block_load_methodE3ELS4_3ELS4_3ELNS0_20block_scan_algorithmE0ELj4294967295EEENS1_25partition_config_selectorILNS1_17partition_subalgoE4EjNS0_10empty_typeEbEEZZNS1_14partition_implILS8_4ELb0ES6_15HIP_vector_typeIjLj2EENS0_17counting_iteratorIjlEEPS9_SG_NS0_5tupleIJPjSI_NS0_16reverse_iteratorISI_EEEEENSH_IJSG_SG_SG_EEES9_SI_JZNS1_25segmented_radix_sort_implINS0_14default_configELb1EPKaPaPKlPlN2at6native12_GLOBAL__N_18offset_tEEE10hipError_tPvRmT1_PNSt15iterator_traitsIS12_E10value_typeET2_T3_PNS13_IS18_E10value_typeET4_jRbjT5_S1E_jjP12ihipStream_tbEUljE_ZNSN_ISO_Lb1ESQ_SR_ST_SU_SY_EESZ_S10_S11_S12_S16_S17_S18_S1B_S1C_jS1D_jS1E_S1E_jjS1G_bEUljE0_EEESZ_S10_S11_S18_S1C_S1E_T6_T7_T9_mT8_S1G_bDpT10_ENKUlT_T0_E_clISt17integral_constantIbLb0EES1T_IbLb1EEEEDaS1P_S1Q_EUlS1P_E_NS1_11comp_targetILNS1_3genE8ELNS1_11target_archE1030ELNS1_3gpuE2ELNS1_3repE0EEENS1_30default_config_static_selectorELNS0_4arch9wavefront6targetE0EEEvS12_.uses_vcc, 1
	.set _ZN7rocprim17ROCPRIM_400000_NS6detail17trampoline_kernelINS0_13select_configILj256ELj13ELNS0_17block_load_methodE3ELS4_3ELS4_3ELNS0_20block_scan_algorithmE0ELj4294967295EEENS1_25partition_config_selectorILNS1_17partition_subalgoE4EjNS0_10empty_typeEbEEZZNS1_14partition_implILS8_4ELb0ES6_15HIP_vector_typeIjLj2EENS0_17counting_iteratorIjlEEPS9_SG_NS0_5tupleIJPjSI_NS0_16reverse_iteratorISI_EEEEENSH_IJSG_SG_SG_EEES9_SI_JZNS1_25segmented_radix_sort_implINS0_14default_configELb1EPKaPaPKlPlN2at6native12_GLOBAL__N_18offset_tEEE10hipError_tPvRmT1_PNSt15iterator_traitsIS12_E10value_typeET2_T3_PNS13_IS18_E10value_typeET4_jRbjT5_S1E_jjP12ihipStream_tbEUljE_ZNSN_ISO_Lb1ESQ_SR_ST_SU_SY_EESZ_S10_S11_S12_S16_S17_S18_S1B_S1C_jS1D_jS1E_S1E_jjS1G_bEUljE0_EEESZ_S10_S11_S18_S1C_S1E_T6_T7_T9_mT8_S1G_bDpT10_ENKUlT_T0_E_clISt17integral_constantIbLb0EES1T_IbLb1EEEEDaS1P_S1Q_EUlS1P_E_NS1_11comp_targetILNS1_3genE8ELNS1_11target_archE1030ELNS1_3gpuE2ELNS1_3repE0EEENS1_30default_config_static_selectorELNS0_4arch9wavefront6targetE0EEEvS12_.uses_flat_scratch, 0
	.set _ZN7rocprim17ROCPRIM_400000_NS6detail17trampoline_kernelINS0_13select_configILj256ELj13ELNS0_17block_load_methodE3ELS4_3ELS4_3ELNS0_20block_scan_algorithmE0ELj4294967295EEENS1_25partition_config_selectorILNS1_17partition_subalgoE4EjNS0_10empty_typeEbEEZZNS1_14partition_implILS8_4ELb0ES6_15HIP_vector_typeIjLj2EENS0_17counting_iteratorIjlEEPS9_SG_NS0_5tupleIJPjSI_NS0_16reverse_iteratorISI_EEEEENSH_IJSG_SG_SG_EEES9_SI_JZNS1_25segmented_radix_sort_implINS0_14default_configELb1EPKaPaPKlPlN2at6native12_GLOBAL__N_18offset_tEEE10hipError_tPvRmT1_PNSt15iterator_traitsIS12_E10value_typeET2_T3_PNS13_IS18_E10value_typeET4_jRbjT5_S1E_jjP12ihipStream_tbEUljE_ZNSN_ISO_Lb1ESQ_SR_ST_SU_SY_EESZ_S10_S11_S12_S16_S17_S18_S1B_S1C_jS1D_jS1E_S1E_jjS1G_bEUljE0_EEESZ_S10_S11_S18_S1C_S1E_T6_T7_T9_mT8_S1G_bDpT10_ENKUlT_T0_E_clISt17integral_constantIbLb0EES1T_IbLb1EEEEDaS1P_S1Q_EUlS1P_E_NS1_11comp_targetILNS1_3genE8ELNS1_11target_archE1030ELNS1_3gpuE2ELNS1_3repE0EEENS1_30default_config_static_selectorELNS0_4arch9wavefront6targetE0EEEvS12_.has_dyn_sized_stack, 0
	.set _ZN7rocprim17ROCPRIM_400000_NS6detail17trampoline_kernelINS0_13select_configILj256ELj13ELNS0_17block_load_methodE3ELS4_3ELS4_3ELNS0_20block_scan_algorithmE0ELj4294967295EEENS1_25partition_config_selectorILNS1_17partition_subalgoE4EjNS0_10empty_typeEbEEZZNS1_14partition_implILS8_4ELb0ES6_15HIP_vector_typeIjLj2EENS0_17counting_iteratorIjlEEPS9_SG_NS0_5tupleIJPjSI_NS0_16reverse_iteratorISI_EEEEENSH_IJSG_SG_SG_EEES9_SI_JZNS1_25segmented_radix_sort_implINS0_14default_configELb1EPKaPaPKlPlN2at6native12_GLOBAL__N_18offset_tEEE10hipError_tPvRmT1_PNSt15iterator_traitsIS12_E10value_typeET2_T3_PNS13_IS18_E10value_typeET4_jRbjT5_S1E_jjP12ihipStream_tbEUljE_ZNSN_ISO_Lb1ESQ_SR_ST_SU_SY_EESZ_S10_S11_S12_S16_S17_S18_S1B_S1C_jS1D_jS1E_S1E_jjS1G_bEUljE0_EEESZ_S10_S11_S18_S1C_S1E_T6_T7_T9_mT8_S1G_bDpT10_ENKUlT_T0_E_clISt17integral_constantIbLb0EES1T_IbLb1EEEEDaS1P_S1Q_EUlS1P_E_NS1_11comp_targetILNS1_3genE8ELNS1_11target_archE1030ELNS1_3gpuE2ELNS1_3repE0EEENS1_30default_config_static_selectorELNS0_4arch9wavefront6targetE0EEEvS12_.has_recursion, 0
	.set _ZN7rocprim17ROCPRIM_400000_NS6detail17trampoline_kernelINS0_13select_configILj256ELj13ELNS0_17block_load_methodE3ELS4_3ELS4_3ELNS0_20block_scan_algorithmE0ELj4294967295EEENS1_25partition_config_selectorILNS1_17partition_subalgoE4EjNS0_10empty_typeEbEEZZNS1_14partition_implILS8_4ELb0ES6_15HIP_vector_typeIjLj2EENS0_17counting_iteratorIjlEEPS9_SG_NS0_5tupleIJPjSI_NS0_16reverse_iteratorISI_EEEEENSH_IJSG_SG_SG_EEES9_SI_JZNS1_25segmented_radix_sort_implINS0_14default_configELb1EPKaPaPKlPlN2at6native12_GLOBAL__N_18offset_tEEE10hipError_tPvRmT1_PNSt15iterator_traitsIS12_E10value_typeET2_T3_PNS13_IS18_E10value_typeET4_jRbjT5_S1E_jjP12ihipStream_tbEUljE_ZNSN_ISO_Lb1ESQ_SR_ST_SU_SY_EESZ_S10_S11_S12_S16_S17_S18_S1B_S1C_jS1D_jS1E_S1E_jjS1G_bEUljE0_EEESZ_S10_S11_S18_S1C_S1E_T6_T7_T9_mT8_S1G_bDpT10_ENKUlT_T0_E_clISt17integral_constantIbLb0EES1T_IbLb1EEEEDaS1P_S1Q_EUlS1P_E_NS1_11comp_targetILNS1_3genE8ELNS1_11target_archE1030ELNS1_3gpuE2ELNS1_3repE0EEENS1_30default_config_static_selectorELNS0_4arch9wavefront6targetE0EEEvS12_.has_indirect_call, 0
	.section	.AMDGPU.csdata,"",@progbits
; Kernel info:
; codeLenInByte = 16368
; TotalNumSgprs: 57
; NumVgprs: 87
; ScratchSize: 0
; MemoryBound: 0
; FloatMode: 240
; IeeeMode: 1
; LDSByteSize: 13328 bytes/workgroup (compile time only)
; SGPRBlocks: 0
; VGPRBlocks: 10
; NumSGPRsForWavesPerEU: 57
; NumVGPRsForWavesPerEU: 87
; Occupancy: 10
; WaveLimiterHint : 1
; COMPUTE_PGM_RSRC2:SCRATCH_EN: 0
; COMPUTE_PGM_RSRC2:USER_SGPR: 6
; COMPUTE_PGM_RSRC2:TRAP_HANDLER: 0
; COMPUTE_PGM_RSRC2:TGID_X_EN: 1
; COMPUTE_PGM_RSRC2:TGID_Y_EN: 0
; COMPUTE_PGM_RSRC2:TGID_Z_EN: 0
; COMPUTE_PGM_RSRC2:TIDIG_COMP_CNT: 0
	.section	.text._ZN7rocprim17ROCPRIM_400000_NS6detail17trampoline_kernelINS0_13select_configILj256ELj13ELNS0_17block_load_methodE3ELS4_3ELS4_3ELNS0_20block_scan_algorithmE0ELj4294967295EEENS1_25partition_config_selectorILNS1_17partition_subalgoE3EjNS0_10empty_typeEbEEZZNS1_14partition_implILS8_3ELb0ES6_jNS0_17counting_iteratorIjlEEPS9_SE_NS0_5tupleIJPjSE_EEENSF_IJSE_SE_EEES9_SG_JZNS1_25segmented_radix_sort_implINS0_14default_configELb1EPKaPaPKlPlN2at6native12_GLOBAL__N_18offset_tEEE10hipError_tPvRmT1_PNSt15iterator_traitsISY_E10value_typeET2_T3_PNSZ_IS14_E10value_typeET4_jRbjT5_S1A_jjP12ihipStream_tbEUljE_EEESV_SW_SX_S14_S18_S1A_T6_T7_T9_mT8_S1C_bDpT10_ENKUlT_T0_E_clISt17integral_constantIbLb0EES1P_EEDaS1K_S1L_EUlS1K_E_NS1_11comp_targetILNS1_3genE0ELNS1_11target_archE4294967295ELNS1_3gpuE0ELNS1_3repE0EEENS1_30default_config_static_selectorELNS0_4arch9wavefront6targetE0EEEvSY_,"axG",@progbits,_ZN7rocprim17ROCPRIM_400000_NS6detail17trampoline_kernelINS0_13select_configILj256ELj13ELNS0_17block_load_methodE3ELS4_3ELS4_3ELNS0_20block_scan_algorithmE0ELj4294967295EEENS1_25partition_config_selectorILNS1_17partition_subalgoE3EjNS0_10empty_typeEbEEZZNS1_14partition_implILS8_3ELb0ES6_jNS0_17counting_iteratorIjlEEPS9_SE_NS0_5tupleIJPjSE_EEENSF_IJSE_SE_EEES9_SG_JZNS1_25segmented_radix_sort_implINS0_14default_configELb1EPKaPaPKlPlN2at6native12_GLOBAL__N_18offset_tEEE10hipError_tPvRmT1_PNSt15iterator_traitsISY_E10value_typeET2_T3_PNSZ_IS14_E10value_typeET4_jRbjT5_S1A_jjP12ihipStream_tbEUljE_EEESV_SW_SX_S14_S18_S1A_T6_T7_T9_mT8_S1C_bDpT10_ENKUlT_T0_E_clISt17integral_constantIbLb0EES1P_EEDaS1K_S1L_EUlS1K_E_NS1_11comp_targetILNS1_3genE0ELNS1_11target_archE4294967295ELNS1_3gpuE0ELNS1_3repE0EEENS1_30default_config_static_selectorELNS0_4arch9wavefront6targetE0EEEvSY_,comdat
	.globl	_ZN7rocprim17ROCPRIM_400000_NS6detail17trampoline_kernelINS0_13select_configILj256ELj13ELNS0_17block_load_methodE3ELS4_3ELS4_3ELNS0_20block_scan_algorithmE0ELj4294967295EEENS1_25partition_config_selectorILNS1_17partition_subalgoE3EjNS0_10empty_typeEbEEZZNS1_14partition_implILS8_3ELb0ES6_jNS0_17counting_iteratorIjlEEPS9_SE_NS0_5tupleIJPjSE_EEENSF_IJSE_SE_EEES9_SG_JZNS1_25segmented_radix_sort_implINS0_14default_configELb1EPKaPaPKlPlN2at6native12_GLOBAL__N_18offset_tEEE10hipError_tPvRmT1_PNSt15iterator_traitsISY_E10value_typeET2_T3_PNSZ_IS14_E10value_typeET4_jRbjT5_S1A_jjP12ihipStream_tbEUljE_EEESV_SW_SX_S14_S18_S1A_T6_T7_T9_mT8_S1C_bDpT10_ENKUlT_T0_E_clISt17integral_constantIbLb0EES1P_EEDaS1K_S1L_EUlS1K_E_NS1_11comp_targetILNS1_3genE0ELNS1_11target_archE4294967295ELNS1_3gpuE0ELNS1_3repE0EEENS1_30default_config_static_selectorELNS0_4arch9wavefront6targetE0EEEvSY_ ; -- Begin function _ZN7rocprim17ROCPRIM_400000_NS6detail17trampoline_kernelINS0_13select_configILj256ELj13ELNS0_17block_load_methodE3ELS4_3ELS4_3ELNS0_20block_scan_algorithmE0ELj4294967295EEENS1_25partition_config_selectorILNS1_17partition_subalgoE3EjNS0_10empty_typeEbEEZZNS1_14partition_implILS8_3ELb0ES6_jNS0_17counting_iteratorIjlEEPS9_SE_NS0_5tupleIJPjSE_EEENSF_IJSE_SE_EEES9_SG_JZNS1_25segmented_radix_sort_implINS0_14default_configELb1EPKaPaPKlPlN2at6native12_GLOBAL__N_18offset_tEEE10hipError_tPvRmT1_PNSt15iterator_traitsISY_E10value_typeET2_T3_PNSZ_IS14_E10value_typeET4_jRbjT5_S1A_jjP12ihipStream_tbEUljE_EEESV_SW_SX_S14_S18_S1A_T6_T7_T9_mT8_S1C_bDpT10_ENKUlT_T0_E_clISt17integral_constantIbLb0EES1P_EEDaS1K_S1L_EUlS1K_E_NS1_11comp_targetILNS1_3genE0ELNS1_11target_archE4294967295ELNS1_3gpuE0ELNS1_3repE0EEENS1_30default_config_static_selectorELNS0_4arch9wavefront6targetE0EEEvSY_
	.p2align	8
	.type	_ZN7rocprim17ROCPRIM_400000_NS6detail17trampoline_kernelINS0_13select_configILj256ELj13ELNS0_17block_load_methodE3ELS4_3ELS4_3ELNS0_20block_scan_algorithmE0ELj4294967295EEENS1_25partition_config_selectorILNS1_17partition_subalgoE3EjNS0_10empty_typeEbEEZZNS1_14partition_implILS8_3ELb0ES6_jNS0_17counting_iteratorIjlEEPS9_SE_NS0_5tupleIJPjSE_EEENSF_IJSE_SE_EEES9_SG_JZNS1_25segmented_radix_sort_implINS0_14default_configELb1EPKaPaPKlPlN2at6native12_GLOBAL__N_18offset_tEEE10hipError_tPvRmT1_PNSt15iterator_traitsISY_E10value_typeET2_T3_PNSZ_IS14_E10value_typeET4_jRbjT5_S1A_jjP12ihipStream_tbEUljE_EEESV_SW_SX_S14_S18_S1A_T6_T7_T9_mT8_S1C_bDpT10_ENKUlT_T0_E_clISt17integral_constantIbLb0EES1P_EEDaS1K_S1L_EUlS1K_E_NS1_11comp_targetILNS1_3genE0ELNS1_11target_archE4294967295ELNS1_3gpuE0ELNS1_3repE0EEENS1_30default_config_static_selectorELNS0_4arch9wavefront6targetE0EEEvSY_,@function
_ZN7rocprim17ROCPRIM_400000_NS6detail17trampoline_kernelINS0_13select_configILj256ELj13ELNS0_17block_load_methodE3ELS4_3ELS4_3ELNS0_20block_scan_algorithmE0ELj4294967295EEENS1_25partition_config_selectorILNS1_17partition_subalgoE3EjNS0_10empty_typeEbEEZZNS1_14partition_implILS8_3ELb0ES6_jNS0_17counting_iteratorIjlEEPS9_SE_NS0_5tupleIJPjSE_EEENSF_IJSE_SE_EEES9_SG_JZNS1_25segmented_radix_sort_implINS0_14default_configELb1EPKaPaPKlPlN2at6native12_GLOBAL__N_18offset_tEEE10hipError_tPvRmT1_PNSt15iterator_traitsISY_E10value_typeET2_T3_PNSZ_IS14_E10value_typeET4_jRbjT5_S1A_jjP12ihipStream_tbEUljE_EEESV_SW_SX_S14_S18_S1A_T6_T7_T9_mT8_S1C_bDpT10_ENKUlT_T0_E_clISt17integral_constantIbLb0EES1P_EEDaS1K_S1L_EUlS1K_E_NS1_11comp_targetILNS1_3genE0ELNS1_11target_archE4294967295ELNS1_3gpuE0ELNS1_3repE0EEENS1_30default_config_static_selectorELNS0_4arch9wavefront6targetE0EEEvSY_: ; @_ZN7rocprim17ROCPRIM_400000_NS6detail17trampoline_kernelINS0_13select_configILj256ELj13ELNS0_17block_load_methodE3ELS4_3ELS4_3ELNS0_20block_scan_algorithmE0ELj4294967295EEENS1_25partition_config_selectorILNS1_17partition_subalgoE3EjNS0_10empty_typeEbEEZZNS1_14partition_implILS8_3ELb0ES6_jNS0_17counting_iteratorIjlEEPS9_SE_NS0_5tupleIJPjSE_EEENSF_IJSE_SE_EEES9_SG_JZNS1_25segmented_radix_sort_implINS0_14default_configELb1EPKaPaPKlPlN2at6native12_GLOBAL__N_18offset_tEEE10hipError_tPvRmT1_PNSt15iterator_traitsISY_E10value_typeET2_T3_PNSZ_IS14_E10value_typeET4_jRbjT5_S1A_jjP12ihipStream_tbEUljE_EEESV_SW_SX_S14_S18_S1A_T6_T7_T9_mT8_S1C_bDpT10_ENKUlT_T0_E_clISt17integral_constantIbLb0EES1P_EEDaS1K_S1L_EUlS1K_E_NS1_11comp_targetILNS1_3genE0ELNS1_11target_archE4294967295ELNS1_3gpuE0ELNS1_3repE0EEENS1_30default_config_static_selectorELNS0_4arch9wavefront6targetE0EEEvSY_
; %bb.0:
	.section	.rodata,"a",@progbits
	.p2align	6, 0x0
	.amdhsa_kernel _ZN7rocprim17ROCPRIM_400000_NS6detail17trampoline_kernelINS0_13select_configILj256ELj13ELNS0_17block_load_methodE3ELS4_3ELS4_3ELNS0_20block_scan_algorithmE0ELj4294967295EEENS1_25partition_config_selectorILNS1_17partition_subalgoE3EjNS0_10empty_typeEbEEZZNS1_14partition_implILS8_3ELb0ES6_jNS0_17counting_iteratorIjlEEPS9_SE_NS0_5tupleIJPjSE_EEENSF_IJSE_SE_EEES9_SG_JZNS1_25segmented_radix_sort_implINS0_14default_configELb1EPKaPaPKlPlN2at6native12_GLOBAL__N_18offset_tEEE10hipError_tPvRmT1_PNSt15iterator_traitsISY_E10value_typeET2_T3_PNSZ_IS14_E10value_typeET4_jRbjT5_S1A_jjP12ihipStream_tbEUljE_EEESV_SW_SX_S14_S18_S1A_T6_T7_T9_mT8_S1C_bDpT10_ENKUlT_T0_E_clISt17integral_constantIbLb0EES1P_EEDaS1K_S1L_EUlS1K_E_NS1_11comp_targetILNS1_3genE0ELNS1_11target_archE4294967295ELNS1_3gpuE0ELNS1_3repE0EEENS1_30default_config_static_selectorELNS0_4arch9wavefront6targetE0EEEvSY_
		.amdhsa_group_segment_fixed_size 0
		.amdhsa_private_segment_fixed_size 0
		.amdhsa_kernarg_size 144
		.amdhsa_user_sgpr_count 6
		.amdhsa_user_sgpr_private_segment_buffer 1
		.amdhsa_user_sgpr_dispatch_ptr 0
		.amdhsa_user_sgpr_queue_ptr 0
		.amdhsa_user_sgpr_kernarg_segment_ptr 1
		.amdhsa_user_sgpr_dispatch_id 0
		.amdhsa_user_sgpr_flat_scratch_init 0
		.amdhsa_user_sgpr_private_segment_size 0
		.amdhsa_wavefront_size32 1
		.amdhsa_uses_dynamic_stack 0
		.amdhsa_system_sgpr_private_segment_wavefront_offset 0
		.amdhsa_system_sgpr_workgroup_id_x 1
		.amdhsa_system_sgpr_workgroup_id_y 0
		.amdhsa_system_sgpr_workgroup_id_z 0
		.amdhsa_system_sgpr_workgroup_info 0
		.amdhsa_system_vgpr_workitem_id 0
		.amdhsa_next_free_vgpr 1
		.amdhsa_next_free_sgpr 1
		.amdhsa_reserve_vcc 0
		.amdhsa_reserve_flat_scratch 0
		.amdhsa_float_round_mode_32 0
		.amdhsa_float_round_mode_16_64 0
		.amdhsa_float_denorm_mode_32 3
		.amdhsa_float_denorm_mode_16_64 3
		.amdhsa_dx10_clamp 1
		.amdhsa_ieee_mode 1
		.amdhsa_fp16_overflow 0
		.amdhsa_workgroup_processor_mode 1
		.amdhsa_memory_ordered 1
		.amdhsa_forward_progress 1
		.amdhsa_shared_vgpr_count 0
		.amdhsa_exception_fp_ieee_invalid_op 0
		.amdhsa_exception_fp_denorm_src 0
		.amdhsa_exception_fp_ieee_div_zero 0
		.amdhsa_exception_fp_ieee_overflow 0
		.amdhsa_exception_fp_ieee_underflow 0
		.amdhsa_exception_fp_ieee_inexact 0
		.amdhsa_exception_int_div_zero 0
	.end_amdhsa_kernel
	.section	.text._ZN7rocprim17ROCPRIM_400000_NS6detail17trampoline_kernelINS0_13select_configILj256ELj13ELNS0_17block_load_methodE3ELS4_3ELS4_3ELNS0_20block_scan_algorithmE0ELj4294967295EEENS1_25partition_config_selectorILNS1_17partition_subalgoE3EjNS0_10empty_typeEbEEZZNS1_14partition_implILS8_3ELb0ES6_jNS0_17counting_iteratorIjlEEPS9_SE_NS0_5tupleIJPjSE_EEENSF_IJSE_SE_EEES9_SG_JZNS1_25segmented_radix_sort_implINS0_14default_configELb1EPKaPaPKlPlN2at6native12_GLOBAL__N_18offset_tEEE10hipError_tPvRmT1_PNSt15iterator_traitsISY_E10value_typeET2_T3_PNSZ_IS14_E10value_typeET4_jRbjT5_S1A_jjP12ihipStream_tbEUljE_EEESV_SW_SX_S14_S18_S1A_T6_T7_T9_mT8_S1C_bDpT10_ENKUlT_T0_E_clISt17integral_constantIbLb0EES1P_EEDaS1K_S1L_EUlS1K_E_NS1_11comp_targetILNS1_3genE0ELNS1_11target_archE4294967295ELNS1_3gpuE0ELNS1_3repE0EEENS1_30default_config_static_selectorELNS0_4arch9wavefront6targetE0EEEvSY_,"axG",@progbits,_ZN7rocprim17ROCPRIM_400000_NS6detail17trampoline_kernelINS0_13select_configILj256ELj13ELNS0_17block_load_methodE3ELS4_3ELS4_3ELNS0_20block_scan_algorithmE0ELj4294967295EEENS1_25partition_config_selectorILNS1_17partition_subalgoE3EjNS0_10empty_typeEbEEZZNS1_14partition_implILS8_3ELb0ES6_jNS0_17counting_iteratorIjlEEPS9_SE_NS0_5tupleIJPjSE_EEENSF_IJSE_SE_EEES9_SG_JZNS1_25segmented_radix_sort_implINS0_14default_configELb1EPKaPaPKlPlN2at6native12_GLOBAL__N_18offset_tEEE10hipError_tPvRmT1_PNSt15iterator_traitsISY_E10value_typeET2_T3_PNSZ_IS14_E10value_typeET4_jRbjT5_S1A_jjP12ihipStream_tbEUljE_EEESV_SW_SX_S14_S18_S1A_T6_T7_T9_mT8_S1C_bDpT10_ENKUlT_T0_E_clISt17integral_constantIbLb0EES1P_EEDaS1K_S1L_EUlS1K_E_NS1_11comp_targetILNS1_3genE0ELNS1_11target_archE4294967295ELNS1_3gpuE0ELNS1_3repE0EEENS1_30default_config_static_selectorELNS0_4arch9wavefront6targetE0EEEvSY_,comdat
.Lfunc_end256:
	.size	_ZN7rocprim17ROCPRIM_400000_NS6detail17trampoline_kernelINS0_13select_configILj256ELj13ELNS0_17block_load_methodE3ELS4_3ELS4_3ELNS0_20block_scan_algorithmE0ELj4294967295EEENS1_25partition_config_selectorILNS1_17partition_subalgoE3EjNS0_10empty_typeEbEEZZNS1_14partition_implILS8_3ELb0ES6_jNS0_17counting_iteratorIjlEEPS9_SE_NS0_5tupleIJPjSE_EEENSF_IJSE_SE_EEES9_SG_JZNS1_25segmented_radix_sort_implINS0_14default_configELb1EPKaPaPKlPlN2at6native12_GLOBAL__N_18offset_tEEE10hipError_tPvRmT1_PNSt15iterator_traitsISY_E10value_typeET2_T3_PNSZ_IS14_E10value_typeET4_jRbjT5_S1A_jjP12ihipStream_tbEUljE_EEESV_SW_SX_S14_S18_S1A_T6_T7_T9_mT8_S1C_bDpT10_ENKUlT_T0_E_clISt17integral_constantIbLb0EES1P_EEDaS1K_S1L_EUlS1K_E_NS1_11comp_targetILNS1_3genE0ELNS1_11target_archE4294967295ELNS1_3gpuE0ELNS1_3repE0EEENS1_30default_config_static_selectorELNS0_4arch9wavefront6targetE0EEEvSY_, .Lfunc_end256-_ZN7rocprim17ROCPRIM_400000_NS6detail17trampoline_kernelINS0_13select_configILj256ELj13ELNS0_17block_load_methodE3ELS4_3ELS4_3ELNS0_20block_scan_algorithmE0ELj4294967295EEENS1_25partition_config_selectorILNS1_17partition_subalgoE3EjNS0_10empty_typeEbEEZZNS1_14partition_implILS8_3ELb0ES6_jNS0_17counting_iteratorIjlEEPS9_SE_NS0_5tupleIJPjSE_EEENSF_IJSE_SE_EEES9_SG_JZNS1_25segmented_radix_sort_implINS0_14default_configELb1EPKaPaPKlPlN2at6native12_GLOBAL__N_18offset_tEEE10hipError_tPvRmT1_PNSt15iterator_traitsISY_E10value_typeET2_T3_PNSZ_IS14_E10value_typeET4_jRbjT5_S1A_jjP12ihipStream_tbEUljE_EEESV_SW_SX_S14_S18_S1A_T6_T7_T9_mT8_S1C_bDpT10_ENKUlT_T0_E_clISt17integral_constantIbLb0EES1P_EEDaS1K_S1L_EUlS1K_E_NS1_11comp_targetILNS1_3genE0ELNS1_11target_archE4294967295ELNS1_3gpuE0ELNS1_3repE0EEENS1_30default_config_static_selectorELNS0_4arch9wavefront6targetE0EEEvSY_
                                        ; -- End function
	.set _ZN7rocprim17ROCPRIM_400000_NS6detail17trampoline_kernelINS0_13select_configILj256ELj13ELNS0_17block_load_methodE3ELS4_3ELS4_3ELNS0_20block_scan_algorithmE0ELj4294967295EEENS1_25partition_config_selectorILNS1_17partition_subalgoE3EjNS0_10empty_typeEbEEZZNS1_14partition_implILS8_3ELb0ES6_jNS0_17counting_iteratorIjlEEPS9_SE_NS0_5tupleIJPjSE_EEENSF_IJSE_SE_EEES9_SG_JZNS1_25segmented_radix_sort_implINS0_14default_configELb1EPKaPaPKlPlN2at6native12_GLOBAL__N_18offset_tEEE10hipError_tPvRmT1_PNSt15iterator_traitsISY_E10value_typeET2_T3_PNSZ_IS14_E10value_typeET4_jRbjT5_S1A_jjP12ihipStream_tbEUljE_EEESV_SW_SX_S14_S18_S1A_T6_T7_T9_mT8_S1C_bDpT10_ENKUlT_T0_E_clISt17integral_constantIbLb0EES1P_EEDaS1K_S1L_EUlS1K_E_NS1_11comp_targetILNS1_3genE0ELNS1_11target_archE4294967295ELNS1_3gpuE0ELNS1_3repE0EEENS1_30default_config_static_selectorELNS0_4arch9wavefront6targetE0EEEvSY_.num_vgpr, 0
	.set _ZN7rocprim17ROCPRIM_400000_NS6detail17trampoline_kernelINS0_13select_configILj256ELj13ELNS0_17block_load_methodE3ELS4_3ELS4_3ELNS0_20block_scan_algorithmE0ELj4294967295EEENS1_25partition_config_selectorILNS1_17partition_subalgoE3EjNS0_10empty_typeEbEEZZNS1_14partition_implILS8_3ELb0ES6_jNS0_17counting_iteratorIjlEEPS9_SE_NS0_5tupleIJPjSE_EEENSF_IJSE_SE_EEES9_SG_JZNS1_25segmented_radix_sort_implINS0_14default_configELb1EPKaPaPKlPlN2at6native12_GLOBAL__N_18offset_tEEE10hipError_tPvRmT1_PNSt15iterator_traitsISY_E10value_typeET2_T3_PNSZ_IS14_E10value_typeET4_jRbjT5_S1A_jjP12ihipStream_tbEUljE_EEESV_SW_SX_S14_S18_S1A_T6_T7_T9_mT8_S1C_bDpT10_ENKUlT_T0_E_clISt17integral_constantIbLb0EES1P_EEDaS1K_S1L_EUlS1K_E_NS1_11comp_targetILNS1_3genE0ELNS1_11target_archE4294967295ELNS1_3gpuE0ELNS1_3repE0EEENS1_30default_config_static_selectorELNS0_4arch9wavefront6targetE0EEEvSY_.num_agpr, 0
	.set _ZN7rocprim17ROCPRIM_400000_NS6detail17trampoline_kernelINS0_13select_configILj256ELj13ELNS0_17block_load_methodE3ELS4_3ELS4_3ELNS0_20block_scan_algorithmE0ELj4294967295EEENS1_25partition_config_selectorILNS1_17partition_subalgoE3EjNS0_10empty_typeEbEEZZNS1_14partition_implILS8_3ELb0ES6_jNS0_17counting_iteratorIjlEEPS9_SE_NS0_5tupleIJPjSE_EEENSF_IJSE_SE_EEES9_SG_JZNS1_25segmented_radix_sort_implINS0_14default_configELb1EPKaPaPKlPlN2at6native12_GLOBAL__N_18offset_tEEE10hipError_tPvRmT1_PNSt15iterator_traitsISY_E10value_typeET2_T3_PNSZ_IS14_E10value_typeET4_jRbjT5_S1A_jjP12ihipStream_tbEUljE_EEESV_SW_SX_S14_S18_S1A_T6_T7_T9_mT8_S1C_bDpT10_ENKUlT_T0_E_clISt17integral_constantIbLb0EES1P_EEDaS1K_S1L_EUlS1K_E_NS1_11comp_targetILNS1_3genE0ELNS1_11target_archE4294967295ELNS1_3gpuE0ELNS1_3repE0EEENS1_30default_config_static_selectorELNS0_4arch9wavefront6targetE0EEEvSY_.numbered_sgpr, 0
	.set _ZN7rocprim17ROCPRIM_400000_NS6detail17trampoline_kernelINS0_13select_configILj256ELj13ELNS0_17block_load_methodE3ELS4_3ELS4_3ELNS0_20block_scan_algorithmE0ELj4294967295EEENS1_25partition_config_selectorILNS1_17partition_subalgoE3EjNS0_10empty_typeEbEEZZNS1_14partition_implILS8_3ELb0ES6_jNS0_17counting_iteratorIjlEEPS9_SE_NS0_5tupleIJPjSE_EEENSF_IJSE_SE_EEES9_SG_JZNS1_25segmented_radix_sort_implINS0_14default_configELb1EPKaPaPKlPlN2at6native12_GLOBAL__N_18offset_tEEE10hipError_tPvRmT1_PNSt15iterator_traitsISY_E10value_typeET2_T3_PNSZ_IS14_E10value_typeET4_jRbjT5_S1A_jjP12ihipStream_tbEUljE_EEESV_SW_SX_S14_S18_S1A_T6_T7_T9_mT8_S1C_bDpT10_ENKUlT_T0_E_clISt17integral_constantIbLb0EES1P_EEDaS1K_S1L_EUlS1K_E_NS1_11comp_targetILNS1_3genE0ELNS1_11target_archE4294967295ELNS1_3gpuE0ELNS1_3repE0EEENS1_30default_config_static_selectorELNS0_4arch9wavefront6targetE0EEEvSY_.num_named_barrier, 0
	.set _ZN7rocprim17ROCPRIM_400000_NS6detail17trampoline_kernelINS0_13select_configILj256ELj13ELNS0_17block_load_methodE3ELS4_3ELS4_3ELNS0_20block_scan_algorithmE0ELj4294967295EEENS1_25partition_config_selectorILNS1_17partition_subalgoE3EjNS0_10empty_typeEbEEZZNS1_14partition_implILS8_3ELb0ES6_jNS0_17counting_iteratorIjlEEPS9_SE_NS0_5tupleIJPjSE_EEENSF_IJSE_SE_EEES9_SG_JZNS1_25segmented_radix_sort_implINS0_14default_configELb1EPKaPaPKlPlN2at6native12_GLOBAL__N_18offset_tEEE10hipError_tPvRmT1_PNSt15iterator_traitsISY_E10value_typeET2_T3_PNSZ_IS14_E10value_typeET4_jRbjT5_S1A_jjP12ihipStream_tbEUljE_EEESV_SW_SX_S14_S18_S1A_T6_T7_T9_mT8_S1C_bDpT10_ENKUlT_T0_E_clISt17integral_constantIbLb0EES1P_EEDaS1K_S1L_EUlS1K_E_NS1_11comp_targetILNS1_3genE0ELNS1_11target_archE4294967295ELNS1_3gpuE0ELNS1_3repE0EEENS1_30default_config_static_selectorELNS0_4arch9wavefront6targetE0EEEvSY_.private_seg_size, 0
	.set _ZN7rocprim17ROCPRIM_400000_NS6detail17trampoline_kernelINS0_13select_configILj256ELj13ELNS0_17block_load_methodE3ELS4_3ELS4_3ELNS0_20block_scan_algorithmE0ELj4294967295EEENS1_25partition_config_selectorILNS1_17partition_subalgoE3EjNS0_10empty_typeEbEEZZNS1_14partition_implILS8_3ELb0ES6_jNS0_17counting_iteratorIjlEEPS9_SE_NS0_5tupleIJPjSE_EEENSF_IJSE_SE_EEES9_SG_JZNS1_25segmented_radix_sort_implINS0_14default_configELb1EPKaPaPKlPlN2at6native12_GLOBAL__N_18offset_tEEE10hipError_tPvRmT1_PNSt15iterator_traitsISY_E10value_typeET2_T3_PNSZ_IS14_E10value_typeET4_jRbjT5_S1A_jjP12ihipStream_tbEUljE_EEESV_SW_SX_S14_S18_S1A_T6_T7_T9_mT8_S1C_bDpT10_ENKUlT_T0_E_clISt17integral_constantIbLb0EES1P_EEDaS1K_S1L_EUlS1K_E_NS1_11comp_targetILNS1_3genE0ELNS1_11target_archE4294967295ELNS1_3gpuE0ELNS1_3repE0EEENS1_30default_config_static_selectorELNS0_4arch9wavefront6targetE0EEEvSY_.uses_vcc, 0
	.set _ZN7rocprim17ROCPRIM_400000_NS6detail17trampoline_kernelINS0_13select_configILj256ELj13ELNS0_17block_load_methodE3ELS4_3ELS4_3ELNS0_20block_scan_algorithmE0ELj4294967295EEENS1_25partition_config_selectorILNS1_17partition_subalgoE3EjNS0_10empty_typeEbEEZZNS1_14partition_implILS8_3ELb0ES6_jNS0_17counting_iteratorIjlEEPS9_SE_NS0_5tupleIJPjSE_EEENSF_IJSE_SE_EEES9_SG_JZNS1_25segmented_radix_sort_implINS0_14default_configELb1EPKaPaPKlPlN2at6native12_GLOBAL__N_18offset_tEEE10hipError_tPvRmT1_PNSt15iterator_traitsISY_E10value_typeET2_T3_PNSZ_IS14_E10value_typeET4_jRbjT5_S1A_jjP12ihipStream_tbEUljE_EEESV_SW_SX_S14_S18_S1A_T6_T7_T9_mT8_S1C_bDpT10_ENKUlT_T0_E_clISt17integral_constantIbLb0EES1P_EEDaS1K_S1L_EUlS1K_E_NS1_11comp_targetILNS1_3genE0ELNS1_11target_archE4294967295ELNS1_3gpuE0ELNS1_3repE0EEENS1_30default_config_static_selectorELNS0_4arch9wavefront6targetE0EEEvSY_.uses_flat_scratch, 0
	.set _ZN7rocprim17ROCPRIM_400000_NS6detail17trampoline_kernelINS0_13select_configILj256ELj13ELNS0_17block_load_methodE3ELS4_3ELS4_3ELNS0_20block_scan_algorithmE0ELj4294967295EEENS1_25partition_config_selectorILNS1_17partition_subalgoE3EjNS0_10empty_typeEbEEZZNS1_14partition_implILS8_3ELb0ES6_jNS0_17counting_iteratorIjlEEPS9_SE_NS0_5tupleIJPjSE_EEENSF_IJSE_SE_EEES9_SG_JZNS1_25segmented_radix_sort_implINS0_14default_configELb1EPKaPaPKlPlN2at6native12_GLOBAL__N_18offset_tEEE10hipError_tPvRmT1_PNSt15iterator_traitsISY_E10value_typeET2_T3_PNSZ_IS14_E10value_typeET4_jRbjT5_S1A_jjP12ihipStream_tbEUljE_EEESV_SW_SX_S14_S18_S1A_T6_T7_T9_mT8_S1C_bDpT10_ENKUlT_T0_E_clISt17integral_constantIbLb0EES1P_EEDaS1K_S1L_EUlS1K_E_NS1_11comp_targetILNS1_3genE0ELNS1_11target_archE4294967295ELNS1_3gpuE0ELNS1_3repE0EEENS1_30default_config_static_selectorELNS0_4arch9wavefront6targetE0EEEvSY_.has_dyn_sized_stack, 0
	.set _ZN7rocprim17ROCPRIM_400000_NS6detail17trampoline_kernelINS0_13select_configILj256ELj13ELNS0_17block_load_methodE3ELS4_3ELS4_3ELNS0_20block_scan_algorithmE0ELj4294967295EEENS1_25partition_config_selectorILNS1_17partition_subalgoE3EjNS0_10empty_typeEbEEZZNS1_14partition_implILS8_3ELb0ES6_jNS0_17counting_iteratorIjlEEPS9_SE_NS0_5tupleIJPjSE_EEENSF_IJSE_SE_EEES9_SG_JZNS1_25segmented_radix_sort_implINS0_14default_configELb1EPKaPaPKlPlN2at6native12_GLOBAL__N_18offset_tEEE10hipError_tPvRmT1_PNSt15iterator_traitsISY_E10value_typeET2_T3_PNSZ_IS14_E10value_typeET4_jRbjT5_S1A_jjP12ihipStream_tbEUljE_EEESV_SW_SX_S14_S18_S1A_T6_T7_T9_mT8_S1C_bDpT10_ENKUlT_T0_E_clISt17integral_constantIbLb0EES1P_EEDaS1K_S1L_EUlS1K_E_NS1_11comp_targetILNS1_3genE0ELNS1_11target_archE4294967295ELNS1_3gpuE0ELNS1_3repE0EEENS1_30default_config_static_selectorELNS0_4arch9wavefront6targetE0EEEvSY_.has_recursion, 0
	.set _ZN7rocprim17ROCPRIM_400000_NS6detail17trampoline_kernelINS0_13select_configILj256ELj13ELNS0_17block_load_methodE3ELS4_3ELS4_3ELNS0_20block_scan_algorithmE0ELj4294967295EEENS1_25partition_config_selectorILNS1_17partition_subalgoE3EjNS0_10empty_typeEbEEZZNS1_14partition_implILS8_3ELb0ES6_jNS0_17counting_iteratorIjlEEPS9_SE_NS0_5tupleIJPjSE_EEENSF_IJSE_SE_EEES9_SG_JZNS1_25segmented_radix_sort_implINS0_14default_configELb1EPKaPaPKlPlN2at6native12_GLOBAL__N_18offset_tEEE10hipError_tPvRmT1_PNSt15iterator_traitsISY_E10value_typeET2_T3_PNSZ_IS14_E10value_typeET4_jRbjT5_S1A_jjP12ihipStream_tbEUljE_EEESV_SW_SX_S14_S18_S1A_T6_T7_T9_mT8_S1C_bDpT10_ENKUlT_T0_E_clISt17integral_constantIbLb0EES1P_EEDaS1K_S1L_EUlS1K_E_NS1_11comp_targetILNS1_3genE0ELNS1_11target_archE4294967295ELNS1_3gpuE0ELNS1_3repE0EEENS1_30default_config_static_selectorELNS0_4arch9wavefront6targetE0EEEvSY_.has_indirect_call, 0
	.section	.AMDGPU.csdata,"",@progbits
; Kernel info:
; codeLenInByte = 0
; TotalNumSgprs: 0
; NumVgprs: 0
; ScratchSize: 0
; MemoryBound: 0
; FloatMode: 240
; IeeeMode: 1
; LDSByteSize: 0 bytes/workgroup (compile time only)
; SGPRBlocks: 0
; VGPRBlocks: 0
; NumSGPRsForWavesPerEU: 1
; NumVGPRsForWavesPerEU: 1
; Occupancy: 16
; WaveLimiterHint : 0
; COMPUTE_PGM_RSRC2:SCRATCH_EN: 0
; COMPUTE_PGM_RSRC2:USER_SGPR: 6
; COMPUTE_PGM_RSRC2:TRAP_HANDLER: 0
; COMPUTE_PGM_RSRC2:TGID_X_EN: 1
; COMPUTE_PGM_RSRC2:TGID_Y_EN: 0
; COMPUTE_PGM_RSRC2:TGID_Z_EN: 0
; COMPUTE_PGM_RSRC2:TIDIG_COMP_CNT: 0
	.section	.text._ZN7rocprim17ROCPRIM_400000_NS6detail17trampoline_kernelINS0_13select_configILj256ELj13ELNS0_17block_load_methodE3ELS4_3ELS4_3ELNS0_20block_scan_algorithmE0ELj4294967295EEENS1_25partition_config_selectorILNS1_17partition_subalgoE3EjNS0_10empty_typeEbEEZZNS1_14partition_implILS8_3ELb0ES6_jNS0_17counting_iteratorIjlEEPS9_SE_NS0_5tupleIJPjSE_EEENSF_IJSE_SE_EEES9_SG_JZNS1_25segmented_radix_sort_implINS0_14default_configELb1EPKaPaPKlPlN2at6native12_GLOBAL__N_18offset_tEEE10hipError_tPvRmT1_PNSt15iterator_traitsISY_E10value_typeET2_T3_PNSZ_IS14_E10value_typeET4_jRbjT5_S1A_jjP12ihipStream_tbEUljE_EEESV_SW_SX_S14_S18_S1A_T6_T7_T9_mT8_S1C_bDpT10_ENKUlT_T0_E_clISt17integral_constantIbLb0EES1P_EEDaS1K_S1L_EUlS1K_E_NS1_11comp_targetILNS1_3genE5ELNS1_11target_archE942ELNS1_3gpuE9ELNS1_3repE0EEENS1_30default_config_static_selectorELNS0_4arch9wavefront6targetE0EEEvSY_,"axG",@progbits,_ZN7rocprim17ROCPRIM_400000_NS6detail17trampoline_kernelINS0_13select_configILj256ELj13ELNS0_17block_load_methodE3ELS4_3ELS4_3ELNS0_20block_scan_algorithmE0ELj4294967295EEENS1_25partition_config_selectorILNS1_17partition_subalgoE3EjNS0_10empty_typeEbEEZZNS1_14partition_implILS8_3ELb0ES6_jNS0_17counting_iteratorIjlEEPS9_SE_NS0_5tupleIJPjSE_EEENSF_IJSE_SE_EEES9_SG_JZNS1_25segmented_radix_sort_implINS0_14default_configELb1EPKaPaPKlPlN2at6native12_GLOBAL__N_18offset_tEEE10hipError_tPvRmT1_PNSt15iterator_traitsISY_E10value_typeET2_T3_PNSZ_IS14_E10value_typeET4_jRbjT5_S1A_jjP12ihipStream_tbEUljE_EEESV_SW_SX_S14_S18_S1A_T6_T7_T9_mT8_S1C_bDpT10_ENKUlT_T0_E_clISt17integral_constantIbLb0EES1P_EEDaS1K_S1L_EUlS1K_E_NS1_11comp_targetILNS1_3genE5ELNS1_11target_archE942ELNS1_3gpuE9ELNS1_3repE0EEENS1_30default_config_static_selectorELNS0_4arch9wavefront6targetE0EEEvSY_,comdat
	.globl	_ZN7rocprim17ROCPRIM_400000_NS6detail17trampoline_kernelINS0_13select_configILj256ELj13ELNS0_17block_load_methodE3ELS4_3ELS4_3ELNS0_20block_scan_algorithmE0ELj4294967295EEENS1_25partition_config_selectorILNS1_17partition_subalgoE3EjNS0_10empty_typeEbEEZZNS1_14partition_implILS8_3ELb0ES6_jNS0_17counting_iteratorIjlEEPS9_SE_NS0_5tupleIJPjSE_EEENSF_IJSE_SE_EEES9_SG_JZNS1_25segmented_radix_sort_implINS0_14default_configELb1EPKaPaPKlPlN2at6native12_GLOBAL__N_18offset_tEEE10hipError_tPvRmT1_PNSt15iterator_traitsISY_E10value_typeET2_T3_PNSZ_IS14_E10value_typeET4_jRbjT5_S1A_jjP12ihipStream_tbEUljE_EEESV_SW_SX_S14_S18_S1A_T6_T7_T9_mT8_S1C_bDpT10_ENKUlT_T0_E_clISt17integral_constantIbLb0EES1P_EEDaS1K_S1L_EUlS1K_E_NS1_11comp_targetILNS1_3genE5ELNS1_11target_archE942ELNS1_3gpuE9ELNS1_3repE0EEENS1_30default_config_static_selectorELNS0_4arch9wavefront6targetE0EEEvSY_ ; -- Begin function _ZN7rocprim17ROCPRIM_400000_NS6detail17trampoline_kernelINS0_13select_configILj256ELj13ELNS0_17block_load_methodE3ELS4_3ELS4_3ELNS0_20block_scan_algorithmE0ELj4294967295EEENS1_25partition_config_selectorILNS1_17partition_subalgoE3EjNS0_10empty_typeEbEEZZNS1_14partition_implILS8_3ELb0ES6_jNS0_17counting_iteratorIjlEEPS9_SE_NS0_5tupleIJPjSE_EEENSF_IJSE_SE_EEES9_SG_JZNS1_25segmented_radix_sort_implINS0_14default_configELb1EPKaPaPKlPlN2at6native12_GLOBAL__N_18offset_tEEE10hipError_tPvRmT1_PNSt15iterator_traitsISY_E10value_typeET2_T3_PNSZ_IS14_E10value_typeET4_jRbjT5_S1A_jjP12ihipStream_tbEUljE_EEESV_SW_SX_S14_S18_S1A_T6_T7_T9_mT8_S1C_bDpT10_ENKUlT_T0_E_clISt17integral_constantIbLb0EES1P_EEDaS1K_S1L_EUlS1K_E_NS1_11comp_targetILNS1_3genE5ELNS1_11target_archE942ELNS1_3gpuE9ELNS1_3repE0EEENS1_30default_config_static_selectorELNS0_4arch9wavefront6targetE0EEEvSY_
	.p2align	8
	.type	_ZN7rocprim17ROCPRIM_400000_NS6detail17trampoline_kernelINS0_13select_configILj256ELj13ELNS0_17block_load_methodE3ELS4_3ELS4_3ELNS0_20block_scan_algorithmE0ELj4294967295EEENS1_25partition_config_selectorILNS1_17partition_subalgoE3EjNS0_10empty_typeEbEEZZNS1_14partition_implILS8_3ELb0ES6_jNS0_17counting_iteratorIjlEEPS9_SE_NS0_5tupleIJPjSE_EEENSF_IJSE_SE_EEES9_SG_JZNS1_25segmented_radix_sort_implINS0_14default_configELb1EPKaPaPKlPlN2at6native12_GLOBAL__N_18offset_tEEE10hipError_tPvRmT1_PNSt15iterator_traitsISY_E10value_typeET2_T3_PNSZ_IS14_E10value_typeET4_jRbjT5_S1A_jjP12ihipStream_tbEUljE_EEESV_SW_SX_S14_S18_S1A_T6_T7_T9_mT8_S1C_bDpT10_ENKUlT_T0_E_clISt17integral_constantIbLb0EES1P_EEDaS1K_S1L_EUlS1K_E_NS1_11comp_targetILNS1_3genE5ELNS1_11target_archE942ELNS1_3gpuE9ELNS1_3repE0EEENS1_30default_config_static_selectorELNS0_4arch9wavefront6targetE0EEEvSY_,@function
_ZN7rocprim17ROCPRIM_400000_NS6detail17trampoline_kernelINS0_13select_configILj256ELj13ELNS0_17block_load_methodE3ELS4_3ELS4_3ELNS0_20block_scan_algorithmE0ELj4294967295EEENS1_25partition_config_selectorILNS1_17partition_subalgoE3EjNS0_10empty_typeEbEEZZNS1_14partition_implILS8_3ELb0ES6_jNS0_17counting_iteratorIjlEEPS9_SE_NS0_5tupleIJPjSE_EEENSF_IJSE_SE_EEES9_SG_JZNS1_25segmented_radix_sort_implINS0_14default_configELb1EPKaPaPKlPlN2at6native12_GLOBAL__N_18offset_tEEE10hipError_tPvRmT1_PNSt15iterator_traitsISY_E10value_typeET2_T3_PNSZ_IS14_E10value_typeET4_jRbjT5_S1A_jjP12ihipStream_tbEUljE_EEESV_SW_SX_S14_S18_S1A_T6_T7_T9_mT8_S1C_bDpT10_ENKUlT_T0_E_clISt17integral_constantIbLb0EES1P_EEDaS1K_S1L_EUlS1K_E_NS1_11comp_targetILNS1_3genE5ELNS1_11target_archE942ELNS1_3gpuE9ELNS1_3repE0EEENS1_30default_config_static_selectorELNS0_4arch9wavefront6targetE0EEEvSY_: ; @_ZN7rocprim17ROCPRIM_400000_NS6detail17trampoline_kernelINS0_13select_configILj256ELj13ELNS0_17block_load_methodE3ELS4_3ELS4_3ELNS0_20block_scan_algorithmE0ELj4294967295EEENS1_25partition_config_selectorILNS1_17partition_subalgoE3EjNS0_10empty_typeEbEEZZNS1_14partition_implILS8_3ELb0ES6_jNS0_17counting_iteratorIjlEEPS9_SE_NS0_5tupleIJPjSE_EEENSF_IJSE_SE_EEES9_SG_JZNS1_25segmented_radix_sort_implINS0_14default_configELb1EPKaPaPKlPlN2at6native12_GLOBAL__N_18offset_tEEE10hipError_tPvRmT1_PNSt15iterator_traitsISY_E10value_typeET2_T3_PNSZ_IS14_E10value_typeET4_jRbjT5_S1A_jjP12ihipStream_tbEUljE_EEESV_SW_SX_S14_S18_S1A_T6_T7_T9_mT8_S1C_bDpT10_ENKUlT_T0_E_clISt17integral_constantIbLb0EES1P_EEDaS1K_S1L_EUlS1K_E_NS1_11comp_targetILNS1_3genE5ELNS1_11target_archE942ELNS1_3gpuE9ELNS1_3repE0EEENS1_30default_config_static_selectorELNS0_4arch9wavefront6targetE0EEEvSY_
; %bb.0:
	.section	.rodata,"a",@progbits
	.p2align	6, 0x0
	.amdhsa_kernel _ZN7rocprim17ROCPRIM_400000_NS6detail17trampoline_kernelINS0_13select_configILj256ELj13ELNS0_17block_load_methodE3ELS4_3ELS4_3ELNS0_20block_scan_algorithmE0ELj4294967295EEENS1_25partition_config_selectorILNS1_17partition_subalgoE3EjNS0_10empty_typeEbEEZZNS1_14partition_implILS8_3ELb0ES6_jNS0_17counting_iteratorIjlEEPS9_SE_NS0_5tupleIJPjSE_EEENSF_IJSE_SE_EEES9_SG_JZNS1_25segmented_radix_sort_implINS0_14default_configELb1EPKaPaPKlPlN2at6native12_GLOBAL__N_18offset_tEEE10hipError_tPvRmT1_PNSt15iterator_traitsISY_E10value_typeET2_T3_PNSZ_IS14_E10value_typeET4_jRbjT5_S1A_jjP12ihipStream_tbEUljE_EEESV_SW_SX_S14_S18_S1A_T6_T7_T9_mT8_S1C_bDpT10_ENKUlT_T0_E_clISt17integral_constantIbLb0EES1P_EEDaS1K_S1L_EUlS1K_E_NS1_11comp_targetILNS1_3genE5ELNS1_11target_archE942ELNS1_3gpuE9ELNS1_3repE0EEENS1_30default_config_static_selectorELNS0_4arch9wavefront6targetE0EEEvSY_
		.amdhsa_group_segment_fixed_size 0
		.amdhsa_private_segment_fixed_size 0
		.amdhsa_kernarg_size 144
		.amdhsa_user_sgpr_count 6
		.amdhsa_user_sgpr_private_segment_buffer 1
		.amdhsa_user_sgpr_dispatch_ptr 0
		.amdhsa_user_sgpr_queue_ptr 0
		.amdhsa_user_sgpr_kernarg_segment_ptr 1
		.amdhsa_user_sgpr_dispatch_id 0
		.amdhsa_user_sgpr_flat_scratch_init 0
		.amdhsa_user_sgpr_private_segment_size 0
		.amdhsa_wavefront_size32 1
		.amdhsa_uses_dynamic_stack 0
		.amdhsa_system_sgpr_private_segment_wavefront_offset 0
		.amdhsa_system_sgpr_workgroup_id_x 1
		.amdhsa_system_sgpr_workgroup_id_y 0
		.amdhsa_system_sgpr_workgroup_id_z 0
		.amdhsa_system_sgpr_workgroup_info 0
		.amdhsa_system_vgpr_workitem_id 0
		.amdhsa_next_free_vgpr 1
		.amdhsa_next_free_sgpr 1
		.amdhsa_reserve_vcc 0
		.amdhsa_reserve_flat_scratch 0
		.amdhsa_float_round_mode_32 0
		.amdhsa_float_round_mode_16_64 0
		.amdhsa_float_denorm_mode_32 3
		.amdhsa_float_denorm_mode_16_64 3
		.amdhsa_dx10_clamp 1
		.amdhsa_ieee_mode 1
		.amdhsa_fp16_overflow 0
		.amdhsa_workgroup_processor_mode 1
		.amdhsa_memory_ordered 1
		.amdhsa_forward_progress 1
		.amdhsa_shared_vgpr_count 0
		.amdhsa_exception_fp_ieee_invalid_op 0
		.amdhsa_exception_fp_denorm_src 0
		.amdhsa_exception_fp_ieee_div_zero 0
		.amdhsa_exception_fp_ieee_overflow 0
		.amdhsa_exception_fp_ieee_underflow 0
		.amdhsa_exception_fp_ieee_inexact 0
		.amdhsa_exception_int_div_zero 0
	.end_amdhsa_kernel
	.section	.text._ZN7rocprim17ROCPRIM_400000_NS6detail17trampoline_kernelINS0_13select_configILj256ELj13ELNS0_17block_load_methodE3ELS4_3ELS4_3ELNS0_20block_scan_algorithmE0ELj4294967295EEENS1_25partition_config_selectorILNS1_17partition_subalgoE3EjNS0_10empty_typeEbEEZZNS1_14partition_implILS8_3ELb0ES6_jNS0_17counting_iteratorIjlEEPS9_SE_NS0_5tupleIJPjSE_EEENSF_IJSE_SE_EEES9_SG_JZNS1_25segmented_radix_sort_implINS0_14default_configELb1EPKaPaPKlPlN2at6native12_GLOBAL__N_18offset_tEEE10hipError_tPvRmT1_PNSt15iterator_traitsISY_E10value_typeET2_T3_PNSZ_IS14_E10value_typeET4_jRbjT5_S1A_jjP12ihipStream_tbEUljE_EEESV_SW_SX_S14_S18_S1A_T6_T7_T9_mT8_S1C_bDpT10_ENKUlT_T0_E_clISt17integral_constantIbLb0EES1P_EEDaS1K_S1L_EUlS1K_E_NS1_11comp_targetILNS1_3genE5ELNS1_11target_archE942ELNS1_3gpuE9ELNS1_3repE0EEENS1_30default_config_static_selectorELNS0_4arch9wavefront6targetE0EEEvSY_,"axG",@progbits,_ZN7rocprim17ROCPRIM_400000_NS6detail17trampoline_kernelINS0_13select_configILj256ELj13ELNS0_17block_load_methodE3ELS4_3ELS4_3ELNS0_20block_scan_algorithmE0ELj4294967295EEENS1_25partition_config_selectorILNS1_17partition_subalgoE3EjNS0_10empty_typeEbEEZZNS1_14partition_implILS8_3ELb0ES6_jNS0_17counting_iteratorIjlEEPS9_SE_NS0_5tupleIJPjSE_EEENSF_IJSE_SE_EEES9_SG_JZNS1_25segmented_radix_sort_implINS0_14default_configELb1EPKaPaPKlPlN2at6native12_GLOBAL__N_18offset_tEEE10hipError_tPvRmT1_PNSt15iterator_traitsISY_E10value_typeET2_T3_PNSZ_IS14_E10value_typeET4_jRbjT5_S1A_jjP12ihipStream_tbEUljE_EEESV_SW_SX_S14_S18_S1A_T6_T7_T9_mT8_S1C_bDpT10_ENKUlT_T0_E_clISt17integral_constantIbLb0EES1P_EEDaS1K_S1L_EUlS1K_E_NS1_11comp_targetILNS1_3genE5ELNS1_11target_archE942ELNS1_3gpuE9ELNS1_3repE0EEENS1_30default_config_static_selectorELNS0_4arch9wavefront6targetE0EEEvSY_,comdat
.Lfunc_end257:
	.size	_ZN7rocprim17ROCPRIM_400000_NS6detail17trampoline_kernelINS0_13select_configILj256ELj13ELNS0_17block_load_methodE3ELS4_3ELS4_3ELNS0_20block_scan_algorithmE0ELj4294967295EEENS1_25partition_config_selectorILNS1_17partition_subalgoE3EjNS0_10empty_typeEbEEZZNS1_14partition_implILS8_3ELb0ES6_jNS0_17counting_iteratorIjlEEPS9_SE_NS0_5tupleIJPjSE_EEENSF_IJSE_SE_EEES9_SG_JZNS1_25segmented_radix_sort_implINS0_14default_configELb1EPKaPaPKlPlN2at6native12_GLOBAL__N_18offset_tEEE10hipError_tPvRmT1_PNSt15iterator_traitsISY_E10value_typeET2_T3_PNSZ_IS14_E10value_typeET4_jRbjT5_S1A_jjP12ihipStream_tbEUljE_EEESV_SW_SX_S14_S18_S1A_T6_T7_T9_mT8_S1C_bDpT10_ENKUlT_T0_E_clISt17integral_constantIbLb0EES1P_EEDaS1K_S1L_EUlS1K_E_NS1_11comp_targetILNS1_3genE5ELNS1_11target_archE942ELNS1_3gpuE9ELNS1_3repE0EEENS1_30default_config_static_selectorELNS0_4arch9wavefront6targetE0EEEvSY_, .Lfunc_end257-_ZN7rocprim17ROCPRIM_400000_NS6detail17trampoline_kernelINS0_13select_configILj256ELj13ELNS0_17block_load_methodE3ELS4_3ELS4_3ELNS0_20block_scan_algorithmE0ELj4294967295EEENS1_25partition_config_selectorILNS1_17partition_subalgoE3EjNS0_10empty_typeEbEEZZNS1_14partition_implILS8_3ELb0ES6_jNS0_17counting_iteratorIjlEEPS9_SE_NS0_5tupleIJPjSE_EEENSF_IJSE_SE_EEES9_SG_JZNS1_25segmented_radix_sort_implINS0_14default_configELb1EPKaPaPKlPlN2at6native12_GLOBAL__N_18offset_tEEE10hipError_tPvRmT1_PNSt15iterator_traitsISY_E10value_typeET2_T3_PNSZ_IS14_E10value_typeET4_jRbjT5_S1A_jjP12ihipStream_tbEUljE_EEESV_SW_SX_S14_S18_S1A_T6_T7_T9_mT8_S1C_bDpT10_ENKUlT_T0_E_clISt17integral_constantIbLb0EES1P_EEDaS1K_S1L_EUlS1K_E_NS1_11comp_targetILNS1_3genE5ELNS1_11target_archE942ELNS1_3gpuE9ELNS1_3repE0EEENS1_30default_config_static_selectorELNS0_4arch9wavefront6targetE0EEEvSY_
                                        ; -- End function
	.set _ZN7rocprim17ROCPRIM_400000_NS6detail17trampoline_kernelINS0_13select_configILj256ELj13ELNS0_17block_load_methodE3ELS4_3ELS4_3ELNS0_20block_scan_algorithmE0ELj4294967295EEENS1_25partition_config_selectorILNS1_17partition_subalgoE3EjNS0_10empty_typeEbEEZZNS1_14partition_implILS8_3ELb0ES6_jNS0_17counting_iteratorIjlEEPS9_SE_NS0_5tupleIJPjSE_EEENSF_IJSE_SE_EEES9_SG_JZNS1_25segmented_radix_sort_implINS0_14default_configELb1EPKaPaPKlPlN2at6native12_GLOBAL__N_18offset_tEEE10hipError_tPvRmT1_PNSt15iterator_traitsISY_E10value_typeET2_T3_PNSZ_IS14_E10value_typeET4_jRbjT5_S1A_jjP12ihipStream_tbEUljE_EEESV_SW_SX_S14_S18_S1A_T6_T7_T9_mT8_S1C_bDpT10_ENKUlT_T0_E_clISt17integral_constantIbLb0EES1P_EEDaS1K_S1L_EUlS1K_E_NS1_11comp_targetILNS1_3genE5ELNS1_11target_archE942ELNS1_3gpuE9ELNS1_3repE0EEENS1_30default_config_static_selectorELNS0_4arch9wavefront6targetE0EEEvSY_.num_vgpr, 0
	.set _ZN7rocprim17ROCPRIM_400000_NS6detail17trampoline_kernelINS0_13select_configILj256ELj13ELNS0_17block_load_methodE3ELS4_3ELS4_3ELNS0_20block_scan_algorithmE0ELj4294967295EEENS1_25partition_config_selectorILNS1_17partition_subalgoE3EjNS0_10empty_typeEbEEZZNS1_14partition_implILS8_3ELb0ES6_jNS0_17counting_iteratorIjlEEPS9_SE_NS0_5tupleIJPjSE_EEENSF_IJSE_SE_EEES9_SG_JZNS1_25segmented_radix_sort_implINS0_14default_configELb1EPKaPaPKlPlN2at6native12_GLOBAL__N_18offset_tEEE10hipError_tPvRmT1_PNSt15iterator_traitsISY_E10value_typeET2_T3_PNSZ_IS14_E10value_typeET4_jRbjT5_S1A_jjP12ihipStream_tbEUljE_EEESV_SW_SX_S14_S18_S1A_T6_T7_T9_mT8_S1C_bDpT10_ENKUlT_T0_E_clISt17integral_constantIbLb0EES1P_EEDaS1K_S1L_EUlS1K_E_NS1_11comp_targetILNS1_3genE5ELNS1_11target_archE942ELNS1_3gpuE9ELNS1_3repE0EEENS1_30default_config_static_selectorELNS0_4arch9wavefront6targetE0EEEvSY_.num_agpr, 0
	.set _ZN7rocprim17ROCPRIM_400000_NS6detail17trampoline_kernelINS0_13select_configILj256ELj13ELNS0_17block_load_methodE3ELS4_3ELS4_3ELNS0_20block_scan_algorithmE0ELj4294967295EEENS1_25partition_config_selectorILNS1_17partition_subalgoE3EjNS0_10empty_typeEbEEZZNS1_14partition_implILS8_3ELb0ES6_jNS0_17counting_iteratorIjlEEPS9_SE_NS0_5tupleIJPjSE_EEENSF_IJSE_SE_EEES9_SG_JZNS1_25segmented_radix_sort_implINS0_14default_configELb1EPKaPaPKlPlN2at6native12_GLOBAL__N_18offset_tEEE10hipError_tPvRmT1_PNSt15iterator_traitsISY_E10value_typeET2_T3_PNSZ_IS14_E10value_typeET4_jRbjT5_S1A_jjP12ihipStream_tbEUljE_EEESV_SW_SX_S14_S18_S1A_T6_T7_T9_mT8_S1C_bDpT10_ENKUlT_T0_E_clISt17integral_constantIbLb0EES1P_EEDaS1K_S1L_EUlS1K_E_NS1_11comp_targetILNS1_3genE5ELNS1_11target_archE942ELNS1_3gpuE9ELNS1_3repE0EEENS1_30default_config_static_selectorELNS0_4arch9wavefront6targetE0EEEvSY_.numbered_sgpr, 0
	.set _ZN7rocprim17ROCPRIM_400000_NS6detail17trampoline_kernelINS0_13select_configILj256ELj13ELNS0_17block_load_methodE3ELS4_3ELS4_3ELNS0_20block_scan_algorithmE0ELj4294967295EEENS1_25partition_config_selectorILNS1_17partition_subalgoE3EjNS0_10empty_typeEbEEZZNS1_14partition_implILS8_3ELb0ES6_jNS0_17counting_iteratorIjlEEPS9_SE_NS0_5tupleIJPjSE_EEENSF_IJSE_SE_EEES9_SG_JZNS1_25segmented_radix_sort_implINS0_14default_configELb1EPKaPaPKlPlN2at6native12_GLOBAL__N_18offset_tEEE10hipError_tPvRmT1_PNSt15iterator_traitsISY_E10value_typeET2_T3_PNSZ_IS14_E10value_typeET4_jRbjT5_S1A_jjP12ihipStream_tbEUljE_EEESV_SW_SX_S14_S18_S1A_T6_T7_T9_mT8_S1C_bDpT10_ENKUlT_T0_E_clISt17integral_constantIbLb0EES1P_EEDaS1K_S1L_EUlS1K_E_NS1_11comp_targetILNS1_3genE5ELNS1_11target_archE942ELNS1_3gpuE9ELNS1_3repE0EEENS1_30default_config_static_selectorELNS0_4arch9wavefront6targetE0EEEvSY_.num_named_barrier, 0
	.set _ZN7rocprim17ROCPRIM_400000_NS6detail17trampoline_kernelINS0_13select_configILj256ELj13ELNS0_17block_load_methodE3ELS4_3ELS4_3ELNS0_20block_scan_algorithmE0ELj4294967295EEENS1_25partition_config_selectorILNS1_17partition_subalgoE3EjNS0_10empty_typeEbEEZZNS1_14partition_implILS8_3ELb0ES6_jNS0_17counting_iteratorIjlEEPS9_SE_NS0_5tupleIJPjSE_EEENSF_IJSE_SE_EEES9_SG_JZNS1_25segmented_radix_sort_implINS0_14default_configELb1EPKaPaPKlPlN2at6native12_GLOBAL__N_18offset_tEEE10hipError_tPvRmT1_PNSt15iterator_traitsISY_E10value_typeET2_T3_PNSZ_IS14_E10value_typeET4_jRbjT5_S1A_jjP12ihipStream_tbEUljE_EEESV_SW_SX_S14_S18_S1A_T6_T7_T9_mT8_S1C_bDpT10_ENKUlT_T0_E_clISt17integral_constantIbLb0EES1P_EEDaS1K_S1L_EUlS1K_E_NS1_11comp_targetILNS1_3genE5ELNS1_11target_archE942ELNS1_3gpuE9ELNS1_3repE0EEENS1_30default_config_static_selectorELNS0_4arch9wavefront6targetE0EEEvSY_.private_seg_size, 0
	.set _ZN7rocprim17ROCPRIM_400000_NS6detail17trampoline_kernelINS0_13select_configILj256ELj13ELNS0_17block_load_methodE3ELS4_3ELS4_3ELNS0_20block_scan_algorithmE0ELj4294967295EEENS1_25partition_config_selectorILNS1_17partition_subalgoE3EjNS0_10empty_typeEbEEZZNS1_14partition_implILS8_3ELb0ES6_jNS0_17counting_iteratorIjlEEPS9_SE_NS0_5tupleIJPjSE_EEENSF_IJSE_SE_EEES9_SG_JZNS1_25segmented_radix_sort_implINS0_14default_configELb1EPKaPaPKlPlN2at6native12_GLOBAL__N_18offset_tEEE10hipError_tPvRmT1_PNSt15iterator_traitsISY_E10value_typeET2_T3_PNSZ_IS14_E10value_typeET4_jRbjT5_S1A_jjP12ihipStream_tbEUljE_EEESV_SW_SX_S14_S18_S1A_T6_T7_T9_mT8_S1C_bDpT10_ENKUlT_T0_E_clISt17integral_constantIbLb0EES1P_EEDaS1K_S1L_EUlS1K_E_NS1_11comp_targetILNS1_3genE5ELNS1_11target_archE942ELNS1_3gpuE9ELNS1_3repE0EEENS1_30default_config_static_selectorELNS0_4arch9wavefront6targetE0EEEvSY_.uses_vcc, 0
	.set _ZN7rocprim17ROCPRIM_400000_NS6detail17trampoline_kernelINS0_13select_configILj256ELj13ELNS0_17block_load_methodE3ELS4_3ELS4_3ELNS0_20block_scan_algorithmE0ELj4294967295EEENS1_25partition_config_selectorILNS1_17partition_subalgoE3EjNS0_10empty_typeEbEEZZNS1_14partition_implILS8_3ELb0ES6_jNS0_17counting_iteratorIjlEEPS9_SE_NS0_5tupleIJPjSE_EEENSF_IJSE_SE_EEES9_SG_JZNS1_25segmented_radix_sort_implINS0_14default_configELb1EPKaPaPKlPlN2at6native12_GLOBAL__N_18offset_tEEE10hipError_tPvRmT1_PNSt15iterator_traitsISY_E10value_typeET2_T3_PNSZ_IS14_E10value_typeET4_jRbjT5_S1A_jjP12ihipStream_tbEUljE_EEESV_SW_SX_S14_S18_S1A_T6_T7_T9_mT8_S1C_bDpT10_ENKUlT_T0_E_clISt17integral_constantIbLb0EES1P_EEDaS1K_S1L_EUlS1K_E_NS1_11comp_targetILNS1_3genE5ELNS1_11target_archE942ELNS1_3gpuE9ELNS1_3repE0EEENS1_30default_config_static_selectorELNS0_4arch9wavefront6targetE0EEEvSY_.uses_flat_scratch, 0
	.set _ZN7rocprim17ROCPRIM_400000_NS6detail17trampoline_kernelINS0_13select_configILj256ELj13ELNS0_17block_load_methodE3ELS4_3ELS4_3ELNS0_20block_scan_algorithmE0ELj4294967295EEENS1_25partition_config_selectorILNS1_17partition_subalgoE3EjNS0_10empty_typeEbEEZZNS1_14partition_implILS8_3ELb0ES6_jNS0_17counting_iteratorIjlEEPS9_SE_NS0_5tupleIJPjSE_EEENSF_IJSE_SE_EEES9_SG_JZNS1_25segmented_radix_sort_implINS0_14default_configELb1EPKaPaPKlPlN2at6native12_GLOBAL__N_18offset_tEEE10hipError_tPvRmT1_PNSt15iterator_traitsISY_E10value_typeET2_T3_PNSZ_IS14_E10value_typeET4_jRbjT5_S1A_jjP12ihipStream_tbEUljE_EEESV_SW_SX_S14_S18_S1A_T6_T7_T9_mT8_S1C_bDpT10_ENKUlT_T0_E_clISt17integral_constantIbLb0EES1P_EEDaS1K_S1L_EUlS1K_E_NS1_11comp_targetILNS1_3genE5ELNS1_11target_archE942ELNS1_3gpuE9ELNS1_3repE0EEENS1_30default_config_static_selectorELNS0_4arch9wavefront6targetE0EEEvSY_.has_dyn_sized_stack, 0
	.set _ZN7rocprim17ROCPRIM_400000_NS6detail17trampoline_kernelINS0_13select_configILj256ELj13ELNS0_17block_load_methodE3ELS4_3ELS4_3ELNS0_20block_scan_algorithmE0ELj4294967295EEENS1_25partition_config_selectorILNS1_17partition_subalgoE3EjNS0_10empty_typeEbEEZZNS1_14partition_implILS8_3ELb0ES6_jNS0_17counting_iteratorIjlEEPS9_SE_NS0_5tupleIJPjSE_EEENSF_IJSE_SE_EEES9_SG_JZNS1_25segmented_radix_sort_implINS0_14default_configELb1EPKaPaPKlPlN2at6native12_GLOBAL__N_18offset_tEEE10hipError_tPvRmT1_PNSt15iterator_traitsISY_E10value_typeET2_T3_PNSZ_IS14_E10value_typeET4_jRbjT5_S1A_jjP12ihipStream_tbEUljE_EEESV_SW_SX_S14_S18_S1A_T6_T7_T9_mT8_S1C_bDpT10_ENKUlT_T0_E_clISt17integral_constantIbLb0EES1P_EEDaS1K_S1L_EUlS1K_E_NS1_11comp_targetILNS1_3genE5ELNS1_11target_archE942ELNS1_3gpuE9ELNS1_3repE0EEENS1_30default_config_static_selectorELNS0_4arch9wavefront6targetE0EEEvSY_.has_recursion, 0
	.set _ZN7rocprim17ROCPRIM_400000_NS6detail17trampoline_kernelINS0_13select_configILj256ELj13ELNS0_17block_load_methodE3ELS4_3ELS4_3ELNS0_20block_scan_algorithmE0ELj4294967295EEENS1_25partition_config_selectorILNS1_17partition_subalgoE3EjNS0_10empty_typeEbEEZZNS1_14partition_implILS8_3ELb0ES6_jNS0_17counting_iteratorIjlEEPS9_SE_NS0_5tupleIJPjSE_EEENSF_IJSE_SE_EEES9_SG_JZNS1_25segmented_radix_sort_implINS0_14default_configELb1EPKaPaPKlPlN2at6native12_GLOBAL__N_18offset_tEEE10hipError_tPvRmT1_PNSt15iterator_traitsISY_E10value_typeET2_T3_PNSZ_IS14_E10value_typeET4_jRbjT5_S1A_jjP12ihipStream_tbEUljE_EEESV_SW_SX_S14_S18_S1A_T6_T7_T9_mT8_S1C_bDpT10_ENKUlT_T0_E_clISt17integral_constantIbLb0EES1P_EEDaS1K_S1L_EUlS1K_E_NS1_11comp_targetILNS1_3genE5ELNS1_11target_archE942ELNS1_3gpuE9ELNS1_3repE0EEENS1_30default_config_static_selectorELNS0_4arch9wavefront6targetE0EEEvSY_.has_indirect_call, 0
	.section	.AMDGPU.csdata,"",@progbits
; Kernel info:
; codeLenInByte = 0
; TotalNumSgprs: 0
; NumVgprs: 0
; ScratchSize: 0
; MemoryBound: 0
; FloatMode: 240
; IeeeMode: 1
; LDSByteSize: 0 bytes/workgroup (compile time only)
; SGPRBlocks: 0
; VGPRBlocks: 0
; NumSGPRsForWavesPerEU: 1
; NumVGPRsForWavesPerEU: 1
; Occupancy: 16
; WaveLimiterHint : 0
; COMPUTE_PGM_RSRC2:SCRATCH_EN: 0
; COMPUTE_PGM_RSRC2:USER_SGPR: 6
; COMPUTE_PGM_RSRC2:TRAP_HANDLER: 0
; COMPUTE_PGM_RSRC2:TGID_X_EN: 1
; COMPUTE_PGM_RSRC2:TGID_Y_EN: 0
; COMPUTE_PGM_RSRC2:TGID_Z_EN: 0
; COMPUTE_PGM_RSRC2:TIDIG_COMP_CNT: 0
	.section	.text._ZN7rocprim17ROCPRIM_400000_NS6detail17trampoline_kernelINS0_13select_configILj256ELj13ELNS0_17block_load_methodE3ELS4_3ELS4_3ELNS0_20block_scan_algorithmE0ELj4294967295EEENS1_25partition_config_selectorILNS1_17partition_subalgoE3EjNS0_10empty_typeEbEEZZNS1_14partition_implILS8_3ELb0ES6_jNS0_17counting_iteratorIjlEEPS9_SE_NS0_5tupleIJPjSE_EEENSF_IJSE_SE_EEES9_SG_JZNS1_25segmented_radix_sort_implINS0_14default_configELb1EPKaPaPKlPlN2at6native12_GLOBAL__N_18offset_tEEE10hipError_tPvRmT1_PNSt15iterator_traitsISY_E10value_typeET2_T3_PNSZ_IS14_E10value_typeET4_jRbjT5_S1A_jjP12ihipStream_tbEUljE_EEESV_SW_SX_S14_S18_S1A_T6_T7_T9_mT8_S1C_bDpT10_ENKUlT_T0_E_clISt17integral_constantIbLb0EES1P_EEDaS1K_S1L_EUlS1K_E_NS1_11comp_targetILNS1_3genE4ELNS1_11target_archE910ELNS1_3gpuE8ELNS1_3repE0EEENS1_30default_config_static_selectorELNS0_4arch9wavefront6targetE0EEEvSY_,"axG",@progbits,_ZN7rocprim17ROCPRIM_400000_NS6detail17trampoline_kernelINS0_13select_configILj256ELj13ELNS0_17block_load_methodE3ELS4_3ELS4_3ELNS0_20block_scan_algorithmE0ELj4294967295EEENS1_25partition_config_selectorILNS1_17partition_subalgoE3EjNS0_10empty_typeEbEEZZNS1_14partition_implILS8_3ELb0ES6_jNS0_17counting_iteratorIjlEEPS9_SE_NS0_5tupleIJPjSE_EEENSF_IJSE_SE_EEES9_SG_JZNS1_25segmented_radix_sort_implINS0_14default_configELb1EPKaPaPKlPlN2at6native12_GLOBAL__N_18offset_tEEE10hipError_tPvRmT1_PNSt15iterator_traitsISY_E10value_typeET2_T3_PNSZ_IS14_E10value_typeET4_jRbjT5_S1A_jjP12ihipStream_tbEUljE_EEESV_SW_SX_S14_S18_S1A_T6_T7_T9_mT8_S1C_bDpT10_ENKUlT_T0_E_clISt17integral_constantIbLb0EES1P_EEDaS1K_S1L_EUlS1K_E_NS1_11comp_targetILNS1_3genE4ELNS1_11target_archE910ELNS1_3gpuE8ELNS1_3repE0EEENS1_30default_config_static_selectorELNS0_4arch9wavefront6targetE0EEEvSY_,comdat
	.globl	_ZN7rocprim17ROCPRIM_400000_NS6detail17trampoline_kernelINS0_13select_configILj256ELj13ELNS0_17block_load_methodE3ELS4_3ELS4_3ELNS0_20block_scan_algorithmE0ELj4294967295EEENS1_25partition_config_selectorILNS1_17partition_subalgoE3EjNS0_10empty_typeEbEEZZNS1_14partition_implILS8_3ELb0ES6_jNS0_17counting_iteratorIjlEEPS9_SE_NS0_5tupleIJPjSE_EEENSF_IJSE_SE_EEES9_SG_JZNS1_25segmented_radix_sort_implINS0_14default_configELb1EPKaPaPKlPlN2at6native12_GLOBAL__N_18offset_tEEE10hipError_tPvRmT1_PNSt15iterator_traitsISY_E10value_typeET2_T3_PNSZ_IS14_E10value_typeET4_jRbjT5_S1A_jjP12ihipStream_tbEUljE_EEESV_SW_SX_S14_S18_S1A_T6_T7_T9_mT8_S1C_bDpT10_ENKUlT_T0_E_clISt17integral_constantIbLb0EES1P_EEDaS1K_S1L_EUlS1K_E_NS1_11comp_targetILNS1_3genE4ELNS1_11target_archE910ELNS1_3gpuE8ELNS1_3repE0EEENS1_30default_config_static_selectorELNS0_4arch9wavefront6targetE0EEEvSY_ ; -- Begin function _ZN7rocprim17ROCPRIM_400000_NS6detail17trampoline_kernelINS0_13select_configILj256ELj13ELNS0_17block_load_methodE3ELS4_3ELS4_3ELNS0_20block_scan_algorithmE0ELj4294967295EEENS1_25partition_config_selectorILNS1_17partition_subalgoE3EjNS0_10empty_typeEbEEZZNS1_14partition_implILS8_3ELb0ES6_jNS0_17counting_iteratorIjlEEPS9_SE_NS0_5tupleIJPjSE_EEENSF_IJSE_SE_EEES9_SG_JZNS1_25segmented_radix_sort_implINS0_14default_configELb1EPKaPaPKlPlN2at6native12_GLOBAL__N_18offset_tEEE10hipError_tPvRmT1_PNSt15iterator_traitsISY_E10value_typeET2_T3_PNSZ_IS14_E10value_typeET4_jRbjT5_S1A_jjP12ihipStream_tbEUljE_EEESV_SW_SX_S14_S18_S1A_T6_T7_T9_mT8_S1C_bDpT10_ENKUlT_T0_E_clISt17integral_constantIbLb0EES1P_EEDaS1K_S1L_EUlS1K_E_NS1_11comp_targetILNS1_3genE4ELNS1_11target_archE910ELNS1_3gpuE8ELNS1_3repE0EEENS1_30default_config_static_selectorELNS0_4arch9wavefront6targetE0EEEvSY_
	.p2align	8
	.type	_ZN7rocprim17ROCPRIM_400000_NS6detail17trampoline_kernelINS0_13select_configILj256ELj13ELNS0_17block_load_methodE3ELS4_3ELS4_3ELNS0_20block_scan_algorithmE0ELj4294967295EEENS1_25partition_config_selectorILNS1_17partition_subalgoE3EjNS0_10empty_typeEbEEZZNS1_14partition_implILS8_3ELb0ES6_jNS0_17counting_iteratorIjlEEPS9_SE_NS0_5tupleIJPjSE_EEENSF_IJSE_SE_EEES9_SG_JZNS1_25segmented_radix_sort_implINS0_14default_configELb1EPKaPaPKlPlN2at6native12_GLOBAL__N_18offset_tEEE10hipError_tPvRmT1_PNSt15iterator_traitsISY_E10value_typeET2_T3_PNSZ_IS14_E10value_typeET4_jRbjT5_S1A_jjP12ihipStream_tbEUljE_EEESV_SW_SX_S14_S18_S1A_T6_T7_T9_mT8_S1C_bDpT10_ENKUlT_T0_E_clISt17integral_constantIbLb0EES1P_EEDaS1K_S1L_EUlS1K_E_NS1_11comp_targetILNS1_3genE4ELNS1_11target_archE910ELNS1_3gpuE8ELNS1_3repE0EEENS1_30default_config_static_selectorELNS0_4arch9wavefront6targetE0EEEvSY_,@function
_ZN7rocprim17ROCPRIM_400000_NS6detail17trampoline_kernelINS0_13select_configILj256ELj13ELNS0_17block_load_methodE3ELS4_3ELS4_3ELNS0_20block_scan_algorithmE0ELj4294967295EEENS1_25partition_config_selectorILNS1_17partition_subalgoE3EjNS0_10empty_typeEbEEZZNS1_14partition_implILS8_3ELb0ES6_jNS0_17counting_iteratorIjlEEPS9_SE_NS0_5tupleIJPjSE_EEENSF_IJSE_SE_EEES9_SG_JZNS1_25segmented_radix_sort_implINS0_14default_configELb1EPKaPaPKlPlN2at6native12_GLOBAL__N_18offset_tEEE10hipError_tPvRmT1_PNSt15iterator_traitsISY_E10value_typeET2_T3_PNSZ_IS14_E10value_typeET4_jRbjT5_S1A_jjP12ihipStream_tbEUljE_EEESV_SW_SX_S14_S18_S1A_T6_T7_T9_mT8_S1C_bDpT10_ENKUlT_T0_E_clISt17integral_constantIbLb0EES1P_EEDaS1K_S1L_EUlS1K_E_NS1_11comp_targetILNS1_3genE4ELNS1_11target_archE910ELNS1_3gpuE8ELNS1_3repE0EEENS1_30default_config_static_selectorELNS0_4arch9wavefront6targetE0EEEvSY_: ; @_ZN7rocprim17ROCPRIM_400000_NS6detail17trampoline_kernelINS0_13select_configILj256ELj13ELNS0_17block_load_methodE3ELS4_3ELS4_3ELNS0_20block_scan_algorithmE0ELj4294967295EEENS1_25partition_config_selectorILNS1_17partition_subalgoE3EjNS0_10empty_typeEbEEZZNS1_14partition_implILS8_3ELb0ES6_jNS0_17counting_iteratorIjlEEPS9_SE_NS0_5tupleIJPjSE_EEENSF_IJSE_SE_EEES9_SG_JZNS1_25segmented_radix_sort_implINS0_14default_configELb1EPKaPaPKlPlN2at6native12_GLOBAL__N_18offset_tEEE10hipError_tPvRmT1_PNSt15iterator_traitsISY_E10value_typeET2_T3_PNSZ_IS14_E10value_typeET4_jRbjT5_S1A_jjP12ihipStream_tbEUljE_EEESV_SW_SX_S14_S18_S1A_T6_T7_T9_mT8_S1C_bDpT10_ENKUlT_T0_E_clISt17integral_constantIbLb0EES1P_EEDaS1K_S1L_EUlS1K_E_NS1_11comp_targetILNS1_3genE4ELNS1_11target_archE910ELNS1_3gpuE8ELNS1_3repE0EEENS1_30default_config_static_selectorELNS0_4arch9wavefront6targetE0EEEvSY_
; %bb.0:
	.section	.rodata,"a",@progbits
	.p2align	6, 0x0
	.amdhsa_kernel _ZN7rocprim17ROCPRIM_400000_NS6detail17trampoline_kernelINS0_13select_configILj256ELj13ELNS0_17block_load_methodE3ELS4_3ELS4_3ELNS0_20block_scan_algorithmE0ELj4294967295EEENS1_25partition_config_selectorILNS1_17partition_subalgoE3EjNS0_10empty_typeEbEEZZNS1_14partition_implILS8_3ELb0ES6_jNS0_17counting_iteratorIjlEEPS9_SE_NS0_5tupleIJPjSE_EEENSF_IJSE_SE_EEES9_SG_JZNS1_25segmented_radix_sort_implINS0_14default_configELb1EPKaPaPKlPlN2at6native12_GLOBAL__N_18offset_tEEE10hipError_tPvRmT1_PNSt15iterator_traitsISY_E10value_typeET2_T3_PNSZ_IS14_E10value_typeET4_jRbjT5_S1A_jjP12ihipStream_tbEUljE_EEESV_SW_SX_S14_S18_S1A_T6_T7_T9_mT8_S1C_bDpT10_ENKUlT_T0_E_clISt17integral_constantIbLb0EES1P_EEDaS1K_S1L_EUlS1K_E_NS1_11comp_targetILNS1_3genE4ELNS1_11target_archE910ELNS1_3gpuE8ELNS1_3repE0EEENS1_30default_config_static_selectorELNS0_4arch9wavefront6targetE0EEEvSY_
		.amdhsa_group_segment_fixed_size 0
		.amdhsa_private_segment_fixed_size 0
		.amdhsa_kernarg_size 144
		.amdhsa_user_sgpr_count 6
		.amdhsa_user_sgpr_private_segment_buffer 1
		.amdhsa_user_sgpr_dispatch_ptr 0
		.amdhsa_user_sgpr_queue_ptr 0
		.amdhsa_user_sgpr_kernarg_segment_ptr 1
		.amdhsa_user_sgpr_dispatch_id 0
		.amdhsa_user_sgpr_flat_scratch_init 0
		.amdhsa_user_sgpr_private_segment_size 0
		.amdhsa_wavefront_size32 1
		.amdhsa_uses_dynamic_stack 0
		.amdhsa_system_sgpr_private_segment_wavefront_offset 0
		.amdhsa_system_sgpr_workgroup_id_x 1
		.amdhsa_system_sgpr_workgroup_id_y 0
		.amdhsa_system_sgpr_workgroup_id_z 0
		.amdhsa_system_sgpr_workgroup_info 0
		.amdhsa_system_vgpr_workitem_id 0
		.amdhsa_next_free_vgpr 1
		.amdhsa_next_free_sgpr 1
		.amdhsa_reserve_vcc 0
		.amdhsa_reserve_flat_scratch 0
		.amdhsa_float_round_mode_32 0
		.amdhsa_float_round_mode_16_64 0
		.amdhsa_float_denorm_mode_32 3
		.amdhsa_float_denorm_mode_16_64 3
		.amdhsa_dx10_clamp 1
		.amdhsa_ieee_mode 1
		.amdhsa_fp16_overflow 0
		.amdhsa_workgroup_processor_mode 1
		.amdhsa_memory_ordered 1
		.amdhsa_forward_progress 1
		.amdhsa_shared_vgpr_count 0
		.amdhsa_exception_fp_ieee_invalid_op 0
		.amdhsa_exception_fp_denorm_src 0
		.amdhsa_exception_fp_ieee_div_zero 0
		.amdhsa_exception_fp_ieee_overflow 0
		.amdhsa_exception_fp_ieee_underflow 0
		.amdhsa_exception_fp_ieee_inexact 0
		.amdhsa_exception_int_div_zero 0
	.end_amdhsa_kernel
	.section	.text._ZN7rocprim17ROCPRIM_400000_NS6detail17trampoline_kernelINS0_13select_configILj256ELj13ELNS0_17block_load_methodE3ELS4_3ELS4_3ELNS0_20block_scan_algorithmE0ELj4294967295EEENS1_25partition_config_selectorILNS1_17partition_subalgoE3EjNS0_10empty_typeEbEEZZNS1_14partition_implILS8_3ELb0ES6_jNS0_17counting_iteratorIjlEEPS9_SE_NS0_5tupleIJPjSE_EEENSF_IJSE_SE_EEES9_SG_JZNS1_25segmented_radix_sort_implINS0_14default_configELb1EPKaPaPKlPlN2at6native12_GLOBAL__N_18offset_tEEE10hipError_tPvRmT1_PNSt15iterator_traitsISY_E10value_typeET2_T3_PNSZ_IS14_E10value_typeET4_jRbjT5_S1A_jjP12ihipStream_tbEUljE_EEESV_SW_SX_S14_S18_S1A_T6_T7_T9_mT8_S1C_bDpT10_ENKUlT_T0_E_clISt17integral_constantIbLb0EES1P_EEDaS1K_S1L_EUlS1K_E_NS1_11comp_targetILNS1_3genE4ELNS1_11target_archE910ELNS1_3gpuE8ELNS1_3repE0EEENS1_30default_config_static_selectorELNS0_4arch9wavefront6targetE0EEEvSY_,"axG",@progbits,_ZN7rocprim17ROCPRIM_400000_NS6detail17trampoline_kernelINS0_13select_configILj256ELj13ELNS0_17block_load_methodE3ELS4_3ELS4_3ELNS0_20block_scan_algorithmE0ELj4294967295EEENS1_25partition_config_selectorILNS1_17partition_subalgoE3EjNS0_10empty_typeEbEEZZNS1_14partition_implILS8_3ELb0ES6_jNS0_17counting_iteratorIjlEEPS9_SE_NS0_5tupleIJPjSE_EEENSF_IJSE_SE_EEES9_SG_JZNS1_25segmented_radix_sort_implINS0_14default_configELb1EPKaPaPKlPlN2at6native12_GLOBAL__N_18offset_tEEE10hipError_tPvRmT1_PNSt15iterator_traitsISY_E10value_typeET2_T3_PNSZ_IS14_E10value_typeET4_jRbjT5_S1A_jjP12ihipStream_tbEUljE_EEESV_SW_SX_S14_S18_S1A_T6_T7_T9_mT8_S1C_bDpT10_ENKUlT_T0_E_clISt17integral_constantIbLb0EES1P_EEDaS1K_S1L_EUlS1K_E_NS1_11comp_targetILNS1_3genE4ELNS1_11target_archE910ELNS1_3gpuE8ELNS1_3repE0EEENS1_30default_config_static_selectorELNS0_4arch9wavefront6targetE0EEEvSY_,comdat
.Lfunc_end258:
	.size	_ZN7rocprim17ROCPRIM_400000_NS6detail17trampoline_kernelINS0_13select_configILj256ELj13ELNS0_17block_load_methodE3ELS4_3ELS4_3ELNS0_20block_scan_algorithmE0ELj4294967295EEENS1_25partition_config_selectorILNS1_17partition_subalgoE3EjNS0_10empty_typeEbEEZZNS1_14partition_implILS8_3ELb0ES6_jNS0_17counting_iteratorIjlEEPS9_SE_NS0_5tupleIJPjSE_EEENSF_IJSE_SE_EEES9_SG_JZNS1_25segmented_radix_sort_implINS0_14default_configELb1EPKaPaPKlPlN2at6native12_GLOBAL__N_18offset_tEEE10hipError_tPvRmT1_PNSt15iterator_traitsISY_E10value_typeET2_T3_PNSZ_IS14_E10value_typeET4_jRbjT5_S1A_jjP12ihipStream_tbEUljE_EEESV_SW_SX_S14_S18_S1A_T6_T7_T9_mT8_S1C_bDpT10_ENKUlT_T0_E_clISt17integral_constantIbLb0EES1P_EEDaS1K_S1L_EUlS1K_E_NS1_11comp_targetILNS1_3genE4ELNS1_11target_archE910ELNS1_3gpuE8ELNS1_3repE0EEENS1_30default_config_static_selectorELNS0_4arch9wavefront6targetE0EEEvSY_, .Lfunc_end258-_ZN7rocprim17ROCPRIM_400000_NS6detail17trampoline_kernelINS0_13select_configILj256ELj13ELNS0_17block_load_methodE3ELS4_3ELS4_3ELNS0_20block_scan_algorithmE0ELj4294967295EEENS1_25partition_config_selectorILNS1_17partition_subalgoE3EjNS0_10empty_typeEbEEZZNS1_14partition_implILS8_3ELb0ES6_jNS0_17counting_iteratorIjlEEPS9_SE_NS0_5tupleIJPjSE_EEENSF_IJSE_SE_EEES9_SG_JZNS1_25segmented_radix_sort_implINS0_14default_configELb1EPKaPaPKlPlN2at6native12_GLOBAL__N_18offset_tEEE10hipError_tPvRmT1_PNSt15iterator_traitsISY_E10value_typeET2_T3_PNSZ_IS14_E10value_typeET4_jRbjT5_S1A_jjP12ihipStream_tbEUljE_EEESV_SW_SX_S14_S18_S1A_T6_T7_T9_mT8_S1C_bDpT10_ENKUlT_T0_E_clISt17integral_constantIbLb0EES1P_EEDaS1K_S1L_EUlS1K_E_NS1_11comp_targetILNS1_3genE4ELNS1_11target_archE910ELNS1_3gpuE8ELNS1_3repE0EEENS1_30default_config_static_selectorELNS0_4arch9wavefront6targetE0EEEvSY_
                                        ; -- End function
	.set _ZN7rocprim17ROCPRIM_400000_NS6detail17trampoline_kernelINS0_13select_configILj256ELj13ELNS0_17block_load_methodE3ELS4_3ELS4_3ELNS0_20block_scan_algorithmE0ELj4294967295EEENS1_25partition_config_selectorILNS1_17partition_subalgoE3EjNS0_10empty_typeEbEEZZNS1_14partition_implILS8_3ELb0ES6_jNS0_17counting_iteratorIjlEEPS9_SE_NS0_5tupleIJPjSE_EEENSF_IJSE_SE_EEES9_SG_JZNS1_25segmented_radix_sort_implINS0_14default_configELb1EPKaPaPKlPlN2at6native12_GLOBAL__N_18offset_tEEE10hipError_tPvRmT1_PNSt15iterator_traitsISY_E10value_typeET2_T3_PNSZ_IS14_E10value_typeET4_jRbjT5_S1A_jjP12ihipStream_tbEUljE_EEESV_SW_SX_S14_S18_S1A_T6_T7_T9_mT8_S1C_bDpT10_ENKUlT_T0_E_clISt17integral_constantIbLb0EES1P_EEDaS1K_S1L_EUlS1K_E_NS1_11comp_targetILNS1_3genE4ELNS1_11target_archE910ELNS1_3gpuE8ELNS1_3repE0EEENS1_30default_config_static_selectorELNS0_4arch9wavefront6targetE0EEEvSY_.num_vgpr, 0
	.set _ZN7rocprim17ROCPRIM_400000_NS6detail17trampoline_kernelINS0_13select_configILj256ELj13ELNS0_17block_load_methodE3ELS4_3ELS4_3ELNS0_20block_scan_algorithmE0ELj4294967295EEENS1_25partition_config_selectorILNS1_17partition_subalgoE3EjNS0_10empty_typeEbEEZZNS1_14partition_implILS8_3ELb0ES6_jNS0_17counting_iteratorIjlEEPS9_SE_NS0_5tupleIJPjSE_EEENSF_IJSE_SE_EEES9_SG_JZNS1_25segmented_radix_sort_implINS0_14default_configELb1EPKaPaPKlPlN2at6native12_GLOBAL__N_18offset_tEEE10hipError_tPvRmT1_PNSt15iterator_traitsISY_E10value_typeET2_T3_PNSZ_IS14_E10value_typeET4_jRbjT5_S1A_jjP12ihipStream_tbEUljE_EEESV_SW_SX_S14_S18_S1A_T6_T7_T9_mT8_S1C_bDpT10_ENKUlT_T0_E_clISt17integral_constantIbLb0EES1P_EEDaS1K_S1L_EUlS1K_E_NS1_11comp_targetILNS1_3genE4ELNS1_11target_archE910ELNS1_3gpuE8ELNS1_3repE0EEENS1_30default_config_static_selectorELNS0_4arch9wavefront6targetE0EEEvSY_.num_agpr, 0
	.set _ZN7rocprim17ROCPRIM_400000_NS6detail17trampoline_kernelINS0_13select_configILj256ELj13ELNS0_17block_load_methodE3ELS4_3ELS4_3ELNS0_20block_scan_algorithmE0ELj4294967295EEENS1_25partition_config_selectorILNS1_17partition_subalgoE3EjNS0_10empty_typeEbEEZZNS1_14partition_implILS8_3ELb0ES6_jNS0_17counting_iteratorIjlEEPS9_SE_NS0_5tupleIJPjSE_EEENSF_IJSE_SE_EEES9_SG_JZNS1_25segmented_radix_sort_implINS0_14default_configELb1EPKaPaPKlPlN2at6native12_GLOBAL__N_18offset_tEEE10hipError_tPvRmT1_PNSt15iterator_traitsISY_E10value_typeET2_T3_PNSZ_IS14_E10value_typeET4_jRbjT5_S1A_jjP12ihipStream_tbEUljE_EEESV_SW_SX_S14_S18_S1A_T6_T7_T9_mT8_S1C_bDpT10_ENKUlT_T0_E_clISt17integral_constantIbLb0EES1P_EEDaS1K_S1L_EUlS1K_E_NS1_11comp_targetILNS1_3genE4ELNS1_11target_archE910ELNS1_3gpuE8ELNS1_3repE0EEENS1_30default_config_static_selectorELNS0_4arch9wavefront6targetE0EEEvSY_.numbered_sgpr, 0
	.set _ZN7rocprim17ROCPRIM_400000_NS6detail17trampoline_kernelINS0_13select_configILj256ELj13ELNS0_17block_load_methodE3ELS4_3ELS4_3ELNS0_20block_scan_algorithmE0ELj4294967295EEENS1_25partition_config_selectorILNS1_17partition_subalgoE3EjNS0_10empty_typeEbEEZZNS1_14partition_implILS8_3ELb0ES6_jNS0_17counting_iteratorIjlEEPS9_SE_NS0_5tupleIJPjSE_EEENSF_IJSE_SE_EEES9_SG_JZNS1_25segmented_radix_sort_implINS0_14default_configELb1EPKaPaPKlPlN2at6native12_GLOBAL__N_18offset_tEEE10hipError_tPvRmT1_PNSt15iterator_traitsISY_E10value_typeET2_T3_PNSZ_IS14_E10value_typeET4_jRbjT5_S1A_jjP12ihipStream_tbEUljE_EEESV_SW_SX_S14_S18_S1A_T6_T7_T9_mT8_S1C_bDpT10_ENKUlT_T0_E_clISt17integral_constantIbLb0EES1P_EEDaS1K_S1L_EUlS1K_E_NS1_11comp_targetILNS1_3genE4ELNS1_11target_archE910ELNS1_3gpuE8ELNS1_3repE0EEENS1_30default_config_static_selectorELNS0_4arch9wavefront6targetE0EEEvSY_.num_named_barrier, 0
	.set _ZN7rocprim17ROCPRIM_400000_NS6detail17trampoline_kernelINS0_13select_configILj256ELj13ELNS0_17block_load_methodE3ELS4_3ELS4_3ELNS0_20block_scan_algorithmE0ELj4294967295EEENS1_25partition_config_selectorILNS1_17partition_subalgoE3EjNS0_10empty_typeEbEEZZNS1_14partition_implILS8_3ELb0ES6_jNS0_17counting_iteratorIjlEEPS9_SE_NS0_5tupleIJPjSE_EEENSF_IJSE_SE_EEES9_SG_JZNS1_25segmented_radix_sort_implINS0_14default_configELb1EPKaPaPKlPlN2at6native12_GLOBAL__N_18offset_tEEE10hipError_tPvRmT1_PNSt15iterator_traitsISY_E10value_typeET2_T3_PNSZ_IS14_E10value_typeET4_jRbjT5_S1A_jjP12ihipStream_tbEUljE_EEESV_SW_SX_S14_S18_S1A_T6_T7_T9_mT8_S1C_bDpT10_ENKUlT_T0_E_clISt17integral_constantIbLb0EES1P_EEDaS1K_S1L_EUlS1K_E_NS1_11comp_targetILNS1_3genE4ELNS1_11target_archE910ELNS1_3gpuE8ELNS1_3repE0EEENS1_30default_config_static_selectorELNS0_4arch9wavefront6targetE0EEEvSY_.private_seg_size, 0
	.set _ZN7rocprim17ROCPRIM_400000_NS6detail17trampoline_kernelINS0_13select_configILj256ELj13ELNS0_17block_load_methodE3ELS4_3ELS4_3ELNS0_20block_scan_algorithmE0ELj4294967295EEENS1_25partition_config_selectorILNS1_17partition_subalgoE3EjNS0_10empty_typeEbEEZZNS1_14partition_implILS8_3ELb0ES6_jNS0_17counting_iteratorIjlEEPS9_SE_NS0_5tupleIJPjSE_EEENSF_IJSE_SE_EEES9_SG_JZNS1_25segmented_radix_sort_implINS0_14default_configELb1EPKaPaPKlPlN2at6native12_GLOBAL__N_18offset_tEEE10hipError_tPvRmT1_PNSt15iterator_traitsISY_E10value_typeET2_T3_PNSZ_IS14_E10value_typeET4_jRbjT5_S1A_jjP12ihipStream_tbEUljE_EEESV_SW_SX_S14_S18_S1A_T6_T7_T9_mT8_S1C_bDpT10_ENKUlT_T0_E_clISt17integral_constantIbLb0EES1P_EEDaS1K_S1L_EUlS1K_E_NS1_11comp_targetILNS1_3genE4ELNS1_11target_archE910ELNS1_3gpuE8ELNS1_3repE0EEENS1_30default_config_static_selectorELNS0_4arch9wavefront6targetE0EEEvSY_.uses_vcc, 0
	.set _ZN7rocprim17ROCPRIM_400000_NS6detail17trampoline_kernelINS0_13select_configILj256ELj13ELNS0_17block_load_methodE3ELS4_3ELS4_3ELNS0_20block_scan_algorithmE0ELj4294967295EEENS1_25partition_config_selectorILNS1_17partition_subalgoE3EjNS0_10empty_typeEbEEZZNS1_14partition_implILS8_3ELb0ES6_jNS0_17counting_iteratorIjlEEPS9_SE_NS0_5tupleIJPjSE_EEENSF_IJSE_SE_EEES9_SG_JZNS1_25segmented_radix_sort_implINS0_14default_configELb1EPKaPaPKlPlN2at6native12_GLOBAL__N_18offset_tEEE10hipError_tPvRmT1_PNSt15iterator_traitsISY_E10value_typeET2_T3_PNSZ_IS14_E10value_typeET4_jRbjT5_S1A_jjP12ihipStream_tbEUljE_EEESV_SW_SX_S14_S18_S1A_T6_T7_T9_mT8_S1C_bDpT10_ENKUlT_T0_E_clISt17integral_constantIbLb0EES1P_EEDaS1K_S1L_EUlS1K_E_NS1_11comp_targetILNS1_3genE4ELNS1_11target_archE910ELNS1_3gpuE8ELNS1_3repE0EEENS1_30default_config_static_selectorELNS0_4arch9wavefront6targetE0EEEvSY_.uses_flat_scratch, 0
	.set _ZN7rocprim17ROCPRIM_400000_NS6detail17trampoline_kernelINS0_13select_configILj256ELj13ELNS0_17block_load_methodE3ELS4_3ELS4_3ELNS0_20block_scan_algorithmE0ELj4294967295EEENS1_25partition_config_selectorILNS1_17partition_subalgoE3EjNS0_10empty_typeEbEEZZNS1_14partition_implILS8_3ELb0ES6_jNS0_17counting_iteratorIjlEEPS9_SE_NS0_5tupleIJPjSE_EEENSF_IJSE_SE_EEES9_SG_JZNS1_25segmented_radix_sort_implINS0_14default_configELb1EPKaPaPKlPlN2at6native12_GLOBAL__N_18offset_tEEE10hipError_tPvRmT1_PNSt15iterator_traitsISY_E10value_typeET2_T3_PNSZ_IS14_E10value_typeET4_jRbjT5_S1A_jjP12ihipStream_tbEUljE_EEESV_SW_SX_S14_S18_S1A_T6_T7_T9_mT8_S1C_bDpT10_ENKUlT_T0_E_clISt17integral_constantIbLb0EES1P_EEDaS1K_S1L_EUlS1K_E_NS1_11comp_targetILNS1_3genE4ELNS1_11target_archE910ELNS1_3gpuE8ELNS1_3repE0EEENS1_30default_config_static_selectorELNS0_4arch9wavefront6targetE0EEEvSY_.has_dyn_sized_stack, 0
	.set _ZN7rocprim17ROCPRIM_400000_NS6detail17trampoline_kernelINS0_13select_configILj256ELj13ELNS0_17block_load_methodE3ELS4_3ELS4_3ELNS0_20block_scan_algorithmE0ELj4294967295EEENS1_25partition_config_selectorILNS1_17partition_subalgoE3EjNS0_10empty_typeEbEEZZNS1_14partition_implILS8_3ELb0ES6_jNS0_17counting_iteratorIjlEEPS9_SE_NS0_5tupleIJPjSE_EEENSF_IJSE_SE_EEES9_SG_JZNS1_25segmented_radix_sort_implINS0_14default_configELb1EPKaPaPKlPlN2at6native12_GLOBAL__N_18offset_tEEE10hipError_tPvRmT1_PNSt15iterator_traitsISY_E10value_typeET2_T3_PNSZ_IS14_E10value_typeET4_jRbjT5_S1A_jjP12ihipStream_tbEUljE_EEESV_SW_SX_S14_S18_S1A_T6_T7_T9_mT8_S1C_bDpT10_ENKUlT_T0_E_clISt17integral_constantIbLb0EES1P_EEDaS1K_S1L_EUlS1K_E_NS1_11comp_targetILNS1_3genE4ELNS1_11target_archE910ELNS1_3gpuE8ELNS1_3repE0EEENS1_30default_config_static_selectorELNS0_4arch9wavefront6targetE0EEEvSY_.has_recursion, 0
	.set _ZN7rocprim17ROCPRIM_400000_NS6detail17trampoline_kernelINS0_13select_configILj256ELj13ELNS0_17block_load_methodE3ELS4_3ELS4_3ELNS0_20block_scan_algorithmE0ELj4294967295EEENS1_25partition_config_selectorILNS1_17partition_subalgoE3EjNS0_10empty_typeEbEEZZNS1_14partition_implILS8_3ELb0ES6_jNS0_17counting_iteratorIjlEEPS9_SE_NS0_5tupleIJPjSE_EEENSF_IJSE_SE_EEES9_SG_JZNS1_25segmented_radix_sort_implINS0_14default_configELb1EPKaPaPKlPlN2at6native12_GLOBAL__N_18offset_tEEE10hipError_tPvRmT1_PNSt15iterator_traitsISY_E10value_typeET2_T3_PNSZ_IS14_E10value_typeET4_jRbjT5_S1A_jjP12ihipStream_tbEUljE_EEESV_SW_SX_S14_S18_S1A_T6_T7_T9_mT8_S1C_bDpT10_ENKUlT_T0_E_clISt17integral_constantIbLb0EES1P_EEDaS1K_S1L_EUlS1K_E_NS1_11comp_targetILNS1_3genE4ELNS1_11target_archE910ELNS1_3gpuE8ELNS1_3repE0EEENS1_30default_config_static_selectorELNS0_4arch9wavefront6targetE0EEEvSY_.has_indirect_call, 0
	.section	.AMDGPU.csdata,"",@progbits
; Kernel info:
; codeLenInByte = 0
; TotalNumSgprs: 0
; NumVgprs: 0
; ScratchSize: 0
; MemoryBound: 0
; FloatMode: 240
; IeeeMode: 1
; LDSByteSize: 0 bytes/workgroup (compile time only)
; SGPRBlocks: 0
; VGPRBlocks: 0
; NumSGPRsForWavesPerEU: 1
; NumVGPRsForWavesPerEU: 1
; Occupancy: 16
; WaveLimiterHint : 0
; COMPUTE_PGM_RSRC2:SCRATCH_EN: 0
; COMPUTE_PGM_RSRC2:USER_SGPR: 6
; COMPUTE_PGM_RSRC2:TRAP_HANDLER: 0
; COMPUTE_PGM_RSRC2:TGID_X_EN: 1
; COMPUTE_PGM_RSRC2:TGID_Y_EN: 0
; COMPUTE_PGM_RSRC2:TGID_Z_EN: 0
; COMPUTE_PGM_RSRC2:TIDIG_COMP_CNT: 0
	.section	.text._ZN7rocprim17ROCPRIM_400000_NS6detail17trampoline_kernelINS0_13select_configILj256ELj13ELNS0_17block_load_methodE3ELS4_3ELS4_3ELNS0_20block_scan_algorithmE0ELj4294967295EEENS1_25partition_config_selectorILNS1_17partition_subalgoE3EjNS0_10empty_typeEbEEZZNS1_14partition_implILS8_3ELb0ES6_jNS0_17counting_iteratorIjlEEPS9_SE_NS0_5tupleIJPjSE_EEENSF_IJSE_SE_EEES9_SG_JZNS1_25segmented_radix_sort_implINS0_14default_configELb1EPKaPaPKlPlN2at6native12_GLOBAL__N_18offset_tEEE10hipError_tPvRmT1_PNSt15iterator_traitsISY_E10value_typeET2_T3_PNSZ_IS14_E10value_typeET4_jRbjT5_S1A_jjP12ihipStream_tbEUljE_EEESV_SW_SX_S14_S18_S1A_T6_T7_T9_mT8_S1C_bDpT10_ENKUlT_T0_E_clISt17integral_constantIbLb0EES1P_EEDaS1K_S1L_EUlS1K_E_NS1_11comp_targetILNS1_3genE3ELNS1_11target_archE908ELNS1_3gpuE7ELNS1_3repE0EEENS1_30default_config_static_selectorELNS0_4arch9wavefront6targetE0EEEvSY_,"axG",@progbits,_ZN7rocprim17ROCPRIM_400000_NS6detail17trampoline_kernelINS0_13select_configILj256ELj13ELNS0_17block_load_methodE3ELS4_3ELS4_3ELNS0_20block_scan_algorithmE0ELj4294967295EEENS1_25partition_config_selectorILNS1_17partition_subalgoE3EjNS0_10empty_typeEbEEZZNS1_14partition_implILS8_3ELb0ES6_jNS0_17counting_iteratorIjlEEPS9_SE_NS0_5tupleIJPjSE_EEENSF_IJSE_SE_EEES9_SG_JZNS1_25segmented_radix_sort_implINS0_14default_configELb1EPKaPaPKlPlN2at6native12_GLOBAL__N_18offset_tEEE10hipError_tPvRmT1_PNSt15iterator_traitsISY_E10value_typeET2_T3_PNSZ_IS14_E10value_typeET4_jRbjT5_S1A_jjP12ihipStream_tbEUljE_EEESV_SW_SX_S14_S18_S1A_T6_T7_T9_mT8_S1C_bDpT10_ENKUlT_T0_E_clISt17integral_constantIbLb0EES1P_EEDaS1K_S1L_EUlS1K_E_NS1_11comp_targetILNS1_3genE3ELNS1_11target_archE908ELNS1_3gpuE7ELNS1_3repE0EEENS1_30default_config_static_selectorELNS0_4arch9wavefront6targetE0EEEvSY_,comdat
	.globl	_ZN7rocprim17ROCPRIM_400000_NS6detail17trampoline_kernelINS0_13select_configILj256ELj13ELNS0_17block_load_methodE3ELS4_3ELS4_3ELNS0_20block_scan_algorithmE0ELj4294967295EEENS1_25partition_config_selectorILNS1_17partition_subalgoE3EjNS0_10empty_typeEbEEZZNS1_14partition_implILS8_3ELb0ES6_jNS0_17counting_iteratorIjlEEPS9_SE_NS0_5tupleIJPjSE_EEENSF_IJSE_SE_EEES9_SG_JZNS1_25segmented_radix_sort_implINS0_14default_configELb1EPKaPaPKlPlN2at6native12_GLOBAL__N_18offset_tEEE10hipError_tPvRmT1_PNSt15iterator_traitsISY_E10value_typeET2_T3_PNSZ_IS14_E10value_typeET4_jRbjT5_S1A_jjP12ihipStream_tbEUljE_EEESV_SW_SX_S14_S18_S1A_T6_T7_T9_mT8_S1C_bDpT10_ENKUlT_T0_E_clISt17integral_constantIbLb0EES1P_EEDaS1K_S1L_EUlS1K_E_NS1_11comp_targetILNS1_3genE3ELNS1_11target_archE908ELNS1_3gpuE7ELNS1_3repE0EEENS1_30default_config_static_selectorELNS0_4arch9wavefront6targetE0EEEvSY_ ; -- Begin function _ZN7rocprim17ROCPRIM_400000_NS6detail17trampoline_kernelINS0_13select_configILj256ELj13ELNS0_17block_load_methodE3ELS4_3ELS4_3ELNS0_20block_scan_algorithmE0ELj4294967295EEENS1_25partition_config_selectorILNS1_17partition_subalgoE3EjNS0_10empty_typeEbEEZZNS1_14partition_implILS8_3ELb0ES6_jNS0_17counting_iteratorIjlEEPS9_SE_NS0_5tupleIJPjSE_EEENSF_IJSE_SE_EEES9_SG_JZNS1_25segmented_radix_sort_implINS0_14default_configELb1EPKaPaPKlPlN2at6native12_GLOBAL__N_18offset_tEEE10hipError_tPvRmT1_PNSt15iterator_traitsISY_E10value_typeET2_T3_PNSZ_IS14_E10value_typeET4_jRbjT5_S1A_jjP12ihipStream_tbEUljE_EEESV_SW_SX_S14_S18_S1A_T6_T7_T9_mT8_S1C_bDpT10_ENKUlT_T0_E_clISt17integral_constantIbLb0EES1P_EEDaS1K_S1L_EUlS1K_E_NS1_11comp_targetILNS1_3genE3ELNS1_11target_archE908ELNS1_3gpuE7ELNS1_3repE0EEENS1_30default_config_static_selectorELNS0_4arch9wavefront6targetE0EEEvSY_
	.p2align	8
	.type	_ZN7rocprim17ROCPRIM_400000_NS6detail17trampoline_kernelINS0_13select_configILj256ELj13ELNS0_17block_load_methodE3ELS4_3ELS4_3ELNS0_20block_scan_algorithmE0ELj4294967295EEENS1_25partition_config_selectorILNS1_17partition_subalgoE3EjNS0_10empty_typeEbEEZZNS1_14partition_implILS8_3ELb0ES6_jNS0_17counting_iteratorIjlEEPS9_SE_NS0_5tupleIJPjSE_EEENSF_IJSE_SE_EEES9_SG_JZNS1_25segmented_radix_sort_implINS0_14default_configELb1EPKaPaPKlPlN2at6native12_GLOBAL__N_18offset_tEEE10hipError_tPvRmT1_PNSt15iterator_traitsISY_E10value_typeET2_T3_PNSZ_IS14_E10value_typeET4_jRbjT5_S1A_jjP12ihipStream_tbEUljE_EEESV_SW_SX_S14_S18_S1A_T6_T7_T9_mT8_S1C_bDpT10_ENKUlT_T0_E_clISt17integral_constantIbLb0EES1P_EEDaS1K_S1L_EUlS1K_E_NS1_11comp_targetILNS1_3genE3ELNS1_11target_archE908ELNS1_3gpuE7ELNS1_3repE0EEENS1_30default_config_static_selectorELNS0_4arch9wavefront6targetE0EEEvSY_,@function
_ZN7rocprim17ROCPRIM_400000_NS6detail17trampoline_kernelINS0_13select_configILj256ELj13ELNS0_17block_load_methodE3ELS4_3ELS4_3ELNS0_20block_scan_algorithmE0ELj4294967295EEENS1_25partition_config_selectorILNS1_17partition_subalgoE3EjNS0_10empty_typeEbEEZZNS1_14partition_implILS8_3ELb0ES6_jNS0_17counting_iteratorIjlEEPS9_SE_NS0_5tupleIJPjSE_EEENSF_IJSE_SE_EEES9_SG_JZNS1_25segmented_radix_sort_implINS0_14default_configELb1EPKaPaPKlPlN2at6native12_GLOBAL__N_18offset_tEEE10hipError_tPvRmT1_PNSt15iterator_traitsISY_E10value_typeET2_T3_PNSZ_IS14_E10value_typeET4_jRbjT5_S1A_jjP12ihipStream_tbEUljE_EEESV_SW_SX_S14_S18_S1A_T6_T7_T9_mT8_S1C_bDpT10_ENKUlT_T0_E_clISt17integral_constantIbLb0EES1P_EEDaS1K_S1L_EUlS1K_E_NS1_11comp_targetILNS1_3genE3ELNS1_11target_archE908ELNS1_3gpuE7ELNS1_3repE0EEENS1_30default_config_static_selectorELNS0_4arch9wavefront6targetE0EEEvSY_: ; @_ZN7rocprim17ROCPRIM_400000_NS6detail17trampoline_kernelINS0_13select_configILj256ELj13ELNS0_17block_load_methodE3ELS4_3ELS4_3ELNS0_20block_scan_algorithmE0ELj4294967295EEENS1_25partition_config_selectorILNS1_17partition_subalgoE3EjNS0_10empty_typeEbEEZZNS1_14partition_implILS8_3ELb0ES6_jNS0_17counting_iteratorIjlEEPS9_SE_NS0_5tupleIJPjSE_EEENSF_IJSE_SE_EEES9_SG_JZNS1_25segmented_radix_sort_implINS0_14default_configELb1EPKaPaPKlPlN2at6native12_GLOBAL__N_18offset_tEEE10hipError_tPvRmT1_PNSt15iterator_traitsISY_E10value_typeET2_T3_PNSZ_IS14_E10value_typeET4_jRbjT5_S1A_jjP12ihipStream_tbEUljE_EEESV_SW_SX_S14_S18_S1A_T6_T7_T9_mT8_S1C_bDpT10_ENKUlT_T0_E_clISt17integral_constantIbLb0EES1P_EEDaS1K_S1L_EUlS1K_E_NS1_11comp_targetILNS1_3genE3ELNS1_11target_archE908ELNS1_3gpuE7ELNS1_3repE0EEENS1_30default_config_static_selectorELNS0_4arch9wavefront6targetE0EEEvSY_
; %bb.0:
	.section	.rodata,"a",@progbits
	.p2align	6, 0x0
	.amdhsa_kernel _ZN7rocprim17ROCPRIM_400000_NS6detail17trampoline_kernelINS0_13select_configILj256ELj13ELNS0_17block_load_methodE3ELS4_3ELS4_3ELNS0_20block_scan_algorithmE0ELj4294967295EEENS1_25partition_config_selectorILNS1_17partition_subalgoE3EjNS0_10empty_typeEbEEZZNS1_14partition_implILS8_3ELb0ES6_jNS0_17counting_iteratorIjlEEPS9_SE_NS0_5tupleIJPjSE_EEENSF_IJSE_SE_EEES9_SG_JZNS1_25segmented_radix_sort_implINS0_14default_configELb1EPKaPaPKlPlN2at6native12_GLOBAL__N_18offset_tEEE10hipError_tPvRmT1_PNSt15iterator_traitsISY_E10value_typeET2_T3_PNSZ_IS14_E10value_typeET4_jRbjT5_S1A_jjP12ihipStream_tbEUljE_EEESV_SW_SX_S14_S18_S1A_T6_T7_T9_mT8_S1C_bDpT10_ENKUlT_T0_E_clISt17integral_constantIbLb0EES1P_EEDaS1K_S1L_EUlS1K_E_NS1_11comp_targetILNS1_3genE3ELNS1_11target_archE908ELNS1_3gpuE7ELNS1_3repE0EEENS1_30default_config_static_selectorELNS0_4arch9wavefront6targetE0EEEvSY_
		.amdhsa_group_segment_fixed_size 0
		.amdhsa_private_segment_fixed_size 0
		.amdhsa_kernarg_size 144
		.amdhsa_user_sgpr_count 6
		.amdhsa_user_sgpr_private_segment_buffer 1
		.amdhsa_user_sgpr_dispatch_ptr 0
		.amdhsa_user_sgpr_queue_ptr 0
		.amdhsa_user_sgpr_kernarg_segment_ptr 1
		.amdhsa_user_sgpr_dispatch_id 0
		.amdhsa_user_sgpr_flat_scratch_init 0
		.amdhsa_user_sgpr_private_segment_size 0
		.amdhsa_wavefront_size32 1
		.amdhsa_uses_dynamic_stack 0
		.amdhsa_system_sgpr_private_segment_wavefront_offset 0
		.amdhsa_system_sgpr_workgroup_id_x 1
		.amdhsa_system_sgpr_workgroup_id_y 0
		.amdhsa_system_sgpr_workgroup_id_z 0
		.amdhsa_system_sgpr_workgroup_info 0
		.amdhsa_system_vgpr_workitem_id 0
		.amdhsa_next_free_vgpr 1
		.amdhsa_next_free_sgpr 1
		.amdhsa_reserve_vcc 0
		.amdhsa_reserve_flat_scratch 0
		.amdhsa_float_round_mode_32 0
		.amdhsa_float_round_mode_16_64 0
		.amdhsa_float_denorm_mode_32 3
		.amdhsa_float_denorm_mode_16_64 3
		.amdhsa_dx10_clamp 1
		.amdhsa_ieee_mode 1
		.amdhsa_fp16_overflow 0
		.amdhsa_workgroup_processor_mode 1
		.amdhsa_memory_ordered 1
		.amdhsa_forward_progress 1
		.amdhsa_shared_vgpr_count 0
		.amdhsa_exception_fp_ieee_invalid_op 0
		.amdhsa_exception_fp_denorm_src 0
		.amdhsa_exception_fp_ieee_div_zero 0
		.amdhsa_exception_fp_ieee_overflow 0
		.amdhsa_exception_fp_ieee_underflow 0
		.amdhsa_exception_fp_ieee_inexact 0
		.amdhsa_exception_int_div_zero 0
	.end_amdhsa_kernel
	.section	.text._ZN7rocprim17ROCPRIM_400000_NS6detail17trampoline_kernelINS0_13select_configILj256ELj13ELNS0_17block_load_methodE3ELS4_3ELS4_3ELNS0_20block_scan_algorithmE0ELj4294967295EEENS1_25partition_config_selectorILNS1_17partition_subalgoE3EjNS0_10empty_typeEbEEZZNS1_14partition_implILS8_3ELb0ES6_jNS0_17counting_iteratorIjlEEPS9_SE_NS0_5tupleIJPjSE_EEENSF_IJSE_SE_EEES9_SG_JZNS1_25segmented_radix_sort_implINS0_14default_configELb1EPKaPaPKlPlN2at6native12_GLOBAL__N_18offset_tEEE10hipError_tPvRmT1_PNSt15iterator_traitsISY_E10value_typeET2_T3_PNSZ_IS14_E10value_typeET4_jRbjT5_S1A_jjP12ihipStream_tbEUljE_EEESV_SW_SX_S14_S18_S1A_T6_T7_T9_mT8_S1C_bDpT10_ENKUlT_T0_E_clISt17integral_constantIbLb0EES1P_EEDaS1K_S1L_EUlS1K_E_NS1_11comp_targetILNS1_3genE3ELNS1_11target_archE908ELNS1_3gpuE7ELNS1_3repE0EEENS1_30default_config_static_selectorELNS0_4arch9wavefront6targetE0EEEvSY_,"axG",@progbits,_ZN7rocprim17ROCPRIM_400000_NS6detail17trampoline_kernelINS0_13select_configILj256ELj13ELNS0_17block_load_methodE3ELS4_3ELS4_3ELNS0_20block_scan_algorithmE0ELj4294967295EEENS1_25partition_config_selectorILNS1_17partition_subalgoE3EjNS0_10empty_typeEbEEZZNS1_14partition_implILS8_3ELb0ES6_jNS0_17counting_iteratorIjlEEPS9_SE_NS0_5tupleIJPjSE_EEENSF_IJSE_SE_EEES9_SG_JZNS1_25segmented_radix_sort_implINS0_14default_configELb1EPKaPaPKlPlN2at6native12_GLOBAL__N_18offset_tEEE10hipError_tPvRmT1_PNSt15iterator_traitsISY_E10value_typeET2_T3_PNSZ_IS14_E10value_typeET4_jRbjT5_S1A_jjP12ihipStream_tbEUljE_EEESV_SW_SX_S14_S18_S1A_T6_T7_T9_mT8_S1C_bDpT10_ENKUlT_T0_E_clISt17integral_constantIbLb0EES1P_EEDaS1K_S1L_EUlS1K_E_NS1_11comp_targetILNS1_3genE3ELNS1_11target_archE908ELNS1_3gpuE7ELNS1_3repE0EEENS1_30default_config_static_selectorELNS0_4arch9wavefront6targetE0EEEvSY_,comdat
.Lfunc_end259:
	.size	_ZN7rocprim17ROCPRIM_400000_NS6detail17trampoline_kernelINS0_13select_configILj256ELj13ELNS0_17block_load_methodE3ELS4_3ELS4_3ELNS0_20block_scan_algorithmE0ELj4294967295EEENS1_25partition_config_selectorILNS1_17partition_subalgoE3EjNS0_10empty_typeEbEEZZNS1_14partition_implILS8_3ELb0ES6_jNS0_17counting_iteratorIjlEEPS9_SE_NS0_5tupleIJPjSE_EEENSF_IJSE_SE_EEES9_SG_JZNS1_25segmented_radix_sort_implINS0_14default_configELb1EPKaPaPKlPlN2at6native12_GLOBAL__N_18offset_tEEE10hipError_tPvRmT1_PNSt15iterator_traitsISY_E10value_typeET2_T3_PNSZ_IS14_E10value_typeET4_jRbjT5_S1A_jjP12ihipStream_tbEUljE_EEESV_SW_SX_S14_S18_S1A_T6_T7_T9_mT8_S1C_bDpT10_ENKUlT_T0_E_clISt17integral_constantIbLb0EES1P_EEDaS1K_S1L_EUlS1K_E_NS1_11comp_targetILNS1_3genE3ELNS1_11target_archE908ELNS1_3gpuE7ELNS1_3repE0EEENS1_30default_config_static_selectorELNS0_4arch9wavefront6targetE0EEEvSY_, .Lfunc_end259-_ZN7rocprim17ROCPRIM_400000_NS6detail17trampoline_kernelINS0_13select_configILj256ELj13ELNS0_17block_load_methodE3ELS4_3ELS4_3ELNS0_20block_scan_algorithmE0ELj4294967295EEENS1_25partition_config_selectorILNS1_17partition_subalgoE3EjNS0_10empty_typeEbEEZZNS1_14partition_implILS8_3ELb0ES6_jNS0_17counting_iteratorIjlEEPS9_SE_NS0_5tupleIJPjSE_EEENSF_IJSE_SE_EEES9_SG_JZNS1_25segmented_radix_sort_implINS0_14default_configELb1EPKaPaPKlPlN2at6native12_GLOBAL__N_18offset_tEEE10hipError_tPvRmT1_PNSt15iterator_traitsISY_E10value_typeET2_T3_PNSZ_IS14_E10value_typeET4_jRbjT5_S1A_jjP12ihipStream_tbEUljE_EEESV_SW_SX_S14_S18_S1A_T6_T7_T9_mT8_S1C_bDpT10_ENKUlT_T0_E_clISt17integral_constantIbLb0EES1P_EEDaS1K_S1L_EUlS1K_E_NS1_11comp_targetILNS1_3genE3ELNS1_11target_archE908ELNS1_3gpuE7ELNS1_3repE0EEENS1_30default_config_static_selectorELNS0_4arch9wavefront6targetE0EEEvSY_
                                        ; -- End function
	.set _ZN7rocprim17ROCPRIM_400000_NS6detail17trampoline_kernelINS0_13select_configILj256ELj13ELNS0_17block_load_methodE3ELS4_3ELS4_3ELNS0_20block_scan_algorithmE0ELj4294967295EEENS1_25partition_config_selectorILNS1_17partition_subalgoE3EjNS0_10empty_typeEbEEZZNS1_14partition_implILS8_3ELb0ES6_jNS0_17counting_iteratorIjlEEPS9_SE_NS0_5tupleIJPjSE_EEENSF_IJSE_SE_EEES9_SG_JZNS1_25segmented_radix_sort_implINS0_14default_configELb1EPKaPaPKlPlN2at6native12_GLOBAL__N_18offset_tEEE10hipError_tPvRmT1_PNSt15iterator_traitsISY_E10value_typeET2_T3_PNSZ_IS14_E10value_typeET4_jRbjT5_S1A_jjP12ihipStream_tbEUljE_EEESV_SW_SX_S14_S18_S1A_T6_T7_T9_mT8_S1C_bDpT10_ENKUlT_T0_E_clISt17integral_constantIbLb0EES1P_EEDaS1K_S1L_EUlS1K_E_NS1_11comp_targetILNS1_3genE3ELNS1_11target_archE908ELNS1_3gpuE7ELNS1_3repE0EEENS1_30default_config_static_selectorELNS0_4arch9wavefront6targetE0EEEvSY_.num_vgpr, 0
	.set _ZN7rocprim17ROCPRIM_400000_NS6detail17trampoline_kernelINS0_13select_configILj256ELj13ELNS0_17block_load_methodE3ELS4_3ELS4_3ELNS0_20block_scan_algorithmE0ELj4294967295EEENS1_25partition_config_selectorILNS1_17partition_subalgoE3EjNS0_10empty_typeEbEEZZNS1_14partition_implILS8_3ELb0ES6_jNS0_17counting_iteratorIjlEEPS9_SE_NS0_5tupleIJPjSE_EEENSF_IJSE_SE_EEES9_SG_JZNS1_25segmented_radix_sort_implINS0_14default_configELb1EPKaPaPKlPlN2at6native12_GLOBAL__N_18offset_tEEE10hipError_tPvRmT1_PNSt15iterator_traitsISY_E10value_typeET2_T3_PNSZ_IS14_E10value_typeET4_jRbjT5_S1A_jjP12ihipStream_tbEUljE_EEESV_SW_SX_S14_S18_S1A_T6_T7_T9_mT8_S1C_bDpT10_ENKUlT_T0_E_clISt17integral_constantIbLb0EES1P_EEDaS1K_S1L_EUlS1K_E_NS1_11comp_targetILNS1_3genE3ELNS1_11target_archE908ELNS1_3gpuE7ELNS1_3repE0EEENS1_30default_config_static_selectorELNS0_4arch9wavefront6targetE0EEEvSY_.num_agpr, 0
	.set _ZN7rocprim17ROCPRIM_400000_NS6detail17trampoline_kernelINS0_13select_configILj256ELj13ELNS0_17block_load_methodE3ELS4_3ELS4_3ELNS0_20block_scan_algorithmE0ELj4294967295EEENS1_25partition_config_selectorILNS1_17partition_subalgoE3EjNS0_10empty_typeEbEEZZNS1_14partition_implILS8_3ELb0ES6_jNS0_17counting_iteratorIjlEEPS9_SE_NS0_5tupleIJPjSE_EEENSF_IJSE_SE_EEES9_SG_JZNS1_25segmented_radix_sort_implINS0_14default_configELb1EPKaPaPKlPlN2at6native12_GLOBAL__N_18offset_tEEE10hipError_tPvRmT1_PNSt15iterator_traitsISY_E10value_typeET2_T3_PNSZ_IS14_E10value_typeET4_jRbjT5_S1A_jjP12ihipStream_tbEUljE_EEESV_SW_SX_S14_S18_S1A_T6_T7_T9_mT8_S1C_bDpT10_ENKUlT_T0_E_clISt17integral_constantIbLb0EES1P_EEDaS1K_S1L_EUlS1K_E_NS1_11comp_targetILNS1_3genE3ELNS1_11target_archE908ELNS1_3gpuE7ELNS1_3repE0EEENS1_30default_config_static_selectorELNS0_4arch9wavefront6targetE0EEEvSY_.numbered_sgpr, 0
	.set _ZN7rocprim17ROCPRIM_400000_NS6detail17trampoline_kernelINS0_13select_configILj256ELj13ELNS0_17block_load_methodE3ELS4_3ELS4_3ELNS0_20block_scan_algorithmE0ELj4294967295EEENS1_25partition_config_selectorILNS1_17partition_subalgoE3EjNS0_10empty_typeEbEEZZNS1_14partition_implILS8_3ELb0ES6_jNS0_17counting_iteratorIjlEEPS9_SE_NS0_5tupleIJPjSE_EEENSF_IJSE_SE_EEES9_SG_JZNS1_25segmented_radix_sort_implINS0_14default_configELb1EPKaPaPKlPlN2at6native12_GLOBAL__N_18offset_tEEE10hipError_tPvRmT1_PNSt15iterator_traitsISY_E10value_typeET2_T3_PNSZ_IS14_E10value_typeET4_jRbjT5_S1A_jjP12ihipStream_tbEUljE_EEESV_SW_SX_S14_S18_S1A_T6_T7_T9_mT8_S1C_bDpT10_ENKUlT_T0_E_clISt17integral_constantIbLb0EES1P_EEDaS1K_S1L_EUlS1K_E_NS1_11comp_targetILNS1_3genE3ELNS1_11target_archE908ELNS1_3gpuE7ELNS1_3repE0EEENS1_30default_config_static_selectorELNS0_4arch9wavefront6targetE0EEEvSY_.num_named_barrier, 0
	.set _ZN7rocprim17ROCPRIM_400000_NS6detail17trampoline_kernelINS0_13select_configILj256ELj13ELNS0_17block_load_methodE3ELS4_3ELS4_3ELNS0_20block_scan_algorithmE0ELj4294967295EEENS1_25partition_config_selectorILNS1_17partition_subalgoE3EjNS0_10empty_typeEbEEZZNS1_14partition_implILS8_3ELb0ES6_jNS0_17counting_iteratorIjlEEPS9_SE_NS0_5tupleIJPjSE_EEENSF_IJSE_SE_EEES9_SG_JZNS1_25segmented_radix_sort_implINS0_14default_configELb1EPKaPaPKlPlN2at6native12_GLOBAL__N_18offset_tEEE10hipError_tPvRmT1_PNSt15iterator_traitsISY_E10value_typeET2_T3_PNSZ_IS14_E10value_typeET4_jRbjT5_S1A_jjP12ihipStream_tbEUljE_EEESV_SW_SX_S14_S18_S1A_T6_T7_T9_mT8_S1C_bDpT10_ENKUlT_T0_E_clISt17integral_constantIbLb0EES1P_EEDaS1K_S1L_EUlS1K_E_NS1_11comp_targetILNS1_3genE3ELNS1_11target_archE908ELNS1_3gpuE7ELNS1_3repE0EEENS1_30default_config_static_selectorELNS0_4arch9wavefront6targetE0EEEvSY_.private_seg_size, 0
	.set _ZN7rocprim17ROCPRIM_400000_NS6detail17trampoline_kernelINS0_13select_configILj256ELj13ELNS0_17block_load_methodE3ELS4_3ELS4_3ELNS0_20block_scan_algorithmE0ELj4294967295EEENS1_25partition_config_selectorILNS1_17partition_subalgoE3EjNS0_10empty_typeEbEEZZNS1_14partition_implILS8_3ELb0ES6_jNS0_17counting_iteratorIjlEEPS9_SE_NS0_5tupleIJPjSE_EEENSF_IJSE_SE_EEES9_SG_JZNS1_25segmented_radix_sort_implINS0_14default_configELb1EPKaPaPKlPlN2at6native12_GLOBAL__N_18offset_tEEE10hipError_tPvRmT1_PNSt15iterator_traitsISY_E10value_typeET2_T3_PNSZ_IS14_E10value_typeET4_jRbjT5_S1A_jjP12ihipStream_tbEUljE_EEESV_SW_SX_S14_S18_S1A_T6_T7_T9_mT8_S1C_bDpT10_ENKUlT_T0_E_clISt17integral_constantIbLb0EES1P_EEDaS1K_S1L_EUlS1K_E_NS1_11comp_targetILNS1_3genE3ELNS1_11target_archE908ELNS1_3gpuE7ELNS1_3repE0EEENS1_30default_config_static_selectorELNS0_4arch9wavefront6targetE0EEEvSY_.uses_vcc, 0
	.set _ZN7rocprim17ROCPRIM_400000_NS6detail17trampoline_kernelINS0_13select_configILj256ELj13ELNS0_17block_load_methodE3ELS4_3ELS4_3ELNS0_20block_scan_algorithmE0ELj4294967295EEENS1_25partition_config_selectorILNS1_17partition_subalgoE3EjNS0_10empty_typeEbEEZZNS1_14partition_implILS8_3ELb0ES6_jNS0_17counting_iteratorIjlEEPS9_SE_NS0_5tupleIJPjSE_EEENSF_IJSE_SE_EEES9_SG_JZNS1_25segmented_radix_sort_implINS0_14default_configELb1EPKaPaPKlPlN2at6native12_GLOBAL__N_18offset_tEEE10hipError_tPvRmT1_PNSt15iterator_traitsISY_E10value_typeET2_T3_PNSZ_IS14_E10value_typeET4_jRbjT5_S1A_jjP12ihipStream_tbEUljE_EEESV_SW_SX_S14_S18_S1A_T6_T7_T9_mT8_S1C_bDpT10_ENKUlT_T0_E_clISt17integral_constantIbLb0EES1P_EEDaS1K_S1L_EUlS1K_E_NS1_11comp_targetILNS1_3genE3ELNS1_11target_archE908ELNS1_3gpuE7ELNS1_3repE0EEENS1_30default_config_static_selectorELNS0_4arch9wavefront6targetE0EEEvSY_.uses_flat_scratch, 0
	.set _ZN7rocprim17ROCPRIM_400000_NS6detail17trampoline_kernelINS0_13select_configILj256ELj13ELNS0_17block_load_methodE3ELS4_3ELS4_3ELNS0_20block_scan_algorithmE0ELj4294967295EEENS1_25partition_config_selectorILNS1_17partition_subalgoE3EjNS0_10empty_typeEbEEZZNS1_14partition_implILS8_3ELb0ES6_jNS0_17counting_iteratorIjlEEPS9_SE_NS0_5tupleIJPjSE_EEENSF_IJSE_SE_EEES9_SG_JZNS1_25segmented_radix_sort_implINS0_14default_configELb1EPKaPaPKlPlN2at6native12_GLOBAL__N_18offset_tEEE10hipError_tPvRmT1_PNSt15iterator_traitsISY_E10value_typeET2_T3_PNSZ_IS14_E10value_typeET4_jRbjT5_S1A_jjP12ihipStream_tbEUljE_EEESV_SW_SX_S14_S18_S1A_T6_T7_T9_mT8_S1C_bDpT10_ENKUlT_T0_E_clISt17integral_constantIbLb0EES1P_EEDaS1K_S1L_EUlS1K_E_NS1_11comp_targetILNS1_3genE3ELNS1_11target_archE908ELNS1_3gpuE7ELNS1_3repE0EEENS1_30default_config_static_selectorELNS0_4arch9wavefront6targetE0EEEvSY_.has_dyn_sized_stack, 0
	.set _ZN7rocprim17ROCPRIM_400000_NS6detail17trampoline_kernelINS0_13select_configILj256ELj13ELNS0_17block_load_methodE3ELS4_3ELS4_3ELNS0_20block_scan_algorithmE0ELj4294967295EEENS1_25partition_config_selectorILNS1_17partition_subalgoE3EjNS0_10empty_typeEbEEZZNS1_14partition_implILS8_3ELb0ES6_jNS0_17counting_iteratorIjlEEPS9_SE_NS0_5tupleIJPjSE_EEENSF_IJSE_SE_EEES9_SG_JZNS1_25segmented_radix_sort_implINS0_14default_configELb1EPKaPaPKlPlN2at6native12_GLOBAL__N_18offset_tEEE10hipError_tPvRmT1_PNSt15iterator_traitsISY_E10value_typeET2_T3_PNSZ_IS14_E10value_typeET4_jRbjT5_S1A_jjP12ihipStream_tbEUljE_EEESV_SW_SX_S14_S18_S1A_T6_T7_T9_mT8_S1C_bDpT10_ENKUlT_T0_E_clISt17integral_constantIbLb0EES1P_EEDaS1K_S1L_EUlS1K_E_NS1_11comp_targetILNS1_3genE3ELNS1_11target_archE908ELNS1_3gpuE7ELNS1_3repE0EEENS1_30default_config_static_selectorELNS0_4arch9wavefront6targetE0EEEvSY_.has_recursion, 0
	.set _ZN7rocprim17ROCPRIM_400000_NS6detail17trampoline_kernelINS0_13select_configILj256ELj13ELNS0_17block_load_methodE3ELS4_3ELS4_3ELNS0_20block_scan_algorithmE0ELj4294967295EEENS1_25partition_config_selectorILNS1_17partition_subalgoE3EjNS0_10empty_typeEbEEZZNS1_14partition_implILS8_3ELb0ES6_jNS0_17counting_iteratorIjlEEPS9_SE_NS0_5tupleIJPjSE_EEENSF_IJSE_SE_EEES9_SG_JZNS1_25segmented_radix_sort_implINS0_14default_configELb1EPKaPaPKlPlN2at6native12_GLOBAL__N_18offset_tEEE10hipError_tPvRmT1_PNSt15iterator_traitsISY_E10value_typeET2_T3_PNSZ_IS14_E10value_typeET4_jRbjT5_S1A_jjP12ihipStream_tbEUljE_EEESV_SW_SX_S14_S18_S1A_T6_T7_T9_mT8_S1C_bDpT10_ENKUlT_T0_E_clISt17integral_constantIbLb0EES1P_EEDaS1K_S1L_EUlS1K_E_NS1_11comp_targetILNS1_3genE3ELNS1_11target_archE908ELNS1_3gpuE7ELNS1_3repE0EEENS1_30default_config_static_selectorELNS0_4arch9wavefront6targetE0EEEvSY_.has_indirect_call, 0
	.section	.AMDGPU.csdata,"",@progbits
; Kernel info:
; codeLenInByte = 0
; TotalNumSgprs: 0
; NumVgprs: 0
; ScratchSize: 0
; MemoryBound: 0
; FloatMode: 240
; IeeeMode: 1
; LDSByteSize: 0 bytes/workgroup (compile time only)
; SGPRBlocks: 0
; VGPRBlocks: 0
; NumSGPRsForWavesPerEU: 1
; NumVGPRsForWavesPerEU: 1
; Occupancy: 16
; WaveLimiterHint : 0
; COMPUTE_PGM_RSRC2:SCRATCH_EN: 0
; COMPUTE_PGM_RSRC2:USER_SGPR: 6
; COMPUTE_PGM_RSRC2:TRAP_HANDLER: 0
; COMPUTE_PGM_RSRC2:TGID_X_EN: 1
; COMPUTE_PGM_RSRC2:TGID_Y_EN: 0
; COMPUTE_PGM_RSRC2:TGID_Z_EN: 0
; COMPUTE_PGM_RSRC2:TIDIG_COMP_CNT: 0
	.section	.text._ZN7rocprim17ROCPRIM_400000_NS6detail17trampoline_kernelINS0_13select_configILj256ELj13ELNS0_17block_load_methodE3ELS4_3ELS4_3ELNS0_20block_scan_algorithmE0ELj4294967295EEENS1_25partition_config_selectorILNS1_17partition_subalgoE3EjNS0_10empty_typeEbEEZZNS1_14partition_implILS8_3ELb0ES6_jNS0_17counting_iteratorIjlEEPS9_SE_NS0_5tupleIJPjSE_EEENSF_IJSE_SE_EEES9_SG_JZNS1_25segmented_radix_sort_implINS0_14default_configELb1EPKaPaPKlPlN2at6native12_GLOBAL__N_18offset_tEEE10hipError_tPvRmT1_PNSt15iterator_traitsISY_E10value_typeET2_T3_PNSZ_IS14_E10value_typeET4_jRbjT5_S1A_jjP12ihipStream_tbEUljE_EEESV_SW_SX_S14_S18_S1A_T6_T7_T9_mT8_S1C_bDpT10_ENKUlT_T0_E_clISt17integral_constantIbLb0EES1P_EEDaS1K_S1L_EUlS1K_E_NS1_11comp_targetILNS1_3genE2ELNS1_11target_archE906ELNS1_3gpuE6ELNS1_3repE0EEENS1_30default_config_static_selectorELNS0_4arch9wavefront6targetE0EEEvSY_,"axG",@progbits,_ZN7rocprim17ROCPRIM_400000_NS6detail17trampoline_kernelINS0_13select_configILj256ELj13ELNS0_17block_load_methodE3ELS4_3ELS4_3ELNS0_20block_scan_algorithmE0ELj4294967295EEENS1_25partition_config_selectorILNS1_17partition_subalgoE3EjNS0_10empty_typeEbEEZZNS1_14partition_implILS8_3ELb0ES6_jNS0_17counting_iteratorIjlEEPS9_SE_NS0_5tupleIJPjSE_EEENSF_IJSE_SE_EEES9_SG_JZNS1_25segmented_radix_sort_implINS0_14default_configELb1EPKaPaPKlPlN2at6native12_GLOBAL__N_18offset_tEEE10hipError_tPvRmT1_PNSt15iterator_traitsISY_E10value_typeET2_T3_PNSZ_IS14_E10value_typeET4_jRbjT5_S1A_jjP12ihipStream_tbEUljE_EEESV_SW_SX_S14_S18_S1A_T6_T7_T9_mT8_S1C_bDpT10_ENKUlT_T0_E_clISt17integral_constantIbLb0EES1P_EEDaS1K_S1L_EUlS1K_E_NS1_11comp_targetILNS1_3genE2ELNS1_11target_archE906ELNS1_3gpuE6ELNS1_3repE0EEENS1_30default_config_static_selectorELNS0_4arch9wavefront6targetE0EEEvSY_,comdat
	.globl	_ZN7rocprim17ROCPRIM_400000_NS6detail17trampoline_kernelINS0_13select_configILj256ELj13ELNS0_17block_load_methodE3ELS4_3ELS4_3ELNS0_20block_scan_algorithmE0ELj4294967295EEENS1_25partition_config_selectorILNS1_17partition_subalgoE3EjNS0_10empty_typeEbEEZZNS1_14partition_implILS8_3ELb0ES6_jNS0_17counting_iteratorIjlEEPS9_SE_NS0_5tupleIJPjSE_EEENSF_IJSE_SE_EEES9_SG_JZNS1_25segmented_radix_sort_implINS0_14default_configELb1EPKaPaPKlPlN2at6native12_GLOBAL__N_18offset_tEEE10hipError_tPvRmT1_PNSt15iterator_traitsISY_E10value_typeET2_T3_PNSZ_IS14_E10value_typeET4_jRbjT5_S1A_jjP12ihipStream_tbEUljE_EEESV_SW_SX_S14_S18_S1A_T6_T7_T9_mT8_S1C_bDpT10_ENKUlT_T0_E_clISt17integral_constantIbLb0EES1P_EEDaS1K_S1L_EUlS1K_E_NS1_11comp_targetILNS1_3genE2ELNS1_11target_archE906ELNS1_3gpuE6ELNS1_3repE0EEENS1_30default_config_static_selectorELNS0_4arch9wavefront6targetE0EEEvSY_ ; -- Begin function _ZN7rocprim17ROCPRIM_400000_NS6detail17trampoline_kernelINS0_13select_configILj256ELj13ELNS0_17block_load_methodE3ELS4_3ELS4_3ELNS0_20block_scan_algorithmE0ELj4294967295EEENS1_25partition_config_selectorILNS1_17partition_subalgoE3EjNS0_10empty_typeEbEEZZNS1_14partition_implILS8_3ELb0ES6_jNS0_17counting_iteratorIjlEEPS9_SE_NS0_5tupleIJPjSE_EEENSF_IJSE_SE_EEES9_SG_JZNS1_25segmented_radix_sort_implINS0_14default_configELb1EPKaPaPKlPlN2at6native12_GLOBAL__N_18offset_tEEE10hipError_tPvRmT1_PNSt15iterator_traitsISY_E10value_typeET2_T3_PNSZ_IS14_E10value_typeET4_jRbjT5_S1A_jjP12ihipStream_tbEUljE_EEESV_SW_SX_S14_S18_S1A_T6_T7_T9_mT8_S1C_bDpT10_ENKUlT_T0_E_clISt17integral_constantIbLb0EES1P_EEDaS1K_S1L_EUlS1K_E_NS1_11comp_targetILNS1_3genE2ELNS1_11target_archE906ELNS1_3gpuE6ELNS1_3repE0EEENS1_30default_config_static_selectorELNS0_4arch9wavefront6targetE0EEEvSY_
	.p2align	8
	.type	_ZN7rocprim17ROCPRIM_400000_NS6detail17trampoline_kernelINS0_13select_configILj256ELj13ELNS0_17block_load_methodE3ELS4_3ELS4_3ELNS0_20block_scan_algorithmE0ELj4294967295EEENS1_25partition_config_selectorILNS1_17partition_subalgoE3EjNS0_10empty_typeEbEEZZNS1_14partition_implILS8_3ELb0ES6_jNS0_17counting_iteratorIjlEEPS9_SE_NS0_5tupleIJPjSE_EEENSF_IJSE_SE_EEES9_SG_JZNS1_25segmented_radix_sort_implINS0_14default_configELb1EPKaPaPKlPlN2at6native12_GLOBAL__N_18offset_tEEE10hipError_tPvRmT1_PNSt15iterator_traitsISY_E10value_typeET2_T3_PNSZ_IS14_E10value_typeET4_jRbjT5_S1A_jjP12ihipStream_tbEUljE_EEESV_SW_SX_S14_S18_S1A_T6_T7_T9_mT8_S1C_bDpT10_ENKUlT_T0_E_clISt17integral_constantIbLb0EES1P_EEDaS1K_S1L_EUlS1K_E_NS1_11comp_targetILNS1_3genE2ELNS1_11target_archE906ELNS1_3gpuE6ELNS1_3repE0EEENS1_30default_config_static_selectorELNS0_4arch9wavefront6targetE0EEEvSY_,@function
_ZN7rocprim17ROCPRIM_400000_NS6detail17trampoline_kernelINS0_13select_configILj256ELj13ELNS0_17block_load_methodE3ELS4_3ELS4_3ELNS0_20block_scan_algorithmE0ELj4294967295EEENS1_25partition_config_selectorILNS1_17partition_subalgoE3EjNS0_10empty_typeEbEEZZNS1_14partition_implILS8_3ELb0ES6_jNS0_17counting_iteratorIjlEEPS9_SE_NS0_5tupleIJPjSE_EEENSF_IJSE_SE_EEES9_SG_JZNS1_25segmented_radix_sort_implINS0_14default_configELb1EPKaPaPKlPlN2at6native12_GLOBAL__N_18offset_tEEE10hipError_tPvRmT1_PNSt15iterator_traitsISY_E10value_typeET2_T3_PNSZ_IS14_E10value_typeET4_jRbjT5_S1A_jjP12ihipStream_tbEUljE_EEESV_SW_SX_S14_S18_S1A_T6_T7_T9_mT8_S1C_bDpT10_ENKUlT_T0_E_clISt17integral_constantIbLb0EES1P_EEDaS1K_S1L_EUlS1K_E_NS1_11comp_targetILNS1_3genE2ELNS1_11target_archE906ELNS1_3gpuE6ELNS1_3repE0EEENS1_30default_config_static_selectorELNS0_4arch9wavefront6targetE0EEEvSY_: ; @_ZN7rocprim17ROCPRIM_400000_NS6detail17trampoline_kernelINS0_13select_configILj256ELj13ELNS0_17block_load_methodE3ELS4_3ELS4_3ELNS0_20block_scan_algorithmE0ELj4294967295EEENS1_25partition_config_selectorILNS1_17partition_subalgoE3EjNS0_10empty_typeEbEEZZNS1_14partition_implILS8_3ELb0ES6_jNS0_17counting_iteratorIjlEEPS9_SE_NS0_5tupleIJPjSE_EEENSF_IJSE_SE_EEES9_SG_JZNS1_25segmented_radix_sort_implINS0_14default_configELb1EPKaPaPKlPlN2at6native12_GLOBAL__N_18offset_tEEE10hipError_tPvRmT1_PNSt15iterator_traitsISY_E10value_typeET2_T3_PNSZ_IS14_E10value_typeET4_jRbjT5_S1A_jjP12ihipStream_tbEUljE_EEESV_SW_SX_S14_S18_S1A_T6_T7_T9_mT8_S1C_bDpT10_ENKUlT_T0_E_clISt17integral_constantIbLb0EES1P_EEDaS1K_S1L_EUlS1K_E_NS1_11comp_targetILNS1_3genE2ELNS1_11target_archE906ELNS1_3gpuE6ELNS1_3repE0EEENS1_30default_config_static_selectorELNS0_4arch9wavefront6targetE0EEEvSY_
; %bb.0:
	.section	.rodata,"a",@progbits
	.p2align	6, 0x0
	.amdhsa_kernel _ZN7rocprim17ROCPRIM_400000_NS6detail17trampoline_kernelINS0_13select_configILj256ELj13ELNS0_17block_load_methodE3ELS4_3ELS4_3ELNS0_20block_scan_algorithmE0ELj4294967295EEENS1_25partition_config_selectorILNS1_17partition_subalgoE3EjNS0_10empty_typeEbEEZZNS1_14partition_implILS8_3ELb0ES6_jNS0_17counting_iteratorIjlEEPS9_SE_NS0_5tupleIJPjSE_EEENSF_IJSE_SE_EEES9_SG_JZNS1_25segmented_radix_sort_implINS0_14default_configELb1EPKaPaPKlPlN2at6native12_GLOBAL__N_18offset_tEEE10hipError_tPvRmT1_PNSt15iterator_traitsISY_E10value_typeET2_T3_PNSZ_IS14_E10value_typeET4_jRbjT5_S1A_jjP12ihipStream_tbEUljE_EEESV_SW_SX_S14_S18_S1A_T6_T7_T9_mT8_S1C_bDpT10_ENKUlT_T0_E_clISt17integral_constantIbLb0EES1P_EEDaS1K_S1L_EUlS1K_E_NS1_11comp_targetILNS1_3genE2ELNS1_11target_archE906ELNS1_3gpuE6ELNS1_3repE0EEENS1_30default_config_static_selectorELNS0_4arch9wavefront6targetE0EEEvSY_
		.amdhsa_group_segment_fixed_size 0
		.amdhsa_private_segment_fixed_size 0
		.amdhsa_kernarg_size 144
		.amdhsa_user_sgpr_count 6
		.amdhsa_user_sgpr_private_segment_buffer 1
		.amdhsa_user_sgpr_dispatch_ptr 0
		.amdhsa_user_sgpr_queue_ptr 0
		.amdhsa_user_sgpr_kernarg_segment_ptr 1
		.amdhsa_user_sgpr_dispatch_id 0
		.amdhsa_user_sgpr_flat_scratch_init 0
		.amdhsa_user_sgpr_private_segment_size 0
		.amdhsa_wavefront_size32 1
		.amdhsa_uses_dynamic_stack 0
		.amdhsa_system_sgpr_private_segment_wavefront_offset 0
		.amdhsa_system_sgpr_workgroup_id_x 1
		.amdhsa_system_sgpr_workgroup_id_y 0
		.amdhsa_system_sgpr_workgroup_id_z 0
		.amdhsa_system_sgpr_workgroup_info 0
		.amdhsa_system_vgpr_workitem_id 0
		.amdhsa_next_free_vgpr 1
		.amdhsa_next_free_sgpr 1
		.amdhsa_reserve_vcc 0
		.amdhsa_reserve_flat_scratch 0
		.amdhsa_float_round_mode_32 0
		.amdhsa_float_round_mode_16_64 0
		.amdhsa_float_denorm_mode_32 3
		.amdhsa_float_denorm_mode_16_64 3
		.amdhsa_dx10_clamp 1
		.amdhsa_ieee_mode 1
		.amdhsa_fp16_overflow 0
		.amdhsa_workgroup_processor_mode 1
		.amdhsa_memory_ordered 1
		.amdhsa_forward_progress 1
		.amdhsa_shared_vgpr_count 0
		.amdhsa_exception_fp_ieee_invalid_op 0
		.amdhsa_exception_fp_denorm_src 0
		.amdhsa_exception_fp_ieee_div_zero 0
		.amdhsa_exception_fp_ieee_overflow 0
		.amdhsa_exception_fp_ieee_underflow 0
		.amdhsa_exception_fp_ieee_inexact 0
		.amdhsa_exception_int_div_zero 0
	.end_amdhsa_kernel
	.section	.text._ZN7rocprim17ROCPRIM_400000_NS6detail17trampoline_kernelINS0_13select_configILj256ELj13ELNS0_17block_load_methodE3ELS4_3ELS4_3ELNS0_20block_scan_algorithmE0ELj4294967295EEENS1_25partition_config_selectorILNS1_17partition_subalgoE3EjNS0_10empty_typeEbEEZZNS1_14partition_implILS8_3ELb0ES6_jNS0_17counting_iteratorIjlEEPS9_SE_NS0_5tupleIJPjSE_EEENSF_IJSE_SE_EEES9_SG_JZNS1_25segmented_radix_sort_implINS0_14default_configELb1EPKaPaPKlPlN2at6native12_GLOBAL__N_18offset_tEEE10hipError_tPvRmT1_PNSt15iterator_traitsISY_E10value_typeET2_T3_PNSZ_IS14_E10value_typeET4_jRbjT5_S1A_jjP12ihipStream_tbEUljE_EEESV_SW_SX_S14_S18_S1A_T6_T7_T9_mT8_S1C_bDpT10_ENKUlT_T0_E_clISt17integral_constantIbLb0EES1P_EEDaS1K_S1L_EUlS1K_E_NS1_11comp_targetILNS1_3genE2ELNS1_11target_archE906ELNS1_3gpuE6ELNS1_3repE0EEENS1_30default_config_static_selectorELNS0_4arch9wavefront6targetE0EEEvSY_,"axG",@progbits,_ZN7rocprim17ROCPRIM_400000_NS6detail17trampoline_kernelINS0_13select_configILj256ELj13ELNS0_17block_load_methodE3ELS4_3ELS4_3ELNS0_20block_scan_algorithmE0ELj4294967295EEENS1_25partition_config_selectorILNS1_17partition_subalgoE3EjNS0_10empty_typeEbEEZZNS1_14partition_implILS8_3ELb0ES6_jNS0_17counting_iteratorIjlEEPS9_SE_NS0_5tupleIJPjSE_EEENSF_IJSE_SE_EEES9_SG_JZNS1_25segmented_radix_sort_implINS0_14default_configELb1EPKaPaPKlPlN2at6native12_GLOBAL__N_18offset_tEEE10hipError_tPvRmT1_PNSt15iterator_traitsISY_E10value_typeET2_T3_PNSZ_IS14_E10value_typeET4_jRbjT5_S1A_jjP12ihipStream_tbEUljE_EEESV_SW_SX_S14_S18_S1A_T6_T7_T9_mT8_S1C_bDpT10_ENKUlT_T0_E_clISt17integral_constantIbLb0EES1P_EEDaS1K_S1L_EUlS1K_E_NS1_11comp_targetILNS1_3genE2ELNS1_11target_archE906ELNS1_3gpuE6ELNS1_3repE0EEENS1_30default_config_static_selectorELNS0_4arch9wavefront6targetE0EEEvSY_,comdat
.Lfunc_end260:
	.size	_ZN7rocprim17ROCPRIM_400000_NS6detail17trampoline_kernelINS0_13select_configILj256ELj13ELNS0_17block_load_methodE3ELS4_3ELS4_3ELNS0_20block_scan_algorithmE0ELj4294967295EEENS1_25partition_config_selectorILNS1_17partition_subalgoE3EjNS0_10empty_typeEbEEZZNS1_14partition_implILS8_3ELb0ES6_jNS0_17counting_iteratorIjlEEPS9_SE_NS0_5tupleIJPjSE_EEENSF_IJSE_SE_EEES9_SG_JZNS1_25segmented_radix_sort_implINS0_14default_configELb1EPKaPaPKlPlN2at6native12_GLOBAL__N_18offset_tEEE10hipError_tPvRmT1_PNSt15iterator_traitsISY_E10value_typeET2_T3_PNSZ_IS14_E10value_typeET4_jRbjT5_S1A_jjP12ihipStream_tbEUljE_EEESV_SW_SX_S14_S18_S1A_T6_T7_T9_mT8_S1C_bDpT10_ENKUlT_T0_E_clISt17integral_constantIbLb0EES1P_EEDaS1K_S1L_EUlS1K_E_NS1_11comp_targetILNS1_3genE2ELNS1_11target_archE906ELNS1_3gpuE6ELNS1_3repE0EEENS1_30default_config_static_selectorELNS0_4arch9wavefront6targetE0EEEvSY_, .Lfunc_end260-_ZN7rocprim17ROCPRIM_400000_NS6detail17trampoline_kernelINS0_13select_configILj256ELj13ELNS0_17block_load_methodE3ELS4_3ELS4_3ELNS0_20block_scan_algorithmE0ELj4294967295EEENS1_25partition_config_selectorILNS1_17partition_subalgoE3EjNS0_10empty_typeEbEEZZNS1_14partition_implILS8_3ELb0ES6_jNS0_17counting_iteratorIjlEEPS9_SE_NS0_5tupleIJPjSE_EEENSF_IJSE_SE_EEES9_SG_JZNS1_25segmented_radix_sort_implINS0_14default_configELb1EPKaPaPKlPlN2at6native12_GLOBAL__N_18offset_tEEE10hipError_tPvRmT1_PNSt15iterator_traitsISY_E10value_typeET2_T3_PNSZ_IS14_E10value_typeET4_jRbjT5_S1A_jjP12ihipStream_tbEUljE_EEESV_SW_SX_S14_S18_S1A_T6_T7_T9_mT8_S1C_bDpT10_ENKUlT_T0_E_clISt17integral_constantIbLb0EES1P_EEDaS1K_S1L_EUlS1K_E_NS1_11comp_targetILNS1_3genE2ELNS1_11target_archE906ELNS1_3gpuE6ELNS1_3repE0EEENS1_30default_config_static_selectorELNS0_4arch9wavefront6targetE0EEEvSY_
                                        ; -- End function
	.set _ZN7rocprim17ROCPRIM_400000_NS6detail17trampoline_kernelINS0_13select_configILj256ELj13ELNS0_17block_load_methodE3ELS4_3ELS4_3ELNS0_20block_scan_algorithmE0ELj4294967295EEENS1_25partition_config_selectorILNS1_17partition_subalgoE3EjNS0_10empty_typeEbEEZZNS1_14partition_implILS8_3ELb0ES6_jNS0_17counting_iteratorIjlEEPS9_SE_NS0_5tupleIJPjSE_EEENSF_IJSE_SE_EEES9_SG_JZNS1_25segmented_radix_sort_implINS0_14default_configELb1EPKaPaPKlPlN2at6native12_GLOBAL__N_18offset_tEEE10hipError_tPvRmT1_PNSt15iterator_traitsISY_E10value_typeET2_T3_PNSZ_IS14_E10value_typeET4_jRbjT5_S1A_jjP12ihipStream_tbEUljE_EEESV_SW_SX_S14_S18_S1A_T6_T7_T9_mT8_S1C_bDpT10_ENKUlT_T0_E_clISt17integral_constantIbLb0EES1P_EEDaS1K_S1L_EUlS1K_E_NS1_11comp_targetILNS1_3genE2ELNS1_11target_archE906ELNS1_3gpuE6ELNS1_3repE0EEENS1_30default_config_static_selectorELNS0_4arch9wavefront6targetE0EEEvSY_.num_vgpr, 0
	.set _ZN7rocprim17ROCPRIM_400000_NS6detail17trampoline_kernelINS0_13select_configILj256ELj13ELNS0_17block_load_methodE3ELS4_3ELS4_3ELNS0_20block_scan_algorithmE0ELj4294967295EEENS1_25partition_config_selectorILNS1_17partition_subalgoE3EjNS0_10empty_typeEbEEZZNS1_14partition_implILS8_3ELb0ES6_jNS0_17counting_iteratorIjlEEPS9_SE_NS0_5tupleIJPjSE_EEENSF_IJSE_SE_EEES9_SG_JZNS1_25segmented_radix_sort_implINS0_14default_configELb1EPKaPaPKlPlN2at6native12_GLOBAL__N_18offset_tEEE10hipError_tPvRmT1_PNSt15iterator_traitsISY_E10value_typeET2_T3_PNSZ_IS14_E10value_typeET4_jRbjT5_S1A_jjP12ihipStream_tbEUljE_EEESV_SW_SX_S14_S18_S1A_T6_T7_T9_mT8_S1C_bDpT10_ENKUlT_T0_E_clISt17integral_constantIbLb0EES1P_EEDaS1K_S1L_EUlS1K_E_NS1_11comp_targetILNS1_3genE2ELNS1_11target_archE906ELNS1_3gpuE6ELNS1_3repE0EEENS1_30default_config_static_selectorELNS0_4arch9wavefront6targetE0EEEvSY_.num_agpr, 0
	.set _ZN7rocprim17ROCPRIM_400000_NS6detail17trampoline_kernelINS0_13select_configILj256ELj13ELNS0_17block_load_methodE3ELS4_3ELS4_3ELNS0_20block_scan_algorithmE0ELj4294967295EEENS1_25partition_config_selectorILNS1_17partition_subalgoE3EjNS0_10empty_typeEbEEZZNS1_14partition_implILS8_3ELb0ES6_jNS0_17counting_iteratorIjlEEPS9_SE_NS0_5tupleIJPjSE_EEENSF_IJSE_SE_EEES9_SG_JZNS1_25segmented_radix_sort_implINS0_14default_configELb1EPKaPaPKlPlN2at6native12_GLOBAL__N_18offset_tEEE10hipError_tPvRmT1_PNSt15iterator_traitsISY_E10value_typeET2_T3_PNSZ_IS14_E10value_typeET4_jRbjT5_S1A_jjP12ihipStream_tbEUljE_EEESV_SW_SX_S14_S18_S1A_T6_T7_T9_mT8_S1C_bDpT10_ENKUlT_T0_E_clISt17integral_constantIbLb0EES1P_EEDaS1K_S1L_EUlS1K_E_NS1_11comp_targetILNS1_3genE2ELNS1_11target_archE906ELNS1_3gpuE6ELNS1_3repE0EEENS1_30default_config_static_selectorELNS0_4arch9wavefront6targetE0EEEvSY_.numbered_sgpr, 0
	.set _ZN7rocprim17ROCPRIM_400000_NS6detail17trampoline_kernelINS0_13select_configILj256ELj13ELNS0_17block_load_methodE3ELS4_3ELS4_3ELNS0_20block_scan_algorithmE0ELj4294967295EEENS1_25partition_config_selectorILNS1_17partition_subalgoE3EjNS0_10empty_typeEbEEZZNS1_14partition_implILS8_3ELb0ES6_jNS0_17counting_iteratorIjlEEPS9_SE_NS0_5tupleIJPjSE_EEENSF_IJSE_SE_EEES9_SG_JZNS1_25segmented_radix_sort_implINS0_14default_configELb1EPKaPaPKlPlN2at6native12_GLOBAL__N_18offset_tEEE10hipError_tPvRmT1_PNSt15iterator_traitsISY_E10value_typeET2_T3_PNSZ_IS14_E10value_typeET4_jRbjT5_S1A_jjP12ihipStream_tbEUljE_EEESV_SW_SX_S14_S18_S1A_T6_T7_T9_mT8_S1C_bDpT10_ENKUlT_T0_E_clISt17integral_constantIbLb0EES1P_EEDaS1K_S1L_EUlS1K_E_NS1_11comp_targetILNS1_3genE2ELNS1_11target_archE906ELNS1_3gpuE6ELNS1_3repE0EEENS1_30default_config_static_selectorELNS0_4arch9wavefront6targetE0EEEvSY_.num_named_barrier, 0
	.set _ZN7rocprim17ROCPRIM_400000_NS6detail17trampoline_kernelINS0_13select_configILj256ELj13ELNS0_17block_load_methodE3ELS4_3ELS4_3ELNS0_20block_scan_algorithmE0ELj4294967295EEENS1_25partition_config_selectorILNS1_17partition_subalgoE3EjNS0_10empty_typeEbEEZZNS1_14partition_implILS8_3ELb0ES6_jNS0_17counting_iteratorIjlEEPS9_SE_NS0_5tupleIJPjSE_EEENSF_IJSE_SE_EEES9_SG_JZNS1_25segmented_radix_sort_implINS0_14default_configELb1EPKaPaPKlPlN2at6native12_GLOBAL__N_18offset_tEEE10hipError_tPvRmT1_PNSt15iterator_traitsISY_E10value_typeET2_T3_PNSZ_IS14_E10value_typeET4_jRbjT5_S1A_jjP12ihipStream_tbEUljE_EEESV_SW_SX_S14_S18_S1A_T6_T7_T9_mT8_S1C_bDpT10_ENKUlT_T0_E_clISt17integral_constantIbLb0EES1P_EEDaS1K_S1L_EUlS1K_E_NS1_11comp_targetILNS1_3genE2ELNS1_11target_archE906ELNS1_3gpuE6ELNS1_3repE0EEENS1_30default_config_static_selectorELNS0_4arch9wavefront6targetE0EEEvSY_.private_seg_size, 0
	.set _ZN7rocprim17ROCPRIM_400000_NS6detail17trampoline_kernelINS0_13select_configILj256ELj13ELNS0_17block_load_methodE3ELS4_3ELS4_3ELNS0_20block_scan_algorithmE0ELj4294967295EEENS1_25partition_config_selectorILNS1_17partition_subalgoE3EjNS0_10empty_typeEbEEZZNS1_14partition_implILS8_3ELb0ES6_jNS0_17counting_iteratorIjlEEPS9_SE_NS0_5tupleIJPjSE_EEENSF_IJSE_SE_EEES9_SG_JZNS1_25segmented_radix_sort_implINS0_14default_configELb1EPKaPaPKlPlN2at6native12_GLOBAL__N_18offset_tEEE10hipError_tPvRmT1_PNSt15iterator_traitsISY_E10value_typeET2_T3_PNSZ_IS14_E10value_typeET4_jRbjT5_S1A_jjP12ihipStream_tbEUljE_EEESV_SW_SX_S14_S18_S1A_T6_T7_T9_mT8_S1C_bDpT10_ENKUlT_T0_E_clISt17integral_constantIbLb0EES1P_EEDaS1K_S1L_EUlS1K_E_NS1_11comp_targetILNS1_3genE2ELNS1_11target_archE906ELNS1_3gpuE6ELNS1_3repE0EEENS1_30default_config_static_selectorELNS0_4arch9wavefront6targetE0EEEvSY_.uses_vcc, 0
	.set _ZN7rocprim17ROCPRIM_400000_NS6detail17trampoline_kernelINS0_13select_configILj256ELj13ELNS0_17block_load_methodE3ELS4_3ELS4_3ELNS0_20block_scan_algorithmE0ELj4294967295EEENS1_25partition_config_selectorILNS1_17partition_subalgoE3EjNS0_10empty_typeEbEEZZNS1_14partition_implILS8_3ELb0ES6_jNS0_17counting_iteratorIjlEEPS9_SE_NS0_5tupleIJPjSE_EEENSF_IJSE_SE_EEES9_SG_JZNS1_25segmented_radix_sort_implINS0_14default_configELb1EPKaPaPKlPlN2at6native12_GLOBAL__N_18offset_tEEE10hipError_tPvRmT1_PNSt15iterator_traitsISY_E10value_typeET2_T3_PNSZ_IS14_E10value_typeET4_jRbjT5_S1A_jjP12ihipStream_tbEUljE_EEESV_SW_SX_S14_S18_S1A_T6_T7_T9_mT8_S1C_bDpT10_ENKUlT_T0_E_clISt17integral_constantIbLb0EES1P_EEDaS1K_S1L_EUlS1K_E_NS1_11comp_targetILNS1_3genE2ELNS1_11target_archE906ELNS1_3gpuE6ELNS1_3repE0EEENS1_30default_config_static_selectorELNS0_4arch9wavefront6targetE0EEEvSY_.uses_flat_scratch, 0
	.set _ZN7rocprim17ROCPRIM_400000_NS6detail17trampoline_kernelINS0_13select_configILj256ELj13ELNS0_17block_load_methodE3ELS4_3ELS4_3ELNS0_20block_scan_algorithmE0ELj4294967295EEENS1_25partition_config_selectorILNS1_17partition_subalgoE3EjNS0_10empty_typeEbEEZZNS1_14partition_implILS8_3ELb0ES6_jNS0_17counting_iteratorIjlEEPS9_SE_NS0_5tupleIJPjSE_EEENSF_IJSE_SE_EEES9_SG_JZNS1_25segmented_radix_sort_implINS0_14default_configELb1EPKaPaPKlPlN2at6native12_GLOBAL__N_18offset_tEEE10hipError_tPvRmT1_PNSt15iterator_traitsISY_E10value_typeET2_T3_PNSZ_IS14_E10value_typeET4_jRbjT5_S1A_jjP12ihipStream_tbEUljE_EEESV_SW_SX_S14_S18_S1A_T6_T7_T9_mT8_S1C_bDpT10_ENKUlT_T0_E_clISt17integral_constantIbLb0EES1P_EEDaS1K_S1L_EUlS1K_E_NS1_11comp_targetILNS1_3genE2ELNS1_11target_archE906ELNS1_3gpuE6ELNS1_3repE0EEENS1_30default_config_static_selectorELNS0_4arch9wavefront6targetE0EEEvSY_.has_dyn_sized_stack, 0
	.set _ZN7rocprim17ROCPRIM_400000_NS6detail17trampoline_kernelINS0_13select_configILj256ELj13ELNS0_17block_load_methodE3ELS4_3ELS4_3ELNS0_20block_scan_algorithmE0ELj4294967295EEENS1_25partition_config_selectorILNS1_17partition_subalgoE3EjNS0_10empty_typeEbEEZZNS1_14partition_implILS8_3ELb0ES6_jNS0_17counting_iteratorIjlEEPS9_SE_NS0_5tupleIJPjSE_EEENSF_IJSE_SE_EEES9_SG_JZNS1_25segmented_radix_sort_implINS0_14default_configELb1EPKaPaPKlPlN2at6native12_GLOBAL__N_18offset_tEEE10hipError_tPvRmT1_PNSt15iterator_traitsISY_E10value_typeET2_T3_PNSZ_IS14_E10value_typeET4_jRbjT5_S1A_jjP12ihipStream_tbEUljE_EEESV_SW_SX_S14_S18_S1A_T6_T7_T9_mT8_S1C_bDpT10_ENKUlT_T0_E_clISt17integral_constantIbLb0EES1P_EEDaS1K_S1L_EUlS1K_E_NS1_11comp_targetILNS1_3genE2ELNS1_11target_archE906ELNS1_3gpuE6ELNS1_3repE0EEENS1_30default_config_static_selectorELNS0_4arch9wavefront6targetE0EEEvSY_.has_recursion, 0
	.set _ZN7rocprim17ROCPRIM_400000_NS6detail17trampoline_kernelINS0_13select_configILj256ELj13ELNS0_17block_load_methodE3ELS4_3ELS4_3ELNS0_20block_scan_algorithmE0ELj4294967295EEENS1_25partition_config_selectorILNS1_17partition_subalgoE3EjNS0_10empty_typeEbEEZZNS1_14partition_implILS8_3ELb0ES6_jNS0_17counting_iteratorIjlEEPS9_SE_NS0_5tupleIJPjSE_EEENSF_IJSE_SE_EEES9_SG_JZNS1_25segmented_radix_sort_implINS0_14default_configELb1EPKaPaPKlPlN2at6native12_GLOBAL__N_18offset_tEEE10hipError_tPvRmT1_PNSt15iterator_traitsISY_E10value_typeET2_T3_PNSZ_IS14_E10value_typeET4_jRbjT5_S1A_jjP12ihipStream_tbEUljE_EEESV_SW_SX_S14_S18_S1A_T6_T7_T9_mT8_S1C_bDpT10_ENKUlT_T0_E_clISt17integral_constantIbLb0EES1P_EEDaS1K_S1L_EUlS1K_E_NS1_11comp_targetILNS1_3genE2ELNS1_11target_archE906ELNS1_3gpuE6ELNS1_3repE0EEENS1_30default_config_static_selectorELNS0_4arch9wavefront6targetE0EEEvSY_.has_indirect_call, 0
	.section	.AMDGPU.csdata,"",@progbits
; Kernel info:
; codeLenInByte = 0
; TotalNumSgprs: 0
; NumVgprs: 0
; ScratchSize: 0
; MemoryBound: 0
; FloatMode: 240
; IeeeMode: 1
; LDSByteSize: 0 bytes/workgroup (compile time only)
; SGPRBlocks: 0
; VGPRBlocks: 0
; NumSGPRsForWavesPerEU: 1
; NumVGPRsForWavesPerEU: 1
; Occupancy: 16
; WaveLimiterHint : 0
; COMPUTE_PGM_RSRC2:SCRATCH_EN: 0
; COMPUTE_PGM_RSRC2:USER_SGPR: 6
; COMPUTE_PGM_RSRC2:TRAP_HANDLER: 0
; COMPUTE_PGM_RSRC2:TGID_X_EN: 1
; COMPUTE_PGM_RSRC2:TGID_Y_EN: 0
; COMPUTE_PGM_RSRC2:TGID_Z_EN: 0
; COMPUTE_PGM_RSRC2:TIDIG_COMP_CNT: 0
	.section	.text._ZN7rocprim17ROCPRIM_400000_NS6detail17trampoline_kernelINS0_13select_configILj256ELj13ELNS0_17block_load_methodE3ELS4_3ELS4_3ELNS0_20block_scan_algorithmE0ELj4294967295EEENS1_25partition_config_selectorILNS1_17partition_subalgoE3EjNS0_10empty_typeEbEEZZNS1_14partition_implILS8_3ELb0ES6_jNS0_17counting_iteratorIjlEEPS9_SE_NS0_5tupleIJPjSE_EEENSF_IJSE_SE_EEES9_SG_JZNS1_25segmented_radix_sort_implINS0_14default_configELb1EPKaPaPKlPlN2at6native12_GLOBAL__N_18offset_tEEE10hipError_tPvRmT1_PNSt15iterator_traitsISY_E10value_typeET2_T3_PNSZ_IS14_E10value_typeET4_jRbjT5_S1A_jjP12ihipStream_tbEUljE_EEESV_SW_SX_S14_S18_S1A_T6_T7_T9_mT8_S1C_bDpT10_ENKUlT_T0_E_clISt17integral_constantIbLb0EES1P_EEDaS1K_S1L_EUlS1K_E_NS1_11comp_targetILNS1_3genE10ELNS1_11target_archE1200ELNS1_3gpuE4ELNS1_3repE0EEENS1_30default_config_static_selectorELNS0_4arch9wavefront6targetE0EEEvSY_,"axG",@progbits,_ZN7rocprim17ROCPRIM_400000_NS6detail17trampoline_kernelINS0_13select_configILj256ELj13ELNS0_17block_load_methodE3ELS4_3ELS4_3ELNS0_20block_scan_algorithmE0ELj4294967295EEENS1_25partition_config_selectorILNS1_17partition_subalgoE3EjNS0_10empty_typeEbEEZZNS1_14partition_implILS8_3ELb0ES6_jNS0_17counting_iteratorIjlEEPS9_SE_NS0_5tupleIJPjSE_EEENSF_IJSE_SE_EEES9_SG_JZNS1_25segmented_radix_sort_implINS0_14default_configELb1EPKaPaPKlPlN2at6native12_GLOBAL__N_18offset_tEEE10hipError_tPvRmT1_PNSt15iterator_traitsISY_E10value_typeET2_T3_PNSZ_IS14_E10value_typeET4_jRbjT5_S1A_jjP12ihipStream_tbEUljE_EEESV_SW_SX_S14_S18_S1A_T6_T7_T9_mT8_S1C_bDpT10_ENKUlT_T0_E_clISt17integral_constantIbLb0EES1P_EEDaS1K_S1L_EUlS1K_E_NS1_11comp_targetILNS1_3genE10ELNS1_11target_archE1200ELNS1_3gpuE4ELNS1_3repE0EEENS1_30default_config_static_selectorELNS0_4arch9wavefront6targetE0EEEvSY_,comdat
	.globl	_ZN7rocprim17ROCPRIM_400000_NS6detail17trampoline_kernelINS0_13select_configILj256ELj13ELNS0_17block_load_methodE3ELS4_3ELS4_3ELNS0_20block_scan_algorithmE0ELj4294967295EEENS1_25partition_config_selectorILNS1_17partition_subalgoE3EjNS0_10empty_typeEbEEZZNS1_14partition_implILS8_3ELb0ES6_jNS0_17counting_iteratorIjlEEPS9_SE_NS0_5tupleIJPjSE_EEENSF_IJSE_SE_EEES9_SG_JZNS1_25segmented_radix_sort_implINS0_14default_configELb1EPKaPaPKlPlN2at6native12_GLOBAL__N_18offset_tEEE10hipError_tPvRmT1_PNSt15iterator_traitsISY_E10value_typeET2_T3_PNSZ_IS14_E10value_typeET4_jRbjT5_S1A_jjP12ihipStream_tbEUljE_EEESV_SW_SX_S14_S18_S1A_T6_T7_T9_mT8_S1C_bDpT10_ENKUlT_T0_E_clISt17integral_constantIbLb0EES1P_EEDaS1K_S1L_EUlS1K_E_NS1_11comp_targetILNS1_3genE10ELNS1_11target_archE1200ELNS1_3gpuE4ELNS1_3repE0EEENS1_30default_config_static_selectorELNS0_4arch9wavefront6targetE0EEEvSY_ ; -- Begin function _ZN7rocprim17ROCPRIM_400000_NS6detail17trampoline_kernelINS0_13select_configILj256ELj13ELNS0_17block_load_methodE3ELS4_3ELS4_3ELNS0_20block_scan_algorithmE0ELj4294967295EEENS1_25partition_config_selectorILNS1_17partition_subalgoE3EjNS0_10empty_typeEbEEZZNS1_14partition_implILS8_3ELb0ES6_jNS0_17counting_iteratorIjlEEPS9_SE_NS0_5tupleIJPjSE_EEENSF_IJSE_SE_EEES9_SG_JZNS1_25segmented_radix_sort_implINS0_14default_configELb1EPKaPaPKlPlN2at6native12_GLOBAL__N_18offset_tEEE10hipError_tPvRmT1_PNSt15iterator_traitsISY_E10value_typeET2_T3_PNSZ_IS14_E10value_typeET4_jRbjT5_S1A_jjP12ihipStream_tbEUljE_EEESV_SW_SX_S14_S18_S1A_T6_T7_T9_mT8_S1C_bDpT10_ENKUlT_T0_E_clISt17integral_constantIbLb0EES1P_EEDaS1K_S1L_EUlS1K_E_NS1_11comp_targetILNS1_3genE10ELNS1_11target_archE1200ELNS1_3gpuE4ELNS1_3repE0EEENS1_30default_config_static_selectorELNS0_4arch9wavefront6targetE0EEEvSY_
	.p2align	8
	.type	_ZN7rocprim17ROCPRIM_400000_NS6detail17trampoline_kernelINS0_13select_configILj256ELj13ELNS0_17block_load_methodE3ELS4_3ELS4_3ELNS0_20block_scan_algorithmE0ELj4294967295EEENS1_25partition_config_selectorILNS1_17partition_subalgoE3EjNS0_10empty_typeEbEEZZNS1_14partition_implILS8_3ELb0ES6_jNS0_17counting_iteratorIjlEEPS9_SE_NS0_5tupleIJPjSE_EEENSF_IJSE_SE_EEES9_SG_JZNS1_25segmented_radix_sort_implINS0_14default_configELb1EPKaPaPKlPlN2at6native12_GLOBAL__N_18offset_tEEE10hipError_tPvRmT1_PNSt15iterator_traitsISY_E10value_typeET2_T3_PNSZ_IS14_E10value_typeET4_jRbjT5_S1A_jjP12ihipStream_tbEUljE_EEESV_SW_SX_S14_S18_S1A_T6_T7_T9_mT8_S1C_bDpT10_ENKUlT_T0_E_clISt17integral_constantIbLb0EES1P_EEDaS1K_S1L_EUlS1K_E_NS1_11comp_targetILNS1_3genE10ELNS1_11target_archE1200ELNS1_3gpuE4ELNS1_3repE0EEENS1_30default_config_static_selectorELNS0_4arch9wavefront6targetE0EEEvSY_,@function
_ZN7rocprim17ROCPRIM_400000_NS6detail17trampoline_kernelINS0_13select_configILj256ELj13ELNS0_17block_load_methodE3ELS4_3ELS4_3ELNS0_20block_scan_algorithmE0ELj4294967295EEENS1_25partition_config_selectorILNS1_17partition_subalgoE3EjNS0_10empty_typeEbEEZZNS1_14partition_implILS8_3ELb0ES6_jNS0_17counting_iteratorIjlEEPS9_SE_NS0_5tupleIJPjSE_EEENSF_IJSE_SE_EEES9_SG_JZNS1_25segmented_radix_sort_implINS0_14default_configELb1EPKaPaPKlPlN2at6native12_GLOBAL__N_18offset_tEEE10hipError_tPvRmT1_PNSt15iterator_traitsISY_E10value_typeET2_T3_PNSZ_IS14_E10value_typeET4_jRbjT5_S1A_jjP12ihipStream_tbEUljE_EEESV_SW_SX_S14_S18_S1A_T6_T7_T9_mT8_S1C_bDpT10_ENKUlT_T0_E_clISt17integral_constantIbLb0EES1P_EEDaS1K_S1L_EUlS1K_E_NS1_11comp_targetILNS1_3genE10ELNS1_11target_archE1200ELNS1_3gpuE4ELNS1_3repE0EEENS1_30default_config_static_selectorELNS0_4arch9wavefront6targetE0EEEvSY_: ; @_ZN7rocprim17ROCPRIM_400000_NS6detail17trampoline_kernelINS0_13select_configILj256ELj13ELNS0_17block_load_methodE3ELS4_3ELS4_3ELNS0_20block_scan_algorithmE0ELj4294967295EEENS1_25partition_config_selectorILNS1_17partition_subalgoE3EjNS0_10empty_typeEbEEZZNS1_14partition_implILS8_3ELb0ES6_jNS0_17counting_iteratorIjlEEPS9_SE_NS0_5tupleIJPjSE_EEENSF_IJSE_SE_EEES9_SG_JZNS1_25segmented_radix_sort_implINS0_14default_configELb1EPKaPaPKlPlN2at6native12_GLOBAL__N_18offset_tEEE10hipError_tPvRmT1_PNSt15iterator_traitsISY_E10value_typeET2_T3_PNSZ_IS14_E10value_typeET4_jRbjT5_S1A_jjP12ihipStream_tbEUljE_EEESV_SW_SX_S14_S18_S1A_T6_T7_T9_mT8_S1C_bDpT10_ENKUlT_T0_E_clISt17integral_constantIbLb0EES1P_EEDaS1K_S1L_EUlS1K_E_NS1_11comp_targetILNS1_3genE10ELNS1_11target_archE1200ELNS1_3gpuE4ELNS1_3repE0EEENS1_30default_config_static_selectorELNS0_4arch9wavefront6targetE0EEEvSY_
; %bb.0:
	.section	.rodata,"a",@progbits
	.p2align	6, 0x0
	.amdhsa_kernel _ZN7rocprim17ROCPRIM_400000_NS6detail17trampoline_kernelINS0_13select_configILj256ELj13ELNS0_17block_load_methodE3ELS4_3ELS4_3ELNS0_20block_scan_algorithmE0ELj4294967295EEENS1_25partition_config_selectorILNS1_17partition_subalgoE3EjNS0_10empty_typeEbEEZZNS1_14partition_implILS8_3ELb0ES6_jNS0_17counting_iteratorIjlEEPS9_SE_NS0_5tupleIJPjSE_EEENSF_IJSE_SE_EEES9_SG_JZNS1_25segmented_radix_sort_implINS0_14default_configELb1EPKaPaPKlPlN2at6native12_GLOBAL__N_18offset_tEEE10hipError_tPvRmT1_PNSt15iterator_traitsISY_E10value_typeET2_T3_PNSZ_IS14_E10value_typeET4_jRbjT5_S1A_jjP12ihipStream_tbEUljE_EEESV_SW_SX_S14_S18_S1A_T6_T7_T9_mT8_S1C_bDpT10_ENKUlT_T0_E_clISt17integral_constantIbLb0EES1P_EEDaS1K_S1L_EUlS1K_E_NS1_11comp_targetILNS1_3genE10ELNS1_11target_archE1200ELNS1_3gpuE4ELNS1_3repE0EEENS1_30default_config_static_selectorELNS0_4arch9wavefront6targetE0EEEvSY_
		.amdhsa_group_segment_fixed_size 0
		.amdhsa_private_segment_fixed_size 0
		.amdhsa_kernarg_size 144
		.amdhsa_user_sgpr_count 6
		.amdhsa_user_sgpr_private_segment_buffer 1
		.amdhsa_user_sgpr_dispatch_ptr 0
		.amdhsa_user_sgpr_queue_ptr 0
		.amdhsa_user_sgpr_kernarg_segment_ptr 1
		.amdhsa_user_sgpr_dispatch_id 0
		.amdhsa_user_sgpr_flat_scratch_init 0
		.amdhsa_user_sgpr_private_segment_size 0
		.amdhsa_wavefront_size32 1
		.amdhsa_uses_dynamic_stack 0
		.amdhsa_system_sgpr_private_segment_wavefront_offset 0
		.amdhsa_system_sgpr_workgroup_id_x 1
		.amdhsa_system_sgpr_workgroup_id_y 0
		.amdhsa_system_sgpr_workgroup_id_z 0
		.amdhsa_system_sgpr_workgroup_info 0
		.amdhsa_system_vgpr_workitem_id 0
		.amdhsa_next_free_vgpr 1
		.amdhsa_next_free_sgpr 1
		.amdhsa_reserve_vcc 0
		.amdhsa_reserve_flat_scratch 0
		.amdhsa_float_round_mode_32 0
		.amdhsa_float_round_mode_16_64 0
		.amdhsa_float_denorm_mode_32 3
		.amdhsa_float_denorm_mode_16_64 3
		.amdhsa_dx10_clamp 1
		.amdhsa_ieee_mode 1
		.amdhsa_fp16_overflow 0
		.amdhsa_workgroup_processor_mode 1
		.amdhsa_memory_ordered 1
		.amdhsa_forward_progress 1
		.amdhsa_shared_vgpr_count 0
		.amdhsa_exception_fp_ieee_invalid_op 0
		.amdhsa_exception_fp_denorm_src 0
		.amdhsa_exception_fp_ieee_div_zero 0
		.amdhsa_exception_fp_ieee_overflow 0
		.amdhsa_exception_fp_ieee_underflow 0
		.amdhsa_exception_fp_ieee_inexact 0
		.amdhsa_exception_int_div_zero 0
	.end_amdhsa_kernel
	.section	.text._ZN7rocprim17ROCPRIM_400000_NS6detail17trampoline_kernelINS0_13select_configILj256ELj13ELNS0_17block_load_methodE3ELS4_3ELS4_3ELNS0_20block_scan_algorithmE0ELj4294967295EEENS1_25partition_config_selectorILNS1_17partition_subalgoE3EjNS0_10empty_typeEbEEZZNS1_14partition_implILS8_3ELb0ES6_jNS0_17counting_iteratorIjlEEPS9_SE_NS0_5tupleIJPjSE_EEENSF_IJSE_SE_EEES9_SG_JZNS1_25segmented_radix_sort_implINS0_14default_configELb1EPKaPaPKlPlN2at6native12_GLOBAL__N_18offset_tEEE10hipError_tPvRmT1_PNSt15iterator_traitsISY_E10value_typeET2_T3_PNSZ_IS14_E10value_typeET4_jRbjT5_S1A_jjP12ihipStream_tbEUljE_EEESV_SW_SX_S14_S18_S1A_T6_T7_T9_mT8_S1C_bDpT10_ENKUlT_T0_E_clISt17integral_constantIbLb0EES1P_EEDaS1K_S1L_EUlS1K_E_NS1_11comp_targetILNS1_3genE10ELNS1_11target_archE1200ELNS1_3gpuE4ELNS1_3repE0EEENS1_30default_config_static_selectorELNS0_4arch9wavefront6targetE0EEEvSY_,"axG",@progbits,_ZN7rocprim17ROCPRIM_400000_NS6detail17trampoline_kernelINS0_13select_configILj256ELj13ELNS0_17block_load_methodE3ELS4_3ELS4_3ELNS0_20block_scan_algorithmE0ELj4294967295EEENS1_25partition_config_selectorILNS1_17partition_subalgoE3EjNS0_10empty_typeEbEEZZNS1_14partition_implILS8_3ELb0ES6_jNS0_17counting_iteratorIjlEEPS9_SE_NS0_5tupleIJPjSE_EEENSF_IJSE_SE_EEES9_SG_JZNS1_25segmented_radix_sort_implINS0_14default_configELb1EPKaPaPKlPlN2at6native12_GLOBAL__N_18offset_tEEE10hipError_tPvRmT1_PNSt15iterator_traitsISY_E10value_typeET2_T3_PNSZ_IS14_E10value_typeET4_jRbjT5_S1A_jjP12ihipStream_tbEUljE_EEESV_SW_SX_S14_S18_S1A_T6_T7_T9_mT8_S1C_bDpT10_ENKUlT_T0_E_clISt17integral_constantIbLb0EES1P_EEDaS1K_S1L_EUlS1K_E_NS1_11comp_targetILNS1_3genE10ELNS1_11target_archE1200ELNS1_3gpuE4ELNS1_3repE0EEENS1_30default_config_static_selectorELNS0_4arch9wavefront6targetE0EEEvSY_,comdat
.Lfunc_end261:
	.size	_ZN7rocprim17ROCPRIM_400000_NS6detail17trampoline_kernelINS0_13select_configILj256ELj13ELNS0_17block_load_methodE3ELS4_3ELS4_3ELNS0_20block_scan_algorithmE0ELj4294967295EEENS1_25partition_config_selectorILNS1_17partition_subalgoE3EjNS0_10empty_typeEbEEZZNS1_14partition_implILS8_3ELb0ES6_jNS0_17counting_iteratorIjlEEPS9_SE_NS0_5tupleIJPjSE_EEENSF_IJSE_SE_EEES9_SG_JZNS1_25segmented_radix_sort_implINS0_14default_configELb1EPKaPaPKlPlN2at6native12_GLOBAL__N_18offset_tEEE10hipError_tPvRmT1_PNSt15iterator_traitsISY_E10value_typeET2_T3_PNSZ_IS14_E10value_typeET4_jRbjT5_S1A_jjP12ihipStream_tbEUljE_EEESV_SW_SX_S14_S18_S1A_T6_T7_T9_mT8_S1C_bDpT10_ENKUlT_T0_E_clISt17integral_constantIbLb0EES1P_EEDaS1K_S1L_EUlS1K_E_NS1_11comp_targetILNS1_3genE10ELNS1_11target_archE1200ELNS1_3gpuE4ELNS1_3repE0EEENS1_30default_config_static_selectorELNS0_4arch9wavefront6targetE0EEEvSY_, .Lfunc_end261-_ZN7rocprim17ROCPRIM_400000_NS6detail17trampoline_kernelINS0_13select_configILj256ELj13ELNS0_17block_load_methodE3ELS4_3ELS4_3ELNS0_20block_scan_algorithmE0ELj4294967295EEENS1_25partition_config_selectorILNS1_17partition_subalgoE3EjNS0_10empty_typeEbEEZZNS1_14partition_implILS8_3ELb0ES6_jNS0_17counting_iteratorIjlEEPS9_SE_NS0_5tupleIJPjSE_EEENSF_IJSE_SE_EEES9_SG_JZNS1_25segmented_radix_sort_implINS0_14default_configELb1EPKaPaPKlPlN2at6native12_GLOBAL__N_18offset_tEEE10hipError_tPvRmT1_PNSt15iterator_traitsISY_E10value_typeET2_T3_PNSZ_IS14_E10value_typeET4_jRbjT5_S1A_jjP12ihipStream_tbEUljE_EEESV_SW_SX_S14_S18_S1A_T6_T7_T9_mT8_S1C_bDpT10_ENKUlT_T0_E_clISt17integral_constantIbLb0EES1P_EEDaS1K_S1L_EUlS1K_E_NS1_11comp_targetILNS1_3genE10ELNS1_11target_archE1200ELNS1_3gpuE4ELNS1_3repE0EEENS1_30default_config_static_selectorELNS0_4arch9wavefront6targetE0EEEvSY_
                                        ; -- End function
	.set _ZN7rocprim17ROCPRIM_400000_NS6detail17trampoline_kernelINS0_13select_configILj256ELj13ELNS0_17block_load_methodE3ELS4_3ELS4_3ELNS0_20block_scan_algorithmE0ELj4294967295EEENS1_25partition_config_selectorILNS1_17partition_subalgoE3EjNS0_10empty_typeEbEEZZNS1_14partition_implILS8_3ELb0ES6_jNS0_17counting_iteratorIjlEEPS9_SE_NS0_5tupleIJPjSE_EEENSF_IJSE_SE_EEES9_SG_JZNS1_25segmented_radix_sort_implINS0_14default_configELb1EPKaPaPKlPlN2at6native12_GLOBAL__N_18offset_tEEE10hipError_tPvRmT1_PNSt15iterator_traitsISY_E10value_typeET2_T3_PNSZ_IS14_E10value_typeET4_jRbjT5_S1A_jjP12ihipStream_tbEUljE_EEESV_SW_SX_S14_S18_S1A_T6_T7_T9_mT8_S1C_bDpT10_ENKUlT_T0_E_clISt17integral_constantIbLb0EES1P_EEDaS1K_S1L_EUlS1K_E_NS1_11comp_targetILNS1_3genE10ELNS1_11target_archE1200ELNS1_3gpuE4ELNS1_3repE0EEENS1_30default_config_static_selectorELNS0_4arch9wavefront6targetE0EEEvSY_.num_vgpr, 0
	.set _ZN7rocprim17ROCPRIM_400000_NS6detail17trampoline_kernelINS0_13select_configILj256ELj13ELNS0_17block_load_methodE3ELS4_3ELS4_3ELNS0_20block_scan_algorithmE0ELj4294967295EEENS1_25partition_config_selectorILNS1_17partition_subalgoE3EjNS0_10empty_typeEbEEZZNS1_14partition_implILS8_3ELb0ES6_jNS0_17counting_iteratorIjlEEPS9_SE_NS0_5tupleIJPjSE_EEENSF_IJSE_SE_EEES9_SG_JZNS1_25segmented_radix_sort_implINS0_14default_configELb1EPKaPaPKlPlN2at6native12_GLOBAL__N_18offset_tEEE10hipError_tPvRmT1_PNSt15iterator_traitsISY_E10value_typeET2_T3_PNSZ_IS14_E10value_typeET4_jRbjT5_S1A_jjP12ihipStream_tbEUljE_EEESV_SW_SX_S14_S18_S1A_T6_T7_T9_mT8_S1C_bDpT10_ENKUlT_T0_E_clISt17integral_constantIbLb0EES1P_EEDaS1K_S1L_EUlS1K_E_NS1_11comp_targetILNS1_3genE10ELNS1_11target_archE1200ELNS1_3gpuE4ELNS1_3repE0EEENS1_30default_config_static_selectorELNS0_4arch9wavefront6targetE0EEEvSY_.num_agpr, 0
	.set _ZN7rocprim17ROCPRIM_400000_NS6detail17trampoline_kernelINS0_13select_configILj256ELj13ELNS0_17block_load_methodE3ELS4_3ELS4_3ELNS0_20block_scan_algorithmE0ELj4294967295EEENS1_25partition_config_selectorILNS1_17partition_subalgoE3EjNS0_10empty_typeEbEEZZNS1_14partition_implILS8_3ELb0ES6_jNS0_17counting_iteratorIjlEEPS9_SE_NS0_5tupleIJPjSE_EEENSF_IJSE_SE_EEES9_SG_JZNS1_25segmented_radix_sort_implINS0_14default_configELb1EPKaPaPKlPlN2at6native12_GLOBAL__N_18offset_tEEE10hipError_tPvRmT1_PNSt15iterator_traitsISY_E10value_typeET2_T3_PNSZ_IS14_E10value_typeET4_jRbjT5_S1A_jjP12ihipStream_tbEUljE_EEESV_SW_SX_S14_S18_S1A_T6_T7_T9_mT8_S1C_bDpT10_ENKUlT_T0_E_clISt17integral_constantIbLb0EES1P_EEDaS1K_S1L_EUlS1K_E_NS1_11comp_targetILNS1_3genE10ELNS1_11target_archE1200ELNS1_3gpuE4ELNS1_3repE0EEENS1_30default_config_static_selectorELNS0_4arch9wavefront6targetE0EEEvSY_.numbered_sgpr, 0
	.set _ZN7rocprim17ROCPRIM_400000_NS6detail17trampoline_kernelINS0_13select_configILj256ELj13ELNS0_17block_load_methodE3ELS4_3ELS4_3ELNS0_20block_scan_algorithmE0ELj4294967295EEENS1_25partition_config_selectorILNS1_17partition_subalgoE3EjNS0_10empty_typeEbEEZZNS1_14partition_implILS8_3ELb0ES6_jNS0_17counting_iteratorIjlEEPS9_SE_NS0_5tupleIJPjSE_EEENSF_IJSE_SE_EEES9_SG_JZNS1_25segmented_radix_sort_implINS0_14default_configELb1EPKaPaPKlPlN2at6native12_GLOBAL__N_18offset_tEEE10hipError_tPvRmT1_PNSt15iterator_traitsISY_E10value_typeET2_T3_PNSZ_IS14_E10value_typeET4_jRbjT5_S1A_jjP12ihipStream_tbEUljE_EEESV_SW_SX_S14_S18_S1A_T6_T7_T9_mT8_S1C_bDpT10_ENKUlT_T0_E_clISt17integral_constantIbLb0EES1P_EEDaS1K_S1L_EUlS1K_E_NS1_11comp_targetILNS1_3genE10ELNS1_11target_archE1200ELNS1_3gpuE4ELNS1_3repE0EEENS1_30default_config_static_selectorELNS0_4arch9wavefront6targetE0EEEvSY_.num_named_barrier, 0
	.set _ZN7rocprim17ROCPRIM_400000_NS6detail17trampoline_kernelINS0_13select_configILj256ELj13ELNS0_17block_load_methodE3ELS4_3ELS4_3ELNS0_20block_scan_algorithmE0ELj4294967295EEENS1_25partition_config_selectorILNS1_17partition_subalgoE3EjNS0_10empty_typeEbEEZZNS1_14partition_implILS8_3ELb0ES6_jNS0_17counting_iteratorIjlEEPS9_SE_NS0_5tupleIJPjSE_EEENSF_IJSE_SE_EEES9_SG_JZNS1_25segmented_radix_sort_implINS0_14default_configELb1EPKaPaPKlPlN2at6native12_GLOBAL__N_18offset_tEEE10hipError_tPvRmT1_PNSt15iterator_traitsISY_E10value_typeET2_T3_PNSZ_IS14_E10value_typeET4_jRbjT5_S1A_jjP12ihipStream_tbEUljE_EEESV_SW_SX_S14_S18_S1A_T6_T7_T9_mT8_S1C_bDpT10_ENKUlT_T0_E_clISt17integral_constantIbLb0EES1P_EEDaS1K_S1L_EUlS1K_E_NS1_11comp_targetILNS1_3genE10ELNS1_11target_archE1200ELNS1_3gpuE4ELNS1_3repE0EEENS1_30default_config_static_selectorELNS0_4arch9wavefront6targetE0EEEvSY_.private_seg_size, 0
	.set _ZN7rocprim17ROCPRIM_400000_NS6detail17trampoline_kernelINS0_13select_configILj256ELj13ELNS0_17block_load_methodE3ELS4_3ELS4_3ELNS0_20block_scan_algorithmE0ELj4294967295EEENS1_25partition_config_selectorILNS1_17partition_subalgoE3EjNS0_10empty_typeEbEEZZNS1_14partition_implILS8_3ELb0ES6_jNS0_17counting_iteratorIjlEEPS9_SE_NS0_5tupleIJPjSE_EEENSF_IJSE_SE_EEES9_SG_JZNS1_25segmented_radix_sort_implINS0_14default_configELb1EPKaPaPKlPlN2at6native12_GLOBAL__N_18offset_tEEE10hipError_tPvRmT1_PNSt15iterator_traitsISY_E10value_typeET2_T3_PNSZ_IS14_E10value_typeET4_jRbjT5_S1A_jjP12ihipStream_tbEUljE_EEESV_SW_SX_S14_S18_S1A_T6_T7_T9_mT8_S1C_bDpT10_ENKUlT_T0_E_clISt17integral_constantIbLb0EES1P_EEDaS1K_S1L_EUlS1K_E_NS1_11comp_targetILNS1_3genE10ELNS1_11target_archE1200ELNS1_3gpuE4ELNS1_3repE0EEENS1_30default_config_static_selectorELNS0_4arch9wavefront6targetE0EEEvSY_.uses_vcc, 0
	.set _ZN7rocprim17ROCPRIM_400000_NS6detail17trampoline_kernelINS0_13select_configILj256ELj13ELNS0_17block_load_methodE3ELS4_3ELS4_3ELNS0_20block_scan_algorithmE0ELj4294967295EEENS1_25partition_config_selectorILNS1_17partition_subalgoE3EjNS0_10empty_typeEbEEZZNS1_14partition_implILS8_3ELb0ES6_jNS0_17counting_iteratorIjlEEPS9_SE_NS0_5tupleIJPjSE_EEENSF_IJSE_SE_EEES9_SG_JZNS1_25segmented_radix_sort_implINS0_14default_configELb1EPKaPaPKlPlN2at6native12_GLOBAL__N_18offset_tEEE10hipError_tPvRmT1_PNSt15iterator_traitsISY_E10value_typeET2_T3_PNSZ_IS14_E10value_typeET4_jRbjT5_S1A_jjP12ihipStream_tbEUljE_EEESV_SW_SX_S14_S18_S1A_T6_T7_T9_mT8_S1C_bDpT10_ENKUlT_T0_E_clISt17integral_constantIbLb0EES1P_EEDaS1K_S1L_EUlS1K_E_NS1_11comp_targetILNS1_3genE10ELNS1_11target_archE1200ELNS1_3gpuE4ELNS1_3repE0EEENS1_30default_config_static_selectorELNS0_4arch9wavefront6targetE0EEEvSY_.uses_flat_scratch, 0
	.set _ZN7rocprim17ROCPRIM_400000_NS6detail17trampoline_kernelINS0_13select_configILj256ELj13ELNS0_17block_load_methodE3ELS4_3ELS4_3ELNS0_20block_scan_algorithmE0ELj4294967295EEENS1_25partition_config_selectorILNS1_17partition_subalgoE3EjNS0_10empty_typeEbEEZZNS1_14partition_implILS8_3ELb0ES6_jNS0_17counting_iteratorIjlEEPS9_SE_NS0_5tupleIJPjSE_EEENSF_IJSE_SE_EEES9_SG_JZNS1_25segmented_radix_sort_implINS0_14default_configELb1EPKaPaPKlPlN2at6native12_GLOBAL__N_18offset_tEEE10hipError_tPvRmT1_PNSt15iterator_traitsISY_E10value_typeET2_T3_PNSZ_IS14_E10value_typeET4_jRbjT5_S1A_jjP12ihipStream_tbEUljE_EEESV_SW_SX_S14_S18_S1A_T6_T7_T9_mT8_S1C_bDpT10_ENKUlT_T0_E_clISt17integral_constantIbLb0EES1P_EEDaS1K_S1L_EUlS1K_E_NS1_11comp_targetILNS1_3genE10ELNS1_11target_archE1200ELNS1_3gpuE4ELNS1_3repE0EEENS1_30default_config_static_selectorELNS0_4arch9wavefront6targetE0EEEvSY_.has_dyn_sized_stack, 0
	.set _ZN7rocprim17ROCPRIM_400000_NS6detail17trampoline_kernelINS0_13select_configILj256ELj13ELNS0_17block_load_methodE3ELS4_3ELS4_3ELNS0_20block_scan_algorithmE0ELj4294967295EEENS1_25partition_config_selectorILNS1_17partition_subalgoE3EjNS0_10empty_typeEbEEZZNS1_14partition_implILS8_3ELb0ES6_jNS0_17counting_iteratorIjlEEPS9_SE_NS0_5tupleIJPjSE_EEENSF_IJSE_SE_EEES9_SG_JZNS1_25segmented_radix_sort_implINS0_14default_configELb1EPKaPaPKlPlN2at6native12_GLOBAL__N_18offset_tEEE10hipError_tPvRmT1_PNSt15iterator_traitsISY_E10value_typeET2_T3_PNSZ_IS14_E10value_typeET4_jRbjT5_S1A_jjP12ihipStream_tbEUljE_EEESV_SW_SX_S14_S18_S1A_T6_T7_T9_mT8_S1C_bDpT10_ENKUlT_T0_E_clISt17integral_constantIbLb0EES1P_EEDaS1K_S1L_EUlS1K_E_NS1_11comp_targetILNS1_3genE10ELNS1_11target_archE1200ELNS1_3gpuE4ELNS1_3repE0EEENS1_30default_config_static_selectorELNS0_4arch9wavefront6targetE0EEEvSY_.has_recursion, 0
	.set _ZN7rocprim17ROCPRIM_400000_NS6detail17trampoline_kernelINS0_13select_configILj256ELj13ELNS0_17block_load_methodE3ELS4_3ELS4_3ELNS0_20block_scan_algorithmE0ELj4294967295EEENS1_25partition_config_selectorILNS1_17partition_subalgoE3EjNS0_10empty_typeEbEEZZNS1_14partition_implILS8_3ELb0ES6_jNS0_17counting_iteratorIjlEEPS9_SE_NS0_5tupleIJPjSE_EEENSF_IJSE_SE_EEES9_SG_JZNS1_25segmented_radix_sort_implINS0_14default_configELb1EPKaPaPKlPlN2at6native12_GLOBAL__N_18offset_tEEE10hipError_tPvRmT1_PNSt15iterator_traitsISY_E10value_typeET2_T3_PNSZ_IS14_E10value_typeET4_jRbjT5_S1A_jjP12ihipStream_tbEUljE_EEESV_SW_SX_S14_S18_S1A_T6_T7_T9_mT8_S1C_bDpT10_ENKUlT_T0_E_clISt17integral_constantIbLb0EES1P_EEDaS1K_S1L_EUlS1K_E_NS1_11comp_targetILNS1_3genE10ELNS1_11target_archE1200ELNS1_3gpuE4ELNS1_3repE0EEENS1_30default_config_static_selectorELNS0_4arch9wavefront6targetE0EEEvSY_.has_indirect_call, 0
	.section	.AMDGPU.csdata,"",@progbits
; Kernel info:
; codeLenInByte = 0
; TotalNumSgprs: 0
; NumVgprs: 0
; ScratchSize: 0
; MemoryBound: 0
; FloatMode: 240
; IeeeMode: 1
; LDSByteSize: 0 bytes/workgroup (compile time only)
; SGPRBlocks: 0
; VGPRBlocks: 0
; NumSGPRsForWavesPerEU: 1
; NumVGPRsForWavesPerEU: 1
; Occupancy: 16
; WaveLimiterHint : 0
; COMPUTE_PGM_RSRC2:SCRATCH_EN: 0
; COMPUTE_PGM_RSRC2:USER_SGPR: 6
; COMPUTE_PGM_RSRC2:TRAP_HANDLER: 0
; COMPUTE_PGM_RSRC2:TGID_X_EN: 1
; COMPUTE_PGM_RSRC2:TGID_Y_EN: 0
; COMPUTE_PGM_RSRC2:TGID_Z_EN: 0
; COMPUTE_PGM_RSRC2:TIDIG_COMP_CNT: 0
	.section	.text._ZN7rocprim17ROCPRIM_400000_NS6detail17trampoline_kernelINS0_13select_configILj256ELj13ELNS0_17block_load_methodE3ELS4_3ELS4_3ELNS0_20block_scan_algorithmE0ELj4294967295EEENS1_25partition_config_selectorILNS1_17partition_subalgoE3EjNS0_10empty_typeEbEEZZNS1_14partition_implILS8_3ELb0ES6_jNS0_17counting_iteratorIjlEEPS9_SE_NS0_5tupleIJPjSE_EEENSF_IJSE_SE_EEES9_SG_JZNS1_25segmented_radix_sort_implINS0_14default_configELb1EPKaPaPKlPlN2at6native12_GLOBAL__N_18offset_tEEE10hipError_tPvRmT1_PNSt15iterator_traitsISY_E10value_typeET2_T3_PNSZ_IS14_E10value_typeET4_jRbjT5_S1A_jjP12ihipStream_tbEUljE_EEESV_SW_SX_S14_S18_S1A_T6_T7_T9_mT8_S1C_bDpT10_ENKUlT_T0_E_clISt17integral_constantIbLb0EES1P_EEDaS1K_S1L_EUlS1K_E_NS1_11comp_targetILNS1_3genE9ELNS1_11target_archE1100ELNS1_3gpuE3ELNS1_3repE0EEENS1_30default_config_static_selectorELNS0_4arch9wavefront6targetE0EEEvSY_,"axG",@progbits,_ZN7rocprim17ROCPRIM_400000_NS6detail17trampoline_kernelINS0_13select_configILj256ELj13ELNS0_17block_load_methodE3ELS4_3ELS4_3ELNS0_20block_scan_algorithmE0ELj4294967295EEENS1_25partition_config_selectorILNS1_17partition_subalgoE3EjNS0_10empty_typeEbEEZZNS1_14partition_implILS8_3ELb0ES6_jNS0_17counting_iteratorIjlEEPS9_SE_NS0_5tupleIJPjSE_EEENSF_IJSE_SE_EEES9_SG_JZNS1_25segmented_radix_sort_implINS0_14default_configELb1EPKaPaPKlPlN2at6native12_GLOBAL__N_18offset_tEEE10hipError_tPvRmT1_PNSt15iterator_traitsISY_E10value_typeET2_T3_PNSZ_IS14_E10value_typeET4_jRbjT5_S1A_jjP12ihipStream_tbEUljE_EEESV_SW_SX_S14_S18_S1A_T6_T7_T9_mT8_S1C_bDpT10_ENKUlT_T0_E_clISt17integral_constantIbLb0EES1P_EEDaS1K_S1L_EUlS1K_E_NS1_11comp_targetILNS1_3genE9ELNS1_11target_archE1100ELNS1_3gpuE3ELNS1_3repE0EEENS1_30default_config_static_selectorELNS0_4arch9wavefront6targetE0EEEvSY_,comdat
	.globl	_ZN7rocprim17ROCPRIM_400000_NS6detail17trampoline_kernelINS0_13select_configILj256ELj13ELNS0_17block_load_methodE3ELS4_3ELS4_3ELNS0_20block_scan_algorithmE0ELj4294967295EEENS1_25partition_config_selectorILNS1_17partition_subalgoE3EjNS0_10empty_typeEbEEZZNS1_14partition_implILS8_3ELb0ES6_jNS0_17counting_iteratorIjlEEPS9_SE_NS0_5tupleIJPjSE_EEENSF_IJSE_SE_EEES9_SG_JZNS1_25segmented_radix_sort_implINS0_14default_configELb1EPKaPaPKlPlN2at6native12_GLOBAL__N_18offset_tEEE10hipError_tPvRmT1_PNSt15iterator_traitsISY_E10value_typeET2_T3_PNSZ_IS14_E10value_typeET4_jRbjT5_S1A_jjP12ihipStream_tbEUljE_EEESV_SW_SX_S14_S18_S1A_T6_T7_T9_mT8_S1C_bDpT10_ENKUlT_T0_E_clISt17integral_constantIbLb0EES1P_EEDaS1K_S1L_EUlS1K_E_NS1_11comp_targetILNS1_3genE9ELNS1_11target_archE1100ELNS1_3gpuE3ELNS1_3repE0EEENS1_30default_config_static_selectorELNS0_4arch9wavefront6targetE0EEEvSY_ ; -- Begin function _ZN7rocprim17ROCPRIM_400000_NS6detail17trampoline_kernelINS0_13select_configILj256ELj13ELNS0_17block_load_methodE3ELS4_3ELS4_3ELNS0_20block_scan_algorithmE0ELj4294967295EEENS1_25partition_config_selectorILNS1_17partition_subalgoE3EjNS0_10empty_typeEbEEZZNS1_14partition_implILS8_3ELb0ES6_jNS0_17counting_iteratorIjlEEPS9_SE_NS0_5tupleIJPjSE_EEENSF_IJSE_SE_EEES9_SG_JZNS1_25segmented_radix_sort_implINS0_14default_configELb1EPKaPaPKlPlN2at6native12_GLOBAL__N_18offset_tEEE10hipError_tPvRmT1_PNSt15iterator_traitsISY_E10value_typeET2_T3_PNSZ_IS14_E10value_typeET4_jRbjT5_S1A_jjP12ihipStream_tbEUljE_EEESV_SW_SX_S14_S18_S1A_T6_T7_T9_mT8_S1C_bDpT10_ENKUlT_T0_E_clISt17integral_constantIbLb0EES1P_EEDaS1K_S1L_EUlS1K_E_NS1_11comp_targetILNS1_3genE9ELNS1_11target_archE1100ELNS1_3gpuE3ELNS1_3repE0EEENS1_30default_config_static_selectorELNS0_4arch9wavefront6targetE0EEEvSY_
	.p2align	8
	.type	_ZN7rocprim17ROCPRIM_400000_NS6detail17trampoline_kernelINS0_13select_configILj256ELj13ELNS0_17block_load_methodE3ELS4_3ELS4_3ELNS0_20block_scan_algorithmE0ELj4294967295EEENS1_25partition_config_selectorILNS1_17partition_subalgoE3EjNS0_10empty_typeEbEEZZNS1_14partition_implILS8_3ELb0ES6_jNS0_17counting_iteratorIjlEEPS9_SE_NS0_5tupleIJPjSE_EEENSF_IJSE_SE_EEES9_SG_JZNS1_25segmented_radix_sort_implINS0_14default_configELb1EPKaPaPKlPlN2at6native12_GLOBAL__N_18offset_tEEE10hipError_tPvRmT1_PNSt15iterator_traitsISY_E10value_typeET2_T3_PNSZ_IS14_E10value_typeET4_jRbjT5_S1A_jjP12ihipStream_tbEUljE_EEESV_SW_SX_S14_S18_S1A_T6_T7_T9_mT8_S1C_bDpT10_ENKUlT_T0_E_clISt17integral_constantIbLb0EES1P_EEDaS1K_S1L_EUlS1K_E_NS1_11comp_targetILNS1_3genE9ELNS1_11target_archE1100ELNS1_3gpuE3ELNS1_3repE0EEENS1_30default_config_static_selectorELNS0_4arch9wavefront6targetE0EEEvSY_,@function
_ZN7rocprim17ROCPRIM_400000_NS6detail17trampoline_kernelINS0_13select_configILj256ELj13ELNS0_17block_load_methodE3ELS4_3ELS4_3ELNS0_20block_scan_algorithmE0ELj4294967295EEENS1_25partition_config_selectorILNS1_17partition_subalgoE3EjNS0_10empty_typeEbEEZZNS1_14partition_implILS8_3ELb0ES6_jNS0_17counting_iteratorIjlEEPS9_SE_NS0_5tupleIJPjSE_EEENSF_IJSE_SE_EEES9_SG_JZNS1_25segmented_radix_sort_implINS0_14default_configELb1EPKaPaPKlPlN2at6native12_GLOBAL__N_18offset_tEEE10hipError_tPvRmT1_PNSt15iterator_traitsISY_E10value_typeET2_T3_PNSZ_IS14_E10value_typeET4_jRbjT5_S1A_jjP12ihipStream_tbEUljE_EEESV_SW_SX_S14_S18_S1A_T6_T7_T9_mT8_S1C_bDpT10_ENKUlT_T0_E_clISt17integral_constantIbLb0EES1P_EEDaS1K_S1L_EUlS1K_E_NS1_11comp_targetILNS1_3genE9ELNS1_11target_archE1100ELNS1_3gpuE3ELNS1_3repE0EEENS1_30default_config_static_selectorELNS0_4arch9wavefront6targetE0EEEvSY_: ; @_ZN7rocprim17ROCPRIM_400000_NS6detail17trampoline_kernelINS0_13select_configILj256ELj13ELNS0_17block_load_methodE3ELS4_3ELS4_3ELNS0_20block_scan_algorithmE0ELj4294967295EEENS1_25partition_config_selectorILNS1_17partition_subalgoE3EjNS0_10empty_typeEbEEZZNS1_14partition_implILS8_3ELb0ES6_jNS0_17counting_iteratorIjlEEPS9_SE_NS0_5tupleIJPjSE_EEENSF_IJSE_SE_EEES9_SG_JZNS1_25segmented_radix_sort_implINS0_14default_configELb1EPKaPaPKlPlN2at6native12_GLOBAL__N_18offset_tEEE10hipError_tPvRmT1_PNSt15iterator_traitsISY_E10value_typeET2_T3_PNSZ_IS14_E10value_typeET4_jRbjT5_S1A_jjP12ihipStream_tbEUljE_EEESV_SW_SX_S14_S18_S1A_T6_T7_T9_mT8_S1C_bDpT10_ENKUlT_T0_E_clISt17integral_constantIbLb0EES1P_EEDaS1K_S1L_EUlS1K_E_NS1_11comp_targetILNS1_3genE9ELNS1_11target_archE1100ELNS1_3gpuE3ELNS1_3repE0EEENS1_30default_config_static_selectorELNS0_4arch9wavefront6targetE0EEEvSY_
; %bb.0:
	.section	.rodata,"a",@progbits
	.p2align	6, 0x0
	.amdhsa_kernel _ZN7rocprim17ROCPRIM_400000_NS6detail17trampoline_kernelINS0_13select_configILj256ELj13ELNS0_17block_load_methodE3ELS4_3ELS4_3ELNS0_20block_scan_algorithmE0ELj4294967295EEENS1_25partition_config_selectorILNS1_17partition_subalgoE3EjNS0_10empty_typeEbEEZZNS1_14partition_implILS8_3ELb0ES6_jNS0_17counting_iteratorIjlEEPS9_SE_NS0_5tupleIJPjSE_EEENSF_IJSE_SE_EEES9_SG_JZNS1_25segmented_radix_sort_implINS0_14default_configELb1EPKaPaPKlPlN2at6native12_GLOBAL__N_18offset_tEEE10hipError_tPvRmT1_PNSt15iterator_traitsISY_E10value_typeET2_T3_PNSZ_IS14_E10value_typeET4_jRbjT5_S1A_jjP12ihipStream_tbEUljE_EEESV_SW_SX_S14_S18_S1A_T6_T7_T9_mT8_S1C_bDpT10_ENKUlT_T0_E_clISt17integral_constantIbLb0EES1P_EEDaS1K_S1L_EUlS1K_E_NS1_11comp_targetILNS1_3genE9ELNS1_11target_archE1100ELNS1_3gpuE3ELNS1_3repE0EEENS1_30default_config_static_selectorELNS0_4arch9wavefront6targetE0EEEvSY_
		.amdhsa_group_segment_fixed_size 0
		.amdhsa_private_segment_fixed_size 0
		.amdhsa_kernarg_size 144
		.amdhsa_user_sgpr_count 6
		.amdhsa_user_sgpr_private_segment_buffer 1
		.amdhsa_user_sgpr_dispatch_ptr 0
		.amdhsa_user_sgpr_queue_ptr 0
		.amdhsa_user_sgpr_kernarg_segment_ptr 1
		.amdhsa_user_sgpr_dispatch_id 0
		.amdhsa_user_sgpr_flat_scratch_init 0
		.amdhsa_user_sgpr_private_segment_size 0
		.amdhsa_wavefront_size32 1
		.amdhsa_uses_dynamic_stack 0
		.amdhsa_system_sgpr_private_segment_wavefront_offset 0
		.amdhsa_system_sgpr_workgroup_id_x 1
		.amdhsa_system_sgpr_workgroup_id_y 0
		.amdhsa_system_sgpr_workgroup_id_z 0
		.amdhsa_system_sgpr_workgroup_info 0
		.amdhsa_system_vgpr_workitem_id 0
		.amdhsa_next_free_vgpr 1
		.amdhsa_next_free_sgpr 1
		.amdhsa_reserve_vcc 0
		.amdhsa_reserve_flat_scratch 0
		.amdhsa_float_round_mode_32 0
		.amdhsa_float_round_mode_16_64 0
		.amdhsa_float_denorm_mode_32 3
		.amdhsa_float_denorm_mode_16_64 3
		.amdhsa_dx10_clamp 1
		.amdhsa_ieee_mode 1
		.amdhsa_fp16_overflow 0
		.amdhsa_workgroup_processor_mode 1
		.amdhsa_memory_ordered 1
		.amdhsa_forward_progress 1
		.amdhsa_shared_vgpr_count 0
		.amdhsa_exception_fp_ieee_invalid_op 0
		.amdhsa_exception_fp_denorm_src 0
		.amdhsa_exception_fp_ieee_div_zero 0
		.amdhsa_exception_fp_ieee_overflow 0
		.amdhsa_exception_fp_ieee_underflow 0
		.amdhsa_exception_fp_ieee_inexact 0
		.amdhsa_exception_int_div_zero 0
	.end_amdhsa_kernel
	.section	.text._ZN7rocprim17ROCPRIM_400000_NS6detail17trampoline_kernelINS0_13select_configILj256ELj13ELNS0_17block_load_methodE3ELS4_3ELS4_3ELNS0_20block_scan_algorithmE0ELj4294967295EEENS1_25partition_config_selectorILNS1_17partition_subalgoE3EjNS0_10empty_typeEbEEZZNS1_14partition_implILS8_3ELb0ES6_jNS0_17counting_iteratorIjlEEPS9_SE_NS0_5tupleIJPjSE_EEENSF_IJSE_SE_EEES9_SG_JZNS1_25segmented_radix_sort_implINS0_14default_configELb1EPKaPaPKlPlN2at6native12_GLOBAL__N_18offset_tEEE10hipError_tPvRmT1_PNSt15iterator_traitsISY_E10value_typeET2_T3_PNSZ_IS14_E10value_typeET4_jRbjT5_S1A_jjP12ihipStream_tbEUljE_EEESV_SW_SX_S14_S18_S1A_T6_T7_T9_mT8_S1C_bDpT10_ENKUlT_T0_E_clISt17integral_constantIbLb0EES1P_EEDaS1K_S1L_EUlS1K_E_NS1_11comp_targetILNS1_3genE9ELNS1_11target_archE1100ELNS1_3gpuE3ELNS1_3repE0EEENS1_30default_config_static_selectorELNS0_4arch9wavefront6targetE0EEEvSY_,"axG",@progbits,_ZN7rocprim17ROCPRIM_400000_NS6detail17trampoline_kernelINS0_13select_configILj256ELj13ELNS0_17block_load_methodE3ELS4_3ELS4_3ELNS0_20block_scan_algorithmE0ELj4294967295EEENS1_25partition_config_selectorILNS1_17partition_subalgoE3EjNS0_10empty_typeEbEEZZNS1_14partition_implILS8_3ELb0ES6_jNS0_17counting_iteratorIjlEEPS9_SE_NS0_5tupleIJPjSE_EEENSF_IJSE_SE_EEES9_SG_JZNS1_25segmented_radix_sort_implINS0_14default_configELb1EPKaPaPKlPlN2at6native12_GLOBAL__N_18offset_tEEE10hipError_tPvRmT1_PNSt15iterator_traitsISY_E10value_typeET2_T3_PNSZ_IS14_E10value_typeET4_jRbjT5_S1A_jjP12ihipStream_tbEUljE_EEESV_SW_SX_S14_S18_S1A_T6_T7_T9_mT8_S1C_bDpT10_ENKUlT_T0_E_clISt17integral_constantIbLb0EES1P_EEDaS1K_S1L_EUlS1K_E_NS1_11comp_targetILNS1_3genE9ELNS1_11target_archE1100ELNS1_3gpuE3ELNS1_3repE0EEENS1_30default_config_static_selectorELNS0_4arch9wavefront6targetE0EEEvSY_,comdat
.Lfunc_end262:
	.size	_ZN7rocprim17ROCPRIM_400000_NS6detail17trampoline_kernelINS0_13select_configILj256ELj13ELNS0_17block_load_methodE3ELS4_3ELS4_3ELNS0_20block_scan_algorithmE0ELj4294967295EEENS1_25partition_config_selectorILNS1_17partition_subalgoE3EjNS0_10empty_typeEbEEZZNS1_14partition_implILS8_3ELb0ES6_jNS0_17counting_iteratorIjlEEPS9_SE_NS0_5tupleIJPjSE_EEENSF_IJSE_SE_EEES9_SG_JZNS1_25segmented_radix_sort_implINS0_14default_configELb1EPKaPaPKlPlN2at6native12_GLOBAL__N_18offset_tEEE10hipError_tPvRmT1_PNSt15iterator_traitsISY_E10value_typeET2_T3_PNSZ_IS14_E10value_typeET4_jRbjT5_S1A_jjP12ihipStream_tbEUljE_EEESV_SW_SX_S14_S18_S1A_T6_T7_T9_mT8_S1C_bDpT10_ENKUlT_T0_E_clISt17integral_constantIbLb0EES1P_EEDaS1K_S1L_EUlS1K_E_NS1_11comp_targetILNS1_3genE9ELNS1_11target_archE1100ELNS1_3gpuE3ELNS1_3repE0EEENS1_30default_config_static_selectorELNS0_4arch9wavefront6targetE0EEEvSY_, .Lfunc_end262-_ZN7rocprim17ROCPRIM_400000_NS6detail17trampoline_kernelINS0_13select_configILj256ELj13ELNS0_17block_load_methodE3ELS4_3ELS4_3ELNS0_20block_scan_algorithmE0ELj4294967295EEENS1_25partition_config_selectorILNS1_17partition_subalgoE3EjNS0_10empty_typeEbEEZZNS1_14partition_implILS8_3ELb0ES6_jNS0_17counting_iteratorIjlEEPS9_SE_NS0_5tupleIJPjSE_EEENSF_IJSE_SE_EEES9_SG_JZNS1_25segmented_radix_sort_implINS0_14default_configELb1EPKaPaPKlPlN2at6native12_GLOBAL__N_18offset_tEEE10hipError_tPvRmT1_PNSt15iterator_traitsISY_E10value_typeET2_T3_PNSZ_IS14_E10value_typeET4_jRbjT5_S1A_jjP12ihipStream_tbEUljE_EEESV_SW_SX_S14_S18_S1A_T6_T7_T9_mT8_S1C_bDpT10_ENKUlT_T0_E_clISt17integral_constantIbLb0EES1P_EEDaS1K_S1L_EUlS1K_E_NS1_11comp_targetILNS1_3genE9ELNS1_11target_archE1100ELNS1_3gpuE3ELNS1_3repE0EEENS1_30default_config_static_selectorELNS0_4arch9wavefront6targetE0EEEvSY_
                                        ; -- End function
	.set _ZN7rocprim17ROCPRIM_400000_NS6detail17trampoline_kernelINS0_13select_configILj256ELj13ELNS0_17block_load_methodE3ELS4_3ELS4_3ELNS0_20block_scan_algorithmE0ELj4294967295EEENS1_25partition_config_selectorILNS1_17partition_subalgoE3EjNS0_10empty_typeEbEEZZNS1_14partition_implILS8_3ELb0ES6_jNS0_17counting_iteratorIjlEEPS9_SE_NS0_5tupleIJPjSE_EEENSF_IJSE_SE_EEES9_SG_JZNS1_25segmented_radix_sort_implINS0_14default_configELb1EPKaPaPKlPlN2at6native12_GLOBAL__N_18offset_tEEE10hipError_tPvRmT1_PNSt15iterator_traitsISY_E10value_typeET2_T3_PNSZ_IS14_E10value_typeET4_jRbjT5_S1A_jjP12ihipStream_tbEUljE_EEESV_SW_SX_S14_S18_S1A_T6_T7_T9_mT8_S1C_bDpT10_ENKUlT_T0_E_clISt17integral_constantIbLb0EES1P_EEDaS1K_S1L_EUlS1K_E_NS1_11comp_targetILNS1_3genE9ELNS1_11target_archE1100ELNS1_3gpuE3ELNS1_3repE0EEENS1_30default_config_static_selectorELNS0_4arch9wavefront6targetE0EEEvSY_.num_vgpr, 0
	.set _ZN7rocprim17ROCPRIM_400000_NS6detail17trampoline_kernelINS0_13select_configILj256ELj13ELNS0_17block_load_methodE3ELS4_3ELS4_3ELNS0_20block_scan_algorithmE0ELj4294967295EEENS1_25partition_config_selectorILNS1_17partition_subalgoE3EjNS0_10empty_typeEbEEZZNS1_14partition_implILS8_3ELb0ES6_jNS0_17counting_iteratorIjlEEPS9_SE_NS0_5tupleIJPjSE_EEENSF_IJSE_SE_EEES9_SG_JZNS1_25segmented_radix_sort_implINS0_14default_configELb1EPKaPaPKlPlN2at6native12_GLOBAL__N_18offset_tEEE10hipError_tPvRmT1_PNSt15iterator_traitsISY_E10value_typeET2_T3_PNSZ_IS14_E10value_typeET4_jRbjT5_S1A_jjP12ihipStream_tbEUljE_EEESV_SW_SX_S14_S18_S1A_T6_T7_T9_mT8_S1C_bDpT10_ENKUlT_T0_E_clISt17integral_constantIbLb0EES1P_EEDaS1K_S1L_EUlS1K_E_NS1_11comp_targetILNS1_3genE9ELNS1_11target_archE1100ELNS1_3gpuE3ELNS1_3repE0EEENS1_30default_config_static_selectorELNS0_4arch9wavefront6targetE0EEEvSY_.num_agpr, 0
	.set _ZN7rocprim17ROCPRIM_400000_NS6detail17trampoline_kernelINS0_13select_configILj256ELj13ELNS0_17block_load_methodE3ELS4_3ELS4_3ELNS0_20block_scan_algorithmE0ELj4294967295EEENS1_25partition_config_selectorILNS1_17partition_subalgoE3EjNS0_10empty_typeEbEEZZNS1_14partition_implILS8_3ELb0ES6_jNS0_17counting_iteratorIjlEEPS9_SE_NS0_5tupleIJPjSE_EEENSF_IJSE_SE_EEES9_SG_JZNS1_25segmented_radix_sort_implINS0_14default_configELb1EPKaPaPKlPlN2at6native12_GLOBAL__N_18offset_tEEE10hipError_tPvRmT1_PNSt15iterator_traitsISY_E10value_typeET2_T3_PNSZ_IS14_E10value_typeET4_jRbjT5_S1A_jjP12ihipStream_tbEUljE_EEESV_SW_SX_S14_S18_S1A_T6_T7_T9_mT8_S1C_bDpT10_ENKUlT_T0_E_clISt17integral_constantIbLb0EES1P_EEDaS1K_S1L_EUlS1K_E_NS1_11comp_targetILNS1_3genE9ELNS1_11target_archE1100ELNS1_3gpuE3ELNS1_3repE0EEENS1_30default_config_static_selectorELNS0_4arch9wavefront6targetE0EEEvSY_.numbered_sgpr, 0
	.set _ZN7rocprim17ROCPRIM_400000_NS6detail17trampoline_kernelINS0_13select_configILj256ELj13ELNS0_17block_load_methodE3ELS4_3ELS4_3ELNS0_20block_scan_algorithmE0ELj4294967295EEENS1_25partition_config_selectorILNS1_17partition_subalgoE3EjNS0_10empty_typeEbEEZZNS1_14partition_implILS8_3ELb0ES6_jNS0_17counting_iteratorIjlEEPS9_SE_NS0_5tupleIJPjSE_EEENSF_IJSE_SE_EEES9_SG_JZNS1_25segmented_radix_sort_implINS0_14default_configELb1EPKaPaPKlPlN2at6native12_GLOBAL__N_18offset_tEEE10hipError_tPvRmT1_PNSt15iterator_traitsISY_E10value_typeET2_T3_PNSZ_IS14_E10value_typeET4_jRbjT5_S1A_jjP12ihipStream_tbEUljE_EEESV_SW_SX_S14_S18_S1A_T6_T7_T9_mT8_S1C_bDpT10_ENKUlT_T0_E_clISt17integral_constantIbLb0EES1P_EEDaS1K_S1L_EUlS1K_E_NS1_11comp_targetILNS1_3genE9ELNS1_11target_archE1100ELNS1_3gpuE3ELNS1_3repE0EEENS1_30default_config_static_selectorELNS0_4arch9wavefront6targetE0EEEvSY_.num_named_barrier, 0
	.set _ZN7rocprim17ROCPRIM_400000_NS6detail17trampoline_kernelINS0_13select_configILj256ELj13ELNS0_17block_load_methodE3ELS4_3ELS4_3ELNS0_20block_scan_algorithmE0ELj4294967295EEENS1_25partition_config_selectorILNS1_17partition_subalgoE3EjNS0_10empty_typeEbEEZZNS1_14partition_implILS8_3ELb0ES6_jNS0_17counting_iteratorIjlEEPS9_SE_NS0_5tupleIJPjSE_EEENSF_IJSE_SE_EEES9_SG_JZNS1_25segmented_radix_sort_implINS0_14default_configELb1EPKaPaPKlPlN2at6native12_GLOBAL__N_18offset_tEEE10hipError_tPvRmT1_PNSt15iterator_traitsISY_E10value_typeET2_T3_PNSZ_IS14_E10value_typeET4_jRbjT5_S1A_jjP12ihipStream_tbEUljE_EEESV_SW_SX_S14_S18_S1A_T6_T7_T9_mT8_S1C_bDpT10_ENKUlT_T0_E_clISt17integral_constantIbLb0EES1P_EEDaS1K_S1L_EUlS1K_E_NS1_11comp_targetILNS1_3genE9ELNS1_11target_archE1100ELNS1_3gpuE3ELNS1_3repE0EEENS1_30default_config_static_selectorELNS0_4arch9wavefront6targetE0EEEvSY_.private_seg_size, 0
	.set _ZN7rocprim17ROCPRIM_400000_NS6detail17trampoline_kernelINS0_13select_configILj256ELj13ELNS0_17block_load_methodE3ELS4_3ELS4_3ELNS0_20block_scan_algorithmE0ELj4294967295EEENS1_25partition_config_selectorILNS1_17partition_subalgoE3EjNS0_10empty_typeEbEEZZNS1_14partition_implILS8_3ELb0ES6_jNS0_17counting_iteratorIjlEEPS9_SE_NS0_5tupleIJPjSE_EEENSF_IJSE_SE_EEES9_SG_JZNS1_25segmented_radix_sort_implINS0_14default_configELb1EPKaPaPKlPlN2at6native12_GLOBAL__N_18offset_tEEE10hipError_tPvRmT1_PNSt15iterator_traitsISY_E10value_typeET2_T3_PNSZ_IS14_E10value_typeET4_jRbjT5_S1A_jjP12ihipStream_tbEUljE_EEESV_SW_SX_S14_S18_S1A_T6_T7_T9_mT8_S1C_bDpT10_ENKUlT_T0_E_clISt17integral_constantIbLb0EES1P_EEDaS1K_S1L_EUlS1K_E_NS1_11comp_targetILNS1_3genE9ELNS1_11target_archE1100ELNS1_3gpuE3ELNS1_3repE0EEENS1_30default_config_static_selectorELNS0_4arch9wavefront6targetE0EEEvSY_.uses_vcc, 0
	.set _ZN7rocprim17ROCPRIM_400000_NS6detail17trampoline_kernelINS0_13select_configILj256ELj13ELNS0_17block_load_methodE3ELS4_3ELS4_3ELNS0_20block_scan_algorithmE0ELj4294967295EEENS1_25partition_config_selectorILNS1_17partition_subalgoE3EjNS0_10empty_typeEbEEZZNS1_14partition_implILS8_3ELb0ES6_jNS0_17counting_iteratorIjlEEPS9_SE_NS0_5tupleIJPjSE_EEENSF_IJSE_SE_EEES9_SG_JZNS1_25segmented_radix_sort_implINS0_14default_configELb1EPKaPaPKlPlN2at6native12_GLOBAL__N_18offset_tEEE10hipError_tPvRmT1_PNSt15iterator_traitsISY_E10value_typeET2_T3_PNSZ_IS14_E10value_typeET4_jRbjT5_S1A_jjP12ihipStream_tbEUljE_EEESV_SW_SX_S14_S18_S1A_T6_T7_T9_mT8_S1C_bDpT10_ENKUlT_T0_E_clISt17integral_constantIbLb0EES1P_EEDaS1K_S1L_EUlS1K_E_NS1_11comp_targetILNS1_3genE9ELNS1_11target_archE1100ELNS1_3gpuE3ELNS1_3repE0EEENS1_30default_config_static_selectorELNS0_4arch9wavefront6targetE0EEEvSY_.uses_flat_scratch, 0
	.set _ZN7rocprim17ROCPRIM_400000_NS6detail17trampoline_kernelINS0_13select_configILj256ELj13ELNS0_17block_load_methodE3ELS4_3ELS4_3ELNS0_20block_scan_algorithmE0ELj4294967295EEENS1_25partition_config_selectorILNS1_17partition_subalgoE3EjNS0_10empty_typeEbEEZZNS1_14partition_implILS8_3ELb0ES6_jNS0_17counting_iteratorIjlEEPS9_SE_NS0_5tupleIJPjSE_EEENSF_IJSE_SE_EEES9_SG_JZNS1_25segmented_radix_sort_implINS0_14default_configELb1EPKaPaPKlPlN2at6native12_GLOBAL__N_18offset_tEEE10hipError_tPvRmT1_PNSt15iterator_traitsISY_E10value_typeET2_T3_PNSZ_IS14_E10value_typeET4_jRbjT5_S1A_jjP12ihipStream_tbEUljE_EEESV_SW_SX_S14_S18_S1A_T6_T7_T9_mT8_S1C_bDpT10_ENKUlT_T0_E_clISt17integral_constantIbLb0EES1P_EEDaS1K_S1L_EUlS1K_E_NS1_11comp_targetILNS1_3genE9ELNS1_11target_archE1100ELNS1_3gpuE3ELNS1_3repE0EEENS1_30default_config_static_selectorELNS0_4arch9wavefront6targetE0EEEvSY_.has_dyn_sized_stack, 0
	.set _ZN7rocprim17ROCPRIM_400000_NS6detail17trampoline_kernelINS0_13select_configILj256ELj13ELNS0_17block_load_methodE3ELS4_3ELS4_3ELNS0_20block_scan_algorithmE0ELj4294967295EEENS1_25partition_config_selectorILNS1_17partition_subalgoE3EjNS0_10empty_typeEbEEZZNS1_14partition_implILS8_3ELb0ES6_jNS0_17counting_iteratorIjlEEPS9_SE_NS0_5tupleIJPjSE_EEENSF_IJSE_SE_EEES9_SG_JZNS1_25segmented_radix_sort_implINS0_14default_configELb1EPKaPaPKlPlN2at6native12_GLOBAL__N_18offset_tEEE10hipError_tPvRmT1_PNSt15iterator_traitsISY_E10value_typeET2_T3_PNSZ_IS14_E10value_typeET4_jRbjT5_S1A_jjP12ihipStream_tbEUljE_EEESV_SW_SX_S14_S18_S1A_T6_T7_T9_mT8_S1C_bDpT10_ENKUlT_T0_E_clISt17integral_constantIbLb0EES1P_EEDaS1K_S1L_EUlS1K_E_NS1_11comp_targetILNS1_3genE9ELNS1_11target_archE1100ELNS1_3gpuE3ELNS1_3repE0EEENS1_30default_config_static_selectorELNS0_4arch9wavefront6targetE0EEEvSY_.has_recursion, 0
	.set _ZN7rocprim17ROCPRIM_400000_NS6detail17trampoline_kernelINS0_13select_configILj256ELj13ELNS0_17block_load_methodE3ELS4_3ELS4_3ELNS0_20block_scan_algorithmE0ELj4294967295EEENS1_25partition_config_selectorILNS1_17partition_subalgoE3EjNS0_10empty_typeEbEEZZNS1_14partition_implILS8_3ELb0ES6_jNS0_17counting_iteratorIjlEEPS9_SE_NS0_5tupleIJPjSE_EEENSF_IJSE_SE_EEES9_SG_JZNS1_25segmented_radix_sort_implINS0_14default_configELb1EPKaPaPKlPlN2at6native12_GLOBAL__N_18offset_tEEE10hipError_tPvRmT1_PNSt15iterator_traitsISY_E10value_typeET2_T3_PNSZ_IS14_E10value_typeET4_jRbjT5_S1A_jjP12ihipStream_tbEUljE_EEESV_SW_SX_S14_S18_S1A_T6_T7_T9_mT8_S1C_bDpT10_ENKUlT_T0_E_clISt17integral_constantIbLb0EES1P_EEDaS1K_S1L_EUlS1K_E_NS1_11comp_targetILNS1_3genE9ELNS1_11target_archE1100ELNS1_3gpuE3ELNS1_3repE0EEENS1_30default_config_static_selectorELNS0_4arch9wavefront6targetE0EEEvSY_.has_indirect_call, 0
	.section	.AMDGPU.csdata,"",@progbits
; Kernel info:
; codeLenInByte = 0
; TotalNumSgprs: 0
; NumVgprs: 0
; ScratchSize: 0
; MemoryBound: 0
; FloatMode: 240
; IeeeMode: 1
; LDSByteSize: 0 bytes/workgroup (compile time only)
; SGPRBlocks: 0
; VGPRBlocks: 0
; NumSGPRsForWavesPerEU: 1
; NumVGPRsForWavesPerEU: 1
; Occupancy: 16
; WaveLimiterHint : 0
; COMPUTE_PGM_RSRC2:SCRATCH_EN: 0
; COMPUTE_PGM_RSRC2:USER_SGPR: 6
; COMPUTE_PGM_RSRC2:TRAP_HANDLER: 0
; COMPUTE_PGM_RSRC2:TGID_X_EN: 1
; COMPUTE_PGM_RSRC2:TGID_Y_EN: 0
; COMPUTE_PGM_RSRC2:TGID_Z_EN: 0
; COMPUTE_PGM_RSRC2:TIDIG_COMP_CNT: 0
	.section	.text._ZN7rocprim17ROCPRIM_400000_NS6detail17trampoline_kernelINS0_13select_configILj256ELj13ELNS0_17block_load_methodE3ELS4_3ELS4_3ELNS0_20block_scan_algorithmE0ELj4294967295EEENS1_25partition_config_selectorILNS1_17partition_subalgoE3EjNS0_10empty_typeEbEEZZNS1_14partition_implILS8_3ELb0ES6_jNS0_17counting_iteratorIjlEEPS9_SE_NS0_5tupleIJPjSE_EEENSF_IJSE_SE_EEES9_SG_JZNS1_25segmented_radix_sort_implINS0_14default_configELb1EPKaPaPKlPlN2at6native12_GLOBAL__N_18offset_tEEE10hipError_tPvRmT1_PNSt15iterator_traitsISY_E10value_typeET2_T3_PNSZ_IS14_E10value_typeET4_jRbjT5_S1A_jjP12ihipStream_tbEUljE_EEESV_SW_SX_S14_S18_S1A_T6_T7_T9_mT8_S1C_bDpT10_ENKUlT_T0_E_clISt17integral_constantIbLb0EES1P_EEDaS1K_S1L_EUlS1K_E_NS1_11comp_targetILNS1_3genE8ELNS1_11target_archE1030ELNS1_3gpuE2ELNS1_3repE0EEENS1_30default_config_static_selectorELNS0_4arch9wavefront6targetE0EEEvSY_,"axG",@progbits,_ZN7rocprim17ROCPRIM_400000_NS6detail17trampoline_kernelINS0_13select_configILj256ELj13ELNS0_17block_load_methodE3ELS4_3ELS4_3ELNS0_20block_scan_algorithmE0ELj4294967295EEENS1_25partition_config_selectorILNS1_17partition_subalgoE3EjNS0_10empty_typeEbEEZZNS1_14partition_implILS8_3ELb0ES6_jNS0_17counting_iteratorIjlEEPS9_SE_NS0_5tupleIJPjSE_EEENSF_IJSE_SE_EEES9_SG_JZNS1_25segmented_radix_sort_implINS0_14default_configELb1EPKaPaPKlPlN2at6native12_GLOBAL__N_18offset_tEEE10hipError_tPvRmT1_PNSt15iterator_traitsISY_E10value_typeET2_T3_PNSZ_IS14_E10value_typeET4_jRbjT5_S1A_jjP12ihipStream_tbEUljE_EEESV_SW_SX_S14_S18_S1A_T6_T7_T9_mT8_S1C_bDpT10_ENKUlT_T0_E_clISt17integral_constantIbLb0EES1P_EEDaS1K_S1L_EUlS1K_E_NS1_11comp_targetILNS1_3genE8ELNS1_11target_archE1030ELNS1_3gpuE2ELNS1_3repE0EEENS1_30default_config_static_selectorELNS0_4arch9wavefront6targetE0EEEvSY_,comdat
	.globl	_ZN7rocprim17ROCPRIM_400000_NS6detail17trampoline_kernelINS0_13select_configILj256ELj13ELNS0_17block_load_methodE3ELS4_3ELS4_3ELNS0_20block_scan_algorithmE0ELj4294967295EEENS1_25partition_config_selectorILNS1_17partition_subalgoE3EjNS0_10empty_typeEbEEZZNS1_14partition_implILS8_3ELb0ES6_jNS0_17counting_iteratorIjlEEPS9_SE_NS0_5tupleIJPjSE_EEENSF_IJSE_SE_EEES9_SG_JZNS1_25segmented_radix_sort_implINS0_14default_configELb1EPKaPaPKlPlN2at6native12_GLOBAL__N_18offset_tEEE10hipError_tPvRmT1_PNSt15iterator_traitsISY_E10value_typeET2_T3_PNSZ_IS14_E10value_typeET4_jRbjT5_S1A_jjP12ihipStream_tbEUljE_EEESV_SW_SX_S14_S18_S1A_T6_T7_T9_mT8_S1C_bDpT10_ENKUlT_T0_E_clISt17integral_constantIbLb0EES1P_EEDaS1K_S1L_EUlS1K_E_NS1_11comp_targetILNS1_3genE8ELNS1_11target_archE1030ELNS1_3gpuE2ELNS1_3repE0EEENS1_30default_config_static_selectorELNS0_4arch9wavefront6targetE0EEEvSY_ ; -- Begin function _ZN7rocprim17ROCPRIM_400000_NS6detail17trampoline_kernelINS0_13select_configILj256ELj13ELNS0_17block_load_methodE3ELS4_3ELS4_3ELNS0_20block_scan_algorithmE0ELj4294967295EEENS1_25partition_config_selectorILNS1_17partition_subalgoE3EjNS0_10empty_typeEbEEZZNS1_14partition_implILS8_3ELb0ES6_jNS0_17counting_iteratorIjlEEPS9_SE_NS0_5tupleIJPjSE_EEENSF_IJSE_SE_EEES9_SG_JZNS1_25segmented_radix_sort_implINS0_14default_configELb1EPKaPaPKlPlN2at6native12_GLOBAL__N_18offset_tEEE10hipError_tPvRmT1_PNSt15iterator_traitsISY_E10value_typeET2_T3_PNSZ_IS14_E10value_typeET4_jRbjT5_S1A_jjP12ihipStream_tbEUljE_EEESV_SW_SX_S14_S18_S1A_T6_T7_T9_mT8_S1C_bDpT10_ENKUlT_T0_E_clISt17integral_constantIbLb0EES1P_EEDaS1K_S1L_EUlS1K_E_NS1_11comp_targetILNS1_3genE8ELNS1_11target_archE1030ELNS1_3gpuE2ELNS1_3repE0EEENS1_30default_config_static_selectorELNS0_4arch9wavefront6targetE0EEEvSY_
	.p2align	8
	.type	_ZN7rocprim17ROCPRIM_400000_NS6detail17trampoline_kernelINS0_13select_configILj256ELj13ELNS0_17block_load_methodE3ELS4_3ELS4_3ELNS0_20block_scan_algorithmE0ELj4294967295EEENS1_25partition_config_selectorILNS1_17partition_subalgoE3EjNS0_10empty_typeEbEEZZNS1_14partition_implILS8_3ELb0ES6_jNS0_17counting_iteratorIjlEEPS9_SE_NS0_5tupleIJPjSE_EEENSF_IJSE_SE_EEES9_SG_JZNS1_25segmented_radix_sort_implINS0_14default_configELb1EPKaPaPKlPlN2at6native12_GLOBAL__N_18offset_tEEE10hipError_tPvRmT1_PNSt15iterator_traitsISY_E10value_typeET2_T3_PNSZ_IS14_E10value_typeET4_jRbjT5_S1A_jjP12ihipStream_tbEUljE_EEESV_SW_SX_S14_S18_S1A_T6_T7_T9_mT8_S1C_bDpT10_ENKUlT_T0_E_clISt17integral_constantIbLb0EES1P_EEDaS1K_S1L_EUlS1K_E_NS1_11comp_targetILNS1_3genE8ELNS1_11target_archE1030ELNS1_3gpuE2ELNS1_3repE0EEENS1_30default_config_static_selectorELNS0_4arch9wavefront6targetE0EEEvSY_,@function
_ZN7rocprim17ROCPRIM_400000_NS6detail17trampoline_kernelINS0_13select_configILj256ELj13ELNS0_17block_load_methodE3ELS4_3ELS4_3ELNS0_20block_scan_algorithmE0ELj4294967295EEENS1_25partition_config_selectorILNS1_17partition_subalgoE3EjNS0_10empty_typeEbEEZZNS1_14partition_implILS8_3ELb0ES6_jNS0_17counting_iteratorIjlEEPS9_SE_NS0_5tupleIJPjSE_EEENSF_IJSE_SE_EEES9_SG_JZNS1_25segmented_radix_sort_implINS0_14default_configELb1EPKaPaPKlPlN2at6native12_GLOBAL__N_18offset_tEEE10hipError_tPvRmT1_PNSt15iterator_traitsISY_E10value_typeET2_T3_PNSZ_IS14_E10value_typeET4_jRbjT5_S1A_jjP12ihipStream_tbEUljE_EEESV_SW_SX_S14_S18_S1A_T6_T7_T9_mT8_S1C_bDpT10_ENKUlT_T0_E_clISt17integral_constantIbLb0EES1P_EEDaS1K_S1L_EUlS1K_E_NS1_11comp_targetILNS1_3genE8ELNS1_11target_archE1030ELNS1_3gpuE2ELNS1_3repE0EEENS1_30default_config_static_selectorELNS0_4arch9wavefront6targetE0EEEvSY_: ; @_ZN7rocprim17ROCPRIM_400000_NS6detail17trampoline_kernelINS0_13select_configILj256ELj13ELNS0_17block_load_methodE3ELS4_3ELS4_3ELNS0_20block_scan_algorithmE0ELj4294967295EEENS1_25partition_config_selectorILNS1_17partition_subalgoE3EjNS0_10empty_typeEbEEZZNS1_14partition_implILS8_3ELb0ES6_jNS0_17counting_iteratorIjlEEPS9_SE_NS0_5tupleIJPjSE_EEENSF_IJSE_SE_EEES9_SG_JZNS1_25segmented_radix_sort_implINS0_14default_configELb1EPKaPaPKlPlN2at6native12_GLOBAL__N_18offset_tEEE10hipError_tPvRmT1_PNSt15iterator_traitsISY_E10value_typeET2_T3_PNSZ_IS14_E10value_typeET4_jRbjT5_S1A_jjP12ihipStream_tbEUljE_EEESV_SW_SX_S14_S18_S1A_T6_T7_T9_mT8_S1C_bDpT10_ENKUlT_T0_E_clISt17integral_constantIbLb0EES1P_EEDaS1K_S1L_EUlS1K_E_NS1_11comp_targetILNS1_3genE8ELNS1_11target_archE1030ELNS1_3gpuE2ELNS1_3repE0EEENS1_30default_config_static_selectorELNS0_4arch9wavefront6targetE0EEEvSY_
; %bb.0:
	s_clause 0x6
	s_load_dword s0, s[4:5], 0x70
	s_load_dwordx2 s[16:17], s[4:5], 0x10
	s_load_dwordx4 s[12:15], s[4:5], 0x48
	s_load_dwordx2 s[18:19], s[4:5], 0x58
	s_load_dword s7, s[4:5], 0x8
	s_load_dwordx4 s[8:11], s[4:5], 0x78
	s_load_dword s1, s[4:5], 0x88
	s_mul_i32 s26, s6, 0xd00
	v_lshlrev_b32_e32 v42, 2, v0
	s_waitcnt lgkmcnt(0)
	s_mul_i32 s2, s0, 0xd00
	s_add_i32 s0, s0, -1
	s_add_i32 s3, s2, s16
	s_load_dwordx2 s[20:21], s[14:15], 0x0
	s_sub_i32 s25, s18, s3
	s_addk_i32 s25, 0xd00
	s_add_u32 s2, s16, s2
	s_addc_u32 s3, s17, 0
	s_cmp_eq_u32 s6, s0
	v_cmp_gt_u64_e64 s2, s[18:19], s[2:3]
	s_cselect_b32 s24, -1, 0
	s_cmp_lg_u32 s6, s0
	s_cselect_b32 s0, -1, 0
	s_add_i32 s3, s7, s26
	s_or_b32 s2, s0, s2
	s_add_i32 s3, s3, s16
	s_and_b32 vcc_lo, exec_lo, s2
	v_add_nc_u32_e32 v1, s3, v0
	s_mov_b32 s7, -1
	s_cbranch_vccz .LBB263_2
; %bb.1:
	v_add_nc_u32_e32 v2, 0x100, v1
	v_add_nc_u32_e32 v3, 0x200, v1
	;; [unrolled: 1-line block ×12, first 2 shown]
	ds_write2st64_b32 v42, v1, v2 offset1:4
	ds_write2st64_b32 v42, v3, v4 offset0:8 offset1:12
	ds_write2st64_b32 v42, v5, v6 offset0:16 offset1:20
	;; [unrolled: 1-line block ×5, first 2 shown]
	ds_write_b32 v42, v13 offset:12288
	s_waitcnt lgkmcnt(0)
	s_mov_b32 s7, 0
	s_barrier
.LBB263_2:
	v_cmp_gt_u32_e64 s0, s25, v0
	v_or_b32_e32 v41, 0x100, v0
	v_or_b32_e32 v40, 0x200, v0
	;; [unrolled: 1-line block ×12, first 2 shown]
	s_andn2_b32 vcc_lo, exec_lo, s7
	s_cbranch_vccnz .LBB263_4
; %bb.3:
	v_add_nc_u32_e32 v2, s3, v41
	v_cmp_gt_u32_e32 vcc_lo, s25, v41
	v_add_nc_u32_e32 v3, s3, v40
	v_add_nc_u32_e32 v4, s3, v39
	;; [unrolled: 1-line block ×4, first 2 shown]
	v_cndmask_b32_e32 v2, 0, v2, vcc_lo
	v_cmp_gt_u32_e32 vcc_lo, s25, v40
	v_add_nc_u32_e32 v7, s3, v36
	v_add_nc_u32_e32 v8, s3, v35
	;; [unrolled: 1-line block ×4, first 2 shown]
	v_cndmask_b32_e32 v3, 0, v3, vcc_lo
	v_cmp_gt_u32_e32 vcc_lo, s25, v39
	v_add_nc_u32_e32 v11, s3, v32
	v_add_nc_u32_e32 v12, s3, v31
	v_cndmask_b32_e64 v1, 0, v1, s0
	v_add_nc_u32_e32 v13, s3, v30
	v_cndmask_b32_e32 v4, 0, v4, vcc_lo
	v_cmp_gt_u32_e32 vcc_lo, s25, v38
	v_cndmask_b32_e32 v5, 0, v5, vcc_lo
	v_cmp_gt_u32_e32 vcc_lo, s25, v37
	;; [unrolled: 2-line block ×9, first 2 shown]
	v_cndmask_b32_e32 v13, 0, v13, vcc_lo
	ds_write2st64_b32 v42, v1, v2 offset1:4
	ds_write2st64_b32 v42, v3, v4 offset0:8 offset1:12
	ds_write2st64_b32 v42, v5, v6 offset0:16 offset1:20
	;; [unrolled: 1-line block ×5, first 2 shown]
	ds_write_b32 v42, v13 offset:12288
	s_waitcnt lgkmcnt(0)
	s_barrier
.LBB263_4:
	v_mul_u32_u24_e32 v45, 13, v0
	s_waitcnt lgkmcnt(0)
	buffer_gl0_inv
	v_cndmask_b32_e64 v43, 0, 1, s2
	s_andn2_b32 vcc_lo, exec_lo, s2
	v_lshlrev_b32_e32 v1, 2, v45
	ds_read2_b32 v[26:27], v1 offset0:2 offset1:3
	ds_read2_b32 v[22:23], v1 offset0:6 offset1:7
	;; [unrolled: 1-line block ×3, first 2 shown]
	ds_read2_b32 v[28:29], v1 offset1:1
	ds_read2_b32 v[18:19], v1 offset0:10 offset1:11
	ds_read_b32 v44, v1 offset:48
	ds_read2_b32 v[20:21], v1 offset0:8 offset1:9
	s_waitcnt lgkmcnt(0)
	s_barrier
	buffer_gl0_inv
	s_cbranch_vccnz .LBB263_6
; %bb.5:
	v_add_nc_u32_e32 v1, s9, v27
	v_add_nc_u32_e32 v4, s9, v26
	;; [unrolled: 1-line block ×6, first 2 shown]
	v_mul_lo_u32 v4, v4, s8
	v_mul_lo_u32 v1, v1, s8
	;; [unrolled: 1-line block ×4, first 2 shown]
	v_add_nc_u32_e32 v3, s9, v28
	v_add_nc_u32_e32 v7, s11, v28
	v_mul_lo_u32 v2, v2, s8
	v_mul_lo_u32 v6, v6, s10
	v_add_nc_u32_e32 v10, s11, v25
	v_mul_lo_u32 v3, v3, s8
	v_mul_lo_u32 v7, v7, s10
	v_sub_nc_u32_e32 v1, v1, v5
	v_sub_nc_u32_e32 v4, v4, v8
	v_add_nc_u32_e32 v5, s9, v23
	v_add_nc_u32_e32 v8, s11, v23
	v_sub_nc_u32_e32 v2, v2, v6
	v_add_nc_u32_e32 v6, s9, v25
	v_add_nc_u32_e32 v9, s9, v22
	v_mul_lo_u32 v5, v5, s8
	v_mul_lo_u32 v8, v8, s10
	v_sub_nc_u32_e32 v3, v3, v7
	v_add_nc_u32_e32 v7, s9, v24
	v_add_nc_u32_e32 v11, s11, v22
	v_mul_lo_u32 v6, v6, s8
	v_mul_lo_u32 v10, v10, s10
	v_add_nc_u32_e32 v12, s11, v24
	v_mul_lo_u32 v9, v9, s8
	v_mul_lo_u32 v7, v7, s8
	;; [unrolled: 1-line block ×3, first 2 shown]
	v_sub_nc_u32_e32 v5, v5, v8
	v_mul_lo_u32 v8, v12, s10
	v_cmp_lt_u32_e32 vcc_lo, s1, v1
	v_sub_nc_u32_e32 v6, v6, v10
	v_add_nc_u32_e32 v10, s9, v19
	v_add_nc_u32_e32 v14, s11, v19
	v_add_nc_u32_e32 v15, s11, v21
	v_cndmask_b32_e64 v1, 0, 1, vcc_lo
	v_cmp_lt_u32_e32 vcc_lo, s1, v2
	v_sub_nc_u32_e32 v7, v7, v8
	v_sub_nc_u32_e32 v8, v9, v11
	v_add_nc_u32_e32 v11, s9, v21
	v_mul_lo_u32 v10, v10, s8
	v_mul_lo_u32 v14, v14, s10
	v_cndmask_b32_e64 v2, 0, 1, vcc_lo
	v_cmp_lt_u32_e32 vcc_lo, s1, v5
	v_mul_lo_u32 v11, v11, s8
	v_mul_lo_u32 v15, v15, s10
	v_mov_b32_e32 v9, 8
	v_lshlrev_b16 v2, 8, v2
	v_cndmask_b32_e64 v5, 0, 1, vcc_lo
	v_cmp_lt_u32_e32 vcc_lo, s1, v6
	v_sub_nc_u32_e32 v10, v10, v14
	v_add_nc_u32_e32 v12, s9, v20
	v_add_nc_u32_e32 v16, s11, v20
	v_sub_nc_u32_e32 v11, v11, v15
	v_cndmask_b32_e64 v6, 0, 1, vcc_lo
	v_cmp_lt_u32_e32 vcc_lo, s1, v10
	v_lshrrev_b32_sdwa v2, v9, v2 dst_sel:BYTE_1 dst_unused:UNUSED_PAD src0_sel:DWORD src1_sel:DWORD
	v_add_nc_u32_e32 v13, s9, v18
	v_add_nc_u32_e32 v17, s11, v18
	v_mul_lo_u32 v12, v12, s8
	v_cndmask_b32_e64 v10, 0, 1, vcc_lo
	v_cmp_lt_u32_e32 vcc_lo, s1, v11
	v_mul_lo_u32 v16, v16, s10
	v_mul_lo_u32 v13, v13, s8
	v_mul_lo_u32 v17, v17, s10
	v_add_nc_u32_e32 v14, s9, v44
	v_cndmask_b32_e64 v11, 0, 1, vcc_lo
	v_cmp_lt_u32_e32 vcc_lo, s1, v3
	v_add_nc_u32_e32 v15, s11, v44
	v_lshlrev_b16 v1, 8, v1
	v_sub_nc_u32_e32 v12, v12, v16
	v_lshlrev_b16 v11, 8, v11
	v_cndmask_b32_e64 v3, 0, 1, vcc_lo
	v_cmp_lt_u32_e32 vcc_lo, s1, v4
	v_sub_nc_u32_e32 v13, v13, v17
	v_mul_lo_u32 v14, v14, s8
	v_mul_lo_u32 v15, v15, s10
	v_or_b32_e32 v2, v3, v2
	v_cndmask_b32_e64 v3, 0, 1, vcc_lo
	v_cmp_lt_u32_e32 vcc_lo, s1, v7
	v_lshlrev_b16 v6, 8, v6
	v_lshlrev_b16 v10, 8, v10
	;; [unrolled: 1-line block ×3, first 2 shown]
	v_lshrrev_b32_sdwa v1, v9, v1 dst_sel:BYTE_1 dst_unused:UNUSED_PAD src0_sel:DWORD src1_sel:DWORD
	v_cndmask_b32_e64 v4, 0, 1, vcc_lo
	v_cmp_lt_u32_e32 vcc_lo, s1, v8
	v_lshrrev_b32_sdwa v8, v9, v11 dst_sel:BYTE_1 dst_unused:UNUSED_PAD src0_sel:DWORD src1_sel:DWORD
	v_lshrrev_b32_sdwa v6, v9, v6 dst_sel:BYTE_1 dst_unused:UNUSED_PAD src0_sel:DWORD src1_sel:DWORD
	v_sub_nc_u32_e32 v14, v14, v15
	v_lshrrev_b32_sdwa v9, v9, v10 dst_sel:BYTE_1 dst_unused:UNUSED_PAD src0_sel:DWORD src1_sel:DWORD
	v_cndmask_b32_e64 v7, 0, 1, vcc_lo
	v_cmp_lt_u32_e32 vcc_lo, s1, v12
	v_or_b32_sdwa v1, v3, v1 dst_sel:WORD_1 dst_unused:UNUSED_PAD src0_sel:DWORD src1_sel:DWORD
	v_or_b32_e32 v3, v4, v6
	v_or_b32_sdwa v4, v7, v5 dst_sel:WORD_1 dst_unused:UNUSED_PAD src0_sel:DWORD src1_sel:DWORD
	v_cndmask_b32_e64 v11, 0, 1, vcc_lo
	v_cmp_lt_u32_e32 vcc_lo, s1, v13
	v_or_b32_sdwa v50, v2, v1 dst_sel:DWORD dst_unused:UNUSED_PAD src0_sel:WORD_0 src1_sel:DWORD
	v_or_b32_sdwa v48, v3, v4 dst_sel:DWORD dst_unused:UNUSED_PAD src0_sel:WORD_0 src1_sel:DWORD
	v_or_b32_e32 v5, v11, v8
	v_cndmask_b32_e64 v10, 0, 1, vcc_lo
	v_cmp_lt_u32_e32 vcc_lo, s1, v14
	v_or_b32_sdwa v6, v10, v9 dst_sel:WORD_1 dst_unused:UNUSED_PAD src0_sel:DWORD src1_sel:DWORD
	v_cndmask_b32_e64 v46, 0, 1, vcc_lo
	v_or_b32_sdwa v47, v5, v6 dst_sel:DWORD dst_unused:UNUSED_PAD src0_sel:WORD_0 src1_sel:DWORD
	s_clause 0x1
	s_load_dwordx2 s[14:15], s[4:5], 0x28
	s_load_dwordx2 s[22:23], s[4:5], 0x68
	s_cbranch_execz .LBB263_7
	s_branch .LBB263_34
.LBB263_6:
                                        ; implicit-def: $vgpr46
                                        ; implicit-def: $vgpr47
                                        ; implicit-def: $vgpr48
                                        ; implicit-def: $vgpr50
	s_clause 0x1
	s_load_dwordx2 s[14:15], s[4:5], 0x28
	s_load_dwordx2 s[22:23], s[4:5], 0x68
.LBB263_7:
	v_mov_b32_e32 v2, 0
	v_mov_b32_e32 v1, 0
	s_mov_b32 s0, exec_lo
	v_cmpx_gt_u32_e64 s25, v45
	s_cbranch_execz .LBB263_9
; %bb.8:
	v_add_nc_u32_e32 v1, s9, v28
	v_add_nc_u32_e32 v3, s11, v28
	v_mul_lo_u32 v1, v1, s8
	v_mul_lo_u32 v3, v3, s10
	v_sub_nc_u32_e32 v1, v1, v3
	v_cmp_lt_u32_e32 vcc_lo, s1, v1
	v_cndmask_b32_e64 v1, 0, 1, vcc_lo
.LBB263_9:
	s_or_b32 exec_lo, exec_lo, s0
	v_add_nc_u32_e32 v3, 1, v45
	s_mov_b32 s0, exec_lo
	v_cmpx_gt_u32_e64 s25, v3
	s_cbranch_execz .LBB263_11
; %bb.10:
	v_add_nc_u32_e32 v2, s9, v29
	v_add_nc_u32_e32 v3, s11, v29
	v_mul_lo_u32 v2, v2, s8
	v_mul_lo_u32 v3, v3, s10
	v_sub_nc_u32_e32 v2, v2, v3
	v_cmp_lt_u32_e32 vcc_lo, s1, v2
	v_cndmask_b32_e64 v2, 0, 1, vcc_lo
.LBB263_11:
	s_or_b32 exec_lo, exec_lo, s0
	v_add_nc_u32_e32 v3, 2, v45
	v_mov_b32_e32 v4, 0
	v_cmp_gt_u32_e32 vcc_lo, s25, v3
	v_mov_b32_e32 v3, 0
	s_and_saveexec_b32 s0, vcc_lo
	s_cbranch_execz .LBB263_13
; %bb.12:
	v_add_nc_u32_e32 v3, s9, v26
	v_add_nc_u32_e32 v5, s11, v26
	v_mul_lo_u32 v3, v3, s8
	v_mul_lo_u32 v5, v5, s10
	v_sub_nc_u32_e32 v3, v3, v5
	v_cmp_lt_u32_e32 vcc_lo, s1, v3
	v_cndmask_b32_e64 v3, 0, 1, vcc_lo
.LBB263_13:
	s_or_b32 exec_lo, exec_lo, s0
	v_add_nc_u32_e32 v5, 3, v45
	s_mov_b32 s0, exec_lo
	v_cmpx_gt_u32_e64 s25, v5
	s_cbranch_execz .LBB263_15
; %bb.14:
	v_add_nc_u32_e32 v4, s9, v27
	v_add_nc_u32_e32 v5, s11, v27
	v_mul_lo_u32 v4, v4, s8
	v_mul_lo_u32 v5, v5, s10
	v_sub_nc_u32_e32 v4, v4, v5
	v_cmp_lt_u32_e32 vcc_lo, s1, v4
	v_cndmask_b32_e64 v4, 0, 1, vcc_lo
.LBB263_15:
	s_or_b32 exec_lo, exec_lo, s0
	v_add_nc_u32_e32 v5, 4, v45
	v_mov_b32_e32 v6, 0
	v_cmp_gt_u32_e32 vcc_lo, s25, v5
	v_mov_b32_e32 v5, 0
	s_and_saveexec_b32 s0, vcc_lo
	;; [unrolled: 30-line block ×5, first 2 shown]
	s_cbranch_execz .LBB263_29
; %bb.28:
	v_add_nc_u32_e32 v11, s9, v18
	v_add_nc_u32_e32 v13, s11, v18
	v_mul_lo_u32 v11, v11, s8
	v_mul_lo_u32 v13, v13, s10
	v_sub_nc_u32_e32 v11, v11, v13
	v_cmp_lt_u32_e32 vcc_lo, s1, v11
	v_cndmask_b32_e64 v11, 0, 1, vcc_lo
.LBB263_29:
	s_or_b32 exec_lo, exec_lo, s0
	v_add_nc_u32_e32 v13, 11, v45
	s_mov_b32 s0, exec_lo
	v_cmpx_gt_u32_e64 s25, v13
	s_cbranch_execz .LBB263_31
; %bb.30:
	v_add_nc_u32_e32 v12, s9, v19
	v_add_nc_u32_e32 v13, s11, v19
	v_mul_lo_u32 v12, v12, s8
	v_mul_lo_u32 v13, v13, s10
	v_sub_nc_u32_e32 v12, v12, v13
	v_cmp_lt_u32_e32 vcc_lo, s1, v12
	v_cndmask_b32_e64 v12, 0, 1, vcc_lo
.LBB263_31:
	s_or_b32 exec_lo, exec_lo, s0
	v_add_nc_u32_e32 v13, 12, v45
	v_mov_b32_e32 v46, 0
	s_mov_b32 s0, exec_lo
	v_cmpx_gt_u32_e64 s25, v13
	s_cbranch_execz .LBB263_33
; %bb.32:
	v_add_nc_u32_e32 v13, s9, v44
	v_add_nc_u32_e32 v14, s11, v44
	v_mul_lo_u32 v13, v13, s8
	v_mul_lo_u32 v14, v14, s10
	v_sub_nc_u32_e32 v13, v13, v14
	v_cmp_lt_u32_e32 vcc_lo, s1, v13
	v_cndmask_b32_e64 v46, 0, 1, vcc_lo
.LBB263_33:
	s_or_b32 exec_lo, exec_lo, s0
	v_lshlrev_b16 v2, 8, v2
	v_lshlrev_b16 v4, 8, v4
	;; [unrolled: 1-line block ×5, first 2 shown]
	v_or_b32_e32 v1, v1, v2
	v_lshlrev_b16 v2, 8, v12
	v_or_b32_sdwa v3, v3, v4 dst_sel:WORD_1 dst_unused:UNUSED_PAD src0_sel:DWORD src1_sel:DWORD
	v_or_b32_e32 v4, v5, v6
	v_or_b32_sdwa v5, v7, v8 dst_sel:WORD_1 dst_unused:UNUSED_PAD src0_sel:DWORD src1_sel:DWORD
	v_or_b32_e32 v6, v9, v10
	v_or_b32_sdwa v2, v11, v2 dst_sel:WORD_1 dst_unused:UNUSED_PAD src0_sel:DWORD src1_sel:DWORD
	v_or_b32_sdwa v50, v1, v3 dst_sel:DWORD dst_unused:UNUSED_PAD src0_sel:WORD_0 src1_sel:DWORD
	v_or_b32_sdwa v48, v4, v5 dst_sel:DWORD dst_unused:UNUSED_PAD src0_sel:WORD_0 src1_sel:DWORD
	;; [unrolled: 1-line block ×3, first 2 shown]
.LBB263_34:
	v_and_b32_e32 v53, 0xff, v50
	v_bfe_u32 v54, v50, 8, 8
	v_bfe_u32 v55, v50, 16, 8
	v_lshrrev_b32_e32 v52, 24, v50
	v_and_b32_e32 v56, 0xff, v48
	v_bfe_u32 v57, v48, 8, 8
	v_bfe_u32 v58, v48, 16, 8
	v_add3_u32 v1, v54, v53, v55
	v_lshrrev_b32_e32 v51, 24, v48
	v_and_b32_e32 v59, 0xff, v47
	v_bfe_u32 v60, v47, 8, 8
	v_mbcnt_lo_u32_b32 v62, -1, 0
	v_add3_u32 v1, v1, v52, v56
	v_bfe_u32 v61, v47, 16, 8
	v_lshrrev_b32_e32 v49, 24, v47
	v_and_b32_e32 v2, 0xff, v46
	v_and_b32_e32 v3, 15, v62
	v_add3_u32 v1, v1, v57, v58
	v_or_b32_e32 v4, 31, v0
	v_and_b32_e32 v5, 16, v62
	v_lshrrev_b32_e32 v63, 5, v0
	v_cmp_eq_u32_e64 s5, 0, v3
	v_add3_u32 v1, v1, v51, v59
	v_cmp_lt_u32_e64 s4, 1, v3
	v_cmp_lt_u32_e64 s3, 3, v3
	;; [unrolled: 1-line block ×3, first 2 shown]
	v_cmp_eq_u32_e64 s1, 0, v5
	v_add3_u32 v1, v1, v60, v61
	v_cmp_eq_u32_e64 s0, v0, v4
	s_cmp_lg_u32 s6, 0
	s_mov_b32 s7, -1
	v_add3_u32 v64, v1, v49, v2
	s_cbranch_scc0 .LBB263_56
; %bb.35:
	v_mov_b32_dpp v1, v64 row_shr:1 row_mask:0xf bank_mask:0xf
	v_cndmask_b32_e64 v1, v1, 0, s5
	v_add_nc_u32_e32 v1, v1, v64
	v_mov_b32_dpp v2, v1 row_shr:2 row_mask:0xf bank_mask:0xf
	v_cndmask_b32_e64 v2, 0, v2, s4
	v_add_nc_u32_e32 v1, v1, v2
	;; [unrolled: 3-line block ×4, first 2 shown]
	ds_swizzle_b32 v2, v1 offset:swizzle(BROADCAST,32,15)
	s_waitcnt lgkmcnt(0)
	v_cndmask_b32_e64 v2, v2, 0, s1
	v_add_nc_u32_e32 v1, v1, v2
	s_and_saveexec_b32 s7, s0
; %bb.36:
	v_lshlrev_b32_e32 v2, 2, v63
	ds_write_b32 v2, v1
; %bb.37:
	s_or_b32 exec_lo, exec_lo, s7
	s_mov_b32 s7, exec_lo
	s_waitcnt lgkmcnt(0)
	s_barrier
	buffer_gl0_inv
	v_cmpx_gt_u32_e32 8, v0
	s_cbranch_execz .LBB263_39
; %bb.38:
	ds_read_b32 v2, v42
	v_and_b32_e32 v3, 7, v62
	v_cmp_ne_u32_e32 vcc_lo, 0, v3
	s_waitcnt lgkmcnt(0)
	v_mov_b32_dpp v4, v2 row_shr:1 row_mask:0xf bank_mask:0xf
	v_cndmask_b32_e32 v4, 0, v4, vcc_lo
	v_cmp_lt_u32_e32 vcc_lo, 1, v3
	v_add_nc_u32_e32 v2, v4, v2
	v_mov_b32_dpp v4, v2 row_shr:2 row_mask:0xf bank_mask:0xf
	v_cndmask_b32_e32 v4, 0, v4, vcc_lo
	v_cmp_lt_u32_e32 vcc_lo, 3, v3
	v_add_nc_u32_e32 v2, v2, v4
	v_mov_b32_dpp v4, v2 row_shr:4 row_mask:0xf bank_mask:0xf
	v_cndmask_b32_e32 v3, 0, v4, vcc_lo
	v_add_nc_u32_e32 v2, v2, v3
	ds_write_b32 v42, v2
.LBB263_39:
	s_or_b32 exec_lo, exec_lo, s7
	s_mov_b32 s8, exec_lo
	v_cmp_gt_u32_e32 vcc_lo, 32, v0
	s_waitcnt lgkmcnt(0)
	s_barrier
	buffer_gl0_inv
                                        ; implicit-def: $vgpr10
	v_cmpx_lt_u32_e32 31, v0
	s_cbranch_execz .LBB263_41
; %bb.40:
	v_lshl_add_u32 v2, v63, 2, -4
	ds_read_b32 v10, v2
	s_waitcnt lgkmcnt(0)
	v_add_nc_u32_e32 v1, v10, v1
.LBB263_41:
	s_or_b32 exec_lo, exec_lo, s8
	v_sub_co_u32 v2, s7, v62, 1
	v_cmp_gt_i32_e64 s8, 0, v2
	v_cndmask_b32_e64 v2, v2, v62, s8
	v_lshlrev_b32_e32 v2, 2, v2
	ds_bpermute_b32 v11, v2, v1
	s_and_saveexec_b32 s8, vcc_lo
	s_cbranch_execz .LBB263_61
; %bb.42:
	v_mov_b32_e32 v7, 0
	ds_read_b32 v1, v7 offset:28
	s_and_saveexec_b32 s9, s7
	s_cbranch_execz .LBB263_44
; %bb.43:
	s_add_i32 s10, s6, 32
	s_mov_b32 s11, 0
	v_mov_b32_e32 v2, 1
	s_lshl_b64 s[10:11], s[10:11], 3
	s_add_u32 s10, s22, s10
	s_addc_u32 s11, s23, s11
	s_waitcnt lgkmcnt(0)
	global_store_dwordx2 v7, v[1:2], s[10:11]
.LBB263_44:
	s_or_b32 exec_lo, exec_lo, s9
	v_xad_u32 v3, v62, -1, s6
	s_mov_b32 s10, 0
	v_add_nc_u32_e32 v6, 32, v3
	v_lshlrev_b64 v[4:5], 3, v[6:7]
	v_add_co_u32 v8, vcc_lo, s22, v4
	v_add_co_ci_u32_e64 v9, null, s23, v5, vcc_lo
	global_load_dwordx2 v[5:6], v[8:9], off glc dlc
	s_waitcnt vmcnt(0)
	v_cmp_eq_u16_sdwa s11, v6, v7 src0_sel:BYTE_0 src1_sel:DWORD
	s_and_saveexec_b32 s9, s11
	s_cbranch_execz .LBB263_48
; %bb.45:
	v_mov_b32_e32 v2, 0
.LBB263_46:                             ; =>This Inner Loop Header: Depth=1
	global_load_dwordx2 v[5:6], v[8:9], off glc dlc
	s_waitcnt vmcnt(0)
	v_cmp_ne_u16_sdwa s11, v6, v2 src0_sel:BYTE_0 src1_sel:DWORD
	s_or_b32 s10, s11, s10
	s_andn2_b32 exec_lo, exec_lo, s10
	s_cbranch_execnz .LBB263_46
; %bb.47:
	s_or_b32 exec_lo, exec_lo, s10
.LBB263_48:
	s_or_b32 exec_lo, exec_lo, s9
	v_cmp_ne_u32_e32 vcc_lo, 31, v62
	v_mov_b32_e32 v12, 2
	v_lshlrev_b32_e64 v13, v62, -1
	v_add_nc_u32_e32 v15, 2, v62
	v_add_nc_u32_e32 v17, 4, v62
	v_add_co_ci_u32_e64 v2, null, 0, v62, vcc_lo
	v_cmp_eq_u16_sdwa s9, v6, v12 src0_sel:BYTE_0 src1_sel:DWORD
	v_cmp_gt_u32_e32 vcc_lo, 30, v62
	v_add_nc_u32_e32 v66, 8, v62
	v_lshlrev_b32_e32 v9, 2, v2
	v_lshl_or_b32 v67, v62, 2, 64
	v_and_or_b32 v4, s9, v13, 0x80000000
	v_cndmask_b32_e64 v7, 0, 2, vcc_lo
	v_add_nc_u32_e32 v68, 16, v62
	ds_bpermute_b32 v2, v9, v5
	v_ffbl_b32_e32 v4, v4
	v_add_lshl_u32 v14, v7, v62, 2
	v_cmp_lt_u32_e32 vcc_lo, v62, v4
	s_waitcnt lgkmcnt(0)
	v_cndmask_b32_e32 v2, 0, v2, vcc_lo
	v_cmp_gt_u32_e32 vcc_lo, 28, v62
	v_add_nc_u32_e32 v2, v2, v5
	v_cndmask_b32_e64 v7, 0, 4, vcc_lo
	v_cmp_le_u32_e32 vcc_lo, v15, v4
	ds_bpermute_b32 v5, v14, v2
	v_add_lshl_u32 v16, v7, v62, 2
	s_waitcnt lgkmcnt(0)
	v_cndmask_b32_e32 v5, 0, v5, vcc_lo
	v_cmp_gt_u32_e32 vcc_lo, 24, v62
	v_add_nc_u32_e32 v2, v2, v5
	v_cndmask_b32_e64 v7, 0, 8, vcc_lo
	v_cmp_le_u32_e32 vcc_lo, v17, v4
	ds_bpermute_b32 v5, v16, v2
	v_add_lshl_u32 v65, v7, v62, 2
	s_waitcnt lgkmcnt(0)
	v_cndmask_b32_e32 v5, 0, v5, vcc_lo
	v_cmp_le_u32_e32 vcc_lo, v66, v4
	v_add_nc_u32_e32 v2, v2, v5
	ds_bpermute_b32 v5, v65, v2
	s_waitcnt lgkmcnt(0)
	v_cndmask_b32_e32 v5, 0, v5, vcc_lo
	v_cmp_le_u32_e32 vcc_lo, v68, v4
	v_add_nc_u32_e32 v2, v2, v5
	ds_bpermute_b32 v5, v67, v2
	s_waitcnt lgkmcnt(0)
	v_cndmask_b32_e32 v4, 0, v5, vcc_lo
	v_add_nc_u32_e32 v5, v2, v4
	v_mov_b32_e32 v4, 0
	s_branch .LBB263_52
.LBB263_49:                             ;   in Loop: Header=BB263_52 Depth=1
	s_or_b32 exec_lo, exec_lo, s10
.LBB263_50:                             ;   in Loop: Header=BB263_52 Depth=1
	s_or_b32 exec_lo, exec_lo, s9
	ds_bpermute_b32 v7, v9, v5
	v_cmp_eq_u16_sdwa s9, v6, v12 src0_sel:BYTE_0 src1_sel:DWORD
	v_subrev_nc_u32_e32 v3, 32, v3
	v_and_or_b32 v8, s9, v13, 0x80000000
	s_mov_b32 s9, 0
	v_ffbl_b32_e32 v8, v8
	v_cmp_lt_u32_e32 vcc_lo, v62, v8
	s_waitcnt lgkmcnt(0)
	v_cndmask_b32_e32 v7, 0, v7, vcc_lo
	v_cmp_le_u32_e32 vcc_lo, v15, v8
	v_add_nc_u32_e32 v5, v7, v5
	ds_bpermute_b32 v7, v14, v5
	s_waitcnt lgkmcnt(0)
	v_cndmask_b32_e32 v7, 0, v7, vcc_lo
	v_cmp_le_u32_e32 vcc_lo, v17, v8
	v_add_nc_u32_e32 v5, v5, v7
	ds_bpermute_b32 v7, v16, v5
	s_waitcnt lgkmcnt(0)
	v_cndmask_b32_e32 v7, 0, v7, vcc_lo
	v_cmp_le_u32_e32 vcc_lo, v66, v8
	v_add_nc_u32_e32 v5, v5, v7
	ds_bpermute_b32 v7, v65, v5
	s_waitcnt lgkmcnt(0)
	v_cndmask_b32_e32 v7, 0, v7, vcc_lo
	v_cmp_le_u32_e32 vcc_lo, v68, v8
	v_add_nc_u32_e32 v5, v5, v7
	ds_bpermute_b32 v7, v67, v5
	s_waitcnt lgkmcnt(0)
	v_cndmask_b32_e32 v7, 0, v7, vcc_lo
	v_add3_u32 v5, v7, v2, v5
.LBB263_51:                             ;   in Loop: Header=BB263_52 Depth=1
	s_and_b32 vcc_lo, exec_lo, s9
	s_cbranch_vccnz .LBB263_57
.LBB263_52:                             ; =>This Loop Header: Depth=1
                                        ;     Child Loop BB263_55 Depth 2
	v_cmp_ne_u16_sdwa s9, v6, v12 src0_sel:BYTE_0 src1_sel:DWORD
	v_mov_b32_e32 v2, v5
                                        ; implicit-def: $vgpr5
                                        ; implicit-def: $vgpr6
	s_cmp_lg_u32 s9, exec_lo
	s_mov_b32 s9, -1
	s_cbranch_scc1 .LBB263_51
; %bb.53:                               ;   in Loop: Header=BB263_52 Depth=1
	v_lshlrev_b64 v[5:6], 3, v[3:4]
	v_add_co_u32 v7, vcc_lo, s22, v5
	v_add_co_ci_u32_e64 v8, null, s23, v6, vcc_lo
	global_load_dwordx2 v[5:6], v[7:8], off glc dlc
	s_waitcnt vmcnt(0)
	v_cmp_eq_u16_sdwa s10, v6, v4 src0_sel:BYTE_0 src1_sel:DWORD
	s_and_saveexec_b32 s9, s10
	s_cbranch_execz .LBB263_50
; %bb.54:                               ;   in Loop: Header=BB263_52 Depth=1
	s_mov_b32 s10, 0
.LBB263_55:                             ;   Parent Loop BB263_52 Depth=1
                                        ; =>  This Inner Loop Header: Depth=2
	global_load_dwordx2 v[5:6], v[7:8], off glc dlc
	s_waitcnt vmcnt(0)
	v_cmp_ne_u16_sdwa s11, v6, v4 src0_sel:BYTE_0 src1_sel:DWORD
	s_or_b32 s10, s11, s10
	s_andn2_b32 exec_lo, exec_lo, s10
	s_cbranch_execnz .LBB263_55
	s_branch .LBB263_49
.LBB263_56:
                                        ; implicit-def: $vgpr17
                                        ; implicit-def: $vgpr1_vgpr2_vgpr3_vgpr4_vgpr5_vgpr6_vgpr7_vgpr8_vgpr9_vgpr10_vgpr11_vgpr12_vgpr13_vgpr14_vgpr15_vgpr16
	s_and_b32 vcc_lo, exec_lo, s7
	s_cbranch_vccnz .LBB263_62
	s_branch .LBB263_71
.LBB263_57:
	s_and_saveexec_b32 s9, s7
	s_cbranch_execz .LBB263_59
; %bb.58:
	s_add_i32 s10, s6, 32
	s_mov_b32 s11, 0
	v_add_nc_u32_e32 v3, v2, v1
	v_mov_b32_e32 v4, 2
	s_lshl_b64 s[10:11], s[10:11], 3
	v_mov_b32_e32 v5, 0
	s_add_u32 s10, s22, s10
	s_addc_u32 s11, s23, s11
	global_store_dwordx2 v5, v[3:4], s[10:11]
	ds_write_b64 v5, v[1:2] offset:13312
.LBB263_59:
	s_or_b32 exec_lo, exec_lo, s9
	v_cmp_eq_u32_e32 vcc_lo, 0, v0
	s_and_b32 exec_lo, exec_lo, vcc_lo
; %bb.60:
	v_mov_b32_e32 v1, 0
	ds_write_b32 v1, v2 offset:28
.LBB263_61:
	s_or_b32 exec_lo, exec_lo, s8
	v_mov_b32_e32 v12, 0
	s_waitcnt lgkmcnt(0)
	s_waitcnt_vscnt null, 0x0
	s_barrier
	buffer_gl0_inv
	v_cndmask_b32_e64 v2, v11, v10, s7
	ds_read_b32 v1, v12 offset:28
	v_cmp_ne_u32_e32 vcc_lo, 0, v0
	s_waitcnt lgkmcnt(0)
	s_barrier
	buffer_gl0_inv
	ds_read_b64 v[16:17], v12 offset:13312
	v_cndmask_b32_e32 v2, 0, v2, vcc_lo
	v_add_nc_u32_e32 v1, v1, v2
	v_add_nc_u32_e32 v2, v1, v53
	;; [unrolled: 1-line block ×13, first 2 shown]
	s_branch .LBB263_71
.LBB263_62:
	v_mov_b32_dpp v1, v64 row_shr:1 row_mask:0xf bank_mask:0xf
	v_cndmask_b32_e64 v1, v1, 0, s5
	v_add_nc_u32_e32 v1, v1, v64
	v_mov_b32_dpp v2, v1 row_shr:2 row_mask:0xf bank_mask:0xf
	v_cndmask_b32_e64 v2, 0, v2, s4
	v_add_nc_u32_e32 v1, v1, v2
	;; [unrolled: 3-line block ×4, first 2 shown]
	ds_swizzle_b32 v2, v1 offset:swizzle(BROADCAST,32,15)
	s_waitcnt lgkmcnt(0)
	v_cndmask_b32_e64 v2, v2, 0, s1
	v_add_nc_u32_e32 v1, v1, v2
	s_and_saveexec_b32 s1, s0
; %bb.63:
	v_lshlrev_b32_e32 v2, 2, v63
	ds_write_b32 v2, v1
; %bb.64:
	s_or_b32 exec_lo, exec_lo, s1
	s_mov_b32 s0, exec_lo
	s_waitcnt lgkmcnt(0)
	s_barrier
	buffer_gl0_inv
	v_cmpx_gt_u32_e32 8, v0
	s_cbranch_execz .LBB263_66
; %bb.65:
	ds_read_b32 v2, v42
	v_and_b32_e32 v3, 7, v62
	v_cmp_ne_u32_e32 vcc_lo, 0, v3
	s_waitcnt lgkmcnt(0)
	v_mov_b32_dpp v4, v2 row_shr:1 row_mask:0xf bank_mask:0xf
	v_cndmask_b32_e32 v4, 0, v4, vcc_lo
	v_cmp_lt_u32_e32 vcc_lo, 1, v3
	v_add_nc_u32_e32 v2, v4, v2
	v_mov_b32_dpp v4, v2 row_shr:2 row_mask:0xf bank_mask:0xf
	v_cndmask_b32_e32 v4, 0, v4, vcc_lo
	v_cmp_lt_u32_e32 vcc_lo, 3, v3
	v_add_nc_u32_e32 v2, v2, v4
	v_mov_b32_dpp v4, v2 row_shr:4 row_mask:0xf bank_mask:0xf
	v_cndmask_b32_e32 v3, 0, v4, vcc_lo
	v_add_nc_u32_e32 v2, v2, v3
	ds_write_b32 v42, v2
.LBB263_66:
	s_or_b32 exec_lo, exec_lo, s0
	v_mov_b32_e32 v3, 0
	v_mov_b32_e32 v2, 0
	s_mov_b32 s0, exec_lo
	s_waitcnt lgkmcnt(0)
	s_barrier
	buffer_gl0_inv
	v_cmpx_lt_u32_e32 31, v0
; %bb.67:
	v_lshl_add_u32 v2, v63, 2, -4
	ds_read_b32 v2, v2
; %bb.68:
	s_or_b32 exec_lo, exec_lo, s0
	v_sub_co_u32 v4, vcc_lo, v62, 1
	s_waitcnt lgkmcnt(0)
	v_add_nc_u32_e32 v1, v2, v1
	ds_read_b32 v16, v3 offset:28
	v_cmp_gt_i32_e64 s0, 0, v4
	v_cndmask_b32_e64 v4, v4, v62, s0
	v_cmp_eq_u32_e64 s0, 0, v0
	v_lshlrev_b32_e32 v4, 2, v4
	ds_bpermute_b32 v1, v4, v1
	s_and_saveexec_b32 s1, s0
	s_cbranch_execz .LBB263_70
; %bb.69:
	v_mov_b32_e32 v3, 0
	v_mov_b32_e32 v17, 2
	s_waitcnt lgkmcnt(1)
	global_store_dwordx2 v3, v[16:17], s[22:23] offset:256
.LBB263_70:
	s_or_b32 exec_lo, exec_lo, s1
	s_waitcnt lgkmcnt(0)
	v_cndmask_b32_e32 v1, v1, v2, vcc_lo
	v_mov_b32_e32 v17, 0
	s_waitcnt_vscnt null, 0x0
	s_barrier
	buffer_gl0_inv
	v_cndmask_b32_e64 v1, v1, 0, s0
	v_add_nc_u32_e32 v2, v1, v53
	v_add_nc_u32_e32 v3, v2, v54
	;; [unrolled: 1-line block ×12, first 2 shown]
.LBB263_71:
	s_waitcnt lgkmcnt(0)
	v_add_nc_u32_e32 v45, v16, v45
	v_sub_nc_u32_e32 v1, v1, v17
	v_and_b32_e32 v54, 1, v50
	v_lshrrev_b32_e32 v53, 8, v50
	v_sub_nc_u32_e32 v2, v2, v17
	v_sub_nc_u32_e32 v3, v3, v17
	;; [unrolled: 1-line block ×3, first 2 shown]
	v_cmp_eq_u32_e32 vcc_lo, 1, v54
	v_and_b32_e32 v53, 1, v53
	v_mov_b32_e32 v56, 1
	v_sub_nc_u32_e32 v54, v45, v2
	v_sub_nc_u32_e32 v4, v4, v17
	v_cndmask_b32_e32 v1, v55, v1, vcc_lo
	v_sub_nc_u32_e32 v55, v45, v3
	v_and_b32_sdwa v50, v56, v50 dst_sel:DWORD dst_unused:UNUSED_PAD src0_sel:DWORD src1_sel:WORD_1
	v_add_nc_u32_e32 v54, 1, v54
	v_cmp_eq_u32_e32 vcc_lo, 1, v53
	v_lshlrev_b32_e32 v1, 2, v1
	v_and_b32_e32 v52, 1, v52
	v_sub_nc_u32_e32 v57, v45, v4
	v_add_nc_u32_e32 v55, 2, v55
	v_lshrrev_b32_e32 v15, 8, v48
	ds_write_b32 v1, v28
	v_cndmask_b32_e32 v1, v54, v2, vcc_lo
	v_cmp_eq_u32_e32 vcc_lo, 1, v50
	v_add_nc_u32_e32 v57, 3, v57
	v_lshrrev_b32_e32 v14, 8, v47
	v_lshlrev_b32_e32 v1, 2, v1
	v_cndmask_b32_e32 v2, v55, v3, vcc_lo
	v_cmp_eq_u32_e32 vcc_lo, 1, v52
	ds_write_b32 v1, v29
	v_lshlrev_b32_e32 v2, 2, v2
	v_cndmask_b32_e32 v3, v57, v4, vcc_lo
	v_sub_nc_u32_e32 v4, v5, v17
	v_sub_nc_u32_e32 v5, v6, v17
	v_lshlrev_b32_e32 v3, 2, v3
	v_sub_nc_u32_e32 v1, v45, v4
	v_sub_nc_u32_e32 v6, v45, v5
	ds_write_b32 v2, v26
	ds_write_b32 v3, v27
	v_and_b32_e32 v2, 1, v48
	v_add_nc_u32_e32 v1, 4, v1
	v_add_nc_u32_e32 v3, 5, v6
	v_sub_nc_u32_e32 v6, v7, v17
	v_and_b32_e32 v7, 1, v15
	v_cmp_eq_u32_e32 vcc_lo, 1, v2
	v_sub_nc_u32_e32 v2, v8, v17
	v_and_b32_e32 v8, 1, v51
	v_add_co_u32 v15, s0, s20, v17
	v_cndmask_b32_e32 v1, v1, v4, vcc_lo
	v_sub_nc_u32_e32 v4, v45, v6
	v_cmp_eq_u32_e32 vcc_lo, 1, v7
	v_and_b32_sdwa v7, v56, v48 dst_sel:DWORD dst_unused:UNUSED_PAD src0_sel:DWORD src1_sel:WORD_1
	v_lshlrev_b32_e32 v1, 2, v1
	v_add_nc_u32_e32 v4, 6, v4
	v_cndmask_b32_e32 v3, v3, v5, vcc_lo
	v_sub_nc_u32_e32 v5, v45, v2
	v_cmp_eq_u32_e32 vcc_lo, 1, v7
	v_sub_nc_u32_e32 v7, v13, v17
	v_lshlrev_b32_e32 v3, 2, v3
	v_add_nc_u32_e32 v5, 7, v5
	v_cndmask_b32_e32 v4, v4, v6, vcc_lo
	v_cmp_eq_u32_e32 vcc_lo, 1, v8
	v_sub_nc_u32_e32 v6, v9, v17
	ds_write_b32 v1, v24
	ds_write_b32 v3, v25
	v_lshlrev_b32_e32 v3, 2, v4
	v_cndmask_b32_e32 v2, v5, v2, vcc_lo
	v_sub_nc_u32_e32 v1, v45, v6
	v_and_b32_e32 v5, 1, v47
	v_sub_nc_u32_e32 v4, v10, v17
	v_and_b32_e32 v10, 1, v49
	v_lshlrev_b32_e32 v2, 2, v2
	v_add_nc_u32_e32 v1, 8, v1
	ds_write_b32 v3, v22
	ds_write_b32 v2, v23
	v_cmp_eq_u32_e32 vcc_lo, 1, v5
	v_sub_nc_u32_e32 v3, v11, v17
	v_sub_nc_u32_e32 v2, v45, v4
	;; [unrolled: 1-line block ×3, first 2 shown]
	v_and_b32_e32 v11, 1, v46
	v_cndmask_b32_e32 v1, v1, v6, vcc_lo
	v_and_b32_e32 v6, 1, v14
	v_sub_nc_u32_e32 v8, v45, v3
	v_add_nc_u32_e32 v2, 9, v2
	v_sub_nc_u32_e32 v9, v45, v5
	v_lshlrev_b32_e32 v1, 2, v1
	v_cmp_eq_u32_e32 vcc_lo, 1, v6
	v_add_nc_u32_e32 v6, 10, v8
	v_and_b32_sdwa v8, v56, v47 dst_sel:DWORD dst_unused:UNUSED_PAD src0_sel:DWORD src1_sel:WORD_1
	v_add_nc_u32_e32 v9, 11, v9
	v_add_co_ci_u32_e64 v17, null, s21, 0, s0
	v_cndmask_b32_e32 v2, v2, v4, vcc_lo
	v_cmp_eq_u32_e32 vcc_lo, 1, v8
	v_sub_nc_u32_e32 v4, v45, v7
	v_lshlrev_b32_e32 v2, 2, v2
	v_cndmask_b32_e32 v3, v6, v3, vcc_lo
	v_cmp_eq_u32_e32 vcc_lo, 1, v10
	v_add_nc_u32_e32 v4, 12, v4
	v_lshlrev_b32_e32 v3, 2, v3
	v_cndmask_b32_e32 v5, v9, v5, vcc_lo
	v_cmp_eq_u32_e32 vcc_lo, 1, v11
	v_lshlrev_b32_e32 v5, 2, v5
	v_cndmask_b32_e32 v4, v4, v7, vcc_lo
	v_cmp_ne_u32_e32 vcc_lo, 1, v43
	v_lshlrev_b32_e32 v4, 2, v4
	ds_write_b32 v1, v20
	ds_write_b32 v2, v21
	;; [unrolled: 1-line block ×5, first 2 shown]
	s_waitcnt lgkmcnt(0)
	s_barrier
	buffer_gl0_inv
	ds_read2st64_b32 v[11:12], v42 offset1:4
	ds_read2st64_b32 v[9:10], v42 offset0:8 offset1:12
	ds_read2st64_b32 v[7:8], v42 offset0:16 offset1:20
	;; [unrolled: 1-line block ×5, first 2 shown]
	ds_read_b32 v18, v42 offset:12288
	s_cbranch_vccnz .LBB263_125
; %bb.72:
	s_sub_u32 s0, s18, s26
	v_sub_co_u32 v13, vcc_lo, v15, s16
	s_subb_u32 s1, s19, 0
	v_add_co_u32 v19, s0, s0, v16
	v_subrev_co_ci_u32_e64 v14, null, s17, v17, vcc_lo
	v_add_co_ci_u32_e64 v20, null, s1, 0, s0
	v_add_co_u32 v19, vcc_lo, v19, v13
	s_mov_b32 s0, exec_lo
	v_add_co_ci_u32_e64 v20, null, v20, v14, vcc_lo
                                        ; implicit-def: $vgpr13_vgpr14
	v_cmpx_ge_u32_e64 v0, v16
	s_xor_b32 s0, exec_lo, s0
; %bb.73:
	v_not_b32_e32 v13, v0
	v_ashrrev_i32_e32 v14, 31, v13
	v_add_co_u32 v13, vcc_lo, v19, v13
	v_add_co_ci_u32_e64 v14, null, v20, v14, vcc_lo
; %bb.74:
	s_andn2_saveexec_b32 s0, s0
; %bb.75:
	v_add_co_u32 v13, vcc_lo, v15, v0
	v_add_co_ci_u32_e64 v14, null, 0, v17, vcc_lo
; %bb.76:
	s_or_b32 exec_lo, exec_lo, s0
	v_lshlrev_b64 v[13:14], 2, v[13:14]
	s_mov_b32 s0, exec_lo
	v_add_co_u32 v13, vcc_lo, s14, v13
	v_add_co_ci_u32_e64 v14, null, s15, v14, vcc_lo
	s_waitcnt lgkmcnt(6)
	global_store_dword v[13:14], v11, off
                                        ; implicit-def: $vgpr13_vgpr14
	v_cmpx_ge_u32_e64 v41, v16
	s_xor_b32 s0, exec_lo, s0
; %bb.77:
	v_xor_b32_e32 v13, 0xfffffeff, v0
	v_ashrrev_i32_e32 v14, 31, v13
	v_add_co_u32 v13, vcc_lo, v19, v13
	v_add_co_ci_u32_e64 v14, null, v20, v14, vcc_lo
; %bb.78:
	s_andn2_saveexec_b32 s0, s0
; %bb.79:
	v_add_co_u32 v13, vcc_lo, v15, v41
	v_add_co_ci_u32_e64 v14, null, 0, v17, vcc_lo
; %bb.80:
	s_or_b32 exec_lo, exec_lo, s0
	v_lshlrev_b64 v[13:14], 2, v[13:14]
	s_mov_b32 s0, exec_lo
	v_add_co_u32 v13, vcc_lo, s14, v13
	v_add_co_ci_u32_e64 v14, null, s15, v14, vcc_lo
	global_store_dword v[13:14], v12, off
                                        ; implicit-def: $vgpr13_vgpr14
	v_cmpx_ge_u32_e64 v40, v16
	s_xor_b32 s0, exec_lo, s0
; %bb.81:
	v_xor_b32_e32 v13, 0xfffffdff, v0
	v_ashrrev_i32_e32 v14, 31, v13
	v_add_co_u32 v13, vcc_lo, v19, v13
	v_add_co_ci_u32_e64 v14, null, v20, v14, vcc_lo
; %bb.82:
	s_andn2_saveexec_b32 s0, s0
; %bb.83:
	v_add_co_u32 v13, vcc_lo, v15, v40
	v_add_co_ci_u32_e64 v14, null, 0, v17, vcc_lo
; %bb.84:
	s_or_b32 exec_lo, exec_lo, s0
	v_lshlrev_b64 v[13:14], 2, v[13:14]
	s_mov_b32 s0, exec_lo
	v_add_co_u32 v13, vcc_lo, s14, v13
	v_add_co_ci_u32_e64 v14, null, s15, v14, vcc_lo
	s_waitcnt lgkmcnt(5)
	global_store_dword v[13:14], v9, off
                                        ; implicit-def: $vgpr13_vgpr14
	v_cmpx_ge_u32_e64 v39, v16
	s_xor_b32 s0, exec_lo, s0
; %bb.85:
	v_xor_b32_e32 v13, 0xfffffcff, v0
	v_ashrrev_i32_e32 v14, 31, v13
	v_add_co_u32 v13, vcc_lo, v19, v13
	v_add_co_ci_u32_e64 v14, null, v20, v14, vcc_lo
; %bb.86:
	s_andn2_saveexec_b32 s0, s0
; %bb.87:
	v_add_co_u32 v13, vcc_lo, v15, v39
	v_add_co_ci_u32_e64 v14, null, 0, v17, vcc_lo
; %bb.88:
	s_or_b32 exec_lo, exec_lo, s0
	v_lshlrev_b64 v[13:14], 2, v[13:14]
	s_mov_b32 s0, exec_lo
	v_add_co_u32 v13, vcc_lo, s14, v13
	v_add_co_ci_u32_e64 v14, null, s15, v14, vcc_lo
	global_store_dword v[13:14], v10, off
                                        ; implicit-def: $vgpr13_vgpr14
	v_cmpx_ge_u32_e64 v38, v16
	s_xor_b32 s0, exec_lo, s0
; %bb.89:
	v_xor_b32_e32 v13, 0xfffffbff, v0
	;; [unrolled: 41-line block ×6, first 2 shown]
	v_ashrrev_i32_e32 v14, 31, v13
	v_add_co_u32 v13, vcc_lo, v19, v13
	v_add_co_ci_u32_e64 v14, null, v20, v14, vcc_lo
; %bb.122:
	s_andn2_saveexec_b32 s0, s0
; %bb.123:
	v_add_co_u32 v13, vcc_lo, v15, v30
	v_add_co_ci_u32_e64 v14, null, 0, v17, vcc_lo
; %bb.124:
	s_or_b32 exec_lo, exec_lo, s0
	s_mov_b32 s0, -1
	s_branch .LBB263_205
.LBB263_125:
	s_mov_b32 s0, 0
                                        ; implicit-def: $vgpr13_vgpr14
	s_cbranch_execz .LBB263_205
; %bb.126:
	s_add_u32 s1, s16, s26
	s_addc_u32 s2, s17, 0
	s_sub_u32 s1, s18, s1
	s_subb_u32 s2, s19, s2
	v_add_co_u32 v13, s1, s1, v16
	v_add_co_ci_u32_e64 v14, null, s2, 0, s1
	s_mov_b32 s1, exec_lo
	v_add_co_u32 v19, vcc_lo, v13, v15
	v_add_co_ci_u32_e64 v20, null, v14, v17, vcc_lo
	v_cmpx_gt_u32_e64 s25, v0
	s_cbranch_execz .LBB263_162
; %bb.127:
	s_mov_b32 s2, exec_lo
                                        ; implicit-def: $vgpr13_vgpr14
	v_cmpx_ge_u32_e64 v0, v16
	s_xor_b32 s2, exec_lo, s2
; %bb.128:
	v_not_b32_e32 v13, v0
	v_ashrrev_i32_e32 v14, 31, v13
	v_add_co_u32 v13, vcc_lo, v19, v13
	v_add_co_ci_u32_e64 v14, null, v20, v14, vcc_lo
; %bb.129:
	s_andn2_saveexec_b32 s2, s2
; %bb.130:
	v_add_co_u32 v13, vcc_lo, v15, v0
	v_add_co_ci_u32_e64 v14, null, 0, v17, vcc_lo
; %bb.131:
	s_or_b32 exec_lo, exec_lo, s2
	v_lshlrev_b64 v[13:14], 2, v[13:14]
	v_add_co_u32 v13, vcc_lo, s14, v13
	v_add_co_ci_u32_e64 v14, null, s15, v14, vcc_lo
	s_waitcnt lgkmcnt(6)
	global_store_dword v[13:14], v11, off
	s_or_b32 exec_lo, exec_lo, s1
	s_mov_b32 s1, exec_lo
	v_cmpx_gt_u32_e64 s25, v41
	s_cbranch_execnz .LBB263_163
.LBB263_132:
	s_or_b32 exec_lo, exec_lo, s1
	s_mov_b32 s1, exec_lo
	v_cmpx_gt_u32_e64 s25, v40
	s_cbranch_execz .LBB263_168
.LBB263_133:
	s_mov_b32 s2, exec_lo
                                        ; implicit-def: $vgpr11_vgpr12
	v_cmpx_ge_u32_e64 v40, v16
	s_xor_b32 s2, exec_lo, s2
	s_cbranch_execz .LBB263_135
; %bb.134:
	s_waitcnt lgkmcnt(6)
	v_xor_b32_e32 v11, 0xfffffdff, v0
                                        ; implicit-def: $vgpr40
	v_ashrrev_i32_e32 v12, 31, v11
	v_add_co_u32 v11, vcc_lo, v19, v11
	v_add_co_ci_u32_e64 v12, null, v20, v12, vcc_lo
.LBB263_135:
	s_andn2_saveexec_b32 s2, s2
	s_cbranch_execz .LBB263_137
; %bb.136:
	s_waitcnt lgkmcnt(6)
	v_add_co_u32 v11, vcc_lo, v15, v40
	v_add_co_ci_u32_e64 v12, null, 0, v17, vcc_lo
.LBB263_137:
	s_or_b32 exec_lo, exec_lo, s2
	s_waitcnt lgkmcnt(6)
	v_lshlrev_b64 v[11:12], 2, v[11:12]
	v_add_co_u32 v11, vcc_lo, s14, v11
	v_add_co_ci_u32_e64 v12, null, s15, v12, vcc_lo
	s_waitcnt lgkmcnt(5)
	global_store_dword v[11:12], v9, off
	s_or_b32 exec_lo, exec_lo, s1
	s_mov_b32 s1, exec_lo
	v_cmpx_gt_u32_e64 s25, v39
	s_cbranch_execnz .LBB263_169
.LBB263_138:
	s_or_b32 exec_lo, exec_lo, s1
	s_mov_b32 s1, exec_lo
	v_cmpx_gt_u32_e64 s25, v38
	s_cbranch_execz .LBB263_174
.LBB263_139:
	s_mov_b32 s2, exec_lo
                                        ; implicit-def: $vgpr9_vgpr10
	v_cmpx_ge_u32_e64 v38, v16
	s_xor_b32 s2, exec_lo, s2
	s_cbranch_execz .LBB263_141
; %bb.140:
	s_waitcnt lgkmcnt(5)
	v_xor_b32_e32 v9, 0xfffffbff, v0
                                        ; implicit-def: $vgpr38
	v_ashrrev_i32_e32 v10, 31, v9
	v_add_co_u32 v9, vcc_lo, v19, v9
	v_add_co_ci_u32_e64 v10, null, v20, v10, vcc_lo
.LBB263_141:
	s_andn2_saveexec_b32 s2, s2
	s_cbranch_execz .LBB263_143
; %bb.142:
	s_waitcnt lgkmcnt(5)
	v_add_co_u32 v9, vcc_lo, v15, v38
	v_add_co_ci_u32_e64 v10, null, 0, v17, vcc_lo
.LBB263_143:
	s_or_b32 exec_lo, exec_lo, s2
	s_waitcnt lgkmcnt(5)
	v_lshlrev_b64 v[9:10], 2, v[9:10]
	v_add_co_u32 v9, vcc_lo, s14, v9
	v_add_co_ci_u32_e64 v10, null, s15, v10, vcc_lo
	s_waitcnt lgkmcnt(4)
	global_store_dword v[9:10], v7, off
	s_or_b32 exec_lo, exec_lo, s1
	s_mov_b32 s1, exec_lo
	v_cmpx_gt_u32_e64 s25, v37
	s_cbranch_execnz .LBB263_175
.LBB263_144:
	s_or_b32 exec_lo, exec_lo, s1
	s_mov_b32 s1, exec_lo
	v_cmpx_gt_u32_e64 s25, v36
	s_cbranch_execz .LBB263_180
.LBB263_145:
	s_mov_b32 s2, exec_lo
                                        ; implicit-def: $vgpr7_vgpr8
	v_cmpx_ge_u32_e64 v36, v16
	s_xor_b32 s2, exec_lo, s2
	s_cbranch_execz .LBB263_147
; %bb.146:
	s_waitcnt lgkmcnt(4)
	v_xor_b32_e32 v7, 0xfffff9ff, v0
                                        ; implicit-def: $vgpr36
	v_ashrrev_i32_e32 v8, 31, v7
	v_add_co_u32 v7, vcc_lo, v19, v7
	v_add_co_ci_u32_e64 v8, null, v20, v8, vcc_lo
.LBB263_147:
	s_andn2_saveexec_b32 s2, s2
	s_cbranch_execz .LBB263_149
; %bb.148:
	s_waitcnt lgkmcnt(4)
	v_add_co_u32 v7, vcc_lo, v15, v36
	v_add_co_ci_u32_e64 v8, null, 0, v17, vcc_lo
.LBB263_149:
	s_or_b32 exec_lo, exec_lo, s2
	s_waitcnt lgkmcnt(4)
	v_lshlrev_b64 v[7:8], 2, v[7:8]
	v_add_co_u32 v7, vcc_lo, s14, v7
	v_add_co_ci_u32_e64 v8, null, s15, v8, vcc_lo
	s_waitcnt lgkmcnt(3)
	global_store_dword v[7:8], v5, off
	s_or_b32 exec_lo, exec_lo, s1
	s_mov_b32 s1, exec_lo
	v_cmpx_gt_u32_e64 s25, v35
	s_cbranch_execnz .LBB263_181
.LBB263_150:
	s_or_b32 exec_lo, exec_lo, s1
	s_mov_b32 s1, exec_lo
	v_cmpx_gt_u32_e64 s25, v34
	s_cbranch_execz .LBB263_186
.LBB263_151:
	s_mov_b32 s2, exec_lo
                                        ; implicit-def: $vgpr5_vgpr6
	v_cmpx_ge_u32_e64 v34, v16
	s_xor_b32 s2, exec_lo, s2
	s_cbranch_execz .LBB263_153
; %bb.152:
	s_waitcnt lgkmcnt(3)
	v_xor_b32_e32 v5, 0xfffff7ff, v0
                                        ; implicit-def: $vgpr34
	v_ashrrev_i32_e32 v6, 31, v5
	v_add_co_u32 v5, vcc_lo, v19, v5
	v_add_co_ci_u32_e64 v6, null, v20, v6, vcc_lo
.LBB263_153:
	s_andn2_saveexec_b32 s2, s2
	s_cbranch_execz .LBB263_155
; %bb.154:
	s_waitcnt lgkmcnt(3)
	v_add_co_u32 v5, vcc_lo, v15, v34
	v_add_co_ci_u32_e64 v6, null, 0, v17, vcc_lo
.LBB263_155:
	s_or_b32 exec_lo, exec_lo, s2
	s_waitcnt lgkmcnt(3)
	v_lshlrev_b64 v[5:6], 2, v[5:6]
	v_add_co_u32 v5, vcc_lo, s14, v5
	v_add_co_ci_u32_e64 v6, null, s15, v6, vcc_lo
	s_waitcnt lgkmcnt(2)
	global_store_dword v[5:6], v3, off
	s_or_b32 exec_lo, exec_lo, s1
	s_mov_b32 s1, exec_lo
	v_cmpx_gt_u32_e64 s25, v33
	s_cbranch_execnz .LBB263_187
.LBB263_156:
	s_or_b32 exec_lo, exec_lo, s1
	s_mov_b32 s1, exec_lo
	v_cmpx_gt_u32_e64 s25, v32
	s_cbranch_execz .LBB263_192
.LBB263_157:
	s_mov_b32 s2, exec_lo
                                        ; implicit-def: $vgpr3_vgpr4
	v_cmpx_ge_u32_e64 v32, v16
	s_xor_b32 s2, exec_lo, s2
	s_cbranch_execz .LBB263_159
; %bb.158:
	s_waitcnt lgkmcnt(2)
	v_xor_b32_e32 v3, 0xfffff5ff, v0
                                        ; implicit-def: $vgpr32
	v_ashrrev_i32_e32 v4, 31, v3
	v_add_co_u32 v3, vcc_lo, v19, v3
	v_add_co_ci_u32_e64 v4, null, v20, v4, vcc_lo
.LBB263_159:
	s_andn2_saveexec_b32 s2, s2
	s_cbranch_execz .LBB263_161
; %bb.160:
	s_waitcnt lgkmcnt(2)
	v_add_co_u32 v3, vcc_lo, v15, v32
	v_add_co_ci_u32_e64 v4, null, 0, v17, vcc_lo
.LBB263_161:
	s_or_b32 exec_lo, exec_lo, s2
	s_waitcnt lgkmcnt(2)
	v_lshlrev_b64 v[3:4], 2, v[3:4]
	v_add_co_u32 v3, vcc_lo, s14, v3
	v_add_co_ci_u32_e64 v4, null, s15, v4, vcc_lo
	s_waitcnt lgkmcnt(1)
	global_store_dword v[3:4], v1, off
	s_or_b32 exec_lo, exec_lo, s1
	s_mov_b32 s1, exec_lo
	v_cmpx_gt_u32_e64 s25, v31
	s_cbranch_execz .LBB263_198
	s_branch .LBB263_193
.LBB263_162:
	s_or_b32 exec_lo, exec_lo, s1
	s_mov_b32 s1, exec_lo
	v_cmpx_gt_u32_e64 s25, v41
	s_cbranch_execz .LBB263_132
.LBB263_163:
	s_mov_b32 s2, exec_lo
                                        ; implicit-def: $vgpr13_vgpr14
	v_cmpx_ge_u32_e64 v41, v16
	s_xor_b32 s2, exec_lo, s2
	s_cbranch_execz .LBB263_165
; %bb.164:
	s_waitcnt lgkmcnt(6)
	v_xor_b32_e32 v11, 0xfffffeff, v0
                                        ; implicit-def: $vgpr41
	v_ashrrev_i32_e32 v14, 31, v11
	v_add_co_u32 v13, vcc_lo, v19, v11
	v_add_co_ci_u32_e64 v14, null, v20, v14, vcc_lo
.LBB263_165:
	s_andn2_saveexec_b32 s2, s2
; %bb.166:
	v_add_co_u32 v13, vcc_lo, v15, v41
	v_add_co_ci_u32_e64 v14, null, 0, v17, vcc_lo
; %bb.167:
	s_or_b32 exec_lo, exec_lo, s2
	v_lshlrev_b64 v[13:14], 2, v[13:14]
	v_add_co_u32 v13, vcc_lo, s14, v13
	v_add_co_ci_u32_e64 v14, null, s15, v14, vcc_lo
	s_waitcnt lgkmcnt(6)
	global_store_dword v[13:14], v12, off
	s_or_b32 exec_lo, exec_lo, s1
	s_mov_b32 s1, exec_lo
	v_cmpx_gt_u32_e64 s25, v40
	s_cbranch_execnz .LBB263_133
.LBB263_168:
	s_or_b32 exec_lo, exec_lo, s1
	s_mov_b32 s1, exec_lo
	v_cmpx_gt_u32_e64 s25, v39
	s_cbranch_execz .LBB263_138
.LBB263_169:
	s_mov_b32 s2, exec_lo
                                        ; implicit-def: $vgpr11_vgpr12
	v_cmpx_ge_u32_e64 v39, v16
	s_xor_b32 s2, exec_lo, s2
	s_cbranch_execz .LBB263_171
; %bb.170:
	s_waitcnt lgkmcnt(5)
	v_xor_b32_e32 v9, 0xfffffcff, v0
                                        ; implicit-def: $vgpr39
	v_ashrrev_i32_e32 v12, 31, v9
	v_add_co_u32 v11, vcc_lo, v19, v9
	v_add_co_ci_u32_e64 v12, null, v20, v12, vcc_lo
.LBB263_171:
	s_andn2_saveexec_b32 s2, s2
	s_cbranch_execz .LBB263_173
; %bb.172:
	s_waitcnt lgkmcnt(6)
	v_add_co_u32 v11, vcc_lo, v15, v39
	v_add_co_ci_u32_e64 v12, null, 0, v17, vcc_lo
.LBB263_173:
	s_or_b32 exec_lo, exec_lo, s2
	s_waitcnt lgkmcnt(6)
	v_lshlrev_b64 v[11:12], 2, v[11:12]
	v_add_co_u32 v11, vcc_lo, s14, v11
	v_add_co_ci_u32_e64 v12, null, s15, v12, vcc_lo
	s_waitcnt lgkmcnt(5)
	global_store_dword v[11:12], v10, off
	s_or_b32 exec_lo, exec_lo, s1
	s_mov_b32 s1, exec_lo
	v_cmpx_gt_u32_e64 s25, v38
	s_cbranch_execnz .LBB263_139
.LBB263_174:
	s_or_b32 exec_lo, exec_lo, s1
	s_mov_b32 s1, exec_lo
	v_cmpx_gt_u32_e64 s25, v37
	s_cbranch_execz .LBB263_144
.LBB263_175:
	s_mov_b32 s2, exec_lo
                                        ; implicit-def: $vgpr9_vgpr10
	v_cmpx_ge_u32_e64 v37, v16
	s_xor_b32 s2, exec_lo, s2
	s_cbranch_execz .LBB263_177
; %bb.176:
	s_waitcnt lgkmcnt(4)
	v_xor_b32_e32 v7, 0xfffffaff, v0
                                        ; implicit-def: $vgpr37
	v_ashrrev_i32_e32 v10, 31, v7
	v_add_co_u32 v9, vcc_lo, v19, v7
	v_add_co_ci_u32_e64 v10, null, v20, v10, vcc_lo
.LBB263_177:
	s_andn2_saveexec_b32 s2, s2
	s_cbranch_execz .LBB263_179
; %bb.178:
	s_waitcnt lgkmcnt(5)
	v_add_co_u32 v9, vcc_lo, v15, v37
	v_add_co_ci_u32_e64 v10, null, 0, v17, vcc_lo
.LBB263_179:
	s_or_b32 exec_lo, exec_lo, s2
	s_waitcnt lgkmcnt(5)
	v_lshlrev_b64 v[9:10], 2, v[9:10]
	v_add_co_u32 v9, vcc_lo, s14, v9
	v_add_co_ci_u32_e64 v10, null, s15, v10, vcc_lo
	s_waitcnt lgkmcnt(4)
	global_store_dword v[9:10], v8, off
	s_or_b32 exec_lo, exec_lo, s1
	s_mov_b32 s1, exec_lo
	v_cmpx_gt_u32_e64 s25, v36
	s_cbranch_execnz .LBB263_145
.LBB263_180:
	s_or_b32 exec_lo, exec_lo, s1
	s_mov_b32 s1, exec_lo
	v_cmpx_gt_u32_e64 s25, v35
	s_cbranch_execz .LBB263_150
.LBB263_181:
	s_mov_b32 s2, exec_lo
                                        ; implicit-def: $vgpr7_vgpr8
	v_cmpx_ge_u32_e64 v35, v16
	s_xor_b32 s2, exec_lo, s2
	s_cbranch_execz .LBB263_183
; %bb.182:
	s_waitcnt lgkmcnt(3)
	v_xor_b32_e32 v5, 0xfffff8ff, v0
                                        ; implicit-def: $vgpr35
	v_ashrrev_i32_e32 v8, 31, v5
	v_add_co_u32 v7, vcc_lo, v19, v5
	v_add_co_ci_u32_e64 v8, null, v20, v8, vcc_lo
.LBB263_183:
	s_andn2_saveexec_b32 s2, s2
	s_cbranch_execz .LBB263_185
; %bb.184:
	s_waitcnt lgkmcnt(4)
	v_add_co_u32 v7, vcc_lo, v15, v35
	v_add_co_ci_u32_e64 v8, null, 0, v17, vcc_lo
.LBB263_185:
	s_or_b32 exec_lo, exec_lo, s2
	s_waitcnt lgkmcnt(4)
	v_lshlrev_b64 v[7:8], 2, v[7:8]
	v_add_co_u32 v7, vcc_lo, s14, v7
	v_add_co_ci_u32_e64 v8, null, s15, v8, vcc_lo
	s_waitcnt lgkmcnt(3)
	global_store_dword v[7:8], v6, off
	s_or_b32 exec_lo, exec_lo, s1
	s_mov_b32 s1, exec_lo
	v_cmpx_gt_u32_e64 s25, v34
	s_cbranch_execnz .LBB263_151
.LBB263_186:
	s_or_b32 exec_lo, exec_lo, s1
	s_mov_b32 s1, exec_lo
	v_cmpx_gt_u32_e64 s25, v33
	s_cbranch_execz .LBB263_156
.LBB263_187:
	s_mov_b32 s2, exec_lo
                                        ; implicit-def: $vgpr5_vgpr6
	v_cmpx_ge_u32_e64 v33, v16
	s_xor_b32 s2, exec_lo, s2
	s_cbranch_execz .LBB263_189
; %bb.188:
	s_waitcnt lgkmcnt(2)
	v_xor_b32_e32 v3, 0xfffff6ff, v0
                                        ; implicit-def: $vgpr33
	v_ashrrev_i32_e32 v6, 31, v3
	v_add_co_u32 v5, vcc_lo, v19, v3
	v_add_co_ci_u32_e64 v6, null, v20, v6, vcc_lo
.LBB263_189:
	s_andn2_saveexec_b32 s2, s2
	s_cbranch_execz .LBB263_191
; %bb.190:
	s_waitcnt lgkmcnt(3)
	v_add_co_u32 v5, vcc_lo, v15, v33
	v_add_co_ci_u32_e64 v6, null, 0, v17, vcc_lo
.LBB263_191:
	s_or_b32 exec_lo, exec_lo, s2
	s_waitcnt lgkmcnt(3)
	v_lshlrev_b64 v[5:6], 2, v[5:6]
	v_add_co_u32 v5, vcc_lo, s14, v5
	v_add_co_ci_u32_e64 v6, null, s15, v6, vcc_lo
	s_waitcnt lgkmcnt(2)
	global_store_dword v[5:6], v4, off
	s_or_b32 exec_lo, exec_lo, s1
	s_mov_b32 s1, exec_lo
	v_cmpx_gt_u32_e64 s25, v32
	s_cbranch_execnz .LBB263_157
.LBB263_192:
	s_or_b32 exec_lo, exec_lo, s1
	s_mov_b32 s1, exec_lo
	v_cmpx_gt_u32_e64 s25, v31
	s_cbranch_execz .LBB263_198
.LBB263_193:
	s_mov_b32 s2, exec_lo
                                        ; implicit-def: $vgpr3_vgpr4
	v_cmpx_ge_u32_e64 v31, v16
	s_xor_b32 s2, exec_lo, s2
	s_cbranch_execz .LBB263_195
; %bb.194:
	s_waitcnt lgkmcnt(1)
	v_xor_b32_e32 v1, 0xfffff4ff, v0
                                        ; implicit-def: $vgpr31
	v_ashrrev_i32_e32 v4, 31, v1
	v_add_co_u32 v3, vcc_lo, v19, v1
	v_add_co_ci_u32_e64 v4, null, v20, v4, vcc_lo
.LBB263_195:
	s_andn2_saveexec_b32 s2, s2
	s_cbranch_execz .LBB263_197
; %bb.196:
	s_waitcnt lgkmcnt(2)
	v_add_co_u32 v3, vcc_lo, v15, v31
	v_add_co_ci_u32_e64 v4, null, 0, v17, vcc_lo
.LBB263_197:
	s_or_b32 exec_lo, exec_lo, s2
	s_waitcnt lgkmcnt(2)
	v_lshlrev_b64 v[3:4], 2, v[3:4]
	v_add_co_u32 v3, vcc_lo, s14, v3
	v_add_co_ci_u32_e64 v4, null, s15, v4, vcc_lo
	s_waitcnt lgkmcnt(1)
	global_store_dword v[3:4], v2, off
.LBB263_198:
	s_or_b32 exec_lo, exec_lo, s1
	s_mov_b32 s1, exec_lo
                                        ; implicit-def: $vgpr13_vgpr14
	v_cmpx_gt_u32_e64 s25, v30
	s_cbranch_execz .LBB263_204
; %bb.199:
	s_mov_b32 s2, exec_lo
                                        ; implicit-def: $vgpr13_vgpr14
	v_cmpx_ge_u32_e64 v30, v16
	s_xor_b32 s2, exec_lo, s2
	s_cbranch_execz .LBB263_201
; %bb.200:
	s_waitcnt lgkmcnt(1)
	v_xor_b32_e32 v1, 0xfffff3ff, v0
                                        ; implicit-def: $vgpr30
	v_ashrrev_i32_e32 v2, 31, v1
	v_add_co_u32 v13, vcc_lo, v19, v1
	v_add_co_ci_u32_e64 v14, null, v20, v2, vcc_lo
.LBB263_201:
	s_andn2_saveexec_b32 s2, s2
; %bb.202:
	v_add_co_u32 v13, vcc_lo, v15, v30
	v_add_co_ci_u32_e64 v14, null, 0, v17, vcc_lo
; %bb.203:
	s_or_b32 exec_lo, exec_lo, s2
	s_or_b32 s0, s0, exec_lo
.LBB263_204:
	s_or_b32 exec_lo, exec_lo, s1
.LBB263_205:
	s_and_saveexec_b32 s1, s0
	s_cbranch_execz .LBB263_207
; %bb.206:
	s_waitcnt lgkmcnt(1)
	v_lshlrev_b64 v[1:2], 2, v[13:14]
	v_add_co_u32 v1, vcc_lo, s14, v1
	v_add_co_ci_u32_e64 v2, null, s15, v2, vcc_lo
	s_waitcnt lgkmcnt(0)
	global_store_dword v[1:2], v18, off
.LBB263_207:
	s_or_b32 exec_lo, exec_lo, s1
	v_cmp_eq_u32_e32 vcc_lo, 0, v0
	s_and_b32 s0, vcc_lo, s24
	s_and_saveexec_b32 s1, s0
	s_cbranch_execz .LBB263_209
; %bb.208:
	v_add_co_u32 v0, vcc_lo, v15, v16
	s_waitcnt lgkmcnt(1)
	v_mov_b32_e32 v2, 0
	v_add_co_ci_u32_e64 v1, null, 0, v17, vcc_lo
	global_store_dwordx2 v2, v[0:1], s[12:13]
.LBB263_209:
	s_endpgm
	.section	.rodata,"a",@progbits
	.p2align	6, 0x0
	.amdhsa_kernel _ZN7rocprim17ROCPRIM_400000_NS6detail17trampoline_kernelINS0_13select_configILj256ELj13ELNS0_17block_load_methodE3ELS4_3ELS4_3ELNS0_20block_scan_algorithmE0ELj4294967295EEENS1_25partition_config_selectorILNS1_17partition_subalgoE3EjNS0_10empty_typeEbEEZZNS1_14partition_implILS8_3ELb0ES6_jNS0_17counting_iteratorIjlEEPS9_SE_NS0_5tupleIJPjSE_EEENSF_IJSE_SE_EEES9_SG_JZNS1_25segmented_radix_sort_implINS0_14default_configELb1EPKaPaPKlPlN2at6native12_GLOBAL__N_18offset_tEEE10hipError_tPvRmT1_PNSt15iterator_traitsISY_E10value_typeET2_T3_PNSZ_IS14_E10value_typeET4_jRbjT5_S1A_jjP12ihipStream_tbEUljE_EEESV_SW_SX_S14_S18_S1A_T6_T7_T9_mT8_S1C_bDpT10_ENKUlT_T0_E_clISt17integral_constantIbLb0EES1P_EEDaS1K_S1L_EUlS1K_E_NS1_11comp_targetILNS1_3genE8ELNS1_11target_archE1030ELNS1_3gpuE2ELNS1_3repE0EEENS1_30default_config_static_selectorELNS0_4arch9wavefront6targetE0EEEvSY_
		.amdhsa_group_segment_fixed_size 13320
		.amdhsa_private_segment_fixed_size 0
		.amdhsa_kernarg_size 144
		.amdhsa_user_sgpr_count 6
		.amdhsa_user_sgpr_private_segment_buffer 1
		.amdhsa_user_sgpr_dispatch_ptr 0
		.amdhsa_user_sgpr_queue_ptr 0
		.amdhsa_user_sgpr_kernarg_segment_ptr 1
		.amdhsa_user_sgpr_dispatch_id 0
		.amdhsa_user_sgpr_flat_scratch_init 0
		.amdhsa_user_sgpr_private_segment_size 0
		.amdhsa_wavefront_size32 1
		.amdhsa_uses_dynamic_stack 0
		.amdhsa_system_sgpr_private_segment_wavefront_offset 0
		.amdhsa_system_sgpr_workgroup_id_x 1
		.amdhsa_system_sgpr_workgroup_id_y 0
		.amdhsa_system_sgpr_workgroup_id_z 0
		.amdhsa_system_sgpr_workgroup_info 0
		.amdhsa_system_vgpr_workitem_id 0
		.amdhsa_next_free_vgpr 69
		.amdhsa_next_free_sgpr 27
		.amdhsa_reserve_vcc 1
		.amdhsa_reserve_flat_scratch 0
		.amdhsa_float_round_mode_32 0
		.amdhsa_float_round_mode_16_64 0
		.amdhsa_float_denorm_mode_32 3
		.amdhsa_float_denorm_mode_16_64 3
		.amdhsa_dx10_clamp 1
		.amdhsa_ieee_mode 1
		.amdhsa_fp16_overflow 0
		.amdhsa_workgroup_processor_mode 1
		.amdhsa_memory_ordered 1
		.amdhsa_forward_progress 1
		.amdhsa_shared_vgpr_count 0
		.amdhsa_exception_fp_ieee_invalid_op 0
		.amdhsa_exception_fp_denorm_src 0
		.amdhsa_exception_fp_ieee_div_zero 0
		.amdhsa_exception_fp_ieee_overflow 0
		.amdhsa_exception_fp_ieee_underflow 0
		.amdhsa_exception_fp_ieee_inexact 0
		.amdhsa_exception_int_div_zero 0
	.end_amdhsa_kernel
	.section	.text._ZN7rocprim17ROCPRIM_400000_NS6detail17trampoline_kernelINS0_13select_configILj256ELj13ELNS0_17block_load_methodE3ELS4_3ELS4_3ELNS0_20block_scan_algorithmE0ELj4294967295EEENS1_25partition_config_selectorILNS1_17partition_subalgoE3EjNS0_10empty_typeEbEEZZNS1_14partition_implILS8_3ELb0ES6_jNS0_17counting_iteratorIjlEEPS9_SE_NS0_5tupleIJPjSE_EEENSF_IJSE_SE_EEES9_SG_JZNS1_25segmented_radix_sort_implINS0_14default_configELb1EPKaPaPKlPlN2at6native12_GLOBAL__N_18offset_tEEE10hipError_tPvRmT1_PNSt15iterator_traitsISY_E10value_typeET2_T3_PNSZ_IS14_E10value_typeET4_jRbjT5_S1A_jjP12ihipStream_tbEUljE_EEESV_SW_SX_S14_S18_S1A_T6_T7_T9_mT8_S1C_bDpT10_ENKUlT_T0_E_clISt17integral_constantIbLb0EES1P_EEDaS1K_S1L_EUlS1K_E_NS1_11comp_targetILNS1_3genE8ELNS1_11target_archE1030ELNS1_3gpuE2ELNS1_3repE0EEENS1_30default_config_static_selectorELNS0_4arch9wavefront6targetE0EEEvSY_,"axG",@progbits,_ZN7rocprim17ROCPRIM_400000_NS6detail17trampoline_kernelINS0_13select_configILj256ELj13ELNS0_17block_load_methodE3ELS4_3ELS4_3ELNS0_20block_scan_algorithmE0ELj4294967295EEENS1_25partition_config_selectorILNS1_17partition_subalgoE3EjNS0_10empty_typeEbEEZZNS1_14partition_implILS8_3ELb0ES6_jNS0_17counting_iteratorIjlEEPS9_SE_NS0_5tupleIJPjSE_EEENSF_IJSE_SE_EEES9_SG_JZNS1_25segmented_radix_sort_implINS0_14default_configELb1EPKaPaPKlPlN2at6native12_GLOBAL__N_18offset_tEEE10hipError_tPvRmT1_PNSt15iterator_traitsISY_E10value_typeET2_T3_PNSZ_IS14_E10value_typeET4_jRbjT5_S1A_jjP12ihipStream_tbEUljE_EEESV_SW_SX_S14_S18_S1A_T6_T7_T9_mT8_S1C_bDpT10_ENKUlT_T0_E_clISt17integral_constantIbLb0EES1P_EEDaS1K_S1L_EUlS1K_E_NS1_11comp_targetILNS1_3genE8ELNS1_11target_archE1030ELNS1_3gpuE2ELNS1_3repE0EEENS1_30default_config_static_selectorELNS0_4arch9wavefront6targetE0EEEvSY_,comdat
.Lfunc_end263:
	.size	_ZN7rocprim17ROCPRIM_400000_NS6detail17trampoline_kernelINS0_13select_configILj256ELj13ELNS0_17block_load_methodE3ELS4_3ELS4_3ELNS0_20block_scan_algorithmE0ELj4294967295EEENS1_25partition_config_selectorILNS1_17partition_subalgoE3EjNS0_10empty_typeEbEEZZNS1_14partition_implILS8_3ELb0ES6_jNS0_17counting_iteratorIjlEEPS9_SE_NS0_5tupleIJPjSE_EEENSF_IJSE_SE_EEES9_SG_JZNS1_25segmented_radix_sort_implINS0_14default_configELb1EPKaPaPKlPlN2at6native12_GLOBAL__N_18offset_tEEE10hipError_tPvRmT1_PNSt15iterator_traitsISY_E10value_typeET2_T3_PNSZ_IS14_E10value_typeET4_jRbjT5_S1A_jjP12ihipStream_tbEUljE_EEESV_SW_SX_S14_S18_S1A_T6_T7_T9_mT8_S1C_bDpT10_ENKUlT_T0_E_clISt17integral_constantIbLb0EES1P_EEDaS1K_S1L_EUlS1K_E_NS1_11comp_targetILNS1_3genE8ELNS1_11target_archE1030ELNS1_3gpuE2ELNS1_3repE0EEENS1_30default_config_static_selectorELNS0_4arch9wavefront6targetE0EEEvSY_, .Lfunc_end263-_ZN7rocprim17ROCPRIM_400000_NS6detail17trampoline_kernelINS0_13select_configILj256ELj13ELNS0_17block_load_methodE3ELS4_3ELS4_3ELNS0_20block_scan_algorithmE0ELj4294967295EEENS1_25partition_config_selectorILNS1_17partition_subalgoE3EjNS0_10empty_typeEbEEZZNS1_14partition_implILS8_3ELb0ES6_jNS0_17counting_iteratorIjlEEPS9_SE_NS0_5tupleIJPjSE_EEENSF_IJSE_SE_EEES9_SG_JZNS1_25segmented_radix_sort_implINS0_14default_configELb1EPKaPaPKlPlN2at6native12_GLOBAL__N_18offset_tEEE10hipError_tPvRmT1_PNSt15iterator_traitsISY_E10value_typeET2_T3_PNSZ_IS14_E10value_typeET4_jRbjT5_S1A_jjP12ihipStream_tbEUljE_EEESV_SW_SX_S14_S18_S1A_T6_T7_T9_mT8_S1C_bDpT10_ENKUlT_T0_E_clISt17integral_constantIbLb0EES1P_EEDaS1K_S1L_EUlS1K_E_NS1_11comp_targetILNS1_3genE8ELNS1_11target_archE1030ELNS1_3gpuE2ELNS1_3repE0EEENS1_30default_config_static_selectorELNS0_4arch9wavefront6targetE0EEEvSY_
                                        ; -- End function
	.set _ZN7rocprim17ROCPRIM_400000_NS6detail17trampoline_kernelINS0_13select_configILj256ELj13ELNS0_17block_load_methodE3ELS4_3ELS4_3ELNS0_20block_scan_algorithmE0ELj4294967295EEENS1_25partition_config_selectorILNS1_17partition_subalgoE3EjNS0_10empty_typeEbEEZZNS1_14partition_implILS8_3ELb0ES6_jNS0_17counting_iteratorIjlEEPS9_SE_NS0_5tupleIJPjSE_EEENSF_IJSE_SE_EEES9_SG_JZNS1_25segmented_radix_sort_implINS0_14default_configELb1EPKaPaPKlPlN2at6native12_GLOBAL__N_18offset_tEEE10hipError_tPvRmT1_PNSt15iterator_traitsISY_E10value_typeET2_T3_PNSZ_IS14_E10value_typeET4_jRbjT5_S1A_jjP12ihipStream_tbEUljE_EEESV_SW_SX_S14_S18_S1A_T6_T7_T9_mT8_S1C_bDpT10_ENKUlT_T0_E_clISt17integral_constantIbLb0EES1P_EEDaS1K_S1L_EUlS1K_E_NS1_11comp_targetILNS1_3genE8ELNS1_11target_archE1030ELNS1_3gpuE2ELNS1_3repE0EEENS1_30default_config_static_selectorELNS0_4arch9wavefront6targetE0EEEvSY_.num_vgpr, 69
	.set _ZN7rocprim17ROCPRIM_400000_NS6detail17trampoline_kernelINS0_13select_configILj256ELj13ELNS0_17block_load_methodE3ELS4_3ELS4_3ELNS0_20block_scan_algorithmE0ELj4294967295EEENS1_25partition_config_selectorILNS1_17partition_subalgoE3EjNS0_10empty_typeEbEEZZNS1_14partition_implILS8_3ELb0ES6_jNS0_17counting_iteratorIjlEEPS9_SE_NS0_5tupleIJPjSE_EEENSF_IJSE_SE_EEES9_SG_JZNS1_25segmented_radix_sort_implINS0_14default_configELb1EPKaPaPKlPlN2at6native12_GLOBAL__N_18offset_tEEE10hipError_tPvRmT1_PNSt15iterator_traitsISY_E10value_typeET2_T3_PNSZ_IS14_E10value_typeET4_jRbjT5_S1A_jjP12ihipStream_tbEUljE_EEESV_SW_SX_S14_S18_S1A_T6_T7_T9_mT8_S1C_bDpT10_ENKUlT_T0_E_clISt17integral_constantIbLb0EES1P_EEDaS1K_S1L_EUlS1K_E_NS1_11comp_targetILNS1_3genE8ELNS1_11target_archE1030ELNS1_3gpuE2ELNS1_3repE0EEENS1_30default_config_static_selectorELNS0_4arch9wavefront6targetE0EEEvSY_.num_agpr, 0
	.set _ZN7rocprim17ROCPRIM_400000_NS6detail17trampoline_kernelINS0_13select_configILj256ELj13ELNS0_17block_load_methodE3ELS4_3ELS4_3ELNS0_20block_scan_algorithmE0ELj4294967295EEENS1_25partition_config_selectorILNS1_17partition_subalgoE3EjNS0_10empty_typeEbEEZZNS1_14partition_implILS8_3ELb0ES6_jNS0_17counting_iteratorIjlEEPS9_SE_NS0_5tupleIJPjSE_EEENSF_IJSE_SE_EEES9_SG_JZNS1_25segmented_radix_sort_implINS0_14default_configELb1EPKaPaPKlPlN2at6native12_GLOBAL__N_18offset_tEEE10hipError_tPvRmT1_PNSt15iterator_traitsISY_E10value_typeET2_T3_PNSZ_IS14_E10value_typeET4_jRbjT5_S1A_jjP12ihipStream_tbEUljE_EEESV_SW_SX_S14_S18_S1A_T6_T7_T9_mT8_S1C_bDpT10_ENKUlT_T0_E_clISt17integral_constantIbLb0EES1P_EEDaS1K_S1L_EUlS1K_E_NS1_11comp_targetILNS1_3genE8ELNS1_11target_archE1030ELNS1_3gpuE2ELNS1_3repE0EEENS1_30default_config_static_selectorELNS0_4arch9wavefront6targetE0EEEvSY_.numbered_sgpr, 27
	.set _ZN7rocprim17ROCPRIM_400000_NS6detail17trampoline_kernelINS0_13select_configILj256ELj13ELNS0_17block_load_methodE3ELS4_3ELS4_3ELNS0_20block_scan_algorithmE0ELj4294967295EEENS1_25partition_config_selectorILNS1_17partition_subalgoE3EjNS0_10empty_typeEbEEZZNS1_14partition_implILS8_3ELb0ES6_jNS0_17counting_iteratorIjlEEPS9_SE_NS0_5tupleIJPjSE_EEENSF_IJSE_SE_EEES9_SG_JZNS1_25segmented_radix_sort_implINS0_14default_configELb1EPKaPaPKlPlN2at6native12_GLOBAL__N_18offset_tEEE10hipError_tPvRmT1_PNSt15iterator_traitsISY_E10value_typeET2_T3_PNSZ_IS14_E10value_typeET4_jRbjT5_S1A_jjP12ihipStream_tbEUljE_EEESV_SW_SX_S14_S18_S1A_T6_T7_T9_mT8_S1C_bDpT10_ENKUlT_T0_E_clISt17integral_constantIbLb0EES1P_EEDaS1K_S1L_EUlS1K_E_NS1_11comp_targetILNS1_3genE8ELNS1_11target_archE1030ELNS1_3gpuE2ELNS1_3repE0EEENS1_30default_config_static_selectorELNS0_4arch9wavefront6targetE0EEEvSY_.num_named_barrier, 0
	.set _ZN7rocprim17ROCPRIM_400000_NS6detail17trampoline_kernelINS0_13select_configILj256ELj13ELNS0_17block_load_methodE3ELS4_3ELS4_3ELNS0_20block_scan_algorithmE0ELj4294967295EEENS1_25partition_config_selectorILNS1_17partition_subalgoE3EjNS0_10empty_typeEbEEZZNS1_14partition_implILS8_3ELb0ES6_jNS0_17counting_iteratorIjlEEPS9_SE_NS0_5tupleIJPjSE_EEENSF_IJSE_SE_EEES9_SG_JZNS1_25segmented_radix_sort_implINS0_14default_configELb1EPKaPaPKlPlN2at6native12_GLOBAL__N_18offset_tEEE10hipError_tPvRmT1_PNSt15iterator_traitsISY_E10value_typeET2_T3_PNSZ_IS14_E10value_typeET4_jRbjT5_S1A_jjP12ihipStream_tbEUljE_EEESV_SW_SX_S14_S18_S1A_T6_T7_T9_mT8_S1C_bDpT10_ENKUlT_T0_E_clISt17integral_constantIbLb0EES1P_EEDaS1K_S1L_EUlS1K_E_NS1_11comp_targetILNS1_3genE8ELNS1_11target_archE1030ELNS1_3gpuE2ELNS1_3repE0EEENS1_30default_config_static_selectorELNS0_4arch9wavefront6targetE0EEEvSY_.private_seg_size, 0
	.set _ZN7rocprim17ROCPRIM_400000_NS6detail17trampoline_kernelINS0_13select_configILj256ELj13ELNS0_17block_load_methodE3ELS4_3ELS4_3ELNS0_20block_scan_algorithmE0ELj4294967295EEENS1_25partition_config_selectorILNS1_17partition_subalgoE3EjNS0_10empty_typeEbEEZZNS1_14partition_implILS8_3ELb0ES6_jNS0_17counting_iteratorIjlEEPS9_SE_NS0_5tupleIJPjSE_EEENSF_IJSE_SE_EEES9_SG_JZNS1_25segmented_radix_sort_implINS0_14default_configELb1EPKaPaPKlPlN2at6native12_GLOBAL__N_18offset_tEEE10hipError_tPvRmT1_PNSt15iterator_traitsISY_E10value_typeET2_T3_PNSZ_IS14_E10value_typeET4_jRbjT5_S1A_jjP12ihipStream_tbEUljE_EEESV_SW_SX_S14_S18_S1A_T6_T7_T9_mT8_S1C_bDpT10_ENKUlT_T0_E_clISt17integral_constantIbLb0EES1P_EEDaS1K_S1L_EUlS1K_E_NS1_11comp_targetILNS1_3genE8ELNS1_11target_archE1030ELNS1_3gpuE2ELNS1_3repE0EEENS1_30default_config_static_selectorELNS0_4arch9wavefront6targetE0EEEvSY_.uses_vcc, 1
	.set _ZN7rocprim17ROCPRIM_400000_NS6detail17trampoline_kernelINS0_13select_configILj256ELj13ELNS0_17block_load_methodE3ELS4_3ELS4_3ELNS0_20block_scan_algorithmE0ELj4294967295EEENS1_25partition_config_selectorILNS1_17partition_subalgoE3EjNS0_10empty_typeEbEEZZNS1_14partition_implILS8_3ELb0ES6_jNS0_17counting_iteratorIjlEEPS9_SE_NS0_5tupleIJPjSE_EEENSF_IJSE_SE_EEES9_SG_JZNS1_25segmented_radix_sort_implINS0_14default_configELb1EPKaPaPKlPlN2at6native12_GLOBAL__N_18offset_tEEE10hipError_tPvRmT1_PNSt15iterator_traitsISY_E10value_typeET2_T3_PNSZ_IS14_E10value_typeET4_jRbjT5_S1A_jjP12ihipStream_tbEUljE_EEESV_SW_SX_S14_S18_S1A_T6_T7_T9_mT8_S1C_bDpT10_ENKUlT_T0_E_clISt17integral_constantIbLb0EES1P_EEDaS1K_S1L_EUlS1K_E_NS1_11comp_targetILNS1_3genE8ELNS1_11target_archE1030ELNS1_3gpuE2ELNS1_3repE0EEENS1_30default_config_static_selectorELNS0_4arch9wavefront6targetE0EEEvSY_.uses_flat_scratch, 0
	.set _ZN7rocprim17ROCPRIM_400000_NS6detail17trampoline_kernelINS0_13select_configILj256ELj13ELNS0_17block_load_methodE3ELS4_3ELS4_3ELNS0_20block_scan_algorithmE0ELj4294967295EEENS1_25partition_config_selectorILNS1_17partition_subalgoE3EjNS0_10empty_typeEbEEZZNS1_14partition_implILS8_3ELb0ES6_jNS0_17counting_iteratorIjlEEPS9_SE_NS0_5tupleIJPjSE_EEENSF_IJSE_SE_EEES9_SG_JZNS1_25segmented_radix_sort_implINS0_14default_configELb1EPKaPaPKlPlN2at6native12_GLOBAL__N_18offset_tEEE10hipError_tPvRmT1_PNSt15iterator_traitsISY_E10value_typeET2_T3_PNSZ_IS14_E10value_typeET4_jRbjT5_S1A_jjP12ihipStream_tbEUljE_EEESV_SW_SX_S14_S18_S1A_T6_T7_T9_mT8_S1C_bDpT10_ENKUlT_T0_E_clISt17integral_constantIbLb0EES1P_EEDaS1K_S1L_EUlS1K_E_NS1_11comp_targetILNS1_3genE8ELNS1_11target_archE1030ELNS1_3gpuE2ELNS1_3repE0EEENS1_30default_config_static_selectorELNS0_4arch9wavefront6targetE0EEEvSY_.has_dyn_sized_stack, 0
	.set _ZN7rocprim17ROCPRIM_400000_NS6detail17trampoline_kernelINS0_13select_configILj256ELj13ELNS0_17block_load_methodE3ELS4_3ELS4_3ELNS0_20block_scan_algorithmE0ELj4294967295EEENS1_25partition_config_selectorILNS1_17partition_subalgoE3EjNS0_10empty_typeEbEEZZNS1_14partition_implILS8_3ELb0ES6_jNS0_17counting_iteratorIjlEEPS9_SE_NS0_5tupleIJPjSE_EEENSF_IJSE_SE_EEES9_SG_JZNS1_25segmented_radix_sort_implINS0_14default_configELb1EPKaPaPKlPlN2at6native12_GLOBAL__N_18offset_tEEE10hipError_tPvRmT1_PNSt15iterator_traitsISY_E10value_typeET2_T3_PNSZ_IS14_E10value_typeET4_jRbjT5_S1A_jjP12ihipStream_tbEUljE_EEESV_SW_SX_S14_S18_S1A_T6_T7_T9_mT8_S1C_bDpT10_ENKUlT_T0_E_clISt17integral_constantIbLb0EES1P_EEDaS1K_S1L_EUlS1K_E_NS1_11comp_targetILNS1_3genE8ELNS1_11target_archE1030ELNS1_3gpuE2ELNS1_3repE0EEENS1_30default_config_static_selectorELNS0_4arch9wavefront6targetE0EEEvSY_.has_recursion, 0
	.set _ZN7rocprim17ROCPRIM_400000_NS6detail17trampoline_kernelINS0_13select_configILj256ELj13ELNS0_17block_load_methodE3ELS4_3ELS4_3ELNS0_20block_scan_algorithmE0ELj4294967295EEENS1_25partition_config_selectorILNS1_17partition_subalgoE3EjNS0_10empty_typeEbEEZZNS1_14partition_implILS8_3ELb0ES6_jNS0_17counting_iteratorIjlEEPS9_SE_NS0_5tupleIJPjSE_EEENSF_IJSE_SE_EEES9_SG_JZNS1_25segmented_radix_sort_implINS0_14default_configELb1EPKaPaPKlPlN2at6native12_GLOBAL__N_18offset_tEEE10hipError_tPvRmT1_PNSt15iterator_traitsISY_E10value_typeET2_T3_PNSZ_IS14_E10value_typeET4_jRbjT5_S1A_jjP12ihipStream_tbEUljE_EEESV_SW_SX_S14_S18_S1A_T6_T7_T9_mT8_S1C_bDpT10_ENKUlT_T0_E_clISt17integral_constantIbLb0EES1P_EEDaS1K_S1L_EUlS1K_E_NS1_11comp_targetILNS1_3genE8ELNS1_11target_archE1030ELNS1_3gpuE2ELNS1_3repE0EEENS1_30default_config_static_selectorELNS0_4arch9wavefront6targetE0EEEvSY_.has_indirect_call, 0
	.section	.AMDGPU.csdata,"",@progbits
; Kernel info:
; codeLenInByte = 8564
; TotalNumSgprs: 29
; NumVgprs: 69
; ScratchSize: 0
; MemoryBound: 0
; FloatMode: 240
; IeeeMode: 1
; LDSByteSize: 13320 bytes/workgroup (compile time only)
; SGPRBlocks: 0
; VGPRBlocks: 8
; NumSGPRsForWavesPerEU: 29
; NumVGPRsForWavesPerEU: 69
; Occupancy: 12
; WaveLimiterHint : 0
; COMPUTE_PGM_RSRC2:SCRATCH_EN: 0
; COMPUTE_PGM_RSRC2:USER_SGPR: 6
; COMPUTE_PGM_RSRC2:TRAP_HANDLER: 0
; COMPUTE_PGM_RSRC2:TGID_X_EN: 1
; COMPUTE_PGM_RSRC2:TGID_Y_EN: 0
; COMPUTE_PGM_RSRC2:TGID_Z_EN: 0
; COMPUTE_PGM_RSRC2:TIDIG_COMP_CNT: 0
	.section	.text._ZN7rocprim17ROCPRIM_400000_NS6detail17trampoline_kernelINS0_13select_configILj256ELj13ELNS0_17block_load_methodE3ELS4_3ELS4_3ELNS0_20block_scan_algorithmE0ELj4294967295EEENS1_25partition_config_selectorILNS1_17partition_subalgoE3EjNS0_10empty_typeEbEEZZNS1_14partition_implILS8_3ELb0ES6_jNS0_17counting_iteratorIjlEEPS9_SE_NS0_5tupleIJPjSE_EEENSF_IJSE_SE_EEES9_SG_JZNS1_25segmented_radix_sort_implINS0_14default_configELb1EPKaPaPKlPlN2at6native12_GLOBAL__N_18offset_tEEE10hipError_tPvRmT1_PNSt15iterator_traitsISY_E10value_typeET2_T3_PNSZ_IS14_E10value_typeET4_jRbjT5_S1A_jjP12ihipStream_tbEUljE_EEESV_SW_SX_S14_S18_S1A_T6_T7_T9_mT8_S1C_bDpT10_ENKUlT_T0_E_clISt17integral_constantIbLb1EES1P_EEDaS1K_S1L_EUlS1K_E_NS1_11comp_targetILNS1_3genE0ELNS1_11target_archE4294967295ELNS1_3gpuE0ELNS1_3repE0EEENS1_30default_config_static_selectorELNS0_4arch9wavefront6targetE0EEEvSY_,"axG",@progbits,_ZN7rocprim17ROCPRIM_400000_NS6detail17trampoline_kernelINS0_13select_configILj256ELj13ELNS0_17block_load_methodE3ELS4_3ELS4_3ELNS0_20block_scan_algorithmE0ELj4294967295EEENS1_25partition_config_selectorILNS1_17partition_subalgoE3EjNS0_10empty_typeEbEEZZNS1_14partition_implILS8_3ELb0ES6_jNS0_17counting_iteratorIjlEEPS9_SE_NS0_5tupleIJPjSE_EEENSF_IJSE_SE_EEES9_SG_JZNS1_25segmented_radix_sort_implINS0_14default_configELb1EPKaPaPKlPlN2at6native12_GLOBAL__N_18offset_tEEE10hipError_tPvRmT1_PNSt15iterator_traitsISY_E10value_typeET2_T3_PNSZ_IS14_E10value_typeET4_jRbjT5_S1A_jjP12ihipStream_tbEUljE_EEESV_SW_SX_S14_S18_S1A_T6_T7_T9_mT8_S1C_bDpT10_ENKUlT_T0_E_clISt17integral_constantIbLb1EES1P_EEDaS1K_S1L_EUlS1K_E_NS1_11comp_targetILNS1_3genE0ELNS1_11target_archE4294967295ELNS1_3gpuE0ELNS1_3repE0EEENS1_30default_config_static_selectorELNS0_4arch9wavefront6targetE0EEEvSY_,comdat
	.globl	_ZN7rocprim17ROCPRIM_400000_NS6detail17trampoline_kernelINS0_13select_configILj256ELj13ELNS0_17block_load_methodE3ELS4_3ELS4_3ELNS0_20block_scan_algorithmE0ELj4294967295EEENS1_25partition_config_selectorILNS1_17partition_subalgoE3EjNS0_10empty_typeEbEEZZNS1_14partition_implILS8_3ELb0ES6_jNS0_17counting_iteratorIjlEEPS9_SE_NS0_5tupleIJPjSE_EEENSF_IJSE_SE_EEES9_SG_JZNS1_25segmented_radix_sort_implINS0_14default_configELb1EPKaPaPKlPlN2at6native12_GLOBAL__N_18offset_tEEE10hipError_tPvRmT1_PNSt15iterator_traitsISY_E10value_typeET2_T3_PNSZ_IS14_E10value_typeET4_jRbjT5_S1A_jjP12ihipStream_tbEUljE_EEESV_SW_SX_S14_S18_S1A_T6_T7_T9_mT8_S1C_bDpT10_ENKUlT_T0_E_clISt17integral_constantIbLb1EES1P_EEDaS1K_S1L_EUlS1K_E_NS1_11comp_targetILNS1_3genE0ELNS1_11target_archE4294967295ELNS1_3gpuE0ELNS1_3repE0EEENS1_30default_config_static_selectorELNS0_4arch9wavefront6targetE0EEEvSY_ ; -- Begin function _ZN7rocprim17ROCPRIM_400000_NS6detail17trampoline_kernelINS0_13select_configILj256ELj13ELNS0_17block_load_methodE3ELS4_3ELS4_3ELNS0_20block_scan_algorithmE0ELj4294967295EEENS1_25partition_config_selectorILNS1_17partition_subalgoE3EjNS0_10empty_typeEbEEZZNS1_14partition_implILS8_3ELb0ES6_jNS0_17counting_iteratorIjlEEPS9_SE_NS0_5tupleIJPjSE_EEENSF_IJSE_SE_EEES9_SG_JZNS1_25segmented_radix_sort_implINS0_14default_configELb1EPKaPaPKlPlN2at6native12_GLOBAL__N_18offset_tEEE10hipError_tPvRmT1_PNSt15iterator_traitsISY_E10value_typeET2_T3_PNSZ_IS14_E10value_typeET4_jRbjT5_S1A_jjP12ihipStream_tbEUljE_EEESV_SW_SX_S14_S18_S1A_T6_T7_T9_mT8_S1C_bDpT10_ENKUlT_T0_E_clISt17integral_constantIbLb1EES1P_EEDaS1K_S1L_EUlS1K_E_NS1_11comp_targetILNS1_3genE0ELNS1_11target_archE4294967295ELNS1_3gpuE0ELNS1_3repE0EEENS1_30default_config_static_selectorELNS0_4arch9wavefront6targetE0EEEvSY_
	.p2align	8
	.type	_ZN7rocprim17ROCPRIM_400000_NS6detail17trampoline_kernelINS0_13select_configILj256ELj13ELNS0_17block_load_methodE3ELS4_3ELS4_3ELNS0_20block_scan_algorithmE0ELj4294967295EEENS1_25partition_config_selectorILNS1_17partition_subalgoE3EjNS0_10empty_typeEbEEZZNS1_14partition_implILS8_3ELb0ES6_jNS0_17counting_iteratorIjlEEPS9_SE_NS0_5tupleIJPjSE_EEENSF_IJSE_SE_EEES9_SG_JZNS1_25segmented_radix_sort_implINS0_14default_configELb1EPKaPaPKlPlN2at6native12_GLOBAL__N_18offset_tEEE10hipError_tPvRmT1_PNSt15iterator_traitsISY_E10value_typeET2_T3_PNSZ_IS14_E10value_typeET4_jRbjT5_S1A_jjP12ihipStream_tbEUljE_EEESV_SW_SX_S14_S18_S1A_T6_T7_T9_mT8_S1C_bDpT10_ENKUlT_T0_E_clISt17integral_constantIbLb1EES1P_EEDaS1K_S1L_EUlS1K_E_NS1_11comp_targetILNS1_3genE0ELNS1_11target_archE4294967295ELNS1_3gpuE0ELNS1_3repE0EEENS1_30default_config_static_selectorELNS0_4arch9wavefront6targetE0EEEvSY_,@function
_ZN7rocprim17ROCPRIM_400000_NS6detail17trampoline_kernelINS0_13select_configILj256ELj13ELNS0_17block_load_methodE3ELS4_3ELS4_3ELNS0_20block_scan_algorithmE0ELj4294967295EEENS1_25partition_config_selectorILNS1_17partition_subalgoE3EjNS0_10empty_typeEbEEZZNS1_14partition_implILS8_3ELb0ES6_jNS0_17counting_iteratorIjlEEPS9_SE_NS0_5tupleIJPjSE_EEENSF_IJSE_SE_EEES9_SG_JZNS1_25segmented_radix_sort_implINS0_14default_configELb1EPKaPaPKlPlN2at6native12_GLOBAL__N_18offset_tEEE10hipError_tPvRmT1_PNSt15iterator_traitsISY_E10value_typeET2_T3_PNSZ_IS14_E10value_typeET4_jRbjT5_S1A_jjP12ihipStream_tbEUljE_EEESV_SW_SX_S14_S18_S1A_T6_T7_T9_mT8_S1C_bDpT10_ENKUlT_T0_E_clISt17integral_constantIbLb1EES1P_EEDaS1K_S1L_EUlS1K_E_NS1_11comp_targetILNS1_3genE0ELNS1_11target_archE4294967295ELNS1_3gpuE0ELNS1_3repE0EEENS1_30default_config_static_selectorELNS0_4arch9wavefront6targetE0EEEvSY_: ; @_ZN7rocprim17ROCPRIM_400000_NS6detail17trampoline_kernelINS0_13select_configILj256ELj13ELNS0_17block_load_methodE3ELS4_3ELS4_3ELNS0_20block_scan_algorithmE0ELj4294967295EEENS1_25partition_config_selectorILNS1_17partition_subalgoE3EjNS0_10empty_typeEbEEZZNS1_14partition_implILS8_3ELb0ES6_jNS0_17counting_iteratorIjlEEPS9_SE_NS0_5tupleIJPjSE_EEENSF_IJSE_SE_EEES9_SG_JZNS1_25segmented_radix_sort_implINS0_14default_configELb1EPKaPaPKlPlN2at6native12_GLOBAL__N_18offset_tEEE10hipError_tPvRmT1_PNSt15iterator_traitsISY_E10value_typeET2_T3_PNSZ_IS14_E10value_typeET4_jRbjT5_S1A_jjP12ihipStream_tbEUljE_EEESV_SW_SX_S14_S18_S1A_T6_T7_T9_mT8_S1C_bDpT10_ENKUlT_T0_E_clISt17integral_constantIbLb1EES1P_EEDaS1K_S1L_EUlS1K_E_NS1_11comp_targetILNS1_3genE0ELNS1_11target_archE4294967295ELNS1_3gpuE0ELNS1_3repE0EEENS1_30default_config_static_selectorELNS0_4arch9wavefront6targetE0EEEvSY_
; %bb.0:
	.section	.rodata,"a",@progbits
	.p2align	6, 0x0
	.amdhsa_kernel _ZN7rocprim17ROCPRIM_400000_NS6detail17trampoline_kernelINS0_13select_configILj256ELj13ELNS0_17block_load_methodE3ELS4_3ELS4_3ELNS0_20block_scan_algorithmE0ELj4294967295EEENS1_25partition_config_selectorILNS1_17partition_subalgoE3EjNS0_10empty_typeEbEEZZNS1_14partition_implILS8_3ELb0ES6_jNS0_17counting_iteratorIjlEEPS9_SE_NS0_5tupleIJPjSE_EEENSF_IJSE_SE_EEES9_SG_JZNS1_25segmented_radix_sort_implINS0_14default_configELb1EPKaPaPKlPlN2at6native12_GLOBAL__N_18offset_tEEE10hipError_tPvRmT1_PNSt15iterator_traitsISY_E10value_typeET2_T3_PNSZ_IS14_E10value_typeET4_jRbjT5_S1A_jjP12ihipStream_tbEUljE_EEESV_SW_SX_S14_S18_S1A_T6_T7_T9_mT8_S1C_bDpT10_ENKUlT_T0_E_clISt17integral_constantIbLb1EES1P_EEDaS1K_S1L_EUlS1K_E_NS1_11comp_targetILNS1_3genE0ELNS1_11target_archE4294967295ELNS1_3gpuE0ELNS1_3repE0EEENS1_30default_config_static_selectorELNS0_4arch9wavefront6targetE0EEEvSY_
		.amdhsa_group_segment_fixed_size 0
		.amdhsa_private_segment_fixed_size 0
		.amdhsa_kernarg_size 152
		.amdhsa_user_sgpr_count 6
		.amdhsa_user_sgpr_private_segment_buffer 1
		.amdhsa_user_sgpr_dispatch_ptr 0
		.amdhsa_user_sgpr_queue_ptr 0
		.amdhsa_user_sgpr_kernarg_segment_ptr 1
		.amdhsa_user_sgpr_dispatch_id 0
		.amdhsa_user_sgpr_flat_scratch_init 0
		.amdhsa_user_sgpr_private_segment_size 0
		.amdhsa_wavefront_size32 1
		.amdhsa_uses_dynamic_stack 0
		.amdhsa_system_sgpr_private_segment_wavefront_offset 0
		.amdhsa_system_sgpr_workgroup_id_x 1
		.amdhsa_system_sgpr_workgroup_id_y 0
		.amdhsa_system_sgpr_workgroup_id_z 0
		.amdhsa_system_sgpr_workgroup_info 0
		.amdhsa_system_vgpr_workitem_id 0
		.amdhsa_next_free_vgpr 1
		.amdhsa_next_free_sgpr 1
		.amdhsa_reserve_vcc 0
		.amdhsa_reserve_flat_scratch 0
		.amdhsa_float_round_mode_32 0
		.amdhsa_float_round_mode_16_64 0
		.amdhsa_float_denorm_mode_32 3
		.amdhsa_float_denorm_mode_16_64 3
		.amdhsa_dx10_clamp 1
		.amdhsa_ieee_mode 1
		.amdhsa_fp16_overflow 0
		.amdhsa_workgroup_processor_mode 1
		.amdhsa_memory_ordered 1
		.amdhsa_forward_progress 1
		.amdhsa_shared_vgpr_count 0
		.amdhsa_exception_fp_ieee_invalid_op 0
		.amdhsa_exception_fp_denorm_src 0
		.amdhsa_exception_fp_ieee_div_zero 0
		.amdhsa_exception_fp_ieee_overflow 0
		.amdhsa_exception_fp_ieee_underflow 0
		.amdhsa_exception_fp_ieee_inexact 0
		.amdhsa_exception_int_div_zero 0
	.end_amdhsa_kernel
	.section	.text._ZN7rocprim17ROCPRIM_400000_NS6detail17trampoline_kernelINS0_13select_configILj256ELj13ELNS0_17block_load_methodE3ELS4_3ELS4_3ELNS0_20block_scan_algorithmE0ELj4294967295EEENS1_25partition_config_selectorILNS1_17partition_subalgoE3EjNS0_10empty_typeEbEEZZNS1_14partition_implILS8_3ELb0ES6_jNS0_17counting_iteratorIjlEEPS9_SE_NS0_5tupleIJPjSE_EEENSF_IJSE_SE_EEES9_SG_JZNS1_25segmented_radix_sort_implINS0_14default_configELb1EPKaPaPKlPlN2at6native12_GLOBAL__N_18offset_tEEE10hipError_tPvRmT1_PNSt15iterator_traitsISY_E10value_typeET2_T3_PNSZ_IS14_E10value_typeET4_jRbjT5_S1A_jjP12ihipStream_tbEUljE_EEESV_SW_SX_S14_S18_S1A_T6_T7_T9_mT8_S1C_bDpT10_ENKUlT_T0_E_clISt17integral_constantIbLb1EES1P_EEDaS1K_S1L_EUlS1K_E_NS1_11comp_targetILNS1_3genE0ELNS1_11target_archE4294967295ELNS1_3gpuE0ELNS1_3repE0EEENS1_30default_config_static_selectorELNS0_4arch9wavefront6targetE0EEEvSY_,"axG",@progbits,_ZN7rocprim17ROCPRIM_400000_NS6detail17trampoline_kernelINS0_13select_configILj256ELj13ELNS0_17block_load_methodE3ELS4_3ELS4_3ELNS0_20block_scan_algorithmE0ELj4294967295EEENS1_25partition_config_selectorILNS1_17partition_subalgoE3EjNS0_10empty_typeEbEEZZNS1_14partition_implILS8_3ELb0ES6_jNS0_17counting_iteratorIjlEEPS9_SE_NS0_5tupleIJPjSE_EEENSF_IJSE_SE_EEES9_SG_JZNS1_25segmented_radix_sort_implINS0_14default_configELb1EPKaPaPKlPlN2at6native12_GLOBAL__N_18offset_tEEE10hipError_tPvRmT1_PNSt15iterator_traitsISY_E10value_typeET2_T3_PNSZ_IS14_E10value_typeET4_jRbjT5_S1A_jjP12ihipStream_tbEUljE_EEESV_SW_SX_S14_S18_S1A_T6_T7_T9_mT8_S1C_bDpT10_ENKUlT_T0_E_clISt17integral_constantIbLb1EES1P_EEDaS1K_S1L_EUlS1K_E_NS1_11comp_targetILNS1_3genE0ELNS1_11target_archE4294967295ELNS1_3gpuE0ELNS1_3repE0EEENS1_30default_config_static_selectorELNS0_4arch9wavefront6targetE0EEEvSY_,comdat
.Lfunc_end264:
	.size	_ZN7rocprim17ROCPRIM_400000_NS6detail17trampoline_kernelINS0_13select_configILj256ELj13ELNS0_17block_load_methodE3ELS4_3ELS4_3ELNS0_20block_scan_algorithmE0ELj4294967295EEENS1_25partition_config_selectorILNS1_17partition_subalgoE3EjNS0_10empty_typeEbEEZZNS1_14partition_implILS8_3ELb0ES6_jNS0_17counting_iteratorIjlEEPS9_SE_NS0_5tupleIJPjSE_EEENSF_IJSE_SE_EEES9_SG_JZNS1_25segmented_radix_sort_implINS0_14default_configELb1EPKaPaPKlPlN2at6native12_GLOBAL__N_18offset_tEEE10hipError_tPvRmT1_PNSt15iterator_traitsISY_E10value_typeET2_T3_PNSZ_IS14_E10value_typeET4_jRbjT5_S1A_jjP12ihipStream_tbEUljE_EEESV_SW_SX_S14_S18_S1A_T6_T7_T9_mT8_S1C_bDpT10_ENKUlT_T0_E_clISt17integral_constantIbLb1EES1P_EEDaS1K_S1L_EUlS1K_E_NS1_11comp_targetILNS1_3genE0ELNS1_11target_archE4294967295ELNS1_3gpuE0ELNS1_3repE0EEENS1_30default_config_static_selectorELNS0_4arch9wavefront6targetE0EEEvSY_, .Lfunc_end264-_ZN7rocprim17ROCPRIM_400000_NS6detail17trampoline_kernelINS0_13select_configILj256ELj13ELNS0_17block_load_methodE3ELS4_3ELS4_3ELNS0_20block_scan_algorithmE0ELj4294967295EEENS1_25partition_config_selectorILNS1_17partition_subalgoE3EjNS0_10empty_typeEbEEZZNS1_14partition_implILS8_3ELb0ES6_jNS0_17counting_iteratorIjlEEPS9_SE_NS0_5tupleIJPjSE_EEENSF_IJSE_SE_EEES9_SG_JZNS1_25segmented_radix_sort_implINS0_14default_configELb1EPKaPaPKlPlN2at6native12_GLOBAL__N_18offset_tEEE10hipError_tPvRmT1_PNSt15iterator_traitsISY_E10value_typeET2_T3_PNSZ_IS14_E10value_typeET4_jRbjT5_S1A_jjP12ihipStream_tbEUljE_EEESV_SW_SX_S14_S18_S1A_T6_T7_T9_mT8_S1C_bDpT10_ENKUlT_T0_E_clISt17integral_constantIbLb1EES1P_EEDaS1K_S1L_EUlS1K_E_NS1_11comp_targetILNS1_3genE0ELNS1_11target_archE4294967295ELNS1_3gpuE0ELNS1_3repE0EEENS1_30default_config_static_selectorELNS0_4arch9wavefront6targetE0EEEvSY_
                                        ; -- End function
	.set _ZN7rocprim17ROCPRIM_400000_NS6detail17trampoline_kernelINS0_13select_configILj256ELj13ELNS0_17block_load_methodE3ELS4_3ELS4_3ELNS0_20block_scan_algorithmE0ELj4294967295EEENS1_25partition_config_selectorILNS1_17partition_subalgoE3EjNS0_10empty_typeEbEEZZNS1_14partition_implILS8_3ELb0ES6_jNS0_17counting_iteratorIjlEEPS9_SE_NS0_5tupleIJPjSE_EEENSF_IJSE_SE_EEES9_SG_JZNS1_25segmented_radix_sort_implINS0_14default_configELb1EPKaPaPKlPlN2at6native12_GLOBAL__N_18offset_tEEE10hipError_tPvRmT1_PNSt15iterator_traitsISY_E10value_typeET2_T3_PNSZ_IS14_E10value_typeET4_jRbjT5_S1A_jjP12ihipStream_tbEUljE_EEESV_SW_SX_S14_S18_S1A_T6_T7_T9_mT8_S1C_bDpT10_ENKUlT_T0_E_clISt17integral_constantIbLb1EES1P_EEDaS1K_S1L_EUlS1K_E_NS1_11comp_targetILNS1_3genE0ELNS1_11target_archE4294967295ELNS1_3gpuE0ELNS1_3repE0EEENS1_30default_config_static_selectorELNS0_4arch9wavefront6targetE0EEEvSY_.num_vgpr, 0
	.set _ZN7rocprim17ROCPRIM_400000_NS6detail17trampoline_kernelINS0_13select_configILj256ELj13ELNS0_17block_load_methodE3ELS4_3ELS4_3ELNS0_20block_scan_algorithmE0ELj4294967295EEENS1_25partition_config_selectorILNS1_17partition_subalgoE3EjNS0_10empty_typeEbEEZZNS1_14partition_implILS8_3ELb0ES6_jNS0_17counting_iteratorIjlEEPS9_SE_NS0_5tupleIJPjSE_EEENSF_IJSE_SE_EEES9_SG_JZNS1_25segmented_radix_sort_implINS0_14default_configELb1EPKaPaPKlPlN2at6native12_GLOBAL__N_18offset_tEEE10hipError_tPvRmT1_PNSt15iterator_traitsISY_E10value_typeET2_T3_PNSZ_IS14_E10value_typeET4_jRbjT5_S1A_jjP12ihipStream_tbEUljE_EEESV_SW_SX_S14_S18_S1A_T6_T7_T9_mT8_S1C_bDpT10_ENKUlT_T0_E_clISt17integral_constantIbLb1EES1P_EEDaS1K_S1L_EUlS1K_E_NS1_11comp_targetILNS1_3genE0ELNS1_11target_archE4294967295ELNS1_3gpuE0ELNS1_3repE0EEENS1_30default_config_static_selectorELNS0_4arch9wavefront6targetE0EEEvSY_.num_agpr, 0
	.set _ZN7rocprim17ROCPRIM_400000_NS6detail17trampoline_kernelINS0_13select_configILj256ELj13ELNS0_17block_load_methodE3ELS4_3ELS4_3ELNS0_20block_scan_algorithmE0ELj4294967295EEENS1_25partition_config_selectorILNS1_17partition_subalgoE3EjNS0_10empty_typeEbEEZZNS1_14partition_implILS8_3ELb0ES6_jNS0_17counting_iteratorIjlEEPS9_SE_NS0_5tupleIJPjSE_EEENSF_IJSE_SE_EEES9_SG_JZNS1_25segmented_radix_sort_implINS0_14default_configELb1EPKaPaPKlPlN2at6native12_GLOBAL__N_18offset_tEEE10hipError_tPvRmT1_PNSt15iterator_traitsISY_E10value_typeET2_T3_PNSZ_IS14_E10value_typeET4_jRbjT5_S1A_jjP12ihipStream_tbEUljE_EEESV_SW_SX_S14_S18_S1A_T6_T7_T9_mT8_S1C_bDpT10_ENKUlT_T0_E_clISt17integral_constantIbLb1EES1P_EEDaS1K_S1L_EUlS1K_E_NS1_11comp_targetILNS1_3genE0ELNS1_11target_archE4294967295ELNS1_3gpuE0ELNS1_3repE0EEENS1_30default_config_static_selectorELNS0_4arch9wavefront6targetE0EEEvSY_.numbered_sgpr, 0
	.set _ZN7rocprim17ROCPRIM_400000_NS6detail17trampoline_kernelINS0_13select_configILj256ELj13ELNS0_17block_load_methodE3ELS4_3ELS4_3ELNS0_20block_scan_algorithmE0ELj4294967295EEENS1_25partition_config_selectorILNS1_17partition_subalgoE3EjNS0_10empty_typeEbEEZZNS1_14partition_implILS8_3ELb0ES6_jNS0_17counting_iteratorIjlEEPS9_SE_NS0_5tupleIJPjSE_EEENSF_IJSE_SE_EEES9_SG_JZNS1_25segmented_radix_sort_implINS0_14default_configELb1EPKaPaPKlPlN2at6native12_GLOBAL__N_18offset_tEEE10hipError_tPvRmT1_PNSt15iterator_traitsISY_E10value_typeET2_T3_PNSZ_IS14_E10value_typeET4_jRbjT5_S1A_jjP12ihipStream_tbEUljE_EEESV_SW_SX_S14_S18_S1A_T6_T7_T9_mT8_S1C_bDpT10_ENKUlT_T0_E_clISt17integral_constantIbLb1EES1P_EEDaS1K_S1L_EUlS1K_E_NS1_11comp_targetILNS1_3genE0ELNS1_11target_archE4294967295ELNS1_3gpuE0ELNS1_3repE0EEENS1_30default_config_static_selectorELNS0_4arch9wavefront6targetE0EEEvSY_.num_named_barrier, 0
	.set _ZN7rocprim17ROCPRIM_400000_NS6detail17trampoline_kernelINS0_13select_configILj256ELj13ELNS0_17block_load_methodE3ELS4_3ELS4_3ELNS0_20block_scan_algorithmE0ELj4294967295EEENS1_25partition_config_selectorILNS1_17partition_subalgoE3EjNS0_10empty_typeEbEEZZNS1_14partition_implILS8_3ELb0ES6_jNS0_17counting_iteratorIjlEEPS9_SE_NS0_5tupleIJPjSE_EEENSF_IJSE_SE_EEES9_SG_JZNS1_25segmented_radix_sort_implINS0_14default_configELb1EPKaPaPKlPlN2at6native12_GLOBAL__N_18offset_tEEE10hipError_tPvRmT1_PNSt15iterator_traitsISY_E10value_typeET2_T3_PNSZ_IS14_E10value_typeET4_jRbjT5_S1A_jjP12ihipStream_tbEUljE_EEESV_SW_SX_S14_S18_S1A_T6_T7_T9_mT8_S1C_bDpT10_ENKUlT_T0_E_clISt17integral_constantIbLb1EES1P_EEDaS1K_S1L_EUlS1K_E_NS1_11comp_targetILNS1_3genE0ELNS1_11target_archE4294967295ELNS1_3gpuE0ELNS1_3repE0EEENS1_30default_config_static_selectorELNS0_4arch9wavefront6targetE0EEEvSY_.private_seg_size, 0
	.set _ZN7rocprim17ROCPRIM_400000_NS6detail17trampoline_kernelINS0_13select_configILj256ELj13ELNS0_17block_load_methodE3ELS4_3ELS4_3ELNS0_20block_scan_algorithmE0ELj4294967295EEENS1_25partition_config_selectorILNS1_17partition_subalgoE3EjNS0_10empty_typeEbEEZZNS1_14partition_implILS8_3ELb0ES6_jNS0_17counting_iteratorIjlEEPS9_SE_NS0_5tupleIJPjSE_EEENSF_IJSE_SE_EEES9_SG_JZNS1_25segmented_radix_sort_implINS0_14default_configELb1EPKaPaPKlPlN2at6native12_GLOBAL__N_18offset_tEEE10hipError_tPvRmT1_PNSt15iterator_traitsISY_E10value_typeET2_T3_PNSZ_IS14_E10value_typeET4_jRbjT5_S1A_jjP12ihipStream_tbEUljE_EEESV_SW_SX_S14_S18_S1A_T6_T7_T9_mT8_S1C_bDpT10_ENKUlT_T0_E_clISt17integral_constantIbLb1EES1P_EEDaS1K_S1L_EUlS1K_E_NS1_11comp_targetILNS1_3genE0ELNS1_11target_archE4294967295ELNS1_3gpuE0ELNS1_3repE0EEENS1_30default_config_static_selectorELNS0_4arch9wavefront6targetE0EEEvSY_.uses_vcc, 0
	.set _ZN7rocprim17ROCPRIM_400000_NS6detail17trampoline_kernelINS0_13select_configILj256ELj13ELNS0_17block_load_methodE3ELS4_3ELS4_3ELNS0_20block_scan_algorithmE0ELj4294967295EEENS1_25partition_config_selectorILNS1_17partition_subalgoE3EjNS0_10empty_typeEbEEZZNS1_14partition_implILS8_3ELb0ES6_jNS0_17counting_iteratorIjlEEPS9_SE_NS0_5tupleIJPjSE_EEENSF_IJSE_SE_EEES9_SG_JZNS1_25segmented_radix_sort_implINS0_14default_configELb1EPKaPaPKlPlN2at6native12_GLOBAL__N_18offset_tEEE10hipError_tPvRmT1_PNSt15iterator_traitsISY_E10value_typeET2_T3_PNSZ_IS14_E10value_typeET4_jRbjT5_S1A_jjP12ihipStream_tbEUljE_EEESV_SW_SX_S14_S18_S1A_T6_T7_T9_mT8_S1C_bDpT10_ENKUlT_T0_E_clISt17integral_constantIbLb1EES1P_EEDaS1K_S1L_EUlS1K_E_NS1_11comp_targetILNS1_3genE0ELNS1_11target_archE4294967295ELNS1_3gpuE0ELNS1_3repE0EEENS1_30default_config_static_selectorELNS0_4arch9wavefront6targetE0EEEvSY_.uses_flat_scratch, 0
	.set _ZN7rocprim17ROCPRIM_400000_NS6detail17trampoline_kernelINS0_13select_configILj256ELj13ELNS0_17block_load_methodE3ELS4_3ELS4_3ELNS0_20block_scan_algorithmE0ELj4294967295EEENS1_25partition_config_selectorILNS1_17partition_subalgoE3EjNS0_10empty_typeEbEEZZNS1_14partition_implILS8_3ELb0ES6_jNS0_17counting_iteratorIjlEEPS9_SE_NS0_5tupleIJPjSE_EEENSF_IJSE_SE_EEES9_SG_JZNS1_25segmented_radix_sort_implINS0_14default_configELb1EPKaPaPKlPlN2at6native12_GLOBAL__N_18offset_tEEE10hipError_tPvRmT1_PNSt15iterator_traitsISY_E10value_typeET2_T3_PNSZ_IS14_E10value_typeET4_jRbjT5_S1A_jjP12ihipStream_tbEUljE_EEESV_SW_SX_S14_S18_S1A_T6_T7_T9_mT8_S1C_bDpT10_ENKUlT_T0_E_clISt17integral_constantIbLb1EES1P_EEDaS1K_S1L_EUlS1K_E_NS1_11comp_targetILNS1_3genE0ELNS1_11target_archE4294967295ELNS1_3gpuE0ELNS1_3repE0EEENS1_30default_config_static_selectorELNS0_4arch9wavefront6targetE0EEEvSY_.has_dyn_sized_stack, 0
	.set _ZN7rocprim17ROCPRIM_400000_NS6detail17trampoline_kernelINS0_13select_configILj256ELj13ELNS0_17block_load_methodE3ELS4_3ELS4_3ELNS0_20block_scan_algorithmE0ELj4294967295EEENS1_25partition_config_selectorILNS1_17partition_subalgoE3EjNS0_10empty_typeEbEEZZNS1_14partition_implILS8_3ELb0ES6_jNS0_17counting_iteratorIjlEEPS9_SE_NS0_5tupleIJPjSE_EEENSF_IJSE_SE_EEES9_SG_JZNS1_25segmented_radix_sort_implINS0_14default_configELb1EPKaPaPKlPlN2at6native12_GLOBAL__N_18offset_tEEE10hipError_tPvRmT1_PNSt15iterator_traitsISY_E10value_typeET2_T3_PNSZ_IS14_E10value_typeET4_jRbjT5_S1A_jjP12ihipStream_tbEUljE_EEESV_SW_SX_S14_S18_S1A_T6_T7_T9_mT8_S1C_bDpT10_ENKUlT_T0_E_clISt17integral_constantIbLb1EES1P_EEDaS1K_S1L_EUlS1K_E_NS1_11comp_targetILNS1_3genE0ELNS1_11target_archE4294967295ELNS1_3gpuE0ELNS1_3repE0EEENS1_30default_config_static_selectorELNS0_4arch9wavefront6targetE0EEEvSY_.has_recursion, 0
	.set _ZN7rocprim17ROCPRIM_400000_NS6detail17trampoline_kernelINS0_13select_configILj256ELj13ELNS0_17block_load_methodE3ELS4_3ELS4_3ELNS0_20block_scan_algorithmE0ELj4294967295EEENS1_25partition_config_selectorILNS1_17partition_subalgoE3EjNS0_10empty_typeEbEEZZNS1_14partition_implILS8_3ELb0ES6_jNS0_17counting_iteratorIjlEEPS9_SE_NS0_5tupleIJPjSE_EEENSF_IJSE_SE_EEES9_SG_JZNS1_25segmented_radix_sort_implINS0_14default_configELb1EPKaPaPKlPlN2at6native12_GLOBAL__N_18offset_tEEE10hipError_tPvRmT1_PNSt15iterator_traitsISY_E10value_typeET2_T3_PNSZ_IS14_E10value_typeET4_jRbjT5_S1A_jjP12ihipStream_tbEUljE_EEESV_SW_SX_S14_S18_S1A_T6_T7_T9_mT8_S1C_bDpT10_ENKUlT_T0_E_clISt17integral_constantIbLb1EES1P_EEDaS1K_S1L_EUlS1K_E_NS1_11comp_targetILNS1_3genE0ELNS1_11target_archE4294967295ELNS1_3gpuE0ELNS1_3repE0EEENS1_30default_config_static_selectorELNS0_4arch9wavefront6targetE0EEEvSY_.has_indirect_call, 0
	.section	.AMDGPU.csdata,"",@progbits
; Kernel info:
; codeLenInByte = 0
; TotalNumSgprs: 0
; NumVgprs: 0
; ScratchSize: 0
; MemoryBound: 0
; FloatMode: 240
; IeeeMode: 1
; LDSByteSize: 0 bytes/workgroup (compile time only)
; SGPRBlocks: 0
; VGPRBlocks: 0
; NumSGPRsForWavesPerEU: 1
; NumVGPRsForWavesPerEU: 1
; Occupancy: 16
; WaveLimiterHint : 0
; COMPUTE_PGM_RSRC2:SCRATCH_EN: 0
; COMPUTE_PGM_RSRC2:USER_SGPR: 6
; COMPUTE_PGM_RSRC2:TRAP_HANDLER: 0
; COMPUTE_PGM_RSRC2:TGID_X_EN: 1
; COMPUTE_PGM_RSRC2:TGID_Y_EN: 0
; COMPUTE_PGM_RSRC2:TGID_Z_EN: 0
; COMPUTE_PGM_RSRC2:TIDIG_COMP_CNT: 0
	.section	.text._ZN7rocprim17ROCPRIM_400000_NS6detail17trampoline_kernelINS0_13select_configILj256ELj13ELNS0_17block_load_methodE3ELS4_3ELS4_3ELNS0_20block_scan_algorithmE0ELj4294967295EEENS1_25partition_config_selectorILNS1_17partition_subalgoE3EjNS0_10empty_typeEbEEZZNS1_14partition_implILS8_3ELb0ES6_jNS0_17counting_iteratorIjlEEPS9_SE_NS0_5tupleIJPjSE_EEENSF_IJSE_SE_EEES9_SG_JZNS1_25segmented_radix_sort_implINS0_14default_configELb1EPKaPaPKlPlN2at6native12_GLOBAL__N_18offset_tEEE10hipError_tPvRmT1_PNSt15iterator_traitsISY_E10value_typeET2_T3_PNSZ_IS14_E10value_typeET4_jRbjT5_S1A_jjP12ihipStream_tbEUljE_EEESV_SW_SX_S14_S18_S1A_T6_T7_T9_mT8_S1C_bDpT10_ENKUlT_T0_E_clISt17integral_constantIbLb1EES1P_EEDaS1K_S1L_EUlS1K_E_NS1_11comp_targetILNS1_3genE5ELNS1_11target_archE942ELNS1_3gpuE9ELNS1_3repE0EEENS1_30default_config_static_selectorELNS0_4arch9wavefront6targetE0EEEvSY_,"axG",@progbits,_ZN7rocprim17ROCPRIM_400000_NS6detail17trampoline_kernelINS0_13select_configILj256ELj13ELNS0_17block_load_methodE3ELS4_3ELS4_3ELNS0_20block_scan_algorithmE0ELj4294967295EEENS1_25partition_config_selectorILNS1_17partition_subalgoE3EjNS0_10empty_typeEbEEZZNS1_14partition_implILS8_3ELb0ES6_jNS0_17counting_iteratorIjlEEPS9_SE_NS0_5tupleIJPjSE_EEENSF_IJSE_SE_EEES9_SG_JZNS1_25segmented_radix_sort_implINS0_14default_configELb1EPKaPaPKlPlN2at6native12_GLOBAL__N_18offset_tEEE10hipError_tPvRmT1_PNSt15iterator_traitsISY_E10value_typeET2_T3_PNSZ_IS14_E10value_typeET4_jRbjT5_S1A_jjP12ihipStream_tbEUljE_EEESV_SW_SX_S14_S18_S1A_T6_T7_T9_mT8_S1C_bDpT10_ENKUlT_T0_E_clISt17integral_constantIbLb1EES1P_EEDaS1K_S1L_EUlS1K_E_NS1_11comp_targetILNS1_3genE5ELNS1_11target_archE942ELNS1_3gpuE9ELNS1_3repE0EEENS1_30default_config_static_selectorELNS0_4arch9wavefront6targetE0EEEvSY_,comdat
	.globl	_ZN7rocprim17ROCPRIM_400000_NS6detail17trampoline_kernelINS0_13select_configILj256ELj13ELNS0_17block_load_methodE3ELS4_3ELS4_3ELNS0_20block_scan_algorithmE0ELj4294967295EEENS1_25partition_config_selectorILNS1_17partition_subalgoE3EjNS0_10empty_typeEbEEZZNS1_14partition_implILS8_3ELb0ES6_jNS0_17counting_iteratorIjlEEPS9_SE_NS0_5tupleIJPjSE_EEENSF_IJSE_SE_EEES9_SG_JZNS1_25segmented_radix_sort_implINS0_14default_configELb1EPKaPaPKlPlN2at6native12_GLOBAL__N_18offset_tEEE10hipError_tPvRmT1_PNSt15iterator_traitsISY_E10value_typeET2_T3_PNSZ_IS14_E10value_typeET4_jRbjT5_S1A_jjP12ihipStream_tbEUljE_EEESV_SW_SX_S14_S18_S1A_T6_T7_T9_mT8_S1C_bDpT10_ENKUlT_T0_E_clISt17integral_constantIbLb1EES1P_EEDaS1K_S1L_EUlS1K_E_NS1_11comp_targetILNS1_3genE5ELNS1_11target_archE942ELNS1_3gpuE9ELNS1_3repE0EEENS1_30default_config_static_selectorELNS0_4arch9wavefront6targetE0EEEvSY_ ; -- Begin function _ZN7rocprim17ROCPRIM_400000_NS6detail17trampoline_kernelINS0_13select_configILj256ELj13ELNS0_17block_load_methodE3ELS4_3ELS4_3ELNS0_20block_scan_algorithmE0ELj4294967295EEENS1_25partition_config_selectorILNS1_17partition_subalgoE3EjNS0_10empty_typeEbEEZZNS1_14partition_implILS8_3ELb0ES6_jNS0_17counting_iteratorIjlEEPS9_SE_NS0_5tupleIJPjSE_EEENSF_IJSE_SE_EEES9_SG_JZNS1_25segmented_radix_sort_implINS0_14default_configELb1EPKaPaPKlPlN2at6native12_GLOBAL__N_18offset_tEEE10hipError_tPvRmT1_PNSt15iterator_traitsISY_E10value_typeET2_T3_PNSZ_IS14_E10value_typeET4_jRbjT5_S1A_jjP12ihipStream_tbEUljE_EEESV_SW_SX_S14_S18_S1A_T6_T7_T9_mT8_S1C_bDpT10_ENKUlT_T0_E_clISt17integral_constantIbLb1EES1P_EEDaS1K_S1L_EUlS1K_E_NS1_11comp_targetILNS1_3genE5ELNS1_11target_archE942ELNS1_3gpuE9ELNS1_3repE0EEENS1_30default_config_static_selectorELNS0_4arch9wavefront6targetE0EEEvSY_
	.p2align	8
	.type	_ZN7rocprim17ROCPRIM_400000_NS6detail17trampoline_kernelINS0_13select_configILj256ELj13ELNS0_17block_load_methodE3ELS4_3ELS4_3ELNS0_20block_scan_algorithmE0ELj4294967295EEENS1_25partition_config_selectorILNS1_17partition_subalgoE3EjNS0_10empty_typeEbEEZZNS1_14partition_implILS8_3ELb0ES6_jNS0_17counting_iteratorIjlEEPS9_SE_NS0_5tupleIJPjSE_EEENSF_IJSE_SE_EEES9_SG_JZNS1_25segmented_radix_sort_implINS0_14default_configELb1EPKaPaPKlPlN2at6native12_GLOBAL__N_18offset_tEEE10hipError_tPvRmT1_PNSt15iterator_traitsISY_E10value_typeET2_T3_PNSZ_IS14_E10value_typeET4_jRbjT5_S1A_jjP12ihipStream_tbEUljE_EEESV_SW_SX_S14_S18_S1A_T6_T7_T9_mT8_S1C_bDpT10_ENKUlT_T0_E_clISt17integral_constantIbLb1EES1P_EEDaS1K_S1L_EUlS1K_E_NS1_11comp_targetILNS1_3genE5ELNS1_11target_archE942ELNS1_3gpuE9ELNS1_3repE0EEENS1_30default_config_static_selectorELNS0_4arch9wavefront6targetE0EEEvSY_,@function
_ZN7rocprim17ROCPRIM_400000_NS6detail17trampoline_kernelINS0_13select_configILj256ELj13ELNS0_17block_load_methodE3ELS4_3ELS4_3ELNS0_20block_scan_algorithmE0ELj4294967295EEENS1_25partition_config_selectorILNS1_17partition_subalgoE3EjNS0_10empty_typeEbEEZZNS1_14partition_implILS8_3ELb0ES6_jNS0_17counting_iteratorIjlEEPS9_SE_NS0_5tupleIJPjSE_EEENSF_IJSE_SE_EEES9_SG_JZNS1_25segmented_radix_sort_implINS0_14default_configELb1EPKaPaPKlPlN2at6native12_GLOBAL__N_18offset_tEEE10hipError_tPvRmT1_PNSt15iterator_traitsISY_E10value_typeET2_T3_PNSZ_IS14_E10value_typeET4_jRbjT5_S1A_jjP12ihipStream_tbEUljE_EEESV_SW_SX_S14_S18_S1A_T6_T7_T9_mT8_S1C_bDpT10_ENKUlT_T0_E_clISt17integral_constantIbLb1EES1P_EEDaS1K_S1L_EUlS1K_E_NS1_11comp_targetILNS1_3genE5ELNS1_11target_archE942ELNS1_3gpuE9ELNS1_3repE0EEENS1_30default_config_static_selectorELNS0_4arch9wavefront6targetE0EEEvSY_: ; @_ZN7rocprim17ROCPRIM_400000_NS6detail17trampoline_kernelINS0_13select_configILj256ELj13ELNS0_17block_load_methodE3ELS4_3ELS4_3ELNS0_20block_scan_algorithmE0ELj4294967295EEENS1_25partition_config_selectorILNS1_17partition_subalgoE3EjNS0_10empty_typeEbEEZZNS1_14partition_implILS8_3ELb0ES6_jNS0_17counting_iteratorIjlEEPS9_SE_NS0_5tupleIJPjSE_EEENSF_IJSE_SE_EEES9_SG_JZNS1_25segmented_radix_sort_implINS0_14default_configELb1EPKaPaPKlPlN2at6native12_GLOBAL__N_18offset_tEEE10hipError_tPvRmT1_PNSt15iterator_traitsISY_E10value_typeET2_T3_PNSZ_IS14_E10value_typeET4_jRbjT5_S1A_jjP12ihipStream_tbEUljE_EEESV_SW_SX_S14_S18_S1A_T6_T7_T9_mT8_S1C_bDpT10_ENKUlT_T0_E_clISt17integral_constantIbLb1EES1P_EEDaS1K_S1L_EUlS1K_E_NS1_11comp_targetILNS1_3genE5ELNS1_11target_archE942ELNS1_3gpuE9ELNS1_3repE0EEENS1_30default_config_static_selectorELNS0_4arch9wavefront6targetE0EEEvSY_
; %bb.0:
	.section	.rodata,"a",@progbits
	.p2align	6, 0x0
	.amdhsa_kernel _ZN7rocprim17ROCPRIM_400000_NS6detail17trampoline_kernelINS0_13select_configILj256ELj13ELNS0_17block_load_methodE3ELS4_3ELS4_3ELNS0_20block_scan_algorithmE0ELj4294967295EEENS1_25partition_config_selectorILNS1_17partition_subalgoE3EjNS0_10empty_typeEbEEZZNS1_14partition_implILS8_3ELb0ES6_jNS0_17counting_iteratorIjlEEPS9_SE_NS0_5tupleIJPjSE_EEENSF_IJSE_SE_EEES9_SG_JZNS1_25segmented_radix_sort_implINS0_14default_configELb1EPKaPaPKlPlN2at6native12_GLOBAL__N_18offset_tEEE10hipError_tPvRmT1_PNSt15iterator_traitsISY_E10value_typeET2_T3_PNSZ_IS14_E10value_typeET4_jRbjT5_S1A_jjP12ihipStream_tbEUljE_EEESV_SW_SX_S14_S18_S1A_T6_T7_T9_mT8_S1C_bDpT10_ENKUlT_T0_E_clISt17integral_constantIbLb1EES1P_EEDaS1K_S1L_EUlS1K_E_NS1_11comp_targetILNS1_3genE5ELNS1_11target_archE942ELNS1_3gpuE9ELNS1_3repE0EEENS1_30default_config_static_selectorELNS0_4arch9wavefront6targetE0EEEvSY_
		.amdhsa_group_segment_fixed_size 0
		.amdhsa_private_segment_fixed_size 0
		.amdhsa_kernarg_size 152
		.amdhsa_user_sgpr_count 6
		.amdhsa_user_sgpr_private_segment_buffer 1
		.amdhsa_user_sgpr_dispatch_ptr 0
		.amdhsa_user_sgpr_queue_ptr 0
		.amdhsa_user_sgpr_kernarg_segment_ptr 1
		.amdhsa_user_sgpr_dispatch_id 0
		.amdhsa_user_sgpr_flat_scratch_init 0
		.amdhsa_user_sgpr_private_segment_size 0
		.amdhsa_wavefront_size32 1
		.amdhsa_uses_dynamic_stack 0
		.amdhsa_system_sgpr_private_segment_wavefront_offset 0
		.amdhsa_system_sgpr_workgroup_id_x 1
		.amdhsa_system_sgpr_workgroup_id_y 0
		.amdhsa_system_sgpr_workgroup_id_z 0
		.amdhsa_system_sgpr_workgroup_info 0
		.amdhsa_system_vgpr_workitem_id 0
		.amdhsa_next_free_vgpr 1
		.amdhsa_next_free_sgpr 1
		.amdhsa_reserve_vcc 0
		.amdhsa_reserve_flat_scratch 0
		.amdhsa_float_round_mode_32 0
		.amdhsa_float_round_mode_16_64 0
		.amdhsa_float_denorm_mode_32 3
		.amdhsa_float_denorm_mode_16_64 3
		.amdhsa_dx10_clamp 1
		.amdhsa_ieee_mode 1
		.amdhsa_fp16_overflow 0
		.amdhsa_workgroup_processor_mode 1
		.amdhsa_memory_ordered 1
		.amdhsa_forward_progress 1
		.amdhsa_shared_vgpr_count 0
		.amdhsa_exception_fp_ieee_invalid_op 0
		.amdhsa_exception_fp_denorm_src 0
		.amdhsa_exception_fp_ieee_div_zero 0
		.amdhsa_exception_fp_ieee_overflow 0
		.amdhsa_exception_fp_ieee_underflow 0
		.amdhsa_exception_fp_ieee_inexact 0
		.amdhsa_exception_int_div_zero 0
	.end_amdhsa_kernel
	.section	.text._ZN7rocprim17ROCPRIM_400000_NS6detail17trampoline_kernelINS0_13select_configILj256ELj13ELNS0_17block_load_methodE3ELS4_3ELS4_3ELNS0_20block_scan_algorithmE0ELj4294967295EEENS1_25partition_config_selectorILNS1_17partition_subalgoE3EjNS0_10empty_typeEbEEZZNS1_14partition_implILS8_3ELb0ES6_jNS0_17counting_iteratorIjlEEPS9_SE_NS0_5tupleIJPjSE_EEENSF_IJSE_SE_EEES9_SG_JZNS1_25segmented_radix_sort_implINS0_14default_configELb1EPKaPaPKlPlN2at6native12_GLOBAL__N_18offset_tEEE10hipError_tPvRmT1_PNSt15iterator_traitsISY_E10value_typeET2_T3_PNSZ_IS14_E10value_typeET4_jRbjT5_S1A_jjP12ihipStream_tbEUljE_EEESV_SW_SX_S14_S18_S1A_T6_T7_T9_mT8_S1C_bDpT10_ENKUlT_T0_E_clISt17integral_constantIbLb1EES1P_EEDaS1K_S1L_EUlS1K_E_NS1_11comp_targetILNS1_3genE5ELNS1_11target_archE942ELNS1_3gpuE9ELNS1_3repE0EEENS1_30default_config_static_selectorELNS0_4arch9wavefront6targetE0EEEvSY_,"axG",@progbits,_ZN7rocprim17ROCPRIM_400000_NS6detail17trampoline_kernelINS0_13select_configILj256ELj13ELNS0_17block_load_methodE3ELS4_3ELS4_3ELNS0_20block_scan_algorithmE0ELj4294967295EEENS1_25partition_config_selectorILNS1_17partition_subalgoE3EjNS0_10empty_typeEbEEZZNS1_14partition_implILS8_3ELb0ES6_jNS0_17counting_iteratorIjlEEPS9_SE_NS0_5tupleIJPjSE_EEENSF_IJSE_SE_EEES9_SG_JZNS1_25segmented_radix_sort_implINS0_14default_configELb1EPKaPaPKlPlN2at6native12_GLOBAL__N_18offset_tEEE10hipError_tPvRmT1_PNSt15iterator_traitsISY_E10value_typeET2_T3_PNSZ_IS14_E10value_typeET4_jRbjT5_S1A_jjP12ihipStream_tbEUljE_EEESV_SW_SX_S14_S18_S1A_T6_T7_T9_mT8_S1C_bDpT10_ENKUlT_T0_E_clISt17integral_constantIbLb1EES1P_EEDaS1K_S1L_EUlS1K_E_NS1_11comp_targetILNS1_3genE5ELNS1_11target_archE942ELNS1_3gpuE9ELNS1_3repE0EEENS1_30default_config_static_selectorELNS0_4arch9wavefront6targetE0EEEvSY_,comdat
.Lfunc_end265:
	.size	_ZN7rocprim17ROCPRIM_400000_NS6detail17trampoline_kernelINS0_13select_configILj256ELj13ELNS0_17block_load_methodE3ELS4_3ELS4_3ELNS0_20block_scan_algorithmE0ELj4294967295EEENS1_25partition_config_selectorILNS1_17partition_subalgoE3EjNS0_10empty_typeEbEEZZNS1_14partition_implILS8_3ELb0ES6_jNS0_17counting_iteratorIjlEEPS9_SE_NS0_5tupleIJPjSE_EEENSF_IJSE_SE_EEES9_SG_JZNS1_25segmented_radix_sort_implINS0_14default_configELb1EPKaPaPKlPlN2at6native12_GLOBAL__N_18offset_tEEE10hipError_tPvRmT1_PNSt15iterator_traitsISY_E10value_typeET2_T3_PNSZ_IS14_E10value_typeET4_jRbjT5_S1A_jjP12ihipStream_tbEUljE_EEESV_SW_SX_S14_S18_S1A_T6_T7_T9_mT8_S1C_bDpT10_ENKUlT_T0_E_clISt17integral_constantIbLb1EES1P_EEDaS1K_S1L_EUlS1K_E_NS1_11comp_targetILNS1_3genE5ELNS1_11target_archE942ELNS1_3gpuE9ELNS1_3repE0EEENS1_30default_config_static_selectorELNS0_4arch9wavefront6targetE0EEEvSY_, .Lfunc_end265-_ZN7rocprim17ROCPRIM_400000_NS6detail17trampoline_kernelINS0_13select_configILj256ELj13ELNS0_17block_load_methodE3ELS4_3ELS4_3ELNS0_20block_scan_algorithmE0ELj4294967295EEENS1_25partition_config_selectorILNS1_17partition_subalgoE3EjNS0_10empty_typeEbEEZZNS1_14partition_implILS8_3ELb0ES6_jNS0_17counting_iteratorIjlEEPS9_SE_NS0_5tupleIJPjSE_EEENSF_IJSE_SE_EEES9_SG_JZNS1_25segmented_radix_sort_implINS0_14default_configELb1EPKaPaPKlPlN2at6native12_GLOBAL__N_18offset_tEEE10hipError_tPvRmT1_PNSt15iterator_traitsISY_E10value_typeET2_T3_PNSZ_IS14_E10value_typeET4_jRbjT5_S1A_jjP12ihipStream_tbEUljE_EEESV_SW_SX_S14_S18_S1A_T6_T7_T9_mT8_S1C_bDpT10_ENKUlT_T0_E_clISt17integral_constantIbLb1EES1P_EEDaS1K_S1L_EUlS1K_E_NS1_11comp_targetILNS1_3genE5ELNS1_11target_archE942ELNS1_3gpuE9ELNS1_3repE0EEENS1_30default_config_static_selectorELNS0_4arch9wavefront6targetE0EEEvSY_
                                        ; -- End function
	.set _ZN7rocprim17ROCPRIM_400000_NS6detail17trampoline_kernelINS0_13select_configILj256ELj13ELNS0_17block_load_methodE3ELS4_3ELS4_3ELNS0_20block_scan_algorithmE0ELj4294967295EEENS1_25partition_config_selectorILNS1_17partition_subalgoE3EjNS0_10empty_typeEbEEZZNS1_14partition_implILS8_3ELb0ES6_jNS0_17counting_iteratorIjlEEPS9_SE_NS0_5tupleIJPjSE_EEENSF_IJSE_SE_EEES9_SG_JZNS1_25segmented_radix_sort_implINS0_14default_configELb1EPKaPaPKlPlN2at6native12_GLOBAL__N_18offset_tEEE10hipError_tPvRmT1_PNSt15iterator_traitsISY_E10value_typeET2_T3_PNSZ_IS14_E10value_typeET4_jRbjT5_S1A_jjP12ihipStream_tbEUljE_EEESV_SW_SX_S14_S18_S1A_T6_T7_T9_mT8_S1C_bDpT10_ENKUlT_T0_E_clISt17integral_constantIbLb1EES1P_EEDaS1K_S1L_EUlS1K_E_NS1_11comp_targetILNS1_3genE5ELNS1_11target_archE942ELNS1_3gpuE9ELNS1_3repE0EEENS1_30default_config_static_selectorELNS0_4arch9wavefront6targetE0EEEvSY_.num_vgpr, 0
	.set _ZN7rocprim17ROCPRIM_400000_NS6detail17trampoline_kernelINS0_13select_configILj256ELj13ELNS0_17block_load_methodE3ELS4_3ELS4_3ELNS0_20block_scan_algorithmE0ELj4294967295EEENS1_25partition_config_selectorILNS1_17partition_subalgoE3EjNS0_10empty_typeEbEEZZNS1_14partition_implILS8_3ELb0ES6_jNS0_17counting_iteratorIjlEEPS9_SE_NS0_5tupleIJPjSE_EEENSF_IJSE_SE_EEES9_SG_JZNS1_25segmented_radix_sort_implINS0_14default_configELb1EPKaPaPKlPlN2at6native12_GLOBAL__N_18offset_tEEE10hipError_tPvRmT1_PNSt15iterator_traitsISY_E10value_typeET2_T3_PNSZ_IS14_E10value_typeET4_jRbjT5_S1A_jjP12ihipStream_tbEUljE_EEESV_SW_SX_S14_S18_S1A_T6_T7_T9_mT8_S1C_bDpT10_ENKUlT_T0_E_clISt17integral_constantIbLb1EES1P_EEDaS1K_S1L_EUlS1K_E_NS1_11comp_targetILNS1_3genE5ELNS1_11target_archE942ELNS1_3gpuE9ELNS1_3repE0EEENS1_30default_config_static_selectorELNS0_4arch9wavefront6targetE0EEEvSY_.num_agpr, 0
	.set _ZN7rocprim17ROCPRIM_400000_NS6detail17trampoline_kernelINS0_13select_configILj256ELj13ELNS0_17block_load_methodE3ELS4_3ELS4_3ELNS0_20block_scan_algorithmE0ELj4294967295EEENS1_25partition_config_selectorILNS1_17partition_subalgoE3EjNS0_10empty_typeEbEEZZNS1_14partition_implILS8_3ELb0ES6_jNS0_17counting_iteratorIjlEEPS9_SE_NS0_5tupleIJPjSE_EEENSF_IJSE_SE_EEES9_SG_JZNS1_25segmented_radix_sort_implINS0_14default_configELb1EPKaPaPKlPlN2at6native12_GLOBAL__N_18offset_tEEE10hipError_tPvRmT1_PNSt15iterator_traitsISY_E10value_typeET2_T3_PNSZ_IS14_E10value_typeET4_jRbjT5_S1A_jjP12ihipStream_tbEUljE_EEESV_SW_SX_S14_S18_S1A_T6_T7_T9_mT8_S1C_bDpT10_ENKUlT_T0_E_clISt17integral_constantIbLb1EES1P_EEDaS1K_S1L_EUlS1K_E_NS1_11comp_targetILNS1_3genE5ELNS1_11target_archE942ELNS1_3gpuE9ELNS1_3repE0EEENS1_30default_config_static_selectorELNS0_4arch9wavefront6targetE0EEEvSY_.numbered_sgpr, 0
	.set _ZN7rocprim17ROCPRIM_400000_NS6detail17trampoline_kernelINS0_13select_configILj256ELj13ELNS0_17block_load_methodE3ELS4_3ELS4_3ELNS0_20block_scan_algorithmE0ELj4294967295EEENS1_25partition_config_selectorILNS1_17partition_subalgoE3EjNS0_10empty_typeEbEEZZNS1_14partition_implILS8_3ELb0ES6_jNS0_17counting_iteratorIjlEEPS9_SE_NS0_5tupleIJPjSE_EEENSF_IJSE_SE_EEES9_SG_JZNS1_25segmented_radix_sort_implINS0_14default_configELb1EPKaPaPKlPlN2at6native12_GLOBAL__N_18offset_tEEE10hipError_tPvRmT1_PNSt15iterator_traitsISY_E10value_typeET2_T3_PNSZ_IS14_E10value_typeET4_jRbjT5_S1A_jjP12ihipStream_tbEUljE_EEESV_SW_SX_S14_S18_S1A_T6_T7_T9_mT8_S1C_bDpT10_ENKUlT_T0_E_clISt17integral_constantIbLb1EES1P_EEDaS1K_S1L_EUlS1K_E_NS1_11comp_targetILNS1_3genE5ELNS1_11target_archE942ELNS1_3gpuE9ELNS1_3repE0EEENS1_30default_config_static_selectorELNS0_4arch9wavefront6targetE0EEEvSY_.num_named_barrier, 0
	.set _ZN7rocprim17ROCPRIM_400000_NS6detail17trampoline_kernelINS0_13select_configILj256ELj13ELNS0_17block_load_methodE3ELS4_3ELS4_3ELNS0_20block_scan_algorithmE0ELj4294967295EEENS1_25partition_config_selectorILNS1_17partition_subalgoE3EjNS0_10empty_typeEbEEZZNS1_14partition_implILS8_3ELb0ES6_jNS0_17counting_iteratorIjlEEPS9_SE_NS0_5tupleIJPjSE_EEENSF_IJSE_SE_EEES9_SG_JZNS1_25segmented_radix_sort_implINS0_14default_configELb1EPKaPaPKlPlN2at6native12_GLOBAL__N_18offset_tEEE10hipError_tPvRmT1_PNSt15iterator_traitsISY_E10value_typeET2_T3_PNSZ_IS14_E10value_typeET4_jRbjT5_S1A_jjP12ihipStream_tbEUljE_EEESV_SW_SX_S14_S18_S1A_T6_T7_T9_mT8_S1C_bDpT10_ENKUlT_T0_E_clISt17integral_constantIbLb1EES1P_EEDaS1K_S1L_EUlS1K_E_NS1_11comp_targetILNS1_3genE5ELNS1_11target_archE942ELNS1_3gpuE9ELNS1_3repE0EEENS1_30default_config_static_selectorELNS0_4arch9wavefront6targetE0EEEvSY_.private_seg_size, 0
	.set _ZN7rocprim17ROCPRIM_400000_NS6detail17trampoline_kernelINS0_13select_configILj256ELj13ELNS0_17block_load_methodE3ELS4_3ELS4_3ELNS0_20block_scan_algorithmE0ELj4294967295EEENS1_25partition_config_selectorILNS1_17partition_subalgoE3EjNS0_10empty_typeEbEEZZNS1_14partition_implILS8_3ELb0ES6_jNS0_17counting_iteratorIjlEEPS9_SE_NS0_5tupleIJPjSE_EEENSF_IJSE_SE_EEES9_SG_JZNS1_25segmented_radix_sort_implINS0_14default_configELb1EPKaPaPKlPlN2at6native12_GLOBAL__N_18offset_tEEE10hipError_tPvRmT1_PNSt15iterator_traitsISY_E10value_typeET2_T3_PNSZ_IS14_E10value_typeET4_jRbjT5_S1A_jjP12ihipStream_tbEUljE_EEESV_SW_SX_S14_S18_S1A_T6_T7_T9_mT8_S1C_bDpT10_ENKUlT_T0_E_clISt17integral_constantIbLb1EES1P_EEDaS1K_S1L_EUlS1K_E_NS1_11comp_targetILNS1_3genE5ELNS1_11target_archE942ELNS1_3gpuE9ELNS1_3repE0EEENS1_30default_config_static_selectorELNS0_4arch9wavefront6targetE0EEEvSY_.uses_vcc, 0
	.set _ZN7rocprim17ROCPRIM_400000_NS6detail17trampoline_kernelINS0_13select_configILj256ELj13ELNS0_17block_load_methodE3ELS4_3ELS4_3ELNS0_20block_scan_algorithmE0ELj4294967295EEENS1_25partition_config_selectorILNS1_17partition_subalgoE3EjNS0_10empty_typeEbEEZZNS1_14partition_implILS8_3ELb0ES6_jNS0_17counting_iteratorIjlEEPS9_SE_NS0_5tupleIJPjSE_EEENSF_IJSE_SE_EEES9_SG_JZNS1_25segmented_radix_sort_implINS0_14default_configELb1EPKaPaPKlPlN2at6native12_GLOBAL__N_18offset_tEEE10hipError_tPvRmT1_PNSt15iterator_traitsISY_E10value_typeET2_T3_PNSZ_IS14_E10value_typeET4_jRbjT5_S1A_jjP12ihipStream_tbEUljE_EEESV_SW_SX_S14_S18_S1A_T6_T7_T9_mT8_S1C_bDpT10_ENKUlT_T0_E_clISt17integral_constantIbLb1EES1P_EEDaS1K_S1L_EUlS1K_E_NS1_11comp_targetILNS1_3genE5ELNS1_11target_archE942ELNS1_3gpuE9ELNS1_3repE0EEENS1_30default_config_static_selectorELNS0_4arch9wavefront6targetE0EEEvSY_.uses_flat_scratch, 0
	.set _ZN7rocprim17ROCPRIM_400000_NS6detail17trampoline_kernelINS0_13select_configILj256ELj13ELNS0_17block_load_methodE3ELS4_3ELS4_3ELNS0_20block_scan_algorithmE0ELj4294967295EEENS1_25partition_config_selectorILNS1_17partition_subalgoE3EjNS0_10empty_typeEbEEZZNS1_14partition_implILS8_3ELb0ES6_jNS0_17counting_iteratorIjlEEPS9_SE_NS0_5tupleIJPjSE_EEENSF_IJSE_SE_EEES9_SG_JZNS1_25segmented_radix_sort_implINS0_14default_configELb1EPKaPaPKlPlN2at6native12_GLOBAL__N_18offset_tEEE10hipError_tPvRmT1_PNSt15iterator_traitsISY_E10value_typeET2_T3_PNSZ_IS14_E10value_typeET4_jRbjT5_S1A_jjP12ihipStream_tbEUljE_EEESV_SW_SX_S14_S18_S1A_T6_T7_T9_mT8_S1C_bDpT10_ENKUlT_T0_E_clISt17integral_constantIbLb1EES1P_EEDaS1K_S1L_EUlS1K_E_NS1_11comp_targetILNS1_3genE5ELNS1_11target_archE942ELNS1_3gpuE9ELNS1_3repE0EEENS1_30default_config_static_selectorELNS0_4arch9wavefront6targetE0EEEvSY_.has_dyn_sized_stack, 0
	.set _ZN7rocprim17ROCPRIM_400000_NS6detail17trampoline_kernelINS0_13select_configILj256ELj13ELNS0_17block_load_methodE3ELS4_3ELS4_3ELNS0_20block_scan_algorithmE0ELj4294967295EEENS1_25partition_config_selectorILNS1_17partition_subalgoE3EjNS0_10empty_typeEbEEZZNS1_14partition_implILS8_3ELb0ES6_jNS0_17counting_iteratorIjlEEPS9_SE_NS0_5tupleIJPjSE_EEENSF_IJSE_SE_EEES9_SG_JZNS1_25segmented_radix_sort_implINS0_14default_configELb1EPKaPaPKlPlN2at6native12_GLOBAL__N_18offset_tEEE10hipError_tPvRmT1_PNSt15iterator_traitsISY_E10value_typeET2_T3_PNSZ_IS14_E10value_typeET4_jRbjT5_S1A_jjP12ihipStream_tbEUljE_EEESV_SW_SX_S14_S18_S1A_T6_T7_T9_mT8_S1C_bDpT10_ENKUlT_T0_E_clISt17integral_constantIbLb1EES1P_EEDaS1K_S1L_EUlS1K_E_NS1_11comp_targetILNS1_3genE5ELNS1_11target_archE942ELNS1_3gpuE9ELNS1_3repE0EEENS1_30default_config_static_selectorELNS0_4arch9wavefront6targetE0EEEvSY_.has_recursion, 0
	.set _ZN7rocprim17ROCPRIM_400000_NS6detail17trampoline_kernelINS0_13select_configILj256ELj13ELNS0_17block_load_methodE3ELS4_3ELS4_3ELNS0_20block_scan_algorithmE0ELj4294967295EEENS1_25partition_config_selectorILNS1_17partition_subalgoE3EjNS0_10empty_typeEbEEZZNS1_14partition_implILS8_3ELb0ES6_jNS0_17counting_iteratorIjlEEPS9_SE_NS0_5tupleIJPjSE_EEENSF_IJSE_SE_EEES9_SG_JZNS1_25segmented_radix_sort_implINS0_14default_configELb1EPKaPaPKlPlN2at6native12_GLOBAL__N_18offset_tEEE10hipError_tPvRmT1_PNSt15iterator_traitsISY_E10value_typeET2_T3_PNSZ_IS14_E10value_typeET4_jRbjT5_S1A_jjP12ihipStream_tbEUljE_EEESV_SW_SX_S14_S18_S1A_T6_T7_T9_mT8_S1C_bDpT10_ENKUlT_T0_E_clISt17integral_constantIbLb1EES1P_EEDaS1K_S1L_EUlS1K_E_NS1_11comp_targetILNS1_3genE5ELNS1_11target_archE942ELNS1_3gpuE9ELNS1_3repE0EEENS1_30default_config_static_selectorELNS0_4arch9wavefront6targetE0EEEvSY_.has_indirect_call, 0
	.section	.AMDGPU.csdata,"",@progbits
; Kernel info:
; codeLenInByte = 0
; TotalNumSgprs: 0
; NumVgprs: 0
; ScratchSize: 0
; MemoryBound: 0
; FloatMode: 240
; IeeeMode: 1
; LDSByteSize: 0 bytes/workgroup (compile time only)
; SGPRBlocks: 0
; VGPRBlocks: 0
; NumSGPRsForWavesPerEU: 1
; NumVGPRsForWavesPerEU: 1
; Occupancy: 16
; WaveLimiterHint : 0
; COMPUTE_PGM_RSRC2:SCRATCH_EN: 0
; COMPUTE_PGM_RSRC2:USER_SGPR: 6
; COMPUTE_PGM_RSRC2:TRAP_HANDLER: 0
; COMPUTE_PGM_RSRC2:TGID_X_EN: 1
; COMPUTE_PGM_RSRC2:TGID_Y_EN: 0
; COMPUTE_PGM_RSRC2:TGID_Z_EN: 0
; COMPUTE_PGM_RSRC2:TIDIG_COMP_CNT: 0
	.section	.text._ZN7rocprim17ROCPRIM_400000_NS6detail17trampoline_kernelINS0_13select_configILj256ELj13ELNS0_17block_load_methodE3ELS4_3ELS4_3ELNS0_20block_scan_algorithmE0ELj4294967295EEENS1_25partition_config_selectorILNS1_17partition_subalgoE3EjNS0_10empty_typeEbEEZZNS1_14partition_implILS8_3ELb0ES6_jNS0_17counting_iteratorIjlEEPS9_SE_NS0_5tupleIJPjSE_EEENSF_IJSE_SE_EEES9_SG_JZNS1_25segmented_radix_sort_implINS0_14default_configELb1EPKaPaPKlPlN2at6native12_GLOBAL__N_18offset_tEEE10hipError_tPvRmT1_PNSt15iterator_traitsISY_E10value_typeET2_T3_PNSZ_IS14_E10value_typeET4_jRbjT5_S1A_jjP12ihipStream_tbEUljE_EEESV_SW_SX_S14_S18_S1A_T6_T7_T9_mT8_S1C_bDpT10_ENKUlT_T0_E_clISt17integral_constantIbLb1EES1P_EEDaS1K_S1L_EUlS1K_E_NS1_11comp_targetILNS1_3genE4ELNS1_11target_archE910ELNS1_3gpuE8ELNS1_3repE0EEENS1_30default_config_static_selectorELNS0_4arch9wavefront6targetE0EEEvSY_,"axG",@progbits,_ZN7rocprim17ROCPRIM_400000_NS6detail17trampoline_kernelINS0_13select_configILj256ELj13ELNS0_17block_load_methodE3ELS4_3ELS4_3ELNS0_20block_scan_algorithmE0ELj4294967295EEENS1_25partition_config_selectorILNS1_17partition_subalgoE3EjNS0_10empty_typeEbEEZZNS1_14partition_implILS8_3ELb0ES6_jNS0_17counting_iteratorIjlEEPS9_SE_NS0_5tupleIJPjSE_EEENSF_IJSE_SE_EEES9_SG_JZNS1_25segmented_radix_sort_implINS0_14default_configELb1EPKaPaPKlPlN2at6native12_GLOBAL__N_18offset_tEEE10hipError_tPvRmT1_PNSt15iterator_traitsISY_E10value_typeET2_T3_PNSZ_IS14_E10value_typeET4_jRbjT5_S1A_jjP12ihipStream_tbEUljE_EEESV_SW_SX_S14_S18_S1A_T6_T7_T9_mT8_S1C_bDpT10_ENKUlT_T0_E_clISt17integral_constantIbLb1EES1P_EEDaS1K_S1L_EUlS1K_E_NS1_11comp_targetILNS1_3genE4ELNS1_11target_archE910ELNS1_3gpuE8ELNS1_3repE0EEENS1_30default_config_static_selectorELNS0_4arch9wavefront6targetE0EEEvSY_,comdat
	.globl	_ZN7rocprim17ROCPRIM_400000_NS6detail17trampoline_kernelINS0_13select_configILj256ELj13ELNS0_17block_load_methodE3ELS4_3ELS4_3ELNS0_20block_scan_algorithmE0ELj4294967295EEENS1_25partition_config_selectorILNS1_17partition_subalgoE3EjNS0_10empty_typeEbEEZZNS1_14partition_implILS8_3ELb0ES6_jNS0_17counting_iteratorIjlEEPS9_SE_NS0_5tupleIJPjSE_EEENSF_IJSE_SE_EEES9_SG_JZNS1_25segmented_radix_sort_implINS0_14default_configELb1EPKaPaPKlPlN2at6native12_GLOBAL__N_18offset_tEEE10hipError_tPvRmT1_PNSt15iterator_traitsISY_E10value_typeET2_T3_PNSZ_IS14_E10value_typeET4_jRbjT5_S1A_jjP12ihipStream_tbEUljE_EEESV_SW_SX_S14_S18_S1A_T6_T7_T9_mT8_S1C_bDpT10_ENKUlT_T0_E_clISt17integral_constantIbLb1EES1P_EEDaS1K_S1L_EUlS1K_E_NS1_11comp_targetILNS1_3genE4ELNS1_11target_archE910ELNS1_3gpuE8ELNS1_3repE0EEENS1_30default_config_static_selectorELNS0_4arch9wavefront6targetE0EEEvSY_ ; -- Begin function _ZN7rocprim17ROCPRIM_400000_NS6detail17trampoline_kernelINS0_13select_configILj256ELj13ELNS0_17block_load_methodE3ELS4_3ELS4_3ELNS0_20block_scan_algorithmE0ELj4294967295EEENS1_25partition_config_selectorILNS1_17partition_subalgoE3EjNS0_10empty_typeEbEEZZNS1_14partition_implILS8_3ELb0ES6_jNS0_17counting_iteratorIjlEEPS9_SE_NS0_5tupleIJPjSE_EEENSF_IJSE_SE_EEES9_SG_JZNS1_25segmented_radix_sort_implINS0_14default_configELb1EPKaPaPKlPlN2at6native12_GLOBAL__N_18offset_tEEE10hipError_tPvRmT1_PNSt15iterator_traitsISY_E10value_typeET2_T3_PNSZ_IS14_E10value_typeET4_jRbjT5_S1A_jjP12ihipStream_tbEUljE_EEESV_SW_SX_S14_S18_S1A_T6_T7_T9_mT8_S1C_bDpT10_ENKUlT_T0_E_clISt17integral_constantIbLb1EES1P_EEDaS1K_S1L_EUlS1K_E_NS1_11comp_targetILNS1_3genE4ELNS1_11target_archE910ELNS1_3gpuE8ELNS1_3repE0EEENS1_30default_config_static_selectorELNS0_4arch9wavefront6targetE0EEEvSY_
	.p2align	8
	.type	_ZN7rocprim17ROCPRIM_400000_NS6detail17trampoline_kernelINS0_13select_configILj256ELj13ELNS0_17block_load_methodE3ELS4_3ELS4_3ELNS0_20block_scan_algorithmE0ELj4294967295EEENS1_25partition_config_selectorILNS1_17partition_subalgoE3EjNS0_10empty_typeEbEEZZNS1_14partition_implILS8_3ELb0ES6_jNS0_17counting_iteratorIjlEEPS9_SE_NS0_5tupleIJPjSE_EEENSF_IJSE_SE_EEES9_SG_JZNS1_25segmented_radix_sort_implINS0_14default_configELb1EPKaPaPKlPlN2at6native12_GLOBAL__N_18offset_tEEE10hipError_tPvRmT1_PNSt15iterator_traitsISY_E10value_typeET2_T3_PNSZ_IS14_E10value_typeET4_jRbjT5_S1A_jjP12ihipStream_tbEUljE_EEESV_SW_SX_S14_S18_S1A_T6_T7_T9_mT8_S1C_bDpT10_ENKUlT_T0_E_clISt17integral_constantIbLb1EES1P_EEDaS1K_S1L_EUlS1K_E_NS1_11comp_targetILNS1_3genE4ELNS1_11target_archE910ELNS1_3gpuE8ELNS1_3repE0EEENS1_30default_config_static_selectorELNS0_4arch9wavefront6targetE0EEEvSY_,@function
_ZN7rocprim17ROCPRIM_400000_NS6detail17trampoline_kernelINS0_13select_configILj256ELj13ELNS0_17block_load_methodE3ELS4_3ELS4_3ELNS0_20block_scan_algorithmE0ELj4294967295EEENS1_25partition_config_selectorILNS1_17partition_subalgoE3EjNS0_10empty_typeEbEEZZNS1_14partition_implILS8_3ELb0ES6_jNS0_17counting_iteratorIjlEEPS9_SE_NS0_5tupleIJPjSE_EEENSF_IJSE_SE_EEES9_SG_JZNS1_25segmented_radix_sort_implINS0_14default_configELb1EPKaPaPKlPlN2at6native12_GLOBAL__N_18offset_tEEE10hipError_tPvRmT1_PNSt15iterator_traitsISY_E10value_typeET2_T3_PNSZ_IS14_E10value_typeET4_jRbjT5_S1A_jjP12ihipStream_tbEUljE_EEESV_SW_SX_S14_S18_S1A_T6_T7_T9_mT8_S1C_bDpT10_ENKUlT_T0_E_clISt17integral_constantIbLb1EES1P_EEDaS1K_S1L_EUlS1K_E_NS1_11comp_targetILNS1_3genE4ELNS1_11target_archE910ELNS1_3gpuE8ELNS1_3repE0EEENS1_30default_config_static_selectorELNS0_4arch9wavefront6targetE0EEEvSY_: ; @_ZN7rocprim17ROCPRIM_400000_NS6detail17trampoline_kernelINS0_13select_configILj256ELj13ELNS0_17block_load_methodE3ELS4_3ELS4_3ELNS0_20block_scan_algorithmE0ELj4294967295EEENS1_25partition_config_selectorILNS1_17partition_subalgoE3EjNS0_10empty_typeEbEEZZNS1_14partition_implILS8_3ELb0ES6_jNS0_17counting_iteratorIjlEEPS9_SE_NS0_5tupleIJPjSE_EEENSF_IJSE_SE_EEES9_SG_JZNS1_25segmented_radix_sort_implINS0_14default_configELb1EPKaPaPKlPlN2at6native12_GLOBAL__N_18offset_tEEE10hipError_tPvRmT1_PNSt15iterator_traitsISY_E10value_typeET2_T3_PNSZ_IS14_E10value_typeET4_jRbjT5_S1A_jjP12ihipStream_tbEUljE_EEESV_SW_SX_S14_S18_S1A_T6_T7_T9_mT8_S1C_bDpT10_ENKUlT_T0_E_clISt17integral_constantIbLb1EES1P_EEDaS1K_S1L_EUlS1K_E_NS1_11comp_targetILNS1_3genE4ELNS1_11target_archE910ELNS1_3gpuE8ELNS1_3repE0EEENS1_30default_config_static_selectorELNS0_4arch9wavefront6targetE0EEEvSY_
; %bb.0:
	.section	.rodata,"a",@progbits
	.p2align	6, 0x0
	.amdhsa_kernel _ZN7rocprim17ROCPRIM_400000_NS6detail17trampoline_kernelINS0_13select_configILj256ELj13ELNS0_17block_load_methodE3ELS4_3ELS4_3ELNS0_20block_scan_algorithmE0ELj4294967295EEENS1_25partition_config_selectorILNS1_17partition_subalgoE3EjNS0_10empty_typeEbEEZZNS1_14partition_implILS8_3ELb0ES6_jNS0_17counting_iteratorIjlEEPS9_SE_NS0_5tupleIJPjSE_EEENSF_IJSE_SE_EEES9_SG_JZNS1_25segmented_radix_sort_implINS0_14default_configELb1EPKaPaPKlPlN2at6native12_GLOBAL__N_18offset_tEEE10hipError_tPvRmT1_PNSt15iterator_traitsISY_E10value_typeET2_T3_PNSZ_IS14_E10value_typeET4_jRbjT5_S1A_jjP12ihipStream_tbEUljE_EEESV_SW_SX_S14_S18_S1A_T6_T7_T9_mT8_S1C_bDpT10_ENKUlT_T0_E_clISt17integral_constantIbLb1EES1P_EEDaS1K_S1L_EUlS1K_E_NS1_11comp_targetILNS1_3genE4ELNS1_11target_archE910ELNS1_3gpuE8ELNS1_3repE0EEENS1_30default_config_static_selectorELNS0_4arch9wavefront6targetE0EEEvSY_
		.amdhsa_group_segment_fixed_size 0
		.amdhsa_private_segment_fixed_size 0
		.amdhsa_kernarg_size 152
		.amdhsa_user_sgpr_count 6
		.amdhsa_user_sgpr_private_segment_buffer 1
		.amdhsa_user_sgpr_dispatch_ptr 0
		.amdhsa_user_sgpr_queue_ptr 0
		.amdhsa_user_sgpr_kernarg_segment_ptr 1
		.amdhsa_user_sgpr_dispatch_id 0
		.amdhsa_user_sgpr_flat_scratch_init 0
		.amdhsa_user_sgpr_private_segment_size 0
		.amdhsa_wavefront_size32 1
		.amdhsa_uses_dynamic_stack 0
		.amdhsa_system_sgpr_private_segment_wavefront_offset 0
		.amdhsa_system_sgpr_workgroup_id_x 1
		.amdhsa_system_sgpr_workgroup_id_y 0
		.amdhsa_system_sgpr_workgroup_id_z 0
		.amdhsa_system_sgpr_workgroup_info 0
		.amdhsa_system_vgpr_workitem_id 0
		.amdhsa_next_free_vgpr 1
		.amdhsa_next_free_sgpr 1
		.amdhsa_reserve_vcc 0
		.amdhsa_reserve_flat_scratch 0
		.amdhsa_float_round_mode_32 0
		.amdhsa_float_round_mode_16_64 0
		.amdhsa_float_denorm_mode_32 3
		.amdhsa_float_denorm_mode_16_64 3
		.amdhsa_dx10_clamp 1
		.amdhsa_ieee_mode 1
		.amdhsa_fp16_overflow 0
		.amdhsa_workgroup_processor_mode 1
		.amdhsa_memory_ordered 1
		.amdhsa_forward_progress 1
		.amdhsa_shared_vgpr_count 0
		.amdhsa_exception_fp_ieee_invalid_op 0
		.amdhsa_exception_fp_denorm_src 0
		.amdhsa_exception_fp_ieee_div_zero 0
		.amdhsa_exception_fp_ieee_overflow 0
		.amdhsa_exception_fp_ieee_underflow 0
		.amdhsa_exception_fp_ieee_inexact 0
		.amdhsa_exception_int_div_zero 0
	.end_amdhsa_kernel
	.section	.text._ZN7rocprim17ROCPRIM_400000_NS6detail17trampoline_kernelINS0_13select_configILj256ELj13ELNS0_17block_load_methodE3ELS4_3ELS4_3ELNS0_20block_scan_algorithmE0ELj4294967295EEENS1_25partition_config_selectorILNS1_17partition_subalgoE3EjNS0_10empty_typeEbEEZZNS1_14partition_implILS8_3ELb0ES6_jNS0_17counting_iteratorIjlEEPS9_SE_NS0_5tupleIJPjSE_EEENSF_IJSE_SE_EEES9_SG_JZNS1_25segmented_radix_sort_implINS0_14default_configELb1EPKaPaPKlPlN2at6native12_GLOBAL__N_18offset_tEEE10hipError_tPvRmT1_PNSt15iterator_traitsISY_E10value_typeET2_T3_PNSZ_IS14_E10value_typeET4_jRbjT5_S1A_jjP12ihipStream_tbEUljE_EEESV_SW_SX_S14_S18_S1A_T6_T7_T9_mT8_S1C_bDpT10_ENKUlT_T0_E_clISt17integral_constantIbLb1EES1P_EEDaS1K_S1L_EUlS1K_E_NS1_11comp_targetILNS1_3genE4ELNS1_11target_archE910ELNS1_3gpuE8ELNS1_3repE0EEENS1_30default_config_static_selectorELNS0_4arch9wavefront6targetE0EEEvSY_,"axG",@progbits,_ZN7rocprim17ROCPRIM_400000_NS6detail17trampoline_kernelINS0_13select_configILj256ELj13ELNS0_17block_load_methodE3ELS4_3ELS4_3ELNS0_20block_scan_algorithmE0ELj4294967295EEENS1_25partition_config_selectorILNS1_17partition_subalgoE3EjNS0_10empty_typeEbEEZZNS1_14partition_implILS8_3ELb0ES6_jNS0_17counting_iteratorIjlEEPS9_SE_NS0_5tupleIJPjSE_EEENSF_IJSE_SE_EEES9_SG_JZNS1_25segmented_radix_sort_implINS0_14default_configELb1EPKaPaPKlPlN2at6native12_GLOBAL__N_18offset_tEEE10hipError_tPvRmT1_PNSt15iterator_traitsISY_E10value_typeET2_T3_PNSZ_IS14_E10value_typeET4_jRbjT5_S1A_jjP12ihipStream_tbEUljE_EEESV_SW_SX_S14_S18_S1A_T6_T7_T9_mT8_S1C_bDpT10_ENKUlT_T0_E_clISt17integral_constantIbLb1EES1P_EEDaS1K_S1L_EUlS1K_E_NS1_11comp_targetILNS1_3genE4ELNS1_11target_archE910ELNS1_3gpuE8ELNS1_3repE0EEENS1_30default_config_static_selectorELNS0_4arch9wavefront6targetE0EEEvSY_,comdat
.Lfunc_end266:
	.size	_ZN7rocprim17ROCPRIM_400000_NS6detail17trampoline_kernelINS0_13select_configILj256ELj13ELNS0_17block_load_methodE3ELS4_3ELS4_3ELNS0_20block_scan_algorithmE0ELj4294967295EEENS1_25partition_config_selectorILNS1_17partition_subalgoE3EjNS0_10empty_typeEbEEZZNS1_14partition_implILS8_3ELb0ES6_jNS0_17counting_iteratorIjlEEPS9_SE_NS0_5tupleIJPjSE_EEENSF_IJSE_SE_EEES9_SG_JZNS1_25segmented_radix_sort_implINS0_14default_configELb1EPKaPaPKlPlN2at6native12_GLOBAL__N_18offset_tEEE10hipError_tPvRmT1_PNSt15iterator_traitsISY_E10value_typeET2_T3_PNSZ_IS14_E10value_typeET4_jRbjT5_S1A_jjP12ihipStream_tbEUljE_EEESV_SW_SX_S14_S18_S1A_T6_T7_T9_mT8_S1C_bDpT10_ENKUlT_T0_E_clISt17integral_constantIbLb1EES1P_EEDaS1K_S1L_EUlS1K_E_NS1_11comp_targetILNS1_3genE4ELNS1_11target_archE910ELNS1_3gpuE8ELNS1_3repE0EEENS1_30default_config_static_selectorELNS0_4arch9wavefront6targetE0EEEvSY_, .Lfunc_end266-_ZN7rocprim17ROCPRIM_400000_NS6detail17trampoline_kernelINS0_13select_configILj256ELj13ELNS0_17block_load_methodE3ELS4_3ELS4_3ELNS0_20block_scan_algorithmE0ELj4294967295EEENS1_25partition_config_selectorILNS1_17partition_subalgoE3EjNS0_10empty_typeEbEEZZNS1_14partition_implILS8_3ELb0ES6_jNS0_17counting_iteratorIjlEEPS9_SE_NS0_5tupleIJPjSE_EEENSF_IJSE_SE_EEES9_SG_JZNS1_25segmented_radix_sort_implINS0_14default_configELb1EPKaPaPKlPlN2at6native12_GLOBAL__N_18offset_tEEE10hipError_tPvRmT1_PNSt15iterator_traitsISY_E10value_typeET2_T3_PNSZ_IS14_E10value_typeET4_jRbjT5_S1A_jjP12ihipStream_tbEUljE_EEESV_SW_SX_S14_S18_S1A_T6_T7_T9_mT8_S1C_bDpT10_ENKUlT_T0_E_clISt17integral_constantIbLb1EES1P_EEDaS1K_S1L_EUlS1K_E_NS1_11comp_targetILNS1_3genE4ELNS1_11target_archE910ELNS1_3gpuE8ELNS1_3repE0EEENS1_30default_config_static_selectorELNS0_4arch9wavefront6targetE0EEEvSY_
                                        ; -- End function
	.set _ZN7rocprim17ROCPRIM_400000_NS6detail17trampoline_kernelINS0_13select_configILj256ELj13ELNS0_17block_load_methodE3ELS4_3ELS4_3ELNS0_20block_scan_algorithmE0ELj4294967295EEENS1_25partition_config_selectorILNS1_17partition_subalgoE3EjNS0_10empty_typeEbEEZZNS1_14partition_implILS8_3ELb0ES6_jNS0_17counting_iteratorIjlEEPS9_SE_NS0_5tupleIJPjSE_EEENSF_IJSE_SE_EEES9_SG_JZNS1_25segmented_radix_sort_implINS0_14default_configELb1EPKaPaPKlPlN2at6native12_GLOBAL__N_18offset_tEEE10hipError_tPvRmT1_PNSt15iterator_traitsISY_E10value_typeET2_T3_PNSZ_IS14_E10value_typeET4_jRbjT5_S1A_jjP12ihipStream_tbEUljE_EEESV_SW_SX_S14_S18_S1A_T6_T7_T9_mT8_S1C_bDpT10_ENKUlT_T0_E_clISt17integral_constantIbLb1EES1P_EEDaS1K_S1L_EUlS1K_E_NS1_11comp_targetILNS1_3genE4ELNS1_11target_archE910ELNS1_3gpuE8ELNS1_3repE0EEENS1_30default_config_static_selectorELNS0_4arch9wavefront6targetE0EEEvSY_.num_vgpr, 0
	.set _ZN7rocprim17ROCPRIM_400000_NS6detail17trampoline_kernelINS0_13select_configILj256ELj13ELNS0_17block_load_methodE3ELS4_3ELS4_3ELNS0_20block_scan_algorithmE0ELj4294967295EEENS1_25partition_config_selectorILNS1_17partition_subalgoE3EjNS0_10empty_typeEbEEZZNS1_14partition_implILS8_3ELb0ES6_jNS0_17counting_iteratorIjlEEPS9_SE_NS0_5tupleIJPjSE_EEENSF_IJSE_SE_EEES9_SG_JZNS1_25segmented_radix_sort_implINS0_14default_configELb1EPKaPaPKlPlN2at6native12_GLOBAL__N_18offset_tEEE10hipError_tPvRmT1_PNSt15iterator_traitsISY_E10value_typeET2_T3_PNSZ_IS14_E10value_typeET4_jRbjT5_S1A_jjP12ihipStream_tbEUljE_EEESV_SW_SX_S14_S18_S1A_T6_T7_T9_mT8_S1C_bDpT10_ENKUlT_T0_E_clISt17integral_constantIbLb1EES1P_EEDaS1K_S1L_EUlS1K_E_NS1_11comp_targetILNS1_3genE4ELNS1_11target_archE910ELNS1_3gpuE8ELNS1_3repE0EEENS1_30default_config_static_selectorELNS0_4arch9wavefront6targetE0EEEvSY_.num_agpr, 0
	.set _ZN7rocprim17ROCPRIM_400000_NS6detail17trampoline_kernelINS0_13select_configILj256ELj13ELNS0_17block_load_methodE3ELS4_3ELS4_3ELNS0_20block_scan_algorithmE0ELj4294967295EEENS1_25partition_config_selectorILNS1_17partition_subalgoE3EjNS0_10empty_typeEbEEZZNS1_14partition_implILS8_3ELb0ES6_jNS0_17counting_iteratorIjlEEPS9_SE_NS0_5tupleIJPjSE_EEENSF_IJSE_SE_EEES9_SG_JZNS1_25segmented_radix_sort_implINS0_14default_configELb1EPKaPaPKlPlN2at6native12_GLOBAL__N_18offset_tEEE10hipError_tPvRmT1_PNSt15iterator_traitsISY_E10value_typeET2_T3_PNSZ_IS14_E10value_typeET4_jRbjT5_S1A_jjP12ihipStream_tbEUljE_EEESV_SW_SX_S14_S18_S1A_T6_T7_T9_mT8_S1C_bDpT10_ENKUlT_T0_E_clISt17integral_constantIbLb1EES1P_EEDaS1K_S1L_EUlS1K_E_NS1_11comp_targetILNS1_3genE4ELNS1_11target_archE910ELNS1_3gpuE8ELNS1_3repE0EEENS1_30default_config_static_selectorELNS0_4arch9wavefront6targetE0EEEvSY_.numbered_sgpr, 0
	.set _ZN7rocprim17ROCPRIM_400000_NS6detail17trampoline_kernelINS0_13select_configILj256ELj13ELNS0_17block_load_methodE3ELS4_3ELS4_3ELNS0_20block_scan_algorithmE0ELj4294967295EEENS1_25partition_config_selectorILNS1_17partition_subalgoE3EjNS0_10empty_typeEbEEZZNS1_14partition_implILS8_3ELb0ES6_jNS0_17counting_iteratorIjlEEPS9_SE_NS0_5tupleIJPjSE_EEENSF_IJSE_SE_EEES9_SG_JZNS1_25segmented_radix_sort_implINS0_14default_configELb1EPKaPaPKlPlN2at6native12_GLOBAL__N_18offset_tEEE10hipError_tPvRmT1_PNSt15iterator_traitsISY_E10value_typeET2_T3_PNSZ_IS14_E10value_typeET4_jRbjT5_S1A_jjP12ihipStream_tbEUljE_EEESV_SW_SX_S14_S18_S1A_T6_T7_T9_mT8_S1C_bDpT10_ENKUlT_T0_E_clISt17integral_constantIbLb1EES1P_EEDaS1K_S1L_EUlS1K_E_NS1_11comp_targetILNS1_3genE4ELNS1_11target_archE910ELNS1_3gpuE8ELNS1_3repE0EEENS1_30default_config_static_selectorELNS0_4arch9wavefront6targetE0EEEvSY_.num_named_barrier, 0
	.set _ZN7rocprim17ROCPRIM_400000_NS6detail17trampoline_kernelINS0_13select_configILj256ELj13ELNS0_17block_load_methodE3ELS4_3ELS4_3ELNS0_20block_scan_algorithmE0ELj4294967295EEENS1_25partition_config_selectorILNS1_17partition_subalgoE3EjNS0_10empty_typeEbEEZZNS1_14partition_implILS8_3ELb0ES6_jNS0_17counting_iteratorIjlEEPS9_SE_NS0_5tupleIJPjSE_EEENSF_IJSE_SE_EEES9_SG_JZNS1_25segmented_radix_sort_implINS0_14default_configELb1EPKaPaPKlPlN2at6native12_GLOBAL__N_18offset_tEEE10hipError_tPvRmT1_PNSt15iterator_traitsISY_E10value_typeET2_T3_PNSZ_IS14_E10value_typeET4_jRbjT5_S1A_jjP12ihipStream_tbEUljE_EEESV_SW_SX_S14_S18_S1A_T6_T7_T9_mT8_S1C_bDpT10_ENKUlT_T0_E_clISt17integral_constantIbLb1EES1P_EEDaS1K_S1L_EUlS1K_E_NS1_11comp_targetILNS1_3genE4ELNS1_11target_archE910ELNS1_3gpuE8ELNS1_3repE0EEENS1_30default_config_static_selectorELNS0_4arch9wavefront6targetE0EEEvSY_.private_seg_size, 0
	.set _ZN7rocprim17ROCPRIM_400000_NS6detail17trampoline_kernelINS0_13select_configILj256ELj13ELNS0_17block_load_methodE3ELS4_3ELS4_3ELNS0_20block_scan_algorithmE0ELj4294967295EEENS1_25partition_config_selectorILNS1_17partition_subalgoE3EjNS0_10empty_typeEbEEZZNS1_14partition_implILS8_3ELb0ES6_jNS0_17counting_iteratorIjlEEPS9_SE_NS0_5tupleIJPjSE_EEENSF_IJSE_SE_EEES9_SG_JZNS1_25segmented_radix_sort_implINS0_14default_configELb1EPKaPaPKlPlN2at6native12_GLOBAL__N_18offset_tEEE10hipError_tPvRmT1_PNSt15iterator_traitsISY_E10value_typeET2_T3_PNSZ_IS14_E10value_typeET4_jRbjT5_S1A_jjP12ihipStream_tbEUljE_EEESV_SW_SX_S14_S18_S1A_T6_T7_T9_mT8_S1C_bDpT10_ENKUlT_T0_E_clISt17integral_constantIbLb1EES1P_EEDaS1K_S1L_EUlS1K_E_NS1_11comp_targetILNS1_3genE4ELNS1_11target_archE910ELNS1_3gpuE8ELNS1_3repE0EEENS1_30default_config_static_selectorELNS0_4arch9wavefront6targetE0EEEvSY_.uses_vcc, 0
	.set _ZN7rocprim17ROCPRIM_400000_NS6detail17trampoline_kernelINS0_13select_configILj256ELj13ELNS0_17block_load_methodE3ELS4_3ELS4_3ELNS0_20block_scan_algorithmE0ELj4294967295EEENS1_25partition_config_selectorILNS1_17partition_subalgoE3EjNS0_10empty_typeEbEEZZNS1_14partition_implILS8_3ELb0ES6_jNS0_17counting_iteratorIjlEEPS9_SE_NS0_5tupleIJPjSE_EEENSF_IJSE_SE_EEES9_SG_JZNS1_25segmented_radix_sort_implINS0_14default_configELb1EPKaPaPKlPlN2at6native12_GLOBAL__N_18offset_tEEE10hipError_tPvRmT1_PNSt15iterator_traitsISY_E10value_typeET2_T3_PNSZ_IS14_E10value_typeET4_jRbjT5_S1A_jjP12ihipStream_tbEUljE_EEESV_SW_SX_S14_S18_S1A_T6_T7_T9_mT8_S1C_bDpT10_ENKUlT_T0_E_clISt17integral_constantIbLb1EES1P_EEDaS1K_S1L_EUlS1K_E_NS1_11comp_targetILNS1_3genE4ELNS1_11target_archE910ELNS1_3gpuE8ELNS1_3repE0EEENS1_30default_config_static_selectorELNS0_4arch9wavefront6targetE0EEEvSY_.uses_flat_scratch, 0
	.set _ZN7rocprim17ROCPRIM_400000_NS6detail17trampoline_kernelINS0_13select_configILj256ELj13ELNS0_17block_load_methodE3ELS4_3ELS4_3ELNS0_20block_scan_algorithmE0ELj4294967295EEENS1_25partition_config_selectorILNS1_17partition_subalgoE3EjNS0_10empty_typeEbEEZZNS1_14partition_implILS8_3ELb0ES6_jNS0_17counting_iteratorIjlEEPS9_SE_NS0_5tupleIJPjSE_EEENSF_IJSE_SE_EEES9_SG_JZNS1_25segmented_radix_sort_implINS0_14default_configELb1EPKaPaPKlPlN2at6native12_GLOBAL__N_18offset_tEEE10hipError_tPvRmT1_PNSt15iterator_traitsISY_E10value_typeET2_T3_PNSZ_IS14_E10value_typeET4_jRbjT5_S1A_jjP12ihipStream_tbEUljE_EEESV_SW_SX_S14_S18_S1A_T6_T7_T9_mT8_S1C_bDpT10_ENKUlT_T0_E_clISt17integral_constantIbLb1EES1P_EEDaS1K_S1L_EUlS1K_E_NS1_11comp_targetILNS1_3genE4ELNS1_11target_archE910ELNS1_3gpuE8ELNS1_3repE0EEENS1_30default_config_static_selectorELNS0_4arch9wavefront6targetE0EEEvSY_.has_dyn_sized_stack, 0
	.set _ZN7rocprim17ROCPRIM_400000_NS6detail17trampoline_kernelINS0_13select_configILj256ELj13ELNS0_17block_load_methodE3ELS4_3ELS4_3ELNS0_20block_scan_algorithmE0ELj4294967295EEENS1_25partition_config_selectorILNS1_17partition_subalgoE3EjNS0_10empty_typeEbEEZZNS1_14partition_implILS8_3ELb0ES6_jNS0_17counting_iteratorIjlEEPS9_SE_NS0_5tupleIJPjSE_EEENSF_IJSE_SE_EEES9_SG_JZNS1_25segmented_radix_sort_implINS0_14default_configELb1EPKaPaPKlPlN2at6native12_GLOBAL__N_18offset_tEEE10hipError_tPvRmT1_PNSt15iterator_traitsISY_E10value_typeET2_T3_PNSZ_IS14_E10value_typeET4_jRbjT5_S1A_jjP12ihipStream_tbEUljE_EEESV_SW_SX_S14_S18_S1A_T6_T7_T9_mT8_S1C_bDpT10_ENKUlT_T0_E_clISt17integral_constantIbLb1EES1P_EEDaS1K_S1L_EUlS1K_E_NS1_11comp_targetILNS1_3genE4ELNS1_11target_archE910ELNS1_3gpuE8ELNS1_3repE0EEENS1_30default_config_static_selectorELNS0_4arch9wavefront6targetE0EEEvSY_.has_recursion, 0
	.set _ZN7rocprim17ROCPRIM_400000_NS6detail17trampoline_kernelINS0_13select_configILj256ELj13ELNS0_17block_load_methodE3ELS4_3ELS4_3ELNS0_20block_scan_algorithmE0ELj4294967295EEENS1_25partition_config_selectorILNS1_17partition_subalgoE3EjNS0_10empty_typeEbEEZZNS1_14partition_implILS8_3ELb0ES6_jNS0_17counting_iteratorIjlEEPS9_SE_NS0_5tupleIJPjSE_EEENSF_IJSE_SE_EEES9_SG_JZNS1_25segmented_radix_sort_implINS0_14default_configELb1EPKaPaPKlPlN2at6native12_GLOBAL__N_18offset_tEEE10hipError_tPvRmT1_PNSt15iterator_traitsISY_E10value_typeET2_T3_PNSZ_IS14_E10value_typeET4_jRbjT5_S1A_jjP12ihipStream_tbEUljE_EEESV_SW_SX_S14_S18_S1A_T6_T7_T9_mT8_S1C_bDpT10_ENKUlT_T0_E_clISt17integral_constantIbLb1EES1P_EEDaS1K_S1L_EUlS1K_E_NS1_11comp_targetILNS1_3genE4ELNS1_11target_archE910ELNS1_3gpuE8ELNS1_3repE0EEENS1_30default_config_static_selectorELNS0_4arch9wavefront6targetE0EEEvSY_.has_indirect_call, 0
	.section	.AMDGPU.csdata,"",@progbits
; Kernel info:
; codeLenInByte = 0
; TotalNumSgprs: 0
; NumVgprs: 0
; ScratchSize: 0
; MemoryBound: 0
; FloatMode: 240
; IeeeMode: 1
; LDSByteSize: 0 bytes/workgroup (compile time only)
; SGPRBlocks: 0
; VGPRBlocks: 0
; NumSGPRsForWavesPerEU: 1
; NumVGPRsForWavesPerEU: 1
; Occupancy: 16
; WaveLimiterHint : 0
; COMPUTE_PGM_RSRC2:SCRATCH_EN: 0
; COMPUTE_PGM_RSRC2:USER_SGPR: 6
; COMPUTE_PGM_RSRC2:TRAP_HANDLER: 0
; COMPUTE_PGM_RSRC2:TGID_X_EN: 1
; COMPUTE_PGM_RSRC2:TGID_Y_EN: 0
; COMPUTE_PGM_RSRC2:TGID_Z_EN: 0
; COMPUTE_PGM_RSRC2:TIDIG_COMP_CNT: 0
	.section	.text._ZN7rocprim17ROCPRIM_400000_NS6detail17trampoline_kernelINS0_13select_configILj256ELj13ELNS0_17block_load_methodE3ELS4_3ELS4_3ELNS0_20block_scan_algorithmE0ELj4294967295EEENS1_25partition_config_selectorILNS1_17partition_subalgoE3EjNS0_10empty_typeEbEEZZNS1_14partition_implILS8_3ELb0ES6_jNS0_17counting_iteratorIjlEEPS9_SE_NS0_5tupleIJPjSE_EEENSF_IJSE_SE_EEES9_SG_JZNS1_25segmented_radix_sort_implINS0_14default_configELb1EPKaPaPKlPlN2at6native12_GLOBAL__N_18offset_tEEE10hipError_tPvRmT1_PNSt15iterator_traitsISY_E10value_typeET2_T3_PNSZ_IS14_E10value_typeET4_jRbjT5_S1A_jjP12ihipStream_tbEUljE_EEESV_SW_SX_S14_S18_S1A_T6_T7_T9_mT8_S1C_bDpT10_ENKUlT_T0_E_clISt17integral_constantIbLb1EES1P_EEDaS1K_S1L_EUlS1K_E_NS1_11comp_targetILNS1_3genE3ELNS1_11target_archE908ELNS1_3gpuE7ELNS1_3repE0EEENS1_30default_config_static_selectorELNS0_4arch9wavefront6targetE0EEEvSY_,"axG",@progbits,_ZN7rocprim17ROCPRIM_400000_NS6detail17trampoline_kernelINS0_13select_configILj256ELj13ELNS0_17block_load_methodE3ELS4_3ELS4_3ELNS0_20block_scan_algorithmE0ELj4294967295EEENS1_25partition_config_selectorILNS1_17partition_subalgoE3EjNS0_10empty_typeEbEEZZNS1_14partition_implILS8_3ELb0ES6_jNS0_17counting_iteratorIjlEEPS9_SE_NS0_5tupleIJPjSE_EEENSF_IJSE_SE_EEES9_SG_JZNS1_25segmented_radix_sort_implINS0_14default_configELb1EPKaPaPKlPlN2at6native12_GLOBAL__N_18offset_tEEE10hipError_tPvRmT1_PNSt15iterator_traitsISY_E10value_typeET2_T3_PNSZ_IS14_E10value_typeET4_jRbjT5_S1A_jjP12ihipStream_tbEUljE_EEESV_SW_SX_S14_S18_S1A_T6_T7_T9_mT8_S1C_bDpT10_ENKUlT_T0_E_clISt17integral_constantIbLb1EES1P_EEDaS1K_S1L_EUlS1K_E_NS1_11comp_targetILNS1_3genE3ELNS1_11target_archE908ELNS1_3gpuE7ELNS1_3repE0EEENS1_30default_config_static_selectorELNS0_4arch9wavefront6targetE0EEEvSY_,comdat
	.globl	_ZN7rocprim17ROCPRIM_400000_NS6detail17trampoline_kernelINS0_13select_configILj256ELj13ELNS0_17block_load_methodE3ELS4_3ELS4_3ELNS0_20block_scan_algorithmE0ELj4294967295EEENS1_25partition_config_selectorILNS1_17partition_subalgoE3EjNS0_10empty_typeEbEEZZNS1_14partition_implILS8_3ELb0ES6_jNS0_17counting_iteratorIjlEEPS9_SE_NS0_5tupleIJPjSE_EEENSF_IJSE_SE_EEES9_SG_JZNS1_25segmented_radix_sort_implINS0_14default_configELb1EPKaPaPKlPlN2at6native12_GLOBAL__N_18offset_tEEE10hipError_tPvRmT1_PNSt15iterator_traitsISY_E10value_typeET2_T3_PNSZ_IS14_E10value_typeET4_jRbjT5_S1A_jjP12ihipStream_tbEUljE_EEESV_SW_SX_S14_S18_S1A_T6_T7_T9_mT8_S1C_bDpT10_ENKUlT_T0_E_clISt17integral_constantIbLb1EES1P_EEDaS1K_S1L_EUlS1K_E_NS1_11comp_targetILNS1_3genE3ELNS1_11target_archE908ELNS1_3gpuE7ELNS1_3repE0EEENS1_30default_config_static_selectorELNS0_4arch9wavefront6targetE0EEEvSY_ ; -- Begin function _ZN7rocprim17ROCPRIM_400000_NS6detail17trampoline_kernelINS0_13select_configILj256ELj13ELNS0_17block_load_methodE3ELS4_3ELS4_3ELNS0_20block_scan_algorithmE0ELj4294967295EEENS1_25partition_config_selectorILNS1_17partition_subalgoE3EjNS0_10empty_typeEbEEZZNS1_14partition_implILS8_3ELb0ES6_jNS0_17counting_iteratorIjlEEPS9_SE_NS0_5tupleIJPjSE_EEENSF_IJSE_SE_EEES9_SG_JZNS1_25segmented_radix_sort_implINS0_14default_configELb1EPKaPaPKlPlN2at6native12_GLOBAL__N_18offset_tEEE10hipError_tPvRmT1_PNSt15iterator_traitsISY_E10value_typeET2_T3_PNSZ_IS14_E10value_typeET4_jRbjT5_S1A_jjP12ihipStream_tbEUljE_EEESV_SW_SX_S14_S18_S1A_T6_T7_T9_mT8_S1C_bDpT10_ENKUlT_T0_E_clISt17integral_constantIbLb1EES1P_EEDaS1K_S1L_EUlS1K_E_NS1_11comp_targetILNS1_3genE3ELNS1_11target_archE908ELNS1_3gpuE7ELNS1_3repE0EEENS1_30default_config_static_selectorELNS0_4arch9wavefront6targetE0EEEvSY_
	.p2align	8
	.type	_ZN7rocprim17ROCPRIM_400000_NS6detail17trampoline_kernelINS0_13select_configILj256ELj13ELNS0_17block_load_methodE3ELS4_3ELS4_3ELNS0_20block_scan_algorithmE0ELj4294967295EEENS1_25partition_config_selectorILNS1_17partition_subalgoE3EjNS0_10empty_typeEbEEZZNS1_14partition_implILS8_3ELb0ES6_jNS0_17counting_iteratorIjlEEPS9_SE_NS0_5tupleIJPjSE_EEENSF_IJSE_SE_EEES9_SG_JZNS1_25segmented_radix_sort_implINS0_14default_configELb1EPKaPaPKlPlN2at6native12_GLOBAL__N_18offset_tEEE10hipError_tPvRmT1_PNSt15iterator_traitsISY_E10value_typeET2_T3_PNSZ_IS14_E10value_typeET4_jRbjT5_S1A_jjP12ihipStream_tbEUljE_EEESV_SW_SX_S14_S18_S1A_T6_T7_T9_mT8_S1C_bDpT10_ENKUlT_T0_E_clISt17integral_constantIbLb1EES1P_EEDaS1K_S1L_EUlS1K_E_NS1_11comp_targetILNS1_3genE3ELNS1_11target_archE908ELNS1_3gpuE7ELNS1_3repE0EEENS1_30default_config_static_selectorELNS0_4arch9wavefront6targetE0EEEvSY_,@function
_ZN7rocprim17ROCPRIM_400000_NS6detail17trampoline_kernelINS0_13select_configILj256ELj13ELNS0_17block_load_methodE3ELS4_3ELS4_3ELNS0_20block_scan_algorithmE0ELj4294967295EEENS1_25partition_config_selectorILNS1_17partition_subalgoE3EjNS0_10empty_typeEbEEZZNS1_14partition_implILS8_3ELb0ES6_jNS0_17counting_iteratorIjlEEPS9_SE_NS0_5tupleIJPjSE_EEENSF_IJSE_SE_EEES9_SG_JZNS1_25segmented_radix_sort_implINS0_14default_configELb1EPKaPaPKlPlN2at6native12_GLOBAL__N_18offset_tEEE10hipError_tPvRmT1_PNSt15iterator_traitsISY_E10value_typeET2_T3_PNSZ_IS14_E10value_typeET4_jRbjT5_S1A_jjP12ihipStream_tbEUljE_EEESV_SW_SX_S14_S18_S1A_T6_T7_T9_mT8_S1C_bDpT10_ENKUlT_T0_E_clISt17integral_constantIbLb1EES1P_EEDaS1K_S1L_EUlS1K_E_NS1_11comp_targetILNS1_3genE3ELNS1_11target_archE908ELNS1_3gpuE7ELNS1_3repE0EEENS1_30default_config_static_selectorELNS0_4arch9wavefront6targetE0EEEvSY_: ; @_ZN7rocprim17ROCPRIM_400000_NS6detail17trampoline_kernelINS0_13select_configILj256ELj13ELNS0_17block_load_methodE3ELS4_3ELS4_3ELNS0_20block_scan_algorithmE0ELj4294967295EEENS1_25partition_config_selectorILNS1_17partition_subalgoE3EjNS0_10empty_typeEbEEZZNS1_14partition_implILS8_3ELb0ES6_jNS0_17counting_iteratorIjlEEPS9_SE_NS0_5tupleIJPjSE_EEENSF_IJSE_SE_EEES9_SG_JZNS1_25segmented_radix_sort_implINS0_14default_configELb1EPKaPaPKlPlN2at6native12_GLOBAL__N_18offset_tEEE10hipError_tPvRmT1_PNSt15iterator_traitsISY_E10value_typeET2_T3_PNSZ_IS14_E10value_typeET4_jRbjT5_S1A_jjP12ihipStream_tbEUljE_EEESV_SW_SX_S14_S18_S1A_T6_T7_T9_mT8_S1C_bDpT10_ENKUlT_T0_E_clISt17integral_constantIbLb1EES1P_EEDaS1K_S1L_EUlS1K_E_NS1_11comp_targetILNS1_3genE3ELNS1_11target_archE908ELNS1_3gpuE7ELNS1_3repE0EEENS1_30default_config_static_selectorELNS0_4arch9wavefront6targetE0EEEvSY_
; %bb.0:
	.section	.rodata,"a",@progbits
	.p2align	6, 0x0
	.amdhsa_kernel _ZN7rocprim17ROCPRIM_400000_NS6detail17trampoline_kernelINS0_13select_configILj256ELj13ELNS0_17block_load_methodE3ELS4_3ELS4_3ELNS0_20block_scan_algorithmE0ELj4294967295EEENS1_25partition_config_selectorILNS1_17partition_subalgoE3EjNS0_10empty_typeEbEEZZNS1_14partition_implILS8_3ELb0ES6_jNS0_17counting_iteratorIjlEEPS9_SE_NS0_5tupleIJPjSE_EEENSF_IJSE_SE_EEES9_SG_JZNS1_25segmented_radix_sort_implINS0_14default_configELb1EPKaPaPKlPlN2at6native12_GLOBAL__N_18offset_tEEE10hipError_tPvRmT1_PNSt15iterator_traitsISY_E10value_typeET2_T3_PNSZ_IS14_E10value_typeET4_jRbjT5_S1A_jjP12ihipStream_tbEUljE_EEESV_SW_SX_S14_S18_S1A_T6_T7_T9_mT8_S1C_bDpT10_ENKUlT_T0_E_clISt17integral_constantIbLb1EES1P_EEDaS1K_S1L_EUlS1K_E_NS1_11comp_targetILNS1_3genE3ELNS1_11target_archE908ELNS1_3gpuE7ELNS1_3repE0EEENS1_30default_config_static_selectorELNS0_4arch9wavefront6targetE0EEEvSY_
		.amdhsa_group_segment_fixed_size 0
		.amdhsa_private_segment_fixed_size 0
		.amdhsa_kernarg_size 152
		.amdhsa_user_sgpr_count 6
		.amdhsa_user_sgpr_private_segment_buffer 1
		.amdhsa_user_sgpr_dispatch_ptr 0
		.amdhsa_user_sgpr_queue_ptr 0
		.amdhsa_user_sgpr_kernarg_segment_ptr 1
		.amdhsa_user_sgpr_dispatch_id 0
		.amdhsa_user_sgpr_flat_scratch_init 0
		.amdhsa_user_sgpr_private_segment_size 0
		.amdhsa_wavefront_size32 1
		.amdhsa_uses_dynamic_stack 0
		.amdhsa_system_sgpr_private_segment_wavefront_offset 0
		.amdhsa_system_sgpr_workgroup_id_x 1
		.amdhsa_system_sgpr_workgroup_id_y 0
		.amdhsa_system_sgpr_workgroup_id_z 0
		.amdhsa_system_sgpr_workgroup_info 0
		.amdhsa_system_vgpr_workitem_id 0
		.amdhsa_next_free_vgpr 1
		.amdhsa_next_free_sgpr 1
		.amdhsa_reserve_vcc 0
		.amdhsa_reserve_flat_scratch 0
		.amdhsa_float_round_mode_32 0
		.amdhsa_float_round_mode_16_64 0
		.amdhsa_float_denorm_mode_32 3
		.amdhsa_float_denorm_mode_16_64 3
		.amdhsa_dx10_clamp 1
		.amdhsa_ieee_mode 1
		.amdhsa_fp16_overflow 0
		.amdhsa_workgroup_processor_mode 1
		.amdhsa_memory_ordered 1
		.amdhsa_forward_progress 1
		.amdhsa_shared_vgpr_count 0
		.amdhsa_exception_fp_ieee_invalid_op 0
		.amdhsa_exception_fp_denorm_src 0
		.amdhsa_exception_fp_ieee_div_zero 0
		.amdhsa_exception_fp_ieee_overflow 0
		.amdhsa_exception_fp_ieee_underflow 0
		.amdhsa_exception_fp_ieee_inexact 0
		.amdhsa_exception_int_div_zero 0
	.end_amdhsa_kernel
	.section	.text._ZN7rocprim17ROCPRIM_400000_NS6detail17trampoline_kernelINS0_13select_configILj256ELj13ELNS0_17block_load_methodE3ELS4_3ELS4_3ELNS0_20block_scan_algorithmE0ELj4294967295EEENS1_25partition_config_selectorILNS1_17partition_subalgoE3EjNS0_10empty_typeEbEEZZNS1_14partition_implILS8_3ELb0ES6_jNS0_17counting_iteratorIjlEEPS9_SE_NS0_5tupleIJPjSE_EEENSF_IJSE_SE_EEES9_SG_JZNS1_25segmented_radix_sort_implINS0_14default_configELb1EPKaPaPKlPlN2at6native12_GLOBAL__N_18offset_tEEE10hipError_tPvRmT1_PNSt15iterator_traitsISY_E10value_typeET2_T3_PNSZ_IS14_E10value_typeET4_jRbjT5_S1A_jjP12ihipStream_tbEUljE_EEESV_SW_SX_S14_S18_S1A_T6_T7_T9_mT8_S1C_bDpT10_ENKUlT_T0_E_clISt17integral_constantIbLb1EES1P_EEDaS1K_S1L_EUlS1K_E_NS1_11comp_targetILNS1_3genE3ELNS1_11target_archE908ELNS1_3gpuE7ELNS1_3repE0EEENS1_30default_config_static_selectorELNS0_4arch9wavefront6targetE0EEEvSY_,"axG",@progbits,_ZN7rocprim17ROCPRIM_400000_NS6detail17trampoline_kernelINS0_13select_configILj256ELj13ELNS0_17block_load_methodE3ELS4_3ELS4_3ELNS0_20block_scan_algorithmE0ELj4294967295EEENS1_25partition_config_selectorILNS1_17partition_subalgoE3EjNS0_10empty_typeEbEEZZNS1_14partition_implILS8_3ELb0ES6_jNS0_17counting_iteratorIjlEEPS9_SE_NS0_5tupleIJPjSE_EEENSF_IJSE_SE_EEES9_SG_JZNS1_25segmented_radix_sort_implINS0_14default_configELb1EPKaPaPKlPlN2at6native12_GLOBAL__N_18offset_tEEE10hipError_tPvRmT1_PNSt15iterator_traitsISY_E10value_typeET2_T3_PNSZ_IS14_E10value_typeET4_jRbjT5_S1A_jjP12ihipStream_tbEUljE_EEESV_SW_SX_S14_S18_S1A_T6_T7_T9_mT8_S1C_bDpT10_ENKUlT_T0_E_clISt17integral_constantIbLb1EES1P_EEDaS1K_S1L_EUlS1K_E_NS1_11comp_targetILNS1_3genE3ELNS1_11target_archE908ELNS1_3gpuE7ELNS1_3repE0EEENS1_30default_config_static_selectorELNS0_4arch9wavefront6targetE0EEEvSY_,comdat
.Lfunc_end267:
	.size	_ZN7rocprim17ROCPRIM_400000_NS6detail17trampoline_kernelINS0_13select_configILj256ELj13ELNS0_17block_load_methodE3ELS4_3ELS4_3ELNS0_20block_scan_algorithmE0ELj4294967295EEENS1_25partition_config_selectorILNS1_17partition_subalgoE3EjNS0_10empty_typeEbEEZZNS1_14partition_implILS8_3ELb0ES6_jNS0_17counting_iteratorIjlEEPS9_SE_NS0_5tupleIJPjSE_EEENSF_IJSE_SE_EEES9_SG_JZNS1_25segmented_radix_sort_implINS0_14default_configELb1EPKaPaPKlPlN2at6native12_GLOBAL__N_18offset_tEEE10hipError_tPvRmT1_PNSt15iterator_traitsISY_E10value_typeET2_T3_PNSZ_IS14_E10value_typeET4_jRbjT5_S1A_jjP12ihipStream_tbEUljE_EEESV_SW_SX_S14_S18_S1A_T6_T7_T9_mT8_S1C_bDpT10_ENKUlT_T0_E_clISt17integral_constantIbLb1EES1P_EEDaS1K_S1L_EUlS1K_E_NS1_11comp_targetILNS1_3genE3ELNS1_11target_archE908ELNS1_3gpuE7ELNS1_3repE0EEENS1_30default_config_static_selectorELNS0_4arch9wavefront6targetE0EEEvSY_, .Lfunc_end267-_ZN7rocprim17ROCPRIM_400000_NS6detail17trampoline_kernelINS0_13select_configILj256ELj13ELNS0_17block_load_methodE3ELS4_3ELS4_3ELNS0_20block_scan_algorithmE0ELj4294967295EEENS1_25partition_config_selectorILNS1_17partition_subalgoE3EjNS0_10empty_typeEbEEZZNS1_14partition_implILS8_3ELb0ES6_jNS0_17counting_iteratorIjlEEPS9_SE_NS0_5tupleIJPjSE_EEENSF_IJSE_SE_EEES9_SG_JZNS1_25segmented_radix_sort_implINS0_14default_configELb1EPKaPaPKlPlN2at6native12_GLOBAL__N_18offset_tEEE10hipError_tPvRmT1_PNSt15iterator_traitsISY_E10value_typeET2_T3_PNSZ_IS14_E10value_typeET4_jRbjT5_S1A_jjP12ihipStream_tbEUljE_EEESV_SW_SX_S14_S18_S1A_T6_T7_T9_mT8_S1C_bDpT10_ENKUlT_T0_E_clISt17integral_constantIbLb1EES1P_EEDaS1K_S1L_EUlS1K_E_NS1_11comp_targetILNS1_3genE3ELNS1_11target_archE908ELNS1_3gpuE7ELNS1_3repE0EEENS1_30default_config_static_selectorELNS0_4arch9wavefront6targetE0EEEvSY_
                                        ; -- End function
	.set _ZN7rocprim17ROCPRIM_400000_NS6detail17trampoline_kernelINS0_13select_configILj256ELj13ELNS0_17block_load_methodE3ELS4_3ELS4_3ELNS0_20block_scan_algorithmE0ELj4294967295EEENS1_25partition_config_selectorILNS1_17partition_subalgoE3EjNS0_10empty_typeEbEEZZNS1_14partition_implILS8_3ELb0ES6_jNS0_17counting_iteratorIjlEEPS9_SE_NS0_5tupleIJPjSE_EEENSF_IJSE_SE_EEES9_SG_JZNS1_25segmented_radix_sort_implINS0_14default_configELb1EPKaPaPKlPlN2at6native12_GLOBAL__N_18offset_tEEE10hipError_tPvRmT1_PNSt15iterator_traitsISY_E10value_typeET2_T3_PNSZ_IS14_E10value_typeET4_jRbjT5_S1A_jjP12ihipStream_tbEUljE_EEESV_SW_SX_S14_S18_S1A_T6_T7_T9_mT8_S1C_bDpT10_ENKUlT_T0_E_clISt17integral_constantIbLb1EES1P_EEDaS1K_S1L_EUlS1K_E_NS1_11comp_targetILNS1_3genE3ELNS1_11target_archE908ELNS1_3gpuE7ELNS1_3repE0EEENS1_30default_config_static_selectorELNS0_4arch9wavefront6targetE0EEEvSY_.num_vgpr, 0
	.set _ZN7rocprim17ROCPRIM_400000_NS6detail17trampoline_kernelINS0_13select_configILj256ELj13ELNS0_17block_load_methodE3ELS4_3ELS4_3ELNS0_20block_scan_algorithmE0ELj4294967295EEENS1_25partition_config_selectorILNS1_17partition_subalgoE3EjNS0_10empty_typeEbEEZZNS1_14partition_implILS8_3ELb0ES6_jNS0_17counting_iteratorIjlEEPS9_SE_NS0_5tupleIJPjSE_EEENSF_IJSE_SE_EEES9_SG_JZNS1_25segmented_radix_sort_implINS0_14default_configELb1EPKaPaPKlPlN2at6native12_GLOBAL__N_18offset_tEEE10hipError_tPvRmT1_PNSt15iterator_traitsISY_E10value_typeET2_T3_PNSZ_IS14_E10value_typeET4_jRbjT5_S1A_jjP12ihipStream_tbEUljE_EEESV_SW_SX_S14_S18_S1A_T6_T7_T9_mT8_S1C_bDpT10_ENKUlT_T0_E_clISt17integral_constantIbLb1EES1P_EEDaS1K_S1L_EUlS1K_E_NS1_11comp_targetILNS1_3genE3ELNS1_11target_archE908ELNS1_3gpuE7ELNS1_3repE0EEENS1_30default_config_static_selectorELNS0_4arch9wavefront6targetE0EEEvSY_.num_agpr, 0
	.set _ZN7rocprim17ROCPRIM_400000_NS6detail17trampoline_kernelINS0_13select_configILj256ELj13ELNS0_17block_load_methodE3ELS4_3ELS4_3ELNS0_20block_scan_algorithmE0ELj4294967295EEENS1_25partition_config_selectorILNS1_17partition_subalgoE3EjNS0_10empty_typeEbEEZZNS1_14partition_implILS8_3ELb0ES6_jNS0_17counting_iteratorIjlEEPS9_SE_NS0_5tupleIJPjSE_EEENSF_IJSE_SE_EEES9_SG_JZNS1_25segmented_radix_sort_implINS0_14default_configELb1EPKaPaPKlPlN2at6native12_GLOBAL__N_18offset_tEEE10hipError_tPvRmT1_PNSt15iterator_traitsISY_E10value_typeET2_T3_PNSZ_IS14_E10value_typeET4_jRbjT5_S1A_jjP12ihipStream_tbEUljE_EEESV_SW_SX_S14_S18_S1A_T6_T7_T9_mT8_S1C_bDpT10_ENKUlT_T0_E_clISt17integral_constantIbLb1EES1P_EEDaS1K_S1L_EUlS1K_E_NS1_11comp_targetILNS1_3genE3ELNS1_11target_archE908ELNS1_3gpuE7ELNS1_3repE0EEENS1_30default_config_static_selectorELNS0_4arch9wavefront6targetE0EEEvSY_.numbered_sgpr, 0
	.set _ZN7rocprim17ROCPRIM_400000_NS6detail17trampoline_kernelINS0_13select_configILj256ELj13ELNS0_17block_load_methodE3ELS4_3ELS4_3ELNS0_20block_scan_algorithmE0ELj4294967295EEENS1_25partition_config_selectorILNS1_17partition_subalgoE3EjNS0_10empty_typeEbEEZZNS1_14partition_implILS8_3ELb0ES6_jNS0_17counting_iteratorIjlEEPS9_SE_NS0_5tupleIJPjSE_EEENSF_IJSE_SE_EEES9_SG_JZNS1_25segmented_radix_sort_implINS0_14default_configELb1EPKaPaPKlPlN2at6native12_GLOBAL__N_18offset_tEEE10hipError_tPvRmT1_PNSt15iterator_traitsISY_E10value_typeET2_T3_PNSZ_IS14_E10value_typeET4_jRbjT5_S1A_jjP12ihipStream_tbEUljE_EEESV_SW_SX_S14_S18_S1A_T6_T7_T9_mT8_S1C_bDpT10_ENKUlT_T0_E_clISt17integral_constantIbLb1EES1P_EEDaS1K_S1L_EUlS1K_E_NS1_11comp_targetILNS1_3genE3ELNS1_11target_archE908ELNS1_3gpuE7ELNS1_3repE0EEENS1_30default_config_static_selectorELNS0_4arch9wavefront6targetE0EEEvSY_.num_named_barrier, 0
	.set _ZN7rocprim17ROCPRIM_400000_NS6detail17trampoline_kernelINS0_13select_configILj256ELj13ELNS0_17block_load_methodE3ELS4_3ELS4_3ELNS0_20block_scan_algorithmE0ELj4294967295EEENS1_25partition_config_selectorILNS1_17partition_subalgoE3EjNS0_10empty_typeEbEEZZNS1_14partition_implILS8_3ELb0ES6_jNS0_17counting_iteratorIjlEEPS9_SE_NS0_5tupleIJPjSE_EEENSF_IJSE_SE_EEES9_SG_JZNS1_25segmented_radix_sort_implINS0_14default_configELb1EPKaPaPKlPlN2at6native12_GLOBAL__N_18offset_tEEE10hipError_tPvRmT1_PNSt15iterator_traitsISY_E10value_typeET2_T3_PNSZ_IS14_E10value_typeET4_jRbjT5_S1A_jjP12ihipStream_tbEUljE_EEESV_SW_SX_S14_S18_S1A_T6_T7_T9_mT8_S1C_bDpT10_ENKUlT_T0_E_clISt17integral_constantIbLb1EES1P_EEDaS1K_S1L_EUlS1K_E_NS1_11comp_targetILNS1_3genE3ELNS1_11target_archE908ELNS1_3gpuE7ELNS1_3repE0EEENS1_30default_config_static_selectorELNS0_4arch9wavefront6targetE0EEEvSY_.private_seg_size, 0
	.set _ZN7rocprim17ROCPRIM_400000_NS6detail17trampoline_kernelINS0_13select_configILj256ELj13ELNS0_17block_load_methodE3ELS4_3ELS4_3ELNS0_20block_scan_algorithmE0ELj4294967295EEENS1_25partition_config_selectorILNS1_17partition_subalgoE3EjNS0_10empty_typeEbEEZZNS1_14partition_implILS8_3ELb0ES6_jNS0_17counting_iteratorIjlEEPS9_SE_NS0_5tupleIJPjSE_EEENSF_IJSE_SE_EEES9_SG_JZNS1_25segmented_radix_sort_implINS0_14default_configELb1EPKaPaPKlPlN2at6native12_GLOBAL__N_18offset_tEEE10hipError_tPvRmT1_PNSt15iterator_traitsISY_E10value_typeET2_T3_PNSZ_IS14_E10value_typeET4_jRbjT5_S1A_jjP12ihipStream_tbEUljE_EEESV_SW_SX_S14_S18_S1A_T6_T7_T9_mT8_S1C_bDpT10_ENKUlT_T0_E_clISt17integral_constantIbLb1EES1P_EEDaS1K_S1L_EUlS1K_E_NS1_11comp_targetILNS1_3genE3ELNS1_11target_archE908ELNS1_3gpuE7ELNS1_3repE0EEENS1_30default_config_static_selectorELNS0_4arch9wavefront6targetE0EEEvSY_.uses_vcc, 0
	.set _ZN7rocprim17ROCPRIM_400000_NS6detail17trampoline_kernelINS0_13select_configILj256ELj13ELNS0_17block_load_methodE3ELS4_3ELS4_3ELNS0_20block_scan_algorithmE0ELj4294967295EEENS1_25partition_config_selectorILNS1_17partition_subalgoE3EjNS0_10empty_typeEbEEZZNS1_14partition_implILS8_3ELb0ES6_jNS0_17counting_iteratorIjlEEPS9_SE_NS0_5tupleIJPjSE_EEENSF_IJSE_SE_EEES9_SG_JZNS1_25segmented_radix_sort_implINS0_14default_configELb1EPKaPaPKlPlN2at6native12_GLOBAL__N_18offset_tEEE10hipError_tPvRmT1_PNSt15iterator_traitsISY_E10value_typeET2_T3_PNSZ_IS14_E10value_typeET4_jRbjT5_S1A_jjP12ihipStream_tbEUljE_EEESV_SW_SX_S14_S18_S1A_T6_T7_T9_mT8_S1C_bDpT10_ENKUlT_T0_E_clISt17integral_constantIbLb1EES1P_EEDaS1K_S1L_EUlS1K_E_NS1_11comp_targetILNS1_3genE3ELNS1_11target_archE908ELNS1_3gpuE7ELNS1_3repE0EEENS1_30default_config_static_selectorELNS0_4arch9wavefront6targetE0EEEvSY_.uses_flat_scratch, 0
	.set _ZN7rocprim17ROCPRIM_400000_NS6detail17trampoline_kernelINS0_13select_configILj256ELj13ELNS0_17block_load_methodE3ELS4_3ELS4_3ELNS0_20block_scan_algorithmE0ELj4294967295EEENS1_25partition_config_selectorILNS1_17partition_subalgoE3EjNS0_10empty_typeEbEEZZNS1_14partition_implILS8_3ELb0ES6_jNS0_17counting_iteratorIjlEEPS9_SE_NS0_5tupleIJPjSE_EEENSF_IJSE_SE_EEES9_SG_JZNS1_25segmented_radix_sort_implINS0_14default_configELb1EPKaPaPKlPlN2at6native12_GLOBAL__N_18offset_tEEE10hipError_tPvRmT1_PNSt15iterator_traitsISY_E10value_typeET2_T3_PNSZ_IS14_E10value_typeET4_jRbjT5_S1A_jjP12ihipStream_tbEUljE_EEESV_SW_SX_S14_S18_S1A_T6_T7_T9_mT8_S1C_bDpT10_ENKUlT_T0_E_clISt17integral_constantIbLb1EES1P_EEDaS1K_S1L_EUlS1K_E_NS1_11comp_targetILNS1_3genE3ELNS1_11target_archE908ELNS1_3gpuE7ELNS1_3repE0EEENS1_30default_config_static_selectorELNS0_4arch9wavefront6targetE0EEEvSY_.has_dyn_sized_stack, 0
	.set _ZN7rocprim17ROCPRIM_400000_NS6detail17trampoline_kernelINS0_13select_configILj256ELj13ELNS0_17block_load_methodE3ELS4_3ELS4_3ELNS0_20block_scan_algorithmE0ELj4294967295EEENS1_25partition_config_selectorILNS1_17partition_subalgoE3EjNS0_10empty_typeEbEEZZNS1_14partition_implILS8_3ELb0ES6_jNS0_17counting_iteratorIjlEEPS9_SE_NS0_5tupleIJPjSE_EEENSF_IJSE_SE_EEES9_SG_JZNS1_25segmented_radix_sort_implINS0_14default_configELb1EPKaPaPKlPlN2at6native12_GLOBAL__N_18offset_tEEE10hipError_tPvRmT1_PNSt15iterator_traitsISY_E10value_typeET2_T3_PNSZ_IS14_E10value_typeET4_jRbjT5_S1A_jjP12ihipStream_tbEUljE_EEESV_SW_SX_S14_S18_S1A_T6_T7_T9_mT8_S1C_bDpT10_ENKUlT_T0_E_clISt17integral_constantIbLb1EES1P_EEDaS1K_S1L_EUlS1K_E_NS1_11comp_targetILNS1_3genE3ELNS1_11target_archE908ELNS1_3gpuE7ELNS1_3repE0EEENS1_30default_config_static_selectorELNS0_4arch9wavefront6targetE0EEEvSY_.has_recursion, 0
	.set _ZN7rocprim17ROCPRIM_400000_NS6detail17trampoline_kernelINS0_13select_configILj256ELj13ELNS0_17block_load_methodE3ELS4_3ELS4_3ELNS0_20block_scan_algorithmE0ELj4294967295EEENS1_25partition_config_selectorILNS1_17partition_subalgoE3EjNS0_10empty_typeEbEEZZNS1_14partition_implILS8_3ELb0ES6_jNS0_17counting_iteratorIjlEEPS9_SE_NS0_5tupleIJPjSE_EEENSF_IJSE_SE_EEES9_SG_JZNS1_25segmented_radix_sort_implINS0_14default_configELb1EPKaPaPKlPlN2at6native12_GLOBAL__N_18offset_tEEE10hipError_tPvRmT1_PNSt15iterator_traitsISY_E10value_typeET2_T3_PNSZ_IS14_E10value_typeET4_jRbjT5_S1A_jjP12ihipStream_tbEUljE_EEESV_SW_SX_S14_S18_S1A_T6_T7_T9_mT8_S1C_bDpT10_ENKUlT_T0_E_clISt17integral_constantIbLb1EES1P_EEDaS1K_S1L_EUlS1K_E_NS1_11comp_targetILNS1_3genE3ELNS1_11target_archE908ELNS1_3gpuE7ELNS1_3repE0EEENS1_30default_config_static_selectorELNS0_4arch9wavefront6targetE0EEEvSY_.has_indirect_call, 0
	.section	.AMDGPU.csdata,"",@progbits
; Kernel info:
; codeLenInByte = 0
; TotalNumSgprs: 0
; NumVgprs: 0
; ScratchSize: 0
; MemoryBound: 0
; FloatMode: 240
; IeeeMode: 1
; LDSByteSize: 0 bytes/workgroup (compile time only)
; SGPRBlocks: 0
; VGPRBlocks: 0
; NumSGPRsForWavesPerEU: 1
; NumVGPRsForWavesPerEU: 1
; Occupancy: 16
; WaveLimiterHint : 0
; COMPUTE_PGM_RSRC2:SCRATCH_EN: 0
; COMPUTE_PGM_RSRC2:USER_SGPR: 6
; COMPUTE_PGM_RSRC2:TRAP_HANDLER: 0
; COMPUTE_PGM_RSRC2:TGID_X_EN: 1
; COMPUTE_PGM_RSRC2:TGID_Y_EN: 0
; COMPUTE_PGM_RSRC2:TGID_Z_EN: 0
; COMPUTE_PGM_RSRC2:TIDIG_COMP_CNT: 0
	.section	.text._ZN7rocprim17ROCPRIM_400000_NS6detail17trampoline_kernelINS0_13select_configILj256ELj13ELNS0_17block_load_methodE3ELS4_3ELS4_3ELNS0_20block_scan_algorithmE0ELj4294967295EEENS1_25partition_config_selectorILNS1_17partition_subalgoE3EjNS0_10empty_typeEbEEZZNS1_14partition_implILS8_3ELb0ES6_jNS0_17counting_iteratorIjlEEPS9_SE_NS0_5tupleIJPjSE_EEENSF_IJSE_SE_EEES9_SG_JZNS1_25segmented_radix_sort_implINS0_14default_configELb1EPKaPaPKlPlN2at6native12_GLOBAL__N_18offset_tEEE10hipError_tPvRmT1_PNSt15iterator_traitsISY_E10value_typeET2_T3_PNSZ_IS14_E10value_typeET4_jRbjT5_S1A_jjP12ihipStream_tbEUljE_EEESV_SW_SX_S14_S18_S1A_T6_T7_T9_mT8_S1C_bDpT10_ENKUlT_T0_E_clISt17integral_constantIbLb1EES1P_EEDaS1K_S1L_EUlS1K_E_NS1_11comp_targetILNS1_3genE2ELNS1_11target_archE906ELNS1_3gpuE6ELNS1_3repE0EEENS1_30default_config_static_selectorELNS0_4arch9wavefront6targetE0EEEvSY_,"axG",@progbits,_ZN7rocprim17ROCPRIM_400000_NS6detail17trampoline_kernelINS0_13select_configILj256ELj13ELNS0_17block_load_methodE3ELS4_3ELS4_3ELNS0_20block_scan_algorithmE0ELj4294967295EEENS1_25partition_config_selectorILNS1_17partition_subalgoE3EjNS0_10empty_typeEbEEZZNS1_14partition_implILS8_3ELb0ES6_jNS0_17counting_iteratorIjlEEPS9_SE_NS0_5tupleIJPjSE_EEENSF_IJSE_SE_EEES9_SG_JZNS1_25segmented_radix_sort_implINS0_14default_configELb1EPKaPaPKlPlN2at6native12_GLOBAL__N_18offset_tEEE10hipError_tPvRmT1_PNSt15iterator_traitsISY_E10value_typeET2_T3_PNSZ_IS14_E10value_typeET4_jRbjT5_S1A_jjP12ihipStream_tbEUljE_EEESV_SW_SX_S14_S18_S1A_T6_T7_T9_mT8_S1C_bDpT10_ENKUlT_T0_E_clISt17integral_constantIbLb1EES1P_EEDaS1K_S1L_EUlS1K_E_NS1_11comp_targetILNS1_3genE2ELNS1_11target_archE906ELNS1_3gpuE6ELNS1_3repE0EEENS1_30default_config_static_selectorELNS0_4arch9wavefront6targetE0EEEvSY_,comdat
	.globl	_ZN7rocprim17ROCPRIM_400000_NS6detail17trampoline_kernelINS0_13select_configILj256ELj13ELNS0_17block_load_methodE3ELS4_3ELS4_3ELNS0_20block_scan_algorithmE0ELj4294967295EEENS1_25partition_config_selectorILNS1_17partition_subalgoE3EjNS0_10empty_typeEbEEZZNS1_14partition_implILS8_3ELb0ES6_jNS0_17counting_iteratorIjlEEPS9_SE_NS0_5tupleIJPjSE_EEENSF_IJSE_SE_EEES9_SG_JZNS1_25segmented_radix_sort_implINS0_14default_configELb1EPKaPaPKlPlN2at6native12_GLOBAL__N_18offset_tEEE10hipError_tPvRmT1_PNSt15iterator_traitsISY_E10value_typeET2_T3_PNSZ_IS14_E10value_typeET4_jRbjT5_S1A_jjP12ihipStream_tbEUljE_EEESV_SW_SX_S14_S18_S1A_T6_T7_T9_mT8_S1C_bDpT10_ENKUlT_T0_E_clISt17integral_constantIbLb1EES1P_EEDaS1K_S1L_EUlS1K_E_NS1_11comp_targetILNS1_3genE2ELNS1_11target_archE906ELNS1_3gpuE6ELNS1_3repE0EEENS1_30default_config_static_selectorELNS0_4arch9wavefront6targetE0EEEvSY_ ; -- Begin function _ZN7rocprim17ROCPRIM_400000_NS6detail17trampoline_kernelINS0_13select_configILj256ELj13ELNS0_17block_load_methodE3ELS4_3ELS4_3ELNS0_20block_scan_algorithmE0ELj4294967295EEENS1_25partition_config_selectorILNS1_17partition_subalgoE3EjNS0_10empty_typeEbEEZZNS1_14partition_implILS8_3ELb0ES6_jNS0_17counting_iteratorIjlEEPS9_SE_NS0_5tupleIJPjSE_EEENSF_IJSE_SE_EEES9_SG_JZNS1_25segmented_radix_sort_implINS0_14default_configELb1EPKaPaPKlPlN2at6native12_GLOBAL__N_18offset_tEEE10hipError_tPvRmT1_PNSt15iterator_traitsISY_E10value_typeET2_T3_PNSZ_IS14_E10value_typeET4_jRbjT5_S1A_jjP12ihipStream_tbEUljE_EEESV_SW_SX_S14_S18_S1A_T6_T7_T9_mT8_S1C_bDpT10_ENKUlT_T0_E_clISt17integral_constantIbLb1EES1P_EEDaS1K_S1L_EUlS1K_E_NS1_11comp_targetILNS1_3genE2ELNS1_11target_archE906ELNS1_3gpuE6ELNS1_3repE0EEENS1_30default_config_static_selectorELNS0_4arch9wavefront6targetE0EEEvSY_
	.p2align	8
	.type	_ZN7rocprim17ROCPRIM_400000_NS6detail17trampoline_kernelINS0_13select_configILj256ELj13ELNS0_17block_load_methodE3ELS4_3ELS4_3ELNS0_20block_scan_algorithmE0ELj4294967295EEENS1_25partition_config_selectorILNS1_17partition_subalgoE3EjNS0_10empty_typeEbEEZZNS1_14partition_implILS8_3ELb0ES6_jNS0_17counting_iteratorIjlEEPS9_SE_NS0_5tupleIJPjSE_EEENSF_IJSE_SE_EEES9_SG_JZNS1_25segmented_radix_sort_implINS0_14default_configELb1EPKaPaPKlPlN2at6native12_GLOBAL__N_18offset_tEEE10hipError_tPvRmT1_PNSt15iterator_traitsISY_E10value_typeET2_T3_PNSZ_IS14_E10value_typeET4_jRbjT5_S1A_jjP12ihipStream_tbEUljE_EEESV_SW_SX_S14_S18_S1A_T6_T7_T9_mT8_S1C_bDpT10_ENKUlT_T0_E_clISt17integral_constantIbLb1EES1P_EEDaS1K_S1L_EUlS1K_E_NS1_11comp_targetILNS1_3genE2ELNS1_11target_archE906ELNS1_3gpuE6ELNS1_3repE0EEENS1_30default_config_static_selectorELNS0_4arch9wavefront6targetE0EEEvSY_,@function
_ZN7rocprim17ROCPRIM_400000_NS6detail17trampoline_kernelINS0_13select_configILj256ELj13ELNS0_17block_load_methodE3ELS4_3ELS4_3ELNS0_20block_scan_algorithmE0ELj4294967295EEENS1_25partition_config_selectorILNS1_17partition_subalgoE3EjNS0_10empty_typeEbEEZZNS1_14partition_implILS8_3ELb0ES6_jNS0_17counting_iteratorIjlEEPS9_SE_NS0_5tupleIJPjSE_EEENSF_IJSE_SE_EEES9_SG_JZNS1_25segmented_radix_sort_implINS0_14default_configELb1EPKaPaPKlPlN2at6native12_GLOBAL__N_18offset_tEEE10hipError_tPvRmT1_PNSt15iterator_traitsISY_E10value_typeET2_T3_PNSZ_IS14_E10value_typeET4_jRbjT5_S1A_jjP12ihipStream_tbEUljE_EEESV_SW_SX_S14_S18_S1A_T6_T7_T9_mT8_S1C_bDpT10_ENKUlT_T0_E_clISt17integral_constantIbLb1EES1P_EEDaS1K_S1L_EUlS1K_E_NS1_11comp_targetILNS1_3genE2ELNS1_11target_archE906ELNS1_3gpuE6ELNS1_3repE0EEENS1_30default_config_static_selectorELNS0_4arch9wavefront6targetE0EEEvSY_: ; @_ZN7rocprim17ROCPRIM_400000_NS6detail17trampoline_kernelINS0_13select_configILj256ELj13ELNS0_17block_load_methodE3ELS4_3ELS4_3ELNS0_20block_scan_algorithmE0ELj4294967295EEENS1_25partition_config_selectorILNS1_17partition_subalgoE3EjNS0_10empty_typeEbEEZZNS1_14partition_implILS8_3ELb0ES6_jNS0_17counting_iteratorIjlEEPS9_SE_NS0_5tupleIJPjSE_EEENSF_IJSE_SE_EEES9_SG_JZNS1_25segmented_radix_sort_implINS0_14default_configELb1EPKaPaPKlPlN2at6native12_GLOBAL__N_18offset_tEEE10hipError_tPvRmT1_PNSt15iterator_traitsISY_E10value_typeET2_T3_PNSZ_IS14_E10value_typeET4_jRbjT5_S1A_jjP12ihipStream_tbEUljE_EEESV_SW_SX_S14_S18_S1A_T6_T7_T9_mT8_S1C_bDpT10_ENKUlT_T0_E_clISt17integral_constantIbLb1EES1P_EEDaS1K_S1L_EUlS1K_E_NS1_11comp_targetILNS1_3genE2ELNS1_11target_archE906ELNS1_3gpuE6ELNS1_3repE0EEENS1_30default_config_static_selectorELNS0_4arch9wavefront6targetE0EEEvSY_
; %bb.0:
	.section	.rodata,"a",@progbits
	.p2align	6, 0x0
	.amdhsa_kernel _ZN7rocprim17ROCPRIM_400000_NS6detail17trampoline_kernelINS0_13select_configILj256ELj13ELNS0_17block_load_methodE3ELS4_3ELS4_3ELNS0_20block_scan_algorithmE0ELj4294967295EEENS1_25partition_config_selectorILNS1_17partition_subalgoE3EjNS0_10empty_typeEbEEZZNS1_14partition_implILS8_3ELb0ES6_jNS0_17counting_iteratorIjlEEPS9_SE_NS0_5tupleIJPjSE_EEENSF_IJSE_SE_EEES9_SG_JZNS1_25segmented_radix_sort_implINS0_14default_configELb1EPKaPaPKlPlN2at6native12_GLOBAL__N_18offset_tEEE10hipError_tPvRmT1_PNSt15iterator_traitsISY_E10value_typeET2_T3_PNSZ_IS14_E10value_typeET4_jRbjT5_S1A_jjP12ihipStream_tbEUljE_EEESV_SW_SX_S14_S18_S1A_T6_T7_T9_mT8_S1C_bDpT10_ENKUlT_T0_E_clISt17integral_constantIbLb1EES1P_EEDaS1K_S1L_EUlS1K_E_NS1_11comp_targetILNS1_3genE2ELNS1_11target_archE906ELNS1_3gpuE6ELNS1_3repE0EEENS1_30default_config_static_selectorELNS0_4arch9wavefront6targetE0EEEvSY_
		.amdhsa_group_segment_fixed_size 0
		.amdhsa_private_segment_fixed_size 0
		.amdhsa_kernarg_size 152
		.amdhsa_user_sgpr_count 6
		.amdhsa_user_sgpr_private_segment_buffer 1
		.amdhsa_user_sgpr_dispatch_ptr 0
		.amdhsa_user_sgpr_queue_ptr 0
		.amdhsa_user_sgpr_kernarg_segment_ptr 1
		.amdhsa_user_sgpr_dispatch_id 0
		.amdhsa_user_sgpr_flat_scratch_init 0
		.amdhsa_user_sgpr_private_segment_size 0
		.amdhsa_wavefront_size32 1
		.amdhsa_uses_dynamic_stack 0
		.amdhsa_system_sgpr_private_segment_wavefront_offset 0
		.amdhsa_system_sgpr_workgroup_id_x 1
		.amdhsa_system_sgpr_workgroup_id_y 0
		.amdhsa_system_sgpr_workgroup_id_z 0
		.amdhsa_system_sgpr_workgroup_info 0
		.amdhsa_system_vgpr_workitem_id 0
		.amdhsa_next_free_vgpr 1
		.amdhsa_next_free_sgpr 1
		.amdhsa_reserve_vcc 0
		.amdhsa_reserve_flat_scratch 0
		.amdhsa_float_round_mode_32 0
		.amdhsa_float_round_mode_16_64 0
		.amdhsa_float_denorm_mode_32 3
		.amdhsa_float_denorm_mode_16_64 3
		.amdhsa_dx10_clamp 1
		.amdhsa_ieee_mode 1
		.amdhsa_fp16_overflow 0
		.amdhsa_workgroup_processor_mode 1
		.amdhsa_memory_ordered 1
		.amdhsa_forward_progress 1
		.amdhsa_shared_vgpr_count 0
		.amdhsa_exception_fp_ieee_invalid_op 0
		.amdhsa_exception_fp_denorm_src 0
		.amdhsa_exception_fp_ieee_div_zero 0
		.amdhsa_exception_fp_ieee_overflow 0
		.amdhsa_exception_fp_ieee_underflow 0
		.amdhsa_exception_fp_ieee_inexact 0
		.amdhsa_exception_int_div_zero 0
	.end_amdhsa_kernel
	.section	.text._ZN7rocprim17ROCPRIM_400000_NS6detail17trampoline_kernelINS0_13select_configILj256ELj13ELNS0_17block_load_methodE3ELS4_3ELS4_3ELNS0_20block_scan_algorithmE0ELj4294967295EEENS1_25partition_config_selectorILNS1_17partition_subalgoE3EjNS0_10empty_typeEbEEZZNS1_14partition_implILS8_3ELb0ES6_jNS0_17counting_iteratorIjlEEPS9_SE_NS0_5tupleIJPjSE_EEENSF_IJSE_SE_EEES9_SG_JZNS1_25segmented_radix_sort_implINS0_14default_configELb1EPKaPaPKlPlN2at6native12_GLOBAL__N_18offset_tEEE10hipError_tPvRmT1_PNSt15iterator_traitsISY_E10value_typeET2_T3_PNSZ_IS14_E10value_typeET4_jRbjT5_S1A_jjP12ihipStream_tbEUljE_EEESV_SW_SX_S14_S18_S1A_T6_T7_T9_mT8_S1C_bDpT10_ENKUlT_T0_E_clISt17integral_constantIbLb1EES1P_EEDaS1K_S1L_EUlS1K_E_NS1_11comp_targetILNS1_3genE2ELNS1_11target_archE906ELNS1_3gpuE6ELNS1_3repE0EEENS1_30default_config_static_selectorELNS0_4arch9wavefront6targetE0EEEvSY_,"axG",@progbits,_ZN7rocprim17ROCPRIM_400000_NS6detail17trampoline_kernelINS0_13select_configILj256ELj13ELNS0_17block_load_methodE3ELS4_3ELS4_3ELNS0_20block_scan_algorithmE0ELj4294967295EEENS1_25partition_config_selectorILNS1_17partition_subalgoE3EjNS0_10empty_typeEbEEZZNS1_14partition_implILS8_3ELb0ES6_jNS0_17counting_iteratorIjlEEPS9_SE_NS0_5tupleIJPjSE_EEENSF_IJSE_SE_EEES9_SG_JZNS1_25segmented_radix_sort_implINS0_14default_configELb1EPKaPaPKlPlN2at6native12_GLOBAL__N_18offset_tEEE10hipError_tPvRmT1_PNSt15iterator_traitsISY_E10value_typeET2_T3_PNSZ_IS14_E10value_typeET4_jRbjT5_S1A_jjP12ihipStream_tbEUljE_EEESV_SW_SX_S14_S18_S1A_T6_T7_T9_mT8_S1C_bDpT10_ENKUlT_T0_E_clISt17integral_constantIbLb1EES1P_EEDaS1K_S1L_EUlS1K_E_NS1_11comp_targetILNS1_3genE2ELNS1_11target_archE906ELNS1_3gpuE6ELNS1_3repE0EEENS1_30default_config_static_selectorELNS0_4arch9wavefront6targetE0EEEvSY_,comdat
.Lfunc_end268:
	.size	_ZN7rocprim17ROCPRIM_400000_NS6detail17trampoline_kernelINS0_13select_configILj256ELj13ELNS0_17block_load_methodE3ELS4_3ELS4_3ELNS0_20block_scan_algorithmE0ELj4294967295EEENS1_25partition_config_selectorILNS1_17partition_subalgoE3EjNS0_10empty_typeEbEEZZNS1_14partition_implILS8_3ELb0ES6_jNS0_17counting_iteratorIjlEEPS9_SE_NS0_5tupleIJPjSE_EEENSF_IJSE_SE_EEES9_SG_JZNS1_25segmented_radix_sort_implINS0_14default_configELb1EPKaPaPKlPlN2at6native12_GLOBAL__N_18offset_tEEE10hipError_tPvRmT1_PNSt15iterator_traitsISY_E10value_typeET2_T3_PNSZ_IS14_E10value_typeET4_jRbjT5_S1A_jjP12ihipStream_tbEUljE_EEESV_SW_SX_S14_S18_S1A_T6_T7_T9_mT8_S1C_bDpT10_ENKUlT_T0_E_clISt17integral_constantIbLb1EES1P_EEDaS1K_S1L_EUlS1K_E_NS1_11comp_targetILNS1_3genE2ELNS1_11target_archE906ELNS1_3gpuE6ELNS1_3repE0EEENS1_30default_config_static_selectorELNS0_4arch9wavefront6targetE0EEEvSY_, .Lfunc_end268-_ZN7rocprim17ROCPRIM_400000_NS6detail17trampoline_kernelINS0_13select_configILj256ELj13ELNS0_17block_load_methodE3ELS4_3ELS4_3ELNS0_20block_scan_algorithmE0ELj4294967295EEENS1_25partition_config_selectorILNS1_17partition_subalgoE3EjNS0_10empty_typeEbEEZZNS1_14partition_implILS8_3ELb0ES6_jNS0_17counting_iteratorIjlEEPS9_SE_NS0_5tupleIJPjSE_EEENSF_IJSE_SE_EEES9_SG_JZNS1_25segmented_radix_sort_implINS0_14default_configELb1EPKaPaPKlPlN2at6native12_GLOBAL__N_18offset_tEEE10hipError_tPvRmT1_PNSt15iterator_traitsISY_E10value_typeET2_T3_PNSZ_IS14_E10value_typeET4_jRbjT5_S1A_jjP12ihipStream_tbEUljE_EEESV_SW_SX_S14_S18_S1A_T6_T7_T9_mT8_S1C_bDpT10_ENKUlT_T0_E_clISt17integral_constantIbLb1EES1P_EEDaS1K_S1L_EUlS1K_E_NS1_11comp_targetILNS1_3genE2ELNS1_11target_archE906ELNS1_3gpuE6ELNS1_3repE0EEENS1_30default_config_static_selectorELNS0_4arch9wavefront6targetE0EEEvSY_
                                        ; -- End function
	.set _ZN7rocprim17ROCPRIM_400000_NS6detail17trampoline_kernelINS0_13select_configILj256ELj13ELNS0_17block_load_methodE3ELS4_3ELS4_3ELNS0_20block_scan_algorithmE0ELj4294967295EEENS1_25partition_config_selectorILNS1_17partition_subalgoE3EjNS0_10empty_typeEbEEZZNS1_14partition_implILS8_3ELb0ES6_jNS0_17counting_iteratorIjlEEPS9_SE_NS0_5tupleIJPjSE_EEENSF_IJSE_SE_EEES9_SG_JZNS1_25segmented_radix_sort_implINS0_14default_configELb1EPKaPaPKlPlN2at6native12_GLOBAL__N_18offset_tEEE10hipError_tPvRmT1_PNSt15iterator_traitsISY_E10value_typeET2_T3_PNSZ_IS14_E10value_typeET4_jRbjT5_S1A_jjP12ihipStream_tbEUljE_EEESV_SW_SX_S14_S18_S1A_T6_T7_T9_mT8_S1C_bDpT10_ENKUlT_T0_E_clISt17integral_constantIbLb1EES1P_EEDaS1K_S1L_EUlS1K_E_NS1_11comp_targetILNS1_3genE2ELNS1_11target_archE906ELNS1_3gpuE6ELNS1_3repE0EEENS1_30default_config_static_selectorELNS0_4arch9wavefront6targetE0EEEvSY_.num_vgpr, 0
	.set _ZN7rocprim17ROCPRIM_400000_NS6detail17trampoline_kernelINS0_13select_configILj256ELj13ELNS0_17block_load_methodE3ELS4_3ELS4_3ELNS0_20block_scan_algorithmE0ELj4294967295EEENS1_25partition_config_selectorILNS1_17partition_subalgoE3EjNS0_10empty_typeEbEEZZNS1_14partition_implILS8_3ELb0ES6_jNS0_17counting_iteratorIjlEEPS9_SE_NS0_5tupleIJPjSE_EEENSF_IJSE_SE_EEES9_SG_JZNS1_25segmented_radix_sort_implINS0_14default_configELb1EPKaPaPKlPlN2at6native12_GLOBAL__N_18offset_tEEE10hipError_tPvRmT1_PNSt15iterator_traitsISY_E10value_typeET2_T3_PNSZ_IS14_E10value_typeET4_jRbjT5_S1A_jjP12ihipStream_tbEUljE_EEESV_SW_SX_S14_S18_S1A_T6_T7_T9_mT8_S1C_bDpT10_ENKUlT_T0_E_clISt17integral_constantIbLb1EES1P_EEDaS1K_S1L_EUlS1K_E_NS1_11comp_targetILNS1_3genE2ELNS1_11target_archE906ELNS1_3gpuE6ELNS1_3repE0EEENS1_30default_config_static_selectorELNS0_4arch9wavefront6targetE0EEEvSY_.num_agpr, 0
	.set _ZN7rocprim17ROCPRIM_400000_NS6detail17trampoline_kernelINS0_13select_configILj256ELj13ELNS0_17block_load_methodE3ELS4_3ELS4_3ELNS0_20block_scan_algorithmE0ELj4294967295EEENS1_25partition_config_selectorILNS1_17partition_subalgoE3EjNS0_10empty_typeEbEEZZNS1_14partition_implILS8_3ELb0ES6_jNS0_17counting_iteratorIjlEEPS9_SE_NS0_5tupleIJPjSE_EEENSF_IJSE_SE_EEES9_SG_JZNS1_25segmented_radix_sort_implINS0_14default_configELb1EPKaPaPKlPlN2at6native12_GLOBAL__N_18offset_tEEE10hipError_tPvRmT1_PNSt15iterator_traitsISY_E10value_typeET2_T3_PNSZ_IS14_E10value_typeET4_jRbjT5_S1A_jjP12ihipStream_tbEUljE_EEESV_SW_SX_S14_S18_S1A_T6_T7_T9_mT8_S1C_bDpT10_ENKUlT_T0_E_clISt17integral_constantIbLb1EES1P_EEDaS1K_S1L_EUlS1K_E_NS1_11comp_targetILNS1_3genE2ELNS1_11target_archE906ELNS1_3gpuE6ELNS1_3repE0EEENS1_30default_config_static_selectorELNS0_4arch9wavefront6targetE0EEEvSY_.numbered_sgpr, 0
	.set _ZN7rocprim17ROCPRIM_400000_NS6detail17trampoline_kernelINS0_13select_configILj256ELj13ELNS0_17block_load_methodE3ELS4_3ELS4_3ELNS0_20block_scan_algorithmE0ELj4294967295EEENS1_25partition_config_selectorILNS1_17partition_subalgoE3EjNS0_10empty_typeEbEEZZNS1_14partition_implILS8_3ELb0ES6_jNS0_17counting_iteratorIjlEEPS9_SE_NS0_5tupleIJPjSE_EEENSF_IJSE_SE_EEES9_SG_JZNS1_25segmented_radix_sort_implINS0_14default_configELb1EPKaPaPKlPlN2at6native12_GLOBAL__N_18offset_tEEE10hipError_tPvRmT1_PNSt15iterator_traitsISY_E10value_typeET2_T3_PNSZ_IS14_E10value_typeET4_jRbjT5_S1A_jjP12ihipStream_tbEUljE_EEESV_SW_SX_S14_S18_S1A_T6_T7_T9_mT8_S1C_bDpT10_ENKUlT_T0_E_clISt17integral_constantIbLb1EES1P_EEDaS1K_S1L_EUlS1K_E_NS1_11comp_targetILNS1_3genE2ELNS1_11target_archE906ELNS1_3gpuE6ELNS1_3repE0EEENS1_30default_config_static_selectorELNS0_4arch9wavefront6targetE0EEEvSY_.num_named_barrier, 0
	.set _ZN7rocprim17ROCPRIM_400000_NS6detail17trampoline_kernelINS0_13select_configILj256ELj13ELNS0_17block_load_methodE3ELS4_3ELS4_3ELNS0_20block_scan_algorithmE0ELj4294967295EEENS1_25partition_config_selectorILNS1_17partition_subalgoE3EjNS0_10empty_typeEbEEZZNS1_14partition_implILS8_3ELb0ES6_jNS0_17counting_iteratorIjlEEPS9_SE_NS0_5tupleIJPjSE_EEENSF_IJSE_SE_EEES9_SG_JZNS1_25segmented_radix_sort_implINS0_14default_configELb1EPKaPaPKlPlN2at6native12_GLOBAL__N_18offset_tEEE10hipError_tPvRmT1_PNSt15iterator_traitsISY_E10value_typeET2_T3_PNSZ_IS14_E10value_typeET4_jRbjT5_S1A_jjP12ihipStream_tbEUljE_EEESV_SW_SX_S14_S18_S1A_T6_T7_T9_mT8_S1C_bDpT10_ENKUlT_T0_E_clISt17integral_constantIbLb1EES1P_EEDaS1K_S1L_EUlS1K_E_NS1_11comp_targetILNS1_3genE2ELNS1_11target_archE906ELNS1_3gpuE6ELNS1_3repE0EEENS1_30default_config_static_selectorELNS0_4arch9wavefront6targetE0EEEvSY_.private_seg_size, 0
	.set _ZN7rocprim17ROCPRIM_400000_NS6detail17trampoline_kernelINS0_13select_configILj256ELj13ELNS0_17block_load_methodE3ELS4_3ELS4_3ELNS0_20block_scan_algorithmE0ELj4294967295EEENS1_25partition_config_selectorILNS1_17partition_subalgoE3EjNS0_10empty_typeEbEEZZNS1_14partition_implILS8_3ELb0ES6_jNS0_17counting_iteratorIjlEEPS9_SE_NS0_5tupleIJPjSE_EEENSF_IJSE_SE_EEES9_SG_JZNS1_25segmented_radix_sort_implINS0_14default_configELb1EPKaPaPKlPlN2at6native12_GLOBAL__N_18offset_tEEE10hipError_tPvRmT1_PNSt15iterator_traitsISY_E10value_typeET2_T3_PNSZ_IS14_E10value_typeET4_jRbjT5_S1A_jjP12ihipStream_tbEUljE_EEESV_SW_SX_S14_S18_S1A_T6_T7_T9_mT8_S1C_bDpT10_ENKUlT_T0_E_clISt17integral_constantIbLb1EES1P_EEDaS1K_S1L_EUlS1K_E_NS1_11comp_targetILNS1_3genE2ELNS1_11target_archE906ELNS1_3gpuE6ELNS1_3repE0EEENS1_30default_config_static_selectorELNS0_4arch9wavefront6targetE0EEEvSY_.uses_vcc, 0
	.set _ZN7rocprim17ROCPRIM_400000_NS6detail17trampoline_kernelINS0_13select_configILj256ELj13ELNS0_17block_load_methodE3ELS4_3ELS4_3ELNS0_20block_scan_algorithmE0ELj4294967295EEENS1_25partition_config_selectorILNS1_17partition_subalgoE3EjNS0_10empty_typeEbEEZZNS1_14partition_implILS8_3ELb0ES6_jNS0_17counting_iteratorIjlEEPS9_SE_NS0_5tupleIJPjSE_EEENSF_IJSE_SE_EEES9_SG_JZNS1_25segmented_radix_sort_implINS0_14default_configELb1EPKaPaPKlPlN2at6native12_GLOBAL__N_18offset_tEEE10hipError_tPvRmT1_PNSt15iterator_traitsISY_E10value_typeET2_T3_PNSZ_IS14_E10value_typeET4_jRbjT5_S1A_jjP12ihipStream_tbEUljE_EEESV_SW_SX_S14_S18_S1A_T6_T7_T9_mT8_S1C_bDpT10_ENKUlT_T0_E_clISt17integral_constantIbLb1EES1P_EEDaS1K_S1L_EUlS1K_E_NS1_11comp_targetILNS1_3genE2ELNS1_11target_archE906ELNS1_3gpuE6ELNS1_3repE0EEENS1_30default_config_static_selectorELNS0_4arch9wavefront6targetE0EEEvSY_.uses_flat_scratch, 0
	.set _ZN7rocprim17ROCPRIM_400000_NS6detail17trampoline_kernelINS0_13select_configILj256ELj13ELNS0_17block_load_methodE3ELS4_3ELS4_3ELNS0_20block_scan_algorithmE0ELj4294967295EEENS1_25partition_config_selectorILNS1_17partition_subalgoE3EjNS0_10empty_typeEbEEZZNS1_14partition_implILS8_3ELb0ES6_jNS0_17counting_iteratorIjlEEPS9_SE_NS0_5tupleIJPjSE_EEENSF_IJSE_SE_EEES9_SG_JZNS1_25segmented_radix_sort_implINS0_14default_configELb1EPKaPaPKlPlN2at6native12_GLOBAL__N_18offset_tEEE10hipError_tPvRmT1_PNSt15iterator_traitsISY_E10value_typeET2_T3_PNSZ_IS14_E10value_typeET4_jRbjT5_S1A_jjP12ihipStream_tbEUljE_EEESV_SW_SX_S14_S18_S1A_T6_T7_T9_mT8_S1C_bDpT10_ENKUlT_T0_E_clISt17integral_constantIbLb1EES1P_EEDaS1K_S1L_EUlS1K_E_NS1_11comp_targetILNS1_3genE2ELNS1_11target_archE906ELNS1_3gpuE6ELNS1_3repE0EEENS1_30default_config_static_selectorELNS0_4arch9wavefront6targetE0EEEvSY_.has_dyn_sized_stack, 0
	.set _ZN7rocprim17ROCPRIM_400000_NS6detail17trampoline_kernelINS0_13select_configILj256ELj13ELNS0_17block_load_methodE3ELS4_3ELS4_3ELNS0_20block_scan_algorithmE0ELj4294967295EEENS1_25partition_config_selectorILNS1_17partition_subalgoE3EjNS0_10empty_typeEbEEZZNS1_14partition_implILS8_3ELb0ES6_jNS0_17counting_iteratorIjlEEPS9_SE_NS0_5tupleIJPjSE_EEENSF_IJSE_SE_EEES9_SG_JZNS1_25segmented_radix_sort_implINS0_14default_configELb1EPKaPaPKlPlN2at6native12_GLOBAL__N_18offset_tEEE10hipError_tPvRmT1_PNSt15iterator_traitsISY_E10value_typeET2_T3_PNSZ_IS14_E10value_typeET4_jRbjT5_S1A_jjP12ihipStream_tbEUljE_EEESV_SW_SX_S14_S18_S1A_T6_T7_T9_mT8_S1C_bDpT10_ENKUlT_T0_E_clISt17integral_constantIbLb1EES1P_EEDaS1K_S1L_EUlS1K_E_NS1_11comp_targetILNS1_3genE2ELNS1_11target_archE906ELNS1_3gpuE6ELNS1_3repE0EEENS1_30default_config_static_selectorELNS0_4arch9wavefront6targetE0EEEvSY_.has_recursion, 0
	.set _ZN7rocprim17ROCPRIM_400000_NS6detail17trampoline_kernelINS0_13select_configILj256ELj13ELNS0_17block_load_methodE3ELS4_3ELS4_3ELNS0_20block_scan_algorithmE0ELj4294967295EEENS1_25partition_config_selectorILNS1_17partition_subalgoE3EjNS0_10empty_typeEbEEZZNS1_14partition_implILS8_3ELb0ES6_jNS0_17counting_iteratorIjlEEPS9_SE_NS0_5tupleIJPjSE_EEENSF_IJSE_SE_EEES9_SG_JZNS1_25segmented_radix_sort_implINS0_14default_configELb1EPKaPaPKlPlN2at6native12_GLOBAL__N_18offset_tEEE10hipError_tPvRmT1_PNSt15iterator_traitsISY_E10value_typeET2_T3_PNSZ_IS14_E10value_typeET4_jRbjT5_S1A_jjP12ihipStream_tbEUljE_EEESV_SW_SX_S14_S18_S1A_T6_T7_T9_mT8_S1C_bDpT10_ENKUlT_T0_E_clISt17integral_constantIbLb1EES1P_EEDaS1K_S1L_EUlS1K_E_NS1_11comp_targetILNS1_3genE2ELNS1_11target_archE906ELNS1_3gpuE6ELNS1_3repE0EEENS1_30default_config_static_selectorELNS0_4arch9wavefront6targetE0EEEvSY_.has_indirect_call, 0
	.section	.AMDGPU.csdata,"",@progbits
; Kernel info:
; codeLenInByte = 0
; TotalNumSgprs: 0
; NumVgprs: 0
; ScratchSize: 0
; MemoryBound: 0
; FloatMode: 240
; IeeeMode: 1
; LDSByteSize: 0 bytes/workgroup (compile time only)
; SGPRBlocks: 0
; VGPRBlocks: 0
; NumSGPRsForWavesPerEU: 1
; NumVGPRsForWavesPerEU: 1
; Occupancy: 16
; WaveLimiterHint : 0
; COMPUTE_PGM_RSRC2:SCRATCH_EN: 0
; COMPUTE_PGM_RSRC2:USER_SGPR: 6
; COMPUTE_PGM_RSRC2:TRAP_HANDLER: 0
; COMPUTE_PGM_RSRC2:TGID_X_EN: 1
; COMPUTE_PGM_RSRC2:TGID_Y_EN: 0
; COMPUTE_PGM_RSRC2:TGID_Z_EN: 0
; COMPUTE_PGM_RSRC2:TIDIG_COMP_CNT: 0
	.section	.text._ZN7rocprim17ROCPRIM_400000_NS6detail17trampoline_kernelINS0_13select_configILj256ELj13ELNS0_17block_load_methodE3ELS4_3ELS4_3ELNS0_20block_scan_algorithmE0ELj4294967295EEENS1_25partition_config_selectorILNS1_17partition_subalgoE3EjNS0_10empty_typeEbEEZZNS1_14partition_implILS8_3ELb0ES6_jNS0_17counting_iteratorIjlEEPS9_SE_NS0_5tupleIJPjSE_EEENSF_IJSE_SE_EEES9_SG_JZNS1_25segmented_radix_sort_implINS0_14default_configELb1EPKaPaPKlPlN2at6native12_GLOBAL__N_18offset_tEEE10hipError_tPvRmT1_PNSt15iterator_traitsISY_E10value_typeET2_T3_PNSZ_IS14_E10value_typeET4_jRbjT5_S1A_jjP12ihipStream_tbEUljE_EEESV_SW_SX_S14_S18_S1A_T6_T7_T9_mT8_S1C_bDpT10_ENKUlT_T0_E_clISt17integral_constantIbLb1EES1P_EEDaS1K_S1L_EUlS1K_E_NS1_11comp_targetILNS1_3genE10ELNS1_11target_archE1200ELNS1_3gpuE4ELNS1_3repE0EEENS1_30default_config_static_selectorELNS0_4arch9wavefront6targetE0EEEvSY_,"axG",@progbits,_ZN7rocprim17ROCPRIM_400000_NS6detail17trampoline_kernelINS0_13select_configILj256ELj13ELNS0_17block_load_methodE3ELS4_3ELS4_3ELNS0_20block_scan_algorithmE0ELj4294967295EEENS1_25partition_config_selectorILNS1_17partition_subalgoE3EjNS0_10empty_typeEbEEZZNS1_14partition_implILS8_3ELb0ES6_jNS0_17counting_iteratorIjlEEPS9_SE_NS0_5tupleIJPjSE_EEENSF_IJSE_SE_EEES9_SG_JZNS1_25segmented_radix_sort_implINS0_14default_configELb1EPKaPaPKlPlN2at6native12_GLOBAL__N_18offset_tEEE10hipError_tPvRmT1_PNSt15iterator_traitsISY_E10value_typeET2_T3_PNSZ_IS14_E10value_typeET4_jRbjT5_S1A_jjP12ihipStream_tbEUljE_EEESV_SW_SX_S14_S18_S1A_T6_T7_T9_mT8_S1C_bDpT10_ENKUlT_T0_E_clISt17integral_constantIbLb1EES1P_EEDaS1K_S1L_EUlS1K_E_NS1_11comp_targetILNS1_3genE10ELNS1_11target_archE1200ELNS1_3gpuE4ELNS1_3repE0EEENS1_30default_config_static_selectorELNS0_4arch9wavefront6targetE0EEEvSY_,comdat
	.globl	_ZN7rocprim17ROCPRIM_400000_NS6detail17trampoline_kernelINS0_13select_configILj256ELj13ELNS0_17block_load_methodE3ELS4_3ELS4_3ELNS0_20block_scan_algorithmE0ELj4294967295EEENS1_25partition_config_selectorILNS1_17partition_subalgoE3EjNS0_10empty_typeEbEEZZNS1_14partition_implILS8_3ELb0ES6_jNS0_17counting_iteratorIjlEEPS9_SE_NS0_5tupleIJPjSE_EEENSF_IJSE_SE_EEES9_SG_JZNS1_25segmented_radix_sort_implINS0_14default_configELb1EPKaPaPKlPlN2at6native12_GLOBAL__N_18offset_tEEE10hipError_tPvRmT1_PNSt15iterator_traitsISY_E10value_typeET2_T3_PNSZ_IS14_E10value_typeET4_jRbjT5_S1A_jjP12ihipStream_tbEUljE_EEESV_SW_SX_S14_S18_S1A_T6_T7_T9_mT8_S1C_bDpT10_ENKUlT_T0_E_clISt17integral_constantIbLb1EES1P_EEDaS1K_S1L_EUlS1K_E_NS1_11comp_targetILNS1_3genE10ELNS1_11target_archE1200ELNS1_3gpuE4ELNS1_3repE0EEENS1_30default_config_static_selectorELNS0_4arch9wavefront6targetE0EEEvSY_ ; -- Begin function _ZN7rocprim17ROCPRIM_400000_NS6detail17trampoline_kernelINS0_13select_configILj256ELj13ELNS0_17block_load_methodE3ELS4_3ELS4_3ELNS0_20block_scan_algorithmE0ELj4294967295EEENS1_25partition_config_selectorILNS1_17partition_subalgoE3EjNS0_10empty_typeEbEEZZNS1_14partition_implILS8_3ELb0ES6_jNS0_17counting_iteratorIjlEEPS9_SE_NS0_5tupleIJPjSE_EEENSF_IJSE_SE_EEES9_SG_JZNS1_25segmented_radix_sort_implINS0_14default_configELb1EPKaPaPKlPlN2at6native12_GLOBAL__N_18offset_tEEE10hipError_tPvRmT1_PNSt15iterator_traitsISY_E10value_typeET2_T3_PNSZ_IS14_E10value_typeET4_jRbjT5_S1A_jjP12ihipStream_tbEUljE_EEESV_SW_SX_S14_S18_S1A_T6_T7_T9_mT8_S1C_bDpT10_ENKUlT_T0_E_clISt17integral_constantIbLb1EES1P_EEDaS1K_S1L_EUlS1K_E_NS1_11comp_targetILNS1_3genE10ELNS1_11target_archE1200ELNS1_3gpuE4ELNS1_3repE0EEENS1_30default_config_static_selectorELNS0_4arch9wavefront6targetE0EEEvSY_
	.p2align	8
	.type	_ZN7rocprim17ROCPRIM_400000_NS6detail17trampoline_kernelINS0_13select_configILj256ELj13ELNS0_17block_load_methodE3ELS4_3ELS4_3ELNS0_20block_scan_algorithmE0ELj4294967295EEENS1_25partition_config_selectorILNS1_17partition_subalgoE3EjNS0_10empty_typeEbEEZZNS1_14partition_implILS8_3ELb0ES6_jNS0_17counting_iteratorIjlEEPS9_SE_NS0_5tupleIJPjSE_EEENSF_IJSE_SE_EEES9_SG_JZNS1_25segmented_radix_sort_implINS0_14default_configELb1EPKaPaPKlPlN2at6native12_GLOBAL__N_18offset_tEEE10hipError_tPvRmT1_PNSt15iterator_traitsISY_E10value_typeET2_T3_PNSZ_IS14_E10value_typeET4_jRbjT5_S1A_jjP12ihipStream_tbEUljE_EEESV_SW_SX_S14_S18_S1A_T6_T7_T9_mT8_S1C_bDpT10_ENKUlT_T0_E_clISt17integral_constantIbLb1EES1P_EEDaS1K_S1L_EUlS1K_E_NS1_11comp_targetILNS1_3genE10ELNS1_11target_archE1200ELNS1_3gpuE4ELNS1_3repE0EEENS1_30default_config_static_selectorELNS0_4arch9wavefront6targetE0EEEvSY_,@function
_ZN7rocprim17ROCPRIM_400000_NS6detail17trampoline_kernelINS0_13select_configILj256ELj13ELNS0_17block_load_methodE3ELS4_3ELS4_3ELNS0_20block_scan_algorithmE0ELj4294967295EEENS1_25partition_config_selectorILNS1_17partition_subalgoE3EjNS0_10empty_typeEbEEZZNS1_14partition_implILS8_3ELb0ES6_jNS0_17counting_iteratorIjlEEPS9_SE_NS0_5tupleIJPjSE_EEENSF_IJSE_SE_EEES9_SG_JZNS1_25segmented_radix_sort_implINS0_14default_configELb1EPKaPaPKlPlN2at6native12_GLOBAL__N_18offset_tEEE10hipError_tPvRmT1_PNSt15iterator_traitsISY_E10value_typeET2_T3_PNSZ_IS14_E10value_typeET4_jRbjT5_S1A_jjP12ihipStream_tbEUljE_EEESV_SW_SX_S14_S18_S1A_T6_T7_T9_mT8_S1C_bDpT10_ENKUlT_T0_E_clISt17integral_constantIbLb1EES1P_EEDaS1K_S1L_EUlS1K_E_NS1_11comp_targetILNS1_3genE10ELNS1_11target_archE1200ELNS1_3gpuE4ELNS1_3repE0EEENS1_30default_config_static_selectorELNS0_4arch9wavefront6targetE0EEEvSY_: ; @_ZN7rocprim17ROCPRIM_400000_NS6detail17trampoline_kernelINS0_13select_configILj256ELj13ELNS0_17block_load_methodE3ELS4_3ELS4_3ELNS0_20block_scan_algorithmE0ELj4294967295EEENS1_25partition_config_selectorILNS1_17partition_subalgoE3EjNS0_10empty_typeEbEEZZNS1_14partition_implILS8_3ELb0ES6_jNS0_17counting_iteratorIjlEEPS9_SE_NS0_5tupleIJPjSE_EEENSF_IJSE_SE_EEES9_SG_JZNS1_25segmented_radix_sort_implINS0_14default_configELb1EPKaPaPKlPlN2at6native12_GLOBAL__N_18offset_tEEE10hipError_tPvRmT1_PNSt15iterator_traitsISY_E10value_typeET2_T3_PNSZ_IS14_E10value_typeET4_jRbjT5_S1A_jjP12ihipStream_tbEUljE_EEESV_SW_SX_S14_S18_S1A_T6_T7_T9_mT8_S1C_bDpT10_ENKUlT_T0_E_clISt17integral_constantIbLb1EES1P_EEDaS1K_S1L_EUlS1K_E_NS1_11comp_targetILNS1_3genE10ELNS1_11target_archE1200ELNS1_3gpuE4ELNS1_3repE0EEENS1_30default_config_static_selectorELNS0_4arch9wavefront6targetE0EEEvSY_
; %bb.0:
	.section	.rodata,"a",@progbits
	.p2align	6, 0x0
	.amdhsa_kernel _ZN7rocprim17ROCPRIM_400000_NS6detail17trampoline_kernelINS0_13select_configILj256ELj13ELNS0_17block_load_methodE3ELS4_3ELS4_3ELNS0_20block_scan_algorithmE0ELj4294967295EEENS1_25partition_config_selectorILNS1_17partition_subalgoE3EjNS0_10empty_typeEbEEZZNS1_14partition_implILS8_3ELb0ES6_jNS0_17counting_iteratorIjlEEPS9_SE_NS0_5tupleIJPjSE_EEENSF_IJSE_SE_EEES9_SG_JZNS1_25segmented_radix_sort_implINS0_14default_configELb1EPKaPaPKlPlN2at6native12_GLOBAL__N_18offset_tEEE10hipError_tPvRmT1_PNSt15iterator_traitsISY_E10value_typeET2_T3_PNSZ_IS14_E10value_typeET4_jRbjT5_S1A_jjP12ihipStream_tbEUljE_EEESV_SW_SX_S14_S18_S1A_T6_T7_T9_mT8_S1C_bDpT10_ENKUlT_T0_E_clISt17integral_constantIbLb1EES1P_EEDaS1K_S1L_EUlS1K_E_NS1_11comp_targetILNS1_3genE10ELNS1_11target_archE1200ELNS1_3gpuE4ELNS1_3repE0EEENS1_30default_config_static_selectorELNS0_4arch9wavefront6targetE0EEEvSY_
		.amdhsa_group_segment_fixed_size 0
		.amdhsa_private_segment_fixed_size 0
		.amdhsa_kernarg_size 152
		.amdhsa_user_sgpr_count 6
		.amdhsa_user_sgpr_private_segment_buffer 1
		.amdhsa_user_sgpr_dispatch_ptr 0
		.amdhsa_user_sgpr_queue_ptr 0
		.amdhsa_user_sgpr_kernarg_segment_ptr 1
		.amdhsa_user_sgpr_dispatch_id 0
		.amdhsa_user_sgpr_flat_scratch_init 0
		.amdhsa_user_sgpr_private_segment_size 0
		.amdhsa_wavefront_size32 1
		.amdhsa_uses_dynamic_stack 0
		.amdhsa_system_sgpr_private_segment_wavefront_offset 0
		.amdhsa_system_sgpr_workgroup_id_x 1
		.amdhsa_system_sgpr_workgroup_id_y 0
		.amdhsa_system_sgpr_workgroup_id_z 0
		.amdhsa_system_sgpr_workgroup_info 0
		.amdhsa_system_vgpr_workitem_id 0
		.amdhsa_next_free_vgpr 1
		.amdhsa_next_free_sgpr 1
		.amdhsa_reserve_vcc 0
		.amdhsa_reserve_flat_scratch 0
		.amdhsa_float_round_mode_32 0
		.amdhsa_float_round_mode_16_64 0
		.amdhsa_float_denorm_mode_32 3
		.amdhsa_float_denorm_mode_16_64 3
		.amdhsa_dx10_clamp 1
		.amdhsa_ieee_mode 1
		.amdhsa_fp16_overflow 0
		.amdhsa_workgroup_processor_mode 1
		.amdhsa_memory_ordered 1
		.amdhsa_forward_progress 1
		.amdhsa_shared_vgpr_count 0
		.amdhsa_exception_fp_ieee_invalid_op 0
		.amdhsa_exception_fp_denorm_src 0
		.amdhsa_exception_fp_ieee_div_zero 0
		.amdhsa_exception_fp_ieee_overflow 0
		.amdhsa_exception_fp_ieee_underflow 0
		.amdhsa_exception_fp_ieee_inexact 0
		.amdhsa_exception_int_div_zero 0
	.end_amdhsa_kernel
	.section	.text._ZN7rocprim17ROCPRIM_400000_NS6detail17trampoline_kernelINS0_13select_configILj256ELj13ELNS0_17block_load_methodE3ELS4_3ELS4_3ELNS0_20block_scan_algorithmE0ELj4294967295EEENS1_25partition_config_selectorILNS1_17partition_subalgoE3EjNS0_10empty_typeEbEEZZNS1_14partition_implILS8_3ELb0ES6_jNS0_17counting_iteratorIjlEEPS9_SE_NS0_5tupleIJPjSE_EEENSF_IJSE_SE_EEES9_SG_JZNS1_25segmented_radix_sort_implINS0_14default_configELb1EPKaPaPKlPlN2at6native12_GLOBAL__N_18offset_tEEE10hipError_tPvRmT1_PNSt15iterator_traitsISY_E10value_typeET2_T3_PNSZ_IS14_E10value_typeET4_jRbjT5_S1A_jjP12ihipStream_tbEUljE_EEESV_SW_SX_S14_S18_S1A_T6_T7_T9_mT8_S1C_bDpT10_ENKUlT_T0_E_clISt17integral_constantIbLb1EES1P_EEDaS1K_S1L_EUlS1K_E_NS1_11comp_targetILNS1_3genE10ELNS1_11target_archE1200ELNS1_3gpuE4ELNS1_3repE0EEENS1_30default_config_static_selectorELNS0_4arch9wavefront6targetE0EEEvSY_,"axG",@progbits,_ZN7rocprim17ROCPRIM_400000_NS6detail17trampoline_kernelINS0_13select_configILj256ELj13ELNS0_17block_load_methodE3ELS4_3ELS4_3ELNS0_20block_scan_algorithmE0ELj4294967295EEENS1_25partition_config_selectorILNS1_17partition_subalgoE3EjNS0_10empty_typeEbEEZZNS1_14partition_implILS8_3ELb0ES6_jNS0_17counting_iteratorIjlEEPS9_SE_NS0_5tupleIJPjSE_EEENSF_IJSE_SE_EEES9_SG_JZNS1_25segmented_radix_sort_implINS0_14default_configELb1EPKaPaPKlPlN2at6native12_GLOBAL__N_18offset_tEEE10hipError_tPvRmT1_PNSt15iterator_traitsISY_E10value_typeET2_T3_PNSZ_IS14_E10value_typeET4_jRbjT5_S1A_jjP12ihipStream_tbEUljE_EEESV_SW_SX_S14_S18_S1A_T6_T7_T9_mT8_S1C_bDpT10_ENKUlT_T0_E_clISt17integral_constantIbLb1EES1P_EEDaS1K_S1L_EUlS1K_E_NS1_11comp_targetILNS1_3genE10ELNS1_11target_archE1200ELNS1_3gpuE4ELNS1_3repE0EEENS1_30default_config_static_selectorELNS0_4arch9wavefront6targetE0EEEvSY_,comdat
.Lfunc_end269:
	.size	_ZN7rocprim17ROCPRIM_400000_NS6detail17trampoline_kernelINS0_13select_configILj256ELj13ELNS0_17block_load_methodE3ELS4_3ELS4_3ELNS0_20block_scan_algorithmE0ELj4294967295EEENS1_25partition_config_selectorILNS1_17partition_subalgoE3EjNS0_10empty_typeEbEEZZNS1_14partition_implILS8_3ELb0ES6_jNS0_17counting_iteratorIjlEEPS9_SE_NS0_5tupleIJPjSE_EEENSF_IJSE_SE_EEES9_SG_JZNS1_25segmented_radix_sort_implINS0_14default_configELb1EPKaPaPKlPlN2at6native12_GLOBAL__N_18offset_tEEE10hipError_tPvRmT1_PNSt15iterator_traitsISY_E10value_typeET2_T3_PNSZ_IS14_E10value_typeET4_jRbjT5_S1A_jjP12ihipStream_tbEUljE_EEESV_SW_SX_S14_S18_S1A_T6_T7_T9_mT8_S1C_bDpT10_ENKUlT_T0_E_clISt17integral_constantIbLb1EES1P_EEDaS1K_S1L_EUlS1K_E_NS1_11comp_targetILNS1_3genE10ELNS1_11target_archE1200ELNS1_3gpuE4ELNS1_3repE0EEENS1_30default_config_static_selectorELNS0_4arch9wavefront6targetE0EEEvSY_, .Lfunc_end269-_ZN7rocprim17ROCPRIM_400000_NS6detail17trampoline_kernelINS0_13select_configILj256ELj13ELNS0_17block_load_methodE3ELS4_3ELS4_3ELNS0_20block_scan_algorithmE0ELj4294967295EEENS1_25partition_config_selectorILNS1_17partition_subalgoE3EjNS0_10empty_typeEbEEZZNS1_14partition_implILS8_3ELb0ES6_jNS0_17counting_iteratorIjlEEPS9_SE_NS0_5tupleIJPjSE_EEENSF_IJSE_SE_EEES9_SG_JZNS1_25segmented_radix_sort_implINS0_14default_configELb1EPKaPaPKlPlN2at6native12_GLOBAL__N_18offset_tEEE10hipError_tPvRmT1_PNSt15iterator_traitsISY_E10value_typeET2_T3_PNSZ_IS14_E10value_typeET4_jRbjT5_S1A_jjP12ihipStream_tbEUljE_EEESV_SW_SX_S14_S18_S1A_T6_T7_T9_mT8_S1C_bDpT10_ENKUlT_T0_E_clISt17integral_constantIbLb1EES1P_EEDaS1K_S1L_EUlS1K_E_NS1_11comp_targetILNS1_3genE10ELNS1_11target_archE1200ELNS1_3gpuE4ELNS1_3repE0EEENS1_30default_config_static_selectorELNS0_4arch9wavefront6targetE0EEEvSY_
                                        ; -- End function
	.set _ZN7rocprim17ROCPRIM_400000_NS6detail17trampoline_kernelINS0_13select_configILj256ELj13ELNS0_17block_load_methodE3ELS4_3ELS4_3ELNS0_20block_scan_algorithmE0ELj4294967295EEENS1_25partition_config_selectorILNS1_17partition_subalgoE3EjNS0_10empty_typeEbEEZZNS1_14partition_implILS8_3ELb0ES6_jNS0_17counting_iteratorIjlEEPS9_SE_NS0_5tupleIJPjSE_EEENSF_IJSE_SE_EEES9_SG_JZNS1_25segmented_radix_sort_implINS0_14default_configELb1EPKaPaPKlPlN2at6native12_GLOBAL__N_18offset_tEEE10hipError_tPvRmT1_PNSt15iterator_traitsISY_E10value_typeET2_T3_PNSZ_IS14_E10value_typeET4_jRbjT5_S1A_jjP12ihipStream_tbEUljE_EEESV_SW_SX_S14_S18_S1A_T6_T7_T9_mT8_S1C_bDpT10_ENKUlT_T0_E_clISt17integral_constantIbLb1EES1P_EEDaS1K_S1L_EUlS1K_E_NS1_11comp_targetILNS1_3genE10ELNS1_11target_archE1200ELNS1_3gpuE4ELNS1_3repE0EEENS1_30default_config_static_selectorELNS0_4arch9wavefront6targetE0EEEvSY_.num_vgpr, 0
	.set _ZN7rocprim17ROCPRIM_400000_NS6detail17trampoline_kernelINS0_13select_configILj256ELj13ELNS0_17block_load_methodE3ELS4_3ELS4_3ELNS0_20block_scan_algorithmE0ELj4294967295EEENS1_25partition_config_selectorILNS1_17partition_subalgoE3EjNS0_10empty_typeEbEEZZNS1_14partition_implILS8_3ELb0ES6_jNS0_17counting_iteratorIjlEEPS9_SE_NS0_5tupleIJPjSE_EEENSF_IJSE_SE_EEES9_SG_JZNS1_25segmented_radix_sort_implINS0_14default_configELb1EPKaPaPKlPlN2at6native12_GLOBAL__N_18offset_tEEE10hipError_tPvRmT1_PNSt15iterator_traitsISY_E10value_typeET2_T3_PNSZ_IS14_E10value_typeET4_jRbjT5_S1A_jjP12ihipStream_tbEUljE_EEESV_SW_SX_S14_S18_S1A_T6_T7_T9_mT8_S1C_bDpT10_ENKUlT_T0_E_clISt17integral_constantIbLb1EES1P_EEDaS1K_S1L_EUlS1K_E_NS1_11comp_targetILNS1_3genE10ELNS1_11target_archE1200ELNS1_3gpuE4ELNS1_3repE0EEENS1_30default_config_static_selectorELNS0_4arch9wavefront6targetE0EEEvSY_.num_agpr, 0
	.set _ZN7rocprim17ROCPRIM_400000_NS6detail17trampoline_kernelINS0_13select_configILj256ELj13ELNS0_17block_load_methodE3ELS4_3ELS4_3ELNS0_20block_scan_algorithmE0ELj4294967295EEENS1_25partition_config_selectorILNS1_17partition_subalgoE3EjNS0_10empty_typeEbEEZZNS1_14partition_implILS8_3ELb0ES6_jNS0_17counting_iteratorIjlEEPS9_SE_NS0_5tupleIJPjSE_EEENSF_IJSE_SE_EEES9_SG_JZNS1_25segmented_radix_sort_implINS0_14default_configELb1EPKaPaPKlPlN2at6native12_GLOBAL__N_18offset_tEEE10hipError_tPvRmT1_PNSt15iterator_traitsISY_E10value_typeET2_T3_PNSZ_IS14_E10value_typeET4_jRbjT5_S1A_jjP12ihipStream_tbEUljE_EEESV_SW_SX_S14_S18_S1A_T6_T7_T9_mT8_S1C_bDpT10_ENKUlT_T0_E_clISt17integral_constantIbLb1EES1P_EEDaS1K_S1L_EUlS1K_E_NS1_11comp_targetILNS1_3genE10ELNS1_11target_archE1200ELNS1_3gpuE4ELNS1_3repE0EEENS1_30default_config_static_selectorELNS0_4arch9wavefront6targetE0EEEvSY_.numbered_sgpr, 0
	.set _ZN7rocprim17ROCPRIM_400000_NS6detail17trampoline_kernelINS0_13select_configILj256ELj13ELNS0_17block_load_methodE3ELS4_3ELS4_3ELNS0_20block_scan_algorithmE0ELj4294967295EEENS1_25partition_config_selectorILNS1_17partition_subalgoE3EjNS0_10empty_typeEbEEZZNS1_14partition_implILS8_3ELb0ES6_jNS0_17counting_iteratorIjlEEPS9_SE_NS0_5tupleIJPjSE_EEENSF_IJSE_SE_EEES9_SG_JZNS1_25segmented_radix_sort_implINS0_14default_configELb1EPKaPaPKlPlN2at6native12_GLOBAL__N_18offset_tEEE10hipError_tPvRmT1_PNSt15iterator_traitsISY_E10value_typeET2_T3_PNSZ_IS14_E10value_typeET4_jRbjT5_S1A_jjP12ihipStream_tbEUljE_EEESV_SW_SX_S14_S18_S1A_T6_T7_T9_mT8_S1C_bDpT10_ENKUlT_T0_E_clISt17integral_constantIbLb1EES1P_EEDaS1K_S1L_EUlS1K_E_NS1_11comp_targetILNS1_3genE10ELNS1_11target_archE1200ELNS1_3gpuE4ELNS1_3repE0EEENS1_30default_config_static_selectorELNS0_4arch9wavefront6targetE0EEEvSY_.num_named_barrier, 0
	.set _ZN7rocprim17ROCPRIM_400000_NS6detail17trampoline_kernelINS0_13select_configILj256ELj13ELNS0_17block_load_methodE3ELS4_3ELS4_3ELNS0_20block_scan_algorithmE0ELj4294967295EEENS1_25partition_config_selectorILNS1_17partition_subalgoE3EjNS0_10empty_typeEbEEZZNS1_14partition_implILS8_3ELb0ES6_jNS0_17counting_iteratorIjlEEPS9_SE_NS0_5tupleIJPjSE_EEENSF_IJSE_SE_EEES9_SG_JZNS1_25segmented_radix_sort_implINS0_14default_configELb1EPKaPaPKlPlN2at6native12_GLOBAL__N_18offset_tEEE10hipError_tPvRmT1_PNSt15iterator_traitsISY_E10value_typeET2_T3_PNSZ_IS14_E10value_typeET4_jRbjT5_S1A_jjP12ihipStream_tbEUljE_EEESV_SW_SX_S14_S18_S1A_T6_T7_T9_mT8_S1C_bDpT10_ENKUlT_T0_E_clISt17integral_constantIbLb1EES1P_EEDaS1K_S1L_EUlS1K_E_NS1_11comp_targetILNS1_3genE10ELNS1_11target_archE1200ELNS1_3gpuE4ELNS1_3repE0EEENS1_30default_config_static_selectorELNS0_4arch9wavefront6targetE0EEEvSY_.private_seg_size, 0
	.set _ZN7rocprim17ROCPRIM_400000_NS6detail17trampoline_kernelINS0_13select_configILj256ELj13ELNS0_17block_load_methodE3ELS4_3ELS4_3ELNS0_20block_scan_algorithmE0ELj4294967295EEENS1_25partition_config_selectorILNS1_17partition_subalgoE3EjNS0_10empty_typeEbEEZZNS1_14partition_implILS8_3ELb0ES6_jNS0_17counting_iteratorIjlEEPS9_SE_NS0_5tupleIJPjSE_EEENSF_IJSE_SE_EEES9_SG_JZNS1_25segmented_radix_sort_implINS0_14default_configELb1EPKaPaPKlPlN2at6native12_GLOBAL__N_18offset_tEEE10hipError_tPvRmT1_PNSt15iterator_traitsISY_E10value_typeET2_T3_PNSZ_IS14_E10value_typeET4_jRbjT5_S1A_jjP12ihipStream_tbEUljE_EEESV_SW_SX_S14_S18_S1A_T6_T7_T9_mT8_S1C_bDpT10_ENKUlT_T0_E_clISt17integral_constantIbLb1EES1P_EEDaS1K_S1L_EUlS1K_E_NS1_11comp_targetILNS1_3genE10ELNS1_11target_archE1200ELNS1_3gpuE4ELNS1_3repE0EEENS1_30default_config_static_selectorELNS0_4arch9wavefront6targetE0EEEvSY_.uses_vcc, 0
	.set _ZN7rocprim17ROCPRIM_400000_NS6detail17trampoline_kernelINS0_13select_configILj256ELj13ELNS0_17block_load_methodE3ELS4_3ELS4_3ELNS0_20block_scan_algorithmE0ELj4294967295EEENS1_25partition_config_selectorILNS1_17partition_subalgoE3EjNS0_10empty_typeEbEEZZNS1_14partition_implILS8_3ELb0ES6_jNS0_17counting_iteratorIjlEEPS9_SE_NS0_5tupleIJPjSE_EEENSF_IJSE_SE_EEES9_SG_JZNS1_25segmented_radix_sort_implINS0_14default_configELb1EPKaPaPKlPlN2at6native12_GLOBAL__N_18offset_tEEE10hipError_tPvRmT1_PNSt15iterator_traitsISY_E10value_typeET2_T3_PNSZ_IS14_E10value_typeET4_jRbjT5_S1A_jjP12ihipStream_tbEUljE_EEESV_SW_SX_S14_S18_S1A_T6_T7_T9_mT8_S1C_bDpT10_ENKUlT_T0_E_clISt17integral_constantIbLb1EES1P_EEDaS1K_S1L_EUlS1K_E_NS1_11comp_targetILNS1_3genE10ELNS1_11target_archE1200ELNS1_3gpuE4ELNS1_3repE0EEENS1_30default_config_static_selectorELNS0_4arch9wavefront6targetE0EEEvSY_.uses_flat_scratch, 0
	.set _ZN7rocprim17ROCPRIM_400000_NS6detail17trampoline_kernelINS0_13select_configILj256ELj13ELNS0_17block_load_methodE3ELS4_3ELS4_3ELNS0_20block_scan_algorithmE0ELj4294967295EEENS1_25partition_config_selectorILNS1_17partition_subalgoE3EjNS0_10empty_typeEbEEZZNS1_14partition_implILS8_3ELb0ES6_jNS0_17counting_iteratorIjlEEPS9_SE_NS0_5tupleIJPjSE_EEENSF_IJSE_SE_EEES9_SG_JZNS1_25segmented_radix_sort_implINS0_14default_configELb1EPKaPaPKlPlN2at6native12_GLOBAL__N_18offset_tEEE10hipError_tPvRmT1_PNSt15iterator_traitsISY_E10value_typeET2_T3_PNSZ_IS14_E10value_typeET4_jRbjT5_S1A_jjP12ihipStream_tbEUljE_EEESV_SW_SX_S14_S18_S1A_T6_T7_T9_mT8_S1C_bDpT10_ENKUlT_T0_E_clISt17integral_constantIbLb1EES1P_EEDaS1K_S1L_EUlS1K_E_NS1_11comp_targetILNS1_3genE10ELNS1_11target_archE1200ELNS1_3gpuE4ELNS1_3repE0EEENS1_30default_config_static_selectorELNS0_4arch9wavefront6targetE0EEEvSY_.has_dyn_sized_stack, 0
	.set _ZN7rocprim17ROCPRIM_400000_NS6detail17trampoline_kernelINS0_13select_configILj256ELj13ELNS0_17block_load_methodE3ELS4_3ELS4_3ELNS0_20block_scan_algorithmE0ELj4294967295EEENS1_25partition_config_selectorILNS1_17partition_subalgoE3EjNS0_10empty_typeEbEEZZNS1_14partition_implILS8_3ELb0ES6_jNS0_17counting_iteratorIjlEEPS9_SE_NS0_5tupleIJPjSE_EEENSF_IJSE_SE_EEES9_SG_JZNS1_25segmented_radix_sort_implINS0_14default_configELb1EPKaPaPKlPlN2at6native12_GLOBAL__N_18offset_tEEE10hipError_tPvRmT1_PNSt15iterator_traitsISY_E10value_typeET2_T3_PNSZ_IS14_E10value_typeET4_jRbjT5_S1A_jjP12ihipStream_tbEUljE_EEESV_SW_SX_S14_S18_S1A_T6_T7_T9_mT8_S1C_bDpT10_ENKUlT_T0_E_clISt17integral_constantIbLb1EES1P_EEDaS1K_S1L_EUlS1K_E_NS1_11comp_targetILNS1_3genE10ELNS1_11target_archE1200ELNS1_3gpuE4ELNS1_3repE0EEENS1_30default_config_static_selectorELNS0_4arch9wavefront6targetE0EEEvSY_.has_recursion, 0
	.set _ZN7rocprim17ROCPRIM_400000_NS6detail17trampoline_kernelINS0_13select_configILj256ELj13ELNS0_17block_load_methodE3ELS4_3ELS4_3ELNS0_20block_scan_algorithmE0ELj4294967295EEENS1_25partition_config_selectorILNS1_17partition_subalgoE3EjNS0_10empty_typeEbEEZZNS1_14partition_implILS8_3ELb0ES6_jNS0_17counting_iteratorIjlEEPS9_SE_NS0_5tupleIJPjSE_EEENSF_IJSE_SE_EEES9_SG_JZNS1_25segmented_radix_sort_implINS0_14default_configELb1EPKaPaPKlPlN2at6native12_GLOBAL__N_18offset_tEEE10hipError_tPvRmT1_PNSt15iterator_traitsISY_E10value_typeET2_T3_PNSZ_IS14_E10value_typeET4_jRbjT5_S1A_jjP12ihipStream_tbEUljE_EEESV_SW_SX_S14_S18_S1A_T6_T7_T9_mT8_S1C_bDpT10_ENKUlT_T0_E_clISt17integral_constantIbLb1EES1P_EEDaS1K_S1L_EUlS1K_E_NS1_11comp_targetILNS1_3genE10ELNS1_11target_archE1200ELNS1_3gpuE4ELNS1_3repE0EEENS1_30default_config_static_selectorELNS0_4arch9wavefront6targetE0EEEvSY_.has_indirect_call, 0
	.section	.AMDGPU.csdata,"",@progbits
; Kernel info:
; codeLenInByte = 0
; TotalNumSgprs: 0
; NumVgprs: 0
; ScratchSize: 0
; MemoryBound: 0
; FloatMode: 240
; IeeeMode: 1
; LDSByteSize: 0 bytes/workgroup (compile time only)
; SGPRBlocks: 0
; VGPRBlocks: 0
; NumSGPRsForWavesPerEU: 1
; NumVGPRsForWavesPerEU: 1
; Occupancy: 16
; WaveLimiterHint : 0
; COMPUTE_PGM_RSRC2:SCRATCH_EN: 0
; COMPUTE_PGM_RSRC2:USER_SGPR: 6
; COMPUTE_PGM_RSRC2:TRAP_HANDLER: 0
; COMPUTE_PGM_RSRC2:TGID_X_EN: 1
; COMPUTE_PGM_RSRC2:TGID_Y_EN: 0
; COMPUTE_PGM_RSRC2:TGID_Z_EN: 0
; COMPUTE_PGM_RSRC2:TIDIG_COMP_CNT: 0
	.section	.text._ZN7rocprim17ROCPRIM_400000_NS6detail17trampoline_kernelINS0_13select_configILj256ELj13ELNS0_17block_load_methodE3ELS4_3ELS4_3ELNS0_20block_scan_algorithmE0ELj4294967295EEENS1_25partition_config_selectorILNS1_17partition_subalgoE3EjNS0_10empty_typeEbEEZZNS1_14partition_implILS8_3ELb0ES6_jNS0_17counting_iteratorIjlEEPS9_SE_NS0_5tupleIJPjSE_EEENSF_IJSE_SE_EEES9_SG_JZNS1_25segmented_radix_sort_implINS0_14default_configELb1EPKaPaPKlPlN2at6native12_GLOBAL__N_18offset_tEEE10hipError_tPvRmT1_PNSt15iterator_traitsISY_E10value_typeET2_T3_PNSZ_IS14_E10value_typeET4_jRbjT5_S1A_jjP12ihipStream_tbEUljE_EEESV_SW_SX_S14_S18_S1A_T6_T7_T9_mT8_S1C_bDpT10_ENKUlT_T0_E_clISt17integral_constantIbLb1EES1P_EEDaS1K_S1L_EUlS1K_E_NS1_11comp_targetILNS1_3genE9ELNS1_11target_archE1100ELNS1_3gpuE3ELNS1_3repE0EEENS1_30default_config_static_selectorELNS0_4arch9wavefront6targetE0EEEvSY_,"axG",@progbits,_ZN7rocprim17ROCPRIM_400000_NS6detail17trampoline_kernelINS0_13select_configILj256ELj13ELNS0_17block_load_methodE3ELS4_3ELS4_3ELNS0_20block_scan_algorithmE0ELj4294967295EEENS1_25partition_config_selectorILNS1_17partition_subalgoE3EjNS0_10empty_typeEbEEZZNS1_14partition_implILS8_3ELb0ES6_jNS0_17counting_iteratorIjlEEPS9_SE_NS0_5tupleIJPjSE_EEENSF_IJSE_SE_EEES9_SG_JZNS1_25segmented_radix_sort_implINS0_14default_configELb1EPKaPaPKlPlN2at6native12_GLOBAL__N_18offset_tEEE10hipError_tPvRmT1_PNSt15iterator_traitsISY_E10value_typeET2_T3_PNSZ_IS14_E10value_typeET4_jRbjT5_S1A_jjP12ihipStream_tbEUljE_EEESV_SW_SX_S14_S18_S1A_T6_T7_T9_mT8_S1C_bDpT10_ENKUlT_T0_E_clISt17integral_constantIbLb1EES1P_EEDaS1K_S1L_EUlS1K_E_NS1_11comp_targetILNS1_3genE9ELNS1_11target_archE1100ELNS1_3gpuE3ELNS1_3repE0EEENS1_30default_config_static_selectorELNS0_4arch9wavefront6targetE0EEEvSY_,comdat
	.globl	_ZN7rocprim17ROCPRIM_400000_NS6detail17trampoline_kernelINS0_13select_configILj256ELj13ELNS0_17block_load_methodE3ELS4_3ELS4_3ELNS0_20block_scan_algorithmE0ELj4294967295EEENS1_25partition_config_selectorILNS1_17partition_subalgoE3EjNS0_10empty_typeEbEEZZNS1_14partition_implILS8_3ELb0ES6_jNS0_17counting_iteratorIjlEEPS9_SE_NS0_5tupleIJPjSE_EEENSF_IJSE_SE_EEES9_SG_JZNS1_25segmented_radix_sort_implINS0_14default_configELb1EPKaPaPKlPlN2at6native12_GLOBAL__N_18offset_tEEE10hipError_tPvRmT1_PNSt15iterator_traitsISY_E10value_typeET2_T3_PNSZ_IS14_E10value_typeET4_jRbjT5_S1A_jjP12ihipStream_tbEUljE_EEESV_SW_SX_S14_S18_S1A_T6_T7_T9_mT8_S1C_bDpT10_ENKUlT_T0_E_clISt17integral_constantIbLb1EES1P_EEDaS1K_S1L_EUlS1K_E_NS1_11comp_targetILNS1_3genE9ELNS1_11target_archE1100ELNS1_3gpuE3ELNS1_3repE0EEENS1_30default_config_static_selectorELNS0_4arch9wavefront6targetE0EEEvSY_ ; -- Begin function _ZN7rocprim17ROCPRIM_400000_NS6detail17trampoline_kernelINS0_13select_configILj256ELj13ELNS0_17block_load_methodE3ELS4_3ELS4_3ELNS0_20block_scan_algorithmE0ELj4294967295EEENS1_25partition_config_selectorILNS1_17partition_subalgoE3EjNS0_10empty_typeEbEEZZNS1_14partition_implILS8_3ELb0ES6_jNS0_17counting_iteratorIjlEEPS9_SE_NS0_5tupleIJPjSE_EEENSF_IJSE_SE_EEES9_SG_JZNS1_25segmented_radix_sort_implINS0_14default_configELb1EPKaPaPKlPlN2at6native12_GLOBAL__N_18offset_tEEE10hipError_tPvRmT1_PNSt15iterator_traitsISY_E10value_typeET2_T3_PNSZ_IS14_E10value_typeET4_jRbjT5_S1A_jjP12ihipStream_tbEUljE_EEESV_SW_SX_S14_S18_S1A_T6_T7_T9_mT8_S1C_bDpT10_ENKUlT_T0_E_clISt17integral_constantIbLb1EES1P_EEDaS1K_S1L_EUlS1K_E_NS1_11comp_targetILNS1_3genE9ELNS1_11target_archE1100ELNS1_3gpuE3ELNS1_3repE0EEENS1_30default_config_static_selectorELNS0_4arch9wavefront6targetE0EEEvSY_
	.p2align	8
	.type	_ZN7rocprim17ROCPRIM_400000_NS6detail17trampoline_kernelINS0_13select_configILj256ELj13ELNS0_17block_load_methodE3ELS4_3ELS4_3ELNS0_20block_scan_algorithmE0ELj4294967295EEENS1_25partition_config_selectorILNS1_17partition_subalgoE3EjNS0_10empty_typeEbEEZZNS1_14partition_implILS8_3ELb0ES6_jNS0_17counting_iteratorIjlEEPS9_SE_NS0_5tupleIJPjSE_EEENSF_IJSE_SE_EEES9_SG_JZNS1_25segmented_radix_sort_implINS0_14default_configELb1EPKaPaPKlPlN2at6native12_GLOBAL__N_18offset_tEEE10hipError_tPvRmT1_PNSt15iterator_traitsISY_E10value_typeET2_T3_PNSZ_IS14_E10value_typeET4_jRbjT5_S1A_jjP12ihipStream_tbEUljE_EEESV_SW_SX_S14_S18_S1A_T6_T7_T9_mT8_S1C_bDpT10_ENKUlT_T0_E_clISt17integral_constantIbLb1EES1P_EEDaS1K_S1L_EUlS1K_E_NS1_11comp_targetILNS1_3genE9ELNS1_11target_archE1100ELNS1_3gpuE3ELNS1_3repE0EEENS1_30default_config_static_selectorELNS0_4arch9wavefront6targetE0EEEvSY_,@function
_ZN7rocprim17ROCPRIM_400000_NS6detail17trampoline_kernelINS0_13select_configILj256ELj13ELNS0_17block_load_methodE3ELS4_3ELS4_3ELNS0_20block_scan_algorithmE0ELj4294967295EEENS1_25partition_config_selectorILNS1_17partition_subalgoE3EjNS0_10empty_typeEbEEZZNS1_14partition_implILS8_3ELb0ES6_jNS0_17counting_iteratorIjlEEPS9_SE_NS0_5tupleIJPjSE_EEENSF_IJSE_SE_EEES9_SG_JZNS1_25segmented_radix_sort_implINS0_14default_configELb1EPKaPaPKlPlN2at6native12_GLOBAL__N_18offset_tEEE10hipError_tPvRmT1_PNSt15iterator_traitsISY_E10value_typeET2_T3_PNSZ_IS14_E10value_typeET4_jRbjT5_S1A_jjP12ihipStream_tbEUljE_EEESV_SW_SX_S14_S18_S1A_T6_T7_T9_mT8_S1C_bDpT10_ENKUlT_T0_E_clISt17integral_constantIbLb1EES1P_EEDaS1K_S1L_EUlS1K_E_NS1_11comp_targetILNS1_3genE9ELNS1_11target_archE1100ELNS1_3gpuE3ELNS1_3repE0EEENS1_30default_config_static_selectorELNS0_4arch9wavefront6targetE0EEEvSY_: ; @_ZN7rocprim17ROCPRIM_400000_NS6detail17trampoline_kernelINS0_13select_configILj256ELj13ELNS0_17block_load_methodE3ELS4_3ELS4_3ELNS0_20block_scan_algorithmE0ELj4294967295EEENS1_25partition_config_selectorILNS1_17partition_subalgoE3EjNS0_10empty_typeEbEEZZNS1_14partition_implILS8_3ELb0ES6_jNS0_17counting_iteratorIjlEEPS9_SE_NS0_5tupleIJPjSE_EEENSF_IJSE_SE_EEES9_SG_JZNS1_25segmented_radix_sort_implINS0_14default_configELb1EPKaPaPKlPlN2at6native12_GLOBAL__N_18offset_tEEE10hipError_tPvRmT1_PNSt15iterator_traitsISY_E10value_typeET2_T3_PNSZ_IS14_E10value_typeET4_jRbjT5_S1A_jjP12ihipStream_tbEUljE_EEESV_SW_SX_S14_S18_S1A_T6_T7_T9_mT8_S1C_bDpT10_ENKUlT_T0_E_clISt17integral_constantIbLb1EES1P_EEDaS1K_S1L_EUlS1K_E_NS1_11comp_targetILNS1_3genE9ELNS1_11target_archE1100ELNS1_3gpuE3ELNS1_3repE0EEENS1_30default_config_static_selectorELNS0_4arch9wavefront6targetE0EEEvSY_
; %bb.0:
	.section	.rodata,"a",@progbits
	.p2align	6, 0x0
	.amdhsa_kernel _ZN7rocprim17ROCPRIM_400000_NS6detail17trampoline_kernelINS0_13select_configILj256ELj13ELNS0_17block_load_methodE3ELS4_3ELS4_3ELNS0_20block_scan_algorithmE0ELj4294967295EEENS1_25partition_config_selectorILNS1_17partition_subalgoE3EjNS0_10empty_typeEbEEZZNS1_14partition_implILS8_3ELb0ES6_jNS0_17counting_iteratorIjlEEPS9_SE_NS0_5tupleIJPjSE_EEENSF_IJSE_SE_EEES9_SG_JZNS1_25segmented_radix_sort_implINS0_14default_configELb1EPKaPaPKlPlN2at6native12_GLOBAL__N_18offset_tEEE10hipError_tPvRmT1_PNSt15iterator_traitsISY_E10value_typeET2_T3_PNSZ_IS14_E10value_typeET4_jRbjT5_S1A_jjP12ihipStream_tbEUljE_EEESV_SW_SX_S14_S18_S1A_T6_T7_T9_mT8_S1C_bDpT10_ENKUlT_T0_E_clISt17integral_constantIbLb1EES1P_EEDaS1K_S1L_EUlS1K_E_NS1_11comp_targetILNS1_3genE9ELNS1_11target_archE1100ELNS1_3gpuE3ELNS1_3repE0EEENS1_30default_config_static_selectorELNS0_4arch9wavefront6targetE0EEEvSY_
		.amdhsa_group_segment_fixed_size 0
		.amdhsa_private_segment_fixed_size 0
		.amdhsa_kernarg_size 152
		.amdhsa_user_sgpr_count 6
		.amdhsa_user_sgpr_private_segment_buffer 1
		.amdhsa_user_sgpr_dispatch_ptr 0
		.amdhsa_user_sgpr_queue_ptr 0
		.amdhsa_user_sgpr_kernarg_segment_ptr 1
		.amdhsa_user_sgpr_dispatch_id 0
		.amdhsa_user_sgpr_flat_scratch_init 0
		.amdhsa_user_sgpr_private_segment_size 0
		.amdhsa_wavefront_size32 1
		.amdhsa_uses_dynamic_stack 0
		.amdhsa_system_sgpr_private_segment_wavefront_offset 0
		.amdhsa_system_sgpr_workgroup_id_x 1
		.amdhsa_system_sgpr_workgroup_id_y 0
		.amdhsa_system_sgpr_workgroup_id_z 0
		.amdhsa_system_sgpr_workgroup_info 0
		.amdhsa_system_vgpr_workitem_id 0
		.amdhsa_next_free_vgpr 1
		.amdhsa_next_free_sgpr 1
		.amdhsa_reserve_vcc 0
		.amdhsa_reserve_flat_scratch 0
		.amdhsa_float_round_mode_32 0
		.amdhsa_float_round_mode_16_64 0
		.amdhsa_float_denorm_mode_32 3
		.amdhsa_float_denorm_mode_16_64 3
		.amdhsa_dx10_clamp 1
		.amdhsa_ieee_mode 1
		.amdhsa_fp16_overflow 0
		.amdhsa_workgroup_processor_mode 1
		.amdhsa_memory_ordered 1
		.amdhsa_forward_progress 1
		.amdhsa_shared_vgpr_count 0
		.amdhsa_exception_fp_ieee_invalid_op 0
		.amdhsa_exception_fp_denorm_src 0
		.amdhsa_exception_fp_ieee_div_zero 0
		.amdhsa_exception_fp_ieee_overflow 0
		.amdhsa_exception_fp_ieee_underflow 0
		.amdhsa_exception_fp_ieee_inexact 0
		.amdhsa_exception_int_div_zero 0
	.end_amdhsa_kernel
	.section	.text._ZN7rocprim17ROCPRIM_400000_NS6detail17trampoline_kernelINS0_13select_configILj256ELj13ELNS0_17block_load_methodE3ELS4_3ELS4_3ELNS0_20block_scan_algorithmE0ELj4294967295EEENS1_25partition_config_selectorILNS1_17partition_subalgoE3EjNS0_10empty_typeEbEEZZNS1_14partition_implILS8_3ELb0ES6_jNS0_17counting_iteratorIjlEEPS9_SE_NS0_5tupleIJPjSE_EEENSF_IJSE_SE_EEES9_SG_JZNS1_25segmented_radix_sort_implINS0_14default_configELb1EPKaPaPKlPlN2at6native12_GLOBAL__N_18offset_tEEE10hipError_tPvRmT1_PNSt15iterator_traitsISY_E10value_typeET2_T3_PNSZ_IS14_E10value_typeET4_jRbjT5_S1A_jjP12ihipStream_tbEUljE_EEESV_SW_SX_S14_S18_S1A_T6_T7_T9_mT8_S1C_bDpT10_ENKUlT_T0_E_clISt17integral_constantIbLb1EES1P_EEDaS1K_S1L_EUlS1K_E_NS1_11comp_targetILNS1_3genE9ELNS1_11target_archE1100ELNS1_3gpuE3ELNS1_3repE0EEENS1_30default_config_static_selectorELNS0_4arch9wavefront6targetE0EEEvSY_,"axG",@progbits,_ZN7rocprim17ROCPRIM_400000_NS6detail17trampoline_kernelINS0_13select_configILj256ELj13ELNS0_17block_load_methodE3ELS4_3ELS4_3ELNS0_20block_scan_algorithmE0ELj4294967295EEENS1_25partition_config_selectorILNS1_17partition_subalgoE3EjNS0_10empty_typeEbEEZZNS1_14partition_implILS8_3ELb0ES6_jNS0_17counting_iteratorIjlEEPS9_SE_NS0_5tupleIJPjSE_EEENSF_IJSE_SE_EEES9_SG_JZNS1_25segmented_radix_sort_implINS0_14default_configELb1EPKaPaPKlPlN2at6native12_GLOBAL__N_18offset_tEEE10hipError_tPvRmT1_PNSt15iterator_traitsISY_E10value_typeET2_T3_PNSZ_IS14_E10value_typeET4_jRbjT5_S1A_jjP12ihipStream_tbEUljE_EEESV_SW_SX_S14_S18_S1A_T6_T7_T9_mT8_S1C_bDpT10_ENKUlT_T0_E_clISt17integral_constantIbLb1EES1P_EEDaS1K_S1L_EUlS1K_E_NS1_11comp_targetILNS1_3genE9ELNS1_11target_archE1100ELNS1_3gpuE3ELNS1_3repE0EEENS1_30default_config_static_selectorELNS0_4arch9wavefront6targetE0EEEvSY_,comdat
.Lfunc_end270:
	.size	_ZN7rocprim17ROCPRIM_400000_NS6detail17trampoline_kernelINS0_13select_configILj256ELj13ELNS0_17block_load_methodE3ELS4_3ELS4_3ELNS0_20block_scan_algorithmE0ELj4294967295EEENS1_25partition_config_selectorILNS1_17partition_subalgoE3EjNS0_10empty_typeEbEEZZNS1_14partition_implILS8_3ELb0ES6_jNS0_17counting_iteratorIjlEEPS9_SE_NS0_5tupleIJPjSE_EEENSF_IJSE_SE_EEES9_SG_JZNS1_25segmented_radix_sort_implINS0_14default_configELb1EPKaPaPKlPlN2at6native12_GLOBAL__N_18offset_tEEE10hipError_tPvRmT1_PNSt15iterator_traitsISY_E10value_typeET2_T3_PNSZ_IS14_E10value_typeET4_jRbjT5_S1A_jjP12ihipStream_tbEUljE_EEESV_SW_SX_S14_S18_S1A_T6_T7_T9_mT8_S1C_bDpT10_ENKUlT_T0_E_clISt17integral_constantIbLb1EES1P_EEDaS1K_S1L_EUlS1K_E_NS1_11comp_targetILNS1_3genE9ELNS1_11target_archE1100ELNS1_3gpuE3ELNS1_3repE0EEENS1_30default_config_static_selectorELNS0_4arch9wavefront6targetE0EEEvSY_, .Lfunc_end270-_ZN7rocprim17ROCPRIM_400000_NS6detail17trampoline_kernelINS0_13select_configILj256ELj13ELNS0_17block_load_methodE3ELS4_3ELS4_3ELNS0_20block_scan_algorithmE0ELj4294967295EEENS1_25partition_config_selectorILNS1_17partition_subalgoE3EjNS0_10empty_typeEbEEZZNS1_14partition_implILS8_3ELb0ES6_jNS0_17counting_iteratorIjlEEPS9_SE_NS0_5tupleIJPjSE_EEENSF_IJSE_SE_EEES9_SG_JZNS1_25segmented_radix_sort_implINS0_14default_configELb1EPKaPaPKlPlN2at6native12_GLOBAL__N_18offset_tEEE10hipError_tPvRmT1_PNSt15iterator_traitsISY_E10value_typeET2_T3_PNSZ_IS14_E10value_typeET4_jRbjT5_S1A_jjP12ihipStream_tbEUljE_EEESV_SW_SX_S14_S18_S1A_T6_T7_T9_mT8_S1C_bDpT10_ENKUlT_T0_E_clISt17integral_constantIbLb1EES1P_EEDaS1K_S1L_EUlS1K_E_NS1_11comp_targetILNS1_3genE9ELNS1_11target_archE1100ELNS1_3gpuE3ELNS1_3repE0EEENS1_30default_config_static_selectorELNS0_4arch9wavefront6targetE0EEEvSY_
                                        ; -- End function
	.set _ZN7rocprim17ROCPRIM_400000_NS6detail17trampoline_kernelINS0_13select_configILj256ELj13ELNS0_17block_load_methodE3ELS4_3ELS4_3ELNS0_20block_scan_algorithmE0ELj4294967295EEENS1_25partition_config_selectorILNS1_17partition_subalgoE3EjNS0_10empty_typeEbEEZZNS1_14partition_implILS8_3ELb0ES6_jNS0_17counting_iteratorIjlEEPS9_SE_NS0_5tupleIJPjSE_EEENSF_IJSE_SE_EEES9_SG_JZNS1_25segmented_radix_sort_implINS0_14default_configELb1EPKaPaPKlPlN2at6native12_GLOBAL__N_18offset_tEEE10hipError_tPvRmT1_PNSt15iterator_traitsISY_E10value_typeET2_T3_PNSZ_IS14_E10value_typeET4_jRbjT5_S1A_jjP12ihipStream_tbEUljE_EEESV_SW_SX_S14_S18_S1A_T6_T7_T9_mT8_S1C_bDpT10_ENKUlT_T0_E_clISt17integral_constantIbLb1EES1P_EEDaS1K_S1L_EUlS1K_E_NS1_11comp_targetILNS1_3genE9ELNS1_11target_archE1100ELNS1_3gpuE3ELNS1_3repE0EEENS1_30default_config_static_selectorELNS0_4arch9wavefront6targetE0EEEvSY_.num_vgpr, 0
	.set _ZN7rocprim17ROCPRIM_400000_NS6detail17trampoline_kernelINS0_13select_configILj256ELj13ELNS0_17block_load_methodE3ELS4_3ELS4_3ELNS0_20block_scan_algorithmE0ELj4294967295EEENS1_25partition_config_selectorILNS1_17partition_subalgoE3EjNS0_10empty_typeEbEEZZNS1_14partition_implILS8_3ELb0ES6_jNS0_17counting_iteratorIjlEEPS9_SE_NS0_5tupleIJPjSE_EEENSF_IJSE_SE_EEES9_SG_JZNS1_25segmented_radix_sort_implINS0_14default_configELb1EPKaPaPKlPlN2at6native12_GLOBAL__N_18offset_tEEE10hipError_tPvRmT1_PNSt15iterator_traitsISY_E10value_typeET2_T3_PNSZ_IS14_E10value_typeET4_jRbjT5_S1A_jjP12ihipStream_tbEUljE_EEESV_SW_SX_S14_S18_S1A_T6_T7_T9_mT8_S1C_bDpT10_ENKUlT_T0_E_clISt17integral_constantIbLb1EES1P_EEDaS1K_S1L_EUlS1K_E_NS1_11comp_targetILNS1_3genE9ELNS1_11target_archE1100ELNS1_3gpuE3ELNS1_3repE0EEENS1_30default_config_static_selectorELNS0_4arch9wavefront6targetE0EEEvSY_.num_agpr, 0
	.set _ZN7rocprim17ROCPRIM_400000_NS6detail17trampoline_kernelINS0_13select_configILj256ELj13ELNS0_17block_load_methodE3ELS4_3ELS4_3ELNS0_20block_scan_algorithmE0ELj4294967295EEENS1_25partition_config_selectorILNS1_17partition_subalgoE3EjNS0_10empty_typeEbEEZZNS1_14partition_implILS8_3ELb0ES6_jNS0_17counting_iteratorIjlEEPS9_SE_NS0_5tupleIJPjSE_EEENSF_IJSE_SE_EEES9_SG_JZNS1_25segmented_radix_sort_implINS0_14default_configELb1EPKaPaPKlPlN2at6native12_GLOBAL__N_18offset_tEEE10hipError_tPvRmT1_PNSt15iterator_traitsISY_E10value_typeET2_T3_PNSZ_IS14_E10value_typeET4_jRbjT5_S1A_jjP12ihipStream_tbEUljE_EEESV_SW_SX_S14_S18_S1A_T6_T7_T9_mT8_S1C_bDpT10_ENKUlT_T0_E_clISt17integral_constantIbLb1EES1P_EEDaS1K_S1L_EUlS1K_E_NS1_11comp_targetILNS1_3genE9ELNS1_11target_archE1100ELNS1_3gpuE3ELNS1_3repE0EEENS1_30default_config_static_selectorELNS0_4arch9wavefront6targetE0EEEvSY_.numbered_sgpr, 0
	.set _ZN7rocprim17ROCPRIM_400000_NS6detail17trampoline_kernelINS0_13select_configILj256ELj13ELNS0_17block_load_methodE3ELS4_3ELS4_3ELNS0_20block_scan_algorithmE0ELj4294967295EEENS1_25partition_config_selectorILNS1_17partition_subalgoE3EjNS0_10empty_typeEbEEZZNS1_14partition_implILS8_3ELb0ES6_jNS0_17counting_iteratorIjlEEPS9_SE_NS0_5tupleIJPjSE_EEENSF_IJSE_SE_EEES9_SG_JZNS1_25segmented_radix_sort_implINS0_14default_configELb1EPKaPaPKlPlN2at6native12_GLOBAL__N_18offset_tEEE10hipError_tPvRmT1_PNSt15iterator_traitsISY_E10value_typeET2_T3_PNSZ_IS14_E10value_typeET4_jRbjT5_S1A_jjP12ihipStream_tbEUljE_EEESV_SW_SX_S14_S18_S1A_T6_T7_T9_mT8_S1C_bDpT10_ENKUlT_T0_E_clISt17integral_constantIbLb1EES1P_EEDaS1K_S1L_EUlS1K_E_NS1_11comp_targetILNS1_3genE9ELNS1_11target_archE1100ELNS1_3gpuE3ELNS1_3repE0EEENS1_30default_config_static_selectorELNS0_4arch9wavefront6targetE0EEEvSY_.num_named_barrier, 0
	.set _ZN7rocprim17ROCPRIM_400000_NS6detail17trampoline_kernelINS0_13select_configILj256ELj13ELNS0_17block_load_methodE3ELS4_3ELS4_3ELNS0_20block_scan_algorithmE0ELj4294967295EEENS1_25partition_config_selectorILNS1_17partition_subalgoE3EjNS0_10empty_typeEbEEZZNS1_14partition_implILS8_3ELb0ES6_jNS0_17counting_iteratorIjlEEPS9_SE_NS0_5tupleIJPjSE_EEENSF_IJSE_SE_EEES9_SG_JZNS1_25segmented_radix_sort_implINS0_14default_configELb1EPKaPaPKlPlN2at6native12_GLOBAL__N_18offset_tEEE10hipError_tPvRmT1_PNSt15iterator_traitsISY_E10value_typeET2_T3_PNSZ_IS14_E10value_typeET4_jRbjT5_S1A_jjP12ihipStream_tbEUljE_EEESV_SW_SX_S14_S18_S1A_T6_T7_T9_mT8_S1C_bDpT10_ENKUlT_T0_E_clISt17integral_constantIbLb1EES1P_EEDaS1K_S1L_EUlS1K_E_NS1_11comp_targetILNS1_3genE9ELNS1_11target_archE1100ELNS1_3gpuE3ELNS1_3repE0EEENS1_30default_config_static_selectorELNS0_4arch9wavefront6targetE0EEEvSY_.private_seg_size, 0
	.set _ZN7rocprim17ROCPRIM_400000_NS6detail17trampoline_kernelINS0_13select_configILj256ELj13ELNS0_17block_load_methodE3ELS4_3ELS4_3ELNS0_20block_scan_algorithmE0ELj4294967295EEENS1_25partition_config_selectorILNS1_17partition_subalgoE3EjNS0_10empty_typeEbEEZZNS1_14partition_implILS8_3ELb0ES6_jNS0_17counting_iteratorIjlEEPS9_SE_NS0_5tupleIJPjSE_EEENSF_IJSE_SE_EEES9_SG_JZNS1_25segmented_radix_sort_implINS0_14default_configELb1EPKaPaPKlPlN2at6native12_GLOBAL__N_18offset_tEEE10hipError_tPvRmT1_PNSt15iterator_traitsISY_E10value_typeET2_T3_PNSZ_IS14_E10value_typeET4_jRbjT5_S1A_jjP12ihipStream_tbEUljE_EEESV_SW_SX_S14_S18_S1A_T6_T7_T9_mT8_S1C_bDpT10_ENKUlT_T0_E_clISt17integral_constantIbLb1EES1P_EEDaS1K_S1L_EUlS1K_E_NS1_11comp_targetILNS1_3genE9ELNS1_11target_archE1100ELNS1_3gpuE3ELNS1_3repE0EEENS1_30default_config_static_selectorELNS0_4arch9wavefront6targetE0EEEvSY_.uses_vcc, 0
	.set _ZN7rocprim17ROCPRIM_400000_NS6detail17trampoline_kernelINS0_13select_configILj256ELj13ELNS0_17block_load_methodE3ELS4_3ELS4_3ELNS0_20block_scan_algorithmE0ELj4294967295EEENS1_25partition_config_selectorILNS1_17partition_subalgoE3EjNS0_10empty_typeEbEEZZNS1_14partition_implILS8_3ELb0ES6_jNS0_17counting_iteratorIjlEEPS9_SE_NS0_5tupleIJPjSE_EEENSF_IJSE_SE_EEES9_SG_JZNS1_25segmented_radix_sort_implINS0_14default_configELb1EPKaPaPKlPlN2at6native12_GLOBAL__N_18offset_tEEE10hipError_tPvRmT1_PNSt15iterator_traitsISY_E10value_typeET2_T3_PNSZ_IS14_E10value_typeET4_jRbjT5_S1A_jjP12ihipStream_tbEUljE_EEESV_SW_SX_S14_S18_S1A_T6_T7_T9_mT8_S1C_bDpT10_ENKUlT_T0_E_clISt17integral_constantIbLb1EES1P_EEDaS1K_S1L_EUlS1K_E_NS1_11comp_targetILNS1_3genE9ELNS1_11target_archE1100ELNS1_3gpuE3ELNS1_3repE0EEENS1_30default_config_static_selectorELNS0_4arch9wavefront6targetE0EEEvSY_.uses_flat_scratch, 0
	.set _ZN7rocprim17ROCPRIM_400000_NS6detail17trampoline_kernelINS0_13select_configILj256ELj13ELNS0_17block_load_methodE3ELS4_3ELS4_3ELNS0_20block_scan_algorithmE0ELj4294967295EEENS1_25partition_config_selectorILNS1_17partition_subalgoE3EjNS0_10empty_typeEbEEZZNS1_14partition_implILS8_3ELb0ES6_jNS0_17counting_iteratorIjlEEPS9_SE_NS0_5tupleIJPjSE_EEENSF_IJSE_SE_EEES9_SG_JZNS1_25segmented_radix_sort_implINS0_14default_configELb1EPKaPaPKlPlN2at6native12_GLOBAL__N_18offset_tEEE10hipError_tPvRmT1_PNSt15iterator_traitsISY_E10value_typeET2_T3_PNSZ_IS14_E10value_typeET4_jRbjT5_S1A_jjP12ihipStream_tbEUljE_EEESV_SW_SX_S14_S18_S1A_T6_T7_T9_mT8_S1C_bDpT10_ENKUlT_T0_E_clISt17integral_constantIbLb1EES1P_EEDaS1K_S1L_EUlS1K_E_NS1_11comp_targetILNS1_3genE9ELNS1_11target_archE1100ELNS1_3gpuE3ELNS1_3repE0EEENS1_30default_config_static_selectorELNS0_4arch9wavefront6targetE0EEEvSY_.has_dyn_sized_stack, 0
	.set _ZN7rocprim17ROCPRIM_400000_NS6detail17trampoline_kernelINS0_13select_configILj256ELj13ELNS0_17block_load_methodE3ELS4_3ELS4_3ELNS0_20block_scan_algorithmE0ELj4294967295EEENS1_25partition_config_selectorILNS1_17partition_subalgoE3EjNS0_10empty_typeEbEEZZNS1_14partition_implILS8_3ELb0ES6_jNS0_17counting_iteratorIjlEEPS9_SE_NS0_5tupleIJPjSE_EEENSF_IJSE_SE_EEES9_SG_JZNS1_25segmented_radix_sort_implINS0_14default_configELb1EPKaPaPKlPlN2at6native12_GLOBAL__N_18offset_tEEE10hipError_tPvRmT1_PNSt15iterator_traitsISY_E10value_typeET2_T3_PNSZ_IS14_E10value_typeET4_jRbjT5_S1A_jjP12ihipStream_tbEUljE_EEESV_SW_SX_S14_S18_S1A_T6_T7_T9_mT8_S1C_bDpT10_ENKUlT_T0_E_clISt17integral_constantIbLb1EES1P_EEDaS1K_S1L_EUlS1K_E_NS1_11comp_targetILNS1_3genE9ELNS1_11target_archE1100ELNS1_3gpuE3ELNS1_3repE0EEENS1_30default_config_static_selectorELNS0_4arch9wavefront6targetE0EEEvSY_.has_recursion, 0
	.set _ZN7rocprim17ROCPRIM_400000_NS6detail17trampoline_kernelINS0_13select_configILj256ELj13ELNS0_17block_load_methodE3ELS4_3ELS4_3ELNS0_20block_scan_algorithmE0ELj4294967295EEENS1_25partition_config_selectorILNS1_17partition_subalgoE3EjNS0_10empty_typeEbEEZZNS1_14partition_implILS8_3ELb0ES6_jNS0_17counting_iteratorIjlEEPS9_SE_NS0_5tupleIJPjSE_EEENSF_IJSE_SE_EEES9_SG_JZNS1_25segmented_radix_sort_implINS0_14default_configELb1EPKaPaPKlPlN2at6native12_GLOBAL__N_18offset_tEEE10hipError_tPvRmT1_PNSt15iterator_traitsISY_E10value_typeET2_T3_PNSZ_IS14_E10value_typeET4_jRbjT5_S1A_jjP12ihipStream_tbEUljE_EEESV_SW_SX_S14_S18_S1A_T6_T7_T9_mT8_S1C_bDpT10_ENKUlT_T0_E_clISt17integral_constantIbLb1EES1P_EEDaS1K_S1L_EUlS1K_E_NS1_11comp_targetILNS1_3genE9ELNS1_11target_archE1100ELNS1_3gpuE3ELNS1_3repE0EEENS1_30default_config_static_selectorELNS0_4arch9wavefront6targetE0EEEvSY_.has_indirect_call, 0
	.section	.AMDGPU.csdata,"",@progbits
; Kernel info:
; codeLenInByte = 0
; TotalNumSgprs: 0
; NumVgprs: 0
; ScratchSize: 0
; MemoryBound: 0
; FloatMode: 240
; IeeeMode: 1
; LDSByteSize: 0 bytes/workgroup (compile time only)
; SGPRBlocks: 0
; VGPRBlocks: 0
; NumSGPRsForWavesPerEU: 1
; NumVGPRsForWavesPerEU: 1
; Occupancy: 16
; WaveLimiterHint : 0
; COMPUTE_PGM_RSRC2:SCRATCH_EN: 0
; COMPUTE_PGM_RSRC2:USER_SGPR: 6
; COMPUTE_PGM_RSRC2:TRAP_HANDLER: 0
; COMPUTE_PGM_RSRC2:TGID_X_EN: 1
; COMPUTE_PGM_RSRC2:TGID_Y_EN: 0
; COMPUTE_PGM_RSRC2:TGID_Z_EN: 0
; COMPUTE_PGM_RSRC2:TIDIG_COMP_CNT: 0
	.section	.text._ZN7rocprim17ROCPRIM_400000_NS6detail17trampoline_kernelINS0_13select_configILj256ELj13ELNS0_17block_load_methodE3ELS4_3ELS4_3ELNS0_20block_scan_algorithmE0ELj4294967295EEENS1_25partition_config_selectorILNS1_17partition_subalgoE3EjNS0_10empty_typeEbEEZZNS1_14partition_implILS8_3ELb0ES6_jNS0_17counting_iteratorIjlEEPS9_SE_NS0_5tupleIJPjSE_EEENSF_IJSE_SE_EEES9_SG_JZNS1_25segmented_radix_sort_implINS0_14default_configELb1EPKaPaPKlPlN2at6native12_GLOBAL__N_18offset_tEEE10hipError_tPvRmT1_PNSt15iterator_traitsISY_E10value_typeET2_T3_PNSZ_IS14_E10value_typeET4_jRbjT5_S1A_jjP12ihipStream_tbEUljE_EEESV_SW_SX_S14_S18_S1A_T6_T7_T9_mT8_S1C_bDpT10_ENKUlT_T0_E_clISt17integral_constantIbLb1EES1P_EEDaS1K_S1L_EUlS1K_E_NS1_11comp_targetILNS1_3genE8ELNS1_11target_archE1030ELNS1_3gpuE2ELNS1_3repE0EEENS1_30default_config_static_selectorELNS0_4arch9wavefront6targetE0EEEvSY_,"axG",@progbits,_ZN7rocprim17ROCPRIM_400000_NS6detail17trampoline_kernelINS0_13select_configILj256ELj13ELNS0_17block_load_methodE3ELS4_3ELS4_3ELNS0_20block_scan_algorithmE0ELj4294967295EEENS1_25partition_config_selectorILNS1_17partition_subalgoE3EjNS0_10empty_typeEbEEZZNS1_14partition_implILS8_3ELb0ES6_jNS0_17counting_iteratorIjlEEPS9_SE_NS0_5tupleIJPjSE_EEENSF_IJSE_SE_EEES9_SG_JZNS1_25segmented_radix_sort_implINS0_14default_configELb1EPKaPaPKlPlN2at6native12_GLOBAL__N_18offset_tEEE10hipError_tPvRmT1_PNSt15iterator_traitsISY_E10value_typeET2_T3_PNSZ_IS14_E10value_typeET4_jRbjT5_S1A_jjP12ihipStream_tbEUljE_EEESV_SW_SX_S14_S18_S1A_T6_T7_T9_mT8_S1C_bDpT10_ENKUlT_T0_E_clISt17integral_constantIbLb1EES1P_EEDaS1K_S1L_EUlS1K_E_NS1_11comp_targetILNS1_3genE8ELNS1_11target_archE1030ELNS1_3gpuE2ELNS1_3repE0EEENS1_30default_config_static_selectorELNS0_4arch9wavefront6targetE0EEEvSY_,comdat
	.globl	_ZN7rocprim17ROCPRIM_400000_NS6detail17trampoline_kernelINS0_13select_configILj256ELj13ELNS0_17block_load_methodE3ELS4_3ELS4_3ELNS0_20block_scan_algorithmE0ELj4294967295EEENS1_25partition_config_selectorILNS1_17partition_subalgoE3EjNS0_10empty_typeEbEEZZNS1_14partition_implILS8_3ELb0ES6_jNS0_17counting_iteratorIjlEEPS9_SE_NS0_5tupleIJPjSE_EEENSF_IJSE_SE_EEES9_SG_JZNS1_25segmented_radix_sort_implINS0_14default_configELb1EPKaPaPKlPlN2at6native12_GLOBAL__N_18offset_tEEE10hipError_tPvRmT1_PNSt15iterator_traitsISY_E10value_typeET2_T3_PNSZ_IS14_E10value_typeET4_jRbjT5_S1A_jjP12ihipStream_tbEUljE_EEESV_SW_SX_S14_S18_S1A_T6_T7_T9_mT8_S1C_bDpT10_ENKUlT_T0_E_clISt17integral_constantIbLb1EES1P_EEDaS1K_S1L_EUlS1K_E_NS1_11comp_targetILNS1_3genE8ELNS1_11target_archE1030ELNS1_3gpuE2ELNS1_3repE0EEENS1_30default_config_static_selectorELNS0_4arch9wavefront6targetE0EEEvSY_ ; -- Begin function _ZN7rocprim17ROCPRIM_400000_NS6detail17trampoline_kernelINS0_13select_configILj256ELj13ELNS0_17block_load_methodE3ELS4_3ELS4_3ELNS0_20block_scan_algorithmE0ELj4294967295EEENS1_25partition_config_selectorILNS1_17partition_subalgoE3EjNS0_10empty_typeEbEEZZNS1_14partition_implILS8_3ELb0ES6_jNS0_17counting_iteratorIjlEEPS9_SE_NS0_5tupleIJPjSE_EEENSF_IJSE_SE_EEES9_SG_JZNS1_25segmented_radix_sort_implINS0_14default_configELb1EPKaPaPKlPlN2at6native12_GLOBAL__N_18offset_tEEE10hipError_tPvRmT1_PNSt15iterator_traitsISY_E10value_typeET2_T3_PNSZ_IS14_E10value_typeET4_jRbjT5_S1A_jjP12ihipStream_tbEUljE_EEESV_SW_SX_S14_S18_S1A_T6_T7_T9_mT8_S1C_bDpT10_ENKUlT_T0_E_clISt17integral_constantIbLb1EES1P_EEDaS1K_S1L_EUlS1K_E_NS1_11comp_targetILNS1_3genE8ELNS1_11target_archE1030ELNS1_3gpuE2ELNS1_3repE0EEENS1_30default_config_static_selectorELNS0_4arch9wavefront6targetE0EEEvSY_
	.p2align	8
	.type	_ZN7rocprim17ROCPRIM_400000_NS6detail17trampoline_kernelINS0_13select_configILj256ELj13ELNS0_17block_load_methodE3ELS4_3ELS4_3ELNS0_20block_scan_algorithmE0ELj4294967295EEENS1_25partition_config_selectorILNS1_17partition_subalgoE3EjNS0_10empty_typeEbEEZZNS1_14partition_implILS8_3ELb0ES6_jNS0_17counting_iteratorIjlEEPS9_SE_NS0_5tupleIJPjSE_EEENSF_IJSE_SE_EEES9_SG_JZNS1_25segmented_radix_sort_implINS0_14default_configELb1EPKaPaPKlPlN2at6native12_GLOBAL__N_18offset_tEEE10hipError_tPvRmT1_PNSt15iterator_traitsISY_E10value_typeET2_T3_PNSZ_IS14_E10value_typeET4_jRbjT5_S1A_jjP12ihipStream_tbEUljE_EEESV_SW_SX_S14_S18_S1A_T6_T7_T9_mT8_S1C_bDpT10_ENKUlT_T0_E_clISt17integral_constantIbLb1EES1P_EEDaS1K_S1L_EUlS1K_E_NS1_11comp_targetILNS1_3genE8ELNS1_11target_archE1030ELNS1_3gpuE2ELNS1_3repE0EEENS1_30default_config_static_selectorELNS0_4arch9wavefront6targetE0EEEvSY_,@function
_ZN7rocprim17ROCPRIM_400000_NS6detail17trampoline_kernelINS0_13select_configILj256ELj13ELNS0_17block_load_methodE3ELS4_3ELS4_3ELNS0_20block_scan_algorithmE0ELj4294967295EEENS1_25partition_config_selectorILNS1_17partition_subalgoE3EjNS0_10empty_typeEbEEZZNS1_14partition_implILS8_3ELb0ES6_jNS0_17counting_iteratorIjlEEPS9_SE_NS0_5tupleIJPjSE_EEENSF_IJSE_SE_EEES9_SG_JZNS1_25segmented_radix_sort_implINS0_14default_configELb1EPKaPaPKlPlN2at6native12_GLOBAL__N_18offset_tEEE10hipError_tPvRmT1_PNSt15iterator_traitsISY_E10value_typeET2_T3_PNSZ_IS14_E10value_typeET4_jRbjT5_S1A_jjP12ihipStream_tbEUljE_EEESV_SW_SX_S14_S18_S1A_T6_T7_T9_mT8_S1C_bDpT10_ENKUlT_T0_E_clISt17integral_constantIbLb1EES1P_EEDaS1K_S1L_EUlS1K_E_NS1_11comp_targetILNS1_3genE8ELNS1_11target_archE1030ELNS1_3gpuE2ELNS1_3repE0EEENS1_30default_config_static_selectorELNS0_4arch9wavefront6targetE0EEEvSY_: ; @_ZN7rocprim17ROCPRIM_400000_NS6detail17trampoline_kernelINS0_13select_configILj256ELj13ELNS0_17block_load_methodE3ELS4_3ELS4_3ELNS0_20block_scan_algorithmE0ELj4294967295EEENS1_25partition_config_selectorILNS1_17partition_subalgoE3EjNS0_10empty_typeEbEEZZNS1_14partition_implILS8_3ELb0ES6_jNS0_17counting_iteratorIjlEEPS9_SE_NS0_5tupleIJPjSE_EEENSF_IJSE_SE_EEES9_SG_JZNS1_25segmented_radix_sort_implINS0_14default_configELb1EPKaPaPKlPlN2at6native12_GLOBAL__N_18offset_tEEE10hipError_tPvRmT1_PNSt15iterator_traitsISY_E10value_typeET2_T3_PNSZ_IS14_E10value_typeET4_jRbjT5_S1A_jjP12ihipStream_tbEUljE_EEESV_SW_SX_S14_S18_S1A_T6_T7_T9_mT8_S1C_bDpT10_ENKUlT_T0_E_clISt17integral_constantIbLb1EES1P_EEDaS1K_S1L_EUlS1K_E_NS1_11comp_targetILNS1_3genE8ELNS1_11target_archE1030ELNS1_3gpuE2ELNS1_3repE0EEENS1_30default_config_static_selectorELNS0_4arch9wavefront6targetE0EEEvSY_
; %bb.0:
	s_endpgm
	.section	.rodata,"a",@progbits
	.p2align	6, 0x0
	.amdhsa_kernel _ZN7rocprim17ROCPRIM_400000_NS6detail17trampoline_kernelINS0_13select_configILj256ELj13ELNS0_17block_load_methodE3ELS4_3ELS4_3ELNS0_20block_scan_algorithmE0ELj4294967295EEENS1_25partition_config_selectorILNS1_17partition_subalgoE3EjNS0_10empty_typeEbEEZZNS1_14partition_implILS8_3ELb0ES6_jNS0_17counting_iteratorIjlEEPS9_SE_NS0_5tupleIJPjSE_EEENSF_IJSE_SE_EEES9_SG_JZNS1_25segmented_radix_sort_implINS0_14default_configELb1EPKaPaPKlPlN2at6native12_GLOBAL__N_18offset_tEEE10hipError_tPvRmT1_PNSt15iterator_traitsISY_E10value_typeET2_T3_PNSZ_IS14_E10value_typeET4_jRbjT5_S1A_jjP12ihipStream_tbEUljE_EEESV_SW_SX_S14_S18_S1A_T6_T7_T9_mT8_S1C_bDpT10_ENKUlT_T0_E_clISt17integral_constantIbLb1EES1P_EEDaS1K_S1L_EUlS1K_E_NS1_11comp_targetILNS1_3genE8ELNS1_11target_archE1030ELNS1_3gpuE2ELNS1_3repE0EEENS1_30default_config_static_selectorELNS0_4arch9wavefront6targetE0EEEvSY_
		.amdhsa_group_segment_fixed_size 0
		.amdhsa_private_segment_fixed_size 0
		.amdhsa_kernarg_size 152
		.amdhsa_user_sgpr_count 6
		.amdhsa_user_sgpr_private_segment_buffer 1
		.amdhsa_user_sgpr_dispatch_ptr 0
		.amdhsa_user_sgpr_queue_ptr 0
		.amdhsa_user_sgpr_kernarg_segment_ptr 1
		.amdhsa_user_sgpr_dispatch_id 0
		.amdhsa_user_sgpr_flat_scratch_init 0
		.amdhsa_user_sgpr_private_segment_size 0
		.amdhsa_wavefront_size32 1
		.amdhsa_uses_dynamic_stack 0
		.amdhsa_system_sgpr_private_segment_wavefront_offset 0
		.amdhsa_system_sgpr_workgroup_id_x 1
		.amdhsa_system_sgpr_workgroup_id_y 0
		.amdhsa_system_sgpr_workgroup_id_z 0
		.amdhsa_system_sgpr_workgroup_info 0
		.amdhsa_system_vgpr_workitem_id 0
		.amdhsa_next_free_vgpr 1
		.amdhsa_next_free_sgpr 1
		.amdhsa_reserve_vcc 0
		.amdhsa_reserve_flat_scratch 0
		.amdhsa_float_round_mode_32 0
		.amdhsa_float_round_mode_16_64 0
		.amdhsa_float_denorm_mode_32 3
		.amdhsa_float_denorm_mode_16_64 3
		.amdhsa_dx10_clamp 1
		.amdhsa_ieee_mode 1
		.amdhsa_fp16_overflow 0
		.amdhsa_workgroup_processor_mode 1
		.amdhsa_memory_ordered 1
		.amdhsa_forward_progress 1
		.amdhsa_shared_vgpr_count 0
		.amdhsa_exception_fp_ieee_invalid_op 0
		.amdhsa_exception_fp_denorm_src 0
		.amdhsa_exception_fp_ieee_div_zero 0
		.amdhsa_exception_fp_ieee_overflow 0
		.amdhsa_exception_fp_ieee_underflow 0
		.amdhsa_exception_fp_ieee_inexact 0
		.amdhsa_exception_int_div_zero 0
	.end_amdhsa_kernel
	.section	.text._ZN7rocprim17ROCPRIM_400000_NS6detail17trampoline_kernelINS0_13select_configILj256ELj13ELNS0_17block_load_methodE3ELS4_3ELS4_3ELNS0_20block_scan_algorithmE0ELj4294967295EEENS1_25partition_config_selectorILNS1_17partition_subalgoE3EjNS0_10empty_typeEbEEZZNS1_14partition_implILS8_3ELb0ES6_jNS0_17counting_iteratorIjlEEPS9_SE_NS0_5tupleIJPjSE_EEENSF_IJSE_SE_EEES9_SG_JZNS1_25segmented_radix_sort_implINS0_14default_configELb1EPKaPaPKlPlN2at6native12_GLOBAL__N_18offset_tEEE10hipError_tPvRmT1_PNSt15iterator_traitsISY_E10value_typeET2_T3_PNSZ_IS14_E10value_typeET4_jRbjT5_S1A_jjP12ihipStream_tbEUljE_EEESV_SW_SX_S14_S18_S1A_T6_T7_T9_mT8_S1C_bDpT10_ENKUlT_T0_E_clISt17integral_constantIbLb1EES1P_EEDaS1K_S1L_EUlS1K_E_NS1_11comp_targetILNS1_3genE8ELNS1_11target_archE1030ELNS1_3gpuE2ELNS1_3repE0EEENS1_30default_config_static_selectorELNS0_4arch9wavefront6targetE0EEEvSY_,"axG",@progbits,_ZN7rocprim17ROCPRIM_400000_NS6detail17trampoline_kernelINS0_13select_configILj256ELj13ELNS0_17block_load_methodE3ELS4_3ELS4_3ELNS0_20block_scan_algorithmE0ELj4294967295EEENS1_25partition_config_selectorILNS1_17partition_subalgoE3EjNS0_10empty_typeEbEEZZNS1_14partition_implILS8_3ELb0ES6_jNS0_17counting_iteratorIjlEEPS9_SE_NS0_5tupleIJPjSE_EEENSF_IJSE_SE_EEES9_SG_JZNS1_25segmented_radix_sort_implINS0_14default_configELb1EPKaPaPKlPlN2at6native12_GLOBAL__N_18offset_tEEE10hipError_tPvRmT1_PNSt15iterator_traitsISY_E10value_typeET2_T3_PNSZ_IS14_E10value_typeET4_jRbjT5_S1A_jjP12ihipStream_tbEUljE_EEESV_SW_SX_S14_S18_S1A_T6_T7_T9_mT8_S1C_bDpT10_ENKUlT_T0_E_clISt17integral_constantIbLb1EES1P_EEDaS1K_S1L_EUlS1K_E_NS1_11comp_targetILNS1_3genE8ELNS1_11target_archE1030ELNS1_3gpuE2ELNS1_3repE0EEENS1_30default_config_static_selectorELNS0_4arch9wavefront6targetE0EEEvSY_,comdat
.Lfunc_end271:
	.size	_ZN7rocprim17ROCPRIM_400000_NS6detail17trampoline_kernelINS0_13select_configILj256ELj13ELNS0_17block_load_methodE3ELS4_3ELS4_3ELNS0_20block_scan_algorithmE0ELj4294967295EEENS1_25partition_config_selectorILNS1_17partition_subalgoE3EjNS0_10empty_typeEbEEZZNS1_14partition_implILS8_3ELb0ES6_jNS0_17counting_iteratorIjlEEPS9_SE_NS0_5tupleIJPjSE_EEENSF_IJSE_SE_EEES9_SG_JZNS1_25segmented_radix_sort_implINS0_14default_configELb1EPKaPaPKlPlN2at6native12_GLOBAL__N_18offset_tEEE10hipError_tPvRmT1_PNSt15iterator_traitsISY_E10value_typeET2_T3_PNSZ_IS14_E10value_typeET4_jRbjT5_S1A_jjP12ihipStream_tbEUljE_EEESV_SW_SX_S14_S18_S1A_T6_T7_T9_mT8_S1C_bDpT10_ENKUlT_T0_E_clISt17integral_constantIbLb1EES1P_EEDaS1K_S1L_EUlS1K_E_NS1_11comp_targetILNS1_3genE8ELNS1_11target_archE1030ELNS1_3gpuE2ELNS1_3repE0EEENS1_30default_config_static_selectorELNS0_4arch9wavefront6targetE0EEEvSY_, .Lfunc_end271-_ZN7rocprim17ROCPRIM_400000_NS6detail17trampoline_kernelINS0_13select_configILj256ELj13ELNS0_17block_load_methodE3ELS4_3ELS4_3ELNS0_20block_scan_algorithmE0ELj4294967295EEENS1_25partition_config_selectorILNS1_17partition_subalgoE3EjNS0_10empty_typeEbEEZZNS1_14partition_implILS8_3ELb0ES6_jNS0_17counting_iteratorIjlEEPS9_SE_NS0_5tupleIJPjSE_EEENSF_IJSE_SE_EEES9_SG_JZNS1_25segmented_radix_sort_implINS0_14default_configELb1EPKaPaPKlPlN2at6native12_GLOBAL__N_18offset_tEEE10hipError_tPvRmT1_PNSt15iterator_traitsISY_E10value_typeET2_T3_PNSZ_IS14_E10value_typeET4_jRbjT5_S1A_jjP12ihipStream_tbEUljE_EEESV_SW_SX_S14_S18_S1A_T6_T7_T9_mT8_S1C_bDpT10_ENKUlT_T0_E_clISt17integral_constantIbLb1EES1P_EEDaS1K_S1L_EUlS1K_E_NS1_11comp_targetILNS1_3genE8ELNS1_11target_archE1030ELNS1_3gpuE2ELNS1_3repE0EEENS1_30default_config_static_selectorELNS0_4arch9wavefront6targetE0EEEvSY_
                                        ; -- End function
	.set _ZN7rocprim17ROCPRIM_400000_NS6detail17trampoline_kernelINS0_13select_configILj256ELj13ELNS0_17block_load_methodE3ELS4_3ELS4_3ELNS0_20block_scan_algorithmE0ELj4294967295EEENS1_25partition_config_selectorILNS1_17partition_subalgoE3EjNS0_10empty_typeEbEEZZNS1_14partition_implILS8_3ELb0ES6_jNS0_17counting_iteratorIjlEEPS9_SE_NS0_5tupleIJPjSE_EEENSF_IJSE_SE_EEES9_SG_JZNS1_25segmented_radix_sort_implINS0_14default_configELb1EPKaPaPKlPlN2at6native12_GLOBAL__N_18offset_tEEE10hipError_tPvRmT1_PNSt15iterator_traitsISY_E10value_typeET2_T3_PNSZ_IS14_E10value_typeET4_jRbjT5_S1A_jjP12ihipStream_tbEUljE_EEESV_SW_SX_S14_S18_S1A_T6_T7_T9_mT8_S1C_bDpT10_ENKUlT_T0_E_clISt17integral_constantIbLb1EES1P_EEDaS1K_S1L_EUlS1K_E_NS1_11comp_targetILNS1_3genE8ELNS1_11target_archE1030ELNS1_3gpuE2ELNS1_3repE0EEENS1_30default_config_static_selectorELNS0_4arch9wavefront6targetE0EEEvSY_.num_vgpr, 0
	.set _ZN7rocprim17ROCPRIM_400000_NS6detail17trampoline_kernelINS0_13select_configILj256ELj13ELNS0_17block_load_methodE3ELS4_3ELS4_3ELNS0_20block_scan_algorithmE0ELj4294967295EEENS1_25partition_config_selectorILNS1_17partition_subalgoE3EjNS0_10empty_typeEbEEZZNS1_14partition_implILS8_3ELb0ES6_jNS0_17counting_iteratorIjlEEPS9_SE_NS0_5tupleIJPjSE_EEENSF_IJSE_SE_EEES9_SG_JZNS1_25segmented_radix_sort_implINS0_14default_configELb1EPKaPaPKlPlN2at6native12_GLOBAL__N_18offset_tEEE10hipError_tPvRmT1_PNSt15iterator_traitsISY_E10value_typeET2_T3_PNSZ_IS14_E10value_typeET4_jRbjT5_S1A_jjP12ihipStream_tbEUljE_EEESV_SW_SX_S14_S18_S1A_T6_T7_T9_mT8_S1C_bDpT10_ENKUlT_T0_E_clISt17integral_constantIbLb1EES1P_EEDaS1K_S1L_EUlS1K_E_NS1_11comp_targetILNS1_3genE8ELNS1_11target_archE1030ELNS1_3gpuE2ELNS1_3repE0EEENS1_30default_config_static_selectorELNS0_4arch9wavefront6targetE0EEEvSY_.num_agpr, 0
	.set _ZN7rocprim17ROCPRIM_400000_NS6detail17trampoline_kernelINS0_13select_configILj256ELj13ELNS0_17block_load_methodE3ELS4_3ELS4_3ELNS0_20block_scan_algorithmE0ELj4294967295EEENS1_25partition_config_selectorILNS1_17partition_subalgoE3EjNS0_10empty_typeEbEEZZNS1_14partition_implILS8_3ELb0ES6_jNS0_17counting_iteratorIjlEEPS9_SE_NS0_5tupleIJPjSE_EEENSF_IJSE_SE_EEES9_SG_JZNS1_25segmented_radix_sort_implINS0_14default_configELb1EPKaPaPKlPlN2at6native12_GLOBAL__N_18offset_tEEE10hipError_tPvRmT1_PNSt15iterator_traitsISY_E10value_typeET2_T3_PNSZ_IS14_E10value_typeET4_jRbjT5_S1A_jjP12ihipStream_tbEUljE_EEESV_SW_SX_S14_S18_S1A_T6_T7_T9_mT8_S1C_bDpT10_ENKUlT_T0_E_clISt17integral_constantIbLb1EES1P_EEDaS1K_S1L_EUlS1K_E_NS1_11comp_targetILNS1_3genE8ELNS1_11target_archE1030ELNS1_3gpuE2ELNS1_3repE0EEENS1_30default_config_static_selectorELNS0_4arch9wavefront6targetE0EEEvSY_.numbered_sgpr, 0
	.set _ZN7rocprim17ROCPRIM_400000_NS6detail17trampoline_kernelINS0_13select_configILj256ELj13ELNS0_17block_load_methodE3ELS4_3ELS4_3ELNS0_20block_scan_algorithmE0ELj4294967295EEENS1_25partition_config_selectorILNS1_17partition_subalgoE3EjNS0_10empty_typeEbEEZZNS1_14partition_implILS8_3ELb0ES6_jNS0_17counting_iteratorIjlEEPS9_SE_NS0_5tupleIJPjSE_EEENSF_IJSE_SE_EEES9_SG_JZNS1_25segmented_radix_sort_implINS0_14default_configELb1EPKaPaPKlPlN2at6native12_GLOBAL__N_18offset_tEEE10hipError_tPvRmT1_PNSt15iterator_traitsISY_E10value_typeET2_T3_PNSZ_IS14_E10value_typeET4_jRbjT5_S1A_jjP12ihipStream_tbEUljE_EEESV_SW_SX_S14_S18_S1A_T6_T7_T9_mT8_S1C_bDpT10_ENKUlT_T0_E_clISt17integral_constantIbLb1EES1P_EEDaS1K_S1L_EUlS1K_E_NS1_11comp_targetILNS1_3genE8ELNS1_11target_archE1030ELNS1_3gpuE2ELNS1_3repE0EEENS1_30default_config_static_selectorELNS0_4arch9wavefront6targetE0EEEvSY_.num_named_barrier, 0
	.set _ZN7rocprim17ROCPRIM_400000_NS6detail17trampoline_kernelINS0_13select_configILj256ELj13ELNS0_17block_load_methodE3ELS4_3ELS4_3ELNS0_20block_scan_algorithmE0ELj4294967295EEENS1_25partition_config_selectorILNS1_17partition_subalgoE3EjNS0_10empty_typeEbEEZZNS1_14partition_implILS8_3ELb0ES6_jNS0_17counting_iteratorIjlEEPS9_SE_NS0_5tupleIJPjSE_EEENSF_IJSE_SE_EEES9_SG_JZNS1_25segmented_radix_sort_implINS0_14default_configELb1EPKaPaPKlPlN2at6native12_GLOBAL__N_18offset_tEEE10hipError_tPvRmT1_PNSt15iterator_traitsISY_E10value_typeET2_T3_PNSZ_IS14_E10value_typeET4_jRbjT5_S1A_jjP12ihipStream_tbEUljE_EEESV_SW_SX_S14_S18_S1A_T6_T7_T9_mT8_S1C_bDpT10_ENKUlT_T0_E_clISt17integral_constantIbLb1EES1P_EEDaS1K_S1L_EUlS1K_E_NS1_11comp_targetILNS1_3genE8ELNS1_11target_archE1030ELNS1_3gpuE2ELNS1_3repE0EEENS1_30default_config_static_selectorELNS0_4arch9wavefront6targetE0EEEvSY_.private_seg_size, 0
	.set _ZN7rocprim17ROCPRIM_400000_NS6detail17trampoline_kernelINS0_13select_configILj256ELj13ELNS0_17block_load_methodE3ELS4_3ELS4_3ELNS0_20block_scan_algorithmE0ELj4294967295EEENS1_25partition_config_selectorILNS1_17partition_subalgoE3EjNS0_10empty_typeEbEEZZNS1_14partition_implILS8_3ELb0ES6_jNS0_17counting_iteratorIjlEEPS9_SE_NS0_5tupleIJPjSE_EEENSF_IJSE_SE_EEES9_SG_JZNS1_25segmented_radix_sort_implINS0_14default_configELb1EPKaPaPKlPlN2at6native12_GLOBAL__N_18offset_tEEE10hipError_tPvRmT1_PNSt15iterator_traitsISY_E10value_typeET2_T3_PNSZ_IS14_E10value_typeET4_jRbjT5_S1A_jjP12ihipStream_tbEUljE_EEESV_SW_SX_S14_S18_S1A_T6_T7_T9_mT8_S1C_bDpT10_ENKUlT_T0_E_clISt17integral_constantIbLb1EES1P_EEDaS1K_S1L_EUlS1K_E_NS1_11comp_targetILNS1_3genE8ELNS1_11target_archE1030ELNS1_3gpuE2ELNS1_3repE0EEENS1_30default_config_static_selectorELNS0_4arch9wavefront6targetE0EEEvSY_.uses_vcc, 0
	.set _ZN7rocprim17ROCPRIM_400000_NS6detail17trampoline_kernelINS0_13select_configILj256ELj13ELNS0_17block_load_methodE3ELS4_3ELS4_3ELNS0_20block_scan_algorithmE0ELj4294967295EEENS1_25partition_config_selectorILNS1_17partition_subalgoE3EjNS0_10empty_typeEbEEZZNS1_14partition_implILS8_3ELb0ES6_jNS0_17counting_iteratorIjlEEPS9_SE_NS0_5tupleIJPjSE_EEENSF_IJSE_SE_EEES9_SG_JZNS1_25segmented_radix_sort_implINS0_14default_configELb1EPKaPaPKlPlN2at6native12_GLOBAL__N_18offset_tEEE10hipError_tPvRmT1_PNSt15iterator_traitsISY_E10value_typeET2_T3_PNSZ_IS14_E10value_typeET4_jRbjT5_S1A_jjP12ihipStream_tbEUljE_EEESV_SW_SX_S14_S18_S1A_T6_T7_T9_mT8_S1C_bDpT10_ENKUlT_T0_E_clISt17integral_constantIbLb1EES1P_EEDaS1K_S1L_EUlS1K_E_NS1_11comp_targetILNS1_3genE8ELNS1_11target_archE1030ELNS1_3gpuE2ELNS1_3repE0EEENS1_30default_config_static_selectorELNS0_4arch9wavefront6targetE0EEEvSY_.uses_flat_scratch, 0
	.set _ZN7rocprim17ROCPRIM_400000_NS6detail17trampoline_kernelINS0_13select_configILj256ELj13ELNS0_17block_load_methodE3ELS4_3ELS4_3ELNS0_20block_scan_algorithmE0ELj4294967295EEENS1_25partition_config_selectorILNS1_17partition_subalgoE3EjNS0_10empty_typeEbEEZZNS1_14partition_implILS8_3ELb0ES6_jNS0_17counting_iteratorIjlEEPS9_SE_NS0_5tupleIJPjSE_EEENSF_IJSE_SE_EEES9_SG_JZNS1_25segmented_radix_sort_implINS0_14default_configELb1EPKaPaPKlPlN2at6native12_GLOBAL__N_18offset_tEEE10hipError_tPvRmT1_PNSt15iterator_traitsISY_E10value_typeET2_T3_PNSZ_IS14_E10value_typeET4_jRbjT5_S1A_jjP12ihipStream_tbEUljE_EEESV_SW_SX_S14_S18_S1A_T6_T7_T9_mT8_S1C_bDpT10_ENKUlT_T0_E_clISt17integral_constantIbLb1EES1P_EEDaS1K_S1L_EUlS1K_E_NS1_11comp_targetILNS1_3genE8ELNS1_11target_archE1030ELNS1_3gpuE2ELNS1_3repE0EEENS1_30default_config_static_selectorELNS0_4arch9wavefront6targetE0EEEvSY_.has_dyn_sized_stack, 0
	.set _ZN7rocprim17ROCPRIM_400000_NS6detail17trampoline_kernelINS0_13select_configILj256ELj13ELNS0_17block_load_methodE3ELS4_3ELS4_3ELNS0_20block_scan_algorithmE0ELj4294967295EEENS1_25partition_config_selectorILNS1_17partition_subalgoE3EjNS0_10empty_typeEbEEZZNS1_14partition_implILS8_3ELb0ES6_jNS0_17counting_iteratorIjlEEPS9_SE_NS0_5tupleIJPjSE_EEENSF_IJSE_SE_EEES9_SG_JZNS1_25segmented_radix_sort_implINS0_14default_configELb1EPKaPaPKlPlN2at6native12_GLOBAL__N_18offset_tEEE10hipError_tPvRmT1_PNSt15iterator_traitsISY_E10value_typeET2_T3_PNSZ_IS14_E10value_typeET4_jRbjT5_S1A_jjP12ihipStream_tbEUljE_EEESV_SW_SX_S14_S18_S1A_T6_T7_T9_mT8_S1C_bDpT10_ENKUlT_T0_E_clISt17integral_constantIbLb1EES1P_EEDaS1K_S1L_EUlS1K_E_NS1_11comp_targetILNS1_3genE8ELNS1_11target_archE1030ELNS1_3gpuE2ELNS1_3repE0EEENS1_30default_config_static_selectorELNS0_4arch9wavefront6targetE0EEEvSY_.has_recursion, 0
	.set _ZN7rocprim17ROCPRIM_400000_NS6detail17trampoline_kernelINS0_13select_configILj256ELj13ELNS0_17block_load_methodE3ELS4_3ELS4_3ELNS0_20block_scan_algorithmE0ELj4294967295EEENS1_25partition_config_selectorILNS1_17partition_subalgoE3EjNS0_10empty_typeEbEEZZNS1_14partition_implILS8_3ELb0ES6_jNS0_17counting_iteratorIjlEEPS9_SE_NS0_5tupleIJPjSE_EEENSF_IJSE_SE_EEES9_SG_JZNS1_25segmented_radix_sort_implINS0_14default_configELb1EPKaPaPKlPlN2at6native12_GLOBAL__N_18offset_tEEE10hipError_tPvRmT1_PNSt15iterator_traitsISY_E10value_typeET2_T3_PNSZ_IS14_E10value_typeET4_jRbjT5_S1A_jjP12ihipStream_tbEUljE_EEESV_SW_SX_S14_S18_S1A_T6_T7_T9_mT8_S1C_bDpT10_ENKUlT_T0_E_clISt17integral_constantIbLb1EES1P_EEDaS1K_S1L_EUlS1K_E_NS1_11comp_targetILNS1_3genE8ELNS1_11target_archE1030ELNS1_3gpuE2ELNS1_3repE0EEENS1_30default_config_static_selectorELNS0_4arch9wavefront6targetE0EEEvSY_.has_indirect_call, 0
	.section	.AMDGPU.csdata,"",@progbits
; Kernel info:
; codeLenInByte = 4
; TotalNumSgprs: 0
; NumVgprs: 0
; ScratchSize: 0
; MemoryBound: 0
; FloatMode: 240
; IeeeMode: 1
; LDSByteSize: 0 bytes/workgroup (compile time only)
; SGPRBlocks: 0
; VGPRBlocks: 0
; NumSGPRsForWavesPerEU: 1
; NumVGPRsForWavesPerEU: 1
; Occupancy: 16
; WaveLimiterHint : 0
; COMPUTE_PGM_RSRC2:SCRATCH_EN: 0
; COMPUTE_PGM_RSRC2:USER_SGPR: 6
; COMPUTE_PGM_RSRC2:TRAP_HANDLER: 0
; COMPUTE_PGM_RSRC2:TGID_X_EN: 1
; COMPUTE_PGM_RSRC2:TGID_Y_EN: 0
; COMPUTE_PGM_RSRC2:TGID_Z_EN: 0
; COMPUTE_PGM_RSRC2:TIDIG_COMP_CNT: 0
	.section	.text._ZN7rocprim17ROCPRIM_400000_NS6detail17trampoline_kernelINS0_13select_configILj256ELj13ELNS0_17block_load_methodE3ELS4_3ELS4_3ELNS0_20block_scan_algorithmE0ELj4294967295EEENS1_25partition_config_selectorILNS1_17partition_subalgoE3EjNS0_10empty_typeEbEEZZNS1_14partition_implILS8_3ELb0ES6_jNS0_17counting_iteratorIjlEEPS9_SE_NS0_5tupleIJPjSE_EEENSF_IJSE_SE_EEES9_SG_JZNS1_25segmented_radix_sort_implINS0_14default_configELb1EPKaPaPKlPlN2at6native12_GLOBAL__N_18offset_tEEE10hipError_tPvRmT1_PNSt15iterator_traitsISY_E10value_typeET2_T3_PNSZ_IS14_E10value_typeET4_jRbjT5_S1A_jjP12ihipStream_tbEUljE_EEESV_SW_SX_S14_S18_S1A_T6_T7_T9_mT8_S1C_bDpT10_ENKUlT_T0_E_clISt17integral_constantIbLb1EES1O_IbLb0EEEEDaS1K_S1L_EUlS1K_E_NS1_11comp_targetILNS1_3genE0ELNS1_11target_archE4294967295ELNS1_3gpuE0ELNS1_3repE0EEENS1_30default_config_static_selectorELNS0_4arch9wavefront6targetE0EEEvSY_,"axG",@progbits,_ZN7rocprim17ROCPRIM_400000_NS6detail17trampoline_kernelINS0_13select_configILj256ELj13ELNS0_17block_load_methodE3ELS4_3ELS4_3ELNS0_20block_scan_algorithmE0ELj4294967295EEENS1_25partition_config_selectorILNS1_17partition_subalgoE3EjNS0_10empty_typeEbEEZZNS1_14partition_implILS8_3ELb0ES6_jNS0_17counting_iteratorIjlEEPS9_SE_NS0_5tupleIJPjSE_EEENSF_IJSE_SE_EEES9_SG_JZNS1_25segmented_radix_sort_implINS0_14default_configELb1EPKaPaPKlPlN2at6native12_GLOBAL__N_18offset_tEEE10hipError_tPvRmT1_PNSt15iterator_traitsISY_E10value_typeET2_T3_PNSZ_IS14_E10value_typeET4_jRbjT5_S1A_jjP12ihipStream_tbEUljE_EEESV_SW_SX_S14_S18_S1A_T6_T7_T9_mT8_S1C_bDpT10_ENKUlT_T0_E_clISt17integral_constantIbLb1EES1O_IbLb0EEEEDaS1K_S1L_EUlS1K_E_NS1_11comp_targetILNS1_3genE0ELNS1_11target_archE4294967295ELNS1_3gpuE0ELNS1_3repE0EEENS1_30default_config_static_selectorELNS0_4arch9wavefront6targetE0EEEvSY_,comdat
	.globl	_ZN7rocprim17ROCPRIM_400000_NS6detail17trampoline_kernelINS0_13select_configILj256ELj13ELNS0_17block_load_methodE3ELS4_3ELS4_3ELNS0_20block_scan_algorithmE0ELj4294967295EEENS1_25partition_config_selectorILNS1_17partition_subalgoE3EjNS0_10empty_typeEbEEZZNS1_14partition_implILS8_3ELb0ES6_jNS0_17counting_iteratorIjlEEPS9_SE_NS0_5tupleIJPjSE_EEENSF_IJSE_SE_EEES9_SG_JZNS1_25segmented_radix_sort_implINS0_14default_configELb1EPKaPaPKlPlN2at6native12_GLOBAL__N_18offset_tEEE10hipError_tPvRmT1_PNSt15iterator_traitsISY_E10value_typeET2_T3_PNSZ_IS14_E10value_typeET4_jRbjT5_S1A_jjP12ihipStream_tbEUljE_EEESV_SW_SX_S14_S18_S1A_T6_T7_T9_mT8_S1C_bDpT10_ENKUlT_T0_E_clISt17integral_constantIbLb1EES1O_IbLb0EEEEDaS1K_S1L_EUlS1K_E_NS1_11comp_targetILNS1_3genE0ELNS1_11target_archE4294967295ELNS1_3gpuE0ELNS1_3repE0EEENS1_30default_config_static_selectorELNS0_4arch9wavefront6targetE0EEEvSY_ ; -- Begin function _ZN7rocprim17ROCPRIM_400000_NS6detail17trampoline_kernelINS0_13select_configILj256ELj13ELNS0_17block_load_methodE3ELS4_3ELS4_3ELNS0_20block_scan_algorithmE0ELj4294967295EEENS1_25partition_config_selectorILNS1_17partition_subalgoE3EjNS0_10empty_typeEbEEZZNS1_14partition_implILS8_3ELb0ES6_jNS0_17counting_iteratorIjlEEPS9_SE_NS0_5tupleIJPjSE_EEENSF_IJSE_SE_EEES9_SG_JZNS1_25segmented_radix_sort_implINS0_14default_configELb1EPKaPaPKlPlN2at6native12_GLOBAL__N_18offset_tEEE10hipError_tPvRmT1_PNSt15iterator_traitsISY_E10value_typeET2_T3_PNSZ_IS14_E10value_typeET4_jRbjT5_S1A_jjP12ihipStream_tbEUljE_EEESV_SW_SX_S14_S18_S1A_T6_T7_T9_mT8_S1C_bDpT10_ENKUlT_T0_E_clISt17integral_constantIbLb1EES1O_IbLb0EEEEDaS1K_S1L_EUlS1K_E_NS1_11comp_targetILNS1_3genE0ELNS1_11target_archE4294967295ELNS1_3gpuE0ELNS1_3repE0EEENS1_30default_config_static_selectorELNS0_4arch9wavefront6targetE0EEEvSY_
	.p2align	8
	.type	_ZN7rocprim17ROCPRIM_400000_NS6detail17trampoline_kernelINS0_13select_configILj256ELj13ELNS0_17block_load_methodE3ELS4_3ELS4_3ELNS0_20block_scan_algorithmE0ELj4294967295EEENS1_25partition_config_selectorILNS1_17partition_subalgoE3EjNS0_10empty_typeEbEEZZNS1_14partition_implILS8_3ELb0ES6_jNS0_17counting_iteratorIjlEEPS9_SE_NS0_5tupleIJPjSE_EEENSF_IJSE_SE_EEES9_SG_JZNS1_25segmented_radix_sort_implINS0_14default_configELb1EPKaPaPKlPlN2at6native12_GLOBAL__N_18offset_tEEE10hipError_tPvRmT1_PNSt15iterator_traitsISY_E10value_typeET2_T3_PNSZ_IS14_E10value_typeET4_jRbjT5_S1A_jjP12ihipStream_tbEUljE_EEESV_SW_SX_S14_S18_S1A_T6_T7_T9_mT8_S1C_bDpT10_ENKUlT_T0_E_clISt17integral_constantIbLb1EES1O_IbLb0EEEEDaS1K_S1L_EUlS1K_E_NS1_11comp_targetILNS1_3genE0ELNS1_11target_archE4294967295ELNS1_3gpuE0ELNS1_3repE0EEENS1_30default_config_static_selectorELNS0_4arch9wavefront6targetE0EEEvSY_,@function
_ZN7rocprim17ROCPRIM_400000_NS6detail17trampoline_kernelINS0_13select_configILj256ELj13ELNS0_17block_load_methodE3ELS4_3ELS4_3ELNS0_20block_scan_algorithmE0ELj4294967295EEENS1_25partition_config_selectorILNS1_17partition_subalgoE3EjNS0_10empty_typeEbEEZZNS1_14partition_implILS8_3ELb0ES6_jNS0_17counting_iteratorIjlEEPS9_SE_NS0_5tupleIJPjSE_EEENSF_IJSE_SE_EEES9_SG_JZNS1_25segmented_radix_sort_implINS0_14default_configELb1EPKaPaPKlPlN2at6native12_GLOBAL__N_18offset_tEEE10hipError_tPvRmT1_PNSt15iterator_traitsISY_E10value_typeET2_T3_PNSZ_IS14_E10value_typeET4_jRbjT5_S1A_jjP12ihipStream_tbEUljE_EEESV_SW_SX_S14_S18_S1A_T6_T7_T9_mT8_S1C_bDpT10_ENKUlT_T0_E_clISt17integral_constantIbLb1EES1O_IbLb0EEEEDaS1K_S1L_EUlS1K_E_NS1_11comp_targetILNS1_3genE0ELNS1_11target_archE4294967295ELNS1_3gpuE0ELNS1_3repE0EEENS1_30default_config_static_selectorELNS0_4arch9wavefront6targetE0EEEvSY_: ; @_ZN7rocprim17ROCPRIM_400000_NS6detail17trampoline_kernelINS0_13select_configILj256ELj13ELNS0_17block_load_methodE3ELS4_3ELS4_3ELNS0_20block_scan_algorithmE0ELj4294967295EEENS1_25partition_config_selectorILNS1_17partition_subalgoE3EjNS0_10empty_typeEbEEZZNS1_14partition_implILS8_3ELb0ES6_jNS0_17counting_iteratorIjlEEPS9_SE_NS0_5tupleIJPjSE_EEENSF_IJSE_SE_EEES9_SG_JZNS1_25segmented_radix_sort_implINS0_14default_configELb1EPKaPaPKlPlN2at6native12_GLOBAL__N_18offset_tEEE10hipError_tPvRmT1_PNSt15iterator_traitsISY_E10value_typeET2_T3_PNSZ_IS14_E10value_typeET4_jRbjT5_S1A_jjP12ihipStream_tbEUljE_EEESV_SW_SX_S14_S18_S1A_T6_T7_T9_mT8_S1C_bDpT10_ENKUlT_T0_E_clISt17integral_constantIbLb1EES1O_IbLb0EEEEDaS1K_S1L_EUlS1K_E_NS1_11comp_targetILNS1_3genE0ELNS1_11target_archE4294967295ELNS1_3gpuE0ELNS1_3repE0EEENS1_30default_config_static_selectorELNS0_4arch9wavefront6targetE0EEEvSY_
; %bb.0:
	.section	.rodata,"a",@progbits
	.p2align	6, 0x0
	.amdhsa_kernel _ZN7rocprim17ROCPRIM_400000_NS6detail17trampoline_kernelINS0_13select_configILj256ELj13ELNS0_17block_load_methodE3ELS4_3ELS4_3ELNS0_20block_scan_algorithmE0ELj4294967295EEENS1_25partition_config_selectorILNS1_17partition_subalgoE3EjNS0_10empty_typeEbEEZZNS1_14partition_implILS8_3ELb0ES6_jNS0_17counting_iteratorIjlEEPS9_SE_NS0_5tupleIJPjSE_EEENSF_IJSE_SE_EEES9_SG_JZNS1_25segmented_radix_sort_implINS0_14default_configELb1EPKaPaPKlPlN2at6native12_GLOBAL__N_18offset_tEEE10hipError_tPvRmT1_PNSt15iterator_traitsISY_E10value_typeET2_T3_PNSZ_IS14_E10value_typeET4_jRbjT5_S1A_jjP12ihipStream_tbEUljE_EEESV_SW_SX_S14_S18_S1A_T6_T7_T9_mT8_S1C_bDpT10_ENKUlT_T0_E_clISt17integral_constantIbLb1EES1O_IbLb0EEEEDaS1K_S1L_EUlS1K_E_NS1_11comp_targetILNS1_3genE0ELNS1_11target_archE4294967295ELNS1_3gpuE0ELNS1_3repE0EEENS1_30default_config_static_selectorELNS0_4arch9wavefront6targetE0EEEvSY_
		.amdhsa_group_segment_fixed_size 0
		.amdhsa_private_segment_fixed_size 0
		.amdhsa_kernarg_size 144
		.amdhsa_user_sgpr_count 6
		.amdhsa_user_sgpr_private_segment_buffer 1
		.amdhsa_user_sgpr_dispatch_ptr 0
		.amdhsa_user_sgpr_queue_ptr 0
		.amdhsa_user_sgpr_kernarg_segment_ptr 1
		.amdhsa_user_sgpr_dispatch_id 0
		.amdhsa_user_sgpr_flat_scratch_init 0
		.amdhsa_user_sgpr_private_segment_size 0
		.amdhsa_wavefront_size32 1
		.amdhsa_uses_dynamic_stack 0
		.amdhsa_system_sgpr_private_segment_wavefront_offset 0
		.amdhsa_system_sgpr_workgroup_id_x 1
		.amdhsa_system_sgpr_workgroup_id_y 0
		.amdhsa_system_sgpr_workgroup_id_z 0
		.amdhsa_system_sgpr_workgroup_info 0
		.amdhsa_system_vgpr_workitem_id 0
		.amdhsa_next_free_vgpr 1
		.amdhsa_next_free_sgpr 1
		.amdhsa_reserve_vcc 0
		.amdhsa_reserve_flat_scratch 0
		.amdhsa_float_round_mode_32 0
		.amdhsa_float_round_mode_16_64 0
		.amdhsa_float_denorm_mode_32 3
		.amdhsa_float_denorm_mode_16_64 3
		.amdhsa_dx10_clamp 1
		.amdhsa_ieee_mode 1
		.amdhsa_fp16_overflow 0
		.amdhsa_workgroup_processor_mode 1
		.amdhsa_memory_ordered 1
		.amdhsa_forward_progress 1
		.amdhsa_shared_vgpr_count 0
		.amdhsa_exception_fp_ieee_invalid_op 0
		.amdhsa_exception_fp_denorm_src 0
		.amdhsa_exception_fp_ieee_div_zero 0
		.amdhsa_exception_fp_ieee_overflow 0
		.amdhsa_exception_fp_ieee_underflow 0
		.amdhsa_exception_fp_ieee_inexact 0
		.amdhsa_exception_int_div_zero 0
	.end_amdhsa_kernel
	.section	.text._ZN7rocprim17ROCPRIM_400000_NS6detail17trampoline_kernelINS0_13select_configILj256ELj13ELNS0_17block_load_methodE3ELS4_3ELS4_3ELNS0_20block_scan_algorithmE0ELj4294967295EEENS1_25partition_config_selectorILNS1_17partition_subalgoE3EjNS0_10empty_typeEbEEZZNS1_14partition_implILS8_3ELb0ES6_jNS0_17counting_iteratorIjlEEPS9_SE_NS0_5tupleIJPjSE_EEENSF_IJSE_SE_EEES9_SG_JZNS1_25segmented_radix_sort_implINS0_14default_configELb1EPKaPaPKlPlN2at6native12_GLOBAL__N_18offset_tEEE10hipError_tPvRmT1_PNSt15iterator_traitsISY_E10value_typeET2_T3_PNSZ_IS14_E10value_typeET4_jRbjT5_S1A_jjP12ihipStream_tbEUljE_EEESV_SW_SX_S14_S18_S1A_T6_T7_T9_mT8_S1C_bDpT10_ENKUlT_T0_E_clISt17integral_constantIbLb1EES1O_IbLb0EEEEDaS1K_S1L_EUlS1K_E_NS1_11comp_targetILNS1_3genE0ELNS1_11target_archE4294967295ELNS1_3gpuE0ELNS1_3repE0EEENS1_30default_config_static_selectorELNS0_4arch9wavefront6targetE0EEEvSY_,"axG",@progbits,_ZN7rocprim17ROCPRIM_400000_NS6detail17trampoline_kernelINS0_13select_configILj256ELj13ELNS0_17block_load_methodE3ELS4_3ELS4_3ELNS0_20block_scan_algorithmE0ELj4294967295EEENS1_25partition_config_selectorILNS1_17partition_subalgoE3EjNS0_10empty_typeEbEEZZNS1_14partition_implILS8_3ELb0ES6_jNS0_17counting_iteratorIjlEEPS9_SE_NS0_5tupleIJPjSE_EEENSF_IJSE_SE_EEES9_SG_JZNS1_25segmented_radix_sort_implINS0_14default_configELb1EPKaPaPKlPlN2at6native12_GLOBAL__N_18offset_tEEE10hipError_tPvRmT1_PNSt15iterator_traitsISY_E10value_typeET2_T3_PNSZ_IS14_E10value_typeET4_jRbjT5_S1A_jjP12ihipStream_tbEUljE_EEESV_SW_SX_S14_S18_S1A_T6_T7_T9_mT8_S1C_bDpT10_ENKUlT_T0_E_clISt17integral_constantIbLb1EES1O_IbLb0EEEEDaS1K_S1L_EUlS1K_E_NS1_11comp_targetILNS1_3genE0ELNS1_11target_archE4294967295ELNS1_3gpuE0ELNS1_3repE0EEENS1_30default_config_static_selectorELNS0_4arch9wavefront6targetE0EEEvSY_,comdat
.Lfunc_end272:
	.size	_ZN7rocprim17ROCPRIM_400000_NS6detail17trampoline_kernelINS0_13select_configILj256ELj13ELNS0_17block_load_methodE3ELS4_3ELS4_3ELNS0_20block_scan_algorithmE0ELj4294967295EEENS1_25partition_config_selectorILNS1_17partition_subalgoE3EjNS0_10empty_typeEbEEZZNS1_14partition_implILS8_3ELb0ES6_jNS0_17counting_iteratorIjlEEPS9_SE_NS0_5tupleIJPjSE_EEENSF_IJSE_SE_EEES9_SG_JZNS1_25segmented_radix_sort_implINS0_14default_configELb1EPKaPaPKlPlN2at6native12_GLOBAL__N_18offset_tEEE10hipError_tPvRmT1_PNSt15iterator_traitsISY_E10value_typeET2_T3_PNSZ_IS14_E10value_typeET4_jRbjT5_S1A_jjP12ihipStream_tbEUljE_EEESV_SW_SX_S14_S18_S1A_T6_T7_T9_mT8_S1C_bDpT10_ENKUlT_T0_E_clISt17integral_constantIbLb1EES1O_IbLb0EEEEDaS1K_S1L_EUlS1K_E_NS1_11comp_targetILNS1_3genE0ELNS1_11target_archE4294967295ELNS1_3gpuE0ELNS1_3repE0EEENS1_30default_config_static_selectorELNS0_4arch9wavefront6targetE0EEEvSY_, .Lfunc_end272-_ZN7rocprim17ROCPRIM_400000_NS6detail17trampoline_kernelINS0_13select_configILj256ELj13ELNS0_17block_load_methodE3ELS4_3ELS4_3ELNS0_20block_scan_algorithmE0ELj4294967295EEENS1_25partition_config_selectorILNS1_17partition_subalgoE3EjNS0_10empty_typeEbEEZZNS1_14partition_implILS8_3ELb0ES6_jNS0_17counting_iteratorIjlEEPS9_SE_NS0_5tupleIJPjSE_EEENSF_IJSE_SE_EEES9_SG_JZNS1_25segmented_radix_sort_implINS0_14default_configELb1EPKaPaPKlPlN2at6native12_GLOBAL__N_18offset_tEEE10hipError_tPvRmT1_PNSt15iterator_traitsISY_E10value_typeET2_T3_PNSZ_IS14_E10value_typeET4_jRbjT5_S1A_jjP12ihipStream_tbEUljE_EEESV_SW_SX_S14_S18_S1A_T6_T7_T9_mT8_S1C_bDpT10_ENKUlT_T0_E_clISt17integral_constantIbLb1EES1O_IbLb0EEEEDaS1K_S1L_EUlS1K_E_NS1_11comp_targetILNS1_3genE0ELNS1_11target_archE4294967295ELNS1_3gpuE0ELNS1_3repE0EEENS1_30default_config_static_selectorELNS0_4arch9wavefront6targetE0EEEvSY_
                                        ; -- End function
	.set _ZN7rocprim17ROCPRIM_400000_NS6detail17trampoline_kernelINS0_13select_configILj256ELj13ELNS0_17block_load_methodE3ELS4_3ELS4_3ELNS0_20block_scan_algorithmE0ELj4294967295EEENS1_25partition_config_selectorILNS1_17partition_subalgoE3EjNS0_10empty_typeEbEEZZNS1_14partition_implILS8_3ELb0ES6_jNS0_17counting_iteratorIjlEEPS9_SE_NS0_5tupleIJPjSE_EEENSF_IJSE_SE_EEES9_SG_JZNS1_25segmented_radix_sort_implINS0_14default_configELb1EPKaPaPKlPlN2at6native12_GLOBAL__N_18offset_tEEE10hipError_tPvRmT1_PNSt15iterator_traitsISY_E10value_typeET2_T3_PNSZ_IS14_E10value_typeET4_jRbjT5_S1A_jjP12ihipStream_tbEUljE_EEESV_SW_SX_S14_S18_S1A_T6_T7_T9_mT8_S1C_bDpT10_ENKUlT_T0_E_clISt17integral_constantIbLb1EES1O_IbLb0EEEEDaS1K_S1L_EUlS1K_E_NS1_11comp_targetILNS1_3genE0ELNS1_11target_archE4294967295ELNS1_3gpuE0ELNS1_3repE0EEENS1_30default_config_static_selectorELNS0_4arch9wavefront6targetE0EEEvSY_.num_vgpr, 0
	.set _ZN7rocprim17ROCPRIM_400000_NS6detail17trampoline_kernelINS0_13select_configILj256ELj13ELNS0_17block_load_methodE3ELS4_3ELS4_3ELNS0_20block_scan_algorithmE0ELj4294967295EEENS1_25partition_config_selectorILNS1_17partition_subalgoE3EjNS0_10empty_typeEbEEZZNS1_14partition_implILS8_3ELb0ES6_jNS0_17counting_iteratorIjlEEPS9_SE_NS0_5tupleIJPjSE_EEENSF_IJSE_SE_EEES9_SG_JZNS1_25segmented_radix_sort_implINS0_14default_configELb1EPKaPaPKlPlN2at6native12_GLOBAL__N_18offset_tEEE10hipError_tPvRmT1_PNSt15iterator_traitsISY_E10value_typeET2_T3_PNSZ_IS14_E10value_typeET4_jRbjT5_S1A_jjP12ihipStream_tbEUljE_EEESV_SW_SX_S14_S18_S1A_T6_T7_T9_mT8_S1C_bDpT10_ENKUlT_T0_E_clISt17integral_constantIbLb1EES1O_IbLb0EEEEDaS1K_S1L_EUlS1K_E_NS1_11comp_targetILNS1_3genE0ELNS1_11target_archE4294967295ELNS1_3gpuE0ELNS1_3repE0EEENS1_30default_config_static_selectorELNS0_4arch9wavefront6targetE0EEEvSY_.num_agpr, 0
	.set _ZN7rocprim17ROCPRIM_400000_NS6detail17trampoline_kernelINS0_13select_configILj256ELj13ELNS0_17block_load_methodE3ELS4_3ELS4_3ELNS0_20block_scan_algorithmE0ELj4294967295EEENS1_25partition_config_selectorILNS1_17partition_subalgoE3EjNS0_10empty_typeEbEEZZNS1_14partition_implILS8_3ELb0ES6_jNS0_17counting_iteratorIjlEEPS9_SE_NS0_5tupleIJPjSE_EEENSF_IJSE_SE_EEES9_SG_JZNS1_25segmented_radix_sort_implINS0_14default_configELb1EPKaPaPKlPlN2at6native12_GLOBAL__N_18offset_tEEE10hipError_tPvRmT1_PNSt15iterator_traitsISY_E10value_typeET2_T3_PNSZ_IS14_E10value_typeET4_jRbjT5_S1A_jjP12ihipStream_tbEUljE_EEESV_SW_SX_S14_S18_S1A_T6_T7_T9_mT8_S1C_bDpT10_ENKUlT_T0_E_clISt17integral_constantIbLb1EES1O_IbLb0EEEEDaS1K_S1L_EUlS1K_E_NS1_11comp_targetILNS1_3genE0ELNS1_11target_archE4294967295ELNS1_3gpuE0ELNS1_3repE0EEENS1_30default_config_static_selectorELNS0_4arch9wavefront6targetE0EEEvSY_.numbered_sgpr, 0
	.set _ZN7rocprim17ROCPRIM_400000_NS6detail17trampoline_kernelINS0_13select_configILj256ELj13ELNS0_17block_load_methodE3ELS4_3ELS4_3ELNS0_20block_scan_algorithmE0ELj4294967295EEENS1_25partition_config_selectorILNS1_17partition_subalgoE3EjNS0_10empty_typeEbEEZZNS1_14partition_implILS8_3ELb0ES6_jNS0_17counting_iteratorIjlEEPS9_SE_NS0_5tupleIJPjSE_EEENSF_IJSE_SE_EEES9_SG_JZNS1_25segmented_radix_sort_implINS0_14default_configELb1EPKaPaPKlPlN2at6native12_GLOBAL__N_18offset_tEEE10hipError_tPvRmT1_PNSt15iterator_traitsISY_E10value_typeET2_T3_PNSZ_IS14_E10value_typeET4_jRbjT5_S1A_jjP12ihipStream_tbEUljE_EEESV_SW_SX_S14_S18_S1A_T6_T7_T9_mT8_S1C_bDpT10_ENKUlT_T0_E_clISt17integral_constantIbLb1EES1O_IbLb0EEEEDaS1K_S1L_EUlS1K_E_NS1_11comp_targetILNS1_3genE0ELNS1_11target_archE4294967295ELNS1_3gpuE0ELNS1_3repE0EEENS1_30default_config_static_selectorELNS0_4arch9wavefront6targetE0EEEvSY_.num_named_barrier, 0
	.set _ZN7rocprim17ROCPRIM_400000_NS6detail17trampoline_kernelINS0_13select_configILj256ELj13ELNS0_17block_load_methodE3ELS4_3ELS4_3ELNS0_20block_scan_algorithmE0ELj4294967295EEENS1_25partition_config_selectorILNS1_17partition_subalgoE3EjNS0_10empty_typeEbEEZZNS1_14partition_implILS8_3ELb0ES6_jNS0_17counting_iteratorIjlEEPS9_SE_NS0_5tupleIJPjSE_EEENSF_IJSE_SE_EEES9_SG_JZNS1_25segmented_radix_sort_implINS0_14default_configELb1EPKaPaPKlPlN2at6native12_GLOBAL__N_18offset_tEEE10hipError_tPvRmT1_PNSt15iterator_traitsISY_E10value_typeET2_T3_PNSZ_IS14_E10value_typeET4_jRbjT5_S1A_jjP12ihipStream_tbEUljE_EEESV_SW_SX_S14_S18_S1A_T6_T7_T9_mT8_S1C_bDpT10_ENKUlT_T0_E_clISt17integral_constantIbLb1EES1O_IbLb0EEEEDaS1K_S1L_EUlS1K_E_NS1_11comp_targetILNS1_3genE0ELNS1_11target_archE4294967295ELNS1_3gpuE0ELNS1_3repE0EEENS1_30default_config_static_selectorELNS0_4arch9wavefront6targetE0EEEvSY_.private_seg_size, 0
	.set _ZN7rocprim17ROCPRIM_400000_NS6detail17trampoline_kernelINS0_13select_configILj256ELj13ELNS0_17block_load_methodE3ELS4_3ELS4_3ELNS0_20block_scan_algorithmE0ELj4294967295EEENS1_25partition_config_selectorILNS1_17partition_subalgoE3EjNS0_10empty_typeEbEEZZNS1_14partition_implILS8_3ELb0ES6_jNS0_17counting_iteratorIjlEEPS9_SE_NS0_5tupleIJPjSE_EEENSF_IJSE_SE_EEES9_SG_JZNS1_25segmented_radix_sort_implINS0_14default_configELb1EPKaPaPKlPlN2at6native12_GLOBAL__N_18offset_tEEE10hipError_tPvRmT1_PNSt15iterator_traitsISY_E10value_typeET2_T3_PNSZ_IS14_E10value_typeET4_jRbjT5_S1A_jjP12ihipStream_tbEUljE_EEESV_SW_SX_S14_S18_S1A_T6_T7_T9_mT8_S1C_bDpT10_ENKUlT_T0_E_clISt17integral_constantIbLb1EES1O_IbLb0EEEEDaS1K_S1L_EUlS1K_E_NS1_11comp_targetILNS1_3genE0ELNS1_11target_archE4294967295ELNS1_3gpuE0ELNS1_3repE0EEENS1_30default_config_static_selectorELNS0_4arch9wavefront6targetE0EEEvSY_.uses_vcc, 0
	.set _ZN7rocprim17ROCPRIM_400000_NS6detail17trampoline_kernelINS0_13select_configILj256ELj13ELNS0_17block_load_methodE3ELS4_3ELS4_3ELNS0_20block_scan_algorithmE0ELj4294967295EEENS1_25partition_config_selectorILNS1_17partition_subalgoE3EjNS0_10empty_typeEbEEZZNS1_14partition_implILS8_3ELb0ES6_jNS0_17counting_iteratorIjlEEPS9_SE_NS0_5tupleIJPjSE_EEENSF_IJSE_SE_EEES9_SG_JZNS1_25segmented_radix_sort_implINS0_14default_configELb1EPKaPaPKlPlN2at6native12_GLOBAL__N_18offset_tEEE10hipError_tPvRmT1_PNSt15iterator_traitsISY_E10value_typeET2_T3_PNSZ_IS14_E10value_typeET4_jRbjT5_S1A_jjP12ihipStream_tbEUljE_EEESV_SW_SX_S14_S18_S1A_T6_T7_T9_mT8_S1C_bDpT10_ENKUlT_T0_E_clISt17integral_constantIbLb1EES1O_IbLb0EEEEDaS1K_S1L_EUlS1K_E_NS1_11comp_targetILNS1_3genE0ELNS1_11target_archE4294967295ELNS1_3gpuE0ELNS1_3repE0EEENS1_30default_config_static_selectorELNS0_4arch9wavefront6targetE0EEEvSY_.uses_flat_scratch, 0
	.set _ZN7rocprim17ROCPRIM_400000_NS6detail17trampoline_kernelINS0_13select_configILj256ELj13ELNS0_17block_load_methodE3ELS4_3ELS4_3ELNS0_20block_scan_algorithmE0ELj4294967295EEENS1_25partition_config_selectorILNS1_17partition_subalgoE3EjNS0_10empty_typeEbEEZZNS1_14partition_implILS8_3ELb0ES6_jNS0_17counting_iteratorIjlEEPS9_SE_NS0_5tupleIJPjSE_EEENSF_IJSE_SE_EEES9_SG_JZNS1_25segmented_radix_sort_implINS0_14default_configELb1EPKaPaPKlPlN2at6native12_GLOBAL__N_18offset_tEEE10hipError_tPvRmT1_PNSt15iterator_traitsISY_E10value_typeET2_T3_PNSZ_IS14_E10value_typeET4_jRbjT5_S1A_jjP12ihipStream_tbEUljE_EEESV_SW_SX_S14_S18_S1A_T6_T7_T9_mT8_S1C_bDpT10_ENKUlT_T0_E_clISt17integral_constantIbLb1EES1O_IbLb0EEEEDaS1K_S1L_EUlS1K_E_NS1_11comp_targetILNS1_3genE0ELNS1_11target_archE4294967295ELNS1_3gpuE0ELNS1_3repE0EEENS1_30default_config_static_selectorELNS0_4arch9wavefront6targetE0EEEvSY_.has_dyn_sized_stack, 0
	.set _ZN7rocprim17ROCPRIM_400000_NS6detail17trampoline_kernelINS0_13select_configILj256ELj13ELNS0_17block_load_methodE3ELS4_3ELS4_3ELNS0_20block_scan_algorithmE0ELj4294967295EEENS1_25partition_config_selectorILNS1_17partition_subalgoE3EjNS0_10empty_typeEbEEZZNS1_14partition_implILS8_3ELb0ES6_jNS0_17counting_iteratorIjlEEPS9_SE_NS0_5tupleIJPjSE_EEENSF_IJSE_SE_EEES9_SG_JZNS1_25segmented_radix_sort_implINS0_14default_configELb1EPKaPaPKlPlN2at6native12_GLOBAL__N_18offset_tEEE10hipError_tPvRmT1_PNSt15iterator_traitsISY_E10value_typeET2_T3_PNSZ_IS14_E10value_typeET4_jRbjT5_S1A_jjP12ihipStream_tbEUljE_EEESV_SW_SX_S14_S18_S1A_T6_T7_T9_mT8_S1C_bDpT10_ENKUlT_T0_E_clISt17integral_constantIbLb1EES1O_IbLb0EEEEDaS1K_S1L_EUlS1K_E_NS1_11comp_targetILNS1_3genE0ELNS1_11target_archE4294967295ELNS1_3gpuE0ELNS1_3repE0EEENS1_30default_config_static_selectorELNS0_4arch9wavefront6targetE0EEEvSY_.has_recursion, 0
	.set _ZN7rocprim17ROCPRIM_400000_NS6detail17trampoline_kernelINS0_13select_configILj256ELj13ELNS0_17block_load_methodE3ELS4_3ELS4_3ELNS0_20block_scan_algorithmE0ELj4294967295EEENS1_25partition_config_selectorILNS1_17partition_subalgoE3EjNS0_10empty_typeEbEEZZNS1_14partition_implILS8_3ELb0ES6_jNS0_17counting_iteratorIjlEEPS9_SE_NS0_5tupleIJPjSE_EEENSF_IJSE_SE_EEES9_SG_JZNS1_25segmented_radix_sort_implINS0_14default_configELb1EPKaPaPKlPlN2at6native12_GLOBAL__N_18offset_tEEE10hipError_tPvRmT1_PNSt15iterator_traitsISY_E10value_typeET2_T3_PNSZ_IS14_E10value_typeET4_jRbjT5_S1A_jjP12ihipStream_tbEUljE_EEESV_SW_SX_S14_S18_S1A_T6_T7_T9_mT8_S1C_bDpT10_ENKUlT_T0_E_clISt17integral_constantIbLb1EES1O_IbLb0EEEEDaS1K_S1L_EUlS1K_E_NS1_11comp_targetILNS1_3genE0ELNS1_11target_archE4294967295ELNS1_3gpuE0ELNS1_3repE0EEENS1_30default_config_static_selectorELNS0_4arch9wavefront6targetE0EEEvSY_.has_indirect_call, 0
	.section	.AMDGPU.csdata,"",@progbits
; Kernel info:
; codeLenInByte = 0
; TotalNumSgprs: 0
; NumVgprs: 0
; ScratchSize: 0
; MemoryBound: 0
; FloatMode: 240
; IeeeMode: 1
; LDSByteSize: 0 bytes/workgroup (compile time only)
; SGPRBlocks: 0
; VGPRBlocks: 0
; NumSGPRsForWavesPerEU: 1
; NumVGPRsForWavesPerEU: 1
; Occupancy: 16
; WaveLimiterHint : 0
; COMPUTE_PGM_RSRC2:SCRATCH_EN: 0
; COMPUTE_PGM_RSRC2:USER_SGPR: 6
; COMPUTE_PGM_RSRC2:TRAP_HANDLER: 0
; COMPUTE_PGM_RSRC2:TGID_X_EN: 1
; COMPUTE_PGM_RSRC2:TGID_Y_EN: 0
; COMPUTE_PGM_RSRC2:TGID_Z_EN: 0
; COMPUTE_PGM_RSRC2:TIDIG_COMP_CNT: 0
	.section	.text._ZN7rocprim17ROCPRIM_400000_NS6detail17trampoline_kernelINS0_13select_configILj256ELj13ELNS0_17block_load_methodE3ELS4_3ELS4_3ELNS0_20block_scan_algorithmE0ELj4294967295EEENS1_25partition_config_selectorILNS1_17partition_subalgoE3EjNS0_10empty_typeEbEEZZNS1_14partition_implILS8_3ELb0ES6_jNS0_17counting_iteratorIjlEEPS9_SE_NS0_5tupleIJPjSE_EEENSF_IJSE_SE_EEES9_SG_JZNS1_25segmented_radix_sort_implINS0_14default_configELb1EPKaPaPKlPlN2at6native12_GLOBAL__N_18offset_tEEE10hipError_tPvRmT1_PNSt15iterator_traitsISY_E10value_typeET2_T3_PNSZ_IS14_E10value_typeET4_jRbjT5_S1A_jjP12ihipStream_tbEUljE_EEESV_SW_SX_S14_S18_S1A_T6_T7_T9_mT8_S1C_bDpT10_ENKUlT_T0_E_clISt17integral_constantIbLb1EES1O_IbLb0EEEEDaS1K_S1L_EUlS1K_E_NS1_11comp_targetILNS1_3genE5ELNS1_11target_archE942ELNS1_3gpuE9ELNS1_3repE0EEENS1_30default_config_static_selectorELNS0_4arch9wavefront6targetE0EEEvSY_,"axG",@progbits,_ZN7rocprim17ROCPRIM_400000_NS6detail17trampoline_kernelINS0_13select_configILj256ELj13ELNS0_17block_load_methodE3ELS4_3ELS4_3ELNS0_20block_scan_algorithmE0ELj4294967295EEENS1_25partition_config_selectorILNS1_17partition_subalgoE3EjNS0_10empty_typeEbEEZZNS1_14partition_implILS8_3ELb0ES6_jNS0_17counting_iteratorIjlEEPS9_SE_NS0_5tupleIJPjSE_EEENSF_IJSE_SE_EEES9_SG_JZNS1_25segmented_radix_sort_implINS0_14default_configELb1EPKaPaPKlPlN2at6native12_GLOBAL__N_18offset_tEEE10hipError_tPvRmT1_PNSt15iterator_traitsISY_E10value_typeET2_T3_PNSZ_IS14_E10value_typeET4_jRbjT5_S1A_jjP12ihipStream_tbEUljE_EEESV_SW_SX_S14_S18_S1A_T6_T7_T9_mT8_S1C_bDpT10_ENKUlT_T0_E_clISt17integral_constantIbLb1EES1O_IbLb0EEEEDaS1K_S1L_EUlS1K_E_NS1_11comp_targetILNS1_3genE5ELNS1_11target_archE942ELNS1_3gpuE9ELNS1_3repE0EEENS1_30default_config_static_selectorELNS0_4arch9wavefront6targetE0EEEvSY_,comdat
	.globl	_ZN7rocprim17ROCPRIM_400000_NS6detail17trampoline_kernelINS0_13select_configILj256ELj13ELNS0_17block_load_methodE3ELS4_3ELS4_3ELNS0_20block_scan_algorithmE0ELj4294967295EEENS1_25partition_config_selectorILNS1_17partition_subalgoE3EjNS0_10empty_typeEbEEZZNS1_14partition_implILS8_3ELb0ES6_jNS0_17counting_iteratorIjlEEPS9_SE_NS0_5tupleIJPjSE_EEENSF_IJSE_SE_EEES9_SG_JZNS1_25segmented_radix_sort_implINS0_14default_configELb1EPKaPaPKlPlN2at6native12_GLOBAL__N_18offset_tEEE10hipError_tPvRmT1_PNSt15iterator_traitsISY_E10value_typeET2_T3_PNSZ_IS14_E10value_typeET4_jRbjT5_S1A_jjP12ihipStream_tbEUljE_EEESV_SW_SX_S14_S18_S1A_T6_T7_T9_mT8_S1C_bDpT10_ENKUlT_T0_E_clISt17integral_constantIbLb1EES1O_IbLb0EEEEDaS1K_S1L_EUlS1K_E_NS1_11comp_targetILNS1_3genE5ELNS1_11target_archE942ELNS1_3gpuE9ELNS1_3repE0EEENS1_30default_config_static_selectorELNS0_4arch9wavefront6targetE0EEEvSY_ ; -- Begin function _ZN7rocprim17ROCPRIM_400000_NS6detail17trampoline_kernelINS0_13select_configILj256ELj13ELNS0_17block_load_methodE3ELS4_3ELS4_3ELNS0_20block_scan_algorithmE0ELj4294967295EEENS1_25partition_config_selectorILNS1_17partition_subalgoE3EjNS0_10empty_typeEbEEZZNS1_14partition_implILS8_3ELb0ES6_jNS0_17counting_iteratorIjlEEPS9_SE_NS0_5tupleIJPjSE_EEENSF_IJSE_SE_EEES9_SG_JZNS1_25segmented_radix_sort_implINS0_14default_configELb1EPKaPaPKlPlN2at6native12_GLOBAL__N_18offset_tEEE10hipError_tPvRmT1_PNSt15iterator_traitsISY_E10value_typeET2_T3_PNSZ_IS14_E10value_typeET4_jRbjT5_S1A_jjP12ihipStream_tbEUljE_EEESV_SW_SX_S14_S18_S1A_T6_T7_T9_mT8_S1C_bDpT10_ENKUlT_T0_E_clISt17integral_constantIbLb1EES1O_IbLb0EEEEDaS1K_S1L_EUlS1K_E_NS1_11comp_targetILNS1_3genE5ELNS1_11target_archE942ELNS1_3gpuE9ELNS1_3repE0EEENS1_30default_config_static_selectorELNS0_4arch9wavefront6targetE0EEEvSY_
	.p2align	8
	.type	_ZN7rocprim17ROCPRIM_400000_NS6detail17trampoline_kernelINS0_13select_configILj256ELj13ELNS0_17block_load_methodE3ELS4_3ELS4_3ELNS0_20block_scan_algorithmE0ELj4294967295EEENS1_25partition_config_selectorILNS1_17partition_subalgoE3EjNS0_10empty_typeEbEEZZNS1_14partition_implILS8_3ELb0ES6_jNS0_17counting_iteratorIjlEEPS9_SE_NS0_5tupleIJPjSE_EEENSF_IJSE_SE_EEES9_SG_JZNS1_25segmented_radix_sort_implINS0_14default_configELb1EPKaPaPKlPlN2at6native12_GLOBAL__N_18offset_tEEE10hipError_tPvRmT1_PNSt15iterator_traitsISY_E10value_typeET2_T3_PNSZ_IS14_E10value_typeET4_jRbjT5_S1A_jjP12ihipStream_tbEUljE_EEESV_SW_SX_S14_S18_S1A_T6_T7_T9_mT8_S1C_bDpT10_ENKUlT_T0_E_clISt17integral_constantIbLb1EES1O_IbLb0EEEEDaS1K_S1L_EUlS1K_E_NS1_11comp_targetILNS1_3genE5ELNS1_11target_archE942ELNS1_3gpuE9ELNS1_3repE0EEENS1_30default_config_static_selectorELNS0_4arch9wavefront6targetE0EEEvSY_,@function
_ZN7rocprim17ROCPRIM_400000_NS6detail17trampoline_kernelINS0_13select_configILj256ELj13ELNS0_17block_load_methodE3ELS4_3ELS4_3ELNS0_20block_scan_algorithmE0ELj4294967295EEENS1_25partition_config_selectorILNS1_17partition_subalgoE3EjNS0_10empty_typeEbEEZZNS1_14partition_implILS8_3ELb0ES6_jNS0_17counting_iteratorIjlEEPS9_SE_NS0_5tupleIJPjSE_EEENSF_IJSE_SE_EEES9_SG_JZNS1_25segmented_radix_sort_implINS0_14default_configELb1EPKaPaPKlPlN2at6native12_GLOBAL__N_18offset_tEEE10hipError_tPvRmT1_PNSt15iterator_traitsISY_E10value_typeET2_T3_PNSZ_IS14_E10value_typeET4_jRbjT5_S1A_jjP12ihipStream_tbEUljE_EEESV_SW_SX_S14_S18_S1A_T6_T7_T9_mT8_S1C_bDpT10_ENKUlT_T0_E_clISt17integral_constantIbLb1EES1O_IbLb0EEEEDaS1K_S1L_EUlS1K_E_NS1_11comp_targetILNS1_3genE5ELNS1_11target_archE942ELNS1_3gpuE9ELNS1_3repE0EEENS1_30default_config_static_selectorELNS0_4arch9wavefront6targetE0EEEvSY_: ; @_ZN7rocprim17ROCPRIM_400000_NS6detail17trampoline_kernelINS0_13select_configILj256ELj13ELNS0_17block_load_methodE3ELS4_3ELS4_3ELNS0_20block_scan_algorithmE0ELj4294967295EEENS1_25partition_config_selectorILNS1_17partition_subalgoE3EjNS0_10empty_typeEbEEZZNS1_14partition_implILS8_3ELb0ES6_jNS0_17counting_iteratorIjlEEPS9_SE_NS0_5tupleIJPjSE_EEENSF_IJSE_SE_EEES9_SG_JZNS1_25segmented_radix_sort_implINS0_14default_configELb1EPKaPaPKlPlN2at6native12_GLOBAL__N_18offset_tEEE10hipError_tPvRmT1_PNSt15iterator_traitsISY_E10value_typeET2_T3_PNSZ_IS14_E10value_typeET4_jRbjT5_S1A_jjP12ihipStream_tbEUljE_EEESV_SW_SX_S14_S18_S1A_T6_T7_T9_mT8_S1C_bDpT10_ENKUlT_T0_E_clISt17integral_constantIbLb1EES1O_IbLb0EEEEDaS1K_S1L_EUlS1K_E_NS1_11comp_targetILNS1_3genE5ELNS1_11target_archE942ELNS1_3gpuE9ELNS1_3repE0EEENS1_30default_config_static_selectorELNS0_4arch9wavefront6targetE0EEEvSY_
; %bb.0:
	.section	.rodata,"a",@progbits
	.p2align	6, 0x0
	.amdhsa_kernel _ZN7rocprim17ROCPRIM_400000_NS6detail17trampoline_kernelINS0_13select_configILj256ELj13ELNS0_17block_load_methodE3ELS4_3ELS4_3ELNS0_20block_scan_algorithmE0ELj4294967295EEENS1_25partition_config_selectorILNS1_17partition_subalgoE3EjNS0_10empty_typeEbEEZZNS1_14partition_implILS8_3ELb0ES6_jNS0_17counting_iteratorIjlEEPS9_SE_NS0_5tupleIJPjSE_EEENSF_IJSE_SE_EEES9_SG_JZNS1_25segmented_radix_sort_implINS0_14default_configELb1EPKaPaPKlPlN2at6native12_GLOBAL__N_18offset_tEEE10hipError_tPvRmT1_PNSt15iterator_traitsISY_E10value_typeET2_T3_PNSZ_IS14_E10value_typeET4_jRbjT5_S1A_jjP12ihipStream_tbEUljE_EEESV_SW_SX_S14_S18_S1A_T6_T7_T9_mT8_S1C_bDpT10_ENKUlT_T0_E_clISt17integral_constantIbLb1EES1O_IbLb0EEEEDaS1K_S1L_EUlS1K_E_NS1_11comp_targetILNS1_3genE5ELNS1_11target_archE942ELNS1_3gpuE9ELNS1_3repE0EEENS1_30default_config_static_selectorELNS0_4arch9wavefront6targetE0EEEvSY_
		.amdhsa_group_segment_fixed_size 0
		.amdhsa_private_segment_fixed_size 0
		.amdhsa_kernarg_size 144
		.amdhsa_user_sgpr_count 6
		.amdhsa_user_sgpr_private_segment_buffer 1
		.amdhsa_user_sgpr_dispatch_ptr 0
		.amdhsa_user_sgpr_queue_ptr 0
		.amdhsa_user_sgpr_kernarg_segment_ptr 1
		.amdhsa_user_sgpr_dispatch_id 0
		.amdhsa_user_sgpr_flat_scratch_init 0
		.amdhsa_user_sgpr_private_segment_size 0
		.amdhsa_wavefront_size32 1
		.amdhsa_uses_dynamic_stack 0
		.amdhsa_system_sgpr_private_segment_wavefront_offset 0
		.amdhsa_system_sgpr_workgroup_id_x 1
		.amdhsa_system_sgpr_workgroup_id_y 0
		.amdhsa_system_sgpr_workgroup_id_z 0
		.amdhsa_system_sgpr_workgroup_info 0
		.amdhsa_system_vgpr_workitem_id 0
		.amdhsa_next_free_vgpr 1
		.amdhsa_next_free_sgpr 1
		.amdhsa_reserve_vcc 0
		.amdhsa_reserve_flat_scratch 0
		.amdhsa_float_round_mode_32 0
		.amdhsa_float_round_mode_16_64 0
		.amdhsa_float_denorm_mode_32 3
		.amdhsa_float_denorm_mode_16_64 3
		.amdhsa_dx10_clamp 1
		.amdhsa_ieee_mode 1
		.amdhsa_fp16_overflow 0
		.amdhsa_workgroup_processor_mode 1
		.amdhsa_memory_ordered 1
		.amdhsa_forward_progress 1
		.amdhsa_shared_vgpr_count 0
		.amdhsa_exception_fp_ieee_invalid_op 0
		.amdhsa_exception_fp_denorm_src 0
		.amdhsa_exception_fp_ieee_div_zero 0
		.amdhsa_exception_fp_ieee_overflow 0
		.amdhsa_exception_fp_ieee_underflow 0
		.amdhsa_exception_fp_ieee_inexact 0
		.amdhsa_exception_int_div_zero 0
	.end_amdhsa_kernel
	.section	.text._ZN7rocprim17ROCPRIM_400000_NS6detail17trampoline_kernelINS0_13select_configILj256ELj13ELNS0_17block_load_methodE3ELS4_3ELS4_3ELNS0_20block_scan_algorithmE0ELj4294967295EEENS1_25partition_config_selectorILNS1_17partition_subalgoE3EjNS0_10empty_typeEbEEZZNS1_14partition_implILS8_3ELb0ES6_jNS0_17counting_iteratorIjlEEPS9_SE_NS0_5tupleIJPjSE_EEENSF_IJSE_SE_EEES9_SG_JZNS1_25segmented_radix_sort_implINS0_14default_configELb1EPKaPaPKlPlN2at6native12_GLOBAL__N_18offset_tEEE10hipError_tPvRmT1_PNSt15iterator_traitsISY_E10value_typeET2_T3_PNSZ_IS14_E10value_typeET4_jRbjT5_S1A_jjP12ihipStream_tbEUljE_EEESV_SW_SX_S14_S18_S1A_T6_T7_T9_mT8_S1C_bDpT10_ENKUlT_T0_E_clISt17integral_constantIbLb1EES1O_IbLb0EEEEDaS1K_S1L_EUlS1K_E_NS1_11comp_targetILNS1_3genE5ELNS1_11target_archE942ELNS1_3gpuE9ELNS1_3repE0EEENS1_30default_config_static_selectorELNS0_4arch9wavefront6targetE0EEEvSY_,"axG",@progbits,_ZN7rocprim17ROCPRIM_400000_NS6detail17trampoline_kernelINS0_13select_configILj256ELj13ELNS0_17block_load_methodE3ELS4_3ELS4_3ELNS0_20block_scan_algorithmE0ELj4294967295EEENS1_25partition_config_selectorILNS1_17partition_subalgoE3EjNS0_10empty_typeEbEEZZNS1_14partition_implILS8_3ELb0ES6_jNS0_17counting_iteratorIjlEEPS9_SE_NS0_5tupleIJPjSE_EEENSF_IJSE_SE_EEES9_SG_JZNS1_25segmented_radix_sort_implINS0_14default_configELb1EPKaPaPKlPlN2at6native12_GLOBAL__N_18offset_tEEE10hipError_tPvRmT1_PNSt15iterator_traitsISY_E10value_typeET2_T3_PNSZ_IS14_E10value_typeET4_jRbjT5_S1A_jjP12ihipStream_tbEUljE_EEESV_SW_SX_S14_S18_S1A_T6_T7_T9_mT8_S1C_bDpT10_ENKUlT_T0_E_clISt17integral_constantIbLb1EES1O_IbLb0EEEEDaS1K_S1L_EUlS1K_E_NS1_11comp_targetILNS1_3genE5ELNS1_11target_archE942ELNS1_3gpuE9ELNS1_3repE0EEENS1_30default_config_static_selectorELNS0_4arch9wavefront6targetE0EEEvSY_,comdat
.Lfunc_end273:
	.size	_ZN7rocprim17ROCPRIM_400000_NS6detail17trampoline_kernelINS0_13select_configILj256ELj13ELNS0_17block_load_methodE3ELS4_3ELS4_3ELNS0_20block_scan_algorithmE0ELj4294967295EEENS1_25partition_config_selectorILNS1_17partition_subalgoE3EjNS0_10empty_typeEbEEZZNS1_14partition_implILS8_3ELb0ES6_jNS0_17counting_iteratorIjlEEPS9_SE_NS0_5tupleIJPjSE_EEENSF_IJSE_SE_EEES9_SG_JZNS1_25segmented_radix_sort_implINS0_14default_configELb1EPKaPaPKlPlN2at6native12_GLOBAL__N_18offset_tEEE10hipError_tPvRmT1_PNSt15iterator_traitsISY_E10value_typeET2_T3_PNSZ_IS14_E10value_typeET4_jRbjT5_S1A_jjP12ihipStream_tbEUljE_EEESV_SW_SX_S14_S18_S1A_T6_T7_T9_mT8_S1C_bDpT10_ENKUlT_T0_E_clISt17integral_constantIbLb1EES1O_IbLb0EEEEDaS1K_S1L_EUlS1K_E_NS1_11comp_targetILNS1_3genE5ELNS1_11target_archE942ELNS1_3gpuE9ELNS1_3repE0EEENS1_30default_config_static_selectorELNS0_4arch9wavefront6targetE0EEEvSY_, .Lfunc_end273-_ZN7rocprim17ROCPRIM_400000_NS6detail17trampoline_kernelINS0_13select_configILj256ELj13ELNS0_17block_load_methodE3ELS4_3ELS4_3ELNS0_20block_scan_algorithmE0ELj4294967295EEENS1_25partition_config_selectorILNS1_17partition_subalgoE3EjNS0_10empty_typeEbEEZZNS1_14partition_implILS8_3ELb0ES6_jNS0_17counting_iteratorIjlEEPS9_SE_NS0_5tupleIJPjSE_EEENSF_IJSE_SE_EEES9_SG_JZNS1_25segmented_radix_sort_implINS0_14default_configELb1EPKaPaPKlPlN2at6native12_GLOBAL__N_18offset_tEEE10hipError_tPvRmT1_PNSt15iterator_traitsISY_E10value_typeET2_T3_PNSZ_IS14_E10value_typeET4_jRbjT5_S1A_jjP12ihipStream_tbEUljE_EEESV_SW_SX_S14_S18_S1A_T6_T7_T9_mT8_S1C_bDpT10_ENKUlT_T0_E_clISt17integral_constantIbLb1EES1O_IbLb0EEEEDaS1K_S1L_EUlS1K_E_NS1_11comp_targetILNS1_3genE5ELNS1_11target_archE942ELNS1_3gpuE9ELNS1_3repE0EEENS1_30default_config_static_selectorELNS0_4arch9wavefront6targetE0EEEvSY_
                                        ; -- End function
	.set _ZN7rocprim17ROCPRIM_400000_NS6detail17trampoline_kernelINS0_13select_configILj256ELj13ELNS0_17block_load_methodE3ELS4_3ELS4_3ELNS0_20block_scan_algorithmE0ELj4294967295EEENS1_25partition_config_selectorILNS1_17partition_subalgoE3EjNS0_10empty_typeEbEEZZNS1_14partition_implILS8_3ELb0ES6_jNS0_17counting_iteratorIjlEEPS9_SE_NS0_5tupleIJPjSE_EEENSF_IJSE_SE_EEES9_SG_JZNS1_25segmented_radix_sort_implINS0_14default_configELb1EPKaPaPKlPlN2at6native12_GLOBAL__N_18offset_tEEE10hipError_tPvRmT1_PNSt15iterator_traitsISY_E10value_typeET2_T3_PNSZ_IS14_E10value_typeET4_jRbjT5_S1A_jjP12ihipStream_tbEUljE_EEESV_SW_SX_S14_S18_S1A_T6_T7_T9_mT8_S1C_bDpT10_ENKUlT_T0_E_clISt17integral_constantIbLb1EES1O_IbLb0EEEEDaS1K_S1L_EUlS1K_E_NS1_11comp_targetILNS1_3genE5ELNS1_11target_archE942ELNS1_3gpuE9ELNS1_3repE0EEENS1_30default_config_static_selectorELNS0_4arch9wavefront6targetE0EEEvSY_.num_vgpr, 0
	.set _ZN7rocprim17ROCPRIM_400000_NS6detail17trampoline_kernelINS0_13select_configILj256ELj13ELNS0_17block_load_methodE3ELS4_3ELS4_3ELNS0_20block_scan_algorithmE0ELj4294967295EEENS1_25partition_config_selectorILNS1_17partition_subalgoE3EjNS0_10empty_typeEbEEZZNS1_14partition_implILS8_3ELb0ES6_jNS0_17counting_iteratorIjlEEPS9_SE_NS0_5tupleIJPjSE_EEENSF_IJSE_SE_EEES9_SG_JZNS1_25segmented_radix_sort_implINS0_14default_configELb1EPKaPaPKlPlN2at6native12_GLOBAL__N_18offset_tEEE10hipError_tPvRmT1_PNSt15iterator_traitsISY_E10value_typeET2_T3_PNSZ_IS14_E10value_typeET4_jRbjT5_S1A_jjP12ihipStream_tbEUljE_EEESV_SW_SX_S14_S18_S1A_T6_T7_T9_mT8_S1C_bDpT10_ENKUlT_T0_E_clISt17integral_constantIbLb1EES1O_IbLb0EEEEDaS1K_S1L_EUlS1K_E_NS1_11comp_targetILNS1_3genE5ELNS1_11target_archE942ELNS1_3gpuE9ELNS1_3repE0EEENS1_30default_config_static_selectorELNS0_4arch9wavefront6targetE0EEEvSY_.num_agpr, 0
	.set _ZN7rocprim17ROCPRIM_400000_NS6detail17trampoline_kernelINS0_13select_configILj256ELj13ELNS0_17block_load_methodE3ELS4_3ELS4_3ELNS0_20block_scan_algorithmE0ELj4294967295EEENS1_25partition_config_selectorILNS1_17partition_subalgoE3EjNS0_10empty_typeEbEEZZNS1_14partition_implILS8_3ELb0ES6_jNS0_17counting_iteratorIjlEEPS9_SE_NS0_5tupleIJPjSE_EEENSF_IJSE_SE_EEES9_SG_JZNS1_25segmented_radix_sort_implINS0_14default_configELb1EPKaPaPKlPlN2at6native12_GLOBAL__N_18offset_tEEE10hipError_tPvRmT1_PNSt15iterator_traitsISY_E10value_typeET2_T3_PNSZ_IS14_E10value_typeET4_jRbjT5_S1A_jjP12ihipStream_tbEUljE_EEESV_SW_SX_S14_S18_S1A_T6_T7_T9_mT8_S1C_bDpT10_ENKUlT_T0_E_clISt17integral_constantIbLb1EES1O_IbLb0EEEEDaS1K_S1L_EUlS1K_E_NS1_11comp_targetILNS1_3genE5ELNS1_11target_archE942ELNS1_3gpuE9ELNS1_3repE0EEENS1_30default_config_static_selectorELNS0_4arch9wavefront6targetE0EEEvSY_.numbered_sgpr, 0
	.set _ZN7rocprim17ROCPRIM_400000_NS6detail17trampoline_kernelINS0_13select_configILj256ELj13ELNS0_17block_load_methodE3ELS4_3ELS4_3ELNS0_20block_scan_algorithmE0ELj4294967295EEENS1_25partition_config_selectorILNS1_17partition_subalgoE3EjNS0_10empty_typeEbEEZZNS1_14partition_implILS8_3ELb0ES6_jNS0_17counting_iteratorIjlEEPS9_SE_NS0_5tupleIJPjSE_EEENSF_IJSE_SE_EEES9_SG_JZNS1_25segmented_radix_sort_implINS0_14default_configELb1EPKaPaPKlPlN2at6native12_GLOBAL__N_18offset_tEEE10hipError_tPvRmT1_PNSt15iterator_traitsISY_E10value_typeET2_T3_PNSZ_IS14_E10value_typeET4_jRbjT5_S1A_jjP12ihipStream_tbEUljE_EEESV_SW_SX_S14_S18_S1A_T6_T7_T9_mT8_S1C_bDpT10_ENKUlT_T0_E_clISt17integral_constantIbLb1EES1O_IbLb0EEEEDaS1K_S1L_EUlS1K_E_NS1_11comp_targetILNS1_3genE5ELNS1_11target_archE942ELNS1_3gpuE9ELNS1_3repE0EEENS1_30default_config_static_selectorELNS0_4arch9wavefront6targetE0EEEvSY_.num_named_barrier, 0
	.set _ZN7rocprim17ROCPRIM_400000_NS6detail17trampoline_kernelINS0_13select_configILj256ELj13ELNS0_17block_load_methodE3ELS4_3ELS4_3ELNS0_20block_scan_algorithmE0ELj4294967295EEENS1_25partition_config_selectorILNS1_17partition_subalgoE3EjNS0_10empty_typeEbEEZZNS1_14partition_implILS8_3ELb0ES6_jNS0_17counting_iteratorIjlEEPS9_SE_NS0_5tupleIJPjSE_EEENSF_IJSE_SE_EEES9_SG_JZNS1_25segmented_radix_sort_implINS0_14default_configELb1EPKaPaPKlPlN2at6native12_GLOBAL__N_18offset_tEEE10hipError_tPvRmT1_PNSt15iterator_traitsISY_E10value_typeET2_T3_PNSZ_IS14_E10value_typeET4_jRbjT5_S1A_jjP12ihipStream_tbEUljE_EEESV_SW_SX_S14_S18_S1A_T6_T7_T9_mT8_S1C_bDpT10_ENKUlT_T0_E_clISt17integral_constantIbLb1EES1O_IbLb0EEEEDaS1K_S1L_EUlS1K_E_NS1_11comp_targetILNS1_3genE5ELNS1_11target_archE942ELNS1_3gpuE9ELNS1_3repE0EEENS1_30default_config_static_selectorELNS0_4arch9wavefront6targetE0EEEvSY_.private_seg_size, 0
	.set _ZN7rocprim17ROCPRIM_400000_NS6detail17trampoline_kernelINS0_13select_configILj256ELj13ELNS0_17block_load_methodE3ELS4_3ELS4_3ELNS0_20block_scan_algorithmE0ELj4294967295EEENS1_25partition_config_selectorILNS1_17partition_subalgoE3EjNS0_10empty_typeEbEEZZNS1_14partition_implILS8_3ELb0ES6_jNS0_17counting_iteratorIjlEEPS9_SE_NS0_5tupleIJPjSE_EEENSF_IJSE_SE_EEES9_SG_JZNS1_25segmented_radix_sort_implINS0_14default_configELb1EPKaPaPKlPlN2at6native12_GLOBAL__N_18offset_tEEE10hipError_tPvRmT1_PNSt15iterator_traitsISY_E10value_typeET2_T3_PNSZ_IS14_E10value_typeET4_jRbjT5_S1A_jjP12ihipStream_tbEUljE_EEESV_SW_SX_S14_S18_S1A_T6_T7_T9_mT8_S1C_bDpT10_ENKUlT_T0_E_clISt17integral_constantIbLb1EES1O_IbLb0EEEEDaS1K_S1L_EUlS1K_E_NS1_11comp_targetILNS1_3genE5ELNS1_11target_archE942ELNS1_3gpuE9ELNS1_3repE0EEENS1_30default_config_static_selectorELNS0_4arch9wavefront6targetE0EEEvSY_.uses_vcc, 0
	.set _ZN7rocprim17ROCPRIM_400000_NS6detail17trampoline_kernelINS0_13select_configILj256ELj13ELNS0_17block_load_methodE3ELS4_3ELS4_3ELNS0_20block_scan_algorithmE0ELj4294967295EEENS1_25partition_config_selectorILNS1_17partition_subalgoE3EjNS0_10empty_typeEbEEZZNS1_14partition_implILS8_3ELb0ES6_jNS0_17counting_iteratorIjlEEPS9_SE_NS0_5tupleIJPjSE_EEENSF_IJSE_SE_EEES9_SG_JZNS1_25segmented_radix_sort_implINS0_14default_configELb1EPKaPaPKlPlN2at6native12_GLOBAL__N_18offset_tEEE10hipError_tPvRmT1_PNSt15iterator_traitsISY_E10value_typeET2_T3_PNSZ_IS14_E10value_typeET4_jRbjT5_S1A_jjP12ihipStream_tbEUljE_EEESV_SW_SX_S14_S18_S1A_T6_T7_T9_mT8_S1C_bDpT10_ENKUlT_T0_E_clISt17integral_constantIbLb1EES1O_IbLb0EEEEDaS1K_S1L_EUlS1K_E_NS1_11comp_targetILNS1_3genE5ELNS1_11target_archE942ELNS1_3gpuE9ELNS1_3repE0EEENS1_30default_config_static_selectorELNS0_4arch9wavefront6targetE0EEEvSY_.uses_flat_scratch, 0
	.set _ZN7rocprim17ROCPRIM_400000_NS6detail17trampoline_kernelINS0_13select_configILj256ELj13ELNS0_17block_load_methodE3ELS4_3ELS4_3ELNS0_20block_scan_algorithmE0ELj4294967295EEENS1_25partition_config_selectorILNS1_17partition_subalgoE3EjNS0_10empty_typeEbEEZZNS1_14partition_implILS8_3ELb0ES6_jNS0_17counting_iteratorIjlEEPS9_SE_NS0_5tupleIJPjSE_EEENSF_IJSE_SE_EEES9_SG_JZNS1_25segmented_radix_sort_implINS0_14default_configELb1EPKaPaPKlPlN2at6native12_GLOBAL__N_18offset_tEEE10hipError_tPvRmT1_PNSt15iterator_traitsISY_E10value_typeET2_T3_PNSZ_IS14_E10value_typeET4_jRbjT5_S1A_jjP12ihipStream_tbEUljE_EEESV_SW_SX_S14_S18_S1A_T6_T7_T9_mT8_S1C_bDpT10_ENKUlT_T0_E_clISt17integral_constantIbLb1EES1O_IbLb0EEEEDaS1K_S1L_EUlS1K_E_NS1_11comp_targetILNS1_3genE5ELNS1_11target_archE942ELNS1_3gpuE9ELNS1_3repE0EEENS1_30default_config_static_selectorELNS0_4arch9wavefront6targetE0EEEvSY_.has_dyn_sized_stack, 0
	.set _ZN7rocprim17ROCPRIM_400000_NS6detail17trampoline_kernelINS0_13select_configILj256ELj13ELNS0_17block_load_methodE3ELS4_3ELS4_3ELNS0_20block_scan_algorithmE0ELj4294967295EEENS1_25partition_config_selectorILNS1_17partition_subalgoE3EjNS0_10empty_typeEbEEZZNS1_14partition_implILS8_3ELb0ES6_jNS0_17counting_iteratorIjlEEPS9_SE_NS0_5tupleIJPjSE_EEENSF_IJSE_SE_EEES9_SG_JZNS1_25segmented_radix_sort_implINS0_14default_configELb1EPKaPaPKlPlN2at6native12_GLOBAL__N_18offset_tEEE10hipError_tPvRmT1_PNSt15iterator_traitsISY_E10value_typeET2_T3_PNSZ_IS14_E10value_typeET4_jRbjT5_S1A_jjP12ihipStream_tbEUljE_EEESV_SW_SX_S14_S18_S1A_T6_T7_T9_mT8_S1C_bDpT10_ENKUlT_T0_E_clISt17integral_constantIbLb1EES1O_IbLb0EEEEDaS1K_S1L_EUlS1K_E_NS1_11comp_targetILNS1_3genE5ELNS1_11target_archE942ELNS1_3gpuE9ELNS1_3repE0EEENS1_30default_config_static_selectorELNS0_4arch9wavefront6targetE0EEEvSY_.has_recursion, 0
	.set _ZN7rocprim17ROCPRIM_400000_NS6detail17trampoline_kernelINS0_13select_configILj256ELj13ELNS0_17block_load_methodE3ELS4_3ELS4_3ELNS0_20block_scan_algorithmE0ELj4294967295EEENS1_25partition_config_selectorILNS1_17partition_subalgoE3EjNS0_10empty_typeEbEEZZNS1_14partition_implILS8_3ELb0ES6_jNS0_17counting_iteratorIjlEEPS9_SE_NS0_5tupleIJPjSE_EEENSF_IJSE_SE_EEES9_SG_JZNS1_25segmented_radix_sort_implINS0_14default_configELb1EPKaPaPKlPlN2at6native12_GLOBAL__N_18offset_tEEE10hipError_tPvRmT1_PNSt15iterator_traitsISY_E10value_typeET2_T3_PNSZ_IS14_E10value_typeET4_jRbjT5_S1A_jjP12ihipStream_tbEUljE_EEESV_SW_SX_S14_S18_S1A_T6_T7_T9_mT8_S1C_bDpT10_ENKUlT_T0_E_clISt17integral_constantIbLb1EES1O_IbLb0EEEEDaS1K_S1L_EUlS1K_E_NS1_11comp_targetILNS1_3genE5ELNS1_11target_archE942ELNS1_3gpuE9ELNS1_3repE0EEENS1_30default_config_static_selectorELNS0_4arch9wavefront6targetE0EEEvSY_.has_indirect_call, 0
	.section	.AMDGPU.csdata,"",@progbits
; Kernel info:
; codeLenInByte = 0
; TotalNumSgprs: 0
; NumVgprs: 0
; ScratchSize: 0
; MemoryBound: 0
; FloatMode: 240
; IeeeMode: 1
; LDSByteSize: 0 bytes/workgroup (compile time only)
; SGPRBlocks: 0
; VGPRBlocks: 0
; NumSGPRsForWavesPerEU: 1
; NumVGPRsForWavesPerEU: 1
; Occupancy: 16
; WaveLimiterHint : 0
; COMPUTE_PGM_RSRC2:SCRATCH_EN: 0
; COMPUTE_PGM_RSRC2:USER_SGPR: 6
; COMPUTE_PGM_RSRC2:TRAP_HANDLER: 0
; COMPUTE_PGM_RSRC2:TGID_X_EN: 1
; COMPUTE_PGM_RSRC2:TGID_Y_EN: 0
; COMPUTE_PGM_RSRC2:TGID_Z_EN: 0
; COMPUTE_PGM_RSRC2:TIDIG_COMP_CNT: 0
	.section	.text._ZN7rocprim17ROCPRIM_400000_NS6detail17trampoline_kernelINS0_13select_configILj256ELj13ELNS0_17block_load_methodE3ELS4_3ELS4_3ELNS0_20block_scan_algorithmE0ELj4294967295EEENS1_25partition_config_selectorILNS1_17partition_subalgoE3EjNS0_10empty_typeEbEEZZNS1_14partition_implILS8_3ELb0ES6_jNS0_17counting_iteratorIjlEEPS9_SE_NS0_5tupleIJPjSE_EEENSF_IJSE_SE_EEES9_SG_JZNS1_25segmented_radix_sort_implINS0_14default_configELb1EPKaPaPKlPlN2at6native12_GLOBAL__N_18offset_tEEE10hipError_tPvRmT1_PNSt15iterator_traitsISY_E10value_typeET2_T3_PNSZ_IS14_E10value_typeET4_jRbjT5_S1A_jjP12ihipStream_tbEUljE_EEESV_SW_SX_S14_S18_S1A_T6_T7_T9_mT8_S1C_bDpT10_ENKUlT_T0_E_clISt17integral_constantIbLb1EES1O_IbLb0EEEEDaS1K_S1L_EUlS1K_E_NS1_11comp_targetILNS1_3genE4ELNS1_11target_archE910ELNS1_3gpuE8ELNS1_3repE0EEENS1_30default_config_static_selectorELNS0_4arch9wavefront6targetE0EEEvSY_,"axG",@progbits,_ZN7rocprim17ROCPRIM_400000_NS6detail17trampoline_kernelINS0_13select_configILj256ELj13ELNS0_17block_load_methodE3ELS4_3ELS4_3ELNS0_20block_scan_algorithmE0ELj4294967295EEENS1_25partition_config_selectorILNS1_17partition_subalgoE3EjNS0_10empty_typeEbEEZZNS1_14partition_implILS8_3ELb0ES6_jNS0_17counting_iteratorIjlEEPS9_SE_NS0_5tupleIJPjSE_EEENSF_IJSE_SE_EEES9_SG_JZNS1_25segmented_radix_sort_implINS0_14default_configELb1EPKaPaPKlPlN2at6native12_GLOBAL__N_18offset_tEEE10hipError_tPvRmT1_PNSt15iterator_traitsISY_E10value_typeET2_T3_PNSZ_IS14_E10value_typeET4_jRbjT5_S1A_jjP12ihipStream_tbEUljE_EEESV_SW_SX_S14_S18_S1A_T6_T7_T9_mT8_S1C_bDpT10_ENKUlT_T0_E_clISt17integral_constantIbLb1EES1O_IbLb0EEEEDaS1K_S1L_EUlS1K_E_NS1_11comp_targetILNS1_3genE4ELNS1_11target_archE910ELNS1_3gpuE8ELNS1_3repE0EEENS1_30default_config_static_selectorELNS0_4arch9wavefront6targetE0EEEvSY_,comdat
	.globl	_ZN7rocprim17ROCPRIM_400000_NS6detail17trampoline_kernelINS0_13select_configILj256ELj13ELNS0_17block_load_methodE3ELS4_3ELS4_3ELNS0_20block_scan_algorithmE0ELj4294967295EEENS1_25partition_config_selectorILNS1_17partition_subalgoE3EjNS0_10empty_typeEbEEZZNS1_14partition_implILS8_3ELb0ES6_jNS0_17counting_iteratorIjlEEPS9_SE_NS0_5tupleIJPjSE_EEENSF_IJSE_SE_EEES9_SG_JZNS1_25segmented_radix_sort_implINS0_14default_configELb1EPKaPaPKlPlN2at6native12_GLOBAL__N_18offset_tEEE10hipError_tPvRmT1_PNSt15iterator_traitsISY_E10value_typeET2_T3_PNSZ_IS14_E10value_typeET4_jRbjT5_S1A_jjP12ihipStream_tbEUljE_EEESV_SW_SX_S14_S18_S1A_T6_T7_T9_mT8_S1C_bDpT10_ENKUlT_T0_E_clISt17integral_constantIbLb1EES1O_IbLb0EEEEDaS1K_S1L_EUlS1K_E_NS1_11comp_targetILNS1_3genE4ELNS1_11target_archE910ELNS1_3gpuE8ELNS1_3repE0EEENS1_30default_config_static_selectorELNS0_4arch9wavefront6targetE0EEEvSY_ ; -- Begin function _ZN7rocprim17ROCPRIM_400000_NS6detail17trampoline_kernelINS0_13select_configILj256ELj13ELNS0_17block_load_methodE3ELS4_3ELS4_3ELNS0_20block_scan_algorithmE0ELj4294967295EEENS1_25partition_config_selectorILNS1_17partition_subalgoE3EjNS0_10empty_typeEbEEZZNS1_14partition_implILS8_3ELb0ES6_jNS0_17counting_iteratorIjlEEPS9_SE_NS0_5tupleIJPjSE_EEENSF_IJSE_SE_EEES9_SG_JZNS1_25segmented_radix_sort_implINS0_14default_configELb1EPKaPaPKlPlN2at6native12_GLOBAL__N_18offset_tEEE10hipError_tPvRmT1_PNSt15iterator_traitsISY_E10value_typeET2_T3_PNSZ_IS14_E10value_typeET4_jRbjT5_S1A_jjP12ihipStream_tbEUljE_EEESV_SW_SX_S14_S18_S1A_T6_T7_T9_mT8_S1C_bDpT10_ENKUlT_T0_E_clISt17integral_constantIbLb1EES1O_IbLb0EEEEDaS1K_S1L_EUlS1K_E_NS1_11comp_targetILNS1_3genE4ELNS1_11target_archE910ELNS1_3gpuE8ELNS1_3repE0EEENS1_30default_config_static_selectorELNS0_4arch9wavefront6targetE0EEEvSY_
	.p2align	8
	.type	_ZN7rocprim17ROCPRIM_400000_NS6detail17trampoline_kernelINS0_13select_configILj256ELj13ELNS0_17block_load_methodE3ELS4_3ELS4_3ELNS0_20block_scan_algorithmE0ELj4294967295EEENS1_25partition_config_selectorILNS1_17partition_subalgoE3EjNS0_10empty_typeEbEEZZNS1_14partition_implILS8_3ELb0ES6_jNS0_17counting_iteratorIjlEEPS9_SE_NS0_5tupleIJPjSE_EEENSF_IJSE_SE_EEES9_SG_JZNS1_25segmented_radix_sort_implINS0_14default_configELb1EPKaPaPKlPlN2at6native12_GLOBAL__N_18offset_tEEE10hipError_tPvRmT1_PNSt15iterator_traitsISY_E10value_typeET2_T3_PNSZ_IS14_E10value_typeET4_jRbjT5_S1A_jjP12ihipStream_tbEUljE_EEESV_SW_SX_S14_S18_S1A_T6_T7_T9_mT8_S1C_bDpT10_ENKUlT_T0_E_clISt17integral_constantIbLb1EES1O_IbLb0EEEEDaS1K_S1L_EUlS1K_E_NS1_11comp_targetILNS1_3genE4ELNS1_11target_archE910ELNS1_3gpuE8ELNS1_3repE0EEENS1_30default_config_static_selectorELNS0_4arch9wavefront6targetE0EEEvSY_,@function
_ZN7rocprim17ROCPRIM_400000_NS6detail17trampoline_kernelINS0_13select_configILj256ELj13ELNS0_17block_load_methodE3ELS4_3ELS4_3ELNS0_20block_scan_algorithmE0ELj4294967295EEENS1_25partition_config_selectorILNS1_17partition_subalgoE3EjNS0_10empty_typeEbEEZZNS1_14partition_implILS8_3ELb0ES6_jNS0_17counting_iteratorIjlEEPS9_SE_NS0_5tupleIJPjSE_EEENSF_IJSE_SE_EEES9_SG_JZNS1_25segmented_radix_sort_implINS0_14default_configELb1EPKaPaPKlPlN2at6native12_GLOBAL__N_18offset_tEEE10hipError_tPvRmT1_PNSt15iterator_traitsISY_E10value_typeET2_T3_PNSZ_IS14_E10value_typeET4_jRbjT5_S1A_jjP12ihipStream_tbEUljE_EEESV_SW_SX_S14_S18_S1A_T6_T7_T9_mT8_S1C_bDpT10_ENKUlT_T0_E_clISt17integral_constantIbLb1EES1O_IbLb0EEEEDaS1K_S1L_EUlS1K_E_NS1_11comp_targetILNS1_3genE4ELNS1_11target_archE910ELNS1_3gpuE8ELNS1_3repE0EEENS1_30default_config_static_selectorELNS0_4arch9wavefront6targetE0EEEvSY_: ; @_ZN7rocprim17ROCPRIM_400000_NS6detail17trampoline_kernelINS0_13select_configILj256ELj13ELNS0_17block_load_methodE3ELS4_3ELS4_3ELNS0_20block_scan_algorithmE0ELj4294967295EEENS1_25partition_config_selectorILNS1_17partition_subalgoE3EjNS0_10empty_typeEbEEZZNS1_14partition_implILS8_3ELb0ES6_jNS0_17counting_iteratorIjlEEPS9_SE_NS0_5tupleIJPjSE_EEENSF_IJSE_SE_EEES9_SG_JZNS1_25segmented_radix_sort_implINS0_14default_configELb1EPKaPaPKlPlN2at6native12_GLOBAL__N_18offset_tEEE10hipError_tPvRmT1_PNSt15iterator_traitsISY_E10value_typeET2_T3_PNSZ_IS14_E10value_typeET4_jRbjT5_S1A_jjP12ihipStream_tbEUljE_EEESV_SW_SX_S14_S18_S1A_T6_T7_T9_mT8_S1C_bDpT10_ENKUlT_T0_E_clISt17integral_constantIbLb1EES1O_IbLb0EEEEDaS1K_S1L_EUlS1K_E_NS1_11comp_targetILNS1_3genE4ELNS1_11target_archE910ELNS1_3gpuE8ELNS1_3repE0EEENS1_30default_config_static_selectorELNS0_4arch9wavefront6targetE0EEEvSY_
; %bb.0:
	.section	.rodata,"a",@progbits
	.p2align	6, 0x0
	.amdhsa_kernel _ZN7rocprim17ROCPRIM_400000_NS6detail17trampoline_kernelINS0_13select_configILj256ELj13ELNS0_17block_load_methodE3ELS4_3ELS4_3ELNS0_20block_scan_algorithmE0ELj4294967295EEENS1_25partition_config_selectorILNS1_17partition_subalgoE3EjNS0_10empty_typeEbEEZZNS1_14partition_implILS8_3ELb0ES6_jNS0_17counting_iteratorIjlEEPS9_SE_NS0_5tupleIJPjSE_EEENSF_IJSE_SE_EEES9_SG_JZNS1_25segmented_radix_sort_implINS0_14default_configELb1EPKaPaPKlPlN2at6native12_GLOBAL__N_18offset_tEEE10hipError_tPvRmT1_PNSt15iterator_traitsISY_E10value_typeET2_T3_PNSZ_IS14_E10value_typeET4_jRbjT5_S1A_jjP12ihipStream_tbEUljE_EEESV_SW_SX_S14_S18_S1A_T6_T7_T9_mT8_S1C_bDpT10_ENKUlT_T0_E_clISt17integral_constantIbLb1EES1O_IbLb0EEEEDaS1K_S1L_EUlS1K_E_NS1_11comp_targetILNS1_3genE4ELNS1_11target_archE910ELNS1_3gpuE8ELNS1_3repE0EEENS1_30default_config_static_selectorELNS0_4arch9wavefront6targetE0EEEvSY_
		.amdhsa_group_segment_fixed_size 0
		.amdhsa_private_segment_fixed_size 0
		.amdhsa_kernarg_size 144
		.amdhsa_user_sgpr_count 6
		.amdhsa_user_sgpr_private_segment_buffer 1
		.amdhsa_user_sgpr_dispatch_ptr 0
		.amdhsa_user_sgpr_queue_ptr 0
		.amdhsa_user_sgpr_kernarg_segment_ptr 1
		.amdhsa_user_sgpr_dispatch_id 0
		.amdhsa_user_sgpr_flat_scratch_init 0
		.amdhsa_user_sgpr_private_segment_size 0
		.amdhsa_wavefront_size32 1
		.amdhsa_uses_dynamic_stack 0
		.amdhsa_system_sgpr_private_segment_wavefront_offset 0
		.amdhsa_system_sgpr_workgroup_id_x 1
		.amdhsa_system_sgpr_workgroup_id_y 0
		.amdhsa_system_sgpr_workgroup_id_z 0
		.amdhsa_system_sgpr_workgroup_info 0
		.amdhsa_system_vgpr_workitem_id 0
		.amdhsa_next_free_vgpr 1
		.amdhsa_next_free_sgpr 1
		.amdhsa_reserve_vcc 0
		.amdhsa_reserve_flat_scratch 0
		.amdhsa_float_round_mode_32 0
		.amdhsa_float_round_mode_16_64 0
		.amdhsa_float_denorm_mode_32 3
		.amdhsa_float_denorm_mode_16_64 3
		.amdhsa_dx10_clamp 1
		.amdhsa_ieee_mode 1
		.amdhsa_fp16_overflow 0
		.amdhsa_workgroup_processor_mode 1
		.amdhsa_memory_ordered 1
		.amdhsa_forward_progress 1
		.amdhsa_shared_vgpr_count 0
		.amdhsa_exception_fp_ieee_invalid_op 0
		.amdhsa_exception_fp_denorm_src 0
		.amdhsa_exception_fp_ieee_div_zero 0
		.amdhsa_exception_fp_ieee_overflow 0
		.amdhsa_exception_fp_ieee_underflow 0
		.amdhsa_exception_fp_ieee_inexact 0
		.amdhsa_exception_int_div_zero 0
	.end_amdhsa_kernel
	.section	.text._ZN7rocprim17ROCPRIM_400000_NS6detail17trampoline_kernelINS0_13select_configILj256ELj13ELNS0_17block_load_methodE3ELS4_3ELS4_3ELNS0_20block_scan_algorithmE0ELj4294967295EEENS1_25partition_config_selectorILNS1_17partition_subalgoE3EjNS0_10empty_typeEbEEZZNS1_14partition_implILS8_3ELb0ES6_jNS0_17counting_iteratorIjlEEPS9_SE_NS0_5tupleIJPjSE_EEENSF_IJSE_SE_EEES9_SG_JZNS1_25segmented_radix_sort_implINS0_14default_configELb1EPKaPaPKlPlN2at6native12_GLOBAL__N_18offset_tEEE10hipError_tPvRmT1_PNSt15iterator_traitsISY_E10value_typeET2_T3_PNSZ_IS14_E10value_typeET4_jRbjT5_S1A_jjP12ihipStream_tbEUljE_EEESV_SW_SX_S14_S18_S1A_T6_T7_T9_mT8_S1C_bDpT10_ENKUlT_T0_E_clISt17integral_constantIbLb1EES1O_IbLb0EEEEDaS1K_S1L_EUlS1K_E_NS1_11comp_targetILNS1_3genE4ELNS1_11target_archE910ELNS1_3gpuE8ELNS1_3repE0EEENS1_30default_config_static_selectorELNS0_4arch9wavefront6targetE0EEEvSY_,"axG",@progbits,_ZN7rocprim17ROCPRIM_400000_NS6detail17trampoline_kernelINS0_13select_configILj256ELj13ELNS0_17block_load_methodE3ELS4_3ELS4_3ELNS0_20block_scan_algorithmE0ELj4294967295EEENS1_25partition_config_selectorILNS1_17partition_subalgoE3EjNS0_10empty_typeEbEEZZNS1_14partition_implILS8_3ELb0ES6_jNS0_17counting_iteratorIjlEEPS9_SE_NS0_5tupleIJPjSE_EEENSF_IJSE_SE_EEES9_SG_JZNS1_25segmented_radix_sort_implINS0_14default_configELb1EPKaPaPKlPlN2at6native12_GLOBAL__N_18offset_tEEE10hipError_tPvRmT1_PNSt15iterator_traitsISY_E10value_typeET2_T3_PNSZ_IS14_E10value_typeET4_jRbjT5_S1A_jjP12ihipStream_tbEUljE_EEESV_SW_SX_S14_S18_S1A_T6_T7_T9_mT8_S1C_bDpT10_ENKUlT_T0_E_clISt17integral_constantIbLb1EES1O_IbLb0EEEEDaS1K_S1L_EUlS1K_E_NS1_11comp_targetILNS1_3genE4ELNS1_11target_archE910ELNS1_3gpuE8ELNS1_3repE0EEENS1_30default_config_static_selectorELNS0_4arch9wavefront6targetE0EEEvSY_,comdat
.Lfunc_end274:
	.size	_ZN7rocprim17ROCPRIM_400000_NS6detail17trampoline_kernelINS0_13select_configILj256ELj13ELNS0_17block_load_methodE3ELS4_3ELS4_3ELNS0_20block_scan_algorithmE0ELj4294967295EEENS1_25partition_config_selectorILNS1_17partition_subalgoE3EjNS0_10empty_typeEbEEZZNS1_14partition_implILS8_3ELb0ES6_jNS0_17counting_iteratorIjlEEPS9_SE_NS0_5tupleIJPjSE_EEENSF_IJSE_SE_EEES9_SG_JZNS1_25segmented_radix_sort_implINS0_14default_configELb1EPKaPaPKlPlN2at6native12_GLOBAL__N_18offset_tEEE10hipError_tPvRmT1_PNSt15iterator_traitsISY_E10value_typeET2_T3_PNSZ_IS14_E10value_typeET4_jRbjT5_S1A_jjP12ihipStream_tbEUljE_EEESV_SW_SX_S14_S18_S1A_T6_T7_T9_mT8_S1C_bDpT10_ENKUlT_T0_E_clISt17integral_constantIbLb1EES1O_IbLb0EEEEDaS1K_S1L_EUlS1K_E_NS1_11comp_targetILNS1_3genE4ELNS1_11target_archE910ELNS1_3gpuE8ELNS1_3repE0EEENS1_30default_config_static_selectorELNS0_4arch9wavefront6targetE0EEEvSY_, .Lfunc_end274-_ZN7rocprim17ROCPRIM_400000_NS6detail17trampoline_kernelINS0_13select_configILj256ELj13ELNS0_17block_load_methodE3ELS4_3ELS4_3ELNS0_20block_scan_algorithmE0ELj4294967295EEENS1_25partition_config_selectorILNS1_17partition_subalgoE3EjNS0_10empty_typeEbEEZZNS1_14partition_implILS8_3ELb0ES6_jNS0_17counting_iteratorIjlEEPS9_SE_NS0_5tupleIJPjSE_EEENSF_IJSE_SE_EEES9_SG_JZNS1_25segmented_radix_sort_implINS0_14default_configELb1EPKaPaPKlPlN2at6native12_GLOBAL__N_18offset_tEEE10hipError_tPvRmT1_PNSt15iterator_traitsISY_E10value_typeET2_T3_PNSZ_IS14_E10value_typeET4_jRbjT5_S1A_jjP12ihipStream_tbEUljE_EEESV_SW_SX_S14_S18_S1A_T6_T7_T9_mT8_S1C_bDpT10_ENKUlT_T0_E_clISt17integral_constantIbLb1EES1O_IbLb0EEEEDaS1K_S1L_EUlS1K_E_NS1_11comp_targetILNS1_3genE4ELNS1_11target_archE910ELNS1_3gpuE8ELNS1_3repE0EEENS1_30default_config_static_selectorELNS0_4arch9wavefront6targetE0EEEvSY_
                                        ; -- End function
	.set _ZN7rocprim17ROCPRIM_400000_NS6detail17trampoline_kernelINS0_13select_configILj256ELj13ELNS0_17block_load_methodE3ELS4_3ELS4_3ELNS0_20block_scan_algorithmE0ELj4294967295EEENS1_25partition_config_selectorILNS1_17partition_subalgoE3EjNS0_10empty_typeEbEEZZNS1_14partition_implILS8_3ELb0ES6_jNS0_17counting_iteratorIjlEEPS9_SE_NS0_5tupleIJPjSE_EEENSF_IJSE_SE_EEES9_SG_JZNS1_25segmented_radix_sort_implINS0_14default_configELb1EPKaPaPKlPlN2at6native12_GLOBAL__N_18offset_tEEE10hipError_tPvRmT1_PNSt15iterator_traitsISY_E10value_typeET2_T3_PNSZ_IS14_E10value_typeET4_jRbjT5_S1A_jjP12ihipStream_tbEUljE_EEESV_SW_SX_S14_S18_S1A_T6_T7_T9_mT8_S1C_bDpT10_ENKUlT_T0_E_clISt17integral_constantIbLb1EES1O_IbLb0EEEEDaS1K_S1L_EUlS1K_E_NS1_11comp_targetILNS1_3genE4ELNS1_11target_archE910ELNS1_3gpuE8ELNS1_3repE0EEENS1_30default_config_static_selectorELNS0_4arch9wavefront6targetE0EEEvSY_.num_vgpr, 0
	.set _ZN7rocprim17ROCPRIM_400000_NS6detail17trampoline_kernelINS0_13select_configILj256ELj13ELNS0_17block_load_methodE3ELS4_3ELS4_3ELNS0_20block_scan_algorithmE0ELj4294967295EEENS1_25partition_config_selectorILNS1_17partition_subalgoE3EjNS0_10empty_typeEbEEZZNS1_14partition_implILS8_3ELb0ES6_jNS0_17counting_iteratorIjlEEPS9_SE_NS0_5tupleIJPjSE_EEENSF_IJSE_SE_EEES9_SG_JZNS1_25segmented_radix_sort_implINS0_14default_configELb1EPKaPaPKlPlN2at6native12_GLOBAL__N_18offset_tEEE10hipError_tPvRmT1_PNSt15iterator_traitsISY_E10value_typeET2_T3_PNSZ_IS14_E10value_typeET4_jRbjT5_S1A_jjP12ihipStream_tbEUljE_EEESV_SW_SX_S14_S18_S1A_T6_T7_T9_mT8_S1C_bDpT10_ENKUlT_T0_E_clISt17integral_constantIbLb1EES1O_IbLb0EEEEDaS1K_S1L_EUlS1K_E_NS1_11comp_targetILNS1_3genE4ELNS1_11target_archE910ELNS1_3gpuE8ELNS1_3repE0EEENS1_30default_config_static_selectorELNS0_4arch9wavefront6targetE0EEEvSY_.num_agpr, 0
	.set _ZN7rocprim17ROCPRIM_400000_NS6detail17trampoline_kernelINS0_13select_configILj256ELj13ELNS0_17block_load_methodE3ELS4_3ELS4_3ELNS0_20block_scan_algorithmE0ELj4294967295EEENS1_25partition_config_selectorILNS1_17partition_subalgoE3EjNS0_10empty_typeEbEEZZNS1_14partition_implILS8_3ELb0ES6_jNS0_17counting_iteratorIjlEEPS9_SE_NS0_5tupleIJPjSE_EEENSF_IJSE_SE_EEES9_SG_JZNS1_25segmented_radix_sort_implINS0_14default_configELb1EPKaPaPKlPlN2at6native12_GLOBAL__N_18offset_tEEE10hipError_tPvRmT1_PNSt15iterator_traitsISY_E10value_typeET2_T3_PNSZ_IS14_E10value_typeET4_jRbjT5_S1A_jjP12ihipStream_tbEUljE_EEESV_SW_SX_S14_S18_S1A_T6_T7_T9_mT8_S1C_bDpT10_ENKUlT_T0_E_clISt17integral_constantIbLb1EES1O_IbLb0EEEEDaS1K_S1L_EUlS1K_E_NS1_11comp_targetILNS1_3genE4ELNS1_11target_archE910ELNS1_3gpuE8ELNS1_3repE0EEENS1_30default_config_static_selectorELNS0_4arch9wavefront6targetE0EEEvSY_.numbered_sgpr, 0
	.set _ZN7rocprim17ROCPRIM_400000_NS6detail17trampoline_kernelINS0_13select_configILj256ELj13ELNS0_17block_load_methodE3ELS4_3ELS4_3ELNS0_20block_scan_algorithmE0ELj4294967295EEENS1_25partition_config_selectorILNS1_17partition_subalgoE3EjNS0_10empty_typeEbEEZZNS1_14partition_implILS8_3ELb0ES6_jNS0_17counting_iteratorIjlEEPS9_SE_NS0_5tupleIJPjSE_EEENSF_IJSE_SE_EEES9_SG_JZNS1_25segmented_radix_sort_implINS0_14default_configELb1EPKaPaPKlPlN2at6native12_GLOBAL__N_18offset_tEEE10hipError_tPvRmT1_PNSt15iterator_traitsISY_E10value_typeET2_T3_PNSZ_IS14_E10value_typeET4_jRbjT5_S1A_jjP12ihipStream_tbEUljE_EEESV_SW_SX_S14_S18_S1A_T6_T7_T9_mT8_S1C_bDpT10_ENKUlT_T0_E_clISt17integral_constantIbLb1EES1O_IbLb0EEEEDaS1K_S1L_EUlS1K_E_NS1_11comp_targetILNS1_3genE4ELNS1_11target_archE910ELNS1_3gpuE8ELNS1_3repE0EEENS1_30default_config_static_selectorELNS0_4arch9wavefront6targetE0EEEvSY_.num_named_barrier, 0
	.set _ZN7rocprim17ROCPRIM_400000_NS6detail17trampoline_kernelINS0_13select_configILj256ELj13ELNS0_17block_load_methodE3ELS4_3ELS4_3ELNS0_20block_scan_algorithmE0ELj4294967295EEENS1_25partition_config_selectorILNS1_17partition_subalgoE3EjNS0_10empty_typeEbEEZZNS1_14partition_implILS8_3ELb0ES6_jNS0_17counting_iteratorIjlEEPS9_SE_NS0_5tupleIJPjSE_EEENSF_IJSE_SE_EEES9_SG_JZNS1_25segmented_radix_sort_implINS0_14default_configELb1EPKaPaPKlPlN2at6native12_GLOBAL__N_18offset_tEEE10hipError_tPvRmT1_PNSt15iterator_traitsISY_E10value_typeET2_T3_PNSZ_IS14_E10value_typeET4_jRbjT5_S1A_jjP12ihipStream_tbEUljE_EEESV_SW_SX_S14_S18_S1A_T6_T7_T9_mT8_S1C_bDpT10_ENKUlT_T0_E_clISt17integral_constantIbLb1EES1O_IbLb0EEEEDaS1K_S1L_EUlS1K_E_NS1_11comp_targetILNS1_3genE4ELNS1_11target_archE910ELNS1_3gpuE8ELNS1_3repE0EEENS1_30default_config_static_selectorELNS0_4arch9wavefront6targetE0EEEvSY_.private_seg_size, 0
	.set _ZN7rocprim17ROCPRIM_400000_NS6detail17trampoline_kernelINS0_13select_configILj256ELj13ELNS0_17block_load_methodE3ELS4_3ELS4_3ELNS0_20block_scan_algorithmE0ELj4294967295EEENS1_25partition_config_selectorILNS1_17partition_subalgoE3EjNS0_10empty_typeEbEEZZNS1_14partition_implILS8_3ELb0ES6_jNS0_17counting_iteratorIjlEEPS9_SE_NS0_5tupleIJPjSE_EEENSF_IJSE_SE_EEES9_SG_JZNS1_25segmented_radix_sort_implINS0_14default_configELb1EPKaPaPKlPlN2at6native12_GLOBAL__N_18offset_tEEE10hipError_tPvRmT1_PNSt15iterator_traitsISY_E10value_typeET2_T3_PNSZ_IS14_E10value_typeET4_jRbjT5_S1A_jjP12ihipStream_tbEUljE_EEESV_SW_SX_S14_S18_S1A_T6_T7_T9_mT8_S1C_bDpT10_ENKUlT_T0_E_clISt17integral_constantIbLb1EES1O_IbLb0EEEEDaS1K_S1L_EUlS1K_E_NS1_11comp_targetILNS1_3genE4ELNS1_11target_archE910ELNS1_3gpuE8ELNS1_3repE0EEENS1_30default_config_static_selectorELNS0_4arch9wavefront6targetE0EEEvSY_.uses_vcc, 0
	.set _ZN7rocprim17ROCPRIM_400000_NS6detail17trampoline_kernelINS0_13select_configILj256ELj13ELNS0_17block_load_methodE3ELS4_3ELS4_3ELNS0_20block_scan_algorithmE0ELj4294967295EEENS1_25partition_config_selectorILNS1_17partition_subalgoE3EjNS0_10empty_typeEbEEZZNS1_14partition_implILS8_3ELb0ES6_jNS0_17counting_iteratorIjlEEPS9_SE_NS0_5tupleIJPjSE_EEENSF_IJSE_SE_EEES9_SG_JZNS1_25segmented_radix_sort_implINS0_14default_configELb1EPKaPaPKlPlN2at6native12_GLOBAL__N_18offset_tEEE10hipError_tPvRmT1_PNSt15iterator_traitsISY_E10value_typeET2_T3_PNSZ_IS14_E10value_typeET4_jRbjT5_S1A_jjP12ihipStream_tbEUljE_EEESV_SW_SX_S14_S18_S1A_T6_T7_T9_mT8_S1C_bDpT10_ENKUlT_T0_E_clISt17integral_constantIbLb1EES1O_IbLb0EEEEDaS1K_S1L_EUlS1K_E_NS1_11comp_targetILNS1_3genE4ELNS1_11target_archE910ELNS1_3gpuE8ELNS1_3repE0EEENS1_30default_config_static_selectorELNS0_4arch9wavefront6targetE0EEEvSY_.uses_flat_scratch, 0
	.set _ZN7rocprim17ROCPRIM_400000_NS6detail17trampoline_kernelINS0_13select_configILj256ELj13ELNS0_17block_load_methodE3ELS4_3ELS4_3ELNS0_20block_scan_algorithmE0ELj4294967295EEENS1_25partition_config_selectorILNS1_17partition_subalgoE3EjNS0_10empty_typeEbEEZZNS1_14partition_implILS8_3ELb0ES6_jNS0_17counting_iteratorIjlEEPS9_SE_NS0_5tupleIJPjSE_EEENSF_IJSE_SE_EEES9_SG_JZNS1_25segmented_radix_sort_implINS0_14default_configELb1EPKaPaPKlPlN2at6native12_GLOBAL__N_18offset_tEEE10hipError_tPvRmT1_PNSt15iterator_traitsISY_E10value_typeET2_T3_PNSZ_IS14_E10value_typeET4_jRbjT5_S1A_jjP12ihipStream_tbEUljE_EEESV_SW_SX_S14_S18_S1A_T6_T7_T9_mT8_S1C_bDpT10_ENKUlT_T0_E_clISt17integral_constantIbLb1EES1O_IbLb0EEEEDaS1K_S1L_EUlS1K_E_NS1_11comp_targetILNS1_3genE4ELNS1_11target_archE910ELNS1_3gpuE8ELNS1_3repE0EEENS1_30default_config_static_selectorELNS0_4arch9wavefront6targetE0EEEvSY_.has_dyn_sized_stack, 0
	.set _ZN7rocprim17ROCPRIM_400000_NS6detail17trampoline_kernelINS0_13select_configILj256ELj13ELNS0_17block_load_methodE3ELS4_3ELS4_3ELNS0_20block_scan_algorithmE0ELj4294967295EEENS1_25partition_config_selectorILNS1_17partition_subalgoE3EjNS0_10empty_typeEbEEZZNS1_14partition_implILS8_3ELb0ES6_jNS0_17counting_iteratorIjlEEPS9_SE_NS0_5tupleIJPjSE_EEENSF_IJSE_SE_EEES9_SG_JZNS1_25segmented_radix_sort_implINS0_14default_configELb1EPKaPaPKlPlN2at6native12_GLOBAL__N_18offset_tEEE10hipError_tPvRmT1_PNSt15iterator_traitsISY_E10value_typeET2_T3_PNSZ_IS14_E10value_typeET4_jRbjT5_S1A_jjP12ihipStream_tbEUljE_EEESV_SW_SX_S14_S18_S1A_T6_T7_T9_mT8_S1C_bDpT10_ENKUlT_T0_E_clISt17integral_constantIbLb1EES1O_IbLb0EEEEDaS1K_S1L_EUlS1K_E_NS1_11comp_targetILNS1_3genE4ELNS1_11target_archE910ELNS1_3gpuE8ELNS1_3repE0EEENS1_30default_config_static_selectorELNS0_4arch9wavefront6targetE0EEEvSY_.has_recursion, 0
	.set _ZN7rocprim17ROCPRIM_400000_NS6detail17trampoline_kernelINS0_13select_configILj256ELj13ELNS0_17block_load_methodE3ELS4_3ELS4_3ELNS0_20block_scan_algorithmE0ELj4294967295EEENS1_25partition_config_selectorILNS1_17partition_subalgoE3EjNS0_10empty_typeEbEEZZNS1_14partition_implILS8_3ELb0ES6_jNS0_17counting_iteratorIjlEEPS9_SE_NS0_5tupleIJPjSE_EEENSF_IJSE_SE_EEES9_SG_JZNS1_25segmented_radix_sort_implINS0_14default_configELb1EPKaPaPKlPlN2at6native12_GLOBAL__N_18offset_tEEE10hipError_tPvRmT1_PNSt15iterator_traitsISY_E10value_typeET2_T3_PNSZ_IS14_E10value_typeET4_jRbjT5_S1A_jjP12ihipStream_tbEUljE_EEESV_SW_SX_S14_S18_S1A_T6_T7_T9_mT8_S1C_bDpT10_ENKUlT_T0_E_clISt17integral_constantIbLb1EES1O_IbLb0EEEEDaS1K_S1L_EUlS1K_E_NS1_11comp_targetILNS1_3genE4ELNS1_11target_archE910ELNS1_3gpuE8ELNS1_3repE0EEENS1_30default_config_static_selectorELNS0_4arch9wavefront6targetE0EEEvSY_.has_indirect_call, 0
	.section	.AMDGPU.csdata,"",@progbits
; Kernel info:
; codeLenInByte = 0
; TotalNumSgprs: 0
; NumVgprs: 0
; ScratchSize: 0
; MemoryBound: 0
; FloatMode: 240
; IeeeMode: 1
; LDSByteSize: 0 bytes/workgroup (compile time only)
; SGPRBlocks: 0
; VGPRBlocks: 0
; NumSGPRsForWavesPerEU: 1
; NumVGPRsForWavesPerEU: 1
; Occupancy: 16
; WaveLimiterHint : 0
; COMPUTE_PGM_RSRC2:SCRATCH_EN: 0
; COMPUTE_PGM_RSRC2:USER_SGPR: 6
; COMPUTE_PGM_RSRC2:TRAP_HANDLER: 0
; COMPUTE_PGM_RSRC2:TGID_X_EN: 1
; COMPUTE_PGM_RSRC2:TGID_Y_EN: 0
; COMPUTE_PGM_RSRC2:TGID_Z_EN: 0
; COMPUTE_PGM_RSRC2:TIDIG_COMP_CNT: 0
	.section	.text._ZN7rocprim17ROCPRIM_400000_NS6detail17trampoline_kernelINS0_13select_configILj256ELj13ELNS0_17block_load_methodE3ELS4_3ELS4_3ELNS0_20block_scan_algorithmE0ELj4294967295EEENS1_25partition_config_selectorILNS1_17partition_subalgoE3EjNS0_10empty_typeEbEEZZNS1_14partition_implILS8_3ELb0ES6_jNS0_17counting_iteratorIjlEEPS9_SE_NS0_5tupleIJPjSE_EEENSF_IJSE_SE_EEES9_SG_JZNS1_25segmented_radix_sort_implINS0_14default_configELb1EPKaPaPKlPlN2at6native12_GLOBAL__N_18offset_tEEE10hipError_tPvRmT1_PNSt15iterator_traitsISY_E10value_typeET2_T3_PNSZ_IS14_E10value_typeET4_jRbjT5_S1A_jjP12ihipStream_tbEUljE_EEESV_SW_SX_S14_S18_S1A_T6_T7_T9_mT8_S1C_bDpT10_ENKUlT_T0_E_clISt17integral_constantIbLb1EES1O_IbLb0EEEEDaS1K_S1L_EUlS1K_E_NS1_11comp_targetILNS1_3genE3ELNS1_11target_archE908ELNS1_3gpuE7ELNS1_3repE0EEENS1_30default_config_static_selectorELNS0_4arch9wavefront6targetE0EEEvSY_,"axG",@progbits,_ZN7rocprim17ROCPRIM_400000_NS6detail17trampoline_kernelINS0_13select_configILj256ELj13ELNS0_17block_load_methodE3ELS4_3ELS4_3ELNS0_20block_scan_algorithmE0ELj4294967295EEENS1_25partition_config_selectorILNS1_17partition_subalgoE3EjNS0_10empty_typeEbEEZZNS1_14partition_implILS8_3ELb0ES6_jNS0_17counting_iteratorIjlEEPS9_SE_NS0_5tupleIJPjSE_EEENSF_IJSE_SE_EEES9_SG_JZNS1_25segmented_radix_sort_implINS0_14default_configELb1EPKaPaPKlPlN2at6native12_GLOBAL__N_18offset_tEEE10hipError_tPvRmT1_PNSt15iterator_traitsISY_E10value_typeET2_T3_PNSZ_IS14_E10value_typeET4_jRbjT5_S1A_jjP12ihipStream_tbEUljE_EEESV_SW_SX_S14_S18_S1A_T6_T7_T9_mT8_S1C_bDpT10_ENKUlT_T0_E_clISt17integral_constantIbLb1EES1O_IbLb0EEEEDaS1K_S1L_EUlS1K_E_NS1_11comp_targetILNS1_3genE3ELNS1_11target_archE908ELNS1_3gpuE7ELNS1_3repE0EEENS1_30default_config_static_selectorELNS0_4arch9wavefront6targetE0EEEvSY_,comdat
	.globl	_ZN7rocprim17ROCPRIM_400000_NS6detail17trampoline_kernelINS0_13select_configILj256ELj13ELNS0_17block_load_methodE3ELS4_3ELS4_3ELNS0_20block_scan_algorithmE0ELj4294967295EEENS1_25partition_config_selectorILNS1_17partition_subalgoE3EjNS0_10empty_typeEbEEZZNS1_14partition_implILS8_3ELb0ES6_jNS0_17counting_iteratorIjlEEPS9_SE_NS0_5tupleIJPjSE_EEENSF_IJSE_SE_EEES9_SG_JZNS1_25segmented_radix_sort_implINS0_14default_configELb1EPKaPaPKlPlN2at6native12_GLOBAL__N_18offset_tEEE10hipError_tPvRmT1_PNSt15iterator_traitsISY_E10value_typeET2_T3_PNSZ_IS14_E10value_typeET4_jRbjT5_S1A_jjP12ihipStream_tbEUljE_EEESV_SW_SX_S14_S18_S1A_T6_T7_T9_mT8_S1C_bDpT10_ENKUlT_T0_E_clISt17integral_constantIbLb1EES1O_IbLb0EEEEDaS1K_S1L_EUlS1K_E_NS1_11comp_targetILNS1_3genE3ELNS1_11target_archE908ELNS1_3gpuE7ELNS1_3repE0EEENS1_30default_config_static_selectorELNS0_4arch9wavefront6targetE0EEEvSY_ ; -- Begin function _ZN7rocprim17ROCPRIM_400000_NS6detail17trampoline_kernelINS0_13select_configILj256ELj13ELNS0_17block_load_methodE3ELS4_3ELS4_3ELNS0_20block_scan_algorithmE0ELj4294967295EEENS1_25partition_config_selectorILNS1_17partition_subalgoE3EjNS0_10empty_typeEbEEZZNS1_14partition_implILS8_3ELb0ES6_jNS0_17counting_iteratorIjlEEPS9_SE_NS0_5tupleIJPjSE_EEENSF_IJSE_SE_EEES9_SG_JZNS1_25segmented_radix_sort_implINS0_14default_configELb1EPKaPaPKlPlN2at6native12_GLOBAL__N_18offset_tEEE10hipError_tPvRmT1_PNSt15iterator_traitsISY_E10value_typeET2_T3_PNSZ_IS14_E10value_typeET4_jRbjT5_S1A_jjP12ihipStream_tbEUljE_EEESV_SW_SX_S14_S18_S1A_T6_T7_T9_mT8_S1C_bDpT10_ENKUlT_T0_E_clISt17integral_constantIbLb1EES1O_IbLb0EEEEDaS1K_S1L_EUlS1K_E_NS1_11comp_targetILNS1_3genE3ELNS1_11target_archE908ELNS1_3gpuE7ELNS1_3repE0EEENS1_30default_config_static_selectorELNS0_4arch9wavefront6targetE0EEEvSY_
	.p2align	8
	.type	_ZN7rocprim17ROCPRIM_400000_NS6detail17trampoline_kernelINS0_13select_configILj256ELj13ELNS0_17block_load_methodE3ELS4_3ELS4_3ELNS0_20block_scan_algorithmE0ELj4294967295EEENS1_25partition_config_selectorILNS1_17partition_subalgoE3EjNS0_10empty_typeEbEEZZNS1_14partition_implILS8_3ELb0ES6_jNS0_17counting_iteratorIjlEEPS9_SE_NS0_5tupleIJPjSE_EEENSF_IJSE_SE_EEES9_SG_JZNS1_25segmented_radix_sort_implINS0_14default_configELb1EPKaPaPKlPlN2at6native12_GLOBAL__N_18offset_tEEE10hipError_tPvRmT1_PNSt15iterator_traitsISY_E10value_typeET2_T3_PNSZ_IS14_E10value_typeET4_jRbjT5_S1A_jjP12ihipStream_tbEUljE_EEESV_SW_SX_S14_S18_S1A_T6_T7_T9_mT8_S1C_bDpT10_ENKUlT_T0_E_clISt17integral_constantIbLb1EES1O_IbLb0EEEEDaS1K_S1L_EUlS1K_E_NS1_11comp_targetILNS1_3genE3ELNS1_11target_archE908ELNS1_3gpuE7ELNS1_3repE0EEENS1_30default_config_static_selectorELNS0_4arch9wavefront6targetE0EEEvSY_,@function
_ZN7rocprim17ROCPRIM_400000_NS6detail17trampoline_kernelINS0_13select_configILj256ELj13ELNS0_17block_load_methodE3ELS4_3ELS4_3ELNS0_20block_scan_algorithmE0ELj4294967295EEENS1_25partition_config_selectorILNS1_17partition_subalgoE3EjNS0_10empty_typeEbEEZZNS1_14partition_implILS8_3ELb0ES6_jNS0_17counting_iteratorIjlEEPS9_SE_NS0_5tupleIJPjSE_EEENSF_IJSE_SE_EEES9_SG_JZNS1_25segmented_radix_sort_implINS0_14default_configELb1EPKaPaPKlPlN2at6native12_GLOBAL__N_18offset_tEEE10hipError_tPvRmT1_PNSt15iterator_traitsISY_E10value_typeET2_T3_PNSZ_IS14_E10value_typeET4_jRbjT5_S1A_jjP12ihipStream_tbEUljE_EEESV_SW_SX_S14_S18_S1A_T6_T7_T9_mT8_S1C_bDpT10_ENKUlT_T0_E_clISt17integral_constantIbLb1EES1O_IbLb0EEEEDaS1K_S1L_EUlS1K_E_NS1_11comp_targetILNS1_3genE3ELNS1_11target_archE908ELNS1_3gpuE7ELNS1_3repE0EEENS1_30default_config_static_selectorELNS0_4arch9wavefront6targetE0EEEvSY_: ; @_ZN7rocprim17ROCPRIM_400000_NS6detail17trampoline_kernelINS0_13select_configILj256ELj13ELNS0_17block_load_methodE3ELS4_3ELS4_3ELNS0_20block_scan_algorithmE0ELj4294967295EEENS1_25partition_config_selectorILNS1_17partition_subalgoE3EjNS0_10empty_typeEbEEZZNS1_14partition_implILS8_3ELb0ES6_jNS0_17counting_iteratorIjlEEPS9_SE_NS0_5tupleIJPjSE_EEENSF_IJSE_SE_EEES9_SG_JZNS1_25segmented_radix_sort_implINS0_14default_configELb1EPKaPaPKlPlN2at6native12_GLOBAL__N_18offset_tEEE10hipError_tPvRmT1_PNSt15iterator_traitsISY_E10value_typeET2_T3_PNSZ_IS14_E10value_typeET4_jRbjT5_S1A_jjP12ihipStream_tbEUljE_EEESV_SW_SX_S14_S18_S1A_T6_T7_T9_mT8_S1C_bDpT10_ENKUlT_T0_E_clISt17integral_constantIbLb1EES1O_IbLb0EEEEDaS1K_S1L_EUlS1K_E_NS1_11comp_targetILNS1_3genE3ELNS1_11target_archE908ELNS1_3gpuE7ELNS1_3repE0EEENS1_30default_config_static_selectorELNS0_4arch9wavefront6targetE0EEEvSY_
; %bb.0:
	.section	.rodata,"a",@progbits
	.p2align	6, 0x0
	.amdhsa_kernel _ZN7rocprim17ROCPRIM_400000_NS6detail17trampoline_kernelINS0_13select_configILj256ELj13ELNS0_17block_load_methodE3ELS4_3ELS4_3ELNS0_20block_scan_algorithmE0ELj4294967295EEENS1_25partition_config_selectorILNS1_17partition_subalgoE3EjNS0_10empty_typeEbEEZZNS1_14partition_implILS8_3ELb0ES6_jNS0_17counting_iteratorIjlEEPS9_SE_NS0_5tupleIJPjSE_EEENSF_IJSE_SE_EEES9_SG_JZNS1_25segmented_radix_sort_implINS0_14default_configELb1EPKaPaPKlPlN2at6native12_GLOBAL__N_18offset_tEEE10hipError_tPvRmT1_PNSt15iterator_traitsISY_E10value_typeET2_T3_PNSZ_IS14_E10value_typeET4_jRbjT5_S1A_jjP12ihipStream_tbEUljE_EEESV_SW_SX_S14_S18_S1A_T6_T7_T9_mT8_S1C_bDpT10_ENKUlT_T0_E_clISt17integral_constantIbLb1EES1O_IbLb0EEEEDaS1K_S1L_EUlS1K_E_NS1_11comp_targetILNS1_3genE3ELNS1_11target_archE908ELNS1_3gpuE7ELNS1_3repE0EEENS1_30default_config_static_selectorELNS0_4arch9wavefront6targetE0EEEvSY_
		.amdhsa_group_segment_fixed_size 0
		.amdhsa_private_segment_fixed_size 0
		.amdhsa_kernarg_size 144
		.amdhsa_user_sgpr_count 6
		.amdhsa_user_sgpr_private_segment_buffer 1
		.amdhsa_user_sgpr_dispatch_ptr 0
		.amdhsa_user_sgpr_queue_ptr 0
		.amdhsa_user_sgpr_kernarg_segment_ptr 1
		.amdhsa_user_sgpr_dispatch_id 0
		.amdhsa_user_sgpr_flat_scratch_init 0
		.amdhsa_user_sgpr_private_segment_size 0
		.amdhsa_wavefront_size32 1
		.amdhsa_uses_dynamic_stack 0
		.amdhsa_system_sgpr_private_segment_wavefront_offset 0
		.amdhsa_system_sgpr_workgroup_id_x 1
		.amdhsa_system_sgpr_workgroup_id_y 0
		.amdhsa_system_sgpr_workgroup_id_z 0
		.amdhsa_system_sgpr_workgroup_info 0
		.amdhsa_system_vgpr_workitem_id 0
		.amdhsa_next_free_vgpr 1
		.amdhsa_next_free_sgpr 1
		.amdhsa_reserve_vcc 0
		.amdhsa_reserve_flat_scratch 0
		.amdhsa_float_round_mode_32 0
		.amdhsa_float_round_mode_16_64 0
		.amdhsa_float_denorm_mode_32 3
		.amdhsa_float_denorm_mode_16_64 3
		.amdhsa_dx10_clamp 1
		.amdhsa_ieee_mode 1
		.amdhsa_fp16_overflow 0
		.amdhsa_workgroup_processor_mode 1
		.amdhsa_memory_ordered 1
		.amdhsa_forward_progress 1
		.amdhsa_shared_vgpr_count 0
		.amdhsa_exception_fp_ieee_invalid_op 0
		.amdhsa_exception_fp_denorm_src 0
		.amdhsa_exception_fp_ieee_div_zero 0
		.amdhsa_exception_fp_ieee_overflow 0
		.amdhsa_exception_fp_ieee_underflow 0
		.amdhsa_exception_fp_ieee_inexact 0
		.amdhsa_exception_int_div_zero 0
	.end_amdhsa_kernel
	.section	.text._ZN7rocprim17ROCPRIM_400000_NS6detail17trampoline_kernelINS0_13select_configILj256ELj13ELNS0_17block_load_methodE3ELS4_3ELS4_3ELNS0_20block_scan_algorithmE0ELj4294967295EEENS1_25partition_config_selectorILNS1_17partition_subalgoE3EjNS0_10empty_typeEbEEZZNS1_14partition_implILS8_3ELb0ES6_jNS0_17counting_iteratorIjlEEPS9_SE_NS0_5tupleIJPjSE_EEENSF_IJSE_SE_EEES9_SG_JZNS1_25segmented_radix_sort_implINS0_14default_configELb1EPKaPaPKlPlN2at6native12_GLOBAL__N_18offset_tEEE10hipError_tPvRmT1_PNSt15iterator_traitsISY_E10value_typeET2_T3_PNSZ_IS14_E10value_typeET4_jRbjT5_S1A_jjP12ihipStream_tbEUljE_EEESV_SW_SX_S14_S18_S1A_T6_T7_T9_mT8_S1C_bDpT10_ENKUlT_T0_E_clISt17integral_constantIbLb1EES1O_IbLb0EEEEDaS1K_S1L_EUlS1K_E_NS1_11comp_targetILNS1_3genE3ELNS1_11target_archE908ELNS1_3gpuE7ELNS1_3repE0EEENS1_30default_config_static_selectorELNS0_4arch9wavefront6targetE0EEEvSY_,"axG",@progbits,_ZN7rocprim17ROCPRIM_400000_NS6detail17trampoline_kernelINS0_13select_configILj256ELj13ELNS0_17block_load_methodE3ELS4_3ELS4_3ELNS0_20block_scan_algorithmE0ELj4294967295EEENS1_25partition_config_selectorILNS1_17partition_subalgoE3EjNS0_10empty_typeEbEEZZNS1_14partition_implILS8_3ELb0ES6_jNS0_17counting_iteratorIjlEEPS9_SE_NS0_5tupleIJPjSE_EEENSF_IJSE_SE_EEES9_SG_JZNS1_25segmented_radix_sort_implINS0_14default_configELb1EPKaPaPKlPlN2at6native12_GLOBAL__N_18offset_tEEE10hipError_tPvRmT1_PNSt15iterator_traitsISY_E10value_typeET2_T3_PNSZ_IS14_E10value_typeET4_jRbjT5_S1A_jjP12ihipStream_tbEUljE_EEESV_SW_SX_S14_S18_S1A_T6_T7_T9_mT8_S1C_bDpT10_ENKUlT_T0_E_clISt17integral_constantIbLb1EES1O_IbLb0EEEEDaS1K_S1L_EUlS1K_E_NS1_11comp_targetILNS1_3genE3ELNS1_11target_archE908ELNS1_3gpuE7ELNS1_3repE0EEENS1_30default_config_static_selectorELNS0_4arch9wavefront6targetE0EEEvSY_,comdat
.Lfunc_end275:
	.size	_ZN7rocprim17ROCPRIM_400000_NS6detail17trampoline_kernelINS0_13select_configILj256ELj13ELNS0_17block_load_methodE3ELS4_3ELS4_3ELNS0_20block_scan_algorithmE0ELj4294967295EEENS1_25partition_config_selectorILNS1_17partition_subalgoE3EjNS0_10empty_typeEbEEZZNS1_14partition_implILS8_3ELb0ES6_jNS0_17counting_iteratorIjlEEPS9_SE_NS0_5tupleIJPjSE_EEENSF_IJSE_SE_EEES9_SG_JZNS1_25segmented_radix_sort_implINS0_14default_configELb1EPKaPaPKlPlN2at6native12_GLOBAL__N_18offset_tEEE10hipError_tPvRmT1_PNSt15iterator_traitsISY_E10value_typeET2_T3_PNSZ_IS14_E10value_typeET4_jRbjT5_S1A_jjP12ihipStream_tbEUljE_EEESV_SW_SX_S14_S18_S1A_T6_T7_T9_mT8_S1C_bDpT10_ENKUlT_T0_E_clISt17integral_constantIbLb1EES1O_IbLb0EEEEDaS1K_S1L_EUlS1K_E_NS1_11comp_targetILNS1_3genE3ELNS1_11target_archE908ELNS1_3gpuE7ELNS1_3repE0EEENS1_30default_config_static_selectorELNS0_4arch9wavefront6targetE0EEEvSY_, .Lfunc_end275-_ZN7rocprim17ROCPRIM_400000_NS6detail17trampoline_kernelINS0_13select_configILj256ELj13ELNS0_17block_load_methodE3ELS4_3ELS4_3ELNS0_20block_scan_algorithmE0ELj4294967295EEENS1_25partition_config_selectorILNS1_17partition_subalgoE3EjNS0_10empty_typeEbEEZZNS1_14partition_implILS8_3ELb0ES6_jNS0_17counting_iteratorIjlEEPS9_SE_NS0_5tupleIJPjSE_EEENSF_IJSE_SE_EEES9_SG_JZNS1_25segmented_radix_sort_implINS0_14default_configELb1EPKaPaPKlPlN2at6native12_GLOBAL__N_18offset_tEEE10hipError_tPvRmT1_PNSt15iterator_traitsISY_E10value_typeET2_T3_PNSZ_IS14_E10value_typeET4_jRbjT5_S1A_jjP12ihipStream_tbEUljE_EEESV_SW_SX_S14_S18_S1A_T6_T7_T9_mT8_S1C_bDpT10_ENKUlT_T0_E_clISt17integral_constantIbLb1EES1O_IbLb0EEEEDaS1K_S1L_EUlS1K_E_NS1_11comp_targetILNS1_3genE3ELNS1_11target_archE908ELNS1_3gpuE7ELNS1_3repE0EEENS1_30default_config_static_selectorELNS0_4arch9wavefront6targetE0EEEvSY_
                                        ; -- End function
	.set _ZN7rocprim17ROCPRIM_400000_NS6detail17trampoline_kernelINS0_13select_configILj256ELj13ELNS0_17block_load_methodE3ELS4_3ELS4_3ELNS0_20block_scan_algorithmE0ELj4294967295EEENS1_25partition_config_selectorILNS1_17partition_subalgoE3EjNS0_10empty_typeEbEEZZNS1_14partition_implILS8_3ELb0ES6_jNS0_17counting_iteratorIjlEEPS9_SE_NS0_5tupleIJPjSE_EEENSF_IJSE_SE_EEES9_SG_JZNS1_25segmented_radix_sort_implINS0_14default_configELb1EPKaPaPKlPlN2at6native12_GLOBAL__N_18offset_tEEE10hipError_tPvRmT1_PNSt15iterator_traitsISY_E10value_typeET2_T3_PNSZ_IS14_E10value_typeET4_jRbjT5_S1A_jjP12ihipStream_tbEUljE_EEESV_SW_SX_S14_S18_S1A_T6_T7_T9_mT8_S1C_bDpT10_ENKUlT_T0_E_clISt17integral_constantIbLb1EES1O_IbLb0EEEEDaS1K_S1L_EUlS1K_E_NS1_11comp_targetILNS1_3genE3ELNS1_11target_archE908ELNS1_3gpuE7ELNS1_3repE0EEENS1_30default_config_static_selectorELNS0_4arch9wavefront6targetE0EEEvSY_.num_vgpr, 0
	.set _ZN7rocprim17ROCPRIM_400000_NS6detail17trampoline_kernelINS0_13select_configILj256ELj13ELNS0_17block_load_methodE3ELS4_3ELS4_3ELNS0_20block_scan_algorithmE0ELj4294967295EEENS1_25partition_config_selectorILNS1_17partition_subalgoE3EjNS0_10empty_typeEbEEZZNS1_14partition_implILS8_3ELb0ES6_jNS0_17counting_iteratorIjlEEPS9_SE_NS0_5tupleIJPjSE_EEENSF_IJSE_SE_EEES9_SG_JZNS1_25segmented_radix_sort_implINS0_14default_configELb1EPKaPaPKlPlN2at6native12_GLOBAL__N_18offset_tEEE10hipError_tPvRmT1_PNSt15iterator_traitsISY_E10value_typeET2_T3_PNSZ_IS14_E10value_typeET4_jRbjT5_S1A_jjP12ihipStream_tbEUljE_EEESV_SW_SX_S14_S18_S1A_T6_T7_T9_mT8_S1C_bDpT10_ENKUlT_T0_E_clISt17integral_constantIbLb1EES1O_IbLb0EEEEDaS1K_S1L_EUlS1K_E_NS1_11comp_targetILNS1_3genE3ELNS1_11target_archE908ELNS1_3gpuE7ELNS1_3repE0EEENS1_30default_config_static_selectorELNS0_4arch9wavefront6targetE0EEEvSY_.num_agpr, 0
	.set _ZN7rocprim17ROCPRIM_400000_NS6detail17trampoline_kernelINS0_13select_configILj256ELj13ELNS0_17block_load_methodE3ELS4_3ELS4_3ELNS0_20block_scan_algorithmE0ELj4294967295EEENS1_25partition_config_selectorILNS1_17partition_subalgoE3EjNS0_10empty_typeEbEEZZNS1_14partition_implILS8_3ELb0ES6_jNS0_17counting_iteratorIjlEEPS9_SE_NS0_5tupleIJPjSE_EEENSF_IJSE_SE_EEES9_SG_JZNS1_25segmented_radix_sort_implINS0_14default_configELb1EPKaPaPKlPlN2at6native12_GLOBAL__N_18offset_tEEE10hipError_tPvRmT1_PNSt15iterator_traitsISY_E10value_typeET2_T3_PNSZ_IS14_E10value_typeET4_jRbjT5_S1A_jjP12ihipStream_tbEUljE_EEESV_SW_SX_S14_S18_S1A_T6_T7_T9_mT8_S1C_bDpT10_ENKUlT_T0_E_clISt17integral_constantIbLb1EES1O_IbLb0EEEEDaS1K_S1L_EUlS1K_E_NS1_11comp_targetILNS1_3genE3ELNS1_11target_archE908ELNS1_3gpuE7ELNS1_3repE0EEENS1_30default_config_static_selectorELNS0_4arch9wavefront6targetE0EEEvSY_.numbered_sgpr, 0
	.set _ZN7rocprim17ROCPRIM_400000_NS6detail17trampoline_kernelINS0_13select_configILj256ELj13ELNS0_17block_load_methodE3ELS4_3ELS4_3ELNS0_20block_scan_algorithmE0ELj4294967295EEENS1_25partition_config_selectorILNS1_17partition_subalgoE3EjNS0_10empty_typeEbEEZZNS1_14partition_implILS8_3ELb0ES6_jNS0_17counting_iteratorIjlEEPS9_SE_NS0_5tupleIJPjSE_EEENSF_IJSE_SE_EEES9_SG_JZNS1_25segmented_radix_sort_implINS0_14default_configELb1EPKaPaPKlPlN2at6native12_GLOBAL__N_18offset_tEEE10hipError_tPvRmT1_PNSt15iterator_traitsISY_E10value_typeET2_T3_PNSZ_IS14_E10value_typeET4_jRbjT5_S1A_jjP12ihipStream_tbEUljE_EEESV_SW_SX_S14_S18_S1A_T6_T7_T9_mT8_S1C_bDpT10_ENKUlT_T0_E_clISt17integral_constantIbLb1EES1O_IbLb0EEEEDaS1K_S1L_EUlS1K_E_NS1_11comp_targetILNS1_3genE3ELNS1_11target_archE908ELNS1_3gpuE7ELNS1_3repE0EEENS1_30default_config_static_selectorELNS0_4arch9wavefront6targetE0EEEvSY_.num_named_barrier, 0
	.set _ZN7rocprim17ROCPRIM_400000_NS6detail17trampoline_kernelINS0_13select_configILj256ELj13ELNS0_17block_load_methodE3ELS4_3ELS4_3ELNS0_20block_scan_algorithmE0ELj4294967295EEENS1_25partition_config_selectorILNS1_17partition_subalgoE3EjNS0_10empty_typeEbEEZZNS1_14partition_implILS8_3ELb0ES6_jNS0_17counting_iteratorIjlEEPS9_SE_NS0_5tupleIJPjSE_EEENSF_IJSE_SE_EEES9_SG_JZNS1_25segmented_radix_sort_implINS0_14default_configELb1EPKaPaPKlPlN2at6native12_GLOBAL__N_18offset_tEEE10hipError_tPvRmT1_PNSt15iterator_traitsISY_E10value_typeET2_T3_PNSZ_IS14_E10value_typeET4_jRbjT5_S1A_jjP12ihipStream_tbEUljE_EEESV_SW_SX_S14_S18_S1A_T6_T7_T9_mT8_S1C_bDpT10_ENKUlT_T0_E_clISt17integral_constantIbLb1EES1O_IbLb0EEEEDaS1K_S1L_EUlS1K_E_NS1_11comp_targetILNS1_3genE3ELNS1_11target_archE908ELNS1_3gpuE7ELNS1_3repE0EEENS1_30default_config_static_selectorELNS0_4arch9wavefront6targetE0EEEvSY_.private_seg_size, 0
	.set _ZN7rocprim17ROCPRIM_400000_NS6detail17trampoline_kernelINS0_13select_configILj256ELj13ELNS0_17block_load_methodE3ELS4_3ELS4_3ELNS0_20block_scan_algorithmE0ELj4294967295EEENS1_25partition_config_selectorILNS1_17partition_subalgoE3EjNS0_10empty_typeEbEEZZNS1_14partition_implILS8_3ELb0ES6_jNS0_17counting_iteratorIjlEEPS9_SE_NS0_5tupleIJPjSE_EEENSF_IJSE_SE_EEES9_SG_JZNS1_25segmented_radix_sort_implINS0_14default_configELb1EPKaPaPKlPlN2at6native12_GLOBAL__N_18offset_tEEE10hipError_tPvRmT1_PNSt15iterator_traitsISY_E10value_typeET2_T3_PNSZ_IS14_E10value_typeET4_jRbjT5_S1A_jjP12ihipStream_tbEUljE_EEESV_SW_SX_S14_S18_S1A_T6_T7_T9_mT8_S1C_bDpT10_ENKUlT_T0_E_clISt17integral_constantIbLb1EES1O_IbLb0EEEEDaS1K_S1L_EUlS1K_E_NS1_11comp_targetILNS1_3genE3ELNS1_11target_archE908ELNS1_3gpuE7ELNS1_3repE0EEENS1_30default_config_static_selectorELNS0_4arch9wavefront6targetE0EEEvSY_.uses_vcc, 0
	.set _ZN7rocprim17ROCPRIM_400000_NS6detail17trampoline_kernelINS0_13select_configILj256ELj13ELNS0_17block_load_methodE3ELS4_3ELS4_3ELNS0_20block_scan_algorithmE0ELj4294967295EEENS1_25partition_config_selectorILNS1_17partition_subalgoE3EjNS0_10empty_typeEbEEZZNS1_14partition_implILS8_3ELb0ES6_jNS0_17counting_iteratorIjlEEPS9_SE_NS0_5tupleIJPjSE_EEENSF_IJSE_SE_EEES9_SG_JZNS1_25segmented_radix_sort_implINS0_14default_configELb1EPKaPaPKlPlN2at6native12_GLOBAL__N_18offset_tEEE10hipError_tPvRmT1_PNSt15iterator_traitsISY_E10value_typeET2_T3_PNSZ_IS14_E10value_typeET4_jRbjT5_S1A_jjP12ihipStream_tbEUljE_EEESV_SW_SX_S14_S18_S1A_T6_T7_T9_mT8_S1C_bDpT10_ENKUlT_T0_E_clISt17integral_constantIbLb1EES1O_IbLb0EEEEDaS1K_S1L_EUlS1K_E_NS1_11comp_targetILNS1_3genE3ELNS1_11target_archE908ELNS1_3gpuE7ELNS1_3repE0EEENS1_30default_config_static_selectorELNS0_4arch9wavefront6targetE0EEEvSY_.uses_flat_scratch, 0
	.set _ZN7rocprim17ROCPRIM_400000_NS6detail17trampoline_kernelINS0_13select_configILj256ELj13ELNS0_17block_load_methodE3ELS4_3ELS4_3ELNS0_20block_scan_algorithmE0ELj4294967295EEENS1_25partition_config_selectorILNS1_17partition_subalgoE3EjNS0_10empty_typeEbEEZZNS1_14partition_implILS8_3ELb0ES6_jNS0_17counting_iteratorIjlEEPS9_SE_NS0_5tupleIJPjSE_EEENSF_IJSE_SE_EEES9_SG_JZNS1_25segmented_radix_sort_implINS0_14default_configELb1EPKaPaPKlPlN2at6native12_GLOBAL__N_18offset_tEEE10hipError_tPvRmT1_PNSt15iterator_traitsISY_E10value_typeET2_T3_PNSZ_IS14_E10value_typeET4_jRbjT5_S1A_jjP12ihipStream_tbEUljE_EEESV_SW_SX_S14_S18_S1A_T6_T7_T9_mT8_S1C_bDpT10_ENKUlT_T0_E_clISt17integral_constantIbLb1EES1O_IbLb0EEEEDaS1K_S1L_EUlS1K_E_NS1_11comp_targetILNS1_3genE3ELNS1_11target_archE908ELNS1_3gpuE7ELNS1_3repE0EEENS1_30default_config_static_selectorELNS0_4arch9wavefront6targetE0EEEvSY_.has_dyn_sized_stack, 0
	.set _ZN7rocprim17ROCPRIM_400000_NS6detail17trampoline_kernelINS0_13select_configILj256ELj13ELNS0_17block_load_methodE3ELS4_3ELS4_3ELNS0_20block_scan_algorithmE0ELj4294967295EEENS1_25partition_config_selectorILNS1_17partition_subalgoE3EjNS0_10empty_typeEbEEZZNS1_14partition_implILS8_3ELb0ES6_jNS0_17counting_iteratorIjlEEPS9_SE_NS0_5tupleIJPjSE_EEENSF_IJSE_SE_EEES9_SG_JZNS1_25segmented_radix_sort_implINS0_14default_configELb1EPKaPaPKlPlN2at6native12_GLOBAL__N_18offset_tEEE10hipError_tPvRmT1_PNSt15iterator_traitsISY_E10value_typeET2_T3_PNSZ_IS14_E10value_typeET4_jRbjT5_S1A_jjP12ihipStream_tbEUljE_EEESV_SW_SX_S14_S18_S1A_T6_T7_T9_mT8_S1C_bDpT10_ENKUlT_T0_E_clISt17integral_constantIbLb1EES1O_IbLb0EEEEDaS1K_S1L_EUlS1K_E_NS1_11comp_targetILNS1_3genE3ELNS1_11target_archE908ELNS1_3gpuE7ELNS1_3repE0EEENS1_30default_config_static_selectorELNS0_4arch9wavefront6targetE0EEEvSY_.has_recursion, 0
	.set _ZN7rocprim17ROCPRIM_400000_NS6detail17trampoline_kernelINS0_13select_configILj256ELj13ELNS0_17block_load_methodE3ELS4_3ELS4_3ELNS0_20block_scan_algorithmE0ELj4294967295EEENS1_25partition_config_selectorILNS1_17partition_subalgoE3EjNS0_10empty_typeEbEEZZNS1_14partition_implILS8_3ELb0ES6_jNS0_17counting_iteratorIjlEEPS9_SE_NS0_5tupleIJPjSE_EEENSF_IJSE_SE_EEES9_SG_JZNS1_25segmented_radix_sort_implINS0_14default_configELb1EPKaPaPKlPlN2at6native12_GLOBAL__N_18offset_tEEE10hipError_tPvRmT1_PNSt15iterator_traitsISY_E10value_typeET2_T3_PNSZ_IS14_E10value_typeET4_jRbjT5_S1A_jjP12ihipStream_tbEUljE_EEESV_SW_SX_S14_S18_S1A_T6_T7_T9_mT8_S1C_bDpT10_ENKUlT_T0_E_clISt17integral_constantIbLb1EES1O_IbLb0EEEEDaS1K_S1L_EUlS1K_E_NS1_11comp_targetILNS1_3genE3ELNS1_11target_archE908ELNS1_3gpuE7ELNS1_3repE0EEENS1_30default_config_static_selectorELNS0_4arch9wavefront6targetE0EEEvSY_.has_indirect_call, 0
	.section	.AMDGPU.csdata,"",@progbits
; Kernel info:
; codeLenInByte = 0
; TotalNumSgprs: 0
; NumVgprs: 0
; ScratchSize: 0
; MemoryBound: 0
; FloatMode: 240
; IeeeMode: 1
; LDSByteSize: 0 bytes/workgroup (compile time only)
; SGPRBlocks: 0
; VGPRBlocks: 0
; NumSGPRsForWavesPerEU: 1
; NumVGPRsForWavesPerEU: 1
; Occupancy: 16
; WaveLimiterHint : 0
; COMPUTE_PGM_RSRC2:SCRATCH_EN: 0
; COMPUTE_PGM_RSRC2:USER_SGPR: 6
; COMPUTE_PGM_RSRC2:TRAP_HANDLER: 0
; COMPUTE_PGM_RSRC2:TGID_X_EN: 1
; COMPUTE_PGM_RSRC2:TGID_Y_EN: 0
; COMPUTE_PGM_RSRC2:TGID_Z_EN: 0
; COMPUTE_PGM_RSRC2:TIDIG_COMP_CNT: 0
	.section	.text._ZN7rocprim17ROCPRIM_400000_NS6detail17trampoline_kernelINS0_13select_configILj256ELj13ELNS0_17block_load_methodE3ELS4_3ELS4_3ELNS0_20block_scan_algorithmE0ELj4294967295EEENS1_25partition_config_selectorILNS1_17partition_subalgoE3EjNS0_10empty_typeEbEEZZNS1_14partition_implILS8_3ELb0ES6_jNS0_17counting_iteratorIjlEEPS9_SE_NS0_5tupleIJPjSE_EEENSF_IJSE_SE_EEES9_SG_JZNS1_25segmented_radix_sort_implINS0_14default_configELb1EPKaPaPKlPlN2at6native12_GLOBAL__N_18offset_tEEE10hipError_tPvRmT1_PNSt15iterator_traitsISY_E10value_typeET2_T3_PNSZ_IS14_E10value_typeET4_jRbjT5_S1A_jjP12ihipStream_tbEUljE_EEESV_SW_SX_S14_S18_S1A_T6_T7_T9_mT8_S1C_bDpT10_ENKUlT_T0_E_clISt17integral_constantIbLb1EES1O_IbLb0EEEEDaS1K_S1L_EUlS1K_E_NS1_11comp_targetILNS1_3genE2ELNS1_11target_archE906ELNS1_3gpuE6ELNS1_3repE0EEENS1_30default_config_static_selectorELNS0_4arch9wavefront6targetE0EEEvSY_,"axG",@progbits,_ZN7rocprim17ROCPRIM_400000_NS6detail17trampoline_kernelINS0_13select_configILj256ELj13ELNS0_17block_load_methodE3ELS4_3ELS4_3ELNS0_20block_scan_algorithmE0ELj4294967295EEENS1_25partition_config_selectorILNS1_17partition_subalgoE3EjNS0_10empty_typeEbEEZZNS1_14partition_implILS8_3ELb0ES6_jNS0_17counting_iteratorIjlEEPS9_SE_NS0_5tupleIJPjSE_EEENSF_IJSE_SE_EEES9_SG_JZNS1_25segmented_radix_sort_implINS0_14default_configELb1EPKaPaPKlPlN2at6native12_GLOBAL__N_18offset_tEEE10hipError_tPvRmT1_PNSt15iterator_traitsISY_E10value_typeET2_T3_PNSZ_IS14_E10value_typeET4_jRbjT5_S1A_jjP12ihipStream_tbEUljE_EEESV_SW_SX_S14_S18_S1A_T6_T7_T9_mT8_S1C_bDpT10_ENKUlT_T0_E_clISt17integral_constantIbLb1EES1O_IbLb0EEEEDaS1K_S1L_EUlS1K_E_NS1_11comp_targetILNS1_3genE2ELNS1_11target_archE906ELNS1_3gpuE6ELNS1_3repE0EEENS1_30default_config_static_selectorELNS0_4arch9wavefront6targetE0EEEvSY_,comdat
	.globl	_ZN7rocprim17ROCPRIM_400000_NS6detail17trampoline_kernelINS0_13select_configILj256ELj13ELNS0_17block_load_methodE3ELS4_3ELS4_3ELNS0_20block_scan_algorithmE0ELj4294967295EEENS1_25partition_config_selectorILNS1_17partition_subalgoE3EjNS0_10empty_typeEbEEZZNS1_14partition_implILS8_3ELb0ES6_jNS0_17counting_iteratorIjlEEPS9_SE_NS0_5tupleIJPjSE_EEENSF_IJSE_SE_EEES9_SG_JZNS1_25segmented_radix_sort_implINS0_14default_configELb1EPKaPaPKlPlN2at6native12_GLOBAL__N_18offset_tEEE10hipError_tPvRmT1_PNSt15iterator_traitsISY_E10value_typeET2_T3_PNSZ_IS14_E10value_typeET4_jRbjT5_S1A_jjP12ihipStream_tbEUljE_EEESV_SW_SX_S14_S18_S1A_T6_T7_T9_mT8_S1C_bDpT10_ENKUlT_T0_E_clISt17integral_constantIbLb1EES1O_IbLb0EEEEDaS1K_S1L_EUlS1K_E_NS1_11comp_targetILNS1_3genE2ELNS1_11target_archE906ELNS1_3gpuE6ELNS1_3repE0EEENS1_30default_config_static_selectorELNS0_4arch9wavefront6targetE0EEEvSY_ ; -- Begin function _ZN7rocprim17ROCPRIM_400000_NS6detail17trampoline_kernelINS0_13select_configILj256ELj13ELNS0_17block_load_methodE3ELS4_3ELS4_3ELNS0_20block_scan_algorithmE0ELj4294967295EEENS1_25partition_config_selectorILNS1_17partition_subalgoE3EjNS0_10empty_typeEbEEZZNS1_14partition_implILS8_3ELb0ES6_jNS0_17counting_iteratorIjlEEPS9_SE_NS0_5tupleIJPjSE_EEENSF_IJSE_SE_EEES9_SG_JZNS1_25segmented_radix_sort_implINS0_14default_configELb1EPKaPaPKlPlN2at6native12_GLOBAL__N_18offset_tEEE10hipError_tPvRmT1_PNSt15iterator_traitsISY_E10value_typeET2_T3_PNSZ_IS14_E10value_typeET4_jRbjT5_S1A_jjP12ihipStream_tbEUljE_EEESV_SW_SX_S14_S18_S1A_T6_T7_T9_mT8_S1C_bDpT10_ENKUlT_T0_E_clISt17integral_constantIbLb1EES1O_IbLb0EEEEDaS1K_S1L_EUlS1K_E_NS1_11comp_targetILNS1_3genE2ELNS1_11target_archE906ELNS1_3gpuE6ELNS1_3repE0EEENS1_30default_config_static_selectorELNS0_4arch9wavefront6targetE0EEEvSY_
	.p2align	8
	.type	_ZN7rocprim17ROCPRIM_400000_NS6detail17trampoline_kernelINS0_13select_configILj256ELj13ELNS0_17block_load_methodE3ELS4_3ELS4_3ELNS0_20block_scan_algorithmE0ELj4294967295EEENS1_25partition_config_selectorILNS1_17partition_subalgoE3EjNS0_10empty_typeEbEEZZNS1_14partition_implILS8_3ELb0ES6_jNS0_17counting_iteratorIjlEEPS9_SE_NS0_5tupleIJPjSE_EEENSF_IJSE_SE_EEES9_SG_JZNS1_25segmented_radix_sort_implINS0_14default_configELb1EPKaPaPKlPlN2at6native12_GLOBAL__N_18offset_tEEE10hipError_tPvRmT1_PNSt15iterator_traitsISY_E10value_typeET2_T3_PNSZ_IS14_E10value_typeET4_jRbjT5_S1A_jjP12ihipStream_tbEUljE_EEESV_SW_SX_S14_S18_S1A_T6_T7_T9_mT8_S1C_bDpT10_ENKUlT_T0_E_clISt17integral_constantIbLb1EES1O_IbLb0EEEEDaS1K_S1L_EUlS1K_E_NS1_11comp_targetILNS1_3genE2ELNS1_11target_archE906ELNS1_3gpuE6ELNS1_3repE0EEENS1_30default_config_static_selectorELNS0_4arch9wavefront6targetE0EEEvSY_,@function
_ZN7rocprim17ROCPRIM_400000_NS6detail17trampoline_kernelINS0_13select_configILj256ELj13ELNS0_17block_load_methodE3ELS4_3ELS4_3ELNS0_20block_scan_algorithmE0ELj4294967295EEENS1_25partition_config_selectorILNS1_17partition_subalgoE3EjNS0_10empty_typeEbEEZZNS1_14partition_implILS8_3ELb0ES6_jNS0_17counting_iteratorIjlEEPS9_SE_NS0_5tupleIJPjSE_EEENSF_IJSE_SE_EEES9_SG_JZNS1_25segmented_radix_sort_implINS0_14default_configELb1EPKaPaPKlPlN2at6native12_GLOBAL__N_18offset_tEEE10hipError_tPvRmT1_PNSt15iterator_traitsISY_E10value_typeET2_T3_PNSZ_IS14_E10value_typeET4_jRbjT5_S1A_jjP12ihipStream_tbEUljE_EEESV_SW_SX_S14_S18_S1A_T6_T7_T9_mT8_S1C_bDpT10_ENKUlT_T0_E_clISt17integral_constantIbLb1EES1O_IbLb0EEEEDaS1K_S1L_EUlS1K_E_NS1_11comp_targetILNS1_3genE2ELNS1_11target_archE906ELNS1_3gpuE6ELNS1_3repE0EEENS1_30default_config_static_selectorELNS0_4arch9wavefront6targetE0EEEvSY_: ; @_ZN7rocprim17ROCPRIM_400000_NS6detail17trampoline_kernelINS0_13select_configILj256ELj13ELNS0_17block_load_methodE3ELS4_3ELS4_3ELNS0_20block_scan_algorithmE0ELj4294967295EEENS1_25partition_config_selectorILNS1_17partition_subalgoE3EjNS0_10empty_typeEbEEZZNS1_14partition_implILS8_3ELb0ES6_jNS0_17counting_iteratorIjlEEPS9_SE_NS0_5tupleIJPjSE_EEENSF_IJSE_SE_EEES9_SG_JZNS1_25segmented_radix_sort_implINS0_14default_configELb1EPKaPaPKlPlN2at6native12_GLOBAL__N_18offset_tEEE10hipError_tPvRmT1_PNSt15iterator_traitsISY_E10value_typeET2_T3_PNSZ_IS14_E10value_typeET4_jRbjT5_S1A_jjP12ihipStream_tbEUljE_EEESV_SW_SX_S14_S18_S1A_T6_T7_T9_mT8_S1C_bDpT10_ENKUlT_T0_E_clISt17integral_constantIbLb1EES1O_IbLb0EEEEDaS1K_S1L_EUlS1K_E_NS1_11comp_targetILNS1_3genE2ELNS1_11target_archE906ELNS1_3gpuE6ELNS1_3repE0EEENS1_30default_config_static_selectorELNS0_4arch9wavefront6targetE0EEEvSY_
; %bb.0:
	.section	.rodata,"a",@progbits
	.p2align	6, 0x0
	.amdhsa_kernel _ZN7rocprim17ROCPRIM_400000_NS6detail17trampoline_kernelINS0_13select_configILj256ELj13ELNS0_17block_load_methodE3ELS4_3ELS4_3ELNS0_20block_scan_algorithmE0ELj4294967295EEENS1_25partition_config_selectorILNS1_17partition_subalgoE3EjNS0_10empty_typeEbEEZZNS1_14partition_implILS8_3ELb0ES6_jNS0_17counting_iteratorIjlEEPS9_SE_NS0_5tupleIJPjSE_EEENSF_IJSE_SE_EEES9_SG_JZNS1_25segmented_radix_sort_implINS0_14default_configELb1EPKaPaPKlPlN2at6native12_GLOBAL__N_18offset_tEEE10hipError_tPvRmT1_PNSt15iterator_traitsISY_E10value_typeET2_T3_PNSZ_IS14_E10value_typeET4_jRbjT5_S1A_jjP12ihipStream_tbEUljE_EEESV_SW_SX_S14_S18_S1A_T6_T7_T9_mT8_S1C_bDpT10_ENKUlT_T0_E_clISt17integral_constantIbLb1EES1O_IbLb0EEEEDaS1K_S1L_EUlS1K_E_NS1_11comp_targetILNS1_3genE2ELNS1_11target_archE906ELNS1_3gpuE6ELNS1_3repE0EEENS1_30default_config_static_selectorELNS0_4arch9wavefront6targetE0EEEvSY_
		.amdhsa_group_segment_fixed_size 0
		.amdhsa_private_segment_fixed_size 0
		.amdhsa_kernarg_size 144
		.amdhsa_user_sgpr_count 6
		.amdhsa_user_sgpr_private_segment_buffer 1
		.amdhsa_user_sgpr_dispatch_ptr 0
		.amdhsa_user_sgpr_queue_ptr 0
		.amdhsa_user_sgpr_kernarg_segment_ptr 1
		.amdhsa_user_sgpr_dispatch_id 0
		.amdhsa_user_sgpr_flat_scratch_init 0
		.amdhsa_user_sgpr_private_segment_size 0
		.amdhsa_wavefront_size32 1
		.amdhsa_uses_dynamic_stack 0
		.amdhsa_system_sgpr_private_segment_wavefront_offset 0
		.amdhsa_system_sgpr_workgroup_id_x 1
		.amdhsa_system_sgpr_workgroup_id_y 0
		.amdhsa_system_sgpr_workgroup_id_z 0
		.amdhsa_system_sgpr_workgroup_info 0
		.amdhsa_system_vgpr_workitem_id 0
		.amdhsa_next_free_vgpr 1
		.amdhsa_next_free_sgpr 1
		.amdhsa_reserve_vcc 0
		.amdhsa_reserve_flat_scratch 0
		.amdhsa_float_round_mode_32 0
		.amdhsa_float_round_mode_16_64 0
		.amdhsa_float_denorm_mode_32 3
		.amdhsa_float_denorm_mode_16_64 3
		.amdhsa_dx10_clamp 1
		.amdhsa_ieee_mode 1
		.amdhsa_fp16_overflow 0
		.amdhsa_workgroup_processor_mode 1
		.amdhsa_memory_ordered 1
		.amdhsa_forward_progress 1
		.amdhsa_shared_vgpr_count 0
		.amdhsa_exception_fp_ieee_invalid_op 0
		.amdhsa_exception_fp_denorm_src 0
		.amdhsa_exception_fp_ieee_div_zero 0
		.amdhsa_exception_fp_ieee_overflow 0
		.amdhsa_exception_fp_ieee_underflow 0
		.amdhsa_exception_fp_ieee_inexact 0
		.amdhsa_exception_int_div_zero 0
	.end_amdhsa_kernel
	.section	.text._ZN7rocprim17ROCPRIM_400000_NS6detail17trampoline_kernelINS0_13select_configILj256ELj13ELNS0_17block_load_methodE3ELS4_3ELS4_3ELNS0_20block_scan_algorithmE0ELj4294967295EEENS1_25partition_config_selectorILNS1_17partition_subalgoE3EjNS0_10empty_typeEbEEZZNS1_14partition_implILS8_3ELb0ES6_jNS0_17counting_iteratorIjlEEPS9_SE_NS0_5tupleIJPjSE_EEENSF_IJSE_SE_EEES9_SG_JZNS1_25segmented_radix_sort_implINS0_14default_configELb1EPKaPaPKlPlN2at6native12_GLOBAL__N_18offset_tEEE10hipError_tPvRmT1_PNSt15iterator_traitsISY_E10value_typeET2_T3_PNSZ_IS14_E10value_typeET4_jRbjT5_S1A_jjP12ihipStream_tbEUljE_EEESV_SW_SX_S14_S18_S1A_T6_T7_T9_mT8_S1C_bDpT10_ENKUlT_T0_E_clISt17integral_constantIbLb1EES1O_IbLb0EEEEDaS1K_S1L_EUlS1K_E_NS1_11comp_targetILNS1_3genE2ELNS1_11target_archE906ELNS1_3gpuE6ELNS1_3repE0EEENS1_30default_config_static_selectorELNS0_4arch9wavefront6targetE0EEEvSY_,"axG",@progbits,_ZN7rocprim17ROCPRIM_400000_NS6detail17trampoline_kernelINS0_13select_configILj256ELj13ELNS0_17block_load_methodE3ELS4_3ELS4_3ELNS0_20block_scan_algorithmE0ELj4294967295EEENS1_25partition_config_selectorILNS1_17partition_subalgoE3EjNS0_10empty_typeEbEEZZNS1_14partition_implILS8_3ELb0ES6_jNS0_17counting_iteratorIjlEEPS9_SE_NS0_5tupleIJPjSE_EEENSF_IJSE_SE_EEES9_SG_JZNS1_25segmented_radix_sort_implINS0_14default_configELb1EPKaPaPKlPlN2at6native12_GLOBAL__N_18offset_tEEE10hipError_tPvRmT1_PNSt15iterator_traitsISY_E10value_typeET2_T3_PNSZ_IS14_E10value_typeET4_jRbjT5_S1A_jjP12ihipStream_tbEUljE_EEESV_SW_SX_S14_S18_S1A_T6_T7_T9_mT8_S1C_bDpT10_ENKUlT_T0_E_clISt17integral_constantIbLb1EES1O_IbLb0EEEEDaS1K_S1L_EUlS1K_E_NS1_11comp_targetILNS1_3genE2ELNS1_11target_archE906ELNS1_3gpuE6ELNS1_3repE0EEENS1_30default_config_static_selectorELNS0_4arch9wavefront6targetE0EEEvSY_,comdat
.Lfunc_end276:
	.size	_ZN7rocprim17ROCPRIM_400000_NS6detail17trampoline_kernelINS0_13select_configILj256ELj13ELNS0_17block_load_methodE3ELS4_3ELS4_3ELNS0_20block_scan_algorithmE0ELj4294967295EEENS1_25partition_config_selectorILNS1_17partition_subalgoE3EjNS0_10empty_typeEbEEZZNS1_14partition_implILS8_3ELb0ES6_jNS0_17counting_iteratorIjlEEPS9_SE_NS0_5tupleIJPjSE_EEENSF_IJSE_SE_EEES9_SG_JZNS1_25segmented_radix_sort_implINS0_14default_configELb1EPKaPaPKlPlN2at6native12_GLOBAL__N_18offset_tEEE10hipError_tPvRmT1_PNSt15iterator_traitsISY_E10value_typeET2_T3_PNSZ_IS14_E10value_typeET4_jRbjT5_S1A_jjP12ihipStream_tbEUljE_EEESV_SW_SX_S14_S18_S1A_T6_T7_T9_mT8_S1C_bDpT10_ENKUlT_T0_E_clISt17integral_constantIbLb1EES1O_IbLb0EEEEDaS1K_S1L_EUlS1K_E_NS1_11comp_targetILNS1_3genE2ELNS1_11target_archE906ELNS1_3gpuE6ELNS1_3repE0EEENS1_30default_config_static_selectorELNS0_4arch9wavefront6targetE0EEEvSY_, .Lfunc_end276-_ZN7rocprim17ROCPRIM_400000_NS6detail17trampoline_kernelINS0_13select_configILj256ELj13ELNS0_17block_load_methodE3ELS4_3ELS4_3ELNS0_20block_scan_algorithmE0ELj4294967295EEENS1_25partition_config_selectorILNS1_17partition_subalgoE3EjNS0_10empty_typeEbEEZZNS1_14partition_implILS8_3ELb0ES6_jNS0_17counting_iteratorIjlEEPS9_SE_NS0_5tupleIJPjSE_EEENSF_IJSE_SE_EEES9_SG_JZNS1_25segmented_radix_sort_implINS0_14default_configELb1EPKaPaPKlPlN2at6native12_GLOBAL__N_18offset_tEEE10hipError_tPvRmT1_PNSt15iterator_traitsISY_E10value_typeET2_T3_PNSZ_IS14_E10value_typeET4_jRbjT5_S1A_jjP12ihipStream_tbEUljE_EEESV_SW_SX_S14_S18_S1A_T6_T7_T9_mT8_S1C_bDpT10_ENKUlT_T0_E_clISt17integral_constantIbLb1EES1O_IbLb0EEEEDaS1K_S1L_EUlS1K_E_NS1_11comp_targetILNS1_3genE2ELNS1_11target_archE906ELNS1_3gpuE6ELNS1_3repE0EEENS1_30default_config_static_selectorELNS0_4arch9wavefront6targetE0EEEvSY_
                                        ; -- End function
	.set _ZN7rocprim17ROCPRIM_400000_NS6detail17trampoline_kernelINS0_13select_configILj256ELj13ELNS0_17block_load_methodE3ELS4_3ELS4_3ELNS0_20block_scan_algorithmE0ELj4294967295EEENS1_25partition_config_selectorILNS1_17partition_subalgoE3EjNS0_10empty_typeEbEEZZNS1_14partition_implILS8_3ELb0ES6_jNS0_17counting_iteratorIjlEEPS9_SE_NS0_5tupleIJPjSE_EEENSF_IJSE_SE_EEES9_SG_JZNS1_25segmented_radix_sort_implINS0_14default_configELb1EPKaPaPKlPlN2at6native12_GLOBAL__N_18offset_tEEE10hipError_tPvRmT1_PNSt15iterator_traitsISY_E10value_typeET2_T3_PNSZ_IS14_E10value_typeET4_jRbjT5_S1A_jjP12ihipStream_tbEUljE_EEESV_SW_SX_S14_S18_S1A_T6_T7_T9_mT8_S1C_bDpT10_ENKUlT_T0_E_clISt17integral_constantIbLb1EES1O_IbLb0EEEEDaS1K_S1L_EUlS1K_E_NS1_11comp_targetILNS1_3genE2ELNS1_11target_archE906ELNS1_3gpuE6ELNS1_3repE0EEENS1_30default_config_static_selectorELNS0_4arch9wavefront6targetE0EEEvSY_.num_vgpr, 0
	.set _ZN7rocprim17ROCPRIM_400000_NS6detail17trampoline_kernelINS0_13select_configILj256ELj13ELNS0_17block_load_methodE3ELS4_3ELS4_3ELNS0_20block_scan_algorithmE0ELj4294967295EEENS1_25partition_config_selectorILNS1_17partition_subalgoE3EjNS0_10empty_typeEbEEZZNS1_14partition_implILS8_3ELb0ES6_jNS0_17counting_iteratorIjlEEPS9_SE_NS0_5tupleIJPjSE_EEENSF_IJSE_SE_EEES9_SG_JZNS1_25segmented_radix_sort_implINS0_14default_configELb1EPKaPaPKlPlN2at6native12_GLOBAL__N_18offset_tEEE10hipError_tPvRmT1_PNSt15iterator_traitsISY_E10value_typeET2_T3_PNSZ_IS14_E10value_typeET4_jRbjT5_S1A_jjP12ihipStream_tbEUljE_EEESV_SW_SX_S14_S18_S1A_T6_T7_T9_mT8_S1C_bDpT10_ENKUlT_T0_E_clISt17integral_constantIbLb1EES1O_IbLb0EEEEDaS1K_S1L_EUlS1K_E_NS1_11comp_targetILNS1_3genE2ELNS1_11target_archE906ELNS1_3gpuE6ELNS1_3repE0EEENS1_30default_config_static_selectorELNS0_4arch9wavefront6targetE0EEEvSY_.num_agpr, 0
	.set _ZN7rocprim17ROCPRIM_400000_NS6detail17trampoline_kernelINS0_13select_configILj256ELj13ELNS0_17block_load_methodE3ELS4_3ELS4_3ELNS0_20block_scan_algorithmE0ELj4294967295EEENS1_25partition_config_selectorILNS1_17partition_subalgoE3EjNS0_10empty_typeEbEEZZNS1_14partition_implILS8_3ELb0ES6_jNS0_17counting_iteratorIjlEEPS9_SE_NS0_5tupleIJPjSE_EEENSF_IJSE_SE_EEES9_SG_JZNS1_25segmented_radix_sort_implINS0_14default_configELb1EPKaPaPKlPlN2at6native12_GLOBAL__N_18offset_tEEE10hipError_tPvRmT1_PNSt15iterator_traitsISY_E10value_typeET2_T3_PNSZ_IS14_E10value_typeET4_jRbjT5_S1A_jjP12ihipStream_tbEUljE_EEESV_SW_SX_S14_S18_S1A_T6_T7_T9_mT8_S1C_bDpT10_ENKUlT_T0_E_clISt17integral_constantIbLb1EES1O_IbLb0EEEEDaS1K_S1L_EUlS1K_E_NS1_11comp_targetILNS1_3genE2ELNS1_11target_archE906ELNS1_3gpuE6ELNS1_3repE0EEENS1_30default_config_static_selectorELNS0_4arch9wavefront6targetE0EEEvSY_.numbered_sgpr, 0
	.set _ZN7rocprim17ROCPRIM_400000_NS6detail17trampoline_kernelINS0_13select_configILj256ELj13ELNS0_17block_load_methodE3ELS4_3ELS4_3ELNS0_20block_scan_algorithmE0ELj4294967295EEENS1_25partition_config_selectorILNS1_17partition_subalgoE3EjNS0_10empty_typeEbEEZZNS1_14partition_implILS8_3ELb0ES6_jNS0_17counting_iteratorIjlEEPS9_SE_NS0_5tupleIJPjSE_EEENSF_IJSE_SE_EEES9_SG_JZNS1_25segmented_radix_sort_implINS0_14default_configELb1EPKaPaPKlPlN2at6native12_GLOBAL__N_18offset_tEEE10hipError_tPvRmT1_PNSt15iterator_traitsISY_E10value_typeET2_T3_PNSZ_IS14_E10value_typeET4_jRbjT5_S1A_jjP12ihipStream_tbEUljE_EEESV_SW_SX_S14_S18_S1A_T6_T7_T9_mT8_S1C_bDpT10_ENKUlT_T0_E_clISt17integral_constantIbLb1EES1O_IbLb0EEEEDaS1K_S1L_EUlS1K_E_NS1_11comp_targetILNS1_3genE2ELNS1_11target_archE906ELNS1_3gpuE6ELNS1_3repE0EEENS1_30default_config_static_selectorELNS0_4arch9wavefront6targetE0EEEvSY_.num_named_barrier, 0
	.set _ZN7rocprim17ROCPRIM_400000_NS6detail17trampoline_kernelINS0_13select_configILj256ELj13ELNS0_17block_load_methodE3ELS4_3ELS4_3ELNS0_20block_scan_algorithmE0ELj4294967295EEENS1_25partition_config_selectorILNS1_17partition_subalgoE3EjNS0_10empty_typeEbEEZZNS1_14partition_implILS8_3ELb0ES6_jNS0_17counting_iteratorIjlEEPS9_SE_NS0_5tupleIJPjSE_EEENSF_IJSE_SE_EEES9_SG_JZNS1_25segmented_radix_sort_implINS0_14default_configELb1EPKaPaPKlPlN2at6native12_GLOBAL__N_18offset_tEEE10hipError_tPvRmT1_PNSt15iterator_traitsISY_E10value_typeET2_T3_PNSZ_IS14_E10value_typeET4_jRbjT5_S1A_jjP12ihipStream_tbEUljE_EEESV_SW_SX_S14_S18_S1A_T6_T7_T9_mT8_S1C_bDpT10_ENKUlT_T0_E_clISt17integral_constantIbLb1EES1O_IbLb0EEEEDaS1K_S1L_EUlS1K_E_NS1_11comp_targetILNS1_3genE2ELNS1_11target_archE906ELNS1_3gpuE6ELNS1_3repE0EEENS1_30default_config_static_selectorELNS0_4arch9wavefront6targetE0EEEvSY_.private_seg_size, 0
	.set _ZN7rocprim17ROCPRIM_400000_NS6detail17trampoline_kernelINS0_13select_configILj256ELj13ELNS0_17block_load_methodE3ELS4_3ELS4_3ELNS0_20block_scan_algorithmE0ELj4294967295EEENS1_25partition_config_selectorILNS1_17partition_subalgoE3EjNS0_10empty_typeEbEEZZNS1_14partition_implILS8_3ELb0ES6_jNS0_17counting_iteratorIjlEEPS9_SE_NS0_5tupleIJPjSE_EEENSF_IJSE_SE_EEES9_SG_JZNS1_25segmented_radix_sort_implINS0_14default_configELb1EPKaPaPKlPlN2at6native12_GLOBAL__N_18offset_tEEE10hipError_tPvRmT1_PNSt15iterator_traitsISY_E10value_typeET2_T3_PNSZ_IS14_E10value_typeET4_jRbjT5_S1A_jjP12ihipStream_tbEUljE_EEESV_SW_SX_S14_S18_S1A_T6_T7_T9_mT8_S1C_bDpT10_ENKUlT_T0_E_clISt17integral_constantIbLb1EES1O_IbLb0EEEEDaS1K_S1L_EUlS1K_E_NS1_11comp_targetILNS1_3genE2ELNS1_11target_archE906ELNS1_3gpuE6ELNS1_3repE0EEENS1_30default_config_static_selectorELNS0_4arch9wavefront6targetE0EEEvSY_.uses_vcc, 0
	.set _ZN7rocprim17ROCPRIM_400000_NS6detail17trampoline_kernelINS0_13select_configILj256ELj13ELNS0_17block_load_methodE3ELS4_3ELS4_3ELNS0_20block_scan_algorithmE0ELj4294967295EEENS1_25partition_config_selectorILNS1_17partition_subalgoE3EjNS0_10empty_typeEbEEZZNS1_14partition_implILS8_3ELb0ES6_jNS0_17counting_iteratorIjlEEPS9_SE_NS0_5tupleIJPjSE_EEENSF_IJSE_SE_EEES9_SG_JZNS1_25segmented_radix_sort_implINS0_14default_configELb1EPKaPaPKlPlN2at6native12_GLOBAL__N_18offset_tEEE10hipError_tPvRmT1_PNSt15iterator_traitsISY_E10value_typeET2_T3_PNSZ_IS14_E10value_typeET4_jRbjT5_S1A_jjP12ihipStream_tbEUljE_EEESV_SW_SX_S14_S18_S1A_T6_T7_T9_mT8_S1C_bDpT10_ENKUlT_T0_E_clISt17integral_constantIbLb1EES1O_IbLb0EEEEDaS1K_S1L_EUlS1K_E_NS1_11comp_targetILNS1_3genE2ELNS1_11target_archE906ELNS1_3gpuE6ELNS1_3repE0EEENS1_30default_config_static_selectorELNS0_4arch9wavefront6targetE0EEEvSY_.uses_flat_scratch, 0
	.set _ZN7rocprim17ROCPRIM_400000_NS6detail17trampoline_kernelINS0_13select_configILj256ELj13ELNS0_17block_load_methodE3ELS4_3ELS4_3ELNS0_20block_scan_algorithmE0ELj4294967295EEENS1_25partition_config_selectorILNS1_17partition_subalgoE3EjNS0_10empty_typeEbEEZZNS1_14partition_implILS8_3ELb0ES6_jNS0_17counting_iteratorIjlEEPS9_SE_NS0_5tupleIJPjSE_EEENSF_IJSE_SE_EEES9_SG_JZNS1_25segmented_radix_sort_implINS0_14default_configELb1EPKaPaPKlPlN2at6native12_GLOBAL__N_18offset_tEEE10hipError_tPvRmT1_PNSt15iterator_traitsISY_E10value_typeET2_T3_PNSZ_IS14_E10value_typeET4_jRbjT5_S1A_jjP12ihipStream_tbEUljE_EEESV_SW_SX_S14_S18_S1A_T6_T7_T9_mT8_S1C_bDpT10_ENKUlT_T0_E_clISt17integral_constantIbLb1EES1O_IbLb0EEEEDaS1K_S1L_EUlS1K_E_NS1_11comp_targetILNS1_3genE2ELNS1_11target_archE906ELNS1_3gpuE6ELNS1_3repE0EEENS1_30default_config_static_selectorELNS0_4arch9wavefront6targetE0EEEvSY_.has_dyn_sized_stack, 0
	.set _ZN7rocprim17ROCPRIM_400000_NS6detail17trampoline_kernelINS0_13select_configILj256ELj13ELNS0_17block_load_methodE3ELS4_3ELS4_3ELNS0_20block_scan_algorithmE0ELj4294967295EEENS1_25partition_config_selectorILNS1_17partition_subalgoE3EjNS0_10empty_typeEbEEZZNS1_14partition_implILS8_3ELb0ES6_jNS0_17counting_iteratorIjlEEPS9_SE_NS0_5tupleIJPjSE_EEENSF_IJSE_SE_EEES9_SG_JZNS1_25segmented_radix_sort_implINS0_14default_configELb1EPKaPaPKlPlN2at6native12_GLOBAL__N_18offset_tEEE10hipError_tPvRmT1_PNSt15iterator_traitsISY_E10value_typeET2_T3_PNSZ_IS14_E10value_typeET4_jRbjT5_S1A_jjP12ihipStream_tbEUljE_EEESV_SW_SX_S14_S18_S1A_T6_T7_T9_mT8_S1C_bDpT10_ENKUlT_T0_E_clISt17integral_constantIbLb1EES1O_IbLb0EEEEDaS1K_S1L_EUlS1K_E_NS1_11comp_targetILNS1_3genE2ELNS1_11target_archE906ELNS1_3gpuE6ELNS1_3repE0EEENS1_30default_config_static_selectorELNS0_4arch9wavefront6targetE0EEEvSY_.has_recursion, 0
	.set _ZN7rocprim17ROCPRIM_400000_NS6detail17trampoline_kernelINS0_13select_configILj256ELj13ELNS0_17block_load_methodE3ELS4_3ELS4_3ELNS0_20block_scan_algorithmE0ELj4294967295EEENS1_25partition_config_selectorILNS1_17partition_subalgoE3EjNS0_10empty_typeEbEEZZNS1_14partition_implILS8_3ELb0ES6_jNS0_17counting_iteratorIjlEEPS9_SE_NS0_5tupleIJPjSE_EEENSF_IJSE_SE_EEES9_SG_JZNS1_25segmented_radix_sort_implINS0_14default_configELb1EPKaPaPKlPlN2at6native12_GLOBAL__N_18offset_tEEE10hipError_tPvRmT1_PNSt15iterator_traitsISY_E10value_typeET2_T3_PNSZ_IS14_E10value_typeET4_jRbjT5_S1A_jjP12ihipStream_tbEUljE_EEESV_SW_SX_S14_S18_S1A_T6_T7_T9_mT8_S1C_bDpT10_ENKUlT_T0_E_clISt17integral_constantIbLb1EES1O_IbLb0EEEEDaS1K_S1L_EUlS1K_E_NS1_11comp_targetILNS1_3genE2ELNS1_11target_archE906ELNS1_3gpuE6ELNS1_3repE0EEENS1_30default_config_static_selectorELNS0_4arch9wavefront6targetE0EEEvSY_.has_indirect_call, 0
	.section	.AMDGPU.csdata,"",@progbits
; Kernel info:
; codeLenInByte = 0
; TotalNumSgprs: 0
; NumVgprs: 0
; ScratchSize: 0
; MemoryBound: 0
; FloatMode: 240
; IeeeMode: 1
; LDSByteSize: 0 bytes/workgroup (compile time only)
; SGPRBlocks: 0
; VGPRBlocks: 0
; NumSGPRsForWavesPerEU: 1
; NumVGPRsForWavesPerEU: 1
; Occupancy: 16
; WaveLimiterHint : 0
; COMPUTE_PGM_RSRC2:SCRATCH_EN: 0
; COMPUTE_PGM_RSRC2:USER_SGPR: 6
; COMPUTE_PGM_RSRC2:TRAP_HANDLER: 0
; COMPUTE_PGM_RSRC2:TGID_X_EN: 1
; COMPUTE_PGM_RSRC2:TGID_Y_EN: 0
; COMPUTE_PGM_RSRC2:TGID_Z_EN: 0
; COMPUTE_PGM_RSRC2:TIDIG_COMP_CNT: 0
	.section	.text._ZN7rocprim17ROCPRIM_400000_NS6detail17trampoline_kernelINS0_13select_configILj256ELj13ELNS0_17block_load_methodE3ELS4_3ELS4_3ELNS0_20block_scan_algorithmE0ELj4294967295EEENS1_25partition_config_selectorILNS1_17partition_subalgoE3EjNS0_10empty_typeEbEEZZNS1_14partition_implILS8_3ELb0ES6_jNS0_17counting_iteratorIjlEEPS9_SE_NS0_5tupleIJPjSE_EEENSF_IJSE_SE_EEES9_SG_JZNS1_25segmented_radix_sort_implINS0_14default_configELb1EPKaPaPKlPlN2at6native12_GLOBAL__N_18offset_tEEE10hipError_tPvRmT1_PNSt15iterator_traitsISY_E10value_typeET2_T3_PNSZ_IS14_E10value_typeET4_jRbjT5_S1A_jjP12ihipStream_tbEUljE_EEESV_SW_SX_S14_S18_S1A_T6_T7_T9_mT8_S1C_bDpT10_ENKUlT_T0_E_clISt17integral_constantIbLb1EES1O_IbLb0EEEEDaS1K_S1L_EUlS1K_E_NS1_11comp_targetILNS1_3genE10ELNS1_11target_archE1200ELNS1_3gpuE4ELNS1_3repE0EEENS1_30default_config_static_selectorELNS0_4arch9wavefront6targetE0EEEvSY_,"axG",@progbits,_ZN7rocprim17ROCPRIM_400000_NS6detail17trampoline_kernelINS0_13select_configILj256ELj13ELNS0_17block_load_methodE3ELS4_3ELS4_3ELNS0_20block_scan_algorithmE0ELj4294967295EEENS1_25partition_config_selectorILNS1_17partition_subalgoE3EjNS0_10empty_typeEbEEZZNS1_14partition_implILS8_3ELb0ES6_jNS0_17counting_iteratorIjlEEPS9_SE_NS0_5tupleIJPjSE_EEENSF_IJSE_SE_EEES9_SG_JZNS1_25segmented_radix_sort_implINS0_14default_configELb1EPKaPaPKlPlN2at6native12_GLOBAL__N_18offset_tEEE10hipError_tPvRmT1_PNSt15iterator_traitsISY_E10value_typeET2_T3_PNSZ_IS14_E10value_typeET4_jRbjT5_S1A_jjP12ihipStream_tbEUljE_EEESV_SW_SX_S14_S18_S1A_T6_T7_T9_mT8_S1C_bDpT10_ENKUlT_T0_E_clISt17integral_constantIbLb1EES1O_IbLb0EEEEDaS1K_S1L_EUlS1K_E_NS1_11comp_targetILNS1_3genE10ELNS1_11target_archE1200ELNS1_3gpuE4ELNS1_3repE0EEENS1_30default_config_static_selectorELNS0_4arch9wavefront6targetE0EEEvSY_,comdat
	.globl	_ZN7rocprim17ROCPRIM_400000_NS6detail17trampoline_kernelINS0_13select_configILj256ELj13ELNS0_17block_load_methodE3ELS4_3ELS4_3ELNS0_20block_scan_algorithmE0ELj4294967295EEENS1_25partition_config_selectorILNS1_17partition_subalgoE3EjNS0_10empty_typeEbEEZZNS1_14partition_implILS8_3ELb0ES6_jNS0_17counting_iteratorIjlEEPS9_SE_NS0_5tupleIJPjSE_EEENSF_IJSE_SE_EEES9_SG_JZNS1_25segmented_radix_sort_implINS0_14default_configELb1EPKaPaPKlPlN2at6native12_GLOBAL__N_18offset_tEEE10hipError_tPvRmT1_PNSt15iterator_traitsISY_E10value_typeET2_T3_PNSZ_IS14_E10value_typeET4_jRbjT5_S1A_jjP12ihipStream_tbEUljE_EEESV_SW_SX_S14_S18_S1A_T6_T7_T9_mT8_S1C_bDpT10_ENKUlT_T0_E_clISt17integral_constantIbLb1EES1O_IbLb0EEEEDaS1K_S1L_EUlS1K_E_NS1_11comp_targetILNS1_3genE10ELNS1_11target_archE1200ELNS1_3gpuE4ELNS1_3repE0EEENS1_30default_config_static_selectorELNS0_4arch9wavefront6targetE0EEEvSY_ ; -- Begin function _ZN7rocprim17ROCPRIM_400000_NS6detail17trampoline_kernelINS0_13select_configILj256ELj13ELNS0_17block_load_methodE3ELS4_3ELS4_3ELNS0_20block_scan_algorithmE0ELj4294967295EEENS1_25partition_config_selectorILNS1_17partition_subalgoE3EjNS0_10empty_typeEbEEZZNS1_14partition_implILS8_3ELb0ES6_jNS0_17counting_iteratorIjlEEPS9_SE_NS0_5tupleIJPjSE_EEENSF_IJSE_SE_EEES9_SG_JZNS1_25segmented_radix_sort_implINS0_14default_configELb1EPKaPaPKlPlN2at6native12_GLOBAL__N_18offset_tEEE10hipError_tPvRmT1_PNSt15iterator_traitsISY_E10value_typeET2_T3_PNSZ_IS14_E10value_typeET4_jRbjT5_S1A_jjP12ihipStream_tbEUljE_EEESV_SW_SX_S14_S18_S1A_T6_T7_T9_mT8_S1C_bDpT10_ENKUlT_T0_E_clISt17integral_constantIbLb1EES1O_IbLb0EEEEDaS1K_S1L_EUlS1K_E_NS1_11comp_targetILNS1_3genE10ELNS1_11target_archE1200ELNS1_3gpuE4ELNS1_3repE0EEENS1_30default_config_static_selectorELNS0_4arch9wavefront6targetE0EEEvSY_
	.p2align	8
	.type	_ZN7rocprim17ROCPRIM_400000_NS6detail17trampoline_kernelINS0_13select_configILj256ELj13ELNS0_17block_load_methodE3ELS4_3ELS4_3ELNS0_20block_scan_algorithmE0ELj4294967295EEENS1_25partition_config_selectorILNS1_17partition_subalgoE3EjNS0_10empty_typeEbEEZZNS1_14partition_implILS8_3ELb0ES6_jNS0_17counting_iteratorIjlEEPS9_SE_NS0_5tupleIJPjSE_EEENSF_IJSE_SE_EEES9_SG_JZNS1_25segmented_radix_sort_implINS0_14default_configELb1EPKaPaPKlPlN2at6native12_GLOBAL__N_18offset_tEEE10hipError_tPvRmT1_PNSt15iterator_traitsISY_E10value_typeET2_T3_PNSZ_IS14_E10value_typeET4_jRbjT5_S1A_jjP12ihipStream_tbEUljE_EEESV_SW_SX_S14_S18_S1A_T6_T7_T9_mT8_S1C_bDpT10_ENKUlT_T0_E_clISt17integral_constantIbLb1EES1O_IbLb0EEEEDaS1K_S1L_EUlS1K_E_NS1_11comp_targetILNS1_3genE10ELNS1_11target_archE1200ELNS1_3gpuE4ELNS1_3repE0EEENS1_30default_config_static_selectorELNS0_4arch9wavefront6targetE0EEEvSY_,@function
_ZN7rocprim17ROCPRIM_400000_NS6detail17trampoline_kernelINS0_13select_configILj256ELj13ELNS0_17block_load_methodE3ELS4_3ELS4_3ELNS0_20block_scan_algorithmE0ELj4294967295EEENS1_25partition_config_selectorILNS1_17partition_subalgoE3EjNS0_10empty_typeEbEEZZNS1_14partition_implILS8_3ELb0ES6_jNS0_17counting_iteratorIjlEEPS9_SE_NS0_5tupleIJPjSE_EEENSF_IJSE_SE_EEES9_SG_JZNS1_25segmented_radix_sort_implINS0_14default_configELb1EPKaPaPKlPlN2at6native12_GLOBAL__N_18offset_tEEE10hipError_tPvRmT1_PNSt15iterator_traitsISY_E10value_typeET2_T3_PNSZ_IS14_E10value_typeET4_jRbjT5_S1A_jjP12ihipStream_tbEUljE_EEESV_SW_SX_S14_S18_S1A_T6_T7_T9_mT8_S1C_bDpT10_ENKUlT_T0_E_clISt17integral_constantIbLb1EES1O_IbLb0EEEEDaS1K_S1L_EUlS1K_E_NS1_11comp_targetILNS1_3genE10ELNS1_11target_archE1200ELNS1_3gpuE4ELNS1_3repE0EEENS1_30default_config_static_selectorELNS0_4arch9wavefront6targetE0EEEvSY_: ; @_ZN7rocprim17ROCPRIM_400000_NS6detail17trampoline_kernelINS0_13select_configILj256ELj13ELNS0_17block_load_methodE3ELS4_3ELS4_3ELNS0_20block_scan_algorithmE0ELj4294967295EEENS1_25partition_config_selectorILNS1_17partition_subalgoE3EjNS0_10empty_typeEbEEZZNS1_14partition_implILS8_3ELb0ES6_jNS0_17counting_iteratorIjlEEPS9_SE_NS0_5tupleIJPjSE_EEENSF_IJSE_SE_EEES9_SG_JZNS1_25segmented_radix_sort_implINS0_14default_configELb1EPKaPaPKlPlN2at6native12_GLOBAL__N_18offset_tEEE10hipError_tPvRmT1_PNSt15iterator_traitsISY_E10value_typeET2_T3_PNSZ_IS14_E10value_typeET4_jRbjT5_S1A_jjP12ihipStream_tbEUljE_EEESV_SW_SX_S14_S18_S1A_T6_T7_T9_mT8_S1C_bDpT10_ENKUlT_T0_E_clISt17integral_constantIbLb1EES1O_IbLb0EEEEDaS1K_S1L_EUlS1K_E_NS1_11comp_targetILNS1_3genE10ELNS1_11target_archE1200ELNS1_3gpuE4ELNS1_3repE0EEENS1_30default_config_static_selectorELNS0_4arch9wavefront6targetE0EEEvSY_
; %bb.0:
	.section	.rodata,"a",@progbits
	.p2align	6, 0x0
	.amdhsa_kernel _ZN7rocprim17ROCPRIM_400000_NS6detail17trampoline_kernelINS0_13select_configILj256ELj13ELNS0_17block_load_methodE3ELS4_3ELS4_3ELNS0_20block_scan_algorithmE0ELj4294967295EEENS1_25partition_config_selectorILNS1_17partition_subalgoE3EjNS0_10empty_typeEbEEZZNS1_14partition_implILS8_3ELb0ES6_jNS0_17counting_iteratorIjlEEPS9_SE_NS0_5tupleIJPjSE_EEENSF_IJSE_SE_EEES9_SG_JZNS1_25segmented_radix_sort_implINS0_14default_configELb1EPKaPaPKlPlN2at6native12_GLOBAL__N_18offset_tEEE10hipError_tPvRmT1_PNSt15iterator_traitsISY_E10value_typeET2_T3_PNSZ_IS14_E10value_typeET4_jRbjT5_S1A_jjP12ihipStream_tbEUljE_EEESV_SW_SX_S14_S18_S1A_T6_T7_T9_mT8_S1C_bDpT10_ENKUlT_T0_E_clISt17integral_constantIbLb1EES1O_IbLb0EEEEDaS1K_S1L_EUlS1K_E_NS1_11comp_targetILNS1_3genE10ELNS1_11target_archE1200ELNS1_3gpuE4ELNS1_3repE0EEENS1_30default_config_static_selectorELNS0_4arch9wavefront6targetE0EEEvSY_
		.amdhsa_group_segment_fixed_size 0
		.amdhsa_private_segment_fixed_size 0
		.amdhsa_kernarg_size 144
		.amdhsa_user_sgpr_count 6
		.amdhsa_user_sgpr_private_segment_buffer 1
		.amdhsa_user_sgpr_dispatch_ptr 0
		.amdhsa_user_sgpr_queue_ptr 0
		.amdhsa_user_sgpr_kernarg_segment_ptr 1
		.amdhsa_user_sgpr_dispatch_id 0
		.amdhsa_user_sgpr_flat_scratch_init 0
		.amdhsa_user_sgpr_private_segment_size 0
		.amdhsa_wavefront_size32 1
		.amdhsa_uses_dynamic_stack 0
		.amdhsa_system_sgpr_private_segment_wavefront_offset 0
		.amdhsa_system_sgpr_workgroup_id_x 1
		.amdhsa_system_sgpr_workgroup_id_y 0
		.amdhsa_system_sgpr_workgroup_id_z 0
		.amdhsa_system_sgpr_workgroup_info 0
		.amdhsa_system_vgpr_workitem_id 0
		.amdhsa_next_free_vgpr 1
		.amdhsa_next_free_sgpr 1
		.amdhsa_reserve_vcc 0
		.amdhsa_reserve_flat_scratch 0
		.amdhsa_float_round_mode_32 0
		.amdhsa_float_round_mode_16_64 0
		.amdhsa_float_denorm_mode_32 3
		.amdhsa_float_denorm_mode_16_64 3
		.amdhsa_dx10_clamp 1
		.amdhsa_ieee_mode 1
		.amdhsa_fp16_overflow 0
		.amdhsa_workgroup_processor_mode 1
		.amdhsa_memory_ordered 1
		.amdhsa_forward_progress 1
		.amdhsa_shared_vgpr_count 0
		.amdhsa_exception_fp_ieee_invalid_op 0
		.amdhsa_exception_fp_denorm_src 0
		.amdhsa_exception_fp_ieee_div_zero 0
		.amdhsa_exception_fp_ieee_overflow 0
		.amdhsa_exception_fp_ieee_underflow 0
		.amdhsa_exception_fp_ieee_inexact 0
		.amdhsa_exception_int_div_zero 0
	.end_amdhsa_kernel
	.section	.text._ZN7rocprim17ROCPRIM_400000_NS6detail17trampoline_kernelINS0_13select_configILj256ELj13ELNS0_17block_load_methodE3ELS4_3ELS4_3ELNS0_20block_scan_algorithmE0ELj4294967295EEENS1_25partition_config_selectorILNS1_17partition_subalgoE3EjNS0_10empty_typeEbEEZZNS1_14partition_implILS8_3ELb0ES6_jNS0_17counting_iteratorIjlEEPS9_SE_NS0_5tupleIJPjSE_EEENSF_IJSE_SE_EEES9_SG_JZNS1_25segmented_radix_sort_implINS0_14default_configELb1EPKaPaPKlPlN2at6native12_GLOBAL__N_18offset_tEEE10hipError_tPvRmT1_PNSt15iterator_traitsISY_E10value_typeET2_T3_PNSZ_IS14_E10value_typeET4_jRbjT5_S1A_jjP12ihipStream_tbEUljE_EEESV_SW_SX_S14_S18_S1A_T6_T7_T9_mT8_S1C_bDpT10_ENKUlT_T0_E_clISt17integral_constantIbLb1EES1O_IbLb0EEEEDaS1K_S1L_EUlS1K_E_NS1_11comp_targetILNS1_3genE10ELNS1_11target_archE1200ELNS1_3gpuE4ELNS1_3repE0EEENS1_30default_config_static_selectorELNS0_4arch9wavefront6targetE0EEEvSY_,"axG",@progbits,_ZN7rocprim17ROCPRIM_400000_NS6detail17trampoline_kernelINS0_13select_configILj256ELj13ELNS0_17block_load_methodE3ELS4_3ELS4_3ELNS0_20block_scan_algorithmE0ELj4294967295EEENS1_25partition_config_selectorILNS1_17partition_subalgoE3EjNS0_10empty_typeEbEEZZNS1_14partition_implILS8_3ELb0ES6_jNS0_17counting_iteratorIjlEEPS9_SE_NS0_5tupleIJPjSE_EEENSF_IJSE_SE_EEES9_SG_JZNS1_25segmented_radix_sort_implINS0_14default_configELb1EPKaPaPKlPlN2at6native12_GLOBAL__N_18offset_tEEE10hipError_tPvRmT1_PNSt15iterator_traitsISY_E10value_typeET2_T3_PNSZ_IS14_E10value_typeET4_jRbjT5_S1A_jjP12ihipStream_tbEUljE_EEESV_SW_SX_S14_S18_S1A_T6_T7_T9_mT8_S1C_bDpT10_ENKUlT_T0_E_clISt17integral_constantIbLb1EES1O_IbLb0EEEEDaS1K_S1L_EUlS1K_E_NS1_11comp_targetILNS1_3genE10ELNS1_11target_archE1200ELNS1_3gpuE4ELNS1_3repE0EEENS1_30default_config_static_selectorELNS0_4arch9wavefront6targetE0EEEvSY_,comdat
.Lfunc_end277:
	.size	_ZN7rocprim17ROCPRIM_400000_NS6detail17trampoline_kernelINS0_13select_configILj256ELj13ELNS0_17block_load_methodE3ELS4_3ELS4_3ELNS0_20block_scan_algorithmE0ELj4294967295EEENS1_25partition_config_selectorILNS1_17partition_subalgoE3EjNS0_10empty_typeEbEEZZNS1_14partition_implILS8_3ELb0ES6_jNS0_17counting_iteratorIjlEEPS9_SE_NS0_5tupleIJPjSE_EEENSF_IJSE_SE_EEES9_SG_JZNS1_25segmented_radix_sort_implINS0_14default_configELb1EPKaPaPKlPlN2at6native12_GLOBAL__N_18offset_tEEE10hipError_tPvRmT1_PNSt15iterator_traitsISY_E10value_typeET2_T3_PNSZ_IS14_E10value_typeET4_jRbjT5_S1A_jjP12ihipStream_tbEUljE_EEESV_SW_SX_S14_S18_S1A_T6_T7_T9_mT8_S1C_bDpT10_ENKUlT_T0_E_clISt17integral_constantIbLb1EES1O_IbLb0EEEEDaS1K_S1L_EUlS1K_E_NS1_11comp_targetILNS1_3genE10ELNS1_11target_archE1200ELNS1_3gpuE4ELNS1_3repE0EEENS1_30default_config_static_selectorELNS0_4arch9wavefront6targetE0EEEvSY_, .Lfunc_end277-_ZN7rocprim17ROCPRIM_400000_NS6detail17trampoline_kernelINS0_13select_configILj256ELj13ELNS0_17block_load_methodE3ELS4_3ELS4_3ELNS0_20block_scan_algorithmE0ELj4294967295EEENS1_25partition_config_selectorILNS1_17partition_subalgoE3EjNS0_10empty_typeEbEEZZNS1_14partition_implILS8_3ELb0ES6_jNS0_17counting_iteratorIjlEEPS9_SE_NS0_5tupleIJPjSE_EEENSF_IJSE_SE_EEES9_SG_JZNS1_25segmented_radix_sort_implINS0_14default_configELb1EPKaPaPKlPlN2at6native12_GLOBAL__N_18offset_tEEE10hipError_tPvRmT1_PNSt15iterator_traitsISY_E10value_typeET2_T3_PNSZ_IS14_E10value_typeET4_jRbjT5_S1A_jjP12ihipStream_tbEUljE_EEESV_SW_SX_S14_S18_S1A_T6_T7_T9_mT8_S1C_bDpT10_ENKUlT_T0_E_clISt17integral_constantIbLb1EES1O_IbLb0EEEEDaS1K_S1L_EUlS1K_E_NS1_11comp_targetILNS1_3genE10ELNS1_11target_archE1200ELNS1_3gpuE4ELNS1_3repE0EEENS1_30default_config_static_selectorELNS0_4arch9wavefront6targetE0EEEvSY_
                                        ; -- End function
	.set _ZN7rocprim17ROCPRIM_400000_NS6detail17trampoline_kernelINS0_13select_configILj256ELj13ELNS0_17block_load_methodE3ELS4_3ELS4_3ELNS0_20block_scan_algorithmE0ELj4294967295EEENS1_25partition_config_selectorILNS1_17partition_subalgoE3EjNS0_10empty_typeEbEEZZNS1_14partition_implILS8_3ELb0ES6_jNS0_17counting_iteratorIjlEEPS9_SE_NS0_5tupleIJPjSE_EEENSF_IJSE_SE_EEES9_SG_JZNS1_25segmented_radix_sort_implINS0_14default_configELb1EPKaPaPKlPlN2at6native12_GLOBAL__N_18offset_tEEE10hipError_tPvRmT1_PNSt15iterator_traitsISY_E10value_typeET2_T3_PNSZ_IS14_E10value_typeET4_jRbjT5_S1A_jjP12ihipStream_tbEUljE_EEESV_SW_SX_S14_S18_S1A_T6_T7_T9_mT8_S1C_bDpT10_ENKUlT_T0_E_clISt17integral_constantIbLb1EES1O_IbLb0EEEEDaS1K_S1L_EUlS1K_E_NS1_11comp_targetILNS1_3genE10ELNS1_11target_archE1200ELNS1_3gpuE4ELNS1_3repE0EEENS1_30default_config_static_selectorELNS0_4arch9wavefront6targetE0EEEvSY_.num_vgpr, 0
	.set _ZN7rocprim17ROCPRIM_400000_NS6detail17trampoline_kernelINS0_13select_configILj256ELj13ELNS0_17block_load_methodE3ELS4_3ELS4_3ELNS0_20block_scan_algorithmE0ELj4294967295EEENS1_25partition_config_selectorILNS1_17partition_subalgoE3EjNS0_10empty_typeEbEEZZNS1_14partition_implILS8_3ELb0ES6_jNS0_17counting_iteratorIjlEEPS9_SE_NS0_5tupleIJPjSE_EEENSF_IJSE_SE_EEES9_SG_JZNS1_25segmented_radix_sort_implINS0_14default_configELb1EPKaPaPKlPlN2at6native12_GLOBAL__N_18offset_tEEE10hipError_tPvRmT1_PNSt15iterator_traitsISY_E10value_typeET2_T3_PNSZ_IS14_E10value_typeET4_jRbjT5_S1A_jjP12ihipStream_tbEUljE_EEESV_SW_SX_S14_S18_S1A_T6_T7_T9_mT8_S1C_bDpT10_ENKUlT_T0_E_clISt17integral_constantIbLb1EES1O_IbLb0EEEEDaS1K_S1L_EUlS1K_E_NS1_11comp_targetILNS1_3genE10ELNS1_11target_archE1200ELNS1_3gpuE4ELNS1_3repE0EEENS1_30default_config_static_selectorELNS0_4arch9wavefront6targetE0EEEvSY_.num_agpr, 0
	.set _ZN7rocprim17ROCPRIM_400000_NS6detail17trampoline_kernelINS0_13select_configILj256ELj13ELNS0_17block_load_methodE3ELS4_3ELS4_3ELNS0_20block_scan_algorithmE0ELj4294967295EEENS1_25partition_config_selectorILNS1_17partition_subalgoE3EjNS0_10empty_typeEbEEZZNS1_14partition_implILS8_3ELb0ES6_jNS0_17counting_iteratorIjlEEPS9_SE_NS0_5tupleIJPjSE_EEENSF_IJSE_SE_EEES9_SG_JZNS1_25segmented_radix_sort_implINS0_14default_configELb1EPKaPaPKlPlN2at6native12_GLOBAL__N_18offset_tEEE10hipError_tPvRmT1_PNSt15iterator_traitsISY_E10value_typeET2_T3_PNSZ_IS14_E10value_typeET4_jRbjT5_S1A_jjP12ihipStream_tbEUljE_EEESV_SW_SX_S14_S18_S1A_T6_T7_T9_mT8_S1C_bDpT10_ENKUlT_T0_E_clISt17integral_constantIbLb1EES1O_IbLb0EEEEDaS1K_S1L_EUlS1K_E_NS1_11comp_targetILNS1_3genE10ELNS1_11target_archE1200ELNS1_3gpuE4ELNS1_3repE0EEENS1_30default_config_static_selectorELNS0_4arch9wavefront6targetE0EEEvSY_.numbered_sgpr, 0
	.set _ZN7rocprim17ROCPRIM_400000_NS6detail17trampoline_kernelINS0_13select_configILj256ELj13ELNS0_17block_load_methodE3ELS4_3ELS4_3ELNS0_20block_scan_algorithmE0ELj4294967295EEENS1_25partition_config_selectorILNS1_17partition_subalgoE3EjNS0_10empty_typeEbEEZZNS1_14partition_implILS8_3ELb0ES6_jNS0_17counting_iteratorIjlEEPS9_SE_NS0_5tupleIJPjSE_EEENSF_IJSE_SE_EEES9_SG_JZNS1_25segmented_radix_sort_implINS0_14default_configELb1EPKaPaPKlPlN2at6native12_GLOBAL__N_18offset_tEEE10hipError_tPvRmT1_PNSt15iterator_traitsISY_E10value_typeET2_T3_PNSZ_IS14_E10value_typeET4_jRbjT5_S1A_jjP12ihipStream_tbEUljE_EEESV_SW_SX_S14_S18_S1A_T6_T7_T9_mT8_S1C_bDpT10_ENKUlT_T0_E_clISt17integral_constantIbLb1EES1O_IbLb0EEEEDaS1K_S1L_EUlS1K_E_NS1_11comp_targetILNS1_3genE10ELNS1_11target_archE1200ELNS1_3gpuE4ELNS1_3repE0EEENS1_30default_config_static_selectorELNS0_4arch9wavefront6targetE0EEEvSY_.num_named_barrier, 0
	.set _ZN7rocprim17ROCPRIM_400000_NS6detail17trampoline_kernelINS0_13select_configILj256ELj13ELNS0_17block_load_methodE3ELS4_3ELS4_3ELNS0_20block_scan_algorithmE0ELj4294967295EEENS1_25partition_config_selectorILNS1_17partition_subalgoE3EjNS0_10empty_typeEbEEZZNS1_14partition_implILS8_3ELb0ES6_jNS0_17counting_iteratorIjlEEPS9_SE_NS0_5tupleIJPjSE_EEENSF_IJSE_SE_EEES9_SG_JZNS1_25segmented_radix_sort_implINS0_14default_configELb1EPKaPaPKlPlN2at6native12_GLOBAL__N_18offset_tEEE10hipError_tPvRmT1_PNSt15iterator_traitsISY_E10value_typeET2_T3_PNSZ_IS14_E10value_typeET4_jRbjT5_S1A_jjP12ihipStream_tbEUljE_EEESV_SW_SX_S14_S18_S1A_T6_T7_T9_mT8_S1C_bDpT10_ENKUlT_T0_E_clISt17integral_constantIbLb1EES1O_IbLb0EEEEDaS1K_S1L_EUlS1K_E_NS1_11comp_targetILNS1_3genE10ELNS1_11target_archE1200ELNS1_3gpuE4ELNS1_3repE0EEENS1_30default_config_static_selectorELNS0_4arch9wavefront6targetE0EEEvSY_.private_seg_size, 0
	.set _ZN7rocprim17ROCPRIM_400000_NS6detail17trampoline_kernelINS0_13select_configILj256ELj13ELNS0_17block_load_methodE3ELS4_3ELS4_3ELNS0_20block_scan_algorithmE0ELj4294967295EEENS1_25partition_config_selectorILNS1_17partition_subalgoE3EjNS0_10empty_typeEbEEZZNS1_14partition_implILS8_3ELb0ES6_jNS0_17counting_iteratorIjlEEPS9_SE_NS0_5tupleIJPjSE_EEENSF_IJSE_SE_EEES9_SG_JZNS1_25segmented_radix_sort_implINS0_14default_configELb1EPKaPaPKlPlN2at6native12_GLOBAL__N_18offset_tEEE10hipError_tPvRmT1_PNSt15iterator_traitsISY_E10value_typeET2_T3_PNSZ_IS14_E10value_typeET4_jRbjT5_S1A_jjP12ihipStream_tbEUljE_EEESV_SW_SX_S14_S18_S1A_T6_T7_T9_mT8_S1C_bDpT10_ENKUlT_T0_E_clISt17integral_constantIbLb1EES1O_IbLb0EEEEDaS1K_S1L_EUlS1K_E_NS1_11comp_targetILNS1_3genE10ELNS1_11target_archE1200ELNS1_3gpuE4ELNS1_3repE0EEENS1_30default_config_static_selectorELNS0_4arch9wavefront6targetE0EEEvSY_.uses_vcc, 0
	.set _ZN7rocprim17ROCPRIM_400000_NS6detail17trampoline_kernelINS0_13select_configILj256ELj13ELNS0_17block_load_methodE3ELS4_3ELS4_3ELNS0_20block_scan_algorithmE0ELj4294967295EEENS1_25partition_config_selectorILNS1_17partition_subalgoE3EjNS0_10empty_typeEbEEZZNS1_14partition_implILS8_3ELb0ES6_jNS0_17counting_iteratorIjlEEPS9_SE_NS0_5tupleIJPjSE_EEENSF_IJSE_SE_EEES9_SG_JZNS1_25segmented_radix_sort_implINS0_14default_configELb1EPKaPaPKlPlN2at6native12_GLOBAL__N_18offset_tEEE10hipError_tPvRmT1_PNSt15iterator_traitsISY_E10value_typeET2_T3_PNSZ_IS14_E10value_typeET4_jRbjT5_S1A_jjP12ihipStream_tbEUljE_EEESV_SW_SX_S14_S18_S1A_T6_T7_T9_mT8_S1C_bDpT10_ENKUlT_T0_E_clISt17integral_constantIbLb1EES1O_IbLb0EEEEDaS1K_S1L_EUlS1K_E_NS1_11comp_targetILNS1_3genE10ELNS1_11target_archE1200ELNS1_3gpuE4ELNS1_3repE0EEENS1_30default_config_static_selectorELNS0_4arch9wavefront6targetE0EEEvSY_.uses_flat_scratch, 0
	.set _ZN7rocprim17ROCPRIM_400000_NS6detail17trampoline_kernelINS0_13select_configILj256ELj13ELNS0_17block_load_methodE3ELS4_3ELS4_3ELNS0_20block_scan_algorithmE0ELj4294967295EEENS1_25partition_config_selectorILNS1_17partition_subalgoE3EjNS0_10empty_typeEbEEZZNS1_14partition_implILS8_3ELb0ES6_jNS0_17counting_iteratorIjlEEPS9_SE_NS0_5tupleIJPjSE_EEENSF_IJSE_SE_EEES9_SG_JZNS1_25segmented_radix_sort_implINS0_14default_configELb1EPKaPaPKlPlN2at6native12_GLOBAL__N_18offset_tEEE10hipError_tPvRmT1_PNSt15iterator_traitsISY_E10value_typeET2_T3_PNSZ_IS14_E10value_typeET4_jRbjT5_S1A_jjP12ihipStream_tbEUljE_EEESV_SW_SX_S14_S18_S1A_T6_T7_T9_mT8_S1C_bDpT10_ENKUlT_T0_E_clISt17integral_constantIbLb1EES1O_IbLb0EEEEDaS1K_S1L_EUlS1K_E_NS1_11comp_targetILNS1_3genE10ELNS1_11target_archE1200ELNS1_3gpuE4ELNS1_3repE0EEENS1_30default_config_static_selectorELNS0_4arch9wavefront6targetE0EEEvSY_.has_dyn_sized_stack, 0
	.set _ZN7rocprim17ROCPRIM_400000_NS6detail17trampoline_kernelINS0_13select_configILj256ELj13ELNS0_17block_load_methodE3ELS4_3ELS4_3ELNS0_20block_scan_algorithmE0ELj4294967295EEENS1_25partition_config_selectorILNS1_17partition_subalgoE3EjNS0_10empty_typeEbEEZZNS1_14partition_implILS8_3ELb0ES6_jNS0_17counting_iteratorIjlEEPS9_SE_NS0_5tupleIJPjSE_EEENSF_IJSE_SE_EEES9_SG_JZNS1_25segmented_radix_sort_implINS0_14default_configELb1EPKaPaPKlPlN2at6native12_GLOBAL__N_18offset_tEEE10hipError_tPvRmT1_PNSt15iterator_traitsISY_E10value_typeET2_T3_PNSZ_IS14_E10value_typeET4_jRbjT5_S1A_jjP12ihipStream_tbEUljE_EEESV_SW_SX_S14_S18_S1A_T6_T7_T9_mT8_S1C_bDpT10_ENKUlT_T0_E_clISt17integral_constantIbLb1EES1O_IbLb0EEEEDaS1K_S1L_EUlS1K_E_NS1_11comp_targetILNS1_3genE10ELNS1_11target_archE1200ELNS1_3gpuE4ELNS1_3repE0EEENS1_30default_config_static_selectorELNS0_4arch9wavefront6targetE0EEEvSY_.has_recursion, 0
	.set _ZN7rocprim17ROCPRIM_400000_NS6detail17trampoline_kernelINS0_13select_configILj256ELj13ELNS0_17block_load_methodE3ELS4_3ELS4_3ELNS0_20block_scan_algorithmE0ELj4294967295EEENS1_25partition_config_selectorILNS1_17partition_subalgoE3EjNS0_10empty_typeEbEEZZNS1_14partition_implILS8_3ELb0ES6_jNS0_17counting_iteratorIjlEEPS9_SE_NS0_5tupleIJPjSE_EEENSF_IJSE_SE_EEES9_SG_JZNS1_25segmented_radix_sort_implINS0_14default_configELb1EPKaPaPKlPlN2at6native12_GLOBAL__N_18offset_tEEE10hipError_tPvRmT1_PNSt15iterator_traitsISY_E10value_typeET2_T3_PNSZ_IS14_E10value_typeET4_jRbjT5_S1A_jjP12ihipStream_tbEUljE_EEESV_SW_SX_S14_S18_S1A_T6_T7_T9_mT8_S1C_bDpT10_ENKUlT_T0_E_clISt17integral_constantIbLb1EES1O_IbLb0EEEEDaS1K_S1L_EUlS1K_E_NS1_11comp_targetILNS1_3genE10ELNS1_11target_archE1200ELNS1_3gpuE4ELNS1_3repE0EEENS1_30default_config_static_selectorELNS0_4arch9wavefront6targetE0EEEvSY_.has_indirect_call, 0
	.section	.AMDGPU.csdata,"",@progbits
; Kernel info:
; codeLenInByte = 0
; TotalNumSgprs: 0
; NumVgprs: 0
; ScratchSize: 0
; MemoryBound: 0
; FloatMode: 240
; IeeeMode: 1
; LDSByteSize: 0 bytes/workgroup (compile time only)
; SGPRBlocks: 0
; VGPRBlocks: 0
; NumSGPRsForWavesPerEU: 1
; NumVGPRsForWavesPerEU: 1
; Occupancy: 16
; WaveLimiterHint : 0
; COMPUTE_PGM_RSRC2:SCRATCH_EN: 0
; COMPUTE_PGM_RSRC2:USER_SGPR: 6
; COMPUTE_PGM_RSRC2:TRAP_HANDLER: 0
; COMPUTE_PGM_RSRC2:TGID_X_EN: 1
; COMPUTE_PGM_RSRC2:TGID_Y_EN: 0
; COMPUTE_PGM_RSRC2:TGID_Z_EN: 0
; COMPUTE_PGM_RSRC2:TIDIG_COMP_CNT: 0
	.section	.text._ZN7rocprim17ROCPRIM_400000_NS6detail17trampoline_kernelINS0_13select_configILj256ELj13ELNS0_17block_load_methodE3ELS4_3ELS4_3ELNS0_20block_scan_algorithmE0ELj4294967295EEENS1_25partition_config_selectorILNS1_17partition_subalgoE3EjNS0_10empty_typeEbEEZZNS1_14partition_implILS8_3ELb0ES6_jNS0_17counting_iteratorIjlEEPS9_SE_NS0_5tupleIJPjSE_EEENSF_IJSE_SE_EEES9_SG_JZNS1_25segmented_radix_sort_implINS0_14default_configELb1EPKaPaPKlPlN2at6native12_GLOBAL__N_18offset_tEEE10hipError_tPvRmT1_PNSt15iterator_traitsISY_E10value_typeET2_T3_PNSZ_IS14_E10value_typeET4_jRbjT5_S1A_jjP12ihipStream_tbEUljE_EEESV_SW_SX_S14_S18_S1A_T6_T7_T9_mT8_S1C_bDpT10_ENKUlT_T0_E_clISt17integral_constantIbLb1EES1O_IbLb0EEEEDaS1K_S1L_EUlS1K_E_NS1_11comp_targetILNS1_3genE9ELNS1_11target_archE1100ELNS1_3gpuE3ELNS1_3repE0EEENS1_30default_config_static_selectorELNS0_4arch9wavefront6targetE0EEEvSY_,"axG",@progbits,_ZN7rocprim17ROCPRIM_400000_NS6detail17trampoline_kernelINS0_13select_configILj256ELj13ELNS0_17block_load_methodE3ELS4_3ELS4_3ELNS0_20block_scan_algorithmE0ELj4294967295EEENS1_25partition_config_selectorILNS1_17partition_subalgoE3EjNS0_10empty_typeEbEEZZNS1_14partition_implILS8_3ELb0ES6_jNS0_17counting_iteratorIjlEEPS9_SE_NS0_5tupleIJPjSE_EEENSF_IJSE_SE_EEES9_SG_JZNS1_25segmented_radix_sort_implINS0_14default_configELb1EPKaPaPKlPlN2at6native12_GLOBAL__N_18offset_tEEE10hipError_tPvRmT1_PNSt15iterator_traitsISY_E10value_typeET2_T3_PNSZ_IS14_E10value_typeET4_jRbjT5_S1A_jjP12ihipStream_tbEUljE_EEESV_SW_SX_S14_S18_S1A_T6_T7_T9_mT8_S1C_bDpT10_ENKUlT_T0_E_clISt17integral_constantIbLb1EES1O_IbLb0EEEEDaS1K_S1L_EUlS1K_E_NS1_11comp_targetILNS1_3genE9ELNS1_11target_archE1100ELNS1_3gpuE3ELNS1_3repE0EEENS1_30default_config_static_selectorELNS0_4arch9wavefront6targetE0EEEvSY_,comdat
	.globl	_ZN7rocprim17ROCPRIM_400000_NS6detail17trampoline_kernelINS0_13select_configILj256ELj13ELNS0_17block_load_methodE3ELS4_3ELS4_3ELNS0_20block_scan_algorithmE0ELj4294967295EEENS1_25partition_config_selectorILNS1_17partition_subalgoE3EjNS0_10empty_typeEbEEZZNS1_14partition_implILS8_3ELb0ES6_jNS0_17counting_iteratorIjlEEPS9_SE_NS0_5tupleIJPjSE_EEENSF_IJSE_SE_EEES9_SG_JZNS1_25segmented_radix_sort_implINS0_14default_configELb1EPKaPaPKlPlN2at6native12_GLOBAL__N_18offset_tEEE10hipError_tPvRmT1_PNSt15iterator_traitsISY_E10value_typeET2_T3_PNSZ_IS14_E10value_typeET4_jRbjT5_S1A_jjP12ihipStream_tbEUljE_EEESV_SW_SX_S14_S18_S1A_T6_T7_T9_mT8_S1C_bDpT10_ENKUlT_T0_E_clISt17integral_constantIbLb1EES1O_IbLb0EEEEDaS1K_S1L_EUlS1K_E_NS1_11comp_targetILNS1_3genE9ELNS1_11target_archE1100ELNS1_3gpuE3ELNS1_3repE0EEENS1_30default_config_static_selectorELNS0_4arch9wavefront6targetE0EEEvSY_ ; -- Begin function _ZN7rocprim17ROCPRIM_400000_NS6detail17trampoline_kernelINS0_13select_configILj256ELj13ELNS0_17block_load_methodE3ELS4_3ELS4_3ELNS0_20block_scan_algorithmE0ELj4294967295EEENS1_25partition_config_selectorILNS1_17partition_subalgoE3EjNS0_10empty_typeEbEEZZNS1_14partition_implILS8_3ELb0ES6_jNS0_17counting_iteratorIjlEEPS9_SE_NS0_5tupleIJPjSE_EEENSF_IJSE_SE_EEES9_SG_JZNS1_25segmented_radix_sort_implINS0_14default_configELb1EPKaPaPKlPlN2at6native12_GLOBAL__N_18offset_tEEE10hipError_tPvRmT1_PNSt15iterator_traitsISY_E10value_typeET2_T3_PNSZ_IS14_E10value_typeET4_jRbjT5_S1A_jjP12ihipStream_tbEUljE_EEESV_SW_SX_S14_S18_S1A_T6_T7_T9_mT8_S1C_bDpT10_ENKUlT_T0_E_clISt17integral_constantIbLb1EES1O_IbLb0EEEEDaS1K_S1L_EUlS1K_E_NS1_11comp_targetILNS1_3genE9ELNS1_11target_archE1100ELNS1_3gpuE3ELNS1_3repE0EEENS1_30default_config_static_selectorELNS0_4arch9wavefront6targetE0EEEvSY_
	.p2align	8
	.type	_ZN7rocprim17ROCPRIM_400000_NS6detail17trampoline_kernelINS0_13select_configILj256ELj13ELNS0_17block_load_methodE3ELS4_3ELS4_3ELNS0_20block_scan_algorithmE0ELj4294967295EEENS1_25partition_config_selectorILNS1_17partition_subalgoE3EjNS0_10empty_typeEbEEZZNS1_14partition_implILS8_3ELb0ES6_jNS0_17counting_iteratorIjlEEPS9_SE_NS0_5tupleIJPjSE_EEENSF_IJSE_SE_EEES9_SG_JZNS1_25segmented_radix_sort_implINS0_14default_configELb1EPKaPaPKlPlN2at6native12_GLOBAL__N_18offset_tEEE10hipError_tPvRmT1_PNSt15iterator_traitsISY_E10value_typeET2_T3_PNSZ_IS14_E10value_typeET4_jRbjT5_S1A_jjP12ihipStream_tbEUljE_EEESV_SW_SX_S14_S18_S1A_T6_T7_T9_mT8_S1C_bDpT10_ENKUlT_T0_E_clISt17integral_constantIbLb1EES1O_IbLb0EEEEDaS1K_S1L_EUlS1K_E_NS1_11comp_targetILNS1_3genE9ELNS1_11target_archE1100ELNS1_3gpuE3ELNS1_3repE0EEENS1_30default_config_static_selectorELNS0_4arch9wavefront6targetE0EEEvSY_,@function
_ZN7rocprim17ROCPRIM_400000_NS6detail17trampoline_kernelINS0_13select_configILj256ELj13ELNS0_17block_load_methodE3ELS4_3ELS4_3ELNS0_20block_scan_algorithmE0ELj4294967295EEENS1_25partition_config_selectorILNS1_17partition_subalgoE3EjNS0_10empty_typeEbEEZZNS1_14partition_implILS8_3ELb0ES6_jNS0_17counting_iteratorIjlEEPS9_SE_NS0_5tupleIJPjSE_EEENSF_IJSE_SE_EEES9_SG_JZNS1_25segmented_radix_sort_implINS0_14default_configELb1EPKaPaPKlPlN2at6native12_GLOBAL__N_18offset_tEEE10hipError_tPvRmT1_PNSt15iterator_traitsISY_E10value_typeET2_T3_PNSZ_IS14_E10value_typeET4_jRbjT5_S1A_jjP12ihipStream_tbEUljE_EEESV_SW_SX_S14_S18_S1A_T6_T7_T9_mT8_S1C_bDpT10_ENKUlT_T0_E_clISt17integral_constantIbLb1EES1O_IbLb0EEEEDaS1K_S1L_EUlS1K_E_NS1_11comp_targetILNS1_3genE9ELNS1_11target_archE1100ELNS1_3gpuE3ELNS1_3repE0EEENS1_30default_config_static_selectorELNS0_4arch9wavefront6targetE0EEEvSY_: ; @_ZN7rocprim17ROCPRIM_400000_NS6detail17trampoline_kernelINS0_13select_configILj256ELj13ELNS0_17block_load_methodE3ELS4_3ELS4_3ELNS0_20block_scan_algorithmE0ELj4294967295EEENS1_25partition_config_selectorILNS1_17partition_subalgoE3EjNS0_10empty_typeEbEEZZNS1_14partition_implILS8_3ELb0ES6_jNS0_17counting_iteratorIjlEEPS9_SE_NS0_5tupleIJPjSE_EEENSF_IJSE_SE_EEES9_SG_JZNS1_25segmented_radix_sort_implINS0_14default_configELb1EPKaPaPKlPlN2at6native12_GLOBAL__N_18offset_tEEE10hipError_tPvRmT1_PNSt15iterator_traitsISY_E10value_typeET2_T3_PNSZ_IS14_E10value_typeET4_jRbjT5_S1A_jjP12ihipStream_tbEUljE_EEESV_SW_SX_S14_S18_S1A_T6_T7_T9_mT8_S1C_bDpT10_ENKUlT_T0_E_clISt17integral_constantIbLb1EES1O_IbLb0EEEEDaS1K_S1L_EUlS1K_E_NS1_11comp_targetILNS1_3genE9ELNS1_11target_archE1100ELNS1_3gpuE3ELNS1_3repE0EEENS1_30default_config_static_selectorELNS0_4arch9wavefront6targetE0EEEvSY_
; %bb.0:
	.section	.rodata,"a",@progbits
	.p2align	6, 0x0
	.amdhsa_kernel _ZN7rocprim17ROCPRIM_400000_NS6detail17trampoline_kernelINS0_13select_configILj256ELj13ELNS0_17block_load_methodE3ELS4_3ELS4_3ELNS0_20block_scan_algorithmE0ELj4294967295EEENS1_25partition_config_selectorILNS1_17partition_subalgoE3EjNS0_10empty_typeEbEEZZNS1_14partition_implILS8_3ELb0ES6_jNS0_17counting_iteratorIjlEEPS9_SE_NS0_5tupleIJPjSE_EEENSF_IJSE_SE_EEES9_SG_JZNS1_25segmented_radix_sort_implINS0_14default_configELb1EPKaPaPKlPlN2at6native12_GLOBAL__N_18offset_tEEE10hipError_tPvRmT1_PNSt15iterator_traitsISY_E10value_typeET2_T3_PNSZ_IS14_E10value_typeET4_jRbjT5_S1A_jjP12ihipStream_tbEUljE_EEESV_SW_SX_S14_S18_S1A_T6_T7_T9_mT8_S1C_bDpT10_ENKUlT_T0_E_clISt17integral_constantIbLb1EES1O_IbLb0EEEEDaS1K_S1L_EUlS1K_E_NS1_11comp_targetILNS1_3genE9ELNS1_11target_archE1100ELNS1_3gpuE3ELNS1_3repE0EEENS1_30default_config_static_selectorELNS0_4arch9wavefront6targetE0EEEvSY_
		.amdhsa_group_segment_fixed_size 0
		.amdhsa_private_segment_fixed_size 0
		.amdhsa_kernarg_size 144
		.amdhsa_user_sgpr_count 6
		.amdhsa_user_sgpr_private_segment_buffer 1
		.amdhsa_user_sgpr_dispatch_ptr 0
		.amdhsa_user_sgpr_queue_ptr 0
		.amdhsa_user_sgpr_kernarg_segment_ptr 1
		.amdhsa_user_sgpr_dispatch_id 0
		.amdhsa_user_sgpr_flat_scratch_init 0
		.amdhsa_user_sgpr_private_segment_size 0
		.amdhsa_wavefront_size32 1
		.amdhsa_uses_dynamic_stack 0
		.amdhsa_system_sgpr_private_segment_wavefront_offset 0
		.amdhsa_system_sgpr_workgroup_id_x 1
		.amdhsa_system_sgpr_workgroup_id_y 0
		.amdhsa_system_sgpr_workgroup_id_z 0
		.amdhsa_system_sgpr_workgroup_info 0
		.amdhsa_system_vgpr_workitem_id 0
		.amdhsa_next_free_vgpr 1
		.amdhsa_next_free_sgpr 1
		.amdhsa_reserve_vcc 0
		.amdhsa_reserve_flat_scratch 0
		.amdhsa_float_round_mode_32 0
		.amdhsa_float_round_mode_16_64 0
		.amdhsa_float_denorm_mode_32 3
		.amdhsa_float_denorm_mode_16_64 3
		.amdhsa_dx10_clamp 1
		.amdhsa_ieee_mode 1
		.amdhsa_fp16_overflow 0
		.amdhsa_workgroup_processor_mode 1
		.amdhsa_memory_ordered 1
		.amdhsa_forward_progress 1
		.amdhsa_shared_vgpr_count 0
		.amdhsa_exception_fp_ieee_invalid_op 0
		.amdhsa_exception_fp_denorm_src 0
		.amdhsa_exception_fp_ieee_div_zero 0
		.amdhsa_exception_fp_ieee_overflow 0
		.amdhsa_exception_fp_ieee_underflow 0
		.amdhsa_exception_fp_ieee_inexact 0
		.amdhsa_exception_int_div_zero 0
	.end_amdhsa_kernel
	.section	.text._ZN7rocprim17ROCPRIM_400000_NS6detail17trampoline_kernelINS0_13select_configILj256ELj13ELNS0_17block_load_methodE3ELS4_3ELS4_3ELNS0_20block_scan_algorithmE0ELj4294967295EEENS1_25partition_config_selectorILNS1_17partition_subalgoE3EjNS0_10empty_typeEbEEZZNS1_14partition_implILS8_3ELb0ES6_jNS0_17counting_iteratorIjlEEPS9_SE_NS0_5tupleIJPjSE_EEENSF_IJSE_SE_EEES9_SG_JZNS1_25segmented_radix_sort_implINS0_14default_configELb1EPKaPaPKlPlN2at6native12_GLOBAL__N_18offset_tEEE10hipError_tPvRmT1_PNSt15iterator_traitsISY_E10value_typeET2_T3_PNSZ_IS14_E10value_typeET4_jRbjT5_S1A_jjP12ihipStream_tbEUljE_EEESV_SW_SX_S14_S18_S1A_T6_T7_T9_mT8_S1C_bDpT10_ENKUlT_T0_E_clISt17integral_constantIbLb1EES1O_IbLb0EEEEDaS1K_S1L_EUlS1K_E_NS1_11comp_targetILNS1_3genE9ELNS1_11target_archE1100ELNS1_3gpuE3ELNS1_3repE0EEENS1_30default_config_static_selectorELNS0_4arch9wavefront6targetE0EEEvSY_,"axG",@progbits,_ZN7rocprim17ROCPRIM_400000_NS6detail17trampoline_kernelINS0_13select_configILj256ELj13ELNS0_17block_load_methodE3ELS4_3ELS4_3ELNS0_20block_scan_algorithmE0ELj4294967295EEENS1_25partition_config_selectorILNS1_17partition_subalgoE3EjNS0_10empty_typeEbEEZZNS1_14partition_implILS8_3ELb0ES6_jNS0_17counting_iteratorIjlEEPS9_SE_NS0_5tupleIJPjSE_EEENSF_IJSE_SE_EEES9_SG_JZNS1_25segmented_radix_sort_implINS0_14default_configELb1EPKaPaPKlPlN2at6native12_GLOBAL__N_18offset_tEEE10hipError_tPvRmT1_PNSt15iterator_traitsISY_E10value_typeET2_T3_PNSZ_IS14_E10value_typeET4_jRbjT5_S1A_jjP12ihipStream_tbEUljE_EEESV_SW_SX_S14_S18_S1A_T6_T7_T9_mT8_S1C_bDpT10_ENKUlT_T0_E_clISt17integral_constantIbLb1EES1O_IbLb0EEEEDaS1K_S1L_EUlS1K_E_NS1_11comp_targetILNS1_3genE9ELNS1_11target_archE1100ELNS1_3gpuE3ELNS1_3repE0EEENS1_30default_config_static_selectorELNS0_4arch9wavefront6targetE0EEEvSY_,comdat
.Lfunc_end278:
	.size	_ZN7rocprim17ROCPRIM_400000_NS6detail17trampoline_kernelINS0_13select_configILj256ELj13ELNS0_17block_load_methodE3ELS4_3ELS4_3ELNS0_20block_scan_algorithmE0ELj4294967295EEENS1_25partition_config_selectorILNS1_17partition_subalgoE3EjNS0_10empty_typeEbEEZZNS1_14partition_implILS8_3ELb0ES6_jNS0_17counting_iteratorIjlEEPS9_SE_NS0_5tupleIJPjSE_EEENSF_IJSE_SE_EEES9_SG_JZNS1_25segmented_radix_sort_implINS0_14default_configELb1EPKaPaPKlPlN2at6native12_GLOBAL__N_18offset_tEEE10hipError_tPvRmT1_PNSt15iterator_traitsISY_E10value_typeET2_T3_PNSZ_IS14_E10value_typeET4_jRbjT5_S1A_jjP12ihipStream_tbEUljE_EEESV_SW_SX_S14_S18_S1A_T6_T7_T9_mT8_S1C_bDpT10_ENKUlT_T0_E_clISt17integral_constantIbLb1EES1O_IbLb0EEEEDaS1K_S1L_EUlS1K_E_NS1_11comp_targetILNS1_3genE9ELNS1_11target_archE1100ELNS1_3gpuE3ELNS1_3repE0EEENS1_30default_config_static_selectorELNS0_4arch9wavefront6targetE0EEEvSY_, .Lfunc_end278-_ZN7rocprim17ROCPRIM_400000_NS6detail17trampoline_kernelINS0_13select_configILj256ELj13ELNS0_17block_load_methodE3ELS4_3ELS4_3ELNS0_20block_scan_algorithmE0ELj4294967295EEENS1_25partition_config_selectorILNS1_17partition_subalgoE3EjNS0_10empty_typeEbEEZZNS1_14partition_implILS8_3ELb0ES6_jNS0_17counting_iteratorIjlEEPS9_SE_NS0_5tupleIJPjSE_EEENSF_IJSE_SE_EEES9_SG_JZNS1_25segmented_radix_sort_implINS0_14default_configELb1EPKaPaPKlPlN2at6native12_GLOBAL__N_18offset_tEEE10hipError_tPvRmT1_PNSt15iterator_traitsISY_E10value_typeET2_T3_PNSZ_IS14_E10value_typeET4_jRbjT5_S1A_jjP12ihipStream_tbEUljE_EEESV_SW_SX_S14_S18_S1A_T6_T7_T9_mT8_S1C_bDpT10_ENKUlT_T0_E_clISt17integral_constantIbLb1EES1O_IbLb0EEEEDaS1K_S1L_EUlS1K_E_NS1_11comp_targetILNS1_3genE9ELNS1_11target_archE1100ELNS1_3gpuE3ELNS1_3repE0EEENS1_30default_config_static_selectorELNS0_4arch9wavefront6targetE0EEEvSY_
                                        ; -- End function
	.set _ZN7rocprim17ROCPRIM_400000_NS6detail17trampoline_kernelINS0_13select_configILj256ELj13ELNS0_17block_load_methodE3ELS4_3ELS4_3ELNS0_20block_scan_algorithmE0ELj4294967295EEENS1_25partition_config_selectorILNS1_17partition_subalgoE3EjNS0_10empty_typeEbEEZZNS1_14partition_implILS8_3ELb0ES6_jNS0_17counting_iteratorIjlEEPS9_SE_NS0_5tupleIJPjSE_EEENSF_IJSE_SE_EEES9_SG_JZNS1_25segmented_radix_sort_implINS0_14default_configELb1EPKaPaPKlPlN2at6native12_GLOBAL__N_18offset_tEEE10hipError_tPvRmT1_PNSt15iterator_traitsISY_E10value_typeET2_T3_PNSZ_IS14_E10value_typeET4_jRbjT5_S1A_jjP12ihipStream_tbEUljE_EEESV_SW_SX_S14_S18_S1A_T6_T7_T9_mT8_S1C_bDpT10_ENKUlT_T0_E_clISt17integral_constantIbLb1EES1O_IbLb0EEEEDaS1K_S1L_EUlS1K_E_NS1_11comp_targetILNS1_3genE9ELNS1_11target_archE1100ELNS1_3gpuE3ELNS1_3repE0EEENS1_30default_config_static_selectorELNS0_4arch9wavefront6targetE0EEEvSY_.num_vgpr, 0
	.set _ZN7rocprim17ROCPRIM_400000_NS6detail17trampoline_kernelINS0_13select_configILj256ELj13ELNS0_17block_load_methodE3ELS4_3ELS4_3ELNS0_20block_scan_algorithmE0ELj4294967295EEENS1_25partition_config_selectorILNS1_17partition_subalgoE3EjNS0_10empty_typeEbEEZZNS1_14partition_implILS8_3ELb0ES6_jNS0_17counting_iteratorIjlEEPS9_SE_NS0_5tupleIJPjSE_EEENSF_IJSE_SE_EEES9_SG_JZNS1_25segmented_radix_sort_implINS0_14default_configELb1EPKaPaPKlPlN2at6native12_GLOBAL__N_18offset_tEEE10hipError_tPvRmT1_PNSt15iterator_traitsISY_E10value_typeET2_T3_PNSZ_IS14_E10value_typeET4_jRbjT5_S1A_jjP12ihipStream_tbEUljE_EEESV_SW_SX_S14_S18_S1A_T6_T7_T9_mT8_S1C_bDpT10_ENKUlT_T0_E_clISt17integral_constantIbLb1EES1O_IbLb0EEEEDaS1K_S1L_EUlS1K_E_NS1_11comp_targetILNS1_3genE9ELNS1_11target_archE1100ELNS1_3gpuE3ELNS1_3repE0EEENS1_30default_config_static_selectorELNS0_4arch9wavefront6targetE0EEEvSY_.num_agpr, 0
	.set _ZN7rocprim17ROCPRIM_400000_NS6detail17trampoline_kernelINS0_13select_configILj256ELj13ELNS0_17block_load_methodE3ELS4_3ELS4_3ELNS0_20block_scan_algorithmE0ELj4294967295EEENS1_25partition_config_selectorILNS1_17partition_subalgoE3EjNS0_10empty_typeEbEEZZNS1_14partition_implILS8_3ELb0ES6_jNS0_17counting_iteratorIjlEEPS9_SE_NS0_5tupleIJPjSE_EEENSF_IJSE_SE_EEES9_SG_JZNS1_25segmented_radix_sort_implINS0_14default_configELb1EPKaPaPKlPlN2at6native12_GLOBAL__N_18offset_tEEE10hipError_tPvRmT1_PNSt15iterator_traitsISY_E10value_typeET2_T3_PNSZ_IS14_E10value_typeET4_jRbjT5_S1A_jjP12ihipStream_tbEUljE_EEESV_SW_SX_S14_S18_S1A_T6_T7_T9_mT8_S1C_bDpT10_ENKUlT_T0_E_clISt17integral_constantIbLb1EES1O_IbLb0EEEEDaS1K_S1L_EUlS1K_E_NS1_11comp_targetILNS1_3genE9ELNS1_11target_archE1100ELNS1_3gpuE3ELNS1_3repE0EEENS1_30default_config_static_selectorELNS0_4arch9wavefront6targetE0EEEvSY_.numbered_sgpr, 0
	.set _ZN7rocprim17ROCPRIM_400000_NS6detail17trampoline_kernelINS0_13select_configILj256ELj13ELNS0_17block_load_methodE3ELS4_3ELS4_3ELNS0_20block_scan_algorithmE0ELj4294967295EEENS1_25partition_config_selectorILNS1_17partition_subalgoE3EjNS0_10empty_typeEbEEZZNS1_14partition_implILS8_3ELb0ES6_jNS0_17counting_iteratorIjlEEPS9_SE_NS0_5tupleIJPjSE_EEENSF_IJSE_SE_EEES9_SG_JZNS1_25segmented_radix_sort_implINS0_14default_configELb1EPKaPaPKlPlN2at6native12_GLOBAL__N_18offset_tEEE10hipError_tPvRmT1_PNSt15iterator_traitsISY_E10value_typeET2_T3_PNSZ_IS14_E10value_typeET4_jRbjT5_S1A_jjP12ihipStream_tbEUljE_EEESV_SW_SX_S14_S18_S1A_T6_T7_T9_mT8_S1C_bDpT10_ENKUlT_T0_E_clISt17integral_constantIbLb1EES1O_IbLb0EEEEDaS1K_S1L_EUlS1K_E_NS1_11comp_targetILNS1_3genE9ELNS1_11target_archE1100ELNS1_3gpuE3ELNS1_3repE0EEENS1_30default_config_static_selectorELNS0_4arch9wavefront6targetE0EEEvSY_.num_named_barrier, 0
	.set _ZN7rocprim17ROCPRIM_400000_NS6detail17trampoline_kernelINS0_13select_configILj256ELj13ELNS0_17block_load_methodE3ELS4_3ELS4_3ELNS0_20block_scan_algorithmE0ELj4294967295EEENS1_25partition_config_selectorILNS1_17partition_subalgoE3EjNS0_10empty_typeEbEEZZNS1_14partition_implILS8_3ELb0ES6_jNS0_17counting_iteratorIjlEEPS9_SE_NS0_5tupleIJPjSE_EEENSF_IJSE_SE_EEES9_SG_JZNS1_25segmented_radix_sort_implINS0_14default_configELb1EPKaPaPKlPlN2at6native12_GLOBAL__N_18offset_tEEE10hipError_tPvRmT1_PNSt15iterator_traitsISY_E10value_typeET2_T3_PNSZ_IS14_E10value_typeET4_jRbjT5_S1A_jjP12ihipStream_tbEUljE_EEESV_SW_SX_S14_S18_S1A_T6_T7_T9_mT8_S1C_bDpT10_ENKUlT_T0_E_clISt17integral_constantIbLb1EES1O_IbLb0EEEEDaS1K_S1L_EUlS1K_E_NS1_11comp_targetILNS1_3genE9ELNS1_11target_archE1100ELNS1_3gpuE3ELNS1_3repE0EEENS1_30default_config_static_selectorELNS0_4arch9wavefront6targetE0EEEvSY_.private_seg_size, 0
	.set _ZN7rocprim17ROCPRIM_400000_NS6detail17trampoline_kernelINS0_13select_configILj256ELj13ELNS0_17block_load_methodE3ELS4_3ELS4_3ELNS0_20block_scan_algorithmE0ELj4294967295EEENS1_25partition_config_selectorILNS1_17partition_subalgoE3EjNS0_10empty_typeEbEEZZNS1_14partition_implILS8_3ELb0ES6_jNS0_17counting_iteratorIjlEEPS9_SE_NS0_5tupleIJPjSE_EEENSF_IJSE_SE_EEES9_SG_JZNS1_25segmented_radix_sort_implINS0_14default_configELb1EPKaPaPKlPlN2at6native12_GLOBAL__N_18offset_tEEE10hipError_tPvRmT1_PNSt15iterator_traitsISY_E10value_typeET2_T3_PNSZ_IS14_E10value_typeET4_jRbjT5_S1A_jjP12ihipStream_tbEUljE_EEESV_SW_SX_S14_S18_S1A_T6_T7_T9_mT8_S1C_bDpT10_ENKUlT_T0_E_clISt17integral_constantIbLb1EES1O_IbLb0EEEEDaS1K_S1L_EUlS1K_E_NS1_11comp_targetILNS1_3genE9ELNS1_11target_archE1100ELNS1_3gpuE3ELNS1_3repE0EEENS1_30default_config_static_selectorELNS0_4arch9wavefront6targetE0EEEvSY_.uses_vcc, 0
	.set _ZN7rocprim17ROCPRIM_400000_NS6detail17trampoline_kernelINS0_13select_configILj256ELj13ELNS0_17block_load_methodE3ELS4_3ELS4_3ELNS0_20block_scan_algorithmE0ELj4294967295EEENS1_25partition_config_selectorILNS1_17partition_subalgoE3EjNS0_10empty_typeEbEEZZNS1_14partition_implILS8_3ELb0ES6_jNS0_17counting_iteratorIjlEEPS9_SE_NS0_5tupleIJPjSE_EEENSF_IJSE_SE_EEES9_SG_JZNS1_25segmented_radix_sort_implINS0_14default_configELb1EPKaPaPKlPlN2at6native12_GLOBAL__N_18offset_tEEE10hipError_tPvRmT1_PNSt15iterator_traitsISY_E10value_typeET2_T3_PNSZ_IS14_E10value_typeET4_jRbjT5_S1A_jjP12ihipStream_tbEUljE_EEESV_SW_SX_S14_S18_S1A_T6_T7_T9_mT8_S1C_bDpT10_ENKUlT_T0_E_clISt17integral_constantIbLb1EES1O_IbLb0EEEEDaS1K_S1L_EUlS1K_E_NS1_11comp_targetILNS1_3genE9ELNS1_11target_archE1100ELNS1_3gpuE3ELNS1_3repE0EEENS1_30default_config_static_selectorELNS0_4arch9wavefront6targetE0EEEvSY_.uses_flat_scratch, 0
	.set _ZN7rocprim17ROCPRIM_400000_NS6detail17trampoline_kernelINS0_13select_configILj256ELj13ELNS0_17block_load_methodE3ELS4_3ELS4_3ELNS0_20block_scan_algorithmE0ELj4294967295EEENS1_25partition_config_selectorILNS1_17partition_subalgoE3EjNS0_10empty_typeEbEEZZNS1_14partition_implILS8_3ELb0ES6_jNS0_17counting_iteratorIjlEEPS9_SE_NS0_5tupleIJPjSE_EEENSF_IJSE_SE_EEES9_SG_JZNS1_25segmented_radix_sort_implINS0_14default_configELb1EPKaPaPKlPlN2at6native12_GLOBAL__N_18offset_tEEE10hipError_tPvRmT1_PNSt15iterator_traitsISY_E10value_typeET2_T3_PNSZ_IS14_E10value_typeET4_jRbjT5_S1A_jjP12ihipStream_tbEUljE_EEESV_SW_SX_S14_S18_S1A_T6_T7_T9_mT8_S1C_bDpT10_ENKUlT_T0_E_clISt17integral_constantIbLb1EES1O_IbLb0EEEEDaS1K_S1L_EUlS1K_E_NS1_11comp_targetILNS1_3genE9ELNS1_11target_archE1100ELNS1_3gpuE3ELNS1_3repE0EEENS1_30default_config_static_selectorELNS0_4arch9wavefront6targetE0EEEvSY_.has_dyn_sized_stack, 0
	.set _ZN7rocprim17ROCPRIM_400000_NS6detail17trampoline_kernelINS0_13select_configILj256ELj13ELNS0_17block_load_methodE3ELS4_3ELS4_3ELNS0_20block_scan_algorithmE0ELj4294967295EEENS1_25partition_config_selectorILNS1_17partition_subalgoE3EjNS0_10empty_typeEbEEZZNS1_14partition_implILS8_3ELb0ES6_jNS0_17counting_iteratorIjlEEPS9_SE_NS0_5tupleIJPjSE_EEENSF_IJSE_SE_EEES9_SG_JZNS1_25segmented_radix_sort_implINS0_14default_configELb1EPKaPaPKlPlN2at6native12_GLOBAL__N_18offset_tEEE10hipError_tPvRmT1_PNSt15iterator_traitsISY_E10value_typeET2_T3_PNSZ_IS14_E10value_typeET4_jRbjT5_S1A_jjP12ihipStream_tbEUljE_EEESV_SW_SX_S14_S18_S1A_T6_T7_T9_mT8_S1C_bDpT10_ENKUlT_T0_E_clISt17integral_constantIbLb1EES1O_IbLb0EEEEDaS1K_S1L_EUlS1K_E_NS1_11comp_targetILNS1_3genE9ELNS1_11target_archE1100ELNS1_3gpuE3ELNS1_3repE0EEENS1_30default_config_static_selectorELNS0_4arch9wavefront6targetE0EEEvSY_.has_recursion, 0
	.set _ZN7rocprim17ROCPRIM_400000_NS6detail17trampoline_kernelINS0_13select_configILj256ELj13ELNS0_17block_load_methodE3ELS4_3ELS4_3ELNS0_20block_scan_algorithmE0ELj4294967295EEENS1_25partition_config_selectorILNS1_17partition_subalgoE3EjNS0_10empty_typeEbEEZZNS1_14partition_implILS8_3ELb0ES6_jNS0_17counting_iteratorIjlEEPS9_SE_NS0_5tupleIJPjSE_EEENSF_IJSE_SE_EEES9_SG_JZNS1_25segmented_radix_sort_implINS0_14default_configELb1EPKaPaPKlPlN2at6native12_GLOBAL__N_18offset_tEEE10hipError_tPvRmT1_PNSt15iterator_traitsISY_E10value_typeET2_T3_PNSZ_IS14_E10value_typeET4_jRbjT5_S1A_jjP12ihipStream_tbEUljE_EEESV_SW_SX_S14_S18_S1A_T6_T7_T9_mT8_S1C_bDpT10_ENKUlT_T0_E_clISt17integral_constantIbLb1EES1O_IbLb0EEEEDaS1K_S1L_EUlS1K_E_NS1_11comp_targetILNS1_3genE9ELNS1_11target_archE1100ELNS1_3gpuE3ELNS1_3repE0EEENS1_30default_config_static_selectorELNS0_4arch9wavefront6targetE0EEEvSY_.has_indirect_call, 0
	.section	.AMDGPU.csdata,"",@progbits
; Kernel info:
; codeLenInByte = 0
; TotalNumSgprs: 0
; NumVgprs: 0
; ScratchSize: 0
; MemoryBound: 0
; FloatMode: 240
; IeeeMode: 1
; LDSByteSize: 0 bytes/workgroup (compile time only)
; SGPRBlocks: 0
; VGPRBlocks: 0
; NumSGPRsForWavesPerEU: 1
; NumVGPRsForWavesPerEU: 1
; Occupancy: 16
; WaveLimiterHint : 0
; COMPUTE_PGM_RSRC2:SCRATCH_EN: 0
; COMPUTE_PGM_RSRC2:USER_SGPR: 6
; COMPUTE_PGM_RSRC2:TRAP_HANDLER: 0
; COMPUTE_PGM_RSRC2:TGID_X_EN: 1
; COMPUTE_PGM_RSRC2:TGID_Y_EN: 0
; COMPUTE_PGM_RSRC2:TGID_Z_EN: 0
; COMPUTE_PGM_RSRC2:TIDIG_COMP_CNT: 0
	.section	.text._ZN7rocprim17ROCPRIM_400000_NS6detail17trampoline_kernelINS0_13select_configILj256ELj13ELNS0_17block_load_methodE3ELS4_3ELS4_3ELNS0_20block_scan_algorithmE0ELj4294967295EEENS1_25partition_config_selectorILNS1_17partition_subalgoE3EjNS0_10empty_typeEbEEZZNS1_14partition_implILS8_3ELb0ES6_jNS0_17counting_iteratorIjlEEPS9_SE_NS0_5tupleIJPjSE_EEENSF_IJSE_SE_EEES9_SG_JZNS1_25segmented_radix_sort_implINS0_14default_configELb1EPKaPaPKlPlN2at6native12_GLOBAL__N_18offset_tEEE10hipError_tPvRmT1_PNSt15iterator_traitsISY_E10value_typeET2_T3_PNSZ_IS14_E10value_typeET4_jRbjT5_S1A_jjP12ihipStream_tbEUljE_EEESV_SW_SX_S14_S18_S1A_T6_T7_T9_mT8_S1C_bDpT10_ENKUlT_T0_E_clISt17integral_constantIbLb1EES1O_IbLb0EEEEDaS1K_S1L_EUlS1K_E_NS1_11comp_targetILNS1_3genE8ELNS1_11target_archE1030ELNS1_3gpuE2ELNS1_3repE0EEENS1_30default_config_static_selectorELNS0_4arch9wavefront6targetE0EEEvSY_,"axG",@progbits,_ZN7rocprim17ROCPRIM_400000_NS6detail17trampoline_kernelINS0_13select_configILj256ELj13ELNS0_17block_load_methodE3ELS4_3ELS4_3ELNS0_20block_scan_algorithmE0ELj4294967295EEENS1_25partition_config_selectorILNS1_17partition_subalgoE3EjNS0_10empty_typeEbEEZZNS1_14partition_implILS8_3ELb0ES6_jNS0_17counting_iteratorIjlEEPS9_SE_NS0_5tupleIJPjSE_EEENSF_IJSE_SE_EEES9_SG_JZNS1_25segmented_radix_sort_implINS0_14default_configELb1EPKaPaPKlPlN2at6native12_GLOBAL__N_18offset_tEEE10hipError_tPvRmT1_PNSt15iterator_traitsISY_E10value_typeET2_T3_PNSZ_IS14_E10value_typeET4_jRbjT5_S1A_jjP12ihipStream_tbEUljE_EEESV_SW_SX_S14_S18_S1A_T6_T7_T9_mT8_S1C_bDpT10_ENKUlT_T0_E_clISt17integral_constantIbLb1EES1O_IbLb0EEEEDaS1K_S1L_EUlS1K_E_NS1_11comp_targetILNS1_3genE8ELNS1_11target_archE1030ELNS1_3gpuE2ELNS1_3repE0EEENS1_30default_config_static_selectorELNS0_4arch9wavefront6targetE0EEEvSY_,comdat
	.globl	_ZN7rocprim17ROCPRIM_400000_NS6detail17trampoline_kernelINS0_13select_configILj256ELj13ELNS0_17block_load_methodE3ELS4_3ELS4_3ELNS0_20block_scan_algorithmE0ELj4294967295EEENS1_25partition_config_selectorILNS1_17partition_subalgoE3EjNS0_10empty_typeEbEEZZNS1_14partition_implILS8_3ELb0ES6_jNS0_17counting_iteratorIjlEEPS9_SE_NS0_5tupleIJPjSE_EEENSF_IJSE_SE_EEES9_SG_JZNS1_25segmented_radix_sort_implINS0_14default_configELb1EPKaPaPKlPlN2at6native12_GLOBAL__N_18offset_tEEE10hipError_tPvRmT1_PNSt15iterator_traitsISY_E10value_typeET2_T3_PNSZ_IS14_E10value_typeET4_jRbjT5_S1A_jjP12ihipStream_tbEUljE_EEESV_SW_SX_S14_S18_S1A_T6_T7_T9_mT8_S1C_bDpT10_ENKUlT_T0_E_clISt17integral_constantIbLb1EES1O_IbLb0EEEEDaS1K_S1L_EUlS1K_E_NS1_11comp_targetILNS1_3genE8ELNS1_11target_archE1030ELNS1_3gpuE2ELNS1_3repE0EEENS1_30default_config_static_selectorELNS0_4arch9wavefront6targetE0EEEvSY_ ; -- Begin function _ZN7rocprim17ROCPRIM_400000_NS6detail17trampoline_kernelINS0_13select_configILj256ELj13ELNS0_17block_load_methodE3ELS4_3ELS4_3ELNS0_20block_scan_algorithmE0ELj4294967295EEENS1_25partition_config_selectorILNS1_17partition_subalgoE3EjNS0_10empty_typeEbEEZZNS1_14partition_implILS8_3ELb0ES6_jNS0_17counting_iteratorIjlEEPS9_SE_NS0_5tupleIJPjSE_EEENSF_IJSE_SE_EEES9_SG_JZNS1_25segmented_radix_sort_implINS0_14default_configELb1EPKaPaPKlPlN2at6native12_GLOBAL__N_18offset_tEEE10hipError_tPvRmT1_PNSt15iterator_traitsISY_E10value_typeET2_T3_PNSZ_IS14_E10value_typeET4_jRbjT5_S1A_jjP12ihipStream_tbEUljE_EEESV_SW_SX_S14_S18_S1A_T6_T7_T9_mT8_S1C_bDpT10_ENKUlT_T0_E_clISt17integral_constantIbLb1EES1O_IbLb0EEEEDaS1K_S1L_EUlS1K_E_NS1_11comp_targetILNS1_3genE8ELNS1_11target_archE1030ELNS1_3gpuE2ELNS1_3repE0EEENS1_30default_config_static_selectorELNS0_4arch9wavefront6targetE0EEEvSY_
	.p2align	8
	.type	_ZN7rocprim17ROCPRIM_400000_NS6detail17trampoline_kernelINS0_13select_configILj256ELj13ELNS0_17block_load_methodE3ELS4_3ELS4_3ELNS0_20block_scan_algorithmE0ELj4294967295EEENS1_25partition_config_selectorILNS1_17partition_subalgoE3EjNS0_10empty_typeEbEEZZNS1_14partition_implILS8_3ELb0ES6_jNS0_17counting_iteratorIjlEEPS9_SE_NS0_5tupleIJPjSE_EEENSF_IJSE_SE_EEES9_SG_JZNS1_25segmented_radix_sort_implINS0_14default_configELb1EPKaPaPKlPlN2at6native12_GLOBAL__N_18offset_tEEE10hipError_tPvRmT1_PNSt15iterator_traitsISY_E10value_typeET2_T3_PNSZ_IS14_E10value_typeET4_jRbjT5_S1A_jjP12ihipStream_tbEUljE_EEESV_SW_SX_S14_S18_S1A_T6_T7_T9_mT8_S1C_bDpT10_ENKUlT_T0_E_clISt17integral_constantIbLb1EES1O_IbLb0EEEEDaS1K_S1L_EUlS1K_E_NS1_11comp_targetILNS1_3genE8ELNS1_11target_archE1030ELNS1_3gpuE2ELNS1_3repE0EEENS1_30default_config_static_selectorELNS0_4arch9wavefront6targetE0EEEvSY_,@function
_ZN7rocprim17ROCPRIM_400000_NS6detail17trampoline_kernelINS0_13select_configILj256ELj13ELNS0_17block_load_methodE3ELS4_3ELS4_3ELNS0_20block_scan_algorithmE0ELj4294967295EEENS1_25partition_config_selectorILNS1_17partition_subalgoE3EjNS0_10empty_typeEbEEZZNS1_14partition_implILS8_3ELb0ES6_jNS0_17counting_iteratorIjlEEPS9_SE_NS0_5tupleIJPjSE_EEENSF_IJSE_SE_EEES9_SG_JZNS1_25segmented_radix_sort_implINS0_14default_configELb1EPKaPaPKlPlN2at6native12_GLOBAL__N_18offset_tEEE10hipError_tPvRmT1_PNSt15iterator_traitsISY_E10value_typeET2_T3_PNSZ_IS14_E10value_typeET4_jRbjT5_S1A_jjP12ihipStream_tbEUljE_EEESV_SW_SX_S14_S18_S1A_T6_T7_T9_mT8_S1C_bDpT10_ENKUlT_T0_E_clISt17integral_constantIbLb1EES1O_IbLb0EEEEDaS1K_S1L_EUlS1K_E_NS1_11comp_targetILNS1_3genE8ELNS1_11target_archE1030ELNS1_3gpuE2ELNS1_3repE0EEENS1_30default_config_static_selectorELNS0_4arch9wavefront6targetE0EEEvSY_: ; @_ZN7rocprim17ROCPRIM_400000_NS6detail17trampoline_kernelINS0_13select_configILj256ELj13ELNS0_17block_load_methodE3ELS4_3ELS4_3ELNS0_20block_scan_algorithmE0ELj4294967295EEENS1_25partition_config_selectorILNS1_17partition_subalgoE3EjNS0_10empty_typeEbEEZZNS1_14partition_implILS8_3ELb0ES6_jNS0_17counting_iteratorIjlEEPS9_SE_NS0_5tupleIJPjSE_EEENSF_IJSE_SE_EEES9_SG_JZNS1_25segmented_radix_sort_implINS0_14default_configELb1EPKaPaPKlPlN2at6native12_GLOBAL__N_18offset_tEEE10hipError_tPvRmT1_PNSt15iterator_traitsISY_E10value_typeET2_T3_PNSZ_IS14_E10value_typeET4_jRbjT5_S1A_jjP12ihipStream_tbEUljE_EEESV_SW_SX_S14_S18_S1A_T6_T7_T9_mT8_S1C_bDpT10_ENKUlT_T0_E_clISt17integral_constantIbLb1EES1O_IbLb0EEEEDaS1K_S1L_EUlS1K_E_NS1_11comp_targetILNS1_3genE8ELNS1_11target_archE1030ELNS1_3gpuE2ELNS1_3repE0EEENS1_30default_config_static_selectorELNS0_4arch9wavefront6targetE0EEEvSY_
; %bb.0:
	s_endpgm
	.section	.rodata,"a",@progbits
	.p2align	6, 0x0
	.amdhsa_kernel _ZN7rocprim17ROCPRIM_400000_NS6detail17trampoline_kernelINS0_13select_configILj256ELj13ELNS0_17block_load_methodE3ELS4_3ELS4_3ELNS0_20block_scan_algorithmE0ELj4294967295EEENS1_25partition_config_selectorILNS1_17partition_subalgoE3EjNS0_10empty_typeEbEEZZNS1_14partition_implILS8_3ELb0ES6_jNS0_17counting_iteratorIjlEEPS9_SE_NS0_5tupleIJPjSE_EEENSF_IJSE_SE_EEES9_SG_JZNS1_25segmented_radix_sort_implINS0_14default_configELb1EPKaPaPKlPlN2at6native12_GLOBAL__N_18offset_tEEE10hipError_tPvRmT1_PNSt15iterator_traitsISY_E10value_typeET2_T3_PNSZ_IS14_E10value_typeET4_jRbjT5_S1A_jjP12ihipStream_tbEUljE_EEESV_SW_SX_S14_S18_S1A_T6_T7_T9_mT8_S1C_bDpT10_ENKUlT_T0_E_clISt17integral_constantIbLb1EES1O_IbLb0EEEEDaS1K_S1L_EUlS1K_E_NS1_11comp_targetILNS1_3genE8ELNS1_11target_archE1030ELNS1_3gpuE2ELNS1_3repE0EEENS1_30default_config_static_selectorELNS0_4arch9wavefront6targetE0EEEvSY_
		.amdhsa_group_segment_fixed_size 0
		.amdhsa_private_segment_fixed_size 0
		.amdhsa_kernarg_size 144
		.amdhsa_user_sgpr_count 6
		.amdhsa_user_sgpr_private_segment_buffer 1
		.amdhsa_user_sgpr_dispatch_ptr 0
		.amdhsa_user_sgpr_queue_ptr 0
		.amdhsa_user_sgpr_kernarg_segment_ptr 1
		.amdhsa_user_sgpr_dispatch_id 0
		.amdhsa_user_sgpr_flat_scratch_init 0
		.amdhsa_user_sgpr_private_segment_size 0
		.amdhsa_wavefront_size32 1
		.amdhsa_uses_dynamic_stack 0
		.amdhsa_system_sgpr_private_segment_wavefront_offset 0
		.amdhsa_system_sgpr_workgroup_id_x 1
		.amdhsa_system_sgpr_workgroup_id_y 0
		.amdhsa_system_sgpr_workgroup_id_z 0
		.amdhsa_system_sgpr_workgroup_info 0
		.amdhsa_system_vgpr_workitem_id 0
		.amdhsa_next_free_vgpr 1
		.amdhsa_next_free_sgpr 1
		.amdhsa_reserve_vcc 0
		.amdhsa_reserve_flat_scratch 0
		.amdhsa_float_round_mode_32 0
		.amdhsa_float_round_mode_16_64 0
		.amdhsa_float_denorm_mode_32 3
		.amdhsa_float_denorm_mode_16_64 3
		.amdhsa_dx10_clamp 1
		.amdhsa_ieee_mode 1
		.amdhsa_fp16_overflow 0
		.amdhsa_workgroup_processor_mode 1
		.amdhsa_memory_ordered 1
		.amdhsa_forward_progress 1
		.amdhsa_shared_vgpr_count 0
		.amdhsa_exception_fp_ieee_invalid_op 0
		.amdhsa_exception_fp_denorm_src 0
		.amdhsa_exception_fp_ieee_div_zero 0
		.amdhsa_exception_fp_ieee_overflow 0
		.amdhsa_exception_fp_ieee_underflow 0
		.amdhsa_exception_fp_ieee_inexact 0
		.amdhsa_exception_int_div_zero 0
	.end_amdhsa_kernel
	.section	.text._ZN7rocprim17ROCPRIM_400000_NS6detail17trampoline_kernelINS0_13select_configILj256ELj13ELNS0_17block_load_methodE3ELS4_3ELS4_3ELNS0_20block_scan_algorithmE0ELj4294967295EEENS1_25partition_config_selectorILNS1_17partition_subalgoE3EjNS0_10empty_typeEbEEZZNS1_14partition_implILS8_3ELb0ES6_jNS0_17counting_iteratorIjlEEPS9_SE_NS0_5tupleIJPjSE_EEENSF_IJSE_SE_EEES9_SG_JZNS1_25segmented_radix_sort_implINS0_14default_configELb1EPKaPaPKlPlN2at6native12_GLOBAL__N_18offset_tEEE10hipError_tPvRmT1_PNSt15iterator_traitsISY_E10value_typeET2_T3_PNSZ_IS14_E10value_typeET4_jRbjT5_S1A_jjP12ihipStream_tbEUljE_EEESV_SW_SX_S14_S18_S1A_T6_T7_T9_mT8_S1C_bDpT10_ENKUlT_T0_E_clISt17integral_constantIbLb1EES1O_IbLb0EEEEDaS1K_S1L_EUlS1K_E_NS1_11comp_targetILNS1_3genE8ELNS1_11target_archE1030ELNS1_3gpuE2ELNS1_3repE0EEENS1_30default_config_static_selectorELNS0_4arch9wavefront6targetE0EEEvSY_,"axG",@progbits,_ZN7rocprim17ROCPRIM_400000_NS6detail17trampoline_kernelINS0_13select_configILj256ELj13ELNS0_17block_load_methodE3ELS4_3ELS4_3ELNS0_20block_scan_algorithmE0ELj4294967295EEENS1_25partition_config_selectorILNS1_17partition_subalgoE3EjNS0_10empty_typeEbEEZZNS1_14partition_implILS8_3ELb0ES6_jNS0_17counting_iteratorIjlEEPS9_SE_NS0_5tupleIJPjSE_EEENSF_IJSE_SE_EEES9_SG_JZNS1_25segmented_radix_sort_implINS0_14default_configELb1EPKaPaPKlPlN2at6native12_GLOBAL__N_18offset_tEEE10hipError_tPvRmT1_PNSt15iterator_traitsISY_E10value_typeET2_T3_PNSZ_IS14_E10value_typeET4_jRbjT5_S1A_jjP12ihipStream_tbEUljE_EEESV_SW_SX_S14_S18_S1A_T6_T7_T9_mT8_S1C_bDpT10_ENKUlT_T0_E_clISt17integral_constantIbLb1EES1O_IbLb0EEEEDaS1K_S1L_EUlS1K_E_NS1_11comp_targetILNS1_3genE8ELNS1_11target_archE1030ELNS1_3gpuE2ELNS1_3repE0EEENS1_30default_config_static_selectorELNS0_4arch9wavefront6targetE0EEEvSY_,comdat
.Lfunc_end279:
	.size	_ZN7rocprim17ROCPRIM_400000_NS6detail17trampoline_kernelINS0_13select_configILj256ELj13ELNS0_17block_load_methodE3ELS4_3ELS4_3ELNS0_20block_scan_algorithmE0ELj4294967295EEENS1_25partition_config_selectorILNS1_17partition_subalgoE3EjNS0_10empty_typeEbEEZZNS1_14partition_implILS8_3ELb0ES6_jNS0_17counting_iteratorIjlEEPS9_SE_NS0_5tupleIJPjSE_EEENSF_IJSE_SE_EEES9_SG_JZNS1_25segmented_radix_sort_implINS0_14default_configELb1EPKaPaPKlPlN2at6native12_GLOBAL__N_18offset_tEEE10hipError_tPvRmT1_PNSt15iterator_traitsISY_E10value_typeET2_T3_PNSZ_IS14_E10value_typeET4_jRbjT5_S1A_jjP12ihipStream_tbEUljE_EEESV_SW_SX_S14_S18_S1A_T6_T7_T9_mT8_S1C_bDpT10_ENKUlT_T0_E_clISt17integral_constantIbLb1EES1O_IbLb0EEEEDaS1K_S1L_EUlS1K_E_NS1_11comp_targetILNS1_3genE8ELNS1_11target_archE1030ELNS1_3gpuE2ELNS1_3repE0EEENS1_30default_config_static_selectorELNS0_4arch9wavefront6targetE0EEEvSY_, .Lfunc_end279-_ZN7rocprim17ROCPRIM_400000_NS6detail17trampoline_kernelINS0_13select_configILj256ELj13ELNS0_17block_load_methodE3ELS4_3ELS4_3ELNS0_20block_scan_algorithmE0ELj4294967295EEENS1_25partition_config_selectorILNS1_17partition_subalgoE3EjNS0_10empty_typeEbEEZZNS1_14partition_implILS8_3ELb0ES6_jNS0_17counting_iteratorIjlEEPS9_SE_NS0_5tupleIJPjSE_EEENSF_IJSE_SE_EEES9_SG_JZNS1_25segmented_radix_sort_implINS0_14default_configELb1EPKaPaPKlPlN2at6native12_GLOBAL__N_18offset_tEEE10hipError_tPvRmT1_PNSt15iterator_traitsISY_E10value_typeET2_T3_PNSZ_IS14_E10value_typeET4_jRbjT5_S1A_jjP12ihipStream_tbEUljE_EEESV_SW_SX_S14_S18_S1A_T6_T7_T9_mT8_S1C_bDpT10_ENKUlT_T0_E_clISt17integral_constantIbLb1EES1O_IbLb0EEEEDaS1K_S1L_EUlS1K_E_NS1_11comp_targetILNS1_3genE8ELNS1_11target_archE1030ELNS1_3gpuE2ELNS1_3repE0EEENS1_30default_config_static_selectorELNS0_4arch9wavefront6targetE0EEEvSY_
                                        ; -- End function
	.set _ZN7rocprim17ROCPRIM_400000_NS6detail17trampoline_kernelINS0_13select_configILj256ELj13ELNS0_17block_load_methodE3ELS4_3ELS4_3ELNS0_20block_scan_algorithmE0ELj4294967295EEENS1_25partition_config_selectorILNS1_17partition_subalgoE3EjNS0_10empty_typeEbEEZZNS1_14partition_implILS8_3ELb0ES6_jNS0_17counting_iteratorIjlEEPS9_SE_NS0_5tupleIJPjSE_EEENSF_IJSE_SE_EEES9_SG_JZNS1_25segmented_radix_sort_implINS0_14default_configELb1EPKaPaPKlPlN2at6native12_GLOBAL__N_18offset_tEEE10hipError_tPvRmT1_PNSt15iterator_traitsISY_E10value_typeET2_T3_PNSZ_IS14_E10value_typeET4_jRbjT5_S1A_jjP12ihipStream_tbEUljE_EEESV_SW_SX_S14_S18_S1A_T6_T7_T9_mT8_S1C_bDpT10_ENKUlT_T0_E_clISt17integral_constantIbLb1EES1O_IbLb0EEEEDaS1K_S1L_EUlS1K_E_NS1_11comp_targetILNS1_3genE8ELNS1_11target_archE1030ELNS1_3gpuE2ELNS1_3repE0EEENS1_30default_config_static_selectorELNS0_4arch9wavefront6targetE0EEEvSY_.num_vgpr, 0
	.set _ZN7rocprim17ROCPRIM_400000_NS6detail17trampoline_kernelINS0_13select_configILj256ELj13ELNS0_17block_load_methodE3ELS4_3ELS4_3ELNS0_20block_scan_algorithmE0ELj4294967295EEENS1_25partition_config_selectorILNS1_17partition_subalgoE3EjNS0_10empty_typeEbEEZZNS1_14partition_implILS8_3ELb0ES6_jNS0_17counting_iteratorIjlEEPS9_SE_NS0_5tupleIJPjSE_EEENSF_IJSE_SE_EEES9_SG_JZNS1_25segmented_radix_sort_implINS0_14default_configELb1EPKaPaPKlPlN2at6native12_GLOBAL__N_18offset_tEEE10hipError_tPvRmT1_PNSt15iterator_traitsISY_E10value_typeET2_T3_PNSZ_IS14_E10value_typeET4_jRbjT5_S1A_jjP12ihipStream_tbEUljE_EEESV_SW_SX_S14_S18_S1A_T6_T7_T9_mT8_S1C_bDpT10_ENKUlT_T0_E_clISt17integral_constantIbLb1EES1O_IbLb0EEEEDaS1K_S1L_EUlS1K_E_NS1_11comp_targetILNS1_3genE8ELNS1_11target_archE1030ELNS1_3gpuE2ELNS1_3repE0EEENS1_30default_config_static_selectorELNS0_4arch9wavefront6targetE0EEEvSY_.num_agpr, 0
	.set _ZN7rocprim17ROCPRIM_400000_NS6detail17trampoline_kernelINS0_13select_configILj256ELj13ELNS0_17block_load_methodE3ELS4_3ELS4_3ELNS0_20block_scan_algorithmE0ELj4294967295EEENS1_25partition_config_selectorILNS1_17partition_subalgoE3EjNS0_10empty_typeEbEEZZNS1_14partition_implILS8_3ELb0ES6_jNS0_17counting_iteratorIjlEEPS9_SE_NS0_5tupleIJPjSE_EEENSF_IJSE_SE_EEES9_SG_JZNS1_25segmented_radix_sort_implINS0_14default_configELb1EPKaPaPKlPlN2at6native12_GLOBAL__N_18offset_tEEE10hipError_tPvRmT1_PNSt15iterator_traitsISY_E10value_typeET2_T3_PNSZ_IS14_E10value_typeET4_jRbjT5_S1A_jjP12ihipStream_tbEUljE_EEESV_SW_SX_S14_S18_S1A_T6_T7_T9_mT8_S1C_bDpT10_ENKUlT_T0_E_clISt17integral_constantIbLb1EES1O_IbLb0EEEEDaS1K_S1L_EUlS1K_E_NS1_11comp_targetILNS1_3genE8ELNS1_11target_archE1030ELNS1_3gpuE2ELNS1_3repE0EEENS1_30default_config_static_selectorELNS0_4arch9wavefront6targetE0EEEvSY_.numbered_sgpr, 0
	.set _ZN7rocprim17ROCPRIM_400000_NS6detail17trampoline_kernelINS0_13select_configILj256ELj13ELNS0_17block_load_methodE3ELS4_3ELS4_3ELNS0_20block_scan_algorithmE0ELj4294967295EEENS1_25partition_config_selectorILNS1_17partition_subalgoE3EjNS0_10empty_typeEbEEZZNS1_14partition_implILS8_3ELb0ES6_jNS0_17counting_iteratorIjlEEPS9_SE_NS0_5tupleIJPjSE_EEENSF_IJSE_SE_EEES9_SG_JZNS1_25segmented_radix_sort_implINS0_14default_configELb1EPKaPaPKlPlN2at6native12_GLOBAL__N_18offset_tEEE10hipError_tPvRmT1_PNSt15iterator_traitsISY_E10value_typeET2_T3_PNSZ_IS14_E10value_typeET4_jRbjT5_S1A_jjP12ihipStream_tbEUljE_EEESV_SW_SX_S14_S18_S1A_T6_T7_T9_mT8_S1C_bDpT10_ENKUlT_T0_E_clISt17integral_constantIbLb1EES1O_IbLb0EEEEDaS1K_S1L_EUlS1K_E_NS1_11comp_targetILNS1_3genE8ELNS1_11target_archE1030ELNS1_3gpuE2ELNS1_3repE0EEENS1_30default_config_static_selectorELNS0_4arch9wavefront6targetE0EEEvSY_.num_named_barrier, 0
	.set _ZN7rocprim17ROCPRIM_400000_NS6detail17trampoline_kernelINS0_13select_configILj256ELj13ELNS0_17block_load_methodE3ELS4_3ELS4_3ELNS0_20block_scan_algorithmE0ELj4294967295EEENS1_25partition_config_selectorILNS1_17partition_subalgoE3EjNS0_10empty_typeEbEEZZNS1_14partition_implILS8_3ELb0ES6_jNS0_17counting_iteratorIjlEEPS9_SE_NS0_5tupleIJPjSE_EEENSF_IJSE_SE_EEES9_SG_JZNS1_25segmented_radix_sort_implINS0_14default_configELb1EPKaPaPKlPlN2at6native12_GLOBAL__N_18offset_tEEE10hipError_tPvRmT1_PNSt15iterator_traitsISY_E10value_typeET2_T3_PNSZ_IS14_E10value_typeET4_jRbjT5_S1A_jjP12ihipStream_tbEUljE_EEESV_SW_SX_S14_S18_S1A_T6_T7_T9_mT8_S1C_bDpT10_ENKUlT_T0_E_clISt17integral_constantIbLb1EES1O_IbLb0EEEEDaS1K_S1L_EUlS1K_E_NS1_11comp_targetILNS1_3genE8ELNS1_11target_archE1030ELNS1_3gpuE2ELNS1_3repE0EEENS1_30default_config_static_selectorELNS0_4arch9wavefront6targetE0EEEvSY_.private_seg_size, 0
	.set _ZN7rocprim17ROCPRIM_400000_NS6detail17trampoline_kernelINS0_13select_configILj256ELj13ELNS0_17block_load_methodE3ELS4_3ELS4_3ELNS0_20block_scan_algorithmE0ELj4294967295EEENS1_25partition_config_selectorILNS1_17partition_subalgoE3EjNS0_10empty_typeEbEEZZNS1_14partition_implILS8_3ELb0ES6_jNS0_17counting_iteratorIjlEEPS9_SE_NS0_5tupleIJPjSE_EEENSF_IJSE_SE_EEES9_SG_JZNS1_25segmented_radix_sort_implINS0_14default_configELb1EPKaPaPKlPlN2at6native12_GLOBAL__N_18offset_tEEE10hipError_tPvRmT1_PNSt15iterator_traitsISY_E10value_typeET2_T3_PNSZ_IS14_E10value_typeET4_jRbjT5_S1A_jjP12ihipStream_tbEUljE_EEESV_SW_SX_S14_S18_S1A_T6_T7_T9_mT8_S1C_bDpT10_ENKUlT_T0_E_clISt17integral_constantIbLb1EES1O_IbLb0EEEEDaS1K_S1L_EUlS1K_E_NS1_11comp_targetILNS1_3genE8ELNS1_11target_archE1030ELNS1_3gpuE2ELNS1_3repE0EEENS1_30default_config_static_selectorELNS0_4arch9wavefront6targetE0EEEvSY_.uses_vcc, 0
	.set _ZN7rocprim17ROCPRIM_400000_NS6detail17trampoline_kernelINS0_13select_configILj256ELj13ELNS0_17block_load_methodE3ELS4_3ELS4_3ELNS0_20block_scan_algorithmE0ELj4294967295EEENS1_25partition_config_selectorILNS1_17partition_subalgoE3EjNS0_10empty_typeEbEEZZNS1_14partition_implILS8_3ELb0ES6_jNS0_17counting_iteratorIjlEEPS9_SE_NS0_5tupleIJPjSE_EEENSF_IJSE_SE_EEES9_SG_JZNS1_25segmented_radix_sort_implINS0_14default_configELb1EPKaPaPKlPlN2at6native12_GLOBAL__N_18offset_tEEE10hipError_tPvRmT1_PNSt15iterator_traitsISY_E10value_typeET2_T3_PNSZ_IS14_E10value_typeET4_jRbjT5_S1A_jjP12ihipStream_tbEUljE_EEESV_SW_SX_S14_S18_S1A_T6_T7_T9_mT8_S1C_bDpT10_ENKUlT_T0_E_clISt17integral_constantIbLb1EES1O_IbLb0EEEEDaS1K_S1L_EUlS1K_E_NS1_11comp_targetILNS1_3genE8ELNS1_11target_archE1030ELNS1_3gpuE2ELNS1_3repE0EEENS1_30default_config_static_selectorELNS0_4arch9wavefront6targetE0EEEvSY_.uses_flat_scratch, 0
	.set _ZN7rocprim17ROCPRIM_400000_NS6detail17trampoline_kernelINS0_13select_configILj256ELj13ELNS0_17block_load_methodE3ELS4_3ELS4_3ELNS0_20block_scan_algorithmE0ELj4294967295EEENS1_25partition_config_selectorILNS1_17partition_subalgoE3EjNS0_10empty_typeEbEEZZNS1_14partition_implILS8_3ELb0ES6_jNS0_17counting_iteratorIjlEEPS9_SE_NS0_5tupleIJPjSE_EEENSF_IJSE_SE_EEES9_SG_JZNS1_25segmented_radix_sort_implINS0_14default_configELb1EPKaPaPKlPlN2at6native12_GLOBAL__N_18offset_tEEE10hipError_tPvRmT1_PNSt15iterator_traitsISY_E10value_typeET2_T3_PNSZ_IS14_E10value_typeET4_jRbjT5_S1A_jjP12ihipStream_tbEUljE_EEESV_SW_SX_S14_S18_S1A_T6_T7_T9_mT8_S1C_bDpT10_ENKUlT_T0_E_clISt17integral_constantIbLb1EES1O_IbLb0EEEEDaS1K_S1L_EUlS1K_E_NS1_11comp_targetILNS1_3genE8ELNS1_11target_archE1030ELNS1_3gpuE2ELNS1_3repE0EEENS1_30default_config_static_selectorELNS0_4arch9wavefront6targetE0EEEvSY_.has_dyn_sized_stack, 0
	.set _ZN7rocprim17ROCPRIM_400000_NS6detail17trampoline_kernelINS0_13select_configILj256ELj13ELNS0_17block_load_methodE3ELS4_3ELS4_3ELNS0_20block_scan_algorithmE0ELj4294967295EEENS1_25partition_config_selectorILNS1_17partition_subalgoE3EjNS0_10empty_typeEbEEZZNS1_14partition_implILS8_3ELb0ES6_jNS0_17counting_iteratorIjlEEPS9_SE_NS0_5tupleIJPjSE_EEENSF_IJSE_SE_EEES9_SG_JZNS1_25segmented_radix_sort_implINS0_14default_configELb1EPKaPaPKlPlN2at6native12_GLOBAL__N_18offset_tEEE10hipError_tPvRmT1_PNSt15iterator_traitsISY_E10value_typeET2_T3_PNSZ_IS14_E10value_typeET4_jRbjT5_S1A_jjP12ihipStream_tbEUljE_EEESV_SW_SX_S14_S18_S1A_T6_T7_T9_mT8_S1C_bDpT10_ENKUlT_T0_E_clISt17integral_constantIbLb1EES1O_IbLb0EEEEDaS1K_S1L_EUlS1K_E_NS1_11comp_targetILNS1_3genE8ELNS1_11target_archE1030ELNS1_3gpuE2ELNS1_3repE0EEENS1_30default_config_static_selectorELNS0_4arch9wavefront6targetE0EEEvSY_.has_recursion, 0
	.set _ZN7rocprim17ROCPRIM_400000_NS6detail17trampoline_kernelINS0_13select_configILj256ELj13ELNS0_17block_load_methodE3ELS4_3ELS4_3ELNS0_20block_scan_algorithmE0ELj4294967295EEENS1_25partition_config_selectorILNS1_17partition_subalgoE3EjNS0_10empty_typeEbEEZZNS1_14partition_implILS8_3ELb0ES6_jNS0_17counting_iteratorIjlEEPS9_SE_NS0_5tupleIJPjSE_EEENSF_IJSE_SE_EEES9_SG_JZNS1_25segmented_radix_sort_implINS0_14default_configELb1EPKaPaPKlPlN2at6native12_GLOBAL__N_18offset_tEEE10hipError_tPvRmT1_PNSt15iterator_traitsISY_E10value_typeET2_T3_PNSZ_IS14_E10value_typeET4_jRbjT5_S1A_jjP12ihipStream_tbEUljE_EEESV_SW_SX_S14_S18_S1A_T6_T7_T9_mT8_S1C_bDpT10_ENKUlT_T0_E_clISt17integral_constantIbLb1EES1O_IbLb0EEEEDaS1K_S1L_EUlS1K_E_NS1_11comp_targetILNS1_3genE8ELNS1_11target_archE1030ELNS1_3gpuE2ELNS1_3repE0EEENS1_30default_config_static_selectorELNS0_4arch9wavefront6targetE0EEEvSY_.has_indirect_call, 0
	.section	.AMDGPU.csdata,"",@progbits
; Kernel info:
; codeLenInByte = 4
; TotalNumSgprs: 0
; NumVgprs: 0
; ScratchSize: 0
; MemoryBound: 0
; FloatMode: 240
; IeeeMode: 1
; LDSByteSize: 0 bytes/workgroup (compile time only)
; SGPRBlocks: 0
; VGPRBlocks: 0
; NumSGPRsForWavesPerEU: 1
; NumVGPRsForWavesPerEU: 1
; Occupancy: 16
; WaveLimiterHint : 0
; COMPUTE_PGM_RSRC2:SCRATCH_EN: 0
; COMPUTE_PGM_RSRC2:USER_SGPR: 6
; COMPUTE_PGM_RSRC2:TRAP_HANDLER: 0
; COMPUTE_PGM_RSRC2:TGID_X_EN: 1
; COMPUTE_PGM_RSRC2:TGID_Y_EN: 0
; COMPUTE_PGM_RSRC2:TGID_Z_EN: 0
; COMPUTE_PGM_RSRC2:TIDIG_COMP_CNT: 0
	.section	.text._ZN7rocprim17ROCPRIM_400000_NS6detail17trampoline_kernelINS0_13select_configILj256ELj13ELNS0_17block_load_methodE3ELS4_3ELS4_3ELNS0_20block_scan_algorithmE0ELj4294967295EEENS1_25partition_config_selectorILNS1_17partition_subalgoE3EjNS0_10empty_typeEbEEZZNS1_14partition_implILS8_3ELb0ES6_jNS0_17counting_iteratorIjlEEPS9_SE_NS0_5tupleIJPjSE_EEENSF_IJSE_SE_EEES9_SG_JZNS1_25segmented_radix_sort_implINS0_14default_configELb1EPKaPaPKlPlN2at6native12_GLOBAL__N_18offset_tEEE10hipError_tPvRmT1_PNSt15iterator_traitsISY_E10value_typeET2_T3_PNSZ_IS14_E10value_typeET4_jRbjT5_S1A_jjP12ihipStream_tbEUljE_EEESV_SW_SX_S14_S18_S1A_T6_T7_T9_mT8_S1C_bDpT10_ENKUlT_T0_E_clISt17integral_constantIbLb0EES1O_IbLb1EEEEDaS1K_S1L_EUlS1K_E_NS1_11comp_targetILNS1_3genE0ELNS1_11target_archE4294967295ELNS1_3gpuE0ELNS1_3repE0EEENS1_30default_config_static_selectorELNS0_4arch9wavefront6targetE0EEEvSY_,"axG",@progbits,_ZN7rocprim17ROCPRIM_400000_NS6detail17trampoline_kernelINS0_13select_configILj256ELj13ELNS0_17block_load_methodE3ELS4_3ELS4_3ELNS0_20block_scan_algorithmE0ELj4294967295EEENS1_25partition_config_selectorILNS1_17partition_subalgoE3EjNS0_10empty_typeEbEEZZNS1_14partition_implILS8_3ELb0ES6_jNS0_17counting_iteratorIjlEEPS9_SE_NS0_5tupleIJPjSE_EEENSF_IJSE_SE_EEES9_SG_JZNS1_25segmented_radix_sort_implINS0_14default_configELb1EPKaPaPKlPlN2at6native12_GLOBAL__N_18offset_tEEE10hipError_tPvRmT1_PNSt15iterator_traitsISY_E10value_typeET2_T3_PNSZ_IS14_E10value_typeET4_jRbjT5_S1A_jjP12ihipStream_tbEUljE_EEESV_SW_SX_S14_S18_S1A_T6_T7_T9_mT8_S1C_bDpT10_ENKUlT_T0_E_clISt17integral_constantIbLb0EES1O_IbLb1EEEEDaS1K_S1L_EUlS1K_E_NS1_11comp_targetILNS1_3genE0ELNS1_11target_archE4294967295ELNS1_3gpuE0ELNS1_3repE0EEENS1_30default_config_static_selectorELNS0_4arch9wavefront6targetE0EEEvSY_,comdat
	.globl	_ZN7rocprim17ROCPRIM_400000_NS6detail17trampoline_kernelINS0_13select_configILj256ELj13ELNS0_17block_load_methodE3ELS4_3ELS4_3ELNS0_20block_scan_algorithmE0ELj4294967295EEENS1_25partition_config_selectorILNS1_17partition_subalgoE3EjNS0_10empty_typeEbEEZZNS1_14partition_implILS8_3ELb0ES6_jNS0_17counting_iteratorIjlEEPS9_SE_NS0_5tupleIJPjSE_EEENSF_IJSE_SE_EEES9_SG_JZNS1_25segmented_radix_sort_implINS0_14default_configELb1EPKaPaPKlPlN2at6native12_GLOBAL__N_18offset_tEEE10hipError_tPvRmT1_PNSt15iterator_traitsISY_E10value_typeET2_T3_PNSZ_IS14_E10value_typeET4_jRbjT5_S1A_jjP12ihipStream_tbEUljE_EEESV_SW_SX_S14_S18_S1A_T6_T7_T9_mT8_S1C_bDpT10_ENKUlT_T0_E_clISt17integral_constantIbLb0EES1O_IbLb1EEEEDaS1K_S1L_EUlS1K_E_NS1_11comp_targetILNS1_3genE0ELNS1_11target_archE4294967295ELNS1_3gpuE0ELNS1_3repE0EEENS1_30default_config_static_selectorELNS0_4arch9wavefront6targetE0EEEvSY_ ; -- Begin function _ZN7rocprim17ROCPRIM_400000_NS6detail17trampoline_kernelINS0_13select_configILj256ELj13ELNS0_17block_load_methodE3ELS4_3ELS4_3ELNS0_20block_scan_algorithmE0ELj4294967295EEENS1_25partition_config_selectorILNS1_17partition_subalgoE3EjNS0_10empty_typeEbEEZZNS1_14partition_implILS8_3ELb0ES6_jNS0_17counting_iteratorIjlEEPS9_SE_NS0_5tupleIJPjSE_EEENSF_IJSE_SE_EEES9_SG_JZNS1_25segmented_radix_sort_implINS0_14default_configELb1EPKaPaPKlPlN2at6native12_GLOBAL__N_18offset_tEEE10hipError_tPvRmT1_PNSt15iterator_traitsISY_E10value_typeET2_T3_PNSZ_IS14_E10value_typeET4_jRbjT5_S1A_jjP12ihipStream_tbEUljE_EEESV_SW_SX_S14_S18_S1A_T6_T7_T9_mT8_S1C_bDpT10_ENKUlT_T0_E_clISt17integral_constantIbLb0EES1O_IbLb1EEEEDaS1K_S1L_EUlS1K_E_NS1_11comp_targetILNS1_3genE0ELNS1_11target_archE4294967295ELNS1_3gpuE0ELNS1_3repE0EEENS1_30default_config_static_selectorELNS0_4arch9wavefront6targetE0EEEvSY_
	.p2align	8
	.type	_ZN7rocprim17ROCPRIM_400000_NS6detail17trampoline_kernelINS0_13select_configILj256ELj13ELNS0_17block_load_methodE3ELS4_3ELS4_3ELNS0_20block_scan_algorithmE0ELj4294967295EEENS1_25partition_config_selectorILNS1_17partition_subalgoE3EjNS0_10empty_typeEbEEZZNS1_14partition_implILS8_3ELb0ES6_jNS0_17counting_iteratorIjlEEPS9_SE_NS0_5tupleIJPjSE_EEENSF_IJSE_SE_EEES9_SG_JZNS1_25segmented_radix_sort_implINS0_14default_configELb1EPKaPaPKlPlN2at6native12_GLOBAL__N_18offset_tEEE10hipError_tPvRmT1_PNSt15iterator_traitsISY_E10value_typeET2_T3_PNSZ_IS14_E10value_typeET4_jRbjT5_S1A_jjP12ihipStream_tbEUljE_EEESV_SW_SX_S14_S18_S1A_T6_T7_T9_mT8_S1C_bDpT10_ENKUlT_T0_E_clISt17integral_constantIbLb0EES1O_IbLb1EEEEDaS1K_S1L_EUlS1K_E_NS1_11comp_targetILNS1_3genE0ELNS1_11target_archE4294967295ELNS1_3gpuE0ELNS1_3repE0EEENS1_30default_config_static_selectorELNS0_4arch9wavefront6targetE0EEEvSY_,@function
_ZN7rocprim17ROCPRIM_400000_NS6detail17trampoline_kernelINS0_13select_configILj256ELj13ELNS0_17block_load_methodE3ELS4_3ELS4_3ELNS0_20block_scan_algorithmE0ELj4294967295EEENS1_25partition_config_selectorILNS1_17partition_subalgoE3EjNS0_10empty_typeEbEEZZNS1_14partition_implILS8_3ELb0ES6_jNS0_17counting_iteratorIjlEEPS9_SE_NS0_5tupleIJPjSE_EEENSF_IJSE_SE_EEES9_SG_JZNS1_25segmented_radix_sort_implINS0_14default_configELb1EPKaPaPKlPlN2at6native12_GLOBAL__N_18offset_tEEE10hipError_tPvRmT1_PNSt15iterator_traitsISY_E10value_typeET2_T3_PNSZ_IS14_E10value_typeET4_jRbjT5_S1A_jjP12ihipStream_tbEUljE_EEESV_SW_SX_S14_S18_S1A_T6_T7_T9_mT8_S1C_bDpT10_ENKUlT_T0_E_clISt17integral_constantIbLb0EES1O_IbLb1EEEEDaS1K_S1L_EUlS1K_E_NS1_11comp_targetILNS1_3genE0ELNS1_11target_archE4294967295ELNS1_3gpuE0ELNS1_3repE0EEENS1_30default_config_static_selectorELNS0_4arch9wavefront6targetE0EEEvSY_: ; @_ZN7rocprim17ROCPRIM_400000_NS6detail17trampoline_kernelINS0_13select_configILj256ELj13ELNS0_17block_load_methodE3ELS4_3ELS4_3ELNS0_20block_scan_algorithmE0ELj4294967295EEENS1_25partition_config_selectorILNS1_17partition_subalgoE3EjNS0_10empty_typeEbEEZZNS1_14partition_implILS8_3ELb0ES6_jNS0_17counting_iteratorIjlEEPS9_SE_NS0_5tupleIJPjSE_EEENSF_IJSE_SE_EEES9_SG_JZNS1_25segmented_radix_sort_implINS0_14default_configELb1EPKaPaPKlPlN2at6native12_GLOBAL__N_18offset_tEEE10hipError_tPvRmT1_PNSt15iterator_traitsISY_E10value_typeET2_T3_PNSZ_IS14_E10value_typeET4_jRbjT5_S1A_jjP12ihipStream_tbEUljE_EEESV_SW_SX_S14_S18_S1A_T6_T7_T9_mT8_S1C_bDpT10_ENKUlT_T0_E_clISt17integral_constantIbLb0EES1O_IbLb1EEEEDaS1K_S1L_EUlS1K_E_NS1_11comp_targetILNS1_3genE0ELNS1_11target_archE4294967295ELNS1_3gpuE0ELNS1_3repE0EEENS1_30default_config_static_selectorELNS0_4arch9wavefront6targetE0EEEvSY_
; %bb.0:
	.section	.rodata,"a",@progbits
	.p2align	6, 0x0
	.amdhsa_kernel _ZN7rocprim17ROCPRIM_400000_NS6detail17trampoline_kernelINS0_13select_configILj256ELj13ELNS0_17block_load_methodE3ELS4_3ELS4_3ELNS0_20block_scan_algorithmE0ELj4294967295EEENS1_25partition_config_selectorILNS1_17partition_subalgoE3EjNS0_10empty_typeEbEEZZNS1_14partition_implILS8_3ELb0ES6_jNS0_17counting_iteratorIjlEEPS9_SE_NS0_5tupleIJPjSE_EEENSF_IJSE_SE_EEES9_SG_JZNS1_25segmented_radix_sort_implINS0_14default_configELb1EPKaPaPKlPlN2at6native12_GLOBAL__N_18offset_tEEE10hipError_tPvRmT1_PNSt15iterator_traitsISY_E10value_typeET2_T3_PNSZ_IS14_E10value_typeET4_jRbjT5_S1A_jjP12ihipStream_tbEUljE_EEESV_SW_SX_S14_S18_S1A_T6_T7_T9_mT8_S1C_bDpT10_ENKUlT_T0_E_clISt17integral_constantIbLb0EES1O_IbLb1EEEEDaS1K_S1L_EUlS1K_E_NS1_11comp_targetILNS1_3genE0ELNS1_11target_archE4294967295ELNS1_3gpuE0ELNS1_3repE0EEENS1_30default_config_static_selectorELNS0_4arch9wavefront6targetE0EEEvSY_
		.amdhsa_group_segment_fixed_size 0
		.amdhsa_private_segment_fixed_size 0
		.amdhsa_kernarg_size 152
		.amdhsa_user_sgpr_count 6
		.amdhsa_user_sgpr_private_segment_buffer 1
		.amdhsa_user_sgpr_dispatch_ptr 0
		.amdhsa_user_sgpr_queue_ptr 0
		.amdhsa_user_sgpr_kernarg_segment_ptr 1
		.amdhsa_user_sgpr_dispatch_id 0
		.amdhsa_user_sgpr_flat_scratch_init 0
		.amdhsa_user_sgpr_private_segment_size 0
		.amdhsa_wavefront_size32 1
		.amdhsa_uses_dynamic_stack 0
		.amdhsa_system_sgpr_private_segment_wavefront_offset 0
		.amdhsa_system_sgpr_workgroup_id_x 1
		.amdhsa_system_sgpr_workgroup_id_y 0
		.amdhsa_system_sgpr_workgroup_id_z 0
		.amdhsa_system_sgpr_workgroup_info 0
		.amdhsa_system_vgpr_workitem_id 0
		.amdhsa_next_free_vgpr 1
		.amdhsa_next_free_sgpr 1
		.amdhsa_reserve_vcc 0
		.amdhsa_reserve_flat_scratch 0
		.amdhsa_float_round_mode_32 0
		.amdhsa_float_round_mode_16_64 0
		.amdhsa_float_denorm_mode_32 3
		.amdhsa_float_denorm_mode_16_64 3
		.amdhsa_dx10_clamp 1
		.amdhsa_ieee_mode 1
		.amdhsa_fp16_overflow 0
		.amdhsa_workgroup_processor_mode 1
		.amdhsa_memory_ordered 1
		.amdhsa_forward_progress 1
		.amdhsa_shared_vgpr_count 0
		.amdhsa_exception_fp_ieee_invalid_op 0
		.amdhsa_exception_fp_denorm_src 0
		.amdhsa_exception_fp_ieee_div_zero 0
		.amdhsa_exception_fp_ieee_overflow 0
		.amdhsa_exception_fp_ieee_underflow 0
		.amdhsa_exception_fp_ieee_inexact 0
		.amdhsa_exception_int_div_zero 0
	.end_amdhsa_kernel
	.section	.text._ZN7rocprim17ROCPRIM_400000_NS6detail17trampoline_kernelINS0_13select_configILj256ELj13ELNS0_17block_load_methodE3ELS4_3ELS4_3ELNS0_20block_scan_algorithmE0ELj4294967295EEENS1_25partition_config_selectorILNS1_17partition_subalgoE3EjNS0_10empty_typeEbEEZZNS1_14partition_implILS8_3ELb0ES6_jNS0_17counting_iteratorIjlEEPS9_SE_NS0_5tupleIJPjSE_EEENSF_IJSE_SE_EEES9_SG_JZNS1_25segmented_radix_sort_implINS0_14default_configELb1EPKaPaPKlPlN2at6native12_GLOBAL__N_18offset_tEEE10hipError_tPvRmT1_PNSt15iterator_traitsISY_E10value_typeET2_T3_PNSZ_IS14_E10value_typeET4_jRbjT5_S1A_jjP12ihipStream_tbEUljE_EEESV_SW_SX_S14_S18_S1A_T6_T7_T9_mT8_S1C_bDpT10_ENKUlT_T0_E_clISt17integral_constantIbLb0EES1O_IbLb1EEEEDaS1K_S1L_EUlS1K_E_NS1_11comp_targetILNS1_3genE0ELNS1_11target_archE4294967295ELNS1_3gpuE0ELNS1_3repE0EEENS1_30default_config_static_selectorELNS0_4arch9wavefront6targetE0EEEvSY_,"axG",@progbits,_ZN7rocprim17ROCPRIM_400000_NS6detail17trampoline_kernelINS0_13select_configILj256ELj13ELNS0_17block_load_methodE3ELS4_3ELS4_3ELNS0_20block_scan_algorithmE0ELj4294967295EEENS1_25partition_config_selectorILNS1_17partition_subalgoE3EjNS0_10empty_typeEbEEZZNS1_14partition_implILS8_3ELb0ES6_jNS0_17counting_iteratorIjlEEPS9_SE_NS0_5tupleIJPjSE_EEENSF_IJSE_SE_EEES9_SG_JZNS1_25segmented_radix_sort_implINS0_14default_configELb1EPKaPaPKlPlN2at6native12_GLOBAL__N_18offset_tEEE10hipError_tPvRmT1_PNSt15iterator_traitsISY_E10value_typeET2_T3_PNSZ_IS14_E10value_typeET4_jRbjT5_S1A_jjP12ihipStream_tbEUljE_EEESV_SW_SX_S14_S18_S1A_T6_T7_T9_mT8_S1C_bDpT10_ENKUlT_T0_E_clISt17integral_constantIbLb0EES1O_IbLb1EEEEDaS1K_S1L_EUlS1K_E_NS1_11comp_targetILNS1_3genE0ELNS1_11target_archE4294967295ELNS1_3gpuE0ELNS1_3repE0EEENS1_30default_config_static_selectorELNS0_4arch9wavefront6targetE0EEEvSY_,comdat
.Lfunc_end280:
	.size	_ZN7rocprim17ROCPRIM_400000_NS6detail17trampoline_kernelINS0_13select_configILj256ELj13ELNS0_17block_load_methodE3ELS4_3ELS4_3ELNS0_20block_scan_algorithmE0ELj4294967295EEENS1_25partition_config_selectorILNS1_17partition_subalgoE3EjNS0_10empty_typeEbEEZZNS1_14partition_implILS8_3ELb0ES6_jNS0_17counting_iteratorIjlEEPS9_SE_NS0_5tupleIJPjSE_EEENSF_IJSE_SE_EEES9_SG_JZNS1_25segmented_radix_sort_implINS0_14default_configELb1EPKaPaPKlPlN2at6native12_GLOBAL__N_18offset_tEEE10hipError_tPvRmT1_PNSt15iterator_traitsISY_E10value_typeET2_T3_PNSZ_IS14_E10value_typeET4_jRbjT5_S1A_jjP12ihipStream_tbEUljE_EEESV_SW_SX_S14_S18_S1A_T6_T7_T9_mT8_S1C_bDpT10_ENKUlT_T0_E_clISt17integral_constantIbLb0EES1O_IbLb1EEEEDaS1K_S1L_EUlS1K_E_NS1_11comp_targetILNS1_3genE0ELNS1_11target_archE4294967295ELNS1_3gpuE0ELNS1_3repE0EEENS1_30default_config_static_selectorELNS0_4arch9wavefront6targetE0EEEvSY_, .Lfunc_end280-_ZN7rocprim17ROCPRIM_400000_NS6detail17trampoline_kernelINS0_13select_configILj256ELj13ELNS0_17block_load_methodE3ELS4_3ELS4_3ELNS0_20block_scan_algorithmE0ELj4294967295EEENS1_25partition_config_selectorILNS1_17partition_subalgoE3EjNS0_10empty_typeEbEEZZNS1_14partition_implILS8_3ELb0ES6_jNS0_17counting_iteratorIjlEEPS9_SE_NS0_5tupleIJPjSE_EEENSF_IJSE_SE_EEES9_SG_JZNS1_25segmented_radix_sort_implINS0_14default_configELb1EPKaPaPKlPlN2at6native12_GLOBAL__N_18offset_tEEE10hipError_tPvRmT1_PNSt15iterator_traitsISY_E10value_typeET2_T3_PNSZ_IS14_E10value_typeET4_jRbjT5_S1A_jjP12ihipStream_tbEUljE_EEESV_SW_SX_S14_S18_S1A_T6_T7_T9_mT8_S1C_bDpT10_ENKUlT_T0_E_clISt17integral_constantIbLb0EES1O_IbLb1EEEEDaS1K_S1L_EUlS1K_E_NS1_11comp_targetILNS1_3genE0ELNS1_11target_archE4294967295ELNS1_3gpuE0ELNS1_3repE0EEENS1_30default_config_static_selectorELNS0_4arch9wavefront6targetE0EEEvSY_
                                        ; -- End function
	.set _ZN7rocprim17ROCPRIM_400000_NS6detail17trampoline_kernelINS0_13select_configILj256ELj13ELNS0_17block_load_methodE3ELS4_3ELS4_3ELNS0_20block_scan_algorithmE0ELj4294967295EEENS1_25partition_config_selectorILNS1_17partition_subalgoE3EjNS0_10empty_typeEbEEZZNS1_14partition_implILS8_3ELb0ES6_jNS0_17counting_iteratorIjlEEPS9_SE_NS0_5tupleIJPjSE_EEENSF_IJSE_SE_EEES9_SG_JZNS1_25segmented_radix_sort_implINS0_14default_configELb1EPKaPaPKlPlN2at6native12_GLOBAL__N_18offset_tEEE10hipError_tPvRmT1_PNSt15iterator_traitsISY_E10value_typeET2_T3_PNSZ_IS14_E10value_typeET4_jRbjT5_S1A_jjP12ihipStream_tbEUljE_EEESV_SW_SX_S14_S18_S1A_T6_T7_T9_mT8_S1C_bDpT10_ENKUlT_T0_E_clISt17integral_constantIbLb0EES1O_IbLb1EEEEDaS1K_S1L_EUlS1K_E_NS1_11comp_targetILNS1_3genE0ELNS1_11target_archE4294967295ELNS1_3gpuE0ELNS1_3repE0EEENS1_30default_config_static_selectorELNS0_4arch9wavefront6targetE0EEEvSY_.num_vgpr, 0
	.set _ZN7rocprim17ROCPRIM_400000_NS6detail17trampoline_kernelINS0_13select_configILj256ELj13ELNS0_17block_load_methodE3ELS4_3ELS4_3ELNS0_20block_scan_algorithmE0ELj4294967295EEENS1_25partition_config_selectorILNS1_17partition_subalgoE3EjNS0_10empty_typeEbEEZZNS1_14partition_implILS8_3ELb0ES6_jNS0_17counting_iteratorIjlEEPS9_SE_NS0_5tupleIJPjSE_EEENSF_IJSE_SE_EEES9_SG_JZNS1_25segmented_radix_sort_implINS0_14default_configELb1EPKaPaPKlPlN2at6native12_GLOBAL__N_18offset_tEEE10hipError_tPvRmT1_PNSt15iterator_traitsISY_E10value_typeET2_T3_PNSZ_IS14_E10value_typeET4_jRbjT5_S1A_jjP12ihipStream_tbEUljE_EEESV_SW_SX_S14_S18_S1A_T6_T7_T9_mT8_S1C_bDpT10_ENKUlT_T0_E_clISt17integral_constantIbLb0EES1O_IbLb1EEEEDaS1K_S1L_EUlS1K_E_NS1_11comp_targetILNS1_3genE0ELNS1_11target_archE4294967295ELNS1_3gpuE0ELNS1_3repE0EEENS1_30default_config_static_selectorELNS0_4arch9wavefront6targetE0EEEvSY_.num_agpr, 0
	.set _ZN7rocprim17ROCPRIM_400000_NS6detail17trampoline_kernelINS0_13select_configILj256ELj13ELNS0_17block_load_methodE3ELS4_3ELS4_3ELNS0_20block_scan_algorithmE0ELj4294967295EEENS1_25partition_config_selectorILNS1_17partition_subalgoE3EjNS0_10empty_typeEbEEZZNS1_14partition_implILS8_3ELb0ES6_jNS0_17counting_iteratorIjlEEPS9_SE_NS0_5tupleIJPjSE_EEENSF_IJSE_SE_EEES9_SG_JZNS1_25segmented_radix_sort_implINS0_14default_configELb1EPKaPaPKlPlN2at6native12_GLOBAL__N_18offset_tEEE10hipError_tPvRmT1_PNSt15iterator_traitsISY_E10value_typeET2_T3_PNSZ_IS14_E10value_typeET4_jRbjT5_S1A_jjP12ihipStream_tbEUljE_EEESV_SW_SX_S14_S18_S1A_T6_T7_T9_mT8_S1C_bDpT10_ENKUlT_T0_E_clISt17integral_constantIbLb0EES1O_IbLb1EEEEDaS1K_S1L_EUlS1K_E_NS1_11comp_targetILNS1_3genE0ELNS1_11target_archE4294967295ELNS1_3gpuE0ELNS1_3repE0EEENS1_30default_config_static_selectorELNS0_4arch9wavefront6targetE0EEEvSY_.numbered_sgpr, 0
	.set _ZN7rocprim17ROCPRIM_400000_NS6detail17trampoline_kernelINS0_13select_configILj256ELj13ELNS0_17block_load_methodE3ELS4_3ELS4_3ELNS0_20block_scan_algorithmE0ELj4294967295EEENS1_25partition_config_selectorILNS1_17partition_subalgoE3EjNS0_10empty_typeEbEEZZNS1_14partition_implILS8_3ELb0ES6_jNS0_17counting_iteratorIjlEEPS9_SE_NS0_5tupleIJPjSE_EEENSF_IJSE_SE_EEES9_SG_JZNS1_25segmented_radix_sort_implINS0_14default_configELb1EPKaPaPKlPlN2at6native12_GLOBAL__N_18offset_tEEE10hipError_tPvRmT1_PNSt15iterator_traitsISY_E10value_typeET2_T3_PNSZ_IS14_E10value_typeET4_jRbjT5_S1A_jjP12ihipStream_tbEUljE_EEESV_SW_SX_S14_S18_S1A_T6_T7_T9_mT8_S1C_bDpT10_ENKUlT_T0_E_clISt17integral_constantIbLb0EES1O_IbLb1EEEEDaS1K_S1L_EUlS1K_E_NS1_11comp_targetILNS1_3genE0ELNS1_11target_archE4294967295ELNS1_3gpuE0ELNS1_3repE0EEENS1_30default_config_static_selectorELNS0_4arch9wavefront6targetE0EEEvSY_.num_named_barrier, 0
	.set _ZN7rocprim17ROCPRIM_400000_NS6detail17trampoline_kernelINS0_13select_configILj256ELj13ELNS0_17block_load_methodE3ELS4_3ELS4_3ELNS0_20block_scan_algorithmE0ELj4294967295EEENS1_25partition_config_selectorILNS1_17partition_subalgoE3EjNS0_10empty_typeEbEEZZNS1_14partition_implILS8_3ELb0ES6_jNS0_17counting_iteratorIjlEEPS9_SE_NS0_5tupleIJPjSE_EEENSF_IJSE_SE_EEES9_SG_JZNS1_25segmented_radix_sort_implINS0_14default_configELb1EPKaPaPKlPlN2at6native12_GLOBAL__N_18offset_tEEE10hipError_tPvRmT1_PNSt15iterator_traitsISY_E10value_typeET2_T3_PNSZ_IS14_E10value_typeET4_jRbjT5_S1A_jjP12ihipStream_tbEUljE_EEESV_SW_SX_S14_S18_S1A_T6_T7_T9_mT8_S1C_bDpT10_ENKUlT_T0_E_clISt17integral_constantIbLb0EES1O_IbLb1EEEEDaS1K_S1L_EUlS1K_E_NS1_11comp_targetILNS1_3genE0ELNS1_11target_archE4294967295ELNS1_3gpuE0ELNS1_3repE0EEENS1_30default_config_static_selectorELNS0_4arch9wavefront6targetE0EEEvSY_.private_seg_size, 0
	.set _ZN7rocprim17ROCPRIM_400000_NS6detail17trampoline_kernelINS0_13select_configILj256ELj13ELNS0_17block_load_methodE3ELS4_3ELS4_3ELNS0_20block_scan_algorithmE0ELj4294967295EEENS1_25partition_config_selectorILNS1_17partition_subalgoE3EjNS0_10empty_typeEbEEZZNS1_14partition_implILS8_3ELb0ES6_jNS0_17counting_iteratorIjlEEPS9_SE_NS0_5tupleIJPjSE_EEENSF_IJSE_SE_EEES9_SG_JZNS1_25segmented_radix_sort_implINS0_14default_configELb1EPKaPaPKlPlN2at6native12_GLOBAL__N_18offset_tEEE10hipError_tPvRmT1_PNSt15iterator_traitsISY_E10value_typeET2_T3_PNSZ_IS14_E10value_typeET4_jRbjT5_S1A_jjP12ihipStream_tbEUljE_EEESV_SW_SX_S14_S18_S1A_T6_T7_T9_mT8_S1C_bDpT10_ENKUlT_T0_E_clISt17integral_constantIbLb0EES1O_IbLb1EEEEDaS1K_S1L_EUlS1K_E_NS1_11comp_targetILNS1_3genE0ELNS1_11target_archE4294967295ELNS1_3gpuE0ELNS1_3repE0EEENS1_30default_config_static_selectorELNS0_4arch9wavefront6targetE0EEEvSY_.uses_vcc, 0
	.set _ZN7rocprim17ROCPRIM_400000_NS6detail17trampoline_kernelINS0_13select_configILj256ELj13ELNS0_17block_load_methodE3ELS4_3ELS4_3ELNS0_20block_scan_algorithmE0ELj4294967295EEENS1_25partition_config_selectorILNS1_17partition_subalgoE3EjNS0_10empty_typeEbEEZZNS1_14partition_implILS8_3ELb0ES6_jNS0_17counting_iteratorIjlEEPS9_SE_NS0_5tupleIJPjSE_EEENSF_IJSE_SE_EEES9_SG_JZNS1_25segmented_radix_sort_implINS0_14default_configELb1EPKaPaPKlPlN2at6native12_GLOBAL__N_18offset_tEEE10hipError_tPvRmT1_PNSt15iterator_traitsISY_E10value_typeET2_T3_PNSZ_IS14_E10value_typeET4_jRbjT5_S1A_jjP12ihipStream_tbEUljE_EEESV_SW_SX_S14_S18_S1A_T6_T7_T9_mT8_S1C_bDpT10_ENKUlT_T0_E_clISt17integral_constantIbLb0EES1O_IbLb1EEEEDaS1K_S1L_EUlS1K_E_NS1_11comp_targetILNS1_3genE0ELNS1_11target_archE4294967295ELNS1_3gpuE0ELNS1_3repE0EEENS1_30default_config_static_selectorELNS0_4arch9wavefront6targetE0EEEvSY_.uses_flat_scratch, 0
	.set _ZN7rocprim17ROCPRIM_400000_NS6detail17trampoline_kernelINS0_13select_configILj256ELj13ELNS0_17block_load_methodE3ELS4_3ELS4_3ELNS0_20block_scan_algorithmE0ELj4294967295EEENS1_25partition_config_selectorILNS1_17partition_subalgoE3EjNS0_10empty_typeEbEEZZNS1_14partition_implILS8_3ELb0ES6_jNS0_17counting_iteratorIjlEEPS9_SE_NS0_5tupleIJPjSE_EEENSF_IJSE_SE_EEES9_SG_JZNS1_25segmented_radix_sort_implINS0_14default_configELb1EPKaPaPKlPlN2at6native12_GLOBAL__N_18offset_tEEE10hipError_tPvRmT1_PNSt15iterator_traitsISY_E10value_typeET2_T3_PNSZ_IS14_E10value_typeET4_jRbjT5_S1A_jjP12ihipStream_tbEUljE_EEESV_SW_SX_S14_S18_S1A_T6_T7_T9_mT8_S1C_bDpT10_ENKUlT_T0_E_clISt17integral_constantIbLb0EES1O_IbLb1EEEEDaS1K_S1L_EUlS1K_E_NS1_11comp_targetILNS1_3genE0ELNS1_11target_archE4294967295ELNS1_3gpuE0ELNS1_3repE0EEENS1_30default_config_static_selectorELNS0_4arch9wavefront6targetE0EEEvSY_.has_dyn_sized_stack, 0
	.set _ZN7rocprim17ROCPRIM_400000_NS6detail17trampoline_kernelINS0_13select_configILj256ELj13ELNS0_17block_load_methodE3ELS4_3ELS4_3ELNS0_20block_scan_algorithmE0ELj4294967295EEENS1_25partition_config_selectorILNS1_17partition_subalgoE3EjNS0_10empty_typeEbEEZZNS1_14partition_implILS8_3ELb0ES6_jNS0_17counting_iteratorIjlEEPS9_SE_NS0_5tupleIJPjSE_EEENSF_IJSE_SE_EEES9_SG_JZNS1_25segmented_radix_sort_implINS0_14default_configELb1EPKaPaPKlPlN2at6native12_GLOBAL__N_18offset_tEEE10hipError_tPvRmT1_PNSt15iterator_traitsISY_E10value_typeET2_T3_PNSZ_IS14_E10value_typeET4_jRbjT5_S1A_jjP12ihipStream_tbEUljE_EEESV_SW_SX_S14_S18_S1A_T6_T7_T9_mT8_S1C_bDpT10_ENKUlT_T0_E_clISt17integral_constantIbLb0EES1O_IbLb1EEEEDaS1K_S1L_EUlS1K_E_NS1_11comp_targetILNS1_3genE0ELNS1_11target_archE4294967295ELNS1_3gpuE0ELNS1_3repE0EEENS1_30default_config_static_selectorELNS0_4arch9wavefront6targetE0EEEvSY_.has_recursion, 0
	.set _ZN7rocprim17ROCPRIM_400000_NS6detail17trampoline_kernelINS0_13select_configILj256ELj13ELNS0_17block_load_methodE3ELS4_3ELS4_3ELNS0_20block_scan_algorithmE0ELj4294967295EEENS1_25partition_config_selectorILNS1_17partition_subalgoE3EjNS0_10empty_typeEbEEZZNS1_14partition_implILS8_3ELb0ES6_jNS0_17counting_iteratorIjlEEPS9_SE_NS0_5tupleIJPjSE_EEENSF_IJSE_SE_EEES9_SG_JZNS1_25segmented_radix_sort_implINS0_14default_configELb1EPKaPaPKlPlN2at6native12_GLOBAL__N_18offset_tEEE10hipError_tPvRmT1_PNSt15iterator_traitsISY_E10value_typeET2_T3_PNSZ_IS14_E10value_typeET4_jRbjT5_S1A_jjP12ihipStream_tbEUljE_EEESV_SW_SX_S14_S18_S1A_T6_T7_T9_mT8_S1C_bDpT10_ENKUlT_T0_E_clISt17integral_constantIbLb0EES1O_IbLb1EEEEDaS1K_S1L_EUlS1K_E_NS1_11comp_targetILNS1_3genE0ELNS1_11target_archE4294967295ELNS1_3gpuE0ELNS1_3repE0EEENS1_30default_config_static_selectorELNS0_4arch9wavefront6targetE0EEEvSY_.has_indirect_call, 0
	.section	.AMDGPU.csdata,"",@progbits
; Kernel info:
; codeLenInByte = 0
; TotalNumSgprs: 0
; NumVgprs: 0
; ScratchSize: 0
; MemoryBound: 0
; FloatMode: 240
; IeeeMode: 1
; LDSByteSize: 0 bytes/workgroup (compile time only)
; SGPRBlocks: 0
; VGPRBlocks: 0
; NumSGPRsForWavesPerEU: 1
; NumVGPRsForWavesPerEU: 1
; Occupancy: 16
; WaveLimiterHint : 0
; COMPUTE_PGM_RSRC2:SCRATCH_EN: 0
; COMPUTE_PGM_RSRC2:USER_SGPR: 6
; COMPUTE_PGM_RSRC2:TRAP_HANDLER: 0
; COMPUTE_PGM_RSRC2:TGID_X_EN: 1
; COMPUTE_PGM_RSRC2:TGID_Y_EN: 0
; COMPUTE_PGM_RSRC2:TGID_Z_EN: 0
; COMPUTE_PGM_RSRC2:TIDIG_COMP_CNT: 0
	.section	.text._ZN7rocprim17ROCPRIM_400000_NS6detail17trampoline_kernelINS0_13select_configILj256ELj13ELNS0_17block_load_methodE3ELS4_3ELS4_3ELNS0_20block_scan_algorithmE0ELj4294967295EEENS1_25partition_config_selectorILNS1_17partition_subalgoE3EjNS0_10empty_typeEbEEZZNS1_14partition_implILS8_3ELb0ES6_jNS0_17counting_iteratorIjlEEPS9_SE_NS0_5tupleIJPjSE_EEENSF_IJSE_SE_EEES9_SG_JZNS1_25segmented_radix_sort_implINS0_14default_configELb1EPKaPaPKlPlN2at6native12_GLOBAL__N_18offset_tEEE10hipError_tPvRmT1_PNSt15iterator_traitsISY_E10value_typeET2_T3_PNSZ_IS14_E10value_typeET4_jRbjT5_S1A_jjP12ihipStream_tbEUljE_EEESV_SW_SX_S14_S18_S1A_T6_T7_T9_mT8_S1C_bDpT10_ENKUlT_T0_E_clISt17integral_constantIbLb0EES1O_IbLb1EEEEDaS1K_S1L_EUlS1K_E_NS1_11comp_targetILNS1_3genE5ELNS1_11target_archE942ELNS1_3gpuE9ELNS1_3repE0EEENS1_30default_config_static_selectorELNS0_4arch9wavefront6targetE0EEEvSY_,"axG",@progbits,_ZN7rocprim17ROCPRIM_400000_NS6detail17trampoline_kernelINS0_13select_configILj256ELj13ELNS0_17block_load_methodE3ELS4_3ELS4_3ELNS0_20block_scan_algorithmE0ELj4294967295EEENS1_25partition_config_selectorILNS1_17partition_subalgoE3EjNS0_10empty_typeEbEEZZNS1_14partition_implILS8_3ELb0ES6_jNS0_17counting_iteratorIjlEEPS9_SE_NS0_5tupleIJPjSE_EEENSF_IJSE_SE_EEES9_SG_JZNS1_25segmented_radix_sort_implINS0_14default_configELb1EPKaPaPKlPlN2at6native12_GLOBAL__N_18offset_tEEE10hipError_tPvRmT1_PNSt15iterator_traitsISY_E10value_typeET2_T3_PNSZ_IS14_E10value_typeET4_jRbjT5_S1A_jjP12ihipStream_tbEUljE_EEESV_SW_SX_S14_S18_S1A_T6_T7_T9_mT8_S1C_bDpT10_ENKUlT_T0_E_clISt17integral_constantIbLb0EES1O_IbLb1EEEEDaS1K_S1L_EUlS1K_E_NS1_11comp_targetILNS1_3genE5ELNS1_11target_archE942ELNS1_3gpuE9ELNS1_3repE0EEENS1_30default_config_static_selectorELNS0_4arch9wavefront6targetE0EEEvSY_,comdat
	.globl	_ZN7rocprim17ROCPRIM_400000_NS6detail17trampoline_kernelINS0_13select_configILj256ELj13ELNS0_17block_load_methodE3ELS4_3ELS4_3ELNS0_20block_scan_algorithmE0ELj4294967295EEENS1_25partition_config_selectorILNS1_17partition_subalgoE3EjNS0_10empty_typeEbEEZZNS1_14partition_implILS8_3ELb0ES6_jNS0_17counting_iteratorIjlEEPS9_SE_NS0_5tupleIJPjSE_EEENSF_IJSE_SE_EEES9_SG_JZNS1_25segmented_radix_sort_implINS0_14default_configELb1EPKaPaPKlPlN2at6native12_GLOBAL__N_18offset_tEEE10hipError_tPvRmT1_PNSt15iterator_traitsISY_E10value_typeET2_T3_PNSZ_IS14_E10value_typeET4_jRbjT5_S1A_jjP12ihipStream_tbEUljE_EEESV_SW_SX_S14_S18_S1A_T6_T7_T9_mT8_S1C_bDpT10_ENKUlT_T0_E_clISt17integral_constantIbLb0EES1O_IbLb1EEEEDaS1K_S1L_EUlS1K_E_NS1_11comp_targetILNS1_3genE5ELNS1_11target_archE942ELNS1_3gpuE9ELNS1_3repE0EEENS1_30default_config_static_selectorELNS0_4arch9wavefront6targetE0EEEvSY_ ; -- Begin function _ZN7rocprim17ROCPRIM_400000_NS6detail17trampoline_kernelINS0_13select_configILj256ELj13ELNS0_17block_load_methodE3ELS4_3ELS4_3ELNS0_20block_scan_algorithmE0ELj4294967295EEENS1_25partition_config_selectorILNS1_17partition_subalgoE3EjNS0_10empty_typeEbEEZZNS1_14partition_implILS8_3ELb0ES6_jNS0_17counting_iteratorIjlEEPS9_SE_NS0_5tupleIJPjSE_EEENSF_IJSE_SE_EEES9_SG_JZNS1_25segmented_radix_sort_implINS0_14default_configELb1EPKaPaPKlPlN2at6native12_GLOBAL__N_18offset_tEEE10hipError_tPvRmT1_PNSt15iterator_traitsISY_E10value_typeET2_T3_PNSZ_IS14_E10value_typeET4_jRbjT5_S1A_jjP12ihipStream_tbEUljE_EEESV_SW_SX_S14_S18_S1A_T6_T7_T9_mT8_S1C_bDpT10_ENKUlT_T0_E_clISt17integral_constantIbLb0EES1O_IbLb1EEEEDaS1K_S1L_EUlS1K_E_NS1_11comp_targetILNS1_3genE5ELNS1_11target_archE942ELNS1_3gpuE9ELNS1_3repE0EEENS1_30default_config_static_selectorELNS0_4arch9wavefront6targetE0EEEvSY_
	.p2align	8
	.type	_ZN7rocprim17ROCPRIM_400000_NS6detail17trampoline_kernelINS0_13select_configILj256ELj13ELNS0_17block_load_methodE3ELS4_3ELS4_3ELNS0_20block_scan_algorithmE0ELj4294967295EEENS1_25partition_config_selectorILNS1_17partition_subalgoE3EjNS0_10empty_typeEbEEZZNS1_14partition_implILS8_3ELb0ES6_jNS0_17counting_iteratorIjlEEPS9_SE_NS0_5tupleIJPjSE_EEENSF_IJSE_SE_EEES9_SG_JZNS1_25segmented_radix_sort_implINS0_14default_configELb1EPKaPaPKlPlN2at6native12_GLOBAL__N_18offset_tEEE10hipError_tPvRmT1_PNSt15iterator_traitsISY_E10value_typeET2_T3_PNSZ_IS14_E10value_typeET4_jRbjT5_S1A_jjP12ihipStream_tbEUljE_EEESV_SW_SX_S14_S18_S1A_T6_T7_T9_mT8_S1C_bDpT10_ENKUlT_T0_E_clISt17integral_constantIbLb0EES1O_IbLb1EEEEDaS1K_S1L_EUlS1K_E_NS1_11comp_targetILNS1_3genE5ELNS1_11target_archE942ELNS1_3gpuE9ELNS1_3repE0EEENS1_30default_config_static_selectorELNS0_4arch9wavefront6targetE0EEEvSY_,@function
_ZN7rocprim17ROCPRIM_400000_NS6detail17trampoline_kernelINS0_13select_configILj256ELj13ELNS0_17block_load_methodE3ELS4_3ELS4_3ELNS0_20block_scan_algorithmE0ELj4294967295EEENS1_25partition_config_selectorILNS1_17partition_subalgoE3EjNS0_10empty_typeEbEEZZNS1_14partition_implILS8_3ELb0ES6_jNS0_17counting_iteratorIjlEEPS9_SE_NS0_5tupleIJPjSE_EEENSF_IJSE_SE_EEES9_SG_JZNS1_25segmented_radix_sort_implINS0_14default_configELb1EPKaPaPKlPlN2at6native12_GLOBAL__N_18offset_tEEE10hipError_tPvRmT1_PNSt15iterator_traitsISY_E10value_typeET2_T3_PNSZ_IS14_E10value_typeET4_jRbjT5_S1A_jjP12ihipStream_tbEUljE_EEESV_SW_SX_S14_S18_S1A_T6_T7_T9_mT8_S1C_bDpT10_ENKUlT_T0_E_clISt17integral_constantIbLb0EES1O_IbLb1EEEEDaS1K_S1L_EUlS1K_E_NS1_11comp_targetILNS1_3genE5ELNS1_11target_archE942ELNS1_3gpuE9ELNS1_3repE0EEENS1_30default_config_static_selectorELNS0_4arch9wavefront6targetE0EEEvSY_: ; @_ZN7rocprim17ROCPRIM_400000_NS6detail17trampoline_kernelINS0_13select_configILj256ELj13ELNS0_17block_load_methodE3ELS4_3ELS4_3ELNS0_20block_scan_algorithmE0ELj4294967295EEENS1_25partition_config_selectorILNS1_17partition_subalgoE3EjNS0_10empty_typeEbEEZZNS1_14partition_implILS8_3ELb0ES6_jNS0_17counting_iteratorIjlEEPS9_SE_NS0_5tupleIJPjSE_EEENSF_IJSE_SE_EEES9_SG_JZNS1_25segmented_radix_sort_implINS0_14default_configELb1EPKaPaPKlPlN2at6native12_GLOBAL__N_18offset_tEEE10hipError_tPvRmT1_PNSt15iterator_traitsISY_E10value_typeET2_T3_PNSZ_IS14_E10value_typeET4_jRbjT5_S1A_jjP12ihipStream_tbEUljE_EEESV_SW_SX_S14_S18_S1A_T6_T7_T9_mT8_S1C_bDpT10_ENKUlT_T0_E_clISt17integral_constantIbLb0EES1O_IbLb1EEEEDaS1K_S1L_EUlS1K_E_NS1_11comp_targetILNS1_3genE5ELNS1_11target_archE942ELNS1_3gpuE9ELNS1_3repE0EEENS1_30default_config_static_selectorELNS0_4arch9wavefront6targetE0EEEvSY_
; %bb.0:
	.section	.rodata,"a",@progbits
	.p2align	6, 0x0
	.amdhsa_kernel _ZN7rocprim17ROCPRIM_400000_NS6detail17trampoline_kernelINS0_13select_configILj256ELj13ELNS0_17block_load_methodE3ELS4_3ELS4_3ELNS0_20block_scan_algorithmE0ELj4294967295EEENS1_25partition_config_selectorILNS1_17partition_subalgoE3EjNS0_10empty_typeEbEEZZNS1_14partition_implILS8_3ELb0ES6_jNS0_17counting_iteratorIjlEEPS9_SE_NS0_5tupleIJPjSE_EEENSF_IJSE_SE_EEES9_SG_JZNS1_25segmented_radix_sort_implINS0_14default_configELb1EPKaPaPKlPlN2at6native12_GLOBAL__N_18offset_tEEE10hipError_tPvRmT1_PNSt15iterator_traitsISY_E10value_typeET2_T3_PNSZ_IS14_E10value_typeET4_jRbjT5_S1A_jjP12ihipStream_tbEUljE_EEESV_SW_SX_S14_S18_S1A_T6_T7_T9_mT8_S1C_bDpT10_ENKUlT_T0_E_clISt17integral_constantIbLb0EES1O_IbLb1EEEEDaS1K_S1L_EUlS1K_E_NS1_11comp_targetILNS1_3genE5ELNS1_11target_archE942ELNS1_3gpuE9ELNS1_3repE0EEENS1_30default_config_static_selectorELNS0_4arch9wavefront6targetE0EEEvSY_
		.amdhsa_group_segment_fixed_size 0
		.amdhsa_private_segment_fixed_size 0
		.amdhsa_kernarg_size 152
		.amdhsa_user_sgpr_count 6
		.amdhsa_user_sgpr_private_segment_buffer 1
		.amdhsa_user_sgpr_dispatch_ptr 0
		.amdhsa_user_sgpr_queue_ptr 0
		.amdhsa_user_sgpr_kernarg_segment_ptr 1
		.amdhsa_user_sgpr_dispatch_id 0
		.amdhsa_user_sgpr_flat_scratch_init 0
		.amdhsa_user_sgpr_private_segment_size 0
		.amdhsa_wavefront_size32 1
		.amdhsa_uses_dynamic_stack 0
		.amdhsa_system_sgpr_private_segment_wavefront_offset 0
		.amdhsa_system_sgpr_workgroup_id_x 1
		.amdhsa_system_sgpr_workgroup_id_y 0
		.amdhsa_system_sgpr_workgroup_id_z 0
		.amdhsa_system_sgpr_workgroup_info 0
		.amdhsa_system_vgpr_workitem_id 0
		.amdhsa_next_free_vgpr 1
		.amdhsa_next_free_sgpr 1
		.amdhsa_reserve_vcc 0
		.amdhsa_reserve_flat_scratch 0
		.amdhsa_float_round_mode_32 0
		.amdhsa_float_round_mode_16_64 0
		.amdhsa_float_denorm_mode_32 3
		.amdhsa_float_denorm_mode_16_64 3
		.amdhsa_dx10_clamp 1
		.amdhsa_ieee_mode 1
		.amdhsa_fp16_overflow 0
		.amdhsa_workgroup_processor_mode 1
		.amdhsa_memory_ordered 1
		.amdhsa_forward_progress 1
		.amdhsa_shared_vgpr_count 0
		.amdhsa_exception_fp_ieee_invalid_op 0
		.amdhsa_exception_fp_denorm_src 0
		.amdhsa_exception_fp_ieee_div_zero 0
		.amdhsa_exception_fp_ieee_overflow 0
		.amdhsa_exception_fp_ieee_underflow 0
		.amdhsa_exception_fp_ieee_inexact 0
		.amdhsa_exception_int_div_zero 0
	.end_amdhsa_kernel
	.section	.text._ZN7rocprim17ROCPRIM_400000_NS6detail17trampoline_kernelINS0_13select_configILj256ELj13ELNS0_17block_load_methodE3ELS4_3ELS4_3ELNS0_20block_scan_algorithmE0ELj4294967295EEENS1_25partition_config_selectorILNS1_17partition_subalgoE3EjNS0_10empty_typeEbEEZZNS1_14partition_implILS8_3ELb0ES6_jNS0_17counting_iteratorIjlEEPS9_SE_NS0_5tupleIJPjSE_EEENSF_IJSE_SE_EEES9_SG_JZNS1_25segmented_radix_sort_implINS0_14default_configELb1EPKaPaPKlPlN2at6native12_GLOBAL__N_18offset_tEEE10hipError_tPvRmT1_PNSt15iterator_traitsISY_E10value_typeET2_T3_PNSZ_IS14_E10value_typeET4_jRbjT5_S1A_jjP12ihipStream_tbEUljE_EEESV_SW_SX_S14_S18_S1A_T6_T7_T9_mT8_S1C_bDpT10_ENKUlT_T0_E_clISt17integral_constantIbLb0EES1O_IbLb1EEEEDaS1K_S1L_EUlS1K_E_NS1_11comp_targetILNS1_3genE5ELNS1_11target_archE942ELNS1_3gpuE9ELNS1_3repE0EEENS1_30default_config_static_selectorELNS0_4arch9wavefront6targetE0EEEvSY_,"axG",@progbits,_ZN7rocprim17ROCPRIM_400000_NS6detail17trampoline_kernelINS0_13select_configILj256ELj13ELNS0_17block_load_methodE3ELS4_3ELS4_3ELNS0_20block_scan_algorithmE0ELj4294967295EEENS1_25partition_config_selectorILNS1_17partition_subalgoE3EjNS0_10empty_typeEbEEZZNS1_14partition_implILS8_3ELb0ES6_jNS0_17counting_iteratorIjlEEPS9_SE_NS0_5tupleIJPjSE_EEENSF_IJSE_SE_EEES9_SG_JZNS1_25segmented_radix_sort_implINS0_14default_configELb1EPKaPaPKlPlN2at6native12_GLOBAL__N_18offset_tEEE10hipError_tPvRmT1_PNSt15iterator_traitsISY_E10value_typeET2_T3_PNSZ_IS14_E10value_typeET4_jRbjT5_S1A_jjP12ihipStream_tbEUljE_EEESV_SW_SX_S14_S18_S1A_T6_T7_T9_mT8_S1C_bDpT10_ENKUlT_T0_E_clISt17integral_constantIbLb0EES1O_IbLb1EEEEDaS1K_S1L_EUlS1K_E_NS1_11comp_targetILNS1_3genE5ELNS1_11target_archE942ELNS1_3gpuE9ELNS1_3repE0EEENS1_30default_config_static_selectorELNS0_4arch9wavefront6targetE0EEEvSY_,comdat
.Lfunc_end281:
	.size	_ZN7rocprim17ROCPRIM_400000_NS6detail17trampoline_kernelINS0_13select_configILj256ELj13ELNS0_17block_load_methodE3ELS4_3ELS4_3ELNS0_20block_scan_algorithmE0ELj4294967295EEENS1_25partition_config_selectorILNS1_17partition_subalgoE3EjNS0_10empty_typeEbEEZZNS1_14partition_implILS8_3ELb0ES6_jNS0_17counting_iteratorIjlEEPS9_SE_NS0_5tupleIJPjSE_EEENSF_IJSE_SE_EEES9_SG_JZNS1_25segmented_radix_sort_implINS0_14default_configELb1EPKaPaPKlPlN2at6native12_GLOBAL__N_18offset_tEEE10hipError_tPvRmT1_PNSt15iterator_traitsISY_E10value_typeET2_T3_PNSZ_IS14_E10value_typeET4_jRbjT5_S1A_jjP12ihipStream_tbEUljE_EEESV_SW_SX_S14_S18_S1A_T6_T7_T9_mT8_S1C_bDpT10_ENKUlT_T0_E_clISt17integral_constantIbLb0EES1O_IbLb1EEEEDaS1K_S1L_EUlS1K_E_NS1_11comp_targetILNS1_3genE5ELNS1_11target_archE942ELNS1_3gpuE9ELNS1_3repE0EEENS1_30default_config_static_selectorELNS0_4arch9wavefront6targetE0EEEvSY_, .Lfunc_end281-_ZN7rocprim17ROCPRIM_400000_NS6detail17trampoline_kernelINS0_13select_configILj256ELj13ELNS0_17block_load_methodE3ELS4_3ELS4_3ELNS0_20block_scan_algorithmE0ELj4294967295EEENS1_25partition_config_selectorILNS1_17partition_subalgoE3EjNS0_10empty_typeEbEEZZNS1_14partition_implILS8_3ELb0ES6_jNS0_17counting_iteratorIjlEEPS9_SE_NS0_5tupleIJPjSE_EEENSF_IJSE_SE_EEES9_SG_JZNS1_25segmented_radix_sort_implINS0_14default_configELb1EPKaPaPKlPlN2at6native12_GLOBAL__N_18offset_tEEE10hipError_tPvRmT1_PNSt15iterator_traitsISY_E10value_typeET2_T3_PNSZ_IS14_E10value_typeET4_jRbjT5_S1A_jjP12ihipStream_tbEUljE_EEESV_SW_SX_S14_S18_S1A_T6_T7_T9_mT8_S1C_bDpT10_ENKUlT_T0_E_clISt17integral_constantIbLb0EES1O_IbLb1EEEEDaS1K_S1L_EUlS1K_E_NS1_11comp_targetILNS1_3genE5ELNS1_11target_archE942ELNS1_3gpuE9ELNS1_3repE0EEENS1_30default_config_static_selectorELNS0_4arch9wavefront6targetE0EEEvSY_
                                        ; -- End function
	.set _ZN7rocprim17ROCPRIM_400000_NS6detail17trampoline_kernelINS0_13select_configILj256ELj13ELNS0_17block_load_methodE3ELS4_3ELS4_3ELNS0_20block_scan_algorithmE0ELj4294967295EEENS1_25partition_config_selectorILNS1_17partition_subalgoE3EjNS0_10empty_typeEbEEZZNS1_14partition_implILS8_3ELb0ES6_jNS0_17counting_iteratorIjlEEPS9_SE_NS0_5tupleIJPjSE_EEENSF_IJSE_SE_EEES9_SG_JZNS1_25segmented_radix_sort_implINS0_14default_configELb1EPKaPaPKlPlN2at6native12_GLOBAL__N_18offset_tEEE10hipError_tPvRmT1_PNSt15iterator_traitsISY_E10value_typeET2_T3_PNSZ_IS14_E10value_typeET4_jRbjT5_S1A_jjP12ihipStream_tbEUljE_EEESV_SW_SX_S14_S18_S1A_T6_T7_T9_mT8_S1C_bDpT10_ENKUlT_T0_E_clISt17integral_constantIbLb0EES1O_IbLb1EEEEDaS1K_S1L_EUlS1K_E_NS1_11comp_targetILNS1_3genE5ELNS1_11target_archE942ELNS1_3gpuE9ELNS1_3repE0EEENS1_30default_config_static_selectorELNS0_4arch9wavefront6targetE0EEEvSY_.num_vgpr, 0
	.set _ZN7rocprim17ROCPRIM_400000_NS6detail17trampoline_kernelINS0_13select_configILj256ELj13ELNS0_17block_load_methodE3ELS4_3ELS4_3ELNS0_20block_scan_algorithmE0ELj4294967295EEENS1_25partition_config_selectorILNS1_17partition_subalgoE3EjNS0_10empty_typeEbEEZZNS1_14partition_implILS8_3ELb0ES6_jNS0_17counting_iteratorIjlEEPS9_SE_NS0_5tupleIJPjSE_EEENSF_IJSE_SE_EEES9_SG_JZNS1_25segmented_radix_sort_implINS0_14default_configELb1EPKaPaPKlPlN2at6native12_GLOBAL__N_18offset_tEEE10hipError_tPvRmT1_PNSt15iterator_traitsISY_E10value_typeET2_T3_PNSZ_IS14_E10value_typeET4_jRbjT5_S1A_jjP12ihipStream_tbEUljE_EEESV_SW_SX_S14_S18_S1A_T6_T7_T9_mT8_S1C_bDpT10_ENKUlT_T0_E_clISt17integral_constantIbLb0EES1O_IbLb1EEEEDaS1K_S1L_EUlS1K_E_NS1_11comp_targetILNS1_3genE5ELNS1_11target_archE942ELNS1_3gpuE9ELNS1_3repE0EEENS1_30default_config_static_selectorELNS0_4arch9wavefront6targetE0EEEvSY_.num_agpr, 0
	.set _ZN7rocprim17ROCPRIM_400000_NS6detail17trampoline_kernelINS0_13select_configILj256ELj13ELNS0_17block_load_methodE3ELS4_3ELS4_3ELNS0_20block_scan_algorithmE0ELj4294967295EEENS1_25partition_config_selectorILNS1_17partition_subalgoE3EjNS0_10empty_typeEbEEZZNS1_14partition_implILS8_3ELb0ES6_jNS0_17counting_iteratorIjlEEPS9_SE_NS0_5tupleIJPjSE_EEENSF_IJSE_SE_EEES9_SG_JZNS1_25segmented_radix_sort_implINS0_14default_configELb1EPKaPaPKlPlN2at6native12_GLOBAL__N_18offset_tEEE10hipError_tPvRmT1_PNSt15iterator_traitsISY_E10value_typeET2_T3_PNSZ_IS14_E10value_typeET4_jRbjT5_S1A_jjP12ihipStream_tbEUljE_EEESV_SW_SX_S14_S18_S1A_T6_T7_T9_mT8_S1C_bDpT10_ENKUlT_T0_E_clISt17integral_constantIbLb0EES1O_IbLb1EEEEDaS1K_S1L_EUlS1K_E_NS1_11comp_targetILNS1_3genE5ELNS1_11target_archE942ELNS1_3gpuE9ELNS1_3repE0EEENS1_30default_config_static_selectorELNS0_4arch9wavefront6targetE0EEEvSY_.numbered_sgpr, 0
	.set _ZN7rocprim17ROCPRIM_400000_NS6detail17trampoline_kernelINS0_13select_configILj256ELj13ELNS0_17block_load_methodE3ELS4_3ELS4_3ELNS0_20block_scan_algorithmE0ELj4294967295EEENS1_25partition_config_selectorILNS1_17partition_subalgoE3EjNS0_10empty_typeEbEEZZNS1_14partition_implILS8_3ELb0ES6_jNS0_17counting_iteratorIjlEEPS9_SE_NS0_5tupleIJPjSE_EEENSF_IJSE_SE_EEES9_SG_JZNS1_25segmented_radix_sort_implINS0_14default_configELb1EPKaPaPKlPlN2at6native12_GLOBAL__N_18offset_tEEE10hipError_tPvRmT1_PNSt15iterator_traitsISY_E10value_typeET2_T3_PNSZ_IS14_E10value_typeET4_jRbjT5_S1A_jjP12ihipStream_tbEUljE_EEESV_SW_SX_S14_S18_S1A_T6_T7_T9_mT8_S1C_bDpT10_ENKUlT_T0_E_clISt17integral_constantIbLb0EES1O_IbLb1EEEEDaS1K_S1L_EUlS1K_E_NS1_11comp_targetILNS1_3genE5ELNS1_11target_archE942ELNS1_3gpuE9ELNS1_3repE0EEENS1_30default_config_static_selectorELNS0_4arch9wavefront6targetE0EEEvSY_.num_named_barrier, 0
	.set _ZN7rocprim17ROCPRIM_400000_NS6detail17trampoline_kernelINS0_13select_configILj256ELj13ELNS0_17block_load_methodE3ELS4_3ELS4_3ELNS0_20block_scan_algorithmE0ELj4294967295EEENS1_25partition_config_selectorILNS1_17partition_subalgoE3EjNS0_10empty_typeEbEEZZNS1_14partition_implILS8_3ELb0ES6_jNS0_17counting_iteratorIjlEEPS9_SE_NS0_5tupleIJPjSE_EEENSF_IJSE_SE_EEES9_SG_JZNS1_25segmented_radix_sort_implINS0_14default_configELb1EPKaPaPKlPlN2at6native12_GLOBAL__N_18offset_tEEE10hipError_tPvRmT1_PNSt15iterator_traitsISY_E10value_typeET2_T3_PNSZ_IS14_E10value_typeET4_jRbjT5_S1A_jjP12ihipStream_tbEUljE_EEESV_SW_SX_S14_S18_S1A_T6_T7_T9_mT8_S1C_bDpT10_ENKUlT_T0_E_clISt17integral_constantIbLb0EES1O_IbLb1EEEEDaS1K_S1L_EUlS1K_E_NS1_11comp_targetILNS1_3genE5ELNS1_11target_archE942ELNS1_3gpuE9ELNS1_3repE0EEENS1_30default_config_static_selectorELNS0_4arch9wavefront6targetE0EEEvSY_.private_seg_size, 0
	.set _ZN7rocprim17ROCPRIM_400000_NS6detail17trampoline_kernelINS0_13select_configILj256ELj13ELNS0_17block_load_methodE3ELS4_3ELS4_3ELNS0_20block_scan_algorithmE0ELj4294967295EEENS1_25partition_config_selectorILNS1_17partition_subalgoE3EjNS0_10empty_typeEbEEZZNS1_14partition_implILS8_3ELb0ES6_jNS0_17counting_iteratorIjlEEPS9_SE_NS0_5tupleIJPjSE_EEENSF_IJSE_SE_EEES9_SG_JZNS1_25segmented_radix_sort_implINS0_14default_configELb1EPKaPaPKlPlN2at6native12_GLOBAL__N_18offset_tEEE10hipError_tPvRmT1_PNSt15iterator_traitsISY_E10value_typeET2_T3_PNSZ_IS14_E10value_typeET4_jRbjT5_S1A_jjP12ihipStream_tbEUljE_EEESV_SW_SX_S14_S18_S1A_T6_T7_T9_mT8_S1C_bDpT10_ENKUlT_T0_E_clISt17integral_constantIbLb0EES1O_IbLb1EEEEDaS1K_S1L_EUlS1K_E_NS1_11comp_targetILNS1_3genE5ELNS1_11target_archE942ELNS1_3gpuE9ELNS1_3repE0EEENS1_30default_config_static_selectorELNS0_4arch9wavefront6targetE0EEEvSY_.uses_vcc, 0
	.set _ZN7rocprim17ROCPRIM_400000_NS6detail17trampoline_kernelINS0_13select_configILj256ELj13ELNS0_17block_load_methodE3ELS4_3ELS4_3ELNS0_20block_scan_algorithmE0ELj4294967295EEENS1_25partition_config_selectorILNS1_17partition_subalgoE3EjNS0_10empty_typeEbEEZZNS1_14partition_implILS8_3ELb0ES6_jNS0_17counting_iteratorIjlEEPS9_SE_NS0_5tupleIJPjSE_EEENSF_IJSE_SE_EEES9_SG_JZNS1_25segmented_radix_sort_implINS0_14default_configELb1EPKaPaPKlPlN2at6native12_GLOBAL__N_18offset_tEEE10hipError_tPvRmT1_PNSt15iterator_traitsISY_E10value_typeET2_T3_PNSZ_IS14_E10value_typeET4_jRbjT5_S1A_jjP12ihipStream_tbEUljE_EEESV_SW_SX_S14_S18_S1A_T6_T7_T9_mT8_S1C_bDpT10_ENKUlT_T0_E_clISt17integral_constantIbLb0EES1O_IbLb1EEEEDaS1K_S1L_EUlS1K_E_NS1_11comp_targetILNS1_3genE5ELNS1_11target_archE942ELNS1_3gpuE9ELNS1_3repE0EEENS1_30default_config_static_selectorELNS0_4arch9wavefront6targetE0EEEvSY_.uses_flat_scratch, 0
	.set _ZN7rocprim17ROCPRIM_400000_NS6detail17trampoline_kernelINS0_13select_configILj256ELj13ELNS0_17block_load_methodE3ELS4_3ELS4_3ELNS0_20block_scan_algorithmE0ELj4294967295EEENS1_25partition_config_selectorILNS1_17partition_subalgoE3EjNS0_10empty_typeEbEEZZNS1_14partition_implILS8_3ELb0ES6_jNS0_17counting_iteratorIjlEEPS9_SE_NS0_5tupleIJPjSE_EEENSF_IJSE_SE_EEES9_SG_JZNS1_25segmented_radix_sort_implINS0_14default_configELb1EPKaPaPKlPlN2at6native12_GLOBAL__N_18offset_tEEE10hipError_tPvRmT1_PNSt15iterator_traitsISY_E10value_typeET2_T3_PNSZ_IS14_E10value_typeET4_jRbjT5_S1A_jjP12ihipStream_tbEUljE_EEESV_SW_SX_S14_S18_S1A_T6_T7_T9_mT8_S1C_bDpT10_ENKUlT_T0_E_clISt17integral_constantIbLb0EES1O_IbLb1EEEEDaS1K_S1L_EUlS1K_E_NS1_11comp_targetILNS1_3genE5ELNS1_11target_archE942ELNS1_3gpuE9ELNS1_3repE0EEENS1_30default_config_static_selectorELNS0_4arch9wavefront6targetE0EEEvSY_.has_dyn_sized_stack, 0
	.set _ZN7rocprim17ROCPRIM_400000_NS6detail17trampoline_kernelINS0_13select_configILj256ELj13ELNS0_17block_load_methodE3ELS4_3ELS4_3ELNS0_20block_scan_algorithmE0ELj4294967295EEENS1_25partition_config_selectorILNS1_17partition_subalgoE3EjNS0_10empty_typeEbEEZZNS1_14partition_implILS8_3ELb0ES6_jNS0_17counting_iteratorIjlEEPS9_SE_NS0_5tupleIJPjSE_EEENSF_IJSE_SE_EEES9_SG_JZNS1_25segmented_radix_sort_implINS0_14default_configELb1EPKaPaPKlPlN2at6native12_GLOBAL__N_18offset_tEEE10hipError_tPvRmT1_PNSt15iterator_traitsISY_E10value_typeET2_T3_PNSZ_IS14_E10value_typeET4_jRbjT5_S1A_jjP12ihipStream_tbEUljE_EEESV_SW_SX_S14_S18_S1A_T6_T7_T9_mT8_S1C_bDpT10_ENKUlT_T0_E_clISt17integral_constantIbLb0EES1O_IbLb1EEEEDaS1K_S1L_EUlS1K_E_NS1_11comp_targetILNS1_3genE5ELNS1_11target_archE942ELNS1_3gpuE9ELNS1_3repE0EEENS1_30default_config_static_selectorELNS0_4arch9wavefront6targetE0EEEvSY_.has_recursion, 0
	.set _ZN7rocprim17ROCPRIM_400000_NS6detail17trampoline_kernelINS0_13select_configILj256ELj13ELNS0_17block_load_methodE3ELS4_3ELS4_3ELNS0_20block_scan_algorithmE0ELj4294967295EEENS1_25partition_config_selectorILNS1_17partition_subalgoE3EjNS0_10empty_typeEbEEZZNS1_14partition_implILS8_3ELb0ES6_jNS0_17counting_iteratorIjlEEPS9_SE_NS0_5tupleIJPjSE_EEENSF_IJSE_SE_EEES9_SG_JZNS1_25segmented_radix_sort_implINS0_14default_configELb1EPKaPaPKlPlN2at6native12_GLOBAL__N_18offset_tEEE10hipError_tPvRmT1_PNSt15iterator_traitsISY_E10value_typeET2_T3_PNSZ_IS14_E10value_typeET4_jRbjT5_S1A_jjP12ihipStream_tbEUljE_EEESV_SW_SX_S14_S18_S1A_T6_T7_T9_mT8_S1C_bDpT10_ENKUlT_T0_E_clISt17integral_constantIbLb0EES1O_IbLb1EEEEDaS1K_S1L_EUlS1K_E_NS1_11comp_targetILNS1_3genE5ELNS1_11target_archE942ELNS1_3gpuE9ELNS1_3repE0EEENS1_30default_config_static_selectorELNS0_4arch9wavefront6targetE0EEEvSY_.has_indirect_call, 0
	.section	.AMDGPU.csdata,"",@progbits
; Kernel info:
; codeLenInByte = 0
; TotalNumSgprs: 0
; NumVgprs: 0
; ScratchSize: 0
; MemoryBound: 0
; FloatMode: 240
; IeeeMode: 1
; LDSByteSize: 0 bytes/workgroup (compile time only)
; SGPRBlocks: 0
; VGPRBlocks: 0
; NumSGPRsForWavesPerEU: 1
; NumVGPRsForWavesPerEU: 1
; Occupancy: 16
; WaveLimiterHint : 0
; COMPUTE_PGM_RSRC2:SCRATCH_EN: 0
; COMPUTE_PGM_RSRC2:USER_SGPR: 6
; COMPUTE_PGM_RSRC2:TRAP_HANDLER: 0
; COMPUTE_PGM_RSRC2:TGID_X_EN: 1
; COMPUTE_PGM_RSRC2:TGID_Y_EN: 0
; COMPUTE_PGM_RSRC2:TGID_Z_EN: 0
; COMPUTE_PGM_RSRC2:TIDIG_COMP_CNT: 0
	.section	.text._ZN7rocprim17ROCPRIM_400000_NS6detail17trampoline_kernelINS0_13select_configILj256ELj13ELNS0_17block_load_methodE3ELS4_3ELS4_3ELNS0_20block_scan_algorithmE0ELj4294967295EEENS1_25partition_config_selectorILNS1_17partition_subalgoE3EjNS0_10empty_typeEbEEZZNS1_14partition_implILS8_3ELb0ES6_jNS0_17counting_iteratorIjlEEPS9_SE_NS0_5tupleIJPjSE_EEENSF_IJSE_SE_EEES9_SG_JZNS1_25segmented_radix_sort_implINS0_14default_configELb1EPKaPaPKlPlN2at6native12_GLOBAL__N_18offset_tEEE10hipError_tPvRmT1_PNSt15iterator_traitsISY_E10value_typeET2_T3_PNSZ_IS14_E10value_typeET4_jRbjT5_S1A_jjP12ihipStream_tbEUljE_EEESV_SW_SX_S14_S18_S1A_T6_T7_T9_mT8_S1C_bDpT10_ENKUlT_T0_E_clISt17integral_constantIbLb0EES1O_IbLb1EEEEDaS1K_S1L_EUlS1K_E_NS1_11comp_targetILNS1_3genE4ELNS1_11target_archE910ELNS1_3gpuE8ELNS1_3repE0EEENS1_30default_config_static_selectorELNS0_4arch9wavefront6targetE0EEEvSY_,"axG",@progbits,_ZN7rocprim17ROCPRIM_400000_NS6detail17trampoline_kernelINS0_13select_configILj256ELj13ELNS0_17block_load_methodE3ELS4_3ELS4_3ELNS0_20block_scan_algorithmE0ELj4294967295EEENS1_25partition_config_selectorILNS1_17partition_subalgoE3EjNS0_10empty_typeEbEEZZNS1_14partition_implILS8_3ELb0ES6_jNS0_17counting_iteratorIjlEEPS9_SE_NS0_5tupleIJPjSE_EEENSF_IJSE_SE_EEES9_SG_JZNS1_25segmented_radix_sort_implINS0_14default_configELb1EPKaPaPKlPlN2at6native12_GLOBAL__N_18offset_tEEE10hipError_tPvRmT1_PNSt15iterator_traitsISY_E10value_typeET2_T3_PNSZ_IS14_E10value_typeET4_jRbjT5_S1A_jjP12ihipStream_tbEUljE_EEESV_SW_SX_S14_S18_S1A_T6_T7_T9_mT8_S1C_bDpT10_ENKUlT_T0_E_clISt17integral_constantIbLb0EES1O_IbLb1EEEEDaS1K_S1L_EUlS1K_E_NS1_11comp_targetILNS1_3genE4ELNS1_11target_archE910ELNS1_3gpuE8ELNS1_3repE0EEENS1_30default_config_static_selectorELNS0_4arch9wavefront6targetE0EEEvSY_,comdat
	.globl	_ZN7rocprim17ROCPRIM_400000_NS6detail17trampoline_kernelINS0_13select_configILj256ELj13ELNS0_17block_load_methodE3ELS4_3ELS4_3ELNS0_20block_scan_algorithmE0ELj4294967295EEENS1_25partition_config_selectorILNS1_17partition_subalgoE3EjNS0_10empty_typeEbEEZZNS1_14partition_implILS8_3ELb0ES6_jNS0_17counting_iteratorIjlEEPS9_SE_NS0_5tupleIJPjSE_EEENSF_IJSE_SE_EEES9_SG_JZNS1_25segmented_radix_sort_implINS0_14default_configELb1EPKaPaPKlPlN2at6native12_GLOBAL__N_18offset_tEEE10hipError_tPvRmT1_PNSt15iterator_traitsISY_E10value_typeET2_T3_PNSZ_IS14_E10value_typeET4_jRbjT5_S1A_jjP12ihipStream_tbEUljE_EEESV_SW_SX_S14_S18_S1A_T6_T7_T9_mT8_S1C_bDpT10_ENKUlT_T0_E_clISt17integral_constantIbLb0EES1O_IbLb1EEEEDaS1K_S1L_EUlS1K_E_NS1_11comp_targetILNS1_3genE4ELNS1_11target_archE910ELNS1_3gpuE8ELNS1_3repE0EEENS1_30default_config_static_selectorELNS0_4arch9wavefront6targetE0EEEvSY_ ; -- Begin function _ZN7rocprim17ROCPRIM_400000_NS6detail17trampoline_kernelINS0_13select_configILj256ELj13ELNS0_17block_load_methodE3ELS4_3ELS4_3ELNS0_20block_scan_algorithmE0ELj4294967295EEENS1_25partition_config_selectorILNS1_17partition_subalgoE3EjNS0_10empty_typeEbEEZZNS1_14partition_implILS8_3ELb0ES6_jNS0_17counting_iteratorIjlEEPS9_SE_NS0_5tupleIJPjSE_EEENSF_IJSE_SE_EEES9_SG_JZNS1_25segmented_radix_sort_implINS0_14default_configELb1EPKaPaPKlPlN2at6native12_GLOBAL__N_18offset_tEEE10hipError_tPvRmT1_PNSt15iterator_traitsISY_E10value_typeET2_T3_PNSZ_IS14_E10value_typeET4_jRbjT5_S1A_jjP12ihipStream_tbEUljE_EEESV_SW_SX_S14_S18_S1A_T6_T7_T9_mT8_S1C_bDpT10_ENKUlT_T0_E_clISt17integral_constantIbLb0EES1O_IbLb1EEEEDaS1K_S1L_EUlS1K_E_NS1_11comp_targetILNS1_3genE4ELNS1_11target_archE910ELNS1_3gpuE8ELNS1_3repE0EEENS1_30default_config_static_selectorELNS0_4arch9wavefront6targetE0EEEvSY_
	.p2align	8
	.type	_ZN7rocprim17ROCPRIM_400000_NS6detail17trampoline_kernelINS0_13select_configILj256ELj13ELNS0_17block_load_methodE3ELS4_3ELS4_3ELNS0_20block_scan_algorithmE0ELj4294967295EEENS1_25partition_config_selectorILNS1_17partition_subalgoE3EjNS0_10empty_typeEbEEZZNS1_14partition_implILS8_3ELb0ES6_jNS0_17counting_iteratorIjlEEPS9_SE_NS0_5tupleIJPjSE_EEENSF_IJSE_SE_EEES9_SG_JZNS1_25segmented_radix_sort_implINS0_14default_configELb1EPKaPaPKlPlN2at6native12_GLOBAL__N_18offset_tEEE10hipError_tPvRmT1_PNSt15iterator_traitsISY_E10value_typeET2_T3_PNSZ_IS14_E10value_typeET4_jRbjT5_S1A_jjP12ihipStream_tbEUljE_EEESV_SW_SX_S14_S18_S1A_T6_T7_T9_mT8_S1C_bDpT10_ENKUlT_T0_E_clISt17integral_constantIbLb0EES1O_IbLb1EEEEDaS1K_S1L_EUlS1K_E_NS1_11comp_targetILNS1_3genE4ELNS1_11target_archE910ELNS1_3gpuE8ELNS1_3repE0EEENS1_30default_config_static_selectorELNS0_4arch9wavefront6targetE0EEEvSY_,@function
_ZN7rocprim17ROCPRIM_400000_NS6detail17trampoline_kernelINS0_13select_configILj256ELj13ELNS0_17block_load_methodE3ELS4_3ELS4_3ELNS0_20block_scan_algorithmE0ELj4294967295EEENS1_25partition_config_selectorILNS1_17partition_subalgoE3EjNS0_10empty_typeEbEEZZNS1_14partition_implILS8_3ELb0ES6_jNS0_17counting_iteratorIjlEEPS9_SE_NS0_5tupleIJPjSE_EEENSF_IJSE_SE_EEES9_SG_JZNS1_25segmented_radix_sort_implINS0_14default_configELb1EPKaPaPKlPlN2at6native12_GLOBAL__N_18offset_tEEE10hipError_tPvRmT1_PNSt15iterator_traitsISY_E10value_typeET2_T3_PNSZ_IS14_E10value_typeET4_jRbjT5_S1A_jjP12ihipStream_tbEUljE_EEESV_SW_SX_S14_S18_S1A_T6_T7_T9_mT8_S1C_bDpT10_ENKUlT_T0_E_clISt17integral_constantIbLb0EES1O_IbLb1EEEEDaS1K_S1L_EUlS1K_E_NS1_11comp_targetILNS1_3genE4ELNS1_11target_archE910ELNS1_3gpuE8ELNS1_3repE0EEENS1_30default_config_static_selectorELNS0_4arch9wavefront6targetE0EEEvSY_: ; @_ZN7rocprim17ROCPRIM_400000_NS6detail17trampoline_kernelINS0_13select_configILj256ELj13ELNS0_17block_load_methodE3ELS4_3ELS4_3ELNS0_20block_scan_algorithmE0ELj4294967295EEENS1_25partition_config_selectorILNS1_17partition_subalgoE3EjNS0_10empty_typeEbEEZZNS1_14partition_implILS8_3ELb0ES6_jNS0_17counting_iteratorIjlEEPS9_SE_NS0_5tupleIJPjSE_EEENSF_IJSE_SE_EEES9_SG_JZNS1_25segmented_radix_sort_implINS0_14default_configELb1EPKaPaPKlPlN2at6native12_GLOBAL__N_18offset_tEEE10hipError_tPvRmT1_PNSt15iterator_traitsISY_E10value_typeET2_T3_PNSZ_IS14_E10value_typeET4_jRbjT5_S1A_jjP12ihipStream_tbEUljE_EEESV_SW_SX_S14_S18_S1A_T6_T7_T9_mT8_S1C_bDpT10_ENKUlT_T0_E_clISt17integral_constantIbLb0EES1O_IbLb1EEEEDaS1K_S1L_EUlS1K_E_NS1_11comp_targetILNS1_3genE4ELNS1_11target_archE910ELNS1_3gpuE8ELNS1_3repE0EEENS1_30default_config_static_selectorELNS0_4arch9wavefront6targetE0EEEvSY_
; %bb.0:
	.section	.rodata,"a",@progbits
	.p2align	6, 0x0
	.amdhsa_kernel _ZN7rocprim17ROCPRIM_400000_NS6detail17trampoline_kernelINS0_13select_configILj256ELj13ELNS0_17block_load_methodE3ELS4_3ELS4_3ELNS0_20block_scan_algorithmE0ELj4294967295EEENS1_25partition_config_selectorILNS1_17partition_subalgoE3EjNS0_10empty_typeEbEEZZNS1_14partition_implILS8_3ELb0ES6_jNS0_17counting_iteratorIjlEEPS9_SE_NS0_5tupleIJPjSE_EEENSF_IJSE_SE_EEES9_SG_JZNS1_25segmented_radix_sort_implINS0_14default_configELb1EPKaPaPKlPlN2at6native12_GLOBAL__N_18offset_tEEE10hipError_tPvRmT1_PNSt15iterator_traitsISY_E10value_typeET2_T3_PNSZ_IS14_E10value_typeET4_jRbjT5_S1A_jjP12ihipStream_tbEUljE_EEESV_SW_SX_S14_S18_S1A_T6_T7_T9_mT8_S1C_bDpT10_ENKUlT_T0_E_clISt17integral_constantIbLb0EES1O_IbLb1EEEEDaS1K_S1L_EUlS1K_E_NS1_11comp_targetILNS1_3genE4ELNS1_11target_archE910ELNS1_3gpuE8ELNS1_3repE0EEENS1_30default_config_static_selectorELNS0_4arch9wavefront6targetE0EEEvSY_
		.amdhsa_group_segment_fixed_size 0
		.amdhsa_private_segment_fixed_size 0
		.amdhsa_kernarg_size 152
		.amdhsa_user_sgpr_count 6
		.amdhsa_user_sgpr_private_segment_buffer 1
		.amdhsa_user_sgpr_dispatch_ptr 0
		.amdhsa_user_sgpr_queue_ptr 0
		.amdhsa_user_sgpr_kernarg_segment_ptr 1
		.amdhsa_user_sgpr_dispatch_id 0
		.amdhsa_user_sgpr_flat_scratch_init 0
		.amdhsa_user_sgpr_private_segment_size 0
		.amdhsa_wavefront_size32 1
		.amdhsa_uses_dynamic_stack 0
		.amdhsa_system_sgpr_private_segment_wavefront_offset 0
		.amdhsa_system_sgpr_workgroup_id_x 1
		.amdhsa_system_sgpr_workgroup_id_y 0
		.amdhsa_system_sgpr_workgroup_id_z 0
		.amdhsa_system_sgpr_workgroup_info 0
		.amdhsa_system_vgpr_workitem_id 0
		.amdhsa_next_free_vgpr 1
		.amdhsa_next_free_sgpr 1
		.amdhsa_reserve_vcc 0
		.amdhsa_reserve_flat_scratch 0
		.amdhsa_float_round_mode_32 0
		.amdhsa_float_round_mode_16_64 0
		.amdhsa_float_denorm_mode_32 3
		.amdhsa_float_denorm_mode_16_64 3
		.amdhsa_dx10_clamp 1
		.amdhsa_ieee_mode 1
		.amdhsa_fp16_overflow 0
		.amdhsa_workgroup_processor_mode 1
		.amdhsa_memory_ordered 1
		.amdhsa_forward_progress 1
		.amdhsa_shared_vgpr_count 0
		.amdhsa_exception_fp_ieee_invalid_op 0
		.amdhsa_exception_fp_denorm_src 0
		.amdhsa_exception_fp_ieee_div_zero 0
		.amdhsa_exception_fp_ieee_overflow 0
		.amdhsa_exception_fp_ieee_underflow 0
		.amdhsa_exception_fp_ieee_inexact 0
		.amdhsa_exception_int_div_zero 0
	.end_amdhsa_kernel
	.section	.text._ZN7rocprim17ROCPRIM_400000_NS6detail17trampoline_kernelINS0_13select_configILj256ELj13ELNS0_17block_load_methodE3ELS4_3ELS4_3ELNS0_20block_scan_algorithmE0ELj4294967295EEENS1_25partition_config_selectorILNS1_17partition_subalgoE3EjNS0_10empty_typeEbEEZZNS1_14partition_implILS8_3ELb0ES6_jNS0_17counting_iteratorIjlEEPS9_SE_NS0_5tupleIJPjSE_EEENSF_IJSE_SE_EEES9_SG_JZNS1_25segmented_radix_sort_implINS0_14default_configELb1EPKaPaPKlPlN2at6native12_GLOBAL__N_18offset_tEEE10hipError_tPvRmT1_PNSt15iterator_traitsISY_E10value_typeET2_T3_PNSZ_IS14_E10value_typeET4_jRbjT5_S1A_jjP12ihipStream_tbEUljE_EEESV_SW_SX_S14_S18_S1A_T6_T7_T9_mT8_S1C_bDpT10_ENKUlT_T0_E_clISt17integral_constantIbLb0EES1O_IbLb1EEEEDaS1K_S1L_EUlS1K_E_NS1_11comp_targetILNS1_3genE4ELNS1_11target_archE910ELNS1_3gpuE8ELNS1_3repE0EEENS1_30default_config_static_selectorELNS0_4arch9wavefront6targetE0EEEvSY_,"axG",@progbits,_ZN7rocprim17ROCPRIM_400000_NS6detail17trampoline_kernelINS0_13select_configILj256ELj13ELNS0_17block_load_methodE3ELS4_3ELS4_3ELNS0_20block_scan_algorithmE0ELj4294967295EEENS1_25partition_config_selectorILNS1_17partition_subalgoE3EjNS0_10empty_typeEbEEZZNS1_14partition_implILS8_3ELb0ES6_jNS0_17counting_iteratorIjlEEPS9_SE_NS0_5tupleIJPjSE_EEENSF_IJSE_SE_EEES9_SG_JZNS1_25segmented_radix_sort_implINS0_14default_configELb1EPKaPaPKlPlN2at6native12_GLOBAL__N_18offset_tEEE10hipError_tPvRmT1_PNSt15iterator_traitsISY_E10value_typeET2_T3_PNSZ_IS14_E10value_typeET4_jRbjT5_S1A_jjP12ihipStream_tbEUljE_EEESV_SW_SX_S14_S18_S1A_T6_T7_T9_mT8_S1C_bDpT10_ENKUlT_T0_E_clISt17integral_constantIbLb0EES1O_IbLb1EEEEDaS1K_S1L_EUlS1K_E_NS1_11comp_targetILNS1_3genE4ELNS1_11target_archE910ELNS1_3gpuE8ELNS1_3repE0EEENS1_30default_config_static_selectorELNS0_4arch9wavefront6targetE0EEEvSY_,comdat
.Lfunc_end282:
	.size	_ZN7rocprim17ROCPRIM_400000_NS6detail17trampoline_kernelINS0_13select_configILj256ELj13ELNS0_17block_load_methodE3ELS4_3ELS4_3ELNS0_20block_scan_algorithmE0ELj4294967295EEENS1_25partition_config_selectorILNS1_17partition_subalgoE3EjNS0_10empty_typeEbEEZZNS1_14partition_implILS8_3ELb0ES6_jNS0_17counting_iteratorIjlEEPS9_SE_NS0_5tupleIJPjSE_EEENSF_IJSE_SE_EEES9_SG_JZNS1_25segmented_radix_sort_implINS0_14default_configELb1EPKaPaPKlPlN2at6native12_GLOBAL__N_18offset_tEEE10hipError_tPvRmT1_PNSt15iterator_traitsISY_E10value_typeET2_T3_PNSZ_IS14_E10value_typeET4_jRbjT5_S1A_jjP12ihipStream_tbEUljE_EEESV_SW_SX_S14_S18_S1A_T6_T7_T9_mT8_S1C_bDpT10_ENKUlT_T0_E_clISt17integral_constantIbLb0EES1O_IbLb1EEEEDaS1K_S1L_EUlS1K_E_NS1_11comp_targetILNS1_3genE4ELNS1_11target_archE910ELNS1_3gpuE8ELNS1_3repE0EEENS1_30default_config_static_selectorELNS0_4arch9wavefront6targetE0EEEvSY_, .Lfunc_end282-_ZN7rocprim17ROCPRIM_400000_NS6detail17trampoline_kernelINS0_13select_configILj256ELj13ELNS0_17block_load_methodE3ELS4_3ELS4_3ELNS0_20block_scan_algorithmE0ELj4294967295EEENS1_25partition_config_selectorILNS1_17partition_subalgoE3EjNS0_10empty_typeEbEEZZNS1_14partition_implILS8_3ELb0ES6_jNS0_17counting_iteratorIjlEEPS9_SE_NS0_5tupleIJPjSE_EEENSF_IJSE_SE_EEES9_SG_JZNS1_25segmented_radix_sort_implINS0_14default_configELb1EPKaPaPKlPlN2at6native12_GLOBAL__N_18offset_tEEE10hipError_tPvRmT1_PNSt15iterator_traitsISY_E10value_typeET2_T3_PNSZ_IS14_E10value_typeET4_jRbjT5_S1A_jjP12ihipStream_tbEUljE_EEESV_SW_SX_S14_S18_S1A_T6_T7_T9_mT8_S1C_bDpT10_ENKUlT_T0_E_clISt17integral_constantIbLb0EES1O_IbLb1EEEEDaS1K_S1L_EUlS1K_E_NS1_11comp_targetILNS1_3genE4ELNS1_11target_archE910ELNS1_3gpuE8ELNS1_3repE0EEENS1_30default_config_static_selectorELNS0_4arch9wavefront6targetE0EEEvSY_
                                        ; -- End function
	.set _ZN7rocprim17ROCPRIM_400000_NS6detail17trampoline_kernelINS0_13select_configILj256ELj13ELNS0_17block_load_methodE3ELS4_3ELS4_3ELNS0_20block_scan_algorithmE0ELj4294967295EEENS1_25partition_config_selectorILNS1_17partition_subalgoE3EjNS0_10empty_typeEbEEZZNS1_14partition_implILS8_3ELb0ES6_jNS0_17counting_iteratorIjlEEPS9_SE_NS0_5tupleIJPjSE_EEENSF_IJSE_SE_EEES9_SG_JZNS1_25segmented_radix_sort_implINS0_14default_configELb1EPKaPaPKlPlN2at6native12_GLOBAL__N_18offset_tEEE10hipError_tPvRmT1_PNSt15iterator_traitsISY_E10value_typeET2_T3_PNSZ_IS14_E10value_typeET4_jRbjT5_S1A_jjP12ihipStream_tbEUljE_EEESV_SW_SX_S14_S18_S1A_T6_T7_T9_mT8_S1C_bDpT10_ENKUlT_T0_E_clISt17integral_constantIbLb0EES1O_IbLb1EEEEDaS1K_S1L_EUlS1K_E_NS1_11comp_targetILNS1_3genE4ELNS1_11target_archE910ELNS1_3gpuE8ELNS1_3repE0EEENS1_30default_config_static_selectorELNS0_4arch9wavefront6targetE0EEEvSY_.num_vgpr, 0
	.set _ZN7rocprim17ROCPRIM_400000_NS6detail17trampoline_kernelINS0_13select_configILj256ELj13ELNS0_17block_load_methodE3ELS4_3ELS4_3ELNS0_20block_scan_algorithmE0ELj4294967295EEENS1_25partition_config_selectorILNS1_17partition_subalgoE3EjNS0_10empty_typeEbEEZZNS1_14partition_implILS8_3ELb0ES6_jNS0_17counting_iteratorIjlEEPS9_SE_NS0_5tupleIJPjSE_EEENSF_IJSE_SE_EEES9_SG_JZNS1_25segmented_radix_sort_implINS0_14default_configELb1EPKaPaPKlPlN2at6native12_GLOBAL__N_18offset_tEEE10hipError_tPvRmT1_PNSt15iterator_traitsISY_E10value_typeET2_T3_PNSZ_IS14_E10value_typeET4_jRbjT5_S1A_jjP12ihipStream_tbEUljE_EEESV_SW_SX_S14_S18_S1A_T6_T7_T9_mT8_S1C_bDpT10_ENKUlT_T0_E_clISt17integral_constantIbLb0EES1O_IbLb1EEEEDaS1K_S1L_EUlS1K_E_NS1_11comp_targetILNS1_3genE4ELNS1_11target_archE910ELNS1_3gpuE8ELNS1_3repE0EEENS1_30default_config_static_selectorELNS0_4arch9wavefront6targetE0EEEvSY_.num_agpr, 0
	.set _ZN7rocprim17ROCPRIM_400000_NS6detail17trampoline_kernelINS0_13select_configILj256ELj13ELNS0_17block_load_methodE3ELS4_3ELS4_3ELNS0_20block_scan_algorithmE0ELj4294967295EEENS1_25partition_config_selectorILNS1_17partition_subalgoE3EjNS0_10empty_typeEbEEZZNS1_14partition_implILS8_3ELb0ES6_jNS0_17counting_iteratorIjlEEPS9_SE_NS0_5tupleIJPjSE_EEENSF_IJSE_SE_EEES9_SG_JZNS1_25segmented_radix_sort_implINS0_14default_configELb1EPKaPaPKlPlN2at6native12_GLOBAL__N_18offset_tEEE10hipError_tPvRmT1_PNSt15iterator_traitsISY_E10value_typeET2_T3_PNSZ_IS14_E10value_typeET4_jRbjT5_S1A_jjP12ihipStream_tbEUljE_EEESV_SW_SX_S14_S18_S1A_T6_T7_T9_mT8_S1C_bDpT10_ENKUlT_T0_E_clISt17integral_constantIbLb0EES1O_IbLb1EEEEDaS1K_S1L_EUlS1K_E_NS1_11comp_targetILNS1_3genE4ELNS1_11target_archE910ELNS1_3gpuE8ELNS1_3repE0EEENS1_30default_config_static_selectorELNS0_4arch9wavefront6targetE0EEEvSY_.numbered_sgpr, 0
	.set _ZN7rocprim17ROCPRIM_400000_NS6detail17trampoline_kernelINS0_13select_configILj256ELj13ELNS0_17block_load_methodE3ELS4_3ELS4_3ELNS0_20block_scan_algorithmE0ELj4294967295EEENS1_25partition_config_selectorILNS1_17partition_subalgoE3EjNS0_10empty_typeEbEEZZNS1_14partition_implILS8_3ELb0ES6_jNS0_17counting_iteratorIjlEEPS9_SE_NS0_5tupleIJPjSE_EEENSF_IJSE_SE_EEES9_SG_JZNS1_25segmented_radix_sort_implINS0_14default_configELb1EPKaPaPKlPlN2at6native12_GLOBAL__N_18offset_tEEE10hipError_tPvRmT1_PNSt15iterator_traitsISY_E10value_typeET2_T3_PNSZ_IS14_E10value_typeET4_jRbjT5_S1A_jjP12ihipStream_tbEUljE_EEESV_SW_SX_S14_S18_S1A_T6_T7_T9_mT8_S1C_bDpT10_ENKUlT_T0_E_clISt17integral_constantIbLb0EES1O_IbLb1EEEEDaS1K_S1L_EUlS1K_E_NS1_11comp_targetILNS1_3genE4ELNS1_11target_archE910ELNS1_3gpuE8ELNS1_3repE0EEENS1_30default_config_static_selectorELNS0_4arch9wavefront6targetE0EEEvSY_.num_named_barrier, 0
	.set _ZN7rocprim17ROCPRIM_400000_NS6detail17trampoline_kernelINS0_13select_configILj256ELj13ELNS0_17block_load_methodE3ELS4_3ELS4_3ELNS0_20block_scan_algorithmE0ELj4294967295EEENS1_25partition_config_selectorILNS1_17partition_subalgoE3EjNS0_10empty_typeEbEEZZNS1_14partition_implILS8_3ELb0ES6_jNS0_17counting_iteratorIjlEEPS9_SE_NS0_5tupleIJPjSE_EEENSF_IJSE_SE_EEES9_SG_JZNS1_25segmented_radix_sort_implINS0_14default_configELb1EPKaPaPKlPlN2at6native12_GLOBAL__N_18offset_tEEE10hipError_tPvRmT1_PNSt15iterator_traitsISY_E10value_typeET2_T3_PNSZ_IS14_E10value_typeET4_jRbjT5_S1A_jjP12ihipStream_tbEUljE_EEESV_SW_SX_S14_S18_S1A_T6_T7_T9_mT8_S1C_bDpT10_ENKUlT_T0_E_clISt17integral_constantIbLb0EES1O_IbLb1EEEEDaS1K_S1L_EUlS1K_E_NS1_11comp_targetILNS1_3genE4ELNS1_11target_archE910ELNS1_3gpuE8ELNS1_3repE0EEENS1_30default_config_static_selectorELNS0_4arch9wavefront6targetE0EEEvSY_.private_seg_size, 0
	.set _ZN7rocprim17ROCPRIM_400000_NS6detail17trampoline_kernelINS0_13select_configILj256ELj13ELNS0_17block_load_methodE3ELS4_3ELS4_3ELNS0_20block_scan_algorithmE0ELj4294967295EEENS1_25partition_config_selectorILNS1_17partition_subalgoE3EjNS0_10empty_typeEbEEZZNS1_14partition_implILS8_3ELb0ES6_jNS0_17counting_iteratorIjlEEPS9_SE_NS0_5tupleIJPjSE_EEENSF_IJSE_SE_EEES9_SG_JZNS1_25segmented_radix_sort_implINS0_14default_configELb1EPKaPaPKlPlN2at6native12_GLOBAL__N_18offset_tEEE10hipError_tPvRmT1_PNSt15iterator_traitsISY_E10value_typeET2_T3_PNSZ_IS14_E10value_typeET4_jRbjT5_S1A_jjP12ihipStream_tbEUljE_EEESV_SW_SX_S14_S18_S1A_T6_T7_T9_mT8_S1C_bDpT10_ENKUlT_T0_E_clISt17integral_constantIbLb0EES1O_IbLb1EEEEDaS1K_S1L_EUlS1K_E_NS1_11comp_targetILNS1_3genE4ELNS1_11target_archE910ELNS1_3gpuE8ELNS1_3repE0EEENS1_30default_config_static_selectorELNS0_4arch9wavefront6targetE0EEEvSY_.uses_vcc, 0
	.set _ZN7rocprim17ROCPRIM_400000_NS6detail17trampoline_kernelINS0_13select_configILj256ELj13ELNS0_17block_load_methodE3ELS4_3ELS4_3ELNS0_20block_scan_algorithmE0ELj4294967295EEENS1_25partition_config_selectorILNS1_17partition_subalgoE3EjNS0_10empty_typeEbEEZZNS1_14partition_implILS8_3ELb0ES6_jNS0_17counting_iteratorIjlEEPS9_SE_NS0_5tupleIJPjSE_EEENSF_IJSE_SE_EEES9_SG_JZNS1_25segmented_radix_sort_implINS0_14default_configELb1EPKaPaPKlPlN2at6native12_GLOBAL__N_18offset_tEEE10hipError_tPvRmT1_PNSt15iterator_traitsISY_E10value_typeET2_T3_PNSZ_IS14_E10value_typeET4_jRbjT5_S1A_jjP12ihipStream_tbEUljE_EEESV_SW_SX_S14_S18_S1A_T6_T7_T9_mT8_S1C_bDpT10_ENKUlT_T0_E_clISt17integral_constantIbLb0EES1O_IbLb1EEEEDaS1K_S1L_EUlS1K_E_NS1_11comp_targetILNS1_3genE4ELNS1_11target_archE910ELNS1_3gpuE8ELNS1_3repE0EEENS1_30default_config_static_selectorELNS0_4arch9wavefront6targetE0EEEvSY_.uses_flat_scratch, 0
	.set _ZN7rocprim17ROCPRIM_400000_NS6detail17trampoline_kernelINS0_13select_configILj256ELj13ELNS0_17block_load_methodE3ELS4_3ELS4_3ELNS0_20block_scan_algorithmE0ELj4294967295EEENS1_25partition_config_selectorILNS1_17partition_subalgoE3EjNS0_10empty_typeEbEEZZNS1_14partition_implILS8_3ELb0ES6_jNS0_17counting_iteratorIjlEEPS9_SE_NS0_5tupleIJPjSE_EEENSF_IJSE_SE_EEES9_SG_JZNS1_25segmented_radix_sort_implINS0_14default_configELb1EPKaPaPKlPlN2at6native12_GLOBAL__N_18offset_tEEE10hipError_tPvRmT1_PNSt15iterator_traitsISY_E10value_typeET2_T3_PNSZ_IS14_E10value_typeET4_jRbjT5_S1A_jjP12ihipStream_tbEUljE_EEESV_SW_SX_S14_S18_S1A_T6_T7_T9_mT8_S1C_bDpT10_ENKUlT_T0_E_clISt17integral_constantIbLb0EES1O_IbLb1EEEEDaS1K_S1L_EUlS1K_E_NS1_11comp_targetILNS1_3genE4ELNS1_11target_archE910ELNS1_3gpuE8ELNS1_3repE0EEENS1_30default_config_static_selectorELNS0_4arch9wavefront6targetE0EEEvSY_.has_dyn_sized_stack, 0
	.set _ZN7rocprim17ROCPRIM_400000_NS6detail17trampoline_kernelINS0_13select_configILj256ELj13ELNS0_17block_load_methodE3ELS4_3ELS4_3ELNS0_20block_scan_algorithmE0ELj4294967295EEENS1_25partition_config_selectorILNS1_17partition_subalgoE3EjNS0_10empty_typeEbEEZZNS1_14partition_implILS8_3ELb0ES6_jNS0_17counting_iteratorIjlEEPS9_SE_NS0_5tupleIJPjSE_EEENSF_IJSE_SE_EEES9_SG_JZNS1_25segmented_radix_sort_implINS0_14default_configELb1EPKaPaPKlPlN2at6native12_GLOBAL__N_18offset_tEEE10hipError_tPvRmT1_PNSt15iterator_traitsISY_E10value_typeET2_T3_PNSZ_IS14_E10value_typeET4_jRbjT5_S1A_jjP12ihipStream_tbEUljE_EEESV_SW_SX_S14_S18_S1A_T6_T7_T9_mT8_S1C_bDpT10_ENKUlT_T0_E_clISt17integral_constantIbLb0EES1O_IbLb1EEEEDaS1K_S1L_EUlS1K_E_NS1_11comp_targetILNS1_3genE4ELNS1_11target_archE910ELNS1_3gpuE8ELNS1_3repE0EEENS1_30default_config_static_selectorELNS0_4arch9wavefront6targetE0EEEvSY_.has_recursion, 0
	.set _ZN7rocprim17ROCPRIM_400000_NS6detail17trampoline_kernelINS0_13select_configILj256ELj13ELNS0_17block_load_methodE3ELS4_3ELS4_3ELNS0_20block_scan_algorithmE0ELj4294967295EEENS1_25partition_config_selectorILNS1_17partition_subalgoE3EjNS0_10empty_typeEbEEZZNS1_14partition_implILS8_3ELb0ES6_jNS0_17counting_iteratorIjlEEPS9_SE_NS0_5tupleIJPjSE_EEENSF_IJSE_SE_EEES9_SG_JZNS1_25segmented_radix_sort_implINS0_14default_configELb1EPKaPaPKlPlN2at6native12_GLOBAL__N_18offset_tEEE10hipError_tPvRmT1_PNSt15iterator_traitsISY_E10value_typeET2_T3_PNSZ_IS14_E10value_typeET4_jRbjT5_S1A_jjP12ihipStream_tbEUljE_EEESV_SW_SX_S14_S18_S1A_T6_T7_T9_mT8_S1C_bDpT10_ENKUlT_T0_E_clISt17integral_constantIbLb0EES1O_IbLb1EEEEDaS1K_S1L_EUlS1K_E_NS1_11comp_targetILNS1_3genE4ELNS1_11target_archE910ELNS1_3gpuE8ELNS1_3repE0EEENS1_30default_config_static_selectorELNS0_4arch9wavefront6targetE0EEEvSY_.has_indirect_call, 0
	.section	.AMDGPU.csdata,"",@progbits
; Kernel info:
; codeLenInByte = 0
; TotalNumSgprs: 0
; NumVgprs: 0
; ScratchSize: 0
; MemoryBound: 0
; FloatMode: 240
; IeeeMode: 1
; LDSByteSize: 0 bytes/workgroup (compile time only)
; SGPRBlocks: 0
; VGPRBlocks: 0
; NumSGPRsForWavesPerEU: 1
; NumVGPRsForWavesPerEU: 1
; Occupancy: 16
; WaveLimiterHint : 0
; COMPUTE_PGM_RSRC2:SCRATCH_EN: 0
; COMPUTE_PGM_RSRC2:USER_SGPR: 6
; COMPUTE_PGM_RSRC2:TRAP_HANDLER: 0
; COMPUTE_PGM_RSRC2:TGID_X_EN: 1
; COMPUTE_PGM_RSRC2:TGID_Y_EN: 0
; COMPUTE_PGM_RSRC2:TGID_Z_EN: 0
; COMPUTE_PGM_RSRC2:TIDIG_COMP_CNT: 0
	.section	.text._ZN7rocprim17ROCPRIM_400000_NS6detail17trampoline_kernelINS0_13select_configILj256ELj13ELNS0_17block_load_methodE3ELS4_3ELS4_3ELNS0_20block_scan_algorithmE0ELj4294967295EEENS1_25partition_config_selectorILNS1_17partition_subalgoE3EjNS0_10empty_typeEbEEZZNS1_14partition_implILS8_3ELb0ES6_jNS0_17counting_iteratorIjlEEPS9_SE_NS0_5tupleIJPjSE_EEENSF_IJSE_SE_EEES9_SG_JZNS1_25segmented_radix_sort_implINS0_14default_configELb1EPKaPaPKlPlN2at6native12_GLOBAL__N_18offset_tEEE10hipError_tPvRmT1_PNSt15iterator_traitsISY_E10value_typeET2_T3_PNSZ_IS14_E10value_typeET4_jRbjT5_S1A_jjP12ihipStream_tbEUljE_EEESV_SW_SX_S14_S18_S1A_T6_T7_T9_mT8_S1C_bDpT10_ENKUlT_T0_E_clISt17integral_constantIbLb0EES1O_IbLb1EEEEDaS1K_S1L_EUlS1K_E_NS1_11comp_targetILNS1_3genE3ELNS1_11target_archE908ELNS1_3gpuE7ELNS1_3repE0EEENS1_30default_config_static_selectorELNS0_4arch9wavefront6targetE0EEEvSY_,"axG",@progbits,_ZN7rocprim17ROCPRIM_400000_NS6detail17trampoline_kernelINS0_13select_configILj256ELj13ELNS0_17block_load_methodE3ELS4_3ELS4_3ELNS0_20block_scan_algorithmE0ELj4294967295EEENS1_25partition_config_selectorILNS1_17partition_subalgoE3EjNS0_10empty_typeEbEEZZNS1_14partition_implILS8_3ELb0ES6_jNS0_17counting_iteratorIjlEEPS9_SE_NS0_5tupleIJPjSE_EEENSF_IJSE_SE_EEES9_SG_JZNS1_25segmented_radix_sort_implINS0_14default_configELb1EPKaPaPKlPlN2at6native12_GLOBAL__N_18offset_tEEE10hipError_tPvRmT1_PNSt15iterator_traitsISY_E10value_typeET2_T3_PNSZ_IS14_E10value_typeET4_jRbjT5_S1A_jjP12ihipStream_tbEUljE_EEESV_SW_SX_S14_S18_S1A_T6_T7_T9_mT8_S1C_bDpT10_ENKUlT_T0_E_clISt17integral_constantIbLb0EES1O_IbLb1EEEEDaS1K_S1L_EUlS1K_E_NS1_11comp_targetILNS1_3genE3ELNS1_11target_archE908ELNS1_3gpuE7ELNS1_3repE0EEENS1_30default_config_static_selectorELNS0_4arch9wavefront6targetE0EEEvSY_,comdat
	.globl	_ZN7rocprim17ROCPRIM_400000_NS6detail17trampoline_kernelINS0_13select_configILj256ELj13ELNS0_17block_load_methodE3ELS4_3ELS4_3ELNS0_20block_scan_algorithmE0ELj4294967295EEENS1_25partition_config_selectorILNS1_17partition_subalgoE3EjNS0_10empty_typeEbEEZZNS1_14partition_implILS8_3ELb0ES6_jNS0_17counting_iteratorIjlEEPS9_SE_NS0_5tupleIJPjSE_EEENSF_IJSE_SE_EEES9_SG_JZNS1_25segmented_radix_sort_implINS0_14default_configELb1EPKaPaPKlPlN2at6native12_GLOBAL__N_18offset_tEEE10hipError_tPvRmT1_PNSt15iterator_traitsISY_E10value_typeET2_T3_PNSZ_IS14_E10value_typeET4_jRbjT5_S1A_jjP12ihipStream_tbEUljE_EEESV_SW_SX_S14_S18_S1A_T6_T7_T9_mT8_S1C_bDpT10_ENKUlT_T0_E_clISt17integral_constantIbLb0EES1O_IbLb1EEEEDaS1K_S1L_EUlS1K_E_NS1_11comp_targetILNS1_3genE3ELNS1_11target_archE908ELNS1_3gpuE7ELNS1_3repE0EEENS1_30default_config_static_selectorELNS0_4arch9wavefront6targetE0EEEvSY_ ; -- Begin function _ZN7rocprim17ROCPRIM_400000_NS6detail17trampoline_kernelINS0_13select_configILj256ELj13ELNS0_17block_load_methodE3ELS4_3ELS4_3ELNS0_20block_scan_algorithmE0ELj4294967295EEENS1_25partition_config_selectorILNS1_17partition_subalgoE3EjNS0_10empty_typeEbEEZZNS1_14partition_implILS8_3ELb0ES6_jNS0_17counting_iteratorIjlEEPS9_SE_NS0_5tupleIJPjSE_EEENSF_IJSE_SE_EEES9_SG_JZNS1_25segmented_radix_sort_implINS0_14default_configELb1EPKaPaPKlPlN2at6native12_GLOBAL__N_18offset_tEEE10hipError_tPvRmT1_PNSt15iterator_traitsISY_E10value_typeET2_T3_PNSZ_IS14_E10value_typeET4_jRbjT5_S1A_jjP12ihipStream_tbEUljE_EEESV_SW_SX_S14_S18_S1A_T6_T7_T9_mT8_S1C_bDpT10_ENKUlT_T0_E_clISt17integral_constantIbLb0EES1O_IbLb1EEEEDaS1K_S1L_EUlS1K_E_NS1_11comp_targetILNS1_3genE3ELNS1_11target_archE908ELNS1_3gpuE7ELNS1_3repE0EEENS1_30default_config_static_selectorELNS0_4arch9wavefront6targetE0EEEvSY_
	.p2align	8
	.type	_ZN7rocprim17ROCPRIM_400000_NS6detail17trampoline_kernelINS0_13select_configILj256ELj13ELNS0_17block_load_methodE3ELS4_3ELS4_3ELNS0_20block_scan_algorithmE0ELj4294967295EEENS1_25partition_config_selectorILNS1_17partition_subalgoE3EjNS0_10empty_typeEbEEZZNS1_14partition_implILS8_3ELb0ES6_jNS0_17counting_iteratorIjlEEPS9_SE_NS0_5tupleIJPjSE_EEENSF_IJSE_SE_EEES9_SG_JZNS1_25segmented_radix_sort_implINS0_14default_configELb1EPKaPaPKlPlN2at6native12_GLOBAL__N_18offset_tEEE10hipError_tPvRmT1_PNSt15iterator_traitsISY_E10value_typeET2_T3_PNSZ_IS14_E10value_typeET4_jRbjT5_S1A_jjP12ihipStream_tbEUljE_EEESV_SW_SX_S14_S18_S1A_T6_T7_T9_mT8_S1C_bDpT10_ENKUlT_T0_E_clISt17integral_constantIbLb0EES1O_IbLb1EEEEDaS1K_S1L_EUlS1K_E_NS1_11comp_targetILNS1_3genE3ELNS1_11target_archE908ELNS1_3gpuE7ELNS1_3repE0EEENS1_30default_config_static_selectorELNS0_4arch9wavefront6targetE0EEEvSY_,@function
_ZN7rocprim17ROCPRIM_400000_NS6detail17trampoline_kernelINS0_13select_configILj256ELj13ELNS0_17block_load_methodE3ELS4_3ELS4_3ELNS0_20block_scan_algorithmE0ELj4294967295EEENS1_25partition_config_selectorILNS1_17partition_subalgoE3EjNS0_10empty_typeEbEEZZNS1_14partition_implILS8_3ELb0ES6_jNS0_17counting_iteratorIjlEEPS9_SE_NS0_5tupleIJPjSE_EEENSF_IJSE_SE_EEES9_SG_JZNS1_25segmented_radix_sort_implINS0_14default_configELb1EPKaPaPKlPlN2at6native12_GLOBAL__N_18offset_tEEE10hipError_tPvRmT1_PNSt15iterator_traitsISY_E10value_typeET2_T3_PNSZ_IS14_E10value_typeET4_jRbjT5_S1A_jjP12ihipStream_tbEUljE_EEESV_SW_SX_S14_S18_S1A_T6_T7_T9_mT8_S1C_bDpT10_ENKUlT_T0_E_clISt17integral_constantIbLb0EES1O_IbLb1EEEEDaS1K_S1L_EUlS1K_E_NS1_11comp_targetILNS1_3genE3ELNS1_11target_archE908ELNS1_3gpuE7ELNS1_3repE0EEENS1_30default_config_static_selectorELNS0_4arch9wavefront6targetE0EEEvSY_: ; @_ZN7rocprim17ROCPRIM_400000_NS6detail17trampoline_kernelINS0_13select_configILj256ELj13ELNS0_17block_load_methodE3ELS4_3ELS4_3ELNS0_20block_scan_algorithmE0ELj4294967295EEENS1_25partition_config_selectorILNS1_17partition_subalgoE3EjNS0_10empty_typeEbEEZZNS1_14partition_implILS8_3ELb0ES6_jNS0_17counting_iteratorIjlEEPS9_SE_NS0_5tupleIJPjSE_EEENSF_IJSE_SE_EEES9_SG_JZNS1_25segmented_radix_sort_implINS0_14default_configELb1EPKaPaPKlPlN2at6native12_GLOBAL__N_18offset_tEEE10hipError_tPvRmT1_PNSt15iterator_traitsISY_E10value_typeET2_T3_PNSZ_IS14_E10value_typeET4_jRbjT5_S1A_jjP12ihipStream_tbEUljE_EEESV_SW_SX_S14_S18_S1A_T6_T7_T9_mT8_S1C_bDpT10_ENKUlT_T0_E_clISt17integral_constantIbLb0EES1O_IbLb1EEEEDaS1K_S1L_EUlS1K_E_NS1_11comp_targetILNS1_3genE3ELNS1_11target_archE908ELNS1_3gpuE7ELNS1_3repE0EEENS1_30default_config_static_selectorELNS0_4arch9wavefront6targetE0EEEvSY_
; %bb.0:
	.section	.rodata,"a",@progbits
	.p2align	6, 0x0
	.amdhsa_kernel _ZN7rocprim17ROCPRIM_400000_NS6detail17trampoline_kernelINS0_13select_configILj256ELj13ELNS0_17block_load_methodE3ELS4_3ELS4_3ELNS0_20block_scan_algorithmE0ELj4294967295EEENS1_25partition_config_selectorILNS1_17partition_subalgoE3EjNS0_10empty_typeEbEEZZNS1_14partition_implILS8_3ELb0ES6_jNS0_17counting_iteratorIjlEEPS9_SE_NS0_5tupleIJPjSE_EEENSF_IJSE_SE_EEES9_SG_JZNS1_25segmented_radix_sort_implINS0_14default_configELb1EPKaPaPKlPlN2at6native12_GLOBAL__N_18offset_tEEE10hipError_tPvRmT1_PNSt15iterator_traitsISY_E10value_typeET2_T3_PNSZ_IS14_E10value_typeET4_jRbjT5_S1A_jjP12ihipStream_tbEUljE_EEESV_SW_SX_S14_S18_S1A_T6_T7_T9_mT8_S1C_bDpT10_ENKUlT_T0_E_clISt17integral_constantIbLb0EES1O_IbLb1EEEEDaS1K_S1L_EUlS1K_E_NS1_11comp_targetILNS1_3genE3ELNS1_11target_archE908ELNS1_3gpuE7ELNS1_3repE0EEENS1_30default_config_static_selectorELNS0_4arch9wavefront6targetE0EEEvSY_
		.amdhsa_group_segment_fixed_size 0
		.amdhsa_private_segment_fixed_size 0
		.amdhsa_kernarg_size 152
		.amdhsa_user_sgpr_count 6
		.amdhsa_user_sgpr_private_segment_buffer 1
		.amdhsa_user_sgpr_dispatch_ptr 0
		.amdhsa_user_sgpr_queue_ptr 0
		.amdhsa_user_sgpr_kernarg_segment_ptr 1
		.amdhsa_user_sgpr_dispatch_id 0
		.amdhsa_user_sgpr_flat_scratch_init 0
		.amdhsa_user_sgpr_private_segment_size 0
		.amdhsa_wavefront_size32 1
		.amdhsa_uses_dynamic_stack 0
		.amdhsa_system_sgpr_private_segment_wavefront_offset 0
		.amdhsa_system_sgpr_workgroup_id_x 1
		.amdhsa_system_sgpr_workgroup_id_y 0
		.amdhsa_system_sgpr_workgroup_id_z 0
		.amdhsa_system_sgpr_workgroup_info 0
		.amdhsa_system_vgpr_workitem_id 0
		.amdhsa_next_free_vgpr 1
		.amdhsa_next_free_sgpr 1
		.amdhsa_reserve_vcc 0
		.amdhsa_reserve_flat_scratch 0
		.amdhsa_float_round_mode_32 0
		.amdhsa_float_round_mode_16_64 0
		.amdhsa_float_denorm_mode_32 3
		.amdhsa_float_denorm_mode_16_64 3
		.amdhsa_dx10_clamp 1
		.amdhsa_ieee_mode 1
		.amdhsa_fp16_overflow 0
		.amdhsa_workgroup_processor_mode 1
		.amdhsa_memory_ordered 1
		.amdhsa_forward_progress 1
		.amdhsa_shared_vgpr_count 0
		.amdhsa_exception_fp_ieee_invalid_op 0
		.amdhsa_exception_fp_denorm_src 0
		.amdhsa_exception_fp_ieee_div_zero 0
		.amdhsa_exception_fp_ieee_overflow 0
		.amdhsa_exception_fp_ieee_underflow 0
		.amdhsa_exception_fp_ieee_inexact 0
		.amdhsa_exception_int_div_zero 0
	.end_amdhsa_kernel
	.section	.text._ZN7rocprim17ROCPRIM_400000_NS6detail17trampoline_kernelINS0_13select_configILj256ELj13ELNS0_17block_load_methodE3ELS4_3ELS4_3ELNS0_20block_scan_algorithmE0ELj4294967295EEENS1_25partition_config_selectorILNS1_17partition_subalgoE3EjNS0_10empty_typeEbEEZZNS1_14partition_implILS8_3ELb0ES6_jNS0_17counting_iteratorIjlEEPS9_SE_NS0_5tupleIJPjSE_EEENSF_IJSE_SE_EEES9_SG_JZNS1_25segmented_radix_sort_implINS0_14default_configELb1EPKaPaPKlPlN2at6native12_GLOBAL__N_18offset_tEEE10hipError_tPvRmT1_PNSt15iterator_traitsISY_E10value_typeET2_T3_PNSZ_IS14_E10value_typeET4_jRbjT5_S1A_jjP12ihipStream_tbEUljE_EEESV_SW_SX_S14_S18_S1A_T6_T7_T9_mT8_S1C_bDpT10_ENKUlT_T0_E_clISt17integral_constantIbLb0EES1O_IbLb1EEEEDaS1K_S1L_EUlS1K_E_NS1_11comp_targetILNS1_3genE3ELNS1_11target_archE908ELNS1_3gpuE7ELNS1_3repE0EEENS1_30default_config_static_selectorELNS0_4arch9wavefront6targetE0EEEvSY_,"axG",@progbits,_ZN7rocprim17ROCPRIM_400000_NS6detail17trampoline_kernelINS0_13select_configILj256ELj13ELNS0_17block_load_methodE3ELS4_3ELS4_3ELNS0_20block_scan_algorithmE0ELj4294967295EEENS1_25partition_config_selectorILNS1_17partition_subalgoE3EjNS0_10empty_typeEbEEZZNS1_14partition_implILS8_3ELb0ES6_jNS0_17counting_iteratorIjlEEPS9_SE_NS0_5tupleIJPjSE_EEENSF_IJSE_SE_EEES9_SG_JZNS1_25segmented_radix_sort_implINS0_14default_configELb1EPKaPaPKlPlN2at6native12_GLOBAL__N_18offset_tEEE10hipError_tPvRmT1_PNSt15iterator_traitsISY_E10value_typeET2_T3_PNSZ_IS14_E10value_typeET4_jRbjT5_S1A_jjP12ihipStream_tbEUljE_EEESV_SW_SX_S14_S18_S1A_T6_T7_T9_mT8_S1C_bDpT10_ENKUlT_T0_E_clISt17integral_constantIbLb0EES1O_IbLb1EEEEDaS1K_S1L_EUlS1K_E_NS1_11comp_targetILNS1_3genE3ELNS1_11target_archE908ELNS1_3gpuE7ELNS1_3repE0EEENS1_30default_config_static_selectorELNS0_4arch9wavefront6targetE0EEEvSY_,comdat
.Lfunc_end283:
	.size	_ZN7rocprim17ROCPRIM_400000_NS6detail17trampoline_kernelINS0_13select_configILj256ELj13ELNS0_17block_load_methodE3ELS4_3ELS4_3ELNS0_20block_scan_algorithmE0ELj4294967295EEENS1_25partition_config_selectorILNS1_17partition_subalgoE3EjNS0_10empty_typeEbEEZZNS1_14partition_implILS8_3ELb0ES6_jNS0_17counting_iteratorIjlEEPS9_SE_NS0_5tupleIJPjSE_EEENSF_IJSE_SE_EEES9_SG_JZNS1_25segmented_radix_sort_implINS0_14default_configELb1EPKaPaPKlPlN2at6native12_GLOBAL__N_18offset_tEEE10hipError_tPvRmT1_PNSt15iterator_traitsISY_E10value_typeET2_T3_PNSZ_IS14_E10value_typeET4_jRbjT5_S1A_jjP12ihipStream_tbEUljE_EEESV_SW_SX_S14_S18_S1A_T6_T7_T9_mT8_S1C_bDpT10_ENKUlT_T0_E_clISt17integral_constantIbLb0EES1O_IbLb1EEEEDaS1K_S1L_EUlS1K_E_NS1_11comp_targetILNS1_3genE3ELNS1_11target_archE908ELNS1_3gpuE7ELNS1_3repE0EEENS1_30default_config_static_selectorELNS0_4arch9wavefront6targetE0EEEvSY_, .Lfunc_end283-_ZN7rocprim17ROCPRIM_400000_NS6detail17trampoline_kernelINS0_13select_configILj256ELj13ELNS0_17block_load_methodE3ELS4_3ELS4_3ELNS0_20block_scan_algorithmE0ELj4294967295EEENS1_25partition_config_selectorILNS1_17partition_subalgoE3EjNS0_10empty_typeEbEEZZNS1_14partition_implILS8_3ELb0ES6_jNS0_17counting_iteratorIjlEEPS9_SE_NS0_5tupleIJPjSE_EEENSF_IJSE_SE_EEES9_SG_JZNS1_25segmented_radix_sort_implINS0_14default_configELb1EPKaPaPKlPlN2at6native12_GLOBAL__N_18offset_tEEE10hipError_tPvRmT1_PNSt15iterator_traitsISY_E10value_typeET2_T3_PNSZ_IS14_E10value_typeET4_jRbjT5_S1A_jjP12ihipStream_tbEUljE_EEESV_SW_SX_S14_S18_S1A_T6_T7_T9_mT8_S1C_bDpT10_ENKUlT_T0_E_clISt17integral_constantIbLb0EES1O_IbLb1EEEEDaS1K_S1L_EUlS1K_E_NS1_11comp_targetILNS1_3genE3ELNS1_11target_archE908ELNS1_3gpuE7ELNS1_3repE0EEENS1_30default_config_static_selectorELNS0_4arch9wavefront6targetE0EEEvSY_
                                        ; -- End function
	.set _ZN7rocprim17ROCPRIM_400000_NS6detail17trampoline_kernelINS0_13select_configILj256ELj13ELNS0_17block_load_methodE3ELS4_3ELS4_3ELNS0_20block_scan_algorithmE0ELj4294967295EEENS1_25partition_config_selectorILNS1_17partition_subalgoE3EjNS0_10empty_typeEbEEZZNS1_14partition_implILS8_3ELb0ES6_jNS0_17counting_iteratorIjlEEPS9_SE_NS0_5tupleIJPjSE_EEENSF_IJSE_SE_EEES9_SG_JZNS1_25segmented_radix_sort_implINS0_14default_configELb1EPKaPaPKlPlN2at6native12_GLOBAL__N_18offset_tEEE10hipError_tPvRmT1_PNSt15iterator_traitsISY_E10value_typeET2_T3_PNSZ_IS14_E10value_typeET4_jRbjT5_S1A_jjP12ihipStream_tbEUljE_EEESV_SW_SX_S14_S18_S1A_T6_T7_T9_mT8_S1C_bDpT10_ENKUlT_T0_E_clISt17integral_constantIbLb0EES1O_IbLb1EEEEDaS1K_S1L_EUlS1K_E_NS1_11comp_targetILNS1_3genE3ELNS1_11target_archE908ELNS1_3gpuE7ELNS1_3repE0EEENS1_30default_config_static_selectorELNS0_4arch9wavefront6targetE0EEEvSY_.num_vgpr, 0
	.set _ZN7rocprim17ROCPRIM_400000_NS6detail17trampoline_kernelINS0_13select_configILj256ELj13ELNS0_17block_load_methodE3ELS4_3ELS4_3ELNS0_20block_scan_algorithmE0ELj4294967295EEENS1_25partition_config_selectorILNS1_17partition_subalgoE3EjNS0_10empty_typeEbEEZZNS1_14partition_implILS8_3ELb0ES6_jNS0_17counting_iteratorIjlEEPS9_SE_NS0_5tupleIJPjSE_EEENSF_IJSE_SE_EEES9_SG_JZNS1_25segmented_radix_sort_implINS0_14default_configELb1EPKaPaPKlPlN2at6native12_GLOBAL__N_18offset_tEEE10hipError_tPvRmT1_PNSt15iterator_traitsISY_E10value_typeET2_T3_PNSZ_IS14_E10value_typeET4_jRbjT5_S1A_jjP12ihipStream_tbEUljE_EEESV_SW_SX_S14_S18_S1A_T6_T7_T9_mT8_S1C_bDpT10_ENKUlT_T0_E_clISt17integral_constantIbLb0EES1O_IbLb1EEEEDaS1K_S1L_EUlS1K_E_NS1_11comp_targetILNS1_3genE3ELNS1_11target_archE908ELNS1_3gpuE7ELNS1_3repE0EEENS1_30default_config_static_selectorELNS0_4arch9wavefront6targetE0EEEvSY_.num_agpr, 0
	.set _ZN7rocprim17ROCPRIM_400000_NS6detail17trampoline_kernelINS0_13select_configILj256ELj13ELNS0_17block_load_methodE3ELS4_3ELS4_3ELNS0_20block_scan_algorithmE0ELj4294967295EEENS1_25partition_config_selectorILNS1_17partition_subalgoE3EjNS0_10empty_typeEbEEZZNS1_14partition_implILS8_3ELb0ES6_jNS0_17counting_iteratorIjlEEPS9_SE_NS0_5tupleIJPjSE_EEENSF_IJSE_SE_EEES9_SG_JZNS1_25segmented_radix_sort_implINS0_14default_configELb1EPKaPaPKlPlN2at6native12_GLOBAL__N_18offset_tEEE10hipError_tPvRmT1_PNSt15iterator_traitsISY_E10value_typeET2_T3_PNSZ_IS14_E10value_typeET4_jRbjT5_S1A_jjP12ihipStream_tbEUljE_EEESV_SW_SX_S14_S18_S1A_T6_T7_T9_mT8_S1C_bDpT10_ENKUlT_T0_E_clISt17integral_constantIbLb0EES1O_IbLb1EEEEDaS1K_S1L_EUlS1K_E_NS1_11comp_targetILNS1_3genE3ELNS1_11target_archE908ELNS1_3gpuE7ELNS1_3repE0EEENS1_30default_config_static_selectorELNS0_4arch9wavefront6targetE0EEEvSY_.numbered_sgpr, 0
	.set _ZN7rocprim17ROCPRIM_400000_NS6detail17trampoline_kernelINS0_13select_configILj256ELj13ELNS0_17block_load_methodE3ELS4_3ELS4_3ELNS0_20block_scan_algorithmE0ELj4294967295EEENS1_25partition_config_selectorILNS1_17partition_subalgoE3EjNS0_10empty_typeEbEEZZNS1_14partition_implILS8_3ELb0ES6_jNS0_17counting_iteratorIjlEEPS9_SE_NS0_5tupleIJPjSE_EEENSF_IJSE_SE_EEES9_SG_JZNS1_25segmented_radix_sort_implINS0_14default_configELb1EPKaPaPKlPlN2at6native12_GLOBAL__N_18offset_tEEE10hipError_tPvRmT1_PNSt15iterator_traitsISY_E10value_typeET2_T3_PNSZ_IS14_E10value_typeET4_jRbjT5_S1A_jjP12ihipStream_tbEUljE_EEESV_SW_SX_S14_S18_S1A_T6_T7_T9_mT8_S1C_bDpT10_ENKUlT_T0_E_clISt17integral_constantIbLb0EES1O_IbLb1EEEEDaS1K_S1L_EUlS1K_E_NS1_11comp_targetILNS1_3genE3ELNS1_11target_archE908ELNS1_3gpuE7ELNS1_3repE0EEENS1_30default_config_static_selectorELNS0_4arch9wavefront6targetE0EEEvSY_.num_named_barrier, 0
	.set _ZN7rocprim17ROCPRIM_400000_NS6detail17trampoline_kernelINS0_13select_configILj256ELj13ELNS0_17block_load_methodE3ELS4_3ELS4_3ELNS0_20block_scan_algorithmE0ELj4294967295EEENS1_25partition_config_selectorILNS1_17partition_subalgoE3EjNS0_10empty_typeEbEEZZNS1_14partition_implILS8_3ELb0ES6_jNS0_17counting_iteratorIjlEEPS9_SE_NS0_5tupleIJPjSE_EEENSF_IJSE_SE_EEES9_SG_JZNS1_25segmented_radix_sort_implINS0_14default_configELb1EPKaPaPKlPlN2at6native12_GLOBAL__N_18offset_tEEE10hipError_tPvRmT1_PNSt15iterator_traitsISY_E10value_typeET2_T3_PNSZ_IS14_E10value_typeET4_jRbjT5_S1A_jjP12ihipStream_tbEUljE_EEESV_SW_SX_S14_S18_S1A_T6_T7_T9_mT8_S1C_bDpT10_ENKUlT_T0_E_clISt17integral_constantIbLb0EES1O_IbLb1EEEEDaS1K_S1L_EUlS1K_E_NS1_11comp_targetILNS1_3genE3ELNS1_11target_archE908ELNS1_3gpuE7ELNS1_3repE0EEENS1_30default_config_static_selectorELNS0_4arch9wavefront6targetE0EEEvSY_.private_seg_size, 0
	.set _ZN7rocprim17ROCPRIM_400000_NS6detail17trampoline_kernelINS0_13select_configILj256ELj13ELNS0_17block_load_methodE3ELS4_3ELS4_3ELNS0_20block_scan_algorithmE0ELj4294967295EEENS1_25partition_config_selectorILNS1_17partition_subalgoE3EjNS0_10empty_typeEbEEZZNS1_14partition_implILS8_3ELb0ES6_jNS0_17counting_iteratorIjlEEPS9_SE_NS0_5tupleIJPjSE_EEENSF_IJSE_SE_EEES9_SG_JZNS1_25segmented_radix_sort_implINS0_14default_configELb1EPKaPaPKlPlN2at6native12_GLOBAL__N_18offset_tEEE10hipError_tPvRmT1_PNSt15iterator_traitsISY_E10value_typeET2_T3_PNSZ_IS14_E10value_typeET4_jRbjT5_S1A_jjP12ihipStream_tbEUljE_EEESV_SW_SX_S14_S18_S1A_T6_T7_T9_mT8_S1C_bDpT10_ENKUlT_T0_E_clISt17integral_constantIbLb0EES1O_IbLb1EEEEDaS1K_S1L_EUlS1K_E_NS1_11comp_targetILNS1_3genE3ELNS1_11target_archE908ELNS1_3gpuE7ELNS1_3repE0EEENS1_30default_config_static_selectorELNS0_4arch9wavefront6targetE0EEEvSY_.uses_vcc, 0
	.set _ZN7rocprim17ROCPRIM_400000_NS6detail17trampoline_kernelINS0_13select_configILj256ELj13ELNS0_17block_load_methodE3ELS4_3ELS4_3ELNS0_20block_scan_algorithmE0ELj4294967295EEENS1_25partition_config_selectorILNS1_17partition_subalgoE3EjNS0_10empty_typeEbEEZZNS1_14partition_implILS8_3ELb0ES6_jNS0_17counting_iteratorIjlEEPS9_SE_NS0_5tupleIJPjSE_EEENSF_IJSE_SE_EEES9_SG_JZNS1_25segmented_radix_sort_implINS0_14default_configELb1EPKaPaPKlPlN2at6native12_GLOBAL__N_18offset_tEEE10hipError_tPvRmT1_PNSt15iterator_traitsISY_E10value_typeET2_T3_PNSZ_IS14_E10value_typeET4_jRbjT5_S1A_jjP12ihipStream_tbEUljE_EEESV_SW_SX_S14_S18_S1A_T6_T7_T9_mT8_S1C_bDpT10_ENKUlT_T0_E_clISt17integral_constantIbLb0EES1O_IbLb1EEEEDaS1K_S1L_EUlS1K_E_NS1_11comp_targetILNS1_3genE3ELNS1_11target_archE908ELNS1_3gpuE7ELNS1_3repE0EEENS1_30default_config_static_selectorELNS0_4arch9wavefront6targetE0EEEvSY_.uses_flat_scratch, 0
	.set _ZN7rocprim17ROCPRIM_400000_NS6detail17trampoline_kernelINS0_13select_configILj256ELj13ELNS0_17block_load_methodE3ELS4_3ELS4_3ELNS0_20block_scan_algorithmE0ELj4294967295EEENS1_25partition_config_selectorILNS1_17partition_subalgoE3EjNS0_10empty_typeEbEEZZNS1_14partition_implILS8_3ELb0ES6_jNS0_17counting_iteratorIjlEEPS9_SE_NS0_5tupleIJPjSE_EEENSF_IJSE_SE_EEES9_SG_JZNS1_25segmented_radix_sort_implINS0_14default_configELb1EPKaPaPKlPlN2at6native12_GLOBAL__N_18offset_tEEE10hipError_tPvRmT1_PNSt15iterator_traitsISY_E10value_typeET2_T3_PNSZ_IS14_E10value_typeET4_jRbjT5_S1A_jjP12ihipStream_tbEUljE_EEESV_SW_SX_S14_S18_S1A_T6_T7_T9_mT8_S1C_bDpT10_ENKUlT_T0_E_clISt17integral_constantIbLb0EES1O_IbLb1EEEEDaS1K_S1L_EUlS1K_E_NS1_11comp_targetILNS1_3genE3ELNS1_11target_archE908ELNS1_3gpuE7ELNS1_3repE0EEENS1_30default_config_static_selectorELNS0_4arch9wavefront6targetE0EEEvSY_.has_dyn_sized_stack, 0
	.set _ZN7rocprim17ROCPRIM_400000_NS6detail17trampoline_kernelINS0_13select_configILj256ELj13ELNS0_17block_load_methodE3ELS4_3ELS4_3ELNS0_20block_scan_algorithmE0ELj4294967295EEENS1_25partition_config_selectorILNS1_17partition_subalgoE3EjNS0_10empty_typeEbEEZZNS1_14partition_implILS8_3ELb0ES6_jNS0_17counting_iteratorIjlEEPS9_SE_NS0_5tupleIJPjSE_EEENSF_IJSE_SE_EEES9_SG_JZNS1_25segmented_radix_sort_implINS0_14default_configELb1EPKaPaPKlPlN2at6native12_GLOBAL__N_18offset_tEEE10hipError_tPvRmT1_PNSt15iterator_traitsISY_E10value_typeET2_T3_PNSZ_IS14_E10value_typeET4_jRbjT5_S1A_jjP12ihipStream_tbEUljE_EEESV_SW_SX_S14_S18_S1A_T6_T7_T9_mT8_S1C_bDpT10_ENKUlT_T0_E_clISt17integral_constantIbLb0EES1O_IbLb1EEEEDaS1K_S1L_EUlS1K_E_NS1_11comp_targetILNS1_3genE3ELNS1_11target_archE908ELNS1_3gpuE7ELNS1_3repE0EEENS1_30default_config_static_selectorELNS0_4arch9wavefront6targetE0EEEvSY_.has_recursion, 0
	.set _ZN7rocprim17ROCPRIM_400000_NS6detail17trampoline_kernelINS0_13select_configILj256ELj13ELNS0_17block_load_methodE3ELS4_3ELS4_3ELNS0_20block_scan_algorithmE0ELj4294967295EEENS1_25partition_config_selectorILNS1_17partition_subalgoE3EjNS0_10empty_typeEbEEZZNS1_14partition_implILS8_3ELb0ES6_jNS0_17counting_iteratorIjlEEPS9_SE_NS0_5tupleIJPjSE_EEENSF_IJSE_SE_EEES9_SG_JZNS1_25segmented_radix_sort_implINS0_14default_configELb1EPKaPaPKlPlN2at6native12_GLOBAL__N_18offset_tEEE10hipError_tPvRmT1_PNSt15iterator_traitsISY_E10value_typeET2_T3_PNSZ_IS14_E10value_typeET4_jRbjT5_S1A_jjP12ihipStream_tbEUljE_EEESV_SW_SX_S14_S18_S1A_T6_T7_T9_mT8_S1C_bDpT10_ENKUlT_T0_E_clISt17integral_constantIbLb0EES1O_IbLb1EEEEDaS1K_S1L_EUlS1K_E_NS1_11comp_targetILNS1_3genE3ELNS1_11target_archE908ELNS1_3gpuE7ELNS1_3repE0EEENS1_30default_config_static_selectorELNS0_4arch9wavefront6targetE0EEEvSY_.has_indirect_call, 0
	.section	.AMDGPU.csdata,"",@progbits
; Kernel info:
; codeLenInByte = 0
; TotalNumSgprs: 0
; NumVgprs: 0
; ScratchSize: 0
; MemoryBound: 0
; FloatMode: 240
; IeeeMode: 1
; LDSByteSize: 0 bytes/workgroup (compile time only)
; SGPRBlocks: 0
; VGPRBlocks: 0
; NumSGPRsForWavesPerEU: 1
; NumVGPRsForWavesPerEU: 1
; Occupancy: 16
; WaveLimiterHint : 0
; COMPUTE_PGM_RSRC2:SCRATCH_EN: 0
; COMPUTE_PGM_RSRC2:USER_SGPR: 6
; COMPUTE_PGM_RSRC2:TRAP_HANDLER: 0
; COMPUTE_PGM_RSRC2:TGID_X_EN: 1
; COMPUTE_PGM_RSRC2:TGID_Y_EN: 0
; COMPUTE_PGM_RSRC2:TGID_Z_EN: 0
; COMPUTE_PGM_RSRC2:TIDIG_COMP_CNT: 0
	.section	.text._ZN7rocprim17ROCPRIM_400000_NS6detail17trampoline_kernelINS0_13select_configILj256ELj13ELNS0_17block_load_methodE3ELS4_3ELS4_3ELNS0_20block_scan_algorithmE0ELj4294967295EEENS1_25partition_config_selectorILNS1_17partition_subalgoE3EjNS0_10empty_typeEbEEZZNS1_14partition_implILS8_3ELb0ES6_jNS0_17counting_iteratorIjlEEPS9_SE_NS0_5tupleIJPjSE_EEENSF_IJSE_SE_EEES9_SG_JZNS1_25segmented_radix_sort_implINS0_14default_configELb1EPKaPaPKlPlN2at6native12_GLOBAL__N_18offset_tEEE10hipError_tPvRmT1_PNSt15iterator_traitsISY_E10value_typeET2_T3_PNSZ_IS14_E10value_typeET4_jRbjT5_S1A_jjP12ihipStream_tbEUljE_EEESV_SW_SX_S14_S18_S1A_T6_T7_T9_mT8_S1C_bDpT10_ENKUlT_T0_E_clISt17integral_constantIbLb0EES1O_IbLb1EEEEDaS1K_S1L_EUlS1K_E_NS1_11comp_targetILNS1_3genE2ELNS1_11target_archE906ELNS1_3gpuE6ELNS1_3repE0EEENS1_30default_config_static_selectorELNS0_4arch9wavefront6targetE0EEEvSY_,"axG",@progbits,_ZN7rocprim17ROCPRIM_400000_NS6detail17trampoline_kernelINS0_13select_configILj256ELj13ELNS0_17block_load_methodE3ELS4_3ELS4_3ELNS0_20block_scan_algorithmE0ELj4294967295EEENS1_25partition_config_selectorILNS1_17partition_subalgoE3EjNS0_10empty_typeEbEEZZNS1_14partition_implILS8_3ELb0ES6_jNS0_17counting_iteratorIjlEEPS9_SE_NS0_5tupleIJPjSE_EEENSF_IJSE_SE_EEES9_SG_JZNS1_25segmented_radix_sort_implINS0_14default_configELb1EPKaPaPKlPlN2at6native12_GLOBAL__N_18offset_tEEE10hipError_tPvRmT1_PNSt15iterator_traitsISY_E10value_typeET2_T3_PNSZ_IS14_E10value_typeET4_jRbjT5_S1A_jjP12ihipStream_tbEUljE_EEESV_SW_SX_S14_S18_S1A_T6_T7_T9_mT8_S1C_bDpT10_ENKUlT_T0_E_clISt17integral_constantIbLb0EES1O_IbLb1EEEEDaS1K_S1L_EUlS1K_E_NS1_11comp_targetILNS1_3genE2ELNS1_11target_archE906ELNS1_3gpuE6ELNS1_3repE0EEENS1_30default_config_static_selectorELNS0_4arch9wavefront6targetE0EEEvSY_,comdat
	.globl	_ZN7rocprim17ROCPRIM_400000_NS6detail17trampoline_kernelINS0_13select_configILj256ELj13ELNS0_17block_load_methodE3ELS4_3ELS4_3ELNS0_20block_scan_algorithmE0ELj4294967295EEENS1_25partition_config_selectorILNS1_17partition_subalgoE3EjNS0_10empty_typeEbEEZZNS1_14partition_implILS8_3ELb0ES6_jNS0_17counting_iteratorIjlEEPS9_SE_NS0_5tupleIJPjSE_EEENSF_IJSE_SE_EEES9_SG_JZNS1_25segmented_radix_sort_implINS0_14default_configELb1EPKaPaPKlPlN2at6native12_GLOBAL__N_18offset_tEEE10hipError_tPvRmT1_PNSt15iterator_traitsISY_E10value_typeET2_T3_PNSZ_IS14_E10value_typeET4_jRbjT5_S1A_jjP12ihipStream_tbEUljE_EEESV_SW_SX_S14_S18_S1A_T6_T7_T9_mT8_S1C_bDpT10_ENKUlT_T0_E_clISt17integral_constantIbLb0EES1O_IbLb1EEEEDaS1K_S1L_EUlS1K_E_NS1_11comp_targetILNS1_3genE2ELNS1_11target_archE906ELNS1_3gpuE6ELNS1_3repE0EEENS1_30default_config_static_selectorELNS0_4arch9wavefront6targetE0EEEvSY_ ; -- Begin function _ZN7rocprim17ROCPRIM_400000_NS6detail17trampoline_kernelINS0_13select_configILj256ELj13ELNS0_17block_load_methodE3ELS4_3ELS4_3ELNS0_20block_scan_algorithmE0ELj4294967295EEENS1_25partition_config_selectorILNS1_17partition_subalgoE3EjNS0_10empty_typeEbEEZZNS1_14partition_implILS8_3ELb0ES6_jNS0_17counting_iteratorIjlEEPS9_SE_NS0_5tupleIJPjSE_EEENSF_IJSE_SE_EEES9_SG_JZNS1_25segmented_radix_sort_implINS0_14default_configELb1EPKaPaPKlPlN2at6native12_GLOBAL__N_18offset_tEEE10hipError_tPvRmT1_PNSt15iterator_traitsISY_E10value_typeET2_T3_PNSZ_IS14_E10value_typeET4_jRbjT5_S1A_jjP12ihipStream_tbEUljE_EEESV_SW_SX_S14_S18_S1A_T6_T7_T9_mT8_S1C_bDpT10_ENKUlT_T0_E_clISt17integral_constantIbLb0EES1O_IbLb1EEEEDaS1K_S1L_EUlS1K_E_NS1_11comp_targetILNS1_3genE2ELNS1_11target_archE906ELNS1_3gpuE6ELNS1_3repE0EEENS1_30default_config_static_selectorELNS0_4arch9wavefront6targetE0EEEvSY_
	.p2align	8
	.type	_ZN7rocprim17ROCPRIM_400000_NS6detail17trampoline_kernelINS0_13select_configILj256ELj13ELNS0_17block_load_methodE3ELS4_3ELS4_3ELNS0_20block_scan_algorithmE0ELj4294967295EEENS1_25partition_config_selectorILNS1_17partition_subalgoE3EjNS0_10empty_typeEbEEZZNS1_14partition_implILS8_3ELb0ES6_jNS0_17counting_iteratorIjlEEPS9_SE_NS0_5tupleIJPjSE_EEENSF_IJSE_SE_EEES9_SG_JZNS1_25segmented_radix_sort_implINS0_14default_configELb1EPKaPaPKlPlN2at6native12_GLOBAL__N_18offset_tEEE10hipError_tPvRmT1_PNSt15iterator_traitsISY_E10value_typeET2_T3_PNSZ_IS14_E10value_typeET4_jRbjT5_S1A_jjP12ihipStream_tbEUljE_EEESV_SW_SX_S14_S18_S1A_T6_T7_T9_mT8_S1C_bDpT10_ENKUlT_T0_E_clISt17integral_constantIbLb0EES1O_IbLb1EEEEDaS1K_S1L_EUlS1K_E_NS1_11comp_targetILNS1_3genE2ELNS1_11target_archE906ELNS1_3gpuE6ELNS1_3repE0EEENS1_30default_config_static_selectorELNS0_4arch9wavefront6targetE0EEEvSY_,@function
_ZN7rocprim17ROCPRIM_400000_NS6detail17trampoline_kernelINS0_13select_configILj256ELj13ELNS0_17block_load_methodE3ELS4_3ELS4_3ELNS0_20block_scan_algorithmE0ELj4294967295EEENS1_25partition_config_selectorILNS1_17partition_subalgoE3EjNS0_10empty_typeEbEEZZNS1_14partition_implILS8_3ELb0ES6_jNS0_17counting_iteratorIjlEEPS9_SE_NS0_5tupleIJPjSE_EEENSF_IJSE_SE_EEES9_SG_JZNS1_25segmented_radix_sort_implINS0_14default_configELb1EPKaPaPKlPlN2at6native12_GLOBAL__N_18offset_tEEE10hipError_tPvRmT1_PNSt15iterator_traitsISY_E10value_typeET2_T3_PNSZ_IS14_E10value_typeET4_jRbjT5_S1A_jjP12ihipStream_tbEUljE_EEESV_SW_SX_S14_S18_S1A_T6_T7_T9_mT8_S1C_bDpT10_ENKUlT_T0_E_clISt17integral_constantIbLb0EES1O_IbLb1EEEEDaS1K_S1L_EUlS1K_E_NS1_11comp_targetILNS1_3genE2ELNS1_11target_archE906ELNS1_3gpuE6ELNS1_3repE0EEENS1_30default_config_static_selectorELNS0_4arch9wavefront6targetE0EEEvSY_: ; @_ZN7rocprim17ROCPRIM_400000_NS6detail17trampoline_kernelINS0_13select_configILj256ELj13ELNS0_17block_load_methodE3ELS4_3ELS4_3ELNS0_20block_scan_algorithmE0ELj4294967295EEENS1_25partition_config_selectorILNS1_17partition_subalgoE3EjNS0_10empty_typeEbEEZZNS1_14partition_implILS8_3ELb0ES6_jNS0_17counting_iteratorIjlEEPS9_SE_NS0_5tupleIJPjSE_EEENSF_IJSE_SE_EEES9_SG_JZNS1_25segmented_radix_sort_implINS0_14default_configELb1EPKaPaPKlPlN2at6native12_GLOBAL__N_18offset_tEEE10hipError_tPvRmT1_PNSt15iterator_traitsISY_E10value_typeET2_T3_PNSZ_IS14_E10value_typeET4_jRbjT5_S1A_jjP12ihipStream_tbEUljE_EEESV_SW_SX_S14_S18_S1A_T6_T7_T9_mT8_S1C_bDpT10_ENKUlT_T0_E_clISt17integral_constantIbLb0EES1O_IbLb1EEEEDaS1K_S1L_EUlS1K_E_NS1_11comp_targetILNS1_3genE2ELNS1_11target_archE906ELNS1_3gpuE6ELNS1_3repE0EEENS1_30default_config_static_selectorELNS0_4arch9wavefront6targetE0EEEvSY_
; %bb.0:
	.section	.rodata,"a",@progbits
	.p2align	6, 0x0
	.amdhsa_kernel _ZN7rocprim17ROCPRIM_400000_NS6detail17trampoline_kernelINS0_13select_configILj256ELj13ELNS0_17block_load_methodE3ELS4_3ELS4_3ELNS0_20block_scan_algorithmE0ELj4294967295EEENS1_25partition_config_selectorILNS1_17partition_subalgoE3EjNS0_10empty_typeEbEEZZNS1_14partition_implILS8_3ELb0ES6_jNS0_17counting_iteratorIjlEEPS9_SE_NS0_5tupleIJPjSE_EEENSF_IJSE_SE_EEES9_SG_JZNS1_25segmented_radix_sort_implINS0_14default_configELb1EPKaPaPKlPlN2at6native12_GLOBAL__N_18offset_tEEE10hipError_tPvRmT1_PNSt15iterator_traitsISY_E10value_typeET2_T3_PNSZ_IS14_E10value_typeET4_jRbjT5_S1A_jjP12ihipStream_tbEUljE_EEESV_SW_SX_S14_S18_S1A_T6_T7_T9_mT8_S1C_bDpT10_ENKUlT_T0_E_clISt17integral_constantIbLb0EES1O_IbLb1EEEEDaS1K_S1L_EUlS1K_E_NS1_11comp_targetILNS1_3genE2ELNS1_11target_archE906ELNS1_3gpuE6ELNS1_3repE0EEENS1_30default_config_static_selectorELNS0_4arch9wavefront6targetE0EEEvSY_
		.amdhsa_group_segment_fixed_size 0
		.amdhsa_private_segment_fixed_size 0
		.amdhsa_kernarg_size 152
		.amdhsa_user_sgpr_count 6
		.amdhsa_user_sgpr_private_segment_buffer 1
		.amdhsa_user_sgpr_dispatch_ptr 0
		.amdhsa_user_sgpr_queue_ptr 0
		.amdhsa_user_sgpr_kernarg_segment_ptr 1
		.amdhsa_user_sgpr_dispatch_id 0
		.amdhsa_user_sgpr_flat_scratch_init 0
		.amdhsa_user_sgpr_private_segment_size 0
		.amdhsa_wavefront_size32 1
		.amdhsa_uses_dynamic_stack 0
		.amdhsa_system_sgpr_private_segment_wavefront_offset 0
		.amdhsa_system_sgpr_workgroup_id_x 1
		.amdhsa_system_sgpr_workgroup_id_y 0
		.amdhsa_system_sgpr_workgroup_id_z 0
		.amdhsa_system_sgpr_workgroup_info 0
		.amdhsa_system_vgpr_workitem_id 0
		.amdhsa_next_free_vgpr 1
		.amdhsa_next_free_sgpr 1
		.amdhsa_reserve_vcc 0
		.amdhsa_reserve_flat_scratch 0
		.amdhsa_float_round_mode_32 0
		.amdhsa_float_round_mode_16_64 0
		.amdhsa_float_denorm_mode_32 3
		.amdhsa_float_denorm_mode_16_64 3
		.amdhsa_dx10_clamp 1
		.amdhsa_ieee_mode 1
		.amdhsa_fp16_overflow 0
		.amdhsa_workgroup_processor_mode 1
		.amdhsa_memory_ordered 1
		.amdhsa_forward_progress 1
		.amdhsa_shared_vgpr_count 0
		.amdhsa_exception_fp_ieee_invalid_op 0
		.amdhsa_exception_fp_denorm_src 0
		.amdhsa_exception_fp_ieee_div_zero 0
		.amdhsa_exception_fp_ieee_overflow 0
		.amdhsa_exception_fp_ieee_underflow 0
		.amdhsa_exception_fp_ieee_inexact 0
		.amdhsa_exception_int_div_zero 0
	.end_amdhsa_kernel
	.section	.text._ZN7rocprim17ROCPRIM_400000_NS6detail17trampoline_kernelINS0_13select_configILj256ELj13ELNS0_17block_load_methodE3ELS4_3ELS4_3ELNS0_20block_scan_algorithmE0ELj4294967295EEENS1_25partition_config_selectorILNS1_17partition_subalgoE3EjNS0_10empty_typeEbEEZZNS1_14partition_implILS8_3ELb0ES6_jNS0_17counting_iteratorIjlEEPS9_SE_NS0_5tupleIJPjSE_EEENSF_IJSE_SE_EEES9_SG_JZNS1_25segmented_radix_sort_implINS0_14default_configELb1EPKaPaPKlPlN2at6native12_GLOBAL__N_18offset_tEEE10hipError_tPvRmT1_PNSt15iterator_traitsISY_E10value_typeET2_T3_PNSZ_IS14_E10value_typeET4_jRbjT5_S1A_jjP12ihipStream_tbEUljE_EEESV_SW_SX_S14_S18_S1A_T6_T7_T9_mT8_S1C_bDpT10_ENKUlT_T0_E_clISt17integral_constantIbLb0EES1O_IbLb1EEEEDaS1K_S1L_EUlS1K_E_NS1_11comp_targetILNS1_3genE2ELNS1_11target_archE906ELNS1_3gpuE6ELNS1_3repE0EEENS1_30default_config_static_selectorELNS0_4arch9wavefront6targetE0EEEvSY_,"axG",@progbits,_ZN7rocprim17ROCPRIM_400000_NS6detail17trampoline_kernelINS0_13select_configILj256ELj13ELNS0_17block_load_methodE3ELS4_3ELS4_3ELNS0_20block_scan_algorithmE0ELj4294967295EEENS1_25partition_config_selectorILNS1_17partition_subalgoE3EjNS0_10empty_typeEbEEZZNS1_14partition_implILS8_3ELb0ES6_jNS0_17counting_iteratorIjlEEPS9_SE_NS0_5tupleIJPjSE_EEENSF_IJSE_SE_EEES9_SG_JZNS1_25segmented_radix_sort_implINS0_14default_configELb1EPKaPaPKlPlN2at6native12_GLOBAL__N_18offset_tEEE10hipError_tPvRmT1_PNSt15iterator_traitsISY_E10value_typeET2_T3_PNSZ_IS14_E10value_typeET4_jRbjT5_S1A_jjP12ihipStream_tbEUljE_EEESV_SW_SX_S14_S18_S1A_T6_T7_T9_mT8_S1C_bDpT10_ENKUlT_T0_E_clISt17integral_constantIbLb0EES1O_IbLb1EEEEDaS1K_S1L_EUlS1K_E_NS1_11comp_targetILNS1_3genE2ELNS1_11target_archE906ELNS1_3gpuE6ELNS1_3repE0EEENS1_30default_config_static_selectorELNS0_4arch9wavefront6targetE0EEEvSY_,comdat
.Lfunc_end284:
	.size	_ZN7rocprim17ROCPRIM_400000_NS6detail17trampoline_kernelINS0_13select_configILj256ELj13ELNS0_17block_load_methodE3ELS4_3ELS4_3ELNS0_20block_scan_algorithmE0ELj4294967295EEENS1_25partition_config_selectorILNS1_17partition_subalgoE3EjNS0_10empty_typeEbEEZZNS1_14partition_implILS8_3ELb0ES6_jNS0_17counting_iteratorIjlEEPS9_SE_NS0_5tupleIJPjSE_EEENSF_IJSE_SE_EEES9_SG_JZNS1_25segmented_radix_sort_implINS0_14default_configELb1EPKaPaPKlPlN2at6native12_GLOBAL__N_18offset_tEEE10hipError_tPvRmT1_PNSt15iterator_traitsISY_E10value_typeET2_T3_PNSZ_IS14_E10value_typeET4_jRbjT5_S1A_jjP12ihipStream_tbEUljE_EEESV_SW_SX_S14_S18_S1A_T6_T7_T9_mT8_S1C_bDpT10_ENKUlT_T0_E_clISt17integral_constantIbLb0EES1O_IbLb1EEEEDaS1K_S1L_EUlS1K_E_NS1_11comp_targetILNS1_3genE2ELNS1_11target_archE906ELNS1_3gpuE6ELNS1_3repE0EEENS1_30default_config_static_selectorELNS0_4arch9wavefront6targetE0EEEvSY_, .Lfunc_end284-_ZN7rocprim17ROCPRIM_400000_NS6detail17trampoline_kernelINS0_13select_configILj256ELj13ELNS0_17block_load_methodE3ELS4_3ELS4_3ELNS0_20block_scan_algorithmE0ELj4294967295EEENS1_25partition_config_selectorILNS1_17partition_subalgoE3EjNS0_10empty_typeEbEEZZNS1_14partition_implILS8_3ELb0ES6_jNS0_17counting_iteratorIjlEEPS9_SE_NS0_5tupleIJPjSE_EEENSF_IJSE_SE_EEES9_SG_JZNS1_25segmented_radix_sort_implINS0_14default_configELb1EPKaPaPKlPlN2at6native12_GLOBAL__N_18offset_tEEE10hipError_tPvRmT1_PNSt15iterator_traitsISY_E10value_typeET2_T3_PNSZ_IS14_E10value_typeET4_jRbjT5_S1A_jjP12ihipStream_tbEUljE_EEESV_SW_SX_S14_S18_S1A_T6_T7_T9_mT8_S1C_bDpT10_ENKUlT_T0_E_clISt17integral_constantIbLb0EES1O_IbLb1EEEEDaS1K_S1L_EUlS1K_E_NS1_11comp_targetILNS1_3genE2ELNS1_11target_archE906ELNS1_3gpuE6ELNS1_3repE0EEENS1_30default_config_static_selectorELNS0_4arch9wavefront6targetE0EEEvSY_
                                        ; -- End function
	.set _ZN7rocprim17ROCPRIM_400000_NS6detail17trampoline_kernelINS0_13select_configILj256ELj13ELNS0_17block_load_methodE3ELS4_3ELS4_3ELNS0_20block_scan_algorithmE0ELj4294967295EEENS1_25partition_config_selectorILNS1_17partition_subalgoE3EjNS0_10empty_typeEbEEZZNS1_14partition_implILS8_3ELb0ES6_jNS0_17counting_iteratorIjlEEPS9_SE_NS0_5tupleIJPjSE_EEENSF_IJSE_SE_EEES9_SG_JZNS1_25segmented_radix_sort_implINS0_14default_configELb1EPKaPaPKlPlN2at6native12_GLOBAL__N_18offset_tEEE10hipError_tPvRmT1_PNSt15iterator_traitsISY_E10value_typeET2_T3_PNSZ_IS14_E10value_typeET4_jRbjT5_S1A_jjP12ihipStream_tbEUljE_EEESV_SW_SX_S14_S18_S1A_T6_T7_T9_mT8_S1C_bDpT10_ENKUlT_T0_E_clISt17integral_constantIbLb0EES1O_IbLb1EEEEDaS1K_S1L_EUlS1K_E_NS1_11comp_targetILNS1_3genE2ELNS1_11target_archE906ELNS1_3gpuE6ELNS1_3repE0EEENS1_30default_config_static_selectorELNS0_4arch9wavefront6targetE0EEEvSY_.num_vgpr, 0
	.set _ZN7rocprim17ROCPRIM_400000_NS6detail17trampoline_kernelINS0_13select_configILj256ELj13ELNS0_17block_load_methodE3ELS4_3ELS4_3ELNS0_20block_scan_algorithmE0ELj4294967295EEENS1_25partition_config_selectorILNS1_17partition_subalgoE3EjNS0_10empty_typeEbEEZZNS1_14partition_implILS8_3ELb0ES6_jNS0_17counting_iteratorIjlEEPS9_SE_NS0_5tupleIJPjSE_EEENSF_IJSE_SE_EEES9_SG_JZNS1_25segmented_radix_sort_implINS0_14default_configELb1EPKaPaPKlPlN2at6native12_GLOBAL__N_18offset_tEEE10hipError_tPvRmT1_PNSt15iterator_traitsISY_E10value_typeET2_T3_PNSZ_IS14_E10value_typeET4_jRbjT5_S1A_jjP12ihipStream_tbEUljE_EEESV_SW_SX_S14_S18_S1A_T6_T7_T9_mT8_S1C_bDpT10_ENKUlT_T0_E_clISt17integral_constantIbLb0EES1O_IbLb1EEEEDaS1K_S1L_EUlS1K_E_NS1_11comp_targetILNS1_3genE2ELNS1_11target_archE906ELNS1_3gpuE6ELNS1_3repE0EEENS1_30default_config_static_selectorELNS0_4arch9wavefront6targetE0EEEvSY_.num_agpr, 0
	.set _ZN7rocprim17ROCPRIM_400000_NS6detail17trampoline_kernelINS0_13select_configILj256ELj13ELNS0_17block_load_methodE3ELS4_3ELS4_3ELNS0_20block_scan_algorithmE0ELj4294967295EEENS1_25partition_config_selectorILNS1_17partition_subalgoE3EjNS0_10empty_typeEbEEZZNS1_14partition_implILS8_3ELb0ES6_jNS0_17counting_iteratorIjlEEPS9_SE_NS0_5tupleIJPjSE_EEENSF_IJSE_SE_EEES9_SG_JZNS1_25segmented_radix_sort_implINS0_14default_configELb1EPKaPaPKlPlN2at6native12_GLOBAL__N_18offset_tEEE10hipError_tPvRmT1_PNSt15iterator_traitsISY_E10value_typeET2_T3_PNSZ_IS14_E10value_typeET4_jRbjT5_S1A_jjP12ihipStream_tbEUljE_EEESV_SW_SX_S14_S18_S1A_T6_T7_T9_mT8_S1C_bDpT10_ENKUlT_T0_E_clISt17integral_constantIbLb0EES1O_IbLb1EEEEDaS1K_S1L_EUlS1K_E_NS1_11comp_targetILNS1_3genE2ELNS1_11target_archE906ELNS1_3gpuE6ELNS1_3repE0EEENS1_30default_config_static_selectorELNS0_4arch9wavefront6targetE0EEEvSY_.numbered_sgpr, 0
	.set _ZN7rocprim17ROCPRIM_400000_NS6detail17trampoline_kernelINS0_13select_configILj256ELj13ELNS0_17block_load_methodE3ELS4_3ELS4_3ELNS0_20block_scan_algorithmE0ELj4294967295EEENS1_25partition_config_selectorILNS1_17partition_subalgoE3EjNS0_10empty_typeEbEEZZNS1_14partition_implILS8_3ELb0ES6_jNS0_17counting_iteratorIjlEEPS9_SE_NS0_5tupleIJPjSE_EEENSF_IJSE_SE_EEES9_SG_JZNS1_25segmented_radix_sort_implINS0_14default_configELb1EPKaPaPKlPlN2at6native12_GLOBAL__N_18offset_tEEE10hipError_tPvRmT1_PNSt15iterator_traitsISY_E10value_typeET2_T3_PNSZ_IS14_E10value_typeET4_jRbjT5_S1A_jjP12ihipStream_tbEUljE_EEESV_SW_SX_S14_S18_S1A_T6_T7_T9_mT8_S1C_bDpT10_ENKUlT_T0_E_clISt17integral_constantIbLb0EES1O_IbLb1EEEEDaS1K_S1L_EUlS1K_E_NS1_11comp_targetILNS1_3genE2ELNS1_11target_archE906ELNS1_3gpuE6ELNS1_3repE0EEENS1_30default_config_static_selectorELNS0_4arch9wavefront6targetE0EEEvSY_.num_named_barrier, 0
	.set _ZN7rocprim17ROCPRIM_400000_NS6detail17trampoline_kernelINS0_13select_configILj256ELj13ELNS0_17block_load_methodE3ELS4_3ELS4_3ELNS0_20block_scan_algorithmE0ELj4294967295EEENS1_25partition_config_selectorILNS1_17partition_subalgoE3EjNS0_10empty_typeEbEEZZNS1_14partition_implILS8_3ELb0ES6_jNS0_17counting_iteratorIjlEEPS9_SE_NS0_5tupleIJPjSE_EEENSF_IJSE_SE_EEES9_SG_JZNS1_25segmented_radix_sort_implINS0_14default_configELb1EPKaPaPKlPlN2at6native12_GLOBAL__N_18offset_tEEE10hipError_tPvRmT1_PNSt15iterator_traitsISY_E10value_typeET2_T3_PNSZ_IS14_E10value_typeET4_jRbjT5_S1A_jjP12ihipStream_tbEUljE_EEESV_SW_SX_S14_S18_S1A_T6_T7_T9_mT8_S1C_bDpT10_ENKUlT_T0_E_clISt17integral_constantIbLb0EES1O_IbLb1EEEEDaS1K_S1L_EUlS1K_E_NS1_11comp_targetILNS1_3genE2ELNS1_11target_archE906ELNS1_3gpuE6ELNS1_3repE0EEENS1_30default_config_static_selectorELNS0_4arch9wavefront6targetE0EEEvSY_.private_seg_size, 0
	.set _ZN7rocprim17ROCPRIM_400000_NS6detail17trampoline_kernelINS0_13select_configILj256ELj13ELNS0_17block_load_methodE3ELS4_3ELS4_3ELNS0_20block_scan_algorithmE0ELj4294967295EEENS1_25partition_config_selectorILNS1_17partition_subalgoE3EjNS0_10empty_typeEbEEZZNS1_14partition_implILS8_3ELb0ES6_jNS0_17counting_iteratorIjlEEPS9_SE_NS0_5tupleIJPjSE_EEENSF_IJSE_SE_EEES9_SG_JZNS1_25segmented_radix_sort_implINS0_14default_configELb1EPKaPaPKlPlN2at6native12_GLOBAL__N_18offset_tEEE10hipError_tPvRmT1_PNSt15iterator_traitsISY_E10value_typeET2_T3_PNSZ_IS14_E10value_typeET4_jRbjT5_S1A_jjP12ihipStream_tbEUljE_EEESV_SW_SX_S14_S18_S1A_T6_T7_T9_mT8_S1C_bDpT10_ENKUlT_T0_E_clISt17integral_constantIbLb0EES1O_IbLb1EEEEDaS1K_S1L_EUlS1K_E_NS1_11comp_targetILNS1_3genE2ELNS1_11target_archE906ELNS1_3gpuE6ELNS1_3repE0EEENS1_30default_config_static_selectorELNS0_4arch9wavefront6targetE0EEEvSY_.uses_vcc, 0
	.set _ZN7rocprim17ROCPRIM_400000_NS6detail17trampoline_kernelINS0_13select_configILj256ELj13ELNS0_17block_load_methodE3ELS4_3ELS4_3ELNS0_20block_scan_algorithmE0ELj4294967295EEENS1_25partition_config_selectorILNS1_17partition_subalgoE3EjNS0_10empty_typeEbEEZZNS1_14partition_implILS8_3ELb0ES6_jNS0_17counting_iteratorIjlEEPS9_SE_NS0_5tupleIJPjSE_EEENSF_IJSE_SE_EEES9_SG_JZNS1_25segmented_radix_sort_implINS0_14default_configELb1EPKaPaPKlPlN2at6native12_GLOBAL__N_18offset_tEEE10hipError_tPvRmT1_PNSt15iterator_traitsISY_E10value_typeET2_T3_PNSZ_IS14_E10value_typeET4_jRbjT5_S1A_jjP12ihipStream_tbEUljE_EEESV_SW_SX_S14_S18_S1A_T6_T7_T9_mT8_S1C_bDpT10_ENKUlT_T0_E_clISt17integral_constantIbLb0EES1O_IbLb1EEEEDaS1K_S1L_EUlS1K_E_NS1_11comp_targetILNS1_3genE2ELNS1_11target_archE906ELNS1_3gpuE6ELNS1_3repE0EEENS1_30default_config_static_selectorELNS0_4arch9wavefront6targetE0EEEvSY_.uses_flat_scratch, 0
	.set _ZN7rocprim17ROCPRIM_400000_NS6detail17trampoline_kernelINS0_13select_configILj256ELj13ELNS0_17block_load_methodE3ELS4_3ELS4_3ELNS0_20block_scan_algorithmE0ELj4294967295EEENS1_25partition_config_selectorILNS1_17partition_subalgoE3EjNS0_10empty_typeEbEEZZNS1_14partition_implILS8_3ELb0ES6_jNS0_17counting_iteratorIjlEEPS9_SE_NS0_5tupleIJPjSE_EEENSF_IJSE_SE_EEES9_SG_JZNS1_25segmented_radix_sort_implINS0_14default_configELb1EPKaPaPKlPlN2at6native12_GLOBAL__N_18offset_tEEE10hipError_tPvRmT1_PNSt15iterator_traitsISY_E10value_typeET2_T3_PNSZ_IS14_E10value_typeET4_jRbjT5_S1A_jjP12ihipStream_tbEUljE_EEESV_SW_SX_S14_S18_S1A_T6_T7_T9_mT8_S1C_bDpT10_ENKUlT_T0_E_clISt17integral_constantIbLb0EES1O_IbLb1EEEEDaS1K_S1L_EUlS1K_E_NS1_11comp_targetILNS1_3genE2ELNS1_11target_archE906ELNS1_3gpuE6ELNS1_3repE0EEENS1_30default_config_static_selectorELNS0_4arch9wavefront6targetE0EEEvSY_.has_dyn_sized_stack, 0
	.set _ZN7rocprim17ROCPRIM_400000_NS6detail17trampoline_kernelINS0_13select_configILj256ELj13ELNS0_17block_load_methodE3ELS4_3ELS4_3ELNS0_20block_scan_algorithmE0ELj4294967295EEENS1_25partition_config_selectorILNS1_17partition_subalgoE3EjNS0_10empty_typeEbEEZZNS1_14partition_implILS8_3ELb0ES6_jNS0_17counting_iteratorIjlEEPS9_SE_NS0_5tupleIJPjSE_EEENSF_IJSE_SE_EEES9_SG_JZNS1_25segmented_radix_sort_implINS0_14default_configELb1EPKaPaPKlPlN2at6native12_GLOBAL__N_18offset_tEEE10hipError_tPvRmT1_PNSt15iterator_traitsISY_E10value_typeET2_T3_PNSZ_IS14_E10value_typeET4_jRbjT5_S1A_jjP12ihipStream_tbEUljE_EEESV_SW_SX_S14_S18_S1A_T6_T7_T9_mT8_S1C_bDpT10_ENKUlT_T0_E_clISt17integral_constantIbLb0EES1O_IbLb1EEEEDaS1K_S1L_EUlS1K_E_NS1_11comp_targetILNS1_3genE2ELNS1_11target_archE906ELNS1_3gpuE6ELNS1_3repE0EEENS1_30default_config_static_selectorELNS0_4arch9wavefront6targetE0EEEvSY_.has_recursion, 0
	.set _ZN7rocprim17ROCPRIM_400000_NS6detail17trampoline_kernelINS0_13select_configILj256ELj13ELNS0_17block_load_methodE3ELS4_3ELS4_3ELNS0_20block_scan_algorithmE0ELj4294967295EEENS1_25partition_config_selectorILNS1_17partition_subalgoE3EjNS0_10empty_typeEbEEZZNS1_14partition_implILS8_3ELb0ES6_jNS0_17counting_iteratorIjlEEPS9_SE_NS0_5tupleIJPjSE_EEENSF_IJSE_SE_EEES9_SG_JZNS1_25segmented_radix_sort_implINS0_14default_configELb1EPKaPaPKlPlN2at6native12_GLOBAL__N_18offset_tEEE10hipError_tPvRmT1_PNSt15iterator_traitsISY_E10value_typeET2_T3_PNSZ_IS14_E10value_typeET4_jRbjT5_S1A_jjP12ihipStream_tbEUljE_EEESV_SW_SX_S14_S18_S1A_T6_T7_T9_mT8_S1C_bDpT10_ENKUlT_T0_E_clISt17integral_constantIbLb0EES1O_IbLb1EEEEDaS1K_S1L_EUlS1K_E_NS1_11comp_targetILNS1_3genE2ELNS1_11target_archE906ELNS1_3gpuE6ELNS1_3repE0EEENS1_30default_config_static_selectorELNS0_4arch9wavefront6targetE0EEEvSY_.has_indirect_call, 0
	.section	.AMDGPU.csdata,"",@progbits
; Kernel info:
; codeLenInByte = 0
; TotalNumSgprs: 0
; NumVgprs: 0
; ScratchSize: 0
; MemoryBound: 0
; FloatMode: 240
; IeeeMode: 1
; LDSByteSize: 0 bytes/workgroup (compile time only)
; SGPRBlocks: 0
; VGPRBlocks: 0
; NumSGPRsForWavesPerEU: 1
; NumVGPRsForWavesPerEU: 1
; Occupancy: 16
; WaveLimiterHint : 0
; COMPUTE_PGM_RSRC2:SCRATCH_EN: 0
; COMPUTE_PGM_RSRC2:USER_SGPR: 6
; COMPUTE_PGM_RSRC2:TRAP_HANDLER: 0
; COMPUTE_PGM_RSRC2:TGID_X_EN: 1
; COMPUTE_PGM_RSRC2:TGID_Y_EN: 0
; COMPUTE_PGM_RSRC2:TGID_Z_EN: 0
; COMPUTE_PGM_RSRC2:TIDIG_COMP_CNT: 0
	.section	.text._ZN7rocprim17ROCPRIM_400000_NS6detail17trampoline_kernelINS0_13select_configILj256ELj13ELNS0_17block_load_methodE3ELS4_3ELS4_3ELNS0_20block_scan_algorithmE0ELj4294967295EEENS1_25partition_config_selectorILNS1_17partition_subalgoE3EjNS0_10empty_typeEbEEZZNS1_14partition_implILS8_3ELb0ES6_jNS0_17counting_iteratorIjlEEPS9_SE_NS0_5tupleIJPjSE_EEENSF_IJSE_SE_EEES9_SG_JZNS1_25segmented_radix_sort_implINS0_14default_configELb1EPKaPaPKlPlN2at6native12_GLOBAL__N_18offset_tEEE10hipError_tPvRmT1_PNSt15iterator_traitsISY_E10value_typeET2_T3_PNSZ_IS14_E10value_typeET4_jRbjT5_S1A_jjP12ihipStream_tbEUljE_EEESV_SW_SX_S14_S18_S1A_T6_T7_T9_mT8_S1C_bDpT10_ENKUlT_T0_E_clISt17integral_constantIbLb0EES1O_IbLb1EEEEDaS1K_S1L_EUlS1K_E_NS1_11comp_targetILNS1_3genE10ELNS1_11target_archE1200ELNS1_3gpuE4ELNS1_3repE0EEENS1_30default_config_static_selectorELNS0_4arch9wavefront6targetE0EEEvSY_,"axG",@progbits,_ZN7rocprim17ROCPRIM_400000_NS6detail17trampoline_kernelINS0_13select_configILj256ELj13ELNS0_17block_load_methodE3ELS4_3ELS4_3ELNS0_20block_scan_algorithmE0ELj4294967295EEENS1_25partition_config_selectorILNS1_17partition_subalgoE3EjNS0_10empty_typeEbEEZZNS1_14partition_implILS8_3ELb0ES6_jNS0_17counting_iteratorIjlEEPS9_SE_NS0_5tupleIJPjSE_EEENSF_IJSE_SE_EEES9_SG_JZNS1_25segmented_radix_sort_implINS0_14default_configELb1EPKaPaPKlPlN2at6native12_GLOBAL__N_18offset_tEEE10hipError_tPvRmT1_PNSt15iterator_traitsISY_E10value_typeET2_T3_PNSZ_IS14_E10value_typeET4_jRbjT5_S1A_jjP12ihipStream_tbEUljE_EEESV_SW_SX_S14_S18_S1A_T6_T7_T9_mT8_S1C_bDpT10_ENKUlT_T0_E_clISt17integral_constantIbLb0EES1O_IbLb1EEEEDaS1K_S1L_EUlS1K_E_NS1_11comp_targetILNS1_3genE10ELNS1_11target_archE1200ELNS1_3gpuE4ELNS1_3repE0EEENS1_30default_config_static_selectorELNS0_4arch9wavefront6targetE0EEEvSY_,comdat
	.globl	_ZN7rocprim17ROCPRIM_400000_NS6detail17trampoline_kernelINS0_13select_configILj256ELj13ELNS0_17block_load_methodE3ELS4_3ELS4_3ELNS0_20block_scan_algorithmE0ELj4294967295EEENS1_25partition_config_selectorILNS1_17partition_subalgoE3EjNS0_10empty_typeEbEEZZNS1_14partition_implILS8_3ELb0ES6_jNS0_17counting_iteratorIjlEEPS9_SE_NS0_5tupleIJPjSE_EEENSF_IJSE_SE_EEES9_SG_JZNS1_25segmented_radix_sort_implINS0_14default_configELb1EPKaPaPKlPlN2at6native12_GLOBAL__N_18offset_tEEE10hipError_tPvRmT1_PNSt15iterator_traitsISY_E10value_typeET2_T3_PNSZ_IS14_E10value_typeET4_jRbjT5_S1A_jjP12ihipStream_tbEUljE_EEESV_SW_SX_S14_S18_S1A_T6_T7_T9_mT8_S1C_bDpT10_ENKUlT_T0_E_clISt17integral_constantIbLb0EES1O_IbLb1EEEEDaS1K_S1L_EUlS1K_E_NS1_11comp_targetILNS1_3genE10ELNS1_11target_archE1200ELNS1_3gpuE4ELNS1_3repE0EEENS1_30default_config_static_selectorELNS0_4arch9wavefront6targetE0EEEvSY_ ; -- Begin function _ZN7rocprim17ROCPRIM_400000_NS6detail17trampoline_kernelINS0_13select_configILj256ELj13ELNS0_17block_load_methodE3ELS4_3ELS4_3ELNS0_20block_scan_algorithmE0ELj4294967295EEENS1_25partition_config_selectorILNS1_17partition_subalgoE3EjNS0_10empty_typeEbEEZZNS1_14partition_implILS8_3ELb0ES6_jNS0_17counting_iteratorIjlEEPS9_SE_NS0_5tupleIJPjSE_EEENSF_IJSE_SE_EEES9_SG_JZNS1_25segmented_radix_sort_implINS0_14default_configELb1EPKaPaPKlPlN2at6native12_GLOBAL__N_18offset_tEEE10hipError_tPvRmT1_PNSt15iterator_traitsISY_E10value_typeET2_T3_PNSZ_IS14_E10value_typeET4_jRbjT5_S1A_jjP12ihipStream_tbEUljE_EEESV_SW_SX_S14_S18_S1A_T6_T7_T9_mT8_S1C_bDpT10_ENKUlT_T0_E_clISt17integral_constantIbLb0EES1O_IbLb1EEEEDaS1K_S1L_EUlS1K_E_NS1_11comp_targetILNS1_3genE10ELNS1_11target_archE1200ELNS1_3gpuE4ELNS1_3repE0EEENS1_30default_config_static_selectorELNS0_4arch9wavefront6targetE0EEEvSY_
	.p2align	8
	.type	_ZN7rocprim17ROCPRIM_400000_NS6detail17trampoline_kernelINS0_13select_configILj256ELj13ELNS0_17block_load_methodE3ELS4_3ELS4_3ELNS0_20block_scan_algorithmE0ELj4294967295EEENS1_25partition_config_selectorILNS1_17partition_subalgoE3EjNS0_10empty_typeEbEEZZNS1_14partition_implILS8_3ELb0ES6_jNS0_17counting_iteratorIjlEEPS9_SE_NS0_5tupleIJPjSE_EEENSF_IJSE_SE_EEES9_SG_JZNS1_25segmented_radix_sort_implINS0_14default_configELb1EPKaPaPKlPlN2at6native12_GLOBAL__N_18offset_tEEE10hipError_tPvRmT1_PNSt15iterator_traitsISY_E10value_typeET2_T3_PNSZ_IS14_E10value_typeET4_jRbjT5_S1A_jjP12ihipStream_tbEUljE_EEESV_SW_SX_S14_S18_S1A_T6_T7_T9_mT8_S1C_bDpT10_ENKUlT_T0_E_clISt17integral_constantIbLb0EES1O_IbLb1EEEEDaS1K_S1L_EUlS1K_E_NS1_11comp_targetILNS1_3genE10ELNS1_11target_archE1200ELNS1_3gpuE4ELNS1_3repE0EEENS1_30default_config_static_selectorELNS0_4arch9wavefront6targetE0EEEvSY_,@function
_ZN7rocprim17ROCPRIM_400000_NS6detail17trampoline_kernelINS0_13select_configILj256ELj13ELNS0_17block_load_methodE3ELS4_3ELS4_3ELNS0_20block_scan_algorithmE0ELj4294967295EEENS1_25partition_config_selectorILNS1_17partition_subalgoE3EjNS0_10empty_typeEbEEZZNS1_14partition_implILS8_3ELb0ES6_jNS0_17counting_iteratorIjlEEPS9_SE_NS0_5tupleIJPjSE_EEENSF_IJSE_SE_EEES9_SG_JZNS1_25segmented_radix_sort_implINS0_14default_configELb1EPKaPaPKlPlN2at6native12_GLOBAL__N_18offset_tEEE10hipError_tPvRmT1_PNSt15iterator_traitsISY_E10value_typeET2_T3_PNSZ_IS14_E10value_typeET4_jRbjT5_S1A_jjP12ihipStream_tbEUljE_EEESV_SW_SX_S14_S18_S1A_T6_T7_T9_mT8_S1C_bDpT10_ENKUlT_T0_E_clISt17integral_constantIbLb0EES1O_IbLb1EEEEDaS1K_S1L_EUlS1K_E_NS1_11comp_targetILNS1_3genE10ELNS1_11target_archE1200ELNS1_3gpuE4ELNS1_3repE0EEENS1_30default_config_static_selectorELNS0_4arch9wavefront6targetE0EEEvSY_: ; @_ZN7rocprim17ROCPRIM_400000_NS6detail17trampoline_kernelINS0_13select_configILj256ELj13ELNS0_17block_load_methodE3ELS4_3ELS4_3ELNS0_20block_scan_algorithmE0ELj4294967295EEENS1_25partition_config_selectorILNS1_17partition_subalgoE3EjNS0_10empty_typeEbEEZZNS1_14partition_implILS8_3ELb0ES6_jNS0_17counting_iteratorIjlEEPS9_SE_NS0_5tupleIJPjSE_EEENSF_IJSE_SE_EEES9_SG_JZNS1_25segmented_radix_sort_implINS0_14default_configELb1EPKaPaPKlPlN2at6native12_GLOBAL__N_18offset_tEEE10hipError_tPvRmT1_PNSt15iterator_traitsISY_E10value_typeET2_T3_PNSZ_IS14_E10value_typeET4_jRbjT5_S1A_jjP12ihipStream_tbEUljE_EEESV_SW_SX_S14_S18_S1A_T6_T7_T9_mT8_S1C_bDpT10_ENKUlT_T0_E_clISt17integral_constantIbLb0EES1O_IbLb1EEEEDaS1K_S1L_EUlS1K_E_NS1_11comp_targetILNS1_3genE10ELNS1_11target_archE1200ELNS1_3gpuE4ELNS1_3repE0EEENS1_30default_config_static_selectorELNS0_4arch9wavefront6targetE0EEEvSY_
; %bb.0:
	.section	.rodata,"a",@progbits
	.p2align	6, 0x0
	.amdhsa_kernel _ZN7rocprim17ROCPRIM_400000_NS6detail17trampoline_kernelINS0_13select_configILj256ELj13ELNS0_17block_load_methodE3ELS4_3ELS4_3ELNS0_20block_scan_algorithmE0ELj4294967295EEENS1_25partition_config_selectorILNS1_17partition_subalgoE3EjNS0_10empty_typeEbEEZZNS1_14partition_implILS8_3ELb0ES6_jNS0_17counting_iteratorIjlEEPS9_SE_NS0_5tupleIJPjSE_EEENSF_IJSE_SE_EEES9_SG_JZNS1_25segmented_radix_sort_implINS0_14default_configELb1EPKaPaPKlPlN2at6native12_GLOBAL__N_18offset_tEEE10hipError_tPvRmT1_PNSt15iterator_traitsISY_E10value_typeET2_T3_PNSZ_IS14_E10value_typeET4_jRbjT5_S1A_jjP12ihipStream_tbEUljE_EEESV_SW_SX_S14_S18_S1A_T6_T7_T9_mT8_S1C_bDpT10_ENKUlT_T0_E_clISt17integral_constantIbLb0EES1O_IbLb1EEEEDaS1K_S1L_EUlS1K_E_NS1_11comp_targetILNS1_3genE10ELNS1_11target_archE1200ELNS1_3gpuE4ELNS1_3repE0EEENS1_30default_config_static_selectorELNS0_4arch9wavefront6targetE0EEEvSY_
		.amdhsa_group_segment_fixed_size 0
		.amdhsa_private_segment_fixed_size 0
		.amdhsa_kernarg_size 152
		.amdhsa_user_sgpr_count 6
		.amdhsa_user_sgpr_private_segment_buffer 1
		.amdhsa_user_sgpr_dispatch_ptr 0
		.amdhsa_user_sgpr_queue_ptr 0
		.amdhsa_user_sgpr_kernarg_segment_ptr 1
		.amdhsa_user_sgpr_dispatch_id 0
		.amdhsa_user_sgpr_flat_scratch_init 0
		.amdhsa_user_sgpr_private_segment_size 0
		.amdhsa_wavefront_size32 1
		.amdhsa_uses_dynamic_stack 0
		.amdhsa_system_sgpr_private_segment_wavefront_offset 0
		.amdhsa_system_sgpr_workgroup_id_x 1
		.amdhsa_system_sgpr_workgroup_id_y 0
		.amdhsa_system_sgpr_workgroup_id_z 0
		.amdhsa_system_sgpr_workgroup_info 0
		.amdhsa_system_vgpr_workitem_id 0
		.amdhsa_next_free_vgpr 1
		.amdhsa_next_free_sgpr 1
		.amdhsa_reserve_vcc 0
		.amdhsa_reserve_flat_scratch 0
		.amdhsa_float_round_mode_32 0
		.amdhsa_float_round_mode_16_64 0
		.amdhsa_float_denorm_mode_32 3
		.amdhsa_float_denorm_mode_16_64 3
		.amdhsa_dx10_clamp 1
		.amdhsa_ieee_mode 1
		.amdhsa_fp16_overflow 0
		.amdhsa_workgroup_processor_mode 1
		.amdhsa_memory_ordered 1
		.amdhsa_forward_progress 1
		.amdhsa_shared_vgpr_count 0
		.amdhsa_exception_fp_ieee_invalid_op 0
		.amdhsa_exception_fp_denorm_src 0
		.amdhsa_exception_fp_ieee_div_zero 0
		.amdhsa_exception_fp_ieee_overflow 0
		.amdhsa_exception_fp_ieee_underflow 0
		.amdhsa_exception_fp_ieee_inexact 0
		.amdhsa_exception_int_div_zero 0
	.end_amdhsa_kernel
	.section	.text._ZN7rocprim17ROCPRIM_400000_NS6detail17trampoline_kernelINS0_13select_configILj256ELj13ELNS0_17block_load_methodE3ELS4_3ELS4_3ELNS0_20block_scan_algorithmE0ELj4294967295EEENS1_25partition_config_selectorILNS1_17partition_subalgoE3EjNS0_10empty_typeEbEEZZNS1_14partition_implILS8_3ELb0ES6_jNS0_17counting_iteratorIjlEEPS9_SE_NS0_5tupleIJPjSE_EEENSF_IJSE_SE_EEES9_SG_JZNS1_25segmented_radix_sort_implINS0_14default_configELb1EPKaPaPKlPlN2at6native12_GLOBAL__N_18offset_tEEE10hipError_tPvRmT1_PNSt15iterator_traitsISY_E10value_typeET2_T3_PNSZ_IS14_E10value_typeET4_jRbjT5_S1A_jjP12ihipStream_tbEUljE_EEESV_SW_SX_S14_S18_S1A_T6_T7_T9_mT8_S1C_bDpT10_ENKUlT_T0_E_clISt17integral_constantIbLb0EES1O_IbLb1EEEEDaS1K_S1L_EUlS1K_E_NS1_11comp_targetILNS1_3genE10ELNS1_11target_archE1200ELNS1_3gpuE4ELNS1_3repE0EEENS1_30default_config_static_selectorELNS0_4arch9wavefront6targetE0EEEvSY_,"axG",@progbits,_ZN7rocprim17ROCPRIM_400000_NS6detail17trampoline_kernelINS0_13select_configILj256ELj13ELNS0_17block_load_methodE3ELS4_3ELS4_3ELNS0_20block_scan_algorithmE0ELj4294967295EEENS1_25partition_config_selectorILNS1_17partition_subalgoE3EjNS0_10empty_typeEbEEZZNS1_14partition_implILS8_3ELb0ES6_jNS0_17counting_iteratorIjlEEPS9_SE_NS0_5tupleIJPjSE_EEENSF_IJSE_SE_EEES9_SG_JZNS1_25segmented_radix_sort_implINS0_14default_configELb1EPKaPaPKlPlN2at6native12_GLOBAL__N_18offset_tEEE10hipError_tPvRmT1_PNSt15iterator_traitsISY_E10value_typeET2_T3_PNSZ_IS14_E10value_typeET4_jRbjT5_S1A_jjP12ihipStream_tbEUljE_EEESV_SW_SX_S14_S18_S1A_T6_T7_T9_mT8_S1C_bDpT10_ENKUlT_T0_E_clISt17integral_constantIbLb0EES1O_IbLb1EEEEDaS1K_S1L_EUlS1K_E_NS1_11comp_targetILNS1_3genE10ELNS1_11target_archE1200ELNS1_3gpuE4ELNS1_3repE0EEENS1_30default_config_static_selectorELNS0_4arch9wavefront6targetE0EEEvSY_,comdat
.Lfunc_end285:
	.size	_ZN7rocprim17ROCPRIM_400000_NS6detail17trampoline_kernelINS0_13select_configILj256ELj13ELNS0_17block_load_methodE3ELS4_3ELS4_3ELNS0_20block_scan_algorithmE0ELj4294967295EEENS1_25partition_config_selectorILNS1_17partition_subalgoE3EjNS0_10empty_typeEbEEZZNS1_14partition_implILS8_3ELb0ES6_jNS0_17counting_iteratorIjlEEPS9_SE_NS0_5tupleIJPjSE_EEENSF_IJSE_SE_EEES9_SG_JZNS1_25segmented_radix_sort_implINS0_14default_configELb1EPKaPaPKlPlN2at6native12_GLOBAL__N_18offset_tEEE10hipError_tPvRmT1_PNSt15iterator_traitsISY_E10value_typeET2_T3_PNSZ_IS14_E10value_typeET4_jRbjT5_S1A_jjP12ihipStream_tbEUljE_EEESV_SW_SX_S14_S18_S1A_T6_T7_T9_mT8_S1C_bDpT10_ENKUlT_T0_E_clISt17integral_constantIbLb0EES1O_IbLb1EEEEDaS1K_S1L_EUlS1K_E_NS1_11comp_targetILNS1_3genE10ELNS1_11target_archE1200ELNS1_3gpuE4ELNS1_3repE0EEENS1_30default_config_static_selectorELNS0_4arch9wavefront6targetE0EEEvSY_, .Lfunc_end285-_ZN7rocprim17ROCPRIM_400000_NS6detail17trampoline_kernelINS0_13select_configILj256ELj13ELNS0_17block_load_methodE3ELS4_3ELS4_3ELNS0_20block_scan_algorithmE0ELj4294967295EEENS1_25partition_config_selectorILNS1_17partition_subalgoE3EjNS0_10empty_typeEbEEZZNS1_14partition_implILS8_3ELb0ES6_jNS0_17counting_iteratorIjlEEPS9_SE_NS0_5tupleIJPjSE_EEENSF_IJSE_SE_EEES9_SG_JZNS1_25segmented_radix_sort_implINS0_14default_configELb1EPKaPaPKlPlN2at6native12_GLOBAL__N_18offset_tEEE10hipError_tPvRmT1_PNSt15iterator_traitsISY_E10value_typeET2_T3_PNSZ_IS14_E10value_typeET4_jRbjT5_S1A_jjP12ihipStream_tbEUljE_EEESV_SW_SX_S14_S18_S1A_T6_T7_T9_mT8_S1C_bDpT10_ENKUlT_T0_E_clISt17integral_constantIbLb0EES1O_IbLb1EEEEDaS1K_S1L_EUlS1K_E_NS1_11comp_targetILNS1_3genE10ELNS1_11target_archE1200ELNS1_3gpuE4ELNS1_3repE0EEENS1_30default_config_static_selectorELNS0_4arch9wavefront6targetE0EEEvSY_
                                        ; -- End function
	.set _ZN7rocprim17ROCPRIM_400000_NS6detail17trampoline_kernelINS0_13select_configILj256ELj13ELNS0_17block_load_methodE3ELS4_3ELS4_3ELNS0_20block_scan_algorithmE0ELj4294967295EEENS1_25partition_config_selectorILNS1_17partition_subalgoE3EjNS0_10empty_typeEbEEZZNS1_14partition_implILS8_3ELb0ES6_jNS0_17counting_iteratorIjlEEPS9_SE_NS0_5tupleIJPjSE_EEENSF_IJSE_SE_EEES9_SG_JZNS1_25segmented_radix_sort_implINS0_14default_configELb1EPKaPaPKlPlN2at6native12_GLOBAL__N_18offset_tEEE10hipError_tPvRmT1_PNSt15iterator_traitsISY_E10value_typeET2_T3_PNSZ_IS14_E10value_typeET4_jRbjT5_S1A_jjP12ihipStream_tbEUljE_EEESV_SW_SX_S14_S18_S1A_T6_T7_T9_mT8_S1C_bDpT10_ENKUlT_T0_E_clISt17integral_constantIbLb0EES1O_IbLb1EEEEDaS1K_S1L_EUlS1K_E_NS1_11comp_targetILNS1_3genE10ELNS1_11target_archE1200ELNS1_3gpuE4ELNS1_3repE0EEENS1_30default_config_static_selectorELNS0_4arch9wavefront6targetE0EEEvSY_.num_vgpr, 0
	.set _ZN7rocprim17ROCPRIM_400000_NS6detail17trampoline_kernelINS0_13select_configILj256ELj13ELNS0_17block_load_methodE3ELS4_3ELS4_3ELNS0_20block_scan_algorithmE0ELj4294967295EEENS1_25partition_config_selectorILNS1_17partition_subalgoE3EjNS0_10empty_typeEbEEZZNS1_14partition_implILS8_3ELb0ES6_jNS0_17counting_iteratorIjlEEPS9_SE_NS0_5tupleIJPjSE_EEENSF_IJSE_SE_EEES9_SG_JZNS1_25segmented_radix_sort_implINS0_14default_configELb1EPKaPaPKlPlN2at6native12_GLOBAL__N_18offset_tEEE10hipError_tPvRmT1_PNSt15iterator_traitsISY_E10value_typeET2_T3_PNSZ_IS14_E10value_typeET4_jRbjT5_S1A_jjP12ihipStream_tbEUljE_EEESV_SW_SX_S14_S18_S1A_T6_T7_T9_mT8_S1C_bDpT10_ENKUlT_T0_E_clISt17integral_constantIbLb0EES1O_IbLb1EEEEDaS1K_S1L_EUlS1K_E_NS1_11comp_targetILNS1_3genE10ELNS1_11target_archE1200ELNS1_3gpuE4ELNS1_3repE0EEENS1_30default_config_static_selectorELNS0_4arch9wavefront6targetE0EEEvSY_.num_agpr, 0
	.set _ZN7rocprim17ROCPRIM_400000_NS6detail17trampoline_kernelINS0_13select_configILj256ELj13ELNS0_17block_load_methodE3ELS4_3ELS4_3ELNS0_20block_scan_algorithmE0ELj4294967295EEENS1_25partition_config_selectorILNS1_17partition_subalgoE3EjNS0_10empty_typeEbEEZZNS1_14partition_implILS8_3ELb0ES6_jNS0_17counting_iteratorIjlEEPS9_SE_NS0_5tupleIJPjSE_EEENSF_IJSE_SE_EEES9_SG_JZNS1_25segmented_radix_sort_implINS0_14default_configELb1EPKaPaPKlPlN2at6native12_GLOBAL__N_18offset_tEEE10hipError_tPvRmT1_PNSt15iterator_traitsISY_E10value_typeET2_T3_PNSZ_IS14_E10value_typeET4_jRbjT5_S1A_jjP12ihipStream_tbEUljE_EEESV_SW_SX_S14_S18_S1A_T6_T7_T9_mT8_S1C_bDpT10_ENKUlT_T0_E_clISt17integral_constantIbLb0EES1O_IbLb1EEEEDaS1K_S1L_EUlS1K_E_NS1_11comp_targetILNS1_3genE10ELNS1_11target_archE1200ELNS1_3gpuE4ELNS1_3repE0EEENS1_30default_config_static_selectorELNS0_4arch9wavefront6targetE0EEEvSY_.numbered_sgpr, 0
	.set _ZN7rocprim17ROCPRIM_400000_NS6detail17trampoline_kernelINS0_13select_configILj256ELj13ELNS0_17block_load_methodE3ELS4_3ELS4_3ELNS0_20block_scan_algorithmE0ELj4294967295EEENS1_25partition_config_selectorILNS1_17partition_subalgoE3EjNS0_10empty_typeEbEEZZNS1_14partition_implILS8_3ELb0ES6_jNS0_17counting_iteratorIjlEEPS9_SE_NS0_5tupleIJPjSE_EEENSF_IJSE_SE_EEES9_SG_JZNS1_25segmented_radix_sort_implINS0_14default_configELb1EPKaPaPKlPlN2at6native12_GLOBAL__N_18offset_tEEE10hipError_tPvRmT1_PNSt15iterator_traitsISY_E10value_typeET2_T3_PNSZ_IS14_E10value_typeET4_jRbjT5_S1A_jjP12ihipStream_tbEUljE_EEESV_SW_SX_S14_S18_S1A_T6_T7_T9_mT8_S1C_bDpT10_ENKUlT_T0_E_clISt17integral_constantIbLb0EES1O_IbLb1EEEEDaS1K_S1L_EUlS1K_E_NS1_11comp_targetILNS1_3genE10ELNS1_11target_archE1200ELNS1_3gpuE4ELNS1_3repE0EEENS1_30default_config_static_selectorELNS0_4arch9wavefront6targetE0EEEvSY_.num_named_barrier, 0
	.set _ZN7rocprim17ROCPRIM_400000_NS6detail17trampoline_kernelINS0_13select_configILj256ELj13ELNS0_17block_load_methodE3ELS4_3ELS4_3ELNS0_20block_scan_algorithmE0ELj4294967295EEENS1_25partition_config_selectorILNS1_17partition_subalgoE3EjNS0_10empty_typeEbEEZZNS1_14partition_implILS8_3ELb0ES6_jNS0_17counting_iteratorIjlEEPS9_SE_NS0_5tupleIJPjSE_EEENSF_IJSE_SE_EEES9_SG_JZNS1_25segmented_radix_sort_implINS0_14default_configELb1EPKaPaPKlPlN2at6native12_GLOBAL__N_18offset_tEEE10hipError_tPvRmT1_PNSt15iterator_traitsISY_E10value_typeET2_T3_PNSZ_IS14_E10value_typeET4_jRbjT5_S1A_jjP12ihipStream_tbEUljE_EEESV_SW_SX_S14_S18_S1A_T6_T7_T9_mT8_S1C_bDpT10_ENKUlT_T0_E_clISt17integral_constantIbLb0EES1O_IbLb1EEEEDaS1K_S1L_EUlS1K_E_NS1_11comp_targetILNS1_3genE10ELNS1_11target_archE1200ELNS1_3gpuE4ELNS1_3repE0EEENS1_30default_config_static_selectorELNS0_4arch9wavefront6targetE0EEEvSY_.private_seg_size, 0
	.set _ZN7rocprim17ROCPRIM_400000_NS6detail17trampoline_kernelINS0_13select_configILj256ELj13ELNS0_17block_load_methodE3ELS4_3ELS4_3ELNS0_20block_scan_algorithmE0ELj4294967295EEENS1_25partition_config_selectorILNS1_17partition_subalgoE3EjNS0_10empty_typeEbEEZZNS1_14partition_implILS8_3ELb0ES6_jNS0_17counting_iteratorIjlEEPS9_SE_NS0_5tupleIJPjSE_EEENSF_IJSE_SE_EEES9_SG_JZNS1_25segmented_radix_sort_implINS0_14default_configELb1EPKaPaPKlPlN2at6native12_GLOBAL__N_18offset_tEEE10hipError_tPvRmT1_PNSt15iterator_traitsISY_E10value_typeET2_T3_PNSZ_IS14_E10value_typeET4_jRbjT5_S1A_jjP12ihipStream_tbEUljE_EEESV_SW_SX_S14_S18_S1A_T6_T7_T9_mT8_S1C_bDpT10_ENKUlT_T0_E_clISt17integral_constantIbLb0EES1O_IbLb1EEEEDaS1K_S1L_EUlS1K_E_NS1_11comp_targetILNS1_3genE10ELNS1_11target_archE1200ELNS1_3gpuE4ELNS1_3repE0EEENS1_30default_config_static_selectorELNS0_4arch9wavefront6targetE0EEEvSY_.uses_vcc, 0
	.set _ZN7rocprim17ROCPRIM_400000_NS6detail17trampoline_kernelINS0_13select_configILj256ELj13ELNS0_17block_load_methodE3ELS4_3ELS4_3ELNS0_20block_scan_algorithmE0ELj4294967295EEENS1_25partition_config_selectorILNS1_17partition_subalgoE3EjNS0_10empty_typeEbEEZZNS1_14partition_implILS8_3ELb0ES6_jNS0_17counting_iteratorIjlEEPS9_SE_NS0_5tupleIJPjSE_EEENSF_IJSE_SE_EEES9_SG_JZNS1_25segmented_radix_sort_implINS0_14default_configELb1EPKaPaPKlPlN2at6native12_GLOBAL__N_18offset_tEEE10hipError_tPvRmT1_PNSt15iterator_traitsISY_E10value_typeET2_T3_PNSZ_IS14_E10value_typeET4_jRbjT5_S1A_jjP12ihipStream_tbEUljE_EEESV_SW_SX_S14_S18_S1A_T6_T7_T9_mT8_S1C_bDpT10_ENKUlT_T0_E_clISt17integral_constantIbLb0EES1O_IbLb1EEEEDaS1K_S1L_EUlS1K_E_NS1_11comp_targetILNS1_3genE10ELNS1_11target_archE1200ELNS1_3gpuE4ELNS1_3repE0EEENS1_30default_config_static_selectorELNS0_4arch9wavefront6targetE0EEEvSY_.uses_flat_scratch, 0
	.set _ZN7rocprim17ROCPRIM_400000_NS6detail17trampoline_kernelINS0_13select_configILj256ELj13ELNS0_17block_load_methodE3ELS4_3ELS4_3ELNS0_20block_scan_algorithmE0ELj4294967295EEENS1_25partition_config_selectorILNS1_17partition_subalgoE3EjNS0_10empty_typeEbEEZZNS1_14partition_implILS8_3ELb0ES6_jNS0_17counting_iteratorIjlEEPS9_SE_NS0_5tupleIJPjSE_EEENSF_IJSE_SE_EEES9_SG_JZNS1_25segmented_radix_sort_implINS0_14default_configELb1EPKaPaPKlPlN2at6native12_GLOBAL__N_18offset_tEEE10hipError_tPvRmT1_PNSt15iterator_traitsISY_E10value_typeET2_T3_PNSZ_IS14_E10value_typeET4_jRbjT5_S1A_jjP12ihipStream_tbEUljE_EEESV_SW_SX_S14_S18_S1A_T6_T7_T9_mT8_S1C_bDpT10_ENKUlT_T0_E_clISt17integral_constantIbLb0EES1O_IbLb1EEEEDaS1K_S1L_EUlS1K_E_NS1_11comp_targetILNS1_3genE10ELNS1_11target_archE1200ELNS1_3gpuE4ELNS1_3repE0EEENS1_30default_config_static_selectorELNS0_4arch9wavefront6targetE0EEEvSY_.has_dyn_sized_stack, 0
	.set _ZN7rocprim17ROCPRIM_400000_NS6detail17trampoline_kernelINS0_13select_configILj256ELj13ELNS0_17block_load_methodE3ELS4_3ELS4_3ELNS0_20block_scan_algorithmE0ELj4294967295EEENS1_25partition_config_selectorILNS1_17partition_subalgoE3EjNS0_10empty_typeEbEEZZNS1_14partition_implILS8_3ELb0ES6_jNS0_17counting_iteratorIjlEEPS9_SE_NS0_5tupleIJPjSE_EEENSF_IJSE_SE_EEES9_SG_JZNS1_25segmented_radix_sort_implINS0_14default_configELb1EPKaPaPKlPlN2at6native12_GLOBAL__N_18offset_tEEE10hipError_tPvRmT1_PNSt15iterator_traitsISY_E10value_typeET2_T3_PNSZ_IS14_E10value_typeET4_jRbjT5_S1A_jjP12ihipStream_tbEUljE_EEESV_SW_SX_S14_S18_S1A_T6_T7_T9_mT8_S1C_bDpT10_ENKUlT_T0_E_clISt17integral_constantIbLb0EES1O_IbLb1EEEEDaS1K_S1L_EUlS1K_E_NS1_11comp_targetILNS1_3genE10ELNS1_11target_archE1200ELNS1_3gpuE4ELNS1_3repE0EEENS1_30default_config_static_selectorELNS0_4arch9wavefront6targetE0EEEvSY_.has_recursion, 0
	.set _ZN7rocprim17ROCPRIM_400000_NS6detail17trampoline_kernelINS0_13select_configILj256ELj13ELNS0_17block_load_methodE3ELS4_3ELS4_3ELNS0_20block_scan_algorithmE0ELj4294967295EEENS1_25partition_config_selectorILNS1_17partition_subalgoE3EjNS0_10empty_typeEbEEZZNS1_14partition_implILS8_3ELb0ES6_jNS0_17counting_iteratorIjlEEPS9_SE_NS0_5tupleIJPjSE_EEENSF_IJSE_SE_EEES9_SG_JZNS1_25segmented_radix_sort_implINS0_14default_configELb1EPKaPaPKlPlN2at6native12_GLOBAL__N_18offset_tEEE10hipError_tPvRmT1_PNSt15iterator_traitsISY_E10value_typeET2_T3_PNSZ_IS14_E10value_typeET4_jRbjT5_S1A_jjP12ihipStream_tbEUljE_EEESV_SW_SX_S14_S18_S1A_T6_T7_T9_mT8_S1C_bDpT10_ENKUlT_T0_E_clISt17integral_constantIbLb0EES1O_IbLb1EEEEDaS1K_S1L_EUlS1K_E_NS1_11comp_targetILNS1_3genE10ELNS1_11target_archE1200ELNS1_3gpuE4ELNS1_3repE0EEENS1_30default_config_static_selectorELNS0_4arch9wavefront6targetE0EEEvSY_.has_indirect_call, 0
	.section	.AMDGPU.csdata,"",@progbits
; Kernel info:
; codeLenInByte = 0
; TotalNumSgprs: 0
; NumVgprs: 0
; ScratchSize: 0
; MemoryBound: 0
; FloatMode: 240
; IeeeMode: 1
; LDSByteSize: 0 bytes/workgroup (compile time only)
; SGPRBlocks: 0
; VGPRBlocks: 0
; NumSGPRsForWavesPerEU: 1
; NumVGPRsForWavesPerEU: 1
; Occupancy: 16
; WaveLimiterHint : 0
; COMPUTE_PGM_RSRC2:SCRATCH_EN: 0
; COMPUTE_PGM_RSRC2:USER_SGPR: 6
; COMPUTE_PGM_RSRC2:TRAP_HANDLER: 0
; COMPUTE_PGM_RSRC2:TGID_X_EN: 1
; COMPUTE_PGM_RSRC2:TGID_Y_EN: 0
; COMPUTE_PGM_RSRC2:TGID_Z_EN: 0
; COMPUTE_PGM_RSRC2:TIDIG_COMP_CNT: 0
	.section	.text._ZN7rocprim17ROCPRIM_400000_NS6detail17trampoline_kernelINS0_13select_configILj256ELj13ELNS0_17block_load_methodE3ELS4_3ELS4_3ELNS0_20block_scan_algorithmE0ELj4294967295EEENS1_25partition_config_selectorILNS1_17partition_subalgoE3EjNS0_10empty_typeEbEEZZNS1_14partition_implILS8_3ELb0ES6_jNS0_17counting_iteratorIjlEEPS9_SE_NS0_5tupleIJPjSE_EEENSF_IJSE_SE_EEES9_SG_JZNS1_25segmented_radix_sort_implINS0_14default_configELb1EPKaPaPKlPlN2at6native12_GLOBAL__N_18offset_tEEE10hipError_tPvRmT1_PNSt15iterator_traitsISY_E10value_typeET2_T3_PNSZ_IS14_E10value_typeET4_jRbjT5_S1A_jjP12ihipStream_tbEUljE_EEESV_SW_SX_S14_S18_S1A_T6_T7_T9_mT8_S1C_bDpT10_ENKUlT_T0_E_clISt17integral_constantIbLb0EES1O_IbLb1EEEEDaS1K_S1L_EUlS1K_E_NS1_11comp_targetILNS1_3genE9ELNS1_11target_archE1100ELNS1_3gpuE3ELNS1_3repE0EEENS1_30default_config_static_selectorELNS0_4arch9wavefront6targetE0EEEvSY_,"axG",@progbits,_ZN7rocprim17ROCPRIM_400000_NS6detail17trampoline_kernelINS0_13select_configILj256ELj13ELNS0_17block_load_methodE3ELS4_3ELS4_3ELNS0_20block_scan_algorithmE0ELj4294967295EEENS1_25partition_config_selectorILNS1_17partition_subalgoE3EjNS0_10empty_typeEbEEZZNS1_14partition_implILS8_3ELb0ES6_jNS0_17counting_iteratorIjlEEPS9_SE_NS0_5tupleIJPjSE_EEENSF_IJSE_SE_EEES9_SG_JZNS1_25segmented_radix_sort_implINS0_14default_configELb1EPKaPaPKlPlN2at6native12_GLOBAL__N_18offset_tEEE10hipError_tPvRmT1_PNSt15iterator_traitsISY_E10value_typeET2_T3_PNSZ_IS14_E10value_typeET4_jRbjT5_S1A_jjP12ihipStream_tbEUljE_EEESV_SW_SX_S14_S18_S1A_T6_T7_T9_mT8_S1C_bDpT10_ENKUlT_T0_E_clISt17integral_constantIbLb0EES1O_IbLb1EEEEDaS1K_S1L_EUlS1K_E_NS1_11comp_targetILNS1_3genE9ELNS1_11target_archE1100ELNS1_3gpuE3ELNS1_3repE0EEENS1_30default_config_static_selectorELNS0_4arch9wavefront6targetE0EEEvSY_,comdat
	.globl	_ZN7rocprim17ROCPRIM_400000_NS6detail17trampoline_kernelINS0_13select_configILj256ELj13ELNS0_17block_load_methodE3ELS4_3ELS4_3ELNS0_20block_scan_algorithmE0ELj4294967295EEENS1_25partition_config_selectorILNS1_17partition_subalgoE3EjNS0_10empty_typeEbEEZZNS1_14partition_implILS8_3ELb0ES6_jNS0_17counting_iteratorIjlEEPS9_SE_NS0_5tupleIJPjSE_EEENSF_IJSE_SE_EEES9_SG_JZNS1_25segmented_radix_sort_implINS0_14default_configELb1EPKaPaPKlPlN2at6native12_GLOBAL__N_18offset_tEEE10hipError_tPvRmT1_PNSt15iterator_traitsISY_E10value_typeET2_T3_PNSZ_IS14_E10value_typeET4_jRbjT5_S1A_jjP12ihipStream_tbEUljE_EEESV_SW_SX_S14_S18_S1A_T6_T7_T9_mT8_S1C_bDpT10_ENKUlT_T0_E_clISt17integral_constantIbLb0EES1O_IbLb1EEEEDaS1K_S1L_EUlS1K_E_NS1_11comp_targetILNS1_3genE9ELNS1_11target_archE1100ELNS1_3gpuE3ELNS1_3repE0EEENS1_30default_config_static_selectorELNS0_4arch9wavefront6targetE0EEEvSY_ ; -- Begin function _ZN7rocprim17ROCPRIM_400000_NS6detail17trampoline_kernelINS0_13select_configILj256ELj13ELNS0_17block_load_methodE3ELS4_3ELS4_3ELNS0_20block_scan_algorithmE0ELj4294967295EEENS1_25partition_config_selectorILNS1_17partition_subalgoE3EjNS0_10empty_typeEbEEZZNS1_14partition_implILS8_3ELb0ES6_jNS0_17counting_iteratorIjlEEPS9_SE_NS0_5tupleIJPjSE_EEENSF_IJSE_SE_EEES9_SG_JZNS1_25segmented_radix_sort_implINS0_14default_configELb1EPKaPaPKlPlN2at6native12_GLOBAL__N_18offset_tEEE10hipError_tPvRmT1_PNSt15iterator_traitsISY_E10value_typeET2_T3_PNSZ_IS14_E10value_typeET4_jRbjT5_S1A_jjP12ihipStream_tbEUljE_EEESV_SW_SX_S14_S18_S1A_T6_T7_T9_mT8_S1C_bDpT10_ENKUlT_T0_E_clISt17integral_constantIbLb0EES1O_IbLb1EEEEDaS1K_S1L_EUlS1K_E_NS1_11comp_targetILNS1_3genE9ELNS1_11target_archE1100ELNS1_3gpuE3ELNS1_3repE0EEENS1_30default_config_static_selectorELNS0_4arch9wavefront6targetE0EEEvSY_
	.p2align	8
	.type	_ZN7rocprim17ROCPRIM_400000_NS6detail17trampoline_kernelINS0_13select_configILj256ELj13ELNS0_17block_load_methodE3ELS4_3ELS4_3ELNS0_20block_scan_algorithmE0ELj4294967295EEENS1_25partition_config_selectorILNS1_17partition_subalgoE3EjNS0_10empty_typeEbEEZZNS1_14partition_implILS8_3ELb0ES6_jNS0_17counting_iteratorIjlEEPS9_SE_NS0_5tupleIJPjSE_EEENSF_IJSE_SE_EEES9_SG_JZNS1_25segmented_radix_sort_implINS0_14default_configELb1EPKaPaPKlPlN2at6native12_GLOBAL__N_18offset_tEEE10hipError_tPvRmT1_PNSt15iterator_traitsISY_E10value_typeET2_T3_PNSZ_IS14_E10value_typeET4_jRbjT5_S1A_jjP12ihipStream_tbEUljE_EEESV_SW_SX_S14_S18_S1A_T6_T7_T9_mT8_S1C_bDpT10_ENKUlT_T0_E_clISt17integral_constantIbLb0EES1O_IbLb1EEEEDaS1K_S1L_EUlS1K_E_NS1_11comp_targetILNS1_3genE9ELNS1_11target_archE1100ELNS1_3gpuE3ELNS1_3repE0EEENS1_30default_config_static_selectorELNS0_4arch9wavefront6targetE0EEEvSY_,@function
_ZN7rocprim17ROCPRIM_400000_NS6detail17trampoline_kernelINS0_13select_configILj256ELj13ELNS0_17block_load_methodE3ELS4_3ELS4_3ELNS0_20block_scan_algorithmE0ELj4294967295EEENS1_25partition_config_selectorILNS1_17partition_subalgoE3EjNS0_10empty_typeEbEEZZNS1_14partition_implILS8_3ELb0ES6_jNS0_17counting_iteratorIjlEEPS9_SE_NS0_5tupleIJPjSE_EEENSF_IJSE_SE_EEES9_SG_JZNS1_25segmented_radix_sort_implINS0_14default_configELb1EPKaPaPKlPlN2at6native12_GLOBAL__N_18offset_tEEE10hipError_tPvRmT1_PNSt15iterator_traitsISY_E10value_typeET2_T3_PNSZ_IS14_E10value_typeET4_jRbjT5_S1A_jjP12ihipStream_tbEUljE_EEESV_SW_SX_S14_S18_S1A_T6_T7_T9_mT8_S1C_bDpT10_ENKUlT_T0_E_clISt17integral_constantIbLb0EES1O_IbLb1EEEEDaS1K_S1L_EUlS1K_E_NS1_11comp_targetILNS1_3genE9ELNS1_11target_archE1100ELNS1_3gpuE3ELNS1_3repE0EEENS1_30default_config_static_selectorELNS0_4arch9wavefront6targetE0EEEvSY_: ; @_ZN7rocprim17ROCPRIM_400000_NS6detail17trampoline_kernelINS0_13select_configILj256ELj13ELNS0_17block_load_methodE3ELS4_3ELS4_3ELNS0_20block_scan_algorithmE0ELj4294967295EEENS1_25partition_config_selectorILNS1_17partition_subalgoE3EjNS0_10empty_typeEbEEZZNS1_14partition_implILS8_3ELb0ES6_jNS0_17counting_iteratorIjlEEPS9_SE_NS0_5tupleIJPjSE_EEENSF_IJSE_SE_EEES9_SG_JZNS1_25segmented_radix_sort_implINS0_14default_configELb1EPKaPaPKlPlN2at6native12_GLOBAL__N_18offset_tEEE10hipError_tPvRmT1_PNSt15iterator_traitsISY_E10value_typeET2_T3_PNSZ_IS14_E10value_typeET4_jRbjT5_S1A_jjP12ihipStream_tbEUljE_EEESV_SW_SX_S14_S18_S1A_T6_T7_T9_mT8_S1C_bDpT10_ENKUlT_T0_E_clISt17integral_constantIbLb0EES1O_IbLb1EEEEDaS1K_S1L_EUlS1K_E_NS1_11comp_targetILNS1_3genE9ELNS1_11target_archE1100ELNS1_3gpuE3ELNS1_3repE0EEENS1_30default_config_static_selectorELNS0_4arch9wavefront6targetE0EEEvSY_
; %bb.0:
	.section	.rodata,"a",@progbits
	.p2align	6, 0x0
	.amdhsa_kernel _ZN7rocprim17ROCPRIM_400000_NS6detail17trampoline_kernelINS0_13select_configILj256ELj13ELNS0_17block_load_methodE3ELS4_3ELS4_3ELNS0_20block_scan_algorithmE0ELj4294967295EEENS1_25partition_config_selectorILNS1_17partition_subalgoE3EjNS0_10empty_typeEbEEZZNS1_14partition_implILS8_3ELb0ES6_jNS0_17counting_iteratorIjlEEPS9_SE_NS0_5tupleIJPjSE_EEENSF_IJSE_SE_EEES9_SG_JZNS1_25segmented_radix_sort_implINS0_14default_configELb1EPKaPaPKlPlN2at6native12_GLOBAL__N_18offset_tEEE10hipError_tPvRmT1_PNSt15iterator_traitsISY_E10value_typeET2_T3_PNSZ_IS14_E10value_typeET4_jRbjT5_S1A_jjP12ihipStream_tbEUljE_EEESV_SW_SX_S14_S18_S1A_T6_T7_T9_mT8_S1C_bDpT10_ENKUlT_T0_E_clISt17integral_constantIbLb0EES1O_IbLb1EEEEDaS1K_S1L_EUlS1K_E_NS1_11comp_targetILNS1_3genE9ELNS1_11target_archE1100ELNS1_3gpuE3ELNS1_3repE0EEENS1_30default_config_static_selectorELNS0_4arch9wavefront6targetE0EEEvSY_
		.amdhsa_group_segment_fixed_size 0
		.amdhsa_private_segment_fixed_size 0
		.amdhsa_kernarg_size 152
		.amdhsa_user_sgpr_count 6
		.amdhsa_user_sgpr_private_segment_buffer 1
		.amdhsa_user_sgpr_dispatch_ptr 0
		.amdhsa_user_sgpr_queue_ptr 0
		.amdhsa_user_sgpr_kernarg_segment_ptr 1
		.amdhsa_user_sgpr_dispatch_id 0
		.amdhsa_user_sgpr_flat_scratch_init 0
		.amdhsa_user_sgpr_private_segment_size 0
		.amdhsa_wavefront_size32 1
		.amdhsa_uses_dynamic_stack 0
		.amdhsa_system_sgpr_private_segment_wavefront_offset 0
		.amdhsa_system_sgpr_workgroup_id_x 1
		.amdhsa_system_sgpr_workgroup_id_y 0
		.amdhsa_system_sgpr_workgroup_id_z 0
		.amdhsa_system_sgpr_workgroup_info 0
		.amdhsa_system_vgpr_workitem_id 0
		.amdhsa_next_free_vgpr 1
		.amdhsa_next_free_sgpr 1
		.amdhsa_reserve_vcc 0
		.amdhsa_reserve_flat_scratch 0
		.amdhsa_float_round_mode_32 0
		.amdhsa_float_round_mode_16_64 0
		.amdhsa_float_denorm_mode_32 3
		.amdhsa_float_denorm_mode_16_64 3
		.amdhsa_dx10_clamp 1
		.amdhsa_ieee_mode 1
		.amdhsa_fp16_overflow 0
		.amdhsa_workgroup_processor_mode 1
		.amdhsa_memory_ordered 1
		.amdhsa_forward_progress 1
		.amdhsa_shared_vgpr_count 0
		.amdhsa_exception_fp_ieee_invalid_op 0
		.amdhsa_exception_fp_denorm_src 0
		.amdhsa_exception_fp_ieee_div_zero 0
		.amdhsa_exception_fp_ieee_overflow 0
		.amdhsa_exception_fp_ieee_underflow 0
		.amdhsa_exception_fp_ieee_inexact 0
		.amdhsa_exception_int_div_zero 0
	.end_amdhsa_kernel
	.section	.text._ZN7rocprim17ROCPRIM_400000_NS6detail17trampoline_kernelINS0_13select_configILj256ELj13ELNS0_17block_load_methodE3ELS4_3ELS4_3ELNS0_20block_scan_algorithmE0ELj4294967295EEENS1_25partition_config_selectorILNS1_17partition_subalgoE3EjNS0_10empty_typeEbEEZZNS1_14partition_implILS8_3ELb0ES6_jNS0_17counting_iteratorIjlEEPS9_SE_NS0_5tupleIJPjSE_EEENSF_IJSE_SE_EEES9_SG_JZNS1_25segmented_radix_sort_implINS0_14default_configELb1EPKaPaPKlPlN2at6native12_GLOBAL__N_18offset_tEEE10hipError_tPvRmT1_PNSt15iterator_traitsISY_E10value_typeET2_T3_PNSZ_IS14_E10value_typeET4_jRbjT5_S1A_jjP12ihipStream_tbEUljE_EEESV_SW_SX_S14_S18_S1A_T6_T7_T9_mT8_S1C_bDpT10_ENKUlT_T0_E_clISt17integral_constantIbLb0EES1O_IbLb1EEEEDaS1K_S1L_EUlS1K_E_NS1_11comp_targetILNS1_3genE9ELNS1_11target_archE1100ELNS1_3gpuE3ELNS1_3repE0EEENS1_30default_config_static_selectorELNS0_4arch9wavefront6targetE0EEEvSY_,"axG",@progbits,_ZN7rocprim17ROCPRIM_400000_NS6detail17trampoline_kernelINS0_13select_configILj256ELj13ELNS0_17block_load_methodE3ELS4_3ELS4_3ELNS0_20block_scan_algorithmE0ELj4294967295EEENS1_25partition_config_selectorILNS1_17partition_subalgoE3EjNS0_10empty_typeEbEEZZNS1_14partition_implILS8_3ELb0ES6_jNS0_17counting_iteratorIjlEEPS9_SE_NS0_5tupleIJPjSE_EEENSF_IJSE_SE_EEES9_SG_JZNS1_25segmented_radix_sort_implINS0_14default_configELb1EPKaPaPKlPlN2at6native12_GLOBAL__N_18offset_tEEE10hipError_tPvRmT1_PNSt15iterator_traitsISY_E10value_typeET2_T3_PNSZ_IS14_E10value_typeET4_jRbjT5_S1A_jjP12ihipStream_tbEUljE_EEESV_SW_SX_S14_S18_S1A_T6_T7_T9_mT8_S1C_bDpT10_ENKUlT_T0_E_clISt17integral_constantIbLb0EES1O_IbLb1EEEEDaS1K_S1L_EUlS1K_E_NS1_11comp_targetILNS1_3genE9ELNS1_11target_archE1100ELNS1_3gpuE3ELNS1_3repE0EEENS1_30default_config_static_selectorELNS0_4arch9wavefront6targetE0EEEvSY_,comdat
.Lfunc_end286:
	.size	_ZN7rocprim17ROCPRIM_400000_NS6detail17trampoline_kernelINS0_13select_configILj256ELj13ELNS0_17block_load_methodE3ELS4_3ELS4_3ELNS0_20block_scan_algorithmE0ELj4294967295EEENS1_25partition_config_selectorILNS1_17partition_subalgoE3EjNS0_10empty_typeEbEEZZNS1_14partition_implILS8_3ELb0ES6_jNS0_17counting_iteratorIjlEEPS9_SE_NS0_5tupleIJPjSE_EEENSF_IJSE_SE_EEES9_SG_JZNS1_25segmented_radix_sort_implINS0_14default_configELb1EPKaPaPKlPlN2at6native12_GLOBAL__N_18offset_tEEE10hipError_tPvRmT1_PNSt15iterator_traitsISY_E10value_typeET2_T3_PNSZ_IS14_E10value_typeET4_jRbjT5_S1A_jjP12ihipStream_tbEUljE_EEESV_SW_SX_S14_S18_S1A_T6_T7_T9_mT8_S1C_bDpT10_ENKUlT_T0_E_clISt17integral_constantIbLb0EES1O_IbLb1EEEEDaS1K_S1L_EUlS1K_E_NS1_11comp_targetILNS1_3genE9ELNS1_11target_archE1100ELNS1_3gpuE3ELNS1_3repE0EEENS1_30default_config_static_selectorELNS0_4arch9wavefront6targetE0EEEvSY_, .Lfunc_end286-_ZN7rocprim17ROCPRIM_400000_NS6detail17trampoline_kernelINS0_13select_configILj256ELj13ELNS0_17block_load_methodE3ELS4_3ELS4_3ELNS0_20block_scan_algorithmE0ELj4294967295EEENS1_25partition_config_selectorILNS1_17partition_subalgoE3EjNS0_10empty_typeEbEEZZNS1_14partition_implILS8_3ELb0ES6_jNS0_17counting_iteratorIjlEEPS9_SE_NS0_5tupleIJPjSE_EEENSF_IJSE_SE_EEES9_SG_JZNS1_25segmented_radix_sort_implINS0_14default_configELb1EPKaPaPKlPlN2at6native12_GLOBAL__N_18offset_tEEE10hipError_tPvRmT1_PNSt15iterator_traitsISY_E10value_typeET2_T3_PNSZ_IS14_E10value_typeET4_jRbjT5_S1A_jjP12ihipStream_tbEUljE_EEESV_SW_SX_S14_S18_S1A_T6_T7_T9_mT8_S1C_bDpT10_ENKUlT_T0_E_clISt17integral_constantIbLb0EES1O_IbLb1EEEEDaS1K_S1L_EUlS1K_E_NS1_11comp_targetILNS1_3genE9ELNS1_11target_archE1100ELNS1_3gpuE3ELNS1_3repE0EEENS1_30default_config_static_selectorELNS0_4arch9wavefront6targetE0EEEvSY_
                                        ; -- End function
	.set _ZN7rocprim17ROCPRIM_400000_NS6detail17trampoline_kernelINS0_13select_configILj256ELj13ELNS0_17block_load_methodE3ELS4_3ELS4_3ELNS0_20block_scan_algorithmE0ELj4294967295EEENS1_25partition_config_selectorILNS1_17partition_subalgoE3EjNS0_10empty_typeEbEEZZNS1_14partition_implILS8_3ELb0ES6_jNS0_17counting_iteratorIjlEEPS9_SE_NS0_5tupleIJPjSE_EEENSF_IJSE_SE_EEES9_SG_JZNS1_25segmented_radix_sort_implINS0_14default_configELb1EPKaPaPKlPlN2at6native12_GLOBAL__N_18offset_tEEE10hipError_tPvRmT1_PNSt15iterator_traitsISY_E10value_typeET2_T3_PNSZ_IS14_E10value_typeET4_jRbjT5_S1A_jjP12ihipStream_tbEUljE_EEESV_SW_SX_S14_S18_S1A_T6_T7_T9_mT8_S1C_bDpT10_ENKUlT_T0_E_clISt17integral_constantIbLb0EES1O_IbLb1EEEEDaS1K_S1L_EUlS1K_E_NS1_11comp_targetILNS1_3genE9ELNS1_11target_archE1100ELNS1_3gpuE3ELNS1_3repE0EEENS1_30default_config_static_selectorELNS0_4arch9wavefront6targetE0EEEvSY_.num_vgpr, 0
	.set _ZN7rocprim17ROCPRIM_400000_NS6detail17trampoline_kernelINS0_13select_configILj256ELj13ELNS0_17block_load_methodE3ELS4_3ELS4_3ELNS0_20block_scan_algorithmE0ELj4294967295EEENS1_25partition_config_selectorILNS1_17partition_subalgoE3EjNS0_10empty_typeEbEEZZNS1_14partition_implILS8_3ELb0ES6_jNS0_17counting_iteratorIjlEEPS9_SE_NS0_5tupleIJPjSE_EEENSF_IJSE_SE_EEES9_SG_JZNS1_25segmented_radix_sort_implINS0_14default_configELb1EPKaPaPKlPlN2at6native12_GLOBAL__N_18offset_tEEE10hipError_tPvRmT1_PNSt15iterator_traitsISY_E10value_typeET2_T3_PNSZ_IS14_E10value_typeET4_jRbjT5_S1A_jjP12ihipStream_tbEUljE_EEESV_SW_SX_S14_S18_S1A_T6_T7_T9_mT8_S1C_bDpT10_ENKUlT_T0_E_clISt17integral_constantIbLb0EES1O_IbLb1EEEEDaS1K_S1L_EUlS1K_E_NS1_11comp_targetILNS1_3genE9ELNS1_11target_archE1100ELNS1_3gpuE3ELNS1_3repE0EEENS1_30default_config_static_selectorELNS0_4arch9wavefront6targetE0EEEvSY_.num_agpr, 0
	.set _ZN7rocprim17ROCPRIM_400000_NS6detail17trampoline_kernelINS0_13select_configILj256ELj13ELNS0_17block_load_methodE3ELS4_3ELS4_3ELNS0_20block_scan_algorithmE0ELj4294967295EEENS1_25partition_config_selectorILNS1_17partition_subalgoE3EjNS0_10empty_typeEbEEZZNS1_14partition_implILS8_3ELb0ES6_jNS0_17counting_iteratorIjlEEPS9_SE_NS0_5tupleIJPjSE_EEENSF_IJSE_SE_EEES9_SG_JZNS1_25segmented_radix_sort_implINS0_14default_configELb1EPKaPaPKlPlN2at6native12_GLOBAL__N_18offset_tEEE10hipError_tPvRmT1_PNSt15iterator_traitsISY_E10value_typeET2_T3_PNSZ_IS14_E10value_typeET4_jRbjT5_S1A_jjP12ihipStream_tbEUljE_EEESV_SW_SX_S14_S18_S1A_T6_T7_T9_mT8_S1C_bDpT10_ENKUlT_T0_E_clISt17integral_constantIbLb0EES1O_IbLb1EEEEDaS1K_S1L_EUlS1K_E_NS1_11comp_targetILNS1_3genE9ELNS1_11target_archE1100ELNS1_3gpuE3ELNS1_3repE0EEENS1_30default_config_static_selectorELNS0_4arch9wavefront6targetE0EEEvSY_.numbered_sgpr, 0
	.set _ZN7rocprim17ROCPRIM_400000_NS6detail17trampoline_kernelINS0_13select_configILj256ELj13ELNS0_17block_load_methodE3ELS4_3ELS4_3ELNS0_20block_scan_algorithmE0ELj4294967295EEENS1_25partition_config_selectorILNS1_17partition_subalgoE3EjNS0_10empty_typeEbEEZZNS1_14partition_implILS8_3ELb0ES6_jNS0_17counting_iteratorIjlEEPS9_SE_NS0_5tupleIJPjSE_EEENSF_IJSE_SE_EEES9_SG_JZNS1_25segmented_radix_sort_implINS0_14default_configELb1EPKaPaPKlPlN2at6native12_GLOBAL__N_18offset_tEEE10hipError_tPvRmT1_PNSt15iterator_traitsISY_E10value_typeET2_T3_PNSZ_IS14_E10value_typeET4_jRbjT5_S1A_jjP12ihipStream_tbEUljE_EEESV_SW_SX_S14_S18_S1A_T6_T7_T9_mT8_S1C_bDpT10_ENKUlT_T0_E_clISt17integral_constantIbLb0EES1O_IbLb1EEEEDaS1K_S1L_EUlS1K_E_NS1_11comp_targetILNS1_3genE9ELNS1_11target_archE1100ELNS1_3gpuE3ELNS1_3repE0EEENS1_30default_config_static_selectorELNS0_4arch9wavefront6targetE0EEEvSY_.num_named_barrier, 0
	.set _ZN7rocprim17ROCPRIM_400000_NS6detail17trampoline_kernelINS0_13select_configILj256ELj13ELNS0_17block_load_methodE3ELS4_3ELS4_3ELNS0_20block_scan_algorithmE0ELj4294967295EEENS1_25partition_config_selectorILNS1_17partition_subalgoE3EjNS0_10empty_typeEbEEZZNS1_14partition_implILS8_3ELb0ES6_jNS0_17counting_iteratorIjlEEPS9_SE_NS0_5tupleIJPjSE_EEENSF_IJSE_SE_EEES9_SG_JZNS1_25segmented_radix_sort_implINS0_14default_configELb1EPKaPaPKlPlN2at6native12_GLOBAL__N_18offset_tEEE10hipError_tPvRmT1_PNSt15iterator_traitsISY_E10value_typeET2_T3_PNSZ_IS14_E10value_typeET4_jRbjT5_S1A_jjP12ihipStream_tbEUljE_EEESV_SW_SX_S14_S18_S1A_T6_T7_T9_mT8_S1C_bDpT10_ENKUlT_T0_E_clISt17integral_constantIbLb0EES1O_IbLb1EEEEDaS1K_S1L_EUlS1K_E_NS1_11comp_targetILNS1_3genE9ELNS1_11target_archE1100ELNS1_3gpuE3ELNS1_3repE0EEENS1_30default_config_static_selectorELNS0_4arch9wavefront6targetE0EEEvSY_.private_seg_size, 0
	.set _ZN7rocprim17ROCPRIM_400000_NS6detail17trampoline_kernelINS0_13select_configILj256ELj13ELNS0_17block_load_methodE3ELS4_3ELS4_3ELNS0_20block_scan_algorithmE0ELj4294967295EEENS1_25partition_config_selectorILNS1_17partition_subalgoE3EjNS0_10empty_typeEbEEZZNS1_14partition_implILS8_3ELb0ES6_jNS0_17counting_iteratorIjlEEPS9_SE_NS0_5tupleIJPjSE_EEENSF_IJSE_SE_EEES9_SG_JZNS1_25segmented_radix_sort_implINS0_14default_configELb1EPKaPaPKlPlN2at6native12_GLOBAL__N_18offset_tEEE10hipError_tPvRmT1_PNSt15iterator_traitsISY_E10value_typeET2_T3_PNSZ_IS14_E10value_typeET4_jRbjT5_S1A_jjP12ihipStream_tbEUljE_EEESV_SW_SX_S14_S18_S1A_T6_T7_T9_mT8_S1C_bDpT10_ENKUlT_T0_E_clISt17integral_constantIbLb0EES1O_IbLb1EEEEDaS1K_S1L_EUlS1K_E_NS1_11comp_targetILNS1_3genE9ELNS1_11target_archE1100ELNS1_3gpuE3ELNS1_3repE0EEENS1_30default_config_static_selectorELNS0_4arch9wavefront6targetE0EEEvSY_.uses_vcc, 0
	.set _ZN7rocprim17ROCPRIM_400000_NS6detail17trampoline_kernelINS0_13select_configILj256ELj13ELNS0_17block_load_methodE3ELS4_3ELS4_3ELNS0_20block_scan_algorithmE0ELj4294967295EEENS1_25partition_config_selectorILNS1_17partition_subalgoE3EjNS0_10empty_typeEbEEZZNS1_14partition_implILS8_3ELb0ES6_jNS0_17counting_iteratorIjlEEPS9_SE_NS0_5tupleIJPjSE_EEENSF_IJSE_SE_EEES9_SG_JZNS1_25segmented_radix_sort_implINS0_14default_configELb1EPKaPaPKlPlN2at6native12_GLOBAL__N_18offset_tEEE10hipError_tPvRmT1_PNSt15iterator_traitsISY_E10value_typeET2_T3_PNSZ_IS14_E10value_typeET4_jRbjT5_S1A_jjP12ihipStream_tbEUljE_EEESV_SW_SX_S14_S18_S1A_T6_T7_T9_mT8_S1C_bDpT10_ENKUlT_T0_E_clISt17integral_constantIbLb0EES1O_IbLb1EEEEDaS1K_S1L_EUlS1K_E_NS1_11comp_targetILNS1_3genE9ELNS1_11target_archE1100ELNS1_3gpuE3ELNS1_3repE0EEENS1_30default_config_static_selectorELNS0_4arch9wavefront6targetE0EEEvSY_.uses_flat_scratch, 0
	.set _ZN7rocprim17ROCPRIM_400000_NS6detail17trampoline_kernelINS0_13select_configILj256ELj13ELNS0_17block_load_methodE3ELS4_3ELS4_3ELNS0_20block_scan_algorithmE0ELj4294967295EEENS1_25partition_config_selectorILNS1_17partition_subalgoE3EjNS0_10empty_typeEbEEZZNS1_14partition_implILS8_3ELb0ES6_jNS0_17counting_iteratorIjlEEPS9_SE_NS0_5tupleIJPjSE_EEENSF_IJSE_SE_EEES9_SG_JZNS1_25segmented_radix_sort_implINS0_14default_configELb1EPKaPaPKlPlN2at6native12_GLOBAL__N_18offset_tEEE10hipError_tPvRmT1_PNSt15iterator_traitsISY_E10value_typeET2_T3_PNSZ_IS14_E10value_typeET4_jRbjT5_S1A_jjP12ihipStream_tbEUljE_EEESV_SW_SX_S14_S18_S1A_T6_T7_T9_mT8_S1C_bDpT10_ENKUlT_T0_E_clISt17integral_constantIbLb0EES1O_IbLb1EEEEDaS1K_S1L_EUlS1K_E_NS1_11comp_targetILNS1_3genE9ELNS1_11target_archE1100ELNS1_3gpuE3ELNS1_3repE0EEENS1_30default_config_static_selectorELNS0_4arch9wavefront6targetE0EEEvSY_.has_dyn_sized_stack, 0
	.set _ZN7rocprim17ROCPRIM_400000_NS6detail17trampoline_kernelINS0_13select_configILj256ELj13ELNS0_17block_load_methodE3ELS4_3ELS4_3ELNS0_20block_scan_algorithmE0ELj4294967295EEENS1_25partition_config_selectorILNS1_17partition_subalgoE3EjNS0_10empty_typeEbEEZZNS1_14partition_implILS8_3ELb0ES6_jNS0_17counting_iteratorIjlEEPS9_SE_NS0_5tupleIJPjSE_EEENSF_IJSE_SE_EEES9_SG_JZNS1_25segmented_radix_sort_implINS0_14default_configELb1EPKaPaPKlPlN2at6native12_GLOBAL__N_18offset_tEEE10hipError_tPvRmT1_PNSt15iterator_traitsISY_E10value_typeET2_T3_PNSZ_IS14_E10value_typeET4_jRbjT5_S1A_jjP12ihipStream_tbEUljE_EEESV_SW_SX_S14_S18_S1A_T6_T7_T9_mT8_S1C_bDpT10_ENKUlT_T0_E_clISt17integral_constantIbLb0EES1O_IbLb1EEEEDaS1K_S1L_EUlS1K_E_NS1_11comp_targetILNS1_3genE9ELNS1_11target_archE1100ELNS1_3gpuE3ELNS1_3repE0EEENS1_30default_config_static_selectorELNS0_4arch9wavefront6targetE0EEEvSY_.has_recursion, 0
	.set _ZN7rocprim17ROCPRIM_400000_NS6detail17trampoline_kernelINS0_13select_configILj256ELj13ELNS0_17block_load_methodE3ELS4_3ELS4_3ELNS0_20block_scan_algorithmE0ELj4294967295EEENS1_25partition_config_selectorILNS1_17partition_subalgoE3EjNS0_10empty_typeEbEEZZNS1_14partition_implILS8_3ELb0ES6_jNS0_17counting_iteratorIjlEEPS9_SE_NS0_5tupleIJPjSE_EEENSF_IJSE_SE_EEES9_SG_JZNS1_25segmented_radix_sort_implINS0_14default_configELb1EPKaPaPKlPlN2at6native12_GLOBAL__N_18offset_tEEE10hipError_tPvRmT1_PNSt15iterator_traitsISY_E10value_typeET2_T3_PNSZ_IS14_E10value_typeET4_jRbjT5_S1A_jjP12ihipStream_tbEUljE_EEESV_SW_SX_S14_S18_S1A_T6_T7_T9_mT8_S1C_bDpT10_ENKUlT_T0_E_clISt17integral_constantIbLb0EES1O_IbLb1EEEEDaS1K_S1L_EUlS1K_E_NS1_11comp_targetILNS1_3genE9ELNS1_11target_archE1100ELNS1_3gpuE3ELNS1_3repE0EEENS1_30default_config_static_selectorELNS0_4arch9wavefront6targetE0EEEvSY_.has_indirect_call, 0
	.section	.AMDGPU.csdata,"",@progbits
; Kernel info:
; codeLenInByte = 0
; TotalNumSgprs: 0
; NumVgprs: 0
; ScratchSize: 0
; MemoryBound: 0
; FloatMode: 240
; IeeeMode: 1
; LDSByteSize: 0 bytes/workgroup (compile time only)
; SGPRBlocks: 0
; VGPRBlocks: 0
; NumSGPRsForWavesPerEU: 1
; NumVGPRsForWavesPerEU: 1
; Occupancy: 16
; WaveLimiterHint : 0
; COMPUTE_PGM_RSRC2:SCRATCH_EN: 0
; COMPUTE_PGM_RSRC2:USER_SGPR: 6
; COMPUTE_PGM_RSRC2:TRAP_HANDLER: 0
; COMPUTE_PGM_RSRC2:TGID_X_EN: 1
; COMPUTE_PGM_RSRC2:TGID_Y_EN: 0
; COMPUTE_PGM_RSRC2:TGID_Z_EN: 0
; COMPUTE_PGM_RSRC2:TIDIG_COMP_CNT: 0
	.section	.text._ZN7rocprim17ROCPRIM_400000_NS6detail17trampoline_kernelINS0_13select_configILj256ELj13ELNS0_17block_load_methodE3ELS4_3ELS4_3ELNS0_20block_scan_algorithmE0ELj4294967295EEENS1_25partition_config_selectorILNS1_17partition_subalgoE3EjNS0_10empty_typeEbEEZZNS1_14partition_implILS8_3ELb0ES6_jNS0_17counting_iteratorIjlEEPS9_SE_NS0_5tupleIJPjSE_EEENSF_IJSE_SE_EEES9_SG_JZNS1_25segmented_radix_sort_implINS0_14default_configELb1EPKaPaPKlPlN2at6native12_GLOBAL__N_18offset_tEEE10hipError_tPvRmT1_PNSt15iterator_traitsISY_E10value_typeET2_T3_PNSZ_IS14_E10value_typeET4_jRbjT5_S1A_jjP12ihipStream_tbEUljE_EEESV_SW_SX_S14_S18_S1A_T6_T7_T9_mT8_S1C_bDpT10_ENKUlT_T0_E_clISt17integral_constantIbLb0EES1O_IbLb1EEEEDaS1K_S1L_EUlS1K_E_NS1_11comp_targetILNS1_3genE8ELNS1_11target_archE1030ELNS1_3gpuE2ELNS1_3repE0EEENS1_30default_config_static_selectorELNS0_4arch9wavefront6targetE0EEEvSY_,"axG",@progbits,_ZN7rocprim17ROCPRIM_400000_NS6detail17trampoline_kernelINS0_13select_configILj256ELj13ELNS0_17block_load_methodE3ELS4_3ELS4_3ELNS0_20block_scan_algorithmE0ELj4294967295EEENS1_25partition_config_selectorILNS1_17partition_subalgoE3EjNS0_10empty_typeEbEEZZNS1_14partition_implILS8_3ELb0ES6_jNS0_17counting_iteratorIjlEEPS9_SE_NS0_5tupleIJPjSE_EEENSF_IJSE_SE_EEES9_SG_JZNS1_25segmented_radix_sort_implINS0_14default_configELb1EPKaPaPKlPlN2at6native12_GLOBAL__N_18offset_tEEE10hipError_tPvRmT1_PNSt15iterator_traitsISY_E10value_typeET2_T3_PNSZ_IS14_E10value_typeET4_jRbjT5_S1A_jjP12ihipStream_tbEUljE_EEESV_SW_SX_S14_S18_S1A_T6_T7_T9_mT8_S1C_bDpT10_ENKUlT_T0_E_clISt17integral_constantIbLb0EES1O_IbLb1EEEEDaS1K_S1L_EUlS1K_E_NS1_11comp_targetILNS1_3genE8ELNS1_11target_archE1030ELNS1_3gpuE2ELNS1_3repE0EEENS1_30default_config_static_selectorELNS0_4arch9wavefront6targetE0EEEvSY_,comdat
	.globl	_ZN7rocprim17ROCPRIM_400000_NS6detail17trampoline_kernelINS0_13select_configILj256ELj13ELNS0_17block_load_methodE3ELS4_3ELS4_3ELNS0_20block_scan_algorithmE0ELj4294967295EEENS1_25partition_config_selectorILNS1_17partition_subalgoE3EjNS0_10empty_typeEbEEZZNS1_14partition_implILS8_3ELb0ES6_jNS0_17counting_iteratorIjlEEPS9_SE_NS0_5tupleIJPjSE_EEENSF_IJSE_SE_EEES9_SG_JZNS1_25segmented_radix_sort_implINS0_14default_configELb1EPKaPaPKlPlN2at6native12_GLOBAL__N_18offset_tEEE10hipError_tPvRmT1_PNSt15iterator_traitsISY_E10value_typeET2_T3_PNSZ_IS14_E10value_typeET4_jRbjT5_S1A_jjP12ihipStream_tbEUljE_EEESV_SW_SX_S14_S18_S1A_T6_T7_T9_mT8_S1C_bDpT10_ENKUlT_T0_E_clISt17integral_constantIbLb0EES1O_IbLb1EEEEDaS1K_S1L_EUlS1K_E_NS1_11comp_targetILNS1_3genE8ELNS1_11target_archE1030ELNS1_3gpuE2ELNS1_3repE0EEENS1_30default_config_static_selectorELNS0_4arch9wavefront6targetE0EEEvSY_ ; -- Begin function _ZN7rocprim17ROCPRIM_400000_NS6detail17trampoline_kernelINS0_13select_configILj256ELj13ELNS0_17block_load_methodE3ELS4_3ELS4_3ELNS0_20block_scan_algorithmE0ELj4294967295EEENS1_25partition_config_selectorILNS1_17partition_subalgoE3EjNS0_10empty_typeEbEEZZNS1_14partition_implILS8_3ELb0ES6_jNS0_17counting_iteratorIjlEEPS9_SE_NS0_5tupleIJPjSE_EEENSF_IJSE_SE_EEES9_SG_JZNS1_25segmented_radix_sort_implINS0_14default_configELb1EPKaPaPKlPlN2at6native12_GLOBAL__N_18offset_tEEE10hipError_tPvRmT1_PNSt15iterator_traitsISY_E10value_typeET2_T3_PNSZ_IS14_E10value_typeET4_jRbjT5_S1A_jjP12ihipStream_tbEUljE_EEESV_SW_SX_S14_S18_S1A_T6_T7_T9_mT8_S1C_bDpT10_ENKUlT_T0_E_clISt17integral_constantIbLb0EES1O_IbLb1EEEEDaS1K_S1L_EUlS1K_E_NS1_11comp_targetILNS1_3genE8ELNS1_11target_archE1030ELNS1_3gpuE2ELNS1_3repE0EEENS1_30default_config_static_selectorELNS0_4arch9wavefront6targetE0EEEvSY_
	.p2align	8
	.type	_ZN7rocprim17ROCPRIM_400000_NS6detail17trampoline_kernelINS0_13select_configILj256ELj13ELNS0_17block_load_methodE3ELS4_3ELS4_3ELNS0_20block_scan_algorithmE0ELj4294967295EEENS1_25partition_config_selectorILNS1_17partition_subalgoE3EjNS0_10empty_typeEbEEZZNS1_14partition_implILS8_3ELb0ES6_jNS0_17counting_iteratorIjlEEPS9_SE_NS0_5tupleIJPjSE_EEENSF_IJSE_SE_EEES9_SG_JZNS1_25segmented_radix_sort_implINS0_14default_configELb1EPKaPaPKlPlN2at6native12_GLOBAL__N_18offset_tEEE10hipError_tPvRmT1_PNSt15iterator_traitsISY_E10value_typeET2_T3_PNSZ_IS14_E10value_typeET4_jRbjT5_S1A_jjP12ihipStream_tbEUljE_EEESV_SW_SX_S14_S18_S1A_T6_T7_T9_mT8_S1C_bDpT10_ENKUlT_T0_E_clISt17integral_constantIbLb0EES1O_IbLb1EEEEDaS1K_S1L_EUlS1K_E_NS1_11comp_targetILNS1_3genE8ELNS1_11target_archE1030ELNS1_3gpuE2ELNS1_3repE0EEENS1_30default_config_static_selectorELNS0_4arch9wavefront6targetE0EEEvSY_,@function
_ZN7rocprim17ROCPRIM_400000_NS6detail17trampoline_kernelINS0_13select_configILj256ELj13ELNS0_17block_load_methodE3ELS4_3ELS4_3ELNS0_20block_scan_algorithmE0ELj4294967295EEENS1_25partition_config_selectorILNS1_17partition_subalgoE3EjNS0_10empty_typeEbEEZZNS1_14partition_implILS8_3ELb0ES6_jNS0_17counting_iteratorIjlEEPS9_SE_NS0_5tupleIJPjSE_EEENSF_IJSE_SE_EEES9_SG_JZNS1_25segmented_radix_sort_implINS0_14default_configELb1EPKaPaPKlPlN2at6native12_GLOBAL__N_18offset_tEEE10hipError_tPvRmT1_PNSt15iterator_traitsISY_E10value_typeET2_T3_PNSZ_IS14_E10value_typeET4_jRbjT5_S1A_jjP12ihipStream_tbEUljE_EEESV_SW_SX_S14_S18_S1A_T6_T7_T9_mT8_S1C_bDpT10_ENKUlT_T0_E_clISt17integral_constantIbLb0EES1O_IbLb1EEEEDaS1K_S1L_EUlS1K_E_NS1_11comp_targetILNS1_3genE8ELNS1_11target_archE1030ELNS1_3gpuE2ELNS1_3repE0EEENS1_30default_config_static_selectorELNS0_4arch9wavefront6targetE0EEEvSY_: ; @_ZN7rocprim17ROCPRIM_400000_NS6detail17trampoline_kernelINS0_13select_configILj256ELj13ELNS0_17block_load_methodE3ELS4_3ELS4_3ELNS0_20block_scan_algorithmE0ELj4294967295EEENS1_25partition_config_selectorILNS1_17partition_subalgoE3EjNS0_10empty_typeEbEEZZNS1_14partition_implILS8_3ELb0ES6_jNS0_17counting_iteratorIjlEEPS9_SE_NS0_5tupleIJPjSE_EEENSF_IJSE_SE_EEES9_SG_JZNS1_25segmented_radix_sort_implINS0_14default_configELb1EPKaPaPKlPlN2at6native12_GLOBAL__N_18offset_tEEE10hipError_tPvRmT1_PNSt15iterator_traitsISY_E10value_typeET2_T3_PNSZ_IS14_E10value_typeET4_jRbjT5_S1A_jjP12ihipStream_tbEUljE_EEESV_SW_SX_S14_S18_S1A_T6_T7_T9_mT8_S1C_bDpT10_ENKUlT_T0_E_clISt17integral_constantIbLb0EES1O_IbLb1EEEEDaS1K_S1L_EUlS1K_E_NS1_11comp_targetILNS1_3genE8ELNS1_11target_archE1030ELNS1_3gpuE2ELNS1_3repE0EEENS1_30default_config_static_selectorELNS0_4arch9wavefront6targetE0EEEvSY_
; %bb.0:
	s_clause 0x6
	s_load_dwordx2 s[18:19], s[4:5], 0x10
	s_load_dwordx2 s[16:17], s[4:5], 0x28
	;; [unrolled: 1-line block ×3, first 2 shown]
	s_load_dwordx4 s[12:15], s[4:5], 0x48
	s_load_dword s2, s[4:5], 0x90
	s_load_dwordx2 s[22:23], s[4:5], 0x68
	s_load_dwordx4 s[8:11], s[4:5], 0x80
	v_cmp_eq_u32_e64 s0, 0, v0
	s_and_saveexec_b32 s1, s0
	s_cbranch_execz .LBB287_4
; %bb.1:
	s_mov_b32 s6, exec_lo
	s_mov_b32 s3, exec_lo
	v_mbcnt_lo_u32_b32 v1, s6, 0
                                        ; implicit-def: $vgpr2
	v_cmpx_eq_u32_e32 0, v1
	s_cbranch_execz .LBB287_3
; %bb.2:
	s_load_dwordx2 s[24:25], s[4:5], 0x78
	s_bcnt1_i32_b32 s6, s6
	v_mov_b32_e32 v2, 0
	v_mov_b32_e32 v3, s6
	s_waitcnt lgkmcnt(0)
	global_atomic_add v2, v2, v3, s[24:25] glc
.LBB287_3:
	s_or_b32 exec_lo, exec_lo, s3
	s_waitcnt vmcnt(0)
	v_readfirstlane_b32 s3, v2
	v_mov_b32_e32 v2, 0
	v_add_nc_u32_e32 v1, s3, v1
	ds_write_b32 v2, v1
.LBB287_4:
	s_or_b32 exec_lo, exec_lo, s1
	v_mov_b32_e32 v1, 0
	s_clause 0x1
	s_load_dword s3, s[4:5], 0x8
	s_load_dword s1, s[4:5], 0x70
	s_waitcnt lgkmcnt(0)
	s_barrier
	buffer_gl0_inv
	ds_read_b32 v2, v1
	s_waitcnt lgkmcnt(0)
	s_barrier
	buffer_gl0_inv
	global_load_dwordx2 v[18:19], v1, s[14:15]
	v_lshlrev_b32_e32 v44, 2, v0
	s_add_i32 s4, s3, s18
	s_mul_i32 s5, s1, 0xd00
	s_add_i32 s1, s1, -1
	s_add_i32 s3, s5, s18
	s_sub_i32 s15, s20, s3
	v_readfirstlane_b32 s25, v2
	s_addk_i32 s15, 0xd00
	s_add_u32 s6, s18, s5
	s_addc_u32 s7, s19, 0
	v_cmp_ne_u32_e32 vcc_lo, s1, v2
	v_cmp_gt_u64_e64 s3, s[20:21], s[6:7]
	s_cmp_eq_u32 s25, s1
	s_mul_i32 s24, s25, 0xd00
	s_cselect_b32 s14, -1, 0
	s_mov_b32 s5, -1
	s_or_b32 s3, s3, vcc_lo
	s_and_b32 vcc_lo, exec_lo, s3
	s_cbranch_vccz .LBB287_6
; %bb.5:
	v_add3_u32 v1, s24, s4, v0
	s_mov_b32 s5, 0
	v_add_nc_u32_e32 v2, 0x100, v1
	v_add_nc_u32_e32 v3, 0x200, v1
	;; [unrolled: 1-line block ×12, first 2 shown]
	ds_write2st64_b32 v44, v1, v2 offset1:4
	ds_write2st64_b32 v44, v3, v4 offset0:8 offset1:12
	ds_write2st64_b32 v44, v5, v6 offset0:16 offset1:20
	;; [unrolled: 1-line block ×5, first 2 shown]
	ds_write_b32 v44, v13 offset:12288
	s_waitcnt vmcnt(0) lgkmcnt(0)
	s_barrier
.LBB287_6:
	v_cmp_gt_u32_e64 s1, s15, v0
	v_or_b32_e32 v43, 0x100, v0
	v_or_b32_e32 v42, 0x200, v0
	;; [unrolled: 1-line block ×12, first 2 shown]
	s_andn2_b32 vcc_lo, exec_lo, s5
	s_cbranch_vccnz .LBB287_8
; %bb.7:
	s_add_i32 s4, s24, s4
	v_cmp_gt_u32_e32 vcc_lo, s15, v43
	v_add_nc_u32_e32 v2, s4, v43
	v_add_nc_u32_e32 v3, s4, v42
	;; [unrolled: 1-line block ×5, first 2 shown]
	v_cndmask_b32_e32 v2, 0, v2, vcc_lo
	v_cmp_gt_u32_e32 vcc_lo, s15, v42
	v_add_nc_u32_e32 v7, s4, v38
	v_add_nc_u32_e32 v8, s4, v37
	;; [unrolled: 1-line block ×4, first 2 shown]
	v_cndmask_b32_e32 v3, 0, v3, vcc_lo
	v_cmp_gt_u32_e32 vcc_lo, s15, v41
	v_add_nc_u32_e32 v11, s4, v34
	v_add_nc_u32_e32 v1, s4, v0
	;; [unrolled: 1-line block ×4, first 2 shown]
	v_cndmask_b32_e32 v4, 0, v4, vcc_lo
	v_cmp_gt_u32_e32 vcc_lo, s15, v40
	v_cndmask_b32_e64 v1, 0, v1, s1
	v_cndmask_b32_e32 v5, 0, v5, vcc_lo
	v_cmp_gt_u32_e32 vcc_lo, s15, v39
	v_cndmask_b32_e32 v6, 0, v6, vcc_lo
	v_cmp_gt_u32_e32 vcc_lo, s15, v38
	;; [unrolled: 2-line block ×8, first 2 shown]
	v_cndmask_b32_e32 v13, 0, v13, vcc_lo
	ds_write2st64_b32 v44, v1, v2 offset1:4
	ds_write2st64_b32 v44, v3, v4 offset0:8 offset1:12
	ds_write2st64_b32 v44, v5, v6 offset0:16 offset1:20
	;; [unrolled: 1-line block ×5, first 2 shown]
	ds_write_b32 v44, v13 offset:12288
	s_waitcnt vmcnt(0) lgkmcnt(0)
	s_barrier
.LBB287_8:
	v_mul_u32_u24_e32 v47, 13, v0
	s_waitcnt vmcnt(0)
	buffer_gl0_inv
	v_cndmask_b32_e64 v45, 0, 1, s3
	s_andn2_b32 vcc_lo, exec_lo, s3
	v_lshlrev_b32_e32 v1, 2, v47
	ds_read2_b32 v[28:29], v1 offset0:2 offset1:3
	ds_read2_b32 v[24:25], v1 offset0:6 offset1:7
	;; [unrolled: 1-line block ×3, first 2 shown]
	ds_read2_b32 v[30:31], v1 offset1:1
	ds_read2_b32 v[20:21], v1 offset0:10 offset1:11
	ds_read_b32 v46, v1 offset:48
	ds_read2_b32 v[22:23], v1 offset0:8 offset1:9
	s_waitcnt lgkmcnt(0)
	s_barrier
	buffer_gl0_inv
	s_cbranch_vccnz .LBB287_10
; %bb.9:
	v_add_nc_u32_e32 v1, s9, v29
	v_add_nc_u32_e32 v4, s9, v28
	;; [unrolled: 1-line block ×6, first 2 shown]
	v_mul_lo_u32 v4, v4, s8
	v_mul_lo_u32 v1, v1, s8
	;; [unrolled: 1-line block ×4, first 2 shown]
	v_add_nc_u32_e32 v3, s9, v30
	v_add_nc_u32_e32 v7, s11, v30
	v_mul_lo_u32 v2, v2, s8
	v_mul_lo_u32 v6, v6, s10
	v_add_nc_u32_e32 v10, s11, v27
	v_mul_lo_u32 v3, v3, s8
	v_mul_lo_u32 v7, v7, s10
	v_sub_nc_u32_e32 v1, v1, v5
	v_sub_nc_u32_e32 v4, v4, v8
	v_add_nc_u32_e32 v5, s9, v25
	v_add_nc_u32_e32 v8, s11, v25
	v_sub_nc_u32_e32 v2, v2, v6
	v_add_nc_u32_e32 v6, s9, v27
	v_add_nc_u32_e32 v9, s9, v24
	v_mul_lo_u32 v5, v5, s8
	v_mul_lo_u32 v8, v8, s10
	v_sub_nc_u32_e32 v3, v3, v7
	v_add_nc_u32_e32 v7, s9, v26
	v_add_nc_u32_e32 v11, s11, v24
	v_mul_lo_u32 v6, v6, s8
	v_mul_lo_u32 v10, v10, s10
	v_add_nc_u32_e32 v12, s11, v26
	v_mul_lo_u32 v9, v9, s8
	v_mul_lo_u32 v7, v7, s8
	;; [unrolled: 1-line block ×3, first 2 shown]
	v_sub_nc_u32_e32 v5, v5, v8
	v_mul_lo_u32 v8, v12, s10
	v_cmp_lt_u32_e32 vcc_lo, s2, v1
	v_sub_nc_u32_e32 v6, v6, v10
	v_add_nc_u32_e32 v10, s9, v21
	v_add_nc_u32_e32 v14, s11, v21
	;; [unrolled: 1-line block ×3, first 2 shown]
	v_cndmask_b32_e64 v1, 0, 1, vcc_lo
	v_cmp_lt_u32_e32 vcc_lo, s2, v2
	v_sub_nc_u32_e32 v7, v7, v8
	v_sub_nc_u32_e32 v8, v9, v11
	v_add_nc_u32_e32 v11, s9, v23
	v_mul_lo_u32 v10, v10, s8
	v_mul_lo_u32 v14, v14, s10
	v_cndmask_b32_e64 v2, 0, 1, vcc_lo
	v_cmp_lt_u32_e32 vcc_lo, s2, v5
	v_mul_lo_u32 v11, v11, s8
	v_mul_lo_u32 v15, v15, s10
	v_mov_b32_e32 v9, 8
	v_lshlrev_b16 v2, 8, v2
	v_cndmask_b32_e64 v5, 0, 1, vcc_lo
	v_cmp_lt_u32_e32 vcc_lo, s2, v6
	v_sub_nc_u32_e32 v10, v10, v14
	v_add_nc_u32_e32 v12, s9, v22
	v_add_nc_u32_e32 v16, s11, v22
	v_sub_nc_u32_e32 v11, v11, v15
	v_cndmask_b32_e64 v6, 0, 1, vcc_lo
	v_cmp_lt_u32_e32 vcc_lo, s2, v10
	v_lshrrev_b32_sdwa v2, v9, v2 dst_sel:BYTE_1 dst_unused:UNUSED_PAD src0_sel:DWORD src1_sel:DWORD
	v_add_nc_u32_e32 v13, s9, v20
	v_add_nc_u32_e32 v17, s11, v20
	v_mul_lo_u32 v12, v12, s8
	v_cndmask_b32_e64 v10, 0, 1, vcc_lo
	v_cmp_lt_u32_e32 vcc_lo, s2, v11
	v_mul_lo_u32 v16, v16, s10
	v_mul_lo_u32 v13, v13, s8
	;; [unrolled: 1-line block ×3, first 2 shown]
	v_add_nc_u32_e32 v14, s9, v46
	v_cndmask_b32_e64 v11, 0, 1, vcc_lo
	v_cmp_lt_u32_e32 vcc_lo, s2, v3
	v_add_nc_u32_e32 v15, s11, v46
	v_lshlrev_b16 v1, 8, v1
	v_sub_nc_u32_e32 v12, v12, v16
	v_lshlrev_b16 v11, 8, v11
	v_cndmask_b32_e64 v3, 0, 1, vcc_lo
	v_cmp_lt_u32_e32 vcc_lo, s2, v4
	v_sub_nc_u32_e32 v13, v13, v17
	v_mul_lo_u32 v14, v14, s8
	v_mul_lo_u32 v15, v15, s10
	v_or_b32_e32 v2, v3, v2
	v_cndmask_b32_e64 v3, 0, 1, vcc_lo
	v_cmp_lt_u32_e32 vcc_lo, s2, v7
	v_lshlrev_b16 v6, 8, v6
	v_lshlrev_b16 v10, 8, v10
	;; [unrolled: 1-line block ×3, first 2 shown]
	v_lshrrev_b32_sdwa v1, v9, v1 dst_sel:BYTE_1 dst_unused:UNUSED_PAD src0_sel:DWORD src1_sel:DWORD
	v_cndmask_b32_e64 v4, 0, 1, vcc_lo
	v_cmp_lt_u32_e32 vcc_lo, s2, v8
	v_lshrrev_b32_sdwa v8, v9, v11 dst_sel:BYTE_1 dst_unused:UNUSED_PAD src0_sel:DWORD src1_sel:DWORD
	v_lshrrev_b32_sdwa v6, v9, v6 dst_sel:BYTE_1 dst_unused:UNUSED_PAD src0_sel:DWORD src1_sel:DWORD
	v_sub_nc_u32_e32 v14, v14, v15
	v_lshrrev_b32_sdwa v9, v9, v10 dst_sel:BYTE_1 dst_unused:UNUSED_PAD src0_sel:DWORD src1_sel:DWORD
	v_cndmask_b32_e64 v7, 0, 1, vcc_lo
	v_cmp_lt_u32_e32 vcc_lo, s2, v12
	v_or_b32_sdwa v1, v3, v1 dst_sel:WORD_1 dst_unused:UNUSED_PAD src0_sel:DWORD src1_sel:DWORD
	v_or_b32_e32 v3, v4, v6
	v_or_b32_sdwa v4, v7, v5 dst_sel:WORD_1 dst_unused:UNUSED_PAD src0_sel:DWORD src1_sel:DWORD
	v_cndmask_b32_e64 v11, 0, 1, vcc_lo
	v_cmp_lt_u32_e32 vcc_lo, s2, v13
	v_or_b32_sdwa v52, v2, v1 dst_sel:DWORD dst_unused:UNUSED_PAD src0_sel:WORD_0 src1_sel:DWORD
	v_or_b32_sdwa v50, v3, v4 dst_sel:DWORD dst_unused:UNUSED_PAD src0_sel:WORD_0 src1_sel:DWORD
	v_or_b32_e32 v5, v11, v8
	v_cndmask_b32_e64 v10, 0, 1, vcc_lo
	v_cmp_lt_u32_e32 vcc_lo, s2, v14
	v_or_b32_sdwa v6, v10, v9 dst_sel:WORD_1 dst_unused:UNUSED_PAD src0_sel:DWORD src1_sel:DWORD
	v_cndmask_b32_e64 v48, 0, 1, vcc_lo
	v_or_b32_sdwa v49, v5, v6 dst_sel:DWORD dst_unused:UNUSED_PAD src0_sel:WORD_0 src1_sel:DWORD
	s_cbranch_execz .LBB287_11
	s_branch .LBB287_38
.LBB287_10:
                                        ; implicit-def: $vgpr48
                                        ; implicit-def: $vgpr49
                                        ; implicit-def: $vgpr50
                                        ; implicit-def: $vgpr52
.LBB287_11:
	v_mov_b32_e32 v2, 0
	v_mov_b32_e32 v1, 0
	s_mov_b32 s1, exec_lo
	v_cmpx_gt_u32_e64 s15, v47
	s_cbranch_execz .LBB287_13
; %bb.12:
	v_add_nc_u32_e32 v1, s9, v30
	v_add_nc_u32_e32 v3, s11, v30
	v_mul_lo_u32 v1, v1, s8
	v_mul_lo_u32 v3, v3, s10
	v_sub_nc_u32_e32 v1, v1, v3
	v_cmp_lt_u32_e32 vcc_lo, s2, v1
	v_cndmask_b32_e64 v1, 0, 1, vcc_lo
.LBB287_13:
	s_or_b32 exec_lo, exec_lo, s1
	v_add_nc_u32_e32 v3, 1, v47
	s_mov_b32 s1, exec_lo
	v_cmpx_gt_u32_e64 s15, v3
	s_cbranch_execz .LBB287_15
; %bb.14:
	v_add_nc_u32_e32 v2, s9, v31
	v_add_nc_u32_e32 v3, s11, v31
	v_mul_lo_u32 v2, v2, s8
	v_mul_lo_u32 v3, v3, s10
	v_sub_nc_u32_e32 v2, v2, v3
	v_cmp_lt_u32_e32 vcc_lo, s2, v2
	v_cndmask_b32_e64 v2, 0, 1, vcc_lo
.LBB287_15:
	s_or_b32 exec_lo, exec_lo, s1
	v_add_nc_u32_e32 v3, 2, v47
	v_mov_b32_e32 v4, 0
	v_cmp_gt_u32_e32 vcc_lo, s15, v3
	v_mov_b32_e32 v3, 0
	s_and_saveexec_b32 s1, vcc_lo
	s_cbranch_execz .LBB287_17
; %bb.16:
	v_add_nc_u32_e32 v3, s9, v28
	v_add_nc_u32_e32 v5, s11, v28
	v_mul_lo_u32 v3, v3, s8
	v_mul_lo_u32 v5, v5, s10
	v_sub_nc_u32_e32 v3, v3, v5
	v_cmp_lt_u32_e32 vcc_lo, s2, v3
	v_cndmask_b32_e64 v3, 0, 1, vcc_lo
.LBB287_17:
	s_or_b32 exec_lo, exec_lo, s1
	v_add_nc_u32_e32 v5, 3, v47
	s_mov_b32 s1, exec_lo
	v_cmpx_gt_u32_e64 s15, v5
	s_cbranch_execz .LBB287_19
; %bb.18:
	v_add_nc_u32_e32 v4, s9, v29
	v_add_nc_u32_e32 v5, s11, v29
	v_mul_lo_u32 v4, v4, s8
	v_mul_lo_u32 v5, v5, s10
	v_sub_nc_u32_e32 v4, v4, v5
	v_cmp_lt_u32_e32 vcc_lo, s2, v4
	v_cndmask_b32_e64 v4, 0, 1, vcc_lo
.LBB287_19:
	s_or_b32 exec_lo, exec_lo, s1
	v_add_nc_u32_e32 v5, 4, v47
	v_mov_b32_e32 v6, 0
	v_cmp_gt_u32_e32 vcc_lo, s15, v5
	v_mov_b32_e32 v5, 0
	s_and_saveexec_b32 s1, vcc_lo
	;; [unrolled: 30-line block ×5, first 2 shown]
	s_cbranch_execz .LBB287_33
; %bb.32:
	v_add_nc_u32_e32 v11, s9, v20
	v_add_nc_u32_e32 v13, s11, v20
	v_mul_lo_u32 v11, v11, s8
	v_mul_lo_u32 v13, v13, s10
	v_sub_nc_u32_e32 v11, v11, v13
	v_cmp_lt_u32_e32 vcc_lo, s2, v11
	v_cndmask_b32_e64 v11, 0, 1, vcc_lo
.LBB287_33:
	s_or_b32 exec_lo, exec_lo, s1
	v_add_nc_u32_e32 v13, 11, v47
	s_mov_b32 s1, exec_lo
	v_cmpx_gt_u32_e64 s15, v13
	s_cbranch_execz .LBB287_35
; %bb.34:
	v_add_nc_u32_e32 v12, s9, v21
	v_add_nc_u32_e32 v13, s11, v21
	v_mul_lo_u32 v12, v12, s8
	v_mul_lo_u32 v13, v13, s10
	v_sub_nc_u32_e32 v12, v12, v13
	v_cmp_lt_u32_e32 vcc_lo, s2, v12
	v_cndmask_b32_e64 v12, 0, 1, vcc_lo
.LBB287_35:
	s_or_b32 exec_lo, exec_lo, s1
	v_add_nc_u32_e32 v13, 12, v47
	v_mov_b32_e32 v48, 0
	s_mov_b32 s1, exec_lo
	v_cmpx_gt_u32_e64 s15, v13
	s_cbranch_execz .LBB287_37
; %bb.36:
	v_add_nc_u32_e32 v13, s9, v46
	v_add_nc_u32_e32 v14, s11, v46
	v_mul_lo_u32 v13, v13, s8
	v_mul_lo_u32 v14, v14, s10
	v_sub_nc_u32_e32 v13, v13, v14
	v_cmp_lt_u32_e32 vcc_lo, s2, v13
	v_cndmask_b32_e64 v48, 0, 1, vcc_lo
.LBB287_37:
	s_or_b32 exec_lo, exec_lo, s1
	v_lshlrev_b16 v2, 8, v2
	v_lshlrev_b16 v4, 8, v4
	;; [unrolled: 1-line block ×5, first 2 shown]
	v_or_b32_e32 v1, v1, v2
	v_lshlrev_b16 v2, 8, v12
	v_or_b32_sdwa v3, v3, v4 dst_sel:WORD_1 dst_unused:UNUSED_PAD src0_sel:DWORD src1_sel:DWORD
	v_or_b32_e32 v4, v5, v6
	v_or_b32_sdwa v5, v7, v8 dst_sel:WORD_1 dst_unused:UNUSED_PAD src0_sel:DWORD src1_sel:DWORD
	v_or_b32_e32 v6, v9, v10
	v_or_b32_sdwa v2, v11, v2 dst_sel:WORD_1 dst_unused:UNUSED_PAD src0_sel:DWORD src1_sel:DWORD
	v_or_b32_sdwa v52, v1, v3 dst_sel:DWORD dst_unused:UNUSED_PAD src0_sel:WORD_0 src1_sel:DWORD
	v_or_b32_sdwa v50, v4, v5 dst_sel:DWORD dst_unused:UNUSED_PAD src0_sel:WORD_0 src1_sel:DWORD
	;; [unrolled: 1-line block ×3, first 2 shown]
.LBB287_38:
	v_and_b32_e32 v55, 0xff, v52
	v_bfe_u32 v56, v52, 8, 8
	v_bfe_u32 v57, v52, 16, 8
	v_lshrrev_b32_e32 v54, 24, v52
	v_and_b32_e32 v58, 0xff, v50
	v_bfe_u32 v59, v50, 8, 8
	v_bfe_u32 v60, v50, 16, 8
	v_add3_u32 v1, v56, v55, v57
	v_lshrrev_b32_e32 v53, 24, v50
	v_and_b32_e32 v61, 0xff, v49
	v_bfe_u32 v62, v49, 8, 8
	v_mbcnt_lo_u32_b32 v64, -1, 0
	v_add3_u32 v1, v1, v54, v58
	v_bfe_u32 v63, v49, 16, 8
	v_lshrrev_b32_e32 v51, 24, v49
	v_and_b32_e32 v2, 0xff, v48
	v_and_b32_e32 v3, 15, v64
	v_add3_u32 v1, v1, v59, v60
	v_or_b32_e32 v4, 31, v0
	v_and_b32_e32 v5, 16, v64
	v_lshrrev_b32_e32 v65, 5, v0
	v_cmp_eq_u32_e64 s6, 0, v3
	v_add3_u32 v1, v1, v53, v61
	v_cmp_lt_u32_e64 s5, 1, v3
	v_cmp_lt_u32_e64 s4, 3, v3
	;; [unrolled: 1-line block ×3, first 2 shown]
	v_cmp_eq_u32_e64 s2, 0, v5
	v_add3_u32 v1, v1, v62, v63
	v_cmp_eq_u32_e64 s1, v0, v4
	s_cmp_lg_u32 s25, 0
	s_mov_b32 s7, -1
	v_add3_u32 v66, v1, v51, v2
	s_cbranch_scc0 .LBB287_60
; %bb.39:
	v_mov_b32_dpp v1, v66 row_shr:1 row_mask:0xf bank_mask:0xf
	v_cndmask_b32_e64 v1, v1, 0, s6
	v_add_nc_u32_e32 v1, v1, v66
	v_mov_b32_dpp v2, v1 row_shr:2 row_mask:0xf bank_mask:0xf
	v_cndmask_b32_e64 v2, 0, v2, s5
	v_add_nc_u32_e32 v1, v1, v2
	;; [unrolled: 3-line block ×4, first 2 shown]
	ds_swizzle_b32 v2, v1 offset:swizzle(BROADCAST,32,15)
	s_waitcnt lgkmcnt(0)
	v_cndmask_b32_e64 v2, v2, 0, s2
	v_add_nc_u32_e32 v1, v1, v2
	s_and_saveexec_b32 s7, s1
; %bb.40:
	v_lshlrev_b32_e32 v2, 2, v65
	ds_write_b32 v2, v1
; %bb.41:
	s_or_b32 exec_lo, exec_lo, s7
	s_mov_b32 s7, exec_lo
	s_waitcnt lgkmcnt(0)
	s_barrier
	buffer_gl0_inv
	v_cmpx_gt_u32_e32 8, v0
	s_cbranch_execz .LBB287_43
; %bb.42:
	ds_read_b32 v2, v44
	v_and_b32_e32 v3, 7, v64
	v_cmp_ne_u32_e32 vcc_lo, 0, v3
	s_waitcnt lgkmcnt(0)
	v_mov_b32_dpp v4, v2 row_shr:1 row_mask:0xf bank_mask:0xf
	v_cndmask_b32_e32 v4, 0, v4, vcc_lo
	v_cmp_lt_u32_e32 vcc_lo, 1, v3
	v_add_nc_u32_e32 v2, v4, v2
	v_mov_b32_dpp v4, v2 row_shr:2 row_mask:0xf bank_mask:0xf
	v_cndmask_b32_e32 v4, 0, v4, vcc_lo
	v_cmp_lt_u32_e32 vcc_lo, 3, v3
	v_add_nc_u32_e32 v2, v2, v4
	v_mov_b32_dpp v4, v2 row_shr:4 row_mask:0xf bank_mask:0xf
	v_cndmask_b32_e32 v3, 0, v4, vcc_lo
	v_add_nc_u32_e32 v2, v2, v3
	ds_write_b32 v44, v2
.LBB287_43:
	s_or_b32 exec_lo, exec_lo, s7
	s_mov_b32 s8, exec_lo
	v_cmp_gt_u32_e32 vcc_lo, 32, v0
	s_waitcnt lgkmcnt(0)
	s_barrier
	buffer_gl0_inv
                                        ; implicit-def: $vgpr10
	v_cmpx_lt_u32_e32 31, v0
	s_cbranch_execz .LBB287_45
; %bb.44:
	v_lshl_add_u32 v2, v65, 2, -4
	ds_read_b32 v10, v2
	s_waitcnt lgkmcnt(0)
	v_add_nc_u32_e32 v1, v10, v1
.LBB287_45:
	s_or_b32 exec_lo, exec_lo, s8
	v_sub_co_u32 v2, s7, v64, 1
	v_cmp_gt_i32_e64 s8, 0, v2
	v_cndmask_b32_e64 v2, v2, v64, s8
	v_lshlrev_b32_e32 v2, 2, v2
	ds_bpermute_b32 v11, v2, v1
	s_and_saveexec_b32 s8, vcc_lo
	s_cbranch_execz .LBB287_65
; %bb.46:
	v_mov_b32_e32 v7, 0
	ds_read_b32 v1, v7 offset:28
	s_and_saveexec_b32 s9, s7
	s_cbranch_execz .LBB287_48
; %bb.47:
	s_add_i32 s10, s25, 32
	s_mov_b32 s11, 0
	v_mov_b32_e32 v2, 1
	s_lshl_b64 s[10:11], s[10:11], 3
	s_add_u32 s10, s22, s10
	s_addc_u32 s11, s23, s11
	s_waitcnt lgkmcnt(0)
	global_store_dwordx2 v7, v[1:2], s[10:11]
.LBB287_48:
	s_or_b32 exec_lo, exec_lo, s9
	v_xad_u32 v3, v64, -1, s25
	s_mov_b32 s10, 0
	v_add_nc_u32_e32 v6, 32, v3
	v_lshlrev_b64 v[4:5], 3, v[6:7]
	v_add_co_u32 v8, vcc_lo, s22, v4
	v_add_co_ci_u32_e64 v9, null, s23, v5, vcc_lo
	global_load_dwordx2 v[5:6], v[8:9], off glc dlc
	s_waitcnt vmcnt(0)
	v_cmp_eq_u16_sdwa s11, v6, v7 src0_sel:BYTE_0 src1_sel:DWORD
	s_and_saveexec_b32 s9, s11
	s_cbranch_execz .LBB287_52
; %bb.49:
	v_mov_b32_e32 v2, 0
.LBB287_50:                             ; =>This Inner Loop Header: Depth=1
	global_load_dwordx2 v[5:6], v[8:9], off glc dlc
	s_waitcnt vmcnt(0)
	v_cmp_ne_u16_sdwa s11, v6, v2 src0_sel:BYTE_0 src1_sel:DWORD
	s_or_b32 s10, s11, s10
	s_andn2_b32 exec_lo, exec_lo, s10
	s_cbranch_execnz .LBB287_50
; %bb.51:
	s_or_b32 exec_lo, exec_lo, s10
.LBB287_52:
	s_or_b32 exec_lo, exec_lo, s9
	v_cmp_ne_u32_e32 vcc_lo, 31, v64
	v_mov_b32_e32 v12, 2
	v_lshlrev_b32_e64 v13, v64, -1
	v_add_nc_u32_e32 v15, 2, v64
	v_add_nc_u32_e32 v17, 4, v64
	v_add_co_ci_u32_e64 v2, null, 0, v64, vcc_lo
	v_cmp_eq_u16_sdwa s9, v6, v12 src0_sel:BYTE_0 src1_sel:DWORD
	v_cmp_gt_u32_e32 vcc_lo, 30, v64
	v_add_nc_u32_e32 v68, 8, v64
	v_lshlrev_b32_e32 v9, 2, v2
	v_lshl_or_b32 v69, v64, 2, 64
	v_and_or_b32 v4, s9, v13, 0x80000000
	v_cndmask_b32_e64 v7, 0, 2, vcc_lo
	v_add_nc_u32_e32 v70, 16, v64
	ds_bpermute_b32 v2, v9, v5
	v_ffbl_b32_e32 v4, v4
	v_add_lshl_u32 v14, v7, v64, 2
	v_cmp_lt_u32_e32 vcc_lo, v64, v4
	s_waitcnt lgkmcnt(0)
	v_cndmask_b32_e32 v2, 0, v2, vcc_lo
	v_cmp_gt_u32_e32 vcc_lo, 28, v64
	v_add_nc_u32_e32 v2, v2, v5
	v_cndmask_b32_e64 v7, 0, 4, vcc_lo
	v_cmp_le_u32_e32 vcc_lo, v15, v4
	ds_bpermute_b32 v5, v14, v2
	v_add_lshl_u32 v16, v7, v64, 2
	s_waitcnt lgkmcnt(0)
	v_cndmask_b32_e32 v5, 0, v5, vcc_lo
	v_cmp_gt_u32_e32 vcc_lo, 24, v64
	v_add_nc_u32_e32 v2, v2, v5
	v_cndmask_b32_e64 v7, 0, 8, vcc_lo
	v_cmp_le_u32_e32 vcc_lo, v17, v4
	ds_bpermute_b32 v5, v16, v2
	v_add_lshl_u32 v67, v7, v64, 2
	s_waitcnt lgkmcnt(0)
	v_cndmask_b32_e32 v5, 0, v5, vcc_lo
	v_cmp_le_u32_e32 vcc_lo, v68, v4
	v_add_nc_u32_e32 v2, v2, v5
	ds_bpermute_b32 v5, v67, v2
	s_waitcnt lgkmcnt(0)
	v_cndmask_b32_e32 v5, 0, v5, vcc_lo
	v_cmp_le_u32_e32 vcc_lo, v70, v4
	v_add_nc_u32_e32 v2, v2, v5
	ds_bpermute_b32 v5, v69, v2
	s_waitcnt lgkmcnt(0)
	v_cndmask_b32_e32 v4, 0, v5, vcc_lo
	v_add_nc_u32_e32 v5, v2, v4
	v_mov_b32_e32 v4, 0
	s_branch .LBB287_56
.LBB287_53:                             ;   in Loop: Header=BB287_56 Depth=1
	s_or_b32 exec_lo, exec_lo, s10
.LBB287_54:                             ;   in Loop: Header=BB287_56 Depth=1
	s_or_b32 exec_lo, exec_lo, s9
	ds_bpermute_b32 v7, v9, v5
	v_cmp_eq_u16_sdwa s9, v6, v12 src0_sel:BYTE_0 src1_sel:DWORD
	v_subrev_nc_u32_e32 v3, 32, v3
	v_and_or_b32 v8, s9, v13, 0x80000000
	s_mov_b32 s9, 0
	v_ffbl_b32_e32 v8, v8
	v_cmp_lt_u32_e32 vcc_lo, v64, v8
	s_waitcnt lgkmcnt(0)
	v_cndmask_b32_e32 v7, 0, v7, vcc_lo
	v_cmp_le_u32_e32 vcc_lo, v15, v8
	v_add_nc_u32_e32 v5, v7, v5
	ds_bpermute_b32 v7, v14, v5
	s_waitcnt lgkmcnt(0)
	v_cndmask_b32_e32 v7, 0, v7, vcc_lo
	v_cmp_le_u32_e32 vcc_lo, v17, v8
	v_add_nc_u32_e32 v5, v5, v7
	ds_bpermute_b32 v7, v16, v5
	;; [unrolled: 5-line block ×4, first 2 shown]
	s_waitcnt lgkmcnt(0)
	v_cndmask_b32_e32 v7, 0, v7, vcc_lo
	v_add3_u32 v5, v7, v2, v5
.LBB287_55:                             ;   in Loop: Header=BB287_56 Depth=1
	s_and_b32 vcc_lo, exec_lo, s9
	s_cbranch_vccnz .LBB287_61
.LBB287_56:                             ; =>This Loop Header: Depth=1
                                        ;     Child Loop BB287_59 Depth 2
	v_cmp_ne_u16_sdwa s9, v6, v12 src0_sel:BYTE_0 src1_sel:DWORD
	v_mov_b32_e32 v2, v5
                                        ; implicit-def: $vgpr5
                                        ; implicit-def: $vgpr6
	s_cmp_lg_u32 s9, exec_lo
	s_mov_b32 s9, -1
	s_cbranch_scc1 .LBB287_55
; %bb.57:                               ;   in Loop: Header=BB287_56 Depth=1
	v_lshlrev_b64 v[5:6], 3, v[3:4]
	v_add_co_u32 v7, vcc_lo, s22, v5
	v_add_co_ci_u32_e64 v8, null, s23, v6, vcc_lo
	global_load_dwordx2 v[5:6], v[7:8], off glc dlc
	s_waitcnt vmcnt(0)
	v_cmp_eq_u16_sdwa s10, v6, v4 src0_sel:BYTE_0 src1_sel:DWORD
	s_and_saveexec_b32 s9, s10
	s_cbranch_execz .LBB287_54
; %bb.58:                               ;   in Loop: Header=BB287_56 Depth=1
	s_mov_b32 s10, 0
.LBB287_59:                             ;   Parent Loop BB287_56 Depth=1
                                        ; =>  This Inner Loop Header: Depth=2
	global_load_dwordx2 v[5:6], v[7:8], off glc dlc
	s_waitcnt vmcnt(0)
	v_cmp_ne_u16_sdwa s11, v6, v4 src0_sel:BYTE_0 src1_sel:DWORD
	s_or_b32 s10, s11, s10
	s_andn2_b32 exec_lo, exec_lo, s10
	s_cbranch_execnz .LBB287_59
	s_branch .LBB287_53
.LBB287_60:
                                        ; implicit-def: $vgpr17
                                        ; implicit-def: $vgpr1_vgpr2_vgpr3_vgpr4_vgpr5_vgpr6_vgpr7_vgpr8_vgpr9_vgpr10_vgpr11_vgpr12_vgpr13_vgpr14_vgpr15_vgpr16
	s_and_b32 vcc_lo, exec_lo, s7
	s_cbranch_vccnz .LBB287_66
	s_branch .LBB287_75
.LBB287_61:
	s_and_saveexec_b32 s9, s7
	s_cbranch_execz .LBB287_63
; %bb.62:
	s_add_i32 s10, s25, 32
	s_mov_b32 s11, 0
	v_add_nc_u32_e32 v3, v2, v1
	v_mov_b32_e32 v4, 2
	s_lshl_b64 s[10:11], s[10:11], 3
	v_mov_b32_e32 v5, 0
	s_add_u32 s10, s22, s10
	s_addc_u32 s11, s23, s11
	global_store_dwordx2 v5, v[3:4], s[10:11]
	ds_write_b64 v5, v[1:2] offset:13312
.LBB287_63:
	s_or_b32 exec_lo, exec_lo, s9
	s_and_b32 exec_lo, exec_lo, s0
; %bb.64:
	v_mov_b32_e32 v1, 0
	ds_write_b32 v1, v2 offset:28
.LBB287_65:
	s_or_b32 exec_lo, exec_lo, s8
	v_mov_b32_e32 v12, 0
	s_waitcnt lgkmcnt(0)
	s_waitcnt_vscnt null, 0x0
	s_barrier
	buffer_gl0_inv
	v_cndmask_b32_e64 v2, v11, v10, s7
	ds_read_b32 v1, v12 offset:28
	s_waitcnt lgkmcnt(0)
	s_barrier
	buffer_gl0_inv
	v_cndmask_b32_e64 v2, v2, 0, s0
	ds_read_b64 v[16:17], v12 offset:13312
	v_add_nc_u32_e32 v1, v1, v2
	v_add_nc_u32_e32 v2, v1, v55
	;; [unrolled: 1-line block ×13, first 2 shown]
	s_branch .LBB287_75
.LBB287_66:
	v_mov_b32_dpp v1, v66 row_shr:1 row_mask:0xf bank_mask:0xf
	v_cndmask_b32_e64 v1, v1, 0, s6
	v_add_nc_u32_e32 v1, v1, v66
	v_mov_b32_dpp v2, v1 row_shr:2 row_mask:0xf bank_mask:0xf
	v_cndmask_b32_e64 v2, 0, v2, s5
	v_add_nc_u32_e32 v1, v1, v2
	;; [unrolled: 3-line block ×4, first 2 shown]
	ds_swizzle_b32 v2, v1 offset:swizzle(BROADCAST,32,15)
	s_waitcnt lgkmcnt(0)
	v_cndmask_b32_e64 v2, v2, 0, s2
	v_add_nc_u32_e32 v1, v1, v2
	s_and_saveexec_b32 s2, s1
; %bb.67:
	v_lshlrev_b32_e32 v2, 2, v65
	ds_write_b32 v2, v1
; %bb.68:
	s_or_b32 exec_lo, exec_lo, s2
	s_mov_b32 s1, exec_lo
	s_waitcnt lgkmcnt(0)
	s_barrier
	buffer_gl0_inv
	v_cmpx_gt_u32_e32 8, v0
	s_cbranch_execz .LBB287_70
; %bb.69:
	ds_read_b32 v2, v44
	v_and_b32_e32 v3, 7, v64
	v_cmp_ne_u32_e32 vcc_lo, 0, v3
	s_waitcnt lgkmcnt(0)
	v_mov_b32_dpp v4, v2 row_shr:1 row_mask:0xf bank_mask:0xf
	v_cndmask_b32_e32 v4, 0, v4, vcc_lo
	v_cmp_lt_u32_e32 vcc_lo, 1, v3
	v_add_nc_u32_e32 v2, v4, v2
	v_mov_b32_dpp v4, v2 row_shr:2 row_mask:0xf bank_mask:0xf
	v_cndmask_b32_e32 v4, 0, v4, vcc_lo
	v_cmp_lt_u32_e32 vcc_lo, 3, v3
	v_add_nc_u32_e32 v2, v2, v4
	v_mov_b32_dpp v4, v2 row_shr:4 row_mask:0xf bank_mask:0xf
	v_cndmask_b32_e32 v3, 0, v4, vcc_lo
	v_add_nc_u32_e32 v2, v2, v3
	ds_write_b32 v44, v2
.LBB287_70:
	s_or_b32 exec_lo, exec_lo, s1
	v_mov_b32_e32 v3, 0
	v_mov_b32_e32 v2, 0
	s_mov_b32 s1, exec_lo
	s_waitcnt lgkmcnt(0)
	s_barrier
	buffer_gl0_inv
	v_cmpx_lt_u32_e32 31, v0
; %bb.71:
	v_lshl_add_u32 v2, v65, 2, -4
	ds_read_b32 v2, v2
; %bb.72:
	s_or_b32 exec_lo, exec_lo, s1
	v_sub_co_u32 v4, vcc_lo, v64, 1
	s_waitcnt lgkmcnt(0)
	v_add_nc_u32_e32 v1, v2, v1
	ds_read_b32 v16, v3 offset:28
	v_cmp_gt_i32_e64 s1, 0, v4
	v_cndmask_b32_e64 v4, v4, v64, s1
	v_lshlrev_b32_e32 v4, 2, v4
	ds_bpermute_b32 v1, v4, v1
	s_and_saveexec_b32 s1, s0
	s_cbranch_execz .LBB287_74
; %bb.73:
	v_mov_b32_e32 v3, 0
	v_mov_b32_e32 v17, 2
	s_waitcnt lgkmcnt(1)
	global_store_dwordx2 v3, v[16:17], s[22:23] offset:256
.LBB287_74:
	s_or_b32 exec_lo, exec_lo, s1
	s_waitcnt lgkmcnt(0)
	v_cndmask_b32_e32 v1, v1, v2, vcc_lo
	v_mov_b32_e32 v17, 0
	s_waitcnt_vscnt null, 0x0
	s_barrier
	buffer_gl0_inv
	v_cndmask_b32_e64 v1, v1, 0, s0
	v_add_nc_u32_e32 v2, v1, v55
	v_add_nc_u32_e32 v3, v2, v56
	;; [unrolled: 1-line block ×12, first 2 shown]
.LBB287_75:
	s_waitcnt lgkmcnt(0)
	v_add_nc_u32_e32 v47, v16, v47
	v_sub_nc_u32_e32 v1, v1, v17
	v_and_b32_e32 v56, 1, v52
	v_lshrrev_b32_e32 v55, 8, v52
	v_sub_nc_u32_e32 v2, v2, v17
	v_sub_nc_u32_e32 v3, v3, v17
	;; [unrolled: 1-line block ×3, first 2 shown]
	v_cmp_eq_u32_e32 vcc_lo, 1, v56
	v_and_b32_e32 v55, 1, v55
	v_mov_b32_e32 v58, 1
	v_sub_nc_u32_e32 v56, v47, v2
	v_sub_nc_u32_e32 v4, v4, v17
	v_cndmask_b32_e32 v1, v57, v1, vcc_lo
	v_sub_nc_u32_e32 v57, v47, v3
	v_and_b32_sdwa v52, v58, v52 dst_sel:DWORD dst_unused:UNUSED_PAD src0_sel:DWORD src1_sel:WORD_1
	v_add_nc_u32_e32 v56, 1, v56
	v_cmp_eq_u32_e32 vcc_lo, 1, v55
	v_lshlrev_b32_e32 v1, 2, v1
	v_and_b32_e32 v54, 1, v54
	v_sub_nc_u32_e32 v59, v47, v4
	v_add_nc_u32_e32 v57, 2, v57
	v_lshrrev_b32_e32 v15, 8, v50
	ds_write_b32 v1, v30
	v_cndmask_b32_e32 v1, v56, v2, vcc_lo
	v_cmp_eq_u32_e32 vcc_lo, 1, v52
	v_add_nc_u32_e32 v59, 3, v59
	v_lshrrev_b32_e32 v14, 8, v49
	v_lshlrev_b32_e32 v1, 2, v1
	v_cndmask_b32_e32 v2, v57, v3, vcc_lo
	v_cmp_eq_u32_e32 vcc_lo, 1, v54
	ds_write_b32 v1, v31
	v_lshlrev_b32_e32 v2, 2, v2
	v_cndmask_b32_e32 v3, v59, v4, vcc_lo
	v_sub_nc_u32_e32 v4, v5, v17
	v_sub_nc_u32_e32 v5, v6, v17
	v_lshlrev_b32_e32 v3, 2, v3
	v_sub_nc_u32_e32 v1, v47, v4
	v_sub_nc_u32_e32 v6, v47, v5
	ds_write_b32 v2, v28
	ds_write_b32 v3, v29
	v_and_b32_e32 v2, 1, v50
	v_add_nc_u32_e32 v1, 4, v1
	v_add_nc_u32_e32 v3, 5, v6
	v_sub_nc_u32_e32 v6, v7, v17
	v_and_b32_e32 v7, 1, v15
	v_cmp_eq_u32_e32 vcc_lo, 1, v2
	v_sub_nc_u32_e32 v2, v8, v17
	v_and_b32_e32 v8, 1, v53
	v_add_co_u32 v15, s1, v18, v17
	v_cndmask_b32_e32 v1, v1, v4, vcc_lo
	v_sub_nc_u32_e32 v4, v47, v6
	v_cmp_eq_u32_e32 vcc_lo, 1, v7
	v_and_b32_sdwa v7, v58, v50 dst_sel:DWORD dst_unused:UNUSED_PAD src0_sel:DWORD src1_sel:WORD_1
	v_lshlrev_b32_e32 v1, 2, v1
	v_add_nc_u32_e32 v4, 6, v4
	v_cndmask_b32_e32 v3, v3, v5, vcc_lo
	v_sub_nc_u32_e32 v5, v47, v2
	v_cmp_eq_u32_e32 vcc_lo, 1, v7
	v_sub_nc_u32_e32 v7, v13, v17
	v_lshlrev_b32_e32 v3, 2, v3
	v_add_nc_u32_e32 v5, 7, v5
	v_cndmask_b32_e32 v4, v4, v6, vcc_lo
	v_cmp_eq_u32_e32 vcc_lo, 1, v8
	v_sub_nc_u32_e32 v6, v9, v17
	ds_write_b32 v1, v26
	ds_write_b32 v3, v27
	v_lshlrev_b32_e32 v3, 2, v4
	v_cndmask_b32_e32 v2, v5, v2, vcc_lo
	v_sub_nc_u32_e32 v1, v47, v6
	v_and_b32_e32 v5, 1, v49
	v_sub_nc_u32_e32 v4, v10, v17
	v_and_b32_e32 v10, 1, v51
	v_lshlrev_b32_e32 v2, 2, v2
	v_add_nc_u32_e32 v1, 8, v1
	ds_write_b32 v3, v24
	ds_write_b32 v2, v25
	v_cmp_eq_u32_e32 vcc_lo, 1, v5
	v_sub_nc_u32_e32 v3, v11, v17
	v_sub_nc_u32_e32 v2, v47, v4
	;; [unrolled: 1-line block ×3, first 2 shown]
	v_and_b32_e32 v11, 1, v48
	v_cndmask_b32_e32 v1, v1, v6, vcc_lo
	v_and_b32_e32 v6, 1, v14
	v_sub_nc_u32_e32 v8, v47, v3
	v_add_nc_u32_e32 v2, 9, v2
	v_sub_nc_u32_e32 v9, v47, v5
	v_lshlrev_b32_e32 v1, 2, v1
	v_cmp_eq_u32_e32 vcc_lo, 1, v6
	v_add_nc_u32_e32 v6, 10, v8
	v_and_b32_sdwa v8, v58, v49 dst_sel:DWORD dst_unused:UNUSED_PAD src0_sel:DWORD src1_sel:WORD_1
	v_add_nc_u32_e32 v9, 11, v9
	v_add_co_ci_u32_e64 v17, null, 0, v19, s1
	v_cndmask_b32_e32 v2, v2, v4, vcc_lo
	v_cmp_eq_u32_e32 vcc_lo, 1, v8
	v_sub_nc_u32_e32 v4, v47, v7
	v_lshlrev_b32_e32 v2, 2, v2
	v_cndmask_b32_e32 v3, v6, v3, vcc_lo
	v_cmp_eq_u32_e32 vcc_lo, 1, v10
	v_add_nc_u32_e32 v4, 12, v4
	v_lshlrev_b32_e32 v3, 2, v3
	v_cndmask_b32_e32 v5, v9, v5, vcc_lo
	v_cmp_eq_u32_e32 vcc_lo, 1, v11
	v_lshlrev_b32_e32 v5, 2, v5
	v_cndmask_b32_e32 v4, v4, v7, vcc_lo
	v_cmp_ne_u32_e32 vcc_lo, 1, v45
	v_lshlrev_b32_e32 v4, 2, v4
	ds_write_b32 v1, v22
	ds_write_b32 v2, v23
	;; [unrolled: 1-line block ×5, first 2 shown]
	s_waitcnt lgkmcnt(0)
	s_barrier
	buffer_gl0_inv
	ds_read2st64_b32 v[11:12], v44 offset1:4
	ds_read2st64_b32 v[9:10], v44 offset0:8 offset1:12
	ds_read2st64_b32 v[7:8], v44 offset0:16 offset1:20
	;; [unrolled: 1-line block ×5, first 2 shown]
	ds_read_b32 v20, v44 offset:12288
	s_cbranch_vccnz .LBB287_132
; %bb.76:
	s_sub_u32 s1, s20, s24
	v_sub_co_u32 v13, vcc_lo, v15, s18
	s_subb_u32 s2, s21, 0
	v_add_co_u32 v18, s1, s1, v16
	v_subrev_co_ci_u32_e64 v14, null, s19, v17, vcc_lo
	v_add_co_ci_u32_e64 v19, null, s2, 0, s1
	v_add_co_u32 v18, vcc_lo, v18, v13
	s_mov_b32 s1, exec_lo
	v_add_co_ci_u32_e64 v19, null, v19, v14, vcc_lo
                                        ; implicit-def: $vgpr13_vgpr14
	v_cmpx_ge_u32_e64 v0, v16
	s_xor_b32 s1, exec_lo, s1
; %bb.77:
	v_not_b32_e32 v13, v0
	v_ashrrev_i32_e32 v14, 31, v13
	v_add_co_u32 v13, vcc_lo, v18, v13
	v_add_co_ci_u32_e64 v14, null, v19, v14, vcc_lo
; %bb.78:
	s_andn2_saveexec_b32 s1, s1
; %bb.79:
	v_add_co_u32 v13, vcc_lo, v15, v0
	v_add_co_ci_u32_e64 v14, null, 0, v17, vcc_lo
; %bb.80:
	s_or_b32 exec_lo, exec_lo, s1
	v_lshlrev_b64 v[13:14], 2, v[13:14]
	s_mov_b32 s1, exec_lo
	v_add_co_u32 v13, vcc_lo, s16, v13
	v_add_co_ci_u32_e64 v14, null, s17, v14, vcc_lo
	s_waitcnt lgkmcnt(6)
	global_store_dword v[13:14], v11, off
                                        ; implicit-def: $vgpr13_vgpr14
	v_cmpx_ge_u32_e64 v43, v16
	s_xor_b32 s1, exec_lo, s1
; %bb.81:
	v_xor_b32_e32 v13, 0xfffffeff, v0
	v_ashrrev_i32_e32 v14, 31, v13
	v_add_co_u32 v13, vcc_lo, v18, v13
	v_add_co_ci_u32_e64 v14, null, v19, v14, vcc_lo
; %bb.82:
	s_andn2_saveexec_b32 s1, s1
; %bb.83:
	v_add_co_u32 v13, vcc_lo, v15, v43
	v_add_co_ci_u32_e64 v14, null, 0, v17, vcc_lo
; %bb.84:
	s_or_b32 exec_lo, exec_lo, s1
	v_lshlrev_b64 v[13:14], 2, v[13:14]
	s_mov_b32 s1, exec_lo
	v_add_co_u32 v13, vcc_lo, s16, v13
	v_add_co_ci_u32_e64 v14, null, s17, v14, vcc_lo
	global_store_dword v[13:14], v12, off
                                        ; implicit-def: $vgpr13_vgpr14
	v_cmpx_ge_u32_e64 v42, v16
	s_xor_b32 s1, exec_lo, s1
; %bb.85:
	v_xor_b32_e32 v13, 0xfffffdff, v0
	v_ashrrev_i32_e32 v14, 31, v13
	v_add_co_u32 v13, vcc_lo, v18, v13
	v_add_co_ci_u32_e64 v14, null, v19, v14, vcc_lo
; %bb.86:
	s_andn2_saveexec_b32 s1, s1
; %bb.87:
	v_add_co_u32 v13, vcc_lo, v15, v42
	v_add_co_ci_u32_e64 v14, null, 0, v17, vcc_lo
; %bb.88:
	s_or_b32 exec_lo, exec_lo, s1
	v_lshlrev_b64 v[13:14], 2, v[13:14]
	s_mov_b32 s1, exec_lo
	v_add_co_u32 v13, vcc_lo, s16, v13
	v_add_co_ci_u32_e64 v14, null, s17, v14, vcc_lo
	s_waitcnt lgkmcnt(5)
	global_store_dword v[13:14], v9, off
                                        ; implicit-def: $vgpr13_vgpr14
	v_cmpx_ge_u32_e64 v41, v16
	s_xor_b32 s1, exec_lo, s1
; %bb.89:
	v_xor_b32_e32 v13, 0xfffffcff, v0
	v_ashrrev_i32_e32 v14, 31, v13
	v_add_co_u32 v13, vcc_lo, v18, v13
	v_add_co_ci_u32_e64 v14, null, v19, v14, vcc_lo
; %bb.90:
	s_andn2_saveexec_b32 s1, s1
; %bb.91:
	v_add_co_u32 v13, vcc_lo, v15, v41
	v_add_co_ci_u32_e64 v14, null, 0, v17, vcc_lo
; %bb.92:
	s_or_b32 exec_lo, exec_lo, s1
	v_lshlrev_b64 v[13:14], 2, v[13:14]
	s_mov_b32 s1, exec_lo
	v_add_co_u32 v13, vcc_lo, s16, v13
	v_add_co_ci_u32_e64 v14, null, s17, v14, vcc_lo
	global_store_dword v[13:14], v10, off
                                        ; implicit-def: $vgpr13_vgpr14
	v_cmpx_ge_u32_e64 v40, v16
	s_xor_b32 s1, exec_lo, s1
; %bb.93:
	v_xor_b32_e32 v13, 0xfffffbff, v0
	;; [unrolled: 41-line block ×6, first 2 shown]
	v_ashrrev_i32_e32 v14, 31, v13
	v_add_co_u32 v13, vcc_lo, v18, v13
	v_add_co_ci_u32_e64 v14, null, v19, v14, vcc_lo
; %bb.126:
	s_andn2_saveexec_b32 s1, s1
; %bb.127:
	v_add_co_u32 v13, vcc_lo, v15, v32
	v_add_co_ci_u32_e64 v14, null, 0, v17, vcc_lo
; %bb.128:
	s_or_b32 exec_lo, exec_lo, s1
	s_mov_b32 s1, -1
.LBB287_129:
	s_and_saveexec_b32 s2, s1
	s_cbranch_execz .LBB287_212
.LBB287_130:
	s_waitcnt lgkmcnt(1)
	v_lshlrev_b64 v[0:1], 2, v[13:14]
	v_add_co_u32 v0, vcc_lo, s16, v0
	v_add_co_ci_u32_e64 v1, null, s17, v1, vcc_lo
	s_waitcnt lgkmcnt(0)
	global_store_dword v[0:1], v20, off
	s_or_b32 exec_lo, exec_lo, s2
	s_and_b32 s0, s0, s14
	s_and_saveexec_b32 s1, s0
	s_cbranch_execnz .LBB287_213
.LBB287_131:
	s_endpgm
.LBB287_132:
	s_mov_b32 s1, 0
                                        ; implicit-def: $vgpr13_vgpr14
	s_cbranch_execz .LBB287_129
; %bb.133:
	s_add_u32 s2, s18, s24
	s_addc_u32 s3, s19, 0
	s_sub_u32 s2, s20, s2
	s_subb_u32 s3, s21, s3
	v_add_co_u32 v13, s2, s2, v16
	v_add_co_ci_u32_e64 v14, null, s3, 0, s2
	s_mov_b32 s2, exec_lo
	v_add_co_u32 v18, vcc_lo, v13, v15
	v_add_co_ci_u32_e64 v19, null, v14, v17, vcc_lo
	v_cmpx_gt_u32_e64 s15, v0
	s_cbranch_execz .LBB287_169
; %bb.134:
	s_mov_b32 s3, exec_lo
                                        ; implicit-def: $vgpr13_vgpr14
	v_cmpx_ge_u32_e64 v0, v16
	s_xor_b32 s3, exec_lo, s3
; %bb.135:
	v_not_b32_e32 v13, v0
	v_ashrrev_i32_e32 v14, 31, v13
	v_add_co_u32 v13, vcc_lo, v18, v13
	v_add_co_ci_u32_e64 v14, null, v19, v14, vcc_lo
; %bb.136:
	s_andn2_saveexec_b32 s3, s3
; %bb.137:
	v_add_co_u32 v13, vcc_lo, v15, v0
	v_add_co_ci_u32_e64 v14, null, 0, v17, vcc_lo
; %bb.138:
	s_or_b32 exec_lo, exec_lo, s3
	v_lshlrev_b64 v[13:14], 2, v[13:14]
	v_add_co_u32 v13, vcc_lo, s16, v13
	v_add_co_ci_u32_e64 v14, null, s17, v14, vcc_lo
	s_waitcnt lgkmcnt(6)
	global_store_dword v[13:14], v11, off
	s_or_b32 exec_lo, exec_lo, s2
	s_mov_b32 s2, exec_lo
	v_cmpx_gt_u32_e64 s15, v43
	s_cbranch_execnz .LBB287_170
.LBB287_139:
	s_or_b32 exec_lo, exec_lo, s2
	s_mov_b32 s2, exec_lo
	v_cmpx_gt_u32_e64 s15, v42
	s_cbranch_execz .LBB287_175
.LBB287_140:
	s_mov_b32 s3, exec_lo
                                        ; implicit-def: $vgpr11_vgpr12
	v_cmpx_ge_u32_e64 v42, v16
	s_xor_b32 s3, exec_lo, s3
	s_cbranch_execz .LBB287_142
; %bb.141:
	s_waitcnt lgkmcnt(6)
	v_xor_b32_e32 v11, 0xfffffdff, v0
                                        ; implicit-def: $vgpr42
	v_ashrrev_i32_e32 v12, 31, v11
	v_add_co_u32 v11, vcc_lo, v18, v11
	v_add_co_ci_u32_e64 v12, null, v19, v12, vcc_lo
.LBB287_142:
	s_andn2_saveexec_b32 s3, s3
	s_cbranch_execz .LBB287_144
; %bb.143:
	s_waitcnt lgkmcnt(6)
	v_add_co_u32 v11, vcc_lo, v15, v42
	v_add_co_ci_u32_e64 v12, null, 0, v17, vcc_lo
.LBB287_144:
	s_or_b32 exec_lo, exec_lo, s3
	s_waitcnt lgkmcnt(6)
	v_lshlrev_b64 v[11:12], 2, v[11:12]
	v_add_co_u32 v11, vcc_lo, s16, v11
	v_add_co_ci_u32_e64 v12, null, s17, v12, vcc_lo
	s_waitcnt lgkmcnt(5)
	global_store_dword v[11:12], v9, off
	s_or_b32 exec_lo, exec_lo, s2
	s_mov_b32 s2, exec_lo
	v_cmpx_gt_u32_e64 s15, v41
	s_cbranch_execnz .LBB287_176
.LBB287_145:
	s_or_b32 exec_lo, exec_lo, s2
	s_mov_b32 s2, exec_lo
	v_cmpx_gt_u32_e64 s15, v40
	s_cbranch_execz .LBB287_181
.LBB287_146:
	s_mov_b32 s3, exec_lo
                                        ; implicit-def: $vgpr9_vgpr10
	v_cmpx_ge_u32_e64 v40, v16
	s_xor_b32 s3, exec_lo, s3
	s_cbranch_execz .LBB287_148
; %bb.147:
	s_waitcnt lgkmcnt(5)
	v_xor_b32_e32 v9, 0xfffffbff, v0
                                        ; implicit-def: $vgpr40
	v_ashrrev_i32_e32 v10, 31, v9
	v_add_co_u32 v9, vcc_lo, v18, v9
	v_add_co_ci_u32_e64 v10, null, v19, v10, vcc_lo
.LBB287_148:
	s_andn2_saveexec_b32 s3, s3
	s_cbranch_execz .LBB287_150
; %bb.149:
	s_waitcnt lgkmcnt(5)
	v_add_co_u32 v9, vcc_lo, v15, v40
	v_add_co_ci_u32_e64 v10, null, 0, v17, vcc_lo
.LBB287_150:
	s_or_b32 exec_lo, exec_lo, s3
	s_waitcnt lgkmcnt(5)
	v_lshlrev_b64 v[9:10], 2, v[9:10]
	v_add_co_u32 v9, vcc_lo, s16, v9
	v_add_co_ci_u32_e64 v10, null, s17, v10, vcc_lo
	s_waitcnt lgkmcnt(4)
	global_store_dword v[9:10], v7, off
	s_or_b32 exec_lo, exec_lo, s2
	s_mov_b32 s2, exec_lo
	v_cmpx_gt_u32_e64 s15, v39
	s_cbranch_execnz .LBB287_182
.LBB287_151:
	s_or_b32 exec_lo, exec_lo, s2
	s_mov_b32 s2, exec_lo
	v_cmpx_gt_u32_e64 s15, v38
	s_cbranch_execz .LBB287_187
.LBB287_152:
	s_mov_b32 s3, exec_lo
                                        ; implicit-def: $vgpr7_vgpr8
	v_cmpx_ge_u32_e64 v38, v16
	s_xor_b32 s3, exec_lo, s3
	s_cbranch_execz .LBB287_154
; %bb.153:
	s_waitcnt lgkmcnt(4)
	v_xor_b32_e32 v7, 0xfffff9ff, v0
                                        ; implicit-def: $vgpr38
	v_ashrrev_i32_e32 v8, 31, v7
	v_add_co_u32 v7, vcc_lo, v18, v7
	v_add_co_ci_u32_e64 v8, null, v19, v8, vcc_lo
.LBB287_154:
	s_andn2_saveexec_b32 s3, s3
	s_cbranch_execz .LBB287_156
; %bb.155:
	s_waitcnt lgkmcnt(4)
	v_add_co_u32 v7, vcc_lo, v15, v38
	v_add_co_ci_u32_e64 v8, null, 0, v17, vcc_lo
.LBB287_156:
	s_or_b32 exec_lo, exec_lo, s3
	s_waitcnt lgkmcnt(4)
	v_lshlrev_b64 v[7:8], 2, v[7:8]
	v_add_co_u32 v7, vcc_lo, s16, v7
	v_add_co_ci_u32_e64 v8, null, s17, v8, vcc_lo
	s_waitcnt lgkmcnt(3)
	global_store_dword v[7:8], v5, off
	s_or_b32 exec_lo, exec_lo, s2
	s_mov_b32 s2, exec_lo
	v_cmpx_gt_u32_e64 s15, v37
	s_cbranch_execnz .LBB287_188
.LBB287_157:
	s_or_b32 exec_lo, exec_lo, s2
	s_mov_b32 s2, exec_lo
	v_cmpx_gt_u32_e64 s15, v36
	s_cbranch_execz .LBB287_193
.LBB287_158:
	s_mov_b32 s3, exec_lo
                                        ; implicit-def: $vgpr5_vgpr6
	v_cmpx_ge_u32_e64 v36, v16
	s_xor_b32 s3, exec_lo, s3
	s_cbranch_execz .LBB287_160
; %bb.159:
	s_waitcnt lgkmcnt(3)
	v_xor_b32_e32 v5, 0xfffff7ff, v0
                                        ; implicit-def: $vgpr36
	v_ashrrev_i32_e32 v6, 31, v5
	v_add_co_u32 v5, vcc_lo, v18, v5
	v_add_co_ci_u32_e64 v6, null, v19, v6, vcc_lo
.LBB287_160:
	s_andn2_saveexec_b32 s3, s3
	s_cbranch_execz .LBB287_162
; %bb.161:
	s_waitcnt lgkmcnt(3)
	v_add_co_u32 v5, vcc_lo, v15, v36
	v_add_co_ci_u32_e64 v6, null, 0, v17, vcc_lo
.LBB287_162:
	s_or_b32 exec_lo, exec_lo, s3
	s_waitcnt lgkmcnt(3)
	v_lshlrev_b64 v[5:6], 2, v[5:6]
	v_add_co_u32 v5, vcc_lo, s16, v5
	v_add_co_ci_u32_e64 v6, null, s17, v6, vcc_lo
	s_waitcnt lgkmcnt(2)
	global_store_dword v[5:6], v3, off
	s_or_b32 exec_lo, exec_lo, s2
	s_mov_b32 s2, exec_lo
	v_cmpx_gt_u32_e64 s15, v35
	s_cbranch_execnz .LBB287_194
.LBB287_163:
	s_or_b32 exec_lo, exec_lo, s2
	s_mov_b32 s2, exec_lo
	v_cmpx_gt_u32_e64 s15, v34
	s_cbranch_execz .LBB287_199
.LBB287_164:
	s_mov_b32 s3, exec_lo
                                        ; implicit-def: $vgpr3_vgpr4
	v_cmpx_ge_u32_e64 v34, v16
	s_xor_b32 s3, exec_lo, s3
	s_cbranch_execz .LBB287_166
; %bb.165:
	s_waitcnt lgkmcnt(2)
	v_xor_b32_e32 v3, 0xfffff5ff, v0
                                        ; implicit-def: $vgpr34
	v_ashrrev_i32_e32 v4, 31, v3
	v_add_co_u32 v3, vcc_lo, v18, v3
	v_add_co_ci_u32_e64 v4, null, v19, v4, vcc_lo
.LBB287_166:
	s_andn2_saveexec_b32 s3, s3
	s_cbranch_execz .LBB287_168
; %bb.167:
	s_waitcnt lgkmcnt(2)
	v_add_co_u32 v3, vcc_lo, v15, v34
	v_add_co_ci_u32_e64 v4, null, 0, v17, vcc_lo
.LBB287_168:
	s_or_b32 exec_lo, exec_lo, s3
	s_waitcnt lgkmcnt(2)
	v_lshlrev_b64 v[3:4], 2, v[3:4]
	v_add_co_u32 v3, vcc_lo, s16, v3
	v_add_co_ci_u32_e64 v4, null, s17, v4, vcc_lo
	s_waitcnt lgkmcnt(1)
	global_store_dword v[3:4], v1, off
	s_or_b32 exec_lo, exec_lo, s2
	s_mov_b32 s2, exec_lo
	v_cmpx_gt_u32_e64 s15, v33
	s_cbranch_execz .LBB287_205
	s_branch .LBB287_200
.LBB287_169:
	s_or_b32 exec_lo, exec_lo, s2
	s_mov_b32 s2, exec_lo
	v_cmpx_gt_u32_e64 s15, v43
	s_cbranch_execz .LBB287_139
.LBB287_170:
	s_mov_b32 s3, exec_lo
                                        ; implicit-def: $vgpr13_vgpr14
	v_cmpx_ge_u32_e64 v43, v16
	s_xor_b32 s3, exec_lo, s3
	s_cbranch_execz .LBB287_172
; %bb.171:
	s_waitcnt lgkmcnt(6)
	v_xor_b32_e32 v11, 0xfffffeff, v0
                                        ; implicit-def: $vgpr43
	v_ashrrev_i32_e32 v14, 31, v11
	v_add_co_u32 v13, vcc_lo, v18, v11
	v_add_co_ci_u32_e64 v14, null, v19, v14, vcc_lo
.LBB287_172:
	s_andn2_saveexec_b32 s3, s3
; %bb.173:
	v_add_co_u32 v13, vcc_lo, v15, v43
	v_add_co_ci_u32_e64 v14, null, 0, v17, vcc_lo
; %bb.174:
	s_or_b32 exec_lo, exec_lo, s3
	v_lshlrev_b64 v[13:14], 2, v[13:14]
	v_add_co_u32 v13, vcc_lo, s16, v13
	v_add_co_ci_u32_e64 v14, null, s17, v14, vcc_lo
	s_waitcnt lgkmcnt(6)
	global_store_dword v[13:14], v12, off
	s_or_b32 exec_lo, exec_lo, s2
	s_mov_b32 s2, exec_lo
	v_cmpx_gt_u32_e64 s15, v42
	s_cbranch_execnz .LBB287_140
.LBB287_175:
	s_or_b32 exec_lo, exec_lo, s2
	s_mov_b32 s2, exec_lo
	v_cmpx_gt_u32_e64 s15, v41
	s_cbranch_execz .LBB287_145
.LBB287_176:
	s_mov_b32 s3, exec_lo
                                        ; implicit-def: $vgpr11_vgpr12
	v_cmpx_ge_u32_e64 v41, v16
	s_xor_b32 s3, exec_lo, s3
	s_cbranch_execz .LBB287_178
; %bb.177:
	s_waitcnt lgkmcnt(5)
	v_xor_b32_e32 v9, 0xfffffcff, v0
                                        ; implicit-def: $vgpr41
	v_ashrrev_i32_e32 v12, 31, v9
	v_add_co_u32 v11, vcc_lo, v18, v9
	v_add_co_ci_u32_e64 v12, null, v19, v12, vcc_lo
.LBB287_178:
	s_andn2_saveexec_b32 s3, s3
	s_cbranch_execz .LBB287_180
; %bb.179:
	s_waitcnt lgkmcnt(6)
	v_add_co_u32 v11, vcc_lo, v15, v41
	v_add_co_ci_u32_e64 v12, null, 0, v17, vcc_lo
.LBB287_180:
	s_or_b32 exec_lo, exec_lo, s3
	s_waitcnt lgkmcnt(6)
	v_lshlrev_b64 v[11:12], 2, v[11:12]
	v_add_co_u32 v11, vcc_lo, s16, v11
	v_add_co_ci_u32_e64 v12, null, s17, v12, vcc_lo
	s_waitcnt lgkmcnt(5)
	global_store_dword v[11:12], v10, off
	s_or_b32 exec_lo, exec_lo, s2
	s_mov_b32 s2, exec_lo
	v_cmpx_gt_u32_e64 s15, v40
	s_cbranch_execnz .LBB287_146
.LBB287_181:
	s_or_b32 exec_lo, exec_lo, s2
	s_mov_b32 s2, exec_lo
	v_cmpx_gt_u32_e64 s15, v39
	s_cbranch_execz .LBB287_151
.LBB287_182:
	s_mov_b32 s3, exec_lo
                                        ; implicit-def: $vgpr9_vgpr10
	v_cmpx_ge_u32_e64 v39, v16
	s_xor_b32 s3, exec_lo, s3
	s_cbranch_execz .LBB287_184
; %bb.183:
	s_waitcnt lgkmcnt(4)
	v_xor_b32_e32 v7, 0xfffffaff, v0
                                        ; implicit-def: $vgpr39
	v_ashrrev_i32_e32 v10, 31, v7
	v_add_co_u32 v9, vcc_lo, v18, v7
	v_add_co_ci_u32_e64 v10, null, v19, v10, vcc_lo
.LBB287_184:
	s_andn2_saveexec_b32 s3, s3
	s_cbranch_execz .LBB287_186
; %bb.185:
	s_waitcnt lgkmcnt(5)
	v_add_co_u32 v9, vcc_lo, v15, v39
	v_add_co_ci_u32_e64 v10, null, 0, v17, vcc_lo
.LBB287_186:
	s_or_b32 exec_lo, exec_lo, s3
	s_waitcnt lgkmcnt(5)
	v_lshlrev_b64 v[9:10], 2, v[9:10]
	v_add_co_u32 v9, vcc_lo, s16, v9
	v_add_co_ci_u32_e64 v10, null, s17, v10, vcc_lo
	s_waitcnt lgkmcnt(4)
	global_store_dword v[9:10], v8, off
	s_or_b32 exec_lo, exec_lo, s2
	s_mov_b32 s2, exec_lo
	v_cmpx_gt_u32_e64 s15, v38
	s_cbranch_execnz .LBB287_152
.LBB287_187:
	s_or_b32 exec_lo, exec_lo, s2
	s_mov_b32 s2, exec_lo
	v_cmpx_gt_u32_e64 s15, v37
	s_cbranch_execz .LBB287_157
.LBB287_188:
	s_mov_b32 s3, exec_lo
                                        ; implicit-def: $vgpr7_vgpr8
	v_cmpx_ge_u32_e64 v37, v16
	s_xor_b32 s3, exec_lo, s3
	s_cbranch_execz .LBB287_190
; %bb.189:
	s_waitcnt lgkmcnt(3)
	v_xor_b32_e32 v5, 0xfffff8ff, v0
                                        ; implicit-def: $vgpr37
	v_ashrrev_i32_e32 v8, 31, v5
	v_add_co_u32 v7, vcc_lo, v18, v5
	v_add_co_ci_u32_e64 v8, null, v19, v8, vcc_lo
.LBB287_190:
	s_andn2_saveexec_b32 s3, s3
	s_cbranch_execz .LBB287_192
; %bb.191:
	s_waitcnt lgkmcnt(4)
	v_add_co_u32 v7, vcc_lo, v15, v37
	v_add_co_ci_u32_e64 v8, null, 0, v17, vcc_lo
.LBB287_192:
	s_or_b32 exec_lo, exec_lo, s3
	s_waitcnt lgkmcnt(4)
	v_lshlrev_b64 v[7:8], 2, v[7:8]
	v_add_co_u32 v7, vcc_lo, s16, v7
	v_add_co_ci_u32_e64 v8, null, s17, v8, vcc_lo
	s_waitcnt lgkmcnt(3)
	global_store_dword v[7:8], v6, off
	s_or_b32 exec_lo, exec_lo, s2
	s_mov_b32 s2, exec_lo
	v_cmpx_gt_u32_e64 s15, v36
	s_cbranch_execnz .LBB287_158
.LBB287_193:
	s_or_b32 exec_lo, exec_lo, s2
	s_mov_b32 s2, exec_lo
	v_cmpx_gt_u32_e64 s15, v35
	s_cbranch_execz .LBB287_163
.LBB287_194:
	s_mov_b32 s3, exec_lo
                                        ; implicit-def: $vgpr5_vgpr6
	v_cmpx_ge_u32_e64 v35, v16
	s_xor_b32 s3, exec_lo, s3
	s_cbranch_execz .LBB287_196
; %bb.195:
	s_waitcnt lgkmcnt(2)
	v_xor_b32_e32 v3, 0xfffff6ff, v0
                                        ; implicit-def: $vgpr35
	v_ashrrev_i32_e32 v6, 31, v3
	v_add_co_u32 v5, vcc_lo, v18, v3
	v_add_co_ci_u32_e64 v6, null, v19, v6, vcc_lo
.LBB287_196:
	s_andn2_saveexec_b32 s3, s3
	s_cbranch_execz .LBB287_198
; %bb.197:
	s_waitcnt lgkmcnt(3)
	v_add_co_u32 v5, vcc_lo, v15, v35
	v_add_co_ci_u32_e64 v6, null, 0, v17, vcc_lo
.LBB287_198:
	s_or_b32 exec_lo, exec_lo, s3
	s_waitcnt lgkmcnt(3)
	v_lshlrev_b64 v[5:6], 2, v[5:6]
	v_add_co_u32 v5, vcc_lo, s16, v5
	v_add_co_ci_u32_e64 v6, null, s17, v6, vcc_lo
	s_waitcnt lgkmcnt(2)
	global_store_dword v[5:6], v4, off
	s_or_b32 exec_lo, exec_lo, s2
	s_mov_b32 s2, exec_lo
	v_cmpx_gt_u32_e64 s15, v34
	s_cbranch_execnz .LBB287_164
.LBB287_199:
	s_or_b32 exec_lo, exec_lo, s2
	s_mov_b32 s2, exec_lo
	v_cmpx_gt_u32_e64 s15, v33
	s_cbranch_execz .LBB287_205
.LBB287_200:
	s_mov_b32 s3, exec_lo
                                        ; implicit-def: $vgpr3_vgpr4
	v_cmpx_ge_u32_e64 v33, v16
	s_xor_b32 s3, exec_lo, s3
	s_cbranch_execz .LBB287_202
; %bb.201:
	s_waitcnt lgkmcnt(1)
	v_xor_b32_e32 v1, 0xfffff4ff, v0
                                        ; implicit-def: $vgpr33
	v_ashrrev_i32_e32 v4, 31, v1
	v_add_co_u32 v3, vcc_lo, v18, v1
	v_add_co_ci_u32_e64 v4, null, v19, v4, vcc_lo
.LBB287_202:
	s_andn2_saveexec_b32 s3, s3
	s_cbranch_execz .LBB287_204
; %bb.203:
	s_waitcnt lgkmcnt(2)
	v_add_co_u32 v3, vcc_lo, v15, v33
	v_add_co_ci_u32_e64 v4, null, 0, v17, vcc_lo
.LBB287_204:
	s_or_b32 exec_lo, exec_lo, s3
	s_waitcnt lgkmcnt(2)
	v_lshlrev_b64 v[3:4], 2, v[3:4]
	v_add_co_u32 v3, vcc_lo, s16, v3
	v_add_co_ci_u32_e64 v4, null, s17, v4, vcc_lo
	s_waitcnt lgkmcnt(1)
	global_store_dword v[3:4], v2, off
.LBB287_205:
	s_or_b32 exec_lo, exec_lo, s2
	s_mov_b32 s2, exec_lo
                                        ; implicit-def: $vgpr13_vgpr14
	v_cmpx_gt_u32_e64 s15, v32
	s_cbranch_execz .LBB287_211
; %bb.206:
	s_mov_b32 s3, exec_lo
                                        ; implicit-def: $vgpr13_vgpr14
	v_cmpx_ge_u32_e64 v32, v16
	s_xor_b32 s3, exec_lo, s3
	s_cbranch_execz .LBB287_208
; %bb.207:
	v_xor_b32_e32 v0, 0xfffff3ff, v0
                                        ; implicit-def: $vgpr32
	s_waitcnt lgkmcnt(1)
	v_ashrrev_i32_e32 v1, 31, v0
	v_add_co_u32 v13, vcc_lo, v18, v0
	v_add_co_ci_u32_e64 v14, null, v19, v1, vcc_lo
.LBB287_208:
	s_andn2_saveexec_b32 s3, s3
; %bb.209:
	v_add_co_u32 v13, vcc_lo, v15, v32
	v_add_co_ci_u32_e64 v14, null, 0, v17, vcc_lo
; %bb.210:
	s_or_b32 exec_lo, exec_lo, s3
	s_or_b32 s1, s1, exec_lo
.LBB287_211:
	s_or_b32 exec_lo, exec_lo, s2
	s_and_saveexec_b32 s2, s1
	s_cbranch_execnz .LBB287_130
.LBB287_212:
	s_or_b32 exec_lo, exec_lo, s2
	s_and_b32 s0, s0, s14
	s_and_saveexec_b32 s1, s0
	s_cbranch_execz .LBB287_131
.LBB287_213:
	v_add_co_u32 v0, vcc_lo, v15, v16
	s_waitcnt lgkmcnt(1)
	v_mov_b32_e32 v2, 0
	v_add_co_ci_u32_e64 v1, null, 0, v17, vcc_lo
	global_store_dwordx2 v2, v[0:1], s[12:13]
	s_endpgm
	.section	.rodata,"a",@progbits
	.p2align	6, 0x0
	.amdhsa_kernel _ZN7rocprim17ROCPRIM_400000_NS6detail17trampoline_kernelINS0_13select_configILj256ELj13ELNS0_17block_load_methodE3ELS4_3ELS4_3ELNS0_20block_scan_algorithmE0ELj4294967295EEENS1_25partition_config_selectorILNS1_17partition_subalgoE3EjNS0_10empty_typeEbEEZZNS1_14partition_implILS8_3ELb0ES6_jNS0_17counting_iteratorIjlEEPS9_SE_NS0_5tupleIJPjSE_EEENSF_IJSE_SE_EEES9_SG_JZNS1_25segmented_radix_sort_implINS0_14default_configELb1EPKaPaPKlPlN2at6native12_GLOBAL__N_18offset_tEEE10hipError_tPvRmT1_PNSt15iterator_traitsISY_E10value_typeET2_T3_PNSZ_IS14_E10value_typeET4_jRbjT5_S1A_jjP12ihipStream_tbEUljE_EEESV_SW_SX_S14_S18_S1A_T6_T7_T9_mT8_S1C_bDpT10_ENKUlT_T0_E_clISt17integral_constantIbLb0EES1O_IbLb1EEEEDaS1K_S1L_EUlS1K_E_NS1_11comp_targetILNS1_3genE8ELNS1_11target_archE1030ELNS1_3gpuE2ELNS1_3repE0EEENS1_30default_config_static_selectorELNS0_4arch9wavefront6targetE0EEEvSY_
		.amdhsa_group_segment_fixed_size 13320
		.amdhsa_private_segment_fixed_size 0
		.amdhsa_kernarg_size 152
		.amdhsa_user_sgpr_count 6
		.amdhsa_user_sgpr_private_segment_buffer 1
		.amdhsa_user_sgpr_dispatch_ptr 0
		.amdhsa_user_sgpr_queue_ptr 0
		.amdhsa_user_sgpr_kernarg_segment_ptr 1
		.amdhsa_user_sgpr_dispatch_id 0
		.amdhsa_user_sgpr_flat_scratch_init 0
		.amdhsa_user_sgpr_private_segment_size 0
		.amdhsa_wavefront_size32 1
		.amdhsa_uses_dynamic_stack 0
		.amdhsa_system_sgpr_private_segment_wavefront_offset 0
		.amdhsa_system_sgpr_workgroup_id_x 1
		.amdhsa_system_sgpr_workgroup_id_y 0
		.amdhsa_system_sgpr_workgroup_id_z 0
		.amdhsa_system_sgpr_workgroup_info 0
		.amdhsa_system_vgpr_workitem_id 0
		.amdhsa_next_free_vgpr 71
		.amdhsa_next_free_sgpr 26
		.amdhsa_reserve_vcc 1
		.amdhsa_reserve_flat_scratch 0
		.amdhsa_float_round_mode_32 0
		.amdhsa_float_round_mode_16_64 0
		.amdhsa_float_denorm_mode_32 3
		.amdhsa_float_denorm_mode_16_64 3
		.amdhsa_dx10_clamp 1
		.amdhsa_ieee_mode 1
		.amdhsa_fp16_overflow 0
		.amdhsa_workgroup_processor_mode 1
		.amdhsa_memory_ordered 1
		.amdhsa_forward_progress 1
		.amdhsa_shared_vgpr_count 0
		.amdhsa_exception_fp_ieee_invalid_op 0
		.amdhsa_exception_fp_denorm_src 0
		.amdhsa_exception_fp_ieee_div_zero 0
		.amdhsa_exception_fp_ieee_overflow 0
		.amdhsa_exception_fp_ieee_underflow 0
		.amdhsa_exception_fp_ieee_inexact 0
		.amdhsa_exception_int_div_zero 0
	.end_amdhsa_kernel
	.section	.text._ZN7rocprim17ROCPRIM_400000_NS6detail17trampoline_kernelINS0_13select_configILj256ELj13ELNS0_17block_load_methodE3ELS4_3ELS4_3ELNS0_20block_scan_algorithmE0ELj4294967295EEENS1_25partition_config_selectorILNS1_17partition_subalgoE3EjNS0_10empty_typeEbEEZZNS1_14partition_implILS8_3ELb0ES6_jNS0_17counting_iteratorIjlEEPS9_SE_NS0_5tupleIJPjSE_EEENSF_IJSE_SE_EEES9_SG_JZNS1_25segmented_radix_sort_implINS0_14default_configELb1EPKaPaPKlPlN2at6native12_GLOBAL__N_18offset_tEEE10hipError_tPvRmT1_PNSt15iterator_traitsISY_E10value_typeET2_T3_PNSZ_IS14_E10value_typeET4_jRbjT5_S1A_jjP12ihipStream_tbEUljE_EEESV_SW_SX_S14_S18_S1A_T6_T7_T9_mT8_S1C_bDpT10_ENKUlT_T0_E_clISt17integral_constantIbLb0EES1O_IbLb1EEEEDaS1K_S1L_EUlS1K_E_NS1_11comp_targetILNS1_3genE8ELNS1_11target_archE1030ELNS1_3gpuE2ELNS1_3repE0EEENS1_30default_config_static_selectorELNS0_4arch9wavefront6targetE0EEEvSY_,"axG",@progbits,_ZN7rocprim17ROCPRIM_400000_NS6detail17trampoline_kernelINS0_13select_configILj256ELj13ELNS0_17block_load_methodE3ELS4_3ELS4_3ELNS0_20block_scan_algorithmE0ELj4294967295EEENS1_25partition_config_selectorILNS1_17partition_subalgoE3EjNS0_10empty_typeEbEEZZNS1_14partition_implILS8_3ELb0ES6_jNS0_17counting_iteratorIjlEEPS9_SE_NS0_5tupleIJPjSE_EEENSF_IJSE_SE_EEES9_SG_JZNS1_25segmented_radix_sort_implINS0_14default_configELb1EPKaPaPKlPlN2at6native12_GLOBAL__N_18offset_tEEE10hipError_tPvRmT1_PNSt15iterator_traitsISY_E10value_typeET2_T3_PNSZ_IS14_E10value_typeET4_jRbjT5_S1A_jjP12ihipStream_tbEUljE_EEESV_SW_SX_S14_S18_S1A_T6_T7_T9_mT8_S1C_bDpT10_ENKUlT_T0_E_clISt17integral_constantIbLb0EES1O_IbLb1EEEEDaS1K_S1L_EUlS1K_E_NS1_11comp_targetILNS1_3genE8ELNS1_11target_archE1030ELNS1_3gpuE2ELNS1_3repE0EEENS1_30default_config_static_selectorELNS0_4arch9wavefront6targetE0EEEvSY_,comdat
.Lfunc_end287:
	.size	_ZN7rocprim17ROCPRIM_400000_NS6detail17trampoline_kernelINS0_13select_configILj256ELj13ELNS0_17block_load_methodE3ELS4_3ELS4_3ELNS0_20block_scan_algorithmE0ELj4294967295EEENS1_25partition_config_selectorILNS1_17partition_subalgoE3EjNS0_10empty_typeEbEEZZNS1_14partition_implILS8_3ELb0ES6_jNS0_17counting_iteratorIjlEEPS9_SE_NS0_5tupleIJPjSE_EEENSF_IJSE_SE_EEES9_SG_JZNS1_25segmented_radix_sort_implINS0_14default_configELb1EPKaPaPKlPlN2at6native12_GLOBAL__N_18offset_tEEE10hipError_tPvRmT1_PNSt15iterator_traitsISY_E10value_typeET2_T3_PNSZ_IS14_E10value_typeET4_jRbjT5_S1A_jjP12ihipStream_tbEUljE_EEESV_SW_SX_S14_S18_S1A_T6_T7_T9_mT8_S1C_bDpT10_ENKUlT_T0_E_clISt17integral_constantIbLb0EES1O_IbLb1EEEEDaS1K_S1L_EUlS1K_E_NS1_11comp_targetILNS1_3genE8ELNS1_11target_archE1030ELNS1_3gpuE2ELNS1_3repE0EEENS1_30default_config_static_selectorELNS0_4arch9wavefront6targetE0EEEvSY_, .Lfunc_end287-_ZN7rocprim17ROCPRIM_400000_NS6detail17trampoline_kernelINS0_13select_configILj256ELj13ELNS0_17block_load_methodE3ELS4_3ELS4_3ELNS0_20block_scan_algorithmE0ELj4294967295EEENS1_25partition_config_selectorILNS1_17partition_subalgoE3EjNS0_10empty_typeEbEEZZNS1_14partition_implILS8_3ELb0ES6_jNS0_17counting_iteratorIjlEEPS9_SE_NS0_5tupleIJPjSE_EEENSF_IJSE_SE_EEES9_SG_JZNS1_25segmented_radix_sort_implINS0_14default_configELb1EPKaPaPKlPlN2at6native12_GLOBAL__N_18offset_tEEE10hipError_tPvRmT1_PNSt15iterator_traitsISY_E10value_typeET2_T3_PNSZ_IS14_E10value_typeET4_jRbjT5_S1A_jjP12ihipStream_tbEUljE_EEESV_SW_SX_S14_S18_S1A_T6_T7_T9_mT8_S1C_bDpT10_ENKUlT_T0_E_clISt17integral_constantIbLb0EES1O_IbLb1EEEEDaS1K_S1L_EUlS1K_E_NS1_11comp_targetILNS1_3genE8ELNS1_11target_archE1030ELNS1_3gpuE2ELNS1_3repE0EEENS1_30default_config_static_selectorELNS0_4arch9wavefront6targetE0EEEvSY_
                                        ; -- End function
	.set _ZN7rocprim17ROCPRIM_400000_NS6detail17trampoline_kernelINS0_13select_configILj256ELj13ELNS0_17block_load_methodE3ELS4_3ELS4_3ELNS0_20block_scan_algorithmE0ELj4294967295EEENS1_25partition_config_selectorILNS1_17partition_subalgoE3EjNS0_10empty_typeEbEEZZNS1_14partition_implILS8_3ELb0ES6_jNS0_17counting_iteratorIjlEEPS9_SE_NS0_5tupleIJPjSE_EEENSF_IJSE_SE_EEES9_SG_JZNS1_25segmented_radix_sort_implINS0_14default_configELb1EPKaPaPKlPlN2at6native12_GLOBAL__N_18offset_tEEE10hipError_tPvRmT1_PNSt15iterator_traitsISY_E10value_typeET2_T3_PNSZ_IS14_E10value_typeET4_jRbjT5_S1A_jjP12ihipStream_tbEUljE_EEESV_SW_SX_S14_S18_S1A_T6_T7_T9_mT8_S1C_bDpT10_ENKUlT_T0_E_clISt17integral_constantIbLb0EES1O_IbLb1EEEEDaS1K_S1L_EUlS1K_E_NS1_11comp_targetILNS1_3genE8ELNS1_11target_archE1030ELNS1_3gpuE2ELNS1_3repE0EEENS1_30default_config_static_selectorELNS0_4arch9wavefront6targetE0EEEvSY_.num_vgpr, 71
	.set _ZN7rocprim17ROCPRIM_400000_NS6detail17trampoline_kernelINS0_13select_configILj256ELj13ELNS0_17block_load_methodE3ELS4_3ELS4_3ELNS0_20block_scan_algorithmE0ELj4294967295EEENS1_25partition_config_selectorILNS1_17partition_subalgoE3EjNS0_10empty_typeEbEEZZNS1_14partition_implILS8_3ELb0ES6_jNS0_17counting_iteratorIjlEEPS9_SE_NS0_5tupleIJPjSE_EEENSF_IJSE_SE_EEES9_SG_JZNS1_25segmented_radix_sort_implINS0_14default_configELb1EPKaPaPKlPlN2at6native12_GLOBAL__N_18offset_tEEE10hipError_tPvRmT1_PNSt15iterator_traitsISY_E10value_typeET2_T3_PNSZ_IS14_E10value_typeET4_jRbjT5_S1A_jjP12ihipStream_tbEUljE_EEESV_SW_SX_S14_S18_S1A_T6_T7_T9_mT8_S1C_bDpT10_ENKUlT_T0_E_clISt17integral_constantIbLb0EES1O_IbLb1EEEEDaS1K_S1L_EUlS1K_E_NS1_11comp_targetILNS1_3genE8ELNS1_11target_archE1030ELNS1_3gpuE2ELNS1_3repE0EEENS1_30default_config_static_selectorELNS0_4arch9wavefront6targetE0EEEvSY_.num_agpr, 0
	.set _ZN7rocprim17ROCPRIM_400000_NS6detail17trampoline_kernelINS0_13select_configILj256ELj13ELNS0_17block_load_methodE3ELS4_3ELS4_3ELNS0_20block_scan_algorithmE0ELj4294967295EEENS1_25partition_config_selectorILNS1_17partition_subalgoE3EjNS0_10empty_typeEbEEZZNS1_14partition_implILS8_3ELb0ES6_jNS0_17counting_iteratorIjlEEPS9_SE_NS0_5tupleIJPjSE_EEENSF_IJSE_SE_EEES9_SG_JZNS1_25segmented_radix_sort_implINS0_14default_configELb1EPKaPaPKlPlN2at6native12_GLOBAL__N_18offset_tEEE10hipError_tPvRmT1_PNSt15iterator_traitsISY_E10value_typeET2_T3_PNSZ_IS14_E10value_typeET4_jRbjT5_S1A_jjP12ihipStream_tbEUljE_EEESV_SW_SX_S14_S18_S1A_T6_T7_T9_mT8_S1C_bDpT10_ENKUlT_T0_E_clISt17integral_constantIbLb0EES1O_IbLb1EEEEDaS1K_S1L_EUlS1K_E_NS1_11comp_targetILNS1_3genE8ELNS1_11target_archE1030ELNS1_3gpuE2ELNS1_3repE0EEENS1_30default_config_static_selectorELNS0_4arch9wavefront6targetE0EEEvSY_.numbered_sgpr, 26
	.set _ZN7rocprim17ROCPRIM_400000_NS6detail17trampoline_kernelINS0_13select_configILj256ELj13ELNS0_17block_load_methodE3ELS4_3ELS4_3ELNS0_20block_scan_algorithmE0ELj4294967295EEENS1_25partition_config_selectorILNS1_17partition_subalgoE3EjNS0_10empty_typeEbEEZZNS1_14partition_implILS8_3ELb0ES6_jNS0_17counting_iteratorIjlEEPS9_SE_NS0_5tupleIJPjSE_EEENSF_IJSE_SE_EEES9_SG_JZNS1_25segmented_radix_sort_implINS0_14default_configELb1EPKaPaPKlPlN2at6native12_GLOBAL__N_18offset_tEEE10hipError_tPvRmT1_PNSt15iterator_traitsISY_E10value_typeET2_T3_PNSZ_IS14_E10value_typeET4_jRbjT5_S1A_jjP12ihipStream_tbEUljE_EEESV_SW_SX_S14_S18_S1A_T6_T7_T9_mT8_S1C_bDpT10_ENKUlT_T0_E_clISt17integral_constantIbLb0EES1O_IbLb1EEEEDaS1K_S1L_EUlS1K_E_NS1_11comp_targetILNS1_3genE8ELNS1_11target_archE1030ELNS1_3gpuE2ELNS1_3repE0EEENS1_30default_config_static_selectorELNS0_4arch9wavefront6targetE0EEEvSY_.num_named_barrier, 0
	.set _ZN7rocprim17ROCPRIM_400000_NS6detail17trampoline_kernelINS0_13select_configILj256ELj13ELNS0_17block_load_methodE3ELS4_3ELS4_3ELNS0_20block_scan_algorithmE0ELj4294967295EEENS1_25partition_config_selectorILNS1_17partition_subalgoE3EjNS0_10empty_typeEbEEZZNS1_14partition_implILS8_3ELb0ES6_jNS0_17counting_iteratorIjlEEPS9_SE_NS0_5tupleIJPjSE_EEENSF_IJSE_SE_EEES9_SG_JZNS1_25segmented_radix_sort_implINS0_14default_configELb1EPKaPaPKlPlN2at6native12_GLOBAL__N_18offset_tEEE10hipError_tPvRmT1_PNSt15iterator_traitsISY_E10value_typeET2_T3_PNSZ_IS14_E10value_typeET4_jRbjT5_S1A_jjP12ihipStream_tbEUljE_EEESV_SW_SX_S14_S18_S1A_T6_T7_T9_mT8_S1C_bDpT10_ENKUlT_T0_E_clISt17integral_constantIbLb0EES1O_IbLb1EEEEDaS1K_S1L_EUlS1K_E_NS1_11comp_targetILNS1_3genE8ELNS1_11target_archE1030ELNS1_3gpuE2ELNS1_3repE0EEENS1_30default_config_static_selectorELNS0_4arch9wavefront6targetE0EEEvSY_.private_seg_size, 0
	.set _ZN7rocprim17ROCPRIM_400000_NS6detail17trampoline_kernelINS0_13select_configILj256ELj13ELNS0_17block_load_methodE3ELS4_3ELS4_3ELNS0_20block_scan_algorithmE0ELj4294967295EEENS1_25partition_config_selectorILNS1_17partition_subalgoE3EjNS0_10empty_typeEbEEZZNS1_14partition_implILS8_3ELb0ES6_jNS0_17counting_iteratorIjlEEPS9_SE_NS0_5tupleIJPjSE_EEENSF_IJSE_SE_EEES9_SG_JZNS1_25segmented_radix_sort_implINS0_14default_configELb1EPKaPaPKlPlN2at6native12_GLOBAL__N_18offset_tEEE10hipError_tPvRmT1_PNSt15iterator_traitsISY_E10value_typeET2_T3_PNSZ_IS14_E10value_typeET4_jRbjT5_S1A_jjP12ihipStream_tbEUljE_EEESV_SW_SX_S14_S18_S1A_T6_T7_T9_mT8_S1C_bDpT10_ENKUlT_T0_E_clISt17integral_constantIbLb0EES1O_IbLb1EEEEDaS1K_S1L_EUlS1K_E_NS1_11comp_targetILNS1_3genE8ELNS1_11target_archE1030ELNS1_3gpuE2ELNS1_3repE0EEENS1_30default_config_static_selectorELNS0_4arch9wavefront6targetE0EEEvSY_.uses_vcc, 1
	.set _ZN7rocprim17ROCPRIM_400000_NS6detail17trampoline_kernelINS0_13select_configILj256ELj13ELNS0_17block_load_methodE3ELS4_3ELS4_3ELNS0_20block_scan_algorithmE0ELj4294967295EEENS1_25partition_config_selectorILNS1_17partition_subalgoE3EjNS0_10empty_typeEbEEZZNS1_14partition_implILS8_3ELb0ES6_jNS0_17counting_iteratorIjlEEPS9_SE_NS0_5tupleIJPjSE_EEENSF_IJSE_SE_EEES9_SG_JZNS1_25segmented_radix_sort_implINS0_14default_configELb1EPKaPaPKlPlN2at6native12_GLOBAL__N_18offset_tEEE10hipError_tPvRmT1_PNSt15iterator_traitsISY_E10value_typeET2_T3_PNSZ_IS14_E10value_typeET4_jRbjT5_S1A_jjP12ihipStream_tbEUljE_EEESV_SW_SX_S14_S18_S1A_T6_T7_T9_mT8_S1C_bDpT10_ENKUlT_T0_E_clISt17integral_constantIbLb0EES1O_IbLb1EEEEDaS1K_S1L_EUlS1K_E_NS1_11comp_targetILNS1_3genE8ELNS1_11target_archE1030ELNS1_3gpuE2ELNS1_3repE0EEENS1_30default_config_static_selectorELNS0_4arch9wavefront6targetE0EEEvSY_.uses_flat_scratch, 0
	.set _ZN7rocprim17ROCPRIM_400000_NS6detail17trampoline_kernelINS0_13select_configILj256ELj13ELNS0_17block_load_methodE3ELS4_3ELS4_3ELNS0_20block_scan_algorithmE0ELj4294967295EEENS1_25partition_config_selectorILNS1_17partition_subalgoE3EjNS0_10empty_typeEbEEZZNS1_14partition_implILS8_3ELb0ES6_jNS0_17counting_iteratorIjlEEPS9_SE_NS0_5tupleIJPjSE_EEENSF_IJSE_SE_EEES9_SG_JZNS1_25segmented_radix_sort_implINS0_14default_configELb1EPKaPaPKlPlN2at6native12_GLOBAL__N_18offset_tEEE10hipError_tPvRmT1_PNSt15iterator_traitsISY_E10value_typeET2_T3_PNSZ_IS14_E10value_typeET4_jRbjT5_S1A_jjP12ihipStream_tbEUljE_EEESV_SW_SX_S14_S18_S1A_T6_T7_T9_mT8_S1C_bDpT10_ENKUlT_T0_E_clISt17integral_constantIbLb0EES1O_IbLb1EEEEDaS1K_S1L_EUlS1K_E_NS1_11comp_targetILNS1_3genE8ELNS1_11target_archE1030ELNS1_3gpuE2ELNS1_3repE0EEENS1_30default_config_static_selectorELNS0_4arch9wavefront6targetE0EEEvSY_.has_dyn_sized_stack, 0
	.set _ZN7rocprim17ROCPRIM_400000_NS6detail17trampoline_kernelINS0_13select_configILj256ELj13ELNS0_17block_load_methodE3ELS4_3ELS4_3ELNS0_20block_scan_algorithmE0ELj4294967295EEENS1_25partition_config_selectorILNS1_17partition_subalgoE3EjNS0_10empty_typeEbEEZZNS1_14partition_implILS8_3ELb0ES6_jNS0_17counting_iteratorIjlEEPS9_SE_NS0_5tupleIJPjSE_EEENSF_IJSE_SE_EEES9_SG_JZNS1_25segmented_radix_sort_implINS0_14default_configELb1EPKaPaPKlPlN2at6native12_GLOBAL__N_18offset_tEEE10hipError_tPvRmT1_PNSt15iterator_traitsISY_E10value_typeET2_T3_PNSZ_IS14_E10value_typeET4_jRbjT5_S1A_jjP12ihipStream_tbEUljE_EEESV_SW_SX_S14_S18_S1A_T6_T7_T9_mT8_S1C_bDpT10_ENKUlT_T0_E_clISt17integral_constantIbLb0EES1O_IbLb1EEEEDaS1K_S1L_EUlS1K_E_NS1_11comp_targetILNS1_3genE8ELNS1_11target_archE1030ELNS1_3gpuE2ELNS1_3repE0EEENS1_30default_config_static_selectorELNS0_4arch9wavefront6targetE0EEEvSY_.has_recursion, 0
	.set _ZN7rocprim17ROCPRIM_400000_NS6detail17trampoline_kernelINS0_13select_configILj256ELj13ELNS0_17block_load_methodE3ELS4_3ELS4_3ELNS0_20block_scan_algorithmE0ELj4294967295EEENS1_25partition_config_selectorILNS1_17partition_subalgoE3EjNS0_10empty_typeEbEEZZNS1_14partition_implILS8_3ELb0ES6_jNS0_17counting_iteratorIjlEEPS9_SE_NS0_5tupleIJPjSE_EEENSF_IJSE_SE_EEES9_SG_JZNS1_25segmented_radix_sort_implINS0_14default_configELb1EPKaPaPKlPlN2at6native12_GLOBAL__N_18offset_tEEE10hipError_tPvRmT1_PNSt15iterator_traitsISY_E10value_typeET2_T3_PNSZ_IS14_E10value_typeET4_jRbjT5_S1A_jjP12ihipStream_tbEUljE_EEESV_SW_SX_S14_S18_S1A_T6_T7_T9_mT8_S1C_bDpT10_ENKUlT_T0_E_clISt17integral_constantIbLb0EES1O_IbLb1EEEEDaS1K_S1L_EUlS1K_E_NS1_11comp_targetILNS1_3genE8ELNS1_11target_archE1030ELNS1_3gpuE2ELNS1_3repE0EEENS1_30default_config_static_selectorELNS0_4arch9wavefront6targetE0EEEvSY_.has_indirect_call, 0
	.section	.AMDGPU.csdata,"",@progbits
; Kernel info:
; codeLenInByte = 8704
; TotalNumSgprs: 28
; NumVgprs: 71
; ScratchSize: 0
; MemoryBound: 0
; FloatMode: 240
; IeeeMode: 1
; LDSByteSize: 13320 bytes/workgroup (compile time only)
; SGPRBlocks: 0
; VGPRBlocks: 8
; NumSGPRsForWavesPerEU: 28
; NumVGPRsForWavesPerEU: 71
; Occupancy: 12
; WaveLimiterHint : 0
; COMPUTE_PGM_RSRC2:SCRATCH_EN: 0
; COMPUTE_PGM_RSRC2:USER_SGPR: 6
; COMPUTE_PGM_RSRC2:TRAP_HANDLER: 0
; COMPUTE_PGM_RSRC2:TGID_X_EN: 1
; COMPUTE_PGM_RSRC2:TGID_Y_EN: 0
; COMPUTE_PGM_RSRC2:TGID_Z_EN: 0
; COMPUTE_PGM_RSRC2:TIDIG_COMP_CNT: 0
	.section	.text._ZN7rocprim17ROCPRIM_400000_NS6detail17trampoline_kernelINS0_14default_configENS1_36segmented_radix_sort_config_selectorIalEEZNS1_25segmented_radix_sort_implIS3_Lb1EPKaPaPKlPlN2at6native12_GLOBAL__N_18offset_tEEE10hipError_tPvRmT1_PNSt15iterator_traitsISK_E10value_typeET2_T3_PNSL_ISQ_E10value_typeET4_jRbjT5_SW_jjP12ihipStream_tbEUlT_E_NS1_11comp_targetILNS1_3genE0ELNS1_11target_archE4294967295ELNS1_3gpuE0ELNS1_3repE0EEENS1_30default_config_static_selectorELNS0_4arch9wavefront6targetE0EEEvSK_,"axG",@progbits,_ZN7rocprim17ROCPRIM_400000_NS6detail17trampoline_kernelINS0_14default_configENS1_36segmented_radix_sort_config_selectorIalEEZNS1_25segmented_radix_sort_implIS3_Lb1EPKaPaPKlPlN2at6native12_GLOBAL__N_18offset_tEEE10hipError_tPvRmT1_PNSt15iterator_traitsISK_E10value_typeET2_T3_PNSL_ISQ_E10value_typeET4_jRbjT5_SW_jjP12ihipStream_tbEUlT_E_NS1_11comp_targetILNS1_3genE0ELNS1_11target_archE4294967295ELNS1_3gpuE0ELNS1_3repE0EEENS1_30default_config_static_selectorELNS0_4arch9wavefront6targetE0EEEvSK_,comdat
	.globl	_ZN7rocprim17ROCPRIM_400000_NS6detail17trampoline_kernelINS0_14default_configENS1_36segmented_radix_sort_config_selectorIalEEZNS1_25segmented_radix_sort_implIS3_Lb1EPKaPaPKlPlN2at6native12_GLOBAL__N_18offset_tEEE10hipError_tPvRmT1_PNSt15iterator_traitsISK_E10value_typeET2_T3_PNSL_ISQ_E10value_typeET4_jRbjT5_SW_jjP12ihipStream_tbEUlT_E_NS1_11comp_targetILNS1_3genE0ELNS1_11target_archE4294967295ELNS1_3gpuE0ELNS1_3repE0EEENS1_30default_config_static_selectorELNS0_4arch9wavefront6targetE0EEEvSK_ ; -- Begin function _ZN7rocprim17ROCPRIM_400000_NS6detail17trampoline_kernelINS0_14default_configENS1_36segmented_radix_sort_config_selectorIalEEZNS1_25segmented_radix_sort_implIS3_Lb1EPKaPaPKlPlN2at6native12_GLOBAL__N_18offset_tEEE10hipError_tPvRmT1_PNSt15iterator_traitsISK_E10value_typeET2_T3_PNSL_ISQ_E10value_typeET4_jRbjT5_SW_jjP12ihipStream_tbEUlT_E_NS1_11comp_targetILNS1_3genE0ELNS1_11target_archE4294967295ELNS1_3gpuE0ELNS1_3repE0EEENS1_30default_config_static_selectorELNS0_4arch9wavefront6targetE0EEEvSK_
	.p2align	8
	.type	_ZN7rocprim17ROCPRIM_400000_NS6detail17trampoline_kernelINS0_14default_configENS1_36segmented_radix_sort_config_selectorIalEEZNS1_25segmented_radix_sort_implIS3_Lb1EPKaPaPKlPlN2at6native12_GLOBAL__N_18offset_tEEE10hipError_tPvRmT1_PNSt15iterator_traitsISK_E10value_typeET2_T3_PNSL_ISQ_E10value_typeET4_jRbjT5_SW_jjP12ihipStream_tbEUlT_E_NS1_11comp_targetILNS1_3genE0ELNS1_11target_archE4294967295ELNS1_3gpuE0ELNS1_3repE0EEENS1_30default_config_static_selectorELNS0_4arch9wavefront6targetE0EEEvSK_,@function
_ZN7rocprim17ROCPRIM_400000_NS6detail17trampoline_kernelINS0_14default_configENS1_36segmented_radix_sort_config_selectorIalEEZNS1_25segmented_radix_sort_implIS3_Lb1EPKaPaPKlPlN2at6native12_GLOBAL__N_18offset_tEEE10hipError_tPvRmT1_PNSt15iterator_traitsISK_E10value_typeET2_T3_PNSL_ISQ_E10value_typeET4_jRbjT5_SW_jjP12ihipStream_tbEUlT_E_NS1_11comp_targetILNS1_3genE0ELNS1_11target_archE4294967295ELNS1_3gpuE0ELNS1_3repE0EEENS1_30default_config_static_selectorELNS0_4arch9wavefront6targetE0EEEvSK_: ; @_ZN7rocprim17ROCPRIM_400000_NS6detail17trampoline_kernelINS0_14default_configENS1_36segmented_radix_sort_config_selectorIalEEZNS1_25segmented_radix_sort_implIS3_Lb1EPKaPaPKlPlN2at6native12_GLOBAL__N_18offset_tEEE10hipError_tPvRmT1_PNSt15iterator_traitsISK_E10value_typeET2_T3_PNSL_ISQ_E10value_typeET4_jRbjT5_SW_jjP12ihipStream_tbEUlT_E_NS1_11comp_targetILNS1_3genE0ELNS1_11target_archE4294967295ELNS1_3gpuE0ELNS1_3repE0EEENS1_30default_config_static_selectorELNS0_4arch9wavefront6targetE0EEEvSK_
; %bb.0:
	.section	.rodata,"a",@progbits
	.p2align	6, 0x0
	.amdhsa_kernel _ZN7rocprim17ROCPRIM_400000_NS6detail17trampoline_kernelINS0_14default_configENS1_36segmented_radix_sort_config_selectorIalEEZNS1_25segmented_radix_sort_implIS3_Lb1EPKaPaPKlPlN2at6native12_GLOBAL__N_18offset_tEEE10hipError_tPvRmT1_PNSt15iterator_traitsISK_E10value_typeET2_T3_PNSL_ISQ_E10value_typeET4_jRbjT5_SW_jjP12ihipStream_tbEUlT_E_NS1_11comp_targetILNS1_3genE0ELNS1_11target_archE4294967295ELNS1_3gpuE0ELNS1_3repE0EEENS1_30default_config_static_selectorELNS0_4arch9wavefront6targetE0EEEvSK_
		.amdhsa_group_segment_fixed_size 0
		.amdhsa_private_segment_fixed_size 0
		.amdhsa_kernarg_size 96
		.amdhsa_user_sgpr_count 6
		.amdhsa_user_sgpr_private_segment_buffer 1
		.amdhsa_user_sgpr_dispatch_ptr 0
		.amdhsa_user_sgpr_queue_ptr 0
		.amdhsa_user_sgpr_kernarg_segment_ptr 1
		.amdhsa_user_sgpr_dispatch_id 0
		.amdhsa_user_sgpr_flat_scratch_init 0
		.amdhsa_user_sgpr_private_segment_size 0
		.amdhsa_wavefront_size32 1
		.amdhsa_uses_dynamic_stack 0
		.amdhsa_system_sgpr_private_segment_wavefront_offset 0
		.amdhsa_system_sgpr_workgroup_id_x 1
		.amdhsa_system_sgpr_workgroup_id_y 0
		.amdhsa_system_sgpr_workgroup_id_z 0
		.amdhsa_system_sgpr_workgroup_info 0
		.amdhsa_system_vgpr_workitem_id 0
		.amdhsa_next_free_vgpr 1
		.amdhsa_next_free_sgpr 1
		.amdhsa_reserve_vcc 0
		.amdhsa_reserve_flat_scratch 0
		.amdhsa_float_round_mode_32 0
		.amdhsa_float_round_mode_16_64 0
		.amdhsa_float_denorm_mode_32 3
		.amdhsa_float_denorm_mode_16_64 3
		.amdhsa_dx10_clamp 1
		.amdhsa_ieee_mode 1
		.amdhsa_fp16_overflow 0
		.amdhsa_workgroup_processor_mode 1
		.amdhsa_memory_ordered 1
		.amdhsa_forward_progress 1
		.amdhsa_shared_vgpr_count 0
		.amdhsa_exception_fp_ieee_invalid_op 0
		.amdhsa_exception_fp_denorm_src 0
		.amdhsa_exception_fp_ieee_div_zero 0
		.amdhsa_exception_fp_ieee_overflow 0
		.amdhsa_exception_fp_ieee_underflow 0
		.amdhsa_exception_fp_ieee_inexact 0
		.amdhsa_exception_int_div_zero 0
	.end_amdhsa_kernel
	.section	.text._ZN7rocprim17ROCPRIM_400000_NS6detail17trampoline_kernelINS0_14default_configENS1_36segmented_radix_sort_config_selectorIalEEZNS1_25segmented_radix_sort_implIS3_Lb1EPKaPaPKlPlN2at6native12_GLOBAL__N_18offset_tEEE10hipError_tPvRmT1_PNSt15iterator_traitsISK_E10value_typeET2_T3_PNSL_ISQ_E10value_typeET4_jRbjT5_SW_jjP12ihipStream_tbEUlT_E_NS1_11comp_targetILNS1_3genE0ELNS1_11target_archE4294967295ELNS1_3gpuE0ELNS1_3repE0EEENS1_30default_config_static_selectorELNS0_4arch9wavefront6targetE0EEEvSK_,"axG",@progbits,_ZN7rocprim17ROCPRIM_400000_NS6detail17trampoline_kernelINS0_14default_configENS1_36segmented_radix_sort_config_selectorIalEEZNS1_25segmented_radix_sort_implIS3_Lb1EPKaPaPKlPlN2at6native12_GLOBAL__N_18offset_tEEE10hipError_tPvRmT1_PNSt15iterator_traitsISK_E10value_typeET2_T3_PNSL_ISQ_E10value_typeET4_jRbjT5_SW_jjP12ihipStream_tbEUlT_E_NS1_11comp_targetILNS1_3genE0ELNS1_11target_archE4294967295ELNS1_3gpuE0ELNS1_3repE0EEENS1_30default_config_static_selectorELNS0_4arch9wavefront6targetE0EEEvSK_,comdat
.Lfunc_end288:
	.size	_ZN7rocprim17ROCPRIM_400000_NS6detail17trampoline_kernelINS0_14default_configENS1_36segmented_radix_sort_config_selectorIalEEZNS1_25segmented_radix_sort_implIS3_Lb1EPKaPaPKlPlN2at6native12_GLOBAL__N_18offset_tEEE10hipError_tPvRmT1_PNSt15iterator_traitsISK_E10value_typeET2_T3_PNSL_ISQ_E10value_typeET4_jRbjT5_SW_jjP12ihipStream_tbEUlT_E_NS1_11comp_targetILNS1_3genE0ELNS1_11target_archE4294967295ELNS1_3gpuE0ELNS1_3repE0EEENS1_30default_config_static_selectorELNS0_4arch9wavefront6targetE0EEEvSK_, .Lfunc_end288-_ZN7rocprim17ROCPRIM_400000_NS6detail17trampoline_kernelINS0_14default_configENS1_36segmented_radix_sort_config_selectorIalEEZNS1_25segmented_radix_sort_implIS3_Lb1EPKaPaPKlPlN2at6native12_GLOBAL__N_18offset_tEEE10hipError_tPvRmT1_PNSt15iterator_traitsISK_E10value_typeET2_T3_PNSL_ISQ_E10value_typeET4_jRbjT5_SW_jjP12ihipStream_tbEUlT_E_NS1_11comp_targetILNS1_3genE0ELNS1_11target_archE4294967295ELNS1_3gpuE0ELNS1_3repE0EEENS1_30default_config_static_selectorELNS0_4arch9wavefront6targetE0EEEvSK_
                                        ; -- End function
	.set _ZN7rocprim17ROCPRIM_400000_NS6detail17trampoline_kernelINS0_14default_configENS1_36segmented_radix_sort_config_selectorIalEEZNS1_25segmented_radix_sort_implIS3_Lb1EPKaPaPKlPlN2at6native12_GLOBAL__N_18offset_tEEE10hipError_tPvRmT1_PNSt15iterator_traitsISK_E10value_typeET2_T3_PNSL_ISQ_E10value_typeET4_jRbjT5_SW_jjP12ihipStream_tbEUlT_E_NS1_11comp_targetILNS1_3genE0ELNS1_11target_archE4294967295ELNS1_3gpuE0ELNS1_3repE0EEENS1_30default_config_static_selectorELNS0_4arch9wavefront6targetE0EEEvSK_.num_vgpr, 0
	.set _ZN7rocprim17ROCPRIM_400000_NS6detail17trampoline_kernelINS0_14default_configENS1_36segmented_radix_sort_config_selectorIalEEZNS1_25segmented_radix_sort_implIS3_Lb1EPKaPaPKlPlN2at6native12_GLOBAL__N_18offset_tEEE10hipError_tPvRmT1_PNSt15iterator_traitsISK_E10value_typeET2_T3_PNSL_ISQ_E10value_typeET4_jRbjT5_SW_jjP12ihipStream_tbEUlT_E_NS1_11comp_targetILNS1_3genE0ELNS1_11target_archE4294967295ELNS1_3gpuE0ELNS1_3repE0EEENS1_30default_config_static_selectorELNS0_4arch9wavefront6targetE0EEEvSK_.num_agpr, 0
	.set _ZN7rocprim17ROCPRIM_400000_NS6detail17trampoline_kernelINS0_14default_configENS1_36segmented_radix_sort_config_selectorIalEEZNS1_25segmented_radix_sort_implIS3_Lb1EPKaPaPKlPlN2at6native12_GLOBAL__N_18offset_tEEE10hipError_tPvRmT1_PNSt15iterator_traitsISK_E10value_typeET2_T3_PNSL_ISQ_E10value_typeET4_jRbjT5_SW_jjP12ihipStream_tbEUlT_E_NS1_11comp_targetILNS1_3genE0ELNS1_11target_archE4294967295ELNS1_3gpuE0ELNS1_3repE0EEENS1_30default_config_static_selectorELNS0_4arch9wavefront6targetE0EEEvSK_.numbered_sgpr, 0
	.set _ZN7rocprim17ROCPRIM_400000_NS6detail17trampoline_kernelINS0_14default_configENS1_36segmented_radix_sort_config_selectorIalEEZNS1_25segmented_radix_sort_implIS3_Lb1EPKaPaPKlPlN2at6native12_GLOBAL__N_18offset_tEEE10hipError_tPvRmT1_PNSt15iterator_traitsISK_E10value_typeET2_T3_PNSL_ISQ_E10value_typeET4_jRbjT5_SW_jjP12ihipStream_tbEUlT_E_NS1_11comp_targetILNS1_3genE0ELNS1_11target_archE4294967295ELNS1_3gpuE0ELNS1_3repE0EEENS1_30default_config_static_selectorELNS0_4arch9wavefront6targetE0EEEvSK_.num_named_barrier, 0
	.set _ZN7rocprim17ROCPRIM_400000_NS6detail17trampoline_kernelINS0_14default_configENS1_36segmented_radix_sort_config_selectorIalEEZNS1_25segmented_radix_sort_implIS3_Lb1EPKaPaPKlPlN2at6native12_GLOBAL__N_18offset_tEEE10hipError_tPvRmT1_PNSt15iterator_traitsISK_E10value_typeET2_T3_PNSL_ISQ_E10value_typeET4_jRbjT5_SW_jjP12ihipStream_tbEUlT_E_NS1_11comp_targetILNS1_3genE0ELNS1_11target_archE4294967295ELNS1_3gpuE0ELNS1_3repE0EEENS1_30default_config_static_selectorELNS0_4arch9wavefront6targetE0EEEvSK_.private_seg_size, 0
	.set _ZN7rocprim17ROCPRIM_400000_NS6detail17trampoline_kernelINS0_14default_configENS1_36segmented_radix_sort_config_selectorIalEEZNS1_25segmented_radix_sort_implIS3_Lb1EPKaPaPKlPlN2at6native12_GLOBAL__N_18offset_tEEE10hipError_tPvRmT1_PNSt15iterator_traitsISK_E10value_typeET2_T3_PNSL_ISQ_E10value_typeET4_jRbjT5_SW_jjP12ihipStream_tbEUlT_E_NS1_11comp_targetILNS1_3genE0ELNS1_11target_archE4294967295ELNS1_3gpuE0ELNS1_3repE0EEENS1_30default_config_static_selectorELNS0_4arch9wavefront6targetE0EEEvSK_.uses_vcc, 0
	.set _ZN7rocprim17ROCPRIM_400000_NS6detail17trampoline_kernelINS0_14default_configENS1_36segmented_radix_sort_config_selectorIalEEZNS1_25segmented_radix_sort_implIS3_Lb1EPKaPaPKlPlN2at6native12_GLOBAL__N_18offset_tEEE10hipError_tPvRmT1_PNSt15iterator_traitsISK_E10value_typeET2_T3_PNSL_ISQ_E10value_typeET4_jRbjT5_SW_jjP12ihipStream_tbEUlT_E_NS1_11comp_targetILNS1_3genE0ELNS1_11target_archE4294967295ELNS1_3gpuE0ELNS1_3repE0EEENS1_30default_config_static_selectorELNS0_4arch9wavefront6targetE0EEEvSK_.uses_flat_scratch, 0
	.set _ZN7rocprim17ROCPRIM_400000_NS6detail17trampoline_kernelINS0_14default_configENS1_36segmented_radix_sort_config_selectorIalEEZNS1_25segmented_radix_sort_implIS3_Lb1EPKaPaPKlPlN2at6native12_GLOBAL__N_18offset_tEEE10hipError_tPvRmT1_PNSt15iterator_traitsISK_E10value_typeET2_T3_PNSL_ISQ_E10value_typeET4_jRbjT5_SW_jjP12ihipStream_tbEUlT_E_NS1_11comp_targetILNS1_3genE0ELNS1_11target_archE4294967295ELNS1_3gpuE0ELNS1_3repE0EEENS1_30default_config_static_selectorELNS0_4arch9wavefront6targetE0EEEvSK_.has_dyn_sized_stack, 0
	.set _ZN7rocprim17ROCPRIM_400000_NS6detail17trampoline_kernelINS0_14default_configENS1_36segmented_radix_sort_config_selectorIalEEZNS1_25segmented_radix_sort_implIS3_Lb1EPKaPaPKlPlN2at6native12_GLOBAL__N_18offset_tEEE10hipError_tPvRmT1_PNSt15iterator_traitsISK_E10value_typeET2_T3_PNSL_ISQ_E10value_typeET4_jRbjT5_SW_jjP12ihipStream_tbEUlT_E_NS1_11comp_targetILNS1_3genE0ELNS1_11target_archE4294967295ELNS1_3gpuE0ELNS1_3repE0EEENS1_30default_config_static_selectorELNS0_4arch9wavefront6targetE0EEEvSK_.has_recursion, 0
	.set _ZN7rocprim17ROCPRIM_400000_NS6detail17trampoline_kernelINS0_14default_configENS1_36segmented_radix_sort_config_selectorIalEEZNS1_25segmented_radix_sort_implIS3_Lb1EPKaPaPKlPlN2at6native12_GLOBAL__N_18offset_tEEE10hipError_tPvRmT1_PNSt15iterator_traitsISK_E10value_typeET2_T3_PNSL_ISQ_E10value_typeET4_jRbjT5_SW_jjP12ihipStream_tbEUlT_E_NS1_11comp_targetILNS1_3genE0ELNS1_11target_archE4294967295ELNS1_3gpuE0ELNS1_3repE0EEENS1_30default_config_static_selectorELNS0_4arch9wavefront6targetE0EEEvSK_.has_indirect_call, 0
	.section	.AMDGPU.csdata,"",@progbits
; Kernel info:
; codeLenInByte = 0
; TotalNumSgprs: 0
; NumVgprs: 0
; ScratchSize: 0
; MemoryBound: 0
; FloatMode: 240
; IeeeMode: 1
; LDSByteSize: 0 bytes/workgroup (compile time only)
; SGPRBlocks: 0
; VGPRBlocks: 0
; NumSGPRsForWavesPerEU: 1
; NumVGPRsForWavesPerEU: 1
; Occupancy: 16
; WaveLimiterHint : 0
; COMPUTE_PGM_RSRC2:SCRATCH_EN: 0
; COMPUTE_PGM_RSRC2:USER_SGPR: 6
; COMPUTE_PGM_RSRC2:TRAP_HANDLER: 0
; COMPUTE_PGM_RSRC2:TGID_X_EN: 1
; COMPUTE_PGM_RSRC2:TGID_Y_EN: 0
; COMPUTE_PGM_RSRC2:TGID_Z_EN: 0
; COMPUTE_PGM_RSRC2:TIDIG_COMP_CNT: 0
	.section	.text._ZN7rocprim17ROCPRIM_400000_NS6detail17trampoline_kernelINS0_14default_configENS1_36segmented_radix_sort_config_selectorIalEEZNS1_25segmented_radix_sort_implIS3_Lb1EPKaPaPKlPlN2at6native12_GLOBAL__N_18offset_tEEE10hipError_tPvRmT1_PNSt15iterator_traitsISK_E10value_typeET2_T3_PNSL_ISQ_E10value_typeET4_jRbjT5_SW_jjP12ihipStream_tbEUlT_E_NS1_11comp_targetILNS1_3genE5ELNS1_11target_archE942ELNS1_3gpuE9ELNS1_3repE0EEENS1_30default_config_static_selectorELNS0_4arch9wavefront6targetE0EEEvSK_,"axG",@progbits,_ZN7rocprim17ROCPRIM_400000_NS6detail17trampoline_kernelINS0_14default_configENS1_36segmented_radix_sort_config_selectorIalEEZNS1_25segmented_radix_sort_implIS3_Lb1EPKaPaPKlPlN2at6native12_GLOBAL__N_18offset_tEEE10hipError_tPvRmT1_PNSt15iterator_traitsISK_E10value_typeET2_T3_PNSL_ISQ_E10value_typeET4_jRbjT5_SW_jjP12ihipStream_tbEUlT_E_NS1_11comp_targetILNS1_3genE5ELNS1_11target_archE942ELNS1_3gpuE9ELNS1_3repE0EEENS1_30default_config_static_selectorELNS0_4arch9wavefront6targetE0EEEvSK_,comdat
	.globl	_ZN7rocprim17ROCPRIM_400000_NS6detail17trampoline_kernelINS0_14default_configENS1_36segmented_radix_sort_config_selectorIalEEZNS1_25segmented_radix_sort_implIS3_Lb1EPKaPaPKlPlN2at6native12_GLOBAL__N_18offset_tEEE10hipError_tPvRmT1_PNSt15iterator_traitsISK_E10value_typeET2_T3_PNSL_ISQ_E10value_typeET4_jRbjT5_SW_jjP12ihipStream_tbEUlT_E_NS1_11comp_targetILNS1_3genE5ELNS1_11target_archE942ELNS1_3gpuE9ELNS1_3repE0EEENS1_30default_config_static_selectorELNS0_4arch9wavefront6targetE0EEEvSK_ ; -- Begin function _ZN7rocprim17ROCPRIM_400000_NS6detail17trampoline_kernelINS0_14default_configENS1_36segmented_radix_sort_config_selectorIalEEZNS1_25segmented_radix_sort_implIS3_Lb1EPKaPaPKlPlN2at6native12_GLOBAL__N_18offset_tEEE10hipError_tPvRmT1_PNSt15iterator_traitsISK_E10value_typeET2_T3_PNSL_ISQ_E10value_typeET4_jRbjT5_SW_jjP12ihipStream_tbEUlT_E_NS1_11comp_targetILNS1_3genE5ELNS1_11target_archE942ELNS1_3gpuE9ELNS1_3repE0EEENS1_30default_config_static_selectorELNS0_4arch9wavefront6targetE0EEEvSK_
	.p2align	8
	.type	_ZN7rocprim17ROCPRIM_400000_NS6detail17trampoline_kernelINS0_14default_configENS1_36segmented_radix_sort_config_selectorIalEEZNS1_25segmented_radix_sort_implIS3_Lb1EPKaPaPKlPlN2at6native12_GLOBAL__N_18offset_tEEE10hipError_tPvRmT1_PNSt15iterator_traitsISK_E10value_typeET2_T3_PNSL_ISQ_E10value_typeET4_jRbjT5_SW_jjP12ihipStream_tbEUlT_E_NS1_11comp_targetILNS1_3genE5ELNS1_11target_archE942ELNS1_3gpuE9ELNS1_3repE0EEENS1_30default_config_static_selectorELNS0_4arch9wavefront6targetE0EEEvSK_,@function
_ZN7rocprim17ROCPRIM_400000_NS6detail17trampoline_kernelINS0_14default_configENS1_36segmented_radix_sort_config_selectorIalEEZNS1_25segmented_radix_sort_implIS3_Lb1EPKaPaPKlPlN2at6native12_GLOBAL__N_18offset_tEEE10hipError_tPvRmT1_PNSt15iterator_traitsISK_E10value_typeET2_T3_PNSL_ISQ_E10value_typeET4_jRbjT5_SW_jjP12ihipStream_tbEUlT_E_NS1_11comp_targetILNS1_3genE5ELNS1_11target_archE942ELNS1_3gpuE9ELNS1_3repE0EEENS1_30default_config_static_selectorELNS0_4arch9wavefront6targetE0EEEvSK_: ; @_ZN7rocprim17ROCPRIM_400000_NS6detail17trampoline_kernelINS0_14default_configENS1_36segmented_radix_sort_config_selectorIalEEZNS1_25segmented_radix_sort_implIS3_Lb1EPKaPaPKlPlN2at6native12_GLOBAL__N_18offset_tEEE10hipError_tPvRmT1_PNSt15iterator_traitsISK_E10value_typeET2_T3_PNSL_ISQ_E10value_typeET4_jRbjT5_SW_jjP12ihipStream_tbEUlT_E_NS1_11comp_targetILNS1_3genE5ELNS1_11target_archE942ELNS1_3gpuE9ELNS1_3repE0EEENS1_30default_config_static_selectorELNS0_4arch9wavefront6targetE0EEEvSK_
; %bb.0:
	.section	.rodata,"a",@progbits
	.p2align	6, 0x0
	.amdhsa_kernel _ZN7rocprim17ROCPRIM_400000_NS6detail17trampoline_kernelINS0_14default_configENS1_36segmented_radix_sort_config_selectorIalEEZNS1_25segmented_radix_sort_implIS3_Lb1EPKaPaPKlPlN2at6native12_GLOBAL__N_18offset_tEEE10hipError_tPvRmT1_PNSt15iterator_traitsISK_E10value_typeET2_T3_PNSL_ISQ_E10value_typeET4_jRbjT5_SW_jjP12ihipStream_tbEUlT_E_NS1_11comp_targetILNS1_3genE5ELNS1_11target_archE942ELNS1_3gpuE9ELNS1_3repE0EEENS1_30default_config_static_selectorELNS0_4arch9wavefront6targetE0EEEvSK_
		.amdhsa_group_segment_fixed_size 0
		.amdhsa_private_segment_fixed_size 0
		.amdhsa_kernarg_size 96
		.amdhsa_user_sgpr_count 6
		.amdhsa_user_sgpr_private_segment_buffer 1
		.amdhsa_user_sgpr_dispatch_ptr 0
		.amdhsa_user_sgpr_queue_ptr 0
		.amdhsa_user_sgpr_kernarg_segment_ptr 1
		.amdhsa_user_sgpr_dispatch_id 0
		.amdhsa_user_sgpr_flat_scratch_init 0
		.amdhsa_user_sgpr_private_segment_size 0
		.amdhsa_wavefront_size32 1
		.amdhsa_uses_dynamic_stack 0
		.amdhsa_system_sgpr_private_segment_wavefront_offset 0
		.amdhsa_system_sgpr_workgroup_id_x 1
		.amdhsa_system_sgpr_workgroup_id_y 0
		.amdhsa_system_sgpr_workgroup_id_z 0
		.amdhsa_system_sgpr_workgroup_info 0
		.amdhsa_system_vgpr_workitem_id 0
		.amdhsa_next_free_vgpr 1
		.amdhsa_next_free_sgpr 1
		.amdhsa_reserve_vcc 0
		.amdhsa_reserve_flat_scratch 0
		.amdhsa_float_round_mode_32 0
		.amdhsa_float_round_mode_16_64 0
		.amdhsa_float_denorm_mode_32 3
		.amdhsa_float_denorm_mode_16_64 3
		.amdhsa_dx10_clamp 1
		.amdhsa_ieee_mode 1
		.amdhsa_fp16_overflow 0
		.amdhsa_workgroup_processor_mode 1
		.amdhsa_memory_ordered 1
		.amdhsa_forward_progress 1
		.amdhsa_shared_vgpr_count 0
		.amdhsa_exception_fp_ieee_invalid_op 0
		.amdhsa_exception_fp_denorm_src 0
		.amdhsa_exception_fp_ieee_div_zero 0
		.amdhsa_exception_fp_ieee_overflow 0
		.amdhsa_exception_fp_ieee_underflow 0
		.amdhsa_exception_fp_ieee_inexact 0
		.amdhsa_exception_int_div_zero 0
	.end_amdhsa_kernel
	.section	.text._ZN7rocprim17ROCPRIM_400000_NS6detail17trampoline_kernelINS0_14default_configENS1_36segmented_radix_sort_config_selectorIalEEZNS1_25segmented_radix_sort_implIS3_Lb1EPKaPaPKlPlN2at6native12_GLOBAL__N_18offset_tEEE10hipError_tPvRmT1_PNSt15iterator_traitsISK_E10value_typeET2_T3_PNSL_ISQ_E10value_typeET4_jRbjT5_SW_jjP12ihipStream_tbEUlT_E_NS1_11comp_targetILNS1_3genE5ELNS1_11target_archE942ELNS1_3gpuE9ELNS1_3repE0EEENS1_30default_config_static_selectorELNS0_4arch9wavefront6targetE0EEEvSK_,"axG",@progbits,_ZN7rocprim17ROCPRIM_400000_NS6detail17trampoline_kernelINS0_14default_configENS1_36segmented_radix_sort_config_selectorIalEEZNS1_25segmented_radix_sort_implIS3_Lb1EPKaPaPKlPlN2at6native12_GLOBAL__N_18offset_tEEE10hipError_tPvRmT1_PNSt15iterator_traitsISK_E10value_typeET2_T3_PNSL_ISQ_E10value_typeET4_jRbjT5_SW_jjP12ihipStream_tbEUlT_E_NS1_11comp_targetILNS1_3genE5ELNS1_11target_archE942ELNS1_3gpuE9ELNS1_3repE0EEENS1_30default_config_static_selectorELNS0_4arch9wavefront6targetE0EEEvSK_,comdat
.Lfunc_end289:
	.size	_ZN7rocprim17ROCPRIM_400000_NS6detail17trampoline_kernelINS0_14default_configENS1_36segmented_radix_sort_config_selectorIalEEZNS1_25segmented_radix_sort_implIS3_Lb1EPKaPaPKlPlN2at6native12_GLOBAL__N_18offset_tEEE10hipError_tPvRmT1_PNSt15iterator_traitsISK_E10value_typeET2_T3_PNSL_ISQ_E10value_typeET4_jRbjT5_SW_jjP12ihipStream_tbEUlT_E_NS1_11comp_targetILNS1_3genE5ELNS1_11target_archE942ELNS1_3gpuE9ELNS1_3repE0EEENS1_30default_config_static_selectorELNS0_4arch9wavefront6targetE0EEEvSK_, .Lfunc_end289-_ZN7rocprim17ROCPRIM_400000_NS6detail17trampoline_kernelINS0_14default_configENS1_36segmented_radix_sort_config_selectorIalEEZNS1_25segmented_radix_sort_implIS3_Lb1EPKaPaPKlPlN2at6native12_GLOBAL__N_18offset_tEEE10hipError_tPvRmT1_PNSt15iterator_traitsISK_E10value_typeET2_T3_PNSL_ISQ_E10value_typeET4_jRbjT5_SW_jjP12ihipStream_tbEUlT_E_NS1_11comp_targetILNS1_3genE5ELNS1_11target_archE942ELNS1_3gpuE9ELNS1_3repE0EEENS1_30default_config_static_selectorELNS0_4arch9wavefront6targetE0EEEvSK_
                                        ; -- End function
	.set _ZN7rocprim17ROCPRIM_400000_NS6detail17trampoline_kernelINS0_14default_configENS1_36segmented_radix_sort_config_selectorIalEEZNS1_25segmented_radix_sort_implIS3_Lb1EPKaPaPKlPlN2at6native12_GLOBAL__N_18offset_tEEE10hipError_tPvRmT1_PNSt15iterator_traitsISK_E10value_typeET2_T3_PNSL_ISQ_E10value_typeET4_jRbjT5_SW_jjP12ihipStream_tbEUlT_E_NS1_11comp_targetILNS1_3genE5ELNS1_11target_archE942ELNS1_3gpuE9ELNS1_3repE0EEENS1_30default_config_static_selectorELNS0_4arch9wavefront6targetE0EEEvSK_.num_vgpr, 0
	.set _ZN7rocprim17ROCPRIM_400000_NS6detail17trampoline_kernelINS0_14default_configENS1_36segmented_radix_sort_config_selectorIalEEZNS1_25segmented_radix_sort_implIS3_Lb1EPKaPaPKlPlN2at6native12_GLOBAL__N_18offset_tEEE10hipError_tPvRmT1_PNSt15iterator_traitsISK_E10value_typeET2_T3_PNSL_ISQ_E10value_typeET4_jRbjT5_SW_jjP12ihipStream_tbEUlT_E_NS1_11comp_targetILNS1_3genE5ELNS1_11target_archE942ELNS1_3gpuE9ELNS1_3repE0EEENS1_30default_config_static_selectorELNS0_4arch9wavefront6targetE0EEEvSK_.num_agpr, 0
	.set _ZN7rocprim17ROCPRIM_400000_NS6detail17trampoline_kernelINS0_14default_configENS1_36segmented_radix_sort_config_selectorIalEEZNS1_25segmented_radix_sort_implIS3_Lb1EPKaPaPKlPlN2at6native12_GLOBAL__N_18offset_tEEE10hipError_tPvRmT1_PNSt15iterator_traitsISK_E10value_typeET2_T3_PNSL_ISQ_E10value_typeET4_jRbjT5_SW_jjP12ihipStream_tbEUlT_E_NS1_11comp_targetILNS1_3genE5ELNS1_11target_archE942ELNS1_3gpuE9ELNS1_3repE0EEENS1_30default_config_static_selectorELNS0_4arch9wavefront6targetE0EEEvSK_.numbered_sgpr, 0
	.set _ZN7rocprim17ROCPRIM_400000_NS6detail17trampoline_kernelINS0_14default_configENS1_36segmented_radix_sort_config_selectorIalEEZNS1_25segmented_radix_sort_implIS3_Lb1EPKaPaPKlPlN2at6native12_GLOBAL__N_18offset_tEEE10hipError_tPvRmT1_PNSt15iterator_traitsISK_E10value_typeET2_T3_PNSL_ISQ_E10value_typeET4_jRbjT5_SW_jjP12ihipStream_tbEUlT_E_NS1_11comp_targetILNS1_3genE5ELNS1_11target_archE942ELNS1_3gpuE9ELNS1_3repE0EEENS1_30default_config_static_selectorELNS0_4arch9wavefront6targetE0EEEvSK_.num_named_barrier, 0
	.set _ZN7rocprim17ROCPRIM_400000_NS6detail17trampoline_kernelINS0_14default_configENS1_36segmented_radix_sort_config_selectorIalEEZNS1_25segmented_radix_sort_implIS3_Lb1EPKaPaPKlPlN2at6native12_GLOBAL__N_18offset_tEEE10hipError_tPvRmT1_PNSt15iterator_traitsISK_E10value_typeET2_T3_PNSL_ISQ_E10value_typeET4_jRbjT5_SW_jjP12ihipStream_tbEUlT_E_NS1_11comp_targetILNS1_3genE5ELNS1_11target_archE942ELNS1_3gpuE9ELNS1_3repE0EEENS1_30default_config_static_selectorELNS0_4arch9wavefront6targetE0EEEvSK_.private_seg_size, 0
	.set _ZN7rocprim17ROCPRIM_400000_NS6detail17trampoline_kernelINS0_14default_configENS1_36segmented_radix_sort_config_selectorIalEEZNS1_25segmented_radix_sort_implIS3_Lb1EPKaPaPKlPlN2at6native12_GLOBAL__N_18offset_tEEE10hipError_tPvRmT1_PNSt15iterator_traitsISK_E10value_typeET2_T3_PNSL_ISQ_E10value_typeET4_jRbjT5_SW_jjP12ihipStream_tbEUlT_E_NS1_11comp_targetILNS1_3genE5ELNS1_11target_archE942ELNS1_3gpuE9ELNS1_3repE0EEENS1_30default_config_static_selectorELNS0_4arch9wavefront6targetE0EEEvSK_.uses_vcc, 0
	.set _ZN7rocprim17ROCPRIM_400000_NS6detail17trampoline_kernelINS0_14default_configENS1_36segmented_radix_sort_config_selectorIalEEZNS1_25segmented_radix_sort_implIS3_Lb1EPKaPaPKlPlN2at6native12_GLOBAL__N_18offset_tEEE10hipError_tPvRmT1_PNSt15iterator_traitsISK_E10value_typeET2_T3_PNSL_ISQ_E10value_typeET4_jRbjT5_SW_jjP12ihipStream_tbEUlT_E_NS1_11comp_targetILNS1_3genE5ELNS1_11target_archE942ELNS1_3gpuE9ELNS1_3repE0EEENS1_30default_config_static_selectorELNS0_4arch9wavefront6targetE0EEEvSK_.uses_flat_scratch, 0
	.set _ZN7rocprim17ROCPRIM_400000_NS6detail17trampoline_kernelINS0_14default_configENS1_36segmented_radix_sort_config_selectorIalEEZNS1_25segmented_radix_sort_implIS3_Lb1EPKaPaPKlPlN2at6native12_GLOBAL__N_18offset_tEEE10hipError_tPvRmT1_PNSt15iterator_traitsISK_E10value_typeET2_T3_PNSL_ISQ_E10value_typeET4_jRbjT5_SW_jjP12ihipStream_tbEUlT_E_NS1_11comp_targetILNS1_3genE5ELNS1_11target_archE942ELNS1_3gpuE9ELNS1_3repE0EEENS1_30default_config_static_selectorELNS0_4arch9wavefront6targetE0EEEvSK_.has_dyn_sized_stack, 0
	.set _ZN7rocprim17ROCPRIM_400000_NS6detail17trampoline_kernelINS0_14default_configENS1_36segmented_radix_sort_config_selectorIalEEZNS1_25segmented_radix_sort_implIS3_Lb1EPKaPaPKlPlN2at6native12_GLOBAL__N_18offset_tEEE10hipError_tPvRmT1_PNSt15iterator_traitsISK_E10value_typeET2_T3_PNSL_ISQ_E10value_typeET4_jRbjT5_SW_jjP12ihipStream_tbEUlT_E_NS1_11comp_targetILNS1_3genE5ELNS1_11target_archE942ELNS1_3gpuE9ELNS1_3repE0EEENS1_30default_config_static_selectorELNS0_4arch9wavefront6targetE0EEEvSK_.has_recursion, 0
	.set _ZN7rocprim17ROCPRIM_400000_NS6detail17trampoline_kernelINS0_14default_configENS1_36segmented_radix_sort_config_selectorIalEEZNS1_25segmented_radix_sort_implIS3_Lb1EPKaPaPKlPlN2at6native12_GLOBAL__N_18offset_tEEE10hipError_tPvRmT1_PNSt15iterator_traitsISK_E10value_typeET2_T3_PNSL_ISQ_E10value_typeET4_jRbjT5_SW_jjP12ihipStream_tbEUlT_E_NS1_11comp_targetILNS1_3genE5ELNS1_11target_archE942ELNS1_3gpuE9ELNS1_3repE0EEENS1_30default_config_static_selectorELNS0_4arch9wavefront6targetE0EEEvSK_.has_indirect_call, 0
	.section	.AMDGPU.csdata,"",@progbits
; Kernel info:
; codeLenInByte = 0
; TotalNumSgprs: 0
; NumVgprs: 0
; ScratchSize: 0
; MemoryBound: 0
; FloatMode: 240
; IeeeMode: 1
; LDSByteSize: 0 bytes/workgroup (compile time only)
; SGPRBlocks: 0
; VGPRBlocks: 0
; NumSGPRsForWavesPerEU: 1
; NumVGPRsForWavesPerEU: 1
; Occupancy: 16
; WaveLimiterHint : 0
; COMPUTE_PGM_RSRC2:SCRATCH_EN: 0
; COMPUTE_PGM_RSRC2:USER_SGPR: 6
; COMPUTE_PGM_RSRC2:TRAP_HANDLER: 0
; COMPUTE_PGM_RSRC2:TGID_X_EN: 1
; COMPUTE_PGM_RSRC2:TGID_Y_EN: 0
; COMPUTE_PGM_RSRC2:TGID_Z_EN: 0
; COMPUTE_PGM_RSRC2:TIDIG_COMP_CNT: 0
	.section	.text._ZN7rocprim17ROCPRIM_400000_NS6detail17trampoline_kernelINS0_14default_configENS1_36segmented_radix_sort_config_selectorIalEEZNS1_25segmented_radix_sort_implIS3_Lb1EPKaPaPKlPlN2at6native12_GLOBAL__N_18offset_tEEE10hipError_tPvRmT1_PNSt15iterator_traitsISK_E10value_typeET2_T3_PNSL_ISQ_E10value_typeET4_jRbjT5_SW_jjP12ihipStream_tbEUlT_E_NS1_11comp_targetILNS1_3genE4ELNS1_11target_archE910ELNS1_3gpuE8ELNS1_3repE0EEENS1_30default_config_static_selectorELNS0_4arch9wavefront6targetE0EEEvSK_,"axG",@progbits,_ZN7rocprim17ROCPRIM_400000_NS6detail17trampoline_kernelINS0_14default_configENS1_36segmented_radix_sort_config_selectorIalEEZNS1_25segmented_radix_sort_implIS3_Lb1EPKaPaPKlPlN2at6native12_GLOBAL__N_18offset_tEEE10hipError_tPvRmT1_PNSt15iterator_traitsISK_E10value_typeET2_T3_PNSL_ISQ_E10value_typeET4_jRbjT5_SW_jjP12ihipStream_tbEUlT_E_NS1_11comp_targetILNS1_3genE4ELNS1_11target_archE910ELNS1_3gpuE8ELNS1_3repE0EEENS1_30default_config_static_selectorELNS0_4arch9wavefront6targetE0EEEvSK_,comdat
	.globl	_ZN7rocprim17ROCPRIM_400000_NS6detail17trampoline_kernelINS0_14default_configENS1_36segmented_radix_sort_config_selectorIalEEZNS1_25segmented_radix_sort_implIS3_Lb1EPKaPaPKlPlN2at6native12_GLOBAL__N_18offset_tEEE10hipError_tPvRmT1_PNSt15iterator_traitsISK_E10value_typeET2_T3_PNSL_ISQ_E10value_typeET4_jRbjT5_SW_jjP12ihipStream_tbEUlT_E_NS1_11comp_targetILNS1_3genE4ELNS1_11target_archE910ELNS1_3gpuE8ELNS1_3repE0EEENS1_30default_config_static_selectorELNS0_4arch9wavefront6targetE0EEEvSK_ ; -- Begin function _ZN7rocprim17ROCPRIM_400000_NS6detail17trampoline_kernelINS0_14default_configENS1_36segmented_radix_sort_config_selectorIalEEZNS1_25segmented_radix_sort_implIS3_Lb1EPKaPaPKlPlN2at6native12_GLOBAL__N_18offset_tEEE10hipError_tPvRmT1_PNSt15iterator_traitsISK_E10value_typeET2_T3_PNSL_ISQ_E10value_typeET4_jRbjT5_SW_jjP12ihipStream_tbEUlT_E_NS1_11comp_targetILNS1_3genE4ELNS1_11target_archE910ELNS1_3gpuE8ELNS1_3repE0EEENS1_30default_config_static_selectorELNS0_4arch9wavefront6targetE0EEEvSK_
	.p2align	8
	.type	_ZN7rocprim17ROCPRIM_400000_NS6detail17trampoline_kernelINS0_14default_configENS1_36segmented_radix_sort_config_selectorIalEEZNS1_25segmented_radix_sort_implIS3_Lb1EPKaPaPKlPlN2at6native12_GLOBAL__N_18offset_tEEE10hipError_tPvRmT1_PNSt15iterator_traitsISK_E10value_typeET2_T3_PNSL_ISQ_E10value_typeET4_jRbjT5_SW_jjP12ihipStream_tbEUlT_E_NS1_11comp_targetILNS1_3genE4ELNS1_11target_archE910ELNS1_3gpuE8ELNS1_3repE0EEENS1_30default_config_static_selectorELNS0_4arch9wavefront6targetE0EEEvSK_,@function
_ZN7rocprim17ROCPRIM_400000_NS6detail17trampoline_kernelINS0_14default_configENS1_36segmented_radix_sort_config_selectorIalEEZNS1_25segmented_radix_sort_implIS3_Lb1EPKaPaPKlPlN2at6native12_GLOBAL__N_18offset_tEEE10hipError_tPvRmT1_PNSt15iterator_traitsISK_E10value_typeET2_T3_PNSL_ISQ_E10value_typeET4_jRbjT5_SW_jjP12ihipStream_tbEUlT_E_NS1_11comp_targetILNS1_3genE4ELNS1_11target_archE910ELNS1_3gpuE8ELNS1_3repE0EEENS1_30default_config_static_selectorELNS0_4arch9wavefront6targetE0EEEvSK_: ; @_ZN7rocprim17ROCPRIM_400000_NS6detail17trampoline_kernelINS0_14default_configENS1_36segmented_radix_sort_config_selectorIalEEZNS1_25segmented_radix_sort_implIS3_Lb1EPKaPaPKlPlN2at6native12_GLOBAL__N_18offset_tEEE10hipError_tPvRmT1_PNSt15iterator_traitsISK_E10value_typeET2_T3_PNSL_ISQ_E10value_typeET4_jRbjT5_SW_jjP12ihipStream_tbEUlT_E_NS1_11comp_targetILNS1_3genE4ELNS1_11target_archE910ELNS1_3gpuE8ELNS1_3repE0EEENS1_30default_config_static_selectorELNS0_4arch9wavefront6targetE0EEEvSK_
; %bb.0:
	.section	.rodata,"a",@progbits
	.p2align	6, 0x0
	.amdhsa_kernel _ZN7rocprim17ROCPRIM_400000_NS6detail17trampoline_kernelINS0_14default_configENS1_36segmented_radix_sort_config_selectorIalEEZNS1_25segmented_radix_sort_implIS3_Lb1EPKaPaPKlPlN2at6native12_GLOBAL__N_18offset_tEEE10hipError_tPvRmT1_PNSt15iterator_traitsISK_E10value_typeET2_T3_PNSL_ISQ_E10value_typeET4_jRbjT5_SW_jjP12ihipStream_tbEUlT_E_NS1_11comp_targetILNS1_3genE4ELNS1_11target_archE910ELNS1_3gpuE8ELNS1_3repE0EEENS1_30default_config_static_selectorELNS0_4arch9wavefront6targetE0EEEvSK_
		.amdhsa_group_segment_fixed_size 0
		.amdhsa_private_segment_fixed_size 0
		.amdhsa_kernarg_size 96
		.amdhsa_user_sgpr_count 6
		.amdhsa_user_sgpr_private_segment_buffer 1
		.amdhsa_user_sgpr_dispatch_ptr 0
		.amdhsa_user_sgpr_queue_ptr 0
		.amdhsa_user_sgpr_kernarg_segment_ptr 1
		.amdhsa_user_sgpr_dispatch_id 0
		.amdhsa_user_sgpr_flat_scratch_init 0
		.amdhsa_user_sgpr_private_segment_size 0
		.amdhsa_wavefront_size32 1
		.amdhsa_uses_dynamic_stack 0
		.amdhsa_system_sgpr_private_segment_wavefront_offset 0
		.amdhsa_system_sgpr_workgroup_id_x 1
		.amdhsa_system_sgpr_workgroup_id_y 0
		.amdhsa_system_sgpr_workgroup_id_z 0
		.amdhsa_system_sgpr_workgroup_info 0
		.amdhsa_system_vgpr_workitem_id 0
		.amdhsa_next_free_vgpr 1
		.amdhsa_next_free_sgpr 1
		.amdhsa_reserve_vcc 0
		.amdhsa_reserve_flat_scratch 0
		.amdhsa_float_round_mode_32 0
		.amdhsa_float_round_mode_16_64 0
		.amdhsa_float_denorm_mode_32 3
		.amdhsa_float_denorm_mode_16_64 3
		.amdhsa_dx10_clamp 1
		.amdhsa_ieee_mode 1
		.amdhsa_fp16_overflow 0
		.amdhsa_workgroup_processor_mode 1
		.amdhsa_memory_ordered 1
		.amdhsa_forward_progress 1
		.amdhsa_shared_vgpr_count 0
		.amdhsa_exception_fp_ieee_invalid_op 0
		.amdhsa_exception_fp_denorm_src 0
		.amdhsa_exception_fp_ieee_div_zero 0
		.amdhsa_exception_fp_ieee_overflow 0
		.amdhsa_exception_fp_ieee_underflow 0
		.amdhsa_exception_fp_ieee_inexact 0
		.amdhsa_exception_int_div_zero 0
	.end_amdhsa_kernel
	.section	.text._ZN7rocprim17ROCPRIM_400000_NS6detail17trampoline_kernelINS0_14default_configENS1_36segmented_radix_sort_config_selectorIalEEZNS1_25segmented_radix_sort_implIS3_Lb1EPKaPaPKlPlN2at6native12_GLOBAL__N_18offset_tEEE10hipError_tPvRmT1_PNSt15iterator_traitsISK_E10value_typeET2_T3_PNSL_ISQ_E10value_typeET4_jRbjT5_SW_jjP12ihipStream_tbEUlT_E_NS1_11comp_targetILNS1_3genE4ELNS1_11target_archE910ELNS1_3gpuE8ELNS1_3repE0EEENS1_30default_config_static_selectorELNS0_4arch9wavefront6targetE0EEEvSK_,"axG",@progbits,_ZN7rocprim17ROCPRIM_400000_NS6detail17trampoline_kernelINS0_14default_configENS1_36segmented_radix_sort_config_selectorIalEEZNS1_25segmented_radix_sort_implIS3_Lb1EPKaPaPKlPlN2at6native12_GLOBAL__N_18offset_tEEE10hipError_tPvRmT1_PNSt15iterator_traitsISK_E10value_typeET2_T3_PNSL_ISQ_E10value_typeET4_jRbjT5_SW_jjP12ihipStream_tbEUlT_E_NS1_11comp_targetILNS1_3genE4ELNS1_11target_archE910ELNS1_3gpuE8ELNS1_3repE0EEENS1_30default_config_static_selectorELNS0_4arch9wavefront6targetE0EEEvSK_,comdat
.Lfunc_end290:
	.size	_ZN7rocprim17ROCPRIM_400000_NS6detail17trampoline_kernelINS0_14default_configENS1_36segmented_radix_sort_config_selectorIalEEZNS1_25segmented_radix_sort_implIS3_Lb1EPKaPaPKlPlN2at6native12_GLOBAL__N_18offset_tEEE10hipError_tPvRmT1_PNSt15iterator_traitsISK_E10value_typeET2_T3_PNSL_ISQ_E10value_typeET4_jRbjT5_SW_jjP12ihipStream_tbEUlT_E_NS1_11comp_targetILNS1_3genE4ELNS1_11target_archE910ELNS1_3gpuE8ELNS1_3repE0EEENS1_30default_config_static_selectorELNS0_4arch9wavefront6targetE0EEEvSK_, .Lfunc_end290-_ZN7rocprim17ROCPRIM_400000_NS6detail17trampoline_kernelINS0_14default_configENS1_36segmented_radix_sort_config_selectorIalEEZNS1_25segmented_radix_sort_implIS3_Lb1EPKaPaPKlPlN2at6native12_GLOBAL__N_18offset_tEEE10hipError_tPvRmT1_PNSt15iterator_traitsISK_E10value_typeET2_T3_PNSL_ISQ_E10value_typeET4_jRbjT5_SW_jjP12ihipStream_tbEUlT_E_NS1_11comp_targetILNS1_3genE4ELNS1_11target_archE910ELNS1_3gpuE8ELNS1_3repE0EEENS1_30default_config_static_selectorELNS0_4arch9wavefront6targetE0EEEvSK_
                                        ; -- End function
	.set _ZN7rocprim17ROCPRIM_400000_NS6detail17trampoline_kernelINS0_14default_configENS1_36segmented_radix_sort_config_selectorIalEEZNS1_25segmented_radix_sort_implIS3_Lb1EPKaPaPKlPlN2at6native12_GLOBAL__N_18offset_tEEE10hipError_tPvRmT1_PNSt15iterator_traitsISK_E10value_typeET2_T3_PNSL_ISQ_E10value_typeET4_jRbjT5_SW_jjP12ihipStream_tbEUlT_E_NS1_11comp_targetILNS1_3genE4ELNS1_11target_archE910ELNS1_3gpuE8ELNS1_3repE0EEENS1_30default_config_static_selectorELNS0_4arch9wavefront6targetE0EEEvSK_.num_vgpr, 0
	.set _ZN7rocprim17ROCPRIM_400000_NS6detail17trampoline_kernelINS0_14default_configENS1_36segmented_radix_sort_config_selectorIalEEZNS1_25segmented_radix_sort_implIS3_Lb1EPKaPaPKlPlN2at6native12_GLOBAL__N_18offset_tEEE10hipError_tPvRmT1_PNSt15iterator_traitsISK_E10value_typeET2_T3_PNSL_ISQ_E10value_typeET4_jRbjT5_SW_jjP12ihipStream_tbEUlT_E_NS1_11comp_targetILNS1_3genE4ELNS1_11target_archE910ELNS1_3gpuE8ELNS1_3repE0EEENS1_30default_config_static_selectorELNS0_4arch9wavefront6targetE0EEEvSK_.num_agpr, 0
	.set _ZN7rocprim17ROCPRIM_400000_NS6detail17trampoline_kernelINS0_14default_configENS1_36segmented_radix_sort_config_selectorIalEEZNS1_25segmented_radix_sort_implIS3_Lb1EPKaPaPKlPlN2at6native12_GLOBAL__N_18offset_tEEE10hipError_tPvRmT1_PNSt15iterator_traitsISK_E10value_typeET2_T3_PNSL_ISQ_E10value_typeET4_jRbjT5_SW_jjP12ihipStream_tbEUlT_E_NS1_11comp_targetILNS1_3genE4ELNS1_11target_archE910ELNS1_3gpuE8ELNS1_3repE0EEENS1_30default_config_static_selectorELNS0_4arch9wavefront6targetE0EEEvSK_.numbered_sgpr, 0
	.set _ZN7rocprim17ROCPRIM_400000_NS6detail17trampoline_kernelINS0_14default_configENS1_36segmented_radix_sort_config_selectorIalEEZNS1_25segmented_radix_sort_implIS3_Lb1EPKaPaPKlPlN2at6native12_GLOBAL__N_18offset_tEEE10hipError_tPvRmT1_PNSt15iterator_traitsISK_E10value_typeET2_T3_PNSL_ISQ_E10value_typeET4_jRbjT5_SW_jjP12ihipStream_tbEUlT_E_NS1_11comp_targetILNS1_3genE4ELNS1_11target_archE910ELNS1_3gpuE8ELNS1_3repE0EEENS1_30default_config_static_selectorELNS0_4arch9wavefront6targetE0EEEvSK_.num_named_barrier, 0
	.set _ZN7rocprim17ROCPRIM_400000_NS6detail17trampoline_kernelINS0_14default_configENS1_36segmented_radix_sort_config_selectorIalEEZNS1_25segmented_radix_sort_implIS3_Lb1EPKaPaPKlPlN2at6native12_GLOBAL__N_18offset_tEEE10hipError_tPvRmT1_PNSt15iterator_traitsISK_E10value_typeET2_T3_PNSL_ISQ_E10value_typeET4_jRbjT5_SW_jjP12ihipStream_tbEUlT_E_NS1_11comp_targetILNS1_3genE4ELNS1_11target_archE910ELNS1_3gpuE8ELNS1_3repE0EEENS1_30default_config_static_selectorELNS0_4arch9wavefront6targetE0EEEvSK_.private_seg_size, 0
	.set _ZN7rocprim17ROCPRIM_400000_NS6detail17trampoline_kernelINS0_14default_configENS1_36segmented_radix_sort_config_selectorIalEEZNS1_25segmented_radix_sort_implIS3_Lb1EPKaPaPKlPlN2at6native12_GLOBAL__N_18offset_tEEE10hipError_tPvRmT1_PNSt15iterator_traitsISK_E10value_typeET2_T3_PNSL_ISQ_E10value_typeET4_jRbjT5_SW_jjP12ihipStream_tbEUlT_E_NS1_11comp_targetILNS1_3genE4ELNS1_11target_archE910ELNS1_3gpuE8ELNS1_3repE0EEENS1_30default_config_static_selectorELNS0_4arch9wavefront6targetE0EEEvSK_.uses_vcc, 0
	.set _ZN7rocprim17ROCPRIM_400000_NS6detail17trampoline_kernelINS0_14default_configENS1_36segmented_radix_sort_config_selectorIalEEZNS1_25segmented_radix_sort_implIS3_Lb1EPKaPaPKlPlN2at6native12_GLOBAL__N_18offset_tEEE10hipError_tPvRmT1_PNSt15iterator_traitsISK_E10value_typeET2_T3_PNSL_ISQ_E10value_typeET4_jRbjT5_SW_jjP12ihipStream_tbEUlT_E_NS1_11comp_targetILNS1_3genE4ELNS1_11target_archE910ELNS1_3gpuE8ELNS1_3repE0EEENS1_30default_config_static_selectorELNS0_4arch9wavefront6targetE0EEEvSK_.uses_flat_scratch, 0
	.set _ZN7rocprim17ROCPRIM_400000_NS6detail17trampoline_kernelINS0_14default_configENS1_36segmented_radix_sort_config_selectorIalEEZNS1_25segmented_radix_sort_implIS3_Lb1EPKaPaPKlPlN2at6native12_GLOBAL__N_18offset_tEEE10hipError_tPvRmT1_PNSt15iterator_traitsISK_E10value_typeET2_T3_PNSL_ISQ_E10value_typeET4_jRbjT5_SW_jjP12ihipStream_tbEUlT_E_NS1_11comp_targetILNS1_3genE4ELNS1_11target_archE910ELNS1_3gpuE8ELNS1_3repE0EEENS1_30default_config_static_selectorELNS0_4arch9wavefront6targetE0EEEvSK_.has_dyn_sized_stack, 0
	.set _ZN7rocprim17ROCPRIM_400000_NS6detail17trampoline_kernelINS0_14default_configENS1_36segmented_radix_sort_config_selectorIalEEZNS1_25segmented_radix_sort_implIS3_Lb1EPKaPaPKlPlN2at6native12_GLOBAL__N_18offset_tEEE10hipError_tPvRmT1_PNSt15iterator_traitsISK_E10value_typeET2_T3_PNSL_ISQ_E10value_typeET4_jRbjT5_SW_jjP12ihipStream_tbEUlT_E_NS1_11comp_targetILNS1_3genE4ELNS1_11target_archE910ELNS1_3gpuE8ELNS1_3repE0EEENS1_30default_config_static_selectorELNS0_4arch9wavefront6targetE0EEEvSK_.has_recursion, 0
	.set _ZN7rocprim17ROCPRIM_400000_NS6detail17trampoline_kernelINS0_14default_configENS1_36segmented_radix_sort_config_selectorIalEEZNS1_25segmented_radix_sort_implIS3_Lb1EPKaPaPKlPlN2at6native12_GLOBAL__N_18offset_tEEE10hipError_tPvRmT1_PNSt15iterator_traitsISK_E10value_typeET2_T3_PNSL_ISQ_E10value_typeET4_jRbjT5_SW_jjP12ihipStream_tbEUlT_E_NS1_11comp_targetILNS1_3genE4ELNS1_11target_archE910ELNS1_3gpuE8ELNS1_3repE0EEENS1_30default_config_static_selectorELNS0_4arch9wavefront6targetE0EEEvSK_.has_indirect_call, 0
	.section	.AMDGPU.csdata,"",@progbits
; Kernel info:
; codeLenInByte = 0
; TotalNumSgprs: 0
; NumVgprs: 0
; ScratchSize: 0
; MemoryBound: 0
; FloatMode: 240
; IeeeMode: 1
; LDSByteSize: 0 bytes/workgroup (compile time only)
; SGPRBlocks: 0
; VGPRBlocks: 0
; NumSGPRsForWavesPerEU: 1
; NumVGPRsForWavesPerEU: 1
; Occupancy: 16
; WaveLimiterHint : 0
; COMPUTE_PGM_RSRC2:SCRATCH_EN: 0
; COMPUTE_PGM_RSRC2:USER_SGPR: 6
; COMPUTE_PGM_RSRC2:TRAP_HANDLER: 0
; COMPUTE_PGM_RSRC2:TGID_X_EN: 1
; COMPUTE_PGM_RSRC2:TGID_Y_EN: 0
; COMPUTE_PGM_RSRC2:TGID_Z_EN: 0
; COMPUTE_PGM_RSRC2:TIDIG_COMP_CNT: 0
	.section	.text._ZN7rocprim17ROCPRIM_400000_NS6detail17trampoline_kernelINS0_14default_configENS1_36segmented_radix_sort_config_selectorIalEEZNS1_25segmented_radix_sort_implIS3_Lb1EPKaPaPKlPlN2at6native12_GLOBAL__N_18offset_tEEE10hipError_tPvRmT1_PNSt15iterator_traitsISK_E10value_typeET2_T3_PNSL_ISQ_E10value_typeET4_jRbjT5_SW_jjP12ihipStream_tbEUlT_E_NS1_11comp_targetILNS1_3genE3ELNS1_11target_archE908ELNS1_3gpuE7ELNS1_3repE0EEENS1_30default_config_static_selectorELNS0_4arch9wavefront6targetE0EEEvSK_,"axG",@progbits,_ZN7rocprim17ROCPRIM_400000_NS6detail17trampoline_kernelINS0_14default_configENS1_36segmented_radix_sort_config_selectorIalEEZNS1_25segmented_radix_sort_implIS3_Lb1EPKaPaPKlPlN2at6native12_GLOBAL__N_18offset_tEEE10hipError_tPvRmT1_PNSt15iterator_traitsISK_E10value_typeET2_T3_PNSL_ISQ_E10value_typeET4_jRbjT5_SW_jjP12ihipStream_tbEUlT_E_NS1_11comp_targetILNS1_3genE3ELNS1_11target_archE908ELNS1_3gpuE7ELNS1_3repE0EEENS1_30default_config_static_selectorELNS0_4arch9wavefront6targetE0EEEvSK_,comdat
	.globl	_ZN7rocprim17ROCPRIM_400000_NS6detail17trampoline_kernelINS0_14default_configENS1_36segmented_radix_sort_config_selectorIalEEZNS1_25segmented_radix_sort_implIS3_Lb1EPKaPaPKlPlN2at6native12_GLOBAL__N_18offset_tEEE10hipError_tPvRmT1_PNSt15iterator_traitsISK_E10value_typeET2_T3_PNSL_ISQ_E10value_typeET4_jRbjT5_SW_jjP12ihipStream_tbEUlT_E_NS1_11comp_targetILNS1_3genE3ELNS1_11target_archE908ELNS1_3gpuE7ELNS1_3repE0EEENS1_30default_config_static_selectorELNS0_4arch9wavefront6targetE0EEEvSK_ ; -- Begin function _ZN7rocprim17ROCPRIM_400000_NS6detail17trampoline_kernelINS0_14default_configENS1_36segmented_radix_sort_config_selectorIalEEZNS1_25segmented_radix_sort_implIS3_Lb1EPKaPaPKlPlN2at6native12_GLOBAL__N_18offset_tEEE10hipError_tPvRmT1_PNSt15iterator_traitsISK_E10value_typeET2_T3_PNSL_ISQ_E10value_typeET4_jRbjT5_SW_jjP12ihipStream_tbEUlT_E_NS1_11comp_targetILNS1_3genE3ELNS1_11target_archE908ELNS1_3gpuE7ELNS1_3repE0EEENS1_30default_config_static_selectorELNS0_4arch9wavefront6targetE0EEEvSK_
	.p2align	8
	.type	_ZN7rocprim17ROCPRIM_400000_NS6detail17trampoline_kernelINS0_14default_configENS1_36segmented_radix_sort_config_selectorIalEEZNS1_25segmented_radix_sort_implIS3_Lb1EPKaPaPKlPlN2at6native12_GLOBAL__N_18offset_tEEE10hipError_tPvRmT1_PNSt15iterator_traitsISK_E10value_typeET2_T3_PNSL_ISQ_E10value_typeET4_jRbjT5_SW_jjP12ihipStream_tbEUlT_E_NS1_11comp_targetILNS1_3genE3ELNS1_11target_archE908ELNS1_3gpuE7ELNS1_3repE0EEENS1_30default_config_static_selectorELNS0_4arch9wavefront6targetE0EEEvSK_,@function
_ZN7rocprim17ROCPRIM_400000_NS6detail17trampoline_kernelINS0_14default_configENS1_36segmented_radix_sort_config_selectorIalEEZNS1_25segmented_radix_sort_implIS3_Lb1EPKaPaPKlPlN2at6native12_GLOBAL__N_18offset_tEEE10hipError_tPvRmT1_PNSt15iterator_traitsISK_E10value_typeET2_T3_PNSL_ISQ_E10value_typeET4_jRbjT5_SW_jjP12ihipStream_tbEUlT_E_NS1_11comp_targetILNS1_3genE3ELNS1_11target_archE908ELNS1_3gpuE7ELNS1_3repE0EEENS1_30default_config_static_selectorELNS0_4arch9wavefront6targetE0EEEvSK_: ; @_ZN7rocprim17ROCPRIM_400000_NS6detail17trampoline_kernelINS0_14default_configENS1_36segmented_radix_sort_config_selectorIalEEZNS1_25segmented_radix_sort_implIS3_Lb1EPKaPaPKlPlN2at6native12_GLOBAL__N_18offset_tEEE10hipError_tPvRmT1_PNSt15iterator_traitsISK_E10value_typeET2_T3_PNSL_ISQ_E10value_typeET4_jRbjT5_SW_jjP12ihipStream_tbEUlT_E_NS1_11comp_targetILNS1_3genE3ELNS1_11target_archE908ELNS1_3gpuE7ELNS1_3repE0EEENS1_30default_config_static_selectorELNS0_4arch9wavefront6targetE0EEEvSK_
; %bb.0:
	.section	.rodata,"a",@progbits
	.p2align	6, 0x0
	.amdhsa_kernel _ZN7rocprim17ROCPRIM_400000_NS6detail17trampoline_kernelINS0_14default_configENS1_36segmented_radix_sort_config_selectorIalEEZNS1_25segmented_radix_sort_implIS3_Lb1EPKaPaPKlPlN2at6native12_GLOBAL__N_18offset_tEEE10hipError_tPvRmT1_PNSt15iterator_traitsISK_E10value_typeET2_T3_PNSL_ISQ_E10value_typeET4_jRbjT5_SW_jjP12ihipStream_tbEUlT_E_NS1_11comp_targetILNS1_3genE3ELNS1_11target_archE908ELNS1_3gpuE7ELNS1_3repE0EEENS1_30default_config_static_selectorELNS0_4arch9wavefront6targetE0EEEvSK_
		.amdhsa_group_segment_fixed_size 0
		.amdhsa_private_segment_fixed_size 0
		.amdhsa_kernarg_size 96
		.amdhsa_user_sgpr_count 6
		.amdhsa_user_sgpr_private_segment_buffer 1
		.amdhsa_user_sgpr_dispatch_ptr 0
		.amdhsa_user_sgpr_queue_ptr 0
		.amdhsa_user_sgpr_kernarg_segment_ptr 1
		.amdhsa_user_sgpr_dispatch_id 0
		.amdhsa_user_sgpr_flat_scratch_init 0
		.amdhsa_user_sgpr_private_segment_size 0
		.amdhsa_wavefront_size32 1
		.amdhsa_uses_dynamic_stack 0
		.amdhsa_system_sgpr_private_segment_wavefront_offset 0
		.amdhsa_system_sgpr_workgroup_id_x 1
		.amdhsa_system_sgpr_workgroup_id_y 0
		.amdhsa_system_sgpr_workgroup_id_z 0
		.amdhsa_system_sgpr_workgroup_info 0
		.amdhsa_system_vgpr_workitem_id 0
		.amdhsa_next_free_vgpr 1
		.amdhsa_next_free_sgpr 1
		.amdhsa_reserve_vcc 0
		.amdhsa_reserve_flat_scratch 0
		.amdhsa_float_round_mode_32 0
		.amdhsa_float_round_mode_16_64 0
		.amdhsa_float_denorm_mode_32 3
		.amdhsa_float_denorm_mode_16_64 3
		.amdhsa_dx10_clamp 1
		.amdhsa_ieee_mode 1
		.amdhsa_fp16_overflow 0
		.amdhsa_workgroup_processor_mode 1
		.amdhsa_memory_ordered 1
		.amdhsa_forward_progress 1
		.amdhsa_shared_vgpr_count 0
		.amdhsa_exception_fp_ieee_invalid_op 0
		.amdhsa_exception_fp_denorm_src 0
		.amdhsa_exception_fp_ieee_div_zero 0
		.amdhsa_exception_fp_ieee_overflow 0
		.amdhsa_exception_fp_ieee_underflow 0
		.amdhsa_exception_fp_ieee_inexact 0
		.amdhsa_exception_int_div_zero 0
	.end_amdhsa_kernel
	.section	.text._ZN7rocprim17ROCPRIM_400000_NS6detail17trampoline_kernelINS0_14default_configENS1_36segmented_radix_sort_config_selectorIalEEZNS1_25segmented_radix_sort_implIS3_Lb1EPKaPaPKlPlN2at6native12_GLOBAL__N_18offset_tEEE10hipError_tPvRmT1_PNSt15iterator_traitsISK_E10value_typeET2_T3_PNSL_ISQ_E10value_typeET4_jRbjT5_SW_jjP12ihipStream_tbEUlT_E_NS1_11comp_targetILNS1_3genE3ELNS1_11target_archE908ELNS1_3gpuE7ELNS1_3repE0EEENS1_30default_config_static_selectorELNS0_4arch9wavefront6targetE0EEEvSK_,"axG",@progbits,_ZN7rocprim17ROCPRIM_400000_NS6detail17trampoline_kernelINS0_14default_configENS1_36segmented_radix_sort_config_selectorIalEEZNS1_25segmented_radix_sort_implIS3_Lb1EPKaPaPKlPlN2at6native12_GLOBAL__N_18offset_tEEE10hipError_tPvRmT1_PNSt15iterator_traitsISK_E10value_typeET2_T3_PNSL_ISQ_E10value_typeET4_jRbjT5_SW_jjP12ihipStream_tbEUlT_E_NS1_11comp_targetILNS1_3genE3ELNS1_11target_archE908ELNS1_3gpuE7ELNS1_3repE0EEENS1_30default_config_static_selectorELNS0_4arch9wavefront6targetE0EEEvSK_,comdat
.Lfunc_end291:
	.size	_ZN7rocprim17ROCPRIM_400000_NS6detail17trampoline_kernelINS0_14default_configENS1_36segmented_radix_sort_config_selectorIalEEZNS1_25segmented_radix_sort_implIS3_Lb1EPKaPaPKlPlN2at6native12_GLOBAL__N_18offset_tEEE10hipError_tPvRmT1_PNSt15iterator_traitsISK_E10value_typeET2_T3_PNSL_ISQ_E10value_typeET4_jRbjT5_SW_jjP12ihipStream_tbEUlT_E_NS1_11comp_targetILNS1_3genE3ELNS1_11target_archE908ELNS1_3gpuE7ELNS1_3repE0EEENS1_30default_config_static_selectorELNS0_4arch9wavefront6targetE0EEEvSK_, .Lfunc_end291-_ZN7rocprim17ROCPRIM_400000_NS6detail17trampoline_kernelINS0_14default_configENS1_36segmented_radix_sort_config_selectorIalEEZNS1_25segmented_radix_sort_implIS3_Lb1EPKaPaPKlPlN2at6native12_GLOBAL__N_18offset_tEEE10hipError_tPvRmT1_PNSt15iterator_traitsISK_E10value_typeET2_T3_PNSL_ISQ_E10value_typeET4_jRbjT5_SW_jjP12ihipStream_tbEUlT_E_NS1_11comp_targetILNS1_3genE3ELNS1_11target_archE908ELNS1_3gpuE7ELNS1_3repE0EEENS1_30default_config_static_selectorELNS0_4arch9wavefront6targetE0EEEvSK_
                                        ; -- End function
	.set _ZN7rocprim17ROCPRIM_400000_NS6detail17trampoline_kernelINS0_14default_configENS1_36segmented_radix_sort_config_selectorIalEEZNS1_25segmented_radix_sort_implIS3_Lb1EPKaPaPKlPlN2at6native12_GLOBAL__N_18offset_tEEE10hipError_tPvRmT1_PNSt15iterator_traitsISK_E10value_typeET2_T3_PNSL_ISQ_E10value_typeET4_jRbjT5_SW_jjP12ihipStream_tbEUlT_E_NS1_11comp_targetILNS1_3genE3ELNS1_11target_archE908ELNS1_3gpuE7ELNS1_3repE0EEENS1_30default_config_static_selectorELNS0_4arch9wavefront6targetE0EEEvSK_.num_vgpr, 0
	.set _ZN7rocprim17ROCPRIM_400000_NS6detail17trampoline_kernelINS0_14default_configENS1_36segmented_radix_sort_config_selectorIalEEZNS1_25segmented_radix_sort_implIS3_Lb1EPKaPaPKlPlN2at6native12_GLOBAL__N_18offset_tEEE10hipError_tPvRmT1_PNSt15iterator_traitsISK_E10value_typeET2_T3_PNSL_ISQ_E10value_typeET4_jRbjT5_SW_jjP12ihipStream_tbEUlT_E_NS1_11comp_targetILNS1_3genE3ELNS1_11target_archE908ELNS1_3gpuE7ELNS1_3repE0EEENS1_30default_config_static_selectorELNS0_4arch9wavefront6targetE0EEEvSK_.num_agpr, 0
	.set _ZN7rocprim17ROCPRIM_400000_NS6detail17trampoline_kernelINS0_14default_configENS1_36segmented_radix_sort_config_selectorIalEEZNS1_25segmented_radix_sort_implIS3_Lb1EPKaPaPKlPlN2at6native12_GLOBAL__N_18offset_tEEE10hipError_tPvRmT1_PNSt15iterator_traitsISK_E10value_typeET2_T3_PNSL_ISQ_E10value_typeET4_jRbjT5_SW_jjP12ihipStream_tbEUlT_E_NS1_11comp_targetILNS1_3genE3ELNS1_11target_archE908ELNS1_3gpuE7ELNS1_3repE0EEENS1_30default_config_static_selectorELNS0_4arch9wavefront6targetE0EEEvSK_.numbered_sgpr, 0
	.set _ZN7rocprim17ROCPRIM_400000_NS6detail17trampoline_kernelINS0_14default_configENS1_36segmented_radix_sort_config_selectorIalEEZNS1_25segmented_radix_sort_implIS3_Lb1EPKaPaPKlPlN2at6native12_GLOBAL__N_18offset_tEEE10hipError_tPvRmT1_PNSt15iterator_traitsISK_E10value_typeET2_T3_PNSL_ISQ_E10value_typeET4_jRbjT5_SW_jjP12ihipStream_tbEUlT_E_NS1_11comp_targetILNS1_3genE3ELNS1_11target_archE908ELNS1_3gpuE7ELNS1_3repE0EEENS1_30default_config_static_selectorELNS0_4arch9wavefront6targetE0EEEvSK_.num_named_barrier, 0
	.set _ZN7rocprim17ROCPRIM_400000_NS6detail17trampoline_kernelINS0_14default_configENS1_36segmented_radix_sort_config_selectorIalEEZNS1_25segmented_radix_sort_implIS3_Lb1EPKaPaPKlPlN2at6native12_GLOBAL__N_18offset_tEEE10hipError_tPvRmT1_PNSt15iterator_traitsISK_E10value_typeET2_T3_PNSL_ISQ_E10value_typeET4_jRbjT5_SW_jjP12ihipStream_tbEUlT_E_NS1_11comp_targetILNS1_3genE3ELNS1_11target_archE908ELNS1_3gpuE7ELNS1_3repE0EEENS1_30default_config_static_selectorELNS0_4arch9wavefront6targetE0EEEvSK_.private_seg_size, 0
	.set _ZN7rocprim17ROCPRIM_400000_NS6detail17trampoline_kernelINS0_14default_configENS1_36segmented_radix_sort_config_selectorIalEEZNS1_25segmented_radix_sort_implIS3_Lb1EPKaPaPKlPlN2at6native12_GLOBAL__N_18offset_tEEE10hipError_tPvRmT1_PNSt15iterator_traitsISK_E10value_typeET2_T3_PNSL_ISQ_E10value_typeET4_jRbjT5_SW_jjP12ihipStream_tbEUlT_E_NS1_11comp_targetILNS1_3genE3ELNS1_11target_archE908ELNS1_3gpuE7ELNS1_3repE0EEENS1_30default_config_static_selectorELNS0_4arch9wavefront6targetE0EEEvSK_.uses_vcc, 0
	.set _ZN7rocprim17ROCPRIM_400000_NS6detail17trampoline_kernelINS0_14default_configENS1_36segmented_radix_sort_config_selectorIalEEZNS1_25segmented_radix_sort_implIS3_Lb1EPKaPaPKlPlN2at6native12_GLOBAL__N_18offset_tEEE10hipError_tPvRmT1_PNSt15iterator_traitsISK_E10value_typeET2_T3_PNSL_ISQ_E10value_typeET4_jRbjT5_SW_jjP12ihipStream_tbEUlT_E_NS1_11comp_targetILNS1_3genE3ELNS1_11target_archE908ELNS1_3gpuE7ELNS1_3repE0EEENS1_30default_config_static_selectorELNS0_4arch9wavefront6targetE0EEEvSK_.uses_flat_scratch, 0
	.set _ZN7rocprim17ROCPRIM_400000_NS6detail17trampoline_kernelINS0_14default_configENS1_36segmented_radix_sort_config_selectorIalEEZNS1_25segmented_radix_sort_implIS3_Lb1EPKaPaPKlPlN2at6native12_GLOBAL__N_18offset_tEEE10hipError_tPvRmT1_PNSt15iterator_traitsISK_E10value_typeET2_T3_PNSL_ISQ_E10value_typeET4_jRbjT5_SW_jjP12ihipStream_tbEUlT_E_NS1_11comp_targetILNS1_3genE3ELNS1_11target_archE908ELNS1_3gpuE7ELNS1_3repE0EEENS1_30default_config_static_selectorELNS0_4arch9wavefront6targetE0EEEvSK_.has_dyn_sized_stack, 0
	.set _ZN7rocprim17ROCPRIM_400000_NS6detail17trampoline_kernelINS0_14default_configENS1_36segmented_radix_sort_config_selectorIalEEZNS1_25segmented_radix_sort_implIS3_Lb1EPKaPaPKlPlN2at6native12_GLOBAL__N_18offset_tEEE10hipError_tPvRmT1_PNSt15iterator_traitsISK_E10value_typeET2_T3_PNSL_ISQ_E10value_typeET4_jRbjT5_SW_jjP12ihipStream_tbEUlT_E_NS1_11comp_targetILNS1_3genE3ELNS1_11target_archE908ELNS1_3gpuE7ELNS1_3repE0EEENS1_30default_config_static_selectorELNS0_4arch9wavefront6targetE0EEEvSK_.has_recursion, 0
	.set _ZN7rocprim17ROCPRIM_400000_NS6detail17trampoline_kernelINS0_14default_configENS1_36segmented_radix_sort_config_selectorIalEEZNS1_25segmented_radix_sort_implIS3_Lb1EPKaPaPKlPlN2at6native12_GLOBAL__N_18offset_tEEE10hipError_tPvRmT1_PNSt15iterator_traitsISK_E10value_typeET2_T3_PNSL_ISQ_E10value_typeET4_jRbjT5_SW_jjP12ihipStream_tbEUlT_E_NS1_11comp_targetILNS1_3genE3ELNS1_11target_archE908ELNS1_3gpuE7ELNS1_3repE0EEENS1_30default_config_static_selectorELNS0_4arch9wavefront6targetE0EEEvSK_.has_indirect_call, 0
	.section	.AMDGPU.csdata,"",@progbits
; Kernel info:
; codeLenInByte = 0
; TotalNumSgprs: 0
; NumVgprs: 0
; ScratchSize: 0
; MemoryBound: 0
; FloatMode: 240
; IeeeMode: 1
; LDSByteSize: 0 bytes/workgroup (compile time only)
; SGPRBlocks: 0
; VGPRBlocks: 0
; NumSGPRsForWavesPerEU: 1
; NumVGPRsForWavesPerEU: 1
; Occupancy: 16
; WaveLimiterHint : 0
; COMPUTE_PGM_RSRC2:SCRATCH_EN: 0
; COMPUTE_PGM_RSRC2:USER_SGPR: 6
; COMPUTE_PGM_RSRC2:TRAP_HANDLER: 0
; COMPUTE_PGM_RSRC2:TGID_X_EN: 1
; COMPUTE_PGM_RSRC2:TGID_Y_EN: 0
; COMPUTE_PGM_RSRC2:TGID_Z_EN: 0
; COMPUTE_PGM_RSRC2:TIDIG_COMP_CNT: 0
	.section	.text._ZN7rocprim17ROCPRIM_400000_NS6detail17trampoline_kernelINS0_14default_configENS1_36segmented_radix_sort_config_selectorIalEEZNS1_25segmented_radix_sort_implIS3_Lb1EPKaPaPKlPlN2at6native12_GLOBAL__N_18offset_tEEE10hipError_tPvRmT1_PNSt15iterator_traitsISK_E10value_typeET2_T3_PNSL_ISQ_E10value_typeET4_jRbjT5_SW_jjP12ihipStream_tbEUlT_E_NS1_11comp_targetILNS1_3genE2ELNS1_11target_archE906ELNS1_3gpuE6ELNS1_3repE0EEENS1_30default_config_static_selectorELNS0_4arch9wavefront6targetE0EEEvSK_,"axG",@progbits,_ZN7rocprim17ROCPRIM_400000_NS6detail17trampoline_kernelINS0_14default_configENS1_36segmented_radix_sort_config_selectorIalEEZNS1_25segmented_radix_sort_implIS3_Lb1EPKaPaPKlPlN2at6native12_GLOBAL__N_18offset_tEEE10hipError_tPvRmT1_PNSt15iterator_traitsISK_E10value_typeET2_T3_PNSL_ISQ_E10value_typeET4_jRbjT5_SW_jjP12ihipStream_tbEUlT_E_NS1_11comp_targetILNS1_3genE2ELNS1_11target_archE906ELNS1_3gpuE6ELNS1_3repE0EEENS1_30default_config_static_selectorELNS0_4arch9wavefront6targetE0EEEvSK_,comdat
	.globl	_ZN7rocprim17ROCPRIM_400000_NS6detail17trampoline_kernelINS0_14default_configENS1_36segmented_radix_sort_config_selectorIalEEZNS1_25segmented_radix_sort_implIS3_Lb1EPKaPaPKlPlN2at6native12_GLOBAL__N_18offset_tEEE10hipError_tPvRmT1_PNSt15iterator_traitsISK_E10value_typeET2_T3_PNSL_ISQ_E10value_typeET4_jRbjT5_SW_jjP12ihipStream_tbEUlT_E_NS1_11comp_targetILNS1_3genE2ELNS1_11target_archE906ELNS1_3gpuE6ELNS1_3repE0EEENS1_30default_config_static_selectorELNS0_4arch9wavefront6targetE0EEEvSK_ ; -- Begin function _ZN7rocprim17ROCPRIM_400000_NS6detail17trampoline_kernelINS0_14default_configENS1_36segmented_radix_sort_config_selectorIalEEZNS1_25segmented_radix_sort_implIS3_Lb1EPKaPaPKlPlN2at6native12_GLOBAL__N_18offset_tEEE10hipError_tPvRmT1_PNSt15iterator_traitsISK_E10value_typeET2_T3_PNSL_ISQ_E10value_typeET4_jRbjT5_SW_jjP12ihipStream_tbEUlT_E_NS1_11comp_targetILNS1_3genE2ELNS1_11target_archE906ELNS1_3gpuE6ELNS1_3repE0EEENS1_30default_config_static_selectorELNS0_4arch9wavefront6targetE0EEEvSK_
	.p2align	8
	.type	_ZN7rocprim17ROCPRIM_400000_NS6detail17trampoline_kernelINS0_14default_configENS1_36segmented_radix_sort_config_selectorIalEEZNS1_25segmented_radix_sort_implIS3_Lb1EPKaPaPKlPlN2at6native12_GLOBAL__N_18offset_tEEE10hipError_tPvRmT1_PNSt15iterator_traitsISK_E10value_typeET2_T3_PNSL_ISQ_E10value_typeET4_jRbjT5_SW_jjP12ihipStream_tbEUlT_E_NS1_11comp_targetILNS1_3genE2ELNS1_11target_archE906ELNS1_3gpuE6ELNS1_3repE0EEENS1_30default_config_static_selectorELNS0_4arch9wavefront6targetE0EEEvSK_,@function
_ZN7rocprim17ROCPRIM_400000_NS6detail17trampoline_kernelINS0_14default_configENS1_36segmented_radix_sort_config_selectorIalEEZNS1_25segmented_radix_sort_implIS3_Lb1EPKaPaPKlPlN2at6native12_GLOBAL__N_18offset_tEEE10hipError_tPvRmT1_PNSt15iterator_traitsISK_E10value_typeET2_T3_PNSL_ISQ_E10value_typeET4_jRbjT5_SW_jjP12ihipStream_tbEUlT_E_NS1_11comp_targetILNS1_3genE2ELNS1_11target_archE906ELNS1_3gpuE6ELNS1_3repE0EEENS1_30default_config_static_selectorELNS0_4arch9wavefront6targetE0EEEvSK_: ; @_ZN7rocprim17ROCPRIM_400000_NS6detail17trampoline_kernelINS0_14default_configENS1_36segmented_radix_sort_config_selectorIalEEZNS1_25segmented_radix_sort_implIS3_Lb1EPKaPaPKlPlN2at6native12_GLOBAL__N_18offset_tEEE10hipError_tPvRmT1_PNSt15iterator_traitsISK_E10value_typeET2_T3_PNSL_ISQ_E10value_typeET4_jRbjT5_SW_jjP12ihipStream_tbEUlT_E_NS1_11comp_targetILNS1_3genE2ELNS1_11target_archE906ELNS1_3gpuE6ELNS1_3repE0EEENS1_30default_config_static_selectorELNS0_4arch9wavefront6targetE0EEEvSK_
; %bb.0:
	.section	.rodata,"a",@progbits
	.p2align	6, 0x0
	.amdhsa_kernel _ZN7rocprim17ROCPRIM_400000_NS6detail17trampoline_kernelINS0_14default_configENS1_36segmented_radix_sort_config_selectorIalEEZNS1_25segmented_radix_sort_implIS3_Lb1EPKaPaPKlPlN2at6native12_GLOBAL__N_18offset_tEEE10hipError_tPvRmT1_PNSt15iterator_traitsISK_E10value_typeET2_T3_PNSL_ISQ_E10value_typeET4_jRbjT5_SW_jjP12ihipStream_tbEUlT_E_NS1_11comp_targetILNS1_3genE2ELNS1_11target_archE906ELNS1_3gpuE6ELNS1_3repE0EEENS1_30default_config_static_selectorELNS0_4arch9wavefront6targetE0EEEvSK_
		.amdhsa_group_segment_fixed_size 0
		.amdhsa_private_segment_fixed_size 0
		.amdhsa_kernarg_size 96
		.amdhsa_user_sgpr_count 6
		.amdhsa_user_sgpr_private_segment_buffer 1
		.amdhsa_user_sgpr_dispatch_ptr 0
		.amdhsa_user_sgpr_queue_ptr 0
		.amdhsa_user_sgpr_kernarg_segment_ptr 1
		.amdhsa_user_sgpr_dispatch_id 0
		.amdhsa_user_sgpr_flat_scratch_init 0
		.amdhsa_user_sgpr_private_segment_size 0
		.amdhsa_wavefront_size32 1
		.amdhsa_uses_dynamic_stack 0
		.amdhsa_system_sgpr_private_segment_wavefront_offset 0
		.amdhsa_system_sgpr_workgroup_id_x 1
		.amdhsa_system_sgpr_workgroup_id_y 0
		.amdhsa_system_sgpr_workgroup_id_z 0
		.amdhsa_system_sgpr_workgroup_info 0
		.amdhsa_system_vgpr_workitem_id 0
		.amdhsa_next_free_vgpr 1
		.amdhsa_next_free_sgpr 1
		.amdhsa_reserve_vcc 0
		.amdhsa_reserve_flat_scratch 0
		.amdhsa_float_round_mode_32 0
		.amdhsa_float_round_mode_16_64 0
		.amdhsa_float_denorm_mode_32 3
		.amdhsa_float_denorm_mode_16_64 3
		.amdhsa_dx10_clamp 1
		.amdhsa_ieee_mode 1
		.amdhsa_fp16_overflow 0
		.amdhsa_workgroup_processor_mode 1
		.amdhsa_memory_ordered 1
		.amdhsa_forward_progress 1
		.amdhsa_shared_vgpr_count 0
		.amdhsa_exception_fp_ieee_invalid_op 0
		.amdhsa_exception_fp_denorm_src 0
		.amdhsa_exception_fp_ieee_div_zero 0
		.amdhsa_exception_fp_ieee_overflow 0
		.amdhsa_exception_fp_ieee_underflow 0
		.amdhsa_exception_fp_ieee_inexact 0
		.amdhsa_exception_int_div_zero 0
	.end_amdhsa_kernel
	.section	.text._ZN7rocprim17ROCPRIM_400000_NS6detail17trampoline_kernelINS0_14default_configENS1_36segmented_radix_sort_config_selectorIalEEZNS1_25segmented_radix_sort_implIS3_Lb1EPKaPaPKlPlN2at6native12_GLOBAL__N_18offset_tEEE10hipError_tPvRmT1_PNSt15iterator_traitsISK_E10value_typeET2_T3_PNSL_ISQ_E10value_typeET4_jRbjT5_SW_jjP12ihipStream_tbEUlT_E_NS1_11comp_targetILNS1_3genE2ELNS1_11target_archE906ELNS1_3gpuE6ELNS1_3repE0EEENS1_30default_config_static_selectorELNS0_4arch9wavefront6targetE0EEEvSK_,"axG",@progbits,_ZN7rocprim17ROCPRIM_400000_NS6detail17trampoline_kernelINS0_14default_configENS1_36segmented_radix_sort_config_selectorIalEEZNS1_25segmented_radix_sort_implIS3_Lb1EPKaPaPKlPlN2at6native12_GLOBAL__N_18offset_tEEE10hipError_tPvRmT1_PNSt15iterator_traitsISK_E10value_typeET2_T3_PNSL_ISQ_E10value_typeET4_jRbjT5_SW_jjP12ihipStream_tbEUlT_E_NS1_11comp_targetILNS1_3genE2ELNS1_11target_archE906ELNS1_3gpuE6ELNS1_3repE0EEENS1_30default_config_static_selectorELNS0_4arch9wavefront6targetE0EEEvSK_,comdat
.Lfunc_end292:
	.size	_ZN7rocprim17ROCPRIM_400000_NS6detail17trampoline_kernelINS0_14default_configENS1_36segmented_radix_sort_config_selectorIalEEZNS1_25segmented_radix_sort_implIS3_Lb1EPKaPaPKlPlN2at6native12_GLOBAL__N_18offset_tEEE10hipError_tPvRmT1_PNSt15iterator_traitsISK_E10value_typeET2_T3_PNSL_ISQ_E10value_typeET4_jRbjT5_SW_jjP12ihipStream_tbEUlT_E_NS1_11comp_targetILNS1_3genE2ELNS1_11target_archE906ELNS1_3gpuE6ELNS1_3repE0EEENS1_30default_config_static_selectorELNS0_4arch9wavefront6targetE0EEEvSK_, .Lfunc_end292-_ZN7rocprim17ROCPRIM_400000_NS6detail17trampoline_kernelINS0_14default_configENS1_36segmented_radix_sort_config_selectorIalEEZNS1_25segmented_radix_sort_implIS3_Lb1EPKaPaPKlPlN2at6native12_GLOBAL__N_18offset_tEEE10hipError_tPvRmT1_PNSt15iterator_traitsISK_E10value_typeET2_T3_PNSL_ISQ_E10value_typeET4_jRbjT5_SW_jjP12ihipStream_tbEUlT_E_NS1_11comp_targetILNS1_3genE2ELNS1_11target_archE906ELNS1_3gpuE6ELNS1_3repE0EEENS1_30default_config_static_selectorELNS0_4arch9wavefront6targetE0EEEvSK_
                                        ; -- End function
	.set _ZN7rocprim17ROCPRIM_400000_NS6detail17trampoline_kernelINS0_14default_configENS1_36segmented_radix_sort_config_selectorIalEEZNS1_25segmented_radix_sort_implIS3_Lb1EPKaPaPKlPlN2at6native12_GLOBAL__N_18offset_tEEE10hipError_tPvRmT1_PNSt15iterator_traitsISK_E10value_typeET2_T3_PNSL_ISQ_E10value_typeET4_jRbjT5_SW_jjP12ihipStream_tbEUlT_E_NS1_11comp_targetILNS1_3genE2ELNS1_11target_archE906ELNS1_3gpuE6ELNS1_3repE0EEENS1_30default_config_static_selectorELNS0_4arch9wavefront6targetE0EEEvSK_.num_vgpr, 0
	.set _ZN7rocprim17ROCPRIM_400000_NS6detail17trampoline_kernelINS0_14default_configENS1_36segmented_radix_sort_config_selectorIalEEZNS1_25segmented_radix_sort_implIS3_Lb1EPKaPaPKlPlN2at6native12_GLOBAL__N_18offset_tEEE10hipError_tPvRmT1_PNSt15iterator_traitsISK_E10value_typeET2_T3_PNSL_ISQ_E10value_typeET4_jRbjT5_SW_jjP12ihipStream_tbEUlT_E_NS1_11comp_targetILNS1_3genE2ELNS1_11target_archE906ELNS1_3gpuE6ELNS1_3repE0EEENS1_30default_config_static_selectorELNS0_4arch9wavefront6targetE0EEEvSK_.num_agpr, 0
	.set _ZN7rocprim17ROCPRIM_400000_NS6detail17trampoline_kernelINS0_14default_configENS1_36segmented_radix_sort_config_selectorIalEEZNS1_25segmented_radix_sort_implIS3_Lb1EPKaPaPKlPlN2at6native12_GLOBAL__N_18offset_tEEE10hipError_tPvRmT1_PNSt15iterator_traitsISK_E10value_typeET2_T3_PNSL_ISQ_E10value_typeET4_jRbjT5_SW_jjP12ihipStream_tbEUlT_E_NS1_11comp_targetILNS1_3genE2ELNS1_11target_archE906ELNS1_3gpuE6ELNS1_3repE0EEENS1_30default_config_static_selectorELNS0_4arch9wavefront6targetE0EEEvSK_.numbered_sgpr, 0
	.set _ZN7rocprim17ROCPRIM_400000_NS6detail17trampoline_kernelINS0_14default_configENS1_36segmented_radix_sort_config_selectorIalEEZNS1_25segmented_radix_sort_implIS3_Lb1EPKaPaPKlPlN2at6native12_GLOBAL__N_18offset_tEEE10hipError_tPvRmT1_PNSt15iterator_traitsISK_E10value_typeET2_T3_PNSL_ISQ_E10value_typeET4_jRbjT5_SW_jjP12ihipStream_tbEUlT_E_NS1_11comp_targetILNS1_3genE2ELNS1_11target_archE906ELNS1_3gpuE6ELNS1_3repE0EEENS1_30default_config_static_selectorELNS0_4arch9wavefront6targetE0EEEvSK_.num_named_barrier, 0
	.set _ZN7rocprim17ROCPRIM_400000_NS6detail17trampoline_kernelINS0_14default_configENS1_36segmented_radix_sort_config_selectorIalEEZNS1_25segmented_radix_sort_implIS3_Lb1EPKaPaPKlPlN2at6native12_GLOBAL__N_18offset_tEEE10hipError_tPvRmT1_PNSt15iterator_traitsISK_E10value_typeET2_T3_PNSL_ISQ_E10value_typeET4_jRbjT5_SW_jjP12ihipStream_tbEUlT_E_NS1_11comp_targetILNS1_3genE2ELNS1_11target_archE906ELNS1_3gpuE6ELNS1_3repE0EEENS1_30default_config_static_selectorELNS0_4arch9wavefront6targetE0EEEvSK_.private_seg_size, 0
	.set _ZN7rocprim17ROCPRIM_400000_NS6detail17trampoline_kernelINS0_14default_configENS1_36segmented_radix_sort_config_selectorIalEEZNS1_25segmented_radix_sort_implIS3_Lb1EPKaPaPKlPlN2at6native12_GLOBAL__N_18offset_tEEE10hipError_tPvRmT1_PNSt15iterator_traitsISK_E10value_typeET2_T3_PNSL_ISQ_E10value_typeET4_jRbjT5_SW_jjP12ihipStream_tbEUlT_E_NS1_11comp_targetILNS1_3genE2ELNS1_11target_archE906ELNS1_3gpuE6ELNS1_3repE0EEENS1_30default_config_static_selectorELNS0_4arch9wavefront6targetE0EEEvSK_.uses_vcc, 0
	.set _ZN7rocprim17ROCPRIM_400000_NS6detail17trampoline_kernelINS0_14default_configENS1_36segmented_radix_sort_config_selectorIalEEZNS1_25segmented_radix_sort_implIS3_Lb1EPKaPaPKlPlN2at6native12_GLOBAL__N_18offset_tEEE10hipError_tPvRmT1_PNSt15iterator_traitsISK_E10value_typeET2_T3_PNSL_ISQ_E10value_typeET4_jRbjT5_SW_jjP12ihipStream_tbEUlT_E_NS1_11comp_targetILNS1_3genE2ELNS1_11target_archE906ELNS1_3gpuE6ELNS1_3repE0EEENS1_30default_config_static_selectorELNS0_4arch9wavefront6targetE0EEEvSK_.uses_flat_scratch, 0
	.set _ZN7rocprim17ROCPRIM_400000_NS6detail17trampoline_kernelINS0_14default_configENS1_36segmented_radix_sort_config_selectorIalEEZNS1_25segmented_radix_sort_implIS3_Lb1EPKaPaPKlPlN2at6native12_GLOBAL__N_18offset_tEEE10hipError_tPvRmT1_PNSt15iterator_traitsISK_E10value_typeET2_T3_PNSL_ISQ_E10value_typeET4_jRbjT5_SW_jjP12ihipStream_tbEUlT_E_NS1_11comp_targetILNS1_3genE2ELNS1_11target_archE906ELNS1_3gpuE6ELNS1_3repE0EEENS1_30default_config_static_selectorELNS0_4arch9wavefront6targetE0EEEvSK_.has_dyn_sized_stack, 0
	.set _ZN7rocprim17ROCPRIM_400000_NS6detail17trampoline_kernelINS0_14default_configENS1_36segmented_radix_sort_config_selectorIalEEZNS1_25segmented_radix_sort_implIS3_Lb1EPKaPaPKlPlN2at6native12_GLOBAL__N_18offset_tEEE10hipError_tPvRmT1_PNSt15iterator_traitsISK_E10value_typeET2_T3_PNSL_ISQ_E10value_typeET4_jRbjT5_SW_jjP12ihipStream_tbEUlT_E_NS1_11comp_targetILNS1_3genE2ELNS1_11target_archE906ELNS1_3gpuE6ELNS1_3repE0EEENS1_30default_config_static_selectorELNS0_4arch9wavefront6targetE0EEEvSK_.has_recursion, 0
	.set _ZN7rocprim17ROCPRIM_400000_NS6detail17trampoline_kernelINS0_14default_configENS1_36segmented_radix_sort_config_selectorIalEEZNS1_25segmented_radix_sort_implIS3_Lb1EPKaPaPKlPlN2at6native12_GLOBAL__N_18offset_tEEE10hipError_tPvRmT1_PNSt15iterator_traitsISK_E10value_typeET2_T3_PNSL_ISQ_E10value_typeET4_jRbjT5_SW_jjP12ihipStream_tbEUlT_E_NS1_11comp_targetILNS1_3genE2ELNS1_11target_archE906ELNS1_3gpuE6ELNS1_3repE0EEENS1_30default_config_static_selectorELNS0_4arch9wavefront6targetE0EEEvSK_.has_indirect_call, 0
	.section	.AMDGPU.csdata,"",@progbits
; Kernel info:
; codeLenInByte = 0
; TotalNumSgprs: 0
; NumVgprs: 0
; ScratchSize: 0
; MemoryBound: 0
; FloatMode: 240
; IeeeMode: 1
; LDSByteSize: 0 bytes/workgroup (compile time only)
; SGPRBlocks: 0
; VGPRBlocks: 0
; NumSGPRsForWavesPerEU: 1
; NumVGPRsForWavesPerEU: 1
; Occupancy: 16
; WaveLimiterHint : 0
; COMPUTE_PGM_RSRC2:SCRATCH_EN: 0
; COMPUTE_PGM_RSRC2:USER_SGPR: 6
; COMPUTE_PGM_RSRC2:TRAP_HANDLER: 0
; COMPUTE_PGM_RSRC2:TGID_X_EN: 1
; COMPUTE_PGM_RSRC2:TGID_Y_EN: 0
; COMPUTE_PGM_RSRC2:TGID_Z_EN: 0
; COMPUTE_PGM_RSRC2:TIDIG_COMP_CNT: 0
	.section	.text._ZN7rocprim17ROCPRIM_400000_NS6detail17trampoline_kernelINS0_14default_configENS1_36segmented_radix_sort_config_selectorIalEEZNS1_25segmented_radix_sort_implIS3_Lb1EPKaPaPKlPlN2at6native12_GLOBAL__N_18offset_tEEE10hipError_tPvRmT1_PNSt15iterator_traitsISK_E10value_typeET2_T3_PNSL_ISQ_E10value_typeET4_jRbjT5_SW_jjP12ihipStream_tbEUlT_E_NS1_11comp_targetILNS1_3genE10ELNS1_11target_archE1201ELNS1_3gpuE5ELNS1_3repE0EEENS1_30default_config_static_selectorELNS0_4arch9wavefront6targetE0EEEvSK_,"axG",@progbits,_ZN7rocprim17ROCPRIM_400000_NS6detail17trampoline_kernelINS0_14default_configENS1_36segmented_radix_sort_config_selectorIalEEZNS1_25segmented_radix_sort_implIS3_Lb1EPKaPaPKlPlN2at6native12_GLOBAL__N_18offset_tEEE10hipError_tPvRmT1_PNSt15iterator_traitsISK_E10value_typeET2_T3_PNSL_ISQ_E10value_typeET4_jRbjT5_SW_jjP12ihipStream_tbEUlT_E_NS1_11comp_targetILNS1_3genE10ELNS1_11target_archE1201ELNS1_3gpuE5ELNS1_3repE0EEENS1_30default_config_static_selectorELNS0_4arch9wavefront6targetE0EEEvSK_,comdat
	.globl	_ZN7rocprim17ROCPRIM_400000_NS6detail17trampoline_kernelINS0_14default_configENS1_36segmented_radix_sort_config_selectorIalEEZNS1_25segmented_radix_sort_implIS3_Lb1EPKaPaPKlPlN2at6native12_GLOBAL__N_18offset_tEEE10hipError_tPvRmT1_PNSt15iterator_traitsISK_E10value_typeET2_T3_PNSL_ISQ_E10value_typeET4_jRbjT5_SW_jjP12ihipStream_tbEUlT_E_NS1_11comp_targetILNS1_3genE10ELNS1_11target_archE1201ELNS1_3gpuE5ELNS1_3repE0EEENS1_30default_config_static_selectorELNS0_4arch9wavefront6targetE0EEEvSK_ ; -- Begin function _ZN7rocprim17ROCPRIM_400000_NS6detail17trampoline_kernelINS0_14default_configENS1_36segmented_radix_sort_config_selectorIalEEZNS1_25segmented_radix_sort_implIS3_Lb1EPKaPaPKlPlN2at6native12_GLOBAL__N_18offset_tEEE10hipError_tPvRmT1_PNSt15iterator_traitsISK_E10value_typeET2_T3_PNSL_ISQ_E10value_typeET4_jRbjT5_SW_jjP12ihipStream_tbEUlT_E_NS1_11comp_targetILNS1_3genE10ELNS1_11target_archE1201ELNS1_3gpuE5ELNS1_3repE0EEENS1_30default_config_static_selectorELNS0_4arch9wavefront6targetE0EEEvSK_
	.p2align	8
	.type	_ZN7rocprim17ROCPRIM_400000_NS6detail17trampoline_kernelINS0_14default_configENS1_36segmented_radix_sort_config_selectorIalEEZNS1_25segmented_radix_sort_implIS3_Lb1EPKaPaPKlPlN2at6native12_GLOBAL__N_18offset_tEEE10hipError_tPvRmT1_PNSt15iterator_traitsISK_E10value_typeET2_T3_PNSL_ISQ_E10value_typeET4_jRbjT5_SW_jjP12ihipStream_tbEUlT_E_NS1_11comp_targetILNS1_3genE10ELNS1_11target_archE1201ELNS1_3gpuE5ELNS1_3repE0EEENS1_30default_config_static_selectorELNS0_4arch9wavefront6targetE0EEEvSK_,@function
_ZN7rocprim17ROCPRIM_400000_NS6detail17trampoline_kernelINS0_14default_configENS1_36segmented_radix_sort_config_selectorIalEEZNS1_25segmented_radix_sort_implIS3_Lb1EPKaPaPKlPlN2at6native12_GLOBAL__N_18offset_tEEE10hipError_tPvRmT1_PNSt15iterator_traitsISK_E10value_typeET2_T3_PNSL_ISQ_E10value_typeET4_jRbjT5_SW_jjP12ihipStream_tbEUlT_E_NS1_11comp_targetILNS1_3genE10ELNS1_11target_archE1201ELNS1_3gpuE5ELNS1_3repE0EEENS1_30default_config_static_selectorELNS0_4arch9wavefront6targetE0EEEvSK_: ; @_ZN7rocprim17ROCPRIM_400000_NS6detail17trampoline_kernelINS0_14default_configENS1_36segmented_radix_sort_config_selectorIalEEZNS1_25segmented_radix_sort_implIS3_Lb1EPKaPaPKlPlN2at6native12_GLOBAL__N_18offset_tEEE10hipError_tPvRmT1_PNSt15iterator_traitsISK_E10value_typeET2_T3_PNSL_ISQ_E10value_typeET4_jRbjT5_SW_jjP12ihipStream_tbEUlT_E_NS1_11comp_targetILNS1_3genE10ELNS1_11target_archE1201ELNS1_3gpuE5ELNS1_3repE0EEENS1_30default_config_static_selectorELNS0_4arch9wavefront6targetE0EEEvSK_
; %bb.0:
	.section	.rodata,"a",@progbits
	.p2align	6, 0x0
	.amdhsa_kernel _ZN7rocprim17ROCPRIM_400000_NS6detail17trampoline_kernelINS0_14default_configENS1_36segmented_radix_sort_config_selectorIalEEZNS1_25segmented_radix_sort_implIS3_Lb1EPKaPaPKlPlN2at6native12_GLOBAL__N_18offset_tEEE10hipError_tPvRmT1_PNSt15iterator_traitsISK_E10value_typeET2_T3_PNSL_ISQ_E10value_typeET4_jRbjT5_SW_jjP12ihipStream_tbEUlT_E_NS1_11comp_targetILNS1_3genE10ELNS1_11target_archE1201ELNS1_3gpuE5ELNS1_3repE0EEENS1_30default_config_static_selectorELNS0_4arch9wavefront6targetE0EEEvSK_
		.amdhsa_group_segment_fixed_size 0
		.amdhsa_private_segment_fixed_size 0
		.amdhsa_kernarg_size 96
		.amdhsa_user_sgpr_count 6
		.amdhsa_user_sgpr_private_segment_buffer 1
		.amdhsa_user_sgpr_dispatch_ptr 0
		.amdhsa_user_sgpr_queue_ptr 0
		.amdhsa_user_sgpr_kernarg_segment_ptr 1
		.amdhsa_user_sgpr_dispatch_id 0
		.amdhsa_user_sgpr_flat_scratch_init 0
		.amdhsa_user_sgpr_private_segment_size 0
		.amdhsa_wavefront_size32 1
		.amdhsa_uses_dynamic_stack 0
		.amdhsa_system_sgpr_private_segment_wavefront_offset 0
		.amdhsa_system_sgpr_workgroup_id_x 1
		.amdhsa_system_sgpr_workgroup_id_y 0
		.amdhsa_system_sgpr_workgroup_id_z 0
		.amdhsa_system_sgpr_workgroup_info 0
		.amdhsa_system_vgpr_workitem_id 0
		.amdhsa_next_free_vgpr 1
		.amdhsa_next_free_sgpr 1
		.amdhsa_reserve_vcc 0
		.amdhsa_reserve_flat_scratch 0
		.amdhsa_float_round_mode_32 0
		.amdhsa_float_round_mode_16_64 0
		.amdhsa_float_denorm_mode_32 3
		.amdhsa_float_denorm_mode_16_64 3
		.amdhsa_dx10_clamp 1
		.amdhsa_ieee_mode 1
		.amdhsa_fp16_overflow 0
		.amdhsa_workgroup_processor_mode 1
		.amdhsa_memory_ordered 1
		.amdhsa_forward_progress 1
		.amdhsa_shared_vgpr_count 0
		.amdhsa_exception_fp_ieee_invalid_op 0
		.amdhsa_exception_fp_denorm_src 0
		.amdhsa_exception_fp_ieee_div_zero 0
		.amdhsa_exception_fp_ieee_overflow 0
		.amdhsa_exception_fp_ieee_underflow 0
		.amdhsa_exception_fp_ieee_inexact 0
		.amdhsa_exception_int_div_zero 0
	.end_amdhsa_kernel
	.section	.text._ZN7rocprim17ROCPRIM_400000_NS6detail17trampoline_kernelINS0_14default_configENS1_36segmented_radix_sort_config_selectorIalEEZNS1_25segmented_radix_sort_implIS3_Lb1EPKaPaPKlPlN2at6native12_GLOBAL__N_18offset_tEEE10hipError_tPvRmT1_PNSt15iterator_traitsISK_E10value_typeET2_T3_PNSL_ISQ_E10value_typeET4_jRbjT5_SW_jjP12ihipStream_tbEUlT_E_NS1_11comp_targetILNS1_3genE10ELNS1_11target_archE1201ELNS1_3gpuE5ELNS1_3repE0EEENS1_30default_config_static_selectorELNS0_4arch9wavefront6targetE0EEEvSK_,"axG",@progbits,_ZN7rocprim17ROCPRIM_400000_NS6detail17trampoline_kernelINS0_14default_configENS1_36segmented_radix_sort_config_selectorIalEEZNS1_25segmented_radix_sort_implIS3_Lb1EPKaPaPKlPlN2at6native12_GLOBAL__N_18offset_tEEE10hipError_tPvRmT1_PNSt15iterator_traitsISK_E10value_typeET2_T3_PNSL_ISQ_E10value_typeET4_jRbjT5_SW_jjP12ihipStream_tbEUlT_E_NS1_11comp_targetILNS1_3genE10ELNS1_11target_archE1201ELNS1_3gpuE5ELNS1_3repE0EEENS1_30default_config_static_selectorELNS0_4arch9wavefront6targetE0EEEvSK_,comdat
.Lfunc_end293:
	.size	_ZN7rocprim17ROCPRIM_400000_NS6detail17trampoline_kernelINS0_14default_configENS1_36segmented_radix_sort_config_selectorIalEEZNS1_25segmented_radix_sort_implIS3_Lb1EPKaPaPKlPlN2at6native12_GLOBAL__N_18offset_tEEE10hipError_tPvRmT1_PNSt15iterator_traitsISK_E10value_typeET2_T3_PNSL_ISQ_E10value_typeET4_jRbjT5_SW_jjP12ihipStream_tbEUlT_E_NS1_11comp_targetILNS1_3genE10ELNS1_11target_archE1201ELNS1_3gpuE5ELNS1_3repE0EEENS1_30default_config_static_selectorELNS0_4arch9wavefront6targetE0EEEvSK_, .Lfunc_end293-_ZN7rocprim17ROCPRIM_400000_NS6detail17trampoline_kernelINS0_14default_configENS1_36segmented_radix_sort_config_selectorIalEEZNS1_25segmented_radix_sort_implIS3_Lb1EPKaPaPKlPlN2at6native12_GLOBAL__N_18offset_tEEE10hipError_tPvRmT1_PNSt15iterator_traitsISK_E10value_typeET2_T3_PNSL_ISQ_E10value_typeET4_jRbjT5_SW_jjP12ihipStream_tbEUlT_E_NS1_11comp_targetILNS1_3genE10ELNS1_11target_archE1201ELNS1_3gpuE5ELNS1_3repE0EEENS1_30default_config_static_selectorELNS0_4arch9wavefront6targetE0EEEvSK_
                                        ; -- End function
	.set _ZN7rocprim17ROCPRIM_400000_NS6detail17trampoline_kernelINS0_14default_configENS1_36segmented_radix_sort_config_selectorIalEEZNS1_25segmented_radix_sort_implIS3_Lb1EPKaPaPKlPlN2at6native12_GLOBAL__N_18offset_tEEE10hipError_tPvRmT1_PNSt15iterator_traitsISK_E10value_typeET2_T3_PNSL_ISQ_E10value_typeET4_jRbjT5_SW_jjP12ihipStream_tbEUlT_E_NS1_11comp_targetILNS1_3genE10ELNS1_11target_archE1201ELNS1_3gpuE5ELNS1_3repE0EEENS1_30default_config_static_selectorELNS0_4arch9wavefront6targetE0EEEvSK_.num_vgpr, 0
	.set _ZN7rocprim17ROCPRIM_400000_NS6detail17trampoline_kernelINS0_14default_configENS1_36segmented_radix_sort_config_selectorIalEEZNS1_25segmented_radix_sort_implIS3_Lb1EPKaPaPKlPlN2at6native12_GLOBAL__N_18offset_tEEE10hipError_tPvRmT1_PNSt15iterator_traitsISK_E10value_typeET2_T3_PNSL_ISQ_E10value_typeET4_jRbjT5_SW_jjP12ihipStream_tbEUlT_E_NS1_11comp_targetILNS1_3genE10ELNS1_11target_archE1201ELNS1_3gpuE5ELNS1_3repE0EEENS1_30default_config_static_selectorELNS0_4arch9wavefront6targetE0EEEvSK_.num_agpr, 0
	.set _ZN7rocprim17ROCPRIM_400000_NS6detail17trampoline_kernelINS0_14default_configENS1_36segmented_radix_sort_config_selectorIalEEZNS1_25segmented_radix_sort_implIS3_Lb1EPKaPaPKlPlN2at6native12_GLOBAL__N_18offset_tEEE10hipError_tPvRmT1_PNSt15iterator_traitsISK_E10value_typeET2_T3_PNSL_ISQ_E10value_typeET4_jRbjT5_SW_jjP12ihipStream_tbEUlT_E_NS1_11comp_targetILNS1_3genE10ELNS1_11target_archE1201ELNS1_3gpuE5ELNS1_3repE0EEENS1_30default_config_static_selectorELNS0_4arch9wavefront6targetE0EEEvSK_.numbered_sgpr, 0
	.set _ZN7rocprim17ROCPRIM_400000_NS6detail17trampoline_kernelINS0_14default_configENS1_36segmented_radix_sort_config_selectorIalEEZNS1_25segmented_radix_sort_implIS3_Lb1EPKaPaPKlPlN2at6native12_GLOBAL__N_18offset_tEEE10hipError_tPvRmT1_PNSt15iterator_traitsISK_E10value_typeET2_T3_PNSL_ISQ_E10value_typeET4_jRbjT5_SW_jjP12ihipStream_tbEUlT_E_NS1_11comp_targetILNS1_3genE10ELNS1_11target_archE1201ELNS1_3gpuE5ELNS1_3repE0EEENS1_30default_config_static_selectorELNS0_4arch9wavefront6targetE0EEEvSK_.num_named_barrier, 0
	.set _ZN7rocprim17ROCPRIM_400000_NS6detail17trampoline_kernelINS0_14default_configENS1_36segmented_radix_sort_config_selectorIalEEZNS1_25segmented_radix_sort_implIS3_Lb1EPKaPaPKlPlN2at6native12_GLOBAL__N_18offset_tEEE10hipError_tPvRmT1_PNSt15iterator_traitsISK_E10value_typeET2_T3_PNSL_ISQ_E10value_typeET4_jRbjT5_SW_jjP12ihipStream_tbEUlT_E_NS1_11comp_targetILNS1_3genE10ELNS1_11target_archE1201ELNS1_3gpuE5ELNS1_3repE0EEENS1_30default_config_static_selectorELNS0_4arch9wavefront6targetE0EEEvSK_.private_seg_size, 0
	.set _ZN7rocprim17ROCPRIM_400000_NS6detail17trampoline_kernelINS0_14default_configENS1_36segmented_radix_sort_config_selectorIalEEZNS1_25segmented_radix_sort_implIS3_Lb1EPKaPaPKlPlN2at6native12_GLOBAL__N_18offset_tEEE10hipError_tPvRmT1_PNSt15iterator_traitsISK_E10value_typeET2_T3_PNSL_ISQ_E10value_typeET4_jRbjT5_SW_jjP12ihipStream_tbEUlT_E_NS1_11comp_targetILNS1_3genE10ELNS1_11target_archE1201ELNS1_3gpuE5ELNS1_3repE0EEENS1_30default_config_static_selectorELNS0_4arch9wavefront6targetE0EEEvSK_.uses_vcc, 0
	.set _ZN7rocprim17ROCPRIM_400000_NS6detail17trampoline_kernelINS0_14default_configENS1_36segmented_radix_sort_config_selectorIalEEZNS1_25segmented_radix_sort_implIS3_Lb1EPKaPaPKlPlN2at6native12_GLOBAL__N_18offset_tEEE10hipError_tPvRmT1_PNSt15iterator_traitsISK_E10value_typeET2_T3_PNSL_ISQ_E10value_typeET4_jRbjT5_SW_jjP12ihipStream_tbEUlT_E_NS1_11comp_targetILNS1_3genE10ELNS1_11target_archE1201ELNS1_3gpuE5ELNS1_3repE0EEENS1_30default_config_static_selectorELNS0_4arch9wavefront6targetE0EEEvSK_.uses_flat_scratch, 0
	.set _ZN7rocprim17ROCPRIM_400000_NS6detail17trampoline_kernelINS0_14default_configENS1_36segmented_radix_sort_config_selectorIalEEZNS1_25segmented_radix_sort_implIS3_Lb1EPKaPaPKlPlN2at6native12_GLOBAL__N_18offset_tEEE10hipError_tPvRmT1_PNSt15iterator_traitsISK_E10value_typeET2_T3_PNSL_ISQ_E10value_typeET4_jRbjT5_SW_jjP12ihipStream_tbEUlT_E_NS1_11comp_targetILNS1_3genE10ELNS1_11target_archE1201ELNS1_3gpuE5ELNS1_3repE0EEENS1_30default_config_static_selectorELNS0_4arch9wavefront6targetE0EEEvSK_.has_dyn_sized_stack, 0
	.set _ZN7rocprim17ROCPRIM_400000_NS6detail17trampoline_kernelINS0_14default_configENS1_36segmented_radix_sort_config_selectorIalEEZNS1_25segmented_radix_sort_implIS3_Lb1EPKaPaPKlPlN2at6native12_GLOBAL__N_18offset_tEEE10hipError_tPvRmT1_PNSt15iterator_traitsISK_E10value_typeET2_T3_PNSL_ISQ_E10value_typeET4_jRbjT5_SW_jjP12ihipStream_tbEUlT_E_NS1_11comp_targetILNS1_3genE10ELNS1_11target_archE1201ELNS1_3gpuE5ELNS1_3repE0EEENS1_30default_config_static_selectorELNS0_4arch9wavefront6targetE0EEEvSK_.has_recursion, 0
	.set _ZN7rocprim17ROCPRIM_400000_NS6detail17trampoline_kernelINS0_14default_configENS1_36segmented_radix_sort_config_selectorIalEEZNS1_25segmented_radix_sort_implIS3_Lb1EPKaPaPKlPlN2at6native12_GLOBAL__N_18offset_tEEE10hipError_tPvRmT1_PNSt15iterator_traitsISK_E10value_typeET2_T3_PNSL_ISQ_E10value_typeET4_jRbjT5_SW_jjP12ihipStream_tbEUlT_E_NS1_11comp_targetILNS1_3genE10ELNS1_11target_archE1201ELNS1_3gpuE5ELNS1_3repE0EEENS1_30default_config_static_selectorELNS0_4arch9wavefront6targetE0EEEvSK_.has_indirect_call, 0
	.section	.AMDGPU.csdata,"",@progbits
; Kernel info:
; codeLenInByte = 0
; TotalNumSgprs: 0
; NumVgprs: 0
; ScratchSize: 0
; MemoryBound: 0
; FloatMode: 240
; IeeeMode: 1
; LDSByteSize: 0 bytes/workgroup (compile time only)
; SGPRBlocks: 0
; VGPRBlocks: 0
; NumSGPRsForWavesPerEU: 1
; NumVGPRsForWavesPerEU: 1
; Occupancy: 16
; WaveLimiterHint : 0
; COMPUTE_PGM_RSRC2:SCRATCH_EN: 0
; COMPUTE_PGM_RSRC2:USER_SGPR: 6
; COMPUTE_PGM_RSRC2:TRAP_HANDLER: 0
; COMPUTE_PGM_RSRC2:TGID_X_EN: 1
; COMPUTE_PGM_RSRC2:TGID_Y_EN: 0
; COMPUTE_PGM_RSRC2:TGID_Z_EN: 0
; COMPUTE_PGM_RSRC2:TIDIG_COMP_CNT: 0
	.section	.text._ZN7rocprim17ROCPRIM_400000_NS6detail17trampoline_kernelINS0_14default_configENS1_36segmented_radix_sort_config_selectorIalEEZNS1_25segmented_radix_sort_implIS3_Lb1EPKaPaPKlPlN2at6native12_GLOBAL__N_18offset_tEEE10hipError_tPvRmT1_PNSt15iterator_traitsISK_E10value_typeET2_T3_PNSL_ISQ_E10value_typeET4_jRbjT5_SW_jjP12ihipStream_tbEUlT_E_NS1_11comp_targetILNS1_3genE10ELNS1_11target_archE1200ELNS1_3gpuE4ELNS1_3repE0EEENS1_30default_config_static_selectorELNS0_4arch9wavefront6targetE0EEEvSK_,"axG",@progbits,_ZN7rocprim17ROCPRIM_400000_NS6detail17trampoline_kernelINS0_14default_configENS1_36segmented_radix_sort_config_selectorIalEEZNS1_25segmented_radix_sort_implIS3_Lb1EPKaPaPKlPlN2at6native12_GLOBAL__N_18offset_tEEE10hipError_tPvRmT1_PNSt15iterator_traitsISK_E10value_typeET2_T3_PNSL_ISQ_E10value_typeET4_jRbjT5_SW_jjP12ihipStream_tbEUlT_E_NS1_11comp_targetILNS1_3genE10ELNS1_11target_archE1200ELNS1_3gpuE4ELNS1_3repE0EEENS1_30default_config_static_selectorELNS0_4arch9wavefront6targetE0EEEvSK_,comdat
	.globl	_ZN7rocprim17ROCPRIM_400000_NS6detail17trampoline_kernelINS0_14default_configENS1_36segmented_radix_sort_config_selectorIalEEZNS1_25segmented_radix_sort_implIS3_Lb1EPKaPaPKlPlN2at6native12_GLOBAL__N_18offset_tEEE10hipError_tPvRmT1_PNSt15iterator_traitsISK_E10value_typeET2_T3_PNSL_ISQ_E10value_typeET4_jRbjT5_SW_jjP12ihipStream_tbEUlT_E_NS1_11comp_targetILNS1_3genE10ELNS1_11target_archE1200ELNS1_3gpuE4ELNS1_3repE0EEENS1_30default_config_static_selectorELNS0_4arch9wavefront6targetE0EEEvSK_ ; -- Begin function _ZN7rocprim17ROCPRIM_400000_NS6detail17trampoline_kernelINS0_14default_configENS1_36segmented_radix_sort_config_selectorIalEEZNS1_25segmented_radix_sort_implIS3_Lb1EPKaPaPKlPlN2at6native12_GLOBAL__N_18offset_tEEE10hipError_tPvRmT1_PNSt15iterator_traitsISK_E10value_typeET2_T3_PNSL_ISQ_E10value_typeET4_jRbjT5_SW_jjP12ihipStream_tbEUlT_E_NS1_11comp_targetILNS1_3genE10ELNS1_11target_archE1200ELNS1_3gpuE4ELNS1_3repE0EEENS1_30default_config_static_selectorELNS0_4arch9wavefront6targetE0EEEvSK_
	.p2align	8
	.type	_ZN7rocprim17ROCPRIM_400000_NS6detail17trampoline_kernelINS0_14default_configENS1_36segmented_radix_sort_config_selectorIalEEZNS1_25segmented_radix_sort_implIS3_Lb1EPKaPaPKlPlN2at6native12_GLOBAL__N_18offset_tEEE10hipError_tPvRmT1_PNSt15iterator_traitsISK_E10value_typeET2_T3_PNSL_ISQ_E10value_typeET4_jRbjT5_SW_jjP12ihipStream_tbEUlT_E_NS1_11comp_targetILNS1_3genE10ELNS1_11target_archE1200ELNS1_3gpuE4ELNS1_3repE0EEENS1_30default_config_static_selectorELNS0_4arch9wavefront6targetE0EEEvSK_,@function
_ZN7rocprim17ROCPRIM_400000_NS6detail17trampoline_kernelINS0_14default_configENS1_36segmented_radix_sort_config_selectorIalEEZNS1_25segmented_radix_sort_implIS3_Lb1EPKaPaPKlPlN2at6native12_GLOBAL__N_18offset_tEEE10hipError_tPvRmT1_PNSt15iterator_traitsISK_E10value_typeET2_T3_PNSL_ISQ_E10value_typeET4_jRbjT5_SW_jjP12ihipStream_tbEUlT_E_NS1_11comp_targetILNS1_3genE10ELNS1_11target_archE1200ELNS1_3gpuE4ELNS1_3repE0EEENS1_30default_config_static_selectorELNS0_4arch9wavefront6targetE0EEEvSK_: ; @_ZN7rocprim17ROCPRIM_400000_NS6detail17trampoline_kernelINS0_14default_configENS1_36segmented_radix_sort_config_selectorIalEEZNS1_25segmented_radix_sort_implIS3_Lb1EPKaPaPKlPlN2at6native12_GLOBAL__N_18offset_tEEE10hipError_tPvRmT1_PNSt15iterator_traitsISK_E10value_typeET2_T3_PNSL_ISQ_E10value_typeET4_jRbjT5_SW_jjP12ihipStream_tbEUlT_E_NS1_11comp_targetILNS1_3genE10ELNS1_11target_archE1200ELNS1_3gpuE4ELNS1_3repE0EEENS1_30default_config_static_selectorELNS0_4arch9wavefront6targetE0EEEvSK_
; %bb.0:
	.section	.rodata,"a",@progbits
	.p2align	6, 0x0
	.amdhsa_kernel _ZN7rocprim17ROCPRIM_400000_NS6detail17trampoline_kernelINS0_14default_configENS1_36segmented_radix_sort_config_selectorIalEEZNS1_25segmented_radix_sort_implIS3_Lb1EPKaPaPKlPlN2at6native12_GLOBAL__N_18offset_tEEE10hipError_tPvRmT1_PNSt15iterator_traitsISK_E10value_typeET2_T3_PNSL_ISQ_E10value_typeET4_jRbjT5_SW_jjP12ihipStream_tbEUlT_E_NS1_11comp_targetILNS1_3genE10ELNS1_11target_archE1200ELNS1_3gpuE4ELNS1_3repE0EEENS1_30default_config_static_selectorELNS0_4arch9wavefront6targetE0EEEvSK_
		.amdhsa_group_segment_fixed_size 0
		.amdhsa_private_segment_fixed_size 0
		.amdhsa_kernarg_size 96
		.amdhsa_user_sgpr_count 6
		.amdhsa_user_sgpr_private_segment_buffer 1
		.amdhsa_user_sgpr_dispatch_ptr 0
		.amdhsa_user_sgpr_queue_ptr 0
		.amdhsa_user_sgpr_kernarg_segment_ptr 1
		.amdhsa_user_sgpr_dispatch_id 0
		.amdhsa_user_sgpr_flat_scratch_init 0
		.amdhsa_user_sgpr_private_segment_size 0
		.amdhsa_wavefront_size32 1
		.amdhsa_uses_dynamic_stack 0
		.amdhsa_system_sgpr_private_segment_wavefront_offset 0
		.amdhsa_system_sgpr_workgroup_id_x 1
		.amdhsa_system_sgpr_workgroup_id_y 0
		.amdhsa_system_sgpr_workgroup_id_z 0
		.amdhsa_system_sgpr_workgroup_info 0
		.amdhsa_system_vgpr_workitem_id 0
		.amdhsa_next_free_vgpr 1
		.amdhsa_next_free_sgpr 1
		.amdhsa_reserve_vcc 0
		.amdhsa_reserve_flat_scratch 0
		.amdhsa_float_round_mode_32 0
		.amdhsa_float_round_mode_16_64 0
		.amdhsa_float_denorm_mode_32 3
		.amdhsa_float_denorm_mode_16_64 3
		.amdhsa_dx10_clamp 1
		.amdhsa_ieee_mode 1
		.amdhsa_fp16_overflow 0
		.amdhsa_workgroup_processor_mode 1
		.amdhsa_memory_ordered 1
		.amdhsa_forward_progress 1
		.amdhsa_shared_vgpr_count 0
		.amdhsa_exception_fp_ieee_invalid_op 0
		.amdhsa_exception_fp_denorm_src 0
		.amdhsa_exception_fp_ieee_div_zero 0
		.amdhsa_exception_fp_ieee_overflow 0
		.amdhsa_exception_fp_ieee_underflow 0
		.amdhsa_exception_fp_ieee_inexact 0
		.amdhsa_exception_int_div_zero 0
	.end_amdhsa_kernel
	.section	.text._ZN7rocprim17ROCPRIM_400000_NS6detail17trampoline_kernelINS0_14default_configENS1_36segmented_radix_sort_config_selectorIalEEZNS1_25segmented_radix_sort_implIS3_Lb1EPKaPaPKlPlN2at6native12_GLOBAL__N_18offset_tEEE10hipError_tPvRmT1_PNSt15iterator_traitsISK_E10value_typeET2_T3_PNSL_ISQ_E10value_typeET4_jRbjT5_SW_jjP12ihipStream_tbEUlT_E_NS1_11comp_targetILNS1_3genE10ELNS1_11target_archE1200ELNS1_3gpuE4ELNS1_3repE0EEENS1_30default_config_static_selectorELNS0_4arch9wavefront6targetE0EEEvSK_,"axG",@progbits,_ZN7rocprim17ROCPRIM_400000_NS6detail17trampoline_kernelINS0_14default_configENS1_36segmented_radix_sort_config_selectorIalEEZNS1_25segmented_radix_sort_implIS3_Lb1EPKaPaPKlPlN2at6native12_GLOBAL__N_18offset_tEEE10hipError_tPvRmT1_PNSt15iterator_traitsISK_E10value_typeET2_T3_PNSL_ISQ_E10value_typeET4_jRbjT5_SW_jjP12ihipStream_tbEUlT_E_NS1_11comp_targetILNS1_3genE10ELNS1_11target_archE1200ELNS1_3gpuE4ELNS1_3repE0EEENS1_30default_config_static_selectorELNS0_4arch9wavefront6targetE0EEEvSK_,comdat
.Lfunc_end294:
	.size	_ZN7rocprim17ROCPRIM_400000_NS6detail17trampoline_kernelINS0_14default_configENS1_36segmented_radix_sort_config_selectorIalEEZNS1_25segmented_radix_sort_implIS3_Lb1EPKaPaPKlPlN2at6native12_GLOBAL__N_18offset_tEEE10hipError_tPvRmT1_PNSt15iterator_traitsISK_E10value_typeET2_T3_PNSL_ISQ_E10value_typeET4_jRbjT5_SW_jjP12ihipStream_tbEUlT_E_NS1_11comp_targetILNS1_3genE10ELNS1_11target_archE1200ELNS1_3gpuE4ELNS1_3repE0EEENS1_30default_config_static_selectorELNS0_4arch9wavefront6targetE0EEEvSK_, .Lfunc_end294-_ZN7rocprim17ROCPRIM_400000_NS6detail17trampoline_kernelINS0_14default_configENS1_36segmented_radix_sort_config_selectorIalEEZNS1_25segmented_radix_sort_implIS3_Lb1EPKaPaPKlPlN2at6native12_GLOBAL__N_18offset_tEEE10hipError_tPvRmT1_PNSt15iterator_traitsISK_E10value_typeET2_T3_PNSL_ISQ_E10value_typeET4_jRbjT5_SW_jjP12ihipStream_tbEUlT_E_NS1_11comp_targetILNS1_3genE10ELNS1_11target_archE1200ELNS1_3gpuE4ELNS1_3repE0EEENS1_30default_config_static_selectorELNS0_4arch9wavefront6targetE0EEEvSK_
                                        ; -- End function
	.set _ZN7rocprim17ROCPRIM_400000_NS6detail17trampoline_kernelINS0_14default_configENS1_36segmented_radix_sort_config_selectorIalEEZNS1_25segmented_radix_sort_implIS3_Lb1EPKaPaPKlPlN2at6native12_GLOBAL__N_18offset_tEEE10hipError_tPvRmT1_PNSt15iterator_traitsISK_E10value_typeET2_T3_PNSL_ISQ_E10value_typeET4_jRbjT5_SW_jjP12ihipStream_tbEUlT_E_NS1_11comp_targetILNS1_3genE10ELNS1_11target_archE1200ELNS1_3gpuE4ELNS1_3repE0EEENS1_30default_config_static_selectorELNS0_4arch9wavefront6targetE0EEEvSK_.num_vgpr, 0
	.set _ZN7rocprim17ROCPRIM_400000_NS6detail17trampoline_kernelINS0_14default_configENS1_36segmented_radix_sort_config_selectorIalEEZNS1_25segmented_radix_sort_implIS3_Lb1EPKaPaPKlPlN2at6native12_GLOBAL__N_18offset_tEEE10hipError_tPvRmT1_PNSt15iterator_traitsISK_E10value_typeET2_T3_PNSL_ISQ_E10value_typeET4_jRbjT5_SW_jjP12ihipStream_tbEUlT_E_NS1_11comp_targetILNS1_3genE10ELNS1_11target_archE1200ELNS1_3gpuE4ELNS1_3repE0EEENS1_30default_config_static_selectorELNS0_4arch9wavefront6targetE0EEEvSK_.num_agpr, 0
	.set _ZN7rocprim17ROCPRIM_400000_NS6detail17trampoline_kernelINS0_14default_configENS1_36segmented_radix_sort_config_selectorIalEEZNS1_25segmented_radix_sort_implIS3_Lb1EPKaPaPKlPlN2at6native12_GLOBAL__N_18offset_tEEE10hipError_tPvRmT1_PNSt15iterator_traitsISK_E10value_typeET2_T3_PNSL_ISQ_E10value_typeET4_jRbjT5_SW_jjP12ihipStream_tbEUlT_E_NS1_11comp_targetILNS1_3genE10ELNS1_11target_archE1200ELNS1_3gpuE4ELNS1_3repE0EEENS1_30default_config_static_selectorELNS0_4arch9wavefront6targetE0EEEvSK_.numbered_sgpr, 0
	.set _ZN7rocprim17ROCPRIM_400000_NS6detail17trampoline_kernelINS0_14default_configENS1_36segmented_radix_sort_config_selectorIalEEZNS1_25segmented_radix_sort_implIS3_Lb1EPKaPaPKlPlN2at6native12_GLOBAL__N_18offset_tEEE10hipError_tPvRmT1_PNSt15iterator_traitsISK_E10value_typeET2_T3_PNSL_ISQ_E10value_typeET4_jRbjT5_SW_jjP12ihipStream_tbEUlT_E_NS1_11comp_targetILNS1_3genE10ELNS1_11target_archE1200ELNS1_3gpuE4ELNS1_3repE0EEENS1_30default_config_static_selectorELNS0_4arch9wavefront6targetE0EEEvSK_.num_named_barrier, 0
	.set _ZN7rocprim17ROCPRIM_400000_NS6detail17trampoline_kernelINS0_14default_configENS1_36segmented_radix_sort_config_selectorIalEEZNS1_25segmented_radix_sort_implIS3_Lb1EPKaPaPKlPlN2at6native12_GLOBAL__N_18offset_tEEE10hipError_tPvRmT1_PNSt15iterator_traitsISK_E10value_typeET2_T3_PNSL_ISQ_E10value_typeET4_jRbjT5_SW_jjP12ihipStream_tbEUlT_E_NS1_11comp_targetILNS1_3genE10ELNS1_11target_archE1200ELNS1_3gpuE4ELNS1_3repE0EEENS1_30default_config_static_selectorELNS0_4arch9wavefront6targetE0EEEvSK_.private_seg_size, 0
	.set _ZN7rocprim17ROCPRIM_400000_NS6detail17trampoline_kernelINS0_14default_configENS1_36segmented_radix_sort_config_selectorIalEEZNS1_25segmented_radix_sort_implIS3_Lb1EPKaPaPKlPlN2at6native12_GLOBAL__N_18offset_tEEE10hipError_tPvRmT1_PNSt15iterator_traitsISK_E10value_typeET2_T3_PNSL_ISQ_E10value_typeET4_jRbjT5_SW_jjP12ihipStream_tbEUlT_E_NS1_11comp_targetILNS1_3genE10ELNS1_11target_archE1200ELNS1_3gpuE4ELNS1_3repE0EEENS1_30default_config_static_selectorELNS0_4arch9wavefront6targetE0EEEvSK_.uses_vcc, 0
	.set _ZN7rocprim17ROCPRIM_400000_NS6detail17trampoline_kernelINS0_14default_configENS1_36segmented_radix_sort_config_selectorIalEEZNS1_25segmented_radix_sort_implIS3_Lb1EPKaPaPKlPlN2at6native12_GLOBAL__N_18offset_tEEE10hipError_tPvRmT1_PNSt15iterator_traitsISK_E10value_typeET2_T3_PNSL_ISQ_E10value_typeET4_jRbjT5_SW_jjP12ihipStream_tbEUlT_E_NS1_11comp_targetILNS1_3genE10ELNS1_11target_archE1200ELNS1_3gpuE4ELNS1_3repE0EEENS1_30default_config_static_selectorELNS0_4arch9wavefront6targetE0EEEvSK_.uses_flat_scratch, 0
	.set _ZN7rocprim17ROCPRIM_400000_NS6detail17trampoline_kernelINS0_14default_configENS1_36segmented_radix_sort_config_selectorIalEEZNS1_25segmented_radix_sort_implIS3_Lb1EPKaPaPKlPlN2at6native12_GLOBAL__N_18offset_tEEE10hipError_tPvRmT1_PNSt15iterator_traitsISK_E10value_typeET2_T3_PNSL_ISQ_E10value_typeET4_jRbjT5_SW_jjP12ihipStream_tbEUlT_E_NS1_11comp_targetILNS1_3genE10ELNS1_11target_archE1200ELNS1_3gpuE4ELNS1_3repE0EEENS1_30default_config_static_selectorELNS0_4arch9wavefront6targetE0EEEvSK_.has_dyn_sized_stack, 0
	.set _ZN7rocprim17ROCPRIM_400000_NS6detail17trampoline_kernelINS0_14default_configENS1_36segmented_radix_sort_config_selectorIalEEZNS1_25segmented_radix_sort_implIS3_Lb1EPKaPaPKlPlN2at6native12_GLOBAL__N_18offset_tEEE10hipError_tPvRmT1_PNSt15iterator_traitsISK_E10value_typeET2_T3_PNSL_ISQ_E10value_typeET4_jRbjT5_SW_jjP12ihipStream_tbEUlT_E_NS1_11comp_targetILNS1_3genE10ELNS1_11target_archE1200ELNS1_3gpuE4ELNS1_3repE0EEENS1_30default_config_static_selectorELNS0_4arch9wavefront6targetE0EEEvSK_.has_recursion, 0
	.set _ZN7rocprim17ROCPRIM_400000_NS6detail17trampoline_kernelINS0_14default_configENS1_36segmented_radix_sort_config_selectorIalEEZNS1_25segmented_radix_sort_implIS3_Lb1EPKaPaPKlPlN2at6native12_GLOBAL__N_18offset_tEEE10hipError_tPvRmT1_PNSt15iterator_traitsISK_E10value_typeET2_T3_PNSL_ISQ_E10value_typeET4_jRbjT5_SW_jjP12ihipStream_tbEUlT_E_NS1_11comp_targetILNS1_3genE10ELNS1_11target_archE1200ELNS1_3gpuE4ELNS1_3repE0EEENS1_30default_config_static_selectorELNS0_4arch9wavefront6targetE0EEEvSK_.has_indirect_call, 0
	.section	.AMDGPU.csdata,"",@progbits
; Kernel info:
; codeLenInByte = 0
; TotalNumSgprs: 0
; NumVgprs: 0
; ScratchSize: 0
; MemoryBound: 0
; FloatMode: 240
; IeeeMode: 1
; LDSByteSize: 0 bytes/workgroup (compile time only)
; SGPRBlocks: 0
; VGPRBlocks: 0
; NumSGPRsForWavesPerEU: 1
; NumVGPRsForWavesPerEU: 1
; Occupancy: 16
; WaveLimiterHint : 0
; COMPUTE_PGM_RSRC2:SCRATCH_EN: 0
; COMPUTE_PGM_RSRC2:USER_SGPR: 6
; COMPUTE_PGM_RSRC2:TRAP_HANDLER: 0
; COMPUTE_PGM_RSRC2:TGID_X_EN: 1
; COMPUTE_PGM_RSRC2:TGID_Y_EN: 0
; COMPUTE_PGM_RSRC2:TGID_Z_EN: 0
; COMPUTE_PGM_RSRC2:TIDIG_COMP_CNT: 0
	.section	.text._ZN7rocprim17ROCPRIM_400000_NS6detail17trampoline_kernelINS0_14default_configENS1_36segmented_radix_sort_config_selectorIalEEZNS1_25segmented_radix_sort_implIS3_Lb1EPKaPaPKlPlN2at6native12_GLOBAL__N_18offset_tEEE10hipError_tPvRmT1_PNSt15iterator_traitsISK_E10value_typeET2_T3_PNSL_ISQ_E10value_typeET4_jRbjT5_SW_jjP12ihipStream_tbEUlT_E_NS1_11comp_targetILNS1_3genE9ELNS1_11target_archE1100ELNS1_3gpuE3ELNS1_3repE0EEENS1_30default_config_static_selectorELNS0_4arch9wavefront6targetE0EEEvSK_,"axG",@progbits,_ZN7rocprim17ROCPRIM_400000_NS6detail17trampoline_kernelINS0_14default_configENS1_36segmented_radix_sort_config_selectorIalEEZNS1_25segmented_radix_sort_implIS3_Lb1EPKaPaPKlPlN2at6native12_GLOBAL__N_18offset_tEEE10hipError_tPvRmT1_PNSt15iterator_traitsISK_E10value_typeET2_T3_PNSL_ISQ_E10value_typeET4_jRbjT5_SW_jjP12ihipStream_tbEUlT_E_NS1_11comp_targetILNS1_3genE9ELNS1_11target_archE1100ELNS1_3gpuE3ELNS1_3repE0EEENS1_30default_config_static_selectorELNS0_4arch9wavefront6targetE0EEEvSK_,comdat
	.globl	_ZN7rocprim17ROCPRIM_400000_NS6detail17trampoline_kernelINS0_14default_configENS1_36segmented_radix_sort_config_selectorIalEEZNS1_25segmented_radix_sort_implIS3_Lb1EPKaPaPKlPlN2at6native12_GLOBAL__N_18offset_tEEE10hipError_tPvRmT1_PNSt15iterator_traitsISK_E10value_typeET2_T3_PNSL_ISQ_E10value_typeET4_jRbjT5_SW_jjP12ihipStream_tbEUlT_E_NS1_11comp_targetILNS1_3genE9ELNS1_11target_archE1100ELNS1_3gpuE3ELNS1_3repE0EEENS1_30default_config_static_selectorELNS0_4arch9wavefront6targetE0EEEvSK_ ; -- Begin function _ZN7rocprim17ROCPRIM_400000_NS6detail17trampoline_kernelINS0_14default_configENS1_36segmented_radix_sort_config_selectorIalEEZNS1_25segmented_radix_sort_implIS3_Lb1EPKaPaPKlPlN2at6native12_GLOBAL__N_18offset_tEEE10hipError_tPvRmT1_PNSt15iterator_traitsISK_E10value_typeET2_T3_PNSL_ISQ_E10value_typeET4_jRbjT5_SW_jjP12ihipStream_tbEUlT_E_NS1_11comp_targetILNS1_3genE9ELNS1_11target_archE1100ELNS1_3gpuE3ELNS1_3repE0EEENS1_30default_config_static_selectorELNS0_4arch9wavefront6targetE0EEEvSK_
	.p2align	8
	.type	_ZN7rocprim17ROCPRIM_400000_NS6detail17trampoline_kernelINS0_14default_configENS1_36segmented_radix_sort_config_selectorIalEEZNS1_25segmented_radix_sort_implIS3_Lb1EPKaPaPKlPlN2at6native12_GLOBAL__N_18offset_tEEE10hipError_tPvRmT1_PNSt15iterator_traitsISK_E10value_typeET2_T3_PNSL_ISQ_E10value_typeET4_jRbjT5_SW_jjP12ihipStream_tbEUlT_E_NS1_11comp_targetILNS1_3genE9ELNS1_11target_archE1100ELNS1_3gpuE3ELNS1_3repE0EEENS1_30default_config_static_selectorELNS0_4arch9wavefront6targetE0EEEvSK_,@function
_ZN7rocprim17ROCPRIM_400000_NS6detail17trampoline_kernelINS0_14default_configENS1_36segmented_radix_sort_config_selectorIalEEZNS1_25segmented_radix_sort_implIS3_Lb1EPKaPaPKlPlN2at6native12_GLOBAL__N_18offset_tEEE10hipError_tPvRmT1_PNSt15iterator_traitsISK_E10value_typeET2_T3_PNSL_ISQ_E10value_typeET4_jRbjT5_SW_jjP12ihipStream_tbEUlT_E_NS1_11comp_targetILNS1_3genE9ELNS1_11target_archE1100ELNS1_3gpuE3ELNS1_3repE0EEENS1_30default_config_static_selectorELNS0_4arch9wavefront6targetE0EEEvSK_: ; @_ZN7rocprim17ROCPRIM_400000_NS6detail17trampoline_kernelINS0_14default_configENS1_36segmented_radix_sort_config_selectorIalEEZNS1_25segmented_radix_sort_implIS3_Lb1EPKaPaPKlPlN2at6native12_GLOBAL__N_18offset_tEEE10hipError_tPvRmT1_PNSt15iterator_traitsISK_E10value_typeET2_T3_PNSL_ISQ_E10value_typeET4_jRbjT5_SW_jjP12ihipStream_tbEUlT_E_NS1_11comp_targetILNS1_3genE9ELNS1_11target_archE1100ELNS1_3gpuE3ELNS1_3repE0EEENS1_30default_config_static_selectorELNS0_4arch9wavefront6targetE0EEEvSK_
; %bb.0:
	.section	.rodata,"a",@progbits
	.p2align	6, 0x0
	.amdhsa_kernel _ZN7rocprim17ROCPRIM_400000_NS6detail17trampoline_kernelINS0_14default_configENS1_36segmented_radix_sort_config_selectorIalEEZNS1_25segmented_radix_sort_implIS3_Lb1EPKaPaPKlPlN2at6native12_GLOBAL__N_18offset_tEEE10hipError_tPvRmT1_PNSt15iterator_traitsISK_E10value_typeET2_T3_PNSL_ISQ_E10value_typeET4_jRbjT5_SW_jjP12ihipStream_tbEUlT_E_NS1_11comp_targetILNS1_3genE9ELNS1_11target_archE1100ELNS1_3gpuE3ELNS1_3repE0EEENS1_30default_config_static_selectorELNS0_4arch9wavefront6targetE0EEEvSK_
		.amdhsa_group_segment_fixed_size 0
		.amdhsa_private_segment_fixed_size 0
		.amdhsa_kernarg_size 96
		.amdhsa_user_sgpr_count 6
		.amdhsa_user_sgpr_private_segment_buffer 1
		.amdhsa_user_sgpr_dispatch_ptr 0
		.amdhsa_user_sgpr_queue_ptr 0
		.amdhsa_user_sgpr_kernarg_segment_ptr 1
		.amdhsa_user_sgpr_dispatch_id 0
		.amdhsa_user_sgpr_flat_scratch_init 0
		.amdhsa_user_sgpr_private_segment_size 0
		.amdhsa_wavefront_size32 1
		.amdhsa_uses_dynamic_stack 0
		.amdhsa_system_sgpr_private_segment_wavefront_offset 0
		.amdhsa_system_sgpr_workgroup_id_x 1
		.amdhsa_system_sgpr_workgroup_id_y 0
		.amdhsa_system_sgpr_workgroup_id_z 0
		.amdhsa_system_sgpr_workgroup_info 0
		.amdhsa_system_vgpr_workitem_id 0
		.amdhsa_next_free_vgpr 1
		.amdhsa_next_free_sgpr 1
		.amdhsa_reserve_vcc 0
		.amdhsa_reserve_flat_scratch 0
		.amdhsa_float_round_mode_32 0
		.amdhsa_float_round_mode_16_64 0
		.amdhsa_float_denorm_mode_32 3
		.amdhsa_float_denorm_mode_16_64 3
		.amdhsa_dx10_clamp 1
		.amdhsa_ieee_mode 1
		.amdhsa_fp16_overflow 0
		.amdhsa_workgroup_processor_mode 1
		.amdhsa_memory_ordered 1
		.amdhsa_forward_progress 1
		.amdhsa_shared_vgpr_count 0
		.amdhsa_exception_fp_ieee_invalid_op 0
		.amdhsa_exception_fp_denorm_src 0
		.amdhsa_exception_fp_ieee_div_zero 0
		.amdhsa_exception_fp_ieee_overflow 0
		.amdhsa_exception_fp_ieee_underflow 0
		.amdhsa_exception_fp_ieee_inexact 0
		.amdhsa_exception_int_div_zero 0
	.end_amdhsa_kernel
	.section	.text._ZN7rocprim17ROCPRIM_400000_NS6detail17trampoline_kernelINS0_14default_configENS1_36segmented_radix_sort_config_selectorIalEEZNS1_25segmented_radix_sort_implIS3_Lb1EPKaPaPKlPlN2at6native12_GLOBAL__N_18offset_tEEE10hipError_tPvRmT1_PNSt15iterator_traitsISK_E10value_typeET2_T3_PNSL_ISQ_E10value_typeET4_jRbjT5_SW_jjP12ihipStream_tbEUlT_E_NS1_11comp_targetILNS1_3genE9ELNS1_11target_archE1100ELNS1_3gpuE3ELNS1_3repE0EEENS1_30default_config_static_selectorELNS0_4arch9wavefront6targetE0EEEvSK_,"axG",@progbits,_ZN7rocprim17ROCPRIM_400000_NS6detail17trampoline_kernelINS0_14default_configENS1_36segmented_radix_sort_config_selectorIalEEZNS1_25segmented_radix_sort_implIS3_Lb1EPKaPaPKlPlN2at6native12_GLOBAL__N_18offset_tEEE10hipError_tPvRmT1_PNSt15iterator_traitsISK_E10value_typeET2_T3_PNSL_ISQ_E10value_typeET4_jRbjT5_SW_jjP12ihipStream_tbEUlT_E_NS1_11comp_targetILNS1_3genE9ELNS1_11target_archE1100ELNS1_3gpuE3ELNS1_3repE0EEENS1_30default_config_static_selectorELNS0_4arch9wavefront6targetE0EEEvSK_,comdat
.Lfunc_end295:
	.size	_ZN7rocprim17ROCPRIM_400000_NS6detail17trampoline_kernelINS0_14default_configENS1_36segmented_radix_sort_config_selectorIalEEZNS1_25segmented_radix_sort_implIS3_Lb1EPKaPaPKlPlN2at6native12_GLOBAL__N_18offset_tEEE10hipError_tPvRmT1_PNSt15iterator_traitsISK_E10value_typeET2_T3_PNSL_ISQ_E10value_typeET4_jRbjT5_SW_jjP12ihipStream_tbEUlT_E_NS1_11comp_targetILNS1_3genE9ELNS1_11target_archE1100ELNS1_3gpuE3ELNS1_3repE0EEENS1_30default_config_static_selectorELNS0_4arch9wavefront6targetE0EEEvSK_, .Lfunc_end295-_ZN7rocprim17ROCPRIM_400000_NS6detail17trampoline_kernelINS0_14default_configENS1_36segmented_radix_sort_config_selectorIalEEZNS1_25segmented_radix_sort_implIS3_Lb1EPKaPaPKlPlN2at6native12_GLOBAL__N_18offset_tEEE10hipError_tPvRmT1_PNSt15iterator_traitsISK_E10value_typeET2_T3_PNSL_ISQ_E10value_typeET4_jRbjT5_SW_jjP12ihipStream_tbEUlT_E_NS1_11comp_targetILNS1_3genE9ELNS1_11target_archE1100ELNS1_3gpuE3ELNS1_3repE0EEENS1_30default_config_static_selectorELNS0_4arch9wavefront6targetE0EEEvSK_
                                        ; -- End function
	.set _ZN7rocprim17ROCPRIM_400000_NS6detail17trampoline_kernelINS0_14default_configENS1_36segmented_radix_sort_config_selectorIalEEZNS1_25segmented_radix_sort_implIS3_Lb1EPKaPaPKlPlN2at6native12_GLOBAL__N_18offset_tEEE10hipError_tPvRmT1_PNSt15iterator_traitsISK_E10value_typeET2_T3_PNSL_ISQ_E10value_typeET4_jRbjT5_SW_jjP12ihipStream_tbEUlT_E_NS1_11comp_targetILNS1_3genE9ELNS1_11target_archE1100ELNS1_3gpuE3ELNS1_3repE0EEENS1_30default_config_static_selectorELNS0_4arch9wavefront6targetE0EEEvSK_.num_vgpr, 0
	.set _ZN7rocprim17ROCPRIM_400000_NS6detail17trampoline_kernelINS0_14default_configENS1_36segmented_radix_sort_config_selectorIalEEZNS1_25segmented_radix_sort_implIS3_Lb1EPKaPaPKlPlN2at6native12_GLOBAL__N_18offset_tEEE10hipError_tPvRmT1_PNSt15iterator_traitsISK_E10value_typeET2_T3_PNSL_ISQ_E10value_typeET4_jRbjT5_SW_jjP12ihipStream_tbEUlT_E_NS1_11comp_targetILNS1_3genE9ELNS1_11target_archE1100ELNS1_3gpuE3ELNS1_3repE0EEENS1_30default_config_static_selectorELNS0_4arch9wavefront6targetE0EEEvSK_.num_agpr, 0
	.set _ZN7rocprim17ROCPRIM_400000_NS6detail17trampoline_kernelINS0_14default_configENS1_36segmented_radix_sort_config_selectorIalEEZNS1_25segmented_radix_sort_implIS3_Lb1EPKaPaPKlPlN2at6native12_GLOBAL__N_18offset_tEEE10hipError_tPvRmT1_PNSt15iterator_traitsISK_E10value_typeET2_T3_PNSL_ISQ_E10value_typeET4_jRbjT5_SW_jjP12ihipStream_tbEUlT_E_NS1_11comp_targetILNS1_3genE9ELNS1_11target_archE1100ELNS1_3gpuE3ELNS1_3repE0EEENS1_30default_config_static_selectorELNS0_4arch9wavefront6targetE0EEEvSK_.numbered_sgpr, 0
	.set _ZN7rocprim17ROCPRIM_400000_NS6detail17trampoline_kernelINS0_14default_configENS1_36segmented_radix_sort_config_selectorIalEEZNS1_25segmented_radix_sort_implIS3_Lb1EPKaPaPKlPlN2at6native12_GLOBAL__N_18offset_tEEE10hipError_tPvRmT1_PNSt15iterator_traitsISK_E10value_typeET2_T3_PNSL_ISQ_E10value_typeET4_jRbjT5_SW_jjP12ihipStream_tbEUlT_E_NS1_11comp_targetILNS1_3genE9ELNS1_11target_archE1100ELNS1_3gpuE3ELNS1_3repE0EEENS1_30default_config_static_selectorELNS0_4arch9wavefront6targetE0EEEvSK_.num_named_barrier, 0
	.set _ZN7rocprim17ROCPRIM_400000_NS6detail17trampoline_kernelINS0_14default_configENS1_36segmented_radix_sort_config_selectorIalEEZNS1_25segmented_radix_sort_implIS3_Lb1EPKaPaPKlPlN2at6native12_GLOBAL__N_18offset_tEEE10hipError_tPvRmT1_PNSt15iterator_traitsISK_E10value_typeET2_T3_PNSL_ISQ_E10value_typeET4_jRbjT5_SW_jjP12ihipStream_tbEUlT_E_NS1_11comp_targetILNS1_3genE9ELNS1_11target_archE1100ELNS1_3gpuE3ELNS1_3repE0EEENS1_30default_config_static_selectorELNS0_4arch9wavefront6targetE0EEEvSK_.private_seg_size, 0
	.set _ZN7rocprim17ROCPRIM_400000_NS6detail17trampoline_kernelINS0_14default_configENS1_36segmented_radix_sort_config_selectorIalEEZNS1_25segmented_radix_sort_implIS3_Lb1EPKaPaPKlPlN2at6native12_GLOBAL__N_18offset_tEEE10hipError_tPvRmT1_PNSt15iterator_traitsISK_E10value_typeET2_T3_PNSL_ISQ_E10value_typeET4_jRbjT5_SW_jjP12ihipStream_tbEUlT_E_NS1_11comp_targetILNS1_3genE9ELNS1_11target_archE1100ELNS1_3gpuE3ELNS1_3repE0EEENS1_30default_config_static_selectorELNS0_4arch9wavefront6targetE0EEEvSK_.uses_vcc, 0
	.set _ZN7rocprim17ROCPRIM_400000_NS6detail17trampoline_kernelINS0_14default_configENS1_36segmented_radix_sort_config_selectorIalEEZNS1_25segmented_radix_sort_implIS3_Lb1EPKaPaPKlPlN2at6native12_GLOBAL__N_18offset_tEEE10hipError_tPvRmT1_PNSt15iterator_traitsISK_E10value_typeET2_T3_PNSL_ISQ_E10value_typeET4_jRbjT5_SW_jjP12ihipStream_tbEUlT_E_NS1_11comp_targetILNS1_3genE9ELNS1_11target_archE1100ELNS1_3gpuE3ELNS1_3repE0EEENS1_30default_config_static_selectorELNS0_4arch9wavefront6targetE0EEEvSK_.uses_flat_scratch, 0
	.set _ZN7rocprim17ROCPRIM_400000_NS6detail17trampoline_kernelINS0_14default_configENS1_36segmented_radix_sort_config_selectorIalEEZNS1_25segmented_radix_sort_implIS3_Lb1EPKaPaPKlPlN2at6native12_GLOBAL__N_18offset_tEEE10hipError_tPvRmT1_PNSt15iterator_traitsISK_E10value_typeET2_T3_PNSL_ISQ_E10value_typeET4_jRbjT5_SW_jjP12ihipStream_tbEUlT_E_NS1_11comp_targetILNS1_3genE9ELNS1_11target_archE1100ELNS1_3gpuE3ELNS1_3repE0EEENS1_30default_config_static_selectorELNS0_4arch9wavefront6targetE0EEEvSK_.has_dyn_sized_stack, 0
	.set _ZN7rocprim17ROCPRIM_400000_NS6detail17trampoline_kernelINS0_14default_configENS1_36segmented_radix_sort_config_selectorIalEEZNS1_25segmented_radix_sort_implIS3_Lb1EPKaPaPKlPlN2at6native12_GLOBAL__N_18offset_tEEE10hipError_tPvRmT1_PNSt15iterator_traitsISK_E10value_typeET2_T3_PNSL_ISQ_E10value_typeET4_jRbjT5_SW_jjP12ihipStream_tbEUlT_E_NS1_11comp_targetILNS1_3genE9ELNS1_11target_archE1100ELNS1_3gpuE3ELNS1_3repE0EEENS1_30default_config_static_selectorELNS0_4arch9wavefront6targetE0EEEvSK_.has_recursion, 0
	.set _ZN7rocprim17ROCPRIM_400000_NS6detail17trampoline_kernelINS0_14default_configENS1_36segmented_radix_sort_config_selectorIalEEZNS1_25segmented_radix_sort_implIS3_Lb1EPKaPaPKlPlN2at6native12_GLOBAL__N_18offset_tEEE10hipError_tPvRmT1_PNSt15iterator_traitsISK_E10value_typeET2_T3_PNSL_ISQ_E10value_typeET4_jRbjT5_SW_jjP12ihipStream_tbEUlT_E_NS1_11comp_targetILNS1_3genE9ELNS1_11target_archE1100ELNS1_3gpuE3ELNS1_3repE0EEENS1_30default_config_static_selectorELNS0_4arch9wavefront6targetE0EEEvSK_.has_indirect_call, 0
	.section	.AMDGPU.csdata,"",@progbits
; Kernel info:
; codeLenInByte = 0
; TotalNumSgprs: 0
; NumVgprs: 0
; ScratchSize: 0
; MemoryBound: 0
; FloatMode: 240
; IeeeMode: 1
; LDSByteSize: 0 bytes/workgroup (compile time only)
; SGPRBlocks: 0
; VGPRBlocks: 0
; NumSGPRsForWavesPerEU: 1
; NumVGPRsForWavesPerEU: 1
; Occupancy: 16
; WaveLimiterHint : 0
; COMPUTE_PGM_RSRC2:SCRATCH_EN: 0
; COMPUTE_PGM_RSRC2:USER_SGPR: 6
; COMPUTE_PGM_RSRC2:TRAP_HANDLER: 0
; COMPUTE_PGM_RSRC2:TGID_X_EN: 1
; COMPUTE_PGM_RSRC2:TGID_Y_EN: 0
; COMPUTE_PGM_RSRC2:TGID_Z_EN: 0
; COMPUTE_PGM_RSRC2:TIDIG_COMP_CNT: 0
	.text
	.p2align	2                               ; -- Begin function _ZN7rocprim17ROCPRIM_400000_NS6detail40segmented_radix_sort_single_block_helperIalLj256ELj17ELb1EE4sortIPKaPaPKlPlEEbT_T0_T1_T2_jjjjRNS3_12storage_typeE
	.type	_ZN7rocprim17ROCPRIM_400000_NS6detail40segmented_radix_sort_single_block_helperIalLj256ELj17ELb1EE4sortIPKaPaPKlPlEEbT_T0_T1_T2_jjjjRNS3_12storage_typeE,@function
_ZN7rocprim17ROCPRIM_400000_NS6detail40segmented_radix_sort_single_block_helperIalLj256ELj17ELb1EE4sortIPKaPaPKlPlEEbT_T0_T1_T2_jjjjRNS3_12storage_typeE: ; @_ZN7rocprim17ROCPRIM_400000_NS6detail40segmented_radix_sort_single_block_helperIalLj256ELj17ELb1EE4sortIPKaPaPKlPlEEbT_T0_T1_T2_jjjjRNS3_12storage_typeE
; %bb.0:
	s_waitcnt vmcnt(0) expcnt(0) lgkmcnt(0)
	buffer_store_dword v40, off, s[0:3], s32 offset:232 ; 4-byte Folded Spill
	buffer_store_dword v41, off, s[0:3], s32 offset:228 ; 4-byte Folded Spill
	;; [unrolled: 1-line block ×58, first 2 shown]
	buffer_store_dword v154, off, s[0:3], s32 ; 4-byte Folded Spill
	v_sub_nc_u32_e32 v226, v9, v8
	s_mov_b32 s25, exec_lo
	v_cmpx_gt_u32_e32 0x1101, v226
	s_cbranch_execz .LBB296_382
; %bb.1:
	v_bfe_u32 v15, v31, 10, 10
	v_bfe_u32 v16, v31, 20, 10
	v_and_b32_e32 v14, 0x3ff, v31
	v_mbcnt_lo_u32_b32 v30, -1, 0
	s_mov_b32 s4, exec_lo
	v_cmpx_lt_u32_e32 0x800, v226
	s_xor_b32 s26, exec_lo, s4
	s_cbranch_execz .LBB296_151
; %bb.2:
	s_load_dwordx2 s[4:5], s[8:9], 0x0
	v_mov_b32_e32 v9, 0
	v_add_co_u32 v35, vcc_lo, v0, v8
	v_add_co_ci_u32_e64 v36, null, 0, v1, vcc_lo
	v_mov_b32_e32 v19, 0x80
	v_mov_b32_e32 v21, 0x80
	;; [unrolled: 1-line block ×14, first 2 shown]
	s_waitcnt lgkmcnt(0)
	s_cmp_lt_u32 s13, s5
	v_mov_b32_e32 v29, 0x80
	s_cselect_b32 s5, 14, 20
	s_add_u32 s6, s8, s5
	s_addc_u32 s7, s9, 0
	s_cmp_lt_u32 s12, s4
	global_load_ushort v17, v9, s[6:7]
	s_cselect_b32 s4, 12, 18
	s_add_u32 s4, s8, s4
	s_addc_u32 s5, s9, 0
	global_load_ushort v18, v9, s[4:5]
	s_waitcnt vmcnt(1)
	v_mad_u32_u24 v0, v16, v17, v15
	v_add_co_u32 v17, vcc_lo, v35, v30
	v_mov_b32_e32 v16, v9
	v_mov_b32_e32 v35, 0x80
	s_waitcnt vmcnt(0)
	v_mad_u64_u32 v[0:1], null, v0, v18, v[14:15]
	v_add_co_ci_u32_e64 v18, null, 0, v36, vcc_lo
	v_mov_b32_e32 v1, 0x80
	v_and_b32_e32 v15, 0xffffffe0, v0
	v_lshl_add_u32 v15, v15, 4, v15
	v_or_b32_e32 v36, v15, v30
	v_add_co_u32 v17, vcc_lo, v17, v15
	v_add_co_ci_u32_e64 v18, null, 0, v18, vcc_lo
	v_cmp_lt_u32_e32 vcc_lo, v36, v226
	s_and_saveexec_b32 s4, vcc_lo
	s_cbranch_execz .LBB296_4
; %bb.3:
	flat_load_ubyte v21, v[17:18]
	v_mov_b32_e32 v19, 0x80
	v_mov_b32_e32 v20, 0x80
	;; [unrolled: 1-line block ×16, first 2 shown]
.LBB296_4:
	s_or_b32 exec_lo, exec_lo, s4
	v_add_nc_u32_e32 v37, 32, v36
	v_cmp_lt_u32_e64 s4, v37, v226
	s_and_saveexec_b32 s5, s4
	s_cbranch_execz .LBB296_6
; %bb.5:
	flat_load_ubyte v20, v[17:18] offset:32
.LBB296_6:
	s_or_b32 exec_lo, exec_lo, s5
	v_add_nc_u32_e32 v37, 64, v36
	v_cmp_lt_u32_e64 s5, v37, v226
	s_and_saveexec_b32 s6, s5
	s_cbranch_execz .LBB296_8
; %bb.7:
	flat_load_ubyte v26, v[17:18] offset:64
.LBB296_8:
	s_or_b32 exec_lo, exec_lo, s6
	v_add_nc_u32_e32 v37, 0x60, v36
	v_cmp_lt_u32_e64 s6, v37, v226
	s_and_saveexec_b32 s7, s6
	s_cbranch_execz .LBB296_10
; %bb.9:
	flat_load_ubyte v22, v[17:18] offset:96
.LBB296_10:
	s_or_b32 exec_lo, exec_lo, s7
	v_add_nc_u32_e32 v37, 0x80, v36
	v_cmp_lt_u32_e64 s7, v37, v226
	s_and_saveexec_b32 s10, s7
	s_cbranch_execz .LBB296_12
; %bb.11:
	flat_load_ubyte v23, v[17:18] offset:128
.LBB296_12:
	s_or_b32 exec_lo, exec_lo, s10
	v_add_nc_u32_e32 v37, 0xa0, v36
	v_cmp_lt_u32_e64 s10, v37, v226
	s_and_saveexec_b32 s11, s10
	s_cbranch_execz .LBB296_14
; %bb.13:
	flat_load_ubyte v31, v[17:18] offset:160
.LBB296_14:
	s_or_b32 exec_lo, exec_lo, s11
	v_add_nc_u32_e32 v37, 0xc0, v36
	v_cmp_lt_u32_e64 s11, v37, v226
	s_and_saveexec_b32 s14, s11
	s_cbranch_execz .LBB296_16
; %bb.15:
	flat_load_ubyte v33, v[17:18] offset:192
.LBB296_16:
	s_or_b32 exec_lo, exec_lo, s14
	v_add_nc_u32_e32 v37, 0xe0, v36
	v_cmp_lt_u32_e64 s14, v37, v226
	s_and_saveexec_b32 s15, s14
	s_cbranch_execz .LBB296_18
; %bb.17:
	flat_load_ubyte v34, v[17:18] offset:224
.LBB296_18:
	s_or_b32 exec_lo, exec_lo, s15
	v_add_nc_u32_e32 v37, 0x100, v36
	v_cmp_lt_u32_e64 s15, v37, v226
	s_and_saveexec_b32 s16, s15
	s_cbranch_execz .LBB296_20
; %bb.19:
	flat_load_ubyte v24, v[17:18] offset:256
.LBB296_20:
	s_or_b32 exec_lo, exec_lo, s16
	v_add_nc_u32_e32 v37, 0x120, v36
	v_cmp_lt_u32_e64 s16, v37, v226
	s_and_saveexec_b32 s17, s16
	s_cbranch_execz .LBB296_22
; %bb.21:
	flat_load_ubyte v32, v[17:18] offset:288
.LBB296_22:
	s_or_b32 exec_lo, exec_lo, s17
	v_add_nc_u32_e32 v37, 0x140, v36
	v_cmp_lt_u32_e64 s17, v37, v226
	s_and_saveexec_b32 s18, s17
	s_cbranch_execz .LBB296_24
; %bb.23:
	flat_load_ubyte v25, v[17:18] offset:320
.LBB296_24:
	s_or_b32 exec_lo, exec_lo, s18
	v_add_nc_u32_e32 v37, 0x160, v36
	v_cmp_lt_u32_e64 s18, v37, v226
	s_and_saveexec_b32 s19, s18
	s_cbranch_execz .LBB296_26
; %bb.25:
	flat_load_ubyte v27, v[17:18] offset:352
.LBB296_26:
	s_or_b32 exec_lo, exec_lo, s19
	v_add_nc_u32_e32 v37, 0x180, v36
	v_cmp_lt_u32_e64 s19, v37, v226
	s_and_saveexec_b32 s20, s19
	s_cbranch_execz .LBB296_28
; %bb.27:
	flat_load_ubyte v1, v[17:18] offset:384
.LBB296_28:
	s_or_b32 exec_lo, exec_lo, s20
	v_add_nc_u32_e32 v37, 0x1a0, v36
	v_cmp_lt_u32_e64 s20, v37, v226
	s_and_saveexec_b32 s21, s20
	s_cbranch_execz .LBB296_30
; %bb.29:
	flat_load_ubyte v28, v[17:18] offset:416
.LBB296_30:
	s_or_b32 exec_lo, exec_lo, s21
	v_add_nc_u32_e32 v37, 0x1c0, v36
	v_cmp_lt_u32_e64 s21, v37, v226
	s_and_saveexec_b32 s22, s21
	s_cbranch_execz .LBB296_32
; %bb.31:
	flat_load_ubyte v29, v[17:18] offset:448
.LBB296_32:
	s_or_b32 exec_lo, exec_lo, s22
	v_add_nc_u32_e32 v37, 0x1e0, v36
	v_cmp_lt_u32_e64 s22, v37, v226
	s_and_saveexec_b32 s23, s22
	s_cbranch_execz .LBB296_34
; %bb.33:
	flat_load_ubyte v35, v[17:18] offset:480
.LBB296_34:
	s_or_b32 exec_lo, exec_lo, s23
	v_add_nc_u32_e32 v36, 0x200, v36
	v_cmp_lt_u32_e64 s23, v36, v226
	s_and_saveexec_b32 s24, s23
	s_cbranch_execz .LBB296_36
; %bb.35:
	flat_load_ubyte v19, v[17:18] offset:512
.LBB296_36:
	s_or_b32 exec_lo, exec_lo, s24
	v_lshlrev_b64 v[37:38], 3, v[8:9]
	v_lshlrev_b32_e32 v9, 3, v30
                                        ; implicit-def: $vgpr82_vgpr83
	v_add_co_u32 v17, s24, v4, v37
	v_add_co_ci_u32_e64 v18, null, v5, v38, s24
	v_lshlrev_b64 v[4:5], 3, v[15:16]
	v_add_co_u32 v9, s24, v17, v9
	v_add_co_ci_u32_e64 v15, null, 0, v18, s24
	v_add_co_u32 v4, s24, v9, v4
	v_add_co_ci_u32_e64 v5, null, v15, v5, s24
	s_and_saveexec_b32 s24, vcc_lo
	s_cbranch_execnz .LBB296_204
; %bb.37:
	s_or_b32 exec_lo, exec_lo, s24
                                        ; implicit-def: $vgpr84_vgpr85
	s_and_saveexec_b32 s24, s4
	s_cbranch_execnz .LBB296_205
.LBB296_38:
	s_or_b32 exec_lo, exec_lo, s24
                                        ; implicit-def: $vgpr86_vgpr87
	s_and_saveexec_b32 s4, s5
	s_cbranch_execnz .LBB296_206
.LBB296_39:
	s_or_b32 exec_lo, exec_lo, s4
                                        ; implicit-def: $vgpr96_vgpr97
	s_and_saveexec_b32 s4, s6
	s_cbranch_execnz .LBB296_207
.LBB296_40:
	s_or_b32 exec_lo, exec_lo, s4
                                        ; implicit-def: $vgpr98_vgpr99
	s_and_saveexec_b32 s4, s7
	s_cbranch_execnz .LBB296_208
.LBB296_41:
	s_or_b32 exec_lo, exec_lo, s4
                                        ; implicit-def: $vgpr100_vgpr101
	s_and_saveexec_b32 s4, s10
	s_cbranch_execnz .LBB296_209
.LBB296_42:
	s_or_b32 exec_lo, exec_lo, s4
                                        ; implicit-def: $vgpr102_vgpr103
	s_and_saveexec_b32 s4, s11
	s_cbranch_execnz .LBB296_210
.LBB296_43:
	s_or_b32 exec_lo, exec_lo, s4
                                        ; implicit-def: $vgpr112_vgpr113
	s_and_saveexec_b32 s4, s14
	s_cbranch_execnz .LBB296_211
.LBB296_44:
	s_or_b32 exec_lo, exec_lo, s4
                                        ; implicit-def: $vgpr114_vgpr115
	s_and_saveexec_b32 s4, s15
	s_cbranch_execnz .LBB296_212
.LBB296_45:
	s_or_b32 exec_lo, exec_lo, s4
                                        ; implicit-def: $vgpr116_vgpr117
	s_and_saveexec_b32 s4, s16
	s_cbranch_execnz .LBB296_213
.LBB296_46:
	s_or_b32 exec_lo, exec_lo, s4
                                        ; implicit-def: $vgpr130_vgpr131
	s_and_saveexec_b32 s4, s17
	s_cbranch_execnz .LBB296_214
.LBB296_47:
	s_or_b32 exec_lo, exec_lo, s4
                                        ; implicit-def: $vgpr134_vgpr135
	s_and_saveexec_b32 s4, s18
	s_cbranch_execnz .LBB296_215
.LBB296_48:
	s_or_b32 exec_lo, exec_lo, s4
                                        ; implicit-def: $vgpr146_vgpr147
	s_and_saveexec_b32 s4, s19
	s_cbranch_execnz .LBB296_216
.LBB296_49:
	s_or_b32 exec_lo, exec_lo, s4
                                        ; implicit-def: $vgpr118_vgpr119
	s_and_saveexec_b32 s4, s20
	s_cbranch_execnz .LBB296_217
.LBB296_50:
	s_or_b32 exec_lo, exec_lo, s4
                                        ; implicit-def: $vgpr128_vgpr129
	s_and_saveexec_b32 s4, s21
	s_cbranch_execnz .LBB296_218
.LBB296_51:
	s_or_b32 exec_lo, exec_lo, s4
                                        ; implicit-def: $vgpr132_vgpr133
	s_and_saveexec_b32 s4, s22
	s_cbranch_execnz .LBB296_219
.LBB296_52:
	s_or_b32 exec_lo, exec_lo, s4
                                        ; implicit-def: $vgpr144_vgpr145
	s_and_saveexec_b32 s4, s23
	s_cbranch_execz .LBB296_54
.LBB296_53:
	v_add_co_u32 v4, vcc_lo, 0x1000, v4
	v_add_co_ci_u32_e64 v5, null, 0, v5, vcc_lo
	flat_load_dwordx2 v[144:145], v[4:5]
.LBB296_54:
	s_or_b32 exec_lo, exec_lo, s4
	v_mov_b32_e32 v4, 0x7f
	s_waitcnt vmcnt(0) lgkmcnt(0)
	v_lshlrev_b16 v5, 8, v34
	v_xor_b32_e32 v17, 0x7f, v21
	v_mov_b32_e32 v21, 8
	v_xor_b32_e32 v18, 0x7f, v26
	v_xor_b32_sdwa v9, v31, v4 dst_sel:BYTE_1 dst_unused:UNUSED_PAD src0_sel:DWORD src1_sel:DWORD
	v_xor_b32_e32 v31, 0x7f00, v5
	v_lshlrev_b16 v5, 8, v35
	v_xor_b32_sdwa v20, v20, v4 dst_sel:BYTE_1 dst_unused:UNUSED_PAD src0_sel:DWORD src1_sel:DWORD
	v_xor_b32_sdwa v22, v22, v4 dst_sel:BYTE_1 dst_unused:UNUSED_PAD src0_sel:DWORD src1_sel:DWORD
	;; [unrolled: 1-line block ×5, first 2 shown]
	v_xor_b32_e32 v28, 0x7f00, v5
	v_lshl_add_u32 v5, v14, 5, v12
	v_xor_b32_e32 v26, 0x7f, v33
	v_lshrrev_b32_sdwa v33, v21, v9 dst_sel:BYTE_1 dst_unused:UNUSED_PAD src0_sel:DWORD src1_sel:DWORD
	v_xor_b32_e32 v35, 0x7f, v1
	v_lshrrev_b32_sdwa v34, v21, v4 dst_sel:BYTE_1 dst_unused:UNUSED_PAD src0_sel:DWORD src1_sel:DWORD
	v_add_nc_u32_e32 v1, 32, v5
	v_add_nc_u32_e32 v9, 36, v5
	;; [unrolled: 1-line block ×8, first 2 shown]
	v_and_b32_e32 v5, 0x3e0, v14
	v_xor_b32_e32 v90, 0x7f, v19
	v_and_b32_e32 v4, 15, v30
	v_sub_co_u32 v19, s6, v30, 1
	v_min_u32_e32 v15, 0xe0, v5
	s_getpc_b64 s[4:5]
	s_add_u32 s4, s4, _ZN7rocprim17ROCPRIM_400000_NS16block_radix_sortIaLj256ELj17ElLj1ELj1ELj8ELNS0_26block_radix_rank_algorithmE2ELNS0_18block_padding_hintE2ELNS0_4arch9wavefront6targetE0EE19radix_bits_per_passE@rel32@lo+4
	s_addc_u32 s5, s5, _ZN7rocprim17ROCPRIM_400000_NS16block_radix_sortIaLj256ELj17ElLj1ELj1ELj8ELNS0_26block_radix_rank_algorithmE2ELNS0_18block_padding_hintE2ELNS0_4arch9wavefront6targetE0EE19radix_bits_per_passE@rel32@hi+12
	v_cmp_eq_u32_e32 vcc_lo, 0, v4
	s_load_dword s22, s[4:5], 0x0
	v_cmp_lt_u32_e64 s4, 1, v4
	v_cmp_lt_u32_e64 s5, 3, v4
	v_and_b32_e32 v16, 16, v30
	v_cmp_lt_u32_e64 s7, 7, v4
	v_or_b32_e32 v4, 31, v15
	v_cmp_gt_i32_e64 s11, 0, v19
	v_lshrrev_b32_e32 v15, 3, v14
	v_cmp_eq_u32_e64 s10, 0, v16
	v_xor_b32_e32 v24, 0x7f, v24
	v_xor_b32_e32 v23, 0x7f, v23
	v_cndmask_b32_e64 v16, v19, v30, s11
	v_cmp_eq_u32_e64 s11, v14, v4
	v_mul_u32_u24_e32 v4, 17, v5
	v_and_b32_e32 v5, 0x7c, v15
	v_and_b32_e32 v19, 7, v30
	v_lshlrev_b32_e32 v240, 2, v16
	v_xor_b32_e32 v25, 0x7f, v25
	v_or_b32_e32 v15, v30, v4
	v_add_nc_u32_e32 v241, v12, v5
	v_cmp_lt_u32_e64 s18, 1, v19
	v_cmp_lt_u32_e64 s19, 3, v19
	v_xor_b32_e32 v29, 0x7f, v29
	v_add_co_u32 v4, s17, v12, v15
	v_add_co_ci_u32_e64 v5, null, 0, v13, s17
	v_cmp_eq_u32_e64 s17, 0, v19
	v_lshrrev_b32_sdwa v19, v21, v32 dst_sel:BYTE_1 dst_unused:UNUSED_PAD src0_sel:DWORD src1_sel:DWORD
	v_lshrrev_b32_e32 v231, 5, v0
	v_mad_u64_u32 v[15:16], null, v15, 7, v[4:5]
	v_lshrrev_b32_sdwa v16, v21, v20 dst_sel:BYTE_1 dst_unused:UNUSED_PAD src0_sel:DWORD src1_sel:DWORD
	v_or_b32_sdwa v20, v26, v31 dst_sel:WORD_1 dst_unused:UNUSED_PAD src0_sel:BYTE_0 src1_sel:DWORD
	v_perm_b32 v21, v25, v27, 0xc0c0104
	v_cmp_gt_u32_e64 s14, 8, v14
	v_cmp_lt_u32_e64 s15, 31, v14
	v_or_b32_sdwa v16, v17, v16 dst_sel:DWORD dst_unused:UNUSED_PAD src0_sel:BYTE_0 src1_sel:DWORD
	v_perm_b32 v17, v18, v22, 0xc0c0104
	v_or_b32_sdwa v18, v24, v19 dst_sel:DWORD dst_unused:UNUSED_PAD src0_sel:BYTE_0 src1_sel:DWORD
	v_or_b32_sdwa v19, v23, v33 dst_sel:DWORD dst_unused:UNUSED_PAD src0_sel:BYTE_0 src1_sel:DWORD
	;; [unrolled: 1-line block ×3, first 2 shown]
	v_and_b32_e32 v16, 0xffff, v16
	v_or_b32_sdwa v23, v29, v28 dst_sel:WORD_1 dst_unused:UNUSED_PAD src0_sel:BYTE_0 src1_sel:DWORD
	v_and_b32_e32 v18, 0xffff, v18
	v_cmp_eq_u32_e64 s16, 0, v14
	v_mov_b32_e32 v242, 0
	v_lshl_add_u32 v243, v14, 2, v12
	v_add_nc_u32_e32 v5, 0x180, v4
	v_add_nc_u32_e32 v244, 0x1a0, v4
	;; [unrolled: 1-line block ×21, first 2 shown]
	v_lshl_or_b32 v16, v17, 16, v16
	v_or_b32_sdwa v125, v19, v20 dst_sel:DWORD dst_unused:UNUSED_PAD src0_sel:WORD_0 src1_sel:DWORD
	v_lshl_or_b32 v126, v21, 16, v18
	v_or_b32_sdwa v127, v22, v23 dst_sel:DWORD dst_unused:UNUSED_PAD src0_sel:WORD_0 src1_sel:DWORD
	v_sub_nc_u32_e32 v72, v11, v10
	s_mov_b32 s23, 0
	s_waitcnt lgkmcnt(0)
	s_waitcnt_vscnt null, 0x0
	s_barrier
	buffer_gl0_inv
	s_branch .LBB296_56
.LBB296_55:                             ;   in Loop: Header=BB296_56 Depth=1
	s_or_b32 exec_lo, exec_lo, s21
	s_and_b32 s20, exec_lo, s24
	s_or_b32 s23, s20, s23
	s_andn2_b32 exec_lo, exec_lo, s23
	s_cbranch_execz .LBB296_98
.LBB296_56:                             ; =>This Inner Loop Header: Depth=1
	v_min_u32_e32 v17, s22, v72
	v_lshrrev_b32_sdwa v19, v10, v16 dst_sel:DWORD dst_unused:UNUSED_PAD src0_sel:DWORD src1_sel:BYTE_0
	v_mov_b32_e32 v52, v82
	v_mov_b32_e32 v53, v83
	;; [unrolled: 1-line block ×3, first 2 shown]
	v_lshlrev_b32_e64 v18, v17, -1
	v_mov_b32_e32 v51, v85
	v_mov_b32_e32 v54, v86
	;; [unrolled: 1-line block ×4, first 2 shown]
	v_not_b32_e32 v148, v18
	v_mov_b32_e32 v26, v100
	v_mov_b32_e32 v34, v102
	;; [unrolled: 1-line block ×4, first 2 shown]
	v_and_b32_e32 v82, v19, v148
	v_mov_b32_e32 v18, v116
	v_mov_b32_e32 v24, v130
	;; [unrolled: 1-line block ×4, first 2 shown]
	v_and_b32_e32 v48, 1, v82
	v_lshlrev_b32_e32 v66, 30, v82
	v_lshlrev_b32_e32 v69, 29, v82
	;; [unrolled: 1-line block ×4, first 2 shown]
	v_add_co_u32 v67, s20, v48, -1
	v_cndmask_b32_e64 v68, 0, 1, s20
	v_not_b32_e32 v71, v66
	v_cmp_gt_i32_e64 s21, 0, v66
	v_not_b32_e32 v66, v69
	v_not_b32_e32 v85, v81
	v_cmp_ne_u32_e64 s20, 0, v68
	v_ashrrev_i32_e32 v71, 31, v71
	v_lshlrev_b32_e32 v68, 27, v82
	v_ashrrev_i32_e32 v66, 31, v66
	v_ashrrev_i32_e32 v85, 31, v85
	v_xor_b32_e32 v67, s20, v67
	v_cmp_gt_i32_e64 s20, 0, v69
	v_not_b32_e32 v69, v70
	v_xor_b32_e32 v71, s21, v71
	v_cmp_gt_i32_e64 s21, 0, v70
	v_and_b32_e32 v67, exec_lo, v67
	v_not_b32_e32 v70, v68
	v_ashrrev_i32_e32 v69, 31, v69
	v_xor_b32_e32 v66, s20, v66
	v_cmp_gt_i32_e64 s20, 0, v68
	v_and_b32_e32 v67, v67, v71
	v_lshlrev_b32_e32 v71, 26, v82
	v_ashrrev_i32_e32 v68, 31, v70
	v_xor_b32_e32 v69, s21, v69
	v_lshlrev_b32_e32 v70, 25, v82
	v_and_b32_e32 v66, v67, v66
	v_not_b32_e32 v67, v71
	v_cmp_gt_i32_e64 s21, 0, v71
	v_xor_b32_e32 v68, s20, v68
	v_not_b32_e32 v80, v70
	v_and_b32_e32 v69, v66, v69
	v_ashrrev_i32_e32 v71, 31, v67
	v_cmp_gt_i32_e64 s20, 0, v70
	v_lshlrev_b32_e32 v82, 3, v82
	v_ashrrev_i32_e32 v80, 31, v80
	v_and_b32_e32 v83, v69, v68
	v_xor_b32_e32 v84, s21, v71
	v_mov_b32_e32 v48, v146
	v_mov_b32_e32 v66, v118
	;; [unrolled: 1-line block ×4, first 2 shown]
	v_and_b32_e32 v83, v83, v84
	v_xor_b32_e32 v84, s20, v80
	v_cmp_gt_i32_e64 s20, 0, v81
	v_mov_b32_e32 v80, v144
	v_mov_b32_e32 v65, v127
	;; [unrolled: 1-line block ×3, first 2 shown]
	v_and_b32_e32 v83, v83, v84
	v_xor_b32_e32 v84, s20, v85
	v_mov_b32_e32 v17, v125
	v_mov_b32_e32 v55, v87
	;; [unrolled: 1-line block ×4, first 2 shown]
	v_and_b32_e32 v84, v83, v84
	v_add_lshl_u32 v83, v82, v231, 2
	v_mov_b32_e32 v27, v101
	v_mov_b32_e32 v35, v103
	;; [unrolled: 1-line block ×3, first 2 shown]
	v_mbcnt_lo_u32_b32 v82, v84, 0
	v_add_co_u32 v83, null, v12, v83
	v_cmp_ne_u32_e64 s21, 0, v84
	v_mov_b32_e32 v21, v115
	v_cmp_eq_u32_e64 s20, 0, v82
	v_mov_b32_e32 v19, v117
	v_mov_b32_e32 v25, v131
	;; [unrolled: 1-line block ×8, first 2 shown]
	v_add_co_u32 v83, null, v83, 32
	s_and_b32 s21, s21, s20
	ds_write_b32 v1, v242
	ds_write_b32 v9, v242
	;; [unrolled: 1-line block ×8, first 2 shown]
	s_waitcnt lgkmcnt(0)
	s_barrier
	buffer_gl0_inv
	; wave barrier
	s_and_saveexec_b32 s20, s21
; %bb.57:                               ;   in Loop: Header=BB296_56 Depth=1
	v_bcnt_u32_b32 v84, v84, 0
	ds_write_b32 v83, v84
; %bb.58:                               ;   in Loop: Header=BB296_56 Depth=1
	s_or_b32 exec_lo, exec_lo, s20
	v_lshrrev_b32_sdwa v84, v10, v16 dst_sel:DWORD dst_unused:UNUSED_PAD src0_sel:DWORD src1_sel:BYTE_1
	; wave barrier
	v_and_b32_e32 v84, v84, v148
	v_and_b32_e32 v85, 1, v84
	v_lshlrev_b32_e32 v86, 30, v84
	v_lshlrev_b32_e32 v87, 29, v84
	;; [unrolled: 1-line block ×4, first 2 shown]
	v_add_co_u32 v85, s20, v85, -1
	v_cndmask_b32_e64 v97, 0, 1, s20
	v_not_b32_e32 v101, v86
	v_cmp_gt_i32_e64 s21, 0, v86
	v_not_b32_e32 v86, v87
	v_lshlrev_b32_e32 v99, 26, v84
	v_cmp_ne_u32_e64 s20, 0, v97
	v_ashrrev_i32_e32 v101, 31, v101
	v_lshlrev_b32_e32 v100, 25, v84
	v_ashrrev_i32_e32 v86, 31, v86
	v_lshlrev_b32_e32 v97, 24, v84
	v_xor_b32_e32 v85, s20, v85
	v_cmp_gt_i32_e64 s20, 0, v87
	v_not_b32_e32 v87, v96
	v_xor_b32_e32 v101, s21, v101
	v_cmp_gt_i32_e64 s21, 0, v96
	v_and_b32_e32 v85, exec_lo, v85
	v_not_b32_e32 v96, v98
	v_ashrrev_i32_e32 v87, 31, v87
	v_xor_b32_e32 v86, s20, v86
	v_cmp_gt_i32_e64 s20, 0, v98
	v_and_b32_e32 v85, v85, v101
	v_not_b32_e32 v98, v99
	v_ashrrev_i32_e32 v96, 31, v96
	v_xor_b32_e32 v87, s21, v87
	v_cmp_gt_i32_e64 s21, 0, v99
	v_and_b32_e32 v85, v85, v86
	;; [unrolled: 5-line block ×3, first 2 shown]
	v_not_b32_e32 v87, v97
	v_ashrrev_i32_e32 v86, 31, v86
	v_xor_b32_e32 v98, s21, v98
	v_lshl_add_u32 v84, v84, 3, v231
	v_and_b32_e32 v85, v85, v96
	v_cmp_gt_i32_e64 s21, 0, v97
	v_ashrrev_i32_e32 v87, 31, v87
	v_xor_b32_e32 v86, s20, v86
	v_lshl_add_u32 v96, v84, 2, v12
	v_and_b32_e32 v85, v85, v98
	v_xor_b32_e32 v87, s21, v87
	ds_read_b32 v84, v96 offset:32
	v_and_b32_e32 v85, v85, v86
	v_add_nc_u32_e32 v86, 32, v96
	; wave barrier
	v_and_b32_e32 v87, v85, v87
	v_mbcnt_lo_u32_b32 v85, v87, 0
	v_cmp_ne_u32_e64 s21, 0, v87
	v_cmp_eq_u32_e64 s20, 0, v85
	s_and_b32 s21, s21, s20
	s_and_saveexec_b32 s20, s21
	s_cbranch_execz .LBB296_60
; %bb.59:                               ;   in Loop: Header=BB296_56 Depth=1
	s_waitcnt lgkmcnt(0)
	v_bcnt_u32_b32 v87, v87, v84
	ds_write_b32 v86, v87
.LBB296_60:                             ;   in Loop: Header=BB296_56 Depth=1
	s_or_b32 exec_lo, exec_lo, s20
	v_lshrrev_b32_sdwa v87, v10, v16 dst_sel:DWORD dst_unused:UNUSED_PAD src0_sel:DWORD src1_sel:BYTE_2
	; wave barrier
	v_and_b32_e32 v87, v87, v148
	v_and_b32_e32 v96, 1, v87
	v_lshlrev_b32_e32 v97, 30, v87
	v_lshlrev_b32_e32 v98, 29, v87
	;; [unrolled: 1-line block ×4, first 2 shown]
	v_add_co_u32 v96, s20, v96, -1
	v_cndmask_b32_e64 v100, 0, 1, s20
	v_not_b32_e32 v112, v97
	v_cmp_gt_i32_e64 s21, 0, v97
	v_not_b32_e32 v97, v98
	v_lshlrev_b32_e32 v102, 26, v87
	v_cmp_ne_u32_e64 s20, 0, v100
	v_ashrrev_i32_e32 v112, 31, v112
	v_lshlrev_b32_e32 v103, 25, v87
	v_ashrrev_i32_e32 v97, 31, v97
	v_lshlrev_b32_e32 v100, 24, v87
	v_xor_b32_e32 v96, s20, v96
	v_cmp_gt_i32_e64 s20, 0, v98
	v_not_b32_e32 v98, v99
	v_xor_b32_e32 v112, s21, v112
	v_cmp_gt_i32_e64 s21, 0, v99
	v_and_b32_e32 v96, exec_lo, v96
	v_not_b32_e32 v99, v101
	v_ashrrev_i32_e32 v98, 31, v98
	v_xor_b32_e32 v97, s20, v97
	v_cmp_gt_i32_e64 s20, 0, v101
	v_and_b32_e32 v96, v96, v112
	v_not_b32_e32 v101, v102
	v_ashrrev_i32_e32 v99, 31, v99
	v_xor_b32_e32 v98, s21, v98
	v_cmp_gt_i32_e64 s21, 0, v102
	v_and_b32_e32 v96, v96, v97
	;; [unrolled: 5-line block ×3, first 2 shown]
	v_not_b32_e32 v98, v100
	v_ashrrev_i32_e32 v97, 31, v97
	v_xor_b32_e32 v101, s21, v101
	v_lshl_add_u32 v87, v87, 3, v231
	v_and_b32_e32 v96, v96, v99
	v_cmp_gt_i32_e64 s21, 0, v100
	v_ashrrev_i32_e32 v98, 31, v98
	v_xor_b32_e32 v97, s20, v97
	v_lshl_add_u32 v99, v87, 2, v12
	v_and_b32_e32 v96, v96, v101
	v_xor_b32_e32 v98, s21, v98
	ds_read_b32 v87, v99 offset:32
	v_and_b32_e32 v96, v96, v97
	v_add_nc_u32_e32 v97, 32, v99
	; wave barrier
	v_and_b32_e32 v98, v96, v98
	v_mbcnt_lo_u32_b32 v96, v98, 0
	v_cmp_ne_u32_e64 s21, 0, v98
	v_cmp_eq_u32_e64 s20, 0, v96
	s_and_b32 s21, s21, s20
	s_and_saveexec_b32 s20, s21
	s_cbranch_execz .LBB296_62
; %bb.61:                               ;   in Loop: Header=BB296_56 Depth=1
	s_waitcnt lgkmcnt(0)
	v_bcnt_u32_b32 v98, v98, v87
	ds_write_b32 v97, v98
.LBB296_62:                             ;   in Loop: Header=BB296_56 Depth=1
	s_or_b32 exec_lo, exec_lo, s20
	v_alignbit_b32 v98, v17, v16, 24
	; wave barrier
	v_lshrrev_b32_sdwa v98, v10, v98 dst_sel:DWORD dst_unused:UNUSED_PAD src0_sel:DWORD src1_sel:BYTE_0
	v_and_b32_e32 v98, v98, v148
	v_and_b32_e32 v99, 1, v98
	v_lshlrev_b32_e32 v100, 30, v98
	v_lshlrev_b32_e32 v101, 29, v98
	;; [unrolled: 1-line block ×4, first 2 shown]
	v_add_co_u32 v99, s20, v99, -1
	v_cndmask_b32_e64 v103, 0, 1, s20
	v_not_b32_e32 v115, v100
	v_cmp_gt_i32_e64 s21, 0, v100
	v_not_b32_e32 v100, v101
	v_lshlrev_b32_e32 v113, 26, v98
	v_cmp_ne_u32_e64 s20, 0, v103
	v_ashrrev_i32_e32 v115, 31, v115
	v_lshlrev_b32_e32 v114, 25, v98
	v_ashrrev_i32_e32 v100, 31, v100
	v_lshlrev_b32_e32 v103, 24, v98
	v_xor_b32_e32 v99, s20, v99
	v_cmp_gt_i32_e64 s20, 0, v101
	v_not_b32_e32 v101, v102
	v_xor_b32_e32 v115, s21, v115
	v_cmp_gt_i32_e64 s21, 0, v102
	v_and_b32_e32 v99, exec_lo, v99
	v_not_b32_e32 v102, v112
	v_ashrrev_i32_e32 v101, 31, v101
	v_xor_b32_e32 v100, s20, v100
	v_cmp_gt_i32_e64 s20, 0, v112
	v_and_b32_e32 v99, v99, v115
	v_not_b32_e32 v112, v113
	v_ashrrev_i32_e32 v102, 31, v102
	v_xor_b32_e32 v101, s21, v101
	v_cmp_gt_i32_e64 s21, 0, v113
	v_and_b32_e32 v99, v99, v100
	;; [unrolled: 5-line block ×3, first 2 shown]
	v_not_b32_e32 v101, v103
	v_ashrrev_i32_e32 v100, 31, v100
	v_xor_b32_e32 v112, s21, v112
	v_lshl_add_u32 v98, v98, 3, v231
	v_and_b32_e32 v99, v99, v102
	v_cmp_gt_i32_e64 s21, 0, v103
	v_ashrrev_i32_e32 v101, 31, v101
	v_xor_b32_e32 v100, s20, v100
	v_lshl_add_u32 v102, v98, 2, v12
	v_and_b32_e32 v99, v99, v112
	v_xor_b32_e32 v101, s21, v101
	ds_read_b32 v98, v102 offset:32
	v_and_b32_e32 v99, v99, v100
	v_add_nc_u32_e32 v100, 32, v102
	; wave barrier
	v_and_b32_e32 v101, v99, v101
	v_mbcnt_lo_u32_b32 v99, v101, 0
	v_cmp_ne_u32_e64 s21, 0, v101
	v_cmp_eq_u32_e64 s20, 0, v99
	s_and_b32 s21, s21, s20
	s_and_saveexec_b32 s20, s21
	s_cbranch_execz .LBB296_64
; %bb.63:                               ;   in Loop: Header=BB296_56 Depth=1
	s_waitcnt lgkmcnt(0)
	v_bcnt_u32_b32 v101, v101, v98
	ds_write_b32 v100, v101
.LBB296_64:                             ;   in Loop: Header=BB296_56 Depth=1
	s_or_b32 exec_lo, exec_lo, s20
	v_lshrrev_b32_sdwa v101, v10, v17 dst_sel:DWORD dst_unused:UNUSED_PAD src0_sel:DWORD src1_sel:BYTE_0
	; wave barrier
	v_and_b32_e32 v101, v101, v148
	v_and_b32_e32 v102, 1, v101
	v_lshlrev_b32_e32 v103, 30, v101
	v_lshlrev_b32_e32 v112, 29, v101
	;; [unrolled: 1-line block ×4, first 2 shown]
	v_add_co_u32 v102, s20, v102, -1
	v_cndmask_b32_e64 v114, 0, 1, s20
	v_not_b32_e32 v118, v103
	v_cmp_gt_i32_e64 s21, 0, v103
	v_not_b32_e32 v103, v112
	v_lshlrev_b32_e32 v116, 26, v101
	v_cmp_ne_u32_e64 s20, 0, v114
	v_ashrrev_i32_e32 v118, 31, v118
	v_lshlrev_b32_e32 v117, 25, v101
	v_ashrrev_i32_e32 v103, 31, v103
	v_lshlrev_b32_e32 v114, 24, v101
	v_xor_b32_e32 v102, s20, v102
	v_cmp_gt_i32_e64 s20, 0, v112
	v_not_b32_e32 v112, v113
	v_xor_b32_e32 v118, s21, v118
	v_cmp_gt_i32_e64 s21, 0, v113
	v_and_b32_e32 v102, exec_lo, v102
	v_not_b32_e32 v113, v115
	v_ashrrev_i32_e32 v112, 31, v112
	v_xor_b32_e32 v103, s20, v103
	v_cmp_gt_i32_e64 s20, 0, v115
	v_and_b32_e32 v102, v102, v118
	v_not_b32_e32 v115, v116
	v_ashrrev_i32_e32 v113, 31, v113
	v_xor_b32_e32 v112, s21, v112
	v_cmp_gt_i32_e64 s21, 0, v116
	v_and_b32_e32 v102, v102, v103
	;; [unrolled: 5-line block ×3, first 2 shown]
	v_not_b32_e32 v112, v114
	v_ashrrev_i32_e32 v103, 31, v103
	v_xor_b32_e32 v115, s21, v115
	v_lshl_add_u32 v101, v101, 3, v231
	v_and_b32_e32 v102, v102, v113
	v_cmp_gt_i32_e64 s21, 0, v114
	v_ashrrev_i32_e32 v112, 31, v112
	v_xor_b32_e32 v103, s20, v103
	v_lshl_add_u32 v113, v101, 2, v12
	v_and_b32_e32 v102, v102, v115
	v_xor_b32_e32 v112, s21, v112
	ds_read_b32 v101, v113 offset:32
	v_and_b32_e32 v102, v102, v103
	v_add_nc_u32_e32 v103, 32, v113
	; wave barrier
	v_and_b32_e32 v112, v102, v112
	v_mbcnt_lo_u32_b32 v102, v112, 0
	v_cmp_ne_u32_e64 s21, 0, v112
	v_cmp_eq_u32_e64 s20, 0, v102
	s_and_b32 s21, s21, s20
	s_and_saveexec_b32 s20, s21
	s_cbranch_execz .LBB296_66
; %bb.65:                               ;   in Loop: Header=BB296_56 Depth=1
	s_waitcnt lgkmcnt(0)
	v_bcnt_u32_b32 v112, v112, v101
	ds_write_b32 v103, v112
.LBB296_66:                             ;   in Loop: Header=BB296_56 Depth=1
	s_or_b32 exec_lo, exec_lo, s20
	v_lshrrev_b32_sdwa v112, v10, v17 dst_sel:DWORD dst_unused:UNUSED_PAD src0_sel:DWORD src1_sel:BYTE_1
	; wave barrier
	v_and_b32_e32 v112, v112, v148
	v_and_b32_e32 v113, 1, v112
	v_lshlrev_b32_e32 v114, 30, v112
	v_lshlrev_b32_e32 v115, 29, v112
	v_lshlrev_b32_e32 v116, 28, v112
	v_lshlrev_b32_e32 v118, 27, v112
	v_add_co_u32 v113, s20, v113, -1
	v_cndmask_b32_e64 v117, 0, 1, s20
	v_not_b32_e32 v129, v114
	v_cmp_gt_i32_e64 s21, 0, v114
	v_not_b32_e32 v114, v115
	v_lshlrev_b32_e32 v119, 26, v112
	v_cmp_ne_u32_e64 s20, 0, v117
	v_ashrrev_i32_e32 v129, 31, v129
	v_lshlrev_b32_e32 v128, 25, v112
	v_ashrrev_i32_e32 v114, 31, v114
	v_lshlrev_b32_e32 v117, 24, v112
	v_xor_b32_e32 v113, s20, v113
	v_cmp_gt_i32_e64 s20, 0, v115
	v_not_b32_e32 v115, v116
	v_xor_b32_e32 v129, s21, v129
	v_cmp_gt_i32_e64 s21, 0, v116
	v_and_b32_e32 v113, exec_lo, v113
	v_not_b32_e32 v116, v118
	v_ashrrev_i32_e32 v115, 31, v115
	v_xor_b32_e32 v114, s20, v114
	v_cmp_gt_i32_e64 s20, 0, v118
	v_and_b32_e32 v113, v113, v129
	v_not_b32_e32 v118, v119
	v_ashrrev_i32_e32 v116, 31, v116
	v_xor_b32_e32 v115, s21, v115
	v_cmp_gt_i32_e64 s21, 0, v119
	v_and_b32_e32 v113, v113, v114
	;; [unrolled: 5-line block ×3, first 2 shown]
	v_not_b32_e32 v115, v117
	v_ashrrev_i32_e32 v114, 31, v114
	v_xor_b32_e32 v118, s21, v118
	v_lshl_add_u32 v112, v112, 3, v231
	v_and_b32_e32 v113, v113, v116
	v_cmp_gt_i32_e64 s21, 0, v117
	v_ashrrev_i32_e32 v115, 31, v115
	v_xor_b32_e32 v114, s20, v114
	v_lshl_add_u32 v116, v112, 2, v12
	v_and_b32_e32 v113, v113, v118
	v_xor_b32_e32 v115, s21, v115
	ds_read_b32 v112, v116 offset:32
	v_and_b32_e32 v113, v113, v114
	v_add_nc_u32_e32 v114, 32, v116
	; wave barrier
	v_and_b32_e32 v115, v113, v115
	v_mbcnt_lo_u32_b32 v113, v115, 0
	v_cmp_ne_u32_e64 s21, 0, v115
	v_cmp_eq_u32_e64 s20, 0, v113
	s_and_b32 s21, s21, s20
	s_and_saveexec_b32 s20, s21
	s_cbranch_execz .LBB296_68
; %bb.67:                               ;   in Loop: Header=BB296_56 Depth=1
	s_waitcnt lgkmcnt(0)
	v_bcnt_u32_b32 v115, v115, v112
	ds_write_b32 v114, v115
.LBB296_68:                             ;   in Loop: Header=BB296_56 Depth=1
	s_or_b32 exec_lo, exec_lo, s20
	v_lshrrev_b32_sdwa v115, v10, v17 dst_sel:DWORD dst_unused:UNUSED_PAD src0_sel:DWORD src1_sel:BYTE_2
	; wave barrier
	v_and_b32_e32 v115, v115, v148
	v_and_b32_e32 v116, 1, v115
	v_lshlrev_b32_e32 v117, 30, v115
	v_lshlrev_b32_e32 v118, 29, v115
	;; [unrolled: 1-line block ×4, first 2 shown]
	v_add_co_u32 v116, s20, v116, -1
	v_cndmask_b32_e64 v128, 0, 1, s20
	v_not_b32_e32 v132, v117
	v_cmp_gt_i32_e64 s21, 0, v117
	v_not_b32_e32 v117, v118
	v_lshlrev_b32_e32 v130, 26, v115
	v_cmp_ne_u32_e64 s20, 0, v128
	v_ashrrev_i32_e32 v132, 31, v132
	v_lshlrev_b32_e32 v131, 25, v115
	v_ashrrev_i32_e32 v117, 31, v117
	v_lshlrev_b32_e32 v128, 24, v115
	v_xor_b32_e32 v116, s20, v116
	v_cmp_gt_i32_e64 s20, 0, v118
	v_not_b32_e32 v118, v119
	v_xor_b32_e32 v132, s21, v132
	v_cmp_gt_i32_e64 s21, 0, v119
	v_and_b32_e32 v116, exec_lo, v116
	v_not_b32_e32 v119, v129
	v_ashrrev_i32_e32 v118, 31, v118
	v_xor_b32_e32 v117, s20, v117
	v_cmp_gt_i32_e64 s20, 0, v129
	v_and_b32_e32 v116, v116, v132
	v_not_b32_e32 v129, v130
	v_ashrrev_i32_e32 v119, 31, v119
	v_xor_b32_e32 v118, s21, v118
	v_cmp_gt_i32_e64 s21, 0, v130
	v_and_b32_e32 v116, v116, v117
	;; [unrolled: 5-line block ×3, first 2 shown]
	v_not_b32_e32 v118, v128
	v_ashrrev_i32_e32 v117, 31, v117
	v_xor_b32_e32 v129, s21, v129
	v_lshl_add_u32 v115, v115, 3, v231
	v_and_b32_e32 v116, v116, v119
	v_cmp_gt_i32_e64 s21, 0, v128
	v_ashrrev_i32_e32 v118, 31, v118
	v_xor_b32_e32 v117, s20, v117
	v_lshl_add_u32 v119, v115, 2, v12
	v_and_b32_e32 v116, v116, v129
	v_xor_b32_e32 v118, s21, v118
	ds_read_b32 v115, v119 offset:32
	v_and_b32_e32 v116, v116, v117
	v_add_nc_u32_e32 v117, 32, v119
	; wave barrier
	v_and_b32_e32 v118, v116, v118
	v_mbcnt_lo_u32_b32 v116, v118, 0
	v_cmp_ne_u32_e64 s21, 0, v118
	v_cmp_eq_u32_e64 s20, 0, v116
	s_and_b32 s21, s21, s20
	s_and_saveexec_b32 s20, s21
	s_cbranch_execz .LBB296_70
; %bb.69:                               ;   in Loop: Header=BB296_56 Depth=1
	s_waitcnt lgkmcnt(0)
	v_bcnt_u32_b32 v118, v118, v115
	ds_write_b32 v117, v118
.LBB296_70:                             ;   in Loop: Header=BB296_56 Depth=1
	s_or_b32 exec_lo, exec_lo, s20
	v_lshrrev_b32_e32 v74, 24, v17
	; wave barrier
	v_lshrrev_b32_e32 v118, v10, v74
	v_and_b32_e32 v118, v118, v148
	v_and_b32_e32 v119, 1, v118
	v_lshlrev_b32_e32 v128, 30, v118
	v_lshlrev_b32_e32 v129, 29, v118
	;; [unrolled: 1-line block ×4, first 2 shown]
	v_add_co_u32 v119, s20, v119, -1
	v_cndmask_b32_e64 v131, 0, 1, s20
	v_not_b32_e32 v135, v128
	v_cmp_gt_i32_e64 s21, 0, v128
	v_not_b32_e32 v128, v129
	v_lshlrev_b32_e32 v133, 26, v118
	v_cmp_ne_u32_e64 s20, 0, v131
	v_ashrrev_i32_e32 v135, 31, v135
	v_lshlrev_b32_e32 v134, 25, v118
	v_ashrrev_i32_e32 v128, 31, v128
	v_lshlrev_b32_e32 v131, 24, v118
	v_xor_b32_e32 v119, s20, v119
	v_cmp_gt_i32_e64 s20, 0, v129
	v_not_b32_e32 v129, v130
	v_xor_b32_e32 v135, s21, v135
	v_cmp_gt_i32_e64 s21, 0, v130
	v_and_b32_e32 v119, exec_lo, v119
	v_not_b32_e32 v130, v132
	v_ashrrev_i32_e32 v129, 31, v129
	v_xor_b32_e32 v128, s20, v128
	v_cmp_gt_i32_e64 s20, 0, v132
	v_and_b32_e32 v119, v119, v135
	v_not_b32_e32 v132, v133
	v_ashrrev_i32_e32 v130, 31, v130
	v_xor_b32_e32 v129, s21, v129
	v_cmp_gt_i32_e64 s21, 0, v133
	v_and_b32_e32 v119, v119, v128
	;; [unrolled: 5-line block ×3, first 2 shown]
	v_not_b32_e32 v129, v131
	v_ashrrev_i32_e32 v128, 31, v128
	v_xor_b32_e32 v132, s21, v132
	v_lshl_add_u32 v118, v118, 3, v231
	v_and_b32_e32 v119, v119, v130
	v_cmp_gt_i32_e64 s21, 0, v131
	v_ashrrev_i32_e32 v129, 31, v129
	v_xor_b32_e32 v128, s20, v128
	v_lshl_add_u32 v130, v118, 2, v12
	v_and_b32_e32 v119, v119, v132
	v_xor_b32_e32 v129, s21, v129
	ds_read_b32 v118, v130 offset:32
	v_and_b32_e32 v119, v119, v128
	v_add_nc_u32_e32 v128, 32, v130
	; wave barrier
	v_and_b32_e32 v129, v119, v129
	v_mbcnt_lo_u32_b32 v119, v129, 0
	v_cmp_ne_u32_e64 s21, 0, v129
	v_cmp_eq_u32_e64 s20, 0, v119
	s_and_b32 s21, s21, s20
	s_and_saveexec_b32 s20, s21
	s_cbranch_execz .LBB296_72
; %bb.71:                               ;   in Loop: Header=BB296_56 Depth=1
	s_waitcnt lgkmcnt(0)
	v_bcnt_u32_b32 v129, v129, v118
	ds_write_b32 v128, v129
.LBB296_72:                             ;   in Loop: Header=BB296_56 Depth=1
	s_or_b32 exec_lo, exec_lo, s20
	v_lshrrev_b32_sdwa v129, v10, v64 dst_sel:DWORD dst_unused:UNUSED_PAD src0_sel:DWORD src1_sel:BYTE_0
	; wave barrier
	v_and_b32_e32 v129, v129, v148
	v_and_b32_e32 v130, 1, v129
	v_lshlrev_b32_e32 v131, 30, v129
	v_lshlrev_b32_e32 v132, 29, v129
	v_lshlrev_b32_e32 v133, 28, v129
	v_lshlrev_b32_e32 v135, 27, v129
	v_add_co_u32 v130, s20, v130, -1
	v_cndmask_b32_e64 v134, 0, 1, s20
	v_not_b32_e32 v146, v131
	v_cmp_gt_i32_e64 s21, 0, v131
	v_not_b32_e32 v131, v132
	v_lshlrev_b32_e32 v144, 26, v129
	v_cmp_ne_u32_e64 s20, 0, v134
	v_ashrrev_i32_e32 v146, 31, v146
	v_lshlrev_b32_e32 v145, 25, v129
	v_ashrrev_i32_e32 v131, 31, v131
	v_lshlrev_b32_e32 v134, 24, v129
	v_xor_b32_e32 v130, s20, v130
	v_cmp_gt_i32_e64 s20, 0, v132
	v_not_b32_e32 v132, v133
	v_xor_b32_e32 v146, s21, v146
	v_cmp_gt_i32_e64 s21, 0, v133
	v_and_b32_e32 v130, exec_lo, v130
	v_not_b32_e32 v133, v135
	v_ashrrev_i32_e32 v132, 31, v132
	v_xor_b32_e32 v131, s20, v131
	v_cmp_gt_i32_e64 s20, 0, v135
	v_and_b32_e32 v130, v130, v146
	v_not_b32_e32 v135, v144
	v_ashrrev_i32_e32 v133, 31, v133
	v_xor_b32_e32 v132, s21, v132
	v_cmp_gt_i32_e64 s21, 0, v144
	v_and_b32_e32 v130, v130, v131
	;; [unrolled: 5-line block ×3, first 2 shown]
	v_not_b32_e32 v132, v134
	v_ashrrev_i32_e32 v131, 31, v131
	v_xor_b32_e32 v135, s21, v135
	v_lshl_add_u32 v129, v129, 3, v231
	v_and_b32_e32 v130, v130, v133
	v_cmp_gt_i32_e64 s21, 0, v134
	v_ashrrev_i32_e32 v132, 31, v132
	v_xor_b32_e32 v131, s20, v131
	v_lshl_add_u32 v133, v129, 2, v12
	v_and_b32_e32 v130, v130, v135
	v_xor_b32_e32 v132, s21, v132
	ds_read_b32 v129, v133 offset:32
	v_and_b32_e32 v130, v130, v131
	v_add_nc_u32_e32 v131, 32, v133
	; wave barrier
	v_and_b32_e32 v132, v130, v132
	v_mbcnt_lo_u32_b32 v130, v132, 0
	v_cmp_ne_u32_e64 s21, 0, v132
	v_cmp_eq_u32_e64 s20, 0, v130
	s_and_b32 s21, s21, s20
	s_and_saveexec_b32 s20, s21
	s_cbranch_execz .LBB296_74
; %bb.73:                               ;   in Loop: Header=BB296_56 Depth=1
	s_waitcnt lgkmcnt(0)
	v_bcnt_u32_b32 v132, v132, v129
	ds_write_b32 v131, v132
.LBB296_74:                             ;   in Loop: Header=BB296_56 Depth=1
	s_or_b32 exec_lo, exec_lo, s20
	v_lshrrev_b32_sdwa v132, v10, v64 dst_sel:DWORD dst_unused:UNUSED_PAD src0_sel:DWORD src1_sel:BYTE_1
	; wave barrier
	v_and_b32_e32 v132, v132, v148
	v_and_b32_e32 v133, 1, v132
	v_lshlrev_b32_e32 v134, 30, v132
	v_lshlrev_b32_e32 v135, 29, v132
	v_lshlrev_b32_e32 v144, 28, v132
	v_lshlrev_b32_e32 v146, 27, v132
	v_add_co_u32 v133, s20, v133, -1
	v_cndmask_b32_e64 v145, 0, 1, s20
	v_not_b32_e32 v150, v134
	v_cmp_gt_i32_e64 s21, 0, v134
	v_not_b32_e32 v134, v135
	v_lshlrev_b32_e32 v147, 26, v132
	v_cmp_ne_u32_e64 s20, 0, v145
	v_ashrrev_i32_e32 v150, 31, v150
	v_lshlrev_b32_e32 v149, 25, v132
	v_ashrrev_i32_e32 v134, 31, v134
	v_lshlrev_b32_e32 v145, 24, v132
	v_xor_b32_e32 v133, s20, v133
	v_cmp_gt_i32_e64 s20, 0, v135
	v_not_b32_e32 v135, v144
	v_xor_b32_e32 v150, s21, v150
	v_cmp_gt_i32_e64 s21, 0, v144
	v_and_b32_e32 v133, exec_lo, v133
	v_not_b32_e32 v144, v146
	v_ashrrev_i32_e32 v135, 31, v135
	v_xor_b32_e32 v134, s20, v134
	v_cmp_gt_i32_e64 s20, 0, v146
	v_and_b32_e32 v133, v133, v150
	v_not_b32_e32 v146, v147
	v_ashrrev_i32_e32 v144, 31, v144
	v_xor_b32_e32 v135, s21, v135
	v_cmp_gt_i32_e64 s21, 0, v147
	v_and_b32_e32 v133, v133, v134
	;; [unrolled: 5-line block ×3, first 2 shown]
	v_not_b32_e32 v135, v145
	v_ashrrev_i32_e32 v134, 31, v134
	v_xor_b32_e32 v146, s21, v146
	v_lshl_add_u32 v132, v132, 3, v231
	v_and_b32_e32 v133, v133, v144
	v_cmp_gt_i32_e64 s21, 0, v145
	v_ashrrev_i32_e32 v135, 31, v135
	v_xor_b32_e32 v134, s20, v134
	v_lshl_add_u32 v144, v132, 2, v12
	v_and_b32_e32 v133, v133, v146
	v_xor_b32_e32 v135, s21, v135
	ds_read_b32 v132, v144 offset:32
	v_and_b32_e32 v133, v133, v134
	v_add_nc_u32_e32 v134, 32, v144
	; wave barrier
	v_and_b32_e32 v135, v133, v135
	v_mbcnt_lo_u32_b32 v133, v135, 0
	v_cmp_ne_u32_e64 s21, 0, v135
	v_cmp_eq_u32_e64 s20, 0, v133
	s_and_b32 s21, s21, s20
	s_and_saveexec_b32 s20, s21
	s_cbranch_execz .LBB296_76
; %bb.75:                               ;   in Loop: Header=BB296_56 Depth=1
	s_waitcnt lgkmcnt(0)
	v_bcnt_u32_b32 v135, v135, v132
	ds_write_b32 v134, v135
.LBB296_76:                             ;   in Loop: Header=BB296_56 Depth=1
	s_or_b32 exec_lo, exec_lo, s20
	v_lshrrev_b32_sdwa v135, v10, v64 dst_sel:DWORD dst_unused:UNUSED_PAD src0_sel:DWORD src1_sel:BYTE_2
	; wave barrier
	v_and_b32_e32 v135, v135, v148
	v_and_b32_e32 v144, 1, v135
	v_lshlrev_b32_e32 v145, 30, v135
	v_lshlrev_b32_e32 v146, 29, v135
	;; [unrolled: 1-line block ×4, first 2 shown]
	v_add_co_u32 v144, s20, v144, -1
	v_cndmask_b32_e64 v149, 0, 1, s20
	v_not_b32_e32 v161, v145
	v_cmp_gt_i32_e64 s21, 0, v145
	v_not_b32_e32 v145, v146
	v_lshlrev_b32_e32 v151, 26, v135
	v_cmp_ne_u32_e64 s20, 0, v149
	v_ashrrev_i32_e32 v161, 31, v161
	v_lshlrev_b32_e32 v160, 25, v135
	v_ashrrev_i32_e32 v145, 31, v145
	v_lshlrev_b32_e32 v149, 24, v135
	v_xor_b32_e32 v144, s20, v144
	v_cmp_gt_i32_e64 s20, 0, v146
	v_not_b32_e32 v146, v147
	v_xor_b32_e32 v161, s21, v161
	v_cmp_gt_i32_e64 s21, 0, v147
	v_and_b32_e32 v144, exec_lo, v144
	v_not_b32_e32 v147, v150
	v_ashrrev_i32_e32 v146, 31, v146
	v_xor_b32_e32 v145, s20, v145
	v_cmp_gt_i32_e64 s20, 0, v150
	v_and_b32_e32 v144, v144, v161
	v_not_b32_e32 v150, v151
	v_ashrrev_i32_e32 v147, 31, v147
	v_xor_b32_e32 v146, s21, v146
	v_cmp_gt_i32_e64 s21, 0, v151
	v_and_b32_e32 v144, v144, v145
	;; [unrolled: 5-line block ×3, first 2 shown]
	v_not_b32_e32 v146, v149
	v_ashrrev_i32_e32 v145, 31, v145
	v_xor_b32_e32 v150, s21, v150
	v_lshl_add_u32 v135, v135, 3, v231
	v_and_b32_e32 v144, v144, v147
	v_cmp_gt_i32_e64 s21, 0, v149
	v_ashrrev_i32_e32 v146, 31, v146
	v_xor_b32_e32 v145, s20, v145
	v_lshl_add_u32 v147, v135, 2, v12
	v_and_b32_e32 v144, v144, v150
	v_xor_b32_e32 v146, s21, v146
	ds_read_b32 v135, v147 offset:32
	v_and_b32_e32 v144, v144, v145
	v_add_nc_u32_e32 v145, 32, v147
	; wave barrier
	v_and_b32_e32 v146, v144, v146
	v_mbcnt_lo_u32_b32 v144, v146, 0
	v_cmp_ne_u32_e64 s21, 0, v146
	v_cmp_eq_u32_e64 s20, 0, v144
	s_and_b32 s21, s21, s20
	s_and_saveexec_b32 s20, s21
	s_cbranch_execz .LBB296_78
; %bb.77:                               ;   in Loop: Header=BB296_56 Depth=1
	s_waitcnt lgkmcnt(0)
	v_bcnt_u32_b32 v146, v146, v135
	ds_write_b32 v145, v146
.LBB296_78:                             ;   in Loop: Header=BB296_56 Depth=1
	s_or_b32 exec_lo, exec_lo, s20
	v_alignbit_b32 v146, v65, v64, 24
	; wave barrier
	v_lshrrev_b32_sdwa v146, v10, v146 dst_sel:DWORD dst_unused:UNUSED_PAD src0_sel:DWORD src1_sel:BYTE_0
	v_and_b32_e32 v146, v146, v148
	v_and_b32_e32 v147, 1, v146
	v_lshlrev_b32_e32 v149, 30, v146
	v_lshlrev_b32_e32 v150, 29, v146
	;; [unrolled: 1-line block ×4, first 2 shown]
	v_add_co_u32 v147, s20, v147, -1
	v_cndmask_b32_e64 v160, 0, 1, s20
	v_not_b32_e32 v164, v149
	v_cmp_gt_i32_e64 s21, 0, v149
	v_not_b32_e32 v149, v150
	v_lshlrev_b32_e32 v162, 26, v146
	v_cmp_ne_u32_e64 s20, 0, v160
	v_ashrrev_i32_e32 v164, 31, v164
	v_lshlrev_b32_e32 v163, 25, v146
	v_ashrrev_i32_e32 v149, 31, v149
	v_lshlrev_b32_e32 v160, 24, v146
	v_xor_b32_e32 v147, s20, v147
	v_cmp_gt_i32_e64 s20, 0, v150
	v_not_b32_e32 v150, v151
	v_xor_b32_e32 v164, s21, v164
	v_cmp_gt_i32_e64 s21, 0, v151
	v_and_b32_e32 v147, exec_lo, v147
	v_not_b32_e32 v151, v161
	v_ashrrev_i32_e32 v150, 31, v150
	v_xor_b32_e32 v149, s20, v149
	v_cmp_gt_i32_e64 s20, 0, v161
	v_and_b32_e32 v147, v147, v164
	v_not_b32_e32 v161, v162
	v_ashrrev_i32_e32 v151, 31, v151
	v_xor_b32_e32 v150, s21, v150
	v_cmp_gt_i32_e64 s21, 0, v162
	v_and_b32_e32 v147, v147, v149
	;; [unrolled: 5-line block ×3, first 2 shown]
	v_not_b32_e32 v150, v160
	v_ashrrev_i32_e32 v149, 31, v149
	v_xor_b32_e32 v161, s21, v161
	v_lshl_add_u32 v146, v146, 3, v231
	v_and_b32_e32 v147, v147, v151
	v_cmp_gt_i32_e64 s21, 0, v160
	v_ashrrev_i32_e32 v150, 31, v150
	v_xor_b32_e32 v149, s20, v149
	v_lshl_add_u32 v151, v146, 2, v12
	v_and_b32_e32 v147, v147, v161
	v_xor_b32_e32 v150, s21, v150
	ds_read_b32 v146, v151 offset:32
	v_and_b32_e32 v147, v147, v149
	v_add_nc_u32_e32 v160, 32, v151
	; wave barrier
	v_and_b32_e32 v149, v147, v150
	v_mbcnt_lo_u32_b32 v147, v149, 0
	v_cmp_ne_u32_e64 s21, 0, v149
	v_cmp_eq_u32_e64 s20, 0, v147
	s_and_b32 s21, s21, s20
	s_and_saveexec_b32 s20, s21
	s_cbranch_execz .LBB296_80
; %bb.79:                               ;   in Loop: Header=BB296_56 Depth=1
	s_waitcnt lgkmcnt(0)
	v_bcnt_u32_b32 v149, v149, v146
	ds_write_b32 v160, v149
.LBB296_80:                             ;   in Loop: Header=BB296_56 Depth=1
	s_or_b32 exec_lo, exec_lo, s20
	v_lshrrev_b32_sdwa v149, v10, v65 dst_sel:DWORD dst_unused:UNUSED_PAD src0_sel:DWORD src1_sel:BYTE_0
	; wave barrier
	v_and_b32_e32 v149, v149, v148
	v_and_b32_e32 v150, 1, v149
	v_lshlrev_b32_e32 v151, 30, v149
	v_lshlrev_b32_e32 v161, 29, v149
	;; [unrolled: 1-line block ×4, first 2 shown]
	v_add_co_u32 v150, s20, v150, -1
	v_cndmask_b32_e64 v163, 0, 1, s20
	v_not_b32_e32 v167, v151
	v_cmp_gt_i32_e64 s21, 0, v151
	v_not_b32_e32 v151, v161
	v_lshlrev_b32_e32 v165, 26, v149
	v_cmp_ne_u32_e64 s20, 0, v163
	v_ashrrev_i32_e32 v167, 31, v167
	v_lshlrev_b32_e32 v166, 25, v149
	v_ashrrev_i32_e32 v151, 31, v151
	v_lshlrev_b32_e32 v163, 24, v149
	v_xor_b32_e32 v150, s20, v150
	v_cmp_gt_i32_e64 s20, 0, v161
	v_not_b32_e32 v161, v162
	v_xor_b32_e32 v167, s21, v167
	v_cmp_gt_i32_e64 s21, 0, v162
	v_and_b32_e32 v150, exec_lo, v150
	v_not_b32_e32 v162, v164
	v_ashrrev_i32_e32 v161, 31, v161
	v_xor_b32_e32 v151, s20, v151
	v_cmp_gt_i32_e64 s20, 0, v164
	v_and_b32_e32 v150, v150, v167
	v_not_b32_e32 v164, v165
	v_ashrrev_i32_e32 v162, 31, v162
	v_xor_b32_e32 v161, s21, v161
	v_cmp_gt_i32_e64 s21, 0, v165
	v_and_b32_e32 v150, v150, v151
	;; [unrolled: 5-line block ×3, first 2 shown]
	v_not_b32_e32 v161, v163
	v_ashrrev_i32_e32 v151, 31, v151
	v_xor_b32_e32 v164, s21, v164
	v_lshl_add_u32 v149, v149, 3, v231
	v_and_b32_e32 v150, v150, v162
	v_cmp_gt_i32_e64 s21, 0, v163
	v_ashrrev_i32_e32 v161, 31, v161
	v_xor_b32_e32 v151, s20, v151
	v_lshl_add_u32 v163, v149, 2, v12
	v_and_b32_e32 v150, v150, v164
	v_xor_b32_e32 v149, s21, v161
	ds_read_b32 v161, v163 offset:32
	v_and_b32_e32 v150, v150, v151
	v_add_nc_u32_e32 v163, 32, v163
	; wave barrier
	v_and_b32_e32 v149, v150, v149
	v_mbcnt_lo_u32_b32 v162, v149, 0
	v_cmp_ne_u32_e64 s21, 0, v149
	v_cmp_eq_u32_e64 s20, 0, v162
	s_and_b32 s21, s21, s20
	s_and_saveexec_b32 s20, s21
	s_cbranch_execz .LBB296_82
; %bb.81:                               ;   in Loop: Header=BB296_56 Depth=1
	s_waitcnt lgkmcnt(0)
	v_bcnt_u32_b32 v149, v149, v161
	ds_write_b32 v163, v149
.LBB296_82:                             ;   in Loop: Header=BB296_56 Depth=1
	s_or_b32 exec_lo, exec_lo, s20
	v_lshrrev_b32_sdwa v149, v10, v65 dst_sel:DWORD dst_unused:UNUSED_PAD src0_sel:DWORD src1_sel:BYTE_1
	; wave barrier
	v_and_b32_e32 v149, v149, v148
	v_and_b32_e32 v150, 1, v149
	v_lshlrev_b32_e32 v151, 30, v149
	v_lshlrev_b32_e32 v164, 29, v149
	;; [unrolled: 1-line block ×4, first 2 shown]
	v_add_co_u32 v150, s20, v150, -1
	v_cndmask_b32_e64 v166, 0, 1, s20
	v_not_b32_e32 v178, v151
	v_cmp_gt_i32_e64 s21, 0, v151
	v_not_b32_e32 v151, v164
	v_lshlrev_b32_e32 v176, 26, v149
	v_cmp_ne_u32_e64 s20, 0, v166
	v_ashrrev_i32_e32 v178, 31, v178
	v_lshlrev_b32_e32 v177, 25, v149
	v_ashrrev_i32_e32 v151, 31, v151
	v_lshlrev_b32_e32 v166, 24, v149
	v_xor_b32_e32 v150, s20, v150
	v_cmp_gt_i32_e64 s20, 0, v164
	v_not_b32_e32 v164, v165
	v_xor_b32_e32 v178, s21, v178
	v_cmp_gt_i32_e64 s21, 0, v165
	v_and_b32_e32 v150, exec_lo, v150
	v_not_b32_e32 v165, v167
	v_ashrrev_i32_e32 v164, 31, v164
	v_xor_b32_e32 v151, s20, v151
	v_cmp_gt_i32_e64 s20, 0, v167
	v_and_b32_e32 v150, v150, v178
	v_not_b32_e32 v167, v176
	v_ashrrev_i32_e32 v165, 31, v165
	v_xor_b32_e32 v164, s21, v164
	v_cmp_gt_i32_e64 s21, 0, v176
	v_and_b32_e32 v150, v150, v151
	;; [unrolled: 5-line block ×3, first 2 shown]
	v_not_b32_e32 v164, v166
	v_ashrrev_i32_e32 v151, 31, v151
	v_xor_b32_e32 v167, s21, v167
	v_lshl_add_u32 v149, v149, 3, v231
	v_and_b32_e32 v150, v150, v165
	v_cmp_gt_i32_e64 s21, 0, v166
	v_ashrrev_i32_e32 v164, 31, v164
	v_xor_b32_e32 v151, s20, v151
	v_lshl_add_u32 v166, v149, 2, v12
	v_and_b32_e32 v150, v150, v167
	v_xor_b32_e32 v149, s21, v164
	ds_read_b32 v164, v166 offset:32
	v_and_b32_e32 v150, v150, v151
	v_add_nc_u32_e32 v166, 32, v166
	; wave barrier
	v_and_b32_e32 v149, v150, v149
	v_mbcnt_lo_u32_b32 v165, v149, 0
	v_cmp_ne_u32_e64 s21, 0, v149
	v_cmp_eq_u32_e64 s20, 0, v165
	s_and_b32 s21, s21, s20
	s_and_saveexec_b32 s20, s21
	s_cbranch_execz .LBB296_84
; %bb.83:                               ;   in Loop: Header=BB296_56 Depth=1
	s_waitcnt lgkmcnt(0)
	v_bcnt_u32_b32 v149, v149, v164
	ds_write_b32 v166, v149
.LBB296_84:                             ;   in Loop: Header=BB296_56 Depth=1
	s_or_b32 exec_lo, exec_lo, s20
	v_lshrrev_b32_sdwa v149, v10, v65 dst_sel:DWORD dst_unused:UNUSED_PAD src0_sel:DWORD src1_sel:BYTE_2
	; wave barrier
	v_and_b32_e32 v149, v149, v148
	v_and_b32_e32 v150, 1, v149
	v_lshlrev_b32_e32 v151, 30, v149
	v_lshlrev_b32_e32 v167, 29, v149
	;; [unrolled: 1-line block ×4, first 2 shown]
	v_add_co_u32 v150, s20, v150, -1
	v_cndmask_b32_e64 v177, 0, 1, s20
	v_not_b32_e32 v181, v151
	v_cmp_gt_i32_e64 s21, 0, v151
	v_not_b32_e32 v151, v167
	v_lshlrev_b32_e32 v179, 26, v149
	v_cmp_ne_u32_e64 s20, 0, v177
	v_ashrrev_i32_e32 v181, 31, v181
	v_lshlrev_b32_e32 v180, 25, v149
	v_ashrrev_i32_e32 v151, 31, v151
	v_lshlrev_b32_e32 v177, 24, v149
	v_xor_b32_e32 v150, s20, v150
	v_cmp_gt_i32_e64 s20, 0, v167
	v_not_b32_e32 v167, v176
	v_xor_b32_e32 v181, s21, v181
	v_cmp_gt_i32_e64 s21, 0, v176
	v_and_b32_e32 v150, exec_lo, v150
	v_not_b32_e32 v176, v178
	v_ashrrev_i32_e32 v167, 31, v167
	v_xor_b32_e32 v151, s20, v151
	v_cmp_gt_i32_e64 s20, 0, v178
	v_and_b32_e32 v150, v150, v181
	v_not_b32_e32 v178, v179
	v_ashrrev_i32_e32 v176, 31, v176
	v_xor_b32_e32 v167, s21, v167
	v_cmp_gt_i32_e64 s21, 0, v179
	v_and_b32_e32 v150, v150, v151
	;; [unrolled: 5-line block ×3, first 2 shown]
	v_not_b32_e32 v167, v177
	v_ashrrev_i32_e32 v151, 31, v151
	v_xor_b32_e32 v178, s21, v178
	v_lshl_add_u32 v149, v149, 3, v231
	v_and_b32_e32 v150, v150, v176
	v_cmp_gt_i32_e64 s21, 0, v177
	v_ashrrev_i32_e32 v167, 31, v167
	v_xor_b32_e32 v151, s20, v151
	v_lshl_add_u32 v177, v149, 2, v12
	v_and_b32_e32 v150, v150, v178
	v_xor_b32_e32 v149, s21, v167
	ds_read_b32 v167, v177 offset:32
	v_and_b32_e32 v150, v150, v151
	v_add_nc_u32_e32 v177, 32, v177
	; wave barrier
	v_and_b32_e32 v149, v150, v149
	v_mbcnt_lo_u32_b32 v176, v149, 0
	v_cmp_ne_u32_e64 s21, 0, v149
	v_cmp_eq_u32_e64 s20, 0, v176
	s_and_b32 s21, s21, s20
	s_and_saveexec_b32 s20, s21
	s_cbranch_execz .LBB296_86
; %bb.85:                               ;   in Loop: Header=BB296_56 Depth=1
	s_waitcnt lgkmcnt(0)
	v_bcnt_u32_b32 v149, v149, v167
	ds_write_b32 v177, v149
.LBB296_86:                             ;   in Loop: Header=BB296_56 Depth=1
	s_or_b32 exec_lo, exec_lo, s20
	v_lshrrev_b32_e32 v75, 24, v65
	; wave barrier
	v_lshrrev_b32_e32 v149, v10, v75
	v_and_b32_e32 v149, v149, v148
	v_and_b32_e32 v150, 1, v149
	v_lshlrev_b32_e32 v151, 30, v149
	v_lshlrev_b32_e32 v178, 29, v149
	;; [unrolled: 1-line block ×4, first 2 shown]
	v_add_co_u32 v150, s20, v150, -1
	v_cndmask_b32_e64 v180, 0, 1, s20
	v_not_b32_e32 v192, v151
	v_cmp_gt_i32_e64 s21, 0, v151
	v_not_b32_e32 v151, v178
	v_lshlrev_b32_e32 v182, 26, v149
	v_cmp_ne_u32_e64 s20, 0, v180
	v_ashrrev_i32_e32 v192, 31, v192
	v_lshlrev_b32_e32 v183, 25, v149
	v_ashrrev_i32_e32 v151, 31, v151
	v_lshlrev_b32_e32 v180, 24, v149
	v_xor_b32_e32 v150, s20, v150
	v_cmp_gt_i32_e64 s20, 0, v178
	v_not_b32_e32 v178, v179
	v_xor_b32_e32 v192, s21, v192
	v_cmp_gt_i32_e64 s21, 0, v179
	v_and_b32_e32 v150, exec_lo, v150
	v_not_b32_e32 v179, v181
	v_ashrrev_i32_e32 v178, 31, v178
	v_xor_b32_e32 v151, s20, v151
	v_cmp_gt_i32_e64 s20, 0, v181
	v_and_b32_e32 v150, v150, v192
	v_not_b32_e32 v181, v182
	v_ashrrev_i32_e32 v179, 31, v179
	v_xor_b32_e32 v178, s21, v178
	v_cmp_gt_i32_e64 s21, 0, v182
	v_and_b32_e32 v150, v150, v151
	;; [unrolled: 5-line block ×3, first 2 shown]
	v_not_b32_e32 v178, v180
	v_ashrrev_i32_e32 v151, 31, v151
	v_xor_b32_e32 v181, s21, v181
	v_lshl_add_u32 v149, v149, 3, v231
	v_and_b32_e32 v150, v150, v179
	v_cmp_gt_i32_e64 s21, 0, v180
	v_ashrrev_i32_e32 v178, 31, v178
	v_xor_b32_e32 v151, s20, v151
	v_lshl_add_u32 v180, v149, 2, v12
	v_and_b32_e32 v150, v150, v181
	v_xor_b32_e32 v149, s21, v178
	ds_read_b32 v178, v180 offset:32
	v_and_b32_e32 v150, v150, v151
	v_add_nc_u32_e32 v180, 32, v180
	; wave barrier
	v_and_b32_e32 v149, v150, v149
	v_mbcnt_lo_u32_b32 v179, v149, 0
	v_cmp_ne_u32_e64 s21, 0, v149
	v_cmp_eq_u32_e64 s20, 0, v179
	s_and_b32 s21, s21, s20
	s_and_saveexec_b32 s20, s21
	s_cbranch_execz .LBB296_88
; %bb.87:                               ;   in Loop: Header=BB296_56 Depth=1
	s_waitcnt lgkmcnt(0)
	v_bcnt_u32_b32 v149, v149, v178
	ds_write_b32 v180, v149
.LBB296_88:                             ;   in Loop: Header=BB296_56 Depth=1
	s_or_b32 exec_lo, exec_lo, s20
	v_lshrrev_b32_sdwa v149, v10, v73 dst_sel:DWORD dst_unused:UNUSED_PAD src0_sel:DWORD src1_sel:BYTE_0
	; wave barrier
	v_and_b32_e32 v148, v149, v148
	v_and_b32_e32 v149, 1, v148
	v_lshlrev_b32_e32 v150, 30, v148
	v_lshlrev_b32_e32 v151, 29, v148
	;; [unrolled: 1-line block ×4, first 2 shown]
	v_add_co_u32 v149, s20, v149, -1
	v_cndmask_b32_e64 v182, 0, 1, s20
	v_not_b32_e32 v194, v150
	v_cmp_gt_i32_e64 s21, 0, v150
	v_not_b32_e32 v150, v151
	v_lshlrev_b32_e32 v192, 26, v148
	v_cmp_ne_u32_e64 s20, 0, v182
	v_ashrrev_i32_e32 v194, 31, v194
	v_lshlrev_b32_e32 v193, 25, v148
	v_ashrrev_i32_e32 v150, 31, v150
	v_lshlrev_b32_e32 v182, 24, v148
	v_xor_b32_e32 v149, s20, v149
	v_cmp_gt_i32_e64 s20, 0, v151
	v_not_b32_e32 v151, v181
	v_xor_b32_e32 v194, s21, v194
	v_cmp_gt_i32_e64 s21, 0, v181
	v_and_b32_e32 v149, exec_lo, v149
	v_not_b32_e32 v181, v183
	v_ashrrev_i32_e32 v151, 31, v151
	v_xor_b32_e32 v150, s20, v150
	v_cmp_gt_i32_e64 s20, 0, v183
	v_and_b32_e32 v149, v149, v194
	v_not_b32_e32 v183, v192
	v_ashrrev_i32_e32 v181, 31, v181
	v_xor_b32_e32 v151, s21, v151
	v_cmp_gt_i32_e64 s21, 0, v192
	v_and_b32_e32 v149, v149, v150
	;; [unrolled: 5-line block ×3, first 2 shown]
	v_not_b32_e32 v151, v182
	v_ashrrev_i32_e32 v150, 31, v150
	v_xor_b32_e32 v183, s21, v183
	v_lshl_add_u32 v148, v148, 3, v231
	v_and_b32_e32 v149, v149, v181
	v_cmp_gt_i32_e64 s21, 0, v182
	v_ashrrev_i32_e32 v151, 31, v151
	v_xor_b32_e32 v150, s20, v150
	v_and_b32_e32 v149, v149, v183
	v_lshl_add_u32 v183, v148, 2, v12
	v_xor_b32_e32 v148, s21, v151
	v_and_b32_e32 v149, v149, v150
	ds_read_b32 v181, v183 offset:32
	v_add_nc_u32_e32 v183, 32, v183
	; wave barrier
	v_and_b32_e32 v148, v149, v148
	v_mbcnt_lo_u32_b32 v182, v148, 0
	v_cmp_ne_u32_e64 s21, 0, v148
	v_cmp_eq_u32_e64 s20, 0, v182
	s_and_b32 s21, s21, s20
	s_and_saveexec_b32 s20, s21
	s_cbranch_execz .LBB296_90
; %bb.89:                               ;   in Loop: Header=BB296_56 Depth=1
	s_waitcnt lgkmcnt(0)
	v_bcnt_u32_b32 v148, v148, v181
	ds_write_b32 v183, v148
.LBB296_90:                             ;   in Loop: Header=BB296_56 Depth=1
	s_or_b32 exec_lo, exec_lo, s20
	; wave barrier
	s_waitcnt lgkmcnt(0)
	s_barrier
	buffer_gl0_inv
	ds_read_b32 v150, v1
	ds_read_b32 v151, v9
	;; [unrolled: 1-line block ×8, first 2 shown]
	s_waitcnt lgkmcnt(6)
	v_add_nc_u32_e32 v196, v151, v150
	s_waitcnt lgkmcnt(4)
	v_add3_u32 v196, v196, v194, v149
	s_waitcnt lgkmcnt(2)
	v_add3_u32 v196, v196, v148, v193
	;; [unrolled: 2-line block ×3, first 2 shown]
	v_mov_b32_dpp v196, v195 row_shr:1 row_mask:0xf bank_mask:0xf
	v_cndmask_b32_e64 v196, v196, 0, vcc_lo
	v_add_nc_u32_e32 v195, v196, v195
	v_mov_b32_dpp v196, v195 row_shr:2 row_mask:0xf bank_mask:0xf
	v_cndmask_b32_e64 v196, 0, v196, s4
	v_add_nc_u32_e32 v195, v195, v196
	v_mov_b32_dpp v196, v195 row_shr:4 row_mask:0xf bank_mask:0xf
	v_cndmask_b32_e64 v196, 0, v196, s5
	;; [unrolled: 3-line block ×3, first 2 shown]
	v_add_nc_u32_e32 v195, v195, v196
	ds_swizzle_b32 v196, v195 offset:swizzle(BROADCAST,32,15)
	s_waitcnt lgkmcnt(0)
	v_cndmask_b32_e64 v196, v196, 0, s10
	v_add_nc_u32_e32 v195, v195, v196
	s_and_saveexec_b32 s20, s11
; %bb.91:                               ;   in Loop: Header=BB296_56 Depth=1
	ds_write_b32 v241, v195
; %bb.92:                               ;   in Loop: Header=BB296_56 Depth=1
	s_or_b32 exec_lo, exec_lo, s20
	s_waitcnt lgkmcnt(0)
	s_barrier
	buffer_gl0_inv
	s_and_saveexec_b32 s20, s14
	s_cbranch_execz .LBB296_94
; %bb.93:                               ;   in Loop: Header=BB296_56 Depth=1
	ds_read_b32 v196, v243
	s_waitcnt lgkmcnt(0)
	v_mov_b32_dpp v197, v196 row_shr:1 row_mask:0xf bank_mask:0xf
	v_cndmask_b32_e64 v197, v197, 0, s17
	v_add_nc_u32_e32 v196, v197, v196
	v_mov_b32_dpp v197, v196 row_shr:2 row_mask:0xf bank_mask:0xf
	v_cndmask_b32_e64 v197, 0, v197, s18
	v_add_nc_u32_e32 v196, v196, v197
	;; [unrolled: 3-line block ×3, first 2 shown]
	ds_write_b32 v243, v196
.LBB296_94:                             ;   in Loop: Header=BB296_56 Depth=1
	s_or_b32 exec_lo, exec_lo, s20
	v_mov_b32_e32 v196, 0
	s_waitcnt lgkmcnt(0)
	s_barrier
	buffer_gl0_inv
	s_and_saveexec_b32 s20, s15
; %bb.95:                               ;   in Loop: Header=BB296_56 Depth=1
	v_add_nc_u32_e32 v196, -4, v241
	ds_read_b32 v196, v196
; %bb.96:                               ;   in Loop: Header=BB296_56 Depth=1
	s_or_b32 exec_lo, exec_lo, s20
	s_waitcnt lgkmcnt(0)
	v_add_nc_u32_e32 v195, v196, v195
	v_add_nc_u32_e32 v10, 8, v10
	v_mov_b32_e32 v77, v16
	v_lshrrev_b32_e32 v79, 8, v16
	v_lshrrev_b32_e32 v88, 16, v16
	ds_bpermute_b32 v195, v240, v195
	v_lshrrev_b32_e32 v78, 8, v17
	v_lshrrev_b32_e32 v89, 16, v17
	;; [unrolled: 1-line block ×5, first 2 shown]
	v_cmp_lt_u32_e64 s20, v10, v11
	s_mov_b32 s24, -1
                                        ; implicit-def: $vgpr90
                                        ; implicit-def: $vgpr127
                                        ; implicit-def: $vgpr126
                                        ; implicit-def: $vgpr125
	s_waitcnt lgkmcnt(0)
	v_cndmask_b32_e64 v195, v195, v196, s6
	v_cndmask_b32_e64 v195, v195, 0, s16
	v_add_nc_u32_e32 v196, v195, v150
	v_add_nc_u32_e32 v197, v196, v151
	v_lshrrev_b64 v[150:151], 24, v[16:17]
	v_lshrrev_b32_e32 v151, 8, v64
	ds_write_b32 v1, v195
	ds_write_b32 v9, v196
	;; [unrolled: 1-line block ×3, first 2 shown]
	v_add_nc_u32_e32 v194, v197, v194
	v_add_nc_u32_e32 v198, v194, v149
	;; [unrolled: 1-line block ×3, first 2 shown]
	v_lshrrev_b64 v[148:149], 24, v[64:65]
	v_add_nc_u32_e32 v149, v199, v193
	v_add_nc_u32_e32 v192, v149, v192
	ds_write_b32 v39, v194
	ds_write_b32 v227, v198
	;; [unrolled: 1-line block ×5, first 2 shown]
	s_waitcnt lgkmcnt(0)
	s_barrier
	buffer_gl0_inv
	ds_read_b32 v83, v83
	ds_read_b32 v86, v86
	;; [unrolled: 1-line block ×17, first 2 shown]
	s_waitcnt lgkmcnt(0)
	v_add_nc_u32_e32 v122, v83, v82
	v_add3_u32 v121, v85, v84, v86
	v_add3_u32 v120, v96, v87, v97
	;; [unrolled: 1-line block ×12, first 2 shown]
	v_add_co_u32 v160, s21, v12, v122
	v_add_co_ci_u32_e64 v161, null, 0, v13, s21
	v_add_co_u32 v162, s21, v12, v121
	v_add3_u32 v93, v165, v164, v163
	v_add_co_ci_u32_e64 v163, null, 0, v13, s21
	v_add_co_u32 v164, s21, v12, v120
	v_add3_u32 v92, v176, v167, v166
	v_add_co_ci_u32_e64 v165, null, 0, v13, s21
	v_add_co_u32 v166, s21, v12, v111
	v_add_co_ci_u32_e64 v167, null, 0, v13, s21
	v_add_co_u32 v176, s21, v12, v110
	v_add3_u32 v91, v179, v178, v177
	v_add_co_ci_u32_e64 v177, null, 0, v13, s21
	v_add_co_u32 v178, s21, v12, v109
	v_add3_u32 v149, v182, v181, v180
	v_add_co_ci_u32_e64 v179, null, 0, v13, s21
	v_add_co_u32 v180, s21, v12, v108
	v_add_co_ci_u32_e64 v181, null, 0, v13, s21
	v_add_co_u32 v182, s21, v12, v107
	;; [unrolled: 2-line block ×11, first 2 shown]
	v_add_co_ci_u32_e64 v215, null, 0, v13, s21
                                        ; implicit-def: $vgpr82_vgpr83
                                        ; implicit-def: $vgpr84_vgpr85
                                        ; implicit-def: $vgpr86_vgpr87
                                        ; implicit-def: $vgpr96_vgpr97
                                        ; implicit-def: $vgpr98_vgpr99
                                        ; implicit-def: $vgpr100_vgpr101
                                        ; implicit-def: $vgpr102_vgpr103
                                        ; implicit-def: $vgpr112_vgpr113
                                        ; implicit-def: $vgpr114_vgpr115
                                        ; implicit-def: $vgpr116_vgpr117
                                        ; implicit-def: $vgpr130_vgpr131
                                        ; implicit-def: $vgpr134_vgpr135
                                        ; implicit-def: $vgpr146_vgpr147
                                        ; implicit-def: $vgpr118_vgpr119
                                        ; implicit-def: $vgpr128_vgpr129
                                        ; implicit-def: $vgpr132_vgpr133
                                        ; implicit-def: $vgpr144_vgpr145
	s_and_saveexec_b32 s21, s20
	s_cbranch_execz .LBB296_55
; %bb.97:                               ;   in Loop: Header=BB296_56 Depth=1
	v_add_nc_u32_e32 v82, 64, v4
	s_barrier
	buffer_gl0_inv
	ds_write_b8 v160, v16
	ds_write_b8 v162, v79
	;; [unrolled: 1-line block ×17, first 2 shown]
	v_add_nc_u32_e32 v16, 0x60, v4
	v_add_nc_u32_e32 v83, 32, v4
	s_waitcnt lgkmcnt(0)
	s_barrier
	buffer_gl0_inv
	ds_read_u8 v90, v247
	ds_read_u8 v16, v16
	;; [unrolled: 1-line block ×3, first 2 shown]
	v_add_nc_u32_e32 v82, 0xe0, v4
	v_add_nc_u32_e32 v84, 0xc0, v4
	;; [unrolled: 1-line block ×3, first 2 shown]
	ds_read_u8 v126, v83
	ds_read_u8 v127, v4
	;; [unrolled: 1-line block ×5, first 2 shown]
	v_add_nc_u32_e32 v82, 0x80, v4
	v_add_nc_u32_e32 v83, 0x160, v4
	v_add_nc_u32_e32 v84, 0x140, v4
	v_add_nc_u32_e32 v85, 0x120, v4
	v_add_nc_u32_e32 v86, 0x100, v4
	ds_read_u8 v139, v82
	ds_read_u8 v140, v83
	;; [unrolled: 1-line block ×5, first 2 shown]
	v_mad_u64_u32 v[82:83], null, v122, 7, v[160:161]
	ds_read_u8 v161, v246
	ds_read_u8 v152, v245
	;; [unrolled: 1-line block ×4, first 2 shown]
	s_waitcnt lgkmcnt(0)
	s_barrier
	buffer_gl0_inv
	v_mad_u64_u32 v[96:97], null, v108, 7, v[180:181]
	ds_write_b64 v82, v[52:53]
	v_mad_u64_u32 v[82:83], null, v121, 7, v[162:163]
	v_mad_u64_u32 v[83:84], null, v120, 7, v[164:165]
	;; [unrolled: 1-line block ×7, first 2 shown]
	ds_write_b64 v82, v[50:51]
	ds_write_b64 v83, v[54:55]
	;; [unrolled: 1-line block ×8, first 2 shown]
	v_mad_u64_u32 v[82:83], null, v105, 7, v[194:195]
	v_mad_u64_u32 v[83:84], null, v104, 7, v[196:197]
	;; [unrolled: 1-line block ×8, first 2 shown]
	ds_write_b64 v82, v[18:19]
	ds_write_b64 v83, v[24:25]
	ds_write_b64 v84, v[22:23]
	ds_write_b64 v85, v[48:49]
	ds_write_b64 v86, v[66:67]
	ds_write_b64 v96, v[68:69]
	ds_write_b64 v97, v[70:71]
	ds_write_b64 v98, v[80:81]
	s_waitcnt lgkmcnt(0)
	s_barrier
	buffer_gl0_inv
	ds_read_b64 v[82:83], v15
	ds_read_b64 v[84:85], v40
	;; [unrolled: 1-line block ×17, first 2 shown]
	v_perm_b32 v163, v127, v126, 0xc0c0004
	v_perm_b32 v16, v125, v16, 0xc0c0004
	;; [unrolled: 1-line block ×8, first 2 shown]
	v_lshl_or_b32 v16, v16, 16, v163
	v_lshl_or_b32 v125, v167, 16, v165
	;; [unrolled: 1-line block ×3, first 2 shown]
	v_add_nc_u32_e32 v72, -8, v72
	v_lshl_or_b32 v127, v161, 16, v181
	s_xor_b32 s24, exec_lo, -1
	s_waitcnt lgkmcnt(0)
	s_barrier
	buffer_gl0_inv
	s_branch .LBB296_55
.LBB296_98:
	s_or_b32 exec_lo, exec_lo, s23
	v_add_nc_u32_e32 v1, v12, v14
	v_lshl_add_u32 v4, v122, 3, v12
	v_lshl_add_u32 v5, v121, 3, v12
	v_lshl_add_u32 v9, v120, 3, v12
	s_barrier
	buffer_gl0_inv
	ds_write_b8 v160, v77
	ds_write_b8 v162, v79
	;; [unrolled: 1-line block ×17, first 2 shown]
	s_waitcnt lgkmcnt(0)
	s_barrier
	buffer_gl0_inv
	ds_read_u8 v103, v1
	ds_read_u8 v102, v1 offset:256
	ds_read_u8 v101, v1 offset:512
	ds_read_u8 v100, v1 offset:768
	ds_read_u8 v99, v1 offset:1024
	ds_read_u8 v98, v1 offset:1280
	ds_read_u8 v97, v1 offset:1536
	ds_read_u8 v96, v1 offset:1792
	ds_read_u8 v87, v1 offset:2048
	ds_read_u8 v86, v1 offset:2304
	ds_read_u8 v85, v1 offset:2560
	ds_read_u8 v84, v1 offset:2816
	ds_read_u8 v83, v1 offset:3072
	ds_read_u8 v82, v1 offset:3328
	ds_read_u8 v65, v1 offset:3584
	ds_read_u8 v64, v1 offset:3840
	ds_read_u8 v39, v1 offset:4096
	s_waitcnt lgkmcnt(0)
	s_barrier
	buffer_gl0_inv
	ds_write_b64 v4, v[52:53]
	ds_write_b64 v5, v[50:51]
	;; [unrolled: 1-line block ×3, first 2 shown]
	v_lshl_add_u32 v4, v111, 3, v12
	v_lshl_add_u32 v5, v110, 3, v12
	;; [unrolled: 1-line block ×5, first 2 shown]
	ds_write_b64 v4, v[30:31]
	ds_write_b64 v5, v[28:29]
	ds_write_b64 v9, v[26:27]
	ds_write_b64 v10, v[34:35]
	ds_write_b64 v11, v[32:33]
	v_lshl_add_u32 v4, v106, 3, v12
	v_lshl_add_u32 v5, v105, 3, v12
	;; [unrolled: 1-line block ×5, first 2 shown]
	ds_write_b64 v4, v[20:21]
	ds_write_b64 v5, v[18:19]
	ds_write_b64 v9, v[24:25]
	ds_write_b64 v10, v[22:23]
	ds_write_b64 v11, v[48:49]
	v_mul_u32_u24_e32 v10, 7, v14
	v_lshl_add_u32 v4, v93, 3, v12
	v_lshl_add_u32 v11, v149, 3, v12
	;; [unrolled: 1-line block ×4, first 2 shown]
	v_add_nc_u32_e32 v1, v1, v10
	ds_write_b64 v4, v[66:67]
	ds_write_b64 v5, v[68:69]
	;; [unrolled: 1-line block ×4, first 2 shown]
	s_waitcnt lgkmcnt(0)
	s_barrier
	buffer_gl0_inv
	ds_read2st64_b64 v[48:51], v1 offset1:4
	ds_read2st64_b64 v[33:36], v1 offset0:8 offset1:12
	ds_read2st64_b64 v[29:32], v1 offset0:16 offset1:20
	;; [unrolled: 1-line block ×7, first 2 shown]
	ds_read_b64 v[4:5], v1 offset:32768
	v_add_co_u32 v2, vcc_lo, v2, v8
	v_add_co_ci_u32_e64 v3, null, 0, v3, vcc_lo
	v_mov_b32_e32 v1, 0
	v_add_co_u32 v2, vcc_lo, v2, v0
	v_add_co_ci_u32_e64 v3, null, 0, v3, vcc_lo
	v_cmp_lt_u32_e64 s4, v0, v226
	s_waitcnt lgkmcnt(0)
	s_barrier
	buffer_gl0_inv
	s_and_saveexec_b32 s5, s4
	s_cbranch_execz .LBB296_100
; %bb.99:
	v_xor_b32_e32 v8, 0x7f, v103
	flat_store_byte v[2:3], v8
.LBB296_100:
	s_or_b32 exec_lo, exec_lo, s5
	v_add_nc_u32_e32 v8, 0x100, v0
	v_cmp_lt_u32_e64 s17, v8, v226
	s_and_saveexec_b32 s5, s17
	s_cbranch_execz .LBB296_102
; %bb.101:
	v_xor_b32_e32 v8, 0x7f, v102
	flat_store_byte v[2:3], v8 offset:256
.LBB296_102:
	s_or_b32 exec_lo, exec_lo, s5
	v_add_nc_u32_e32 v8, 0x200, v0
	v_cmp_lt_u32_e64 s15, v8, v226
	s_and_saveexec_b32 s5, s15
	s_cbranch_execz .LBB296_104
; %bb.103:
	v_xor_b32_e32 v8, 0x7f, v101
	flat_store_byte v[2:3], v8 offset:512
.LBB296_104:
	;; [unrolled: 9-line block ×7, first 2 shown]
	s_or_b32 exec_lo, exec_lo, s10
	v_add_nc_u32_e32 v8, 0x800, v0
	v_cmp_lt_u32_e32 vcc_lo, v8, v226
	s_and_saveexec_b32 s16, vcc_lo
	s_cbranch_execz .LBB296_116
; %bb.115:
	v_add_co_u32 v52, s10, 0x800, v2
	v_xor_b32_e32 v8, 0x7f, v87
	v_add_co_ci_u32_e64 v53, null, 0, v3, s10
	flat_store_byte v[52:53], v8
.LBB296_116:
	s_or_b32 exec_lo, exec_lo, s16
	v_add_nc_u32_e32 v8, 0x900, v0
	v_cmp_lt_u32_e64 s10, v8, v226
	s_and_saveexec_b32 s18, s10
	s_cbranch_execz .LBB296_118
; %bb.117:
	v_add_co_u32 v52, s16, 0x800, v2
	v_xor_b32_e32 v8, 0x7f, v86
	v_add_co_ci_u32_e64 v53, null, 0, v3, s16
	flat_store_byte v[52:53], v8 offset:256
.LBB296_118:
	s_or_b32 exec_lo, exec_lo, s18
	v_add_nc_u32_e32 v8, 0xa00, v0
	v_cmp_lt_u32_e64 s16, v8, v226
	s_and_saveexec_b32 s19, s16
	s_cbranch_execz .LBB296_120
; %bb.119:
	v_add_co_u32 v52, s18, 0x800, v2
	v_xor_b32_e32 v8, 0x7f, v85
	v_add_co_ci_u32_e64 v53, null, 0, v3, s18
	flat_store_byte v[52:53], v8 offset:512
.LBB296_120:
	;; [unrolled: 11-line block ×7, first 2 shown]
	s_or_b32 exec_lo, exec_lo, s24
	v_add_nc_u32_e32 v8, 0x1000, v0
	v_cmp_lt_u32_e64 s23, v8, v226
	s_and_saveexec_b32 s27, s23
	s_cbranch_execz .LBB296_132
; %bb.131:
	v_add_co_u32 v2, s24, 0x1000, v2
	v_xor_b32_e32 v8, 0x7f, v39
	v_add_co_ci_u32_e64 v3, null, 0, v3, s24
	flat_store_byte v[2:3], v8
.LBB296_132:
	s_or_b32 exec_lo, exec_lo, s27
	v_lshlrev_b64 v[0:1], 3, v[0:1]
	v_add_co_u32 v2, s24, v6, v37
	v_add_co_ci_u32_e64 v3, null, v7, v38, s24
	v_add_co_u32 v0, s24, v2, v0
	v_add_co_ci_u32_e64 v1, null, v3, v1, s24
	s_and_saveexec_b32 s24, s4
	s_cbranch_execnz .LBB296_220
; %bb.133:
	s_or_b32 exec_lo, exec_lo, s24
	s_and_saveexec_b32 s24, s17
	s_cbranch_execnz .LBB296_221
.LBB296_134:
	s_or_b32 exec_lo, exec_lo, s24
	s_and_saveexec_b32 s17, s15
	s_cbranch_execnz .LBB296_222
.LBB296_135:
	s_or_b32 exec_lo, exec_lo, s17
	s_and_saveexec_b32 s15, s14
	s_cbranch_execnz .LBB296_223
.LBB296_136:
	s_or_b32 exec_lo, exec_lo, s15
	s_and_saveexec_b32 s14, s11
	s_cbranch_execnz .LBB296_224
.LBB296_137:
	s_or_b32 exec_lo, exec_lo, s14
	s_and_saveexec_b32 s11, s7
	s_cbranch_execnz .LBB296_225
.LBB296_138:
	s_or_b32 exec_lo, exec_lo, s11
	s_and_saveexec_b32 s7, s6
	s_cbranch_execnz .LBB296_226
.LBB296_139:
	s_or_b32 exec_lo, exec_lo, s7
	s_and_saveexec_b32 s6, s5
	s_cbranch_execnz .LBB296_227
.LBB296_140:
	s_or_b32 exec_lo, exec_lo, s6
	s_and_saveexec_b32 s4, vcc_lo
	s_cbranch_execnz .LBB296_228
.LBB296_141:
	s_or_b32 exec_lo, exec_lo, s4
	s_and_saveexec_b32 s4, s10
	s_cbranch_execnz .LBB296_229
.LBB296_142:
	s_or_b32 exec_lo, exec_lo, s4
	s_and_saveexec_b32 s4, s16
	s_cbranch_execnz .LBB296_230
.LBB296_143:
	s_or_b32 exec_lo, exec_lo, s4
	s_and_saveexec_b32 s4, s18
	s_cbranch_execnz .LBB296_231
.LBB296_144:
	s_or_b32 exec_lo, exec_lo, s4
	s_and_saveexec_b32 s4, s19
	s_cbranch_execnz .LBB296_232
.LBB296_145:
	s_or_b32 exec_lo, exec_lo, s4
	s_and_saveexec_b32 s4, s20
	s_cbranch_execnz .LBB296_233
.LBB296_146:
	s_or_b32 exec_lo, exec_lo, s4
	s_and_saveexec_b32 s4, s21
	s_cbranch_execnz .LBB296_234
.LBB296_147:
	s_or_b32 exec_lo, exec_lo, s4
	s_and_saveexec_b32 s4, s22
	s_cbranch_execnz .LBB296_235
.LBB296_148:
	s_or_b32 exec_lo, exec_lo, s4
	s_and_saveexec_b32 s4, s23
	s_cbranch_execz .LBB296_150
.LBB296_149:
	v_add_co_u32 v0, vcc_lo, 0x8000, v0
	v_add_co_ci_u32_e64 v1, null, 0, v1, vcc_lo
	flat_store_dwordx2 v[0:1], v[4:5]
.LBB296_150:
	s_or_b32 exec_lo, exec_lo, s4
                                        ; implicit-def: $vgpr226
                                        ; implicit-def: $vgpr0
                                        ; implicit-def: $vgpr1
                                        ; implicit-def: $vgpr2
                                        ; implicit-def: $vgpr3
                                        ; implicit-def: $vgpr4
                                        ; implicit-def: $vgpr5
                                        ; implicit-def: $vgpr6
                                        ; implicit-def: $vgpr7
                                        ; implicit-def: $vgpr8
                                        ; implicit-def: $vgpr10
                                        ; implicit-def: $vgpr11
                                        ; implicit-def: $vgpr12
                                        ; implicit-def: $vgpr13
                                        ; implicit-def: $vgpr15
                                        ; implicit-def: $vgpr16
                                        ; implicit-def: $vgpr14
                                        ; implicit-def: $vgpr30
.LBB296_151:
	s_andn2_saveexec_b32 s4, s26
	s_cbranch_execz .LBB296_382
; %bb.152:
	s_mov_b32 s4, exec_lo
	v_cmpx_lt_u32_e32 0x400, v226
	s_xor_b32 s22, exec_lo, s4
	s_cbranch_execz .LBB296_262
; %bb.153:
	s_load_dwordx2 s[4:5], s[8:9], 0x0
	v_mov_b32_e32 v9, 0
	v_add_co_u32 v0, vcc_lo, v0, v8
	v_add_co_ci_u32_e64 v1, null, 0, v1, vcc_lo
	v_mov_b32_e32 v21, 0x80
	v_add_co_u32 v0, vcc_lo, v0, v30
	v_add_co_ci_u32_e64 v1, null, 0, v1, vcc_lo
	v_mov_b32_e32 v19, 0x80
	v_mov_b32_e32 v20, 0x80
	;; [unrolled: 1-line block ×5, first 2 shown]
	s_waitcnt lgkmcnt(0)
	s_cmp_lt_u32 s13, s5
	s_cselect_b32 s5, 14, 20
	s_add_u32 s6, s8, s5
	s_addc_u32 s7, s9, 0
	s_cmp_lt_u32 s12, s4
	global_load_ushort v17, v9, s[6:7]
	s_cselect_b32 s4, 12, 18
	s_add_u32 s4, s8, s4
	s_addc_u32 s5, s9, 0
	global_load_ushort v18, v9, s[4:5]
	s_waitcnt vmcnt(1)
	v_mad_u32_u24 v15, v16, v17, v15
	v_mov_b32_e32 v17, 0x80
	v_mov_b32_e32 v16, v9
	s_waitcnt vmcnt(0)
	v_mad_u64_u32 v[25:26], null, v15, v18, v[14:15]
	v_mov_b32_e32 v18, 0x80
	v_lshlrev_b32_e32 v15, 3, v25
	v_and_b32_e32 v15, 0xffffff00, v15
	v_or_b32_e32 v26, v15, v30
	v_add_co_u32 v0, vcc_lo, v0, v15
	v_add_co_ci_u32_e64 v1, null, 0, v1, vcc_lo
	v_cmp_lt_u32_e32 vcc_lo, v26, v226
	s_and_saveexec_b32 s4, vcc_lo
	s_cbranch_execz .LBB296_155
; %bb.154:
	flat_load_ubyte v18, v[0:1]
	v_mov_b32_e32 v21, 0x80
	v_mov_b32_e32 v19, 0x80
	;; [unrolled: 1-line block ×7, first 2 shown]
.LBB296_155:
	s_or_b32 exec_lo, exec_lo, s4
	v_or_b32_e32 v27, 32, v26
	v_cmp_lt_u32_e64 s4, v27, v226
	s_and_saveexec_b32 s5, s4
	s_cbranch_execz .LBB296_157
; %bb.156:
	flat_load_ubyte v19, v[0:1] offset:32
.LBB296_157:
	s_or_b32 exec_lo, exec_lo, s5
	v_or_b32_e32 v27, 64, v26
	v_cmp_lt_u32_e64 s5, v27, v226
	s_and_saveexec_b32 s6, s5
	s_cbranch_execz .LBB296_159
; %bb.158:
	flat_load_ubyte v17, v[0:1] offset:64
.LBB296_159:
	;; [unrolled: 8-line block ×7, first 2 shown]
	s_or_b32 exec_lo, exec_lo, s15
	v_lshlrev_b64 v[0:1], 3, v[8:9]
	v_lshlrev_b32_e32 v9, 3, v30
                                        ; implicit-def: $vgpr34_vgpr35
	v_add_co_u32 v26, s15, v4, v0
	v_add_co_ci_u32_e64 v27, null, v5, v1, s15
	v_lshlrev_b64 v[4:5], 3, v[15:16]
	v_add_co_u32 v9, s15, v26, v9
	v_add_co_ci_u32_e64 v15, null, 0, v27, s15
	v_add_co_u32 v4, s15, v9, v4
	v_add_co_ci_u32_e64 v5, null, v15, v5, s15
	s_and_saveexec_b32 s15, vcc_lo
	s_cbranch_execnz .LBB296_295
; %bb.170:
	s_or_b32 exec_lo, exec_lo, s15
                                        ; implicit-def: $vgpr38_vgpr39
	s_and_saveexec_b32 s15, s4
	s_cbranch_execnz .LBB296_296
.LBB296_171:
	s_or_b32 exec_lo, exec_lo, s15
                                        ; implicit-def: $vgpr48_vgpr49
	s_and_saveexec_b32 s4, s5
	s_cbranch_execnz .LBB296_297
.LBB296_172:
	s_or_b32 exec_lo, exec_lo, s4
                                        ; implicit-def: $vgpr50_vgpr51
	s_and_saveexec_b32 s4, s6
	s_cbranch_execnz .LBB296_298
.LBB296_173:
	s_or_b32 exec_lo, exec_lo, s4
                                        ; implicit-def: $vgpr52_vgpr53
	s_and_saveexec_b32 s4, s7
	s_cbranch_execnz .LBB296_299
.LBB296_174:
	s_or_b32 exec_lo, exec_lo, s4
                                        ; implicit-def: $vgpr54_vgpr55
	s_and_saveexec_b32 s4, s10
	s_cbranch_execnz .LBB296_300
.LBB296_175:
	s_or_b32 exec_lo, exec_lo, s4
                                        ; implicit-def: $vgpr32_vgpr33
	s_and_saveexec_b32 s4, s11
	s_cbranch_execnz .LBB296_301
.LBB296_176:
	s_or_b32 exec_lo, exec_lo, s4
                                        ; implicit-def: $vgpr36_vgpr37
	s_and_saveexec_b32 s4, s14
	s_cbranch_execz .LBB296_178
.LBB296_177:
	flat_load_dwordx2 v[36:37], v[4:5] offset:1792
.LBB296_178:
	s_or_b32 exec_lo, exec_lo, s4
	v_mov_b32_e32 v4, 0x7f
	v_mov_b32_e32 v5, 8
	s_waitcnt vmcnt(0) lgkmcnt(0)
	v_xor_b32_e32 v16, 0x7f, v23
	v_lshl_add_u32 v23, v14, 5, v12
	v_xor_b32_e32 v15, 0x7f, v24
	v_xor_b32_sdwa v9, v21, v4 dst_sel:BYTE_1 dst_unused:UNUSED_PAD src0_sel:DWORD src1_sel:DWORD
	v_xor_b32_sdwa v21, v22, v4 dst_sel:BYTE_1 dst_unused:UNUSED_PAD src0_sel:DWORD src1_sel:DWORD
	;; [unrolled: 1-line block ×3, first 2 shown]
	v_add_nc_u32_e32 v98, 36, v23
	v_add_nc_u32_e32 v99, 40, v23
	v_lshrrev_b32_sdwa v22, v5, v9 dst_sel:BYTE_1 dst_unused:UNUSED_PAD src0_sel:DWORD src1_sel:DWORD
	v_add_nc_u32_e32 v9, 32, v23
	v_add_nc_u32_e32 v100, 44, v23
	v_add_nc_u32_e32 v101, 48, v23
	v_add_nc_u32_e32 v102, 52, v23
	v_add_nc_u32_e32 v103, 56, v23
	v_add_nc_u32_e32 v112, 60, v23
	v_and_b32_e32 v23, 0x3e0, v14
	v_xor_b32_sdwa v4, v20, v4 dst_sel:BYTE_1 dst_unused:UNUSED_PAD src0_sel:DWORD src1_sel:DWORD
	v_lshlrev_b32_e32 v20, 3, v14
	v_and_b32_e32 v24, 15, v30
	v_sub_co_u32 v27, s6, v30, 1
	v_min_u32_e32 v23, 0xe0, v23
	s_getpc_b64 s[4:5]
	s_add_u32 s4, s4, _ZN7rocprim17ROCPRIM_400000_NS16block_radix_sortIaLj256ELj8ElLj1ELj1ELj8ELNS0_26block_radix_rank_algorithmE2ELNS0_18block_padding_hintE2ELNS0_4arch9wavefront6targetE0EE19radix_bits_per_passE@rel32@lo+4
	s_addc_u32 s5, s5, _ZN7rocprim17ROCPRIM_400000_NS16block_radix_sortIaLj256ELj8ElLj1ELj1ELj8ELNS0_26block_radix_rank_algorithmE2ELNS0_18block_padding_hintE2ELNS0_4arch9wavefront6targetE0EE19radix_bits_per_passE@rel32@hi+12
	v_xor_b32_e32 v18, 0x7f, v18
	v_lshrrev_b32_sdwa v21, v5, v21 dst_sel:BYTE_1 dst_unused:UNUSED_PAD src0_sel:DWORD src1_sel:DWORD
	s_load_dword s23, s[4:5], 0x0
	v_cmp_eq_u32_e32 vcc_lo, 0, v24
	v_cmp_lt_u32_e64 s4, 1, v24
	v_cmp_lt_u32_e64 s5, 3, v24
	v_and_b32_e32 v26, 16, v30
	v_cmp_lt_u32_e64 s7, 7, v24
	v_or_b32_e32 v23, 31, v23
	v_lshrrev_b32_e32 v24, 3, v14
	v_cmp_gt_i32_e64 s11, 0, v27
	v_and_or_b32 v20, 0x1f00, v20, v30
	v_lshrrev_b32_sdwa v5, v5, v19 dst_sel:BYTE_1 dst_unused:UNUSED_PAD src0_sel:DWORD src1_sel:DWORD
	v_xor_b32_e32 v17, 0x7f, v17
	v_cmp_eq_u32_e64 s10, 0, v26
	v_cndmask_b32_e64 v26, v27, v30, s11
	v_cmp_eq_u32_e64 s11, v14, v23
	v_and_b32_e32 v23, 0x7c, v24
	v_add_nc_u32_e32 v118, v12, v20
	v_mul_u32_u24_e32 v20, 7, v20
	v_or_b32_sdwa v5, v18, v5 dst_sel:DWORD dst_unused:UNUSED_PAD src0_sel:BYTE_0 src1_sel:DWORD
	v_and_b32_e32 v24, 7, v30
	v_add_nc_u32_e32 v115, v12, v23
	v_perm_b32 v4, v17, v4, 0xc0c0104
	v_add_nc_u32_e32 v132, v118, v20
	v_and_b32_e32 v5, 0xffff, v5
	v_or_b32_sdwa v16, v16, v21 dst_sel:DWORD dst_unused:UNUSED_PAD src0_sel:BYTE_0 src1_sel:DWORD
	v_or_b32_sdwa v15, v15, v22 dst_sel:WORD_1 dst_unused:UNUSED_PAD src0_sel:BYTE_0 src1_sel:DWORD
	v_lshrrev_b32_e32 v113, 5, v25
	v_cmp_gt_u32_e64 s14, 8, v14
	v_cmp_lt_u32_e64 s15, 31, v14
	v_lshlrev_b32_e32 v114, 2, v26
	v_cmp_eq_u32_e64 s16, 0, v14
	v_mov_b32_e32 v116, 0
	v_lshl_add_u32 v117, v14, 2, v12
	v_cmp_eq_u32_e64 s17, 0, v24
	v_cmp_lt_u32_e64 s18, 1, v24
	v_cmp_lt_u32_e64 s19, 3, v24
	v_add_nc_u32_e32 v119, -4, v115
	v_add_nc_u32_e32 v128, 32, v118
	v_add_nc_u32_e32 v129, 64, v118
	;; [unrolled: 1-line block ×14, first 2 shown]
	v_lshl_or_b32 v4, v4, 16, v5
	v_or_b32_sdwa v87, v16, v15 dst_sel:DWORD dst_unused:UNUSED_PAD src0_sel:WORD_0 src1_sel:DWORD
	v_sub_nc_u32_e32 v151, v11, v10
	s_mov_b32 s24, 0
	s_waitcnt lgkmcnt(0)
	s_waitcnt_vscnt null, 0x0
	s_barrier
	buffer_gl0_inv
	s_branch .LBB296_180
.LBB296_179:                            ;   in Loop: Header=BB296_180 Depth=1
	s_or_b32 exec_lo, exec_lo, s21
	s_and_b32 s20, exec_lo, s26
	s_or_b32 s24, s20, s24
	s_andn2_b32 exec_lo, exec_lo, s24
	s_cbranch_execz .LBB296_236
.LBB296_180:                            ; =>This Inner Loop Header: Depth=1
	v_min_u32_e32 v5, s23, v151
	v_lshrrev_b32_sdwa v15, v10, v4 dst_sel:DWORD dst_unused:UNUSED_PAD src0_sel:DWORD src1_sel:BYTE_0
	v_mov_b32_e32 v26, v34
	v_mov_b32_e32 v27, v35
	;; [unrolled: 1-line block ×3, first 2 shown]
	v_lshlrev_b32_e64 v5, v5, -1
	v_mov_b32_e32 v22, v49
	v_mov_b32_e32 v23, v38
	;; [unrolled: 1-line block ×4, first 2 shown]
	v_not_b32_e32 v64, v5
	v_mov_b32_e32 v17, v52
	v_mov_b32_e32 v20, v51
	;; [unrolled: 1-line block ×3, first 2 shown]
	ds_write_b32 v9, v116
	ds_write_b32 v98, v116
	v_and_b32_e32 v5, v15, v64
	v_mov_b32_e32 v15, v54
	v_mov_b32_e32 v16, v55
	ds_write_b32 v99, v116
	ds_write_b32 v100, v116
	;; [unrolled: 1-line block ×3, first 2 shown]
	v_and_b32_e32 v28, 1, v5
	v_lshlrev_b32_e32 v29, 30, v5
	v_lshlrev_b32_e32 v30, 29, v5
	;; [unrolled: 1-line block ×4, first 2 shown]
	v_add_co_u32 v28, s20, v28, -1
	v_cndmask_b32_e64 v34, 0, 1, s20
	v_not_b32_e32 v48, v29
	v_cmp_gt_i32_e64 s21, 0, v29
	v_not_b32_e32 v29, v30
	v_lshlrev_b32_e32 v38, 26, v5
	v_cmp_ne_u32_e64 s20, 0, v34
	v_ashrrev_i32_e32 v48, 31, v48
	v_lshlrev_b32_e32 v39, 25, v5
	v_ashrrev_i32_e32 v29, 31, v29
	v_lshlrev_b32_e32 v34, 24, v5
	v_xor_b32_e32 v28, s20, v28
	v_cmp_gt_i32_e64 s20, 0, v30
	v_not_b32_e32 v30, v31
	v_xor_b32_e32 v48, s21, v48
	v_cmp_gt_i32_e64 s21, 0, v31
	v_and_b32_e32 v28, exec_lo, v28
	v_not_b32_e32 v31, v35
	v_ashrrev_i32_e32 v30, 31, v30
	v_xor_b32_e32 v29, s20, v29
	v_cmp_gt_i32_e64 s20, 0, v35
	v_and_b32_e32 v28, v28, v48
	v_not_b32_e32 v35, v38
	v_ashrrev_i32_e32 v31, 31, v31
	v_xor_b32_e32 v30, s21, v30
	v_cmp_gt_i32_e64 s21, 0, v38
	v_and_b32_e32 v28, v28, v29
	;; [unrolled: 5-line block ×4, first 2 shown]
	v_mov_b32_e32 v28, v32
	v_mov_b32_e32 v29, v33
	v_ashrrev_i32_e32 v32, 31, v30
	v_xor_b32_e32 v33, s20, v38
	v_and_b32_e32 v34, v31, v35
	v_mov_b32_e32 v30, v36
	v_mov_b32_e32 v31, v37
	v_xor_b32_e32 v32, s21, v32
	ds_write_b32 v102, v116
	ds_write_b32 v103, v116
	v_and_b32_e32 v33, v34, v33
	v_lshlrev_b32_e32 v34, 3, v5
	ds_write_b32 v112, v116
	s_waitcnt lgkmcnt(0)
	s_barrier
	v_and_b32_e32 v5, v33, v32
	v_add_lshl_u32 v33, v34, v113, 2
	buffer_gl0_inv
	; wave barrier
	v_mbcnt_lo_u32_b32 v32, v5, 0
	v_add_co_u32 v33, null, v12, v33
	v_cmp_ne_u32_e64 s21, 0, v5
	v_cmp_eq_u32_e64 s20, 0, v32
	v_add_co_u32 v33, null, v33, 32
	s_and_b32 s21, s21, s20
	s_and_saveexec_b32 s20, s21
; %bb.181:                              ;   in Loop: Header=BB296_180 Depth=1
	v_bcnt_u32_b32 v5, v5, 0
	ds_write_b32 v33, v5
; %bb.182:                              ;   in Loop: Header=BB296_180 Depth=1
	s_or_b32 exec_lo, exec_lo, s20
	v_lshrrev_b32_sdwa v5, v10, v4 dst_sel:DWORD dst_unused:UNUSED_PAD src0_sel:DWORD src1_sel:BYTE_1
	; wave barrier
	v_and_b32_e32 v5, v5, v64
	v_and_b32_e32 v34, 1, v5
	v_lshlrev_b32_e32 v35, 30, v5
	v_lshlrev_b32_e32 v36, 29, v5
	;; [unrolled: 1-line block ×4, first 2 shown]
	v_add_co_u32 v34, s20, v34, -1
	v_cndmask_b32_e64 v38, 0, 1, s20
	v_not_b32_e32 v50, v35
	v_cmp_gt_i32_e64 s21, 0, v35
	v_not_b32_e32 v35, v36
	v_lshlrev_b32_e32 v48, 26, v5
	v_cmp_ne_u32_e64 s20, 0, v38
	v_ashrrev_i32_e32 v50, 31, v50
	v_lshlrev_b32_e32 v49, 25, v5
	v_ashrrev_i32_e32 v35, 31, v35
	v_lshlrev_b32_e32 v38, 24, v5
	v_xor_b32_e32 v34, s20, v34
	v_cmp_gt_i32_e64 s20, 0, v36
	v_not_b32_e32 v36, v37
	v_xor_b32_e32 v50, s21, v50
	v_cmp_gt_i32_e64 s21, 0, v37
	v_and_b32_e32 v34, exec_lo, v34
	v_not_b32_e32 v37, v39
	v_ashrrev_i32_e32 v36, 31, v36
	v_xor_b32_e32 v35, s20, v35
	v_cmp_gt_i32_e64 s20, 0, v39
	v_and_b32_e32 v34, v34, v50
	v_not_b32_e32 v39, v48
	v_ashrrev_i32_e32 v37, 31, v37
	v_xor_b32_e32 v36, s21, v36
	v_cmp_gt_i32_e64 s21, 0, v48
	v_and_b32_e32 v34, v34, v35
	;; [unrolled: 5-line block ×3, first 2 shown]
	v_not_b32_e32 v36, v38
	v_ashrrev_i32_e32 v35, 31, v35
	v_xor_b32_e32 v39, s21, v39
	v_lshl_add_u32 v5, v5, 3, v113
	v_and_b32_e32 v34, v34, v37
	v_cmp_gt_i32_e64 s21, 0, v38
	v_ashrrev_i32_e32 v36, 31, v36
	v_xor_b32_e32 v35, s20, v35
	v_lshl_add_u32 v38, v5, 2, v12
	v_and_b32_e32 v34, v34, v39
	v_xor_b32_e32 v5, s21, v36
	v_add_nc_u32_e32 v36, 32, v38
	v_and_b32_e32 v35, v34, v35
	ds_read_b32 v34, v38 offset:32
	; wave barrier
	v_and_b32_e32 v37, v35, v5
	v_mov_b32_e32 v5, v87
	v_mbcnt_lo_u32_b32 v35, v37, 0
	v_cmp_ne_u32_e64 s21, 0, v37
	v_cmp_eq_u32_e64 s20, 0, v35
	s_and_b32 s21, s21, s20
	s_and_saveexec_b32 s20, s21
	s_cbranch_execz .LBB296_184
; %bb.183:                              ;   in Loop: Header=BB296_180 Depth=1
	s_waitcnt lgkmcnt(0)
	v_bcnt_u32_b32 v37, v37, v34
	ds_write_b32 v36, v37
.LBB296_184:                            ;   in Loop: Header=BB296_180 Depth=1
	s_or_b32 exec_lo, exec_lo, s20
	v_lshrrev_b32_sdwa v37, v10, v4 dst_sel:DWORD dst_unused:UNUSED_PAD src0_sel:DWORD src1_sel:BYTE_2
	; wave barrier
	v_and_b32_e32 v37, v37, v64
	v_and_b32_e32 v38, 1, v37
	v_lshlrev_b32_e32 v39, 30, v37
	v_lshlrev_b32_e32 v48, 29, v37
	;; [unrolled: 1-line block ×4, first 2 shown]
	v_add_co_u32 v38, s20, v38, -1
	v_cndmask_b32_e64 v50, 0, 1, s20
	v_not_b32_e32 v54, v39
	v_cmp_gt_i32_e64 s21, 0, v39
	v_not_b32_e32 v39, v48
	v_lshlrev_b32_e32 v52, 26, v37
	v_cmp_ne_u32_e64 s20, 0, v50
	v_ashrrev_i32_e32 v54, 31, v54
	v_lshlrev_b32_e32 v53, 25, v37
	v_ashrrev_i32_e32 v39, 31, v39
	v_lshlrev_b32_e32 v50, 24, v37
	v_xor_b32_e32 v38, s20, v38
	v_cmp_gt_i32_e64 s20, 0, v48
	v_not_b32_e32 v48, v49
	v_xor_b32_e32 v54, s21, v54
	v_cmp_gt_i32_e64 s21, 0, v49
	v_and_b32_e32 v38, exec_lo, v38
	v_not_b32_e32 v49, v51
	v_ashrrev_i32_e32 v48, 31, v48
	v_xor_b32_e32 v39, s20, v39
	v_cmp_gt_i32_e64 s20, 0, v51
	v_and_b32_e32 v38, v38, v54
	v_not_b32_e32 v51, v52
	v_ashrrev_i32_e32 v49, 31, v49
	v_xor_b32_e32 v48, s21, v48
	v_cmp_gt_i32_e64 s21, 0, v52
	v_and_b32_e32 v38, v38, v39
	;; [unrolled: 5-line block ×3, first 2 shown]
	v_not_b32_e32 v48, v50
	v_ashrrev_i32_e32 v39, 31, v39
	v_xor_b32_e32 v51, s21, v51
	v_lshl_add_u32 v37, v37, 3, v113
	v_and_b32_e32 v38, v38, v49
	v_cmp_gt_i32_e64 s21, 0, v50
	v_ashrrev_i32_e32 v48, 31, v48
	v_xor_b32_e32 v39, s20, v39
	v_lshl_add_u32 v49, v37, 2, v12
	v_and_b32_e32 v38, v38, v51
	v_xor_b32_e32 v48, s21, v48
	ds_read_b32 v37, v49 offset:32
	v_and_b32_e32 v38, v38, v39
	v_add_nc_u32_e32 v39, 32, v49
	; wave barrier
	v_and_b32_e32 v48, v38, v48
	v_mbcnt_lo_u32_b32 v38, v48, 0
	v_cmp_ne_u32_e64 s21, 0, v48
	v_cmp_eq_u32_e64 s20, 0, v38
	s_and_b32 s21, s21, s20
	s_and_saveexec_b32 s20, s21
	s_cbranch_execz .LBB296_186
; %bb.185:                              ;   in Loop: Header=BB296_180 Depth=1
	s_waitcnt lgkmcnt(0)
	v_bcnt_u32_b32 v48, v48, v37
	ds_write_b32 v39, v48
.LBB296_186:                            ;   in Loop: Header=BB296_180 Depth=1
	s_or_b32 exec_lo, exec_lo, s20
	v_alignbit_b32 v48, v5, v4, 24
	; wave barrier
	v_lshrrev_b32_sdwa v48, v10, v48 dst_sel:DWORD dst_unused:UNUSED_PAD src0_sel:DWORD src1_sel:BYTE_0
	v_and_b32_e32 v48, v48, v64
	v_and_b32_e32 v49, 1, v48
	v_lshlrev_b32_e32 v50, 30, v48
	v_lshlrev_b32_e32 v51, 29, v48
	;; [unrolled: 1-line block ×4, first 2 shown]
	v_add_co_u32 v49, s20, v49, -1
	v_cndmask_b32_e64 v53, 0, 1, s20
	v_not_b32_e32 v66, v50
	v_cmp_gt_i32_e64 s21, 0, v50
	v_not_b32_e32 v50, v51
	v_lshlrev_b32_e32 v55, 26, v48
	v_cmp_ne_u32_e64 s20, 0, v53
	v_ashrrev_i32_e32 v66, 31, v66
	v_lshlrev_b32_e32 v65, 25, v48
	v_ashrrev_i32_e32 v50, 31, v50
	v_lshlrev_b32_e32 v53, 24, v48
	v_xor_b32_e32 v49, s20, v49
	v_cmp_gt_i32_e64 s20, 0, v51
	v_not_b32_e32 v51, v52
	v_xor_b32_e32 v66, s21, v66
	v_cmp_gt_i32_e64 s21, 0, v52
	v_and_b32_e32 v49, exec_lo, v49
	v_not_b32_e32 v52, v54
	v_ashrrev_i32_e32 v51, 31, v51
	v_xor_b32_e32 v50, s20, v50
	v_cmp_gt_i32_e64 s20, 0, v54
	v_and_b32_e32 v49, v49, v66
	v_not_b32_e32 v54, v55
	v_ashrrev_i32_e32 v52, 31, v52
	v_xor_b32_e32 v51, s21, v51
	v_cmp_gt_i32_e64 s21, 0, v55
	v_and_b32_e32 v49, v49, v50
	;; [unrolled: 5-line block ×3, first 2 shown]
	v_not_b32_e32 v51, v53
	v_ashrrev_i32_e32 v50, 31, v50
	v_xor_b32_e32 v54, s21, v54
	v_lshl_add_u32 v48, v48, 3, v113
	v_and_b32_e32 v49, v49, v52
	v_cmp_gt_i32_e64 s21, 0, v53
	v_ashrrev_i32_e32 v51, 31, v51
	v_xor_b32_e32 v50, s20, v50
	v_lshl_add_u32 v52, v48, 2, v12
	v_and_b32_e32 v49, v49, v54
	v_xor_b32_e32 v51, s21, v51
	ds_read_b32 v48, v52 offset:32
	v_and_b32_e32 v49, v49, v50
	v_add_nc_u32_e32 v50, 32, v52
	; wave barrier
	v_and_b32_e32 v51, v49, v51
	v_mbcnt_lo_u32_b32 v49, v51, 0
	v_cmp_ne_u32_e64 s21, 0, v51
	v_cmp_eq_u32_e64 s20, 0, v49
	s_and_b32 s21, s21, s20
	s_and_saveexec_b32 s20, s21
	s_cbranch_execz .LBB296_188
; %bb.187:                              ;   in Loop: Header=BB296_180 Depth=1
	s_waitcnt lgkmcnt(0)
	v_bcnt_u32_b32 v51, v51, v48
	ds_write_b32 v50, v51
.LBB296_188:                            ;   in Loop: Header=BB296_180 Depth=1
	s_or_b32 exec_lo, exec_lo, s20
	v_lshrrev_b32_sdwa v51, v10, v5 dst_sel:DWORD dst_unused:UNUSED_PAD src0_sel:DWORD src1_sel:BYTE_0
	; wave barrier
	v_and_b32_e32 v51, v51, v64
	v_and_b32_e32 v52, 1, v51
	v_lshlrev_b32_e32 v53, 30, v51
	v_lshlrev_b32_e32 v54, 29, v51
	;; [unrolled: 1-line block ×4, first 2 shown]
	v_add_co_u32 v52, s20, v52, -1
	v_cndmask_b32_e64 v65, 0, 1, s20
	v_not_b32_e32 v69, v53
	v_cmp_gt_i32_e64 s21, 0, v53
	v_not_b32_e32 v53, v54
	v_lshlrev_b32_e32 v67, 26, v51
	v_cmp_ne_u32_e64 s20, 0, v65
	v_ashrrev_i32_e32 v69, 31, v69
	v_lshlrev_b32_e32 v68, 25, v51
	v_ashrrev_i32_e32 v53, 31, v53
	v_lshlrev_b32_e32 v65, 24, v51
	v_xor_b32_e32 v52, s20, v52
	v_cmp_gt_i32_e64 s20, 0, v54
	v_not_b32_e32 v54, v55
	v_xor_b32_e32 v69, s21, v69
	v_cmp_gt_i32_e64 s21, 0, v55
	v_and_b32_e32 v52, exec_lo, v52
	v_not_b32_e32 v55, v66
	v_ashrrev_i32_e32 v54, 31, v54
	v_xor_b32_e32 v53, s20, v53
	v_cmp_gt_i32_e64 s20, 0, v66
	v_and_b32_e32 v52, v52, v69
	v_not_b32_e32 v66, v67
	v_ashrrev_i32_e32 v55, 31, v55
	v_xor_b32_e32 v54, s21, v54
	v_cmp_gt_i32_e64 s21, 0, v67
	v_and_b32_e32 v52, v52, v53
	;; [unrolled: 5-line block ×3, first 2 shown]
	v_not_b32_e32 v54, v65
	v_ashrrev_i32_e32 v53, 31, v53
	v_xor_b32_e32 v66, s21, v66
	v_lshl_add_u32 v51, v51, 3, v113
	v_and_b32_e32 v52, v52, v55
	v_cmp_gt_i32_e64 s21, 0, v65
	v_ashrrev_i32_e32 v54, 31, v54
	v_xor_b32_e32 v53, s20, v53
	v_lshl_add_u32 v55, v51, 2, v12
	v_and_b32_e32 v52, v52, v66
	v_xor_b32_e32 v54, s21, v54
	ds_read_b32 v51, v55 offset:32
	v_and_b32_e32 v52, v52, v53
	v_add_nc_u32_e32 v53, 32, v55
	; wave barrier
	v_and_b32_e32 v54, v52, v54
	v_mbcnt_lo_u32_b32 v52, v54, 0
	v_cmp_ne_u32_e64 s21, 0, v54
	v_cmp_eq_u32_e64 s20, 0, v52
	s_and_b32 s21, s21, s20
	s_and_saveexec_b32 s20, s21
	s_cbranch_execz .LBB296_190
; %bb.189:                              ;   in Loop: Header=BB296_180 Depth=1
	s_waitcnt lgkmcnt(0)
	v_bcnt_u32_b32 v54, v54, v51
	ds_write_b32 v53, v54
.LBB296_190:                            ;   in Loop: Header=BB296_180 Depth=1
	s_or_b32 exec_lo, exec_lo, s20
	v_lshrrev_b32_sdwa v54, v10, v5 dst_sel:DWORD dst_unused:UNUSED_PAD src0_sel:DWORD src1_sel:BYTE_1
	; wave barrier
	v_and_b32_e32 v54, v54, v64
	v_and_b32_e32 v55, 1, v54
	v_lshlrev_b32_e32 v65, 30, v54
	v_lshlrev_b32_e32 v66, 29, v54
	;; [unrolled: 1-line block ×4, first 2 shown]
	v_add_co_u32 v55, s20, v55, -1
	v_cndmask_b32_e64 v68, 0, 1, s20
	v_not_b32_e32 v80, v65
	v_cmp_gt_i32_e64 s21, 0, v65
	v_not_b32_e32 v65, v66
	v_lshlrev_b32_e32 v70, 26, v54
	v_cmp_ne_u32_e64 s20, 0, v68
	v_ashrrev_i32_e32 v80, 31, v80
	v_lshlrev_b32_e32 v71, 25, v54
	v_ashrrev_i32_e32 v65, 31, v65
	v_lshlrev_b32_e32 v68, 24, v54
	v_xor_b32_e32 v55, s20, v55
	v_cmp_gt_i32_e64 s20, 0, v66
	v_not_b32_e32 v66, v67
	v_xor_b32_e32 v80, s21, v80
	v_cmp_gt_i32_e64 s21, 0, v67
	v_and_b32_e32 v55, exec_lo, v55
	v_not_b32_e32 v67, v69
	v_ashrrev_i32_e32 v66, 31, v66
	v_xor_b32_e32 v65, s20, v65
	v_cmp_gt_i32_e64 s20, 0, v69
	v_and_b32_e32 v55, v55, v80
	v_not_b32_e32 v69, v70
	v_ashrrev_i32_e32 v67, 31, v67
	v_xor_b32_e32 v66, s21, v66
	v_cmp_gt_i32_e64 s21, 0, v70
	v_and_b32_e32 v55, v55, v65
	;; [unrolled: 5-line block ×3, first 2 shown]
	v_not_b32_e32 v66, v68
	v_ashrrev_i32_e32 v65, 31, v65
	v_xor_b32_e32 v69, s21, v69
	v_lshl_add_u32 v54, v54, 3, v113
	v_and_b32_e32 v55, v55, v67
	v_cmp_gt_i32_e64 s21, 0, v68
	v_ashrrev_i32_e32 v66, 31, v66
	v_xor_b32_e32 v65, s20, v65
	v_lshl_add_u32 v67, v54, 2, v12
	v_and_b32_e32 v55, v55, v69
	v_xor_b32_e32 v66, s21, v66
	ds_read_b32 v54, v67 offset:32
	v_and_b32_e32 v55, v55, v65
	v_add_nc_u32_e32 v65, 32, v67
	; wave barrier
	v_and_b32_e32 v66, v55, v66
	v_mbcnt_lo_u32_b32 v55, v66, 0
	v_cmp_ne_u32_e64 s21, 0, v66
	v_cmp_eq_u32_e64 s20, 0, v55
	s_and_b32 s21, s21, s20
	s_and_saveexec_b32 s20, s21
	s_cbranch_execz .LBB296_192
; %bb.191:                              ;   in Loop: Header=BB296_180 Depth=1
	s_waitcnt lgkmcnt(0)
	v_bcnt_u32_b32 v66, v66, v54
	ds_write_b32 v65, v66
.LBB296_192:                            ;   in Loop: Header=BB296_180 Depth=1
	s_or_b32 exec_lo, exec_lo, s20
	v_lshrrev_b32_sdwa v66, v10, v5 dst_sel:DWORD dst_unused:UNUSED_PAD src0_sel:DWORD src1_sel:BYTE_2
	; wave barrier
	v_and_b32_e32 v66, v66, v64
	v_and_b32_e32 v67, 1, v66
	v_lshlrev_b32_e32 v68, 30, v66
	v_lshlrev_b32_e32 v69, 29, v66
	;; [unrolled: 1-line block ×4, first 2 shown]
	v_add_co_u32 v67, s20, v67, -1
	v_cndmask_b32_e64 v71, 0, 1, s20
	v_not_b32_e32 v83, v68
	v_cmp_gt_i32_e64 s21, 0, v68
	v_not_b32_e32 v68, v69
	v_lshlrev_b32_e32 v81, 26, v66
	v_cmp_ne_u32_e64 s20, 0, v71
	v_ashrrev_i32_e32 v83, 31, v83
	v_lshlrev_b32_e32 v82, 25, v66
	v_ashrrev_i32_e32 v68, 31, v68
	v_lshlrev_b32_e32 v71, 24, v66
	v_xor_b32_e32 v67, s20, v67
	v_cmp_gt_i32_e64 s20, 0, v69
	v_not_b32_e32 v69, v70
	v_xor_b32_e32 v83, s21, v83
	v_cmp_gt_i32_e64 s21, 0, v70
	v_and_b32_e32 v67, exec_lo, v67
	v_not_b32_e32 v70, v80
	v_ashrrev_i32_e32 v69, 31, v69
	v_xor_b32_e32 v68, s20, v68
	v_cmp_gt_i32_e64 s20, 0, v80
	v_and_b32_e32 v67, v67, v83
	v_not_b32_e32 v80, v81
	v_ashrrev_i32_e32 v70, 31, v70
	v_xor_b32_e32 v69, s21, v69
	v_cmp_gt_i32_e64 s21, 0, v81
	v_and_b32_e32 v67, v67, v68
	;; [unrolled: 5-line block ×3, first 2 shown]
	v_not_b32_e32 v69, v71
	v_ashrrev_i32_e32 v68, 31, v68
	v_xor_b32_e32 v80, s21, v80
	v_lshl_add_u32 v66, v66, 3, v113
	v_and_b32_e32 v67, v67, v70
	v_cmp_gt_i32_e64 s21, 0, v71
	v_ashrrev_i32_e32 v69, 31, v69
	v_xor_b32_e32 v68, s20, v68
	v_lshl_add_u32 v70, v66, 2, v12
	v_and_b32_e32 v67, v67, v80
	v_xor_b32_e32 v69, s21, v69
	ds_read_b32 v66, v70 offset:32
	v_and_b32_e32 v67, v67, v68
	v_add_nc_u32_e32 v68, 32, v70
	; wave barrier
	v_and_b32_e32 v69, v67, v69
	v_mbcnt_lo_u32_b32 v67, v69, 0
	v_cmp_ne_u32_e64 s21, 0, v69
	v_cmp_eq_u32_e64 s20, 0, v67
	s_and_b32 s21, s21, s20
	s_and_saveexec_b32 s20, s21
	s_cbranch_execz .LBB296_194
; %bb.193:                              ;   in Loop: Header=BB296_180 Depth=1
	s_waitcnt lgkmcnt(0)
	v_bcnt_u32_b32 v69, v69, v66
	ds_write_b32 v68, v69
.LBB296_194:                            ;   in Loop: Header=BB296_180 Depth=1
	s_or_b32 exec_lo, exec_lo, s20
	v_lshrrev_b32_e32 v160, 24, v5
	; wave barrier
	v_lshrrev_b32_e32 v69, v10, v160
	v_and_b32_e32 v64, v69, v64
	v_and_b32_e32 v69, 1, v64
	v_lshlrev_b32_e32 v70, 30, v64
	v_lshlrev_b32_e32 v71, 29, v64
	;; [unrolled: 1-line block ×4, first 2 shown]
	v_add_co_u32 v69, s20, v69, -1
	v_cndmask_b32_e64 v81, 0, 1, s20
	v_not_b32_e32 v85, v70
	v_cmp_gt_i32_e64 s21, 0, v70
	v_not_b32_e32 v70, v71
	v_lshlrev_b32_e32 v83, 26, v64
	v_cmp_ne_u32_e64 s20, 0, v81
	v_ashrrev_i32_e32 v85, 31, v85
	v_lshlrev_b32_e32 v84, 25, v64
	v_ashrrev_i32_e32 v70, 31, v70
	v_lshlrev_b32_e32 v81, 24, v64
	v_xor_b32_e32 v69, s20, v69
	v_cmp_gt_i32_e64 s20, 0, v71
	v_not_b32_e32 v71, v80
	v_xor_b32_e32 v85, s21, v85
	v_cmp_gt_i32_e64 s21, 0, v80
	v_and_b32_e32 v69, exec_lo, v69
	v_not_b32_e32 v80, v82
	v_ashrrev_i32_e32 v71, 31, v71
	v_xor_b32_e32 v70, s20, v70
	v_cmp_gt_i32_e64 s20, 0, v82
	v_and_b32_e32 v69, v69, v85
	v_not_b32_e32 v82, v83
	v_ashrrev_i32_e32 v80, 31, v80
	v_xor_b32_e32 v71, s21, v71
	v_cmp_gt_i32_e64 s21, 0, v83
	v_and_b32_e32 v69, v69, v70
	;; [unrolled: 5-line block ×3, first 2 shown]
	v_not_b32_e32 v71, v81
	v_ashrrev_i32_e32 v70, 31, v70
	v_xor_b32_e32 v82, s21, v82
	v_lshl_add_u32 v64, v64, 3, v113
	v_and_b32_e32 v69, v69, v80
	v_cmp_gt_i32_e64 s21, 0, v81
	v_ashrrev_i32_e32 v71, 31, v71
	v_xor_b32_e32 v70, s20, v70
	v_lshl_add_u32 v80, v64, 2, v12
	v_and_b32_e32 v69, v69, v82
	v_xor_b32_e32 v71, s21, v71
	ds_read_b32 v64, v80 offset:32
	v_and_b32_e32 v69, v69, v70
	v_add_nc_u32_e32 v70, 32, v80
	; wave barrier
	v_and_b32_e32 v71, v69, v71
	v_mbcnt_lo_u32_b32 v69, v71, 0
	v_cmp_ne_u32_e64 s21, 0, v71
	v_cmp_eq_u32_e64 s20, 0, v69
	s_and_b32 s21, s21, s20
	s_and_saveexec_b32 s20, s21
	s_cbranch_execz .LBB296_196
; %bb.195:                              ;   in Loop: Header=BB296_180 Depth=1
	s_waitcnt lgkmcnt(0)
	v_bcnt_u32_b32 v71, v71, v64
	ds_write_b32 v70, v71
.LBB296_196:                            ;   in Loop: Header=BB296_180 Depth=1
	s_or_b32 exec_lo, exec_lo, s20
	; wave barrier
	s_waitcnt lgkmcnt(0)
	s_barrier
	buffer_gl0_inv
	ds_read_b32 v80, v9
	ds_read_b32 v81, v98
	;; [unrolled: 1-line block ×8, first 2 shown]
	s_waitcnt lgkmcnt(6)
	v_add_nc_u32_e32 v87, v81, v80
	s_waitcnt lgkmcnt(4)
	v_add3_u32 v87, v87, v82, v83
	s_waitcnt lgkmcnt(2)
	v_add3_u32 v87, v87, v84, v85
	s_waitcnt lgkmcnt(0)
	v_add3_u32 v86, v87, v71, v86
	v_mov_b32_dpp v87, v86 row_shr:1 row_mask:0xf bank_mask:0xf
	v_cndmask_b32_e64 v87, v87, 0, vcc_lo
	v_add_nc_u32_e32 v86, v87, v86
	v_mov_b32_dpp v87, v86 row_shr:2 row_mask:0xf bank_mask:0xf
	v_cndmask_b32_e64 v87, 0, v87, s4
	v_add_nc_u32_e32 v86, v86, v87
	v_mov_b32_dpp v87, v86 row_shr:4 row_mask:0xf bank_mask:0xf
	v_cndmask_b32_e64 v87, 0, v87, s5
	;; [unrolled: 3-line block ×3, first 2 shown]
	v_add_nc_u32_e32 v86, v86, v87
	ds_swizzle_b32 v87, v86 offset:swizzle(BROADCAST,32,15)
	s_waitcnt lgkmcnt(0)
	v_cndmask_b32_e64 v87, v87, 0, s10
	v_add_nc_u32_e32 v86, v86, v87
	s_and_saveexec_b32 s20, s11
; %bb.197:                              ;   in Loop: Header=BB296_180 Depth=1
	ds_write_b32 v115, v86
; %bb.198:                              ;   in Loop: Header=BB296_180 Depth=1
	s_or_b32 exec_lo, exec_lo, s20
	s_waitcnt lgkmcnt(0)
	s_barrier
	buffer_gl0_inv
	s_and_saveexec_b32 s20, s14
	s_cbranch_execz .LBB296_200
; %bb.199:                              ;   in Loop: Header=BB296_180 Depth=1
	ds_read_b32 v87, v117
	s_waitcnt lgkmcnt(0)
	v_mov_b32_dpp v96, v87 row_shr:1 row_mask:0xf bank_mask:0xf
	v_cndmask_b32_e64 v96, v96, 0, s17
	v_add_nc_u32_e32 v87, v96, v87
	v_mov_b32_dpp v96, v87 row_shr:2 row_mask:0xf bank_mask:0xf
	v_cndmask_b32_e64 v96, 0, v96, s18
	v_add_nc_u32_e32 v87, v87, v96
	;; [unrolled: 3-line block ×3, first 2 shown]
	ds_write_b32 v117, v87
.LBB296_200:                            ;   in Loop: Header=BB296_180 Depth=1
	s_or_b32 exec_lo, exec_lo, s20
	v_mov_b32_e32 v87, 0
	s_waitcnt lgkmcnt(0)
	s_barrier
	buffer_gl0_inv
	s_and_saveexec_b32 s20, s15
; %bb.201:                              ;   in Loop: Header=BB296_180 Depth=1
	ds_read_b32 v87, v119
; %bb.202:                              ;   in Loop: Header=BB296_180 Depth=1
	s_or_b32 exec_lo, exec_lo, s20
	s_waitcnt lgkmcnt(0)
	v_add_nc_u32_e32 v86, v87, v86
	v_add_nc_u32_e32 v10, 8, v10
	v_mov_b32_e32 v177, v4
	v_lshrrev_b32_e32 v178, 8, v4
	v_lshrrev_b32_e32 v181, 16, v4
	ds_bpermute_b32 v86, v114, v86
	v_lshrrev_b32_e32 v179, 8, v5
	v_lshrrev_b32_e32 v180, 16, v5
	v_cmp_lt_u32_e64 s20, v10, v11
	s_mov_b32 s26, -1
	s_waitcnt lgkmcnt(0)
	v_cndmask_b32_e64 v86, v86, v87, s6
	v_cndmask_b32_e64 v86, v86, 0, s16
	v_add_nc_u32_e32 v80, v86, v80
	v_add_nc_u32_e32 v81, v80, v81
	ds_write_b32 v9, v86
	ds_write_b32 v98, v80
	;; [unrolled: 1-line block ×3, first 2 shown]
	v_lshrrev_b64 v[86:87], 24, v[4:5]
	v_add_nc_u32_e32 v82, v81, v82
                                        ; implicit-def: $vgpr87
	v_add_nc_u32_e32 v83, v82, v83
	v_add_nc_u32_e32 v84, v83, v84
	;; [unrolled: 1-line block ×4, first 2 shown]
	ds_write_b32 v100, v82
	ds_write_b32 v101, v83
	;; [unrolled: 1-line block ×5, first 2 shown]
	s_waitcnt lgkmcnt(0)
	s_barrier
	buffer_gl0_inv
	ds_read_b32 v33, v33
	ds_read_b32 v36, v36
	;; [unrolled: 1-line block ×8, first 2 shown]
	s_waitcnt lgkmcnt(0)
	v_add_nc_u32_e32 v176, v33, v32
	v_add3_u32 v167, v35, v34, v36
	v_add3_u32 v166, v38, v37, v39
	v_add3_u32 v165, v49, v48, v50
	v_add3_u32 v164, v52, v51, v53
	v_add3_u32 v163, v55, v54, v65
	v_add3_u32 v162, v67, v66, v68
	v_add_co_u32 v68, s21, v12, v176
	v_add3_u32 v161, v69, v64, v70
	v_add_co_ci_u32_e64 v69, null, 0, v13, s21
	v_add_co_u32 v80, s21, v12, v167
	v_add_co_ci_u32_e64 v81, null, 0, v13, s21
	v_add_co_u32 v64, s21, v12, v166
	;; [unrolled: 2-line block ×7, first 2 shown]
	v_add_co_ci_u32_e64 v97, null, 0, v13, s21
                                        ; implicit-def: $vgpr34_vgpr35
                                        ; implicit-def: $vgpr38_vgpr39
                                        ; implicit-def: $vgpr48_vgpr49
                                        ; implicit-def: $vgpr50_vgpr51
                                        ; implicit-def: $vgpr52_vgpr53
                                        ; implicit-def: $vgpr54_vgpr55
                                        ; implicit-def: $vgpr32_vgpr33
                                        ; implicit-def: $vgpr36_vgpr37
	s_and_saveexec_b32 s21, s20
	s_cbranch_execz .LBB296_179
; %bb.203:                              ;   in Loop: Header=BB296_180 Depth=1
	v_mad_u64_u32 v[32:33], null, v176, 7, v[68:69]
	v_mad_u64_u32 v[33:34], null, v167, 7, v[80:81]
	;; [unrolled: 1-line block ×4, first 2 shown]
	s_barrier
	buffer_gl0_inv
	ds_write_b8 v68, v4
	ds_write_b8 v80, v178
	;; [unrolled: 1-line block ×8, first 2 shown]
	s_waitcnt lgkmcnt(0)
	s_barrier
	buffer_gl0_inv
	ds_read_u8 v4, v130
	ds_read_u8 v87, v129
	;; [unrolled: 1-line block ×8, first 2 shown]
	v_mad_u64_u32 v[36:37], null, v164, 7, v[70:71]
	v_mad_u64_u32 v[37:38], null, v163, 7, v[82:83]
	;; [unrolled: 1-line block ×4, first 2 shown]
	s_waitcnt lgkmcnt(0)
	s_barrier
	buffer_gl0_inv
	ds_write_b64 v32, v[26:27]
	ds_write_b64 v33, v[23:24]
	;; [unrolled: 1-line block ×8, first 2 shown]
	s_waitcnt lgkmcnt(0)
	s_barrier
	buffer_gl0_inv
	ds_read_b64 v[34:35], v132
	ds_read_b64 v[38:39], v144
	;; [unrolled: 1-line block ×8, first 2 shown]
	v_perm_b32 v182, v183, v182, 0xc0c0004
	v_perm_b32 v4, v87, v4, 0xc0c0004
	;; [unrolled: 1-line block ×4, first 2 shown]
	v_add_nc_u32_e32 v151, -8, v151
	s_xor_b32 s26, exec_lo, -1
	v_lshl_or_b32 v4, v4, 16, v182
	s_waitcnt lgkmcnt(0)
	v_lshl_or_b32 v87, v183, 16, v87
	s_barrier
	buffer_gl0_inv
	s_branch .LBB296_179
.LBB296_204:
	flat_load_dwordx2 v[82:83], v[4:5]
	s_or_b32 exec_lo, exec_lo, s24
                                        ; implicit-def: $vgpr84_vgpr85
	s_and_saveexec_b32 s24, s4
	s_cbranch_execz .LBB296_38
.LBB296_205:
	flat_load_dwordx2 v[84:85], v[4:5] offset:256
	s_or_b32 exec_lo, exec_lo, s24
                                        ; implicit-def: $vgpr86_vgpr87
	s_and_saveexec_b32 s4, s5
	s_cbranch_execz .LBB296_39
.LBB296_206:
	flat_load_dwordx2 v[86:87], v[4:5] offset:512
	s_or_b32 exec_lo, exec_lo, s4
                                        ; implicit-def: $vgpr96_vgpr97
	s_and_saveexec_b32 s4, s6
	s_cbranch_execz .LBB296_40
.LBB296_207:
	flat_load_dwordx2 v[96:97], v[4:5] offset:768
	s_or_b32 exec_lo, exec_lo, s4
                                        ; implicit-def: $vgpr98_vgpr99
	s_and_saveexec_b32 s4, s7
	s_cbranch_execz .LBB296_41
.LBB296_208:
	flat_load_dwordx2 v[98:99], v[4:5] offset:1024
	s_or_b32 exec_lo, exec_lo, s4
                                        ; implicit-def: $vgpr100_vgpr101
	s_and_saveexec_b32 s4, s10
	s_cbranch_execz .LBB296_42
.LBB296_209:
	flat_load_dwordx2 v[100:101], v[4:5] offset:1280
	s_or_b32 exec_lo, exec_lo, s4
                                        ; implicit-def: $vgpr102_vgpr103
	s_and_saveexec_b32 s4, s11
	s_cbranch_execz .LBB296_43
.LBB296_210:
	flat_load_dwordx2 v[102:103], v[4:5] offset:1536
	s_or_b32 exec_lo, exec_lo, s4
                                        ; implicit-def: $vgpr112_vgpr113
	s_and_saveexec_b32 s4, s14
	s_cbranch_execz .LBB296_44
.LBB296_211:
	flat_load_dwordx2 v[112:113], v[4:5] offset:1792
	s_or_b32 exec_lo, exec_lo, s4
                                        ; implicit-def: $vgpr114_vgpr115
	s_and_saveexec_b32 s4, s15
	s_cbranch_execz .LBB296_45
.LBB296_212:
	v_add_co_u32 v15, vcc_lo, 0x800, v4
	v_add_co_ci_u32_e64 v16, null, 0, v5, vcc_lo
	flat_load_dwordx2 v[114:115], v[15:16]
	s_or_b32 exec_lo, exec_lo, s4
                                        ; implicit-def: $vgpr116_vgpr117
	s_and_saveexec_b32 s4, s16
	s_cbranch_execz .LBB296_46
.LBB296_213:
	v_add_co_u32 v15, vcc_lo, 0x800, v4
	v_add_co_ci_u32_e64 v16, null, 0, v5, vcc_lo
	flat_load_dwordx2 v[116:117], v[15:16] offset:256
	s_or_b32 exec_lo, exec_lo, s4
                                        ; implicit-def: $vgpr130_vgpr131
	s_and_saveexec_b32 s4, s17
	s_cbranch_execz .LBB296_47
.LBB296_214:
	v_add_co_u32 v15, vcc_lo, 0x800, v4
	v_add_co_ci_u32_e64 v16, null, 0, v5, vcc_lo
	flat_load_dwordx2 v[130:131], v[15:16] offset:512
	s_or_b32 exec_lo, exec_lo, s4
                                        ; implicit-def: $vgpr134_vgpr135
	s_and_saveexec_b32 s4, s18
	s_cbranch_execz .LBB296_48
.LBB296_215:
	v_add_co_u32 v15, vcc_lo, 0x800, v4
	v_add_co_ci_u32_e64 v16, null, 0, v5, vcc_lo
	flat_load_dwordx2 v[134:135], v[15:16] offset:768
	s_or_b32 exec_lo, exec_lo, s4
                                        ; implicit-def: $vgpr146_vgpr147
	s_and_saveexec_b32 s4, s19
	s_cbranch_execz .LBB296_49
.LBB296_216:
	v_add_co_u32 v15, vcc_lo, 0x800, v4
	v_add_co_ci_u32_e64 v16, null, 0, v5, vcc_lo
	flat_load_dwordx2 v[146:147], v[15:16] offset:1024
	s_or_b32 exec_lo, exec_lo, s4
                                        ; implicit-def: $vgpr118_vgpr119
	s_and_saveexec_b32 s4, s20
	s_cbranch_execz .LBB296_50
.LBB296_217:
	v_add_co_u32 v15, vcc_lo, 0x800, v4
	v_add_co_ci_u32_e64 v16, null, 0, v5, vcc_lo
	flat_load_dwordx2 v[118:119], v[15:16] offset:1280
	s_or_b32 exec_lo, exec_lo, s4
                                        ; implicit-def: $vgpr128_vgpr129
	s_and_saveexec_b32 s4, s21
	s_cbranch_execz .LBB296_51
.LBB296_218:
	v_add_co_u32 v15, vcc_lo, 0x800, v4
	v_add_co_ci_u32_e64 v16, null, 0, v5, vcc_lo
	flat_load_dwordx2 v[128:129], v[15:16] offset:1536
	s_or_b32 exec_lo, exec_lo, s4
                                        ; implicit-def: $vgpr132_vgpr133
	s_and_saveexec_b32 s4, s22
	s_cbranch_execz .LBB296_52
.LBB296_219:
	v_add_co_u32 v15, vcc_lo, 0x800, v4
	v_add_co_ci_u32_e64 v16, null, 0, v5, vcc_lo
	flat_load_dwordx2 v[132:133], v[15:16] offset:1792
	s_or_b32 exec_lo, exec_lo, s4
                                        ; implicit-def: $vgpr144_vgpr145
	s_and_saveexec_b32 s4, s23
	s_cbranch_execnz .LBB296_53
	s_branch .LBB296_54
.LBB296_220:
	flat_store_dwordx2 v[0:1], v[48:49]
	s_or_b32 exec_lo, exec_lo, s24
	s_and_saveexec_b32 s24, s17
	s_cbranch_execz .LBB296_134
.LBB296_221:
	v_add_co_u32 v2, s4, 0x800, v0
	v_add_co_ci_u32_e64 v3, null, 0, v1, s4
	flat_store_dwordx2 v[2:3], v[50:51]
	s_or_b32 exec_lo, exec_lo, s24
	s_and_saveexec_b32 s17, s15
	s_cbranch_execz .LBB296_135
.LBB296_222:
	v_add_co_u32 v2, s4, 0x1000, v0
	v_add_co_ci_u32_e64 v3, null, 0, v1, s4
	flat_store_dwordx2 v[2:3], v[33:34]
	s_or_b32 exec_lo, exec_lo, s17
	s_and_saveexec_b32 s15, s14
	s_cbranch_execz .LBB296_136
.LBB296_223:
	v_add_co_u32 v2, s4, 0x1800, v0
	v_add_co_ci_u32_e64 v3, null, 0, v1, s4
	flat_store_dwordx2 v[2:3], v[35:36]
	s_or_b32 exec_lo, exec_lo, s15
	s_and_saveexec_b32 s14, s11
	s_cbranch_execz .LBB296_137
.LBB296_224:
	v_add_co_u32 v2, s4, 0x2000, v0
	v_add_co_ci_u32_e64 v3, null, 0, v1, s4
	flat_store_dwordx2 v[2:3], v[29:30]
	s_or_b32 exec_lo, exec_lo, s14
	s_and_saveexec_b32 s11, s7
	s_cbranch_execz .LBB296_138
.LBB296_225:
	v_add_co_u32 v2, s4, 0x2800, v0
	v_add_co_ci_u32_e64 v3, null, 0, v1, s4
	flat_store_dwordx2 v[2:3], v[31:32]
	s_or_b32 exec_lo, exec_lo, s11
	s_and_saveexec_b32 s7, s6
	s_cbranch_execz .LBB296_139
.LBB296_226:
	v_add_co_u32 v2, s4, 0x3000, v0
	v_add_co_ci_u32_e64 v3, null, 0, v1, s4
	flat_store_dwordx2 v[2:3], v[25:26]
	s_or_b32 exec_lo, exec_lo, s7
	s_and_saveexec_b32 s6, s5
	s_cbranch_execz .LBB296_140
.LBB296_227:
	v_add_co_u32 v2, s4, 0x3800, v0
	v_add_co_ci_u32_e64 v3, null, 0, v1, s4
	flat_store_dwordx2 v[2:3], v[27:28]
	s_or_b32 exec_lo, exec_lo, s6
	s_and_saveexec_b32 s4, vcc_lo
	s_cbranch_execz .LBB296_141
.LBB296_228:
	v_add_co_u32 v2, vcc_lo, 0x4000, v0
	v_add_co_ci_u32_e64 v3, null, 0, v1, vcc_lo
	flat_store_dwordx2 v[2:3], v[21:22]
	s_or_b32 exec_lo, exec_lo, s4
	s_and_saveexec_b32 s4, s10
	s_cbranch_execz .LBB296_142
.LBB296_229:
	v_add_co_u32 v2, vcc_lo, 0x4800, v0
	v_add_co_ci_u32_e64 v3, null, 0, v1, vcc_lo
	flat_store_dwordx2 v[2:3], v[23:24]
	s_or_b32 exec_lo, exec_lo, s4
	s_and_saveexec_b32 s4, s16
	s_cbranch_execz .LBB296_143
.LBB296_230:
	v_add_co_u32 v2, vcc_lo, 0x5000, v0
	v_add_co_ci_u32_e64 v3, null, 0, v1, vcc_lo
	flat_store_dwordx2 v[2:3], v[17:18]
	s_or_b32 exec_lo, exec_lo, s4
	s_and_saveexec_b32 s4, s18
	s_cbranch_execz .LBB296_144
.LBB296_231:
	v_add_co_u32 v2, vcc_lo, 0x5800, v0
	v_add_co_ci_u32_e64 v3, null, 0, v1, vcc_lo
	flat_store_dwordx2 v[2:3], v[19:20]
	s_or_b32 exec_lo, exec_lo, s4
	s_and_saveexec_b32 s4, s19
	s_cbranch_execz .LBB296_145
.LBB296_232:
	v_add_co_u32 v2, vcc_lo, 0x6000, v0
	v_add_co_ci_u32_e64 v3, null, 0, v1, vcc_lo
	flat_store_dwordx2 v[2:3], v[13:14]
	s_or_b32 exec_lo, exec_lo, s4
	s_and_saveexec_b32 s4, s20
	s_cbranch_execz .LBB296_146
.LBB296_233:
	v_add_co_u32 v2, vcc_lo, 0x6800, v0
	v_add_co_ci_u32_e64 v3, null, 0, v1, vcc_lo
	flat_store_dwordx2 v[2:3], v[15:16]
	s_or_b32 exec_lo, exec_lo, s4
	s_and_saveexec_b32 s4, s21
	s_cbranch_execz .LBB296_147
.LBB296_234:
	v_add_co_u32 v2, vcc_lo, 0x7000, v0
	v_add_co_ci_u32_e64 v3, null, 0, v1, vcc_lo
	flat_store_dwordx2 v[2:3], v[9:10]
	s_or_b32 exec_lo, exec_lo, s4
	s_and_saveexec_b32 s4, s22
	s_cbranch_execz .LBB296_148
.LBB296_235:
	v_add_co_u32 v2, vcc_lo, 0x7800, v0
	v_add_co_ci_u32_e64 v3, null, 0, v1, vcc_lo
	flat_store_dwordx2 v[2:3], v[11:12]
	s_or_b32 exec_lo, exec_lo, s4
	s_and_saveexec_b32 s4, s23
	s_cbranch_execnz .LBB296_149
	s_branch .LBB296_150
.LBB296_236:
	s_or_b32 exec_lo, exec_lo, s24
	v_mad_u64_u32 v[9:10], null, v176, 7, v[68:69]
	v_mad_u64_u32 v[10:11], null, v167, 7, v[80:81]
	v_add_nc_u32_e32 v38, v12, v14
	s_barrier
	buffer_gl0_inv
	ds_write_b8 v68, v177
	ds_write_b8 v80, v178
	;; [unrolled: 1-line block ×8, first 2 shown]
	s_waitcnt lgkmcnt(0)
	s_barrier
	buffer_gl0_inv
	ds_read_u8 v37, v38
	ds_read_u8 v36, v38 offset:256
	ds_read_u8 v35, v38 offset:512
	;; [unrolled: 1-line block ×7, first 2 shown]
	s_waitcnt lgkmcnt(0)
	s_barrier
	buffer_gl0_inv
	ds_write_b64 v9, v[26:27]
	ds_write_b64 v10, v[23:24]
	v_mad_u64_u32 v[9:10], null, v166, 7, v[64:65]
	v_mad_u64_u32 v[10:11], null, v165, 7, v[66:67]
	;; [unrolled: 1-line block ×4, first 2 shown]
	ds_write_b64 v9, v[21:22]
	v_mul_u32_u24_e32 v9, 7, v14
	v_mad_u64_u32 v[12:13], null, v163, 7, v[82:83]
	v_mad_u64_u32 v[23:24], null, v162, 7, v[84:85]
	v_add_nc_u32_e32 v9, v38, v9
	ds_write_b64 v10, v[19:20]
	ds_write_b64 v11, v[17:18]
	;; [unrolled: 1-line block ×5, first 2 shown]
	s_waitcnt lgkmcnt(0)
	s_barrier
	buffer_gl0_inv
	ds_read2st64_b64 v[21:24], v9 offset1:4
	ds_read2st64_b64 v[17:20], v9 offset0:8 offset1:12
	ds_read2st64_b64 v[13:16], v9 offset0:16 offset1:20
	;; [unrolled: 1-line block ×3, first 2 shown]
	v_add_co_u32 v2, vcc_lo, v2, v8
	v_add_co_ci_u32_e64 v3, null, 0, v3, vcc_lo
	v_mov_b32_e32 v26, 0
	v_add_co_u32 v2, vcc_lo, v2, v25
	v_add_co_ci_u32_e64 v3, null, 0, v3, vcc_lo
	v_cmp_lt_u32_e32 vcc_lo, v25, v226
	s_waitcnt lgkmcnt(0)
	s_barrier
	buffer_gl0_inv
	s_and_saveexec_b32 s4, vcc_lo
	s_cbranch_execz .LBB296_238
; %bb.237:
	v_xor_b32_e32 v8, 0x7f, v37
	flat_store_byte v[2:3], v8
.LBB296_238:
	s_or_b32 exec_lo, exec_lo, s4
	v_add_nc_u32_e32 v8, 0x100, v25
	v_cmp_lt_u32_e64 s14, v8, v226
	s_and_saveexec_b32 s4, s14
	s_cbranch_execz .LBB296_240
; %bb.239:
	v_xor_b32_e32 v8, 0x7f, v36
	flat_store_byte v[2:3], v8 offset:256
.LBB296_240:
	s_or_b32 exec_lo, exec_lo, s4
	v_add_nc_u32_e32 v8, 0x200, v25
	v_cmp_lt_u32_e64 s11, v8, v226
	s_and_saveexec_b32 s4, s11
	s_cbranch_execz .LBB296_242
; %bb.241:
	v_xor_b32_e32 v8, 0x7f, v35
	flat_store_byte v[2:3], v8 offset:512
.LBB296_242:
	;; [unrolled: 9-line block ×7, first 2 shown]
	s_or_b32 exec_lo, exec_lo, s15
	v_lshlrev_b64 v[2:3], 3, v[25:26]
	v_add_co_u32 v0, s15, v6, v0
	v_add_co_ci_u32_e64 v1, null, v7, v1, s15
	v_add_co_u32 v0, s15, v0, v2
	v_add_co_ci_u32_e64 v1, null, v1, v3, s15
	s_and_saveexec_b32 s15, vcc_lo
	s_cbranch_execnz .LBB296_302
; %bb.253:
	s_or_b32 exec_lo, exec_lo, s15
	s_and_saveexec_b32 s15, s14
	s_cbranch_execnz .LBB296_303
.LBB296_254:
	s_or_b32 exec_lo, exec_lo, s15
	s_and_saveexec_b32 s14, s11
	s_cbranch_execnz .LBB296_304
.LBB296_255:
	s_or_b32 exec_lo, exec_lo, s14
	s_and_saveexec_b32 s11, s10
	s_cbranch_execnz .LBB296_305
.LBB296_256:
	s_or_b32 exec_lo, exec_lo, s11
	s_and_saveexec_b32 s10, s7
	s_cbranch_execnz .LBB296_306
.LBB296_257:
	s_or_b32 exec_lo, exec_lo, s10
	s_and_saveexec_b32 s7, s6
	s_cbranch_execnz .LBB296_307
.LBB296_258:
	s_or_b32 exec_lo, exec_lo, s7
	s_and_saveexec_b32 s6, s5
	s_cbranch_execnz .LBB296_308
.LBB296_259:
	s_or_b32 exec_lo, exec_lo, s6
	s_and_saveexec_b32 s5, s4
	s_cbranch_execz .LBB296_261
.LBB296_260:
	v_add_co_u32 v0, vcc_lo, 0x3800, v0
	v_add_co_ci_u32_e64 v1, null, 0, v1, vcc_lo
	flat_store_dwordx2 v[0:1], v[11:12]
.LBB296_261:
	s_or_b32 exec_lo, exec_lo, s5
                                        ; implicit-def: $vgpr226
                                        ; implicit-def: $vgpr0
                                        ; implicit-def: $vgpr1
                                        ; implicit-def: $vgpr2
                                        ; implicit-def: $vgpr3
                                        ; implicit-def: $vgpr4
                                        ; implicit-def: $vgpr5
                                        ; implicit-def: $vgpr6
                                        ; implicit-def: $vgpr7
                                        ; implicit-def: $vgpr8
                                        ; implicit-def: $vgpr10
                                        ; implicit-def: $vgpr11
                                        ; implicit-def: $vgpr12
                                        ; implicit-def: $vgpr13
                                        ; implicit-def: $vgpr15
                                        ; implicit-def: $vgpr16
                                        ; implicit-def: $vgpr14
                                        ; implicit-def: $vgpr30
.LBB296_262:
	s_andn2_saveexec_b32 s4, s22
	s_cbranch_execz .LBB296_382
; %bb.263:
	s_mov_b32 s4, exec_lo
	v_cmpx_lt_u32_e32 0x200, v226
	s_xor_b32 s22, exec_lo, s4
	s_cbranch_execz .LBB296_323
; %bb.264:
	s_load_dwordx2 s[4:5], s[8:9], 0x0
	v_mov_b32_e32 v9, 0
	v_add_co_u32 v0, vcc_lo, v0, v8
	v_add_co_ci_u32_e64 v1, null, 0, v1, vcc_lo
	v_mov_b32_e32 v20, 0x80
	v_add_co_u32 v0, vcc_lo, v0, v30
	v_add_co_ci_u32_e64 v1, null, 0, v1, vcc_lo
	v_mov_b32_e32 v19, 0x80
	v_mov_b32_e32 v21, 0x80
	s_waitcnt lgkmcnt(0)
	s_cmp_lt_u32 s13, s5
	s_cselect_b32 s5, 14, 20
	s_add_u32 s6, s8, s5
	s_addc_u32 s7, s9, 0
	s_cmp_lt_u32 s12, s4
	global_load_ushort v17, v9, s[6:7]
	s_cselect_b32 s4, 12, 18
	s_add_u32 s4, s8, s4
	s_addc_u32 s5, s9, 0
	global_load_ushort v18, v9, s[4:5]
	s_waitcnt vmcnt(1)
	v_mad_u32_u24 v15, v16, v17, v15
	v_mov_b32_e32 v16, v9
	s_waitcnt vmcnt(0)
	v_mad_u64_u32 v[17:18], null, v15, v18, v[14:15]
	v_mov_b32_e32 v18, 0x80
	v_lshlrev_b32_e32 v15, 2, v17
	v_and_b32_e32 v15, 0xffffff80, v15
	v_or_b32_e32 v22, v15, v30
	v_add_co_u32 v0, vcc_lo, v0, v15
	v_add_co_ci_u32_e64 v1, null, 0, v1, vcc_lo
	v_cmp_lt_u32_e32 vcc_lo, v22, v226
	s_and_saveexec_b32 s4, vcc_lo
	s_cbranch_execz .LBB296_266
; %bb.265:
	flat_load_ubyte v20, v[0:1]
	v_mov_b32_e32 v18, 0x80
	v_mov_b32_e32 v19, 0x80
	;; [unrolled: 1-line block ×3, first 2 shown]
.LBB296_266:
	s_or_b32 exec_lo, exec_lo, s4
	v_or_b32_e32 v23, 32, v22
	v_cmp_lt_u32_e64 s4, v23, v226
	s_and_saveexec_b32 s5, s4
	s_cbranch_execz .LBB296_268
; %bb.267:
	flat_load_ubyte v19, v[0:1] offset:32
.LBB296_268:
	s_or_b32 exec_lo, exec_lo, s5
	v_or_b32_e32 v23, 64, v22
	v_cmp_lt_u32_e64 s5, v23, v226
	s_and_saveexec_b32 s6, s5
	s_cbranch_execz .LBB296_270
; %bb.269:
	flat_load_ubyte v21, v[0:1] offset:64
.LBB296_270:
	;; [unrolled: 8-line block ×3, first 2 shown]
	s_or_b32 exec_lo, exec_lo, s7
	v_lshlrev_b64 v[0:1], 3, v[8:9]
	v_lshlrev_b32_e32 v9, 3, v30
                                        ; implicit-def: $vgpr26_vgpr27
	v_add_co_u32 v22, s7, v4, v0
	v_add_co_ci_u32_e64 v23, null, v5, v1, s7
	v_lshlrev_b64 v[4:5], 3, v[15:16]
	v_add_co_u32 v9, s7, v22, v9
	v_add_co_ci_u32_e64 v15, null, 0, v23, s7
	v_add_co_u32 v4, s7, v9, v4
	v_add_co_ci_u32_e64 v5, null, v15, v5, s7
	s_and_saveexec_b32 s7, vcc_lo
	s_cbranch_execnz .LBB296_347
; %bb.273:
	s_or_b32 exec_lo, exec_lo, s7
                                        ; implicit-def: $vgpr28_vgpr29
	s_and_saveexec_b32 s7, s4
	s_cbranch_execnz .LBB296_348
.LBB296_274:
	s_or_b32 exec_lo, exec_lo, s7
                                        ; implicit-def: $vgpr22_vgpr23
	s_and_saveexec_b32 s4, s5
	s_cbranch_execnz .LBB296_349
.LBB296_275:
	s_or_b32 exec_lo, exec_lo, s4
                                        ; implicit-def: $vgpr24_vgpr25
	s_and_saveexec_b32 s4, s6
	s_cbranch_execz .LBB296_277
.LBB296_276:
	flat_load_dwordx2 v[24:25], v[4:5] offset:768
.LBB296_277:
	s_or_b32 exec_lo, exec_lo, s4
	v_mov_b32_e32 v4, 0x7f
	s_waitcnt vmcnt(0) lgkmcnt(0)
	v_xor_b32_e32 v5, 0x7f, v20
	v_xor_b32_e32 v15, 0x7f, v21
	v_lshl_add_u32 v16, v14, 5, v12
	s_getpc_b64 s[4:5]
	s_add_u32 s4, s4, _ZN7rocprim17ROCPRIM_400000_NS16block_radix_sortIaLj256ELj4ElLj1ELj1ELj8ELNS0_26block_radix_rank_algorithmE2ELNS0_18block_padding_hintE2ELNS0_4arch9wavefront6targetE0EE19radix_bits_per_passE@rel32@lo+4
	s_addc_u32 s5, s5, _ZN7rocprim17ROCPRIM_400000_NS16block_radix_sortIaLj256ELj4ElLj1ELj1ELj8ELNS0_26block_radix_rank_algorithmE2ELNS0_18block_padding_hintE2ELNS0_4arch9wavefront6targetE0EE19radix_bits_per_passE@rel32@hi+12
	v_xor_b32_sdwa v19, v19, v4 dst_sel:BYTE_1 dst_unused:UNUSED_PAD src0_sel:DWORD src1_sel:DWORD
	v_xor_b32_sdwa v4, v18, v4 dst_sel:BYTE_1 dst_unused:UNUSED_PAD src0_sel:DWORD src1_sel:DWORD
	s_load_dword s23, s[4:5], 0x0
	v_add_nc_u32_e32 v9, 32, v16
	v_add_nc_u32_e32 v48, 36, v16
	v_or_b32_sdwa v5, v5, v19 dst_sel:DWORD dst_unused:UNUSED_PAD src0_sel:BYTE_0 src1_sel:DWORD
	v_or_b32_sdwa v4, v15, v4 dst_sel:WORD_1 dst_unused:UNUSED_PAD src0_sel:BYTE_0 src1_sel:DWORD
	v_add_nc_u32_e32 v49, 40, v16
	v_add_nc_u32_e32 v50, 44, v16
	;; [unrolled: 1-line block ×4, first 2 shown]
	v_or_b32_sdwa v64, v5, v4 dst_sel:DWORD dst_unused:UNUSED_PAD src0_sel:WORD_0 src1_sel:DWORD
	v_and_b32_e32 v4, 0x3e0, v14
	v_add_nc_u32_e32 v53, 56, v16
	v_add_nc_u32_e32 v54, 60, v16
	v_sub_co_u32 v16, s6, v30, 1
	v_and_b32_e32 v5, 15, v30
	v_min_u32_e32 v4, 0xe0, v4
	v_and_b32_e32 v15, 16, v30
	v_cmp_gt_i32_e64 s14, 0, v16
	v_lshrrev_b32_e32 v55, 5, v17
	v_cmp_eq_u32_e32 vcc_lo, 0, v5
	v_cmp_lt_u32_e64 s4, 1, v5
	v_cmp_lt_u32_e64 s5, 3, v5
	v_or_b32_e32 v4, 31, v4
	v_cmp_lt_u32_e64 s7, 7, v5
	v_cmp_eq_u32_e64 s10, 0, v15
	v_cndmask_b32_e64 v5, v16, v30, s14
	v_lshlrev_b32_e32 v15, 2, v14
	v_cmp_eq_u32_e64 s11, v14, v4
	v_lshrrev_b32_e32 v4, 3, v14
	v_cmp_gt_u32_e64 s14, 8, v14
	v_lshlrev_b32_e32 v65, 2, v5
	v_and_or_b32 v5, 0xf80, v15, v30
	v_cmp_lt_u32_e64 s15, 31, v14
	v_and_b32_e32 v4, 0x7c, v4
	v_cmp_eq_u32_e64 s16, 0, v14
	v_mov_b32_e32 v67, 0
	v_add_nc_u32_e32 v68, v12, v5
	v_mul_u32_u24_e32 v5, 7, v5
	v_add_nc_u32_e32 v66, v12, v4
	v_and_b32_e32 v4, 7, v30
	v_add_nc_u32_e32 v69, v12, v15
	v_add_nc_u32_e32 v80, 32, v68
	;; [unrolled: 1-line block ×3, first 2 shown]
	v_add_nc_u32_e32 v71, -4, v66
	v_cmp_eq_u32_e64 s17, 0, v4
	v_cmp_lt_u32_e64 s18, 1, v4
	v_cmp_lt_u32_e64 s19, 3, v4
	v_add_nc_u32_e32 v81, 64, v68
	v_add_nc_u32_e32 v82, 0x60, v68
	;; [unrolled: 1-line block ×5, first 2 shown]
	v_sub_nc_u32_e32 v86, v11, v10
	s_mov_b32 s24, 0
	s_waitcnt lgkmcnt(0)
	s_waitcnt_vscnt null, 0x0
	s_barrier
	buffer_gl0_inv
	s_branch .LBB296_279
.LBB296_278:                            ;   in Loop: Header=BB296_279 Depth=1
	s_or_b32 exec_lo, exec_lo, s21
	s_and_b32 s20, exec_lo, s26
	s_or_b32 s24, s20, s24
	s_andn2_b32 exec_lo, exec_lo, s24
	s_cbranch_execz .LBB296_309
.LBB296_279:                            ; =>This Inner Loop Header: Depth=1
	v_min_u32_e32 v4, s23, v86
	v_lshrrev_b32_sdwa v5, v10, v64 dst_sel:DWORD dst_unused:UNUSED_PAD src0_sel:DWORD src1_sel:BYTE_0
	v_mov_b32_e32 v15, v26
	v_mov_b32_e32 v16, v27
	ds_write_b32 v9, v67
	ds_write_b32 v48, v67
	v_lshlrev_b32_e64 v4, v4, -1
	ds_write_b32 v49, v67
	ds_write_b32 v50, v67
	ds_write_b32 v51, v67
	ds_write_b32 v52, v67
	ds_write_b32 v53, v67
	ds_write_b32 v54, v67
	v_not_b32_e32 v30, v4
	s_waitcnt lgkmcnt(0)
	s_barrier
	buffer_gl0_inv
	v_and_b32_e32 v31, v5, v30
	v_mov_b32_e32 v4, v28
	v_mov_b32_e32 v5, v29
	; wave barrier
	v_and_b32_e32 v18, 1, v31
	v_lshlrev_b32_e32 v19, 30, v31
	v_lshlrev_b32_e32 v20, 29, v31
	;; [unrolled: 1-line block ×4, first 2 shown]
	v_add_co_u32 v18, s20, v18, -1
	v_cndmask_b32_e64 v26, 0, 1, s20
	v_not_b32_e32 v32, v19
	v_cmp_gt_i32_e64 s21, 0, v19
	v_not_b32_e32 v19, v20
	v_lshlrev_b32_e32 v28, 26, v31
	v_cmp_ne_u32_e64 s20, 0, v26
	v_ashrrev_i32_e32 v32, 31, v32
	v_lshlrev_b32_e32 v29, 25, v31
	v_ashrrev_i32_e32 v19, 31, v19
	v_lshlrev_b32_e32 v26, 24, v31
	v_xor_b32_e32 v18, s20, v18
	v_cmp_gt_i32_e64 s20, 0, v20
	v_not_b32_e32 v20, v21
	v_xor_b32_e32 v32, s21, v32
	v_cmp_gt_i32_e64 s21, 0, v21
	v_and_b32_e32 v18, exec_lo, v18
	v_not_b32_e32 v21, v27
	v_ashrrev_i32_e32 v20, 31, v20
	v_xor_b32_e32 v19, s20, v19
	v_cmp_gt_i32_e64 s20, 0, v27
	v_and_b32_e32 v18, v18, v32
	v_not_b32_e32 v27, v28
	v_ashrrev_i32_e32 v21, 31, v21
	v_xor_b32_e32 v20, s21, v20
	v_cmp_gt_i32_e64 s21, 0, v28
	v_and_b32_e32 v18, v18, v19
	;; [unrolled: 5-line block ×4, first 2 shown]
	v_mov_b32_e32 v18, v22
	v_mov_b32_e32 v19, v23
	v_ashrrev_i32_e32 v22, 31, v20
	v_xor_b32_e32 v23, s20, v28
	v_and_b32_e32 v26, v21, v27
	v_mov_b32_e32 v20, v24
	v_mov_b32_e32 v21, v25
	v_xor_b32_e32 v22, s21, v22
	v_lshlrev_b32_e32 v25, 3, v31
	v_and_b32_e32 v23, v26, v23
	v_and_b32_e32 v24, v23, v22
	v_add_lshl_u32 v23, v25, v55, 2
	v_mbcnt_lo_u32_b32 v22, v24, 0
	v_add_co_u32 v23, null, v12, v23
	v_cmp_ne_u32_e64 s21, 0, v24
	v_cmp_eq_u32_e64 s20, 0, v22
	v_add_co_u32 v23, null, v23, 32
	s_and_b32 s21, s21, s20
	s_and_saveexec_b32 s20, s21
; %bb.280:                              ;   in Loop: Header=BB296_279 Depth=1
	v_bcnt_u32_b32 v24, v24, 0
	ds_write_b32 v23, v24
; %bb.281:                              ;   in Loop: Header=BB296_279 Depth=1
	s_or_b32 exec_lo, exec_lo, s20
	v_lshrrev_b32_sdwa v24, v10, v64 dst_sel:DWORD dst_unused:UNUSED_PAD src0_sel:DWORD src1_sel:BYTE_1
	; wave barrier
	v_and_b32_e32 v24, v24, v30
	v_and_b32_e32 v25, 1, v24
	v_lshlrev_b32_e32 v26, 30, v24
	v_lshlrev_b32_e32 v27, 29, v24
	;; [unrolled: 1-line block ×4, first 2 shown]
	v_add_co_u32 v25, s20, v25, -1
	v_cndmask_b32_e64 v29, 0, 1, s20
	v_not_b32_e32 v34, v26
	v_cmp_gt_i32_e64 s21, 0, v26
	v_not_b32_e32 v26, v27
	v_lshlrev_b32_e32 v32, 26, v24
	v_cmp_ne_u32_e64 s20, 0, v29
	v_ashrrev_i32_e32 v34, 31, v34
	v_lshlrev_b32_e32 v33, 25, v24
	v_ashrrev_i32_e32 v26, 31, v26
	v_lshlrev_b32_e32 v29, 24, v24
	v_xor_b32_e32 v25, s20, v25
	v_cmp_gt_i32_e64 s20, 0, v27
	v_not_b32_e32 v27, v28
	v_xor_b32_e32 v34, s21, v34
	v_cmp_gt_i32_e64 s21, 0, v28
	v_and_b32_e32 v25, exec_lo, v25
	v_not_b32_e32 v28, v31
	v_ashrrev_i32_e32 v27, 31, v27
	v_xor_b32_e32 v26, s20, v26
	v_cmp_gt_i32_e64 s20, 0, v31
	v_and_b32_e32 v25, v25, v34
	v_not_b32_e32 v31, v32
	v_ashrrev_i32_e32 v28, 31, v28
	v_xor_b32_e32 v27, s21, v27
	v_cmp_gt_i32_e64 s21, 0, v32
	v_and_b32_e32 v25, v25, v26
	;; [unrolled: 5-line block ×3, first 2 shown]
	v_not_b32_e32 v27, v29
	v_ashrrev_i32_e32 v26, 31, v26
	v_xor_b32_e32 v31, s21, v31
	v_lshl_add_u32 v24, v24, 3, v55
	v_and_b32_e32 v25, v25, v28
	v_cmp_gt_i32_e64 s21, 0, v29
	v_ashrrev_i32_e32 v27, 31, v27
	v_xor_b32_e32 v26, s20, v26
	v_lshl_add_u32 v28, v24, 2, v12
	v_and_b32_e32 v25, v25, v31
	v_xor_b32_e32 v27, s21, v27
	ds_read_b32 v24, v28 offset:32
	v_and_b32_e32 v25, v25, v26
	v_add_nc_u32_e32 v26, 32, v28
	; wave barrier
	v_and_b32_e32 v27, v25, v27
	v_mbcnt_lo_u32_b32 v25, v27, 0
	v_cmp_ne_u32_e64 s21, 0, v27
	v_cmp_eq_u32_e64 s20, 0, v25
	s_and_b32 s21, s21, s20
	s_and_saveexec_b32 s20, s21
	s_cbranch_execz .LBB296_283
; %bb.282:                              ;   in Loop: Header=BB296_279 Depth=1
	s_waitcnt lgkmcnt(0)
	v_bcnt_u32_b32 v27, v27, v24
	ds_write_b32 v26, v27
.LBB296_283:                            ;   in Loop: Header=BB296_279 Depth=1
	s_or_b32 exec_lo, exec_lo, s20
	v_lshrrev_b32_sdwa v27, v10, v64 dst_sel:DWORD dst_unused:UNUSED_PAD src0_sel:DWORD src1_sel:BYTE_2
	; wave barrier
	v_and_b32_e32 v27, v27, v30
	v_and_b32_e32 v28, 1, v27
	v_lshlrev_b32_e32 v29, 30, v27
	v_lshlrev_b32_e32 v31, 29, v27
	;; [unrolled: 1-line block ×4, first 2 shown]
	v_add_co_u32 v28, s20, v28, -1
	v_cndmask_b32_e64 v33, 0, 1, s20
	v_not_b32_e32 v37, v29
	v_cmp_gt_i32_e64 s21, 0, v29
	v_not_b32_e32 v29, v31
	v_lshlrev_b32_e32 v35, 26, v27
	v_cmp_ne_u32_e64 s20, 0, v33
	v_ashrrev_i32_e32 v37, 31, v37
	v_lshlrev_b32_e32 v36, 25, v27
	v_ashrrev_i32_e32 v29, 31, v29
	v_lshlrev_b32_e32 v33, 24, v27
	v_xor_b32_e32 v28, s20, v28
	v_cmp_gt_i32_e64 s20, 0, v31
	v_not_b32_e32 v31, v32
	v_xor_b32_e32 v37, s21, v37
	v_cmp_gt_i32_e64 s21, 0, v32
	v_and_b32_e32 v28, exec_lo, v28
	v_not_b32_e32 v32, v34
	v_ashrrev_i32_e32 v31, 31, v31
	v_xor_b32_e32 v29, s20, v29
	v_cmp_gt_i32_e64 s20, 0, v34
	v_and_b32_e32 v28, v28, v37
	v_not_b32_e32 v34, v35
	v_ashrrev_i32_e32 v32, 31, v32
	v_xor_b32_e32 v31, s21, v31
	v_cmp_gt_i32_e64 s21, 0, v35
	v_and_b32_e32 v28, v28, v29
	;; [unrolled: 5-line block ×3, first 2 shown]
	v_not_b32_e32 v31, v33
	v_ashrrev_i32_e32 v29, 31, v29
	v_xor_b32_e32 v34, s21, v34
	v_lshl_add_u32 v27, v27, 3, v55
	v_and_b32_e32 v28, v28, v32
	v_cmp_gt_i32_e64 s21, 0, v33
	v_ashrrev_i32_e32 v31, 31, v31
	v_xor_b32_e32 v29, s20, v29
	v_lshl_add_u32 v32, v27, 2, v12
	v_and_b32_e32 v28, v28, v34
	v_xor_b32_e32 v31, s21, v31
	ds_read_b32 v27, v32 offset:32
	v_and_b32_e32 v28, v28, v29
	v_add_nc_u32_e32 v29, 32, v32
	; wave barrier
	v_and_b32_e32 v31, v28, v31
	v_mbcnt_lo_u32_b32 v28, v31, 0
	v_cmp_ne_u32_e64 s21, 0, v31
	v_cmp_eq_u32_e64 s20, 0, v28
	s_and_b32 s21, s21, s20
	s_and_saveexec_b32 s20, s21
	s_cbranch_execz .LBB296_285
; %bb.284:                              ;   in Loop: Header=BB296_279 Depth=1
	s_waitcnt lgkmcnt(0)
	v_bcnt_u32_b32 v31, v31, v27
	ds_write_b32 v29, v31
.LBB296_285:                            ;   in Loop: Header=BB296_279 Depth=1
	s_or_b32 exec_lo, exec_lo, s20
	v_lshrrev_b32_e32 v87, 24, v64
	; wave barrier
	v_lshrrev_b32_e32 v31, v10, v87
	v_and_b32_e32 v30, v31, v30
	v_and_b32_e32 v31, 1, v30
	v_lshlrev_b32_e32 v32, 30, v30
	v_lshlrev_b32_e32 v33, 29, v30
	;; [unrolled: 1-line block ×4, first 2 shown]
	v_add_co_u32 v31, s20, v31, -1
	v_cndmask_b32_e64 v35, 0, 1, s20
	v_not_b32_e32 v39, v32
	v_cmp_gt_i32_e64 s21, 0, v32
	v_not_b32_e32 v32, v33
	v_lshlrev_b32_e32 v37, 26, v30
	v_cmp_ne_u32_e64 s20, 0, v35
	v_ashrrev_i32_e32 v39, 31, v39
	v_lshlrev_b32_e32 v38, 25, v30
	v_ashrrev_i32_e32 v32, 31, v32
	v_lshlrev_b32_e32 v35, 24, v30
	v_xor_b32_e32 v31, s20, v31
	v_cmp_gt_i32_e64 s20, 0, v33
	v_not_b32_e32 v33, v34
	v_xor_b32_e32 v39, s21, v39
	v_cmp_gt_i32_e64 s21, 0, v34
	v_and_b32_e32 v31, exec_lo, v31
	v_not_b32_e32 v34, v36
	v_ashrrev_i32_e32 v33, 31, v33
	v_xor_b32_e32 v32, s20, v32
	v_cmp_gt_i32_e64 s20, 0, v36
	v_and_b32_e32 v31, v31, v39
	v_not_b32_e32 v36, v37
	v_ashrrev_i32_e32 v34, 31, v34
	v_xor_b32_e32 v33, s21, v33
	v_cmp_gt_i32_e64 s21, 0, v37
	v_and_b32_e32 v31, v31, v32
	;; [unrolled: 5-line block ×3, first 2 shown]
	v_not_b32_e32 v33, v35
	v_ashrrev_i32_e32 v32, 31, v32
	v_xor_b32_e32 v36, s21, v36
	v_lshl_add_u32 v30, v30, 3, v55
	v_and_b32_e32 v31, v31, v34
	v_cmp_gt_i32_e64 s21, 0, v35
	v_ashrrev_i32_e32 v33, 31, v33
	v_xor_b32_e32 v32, s20, v32
	v_lshl_add_u32 v34, v30, 2, v12
	v_and_b32_e32 v31, v31, v36
	v_xor_b32_e32 v33, s21, v33
	ds_read_b32 v30, v34 offset:32
	v_and_b32_e32 v31, v31, v32
	v_add_nc_u32_e32 v32, 32, v34
	; wave barrier
	v_and_b32_e32 v33, v31, v33
	v_mbcnt_lo_u32_b32 v31, v33, 0
	v_cmp_ne_u32_e64 s21, 0, v33
	v_cmp_eq_u32_e64 s20, 0, v31
	s_and_b32 s21, s21, s20
	s_and_saveexec_b32 s20, s21
	s_cbranch_execz .LBB296_287
; %bb.286:                              ;   in Loop: Header=BB296_279 Depth=1
	s_waitcnt lgkmcnt(0)
	v_bcnt_u32_b32 v33, v33, v30
	ds_write_b32 v32, v33
.LBB296_287:                            ;   in Loop: Header=BB296_279 Depth=1
	s_or_b32 exec_lo, exec_lo, s20
	; wave barrier
	s_waitcnt lgkmcnt(0)
	s_barrier
	buffer_gl0_inv
	ds_read_b32 v34, v9
	ds_read_b32 v35, v48
	;; [unrolled: 1-line block ×8, first 2 shown]
	s_waitcnt lgkmcnt(6)
	v_add_nc_u32_e32 v97, v35, v34
	s_waitcnt lgkmcnt(4)
	v_add3_u32 v97, v97, v36, v37
	s_waitcnt lgkmcnt(2)
	v_add3_u32 v97, v97, v38, v39
	;; [unrolled: 2-line block ×3, first 2 shown]
	v_mov_b32_dpp v97, v96 row_shr:1 row_mask:0xf bank_mask:0xf
	v_cndmask_b32_e64 v97, v97, 0, vcc_lo
	v_add_nc_u32_e32 v96, v97, v96
	v_mov_b32_dpp v97, v96 row_shr:2 row_mask:0xf bank_mask:0xf
	v_cndmask_b32_e64 v97, 0, v97, s4
	v_add_nc_u32_e32 v96, v96, v97
	v_mov_b32_dpp v97, v96 row_shr:4 row_mask:0xf bank_mask:0xf
	v_cndmask_b32_e64 v97, 0, v97, s5
	;; [unrolled: 3-line block ×3, first 2 shown]
	v_add_nc_u32_e32 v96, v96, v97
	ds_swizzle_b32 v97, v96 offset:swizzle(BROADCAST,32,15)
	s_waitcnt lgkmcnt(0)
	v_cndmask_b32_e64 v97, v97, 0, s10
	v_add_nc_u32_e32 v96, v96, v97
	s_and_saveexec_b32 s20, s11
; %bb.288:                              ;   in Loop: Header=BB296_279 Depth=1
	ds_write_b32 v66, v96
; %bb.289:                              ;   in Loop: Header=BB296_279 Depth=1
	s_or_b32 exec_lo, exec_lo, s20
	s_waitcnt lgkmcnt(0)
	s_barrier
	buffer_gl0_inv
	s_and_saveexec_b32 s20, s14
	s_cbranch_execz .LBB296_291
; %bb.290:                              ;   in Loop: Header=BB296_279 Depth=1
	ds_read_b32 v97, v69
	s_waitcnt lgkmcnt(0)
	v_mov_b32_dpp v98, v97 row_shr:1 row_mask:0xf bank_mask:0xf
	v_cndmask_b32_e64 v98, v98, 0, s17
	v_add_nc_u32_e32 v97, v98, v97
	v_mov_b32_dpp v98, v97 row_shr:2 row_mask:0xf bank_mask:0xf
	v_cndmask_b32_e64 v98, 0, v98, s18
	v_add_nc_u32_e32 v97, v97, v98
	;; [unrolled: 3-line block ×3, first 2 shown]
	ds_write_b32 v69, v97
.LBB296_291:                            ;   in Loop: Header=BB296_279 Depth=1
	s_or_b32 exec_lo, exec_lo, s20
	v_mov_b32_e32 v97, 0
	s_waitcnt lgkmcnt(0)
	s_barrier
	buffer_gl0_inv
	s_and_saveexec_b32 s20, s15
; %bb.292:                              ;   in Loop: Header=BB296_279 Depth=1
	ds_read_b32 v97, v71
; %bb.293:                              ;   in Loop: Header=BB296_279 Depth=1
	s_or_b32 exec_lo, exec_lo, s20
	s_waitcnt lgkmcnt(0)
	v_add_nc_u32_e32 v96, v97, v96
	v_add_nc_u32_e32 v10, 8, v10
	v_mov_b32_e32 v99, v64
	v_lshrrev_b32_e32 v100, 8, v64
	v_lshrrev_b32_e32 v101, 16, v64
	ds_bpermute_b32 v96, v65, v96
	s_mov_b32 s26, -1
	s_waitcnt lgkmcnt(0)
	v_cndmask_b32_e64 v96, v96, v97, s6
	v_cndmask_b32_e64 v96, v96, 0, s16
	v_add_nc_u32_e32 v34, v96, v34
	v_add_nc_u32_e32 v35, v34, v35
	ds_write_b32 v9, v96
	ds_write_b32 v48, v34
	;; [unrolled: 1-line block ×3, first 2 shown]
	v_add_nc_u32_e32 v36, v35, v36
	v_add_nc_u32_e32 v37, v36, v37
	;; [unrolled: 1-line block ×5, first 2 shown]
	ds_write_b32 v50, v36
	ds_write_b32 v51, v37
	;; [unrolled: 1-line block ×5, first 2 shown]
	s_waitcnt lgkmcnt(0)
	s_barrier
	buffer_gl0_inv
	ds_read_b32 v23, v23
	ds_read_b32 v26, v26
	;; [unrolled: 1-line block ×4, first 2 shown]
	s_waitcnt lgkmcnt(0)
	v_add_nc_u32_e32 v22, v23, v22
	v_add3_u32 v98, v25, v24, v26
	v_add3_u32 v97, v28, v27, v29
	;; [unrolled: 1-line block ×3, first 2 shown]
                                        ; implicit-def: $vgpr26_vgpr27
                                        ; implicit-def: $vgpr28_vgpr29
                                        ; implicit-def: $vgpr24_vgpr25
	v_add_co_u32 v38, s21, v12, v22
	v_add_co_ci_u32_e64 v39, null, 0, v13, s21
	v_add_co_u32 v30, s21, v12, v98
	v_add_co_ci_u32_e64 v31, null, 0, v13, s21
	v_add_co_u32 v34, s21, v12, v97
	v_mad_u64_u32 v[32:33], null, v22, 7, v[38:39]
	v_add_co_ci_u32_e64 v35, null, 0, v13, s21
	v_add_co_u32 v36, s21, v12, v96
	v_add_co_ci_u32_e64 v37, null, 0, v13, s21
	s_mov_b32 s21, exec_lo
                                        ; implicit-def: $vgpr22_vgpr23
	v_cmpx_lt_u32_e64 v10, v11
	s_cbranch_execz .LBB296_278
; %bb.294:                              ;   in Loop: Header=BB296_279 Depth=1
	s_barrier
	buffer_gl0_inv
	ds_write_b8 v38, v64
	ds_write_b8 v30, v100
	;; [unrolled: 1-line block ×4, first 2 shown]
	s_waitcnt lgkmcnt(0)
	s_barrier
	buffer_gl0_inv
	ds_read_u8 v33, v80
	ds_read_u8 v39, v68
	;; [unrolled: 1-line block ×4, first 2 shown]
	v_mad_u64_u32 v[22:23], null, v98, 7, v[30:31]
	v_mad_u64_u32 v[23:24], null, v97, 7, v[34:35]
	;; [unrolled: 1-line block ×3, first 2 shown]
	s_waitcnt lgkmcnt(0)
	s_barrier
	buffer_gl0_inv
	ds_write_b64 v32, v[15:16]
	ds_write_b64 v22, v[4:5]
	;; [unrolled: 1-line block ×4, first 2 shown]
	s_waitcnt lgkmcnt(0)
	s_barrier
	buffer_gl0_inv
	ds_read_b64 v[26:27], v70
	ds_read_b64 v[28:29], v83
	;; [unrolled: 1-line block ×4, first 2 shown]
	v_add_nc_u32_e32 v86, -8, v86
	s_xor_b32 s26, exec_lo, -1
	s_waitcnt lgkmcnt(0)
	v_perm_b32 v33, v39, v33, 0xc0c0004
	s_barrier
	v_perm_b32 v39, v102, v64, 0xc0c0004
	buffer_gl0_inv
	v_lshl_or_b32 v64, v39, 16, v33
	s_branch .LBB296_278
.LBB296_295:
	flat_load_dwordx2 v[34:35], v[4:5]
	s_or_b32 exec_lo, exec_lo, s15
                                        ; implicit-def: $vgpr38_vgpr39
	s_and_saveexec_b32 s15, s4
	s_cbranch_execz .LBB296_171
.LBB296_296:
	flat_load_dwordx2 v[38:39], v[4:5] offset:256
	s_or_b32 exec_lo, exec_lo, s15
                                        ; implicit-def: $vgpr48_vgpr49
	s_and_saveexec_b32 s4, s5
	s_cbranch_execz .LBB296_172
.LBB296_297:
	flat_load_dwordx2 v[48:49], v[4:5] offset:512
	s_or_b32 exec_lo, exec_lo, s4
                                        ; implicit-def: $vgpr50_vgpr51
	s_and_saveexec_b32 s4, s6
	s_cbranch_execz .LBB296_173
.LBB296_298:
	flat_load_dwordx2 v[50:51], v[4:5] offset:768
	s_or_b32 exec_lo, exec_lo, s4
                                        ; implicit-def: $vgpr52_vgpr53
	s_and_saveexec_b32 s4, s7
	s_cbranch_execz .LBB296_174
.LBB296_299:
	flat_load_dwordx2 v[52:53], v[4:5] offset:1024
	s_or_b32 exec_lo, exec_lo, s4
                                        ; implicit-def: $vgpr54_vgpr55
	s_and_saveexec_b32 s4, s10
	s_cbranch_execz .LBB296_175
.LBB296_300:
	flat_load_dwordx2 v[54:55], v[4:5] offset:1280
	s_or_b32 exec_lo, exec_lo, s4
                                        ; implicit-def: $vgpr32_vgpr33
	s_and_saveexec_b32 s4, s11
	s_cbranch_execz .LBB296_176
.LBB296_301:
	flat_load_dwordx2 v[32:33], v[4:5] offset:1536
	s_or_b32 exec_lo, exec_lo, s4
                                        ; implicit-def: $vgpr36_vgpr37
	s_and_saveexec_b32 s4, s14
	s_cbranch_execnz .LBB296_177
	s_branch .LBB296_178
.LBB296_302:
	flat_store_dwordx2 v[0:1], v[21:22]
	s_or_b32 exec_lo, exec_lo, s15
	s_and_saveexec_b32 s15, s14
	s_cbranch_execz .LBB296_254
.LBB296_303:
	v_add_co_u32 v2, vcc_lo, 0x800, v0
	v_add_co_ci_u32_e64 v3, null, 0, v1, vcc_lo
	flat_store_dwordx2 v[2:3], v[23:24]
	s_or_b32 exec_lo, exec_lo, s15
	s_and_saveexec_b32 s14, s11
	s_cbranch_execz .LBB296_255
.LBB296_304:
	v_add_co_u32 v2, vcc_lo, 0x1000, v0
	v_add_co_ci_u32_e64 v3, null, 0, v1, vcc_lo
	flat_store_dwordx2 v[2:3], v[17:18]
	s_or_b32 exec_lo, exec_lo, s14
	s_and_saveexec_b32 s11, s10
	s_cbranch_execz .LBB296_256
.LBB296_305:
	v_add_co_u32 v2, vcc_lo, 0x1800, v0
	v_add_co_ci_u32_e64 v3, null, 0, v1, vcc_lo
	flat_store_dwordx2 v[2:3], v[19:20]
	s_or_b32 exec_lo, exec_lo, s11
	s_and_saveexec_b32 s10, s7
	s_cbranch_execz .LBB296_257
.LBB296_306:
	v_add_co_u32 v2, vcc_lo, 0x2000, v0
	v_add_co_ci_u32_e64 v3, null, 0, v1, vcc_lo
	flat_store_dwordx2 v[2:3], v[13:14]
	s_or_b32 exec_lo, exec_lo, s10
	s_and_saveexec_b32 s7, s6
	s_cbranch_execz .LBB296_258
.LBB296_307:
	v_add_co_u32 v2, vcc_lo, 0x2800, v0
	v_add_co_ci_u32_e64 v3, null, 0, v1, vcc_lo
	flat_store_dwordx2 v[2:3], v[15:16]
	s_or_b32 exec_lo, exec_lo, s7
	s_and_saveexec_b32 s6, s5
	s_cbranch_execz .LBB296_259
.LBB296_308:
	v_add_co_u32 v2, vcc_lo, 0x3000, v0
	v_add_co_ci_u32_e64 v3, null, 0, v1, vcc_lo
	flat_store_dwordx2 v[2:3], v[9:10]
	s_or_b32 exec_lo, exec_lo, s6
	s_and_saveexec_b32 s5, s4
	s_cbranch_execnz .LBB296_260
	s_branch .LBB296_261
.LBB296_309:
	s_or_b32 exec_lo, exec_lo, s24
	v_mad_u64_u32 v[9:10], null, v98, 7, v[30:31]
	v_mad_u64_u32 v[10:11], null, v97, 7, v[34:35]
	v_add_nc_u32_e32 v13, v12, v14
	v_mad_u64_u32 v[11:12], null, v96, 7, v[36:37]
	v_mul_u32_u24_e32 v12, 7, v14
	s_barrier
	buffer_gl0_inv
	ds_write_b8 v38, v99
	ds_write_b8 v30, v100
	ds_write_b8 v34, v101
	ds_write_b8 v36, v87
	s_waitcnt lgkmcnt(0)
	s_barrier
	buffer_gl0_inv
	ds_read_u8 v25, v13
	ds_read_u8 v24, v13 offset:256
	ds_read_u8 v23, v13 offset:512
	;; [unrolled: 1-line block ×3, first 2 shown]
	s_waitcnt lgkmcnt(0)
	s_barrier
	buffer_gl0_inv
	ds_write_b64 v32, v[15:16]
	ds_write_b64 v9, v[4:5]
	ds_write_b64 v10, v[18:19]
	v_add_nc_u32_e32 v4, v13, v12
	ds_write_b64 v11, v[20:21]
	s_waitcnt lgkmcnt(0)
	s_barrier
	buffer_gl0_inv
	ds_read2st64_b64 v[13:16], v4 offset1:4
	ds_read2st64_b64 v[9:12], v4 offset0:8 offset1:12
	v_add_co_u32 v2, vcc_lo, v2, v8
	v_add_co_ci_u32_e64 v3, null, 0, v3, vcc_lo
	v_mov_b32_e32 v18, 0
	v_add_co_u32 v2, vcc_lo, v2, v17
	v_add_co_ci_u32_e64 v3, null, 0, v3, vcc_lo
	v_cmp_lt_u32_e32 vcc_lo, v17, v226
	s_waitcnt lgkmcnt(0)
	s_barrier
	buffer_gl0_inv
	s_and_saveexec_b32 s4, vcc_lo
	s_cbranch_execz .LBB296_311
; %bb.310:
	v_xor_b32_e32 v4, 0x7f, v25
	flat_store_byte v[2:3], v4
.LBB296_311:
	s_or_b32 exec_lo, exec_lo, s4
	v_add_nc_u32_e32 v4, 0x100, v17
	v_cmp_lt_u32_e64 s6, v4, v226
	s_and_saveexec_b32 s4, s6
	s_cbranch_execz .LBB296_313
; %bb.312:
	v_xor_b32_e32 v4, 0x7f, v24
	flat_store_byte v[2:3], v4 offset:256
.LBB296_313:
	s_or_b32 exec_lo, exec_lo, s4
	v_add_nc_u32_e32 v4, 0x200, v17
	v_cmp_lt_u32_e64 s5, v4, v226
	s_and_saveexec_b32 s4, s5
	s_cbranch_execz .LBB296_315
; %bb.314:
	v_xor_b32_e32 v4, 0x7f, v23
	flat_store_byte v[2:3], v4 offset:512
.LBB296_315:
	;; [unrolled: 9-line block ×3, first 2 shown]
	s_or_b32 exec_lo, exec_lo, s7
	v_lshlrev_b64 v[2:3], 3, v[17:18]
	v_add_co_u32 v0, s7, v6, v0
	v_add_co_ci_u32_e64 v1, null, v7, v1, s7
	v_add_co_u32 v0, s7, v0, v2
	v_add_co_ci_u32_e64 v1, null, v1, v3, s7
	s_and_saveexec_b32 s7, vcc_lo
	s_cbranch_execnz .LBB296_350
; %bb.318:
	s_or_b32 exec_lo, exec_lo, s7
	s_and_saveexec_b32 s7, s6
	s_cbranch_execnz .LBB296_351
.LBB296_319:
	s_or_b32 exec_lo, exec_lo, s7
	s_and_saveexec_b32 s6, s5
	s_cbranch_execnz .LBB296_352
.LBB296_320:
	s_or_b32 exec_lo, exec_lo, s6
	s_and_saveexec_b32 s5, s4
	s_cbranch_execz .LBB296_322
.LBB296_321:
	v_add_co_u32 v0, vcc_lo, 0x1800, v0
	v_add_co_ci_u32_e64 v1, null, 0, v1, vcc_lo
	flat_store_dwordx2 v[0:1], v[11:12]
.LBB296_322:
	s_or_b32 exec_lo, exec_lo, s5
                                        ; implicit-def: $vgpr226
                                        ; implicit-def: $vgpr0
                                        ; implicit-def: $vgpr1
                                        ; implicit-def: $vgpr2
                                        ; implicit-def: $vgpr3
                                        ; implicit-def: $vgpr4
                                        ; implicit-def: $vgpr5
                                        ; implicit-def: $vgpr6
                                        ; implicit-def: $vgpr7
                                        ; implicit-def: $vgpr8
                                        ; implicit-def: $vgpr10
                                        ; implicit-def: $vgpr11
                                        ; implicit-def: $vgpr12
                                        ; implicit-def: $vgpr13
                                        ; implicit-def: $vgpr15
                                        ; implicit-def: $vgpr16
                                        ; implicit-def: $vgpr14
                                        ; implicit-def: $vgpr30
.LBB296_323:
	s_andn2_saveexec_b32 s4, s22
	s_cbranch_execz .LBB296_382
; %bb.324:
	s_load_dwordx2 s[4:5], s[8:9], 0x0
	v_mov_b32_e32 v9, 0
	s_waitcnt lgkmcnt(0)
	s_cmp_lt_u32 s13, s5
	s_cselect_b32 s5, 14, 20
	s_add_u32 s6, s8, s5
	s_addc_u32 s7, s9, 0
	s_cmp_lt_u32 s12, s4
	global_load_ushort v17, v9, s[6:7]
	s_cselect_b32 s4, 12, 18
	s_add_u32 s4, s8, s4
	s_addc_u32 s5, s9, 0
	global_load_ushort v18, v9, s[4:5]
	s_mov_b32 s4, exec_lo
	s_waitcnt vmcnt(1)
	v_mad_u32_u24 v15, v16, v17, v15
	s_waitcnt vmcnt(0)
	v_mad_u64_u32 v[15:16], null, v15, v18, v[14:15]
	v_cmpx_lt_u32_e32 0x100, v226
	s_xor_b32 s18, exec_lo, s4
	s_cbranch_execz .LBB296_362
; %bb.325:
	v_lshlrev_b32_e32 v16, 1, v15
	v_add_co_u32 v0, vcc_lo, v0, v8
	v_add_co_ci_u32_e64 v1, null, 0, v1, vcc_lo
	v_and_b32_e32 v16, 0xffffffc0, v16
	v_add_co_u32 v0, vcc_lo, v0, v30
	v_add_co_ci_u32_e64 v1, null, 0, v1, vcc_lo
	v_or_b32_e32 v18, v30, v16
	v_add_co_u32 v0, vcc_lo, v0, v16
	v_mov_b32_e32 v17, v9
	v_add_co_ci_u32_e64 v1, null, 0, v1, vcc_lo
	v_cmp_lt_u32_e32 vcc_lo, v18, v226
	v_mov_b32_e32 v22, 0x80
	v_mov_b32_e32 v23, 0x80
	s_and_saveexec_b32 s4, vcc_lo
	s_cbranch_execz .LBB296_327
; %bb.326:
	flat_load_ubyte v23, v[0:1]
.LBB296_327:
	s_or_b32 exec_lo, exec_lo, s4
	v_or_b32_e32 v18, 32, v18
	v_cmp_lt_u32_e64 s4, v18, v226
	s_and_saveexec_b32 s5, s4
	s_cbranch_execz .LBB296_329
; %bb.328:
	flat_load_ubyte v22, v[0:1] offset:32
.LBB296_329:
	s_or_b32 exec_lo, exec_lo, s5
	v_lshlrev_b64 v[0:1], 3, v[8:9]
	v_lshlrev_b32_e32 v9, 3, v30
	v_lshlrev_b64 v[16:17], 3, v[16:17]
	v_mov_b32_e32 v20, 0
	v_mov_b32_e32 v18, 0
	;; [unrolled: 1-line block ×3, first 2 shown]
	v_add_co_u32 v4, s5, v4, v0
	v_add_co_ci_u32_e64 v5, null, v5, v1, s5
	v_mov_b32_e32 v19, 0
	v_add_co_u32 v4, s5, v4, v9
	v_add_co_ci_u32_e64 v5, null, 0, v5, s5
	v_add_co_u32 v4, s5, v4, v16
	v_add_co_ci_u32_e64 v5, null, v5, v17, s5
	s_and_saveexec_b32 s5, vcc_lo
	s_cbranch_execz .LBB296_331
; %bb.330:
	flat_load_dwordx2 v[18:19], v[4:5]
.LBB296_331:
	s_or_b32 exec_lo, exec_lo, s5
	s_and_saveexec_b32 s5, s4
	s_cbranch_execz .LBB296_333
; %bb.332:
	flat_load_dwordx2 v[20:21], v[4:5] offset:256
.LBB296_333:
	s_or_b32 exec_lo, exec_lo, s5
	v_mov_b32_e32 v4, 0x7f
	s_waitcnt vmcnt(0) lgkmcnt(0)
	v_xor_b32_e32 v5, 0x7f, v23
	v_lshl_add_u32 v16, v14, 5, v12
	s_getpc_b64 s[4:5]
	s_add_u32 s4, s4, _ZN7rocprim17ROCPRIM_400000_NS16block_radix_sortIaLj256ELj2ElLj1ELj1ELj8ELNS0_26block_radix_rank_algorithmE2ELNS0_18block_padding_hintE2ELNS0_4arch9wavefront6targetE0EE19radix_bits_per_passE@rel32@lo+4
	s_addc_u32 s5, s5, _ZN7rocprim17ROCPRIM_400000_NS16block_radix_sortIaLj256ELj2ElLj1ELj1ELj8ELNS0_26block_radix_rank_algorithmE2ELNS0_18block_padding_hintE2ELNS0_4arch9wavefront6targetE0EE19radix_bits_per_passE@rel32@hi+12
	v_and_b32_e32 v17, 15, v30
	v_xor_b32_sdwa v4, v22, v4 dst_sel:BYTE_1 dst_unused:UNUSED_PAD src0_sel:DWORD src1_sel:DWORD
	v_and_b32_e32 v22, 0x3e0, v14
	v_add_nc_u32_e32 v9, 32, v16
	v_add_nc_u32_e32 v31, 36, v16
	;; [unrolled: 1-line block ×3, first 2 shown]
	v_or_b32_sdwa v4, v5, v4 dst_sel:DWORD dst_unused:UNUSED_PAD src0_sel:BYTE_0 src1_sel:DWORD
	v_add_nc_u32_e32 v33, 44, v16
	v_add_nc_u32_e32 v34, 48, v16
	;; [unrolled: 1-line block ×4, first 2 shown]
	v_and_b32_e32 v39, 0xffff, v4
	v_min_u32_e32 v4, 0xe0, v22
	v_add_nc_u32_e32 v37, 60, v16
	v_sub_co_u32 v16, s6, v30, 1
	v_and_b32_e32 v5, 16, v30
	v_or_b32_e32 v4, 31, v4
	s_load_dword s19, s[4:5], 0x0
	v_cmp_gt_i32_e64 s10, 0, v16
	v_lshrrev_b32_e32 v38, 5, v15
	v_cmp_eq_u32_e64 s8, 0, v5
	v_cmp_eq_u32_e64 s9, v14, v4
	v_lshlrev_b32_e32 v4, 1, v14
	v_cndmask_b32_e64 v5, v16, v30, s10
	v_lshrrev_b32_e32 v16, 3, v14
	v_cmp_lt_u32_e64 s4, 1, v17
	v_cmp_lt_u32_e64 s5, 3, v17
	v_and_or_b32 v4, 0x7c0, v4, v30
	v_lshlrev_b32_e32 v48, 2, v5
	v_and_b32_e32 v5, 0x7c, v16
	v_and_b32_e32 v16, 7, v30
	v_cmp_lt_u32_e64 s7, 7, v17
	v_add_nc_u32_e32 v30, v12, v4
	v_mul_u32_u24_e32 v4, 7, v4
	v_add_nc_u32_e32 v49, v12, v5
	v_cmp_gt_u32_e64 s10, 8, v14
	v_cmp_lt_u32_e64 s11, 31, v14
	v_cmp_eq_u32_e64 s12, 0, v14
	v_add_nc_u32_e32 v52, v30, v4
	v_mov_b32_e32 v50, 0
	v_lshl_add_u32 v51, v14, 2, v12
	v_cmp_eq_u32_e64 s13, 0, v16
	v_cmp_lt_u32_e64 s14, 1, v16
	v_cmp_lt_u32_e64 s15, 3, v16
	v_add_nc_u32_e32 v53, -4, v49
	v_add_nc_u32_e32 v54, 32, v30
	v_add_nc_u32_e32 v55, 0x100, v52
	v_sub_nc_u32_e32 v64, v11, v10
	s_mov_b32 s20, 0
	v_cmp_eq_u32_e32 vcc_lo, 0, v17
	s_waitcnt lgkmcnt(0)
	s_waitcnt_vscnt null, 0x0
	s_barrier
	buffer_gl0_inv
	s_branch .LBB296_335
.LBB296_334:                            ;   in Loop: Header=BB296_335 Depth=1
	s_or_b32 exec_lo, exec_lo, s17
	s_and_b32 s16, exec_lo, s21
	s_or_b32 s20, s16, s20
	s_andn2_b32 exec_lo, exec_lo, s20
	s_cbranch_execz .LBB296_353
.LBB296_335:                            ; =>This Inner Loop Header: Depth=1
	v_min_u32_e32 v4, s19, v64
	v_lshrrev_b32_sdwa v5, v10, v39 dst_sel:DWORD dst_unused:UNUSED_PAD src0_sel:DWORD src1_sel:BYTE_0
	ds_write_b32 v9, v50
	ds_write_b32 v31, v50
	;; [unrolled: 1-line block ×5, first 2 shown]
	v_lshlrev_b32_e64 v4, v4, -1
	ds_write_b32 v35, v50
	ds_write_b32 v36, v50
	;; [unrolled: 1-line block ×3, first 2 shown]
	s_waitcnt lgkmcnt(0)
	s_barrier
	v_not_b32_e32 v22, v4
	buffer_gl0_inv
	; wave barrier
	v_and_b32_e32 v23, v5, v22
	v_and_b32_e32 v4, 1, v23
	v_lshlrev_b32_e32 v5, 30, v23
	v_lshlrev_b32_e32 v16, 29, v23
	;; [unrolled: 1-line block ×4, first 2 shown]
	v_add_co_u32 v4, s16, v4, -1
	v_cndmask_b32_e64 v24, 0, 1, s16
	v_not_b32_e32 v28, v5
	v_cmp_gt_i32_e64 s17, 0, v5
	v_not_b32_e32 v5, v16
	v_lshlrev_b32_e32 v26, 26, v23
	v_cmp_ne_u32_e64 s16, 0, v24
	v_ashrrev_i32_e32 v28, 31, v28
	v_lshlrev_b32_e32 v27, 25, v23
	v_ashrrev_i32_e32 v5, 31, v5
	v_lshlrev_b32_e32 v24, 24, v23
	v_xor_b32_e32 v4, s16, v4
	v_cmp_gt_i32_e64 s16, 0, v16
	v_not_b32_e32 v16, v17
	v_xor_b32_e32 v28, s17, v28
	v_cmp_gt_i32_e64 s17, 0, v17
	v_and_b32_e32 v4, exec_lo, v4
	v_not_b32_e32 v17, v25
	v_ashrrev_i32_e32 v16, 31, v16
	v_xor_b32_e32 v5, s16, v5
	v_cmp_gt_i32_e64 s16, 0, v25
	v_and_b32_e32 v4, v4, v28
	v_not_b32_e32 v25, v26
	v_ashrrev_i32_e32 v17, 31, v17
	v_xor_b32_e32 v16, s17, v16
	v_cmp_gt_i32_e64 s17, 0, v26
	v_and_b32_e32 v4, v4, v5
	v_not_b32_e32 v5, v27
	v_ashrrev_i32_e32 v25, 31, v25
	v_xor_b32_e32 v17, s16, v17
	v_cmp_gt_i32_e64 s16, 0, v27
	v_and_b32_e32 v4, v4, v16
	v_not_b32_e32 v16, v24
	v_ashrrev_i32_e32 v26, 31, v5
	v_xor_b32_e32 v25, s17, v25
	v_cmp_gt_i32_e64 s17, 0, v24
	v_and_b32_e32 v17, v4, v17
	v_mov_b32_e32 v4, v20
	v_mov_b32_e32 v5, v21
	v_ashrrev_i32_e32 v20, 31, v16
	v_xor_b32_e32 v21, s16, v26
	v_and_b32_e32 v24, v17, v25
	v_mov_b32_e32 v16, v18
	v_mov_b32_e32 v17, v19
	v_xor_b32_e32 v18, s17, v20
	v_and_b32_e32 v19, v24, v21
	v_lshlrev_b32_e32 v21, 3, v23
	v_and_b32_e32 v20, v19, v18
	v_add_lshl_u32 v19, v21, v38, 2
	v_mbcnt_lo_u32_b32 v18, v20, 0
	v_add_co_u32 v19, null, v12, v19
	v_cmp_ne_u32_e64 s17, 0, v20
	v_cmp_eq_u32_e64 s16, 0, v18
	v_add_co_u32 v19, null, v19, 32
	s_and_b32 s17, s17, s16
	s_and_saveexec_b32 s16, s17
; %bb.336:                              ;   in Loop: Header=BB296_335 Depth=1
	v_bcnt_u32_b32 v20, v20, 0
	ds_write_b32 v19, v20
; %bb.337:                              ;   in Loop: Header=BB296_335 Depth=1
	s_or_b32 exec_lo, exec_lo, s16
	v_lshrrev_b16 v65, 8, v39
	; wave barrier
	v_lshrrev_b32_sdwa v20, v10, v65 dst_sel:DWORD dst_unused:UNUSED_PAD src0_sel:DWORD src1_sel:WORD_0
	v_and_b32_e32 v20, v20, v22
	v_and_b32_e32 v21, 1, v20
	v_lshlrev_b32_e32 v22, 30, v20
	v_lshlrev_b32_e32 v23, 29, v20
	;; [unrolled: 1-line block ×4, first 2 shown]
	v_add_co_u32 v21, s16, v21, -1
	v_cndmask_b32_e64 v25, 0, 1, s16
	v_not_b32_e32 v29, v22
	v_cmp_gt_i32_e64 s17, 0, v22
	v_not_b32_e32 v22, v23
	v_lshlrev_b32_e32 v27, 26, v20
	v_cmp_ne_u32_e64 s16, 0, v25
	v_ashrrev_i32_e32 v29, 31, v29
	v_lshlrev_b32_e32 v28, 25, v20
	v_ashrrev_i32_e32 v22, 31, v22
	v_lshlrev_b32_e32 v25, 24, v20
	v_xor_b32_e32 v21, s16, v21
	v_cmp_gt_i32_e64 s16, 0, v23
	v_not_b32_e32 v23, v24
	v_xor_b32_e32 v29, s17, v29
	v_cmp_gt_i32_e64 s17, 0, v24
	v_and_b32_e32 v21, exec_lo, v21
	v_not_b32_e32 v24, v26
	v_ashrrev_i32_e32 v23, 31, v23
	v_xor_b32_e32 v22, s16, v22
	v_cmp_gt_i32_e64 s16, 0, v26
	v_and_b32_e32 v21, v21, v29
	v_not_b32_e32 v26, v27
	v_ashrrev_i32_e32 v24, 31, v24
	v_xor_b32_e32 v23, s17, v23
	v_cmp_gt_i32_e64 s17, 0, v27
	v_and_b32_e32 v21, v21, v22
	v_not_b32_e32 v22, v28
	v_ashrrev_i32_e32 v26, 31, v26
	v_xor_b32_e32 v24, s16, v24
	v_cmp_gt_i32_e64 s16, 0, v28
	v_and_b32_e32 v21, v21, v23
	v_not_b32_e32 v23, v25
	v_ashrrev_i32_e32 v22, 31, v22
	v_xor_b32_e32 v26, s17, v26
	v_lshl_add_u32 v20, v20, 3, v38
	v_and_b32_e32 v21, v21, v24
	v_cmp_gt_i32_e64 s17, 0, v25
	v_ashrrev_i32_e32 v23, 31, v23
	v_xor_b32_e32 v22, s16, v22
	v_lshl_add_u32 v24, v20, 2, v12
	v_and_b32_e32 v21, v21, v26
	v_xor_b32_e32 v23, s17, v23
	ds_read_b32 v20, v24 offset:32
	v_and_b32_e32 v21, v21, v22
	v_add_nc_u32_e32 v22, 32, v24
	; wave barrier
	v_and_b32_e32 v23, v21, v23
	v_mbcnt_lo_u32_b32 v21, v23, 0
	v_cmp_ne_u32_e64 s17, 0, v23
	v_cmp_eq_u32_e64 s16, 0, v21
	s_and_b32 s17, s17, s16
	s_and_saveexec_b32 s16, s17
	s_cbranch_execz .LBB296_339
; %bb.338:                              ;   in Loop: Header=BB296_335 Depth=1
	s_waitcnt lgkmcnt(0)
	v_bcnt_u32_b32 v23, v23, v20
	ds_write_b32 v22, v23
.LBB296_339:                            ;   in Loop: Header=BB296_335 Depth=1
	s_or_b32 exec_lo, exec_lo, s16
	; wave barrier
	s_waitcnt lgkmcnt(0)
	s_barrier
	buffer_gl0_inv
	ds_read_b32 v24, v9
	ds_read_b32 v25, v31
	;; [unrolled: 1-line block ×8, first 2 shown]
	s_waitcnt lgkmcnt(6)
	v_add_nc_u32_e32 v67, v25, v24
	s_waitcnt lgkmcnt(4)
	v_add3_u32 v67, v67, v26, v27
	s_waitcnt lgkmcnt(2)
	v_add3_u32 v67, v67, v28, v29
	;; [unrolled: 2-line block ×3, first 2 shown]
	v_mov_b32_dpp v67, v66 row_shr:1 row_mask:0xf bank_mask:0xf
	v_cndmask_b32_e64 v67, v67, 0, vcc_lo
	v_add_nc_u32_e32 v66, v67, v66
	v_mov_b32_dpp v67, v66 row_shr:2 row_mask:0xf bank_mask:0xf
	v_cndmask_b32_e64 v67, 0, v67, s4
	v_add_nc_u32_e32 v66, v66, v67
	v_mov_b32_dpp v67, v66 row_shr:4 row_mask:0xf bank_mask:0xf
	v_cndmask_b32_e64 v67, 0, v67, s5
	;; [unrolled: 3-line block ×3, first 2 shown]
	v_add_nc_u32_e32 v66, v66, v67
	ds_swizzle_b32 v67, v66 offset:swizzle(BROADCAST,32,15)
	s_waitcnt lgkmcnt(0)
	v_cndmask_b32_e64 v67, v67, 0, s8
	v_add_nc_u32_e32 v66, v66, v67
	s_and_saveexec_b32 s16, s9
; %bb.340:                              ;   in Loop: Header=BB296_335 Depth=1
	ds_write_b32 v49, v66
; %bb.341:                              ;   in Loop: Header=BB296_335 Depth=1
	s_or_b32 exec_lo, exec_lo, s16
	s_waitcnt lgkmcnt(0)
	s_barrier
	buffer_gl0_inv
	s_and_saveexec_b32 s16, s10
	s_cbranch_execz .LBB296_343
; %bb.342:                              ;   in Loop: Header=BB296_335 Depth=1
	ds_read_b32 v67, v51
	s_waitcnt lgkmcnt(0)
	v_mov_b32_dpp v68, v67 row_shr:1 row_mask:0xf bank_mask:0xf
	v_cndmask_b32_e64 v68, v68, 0, s13
	v_add_nc_u32_e32 v67, v68, v67
	v_mov_b32_dpp v68, v67 row_shr:2 row_mask:0xf bank_mask:0xf
	v_cndmask_b32_e64 v68, 0, v68, s14
	v_add_nc_u32_e32 v67, v67, v68
	;; [unrolled: 3-line block ×3, first 2 shown]
	ds_write_b32 v51, v67
.LBB296_343:                            ;   in Loop: Header=BB296_335 Depth=1
	s_or_b32 exec_lo, exec_lo, s16
	v_mov_b32_e32 v67, 0
	s_waitcnt lgkmcnt(0)
	s_barrier
	buffer_gl0_inv
	s_and_saveexec_b32 s16, s11
; %bb.344:                              ;   in Loop: Header=BB296_335 Depth=1
	ds_read_b32 v67, v53
; %bb.345:                              ;   in Loop: Header=BB296_335 Depth=1
	s_or_b32 exec_lo, exec_lo, s16
	s_waitcnt lgkmcnt(0)
	v_add_nc_u32_e32 v66, v67, v66
	v_add_nc_u32_e32 v10, 8, v10
	s_mov_b32 s21, -1
	s_mov_b32 s17, exec_lo
	ds_bpermute_b32 v66, v48, v66
	s_waitcnt lgkmcnt(0)
	v_cndmask_b32_e64 v66, v66, v67, s6
	v_cndmask_b32_e64 v66, v66, 0, s12
	v_add_nc_u32_e32 v24, v66, v24
	v_add_nc_u32_e32 v25, v24, v25
	ds_write_b32 v9, v66
	ds_write_b32 v31, v24
	;; [unrolled: 1-line block ×3, first 2 shown]
	v_add_nc_u32_e32 v26, v25, v26
	v_add_nc_u32_e32 v27, v26, v27
	;; [unrolled: 1-line block ×5, first 2 shown]
	ds_write_b32 v33, v26
	ds_write_b32 v34, v27
	;; [unrolled: 1-line block ×5, first 2 shown]
	s_waitcnt lgkmcnt(0)
	s_barrier
	buffer_gl0_inv
	ds_read_b32 v19, v19
	ds_read_b32 v22, v22
	s_waitcnt lgkmcnt(0)
	v_add_nc_u32_e32 v18, v19, v18
	v_add3_u32 v19, v21, v20, v22
                                        ; implicit-def: $vgpr20_vgpr21
	v_add_co_u32 v28, s16, v12, v18
	v_add_co_ci_u32_e64 v29, null, 0, v13, s16
	v_add_co_u32 v26, s16, v12, v19
	v_add_co_ci_u32_e64 v27, null, 0, v13, s16
	v_mad_u64_u32 v[24:25], null, v18, 7, v[28:29]
	v_mad_u64_u32 v[22:23], null, v19, 7, v[26:27]
	v_mov_b32_e32 v23, v39
                                        ; implicit-def: $vgpr18_vgpr19
	v_cmpx_lt_u32_e64 v10, v11
	s_cbranch_execz .LBB296_334
; %bb.346:                              ;   in Loop: Header=BB296_335 Depth=1
	s_barrier
	buffer_gl0_inv
	ds_write_b8 v28, v39
	ds_write_b8 v26, v65
	s_waitcnt lgkmcnt(0)
	s_barrier
	buffer_gl0_inv
	ds_read_u8 v25, v54
	ds_read_u8 v27, v30
	s_waitcnt lgkmcnt(0)
	s_barrier
	buffer_gl0_inv
	ds_write_b64 v24, v[16:17]
	ds_write_b64 v22, v[4:5]
	s_waitcnt lgkmcnt(0)
	s_barrier
	buffer_gl0_inv
	ds_read_b64 v[18:19], v52
	ds_read_b64 v[20:21], v55
	v_add_nc_u32_e32 v64, -8, v64
	s_xor_b32 s21, exec_lo, -1
	s_waitcnt lgkmcnt(0)
	s_barrier
	buffer_gl0_inv
	v_perm_b32 v39, v27, v25, 0xc0c0004
	s_branch .LBB296_334
.LBB296_347:
	flat_load_dwordx2 v[26:27], v[4:5]
	s_or_b32 exec_lo, exec_lo, s7
                                        ; implicit-def: $vgpr28_vgpr29
	s_and_saveexec_b32 s7, s4
	s_cbranch_execz .LBB296_274
.LBB296_348:
	flat_load_dwordx2 v[28:29], v[4:5] offset:256
	s_or_b32 exec_lo, exec_lo, s7
                                        ; implicit-def: $vgpr22_vgpr23
	s_and_saveexec_b32 s4, s5
	s_cbranch_execz .LBB296_275
.LBB296_349:
	flat_load_dwordx2 v[22:23], v[4:5] offset:512
	s_or_b32 exec_lo, exec_lo, s4
                                        ; implicit-def: $vgpr24_vgpr25
	s_and_saveexec_b32 s4, s6
	s_cbranch_execnz .LBB296_276
	s_branch .LBB296_277
.LBB296_350:
	flat_store_dwordx2 v[0:1], v[13:14]
	s_or_b32 exec_lo, exec_lo, s7
	s_and_saveexec_b32 s7, s6
	s_cbranch_execz .LBB296_319
.LBB296_351:
	v_add_co_u32 v2, vcc_lo, 0x800, v0
	v_add_co_ci_u32_e64 v3, null, 0, v1, vcc_lo
	flat_store_dwordx2 v[2:3], v[15:16]
	s_or_b32 exec_lo, exec_lo, s7
	s_and_saveexec_b32 s6, s5
	s_cbranch_execz .LBB296_320
.LBB296_352:
	v_add_co_u32 v2, vcc_lo, 0x1000, v0
	v_add_co_ci_u32_e64 v3, null, 0, v1, vcc_lo
	flat_store_dwordx2 v[2:3], v[9:10]
	s_or_b32 exec_lo, exec_lo, s6
	s_and_saveexec_b32 s5, s4
	s_cbranch_execnz .LBB296_321
	s_branch .LBB296_322
.LBB296_353:
	s_or_b32 exec_lo, exec_lo, s20
	v_add_nc_u32_e32 v9, v12, v14
	v_mul_u32_u24_e32 v10, 7, v14
	s_barrier
	buffer_gl0_inv
	ds_write_b8 v28, v23
	ds_write_b8 v26, v65
	s_waitcnt lgkmcnt(0)
	s_barrier
	buffer_gl0_inv
	ds_read_u8 v18, v9
	ds_read_u8 v13, v9 offset:256
	v_add_nc_u32_e32 v9, v9, v10
	s_waitcnt lgkmcnt(0)
	s_barrier
	buffer_gl0_inv
	ds_write_b64 v24, v[16:17]
	ds_write_b64 v22, v[4:5]
	s_waitcnt lgkmcnt(0)
	s_barrier
	buffer_gl0_inv
	ds_read2st64_b64 v[9:12], v9 offset1:4
	v_add_co_u32 v2, vcc_lo, v2, v8
	v_add_co_ci_u32_e64 v3, null, 0, v3, vcc_lo
	v_mov_b32_e32 v16, 0
	v_add_co_u32 v2, vcc_lo, v2, v15
	v_add_co_ci_u32_e64 v3, null, 0, v3, vcc_lo
	v_cmp_lt_u32_e32 vcc_lo, v15, v226
	s_waitcnt lgkmcnt(0)
	s_barrier
	buffer_gl0_inv
	s_and_saveexec_b32 s4, vcc_lo
	s_cbranch_execz .LBB296_355
; %bb.354:
	v_xor_b32_e32 v4, 0x7f, v18
	flat_store_byte v[2:3], v4
.LBB296_355:
	s_or_b32 exec_lo, exec_lo, s4
	v_add_nc_u32_e32 v4, 0x100, v15
	v_cmp_lt_u32_e64 s4, v4, v226
	s_and_saveexec_b32 s5, s4
	s_cbranch_execz .LBB296_357
; %bb.356:
	v_xor_b32_e32 v4, 0x7f, v13
	flat_store_byte v[2:3], v4 offset:256
.LBB296_357:
	s_or_b32 exec_lo, exec_lo, s5
	v_lshlrev_b64 v[2:3], 3, v[15:16]
	v_add_co_u32 v0, s5, v6, v0
	v_add_co_ci_u32_e64 v1, null, v7, v1, s5
	v_add_co_u32 v0, s5, v0, v2
	v_add_co_ci_u32_e64 v1, null, v1, v3, s5
	s_and_saveexec_b32 s5, vcc_lo
	s_cbranch_execz .LBB296_359
; %bb.358:
	flat_store_dwordx2 v[0:1], v[9:10]
.LBB296_359:
	s_or_b32 exec_lo, exec_lo, s5
	s_and_saveexec_b32 s5, s4
	s_cbranch_execz .LBB296_361
; %bb.360:
	v_add_co_u32 v0, vcc_lo, 0x800, v0
	v_add_co_ci_u32_e64 v1, null, 0, v1, vcc_lo
	flat_store_dwordx2 v[0:1], v[11:12]
.LBB296_361:
	s_or_b32 exec_lo, exec_lo, s5
                                        ; implicit-def: $vgpr15_vgpr16
                                        ; implicit-def: $vgpr8_vgpr9
                                        ; implicit-def: $vgpr226
                                        ; implicit-def: $vgpr0
                                        ; implicit-def: $vgpr1
                                        ; implicit-def: $vgpr2
                                        ; implicit-def: $vgpr3
                                        ; implicit-def: $vgpr4
                                        ; implicit-def: $vgpr5
                                        ; implicit-def: $vgpr6
                                        ; implicit-def: $vgpr7
                                        ; implicit-def: $vgpr10
                                        ; implicit-def: $vgpr11
                                        ; implicit-def: $vgpr12
                                        ; implicit-def: $vgpr13
                                        ; implicit-def: $vgpr14
                                        ; implicit-def: $vgpr30
.LBB296_362:
	s_andn2_saveexec_b32 s4, s18
	s_cbranch_execz .LBB296_382
; %bb.363:
	v_and_b32_e32 v18, 0xffffffe0, v15
	v_mov_b32_e32 v37, 0xff
	v_or_b32_e32 v16, v30, v18
	v_cmp_lt_u32_e32 vcc_lo, v16, v226
	s_and_saveexec_b32 s5, vcc_lo
	s_cbranch_execz .LBB296_365
; %bb.364:
	v_add_co_u32 v0, s4, v0, v8
	v_add_co_ci_u32_e64 v1, null, 0, v1, s4
	v_add_co_u32 v0, s4, v0, v30
	v_add_co_ci_u32_e64 v1, null, 0, v1, s4
	;; [unrolled: 2-line block ×3, first 2 shown]
	flat_load_ubyte v0, v[0:1]
	s_waitcnt vmcnt(0) lgkmcnt(0)
	v_xor_b32_e32 v37, 0x7f, v0
.LBB296_365:
	s_or_b32 exec_lo, exec_lo, s5
	v_lshlrev_b64 v[0:1], 3, v[8:9]
                                        ; implicit-def: $vgpr16_vgpr17
	s_and_saveexec_b32 s4, vcc_lo
	s_cbranch_execz .LBB296_367
; %bb.366:
	v_mov_b32_e32 v19, 0
	v_lshlrev_b32_e32 v9, 3, v30
	v_add_co_u32 v16, vcc_lo, v4, v0
	v_add_co_ci_u32_e64 v17, null, v5, v1, vcc_lo
	v_lshlrev_b64 v[4:5], 3, v[18:19]
	v_add_co_u32 v9, vcc_lo, v16, v9
	v_add_co_ci_u32_e64 v16, null, 0, v17, vcc_lo
	v_add_co_u32 v4, vcc_lo, v9, v4
	v_add_co_ci_u32_e64 v5, null, v16, v5, vcc_lo
	flat_load_dwordx2 v[16:17], v[4:5]
.LBB296_367:
	s_or_b32 exec_lo, exec_lo, s4
	v_lshl_add_u32 v4, v14, 5, v12
	v_and_b32_e32 v5, 15, v30
	v_sub_co_u32 v28, s6, v30, 1
	s_getpc_b64 s[4:5]
	s_add_u32 s4, s4, _ZN7rocprim17ROCPRIM_400000_NS16block_radix_sortIaLj256ELj1ElLj1ELj1ELj8ELNS0_26block_radix_rank_algorithmE2ELNS0_18block_padding_hintE2ELNS0_4arch9wavefront6targetE0EE19radix_bits_per_passE@rel32@lo+4
	s_addc_u32 s5, s5, _ZN7rocprim17ROCPRIM_400000_NS16block_radix_sortIaLj256ELj1ElLj1ELj1ELj8ELNS0_26block_radix_rank_algorithmE2ELNS0_18block_padding_hintE2ELNS0_4arch9wavefront6targetE0EE19radix_bits_per_passE@rel32@hi+12
	v_add_nc_u32_e32 v9, 32, v4
	v_add_nc_u32_e32 v20, 36, v4
	;; [unrolled: 1-line block ×8, first 2 shown]
	v_and_b32_e32 v4, 0x3e0, v14
	s_load_dword s18, s[4:5], 0x0
	v_cmp_eq_u32_e32 vcc_lo, 0, v5
	v_cmp_lt_u32_e64 s4, 1, v5
	v_cmp_lt_u32_e64 s5, 3, v5
	v_min_u32_e32 v18, 0xe0, v4
	v_and_b32_e32 v19, 16, v30
	v_cmp_lt_u32_e64 s7, 7, v5
	v_cmp_gt_i32_e64 s9, 0, v28
	v_or_b32_e32 v4, v30, v4
	v_or_b32_e32 v5, 31, v18
	v_lshrrev_b32_e32 v18, 3, v14
	v_cmp_eq_u32_e64 s8, 0, v19
	v_cndmask_b32_e64 v19, v28, v30, s9
	v_add_nc_u32_e32 v32, v12, v4
	v_cmp_eq_u32_e64 s9, v14, v5
	v_and_b32_e32 v5, 0x7c, v18
	v_mul_u32_u24_e32 v4, 7, v4
	v_lshrrev_b32_e32 v27, 5, v15
	v_cmp_gt_u32_e64 s10, 8, v14
	v_cmp_lt_u32_e64 s11, 31, v14
	v_add_nc_u32_e32 v29, v12, v5
	v_and_b32_e32 v5, 7, v30
	v_lshlrev_b32_e32 v28, 2, v19
	v_cmp_eq_u32_e64 s12, 0, v14
	v_mov_b32_e32 v30, 0
	v_lshl_add_u32 v31, v14, 2, v12
	v_cmp_eq_u32_e64 s13, 0, v5
	v_cmp_lt_u32_e64 s14, 1, v5
	v_cmp_lt_u32_e64 s15, 3, v5
	v_add_nc_u32_e32 v33, -4, v29
	v_add_nc_u32_e32 v34, v32, v4
	v_sub_nc_u32_e32 v35, v11, v10
	s_mov_b32 s19, 0
	s_waitcnt vmcnt(0) lgkmcnt(0)
	s_waitcnt_vscnt null, 0x0
	s_barrier
	buffer_gl0_inv
	s_branch .LBB296_369
.LBB296_368:                            ;   in Loop: Header=BB296_369 Depth=1
	s_or_b32 exec_lo, exec_lo, s17
	s_and_b32 s16, exec_lo, s20
	s_or_b32 s19, s16, s19
	s_andn2_b32 exec_lo, exec_lo, s19
	s_cbranch_execz .LBB296_379
.LBB296_369:                            ; =>This Inner Loop Header: Depth=1
	v_mov_b32_e32 v36, v37
	v_min_u32_e32 v4, s18, v35
	ds_write_b32 v9, v30
	ds_write_b32 v20, v30
	;; [unrolled: 1-line block ×5, first 2 shown]
	v_lshrrev_b32_sdwa v5, v10, v36 dst_sel:DWORD dst_unused:UNUSED_PAD src0_sel:DWORD src1_sel:BYTE_0
	ds_write_b32 v24, v30
	ds_write_b32 v25, v30
	;; [unrolled: 1-line block ×3, first 2 shown]
	s_waitcnt lgkmcnt(0)
	s_barrier
	v_bfe_u32 v18, v5, 0, v4
	buffer_gl0_inv
	; wave barrier
	v_and_b32_e32 v4, 1, v18
	v_lshlrev_b32_e32 v5, 30, v18
	v_lshlrev_b32_e32 v19, 29, v18
	;; [unrolled: 1-line block ×4, first 2 shown]
	v_add_co_u32 v4, s16, v4, -1
	v_cndmask_b32_e64 v38, 0, 1, s16
	v_not_b32_e32 v50, v5
	v_cmp_gt_i32_e64 s17, 0, v5
	v_not_b32_e32 v5, v19
	v_lshlrev_b32_e32 v48, 26, v18
	v_cmp_ne_u32_e64 s16, 0, v38
	v_ashrrev_i32_e32 v50, 31, v50
	v_lshlrev_b32_e32 v49, 25, v18
	v_ashrrev_i32_e32 v5, 31, v5
	v_lshlrev_b32_e32 v38, 24, v18
	v_xor_b32_e32 v4, s16, v4
	v_cmp_gt_i32_e64 s16, 0, v19
	v_not_b32_e32 v19, v37
	v_xor_b32_e32 v50, s17, v50
	v_cmp_gt_i32_e64 s17, 0, v37
	v_and_b32_e32 v4, exec_lo, v4
	v_not_b32_e32 v37, v39
	v_ashrrev_i32_e32 v19, 31, v19
	v_xor_b32_e32 v5, s16, v5
	v_cmp_gt_i32_e64 s16, 0, v39
	v_and_b32_e32 v4, v4, v50
	v_not_b32_e32 v39, v48
	v_ashrrev_i32_e32 v37, 31, v37
	v_xor_b32_e32 v19, s17, v19
	v_cmp_gt_i32_e64 s17, 0, v48
	v_and_b32_e32 v4, v4, v5
	;; [unrolled: 5-line block ×4, first 2 shown]
	v_ashrrev_i32_e32 v19, 31, v19
	v_xor_b32_e32 v37, s16, v5
	v_and_b32_e32 v38, v4, v39
	v_mov_b32_e32 v4, v16
	v_mov_b32_e32 v5, v17
	v_xor_b32_e32 v16, s17, v19
	v_lshlrev_b32_e32 v19, 3, v18
	v_and_b32_e32 v17, v38, v37
	v_and_b32_e32 v18, v17, v16
	v_add_lshl_u32 v17, v19, v27, 2
	v_mbcnt_lo_u32_b32 v16, v18, 0
	v_add_co_u32 v17, null, v12, v17
	v_cmp_ne_u32_e64 s17, 0, v18
	v_cmp_eq_u32_e64 s16, 0, v16
	v_add_co_u32 v17, null, v17, 32
	s_and_b32 s17, s17, s16
	s_and_saveexec_b32 s16, s17
; %bb.370:                              ;   in Loop: Header=BB296_369 Depth=1
	v_bcnt_u32_b32 v18, v18, 0
	ds_write_b32 v17, v18
; %bb.371:                              ;   in Loop: Header=BB296_369 Depth=1
	s_or_b32 exec_lo, exec_lo, s16
	; wave barrier
	s_waitcnt lgkmcnt(0)
	s_barrier
	buffer_gl0_inv
	ds_read_b32 v19, v9
	ds_read_b32 v37, v20
	ds_read_b32 v38, v21
	ds_read_b32 v39, v22
	ds_read_b32 v48, v23
	ds_read_b32 v49, v24
	ds_read_b32 v18, v25
	ds_read_b32 v50, v26
	s_waitcnt lgkmcnt(6)
	v_add_nc_u32_e32 v51, v37, v19
	s_waitcnt lgkmcnt(4)
	v_add3_u32 v51, v51, v38, v39
	s_waitcnt lgkmcnt(2)
	v_add3_u32 v51, v51, v48, v49
	;; [unrolled: 2-line block ×3, first 2 shown]
	v_mov_b32_dpp v51, v50 row_shr:1 row_mask:0xf bank_mask:0xf
	v_cndmask_b32_e64 v51, v51, 0, vcc_lo
	v_add_nc_u32_e32 v50, v51, v50
	v_mov_b32_dpp v51, v50 row_shr:2 row_mask:0xf bank_mask:0xf
	v_cndmask_b32_e64 v51, 0, v51, s4
	v_add_nc_u32_e32 v50, v50, v51
	v_mov_b32_dpp v51, v50 row_shr:4 row_mask:0xf bank_mask:0xf
	v_cndmask_b32_e64 v51, 0, v51, s5
	;; [unrolled: 3-line block ×3, first 2 shown]
	v_add_nc_u32_e32 v50, v50, v51
	ds_swizzle_b32 v51, v50 offset:swizzle(BROADCAST,32,15)
	s_waitcnt lgkmcnt(0)
	v_cndmask_b32_e64 v51, v51, 0, s8
	v_add_nc_u32_e32 v50, v50, v51
	s_and_saveexec_b32 s16, s9
; %bb.372:                              ;   in Loop: Header=BB296_369 Depth=1
	ds_write_b32 v29, v50
; %bb.373:                              ;   in Loop: Header=BB296_369 Depth=1
	s_or_b32 exec_lo, exec_lo, s16
	s_waitcnt lgkmcnt(0)
	s_barrier
	buffer_gl0_inv
	s_and_saveexec_b32 s16, s10
	s_cbranch_execz .LBB296_375
; %bb.374:                              ;   in Loop: Header=BB296_369 Depth=1
	ds_read_b32 v51, v31
	s_waitcnt lgkmcnt(0)
	v_mov_b32_dpp v52, v51 row_shr:1 row_mask:0xf bank_mask:0xf
	v_cndmask_b32_e64 v52, v52, 0, s13
	v_add_nc_u32_e32 v51, v52, v51
	v_mov_b32_dpp v52, v51 row_shr:2 row_mask:0xf bank_mask:0xf
	v_cndmask_b32_e64 v52, 0, v52, s14
	v_add_nc_u32_e32 v51, v51, v52
	;; [unrolled: 3-line block ×3, first 2 shown]
	ds_write_b32 v31, v51
.LBB296_375:                            ;   in Loop: Header=BB296_369 Depth=1
	s_or_b32 exec_lo, exec_lo, s16
	v_mov_b32_e32 v51, 0
	s_waitcnt lgkmcnt(0)
	s_barrier
	buffer_gl0_inv
	s_and_saveexec_b32 s16, s11
; %bb.376:                              ;   in Loop: Header=BB296_369 Depth=1
	ds_read_b32 v51, v33
; %bb.377:                              ;   in Loop: Header=BB296_369 Depth=1
	s_or_b32 exec_lo, exec_lo, s16
	s_waitcnt lgkmcnt(0)
	v_add_nc_u32_e32 v50, v51, v50
	v_add_nc_u32_e32 v10, 8, v10
	s_mov_b32 s20, -1
	ds_bpermute_b32 v50, v28, v50
	s_waitcnt lgkmcnt(0)
	v_cndmask_b32_e64 v50, v50, v51, s6
	v_cndmask_b32_e64 v50, v50, 0, s12
	v_add_nc_u32_e32 v19, v50, v19
	v_add_nc_u32_e32 v37, v19, v37
	ds_write_b32 v9, v50
	ds_write_b32 v20, v19
	;; [unrolled: 1-line block ×3, first 2 shown]
	v_add_nc_u32_e32 v38, v37, v38
                                        ; implicit-def: $vgpr37
	v_add_nc_u32_e32 v39, v38, v39
	v_add_nc_u32_e32 v48, v39, v48
	;; [unrolled: 1-line block ×4, first 2 shown]
	ds_write_b32 v22, v38
	ds_write_b32 v23, v39
	;; [unrolled: 1-line block ×5, first 2 shown]
	s_waitcnt lgkmcnt(0)
	s_barrier
	buffer_gl0_inv
	ds_read_b32 v17, v17
	s_waitcnt lgkmcnt(0)
	v_add_nc_u32_e32 v38, v17, v16
                                        ; implicit-def: $vgpr16_vgpr17
	v_add_co_u32 v18, s17, v12, v38
	v_add_co_ci_u32_e64 v19, null, 0, v13, s17
	s_mov_b32 s17, exec_lo
	v_cmpx_lt_u32_e64 v10, v11
	s_cbranch_execz .LBB296_368
; %bb.378:                              ;   in Loop: Header=BB296_369 Depth=1
	v_mad_u64_u32 v[16:17], null, v38, 7, v[18:19]
	s_barrier
	buffer_gl0_inv
	ds_write_b8 v18, v36
	s_waitcnt lgkmcnt(0)
	s_barrier
	buffer_gl0_inv
	ds_read_u8 v37, v32
	s_waitcnt lgkmcnt(0)
	s_barrier
	buffer_gl0_inv
	ds_write_b64 v16, v[4:5]
	s_waitcnt lgkmcnt(0)
	s_barrier
	buffer_gl0_inv
	ds_read_b64 v[16:17], v34
	v_add_nc_u32_e32 v35, -8, v35
	s_xor_b32 s20, exec_lo, -1
	s_waitcnt lgkmcnt(0)
	s_barrier
	buffer_gl0_inv
	s_branch .LBB296_368
.LBB296_379:
	s_or_b32 exec_lo, exec_lo, s19
	v_mad_u64_u32 v[10:11], null, v38, 7, v[18:19]
	v_add_nc_u32_e32 v12, v12, v14
	v_mul_u32_u24_e32 v11, 7, v14
	s_barrier
	buffer_gl0_inv
	ds_write_b8 v18, v36
	s_waitcnt lgkmcnt(0)
	v_add_nc_u32_e32 v11, v12, v11
	s_barrier
	buffer_gl0_inv
	ds_read_u8 v9, v12
	s_waitcnt lgkmcnt(0)
	s_barrier
	buffer_gl0_inv
	ds_write_b64 v10, v[4:5]
	s_waitcnt lgkmcnt(0)
	s_barrier
	buffer_gl0_inv
	ds_read_b64 v[4:5], v11
	s_mov_b32 s4, exec_lo
	s_waitcnt lgkmcnt(0)
	s_barrier
	buffer_gl0_inv
	v_cmpx_lt_u32_e64 v15, v226
	s_cbranch_execz .LBB296_381
; %bb.380:
	v_add_co_u32 v2, vcc_lo, v2, v8
	v_mov_b32_e32 v16, 0
	v_add_co_ci_u32_e64 v3, null, 0, v3, vcc_lo
	v_add_co_u32 v2, vcc_lo, v2, v15
	v_lshlrev_b64 v[10:11], 3, v[15:16]
	v_add_co_ci_u32_e64 v3, null, 0, v3, vcc_lo
	v_add_co_u32 v0, vcc_lo, v6, v0
	v_add_co_ci_u32_e64 v1, null, v7, v1, vcc_lo
	v_xor_b32_e32 v6, 0x7f, v9
	v_add_co_u32 v0, vcc_lo, v0, v10
	v_add_co_ci_u32_e64 v1, null, v1, v11, vcc_lo
	flat_store_byte v[2:3], v6
	flat_store_dwordx2 v[0:1], v[4:5]
.LBB296_381:
	s_or_b32 exec_lo, exec_lo, s4
.LBB296_382:
	s_or_b32 exec_lo, exec_lo, s25
	s_clause 0x3a
	buffer_load_dword v154, off, s[0:3], s32
	buffer_load_dword v153, off, s[0:3], s32 offset:4
	buffer_load_dword v152, off, s[0:3], s32 offset:8
	;; [unrolled: 1-line block ×58, first 2 shown]
	s_waitcnt vmcnt(0) lgkmcnt(0)
	s_setpc_b64 s[30:31]
.Lfunc_end296:
	.size	_ZN7rocprim17ROCPRIM_400000_NS6detail40segmented_radix_sort_single_block_helperIalLj256ELj17ELb1EE4sortIPKaPaPKlPlEEbT_T0_T1_T2_jjjjRNS3_12storage_typeE, .Lfunc_end296-_ZN7rocprim17ROCPRIM_400000_NS6detail40segmented_radix_sort_single_block_helperIalLj256ELj17ELb1EE4sortIPKaPaPKlPlEEbT_T0_T1_T2_jjjjRNS3_12storage_typeE
                                        ; -- End function
	.set .L_ZN7rocprim17ROCPRIM_400000_NS6detail40segmented_radix_sort_single_block_helperIalLj256ELj17ELb1EE4sortIPKaPaPKlPlEEbT_T0_T1_T2_jjjjRNS3_12storage_typeE.num_vgpr, 248
	.set .L_ZN7rocprim17ROCPRIM_400000_NS6detail40segmented_radix_sort_single_block_helperIalLj256ELj17ELb1EE4sortIPKaPaPKlPlEEbT_T0_T1_T2_jjjjRNS3_12storage_typeE.num_agpr, 0
	.set .L_ZN7rocprim17ROCPRIM_400000_NS6detail40segmented_radix_sort_single_block_helperIalLj256ELj17ELb1EE4sortIPKaPaPKlPlEEbT_T0_T1_T2_jjjjRNS3_12storage_typeE.numbered_sgpr, 33
	.set .L_ZN7rocprim17ROCPRIM_400000_NS6detail40segmented_radix_sort_single_block_helperIalLj256ELj17ELb1EE4sortIPKaPaPKlPlEEbT_T0_T1_T2_jjjjRNS3_12storage_typeE.num_named_barrier, 0
	.set .L_ZN7rocprim17ROCPRIM_400000_NS6detail40segmented_radix_sort_single_block_helperIalLj256ELj17ELb1EE4sortIPKaPaPKlPlEEbT_T0_T1_T2_jjjjRNS3_12storage_typeE.private_seg_size, 240
	.set .L_ZN7rocprim17ROCPRIM_400000_NS6detail40segmented_radix_sort_single_block_helperIalLj256ELj17ELb1EE4sortIPKaPaPKlPlEEbT_T0_T1_T2_jjjjRNS3_12storage_typeE.uses_vcc, 1
	.set .L_ZN7rocprim17ROCPRIM_400000_NS6detail40segmented_radix_sort_single_block_helperIalLj256ELj17ELb1EE4sortIPKaPaPKlPlEEbT_T0_T1_T2_jjjjRNS3_12storage_typeE.uses_flat_scratch, 0
	.set .L_ZN7rocprim17ROCPRIM_400000_NS6detail40segmented_radix_sort_single_block_helperIalLj256ELj17ELb1EE4sortIPKaPaPKlPlEEbT_T0_T1_T2_jjjjRNS3_12storage_typeE.has_dyn_sized_stack, 0
	.set .L_ZN7rocprim17ROCPRIM_400000_NS6detail40segmented_radix_sort_single_block_helperIalLj256ELj17ELb1EE4sortIPKaPaPKlPlEEbT_T0_T1_T2_jjjjRNS3_12storage_typeE.has_recursion, 0
	.set .L_ZN7rocprim17ROCPRIM_400000_NS6detail40segmented_radix_sort_single_block_helperIalLj256ELj17ELb1EE4sortIPKaPaPKlPlEEbT_T0_T1_T2_jjjjRNS3_12storage_typeE.has_indirect_call, 0
	.section	.AMDGPU.csdata,"",@progbits
; Function info:
; codeLenInByte = 29752
; TotalNumSgprs: 35
; NumVgprs: 248
; ScratchSize: 240
; MemoryBound: 1
	.section	.text._ZN7rocprim17ROCPRIM_400000_NS6detail17trampoline_kernelINS0_14default_configENS1_36segmented_radix_sort_config_selectorIalEEZNS1_25segmented_radix_sort_implIS3_Lb1EPKaPaPKlPlN2at6native12_GLOBAL__N_18offset_tEEE10hipError_tPvRmT1_PNSt15iterator_traitsISK_E10value_typeET2_T3_PNSL_ISQ_E10value_typeET4_jRbjT5_SW_jjP12ihipStream_tbEUlT_E_NS1_11comp_targetILNS1_3genE8ELNS1_11target_archE1030ELNS1_3gpuE2ELNS1_3repE0EEENS1_30default_config_static_selectorELNS0_4arch9wavefront6targetE0EEEvSK_,"axG",@progbits,_ZN7rocprim17ROCPRIM_400000_NS6detail17trampoline_kernelINS0_14default_configENS1_36segmented_radix_sort_config_selectorIalEEZNS1_25segmented_radix_sort_implIS3_Lb1EPKaPaPKlPlN2at6native12_GLOBAL__N_18offset_tEEE10hipError_tPvRmT1_PNSt15iterator_traitsISK_E10value_typeET2_T3_PNSL_ISQ_E10value_typeET4_jRbjT5_SW_jjP12ihipStream_tbEUlT_E_NS1_11comp_targetILNS1_3genE8ELNS1_11target_archE1030ELNS1_3gpuE2ELNS1_3repE0EEENS1_30default_config_static_selectorELNS0_4arch9wavefront6targetE0EEEvSK_,comdat
	.globl	_ZN7rocprim17ROCPRIM_400000_NS6detail17trampoline_kernelINS0_14default_configENS1_36segmented_radix_sort_config_selectorIalEEZNS1_25segmented_radix_sort_implIS3_Lb1EPKaPaPKlPlN2at6native12_GLOBAL__N_18offset_tEEE10hipError_tPvRmT1_PNSt15iterator_traitsISK_E10value_typeET2_T3_PNSL_ISQ_E10value_typeET4_jRbjT5_SW_jjP12ihipStream_tbEUlT_E_NS1_11comp_targetILNS1_3genE8ELNS1_11target_archE1030ELNS1_3gpuE2ELNS1_3repE0EEENS1_30default_config_static_selectorELNS0_4arch9wavefront6targetE0EEEvSK_ ; -- Begin function _ZN7rocprim17ROCPRIM_400000_NS6detail17trampoline_kernelINS0_14default_configENS1_36segmented_radix_sort_config_selectorIalEEZNS1_25segmented_radix_sort_implIS3_Lb1EPKaPaPKlPlN2at6native12_GLOBAL__N_18offset_tEEE10hipError_tPvRmT1_PNSt15iterator_traitsISK_E10value_typeET2_T3_PNSL_ISQ_E10value_typeET4_jRbjT5_SW_jjP12ihipStream_tbEUlT_E_NS1_11comp_targetILNS1_3genE8ELNS1_11target_archE1030ELNS1_3gpuE2ELNS1_3repE0EEENS1_30default_config_static_selectorELNS0_4arch9wavefront6targetE0EEEvSK_
	.p2align	8
	.type	_ZN7rocprim17ROCPRIM_400000_NS6detail17trampoline_kernelINS0_14default_configENS1_36segmented_radix_sort_config_selectorIalEEZNS1_25segmented_radix_sort_implIS3_Lb1EPKaPaPKlPlN2at6native12_GLOBAL__N_18offset_tEEE10hipError_tPvRmT1_PNSt15iterator_traitsISK_E10value_typeET2_T3_PNSL_ISQ_E10value_typeET4_jRbjT5_SW_jjP12ihipStream_tbEUlT_E_NS1_11comp_targetILNS1_3genE8ELNS1_11target_archE1030ELNS1_3gpuE2ELNS1_3repE0EEENS1_30default_config_static_selectorELNS0_4arch9wavefront6targetE0EEEvSK_,@function
_ZN7rocprim17ROCPRIM_400000_NS6detail17trampoline_kernelINS0_14default_configENS1_36segmented_radix_sort_config_selectorIalEEZNS1_25segmented_radix_sort_implIS3_Lb1EPKaPaPKlPlN2at6native12_GLOBAL__N_18offset_tEEE10hipError_tPvRmT1_PNSt15iterator_traitsISK_E10value_typeET2_T3_PNSL_ISQ_E10value_typeET4_jRbjT5_SW_jjP12ihipStream_tbEUlT_E_NS1_11comp_targetILNS1_3genE8ELNS1_11target_archE1030ELNS1_3gpuE2ELNS1_3repE0EEENS1_30default_config_static_selectorELNS0_4arch9wavefront6targetE0EEEvSK_: ; @_ZN7rocprim17ROCPRIM_400000_NS6detail17trampoline_kernelINS0_14default_configENS1_36segmented_radix_sort_config_selectorIalEEZNS1_25segmented_radix_sort_implIS3_Lb1EPKaPaPKlPlN2at6native12_GLOBAL__N_18offset_tEEE10hipError_tPvRmT1_PNSt15iterator_traitsISK_E10value_typeET2_T3_PNSL_ISQ_E10value_typeET4_jRbjT5_SW_jjP12ihipStream_tbEUlT_E_NS1_11comp_targetILNS1_3genE8ELNS1_11target_archE1030ELNS1_3gpuE2ELNS1_3repE0EEENS1_30default_config_static_selectorELNS0_4arch9wavefront6targetE0EEEvSK_
; %bb.0:
	s_load_dwordx2 s[12:13], s[4:5], 0x38
	s_mov_b32 s28, s7
	s_mov_b32 s7, 0
	s_add_u32 s0, s0, s8
	s_addc_u32 s1, s1, 0
	s_lshl_b64 s[14:15], s[6:7], 2
	s_load_dwordx4 s[8:11], s[4:5], 0x40
	s_mov_b32 s32, 0
	s_waitcnt lgkmcnt(0)
	s_add_u32 s12, s12, s14
	s_addc_u32 s13, s13, s15
	s_load_dword s7, s[12:13], 0x0
	s_waitcnt lgkmcnt(0)
	s_add_i32 s58, s7, s9
	s_add_i32 s59, s7, s11
	s_mul_i32 s58, s58, s8
	s_mul_i32 s59, s59, s10
	s_cmp_le_u32 s59, s58
	s_cbranch_scc1 .LBB297_1254
; %bb.1:
	s_clause 0x3
	s_load_dword s7, s[4:5], 0x30
	s_load_dwordx4 s[52:55], s[4:5], 0x20
	s_load_dwordx4 s[40:43], s[4:5], 0x50
	s_load_dwordx8 s[44:51], s[4:5], 0x0
	s_waitcnt lgkmcnt(0)
	s_bitcmp1_b32 s7, 0
	s_mov_b32 s7, -1
	s_cselect_b32 s43, -1, 0
	s_sub_i32 s60, s59, s58
	s_cmpk_lt_u32 s60, 0x1101
	s_cbranch_scc0 .LBB297_7
; %bb.2:
	v_cndmask_b32_e64 v3, 0, 1, s43
	s_and_b32 s7, s40, 1
	v_lshlrev_b32_e32 v41, 20, v2
	v_lshlrev_b32_e32 v42, 10, v1
	v_cmp_ne_u32_e32 vcc_lo, s7, v3
	s_mov_b32 s7, -1
	s_cbranch_vccnz .LBB297_4
; %bb.3:
	s_mov_b64 s[10:11], src_shared_base
	v_or3_b32 v31, v0, v42, v41
	v_mov_b32_e32 v40, v0
	v_mov_b32_e32 v0, s44
	;; [unrolled: 1-line block ×17, first 2 shown]
	s_add_u32 s8, s4, 0x60
	s_addc_u32 s9, s5, 0
	s_getpc_b64 s[14:15]
	s_add_u32 s14, s14, _ZN7rocprim17ROCPRIM_400000_NS6detail40segmented_radix_sort_single_block_helperIalLj256ELj17ELb1EE4sortIPKaPaPKlPlEEbT_T0_T1_T2_jjjjRNS3_12storage_typeE@rel32@lo+4
	s_addc_u32 s15, s15, _ZN7rocprim17ROCPRIM_400000_NS6detail40segmented_radix_sort_single_block_helperIalLj256ELj17ELb1EE4sortIPKaPaPKlPlEEbT_T0_T1_T2_jjjjRNS3_12storage_typeE@rel32@hi+12
	s_mov_b32 s12, s6
	s_mov_b32 s13, s28
	;; [unrolled: 1-line block ×3, first 2 shown]
	s_mov_b64 s[36:37], s[4:5]
	s_swappc_b64 s[30:31], s[14:15]
	v_mov_b32_e32 v1, v43
	v_mov_b32_e32 v2, v44
	;; [unrolled: 1-line block ×3, first 2 shown]
	s_mov_b64 s[4:5], s[36:37]
	s_mov_b32 s6, s34
	s_mov_b32 s7, 0
.LBB297_4:
	s_andn2_b32 vcc_lo, exec_lo, s7
	s_cbranch_vccnz .LBB297_6
; %bb.5:
	s_mov_b64 s[10:11], src_shared_base
	v_or3_b32 v31, v0, v42, v41
	v_mov_b32_e32 v40, v0
	v_mov_b32_e32 v0, s44
	;; [unrolled: 1-line block ×17, first 2 shown]
	s_add_u32 s8, s4, 0x60
	s_addc_u32 s9, s5, 0
	s_getpc_b64 s[14:15]
	s_add_u32 s14, s14, _ZN7rocprim17ROCPRIM_400000_NS6detail40segmented_radix_sort_single_block_helperIalLj256ELj17ELb1EE4sortIPKaPaPKlPlEEbT_T0_T1_T2_jjjjRNS3_12storage_typeE@rel32@lo+4
	s_addc_u32 s15, s15, _ZN7rocprim17ROCPRIM_400000_NS6detail40segmented_radix_sort_single_block_helperIalLj256ELj17ELb1EE4sortIPKaPaPKlPlEEbT_T0_T1_T2_jjjjRNS3_12storage_typeE@rel32@hi+12
	s_mov_b32 s12, s6
	s_mov_b32 s13, s28
	;; [unrolled: 1-line block ×3, first 2 shown]
	s_mov_b64 s[36:37], s[4:5]
	s_swappc_b64 s[30:31], s[14:15]
	v_mov_b32_e32 v1, v41
	v_mov_b32_e32 v2, v42
	;; [unrolled: 1-line block ×3, first 2 shown]
	s_mov_b64 s[4:5], s[36:37]
	s_mov_b32 s6, s34
.LBB297_6:
	s_mov_b32 s7, 0
.LBB297_7:
	s_andn2_b32 vcc_lo, exec_lo, s7
	s_cbranch_vccnz .LBB297_1254
; %bb.8:
	s_cmp_ge_u32 s41, s42
	s_cbranch_scc1 .LBB297_1254
; %bb.9:
	v_lshlrev_b32_e32 v43, 2, v0
	v_and_b32_e32 v3, 3, v0
	v_and_b32_e32 v5, 0xe0, v0
	s_add_u32 s56, s4, 0x60
	v_lshrrev_b32_e32 v7, 3, v0
	v_mad_u32_u24 v64, v0, 12, v43
	v_lshlrev_b32_e32 v63, 2, v3
	v_min_u32_e32 v6, 0x60, v5
	v_or_b32_e32 v3, 31, v5
	v_mul_u32_u24_e32 v68, 17, v5
	v_add_nc_u32_e32 v69, v64, v43
	v_lshlrev_b32_e32 v5, 4, v0
	v_or_b32_e32 v6, 31, v6
	v_cmp_eq_u32_e64 s4, v0, v3
	v_add_nc_u32_e32 v3, 1, v0
	v_mbcnt_lo_u32_b32 v86, -1, 0
	v_sub_nc_u32_e32 v70, v69, v5
	v_lshlrev_b32_e32 v5, 3, v68
	v_cmp_eq_u32_e64 s8, v0, v6
	v_mul_u32_u24_e32 v71, 36, v3
	v_cmp_ne_u32_e64 s13, 0x80, v3
	v_and_b32_e32 v62, 28, v7
	v_add_co_u32 v73, s14, s54, v5
	v_add_co_ci_u32_e64 v74, null, s55, 0, s14
	v_add_co_u32 v3, s14, s48, v68
	v_add_co_ci_u32_e64 v6, null, s49, 0, s14
	;; [unrolled: 2-line block ×6, first 2 shown]
	v_add_co_u32 v84, s14, s50, v5
	v_add_co_u32 v45, s7, s48, v0
	v_add_co_ci_u32_e64 v85, null, s51, 0, s14
	v_add_co_u32 v87, s14, s44, v68
	v_add_co_u32 v90, vcc_lo, v3, v86
	v_mov_b32_e32 v4, 0
	v_or_b32_e32 v44, 0x100, v0
	v_add_co_ci_u32_e64 v46, null, s49, 0, s7
	v_or_b32_e32 v47, 0x200, v0
	v_or_b32_e32 v48, 0x300, v0
	;; [unrolled: 1-line block ×15, first 2 shown]
	v_cmp_gt_u32_e64 s7, 0x80, v0
	v_or_b32_e32 v65, 0x8a00, v62
	v_cmp_gt_u32_e64 s9, 4, v0
	v_add_nc_u32_e32 v66, 0x8a00, v43
	v_cmp_lt_u32_e64 s10, 31, v0
	v_add_nc_u32_e32 v67, 0x89fc, v62
	v_cmp_gt_u32_e64 s11, 8, v0
	v_cmp_eq_u32_e64 s12, 0, v0
	v_lshlrev_b32_e32 v72, 5, v0
	v_mul_u32_u24_e32 v75, 7, v0
	v_add_co_ci_u32_e64 v88, null, s45, 0, s14
	v_mov_b32_e32 v89, 1
	v_add_co_ci_u32_e64 v91, null, 0, v6, vcc_lo
	v_mov_b32_e32 v92, 0xffff
	v_mov_b32_e32 v93, 0x7f
	s_addc_u32 s57, s5, 0
	s_mov_b32 s51, 0
	s_mov_b32 s61, s41
	s_branch .LBB297_12
.LBB297_10:                             ;   in Loop: Header=BB297_12 Depth=1
	s_waitcnt lgkmcnt(0)
	s_barrier
.LBB297_11:                             ;   in Loop: Header=BB297_12 Depth=1
	s_add_i32 s61, s61, 7
	buffer_gl0_inv
	s_cmp_ge_u32 s61, s42
	s_cbranch_scc1 .LBB297_1254
.LBB297_12:                             ; =>This Loop Header: Depth=1
                                        ;     Child Loop BB297_16 Depth 2
                                        ;     Child Loop BB297_100 Depth 2
                                        ;     Child Loop BB297_326 Depth 2
                                        ;     Child Loop BB297_410 Depth 2
                                        ;     Child Loop BB297_638 Depth 2
                                        ;     Child Loop BB297_722 Depth 2
                                        ;     Child Loop BB297_948 Depth 2
                                        ;     Child Loop BB297_1032 Depth 2
	s_sub_i32 s5, s42, s61
	s_xor_b32 s43, s43, -1
	s_min_u32 s5, s5, 7
	ds_write2st64_b32 v43, v4, v4 offset1:4
	s_lshl_b32 s5, -1, s5
	s_waitcnt lgkmcnt(0)
	s_waitcnt_vscnt null, 0x0
	s_not_b32 s62, s5
	s_cmp_lg_u32 s61, s41
	s_mov_b32 s5, -1
	s_cbranch_scc0 .LBB297_634
; %bb.13:                               ;   in Loop: Header=BB297_12 Depth=1
	s_and_b32 vcc_lo, exec_lo, s43
	s_cbranch_vccz .LBB297_323
; %bb.14:                               ;   in Loop: Header=BB297_12 Depth=1
	v_mov_b32_e32 v17, 0
	v_mov_b32_e32 v20, 0
	;; [unrolled: 1-line block ×17, first 2 shown]
	s_mov_b32 s5, s60
	s_mov_b32 s16, s58
	s_barrier
	buffer_gl0_inv
	s_branch .LBB297_16
.LBB297_15:                             ;   in Loop: Header=BB297_16 Depth=2
	s_or_b32 exec_lo, exec_lo, s15
	s_addk_i32 s5, 0xef00
	s_cmp_ge_u32 s14, s59
	s_mov_b32 s16, s14
	s_cbranch_scc1 .LBB297_88
.LBB297_16:                             ;   Parent Loop BB297_12 Depth=1
                                        ; =>  This Inner Loop Header: Depth=2
	s_add_i32 s14, s16, 0x1100
	s_mov_b32 s15, -1
	s_cmp_gt_u32 s14, s59
                                        ; implicit-def: $vgpr21
                                        ; implicit-def: $vgpr22
                                        ; implicit-def: $vgpr23
                                        ; implicit-def: $vgpr24
                                        ; implicit-def: $vgpr25
                                        ; implicit-def: $vgpr26
                                        ; implicit-def: $vgpr27
                                        ; implicit-def: $vgpr28
                                        ; implicit-def: $vgpr29
                                        ; implicit-def: $vgpr30
                                        ; implicit-def: $vgpr31
                                        ; implicit-def: $vgpr32
                                        ; implicit-def: $vgpr33
                                        ; implicit-def: $vgpr34
                                        ; implicit-def: $vgpr35
                                        ; implicit-def: $vgpr36
                                        ; implicit-def: $vgpr37
	s_cbranch_scc1 .LBB297_18
; %bb.17:                               ;   in Loop: Header=BB297_16 Depth=2
	v_add_co_u32 v38, vcc_lo, v45, s16
	v_add_co_ci_u32_e64 v39, null, 0, v46, vcc_lo
	s_mov_b32 s15, 0
	v_add_co_u32 v21, vcc_lo, 0x800, v38
	v_add_co_ci_u32_e64 v22, null, 0, v39, vcc_lo
	v_add_co_u32 v23, vcc_lo, 0x1000, v38
	v_add_co_ci_u32_e64 v24, null, 0, v39, vcc_lo
	s_clause 0x10
	global_load_ubyte v36, v[21:22], off offset:1792
	global_load_ubyte v37, v[23:24], off
	global_load_ubyte v35, v[21:22], off offset:1536
	global_load_ubyte v34, v[21:22], off offset:1280
	;; [unrolled: 1-line block ×6, first 2 shown]
	global_load_ubyte v29, v[21:22], off
	global_load_ubyte v28, v[38:39], off offset:1792
	global_load_ubyte v27, v[38:39], off offset:1536
	;; [unrolled: 1-line block ×7, first 2 shown]
	global_load_ubyte v21, v[38:39], off
.LBB297_18:                             ;   in Loop: Header=BB297_16 Depth=2
	s_andn2_b32 vcc_lo, exec_lo, s15
	s_movk_i32 s15, 0x1100
	s_cbranch_vccnz .LBB297_38
; %bb.19:                               ;   in Loop: Header=BB297_16 Depth=2
	s_add_u32 s15, s48, s16
	s_addc_u32 s16, s49, 0
	s_mov_b32 s17, exec_lo
	v_cmpx_gt_u32_e64 s5, v0
	s_cbranch_execnz .LBB297_72
; %bb.20:                               ;   in Loop: Header=BB297_16 Depth=2
	s_or_b32 exec_lo, exec_lo, s17
	s_mov_b32 s17, exec_lo
	v_cmpx_gt_u32_e64 s5, v44
	s_cbranch_execnz .LBB297_73
.LBB297_21:                             ;   in Loop: Header=BB297_16 Depth=2
	s_or_b32 exec_lo, exec_lo, s17
	s_mov_b32 s17, exec_lo
	v_cmpx_gt_u32_e64 s5, v47
	s_cbranch_execnz .LBB297_74
.LBB297_22:                             ;   in Loop: Header=BB297_16 Depth=2
	s_or_b32 exec_lo, exec_lo, s17
	s_mov_b32 s17, exec_lo
	v_cmpx_gt_u32_e64 s5, v48
	s_cbranch_execnz .LBB297_75
.LBB297_23:                             ;   in Loop: Header=BB297_16 Depth=2
	s_or_b32 exec_lo, exec_lo, s17
	s_mov_b32 s17, exec_lo
	v_cmpx_gt_u32_e64 s5, v49
	s_cbranch_execnz .LBB297_76
.LBB297_24:                             ;   in Loop: Header=BB297_16 Depth=2
	s_or_b32 exec_lo, exec_lo, s17
	s_mov_b32 s17, exec_lo
	v_cmpx_gt_u32_e64 s5, v50
	s_cbranch_execnz .LBB297_77
.LBB297_25:                             ;   in Loop: Header=BB297_16 Depth=2
	s_or_b32 exec_lo, exec_lo, s17
	s_mov_b32 s17, exec_lo
	v_cmpx_gt_u32_e64 s5, v51
	s_cbranch_execnz .LBB297_78
.LBB297_26:                             ;   in Loop: Header=BB297_16 Depth=2
	s_or_b32 exec_lo, exec_lo, s17
	s_mov_b32 s17, exec_lo
	v_cmpx_gt_u32_e64 s5, v52
	s_cbranch_execnz .LBB297_79
.LBB297_27:                             ;   in Loop: Header=BB297_16 Depth=2
	s_or_b32 exec_lo, exec_lo, s17
	s_mov_b32 s17, exec_lo
	v_cmpx_gt_u32_e64 s5, v53
	s_cbranch_execnz .LBB297_80
.LBB297_28:                             ;   in Loop: Header=BB297_16 Depth=2
	s_or_b32 exec_lo, exec_lo, s17
	s_mov_b32 s17, exec_lo
	v_cmpx_gt_u32_e64 s5, v54
	s_cbranch_execnz .LBB297_81
.LBB297_29:                             ;   in Loop: Header=BB297_16 Depth=2
	s_or_b32 exec_lo, exec_lo, s17
	s_mov_b32 s17, exec_lo
	v_cmpx_gt_u32_e64 s5, v55
	s_cbranch_execnz .LBB297_82
.LBB297_30:                             ;   in Loop: Header=BB297_16 Depth=2
	s_or_b32 exec_lo, exec_lo, s17
	s_mov_b32 s17, exec_lo
	v_cmpx_gt_u32_e64 s5, v56
	s_cbranch_execnz .LBB297_83
.LBB297_31:                             ;   in Loop: Header=BB297_16 Depth=2
	s_or_b32 exec_lo, exec_lo, s17
	s_mov_b32 s17, exec_lo
	v_cmpx_gt_u32_e64 s5, v57
	s_cbranch_execnz .LBB297_84
.LBB297_32:                             ;   in Loop: Header=BB297_16 Depth=2
	s_or_b32 exec_lo, exec_lo, s17
	s_mov_b32 s17, exec_lo
	v_cmpx_gt_u32_e64 s5, v58
	s_cbranch_execnz .LBB297_85
.LBB297_33:                             ;   in Loop: Header=BB297_16 Depth=2
	s_or_b32 exec_lo, exec_lo, s17
	s_mov_b32 s17, exec_lo
	v_cmpx_gt_u32_e64 s5, v59
	s_cbranch_execnz .LBB297_86
.LBB297_34:                             ;   in Loop: Header=BB297_16 Depth=2
	s_or_b32 exec_lo, exec_lo, s17
	s_mov_b32 s17, exec_lo
	v_cmpx_gt_u32_e64 s5, v60
	s_cbranch_execnz .LBB297_87
.LBB297_35:                             ;   in Loop: Header=BB297_16 Depth=2
	s_or_b32 exec_lo, exec_lo, s17
	s_mov_b32 s17, exec_lo
	v_cmpx_gt_u32_e64 s5, v61
	s_cbranch_execz .LBB297_37
.LBB297_36:                             ;   in Loop: Header=BB297_16 Depth=2
	s_waitcnt vmcnt(0)
	v_add_co_u32 v21, s15, s15, v61
	v_add_co_ci_u32_e64 v22, null, s16, 0, s15
	global_load_ubyte v3, v[21:22], off
.LBB297_37:                             ;   in Loop: Header=BB297_16 Depth=2
	s_or_b32 exec_lo, exec_lo, s17
	s_waitcnt vmcnt(0)
	v_mov_b32_e32 v21, v17
	v_mov_b32_e32 v22, v20
	;; [unrolled: 1-line block ×17, first 2 shown]
	s_mov_b32 s15, s5
.LBB297_38:                             ;   in Loop: Header=BB297_16 Depth=2
	s_waitcnt vmcnt(15)
	v_mov_b32_e32 v3, v37
	v_mov_b32_e32 v5, v36
	s_waitcnt vmcnt(14)
	v_mov_b32_e32 v6, v35
	s_waitcnt vmcnt(13)
	;; [unrolled: 2-line block ×15, first 2 shown]
	v_mov_b32_e32 v17, v21
	s_mov_b32 s16, exec_lo
	v_cmpx_gt_u32_e64 s15, v0
	s_cbranch_execnz .LBB297_55
; %bb.39:                               ;   in Loop: Header=BB297_16 Depth=2
	s_or_b32 exec_lo, exec_lo, s16
	s_mov_b32 s16, exec_lo
	v_cmpx_gt_u32_e64 s15, v44
	s_cbranch_execnz .LBB297_56
.LBB297_40:                             ;   in Loop: Header=BB297_16 Depth=2
	s_or_b32 exec_lo, exec_lo, s16
	s_mov_b32 s16, exec_lo
	v_cmpx_gt_u32_e64 s15, v47
	s_cbranch_execnz .LBB297_57
.LBB297_41:                             ;   in Loop: Header=BB297_16 Depth=2
	s_or_b32 exec_lo, exec_lo, s16
	s_mov_b32 s16, exec_lo
	v_cmpx_gt_u32_e64 s15, v48
	s_cbranch_execnz .LBB297_58
.LBB297_42:                             ;   in Loop: Header=BB297_16 Depth=2
	s_or_b32 exec_lo, exec_lo, s16
	s_mov_b32 s16, exec_lo
	v_cmpx_gt_u32_e64 s15, v49
	s_cbranch_execnz .LBB297_59
.LBB297_43:                             ;   in Loop: Header=BB297_16 Depth=2
	s_or_b32 exec_lo, exec_lo, s16
	s_mov_b32 s16, exec_lo
	v_cmpx_gt_u32_e64 s15, v50
	s_cbranch_execnz .LBB297_60
.LBB297_44:                             ;   in Loop: Header=BB297_16 Depth=2
	s_or_b32 exec_lo, exec_lo, s16
	s_mov_b32 s16, exec_lo
	v_cmpx_gt_u32_e64 s15, v51
	s_cbranch_execnz .LBB297_61
.LBB297_45:                             ;   in Loop: Header=BB297_16 Depth=2
	s_or_b32 exec_lo, exec_lo, s16
	s_mov_b32 s16, exec_lo
	v_cmpx_gt_u32_e64 s15, v52
	s_cbranch_execnz .LBB297_62
.LBB297_46:                             ;   in Loop: Header=BB297_16 Depth=2
	s_or_b32 exec_lo, exec_lo, s16
	s_mov_b32 s16, exec_lo
	v_cmpx_gt_u32_e64 s15, v53
	s_cbranch_execnz .LBB297_63
.LBB297_47:                             ;   in Loop: Header=BB297_16 Depth=2
	s_or_b32 exec_lo, exec_lo, s16
	s_mov_b32 s16, exec_lo
	v_cmpx_gt_u32_e64 s15, v54
	s_cbranch_execnz .LBB297_64
.LBB297_48:                             ;   in Loop: Header=BB297_16 Depth=2
	s_or_b32 exec_lo, exec_lo, s16
	s_mov_b32 s16, exec_lo
	v_cmpx_gt_u32_e64 s15, v55
	s_cbranch_execnz .LBB297_65
.LBB297_49:                             ;   in Loop: Header=BB297_16 Depth=2
	s_or_b32 exec_lo, exec_lo, s16
	s_mov_b32 s16, exec_lo
	v_cmpx_gt_u32_e64 s15, v56
	s_cbranch_execnz .LBB297_66
.LBB297_50:                             ;   in Loop: Header=BB297_16 Depth=2
	s_or_b32 exec_lo, exec_lo, s16
	s_mov_b32 s16, exec_lo
	v_cmpx_gt_u32_e64 s15, v57
	s_cbranch_execnz .LBB297_67
.LBB297_51:                             ;   in Loop: Header=BB297_16 Depth=2
	s_or_b32 exec_lo, exec_lo, s16
	s_mov_b32 s16, exec_lo
	v_cmpx_gt_u32_e64 s15, v58
	s_cbranch_execnz .LBB297_68
.LBB297_52:                             ;   in Loop: Header=BB297_16 Depth=2
	s_or_b32 exec_lo, exec_lo, s16
	s_mov_b32 s16, exec_lo
	v_cmpx_gt_u32_e64 s15, v59
	s_cbranch_execnz .LBB297_69
.LBB297_53:                             ;   in Loop: Header=BB297_16 Depth=2
	s_or_b32 exec_lo, exec_lo, s16
	s_mov_b32 s16, exec_lo
	v_cmpx_gt_u32_e64 s15, v60
	s_cbranch_execnz .LBB297_70
.LBB297_54:                             ;   in Loop: Header=BB297_16 Depth=2
	s_or_b32 exec_lo, exec_lo, s16
	v_cmp_gt_u32_e32 vcc_lo, s15, v61
	s_and_saveexec_b32 s15, vcc_lo
	s_cbranch_execz .LBB297_15
	s_branch .LBB297_71
.LBB297_55:                             ;   in Loop: Header=BB297_16 Depth=2
	v_xor_b32_e32 v21, 0x7f, v17
	v_lshrrev_b32_sdwa v21, s61, v21 dst_sel:DWORD dst_unused:UNUSED_PAD src0_sel:DWORD src1_sel:BYTE_0
	v_and_b32_e32 v21, s62, v21
	v_lshl_or_b32 v21, v21, 4, v63
	ds_add_u32 v21, v89
	s_or_b32 exec_lo, exec_lo, s16
	s_mov_b32 s16, exec_lo
	v_cmpx_gt_u32_e64 s15, v44
	s_cbranch_execz .LBB297_40
.LBB297_56:                             ;   in Loop: Header=BB297_16 Depth=2
	v_xor_b32_e32 v21, 0x7f, v20
	v_lshrrev_b32_sdwa v21, s61, v21 dst_sel:DWORD dst_unused:UNUSED_PAD src0_sel:DWORD src1_sel:BYTE_0
	v_and_b32_e32 v21, s62, v21
	v_lshl_or_b32 v21, v21, 4, v63
	ds_add_u32 v21, v89
	s_or_b32 exec_lo, exec_lo, s16
	s_mov_b32 s16, exec_lo
	v_cmpx_gt_u32_e64 s15, v47
	s_cbranch_execz .LBB297_41
.LBB297_57:                             ;   in Loop: Header=BB297_16 Depth=2
	v_xor_b32_e32 v21, 0x7f, v19
	v_lshrrev_b32_sdwa v21, s61, v21 dst_sel:DWORD dst_unused:UNUSED_PAD src0_sel:DWORD src1_sel:BYTE_0
	v_and_b32_e32 v21, s62, v21
	v_lshl_or_b32 v21, v21, 4, v63
	ds_add_u32 v21, v89
	s_or_b32 exec_lo, exec_lo, s16
	s_mov_b32 s16, exec_lo
	v_cmpx_gt_u32_e64 s15, v48
	s_cbranch_execz .LBB297_42
.LBB297_58:                             ;   in Loop: Header=BB297_16 Depth=2
	v_xor_b32_e32 v21, 0x7f, v18
	v_lshrrev_b32_sdwa v21, s61, v21 dst_sel:DWORD dst_unused:UNUSED_PAD src0_sel:DWORD src1_sel:BYTE_0
	v_and_b32_e32 v21, s62, v21
	v_lshl_or_b32 v21, v21, 4, v63
	ds_add_u32 v21, v89
	s_or_b32 exec_lo, exec_lo, s16
	s_mov_b32 s16, exec_lo
	v_cmpx_gt_u32_e64 s15, v49
	s_cbranch_execz .LBB297_43
.LBB297_59:                             ;   in Loop: Header=BB297_16 Depth=2
	v_xor_b32_e32 v21, 0x7f, v16
	v_lshrrev_b32_sdwa v21, s61, v21 dst_sel:DWORD dst_unused:UNUSED_PAD src0_sel:DWORD src1_sel:BYTE_0
	v_and_b32_e32 v21, s62, v21
	v_lshl_or_b32 v21, v21, 4, v63
	ds_add_u32 v21, v89
	s_or_b32 exec_lo, exec_lo, s16
	s_mov_b32 s16, exec_lo
	v_cmpx_gt_u32_e64 s15, v50
	s_cbranch_execz .LBB297_44
.LBB297_60:                             ;   in Loop: Header=BB297_16 Depth=2
	v_xor_b32_e32 v21, 0x7f, v15
	v_lshrrev_b32_sdwa v21, s61, v21 dst_sel:DWORD dst_unused:UNUSED_PAD src0_sel:DWORD src1_sel:BYTE_0
	v_and_b32_e32 v21, s62, v21
	v_lshl_or_b32 v21, v21, 4, v63
	ds_add_u32 v21, v89
	s_or_b32 exec_lo, exec_lo, s16
	s_mov_b32 s16, exec_lo
	v_cmpx_gt_u32_e64 s15, v51
	s_cbranch_execz .LBB297_45
.LBB297_61:                             ;   in Loop: Header=BB297_16 Depth=2
	v_xor_b32_e32 v21, 0x7f, v14
	v_lshrrev_b32_sdwa v21, s61, v21 dst_sel:DWORD dst_unused:UNUSED_PAD src0_sel:DWORD src1_sel:BYTE_0
	v_and_b32_e32 v21, s62, v21
	v_lshl_or_b32 v21, v21, 4, v63
	ds_add_u32 v21, v89
	s_or_b32 exec_lo, exec_lo, s16
	s_mov_b32 s16, exec_lo
	v_cmpx_gt_u32_e64 s15, v52
	s_cbranch_execz .LBB297_46
.LBB297_62:                             ;   in Loop: Header=BB297_16 Depth=2
	v_xor_b32_e32 v21, 0x7f, v13
	v_lshrrev_b32_sdwa v21, s61, v21 dst_sel:DWORD dst_unused:UNUSED_PAD src0_sel:DWORD src1_sel:BYTE_0
	v_and_b32_e32 v21, s62, v21
	v_lshl_or_b32 v21, v21, 4, v63
	ds_add_u32 v21, v89
	s_or_b32 exec_lo, exec_lo, s16
	s_mov_b32 s16, exec_lo
	v_cmpx_gt_u32_e64 s15, v53
	s_cbranch_execz .LBB297_47
.LBB297_63:                             ;   in Loop: Header=BB297_16 Depth=2
	v_xor_b32_e32 v21, 0x7f, v12
	v_lshrrev_b32_sdwa v21, s61, v21 dst_sel:DWORD dst_unused:UNUSED_PAD src0_sel:DWORD src1_sel:BYTE_0
	v_and_b32_e32 v21, s62, v21
	v_lshl_or_b32 v21, v21, 4, v63
	ds_add_u32 v21, v89
	s_or_b32 exec_lo, exec_lo, s16
	s_mov_b32 s16, exec_lo
	v_cmpx_gt_u32_e64 s15, v54
	s_cbranch_execz .LBB297_48
.LBB297_64:                             ;   in Loop: Header=BB297_16 Depth=2
	v_xor_b32_e32 v21, 0x7f, v11
	v_lshrrev_b32_sdwa v21, s61, v21 dst_sel:DWORD dst_unused:UNUSED_PAD src0_sel:DWORD src1_sel:BYTE_0
	v_and_b32_e32 v21, s62, v21
	v_lshl_or_b32 v21, v21, 4, v63
	ds_add_u32 v21, v89
	s_or_b32 exec_lo, exec_lo, s16
	s_mov_b32 s16, exec_lo
	v_cmpx_gt_u32_e64 s15, v55
	s_cbranch_execz .LBB297_49
.LBB297_65:                             ;   in Loop: Header=BB297_16 Depth=2
	v_xor_b32_e32 v21, 0x7f, v10
	v_lshrrev_b32_sdwa v21, s61, v21 dst_sel:DWORD dst_unused:UNUSED_PAD src0_sel:DWORD src1_sel:BYTE_0
	v_and_b32_e32 v21, s62, v21
	v_lshl_or_b32 v21, v21, 4, v63
	ds_add_u32 v21, v89
	s_or_b32 exec_lo, exec_lo, s16
	s_mov_b32 s16, exec_lo
	v_cmpx_gt_u32_e64 s15, v56
	s_cbranch_execz .LBB297_50
.LBB297_66:                             ;   in Loop: Header=BB297_16 Depth=2
	v_xor_b32_e32 v21, 0x7f, v9
	v_lshrrev_b32_sdwa v21, s61, v21 dst_sel:DWORD dst_unused:UNUSED_PAD src0_sel:DWORD src1_sel:BYTE_0
	v_and_b32_e32 v21, s62, v21
	v_lshl_or_b32 v21, v21, 4, v63
	ds_add_u32 v21, v89
	s_or_b32 exec_lo, exec_lo, s16
	s_mov_b32 s16, exec_lo
	v_cmpx_gt_u32_e64 s15, v57
	s_cbranch_execz .LBB297_51
.LBB297_67:                             ;   in Loop: Header=BB297_16 Depth=2
	v_xor_b32_e32 v21, 0x7f, v8
	v_lshrrev_b32_sdwa v21, s61, v21 dst_sel:DWORD dst_unused:UNUSED_PAD src0_sel:DWORD src1_sel:BYTE_0
	v_and_b32_e32 v21, s62, v21
	v_lshl_or_b32 v21, v21, 4, v63
	ds_add_u32 v21, v89
	s_or_b32 exec_lo, exec_lo, s16
	s_mov_b32 s16, exec_lo
	v_cmpx_gt_u32_e64 s15, v58
	s_cbranch_execz .LBB297_52
.LBB297_68:                             ;   in Loop: Header=BB297_16 Depth=2
	v_xor_b32_e32 v21, 0x7f, v7
	v_lshrrev_b32_sdwa v21, s61, v21 dst_sel:DWORD dst_unused:UNUSED_PAD src0_sel:DWORD src1_sel:BYTE_0
	v_and_b32_e32 v21, s62, v21
	v_lshl_or_b32 v21, v21, 4, v63
	ds_add_u32 v21, v89
	s_or_b32 exec_lo, exec_lo, s16
	s_mov_b32 s16, exec_lo
	v_cmpx_gt_u32_e64 s15, v59
	s_cbranch_execz .LBB297_53
.LBB297_69:                             ;   in Loop: Header=BB297_16 Depth=2
	v_xor_b32_e32 v21, 0x7f, v6
	v_lshrrev_b32_sdwa v21, s61, v21 dst_sel:DWORD dst_unused:UNUSED_PAD src0_sel:DWORD src1_sel:BYTE_0
	v_and_b32_e32 v21, s62, v21
	v_lshl_or_b32 v21, v21, 4, v63
	ds_add_u32 v21, v89
	s_or_b32 exec_lo, exec_lo, s16
	s_mov_b32 s16, exec_lo
	v_cmpx_gt_u32_e64 s15, v60
	s_cbranch_execz .LBB297_54
.LBB297_70:                             ;   in Loop: Header=BB297_16 Depth=2
	v_xor_b32_e32 v21, 0x7f, v5
	v_lshrrev_b32_sdwa v21, s61, v21 dst_sel:DWORD dst_unused:UNUSED_PAD src0_sel:DWORD src1_sel:BYTE_0
	v_and_b32_e32 v21, s62, v21
	v_lshl_or_b32 v21, v21, 4, v63
	ds_add_u32 v21, v89
	s_or_b32 exec_lo, exec_lo, s16
	v_cmp_gt_u32_e32 vcc_lo, s15, v61
	s_and_saveexec_b32 s15, vcc_lo
	s_cbranch_execz .LBB297_15
.LBB297_71:                             ;   in Loop: Header=BB297_16 Depth=2
	v_xor_b32_e32 v21, 0x7f, v3
	v_lshrrev_b32_sdwa v21, s61, v21 dst_sel:DWORD dst_unused:UNUSED_PAD src0_sel:DWORD src1_sel:BYTE_0
	v_and_b32_e32 v21, s62, v21
	v_lshl_or_b32 v21, v21, 4, v63
	ds_add_u32 v21, v89
	s_branch .LBB297_15
.LBB297_72:                             ;   in Loop: Header=BB297_16 Depth=2
	s_waitcnt vmcnt(0)
	v_add_co_u32 v21, s18, s15, v0
	v_add_co_ci_u32_e64 v22, null, s16, 0, s18
	global_load_ubyte v17, v[21:22], off
	s_or_b32 exec_lo, exec_lo, s17
	s_mov_b32 s17, exec_lo
	v_cmpx_gt_u32_e64 s5, v44
	s_cbranch_execz .LBB297_21
.LBB297_73:                             ;   in Loop: Header=BB297_16 Depth=2
	v_add_co_u32 v20, s18, s15, v0
	s_waitcnt vmcnt(0)
	v_add_co_ci_u32_e64 v21, null, s16, 0, s18
	global_load_ubyte v20, v[20:21], off offset:256
	s_or_b32 exec_lo, exec_lo, s17
	s_mov_b32 s17, exec_lo
	v_cmpx_gt_u32_e64 s5, v47
	s_cbranch_execz .LBB297_22
.LBB297_74:                             ;   in Loop: Header=BB297_16 Depth=2
	s_waitcnt vmcnt(0)
	v_add_co_u32 v21, s18, s15, v0
	v_add_co_ci_u32_e64 v22, null, s16, 0, s18
	global_load_ubyte v19, v[21:22], off offset:512
	s_or_b32 exec_lo, exec_lo, s17
	s_mov_b32 s17, exec_lo
	v_cmpx_gt_u32_e64 s5, v48
	s_cbranch_execz .LBB297_23
.LBB297_75:                             ;   in Loop: Header=BB297_16 Depth=2
	s_waitcnt vmcnt(0)
	v_add_co_u32 v21, s18, s15, v0
	v_add_co_ci_u32_e64 v22, null, s16, 0, s18
	global_load_ubyte v18, v[21:22], off offset:768
	s_or_b32 exec_lo, exec_lo, s17
	s_mov_b32 s17, exec_lo
	v_cmpx_gt_u32_e64 s5, v49
	s_cbranch_execz .LBB297_24
.LBB297_76:                             ;   in Loop: Header=BB297_16 Depth=2
	s_waitcnt vmcnt(0)
	v_add_co_u32 v21, s18, s15, v0
	v_add_co_ci_u32_e64 v22, null, s16, 0, s18
	global_load_ubyte v16, v[21:22], off offset:1024
	s_or_b32 exec_lo, exec_lo, s17
	s_mov_b32 s17, exec_lo
	v_cmpx_gt_u32_e64 s5, v50
	s_cbranch_execz .LBB297_25
.LBB297_77:                             ;   in Loop: Header=BB297_16 Depth=2
	s_waitcnt vmcnt(0)
	v_add_co_u32 v21, s18, s15, v0
	v_add_co_ci_u32_e64 v22, null, s16, 0, s18
	global_load_ubyte v15, v[21:22], off offset:1280
	s_or_b32 exec_lo, exec_lo, s17
	s_mov_b32 s17, exec_lo
	v_cmpx_gt_u32_e64 s5, v51
	s_cbranch_execz .LBB297_26
.LBB297_78:                             ;   in Loop: Header=BB297_16 Depth=2
	s_waitcnt vmcnt(0)
	v_add_co_u32 v21, s18, s15, v0
	v_add_co_ci_u32_e64 v22, null, s16, 0, s18
	global_load_ubyte v14, v[21:22], off offset:1536
	s_or_b32 exec_lo, exec_lo, s17
	s_mov_b32 s17, exec_lo
	v_cmpx_gt_u32_e64 s5, v52
	s_cbranch_execz .LBB297_27
.LBB297_79:                             ;   in Loop: Header=BB297_16 Depth=2
	s_waitcnt vmcnt(0)
	v_add_co_u32 v21, s18, s15, v0
	v_add_co_ci_u32_e64 v22, null, s16, 0, s18
	global_load_ubyte v13, v[21:22], off offset:1792
	s_or_b32 exec_lo, exec_lo, s17
	s_mov_b32 s17, exec_lo
	v_cmpx_gt_u32_e64 s5, v53
	s_cbranch_execz .LBB297_28
.LBB297_80:                             ;   in Loop: Header=BB297_16 Depth=2
	s_waitcnt vmcnt(0)
	v_add_co_u32 v21, s18, s15, v53
	v_add_co_ci_u32_e64 v22, null, s16, 0, s18
	global_load_ubyte v12, v[21:22], off
	s_or_b32 exec_lo, exec_lo, s17
	s_mov_b32 s17, exec_lo
	v_cmpx_gt_u32_e64 s5, v54
	s_cbranch_execz .LBB297_29
.LBB297_81:                             ;   in Loop: Header=BB297_16 Depth=2
	s_waitcnt vmcnt(0)
	v_add_co_u32 v21, s18, s15, v54
	v_add_co_ci_u32_e64 v22, null, s16, 0, s18
	global_load_ubyte v11, v[21:22], off
	s_or_b32 exec_lo, exec_lo, s17
	s_mov_b32 s17, exec_lo
	v_cmpx_gt_u32_e64 s5, v55
	s_cbranch_execz .LBB297_30
.LBB297_82:                             ;   in Loop: Header=BB297_16 Depth=2
	s_waitcnt vmcnt(0)
	v_add_co_u32 v21, s18, s15, v55
	v_add_co_ci_u32_e64 v22, null, s16, 0, s18
	global_load_ubyte v10, v[21:22], off
	s_or_b32 exec_lo, exec_lo, s17
	s_mov_b32 s17, exec_lo
	v_cmpx_gt_u32_e64 s5, v56
	s_cbranch_execz .LBB297_31
.LBB297_83:                             ;   in Loop: Header=BB297_16 Depth=2
	s_waitcnt vmcnt(0)
	v_add_co_u32 v21, s18, s15, v56
	v_add_co_ci_u32_e64 v22, null, s16, 0, s18
	global_load_ubyte v9, v[21:22], off
	s_or_b32 exec_lo, exec_lo, s17
	s_mov_b32 s17, exec_lo
	v_cmpx_gt_u32_e64 s5, v57
	s_cbranch_execz .LBB297_32
.LBB297_84:                             ;   in Loop: Header=BB297_16 Depth=2
	s_waitcnt vmcnt(0)
	v_add_co_u32 v21, s18, s15, v57
	v_add_co_ci_u32_e64 v22, null, s16, 0, s18
	global_load_ubyte v8, v[21:22], off
	s_or_b32 exec_lo, exec_lo, s17
	s_mov_b32 s17, exec_lo
	v_cmpx_gt_u32_e64 s5, v58
	s_cbranch_execz .LBB297_33
.LBB297_85:                             ;   in Loop: Header=BB297_16 Depth=2
	s_waitcnt vmcnt(0)
	v_add_co_u32 v21, s18, s15, v58
	v_add_co_ci_u32_e64 v22, null, s16, 0, s18
	global_load_ubyte v7, v[21:22], off
	s_or_b32 exec_lo, exec_lo, s17
	s_mov_b32 s17, exec_lo
	v_cmpx_gt_u32_e64 s5, v59
	s_cbranch_execz .LBB297_34
.LBB297_86:                             ;   in Loop: Header=BB297_16 Depth=2
	s_waitcnt vmcnt(0)
	v_add_co_u32 v21, s18, s15, v59
	v_add_co_ci_u32_e64 v22, null, s16, 0, s18
	global_load_ubyte v6, v[21:22], off
	s_or_b32 exec_lo, exec_lo, s17
	s_mov_b32 s17, exec_lo
	v_cmpx_gt_u32_e64 s5, v60
	s_cbranch_execz .LBB297_35
.LBB297_87:                             ;   in Loop: Header=BB297_16 Depth=2
	s_waitcnt vmcnt(0)
	v_add_co_u32 v21, s18, s15, v60
	v_add_co_ci_u32_e64 v22, null, s16, 0, s18
	global_load_ubyte v5, v[21:22], off
	s_or_b32 exec_lo, exec_lo, s17
	s_mov_b32 s17, exec_lo
	v_cmpx_gt_u32_e64 s5, v61
	s_cbranch_execnz .LBB297_36
	s_branch .LBB297_37
.LBB297_88:                             ;   in Loop: Header=BB297_12 Depth=1
	v_mov_b32_e32 v3, 0
	s_waitcnt lgkmcnt(0)
	s_barrier
	buffer_gl0_inv
	s_and_saveexec_b32 s5, s7
	s_cbranch_execz .LBB297_90
; %bb.89:                               ;   in Loop: Header=BB297_12 Depth=1
	ds_read2_b64 v[5:8], v64 offset1:1
	s_waitcnt lgkmcnt(0)
	v_add_nc_u32_e32 v3, v6, v5
	v_add3_u32 v3, v3, v7, v8
.LBB297_90:                             ;   in Loop: Header=BB297_12 Depth=1
	s_or_b32 exec_lo, exec_lo, s5
	v_and_b32_e32 v5, 15, v86
	v_mov_b32_dpp v6, v3 row_shr:1 row_mask:0xf bank_mask:0xf
	v_and_b32_e32 v7, 16, v86
	v_cmp_eq_u32_e64 s5, 0, v5
	v_cmp_lt_u32_e64 s14, 1, v5
	v_cmp_lt_u32_e64 s15, 3, v5
	v_cmp_lt_u32_e64 s16, 7, v5
	v_cmp_eq_u32_e64 s17, 0, v7
	v_cndmask_b32_e64 v6, v6, 0, s5
	v_add_nc_u32_e32 v3, v6, v3
	v_mov_b32_dpp v6, v3 row_shr:2 row_mask:0xf bank_mask:0xf
	v_cndmask_b32_e64 v6, 0, v6, s14
	v_add_nc_u32_e32 v3, v3, v6
	v_mov_b32_dpp v6, v3 row_shr:4 row_mask:0xf bank_mask:0xf
	;; [unrolled: 3-line block ×3, first 2 shown]
	v_cndmask_b32_e64 v5, 0, v6, s16
	v_bfe_i32 v6, v86, 4, 1
	v_add_nc_u32_e32 v3, v3, v5
	ds_swizzle_b32 v5, v3 offset:swizzle(BROADCAST,32,15)
	s_waitcnt lgkmcnt(0)
	v_and_b32_e32 v5, v6, v5
	v_add_nc_u32_e32 v3, v3, v5
	s_and_saveexec_b32 s18, s8
; %bb.91:                               ;   in Loop: Header=BB297_12 Depth=1
	ds_write_b32 v65, v3
; %bb.92:                               ;   in Loop: Header=BB297_12 Depth=1
	s_or_b32 exec_lo, exec_lo, s18
	s_waitcnt lgkmcnt(0)
	s_barrier
	buffer_gl0_inv
	s_and_saveexec_b32 s18, s9
	s_cbranch_execz .LBB297_94
; %bb.93:                               ;   in Loop: Header=BB297_12 Depth=1
	ds_read_b32 v5, v66
	v_and_b32_e32 v6, 3, v86
	v_cmp_ne_u32_e32 vcc_lo, 0, v6
	s_waitcnt lgkmcnt(0)
	v_mov_b32_dpp v7, v5 row_shr:1 row_mask:0xf bank_mask:0xf
	v_cndmask_b32_e32 v7, 0, v7, vcc_lo
	v_cmp_lt_u32_e32 vcc_lo, 1, v6
	v_add_nc_u32_e32 v5, v7, v5
	v_mov_b32_dpp v7, v5 row_shr:2 row_mask:0xf bank_mask:0xf
	v_cndmask_b32_e32 v6, 0, v7, vcc_lo
	v_add_nc_u32_e32 v5, v5, v6
	ds_write_b32 v66, v5
.LBB297_94:                             ;   in Loop: Header=BB297_12 Depth=1
	s_or_b32 exec_lo, exec_lo, s18
	v_mov_b32_e32 v5, 0
	s_waitcnt lgkmcnt(0)
	s_barrier
	buffer_gl0_inv
	s_and_saveexec_b32 s18, s10
; %bb.95:                               ;   in Loop: Header=BB297_12 Depth=1
	ds_read_b32 v5, v67
; %bb.96:                               ;   in Loop: Header=BB297_12 Depth=1
	s_or_b32 exec_lo, exec_lo, s18
	v_sub_co_u32 v6, s18, v86, 1
	s_waitcnt lgkmcnt(0)
	v_add_nc_u32_e32 v3, v5, v3
	s_barrier
	v_cmp_gt_i32_e32 vcc_lo, 0, v6
	buffer_gl0_inv
	v_cndmask_b32_e32 v6, v6, v86, vcc_lo
	v_lshlrev_b32_e32 v94, 2, v6
	ds_bpermute_b32 v3, v94, v3
	s_and_saveexec_b32 s19, s7
	s_cbranch_execz .LBB297_98
; %bb.97:                               ;   in Loop: Header=BB297_12 Depth=1
	s_waitcnt lgkmcnt(0)
	v_cndmask_b32_e64 v3, v3, v5, s18
	v_add_nc_u32_e32 v3, s58, v3
	ds_write_b32 v43, v3
.LBB297_98:                             ;   in Loop: Header=BB297_12 Depth=1
	s_or_b32 exec_lo, exec_lo, s19
	s_clause 0x1
	s_load_dword s19, s[56:57], 0x4
	s_load_dword s22, s[56:57], 0xc
	v_and_b32_e32 v5, 7, v86
	v_lshlrev_b32_e32 v6, 3, v86
	v_or_b32_e32 v95, v86, v68
	v_mov_b32_e32 v115, 0
	s_mov_b32 s63, s60
	s_mov_b32 s50, s58
	v_add_co_u32 v96, vcc_lo, v73, v6
	v_add_co_ci_u32_e64 v97, null, 0, v74, vcc_lo
	v_add_nc_u32_e32 v98, 32, v95
	v_add_nc_u32_e32 v99, 64, v95
	;; [unrolled: 1-line block ×8, first 2 shown]
	s_waitcnt lgkmcnt(0)
	s_cmp_lt_u32 s28, s19
	v_add_nc_u32_e32 v106, 0x120, v95
	s_cselect_b32 s19, 14, 20
	v_add_nc_u32_e32 v107, 0x140, v95
	s_add_u32 s20, s56, s19
	s_addc_u32 s21, s57, 0
	s_and_b32 s22, s22, 0xffff
	global_load_ushort v3, v4, s[20:21]
	v_cmp_eq_u32_e64 s19, 0, v5
	v_cmp_lt_u32_e64 s20, 1, v5
	v_cmp_lt_u32_e64 s21, 3, v5
	v_add_nc_u32_e32 v108, 0x160, v95
	v_add_nc_u32_e32 v109, 0x180, v95
	;; [unrolled: 1-line block ×6, first 2 shown]
                                        ; implicit-def: $vgpr7_vgpr8
                                        ; implicit-def: $vgpr9_vgpr10
                                        ; implicit-def: $vgpr11_vgpr12
                                        ; implicit-def: $vgpr13_vgpr14
                                        ; implicit-def: $vgpr15_vgpr16
                                        ; implicit-def: $vgpr19_vgpr20
                                        ; implicit-def: $vgpr23_vgpr24
                                        ; implicit-def: $vgpr27_vgpr28
                                        ; implicit-def: $vgpr17_vgpr18
                                        ; implicit-def: $vgpr21_vgpr22
                                        ; implicit-def: $vgpr25_vgpr26
                                        ; implicit-def: $vgpr29_vgpr30
                                        ; implicit-def: $vgpr31_vgpr32
                                        ; implicit-def: $vgpr33_vgpr34
                                        ; implicit-def: $vgpr35_vgpr36
                                        ; implicit-def: $vgpr37_vgpr38
                                        ; implicit-def: $vgpr116
                                        ; implicit-def: $vgpr117
                                        ; implicit-def: $vgpr118
                                        ; implicit-def: $vgpr119
                                        ; implicit-def: $vgpr120
                                        ; implicit-def: $vgpr121
                                        ; implicit-def: $vgpr122
                                        ; implicit-def: $vgpr123
                                        ; implicit-def: $vgpr124
                                        ; implicit-def: $vgpr125
                                        ; implicit-def: $vgpr126
                                        ; implicit-def: $vgpr127
                                        ; implicit-def: $vgpr128
                                        ; implicit-def: $vgpr129
                                        ; implicit-def: $vgpr130
                                        ; implicit-def: $vgpr131
                                        ; implicit-def: $vgpr132
                                        ; implicit-def: $vgpr133
                                        ; implicit-def: $vgpr134
	s_waitcnt vmcnt(0)
	v_mad_u32_u24 v3, v2, v3, v1
	v_mad_u64_u32 v[5:6], null, v3, s22, v[0:1]
	v_lshrrev_b32_e32 v3, 3, v5
                                        ; implicit-def: $vgpr5_vgpr6
	v_and_b32_e32 v114, 0x1ffffffc, v3
	s_branch .LBB297_100
.LBB297_99:                             ;   in Loop: Header=BB297_100 Depth=2
	s_or_b32 exec_lo, exec_lo, s22
	s_addk_i32 s63, 0xef00
	s_cmp_lt_u32 s64, s59
	s_mov_b32 s50, s64
	s_cbranch_scc0 .LBB297_322
.LBB297_100:                            ;   Parent Loop BB297_12 Depth=1
                                        ; =>  This Inner Loop Header: Depth=2
	s_add_i32 s64, s50, 0x1100
	s_cmp_gt_u32 s64, s59
	s_cbranch_scc1 .LBB297_102
; %bb.101:                              ;   in Loop: Header=BB297_100 Depth=2
	v_add_co_u32 v39, vcc_lo, v90, s50
	v_add_co_ci_u32_e64 v40, null, 0, v91, vcc_lo
	s_mov_b32 s22, -1
	s_clause 0xf
	global_load_ubyte v42, v[39:40], off offset:480
	global_load_ubyte v41, v[39:40], off offset:448
	;; [unrolled: 1-line block ×15, first 2 shown]
	global_load_ubyte v144, v[39:40], off
	s_movk_i32 s23, 0x1100
	s_cbranch_execz .LBB297_103
	s_branch .LBB297_121
.LBB297_102:                            ;   in Loop: Header=BB297_100 Depth=2
	s_mov_b32 s22, 0
                                        ; implicit-def: $vgpr144
                                        ; implicit-def: $vgpr145
                                        ; implicit-def: $vgpr146
                                        ; implicit-def: $vgpr149
                                        ; implicit-def: $vgpr148
                                        ; implicit-def: $vgpr141
                                        ; implicit-def: $vgpr142
                                        ; implicit-def: $vgpr143
                                        ; implicit-def: $vgpr140
                                        ; implicit-def: $vgpr137
                                        ; implicit-def: $vgpr138
                                        ; implicit-def: $vgpr139
                                        ; implicit-def: $vgpr135
                                        ; implicit-def: $vgpr3
                                        ; implicit-def: $vgpr41
                                        ; implicit-def: $vgpr42
                                        ; implicit-def: $vgpr115
	s_movk_i32 s23, 0x1100
.LBB297_103:                            ;   in Loop: Header=BB297_100 Depth=2
	v_add_co_u32 v39, vcc_lo, v90, s50
	v_add_co_ci_u32_e64 v40, null, 0, v91, vcc_lo
	v_mov_b32_e32 v115, 0x80
	s_waitcnt vmcnt(0)
	v_mov_b32_e32 v144, 0x80
	v_mov_b32_e32 v145, 0x80
	;; [unrolled: 1-line block ×16, first 2 shown]
	s_mov_b32 s22, exec_lo
	v_cmpx_gt_u32_e64 s63, v95
	s_cbranch_execnz .LBB297_307
; %bb.104:                              ;   in Loop: Header=BB297_100 Depth=2
	s_or_b32 exec_lo, exec_lo, s22
	s_mov_b32 s22, exec_lo
	v_cmpx_gt_u32_e64 s63, v98
	s_cbranch_execnz .LBB297_308
.LBB297_105:                            ;   in Loop: Header=BB297_100 Depth=2
	s_or_b32 exec_lo, exec_lo, s22
	s_mov_b32 s22, exec_lo
	v_cmpx_gt_u32_e64 s63, v99
	s_cbranch_execnz .LBB297_309
.LBB297_106:                            ;   in Loop: Header=BB297_100 Depth=2
	s_or_b32 exec_lo, exec_lo, s22
	s_mov_b32 s22, exec_lo
	v_cmpx_gt_u32_e64 s63, v100
	s_cbranch_execnz .LBB297_310
.LBB297_107:                            ;   in Loop: Header=BB297_100 Depth=2
	s_or_b32 exec_lo, exec_lo, s22
	s_mov_b32 s22, exec_lo
	v_cmpx_gt_u32_e64 s63, v101
	s_cbranch_execnz .LBB297_311
.LBB297_108:                            ;   in Loop: Header=BB297_100 Depth=2
	s_or_b32 exec_lo, exec_lo, s22
	s_mov_b32 s22, exec_lo
	v_cmpx_gt_u32_e64 s63, v102
	s_cbranch_execnz .LBB297_312
.LBB297_109:                            ;   in Loop: Header=BB297_100 Depth=2
	s_or_b32 exec_lo, exec_lo, s22
	s_mov_b32 s22, exec_lo
	v_cmpx_gt_u32_e64 s63, v103
	s_cbranch_execnz .LBB297_313
.LBB297_110:                            ;   in Loop: Header=BB297_100 Depth=2
	s_or_b32 exec_lo, exec_lo, s22
	s_mov_b32 s22, exec_lo
	v_cmpx_gt_u32_e64 s63, v104
	s_cbranch_execnz .LBB297_314
.LBB297_111:                            ;   in Loop: Header=BB297_100 Depth=2
	s_or_b32 exec_lo, exec_lo, s22
	s_mov_b32 s22, exec_lo
	v_cmpx_gt_u32_e64 s63, v105
	s_cbranch_execnz .LBB297_315
.LBB297_112:                            ;   in Loop: Header=BB297_100 Depth=2
	s_or_b32 exec_lo, exec_lo, s22
	s_mov_b32 s22, exec_lo
	v_cmpx_gt_u32_e64 s63, v106
	s_cbranch_execnz .LBB297_316
.LBB297_113:                            ;   in Loop: Header=BB297_100 Depth=2
	s_or_b32 exec_lo, exec_lo, s22
	s_mov_b32 s22, exec_lo
	v_cmpx_gt_u32_e64 s63, v107
	s_cbranch_execnz .LBB297_317
.LBB297_114:                            ;   in Loop: Header=BB297_100 Depth=2
	s_or_b32 exec_lo, exec_lo, s22
	s_mov_b32 s22, exec_lo
	v_cmpx_gt_u32_e64 s63, v108
	s_cbranch_execnz .LBB297_318
.LBB297_115:                            ;   in Loop: Header=BB297_100 Depth=2
	s_or_b32 exec_lo, exec_lo, s22
	s_mov_b32 s22, exec_lo
	v_cmpx_gt_u32_e64 s63, v109
	s_cbranch_execnz .LBB297_319
.LBB297_116:                            ;   in Loop: Header=BB297_100 Depth=2
	s_or_b32 exec_lo, exec_lo, s22
	s_mov_b32 s22, exec_lo
	v_cmpx_gt_u32_e64 s63, v110
	s_cbranch_execnz .LBB297_320
.LBB297_117:                            ;   in Loop: Header=BB297_100 Depth=2
	s_or_b32 exec_lo, exec_lo, s22
	s_mov_b32 s22, exec_lo
	v_cmpx_gt_u32_e64 s63, v111
	s_cbranch_execnz .LBB297_321
.LBB297_118:                            ;   in Loop: Header=BB297_100 Depth=2
	s_or_b32 exec_lo, exec_lo, s22
	s_mov_b32 s22, exec_lo
	v_cmpx_gt_u32_e64 s63, v112
	s_cbranch_execz .LBB297_120
.LBB297_119:                            ;   in Loop: Header=BB297_100 Depth=2
	global_load_ubyte v42, v[39:40], off offset:480
.LBB297_120:                            ;   in Loop: Header=BB297_100 Depth=2
	s_or_b32 exec_lo, exec_lo, s22
	v_cmp_gt_u32_e64 s22, s63, v113
	s_sub_i32 s23, s59, s50
.LBB297_121:                            ;   in Loop: Header=BB297_100 Depth=2
	v_mov_b32_e32 v136, s63
	s_and_saveexec_b32 s24, s22
	s_cbranch_execz .LBB297_123
; %bb.122:                              ;   in Loop: Header=BB297_100 Depth=2
	v_add_co_u32 v39, vcc_lo, v90, s50
	v_add_co_ci_u32_e64 v40, null, s51, v91, vcc_lo
	v_mov_b32_e32 v136, s23
	global_load_ubyte v115, v[39:40], off offset:512
.LBB297_123:                            ;   in Loop: Header=BB297_100 Depth=2
	s_or_b32 exec_lo, exec_lo, s24
	s_waitcnt vmcnt(0)
	v_xor_b32_e32 v39, 0x7f, v144
	ds_write2_b32 v69, v4, v4 offset0:136 offset1:137
	ds_write2_b32 v69, v4, v4 offset0:138 offset1:139
	ds_write_b32 v69, v4 offset:560
	s_waitcnt lgkmcnt(0)
	s_barrier
	v_and_b32_sdwa v40, v92, v39 dst_sel:DWORD dst_unused:UNUSED_PAD src0_sel:DWORD src1_sel:BYTE_0
	buffer_gl0_inv
	; wave barrier
	v_lshrrev_b32_e32 v40, s61, v40
	v_and_b32_e32 v147, s62, v40
	v_and_b32_e32 v40, 1, v147
	v_lshlrev_b32_e32 v144, 30, v147
	v_lshlrev_b32_e32 v150, 29, v147
	;; [unrolled: 1-line block ×4, first 2 shown]
	v_add_co_u32 v40, s22, v40, -1
	v_cndmask_b32_e64 v151, 0, 1, s22
	v_not_b32_e32 v155, v144
	v_cmp_gt_i32_e64 s22, 0, v144
	v_not_b32_e32 v144, v150
	v_lshlrev_b32_e32 v154, 26, v147
	v_cmp_ne_u32_e32 vcc_lo, 0, v151
	v_ashrrev_i32_e32 v155, 31, v155
	v_lshlrev_b32_e32 v151, 25, v147
	v_ashrrev_i32_e32 v144, 31, v144
	v_mul_u32_u24_e32 v147, 36, v147
	v_xor_b32_e32 v40, vcc_lo, v40
	v_cmp_gt_i32_e32 vcc_lo, 0, v150
	v_not_b32_e32 v150, v152
	v_xor_b32_e32 v155, s22, v155
	v_cmp_gt_i32_e64 s22, 0, v152
	v_and_b32_e32 v40, exec_lo, v40
	v_not_b32_e32 v152, v153
	v_ashrrev_i32_e32 v150, 31, v150
	v_xor_b32_e32 v144, vcc_lo, v144
	v_cmp_gt_i32_e32 vcc_lo, 0, v153
	v_and_b32_e32 v40, v40, v155
	v_not_b32_e32 v153, v154
	v_ashrrev_i32_e32 v152, 31, v152
	v_xor_b32_e32 v150, s22, v150
	v_cmp_gt_i32_e64 s22, 0, v154
	v_and_b32_e32 v40, v40, v144
	v_not_b32_e32 v144, v151
	v_ashrrev_i32_e32 v153, 31, v153
	v_xor_b32_e32 v152, vcc_lo, v152
	v_cmp_gt_i32_e32 vcc_lo, 0, v151
	v_and_b32_e32 v40, v40, v150
	v_ashrrev_i32_e32 v144, 31, v144
	v_xor_b32_e32 v150, s22, v153
	v_add_nc_u32_e32 v147, v114, v147
	v_and_b32_e32 v40, v40, v152
	v_xor_b32_e32 v144, vcc_lo, v144
	v_and_b32_e32 v40, v40, v150
	v_and_b32_e32 v40, v40, v144
	v_mbcnt_lo_u32_b32 v144, v40, 0
	v_cmp_ne_u32_e64 s22, 0, v40
	v_cmp_eq_u32_e32 vcc_lo, 0, v144
	s_and_b32 s23, s22, vcc_lo
	s_and_saveexec_b32 s22, s23
; %bb.124:                              ;   in Loop: Header=BB297_100 Depth=2
	v_bcnt_u32_b32 v40, v40, 0
	ds_write_b32 v147, v40 offset:544
; %bb.125:                              ;   in Loop: Header=BB297_100 Depth=2
	s_or_b32 exec_lo, exec_lo, s22
	v_xor_b32_sdwa v40, v145, v93 dst_sel:BYTE_1 dst_unused:UNUSED_PAD src0_sel:DWORD src1_sel:DWORD
	v_xor_b32_e32 v146, 0x7f, v146
	v_xor_b32_sdwa v149, v149, v93 dst_sel:BYTE_1 dst_unused:UNUSED_PAD src0_sel:DWORD src1_sel:DWORD
	; wave barrier
	v_or_b32_sdwa v145, v39, v40 dst_sel:DWORD dst_unused:UNUSED_PAD src0_sel:BYTE_0 src1_sel:DWORD
	v_or_b32_sdwa v39, v146, v149 dst_sel:WORD_1 dst_unused:UNUSED_PAD src0_sel:BYTE_0 src1_sel:DWORD
	v_or_b32_sdwa v146, v145, v39 dst_sel:DWORD dst_unused:UNUSED_PAD src0_sel:WORD_0 src1_sel:DWORD
	v_lshrrev_b32_sdwa v39, s61, v146 dst_sel:DWORD dst_unused:UNUSED_PAD src0_sel:DWORD src1_sel:BYTE_1
	v_and_b32_e32 v40, s62, v39
	v_and_b32_e32 v39, 1, v40
	v_lshlrev_b32_e32 v149, 30, v40
	v_lshlrev_b32_e32 v150, 29, v40
	;; [unrolled: 1-line block ×4, first 2 shown]
	v_add_co_u32 v39, s22, v39, -1
	v_cndmask_b32_e64 v151, 0, 1, s22
	v_not_b32_e32 v155, v149
	v_cmp_gt_i32_e64 s22, 0, v149
	v_not_b32_e32 v149, v150
	v_lshlrev_b32_e32 v154, 26, v40
	v_cmp_ne_u32_e32 vcc_lo, 0, v151
	v_ashrrev_i32_e32 v155, 31, v155
	v_lshlrev_b32_e32 v151, 25, v40
	v_ashrrev_i32_e32 v149, 31, v149
	v_xor_b32_e32 v39, vcc_lo, v39
	v_cmp_gt_i32_e32 vcc_lo, 0, v150
	v_not_b32_e32 v150, v152
	v_xor_b32_e32 v155, s22, v155
	v_cmp_gt_i32_e64 s22, 0, v152
	v_and_b32_e32 v39, exec_lo, v39
	v_not_b32_e32 v152, v153
	v_ashrrev_i32_e32 v150, 31, v150
	v_xor_b32_e32 v149, vcc_lo, v149
	v_cmp_gt_i32_e32 vcc_lo, 0, v153
	v_and_b32_e32 v39, v39, v155
	v_not_b32_e32 v153, v154
	v_ashrrev_i32_e32 v152, 31, v152
	v_xor_b32_e32 v150, s22, v150
	v_cmp_gt_i32_e64 s22, 0, v154
	v_and_b32_e32 v39, v39, v149
	v_not_b32_e32 v149, v151
	v_ashrrev_i32_e32 v153, 31, v153
	v_xor_b32_e32 v152, vcc_lo, v152
	v_cmp_gt_i32_e32 vcc_lo, 0, v151
	v_and_b32_e32 v39, v39, v150
	v_ashrrev_i32_e32 v149, 31, v149
	v_xor_b32_e32 v150, s22, v153
	v_mad_u32_u24 v151, v40, 36, v114
	v_mul_u32_u24_e32 v40, 36, v40
	v_and_b32_e32 v39, v39, v152
	v_xor_b32_e32 v152, vcc_lo, v149
	ds_read_b32 v149, v151 offset:544
	v_add_nc_u32_e32 v151, v114, v40
	v_and_b32_e32 v39, v39, v150
	; wave barrier
	v_and_b32_e32 v39, v39, v152
	v_mbcnt_lo_u32_b32 v150, v39, 0
	v_cmp_ne_u32_e64 s22, 0, v39
	v_cmp_eq_u32_e32 vcc_lo, 0, v150
	s_and_b32 s23, s22, vcc_lo
	s_and_saveexec_b32 s22, s23
	s_cbranch_execz .LBB297_127
; %bb.126:                              ;   in Loop: Header=BB297_100 Depth=2
	s_waitcnt lgkmcnt(0)
	v_bcnt_u32_b32 v39, v39, v149
	ds_write_b32 v151, v39 offset:544
.LBB297_127:                            ;   in Loop: Header=BB297_100 Depth=2
	s_or_b32 exec_lo, exec_lo, s22
	v_lshrrev_b32_sdwa v39, s61, v146 dst_sel:DWORD dst_unused:UNUSED_PAD src0_sel:DWORD src1_sel:BYTE_2
	; wave barrier
	v_and_b32_e32 v40, s62, v39
	v_and_b32_e32 v39, 1, v40
	v_lshlrev_b32_e32 v152, 30, v40
	v_lshlrev_b32_e32 v153, 29, v40
	;; [unrolled: 1-line block ×4, first 2 shown]
	v_add_co_u32 v39, s22, v39, -1
	v_cndmask_b32_e64 v154, 0, 1, s22
	v_not_b32_e32 v158, v152
	v_cmp_gt_i32_e64 s22, 0, v152
	v_not_b32_e32 v152, v153
	v_lshlrev_b32_e32 v157, 26, v40
	v_cmp_ne_u32_e32 vcc_lo, 0, v154
	v_ashrrev_i32_e32 v158, 31, v158
	v_lshlrev_b32_e32 v154, 25, v40
	v_ashrrev_i32_e32 v152, 31, v152
	v_xor_b32_e32 v39, vcc_lo, v39
	v_cmp_gt_i32_e32 vcc_lo, 0, v153
	v_not_b32_e32 v153, v155
	v_xor_b32_e32 v158, s22, v158
	v_cmp_gt_i32_e64 s22, 0, v155
	v_and_b32_e32 v39, exec_lo, v39
	v_not_b32_e32 v155, v156
	v_ashrrev_i32_e32 v153, 31, v153
	v_xor_b32_e32 v152, vcc_lo, v152
	v_cmp_gt_i32_e32 vcc_lo, 0, v156
	v_and_b32_e32 v39, v39, v158
	v_not_b32_e32 v156, v157
	v_ashrrev_i32_e32 v155, 31, v155
	v_xor_b32_e32 v153, s22, v153
	v_cmp_gt_i32_e64 s22, 0, v157
	v_and_b32_e32 v39, v39, v152
	v_not_b32_e32 v152, v154
	v_ashrrev_i32_e32 v156, 31, v156
	v_xor_b32_e32 v155, vcc_lo, v155
	v_cmp_gt_i32_e32 vcc_lo, 0, v154
	v_and_b32_e32 v39, v39, v153
	v_ashrrev_i32_e32 v152, 31, v152
	v_xor_b32_e32 v153, s22, v156
	v_mad_u32_u24 v154, v40, 36, v114
	v_mul_u32_u24_e32 v40, 36, v40
	v_and_b32_e32 v39, v39, v155
	v_xor_b32_e32 v155, vcc_lo, v152
	ds_read_b32 v152, v154 offset:544
	v_and_b32_e32 v39, v39, v153
	; wave barrier
	v_and_b32_e32 v39, v39, v155
	v_add_nc_u32_e32 v155, v114, v40
	v_mbcnt_lo_u32_b32 v153, v39, 0
	v_cmp_ne_u32_e64 s22, 0, v39
	v_cmp_eq_u32_e32 vcc_lo, 0, v153
	s_and_b32 s23, s22, vcc_lo
	s_and_saveexec_b32 s22, s23
	s_cbranch_execz .LBB297_129
; %bb.128:                              ;   in Loop: Header=BB297_100 Depth=2
	s_waitcnt lgkmcnt(0)
	v_bcnt_u32_b32 v39, v39, v152
	ds_write_b32 v155, v39 offset:544
.LBB297_129:                            ;   in Loop: Header=BB297_100 Depth=2
	s_or_b32 exec_lo, exec_lo, s22
	v_lshrrev_b32_e32 v154, 24, v146
	; wave barrier
	v_lshrrev_b32_e32 v39, s61, v154
	v_and_b32_e32 v40, s62, v39
	v_and_b32_e32 v39, 1, v40
	v_lshlrev_b32_e32 v156, 30, v40
	v_lshlrev_b32_e32 v157, 29, v40
	;; [unrolled: 1-line block ×4, first 2 shown]
	v_add_co_u32 v39, s22, v39, -1
	v_cndmask_b32_e64 v158, 0, 1, s22
	v_not_b32_e32 v162, v156
	v_cmp_gt_i32_e64 s22, 0, v156
	v_not_b32_e32 v156, v157
	v_lshlrev_b32_e32 v161, 26, v40
	v_cmp_ne_u32_e32 vcc_lo, 0, v158
	v_ashrrev_i32_e32 v162, 31, v162
	v_lshlrev_b32_e32 v158, 25, v40
	v_ashrrev_i32_e32 v156, 31, v156
	v_xor_b32_e32 v39, vcc_lo, v39
	v_cmp_gt_i32_e32 vcc_lo, 0, v157
	v_not_b32_e32 v157, v159
	v_xor_b32_e32 v162, s22, v162
	v_cmp_gt_i32_e64 s22, 0, v159
	v_and_b32_e32 v39, exec_lo, v39
	v_not_b32_e32 v159, v160
	v_ashrrev_i32_e32 v157, 31, v157
	v_xor_b32_e32 v156, vcc_lo, v156
	v_cmp_gt_i32_e32 vcc_lo, 0, v160
	v_and_b32_e32 v39, v39, v162
	v_not_b32_e32 v160, v161
	v_ashrrev_i32_e32 v159, 31, v159
	v_xor_b32_e32 v157, s22, v157
	v_cmp_gt_i32_e64 s22, 0, v161
	v_and_b32_e32 v39, v39, v156
	v_not_b32_e32 v156, v158
	v_ashrrev_i32_e32 v160, 31, v160
	v_xor_b32_e32 v159, vcc_lo, v159
	v_cmp_gt_i32_e32 vcc_lo, 0, v158
	v_and_b32_e32 v39, v39, v157
	v_ashrrev_i32_e32 v156, 31, v156
	v_xor_b32_e32 v157, s22, v160
	v_mad_u32_u24 v158, v40, 36, v114
	v_mul_u32_u24_e32 v40, 36, v40
	v_and_b32_e32 v39, v39, v159
	v_xor_b32_e32 v159, vcc_lo, v156
	ds_read_b32 v156, v158 offset:544
	v_add_nc_u32_e32 v158, v114, v40
	v_and_b32_e32 v39, v39, v157
	; wave barrier
	v_and_b32_e32 v39, v39, v159
	v_mbcnt_lo_u32_b32 v157, v39, 0
	v_cmp_ne_u32_e64 s22, 0, v39
	v_cmp_eq_u32_e32 vcc_lo, 0, v157
	s_and_b32 s23, s22, vcc_lo
	s_and_saveexec_b32 s22, s23
	s_cbranch_execz .LBB297_131
; %bb.130:                              ;   in Loop: Header=BB297_100 Depth=2
	s_waitcnt lgkmcnt(0)
	v_bcnt_u32_b32 v39, v39, v156
	ds_write_b32 v158, v39 offset:544
.LBB297_131:                            ;   in Loop: Header=BB297_100 Depth=2
	s_or_b32 exec_lo, exec_lo, s22
	v_xor_b32_e32 v39, 0x7f, v148
	; wave barrier
	v_and_b32_sdwa v40, v92, v39 dst_sel:DWORD dst_unused:UNUSED_PAD src0_sel:DWORD src1_sel:BYTE_0
	v_lshrrev_b32_e32 v40, s61, v40
	v_and_b32_e32 v160, s62, v40
	v_and_b32_e32 v40, 1, v160
	v_lshlrev_b32_e32 v148, 30, v160
	v_lshlrev_b32_e32 v159, 29, v160
	;; [unrolled: 1-line block ×4, first 2 shown]
	v_add_co_u32 v40, s22, v40, -1
	v_cndmask_b32_e64 v161, 0, 1, s22
	v_not_b32_e32 v165, v148
	v_cmp_gt_i32_e64 s22, 0, v148
	v_not_b32_e32 v148, v159
	v_lshlrev_b32_e32 v164, 26, v160
	v_cmp_ne_u32_e32 vcc_lo, 0, v161
	v_ashrrev_i32_e32 v165, 31, v165
	v_lshlrev_b32_e32 v161, 25, v160
	v_ashrrev_i32_e32 v148, 31, v148
	v_xor_b32_e32 v40, vcc_lo, v40
	v_cmp_gt_i32_e32 vcc_lo, 0, v159
	v_not_b32_e32 v159, v162
	v_xor_b32_e32 v165, s22, v165
	v_cmp_gt_i32_e64 s22, 0, v162
	v_and_b32_e32 v40, exec_lo, v40
	v_not_b32_e32 v162, v163
	v_ashrrev_i32_e32 v159, 31, v159
	v_xor_b32_e32 v148, vcc_lo, v148
	v_cmp_gt_i32_e32 vcc_lo, 0, v163
	v_and_b32_e32 v40, v40, v165
	v_not_b32_e32 v163, v164
	v_ashrrev_i32_e32 v162, 31, v162
	v_xor_b32_e32 v159, s22, v159
	v_cmp_gt_i32_e64 s22, 0, v164
	v_and_b32_e32 v40, v40, v148
	v_not_b32_e32 v148, v161
	v_ashrrev_i32_e32 v163, 31, v163
	v_xor_b32_e32 v162, vcc_lo, v162
	v_cmp_gt_i32_e32 vcc_lo, 0, v161
	v_and_b32_e32 v40, v40, v159
	v_ashrrev_i32_e32 v148, 31, v148
	v_xor_b32_e32 v159, s22, v163
	v_mad_u32_u24 v161, v160, 36, v114
	v_mul_u32_u24_e32 v160, 36, v160
	v_and_b32_e32 v40, v40, v162
	v_xor_b32_e32 v162, vcc_lo, v148
	ds_read_b32 v148, v161 offset:544
	v_add_nc_u32_e32 v160, v114, v160
	v_and_b32_e32 v40, v40, v159
	; wave barrier
	v_and_b32_e32 v40, v40, v162
	v_mbcnt_lo_u32_b32 v159, v40, 0
	v_cmp_ne_u32_e64 s22, 0, v40
	v_cmp_eq_u32_e32 vcc_lo, 0, v159
	s_and_b32 s23, s22, vcc_lo
	s_and_saveexec_b32 s22, s23
	s_cbranch_execz .LBB297_133
; %bb.132:                              ;   in Loop: Header=BB297_100 Depth=2
	s_waitcnt lgkmcnt(0)
	v_bcnt_u32_b32 v40, v40, v148
	ds_write_b32 v160, v40 offset:544
.LBB297_133:                            ;   in Loop: Header=BB297_100 Depth=2
	s_or_b32 exec_lo, exec_lo, s22
	v_xor_b32_sdwa v40, v141, v93 dst_sel:BYTE_1 dst_unused:UNUSED_PAD src0_sel:DWORD src1_sel:DWORD
	v_xor_b32_e32 v142, 0x7f, v142
	v_xor_b32_sdwa v143, v143, v93 dst_sel:BYTE_1 dst_unused:UNUSED_PAD src0_sel:DWORD src1_sel:DWORD
	; wave barrier
	v_or_b32_sdwa v141, v39, v40 dst_sel:DWORD dst_unused:UNUSED_PAD src0_sel:BYTE_0 src1_sel:DWORD
	v_or_b32_sdwa v39, v142, v143 dst_sel:WORD_1 dst_unused:UNUSED_PAD src0_sel:BYTE_0 src1_sel:DWORD
	v_or_b32_sdwa v142, v141, v39 dst_sel:DWORD dst_unused:UNUSED_PAD src0_sel:WORD_0 src1_sel:DWORD
	v_lshrrev_b32_sdwa v39, s61, v142 dst_sel:DWORD dst_unused:UNUSED_PAD src0_sel:DWORD src1_sel:BYTE_1
	v_and_b32_e32 v40, s62, v39
	v_and_b32_e32 v39, 1, v40
	v_lshlrev_b32_e32 v143, 30, v40
	v_lshlrev_b32_e32 v161, 29, v40
	;; [unrolled: 1-line block ×4, first 2 shown]
	v_add_co_u32 v39, s22, v39, -1
	v_cndmask_b32_e64 v162, 0, 1, s22
	v_not_b32_e32 v166, v143
	v_cmp_gt_i32_e64 s22, 0, v143
	v_not_b32_e32 v143, v161
	v_lshlrev_b32_e32 v165, 26, v40
	v_cmp_ne_u32_e32 vcc_lo, 0, v162
	v_ashrrev_i32_e32 v166, 31, v166
	v_lshlrev_b32_e32 v162, 25, v40
	v_ashrrev_i32_e32 v143, 31, v143
	v_xor_b32_e32 v39, vcc_lo, v39
	v_cmp_gt_i32_e32 vcc_lo, 0, v161
	v_not_b32_e32 v161, v163
	v_xor_b32_e32 v166, s22, v166
	v_cmp_gt_i32_e64 s22, 0, v163
	v_and_b32_e32 v39, exec_lo, v39
	v_not_b32_e32 v163, v164
	v_ashrrev_i32_e32 v161, 31, v161
	v_xor_b32_e32 v143, vcc_lo, v143
	v_cmp_gt_i32_e32 vcc_lo, 0, v164
	v_and_b32_e32 v39, v39, v166
	v_not_b32_e32 v164, v165
	v_ashrrev_i32_e32 v163, 31, v163
	v_xor_b32_e32 v161, s22, v161
	v_cmp_gt_i32_e64 s22, 0, v165
	v_and_b32_e32 v39, v39, v143
	v_not_b32_e32 v143, v162
	v_ashrrev_i32_e32 v164, 31, v164
	v_xor_b32_e32 v163, vcc_lo, v163
	v_cmp_gt_i32_e32 vcc_lo, 0, v162
	v_and_b32_e32 v39, v39, v161
	v_ashrrev_i32_e32 v143, 31, v143
	v_xor_b32_e32 v161, s22, v164
	v_mad_u32_u24 v162, v40, 36, v114
	v_mul_u32_u24_e32 v40, 36, v40
	v_and_b32_e32 v39, v39, v163
	v_xor_b32_e32 v163, vcc_lo, v143
	ds_read_b32 v143, v162 offset:544
	v_add_nc_u32_e32 v162, v114, v40
	v_and_b32_e32 v39, v39, v161
	; wave barrier
	v_and_b32_e32 v39, v39, v163
	v_mbcnt_lo_u32_b32 v161, v39, 0
	v_cmp_ne_u32_e64 s22, 0, v39
	v_cmp_eq_u32_e32 vcc_lo, 0, v161
	s_and_b32 s23, s22, vcc_lo
	s_and_saveexec_b32 s22, s23
	s_cbranch_execz .LBB297_135
; %bb.134:                              ;   in Loop: Header=BB297_100 Depth=2
	s_waitcnt lgkmcnt(0)
	v_bcnt_u32_b32 v39, v39, v143
	ds_write_b32 v162, v39 offset:544
.LBB297_135:                            ;   in Loop: Header=BB297_100 Depth=2
	s_or_b32 exec_lo, exec_lo, s22
	v_lshrrev_b32_sdwa v39, s61, v142 dst_sel:DWORD dst_unused:UNUSED_PAD src0_sel:DWORD src1_sel:BYTE_2
	; wave barrier
	v_and_b32_e32 v40, s62, v39
	v_and_b32_e32 v39, 1, v40
	v_lshlrev_b32_e32 v163, 30, v40
	v_lshlrev_b32_e32 v164, 29, v40
	;; [unrolled: 1-line block ×4, first 2 shown]
	v_add_co_u32 v39, s22, v39, -1
	v_cndmask_b32_e64 v165, 0, 1, s22
	v_not_b32_e32 v169, v163
	v_cmp_gt_i32_e64 s22, 0, v163
	v_not_b32_e32 v163, v164
	v_lshlrev_b32_e32 v168, 26, v40
	v_cmp_ne_u32_e32 vcc_lo, 0, v165
	v_ashrrev_i32_e32 v169, 31, v169
	v_lshlrev_b32_e32 v165, 25, v40
	v_ashrrev_i32_e32 v163, 31, v163
	v_xor_b32_e32 v39, vcc_lo, v39
	v_cmp_gt_i32_e32 vcc_lo, 0, v164
	v_not_b32_e32 v164, v166
	v_xor_b32_e32 v169, s22, v169
	v_cmp_gt_i32_e64 s22, 0, v166
	v_and_b32_e32 v39, exec_lo, v39
	v_not_b32_e32 v166, v167
	v_ashrrev_i32_e32 v164, 31, v164
	v_xor_b32_e32 v163, vcc_lo, v163
	v_cmp_gt_i32_e32 vcc_lo, 0, v167
	v_and_b32_e32 v39, v39, v169
	v_not_b32_e32 v167, v168
	v_ashrrev_i32_e32 v166, 31, v166
	v_xor_b32_e32 v164, s22, v164
	v_cmp_gt_i32_e64 s22, 0, v168
	v_and_b32_e32 v39, v39, v163
	v_not_b32_e32 v163, v165
	v_ashrrev_i32_e32 v167, 31, v167
	v_xor_b32_e32 v166, vcc_lo, v166
	v_cmp_gt_i32_e32 vcc_lo, 0, v165
	v_and_b32_e32 v39, v39, v164
	v_ashrrev_i32_e32 v163, 31, v163
	v_xor_b32_e32 v164, s22, v167
	v_mad_u32_u24 v165, v40, 36, v114
	v_mul_u32_u24_e32 v40, 36, v40
	v_and_b32_e32 v39, v39, v166
	v_xor_b32_e32 v166, vcc_lo, v163
	ds_read_b32 v163, v165 offset:544
	v_and_b32_e32 v39, v39, v164
	; wave barrier
	v_and_b32_e32 v39, v39, v166
	v_add_nc_u32_e32 v166, v114, v40
	v_mbcnt_lo_u32_b32 v164, v39, 0
	v_cmp_ne_u32_e64 s22, 0, v39
	v_cmp_eq_u32_e32 vcc_lo, 0, v164
	s_and_b32 s23, s22, vcc_lo
	s_and_saveexec_b32 s22, s23
	s_cbranch_execz .LBB297_137
; %bb.136:                              ;   in Loop: Header=BB297_100 Depth=2
	s_waitcnt lgkmcnt(0)
	v_bcnt_u32_b32 v39, v39, v163
	ds_write_b32 v166, v39 offset:544
.LBB297_137:                            ;   in Loop: Header=BB297_100 Depth=2
	s_or_b32 exec_lo, exec_lo, s22
	v_lshrrev_b32_e32 v165, 24, v142
	; wave barrier
	v_lshrrev_b32_e32 v39, s61, v165
	v_and_b32_e32 v40, s62, v39
	v_and_b32_e32 v39, 1, v40
	v_lshlrev_b32_e32 v167, 30, v40
	v_lshlrev_b32_e32 v168, 29, v40
	;; [unrolled: 1-line block ×4, first 2 shown]
	v_add_co_u32 v39, s22, v39, -1
	v_cndmask_b32_e64 v169, 0, 1, s22
	v_not_b32_e32 v173, v167
	v_cmp_gt_i32_e64 s22, 0, v167
	v_not_b32_e32 v167, v168
	v_lshlrev_b32_e32 v172, 26, v40
	v_cmp_ne_u32_e32 vcc_lo, 0, v169
	v_ashrrev_i32_e32 v173, 31, v173
	v_lshlrev_b32_e32 v169, 25, v40
	v_ashrrev_i32_e32 v167, 31, v167
	v_xor_b32_e32 v39, vcc_lo, v39
	v_cmp_gt_i32_e32 vcc_lo, 0, v168
	v_not_b32_e32 v168, v170
	v_xor_b32_e32 v173, s22, v173
	v_cmp_gt_i32_e64 s22, 0, v170
	v_and_b32_e32 v39, exec_lo, v39
	v_not_b32_e32 v170, v171
	v_ashrrev_i32_e32 v168, 31, v168
	v_xor_b32_e32 v167, vcc_lo, v167
	v_cmp_gt_i32_e32 vcc_lo, 0, v171
	v_and_b32_e32 v39, v39, v173
	v_not_b32_e32 v171, v172
	v_ashrrev_i32_e32 v170, 31, v170
	v_xor_b32_e32 v168, s22, v168
	v_cmp_gt_i32_e64 s22, 0, v172
	v_and_b32_e32 v39, v39, v167
	v_not_b32_e32 v167, v169
	v_ashrrev_i32_e32 v171, 31, v171
	v_xor_b32_e32 v170, vcc_lo, v170
	v_cmp_gt_i32_e32 vcc_lo, 0, v169
	v_and_b32_e32 v39, v39, v168
	v_ashrrev_i32_e32 v167, 31, v167
	v_xor_b32_e32 v168, s22, v171
	v_mad_u32_u24 v169, v40, 36, v114
	v_mul_u32_u24_e32 v40, 36, v40
	v_and_b32_e32 v39, v39, v170
	v_xor_b32_e32 v170, vcc_lo, v167
	ds_read_b32 v167, v169 offset:544
	v_add_nc_u32_e32 v169, v114, v40
	v_and_b32_e32 v39, v39, v168
	; wave barrier
	v_and_b32_e32 v39, v39, v170
	v_mbcnt_lo_u32_b32 v168, v39, 0
	v_cmp_ne_u32_e64 s22, 0, v39
	v_cmp_eq_u32_e32 vcc_lo, 0, v168
	s_and_b32 s23, s22, vcc_lo
	s_and_saveexec_b32 s22, s23
	s_cbranch_execz .LBB297_139
; %bb.138:                              ;   in Loop: Header=BB297_100 Depth=2
	s_waitcnt lgkmcnt(0)
	v_bcnt_u32_b32 v39, v39, v167
	ds_write_b32 v169, v39 offset:544
.LBB297_139:                            ;   in Loop: Header=BB297_100 Depth=2
	s_or_b32 exec_lo, exec_lo, s22
	v_xor_b32_e32 v39, 0x7f, v140
	; wave barrier
	v_and_b32_sdwa v40, v92, v39 dst_sel:DWORD dst_unused:UNUSED_PAD src0_sel:DWORD src1_sel:BYTE_0
	v_lshrrev_b32_e32 v40, s61, v40
	v_and_b32_e32 v171, s62, v40
	v_and_b32_e32 v40, 1, v171
	v_lshlrev_b32_e32 v140, 30, v171
	v_lshlrev_b32_e32 v170, 29, v171
	;; [unrolled: 1-line block ×4, first 2 shown]
	v_add_co_u32 v40, s22, v40, -1
	v_cndmask_b32_e64 v172, 0, 1, s22
	v_not_b32_e32 v176, v140
	v_cmp_gt_i32_e64 s22, 0, v140
	v_not_b32_e32 v140, v170
	v_lshlrev_b32_e32 v175, 26, v171
	v_cmp_ne_u32_e32 vcc_lo, 0, v172
	v_ashrrev_i32_e32 v176, 31, v176
	v_lshlrev_b32_e32 v172, 25, v171
	v_ashrrev_i32_e32 v140, 31, v140
	v_xor_b32_e32 v40, vcc_lo, v40
	v_cmp_gt_i32_e32 vcc_lo, 0, v170
	v_not_b32_e32 v170, v173
	v_xor_b32_e32 v176, s22, v176
	v_cmp_gt_i32_e64 s22, 0, v173
	v_and_b32_e32 v40, exec_lo, v40
	v_not_b32_e32 v173, v174
	v_ashrrev_i32_e32 v170, 31, v170
	v_xor_b32_e32 v140, vcc_lo, v140
	v_cmp_gt_i32_e32 vcc_lo, 0, v174
	v_and_b32_e32 v40, v40, v176
	v_not_b32_e32 v174, v175
	v_ashrrev_i32_e32 v173, 31, v173
	v_xor_b32_e32 v170, s22, v170
	v_cmp_gt_i32_e64 s22, 0, v175
	v_and_b32_e32 v40, v40, v140
	v_not_b32_e32 v140, v172
	v_ashrrev_i32_e32 v174, 31, v174
	v_xor_b32_e32 v173, vcc_lo, v173
	v_cmp_gt_i32_e32 vcc_lo, 0, v172
	v_and_b32_e32 v40, v40, v170
	v_ashrrev_i32_e32 v140, 31, v140
	v_xor_b32_e32 v170, s22, v174
	v_mad_u32_u24 v172, v171, 36, v114
	v_mul_u32_u24_e32 v171, 36, v171
	v_and_b32_e32 v40, v40, v173
	v_xor_b32_e32 v173, vcc_lo, v140
	ds_read_b32 v140, v172 offset:544
	v_add_nc_u32_e32 v171, v114, v171
	v_and_b32_e32 v40, v40, v170
	; wave barrier
	v_and_b32_e32 v40, v40, v173
	v_mbcnt_lo_u32_b32 v170, v40, 0
	v_cmp_ne_u32_e64 s22, 0, v40
	v_cmp_eq_u32_e32 vcc_lo, 0, v170
	s_and_b32 s23, s22, vcc_lo
	s_and_saveexec_b32 s22, s23
	s_cbranch_execz .LBB297_141
; %bb.140:                              ;   in Loop: Header=BB297_100 Depth=2
	s_waitcnt lgkmcnt(0)
	v_bcnt_u32_b32 v40, v40, v140
	ds_write_b32 v171, v40 offset:544
.LBB297_141:                            ;   in Loop: Header=BB297_100 Depth=2
	s_or_b32 exec_lo, exec_lo, s22
	v_xor_b32_sdwa v40, v137, v93 dst_sel:BYTE_1 dst_unused:UNUSED_PAD src0_sel:DWORD src1_sel:DWORD
	v_xor_b32_e32 v138, 0x7f, v138
	v_xor_b32_sdwa v139, v139, v93 dst_sel:BYTE_1 dst_unused:UNUSED_PAD src0_sel:DWORD src1_sel:DWORD
	; wave barrier
	v_or_b32_sdwa v137, v39, v40 dst_sel:DWORD dst_unused:UNUSED_PAD src0_sel:BYTE_0 src1_sel:DWORD
	v_or_b32_sdwa v39, v138, v139 dst_sel:WORD_1 dst_unused:UNUSED_PAD src0_sel:BYTE_0 src1_sel:DWORD
	v_or_b32_sdwa v138, v137, v39 dst_sel:DWORD dst_unused:UNUSED_PAD src0_sel:WORD_0 src1_sel:DWORD
	v_lshrrev_b32_sdwa v39, s61, v138 dst_sel:DWORD dst_unused:UNUSED_PAD src0_sel:DWORD src1_sel:BYTE_1
	v_and_b32_e32 v40, s62, v39
	v_and_b32_e32 v39, 1, v40
	v_lshlrev_b32_e32 v139, 30, v40
	v_lshlrev_b32_e32 v172, 29, v40
	;; [unrolled: 1-line block ×4, first 2 shown]
	v_add_co_u32 v39, s22, v39, -1
	v_cndmask_b32_e64 v173, 0, 1, s22
	v_not_b32_e32 v177, v139
	v_cmp_gt_i32_e64 s22, 0, v139
	v_not_b32_e32 v139, v172
	v_lshlrev_b32_e32 v176, 26, v40
	v_cmp_ne_u32_e32 vcc_lo, 0, v173
	v_ashrrev_i32_e32 v177, 31, v177
	v_lshlrev_b32_e32 v173, 25, v40
	v_ashrrev_i32_e32 v139, 31, v139
	v_xor_b32_e32 v39, vcc_lo, v39
	v_cmp_gt_i32_e32 vcc_lo, 0, v172
	v_not_b32_e32 v172, v174
	v_xor_b32_e32 v177, s22, v177
	v_cmp_gt_i32_e64 s22, 0, v174
	v_and_b32_e32 v39, exec_lo, v39
	v_not_b32_e32 v174, v175
	v_ashrrev_i32_e32 v172, 31, v172
	v_xor_b32_e32 v139, vcc_lo, v139
	v_cmp_gt_i32_e32 vcc_lo, 0, v175
	v_and_b32_e32 v39, v39, v177
	v_not_b32_e32 v175, v176
	v_ashrrev_i32_e32 v174, 31, v174
	v_xor_b32_e32 v172, s22, v172
	v_cmp_gt_i32_e64 s22, 0, v176
	v_and_b32_e32 v39, v39, v139
	v_not_b32_e32 v139, v173
	v_ashrrev_i32_e32 v175, 31, v175
	v_xor_b32_e32 v174, vcc_lo, v174
	v_cmp_gt_i32_e32 vcc_lo, 0, v173
	v_and_b32_e32 v39, v39, v172
	v_ashrrev_i32_e32 v139, 31, v139
	v_xor_b32_e32 v172, s22, v175
	v_mad_u32_u24 v173, v40, 36, v114
	v_mul_u32_u24_e32 v40, 36, v40
	v_and_b32_e32 v39, v39, v174
	v_xor_b32_e32 v174, vcc_lo, v139
	ds_read_b32 v139, v173 offset:544
	v_add_nc_u32_e32 v173, v114, v40
	v_and_b32_e32 v39, v39, v172
	; wave barrier
	v_and_b32_e32 v39, v39, v174
	v_mbcnt_lo_u32_b32 v172, v39, 0
	v_cmp_ne_u32_e64 s22, 0, v39
	v_cmp_eq_u32_e32 vcc_lo, 0, v172
	s_and_b32 s23, s22, vcc_lo
	s_and_saveexec_b32 s22, s23
	s_cbranch_execz .LBB297_143
; %bb.142:                              ;   in Loop: Header=BB297_100 Depth=2
	s_waitcnt lgkmcnt(0)
	v_bcnt_u32_b32 v39, v39, v139
	ds_write_b32 v173, v39 offset:544
.LBB297_143:                            ;   in Loop: Header=BB297_100 Depth=2
	s_or_b32 exec_lo, exec_lo, s22
	v_lshrrev_b32_sdwa v39, s61, v138 dst_sel:DWORD dst_unused:UNUSED_PAD src0_sel:DWORD src1_sel:BYTE_2
	; wave barrier
	v_and_b32_e32 v40, s62, v39
	v_and_b32_e32 v39, 1, v40
	v_lshlrev_b32_e32 v174, 30, v40
	v_lshlrev_b32_e32 v175, 29, v40
	;; [unrolled: 1-line block ×4, first 2 shown]
	v_add_co_u32 v39, s22, v39, -1
	v_cndmask_b32_e64 v176, 0, 1, s22
	v_not_b32_e32 v180, v174
	v_cmp_gt_i32_e64 s22, 0, v174
	v_not_b32_e32 v174, v175
	v_lshlrev_b32_e32 v179, 26, v40
	v_cmp_ne_u32_e32 vcc_lo, 0, v176
	v_ashrrev_i32_e32 v180, 31, v180
	v_lshlrev_b32_e32 v176, 25, v40
	v_ashrrev_i32_e32 v174, 31, v174
	v_xor_b32_e32 v39, vcc_lo, v39
	v_cmp_gt_i32_e32 vcc_lo, 0, v175
	v_not_b32_e32 v175, v177
	v_xor_b32_e32 v180, s22, v180
	v_cmp_gt_i32_e64 s22, 0, v177
	v_and_b32_e32 v39, exec_lo, v39
	v_not_b32_e32 v177, v178
	v_ashrrev_i32_e32 v175, 31, v175
	v_xor_b32_e32 v174, vcc_lo, v174
	v_cmp_gt_i32_e32 vcc_lo, 0, v178
	v_and_b32_e32 v39, v39, v180
	v_not_b32_e32 v178, v179
	v_ashrrev_i32_e32 v177, 31, v177
	v_xor_b32_e32 v175, s22, v175
	v_cmp_gt_i32_e64 s22, 0, v179
	v_and_b32_e32 v39, v39, v174
	v_not_b32_e32 v174, v176
	v_ashrrev_i32_e32 v178, 31, v178
	v_xor_b32_e32 v177, vcc_lo, v177
	v_cmp_gt_i32_e32 vcc_lo, 0, v176
	v_and_b32_e32 v39, v39, v175
	v_ashrrev_i32_e32 v174, 31, v174
	v_xor_b32_e32 v175, s22, v178
	v_mad_u32_u24 v176, v40, 36, v114
	v_mul_u32_u24_e32 v40, 36, v40
	v_and_b32_e32 v39, v39, v177
	v_xor_b32_e32 v177, vcc_lo, v174
	ds_read_b32 v174, v176 offset:544
	v_and_b32_e32 v39, v39, v175
	; wave barrier
	v_and_b32_e32 v39, v39, v177
	v_add_nc_u32_e32 v177, v114, v40
	v_mbcnt_lo_u32_b32 v175, v39, 0
	v_cmp_ne_u32_e64 s22, 0, v39
	v_cmp_eq_u32_e32 vcc_lo, 0, v175
	s_and_b32 s23, s22, vcc_lo
	s_and_saveexec_b32 s22, s23
	s_cbranch_execz .LBB297_145
; %bb.144:                              ;   in Loop: Header=BB297_100 Depth=2
	s_waitcnt lgkmcnt(0)
	v_bcnt_u32_b32 v39, v39, v174
	ds_write_b32 v177, v39 offset:544
.LBB297_145:                            ;   in Loop: Header=BB297_100 Depth=2
	s_or_b32 exec_lo, exec_lo, s22
	v_lshrrev_b32_e32 v176, 24, v138
	; wave barrier
	v_lshrrev_b32_e32 v39, s61, v176
	v_and_b32_e32 v40, s62, v39
	v_and_b32_e32 v39, 1, v40
	v_lshlrev_b32_e32 v178, 30, v40
	v_lshlrev_b32_e32 v179, 29, v40
	;; [unrolled: 1-line block ×4, first 2 shown]
	v_add_co_u32 v39, s22, v39, -1
	v_cndmask_b32_e64 v180, 0, 1, s22
	v_not_b32_e32 v184, v178
	v_cmp_gt_i32_e64 s22, 0, v178
	v_not_b32_e32 v178, v179
	v_lshlrev_b32_e32 v183, 26, v40
	v_cmp_ne_u32_e32 vcc_lo, 0, v180
	v_ashrrev_i32_e32 v184, 31, v184
	v_lshlrev_b32_e32 v180, 25, v40
	v_ashrrev_i32_e32 v178, 31, v178
	v_xor_b32_e32 v39, vcc_lo, v39
	v_cmp_gt_i32_e32 vcc_lo, 0, v179
	v_not_b32_e32 v179, v181
	v_xor_b32_e32 v184, s22, v184
	v_cmp_gt_i32_e64 s22, 0, v181
	v_and_b32_e32 v39, exec_lo, v39
	v_not_b32_e32 v181, v182
	v_ashrrev_i32_e32 v179, 31, v179
	v_xor_b32_e32 v178, vcc_lo, v178
	v_cmp_gt_i32_e32 vcc_lo, 0, v182
	v_and_b32_e32 v39, v39, v184
	v_not_b32_e32 v182, v183
	v_ashrrev_i32_e32 v181, 31, v181
	v_xor_b32_e32 v179, s22, v179
	v_cmp_gt_i32_e64 s22, 0, v183
	v_and_b32_e32 v39, v39, v178
	v_not_b32_e32 v178, v180
	v_ashrrev_i32_e32 v182, 31, v182
	v_xor_b32_e32 v181, vcc_lo, v181
	v_cmp_gt_i32_e32 vcc_lo, 0, v180
	v_and_b32_e32 v39, v39, v179
	v_ashrrev_i32_e32 v178, 31, v178
	v_xor_b32_e32 v179, s22, v182
	v_mad_u32_u24 v180, v40, 36, v114
	v_mul_u32_u24_e32 v40, 36, v40
	v_and_b32_e32 v39, v39, v181
	v_xor_b32_e32 v181, vcc_lo, v178
	ds_read_b32 v178, v180 offset:544
	v_add_nc_u32_e32 v180, v114, v40
	v_and_b32_e32 v39, v39, v179
	; wave barrier
	v_and_b32_e32 v39, v39, v181
	v_mbcnt_lo_u32_b32 v179, v39, 0
	v_cmp_ne_u32_e64 s22, 0, v39
	v_cmp_eq_u32_e32 vcc_lo, 0, v179
	s_and_b32 s23, s22, vcc_lo
	s_and_saveexec_b32 s22, s23
	s_cbranch_execz .LBB297_147
; %bb.146:                              ;   in Loop: Header=BB297_100 Depth=2
	s_waitcnt lgkmcnt(0)
	v_bcnt_u32_b32 v39, v39, v178
	ds_write_b32 v180, v39 offset:544
.LBB297_147:                            ;   in Loop: Header=BB297_100 Depth=2
	s_or_b32 exec_lo, exec_lo, s22
	v_xor_b32_e32 v39, 0x7f, v135
	; wave barrier
	v_and_b32_sdwa v40, v92, v39 dst_sel:DWORD dst_unused:UNUSED_PAD src0_sel:DWORD src1_sel:BYTE_0
	v_lshrrev_b32_e32 v40, s61, v40
	v_and_b32_e32 v182, s62, v40
	v_and_b32_e32 v40, 1, v182
	v_lshlrev_b32_e32 v135, 30, v182
	v_lshlrev_b32_e32 v181, 29, v182
	;; [unrolled: 1-line block ×4, first 2 shown]
	v_add_co_u32 v40, s22, v40, -1
	v_cndmask_b32_e64 v183, 0, 1, s22
	v_not_b32_e32 v187, v135
	v_cmp_gt_i32_e64 s22, 0, v135
	v_not_b32_e32 v135, v181
	v_lshlrev_b32_e32 v186, 26, v182
	v_cmp_ne_u32_e32 vcc_lo, 0, v183
	v_ashrrev_i32_e32 v187, 31, v187
	v_lshlrev_b32_e32 v183, 25, v182
	v_ashrrev_i32_e32 v135, 31, v135
	v_xor_b32_e32 v40, vcc_lo, v40
	v_cmp_gt_i32_e32 vcc_lo, 0, v181
	v_not_b32_e32 v181, v184
	v_xor_b32_e32 v187, s22, v187
	v_cmp_gt_i32_e64 s22, 0, v184
	v_and_b32_e32 v40, exec_lo, v40
	v_not_b32_e32 v184, v185
	v_ashrrev_i32_e32 v181, 31, v181
	v_xor_b32_e32 v135, vcc_lo, v135
	v_cmp_gt_i32_e32 vcc_lo, 0, v185
	v_and_b32_e32 v40, v40, v187
	v_not_b32_e32 v185, v186
	v_ashrrev_i32_e32 v184, 31, v184
	v_xor_b32_e32 v181, s22, v181
	v_cmp_gt_i32_e64 s22, 0, v186
	v_and_b32_e32 v40, v40, v135
	v_not_b32_e32 v135, v183
	v_ashrrev_i32_e32 v185, 31, v185
	v_xor_b32_e32 v184, vcc_lo, v184
	v_cmp_gt_i32_e32 vcc_lo, 0, v183
	v_and_b32_e32 v40, v40, v181
	v_ashrrev_i32_e32 v135, 31, v135
	v_xor_b32_e32 v181, s22, v185
	v_mad_u32_u24 v183, v182, 36, v114
	v_mul_u32_u24_e32 v182, 36, v182
	v_and_b32_e32 v40, v40, v184
	v_xor_b32_e32 v184, vcc_lo, v135
	ds_read_b32 v135, v183 offset:544
	v_add_nc_u32_e32 v183, v114, v182
	v_and_b32_e32 v40, v40, v181
	; wave barrier
	v_and_b32_e32 v40, v40, v184
	v_mbcnt_lo_u32_b32 v181, v40, 0
	v_cmp_ne_u32_e64 s22, 0, v40
	v_cmp_eq_u32_e32 vcc_lo, 0, v181
	s_and_b32 s23, s22, vcc_lo
	s_and_saveexec_b32 s22, s23
	s_cbranch_execz .LBB297_149
; %bb.148:                              ;   in Loop: Header=BB297_100 Depth=2
	s_waitcnt lgkmcnt(0)
	v_bcnt_u32_b32 v40, v40, v135
	ds_write_b32 v183, v40 offset:544
.LBB297_149:                            ;   in Loop: Header=BB297_100 Depth=2
	s_or_b32 exec_lo, exec_lo, s22
	v_xor_b32_sdwa v3, v3, v93 dst_sel:BYTE_1 dst_unused:UNUSED_PAD src0_sel:DWORD src1_sel:DWORD
	v_xor_b32_e32 v40, 0x7f, v41
	v_xor_b32_sdwa v41, v42, v93 dst_sel:BYTE_1 dst_unused:UNUSED_PAD src0_sel:DWORD src1_sel:DWORD
	; wave barrier
	v_or_b32_sdwa v182, v39, v3 dst_sel:DWORD dst_unused:UNUSED_PAD src0_sel:BYTE_0 src1_sel:DWORD
	v_or_b32_sdwa v3, v40, v41 dst_sel:WORD_1 dst_unused:UNUSED_PAD src0_sel:BYTE_0 src1_sel:DWORD
	v_or_b32_sdwa v3, v182, v3 dst_sel:DWORD dst_unused:UNUSED_PAD src0_sel:WORD_0 src1_sel:DWORD
	v_lshrrev_b32_sdwa v39, s61, v3 dst_sel:DWORD dst_unused:UNUSED_PAD src0_sel:DWORD src1_sel:BYTE_1
	v_and_b32_e32 v40, s62, v39
	v_and_b32_e32 v39, 1, v40
	v_lshlrev_b32_e32 v41, 30, v40
	v_lshlrev_b32_e32 v42, 29, v40
	;; [unrolled: 1-line block ×4, first 2 shown]
	v_add_co_u32 v39, s22, v39, -1
	v_cndmask_b32_e64 v184, 0, 1, s22
	v_not_b32_e32 v188, v41
	v_cmp_gt_i32_e64 s22, 0, v41
	v_not_b32_e32 v41, v42
	v_lshlrev_b32_e32 v187, 26, v40
	v_cmp_ne_u32_e32 vcc_lo, 0, v184
	v_ashrrev_i32_e32 v188, 31, v188
	v_lshlrev_b32_e32 v184, 25, v40
	v_ashrrev_i32_e32 v41, 31, v41
	v_xor_b32_e32 v39, vcc_lo, v39
	v_cmp_gt_i32_e32 vcc_lo, 0, v42
	v_not_b32_e32 v42, v185
	v_xor_b32_e32 v188, s22, v188
	v_cmp_gt_i32_e64 s22, 0, v185
	v_and_b32_e32 v39, exec_lo, v39
	v_not_b32_e32 v185, v186
	v_ashrrev_i32_e32 v42, 31, v42
	v_xor_b32_e32 v41, vcc_lo, v41
	v_cmp_gt_i32_e32 vcc_lo, 0, v186
	v_and_b32_e32 v39, v39, v188
	v_not_b32_e32 v186, v187
	v_ashrrev_i32_e32 v185, 31, v185
	v_xor_b32_e32 v42, s22, v42
	v_cmp_gt_i32_e64 s22, 0, v187
	v_and_b32_e32 v39, v39, v41
	v_not_b32_e32 v41, v184
	v_ashrrev_i32_e32 v186, 31, v186
	v_xor_b32_e32 v185, vcc_lo, v185
	v_cmp_gt_i32_e32 vcc_lo, 0, v184
	v_and_b32_e32 v39, v39, v42
	v_ashrrev_i32_e32 v41, 31, v41
	v_xor_b32_e32 v42, s22, v186
	v_mad_u32_u24 v184, v40, 36, v114
	v_mul_u32_u24_e32 v40, 36, v40
	v_and_b32_e32 v39, v39, v185
	v_xor_b32_e32 v41, vcc_lo, v41
	ds_read_b32 v184, v184 offset:544
	v_add_nc_u32_e32 v186, v114, v40
	v_and_b32_e32 v39, v39, v42
	; wave barrier
	v_and_b32_e32 v39, v39, v41
	v_mbcnt_lo_u32_b32 v185, v39, 0
	v_cmp_ne_u32_e64 s22, 0, v39
	v_cmp_eq_u32_e32 vcc_lo, 0, v185
	s_and_b32 s23, s22, vcc_lo
	s_and_saveexec_b32 s22, s23
	s_cbranch_execz .LBB297_151
; %bb.150:                              ;   in Loop: Header=BB297_100 Depth=2
	s_waitcnt lgkmcnt(0)
	v_bcnt_u32_b32 v39, v39, v184
	ds_write_b32 v186, v39 offset:544
.LBB297_151:                            ;   in Loop: Header=BB297_100 Depth=2
	s_or_b32 exec_lo, exec_lo, s22
	v_lshrrev_b32_sdwa v39, s61, v3 dst_sel:DWORD dst_unused:UNUSED_PAD src0_sel:DWORD src1_sel:BYTE_2
	; wave barrier
	v_and_b32_e32 v40, s62, v39
	v_and_b32_e32 v39, 1, v40
	v_lshlrev_b32_e32 v41, 30, v40
	v_lshlrev_b32_e32 v42, 29, v40
	;; [unrolled: 1-line block ×4, first 2 shown]
	v_add_co_u32 v39, s22, v39, -1
	v_cndmask_b32_e64 v187, 0, 1, s22
	v_not_b32_e32 v191, v41
	v_cmp_gt_i32_e64 s22, 0, v41
	v_not_b32_e32 v41, v42
	v_lshlrev_b32_e32 v190, 26, v40
	v_cmp_ne_u32_e32 vcc_lo, 0, v187
	v_ashrrev_i32_e32 v191, 31, v191
	v_lshlrev_b32_e32 v187, 25, v40
	v_ashrrev_i32_e32 v41, 31, v41
	v_xor_b32_e32 v39, vcc_lo, v39
	v_cmp_gt_i32_e32 vcc_lo, 0, v42
	v_not_b32_e32 v42, v188
	v_xor_b32_e32 v191, s22, v191
	v_cmp_gt_i32_e64 s22, 0, v188
	v_and_b32_e32 v39, exec_lo, v39
	v_not_b32_e32 v188, v189
	v_ashrrev_i32_e32 v42, 31, v42
	v_xor_b32_e32 v41, vcc_lo, v41
	v_cmp_gt_i32_e32 vcc_lo, 0, v189
	v_and_b32_e32 v39, v39, v191
	v_not_b32_e32 v189, v190
	v_ashrrev_i32_e32 v188, 31, v188
	v_xor_b32_e32 v42, s22, v42
	v_cmp_gt_i32_e64 s22, 0, v190
	v_and_b32_e32 v39, v39, v41
	v_not_b32_e32 v41, v187
	v_ashrrev_i32_e32 v189, 31, v189
	v_xor_b32_e32 v188, vcc_lo, v188
	v_cmp_gt_i32_e32 vcc_lo, 0, v187
	v_and_b32_e32 v39, v39, v42
	v_ashrrev_i32_e32 v41, 31, v41
	v_xor_b32_e32 v42, s22, v189
	v_mad_u32_u24 v187, v40, 36, v114
	v_mul_u32_u24_e32 v40, 36, v40
	v_and_b32_e32 v39, v39, v188
	v_xor_b32_e32 v41, vcc_lo, v41
	ds_read_b32 v187, v187 offset:544
	v_add_nc_u32_e32 v190, v114, v40
	v_and_b32_e32 v39, v39, v42
	; wave barrier
	v_and_b32_e32 v39, v39, v41
	v_mbcnt_lo_u32_b32 v188, v39, 0
	v_cmp_ne_u32_e64 s22, 0, v39
	v_cmp_eq_u32_e32 vcc_lo, 0, v188
	s_and_b32 s23, s22, vcc_lo
	s_and_saveexec_b32 s22, s23
	s_cbranch_execz .LBB297_153
; %bb.152:                              ;   in Loop: Header=BB297_100 Depth=2
	s_waitcnt lgkmcnt(0)
	v_bcnt_u32_b32 v39, v39, v187
	ds_write_b32 v190, v39 offset:544
.LBB297_153:                            ;   in Loop: Header=BB297_100 Depth=2
	s_or_b32 exec_lo, exec_lo, s22
	v_lshrrev_b32_e32 v189, 24, v3
	; wave barrier
	v_lshrrev_b32_e32 v39, s61, v189
	v_and_b32_e32 v40, s62, v39
	v_and_b32_e32 v39, 1, v40
	v_lshlrev_b32_e32 v41, 30, v40
	v_lshlrev_b32_e32 v42, 29, v40
	;; [unrolled: 1-line block ×4, first 2 shown]
	v_add_co_u32 v39, s22, v39, -1
	v_cndmask_b32_e64 v191, 0, 1, s22
	v_not_b32_e32 v195, v41
	v_cmp_gt_i32_e64 s22, 0, v41
	v_not_b32_e32 v41, v42
	v_lshlrev_b32_e32 v194, 26, v40
	v_cmp_ne_u32_e32 vcc_lo, 0, v191
	v_ashrrev_i32_e32 v195, 31, v195
	v_lshlrev_b32_e32 v191, 25, v40
	v_ashrrev_i32_e32 v41, 31, v41
	v_xor_b32_e32 v39, vcc_lo, v39
	v_cmp_gt_i32_e32 vcc_lo, 0, v42
	v_not_b32_e32 v42, v192
	v_xor_b32_e32 v195, s22, v195
	v_cmp_gt_i32_e64 s22, 0, v192
	v_and_b32_e32 v39, exec_lo, v39
	v_not_b32_e32 v192, v193
	v_ashrrev_i32_e32 v42, 31, v42
	v_xor_b32_e32 v41, vcc_lo, v41
	v_cmp_gt_i32_e32 vcc_lo, 0, v193
	v_and_b32_e32 v39, v39, v195
	v_not_b32_e32 v193, v194
	v_ashrrev_i32_e32 v192, 31, v192
	v_xor_b32_e32 v42, s22, v42
	v_cmp_gt_i32_e64 s22, 0, v194
	v_and_b32_e32 v39, v39, v41
	v_not_b32_e32 v41, v191
	v_ashrrev_i32_e32 v193, 31, v193
	v_xor_b32_e32 v192, vcc_lo, v192
	v_cmp_gt_i32_e32 vcc_lo, 0, v191
	v_and_b32_e32 v39, v39, v42
	v_ashrrev_i32_e32 v41, 31, v41
	v_xor_b32_e32 v42, s22, v193
	v_mad_u32_u24 v191, v40, 36, v114
	v_mul_u32_u24_e32 v40, 36, v40
	v_and_b32_e32 v39, v39, v192
	v_xor_b32_e32 v41, vcc_lo, v41
	ds_read_b32 v191, v191 offset:544
	v_add_nc_u32_e32 v193, v114, v40
	v_and_b32_e32 v39, v39, v42
	; wave barrier
	v_and_b32_e32 v39, v39, v41
	v_mbcnt_lo_u32_b32 v192, v39, 0
	v_cmp_ne_u32_e64 s22, 0, v39
	v_cmp_eq_u32_e32 vcc_lo, 0, v192
	s_and_b32 s23, s22, vcc_lo
	s_and_saveexec_b32 s22, s23
	s_cbranch_execz .LBB297_155
; %bb.154:                              ;   in Loop: Header=BB297_100 Depth=2
	s_waitcnt lgkmcnt(0)
	v_bcnt_u32_b32 v39, v39, v191
	ds_write_b32 v193, v39 offset:544
.LBB297_155:                            ;   in Loop: Header=BB297_100 Depth=2
	s_or_b32 exec_lo, exec_lo, s22
	v_xor_b32_e32 v115, 0x7f, v115
	; wave barrier
	v_lshrrev_b32_sdwa v39, s61, v115 dst_sel:DWORD dst_unused:UNUSED_PAD src0_sel:DWORD src1_sel:BYTE_0
	v_and_b32_e32 v40, s62, v39
	v_and_b32_e32 v39, 1, v40
	v_lshlrev_b32_e32 v41, 30, v40
	v_lshlrev_b32_e32 v42, 29, v40
	;; [unrolled: 1-line block ×4, first 2 shown]
	v_add_co_u32 v39, s22, v39, -1
	v_cndmask_b32_e64 v194, 0, 1, s22
	v_not_b32_e32 v198, v41
	v_cmp_gt_i32_e64 s22, 0, v41
	v_not_b32_e32 v41, v42
	v_lshlrev_b32_e32 v197, 26, v40
	v_cmp_ne_u32_e32 vcc_lo, 0, v194
	v_ashrrev_i32_e32 v198, 31, v198
	v_lshlrev_b32_e32 v194, 25, v40
	v_ashrrev_i32_e32 v41, 31, v41
	v_xor_b32_e32 v39, vcc_lo, v39
	v_cmp_gt_i32_e32 vcc_lo, 0, v42
	v_not_b32_e32 v42, v195
	v_xor_b32_e32 v198, s22, v198
	v_cmp_gt_i32_e64 s22, 0, v195
	v_and_b32_e32 v39, exec_lo, v39
	v_not_b32_e32 v195, v196
	v_ashrrev_i32_e32 v42, 31, v42
	v_xor_b32_e32 v41, vcc_lo, v41
	v_cmp_gt_i32_e32 vcc_lo, 0, v196
	v_and_b32_e32 v39, v39, v198
	v_not_b32_e32 v196, v197
	v_ashrrev_i32_e32 v195, 31, v195
	v_xor_b32_e32 v42, s22, v42
	v_cmp_gt_i32_e64 s22, 0, v197
	v_and_b32_e32 v39, v39, v41
	v_not_b32_e32 v41, v194
	v_ashrrev_i32_e32 v196, 31, v196
	v_xor_b32_e32 v195, vcc_lo, v195
	v_cmp_gt_i32_e32 vcc_lo, 0, v194
	v_and_b32_e32 v39, v39, v42
	v_ashrrev_i32_e32 v41, 31, v41
	v_xor_b32_e32 v42, s22, v196
	v_mad_u32_u24 v194, v40, 36, v114
	v_mul_u32_u24_e32 v40, 36, v40
	v_and_b32_e32 v39, v39, v195
	v_xor_b32_e32 v41, vcc_lo, v41
	ds_read_b32 v194, v194 offset:544
	v_add_nc_u32_e32 v196, v114, v40
	v_and_b32_e32 v39, v39, v42
	; wave barrier
	v_and_b32_e32 v39, v39, v41
	v_mbcnt_lo_u32_b32 v195, v39, 0
	v_cmp_ne_u32_e64 s22, 0, v39
	v_cmp_eq_u32_e32 vcc_lo, 0, v195
	s_and_b32 s23, s22, vcc_lo
	s_and_saveexec_b32 s22, s23
	s_cbranch_execz .LBB297_157
; %bb.156:                              ;   in Loop: Header=BB297_100 Depth=2
	s_waitcnt lgkmcnt(0)
	v_bcnt_u32_b32 v39, v39, v194
	ds_write_b32 v196, v39 offset:544
.LBB297_157:                            ;   in Loop: Header=BB297_100 Depth=2
	s_or_b32 exec_lo, exec_lo, s22
	; wave barrier
	s_waitcnt lgkmcnt(0)
	s_barrier
	buffer_gl0_inv
	ds_read2_b32 v[41:42], v69 offset0:136 offset1:137
	ds_read2_b32 v[39:40], v69 offset0:138 offset1:139
	ds_read_b32 v197, v69 offset:560
	s_waitcnt lgkmcnt(1)
	v_add3_u32 v198, v42, v41, v39
	s_waitcnt lgkmcnt(0)
	v_add3_u32 v197, v198, v40, v197
	v_mov_b32_dpp v198, v197 row_shr:1 row_mask:0xf bank_mask:0xf
	v_cndmask_b32_e64 v198, v198, 0, s5
	v_add_nc_u32_e32 v197, v198, v197
	v_mov_b32_dpp v198, v197 row_shr:2 row_mask:0xf bank_mask:0xf
	v_cndmask_b32_e64 v198, 0, v198, s14
	v_add_nc_u32_e32 v197, v197, v198
	;; [unrolled: 3-line block ×4, first 2 shown]
	ds_swizzle_b32 v198, v197 offset:swizzle(BROADCAST,32,15)
	s_waitcnt lgkmcnt(0)
	v_cndmask_b32_e64 v198, v198, 0, s17
	v_add_nc_u32_e32 v197, v197, v198
	s_and_saveexec_b32 s22, s4
; %bb.158:                              ;   in Loop: Header=BB297_100 Depth=2
	ds_write_b32 v62, v197 offset:512
; %bb.159:                              ;   in Loop: Header=BB297_100 Depth=2
	s_or_b32 exec_lo, exec_lo, s22
	s_waitcnt lgkmcnt(0)
	s_barrier
	buffer_gl0_inv
	s_and_saveexec_b32 s22, s11
	s_cbranch_execz .LBB297_161
; %bb.160:                              ;   in Loop: Header=BB297_100 Depth=2
	ds_read_b32 v198, v70 offset:512
	s_waitcnt lgkmcnt(0)
	v_mov_b32_dpp v199, v198 row_shr:1 row_mask:0xf bank_mask:0xf
	v_cndmask_b32_e64 v199, v199, 0, s19
	v_add_nc_u32_e32 v198, v199, v198
	v_mov_b32_dpp v199, v198 row_shr:2 row_mask:0xf bank_mask:0xf
	v_cndmask_b32_e64 v199, 0, v199, s20
	v_add_nc_u32_e32 v198, v198, v199
	;; [unrolled: 3-line block ×3, first 2 shown]
	ds_write_b32 v70, v198 offset:512
.LBB297_161:                            ;   in Loop: Header=BB297_100 Depth=2
	s_or_b32 exec_lo, exec_lo, s22
	v_mov_b32_e32 v198, 0
	s_waitcnt lgkmcnt(0)
	s_barrier
	buffer_gl0_inv
	s_and_saveexec_b32 s22, s10
; %bb.162:                              ;   in Loop: Header=BB297_100 Depth=2
	ds_read_b32 v198, v62 offset:508
; %bb.163:                              ;   in Loop: Header=BB297_100 Depth=2
	s_or_b32 exec_lo, exec_lo, s22
	s_waitcnt lgkmcnt(0)
	v_add_nc_u32_e32 v197, v198, v197
	ds_bpermute_b32 v197, v94, v197
	s_waitcnt lgkmcnt(0)
	v_cndmask_b32_e64 v197, v197, v198, s18
	v_cndmask_b32_e64 v197, v197, 0, s12
	v_add_nc_u32_e32 v41, v197, v41
	v_add_nc_u32_e32 v42, v41, v42
	v_add_nc_u32_e32 v39, v42, v39
	v_add_nc_u32_e32 v40, v39, v40
	ds_write2_b32 v69, v197, v41 offset0:136 offset1:137
	ds_write2_b32 v69, v42, v39 offset0:138 offset1:139
	ds_write_b32 v69, v40 offset:560
	s_waitcnt lgkmcnt(0)
	s_barrier
	buffer_gl0_inv
	ds_read_b32 v39, v147 offset:544
	ds_read_b32 v40, v151 offset:544
	;; [unrolled: 1-line block ×17, first 2 shown]
	s_and_saveexec_b32 s22, s7
	s_cbranch_execz .LBB297_167
; %bb.164:                              ;   in Loop: Header=BB297_100 Depth=2
	v_add_nc_u32_e32 v133, v70, v72
	v_mov_b32_e32 v134, 0x1100
	ds_read_b32 v133, v133 offset:544
	s_and_saveexec_b32 s23, s13
; %bb.165:                              ;   in Loop: Header=BB297_100 Depth=2
	ds_read_b32 v134, v71 offset:544
; %bb.166:                              ;   in Loop: Header=BB297_100 Depth=2
	s_or_b32 exec_lo, exec_lo, s23
	s_waitcnt lgkmcnt(0)
	v_sub_nc_u32_e32 v134, v134, v133
.LBB297_167:                            ;   in Loop: Header=BB297_100 Depth=2
	s_or_b32 exec_lo, exec_lo, s22
	v_lshrrev_b32_e32 v201, 8, v146
	v_lshrrev_b32_e32 v202, 16, v146
	;; [unrolled: 1-line block ×8, first 2 shown]
	s_waitcnt lgkmcnt(0)
	s_barrier
	buffer_gl0_inv
	s_and_saveexec_b32 s22, s7
	s_cbranch_execz .LBB297_169
; %bb.168:                              ;   in Loop: Header=BB297_100 Depth=2
	ds_read_b32 v3, v43
	s_waitcnt lgkmcnt(0)
	v_sub_nc_u32_e32 v3, v3, v133
	ds_write_b32 v43, v3
.LBB297_169:                            ;   in Loop: Header=BB297_100 Depth=2
	s_or_b32 exec_lo, exec_lo, s22
	v_add_nc_u32_e32 v155, v39, v144
	v_add3_u32 v151, v150, v149, v40
	v_add3_u32 v150, v153, v152, v41
	;; [unrolled: 1-line block ×16, first 2 shown]
	v_cmp_lt_u32_e64 s39, v0, v136
	ds_write_b8 v155, v145 offset:512
	ds_write_b8 v151, v201 offset:512
	;; [unrolled: 1-line block ×17, first 2 shown]
	s_waitcnt lgkmcnt(0)
	s_barrier
	buffer_gl0_inv
	s_and_saveexec_b32 s22, s39
	s_cbranch_execnz .LBB297_242
; %bb.170:                              ;   in Loop: Header=BB297_100 Depth=2
	s_or_b32 exec_lo, exec_lo, s22
	v_cmp_lt_u32_e64 s38, v44, v136
	s_and_saveexec_b32 s22, s38
	s_cbranch_execnz .LBB297_243
.LBB297_171:                            ;   in Loop: Header=BB297_100 Depth=2
	s_or_b32 exec_lo, exec_lo, s22
	v_cmp_lt_u32_e64 s37, v47, v136
	s_and_saveexec_b32 s22, s37
	s_cbranch_execnz .LBB297_244
.LBB297_172:                            ;   in Loop: Header=BB297_100 Depth=2
	s_or_b32 exec_lo, exec_lo, s22
	v_cmp_lt_u32_e64 s36, v48, v136
	s_and_saveexec_b32 s22, s36
	s_cbranch_execnz .LBB297_245
.LBB297_173:                            ;   in Loop: Header=BB297_100 Depth=2
	s_or_b32 exec_lo, exec_lo, s22
	v_cmp_lt_u32_e64 s35, v49, v136
	s_and_saveexec_b32 s22, s35
	s_cbranch_execnz .LBB297_246
.LBB297_174:                            ;   in Loop: Header=BB297_100 Depth=2
	s_or_b32 exec_lo, exec_lo, s22
	v_cmp_lt_u32_e64 s34, v50, v136
	s_and_saveexec_b32 s22, s34
	s_cbranch_execnz .LBB297_247
.LBB297_175:                            ;   in Loop: Header=BB297_100 Depth=2
	s_or_b32 exec_lo, exec_lo, s22
	v_cmp_lt_u32_e64 s33, v51, v136
	s_and_saveexec_b32 s22, s33
	s_cbranch_execnz .LBB297_248
.LBB297_176:                            ;   in Loop: Header=BB297_100 Depth=2
	s_or_b32 exec_lo, exec_lo, s22
	v_cmp_lt_u32_e64 s31, v52, v136
	s_and_saveexec_b32 s22, s31
	s_cbranch_execnz .LBB297_249
.LBB297_177:                            ;   in Loop: Header=BB297_100 Depth=2
	s_or_b32 exec_lo, exec_lo, s22
	v_cmp_lt_u32_e64 s30, v53, v136
	s_and_saveexec_b32 s22, s30
	s_cbranch_execnz .LBB297_250
.LBB297_178:                            ;   in Loop: Header=BB297_100 Depth=2
	s_or_b32 exec_lo, exec_lo, s22
	v_cmp_lt_u32_e64 s29, v54, v136
	s_and_saveexec_b32 s22, s29
	s_cbranch_execnz .LBB297_251
.LBB297_179:                            ;   in Loop: Header=BB297_100 Depth=2
	s_or_b32 exec_lo, exec_lo, s22
	v_cmp_lt_u32_e64 s27, v55, v136
	s_and_saveexec_b32 s22, s27
	s_cbranch_execnz .LBB297_252
.LBB297_180:                            ;   in Loop: Header=BB297_100 Depth=2
	s_or_b32 exec_lo, exec_lo, s22
	v_cmp_lt_u32_e64 s26, v56, v136
	s_and_saveexec_b32 s22, s26
	s_cbranch_execnz .LBB297_253
.LBB297_181:                            ;   in Loop: Header=BB297_100 Depth=2
	s_or_b32 exec_lo, exec_lo, s22
	v_cmp_lt_u32_e64 s25, v57, v136
	s_and_saveexec_b32 s22, s25
	s_cbranch_execnz .LBB297_254
.LBB297_182:                            ;   in Loop: Header=BB297_100 Depth=2
	s_or_b32 exec_lo, exec_lo, s22
	v_cmp_lt_u32_e64 s24, v58, v136
	s_and_saveexec_b32 s22, s24
	s_cbranch_execnz .LBB297_255
.LBB297_183:                            ;   in Loop: Header=BB297_100 Depth=2
	s_or_b32 exec_lo, exec_lo, s22
	v_cmp_lt_u32_e64 s23, v59, v136
	s_and_saveexec_b32 s22, s23
	s_cbranch_execnz .LBB297_256
.LBB297_184:                            ;   in Loop: Header=BB297_100 Depth=2
	s_or_b32 exec_lo, exec_lo, s22
	v_cmp_lt_u32_e64 s22, v60, v136
	s_and_saveexec_b32 s40, s22
	s_cbranch_execnz .LBB297_257
.LBB297_185:                            ;   in Loop: Header=BB297_100 Depth=2
	s_or_b32 exec_lo, exec_lo, s40
	v_cmp_lt_u32_e32 vcc_lo, v61, v136
	s_and_saveexec_b32 s40, vcc_lo
	s_cbranch_execz .LBB297_187
.LBB297_186:                            ;   in Loop: Header=BB297_100 Depth=2
	ds_read_u8 v39, v0 offset:4608
	s_waitcnt lgkmcnt(0)
	v_lshrrev_b32_sdwa v40, s61, v39 dst_sel:DWORD dst_unused:UNUSED_PAD src0_sel:DWORD src1_sel:BYTE_0
	v_xor_b32_e32 v39, 0x7f, v39
	v_and_b32_e32 v40, s62, v40
	v_lshlrev_b32_e32 v40, 2, v40
	ds_read_b32 v40, v40
	s_waitcnt lgkmcnt(0)
	v_add_nc_u32_e32 v40, v40, v61
	global_store_byte v40, v39, s[46:47]
.LBB297_187:                            ;   in Loop: Header=BB297_100 Depth=2
	s_or_b32 exec_lo, exec_lo, s40
	s_lshl_b64 s[66:67], s[50:51], 3
	v_add_co_u32 v39, s40, v96, s66
	v_add_co_ci_u32_e64 v40, null, s67, v97, s40
	v_cmp_lt_u32_e64 s40, v95, v136
	s_and_saveexec_b32 s50, s40
	s_xor_b32 s40, exec_lo, s50
	s_cbranch_execnz .LBB297_258
; %bb.188:                              ;   in Loop: Header=BB297_100 Depth=2
	s_or_b32 exec_lo, exec_lo, s40
	s_mov_b32 s50, exec_lo
	v_cmpx_lt_u32_e64 v98, v136
	s_cbranch_execnz .LBB297_259
.LBB297_189:                            ;   in Loop: Header=BB297_100 Depth=2
	s_or_b32 exec_lo, exec_lo, s50
	s_mov_b32 s50, exec_lo
	v_cmpx_lt_u32_e64 v99, v136
	s_cbranch_execnz .LBB297_260
.LBB297_190:                            ;   in Loop: Header=BB297_100 Depth=2
	s_or_b32 exec_lo, exec_lo, s50
	s_mov_b32 s50, exec_lo
	v_cmpx_lt_u32_e64 v100, v136
	s_cbranch_execnz .LBB297_261
.LBB297_191:                            ;   in Loop: Header=BB297_100 Depth=2
	s_or_b32 exec_lo, exec_lo, s50
	s_mov_b32 s50, exec_lo
	v_cmpx_lt_u32_e64 v101, v136
	s_cbranch_execnz .LBB297_262
.LBB297_192:                            ;   in Loop: Header=BB297_100 Depth=2
	s_or_b32 exec_lo, exec_lo, s50
	s_mov_b32 s50, exec_lo
	v_cmpx_lt_u32_e64 v102, v136
	s_cbranch_execnz .LBB297_263
.LBB297_193:                            ;   in Loop: Header=BB297_100 Depth=2
	s_or_b32 exec_lo, exec_lo, s50
	s_mov_b32 s50, exec_lo
	v_cmpx_lt_u32_e64 v103, v136
	s_cbranch_execnz .LBB297_264
.LBB297_194:                            ;   in Loop: Header=BB297_100 Depth=2
	s_or_b32 exec_lo, exec_lo, s50
	s_mov_b32 s50, exec_lo
	v_cmpx_lt_u32_e64 v104, v136
	s_cbranch_execnz .LBB297_265
.LBB297_195:                            ;   in Loop: Header=BB297_100 Depth=2
	s_or_b32 exec_lo, exec_lo, s50
	s_mov_b32 s50, exec_lo
	v_cmpx_lt_u32_e64 v105, v136
	s_cbranch_execnz .LBB297_266
.LBB297_196:                            ;   in Loop: Header=BB297_100 Depth=2
	s_or_b32 exec_lo, exec_lo, s50
	s_mov_b32 s50, exec_lo
	v_cmpx_lt_u32_e64 v106, v136
	s_cbranch_execnz .LBB297_267
.LBB297_197:                            ;   in Loop: Header=BB297_100 Depth=2
	s_or_b32 exec_lo, exec_lo, s50
	s_mov_b32 s50, exec_lo
	v_cmpx_lt_u32_e64 v107, v136
	s_cbranch_execnz .LBB297_268
.LBB297_198:                            ;   in Loop: Header=BB297_100 Depth=2
	s_or_b32 exec_lo, exec_lo, s50
	s_mov_b32 s50, exec_lo
	v_cmpx_lt_u32_e64 v108, v136
	s_cbranch_execnz .LBB297_269
.LBB297_199:                            ;   in Loop: Header=BB297_100 Depth=2
	s_or_b32 exec_lo, exec_lo, s50
	s_mov_b32 s50, exec_lo
	v_cmpx_lt_u32_e64 v109, v136
	s_cbranch_execnz .LBB297_270
.LBB297_200:                            ;   in Loop: Header=BB297_100 Depth=2
	s_or_b32 exec_lo, exec_lo, s50
	s_mov_b32 s50, exec_lo
	v_cmpx_lt_u32_e64 v110, v136
	s_cbranch_execnz .LBB297_271
.LBB297_201:                            ;   in Loop: Header=BB297_100 Depth=2
	s_or_b32 exec_lo, exec_lo, s50
	s_mov_b32 s50, exec_lo
	v_cmpx_lt_u32_e64 v111, v136
	s_cbranch_execnz .LBB297_272
.LBB297_202:                            ;   in Loop: Header=BB297_100 Depth=2
	s_or_b32 exec_lo, exec_lo, s50
	s_mov_b32 s50, exec_lo
	v_cmpx_lt_u32_e64 v112, v136
	s_cbranch_execnz .LBB297_273
.LBB297_203:                            ;   in Loop: Header=BB297_100 Depth=2
	s_or_b32 exec_lo, exec_lo, s50
	s_mov_b32 s50, exec_lo
	v_cmpx_lt_u32_e64 v113, v136
	s_cbranch_execnz .LBB297_274
.LBB297_204:                            ;   in Loop: Header=BB297_100 Depth=2
	s_or_b32 exec_lo, exec_lo, s50
	s_and_saveexec_b32 s40, s39
	s_cbranch_execnz .LBB297_275
.LBB297_205:                            ;   in Loop: Header=BB297_100 Depth=2
	s_or_b32 exec_lo, exec_lo, s40
	s_and_saveexec_b32 s40, s38
	s_cbranch_execnz .LBB297_276
.LBB297_206:                            ;   in Loop: Header=BB297_100 Depth=2
	s_or_b32 exec_lo, exec_lo, s40
	s_and_saveexec_b32 s40, s37
	s_cbranch_execnz .LBB297_277
.LBB297_207:                            ;   in Loop: Header=BB297_100 Depth=2
	s_or_b32 exec_lo, exec_lo, s40
	s_and_saveexec_b32 s40, s36
	s_cbranch_execnz .LBB297_278
.LBB297_208:                            ;   in Loop: Header=BB297_100 Depth=2
	s_or_b32 exec_lo, exec_lo, s40
	s_and_saveexec_b32 s40, s35
	s_cbranch_execnz .LBB297_279
.LBB297_209:                            ;   in Loop: Header=BB297_100 Depth=2
	s_or_b32 exec_lo, exec_lo, s40
	s_and_saveexec_b32 s40, s34
	s_cbranch_execnz .LBB297_280
.LBB297_210:                            ;   in Loop: Header=BB297_100 Depth=2
	s_or_b32 exec_lo, exec_lo, s40
	s_and_saveexec_b32 s40, s33
	s_cbranch_execnz .LBB297_281
.LBB297_211:                            ;   in Loop: Header=BB297_100 Depth=2
	s_or_b32 exec_lo, exec_lo, s40
	s_and_saveexec_b32 s40, s31
	s_cbranch_execnz .LBB297_282
.LBB297_212:                            ;   in Loop: Header=BB297_100 Depth=2
	s_or_b32 exec_lo, exec_lo, s40
	s_and_saveexec_b32 s40, s30
	s_cbranch_execnz .LBB297_283
.LBB297_213:                            ;   in Loop: Header=BB297_100 Depth=2
	s_or_b32 exec_lo, exec_lo, s40
	s_and_saveexec_b32 s40, s29
	s_cbranch_execnz .LBB297_284
.LBB297_214:                            ;   in Loop: Header=BB297_100 Depth=2
	s_or_b32 exec_lo, exec_lo, s40
	s_and_saveexec_b32 s40, s27
	s_cbranch_execnz .LBB297_285
.LBB297_215:                            ;   in Loop: Header=BB297_100 Depth=2
	s_or_b32 exec_lo, exec_lo, s40
	s_and_saveexec_b32 s40, s26
	s_cbranch_execnz .LBB297_286
.LBB297_216:                            ;   in Loop: Header=BB297_100 Depth=2
	s_or_b32 exec_lo, exec_lo, s40
	s_and_saveexec_b32 s40, s25
	s_cbranch_execnz .LBB297_287
.LBB297_217:                            ;   in Loop: Header=BB297_100 Depth=2
	s_or_b32 exec_lo, exec_lo, s40
	s_and_saveexec_b32 s40, s24
	s_cbranch_execnz .LBB297_288
.LBB297_218:                            ;   in Loop: Header=BB297_100 Depth=2
	s_or_b32 exec_lo, exec_lo, s40
	s_and_saveexec_b32 s40, s23
	s_cbranch_execnz .LBB297_289
.LBB297_219:                            ;   in Loop: Header=BB297_100 Depth=2
	s_or_b32 exec_lo, exec_lo, s40
	s_and_saveexec_b32 s40, s22
	s_cbranch_execnz .LBB297_290
.LBB297_220:                            ;   in Loop: Header=BB297_100 Depth=2
	s_or_b32 exec_lo, exec_lo, s40
	s_and_saveexec_b32 s40, vcc_lo
	s_cbranch_execz .LBB297_222
.LBB297_221:                            ;   in Loop: Header=BB297_100 Depth=2
	ds_read_u8 v39, v0 offset:4608
	s_waitcnt lgkmcnt(0)
	v_lshrrev_b32_e32 v39, s61, v39
	v_and_b32_e32 v116, s62, v39
.LBB297_222:                            ;   in Loop: Header=BB297_100 Depth=2
	s_or_b32 exec_lo, exec_lo, s40
	v_lshlrev_b32_e32 v39, 3, v155
	v_lshlrev_b32_e32 v40, 3, v151
	s_waitcnt vmcnt(0)
	s_waitcnt_vscnt null, 0x0
	s_barrier
	buffer_gl0_inv
	ds_write_b64 v39, v[37:38] offset:512
	ds_write_b64 v40, v[35:36] offset:512
	v_lshlrev_b32_e32 v39, 3, v150
	v_lshlrev_b32_e32 v40, 3, v149
	v_lshlrev_b32_e32 v136, 3, v148
	v_lshlrev_b32_e32 v137, 3, v147
	v_lshlrev_b32_e32 v141, 3, v146
	ds_write_b64 v39, v[33:34] offset:512
	ds_write_b64 v40, v[31:32] offset:512
	ds_write_b64 v136, v[29:30] offset:512
	ds_write_b64 v137, v[25:26] offset:512
	ds_write_b64 v141, v[21:22] offset:512
	v_lshlrev_b32_e32 v39, 3, v144
	v_lshlrev_b32_e32 v40, 3, v143
	v_lshlrev_b32_e32 v136, 3, v142
	v_lshlrev_b32_e32 v137, 3, v140
	v_lshlrev_b32_e32 v139, 3, v139
	ds_write_b64 v39, v[17:18] offset:512
	ds_write_b64 v40, v[27:28] offset:512
	ds_write_b64 v136, v[23:24] offset:512
	ds_write_b64 v137, v[19:20] offset:512
	ds_write_b64 v139, v[15:16] offset:512
	v_lshlrev_b32_e32 v39, 3, v138
	v_lshlrev_b32_e32 v40, 3, v135
	v_lshlrev_b32_e32 v42, 3, v42
	v_lshlrev_b32_e32 v41, 3, v41
	v_lshlrev_b32_e32 v3, 3, v3
	ds_write_b64 v39, v[13:14] offset:512
	ds_write_b64 v40, v[11:12] offset:512
	ds_write_b64 v42, v[9:10] offset:512
	ds_write_b64 v41, v[7:8] offset:512
	ds_write_b64 v3, v[5:6] offset:512
	s_waitcnt lgkmcnt(0)
	s_barrier
	buffer_gl0_inv
	s_and_saveexec_b32 s40, s39
	s_cbranch_execnz .LBB297_291
; %bb.223:                              ;   in Loop: Header=BB297_100 Depth=2
	s_or_b32 exec_lo, exec_lo, s40
	s_and_saveexec_b32 s39, s38
	s_cbranch_execnz .LBB297_292
.LBB297_224:                            ;   in Loop: Header=BB297_100 Depth=2
	s_or_b32 exec_lo, exec_lo, s39
	s_and_saveexec_b32 s38, s37
	s_cbranch_execnz .LBB297_293
.LBB297_225:                            ;   in Loop: Header=BB297_100 Depth=2
	s_or_b32 exec_lo, exec_lo, s38
	s_and_saveexec_b32 s37, s36
	s_cbranch_execnz .LBB297_294
.LBB297_226:                            ;   in Loop: Header=BB297_100 Depth=2
	s_or_b32 exec_lo, exec_lo, s37
	s_and_saveexec_b32 s36, s35
	s_cbranch_execnz .LBB297_295
.LBB297_227:                            ;   in Loop: Header=BB297_100 Depth=2
	s_or_b32 exec_lo, exec_lo, s36
	s_and_saveexec_b32 s35, s34
	s_cbranch_execnz .LBB297_296
.LBB297_228:                            ;   in Loop: Header=BB297_100 Depth=2
	s_or_b32 exec_lo, exec_lo, s35
	s_and_saveexec_b32 s34, s33
	s_cbranch_execnz .LBB297_297
.LBB297_229:                            ;   in Loop: Header=BB297_100 Depth=2
	s_or_b32 exec_lo, exec_lo, s34
	s_and_saveexec_b32 s33, s31
	s_cbranch_execnz .LBB297_298
.LBB297_230:                            ;   in Loop: Header=BB297_100 Depth=2
	s_or_b32 exec_lo, exec_lo, s33
	s_and_saveexec_b32 s31, s30
	s_cbranch_execnz .LBB297_299
.LBB297_231:                            ;   in Loop: Header=BB297_100 Depth=2
	s_or_b32 exec_lo, exec_lo, s31
	s_and_saveexec_b32 s30, s29
	s_cbranch_execnz .LBB297_300
.LBB297_232:                            ;   in Loop: Header=BB297_100 Depth=2
	s_or_b32 exec_lo, exec_lo, s30
	s_and_saveexec_b32 s29, s27
	s_cbranch_execnz .LBB297_301
.LBB297_233:                            ;   in Loop: Header=BB297_100 Depth=2
	s_or_b32 exec_lo, exec_lo, s29
	s_and_saveexec_b32 s27, s26
	s_cbranch_execnz .LBB297_302
.LBB297_234:                            ;   in Loop: Header=BB297_100 Depth=2
	s_or_b32 exec_lo, exec_lo, s27
	s_and_saveexec_b32 s26, s25
	s_cbranch_execnz .LBB297_303
.LBB297_235:                            ;   in Loop: Header=BB297_100 Depth=2
	s_or_b32 exec_lo, exec_lo, s26
	s_and_saveexec_b32 s25, s24
	s_cbranch_execnz .LBB297_304
.LBB297_236:                            ;   in Loop: Header=BB297_100 Depth=2
	s_or_b32 exec_lo, exec_lo, s25
	s_and_saveexec_b32 s24, s23
	s_cbranch_execnz .LBB297_305
.LBB297_237:                            ;   in Loop: Header=BB297_100 Depth=2
	s_or_b32 exec_lo, exec_lo, s24
	s_and_saveexec_b32 s23, s22
	s_cbranch_execnz .LBB297_306
.LBB297_238:                            ;   in Loop: Header=BB297_100 Depth=2
	s_or_b32 exec_lo, exec_lo, s23
	s_and_saveexec_b32 s22, vcc_lo
	s_cbranch_execz .LBB297_240
.LBB297_239:                            ;   in Loop: Header=BB297_100 Depth=2
	v_lshlrev_b32_e32 v3, 2, v116
	v_add_nc_u32_e32 v39, v0, v75
	ds_read_b32 v3, v3
	ds_read_b64 v[39:40], v39 offset:33280
	s_waitcnt lgkmcnt(1)
	v_add_nc_u32_e32 v3, v3, v61
	v_lshlrev_b64 v[41:42], 3, v[3:4]
	v_add_co_u32 v41, vcc_lo, s52, v41
	v_add_co_ci_u32_e64 v42, null, s53, v42, vcc_lo
	s_waitcnt lgkmcnt(0)
	global_store_dwordx2 v[41:42], v[39:40], off
.LBB297_240:                            ;   in Loop: Header=BB297_100 Depth=2
	s_or_b32 exec_lo, exec_lo, s22
	s_waitcnt_vscnt null, 0x0
	s_barrier
	buffer_gl0_inv
	s_and_saveexec_b32 s22, s7
	s_cbranch_execz .LBB297_99
; %bb.241:                              ;   in Loop: Header=BB297_100 Depth=2
	ds_read_b32 v3, v43
	s_waitcnt lgkmcnt(0)
	v_add3_u32 v3, v133, v134, v3
	ds_write_b32 v43, v3
	s_branch .LBB297_99
.LBB297_242:                            ;   in Loop: Header=BB297_100 Depth=2
	ds_read_u8 v39, v0 offset:512
	s_waitcnt lgkmcnt(0)
	v_lshrrev_b32_sdwa v40, s61, v39 dst_sel:DWORD dst_unused:UNUSED_PAD src0_sel:DWORD src1_sel:BYTE_0
	v_xor_b32_e32 v39, 0x7f, v39
	v_and_b32_e32 v40, s62, v40
	v_lshlrev_b32_e32 v40, 2, v40
	ds_read_b32 v40, v40
	s_waitcnt lgkmcnt(0)
	v_add_nc_u32_e32 v40, v40, v0
	global_store_byte v40, v39, s[46:47]
	s_or_b32 exec_lo, exec_lo, s22
	v_cmp_lt_u32_e64 s38, v44, v136
	s_and_saveexec_b32 s22, s38
	s_cbranch_execz .LBB297_171
.LBB297_243:                            ;   in Loop: Header=BB297_100 Depth=2
	ds_read_u8 v39, v0 offset:768
	s_waitcnt lgkmcnt(0)
	v_lshrrev_b32_sdwa v40, s61, v39 dst_sel:DWORD dst_unused:UNUSED_PAD src0_sel:DWORD src1_sel:BYTE_0
	v_xor_b32_e32 v39, 0x7f, v39
	v_and_b32_e32 v40, s62, v40
	v_lshlrev_b32_e32 v40, 2, v40
	ds_read_b32 v40, v40
	s_waitcnt lgkmcnt(0)
	v_add_nc_u32_e32 v40, v40, v44
	global_store_byte v40, v39, s[46:47]
	s_or_b32 exec_lo, exec_lo, s22
	v_cmp_lt_u32_e64 s37, v47, v136
	s_and_saveexec_b32 s22, s37
	s_cbranch_execz .LBB297_172
.LBB297_244:                            ;   in Loop: Header=BB297_100 Depth=2
	ds_read_u8 v39, v0 offset:1024
	s_waitcnt lgkmcnt(0)
	v_lshrrev_b32_sdwa v40, s61, v39 dst_sel:DWORD dst_unused:UNUSED_PAD src0_sel:DWORD src1_sel:BYTE_0
	v_xor_b32_e32 v39, 0x7f, v39
	v_and_b32_e32 v40, s62, v40
	v_lshlrev_b32_e32 v40, 2, v40
	ds_read_b32 v40, v40
	s_waitcnt lgkmcnt(0)
	v_add_nc_u32_e32 v40, v40, v47
	global_store_byte v40, v39, s[46:47]
	s_or_b32 exec_lo, exec_lo, s22
	v_cmp_lt_u32_e64 s36, v48, v136
	s_and_saveexec_b32 s22, s36
	s_cbranch_execz .LBB297_173
.LBB297_245:                            ;   in Loop: Header=BB297_100 Depth=2
	ds_read_u8 v39, v0 offset:1280
	s_waitcnt lgkmcnt(0)
	v_lshrrev_b32_sdwa v40, s61, v39 dst_sel:DWORD dst_unused:UNUSED_PAD src0_sel:DWORD src1_sel:BYTE_0
	v_xor_b32_e32 v39, 0x7f, v39
	v_and_b32_e32 v40, s62, v40
	v_lshlrev_b32_e32 v40, 2, v40
	ds_read_b32 v40, v40
	s_waitcnt lgkmcnt(0)
	v_add_nc_u32_e32 v40, v40, v48
	global_store_byte v40, v39, s[46:47]
	s_or_b32 exec_lo, exec_lo, s22
	v_cmp_lt_u32_e64 s35, v49, v136
	s_and_saveexec_b32 s22, s35
	s_cbranch_execz .LBB297_174
.LBB297_246:                            ;   in Loop: Header=BB297_100 Depth=2
	ds_read_u8 v39, v0 offset:1536
	s_waitcnt lgkmcnt(0)
	v_lshrrev_b32_sdwa v40, s61, v39 dst_sel:DWORD dst_unused:UNUSED_PAD src0_sel:DWORD src1_sel:BYTE_0
	v_xor_b32_e32 v39, 0x7f, v39
	v_and_b32_e32 v40, s62, v40
	v_lshlrev_b32_e32 v40, 2, v40
	ds_read_b32 v40, v40
	s_waitcnt lgkmcnt(0)
	v_add_nc_u32_e32 v40, v40, v49
	global_store_byte v40, v39, s[46:47]
	s_or_b32 exec_lo, exec_lo, s22
	v_cmp_lt_u32_e64 s34, v50, v136
	s_and_saveexec_b32 s22, s34
	s_cbranch_execz .LBB297_175
.LBB297_247:                            ;   in Loop: Header=BB297_100 Depth=2
	ds_read_u8 v39, v0 offset:1792
	s_waitcnt lgkmcnt(0)
	v_lshrrev_b32_sdwa v40, s61, v39 dst_sel:DWORD dst_unused:UNUSED_PAD src0_sel:DWORD src1_sel:BYTE_0
	v_xor_b32_e32 v39, 0x7f, v39
	v_and_b32_e32 v40, s62, v40
	v_lshlrev_b32_e32 v40, 2, v40
	ds_read_b32 v40, v40
	s_waitcnt lgkmcnt(0)
	v_add_nc_u32_e32 v40, v40, v50
	global_store_byte v40, v39, s[46:47]
	s_or_b32 exec_lo, exec_lo, s22
	v_cmp_lt_u32_e64 s33, v51, v136
	s_and_saveexec_b32 s22, s33
	s_cbranch_execz .LBB297_176
.LBB297_248:                            ;   in Loop: Header=BB297_100 Depth=2
	ds_read_u8 v39, v0 offset:2048
	s_waitcnt lgkmcnt(0)
	v_lshrrev_b32_sdwa v40, s61, v39 dst_sel:DWORD dst_unused:UNUSED_PAD src0_sel:DWORD src1_sel:BYTE_0
	v_xor_b32_e32 v39, 0x7f, v39
	v_and_b32_e32 v40, s62, v40
	v_lshlrev_b32_e32 v40, 2, v40
	ds_read_b32 v40, v40
	s_waitcnt lgkmcnt(0)
	v_add_nc_u32_e32 v40, v40, v51
	global_store_byte v40, v39, s[46:47]
	s_or_b32 exec_lo, exec_lo, s22
	v_cmp_lt_u32_e64 s31, v52, v136
	s_and_saveexec_b32 s22, s31
	s_cbranch_execz .LBB297_177
.LBB297_249:                            ;   in Loop: Header=BB297_100 Depth=2
	ds_read_u8 v39, v0 offset:2304
	s_waitcnt lgkmcnt(0)
	v_lshrrev_b32_sdwa v40, s61, v39 dst_sel:DWORD dst_unused:UNUSED_PAD src0_sel:DWORD src1_sel:BYTE_0
	v_xor_b32_e32 v39, 0x7f, v39
	v_and_b32_e32 v40, s62, v40
	v_lshlrev_b32_e32 v40, 2, v40
	ds_read_b32 v40, v40
	s_waitcnt lgkmcnt(0)
	v_add_nc_u32_e32 v40, v40, v52
	global_store_byte v40, v39, s[46:47]
	s_or_b32 exec_lo, exec_lo, s22
	v_cmp_lt_u32_e64 s30, v53, v136
	s_and_saveexec_b32 s22, s30
	s_cbranch_execz .LBB297_178
.LBB297_250:                            ;   in Loop: Header=BB297_100 Depth=2
	ds_read_u8 v39, v0 offset:2560
	s_waitcnt lgkmcnt(0)
	v_lshrrev_b32_sdwa v40, s61, v39 dst_sel:DWORD dst_unused:UNUSED_PAD src0_sel:DWORD src1_sel:BYTE_0
	v_xor_b32_e32 v39, 0x7f, v39
	v_and_b32_e32 v40, s62, v40
	v_lshlrev_b32_e32 v40, 2, v40
	ds_read_b32 v40, v40
	s_waitcnt lgkmcnt(0)
	v_add_nc_u32_e32 v40, v40, v53
	global_store_byte v40, v39, s[46:47]
	s_or_b32 exec_lo, exec_lo, s22
	v_cmp_lt_u32_e64 s29, v54, v136
	s_and_saveexec_b32 s22, s29
	s_cbranch_execz .LBB297_179
.LBB297_251:                            ;   in Loop: Header=BB297_100 Depth=2
	ds_read_u8 v39, v0 offset:2816
	s_waitcnt lgkmcnt(0)
	v_lshrrev_b32_sdwa v40, s61, v39 dst_sel:DWORD dst_unused:UNUSED_PAD src0_sel:DWORD src1_sel:BYTE_0
	v_xor_b32_e32 v39, 0x7f, v39
	v_and_b32_e32 v40, s62, v40
	v_lshlrev_b32_e32 v40, 2, v40
	ds_read_b32 v40, v40
	s_waitcnt lgkmcnt(0)
	v_add_nc_u32_e32 v40, v40, v54
	global_store_byte v40, v39, s[46:47]
	s_or_b32 exec_lo, exec_lo, s22
	v_cmp_lt_u32_e64 s27, v55, v136
	s_and_saveexec_b32 s22, s27
	s_cbranch_execz .LBB297_180
.LBB297_252:                            ;   in Loop: Header=BB297_100 Depth=2
	ds_read_u8 v39, v0 offset:3072
	s_waitcnt lgkmcnt(0)
	v_lshrrev_b32_sdwa v40, s61, v39 dst_sel:DWORD dst_unused:UNUSED_PAD src0_sel:DWORD src1_sel:BYTE_0
	v_xor_b32_e32 v39, 0x7f, v39
	v_and_b32_e32 v40, s62, v40
	v_lshlrev_b32_e32 v40, 2, v40
	ds_read_b32 v40, v40
	s_waitcnt lgkmcnt(0)
	v_add_nc_u32_e32 v40, v40, v55
	global_store_byte v40, v39, s[46:47]
	s_or_b32 exec_lo, exec_lo, s22
	v_cmp_lt_u32_e64 s26, v56, v136
	s_and_saveexec_b32 s22, s26
	s_cbranch_execz .LBB297_181
.LBB297_253:                            ;   in Loop: Header=BB297_100 Depth=2
	ds_read_u8 v39, v0 offset:3328
	s_waitcnt lgkmcnt(0)
	v_lshrrev_b32_sdwa v40, s61, v39 dst_sel:DWORD dst_unused:UNUSED_PAD src0_sel:DWORD src1_sel:BYTE_0
	v_xor_b32_e32 v39, 0x7f, v39
	v_and_b32_e32 v40, s62, v40
	v_lshlrev_b32_e32 v40, 2, v40
	ds_read_b32 v40, v40
	s_waitcnt lgkmcnt(0)
	v_add_nc_u32_e32 v40, v40, v56
	global_store_byte v40, v39, s[46:47]
	s_or_b32 exec_lo, exec_lo, s22
	v_cmp_lt_u32_e64 s25, v57, v136
	s_and_saveexec_b32 s22, s25
	s_cbranch_execz .LBB297_182
.LBB297_254:                            ;   in Loop: Header=BB297_100 Depth=2
	ds_read_u8 v39, v0 offset:3584
	s_waitcnt lgkmcnt(0)
	v_lshrrev_b32_sdwa v40, s61, v39 dst_sel:DWORD dst_unused:UNUSED_PAD src0_sel:DWORD src1_sel:BYTE_0
	v_xor_b32_e32 v39, 0x7f, v39
	v_and_b32_e32 v40, s62, v40
	v_lshlrev_b32_e32 v40, 2, v40
	ds_read_b32 v40, v40
	s_waitcnt lgkmcnt(0)
	v_add_nc_u32_e32 v40, v40, v57
	global_store_byte v40, v39, s[46:47]
	s_or_b32 exec_lo, exec_lo, s22
	v_cmp_lt_u32_e64 s24, v58, v136
	s_and_saveexec_b32 s22, s24
	s_cbranch_execz .LBB297_183
.LBB297_255:                            ;   in Loop: Header=BB297_100 Depth=2
	ds_read_u8 v39, v0 offset:3840
	s_waitcnt lgkmcnt(0)
	v_lshrrev_b32_sdwa v40, s61, v39 dst_sel:DWORD dst_unused:UNUSED_PAD src0_sel:DWORD src1_sel:BYTE_0
	v_xor_b32_e32 v39, 0x7f, v39
	v_and_b32_e32 v40, s62, v40
	v_lshlrev_b32_e32 v40, 2, v40
	ds_read_b32 v40, v40
	s_waitcnt lgkmcnt(0)
	v_add_nc_u32_e32 v40, v40, v58
	global_store_byte v40, v39, s[46:47]
	s_or_b32 exec_lo, exec_lo, s22
	v_cmp_lt_u32_e64 s23, v59, v136
	s_and_saveexec_b32 s22, s23
	s_cbranch_execz .LBB297_184
.LBB297_256:                            ;   in Loop: Header=BB297_100 Depth=2
	ds_read_u8 v39, v0 offset:4096
	s_waitcnt lgkmcnt(0)
	v_lshrrev_b32_sdwa v40, s61, v39 dst_sel:DWORD dst_unused:UNUSED_PAD src0_sel:DWORD src1_sel:BYTE_0
	v_xor_b32_e32 v39, 0x7f, v39
	v_and_b32_e32 v40, s62, v40
	v_lshlrev_b32_e32 v40, 2, v40
	ds_read_b32 v40, v40
	s_waitcnt lgkmcnt(0)
	v_add_nc_u32_e32 v40, v40, v59
	global_store_byte v40, v39, s[46:47]
	s_or_b32 exec_lo, exec_lo, s22
	v_cmp_lt_u32_e64 s22, v60, v136
	s_and_saveexec_b32 s40, s22
	s_cbranch_execz .LBB297_185
.LBB297_257:                            ;   in Loop: Header=BB297_100 Depth=2
	ds_read_u8 v39, v0 offset:4352
	s_waitcnt lgkmcnt(0)
	v_lshrrev_b32_sdwa v40, s61, v39 dst_sel:DWORD dst_unused:UNUSED_PAD src0_sel:DWORD src1_sel:BYTE_0
	v_xor_b32_e32 v39, 0x7f, v39
	v_and_b32_e32 v40, s62, v40
	v_lshlrev_b32_e32 v40, 2, v40
	ds_read_b32 v40, v40
	s_waitcnt lgkmcnt(0)
	v_add_nc_u32_e32 v40, v40, v60
	global_store_byte v40, v39, s[46:47]
	s_or_b32 exec_lo, exec_lo, s40
	v_cmp_lt_u32_e32 vcc_lo, v61, v136
	s_and_saveexec_b32 s40, vcc_lo
	s_cbranch_execnz .LBB297_186
	s_branch .LBB297_187
.LBB297_258:                            ;   in Loop: Header=BB297_100 Depth=2
	global_load_dwordx2 v[37:38], v[39:40], off
	s_or_b32 exec_lo, exec_lo, s40
	s_mov_b32 s50, exec_lo
	v_cmpx_lt_u32_e64 v98, v136
	s_cbranch_execz .LBB297_189
.LBB297_259:                            ;   in Loop: Header=BB297_100 Depth=2
	global_load_dwordx2 v[35:36], v[39:40], off offset:256
	s_or_b32 exec_lo, exec_lo, s50
	s_mov_b32 s50, exec_lo
	v_cmpx_lt_u32_e64 v99, v136
	s_cbranch_execz .LBB297_190
.LBB297_260:                            ;   in Loop: Header=BB297_100 Depth=2
	global_load_dwordx2 v[33:34], v[39:40], off offset:512
	s_or_b32 exec_lo, exec_lo, s50
	s_mov_b32 s50, exec_lo
	v_cmpx_lt_u32_e64 v100, v136
	s_cbranch_execz .LBB297_191
.LBB297_261:                            ;   in Loop: Header=BB297_100 Depth=2
	global_load_dwordx2 v[31:32], v[39:40], off offset:768
	s_or_b32 exec_lo, exec_lo, s50
	s_mov_b32 s50, exec_lo
	v_cmpx_lt_u32_e64 v101, v136
	s_cbranch_execz .LBB297_192
.LBB297_262:                            ;   in Loop: Header=BB297_100 Depth=2
	global_load_dwordx2 v[29:30], v[39:40], off offset:1024
	s_or_b32 exec_lo, exec_lo, s50
	s_mov_b32 s50, exec_lo
	v_cmpx_lt_u32_e64 v102, v136
	s_cbranch_execz .LBB297_193
.LBB297_263:                            ;   in Loop: Header=BB297_100 Depth=2
	global_load_dwordx2 v[25:26], v[39:40], off offset:1280
	s_or_b32 exec_lo, exec_lo, s50
	s_mov_b32 s50, exec_lo
	v_cmpx_lt_u32_e64 v103, v136
	s_cbranch_execz .LBB297_194
.LBB297_264:                            ;   in Loop: Header=BB297_100 Depth=2
	global_load_dwordx2 v[21:22], v[39:40], off offset:1536
	s_or_b32 exec_lo, exec_lo, s50
	s_mov_b32 s50, exec_lo
	v_cmpx_lt_u32_e64 v104, v136
	s_cbranch_execz .LBB297_195
.LBB297_265:                            ;   in Loop: Header=BB297_100 Depth=2
	global_load_dwordx2 v[17:18], v[39:40], off offset:1792
	s_or_b32 exec_lo, exec_lo, s50
	s_mov_b32 s50, exec_lo
	v_cmpx_lt_u32_e64 v105, v136
	s_cbranch_execz .LBB297_196
.LBB297_266:                            ;   in Loop: Header=BB297_100 Depth=2
	v_add_co_u32 v27, s40, 0x800, v39
	v_add_co_ci_u32_e64 v28, null, 0, v40, s40
	global_load_dwordx2 v[27:28], v[27:28], off
	s_or_b32 exec_lo, exec_lo, s50
	s_mov_b32 s50, exec_lo
	v_cmpx_lt_u32_e64 v106, v136
	s_cbranch_execz .LBB297_197
.LBB297_267:                            ;   in Loop: Header=BB297_100 Depth=2
	v_add_co_u32 v23, s40, 0x800, v39
	v_add_co_ci_u32_e64 v24, null, 0, v40, s40
	global_load_dwordx2 v[23:24], v[23:24], off offset:256
	s_or_b32 exec_lo, exec_lo, s50
	s_mov_b32 s50, exec_lo
	v_cmpx_lt_u32_e64 v107, v136
	s_cbranch_execz .LBB297_198
.LBB297_268:                            ;   in Loop: Header=BB297_100 Depth=2
	v_add_co_u32 v19, s40, 0x800, v39
	v_add_co_ci_u32_e64 v20, null, 0, v40, s40
	global_load_dwordx2 v[19:20], v[19:20], off offset:512
	s_or_b32 exec_lo, exec_lo, s50
	s_mov_b32 s50, exec_lo
	v_cmpx_lt_u32_e64 v108, v136
	s_cbranch_execz .LBB297_199
.LBB297_269:                            ;   in Loop: Header=BB297_100 Depth=2
	v_add_co_u32 v15, s40, 0x800, v39
	v_add_co_ci_u32_e64 v16, null, 0, v40, s40
	global_load_dwordx2 v[15:16], v[15:16], off offset:768
	s_or_b32 exec_lo, exec_lo, s50
	s_mov_b32 s50, exec_lo
	v_cmpx_lt_u32_e64 v109, v136
	s_cbranch_execz .LBB297_200
.LBB297_270:                            ;   in Loop: Header=BB297_100 Depth=2
	v_add_co_u32 v13, s40, 0x800, v39
	v_add_co_ci_u32_e64 v14, null, 0, v40, s40
	global_load_dwordx2 v[13:14], v[13:14], off offset:1024
	s_or_b32 exec_lo, exec_lo, s50
	s_mov_b32 s50, exec_lo
	v_cmpx_lt_u32_e64 v110, v136
	s_cbranch_execz .LBB297_201
.LBB297_271:                            ;   in Loop: Header=BB297_100 Depth=2
	v_add_co_u32 v11, s40, 0x800, v39
	v_add_co_ci_u32_e64 v12, null, 0, v40, s40
	global_load_dwordx2 v[11:12], v[11:12], off offset:1280
	s_or_b32 exec_lo, exec_lo, s50
	s_mov_b32 s50, exec_lo
	v_cmpx_lt_u32_e64 v111, v136
	s_cbranch_execz .LBB297_202
.LBB297_272:                            ;   in Loop: Header=BB297_100 Depth=2
	v_add_co_u32 v9, s40, 0x800, v39
	v_add_co_ci_u32_e64 v10, null, 0, v40, s40
	global_load_dwordx2 v[9:10], v[9:10], off offset:1536
	s_or_b32 exec_lo, exec_lo, s50
	s_mov_b32 s50, exec_lo
	v_cmpx_lt_u32_e64 v112, v136
	s_cbranch_execz .LBB297_203
.LBB297_273:                            ;   in Loop: Header=BB297_100 Depth=2
	v_add_co_u32 v7, s40, 0x800, v39
	v_add_co_ci_u32_e64 v8, null, 0, v40, s40
	global_load_dwordx2 v[7:8], v[7:8], off offset:1792
	s_or_b32 exec_lo, exec_lo, s50
	s_mov_b32 s50, exec_lo
	v_cmpx_lt_u32_e64 v113, v136
	s_cbranch_execz .LBB297_204
.LBB297_274:                            ;   in Loop: Header=BB297_100 Depth=2
	v_add_co_u32 v5, s40, 0x1000, v39
	v_add_co_ci_u32_e64 v6, null, 0, v40, s40
	global_load_dwordx2 v[5:6], v[5:6], off
	s_or_b32 exec_lo, exec_lo, s50
	s_and_saveexec_b32 s40, s39
	s_cbranch_execz .LBB297_205
.LBB297_275:                            ;   in Loop: Header=BB297_100 Depth=2
	ds_read_u8 v39, v0 offset:512
	s_waitcnt lgkmcnt(0)
	v_lshrrev_b32_e32 v39, s61, v39
	v_and_b32_e32 v132, s62, v39
	s_or_b32 exec_lo, exec_lo, s40
	s_and_saveexec_b32 s40, s38
	s_cbranch_execz .LBB297_206
.LBB297_276:                            ;   in Loop: Header=BB297_100 Depth=2
	ds_read_u8 v39, v0 offset:768
	s_waitcnt lgkmcnt(0)
	v_lshrrev_b32_e32 v39, s61, v39
	v_and_b32_e32 v131, s62, v39
	s_or_b32 exec_lo, exec_lo, s40
	s_and_saveexec_b32 s40, s37
	s_cbranch_execz .LBB297_207
.LBB297_277:                            ;   in Loop: Header=BB297_100 Depth=2
	ds_read_u8 v39, v0 offset:1024
	s_waitcnt lgkmcnt(0)
	v_lshrrev_b32_e32 v39, s61, v39
	v_and_b32_e32 v130, s62, v39
	s_or_b32 exec_lo, exec_lo, s40
	s_and_saveexec_b32 s40, s36
	s_cbranch_execz .LBB297_208
.LBB297_278:                            ;   in Loop: Header=BB297_100 Depth=2
	ds_read_u8 v39, v0 offset:1280
	s_waitcnt lgkmcnt(0)
	v_lshrrev_b32_e32 v39, s61, v39
	v_and_b32_e32 v129, s62, v39
	s_or_b32 exec_lo, exec_lo, s40
	s_and_saveexec_b32 s40, s35
	s_cbranch_execz .LBB297_209
.LBB297_279:                            ;   in Loop: Header=BB297_100 Depth=2
	ds_read_u8 v39, v0 offset:1536
	s_waitcnt lgkmcnt(0)
	v_lshrrev_b32_e32 v39, s61, v39
	v_and_b32_e32 v128, s62, v39
	s_or_b32 exec_lo, exec_lo, s40
	s_and_saveexec_b32 s40, s34
	s_cbranch_execz .LBB297_210
.LBB297_280:                            ;   in Loop: Header=BB297_100 Depth=2
	ds_read_u8 v39, v0 offset:1792
	s_waitcnt lgkmcnt(0)
	v_lshrrev_b32_e32 v39, s61, v39
	v_and_b32_e32 v127, s62, v39
	s_or_b32 exec_lo, exec_lo, s40
	s_and_saveexec_b32 s40, s33
	s_cbranch_execz .LBB297_211
.LBB297_281:                            ;   in Loop: Header=BB297_100 Depth=2
	ds_read_u8 v39, v0 offset:2048
	s_waitcnt lgkmcnt(0)
	v_lshrrev_b32_e32 v39, s61, v39
	v_and_b32_e32 v126, s62, v39
	s_or_b32 exec_lo, exec_lo, s40
	s_and_saveexec_b32 s40, s31
	s_cbranch_execz .LBB297_212
.LBB297_282:                            ;   in Loop: Header=BB297_100 Depth=2
	ds_read_u8 v39, v0 offset:2304
	s_waitcnt lgkmcnt(0)
	v_lshrrev_b32_e32 v39, s61, v39
	v_and_b32_e32 v125, s62, v39
	s_or_b32 exec_lo, exec_lo, s40
	s_and_saveexec_b32 s40, s30
	s_cbranch_execz .LBB297_213
.LBB297_283:                            ;   in Loop: Header=BB297_100 Depth=2
	ds_read_u8 v39, v0 offset:2560
	s_waitcnt lgkmcnt(0)
	v_lshrrev_b32_e32 v39, s61, v39
	v_and_b32_e32 v124, s62, v39
	s_or_b32 exec_lo, exec_lo, s40
	s_and_saveexec_b32 s40, s29
	s_cbranch_execz .LBB297_214
.LBB297_284:                            ;   in Loop: Header=BB297_100 Depth=2
	ds_read_u8 v39, v0 offset:2816
	s_waitcnt lgkmcnt(0)
	v_lshrrev_b32_e32 v39, s61, v39
	v_and_b32_e32 v123, s62, v39
	s_or_b32 exec_lo, exec_lo, s40
	s_and_saveexec_b32 s40, s27
	s_cbranch_execz .LBB297_215
.LBB297_285:                            ;   in Loop: Header=BB297_100 Depth=2
	ds_read_u8 v39, v0 offset:3072
	s_waitcnt lgkmcnt(0)
	v_lshrrev_b32_e32 v39, s61, v39
	v_and_b32_e32 v122, s62, v39
	s_or_b32 exec_lo, exec_lo, s40
	s_and_saveexec_b32 s40, s26
	s_cbranch_execz .LBB297_216
.LBB297_286:                            ;   in Loop: Header=BB297_100 Depth=2
	ds_read_u8 v39, v0 offset:3328
	s_waitcnt lgkmcnt(0)
	v_lshrrev_b32_e32 v39, s61, v39
	v_and_b32_e32 v121, s62, v39
	s_or_b32 exec_lo, exec_lo, s40
	s_and_saveexec_b32 s40, s25
	s_cbranch_execz .LBB297_217
.LBB297_287:                            ;   in Loop: Header=BB297_100 Depth=2
	ds_read_u8 v39, v0 offset:3584
	s_waitcnt lgkmcnt(0)
	v_lshrrev_b32_e32 v39, s61, v39
	v_and_b32_e32 v120, s62, v39
	s_or_b32 exec_lo, exec_lo, s40
	s_and_saveexec_b32 s40, s24
	s_cbranch_execz .LBB297_218
.LBB297_288:                            ;   in Loop: Header=BB297_100 Depth=2
	ds_read_u8 v39, v0 offset:3840
	s_waitcnt lgkmcnt(0)
	v_lshrrev_b32_e32 v39, s61, v39
	v_and_b32_e32 v119, s62, v39
	s_or_b32 exec_lo, exec_lo, s40
	s_and_saveexec_b32 s40, s23
	s_cbranch_execz .LBB297_219
.LBB297_289:                            ;   in Loop: Header=BB297_100 Depth=2
	ds_read_u8 v39, v0 offset:4096
	s_waitcnt lgkmcnt(0)
	v_lshrrev_b32_e32 v39, s61, v39
	v_and_b32_e32 v118, s62, v39
	s_or_b32 exec_lo, exec_lo, s40
	s_and_saveexec_b32 s40, s22
	s_cbranch_execz .LBB297_220
.LBB297_290:                            ;   in Loop: Header=BB297_100 Depth=2
	ds_read_u8 v39, v0 offset:4352
	s_waitcnt lgkmcnt(0)
	v_lshrrev_b32_e32 v39, s61, v39
	v_and_b32_e32 v117, s62, v39
	s_or_b32 exec_lo, exec_lo, s40
	s_and_saveexec_b32 s40, vcc_lo
	s_cbranch_execnz .LBB297_221
	s_branch .LBB297_222
.LBB297_291:                            ;   in Loop: Header=BB297_100 Depth=2
	v_lshlrev_b32_e32 v3, 2, v132
	v_add_nc_u32_e32 v39, v0, v75
	ds_read_b32 v3, v3
	ds_read_b64 v[39:40], v39 offset:512
	s_waitcnt lgkmcnt(1)
	v_add_nc_u32_e32 v3, v3, v0
	v_lshlrev_b64 v[41:42], 3, v[3:4]
	v_add_co_u32 v41, s39, s52, v41
	v_add_co_ci_u32_e64 v42, null, s53, v42, s39
	s_waitcnt lgkmcnt(0)
	global_store_dwordx2 v[41:42], v[39:40], off
	s_or_b32 exec_lo, exec_lo, s40
	s_and_saveexec_b32 s39, s38
	s_cbranch_execz .LBB297_224
.LBB297_292:                            ;   in Loop: Header=BB297_100 Depth=2
	v_lshlrev_b32_e32 v3, 2, v131
	v_add_nc_u32_e32 v39, v0, v75
	ds_read_b32 v3, v3
	ds_read_b64 v[39:40], v39 offset:2560
	s_waitcnt lgkmcnt(1)
	v_add_nc_u32_e32 v3, v3, v44
	v_lshlrev_b64 v[41:42], 3, v[3:4]
	v_add_co_u32 v41, s38, s52, v41
	v_add_co_ci_u32_e64 v42, null, s53, v42, s38
	s_waitcnt lgkmcnt(0)
	global_store_dwordx2 v[41:42], v[39:40], off
	s_or_b32 exec_lo, exec_lo, s39
	s_and_saveexec_b32 s38, s37
	s_cbranch_execz .LBB297_225
.LBB297_293:                            ;   in Loop: Header=BB297_100 Depth=2
	v_lshlrev_b32_e32 v3, 2, v130
	v_add_nc_u32_e32 v39, v0, v75
	ds_read_b32 v3, v3
	ds_read_b64 v[39:40], v39 offset:4608
	s_waitcnt lgkmcnt(1)
	v_add_nc_u32_e32 v3, v3, v47
	v_lshlrev_b64 v[41:42], 3, v[3:4]
	v_add_co_u32 v41, s37, s52, v41
	v_add_co_ci_u32_e64 v42, null, s53, v42, s37
	s_waitcnt lgkmcnt(0)
	global_store_dwordx2 v[41:42], v[39:40], off
	s_or_b32 exec_lo, exec_lo, s38
	s_and_saveexec_b32 s37, s36
	s_cbranch_execz .LBB297_226
.LBB297_294:                            ;   in Loop: Header=BB297_100 Depth=2
	v_lshlrev_b32_e32 v3, 2, v129
	v_add_nc_u32_e32 v39, v0, v75
	ds_read_b32 v3, v3
	ds_read_b64 v[39:40], v39 offset:6656
	s_waitcnt lgkmcnt(1)
	v_add_nc_u32_e32 v3, v3, v48
	v_lshlrev_b64 v[41:42], 3, v[3:4]
	v_add_co_u32 v41, s36, s52, v41
	v_add_co_ci_u32_e64 v42, null, s53, v42, s36
	s_waitcnt lgkmcnt(0)
	global_store_dwordx2 v[41:42], v[39:40], off
	s_or_b32 exec_lo, exec_lo, s37
	s_and_saveexec_b32 s36, s35
	s_cbranch_execz .LBB297_227
.LBB297_295:                            ;   in Loop: Header=BB297_100 Depth=2
	v_lshlrev_b32_e32 v3, 2, v128
	v_add_nc_u32_e32 v39, v0, v75
	ds_read_b32 v3, v3
	ds_read_b64 v[39:40], v39 offset:8704
	s_waitcnt lgkmcnt(1)
	v_add_nc_u32_e32 v3, v3, v49
	v_lshlrev_b64 v[41:42], 3, v[3:4]
	v_add_co_u32 v41, s35, s52, v41
	v_add_co_ci_u32_e64 v42, null, s53, v42, s35
	s_waitcnt lgkmcnt(0)
	global_store_dwordx2 v[41:42], v[39:40], off
	s_or_b32 exec_lo, exec_lo, s36
	s_and_saveexec_b32 s35, s34
	s_cbranch_execz .LBB297_228
.LBB297_296:                            ;   in Loop: Header=BB297_100 Depth=2
	v_lshlrev_b32_e32 v3, 2, v127
	v_add_nc_u32_e32 v39, v0, v75
	ds_read_b32 v3, v3
	ds_read_b64 v[39:40], v39 offset:10752
	s_waitcnt lgkmcnt(1)
	v_add_nc_u32_e32 v3, v3, v50
	v_lshlrev_b64 v[41:42], 3, v[3:4]
	v_add_co_u32 v41, s34, s52, v41
	v_add_co_ci_u32_e64 v42, null, s53, v42, s34
	s_waitcnt lgkmcnt(0)
	global_store_dwordx2 v[41:42], v[39:40], off
	s_or_b32 exec_lo, exec_lo, s35
	s_and_saveexec_b32 s34, s33
	s_cbranch_execz .LBB297_229
.LBB297_297:                            ;   in Loop: Header=BB297_100 Depth=2
	v_lshlrev_b32_e32 v3, 2, v126
	v_add_nc_u32_e32 v39, v0, v75
	ds_read_b32 v3, v3
	ds_read_b64 v[39:40], v39 offset:12800
	s_waitcnt lgkmcnt(1)
	v_add_nc_u32_e32 v3, v3, v51
	v_lshlrev_b64 v[41:42], 3, v[3:4]
	v_add_co_u32 v41, s33, s52, v41
	v_add_co_ci_u32_e64 v42, null, s53, v42, s33
	s_waitcnt lgkmcnt(0)
	global_store_dwordx2 v[41:42], v[39:40], off
	s_or_b32 exec_lo, exec_lo, s34
	s_and_saveexec_b32 s33, s31
	s_cbranch_execz .LBB297_230
.LBB297_298:                            ;   in Loop: Header=BB297_100 Depth=2
	v_lshlrev_b32_e32 v3, 2, v125
	v_add_nc_u32_e32 v39, v0, v75
	ds_read_b32 v3, v3
	ds_read_b64 v[39:40], v39 offset:14848
	s_waitcnt lgkmcnt(1)
	v_add_nc_u32_e32 v3, v3, v52
	v_lshlrev_b64 v[41:42], 3, v[3:4]
	v_add_co_u32 v41, s31, s52, v41
	v_add_co_ci_u32_e64 v42, null, s53, v42, s31
	s_waitcnt lgkmcnt(0)
	global_store_dwordx2 v[41:42], v[39:40], off
	s_or_b32 exec_lo, exec_lo, s33
	s_and_saveexec_b32 s31, s30
	s_cbranch_execz .LBB297_231
.LBB297_299:                            ;   in Loop: Header=BB297_100 Depth=2
	v_lshlrev_b32_e32 v3, 2, v124
	v_add_nc_u32_e32 v39, v0, v75
	ds_read_b32 v3, v3
	ds_read_b64 v[39:40], v39 offset:16896
	s_waitcnt lgkmcnt(1)
	v_add_nc_u32_e32 v3, v3, v53
	v_lshlrev_b64 v[41:42], 3, v[3:4]
	v_add_co_u32 v41, s30, s52, v41
	v_add_co_ci_u32_e64 v42, null, s53, v42, s30
	s_waitcnt lgkmcnt(0)
	global_store_dwordx2 v[41:42], v[39:40], off
	s_or_b32 exec_lo, exec_lo, s31
	s_and_saveexec_b32 s30, s29
	s_cbranch_execz .LBB297_232
.LBB297_300:                            ;   in Loop: Header=BB297_100 Depth=2
	v_lshlrev_b32_e32 v3, 2, v123
	v_add_nc_u32_e32 v39, v0, v75
	ds_read_b32 v3, v3
	ds_read_b64 v[39:40], v39 offset:18944
	s_waitcnt lgkmcnt(1)
	v_add_nc_u32_e32 v3, v3, v54
	v_lshlrev_b64 v[41:42], 3, v[3:4]
	v_add_co_u32 v41, s29, s52, v41
	v_add_co_ci_u32_e64 v42, null, s53, v42, s29
	s_waitcnt lgkmcnt(0)
	global_store_dwordx2 v[41:42], v[39:40], off
	s_or_b32 exec_lo, exec_lo, s30
	s_and_saveexec_b32 s29, s27
	s_cbranch_execz .LBB297_233
.LBB297_301:                            ;   in Loop: Header=BB297_100 Depth=2
	v_lshlrev_b32_e32 v3, 2, v122
	v_add_nc_u32_e32 v39, v0, v75
	ds_read_b32 v3, v3
	ds_read_b64 v[39:40], v39 offset:20992
	s_waitcnt lgkmcnt(1)
	v_add_nc_u32_e32 v3, v3, v55
	v_lshlrev_b64 v[41:42], 3, v[3:4]
	v_add_co_u32 v41, s27, s52, v41
	v_add_co_ci_u32_e64 v42, null, s53, v42, s27
	s_waitcnt lgkmcnt(0)
	global_store_dwordx2 v[41:42], v[39:40], off
	s_or_b32 exec_lo, exec_lo, s29
	s_and_saveexec_b32 s27, s26
	s_cbranch_execz .LBB297_234
.LBB297_302:                            ;   in Loop: Header=BB297_100 Depth=2
	v_lshlrev_b32_e32 v3, 2, v121
	v_add_nc_u32_e32 v39, v0, v75
	ds_read_b32 v3, v3
	ds_read_b64 v[39:40], v39 offset:23040
	s_waitcnt lgkmcnt(1)
	v_add_nc_u32_e32 v3, v3, v56
	v_lshlrev_b64 v[41:42], 3, v[3:4]
	v_add_co_u32 v41, s26, s52, v41
	v_add_co_ci_u32_e64 v42, null, s53, v42, s26
	s_waitcnt lgkmcnt(0)
	global_store_dwordx2 v[41:42], v[39:40], off
	s_or_b32 exec_lo, exec_lo, s27
	s_and_saveexec_b32 s26, s25
	s_cbranch_execz .LBB297_235
.LBB297_303:                            ;   in Loop: Header=BB297_100 Depth=2
	v_lshlrev_b32_e32 v3, 2, v120
	v_add_nc_u32_e32 v39, v0, v75
	ds_read_b32 v3, v3
	ds_read_b64 v[39:40], v39 offset:25088
	s_waitcnt lgkmcnt(1)
	v_add_nc_u32_e32 v3, v3, v57
	v_lshlrev_b64 v[41:42], 3, v[3:4]
	v_add_co_u32 v41, s25, s52, v41
	v_add_co_ci_u32_e64 v42, null, s53, v42, s25
	s_waitcnt lgkmcnt(0)
	global_store_dwordx2 v[41:42], v[39:40], off
	s_or_b32 exec_lo, exec_lo, s26
	s_and_saveexec_b32 s25, s24
	s_cbranch_execz .LBB297_236
.LBB297_304:                            ;   in Loop: Header=BB297_100 Depth=2
	v_lshlrev_b32_e32 v3, 2, v119
	v_add_nc_u32_e32 v39, v0, v75
	ds_read_b32 v3, v3
	ds_read_b64 v[39:40], v39 offset:27136
	s_waitcnt lgkmcnt(1)
	v_add_nc_u32_e32 v3, v3, v58
	v_lshlrev_b64 v[41:42], 3, v[3:4]
	v_add_co_u32 v41, s24, s52, v41
	v_add_co_ci_u32_e64 v42, null, s53, v42, s24
	s_waitcnt lgkmcnt(0)
	global_store_dwordx2 v[41:42], v[39:40], off
	s_or_b32 exec_lo, exec_lo, s25
	s_and_saveexec_b32 s24, s23
	s_cbranch_execz .LBB297_237
.LBB297_305:                            ;   in Loop: Header=BB297_100 Depth=2
	v_lshlrev_b32_e32 v3, 2, v118
	v_add_nc_u32_e32 v39, v0, v75
	ds_read_b32 v3, v3
	ds_read_b64 v[39:40], v39 offset:29184
	s_waitcnt lgkmcnt(1)
	v_add_nc_u32_e32 v3, v3, v59
	v_lshlrev_b64 v[41:42], 3, v[3:4]
	v_add_co_u32 v41, s23, s52, v41
	v_add_co_ci_u32_e64 v42, null, s53, v42, s23
	s_waitcnt lgkmcnt(0)
	global_store_dwordx2 v[41:42], v[39:40], off
	s_or_b32 exec_lo, exec_lo, s24
	s_and_saveexec_b32 s23, s22
	s_cbranch_execz .LBB297_238
.LBB297_306:                            ;   in Loop: Header=BB297_100 Depth=2
	v_lshlrev_b32_e32 v3, 2, v117
	v_add_nc_u32_e32 v39, v0, v75
	ds_read_b32 v3, v3
	ds_read_b64 v[39:40], v39 offset:31232
	s_waitcnt lgkmcnt(1)
	v_add_nc_u32_e32 v3, v3, v60
	v_lshlrev_b64 v[41:42], 3, v[3:4]
	v_add_co_u32 v41, s22, s52, v41
	v_add_co_ci_u32_e64 v42, null, s53, v42, s22
	s_waitcnt lgkmcnt(0)
	global_store_dwordx2 v[41:42], v[39:40], off
	s_or_b32 exec_lo, exec_lo, s23
	s_and_saveexec_b32 s22, vcc_lo
	s_cbranch_execnz .LBB297_239
	s_branch .LBB297_240
.LBB297_307:                            ;   in Loop: Header=BB297_100 Depth=2
	global_load_ubyte v144, v[39:40], off
	v_mov_b32_e32 v115, 0x80
	v_mov_b32_e32 v145, 0x80
	;; [unrolled: 1-line block ×16, first 2 shown]
	s_or_b32 exec_lo, exec_lo, s22
	s_mov_b32 s22, exec_lo
	v_cmpx_gt_u32_e64 s63, v98
	s_cbranch_execz .LBB297_105
.LBB297_308:                            ;   in Loop: Header=BB297_100 Depth=2
	global_load_ubyte v145, v[39:40], off offset:32
	s_or_b32 exec_lo, exec_lo, s22
	s_mov_b32 s22, exec_lo
	v_cmpx_gt_u32_e64 s63, v99
	s_cbranch_execz .LBB297_106
.LBB297_309:                            ;   in Loop: Header=BB297_100 Depth=2
	global_load_ubyte v146, v[39:40], off offset:64
	s_or_b32 exec_lo, exec_lo, s22
	s_mov_b32 s22, exec_lo
	v_cmpx_gt_u32_e64 s63, v100
	s_cbranch_execz .LBB297_107
.LBB297_310:                            ;   in Loop: Header=BB297_100 Depth=2
	global_load_ubyte v149, v[39:40], off offset:96
	s_or_b32 exec_lo, exec_lo, s22
	s_mov_b32 s22, exec_lo
	v_cmpx_gt_u32_e64 s63, v101
	s_cbranch_execz .LBB297_108
.LBB297_311:                            ;   in Loop: Header=BB297_100 Depth=2
	global_load_ubyte v148, v[39:40], off offset:128
	s_or_b32 exec_lo, exec_lo, s22
	s_mov_b32 s22, exec_lo
	v_cmpx_gt_u32_e64 s63, v102
	s_cbranch_execz .LBB297_109
.LBB297_312:                            ;   in Loop: Header=BB297_100 Depth=2
	global_load_ubyte v141, v[39:40], off offset:160
	s_or_b32 exec_lo, exec_lo, s22
	s_mov_b32 s22, exec_lo
	v_cmpx_gt_u32_e64 s63, v103
	s_cbranch_execz .LBB297_110
.LBB297_313:                            ;   in Loop: Header=BB297_100 Depth=2
	global_load_ubyte v142, v[39:40], off offset:192
	s_or_b32 exec_lo, exec_lo, s22
	s_mov_b32 s22, exec_lo
	v_cmpx_gt_u32_e64 s63, v104
	s_cbranch_execz .LBB297_111
.LBB297_314:                            ;   in Loop: Header=BB297_100 Depth=2
	global_load_ubyte v143, v[39:40], off offset:224
	s_or_b32 exec_lo, exec_lo, s22
	s_mov_b32 s22, exec_lo
	v_cmpx_gt_u32_e64 s63, v105
	s_cbranch_execz .LBB297_112
.LBB297_315:                            ;   in Loop: Header=BB297_100 Depth=2
	global_load_ubyte v140, v[39:40], off offset:256
	s_or_b32 exec_lo, exec_lo, s22
	s_mov_b32 s22, exec_lo
	v_cmpx_gt_u32_e64 s63, v106
	s_cbranch_execz .LBB297_113
.LBB297_316:                            ;   in Loop: Header=BB297_100 Depth=2
	global_load_ubyte v137, v[39:40], off offset:288
	s_or_b32 exec_lo, exec_lo, s22
	s_mov_b32 s22, exec_lo
	v_cmpx_gt_u32_e64 s63, v107
	s_cbranch_execz .LBB297_114
.LBB297_317:                            ;   in Loop: Header=BB297_100 Depth=2
	global_load_ubyte v138, v[39:40], off offset:320
	s_or_b32 exec_lo, exec_lo, s22
	s_mov_b32 s22, exec_lo
	v_cmpx_gt_u32_e64 s63, v108
	s_cbranch_execz .LBB297_115
.LBB297_318:                            ;   in Loop: Header=BB297_100 Depth=2
	global_load_ubyte v139, v[39:40], off offset:352
	s_or_b32 exec_lo, exec_lo, s22
	s_mov_b32 s22, exec_lo
	v_cmpx_gt_u32_e64 s63, v109
	s_cbranch_execz .LBB297_116
.LBB297_319:                            ;   in Loop: Header=BB297_100 Depth=2
	global_load_ubyte v135, v[39:40], off offset:384
	s_or_b32 exec_lo, exec_lo, s22
	s_mov_b32 s22, exec_lo
	v_cmpx_gt_u32_e64 s63, v110
	s_cbranch_execz .LBB297_117
.LBB297_320:                            ;   in Loop: Header=BB297_100 Depth=2
	global_load_ubyte v3, v[39:40], off offset:416
	s_or_b32 exec_lo, exec_lo, s22
	s_mov_b32 s22, exec_lo
	v_cmpx_gt_u32_e64 s63, v111
	s_cbranch_execz .LBB297_118
.LBB297_321:                            ;   in Loop: Header=BB297_100 Depth=2
	global_load_ubyte v41, v[39:40], off offset:448
	s_or_b32 exec_lo, exec_lo, s22
	s_mov_b32 s22, exec_lo
	v_cmpx_gt_u32_e64 s63, v112
	s_cbranch_execnz .LBB297_119
	s_branch .LBB297_120
.LBB297_322:                            ;   in Loop: Header=BB297_12 Depth=1
	s_waitcnt lgkmcnt(0)
	s_mov_b32 s5, 0
	s_barrier
.LBB297_323:                            ;   in Loop: Header=BB297_12 Depth=1
	s_and_b32 vcc_lo, exec_lo, s5
	s_cbranch_vccz .LBB297_633
; %bb.324:                              ;   in Loop: Header=BB297_12 Depth=1
	v_mov_b32_e32 v17, 0
	v_mov_b32_e32 v20, 0
	;; [unrolled: 1-line block ×17, first 2 shown]
	s_mov_b32 s5, s60
	s_mov_b32 s16, s58
	s_barrier
	buffer_gl0_inv
	s_branch .LBB297_326
.LBB297_325:                            ;   in Loop: Header=BB297_326 Depth=2
	s_or_b32 exec_lo, exec_lo, s15
	s_addk_i32 s5, 0xef00
	s_cmp_ge_u32 s14, s59
	s_mov_b32 s16, s14
	s_cbranch_scc1 .LBB297_398
.LBB297_326:                            ;   Parent Loop BB297_12 Depth=1
                                        ; =>  This Inner Loop Header: Depth=2
	s_add_i32 s14, s16, 0x1100
	s_mov_b32 s15, -1
	s_cmp_gt_u32 s14, s59
                                        ; implicit-def: $vgpr21
                                        ; implicit-def: $vgpr22
                                        ; implicit-def: $vgpr23
                                        ; implicit-def: $vgpr24
                                        ; implicit-def: $vgpr25
                                        ; implicit-def: $vgpr26
                                        ; implicit-def: $vgpr27
                                        ; implicit-def: $vgpr28
                                        ; implicit-def: $vgpr29
                                        ; implicit-def: $vgpr30
                                        ; implicit-def: $vgpr31
                                        ; implicit-def: $vgpr32
                                        ; implicit-def: $vgpr33
                                        ; implicit-def: $vgpr34
                                        ; implicit-def: $vgpr35
                                        ; implicit-def: $vgpr36
                                        ; implicit-def: $vgpr37
	s_cbranch_scc1 .LBB297_328
; %bb.327:                              ;   in Loop: Header=BB297_326 Depth=2
	v_add_co_u32 v38, vcc_lo, v76, s16
	v_add_co_ci_u32_e64 v39, null, 0, v77, vcc_lo
	s_mov_b32 s15, 0
	v_add_co_u32 v21, vcc_lo, 0x800, v38
	v_add_co_ci_u32_e64 v22, null, 0, v39, vcc_lo
	v_add_co_u32 v23, vcc_lo, 0x1000, v38
	v_add_co_ci_u32_e64 v24, null, 0, v39, vcc_lo
	s_clause 0x10
	global_load_ubyte v36, v[21:22], off offset:1792
	global_load_ubyte v37, v[23:24], off
	global_load_ubyte v35, v[21:22], off offset:1536
	global_load_ubyte v34, v[21:22], off offset:1280
	;; [unrolled: 1-line block ×6, first 2 shown]
	global_load_ubyte v29, v[21:22], off
	global_load_ubyte v28, v[38:39], off offset:1792
	global_load_ubyte v27, v[38:39], off offset:1536
	global_load_ubyte v26, v[38:39], off offset:1280
	global_load_ubyte v25, v[38:39], off offset:1024
	global_load_ubyte v24, v[38:39], off offset:768
	global_load_ubyte v23, v[38:39], off offset:512
	global_load_ubyte v22, v[38:39], off offset:256
	global_load_ubyte v21, v[38:39], off
.LBB297_328:                            ;   in Loop: Header=BB297_326 Depth=2
	s_andn2_b32 vcc_lo, exec_lo, s15
	s_movk_i32 s15, 0x1100
	s_cbranch_vccnz .LBB297_348
; %bb.329:                              ;   in Loop: Header=BB297_326 Depth=2
	s_add_u32 s15, s46, s16
	s_addc_u32 s16, s47, 0
	s_mov_b32 s17, exec_lo
	v_cmpx_gt_u32_e64 s5, v0
	s_cbranch_execnz .LBB297_382
; %bb.330:                              ;   in Loop: Header=BB297_326 Depth=2
	s_or_b32 exec_lo, exec_lo, s17
	s_mov_b32 s17, exec_lo
	v_cmpx_gt_u32_e64 s5, v44
	s_cbranch_execnz .LBB297_383
.LBB297_331:                            ;   in Loop: Header=BB297_326 Depth=2
	s_or_b32 exec_lo, exec_lo, s17
	s_mov_b32 s17, exec_lo
	v_cmpx_gt_u32_e64 s5, v47
	s_cbranch_execnz .LBB297_384
.LBB297_332:                            ;   in Loop: Header=BB297_326 Depth=2
	s_or_b32 exec_lo, exec_lo, s17
	s_mov_b32 s17, exec_lo
	v_cmpx_gt_u32_e64 s5, v48
	s_cbranch_execnz .LBB297_385
.LBB297_333:                            ;   in Loop: Header=BB297_326 Depth=2
	s_or_b32 exec_lo, exec_lo, s17
	s_mov_b32 s17, exec_lo
	v_cmpx_gt_u32_e64 s5, v49
	s_cbranch_execnz .LBB297_386
.LBB297_334:                            ;   in Loop: Header=BB297_326 Depth=2
	s_or_b32 exec_lo, exec_lo, s17
	s_mov_b32 s17, exec_lo
	v_cmpx_gt_u32_e64 s5, v50
	s_cbranch_execnz .LBB297_387
.LBB297_335:                            ;   in Loop: Header=BB297_326 Depth=2
	s_or_b32 exec_lo, exec_lo, s17
	s_mov_b32 s17, exec_lo
	v_cmpx_gt_u32_e64 s5, v51
	s_cbranch_execnz .LBB297_388
.LBB297_336:                            ;   in Loop: Header=BB297_326 Depth=2
	s_or_b32 exec_lo, exec_lo, s17
	s_mov_b32 s17, exec_lo
	v_cmpx_gt_u32_e64 s5, v52
	s_cbranch_execnz .LBB297_389
.LBB297_337:                            ;   in Loop: Header=BB297_326 Depth=2
	s_or_b32 exec_lo, exec_lo, s17
	s_mov_b32 s17, exec_lo
	v_cmpx_gt_u32_e64 s5, v53
	s_cbranch_execnz .LBB297_390
.LBB297_338:                            ;   in Loop: Header=BB297_326 Depth=2
	s_or_b32 exec_lo, exec_lo, s17
	s_mov_b32 s17, exec_lo
	v_cmpx_gt_u32_e64 s5, v54
	s_cbranch_execnz .LBB297_391
.LBB297_339:                            ;   in Loop: Header=BB297_326 Depth=2
	s_or_b32 exec_lo, exec_lo, s17
	s_mov_b32 s17, exec_lo
	v_cmpx_gt_u32_e64 s5, v55
	s_cbranch_execnz .LBB297_392
.LBB297_340:                            ;   in Loop: Header=BB297_326 Depth=2
	s_or_b32 exec_lo, exec_lo, s17
	s_mov_b32 s17, exec_lo
	v_cmpx_gt_u32_e64 s5, v56
	s_cbranch_execnz .LBB297_393
.LBB297_341:                            ;   in Loop: Header=BB297_326 Depth=2
	s_or_b32 exec_lo, exec_lo, s17
	s_mov_b32 s17, exec_lo
	v_cmpx_gt_u32_e64 s5, v57
	s_cbranch_execnz .LBB297_394
.LBB297_342:                            ;   in Loop: Header=BB297_326 Depth=2
	s_or_b32 exec_lo, exec_lo, s17
	s_mov_b32 s17, exec_lo
	v_cmpx_gt_u32_e64 s5, v58
	s_cbranch_execnz .LBB297_395
.LBB297_343:                            ;   in Loop: Header=BB297_326 Depth=2
	s_or_b32 exec_lo, exec_lo, s17
	s_mov_b32 s17, exec_lo
	v_cmpx_gt_u32_e64 s5, v59
	s_cbranch_execnz .LBB297_396
.LBB297_344:                            ;   in Loop: Header=BB297_326 Depth=2
	s_or_b32 exec_lo, exec_lo, s17
	s_mov_b32 s17, exec_lo
	v_cmpx_gt_u32_e64 s5, v60
	s_cbranch_execnz .LBB297_397
.LBB297_345:                            ;   in Loop: Header=BB297_326 Depth=2
	s_or_b32 exec_lo, exec_lo, s17
	s_mov_b32 s17, exec_lo
	v_cmpx_gt_u32_e64 s5, v61
	s_cbranch_execz .LBB297_347
.LBB297_346:                            ;   in Loop: Header=BB297_326 Depth=2
	s_waitcnt vmcnt(0)
	v_add_co_u32 v21, s15, s15, v61
	v_add_co_ci_u32_e64 v22, null, s16, 0, s15
	global_load_ubyte v3, v[21:22], off
.LBB297_347:                            ;   in Loop: Header=BB297_326 Depth=2
	s_or_b32 exec_lo, exec_lo, s17
	s_waitcnt vmcnt(0)
	v_mov_b32_e32 v21, v17
	v_mov_b32_e32 v22, v20
	;; [unrolled: 1-line block ×17, first 2 shown]
	s_mov_b32 s15, s5
.LBB297_348:                            ;   in Loop: Header=BB297_326 Depth=2
	s_waitcnt vmcnt(15)
	v_mov_b32_e32 v3, v37
	v_mov_b32_e32 v5, v36
	s_waitcnt vmcnt(14)
	v_mov_b32_e32 v6, v35
	s_waitcnt vmcnt(13)
	;; [unrolled: 2-line block ×15, first 2 shown]
	v_mov_b32_e32 v17, v21
	s_mov_b32 s16, exec_lo
	v_cmpx_gt_u32_e64 s15, v0
	s_cbranch_execnz .LBB297_365
; %bb.349:                              ;   in Loop: Header=BB297_326 Depth=2
	s_or_b32 exec_lo, exec_lo, s16
	s_mov_b32 s16, exec_lo
	v_cmpx_gt_u32_e64 s15, v44
	s_cbranch_execnz .LBB297_366
.LBB297_350:                            ;   in Loop: Header=BB297_326 Depth=2
	s_or_b32 exec_lo, exec_lo, s16
	s_mov_b32 s16, exec_lo
	v_cmpx_gt_u32_e64 s15, v47
	s_cbranch_execnz .LBB297_367
.LBB297_351:                            ;   in Loop: Header=BB297_326 Depth=2
	s_or_b32 exec_lo, exec_lo, s16
	s_mov_b32 s16, exec_lo
	v_cmpx_gt_u32_e64 s15, v48
	s_cbranch_execnz .LBB297_368
.LBB297_352:                            ;   in Loop: Header=BB297_326 Depth=2
	s_or_b32 exec_lo, exec_lo, s16
	s_mov_b32 s16, exec_lo
	v_cmpx_gt_u32_e64 s15, v49
	s_cbranch_execnz .LBB297_369
.LBB297_353:                            ;   in Loop: Header=BB297_326 Depth=2
	s_or_b32 exec_lo, exec_lo, s16
	s_mov_b32 s16, exec_lo
	v_cmpx_gt_u32_e64 s15, v50
	s_cbranch_execnz .LBB297_370
.LBB297_354:                            ;   in Loop: Header=BB297_326 Depth=2
	s_or_b32 exec_lo, exec_lo, s16
	s_mov_b32 s16, exec_lo
	v_cmpx_gt_u32_e64 s15, v51
	s_cbranch_execnz .LBB297_371
.LBB297_355:                            ;   in Loop: Header=BB297_326 Depth=2
	s_or_b32 exec_lo, exec_lo, s16
	s_mov_b32 s16, exec_lo
	v_cmpx_gt_u32_e64 s15, v52
	s_cbranch_execnz .LBB297_372
.LBB297_356:                            ;   in Loop: Header=BB297_326 Depth=2
	s_or_b32 exec_lo, exec_lo, s16
	s_mov_b32 s16, exec_lo
	v_cmpx_gt_u32_e64 s15, v53
	s_cbranch_execnz .LBB297_373
.LBB297_357:                            ;   in Loop: Header=BB297_326 Depth=2
	s_or_b32 exec_lo, exec_lo, s16
	s_mov_b32 s16, exec_lo
	v_cmpx_gt_u32_e64 s15, v54
	s_cbranch_execnz .LBB297_374
.LBB297_358:                            ;   in Loop: Header=BB297_326 Depth=2
	s_or_b32 exec_lo, exec_lo, s16
	s_mov_b32 s16, exec_lo
	v_cmpx_gt_u32_e64 s15, v55
	s_cbranch_execnz .LBB297_375
.LBB297_359:                            ;   in Loop: Header=BB297_326 Depth=2
	s_or_b32 exec_lo, exec_lo, s16
	s_mov_b32 s16, exec_lo
	v_cmpx_gt_u32_e64 s15, v56
	s_cbranch_execnz .LBB297_376
.LBB297_360:                            ;   in Loop: Header=BB297_326 Depth=2
	s_or_b32 exec_lo, exec_lo, s16
	s_mov_b32 s16, exec_lo
	v_cmpx_gt_u32_e64 s15, v57
	s_cbranch_execnz .LBB297_377
.LBB297_361:                            ;   in Loop: Header=BB297_326 Depth=2
	s_or_b32 exec_lo, exec_lo, s16
	s_mov_b32 s16, exec_lo
	v_cmpx_gt_u32_e64 s15, v58
	s_cbranch_execnz .LBB297_378
.LBB297_362:                            ;   in Loop: Header=BB297_326 Depth=2
	s_or_b32 exec_lo, exec_lo, s16
	s_mov_b32 s16, exec_lo
	v_cmpx_gt_u32_e64 s15, v59
	s_cbranch_execnz .LBB297_379
.LBB297_363:                            ;   in Loop: Header=BB297_326 Depth=2
	s_or_b32 exec_lo, exec_lo, s16
	s_mov_b32 s16, exec_lo
	v_cmpx_gt_u32_e64 s15, v60
	s_cbranch_execnz .LBB297_380
.LBB297_364:                            ;   in Loop: Header=BB297_326 Depth=2
	s_or_b32 exec_lo, exec_lo, s16
	v_cmp_gt_u32_e32 vcc_lo, s15, v61
	s_and_saveexec_b32 s15, vcc_lo
	s_cbranch_execz .LBB297_325
	s_branch .LBB297_381
.LBB297_365:                            ;   in Loop: Header=BB297_326 Depth=2
	v_xor_b32_e32 v21, 0x7f, v17
	v_lshrrev_b32_sdwa v21, s61, v21 dst_sel:DWORD dst_unused:UNUSED_PAD src0_sel:DWORD src1_sel:BYTE_0
	v_and_b32_e32 v21, s62, v21
	v_lshl_or_b32 v21, v21, 4, v63
	ds_add_u32 v21, v89
	s_or_b32 exec_lo, exec_lo, s16
	s_mov_b32 s16, exec_lo
	v_cmpx_gt_u32_e64 s15, v44
	s_cbranch_execz .LBB297_350
.LBB297_366:                            ;   in Loop: Header=BB297_326 Depth=2
	v_xor_b32_e32 v21, 0x7f, v20
	v_lshrrev_b32_sdwa v21, s61, v21 dst_sel:DWORD dst_unused:UNUSED_PAD src0_sel:DWORD src1_sel:BYTE_0
	v_and_b32_e32 v21, s62, v21
	v_lshl_or_b32 v21, v21, 4, v63
	ds_add_u32 v21, v89
	s_or_b32 exec_lo, exec_lo, s16
	s_mov_b32 s16, exec_lo
	v_cmpx_gt_u32_e64 s15, v47
	s_cbranch_execz .LBB297_351
.LBB297_367:                            ;   in Loop: Header=BB297_326 Depth=2
	v_xor_b32_e32 v21, 0x7f, v19
	v_lshrrev_b32_sdwa v21, s61, v21 dst_sel:DWORD dst_unused:UNUSED_PAD src0_sel:DWORD src1_sel:BYTE_0
	v_and_b32_e32 v21, s62, v21
	v_lshl_or_b32 v21, v21, 4, v63
	ds_add_u32 v21, v89
	s_or_b32 exec_lo, exec_lo, s16
	s_mov_b32 s16, exec_lo
	v_cmpx_gt_u32_e64 s15, v48
	s_cbranch_execz .LBB297_352
.LBB297_368:                            ;   in Loop: Header=BB297_326 Depth=2
	v_xor_b32_e32 v21, 0x7f, v18
	v_lshrrev_b32_sdwa v21, s61, v21 dst_sel:DWORD dst_unused:UNUSED_PAD src0_sel:DWORD src1_sel:BYTE_0
	v_and_b32_e32 v21, s62, v21
	v_lshl_or_b32 v21, v21, 4, v63
	ds_add_u32 v21, v89
	s_or_b32 exec_lo, exec_lo, s16
	s_mov_b32 s16, exec_lo
	v_cmpx_gt_u32_e64 s15, v49
	s_cbranch_execz .LBB297_353
.LBB297_369:                            ;   in Loop: Header=BB297_326 Depth=2
	v_xor_b32_e32 v21, 0x7f, v16
	v_lshrrev_b32_sdwa v21, s61, v21 dst_sel:DWORD dst_unused:UNUSED_PAD src0_sel:DWORD src1_sel:BYTE_0
	v_and_b32_e32 v21, s62, v21
	v_lshl_or_b32 v21, v21, 4, v63
	ds_add_u32 v21, v89
	s_or_b32 exec_lo, exec_lo, s16
	s_mov_b32 s16, exec_lo
	v_cmpx_gt_u32_e64 s15, v50
	s_cbranch_execz .LBB297_354
.LBB297_370:                            ;   in Loop: Header=BB297_326 Depth=2
	v_xor_b32_e32 v21, 0x7f, v15
	v_lshrrev_b32_sdwa v21, s61, v21 dst_sel:DWORD dst_unused:UNUSED_PAD src0_sel:DWORD src1_sel:BYTE_0
	v_and_b32_e32 v21, s62, v21
	v_lshl_or_b32 v21, v21, 4, v63
	ds_add_u32 v21, v89
	s_or_b32 exec_lo, exec_lo, s16
	s_mov_b32 s16, exec_lo
	v_cmpx_gt_u32_e64 s15, v51
	s_cbranch_execz .LBB297_355
.LBB297_371:                            ;   in Loop: Header=BB297_326 Depth=2
	v_xor_b32_e32 v21, 0x7f, v14
	v_lshrrev_b32_sdwa v21, s61, v21 dst_sel:DWORD dst_unused:UNUSED_PAD src0_sel:DWORD src1_sel:BYTE_0
	v_and_b32_e32 v21, s62, v21
	v_lshl_or_b32 v21, v21, 4, v63
	ds_add_u32 v21, v89
	s_or_b32 exec_lo, exec_lo, s16
	s_mov_b32 s16, exec_lo
	v_cmpx_gt_u32_e64 s15, v52
	s_cbranch_execz .LBB297_356
.LBB297_372:                            ;   in Loop: Header=BB297_326 Depth=2
	v_xor_b32_e32 v21, 0x7f, v13
	v_lshrrev_b32_sdwa v21, s61, v21 dst_sel:DWORD dst_unused:UNUSED_PAD src0_sel:DWORD src1_sel:BYTE_0
	v_and_b32_e32 v21, s62, v21
	v_lshl_or_b32 v21, v21, 4, v63
	ds_add_u32 v21, v89
	s_or_b32 exec_lo, exec_lo, s16
	s_mov_b32 s16, exec_lo
	v_cmpx_gt_u32_e64 s15, v53
	s_cbranch_execz .LBB297_357
.LBB297_373:                            ;   in Loop: Header=BB297_326 Depth=2
	v_xor_b32_e32 v21, 0x7f, v12
	v_lshrrev_b32_sdwa v21, s61, v21 dst_sel:DWORD dst_unused:UNUSED_PAD src0_sel:DWORD src1_sel:BYTE_0
	v_and_b32_e32 v21, s62, v21
	v_lshl_or_b32 v21, v21, 4, v63
	ds_add_u32 v21, v89
	s_or_b32 exec_lo, exec_lo, s16
	s_mov_b32 s16, exec_lo
	v_cmpx_gt_u32_e64 s15, v54
	s_cbranch_execz .LBB297_358
.LBB297_374:                            ;   in Loop: Header=BB297_326 Depth=2
	v_xor_b32_e32 v21, 0x7f, v11
	v_lshrrev_b32_sdwa v21, s61, v21 dst_sel:DWORD dst_unused:UNUSED_PAD src0_sel:DWORD src1_sel:BYTE_0
	v_and_b32_e32 v21, s62, v21
	v_lshl_or_b32 v21, v21, 4, v63
	ds_add_u32 v21, v89
	s_or_b32 exec_lo, exec_lo, s16
	s_mov_b32 s16, exec_lo
	v_cmpx_gt_u32_e64 s15, v55
	s_cbranch_execz .LBB297_359
.LBB297_375:                            ;   in Loop: Header=BB297_326 Depth=2
	v_xor_b32_e32 v21, 0x7f, v10
	v_lshrrev_b32_sdwa v21, s61, v21 dst_sel:DWORD dst_unused:UNUSED_PAD src0_sel:DWORD src1_sel:BYTE_0
	v_and_b32_e32 v21, s62, v21
	v_lshl_or_b32 v21, v21, 4, v63
	ds_add_u32 v21, v89
	s_or_b32 exec_lo, exec_lo, s16
	s_mov_b32 s16, exec_lo
	v_cmpx_gt_u32_e64 s15, v56
	s_cbranch_execz .LBB297_360
.LBB297_376:                            ;   in Loop: Header=BB297_326 Depth=2
	v_xor_b32_e32 v21, 0x7f, v9
	v_lshrrev_b32_sdwa v21, s61, v21 dst_sel:DWORD dst_unused:UNUSED_PAD src0_sel:DWORD src1_sel:BYTE_0
	v_and_b32_e32 v21, s62, v21
	v_lshl_or_b32 v21, v21, 4, v63
	ds_add_u32 v21, v89
	s_or_b32 exec_lo, exec_lo, s16
	s_mov_b32 s16, exec_lo
	v_cmpx_gt_u32_e64 s15, v57
	s_cbranch_execz .LBB297_361
.LBB297_377:                            ;   in Loop: Header=BB297_326 Depth=2
	v_xor_b32_e32 v21, 0x7f, v8
	v_lshrrev_b32_sdwa v21, s61, v21 dst_sel:DWORD dst_unused:UNUSED_PAD src0_sel:DWORD src1_sel:BYTE_0
	v_and_b32_e32 v21, s62, v21
	v_lshl_or_b32 v21, v21, 4, v63
	ds_add_u32 v21, v89
	s_or_b32 exec_lo, exec_lo, s16
	s_mov_b32 s16, exec_lo
	v_cmpx_gt_u32_e64 s15, v58
	s_cbranch_execz .LBB297_362
.LBB297_378:                            ;   in Loop: Header=BB297_326 Depth=2
	v_xor_b32_e32 v21, 0x7f, v7
	v_lshrrev_b32_sdwa v21, s61, v21 dst_sel:DWORD dst_unused:UNUSED_PAD src0_sel:DWORD src1_sel:BYTE_0
	v_and_b32_e32 v21, s62, v21
	v_lshl_or_b32 v21, v21, 4, v63
	ds_add_u32 v21, v89
	s_or_b32 exec_lo, exec_lo, s16
	s_mov_b32 s16, exec_lo
	v_cmpx_gt_u32_e64 s15, v59
	s_cbranch_execz .LBB297_363
.LBB297_379:                            ;   in Loop: Header=BB297_326 Depth=2
	v_xor_b32_e32 v21, 0x7f, v6
	v_lshrrev_b32_sdwa v21, s61, v21 dst_sel:DWORD dst_unused:UNUSED_PAD src0_sel:DWORD src1_sel:BYTE_0
	v_and_b32_e32 v21, s62, v21
	v_lshl_or_b32 v21, v21, 4, v63
	ds_add_u32 v21, v89
	s_or_b32 exec_lo, exec_lo, s16
	s_mov_b32 s16, exec_lo
	v_cmpx_gt_u32_e64 s15, v60
	s_cbranch_execz .LBB297_364
.LBB297_380:                            ;   in Loop: Header=BB297_326 Depth=2
	v_xor_b32_e32 v21, 0x7f, v5
	v_lshrrev_b32_sdwa v21, s61, v21 dst_sel:DWORD dst_unused:UNUSED_PAD src0_sel:DWORD src1_sel:BYTE_0
	v_and_b32_e32 v21, s62, v21
	v_lshl_or_b32 v21, v21, 4, v63
	ds_add_u32 v21, v89
	s_or_b32 exec_lo, exec_lo, s16
	v_cmp_gt_u32_e32 vcc_lo, s15, v61
	s_and_saveexec_b32 s15, vcc_lo
	s_cbranch_execz .LBB297_325
.LBB297_381:                            ;   in Loop: Header=BB297_326 Depth=2
	v_xor_b32_e32 v21, 0x7f, v3
	v_lshrrev_b32_sdwa v21, s61, v21 dst_sel:DWORD dst_unused:UNUSED_PAD src0_sel:DWORD src1_sel:BYTE_0
	v_and_b32_e32 v21, s62, v21
	v_lshl_or_b32 v21, v21, 4, v63
	ds_add_u32 v21, v89
	s_branch .LBB297_325
.LBB297_382:                            ;   in Loop: Header=BB297_326 Depth=2
	s_waitcnt vmcnt(0)
	v_add_co_u32 v21, s18, s15, v0
	v_add_co_ci_u32_e64 v22, null, s16, 0, s18
	global_load_ubyte v17, v[21:22], off
	s_or_b32 exec_lo, exec_lo, s17
	s_mov_b32 s17, exec_lo
	v_cmpx_gt_u32_e64 s5, v44
	s_cbranch_execz .LBB297_331
.LBB297_383:                            ;   in Loop: Header=BB297_326 Depth=2
	v_add_co_u32 v20, s18, s15, v0
	s_waitcnt vmcnt(0)
	v_add_co_ci_u32_e64 v21, null, s16, 0, s18
	global_load_ubyte v20, v[20:21], off offset:256
	s_or_b32 exec_lo, exec_lo, s17
	s_mov_b32 s17, exec_lo
	v_cmpx_gt_u32_e64 s5, v47
	s_cbranch_execz .LBB297_332
.LBB297_384:                            ;   in Loop: Header=BB297_326 Depth=2
	s_waitcnt vmcnt(0)
	v_add_co_u32 v21, s18, s15, v0
	v_add_co_ci_u32_e64 v22, null, s16, 0, s18
	global_load_ubyte v19, v[21:22], off offset:512
	s_or_b32 exec_lo, exec_lo, s17
	s_mov_b32 s17, exec_lo
	v_cmpx_gt_u32_e64 s5, v48
	s_cbranch_execz .LBB297_333
.LBB297_385:                            ;   in Loop: Header=BB297_326 Depth=2
	s_waitcnt vmcnt(0)
	v_add_co_u32 v21, s18, s15, v0
	v_add_co_ci_u32_e64 v22, null, s16, 0, s18
	global_load_ubyte v18, v[21:22], off offset:768
	s_or_b32 exec_lo, exec_lo, s17
	s_mov_b32 s17, exec_lo
	v_cmpx_gt_u32_e64 s5, v49
	s_cbranch_execz .LBB297_334
.LBB297_386:                            ;   in Loop: Header=BB297_326 Depth=2
	s_waitcnt vmcnt(0)
	v_add_co_u32 v21, s18, s15, v0
	v_add_co_ci_u32_e64 v22, null, s16, 0, s18
	global_load_ubyte v16, v[21:22], off offset:1024
	s_or_b32 exec_lo, exec_lo, s17
	s_mov_b32 s17, exec_lo
	v_cmpx_gt_u32_e64 s5, v50
	s_cbranch_execz .LBB297_335
.LBB297_387:                            ;   in Loop: Header=BB297_326 Depth=2
	s_waitcnt vmcnt(0)
	v_add_co_u32 v21, s18, s15, v0
	v_add_co_ci_u32_e64 v22, null, s16, 0, s18
	global_load_ubyte v15, v[21:22], off offset:1280
	s_or_b32 exec_lo, exec_lo, s17
	s_mov_b32 s17, exec_lo
	v_cmpx_gt_u32_e64 s5, v51
	s_cbranch_execz .LBB297_336
.LBB297_388:                            ;   in Loop: Header=BB297_326 Depth=2
	s_waitcnt vmcnt(0)
	v_add_co_u32 v21, s18, s15, v0
	v_add_co_ci_u32_e64 v22, null, s16, 0, s18
	global_load_ubyte v14, v[21:22], off offset:1536
	s_or_b32 exec_lo, exec_lo, s17
	s_mov_b32 s17, exec_lo
	v_cmpx_gt_u32_e64 s5, v52
	s_cbranch_execz .LBB297_337
.LBB297_389:                            ;   in Loop: Header=BB297_326 Depth=2
	s_waitcnt vmcnt(0)
	v_add_co_u32 v21, s18, s15, v0
	v_add_co_ci_u32_e64 v22, null, s16, 0, s18
	global_load_ubyte v13, v[21:22], off offset:1792
	s_or_b32 exec_lo, exec_lo, s17
	s_mov_b32 s17, exec_lo
	v_cmpx_gt_u32_e64 s5, v53
	s_cbranch_execz .LBB297_338
.LBB297_390:                            ;   in Loop: Header=BB297_326 Depth=2
	s_waitcnt vmcnt(0)
	v_add_co_u32 v21, s18, s15, v53
	v_add_co_ci_u32_e64 v22, null, s16, 0, s18
	global_load_ubyte v12, v[21:22], off
	s_or_b32 exec_lo, exec_lo, s17
	s_mov_b32 s17, exec_lo
	v_cmpx_gt_u32_e64 s5, v54
	s_cbranch_execz .LBB297_339
.LBB297_391:                            ;   in Loop: Header=BB297_326 Depth=2
	s_waitcnt vmcnt(0)
	v_add_co_u32 v21, s18, s15, v54
	v_add_co_ci_u32_e64 v22, null, s16, 0, s18
	global_load_ubyte v11, v[21:22], off
	s_or_b32 exec_lo, exec_lo, s17
	s_mov_b32 s17, exec_lo
	v_cmpx_gt_u32_e64 s5, v55
	s_cbranch_execz .LBB297_340
.LBB297_392:                            ;   in Loop: Header=BB297_326 Depth=2
	s_waitcnt vmcnt(0)
	v_add_co_u32 v21, s18, s15, v55
	v_add_co_ci_u32_e64 v22, null, s16, 0, s18
	global_load_ubyte v10, v[21:22], off
	s_or_b32 exec_lo, exec_lo, s17
	s_mov_b32 s17, exec_lo
	v_cmpx_gt_u32_e64 s5, v56
	s_cbranch_execz .LBB297_341
.LBB297_393:                            ;   in Loop: Header=BB297_326 Depth=2
	s_waitcnt vmcnt(0)
	v_add_co_u32 v21, s18, s15, v56
	v_add_co_ci_u32_e64 v22, null, s16, 0, s18
	global_load_ubyte v9, v[21:22], off
	s_or_b32 exec_lo, exec_lo, s17
	s_mov_b32 s17, exec_lo
	v_cmpx_gt_u32_e64 s5, v57
	s_cbranch_execz .LBB297_342
.LBB297_394:                            ;   in Loop: Header=BB297_326 Depth=2
	s_waitcnt vmcnt(0)
	v_add_co_u32 v21, s18, s15, v57
	v_add_co_ci_u32_e64 v22, null, s16, 0, s18
	global_load_ubyte v8, v[21:22], off
	s_or_b32 exec_lo, exec_lo, s17
	s_mov_b32 s17, exec_lo
	v_cmpx_gt_u32_e64 s5, v58
	s_cbranch_execz .LBB297_343
.LBB297_395:                            ;   in Loop: Header=BB297_326 Depth=2
	s_waitcnt vmcnt(0)
	v_add_co_u32 v21, s18, s15, v58
	v_add_co_ci_u32_e64 v22, null, s16, 0, s18
	global_load_ubyte v7, v[21:22], off
	s_or_b32 exec_lo, exec_lo, s17
	s_mov_b32 s17, exec_lo
	v_cmpx_gt_u32_e64 s5, v59
	s_cbranch_execz .LBB297_344
.LBB297_396:                            ;   in Loop: Header=BB297_326 Depth=2
	s_waitcnt vmcnt(0)
	v_add_co_u32 v21, s18, s15, v59
	v_add_co_ci_u32_e64 v22, null, s16, 0, s18
	global_load_ubyte v6, v[21:22], off
	s_or_b32 exec_lo, exec_lo, s17
	s_mov_b32 s17, exec_lo
	v_cmpx_gt_u32_e64 s5, v60
	s_cbranch_execz .LBB297_345
.LBB297_397:                            ;   in Loop: Header=BB297_326 Depth=2
	s_waitcnt vmcnt(0)
	v_add_co_u32 v21, s18, s15, v60
	v_add_co_ci_u32_e64 v22, null, s16, 0, s18
	global_load_ubyte v5, v[21:22], off
	s_or_b32 exec_lo, exec_lo, s17
	s_mov_b32 s17, exec_lo
	v_cmpx_gt_u32_e64 s5, v61
	s_cbranch_execnz .LBB297_346
	s_branch .LBB297_347
.LBB297_398:                            ;   in Loop: Header=BB297_12 Depth=1
	v_mov_b32_e32 v3, 0
	s_waitcnt lgkmcnt(0)
	s_barrier
	buffer_gl0_inv
	s_and_saveexec_b32 s5, s7
	s_cbranch_execz .LBB297_400
; %bb.399:                              ;   in Loop: Header=BB297_12 Depth=1
	ds_read2_b64 v[5:8], v64 offset1:1
	s_waitcnt lgkmcnt(0)
	v_add_nc_u32_e32 v3, v6, v5
	v_add3_u32 v3, v3, v7, v8
.LBB297_400:                            ;   in Loop: Header=BB297_12 Depth=1
	s_or_b32 exec_lo, exec_lo, s5
	v_and_b32_e32 v5, 15, v86
	v_mov_b32_dpp v6, v3 row_shr:1 row_mask:0xf bank_mask:0xf
	v_and_b32_e32 v7, 16, v86
	v_cmp_eq_u32_e64 s5, 0, v5
	v_cmp_lt_u32_e64 s14, 1, v5
	v_cmp_lt_u32_e64 s15, 3, v5
	;; [unrolled: 1-line block ×3, first 2 shown]
	v_cmp_eq_u32_e64 s17, 0, v7
	v_cndmask_b32_e64 v6, v6, 0, s5
	v_add_nc_u32_e32 v3, v6, v3
	v_mov_b32_dpp v6, v3 row_shr:2 row_mask:0xf bank_mask:0xf
	v_cndmask_b32_e64 v6, 0, v6, s14
	v_add_nc_u32_e32 v3, v3, v6
	v_mov_b32_dpp v6, v3 row_shr:4 row_mask:0xf bank_mask:0xf
	;; [unrolled: 3-line block ×3, first 2 shown]
	v_cndmask_b32_e64 v5, 0, v6, s16
	v_bfe_i32 v6, v86, 4, 1
	v_add_nc_u32_e32 v3, v3, v5
	ds_swizzle_b32 v5, v3 offset:swizzle(BROADCAST,32,15)
	s_waitcnt lgkmcnt(0)
	v_and_b32_e32 v5, v6, v5
	v_add_nc_u32_e32 v3, v3, v5
	s_and_saveexec_b32 s18, s8
; %bb.401:                              ;   in Loop: Header=BB297_12 Depth=1
	ds_write_b32 v65, v3
; %bb.402:                              ;   in Loop: Header=BB297_12 Depth=1
	s_or_b32 exec_lo, exec_lo, s18
	s_waitcnt lgkmcnt(0)
	s_barrier
	buffer_gl0_inv
	s_and_saveexec_b32 s18, s9
	s_cbranch_execz .LBB297_404
; %bb.403:                              ;   in Loop: Header=BB297_12 Depth=1
	ds_read_b32 v5, v66
	v_and_b32_e32 v6, 3, v86
	v_cmp_ne_u32_e32 vcc_lo, 0, v6
	s_waitcnt lgkmcnt(0)
	v_mov_b32_dpp v7, v5 row_shr:1 row_mask:0xf bank_mask:0xf
	v_cndmask_b32_e32 v7, 0, v7, vcc_lo
	v_cmp_lt_u32_e32 vcc_lo, 1, v6
	v_add_nc_u32_e32 v5, v7, v5
	v_mov_b32_dpp v7, v5 row_shr:2 row_mask:0xf bank_mask:0xf
	v_cndmask_b32_e32 v6, 0, v7, vcc_lo
	v_add_nc_u32_e32 v5, v5, v6
	ds_write_b32 v66, v5
.LBB297_404:                            ;   in Loop: Header=BB297_12 Depth=1
	s_or_b32 exec_lo, exec_lo, s18
	v_mov_b32_e32 v5, 0
	s_waitcnt lgkmcnt(0)
	s_barrier
	buffer_gl0_inv
	s_and_saveexec_b32 s18, s10
; %bb.405:                              ;   in Loop: Header=BB297_12 Depth=1
	ds_read_b32 v5, v67
; %bb.406:                              ;   in Loop: Header=BB297_12 Depth=1
	s_or_b32 exec_lo, exec_lo, s18
	v_sub_co_u32 v6, s18, v86, 1
	s_waitcnt lgkmcnt(0)
	v_add_nc_u32_e32 v3, v5, v3
	s_barrier
	v_cmp_gt_i32_e32 vcc_lo, 0, v6
	buffer_gl0_inv
	v_cndmask_b32_e32 v6, v6, v86, vcc_lo
	v_lshlrev_b32_e32 v94, 2, v6
	ds_bpermute_b32 v3, v94, v3
	s_and_saveexec_b32 s19, s7
	s_cbranch_execz .LBB297_408
; %bb.407:                              ;   in Loop: Header=BB297_12 Depth=1
	s_waitcnt lgkmcnt(0)
	v_cndmask_b32_e64 v3, v3, v5, s18
	v_add_nc_u32_e32 v3, s58, v3
	ds_write_b32 v43, v3
.LBB297_408:                            ;   in Loop: Header=BB297_12 Depth=1
	s_or_b32 exec_lo, exec_lo, s19
	s_load_dwordx2 s[20:21], s[56:57], 0x0
	v_and_b32_e32 v6, 7, v86
	v_lshlrev_b32_e32 v7, 3, v86
	v_or_b32_e32 v95, v86, v68
	v_add_co_u32 v96, vcc_lo, v80, v86
	v_add_co_ci_u32_e64 v97, null, 0, v81, vcc_lo
	v_add_co_u32 v98, vcc_lo, v78, v7
	v_add_co_ci_u32_e64 v99, null, 0, v79, vcc_lo
	v_add_nc_u32_e32 v100, 32, v95
	v_add_nc_u32_e32 v101, 64, v95
	;; [unrolled: 1-line block ×8, first 2 shown]
	s_waitcnt lgkmcnt(0)
	s_cmp_lt_u32 s28, s21
	v_add_nc_u32_e32 v108, 0x120, v95
	s_cselect_b32 s19, 14, 20
	v_add_nc_u32_e32 v109, 0x140, v95
	s_add_u32 s22, s56, s19
	s_addc_u32 s23, s57, 0
	s_cmp_lt_u32 s6, s20
	global_load_ushort v3, v4, s[22:23]
	s_cselect_b32 s19, 12, 18
	v_add_nc_u32_e32 v110, 0x160, v95
	s_add_u32 s20, s56, s19
	s_addc_u32 s21, s57, 0
	v_cmp_eq_u32_e64 s19, 0, v6
	global_load_ushort v5, v4, s[20:21]
	v_cmp_lt_u32_e64 s20, 1, v6
	v_cmp_lt_u32_e64 s21, 3, v6
	v_add_nc_u32_e32 v111, 0x180, v95
	v_add_nc_u32_e32 v112, 0x1a0, v95
	;; [unrolled: 1-line block ×5, first 2 shown]
	v_mov_b32_e32 v117, 0
	s_mov_b32 s63, s60
	s_mov_b32 s50, s58
                                        ; implicit-def: $vgpr7_vgpr8
                                        ; implicit-def: $vgpr9_vgpr10
                                        ; implicit-def: $vgpr11_vgpr12
                                        ; implicit-def: $vgpr13_vgpr14
                                        ; implicit-def: $vgpr15_vgpr16
                                        ; implicit-def: $vgpr19_vgpr20
                                        ; implicit-def: $vgpr23_vgpr24
                                        ; implicit-def: $vgpr27_vgpr28
                                        ; implicit-def: $vgpr17_vgpr18
                                        ; implicit-def: $vgpr21_vgpr22
                                        ; implicit-def: $vgpr25_vgpr26
                                        ; implicit-def: $vgpr29_vgpr30
                                        ; implicit-def: $vgpr31_vgpr32
                                        ; implicit-def: $vgpr33_vgpr34
                                        ; implicit-def: $vgpr35_vgpr36
                                        ; implicit-def: $vgpr37_vgpr38
                                        ; implicit-def: $vgpr118
                                        ; implicit-def: $vgpr119
                                        ; implicit-def: $vgpr120
                                        ; implicit-def: $vgpr121
                                        ; implicit-def: $vgpr122
                                        ; implicit-def: $vgpr123
                                        ; implicit-def: $vgpr124
                                        ; implicit-def: $vgpr125
                                        ; implicit-def: $vgpr126
                                        ; implicit-def: $vgpr127
                                        ; implicit-def: $vgpr128
                                        ; implicit-def: $vgpr129
                                        ; implicit-def: $vgpr130
                                        ; implicit-def: $vgpr131
                                        ; implicit-def: $vgpr132
                                        ; implicit-def: $vgpr133
                                        ; implicit-def: $vgpr134
                                        ; implicit-def: $vgpr135
                                        ; implicit-def: $vgpr136
	s_waitcnt vmcnt(1)
	v_mad_u32_u24 v3, v2, v3, v1
	s_waitcnt vmcnt(0)
	v_mad_u64_u32 v[5:6], null, v3, v5, v[0:1]
	v_lshrrev_b32_e32 v3, 3, v5
                                        ; implicit-def: $vgpr5_vgpr6
	v_and_b32_e32 v116, 0x1ffffffc, v3
	s_branch .LBB297_410
.LBB297_409:                            ;   in Loop: Header=BB297_410 Depth=2
	s_or_b32 exec_lo, exec_lo, s22
	s_addk_i32 s63, 0xef00
	s_cmp_lt_u32 s64, s59
	s_mov_b32 s50, s64
	s_cbranch_scc0 .LBB297_632
.LBB297_410:                            ;   Parent Loop BB297_12 Depth=1
                                        ; =>  This Inner Loop Header: Depth=2
	s_add_i32 s64, s50, 0x1100
	s_cmp_gt_u32 s64, s59
	s_cbranch_scc1 .LBB297_412
; %bb.411:                              ;   in Loop: Header=BB297_410 Depth=2
	v_add_co_u32 v39, vcc_lo, v96, s50
	v_add_co_ci_u32_e64 v40, null, 0, v97, vcc_lo
	s_mov_b32 s22, -1
	s_clause 0xf
	global_load_ubyte v42, v[39:40], off offset:480
	global_load_ubyte v41, v[39:40], off offset:448
	;; [unrolled: 1-line block ×15, first 2 shown]
	global_load_ubyte v146, v[39:40], off
	s_movk_i32 s23, 0x1100
	s_cbranch_execz .LBB297_413
	s_branch .LBB297_431
.LBB297_412:                            ;   in Loop: Header=BB297_410 Depth=2
	s_mov_b32 s22, 0
                                        ; implicit-def: $vgpr146
                                        ; implicit-def: $vgpr147
                                        ; implicit-def: $vgpr148
                                        ; implicit-def: $vgpr151
                                        ; implicit-def: $vgpr150
                                        ; implicit-def: $vgpr143
                                        ; implicit-def: $vgpr144
                                        ; implicit-def: $vgpr145
                                        ; implicit-def: $vgpr142
                                        ; implicit-def: $vgpr139
                                        ; implicit-def: $vgpr140
                                        ; implicit-def: $vgpr141
                                        ; implicit-def: $vgpr137
                                        ; implicit-def: $vgpr3
                                        ; implicit-def: $vgpr41
                                        ; implicit-def: $vgpr42
                                        ; implicit-def: $vgpr117
	s_movk_i32 s23, 0x1100
.LBB297_413:                            ;   in Loop: Header=BB297_410 Depth=2
	v_add_co_u32 v39, vcc_lo, v96, s50
	v_add_co_ci_u32_e64 v40, null, 0, v97, vcc_lo
	v_mov_b32_e32 v117, 0x80
	s_waitcnt vmcnt(0)
	v_mov_b32_e32 v146, 0x80
	v_mov_b32_e32 v147, 0x80
	;; [unrolled: 1-line block ×16, first 2 shown]
	s_mov_b32 s22, exec_lo
	v_cmpx_gt_u32_e64 s63, v95
	s_cbranch_execnz .LBB297_617
; %bb.414:                              ;   in Loop: Header=BB297_410 Depth=2
	s_or_b32 exec_lo, exec_lo, s22
	s_mov_b32 s22, exec_lo
	v_cmpx_gt_u32_e64 s63, v100
	s_cbranch_execnz .LBB297_618
.LBB297_415:                            ;   in Loop: Header=BB297_410 Depth=2
	s_or_b32 exec_lo, exec_lo, s22
	s_mov_b32 s22, exec_lo
	v_cmpx_gt_u32_e64 s63, v101
	s_cbranch_execnz .LBB297_619
.LBB297_416:                            ;   in Loop: Header=BB297_410 Depth=2
	s_or_b32 exec_lo, exec_lo, s22
	s_mov_b32 s22, exec_lo
	v_cmpx_gt_u32_e64 s63, v102
	s_cbranch_execnz .LBB297_620
.LBB297_417:                            ;   in Loop: Header=BB297_410 Depth=2
	s_or_b32 exec_lo, exec_lo, s22
	s_mov_b32 s22, exec_lo
	v_cmpx_gt_u32_e64 s63, v103
	s_cbranch_execnz .LBB297_621
.LBB297_418:                            ;   in Loop: Header=BB297_410 Depth=2
	s_or_b32 exec_lo, exec_lo, s22
	s_mov_b32 s22, exec_lo
	v_cmpx_gt_u32_e64 s63, v104
	s_cbranch_execnz .LBB297_622
.LBB297_419:                            ;   in Loop: Header=BB297_410 Depth=2
	s_or_b32 exec_lo, exec_lo, s22
	s_mov_b32 s22, exec_lo
	v_cmpx_gt_u32_e64 s63, v105
	s_cbranch_execnz .LBB297_623
.LBB297_420:                            ;   in Loop: Header=BB297_410 Depth=2
	s_or_b32 exec_lo, exec_lo, s22
	s_mov_b32 s22, exec_lo
	v_cmpx_gt_u32_e64 s63, v106
	s_cbranch_execnz .LBB297_624
.LBB297_421:                            ;   in Loop: Header=BB297_410 Depth=2
	s_or_b32 exec_lo, exec_lo, s22
	s_mov_b32 s22, exec_lo
	v_cmpx_gt_u32_e64 s63, v107
	s_cbranch_execnz .LBB297_625
.LBB297_422:                            ;   in Loop: Header=BB297_410 Depth=2
	s_or_b32 exec_lo, exec_lo, s22
	s_mov_b32 s22, exec_lo
	v_cmpx_gt_u32_e64 s63, v108
	s_cbranch_execnz .LBB297_626
.LBB297_423:                            ;   in Loop: Header=BB297_410 Depth=2
	s_or_b32 exec_lo, exec_lo, s22
	s_mov_b32 s22, exec_lo
	v_cmpx_gt_u32_e64 s63, v109
	s_cbranch_execnz .LBB297_627
.LBB297_424:                            ;   in Loop: Header=BB297_410 Depth=2
	s_or_b32 exec_lo, exec_lo, s22
	s_mov_b32 s22, exec_lo
	v_cmpx_gt_u32_e64 s63, v110
	s_cbranch_execnz .LBB297_628
.LBB297_425:                            ;   in Loop: Header=BB297_410 Depth=2
	s_or_b32 exec_lo, exec_lo, s22
	s_mov_b32 s22, exec_lo
	v_cmpx_gt_u32_e64 s63, v111
	s_cbranch_execnz .LBB297_629
.LBB297_426:                            ;   in Loop: Header=BB297_410 Depth=2
	s_or_b32 exec_lo, exec_lo, s22
	s_mov_b32 s22, exec_lo
	v_cmpx_gt_u32_e64 s63, v112
	s_cbranch_execnz .LBB297_630
.LBB297_427:                            ;   in Loop: Header=BB297_410 Depth=2
	s_or_b32 exec_lo, exec_lo, s22
	s_mov_b32 s22, exec_lo
	v_cmpx_gt_u32_e64 s63, v113
	s_cbranch_execnz .LBB297_631
.LBB297_428:                            ;   in Loop: Header=BB297_410 Depth=2
	s_or_b32 exec_lo, exec_lo, s22
	s_mov_b32 s22, exec_lo
	v_cmpx_gt_u32_e64 s63, v114
	s_cbranch_execz .LBB297_430
.LBB297_429:                            ;   in Loop: Header=BB297_410 Depth=2
	global_load_ubyte v42, v[39:40], off offset:480
.LBB297_430:                            ;   in Loop: Header=BB297_410 Depth=2
	s_or_b32 exec_lo, exec_lo, s22
	v_cmp_gt_u32_e64 s22, s63, v115
	s_sub_i32 s23, s59, s50
.LBB297_431:                            ;   in Loop: Header=BB297_410 Depth=2
	v_mov_b32_e32 v138, s63
	s_and_saveexec_b32 s24, s22
	s_cbranch_execz .LBB297_433
; %bb.432:                              ;   in Loop: Header=BB297_410 Depth=2
	v_add_co_u32 v39, vcc_lo, v96, s50
	v_add_co_ci_u32_e64 v40, null, s51, v97, vcc_lo
	v_mov_b32_e32 v138, s23
	global_load_ubyte v117, v[39:40], off offset:512
.LBB297_433:                            ;   in Loop: Header=BB297_410 Depth=2
	s_or_b32 exec_lo, exec_lo, s24
	s_waitcnt vmcnt(0)
	v_xor_b32_e32 v39, 0x7f, v146
	ds_write2_b32 v69, v4, v4 offset0:136 offset1:137
	ds_write2_b32 v69, v4, v4 offset0:138 offset1:139
	ds_write_b32 v69, v4 offset:560
	s_waitcnt lgkmcnt(0)
	s_barrier
	v_and_b32_sdwa v40, v92, v39 dst_sel:DWORD dst_unused:UNUSED_PAD src0_sel:DWORD src1_sel:BYTE_0
	buffer_gl0_inv
	; wave barrier
	v_lshrrev_b32_e32 v40, s61, v40
	v_and_b32_e32 v149, s62, v40
	v_and_b32_e32 v40, 1, v149
	v_lshlrev_b32_e32 v146, 30, v149
	v_lshlrev_b32_e32 v152, 29, v149
	;; [unrolled: 1-line block ×4, first 2 shown]
	v_add_co_u32 v40, s22, v40, -1
	v_cndmask_b32_e64 v153, 0, 1, s22
	v_not_b32_e32 v157, v146
	v_cmp_gt_i32_e64 s22, 0, v146
	v_not_b32_e32 v146, v152
	v_lshlrev_b32_e32 v156, 26, v149
	v_cmp_ne_u32_e32 vcc_lo, 0, v153
	v_ashrrev_i32_e32 v157, 31, v157
	v_lshlrev_b32_e32 v153, 25, v149
	v_ashrrev_i32_e32 v146, 31, v146
	v_mul_u32_u24_e32 v149, 36, v149
	v_xor_b32_e32 v40, vcc_lo, v40
	v_cmp_gt_i32_e32 vcc_lo, 0, v152
	v_not_b32_e32 v152, v154
	v_xor_b32_e32 v157, s22, v157
	v_cmp_gt_i32_e64 s22, 0, v154
	v_and_b32_e32 v40, exec_lo, v40
	v_not_b32_e32 v154, v155
	v_ashrrev_i32_e32 v152, 31, v152
	v_xor_b32_e32 v146, vcc_lo, v146
	v_cmp_gt_i32_e32 vcc_lo, 0, v155
	v_and_b32_e32 v40, v40, v157
	v_not_b32_e32 v155, v156
	v_ashrrev_i32_e32 v154, 31, v154
	v_xor_b32_e32 v152, s22, v152
	v_cmp_gt_i32_e64 s22, 0, v156
	v_and_b32_e32 v40, v40, v146
	v_not_b32_e32 v146, v153
	v_ashrrev_i32_e32 v155, 31, v155
	v_xor_b32_e32 v154, vcc_lo, v154
	v_cmp_gt_i32_e32 vcc_lo, 0, v153
	v_and_b32_e32 v40, v40, v152
	v_ashrrev_i32_e32 v146, 31, v146
	v_xor_b32_e32 v152, s22, v155
	v_add_nc_u32_e32 v149, v116, v149
	v_and_b32_e32 v40, v40, v154
	v_xor_b32_e32 v146, vcc_lo, v146
	v_and_b32_e32 v40, v40, v152
	v_and_b32_e32 v40, v40, v146
	v_mbcnt_lo_u32_b32 v146, v40, 0
	v_cmp_ne_u32_e64 s22, 0, v40
	v_cmp_eq_u32_e32 vcc_lo, 0, v146
	s_and_b32 s23, s22, vcc_lo
	s_and_saveexec_b32 s22, s23
; %bb.434:                              ;   in Loop: Header=BB297_410 Depth=2
	v_bcnt_u32_b32 v40, v40, 0
	ds_write_b32 v149, v40 offset:544
; %bb.435:                              ;   in Loop: Header=BB297_410 Depth=2
	s_or_b32 exec_lo, exec_lo, s22
	v_xor_b32_sdwa v40, v147, v93 dst_sel:BYTE_1 dst_unused:UNUSED_PAD src0_sel:DWORD src1_sel:DWORD
	v_xor_b32_e32 v148, 0x7f, v148
	v_xor_b32_sdwa v151, v151, v93 dst_sel:BYTE_1 dst_unused:UNUSED_PAD src0_sel:DWORD src1_sel:DWORD
	; wave barrier
	v_or_b32_sdwa v147, v39, v40 dst_sel:DWORD dst_unused:UNUSED_PAD src0_sel:BYTE_0 src1_sel:DWORD
	v_or_b32_sdwa v39, v148, v151 dst_sel:WORD_1 dst_unused:UNUSED_PAD src0_sel:BYTE_0 src1_sel:DWORD
	v_or_b32_sdwa v148, v147, v39 dst_sel:DWORD dst_unused:UNUSED_PAD src0_sel:WORD_0 src1_sel:DWORD
	v_lshrrev_b32_sdwa v39, s61, v148 dst_sel:DWORD dst_unused:UNUSED_PAD src0_sel:DWORD src1_sel:BYTE_1
	v_and_b32_e32 v40, s62, v39
	v_and_b32_e32 v39, 1, v40
	v_lshlrev_b32_e32 v151, 30, v40
	v_lshlrev_b32_e32 v152, 29, v40
	;; [unrolled: 1-line block ×4, first 2 shown]
	v_add_co_u32 v39, s22, v39, -1
	v_cndmask_b32_e64 v153, 0, 1, s22
	v_not_b32_e32 v157, v151
	v_cmp_gt_i32_e64 s22, 0, v151
	v_not_b32_e32 v151, v152
	v_lshlrev_b32_e32 v156, 26, v40
	v_cmp_ne_u32_e32 vcc_lo, 0, v153
	v_ashrrev_i32_e32 v157, 31, v157
	v_lshlrev_b32_e32 v153, 25, v40
	v_ashrrev_i32_e32 v151, 31, v151
	v_xor_b32_e32 v39, vcc_lo, v39
	v_cmp_gt_i32_e32 vcc_lo, 0, v152
	v_not_b32_e32 v152, v154
	v_xor_b32_e32 v157, s22, v157
	v_cmp_gt_i32_e64 s22, 0, v154
	v_and_b32_e32 v39, exec_lo, v39
	v_not_b32_e32 v154, v155
	v_ashrrev_i32_e32 v152, 31, v152
	v_xor_b32_e32 v151, vcc_lo, v151
	v_cmp_gt_i32_e32 vcc_lo, 0, v155
	v_and_b32_e32 v39, v39, v157
	v_not_b32_e32 v155, v156
	v_ashrrev_i32_e32 v154, 31, v154
	v_xor_b32_e32 v152, s22, v152
	v_cmp_gt_i32_e64 s22, 0, v156
	v_and_b32_e32 v39, v39, v151
	v_not_b32_e32 v151, v153
	v_ashrrev_i32_e32 v155, 31, v155
	v_xor_b32_e32 v154, vcc_lo, v154
	v_cmp_gt_i32_e32 vcc_lo, 0, v153
	v_and_b32_e32 v39, v39, v152
	v_ashrrev_i32_e32 v151, 31, v151
	v_xor_b32_e32 v152, s22, v155
	v_mad_u32_u24 v153, v40, 36, v116
	v_mul_u32_u24_e32 v40, 36, v40
	v_and_b32_e32 v39, v39, v154
	v_xor_b32_e32 v154, vcc_lo, v151
	ds_read_b32 v151, v153 offset:544
	v_add_nc_u32_e32 v153, v116, v40
	v_and_b32_e32 v39, v39, v152
	; wave barrier
	v_and_b32_e32 v39, v39, v154
	v_mbcnt_lo_u32_b32 v152, v39, 0
	v_cmp_ne_u32_e64 s22, 0, v39
	v_cmp_eq_u32_e32 vcc_lo, 0, v152
	s_and_b32 s23, s22, vcc_lo
	s_and_saveexec_b32 s22, s23
	s_cbranch_execz .LBB297_437
; %bb.436:                              ;   in Loop: Header=BB297_410 Depth=2
	s_waitcnt lgkmcnt(0)
	v_bcnt_u32_b32 v39, v39, v151
	ds_write_b32 v153, v39 offset:544
.LBB297_437:                            ;   in Loop: Header=BB297_410 Depth=2
	s_or_b32 exec_lo, exec_lo, s22
	v_lshrrev_b32_sdwa v39, s61, v148 dst_sel:DWORD dst_unused:UNUSED_PAD src0_sel:DWORD src1_sel:BYTE_2
	; wave barrier
	v_and_b32_e32 v40, s62, v39
	v_and_b32_e32 v39, 1, v40
	v_lshlrev_b32_e32 v154, 30, v40
	v_lshlrev_b32_e32 v155, 29, v40
	;; [unrolled: 1-line block ×4, first 2 shown]
	v_add_co_u32 v39, s22, v39, -1
	v_cndmask_b32_e64 v156, 0, 1, s22
	v_not_b32_e32 v160, v154
	v_cmp_gt_i32_e64 s22, 0, v154
	v_not_b32_e32 v154, v155
	v_lshlrev_b32_e32 v159, 26, v40
	v_cmp_ne_u32_e32 vcc_lo, 0, v156
	v_ashrrev_i32_e32 v160, 31, v160
	v_lshlrev_b32_e32 v156, 25, v40
	v_ashrrev_i32_e32 v154, 31, v154
	v_xor_b32_e32 v39, vcc_lo, v39
	v_cmp_gt_i32_e32 vcc_lo, 0, v155
	v_not_b32_e32 v155, v157
	v_xor_b32_e32 v160, s22, v160
	v_cmp_gt_i32_e64 s22, 0, v157
	v_and_b32_e32 v39, exec_lo, v39
	v_not_b32_e32 v157, v158
	v_ashrrev_i32_e32 v155, 31, v155
	v_xor_b32_e32 v154, vcc_lo, v154
	v_cmp_gt_i32_e32 vcc_lo, 0, v158
	v_and_b32_e32 v39, v39, v160
	v_not_b32_e32 v158, v159
	v_ashrrev_i32_e32 v157, 31, v157
	v_xor_b32_e32 v155, s22, v155
	v_cmp_gt_i32_e64 s22, 0, v159
	v_and_b32_e32 v39, v39, v154
	v_not_b32_e32 v154, v156
	v_ashrrev_i32_e32 v158, 31, v158
	v_xor_b32_e32 v157, vcc_lo, v157
	v_cmp_gt_i32_e32 vcc_lo, 0, v156
	v_and_b32_e32 v39, v39, v155
	v_ashrrev_i32_e32 v154, 31, v154
	v_xor_b32_e32 v155, s22, v158
	v_mad_u32_u24 v156, v40, 36, v116
	v_mul_u32_u24_e32 v40, 36, v40
	v_and_b32_e32 v39, v39, v157
	v_xor_b32_e32 v157, vcc_lo, v154
	ds_read_b32 v154, v156 offset:544
	v_and_b32_e32 v39, v39, v155
	; wave barrier
	v_and_b32_e32 v39, v39, v157
	v_add_nc_u32_e32 v157, v116, v40
	v_mbcnt_lo_u32_b32 v155, v39, 0
	v_cmp_ne_u32_e64 s22, 0, v39
	v_cmp_eq_u32_e32 vcc_lo, 0, v155
	s_and_b32 s23, s22, vcc_lo
	s_and_saveexec_b32 s22, s23
	s_cbranch_execz .LBB297_439
; %bb.438:                              ;   in Loop: Header=BB297_410 Depth=2
	s_waitcnt lgkmcnt(0)
	v_bcnt_u32_b32 v39, v39, v154
	ds_write_b32 v157, v39 offset:544
.LBB297_439:                            ;   in Loop: Header=BB297_410 Depth=2
	s_or_b32 exec_lo, exec_lo, s22
	v_lshrrev_b32_e32 v156, 24, v148
	; wave barrier
	v_lshrrev_b32_e32 v39, s61, v156
	v_and_b32_e32 v40, s62, v39
	v_and_b32_e32 v39, 1, v40
	v_lshlrev_b32_e32 v158, 30, v40
	v_lshlrev_b32_e32 v159, 29, v40
	;; [unrolled: 1-line block ×4, first 2 shown]
	v_add_co_u32 v39, s22, v39, -1
	v_cndmask_b32_e64 v160, 0, 1, s22
	v_not_b32_e32 v164, v158
	v_cmp_gt_i32_e64 s22, 0, v158
	v_not_b32_e32 v158, v159
	v_lshlrev_b32_e32 v163, 26, v40
	v_cmp_ne_u32_e32 vcc_lo, 0, v160
	v_ashrrev_i32_e32 v164, 31, v164
	v_lshlrev_b32_e32 v160, 25, v40
	v_ashrrev_i32_e32 v158, 31, v158
	v_xor_b32_e32 v39, vcc_lo, v39
	v_cmp_gt_i32_e32 vcc_lo, 0, v159
	v_not_b32_e32 v159, v161
	v_xor_b32_e32 v164, s22, v164
	v_cmp_gt_i32_e64 s22, 0, v161
	v_and_b32_e32 v39, exec_lo, v39
	v_not_b32_e32 v161, v162
	v_ashrrev_i32_e32 v159, 31, v159
	v_xor_b32_e32 v158, vcc_lo, v158
	v_cmp_gt_i32_e32 vcc_lo, 0, v162
	v_and_b32_e32 v39, v39, v164
	v_not_b32_e32 v162, v163
	v_ashrrev_i32_e32 v161, 31, v161
	v_xor_b32_e32 v159, s22, v159
	v_cmp_gt_i32_e64 s22, 0, v163
	v_and_b32_e32 v39, v39, v158
	v_not_b32_e32 v158, v160
	v_ashrrev_i32_e32 v162, 31, v162
	v_xor_b32_e32 v161, vcc_lo, v161
	v_cmp_gt_i32_e32 vcc_lo, 0, v160
	v_and_b32_e32 v39, v39, v159
	v_ashrrev_i32_e32 v158, 31, v158
	v_xor_b32_e32 v159, s22, v162
	v_mad_u32_u24 v160, v40, 36, v116
	v_mul_u32_u24_e32 v40, 36, v40
	v_and_b32_e32 v39, v39, v161
	v_xor_b32_e32 v161, vcc_lo, v158
	ds_read_b32 v158, v160 offset:544
	v_add_nc_u32_e32 v160, v116, v40
	v_and_b32_e32 v39, v39, v159
	; wave barrier
	v_and_b32_e32 v39, v39, v161
	v_mbcnt_lo_u32_b32 v159, v39, 0
	v_cmp_ne_u32_e64 s22, 0, v39
	v_cmp_eq_u32_e32 vcc_lo, 0, v159
	s_and_b32 s23, s22, vcc_lo
	s_and_saveexec_b32 s22, s23
	s_cbranch_execz .LBB297_441
; %bb.440:                              ;   in Loop: Header=BB297_410 Depth=2
	s_waitcnt lgkmcnt(0)
	v_bcnt_u32_b32 v39, v39, v158
	ds_write_b32 v160, v39 offset:544
.LBB297_441:                            ;   in Loop: Header=BB297_410 Depth=2
	s_or_b32 exec_lo, exec_lo, s22
	v_xor_b32_e32 v39, 0x7f, v150
	; wave barrier
	v_and_b32_sdwa v40, v92, v39 dst_sel:DWORD dst_unused:UNUSED_PAD src0_sel:DWORD src1_sel:BYTE_0
	v_lshrrev_b32_e32 v40, s61, v40
	v_and_b32_e32 v162, s62, v40
	v_and_b32_e32 v40, 1, v162
	v_lshlrev_b32_e32 v150, 30, v162
	v_lshlrev_b32_e32 v161, 29, v162
	;; [unrolled: 1-line block ×4, first 2 shown]
	v_add_co_u32 v40, s22, v40, -1
	v_cndmask_b32_e64 v163, 0, 1, s22
	v_not_b32_e32 v167, v150
	v_cmp_gt_i32_e64 s22, 0, v150
	v_not_b32_e32 v150, v161
	v_lshlrev_b32_e32 v166, 26, v162
	v_cmp_ne_u32_e32 vcc_lo, 0, v163
	v_ashrrev_i32_e32 v167, 31, v167
	v_lshlrev_b32_e32 v163, 25, v162
	v_ashrrev_i32_e32 v150, 31, v150
	v_xor_b32_e32 v40, vcc_lo, v40
	v_cmp_gt_i32_e32 vcc_lo, 0, v161
	v_not_b32_e32 v161, v164
	v_xor_b32_e32 v167, s22, v167
	v_cmp_gt_i32_e64 s22, 0, v164
	v_and_b32_e32 v40, exec_lo, v40
	v_not_b32_e32 v164, v165
	v_ashrrev_i32_e32 v161, 31, v161
	v_xor_b32_e32 v150, vcc_lo, v150
	v_cmp_gt_i32_e32 vcc_lo, 0, v165
	v_and_b32_e32 v40, v40, v167
	v_not_b32_e32 v165, v166
	v_ashrrev_i32_e32 v164, 31, v164
	v_xor_b32_e32 v161, s22, v161
	v_cmp_gt_i32_e64 s22, 0, v166
	v_and_b32_e32 v40, v40, v150
	v_not_b32_e32 v150, v163
	v_ashrrev_i32_e32 v165, 31, v165
	v_xor_b32_e32 v164, vcc_lo, v164
	v_cmp_gt_i32_e32 vcc_lo, 0, v163
	v_and_b32_e32 v40, v40, v161
	v_ashrrev_i32_e32 v150, 31, v150
	v_xor_b32_e32 v161, s22, v165
	v_mad_u32_u24 v163, v162, 36, v116
	v_mul_u32_u24_e32 v162, 36, v162
	v_and_b32_e32 v40, v40, v164
	v_xor_b32_e32 v164, vcc_lo, v150
	ds_read_b32 v150, v163 offset:544
	v_add_nc_u32_e32 v162, v116, v162
	v_and_b32_e32 v40, v40, v161
	; wave barrier
	v_and_b32_e32 v40, v40, v164
	v_mbcnt_lo_u32_b32 v161, v40, 0
	v_cmp_ne_u32_e64 s22, 0, v40
	v_cmp_eq_u32_e32 vcc_lo, 0, v161
	s_and_b32 s23, s22, vcc_lo
	s_and_saveexec_b32 s22, s23
	s_cbranch_execz .LBB297_443
; %bb.442:                              ;   in Loop: Header=BB297_410 Depth=2
	s_waitcnt lgkmcnt(0)
	v_bcnt_u32_b32 v40, v40, v150
	ds_write_b32 v162, v40 offset:544
.LBB297_443:                            ;   in Loop: Header=BB297_410 Depth=2
	s_or_b32 exec_lo, exec_lo, s22
	v_xor_b32_sdwa v40, v143, v93 dst_sel:BYTE_1 dst_unused:UNUSED_PAD src0_sel:DWORD src1_sel:DWORD
	v_xor_b32_e32 v144, 0x7f, v144
	v_xor_b32_sdwa v145, v145, v93 dst_sel:BYTE_1 dst_unused:UNUSED_PAD src0_sel:DWORD src1_sel:DWORD
	; wave barrier
	v_or_b32_sdwa v143, v39, v40 dst_sel:DWORD dst_unused:UNUSED_PAD src0_sel:BYTE_0 src1_sel:DWORD
	v_or_b32_sdwa v39, v144, v145 dst_sel:WORD_1 dst_unused:UNUSED_PAD src0_sel:BYTE_0 src1_sel:DWORD
	v_or_b32_sdwa v144, v143, v39 dst_sel:DWORD dst_unused:UNUSED_PAD src0_sel:WORD_0 src1_sel:DWORD
	v_lshrrev_b32_sdwa v39, s61, v144 dst_sel:DWORD dst_unused:UNUSED_PAD src0_sel:DWORD src1_sel:BYTE_1
	v_and_b32_e32 v40, s62, v39
	v_and_b32_e32 v39, 1, v40
	v_lshlrev_b32_e32 v145, 30, v40
	v_lshlrev_b32_e32 v163, 29, v40
	v_lshlrev_b32_e32 v165, 28, v40
	v_lshlrev_b32_e32 v166, 27, v40
	v_add_co_u32 v39, s22, v39, -1
	v_cndmask_b32_e64 v164, 0, 1, s22
	v_not_b32_e32 v168, v145
	v_cmp_gt_i32_e64 s22, 0, v145
	v_not_b32_e32 v145, v163
	v_lshlrev_b32_e32 v167, 26, v40
	v_cmp_ne_u32_e32 vcc_lo, 0, v164
	v_ashrrev_i32_e32 v168, 31, v168
	v_lshlrev_b32_e32 v164, 25, v40
	v_ashrrev_i32_e32 v145, 31, v145
	v_xor_b32_e32 v39, vcc_lo, v39
	v_cmp_gt_i32_e32 vcc_lo, 0, v163
	v_not_b32_e32 v163, v165
	v_xor_b32_e32 v168, s22, v168
	v_cmp_gt_i32_e64 s22, 0, v165
	v_and_b32_e32 v39, exec_lo, v39
	v_not_b32_e32 v165, v166
	v_ashrrev_i32_e32 v163, 31, v163
	v_xor_b32_e32 v145, vcc_lo, v145
	v_cmp_gt_i32_e32 vcc_lo, 0, v166
	v_and_b32_e32 v39, v39, v168
	v_not_b32_e32 v166, v167
	v_ashrrev_i32_e32 v165, 31, v165
	v_xor_b32_e32 v163, s22, v163
	v_cmp_gt_i32_e64 s22, 0, v167
	v_and_b32_e32 v39, v39, v145
	v_not_b32_e32 v145, v164
	v_ashrrev_i32_e32 v166, 31, v166
	v_xor_b32_e32 v165, vcc_lo, v165
	v_cmp_gt_i32_e32 vcc_lo, 0, v164
	v_and_b32_e32 v39, v39, v163
	v_ashrrev_i32_e32 v145, 31, v145
	v_xor_b32_e32 v163, s22, v166
	v_mad_u32_u24 v164, v40, 36, v116
	v_mul_u32_u24_e32 v40, 36, v40
	v_and_b32_e32 v39, v39, v165
	v_xor_b32_e32 v165, vcc_lo, v145
	ds_read_b32 v145, v164 offset:544
	v_add_nc_u32_e32 v164, v116, v40
	v_and_b32_e32 v39, v39, v163
	; wave barrier
	v_and_b32_e32 v39, v39, v165
	v_mbcnt_lo_u32_b32 v163, v39, 0
	v_cmp_ne_u32_e64 s22, 0, v39
	v_cmp_eq_u32_e32 vcc_lo, 0, v163
	s_and_b32 s23, s22, vcc_lo
	s_and_saveexec_b32 s22, s23
	s_cbranch_execz .LBB297_445
; %bb.444:                              ;   in Loop: Header=BB297_410 Depth=2
	s_waitcnt lgkmcnt(0)
	v_bcnt_u32_b32 v39, v39, v145
	ds_write_b32 v164, v39 offset:544
.LBB297_445:                            ;   in Loop: Header=BB297_410 Depth=2
	s_or_b32 exec_lo, exec_lo, s22
	v_lshrrev_b32_sdwa v39, s61, v144 dst_sel:DWORD dst_unused:UNUSED_PAD src0_sel:DWORD src1_sel:BYTE_2
	; wave barrier
	v_and_b32_e32 v40, s62, v39
	v_and_b32_e32 v39, 1, v40
	v_lshlrev_b32_e32 v165, 30, v40
	v_lshlrev_b32_e32 v166, 29, v40
	v_lshlrev_b32_e32 v168, 28, v40
	v_lshlrev_b32_e32 v169, 27, v40
	v_add_co_u32 v39, s22, v39, -1
	v_cndmask_b32_e64 v167, 0, 1, s22
	v_not_b32_e32 v171, v165
	v_cmp_gt_i32_e64 s22, 0, v165
	v_not_b32_e32 v165, v166
	v_lshlrev_b32_e32 v170, 26, v40
	v_cmp_ne_u32_e32 vcc_lo, 0, v167
	v_ashrrev_i32_e32 v171, 31, v171
	v_lshlrev_b32_e32 v167, 25, v40
	v_ashrrev_i32_e32 v165, 31, v165
	v_xor_b32_e32 v39, vcc_lo, v39
	v_cmp_gt_i32_e32 vcc_lo, 0, v166
	v_not_b32_e32 v166, v168
	v_xor_b32_e32 v171, s22, v171
	v_cmp_gt_i32_e64 s22, 0, v168
	v_and_b32_e32 v39, exec_lo, v39
	v_not_b32_e32 v168, v169
	v_ashrrev_i32_e32 v166, 31, v166
	v_xor_b32_e32 v165, vcc_lo, v165
	v_cmp_gt_i32_e32 vcc_lo, 0, v169
	v_and_b32_e32 v39, v39, v171
	v_not_b32_e32 v169, v170
	v_ashrrev_i32_e32 v168, 31, v168
	v_xor_b32_e32 v166, s22, v166
	v_cmp_gt_i32_e64 s22, 0, v170
	v_and_b32_e32 v39, v39, v165
	v_not_b32_e32 v165, v167
	v_ashrrev_i32_e32 v169, 31, v169
	v_xor_b32_e32 v168, vcc_lo, v168
	v_cmp_gt_i32_e32 vcc_lo, 0, v167
	v_and_b32_e32 v39, v39, v166
	v_ashrrev_i32_e32 v165, 31, v165
	v_xor_b32_e32 v166, s22, v169
	v_mad_u32_u24 v167, v40, 36, v116
	v_mul_u32_u24_e32 v40, 36, v40
	v_and_b32_e32 v39, v39, v168
	v_xor_b32_e32 v168, vcc_lo, v165
	ds_read_b32 v165, v167 offset:544
	v_and_b32_e32 v39, v39, v166
	; wave barrier
	v_and_b32_e32 v39, v39, v168
	v_add_nc_u32_e32 v168, v116, v40
	v_mbcnt_lo_u32_b32 v166, v39, 0
	v_cmp_ne_u32_e64 s22, 0, v39
	v_cmp_eq_u32_e32 vcc_lo, 0, v166
	s_and_b32 s23, s22, vcc_lo
	s_and_saveexec_b32 s22, s23
	s_cbranch_execz .LBB297_447
; %bb.446:                              ;   in Loop: Header=BB297_410 Depth=2
	s_waitcnt lgkmcnt(0)
	v_bcnt_u32_b32 v39, v39, v165
	ds_write_b32 v168, v39 offset:544
.LBB297_447:                            ;   in Loop: Header=BB297_410 Depth=2
	s_or_b32 exec_lo, exec_lo, s22
	v_lshrrev_b32_e32 v167, 24, v144
	; wave barrier
	v_lshrrev_b32_e32 v39, s61, v167
	v_and_b32_e32 v40, s62, v39
	v_and_b32_e32 v39, 1, v40
	v_lshlrev_b32_e32 v169, 30, v40
	v_lshlrev_b32_e32 v170, 29, v40
	;; [unrolled: 1-line block ×4, first 2 shown]
	v_add_co_u32 v39, s22, v39, -1
	v_cndmask_b32_e64 v171, 0, 1, s22
	v_not_b32_e32 v175, v169
	v_cmp_gt_i32_e64 s22, 0, v169
	v_not_b32_e32 v169, v170
	v_lshlrev_b32_e32 v174, 26, v40
	v_cmp_ne_u32_e32 vcc_lo, 0, v171
	v_ashrrev_i32_e32 v175, 31, v175
	v_lshlrev_b32_e32 v171, 25, v40
	v_ashrrev_i32_e32 v169, 31, v169
	v_xor_b32_e32 v39, vcc_lo, v39
	v_cmp_gt_i32_e32 vcc_lo, 0, v170
	v_not_b32_e32 v170, v172
	v_xor_b32_e32 v175, s22, v175
	v_cmp_gt_i32_e64 s22, 0, v172
	v_and_b32_e32 v39, exec_lo, v39
	v_not_b32_e32 v172, v173
	v_ashrrev_i32_e32 v170, 31, v170
	v_xor_b32_e32 v169, vcc_lo, v169
	v_cmp_gt_i32_e32 vcc_lo, 0, v173
	v_and_b32_e32 v39, v39, v175
	v_not_b32_e32 v173, v174
	v_ashrrev_i32_e32 v172, 31, v172
	v_xor_b32_e32 v170, s22, v170
	v_cmp_gt_i32_e64 s22, 0, v174
	v_and_b32_e32 v39, v39, v169
	v_not_b32_e32 v169, v171
	v_ashrrev_i32_e32 v173, 31, v173
	v_xor_b32_e32 v172, vcc_lo, v172
	v_cmp_gt_i32_e32 vcc_lo, 0, v171
	v_and_b32_e32 v39, v39, v170
	v_ashrrev_i32_e32 v169, 31, v169
	v_xor_b32_e32 v170, s22, v173
	v_mad_u32_u24 v171, v40, 36, v116
	v_mul_u32_u24_e32 v40, 36, v40
	v_and_b32_e32 v39, v39, v172
	v_xor_b32_e32 v172, vcc_lo, v169
	ds_read_b32 v169, v171 offset:544
	v_add_nc_u32_e32 v171, v116, v40
	v_and_b32_e32 v39, v39, v170
	; wave barrier
	v_and_b32_e32 v39, v39, v172
	v_mbcnt_lo_u32_b32 v170, v39, 0
	v_cmp_ne_u32_e64 s22, 0, v39
	v_cmp_eq_u32_e32 vcc_lo, 0, v170
	s_and_b32 s23, s22, vcc_lo
	s_and_saveexec_b32 s22, s23
	s_cbranch_execz .LBB297_449
; %bb.448:                              ;   in Loop: Header=BB297_410 Depth=2
	s_waitcnt lgkmcnt(0)
	v_bcnt_u32_b32 v39, v39, v169
	ds_write_b32 v171, v39 offset:544
.LBB297_449:                            ;   in Loop: Header=BB297_410 Depth=2
	s_or_b32 exec_lo, exec_lo, s22
	v_xor_b32_e32 v39, 0x7f, v142
	; wave barrier
	v_and_b32_sdwa v40, v92, v39 dst_sel:DWORD dst_unused:UNUSED_PAD src0_sel:DWORD src1_sel:BYTE_0
	v_lshrrev_b32_e32 v40, s61, v40
	v_and_b32_e32 v173, s62, v40
	v_and_b32_e32 v40, 1, v173
	v_lshlrev_b32_e32 v142, 30, v173
	v_lshlrev_b32_e32 v172, 29, v173
	;; [unrolled: 1-line block ×4, first 2 shown]
	v_add_co_u32 v40, s22, v40, -1
	v_cndmask_b32_e64 v174, 0, 1, s22
	v_not_b32_e32 v178, v142
	v_cmp_gt_i32_e64 s22, 0, v142
	v_not_b32_e32 v142, v172
	v_lshlrev_b32_e32 v177, 26, v173
	v_cmp_ne_u32_e32 vcc_lo, 0, v174
	v_ashrrev_i32_e32 v178, 31, v178
	v_lshlrev_b32_e32 v174, 25, v173
	v_ashrrev_i32_e32 v142, 31, v142
	v_xor_b32_e32 v40, vcc_lo, v40
	v_cmp_gt_i32_e32 vcc_lo, 0, v172
	v_not_b32_e32 v172, v175
	v_xor_b32_e32 v178, s22, v178
	v_cmp_gt_i32_e64 s22, 0, v175
	v_and_b32_e32 v40, exec_lo, v40
	v_not_b32_e32 v175, v176
	v_ashrrev_i32_e32 v172, 31, v172
	v_xor_b32_e32 v142, vcc_lo, v142
	v_cmp_gt_i32_e32 vcc_lo, 0, v176
	v_and_b32_e32 v40, v40, v178
	v_not_b32_e32 v176, v177
	v_ashrrev_i32_e32 v175, 31, v175
	v_xor_b32_e32 v172, s22, v172
	v_cmp_gt_i32_e64 s22, 0, v177
	v_and_b32_e32 v40, v40, v142
	v_not_b32_e32 v142, v174
	v_ashrrev_i32_e32 v176, 31, v176
	v_xor_b32_e32 v175, vcc_lo, v175
	v_cmp_gt_i32_e32 vcc_lo, 0, v174
	v_and_b32_e32 v40, v40, v172
	v_ashrrev_i32_e32 v142, 31, v142
	v_xor_b32_e32 v172, s22, v176
	v_mad_u32_u24 v174, v173, 36, v116
	v_mul_u32_u24_e32 v173, 36, v173
	v_and_b32_e32 v40, v40, v175
	v_xor_b32_e32 v175, vcc_lo, v142
	ds_read_b32 v142, v174 offset:544
	v_add_nc_u32_e32 v173, v116, v173
	v_and_b32_e32 v40, v40, v172
	; wave barrier
	v_and_b32_e32 v40, v40, v175
	v_mbcnt_lo_u32_b32 v172, v40, 0
	v_cmp_ne_u32_e64 s22, 0, v40
	v_cmp_eq_u32_e32 vcc_lo, 0, v172
	s_and_b32 s23, s22, vcc_lo
	s_and_saveexec_b32 s22, s23
	s_cbranch_execz .LBB297_451
; %bb.450:                              ;   in Loop: Header=BB297_410 Depth=2
	s_waitcnt lgkmcnt(0)
	v_bcnt_u32_b32 v40, v40, v142
	ds_write_b32 v173, v40 offset:544
.LBB297_451:                            ;   in Loop: Header=BB297_410 Depth=2
	s_or_b32 exec_lo, exec_lo, s22
	v_xor_b32_sdwa v40, v139, v93 dst_sel:BYTE_1 dst_unused:UNUSED_PAD src0_sel:DWORD src1_sel:DWORD
	v_xor_b32_e32 v140, 0x7f, v140
	v_xor_b32_sdwa v141, v141, v93 dst_sel:BYTE_1 dst_unused:UNUSED_PAD src0_sel:DWORD src1_sel:DWORD
	; wave barrier
	v_or_b32_sdwa v139, v39, v40 dst_sel:DWORD dst_unused:UNUSED_PAD src0_sel:BYTE_0 src1_sel:DWORD
	v_or_b32_sdwa v39, v140, v141 dst_sel:WORD_1 dst_unused:UNUSED_PAD src0_sel:BYTE_0 src1_sel:DWORD
	v_or_b32_sdwa v140, v139, v39 dst_sel:DWORD dst_unused:UNUSED_PAD src0_sel:WORD_0 src1_sel:DWORD
	v_lshrrev_b32_sdwa v39, s61, v140 dst_sel:DWORD dst_unused:UNUSED_PAD src0_sel:DWORD src1_sel:BYTE_1
	v_and_b32_e32 v40, s62, v39
	v_and_b32_e32 v39, 1, v40
	v_lshlrev_b32_e32 v141, 30, v40
	v_lshlrev_b32_e32 v174, 29, v40
	;; [unrolled: 1-line block ×4, first 2 shown]
	v_add_co_u32 v39, s22, v39, -1
	v_cndmask_b32_e64 v175, 0, 1, s22
	v_not_b32_e32 v179, v141
	v_cmp_gt_i32_e64 s22, 0, v141
	v_not_b32_e32 v141, v174
	v_lshlrev_b32_e32 v178, 26, v40
	v_cmp_ne_u32_e32 vcc_lo, 0, v175
	v_ashrrev_i32_e32 v179, 31, v179
	v_lshlrev_b32_e32 v175, 25, v40
	v_ashrrev_i32_e32 v141, 31, v141
	v_xor_b32_e32 v39, vcc_lo, v39
	v_cmp_gt_i32_e32 vcc_lo, 0, v174
	v_not_b32_e32 v174, v176
	v_xor_b32_e32 v179, s22, v179
	v_cmp_gt_i32_e64 s22, 0, v176
	v_and_b32_e32 v39, exec_lo, v39
	v_not_b32_e32 v176, v177
	v_ashrrev_i32_e32 v174, 31, v174
	v_xor_b32_e32 v141, vcc_lo, v141
	v_cmp_gt_i32_e32 vcc_lo, 0, v177
	v_and_b32_e32 v39, v39, v179
	v_not_b32_e32 v177, v178
	v_ashrrev_i32_e32 v176, 31, v176
	v_xor_b32_e32 v174, s22, v174
	v_cmp_gt_i32_e64 s22, 0, v178
	v_and_b32_e32 v39, v39, v141
	v_not_b32_e32 v141, v175
	v_ashrrev_i32_e32 v177, 31, v177
	v_xor_b32_e32 v176, vcc_lo, v176
	v_cmp_gt_i32_e32 vcc_lo, 0, v175
	v_and_b32_e32 v39, v39, v174
	v_ashrrev_i32_e32 v141, 31, v141
	v_xor_b32_e32 v174, s22, v177
	v_mad_u32_u24 v175, v40, 36, v116
	v_mul_u32_u24_e32 v40, 36, v40
	v_and_b32_e32 v39, v39, v176
	v_xor_b32_e32 v176, vcc_lo, v141
	ds_read_b32 v141, v175 offset:544
	v_add_nc_u32_e32 v175, v116, v40
	v_and_b32_e32 v39, v39, v174
	; wave barrier
	v_and_b32_e32 v39, v39, v176
	v_mbcnt_lo_u32_b32 v174, v39, 0
	v_cmp_ne_u32_e64 s22, 0, v39
	v_cmp_eq_u32_e32 vcc_lo, 0, v174
	s_and_b32 s23, s22, vcc_lo
	s_and_saveexec_b32 s22, s23
	s_cbranch_execz .LBB297_453
; %bb.452:                              ;   in Loop: Header=BB297_410 Depth=2
	s_waitcnt lgkmcnt(0)
	v_bcnt_u32_b32 v39, v39, v141
	ds_write_b32 v175, v39 offset:544
.LBB297_453:                            ;   in Loop: Header=BB297_410 Depth=2
	s_or_b32 exec_lo, exec_lo, s22
	v_lshrrev_b32_sdwa v39, s61, v140 dst_sel:DWORD dst_unused:UNUSED_PAD src0_sel:DWORD src1_sel:BYTE_2
	; wave barrier
	v_and_b32_e32 v40, s62, v39
	v_and_b32_e32 v39, 1, v40
	v_lshlrev_b32_e32 v176, 30, v40
	v_lshlrev_b32_e32 v177, 29, v40
	;; [unrolled: 1-line block ×4, first 2 shown]
	v_add_co_u32 v39, s22, v39, -1
	v_cndmask_b32_e64 v178, 0, 1, s22
	v_not_b32_e32 v182, v176
	v_cmp_gt_i32_e64 s22, 0, v176
	v_not_b32_e32 v176, v177
	v_lshlrev_b32_e32 v181, 26, v40
	v_cmp_ne_u32_e32 vcc_lo, 0, v178
	v_ashrrev_i32_e32 v182, 31, v182
	v_lshlrev_b32_e32 v178, 25, v40
	v_ashrrev_i32_e32 v176, 31, v176
	v_xor_b32_e32 v39, vcc_lo, v39
	v_cmp_gt_i32_e32 vcc_lo, 0, v177
	v_not_b32_e32 v177, v179
	v_xor_b32_e32 v182, s22, v182
	v_cmp_gt_i32_e64 s22, 0, v179
	v_and_b32_e32 v39, exec_lo, v39
	v_not_b32_e32 v179, v180
	v_ashrrev_i32_e32 v177, 31, v177
	v_xor_b32_e32 v176, vcc_lo, v176
	v_cmp_gt_i32_e32 vcc_lo, 0, v180
	v_and_b32_e32 v39, v39, v182
	v_not_b32_e32 v180, v181
	v_ashrrev_i32_e32 v179, 31, v179
	v_xor_b32_e32 v177, s22, v177
	v_cmp_gt_i32_e64 s22, 0, v181
	v_and_b32_e32 v39, v39, v176
	v_not_b32_e32 v176, v178
	v_ashrrev_i32_e32 v180, 31, v180
	v_xor_b32_e32 v179, vcc_lo, v179
	v_cmp_gt_i32_e32 vcc_lo, 0, v178
	v_and_b32_e32 v39, v39, v177
	v_ashrrev_i32_e32 v176, 31, v176
	v_xor_b32_e32 v177, s22, v180
	v_mad_u32_u24 v178, v40, 36, v116
	v_mul_u32_u24_e32 v40, 36, v40
	v_and_b32_e32 v39, v39, v179
	v_xor_b32_e32 v179, vcc_lo, v176
	ds_read_b32 v176, v178 offset:544
	v_and_b32_e32 v39, v39, v177
	; wave barrier
	v_and_b32_e32 v39, v39, v179
	v_add_nc_u32_e32 v179, v116, v40
	v_mbcnt_lo_u32_b32 v177, v39, 0
	v_cmp_ne_u32_e64 s22, 0, v39
	v_cmp_eq_u32_e32 vcc_lo, 0, v177
	s_and_b32 s23, s22, vcc_lo
	s_and_saveexec_b32 s22, s23
	s_cbranch_execz .LBB297_455
; %bb.454:                              ;   in Loop: Header=BB297_410 Depth=2
	s_waitcnt lgkmcnt(0)
	v_bcnt_u32_b32 v39, v39, v176
	ds_write_b32 v179, v39 offset:544
.LBB297_455:                            ;   in Loop: Header=BB297_410 Depth=2
	s_or_b32 exec_lo, exec_lo, s22
	v_lshrrev_b32_e32 v178, 24, v140
	; wave barrier
	v_lshrrev_b32_e32 v39, s61, v178
	v_and_b32_e32 v40, s62, v39
	v_and_b32_e32 v39, 1, v40
	v_lshlrev_b32_e32 v180, 30, v40
	v_lshlrev_b32_e32 v181, 29, v40
	;; [unrolled: 1-line block ×4, first 2 shown]
	v_add_co_u32 v39, s22, v39, -1
	v_cndmask_b32_e64 v182, 0, 1, s22
	v_not_b32_e32 v186, v180
	v_cmp_gt_i32_e64 s22, 0, v180
	v_not_b32_e32 v180, v181
	v_lshlrev_b32_e32 v185, 26, v40
	v_cmp_ne_u32_e32 vcc_lo, 0, v182
	v_ashrrev_i32_e32 v186, 31, v186
	v_lshlrev_b32_e32 v182, 25, v40
	v_ashrrev_i32_e32 v180, 31, v180
	v_xor_b32_e32 v39, vcc_lo, v39
	v_cmp_gt_i32_e32 vcc_lo, 0, v181
	v_not_b32_e32 v181, v183
	v_xor_b32_e32 v186, s22, v186
	v_cmp_gt_i32_e64 s22, 0, v183
	v_and_b32_e32 v39, exec_lo, v39
	v_not_b32_e32 v183, v184
	v_ashrrev_i32_e32 v181, 31, v181
	v_xor_b32_e32 v180, vcc_lo, v180
	v_cmp_gt_i32_e32 vcc_lo, 0, v184
	v_and_b32_e32 v39, v39, v186
	v_not_b32_e32 v184, v185
	v_ashrrev_i32_e32 v183, 31, v183
	v_xor_b32_e32 v181, s22, v181
	v_cmp_gt_i32_e64 s22, 0, v185
	v_and_b32_e32 v39, v39, v180
	v_not_b32_e32 v180, v182
	v_ashrrev_i32_e32 v184, 31, v184
	v_xor_b32_e32 v183, vcc_lo, v183
	v_cmp_gt_i32_e32 vcc_lo, 0, v182
	v_and_b32_e32 v39, v39, v181
	v_ashrrev_i32_e32 v180, 31, v180
	v_xor_b32_e32 v181, s22, v184
	v_mad_u32_u24 v182, v40, 36, v116
	v_mul_u32_u24_e32 v40, 36, v40
	v_and_b32_e32 v39, v39, v183
	v_xor_b32_e32 v183, vcc_lo, v180
	ds_read_b32 v180, v182 offset:544
	v_add_nc_u32_e32 v182, v116, v40
	v_and_b32_e32 v39, v39, v181
	; wave barrier
	v_and_b32_e32 v39, v39, v183
	v_mbcnt_lo_u32_b32 v181, v39, 0
	v_cmp_ne_u32_e64 s22, 0, v39
	v_cmp_eq_u32_e32 vcc_lo, 0, v181
	s_and_b32 s23, s22, vcc_lo
	s_and_saveexec_b32 s22, s23
	s_cbranch_execz .LBB297_457
; %bb.456:                              ;   in Loop: Header=BB297_410 Depth=2
	s_waitcnt lgkmcnt(0)
	v_bcnt_u32_b32 v39, v39, v180
	ds_write_b32 v182, v39 offset:544
.LBB297_457:                            ;   in Loop: Header=BB297_410 Depth=2
	s_or_b32 exec_lo, exec_lo, s22
	v_xor_b32_e32 v39, 0x7f, v137
	; wave barrier
	v_and_b32_sdwa v40, v92, v39 dst_sel:DWORD dst_unused:UNUSED_PAD src0_sel:DWORD src1_sel:BYTE_0
	v_lshrrev_b32_e32 v40, s61, v40
	v_and_b32_e32 v184, s62, v40
	v_and_b32_e32 v40, 1, v184
	v_lshlrev_b32_e32 v137, 30, v184
	v_lshlrev_b32_e32 v183, 29, v184
	;; [unrolled: 1-line block ×4, first 2 shown]
	v_add_co_u32 v40, s22, v40, -1
	v_cndmask_b32_e64 v185, 0, 1, s22
	v_not_b32_e32 v189, v137
	v_cmp_gt_i32_e64 s22, 0, v137
	v_not_b32_e32 v137, v183
	v_lshlrev_b32_e32 v188, 26, v184
	v_cmp_ne_u32_e32 vcc_lo, 0, v185
	v_ashrrev_i32_e32 v189, 31, v189
	v_lshlrev_b32_e32 v185, 25, v184
	v_ashrrev_i32_e32 v137, 31, v137
	v_xor_b32_e32 v40, vcc_lo, v40
	v_cmp_gt_i32_e32 vcc_lo, 0, v183
	v_not_b32_e32 v183, v186
	v_xor_b32_e32 v189, s22, v189
	v_cmp_gt_i32_e64 s22, 0, v186
	v_and_b32_e32 v40, exec_lo, v40
	v_not_b32_e32 v186, v187
	v_ashrrev_i32_e32 v183, 31, v183
	v_xor_b32_e32 v137, vcc_lo, v137
	v_cmp_gt_i32_e32 vcc_lo, 0, v187
	v_and_b32_e32 v40, v40, v189
	v_not_b32_e32 v187, v188
	v_ashrrev_i32_e32 v186, 31, v186
	v_xor_b32_e32 v183, s22, v183
	v_cmp_gt_i32_e64 s22, 0, v188
	v_and_b32_e32 v40, v40, v137
	v_not_b32_e32 v137, v185
	v_ashrrev_i32_e32 v187, 31, v187
	v_xor_b32_e32 v186, vcc_lo, v186
	v_cmp_gt_i32_e32 vcc_lo, 0, v185
	v_and_b32_e32 v40, v40, v183
	v_ashrrev_i32_e32 v137, 31, v137
	v_xor_b32_e32 v183, s22, v187
	v_mad_u32_u24 v185, v184, 36, v116
	v_mul_u32_u24_e32 v184, 36, v184
	v_and_b32_e32 v40, v40, v186
	v_xor_b32_e32 v186, vcc_lo, v137
	ds_read_b32 v137, v185 offset:544
	v_add_nc_u32_e32 v185, v116, v184
	v_and_b32_e32 v40, v40, v183
	; wave barrier
	v_and_b32_e32 v40, v40, v186
	v_mbcnt_lo_u32_b32 v183, v40, 0
	v_cmp_ne_u32_e64 s22, 0, v40
	v_cmp_eq_u32_e32 vcc_lo, 0, v183
	s_and_b32 s23, s22, vcc_lo
	s_and_saveexec_b32 s22, s23
	s_cbranch_execz .LBB297_459
; %bb.458:                              ;   in Loop: Header=BB297_410 Depth=2
	s_waitcnt lgkmcnt(0)
	v_bcnt_u32_b32 v40, v40, v137
	ds_write_b32 v185, v40 offset:544
.LBB297_459:                            ;   in Loop: Header=BB297_410 Depth=2
	s_or_b32 exec_lo, exec_lo, s22
	v_xor_b32_sdwa v3, v3, v93 dst_sel:BYTE_1 dst_unused:UNUSED_PAD src0_sel:DWORD src1_sel:DWORD
	v_xor_b32_e32 v40, 0x7f, v41
	v_xor_b32_sdwa v41, v42, v93 dst_sel:BYTE_1 dst_unused:UNUSED_PAD src0_sel:DWORD src1_sel:DWORD
	; wave barrier
	v_or_b32_sdwa v184, v39, v3 dst_sel:DWORD dst_unused:UNUSED_PAD src0_sel:BYTE_0 src1_sel:DWORD
	v_or_b32_sdwa v3, v40, v41 dst_sel:WORD_1 dst_unused:UNUSED_PAD src0_sel:BYTE_0 src1_sel:DWORD
	v_or_b32_sdwa v3, v184, v3 dst_sel:DWORD dst_unused:UNUSED_PAD src0_sel:WORD_0 src1_sel:DWORD
	v_lshrrev_b32_sdwa v39, s61, v3 dst_sel:DWORD dst_unused:UNUSED_PAD src0_sel:DWORD src1_sel:BYTE_1
	v_and_b32_e32 v40, s62, v39
	v_and_b32_e32 v39, 1, v40
	v_lshlrev_b32_e32 v41, 30, v40
	v_lshlrev_b32_e32 v42, 29, v40
	;; [unrolled: 1-line block ×4, first 2 shown]
	v_add_co_u32 v39, s22, v39, -1
	v_cndmask_b32_e64 v186, 0, 1, s22
	v_not_b32_e32 v190, v41
	v_cmp_gt_i32_e64 s22, 0, v41
	v_not_b32_e32 v41, v42
	v_lshlrev_b32_e32 v189, 26, v40
	v_cmp_ne_u32_e32 vcc_lo, 0, v186
	v_ashrrev_i32_e32 v190, 31, v190
	v_lshlrev_b32_e32 v186, 25, v40
	v_ashrrev_i32_e32 v41, 31, v41
	v_xor_b32_e32 v39, vcc_lo, v39
	v_cmp_gt_i32_e32 vcc_lo, 0, v42
	v_not_b32_e32 v42, v187
	v_xor_b32_e32 v190, s22, v190
	v_cmp_gt_i32_e64 s22, 0, v187
	v_and_b32_e32 v39, exec_lo, v39
	v_not_b32_e32 v187, v188
	v_ashrrev_i32_e32 v42, 31, v42
	v_xor_b32_e32 v41, vcc_lo, v41
	v_cmp_gt_i32_e32 vcc_lo, 0, v188
	v_and_b32_e32 v39, v39, v190
	v_not_b32_e32 v188, v189
	v_ashrrev_i32_e32 v187, 31, v187
	v_xor_b32_e32 v42, s22, v42
	v_cmp_gt_i32_e64 s22, 0, v189
	v_and_b32_e32 v39, v39, v41
	v_not_b32_e32 v41, v186
	v_ashrrev_i32_e32 v188, 31, v188
	v_xor_b32_e32 v187, vcc_lo, v187
	v_cmp_gt_i32_e32 vcc_lo, 0, v186
	v_and_b32_e32 v39, v39, v42
	v_ashrrev_i32_e32 v41, 31, v41
	v_xor_b32_e32 v42, s22, v188
	v_mad_u32_u24 v186, v40, 36, v116
	v_mul_u32_u24_e32 v40, 36, v40
	v_and_b32_e32 v39, v39, v187
	v_xor_b32_e32 v41, vcc_lo, v41
	ds_read_b32 v186, v186 offset:544
	v_add_nc_u32_e32 v188, v116, v40
	v_and_b32_e32 v39, v39, v42
	; wave barrier
	v_and_b32_e32 v39, v39, v41
	v_mbcnt_lo_u32_b32 v187, v39, 0
	v_cmp_ne_u32_e64 s22, 0, v39
	v_cmp_eq_u32_e32 vcc_lo, 0, v187
	s_and_b32 s23, s22, vcc_lo
	s_and_saveexec_b32 s22, s23
	s_cbranch_execz .LBB297_461
; %bb.460:                              ;   in Loop: Header=BB297_410 Depth=2
	s_waitcnt lgkmcnt(0)
	v_bcnt_u32_b32 v39, v39, v186
	ds_write_b32 v188, v39 offset:544
.LBB297_461:                            ;   in Loop: Header=BB297_410 Depth=2
	s_or_b32 exec_lo, exec_lo, s22
	v_lshrrev_b32_sdwa v39, s61, v3 dst_sel:DWORD dst_unused:UNUSED_PAD src0_sel:DWORD src1_sel:BYTE_2
	; wave barrier
	v_and_b32_e32 v40, s62, v39
	v_and_b32_e32 v39, 1, v40
	v_lshlrev_b32_e32 v41, 30, v40
	v_lshlrev_b32_e32 v42, 29, v40
	;; [unrolled: 1-line block ×4, first 2 shown]
	v_add_co_u32 v39, s22, v39, -1
	v_cndmask_b32_e64 v189, 0, 1, s22
	v_not_b32_e32 v193, v41
	v_cmp_gt_i32_e64 s22, 0, v41
	v_not_b32_e32 v41, v42
	v_lshlrev_b32_e32 v192, 26, v40
	v_cmp_ne_u32_e32 vcc_lo, 0, v189
	v_ashrrev_i32_e32 v193, 31, v193
	v_lshlrev_b32_e32 v189, 25, v40
	v_ashrrev_i32_e32 v41, 31, v41
	v_xor_b32_e32 v39, vcc_lo, v39
	v_cmp_gt_i32_e32 vcc_lo, 0, v42
	v_not_b32_e32 v42, v190
	v_xor_b32_e32 v193, s22, v193
	v_cmp_gt_i32_e64 s22, 0, v190
	v_and_b32_e32 v39, exec_lo, v39
	v_not_b32_e32 v190, v191
	v_ashrrev_i32_e32 v42, 31, v42
	v_xor_b32_e32 v41, vcc_lo, v41
	v_cmp_gt_i32_e32 vcc_lo, 0, v191
	v_and_b32_e32 v39, v39, v193
	v_not_b32_e32 v191, v192
	v_ashrrev_i32_e32 v190, 31, v190
	v_xor_b32_e32 v42, s22, v42
	v_cmp_gt_i32_e64 s22, 0, v192
	v_and_b32_e32 v39, v39, v41
	v_not_b32_e32 v41, v189
	v_ashrrev_i32_e32 v191, 31, v191
	v_xor_b32_e32 v190, vcc_lo, v190
	v_cmp_gt_i32_e32 vcc_lo, 0, v189
	v_and_b32_e32 v39, v39, v42
	v_ashrrev_i32_e32 v41, 31, v41
	v_xor_b32_e32 v42, s22, v191
	v_mad_u32_u24 v189, v40, 36, v116
	v_mul_u32_u24_e32 v40, 36, v40
	v_and_b32_e32 v39, v39, v190
	v_xor_b32_e32 v41, vcc_lo, v41
	ds_read_b32 v189, v189 offset:544
	v_add_nc_u32_e32 v192, v116, v40
	v_and_b32_e32 v39, v39, v42
	; wave barrier
	v_and_b32_e32 v39, v39, v41
	v_mbcnt_lo_u32_b32 v190, v39, 0
	v_cmp_ne_u32_e64 s22, 0, v39
	v_cmp_eq_u32_e32 vcc_lo, 0, v190
	s_and_b32 s23, s22, vcc_lo
	s_and_saveexec_b32 s22, s23
	s_cbranch_execz .LBB297_463
; %bb.462:                              ;   in Loop: Header=BB297_410 Depth=2
	s_waitcnt lgkmcnt(0)
	v_bcnt_u32_b32 v39, v39, v189
	ds_write_b32 v192, v39 offset:544
.LBB297_463:                            ;   in Loop: Header=BB297_410 Depth=2
	s_or_b32 exec_lo, exec_lo, s22
	v_lshrrev_b32_e32 v191, 24, v3
	; wave barrier
	v_lshrrev_b32_e32 v39, s61, v191
	v_and_b32_e32 v40, s62, v39
	v_and_b32_e32 v39, 1, v40
	v_lshlrev_b32_e32 v41, 30, v40
	v_lshlrev_b32_e32 v42, 29, v40
	;; [unrolled: 1-line block ×4, first 2 shown]
	v_add_co_u32 v39, s22, v39, -1
	v_cndmask_b32_e64 v193, 0, 1, s22
	v_not_b32_e32 v197, v41
	v_cmp_gt_i32_e64 s22, 0, v41
	v_not_b32_e32 v41, v42
	v_lshlrev_b32_e32 v196, 26, v40
	v_cmp_ne_u32_e32 vcc_lo, 0, v193
	v_ashrrev_i32_e32 v197, 31, v197
	v_lshlrev_b32_e32 v193, 25, v40
	v_ashrrev_i32_e32 v41, 31, v41
	v_xor_b32_e32 v39, vcc_lo, v39
	v_cmp_gt_i32_e32 vcc_lo, 0, v42
	v_not_b32_e32 v42, v194
	v_xor_b32_e32 v197, s22, v197
	v_cmp_gt_i32_e64 s22, 0, v194
	v_and_b32_e32 v39, exec_lo, v39
	v_not_b32_e32 v194, v195
	v_ashrrev_i32_e32 v42, 31, v42
	v_xor_b32_e32 v41, vcc_lo, v41
	v_cmp_gt_i32_e32 vcc_lo, 0, v195
	v_and_b32_e32 v39, v39, v197
	v_not_b32_e32 v195, v196
	v_ashrrev_i32_e32 v194, 31, v194
	v_xor_b32_e32 v42, s22, v42
	v_cmp_gt_i32_e64 s22, 0, v196
	v_and_b32_e32 v39, v39, v41
	v_not_b32_e32 v41, v193
	v_ashrrev_i32_e32 v195, 31, v195
	v_xor_b32_e32 v194, vcc_lo, v194
	v_cmp_gt_i32_e32 vcc_lo, 0, v193
	v_and_b32_e32 v39, v39, v42
	v_ashrrev_i32_e32 v41, 31, v41
	v_xor_b32_e32 v42, s22, v195
	v_mad_u32_u24 v193, v40, 36, v116
	v_mul_u32_u24_e32 v40, 36, v40
	v_and_b32_e32 v39, v39, v194
	v_xor_b32_e32 v41, vcc_lo, v41
	ds_read_b32 v193, v193 offset:544
	v_add_nc_u32_e32 v195, v116, v40
	v_and_b32_e32 v39, v39, v42
	; wave barrier
	v_and_b32_e32 v39, v39, v41
	v_mbcnt_lo_u32_b32 v194, v39, 0
	v_cmp_ne_u32_e64 s22, 0, v39
	v_cmp_eq_u32_e32 vcc_lo, 0, v194
	s_and_b32 s23, s22, vcc_lo
	s_and_saveexec_b32 s22, s23
	s_cbranch_execz .LBB297_465
; %bb.464:                              ;   in Loop: Header=BB297_410 Depth=2
	s_waitcnt lgkmcnt(0)
	v_bcnt_u32_b32 v39, v39, v193
	ds_write_b32 v195, v39 offset:544
.LBB297_465:                            ;   in Loop: Header=BB297_410 Depth=2
	s_or_b32 exec_lo, exec_lo, s22
	v_xor_b32_e32 v117, 0x7f, v117
	; wave barrier
	v_lshrrev_b32_sdwa v39, s61, v117 dst_sel:DWORD dst_unused:UNUSED_PAD src0_sel:DWORD src1_sel:BYTE_0
	v_and_b32_e32 v40, s62, v39
	v_and_b32_e32 v39, 1, v40
	v_lshlrev_b32_e32 v41, 30, v40
	v_lshlrev_b32_e32 v42, 29, v40
	;; [unrolled: 1-line block ×4, first 2 shown]
	v_add_co_u32 v39, s22, v39, -1
	v_cndmask_b32_e64 v196, 0, 1, s22
	v_not_b32_e32 v200, v41
	v_cmp_gt_i32_e64 s22, 0, v41
	v_not_b32_e32 v41, v42
	v_lshlrev_b32_e32 v199, 26, v40
	v_cmp_ne_u32_e32 vcc_lo, 0, v196
	v_ashrrev_i32_e32 v200, 31, v200
	v_lshlrev_b32_e32 v196, 25, v40
	v_ashrrev_i32_e32 v41, 31, v41
	v_xor_b32_e32 v39, vcc_lo, v39
	v_cmp_gt_i32_e32 vcc_lo, 0, v42
	v_not_b32_e32 v42, v197
	v_xor_b32_e32 v200, s22, v200
	v_cmp_gt_i32_e64 s22, 0, v197
	v_and_b32_e32 v39, exec_lo, v39
	v_not_b32_e32 v197, v198
	v_ashrrev_i32_e32 v42, 31, v42
	v_xor_b32_e32 v41, vcc_lo, v41
	v_cmp_gt_i32_e32 vcc_lo, 0, v198
	v_and_b32_e32 v39, v39, v200
	v_not_b32_e32 v198, v199
	v_ashrrev_i32_e32 v197, 31, v197
	v_xor_b32_e32 v42, s22, v42
	v_cmp_gt_i32_e64 s22, 0, v199
	v_and_b32_e32 v39, v39, v41
	v_not_b32_e32 v41, v196
	v_ashrrev_i32_e32 v198, 31, v198
	v_xor_b32_e32 v197, vcc_lo, v197
	v_cmp_gt_i32_e32 vcc_lo, 0, v196
	v_and_b32_e32 v39, v39, v42
	v_ashrrev_i32_e32 v41, 31, v41
	v_xor_b32_e32 v42, s22, v198
	v_mad_u32_u24 v196, v40, 36, v116
	v_mul_u32_u24_e32 v40, 36, v40
	v_and_b32_e32 v39, v39, v197
	v_xor_b32_e32 v41, vcc_lo, v41
	ds_read_b32 v196, v196 offset:544
	v_add_nc_u32_e32 v198, v116, v40
	v_and_b32_e32 v39, v39, v42
	; wave barrier
	v_and_b32_e32 v39, v39, v41
	v_mbcnt_lo_u32_b32 v197, v39, 0
	v_cmp_ne_u32_e64 s22, 0, v39
	v_cmp_eq_u32_e32 vcc_lo, 0, v197
	s_and_b32 s23, s22, vcc_lo
	s_and_saveexec_b32 s22, s23
	s_cbranch_execz .LBB297_467
; %bb.466:                              ;   in Loop: Header=BB297_410 Depth=2
	s_waitcnt lgkmcnt(0)
	v_bcnt_u32_b32 v39, v39, v196
	ds_write_b32 v198, v39 offset:544
.LBB297_467:                            ;   in Loop: Header=BB297_410 Depth=2
	s_or_b32 exec_lo, exec_lo, s22
	; wave barrier
	s_waitcnt lgkmcnt(0)
	s_barrier
	buffer_gl0_inv
	ds_read2_b32 v[41:42], v69 offset0:136 offset1:137
	ds_read2_b32 v[39:40], v69 offset0:138 offset1:139
	ds_read_b32 v199, v69 offset:560
	s_waitcnt lgkmcnt(1)
	v_add3_u32 v200, v42, v41, v39
	s_waitcnt lgkmcnt(0)
	v_add3_u32 v199, v200, v40, v199
	v_mov_b32_dpp v200, v199 row_shr:1 row_mask:0xf bank_mask:0xf
	v_cndmask_b32_e64 v200, v200, 0, s5
	v_add_nc_u32_e32 v199, v200, v199
	v_mov_b32_dpp v200, v199 row_shr:2 row_mask:0xf bank_mask:0xf
	v_cndmask_b32_e64 v200, 0, v200, s14
	v_add_nc_u32_e32 v199, v199, v200
	;; [unrolled: 3-line block ×4, first 2 shown]
	ds_swizzle_b32 v200, v199 offset:swizzle(BROADCAST,32,15)
	s_waitcnt lgkmcnt(0)
	v_cndmask_b32_e64 v200, v200, 0, s17
	v_add_nc_u32_e32 v199, v199, v200
	s_and_saveexec_b32 s22, s4
; %bb.468:                              ;   in Loop: Header=BB297_410 Depth=2
	ds_write_b32 v62, v199 offset:512
; %bb.469:                              ;   in Loop: Header=BB297_410 Depth=2
	s_or_b32 exec_lo, exec_lo, s22
	s_waitcnt lgkmcnt(0)
	s_barrier
	buffer_gl0_inv
	s_and_saveexec_b32 s22, s11
	s_cbranch_execz .LBB297_471
; %bb.470:                              ;   in Loop: Header=BB297_410 Depth=2
	ds_read_b32 v200, v70 offset:512
	s_waitcnt lgkmcnt(0)
	v_mov_b32_dpp v201, v200 row_shr:1 row_mask:0xf bank_mask:0xf
	v_cndmask_b32_e64 v201, v201, 0, s19
	v_add_nc_u32_e32 v200, v201, v200
	v_mov_b32_dpp v201, v200 row_shr:2 row_mask:0xf bank_mask:0xf
	v_cndmask_b32_e64 v201, 0, v201, s20
	v_add_nc_u32_e32 v200, v200, v201
	;; [unrolled: 3-line block ×3, first 2 shown]
	ds_write_b32 v70, v200 offset:512
.LBB297_471:                            ;   in Loop: Header=BB297_410 Depth=2
	s_or_b32 exec_lo, exec_lo, s22
	v_mov_b32_e32 v200, 0
	s_waitcnt lgkmcnt(0)
	s_barrier
	buffer_gl0_inv
	s_and_saveexec_b32 s22, s10
; %bb.472:                              ;   in Loop: Header=BB297_410 Depth=2
	ds_read_b32 v200, v62 offset:508
; %bb.473:                              ;   in Loop: Header=BB297_410 Depth=2
	s_or_b32 exec_lo, exec_lo, s22
	s_waitcnt lgkmcnt(0)
	v_add_nc_u32_e32 v199, v200, v199
	ds_bpermute_b32 v199, v94, v199
	s_waitcnt lgkmcnt(0)
	v_cndmask_b32_e64 v199, v199, v200, s18
	v_cndmask_b32_e64 v199, v199, 0, s12
	v_add_nc_u32_e32 v41, v199, v41
	v_add_nc_u32_e32 v42, v41, v42
	;; [unrolled: 1-line block ×4, first 2 shown]
	ds_write2_b32 v69, v199, v41 offset0:136 offset1:137
	ds_write2_b32 v69, v42, v39 offset0:138 offset1:139
	ds_write_b32 v69, v40 offset:560
	s_waitcnt lgkmcnt(0)
	s_barrier
	buffer_gl0_inv
	ds_read_b32 v39, v149 offset:544
	ds_read_b32 v40, v153 offset:544
	;; [unrolled: 1-line block ×17, first 2 shown]
	s_and_saveexec_b32 s22, s7
	s_cbranch_execz .LBB297_477
; %bb.474:                              ;   in Loop: Header=BB297_410 Depth=2
	v_add_nc_u32_e32 v135, v70, v72
	v_mov_b32_e32 v136, 0x1100
	ds_read_b32 v135, v135 offset:544
	s_and_saveexec_b32 s23, s13
; %bb.475:                              ;   in Loop: Header=BB297_410 Depth=2
	ds_read_b32 v136, v71 offset:544
; %bb.476:                              ;   in Loop: Header=BB297_410 Depth=2
	s_or_b32 exec_lo, exec_lo, s23
	s_waitcnt lgkmcnt(0)
	v_sub_nc_u32_e32 v136, v136, v135
.LBB297_477:                            ;   in Loop: Header=BB297_410 Depth=2
	s_or_b32 exec_lo, exec_lo, s22
	v_lshrrev_b32_e32 v203, 8, v148
	v_lshrrev_b32_e32 v204, 16, v148
	;; [unrolled: 1-line block ×8, first 2 shown]
	s_waitcnt lgkmcnt(0)
	s_barrier
	buffer_gl0_inv
	s_and_saveexec_b32 s22, s7
	s_cbranch_execz .LBB297_479
; %bb.478:                              ;   in Loop: Header=BB297_410 Depth=2
	ds_read_b32 v3, v43
	s_waitcnt lgkmcnt(0)
	v_sub_nc_u32_e32 v3, v3, v135
	ds_write_b32 v43, v3
.LBB297_479:                            ;   in Loop: Header=BB297_410 Depth=2
	s_or_b32 exec_lo, exec_lo, s22
	v_add_nc_u32_e32 v157, v39, v146
	v_add3_u32 v153, v152, v151, v40
	v_add3_u32 v152, v155, v154, v41
	;; [unrolled: 1-line block ×16, first 2 shown]
	v_cmp_lt_u32_e64 s39, v0, v138
	ds_write_b8 v157, v147 offset:512
	ds_write_b8 v153, v203 offset:512
	;; [unrolled: 1-line block ×17, first 2 shown]
	s_waitcnt lgkmcnt(0)
	s_barrier
	buffer_gl0_inv
	s_and_saveexec_b32 s22, s39
	s_cbranch_execnz .LBB297_552
; %bb.480:                              ;   in Loop: Header=BB297_410 Depth=2
	s_or_b32 exec_lo, exec_lo, s22
	v_cmp_lt_u32_e64 s38, v44, v138
	s_and_saveexec_b32 s22, s38
	s_cbranch_execnz .LBB297_553
.LBB297_481:                            ;   in Loop: Header=BB297_410 Depth=2
	s_or_b32 exec_lo, exec_lo, s22
	v_cmp_lt_u32_e64 s37, v47, v138
	s_and_saveexec_b32 s22, s37
	s_cbranch_execnz .LBB297_554
.LBB297_482:                            ;   in Loop: Header=BB297_410 Depth=2
	s_or_b32 exec_lo, exec_lo, s22
	v_cmp_lt_u32_e64 s36, v48, v138
	s_and_saveexec_b32 s22, s36
	s_cbranch_execnz .LBB297_555
.LBB297_483:                            ;   in Loop: Header=BB297_410 Depth=2
	s_or_b32 exec_lo, exec_lo, s22
	v_cmp_lt_u32_e64 s35, v49, v138
	s_and_saveexec_b32 s22, s35
	s_cbranch_execnz .LBB297_556
.LBB297_484:                            ;   in Loop: Header=BB297_410 Depth=2
	s_or_b32 exec_lo, exec_lo, s22
	v_cmp_lt_u32_e64 s34, v50, v138
	s_and_saveexec_b32 s22, s34
	s_cbranch_execnz .LBB297_557
.LBB297_485:                            ;   in Loop: Header=BB297_410 Depth=2
	s_or_b32 exec_lo, exec_lo, s22
	v_cmp_lt_u32_e64 s33, v51, v138
	s_and_saveexec_b32 s22, s33
	s_cbranch_execnz .LBB297_558
.LBB297_486:                            ;   in Loop: Header=BB297_410 Depth=2
	s_or_b32 exec_lo, exec_lo, s22
	v_cmp_lt_u32_e64 s31, v52, v138
	s_and_saveexec_b32 s22, s31
	s_cbranch_execnz .LBB297_559
.LBB297_487:                            ;   in Loop: Header=BB297_410 Depth=2
	s_or_b32 exec_lo, exec_lo, s22
	v_cmp_lt_u32_e64 s30, v53, v138
	s_and_saveexec_b32 s22, s30
	s_cbranch_execnz .LBB297_560
.LBB297_488:                            ;   in Loop: Header=BB297_410 Depth=2
	s_or_b32 exec_lo, exec_lo, s22
	v_cmp_lt_u32_e64 s29, v54, v138
	s_and_saveexec_b32 s22, s29
	s_cbranch_execnz .LBB297_561
.LBB297_489:                            ;   in Loop: Header=BB297_410 Depth=2
	s_or_b32 exec_lo, exec_lo, s22
	v_cmp_lt_u32_e64 s27, v55, v138
	s_and_saveexec_b32 s22, s27
	s_cbranch_execnz .LBB297_562
.LBB297_490:                            ;   in Loop: Header=BB297_410 Depth=2
	s_or_b32 exec_lo, exec_lo, s22
	v_cmp_lt_u32_e64 s26, v56, v138
	s_and_saveexec_b32 s22, s26
	s_cbranch_execnz .LBB297_563
.LBB297_491:                            ;   in Loop: Header=BB297_410 Depth=2
	s_or_b32 exec_lo, exec_lo, s22
	v_cmp_lt_u32_e64 s25, v57, v138
	s_and_saveexec_b32 s22, s25
	s_cbranch_execnz .LBB297_564
.LBB297_492:                            ;   in Loop: Header=BB297_410 Depth=2
	s_or_b32 exec_lo, exec_lo, s22
	v_cmp_lt_u32_e64 s24, v58, v138
	s_and_saveexec_b32 s22, s24
	s_cbranch_execnz .LBB297_565
.LBB297_493:                            ;   in Loop: Header=BB297_410 Depth=2
	s_or_b32 exec_lo, exec_lo, s22
	v_cmp_lt_u32_e64 s23, v59, v138
	s_and_saveexec_b32 s22, s23
	s_cbranch_execnz .LBB297_566
.LBB297_494:                            ;   in Loop: Header=BB297_410 Depth=2
	s_or_b32 exec_lo, exec_lo, s22
	v_cmp_lt_u32_e64 s22, v60, v138
	s_and_saveexec_b32 s40, s22
	s_cbranch_execnz .LBB297_567
.LBB297_495:                            ;   in Loop: Header=BB297_410 Depth=2
	s_or_b32 exec_lo, exec_lo, s40
	v_cmp_lt_u32_e32 vcc_lo, v61, v138
	s_and_saveexec_b32 s40, vcc_lo
	s_cbranch_execz .LBB297_497
.LBB297_496:                            ;   in Loop: Header=BB297_410 Depth=2
	ds_read_u8 v39, v0 offset:4608
	s_waitcnt lgkmcnt(0)
	v_lshrrev_b32_sdwa v40, s61, v39 dst_sel:DWORD dst_unused:UNUSED_PAD src0_sel:DWORD src1_sel:BYTE_0
	v_xor_b32_e32 v39, 0x7f, v39
	v_and_b32_e32 v40, s62, v40
	v_lshlrev_b32_e32 v40, 2, v40
	ds_read_b32 v40, v40
	s_waitcnt lgkmcnt(0)
	v_add_nc_u32_e32 v40, v40, v61
	global_store_byte v40, v39, s[48:49]
.LBB297_497:                            ;   in Loop: Header=BB297_410 Depth=2
	s_or_b32 exec_lo, exec_lo, s40
	s_lshl_b64 s[66:67], s[50:51], 3
	v_add_co_u32 v39, s40, v98, s66
	v_add_co_ci_u32_e64 v40, null, s67, v99, s40
	v_cmp_lt_u32_e64 s40, v95, v138
	s_and_saveexec_b32 s50, s40
	s_xor_b32 s40, exec_lo, s50
	s_cbranch_execnz .LBB297_568
; %bb.498:                              ;   in Loop: Header=BB297_410 Depth=2
	s_or_b32 exec_lo, exec_lo, s40
	s_mov_b32 s50, exec_lo
	v_cmpx_lt_u32_e64 v100, v138
	s_cbranch_execnz .LBB297_569
.LBB297_499:                            ;   in Loop: Header=BB297_410 Depth=2
	s_or_b32 exec_lo, exec_lo, s50
	s_mov_b32 s50, exec_lo
	v_cmpx_lt_u32_e64 v101, v138
	s_cbranch_execnz .LBB297_570
.LBB297_500:                            ;   in Loop: Header=BB297_410 Depth=2
	s_or_b32 exec_lo, exec_lo, s50
	s_mov_b32 s50, exec_lo
	v_cmpx_lt_u32_e64 v102, v138
	s_cbranch_execnz .LBB297_571
.LBB297_501:                            ;   in Loop: Header=BB297_410 Depth=2
	s_or_b32 exec_lo, exec_lo, s50
	s_mov_b32 s50, exec_lo
	v_cmpx_lt_u32_e64 v103, v138
	s_cbranch_execnz .LBB297_572
.LBB297_502:                            ;   in Loop: Header=BB297_410 Depth=2
	s_or_b32 exec_lo, exec_lo, s50
	s_mov_b32 s50, exec_lo
	v_cmpx_lt_u32_e64 v104, v138
	s_cbranch_execnz .LBB297_573
.LBB297_503:                            ;   in Loop: Header=BB297_410 Depth=2
	s_or_b32 exec_lo, exec_lo, s50
	s_mov_b32 s50, exec_lo
	v_cmpx_lt_u32_e64 v105, v138
	s_cbranch_execnz .LBB297_574
.LBB297_504:                            ;   in Loop: Header=BB297_410 Depth=2
	s_or_b32 exec_lo, exec_lo, s50
	s_mov_b32 s50, exec_lo
	v_cmpx_lt_u32_e64 v106, v138
	s_cbranch_execnz .LBB297_575
.LBB297_505:                            ;   in Loop: Header=BB297_410 Depth=2
	s_or_b32 exec_lo, exec_lo, s50
	s_mov_b32 s50, exec_lo
	v_cmpx_lt_u32_e64 v107, v138
	s_cbranch_execnz .LBB297_576
.LBB297_506:                            ;   in Loop: Header=BB297_410 Depth=2
	s_or_b32 exec_lo, exec_lo, s50
	s_mov_b32 s50, exec_lo
	v_cmpx_lt_u32_e64 v108, v138
	s_cbranch_execnz .LBB297_577
.LBB297_507:                            ;   in Loop: Header=BB297_410 Depth=2
	s_or_b32 exec_lo, exec_lo, s50
	s_mov_b32 s50, exec_lo
	v_cmpx_lt_u32_e64 v109, v138
	s_cbranch_execnz .LBB297_578
.LBB297_508:                            ;   in Loop: Header=BB297_410 Depth=2
	s_or_b32 exec_lo, exec_lo, s50
	s_mov_b32 s50, exec_lo
	v_cmpx_lt_u32_e64 v110, v138
	s_cbranch_execnz .LBB297_579
.LBB297_509:                            ;   in Loop: Header=BB297_410 Depth=2
	s_or_b32 exec_lo, exec_lo, s50
	s_mov_b32 s50, exec_lo
	v_cmpx_lt_u32_e64 v111, v138
	s_cbranch_execnz .LBB297_580
.LBB297_510:                            ;   in Loop: Header=BB297_410 Depth=2
	s_or_b32 exec_lo, exec_lo, s50
	s_mov_b32 s50, exec_lo
	v_cmpx_lt_u32_e64 v112, v138
	s_cbranch_execnz .LBB297_581
.LBB297_511:                            ;   in Loop: Header=BB297_410 Depth=2
	s_or_b32 exec_lo, exec_lo, s50
	s_mov_b32 s50, exec_lo
	v_cmpx_lt_u32_e64 v113, v138
	s_cbranch_execnz .LBB297_582
.LBB297_512:                            ;   in Loop: Header=BB297_410 Depth=2
	s_or_b32 exec_lo, exec_lo, s50
	s_mov_b32 s50, exec_lo
	v_cmpx_lt_u32_e64 v114, v138
	s_cbranch_execnz .LBB297_583
.LBB297_513:                            ;   in Loop: Header=BB297_410 Depth=2
	s_or_b32 exec_lo, exec_lo, s50
	s_mov_b32 s50, exec_lo
	v_cmpx_lt_u32_e64 v115, v138
	s_cbranch_execnz .LBB297_584
.LBB297_514:                            ;   in Loop: Header=BB297_410 Depth=2
	s_or_b32 exec_lo, exec_lo, s50
	s_and_saveexec_b32 s40, s39
	s_cbranch_execnz .LBB297_585
.LBB297_515:                            ;   in Loop: Header=BB297_410 Depth=2
	s_or_b32 exec_lo, exec_lo, s40
	s_and_saveexec_b32 s40, s38
	s_cbranch_execnz .LBB297_586
.LBB297_516:                            ;   in Loop: Header=BB297_410 Depth=2
	s_or_b32 exec_lo, exec_lo, s40
	s_and_saveexec_b32 s40, s37
	s_cbranch_execnz .LBB297_587
.LBB297_517:                            ;   in Loop: Header=BB297_410 Depth=2
	s_or_b32 exec_lo, exec_lo, s40
	s_and_saveexec_b32 s40, s36
	s_cbranch_execnz .LBB297_588
.LBB297_518:                            ;   in Loop: Header=BB297_410 Depth=2
	s_or_b32 exec_lo, exec_lo, s40
	s_and_saveexec_b32 s40, s35
	s_cbranch_execnz .LBB297_589
.LBB297_519:                            ;   in Loop: Header=BB297_410 Depth=2
	s_or_b32 exec_lo, exec_lo, s40
	s_and_saveexec_b32 s40, s34
	s_cbranch_execnz .LBB297_590
.LBB297_520:                            ;   in Loop: Header=BB297_410 Depth=2
	s_or_b32 exec_lo, exec_lo, s40
	s_and_saveexec_b32 s40, s33
	s_cbranch_execnz .LBB297_591
.LBB297_521:                            ;   in Loop: Header=BB297_410 Depth=2
	s_or_b32 exec_lo, exec_lo, s40
	s_and_saveexec_b32 s40, s31
	s_cbranch_execnz .LBB297_592
.LBB297_522:                            ;   in Loop: Header=BB297_410 Depth=2
	s_or_b32 exec_lo, exec_lo, s40
	s_and_saveexec_b32 s40, s30
	s_cbranch_execnz .LBB297_593
.LBB297_523:                            ;   in Loop: Header=BB297_410 Depth=2
	s_or_b32 exec_lo, exec_lo, s40
	s_and_saveexec_b32 s40, s29
	s_cbranch_execnz .LBB297_594
.LBB297_524:                            ;   in Loop: Header=BB297_410 Depth=2
	s_or_b32 exec_lo, exec_lo, s40
	s_and_saveexec_b32 s40, s27
	s_cbranch_execnz .LBB297_595
.LBB297_525:                            ;   in Loop: Header=BB297_410 Depth=2
	s_or_b32 exec_lo, exec_lo, s40
	s_and_saveexec_b32 s40, s26
	s_cbranch_execnz .LBB297_596
.LBB297_526:                            ;   in Loop: Header=BB297_410 Depth=2
	s_or_b32 exec_lo, exec_lo, s40
	s_and_saveexec_b32 s40, s25
	s_cbranch_execnz .LBB297_597
.LBB297_527:                            ;   in Loop: Header=BB297_410 Depth=2
	s_or_b32 exec_lo, exec_lo, s40
	s_and_saveexec_b32 s40, s24
	s_cbranch_execnz .LBB297_598
.LBB297_528:                            ;   in Loop: Header=BB297_410 Depth=2
	s_or_b32 exec_lo, exec_lo, s40
	s_and_saveexec_b32 s40, s23
	s_cbranch_execnz .LBB297_599
.LBB297_529:                            ;   in Loop: Header=BB297_410 Depth=2
	s_or_b32 exec_lo, exec_lo, s40
	s_and_saveexec_b32 s40, s22
	s_cbranch_execnz .LBB297_600
.LBB297_530:                            ;   in Loop: Header=BB297_410 Depth=2
	s_or_b32 exec_lo, exec_lo, s40
	s_and_saveexec_b32 s40, vcc_lo
	s_cbranch_execz .LBB297_532
.LBB297_531:                            ;   in Loop: Header=BB297_410 Depth=2
	ds_read_u8 v39, v0 offset:4608
	s_waitcnt lgkmcnt(0)
	v_lshrrev_b32_e32 v39, s61, v39
	v_and_b32_e32 v118, s62, v39
.LBB297_532:                            ;   in Loop: Header=BB297_410 Depth=2
	s_or_b32 exec_lo, exec_lo, s40
	v_lshlrev_b32_e32 v39, 3, v157
	v_lshlrev_b32_e32 v40, 3, v153
	s_waitcnt vmcnt(0)
	s_waitcnt_vscnt null, 0x0
	s_barrier
	buffer_gl0_inv
	ds_write_b64 v39, v[37:38] offset:512
	ds_write_b64 v40, v[35:36] offset:512
	v_lshlrev_b32_e32 v39, 3, v152
	v_lshlrev_b32_e32 v40, 3, v151
	v_lshlrev_b32_e32 v138, 3, v150
	v_lshlrev_b32_e32 v139, 3, v149
	v_lshlrev_b32_e32 v143, 3, v148
	ds_write_b64 v39, v[33:34] offset:512
	ds_write_b64 v40, v[31:32] offset:512
	ds_write_b64 v138, v[29:30] offset:512
	ds_write_b64 v139, v[25:26] offset:512
	ds_write_b64 v143, v[21:22] offset:512
	v_lshlrev_b32_e32 v39, 3, v146
	v_lshlrev_b32_e32 v40, 3, v145
	v_lshlrev_b32_e32 v138, 3, v144
	v_lshlrev_b32_e32 v139, 3, v142
	v_lshlrev_b32_e32 v141, 3, v141
	ds_write_b64 v39, v[17:18] offset:512
	ds_write_b64 v40, v[27:28] offset:512
	ds_write_b64 v138, v[23:24] offset:512
	;; [unrolled: 10-line block ×3, first 2 shown]
	ds_write_b64 v41, v[7:8] offset:512
	ds_write_b64 v3, v[5:6] offset:512
	s_waitcnt lgkmcnt(0)
	s_barrier
	buffer_gl0_inv
	s_and_saveexec_b32 s40, s39
	s_cbranch_execnz .LBB297_601
; %bb.533:                              ;   in Loop: Header=BB297_410 Depth=2
	s_or_b32 exec_lo, exec_lo, s40
	s_and_saveexec_b32 s39, s38
	s_cbranch_execnz .LBB297_602
.LBB297_534:                            ;   in Loop: Header=BB297_410 Depth=2
	s_or_b32 exec_lo, exec_lo, s39
	s_and_saveexec_b32 s38, s37
	s_cbranch_execnz .LBB297_603
.LBB297_535:                            ;   in Loop: Header=BB297_410 Depth=2
	s_or_b32 exec_lo, exec_lo, s38
	s_and_saveexec_b32 s37, s36
	s_cbranch_execnz .LBB297_604
.LBB297_536:                            ;   in Loop: Header=BB297_410 Depth=2
	s_or_b32 exec_lo, exec_lo, s37
	s_and_saveexec_b32 s36, s35
	s_cbranch_execnz .LBB297_605
.LBB297_537:                            ;   in Loop: Header=BB297_410 Depth=2
	s_or_b32 exec_lo, exec_lo, s36
	s_and_saveexec_b32 s35, s34
	s_cbranch_execnz .LBB297_606
.LBB297_538:                            ;   in Loop: Header=BB297_410 Depth=2
	s_or_b32 exec_lo, exec_lo, s35
	s_and_saveexec_b32 s34, s33
	s_cbranch_execnz .LBB297_607
.LBB297_539:                            ;   in Loop: Header=BB297_410 Depth=2
	s_or_b32 exec_lo, exec_lo, s34
	s_and_saveexec_b32 s33, s31
	s_cbranch_execnz .LBB297_608
.LBB297_540:                            ;   in Loop: Header=BB297_410 Depth=2
	s_or_b32 exec_lo, exec_lo, s33
	s_and_saveexec_b32 s31, s30
	s_cbranch_execnz .LBB297_609
.LBB297_541:                            ;   in Loop: Header=BB297_410 Depth=2
	s_or_b32 exec_lo, exec_lo, s31
	s_and_saveexec_b32 s30, s29
	s_cbranch_execnz .LBB297_610
.LBB297_542:                            ;   in Loop: Header=BB297_410 Depth=2
	s_or_b32 exec_lo, exec_lo, s30
	s_and_saveexec_b32 s29, s27
	s_cbranch_execnz .LBB297_611
.LBB297_543:                            ;   in Loop: Header=BB297_410 Depth=2
	s_or_b32 exec_lo, exec_lo, s29
	s_and_saveexec_b32 s27, s26
	s_cbranch_execnz .LBB297_612
.LBB297_544:                            ;   in Loop: Header=BB297_410 Depth=2
	s_or_b32 exec_lo, exec_lo, s27
	s_and_saveexec_b32 s26, s25
	s_cbranch_execnz .LBB297_613
.LBB297_545:                            ;   in Loop: Header=BB297_410 Depth=2
	s_or_b32 exec_lo, exec_lo, s26
	s_and_saveexec_b32 s25, s24
	s_cbranch_execnz .LBB297_614
.LBB297_546:                            ;   in Loop: Header=BB297_410 Depth=2
	s_or_b32 exec_lo, exec_lo, s25
	s_and_saveexec_b32 s24, s23
	s_cbranch_execnz .LBB297_615
.LBB297_547:                            ;   in Loop: Header=BB297_410 Depth=2
	s_or_b32 exec_lo, exec_lo, s24
	s_and_saveexec_b32 s23, s22
	s_cbranch_execnz .LBB297_616
.LBB297_548:                            ;   in Loop: Header=BB297_410 Depth=2
	s_or_b32 exec_lo, exec_lo, s23
	s_and_saveexec_b32 s22, vcc_lo
	s_cbranch_execz .LBB297_550
.LBB297_549:                            ;   in Loop: Header=BB297_410 Depth=2
	v_lshlrev_b32_e32 v3, 2, v118
	v_add_nc_u32_e32 v39, v0, v75
	ds_read_b32 v3, v3
	ds_read_b64 v[39:40], v39 offset:33280
	s_waitcnt lgkmcnt(1)
	v_add_nc_u32_e32 v3, v3, v61
	v_lshlrev_b64 v[41:42], 3, v[3:4]
	v_add_co_u32 v41, vcc_lo, s54, v41
	v_add_co_ci_u32_e64 v42, null, s55, v42, vcc_lo
	s_waitcnt lgkmcnt(0)
	global_store_dwordx2 v[41:42], v[39:40], off
.LBB297_550:                            ;   in Loop: Header=BB297_410 Depth=2
	s_or_b32 exec_lo, exec_lo, s22
	s_waitcnt_vscnt null, 0x0
	s_barrier
	buffer_gl0_inv
	s_and_saveexec_b32 s22, s7
	s_cbranch_execz .LBB297_409
; %bb.551:                              ;   in Loop: Header=BB297_410 Depth=2
	ds_read_b32 v3, v43
	s_waitcnt lgkmcnt(0)
	v_add3_u32 v3, v135, v136, v3
	ds_write_b32 v43, v3
	s_branch .LBB297_409
.LBB297_552:                            ;   in Loop: Header=BB297_410 Depth=2
	ds_read_u8 v39, v0 offset:512
	s_waitcnt lgkmcnt(0)
	v_lshrrev_b32_sdwa v40, s61, v39 dst_sel:DWORD dst_unused:UNUSED_PAD src0_sel:DWORD src1_sel:BYTE_0
	v_xor_b32_e32 v39, 0x7f, v39
	v_and_b32_e32 v40, s62, v40
	v_lshlrev_b32_e32 v40, 2, v40
	ds_read_b32 v40, v40
	s_waitcnt lgkmcnt(0)
	v_add_nc_u32_e32 v40, v40, v0
	global_store_byte v40, v39, s[48:49]
	s_or_b32 exec_lo, exec_lo, s22
	v_cmp_lt_u32_e64 s38, v44, v138
	s_and_saveexec_b32 s22, s38
	s_cbranch_execz .LBB297_481
.LBB297_553:                            ;   in Loop: Header=BB297_410 Depth=2
	ds_read_u8 v39, v0 offset:768
	s_waitcnt lgkmcnt(0)
	v_lshrrev_b32_sdwa v40, s61, v39 dst_sel:DWORD dst_unused:UNUSED_PAD src0_sel:DWORD src1_sel:BYTE_0
	v_xor_b32_e32 v39, 0x7f, v39
	v_and_b32_e32 v40, s62, v40
	v_lshlrev_b32_e32 v40, 2, v40
	ds_read_b32 v40, v40
	s_waitcnt lgkmcnt(0)
	v_add_nc_u32_e32 v40, v40, v44
	global_store_byte v40, v39, s[48:49]
	s_or_b32 exec_lo, exec_lo, s22
	v_cmp_lt_u32_e64 s37, v47, v138
	s_and_saveexec_b32 s22, s37
	s_cbranch_execz .LBB297_482
.LBB297_554:                            ;   in Loop: Header=BB297_410 Depth=2
	ds_read_u8 v39, v0 offset:1024
	s_waitcnt lgkmcnt(0)
	v_lshrrev_b32_sdwa v40, s61, v39 dst_sel:DWORD dst_unused:UNUSED_PAD src0_sel:DWORD src1_sel:BYTE_0
	v_xor_b32_e32 v39, 0x7f, v39
	v_and_b32_e32 v40, s62, v40
	v_lshlrev_b32_e32 v40, 2, v40
	ds_read_b32 v40, v40
	s_waitcnt lgkmcnt(0)
	v_add_nc_u32_e32 v40, v40, v47
	global_store_byte v40, v39, s[48:49]
	s_or_b32 exec_lo, exec_lo, s22
	v_cmp_lt_u32_e64 s36, v48, v138
	s_and_saveexec_b32 s22, s36
	s_cbranch_execz .LBB297_483
.LBB297_555:                            ;   in Loop: Header=BB297_410 Depth=2
	ds_read_u8 v39, v0 offset:1280
	s_waitcnt lgkmcnt(0)
	v_lshrrev_b32_sdwa v40, s61, v39 dst_sel:DWORD dst_unused:UNUSED_PAD src0_sel:DWORD src1_sel:BYTE_0
	v_xor_b32_e32 v39, 0x7f, v39
	v_and_b32_e32 v40, s62, v40
	v_lshlrev_b32_e32 v40, 2, v40
	ds_read_b32 v40, v40
	s_waitcnt lgkmcnt(0)
	v_add_nc_u32_e32 v40, v40, v48
	global_store_byte v40, v39, s[48:49]
	s_or_b32 exec_lo, exec_lo, s22
	v_cmp_lt_u32_e64 s35, v49, v138
	s_and_saveexec_b32 s22, s35
	s_cbranch_execz .LBB297_484
.LBB297_556:                            ;   in Loop: Header=BB297_410 Depth=2
	ds_read_u8 v39, v0 offset:1536
	s_waitcnt lgkmcnt(0)
	v_lshrrev_b32_sdwa v40, s61, v39 dst_sel:DWORD dst_unused:UNUSED_PAD src0_sel:DWORD src1_sel:BYTE_0
	v_xor_b32_e32 v39, 0x7f, v39
	v_and_b32_e32 v40, s62, v40
	v_lshlrev_b32_e32 v40, 2, v40
	ds_read_b32 v40, v40
	s_waitcnt lgkmcnt(0)
	v_add_nc_u32_e32 v40, v40, v49
	global_store_byte v40, v39, s[48:49]
	s_or_b32 exec_lo, exec_lo, s22
	v_cmp_lt_u32_e64 s34, v50, v138
	s_and_saveexec_b32 s22, s34
	s_cbranch_execz .LBB297_485
.LBB297_557:                            ;   in Loop: Header=BB297_410 Depth=2
	ds_read_u8 v39, v0 offset:1792
	s_waitcnt lgkmcnt(0)
	v_lshrrev_b32_sdwa v40, s61, v39 dst_sel:DWORD dst_unused:UNUSED_PAD src0_sel:DWORD src1_sel:BYTE_0
	v_xor_b32_e32 v39, 0x7f, v39
	v_and_b32_e32 v40, s62, v40
	v_lshlrev_b32_e32 v40, 2, v40
	ds_read_b32 v40, v40
	s_waitcnt lgkmcnt(0)
	v_add_nc_u32_e32 v40, v40, v50
	global_store_byte v40, v39, s[48:49]
	s_or_b32 exec_lo, exec_lo, s22
	v_cmp_lt_u32_e64 s33, v51, v138
	s_and_saveexec_b32 s22, s33
	s_cbranch_execz .LBB297_486
.LBB297_558:                            ;   in Loop: Header=BB297_410 Depth=2
	ds_read_u8 v39, v0 offset:2048
	s_waitcnt lgkmcnt(0)
	v_lshrrev_b32_sdwa v40, s61, v39 dst_sel:DWORD dst_unused:UNUSED_PAD src0_sel:DWORD src1_sel:BYTE_0
	v_xor_b32_e32 v39, 0x7f, v39
	v_and_b32_e32 v40, s62, v40
	v_lshlrev_b32_e32 v40, 2, v40
	ds_read_b32 v40, v40
	s_waitcnt lgkmcnt(0)
	v_add_nc_u32_e32 v40, v40, v51
	global_store_byte v40, v39, s[48:49]
	s_or_b32 exec_lo, exec_lo, s22
	v_cmp_lt_u32_e64 s31, v52, v138
	s_and_saveexec_b32 s22, s31
	s_cbranch_execz .LBB297_487
.LBB297_559:                            ;   in Loop: Header=BB297_410 Depth=2
	ds_read_u8 v39, v0 offset:2304
	s_waitcnt lgkmcnt(0)
	v_lshrrev_b32_sdwa v40, s61, v39 dst_sel:DWORD dst_unused:UNUSED_PAD src0_sel:DWORD src1_sel:BYTE_0
	v_xor_b32_e32 v39, 0x7f, v39
	v_and_b32_e32 v40, s62, v40
	v_lshlrev_b32_e32 v40, 2, v40
	ds_read_b32 v40, v40
	s_waitcnt lgkmcnt(0)
	v_add_nc_u32_e32 v40, v40, v52
	global_store_byte v40, v39, s[48:49]
	s_or_b32 exec_lo, exec_lo, s22
	v_cmp_lt_u32_e64 s30, v53, v138
	s_and_saveexec_b32 s22, s30
	s_cbranch_execz .LBB297_488
.LBB297_560:                            ;   in Loop: Header=BB297_410 Depth=2
	ds_read_u8 v39, v0 offset:2560
	s_waitcnt lgkmcnt(0)
	v_lshrrev_b32_sdwa v40, s61, v39 dst_sel:DWORD dst_unused:UNUSED_PAD src0_sel:DWORD src1_sel:BYTE_0
	v_xor_b32_e32 v39, 0x7f, v39
	v_and_b32_e32 v40, s62, v40
	v_lshlrev_b32_e32 v40, 2, v40
	ds_read_b32 v40, v40
	s_waitcnt lgkmcnt(0)
	v_add_nc_u32_e32 v40, v40, v53
	global_store_byte v40, v39, s[48:49]
	s_or_b32 exec_lo, exec_lo, s22
	v_cmp_lt_u32_e64 s29, v54, v138
	s_and_saveexec_b32 s22, s29
	s_cbranch_execz .LBB297_489
.LBB297_561:                            ;   in Loop: Header=BB297_410 Depth=2
	ds_read_u8 v39, v0 offset:2816
	s_waitcnt lgkmcnt(0)
	v_lshrrev_b32_sdwa v40, s61, v39 dst_sel:DWORD dst_unused:UNUSED_PAD src0_sel:DWORD src1_sel:BYTE_0
	v_xor_b32_e32 v39, 0x7f, v39
	v_and_b32_e32 v40, s62, v40
	v_lshlrev_b32_e32 v40, 2, v40
	ds_read_b32 v40, v40
	s_waitcnt lgkmcnt(0)
	v_add_nc_u32_e32 v40, v40, v54
	global_store_byte v40, v39, s[48:49]
	s_or_b32 exec_lo, exec_lo, s22
	v_cmp_lt_u32_e64 s27, v55, v138
	s_and_saveexec_b32 s22, s27
	s_cbranch_execz .LBB297_490
.LBB297_562:                            ;   in Loop: Header=BB297_410 Depth=2
	ds_read_u8 v39, v0 offset:3072
	s_waitcnt lgkmcnt(0)
	v_lshrrev_b32_sdwa v40, s61, v39 dst_sel:DWORD dst_unused:UNUSED_PAD src0_sel:DWORD src1_sel:BYTE_0
	v_xor_b32_e32 v39, 0x7f, v39
	v_and_b32_e32 v40, s62, v40
	v_lshlrev_b32_e32 v40, 2, v40
	ds_read_b32 v40, v40
	s_waitcnt lgkmcnt(0)
	v_add_nc_u32_e32 v40, v40, v55
	global_store_byte v40, v39, s[48:49]
	s_or_b32 exec_lo, exec_lo, s22
	v_cmp_lt_u32_e64 s26, v56, v138
	s_and_saveexec_b32 s22, s26
	s_cbranch_execz .LBB297_491
.LBB297_563:                            ;   in Loop: Header=BB297_410 Depth=2
	ds_read_u8 v39, v0 offset:3328
	s_waitcnt lgkmcnt(0)
	v_lshrrev_b32_sdwa v40, s61, v39 dst_sel:DWORD dst_unused:UNUSED_PAD src0_sel:DWORD src1_sel:BYTE_0
	v_xor_b32_e32 v39, 0x7f, v39
	v_and_b32_e32 v40, s62, v40
	v_lshlrev_b32_e32 v40, 2, v40
	ds_read_b32 v40, v40
	s_waitcnt lgkmcnt(0)
	v_add_nc_u32_e32 v40, v40, v56
	global_store_byte v40, v39, s[48:49]
	s_or_b32 exec_lo, exec_lo, s22
	v_cmp_lt_u32_e64 s25, v57, v138
	s_and_saveexec_b32 s22, s25
	s_cbranch_execz .LBB297_492
.LBB297_564:                            ;   in Loop: Header=BB297_410 Depth=2
	ds_read_u8 v39, v0 offset:3584
	s_waitcnt lgkmcnt(0)
	v_lshrrev_b32_sdwa v40, s61, v39 dst_sel:DWORD dst_unused:UNUSED_PAD src0_sel:DWORD src1_sel:BYTE_0
	v_xor_b32_e32 v39, 0x7f, v39
	v_and_b32_e32 v40, s62, v40
	v_lshlrev_b32_e32 v40, 2, v40
	ds_read_b32 v40, v40
	s_waitcnt lgkmcnt(0)
	v_add_nc_u32_e32 v40, v40, v57
	global_store_byte v40, v39, s[48:49]
	s_or_b32 exec_lo, exec_lo, s22
	v_cmp_lt_u32_e64 s24, v58, v138
	s_and_saveexec_b32 s22, s24
	s_cbranch_execz .LBB297_493
.LBB297_565:                            ;   in Loop: Header=BB297_410 Depth=2
	ds_read_u8 v39, v0 offset:3840
	s_waitcnt lgkmcnt(0)
	v_lshrrev_b32_sdwa v40, s61, v39 dst_sel:DWORD dst_unused:UNUSED_PAD src0_sel:DWORD src1_sel:BYTE_0
	v_xor_b32_e32 v39, 0x7f, v39
	v_and_b32_e32 v40, s62, v40
	v_lshlrev_b32_e32 v40, 2, v40
	ds_read_b32 v40, v40
	s_waitcnt lgkmcnt(0)
	v_add_nc_u32_e32 v40, v40, v58
	global_store_byte v40, v39, s[48:49]
	s_or_b32 exec_lo, exec_lo, s22
	v_cmp_lt_u32_e64 s23, v59, v138
	s_and_saveexec_b32 s22, s23
	s_cbranch_execz .LBB297_494
.LBB297_566:                            ;   in Loop: Header=BB297_410 Depth=2
	ds_read_u8 v39, v0 offset:4096
	s_waitcnt lgkmcnt(0)
	v_lshrrev_b32_sdwa v40, s61, v39 dst_sel:DWORD dst_unused:UNUSED_PAD src0_sel:DWORD src1_sel:BYTE_0
	v_xor_b32_e32 v39, 0x7f, v39
	v_and_b32_e32 v40, s62, v40
	v_lshlrev_b32_e32 v40, 2, v40
	ds_read_b32 v40, v40
	s_waitcnt lgkmcnt(0)
	v_add_nc_u32_e32 v40, v40, v59
	global_store_byte v40, v39, s[48:49]
	s_or_b32 exec_lo, exec_lo, s22
	v_cmp_lt_u32_e64 s22, v60, v138
	s_and_saveexec_b32 s40, s22
	s_cbranch_execz .LBB297_495
.LBB297_567:                            ;   in Loop: Header=BB297_410 Depth=2
	ds_read_u8 v39, v0 offset:4352
	s_waitcnt lgkmcnt(0)
	v_lshrrev_b32_sdwa v40, s61, v39 dst_sel:DWORD dst_unused:UNUSED_PAD src0_sel:DWORD src1_sel:BYTE_0
	v_xor_b32_e32 v39, 0x7f, v39
	v_and_b32_e32 v40, s62, v40
	v_lshlrev_b32_e32 v40, 2, v40
	ds_read_b32 v40, v40
	s_waitcnt lgkmcnt(0)
	v_add_nc_u32_e32 v40, v40, v60
	global_store_byte v40, v39, s[48:49]
	s_or_b32 exec_lo, exec_lo, s40
	v_cmp_lt_u32_e32 vcc_lo, v61, v138
	s_and_saveexec_b32 s40, vcc_lo
	s_cbranch_execnz .LBB297_496
	s_branch .LBB297_497
.LBB297_568:                            ;   in Loop: Header=BB297_410 Depth=2
	global_load_dwordx2 v[37:38], v[39:40], off
	s_or_b32 exec_lo, exec_lo, s40
	s_mov_b32 s50, exec_lo
	v_cmpx_lt_u32_e64 v100, v138
	s_cbranch_execz .LBB297_499
.LBB297_569:                            ;   in Loop: Header=BB297_410 Depth=2
	global_load_dwordx2 v[35:36], v[39:40], off offset:256
	s_or_b32 exec_lo, exec_lo, s50
	s_mov_b32 s50, exec_lo
	v_cmpx_lt_u32_e64 v101, v138
	s_cbranch_execz .LBB297_500
.LBB297_570:                            ;   in Loop: Header=BB297_410 Depth=2
	global_load_dwordx2 v[33:34], v[39:40], off offset:512
	s_or_b32 exec_lo, exec_lo, s50
	s_mov_b32 s50, exec_lo
	v_cmpx_lt_u32_e64 v102, v138
	s_cbranch_execz .LBB297_501
.LBB297_571:                            ;   in Loop: Header=BB297_410 Depth=2
	global_load_dwordx2 v[31:32], v[39:40], off offset:768
	s_or_b32 exec_lo, exec_lo, s50
	s_mov_b32 s50, exec_lo
	v_cmpx_lt_u32_e64 v103, v138
	s_cbranch_execz .LBB297_502
.LBB297_572:                            ;   in Loop: Header=BB297_410 Depth=2
	global_load_dwordx2 v[29:30], v[39:40], off offset:1024
	s_or_b32 exec_lo, exec_lo, s50
	s_mov_b32 s50, exec_lo
	v_cmpx_lt_u32_e64 v104, v138
	s_cbranch_execz .LBB297_503
.LBB297_573:                            ;   in Loop: Header=BB297_410 Depth=2
	global_load_dwordx2 v[25:26], v[39:40], off offset:1280
	s_or_b32 exec_lo, exec_lo, s50
	s_mov_b32 s50, exec_lo
	v_cmpx_lt_u32_e64 v105, v138
	s_cbranch_execz .LBB297_504
.LBB297_574:                            ;   in Loop: Header=BB297_410 Depth=2
	global_load_dwordx2 v[21:22], v[39:40], off offset:1536
	s_or_b32 exec_lo, exec_lo, s50
	s_mov_b32 s50, exec_lo
	v_cmpx_lt_u32_e64 v106, v138
	s_cbranch_execz .LBB297_505
.LBB297_575:                            ;   in Loop: Header=BB297_410 Depth=2
	global_load_dwordx2 v[17:18], v[39:40], off offset:1792
	s_or_b32 exec_lo, exec_lo, s50
	s_mov_b32 s50, exec_lo
	v_cmpx_lt_u32_e64 v107, v138
	s_cbranch_execz .LBB297_506
.LBB297_576:                            ;   in Loop: Header=BB297_410 Depth=2
	v_add_co_u32 v27, s40, 0x800, v39
	v_add_co_ci_u32_e64 v28, null, 0, v40, s40
	global_load_dwordx2 v[27:28], v[27:28], off
	s_or_b32 exec_lo, exec_lo, s50
	s_mov_b32 s50, exec_lo
	v_cmpx_lt_u32_e64 v108, v138
	s_cbranch_execz .LBB297_507
.LBB297_577:                            ;   in Loop: Header=BB297_410 Depth=2
	v_add_co_u32 v23, s40, 0x800, v39
	v_add_co_ci_u32_e64 v24, null, 0, v40, s40
	global_load_dwordx2 v[23:24], v[23:24], off offset:256
	s_or_b32 exec_lo, exec_lo, s50
	s_mov_b32 s50, exec_lo
	v_cmpx_lt_u32_e64 v109, v138
	s_cbranch_execz .LBB297_508
.LBB297_578:                            ;   in Loop: Header=BB297_410 Depth=2
	v_add_co_u32 v19, s40, 0x800, v39
	v_add_co_ci_u32_e64 v20, null, 0, v40, s40
	global_load_dwordx2 v[19:20], v[19:20], off offset:512
	s_or_b32 exec_lo, exec_lo, s50
	s_mov_b32 s50, exec_lo
	v_cmpx_lt_u32_e64 v110, v138
	s_cbranch_execz .LBB297_509
.LBB297_579:                            ;   in Loop: Header=BB297_410 Depth=2
	v_add_co_u32 v15, s40, 0x800, v39
	v_add_co_ci_u32_e64 v16, null, 0, v40, s40
	global_load_dwordx2 v[15:16], v[15:16], off offset:768
	s_or_b32 exec_lo, exec_lo, s50
	s_mov_b32 s50, exec_lo
	v_cmpx_lt_u32_e64 v111, v138
	s_cbranch_execz .LBB297_510
.LBB297_580:                            ;   in Loop: Header=BB297_410 Depth=2
	v_add_co_u32 v13, s40, 0x800, v39
	v_add_co_ci_u32_e64 v14, null, 0, v40, s40
	global_load_dwordx2 v[13:14], v[13:14], off offset:1024
	s_or_b32 exec_lo, exec_lo, s50
	s_mov_b32 s50, exec_lo
	v_cmpx_lt_u32_e64 v112, v138
	s_cbranch_execz .LBB297_511
.LBB297_581:                            ;   in Loop: Header=BB297_410 Depth=2
	v_add_co_u32 v11, s40, 0x800, v39
	v_add_co_ci_u32_e64 v12, null, 0, v40, s40
	global_load_dwordx2 v[11:12], v[11:12], off offset:1280
	s_or_b32 exec_lo, exec_lo, s50
	s_mov_b32 s50, exec_lo
	v_cmpx_lt_u32_e64 v113, v138
	s_cbranch_execz .LBB297_512
.LBB297_582:                            ;   in Loop: Header=BB297_410 Depth=2
	v_add_co_u32 v9, s40, 0x800, v39
	v_add_co_ci_u32_e64 v10, null, 0, v40, s40
	global_load_dwordx2 v[9:10], v[9:10], off offset:1536
	s_or_b32 exec_lo, exec_lo, s50
	s_mov_b32 s50, exec_lo
	v_cmpx_lt_u32_e64 v114, v138
	s_cbranch_execz .LBB297_513
.LBB297_583:                            ;   in Loop: Header=BB297_410 Depth=2
	v_add_co_u32 v7, s40, 0x800, v39
	v_add_co_ci_u32_e64 v8, null, 0, v40, s40
	global_load_dwordx2 v[7:8], v[7:8], off offset:1792
	s_or_b32 exec_lo, exec_lo, s50
	s_mov_b32 s50, exec_lo
	v_cmpx_lt_u32_e64 v115, v138
	s_cbranch_execz .LBB297_514
.LBB297_584:                            ;   in Loop: Header=BB297_410 Depth=2
	v_add_co_u32 v5, s40, 0x1000, v39
	v_add_co_ci_u32_e64 v6, null, 0, v40, s40
	global_load_dwordx2 v[5:6], v[5:6], off
	s_or_b32 exec_lo, exec_lo, s50
	s_and_saveexec_b32 s40, s39
	s_cbranch_execz .LBB297_515
.LBB297_585:                            ;   in Loop: Header=BB297_410 Depth=2
	ds_read_u8 v39, v0 offset:512
	s_waitcnt lgkmcnt(0)
	v_lshrrev_b32_e32 v39, s61, v39
	v_and_b32_e32 v134, s62, v39
	s_or_b32 exec_lo, exec_lo, s40
	s_and_saveexec_b32 s40, s38
	s_cbranch_execz .LBB297_516
.LBB297_586:                            ;   in Loop: Header=BB297_410 Depth=2
	ds_read_u8 v39, v0 offset:768
	s_waitcnt lgkmcnt(0)
	v_lshrrev_b32_e32 v39, s61, v39
	v_and_b32_e32 v133, s62, v39
	s_or_b32 exec_lo, exec_lo, s40
	s_and_saveexec_b32 s40, s37
	s_cbranch_execz .LBB297_517
.LBB297_587:                            ;   in Loop: Header=BB297_410 Depth=2
	ds_read_u8 v39, v0 offset:1024
	s_waitcnt lgkmcnt(0)
	v_lshrrev_b32_e32 v39, s61, v39
	v_and_b32_e32 v132, s62, v39
	s_or_b32 exec_lo, exec_lo, s40
	s_and_saveexec_b32 s40, s36
	s_cbranch_execz .LBB297_518
.LBB297_588:                            ;   in Loop: Header=BB297_410 Depth=2
	ds_read_u8 v39, v0 offset:1280
	s_waitcnt lgkmcnt(0)
	v_lshrrev_b32_e32 v39, s61, v39
	v_and_b32_e32 v131, s62, v39
	s_or_b32 exec_lo, exec_lo, s40
	s_and_saveexec_b32 s40, s35
	s_cbranch_execz .LBB297_519
.LBB297_589:                            ;   in Loop: Header=BB297_410 Depth=2
	ds_read_u8 v39, v0 offset:1536
	s_waitcnt lgkmcnt(0)
	v_lshrrev_b32_e32 v39, s61, v39
	v_and_b32_e32 v130, s62, v39
	s_or_b32 exec_lo, exec_lo, s40
	s_and_saveexec_b32 s40, s34
	s_cbranch_execz .LBB297_520
.LBB297_590:                            ;   in Loop: Header=BB297_410 Depth=2
	ds_read_u8 v39, v0 offset:1792
	s_waitcnt lgkmcnt(0)
	v_lshrrev_b32_e32 v39, s61, v39
	v_and_b32_e32 v129, s62, v39
	s_or_b32 exec_lo, exec_lo, s40
	s_and_saveexec_b32 s40, s33
	s_cbranch_execz .LBB297_521
.LBB297_591:                            ;   in Loop: Header=BB297_410 Depth=2
	ds_read_u8 v39, v0 offset:2048
	s_waitcnt lgkmcnt(0)
	v_lshrrev_b32_e32 v39, s61, v39
	v_and_b32_e32 v128, s62, v39
	s_or_b32 exec_lo, exec_lo, s40
	s_and_saveexec_b32 s40, s31
	s_cbranch_execz .LBB297_522
.LBB297_592:                            ;   in Loop: Header=BB297_410 Depth=2
	ds_read_u8 v39, v0 offset:2304
	s_waitcnt lgkmcnt(0)
	v_lshrrev_b32_e32 v39, s61, v39
	v_and_b32_e32 v127, s62, v39
	s_or_b32 exec_lo, exec_lo, s40
	s_and_saveexec_b32 s40, s30
	s_cbranch_execz .LBB297_523
.LBB297_593:                            ;   in Loop: Header=BB297_410 Depth=2
	ds_read_u8 v39, v0 offset:2560
	s_waitcnt lgkmcnt(0)
	v_lshrrev_b32_e32 v39, s61, v39
	v_and_b32_e32 v126, s62, v39
	s_or_b32 exec_lo, exec_lo, s40
	s_and_saveexec_b32 s40, s29
	s_cbranch_execz .LBB297_524
.LBB297_594:                            ;   in Loop: Header=BB297_410 Depth=2
	ds_read_u8 v39, v0 offset:2816
	s_waitcnt lgkmcnt(0)
	v_lshrrev_b32_e32 v39, s61, v39
	v_and_b32_e32 v125, s62, v39
	s_or_b32 exec_lo, exec_lo, s40
	s_and_saveexec_b32 s40, s27
	s_cbranch_execz .LBB297_525
.LBB297_595:                            ;   in Loop: Header=BB297_410 Depth=2
	ds_read_u8 v39, v0 offset:3072
	s_waitcnt lgkmcnt(0)
	v_lshrrev_b32_e32 v39, s61, v39
	v_and_b32_e32 v124, s62, v39
	s_or_b32 exec_lo, exec_lo, s40
	s_and_saveexec_b32 s40, s26
	s_cbranch_execz .LBB297_526
.LBB297_596:                            ;   in Loop: Header=BB297_410 Depth=2
	ds_read_u8 v39, v0 offset:3328
	s_waitcnt lgkmcnt(0)
	v_lshrrev_b32_e32 v39, s61, v39
	v_and_b32_e32 v123, s62, v39
	s_or_b32 exec_lo, exec_lo, s40
	s_and_saveexec_b32 s40, s25
	s_cbranch_execz .LBB297_527
.LBB297_597:                            ;   in Loop: Header=BB297_410 Depth=2
	ds_read_u8 v39, v0 offset:3584
	s_waitcnt lgkmcnt(0)
	v_lshrrev_b32_e32 v39, s61, v39
	v_and_b32_e32 v122, s62, v39
	s_or_b32 exec_lo, exec_lo, s40
	s_and_saveexec_b32 s40, s24
	s_cbranch_execz .LBB297_528
.LBB297_598:                            ;   in Loop: Header=BB297_410 Depth=2
	ds_read_u8 v39, v0 offset:3840
	s_waitcnt lgkmcnt(0)
	v_lshrrev_b32_e32 v39, s61, v39
	v_and_b32_e32 v121, s62, v39
	s_or_b32 exec_lo, exec_lo, s40
	s_and_saveexec_b32 s40, s23
	s_cbranch_execz .LBB297_529
.LBB297_599:                            ;   in Loop: Header=BB297_410 Depth=2
	ds_read_u8 v39, v0 offset:4096
	s_waitcnt lgkmcnt(0)
	v_lshrrev_b32_e32 v39, s61, v39
	v_and_b32_e32 v120, s62, v39
	s_or_b32 exec_lo, exec_lo, s40
	s_and_saveexec_b32 s40, s22
	s_cbranch_execz .LBB297_530
.LBB297_600:                            ;   in Loop: Header=BB297_410 Depth=2
	ds_read_u8 v39, v0 offset:4352
	s_waitcnt lgkmcnt(0)
	v_lshrrev_b32_e32 v39, s61, v39
	v_and_b32_e32 v119, s62, v39
	s_or_b32 exec_lo, exec_lo, s40
	s_and_saveexec_b32 s40, vcc_lo
	s_cbranch_execnz .LBB297_531
	s_branch .LBB297_532
.LBB297_601:                            ;   in Loop: Header=BB297_410 Depth=2
	v_lshlrev_b32_e32 v3, 2, v134
	v_add_nc_u32_e32 v39, v0, v75
	ds_read_b32 v3, v3
	ds_read_b64 v[39:40], v39 offset:512
	s_waitcnt lgkmcnt(1)
	v_add_nc_u32_e32 v3, v3, v0
	v_lshlrev_b64 v[41:42], 3, v[3:4]
	v_add_co_u32 v41, s39, s54, v41
	v_add_co_ci_u32_e64 v42, null, s55, v42, s39
	s_waitcnt lgkmcnt(0)
	global_store_dwordx2 v[41:42], v[39:40], off
	s_or_b32 exec_lo, exec_lo, s40
	s_and_saveexec_b32 s39, s38
	s_cbranch_execz .LBB297_534
.LBB297_602:                            ;   in Loop: Header=BB297_410 Depth=2
	v_lshlrev_b32_e32 v3, 2, v133
	v_add_nc_u32_e32 v39, v0, v75
	ds_read_b32 v3, v3
	ds_read_b64 v[39:40], v39 offset:2560
	s_waitcnt lgkmcnt(1)
	v_add_nc_u32_e32 v3, v3, v44
	v_lshlrev_b64 v[41:42], 3, v[3:4]
	v_add_co_u32 v41, s38, s54, v41
	v_add_co_ci_u32_e64 v42, null, s55, v42, s38
	s_waitcnt lgkmcnt(0)
	global_store_dwordx2 v[41:42], v[39:40], off
	s_or_b32 exec_lo, exec_lo, s39
	s_and_saveexec_b32 s38, s37
	s_cbranch_execz .LBB297_535
.LBB297_603:                            ;   in Loop: Header=BB297_410 Depth=2
	v_lshlrev_b32_e32 v3, 2, v132
	v_add_nc_u32_e32 v39, v0, v75
	ds_read_b32 v3, v3
	ds_read_b64 v[39:40], v39 offset:4608
	s_waitcnt lgkmcnt(1)
	v_add_nc_u32_e32 v3, v3, v47
	v_lshlrev_b64 v[41:42], 3, v[3:4]
	v_add_co_u32 v41, s37, s54, v41
	v_add_co_ci_u32_e64 v42, null, s55, v42, s37
	s_waitcnt lgkmcnt(0)
	global_store_dwordx2 v[41:42], v[39:40], off
	s_or_b32 exec_lo, exec_lo, s38
	s_and_saveexec_b32 s37, s36
	s_cbranch_execz .LBB297_536
.LBB297_604:                            ;   in Loop: Header=BB297_410 Depth=2
	v_lshlrev_b32_e32 v3, 2, v131
	v_add_nc_u32_e32 v39, v0, v75
	ds_read_b32 v3, v3
	ds_read_b64 v[39:40], v39 offset:6656
	s_waitcnt lgkmcnt(1)
	v_add_nc_u32_e32 v3, v3, v48
	v_lshlrev_b64 v[41:42], 3, v[3:4]
	v_add_co_u32 v41, s36, s54, v41
	v_add_co_ci_u32_e64 v42, null, s55, v42, s36
	s_waitcnt lgkmcnt(0)
	global_store_dwordx2 v[41:42], v[39:40], off
	s_or_b32 exec_lo, exec_lo, s37
	s_and_saveexec_b32 s36, s35
	s_cbranch_execz .LBB297_537
.LBB297_605:                            ;   in Loop: Header=BB297_410 Depth=2
	v_lshlrev_b32_e32 v3, 2, v130
	v_add_nc_u32_e32 v39, v0, v75
	ds_read_b32 v3, v3
	ds_read_b64 v[39:40], v39 offset:8704
	s_waitcnt lgkmcnt(1)
	v_add_nc_u32_e32 v3, v3, v49
	v_lshlrev_b64 v[41:42], 3, v[3:4]
	v_add_co_u32 v41, s35, s54, v41
	v_add_co_ci_u32_e64 v42, null, s55, v42, s35
	s_waitcnt lgkmcnt(0)
	global_store_dwordx2 v[41:42], v[39:40], off
	s_or_b32 exec_lo, exec_lo, s36
	s_and_saveexec_b32 s35, s34
	s_cbranch_execz .LBB297_538
.LBB297_606:                            ;   in Loop: Header=BB297_410 Depth=2
	v_lshlrev_b32_e32 v3, 2, v129
	v_add_nc_u32_e32 v39, v0, v75
	ds_read_b32 v3, v3
	ds_read_b64 v[39:40], v39 offset:10752
	s_waitcnt lgkmcnt(1)
	v_add_nc_u32_e32 v3, v3, v50
	v_lshlrev_b64 v[41:42], 3, v[3:4]
	v_add_co_u32 v41, s34, s54, v41
	v_add_co_ci_u32_e64 v42, null, s55, v42, s34
	s_waitcnt lgkmcnt(0)
	global_store_dwordx2 v[41:42], v[39:40], off
	s_or_b32 exec_lo, exec_lo, s35
	s_and_saveexec_b32 s34, s33
	s_cbranch_execz .LBB297_539
.LBB297_607:                            ;   in Loop: Header=BB297_410 Depth=2
	v_lshlrev_b32_e32 v3, 2, v128
	v_add_nc_u32_e32 v39, v0, v75
	ds_read_b32 v3, v3
	ds_read_b64 v[39:40], v39 offset:12800
	s_waitcnt lgkmcnt(1)
	v_add_nc_u32_e32 v3, v3, v51
	v_lshlrev_b64 v[41:42], 3, v[3:4]
	v_add_co_u32 v41, s33, s54, v41
	v_add_co_ci_u32_e64 v42, null, s55, v42, s33
	s_waitcnt lgkmcnt(0)
	global_store_dwordx2 v[41:42], v[39:40], off
	s_or_b32 exec_lo, exec_lo, s34
	s_and_saveexec_b32 s33, s31
	s_cbranch_execz .LBB297_540
.LBB297_608:                            ;   in Loop: Header=BB297_410 Depth=2
	v_lshlrev_b32_e32 v3, 2, v127
	v_add_nc_u32_e32 v39, v0, v75
	ds_read_b32 v3, v3
	ds_read_b64 v[39:40], v39 offset:14848
	s_waitcnt lgkmcnt(1)
	v_add_nc_u32_e32 v3, v3, v52
	v_lshlrev_b64 v[41:42], 3, v[3:4]
	v_add_co_u32 v41, s31, s54, v41
	v_add_co_ci_u32_e64 v42, null, s55, v42, s31
	s_waitcnt lgkmcnt(0)
	global_store_dwordx2 v[41:42], v[39:40], off
	s_or_b32 exec_lo, exec_lo, s33
	s_and_saveexec_b32 s31, s30
	s_cbranch_execz .LBB297_541
.LBB297_609:                            ;   in Loop: Header=BB297_410 Depth=2
	v_lshlrev_b32_e32 v3, 2, v126
	v_add_nc_u32_e32 v39, v0, v75
	ds_read_b32 v3, v3
	ds_read_b64 v[39:40], v39 offset:16896
	s_waitcnt lgkmcnt(1)
	v_add_nc_u32_e32 v3, v3, v53
	v_lshlrev_b64 v[41:42], 3, v[3:4]
	v_add_co_u32 v41, s30, s54, v41
	v_add_co_ci_u32_e64 v42, null, s55, v42, s30
	s_waitcnt lgkmcnt(0)
	global_store_dwordx2 v[41:42], v[39:40], off
	s_or_b32 exec_lo, exec_lo, s31
	s_and_saveexec_b32 s30, s29
	s_cbranch_execz .LBB297_542
.LBB297_610:                            ;   in Loop: Header=BB297_410 Depth=2
	v_lshlrev_b32_e32 v3, 2, v125
	v_add_nc_u32_e32 v39, v0, v75
	ds_read_b32 v3, v3
	ds_read_b64 v[39:40], v39 offset:18944
	s_waitcnt lgkmcnt(1)
	v_add_nc_u32_e32 v3, v3, v54
	v_lshlrev_b64 v[41:42], 3, v[3:4]
	v_add_co_u32 v41, s29, s54, v41
	v_add_co_ci_u32_e64 v42, null, s55, v42, s29
	s_waitcnt lgkmcnt(0)
	global_store_dwordx2 v[41:42], v[39:40], off
	s_or_b32 exec_lo, exec_lo, s30
	s_and_saveexec_b32 s29, s27
	s_cbranch_execz .LBB297_543
.LBB297_611:                            ;   in Loop: Header=BB297_410 Depth=2
	v_lshlrev_b32_e32 v3, 2, v124
	v_add_nc_u32_e32 v39, v0, v75
	ds_read_b32 v3, v3
	ds_read_b64 v[39:40], v39 offset:20992
	s_waitcnt lgkmcnt(1)
	v_add_nc_u32_e32 v3, v3, v55
	v_lshlrev_b64 v[41:42], 3, v[3:4]
	v_add_co_u32 v41, s27, s54, v41
	v_add_co_ci_u32_e64 v42, null, s55, v42, s27
	s_waitcnt lgkmcnt(0)
	global_store_dwordx2 v[41:42], v[39:40], off
	s_or_b32 exec_lo, exec_lo, s29
	s_and_saveexec_b32 s27, s26
	s_cbranch_execz .LBB297_544
.LBB297_612:                            ;   in Loop: Header=BB297_410 Depth=2
	v_lshlrev_b32_e32 v3, 2, v123
	v_add_nc_u32_e32 v39, v0, v75
	ds_read_b32 v3, v3
	ds_read_b64 v[39:40], v39 offset:23040
	s_waitcnt lgkmcnt(1)
	v_add_nc_u32_e32 v3, v3, v56
	v_lshlrev_b64 v[41:42], 3, v[3:4]
	v_add_co_u32 v41, s26, s54, v41
	v_add_co_ci_u32_e64 v42, null, s55, v42, s26
	s_waitcnt lgkmcnt(0)
	global_store_dwordx2 v[41:42], v[39:40], off
	s_or_b32 exec_lo, exec_lo, s27
	s_and_saveexec_b32 s26, s25
	s_cbranch_execz .LBB297_545
.LBB297_613:                            ;   in Loop: Header=BB297_410 Depth=2
	v_lshlrev_b32_e32 v3, 2, v122
	v_add_nc_u32_e32 v39, v0, v75
	ds_read_b32 v3, v3
	ds_read_b64 v[39:40], v39 offset:25088
	s_waitcnt lgkmcnt(1)
	v_add_nc_u32_e32 v3, v3, v57
	v_lshlrev_b64 v[41:42], 3, v[3:4]
	v_add_co_u32 v41, s25, s54, v41
	v_add_co_ci_u32_e64 v42, null, s55, v42, s25
	s_waitcnt lgkmcnt(0)
	global_store_dwordx2 v[41:42], v[39:40], off
	s_or_b32 exec_lo, exec_lo, s26
	s_and_saveexec_b32 s25, s24
	s_cbranch_execz .LBB297_546
.LBB297_614:                            ;   in Loop: Header=BB297_410 Depth=2
	v_lshlrev_b32_e32 v3, 2, v121
	v_add_nc_u32_e32 v39, v0, v75
	ds_read_b32 v3, v3
	ds_read_b64 v[39:40], v39 offset:27136
	s_waitcnt lgkmcnt(1)
	v_add_nc_u32_e32 v3, v3, v58
	v_lshlrev_b64 v[41:42], 3, v[3:4]
	v_add_co_u32 v41, s24, s54, v41
	v_add_co_ci_u32_e64 v42, null, s55, v42, s24
	s_waitcnt lgkmcnt(0)
	global_store_dwordx2 v[41:42], v[39:40], off
	s_or_b32 exec_lo, exec_lo, s25
	s_and_saveexec_b32 s24, s23
	s_cbranch_execz .LBB297_547
.LBB297_615:                            ;   in Loop: Header=BB297_410 Depth=2
	v_lshlrev_b32_e32 v3, 2, v120
	v_add_nc_u32_e32 v39, v0, v75
	ds_read_b32 v3, v3
	ds_read_b64 v[39:40], v39 offset:29184
	s_waitcnt lgkmcnt(1)
	v_add_nc_u32_e32 v3, v3, v59
	v_lshlrev_b64 v[41:42], 3, v[3:4]
	v_add_co_u32 v41, s23, s54, v41
	v_add_co_ci_u32_e64 v42, null, s55, v42, s23
	s_waitcnt lgkmcnt(0)
	global_store_dwordx2 v[41:42], v[39:40], off
	s_or_b32 exec_lo, exec_lo, s24
	s_and_saveexec_b32 s23, s22
	s_cbranch_execz .LBB297_548
.LBB297_616:                            ;   in Loop: Header=BB297_410 Depth=2
	v_lshlrev_b32_e32 v3, 2, v119
	v_add_nc_u32_e32 v39, v0, v75
	ds_read_b32 v3, v3
	ds_read_b64 v[39:40], v39 offset:31232
	s_waitcnt lgkmcnt(1)
	v_add_nc_u32_e32 v3, v3, v60
	v_lshlrev_b64 v[41:42], 3, v[3:4]
	v_add_co_u32 v41, s22, s54, v41
	v_add_co_ci_u32_e64 v42, null, s55, v42, s22
	s_waitcnt lgkmcnt(0)
	global_store_dwordx2 v[41:42], v[39:40], off
	s_or_b32 exec_lo, exec_lo, s23
	s_and_saveexec_b32 s22, vcc_lo
	s_cbranch_execnz .LBB297_549
	s_branch .LBB297_550
.LBB297_617:                            ;   in Loop: Header=BB297_410 Depth=2
	global_load_ubyte v146, v[39:40], off
	v_mov_b32_e32 v117, 0x80
	v_mov_b32_e32 v147, 0x80
	;; [unrolled: 1-line block ×16, first 2 shown]
	s_or_b32 exec_lo, exec_lo, s22
	s_mov_b32 s22, exec_lo
	v_cmpx_gt_u32_e64 s63, v100
	s_cbranch_execz .LBB297_415
.LBB297_618:                            ;   in Loop: Header=BB297_410 Depth=2
	global_load_ubyte v147, v[39:40], off offset:32
	s_or_b32 exec_lo, exec_lo, s22
	s_mov_b32 s22, exec_lo
	v_cmpx_gt_u32_e64 s63, v101
	s_cbranch_execz .LBB297_416
.LBB297_619:                            ;   in Loop: Header=BB297_410 Depth=2
	global_load_ubyte v148, v[39:40], off offset:64
	s_or_b32 exec_lo, exec_lo, s22
	s_mov_b32 s22, exec_lo
	v_cmpx_gt_u32_e64 s63, v102
	s_cbranch_execz .LBB297_417
.LBB297_620:                            ;   in Loop: Header=BB297_410 Depth=2
	global_load_ubyte v151, v[39:40], off offset:96
	s_or_b32 exec_lo, exec_lo, s22
	s_mov_b32 s22, exec_lo
	v_cmpx_gt_u32_e64 s63, v103
	s_cbranch_execz .LBB297_418
.LBB297_621:                            ;   in Loop: Header=BB297_410 Depth=2
	global_load_ubyte v150, v[39:40], off offset:128
	s_or_b32 exec_lo, exec_lo, s22
	s_mov_b32 s22, exec_lo
	v_cmpx_gt_u32_e64 s63, v104
	s_cbranch_execz .LBB297_419
.LBB297_622:                            ;   in Loop: Header=BB297_410 Depth=2
	global_load_ubyte v143, v[39:40], off offset:160
	s_or_b32 exec_lo, exec_lo, s22
	s_mov_b32 s22, exec_lo
	v_cmpx_gt_u32_e64 s63, v105
	s_cbranch_execz .LBB297_420
.LBB297_623:                            ;   in Loop: Header=BB297_410 Depth=2
	global_load_ubyte v144, v[39:40], off offset:192
	s_or_b32 exec_lo, exec_lo, s22
	s_mov_b32 s22, exec_lo
	v_cmpx_gt_u32_e64 s63, v106
	s_cbranch_execz .LBB297_421
.LBB297_624:                            ;   in Loop: Header=BB297_410 Depth=2
	global_load_ubyte v145, v[39:40], off offset:224
	s_or_b32 exec_lo, exec_lo, s22
	s_mov_b32 s22, exec_lo
	v_cmpx_gt_u32_e64 s63, v107
	s_cbranch_execz .LBB297_422
.LBB297_625:                            ;   in Loop: Header=BB297_410 Depth=2
	global_load_ubyte v142, v[39:40], off offset:256
	s_or_b32 exec_lo, exec_lo, s22
	s_mov_b32 s22, exec_lo
	v_cmpx_gt_u32_e64 s63, v108
	s_cbranch_execz .LBB297_423
.LBB297_626:                            ;   in Loop: Header=BB297_410 Depth=2
	global_load_ubyte v139, v[39:40], off offset:288
	s_or_b32 exec_lo, exec_lo, s22
	s_mov_b32 s22, exec_lo
	v_cmpx_gt_u32_e64 s63, v109
	s_cbranch_execz .LBB297_424
.LBB297_627:                            ;   in Loop: Header=BB297_410 Depth=2
	global_load_ubyte v140, v[39:40], off offset:320
	s_or_b32 exec_lo, exec_lo, s22
	s_mov_b32 s22, exec_lo
	v_cmpx_gt_u32_e64 s63, v110
	s_cbranch_execz .LBB297_425
.LBB297_628:                            ;   in Loop: Header=BB297_410 Depth=2
	global_load_ubyte v141, v[39:40], off offset:352
	s_or_b32 exec_lo, exec_lo, s22
	s_mov_b32 s22, exec_lo
	v_cmpx_gt_u32_e64 s63, v111
	s_cbranch_execz .LBB297_426
.LBB297_629:                            ;   in Loop: Header=BB297_410 Depth=2
	global_load_ubyte v137, v[39:40], off offset:384
	s_or_b32 exec_lo, exec_lo, s22
	s_mov_b32 s22, exec_lo
	v_cmpx_gt_u32_e64 s63, v112
	s_cbranch_execz .LBB297_427
.LBB297_630:                            ;   in Loop: Header=BB297_410 Depth=2
	global_load_ubyte v3, v[39:40], off offset:416
	s_or_b32 exec_lo, exec_lo, s22
	s_mov_b32 s22, exec_lo
	v_cmpx_gt_u32_e64 s63, v113
	s_cbranch_execz .LBB297_428
.LBB297_631:                            ;   in Loop: Header=BB297_410 Depth=2
	global_load_ubyte v41, v[39:40], off offset:448
	s_or_b32 exec_lo, exec_lo, s22
	s_mov_b32 s22, exec_lo
	v_cmpx_gt_u32_e64 s63, v114
	s_cbranch_execnz .LBB297_429
	s_branch .LBB297_430
.LBB297_632:                            ;   in Loop: Header=BB297_12 Depth=1
	s_waitcnt lgkmcnt(0)
	s_barrier
.LBB297_633:                            ;   in Loop: Header=BB297_12 Depth=1
	s_mov_b32 s5, 0
.LBB297_634:                            ;   in Loop: Header=BB297_12 Depth=1
	s_andn2_b32 vcc_lo, exec_lo, s5
	s_cbranch_vccnz .LBB297_11
; %bb.635:                              ;   in Loop: Header=BB297_12 Depth=1
	s_and_b32 vcc_lo, exec_lo, s43
	s_mov_b32 s5, -1
	s_cbranch_vccz .LBB297_945
; %bb.636:                              ;   in Loop: Header=BB297_12 Depth=1
	v_mov_b32_e32 v17, 0
	v_mov_b32_e32 v20, 0
	;; [unrolled: 1-line block ×17, first 2 shown]
	s_mov_b32 s5, s60
	s_mov_b32 s16, s58
	s_barrier
	buffer_gl0_inv
	s_branch .LBB297_638
.LBB297_637:                            ;   in Loop: Header=BB297_638 Depth=2
	s_or_b32 exec_lo, exec_lo, s15
	s_addk_i32 s5, 0xef00
	s_cmp_ge_u32 s14, s59
	s_mov_b32 s16, s14
	s_cbranch_scc1 .LBB297_710
.LBB297_638:                            ;   Parent Loop BB297_12 Depth=1
                                        ; =>  This Inner Loop Header: Depth=2
	s_add_i32 s14, s16, 0x1100
	s_mov_b32 s15, -1
	s_cmp_gt_u32 s14, s59
                                        ; implicit-def: $vgpr21
                                        ; implicit-def: $vgpr22
                                        ; implicit-def: $vgpr23
                                        ; implicit-def: $vgpr24
                                        ; implicit-def: $vgpr25
                                        ; implicit-def: $vgpr26
                                        ; implicit-def: $vgpr27
                                        ; implicit-def: $vgpr28
                                        ; implicit-def: $vgpr29
                                        ; implicit-def: $vgpr30
                                        ; implicit-def: $vgpr31
                                        ; implicit-def: $vgpr32
                                        ; implicit-def: $vgpr33
                                        ; implicit-def: $vgpr34
                                        ; implicit-def: $vgpr35
                                        ; implicit-def: $vgpr36
                                        ; implicit-def: $vgpr37
	s_cbranch_scc1 .LBB297_640
; %bb.639:                              ;   in Loop: Header=BB297_638 Depth=2
	v_add_co_u32 v38, vcc_lo, v82, s16
	v_add_co_ci_u32_e64 v39, null, 0, v83, vcc_lo
	s_mov_b32 s15, 0
	v_add_co_u32 v21, vcc_lo, 0x800, v38
	v_add_co_ci_u32_e64 v22, null, 0, v39, vcc_lo
	v_add_co_u32 v23, vcc_lo, 0x1000, v38
	v_add_co_ci_u32_e64 v24, null, 0, v39, vcc_lo
	s_clause 0x10
	global_load_ubyte v36, v[21:22], off offset:1792
	global_load_ubyte v37, v[23:24], off
	global_load_ubyte v35, v[21:22], off offset:1536
	global_load_ubyte v34, v[21:22], off offset:1280
	;; [unrolled: 1-line block ×6, first 2 shown]
	global_load_ubyte v29, v[21:22], off
	global_load_ubyte v28, v[38:39], off offset:1792
	global_load_ubyte v27, v[38:39], off offset:1536
	;; [unrolled: 1-line block ×7, first 2 shown]
	global_load_ubyte v21, v[38:39], off
.LBB297_640:                            ;   in Loop: Header=BB297_638 Depth=2
	s_andn2_b32 vcc_lo, exec_lo, s15
	s_movk_i32 s15, 0x1100
	s_cbranch_vccnz .LBB297_660
; %bb.641:                              ;   in Loop: Header=BB297_638 Depth=2
	s_add_u32 s15, s44, s16
	s_addc_u32 s16, s45, 0
	s_mov_b32 s17, exec_lo
	v_cmpx_gt_u32_e64 s5, v0
	s_cbranch_execnz .LBB297_694
; %bb.642:                              ;   in Loop: Header=BB297_638 Depth=2
	s_or_b32 exec_lo, exec_lo, s17
	s_mov_b32 s17, exec_lo
	v_cmpx_gt_u32_e64 s5, v44
	s_cbranch_execnz .LBB297_695
.LBB297_643:                            ;   in Loop: Header=BB297_638 Depth=2
	s_or_b32 exec_lo, exec_lo, s17
	s_mov_b32 s17, exec_lo
	v_cmpx_gt_u32_e64 s5, v47
	s_cbranch_execnz .LBB297_696
.LBB297_644:                            ;   in Loop: Header=BB297_638 Depth=2
	s_or_b32 exec_lo, exec_lo, s17
	s_mov_b32 s17, exec_lo
	v_cmpx_gt_u32_e64 s5, v48
	s_cbranch_execnz .LBB297_697
.LBB297_645:                            ;   in Loop: Header=BB297_638 Depth=2
	s_or_b32 exec_lo, exec_lo, s17
	s_mov_b32 s17, exec_lo
	v_cmpx_gt_u32_e64 s5, v49
	s_cbranch_execnz .LBB297_698
.LBB297_646:                            ;   in Loop: Header=BB297_638 Depth=2
	s_or_b32 exec_lo, exec_lo, s17
	s_mov_b32 s17, exec_lo
	v_cmpx_gt_u32_e64 s5, v50
	s_cbranch_execnz .LBB297_699
.LBB297_647:                            ;   in Loop: Header=BB297_638 Depth=2
	s_or_b32 exec_lo, exec_lo, s17
	s_mov_b32 s17, exec_lo
	v_cmpx_gt_u32_e64 s5, v51
	s_cbranch_execnz .LBB297_700
.LBB297_648:                            ;   in Loop: Header=BB297_638 Depth=2
	s_or_b32 exec_lo, exec_lo, s17
	s_mov_b32 s17, exec_lo
	v_cmpx_gt_u32_e64 s5, v52
	s_cbranch_execnz .LBB297_701
.LBB297_649:                            ;   in Loop: Header=BB297_638 Depth=2
	s_or_b32 exec_lo, exec_lo, s17
	s_mov_b32 s17, exec_lo
	v_cmpx_gt_u32_e64 s5, v53
	s_cbranch_execnz .LBB297_702
.LBB297_650:                            ;   in Loop: Header=BB297_638 Depth=2
	s_or_b32 exec_lo, exec_lo, s17
	s_mov_b32 s17, exec_lo
	v_cmpx_gt_u32_e64 s5, v54
	s_cbranch_execnz .LBB297_703
.LBB297_651:                            ;   in Loop: Header=BB297_638 Depth=2
	s_or_b32 exec_lo, exec_lo, s17
	s_mov_b32 s17, exec_lo
	v_cmpx_gt_u32_e64 s5, v55
	s_cbranch_execnz .LBB297_704
.LBB297_652:                            ;   in Loop: Header=BB297_638 Depth=2
	s_or_b32 exec_lo, exec_lo, s17
	s_mov_b32 s17, exec_lo
	v_cmpx_gt_u32_e64 s5, v56
	s_cbranch_execnz .LBB297_705
.LBB297_653:                            ;   in Loop: Header=BB297_638 Depth=2
	s_or_b32 exec_lo, exec_lo, s17
	s_mov_b32 s17, exec_lo
	v_cmpx_gt_u32_e64 s5, v57
	s_cbranch_execnz .LBB297_706
.LBB297_654:                            ;   in Loop: Header=BB297_638 Depth=2
	s_or_b32 exec_lo, exec_lo, s17
	s_mov_b32 s17, exec_lo
	v_cmpx_gt_u32_e64 s5, v58
	s_cbranch_execnz .LBB297_707
.LBB297_655:                            ;   in Loop: Header=BB297_638 Depth=2
	s_or_b32 exec_lo, exec_lo, s17
	s_mov_b32 s17, exec_lo
	v_cmpx_gt_u32_e64 s5, v59
	s_cbranch_execnz .LBB297_708
.LBB297_656:                            ;   in Loop: Header=BB297_638 Depth=2
	s_or_b32 exec_lo, exec_lo, s17
	s_mov_b32 s17, exec_lo
	v_cmpx_gt_u32_e64 s5, v60
	s_cbranch_execnz .LBB297_709
.LBB297_657:                            ;   in Loop: Header=BB297_638 Depth=2
	s_or_b32 exec_lo, exec_lo, s17
	s_mov_b32 s17, exec_lo
	v_cmpx_gt_u32_e64 s5, v61
	s_cbranch_execz .LBB297_659
.LBB297_658:                            ;   in Loop: Header=BB297_638 Depth=2
	s_waitcnt vmcnt(0)
	v_add_co_u32 v21, s15, s15, v61
	v_add_co_ci_u32_e64 v22, null, s16, 0, s15
	global_load_ubyte v3, v[21:22], off
.LBB297_659:                            ;   in Loop: Header=BB297_638 Depth=2
	s_or_b32 exec_lo, exec_lo, s17
	s_waitcnt vmcnt(0)
	v_mov_b32_e32 v21, v17
	v_mov_b32_e32 v22, v20
	;; [unrolled: 1-line block ×17, first 2 shown]
	s_mov_b32 s15, s5
.LBB297_660:                            ;   in Loop: Header=BB297_638 Depth=2
	s_waitcnt vmcnt(15)
	v_mov_b32_e32 v3, v37
	v_mov_b32_e32 v5, v36
	s_waitcnt vmcnt(14)
	v_mov_b32_e32 v6, v35
	s_waitcnt vmcnt(13)
	;; [unrolled: 2-line block ×15, first 2 shown]
	v_mov_b32_e32 v17, v21
	s_mov_b32 s16, exec_lo
	v_cmpx_gt_u32_e64 s15, v0
	s_cbranch_execnz .LBB297_677
; %bb.661:                              ;   in Loop: Header=BB297_638 Depth=2
	s_or_b32 exec_lo, exec_lo, s16
	s_mov_b32 s16, exec_lo
	v_cmpx_gt_u32_e64 s15, v44
	s_cbranch_execnz .LBB297_678
.LBB297_662:                            ;   in Loop: Header=BB297_638 Depth=2
	s_or_b32 exec_lo, exec_lo, s16
	s_mov_b32 s16, exec_lo
	v_cmpx_gt_u32_e64 s15, v47
	s_cbranch_execnz .LBB297_679
.LBB297_663:                            ;   in Loop: Header=BB297_638 Depth=2
	s_or_b32 exec_lo, exec_lo, s16
	s_mov_b32 s16, exec_lo
	v_cmpx_gt_u32_e64 s15, v48
	s_cbranch_execnz .LBB297_680
.LBB297_664:                            ;   in Loop: Header=BB297_638 Depth=2
	s_or_b32 exec_lo, exec_lo, s16
	s_mov_b32 s16, exec_lo
	v_cmpx_gt_u32_e64 s15, v49
	s_cbranch_execnz .LBB297_681
.LBB297_665:                            ;   in Loop: Header=BB297_638 Depth=2
	s_or_b32 exec_lo, exec_lo, s16
	s_mov_b32 s16, exec_lo
	v_cmpx_gt_u32_e64 s15, v50
	s_cbranch_execnz .LBB297_682
.LBB297_666:                            ;   in Loop: Header=BB297_638 Depth=2
	s_or_b32 exec_lo, exec_lo, s16
	s_mov_b32 s16, exec_lo
	v_cmpx_gt_u32_e64 s15, v51
	s_cbranch_execnz .LBB297_683
.LBB297_667:                            ;   in Loop: Header=BB297_638 Depth=2
	s_or_b32 exec_lo, exec_lo, s16
	s_mov_b32 s16, exec_lo
	v_cmpx_gt_u32_e64 s15, v52
	s_cbranch_execnz .LBB297_684
.LBB297_668:                            ;   in Loop: Header=BB297_638 Depth=2
	s_or_b32 exec_lo, exec_lo, s16
	s_mov_b32 s16, exec_lo
	v_cmpx_gt_u32_e64 s15, v53
	s_cbranch_execnz .LBB297_685
.LBB297_669:                            ;   in Loop: Header=BB297_638 Depth=2
	s_or_b32 exec_lo, exec_lo, s16
	s_mov_b32 s16, exec_lo
	v_cmpx_gt_u32_e64 s15, v54
	s_cbranch_execnz .LBB297_686
.LBB297_670:                            ;   in Loop: Header=BB297_638 Depth=2
	s_or_b32 exec_lo, exec_lo, s16
	s_mov_b32 s16, exec_lo
	v_cmpx_gt_u32_e64 s15, v55
	s_cbranch_execnz .LBB297_687
.LBB297_671:                            ;   in Loop: Header=BB297_638 Depth=2
	s_or_b32 exec_lo, exec_lo, s16
	s_mov_b32 s16, exec_lo
	v_cmpx_gt_u32_e64 s15, v56
	s_cbranch_execnz .LBB297_688
.LBB297_672:                            ;   in Loop: Header=BB297_638 Depth=2
	s_or_b32 exec_lo, exec_lo, s16
	s_mov_b32 s16, exec_lo
	v_cmpx_gt_u32_e64 s15, v57
	s_cbranch_execnz .LBB297_689
.LBB297_673:                            ;   in Loop: Header=BB297_638 Depth=2
	s_or_b32 exec_lo, exec_lo, s16
	s_mov_b32 s16, exec_lo
	v_cmpx_gt_u32_e64 s15, v58
	s_cbranch_execnz .LBB297_690
.LBB297_674:                            ;   in Loop: Header=BB297_638 Depth=2
	s_or_b32 exec_lo, exec_lo, s16
	s_mov_b32 s16, exec_lo
	v_cmpx_gt_u32_e64 s15, v59
	s_cbranch_execnz .LBB297_691
.LBB297_675:                            ;   in Loop: Header=BB297_638 Depth=2
	s_or_b32 exec_lo, exec_lo, s16
	s_mov_b32 s16, exec_lo
	v_cmpx_gt_u32_e64 s15, v60
	s_cbranch_execnz .LBB297_692
.LBB297_676:                            ;   in Loop: Header=BB297_638 Depth=2
	s_or_b32 exec_lo, exec_lo, s16
	v_cmp_gt_u32_e32 vcc_lo, s15, v61
	s_and_saveexec_b32 s15, vcc_lo
	s_cbranch_execz .LBB297_637
	s_branch .LBB297_693
.LBB297_677:                            ;   in Loop: Header=BB297_638 Depth=2
	v_xor_b32_e32 v21, 0x7f, v17
	v_lshrrev_b32_sdwa v21, s41, v21 dst_sel:DWORD dst_unused:UNUSED_PAD src0_sel:DWORD src1_sel:BYTE_0
	v_and_b32_e32 v21, s62, v21
	v_lshl_or_b32 v21, v21, 4, v63
	ds_add_u32 v21, v89
	s_or_b32 exec_lo, exec_lo, s16
	s_mov_b32 s16, exec_lo
	v_cmpx_gt_u32_e64 s15, v44
	s_cbranch_execz .LBB297_662
.LBB297_678:                            ;   in Loop: Header=BB297_638 Depth=2
	v_xor_b32_e32 v21, 0x7f, v20
	v_lshrrev_b32_sdwa v21, s41, v21 dst_sel:DWORD dst_unused:UNUSED_PAD src0_sel:DWORD src1_sel:BYTE_0
	v_and_b32_e32 v21, s62, v21
	v_lshl_or_b32 v21, v21, 4, v63
	ds_add_u32 v21, v89
	s_or_b32 exec_lo, exec_lo, s16
	s_mov_b32 s16, exec_lo
	v_cmpx_gt_u32_e64 s15, v47
	s_cbranch_execz .LBB297_663
.LBB297_679:                            ;   in Loop: Header=BB297_638 Depth=2
	v_xor_b32_e32 v21, 0x7f, v19
	v_lshrrev_b32_sdwa v21, s41, v21 dst_sel:DWORD dst_unused:UNUSED_PAD src0_sel:DWORD src1_sel:BYTE_0
	v_and_b32_e32 v21, s62, v21
	v_lshl_or_b32 v21, v21, 4, v63
	ds_add_u32 v21, v89
	s_or_b32 exec_lo, exec_lo, s16
	s_mov_b32 s16, exec_lo
	v_cmpx_gt_u32_e64 s15, v48
	s_cbranch_execz .LBB297_664
.LBB297_680:                            ;   in Loop: Header=BB297_638 Depth=2
	v_xor_b32_e32 v21, 0x7f, v18
	v_lshrrev_b32_sdwa v21, s41, v21 dst_sel:DWORD dst_unused:UNUSED_PAD src0_sel:DWORD src1_sel:BYTE_0
	v_and_b32_e32 v21, s62, v21
	v_lshl_or_b32 v21, v21, 4, v63
	ds_add_u32 v21, v89
	s_or_b32 exec_lo, exec_lo, s16
	s_mov_b32 s16, exec_lo
	v_cmpx_gt_u32_e64 s15, v49
	s_cbranch_execz .LBB297_665
.LBB297_681:                            ;   in Loop: Header=BB297_638 Depth=2
	v_xor_b32_e32 v21, 0x7f, v16
	v_lshrrev_b32_sdwa v21, s41, v21 dst_sel:DWORD dst_unused:UNUSED_PAD src0_sel:DWORD src1_sel:BYTE_0
	v_and_b32_e32 v21, s62, v21
	v_lshl_or_b32 v21, v21, 4, v63
	ds_add_u32 v21, v89
	s_or_b32 exec_lo, exec_lo, s16
	s_mov_b32 s16, exec_lo
	v_cmpx_gt_u32_e64 s15, v50
	s_cbranch_execz .LBB297_666
.LBB297_682:                            ;   in Loop: Header=BB297_638 Depth=2
	v_xor_b32_e32 v21, 0x7f, v15
	v_lshrrev_b32_sdwa v21, s41, v21 dst_sel:DWORD dst_unused:UNUSED_PAD src0_sel:DWORD src1_sel:BYTE_0
	v_and_b32_e32 v21, s62, v21
	v_lshl_or_b32 v21, v21, 4, v63
	ds_add_u32 v21, v89
	s_or_b32 exec_lo, exec_lo, s16
	s_mov_b32 s16, exec_lo
	v_cmpx_gt_u32_e64 s15, v51
	s_cbranch_execz .LBB297_667
.LBB297_683:                            ;   in Loop: Header=BB297_638 Depth=2
	v_xor_b32_e32 v21, 0x7f, v14
	v_lshrrev_b32_sdwa v21, s41, v21 dst_sel:DWORD dst_unused:UNUSED_PAD src0_sel:DWORD src1_sel:BYTE_0
	v_and_b32_e32 v21, s62, v21
	v_lshl_or_b32 v21, v21, 4, v63
	ds_add_u32 v21, v89
	s_or_b32 exec_lo, exec_lo, s16
	s_mov_b32 s16, exec_lo
	v_cmpx_gt_u32_e64 s15, v52
	s_cbranch_execz .LBB297_668
.LBB297_684:                            ;   in Loop: Header=BB297_638 Depth=2
	v_xor_b32_e32 v21, 0x7f, v13
	v_lshrrev_b32_sdwa v21, s41, v21 dst_sel:DWORD dst_unused:UNUSED_PAD src0_sel:DWORD src1_sel:BYTE_0
	v_and_b32_e32 v21, s62, v21
	v_lshl_or_b32 v21, v21, 4, v63
	ds_add_u32 v21, v89
	s_or_b32 exec_lo, exec_lo, s16
	s_mov_b32 s16, exec_lo
	v_cmpx_gt_u32_e64 s15, v53
	s_cbranch_execz .LBB297_669
.LBB297_685:                            ;   in Loop: Header=BB297_638 Depth=2
	v_xor_b32_e32 v21, 0x7f, v12
	v_lshrrev_b32_sdwa v21, s41, v21 dst_sel:DWORD dst_unused:UNUSED_PAD src0_sel:DWORD src1_sel:BYTE_0
	v_and_b32_e32 v21, s62, v21
	v_lshl_or_b32 v21, v21, 4, v63
	ds_add_u32 v21, v89
	s_or_b32 exec_lo, exec_lo, s16
	s_mov_b32 s16, exec_lo
	v_cmpx_gt_u32_e64 s15, v54
	s_cbranch_execz .LBB297_670
.LBB297_686:                            ;   in Loop: Header=BB297_638 Depth=2
	v_xor_b32_e32 v21, 0x7f, v11
	v_lshrrev_b32_sdwa v21, s41, v21 dst_sel:DWORD dst_unused:UNUSED_PAD src0_sel:DWORD src1_sel:BYTE_0
	v_and_b32_e32 v21, s62, v21
	v_lshl_or_b32 v21, v21, 4, v63
	ds_add_u32 v21, v89
	s_or_b32 exec_lo, exec_lo, s16
	s_mov_b32 s16, exec_lo
	v_cmpx_gt_u32_e64 s15, v55
	s_cbranch_execz .LBB297_671
.LBB297_687:                            ;   in Loop: Header=BB297_638 Depth=2
	v_xor_b32_e32 v21, 0x7f, v10
	v_lshrrev_b32_sdwa v21, s41, v21 dst_sel:DWORD dst_unused:UNUSED_PAD src0_sel:DWORD src1_sel:BYTE_0
	v_and_b32_e32 v21, s62, v21
	v_lshl_or_b32 v21, v21, 4, v63
	ds_add_u32 v21, v89
	s_or_b32 exec_lo, exec_lo, s16
	s_mov_b32 s16, exec_lo
	v_cmpx_gt_u32_e64 s15, v56
	s_cbranch_execz .LBB297_672
.LBB297_688:                            ;   in Loop: Header=BB297_638 Depth=2
	v_xor_b32_e32 v21, 0x7f, v9
	v_lshrrev_b32_sdwa v21, s41, v21 dst_sel:DWORD dst_unused:UNUSED_PAD src0_sel:DWORD src1_sel:BYTE_0
	v_and_b32_e32 v21, s62, v21
	v_lshl_or_b32 v21, v21, 4, v63
	ds_add_u32 v21, v89
	s_or_b32 exec_lo, exec_lo, s16
	s_mov_b32 s16, exec_lo
	v_cmpx_gt_u32_e64 s15, v57
	s_cbranch_execz .LBB297_673
.LBB297_689:                            ;   in Loop: Header=BB297_638 Depth=2
	v_xor_b32_e32 v21, 0x7f, v8
	v_lshrrev_b32_sdwa v21, s41, v21 dst_sel:DWORD dst_unused:UNUSED_PAD src0_sel:DWORD src1_sel:BYTE_0
	v_and_b32_e32 v21, s62, v21
	v_lshl_or_b32 v21, v21, 4, v63
	ds_add_u32 v21, v89
	s_or_b32 exec_lo, exec_lo, s16
	s_mov_b32 s16, exec_lo
	v_cmpx_gt_u32_e64 s15, v58
	s_cbranch_execz .LBB297_674
.LBB297_690:                            ;   in Loop: Header=BB297_638 Depth=2
	v_xor_b32_e32 v21, 0x7f, v7
	v_lshrrev_b32_sdwa v21, s41, v21 dst_sel:DWORD dst_unused:UNUSED_PAD src0_sel:DWORD src1_sel:BYTE_0
	v_and_b32_e32 v21, s62, v21
	v_lshl_or_b32 v21, v21, 4, v63
	ds_add_u32 v21, v89
	s_or_b32 exec_lo, exec_lo, s16
	s_mov_b32 s16, exec_lo
	v_cmpx_gt_u32_e64 s15, v59
	s_cbranch_execz .LBB297_675
.LBB297_691:                            ;   in Loop: Header=BB297_638 Depth=2
	v_xor_b32_e32 v21, 0x7f, v6
	v_lshrrev_b32_sdwa v21, s41, v21 dst_sel:DWORD dst_unused:UNUSED_PAD src0_sel:DWORD src1_sel:BYTE_0
	v_and_b32_e32 v21, s62, v21
	v_lshl_or_b32 v21, v21, 4, v63
	ds_add_u32 v21, v89
	s_or_b32 exec_lo, exec_lo, s16
	s_mov_b32 s16, exec_lo
	v_cmpx_gt_u32_e64 s15, v60
	s_cbranch_execz .LBB297_676
.LBB297_692:                            ;   in Loop: Header=BB297_638 Depth=2
	v_xor_b32_e32 v21, 0x7f, v5
	v_lshrrev_b32_sdwa v21, s41, v21 dst_sel:DWORD dst_unused:UNUSED_PAD src0_sel:DWORD src1_sel:BYTE_0
	v_and_b32_e32 v21, s62, v21
	v_lshl_or_b32 v21, v21, 4, v63
	ds_add_u32 v21, v89
	s_or_b32 exec_lo, exec_lo, s16
	v_cmp_gt_u32_e32 vcc_lo, s15, v61
	s_and_saveexec_b32 s15, vcc_lo
	s_cbranch_execz .LBB297_637
.LBB297_693:                            ;   in Loop: Header=BB297_638 Depth=2
	v_xor_b32_e32 v21, 0x7f, v3
	v_lshrrev_b32_sdwa v21, s41, v21 dst_sel:DWORD dst_unused:UNUSED_PAD src0_sel:DWORD src1_sel:BYTE_0
	v_and_b32_e32 v21, s62, v21
	v_lshl_or_b32 v21, v21, 4, v63
	ds_add_u32 v21, v89
	s_branch .LBB297_637
.LBB297_694:                            ;   in Loop: Header=BB297_638 Depth=2
	s_waitcnt vmcnt(0)
	v_add_co_u32 v21, s18, s15, v0
	v_add_co_ci_u32_e64 v22, null, s16, 0, s18
	global_load_ubyte v17, v[21:22], off
	s_or_b32 exec_lo, exec_lo, s17
	s_mov_b32 s17, exec_lo
	v_cmpx_gt_u32_e64 s5, v44
	s_cbranch_execz .LBB297_643
.LBB297_695:                            ;   in Loop: Header=BB297_638 Depth=2
	v_add_co_u32 v20, s18, s15, v0
	s_waitcnt vmcnt(0)
	v_add_co_ci_u32_e64 v21, null, s16, 0, s18
	global_load_ubyte v20, v[20:21], off offset:256
	s_or_b32 exec_lo, exec_lo, s17
	s_mov_b32 s17, exec_lo
	v_cmpx_gt_u32_e64 s5, v47
	s_cbranch_execz .LBB297_644
.LBB297_696:                            ;   in Loop: Header=BB297_638 Depth=2
	s_waitcnt vmcnt(0)
	v_add_co_u32 v21, s18, s15, v0
	v_add_co_ci_u32_e64 v22, null, s16, 0, s18
	global_load_ubyte v19, v[21:22], off offset:512
	s_or_b32 exec_lo, exec_lo, s17
	s_mov_b32 s17, exec_lo
	v_cmpx_gt_u32_e64 s5, v48
	s_cbranch_execz .LBB297_645
.LBB297_697:                            ;   in Loop: Header=BB297_638 Depth=2
	s_waitcnt vmcnt(0)
	v_add_co_u32 v21, s18, s15, v0
	v_add_co_ci_u32_e64 v22, null, s16, 0, s18
	global_load_ubyte v18, v[21:22], off offset:768
	s_or_b32 exec_lo, exec_lo, s17
	s_mov_b32 s17, exec_lo
	v_cmpx_gt_u32_e64 s5, v49
	s_cbranch_execz .LBB297_646
.LBB297_698:                            ;   in Loop: Header=BB297_638 Depth=2
	s_waitcnt vmcnt(0)
	v_add_co_u32 v21, s18, s15, v0
	v_add_co_ci_u32_e64 v22, null, s16, 0, s18
	global_load_ubyte v16, v[21:22], off offset:1024
	s_or_b32 exec_lo, exec_lo, s17
	s_mov_b32 s17, exec_lo
	v_cmpx_gt_u32_e64 s5, v50
	s_cbranch_execz .LBB297_647
.LBB297_699:                            ;   in Loop: Header=BB297_638 Depth=2
	s_waitcnt vmcnt(0)
	v_add_co_u32 v21, s18, s15, v0
	v_add_co_ci_u32_e64 v22, null, s16, 0, s18
	global_load_ubyte v15, v[21:22], off offset:1280
	s_or_b32 exec_lo, exec_lo, s17
	s_mov_b32 s17, exec_lo
	v_cmpx_gt_u32_e64 s5, v51
	s_cbranch_execz .LBB297_648
.LBB297_700:                            ;   in Loop: Header=BB297_638 Depth=2
	s_waitcnt vmcnt(0)
	v_add_co_u32 v21, s18, s15, v0
	v_add_co_ci_u32_e64 v22, null, s16, 0, s18
	global_load_ubyte v14, v[21:22], off offset:1536
	s_or_b32 exec_lo, exec_lo, s17
	s_mov_b32 s17, exec_lo
	v_cmpx_gt_u32_e64 s5, v52
	s_cbranch_execz .LBB297_649
.LBB297_701:                            ;   in Loop: Header=BB297_638 Depth=2
	s_waitcnt vmcnt(0)
	v_add_co_u32 v21, s18, s15, v0
	v_add_co_ci_u32_e64 v22, null, s16, 0, s18
	global_load_ubyte v13, v[21:22], off offset:1792
	s_or_b32 exec_lo, exec_lo, s17
	s_mov_b32 s17, exec_lo
	v_cmpx_gt_u32_e64 s5, v53
	s_cbranch_execz .LBB297_650
.LBB297_702:                            ;   in Loop: Header=BB297_638 Depth=2
	s_waitcnt vmcnt(0)
	v_add_co_u32 v21, s18, s15, v53
	v_add_co_ci_u32_e64 v22, null, s16, 0, s18
	global_load_ubyte v12, v[21:22], off
	s_or_b32 exec_lo, exec_lo, s17
	s_mov_b32 s17, exec_lo
	v_cmpx_gt_u32_e64 s5, v54
	s_cbranch_execz .LBB297_651
.LBB297_703:                            ;   in Loop: Header=BB297_638 Depth=2
	s_waitcnt vmcnt(0)
	v_add_co_u32 v21, s18, s15, v54
	v_add_co_ci_u32_e64 v22, null, s16, 0, s18
	global_load_ubyte v11, v[21:22], off
	s_or_b32 exec_lo, exec_lo, s17
	s_mov_b32 s17, exec_lo
	v_cmpx_gt_u32_e64 s5, v55
	s_cbranch_execz .LBB297_652
.LBB297_704:                            ;   in Loop: Header=BB297_638 Depth=2
	s_waitcnt vmcnt(0)
	v_add_co_u32 v21, s18, s15, v55
	v_add_co_ci_u32_e64 v22, null, s16, 0, s18
	global_load_ubyte v10, v[21:22], off
	s_or_b32 exec_lo, exec_lo, s17
	s_mov_b32 s17, exec_lo
	v_cmpx_gt_u32_e64 s5, v56
	s_cbranch_execz .LBB297_653
.LBB297_705:                            ;   in Loop: Header=BB297_638 Depth=2
	s_waitcnt vmcnt(0)
	v_add_co_u32 v21, s18, s15, v56
	v_add_co_ci_u32_e64 v22, null, s16, 0, s18
	global_load_ubyte v9, v[21:22], off
	s_or_b32 exec_lo, exec_lo, s17
	s_mov_b32 s17, exec_lo
	v_cmpx_gt_u32_e64 s5, v57
	s_cbranch_execz .LBB297_654
.LBB297_706:                            ;   in Loop: Header=BB297_638 Depth=2
	s_waitcnt vmcnt(0)
	v_add_co_u32 v21, s18, s15, v57
	v_add_co_ci_u32_e64 v22, null, s16, 0, s18
	global_load_ubyte v8, v[21:22], off
	s_or_b32 exec_lo, exec_lo, s17
	s_mov_b32 s17, exec_lo
	v_cmpx_gt_u32_e64 s5, v58
	s_cbranch_execz .LBB297_655
.LBB297_707:                            ;   in Loop: Header=BB297_638 Depth=2
	s_waitcnt vmcnt(0)
	v_add_co_u32 v21, s18, s15, v58
	v_add_co_ci_u32_e64 v22, null, s16, 0, s18
	global_load_ubyte v7, v[21:22], off
	s_or_b32 exec_lo, exec_lo, s17
	s_mov_b32 s17, exec_lo
	v_cmpx_gt_u32_e64 s5, v59
	s_cbranch_execz .LBB297_656
.LBB297_708:                            ;   in Loop: Header=BB297_638 Depth=2
	s_waitcnt vmcnt(0)
	v_add_co_u32 v21, s18, s15, v59
	v_add_co_ci_u32_e64 v22, null, s16, 0, s18
	global_load_ubyte v6, v[21:22], off
	s_or_b32 exec_lo, exec_lo, s17
	s_mov_b32 s17, exec_lo
	v_cmpx_gt_u32_e64 s5, v60
	s_cbranch_execz .LBB297_657
.LBB297_709:                            ;   in Loop: Header=BB297_638 Depth=2
	s_waitcnt vmcnt(0)
	v_add_co_u32 v21, s18, s15, v60
	v_add_co_ci_u32_e64 v22, null, s16, 0, s18
	global_load_ubyte v5, v[21:22], off
	s_or_b32 exec_lo, exec_lo, s17
	s_mov_b32 s17, exec_lo
	v_cmpx_gt_u32_e64 s5, v61
	s_cbranch_execnz .LBB297_658
	s_branch .LBB297_659
.LBB297_710:                            ;   in Loop: Header=BB297_12 Depth=1
	v_mov_b32_e32 v3, 0
	s_waitcnt lgkmcnt(0)
	s_barrier
	buffer_gl0_inv
	s_and_saveexec_b32 s5, s7
	s_cbranch_execz .LBB297_712
; %bb.711:                              ;   in Loop: Header=BB297_12 Depth=1
	ds_read2_b64 v[5:8], v64 offset1:1
	s_waitcnt lgkmcnt(0)
	v_add_nc_u32_e32 v3, v6, v5
	v_add3_u32 v3, v3, v7, v8
.LBB297_712:                            ;   in Loop: Header=BB297_12 Depth=1
	s_or_b32 exec_lo, exec_lo, s5
	v_and_b32_e32 v5, 15, v86
	v_mov_b32_dpp v6, v3 row_shr:1 row_mask:0xf bank_mask:0xf
	v_and_b32_e32 v7, 16, v86
	v_cmp_eq_u32_e64 s5, 0, v5
	v_cmp_lt_u32_e64 s14, 1, v5
	v_cmp_lt_u32_e64 s15, 3, v5
	;; [unrolled: 1-line block ×3, first 2 shown]
	v_cmp_eq_u32_e64 s17, 0, v7
	v_cndmask_b32_e64 v6, v6, 0, s5
	v_add_nc_u32_e32 v3, v6, v3
	v_mov_b32_dpp v6, v3 row_shr:2 row_mask:0xf bank_mask:0xf
	v_cndmask_b32_e64 v6, 0, v6, s14
	v_add_nc_u32_e32 v3, v3, v6
	v_mov_b32_dpp v6, v3 row_shr:4 row_mask:0xf bank_mask:0xf
	v_cndmask_b32_e64 v6, 0, v6, s15
	v_add_nc_u32_e32 v3, v3, v6
	v_mov_b32_dpp v6, v3 row_shr:8 row_mask:0xf bank_mask:0xf
	v_cndmask_b32_e64 v5, 0, v6, s16
	v_bfe_i32 v6, v86, 4, 1
	v_add_nc_u32_e32 v3, v3, v5
	ds_swizzle_b32 v5, v3 offset:swizzle(BROADCAST,32,15)
	s_waitcnt lgkmcnt(0)
	v_and_b32_e32 v5, v6, v5
	v_add_nc_u32_e32 v3, v3, v5
	s_and_saveexec_b32 s18, s8
; %bb.713:                              ;   in Loop: Header=BB297_12 Depth=1
	ds_write_b32 v65, v3
; %bb.714:                              ;   in Loop: Header=BB297_12 Depth=1
	s_or_b32 exec_lo, exec_lo, s18
	s_waitcnt lgkmcnt(0)
	s_barrier
	buffer_gl0_inv
	s_and_saveexec_b32 s18, s9
	s_cbranch_execz .LBB297_716
; %bb.715:                              ;   in Loop: Header=BB297_12 Depth=1
	ds_read_b32 v5, v66
	v_and_b32_e32 v6, 3, v86
	v_cmp_ne_u32_e32 vcc_lo, 0, v6
	s_waitcnt lgkmcnt(0)
	v_mov_b32_dpp v7, v5 row_shr:1 row_mask:0xf bank_mask:0xf
	v_cndmask_b32_e32 v7, 0, v7, vcc_lo
	v_cmp_lt_u32_e32 vcc_lo, 1, v6
	v_add_nc_u32_e32 v5, v7, v5
	v_mov_b32_dpp v7, v5 row_shr:2 row_mask:0xf bank_mask:0xf
	v_cndmask_b32_e32 v6, 0, v7, vcc_lo
	v_add_nc_u32_e32 v5, v5, v6
	ds_write_b32 v66, v5
.LBB297_716:                            ;   in Loop: Header=BB297_12 Depth=1
	s_or_b32 exec_lo, exec_lo, s18
	v_mov_b32_e32 v5, 0
	s_waitcnt lgkmcnt(0)
	s_barrier
	buffer_gl0_inv
	s_and_saveexec_b32 s18, s10
; %bb.717:                              ;   in Loop: Header=BB297_12 Depth=1
	ds_read_b32 v5, v67
; %bb.718:                              ;   in Loop: Header=BB297_12 Depth=1
	s_or_b32 exec_lo, exec_lo, s18
	v_sub_co_u32 v6, s18, v86, 1
	s_waitcnt lgkmcnt(0)
	v_add_nc_u32_e32 v3, v5, v3
	s_barrier
	v_cmp_gt_i32_e32 vcc_lo, 0, v6
	buffer_gl0_inv
	v_cndmask_b32_e32 v6, v6, v86, vcc_lo
	v_lshlrev_b32_e32 v94, 2, v6
	ds_bpermute_b32 v3, v94, v3
	s_and_saveexec_b32 s19, s7
	s_cbranch_execz .LBB297_720
; %bb.719:                              ;   in Loop: Header=BB297_12 Depth=1
	s_waitcnt lgkmcnt(0)
	v_cndmask_b32_e64 v3, v3, v5, s18
	v_add_nc_u32_e32 v3, s58, v3
	ds_write_b32 v43, v3
.LBB297_720:                            ;   in Loop: Header=BB297_12 Depth=1
	s_or_b32 exec_lo, exec_lo, s19
	s_load_dwordx2 s[20:21], s[56:57], 0x0
	v_and_b32_e32 v6, 7, v86
	v_lshlrev_b32_e32 v7, 3, v86
	v_or_b32_e32 v95, v86, v68
	v_add_co_u32 v96, vcc_lo, v87, v86
	v_add_co_ci_u32_e64 v97, null, 0, v88, vcc_lo
	v_add_co_u32 v98, vcc_lo, v84, v7
	v_add_co_ci_u32_e64 v99, null, 0, v85, vcc_lo
	v_add_nc_u32_e32 v100, 32, v95
	v_add_nc_u32_e32 v101, 64, v95
	v_add_nc_u32_e32 v102, 0x60, v95
	v_add_nc_u32_e32 v103, 0x80, v95
	v_add_nc_u32_e32 v104, 0xa0, v95
	v_add_nc_u32_e32 v105, 0xc0, v95
	v_add_nc_u32_e32 v106, 0xe0, v95
	v_add_nc_u32_e32 v107, 0x100, v95
	s_waitcnt lgkmcnt(0)
	s_cmp_lt_u32 s28, s21
	v_add_nc_u32_e32 v108, 0x120, v95
	s_cselect_b32 s19, 14, 20
	v_add_nc_u32_e32 v109, 0x140, v95
	s_add_u32 s22, s56, s19
	s_addc_u32 s23, s57, 0
	s_cmp_lt_u32 s6, s20
	global_load_ushort v3, v4, s[22:23]
	s_cselect_b32 s19, 12, 18
	v_add_nc_u32_e32 v110, 0x160, v95
	s_add_u32 s20, s56, s19
	s_addc_u32 s21, s57, 0
	v_cmp_eq_u32_e64 s19, 0, v6
	global_load_ushort v5, v4, s[20:21]
	v_cmp_lt_u32_e64 s20, 1, v6
	v_cmp_lt_u32_e64 s21, 3, v6
	v_add_nc_u32_e32 v111, 0x180, v95
	v_add_nc_u32_e32 v112, 0x1a0, v95
	;; [unrolled: 1-line block ×5, first 2 shown]
	v_mov_b32_e32 v117, 0
	s_mov_b32 s63, s60
	s_mov_b32 s50, s58
                                        ; implicit-def: $vgpr7_vgpr8
                                        ; implicit-def: $vgpr9_vgpr10
                                        ; implicit-def: $vgpr11_vgpr12
                                        ; implicit-def: $vgpr13_vgpr14
                                        ; implicit-def: $vgpr15_vgpr16
                                        ; implicit-def: $vgpr19_vgpr20
                                        ; implicit-def: $vgpr23_vgpr24
                                        ; implicit-def: $vgpr27_vgpr28
                                        ; implicit-def: $vgpr17_vgpr18
                                        ; implicit-def: $vgpr21_vgpr22
                                        ; implicit-def: $vgpr25_vgpr26
                                        ; implicit-def: $vgpr29_vgpr30
                                        ; implicit-def: $vgpr31_vgpr32
                                        ; implicit-def: $vgpr33_vgpr34
                                        ; implicit-def: $vgpr35_vgpr36
                                        ; implicit-def: $vgpr37_vgpr38
                                        ; implicit-def: $vgpr118
                                        ; implicit-def: $vgpr119
                                        ; implicit-def: $vgpr120
                                        ; implicit-def: $vgpr121
                                        ; implicit-def: $vgpr122
                                        ; implicit-def: $vgpr123
                                        ; implicit-def: $vgpr124
                                        ; implicit-def: $vgpr125
                                        ; implicit-def: $vgpr126
                                        ; implicit-def: $vgpr127
                                        ; implicit-def: $vgpr128
                                        ; implicit-def: $vgpr129
                                        ; implicit-def: $vgpr130
                                        ; implicit-def: $vgpr131
                                        ; implicit-def: $vgpr132
                                        ; implicit-def: $vgpr133
                                        ; implicit-def: $vgpr134
                                        ; implicit-def: $vgpr135
                                        ; implicit-def: $vgpr136
	s_waitcnt vmcnt(1)
	v_mad_u32_u24 v3, v2, v3, v1
	s_waitcnt vmcnt(0)
	v_mad_u64_u32 v[5:6], null, v3, v5, v[0:1]
	v_lshrrev_b32_e32 v3, 3, v5
                                        ; implicit-def: $vgpr5_vgpr6
	v_and_b32_e32 v116, 0x1ffffffc, v3
	s_branch .LBB297_722
.LBB297_721:                            ;   in Loop: Header=BB297_722 Depth=2
	s_or_b32 exec_lo, exec_lo, s22
	s_addk_i32 s63, 0xef00
	s_cmp_lt_u32 s64, s59
	s_mov_b32 s50, s64
	s_cbranch_scc0 .LBB297_944
.LBB297_722:                            ;   Parent Loop BB297_12 Depth=1
                                        ; =>  This Inner Loop Header: Depth=2
	s_add_i32 s64, s50, 0x1100
	s_cmp_gt_u32 s64, s59
	s_cbranch_scc1 .LBB297_724
; %bb.723:                              ;   in Loop: Header=BB297_722 Depth=2
	v_add_co_u32 v39, vcc_lo, v96, s50
	v_add_co_ci_u32_e64 v40, null, 0, v97, vcc_lo
	s_mov_b32 s22, -1
	s_clause 0xf
	global_load_ubyte v42, v[39:40], off offset:480
	global_load_ubyte v41, v[39:40], off offset:448
	;; [unrolled: 1-line block ×15, first 2 shown]
	global_load_ubyte v146, v[39:40], off
	s_movk_i32 s23, 0x1100
	s_cbranch_execz .LBB297_725
	s_branch .LBB297_743
.LBB297_724:                            ;   in Loop: Header=BB297_722 Depth=2
	s_mov_b32 s22, 0
                                        ; implicit-def: $vgpr146
                                        ; implicit-def: $vgpr147
                                        ; implicit-def: $vgpr148
                                        ; implicit-def: $vgpr151
                                        ; implicit-def: $vgpr150
                                        ; implicit-def: $vgpr143
                                        ; implicit-def: $vgpr144
                                        ; implicit-def: $vgpr145
                                        ; implicit-def: $vgpr142
                                        ; implicit-def: $vgpr139
                                        ; implicit-def: $vgpr140
                                        ; implicit-def: $vgpr141
                                        ; implicit-def: $vgpr137
                                        ; implicit-def: $vgpr3
                                        ; implicit-def: $vgpr41
                                        ; implicit-def: $vgpr42
                                        ; implicit-def: $vgpr117
	s_movk_i32 s23, 0x1100
.LBB297_725:                            ;   in Loop: Header=BB297_722 Depth=2
	v_add_co_u32 v39, vcc_lo, v96, s50
	v_add_co_ci_u32_e64 v40, null, 0, v97, vcc_lo
	v_mov_b32_e32 v117, 0x80
	s_waitcnt vmcnt(0)
	v_mov_b32_e32 v146, 0x80
	v_mov_b32_e32 v147, 0x80
	;; [unrolled: 1-line block ×16, first 2 shown]
	s_mov_b32 s22, exec_lo
	v_cmpx_gt_u32_e64 s63, v95
	s_cbranch_execnz .LBB297_929
; %bb.726:                              ;   in Loop: Header=BB297_722 Depth=2
	s_or_b32 exec_lo, exec_lo, s22
	s_mov_b32 s22, exec_lo
	v_cmpx_gt_u32_e64 s63, v100
	s_cbranch_execnz .LBB297_930
.LBB297_727:                            ;   in Loop: Header=BB297_722 Depth=2
	s_or_b32 exec_lo, exec_lo, s22
	s_mov_b32 s22, exec_lo
	v_cmpx_gt_u32_e64 s63, v101
	s_cbranch_execnz .LBB297_931
.LBB297_728:                            ;   in Loop: Header=BB297_722 Depth=2
	s_or_b32 exec_lo, exec_lo, s22
	s_mov_b32 s22, exec_lo
	v_cmpx_gt_u32_e64 s63, v102
	s_cbranch_execnz .LBB297_932
.LBB297_729:                            ;   in Loop: Header=BB297_722 Depth=2
	s_or_b32 exec_lo, exec_lo, s22
	s_mov_b32 s22, exec_lo
	v_cmpx_gt_u32_e64 s63, v103
	s_cbranch_execnz .LBB297_933
.LBB297_730:                            ;   in Loop: Header=BB297_722 Depth=2
	s_or_b32 exec_lo, exec_lo, s22
	s_mov_b32 s22, exec_lo
	v_cmpx_gt_u32_e64 s63, v104
	s_cbranch_execnz .LBB297_934
.LBB297_731:                            ;   in Loop: Header=BB297_722 Depth=2
	s_or_b32 exec_lo, exec_lo, s22
	s_mov_b32 s22, exec_lo
	v_cmpx_gt_u32_e64 s63, v105
	s_cbranch_execnz .LBB297_935
.LBB297_732:                            ;   in Loop: Header=BB297_722 Depth=2
	s_or_b32 exec_lo, exec_lo, s22
	s_mov_b32 s22, exec_lo
	v_cmpx_gt_u32_e64 s63, v106
	s_cbranch_execnz .LBB297_936
.LBB297_733:                            ;   in Loop: Header=BB297_722 Depth=2
	s_or_b32 exec_lo, exec_lo, s22
	s_mov_b32 s22, exec_lo
	v_cmpx_gt_u32_e64 s63, v107
	s_cbranch_execnz .LBB297_937
.LBB297_734:                            ;   in Loop: Header=BB297_722 Depth=2
	s_or_b32 exec_lo, exec_lo, s22
	s_mov_b32 s22, exec_lo
	v_cmpx_gt_u32_e64 s63, v108
	s_cbranch_execnz .LBB297_938
.LBB297_735:                            ;   in Loop: Header=BB297_722 Depth=2
	s_or_b32 exec_lo, exec_lo, s22
	s_mov_b32 s22, exec_lo
	v_cmpx_gt_u32_e64 s63, v109
	s_cbranch_execnz .LBB297_939
.LBB297_736:                            ;   in Loop: Header=BB297_722 Depth=2
	s_or_b32 exec_lo, exec_lo, s22
	s_mov_b32 s22, exec_lo
	v_cmpx_gt_u32_e64 s63, v110
	s_cbranch_execnz .LBB297_940
.LBB297_737:                            ;   in Loop: Header=BB297_722 Depth=2
	s_or_b32 exec_lo, exec_lo, s22
	s_mov_b32 s22, exec_lo
	v_cmpx_gt_u32_e64 s63, v111
	s_cbranch_execnz .LBB297_941
.LBB297_738:                            ;   in Loop: Header=BB297_722 Depth=2
	s_or_b32 exec_lo, exec_lo, s22
	s_mov_b32 s22, exec_lo
	v_cmpx_gt_u32_e64 s63, v112
	s_cbranch_execnz .LBB297_942
.LBB297_739:                            ;   in Loop: Header=BB297_722 Depth=2
	s_or_b32 exec_lo, exec_lo, s22
	s_mov_b32 s22, exec_lo
	v_cmpx_gt_u32_e64 s63, v113
	s_cbranch_execnz .LBB297_943
.LBB297_740:                            ;   in Loop: Header=BB297_722 Depth=2
	s_or_b32 exec_lo, exec_lo, s22
	s_mov_b32 s22, exec_lo
	v_cmpx_gt_u32_e64 s63, v114
	s_cbranch_execz .LBB297_742
.LBB297_741:                            ;   in Loop: Header=BB297_722 Depth=2
	global_load_ubyte v42, v[39:40], off offset:480
.LBB297_742:                            ;   in Loop: Header=BB297_722 Depth=2
	s_or_b32 exec_lo, exec_lo, s22
	v_cmp_gt_u32_e64 s22, s63, v115
	s_sub_i32 s23, s59, s50
.LBB297_743:                            ;   in Loop: Header=BB297_722 Depth=2
	v_mov_b32_e32 v138, s63
	s_and_saveexec_b32 s24, s22
	s_cbranch_execz .LBB297_745
; %bb.744:                              ;   in Loop: Header=BB297_722 Depth=2
	v_add_co_u32 v39, vcc_lo, v96, s50
	v_add_co_ci_u32_e64 v40, null, s51, v97, vcc_lo
	v_mov_b32_e32 v138, s23
	global_load_ubyte v117, v[39:40], off offset:512
.LBB297_745:                            ;   in Loop: Header=BB297_722 Depth=2
	s_or_b32 exec_lo, exec_lo, s24
	s_waitcnt vmcnt(0)
	v_xor_b32_e32 v39, 0x7f, v146
	ds_write2_b32 v69, v4, v4 offset0:136 offset1:137
	ds_write2_b32 v69, v4, v4 offset0:138 offset1:139
	ds_write_b32 v69, v4 offset:560
	s_waitcnt lgkmcnt(0)
	s_barrier
	v_and_b32_sdwa v40, v92, v39 dst_sel:DWORD dst_unused:UNUSED_PAD src0_sel:DWORD src1_sel:BYTE_0
	buffer_gl0_inv
	; wave barrier
	v_lshrrev_b32_e32 v40, s41, v40
	v_and_b32_e32 v149, s62, v40
	v_and_b32_e32 v40, 1, v149
	v_lshlrev_b32_e32 v146, 30, v149
	v_lshlrev_b32_e32 v152, 29, v149
	v_lshlrev_b32_e32 v154, 28, v149
	v_lshlrev_b32_e32 v155, 27, v149
	v_add_co_u32 v40, s22, v40, -1
	v_cndmask_b32_e64 v153, 0, 1, s22
	v_not_b32_e32 v157, v146
	v_cmp_gt_i32_e64 s22, 0, v146
	v_not_b32_e32 v146, v152
	v_lshlrev_b32_e32 v156, 26, v149
	v_cmp_ne_u32_e32 vcc_lo, 0, v153
	v_ashrrev_i32_e32 v157, 31, v157
	v_lshlrev_b32_e32 v153, 25, v149
	v_ashrrev_i32_e32 v146, 31, v146
	v_mul_u32_u24_e32 v149, 36, v149
	v_xor_b32_e32 v40, vcc_lo, v40
	v_cmp_gt_i32_e32 vcc_lo, 0, v152
	v_not_b32_e32 v152, v154
	v_xor_b32_e32 v157, s22, v157
	v_cmp_gt_i32_e64 s22, 0, v154
	v_and_b32_e32 v40, exec_lo, v40
	v_not_b32_e32 v154, v155
	v_ashrrev_i32_e32 v152, 31, v152
	v_xor_b32_e32 v146, vcc_lo, v146
	v_cmp_gt_i32_e32 vcc_lo, 0, v155
	v_and_b32_e32 v40, v40, v157
	v_not_b32_e32 v155, v156
	v_ashrrev_i32_e32 v154, 31, v154
	v_xor_b32_e32 v152, s22, v152
	v_cmp_gt_i32_e64 s22, 0, v156
	v_and_b32_e32 v40, v40, v146
	v_not_b32_e32 v146, v153
	v_ashrrev_i32_e32 v155, 31, v155
	v_xor_b32_e32 v154, vcc_lo, v154
	v_cmp_gt_i32_e32 vcc_lo, 0, v153
	v_and_b32_e32 v40, v40, v152
	v_ashrrev_i32_e32 v146, 31, v146
	v_xor_b32_e32 v152, s22, v155
	v_add_nc_u32_e32 v149, v116, v149
	v_and_b32_e32 v40, v40, v154
	v_xor_b32_e32 v146, vcc_lo, v146
	v_and_b32_e32 v40, v40, v152
	v_and_b32_e32 v40, v40, v146
	v_mbcnt_lo_u32_b32 v146, v40, 0
	v_cmp_ne_u32_e64 s22, 0, v40
	v_cmp_eq_u32_e32 vcc_lo, 0, v146
	s_and_b32 s23, s22, vcc_lo
	s_and_saveexec_b32 s22, s23
; %bb.746:                              ;   in Loop: Header=BB297_722 Depth=2
	v_bcnt_u32_b32 v40, v40, 0
	ds_write_b32 v149, v40 offset:544
; %bb.747:                              ;   in Loop: Header=BB297_722 Depth=2
	s_or_b32 exec_lo, exec_lo, s22
	v_xor_b32_sdwa v40, v147, v93 dst_sel:BYTE_1 dst_unused:UNUSED_PAD src0_sel:DWORD src1_sel:DWORD
	v_xor_b32_e32 v148, 0x7f, v148
	v_xor_b32_sdwa v151, v151, v93 dst_sel:BYTE_1 dst_unused:UNUSED_PAD src0_sel:DWORD src1_sel:DWORD
	; wave barrier
	v_or_b32_sdwa v147, v39, v40 dst_sel:DWORD dst_unused:UNUSED_PAD src0_sel:BYTE_0 src1_sel:DWORD
	v_or_b32_sdwa v39, v148, v151 dst_sel:WORD_1 dst_unused:UNUSED_PAD src0_sel:BYTE_0 src1_sel:DWORD
	v_or_b32_sdwa v148, v147, v39 dst_sel:DWORD dst_unused:UNUSED_PAD src0_sel:WORD_0 src1_sel:DWORD
	v_lshrrev_b32_sdwa v39, s41, v148 dst_sel:DWORD dst_unused:UNUSED_PAD src0_sel:DWORD src1_sel:BYTE_1
	v_and_b32_e32 v40, s62, v39
	v_and_b32_e32 v39, 1, v40
	v_lshlrev_b32_e32 v151, 30, v40
	v_lshlrev_b32_e32 v152, 29, v40
	;; [unrolled: 1-line block ×4, first 2 shown]
	v_add_co_u32 v39, s22, v39, -1
	v_cndmask_b32_e64 v153, 0, 1, s22
	v_not_b32_e32 v157, v151
	v_cmp_gt_i32_e64 s22, 0, v151
	v_not_b32_e32 v151, v152
	v_lshlrev_b32_e32 v156, 26, v40
	v_cmp_ne_u32_e32 vcc_lo, 0, v153
	v_ashrrev_i32_e32 v157, 31, v157
	v_lshlrev_b32_e32 v153, 25, v40
	v_ashrrev_i32_e32 v151, 31, v151
	v_xor_b32_e32 v39, vcc_lo, v39
	v_cmp_gt_i32_e32 vcc_lo, 0, v152
	v_not_b32_e32 v152, v154
	v_xor_b32_e32 v157, s22, v157
	v_cmp_gt_i32_e64 s22, 0, v154
	v_and_b32_e32 v39, exec_lo, v39
	v_not_b32_e32 v154, v155
	v_ashrrev_i32_e32 v152, 31, v152
	v_xor_b32_e32 v151, vcc_lo, v151
	v_cmp_gt_i32_e32 vcc_lo, 0, v155
	v_and_b32_e32 v39, v39, v157
	v_not_b32_e32 v155, v156
	v_ashrrev_i32_e32 v154, 31, v154
	v_xor_b32_e32 v152, s22, v152
	v_cmp_gt_i32_e64 s22, 0, v156
	v_and_b32_e32 v39, v39, v151
	v_not_b32_e32 v151, v153
	v_ashrrev_i32_e32 v155, 31, v155
	v_xor_b32_e32 v154, vcc_lo, v154
	v_cmp_gt_i32_e32 vcc_lo, 0, v153
	v_and_b32_e32 v39, v39, v152
	v_ashrrev_i32_e32 v151, 31, v151
	v_xor_b32_e32 v152, s22, v155
	v_mad_u32_u24 v153, v40, 36, v116
	v_mul_u32_u24_e32 v40, 36, v40
	v_and_b32_e32 v39, v39, v154
	v_xor_b32_e32 v154, vcc_lo, v151
	ds_read_b32 v151, v153 offset:544
	v_add_nc_u32_e32 v153, v116, v40
	v_and_b32_e32 v39, v39, v152
	; wave barrier
	v_and_b32_e32 v39, v39, v154
	v_mbcnt_lo_u32_b32 v152, v39, 0
	v_cmp_ne_u32_e64 s22, 0, v39
	v_cmp_eq_u32_e32 vcc_lo, 0, v152
	s_and_b32 s23, s22, vcc_lo
	s_and_saveexec_b32 s22, s23
	s_cbranch_execz .LBB297_749
; %bb.748:                              ;   in Loop: Header=BB297_722 Depth=2
	s_waitcnt lgkmcnt(0)
	v_bcnt_u32_b32 v39, v39, v151
	ds_write_b32 v153, v39 offset:544
.LBB297_749:                            ;   in Loop: Header=BB297_722 Depth=2
	s_or_b32 exec_lo, exec_lo, s22
	v_lshrrev_b32_sdwa v39, s41, v148 dst_sel:DWORD dst_unused:UNUSED_PAD src0_sel:DWORD src1_sel:BYTE_2
	; wave barrier
	v_and_b32_e32 v40, s62, v39
	v_and_b32_e32 v39, 1, v40
	v_lshlrev_b32_e32 v154, 30, v40
	v_lshlrev_b32_e32 v155, 29, v40
	;; [unrolled: 1-line block ×4, first 2 shown]
	v_add_co_u32 v39, s22, v39, -1
	v_cndmask_b32_e64 v156, 0, 1, s22
	v_not_b32_e32 v160, v154
	v_cmp_gt_i32_e64 s22, 0, v154
	v_not_b32_e32 v154, v155
	v_lshlrev_b32_e32 v159, 26, v40
	v_cmp_ne_u32_e32 vcc_lo, 0, v156
	v_ashrrev_i32_e32 v160, 31, v160
	v_lshlrev_b32_e32 v156, 25, v40
	v_ashrrev_i32_e32 v154, 31, v154
	v_xor_b32_e32 v39, vcc_lo, v39
	v_cmp_gt_i32_e32 vcc_lo, 0, v155
	v_not_b32_e32 v155, v157
	v_xor_b32_e32 v160, s22, v160
	v_cmp_gt_i32_e64 s22, 0, v157
	v_and_b32_e32 v39, exec_lo, v39
	v_not_b32_e32 v157, v158
	v_ashrrev_i32_e32 v155, 31, v155
	v_xor_b32_e32 v154, vcc_lo, v154
	v_cmp_gt_i32_e32 vcc_lo, 0, v158
	v_and_b32_e32 v39, v39, v160
	v_not_b32_e32 v158, v159
	v_ashrrev_i32_e32 v157, 31, v157
	v_xor_b32_e32 v155, s22, v155
	v_cmp_gt_i32_e64 s22, 0, v159
	v_and_b32_e32 v39, v39, v154
	v_not_b32_e32 v154, v156
	v_ashrrev_i32_e32 v158, 31, v158
	v_xor_b32_e32 v157, vcc_lo, v157
	v_cmp_gt_i32_e32 vcc_lo, 0, v156
	v_and_b32_e32 v39, v39, v155
	v_ashrrev_i32_e32 v154, 31, v154
	v_xor_b32_e32 v155, s22, v158
	v_mad_u32_u24 v156, v40, 36, v116
	v_mul_u32_u24_e32 v40, 36, v40
	v_and_b32_e32 v39, v39, v157
	v_xor_b32_e32 v157, vcc_lo, v154
	ds_read_b32 v154, v156 offset:544
	v_and_b32_e32 v39, v39, v155
	; wave barrier
	v_and_b32_e32 v39, v39, v157
	v_add_nc_u32_e32 v157, v116, v40
	v_mbcnt_lo_u32_b32 v155, v39, 0
	v_cmp_ne_u32_e64 s22, 0, v39
	v_cmp_eq_u32_e32 vcc_lo, 0, v155
	s_and_b32 s23, s22, vcc_lo
	s_and_saveexec_b32 s22, s23
	s_cbranch_execz .LBB297_751
; %bb.750:                              ;   in Loop: Header=BB297_722 Depth=2
	s_waitcnt lgkmcnt(0)
	v_bcnt_u32_b32 v39, v39, v154
	ds_write_b32 v157, v39 offset:544
.LBB297_751:                            ;   in Loop: Header=BB297_722 Depth=2
	s_or_b32 exec_lo, exec_lo, s22
	v_lshrrev_b32_e32 v156, 24, v148
	; wave barrier
	v_lshrrev_b32_e32 v39, s41, v156
	v_and_b32_e32 v40, s62, v39
	v_and_b32_e32 v39, 1, v40
	v_lshlrev_b32_e32 v158, 30, v40
	v_lshlrev_b32_e32 v159, 29, v40
	;; [unrolled: 1-line block ×4, first 2 shown]
	v_add_co_u32 v39, s22, v39, -1
	v_cndmask_b32_e64 v160, 0, 1, s22
	v_not_b32_e32 v164, v158
	v_cmp_gt_i32_e64 s22, 0, v158
	v_not_b32_e32 v158, v159
	v_lshlrev_b32_e32 v163, 26, v40
	v_cmp_ne_u32_e32 vcc_lo, 0, v160
	v_ashrrev_i32_e32 v164, 31, v164
	v_lshlrev_b32_e32 v160, 25, v40
	v_ashrrev_i32_e32 v158, 31, v158
	v_xor_b32_e32 v39, vcc_lo, v39
	v_cmp_gt_i32_e32 vcc_lo, 0, v159
	v_not_b32_e32 v159, v161
	v_xor_b32_e32 v164, s22, v164
	v_cmp_gt_i32_e64 s22, 0, v161
	v_and_b32_e32 v39, exec_lo, v39
	v_not_b32_e32 v161, v162
	v_ashrrev_i32_e32 v159, 31, v159
	v_xor_b32_e32 v158, vcc_lo, v158
	v_cmp_gt_i32_e32 vcc_lo, 0, v162
	v_and_b32_e32 v39, v39, v164
	v_not_b32_e32 v162, v163
	v_ashrrev_i32_e32 v161, 31, v161
	v_xor_b32_e32 v159, s22, v159
	v_cmp_gt_i32_e64 s22, 0, v163
	v_and_b32_e32 v39, v39, v158
	v_not_b32_e32 v158, v160
	v_ashrrev_i32_e32 v162, 31, v162
	v_xor_b32_e32 v161, vcc_lo, v161
	v_cmp_gt_i32_e32 vcc_lo, 0, v160
	v_and_b32_e32 v39, v39, v159
	v_ashrrev_i32_e32 v158, 31, v158
	v_xor_b32_e32 v159, s22, v162
	v_mad_u32_u24 v160, v40, 36, v116
	v_mul_u32_u24_e32 v40, 36, v40
	v_and_b32_e32 v39, v39, v161
	v_xor_b32_e32 v161, vcc_lo, v158
	ds_read_b32 v158, v160 offset:544
	v_add_nc_u32_e32 v160, v116, v40
	v_and_b32_e32 v39, v39, v159
	; wave barrier
	v_and_b32_e32 v39, v39, v161
	v_mbcnt_lo_u32_b32 v159, v39, 0
	v_cmp_ne_u32_e64 s22, 0, v39
	v_cmp_eq_u32_e32 vcc_lo, 0, v159
	s_and_b32 s23, s22, vcc_lo
	s_and_saveexec_b32 s22, s23
	s_cbranch_execz .LBB297_753
; %bb.752:                              ;   in Loop: Header=BB297_722 Depth=2
	s_waitcnt lgkmcnt(0)
	v_bcnt_u32_b32 v39, v39, v158
	ds_write_b32 v160, v39 offset:544
.LBB297_753:                            ;   in Loop: Header=BB297_722 Depth=2
	s_or_b32 exec_lo, exec_lo, s22
	v_xor_b32_e32 v39, 0x7f, v150
	; wave barrier
	v_and_b32_sdwa v40, v92, v39 dst_sel:DWORD dst_unused:UNUSED_PAD src0_sel:DWORD src1_sel:BYTE_0
	v_lshrrev_b32_e32 v40, s41, v40
	v_and_b32_e32 v162, s62, v40
	v_and_b32_e32 v40, 1, v162
	v_lshlrev_b32_e32 v150, 30, v162
	v_lshlrev_b32_e32 v161, 29, v162
	v_lshlrev_b32_e32 v164, 28, v162
	v_lshlrev_b32_e32 v165, 27, v162
	v_add_co_u32 v40, s22, v40, -1
	v_cndmask_b32_e64 v163, 0, 1, s22
	v_not_b32_e32 v167, v150
	v_cmp_gt_i32_e64 s22, 0, v150
	v_not_b32_e32 v150, v161
	v_lshlrev_b32_e32 v166, 26, v162
	v_cmp_ne_u32_e32 vcc_lo, 0, v163
	v_ashrrev_i32_e32 v167, 31, v167
	v_lshlrev_b32_e32 v163, 25, v162
	v_ashrrev_i32_e32 v150, 31, v150
	v_xor_b32_e32 v40, vcc_lo, v40
	v_cmp_gt_i32_e32 vcc_lo, 0, v161
	v_not_b32_e32 v161, v164
	v_xor_b32_e32 v167, s22, v167
	v_cmp_gt_i32_e64 s22, 0, v164
	v_and_b32_e32 v40, exec_lo, v40
	v_not_b32_e32 v164, v165
	v_ashrrev_i32_e32 v161, 31, v161
	v_xor_b32_e32 v150, vcc_lo, v150
	v_cmp_gt_i32_e32 vcc_lo, 0, v165
	v_and_b32_e32 v40, v40, v167
	v_not_b32_e32 v165, v166
	v_ashrrev_i32_e32 v164, 31, v164
	v_xor_b32_e32 v161, s22, v161
	v_cmp_gt_i32_e64 s22, 0, v166
	v_and_b32_e32 v40, v40, v150
	v_not_b32_e32 v150, v163
	v_ashrrev_i32_e32 v165, 31, v165
	v_xor_b32_e32 v164, vcc_lo, v164
	v_cmp_gt_i32_e32 vcc_lo, 0, v163
	v_and_b32_e32 v40, v40, v161
	v_ashrrev_i32_e32 v150, 31, v150
	v_xor_b32_e32 v161, s22, v165
	v_mad_u32_u24 v163, v162, 36, v116
	v_mul_u32_u24_e32 v162, 36, v162
	v_and_b32_e32 v40, v40, v164
	v_xor_b32_e32 v164, vcc_lo, v150
	ds_read_b32 v150, v163 offset:544
	v_add_nc_u32_e32 v162, v116, v162
	v_and_b32_e32 v40, v40, v161
	; wave barrier
	v_and_b32_e32 v40, v40, v164
	v_mbcnt_lo_u32_b32 v161, v40, 0
	v_cmp_ne_u32_e64 s22, 0, v40
	v_cmp_eq_u32_e32 vcc_lo, 0, v161
	s_and_b32 s23, s22, vcc_lo
	s_and_saveexec_b32 s22, s23
	s_cbranch_execz .LBB297_755
; %bb.754:                              ;   in Loop: Header=BB297_722 Depth=2
	s_waitcnt lgkmcnt(0)
	v_bcnt_u32_b32 v40, v40, v150
	ds_write_b32 v162, v40 offset:544
.LBB297_755:                            ;   in Loop: Header=BB297_722 Depth=2
	s_or_b32 exec_lo, exec_lo, s22
	v_xor_b32_sdwa v40, v143, v93 dst_sel:BYTE_1 dst_unused:UNUSED_PAD src0_sel:DWORD src1_sel:DWORD
	v_xor_b32_e32 v144, 0x7f, v144
	v_xor_b32_sdwa v145, v145, v93 dst_sel:BYTE_1 dst_unused:UNUSED_PAD src0_sel:DWORD src1_sel:DWORD
	; wave barrier
	v_or_b32_sdwa v143, v39, v40 dst_sel:DWORD dst_unused:UNUSED_PAD src0_sel:BYTE_0 src1_sel:DWORD
	v_or_b32_sdwa v39, v144, v145 dst_sel:WORD_1 dst_unused:UNUSED_PAD src0_sel:BYTE_0 src1_sel:DWORD
	v_or_b32_sdwa v144, v143, v39 dst_sel:DWORD dst_unused:UNUSED_PAD src0_sel:WORD_0 src1_sel:DWORD
	v_lshrrev_b32_sdwa v39, s41, v144 dst_sel:DWORD dst_unused:UNUSED_PAD src0_sel:DWORD src1_sel:BYTE_1
	v_and_b32_e32 v40, s62, v39
	v_and_b32_e32 v39, 1, v40
	v_lshlrev_b32_e32 v145, 30, v40
	v_lshlrev_b32_e32 v163, 29, v40
	v_lshlrev_b32_e32 v165, 28, v40
	v_lshlrev_b32_e32 v166, 27, v40
	v_add_co_u32 v39, s22, v39, -1
	v_cndmask_b32_e64 v164, 0, 1, s22
	v_not_b32_e32 v168, v145
	v_cmp_gt_i32_e64 s22, 0, v145
	v_not_b32_e32 v145, v163
	v_lshlrev_b32_e32 v167, 26, v40
	v_cmp_ne_u32_e32 vcc_lo, 0, v164
	v_ashrrev_i32_e32 v168, 31, v168
	v_lshlrev_b32_e32 v164, 25, v40
	v_ashrrev_i32_e32 v145, 31, v145
	v_xor_b32_e32 v39, vcc_lo, v39
	v_cmp_gt_i32_e32 vcc_lo, 0, v163
	v_not_b32_e32 v163, v165
	v_xor_b32_e32 v168, s22, v168
	v_cmp_gt_i32_e64 s22, 0, v165
	v_and_b32_e32 v39, exec_lo, v39
	v_not_b32_e32 v165, v166
	v_ashrrev_i32_e32 v163, 31, v163
	v_xor_b32_e32 v145, vcc_lo, v145
	v_cmp_gt_i32_e32 vcc_lo, 0, v166
	v_and_b32_e32 v39, v39, v168
	v_not_b32_e32 v166, v167
	v_ashrrev_i32_e32 v165, 31, v165
	v_xor_b32_e32 v163, s22, v163
	v_cmp_gt_i32_e64 s22, 0, v167
	v_and_b32_e32 v39, v39, v145
	v_not_b32_e32 v145, v164
	v_ashrrev_i32_e32 v166, 31, v166
	v_xor_b32_e32 v165, vcc_lo, v165
	v_cmp_gt_i32_e32 vcc_lo, 0, v164
	v_and_b32_e32 v39, v39, v163
	v_ashrrev_i32_e32 v145, 31, v145
	v_xor_b32_e32 v163, s22, v166
	v_mad_u32_u24 v164, v40, 36, v116
	v_mul_u32_u24_e32 v40, 36, v40
	v_and_b32_e32 v39, v39, v165
	v_xor_b32_e32 v165, vcc_lo, v145
	ds_read_b32 v145, v164 offset:544
	v_add_nc_u32_e32 v164, v116, v40
	v_and_b32_e32 v39, v39, v163
	; wave barrier
	v_and_b32_e32 v39, v39, v165
	v_mbcnt_lo_u32_b32 v163, v39, 0
	v_cmp_ne_u32_e64 s22, 0, v39
	v_cmp_eq_u32_e32 vcc_lo, 0, v163
	s_and_b32 s23, s22, vcc_lo
	s_and_saveexec_b32 s22, s23
	s_cbranch_execz .LBB297_757
; %bb.756:                              ;   in Loop: Header=BB297_722 Depth=2
	s_waitcnt lgkmcnt(0)
	v_bcnt_u32_b32 v39, v39, v145
	ds_write_b32 v164, v39 offset:544
.LBB297_757:                            ;   in Loop: Header=BB297_722 Depth=2
	s_or_b32 exec_lo, exec_lo, s22
	v_lshrrev_b32_sdwa v39, s41, v144 dst_sel:DWORD dst_unused:UNUSED_PAD src0_sel:DWORD src1_sel:BYTE_2
	; wave barrier
	v_and_b32_e32 v40, s62, v39
	v_and_b32_e32 v39, 1, v40
	v_lshlrev_b32_e32 v165, 30, v40
	v_lshlrev_b32_e32 v166, 29, v40
	;; [unrolled: 1-line block ×4, first 2 shown]
	v_add_co_u32 v39, s22, v39, -1
	v_cndmask_b32_e64 v167, 0, 1, s22
	v_not_b32_e32 v171, v165
	v_cmp_gt_i32_e64 s22, 0, v165
	v_not_b32_e32 v165, v166
	v_lshlrev_b32_e32 v170, 26, v40
	v_cmp_ne_u32_e32 vcc_lo, 0, v167
	v_ashrrev_i32_e32 v171, 31, v171
	v_lshlrev_b32_e32 v167, 25, v40
	v_ashrrev_i32_e32 v165, 31, v165
	v_xor_b32_e32 v39, vcc_lo, v39
	v_cmp_gt_i32_e32 vcc_lo, 0, v166
	v_not_b32_e32 v166, v168
	v_xor_b32_e32 v171, s22, v171
	v_cmp_gt_i32_e64 s22, 0, v168
	v_and_b32_e32 v39, exec_lo, v39
	v_not_b32_e32 v168, v169
	v_ashrrev_i32_e32 v166, 31, v166
	v_xor_b32_e32 v165, vcc_lo, v165
	v_cmp_gt_i32_e32 vcc_lo, 0, v169
	v_and_b32_e32 v39, v39, v171
	v_not_b32_e32 v169, v170
	v_ashrrev_i32_e32 v168, 31, v168
	v_xor_b32_e32 v166, s22, v166
	v_cmp_gt_i32_e64 s22, 0, v170
	v_and_b32_e32 v39, v39, v165
	v_not_b32_e32 v165, v167
	v_ashrrev_i32_e32 v169, 31, v169
	v_xor_b32_e32 v168, vcc_lo, v168
	v_cmp_gt_i32_e32 vcc_lo, 0, v167
	v_and_b32_e32 v39, v39, v166
	v_ashrrev_i32_e32 v165, 31, v165
	v_xor_b32_e32 v166, s22, v169
	v_mad_u32_u24 v167, v40, 36, v116
	v_mul_u32_u24_e32 v40, 36, v40
	v_and_b32_e32 v39, v39, v168
	v_xor_b32_e32 v168, vcc_lo, v165
	ds_read_b32 v165, v167 offset:544
	v_and_b32_e32 v39, v39, v166
	; wave barrier
	v_and_b32_e32 v39, v39, v168
	v_add_nc_u32_e32 v168, v116, v40
	v_mbcnt_lo_u32_b32 v166, v39, 0
	v_cmp_ne_u32_e64 s22, 0, v39
	v_cmp_eq_u32_e32 vcc_lo, 0, v166
	s_and_b32 s23, s22, vcc_lo
	s_and_saveexec_b32 s22, s23
	s_cbranch_execz .LBB297_759
; %bb.758:                              ;   in Loop: Header=BB297_722 Depth=2
	s_waitcnt lgkmcnt(0)
	v_bcnt_u32_b32 v39, v39, v165
	ds_write_b32 v168, v39 offset:544
.LBB297_759:                            ;   in Loop: Header=BB297_722 Depth=2
	s_or_b32 exec_lo, exec_lo, s22
	v_lshrrev_b32_e32 v167, 24, v144
	; wave barrier
	v_lshrrev_b32_e32 v39, s41, v167
	v_and_b32_e32 v40, s62, v39
	v_and_b32_e32 v39, 1, v40
	v_lshlrev_b32_e32 v169, 30, v40
	v_lshlrev_b32_e32 v170, 29, v40
	;; [unrolled: 1-line block ×4, first 2 shown]
	v_add_co_u32 v39, s22, v39, -1
	v_cndmask_b32_e64 v171, 0, 1, s22
	v_not_b32_e32 v175, v169
	v_cmp_gt_i32_e64 s22, 0, v169
	v_not_b32_e32 v169, v170
	v_lshlrev_b32_e32 v174, 26, v40
	v_cmp_ne_u32_e32 vcc_lo, 0, v171
	v_ashrrev_i32_e32 v175, 31, v175
	v_lshlrev_b32_e32 v171, 25, v40
	v_ashrrev_i32_e32 v169, 31, v169
	v_xor_b32_e32 v39, vcc_lo, v39
	v_cmp_gt_i32_e32 vcc_lo, 0, v170
	v_not_b32_e32 v170, v172
	v_xor_b32_e32 v175, s22, v175
	v_cmp_gt_i32_e64 s22, 0, v172
	v_and_b32_e32 v39, exec_lo, v39
	v_not_b32_e32 v172, v173
	v_ashrrev_i32_e32 v170, 31, v170
	v_xor_b32_e32 v169, vcc_lo, v169
	v_cmp_gt_i32_e32 vcc_lo, 0, v173
	v_and_b32_e32 v39, v39, v175
	v_not_b32_e32 v173, v174
	v_ashrrev_i32_e32 v172, 31, v172
	v_xor_b32_e32 v170, s22, v170
	v_cmp_gt_i32_e64 s22, 0, v174
	v_and_b32_e32 v39, v39, v169
	v_not_b32_e32 v169, v171
	v_ashrrev_i32_e32 v173, 31, v173
	v_xor_b32_e32 v172, vcc_lo, v172
	v_cmp_gt_i32_e32 vcc_lo, 0, v171
	v_and_b32_e32 v39, v39, v170
	v_ashrrev_i32_e32 v169, 31, v169
	v_xor_b32_e32 v170, s22, v173
	v_mad_u32_u24 v171, v40, 36, v116
	v_mul_u32_u24_e32 v40, 36, v40
	v_and_b32_e32 v39, v39, v172
	v_xor_b32_e32 v172, vcc_lo, v169
	ds_read_b32 v169, v171 offset:544
	v_add_nc_u32_e32 v171, v116, v40
	v_and_b32_e32 v39, v39, v170
	; wave barrier
	v_and_b32_e32 v39, v39, v172
	v_mbcnt_lo_u32_b32 v170, v39, 0
	v_cmp_ne_u32_e64 s22, 0, v39
	v_cmp_eq_u32_e32 vcc_lo, 0, v170
	s_and_b32 s23, s22, vcc_lo
	s_and_saveexec_b32 s22, s23
	s_cbranch_execz .LBB297_761
; %bb.760:                              ;   in Loop: Header=BB297_722 Depth=2
	s_waitcnt lgkmcnt(0)
	v_bcnt_u32_b32 v39, v39, v169
	ds_write_b32 v171, v39 offset:544
.LBB297_761:                            ;   in Loop: Header=BB297_722 Depth=2
	s_or_b32 exec_lo, exec_lo, s22
	v_xor_b32_e32 v39, 0x7f, v142
	; wave barrier
	v_and_b32_sdwa v40, v92, v39 dst_sel:DWORD dst_unused:UNUSED_PAD src0_sel:DWORD src1_sel:BYTE_0
	v_lshrrev_b32_e32 v40, s41, v40
	v_and_b32_e32 v173, s62, v40
	v_and_b32_e32 v40, 1, v173
	v_lshlrev_b32_e32 v142, 30, v173
	v_lshlrev_b32_e32 v172, 29, v173
	;; [unrolled: 1-line block ×4, first 2 shown]
	v_add_co_u32 v40, s22, v40, -1
	v_cndmask_b32_e64 v174, 0, 1, s22
	v_not_b32_e32 v178, v142
	v_cmp_gt_i32_e64 s22, 0, v142
	v_not_b32_e32 v142, v172
	v_lshlrev_b32_e32 v177, 26, v173
	v_cmp_ne_u32_e32 vcc_lo, 0, v174
	v_ashrrev_i32_e32 v178, 31, v178
	v_lshlrev_b32_e32 v174, 25, v173
	v_ashrrev_i32_e32 v142, 31, v142
	v_xor_b32_e32 v40, vcc_lo, v40
	v_cmp_gt_i32_e32 vcc_lo, 0, v172
	v_not_b32_e32 v172, v175
	v_xor_b32_e32 v178, s22, v178
	v_cmp_gt_i32_e64 s22, 0, v175
	v_and_b32_e32 v40, exec_lo, v40
	v_not_b32_e32 v175, v176
	v_ashrrev_i32_e32 v172, 31, v172
	v_xor_b32_e32 v142, vcc_lo, v142
	v_cmp_gt_i32_e32 vcc_lo, 0, v176
	v_and_b32_e32 v40, v40, v178
	v_not_b32_e32 v176, v177
	v_ashrrev_i32_e32 v175, 31, v175
	v_xor_b32_e32 v172, s22, v172
	v_cmp_gt_i32_e64 s22, 0, v177
	v_and_b32_e32 v40, v40, v142
	v_not_b32_e32 v142, v174
	v_ashrrev_i32_e32 v176, 31, v176
	v_xor_b32_e32 v175, vcc_lo, v175
	v_cmp_gt_i32_e32 vcc_lo, 0, v174
	v_and_b32_e32 v40, v40, v172
	v_ashrrev_i32_e32 v142, 31, v142
	v_xor_b32_e32 v172, s22, v176
	v_mad_u32_u24 v174, v173, 36, v116
	v_mul_u32_u24_e32 v173, 36, v173
	v_and_b32_e32 v40, v40, v175
	v_xor_b32_e32 v175, vcc_lo, v142
	ds_read_b32 v142, v174 offset:544
	v_add_nc_u32_e32 v173, v116, v173
	v_and_b32_e32 v40, v40, v172
	; wave barrier
	v_and_b32_e32 v40, v40, v175
	v_mbcnt_lo_u32_b32 v172, v40, 0
	v_cmp_ne_u32_e64 s22, 0, v40
	v_cmp_eq_u32_e32 vcc_lo, 0, v172
	s_and_b32 s23, s22, vcc_lo
	s_and_saveexec_b32 s22, s23
	s_cbranch_execz .LBB297_763
; %bb.762:                              ;   in Loop: Header=BB297_722 Depth=2
	s_waitcnt lgkmcnt(0)
	v_bcnt_u32_b32 v40, v40, v142
	ds_write_b32 v173, v40 offset:544
.LBB297_763:                            ;   in Loop: Header=BB297_722 Depth=2
	s_or_b32 exec_lo, exec_lo, s22
	v_xor_b32_sdwa v40, v139, v93 dst_sel:BYTE_1 dst_unused:UNUSED_PAD src0_sel:DWORD src1_sel:DWORD
	v_xor_b32_e32 v140, 0x7f, v140
	v_xor_b32_sdwa v141, v141, v93 dst_sel:BYTE_1 dst_unused:UNUSED_PAD src0_sel:DWORD src1_sel:DWORD
	; wave barrier
	v_or_b32_sdwa v139, v39, v40 dst_sel:DWORD dst_unused:UNUSED_PAD src0_sel:BYTE_0 src1_sel:DWORD
	v_or_b32_sdwa v39, v140, v141 dst_sel:WORD_1 dst_unused:UNUSED_PAD src0_sel:BYTE_0 src1_sel:DWORD
	v_or_b32_sdwa v140, v139, v39 dst_sel:DWORD dst_unused:UNUSED_PAD src0_sel:WORD_0 src1_sel:DWORD
	v_lshrrev_b32_sdwa v39, s41, v140 dst_sel:DWORD dst_unused:UNUSED_PAD src0_sel:DWORD src1_sel:BYTE_1
	v_and_b32_e32 v40, s62, v39
	v_and_b32_e32 v39, 1, v40
	v_lshlrev_b32_e32 v141, 30, v40
	v_lshlrev_b32_e32 v174, 29, v40
	;; [unrolled: 1-line block ×4, first 2 shown]
	v_add_co_u32 v39, s22, v39, -1
	v_cndmask_b32_e64 v175, 0, 1, s22
	v_not_b32_e32 v179, v141
	v_cmp_gt_i32_e64 s22, 0, v141
	v_not_b32_e32 v141, v174
	v_lshlrev_b32_e32 v178, 26, v40
	v_cmp_ne_u32_e32 vcc_lo, 0, v175
	v_ashrrev_i32_e32 v179, 31, v179
	v_lshlrev_b32_e32 v175, 25, v40
	v_ashrrev_i32_e32 v141, 31, v141
	v_xor_b32_e32 v39, vcc_lo, v39
	v_cmp_gt_i32_e32 vcc_lo, 0, v174
	v_not_b32_e32 v174, v176
	v_xor_b32_e32 v179, s22, v179
	v_cmp_gt_i32_e64 s22, 0, v176
	v_and_b32_e32 v39, exec_lo, v39
	v_not_b32_e32 v176, v177
	v_ashrrev_i32_e32 v174, 31, v174
	v_xor_b32_e32 v141, vcc_lo, v141
	v_cmp_gt_i32_e32 vcc_lo, 0, v177
	v_and_b32_e32 v39, v39, v179
	v_not_b32_e32 v177, v178
	v_ashrrev_i32_e32 v176, 31, v176
	v_xor_b32_e32 v174, s22, v174
	v_cmp_gt_i32_e64 s22, 0, v178
	v_and_b32_e32 v39, v39, v141
	v_not_b32_e32 v141, v175
	v_ashrrev_i32_e32 v177, 31, v177
	v_xor_b32_e32 v176, vcc_lo, v176
	v_cmp_gt_i32_e32 vcc_lo, 0, v175
	v_and_b32_e32 v39, v39, v174
	v_ashrrev_i32_e32 v141, 31, v141
	v_xor_b32_e32 v174, s22, v177
	v_mad_u32_u24 v175, v40, 36, v116
	v_mul_u32_u24_e32 v40, 36, v40
	v_and_b32_e32 v39, v39, v176
	v_xor_b32_e32 v176, vcc_lo, v141
	ds_read_b32 v141, v175 offset:544
	v_add_nc_u32_e32 v175, v116, v40
	v_and_b32_e32 v39, v39, v174
	; wave barrier
	v_and_b32_e32 v39, v39, v176
	v_mbcnt_lo_u32_b32 v174, v39, 0
	v_cmp_ne_u32_e64 s22, 0, v39
	v_cmp_eq_u32_e32 vcc_lo, 0, v174
	s_and_b32 s23, s22, vcc_lo
	s_and_saveexec_b32 s22, s23
	s_cbranch_execz .LBB297_765
; %bb.764:                              ;   in Loop: Header=BB297_722 Depth=2
	s_waitcnt lgkmcnt(0)
	v_bcnt_u32_b32 v39, v39, v141
	ds_write_b32 v175, v39 offset:544
.LBB297_765:                            ;   in Loop: Header=BB297_722 Depth=2
	s_or_b32 exec_lo, exec_lo, s22
	v_lshrrev_b32_sdwa v39, s41, v140 dst_sel:DWORD dst_unused:UNUSED_PAD src0_sel:DWORD src1_sel:BYTE_2
	; wave barrier
	v_and_b32_e32 v40, s62, v39
	v_and_b32_e32 v39, 1, v40
	v_lshlrev_b32_e32 v176, 30, v40
	v_lshlrev_b32_e32 v177, 29, v40
	;; [unrolled: 1-line block ×4, first 2 shown]
	v_add_co_u32 v39, s22, v39, -1
	v_cndmask_b32_e64 v178, 0, 1, s22
	v_not_b32_e32 v182, v176
	v_cmp_gt_i32_e64 s22, 0, v176
	v_not_b32_e32 v176, v177
	v_lshlrev_b32_e32 v181, 26, v40
	v_cmp_ne_u32_e32 vcc_lo, 0, v178
	v_ashrrev_i32_e32 v182, 31, v182
	v_lshlrev_b32_e32 v178, 25, v40
	v_ashrrev_i32_e32 v176, 31, v176
	v_xor_b32_e32 v39, vcc_lo, v39
	v_cmp_gt_i32_e32 vcc_lo, 0, v177
	v_not_b32_e32 v177, v179
	v_xor_b32_e32 v182, s22, v182
	v_cmp_gt_i32_e64 s22, 0, v179
	v_and_b32_e32 v39, exec_lo, v39
	v_not_b32_e32 v179, v180
	v_ashrrev_i32_e32 v177, 31, v177
	v_xor_b32_e32 v176, vcc_lo, v176
	v_cmp_gt_i32_e32 vcc_lo, 0, v180
	v_and_b32_e32 v39, v39, v182
	v_not_b32_e32 v180, v181
	v_ashrrev_i32_e32 v179, 31, v179
	v_xor_b32_e32 v177, s22, v177
	v_cmp_gt_i32_e64 s22, 0, v181
	v_and_b32_e32 v39, v39, v176
	v_not_b32_e32 v176, v178
	v_ashrrev_i32_e32 v180, 31, v180
	v_xor_b32_e32 v179, vcc_lo, v179
	v_cmp_gt_i32_e32 vcc_lo, 0, v178
	v_and_b32_e32 v39, v39, v177
	v_ashrrev_i32_e32 v176, 31, v176
	v_xor_b32_e32 v177, s22, v180
	v_mad_u32_u24 v178, v40, 36, v116
	v_mul_u32_u24_e32 v40, 36, v40
	v_and_b32_e32 v39, v39, v179
	v_xor_b32_e32 v179, vcc_lo, v176
	ds_read_b32 v176, v178 offset:544
	v_and_b32_e32 v39, v39, v177
	; wave barrier
	v_and_b32_e32 v39, v39, v179
	v_add_nc_u32_e32 v179, v116, v40
	v_mbcnt_lo_u32_b32 v177, v39, 0
	v_cmp_ne_u32_e64 s22, 0, v39
	v_cmp_eq_u32_e32 vcc_lo, 0, v177
	s_and_b32 s23, s22, vcc_lo
	s_and_saveexec_b32 s22, s23
	s_cbranch_execz .LBB297_767
; %bb.766:                              ;   in Loop: Header=BB297_722 Depth=2
	s_waitcnt lgkmcnt(0)
	v_bcnt_u32_b32 v39, v39, v176
	ds_write_b32 v179, v39 offset:544
.LBB297_767:                            ;   in Loop: Header=BB297_722 Depth=2
	s_or_b32 exec_lo, exec_lo, s22
	v_lshrrev_b32_e32 v178, 24, v140
	; wave barrier
	v_lshrrev_b32_e32 v39, s41, v178
	v_and_b32_e32 v40, s62, v39
	v_and_b32_e32 v39, 1, v40
	v_lshlrev_b32_e32 v180, 30, v40
	v_lshlrev_b32_e32 v181, 29, v40
	;; [unrolled: 1-line block ×4, first 2 shown]
	v_add_co_u32 v39, s22, v39, -1
	v_cndmask_b32_e64 v182, 0, 1, s22
	v_not_b32_e32 v186, v180
	v_cmp_gt_i32_e64 s22, 0, v180
	v_not_b32_e32 v180, v181
	v_lshlrev_b32_e32 v185, 26, v40
	v_cmp_ne_u32_e32 vcc_lo, 0, v182
	v_ashrrev_i32_e32 v186, 31, v186
	v_lshlrev_b32_e32 v182, 25, v40
	v_ashrrev_i32_e32 v180, 31, v180
	v_xor_b32_e32 v39, vcc_lo, v39
	v_cmp_gt_i32_e32 vcc_lo, 0, v181
	v_not_b32_e32 v181, v183
	v_xor_b32_e32 v186, s22, v186
	v_cmp_gt_i32_e64 s22, 0, v183
	v_and_b32_e32 v39, exec_lo, v39
	v_not_b32_e32 v183, v184
	v_ashrrev_i32_e32 v181, 31, v181
	v_xor_b32_e32 v180, vcc_lo, v180
	v_cmp_gt_i32_e32 vcc_lo, 0, v184
	v_and_b32_e32 v39, v39, v186
	v_not_b32_e32 v184, v185
	v_ashrrev_i32_e32 v183, 31, v183
	v_xor_b32_e32 v181, s22, v181
	v_cmp_gt_i32_e64 s22, 0, v185
	v_and_b32_e32 v39, v39, v180
	v_not_b32_e32 v180, v182
	v_ashrrev_i32_e32 v184, 31, v184
	v_xor_b32_e32 v183, vcc_lo, v183
	v_cmp_gt_i32_e32 vcc_lo, 0, v182
	v_and_b32_e32 v39, v39, v181
	v_ashrrev_i32_e32 v180, 31, v180
	v_xor_b32_e32 v181, s22, v184
	v_mad_u32_u24 v182, v40, 36, v116
	v_mul_u32_u24_e32 v40, 36, v40
	v_and_b32_e32 v39, v39, v183
	v_xor_b32_e32 v183, vcc_lo, v180
	ds_read_b32 v180, v182 offset:544
	v_add_nc_u32_e32 v182, v116, v40
	v_and_b32_e32 v39, v39, v181
	; wave barrier
	v_and_b32_e32 v39, v39, v183
	v_mbcnt_lo_u32_b32 v181, v39, 0
	v_cmp_ne_u32_e64 s22, 0, v39
	v_cmp_eq_u32_e32 vcc_lo, 0, v181
	s_and_b32 s23, s22, vcc_lo
	s_and_saveexec_b32 s22, s23
	s_cbranch_execz .LBB297_769
; %bb.768:                              ;   in Loop: Header=BB297_722 Depth=2
	s_waitcnt lgkmcnt(0)
	v_bcnt_u32_b32 v39, v39, v180
	ds_write_b32 v182, v39 offset:544
.LBB297_769:                            ;   in Loop: Header=BB297_722 Depth=2
	s_or_b32 exec_lo, exec_lo, s22
	v_xor_b32_e32 v39, 0x7f, v137
	; wave barrier
	v_and_b32_sdwa v40, v92, v39 dst_sel:DWORD dst_unused:UNUSED_PAD src0_sel:DWORD src1_sel:BYTE_0
	v_lshrrev_b32_e32 v40, s41, v40
	v_and_b32_e32 v184, s62, v40
	v_and_b32_e32 v40, 1, v184
	v_lshlrev_b32_e32 v137, 30, v184
	v_lshlrev_b32_e32 v183, 29, v184
	;; [unrolled: 1-line block ×4, first 2 shown]
	v_add_co_u32 v40, s22, v40, -1
	v_cndmask_b32_e64 v185, 0, 1, s22
	v_not_b32_e32 v189, v137
	v_cmp_gt_i32_e64 s22, 0, v137
	v_not_b32_e32 v137, v183
	v_lshlrev_b32_e32 v188, 26, v184
	v_cmp_ne_u32_e32 vcc_lo, 0, v185
	v_ashrrev_i32_e32 v189, 31, v189
	v_lshlrev_b32_e32 v185, 25, v184
	v_ashrrev_i32_e32 v137, 31, v137
	v_xor_b32_e32 v40, vcc_lo, v40
	v_cmp_gt_i32_e32 vcc_lo, 0, v183
	v_not_b32_e32 v183, v186
	v_xor_b32_e32 v189, s22, v189
	v_cmp_gt_i32_e64 s22, 0, v186
	v_and_b32_e32 v40, exec_lo, v40
	v_not_b32_e32 v186, v187
	v_ashrrev_i32_e32 v183, 31, v183
	v_xor_b32_e32 v137, vcc_lo, v137
	v_cmp_gt_i32_e32 vcc_lo, 0, v187
	v_and_b32_e32 v40, v40, v189
	v_not_b32_e32 v187, v188
	v_ashrrev_i32_e32 v186, 31, v186
	v_xor_b32_e32 v183, s22, v183
	v_cmp_gt_i32_e64 s22, 0, v188
	v_and_b32_e32 v40, v40, v137
	v_not_b32_e32 v137, v185
	v_ashrrev_i32_e32 v187, 31, v187
	v_xor_b32_e32 v186, vcc_lo, v186
	v_cmp_gt_i32_e32 vcc_lo, 0, v185
	v_and_b32_e32 v40, v40, v183
	v_ashrrev_i32_e32 v137, 31, v137
	v_xor_b32_e32 v183, s22, v187
	v_mad_u32_u24 v185, v184, 36, v116
	v_mul_u32_u24_e32 v184, 36, v184
	v_and_b32_e32 v40, v40, v186
	v_xor_b32_e32 v186, vcc_lo, v137
	ds_read_b32 v137, v185 offset:544
	v_add_nc_u32_e32 v185, v116, v184
	v_and_b32_e32 v40, v40, v183
	; wave barrier
	v_and_b32_e32 v40, v40, v186
	v_mbcnt_lo_u32_b32 v183, v40, 0
	v_cmp_ne_u32_e64 s22, 0, v40
	v_cmp_eq_u32_e32 vcc_lo, 0, v183
	s_and_b32 s23, s22, vcc_lo
	s_and_saveexec_b32 s22, s23
	s_cbranch_execz .LBB297_771
; %bb.770:                              ;   in Loop: Header=BB297_722 Depth=2
	s_waitcnt lgkmcnt(0)
	v_bcnt_u32_b32 v40, v40, v137
	ds_write_b32 v185, v40 offset:544
.LBB297_771:                            ;   in Loop: Header=BB297_722 Depth=2
	s_or_b32 exec_lo, exec_lo, s22
	v_xor_b32_sdwa v3, v3, v93 dst_sel:BYTE_1 dst_unused:UNUSED_PAD src0_sel:DWORD src1_sel:DWORD
	v_xor_b32_e32 v40, 0x7f, v41
	v_xor_b32_sdwa v41, v42, v93 dst_sel:BYTE_1 dst_unused:UNUSED_PAD src0_sel:DWORD src1_sel:DWORD
	; wave barrier
	v_or_b32_sdwa v184, v39, v3 dst_sel:DWORD dst_unused:UNUSED_PAD src0_sel:BYTE_0 src1_sel:DWORD
	v_or_b32_sdwa v3, v40, v41 dst_sel:WORD_1 dst_unused:UNUSED_PAD src0_sel:BYTE_0 src1_sel:DWORD
	v_or_b32_sdwa v3, v184, v3 dst_sel:DWORD dst_unused:UNUSED_PAD src0_sel:WORD_0 src1_sel:DWORD
	v_lshrrev_b32_sdwa v39, s41, v3 dst_sel:DWORD dst_unused:UNUSED_PAD src0_sel:DWORD src1_sel:BYTE_1
	v_and_b32_e32 v40, s62, v39
	v_and_b32_e32 v39, 1, v40
	v_lshlrev_b32_e32 v41, 30, v40
	v_lshlrev_b32_e32 v42, 29, v40
	;; [unrolled: 1-line block ×4, first 2 shown]
	v_add_co_u32 v39, s22, v39, -1
	v_cndmask_b32_e64 v186, 0, 1, s22
	v_not_b32_e32 v190, v41
	v_cmp_gt_i32_e64 s22, 0, v41
	v_not_b32_e32 v41, v42
	v_lshlrev_b32_e32 v189, 26, v40
	v_cmp_ne_u32_e32 vcc_lo, 0, v186
	v_ashrrev_i32_e32 v190, 31, v190
	v_lshlrev_b32_e32 v186, 25, v40
	v_ashrrev_i32_e32 v41, 31, v41
	v_xor_b32_e32 v39, vcc_lo, v39
	v_cmp_gt_i32_e32 vcc_lo, 0, v42
	v_not_b32_e32 v42, v187
	v_xor_b32_e32 v190, s22, v190
	v_cmp_gt_i32_e64 s22, 0, v187
	v_and_b32_e32 v39, exec_lo, v39
	v_not_b32_e32 v187, v188
	v_ashrrev_i32_e32 v42, 31, v42
	v_xor_b32_e32 v41, vcc_lo, v41
	v_cmp_gt_i32_e32 vcc_lo, 0, v188
	v_and_b32_e32 v39, v39, v190
	v_not_b32_e32 v188, v189
	v_ashrrev_i32_e32 v187, 31, v187
	v_xor_b32_e32 v42, s22, v42
	v_cmp_gt_i32_e64 s22, 0, v189
	v_and_b32_e32 v39, v39, v41
	v_not_b32_e32 v41, v186
	v_ashrrev_i32_e32 v188, 31, v188
	v_xor_b32_e32 v187, vcc_lo, v187
	v_cmp_gt_i32_e32 vcc_lo, 0, v186
	v_and_b32_e32 v39, v39, v42
	v_ashrrev_i32_e32 v41, 31, v41
	v_xor_b32_e32 v42, s22, v188
	v_mad_u32_u24 v186, v40, 36, v116
	v_mul_u32_u24_e32 v40, 36, v40
	v_and_b32_e32 v39, v39, v187
	v_xor_b32_e32 v41, vcc_lo, v41
	ds_read_b32 v186, v186 offset:544
	v_add_nc_u32_e32 v188, v116, v40
	v_and_b32_e32 v39, v39, v42
	; wave barrier
	v_and_b32_e32 v39, v39, v41
	v_mbcnt_lo_u32_b32 v187, v39, 0
	v_cmp_ne_u32_e64 s22, 0, v39
	v_cmp_eq_u32_e32 vcc_lo, 0, v187
	s_and_b32 s23, s22, vcc_lo
	s_and_saveexec_b32 s22, s23
	s_cbranch_execz .LBB297_773
; %bb.772:                              ;   in Loop: Header=BB297_722 Depth=2
	s_waitcnt lgkmcnt(0)
	v_bcnt_u32_b32 v39, v39, v186
	ds_write_b32 v188, v39 offset:544
.LBB297_773:                            ;   in Loop: Header=BB297_722 Depth=2
	s_or_b32 exec_lo, exec_lo, s22
	v_lshrrev_b32_sdwa v39, s41, v3 dst_sel:DWORD dst_unused:UNUSED_PAD src0_sel:DWORD src1_sel:BYTE_2
	; wave barrier
	v_and_b32_e32 v40, s62, v39
	v_and_b32_e32 v39, 1, v40
	v_lshlrev_b32_e32 v41, 30, v40
	v_lshlrev_b32_e32 v42, 29, v40
	;; [unrolled: 1-line block ×4, first 2 shown]
	v_add_co_u32 v39, s22, v39, -1
	v_cndmask_b32_e64 v189, 0, 1, s22
	v_not_b32_e32 v193, v41
	v_cmp_gt_i32_e64 s22, 0, v41
	v_not_b32_e32 v41, v42
	v_lshlrev_b32_e32 v192, 26, v40
	v_cmp_ne_u32_e32 vcc_lo, 0, v189
	v_ashrrev_i32_e32 v193, 31, v193
	v_lshlrev_b32_e32 v189, 25, v40
	v_ashrrev_i32_e32 v41, 31, v41
	v_xor_b32_e32 v39, vcc_lo, v39
	v_cmp_gt_i32_e32 vcc_lo, 0, v42
	v_not_b32_e32 v42, v190
	v_xor_b32_e32 v193, s22, v193
	v_cmp_gt_i32_e64 s22, 0, v190
	v_and_b32_e32 v39, exec_lo, v39
	v_not_b32_e32 v190, v191
	v_ashrrev_i32_e32 v42, 31, v42
	v_xor_b32_e32 v41, vcc_lo, v41
	v_cmp_gt_i32_e32 vcc_lo, 0, v191
	v_and_b32_e32 v39, v39, v193
	v_not_b32_e32 v191, v192
	v_ashrrev_i32_e32 v190, 31, v190
	v_xor_b32_e32 v42, s22, v42
	v_cmp_gt_i32_e64 s22, 0, v192
	v_and_b32_e32 v39, v39, v41
	v_not_b32_e32 v41, v189
	v_ashrrev_i32_e32 v191, 31, v191
	v_xor_b32_e32 v190, vcc_lo, v190
	v_cmp_gt_i32_e32 vcc_lo, 0, v189
	v_and_b32_e32 v39, v39, v42
	v_ashrrev_i32_e32 v41, 31, v41
	v_xor_b32_e32 v42, s22, v191
	v_mad_u32_u24 v189, v40, 36, v116
	v_mul_u32_u24_e32 v40, 36, v40
	v_and_b32_e32 v39, v39, v190
	v_xor_b32_e32 v41, vcc_lo, v41
	ds_read_b32 v189, v189 offset:544
	v_add_nc_u32_e32 v192, v116, v40
	v_and_b32_e32 v39, v39, v42
	; wave barrier
	v_and_b32_e32 v39, v39, v41
	v_mbcnt_lo_u32_b32 v190, v39, 0
	v_cmp_ne_u32_e64 s22, 0, v39
	v_cmp_eq_u32_e32 vcc_lo, 0, v190
	s_and_b32 s23, s22, vcc_lo
	s_and_saveexec_b32 s22, s23
	s_cbranch_execz .LBB297_775
; %bb.774:                              ;   in Loop: Header=BB297_722 Depth=2
	s_waitcnt lgkmcnt(0)
	v_bcnt_u32_b32 v39, v39, v189
	ds_write_b32 v192, v39 offset:544
.LBB297_775:                            ;   in Loop: Header=BB297_722 Depth=2
	s_or_b32 exec_lo, exec_lo, s22
	v_lshrrev_b32_e32 v191, 24, v3
	; wave barrier
	v_lshrrev_b32_e32 v39, s41, v191
	v_and_b32_e32 v40, s62, v39
	v_and_b32_e32 v39, 1, v40
	v_lshlrev_b32_e32 v41, 30, v40
	v_lshlrev_b32_e32 v42, 29, v40
	;; [unrolled: 1-line block ×4, first 2 shown]
	v_add_co_u32 v39, s22, v39, -1
	v_cndmask_b32_e64 v193, 0, 1, s22
	v_not_b32_e32 v197, v41
	v_cmp_gt_i32_e64 s22, 0, v41
	v_not_b32_e32 v41, v42
	v_lshlrev_b32_e32 v196, 26, v40
	v_cmp_ne_u32_e32 vcc_lo, 0, v193
	v_ashrrev_i32_e32 v197, 31, v197
	v_lshlrev_b32_e32 v193, 25, v40
	v_ashrrev_i32_e32 v41, 31, v41
	v_xor_b32_e32 v39, vcc_lo, v39
	v_cmp_gt_i32_e32 vcc_lo, 0, v42
	v_not_b32_e32 v42, v194
	v_xor_b32_e32 v197, s22, v197
	v_cmp_gt_i32_e64 s22, 0, v194
	v_and_b32_e32 v39, exec_lo, v39
	v_not_b32_e32 v194, v195
	v_ashrrev_i32_e32 v42, 31, v42
	v_xor_b32_e32 v41, vcc_lo, v41
	v_cmp_gt_i32_e32 vcc_lo, 0, v195
	v_and_b32_e32 v39, v39, v197
	v_not_b32_e32 v195, v196
	v_ashrrev_i32_e32 v194, 31, v194
	v_xor_b32_e32 v42, s22, v42
	v_cmp_gt_i32_e64 s22, 0, v196
	v_and_b32_e32 v39, v39, v41
	v_not_b32_e32 v41, v193
	v_ashrrev_i32_e32 v195, 31, v195
	v_xor_b32_e32 v194, vcc_lo, v194
	v_cmp_gt_i32_e32 vcc_lo, 0, v193
	v_and_b32_e32 v39, v39, v42
	v_ashrrev_i32_e32 v41, 31, v41
	v_xor_b32_e32 v42, s22, v195
	v_mad_u32_u24 v193, v40, 36, v116
	v_mul_u32_u24_e32 v40, 36, v40
	v_and_b32_e32 v39, v39, v194
	v_xor_b32_e32 v41, vcc_lo, v41
	ds_read_b32 v193, v193 offset:544
	v_add_nc_u32_e32 v195, v116, v40
	v_and_b32_e32 v39, v39, v42
	; wave barrier
	v_and_b32_e32 v39, v39, v41
	v_mbcnt_lo_u32_b32 v194, v39, 0
	v_cmp_ne_u32_e64 s22, 0, v39
	v_cmp_eq_u32_e32 vcc_lo, 0, v194
	s_and_b32 s23, s22, vcc_lo
	s_and_saveexec_b32 s22, s23
	s_cbranch_execz .LBB297_777
; %bb.776:                              ;   in Loop: Header=BB297_722 Depth=2
	s_waitcnt lgkmcnt(0)
	v_bcnt_u32_b32 v39, v39, v193
	ds_write_b32 v195, v39 offset:544
.LBB297_777:                            ;   in Loop: Header=BB297_722 Depth=2
	s_or_b32 exec_lo, exec_lo, s22
	v_xor_b32_e32 v117, 0x7f, v117
	; wave barrier
	v_lshrrev_b32_sdwa v39, s41, v117 dst_sel:DWORD dst_unused:UNUSED_PAD src0_sel:DWORD src1_sel:BYTE_0
	v_and_b32_e32 v40, s62, v39
	v_and_b32_e32 v39, 1, v40
	v_lshlrev_b32_e32 v41, 30, v40
	v_lshlrev_b32_e32 v42, 29, v40
	;; [unrolled: 1-line block ×4, first 2 shown]
	v_add_co_u32 v39, s22, v39, -1
	v_cndmask_b32_e64 v196, 0, 1, s22
	v_not_b32_e32 v200, v41
	v_cmp_gt_i32_e64 s22, 0, v41
	v_not_b32_e32 v41, v42
	v_lshlrev_b32_e32 v199, 26, v40
	v_cmp_ne_u32_e32 vcc_lo, 0, v196
	v_ashrrev_i32_e32 v200, 31, v200
	v_lshlrev_b32_e32 v196, 25, v40
	v_ashrrev_i32_e32 v41, 31, v41
	v_xor_b32_e32 v39, vcc_lo, v39
	v_cmp_gt_i32_e32 vcc_lo, 0, v42
	v_not_b32_e32 v42, v197
	v_xor_b32_e32 v200, s22, v200
	v_cmp_gt_i32_e64 s22, 0, v197
	v_and_b32_e32 v39, exec_lo, v39
	v_not_b32_e32 v197, v198
	v_ashrrev_i32_e32 v42, 31, v42
	v_xor_b32_e32 v41, vcc_lo, v41
	v_cmp_gt_i32_e32 vcc_lo, 0, v198
	v_and_b32_e32 v39, v39, v200
	v_not_b32_e32 v198, v199
	v_ashrrev_i32_e32 v197, 31, v197
	v_xor_b32_e32 v42, s22, v42
	v_cmp_gt_i32_e64 s22, 0, v199
	v_and_b32_e32 v39, v39, v41
	v_not_b32_e32 v41, v196
	v_ashrrev_i32_e32 v198, 31, v198
	v_xor_b32_e32 v197, vcc_lo, v197
	v_cmp_gt_i32_e32 vcc_lo, 0, v196
	v_and_b32_e32 v39, v39, v42
	v_ashrrev_i32_e32 v41, 31, v41
	v_xor_b32_e32 v42, s22, v198
	v_mad_u32_u24 v196, v40, 36, v116
	v_mul_u32_u24_e32 v40, 36, v40
	v_and_b32_e32 v39, v39, v197
	v_xor_b32_e32 v41, vcc_lo, v41
	ds_read_b32 v196, v196 offset:544
	v_add_nc_u32_e32 v198, v116, v40
	v_and_b32_e32 v39, v39, v42
	; wave barrier
	v_and_b32_e32 v39, v39, v41
	v_mbcnt_lo_u32_b32 v197, v39, 0
	v_cmp_ne_u32_e64 s22, 0, v39
	v_cmp_eq_u32_e32 vcc_lo, 0, v197
	s_and_b32 s23, s22, vcc_lo
	s_and_saveexec_b32 s22, s23
	s_cbranch_execz .LBB297_779
; %bb.778:                              ;   in Loop: Header=BB297_722 Depth=2
	s_waitcnt lgkmcnt(0)
	v_bcnt_u32_b32 v39, v39, v196
	ds_write_b32 v198, v39 offset:544
.LBB297_779:                            ;   in Loop: Header=BB297_722 Depth=2
	s_or_b32 exec_lo, exec_lo, s22
	; wave barrier
	s_waitcnt lgkmcnt(0)
	s_barrier
	buffer_gl0_inv
	ds_read2_b32 v[41:42], v69 offset0:136 offset1:137
	ds_read2_b32 v[39:40], v69 offset0:138 offset1:139
	ds_read_b32 v199, v69 offset:560
	s_waitcnt lgkmcnt(1)
	v_add3_u32 v200, v42, v41, v39
	s_waitcnt lgkmcnt(0)
	v_add3_u32 v199, v200, v40, v199
	v_mov_b32_dpp v200, v199 row_shr:1 row_mask:0xf bank_mask:0xf
	v_cndmask_b32_e64 v200, v200, 0, s5
	v_add_nc_u32_e32 v199, v200, v199
	v_mov_b32_dpp v200, v199 row_shr:2 row_mask:0xf bank_mask:0xf
	v_cndmask_b32_e64 v200, 0, v200, s14
	v_add_nc_u32_e32 v199, v199, v200
	;; [unrolled: 3-line block ×4, first 2 shown]
	ds_swizzle_b32 v200, v199 offset:swizzle(BROADCAST,32,15)
	s_waitcnt lgkmcnt(0)
	v_cndmask_b32_e64 v200, v200, 0, s17
	v_add_nc_u32_e32 v199, v199, v200
	s_and_saveexec_b32 s22, s4
; %bb.780:                              ;   in Loop: Header=BB297_722 Depth=2
	ds_write_b32 v62, v199 offset:512
; %bb.781:                              ;   in Loop: Header=BB297_722 Depth=2
	s_or_b32 exec_lo, exec_lo, s22
	s_waitcnt lgkmcnt(0)
	s_barrier
	buffer_gl0_inv
	s_and_saveexec_b32 s22, s11
	s_cbranch_execz .LBB297_783
; %bb.782:                              ;   in Loop: Header=BB297_722 Depth=2
	ds_read_b32 v200, v70 offset:512
	s_waitcnt lgkmcnt(0)
	v_mov_b32_dpp v201, v200 row_shr:1 row_mask:0xf bank_mask:0xf
	v_cndmask_b32_e64 v201, v201, 0, s19
	v_add_nc_u32_e32 v200, v201, v200
	v_mov_b32_dpp v201, v200 row_shr:2 row_mask:0xf bank_mask:0xf
	v_cndmask_b32_e64 v201, 0, v201, s20
	v_add_nc_u32_e32 v200, v200, v201
	;; [unrolled: 3-line block ×3, first 2 shown]
	ds_write_b32 v70, v200 offset:512
.LBB297_783:                            ;   in Loop: Header=BB297_722 Depth=2
	s_or_b32 exec_lo, exec_lo, s22
	v_mov_b32_e32 v200, 0
	s_waitcnt lgkmcnt(0)
	s_barrier
	buffer_gl0_inv
	s_and_saveexec_b32 s22, s10
; %bb.784:                              ;   in Loop: Header=BB297_722 Depth=2
	ds_read_b32 v200, v62 offset:508
; %bb.785:                              ;   in Loop: Header=BB297_722 Depth=2
	s_or_b32 exec_lo, exec_lo, s22
	s_waitcnt lgkmcnt(0)
	v_add_nc_u32_e32 v199, v200, v199
	ds_bpermute_b32 v199, v94, v199
	s_waitcnt lgkmcnt(0)
	v_cndmask_b32_e64 v199, v199, v200, s18
	v_cndmask_b32_e64 v199, v199, 0, s12
	v_add_nc_u32_e32 v41, v199, v41
	v_add_nc_u32_e32 v42, v41, v42
	;; [unrolled: 1-line block ×4, first 2 shown]
	ds_write2_b32 v69, v199, v41 offset0:136 offset1:137
	ds_write2_b32 v69, v42, v39 offset0:138 offset1:139
	ds_write_b32 v69, v40 offset:560
	s_waitcnt lgkmcnt(0)
	s_barrier
	buffer_gl0_inv
	ds_read_b32 v39, v149 offset:544
	ds_read_b32 v40, v153 offset:544
	;; [unrolled: 1-line block ×17, first 2 shown]
	s_and_saveexec_b32 s22, s7
	s_cbranch_execz .LBB297_789
; %bb.786:                              ;   in Loop: Header=BB297_722 Depth=2
	v_add_nc_u32_e32 v135, v70, v72
	v_mov_b32_e32 v136, 0x1100
	ds_read_b32 v135, v135 offset:544
	s_and_saveexec_b32 s23, s13
; %bb.787:                              ;   in Loop: Header=BB297_722 Depth=2
	ds_read_b32 v136, v71 offset:544
; %bb.788:                              ;   in Loop: Header=BB297_722 Depth=2
	s_or_b32 exec_lo, exec_lo, s23
	s_waitcnt lgkmcnt(0)
	v_sub_nc_u32_e32 v136, v136, v135
.LBB297_789:                            ;   in Loop: Header=BB297_722 Depth=2
	s_or_b32 exec_lo, exec_lo, s22
	v_lshrrev_b32_e32 v203, 8, v148
	v_lshrrev_b32_e32 v204, 16, v148
	;; [unrolled: 1-line block ×8, first 2 shown]
	s_waitcnt lgkmcnt(0)
	s_barrier
	buffer_gl0_inv
	s_and_saveexec_b32 s22, s7
	s_cbranch_execz .LBB297_791
; %bb.790:                              ;   in Loop: Header=BB297_722 Depth=2
	ds_read_b32 v3, v43
	s_waitcnt lgkmcnt(0)
	v_sub_nc_u32_e32 v3, v3, v135
	ds_write_b32 v43, v3
.LBB297_791:                            ;   in Loop: Header=BB297_722 Depth=2
	s_or_b32 exec_lo, exec_lo, s22
	v_add_nc_u32_e32 v157, v39, v146
	v_add3_u32 v153, v152, v151, v40
	v_add3_u32 v152, v155, v154, v41
	;; [unrolled: 1-line block ×16, first 2 shown]
	v_cmp_lt_u32_e64 s39, v0, v138
	ds_write_b8 v157, v147 offset:512
	ds_write_b8 v153, v203 offset:512
	;; [unrolled: 1-line block ×17, first 2 shown]
	s_waitcnt lgkmcnt(0)
	s_barrier
	buffer_gl0_inv
	s_and_saveexec_b32 s22, s39
	s_cbranch_execnz .LBB297_864
; %bb.792:                              ;   in Loop: Header=BB297_722 Depth=2
	s_or_b32 exec_lo, exec_lo, s22
	v_cmp_lt_u32_e64 s38, v44, v138
	s_and_saveexec_b32 s22, s38
	s_cbranch_execnz .LBB297_865
.LBB297_793:                            ;   in Loop: Header=BB297_722 Depth=2
	s_or_b32 exec_lo, exec_lo, s22
	v_cmp_lt_u32_e64 s37, v47, v138
	s_and_saveexec_b32 s22, s37
	s_cbranch_execnz .LBB297_866
.LBB297_794:                            ;   in Loop: Header=BB297_722 Depth=2
	s_or_b32 exec_lo, exec_lo, s22
	v_cmp_lt_u32_e64 s36, v48, v138
	s_and_saveexec_b32 s22, s36
	s_cbranch_execnz .LBB297_867
.LBB297_795:                            ;   in Loop: Header=BB297_722 Depth=2
	s_or_b32 exec_lo, exec_lo, s22
	v_cmp_lt_u32_e64 s35, v49, v138
	s_and_saveexec_b32 s22, s35
	s_cbranch_execnz .LBB297_868
.LBB297_796:                            ;   in Loop: Header=BB297_722 Depth=2
	s_or_b32 exec_lo, exec_lo, s22
	v_cmp_lt_u32_e64 s34, v50, v138
	s_and_saveexec_b32 s22, s34
	s_cbranch_execnz .LBB297_869
.LBB297_797:                            ;   in Loop: Header=BB297_722 Depth=2
	s_or_b32 exec_lo, exec_lo, s22
	v_cmp_lt_u32_e64 s33, v51, v138
	s_and_saveexec_b32 s22, s33
	s_cbranch_execnz .LBB297_870
.LBB297_798:                            ;   in Loop: Header=BB297_722 Depth=2
	s_or_b32 exec_lo, exec_lo, s22
	v_cmp_lt_u32_e64 s31, v52, v138
	s_and_saveexec_b32 s22, s31
	s_cbranch_execnz .LBB297_871
.LBB297_799:                            ;   in Loop: Header=BB297_722 Depth=2
	s_or_b32 exec_lo, exec_lo, s22
	v_cmp_lt_u32_e64 s30, v53, v138
	s_and_saveexec_b32 s22, s30
	s_cbranch_execnz .LBB297_872
.LBB297_800:                            ;   in Loop: Header=BB297_722 Depth=2
	s_or_b32 exec_lo, exec_lo, s22
	v_cmp_lt_u32_e64 s29, v54, v138
	s_and_saveexec_b32 s22, s29
	s_cbranch_execnz .LBB297_873
.LBB297_801:                            ;   in Loop: Header=BB297_722 Depth=2
	s_or_b32 exec_lo, exec_lo, s22
	v_cmp_lt_u32_e64 s27, v55, v138
	s_and_saveexec_b32 s22, s27
	s_cbranch_execnz .LBB297_874
.LBB297_802:                            ;   in Loop: Header=BB297_722 Depth=2
	s_or_b32 exec_lo, exec_lo, s22
	v_cmp_lt_u32_e64 s26, v56, v138
	s_and_saveexec_b32 s22, s26
	s_cbranch_execnz .LBB297_875
.LBB297_803:                            ;   in Loop: Header=BB297_722 Depth=2
	s_or_b32 exec_lo, exec_lo, s22
	v_cmp_lt_u32_e64 s25, v57, v138
	s_and_saveexec_b32 s22, s25
	s_cbranch_execnz .LBB297_876
.LBB297_804:                            ;   in Loop: Header=BB297_722 Depth=2
	s_or_b32 exec_lo, exec_lo, s22
	v_cmp_lt_u32_e64 s24, v58, v138
	s_and_saveexec_b32 s22, s24
	s_cbranch_execnz .LBB297_877
.LBB297_805:                            ;   in Loop: Header=BB297_722 Depth=2
	s_or_b32 exec_lo, exec_lo, s22
	v_cmp_lt_u32_e64 s23, v59, v138
	s_and_saveexec_b32 s22, s23
	s_cbranch_execnz .LBB297_878
.LBB297_806:                            ;   in Loop: Header=BB297_722 Depth=2
	s_or_b32 exec_lo, exec_lo, s22
	v_cmp_lt_u32_e64 s22, v60, v138
	s_and_saveexec_b32 s40, s22
	s_cbranch_execnz .LBB297_879
.LBB297_807:                            ;   in Loop: Header=BB297_722 Depth=2
	s_or_b32 exec_lo, exec_lo, s40
	v_cmp_lt_u32_e32 vcc_lo, v61, v138
	s_and_saveexec_b32 s40, vcc_lo
	s_cbranch_execz .LBB297_809
.LBB297_808:                            ;   in Loop: Header=BB297_722 Depth=2
	ds_read_u8 v39, v0 offset:4608
	s_waitcnt lgkmcnt(0)
	v_lshrrev_b32_sdwa v40, s41, v39 dst_sel:DWORD dst_unused:UNUSED_PAD src0_sel:DWORD src1_sel:BYTE_0
	v_xor_b32_e32 v39, 0x7f, v39
	v_and_b32_e32 v40, s62, v40
	v_lshlrev_b32_e32 v40, 2, v40
	ds_read_b32 v40, v40
	s_waitcnt lgkmcnt(0)
	v_add_nc_u32_e32 v40, v40, v61
	global_store_byte v40, v39, s[46:47]
.LBB297_809:                            ;   in Loop: Header=BB297_722 Depth=2
	s_or_b32 exec_lo, exec_lo, s40
	s_lshl_b64 s[66:67], s[50:51], 3
	v_add_co_u32 v39, s40, v98, s66
	v_add_co_ci_u32_e64 v40, null, s67, v99, s40
	v_cmp_lt_u32_e64 s40, v95, v138
	s_and_saveexec_b32 s50, s40
	s_xor_b32 s40, exec_lo, s50
	s_cbranch_execnz .LBB297_880
; %bb.810:                              ;   in Loop: Header=BB297_722 Depth=2
	s_or_b32 exec_lo, exec_lo, s40
	s_mov_b32 s50, exec_lo
	v_cmpx_lt_u32_e64 v100, v138
	s_cbranch_execnz .LBB297_881
.LBB297_811:                            ;   in Loop: Header=BB297_722 Depth=2
	s_or_b32 exec_lo, exec_lo, s50
	s_mov_b32 s50, exec_lo
	v_cmpx_lt_u32_e64 v101, v138
	s_cbranch_execnz .LBB297_882
.LBB297_812:                            ;   in Loop: Header=BB297_722 Depth=2
	s_or_b32 exec_lo, exec_lo, s50
	s_mov_b32 s50, exec_lo
	v_cmpx_lt_u32_e64 v102, v138
	s_cbranch_execnz .LBB297_883
.LBB297_813:                            ;   in Loop: Header=BB297_722 Depth=2
	s_or_b32 exec_lo, exec_lo, s50
	s_mov_b32 s50, exec_lo
	v_cmpx_lt_u32_e64 v103, v138
	s_cbranch_execnz .LBB297_884
.LBB297_814:                            ;   in Loop: Header=BB297_722 Depth=2
	s_or_b32 exec_lo, exec_lo, s50
	s_mov_b32 s50, exec_lo
	v_cmpx_lt_u32_e64 v104, v138
	s_cbranch_execnz .LBB297_885
.LBB297_815:                            ;   in Loop: Header=BB297_722 Depth=2
	s_or_b32 exec_lo, exec_lo, s50
	s_mov_b32 s50, exec_lo
	v_cmpx_lt_u32_e64 v105, v138
	s_cbranch_execnz .LBB297_886
.LBB297_816:                            ;   in Loop: Header=BB297_722 Depth=2
	s_or_b32 exec_lo, exec_lo, s50
	s_mov_b32 s50, exec_lo
	v_cmpx_lt_u32_e64 v106, v138
	s_cbranch_execnz .LBB297_887
.LBB297_817:                            ;   in Loop: Header=BB297_722 Depth=2
	s_or_b32 exec_lo, exec_lo, s50
	s_mov_b32 s50, exec_lo
	v_cmpx_lt_u32_e64 v107, v138
	s_cbranch_execnz .LBB297_888
.LBB297_818:                            ;   in Loop: Header=BB297_722 Depth=2
	s_or_b32 exec_lo, exec_lo, s50
	s_mov_b32 s50, exec_lo
	v_cmpx_lt_u32_e64 v108, v138
	s_cbranch_execnz .LBB297_889
.LBB297_819:                            ;   in Loop: Header=BB297_722 Depth=2
	s_or_b32 exec_lo, exec_lo, s50
	s_mov_b32 s50, exec_lo
	v_cmpx_lt_u32_e64 v109, v138
	s_cbranch_execnz .LBB297_890
.LBB297_820:                            ;   in Loop: Header=BB297_722 Depth=2
	s_or_b32 exec_lo, exec_lo, s50
	s_mov_b32 s50, exec_lo
	v_cmpx_lt_u32_e64 v110, v138
	s_cbranch_execnz .LBB297_891
.LBB297_821:                            ;   in Loop: Header=BB297_722 Depth=2
	s_or_b32 exec_lo, exec_lo, s50
	s_mov_b32 s50, exec_lo
	v_cmpx_lt_u32_e64 v111, v138
	s_cbranch_execnz .LBB297_892
.LBB297_822:                            ;   in Loop: Header=BB297_722 Depth=2
	s_or_b32 exec_lo, exec_lo, s50
	s_mov_b32 s50, exec_lo
	v_cmpx_lt_u32_e64 v112, v138
	s_cbranch_execnz .LBB297_893
.LBB297_823:                            ;   in Loop: Header=BB297_722 Depth=2
	s_or_b32 exec_lo, exec_lo, s50
	s_mov_b32 s50, exec_lo
	v_cmpx_lt_u32_e64 v113, v138
	s_cbranch_execnz .LBB297_894
.LBB297_824:                            ;   in Loop: Header=BB297_722 Depth=2
	s_or_b32 exec_lo, exec_lo, s50
	s_mov_b32 s50, exec_lo
	v_cmpx_lt_u32_e64 v114, v138
	s_cbranch_execnz .LBB297_895
.LBB297_825:                            ;   in Loop: Header=BB297_722 Depth=2
	s_or_b32 exec_lo, exec_lo, s50
	s_mov_b32 s50, exec_lo
	v_cmpx_lt_u32_e64 v115, v138
	s_cbranch_execnz .LBB297_896
.LBB297_826:                            ;   in Loop: Header=BB297_722 Depth=2
	s_or_b32 exec_lo, exec_lo, s50
	s_and_saveexec_b32 s40, s39
	s_cbranch_execnz .LBB297_897
.LBB297_827:                            ;   in Loop: Header=BB297_722 Depth=2
	s_or_b32 exec_lo, exec_lo, s40
	s_and_saveexec_b32 s40, s38
	s_cbranch_execnz .LBB297_898
.LBB297_828:                            ;   in Loop: Header=BB297_722 Depth=2
	s_or_b32 exec_lo, exec_lo, s40
	s_and_saveexec_b32 s40, s37
	s_cbranch_execnz .LBB297_899
.LBB297_829:                            ;   in Loop: Header=BB297_722 Depth=2
	s_or_b32 exec_lo, exec_lo, s40
	s_and_saveexec_b32 s40, s36
	s_cbranch_execnz .LBB297_900
.LBB297_830:                            ;   in Loop: Header=BB297_722 Depth=2
	s_or_b32 exec_lo, exec_lo, s40
	s_and_saveexec_b32 s40, s35
	s_cbranch_execnz .LBB297_901
.LBB297_831:                            ;   in Loop: Header=BB297_722 Depth=2
	s_or_b32 exec_lo, exec_lo, s40
	s_and_saveexec_b32 s40, s34
	s_cbranch_execnz .LBB297_902
.LBB297_832:                            ;   in Loop: Header=BB297_722 Depth=2
	s_or_b32 exec_lo, exec_lo, s40
	s_and_saveexec_b32 s40, s33
	s_cbranch_execnz .LBB297_903
.LBB297_833:                            ;   in Loop: Header=BB297_722 Depth=2
	s_or_b32 exec_lo, exec_lo, s40
	s_and_saveexec_b32 s40, s31
	s_cbranch_execnz .LBB297_904
.LBB297_834:                            ;   in Loop: Header=BB297_722 Depth=2
	s_or_b32 exec_lo, exec_lo, s40
	s_and_saveexec_b32 s40, s30
	s_cbranch_execnz .LBB297_905
.LBB297_835:                            ;   in Loop: Header=BB297_722 Depth=2
	s_or_b32 exec_lo, exec_lo, s40
	s_and_saveexec_b32 s40, s29
	s_cbranch_execnz .LBB297_906
.LBB297_836:                            ;   in Loop: Header=BB297_722 Depth=2
	s_or_b32 exec_lo, exec_lo, s40
	s_and_saveexec_b32 s40, s27
	s_cbranch_execnz .LBB297_907
.LBB297_837:                            ;   in Loop: Header=BB297_722 Depth=2
	s_or_b32 exec_lo, exec_lo, s40
	s_and_saveexec_b32 s40, s26
	s_cbranch_execnz .LBB297_908
.LBB297_838:                            ;   in Loop: Header=BB297_722 Depth=2
	s_or_b32 exec_lo, exec_lo, s40
	s_and_saveexec_b32 s40, s25
	s_cbranch_execnz .LBB297_909
.LBB297_839:                            ;   in Loop: Header=BB297_722 Depth=2
	s_or_b32 exec_lo, exec_lo, s40
	s_and_saveexec_b32 s40, s24
	s_cbranch_execnz .LBB297_910
.LBB297_840:                            ;   in Loop: Header=BB297_722 Depth=2
	s_or_b32 exec_lo, exec_lo, s40
	s_and_saveexec_b32 s40, s23
	s_cbranch_execnz .LBB297_911
.LBB297_841:                            ;   in Loop: Header=BB297_722 Depth=2
	s_or_b32 exec_lo, exec_lo, s40
	s_and_saveexec_b32 s40, s22
	s_cbranch_execnz .LBB297_912
.LBB297_842:                            ;   in Loop: Header=BB297_722 Depth=2
	s_or_b32 exec_lo, exec_lo, s40
	s_and_saveexec_b32 s40, vcc_lo
	s_cbranch_execz .LBB297_844
.LBB297_843:                            ;   in Loop: Header=BB297_722 Depth=2
	ds_read_u8 v39, v0 offset:4608
	s_waitcnt lgkmcnt(0)
	v_lshrrev_b32_e32 v39, s41, v39
	v_and_b32_e32 v118, s62, v39
.LBB297_844:                            ;   in Loop: Header=BB297_722 Depth=2
	s_or_b32 exec_lo, exec_lo, s40
	v_lshlrev_b32_e32 v39, 3, v157
	v_lshlrev_b32_e32 v40, 3, v153
	s_waitcnt vmcnt(0)
	s_waitcnt_vscnt null, 0x0
	s_barrier
	buffer_gl0_inv
	ds_write_b64 v39, v[37:38] offset:512
	ds_write_b64 v40, v[35:36] offset:512
	v_lshlrev_b32_e32 v39, 3, v152
	v_lshlrev_b32_e32 v40, 3, v151
	v_lshlrev_b32_e32 v138, 3, v150
	v_lshlrev_b32_e32 v139, 3, v149
	v_lshlrev_b32_e32 v143, 3, v148
	ds_write_b64 v39, v[33:34] offset:512
	ds_write_b64 v40, v[31:32] offset:512
	ds_write_b64 v138, v[29:30] offset:512
	ds_write_b64 v139, v[25:26] offset:512
	ds_write_b64 v143, v[21:22] offset:512
	v_lshlrev_b32_e32 v39, 3, v146
	v_lshlrev_b32_e32 v40, 3, v145
	v_lshlrev_b32_e32 v138, 3, v144
	v_lshlrev_b32_e32 v139, 3, v142
	v_lshlrev_b32_e32 v141, 3, v141
	ds_write_b64 v39, v[17:18] offset:512
	ds_write_b64 v40, v[27:28] offset:512
	ds_write_b64 v138, v[23:24] offset:512
	;; [unrolled: 10-line block ×3, first 2 shown]
	ds_write_b64 v41, v[7:8] offset:512
	ds_write_b64 v3, v[5:6] offset:512
	s_waitcnt lgkmcnt(0)
	s_barrier
	buffer_gl0_inv
	s_and_saveexec_b32 s40, s39
	s_cbranch_execnz .LBB297_913
; %bb.845:                              ;   in Loop: Header=BB297_722 Depth=2
	s_or_b32 exec_lo, exec_lo, s40
	s_and_saveexec_b32 s39, s38
	s_cbranch_execnz .LBB297_914
.LBB297_846:                            ;   in Loop: Header=BB297_722 Depth=2
	s_or_b32 exec_lo, exec_lo, s39
	s_and_saveexec_b32 s38, s37
	s_cbranch_execnz .LBB297_915
.LBB297_847:                            ;   in Loop: Header=BB297_722 Depth=2
	s_or_b32 exec_lo, exec_lo, s38
	s_and_saveexec_b32 s37, s36
	s_cbranch_execnz .LBB297_916
.LBB297_848:                            ;   in Loop: Header=BB297_722 Depth=2
	s_or_b32 exec_lo, exec_lo, s37
	s_and_saveexec_b32 s36, s35
	s_cbranch_execnz .LBB297_917
.LBB297_849:                            ;   in Loop: Header=BB297_722 Depth=2
	s_or_b32 exec_lo, exec_lo, s36
	s_and_saveexec_b32 s35, s34
	s_cbranch_execnz .LBB297_918
.LBB297_850:                            ;   in Loop: Header=BB297_722 Depth=2
	s_or_b32 exec_lo, exec_lo, s35
	s_and_saveexec_b32 s34, s33
	s_cbranch_execnz .LBB297_919
.LBB297_851:                            ;   in Loop: Header=BB297_722 Depth=2
	s_or_b32 exec_lo, exec_lo, s34
	s_and_saveexec_b32 s33, s31
	s_cbranch_execnz .LBB297_920
.LBB297_852:                            ;   in Loop: Header=BB297_722 Depth=2
	s_or_b32 exec_lo, exec_lo, s33
	s_and_saveexec_b32 s31, s30
	s_cbranch_execnz .LBB297_921
.LBB297_853:                            ;   in Loop: Header=BB297_722 Depth=2
	s_or_b32 exec_lo, exec_lo, s31
	s_and_saveexec_b32 s30, s29
	s_cbranch_execnz .LBB297_922
.LBB297_854:                            ;   in Loop: Header=BB297_722 Depth=2
	s_or_b32 exec_lo, exec_lo, s30
	s_and_saveexec_b32 s29, s27
	s_cbranch_execnz .LBB297_923
.LBB297_855:                            ;   in Loop: Header=BB297_722 Depth=2
	s_or_b32 exec_lo, exec_lo, s29
	s_and_saveexec_b32 s27, s26
	s_cbranch_execnz .LBB297_924
.LBB297_856:                            ;   in Loop: Header=BB297_722 Depth=2
	s_or_b32 exec_lo, exec_lo, s27
	s_and_saveexec_b32 s26, s25
	s_cbranch_execnz .LBB297_925
.LBB297_857:                            ;   in Loop: Header=BB297_722 Depth=2
	s_or_b32 exec_lo, exec_lo, s26
	s_and_saveexec_b32 s25, s24
	s_cbranch_execnz .LBB297_926
.LBB297_858:                            ;   in Loop: Header=BB297_722 Depth=2
	s_or_b32 exec_lo, exec_lo, s25
	s_and_saveexec_b32 s24, s23
	s_cbranch_execnz .LBB297_927
.LBB297_859:                            ;   in Loop: Header=BB297_722 Depth=2
	s_or_b32 exec_lo, exec_lo, s24
	s_and_saveexec_b32 s23, s22
	s_cbranch_execnz .LBB297_928
.LBB297_860:                            ;   in Loop: Header=BB297_722 Depth=2
	s_or_b32 exec_lo, exec_lo, s23
	s_and_saveexec_b32 s22, vcc_lo
	s_cbranch_execz .LBB297_862
.LBB297_861:                            ;   in Loop: Header=BB297_722 Depth=2
	v_lshlrev_b32_e32 v3, 2, v118
	v_add_nc_u32_e32 v39, v0, v75
	ds_read_b32 v3, v3
	ds_read_b64 v[39:40], v39 offset:33280
	s_waitcnt lgkmcnt(1)
	v_add_nc_u32_e32 v3, v3, v61
	v_lshlrev_b64 v[41:42], 3, v[3:4]
	v_add_co_u32 v41, vcc_lo, s52, v41
	v_add_co_ci_u32_e64 v42, null, s53, v42, vcc_lo
	s_waitcnt lgkmcnt(0)
	global_store_dwordx2 v[41:42], v[39:40], off
.LBB297_862:                            ;   in Loop: Header=BB297_722 Depth=2
	s_or_b32 exec_lo, exec_lo, s22
	s_waitcnt_vscnt null, 0x0
	s_barrier
	buffer_gl0_inv
	s_and_saveexec_b32 s22, s7
	s_cbranch_execz .LBB297_721
; %bb.863:                              ;   in Loop: Header=BB297_722 Depth=2
	ds_read_b32 v3, v43
	s_waitcnt lgkmcnt(0)
	v_add3_u32 v3, v135, v136, v3
	ds_write_b32 v43, v3
	s_branch .LBB297_721
.LBB297_864:                            ;   in Loop: Header=BB297_722 Depth=2
	ds_read_u8 v39, v0 offset:512
	s_waitcnt lgkmcnt(0)
	v_lshrrev_b32_sdwa v40, s41, v39 dst_sel:DWORD dst_unused:UNUSED_PAD src0_sel:DWORD src1_sel:BYTE_0
	v_xor_b32_e32 v39, 0x7f, v39
	v_and_b32_e32 v40, s62, v40
	v_lshlrev_b32_e32 v40, 2, v40
	ds_read_b32 v40, v40
	s_waitcnt lgkmcnt(0)
	v_add_nc_u32_e32 v40, v40, v0
	global_store_byte v40, v39, s[46:47]
	s_or_b32 exec_lo, exec_lo, s22
	v_cmp_lt_u32_e64 s38, v44, v138
	s_and_saveexec_b32 s22, s38
	s_cbranch_execz .LBB297_793
.LBB297_865:                            ;   in Loop: Header=BB297_722 Depth=2
	ds_read_u8 v39, v0 offset:768
	s_waitcnt lgkmcnt(0)
	v_lshrrev_b32_sdwa v40, s41, v39 dst_sel:DWORD dst_unused:UNUSED_PAD src0_sel:DWORD src1_sel:BYTE_0
	v_xor_b32_e32 v39, 0x7f, v39
	v_and_b32_e32 v40, s62, v40
	v_lshlrev_b32_e32 v40, 2, v40
	ds_read_b32 v40, v40
	s_waitcnt lgkmcnt(0)
	v_add_nc_u32_e32 v40, v40, v44
	global_store_byte v40, v39, s[46:47]
	s_or_b32 exec_lo, exec_lo, s22
	v_cmp_lt_u32_e64 s37, v47, v138
	s_and_saveexec_b32 s22, s37
	s_cbranch_execz .LBB297_794
.LBB297_866:                            ;   in Loop: Header=BB297_722 Depth=2
	ds_read_u8 v39, v0 offset:1024
	s_waitcnt lgkmcnt(0)
	v_lshrrev_b32_sdwa v40, s41, v39 dst_sel:DWORD dst_unused:UNUSED_PAD src0_sel:DWORD src1_sel:BYTE_0
	v_xor_b32_e32 v39, 0x7f, v39
	v_and_b32_e32 v40, s62, v40
	v_lshlrev_b32_e32 v40, 2, v40
	ds_read_b32 v40, v40
	s_waitcnt lgkmcnt(0)
	v_add_nc_u32_e32 v40, v40, v47
	global_store_byte v40, v39, s[46:47]
	s_or_b32 exec_lo, exec_lo, s22
	v_cmp_lt_u32_e64 s36, v48, v138
	s_and_saveexec_b32 s22, s36
	s_cbranch_execz .LBB297_795
.LBB297_867:                            ;   in Loop: Header=BB297_722 Depth=2
	ds_read_u8 v39, v0 offset:1280
	s_waitcnt lgkmcnt(0)
	v_lshrrev_b32_sdwa v40, s41, v39 dst_sel:DWORD dst_unused:UNUSED_PAD src0_sel:DWORD src1_sel:BYTE_0
	v_xor_b32_e32 v39, 0x7f, v39
	v_and_b32_e32 v40, s62, v40
	v_lshlrev_b32_e32 v40, 2, v40
	ds_read_b32 v40, v40
	s_waitcnt lgkmcnt(0)
	v_add_nc_u32_e32 v40, v40, v48
	global_store_byte v40, v39, s[46:47]
	s_or_b32 exec_lo, exec_lo, s22
	v_cmp_lt_u32_e64 s35, v49, v138
	s_and_saveexec_b32 s22, s35
	s_cbranch_execz .LBB297_796
.LBB297_868:                            ;   in Loop: Header=BB297_722 Depth=2
	ds_read_u8 v39, v0 offset:1536
	s_waitcnt lgkmcnt(0)
	v_lshrrev_b32_sdwa v40, s41, v39 dst_sel:DWORD dst_unused:UNUSED_PAD src0_sel:DWORD src1_sel:BYTE_0
	v_xor_b32_e32 v39, 0x7f, v39
	v_and_b32_e32 v40, s62, v40
	v_lshlrev_b32_e32 v40, 2, v40
	ds_read_b32 v40, v40
	s_waitcnt lgkmcnt(0)
	v_add_nc_u32_e32 v40, v40, v49
	global_store_byte v40, v39, s[46:47]
	s_or_b32 exec_lo, exec_lo, s22
	v_cmp_lt_u32_e64 s34, v50, v138
	s_and_saveexec_b32 s22, s34
	s_cbranch_execz .LBB297_797
.LBB297_869:                            ;   in Loop: Header=BB297_722 Depth=2
	ds_read_u8 v39, v0 offset:1792
	s_waitcnt lgkmcnt(0)
	v_lshrrev_b32_sdwa v40, s41, v39 dst_sel:DWORD dst_unused:UNUSED_PAD src0_sel:DWORD src1_sel:BYTE_0
	v_xor_b32_e32 v39, 0x7f, v39
	v_and_b32_e32 v40, s62, v40
	v_lshlrev_b32_e32 v40, 2, v40
	ds_read_b32 v40, v40
	s_waitcnt lgkmcnt(0)
	v_add_nc_u32_e32 v40, v40, v50
	global_store_byte v40, v39, s[46:47]
	s_or_b32 exec_lo, exec_lo, s22
	v_cmp_lt_u32_e64 s33, v51, v138
	s_and_saveexec_b32 s22, s33
	s_cbranch_execz .LBB297_798
.LBB297_870:                            ;   in Loop: Header=BB297_722 Depth=2
	ds_read_u8 v39, v0 offset:2048
	s_waitcnt lgkmcnt(0)
	v_lshrrev_b32_sdwa v40, s41, v39 dst_sel:DWORD dst_unused:UNUSED_PAD src0_sel:DWORD src1_sel:BYTE_0
	v_xor_b32_e32 v39, 0x7f, v39
	v_and_b32_e32 v40, s62, v40
	v_lshlrev_b32_e32 v40, 2, v40
	ds_read_b32 v40, v40
	s_waitcnt lgkmcnt(0)
	v_add_nc_u32_e32 v40, v40, v51
	global_store_byte v40, v39, s[46:47]
	s_or_b32 exec_lo, exec_lo, s22
	v_cmp_lt_u32_e64 s31, v52, v138
	s_and_saveexec_b32 s22, s31
	s_cbranch_execz .LBB297_799
.LBB297_871:                            ;   in Loop: Header=BB297_722 Depth=2
	ds_read_u8 v39, v0 offset:2304
	s_waitcnt lgkmcnt(0)
	v_lshrrev_b32_sdwa v40, s41, v39 dst_sel:DWORD dst_unused:UNUSED_PAD src0_sel:DWORD src1_sel:BYTE_0
	v_xor_b32_e32 v39, 0x7f, v39
	v_and_b32_e32 v40, s62, v40
	v_lshlrev_b32_e32 v40, 2, v40
	ds_read_b32 v40, v40
	s_waitcnt lgkmcnt(0)
	v_add_nc_u32_e32 v40, v40, v52
	global_store_byte v40, v39, s[46:47]
	s_or_b32 exec_lo, exec_lo, s22
	v_cmp_lt_u32_e64 s30, v53, v138
	s_and_saveexec_b32 s22, s30
	s_cbranch_execz .LBB297_800
.LBB297_872:                            ;   in Loop: Header=BB297_722 Depth=2
	ds_read_u8 v39, v0 offset:2560
	s_waitcnt lgkmcnt(0)
	v_lshrrev_b32_sdwa v40, s41, v39 dst_sel:DWORD dst_unused:UNUSED_PAD src0_sel:DWORD src1_sel:BYTE_0
	v_xor_b32_e32 v39, 0x7f, v39
	v_and_b32_e32 v40, s62, v40
	v_lshlrev_b32_e32 v40, 2, v40
	ds_read_b32 v40, v40
	s_waitcnt lgkmcnt(0)
	v_add_nc_u32_e32 v40, v40, v53
	global_store_byte v40, v39, s[46:47]
	s_or_b32 exec_lo, exec_lo, s22
	v_cmp_lt_u32_e64 s29, v54, v138
	s_and_saveexec_b32 s22, s29
	s_cbranch_execz .LBB297_801
.LBB297_873:                            ;   in Loop: Header=BB297_722 Depth=2
	ds_read_u8 v39, v0 offset:2816
	s_waitcnt lgkmcnt(0)
	v_lshrrev_b32_sdwa v40, s41, v39 dst_sel:DWORD dst_unused:UNUSED_PAD src0_sel:DWORD src1_sel:BYTE_0
	v_xor_b32_e32 v39, 0x7f, v39
	v_and_b32_e32 v40, s62, v40
	v_lshlrev_b32_e32 v40, 2, v40
	ds_read_b32 v40, v40
	s_waitcnt lgkmcnt(0)
	v_add_nc_u32_e32 v40, v40, v54
	global_store_byte v40, v39, s[46:47]
	s_or_b32 exec_lo, exec_lo, s22
	v_cmp_lt_u32_e64 s27, v55, v138
	s_and_saveexec_b32 s22, s27
	s_cbranch_execz .LBB297_802
.LBB297_874:                            ;   in Loop: Header=BB297_722 Depth=2
	ds_read_u8 v39, v0 offset:3072
	s_waitcnt lgkmcnt(0)
	v_lshrrev_b32_sdwa v40, s41, v39 dst_sel:DWORD dst_unused:UNUSED_PAD src0_sel:DWORD src1_sel:BYTE_0
	v_xor_b32_e32 v39, 0x7f, v39
	v_and_b32_e32 v40, s62, v40
	v_lshlrev_b32_e32 v40, 2, v40
	ds_read_b32 v40, v40
	s_waitcnt lgkmcnt(0)
	v_add_nc_u32_e32 v40, v40, v55
	global_store_byte v40, v39, s[46:47]
	s_or_b32 exec_lo, exec_lo, s22
	v_cmp_lt_u32_e64 s26, v56, v138
	s_and_saveexec_b32 s22, s26
	s_cbranch_execz .LBB297_803
.LBB297_875:                            ;   in Loop: Header=BB297_722 Depth=2
	ds_read_u8 v39, v0 offset:3328
	s_waitcnt lgkmcnt(0)
	v_lshrrev_b32_sdwa v40, s41, v39 dst_sel:DWORD dst_unused:UNUSED_PAD src0_sel:DWORD src1_sel:BYTE_0
	v_xor_b32_e32 v39, 0x7f, v39
	v_and_b32_e32 v40, s62, v40
	v_lshlrev_b32_e32 v40, 2, v40
	ds_read_b32 v40, v40
	s_waitcnt lgkmcnt(0)
	v_add_nc_u32_e32 v40, v40, v56
	global_store_byte v40, v39, s[46:47]
	s_or_b32 exec_lo, exec_lo, s22
	v_cmp_lt_u32_e64 s25, v57, v138
	s_and_saveexec_b32 s22, s25
	s_cbranch_execz .LBB297_804
.LBB297_876:                            ;   in Loop: Header=BB297_722 Depth=2
	ds_read_u8 v39, v0 offset:3584
	s_waitcnt lgkmcnt(0)
	v_lshrrev_b32_sdwa v40, s41, v39 dst_sel:DWORD dst_unused:UNUSED_PAD src0_sel:DWORD src1_sel:BYTE_0
	v_xor_b32_e32 v39, 0x7f, v39
	v_and_b32_e32 v40, s62, v40
	v_lshlrev_b32_e32 v40, 2, v40
	ds_read_b32 v40, v40
	s_waitcnt lgkmcnt(0)
	v_add_nc_u32_e32 v40, v40, v57
	global_store_byte v40, v39, s[46:47]
	s_or_b32 exec_lo, exec_lo, s22
	v_cmp_lt_u32_e64 s24, v58, v138
	s_and_saveexec_b32 s22, s24
	s_cbranch_execz .LBB297_805
.LBB297_877:                            ;   in Loop: Header=BB297_722 Depth=2
	ds_read_u8 v39, v0 offset:3840
	s_waitcnt lgkmcnt(0)
	v_lshrrev_b32_sdwa v40, s41, v39 dst_sel:DWORD dst_unused:UNUSED_PAD src0_sel:DWORD src1_sel:BYTE_0
	v_xor_b32_e32 v39, 0x7f, v39
	v_and_b32_e32 v40, s62, v40
	v_lshlrev_b32_e32 v40, 2, v40
	ds_read_b32 v40, v40
	s_waitcnt lgkmcnt(0)
	v_add_nc_u32_e32 v40, v40, v58
	global_store_byte v40, v39, s[46:47]
	s_or_b32 exec_lo, exec_lo, s22
	v_cmp_lt_u32_e64 s23, v59, v138
	s_and_saveexec_b32 s22, s23
	s_cbranch_execz .LBB297_806
.LBB297_878:                            ;   in Loop: Header=BB297_722 Depth=2
	ds_read_u8 v39, v0 offset:4096
	s_waitcnt lgkmcnt(0)
	v_lshrrev_b32_sdwa v40, s41, v39 dst_sel:DWORD dst_unused:UNUSED_PAD src0_sel:DWORD src1_sel:BYTE_0
	v_xor_b32_e32 v39, 0x7f, v39
	v_and_b32_e32 v40, s62, v40
	v_lshlrev_b32_e32 v40, 2, v40
	ds_read_b32 v40, v40
	s_waitcnt lgkmcnt(0)
	v_add_nc_u32_e32 v40, v40, v59
	global_store_byte v40, v39, s[46:47]
	s_or_b32 exec_lo, exec_lo, s22
	v_cmp_lt_u32_e64 s22, v60, v138
	s_and_saveexec_b32 s40, s22
	s_cbranch_execz .LBB297_807
.LBB297_879:                            ;   in Loop: Header=BB297_722 Depth=2
	ds_read_u8 v39, v0 offset:4352
	s_waitcnt lgkmcnt(0)
	v_lshrrev_b32_sdwa v40, s41, v39 dst_sel:DWORD dst_unused:UNUSED_PAD src0_sel:DWORD src1_sel:BYTE_0
	v_xor_b32_e32 v39, 0x7f, v39
	v_and_b32_e32 v40, s62, v40
	v_lshlrev_b32_e32 v40, 2, v40
	ds_read_b32 v40, v40
	s_waitcnt lgkmcnt(0)
	v_add_nc_u32_e32 v40, v40, v60
	global_store_byte v40, v39, s[46:47]
	s_or_b32 exec_lo, exec_lo, s40
	v_cmp_lt_u32_e32 vcc_lo, v61, v138
	s_and_saveexec_b32 s40, vcc_lo
	s_cbranch_execnz .LBB297_808
	s_branch .LBB297_809
.LBB297_880:                            ;   in Loop: Header=BB297_722 Depth=2
	global_load_dwordx2 v[37:38], v[39:40], off
	s_or_b32 exec_lo, exec_lo, s40
	s_mov_b32 s50, exec_lo
	v_cmpx_lt_u32_e64 v100, v138
	s_cbranch_execz .LBB297_811
.LBB297_881:                            ;   in Loop: Header=BB297_722 Depth=2
	global_load_dwordx2 v[35:36], v[39:40], off offset:256
	s_or_b32 exec_lo, exec_lo, s50
	s_mov_b32 s50, exec_lo
	v_cmpx_lt_u32_e64 v101, v138
	s_cbranch_execz .LBB297_812
.LBB297_882:                            ;   in Loop: Header=BB297_722 Depth=2
	global_load_dwordx2 v[33:34], v[39:40], off offset:512
	s_or_b32 exec_lo, exec_lo, s50
	s_mov_b32 s50, exec_lo
	v_cmpx_lt_u32_e64 v102, v138
	s_cbranch_execz .LBB297_813
.LBB297_883:                            ;   in Loop: Header=BB297_722 Depth=2
	global_load_dwordx2 v[31:32], v[39:40], off offset:768
	s_or_b32 exec_lo, exec_lo, s50
	s_mov_b32 s50, exec_lo
	v_cmpx_lt_u32_e64 v103, v138
	s_cbranch_execz .LBB297_814
.LBB297_884:                            ;   in Loop: Header=BB297_722 Depth=2
	global_load_dwordx2 v[29:30], v[39:40], off offset:1024
	s_or_b32 exec_lo, exec_lo, s50
	s_mov_b32 s50, exec_lo
	v_cmpx_lt_u32_e64 v104, v138
	s_cbranch_execz .LBB297_815
.LBB297_885:                            ;   in Loop: Header=BB297_722 Depth=2
	global_load_dwordx2 v[25:26], v[39:40], off offset:1280
	s_or_b32 exec_lo, exec_lo, s50
	s_mov_b32 s50, exec_lo
	v_cmpx_lt_u32_e64 v105, v138
	s_cbranch_execz .LBB297_816
.LBB297_886:                            ;   in Loop: Header=BB297_722 Depth=2
	global_load_dwordx2 v[21:22], v[39:40], off offset:1536
	s_or_b32 exec_lo, exec_lo, s50
	s_mov_b32 s50, exec_lo
	v_cmpx_lt_u32_e64 v106, v138
	s_cbranch_execz .LBB297_817
.LBB297_887:                            ;   in Loop: Header=BB297_722 Depth=2
	global_load_dwordx2 v[17:18], v[39:40], off offset:1792
	s_or_b32 exec_lo, exec_lo, s50
	s_mov_b32 s50, exec_lo
	v_cmpx_lt_u32_e64 v107, v138
	s_cbranch_execz .LBB297_818
.LBB297_888:                            ;   in Loop: Header=BB297_722 Depth=2
	v_add_co_u32 v27, s40, 0x800, v39
	v_add_co_ci_u32_e64 v28, null, 0, v40, s40
	global_load_dwordx2 v[27:28], v[27:28], off
	s_or_b32 exec_lo, exec_lo, s50
	s_mov_b32 s50, exec_lo
	v_cmpx_lt_u32_e64 v108, v138
	s_cbranch_execz .LBB297_819
.LBB297_889:                            ;   in Loop: Header=BB297_722 Depth=2
	v_add_co_u32 v23, s40, 0x800, v39
	v_add_co_ci_u32_e64 v24, null, 0, v40, s40
	global_load_dwordx2 v[23:24], v[23:24], off offset:256
	s_or_b32 exec_lo, exec_lo, s50
	s_mov_b32 s50, exec_lo
	v_cmpx_lt_u32_e64 v109, v138
	s_cbranch_execz .LBB297_820
.LBB297_890:                            ;   in Loop: Header=BB297_722 Depth=2
	v_add_co_u32 v19, s40, 0x800, v39
	v_add_co_ci_u32_e64 v20, null, 0, v40, s40
	global_load_dwordx2 v[19:20], v[19:20], off offset:512
	s_or_b32 exec_lo, exec_lo, s50
	s_mov_b32 s50, exec_lo
	v_cmpx_lt_u32_e64 v110, v138
	s_cbranch_execz .LBB297_821
.LBB297_891:                            ;   in Loop: Header=BB297_722 Depth=2
	v_add_co_u32 v15, s40, 0x800, v39
	v_add_co_ci_u32_e64 v16, null, 0, v40, s40
	global_load_dwordx2 v[15:16], v[15:16], off offset:768
	s_or_b32 exec_lo, exec_lo, s50
	s_mov_b32 s50, exec_lo
	v_cmpx_lt_u32_e64 v111, v138
	s_cbranch_execz .LBB297_822
.LBB297_892:                            ;   in Loop: Header=BB297_722 Depth=2
	v_add_co_u32 v13, s40, 0x800, v39
	v_add_co_ci_u32_e64 v14, null, 0, v40, s40
	global_load_dwordx2 v[13:14], v[13:14], off offset:1024
	s_or_b32 exec_lo, exec_lo, s50
	s_mov_b32 s50, exec_lo
	v_cmpx_lt_u32_e64 v112, v138
	s_cbranch_execz .LBB297_823
.LBB297_893:                            ;   in Loop: Header=BB297_722 Depth=2
	v_add_co_u32 v11, s40, 0x800, v39
	v_add_co_ci_u32_e64 v12, null, 0, v40, s40
	global_load_dwordx2 v[11:12], v[11:12], off offset:1280
	s_or_b32 exec_lo, exec_lo, s50
	s_mov_b32 s50, exec_lo
	v_cmpx_lt_u32_e64 v113, v138
	s_cbranch_execz .LBB297_824
.LBB297_894:                            ;   in Loop: Header=BB297_722 Depth=2
	v_add_co_u32 v9, s40, 0x800, v39
	v_add_co_ci_u32_e64 v10, null, 0, v40, s40
	global_load_dwordx2 v[9:10], v[9:10], off offset:1536
	s_or_b32 exec_lo, exec_lo, s50
	s_mov_b32 s50, exec_lo
	v_cmpx_lt_u32_e64 v114, v138
	s_cbranch_execz .LBB297_825
.LBB297_895:                            ;   in Loop: Header=BB297_722 Depth=2
	v_add_co_u32 v7, s40, 0x800, v39
	v_add_co_ci_u32_e64 v8, null, 0, v40, s40
	global_load_dwordx2 v[7:8], v[7:8], off offset:1792
	s_or_b32 exec_lo, exec_lo, s50
	s_mov_b32 s50, exec_lo
	v_cmpx_lt_u32_e64 v115, v138
	s_cbranch_execz .LBB297_826
.LBB297_896:                            ;   in Loop: Header=BB297_722 Depth=2
	v_add_co_u32 v5, s40, 0x1000, v39
	v_add_co_ci_u32_e64 v6, null, 0, v40, s40
	global_load_dwordx2 v[5:6], v[5:6], off
	s_or_b32 exec_lo, exec_lo, s50
	s_and_saveexec_b32 s40, s39
	s_cbranch_execz .LBB297_827
.LBB297_897:                            ;   in Loop: Header=BB297_722 Depth=2
	ds_read_u8 v39, v0 offset:512
	s_waitcnt lgkmcnt(0)
	v_lshrrev_b32_e32 v39, s41, v39
	v_and_b32_e32 v134, s62, v39
	s_or_b32 exec_lo, exec_lo, s40
	s_and_saveexec_b32 s40, s38
	s_cbranch_execz .LBB297_828
.LBB297_898:                            ;   in Loop: Header=BB297_722 Depth=2
	ds_read_u8 v39, v0 offset:768
	s_waitcnt lgkmcnt(0)
	v_lshrrev_b32_e32 v39, s41, v39
	v_and_b32_e32 v133, s62, v39
	s_or_b32 exec_lo, exec_lo, s40
	s_and_saveexec_b32 s40, s37
	s_cbranch_execz .LBB297_829
.LBB297_899:                            ;   in Loop: Header=BB297_722 Depth=2
	ds_read_u8 v39, v0 offset:1024
	s_waitcnt lgkmcnt(0)
	v_lshrrev_b32_e32 v39, s41, v39
	v_and_b32_e32 v132, s62, v39
	s_or_b32 exec_lo, exec_lo, s40
	s_and_saveexec_b32 s40, s36
	s_cbranch_execz .LBB297_830
.LBB297_900:                            ;   in Loop: Header=BB297_722 Depth=2
	ds_read_u8 v39, v0 offset:1280
	s_waitcnt lgkmcnt(0)
	v_lshrrev_b32_e32 v39, s41, v39
	v_and_b32_e32 v131, s62, v39
	s_or_b32 exec_lo, exec_lo, s40
	s_and_saveexec_b32 s40, s35
	s_cbranch_execz .LBB297_831
.LBB297_901:                            ;   in Loop: Header=BB297_722 Depth=2
	ds_read_u8 v39, v0 offset:1536
	s_waitcnt lgkmcnt(0)
	v_lshrrev_b32_e32 v39, s41, v39
	v_and_b32_e32 v130, s62, v39
	s_or_b32 exec_lo, exec_lo, s40
	s_and_saveexec_b32 s40, s34
	s_cbranch_execz .LBB297_832
.LBB297_902:                            ;   in Loop: Header=BB297_722 Depth=2
	ds_read_u8 v39, v0 offset:1792
	s_waitcnt lgkmcnt(0)
	v_lshrrev_b32_e32 v39, s41, v39
	v_and_b32_e32 v129, s62, v39
	s_or_b32 exec_lo, exec_lo, s40
	s_and_saveexec_b32 s40, s33
	s_cbranch_execz .LBB297_833
.LBB297_903:                            ;   in Loop: Header=BB297_722 Depth=2
	ds_read_u8 v39, v0 offset:2048
	s_waitcnt lgkmcnt(0)
	v_lshrrev_b32_e32 v39, s41, v39
	v_and_b32_e32 v128, s62, v39
	s_or_b32 exec_lo, exec_lo, s40
	s_and_saveexec_b32 s40, s31
	s_cbranch_execz .LBB297_834
.LBB297_904:                            ;   in Loop: Header=BB297_722 Depth=2
	ds_read_u8 v39, v0 offset:2304
	s_waitcnt lgkmcnt(0)
	v_lshrrev_b32_e32 v39, s41, v39
	v_and_b32_e32 v127, s62, v39
	s_or_b32 exec_lo, exec_lo, s40
	s_and_saveexec_b32 s40, s30
	s_cbranch_execz .LBB297_835
.LBB297_905:                            ;   in Loop: Header=BB297_722 Depth=2
	ds_read_u8 v39, v0 offset:2560
	s_waitcnt lgkmcnt(0)
	v_lshrrev_b32_e32 v39, s41, v39
	v_and_b32_e32 v126, s62, v39
	s_or_b32 exec_lo, exec_lo, s40
	s_and_saveexec_b32 s40, s29
	s_cbranch_execz .LBB297_836
.LBB297_906:                            ;   in Loop: Header=BB297_722 Depth=2
	ds_read_u8 v39, v0 offset:2816
	s_waitcnt lgkmcnt(0)
	v_lshrrev_b32_e32 v39, s41, v39
	v_and_b32_e32 v125, s62, v39
	s_or_b32 exec_lo, exec_lo, s40
	s_and_saveexec_b32 s40, s27
	s_cbranch_execz .LBB297_837
.LBB297_907:                            ;   in Loop: Header=BB297_722 Depth=2
	ds_read_u8 v39, v0 offset:3072
	s_waitcnt lgkmcnt(0)
	v_lshrrev_b32_e32 v39, s41, v39
	v_and_b32_e32 v124, s62, v39
	s_or_b32 exec_lo, exec_lo, s40
	s_and_saveexec_b32 s40, s26
	s_cbranch_execz .LBB297_838
.LBB297_908:                            ;   in Loop: Header=BB297_722 Depth=2
	ds_read_u8 v39, v0 offset:3328
	s_waitcnt lgkmcnt(0)
	v_lshrrev_b32_e32 v39, s41, v39
	v_and_b32_e32 v123, s62, v39
	s_or_b32 exec_lo, exec_lo, s40
	s_and_saveexec_b32 s40, s25
	s_cbranch_execz .LBB297_839
.LBB297_909:                            ;   in Loop: Header=BB297_722 Depth=2
	ds_read_u8 v39, v0 offset:3584
	s_waitcnt lgkmcnt(0)
	v_lshrrev_b32_e32 v39, s41, v39
	v_and_b32_e32 v122, s62, v39
	s_or_b32 exec_lo, exec_lo, s40
	s_and_saveexec_b32 s40, s24
	s_cbranch_execz .LBB297_840
.LBB297_910:                            ;   in Loop: Header=BB297_722 Depth=2
	ds_read_u8 v39, v0 offset:3840
	s_waitcnt lgkmcnt(0)
	v_lshrrev_b32_e32 v39, s41, v39
	v_and_b32_e32 v121, s62, v39
	s_or_b32 exec_lo, exec_lo, s40
	s_and_saveexec_b32 s40, s23
	s_cbranch_execz .LBB297_841
.LBB297_911:                            ;   in Loop: Header=BB297_722 Depth=2
	ds_read_u8 v39, v0 offset:4096
	s_waitcnt lgkmcnt(0)
	v_lshrrev_b32_e32 v39, s41, v39
	v_and_b32_e32 v120, s62, v39
	s_or_b32 exec_lo, exec_lo, s40
	s_and_saveexec_b32 s40, s22
	s_cbranch_execz .LBB297_842
.LBB297_912:                            ;   in Loop: Header=BB297_722 Depth=2
	ds_read_u8 v39, v0 offset:4352
	s_waitcnt lgkmcnt(0)
	v_lshrrev_b32_e32 v39, s41, v39
	v_and_b32_e32 v119, s62, v39
	s_or_b32 exec_lo, exec_lo, s40
	s_and_saveexec_b32 s40, vcc_lo
	s_cbranch_execnz .LBB297_843
	s_branch .LBB297_844
.LBB297_913:                            ;   in Loop: Header=BB297_722 Depth=2
	v_lshlrev_b32_e32 v3, 2, v134
	v_add_nc_u32_e32 v39, v0, v75
	ds_read_b32 v3, v3
	ds_read_b64 v[39:40], v39 offset:512
	s_waitcnt lgkmcnt(1)
	v_add_nc_u32_e32 v3, v3, v0
	v_lshlrev_b64 v[41:42], 3, v[3:4]
	v_add_co_u32 v41, s39, s52, v41
	v_add_co_ci_u32_e64 v42, null, s53, v42, s39
	s_waitcnt lgkmcnt(0)
	global_store_dwordx2 v[41:42], v[39:40], off
	s_or_b32 exec_lo, exec_lo, s40
	s_and_saveexec_b32 s39, s38
	s_cbranch_execz .LBB297_846
.LBB297_914:                            ;   in Loop: Header=BB297_722 Depth=2
	v_lshlrev_b32_e32 v3, 2, v133
	v_add_nc_u32_e32 v39, v0, v75
	ds_read_b32 v3, v3
	ds_read_b64 v[39:40], v39 offset:2560
	s_waitcnt lgkmcnt(1)
	v_add_nc_u32_e32 v3, v3, v44
	v_lshlrev_b64 v[41:42], 3, v[3:4]
	v_add_co_u32 v41, s38, s52, v41
	v_add_co_ci_u32_e64 v42, null, s53, v42, s38
	s_waitcnt lgkmcnt(0)
	global_store_dwordx2 v[41:42], v[39:40], off
	s_or_b32 exec_lo, exec_lo, s39
	s_and_saveexec_b32 s38, s37
	s_cbranch_execz .LBB297_847
.LBB297_915:                            ;   in Loop: Header=BB297_722 Depth=2
	v_lshlrev_b32_e32 v3, 2, v132
	v_add_nc_u32_e32 v39, v0, v75
	ds_read_b32 v3, v3
	ds_read_b64 v[39:40], v39 offset:4608
	s_waitcnt lgkmcnt(1)
	v_add_nc_u32_e32 v3, v3, v47
	v_lshlrev_b64 v[41:42], 3, v[3:4]
	v_add_co_u32 v41, s37, s52, v41
	v_add_co_ci_u32_e64 v42, null, s53, v42, s37
	s_waitcnt lgkmcnt(0)
	global_store_dwordx2 v[41:42], v[39:40], off
	s_or_b32 exec_lo, exec_lo, s38
	s_and_saveexec_b32 s37, s36
	s_cbranch_execz .LBB297_848
.LBB297_916:                            ;   in Loop: Header=BB297_722 Depth=2
	v_lshlrev_b32_e32 v3, 2, v131
	v_add_nc_u32_e32 v39, v0, v75
	ds_read_b32 v3, v3
	ds_read_b64 v[39:40], v39 offset:6656
	s_waitcnt lgkmcnt(1)
	v_add_nc_u32_e32 v3, v3, v48
	v_lshlrev_b64 v[41:42], 3, v[3:4]
	v_add_co_u32 v41, s36, s52, v41
	v_add_co_ci_u32_e64 v42, null, s53, v42, s36
	s_waitcnt lgkmcnt(0)
	global_store_dwordx2 v[41:42], v[39:40], off
	s_or_b32 exec_lo, exec_lo, s37
	s_and_saveexec_b32 s36, s35
	s_cbranch_execz .LBB297_849
.LBB297_917:                            ;   in Loop: Header=BB297_722 Depth=2
	v_lshlrev_b32_e32 v3, 2, v130
	v_add_nc_u32_e32 v39, v0, v75
	ds_read_b32 v3, v3
	ds_read_b64 v[39:40], v39 offset:8704
	s_waitcnt lgkmcnt(1)
	v_add_nc_u32_e32 v3, v3, v49
	v_lshlrev_b64 v[41:42], 3, v[3:4]
	v_add_co_u32 v41, s35, s52, v41
	v_add_co_ci_u32_e64 v42, null, s53, v42, s35
	s_waitcnt lgkmcnt(0)
	global_store_dwordx2 v[41:42], v[39:40], off
	s_or_b32 exec_lo, exec_lo, s36
	s_and_saveexec_b32 s35, s34
	s_cbranch_execz .LBB297_850
.LBB297_918:                            ;   in Loop: Header=BB297_722 Depth=2
	v_lshlrev_b32_e32 v3, 2, v129
	v_add_nc_u32_e32 v39, v0, v75
	ds_read_b32 v3, v3
	ds_read_b64 v[39:40], v39 offset:10752
	s_waitcnt lgkmcnt(1)
	v_add_nc_u32_e32 v3, v3, v50
	v_lshlrev_b64 v[41:42], 3, v[3:4]
	v_add_co_u32 v41, s34, s52, v41
	v_add_co_ci_u32_e64 v42, null, s53, v42, s34
	s_waitcnt lgkmcnt(0)
	global_store_dwordx2 v[41:42], v[39:40], off
	s_or_b32 exec_lo, exec_lo, s35
	s_and_saveexec_b32 s34, s33
	s_cbranch_execz .LBB297_851
.LBB297_919:                            ;   in Loop: Header=BB297_722 Depth=2
	v_lshlrev_b32_e32 v3, 2, v128
	v_add_nc_u32_e32 v39, v0, v75
	ds_read_b32 v3, v3
	ds_read_b64 v[39:40], v39 offset:12800
	s_waitcnt lgkmcnt(1)
	v_add_nc_u32_e32 v3, v3, v51
	v_lshlrev_b64 v[41:42], 3, v[3:4]
	v_add_co_u32 v41, s33, s52, v41
	v_add_co_ci_u32_e64 v42, null, s53, v42, s33
	s_waitcnt lgkmcnt(0)
	global_store_dwordx2 v[41:42], v[39:40], off
	s_or_b32 exec_lo, exec_lo, s34
	s_and_saveexec_b32 s33, s31
	s_cbranch_execz .LBB297_852
.LBB297_920:                            ;   in Loop: Header=BB297_722 Depth=2
	v_lshlrev_b32_e32 v3, 2, v127
	v_add_nc_u32_e32 v39, v0, v75
	ds_read_b32 v3, v3
	ds_read_b64 v[39:40], v39 offset:14848
	s_waitcnt lgkmcnt(1)
	v_add_nc_u32_e32 v3, v3, v52
	v_lshlrev_b64 v[41:42], 3, v[3:4]
	v_add_co_u32 v41, s31, s52, v41
	v_add_co_ci_u32_e64 v42, null, s53, v42, s31
	s_waitcnt lgkmcnt(0)
	global_store_dwordx2 v[41:42], v[39:40], off
	s_or_b32 exec_lo, exec_lo, s33
	s_and_saveexec_b32 s31, s30
	s_cbranch_execz .LBB297_853
.LBB297_921:                            ;   in Loop: Header=BB297_722 Depth=2
	v_lshlrev_b32_e32 v3, 2, v126
	v_add_nc_u32_e32 v39, v0, v75
	ds_read_b32 v3, v3
	ds_read_b64 v[39:40], v39 offset:16896
	s_waitcnt lgkmcnt(1)
	v_add_nc_u32_e32 v3, v3, v53
	v_lshlrev_b64 v[41:42], 3, v[3:4]
	v_add_co_u32 v41, s30, s52, v41
	v_add_co_ci_u32_e64 v42, null, s53, v42, s30
	s_waitcnt lgkmcnt(0)
	global_store_dwordx2 v[41:42], v[39:40], off
	s_or_b32 exec_lo, exec_lo, s31
	s_and_saveexec_b32 s30, s29
	s_cbranch_execz .LBB297_854
.LBB297_922:                            ;   in Loop: Header=BB297_722 Depth=2
	v_lshlrev_b32_e32 v3, 2, v125
	v_add_nc_u32_e32 v39, v0, v75
	ds_read_b32 v3, v3
	ds_read_b64 v[39:40], v39 offset:18944
	s_waitcnt lgkmcnt(1)
	v_add_nc_u32_e32 v3, v3, v54
	v_lshlrev_b64 v[41:42], 3, v[3:4]
	v_add_co_u32 v41, s29, s52, v41
	v_add_co_ci_u32_e64 v42, null, s53, v42, s29
	s_waitcnt lgkmcnt(0)
	global_store_dwordx2 v[41:42], v[39:40], off
	s_or_b32 exec_lo, exec_lo, s30
	s_and_saveexec_b32 s29, s27
	s_cbranch_execz .LBB297_855
.LBB297_923:                            ;   in Loop: Header=BB297_722 Depth=2
	v_lshlrev_b32_e32 v3, 2, v124
	v_add_nc_u32_e32 v39, v0, v75
	ds_read_b32 v3, v3
	ds_read_b64 v[39:40], v39 offset:20992
	s_waitcnt lgkmcnt(1)
	v_add_nc_u32_e32 v3, v3, v55
	v_lshlrev_b64 v[41:42], 3, v[3:4]
	v_add_co_u32 v41, s27, s52, v41
	v_add_co_ci_u32_e64 v42, null, s53, v42, s27
	s_waitcnt lgkmcnt(0)
	global_store_dwordx2 v[41:42], v[39:40], off
	s_or_b32 exec_lo, exec_lo, s29
	s_and_saveexec_b32 s27, s26
	s_cbranch_execz .LBB297_856
.LBB297_924:                            ;   in Loop: Header=BB297_722 Depth=2
	v_lshlrev_b32_e32 v3, 2, v123
	v_add_nc_u32_e32 v39, v0, v75
	ds_read_b32 v3, v3
	ds_read_b64 v[39:40], v39 offset:23040
	s_waitcnt lgkmcnt(1)
	v_add_nc_u32_e32 v3, v3, v56
	v_lshlrev_b64 v[41:42], 3, v[3:4]
	v_add_co_u32 v41, s26, s52, v41
	v_add_co_ci_u32_e64 v42, null, s53, v42, s26
	s_waitcnt lgkmcnt(0)
	global_store_dwordx2 v[41:42], v[39:40], off
	s_or_b32 exec_lo, exec_lo, s27
	s_and_saveexec_b32 s26, s25
	s_cbranch_execz .LBB297_857
.LBB297_925:                            ;   in Loop: Header=BB297_722 Depth=2
	v_lshlrev_b32_e32 v3, 2, v122
	v_add_nc_u32_e32 v39, v0, v75
	ds_read_b32 v3, v3
	ds_read_b64 v[39:40], v39 offset:25088
	s_waitcnt lgkmcnt(1)
	v_add_nc_u32_e32 v3, v3, v57
	v_lshlrev_b64 v[41:42], 3, v[3:4]
	v_add_co_u32 v41, s25, s52, v41
	v_add_co_ci_u32_e64 v42, null, s53, v42, s25
	s_waitcnt lgkmcnt(0)
	global_store_dwordx2 v[41:42], v[39:40], off
	s_or_b32 exec_lo, exec_lo, s26
	s_and_saveexec_b32 s25, s24
	s_cbranch_execz .LBB297_858
.LBB297_926:                            ;   in Loop: Header=BB297_722 Depth=2
	v_lshlrev_b32_e32 v3, 2, v121
	v_add_nc_u32_e32 v39, v0, v75
	ds_read_b32 v3, v3
	ds_read_b64 v[39:40], v39 offset:27136
	s_waitcnt lgkmcnt(1)
	v_add_nc_u32_e32 v3, v3, v58
	v_lshlrev_b64 v[41:42], 3, v[3:4]
	v_add_co_u32 v41, s24, s52, v41
	v_add_co_ci_u32_e64 v42, null, s53, v42, s24
	s_waitcnt lgkmcnt(0)
	global_store_dwordx2 v[41:42], v[39:40], off
	s_or_b32 exec_lo, exec_lo, s25
	s_and_saveexec_b32 s24, s23
	s_cbranch_execz .LBB297_859
.LBB297_927:                            ;   in Loop: Header=BB297_722 Depth=2
	v_lshlrev_b32_e32 v3, 2, v120
	v_add_nc_u32_e32 v39, v0, v75
	ds_read_b32 v3, v3
	ds_read_b64 v[39:40], v39 offset:29184
	s_waitcnt lgkmcnt(1)
	v_add_nc_u32_e32 v3, v3, v59
	v_lshlrev_b64 v[41:42], 3, v[3:4]
	v_add_co_u32 v41, s23, s52, v41
	v_add_co_ci_u32_e64 v42, null, s53, v42, s23
	s_waitcnt lgkmcnt(0)
	global_store_dwordx2 v[41:42], v[39:40], off
	s_or_b32 exec_lo, exec_lo, s24
	s_and_saveexec_b32 s23, s22
	s_cbranch_execz .LBB297_860
.LBB297_928:                            ;   in Loop: Header=BB297_722 Depth=2
	v_lshlrev_b32_e32 v3, 2, v119
	v_add_nc_u32_e32 v39, v0, v75
	ds_read_b32 v3, v3
	ds_read_b64 v[39:40], v39 offset:31232
	s_waitcnt lgkmcnt(1)
	v_add_nc_u32_e32 v3, v3, v60
	v_lshlrev_b64 v[41:42], 3, v[3:4]
	v_add_co_u32 v41, s22, s52, v41
	v_add_co_ci_u32_e64 v42, null, s53, v42, s22
	s_waitcnt lgkmcnt(0)
	global_store_dwordx2 v[41:42], v[39:40], off
	s_or_b32 exec_lo, exec_lo, s23
	s_and_saveexec_b32 s22, vcc_lo
	s_cbranch_execnz .LBB297_861
	s_branch .LBB297_862
.LBB297_929:                            ;   in Loop: Header=BB297_722 Depth=2
	global_load_ubyte v146, v[39:40], off
	v_mov_b32_e32 v117, 0x80
	v_mov_b32_e32 v147, 0x80
	;; [unrolled: 1-line block ×16, first 2 shown]
	s_or_b32 exec_lo, exec_lo, s22
	s_mov_b32 s22, exec_lo
	v_cmpx_gt_u32_e64 s63, v100
	s_cbranch_execz .LBB297_727
.LBB297_930:                            ;   in Loop: Header=BB297_722 Depth=2
	global_load_ubyte v147, v[39:40], off offset:32
	s_or_b32 exec_lo, exec_lo, s22
	s_mov_b32 s22, exec_lo
	v_cmpx_gt_u32_e64 s63, v101
	s_cbranch_execz .LBB297_728
.LBB297_931:                            ;   in Loop: Header=BB297_722 Depth=2
	global_load_ubyte v148, v[39:40], off offset:64
	s_or_b32 exec_lo, exec_lo, s22
	s_mov_b32 s22, exec_lo
	v_cmpx_gt_u32_e64 s63, v102
	s_cbranch_execz .LBB297_729
.LBB297_932:                            ;   in Loop: Header=BB297_722 Depth=2
	global_load_ubyte v151, v[39:40], off offset:96
	s_or_b32 exec_lo, exec_lo, s22
	s_mov_b32 s22, exec_lo
	v_cmpx_gt_u32_e64 s63, v103
	s_cbranch_execz .LBB297_730
.LBB297_933:                            ;   in Loop: Header=BB297_722 Depth=2
	global_load_ubyte v150, v[39:40], off offset:128
	s_or_b32 exec_lo, exec_lo, s22
	s_mov_b32 s22, exec_lo
	v_cmpx_gt_u32_e64 s63, v104
	s_cbranch_execz .LBB297_731
.LBB297_934:                            ;   in Loop: Header=BB297_722 Depth=2
	global_load_ubyte v143, v[39:40], off offset:160
	s_or_b32 exec_lo, exec_lo, s22
	s_mov_b32 s22, exec_lo
	v_cmpx_gt_u32_e64 s63, v105
	s_cbranch_execz .LBB297_732
.LBB297_935:                            ;   in Loop: Header=BB297_722 Depth=2
	global_load_ubyte v144, v[39:40], off offset:192
	s_or_b32 exec_lo, exec_lo, s22
	s_mov_b32 s22, exec_lo
	v_cmpx_gt_u32_e64 s63, v106
	s_cbranch_execz .LBB297_733
.LBB297_936:                            ;   in Loop: Header=BB297_722 Depth=2
	global_load_ubyte v145, v[39:40], off offset:224
	s_or_b32 exec_lo, exec_lo, s22
	s_mov_b32 s22, exec_lo
	v_cmpx_gt_u32_e64 s63, v107
	s_cbranch_execz .LBB297_734
.LBB297_937:                            ;   in Loop: Header=BB297_722 Depth=2
	global_load_ubyte v142, v[39:40], off offset:256
	s_or_b32 exec_lo, exec_lo, s22
	s_mov_b32 s22, exec_lo
	v_cmpx_gt_u32_e64 s63, v108
	s_cbranch_execz .LBB297_735
.LBB297_938:                            ;   in Loop: Header=BB297_722 Depth=2
	global_load_ubyte v139, v[39:40], off offset:288
	s_or_b32 exec_lo, exec_lo, s22
	s_mov_b32 s22, exec_lo
	v_cmpx_gt_u32_e64 s63, v109
	s_cbranch_execz .LBB297_736
.LBB297_939:                            ;   in Loop: Header=BB297_722 Depth=2
	global_load_ubyte v140, v[39:40], off offset:320
	s_or_b32 exec_lo, exec_lo, s22
	s_mov_b32 s22, exec_lo
	v_cmpx_gt_u32_e64 s63, v110
	s_cbranch_execz .LBB297_737
.LBB297_940:                            ;   in Loop: Header=BB297_722 Depth=2
	global_load_ubyte v141, v[39:40], off offset:352
	s_or_b32 exec_lo, exec_lo, s22
	s_mov_b32 s22, exec_lo
	v_cmpx_gt_u32_e64 s63, v111
	s_cbranch_execz .LBB297_738
.LBB297_941:                            ;   in Loop: Header=BB297_722 Depth=2
	global_load_ubyte v137, v[39:40], off offset:384
	s_or_b32 exec_lo, exec_lo, s22
	s_mov_b32 s22, exec_lo
	v_cmpx_gt_u32_e64 s63, v112
	s_cbranch_execz .LBB297_739
.LBB297_942:                            ;   in Loop: Header=BB297_722 Depth=2
	global_load_ubyte v3, v[39:40], off offset:416
	s_or_b32 exec_lo, exec_lo, s22
	s_mov_b32 s22, exec_lo
	v_cmpx_gt_u32_e64 s63, v113
	s_cbranch_execz .LBB297_740
.LBB297_943:                            ;   in Loop: Header=BB297_722 Depth=2
	global_load_ubyte v41, v[39:40], off offset:448
	s_or_b32 exec_lo, exec_lo, s22
	s_mov_b32 s22, exec_lo
	v_cmpx_gt_u32_e64 s63, v114
	s_cbranch_execnz .LBB297_741
	s_branch .LBB297_742
.LBB297_944:                            ;   in Loop: Header=BB297_12 Depth=1
	s_waitcnt lgkmcnt(0)
	s_mov_b32 s5, 0
	s_barrier
.LBB297_945:                            ;   in Loop: Header=BB297_12 Depth=1
	s_and_b32 vcc_lo, exec_lo, s5
	s_cbranch_vccz .LBB297_11
; %bb.946:                              ;   in Loop: Header=BB297_12 Depth=1
	v_mov_b32_e32 v17, 0
	v_mov_b32_e32 v20, 0
	v_mov_b32_e32 v19, 0
	v_mov_b32_e32 v18, 0
	v_mov_b32_e32 v16, 0
	v_mov_b32_e32 v15, 0
	v_mov_b32_e32 v14, 0
	v_mov_b32_e32 v13, 0
	v_mov_b32_e32 v12, 0
	v_mov_b32_e32 v11, 0
	v_mov_b32_e32 v10, 0
	v_mov_b32_e32 v9, 0
	v_mov_b32_e32 v8, 0
	v_mov_b32_e32 v7, 0
	v_mov_b32_e32 v6, 0
	v_mov_b32_e32 v5, 0
	v_mov_b32_e32 v3, 0
	s_mov_b32 s5, s60
	s_mov_b32 s16, s58
	s_barrier
	buffer_gl0_inv
	s_branch .LBB297_948
.LBB297_947:                            ;   in Loop: Header=BB297_948 Depth=2
	s_or_b32 exec_lo, exec_lo, s15
	s_addk_i32 s5, 0xef00
	s_cmp_ge_u32 s14, s59
	s_mov_b32 s16, s14
	s_cbranch_scc1 .LBB297_1020
.LBB297_948:                            ;   Parent Loop BB297_12 Depth=1
                                        ; =>  This Inner Loop Header: Depth=2
	s_add_i32 s14, s16, 0x1100
	s_mov_b32 s15, -1
	s_cmp_gt_u32 s14, s59
                                        ; implicit-def: $vgpr21
                                        ; implicit-def: $vgpr22
                                        ; implicit-def: $vgpr23
                                        ; implicit-def: $vgpr24
                                        ; implicit-def: $vgpr25
                                        ; implicit-def: $vgpr26
                                        ; implicit-def: $vgpr27
                                        ; implicit-def: $vgpr28
                                        ; implicit-def: $vgpr29
                                        ; implicit-def: $vgpr30
                                        ; implicit-def: $vgpr31
                                        ; implicit-def: $vgpr32
                                        ; implicit-def: $vgpr33
                                        ; implicit-def: $vgpr34
                                        ; implicit-def: $vgpr35
                                        ; implicit-def: $vgpr36
                                        ; implicit-def: $vgpr37
	s_cbranch_scc1 .LBB297_950
; %bb.949:                              ;   in Loop: Header=BB297_948 Depth=2
	v_add_co_u32 v38, vcc_lo, v82, s16
	v_add_co_ci_u32_e64 v39, null, 0, v83, vcc_lo
	s_mov_b32 s15, 0
	v_add_co_u32 v21, vcc_lo, 0x800, v38
	v_add_co_ci_u32_e64 v22, null, 0, v39, vcc_lo
	v_add_co_u32 v23, vcc_lo, 0x1000, v38
	v_add_co_ci_u32_e64 v24, null, 0, v39, vcc_lo
	s_clause 0x10
	global_load_ubyte v36, v[21:22], off offset:1792
	global_load_ubyte v37, v[23:24], off
	global_load_ubyte v35, v[21:22], off offset:1536
	global_load_ubyte v34, v[21:22], off offset:1280
	;; [unrolled: 1-line block ×6, first 2 shown]
	global_load_ubyte v29, v[21:22], off
	global_load_ubyte v28, v[38:39], off offset:1792
	global_load_ubyte v27, v[38:39], off offset:1536
	global_load_ubyte v26, v[38:39], off offset:1280
	global_load_ubyte v25, v[38:39], off offset:1024
	global_load_ubyte v24, v[38:39], off offset:768
	global_load_ubyte v23, v[38:39], off offset:512
	global_load_ubyte v22, v[38:39], off offset:256
	global_load_ubyte v21, v[38:39], off
.LBB297_950:                            ;   in Loop: Header=BB297_948 Depth=2
	s_andn2_b32 vcc_lo, exec_lo, s15
	s_movk_i32 s15, 0x1100
	s_cbranch_vccnz .LBB297_970
; %bb.951:                              ;   in Loop: Header=BB297_948 Depth=2
	s_add_u32 s15, s44, s16
	s_addc_u32 s16, s45, 0
	s_mov_b32 s17, exec_lo
	v_cmpx_gt_u32_e64 s5, v0
	s_cbranch_execnz .LBB297_1004
; %bb.952:                              ;   in Loop: Header=BB297_948 Depth=2
	s_or_b32 exec_lo, exec_lo, s17
	s_mov_b32 s17, exec_lo
	v_cmpx_gt_u32_e64 s5, v44
	s_cbranch_execnz .LBB297_1005
.LBB297_953:                            ;   in Loop: Header=BB297_948 Depth=2
	s_or_b32 exec_lo, exec_lo, s17
	s_mov_b32 s17, exec_lo
	v_cmpx_gt_u32_e64 s5, v47
	s_cbranch_execnz .LBB297_1006
.LBB297_954:                            ;   in Loop: Header=BB297_948 Depth=2
	s_or_b32 exec_lo, exec_lo, s17
	s_mov_b32 s17, exec_lo
	v_cmpx_gt_u32_e64 s5, v48
	s_cbranch_execnz .LBB297_1007
.LBB297_955:                            ;   in Loop: Header=BB297_948 Depth=2
	s_or_b32 exec_lo, exec_lo, s17
	s_mov_b32 s17, exec_lo
	v_cmpx_gt_u32_e64 s5, v49
	s_cbranch_execnz .LBB297_1008
.LBB297_956:                            ;   in Loop: Header=BB297_948 Depth=2
	s_or_b32 exec_lo, exec_lo, s17
	s_mov_b32 s17, exec_lo
	v_cmpx_gt_u32_e64 s5, v50
	s_cbranch_execnz .LBB297_1009
.LBB297_957:                            ;   in Loop: Header=BB297_948 Depth=2
	s_or_b32 exec_lo, exec_lo, s17
	s_mov_b32 s17, exec_lo
	v_cmpx_gt_u32_e64 s5, v51
	s_cbranch_execnz .LBB297_1010
.LBB297_958:                            ;   in Loop: Header=BB297_948 Depth=2
	s_or_b32 exec_lo, exec_lo, s17
	s_mov_b32 s17, exec_lo
	v_cmpx_gt_u32_e64 s5, v52
	s_cbranch_execnz .LBB297_1011
.LBB297_959:                            ;   in Loop: Header=BB297_948 Depth=2
	s_or_b32 exec_lo, exec_lo, s17
	s_mov_b32 s17, exec_lo
	v_cmpx_gt_u32_e64 s5, v53
	s_cbranch_execnz .LBB297_1012
.LBB297_960:                            ;   in Loop: Header=BB297_948 Depth=2
	s_or_b32 exec_lo, exec_lo, s17
	s_mov_b32 s17, exec_lo
	v_cmpx_gt_u32_e64 s5, v54
	s_cbranch_execnz .LBB297_1013
.LBB297_961:                            ;   in Loop: Header=BB297_948 Depth=2
	s_or_b32 exec_lo, exec_lo, s17
	s_mov_b32 s17, exec_lo
	v_cmpx_gt_u32_e64 s5, v55
	s_cbranch_execnz .LBB297_1014
.LBB297_962:                            ;   in Loop: Header=BB297_948 Depth=2
	s_or_b32 exec_lo, exec_lo, s17
	s_mov_b32 s17, exec_lo
	v_cmpx_gt_u32_e64 s5, v56
	s_cbranch_execnz .LBB297_1015
.LBB297_963:                            ;   in Loop: Header=BB297_948 Depth=2
	s_or_b32 exec_lo, exec_lo, s17
	s_mov_b32 s17, exec_lo
	v_cmpx_gt_u32_e64 s5, v57
	s_cbranch_execnz .LBB297_1016
.LBB297_964:                            ;   in Loop: Header=BB297_948 Depth=2
	s_or_b32 exec_lo, exec_lo, s17
	s_mov_b32 s17, exec_lo
	v_cmpx_gt_u32_e64 s5, v58
	s_cbranch_execnz .LBB297_1017
.LBB297_965:                            ;   in Loop: Header=BB297_948 Depth=2
	s_or_b32 exec_lo, exec_lo, s17
	s_mov_b32 s17, exec_lo
	v_cmpx_gt_u32_e64 s5, v59
	s_cbranch_execnz .LBB297_1018
.LBB297_966:                            ;   in Loop: Header=BB297_948 Depth=2
	s_or_b32 exec_lo, exec_lo, s17
	s_mov_b32 s17, exec_lo
	v_cmpx_gt_u32_e64 s5, v60
	s_cbranch_execnz .LBB297_1019
.LBB297_967:                            ;   in Loop: Header=BB297_948 Depth=2
	s_or_b32 exec_lo, exec_lo, s17
	s_mov_b32 s17, exec_lo
	v_cmpx_gt_u32_e64 s5, v61
	s_cbranch_execz .LBB297_969
.LBB297_968:                            ;   in Loop: Header=BB297_948 Depth=2
	s_waitcnt vmcnt(0)
	v_add_co_u32 v21, s15, s15, v61
	v_add_co_ci_u32_e64 v22, null, s16, 0, s15
	global_load_ubyte v3, v[21:22], off
.LBB297_969:                            ;   in Loop: Header=BB297_948 Depth=2
	s_or_b32 exec_lo, exec_lo, s17
	s_waitcnt vmcnt(0)
	v_mov_b32_e32 v21, v17
	v_mov_b32_e32 v22, v20
	;; [unrolled: 1-line block ×17, first 2 shown]
	s_mov_b32 s15, s5
.LBB297_970:                            ;   in Loop: Header=BB297_948 Depth=2
	s_waitcnt vmcnt(15)
	v_mov_b32_e32 v3, v37
	v_mov_b32_e32 v5, v36
	s_waitcnt vmcnt(14)
	v_mov_b32_e32 v6, v35
	s_waitcnt vmcnt(13)
	;; [unrolled: 2-line block ×15, first 2 shown]
	v_mov_b32_e32 v17, v21
	s_mov_b32 s16, exec_lo
	v_cmpx_gt_u32_e64 s15, v0
	s_cbranch_execnz .LBB297_987
; %bb.971:                              ;   in Loop: Header=BB297_948 Depth=2
	s_or_b32 exec_lo, exec_lo, s16
	s_mov_b32 s16, exec_lo
	v_cmpx_gt_u32_e64 s15, v44
	s_cbranch_execnz .LBB297_988
.LBB297_972:                            ;   in Loop: Header=BB297_948 Depth=2
	s_or_b32 exec_lo, exec_lo, s16
	s_mov_b32 s16, exec_lo
	v_cmpx_gt_u32_e64 s15, v47
	s_cbranch_execnz .LBB297_989
.LBB297_973:                            ;   in Loop: Header=BB297_948 Depth=2
	s_or_b32 exec_lo, exec_lo, s16
	s_mov_b32 s16, exec_lo
	v_cmpx_gt_u32_e64 s15, v48
	s_cbranch_execnz .LBB297_990
.LBB297_974:                            ;   in Loop: Header=BB297_948 Depth=2
	s_or_b32 exec_lo, exec_lo, s16
	s_mov_b32 s16, exec_lo
	v_cmpx_gt_u32_e64 s15, v49
	s_cbranch_execnz .LBB297_991
.LBB297_975:                            ;   in Loop: Header=BB297_948 Depth=2
	s_or_b32 exec_lo, exec_lo, s16
	s_mov_b32 s16, exec_lo
	v_cmpx_gt_u32_e64 s15, v50
	s_cbranch_execnz .LBB297_992
.LBB297_976:                            ;   in Loop: Header=BB297_948 Depth=2
	s_or_b32 exec_lo, exec_lo, s16
	s_mov_b32 s16, exec_lo
	v_cmpx_gt_u32_e64 s15, v51
	s_cbranch_execnz .LBB297_993
.LBB297_977:                            ;   in Loop: Header=BB297_948 Depth=2
	s_or_b32 exec_lo, exec_lo, s16
	s_mov_b32 s16, exec_lo
	v_cmpx_gt_u32_e64 s15, v52
	s_cbranch_execnz .LBB297_994
.LBB297_978:                            ;   in Loop: Header=BB297_948 Depth=2
	s_or_b32 exec_lo, exec_lo, s16
	s_mov_b32 s16, exec_lo
	v_cmpx_gt_u32_e64 s15, v53
	s_cbranch_execnz .LBB297_995
.LBB297_979:                            ;   in Loop: Header=BB297_948 Depth=2
	s_or_b32 exec_lo, exec_lo, s16
	s_mov_b32 s16, exec_lo
	v_cmpx_gt_u32_e64 s15, v54
	s_cbranch_execnz .LBB297_996
.LBB297_980:                            ;   in Loop: Header=BB297_948 Depth=2
	s_or_b32 exec_lo, exec_lo, s16
	s_mov_b32 s16, exec_lo
	v_cmpx_gt_u32_e64 s15, v55
	s_cbranch_execnz .LBB297_997
.LBB297_981:                            ;   in Loop: Header=BB297_948 Depth=2
	s_or_b32 exec_lo, exec_lo, s16
	s_mov_b32 s16, exec_lo
	v_cmpx_gt_u32_e64 s15, v56
	s_cbranch_execnz .LBB297_998
.LBB297_982:                            ;   in Loop: Header=BB297_948 Depth=2
	s_or_b32 exec_lo, exec_lo, s16
	s_mov_b32 s16, exec_lo
	v_cmpx_gt_u32_e64 s15, v57
	s_cbranch_execnz .LBB297_999
.LBB297_983:                            ;   in Loop: Header=BB297_948 Depth=2
	s_or_b32 exec_lo, exec_lo, s16
	s_mov_b32 s16, exec_lo
	v_cmpx_gt_u32_e64 s15, v58
	s_cbranch_execnz .LBB297_1000
.LBB297_984:                            ;   in Loop: Header=BB297_948 Depth=2
	s_or_b32 exec_lo, exec_lo, s16
	s_mov_b32 s16, exec_lo
	v_cmpx_gt_u32_e64 s15, v59
	s_cbranch_execnz .LBB297_1001
.LBB297_985:                            ;   in Loop: Header=BB297_948 Depth=2
	s_or_b32 exec_lo, exec_lo, s16
	s_mov_b32 s16, exec_lo
	v_cmpx_gt_u32_e64 s15, v60
	s_cbranch_execnz .LBB297_1002
.LBB297_986:                            ;   in Loop: Header=BB297_948 Depth=2
	s_or_b32 exec_lo, exec_lo, s16
	v_cmp_gt_u32_e32 vcc_lo, s15, v61
	s_and_saveexec_b32 s15, vcc_lo
	s_cbranch_execz .LBB297_947
	s_branch .LBB297_1003
.LBB297_987:                            ;   in Loop: Header=BB297_948 Depth=2
	v_xor_b32_e32 v21, 0x7f, v17
	v_lshrrev_b32_sdwa v21, s41, v21 dst_sel:DWORD dst_unused:UNUSED_PAD src0_sel:DWORD src1_sel:BYTE_0
	v_and_b32_e32 v21, s62, v21
	v_lshl_or_b32 v21, v21, 4, v63
	ds_add_u32 v21, v89
	s_or_b32 exec_lo, exec_lo, s16
	s_mov_b32 s16, exec_lo
	v_cmpx_gt_u32_e64 s15, v44
	s_cbranch_execz .LBB297_972
.LBB297_988:                            ;   in Loop: Header=BB297_948 Depth=2
	v_xor_b32_e32 v21, 0x7f, v20
	v_lshrrev_b32_sdwa v21, s41, v21 dst_sel:DWORD dst_unused:UNUSED_PAD src0_sel:DWORD src1_sel:BYTE_0
	v_and_b32_e32 v21, s62, v21
	v_lshl_or_b32 v21, v21, 4, v63
	ds_add_u32 v21, v89
	s_or_b32 exec_lo, exec_lo, s16
	s_mov_b32 s16, exec_lo
	v_cmpx_gt_u32_e64 s15, v47
	s_cbranch_execz .LBB297_973
.LBB297_989:                            ;   in Loop: Header=BB297_948 Depth=2
	v_xor_b32_e32 v21, 0x7f, v19
	v_lshrrev_b32_sdwa v21, s41, v21 dst_sel:DWORD dst_unused:UNUSED_PAD src0_sel:DWORD src1_sel:BYTE_0
	v_and_b32_e32 v21, s62, v21
	v_lshl_or_b32 v21, v21, 4, v63
	ds_add_u32 v21, v89
	s_or_b32 exec_lo, exec_lo, s16
	s_mov_b32 s16, exec_lo
	v_cmpx_gt_u32_e64 s15, v48
	s_cbranch_execz .LBB297_974
.LBB297_990:                            ;   in Loop: Header=BB297_948 Depth=2
	v_xor_b32_e32 v21, 0x7f, v18
	v_lshrrev_b32_sdwa v21, s41, v21 dst_sel:DWORD dst_unused:UNUSED_PAD src0_sel:DWORD src1_sel:BYTE_0
	v_and_b32_e32 v21, s62, v21
	v_lshl_or_b32 v21, v21, 4, v63
	ds_add_u32 v21, v89
	s_or_b32 exec_lo, exec_lo, s16
	s_mov_b32 s16, exec_lo
	v_cmpx_gt_u32_e64 s15, v49
	s_cbranch_execz .LBB297_975
.LBB297_991:                            ;   in Loop: Header=BB297_948 Depth=2
	v_xor_b32_e32 v21, 0x7f, v16
	v_lshrrev_b32_sdwa v21, s41, v21 dst_sel:DWORD dst_unused:UNUSED_PAD src0_sel:DWORD src1_sel:BYTE_0
	v_and_b32_e32 v21, s62, v21
	v_lshl_or_b32 v21, v21, 4, v63
	ds_add_u32 v21, v89
	s_or_b32 exec_lo, exec_lo, s16
	s_mov_b32 s16, exec_lo
	v_cmpx_gt_u32_e64 s15, v50
	s_cbranch_execz .LBB297_976
.LBB297_992:                            ;   in Loop: Header=BB297_948 Depth=2
	v_xor_b32_e32 v21, 0x7f, v15
	v_lshrrev_b32_sdwa v21, s41, v21 dst_sel:DWORD dst_unused:UNUSED_PAD src0_sel:DWORD src1_sel:BYTE_0
	v_and_b32_e32 v21, s62, v21
	v_lshl_or_b32 v21, v21, 4, v63
	ds_add_u32 v21, v89
	s_or_b32 exec_lo, exec_lo, s16
	s_mov_b32 s16, exec_lo
	v_cmpx_gt_u32_e64 s15, v51
	s_cbranch_execz .LBB297_977
.LBB297_993:                            ;   in Loop: Header=BB297_948 Depth=2
	v_xor_b32_e32 v21, 0x7f, v14
	v_lshrrev_b32_sdwa v21, s41, v21 dst_sel:DWORD dst_unused:UNUSED_PAD src0_sel:DWORD src1_sel:BYTE_0
	v_and_b32_e32 v21, s62, v21
	v_lshl_or_b32 v21, v21, 4, v63
	ds_add_u32 v21, v89
	s_or_b32 exec_lo, exec_lo, s16
	s_mov_b32 s16, exec_lo
	v_cmpx_gt_u32_e64 s15, v52
	s_cbranch_execz .LBB297_978
.LBB297_994:                            ;   in Loop: Header=BB297_948 Depth=2
	v_xor_b32_e32 v21, 0x7f, v13
	v_lshrrev_b32_sdwa v21, s41, v21 dst_sel:DWORD dst_unused:UNUSED_PAD src0_sel:DWORD src1_sel:BYTE_0
	v_and_b32_e32 v21, s62, v21
	v_lshl_or_b32 v21, v21, 4, v63
	ds_add_u32 v21, v89
	s_or_b32 exec_lo, exec_lo, s16
	s_mov_b32 s16, exec_lo
	v_cmpx_gt_u32_e64 s15, v53
	s_cbranch_execz .LBB297_979
.LBB297_995:                            ;   in Loop: Header=BB297_948 Depth=2
	v_xor_b32_e32 v21, 0x7f, v12
	v_lshrrev_b32_sdwa v21, s41, v21 dst_sel:DWORD dst_unused:UNUSED_PAD src0_sel:DWORD src1_sel:BYTE_0
	v_and_b32_e32 v21, s62, v21
	v_lshl_or_b32 v21, v21, 4, v63
	ds_add_u32 v21, v89
	s_or_b32 exec_lo, exec_lo, s16
	s_mov_b32 s16, exec_lo
	v_cmpx_gt_u32_e64 s15, v54
	s_cbranch_execz .LBB297_980
.LBB297_996:                            ;   in Loop: Header=BB297_948 Depth=2
	v_xor_b32_e32 v21, 0x7f, v11
	v_lshrrev_b32_sdwa v21, s41, v21 dst_sel:DWORD dst_unused:UNUSED_PAD src0_sel:DWORD src1_sel:BYTE_0
	v_and_b32_e32 v21, s62, v21
	v_lshl_or_b32 v21, v21, 4, v63
	ds_add_u32 v21, v89
	s_or_b32 exec_lo, exec_lo, s16
	s_mov_b32 s16, exec_lo
	v_cmpx_gt_u32_e64 s15, v55
	s_cbranch_execz .LBB297_981
.LBB297_997:                            ;   in Loop: Header=BB297_948 Depth=2
	v_xor_b32_e32 v21, 0x7f, v10
	v_lshrrev_b32_sdwa v21, s41, v21 dst_sel:DWORD dst_unused:UNUSED_PAD src0_sel:DWORD src1_sel:BYTE_0
	v_and_b32_e32 v21, s62, v21
	v_lshl_or_b32 v21, v21, 4, v63
	ds_add_u32 v21, v89
	s_or_b32 exec_lo, exec_lo, s16
	s_mov_b32 s16, exec_lo
	v_cmpx_gt_u32_e64 s15, v56
	s_cbranch_execz .LBB297_982
.LBB297_998:                            ;   in Loop: Header=BB297_948 Depth=2
	v_xor_b32_e32 v21, 0x7f, v9
	v_lshrrev_b32_sdwa v21, s41, v21 dst_sel:DWORD dst_unused:UNUSED_PAD src0_sel:DWORD src1_sel:BYTE_0
	v_and_b32_e32 v21, s62, v21
	v_lshl_or_b32 v21, v21, 4, v63
	ds_add_u32 v21, v89
	s_or_b32 exec_lo, exec_lo, s16
	s_mov_b32 s16, exec_lo
	v_cmpx_gt_u32_e64 s15, v57
	s_cbranch_execz .LBB297_983
.LBB297_999:                            ;   in Loop: Header=BB297_948 Depth=2
	v_xor_b32_e32 v21, 0x7f, v8
	v_lshrrev_b32_sdwa v21, s41, v21 dst_sel:DWORD dst_unused:UNUSED_PAD src0_sel:DWORD src1_sel:BYTE_0
	v_and_b32_e32 v21, s62, v21
	v_lshl_or_b32 v21, v21, 4, v63
	ds_add_u32 v21, v89
	s_or_b32 exec_lo, exec_lo, s16
	s_mov_b32 s16, exec_lo
	v_cmpx_gt_u32_e64 s15, v58
	s_cbranch_execz .LBB297_984
.LBB297_1000:                           ;   in Loop: Header=BB297_948 Depth=2
	v_xor_b32_e32 v21, 0x7f, v7
	v_lshrrev_b32_sdwa v21, s41, v21 dst_sel:DWORD dst_unused:UNUSED_PAD src0_sel:DWORD src1_sel:BYTE_0
	v_and_b32_e32 v21, s62, v21
	v_lshl_or_b32 v21, v21, 4, v63
	ds_add_u32 v21, v89
	s_or_b32 exec_lo, exec_lo, s16
	s_mov_b32 s16, exec_lo
	v_cmpx_gt_u32_e64 s15, v59
	s_cbranch_execz .LBB297_985
.LBB297_1001:                           ;   in Loop: Header=BB297_948 Depth=2
	v_xor_b32_e32 v21, 0x7f, v6
	v_lshrrev_b32_sdwa v21, s41, v21 dst_sel:DWORD dst_unused:UNUSED_PAD src0_sel:DWORD src1_sel:BYTE_0
	v_and_b32_e32 v21, s62, v21
	v_lshl_or_b32 v21, v21, 4, v63
	ds_add_u32 v21, v89
	s_or_b32 exec_lo, exec_lo, s16
	s_mov_b32 s16, exec_lo
	v_cmpx_gt_u32_e64 s15, v60
	s_cbranch_execz .LBB297_986
.LBB297_1002:                           ;   in Loop: Header=BB297_948 Depth=2
	v_xor_b32_e32 v21, 0x7f, v5
	v_lshrrev_b32_sdwa v21, s41, v21 dst_sel:DWORD dst_unused:UNUSED_PAD src0_sel:DWORD src1_sel:BYTE_0
	v_and_b32_e32 v21, s62, v21
	v_lshl_or_b32 v21, v21, 4, v63
	ds_add_u32 v21, v89
	s_or_b32 exec_lo, exec_lo, s16
	v_cmp_gt_u32_e32 vcc_lo, s15, v61
	s_and_saveexec_b32 s15, vcc_lo
	s_cbranch_execz .LBB297_947
.LBB297_1003:                           ;   in Loop: Header=BB297_948 Depth=2
	v_xor_b32_e32 v21, 0x7f, v3
	v_lshrrev_b32_sdwa v21, s41, v21 dst_sel:DWORD dst_unused:UNUSED_PAD src0_sel:DWORD src1_sel:BYTE_0
	v_and_b32_e32 v21, s62, v21
	v_lshl_or_b32 v21, v21, 4, v63
	ds_add_u32 v21, v89
	s_branch .LBB297_947
.LBB297_1004:                           ;   in Loop: Header=BB297_948 Depth=2
	s_waitcnt vmcnt(0)
	v_add_co_u32 v21, s18, s15, v0
	v_add_co_ci_u32_e64 v22, null, s16, 0, s18
	global_load_ubyte v17, v[21:22], off
	s_or_b32 exec_lo, exec_lo, s17
	s_mov_b32 s17, exec_lo
	v_cmpx_gt_u32_e64 s5, v44
	s_cbranch_execz .LBB297_953
.LBB297_1005:                           ;   in Loop: Header=BB297_948 Depth=2
	v_add_co_u32 v20, s18, s15, v0
	s_waitcnt vmcnt(0)
	v_add_co_ci_u32_e64 v21, null, s16, 0, s18
	global_load_ubyte v20, v[20:21], off offset:256
	s_or_b32 exec_lo, exec_lo, s17
	s_mov_b32 s17, exec_lo
	v_cmpx_gt_u32_e64 s5, v47
	s_cbranch_execz .LBB297_954
.LBB297_1006:                           ;   in Loop: Header=BB297_948 Depth=2
	s_waitcnt vmcnt(0)
	v_add_co_u32 v21, s18, s15, v0
	v_add_co_ci_u32_e64 v22, null, s16, 0, s18
	global_load_ubyte v19, v[21:22], off offset:512
	s_or_b32 exec_lo, exec_lo, s17
	s_mov_b32 s17, exec_lo
	v_cmpx_gt_u32_e64 s5, v48
	s_cbranch_execz .LBB297_955
.LBB297_1007:                           ;   in Loop: Header=BB297_948 Depth=2
	s_waitcnt vmcnt(0)
	v_add_co_u32 v21, s18, s15, v0
	v_add_co_ci_u32_e64 v22, null, s16, 0, s18
	global_load_ubyte v18, v[21:22], off offset:768
	s_or_b32 exec_lo, exec_lo, s17
	s_mov_b32 s17, exec_lo
	v_cmpx_gt_u32_e64 s5, v49
	s_cbranch_execz .LBB297_956
.LBB297_1008:                           ;   in Loop: Header=BB297_948 Depth=2
	s_waitcnt vmcnt(0)
	v_add_co_u32 v21, s18, s15, v0
	v_add_co_ci_u32_e64 v22, null, s16, 0, s18
	global_load_ubyte v16, v[21:22], off offset:1024
	s_or_b32 exec_lo, exec_lo, s17
	s_mov_b32 s17, exec_lo
	v_cmpx_gt_u32_e64 s5, v50
	s_cbranch_execz .LBB297_957
.LBB297_1009:                           ;   in Loop: Header=BB297_948 Depth=2
	s_waitcnt vmcnt(0)
	v_add_co_u32 v21, s18, s15, v0
	v_add_co_ci_u32_e64 v22, null, s16, 0, s18
	global_load_ubyte v15, v[21:22], off offset:1280
	s_or_b32 exec_lo, exec_lo, s17
	s_mov_b32 s17, exec_lo
	v_cmpx_gt_u32_e64 s5, v51
	s_cbranch_execz .LBB297_958
.LBB297_1010:                           ;   in Loop: Header=BB297_948 Depth=2
	s_waitcnt vmcnt(0)
	v_add_co_u32 v21, s18, s15, v0
	v_add_co_ci_u32_e64 v22, null, s16, 0, s18
	global_load_ubyte v14, v[21:22], off offset:1536
	s_or_b32 exec_lo, exec_lo, s17
	s_mov_b32 s17, exec_lo
	v_cmpx_gt_u32_e64 s5, v52
	s_cbranch_execz .LBB297_959
.LBB297_1011:                           ;   in Loop: Header=BB297_948 Depth=2
	s_waitcnt vmcnt(0)
	v_add_co_u32 v21, s18, s15, v0
	v_add_co_ci_u32_e64 v22, null, s16, 0, s18
	global_load_ubyte v13, v[21:22], off offset:1792
	s_or_b32 exec_lo, exec_lo, s17
	s_mov_b32 s17, exec_lo
	v_cmpx_gt_u32_e64 s5, v53
	s_cbranch_execz .LBB297_960
.LBB297_1012:                           ;   in Loop: Header=BB297_948 Depth=2
	s_waitcnt vmcnt(0)
	v_add_co_u32 v21, s18, s15, v53
	v_add_co_ci_u32_e64 v22, null, s16, 0, s18
	global_load_ubyte v12, v[21:22], off
	s_or_b32 exec_lo, exec_lo, s17
	s_mov_b32 s17, exec_lo
	v_cmpx_gt_u32_e64 s5, v54
	s_cbranch_execz .LBB297_961
.LBB297_1013:                           ;   in Loop: Header=BB297_948 Depth=2
	s_waitcnt vmcnt(0)
	v_add_co_u32 v21, s18, s15, v54
	v_add_co_ci_u32_e64 v22, null, s16, 0, s18
	global_load_ubyte v11, v[21:22], off
	s_or_b32 exec_lo, exec_lo, s17
	s_mov_b32 s17, exec_lo
	v_cmpx_gt_u32_e64 s5, v55
	s_cbranch_execz .LBB297_962
.LBB297_1014:                           ;   in Loop: Header=BB297_948 Depth=2
	s_waitcnt vmcnt(0)
	v_add_co_u32 v21, s18, s15, v55
	v_add_co_ci_u32_e64 v22, null, s16, 0, s18
	global_load_ubyte v10, v[21:22], off
	s_or_b32 exec_lo, exec_lo, s17
	s_mov_b32 s17, exec_lo
	v_cmpx_gt_u32_e64 s5, v56
	s_cbranch_execz .LBB297_963
.LBB297_1015:                           ;   in Loop: Header=BB297_948 Depth=2
	s_waitcnt vmcnt(0)
	v_add_co_u32 v21, s18, s15, v56
	v_add_co_ci_u32_e64 v22, null, s16, 0, s18
	global_load_ubyte v9, v[21:22], off
	s_or_b32 exec_lo, exec_lo, s17
	s_mov_b32 s17, exec_lo
	v_cmpx_gt_u32_e64 s5, v57
	s_cbranch_execz .LBB297_964
.LBB297_1016:                           ;   in Loop: Header=BB297_948 Depth=2
	s_waitcnt vmcnt(0)
	v_add_co_u32 v21, s18, s15, v57
	v_add_co_ci_u32_e64 v22, null, s16, 0, s18
	global_load_ubyte v8, v[21:22], off
	s_or_b32 exec_lo, exec_lo, s17
	s_mov_b32 s17, exec_lo
	v_cmpx_gt_u32_e64 s5, v58
	s_cbranch_execz .LBB297_965
.LBB297_1017:                           ;   in Loop: Header=BB297_948 Depth=2
	s_waitcnt vmcnt(0)
	v_add_co_u32 v21, s18, s15, v58
	v_add_co_ci_u32_e64 v22, null, s16, 0, s18
	global_load_ubyte v7, v[21:22], off
	s_or_b32 exec_lo, exec_lo, s17
	s_mov_b32 s17, exec_lo
	v_cmpx_gt_u32_e64 s5, v59
	s_cbranch_execz .LBB297_966
.LBB297_1018:                           ;   in Loop: Header=BB297_948 Depth=2
	s_waitcnt vmcnt(0)
	v_add_co_u32 v21, s18, s15, v59
	v_add_co_ci_u32_e64 v22, null, s16, 0, s18
	global_load_ubyte v6, v[21:22], off
	s_or_b32 exec_lo, exec_lo, s17
	s_mov_b32 s17, exec_lo
	v_cmpx_gt_u32_e64 s5, v60
	s_cbranch_execz .LBB297_967
.LBB297_1019:                           ;   in Loop: Header=BB297_948 Depth=2
	s_waitcnt vmcnt(0)
	v_add_co_u32 v21, s18, s15, v60
	v_add_co_ci_u32_e64 v22, null, s16, 0, s18
	global_load_ubyte v5, v[21:22], off
	s_or_b32 exec_lo, exec_lo, s17
	s_mov_b32 s17, exec_lo
	v_cmpx_gt_u32_e64 s5, v61
	s_cbranch_execnz .LBB297_968
	s_branch .LBB297_969
.LBB297_1020:                           ;   in Loop: Header=BB297_12 Depth=1
	v_mov_b32_e32 v3, 0
	s_waitcnt lgkmcnt(0)
	s_barrier
	buffer_gl0_inv
	s_and_saveexec_b32 s5, s7
	s_cbranch_execz .LBB297_1022
; %bb.1021:                             ;   in Loop: Header=BB297_12 Depth=1
	ds_read2_b64 v[5:8], v64 offset1:1
	s_waitcnt lgkmcnt(0)
	v_add_nc_u32_e32 v3, v6, v5
	v_add3_u32 v3, v3, v7, v8
.LBB297_1022:                           ;   in Loop: Header=BB297_12 Depth=1
	s_or_b32 exec_lo, exec_lo, s5
	v_and_b32_e32 v5, 15, v86
	v_mov_b32_dpp v6, v3 row_shr:1 row_mask:0xf bank_mask:0xf
	v_and_b32_e32 v7, 16, v86
	v_cmp_eq_u32_e64 s5, 0, v5
	v_cmp_lt_u32_e64 s14, 1, v5
	v_cmp_lt_u32_e64 s15, 3, v5
	;; [unrolled: 1-line block ×3, first 2 shown]
	v_cmp_eq_u32_e64 s17, 0, v7
	v_cndmask_b32_e64 v6, v6, 0, s5
	v_add_nc_u32_e32 v3, v6, v3
	v_mov_b32_dpp v6, v3 row_shr:2 row_mask:0xf bank_mask:0xf
	v_cndmask_b32_e64 v6, 0, v6, s14
	v_add_nc_u32_e32 v3, v3, v6
	v_mov_b32_dpp v6, v3 row_shr:4 row_mask:0xf bank_mask:0xf
	;; [unrolled: 3-line block ×3, first 2 shown]
	v_cndmask_b32_e64 v5, 0, v6, s16
	v_bfe_i32 v6, v86, 4, 1
	v_add_nc_u32_e32 v3, v3, v5
	ds_swizzle_b32 v5, v3 offset:swizzle(BROADCAST,32,15)
	s_waitcnt lgkmcnt(0)
	v_and_b32_e32 v5, v6, v5
	v_add_nc_u32_e32 v3, v3, v5
	s_and_saveexec_b32 s18, s8
; %bb.1023:                             ;   in Loop: Header=BB297_12 Depth=1
	ds_write_b32 v65, v3
; %bb.1024:                             ;   in Loop: Header=BB297_12 Depth=1
	s_or_b32 exec_lo, exec_lo, s18
	s_waitcnt lgkmcnt(0)
	s_barrier
	buffer_gl0_inv
	s_and_saveexec_b32 s18, s9
	s_cbranch_execz .LBB297_1026
; %bb.1025:                             ;   in Loop: Header=BB297_12 Depth=1
	ds_read_b32 v5, v66
	v_and_b32_e32 v6, 3, v86
	v_cmp_ne_u32_e32 vcc_lo, 0, v6
	s_waitcnt lgkmcnt(0)
	v_mov_b32_dpp v7, v5 row_shr:1 row_mask:0xf bank_mask:0xf
	v_cndmask_b32_e32 v7, 0, v7, vcc_lo
	v_cmp_lt_u32_e32 vcc_lo, 1, v6
	v_add_nc_u32_e32 v5, v7, v5
	v_mov_b32_dpp v7, v5 row_shr:2 row_mask:0xf bank_mask:0xf
	v_cndmask_b32_e32 v6, 0, v7, vcc_lo
	v_add_nc_u32_e32 v5, v5, v6
	ds_write_b32 v66, v5
.LBB297_1026:                           ;   in Loop: Header=BB297_12 Depth=1
	s_or_b32 exec_lo, exec_lo, s18
	v_mov_b32_e32 v5, 0
	s_waitcnt lgkmcnt(0)
	s_barrier
	buffer_gl0_inv
	s_and_saveexec_b32 s18, s10
; %bb.1027:                             ;   in Loop: Header=BB297_12 Depth=1
	ds_read_b32 v5, v67
; %bb.1028:                             ;   in Loop: Header=BB297_12 Depth=1
	s_or_b32 exec_lo, exec_lo, s18
	v_sub_co_u32 v6, s18, v86, 1
	s_waitcnt lgkmcnt(0)
	v_add_nc_u32_e32 v3, v5, v3
	s_barrier
	v_cmp_gt_i32_e32 vcc_lo, 0, v6
	buffer_gl0_inv
	v_cndmask_b32_e32 v6, v6, v86, vcc_lo
	v_lshlrev_b32_e32 v94, 2, v6
	ds_bpermute_b32 v3, v94, v3
	s_and_saveexec_b32 s19, s7
	s_cbranch_execz .LBB297_1030
; %bb.1029:                             ;   in Loop: Header=BB297_12 Depth=1
	s_waitcnt lgkmcnt(0)
	v_cndmask_b32_e64 v3, v3, v5, s18
	v_add_nc_u32_e32 v3, s58, v3
	ds_write_b32 v43, v3
.LBB297_1030:                           ;   in Loop: Header=BB297_12 Depth=1
	s_or_b32 exec_lo, exec_lo, s19
	s_load_dwordx2 s[20:21], s[56:57], 0x0
	v_and_b32_e32 v6, 7, v86
	v_lshlrev_b32_e32 v7, 3, v86
	v_or_b32_e32 v95, v86, v68
	v_add_co_u32 v96, vcc_lo, v87, v86
	v_add_co_ci_u32_e64 v97, null, 0, v88, vcc_lo
	v_add_co_u32 v98, vcc_lo, v84, v7
	v_add_co_ci_u32_e64 v99, null, 0, v85, vcc_lo
	v_add_nc_u32_e32 v100, 32, v95
	v_add_nc_u32_e32 v101, 64, v95
	;; [unrolled: 1-line block ×8, first 2 shown]
	s_waitcnt lgkmcnt(0)
	s_cmp_lt_u32 s28, s21
	v_add_nc_u32_e32 v108, 0x120, v95
	s_cselect_b32 s19, 14, 20
	v_add_nc_u32_e32 v109, 0x140, v95
	s_add_u32 s22, s56, s19
	s_addc_u32 s23, s57, 0
	s_cmp_lt_u32 s6, s20
	global_load_ushort v3, v4, s[22:23]
	s_cselect_b32 s19, 12, 18
	v_add_nc_u32_e32 v110, 0x160, v95
	s_add_u32 s20, s56, s19
	s_addc_u32 s21, s57, 0
	v_cmp_eq_u32_e64 s19, 0, v6
	global_load_ushort v5, v4, s[20:21]
	v_cmp_lt_u32_e64 s20, 1, v6
	v_cmp_lt_u32_e64 s21, 3, v6
	v_add_nc_u32_e32 v111, 0x180, v95
	v_add_nc_u32_e32 v112, 0x1a0, v95
	;; [unrolled: 1-line block ×5, first 2 shown]
	v_mov_b32_e32 v117, 0
	s_mov_b32 s63, s60
	s_mov_b32 s50, s58
                                        ; implicit-def: $vgpr7_vgpr8
                                        ; implicit-def: $vgpr9_vgpr10
                                        ; implicit-def: $vgpr11_vgpr12
                                        ; implicit-def: $vgpr13_vgpr14
                                        ; implicit-def: $vgpr15_vgpr16
                                        ; implicit-def: $vgpr19_vgpr20
                                        ; implicit-def: $vgpr23_vgpr24
                                        ; implicit-def: $vgpr27_vgpr28
                                        ; implicit-def: $vgpr17_vgpr18
                                        ; implicit-def: $vgpr21_vgpr22
                                        ; implicit-def: $vgpr25_vgpr26
                                        ; implicit-def: $vgpr29_vgpr30
                                        ; implicit-def: $vgpr31_vgpr32
                                        ; implicit-def: $vgpr33_vgpr34
                                        ; implicit-def: $vgpr35_vgpr36
                                        ; implicit-def: $vgpr37_vgpr38
                                        ; implicit-def: $vgpr118
                                        ; implicit-def: $vgpr119
                                        ; implicit-def: $vgpr120
                                        ; implicit-def: $vgpr121
                                        ; implicit-def: $vgpr122
                                        ; implicit-def: $vgpr123
                                        ; implicit-def: $vgpr124
                                        ; implicit-def: $vgpr125
                                        ; implicit-def: $vgpr126
                                        ; implicit-def: $vgpr127
                                        ; implicit-def: $vgpr128
                                        ; implicit-def: $vgpr129
                                        ; implicit-def: $vgpr130
                                        ; implicit-def: $vgpr131
                                        ; implicit-def: $vgpr132
                                        ; implicit-def: $vgpr133
                                        ; implicit-def: $vgpr134
                                        ; implicit-def: $vgpr135
                                        ; implicit-def: $vgpr136
	s_waitcnt vmcnt(1)
	v_mad_u32_u24 v3, v2, v3, v1
	s_waitcnt vmcnt(0)
	v_mad_u64_u32 v[5:6], null, v3, v5, v[0:1]
	v_lshrrev_b32_e32 v3, 3, v5
                                        ; implicit-def: $vgpr5_vgpr6
	v_and_b32_e32 v116, 0x1ffffffc, v3
	s_branch .LBB297_1032
.LBB297_1031:                           ;   in Loop: Header=BB297_1032 Depth=2
	s_or_b32 exec_lo, exec_lo, s22
	s_addk_i32 s63, 0xef00
	s_cmp_lt_u32 s64, s59
	s_mov_b32 s50, s64
	s_cbranch_scc0 .LBB297_10
.LBB297_1032:                           ;   Parent Loop BB297_12 Depth=1
                                        ; =>  This Inner Loop Header: Depth=2
	s_add_i32 s64, s50, 0x1100
	s_cmp_gt_u32 s64, s59
	s_cbranch_scc1 .LBB297_1034
; %bb.1033:                             ;   in Loop: Header=BB297_1032 Depth=2
	v_add_co_u32 v39, vcc_lo, v96, s50
	v_add_co_ci_u32_e64 v40, null, 0, v97, vcc_lo
	s_mov_b32 s22, -1
	s_clause 0xf
	global_load_ubyte v42, v[39:40], off offset:480
	global_load_ubyte v41, v[39:40], off offset:448
	;; [unrolled: 1-line block ×15, first 2 shown]
	global_load_ubyte v146, v[39:40], off
	s_movk_i32 s23, 0x1100
	s_cbranch_execz .LBB297_1035
	s_branch .LBB297_1053
.LBB297_1034:                           ;   in Loop: Header=BB297_1032 Depth=2
	s_mov_b32 s22, 0
                                        ; implicit-def: $vgpr146
                                        ; implicit-def: $vgpr147
                                        ; implicit-def: $vgpr148
                                        ; implicit-def: $vgpr151
                                        ; implicit-def: $vgpr150
                                        ; implicit-def: $vgpr143
                                        ; implicit-def: $vgpr144
                                        ; implicit-def: $vgpr145
                                        ; implicit-def: $vgpr142
                                        ; implicit-def: $vgpr139
                                        ; implicit-def: $vgpr140
                                        ; implicit-def: $vgpr141
                                        ; implicit-def: $vgpr137
                                        ; implicit-def: $vgpr3
                                        ; implicit-def: $vgpr41
                                        ; implicit-def: $vgpr42
                                        ; implicit-def: $vgpr117
	s_movk_i32 s23, 0x1100
.LBB297_1035:                           ;   in Loop: Header=BB297_1032 Depth=2
	v_add_co_u32 v39, vcc_lo, v96, s50
	v_add_co_ci_u32_e64 v40, null, 0, v97, vcc_lo
	v_mov_b32_e32 v117, 0x80
	s_waitcnt vmcnt(0)
	v_mov_b32_e32 v146, 0x80
	v_mov_b32_e32 v147, 0x80
	v_mov_b32_e32 v148, 0x80
	v_mov_b32_e32 v151, 0x80
	v_mov_b32_e32 v150, 0x80
	v_mov_b32_e32 v143, 0x80
	v_mov_b32_e32 v144, 0x80
	v_mov_b32_e32 v145, 0x80
	v_mov_b32_e32 v142, 0x80
	v_mov_b32_e32 v139, 0x80
	v_mov_b32_e32 v140, 0x80
	v_mov_b32_e32 v141, 0x80
	v_mov_b32_e32 v137, 0x80
	v_mov_b32_e32 v3, 0x80
	v_mov_b32_e32 v41, 0x80
	v_mov_b32_e32 v42, 0x80
	s_mov_b32 s22, exec_lo
	v_cmpx_gt_u32_e64 s63, v95
	s_cbranch_execnz .LBB297_1239
; %bb.1036:                             ;   in Loop: Header=BB297_1032 Depth=2
	s_or_b32 exec_lo, exec_lo, s22
	s_mov_b32 s22, exec_lo
	v_cmpx_gt_u32_e64 s63, v100
	s_cbranch_execnz .LBB297_1240
.LBB297_1037:                           ;   in Loop: Header=BB297_1032 Depth=2
	s_or_b32 exec_lo, exec_lo, s22
	s_mov_b32 s22, exec_lo
	v_cmpx_gt_u32_e64 s63, v101
	s_cbranch_execnz .LBB297_1241
.LBB297_1038:                           ;   in Loop: Header=BB297_1032 Depth=2
	s_or_b32 exec_lo, exec_lo, s22
	s_mov_b32 s22, exec_lo
	v_cmpx_gt_u32_e64 s63, v102
	s_cbranch_execnz .LBB297_1242
.LBB297_1039:                           ;   in Loop: Header=BB297_1032 Depth=2
	s_or_b32 exec_lo, exec_lo, s22
	s_mov_b32 s22, exec_lo
	v_cmpx_gt_u32_e64 s63, v103
	s_cbranch_execnz .LBB297_1243
.LBB297_1040:                           ;   in Loop: Header=BB297_1032 Depth=2
	s_or_b32 exec_lo, exec_lo, s22
	s_mov_b32 s22, exec_lo
	v_cmpx_gt_u32_e64 s63, v104
	s_cbranch_execnz .LBB297_1244
.LBB297_1041:                           ;   in Loop: Header=BB297_1032 Depth=2
	s_or_b32 exec_lo, exec_lo, s22
	s_mov_b32 s22, exec_lo
	v_cmpx_gt_u32_e64 s63, v105
	s_cbranch_execnz .LBB297_1245
.LBB297_1042:                           ;   in Loop: Header=BB297_1032 Depth=2
	s_or_b32 exec_lo, exec_lo, s22
	s_mov_b32 s22, exec_lo
	v_cmpx_gt_u32_e64 s63, v106
	s_cbranch_execnz .LBB297_1246
.LBB297_1043:                           ;   in Loop: Header=BB297_1032 Depth=2
	s_or_b32 exec_lo, exec_lo, s22
	s_mov_b32 s22, exec_lo
	v_cmpx_gt_u32_e64 s63, v107
	s_cbranch_execnz .LBB297_1247
.LBB297_1044:                           ;   in Loop: Header=BB297_1032 Depth=2
	s_or_b32 exec_lo, exec_lo, s22
	s_mov_b32 s22, exec_lo
	v_cmpx_gt_u32_e64 s63, v108
	s_cbranch_execnz .LBB297_1248
.LBB297_1045:                           ;   in Loop: Header=BB297_1032 Depth=2
	s_or_b32 exec_lo, exec_lo, s22
	s_mov_b32 s22, exec_lo
	v_cmpx_gt_u32_e64 s63, v109
	s_cbranch_execnz .LBB297_1249
.LBB297_1046:                           ;   in Loop: Header=BB297_1032 Depth=2
	s_or_b32 exec_lo, exec_lo, s22
	s_mov_b32 s22, exec_lo
	v_cmpx_gt_u32_e64 s63, v110
	s_cbranch_execnz .LBB297_1250
.LBB297_1047:                           ;   in Loop: Header=BB297_1032 Depth=2
	s_or_b32 exec_lo, exec_lo, s22
	s_mov_b32 s22, exec_lo
	v_cmpx_gt_u32_e64 s63, v111
	s_cbranch_execnz .LBB297_1251
.LBB297_1048:                           ;   in Loop: Header=BB297_1032 Depth=2
	s_or_b32 exec_lo, exec_lo, s22
	s_mov_b32 s22, exec_lo
	v_cmpx_gt_u32_e64 s63, v112
	s_cbranch_execnz .LBB297_1252
.LBB297_1049:                           ;   in Loop: Header=BB297_1032 Depth=2
	s_or_b32 exec_lo, exec_lo, s22
	s_mov_b32 s22, exec_lo
	v_cmpx_gt_u32_e64 s63, v113
	s_cbranch_execnz .LBB297_1253
.LBB297_1050:                           ;   in Loop: Header=BB297_1032 Depth=2
	s_or_b32 exec_lo, exec_lo, s22
	s_mov_b32 s22, exec_lo
	v_cmpx_gt_u32_e64 s63, v114
	s_cbranch_execz .LBB297_1052
.LBB297_1051:                           ;   in Loop: Header=BB297_1032 Depth=2
	global_load_ubyte v42, v[39:40], off offset:480
.LBB297_1052:                           ;   in Loop: Header=BB297_1032 Depth=2
	s_or_b32 exec_lo, exec_lo, s22
	v_cmp_gt_u32_e64 s22, s63, v115
	s_sub_i32 s23, s59, s50
.LBB297_1053:                           ;   in Loop: Header=BB297_1032 Depth=2
	v_mov_b32_e32 v138, s63
	s_and_saveexec_b32 s24, s22
	s_cbranch_execz .LBB297_1055
; %bb.1054:                             ;   in Loop: Header=BB297_1032 Depth=2
	v_add_co_u32 v39, vcc_lo, v96, s50
	v_add_co_ci_u32_e64 v40, null, s51, v97, vcc_lo
	v_mov_b32_e32 v138, s23
	global_load_ubyte v117, v[39:40], off offset:512
.LBB297_1055:                           ;   in Loop: Header=BB297_1032 Depth=2
	s_or_b32 exec_lo, exec_lo, s24
	s_waitcnt vmcnt(0)
	v_xor_b32_e32 v39, 0x7f, v146
	ds_write2_b32 v69, v4, v4 offset0:136 offset1:137
	ds_write2_b32 v69, v4, v4 offset0:138 offset1:139
	ds_write_b32 v69, v4 offset:560
	s_waitcnt lgkmcnt(0)
	s_barrier
	v_and_b32_sdwa v40, v92, v39 dst_sel:DWORD dst_unused:UNUSED_PAD src0_sel:DWORD src1_sel:BYTE_0
	buffer_gl0_inv
	; wave barrier
	v_lshrrev_b32_e32 v40, s41, v40
	v_and_b32_e32 v149, s62, v40
	v_and_b32_e32 v40, 1, v149
	v_lshlrev_b32_e32 v146, 30, v149
	v_lshlrev_b32_e32 v152, 29, v149
	;; [unrolled: 1-line block ×4, first 2 shown]
	v_add_co_u32 v40, s22, v40, -1
	v_cndmask_b32_e64 v153, 0, 1, s22
	v_not_b32_e32 v157, v146
	v_cmp_gt_i32_e64 s22, 0, v146
	v_not_b32_e32 v146, v152
	v_lshlrev_b32_e32 v156, 26, v149
	v_cmp_ne_u32_e32 vcc_lo, 0, v153
	v_ashrrev_i32_e32 v157, 31, v157
	v_lshlrev_b32_e32 v153, 25, v149
	v_ashrrev_i32_e32 v146, 31, v146
	v_mul_u32_u24_e32 v149, 36, v149
	v_xor_b32_e32 v40, vcc_lo, v40
	v_cmp_gt_i32_e32 vcc_lo, 0, v152
	v_not_b32_e32 v152, v154
	v_xor_b32_e32 v157, s22, v157
	v_cmp_gt_i32_e64 s22, 0, v154
	v_and_b32_e32 v40, exec_lo, v40
	v_not_b32_e32 v154, v155
	v_ashrrev_i32_e32 v152, 31, v152
	v_xor_b32_e32 v146, vcc_lo, v146
	v_cmp_gt_i32_e32 vcc_lo, 0, v155
	v_and_b32_e32 v40, v40, v157
	v_not_b32_e32 v155, v156
	v_ashrrev_i32_e32 v154, 31, v154
	v_xor_b32_e32 v152, s22, v152
	v_cmp_gt_i32_e64 s22, 0, v156
	v_and_b32_e32 v40, v40, v146
	v_not_b32_e32 v146, v153
	v_ashrrev_i32_e32 v155, 31, v155
	v_xor_b32_e32 v154, vcc_lo, v154
	v_cmp_gt_i32_e32 vcc_lo, 0, v153
	v_and_b32_e32 v40, v40, v152
	v_ashrrev_i32_e32 v146, 31, v146
	v_xor_b32_e32 v152, s22, v155
	v_add_nc_u32_e32 v149, v116, v149
	v_and_b32_e32 v40, v40, v154
	v_xor_b32_e32 v146, vcc_lo, v146
	v_and_b32_e32 v40, v40, v152
	v_and_b32_e32 v40, v40, v146
	v_mbcnt_lo_u32_b32 v146, v40, 0
	v_cmp_ne_u32_e64 s22, 0, v40
	v_cmp_eq_u32_e32 vcc_lo, 0, v146
	s_and_b32 s23, s22, vcc_lo
	s_and_saveexec_b32 s22, s23
; %bb.1056:                             ;   in Loop: Header=BB297_1032 Depth=2
	v_bcnt_u32_b32 v40, v40, 0
	ds_write_b32 v149, v40 offset:544
; %bb.1057:                             ;   in Loop: Header=BB297_1032 Depth=2
	s_or_b32 exec_lo, exec_lo, s22
	v_xor_b32_sdwa v40, v147, v93 dst_sel:BYTE_1 dst_unused:UNUSED_PAD src0_sel:DWORD src1_sel:DWORD
	v_xor_b32_e32 v148, 0x7f, v148
	v_xor_b32_sdwa v151, v151, v93 dst_sel:BYTE_1 dst_unused:UNUSED_PAD src0_sel:DWORD src1_sel:DWORD
	; wave barrier
	v_or_b32_sdwa v147, v39, v40 dst_sel:DWORD dst_unused:UNUSED_PAD src0_sel:BYTE_0 src1_sel:DWORD
	v_or_b32_sdwa v39, v148, v151 dst_sel:WORD_1 dst_unused:UNUSED_PAD src0_sel:BYTE_0 src1_sel:DWORD
	v_or_b32_sdwa v148, v147, v39 dst_sel:DWORD dst_unused:UNUSED_PAD src0_sel:WORD_0 src1_sel:DWORD
	v_lshrrev_b32_sdwa v39, s41, v148 dst_sel:DWORD dst_unused:UNUSED_PAD src0_sel:DWORD src1_sel:BYTE_1
	v_and_b32_e32 v40, s62, v39
	v_and_b32_e32 v39, 1, v40
	v_lshlrev_b32_e32 v151, 30, v40
	v_lshlrev_b32_e32 v152, 29, v40
	;; [unrolled: 1-line block ×4, first 2 shown]
	v_add_co_u32 v39, s22, v39, -1
	v_cndmask_b32_e64 v153, 0, 1, s22
	v_not_b32_e32 v157, v151
	v_cmp_gt_i32_e64 s22, 0, v151
	v_not_b32_e32 v151, v152
	v_lshlrev_b32_e32 v156, 26, v40
	v_cmp_ne_u32_e32 vcc_lo, 0, v153
	v_ashrrev_i32_e32 v157, 31, v157
	v_lshlrev_b32_e32 v153, 25, v40
	v_ashrrev_i32_e32 v151, 31, v151
	v_xor_b32_e32 v39, vcc_lo, v39
	v_cmp_gt_i32_e32 vcc_lo, 0, v152
	v_not_b32_e32 v152, v154
	v_xor_b32_e32 v157, s22, v157
	v_cmp_gt_i32_e64 s22, 0, v154
	v_and_b32_e32 v39, exec_lo, v39
	v_not_b32_e32 v154, v155
	v_ashrrev_i32_e32 v152, 31, v152
	v_xor_b32_e32 v151, vcc_lo, v151
	v_cmp_gt_i32_e32 vcc_lo, 0, v155
	v_and_b32_e32 v39, v39, v157
	v_not_b32_e32 v155, v156
	v_ashrrev_i32_e32 v154, 31, v154
	v_xor_b32_e32 v152, s22, v152
	v_cmp_gt_i32_e64 s22, 0, v156
	v_and_b32_e32 v39, v39, v151
	v_not_b32_e32 v151, v153
	v_ashrrev_i32_e32 v155, 31, v155
	v_xor_b32_e32 v154, vcc_lo, v154
	v_cmp_gt_i32_e32 vcc_lo, 0, v153
	v_and_b32_e32 v39, v39, v152
	v_ashrrev_i32_e32 v151, 31, v151
	v_xor_b32_e32 v152, s22, v155
	v_mad_u32_u24 v153, v40, 36, v116
	v_mul_u32_u24_e32 v40, 36, v40
	v_and_b32_e32 v39, v39, v154
	v_xor_b32_e32 v154, vcc_lo, v151
	ds_read_b32 v151, v153 offset:544
	v_add_nc_u32_e32 v153, v116, v40
	v_and_b32_e32 v39, v39, v152
	; wave barrier
	v_and_b32_e32 v39, v39, v154
	v_mbcnt_lo_u32_b32 v152, v39, 0
	v_cmp_ne_u32_e64 s22, 0, v39
	v_cmp_eq_u32_e32 vcc_lo, 0, v152
	s_and_b32 s23, s22, vcc_lo
	s_and_saveexec_b32 s22, s23
	s_cbranch_execz .LBB297_1059
; %bb.1058:                             ;   in Loop: Header=BB297_1032 Depth=2
	s_waitcnt lgkmcnt(0)
	v_bcnt_u32_b32 v39, v39, v151
	ds_write_b32 v153, v39 offset:544
.LBB297_1059:                           ;   in Loop: Header=BB297_1032 Depth=2
	s_or_b32 exec_lo, exec_lo, s22
	v_lshrrev_b32_sdwa v39, s41, v148 dst_sel:DWORD dst_unused:UNUSED_PAD src0_sel:DWORD src1_sel:BYTE_2
	; wave barrier
	v_and_b32_e32 v40, s62, v39
	v_and_b32_e32 v39, 1, v40
	v_lshlrev_b32_e32 v154, 30, v40
	v_lshlrev_b32_e32 v155, 29, v40
	;; [unrolled: 1-line block ×4, first 2 shown]
	v_add_co_u32 v39, s22, v39, -1
	v_cndmask_b32_e64 v156, 0, 1, s22
	v_not_b32_e32 v160, v154
	v_cmp_gt_i32_e64 s22, 0, v154
	v_not_b32_e32 v154, v155
	v_lshlrev_b32_e32 v159, 26, v40
	v_cmp_ne_u32_e32 vcc_lo, 0, v156
	v_ashrrev_i32_e32 v160, 31, v160
	v_lshlrev_b32_e32 v156, 25, v40
	v_ashrrev_i32_e32 v154, 31, v154
	v_xor_b32_e32 v39, vcc_lo, v39
	v_cmp_gt_i32_e32 vcc_lo, 0, v155
	v_not_b32_e32 v155, v157
	v_xor_b32_e32 v160, s22, v160
	v_cmp_gt_i32_e64 s22, 0, v157
	v_and_b32_e32 v39, exec_lo, v39
	v_not_b32_e32 v157, v158
	v_ashrrev_i32_e32 v155, 31, v155
	v_xor_b32_e32 v154, vcc_lo, v154
	v_cmp_gt_i32_e32 vcc_lo, 0, v158
	v_and_b32_e32 v39, v39, v160
	v_not_b32_e32 v158, v159
	v_ashrrev_i32_e32 v157, 31, v157
	v_xor_b32_e32 v155, s22, v155
	v_cmp_gt_i32_e64 s22, 0, v159
	v_and_b32_e32 v39, v39, v154
	v_not_b32_e32 v154, v156
	v_ashrrev_i32_e32 v158, 31, v158
	v_xor_b32_e32 v157, vcc_lo, v157
	v_cmp_gt_i32_e32 vcc_lo, 0, v156
	v_and_b32_e32 v39, v39, v155
	v_ashrrev_i32_e32 v154, 31, v154
	v_xor_b32_e32 v155, s22, v158
	v_mad_u32_u24 v156, v40, 36, v116
	v_mul_u32_u24_e32 v40, 36, v40
	v_and_b32_e32 v39, v39, v157
	v_xor_b32_e32 v157, vcc_lo, v154
	ds_read_b32 v154, v156 offset:544
	v_and_b32_e32 v39, v39, v155
	; wave barrier
	v_and_b32_e32 v39, v39, v157
	v_add_nc_u32_e32 v157, v116, v40
	v_mbcnt_lo_u32_b32 v155, v39, 0
	v_cmp_ne_u32_e64 s22, 0, v39
	v_cmp_eq_u32_e32 vcc_lo, 0, v155
	s_and_b32 s23, s22, vcc_lo
	s_and_saveexec_b32 s22, s23
	s_cbranch_execz .LBB297_1061
; %bb.1060:                             ;   in Loop: Header=BB297_1032 Depth=2
	s_waitcnt lgkmcnt(0)
	v_bcnt_u32_b32 v39, v39, v154
	ds_write_b32 v157, v39 offset:544
.LBB297_1061:                           ;   in Loop: Header=BB297_1032 Depth=2
	s_or_b32 exec_lo, exec_lo, s22
	v_lshrrev_b32_e32 v156, 24, v148
	; wave barrier
	v_lshrrev_b32_e32 v39, s41, v156
	v_and_b32_e32 v40, s62, v39
	v_and_b32_e32 v39, 1, v40
	v_lshlrev_b32_e32 v158, 30, v40
	v_lshlrev_b32_e32 v159, 29, v40
	v_lshlrev_b32_e32 v161, 28, v40
	v_lshlrev_b32_e32 v162, 27, v40
	v_add_co_u32 v39, s22, v39, -1
	v_cndmask_b32_e64 v160, 0, 1, s22
	v_not_b32_e32 v164, v158
	v_cmp_gt_i32_e64 s22, 0, v158
	v_not_b32_e32 v158, v159
	v_lshlrev_b32_e32 v163, 26, v40
	v_cmp_ne_u32_e32 vcc_lo, 0, v160
	v_ashrrev_i32_e32 v164, 31, v164
	v_lshlrev_b32_e32 v160, 25, v40
	v_ashrrev_i32_e32 v158, 31, v158
	v_xor_b32_e32 v39, vcc_lo, v39
	v_cmp_gt_i32_e32 vcc_lo, 0, v159
	v_not_b32_e32 v159, v161
	v_xor_b32_e32 v164, s22, v164
	v_cmp_gt_i32_e64 s22, 0, v161
	v_and_b32_e32 v39, exec_lo, v39
	v_not_b32_e32 v161, v162
	v_ashrrev_i32_e32 v159, 31, v159
	v_xor_b32_e32 v158, vcc_lo, v158
	v_cmp_gt_i32_e32 vcc_lo, 0, v162
	v_and_b32_e32 v39, v39, v164
	v_not_b32_e32 v162, v163
	v_ashrrev_i32_e32 v161, 31, v161
	v_xor_b32_e32 v159, s22, v159
	v_cmp_gt_i32_e64 s22, 0, v163
	v_and_b32_e32 v39, v39, v158
	v_not_b32_e32 v158, v160
	v_ashrrev_i32_e32 v162, 31, v162
	v_xor_b32_e32 v161, vcc_lo, v161
	v_cmp_gt_i32_e32 vcc_lo, 0, v160
	v_and_b32_e32 v39, v39, v159
	v_ashrrev_i32_e32 v158, 31, v158
	v_xor_b32_e32 v159, s22, v162
	v_mad_u32_u24 v160, v40, 36, v116
	v_mul_u32_u24_e32 v40, 36, v40
	v_and_b32_e32 v39, v39, v161
	v_xor_b32_e32 v161, vcc_lo, v158
	ds_read_b32 v158, v160 offset:544
	v_add_nc_u32_e32 v160, v116, v40
	v_and_b32_e32 v39, v39, v159
	; wave barrier
	v_and_b32_e32 v39, v39, v161
	v_mbcnt_lo_u32_b32 v159, v39, 0
	v_cmp_ne_u32_e64 s22, 0, v39
	v_cmp_eq_u32_e32 vcc_lo, 0, v159
	s_and_b32 s23, s22, vcc_lo
	s_and_saveexec_b32 s22, s23
	s_cbranch_execz .LBB297_1063
; %bb.1062:                             ;   in Loop: Header=BB297_1032 Depth=2
	s_waitcnt lgkmcnt(0)
	v_bcnt_u32_b32 v39, v39, v158
	ds_write_b32 v160, v39 offset:544
.LBB297_1063:                           ;   in Loop: Header=BB297_1032 Depth=2
	s_or_b32 exec_lo, exec_lo, s22
	v_xor_b32_e32 v39, 0x7f, v150
	; wave barrier
	v_and_b32_sdwa v40, v92, v39 dst_sel:DWORD dst_unused:UNUSED_PAD src0_sel:DWORD src1_sel:BYTE_0
	v_lshrrev_b32_e32 v40, s41, v40
	v_and_b32_e32 v162, s62, v40
	v_and_b32_e32 v40, 1, v162
	v_lshlrev_b32_e32 v150, 30, v162
	v_lshlrev_b32_e32 v161, 29, v162
	;; [unrolled: 1-line block ×4, first 2 shown]
	v_add_co_u32 v40, s22, v40, -1
	v_cndmask_b32_e64 v163, 0, 1, s22
	v_not_b32_e32 v167, v150
	v_cmp_gt_i32_e64 s22, 0, v150
	v_not_b32_e32 v150, v161
	v_lshlrev_b32_e32 v166, 26, v162
	v_cmp_ne_u32_e32 vcc_lo, 0, v163
	v_ashrrev_i32_e32 v167, 31, v167
	v_lshlrev_b32_e32 v163, 25, v162
	v_ashrrev_i32_e32 v150, 31, v150
	v_xor_b32_e32 v40, vcc_lo, v40
	v_cmp_gt_i32_e32 vcc_lo, 0, v161
	v_not_b32_e32 v161, v164
	v_xor_b32_e32 v167, s22, v167
	v_cmp_gt_i32_e64 s22, 0, v164
	v_and_b32_e32 v40, exec_lo, v40
	v_not_b32_e32 v164, v165
	v_ashrrev_i32_e32 v161, 31, v161
	v_xor_b32_e32 v150, vcc_lo, v150
	v_cmp_gt_i32_e32 vcc_lo, 0, v165
	v_and_b32_e32 v40, v40, v167
	v_not_b32_e32 v165, v166
	v_ashrrev_i32_e32 v164, 31, v164
	v_xor_b32_e32 v161, s22, v161
	v_cmp_gt_i32_e64 s22, 0, v166
	v_and_b32_e32 v40, v40, v150
	v_not_b32_e32 v150, v163
	v_ashrrev_i32_e32 v165, 31, v165
	v_xor_b32_e32 v164, vcc_lo, v164
	v_cmp_gt_i32_e32 vcc_lo, 0, v163
	v_and_b32_e32 v40, v40, v161
	v_ashrrev_i32_e32 v150, 31, v150
	v_xor_b32_e32 v161, s22, v165
	v_mad_u32_u24 v163, v162, 36, v116
	v_mul_u32_u24_e32 v162, 36, v162
	v_and_b32_e32 v40, v40, v164
	v_xor_b32_e32 v164, vcc_lo, v150
	ds_read_b32 v150, v163 offset:544
	v_add_nc_u32_e32 v162, v116, v162
	v_and_b32_e32 v40, v40, v161
	; wave barrier
	v_and_b32_e32 v40, v40, v164
	v_mbcnt_lo_u32_b32 v161, v40, 0
	v_cmp_ne_u32_e64 s22, 0, v40
	v_cmp_eq_u32_e32 vcc_lo, 0, v161
	s_and_b32 s23, s22, vcc_lo
	s_and_saveexec_b32 s22, s23
	s_cbranch_execz .LBB297_1065
; %bb.1064:                             ;   in Loop: Header=BB297_1032 Depth=2
	s_waitcnt lgkmcnt(0)
	v_bcnt_u32_b32 v40, v40, v150
	ds_write_b32 v162, v40 offset:544
.LBB297_1065:                           ;   in Loop: Header=BB297_1032 Depth=2
	s_or_b32 exec_lo, exec_lo, s22
	v_xor_b32_sdwa v40, v143, v93 dst_sel:BYTE_1 dst_unused:UNUSED_PAD src0_sel:DWORD src1_sel:DWORD
	v_xor_b32_e32 v144, 0x7f, v144
	v_xor_b32_sdwa v145, v145, v93 dst_sel:BYTE_1 dst_unused:UNUSED_PAD src0_sel:DWORD src1_sel:DWORD
	; wave barrier
	v_or_b32_sdwa v143, v39, v40 dst_sel:DWORD dst_unused:UNUSED_PAD src0_sel:BYTE_0 src1_sel:DWORD
	v_or_b32_sdwa v39, v144, v145 dst_sel:WORD_1 dst_unused:UNUSED_PAD src0_sel:BYTE_0 src1_sel:DWORD
	v_or_b32_sdwa v144, v143, v39 dst_sel:DWORD dst_unused:UNUSED_PAD src0_sel:WORD_0 src1_sel:DWORD
	v_lshrrev_b32_sdwa v39, s41, v144 dst_sel:DWORD dst_unused:UNUSED_PAD src0_sel:DWORD src1_sel:BYTE_1
	v_and_b32_e32 v40, s62, v39
	v_and_b32_e32 v39, 1, v40
	v_lshlrev_b32_e32 v145, 30, v40
	v_lshlrev_b32_e32 v163, 29, v40
	;; [unrolled: 1-line block ×4, first 2 shown]
	v_add_co_u32 v39, s22, v39, -1
	v_cndmask_b32_e64 v164, 0, 1, s22
	v_not_b32_e32 v168, v145
	v_cmp_gt_i32_e64 s22, 0, v145
	v_not_b32_e32 v145, v163
	v_lshlrev_b32_e32 v167, 26, v40
	v_cmp_ne_u32_e32 vcc_lo, 0, v164
	v_ashrrev_i32_e32 v168, 31, v168
	v_lshlrev_b32_e32 v164, 25, v40
	v_ashrrev_i32_e32 v145, 31, v145
	v_xor_b32_e32 v39, vcc_lo, v39
	v_cmp_gt_i32_e32 vcc_lo, 0, v163
	v_not_b32_e32 v163, v165
	v_xor_b32_e32 v168, s22, v168
	v_cmp_gt_i32_e64 s22, 0, v165
	v_and_b32_e32 v39, exec_lo, v39
	v_not_b32_e32 v165, v166
	v_ashrrev_i32_e32 v163, 31, v163
	v_xor_b32_e32 v145, vcc_lo, v145
	v_cmp_gt_i32_e32 vcc_lo, 0, v166
	v_and_b32_e32 v39, v39, v168
	v_not_b32_e32 v166, v167
	v_ashrrev_i32_e32 v165, 31, v165
	v_xor_b32_e32 v163, s22, v163
	v_cmp_gt_i32_e64 s22, 0, v167
	v_and_b32_e32 v39, v39, v145
	v_not_b32_e32 v145, v164
	v_ashrrev_i32_e32 v166, 31, v166
	v_xor_b32_e32 v165, vcc_lo, v165
	v_cmp_gt_i32_e32 vcc_lo, 0, v164
	v_and_b32_e32 v39, v39, v163
	v_ashrrev_i32_e32 v145, 31, v145
	v_xor_b32_e32 v163, s22, v166
	v_mad_u32_u24 v164, v40, 36, v116
	v_mul_u32_u24_e32 v40, 36, v40
	v_and_b32_e32 v39, v39, v165
	v_xor_b32_e32 v165, vcc_lo, v145
	ds_read_b32 v145, v164 offset:544
	v_add_nc_u32_e32 v164, v116, v40
	v_and_b32_e32 v39, v39, v163
	; wave barrier
	v_and_b32_e32 v39, v39, v165
	v_mbcnt_lo_u32_b32 v163, v39, 0
	v_cmp_ne_u32_e64 s22, 0, v39
	v_cmp_eq_u32_e32 vcc_lo, 0, v163
	s_and_b32 s23, s22, vcc_lo
	s_and_saveexec_b32 s22, s23
	s_cbranch_execz .LBB297_1067
; %bb.1066:                             ;   in Loop: Header=BB297_1032 Depth=2
	s_waitcnt lgkmcnt(0)
	v_bcnt_u32_b32 v39, v39, v145
	ds_write_b32 v164, v39 offset:544
.LBB297_1067:                           ;   in Loop: Header=BB297_1032 Depth=2
	s_or_b32 exec_lo, exec_lo, s22
	v_lshrrev_b32_sdwa v39, s41, v144 dst_sel:DWORD dst_unused:UNUSED_PAD src0_sel:DWORD src1_sel:BYTE_2
	; wave barrier
	v_and_b32_e32 v40, s62, v39
	v_and_b32_e32 v39, 1, v40
	v_lshlrev_b32_e32 v165, 30, v40
	v_lshlrev_b32_e32 v166, 29, v40
	;; [unrolled: 1-line block ×4, first 2 shown]
	v_add_co_u32 v39, s22, v39, -1
	v_cndmask_b32_e64 v167, 0, 1, s22
	v_not_b32_e32 v171, v165
	v_cmp_gt_i32_e64 s22, 0, v165
	v_not_b32_e32 v165, v166
	v_lshlrev_b32_e32 v170, 26, v40
	v_cmp_ne_u32_e32 vcc_lo, 0, v167
	v_ashrrev_i32_e32 v171, 31, v171
	v_lshlrev_b32_e32 v167, 25, v40
	v_ashrrev_i32_e32 v165, 31, v165
	v_xor_b32_e32 v39, vcc_lo, v39
	v_cmp_gt_i32_e32 vcc_lo, 0, v166
	v_not_b32_e32 v166, v168
	v_xor_b32_e32 v171, s22, v171
	v_cmp_gt_i32_e64 s22, 0, v168
	v_and_b32_e32 v39, exec_lo, v39
	v_not_b32_e32 v168, v169
	v_ashrrev_i32_e32 v166, 31, v166
	v_xor_b32_e32 v165, vcc_lo, v165
	v_cmp_gt_i32_e32 vcc_lo, 0, v169
	v_and_b32_e32 v39, v39, v171
	v_not_b32_e32 v169, v170
	v_ashrrev_i32_e32 v168, 31, v168
	v_xor_b32_e32 v166, s22, v166
	v_cmp_gt_i32_e64 s22, 0, v170
	v_and_b32_e32 v39, v39, v165
	v_not_b32_e32 v165, v167
	v_ashrrev_i32_e32 v169, 31, v169
	v_xor_b32_e32 v168, vcc_lo, v168
	v_cmp_gt_i32_e32 vcc_lo, 0, v167
	v_and_b32_e32 v39, v39, v166
	v_ashrrev_i32_e32 v165, 31, v165
	v_xor_b32_e32 v166, s22, v169
	v_mad_u32_u24 v167, v40, 36, v116
	v_mul_u32_u24_e32 v40, 36, v40
	v_and_b32_e32 v39, v39, v168
	v_xor_b32_e32 v168, vcc_lo, v165
	ds_read_b32 v165, v167 offset:544
	v_and_b32_e32 v39, v39, v166
	; wave barrier
	v_and_b32_e32 v39, v39, v168
	v_add_nc_u32_e32 v168, v116, v40
	v_mbcnt_lo_u32_b32 v166, v39, 0
	v_cmp_ne_u32_e64 s22, 0, v39
	v_cmp_eq_u32_e32 vcc_lo, 0, v166
	s_and_b32 s23, s22, vcc_lo
	s_and_saveexec_b32 s22, s23
	s_cbranch_execz .LBB297_1069
; %bb.1068:                             ;   in Loop: Header=BB297_1032 Depth=2
	s_waitcnt lgkmcnt(0)
	v_bcnt_u32_b32 v39, v39, v165
	ds_write_b32 v168, v39 offset:544
.LBB297_1069:                           ;   in Loop: Header=BB297_1032 Depth=2
	s_or_b32 exec_lo, exec_lo, s22
	v_lshrrev_b32_e32 v167, 24, v144
	; wave barrier
	v_lshrrev_b32_e32 v39, s41, v167
	v_and_b32_e32 v40, s62, v39
	v_and_b32_e32 v39, 1, v40
	v_lshlrev_b32_e32 v169, 30, v40
	v_lshlrev_b32_e32 v170, 29, v40
	;; [unrolled: 1-line block ×4, first 2 shown]
	v_add_co_u32 v39, s22, v39, -1
	v_cndmask_b32_e64 v171, 0, 1, s22
	v_not_b32_e32 v175, v169
	v_cmp_gt_i32_e64 s22, 0, v169
	v_not_b32_e32 v169, v170
	v_lshlrev_b32_e32 v174, 26, v40
	v_cmp_ne_u32_e32 vcc_lo, 0, v171
	v_ashrrev_i32_e32 v175, 31, v175
	v_lshlrev_b32_e32 v171, 25, v40
	v_ashrrev_i32_e32 v169, 31, v169
	v_xor_b32_e32 v39, vcc_lo, v39
	v_cmp_gt_i32_e32 vcc_lo, 0, v170
	v_not_b32_e32 v170, v172
	v_xor_b32_e32 v175, s22, v175
	v_cmp_gt_i32_e64 s22, 0, v172
	v_and_b32_e32 v39, exec_lo, v39
	v_not_b32_e32 v172, v173
	v_ashrrev_i32_e32 v170, 31, v170
	v_xor_b32_e32 v169, vcc_lo, v169
	v_cmp_gt_i32_e32 vcc_lo, 0, v173
	v_and_b32_e32 v39, v39, v175
	v_not_b32_e32 v173, v174
	v_ashrrev_i32_e32 v172, 31, v172
	v_xor_b32_e32 v170, s22, v170
	v_cmp_gt_i32_e64 s22, 0, v174
	v_and_b32_e32 v39, v39, v169
	v_not_b32_e32 v169, v171
	v_ashrrev_i32_e32 v173, 31, v173
	v_xor_b32_e32 v172, vcc_lo, v172
	v_cmp_gt_i32_e32 vcc_lo, 0, v171
	v_and_b32_e32 v39, v39, v170
	v_ashrrev_i32_e32 v169, 31, v169
	v_xor_b32_e32 v170, s22, v173
	v_mad_u32_u24 v171, v40, 36, v116
	v_mul_u32_u24_e32 v40, 36, v40
	v_and_b32_e32 v39, v39, v172
	v_xor_b32_e32 v172, vcc_lo, v169
	ds_read_b32 v169, v171 offset:544
	v_add_nc_u32_e32 v171, v116, v40
	v_and_b32_e32 v39, v39, v170
	; wave barrier
	v_and_b32_e32 v39, v39, v172
	v_mbcnt_lo_u32_b32 v170, v39, 0
	v_cmp_ne_u32_e64 s22, 0, v39
	v_cmp_eq_u32_e32 vcc_lo, 0, v170
	s_and_b32 s23, s22, vcc_lo
	s_and_saveexec_b32 s22, s23
	s_cbranch_execz .LBB297_1071
; %bb.1070:                             ;   in Loop: Header=BB297_1032 Depth=2
	s_waitcnt lgkmcnt(0)
	v_bcnt_u32_b32 v39, v39, v169
	ds_write_b32 v171, v39 offset:544
.LBB297_1071:                           ;   in Loop: Header=BB297_1032 Depth=2
	s_or_b32 exec_lo, exec_lo, s22
	v_xor_b32_e32 v39, 0x7f, v142
	; wave barrier
	v_and_b32_sdwa v40, v92, v39 dst_sel:DWORD dst_unused:UNUSED_PAD src0_sel:DWORD src1_sel:BYTE_0
	v_lshrrev_b32_e32 v40, s41, v40
	v_and_b32_e32 v173, s62, v40
	v_and_b32_e32 v40, 1, v173
	v_lshlrev_b32_e32 v142, 30, v173
	v_lshlrev_b32_e32 v172, 29, v173
	;; [unrolled: 1-line block ×4, first 2 shown]
	v_add_co_u32 v40, s22, v40, -1
	v_cndmask_b32_e64 v174, 0, 1, s22
	v_not_b32_e32 v178, v142
	v_cmp_gt_i32_e64 s22, 0, v142
	v_not_b32_e32 v142, v172
	v_lshlrev_b32_e32 v177, 26, v173
	v_cmp_ne_u32_e32 vcc_lo, 0, v174
	v_ashrrev_i32_e32 v178, 31, v178
	v_lshlrev_b32_e32 v174, 25, v173
	v_ashrrev_i32_e32 v142, 31, v142
	v_xor_b32_e32 v40, vcc_lo, v40
	v_cmp_gt_i32_e32 vcc_lo, 0, v172
	v_not_b32_e32 v172, v175
	v_xor_b32_e32 v178, s22, v178
	v_cmp_gt_i32_e64 s22, 0, v175
	v_and_b32_e32 v40, exec_lo, v40
	v_not_b32_e32 v175, v176
	v_ashrrev_i32_e32 v172, 31, v172
	v_xor_b32_e32 v142, vcc_lo, v142
	v_cmp_gt_i32_e32 vcc_lo, 0, v176
	v_and_b32_e32 v40, v40, v178
	v_not_b32_e32 v176, v177
	v_ashrrev_i32_e32 v175, 31, v175
	v_xor_b32_e32 v172, s22, v172
	v_cmp_gt_i32_e64 s22, 0, v177
	v_and_b32_e32 v40, v40, v142
	v_not_b32_e32 v142, v174
	v_ashrrev_i32_e32 v176, 31, v176
	v_xor_b32_e32 v175, vcc_lo, v175
	v_cmp_gt_i32_e32 vcc_lo, 0, v174
	v_and_b32_e32 v40, v40, v172
	v_ashrrev_i32_e32 v142, 31, v142
	v_xor_b32_e32 v172, s22, v176
	v_mad_u32_u24 v174, v173, 36, v116
	v_mul_u32_u24_e32 v173, 36, v173
	v_and_b32_e32 v40, v40, v175
	v_xor_b32_e32 v175, vcc_lo, v142
	ds_read_b32 v142, v174 offset:544
	v_add_nc_u32_e32 v173, v116, v173
	v_and_b32_e32 v40, v40, v172
	; wave barrier
	v_and_b32_e32 v40, v40, v175
	v_mbcnt_lo_u32_b32 v172, v40, 0
	v_cmp_ne_u32_e64 s22, 0, v40
	v_cmp_eq_u32_e32 vcc_lo, 0, v172
	s_and_b32 s23, s22, vcc_lo
	s_and_saveexec_b32 s22, s23
	s_cbranch_execz .LBB297_1073
; %bb.1072:                             ;   in Loop: Header=BB297_1032 Depth=2
	s_waitcnt lgkmcnt(0)
	v_bcnt_u32_b32 v40, v40, v142
	ds_write_b32 v173, v40 offset:544
.LBB297_1073:                           ;   in Loop: Header=BB297_1032 Depth=2
	s_or_b32 exec_lo, exec_lo, s22
	v_xor_b32_sdwa v40, v139, v93 dst_sel:BYTE_1 dst_unused:UNUSED_PAD src0_sel:DWORD src1_sel:DWORD
	v_xor_b32_e32 v140, 0x7f, v140
	v_xor_b32_sdwa v141, v141, v93 dst_sel:BYTE_1 dst_unused:UNUSED_PAD src0_sel:DWORD src1_sel:DWORD
	; wave barrier
	v_or_b32_sdwa v139, v39, v40 dst_sel:DWORD dst_unused:UNUSED_PAD src0_sel:BYTE_0 src1_sel:DWORD
	v_or_b32_sdwa v39, v140, v141 dst_sel:WORD_1 dst_unused:UNUSED_PAD src0_sel:BYTE_0 src1_sel:DWORD
	v_or_b32_sdwa v140, v139, v39 dst_sel:DWORD dst_unused:UNUSED_PAD src0_sel:WORD_0 src1_sel:DWORD
	v_lshrrev_b32_sdwa v39, s41, v140 dst_sel:DWORD dst_unused:UNUSED_PAD src0_sel:DWORD src1_sel:BYTE_1
	v_and_b32_e32 v40, s62, v39
	v_and_b32_e32 v39, 1, v40
	v_lshlrev_b32_e32 v141, 30, v40
	v_lshlrev_b32_e32 v174, 29, v40
	;; [unrolled: 1-line block ×4, first 2 shown]
	v_add_co_u32 v39, s22, v39, -1
	v_cndmask_b32_e64 v175, 0, 1, s22
	v_not_b32_e32 v179, v141
	v_cmp_gt_i32_e64 s22, 0, v141
	v_not_b32_e32 v141, v174
	v_lshlrev_b32_e32 v178, 26, v40
	v_cmp_ne_u32_e32 vcc_lo, 0, v175
	v_ashrrev_i32_e32 v179, 31, v179
	v_lshlrev_b32_e32 v175, 25, v40
	v_ashrrev_i32_e32 v141, 31, v141
	v_xor_b32_e32 v39, vcc_lo, v39
	v_cmp_gt_i32_e32 vcc_lo, 0, v174
	v_not_b32_e32 v174, v176
	v_xor_b32_e32 v179, s22, v179
	v_cmp_gt_i32_e64 s22, 0, v176
	v_and_b32_e32 v39, exec_lo, v39
	v_not_b32_e32 v176, v177
	v_ashrrev_i32_e32 v174, 31, v174
	v_xor_b32_e32 v141, vcc_lo, v141
	v_cmp_gt_i32_e32 vcc_lo, 0, v177
	v_and_b32_e32 v39, v39, v179
	v_not_b32_e32 v177, v178
	v_ashrrev_i32_e32 v176, 31, v176
	v_xor_b32_e32 v174, s22, v174
	v_cmp_gt_i32_e64 s22, 0, v178
	v_and_b32_e32 v39, v39, v141
	v_not_b32_e32 v141, v175
	v_ashrrev_i32_e32 v177, 31, v177
	v_xor_b32_e32 v176, vcc_lo, v176
	v_cmp_gt_i32_e32 vcc_lo, 0, v175
	v_and_b32_e32 v39, v39, v174
	v_ashrrev_i32_e32 v141, 31, v141
	v_xor_b32_e32 v174, s22, v177
	v_mad_u32_u24 v175, v40, 36, v116
	v_mul_u32_u24_e32 v40, 36, v40
	v_and_b32_e32 v39, v39, v176
	v_xor_b32_e32 v176, vcc_lo, v141
	ds_read_b32 v141, v175 offset:544
	v_add_nc_u32_e32 v175, v116, v40
	v_and_b32_e32 v39, v39, v174
	; wave barrier
	v_and_b32_e32 v39, v39, v176
	v_mbcnt_lo_u32_b32 v174, v39, 0
	v_cmp_ne_u32_e64 s22, 0, v39
	v_cmp_eq_u32_e32 vcc_lo, 0, v174
	s_and_b32 s23, s22, vcc_lo
	s_and_saveexec_b32 s22, s23
	s_cbranch_execz .LBB297_1075
; %bb.1074:                             ;   in Loop: Header=BB297_1032 Depth=2
	s_waitcnt lgkmcnt(0)
	v_bcnt_u32_b32 v39, v39, v141
	ds_write_b32 v175, v39 offset:544
.LBB297_1075:                           ;   in Loop: Header=BB297_1032 Depth=2
	s_or_b32 exec_lo, exec_lo, s22
	v_lshrrev_b32_sdwa v39, s41, v140 dst_sel:DWORD dst_unused:UNUSED_PAD src0_sel:DWORD src1_sel:BYTE_2
	; wave barrier
	v_and_b32_e32 v40, s62, v39
	v_and_b32_e32 v39, 1, v40
	v_lshlrev_b32_e32 v176, 30, v40
	v_lshlrev_b32_e32 v177, 29, v40
	;; [unrolled: 1-line block ×4, first 2 shown]
	v_add_co_u32 v39, s22, v39, -1
	v_cndmask_b32_e64 v178, 0, 1, s22
	v_not_b32_e32 v182, v176
	v_cmp_gt_i32_e64 s22, 0, v176
	v_not_b32_e32 v176, v177
	v_lshlrev_b32_e32 v181, 26, v40
	v_cmp_ne_u32_e32 vcc_lo, 0, v178
	v_ashrrev_i32_e32 v182, 31, v182
	v_lshlrev_b32_e32 v178, 25, v40
	v_ashrrev_i32_e32 v176, 31, v176
	v_xor_b32_e32 v39, vcc_lo, v39
	v_cmp_gt_i32_e32 vcc_lo, 0, v177
	v_not_b32_e32 v177, v179
	v_xor_b32_e32 v182, s22, v182
	v_cmp_gt_i32_e64 s22, 0, v179
	v_and_b32_e32 v39, exec_lo, v39
	v_not_b32_e32 v179, v180
	v_ashrrev_i32_e32 v177, 31, v177
	v_xor_b32_e32 v176, vcc_lo, v176
	v_cmp_gt_i32_e32 vcc_lo, 0, v180
	v_and_b32_e32 v39, v39, v182
	v_not_b32_e32 v180, v181
	v_ashrrev_i32_e32 v179, 31, v179
	v_xor_b32_e32 v177, s22, v177
	v_cmp_gt_i32_e64 s22, 0, v181
	v_and_b32_e32 v39, v39, v176
	v_not_b32_e32 v176, v178
	v_ashrrev_i32_e32 v180, 31, v180
	v_xor_b32_e32 v179, vcc_lo, v179
	v_cmp_gt_i32_e32 vcc_lo, 0, v178
	v_and_b32_e32 v39, v39, v177
	v_ashrrev_i32_e32 v176, 31, v176
	v_xor_b32_e32 v177, s22, v180
	v_mad_u32_u24 v178, v40, 36, v116
	v_mul_u32_u24_e32 v40, 36, v40
	v_and_b32_e32 v39, v39, v179
	v_xor_b32_e32 v179, vcc_lo, v176
	ds_read_b32 v176, v178 offset:544
	v_and_b32_e32 v39, v39, v177
	; wave barrier
	v_and_b32_e32 v39, v39, v179
	v_add_nc_u32_e32 v179, v116, v40
	v_mbcnt_lo_u32_b32 v177, v39, 0
	v_cmp_ne_u32_e64 s22, 0, v39
	v_cmp_eq_u32_e32 vcc_lo, 0, v177
	s_and_b32 s23, s22, vcc_lo
	s_and_saveexec_b32 s22, s23
	s_cbranch_execz .LBB297_1077
; %bb.1076:                             ;   in Loop: Header=BB297_1032 Depth=2
	s_waitcnt lgkmcnt(0)
	v_bcnt_u32_b32 v39, v39, v176
	ds_write_b32 v179, v39 offset:544
.LBB297_1077:                           ;   in Loop: Header=BB297_1032 Depth=2
	s_or_b32 exec_lo, exec_lo, s22
	v_lshrrev_b32_e32 v178, 24, v140
	; wave barrier
	v_lshrrev_b32_e32 v39, s41, v178
	v_and_b32_e32 v40, s62, v39
	v_and_b32_e32 v39, 1, v40
	v_lshlrev_b32_e32 v180, 30, v40
	v_lshlrev_b32_e32 v181, 29, v40
	;; [unrolled: 1-line block ×4, first 2 shown]
	v_add_co_u32 v39, s22, v39, -1
	v_cndmask_b32_e64 v182, 0, 1, s22
	v_not_b32_e32 v186, v180
	v_cmp_gt_i32_e64 s22, 0, v180
	v_not_b32_e32 v180, v181
	v_lshlrev_b32_e32 v185, 26, v40
	v_cmp_ne_u32_e32 vcc_lo, 0, v182
	v_ashrrev_i32_e32 v186, 31, v186
	v_lshlrev_b32_e32 v182, 25, v40
	v_ashrrev_i32_e32 v180, 31, v180
	v_xor_b32_e32 v39, vcc_lo, v39
	v_cmp_gt_i32_e32 vcc_lo, 0, v181
	v_not_b32_e32 v181, v183
	v_xor_b32_e32 v186, s22, v186
	v_cmp_gt_i32_e64 s22, 0, v183
	v_and_b32_e32 v39, exec_lo, v39
	v_not_b32_e32 v183, v184
	v_ashrrev_i32_e32 v181, 31, v181
	v_xor_b32_e32 v180, vcc_lo, v180
	v_cmp_gt_i32_e32 vcc_lo, 0, v184
	v_and_b32_e32 v39, v39, v186
	v_not_b32_e32 v184, v185
	v_ashrrev_i32_e32 v183, 31, v183
	v_xor_b32_e32 v181, s22, v181
	v_cmp_gt_i32_e64 s22, 0, v185
	v_and_b32_e32 v39, v39, v180
	v_not_b32_e32 v180, v182
	v_ashrrev_i32_e32 v184, 31, v184
	v_xor_b32_e32 v183, vcc_lo, v183
	v_cmp_gt_i32_e32 vcc_lo, 0, v182
	v_and_b32_e32 v39, v39, v181
	v_ashrrev_i32_e32 v180, 31, v180
	v_xor_b32_e32 v181, s22, v184
	v_mad_u32_u24 v182, v40, 36, v116
	v_mul_u32_u24_e32 v40, 36, v40
	v_and_b32_e32 v39, v39, v183
	v_xor_b32_e32 v183, vcc_lo, v180
	ds_read_b32 v180, v182 offset:544
	v_add_nc_u32_e32 v182, v116, v40
	v_and_b32_e32 v39, v39, v181
	; wave barrier
	v_and_b32_e32 v39, v39, v183
	v_mbcnt_lo_u32_b32 v181, v39, 0
	v_cmp_ne_u32_e64 s22, 0, v39
	v_cmp_eq_u32_e32 vcc_lo, 0, v181
	s_and_b32 s23, s22, vcc_lo
	s_and_saveexec_b32 s22, s23
	s_cbranch_execz .LBB297_1079
; %bb.1078:                             ;   in Loop: Header=BB297_1032 Depth=2
	s_waitcnt lgkmcnt(0)
	v_bcnt_u32_b32 v39, v39, v180
	ds_write_b32 v182, v39 offset:544
.LBB297_1079:                           ;   in Loop: Header=BB297_1032 Depth=2
	s_or_b32 exec_lo, exec_lo, s22
	v_xor_b32_e32 v39, 0x7f, v137
	; wave barrier
	v_and_b32_sdwa v40, v92, v39 dst_sel:DWORD dst_unused:UNUSED_PAD src0_sel:DWORD src1_sel:BYTE_0
	v_lshrrev_b32_e32 v40, s41, v40
	v_and_b32_e32 v184, s62, v40
	v_and_b32_e32 v40, 1, v184
	v_lshlrev_b32_e32 v137, 30, v184
	v_lshlrev_b32_e32 v183, 29, v184
	;; [unrolled: 1-line block ×4, first 2 shown]
	v_add_co_u32 v40, s22, v40, -1
	v_cndmask_b32_e64 v185, 0, 1, s22
	v_not_b32_e32 v189, v137
	v_cmp_gt_i32_e64 s22, 0, v137
	v_not_b32_e32 v137, v183
	v_lshlrev_b32_e32 v188, 26, v184
	v_cmp_ne_u32_e32 vcc_lo, 0, v185
	v_ashrrev_i32_e32 v189, 31, v189
	v_lshlrev_b32_e32 v185, 25, v184
	v_ashrrev_i32_e32 v137, 31, v137
	v_xor_b32_e32 v40, vcc_lo, v40
	v_cmp_gt_i32_e32 vcc_lo, 0, v183
	v_not_b32_e32 v183, v186
	v_xor_b32_e32 v189, s22, v189
	v_cmp_gt_i32_e64 s22, 0, v186
	v_and_b32_e32 v40, exec_lo, v40
	v_not_b32_e32 v186, v187
	v_ashrrev_i32_e32 v183, 31, v183
	v_xor_b32_e32 v137, vcc_lo, v137
	v_cmp_gt_i32_e32 vcc_lo, 0, v187
	v_and_b32_e32 v40, v40, v189
	v_not_b32_e32 v187, v188
	v_ashrrev_i32_e32 v186, 31, v186
	v_xor_b32_e32 v183, s22, v183
	v_cmp_gt_i32_e64 s22, 0, v188
	v_and_b32_e32 v40, v40, v137
	v_not_b32_e32 v137, v185
	v_ashrrev_i32_e32 v187, 31, v187
	v_xor_b32_e32 v186, vcc_lo, v186
	v_cmp_gt_i32_e32 vcc_lo, 0, v185
	v_and_b32_e32 v40, v40, v183
	v_ashrrev_i32_e32 v137, 31, v137
	v_xor_b32_e32 v183, s22, v187
	v_mad_u32_u24 v185, v184, 36, v116
	v_mul_u32_u24_e32 v184, 36, v184
	v_and_b32_e32 v40, v40, v186
	v_xor_b32_e32 v186, vcc_lo, v137
	ds_read_b32 v137, v185 offset:544
	v_add_nc_u32_e32 v185, v116, v184
	v_and_b32_e32 v40, v40, v183
	; wave barrier
	v_and_b32_e32 v40, v40, v186
	v_mbcnt_lo_u32_b32 v183, v40, 0
	v_cmp_ne_u32_e64 s22, 0, v40
	v_cmp_eq_u32_e32 vcc_lo, 0, v183
	s_and_b32 s23, s22, vcc_lo
	s_and_saveexec_b32 s22, s23
	s_cbranch_execz .LBB297_1081
; %bb.1080:                             ;   in Loop: Header=BB297_1032 Depth=2
	s_waitcnt lgkmcnt(0)
	v_bcnt_u32_b32 v40, v40, v137
	ds_write_b32 v185, v40 offset:544
.LBB297_1081:                           ;   in Loop: Header=BB297_1032 Depth=2
	s_or_b32 exec_lo, exec_lo, s22
	v_xor_b32_sdwa v3, v3, v93 dst_sel:BYTE_1 dst_unused:UNUSED_PAD src0_sel:DWORD src1_sel:DWORD
	v_xor_b32_e32 v40, 0x7f, v41
	v_xor_b32_sdwa v41, v42, v93 dst_sel:BYTE_1 dst_unused:UNUSED_PAD src0_sel:DWORD src1_sel:DWORD
	; wave barrier
	v_or_b32_sdwa v184, v39, v3 dst_sel:DWORD dst_unused:UNUSED_PAD src0_sel:BYTE_0 src1_sel:DWORD
	v_or_b32_sdwa v3, v40, v41 dst_sel:WORD_1 dst_unused:UNUSED_PAD src0_sel:BYTE_0 src1_sel:DWORD
	v_or_b32_sdwa v3, v184, v3 dst_sel:DWORD dst_unused:UNUSED_PAD src0_sel:WORD_0 src1_sel:DWORD
	v_lshrrev_b32_sdwa v39, s41, v3 dst_sel:DWORD dst_unused:UNUSED_PAD src0_sel:DWORD src1_sel:BYTE_1
	v_and_b32_e32 v40, s62, v39
	v_and_b32_e32 v39, 1, v40
	v_lshlrev_b32_e32 v41, 30, v40
	v_lshlrev_b32_e32 v42, 29, v40
	;; [unrolled: 1-line block ×4, first 2 shown]
	v_add_co_u32 v39, s22, v39, -1
	v_cndmask_b32_e64 v186, 0, 1, s22
	v_not_b32_e32 v190, v41
	v_cmp_gt_i32_e64 s22, 0, v41
	v_not_b32_e32 v41, v42
	v_lshlrev_b32_e32 v189, 26, v40
	v_cmp_ne_u32_e32 vcc_lo, 0, v186
	v_ashrrev_i32_e32 v190, 31, v190
	v_lshlrev_b32_e32 v186, 25, v40
	v_ashrrev_i32_e32 v41, 31, v41
	v_xor_b32_e32 v39, vcc_lo, v39
	v_cmp_gt_i32_e32 vcc_lo, 0, v42
	v_not_b32_e32 v42, v187
	v_xor_b32_e32 v190, s22, v190
	v_cmp_gt_i32_e64 s22, 0, v187
	v_and_b32_e32 v39, exec_lo, v39
	v_not_b32_e32 v187, v188
	v_ashrrev_i32_e32 v42, 31, v42
	v_xor_b32_e32 v41, vcc_lo, v41
	v_cmp_gt_i32_e32 vcc_lo, 0, v188
	v_and_b32_e32 v39, v39, v190
	v_not_b32_e32 v188, v189
	v_ashrrev_i32_e32 v187, 31, v187
	v_xor_b32_e32 v42, s22, v42
	v_cmp_gt_i32_e64 s22, 0, v189
	v_and_b32_e32 v39, v39, v41
	v_not_b32_e32 v41, v186
	v_ashrrev_i32_e32 v188, 31, v188
	v_xor_b32_e32 v187, vcc_lo, v187
	v_cmp_gt_i32_e32 vcc_lo, 0, v186
	v_and_b32_e32 v39, v39, v42
	v_ashrrev_i32_e32 v41, 31, v41
	v_xor_b32_e32 v42, s22, v188
	v_mad_u32_u24 v186, v40, 36, v116
	v_mul_u32_u24_e32 v40, 36, v40
	v_and_b32_e32 v39, v39, v187
	v_xor_b32_e32 v41, vcc_lo, v41
	ds_read_b32 v186, v186 offset:544
	v_add_nc_u32_e32 v188, v116, v40
	v_and_b32_e32 v39, v39, v42
	; wave barrier
	v_and_b32_e32 v39, v39, v41
	v_mbcnt_lo_u32_b32 v187, v39, 0
	v_cmp_ne_u32_e64 s22, 0, v39
	v_cmp_eq_u32_e32 vcc_lo, 0, v187
	s_and_b32 s23, s22, vcc_lo
	s_and_saveexec_b32 s22, s23
	s_cbranch_execz .LBB297_1083
; %bb.1082:                             ;   in Loop: Header=BB297_1032 Depth=2
	s_waitcnt lgkmcnt(0)
	v_bcnt_u32_b32 v39, v39, v186
	ds_write_b32 v188, v39 offset:544
.LBB297_1083:                           ;   in Loop: Header=BB297_1032 Depth=2
	s_or_b32 exec_lo, exec_lo, s22
	v_lshrrev_b32_sdwa v39, s41, v3 dst_sel:DWORD dst_unused:UNUSED_PAD src0_sel:DWORD src1_sel:BYTE_2
	; wave barrier
	v_and_b32_e32 v40, s62, v39
	v_and_b32_e32 v39, 1, v40
	v_lshlrev_b32_e32 v41, 30, v40
	v_lshlrev_b32_e32 v42, 29, v40
	;; [unrolled: 1-line block ×4, first 2 shown]
	v_add_co_u32 v39, s22, v39, -1
	v_cndmask_b32_e64 v189, 0, 1, s22
	v_not_b32_e32 v193, v41
	v_cmp_gt_i32_e64 s22, 0, v41
	v_not_b32_e32 v41, v42
	v_lshlrev_b32_e32 v192, 26, v40
	v_cmp_ne_u32_e32 vcc_lo, 0, v189
	v_ashrrev_i32_e32 v193, 31, v193
	v_lshlrev_b32_e32 v189, 25, v40
	v_ashrrev_i32_e32 v41, 31, v41
	v_xor_b32_e32 v39, vcc_lo, v39
	v_cmp_gt_i32_e32 vcc_lo, 0, v42
	v_not_b32_e32 v42, v190
	v_xor_b32_e32 v193, s22, v193
	v_cmp_gt_i32_e64 s22, 0, v190
	v_and_b32_e32 v39, exec_lo, v39
	v_not_b32_e32 v190, v191
	v_ashrrev_i32_e32 v42, 31, v42
	v_xor_b32_e32 v41, vcc_lo, v41
	v_cmp_gt_i32_e32 vcc_lo, 0, v191
	v_and_b32_e32 v39, v39, v193
	v_not_b32_e32 v191, v192
	v_ashrrev_i32_e32 v190, 31, v190
	v_xor_b32_e32 v42, s22, v42
	v_cmp_gt_i32_e64 s22, 0, v192
	v_and_b32_e32 v39, v39, v41
	v_not_b32_e32 v41, v189
	v_ashrrev_i32_e32 v191, 31, v191
	v_xor_b32_e32 v190, vcc_lo, v190
	v_cmp_gt_i32_e32 vcc_lo, 0, v189
	v_and_b32_e32 v39, v39, v42
	v_ashrrev_i32_e32 v41, 31, v41
	v_xor_b32_e32 v42, s22, v191
	v_mad_u32_u24 v189, v40, 36, v116
	v_mul_u32_u24_e32 v40, 36, v40
	v_and_b32_e32 v39, v39, v190
	v_xor_b32_e32 v41, vcc_lo, v41
	ds_read_b32 v189, v189 offset:544
	v_add_nc_u32_e32 v192, v116, v40
	v_and_b32_e32 v39, v39, v42
	; wave barrier
	v_and_b32_e32 v39, v39, v41
	v_mbcnt_lo_u32_b32 v190, v39, 0
	v_cmp_ne_u32_e64 s22, 0, v39
	v_cmp_eq_u32_e32 vcc_lo, 0, v190
	s_and_b32 s23, s22, vcc_lo
	s_and_saveexec_b32 s22, s23
	s_cbranch_execz .LBB297_1085
; %bb.1084:                             ;   in Loop: Header=BB297_1032 Depth=2
	s_waitcnt lgkmcnt(0)
	v_bcnt_u32_b32 v39, v39, v189
	ds_write_b32 v192, v39 offset:544
.LBB297_1085:                           ;   in Loop: Header=BB297_1032 Depth=2
	s_or_b32 exec_lo, exec_lo, s22
	v_lshrrev_b32_e32 v191, 24, v3
	; wave barrier
	v_lshrrev_b32_e32 v39, s41, v191
	v_and_b32_e32 v40, s62, v39
	v_and_b32_e32 v39, 1, v40
	v_lshlrev_b32_e32 v41, 30, v40
	v_lshlrev_b32_e32 v42, 29, v40
	;; [unrolled: 1-line block ×4, first 2 shown]
	v_add_co_u32 v39, s22, v39, -1
	v_cndmask_b32_e64 v193, 0, 1, s22
	v_not_b32_e32 v197, v41
	v_cmp_gt_i32_e64 s22, 0, v41
	v_not_b32_e32 v41, v42
	v_lshlrev_b32_e32 v196, 26, v40
	v_cmp_ne_u32_e32 vcc_lo, 0, v193
	v_ashrrev_i32_e32 v197, 31, v197
	v_lshlrev_b32_e32 v193, 25, v40
	v_ashrrev_i32_e32 v41, 31, v41
	v_xor_b32_e32 v39, vcc_lo, v39
	v_cmp_gt_i32_e32 vcc_lo, 0, v42
	v_not_b32_e32 v42, v194
	v_xor_b32_e32 v197, s22, v197
	v_cmp_gt_i32_e64 s22, 0, v194
	v_and_b32_e32 v39, exec_lo, v39
	v_not_b32_e32 v194, v195
	v_ashrrev_i32_e32 v42, 31, v42
	v_xor_b32_e32 v41, vcc_lo, v41
	v_cmp_gt_i32_e32 vcc_lo, 0, v195
	v_and_b32_e32 v39, v39, v197
	v_not_b32_e32 v195, v196
	v_ashrrev_i32_e32 v194, 31, v194
	v_xor_b32_e32 v42, s22, v42
	v_cmp_gt_i32_e64 s22, 0, v196
	v_and_b32_e32 v39, v39, v41
	v_not_b32_e32 v41, v193
	v_ashrrev_i32_e32 v195, 31, v195
	v_xor_b32_e32 v194, vcc_lo, v194
	v_cmp_gt_i32_e32 vcc_lo, 0, v193
	v_and_b32_e32 v39, v39, v42
	v_ashrrev_i32_e32 v41, 31, v41
	v_xor_b32_e32 v42, s22, v195
	v_mad_u32_u24 v193, v40, 36, v116
	v_mul_u32_u24_e32 v40, 36, v40
	v_and_b32_e32 v39, v39, v194
	v_xor_b32_e32 v41, vcc_lo, v41
	ds_read_b32 v193, v193 offset:544
	v_add_nc_u32_e32 v195, v116, v40
	v_and_b32_e32 v39, v39, v42
	; wave barrier
	v_and_b32_e32 v39, v39, v41
	v_mbcnt_lo_u32_b32 v194, v39, 0
	v_cmp_ne_u32_e64 s22, 0, v39
	v_cmp_eq_u32_e32 vcc_lo, 0, v194
	s_and_b32 s23, s22, vcc_lo
	s_and_saveexec_b32 s22, s23
	s_cbranch_execz .LBB297_1087
; %bb.1086:                             ;   in Loop: Header=BB297_1032 Depth=2
	s_waitcnt lgkmcnt(0)
	v_bcnt_u32_b32 v39, v39, v193
	ds_write_b32 v195, v39 offset:544
.LBB297_1087:                           ;   in Loop: Header=BB297_1032 Depth=2
	s_or_b32 exec_lo, exec_lo, s22
	v_xor_b32_e32 v117, 0x7f, v117
	; wave barrier
	v_lshrrev_b32_sdwa v39, s41, v117 dst_sel:DWORD dst_unused:UNUSED_PAD src0_sel:DWORD src1_sel:BYTE_0
	v_and_b32_e32 v40, s62, v39
	v_and_b32_e32 v39, 1, v40
	v_lshlrev_b32_e32 v41, 30, v40
	v_lshlrev_b32_e32 v42, 29, v40
	;; [unrolled: 1-line block ×4, first 2 shown]
	v_add_co_u32 v39, s22, v39, -1
	v_cndmask_b32_e64 v196, 0, 1, s22
	v_not_b32_e32 v200, v41
	v_cmp_gt_i32_e64 s22, 0, v41
	v_not_b32_e32 v41, v42
	v_lshlrev_b32_e32 v199, 26, v40
	v_cmp_ne_u32_e32 vcc_lo, 0, v196
	v_ashrrev_i32_e32 v200, 31, v200
	v_lshlrev_b32_e32 v196, 25, v40
	v_ashrrev_i32_e32 v41, 31, v41
	v_xor_b32_e32 v39, vcc_lo, v39
	v_cmp_gt_i32_e32 vcc_lo, 0, v42
	v_not_b32_e32 v42, v197
	v_xor_b32_e32 v200, s22, v200
	v_cmp_gt_i32_e64 s22, 0, v197
	v_and_b32_e32 v39, exec_lo, v39
	v_not_b32_e32 v197, v198
	v_ashrrev_i32_e32 v42, 31, v42
	v_xor_b32_e32 v41, vcc_lo, v41
	v_cmp_gt_i32_e32 vcc_lo, 0, v198
	v_and_b32_e32 v39, v39, v200
	v_not_b32_e32 v198, v199
	v_ashrrev_i32_e32 v197, 31, v197
	v_xor_b32_e32 v42, s22, v42
	v_cmp_gt_i32_e64 s22, 0, v199
	v_and_b32_e32 v39, v39, v41
	v_not_b32_e32 v41, v196
	v_ashrrev_i32_e32 v198, 31, v198
	v_xor_b32_e32 v197, vcc_lo, v197
	v_cmp_gt_i32_e32 vcc_lo, 0, v196
	v_and_b32_e32 v39, v39, v42
	v_ashrrev_i32_e32 v41, 31, v41
	v_xor_b32_e32 v42, s22, v198
	v_mad_u32_u24 v196, v40, 36, v116
	v_mul_u32_u24_e32 v40, 36, v40
	v_and_b32_e32 v39, v39, v197
	v_xor_b32_e32 v41, vcc_lo, v41
	ds_read_b32 v196, v196 offset:544
	v_add_nc_u32_e32 v198, v116, v40
	v_and_b32_e32 v39, v39, v42
	; wave barrier
	v_and_b32_e32 v39, v39, v41
	v_mbcnt_lo_u32_b32 v197, v39, 0
	v_cmp_ne_u32_e64 s22, 0, v39
	v_cmp_eq_u32_e32 vcc_lo, 0, v197
	s_and_b32 s23, s22, vcc_lo
	s_and_saveexec_b32 s22, s23
	s_cbranch_execz .LBB297_1089
; %bb.1088:                             ;   in Loop: Header=BB297_1032 Depth=2
	s_waitcnt lgkmcnt(0)
	v_bcnt_u32_b32 v39, v39, v196
	ds_write_b32 v198, v39 offset:544
.LBB297_1089:                           ;   in Loop: Header=BB297_1032 Depth=2
	s_or_b32 exec_lo, exec_lo, s22
	; wave barrier
	s_waitcnt lgkmcnt(0)
	s_barrier
	buffer_gl0_inv
	ds_read2_b32 v[41:42], v69 offset0:136 offset1:137
	ds_read2_b32 v[39:40], v69 offset0:138 offset1:139
	ds_read_b32 v199, v69 offset:560
	s_waitcnt lgkmcnt(1)
	v_add3_u32 v200, v42, v41, v39
	s_waitcnt lgkmcnt(0)
	v_add3_u32 v199, v200, v40, v199
	v_mov_b32_dpp v200, v199 row_shr:1 row_mask:0xf bank_mask:0xf
	v_cndmask_b32_e64 v200, v200, 0, s5
	v_add_nc_u32_e32 v199, v200, v199
	v_mov_b32_dpp v200, v199 row_shr:2 row_mask:0xf bank_mask:0xf
	v_cndmask_b32_e64 v200, 0, v200, s14
	v_add_nc_u32_e32 v199, v199, v200
	;; [unrolled: 3-line block ×4, first 2 shown]
	ds_swizzle_b32 v200, v199 offset:swizzle(BROADCAST,32,15)
	s_waitcnt lgkmcnt(0)
	v_cndmask_b32_e64 v200, v200, 0, s17
	v_add_nc_u32_e32 v199, v199, v200
	s_and_saveexec_b32 s22, s4
; %bb.1090:                             ;   in Loop: Header=BB297_1032 Depth=2
	ds_write_b32 v62, v199 offset:512
; %bb.1091:                             ;   in Loop: Header=BB297_1032 Depth=2
	s_or_b32 exec_lo, exec_lo, s22
	s_waitcnt lgkmcnt(0)
	s_barrier
	buffer_gl0_inv
	s_and_saveexec_b32 s22, s11
	s_cbranch_execz .LBB297_1093
; %bb.1092:                             ;   in Loop: Header=BB297_1032 Depth=2
	ds_read_b32 v200, v70 offset:512
	s_waitcnt lgkmcnt(0)
	v_mov_b32_dpp v201, v200 row_shr:1 row_mask:0xf bank_mask:0xf
	v_cndmask_b32_e64 v201, v201, 0, s19
	v_add_nc_u32_e32 v200, v201, v200
	v_mov_b32_dpp v201, v200 row_shr:2 row_mask:0xf bank_mask:0xf
	v_cndmask_b32_e64 v201, 0, v201, s20
	v_add_nc_u32_e32 v200, v200, v201
	;; [unrolled: 3-line block ×3, first 2 shown]
	ds_write_b32 v70, v200 offset:512
.LBB297_1093:                           ;   in Loop: Header=BB297_1032 Depth=2
	s_or_b32 exec_lo, exec_lo, s22
	v_mov_b32_e32 v200, 0
	s_waitcnt lgkmcnt(0)
	s_barrier
	buffer_gl0_inv
	s_and_saveexec_b32 s22, s10
; %bb.1094:                             ;   in Loop: Header=BB297_1032 Depth=2
	ds_read_b32 v200, v62 offset:508
; %bb.1095:                             ;   in Loop: Header=BB297_1032 Depth=2
	s_or_b32 exec_lo, exec_lo, s22
	s_waitcnt lgkmcnt(0)
	v_add_nc_u32_e32 v199, v200, v199
	ds_bpermute_b32 v199, v94, v199
	s_waitcnt lgkmcnt(0)
	v_cndmask_b32_e64 v199, v199, v200, s18
	v_cndmask_b32_e64 v199, v199, 0, s12
	v_add_nc_u32_e32 v41, v199, v41
	v_add_nc_u32_e32 v42, v41, v42
	;; [unrolled: 1-line block ×4, first 2 shown]
	ds_write2_b32 v69, v199, v41 offset0:136 offset1:137
	ds_write2_b32 v69, v42, v39 offset0:138 offset1:139
	ds_write_b32 v69, v40 offset:560
	s_waitcnt lgkmcnt(0)
	s_barrier
	buffer_gl0_inv
	ds_read_b32 v39, v149 offset:544
	ds_read_b32 v40, v153 offset:544
	;; [unrolled: 1-line block ×17, first 2 shown]
	s_and_saveexec_b32 s22, s7
	s_cbranch_execz .LBB297_1099
; %bb.1096:                             ;   in Loop: Header=BB297_1032 Depth=2
	v_add_nc_u32_e32 v135, v70, v72
	v_mov_b32_e32 v136, 0x1100
	ds_read_b32 v135, v135 offset:544
	s_and_saveexec_b32 s23, s13
; %bb.1097:                             ;   in Loop: Header=BB297_1032 Depth=2
	ds_read_b32 v136, v71 offset:544
; %bb.1098:                             ;   in Loop: Header=BB297_1032 Depth=2
	s_or_b32 exec_lo, exec_lo, s23
	s_waitcnt lgkmcnt(0)
	v_sub_nc_u32_e32 v136, v136, v135
.LBB297_1099:                           ;   in Loop: Header=BB297_1032 Depth=2
	s_or_b32 exec_lo, exec_lo, s22
	v_lshrrev_b32_e32 v203, 8, v148
	v_lshrrev_b32_e32 v204, 16, v148
	;; [unrolled: 1-line block ×8, first 2 shown]
	s_waitcnt lgkmcnt(0)
	s_barrier
	buffer_gl0_inv
	s_and_saveexec_b32 s22, s7
	s_cbranch_execz .LBB297_1101
; %bb.1100:                             ;   in Loop: Header=BB297_1032 Depth=2
	ds_read_b32 v3, v43
	s_waitcnt lgkmcnt(0)
	v_sub_nc_u32_e32 v3, v3, v135
	ds_write_b32 v43, v3
.LBB297_1101:                           ;   in Loop: Header=BB297_1032 Depth=2
	s_or_b32 exec_lo, exec_lo, s22
	v_add_nc_u32_e32 v157, v39, v146
	v_add3_u32 v153, v152, v151, v40
	v_add3_u32 v152, v155, v154, v41
	;; [unrolled: 1-line block ×16, first 2 shown]
	v_cmp_lt_u32_e64 s38, v0, v138
	ds_write_b8 v157, v147 offset:512
	ds_write_b8 v153, v203 offset:512
	;; [unrolled: 1-line block ×17, first 2 shown]
	s_waitcnt lgkmcnt(0)
	s_barrier
	buffer_gl0_inv
	s_and_saveexec_b32 s22, s38
	s_cbranch_execnz .LBB297_1174
; %bb.1102:                             ;   in Loop: Header=BB297_1032 Depth=2
	s_or_b32 exec_lo, exec_lo, s22
	v_cmp_lt_u32_e64 s39, v44, v138
	s_and_saveexec_b32 s22, s39
	s_cbranch_execnz .LBB297_1175
.LBB297_1103:                           ;   in Loop: Header=BB297_1032 Depth=2
	s_or_b32 exec_lo, exec_lo, s22
	v_cmp_lt_u32_e64 s37, v47, v138
	s_and_saveexec_b32 s22, s37
	s_cbranch_execnz .LBB297_1176
.LBB297_1104:                           ;   in Loop: Header=BB297_1032 Depth=2
	s_or_b32 exec_lo, exec_lo, s22
	v_cmp_lt_u32_e64 s36, v48, v138
	s_and_saveexec_b32 s22, s36
	s_cbranch_execnz .LBB297_1177
.LBB297_1105:                           ;   in Loop: Header=BB297_1032 Depth=2
	s_or_b32 exec_lo, exec_lo, s22
	v_cmp_lt_u32_e64 s35, v49, v138
	s_and_saveexec_b32 s22, s35
	s_cbranch_execnz .LBB297_1178
.LBB297_1106:                           ;   in Loop: Header=BB297_1032 Depth=2
	s_or_b32 exec_lo, exec_lo, s22
	v_cmp_lt_u32_e64 s34, v50, v138
	s_and_saveexec_b32 s22, s34
	s_cbranch_execnz .LBB297_1179
.LBB297_1107:                           ;   in Loop: Header=BB297_1032 Depth=2
	s_or_b32 exec_lo, exec_lo, s22
	v_cmp_lt_u32_e64 s33, v51, v138
	s_and_saveexec_b32 s22, s33
	s_cbranch_execnz .LBB297_1180
.LBB297_1108:                           ;   in Loop: Header=BB297_1032 Depth=2
	s_or_b32 exec_lo, exec_lo, s22
	v_cmp_lt_u32_e64 s31, v52, v138
	s_and_saveexec_b32 s22, s31
	s_cbranch_execnz .LBB297_1181
.LBB297_1109:                           ;   in Loop: Header=BB297_1032 Depth=2
	s_or_b32 exec_lo, exec_lo, s22
	v_cmp_lt_u32_e64 s30, v53, v138
	s_and_saveexec_b32 s22, s30
	s_cbranch_execnz .LBB297_1182
.LBB297_1110:                           ;   in Loop: Header=BB297_1032 Depth=2
	s_or_b32 exec_lo, exec_lo, s22
	v_cmp_lt_u32_e64 s29, v54, v138
	s_and_saveexec_b32 s22, s29
	s_cbranch_execnz .LBB297_1183
.LBB297_1111:                           ;   in Loop: Header=BB297_1032 Depth=2
	s_or_b32 exec_lo, exec_lo, s22
	v_cmp_lt_u32_e64 s27, v55, v138
	s_and_saveexec_b32 s22, s27
	s_cbranch_execnz .LBB297_1184
.LBB297_1112:                           ;   in Loop: Header=BB297_1032 Depth=2
	s_or_b32 exec_lo, exec_lo, s22
	v_cmp_lt_u32_e64 s26, v56, v138
	s_and_saveexec_b32 s22, s26
	s_cbranch_execnz .LBB297_1185
.LBB297_1113:                           ;   in Loop: Header=BB297_1032 Depth=2
	s_or_b32 exec_lo, exec_lo, s22
	v_cmp_lt_u32_e64 s25, v57, v138
	s_and_saveexec_b32 s22, s25
	s_cbranch_execnz .LBB297_1186
.LBB297_1114:                           ;   in Loop: Header=BB297_1032 Depth=2
	s_or_b32 exec_lo, exec_lo, s22
	v_cmp_lt_u32_e64 s24, v58, v138
	s_and_saveexec_b32 s22, s24
	s_cbranch_execnz .LBB297_1187
.LBB297_1115:                           ;   in Loop: Header=BB297_1032 Depth=2
	s_or_b32 exec_lo, exec_lo, s22
	v_cmp_lt_u32_e64 s23, v59, v138
	s_and_saveexec_b32 s22, s23
	s_cbranch_execnz .LBB297_1188
.LBB297_1116:                           ;   in Loop: Header=BB297_1032 Depth=2
	s_or_b32 exec_lo, exec_lo, s22
	v_cmp_lt_u32_e64 s22, v60, v138
	s_and_saveexec_b32 s40, s22
	s_cbranch_execnz .LBB297_1189
.LBB297_1117:                           ;   in Loop: Header=BB297_1032 Depth=2
	s_or_b32 exec_lo, exec_lo, s40
	v_cmp_lt_u32_e32 vcc_lo, v61, v138
	s_and_saveexec_b32 s40, vcc_lo
	s_cbranch_execz .LBB297_1119
.LBB297_1118:                           ;   in Loop: Header=BB297_1032 Depth=2
	ds_read_u8 v39, v0 offset:4608
	s_waitcnt lgkmcnt(0)
	v_lshrrev_b32_sdwa v40, s41, v39 dst_sel:DWORD dst_unused:UNUSED_PAD src0_sel:DWORD src1_sel:BYTE_0
	v_xor_b32_e32 v39, 0x7f, v39
	v_and_b32_e32 v40, s62, v40
	v_lshlrev_b32_e32 v40, 2, v40
	ds_read_b32 v40, v40
	s_waitcnt lgkmcnt(0)
	v_add_nc_u32_e32 v40, v40, v61
	global_store_byte v40, v39, s[48:49]
.LBB297_1119:                           ;   in Loop: Header=BB297_1032 Depth=2
	s_or_b32 exec_lo, exec_lo, s40
	s_lshl_b64 s[66:67], s[50:51], 3
	v_add_co_u32 v39, s40, v98, s66
	v_add_co_ci_u32_e64 v40, null, s67, v99, s40
	v_cmp_lt_u32_e64 s40, v95, v138
	s_and_saveexec_b32 s50, s40
	s_xor_b32 s40, exec_lo, s50
	s_cbranch_execnz .LBB297_1190
; %bb.1120:                             ;   in Loop: Header=BB297_1032 Depth=2
	s_or_b32 exec_lo, exec_lo, s40
	s_mov_b32 s50, exec_lo
	v_cmpx_lt_u32_e64 v100, v138
	s_cbranch_execnz .LBB297_1191
.LBB297_1121:                           ;   in Loop: Header=BB297_1032 Depth=2
	s_or_b32 exec_lo, exec_lo, s50
	s_mov_b32 s50, exec_lo
	v_cmpx_lt_u32_e64 v101, v138
	s_cbranch_execnz .LBB297_1192
.LBB297_1122:                           ;   in Loop: Header=BB297_1032 Depth=2
	s_or_b32 exec_lo, exec_lo, s50
	s_mov_b32 s50, exec_lo
	v_cmpx_lt_u32_e64 v102, v138
	s_cbranch_execnz .LBB297_1193
.LBB297_1123:                           ;   in Loop: Header=BB297_1032 Depth=2
	s_or_b32 exec_lo, exec_lo, s50
	s_mov_b32 s50, exec_lo
	v_cmpx_lt_u32_e64 v103, v138
	s_cbranch_execnz .LBB297_1194
.LBB297_1124:                           ;   in Loop: Header=BB297_1032 Depth=2
	s_or_b32 exec_lo, exec_lo, s50
	s_mov_b32 s50, exec_lo
	v_cmpx_lt_u32_e64 v104, v138
	s_cbranch_execnz .LBB297_1195
.LBB297_1125:                           ;   in Loop: Header=BB297_1032 Depth=2
	s_or_b32 exec_lo, exec_lo, s50
	s_mov_b32 s50, exec_lo
	v_cmpx_lt_u32_e64 v105, v138
	s_cbranch_execnz .LBB297_1196
.LBB297_1126:                           ;   in Loop: Header=BB297_1032 Depth=2
	s_or_b32 exec_lo, exec_lo, s50
	s_mov_b32 s50, exec_lo
	v_cmpx_lt_u32_e64 v106, v138
	s_cbranch_execnz .LBB297_1197
.LBB297_1127:                           ;   in Loop: Header=BB297_1032 Depth=2
	s_or_b32 exec_lo, exec_lo, s50
	s_mov_b32 s50, exec_lo
	v_cmpx_lt_u32_e64 v107, v138
	s_cbranch_execnz .LBB297_1198
.LBB297_1128:                           ;   in Loop: Header=BB297_1032 Depth=2
	s_or_b32 exec_lo, exec_lo, s50
	s_mov_b32 s50, exec_lo
	v_cmpx_lt_u32_e64 v108, v138
	s_cbranch_execnz .LBB297_1199
.LBB297_1129:                           ;   in Loop: Header=BB297_1032 Depth=2
	s_or_b32 exec_lo, exec_lo, s50
	s_mov_b32 s50, exec_lo
	v_cmpx_lt_u32_e64 v109, v138
	s_cbranch_execnz .LBB297_1200
.LBB297_1130:                           ;   in Loop: Header=BB297_1032 Depth=2
	s_or_b32 exec_lo, exec_lo, s50
	s_mov_b32 s50, exec_lo
	v_cmpx_lt_u32_e64 v110, v138
	s_cbranch_execnz .LBB297_1201
.LBB297_1131:                           ;   in Loop: Header=BB297_1032 Depth=2
	s_or_b32 exec_lo, exec_lo, s50
	s_mov_b32 s50, exec_lo
	v_cmpx_lt_u32_e64 v111, v138
	s_cbranch_execnz .LBB297_1202
.LBB297_1132:                           ;   in Loop: Header=BB297_1032 Depth=2
	s_or_b32 exec_lo, exec_lo, s50
	s_mov_b32 s50, exec_lo
	v_cmpx_lt_u32_e64 v112, v138
	s_cbranch_execnz .LBB297_1203
.LBB297_1133:                           ;   in Loop: Header=BB297_1032 Depth=2
	s_or_b32 exec_lo, exec_lo, s50
	s_mov_b32 s50, exec_lo
	v_cmpx_lt_u32_e64 v113, v138
	s_cbranch_execnz .LBB297_1204
.LBB297_1134:                           ;   in Loop: Header=BB297_1032 Depth=2
	s_or_b32 exec_lo, exec_lo, s50
	s_mov_b32 s50, exec_lo
	v_cmpx_lt_u32_e64 v114, v138
	s_cbranch_execnz .LBB297_1205
.LBB297_1135:                           ;   in Loop: Header=BB297_1032 Depth=2
	s_or_b32 exec_lo, exec_lo, s50
	s_mov_b32 s50, exec_lo
	v_cmpx_lt_u32_e64 v115, v138
	s_cbranch_execnz .LBB297_1206
.LBB297_1136:                           ;   in Loop: Header=BB297_1032 Depth=2
	s_or_b32 exec_lo, exec_lo, s50
	s_and_saveexec_b32 s40, s38
	s_cbranch_execnz .LBB297_1207
.LBB297_1137:                           ;   in Loop: Header=BB297_1032 Depth=2
	s_or_b32 exec_lo, exec_lo, s40
	s_and_saveexec_b32 s40, s39
	s_cbranch_execnz .LBB297_1208
.LBB297_1138:                           ;   in Loop: Header=BB297_1032 Depth=2
	s_or_b32 exec_lo, exec_lo, s40
	s_and_saveexec_b32 s40, s37
	s_cbranch_execnz .LBB297_1209
.LBB297_1139:                           ;   in Loop: Header=BB297_1032 Depth=2
	s_or_b32 exec_lo, exec_lo, s40
	s_and_saveexec_b32 s40, s36
	s_cbranch_execnz .LBB297_1210
.LBB297_1140:                           ;   in Loop: Header=BB297_1032 Depth=2
	s_or_b32 exec_lo, exec_lo, s40
	s_and_saveexec_b32 s40, s35
	s_cbranch_execnz .LBB297_1211
.LBB297_1141:                           ;   in Loop: Header=BB297_1032 Depth=2
	s_or_b32 exec_lo, exec_lo, s40
	s_and_saveexec_b32 s40, s34
	s_cbranch_execnz .LBB297_1212
.LBB297_1142:                           ;   in Loop: Header=BB297_1032 Depth=2
	s_or_b32 exec_lo, exec_lo, s40
	s_and_saveexec_b32 s40, s33
	s_cbranch_execnz .LBB297_1213
.LBB297_1143:                           ;   in Loop: Header=BB297_1032 Depth=2
	s_or_b32 exec_lo, exec_lo, s40
	s_and_saveexec_b32 s40, s31
	s_cbranch_execnz .LBB297_1214
.LBB297_1144:                           ;   in Loop: Header=BB297_1032 Depth=2
	s_or_b32 exec_lo, exec_lo, s40
	s_and_saveexec_b32 s40, s30
	s_cbranch_execnz .LBB297_1215
.LBB297_1145:                           ;   in Loop: Header=BB297_1032 Depth=2
	s_or_b32 exec_lo, exec_lo, s40
	s_and_saveexec_b32 s40, s29
	s_cbranch_execnz .LBB297_1216
.LBB297_1146:                           ;   in Loop: Header=BB297_1032 Depth=2
	s_or_b32 exec_lo, exec_lo, s40
	s_and_saveexec_b32 s40, s27
	s_cbranch_execnz .LBB297_1217
.LBB297_1147:                           ;   in Loop: Header=BB297_1032 Depth=2
	s_or_b32 exec_lo, exec_lo, s40
	s_and_saveexec_b32 s40, s26
	s_cbranch_execnz .LBB297_1218
.LBB297_1148:                           ;   in Loop: Header=BB297_1032 Depth=2
	s_or_b32 exec_lo, exec_lo, s40
	s_and_saveexec_b32 s40, s25
	s_cbranch_execnz .LBB297_1219
.LBB297_1149:                           ;   in Loop: Header=BB297_1032 Depth=2
	s_or_b32 exec_lo, exec_lo, s40
	s_and_saveexec_b32 s40, s24
	s_cbranch_execnz .LBB297_1220
.LBB297_1150:                           ;   in Loop: Header=BB297_1032 Depth=2
	s_or_b32 exec_lo, exec_lo, s40
	s_and_saveexec_b32 s40, s23
	s_cbranch_execnz .LBB297_1221
.LBB297_1151:                           ;   in Loop: Header=BB297_1032 Depth=2
	s_or_b32 exec_lo, exec_lo, s40
	s_and_saveexec_b32 s40, s22
	s_cbranch_execnz .LBB297_1222
.LBB297_1152:                           ;   in Loop: Header=BB297_1032 Depth=2
	s_or_b32 exec_lo, exec_lo, s40
	s_and_saveexec_b32 s40, vcc_lo
	s_cbranch_execz .LBB297_1154
.LBB297_1153:                           ;   in Loop: Header=BB297_1032 Depth=2
	ds_read_u8 v39, v0 offset:4608
	s_waitcnt lgkmcnt(0)
	v_lshrrev_b32_e32 v39, s41, v39
	v_and_b32_e32 v118, s62, v39
.LBB297_1154:                           ;   in Loop: Header=BB297_1032 Depth=2
	s_or_b32 exec_lo, exec_lo, s40
	v_lshlrev_b32_e32 v39, 3, v157
	s_waitcnt vmcnt(0)
	s_waitcnt_vscnt null, 0x0
	v_lshlrev_b32_e32 v40, 3, v153
	s_barrier
	buffer_gl0_inv
	ds_write_b64 v39, v[37:38] offset:512
	v_lshlrev_b32_e32 v39, 3, v152
	ds_write_b64 v40, v[35:36] offset:512
	v_lshlrev_b32_e32 v40, 3, v151
	v_lshlrev_b32_e32 v138, 3, v150
	;; [unrolled: 1-line block ×3, first 2 shown]
	ds_write_b64 v39, v[33:34] offset:512
	v_lshlrev_b32_e32 v39, 3, v148
	ds_write_b64 v40, v[31:32] offset:512
	ds_write_b64 v138, v[29:30] offset:512
	ds_write_b64 v139, v[25:26] offset:512
	v_lshlrev_b32_e32 v40, 3, v146
	v_lshlrev_b32_e32 v138, 3, v144
	;; [unrolled: 1-line block ×3, first 2 shown]
	ds_write_b64 v39, v[21:22] offset:512
	v_lshlrev_b32_e32 v39, 3, v145
	ds_write_b64 v40, v[17:18] offset:512
	v_lshlrev_b32_e32 v40, 3, v141
	ds_write_b64 v39, v[27:28] offset:512
	ds_write_b64 v138, v[23:24] offset:512
	;; [unrolled: 1-line block ×3, first 2 shown]
	v_lshlrev_b32_e32 v39, 3, v140
	ds_write_b64 v40, v[15:16] offset:512
	v_lshlrev_b32_e32 v40, 3, v137
	v_lshlrev_b32_e32 v3, 3, v3
	;; [unrolled: 1-line block ×3, first 2 shown]
	ds_write_b64 v39, v[13:14] offset:512
	v_add_nc_u32_e32 v39, v0, v75
	v_lshlrev_b32_e32 v41, 3, v41
	ds_write_b64 v40, v[11:12] offset:512
	ds_write_b64 v42, v[9:10] offset:512
	;; [unrolled: 1-line block ×4, first 2 shown]
	s_waitcnt lgkmcnt(0)
	s_barrier
	buffer_gl0_inv
	s_and_saveexec_b32 s40, s38
	s_cbranch_execnz .LBB297_1223
; %bb.1155:                             ;   in Loop: Header=BB297_1032 Depth=2
	s_or_b32 exec_lo, exec_lo, s40
	s_and_saveexec_b32 s40, s39
	s_cbranch_execnz .LBB297_1224
.LBB297_1156:                           ;   in Loop: Header=BB297_1032 Depth=2
	s_or_b32 exec_lo, exec_lo, s40
	s_and_saveexec_b32 s38, s37
	s_cbranch_execnz .LBB297_1225
.LBB297_1157:                           ;   in Loop: Header=BB297_1032 Depth=2
	s_or_b32 exec_lo, exec_lo, s38
	s_and_saveexec_b32 s37, s36
	s_cbranch_execnz .LBB297_1226
.LBB297_1158:                           ;   in Loop: Header=BB297_1032 Depth=2
	s_or_b32 exec_lo, exec_lo, s37
	s_and_saveexec_b32 s36, s35
	s_cbranch_execnz .LBB297_1227
.LBB297_1159:                           ;   in Loop: Header=BB297_1032 Depth=2
	s_or_b32 exec_lo, exec_lo, s36
	s_and_saveexec_b32 s35, s34
	s_cbranch_execnz .LBB297_1228
.LBB297_1160:                           ;   in Loop: Header=BB297_1032 Depth=2
	s_or_b32 exec_lo, exec_lo, s35
	s_and_saveexec_b32 s34, s33
	s_cbranch_execnz .LBB297_1229
.LBB297_1161:                           ;   in Loop: Header=BB297_1032 Depth=2
	s_or_b32 exec_lo, exec_lo, s34
	s_and_saveexec_b32 s33, s31
	s_cbranch_execnz .LBB297_1230
.LBB297_1162:                           ;   in Loop: Header=BB297_1032 Depth=2
	s_or_b32 exec_lo, exec_lo, s33
	s_and_saveexec_b32 s31, s30
	s_cbranch_execnz .LBB297_1231
.LBB297_1163:                           ;   in Loop: Header=BB297_1032 Depth=2
	s_or_b32 exec_lo, exec_lo, s31
	s_and_saveexec_b32 s30, s29
	s_cbranch_execnz .LBB297_1232
.LBB297_1164:                           ;   in Loop: Header=BB297_1032 Depth=2
	s_or_b32 exec_lo, exec_lo, s30
	s_and_saveexec_b32 s29, s27
	s_cbranch_execnz .LBB297_1233
.LBB297_1165:                           ;   in Loop: Header=BB297_1032 Depth=2
	s_or_b32 exec_lo, exec_lo, s29
	s_and_saveexec_b32 s27, s26
	s_cbranch_execnz .LBB297_1234
.LBB297_1166:                           ;   in Loop: Header=BB297_1032 Depth=2
	s_or_b32 exec_lo, exec_lo, s27
	s_and_saveexec_b32 s26, s25
	s_cbranch_execnz .LBB297_1235
.LBB297_1167:                           ;   in Loop: Header=BB297_1032 Depth=2
	s_or_b32 exec_lo, exec_lo, s26
	s_and_saveexec_b32 s25, s24
	s_cbranch_execnz .LBB297_1236
.LBB297_1168:                           ;   in Loop: Header=BB297_1032 Depth=2
	s_or_b32 exec_lo, exec_lo, s25
	s_and_saveexec_b32 s24, s23
	s_cbranch_execnz .LBB297_1237
.LBB297_1169:                           ;   in Loop: Header=BB297_1032 Depth=2
	s_or_b32 exec_lo, exec_lo, s24
	s_and_saveexec_b32 s23, s22
	s_cbranch_execnz .LBB297_1238
.LBB297_1170:                           ;   in Loop: Header=BB297_1032 Depth=2
	s_or_b32 exec_lo, exec_lo, s23
	s_and_saveexec_b32 s22, vcc_lo
	s_cbranch_execz .LBB297_1172
.LBB297_1171:                           ;   in Loop: Header=BB297_1032 Depth=2
	v_lshlrev_b32_e32 v3, 2, v118
	ds_read_b32 v3, v3
	ds_read_b64 v[39:40], v39 offset:33280
	s_waitcnt lgkmcnt(1)
	v_add_nc_u32_e32 v3, v3, v61
	v_lshlrev_b64 v[41:42], 3, v[3:4]
	v_add_co_u32 v41, vcc_lo, s54, v41
	v_add_co_ci_u32_e64 v42, null, s55, v42, vcc_lo
	s_waitcnt lgkmcnt(0)
	global_store_dwordx2 v[41:42], v[39:40], off
.LBB297_1172:                           ;   in Loop: Header=BB297_1032 Depth=2
	s_or_b32 exec_lo, exec_lo, s22
	s_waitcnt_vscnt null, 0x0
	s_barrier
	buffer_gl0_inv
	s_and_saveexec_b32 s22, s7
	s_cbranch_execz .LBB297_1031
; %bb.1173:                             ;   in Loop: Header=BB297_1032 Depth=2
	ds_read_b32 v3, v43
	s_waitcnt lgkmcnt(0)
	v_add3_u32 v3, v135, v136, v3
	ds_write_b32 v43, v3
	s_branch .LBB297_1031
.LBB297_1174:                           ;   in Loop: Header=BB297_1032 Depth=2
	ds_read_u8 v39, v0 offset:512
	s_waitcnt lgkmcnt(0)
	v_lshrrev_b32_sdwa v40, s41, v39 dst_sel:DWORD dst_unused:UNUSED_PAD src0_sel:DWORD src1_sel:BYTE_0
	v_xor_b32_e32 v39, 0x7f, v39
	v_and_b32_e32 v40, s62, v40
	v_lshlrev_b32_e32 v40, 2, v40
	ds_read_b32 v40, v40
	s_waitcnt lgkmcnt(0)
	v_add_nc_u32_e32 v40, v40, v0
	global_store_byte v40, v39, s[48:49]
	s_or_b32 exec_lo, exec_lo, s22
	v_cmp_lt_u32_e64 s39, v44, v138
	s_and_saveexec_b32 s22, s39
	s_cbranch_execz .LBB297_1103
.LBB297_1175:                           ;   in Loop: Header=BB297_1032 Depth=2
	ds_read_u8 v39, v0 offset:768
	s_waitcnt lgkmcnt(0)
	v_lshrrev_b32_sdwa v40, s41, v39 dst_sel:DWORD dst_unused:UNUSED_PAD src0_sel:DWORD src1_sel:BYTE_0
	v_xor_b32_e32 v39, 0x7f, v39
	v_and_b32_e32 v40, s62, v40
	v_lshlrev_b32_e32 v40, 2, v40
	ds_read_b32 v40, v40
	s_waitcnt lgkmcnt(0)
	v_add_nc_u32_e32 v40, v40, v44
	global_store_byte v40, v39, s[48:49]
	s_or_b32 exec_lo, exec_lo, s22
	v_cmp_lt_u32_e64 s37, v47, v138
	s_and_saveexec_b32 s22, s37
	s_cbranch_execz .LBB297_1104
.LBB297_1176:                           ;   in Loop: Header=BB297_1032 Depth=2
	ds_read_u8 v39, v0 offset:1024
	s_waitcnt lgkmcnt(0)
	v_lshrrev_b32_sdwa v40, s41, v39 dst_sel:DWORD dst_unused:UNUSED_PAD src0_sel:DWORD src1_sel:BYTE_0
	v_xor_b32_e32 v39, 0x7f, v39
	v_and_b32_e32 v40, s62, v40
	v_lshlrev_b32_e32 v40, 2, v40
	ds_read_b32 v40, v40
	s_waitcnt lgkmcnt(0)
	v_add_nc_u32_e32 v40, v40, v47
	global_store_byte v40, v39, s[48:49]
	s_or_b32 exec_lo, exec_lo, s22
	v_cmp_lt_u32_e64 s36, v48, v138
	s_and_saveexec_b32 s22, s36
	s_cbranch_execz .LBB297_1105
.LBB297_1177:                           ;   in Loop: Header=BB297_1032 Depth=2
	ds_read_u8 v39, v0 offset:1280
	s_waitcnt lgkmcnt(0)
	v_lshrrev_b32_sdwa v40, s41, v39 dst_sel:DWORD dst_unused:UNUSED_PAD src0_sel:DWORD src1_sel:BYTE_0
	v_xor_b32_e32 v39, 0x7f, v39
	v_and_b32_e32 v40, s62, v40
	v_lshlrev_b32_e32 v40, 2, v40
	ds_read_b32 v40, v40
	s_waitcnt lgkmcnt(0)
	v_add_nc_u32_e32 v40, v40, v48
	global_store_byte v40, v39, s[48:49]
	s_or_b32 exec_lo, exec_lo, s22
	v_cmp_lt_u32_e64 s35, v49, v138
	s_and_saveexec_b32 s22, s35
	s_cbranch_execz .LBB297_1106
.LBB297_1178:                           ;   in Loop: Header=BB297_1032 Depth=2
	ds_read_u8 v39, v0 offset:1536
	s_waitcnt lgkmcnt(0)
	v_lshrrev_b32_sdwa v40, s41, v39 dst_sel:DWORD dst_unused:UNUSED_PAD src0_sel:DWORD src1_sel:BYTE_0
	v_xor_b32_e32 v39, 0x7f, v39
	v_and_b32_e32 v40, s62, v40
	v_lshlrev_b32_e32 v40, 2, v40
	ds_read_b32 v40, v40
	s_waitcnt lgkmcnt(0)
	v_add_nc_u32_e32 v40, v40, v49
	global_store_byte v40, v39, s[48:49]
	s_or_b32 exec_lo, exec_lo, s22
	v_cmp_lt_u32_e64 s34, v50, v138
	s_and_saveexec_b32 s22, s34
	s_cbranch_execz .LBB297_1107
.LBB297_1179:                           ;   in Loop: Header=BB297_1032 Depth=2
	ds_read_u8 v39, v0 offset:1792
	s_waitcnt lgkmcnt(0)
	v_lshrrev_b32_sdwa v40, s41, v39 dst_sel:DWORD dst_unused:UNUSED_PAD src0_sel:DWORD src1_sel:BYTE_0
	v_xor_b32_e32 v39, 0x7f, v39
	v_and_b32_e32 v40, s62, v40
	v_lshlrev_b32_e32 v40, 2, v40
	ds_read_b32 v40, v40
	s_waitcnt lgkmcnt(0)
	v_add_nc_u32_e32 v40, v40, v50
	global_store_byte v40, v39, s[48:49]
	s_or_b32 exec_lo, exec_lo, s22
	v_cmp_lt_u32_e64 s33, v51, v138
	s_and_saveexec_b32 s22, s33
	s_cbranch_execz .LBB297_1108
.LBB297_1180:                           ;   in Loop: Header=BB297_1032 Depth=2
	ds_read_u8 v39, v0 offset:2048
	s_waitcnt lgkmcnt(0)
	v_lshrrev_b32_sdwa v40, s41, v39 dst_sel:DWORD dst_unused:UNUSED_PAD src0_sel:DWORD src1_sel:BYTE_0
	v_xor_b32_e32 v39, 0x7f, v39
	v_and_b32_e32 v40, s62, v40
	v_lshlrev_b32_e32 v40, 2, v40
	ds_read_b32 v40, v40
	s_waitcnt lgkmcnt(0)
	v_add_nc_u32_e32 v40, v40, v51
	global_store_byte v40, v39, s[48:49]
	s_or_b32 exec_lo, exec_lo, s22
	v_cmp_lt_u32_e64 s31, v52, v138
	s_and_saveexec_b32 s22, s31
	s_cbranch_execz .LBB297_1109
.LBB297_1181:                           ;   in Loop: Header=BB297_1032 Depth=2
	ds_read_u8 v39, v0 offset:2304
	s_waitcnt lgkmcnt(0)
	v_lshrrev_b32_sdwa v40, s41, v39 dst_sel:DWORD dst_unused:UNUSED_PAD src0_sel:DWORD src1_sel:BYTE_0
	v_xor_b32_e32 v39, 0x7f, v39
	v_and_b32_e32 v40, s62, v40
	v_lshlrev_b32_e32 v40, 2, v40
	ds_read_b32 v40, v40
	s_waitcnt lgkmcnt(0)
	v_add_nc_u32_e32 v40, v40, v52
	global_store_byte v40, v39, s[48:49]
	s_or_b32 exec_lo, exec_lo, s22
	v_cmp_lt_u32_e64 s30, v53, v138
	s_and_saveexec_b32 s22, s30
	s_cbranch_execz .LBB297_1110
.LBB297_1182:                           ;   in Loop: Header=BB297_1032 Depth=2
	ds_read_u8 v39, v0 offset:2560
	s_waitcnt lgkmcnt(0)
	v_lshrrev_b32_sdwa v40, s41, v39 dst_sel:DWORD dst_unused:UNUSED_PAD src0_sel:DWORD src1_sel:BYTE_0
	v_xor_b32_e32 v39, 0x7f, v39
	v_and_b32_e32 v40, s62, v40
	v_lshlrev_b32_e32 v40, 2, v40
	ds_read_b32 v40, v40
	s_waitcnt lgkmcnt(0)
	v_add_nc_u32_e32 v40, v40, v53
	global_store_byte v40, v39, s[48:49]
	s_or_b32 exec_lo, exec_lo, s22
	v_cmp_lt_u32_e64 s29, v54, v138
	s_and_saveexec_b32 s22, s29
	s_cbranch_execz .LBB297_1111
.LBB297_1183:                           ;   in Loop: Header=BB297_1032 Depth=2
	ds_read_u8 v39, v0 offset:2816
	s_waitcnt lgkmcnt(0)
	v_lshrrev_b32_sdwa v40, s41, v39 dst_sel:DWORD dst_unused:UNUSED_PAD src0_sel:DWORD src1_sel:BYTE_0
	v_xor_b32_e32 v39, 0x7f, v39
	v_and_b32_e32 v40, s62, v40
	v_lshlrev_b32_e32 v40, 2, v40
	ds_read_b32 v40, v40
	s_waitcnt lgkmcnt(0)
	v_add_nc_u32_e32 v40, v40, v54
	global_store_byte v40, v39, s[48:49]
	s_or_b32 exec_lo, exec_lo, s22
	v_cmp_lt_u32_e64 s27, v55, v138
	s_and_saveexec_b32 s22, s27
	s_cbranch_execz .LBB297_1112
.LBB297_1184:                           ;   in Loop: Header=BB297_1032 Depth=2
	ds_read_u8 v39, v0 offset:3072
	s_waitcnt lgkmcnt(0)
	v_lshrrev_b32_sdwa v40, s41, v39 dst_sel:DWORD dst_unused:UNUSED_PAD src0_sel:DWORD src1_sel:BYTE_0
	v_xor_b32_e32 v39, 0x7f, v39
	v_and_b32_e32 v40, s62, v40
	v_lshlrev_b32_e32 v40, 2, v40
	ds_read_b32 v40, v40
	s_waitcnt lgkmcnt(0)
	v_add_nc_u32_e32 v40, v40, v55
	global_store_byte v40, v39, s[48:49]
	s_or_b32 exec_lo, exec_lo, s22
	v_cmp_lt_u32_e64 s26, v56, v138
	s_and_saveexec_b32 s22, s26
	s_cbranch_execz .LBB297_1113
.LBB297_1185:                           ;   in Loop: Header=BB297_1032 Depth=2
	ds_read_u8 v39, v0 offset:3328
	s_waitcnt lgkmcnt(0)
	v_lshrrev_b32_sdwa v40, s41, v39 dst_sel:DWORD dst_unused:UNUSED_PAD src0_sel:DWORD src1_sel:BYTE_0
	v_xor_b32_e32 v39, 0x7f, v39
	v_and_b32_e32 v40, s62, v40
	v_lshlrev_b32_e32 v40, 2, v40
	ds_read_b32 v40, v40
	s_waitcnt lgkmcnt(0)
	v_add_nc_u32_e32 v40, v40, v56
	global_store_byte v40, v39, s[48:49]
	s_or_b32 exec_lo, exec_lo, s22
	v_cmp_lt_u32_e64 s25, v57, v138
	s_and_saveexec_b32 s22, s25
	s_cbranch_execz .LBB297_1114
.LBB297_1186:                           ;   in Loop: Header=BB297_1032 Depth=2
	ds_read_u8 v39, v0 offset:3584
	s_waitcnt lgkmcnt(0)
	v_lshrrev_b32_sdwa v40, s41, v39 dst_sel:DWORD dst_unused:UNUSED_PAD src0_sel:DWORD src1_sel:BYTE_0
	v_xor_b32_e32 v39, 0x7f, v39
	v_and_b32_e32 v40, s62, v40
	v_lshlrev_b32_e32 v40, 2, v40
	ds_read_b32 v40, v40
	s_waitcnt lgkmcnt(0)
	v_add_nc_u32_e32 v40, v40, v57
	global_store_byte v40, v39, s[48:49]
	s_or_b32 exec_lo, exec_lo, s22
	v_cmp_lt_u32_e64 s24, v58, v138
	s_and_saveexec_b32 s22, s24
	s_cbranch_execz .LBB297_1115
.LBB297_1187:                           ;   in Loop: Header=BB297_1032 Depth=2
	ds_read_u8 v39, v0 offset:3840
	s_waitcnt lgkmcnt(0)
	v_lshrrev_b32_sdwa v40, s41, v39 dst_sel:DWORD dst_unused:UNUSED_PAD src0_sel:DWORD src1_sel:BYTE_0
	v_xor_b32_e32 v39, 0x7f, v39
	v_and_b32_e32 v40, s62, v40
	v_lshlrev_b32_e32 v40, 2, v40
	ds_read_b32 v40, v40
	s_waitcnt lgkmcnt(0)
	v_add_nc_u32_e32 v40, v40, v58
	global_store_byte v40, v39, s[48:49]
	s_or_b32 exec_lo, exec_lo, s22
	v_cmp_lt_u32_e64 s23, v59, v138
	s_and_saveexec_b32 s22, s23
	s_cbranch_execz .LBB297_1116
.LBB297_1188:                           ;   in Loop: Header=BB297_1032 Depth=2
	ds_read_u8 v39, v0 offset:4096
	s_waitcnt lgkmcnt(0)
	v_lshrrev_b32_sdwa v40, s41, v39 dst_sel:DWORD dst_unused:UNUSED_PAD src0_sel:DWORD src1_sel:BYTE_0
	v_xor_b32_e32 v39, 0x7f, v39
	v_and_b32_e32 v40, s62, v40
	v_lshlrev_b32_e32 v40, 2, v40
	ds_read_b32 v40, v40
	s_waitcnt lgkmcnt(0)
	v_add_nc_u32_e32 v40, v40, v59
	global_store_byte v40, v39, s[48:49]
	s_or_b32 exec_lo, exec_lo, s22
	v_cmp_lt_u32_e64 s22, v60, v138
	s_and_saveexec_b32 s40, s22
	s_cbranch_execz .LBB297_1117
.LBB297_1189:                           ;   in Loop: Header=BB297_1032 Depth=2
	ds_read_u8 v39, v0 offset:4352
	s_waitcnt lgkmcnt(0)
	v_lshrrev_b32_sdwa v40, s41, v39 dst_sel:DWORD dst_unused:UNUSED_PAD src0_sel:DWORD src1_sel:BYTE_0
	v_xor_b32_e32 v39, 0x7f, v39
	v_and_b32_e32 v40, s62, v40
	v_lshlrev_b32_e32 v40, 2, v40
	ds_read_b32 v40, v40
	s_waitcnt lgkmcnt(0)
	v_add_nc_u32_e32 v40, v40, v60
	global_store_byte v40, v39, s[48:49]
	s_or_b32 exec_lo, exec_lo, s40
	v_cmp_lt_u32_e32 vcc_lo, v61, v138
	s_and_saveexec_b32 s40, vcc_lo
	s_cbranch_execnz .LBB297_1118
	s_branch .LBB297_1119
.LBB297_1190:                           ;   in Loop: Header=BB297_1032 Depth=2
	global_load_dwordx2 v[37:38], v[39:40], off
	s_or_b32 exec_lo, exec_lo, s40
	s_mov_b32 s50, exec_lo
	v_cmpx_lt_u32_e64 v100, v138
	s_cbranch_execz .LBB297_1121
.LBB297_1191:                           ;   in Loop: Header=BB297_1032 Depth=2
	global_load_dwordx2 v[35:36], v[39:40], off offset:256
	s_or_b32 exec_lo, exec_lo, s50
	s_mov_b32 s50, exec_lo
	v_cmpx_lt_u32_e64 v101, v138
	s_cbranch_execz .LBB297_1122
.LBB297_1192:                           ;   in Loop: Header=BB297_1032 Depth=2
	global_load_dwordx2 v[33:34], v[39:40], off offset:512
	s_or_b32 exec_lo, exec_lo, s50
	s_mov_b32 s50, exec_lo
	v_cmpx_lt_u32_e64 v102, v138
	s_cbranch_execz .LBB297_1123
.LBB297_1193:                           ;   in Loop: Header=BB297_1032 Depth=2
	global_load_dwordx2 v[31:32], v[39:40], off offset:768
	s_or_b32 exec_lo, exec_lo, s50
	s_mov_b32 s50, exec_lo
	v_cmpx_lt_u32_e64 v103, v138
	s_cbranch_execz .LBB297_1124
.LBB297_1194:                           ;   in Loop: Header=BB297_1032 Depth=2
	global_load_dwordx2 v[29:30], v[39:40], off offset:1024
	s_or_b32 exec_lo, exec_lo, s50
	s_mov_b32 s50, exec_lo
	v_cmpx_lt_u32_e64 v104, v138
	s_cbranch_execz .LBB297_1125
.LBB297_1195:                           ;   in Loop: Header=BB297_1032 Depth=2
	global_load_dwordx2 v[25:26], v[39:40], off offset:1280
	s_or_b32 exec_lo, exec_lo, s50
	s_mov_b32 s50, exec_lo
	v_cmpx_lt_u32_e64 v105, v138
	s_cbranch_execz .LBB297_1126
.LBB297_1196:                           ;   in Loop: Header=BB297_1032 Depth=2
	global_load_dwordx2 v[21:22], v[39:40], off offset:1536
	s_or_b32 exec_lo, exec_lo, s50
	s_mov_b32 s50, exec_lo
	v_cmpx_lt_u32_e64 v106, v138
	s_cbranch_execz .LBB297_1127
.LBB297_1197:                           ;   in Loop: Header=BB297_1032 Depth=2
	global_load_dwordx2 v[17:18], v[39:40], off offset:1792
	s_or_b32 exec_lo, exec_lo, s50
	s_mov_b32 s50, exec_lo
	v_cmpx_lt_u32_e64 v107, v138
	s_cbranch_execz .LBB297_1128
.LBB297_1198:                           ;   in Loop: Header=BB297_1032 Depth=2
	v_add_co_u32 v27, s40, 0x800, v39
	v_add_co_ci_u32_e64 v28, null, 0, v40, s40
	global_load_dwordx2 v[27:28], v[27:28], off
	s_or_b32 exec_lo, exec_lo, s50
	s_mov_b32 s50, exec_lo
	v_cmpx_lt_u32_e64 v108, v138
	s_cbranch_execz .LBB297_1129
.LBB297_1199:                           ;   in Loop: Header=BB297_1032 Depth=2
	v_add_co_u32 v23, s40, 0x800, v39
	v_add_co_ci_u32_e64 v24, null, 0, v40, s40
	global_load_dwordx2 v[23:24], v[23:24], off offset:256
	s_or_b32 exec_lo, exec_lo, s50
	s_mov_b32 s50, exec_lo
	v_cmpx_lt_u32_e64 v109, v138
	s_cbranch_execz .LBB297_1130
.LBB297_1200:                           ;   in Loop: Header=BB297_1032 Depth=2
	v_add_co_u32 v19, s40, 0x800, v39
	v_add_co_ci_u32_e64 v20, null, 0, v40, s40
	global_load_dwordx2 v[19:20], v[19:20], off offset:512
	s_or_b32 exec_lo, exec_lo, s50
	s_mov_b32 s50, exec_lo
	v_cmpx_lt_u32_e64 v110, v138
	s_cbranch_execz .LBB297_1131
.LBB297_1201:                           ;   in Loop: Header=BB297_1032 Depth=2
	v_add_co_u32 v15, s40, 0x800, v39
	v_add_co_ci_u32_e64 v16, null, 0, v40, s40
	global_load_dwordx2 v[15:16], v[15:16], off offset:768
	s_or_b32 exec_lo, exec_lo, s50
	s_mov_b32 s50, exec_lo
	v_cmpx_lt_u32_e64 v111, v138
	s_cbranch_execz .LBB297_1132
.LBB297_1202:                           ;   in Loop: Header=BB297_1032 Depth=2
	v_add_co_u32 v13, s40, 0x800, v39
	v_add_co_ci_u32_e64 v14, null, 0, v40, s40
	global_load_dwordx2 v[13:14], v[13:14], off offset:1024
	s_or_b32 exec_lo, exec_lo, s50
	s_mov_b32 s50, exec_lo
	v_cmpx_lt_u32_e64 v112, v138
	s_cbranch_execz .LBB297_1133
.LBB297_1203:                           ;   in Loop: Header=BB297_1032 Depth=2
	v_add_co_u32 v11, s40, 0x800, v39
	v_add_co_ci_u32_e64 v12, null, 0, v40, s40
	global_load_dwordx2 v[11:12], v[11:12], off offset:1280
	s_or_b32 exec_lo, exec_lo, s50
	s_mov_b32 s50, exec_lo
	v_cmpx_lt_u32_e64 v113, v138
	s_cbranch_execz .LBB297_1134
.LBB297_1204:                           ;   in Loop: Header=BB297_1032 Depth=2
	v_add_co_u32 v9, s40, 0x800, v39
	v_add_co_ci_u32_e64 v10, null, 0, v40, s40
	global_load_dwordx2 v[9:10], v[9:10], off offset:1536
	s_or_b32 exec_lo, exec_lo, s50
	s_mov_b32 s50, exec_lo
	v_cmpx_lt_u32_e64 v114, v138
	s_cbranch_execz .LBB297_1135
.LBB297_1205:                           ;   in Loop: Header=BB297_1032 Depth=2
	v_add_co_u32 v7, s40, 0x800, v39
	v_add_co_ci_u32_e64 v8, null, 0, v40, s40
	global_load_dwordx2 v[7:8], v[7:8], off offset:1792
	s_or_b32 exec_lo, exec_lo, s50
	s_mov_b32 s50, exec_lo
	v_cmpx_lt_u32_e64 v115, v138
	s_cbranch_execz .LBB297_1136
.LBB297_1206:                           ;   in Loop: Header=BB297_1032 Depth=2
	v_add_co_u32 v5, s40, 0x1000, v39
	v_add_co_ci_u32_e64 v6, null, 0, v40, s40
	global_load_dwordx2 v[5:6], v[5:6], off
	s_or_b32 exec_lo, exec_lo, s50
	s_and_saveexec_b32 s40, s38
	s_cbranch_execz .LBB297_1137
.LBB297_1207:                           ;   in Loop: Header=BB297_1032 Depth=2
	ds_read_u8 v39, v0 offset:512
	s_waitcnt lgkmcnt(0)
	v_lshrrev_b32_e32 v39, s41, v39
	v_and_b32_e32 v134, s62, v39
	s_or_b32 exec_lo, exec_lo, s40
	s_and_saveexec_b32 s40, s39
	s_cbranch_execz .LBB297_1138
.LBB297_1208:                           ;   in Loop: Header=BB297_1032 Depth=2
	ds_read_u8 v39, v0 offset:768
	s_waitcnt lgkmcnt(0)
	v_lshrrev_b32_e32 v39, s41, v39
	v_and_b32_e32 v133, s62, v39
	s_or_b32 exec_lo, exec_lo, s40
	s_and_saveexec_b32 s40, s37
	s_cbranch_execz .LBB297_1139
.LBB297_1209:                           ;   in Loop: Header=BB297_1032 Depth=2
	ds_read_u8 v39, v0 offset:1024
	s_waitcnt lgkmcnt(0)
	v_lshrrev_b32_e32 v39, s41, v39
	v_and_b32_e32 v132, s62, v39
	s_or_b32 exec_lo, exec_lo, s40
	s_and_saveexec_b32 s40, s36
	s_cbranch_execz .LBB297_1140
.LBB297_1210:                           ;   in Loop: Header=BB297_1032 Depth=2
	ds_read_u8 v39, v0 offset:1280
	s_waitcnt lgkmcnt(0)
	v_lshrrev_b32_e32 v39, s41, v39
	v_and_b32_e32 v131, s62, v39
	s_or_b32 exec_lo, exec_lo, s40
	s_and_saveexec_b32 s40, s35
	s_cbranch_execz .LBB297_1141
.LBB297_1211:                           ;   in Loop: Header=BB297_1032 Depth=2
	ds_read_u8 v39, v0 offset:1536
	s_waitcnt lgkmcnt(0)
	v_lshrrev_b32_e32 v39, s41, v39
	v_and_b32_e32 v130, s62, v39
	s_or_b32 exec_lo, exec_lo, s40
	s_and_saveexec_b32 s40, s34
	s_cbranch_execz .LBB297_1142
.LBB297_1212:                           ;   in Loop: Header=BB297_1032 Depth=2
	ds_read_u8 v39, v0 offset:1792
	s_waitcnt lgkmcnt(0)
	v_lshrrev_b32_e32 v39, s41, v39
	v_and_b32_e32 v129, s62, v39
	s_or_b32 exec_lo, exec_lo, s40
	s_and_saveexec_b32 s40, s33
	s_cbranch_execz .LBB297_1143
.LBB297_1213:                           ;   in Loop: Header=BB297_1032 Depth=2
	ds_read_u8 v39, v0 offset:2048
	s_waitcnt lgkmcnt(0)
	v_lshrrev_b32_e32 v39, s41, v39
	v_and_b32_e32 v128, s62, v39
	s_or_b32 exec_lo, exec_lo, s40
	s_and_saveexec_b32 s40, s31
	s_cbranch_execz .LBB297_1144
.LBB297_1214:                           ;   in Loop: Header=BB297_1032 Depth=2
	ds_read_u8 v39, v0 offset:2304
	s_waitcnt lgkmcnt(0)
	v_lshrrev_b32_e32 v39, s41, v39
	v_and_b32_e32 v127, s62, v39
	s_or_b32 exec_lo, exec_lo, s40
	s_and_saveexec_b32 s40, s30
	s_cbranch_execz .LBB297_1145
.LBB297_1215:                           ;   in Loop: Header=BB297_1032 Depth=2
	ds_read_u8 v39, v0 offset:2560
	s_waitcnt lgkmcnt(0)
	v_lshrrev_b32_e32 v39, s41, v39
	v_and_b32_e32 v126, s62, v39
	s_or_b32 exec_lo, exec_lo, s40
	s_and_saveexec_b32 s40, s29
	s_cbranch_execz .LBB297_1146
.LBB297_1216:                           ;   in Loop: Header=BB297_1032 Depth=2
	ds_read_u8 v39, v0 offset:2816
	s_waitcnt lgkmcnt(0)
	v_lshrrev_b32_e32 v39, s41, v39
	v_and_b32_e32 v125, s62, v39
	s_or_b32 exec_lo, exec_lo, s40
	s_and_saveexec_b32 s40, s27
	s_cbranch_execz .LBB297_1147
.LBB297_1217:                           ;   in Loop: Header=BB297_1032 Depth=2
	ds_read_u8 v39, v0 offset:3072
	s_waitcnt lgkmcnt(0)
	v_lshrrev_b32_e32 v39, s41, v39
	v_and_b32_e32 v124, s62, v39
	s_or_b32 exec_lo, exec_lo, s40
	s_and_saveexec_b32 s40, s26
	s_cbranch_execz .LBB297_1148
.LBB297_1218:                           ;   in Loop: Header=BB297_1032 Depth=2
	ds_read_u8 v39, v0 offset:3328
	s_waitcnt lgkmcnt(0)
	v_lshrrev_b32_e32 v39, s41, v39
	v_and_b32_e32 v123, s62, v39
	s_or_b32 exec_lo, exec_lo, s40
	s_and_saveexec_b32 s40, s25
	s_cbranch_execz .LBB297_1149
.LBB297_1219:                           ;   in Loop: Header=BB297_1032 Depth=2
	ds_read_u8 v39, v0 offset:3584
	s_waitcnt lgkmcnt(0)
	v_lshrrev_b32_e32 v39, s41, v39
	v_and_b32_e32 v122, s62, v39
	s_or_b32 exec_lo, exec_lo, s40
	s_and_saveexec_b32 s40, s24
	s_cbranch_execz .LBB297_1150
.LBB297_1220:                           ;   in Loop: Header=BB297_1032 Depth=2
	ds_read_u8 v39, v0 offset:3840
	s_waitcnt lgkmcnt(0)
	v_lshrrev_b32_e32 v39, s41, v39
	v_and_b32_e32 v121, s62, v39
	s_or_b32 exec_lo, exec_lo, s40
	s_and_saveexec_b32 s40, s23
	s_cbranch_execz .LBB297_1151
.LBB297_1221:                           ;   in Loop: Header=BB297_1032 Depth=2
	ds_read_u8 v39, v0 offset:4096
	s_waitcnt lgkmcnt(0)
	v_lshrrev_b32_e32 v39, s41, v39
	v_and_b32_e32 v120, s62, v39
	s_or_b32 exec_lo, exec_lo, s40
	s_and_saveexec_b32 s40, s22
	s_cbranch_execz .LBB297_1152
.LBB297_1222:                           ;   in Loop: Header=BB297_1032 Depth=2
	ds_read_u8 v39, v0 offset:4352
	s_waitcnt lgkmcnt(0)
	v_lshrrev_b32_e32 v39, s41, v39
	v_and_b32_e32 v119, s62, v39
	s_or_b32 exec_lo, exec_lo, s40
	s_and_saveexec_b32 s40, vcc_lo
	s_cbranch_execnz .LBB297_1153
	s_branch .LBB297_1154
.LBB297_1223:                           ;   in Loop: Header=BB297_1032 Depth=2
	v_lshlrev_b32_e32 v3, 2, v134
	ds_read_b32 v3, v3
	ds_read_b64 v[40:41], v39 offset:512
	s_waitcnt lgkmcnt(1)
	v_add_nc_u32_e32 v3, v3, v0
	v_lshlrev_b64 v[137:138], 3, v[3:4]
	v_add_co_u32 v137, s38, s54, v137
	v_add_co_ci_u32_e64 v138, null, s55, v138, s38
	s_waitcnt lgkmcnt(0)
	global_store_dwordx2 v[137:138], v[40:41], off
	s_or_b32 exec_lo, exec_lo, s40
	s_and_saveexec_b32 s40, s39
	s_cbranch_execz .LBB297_1156
.LBB297_1224:                           ;   in Loop: Header=BB297_1032 Depth=2
	v_lshlrev_b32_e32 v3, 2, v133
	ds_read_b32 v3, v3
	ds_read_b64 v[40:41], v39 offset:2560
	s_waitcnt lgkmcnt(1)
	v_add_nc_u32_e32 v3, v3, v44
	v_lshlrev_b64 v[137:138], 3, v[3:4]
	v_add_co_u32 v137, s38, s54, v137
	v_add_co_ci_u32_e64 v138, null, s55, v138, s38
	s_waitcnt lgkmcnt(0)
	global_store_dwordx2 v[137:138], v[40:41], off
	s_or_b32 exec_lo, exec_lo, s40
	s_and_saveexec_b32 s38, s37
	s_cbranch_execz .LBB297_1157
.LBB297_1225:                           ;   in Loop: Header=BB297_1032 Depth=2
	v_lshlrev_b32_e32 v3, 2, v132
	ds_read_b32 v3, v3
	ds_read_b64 v[40:41], v39 offset:4608
	s_waitcnt lgkmcnt(1)
	v_add_nc_u32_e32 v3, v3, v47
	v_lshlrev_b64 v[137:138], 3, v[3:4]
	v_add_co_u32 v137, s37, s54, v137
	v_add_co_ci_u32_e64 v138, null, s55, v138, s37
	s_waitcnt lgkmcnt(0)
	global_store_dwordx2 v[137:138], v[40:41], off
	s_or_b32 exec_lo, exec_lo, s38
	s_and_saveexec_b32 s37, s36
	s_cbranch_execz .LBB297_1158
.LBB297_1226:                           ;   in Loop: Header=BB297_1032 Depth=2
	v_lshlrev_b32_e32 v3, 2, v131
	ds_read_b32 v3, v3
	ds_read_b64 v[40:41], v39 offset:6656
	s_waitcnt lgkmcnt(1)
	v_add_nc_u32_e32 v3, v3, v48
	v_lshlrev_b64 v[137:138], 3, v[3:4]
	v_add_co_u32 v137, s36, s54, v137
	v_add_co_ci_u32_e64 v138, null, s55, v138, s36
	s_waitcnt lgkmcnt(0)
	global_store_dwordx2 v[137:138], v[40:41], off
	s_or_b32 exec_lo, exec_lo, s37
	s_and_saveexec_b32 s36, s35
	s_cbranch_execz .LBB297_1159
.LBB297_1227:                           ;   in Loop: Header=BB297_1032 Depth=2
	v_lshlrev_b32_e32 v3, 2, v130
	ds_read_b32 v3, v3
	ds_read_b64 v[40:41], v39 offset:8704
	s_waitcnt lgkmcnt(1)
	v_add_nc_u32_e32 v3, v3, v49
	v_lshlrev_b64 v[137:138], 3, v[3:4]
	v_add_co_u32 v137, s35, s54, v137
	v_add_co_ci_u32_e64 v138, null, s55, v138, s35
	s_waitcnt lgkmcnt(0)
	global_store_dwordx2 v[137:138], v[40:41], off
	s_or_b32 exec_lo, exec_lo, s36
	s_and_saveexec_b32 s35, s34
	s_cbranch_execz .LBB297_1160
.LBB297_1228:                           ;   in Loop: Header=BB297_1032 Depth=2
	v_lshlrev_b32_e32 v3, 2, v129
	ds_read_b32 v3, v3
	ds_read_b64 v[40:41], v39 offset:10752
	s_waitcnt lgkmcnt(1)
	v_add_nc_u32_e32 v3, v3, v50
	v_lshlrev_b64 v[137:138], 3, v[3:4]
	v_add_co_u32 v137, s34, s54, v137
	v_add_co_ci_u32_e64 v138, null, s55, v138, s34
	s_waitcnt lgkmcnt(0)
	global_store_dwordx2 v[137:138], v[40:41], off
	s_or_b32 exec_lo, exec_lo, s35
	s_and_saveexec_b32 s34, s33
	s_cbranch_execz .LBB297_1161
.LBB297_1229:                           ;   in Loop: Header=BB297_1032 Depth=2
	v_lshlrev_b32_e32 v3, 2, v128
	ds_read_b32 v3, v3
	ds_read_b64 v[40:41], v39 offset:12800
	s_waitcnt lgkmcnt(1)
	v_add_nc_u32_e32 v3, v3, v51
	v_lshlrev_b64 v[137:138], 3, v[3:4]
	v_add_co_u32 v137, s33, s54, v137
	v_add_co_ci_u32_e64 v138, null, s55, v138, s33
	s_waitcnt lgkmcnt(0)
	global_store_dwordx2 v[137:138], v[40:41], off
	s_or_b32 exec_lo, exec_lo, s34
	s_and_saveexec_b32 s33, s31
	s_cbranch_execz .LBB297_1162
.LBB297_1230:                           ;   in Loop: Header=BB297_1032 Depth=2
	v_lshlrev_b32_e32 v3, 2, v127
	ds_read_b32 v3, v3
	ds_read_b64 v[40:41], v39 offset:14848
	s_waitcnt lgkmcnt(1)
	v_add_nc_u32_e32 v3, v3, v52
	v_lshlrev_b64 v[137:138], 3, v[3:4]
	v_add_co_u32 v137, s31, s54, v137
	v_add_co_ci_u32_e64 v138, null, s55, v138, s31
	s_waitcnt lgkmcnt(0)
	global_store_dwordx2 v[137:138], v[40:41], off
	s_or_b32 exec_lo, exec_lo, s33
	s_and_saveexec_b32 s31, s30
	s_cbranch_execz .LBB297_1163
.LBB297_1231:                           ;   in Loop: Header=BB297_1032 Depth=2
	v_lshlrev_b32_e32 v3, 2, v126
	ds_read_b32 v3, v3
	ds_read_b64 v[40:41], v39 offset:16896
	s_waitcnt lgkmcnt(1)
	v_add_nc_u32_e32 v3, v3, v53
	v_lshlrev_b64 v[137:138], 3, v[3:4]
	v_add_co_u32 v137, s30, s54, v137
	v_add_co_ci_u32_e64 v138, null, s55, v138, s30
	s_waitcnt lgkmcnt(0)
	global_store_dwordx2 v[137:138], v[40:41], off
	s_or_b32 exec_lo, exec_lo, s31
	s_and_saveexec_b32 s30, s29
	s_cbranch_execz .LBB297_1164
.LBB297_1232:                           ;   in Loop: Header=BB297_1032 Depth=2
	v_lshlrev_b32_e32 v3, 2, v125
	ds_read_b32 v3, v3
	ds_read_b64 v[40:41], v39 offset:18944
	s_waitcnt lgkmcnt(1)
	v_add_nc_u32_e32 v3, v3, v54
	v_lshlrev_b64 v[137:138], 3, v[3:4]
	v_add_co_u32 v137, s29, s54, v137
	v_add_co_ci_u32_e64 v138, null, s55, v138, s29
	s_waitcnt lgkmcnt(0)
	global_store_dwordx2 v[137:138], v[40:41], off
	s_or_b32 exec_lo, exec_lo, s30
	s_and_saveexec_b32 s29, s27
	s_cbranch_execz .LBB297_1165
.LBB297_1233:                           ;   in Loop: Header=BB297_1032 Depth=2
	v_lshlrev_b32_e32 v3, 2, v124
	ds_read_b32 v3, v3
	ds_read_b64 v[40:41], v39 offset:20992
	s_waitcnt lgkmcnt(1)
	v_add_nc_u32_e32 v3, v3, v55
	v_lshlrev_b64 v[137:138], 3, v[3:4]
	v_add_co_u32 v137, s27, s54, v137
	v_add_co_ci_u32_e64 v138, null, s55, v138, s27
	s_waitcnt lgkmcnt(0)
	global_store_dwordx2 v[137:138], v[40:41], off
	s_or_b32 exec_lo, exec_lo, s29
	s_and_saveexec_b32 s27, s26
	s_cbranch_execz .LBB297_1166
.LBB297_1234:                           ;   in Loop: Header=BB297_1032 Depth=2
	v_lshlrev_b32_e32 v3, 2, v123
	ds_read_b32 v3, v3
	ds_read_b64 v[40:41], v39 offset:23040
	s_waitcnt lgkmcnt(1)
	v_add_nc_u32_e32 v3, v3, v56
	v_lshlrev_b64 v[137:138], 3, v[3:4]
	v_add_co_u32 v137, s26, s54, v137
	v_add_co_ci_u32_e64 v138, null, s55, v138, s26
	s_waitcnt lgkmcnt(0)
	global_store_dwordx2 v[137:138], v[40:41], off
	s_or_b32 exec_lo, exec_lo, s27
	s_and_saveexec_b32 s26, s25
	s_cbranch_execz .LBB297_1167
.LBB297_1235:                           ;   in Loop: Header=BB297_1032 Depth=2
	v_lshlrev_b32_e32 v3, 2, v122
	ds_read_b32 v3, v3
	ds_read_b64 v[40:41], v39 offset:25088
	s_waitcnt lgkmcnt(1)
	v_add_nc_u32_e32 v3, v3, v57
	v_lshlrev_b64 v[137:138], 3, v[3:4]
	v_add_co_u32 v137, s25, s54, v137
	v_add_co_ci_u32_e64 v138, null, s55, v138, s25
	s_waitcnt lgkmcnt(0)
	global_store_dwordx2 v[137:138], v[40:41], off
	s_or_b32 exec_lo, exec_lo, s26
	s_and_saveexec_b32 s25, s24
	s_cbranch_execz .LBB297_1168
.LBB297_1236:                           ;   in Loop: Header=BB297_1032 Depth=2
	v_lshlrev_b32_e32 v3, 2, v121
	ds_read_b32 v3, v3
	ds_read_b64 v[40:41], v39 offset:27136
	s_waitcnt lgkmcnt(1)
	v_add_nc_u32_e32 v3, v3, v58
	v_lshlrev_b64 v[137:138], 3, v[3:4]
	v_add_co_u32 v137, s24, s54, v137
	v_add_co_ci_u32_e64 v138, null, s55, v138, s24
	s_waitcnt lgkmcnt(0)
	global_store_dwordx2 v[137:138], v[40:41], off
	s_or_b32 exec_lo, exec_lo, s25
	s_and_saveexec_b32 s24, s23
	s_cbranch_execz .LBB297_1169
.LBB297_1237:                           ;   in Loop: Header=BB297_1032 Depth=2
	v_lshlrev_b32_e32 v3, 2, v120
	ds_read_b32 v3, v3
	ds_read_b64 v[40:41], v39 offset:29184
	s_waitcnt lgkmcnt(1)
	v_add_nc_u32_e32 v3, v3, v59
	v_lshlrev_b64 v[137:138], 3, v[3:4]
	v_add_co_u32 v137, s23, s54, v137
	v_add_co_ci_u32_e64 v138, null, s55, v138, s23
	s_waitcnt lgkmcnt(0)
	global_store_dwordx2 v[137:138], v[40:41], off
	s_or_b32 exec_lo, exec_lo, s24
	s_and_saveexec_b32 s23, s22
	s_cbranch_execz .LBB297_1170
.LBB297_1238:                           ;   in Loop: Header=BB297_1032 Depth=2
	v_lshlrev_b32_e32 v3, 2, v119
	ds_read_b32 v3, v3
	ds_read_b64 v[40:41], v39 offset:31232
	s_waitcnt lgkmcnt(1)
	v_add_nc_u32_e32 v3, v3, v60
	v_lshlrev_b64 v[137:138], 3, v[3:4]
	v_add_co_u32 v137, s22, s54, v137
	v_add_co_ci_u32_e64 v138, null, s55, v138, s22
	s_waitcnt lgkmcnt(0)
	global_store_dwordx2 v[137:138], v[40:41], off
	s_or_b32 exec_lo, exec_lo, s23
	s_and_saveexec_b32 s22, vcc_lo
	s_cbranch_execnz .LBB297_1171
	s_branch .LBB297_1172
.LBB297_1239:                           ;   in Loop: Header=BB297_1032 Depth=2
	global_load_ubyte v146, v[39:40], off
	v_mov_b32_e32 v117, 0x80
	v_mov_b32_e32 v147, 0x80
	;; [unrolled: 1-line block ×16, first 2 shown]
	s_or_b32 exec_lo, exec_lo, s22
	s_mov_b32 s22, exec_lo
	v_cmpx_gt_u32_e64 s63, v100
	s_cbranch_execz .LBB297_1037
.LBB297_1240:                           ;   in Loop: Header=BB297_1032 Depth=2
	global_load_ubyte v147, v[39:40], off offset:32
	s_or_b32 exec_lo, exec_lo, s22
	s_mov_b32 s22, exec_lo
	v_cmpx_gt_u32_e64 s63, v101
	s_cbranch_execz .LBB297_1038
.LBB297_1241:                           ;   in Loop: Header=BB297_1032 Depth=2
	global_load_ubyte v148, v[39:40], off offset:64
	s_or_b32 exec_lo, exec_lo, s22
	s_mov_b32 s22, exec_lo
	v_cmpx_gt_u32_e64 s63, v102
	s_cbranch_execz .LBB297_1039
.LBB297_1242:                           ;   in Loop: Header=BB297_1032 Depth=2
	global_load_ubyte v151, v[39:40], off offset:96
	s_or_b32 exec_lo, exec_lo, s22
	s_mov_b32 s22, exec_lo
	v_cmpx_gt_u32_e64 s63, v103
	s_cbranch_execz .LBB297_1040
.LBB297_1243:                           ;   in Loop: Header=BB297_1032 Depth=2
	global_load_ubyte v150, v[39:40], off offset:128
	s_or_b32 exec_lo, exec_lo, s22
	s_mov_b32 s22, exec_lo
	v_cmpx_gt_u32_e64 s63, v104
	s_cbranch_execz .LBB297_1041
.LBB297_1244:                           ;   in Loop: Header=BB297_1032 Depth=2
	global_load_ubyte v143, v[39:40], off offset:160
	s_or_b32 exec_lo, exec_lo, s22
	s_mov_b32 s22, exec_lo
	v_cmpx_gt_u32_e64 s63, v105
	s_cbranch_execz .LBB297_1042
.LBB297_1245:                           ;   in Loop: Header=BB297_1032 Depth=2
	global_load_ubyte v144, v[39:40], off offset:192
	s_or_b32 exec_lo, exec_lo, s22
	s_mov_b32 s22, exec_lo
	v_cmpx_gt_u32_e64 s63, v106
	s_cbranch_execz .LBB297_1043
.LBB297_1246:                           ;   in Loop: Header=BB297_1032 Depth=2
	global_load_ubyte v145, v[39:40], off offset:224
	s_or_b32 exec_lo, exec_lo, s22
	s_mov_b32 s22, exec_lo
	v_cmpx_gt_u32_e64 s63, v107
	s_cbranch_execz .LBB297_1044
.LBB297_1247:                           ;   in Loop: Header=BB297_1032 Depth=2
	global_load_ubyte v142, v[39:40], off offset:256
	s_or_b32 exec_lo, exec_lo, s22
	s_mov_b32 s22, exec_lo
	v_cmpx_gt_u32_e64 s63, v108
	s_cbranch_execz .LBB297_1045
.LBB297_1248:                           ;   in Loop: Header=BB297_1032 Depth=2
	global_load_ubyte v139, v[39:40], off offset:288
	s_or_b32 exec_lo, exec_lo, s22
	s_mov_b32 s22, exec_lo
	v_cmpx_gt_u32_e64 s63, v109
	s_cbranch_execz .LBB297_1046
.LBB297_1249:                           ;   in Loop: Header=BB297_1032 Depth=2
	global_load_ubyte v140, v[39:40], off offset:320
	s_or_b32 exec_lo, exec_lo, s22
	s_mov_b32 s22, exec_lo
	v_cmpx_gt_u32_e64 s63, v110
	s_cbranch_execz .LBB297_1047
.LBB297_1250:                           ;   in Loop: Header=BB297_1032 Depth=2
	global_load_ubyte v141, v[39:40], off offset:352
	s_or_b32 exec_lo, exec_lo, s22
	s_mov_b32 s22, exec_lo
	v_cmpx_gt_u32_e64 s63, v111
	s_cbranch_execz .LBB297_1048
.LBB297_1251:                           ;   in Loop: Header=BB297_1032 Depth=2
	global_load_ubyte v137, v[39:40], off offset:384
	s_or_b32 exec_lo, exec_lo, s22
	s_mov_b32 s22, exec_lo
	v_cmpx_gt_u32_e64 s63, v112
	s_cbranch_execz .LBB297_1049
.LBB297_1252:                           ;   in Loop: Header=BB297_1032 Depth=2
	global_load_ubyte v3, v[39:40], off offset:416
	s_or_b32 exec_lo, exec_lo, s22
	s_mov_b32 s22, exec_lo
	v_cmpx_gt_u32_e64 s63, v113
	s_cbranch_execz .LBB297_1050
.LBB297_1253:                           ;   in Loop: Header=BB297_1032 Depth=2
	global_load_ubyte v41, v[39:40], off offset:448
	s_or_b32 exec_lo, exec_lo, s22
	s_mov_b32 s22, exec_lo
	v_cmpx_gt_u32_e64 s63, v114
	s_cbranch_execnz .LBB297_1051
	s_branch .LBB297_1052
.LBB297_1254:
	s_endpgm
	.section	.rodata,"a",@progbits
	.p2align	6, 0x0
	.amdhsa_kernel _ZN7rocprim17ROCPRIM_400000_NS6detail17trampoline_kernelINS0_14default_configENS1_36segmented_radix_sort_config_selectorIalEEZNS1_25segmented_radix_sort_implIS3_Lb1EPKaPaPKlPlN2at6native12_GLOBAL__N_18offset_tEEE10hipError_tPvRmT1_PNSt15iterator_traitsISK_E10value_typeET2_T3_PNSL_ISQ_E10value_typeET4_jRbjT5_SW_jjP12ihipStream_tbEUlT_E_NS1_11comp_targetILNS1_3genE8ELNS1_11target_archE1030ELNS1_3gpuE2ELNS1_3repE0EEENS1_30default_config_static_selectorELNS0_4arch9wavefront6targetE0EEEvSK_
		.amdhsa_group_segment_fixed_size 35344
		.amdhsa_private_segment_fixed_size 240
		.amdhsa_kernarg_size 352
		.amdhsa_user_sgpr_count 6
		.amdhsa_user_sgpr_private_segment_buffer 1
		.amdhsa_user_sgpr_dispatch_ptr 0
		.amdhsa_user_sgpr_queue_ptr 0
		.amdhsa_user_sgpr_kernarg_segment_ptr 1
		.amdhsa_user_sgpr_dispatch_id 0
		.amdhsa_user_sgpr_flat_scratch_init 0
		.amdhsa_user_sgpr_private_segment_size 0
		.amdhsa_wavefront_size32 1
		.amdhsa_uses_dynamic_stack 0
		.amdhsa_system_sgpr_private_segment_wavefront_offset 1
		.amdhsa_system_sgpr_workgroup_id_x 1
		.amdhsa_system_sgpr_workgroup_id_y 1
		.amdhsa_system_sgpr_workgroup_id_z 0
		.amdhsa_system_sgpr_workgroup_info 0
		.amdhsa_system_vgpr_workitem_id 2
		.amdhsa_next_free_vgpr 248
		.amdhsa_next_free_sgpr 68
		.amdhsa_reserve_vcc 1
		.amdhsa_reserve_flat_scratch 0
		.amdhsa_float_round_mode_32 0
		.amdhsa_float_round_mode_16_64 0
		.amdhsa_float_denorm_mode_32 3
		.amdhsa_float_denorm_mode_16_64 3
		.amdhsa_dx10_clamp 1
		.amdhsa_ieee_mode 1
		.amdhsa_fp16_overflow 0
		.amdhsa_workgroup_processor_mode 1
		.amdhsa_memory_ordered 1
		.amdhsa_forward_progress 1
		.amdhsa_shared_vgpr_count 0
		.amdhsa_exception_fp_ieee_invalid_op 0
		.amdhsa_exception_fp_denorm_src 0
		.amdhsa_exception_fp_ieee_div_zero 0
		.amdhsa_exception_fp_ieee_overflow 0
		.amdhsa_exception_fp_ieee_underflow 0
		.amdhsa_exception_fp_ieee_inexact 0
		.amdhsa_exception_int_div_zero 0
	.end_amdhsa_kernel
	.section	.text._ZN7rocprim17ROCPRIM_400000_NS6detail17trampoline_kernelINS0_14default_configENS1_36segmented_radix_sort_config_selectorIalEEZNS1_25segmented_radix_sort_implIS3_Lb1EPKaPaPKlPlN2at6native12_GLOBAL__N_18offset_tEEE10hipError_tPvRmT1_PNSt15iterator_traitsISK_E10value_typeET2_T3_PNSL_ISQ_E10value_typeET4_jRbjT5_SW_jjP12ihipStream_tbEUlT_E_NS1_11comp_targetILNS1_3genE8ELNS1_11target_archE1030ELNS1_3gpuE2ELNS1_3repE0EEENS1_30default_config_static_selectorELNS0_4arch9wavefront6targetE0EEEvSK_,"axG",@progbits,_ZN7rocprim17ROCPRIM_400000_NS6detail17trampoline_kernelINS0_14default_configENS1_36segmented_radix_sort_config_selectorIalEEZNS1_25segmented_radix_sort_implIS3_Lb1EPKaPaPKlPlN2at6native12_GLOBAL__N_18offset_tEEE10hipError_tPvRmT1_PNSt15iterator_traitsISK_E10value_typeET2_T3_PNSL_ISQ_E10value_typeET4_jRbjT5_SW_jjP12ihipStream_tbEUlT_E_NS1_11comp_targetILNS1_3genE8ELNS1_11target_archE1030ELNS1_3gpuE2ELNS1_3repE0EEENS1_30default_config_static_selectorELNS0_4arch9wavefront6targetE0EEEvSK_,comdat
.Lfunc_end297:
	.size	_ZN7rocprim17ROCPRIM_400000_NS6detail17trampoline_kernelINS0_14default_configENS1_36segmented_radix_sort_config_selectorIalEEZNS1_25segmented_radix_sort_implIS3_Lb1EPKaPaPKlPlN2at6native12_GLOBAL__N_18offset_tEEE10hipError_tPvRmT1_PNSt15iterator_traitsISK_E10value_typeET2_T3_PNSL_ISQ_E10value_typeET4_jRbjT5_SW_jjP12ihipStream_tbEUlT_E_NS1_11comp_targetILNS1_3genE8ELNS1_11target_archE1030ELNS1_3gpuE2ELNS1_3repE0EEENS1_30default_config_static_selectorELNS0_4arch9wavefront6targetE0EEEvSK_, .Lfunc_end297-_ZN7rocprim17ROCPRIM_400000_NS6detail17trampoline_kernelINS0_14default_configENS1_36segmented_radix_sort_config_selectorIalEEZNS1_25segmented_radix_sort_implIS3_Lb1EPKaPaPKlPlN2at6native12_GLOBAL__N_18offset_tEEE10hipError_tPvRmT1_PNSt15iterator_traitsISK_E10value_typeET2_T3_PNSL_ISQ_E10value_typeET4_jRbjT5_SW_jjP12ihipStream_tbEUlT_E_NS1_11comp_targetILNS1_3genE8ELNS1_11target_archE1030ELNS1_3gpuE2ELNS1_3repE0EEENS1_30default_config_static_selectorELNS0_4arch9wavefront6targetE0EEEvSK_
                                        ; -- End function
	.set _ZN7rocprim17ROCPRIM_400000_NS6detail17trampoline_kernelINS0_14default_configENS1_36segmented_radix_sort_config_selectorIalEEZNS1_25segmented_radix_sort_implIS3_Lb1EPKaPaPKlPlN2at6native12_GLOBAL__N_18offset_tEEE10hipError_tPvRmT1_PNSt15iterator_traitsISK_E10value_typeET2_T3_PNSL_ISQ_E10value_typeET4_jRbjT5_SW_jjP12ihipStream_tbEUlT_E_NS1_11comp_targetILNS1_3genE8ELNS1_11target_archE1030ELNS1_3gpuE2ELNS1_3repE0EEENS1_30default_config_static_selectorELNS0_4arch9wavefront6targetE0EEEvSK_.num_vgpr, max(205, .L_ZN7rocprim17ROCPRIM_400000_NS6detail40segmented_radix_sort_single_block_helperIalLj256ELj17ELb1EE4sortIPKaPaPKlPlEEbT_T0_T1_T2_jjjjRNS3_12storage_typeE.num_vgpr)
	.set _ZN7rocprim17ROCPRIM_400000_NS6detail17trampoline_kernelINS0_14default_configENS1_36segmented_radix_sort_config_selectorIalEEZNS1_25segmented_radix_sort_implIS3_Lb1EPKaPaPKlPlN2at6native12_GLOBAL__N_18offset_tEEE10hipError_tPvRmT1_PNSt15iterator_traitsISK_E10value_typeET2_T3_PNSL_ISQ_E10value_typeET4_jRbjT5_SW_jjP12ihipStream_tbEUlT_E_NS1_11comp_targetILNS1_3genE8ELNS1_11target_archE1030ELNS1_3gpuE2ELNS1_3repE0EEENS1_30default_config_static_selectorELNS0_4arch9wavefront6targetE0EEEvSK_.num_agpr, max(0, .L_ZN7rocprim17ROCPRIM_400000_NS6detail40segmented_radix_sort_single_block_helperIalLj256ELj17ELb1EE4sortIPKaPaPKlPlEEbT_T0_T1_T2_jjjjRNS3_12storage_typeE.num_agpr)
	.set _ZN7rocprim17ROCPRIM_400000_NS6detail17trampoline_kernelINS0_14default_configENS1_36segmented_radix_sort_config_selectorIalEEZNS1_25segmented_radix_sort_implIS3_Lb1EPKaPaPKlPlN2at6native12_GLOBAL__N_18offset_tEEE10hipError_tPvRmT1_PNSt15iterator_traitsISK_E10value_typeET2_T3_PNSL_ISQ_E10value_typeET4_jRbjT5_SW_jjP12ihipStream_tbEUlT_E_NS1_11comp_targetILNS1_3genE8ELNS1_11target_archE1030ELNS1_3gpuE2ELNS1_3repE0EEENS1_30default_config_static_selectorELNS0_4arch9wavefront6targetE0EEEvSK_.numbered_sgpr, max(68, .L_ZN7rocprim17ROCPRIM_400000_NS6detail40segmented_radix_sort_single_block_helperIalLj256ELj17ELb1EE4sortIPKaPaPKlPlEEbT_T0_T1_T2_jjjjRNS3_12storage_typeE.numbered_sgpr)
	.set _ZN7rocprim17ROCPRIM_400000_NS6detail17trampoline_kernelINS0_14default_configENS1_36segmented_radix_sort_config_selectorIalEEZNS1_25segmented_radix_sort_implIS3_Lb1EPKaPaPKlPlN2at6native12_GLOBAL__N_18offset_tEEE10hipError_tPvRmT1_PNSt15iterator_traitsISK_E10value_typeET2_T3_PNSL_ISQ_E10value_typeET4_jRbjT5_SW_jjP12ihipStream_tbEUlT_E_NS1_11comp_targetILNS1_3genE8ELNS1_11target_archE1030ELNS1_3gpuE2ELNS1_3repE0EEENS1_30default_config_static_selectorELNS0_4arch9wavefront6targetE0EEEvSK_.num_named_barrier, max(0, .L_ZN7rocprim17ROCPRIM_400000_NS6detail40segmented_radix_sort_single_block_helperIalLj256ELj17ELb1EE4sortIPKaPaPKlPlEEbT_T0_T1_T2_jjjjRNS3_12storage_typeE.num_named_barrier)
	.set _ZN7rocprim17ROCPRIM_400000_NS6detail17trampoline_kernelINS0_14default_configENS1_36segmented_radix_sort_config_selectorIalEEZNS1_25segmented_radix_sort_implIS3_Lb1EPKaPaPKlPlN2at6native12_GLOBAL__N_18offset_tEEE10hipError_tPvRmT1_PNSt15iterator_traitsISK_E10value_typeET2_T3_PNSL_ISQ_E10value_typeET4_jRbjT5_SW_jjP12ihipStream_tbEUlT_E_NS1_11comp_targetILNS1_3genE8ELNS1_11target_archE1030ELNS1_3gpuE2ELNS1_3repE0EEENS1_30default_config_static_selectorELNS0_4arch9wavefront6targetE0EEEvSK_.private_seg_size, 0+max(.L_ZN7rocprim17ROCPRIM_400000_NS6detail40segmented_radix_sort_single_block_helperIalLj256ELj17ELb1EE4sortIPKaPaPKlPlEEbT_T0_T1_T2_jjjjRNS3_12storage_typeE.private_seg_size)
	.set _ZN7rocprim17ROCPRIM_400000_NS6detail17trampoline_kernelINS0_14default_configENS1_36segmented_radix_sort_config_selectorIalEEZNS1_25segmented_radix_sort_implIS3_Lb1EPKaPaPKlPlN2at6native12_GLOBAL__N_18offset_tEEE10hipError_tPvRmT1_PNSt15iterator_traitsISK_E10value_typeET2_T3_PNSL_ISQ_E10value_typeET4_jRbjT5_SW_jjP12ihipStream_tbEUlT_E_NS1_11comp_targetILNS1_3genE8ELNS1_11target_archE1030ELNS1_3gpuE2ELNS1_3repE0EEENS1_30default_config_static_selectorELNS0_4arch9wavefront6targetE0EEEvSK_.uses_vcc, or(1, .L_ZN7rocprim17ROCPRIM_400000_NS6detail40segmented_radix_sort_single_block_helperIalLj256ELj17ELb1EE4sortIPKaPaPKlPlEEbT_T0_T1_T2_jjjjRNS3_12storage_typeE.uses_vcc)
	.set _ZN7rocprim17ROCPRIM_400000_NS6detail17trampoline_kernelINS0_14default_configENS1_36segmented_radix_sort_config_selectorIalEEZNS1_25segmented_radix_sort_implIS3_Lb1EPKaPaPKlPlN2at6native12_GLOBAL__N_18offset_tEEE10hipError_tPvRmT1_PNSt15iterator_traitsISK_E10value_typeET2_T3_PNSL_ISQ_E10value_typeET4_jRbjT5_SW_jjP12ihipStream_tbEUlT_E_NS1_11comp_targetILNS1_3genE8ELNS1_11target_archE1030ELNS1_3gpuE2ELNS1_3repE0EEENS1_30default_config_static_selectorELNS0_4arch9wavefront6targetE0EEEvSK_.uses_flat_scratch, or(0, .L_ZN7rocprim17ROCPRIM_400000_NS6detail40segmented_radix_sort_single_block_helperIalLj256ELj17ELb1EE4sortIPKaPaPKlPlEEbT_T0_T1_T2_jjjjRNS3_12storage_typeE.uses_flat_scratch)
	.set _ZN7rocprim17ROCPRIM_400000_NS6detail17trampoline_kernelINS0_14default_configENS1_36segmented_radix_sort_config_selectorIalEEZNS1_25segmented_radix_sort_implIS3_Lb1EPKaPaPKlPlN2at6native12_GLOBAL__N_18offset_tEEE10hipError_tPvRmT1_PNSt15iterator_traitsISK_E10value_typeET2_T3_PNSL_ISQ_E10value_typeET4_jRbjT5_SW_jjP12ihipStream_tbEUlT_E_NS1_11comp_targetILNS1_3genE8ELNS1_11target_archE1030ELNS1_3gpuE2ELNS1_3repE0EEENS1_30default_config_static_selectorELNS0_4arch9wavefront6targetE0EEEvSK_.has_dyn_sized_stack, or(0, .L_ZN7rocprim17ROCPRIM_400000_NS6detail40segmented_radix_sort_single_block_helperIalLj256ELj17ELb1EE4sortIPKaPaPKlPlEEbT_T0_T1_T2_jjjjRNS3_12storage_typeE.has_dyn_sized_stack)
	.set _ZN7rocprim17ROCPRIM_400000_NS6detail17trampoline_kernelINS0_14default_configENS1_36segmented_radix_sort_config_selectorIalEEZNS1_25segmented_radix_sort_implIS3_Lb1EPKaPaPKlPlN2at6native12_GLOBAL__N_18offset_tEEE10hipError_tPvRmT1_PNSt15iterator_traitsISK_E10value_typeET2_T3_PNSL_ISQ_E10value_typeET4_jRbjT5_SW_jjP12ihipStream_tbEUlT_E_NS1_11comp_targetILNS1_3genE8ELNS1_11target_archE1030ELNS1_3gpuE2ELNS1_3repE0EEENS1_30default_config_static_selectorELNS0_4arch9wavefront6targetE0EEEvSK_.has_recursion, or(0, .L_ZN7rocprim17ROCPRIM_400000_NS6detail40segmented_radix_sort_single_block_helperIalLj256ELj17ELb1EE4sortIPKaPaPKlPlEEbT_T0_T1_T2_jjjjRNS3_12storage_typeE.has_recursion)
	.set _ZN7rocprim17ROCPRIM_400000_NS6detail17trampoline_kernelINS0_14default_configENS1_36segmented_radix_sort_config_selectorIalEEZNS1_25segmented_radix_sort_implIS3_Lb1EPKaPaPKlPlN2at6native12_GLOBAL__N_18offset_tEEE10hipError_tPvRmT1_PNSt15iterator_traitsISK_E10value_typeET2_T3_PNSL_ISQ_E10value_typeET4_jRbjT5_SW_jjP12ihipStream_tbEUlT_E_NS1_11comp_targetILNS1_3genE8ELNS1_11target_archE1030ELNS1_3gpuE2ELNS1_3repE0EEENS1_30default_config_static_selectorELNS0_4arch9wavefront6targetE0EEEvSK_.has_indirect_call, or(0, .L_ZN7rocprim17ROCPRIM_400000_NS6detail40segmented_radix_sort_single_block_helperIalLj256ELj17ELb1EE4sortIPKaPaPKlPlEEbT_T0_T1_T2_jjjjRNS3_12storage_typeE.has_indirect_call)
	.section	.AMDGPU.csdata,"",@progbits
; Kernel info:
; codeLenInByte = 66304
; TotalNumSgprs: 70
; NumVgprs: 248
; ScratchSize: 240
; MemoryBound: 0
; FloatMode: 240
; IeeeMode: 1
; LDSByteSize: 35344 bytes/workgroup (compile time only)
; SGPRBlocks: 0
; VGPRBlocks: 30
; NumSGPRsForWavesPerEU: 70
; NumVGPRsForWavesPerEU: 248
; Occupancy: 4
; WaveLimiterHint : 1
; COMPUTE_PGM_RSRC2:SCRATCH_EN: 1
; COMPUTE_PGM_RSRC2:USER_SGPR: 6
; COMPUTE_PGM_RSRC2:TRAP_HANDLER: 0
; COMPUTE_PGM_RSRC2:TGID_X_EN: 1
; COMPUTE_PGM_RSRC2:TGID_Y_EN: 1
; COMPUTE_PGM_RSRC2:TGID_Z_EN: 0
; COMPUTE_PGM_RSRC2:TIDIG_COMP_CNT: 2
	.section	.text._ZN7rocprim17ROCPRIM_400000_NS6detail17trampoline_kernelINS0_14default_configENS1_36segmented_radix_sort_config_selectorIalEEZNS1_25segmented_radix_sort_implIS3_Lb1EPKaPaPKlPlN2at6native12_GLOBAL__N_18offset_tEEE10hipError_tPvRmT1_PNSt15iterator_traitsISK_E10value_typeET2_T3_PNSL_ISQ_E10value_typeET4_jRbjT5_SW_jjP12ihipStream_tbEUlT_E0_NS1_11comp_targetILNS1_3genE0ELNS1_11target_archE4294967295ELNS1_3gpuE0ELNS1_3repE0EEENS1_60segmented_radix_sort_warp_sort_medium_config_static_selectorELNS0_4arch9wavefront6targetE0EEEvSK_,"axG",@progbits,_ZN7rocprim17ROCPRIM_400000_NS6detail17trampoline_kernelINS0_14default_configENS1_36segmented_radix_sort_config_selectorIalEEZNS1_25segmented_radix_sort_implIS3_Lb1EPKaPaPKlPlN2at6native12_GLOBAL__N_18offset_tEEE10hipError_tPvRmT1_PNSt15iterator_traitsISK_E10value_typeET2_T3_PNSL_ISQ_E10value_typeET4_jRbjT5_SW_jjP12ihipStream_tbEUlT_E0_NS1_11comp_targetILNS1_3genE0ELNS1_11target_archE4294967295ELNS1_3gpuE0ELNS1_3repE0EEENS1_60segmented_radix_sort_warp_sort_medium_config_static_selectorELNS0_4arch9wavefront6targetE0EEEvSK_,comdat
	.globl	_ZN7rocprim17ROCPRIM_400000_NS6detail17trampoline_kernelINS0_14default_configENS1_36segmented_radix_sort_config_selectorIalEEZNS1_25segmented_radix_sort_implIS3_Lb1EPKaPaPKlPlN2at6native12_GLOBAL__N_18offset_tEEE10hipError_tPvRmT1_PNSt15iterator_traitsISK_E10value_typeET2_T3_PNSL_ISQ_E10value_typeET4_jRbjT5_SW_jjP12ihipStream_tbEUlT_E0_NS1_11comp_targetILNS1_3genE0ELNS1_11target_archE4294967295ELNS1_3gpuE0ELNS1_3repE0EEENS1_60segmented_radix_sort_warp_sort_medium_config_static_selectorELNS0_4arch9wavefront6targetE0EEEvSK_ ; -- Begin function _ZN7rocprim17ROCPRIM_400000_NS6detail17trampoline_kernelINS0_14default_configENS1_36segmented_radix_sort_config_selectorIalEEZNS1_25segmented_radix_sort_implIS3_Lb1EPKaPaPKlPlN2at6native12_GLOBAL__N_18offset_tEEE10hipError_tPvRmT1_PNSt15iterator_traitsISK_E10value_typeET2_T3_PNSL_ISQ_E10value_typeET4_jRbjT5_SW_jjP12ihipStream_tbEUlT_E0_NS1_11comp_targetILNS1_3genE0ELNS1_11target_archE4294967295ELNS1_3gpuE0ELNS1_3repE0EEENS1_60segmented_radix_sort_warp_sort_medium_config_static_selectorELNS0_4arch9wavefront6targetE0EEEvSK_
	.p2align	8
	.type	_ZN7rocprim17ROCPRIM_400000_NS6detail17trampoline_kernelINS0_14default_configENS1_36segmented_radix_sort_config_selectorIalEEZNS1_25segmented_radix_sort_implIS3_Lb1EPKaPaPKlPlN2at6native12_GLOBAL__N_18offset_tEEE10hipError_tPvRmT1_PNSt15iterator_traitsISK_E10value_typeET2_T3_PNSL_ISQ_E10value_typeET4_jRbjT5_SW_jjP12ihipStream_tbEUlT_E0_NS1_11comp_targetILNS1_3genE0ELNS1_11target_archE4294967295ELNS1_3gpuE0ELNS1_3repE0EEENS1_60segmented_radix_sort_warp_sort_medium_config_static_selectorELNS0_4arch9wavefront6targetE0EEEvSK_,@function
_ZN7rocprim17ROCPRIM_400000_NS6detail17trampoline_kernelINS0_14default_configENS1_36segmented_radix_sort_config_selectorIalEEZNS1_25segmented_radix_sort_implIS3_Lb1EPKaPaPKlPlN2at6native12_GLOBAL__N_18offset_tEEE10hipError_tPvRmT1_PNSt15iterator_traitsISK_E10value_typeET2_T3_PNSL_ISQ_E10value_typeET4_jRbjT5_SW_jjP12ihipStream_tbEUlT_E0_NS1_11comp_targetILNS1_3genE0ELNS1_11target_archE4294967295ELNS1_3gpuE0ELNS1_3repE0EEENS1_60segmented_radix_sort_warp_sort_medium_config_static_selectorELNS0_4arch9wavefront6targetE0EEEvSK_: ; @_ZN7rocprim17ROCPRIM_400000_NS6detail17trampoline_kernelINS0_14default_configENS1_36segmented_radix_sort_config_selectorIalEEZNS1_25segmented_radix_sort_implIS3_Lb1EPKaPaPKlPlN2at6native12_GLOBAL__N_18offset_tEEE10hipError_tPvRmT1_PNSt15iterator_traitsISK_E10value_typeET2_T3_PNSL_ISQ_E10value_typeET4_jRbjT5_SW_jjP12ihipStream_tbEUlT_E0_NS1_11comp_targetILNS1_3genE0ELNS1_11target_archE4294967295ELNS1_3gpuE0ELNS1_3repE0EEENS1_60segmented_radix_sort_warp_sort_medium_config_static_selectorELNS0_4arch9wavefront6targetE0EEEvSK_
; %bb.0:
	.section	.rodata,"a",@progbits
	.p2align	6, 0x0
	.amdhsa_kernel _ZN7rocprim17ROCPRIM_400000_NS6detail17trampoline_kernelINS0_14default_configENS1_36segmented_radix_sort_config_selectorIalEEZNS1_25segmented_radix_sort_implIS3_Lb1EPKaPaPKlPlN2at6native12_GLOBAL__N_18offset_tEEE10hipError_tPvRmT1_PNSt15iterator_traitsISK_E10value_typeET2_T3_PNSL_ISQ_E10value_typeET4_jRbjT5_SW_jjP12ihipStream_tbEUlT_E0_NS1_11comp_targetILNS1_3genE0ELNS1_11target_archE4294967295ELNS1_3gpuE0ELNS1_3repE0EEENS1_60segmented_radix_sort_warp_sort_medium_config_static_selectorELNS0_4arch9wavefront6targetE0EEEvSK_
		.amdhsa_group_segment_fixed_size 0
		.amdhsa_private_segment_fixed_size 0
		.amdhsa_kernarg_size 88
		.amdhsa_user_sgpr_count 6
		.amdhsa_user_sgpr_private_segment_buffer 1
		.amdhsa_user_sgpr_dispatch_ptr 0
		.amdhsa_user_sgpr_queue_ptr 0
		.amdhsa_user_sgpr_kernarg_segment_ptr 1
		.amdhsa_user_sgpr_dispatch_id 0
		.amdhsa_user_sgpr_flat_scratch_init 0
		.amdhsa_user_sgpr_private_segment_size 0
		.amdhsa_wavefront_size32 1
		.amdhsa_uses_dynamic_stack 0
		.amdhsa_system_sgpr_private_segment_wavefront_offset 0
		.amdhsa_system_sgpr_workgroup_id_x 1
		.amdhsa_system_sgpr_workgroup_id_y 0
		.amdhsa_system_sgpr_workgroup_id_z 0
		.amdhsa_system_sgpr_workgroup_info 0
		.amdhsa_system_vgpr_workitem_id 0
		.amdhsa_next_free_vgpr 1
		.amdhsa_next_free_sgpr 1
		.amdhsa_reserve_vcc 0
		.amdhsa_reserve_flat_scratch 0
		.amdhsa_float_round_mode_32 0
		.amdhsa_float_round_mode_16_64 0
		.amdhsa_float_denorm_mode_32 3
		.amdhsa_float_denorm_mode_16_64 3
		.amdhsa_dx10_clamp 1
		.amdhsa_ieee_mode 1
		.amdhsa_fp16_overflow 0
		.amdhsa_workgroup_processor_mode 1
		.amdhsa_memory_ordered 1
		.amdhsa_forward_progress 1
		.amdhsa_shared_vgpr_count 0
		.amdhsa_exception_fp_ieee_invalid_op 0
		.amdhsa_exception_fp_denorm_src 0
		.amdhsa_exception_fp_ieee_div_zero 0
		.amdhsa_exception_fp_ieee_overflow 0
		.amdhsa_exception_fp_ieee_underflow 0
		.amdhsa_exception_fp_ieee_inexact 0
		.amdhsa_exception_int_div_zero 0
	.end_amdhsa_kernel
	.section	.text._ZN7rocprim17ROCPRIM_400000_NS6detail17trampoline_kernelINS0_14default_configENS1_36segmented_radix_sort_config_selectorIalEEZNS1_25segmented_radix_sort_implIS3_Lb1EPKaPaPKlPlN2at6native12_GLOBAL__N_18offset_tEEE10hipError_tPvRmT1_PNSt15iterator_traitsISK_E10value_typeET2_T3_PNSL_ISQ_E10value_typeET4_jRbjT5_SW_jjP12ihipStream_tbEUlT_E0_NS1_11comp_targetILNS1_3genE0ELNS1_11target_archE4294967295ELNS1_3gpuE0ELNS1_3repE0EEENS1_60segmented_radix_sort_warp_sort_medium_config_static_selectorELNS0_4arch9wavefront6targetE0EEEvSK_,"axG",@progbits,_ZN7rocprim17ROCPRIM_400000_NS6detail17trampoline_kernelINS0_14default_configENS1_36segmented_radix_sort_config_selectorIalEEZNS1_25segmented_radix_sort_implIS3_Lb1EPKaPaPKlPlN2at6native12_GLOBAL__N_18offset_tEEE10hipError_tPvRmT1_PNSt15iterator_traitsISK_E10value_typeET2_T3_PNSL_ISQ_E10value_typeET4_jRbjT5_SW_jjP12ihipStream_tbEUlT_E0_NS1_11comp_targetILNS1_3genE0ELNS1_11target_archE4294967295ELNS1_3gpuE0ELNS1_3repE0EEENS1_60segmented_radix_sort_warp_sort_medium_config_static_selectorELNS0_4arch9wavefront6targetE0EEEvSK_,comdat
.Lfunc_end298:
	.size	_ZN7rocprim17ROCPRIM_400000_NS6detail17trampoline_kernelINS0_14default_configENS1_36segmented_radix_sort_config_selectorIalEEZNS1_25segmented_radix_sort_implIS3_Lb1EPKaPaPKlPlN2at6native12_GLOBAL__N_18offset_tEEE10hipError_tPvRmT1_PNSt15iterator_traitsISK_E10value_typeET2_T3_PNSL_ISQ_E10value_typeET4_jRbjT5_SW_jjP12ihipStream_tbEUlT_E0_NS1_11comp_targetILNS1_3genE0ELNS1_11target_archE4294967295ELNS1_3gpuE0ELNS1_3repE0EEENS1_60segmented_radix_sort_warp_sort_medium_config_static_selectorELNS0_4arch9wavefront6targetE0EEEvSK_, .Lfunc_end298-_ZN7rocprim17ROCPRIM_400000_NS6detail17trampoline_kernelINS0_14default_configENS1_36segmented_radix_sort_config_selectorIalEEZNS1_25segmented_radix_sort_implIS3_Lb1EPKaPaPKlPlN2at6native12_GLOBAL__N_18offset_tEEE10hipError_tPvRmT1_PNSt15iterator_traitsISK_E10value_typeET2_T3_PNSL_ISQ_E10value_typeET4_jRbjT5_SW_jjP12ihipStream_tbEUlT_E0_NS1_11comp_targetILNS1_3genE0ELNS1_11target_archE4294967295ELNS1_3gpuE0ELNS1_3repE0EEENS1_60segmented_radix_sort_warp_sort_medium_config_static_selectorELNS0_4arch9wavefront6targetE0EEEvSK_
                                        ; -- End function
	.set _ZN7rocprim17ROCPRIM_400000_NS6detail17trampoline_kernelINS0_14default_configENS1_36segmented_radix_sort_config_selectorIalEEZNS1_25segmented_radix_sort_implIS3_Lb1EPKaPaPKlPlN2at6native12_GLOBAL__N_18offset_tEEE10hipError_tPvRmT1_PNSt15iterator_traitsISK_E10value_typeET2_T3_PNSL_ISQ_E10value_typeET4_jRbjT5_SW_jjP12ihipStream_tbEUlT_E0_NS1_11comp_targetILNS1_3genE0ELNS1_11target_archE4294967295ELNS1_3gpuE0ELNS1_3repE0EEENS1_60segmented_radix_sort_warp_sort_medium_config_static_selectorELNS0_4arch9wavefront6targetE0EEEvSK_.num_vgpr, 0
	.set _ZN7rocprim17ROCPRIM_400000_NS6detail17trampoline_kernelINS0_14default_configENS1_36segmented_radix_sort_config_selectorIalEEZNS1_25segmented_radix_sort_implIS3_Lb1EPKaPaPKlPlN2at6native12_GLOBAL__N_18offset_tEEE10hipError_tPvRmT1_PNSt15iterator_traitsISK_E10value_typeET2_T3_PNSL_ISQ_E10value_typeET4_jRbjT5_SW_jjP12ihipStream_tbEUlT_E0_NS1_11comp_targetILNS1_3genE0ELNS1_11target_archE4294967295ELNS1_3gpuE0ELNS1_3repE0EEENS1_60segmented_radix_sort_warp_sort_medium_config_static_selectorELNS0_4arch9wavefront6targetE0EEEvSK_.num_agpr, 0
	.set _ZN7rocprim17ROCPRIM_400000_NS6detail17trampoline_kernelINS0_14default_configENS1_36segmented_radix_sort_config_selectorIalEEZNS1_25segmented_radix_sort_implIS3_Lb1EPKaPaPKlPlN2at6native12_GLOBAL__N_18offset_tEEE10hipError_tPvRmT1_PNSt15iterator_traitsISK_E10value_typeET2_T3_PNSL_ISQ_E10value_typeET4_jRbjT5_SW_jjP12ihipStream_tbEUlT_E0_NS1_11comp_targetILNS1_3genE0ELNS1_11target_archE4294967295ELNS1_3gpuE0ELNS1_3repE0EEENS1_60segmented_radix_sort_warp_sort_medium_config_static_selectorELNS0_4arch9wavefront6targetE0EEEvSK_.numbered_sgpr, 0
	.set _ZN7rocprim17ROCPRIM_400000_NS6detail17trampoline_kernelINS0_14default_configENS1_36segmented_radix_sort_config_selectorIalEEZNS1_25segmented_radix_sort_implIS3_Lb1EPKaPaPKlPlN2at6native12_GLOBAL__N_18offset_tEEE10hipError_tPvRmT1_PNSt15iterator_traitsISK_E10value_typeET2_T3_PNSL_ISQ_E10value_typeET4_jRbjT5_SW_jjP12ihipStream_tbEUlT_E0_NS1_11comp_targetILNS1_3genE0ELNS1_11target_archE4294967295ELNS1_3gpuE0ELNS1_3repE0EEENS1_60segmented_radix_sort_warp_sort_medium_config_static_selectorELNS0_4arch9wavefront6targetE0EEEvSK_.num_named_barrier, 0
	.set _ZN7rocprim17ROCPRIM_400000_NS6detail17trampoline_kernelINS0_14default_configENS1_36segmented_radix_sort_config_selectorIalEEZNS1_25segmented_radix_sort_implIS3_Lb1EPKaPaPKlPlN2at6native12_GLOBAL__N_18offset_tEEE10hipError_tPvRmT1_PNSt15iterator_traitsISK_E10value_typeET2_T3_PNSL_ISQ_E10value_typeET4_jRbjT5_SW_jjP12ihipStream_tbEUlT_E0_NS1_11comp_targetILNS1_3genE0ELNS1_11target_archE4294967295ELNS1_3gpuE0ELNS1_3repE0EEENS1_60segmented_radix_sort_warp_sort_medium_config_static_selectorELNS0_4arch9wavefront6targetE0EEEvSK_.private_seg_size, 0
	.set _ZN7rocprim17ROCPRIM_400000_NS6detail17trampoline_kernelINS0_14default_configENS1_36segmented_radix_sort_config_selectorIalEEZNS1_25segmented_radix_sort_implIS3_Lb1EPKaPaPKlPlN2at6native12_GLOBAL__N_18offset_tEEE10hipError_tPvRmT1_PNSt15iterator_traitsISK_E10value_typeET2_T3_PNSL_ISQ_E10value_typeET4_jRbjT5_SW_jjP12ihipStream_tbEUlT_E0_NS1_11comp_targetILNS1_3genE0ELNS1_11target_archE4294967295ELNS1_3gpuE0ELNS1_3repE0EEENS1_60segmented_radix_sort_warp_sort_medium_config_static_selectorELNS0_4arch9wavefront6targetE0EEEvSK_.uses_vcc, 0
	.set _ZN7rocprim17ROCPRIM_400000_NS6detail17trampoline_kernelINS0_14default_configENS1_36segmented_radix_sort_config_selectorIalEEZNS1_25segmented_radix_sort_implIS3_Lb1EPKaPaPKlPlN2at6native12_GLOBAL__N_18offset_tEEE10hipError_tPvRmT1_PNSt15iterator_traitsISK_E10value_typeET2_T3_PNSL_ISQ_E10value_typeET4_jRbjT5_SW_jjP12ihipStream_tbEUlT_E0_NS1_11comp_targetILNS1_3genE0ELNS1_11target_archE4294967295ELNS1_3gpuE0ELNS1_3repE0EEENS1_60segmented_radix_sort_warp_sort_medium_config_static_selectorELNS0_4arch9wavefront6targetE0EEEvSK_.uses_flat_scratch, 0
	.set _ZN7rocprim17ROCPRIM_400000_NS6detail17trampoline_kernelINS0_14default_configENS1_36segmented_radix_sort_config_selectorIalEEZNS1_25segmented_radix_sort_implIS3_Lb1EPKaPaPKlPlN2at6native12_GLOBAL__N_18offset_tEEE10hipError_tPvRmT1_PNSt15iterator_traitsISK_E10value_typeET2_T3_PNSL_ISQ_E10value_typeET4_jRbjT5_SW_jjP12ihipStream_tbEUlT_E0_NS1_11comp_targetILNS1_3genE0ELNS1_11target_archE4294967295ELNS1_3gpuE0ELNS1_3repE0EEENS1_60segmented_radix_sort_warp_sort_medium_config_static_selectorELNS0_4arch9wavefront6targetE0EEEvSK_.has_dyn_sized_stack, 0
	.set _ZN7rocprim17ROCPRIM_400000_NS6detail17trampoline_kernelINS0_14default_configENS1_36segmented_radix_sort_config_selectorIalEEZNS1_25segmented_radix_sort_implIS3_Lb1EPKaPaPKlPlN2at6native12_GLOBAL__N_18offset_tEEE10hipError_tPvRmT1_PNSt15iterator_traitsISK_E10value_typeET2_T3_PNSL_ISQ_E10value_typeET4_jRbjT5_SW_jjP12ihipStream_tbEUlT_E0_NS1_11comp_targetILNS1_3genE0ELNS1_11target_archE4294967295ELNS1_3gpuE0ELNS1_3repE0EEENS1_60segmented_radix_sort_warp_sort_medium_config_static_selectorELNS0_4arch9wavefront6targetE0EEEvSK_.has_recursion, 0
	.set _ZN7rocprim17ROCPRIM_400000_NS6detail17trampoline_kernelINS0_14default_configENS1_36segmented_radix_sort_config_selectorIalEEZNS1_25segmented_radix_sort_implIS3_Lb1EPKaPaPKlPlN2at6native12_GLOBAL__N_18offset_tEEE10hipError_tPvRmT1_PNSt15iterator_traitsISK_E10value_typeET2_T3_PNSL_ISQ_E10value_typeET4_jRbjT5_SW_jjP12ihipStream_tbEUlT_E0_NS1_11comp_targetILNS1_3genE0ELNS1_11target_archE4294967295ELNS1_3gpuE0ELNS1_3repE0EEENS1_60segmented_radix_sort_warp_sort_medium_config_static_selectorELNS0_4arch9wavefront6targetE0EEEvSK_.has_indirect_call, 0
	.section	.AMDGPU.csdata,"",@progbits
; Kernel info:
; codeLenInByte = 0
; TotalNumSgprs: 0
; NumVgprs: 0
; ScratchSize: 0
; MemoryBound: 0
; FloatMode: 240
; IeeeMode: 1
; LDSByteSize: 0 bytes/workgroup (compile time only)
; SGPRBlocks: 0
; VGPRBlocks: 0
; NumSGPRsForWavesPerEU: 1
; NumVGPRsForWavesPerEU: 1
; Occupancy: 16
; WaveLimiterHint : 0
; COMPUTE_PGM_RSRC2:SCRATCH_EN: 0
; COMPUTE_PGM_RSRC2:USER_SGPR: 6
; COMPUTE_PGM_RSRC2:TRAP_HANDLER: 0
; COMPUTE_PGM_RSRC2:TGID_X_EN: 1
; COMPUTE_PGM_RSRC2:TGID_Y_EN: 0
; COMPUTE_PGM_RSRC2:TGID_Z_EN: 0
; COMPUTE_PGM_RSRC2:TIDIG_COMP_CNT: 0
	.section	.text._ZN7rocprim17ROCPRIM_400000_NS6detail17trampoline_kernelINS0_14default_configENS1_36segmented_radix_sort_config_selectorIalEEZNS1_25segmented_radix_sort_implIS3_Lb1EPKaPaPKlPlN2at6native12_GLOBAL__N_18offset_tEEE10hipError_tPvRmT1_PNSt15iterator_traitsISK_E10value_typeET2_T3_PNSL_ISQ_E10value_typeET4_jRbjT5_SW_jjP12ihipStream_tbEUlT_E0_NS1_11comp_targetILNS1_3genE5ELNS1_11target_archE942ELNS1_3gpuE9ELNS1_3repE0EEENS1_60segmented_radix_sort_warp_sort_medium_config_static_selectorELNS0_4arch9wavefront6targetE0EEEvSK_,"axG",@progbits,_ZN7rocprim17ROCPRIM_400000_NS6detail17trampoline_kernelINS0_14default_configENS1_36segmented_radix_sort_config_selectorIalEEZNS1_25segmented_radix_sort_implIS3_Lb1EPKaPaPKlPlN2at6native12_GLOBAL__N_18offset_tEEE10hipError_tPvRmT1_PNSt15iterator_traitsISK_E10value_typeET2_T3_PNSL_ISQ_E10value_typeET4_jRbjT5_SW_jjP12ihipStream_tbEUlT_E0_NS1_11comp_targetILNS1_3genE5ELNS1_11target_archE942ELNS1_3gpuE9ELNS1_3repE0EEENS1_60segmented_radix_sort_warp_sort_medium_config_static_selectorELNS0_4arch9wavefront6targetE0EEEvSK_,comdat
	.globl	_ZN7rocprim17ROCPRIM_400000_NS6detail17trampoline_kernelINS0_14default_configENS1_36segmented_radix_sort_config_selectorIalEEZNS1_25segmented_radix_sort_implIS3_Lb1EPKaPaPKlPlN2at6native12_GLOBAL__N_18offset_tEEE10hipError_tPvRmT1_PNSt15iterator_traitsISK_E10value_typeET2_T3_PNSL_ISQ_E10value_typeET4_jRbjT5_SW_jjP12ihipStream_tbEUlT_E0_NS1_11comp_targetILNS1_3genE5ELNS1_11target_archE942ELNS1_3gpuE9ELNS1_3repE0EEENS1_60segmented_radix_sort_warp_sort_medium_config_static_selectorELNS0_4arch9wavefront6targetE0EEEvSK_ ; -- Begin function _ZN7rocprim17ROCPRIM_400000_NS6detail17trampoline_kernelINS0_14default_configENS1_36segmented_radix_sort_config_selectorIalEEZNS1_25segmented_radix_sort_implIS3_Lb1EPKaPaPKlPlN2at6native12_GLOBAL__N_18offset_tEEE10hipError_tPvRmT1_PNSt15iterator_traitsISK_E10value_typeET2_T3_PNSL_ISQ_E10value_typeET4_jRbjT5_SW_jjP12ihipStream_tbEUlT_E0_NS1_11comp_targetILNS1_3genE5ELNS1_11target_archE942ELNS1_3gpuE9ELNS1_3repE0EEENS1_60segmented_radix_sort_warp_sort_medium_config_static_selectorELNS0_4arch9wavefront6targetE0EEEvSK_
	.p2align	8
	.type	_ZN7rocprim17ROCPRIM_400000_NS6detail17trampoline_kernelINS0_14default_configENS1_36segmented_radix_sort_config_selectorIalEEZNS1_25segmented_radix_sort_implIS3_Lb1EPKaPaPKlPlN2at6native12_GLOBAL__N_18offset_tEEE10hipError_tPvRmT1_PNSt15iterator_traitsISK_E10value_typeET2_T3_PNSL_ISQ_E10value_typeET4_jRbjT5_SW_jjP12ihipStream_tbEUlT_E0_NS1_11comp_targetILNS1_3genE5ELNS1_11target_archE942ELNS1_3gpuE9ELNS1_3repE0EEENS1_60segmented_radix_sort_warp_sort_medium_config_static_selectorELNS0_4arch9wavefront6targetE0EEEvSK_,@function
_ZN7rocprim17ROCPRIM_400000_NS6detail17trampoline_kernelINS0_14default_configENS1_36segmented_radix_sort_config_selectorIalEEZNS1_25segmented_radix_sort_implIS3_Lb1EPKaPaPKlPlN2at6native12_GLOBAL__N_18offset_tEEE10hipError_tPvRmT1_PNSt15iterator_traitsISK_E10value_typeET2_T3_PNSL_ISQ_E10value_typeET4_jRbjT5_SW_jjP12ihipStream_tbEUlT_E0_NS1_11comp_targetILNS1_3genE5ELNS1_11target_archE942ELNS1_3gpuE9ELNS1_3repE0EEENS1_60segmented_radix_sort_warp_sort_medium_config_static_selectorELNS0_4arch9wavefront6targetE0EEEvSK_: ; @_ZN7rocprim17ROCPRIM_400000_NS6detail17trampoline_kernelINS0_14default_configENS1_36segmented_radix_sort_config_selectorIalEEZNS1_25segmented_radix_sort_implIS3_Lb1EPKaPaPKlPlN2at6native12_GLOBAL__N_18offset_tEEE10hipError_tPvRmT1_PNSt15iterator_traitsISK_E10value_typeET2_T3_PNSL_ISQ_E10value_typeET4_jRbjT5_SW_jjP12ihipStream_tbEUlT_E0_NS1_11comp_targetILNS1_3genE5ELNS1_11target_archE942ELNS1_3gpuE9ELNS1_3repE0EEENS1_60segmented_radix_sort_warp_sort_medium_config_static_selectorELNS0_4arch9wavefront6targetE0EEEvSK_
; %bb.0:
	.section	.rodata,"a",@progbits
	.p2align	6, 0x0
	.amdhsa_kernel _ZN7rocprim17ROCPRIM_400000_NS6detail17trampoline_kernelINS0_14default_configENS1_36segmented_radix_sort_config_selectorIalEEZNS1_25segmented_radix_sort_implIS3_Lb1EPKaPaPKlPlN2at6native12_GLOBAL__N_18offset_tEEE10hipError_tPvRmT1_PNSt15iterator_traitsISK_E10value_typeET2_T3_PNSL_ISQ_E10value_typeET4_jRbjT5_SW_jjP12ihipStream_tbEUlT_E0_NS1_11comp_targetILNS1_3genE5ELNS1_11target_archE942ELNS1_3gpuE9ELNS1_3repE0EEENS1_60segmented_radix_sort_warp_sort_medium_config_static_selectorELNS0_4arch9wavefront6targetE0EEEvSK_
		.amdhsa_group_segment_fixed_size 0
		.amdhsa_private_segment_fixed_size 0
		.amdhsa_kernarg_size 88
		.amdhsa_user_sgpr_count 6
		.amdhsa_user_sgpr_private_segment_buffer 1
		.amdhsa_user_sgpr_dispatch_ptr 0
		.amdhsa_user_sgpr_queue_ptr 0
		.amdhsa_user_sgpr_kernarg_segment_ptr 1
		.amdhsa_user_sgpr_dispatch_id 0
		.amdhsa_user_sgpr_flat_scratch_init 0
		.amdhsa_user_sgpr_private_segment_size 0
		.amdhsa_wavefront_size32 1
		.amdhsa_uses_dynamic_stack 0
		.amdhsa_system_sgpr_private_segment_wavefront_offset 0
		.amdhsa_system_sgpr_workgroup_id_x 1
		.amdhsa_system_sgpr_workgroup_id_y 0
		.amdhsa_system_sgpr_workgroup_id_z 0
		.amdhsa_system_sgpr_workgroup_info 0
		.amdhsa_system_vgpr_workitem_id 0
		.amdhsa_next_free_vgpr 1
		.amdhsa_next_free_sgpr 1
		.amdhsa_reserve_vcc 0
		.amdhsa_reserve_flat_scratch 0
		.amdhsa_float_round_mode_32 0
		.amdhsa_float_round_mode_16_64 0
		.amdhsa_float_denorm_mode_32 3
		.amdhsa_float_denorm_mode_16_64 3
		.amdhsa_dx10_clamp 1
		.amdhsa_ieee_mode 1
		.amdhsa_fp16_overflow 0
		.amdhsa_workgroup_processor_mode 1
		.amdhsa_memory_ordered 1
		.amdhsa_forward_progress 1
		.amdhsa_shared_vgpr_count 0
		.amdhsa_exception_fp_ieee_invalid_op 0
		.amdhsa_exception_fp_denorm_src 0
		.amdhsa_exception_fp_ieee_div_zero 0
		.amdhsa_exception_fp_ieee_overflow 0
		.amdhsa_exception_fp_ieee_underflow 0
		.amdhsa_exception_fp_ieee_inexact 0
		.amdhsa_exception_int_div_zero 0
	.end_amdhsa_kernel
	.section	.text._ZN7rocprim17ROCPRIM_400000_NS6detail17trampoline_kernelINS0_14default_configENS1_36segmented_radix_sort_config_selectorIalEEZNS1_25segmented_radix_sort_implIS3_Lb1EPKaPaPKlPlN2at6native12_GLOBAL__N_18offset_tEEE10hipError_tPvRmT1_PNSt15iterator_traitsISK_E10value_typeET2_T3_PNSL_ISQ_E10value_typeET4_jRbjT5_SW_jjP12ihipStream_tbEUlT_E0_NS1_11comp_targetILNS1_3genE5ELNS1_11target_archE942ELNS1_3gpuE9ELNS1_3repE0EEENS1_60segmented_radix_sort_warp_sort_medium_config_static_selectorELNS0_4arch9wavefront6targetE0EEEvSK_,"axG",@progbits,_ZN7rocprim17ROCPRIM_400000_NS6detail17trampoline_kernelINS0_14default_configENS1_36segmented_radix_sort_config_selectorIalEEZNS1_25segmented_radix_sort_implIS3_Lb1EPKaPaPKlPlN2at6native12_GLOBAL__N_18offset_tEEE10hipError_tPvRmT1_PNSt15iterator_traitsISK_E10value_typeET2_T3_PNSL_ISQ_E10value_typeET4_jRbjT5_SW_jjP12ihipStream_tbEUlT_E0_NS1_11comp_targetILNS1_3genE5ELNS1_11target_archE942ELNS1_3gpuE9ELNS1_3repE0EEENS1_60segmented_radix_sort_warp_sort_medium_config_static_selectorELNS0_4arch9wavefront6targetE0EEEvSK_,comdat
.Lfunc_end299:
	.size	_ZN7rocprim17ROCPRIM_400000_NS6detail17trampoline_kernelINS0_14default_configENS1_36segmented_radix_sort_config_selectorIalEEZNS1_25segmented_radix_sort_implIS3_Lb1EPKaPaPKlPlN2at6native12_GLOBAL__N_18offset_tEEE10hipError_tPvRmT1_PNSt15iterator_traitsISK_E10value_typeET2_T3_PNSL_ISQ_E10value_typeET4_jRbjT5_SW_jjP12ihipStream_tbEUlT_E0_NS1_11comp_targetILNS1_3genE5ELNS1_11target_archE942ELNS1_3gpuE9ELNS1_3repE0EEENS1_60segmented_radix_sort_warp_sort_medium_config_static_selectorELNS0_4arch9wavefront6targetE0EEEvSK_, .Lfunc_end299-_ZN7rocprim17ROCPRIM_400000_NS6detail17trampoline_kernelINS0_14default_configENS1_36segmented_radix_sort_config_selectorIalEEZNS1_25segmented_radix_sort_implIS3_Lb1EPKaPaPKlPlN2at6native12_GLOBAL__N_18offset_tEEE10hipError_tPvRmT1_PNSt15iterator_traitsISK_E10value_typeET2_T3_PNSL_ISQ_E10value_typeET4_jRbjT5_SW_jjP12ihipStream_tbEUlT_E0_NS1_11comp_targetILNS1_3genE5ELNS1_11target_archE942ELNS1_3gpuE9ELNS1_3repE0EEENS1_60segmented_radix_sort_warp_sort_medium_config_static_selectorELNS0_4arch9wavefront6targetE0EEEvSK_
                                        ; -- End function
	.set _ZN7rocprim17ROCPRIM_400000_NS6detail17trampoline_kernelINS0_14default_configENS1_36segmented_radix_sort_config_selectorIalEEZNS1_25segmented_radix_sort_implIS3_Lb1EPKaPaPKlPlN2at6native12_GLOBAL__N_18offset_tEEE10hipError_tPvRmT1_PNSt15iterator_traitsISK_E10value_typeET2_T3_PNSL_ISQ_E10value_typeET4_jRbjT5_SW_jjP12ihipStream_tbEUlT_E0_NS1_11comp_targetILNS1_3genE5ELNS1_11target_archE942ELNS1_3gpuE9ELNS1_3repE0EEENS1_60segmented_radix_sort_warp_sort_medium_config_static_selectorELNS0_4arch9wavefront6targetE0EEEvSK_.num_vgpr, 0
	.set _ZN7rocprim17ROCPRIM_400000_NS6detail17trampoline_kernelINS0_14default_configENS1_36segmented_radix_sort_config_selectorIalEEZNS1_25segmented_radix_sort_implIS3_Lb1EPKaPaPKlPlN2at6native12_GLOBAL__N_18offset_tEEE10hipError_tPvRmT1_PNSt15iterator_traitsISK_E10value_typeET2_T3_PNSL_ISQ_E10value_typeET4_jRbjT5_SW_jjP12ihipStream_tbEUlT_E0_NS1_11comp_targetILNS1_3genE5ELNS1_11target_archE942ELNS1_3gpuE9ELNS1_3repE0EEENS1_60segmented_radix_sort_warp_sort_medium_config_static_selectorELNS0_4arch9wavefront6targetE0EEEvSK_.num_agpr, 0
	.set _ZN7rocprim17ROCPRIM_400000_NS6detail17trampoline_kernelINS0_14default_configENS1_36segmented_radix_sort_config_selectorIalEEZNS1_25segmented_radix_sort_implIS3_Lb1EPKaPaPKlPlN2at6native12_GLOBAL__N_18offset_tEEE10hipError_tPvRmT1_PNSt15iterator_traitsISK_E10value_typeET2_T3_PNSL_ISQ_E10value_typeET4_jRbjT5_SW_jjP12ihipStream_tbEUlT_E0_NS1_11comp_targetILNS1_3genE5ELNS1_11target_archE942ELNS1_3gpuE9ELNS1_3repE0EEENS1_60segmented_radix_sort_warp_sort_medium_config_static_selectorELNS0_4arch9wavefront6targetE0EEEvSK_.numbered_sgpr, 0
	.set _ZN7rocprim17ROCPRIM_400000_NS6detail17trampoline_kernelINS0_14default_configENS1_36segmented_radix_sort_config_selectorIalEEZNS1_25segmented_radix_sort_implIS3_Lb1EPKaPaPKlPlN2at6native12_GLOBAL__N_18offset_tEEE10hipError_tPvRmT1_PNSt15iterator_traitsISK_E10value_typeET2_T3_PNSL_ISQ_E10value_typeET4_jRbjT5_SW_jjP12ihipStream_tbEUlT_E0_NS1_11comp_targetILNS1_3genE5ELNS1_11target_archE942ELNS1_3gpuE9ELNS1_3repE0EEENS1_60segmented_radix_sort_warp_sort_medium_config_static_selectorELNS0_4arch9wavefront6targetE0EEEvSK_.num_named_barrier, 0
	.set _ZN7rocprim17ROCPRIM_400000_NS6detail17trampoline_kernelINS0_14default_configENS1_36segmented_radix_sort_config_selectorIalEEZNS1_25segmented_radix_sort_implIS3_Lb1EPKaPaPKlPlN2at6native12_GLOBAL__N_18offset_tEEE10hipError_tPvRmT1_PNSt15iterator_traitsISK_E10value_typeET2_T3_PNSL_ISQ_E10value_typeET4_jRbjT5_SW_jjP12ihipStream_tbEUlT_E0_NS1_11comp_targetILNS1_3genE5ELNS1_11target_archE942ELNS1_3gpuE9ELNS1_3repE0EEENS1_60segmented_radix_sort_warp_sort_medium_config_static_selectorELNS0_4arch9wavefront6targetE0EEEvSK_.private_seg_size, 0
	.set _ZN7rocprim17ROCPRIM_400000_NS6detail17trampoline_kernelINS0_14default_configENS1_36segmented_radix_sort_config_selectorIalEEZNS1_25segmented_radix_sort_implIS3_Lb1EPKaPaPKlPlN2at6native12_GLOBAL__N_18offset_tEEE10hipError_tPvRmT1_PNSt15iterator_traitsISK_E10value_typeET2_T3_PNSL_ISQ_E10value_typeET4_jRbjT5_SW_jjP12ihipStream_tbEUlT_E0_NS1_11comp_targetILNS1_3genE5ELNS1_11target_archE942ELNS1_3gpuE9ELNS1_3repE0EEENS1_60segmented_radix_sort_warp_sort_medium_config_static_selectorELNS0_4arch9wavefront6targetE0EEEvSK_.uses_vcc, 0
	.set _ZN7rocprim17ROCPRIM_400000_NS6detail17trampoline_kernelINS0_14default_configENS1_36segmented_radix_sort_config_selectorIalEEZNS1_25segmented_radix_sort_implIS3_Lb1EPKaPaPKlPlN2at6native12_GLOBAL__N_18offset_tEEE10hipError_tPvRmT1_PNSt15iterator_traitsISK_E10value_typeET2_T3_PNSL_ISQ_E10value_typeET4_jRbjT5_SW_jjP12ihipStream_tbEUlT_E0_NS1_11comp_targetILNS1_3genE5ELNS1_11target_archE942ELNS1_3gpuE9ELNS1_3repE0EEENS1_60segmented_radix_sort_warp_sort_medium_config_static_selectorELNS0_4arch9wavefront6targetE0EEEvSK_.uses_flat_scratch, 0
	.set _ZN7rocprim17ROCPRIM_400000_NS6detail17trampoline_kernelINS0_14default_configENS1_36segmented_radix_sort_config_selectorIalEEZNS1_25segmented_radix_sort_implIS3_Lb1EPKaPaPKlPlN2at6native12_GLOBAL__N_18offset_tEEE10hipError_tPvRmT1_PNSt15iterator_traitsISK_E10value_typeET2_T3_PNSL_ISQ_E10value_typeET4_jRbjT5_SW_jjP12ihipStream_tbEUlT_E0_NS1_11comp_targetILNS1_3genE5ELNS1_11target_archE942ELNS1_3gpuE9ELNS1_3repE0EEENS1_60segmented_radix_sort_warp_sort_medium_config_static_selectorELNS0_4arch9wavefront6targetE0EEEvSK_.has_dyn_sized_stack, 0
	.set _ZN7rocprim17ROCPRIM_400000_NS6detail17trampoline_kernelINS0_14default_configENS1_36segmented_radix_sort_config_selectorIalEEZNS1_25segmented_radix_sort_implIS3_Lb1EPKaPaPKlPlN2at6native12_GLOBAL__N_18offset_tEEE10hipError_tPvRmT1_PNSt15iterator_traitsISK_E10value_typeET2_T3_PNSL_ISQ_E10value_typeET4_jRbjT5_SW_jjP12ihipStream_tbEUlT_E0_NS1_11comp_targetILNS1_3genE5ELNS1_11target_archE942ELNS1_3gpuE9ELNS1_3repE0EEENS1_60segmented_radix_sort_warp_sort_medium_config_static_selectorELNS0_4arch9wavefront6targetE0EEEvSK_.has_recursion, 0
	.set _ZN7rocprim17ROCPRIM_400000_NS6detail17trampoline_kernelINS0_14default_configENS1_36segmented_radix_sort_config_selectorIalEEZNS1_25segmented_radix_sort_implIS3_Lb1EPKaPaPKlPlN2at6native12_GLOBAL__N_18offset_tEEE10hipError_tPvRmT1_PNSt15iterator_traitsISK_E10value_typeET2_T3_PNSL_ISQ_E10value_typeET4_jRbjT5_SW_jjP12ihipStream_tbEUlT_E0_NS1_11comp_targetILNS1_3genE5ELNS1_11target_archE942ELNS1_3gpuE9ELNS1_3repE0EEENS1_60segmented_radix_sort_warp_sort_medium_config_static_selectorELNS0_4arch9wavefront6targetE0EEEvSK_.has_indirect_call, 0
	.section	.AMDGPU.csdata,"",@progbits
; Kernel info:
; codeLenInByte = 0
; TotalNumSgprs: 0
; NumVgprs: 0
; ScratchSize: 0
; MemoryBound: 0
; FloatMode: 240
; IeeeMode: 1
; LDSByteSize: 0 bytes/workgroup (compile time only)
; SGPRBlocks: 0
; VGPRBlocks: 0
; NumSGPRsForWavesPerEU: 1
; NumVGPRsForWavesPerEU: 1
; Occupancy: 16
; WaveLimiterHint : 0
; COMPUTE_PGM_RSRC2:SCRATCH_EN: 0
; COMPUTE_PGM_RSRC2:USER_SGPR: 6
; COMPUTE_PGM_RSRC2:TRAP_HANDLER: 0
; COMPUTE_PGM_RSRC2:TGID_X_EN: 1
; COMPUTE_PGM_RSRC2:TGID_Y_EN: 0
; COMPUTE_PGM_RSRC2:TGID_Z_EN: 0
; COMPUTE_PGM_RSRC2:TIDIG_COMP_CNT: 0
	.section	.text._ZN7rocprim17ROCPRIM_400000_NS6detail17trampoline_kernelINS0_14default_configENS1_36segmented_radix_sort_config_selectorIalEEZNS1_25segmented_radix_sort_implIS3_Lb1EPKaPaPKlPlN2at6native12_GLOBAL__N_18offset_tEEE10hipError_tPvRmT1_PNSt15iterator_traitsISK_E10value_typeET2_T3_PNSL_ISQ_E10value_typeET4_jRbjT5_SW_jjP12ihipStream_tbEUlT_E0_NS1_11comp_targetILNS1_3genE4ELNS1_11target_archE910ELNS1_3gpuE8ELNS1_3repE0EEENS1_60segmented_radix_sort_warp_sort_medium_config_static_selectorELNS0_4arch9wavefront6targetE0EEEvSK_,"axG",@progbits,_ZN7rocprim17ROCPRIM_400000_NS6detail17trampoline_kernelINS0_14default_configENS1_36segmented_radix_sort_config_selectorIalEEZNS1_25segmented_radix_sort_implIS3_Lb1EPKaPaPKlPlN2at6native12_GLOBAL__N_18offset_tEEE10hipError_tPvRmT1_PNSt15iterator_traitsISK_E10value_typeET2_T3_PNSL_ISQ_E10value_typeET4_jRbjT5_SW_jjP12ihipStream_tbEUlT_E0_NS1_11comp_targetILNS1_3genE4ELNS1_11target_archE910ELNS1_3gpuE8ELNS1_3repE0EEENS1_60segmented_radix_sort_warp_sort_medium_config_static_selectorELNS0_4arch9wavefront6targetE0EEEvSK_,comdat
	.globl	_ZN7rocprim17ROCPRIM_400000_NS6detail17trampoline_kernelINS0_14default_configENS1_36segmented_radix_sort_config_selectorIalEEZNS1_25segmented_radix_sort_implIS3_Lb1EPKaPaPKlPlN2at6native12_GLOBAL__N_18offset_tEEE10hipError_tPvRmT1_PNSt15iterator_traitsISK_E10value_typeET2_T3_PNSL_ISQ_E10value_typeET4_jRbjT5_SW_jjP12ihipStream_tbEUlT_E0_NS1_11comp_targetILNS1_3genE4ELNS1_11target_archE910ELNS1_3gpuE8ELNS1_3repE0EEENS1_60segmented_radix_sort_warp_sort_medium_config_static_selectorELNS0_4arch9wavefront6targetE0EEEvSK_ ; -- Begin function _ZN7rocprim17ROCPRIM_400000_NS6detail17trampoline_kernelINS0_14default_configENS1_36segmented_radix_sort_config_selectorIalEEZNS1_25segmented_radix_sort_implIS3_Lb1EPKaPaPKlPlN2at6native12_GLOBAL__N_18offset_tEEE10hipError_tPvRmT1_PNSt15iterator_traitsISK_E10value_typeET2_T3_PNSL_ISQ_E10value_typeET4_jRbjT5_SW_jjP12ihipStream_tbEUlT_E0_NS1_11comp_targetILNS1_3genE4ELNS1_11target_archE910ELNS1_3gpuE8ELNS1_3repE0EEENS1_60segmented_radix_sort_warp_sort_medium_config_static_selectorELNS0_4arch9wavefront6targetE0EEEvSK_
	.p2align	8
	.type	_ZN7rocprim17ROCPRIM_400000_NS6detail17trampoline_kernelINS0_14default_configENS1_36segmented_radix_sort_config_selectorIalEEZNS1_25segmented_radix_sort_implIS3_Lb1EPKaPaPKlPlN2at6native12_GLOBAL__N_18offset_tEEE10hipError_tPvRmT1_PNSt15iterator_traitsISK_E10value_typeET2_T3_PNSL_ISQ_E10value_typeET4_jRbjT5_SW_jjP12ihipStream_tbEUlT_E0_NS1_11comp_targetILNS1_3genE4ELNS1_11target_archE910ELNS1_3gpuE8ELNS1_3repE0EEENS1_60segmented_radix_sort_warp_sort_medium_config_static_selectorELNS0_4arch9wavefront6targetE0EEEvSK_,@function
_ZN7rocprim17ROCPRIM_400000_NS6detail17trampoline_kernelINS0_14default_configENS1_36segmented_radix_sort_config_selectorIalEEZNS1_25segmented_radix_sort_implIS3_Lb1EPKaPaPKlPlN2at6native12_GLOBAL__N_18offset_tEEE10hipError_tPvRmT1_PNSt15iterator_traitsISK_E10value_typeET2_T3_PNSL_ISQ_E10value_typeET4_jRbjT5_SW_jjP12ihipStream_tbEUlT_E0_NS1_11comp_targetILNS1_3genE4ELNS1_11target_archE910ELNS1_3gpuE8ELNS1_3repE0EEENS1_60segmented_radix_sort_warp_sort_medium_config_static_selectorELNS0_4arch9wavefront6targetE0EEEvSK_: ; @_ZN7rocprim17ROCPRIM_400000_NS6detail17trampoline_kernelINS0_14default_configENS1_36segmented_radix_sort_config_selectorIalEEZNS1_25segmented_radix_sort_implIS3_Lb1EPKaPaPKlPlN2at6native12_GLOBAL__N_18offset_tEEE10hipError_tPvRmT1_PNSt15iterator_traitsISK_E10value_typeET2_T3_PNSL_ISQ_E10value_typeET4_jRbjT5_SW_jjP12ihipStream_tbEUlT_E0_NS1_11comp_targetILNS1_3genE4ELNS1_11target_archE910ELNS1_3gpuE8ELNS1_3repE0EEENS1_60segmented_radix_sort_warp_sort_medium_config_static_selectorELNS0_4arch9wavefront6targetE0EEEvSK_
; %bb.0:
	.section	.rodata,"a",@progbits
	.p2align	6, 0x0
	.amdhsa_kernel _ZN7rocprim17ROCPRIM_400000_NS6detail17trampoline_kernelINS0_14default_configENS1_36segmented_radix_sort_config_selectorIalEEZNS1_25segmented_radix_sort_implIS3_Lb1EPKaPaPKlPlN2at6native12_GLOBAL__N_18offset_tEEE10hipError_tPvRmT1_PNSt15iterator_traitsISK_E10value_typeET2_T3_PNSL_ISQ_E10value_typeET4_jRbjT5_SW_jjP12ihipStream_tbEUlT_E0_NS1_11comp_targetILNS1_3genE4ELNS1_11target_archE910ELNS1_3gpuE8ELNS1_3repE0EEENS1_60segmented_radix_sort_warp_sort_medium_config_static_selectorELNS0_4arch9wavefront6targetE0EEEvSK_
		.amdhsa_group_segment_fixed_size 0
		.amdhsa_private_segment_fixed_size 0
		.amdhsa_kernarg_size 88
		.amdhsa_user_sgpr_count 6
		.amdhsa_user_sgpr_private_segment_buffer 1
		.amdhsa_user_sgpr_dispatch_ptr 0
		.amdhsa_user_sgpr_queue_ptr 0
		.amdhsa_user_sgpr_kernarg_segment_ptr 1
		.amdhsa_user_sgpr_dispatch_id 0
		.amdhsa_user_sgpr_flat_scratch_init 0
		.amdhsa_user_sgpr_private_segment_size 0
		.amdhsa_wavefront_size32 1
		.amdhsa_uses_dynamic_stack 0
		.amdhsa_system_sgpr_private_segment_wavefront_offset 0
		.amdhsa_system_sgpr_workgroup_id_x 1
		.amdhsa_system_sgpr_workgroup_id_y 0
		.amdhsa_system_sgpr_workgroup_id_z 0
		.amdhsa_system_sgpr_workgroup_info 0
		.amdhsa_system_vgpr_workitem_id 0
		.amdhsa_next_free_vgpr 1
		.amdhsa_next_free_sgpr 1
		.amdhsa_reserve_vcc 0
		.amdhsa_reserve_flat_scratch 0
		.amdhsa_float_round_mode_32 0
		.amdhsa_float_round_mode_16_64 0
		.amdhsa_float_denorm_mode_32 3
		.amdhsa_float_denorm_mode_16_64 3
		.amdhsa_dx10_clamp 1
		.amdhsa_ieee_mode 1
		.amdhsa_fp16_overflow 0
		.amdhsa_workgroup_processor_mode 1
		.amdhsa_memory_ordered 1
		.amdhsa_forward_progress 1
		.amdhsa_shared_vgpr_count 0
		.amdhsa_exception_fp_ieee_invalid_op 0
		.amdhsa_exception_fp_denorm_src 0
		.amdhsa_exception_fp_ieee_div_zero 0
		.amdhsa_exception_fp_ieee_overflow 0
		.amdhsa_exception_fp_ieee_underflow 0
		.amdhsa_exception_fp_ieee_inexact 0
		.amdhsa_exception_int_div_zero 0
	.end_amdhsa_kernel
	.section	.text._ZN7rocprim17ROCPRIM_400000_NS6detail17trampoline_kernelINS0_14default_configENS1_36segmented_radix_sort_config_selectorIalEEZNS1_25segmented_radix_sort_implIS3_Lb1EPKaPaPKlPlN2at6native12_GLOBAL__N_18offset_tEEE10hipError_tPvRmT1_PNSt15iterator_traitsISK_E10value_typeET2_T3_PNSL_ISQ_E10value_typeET4_jRbjT5_SW_jjP12ihipStream_tbEUlT_E0_NS1_11comp_targetILNS1_3genE4ELNS1_11target_archE910ELNS1_3gpuE8ELNS1_3repE0EEENS1_60segmented_radix_sort_warp_sort_medium_config_static_selectorELNS0_4arch9wavefront6targetE0EEEvSK_,"axG",@progbits,_ZN7rocprim17ROCPRIM_400000_NS6detail17trampoline_kernelINS0_14default_configENS1_36segmented_radix_sort_config_selectorIalEEZNS1_25segmented_radix_sort_implIS3_Lb1EPKaPaPKlPlN2at6native12_GLOBAL__N_18offset_tEEE10hipError_tPvRmT1_PNSt15iterator_traitsISK_E10value_typeET2_T3_PNSL_ISQ_E10value_typeET4_jRbjT5_SW_jjP12ihipStream_tbEUlT_E0_NS1_11comp_targetILNS1_3genE4ELNS1_11target_archE910ELNS1_3gpuE8ELNS1_3repE0EEENS1_60segmented_radix_sort_warp_sort_medium_config_static_selectorELNS0_4arch9wavefront6targetE0EEEvSK_,comdat
.Lfunc_end300:
	.size	_ZN7rocprim17ROCPRIM_400000_NS6detail17trampoline_kernelINS0_14default_configENS1_36segmented_radix_sort_config_selectorIalEEZNS1_25segmented_radix_sort_implIS3_Lb1EPKaPaPKlPlN2at6native12_GLOBAL__N_18offset_tEEE10hipError_tPvRmT1_PNSt15iterator_traitsISK_E10value_typeET2_T3_PNSL_ISQ_E10value_typeET4_jRbjT5_SW_jjP12ihipStream_tbEUlT_E0_NS1_11comp_targetILNS1_3genE4ELNS1_11target_archE910ELNS1_3gpuE8ELNS1_3repE0EEENS1_60segmented_radix_sort_warp_sort_medium_config_static_selectorELNS0_4arch9wavefront6targetE0EEEvSK_, .Lfunc_end300-_ZN7rocprim17ROCPRIM_400000_NS6detail17trampoline_kernelINS0_14default_configENS1_36segmented_radix_sort_config_selectorIalEEZNS1_25segmented_radix_sort_implIS3_Lb1EPKaPaPKlPlN2at6native12_GLOBAL__N_18offset_tEEE10hipError_tPvRmT1_PNSt15iterator_traitsISK_E10value_typeET2_T3_PNSL_ISQ_E10value_typeET4_jRbjT5_SW_jjP12ihipStream_tbEUlT_E0_NS1_11comp_targetILNS1_3genE4ELNS1_11target_archE910ELNS1_3gpuE8ELNS1_3repE0EEENS1_60segmented_radix_sort_warp_sort_medium_config_static_selectorELNS0_4arch9wavefront6targetE0EEEvSK_
                                        ; -- End function
	.set _ZN7rocprim17ROCPRIM_400000_NS6detail17trampoline_kernelINS0_14default_configENS1_36segmented_radix_sort_config_selectorIalEEZNS1_25segmented_radix_sort_implIS3_Lb1EPKaPaPKlPlN2at6native12_GLOBAL__N_18offset_tEEE10hipError_tPvRmT1_PNSt15iterator_traitsISK_E10value_typeET2_T3_PNSL_ISQ_E10value_typeET4_jRbjT5_SW_jjP12ihipStream_tbEUlT_E0_NS1_11comp_targetILNS1_3genE4ELNS1_11target_archE910ELNS1_3gpuE8ELNS1_3repE0EEENS1_60segmented_radix_sort_warp_sort_medium_config_static_selectorELNS0_4arch9wavefront6targetE0EEEvSK_.num_vgpr, 0
	.set _ZN7rocprim17ROCPRIM_400000_NS6detail17trampoline_kernelINS0_14default_configENS1_36segmented_radix_sort_config_selectorIalEEZNS1_25segmented_radix_sort_implIS3_Lb1EPKaPaPKlPlN2at6native12_GLOBAL__N_18offset_tEEE10hipError_tPvRmT1_PNSt15iterator_traitsISK_E10value_typeET2_T3_PNSL_ISQ_E10value_typeET4_jRbjT5_SW_jjP12ihipStream_tbEUlT_E0_NS1_11comp_targetILNS1_3genE4ELNS1_11target_archE910ELNS1_3gpuE8ELNS1_3repE0EEENS1_60segmented_radix_sort_warp_sort_medium_config_static_selectorELNS0_4arch9wavefront6targetE0EEEvSK_.num_agpr, 0
	.set _ZN7rocprim17ROCPRIM_400000_NS6detail17trampoline_kernelINS0_14default_configENS1_36segmented_radix_sort_config_selectorIalEEZNS1_25segmented_radix_sort_implIS3_Lb1EPKaPaPKlPlN2at6native12_GLOBAL__N_18offset_tEEE10hipError_tPvRmT1_PNSt15iterator_traitsISK_E10value_typeET2_T3_PNSL_ISQ_E10value_typeET4_jRbjT5_SW_jjP12ihipStream_tbEUlT_E0_NS1_11comp_targetILNS1_3genE4ELNS1_11target_archE910ELNS1_3gpuE8ELNS1_3repE0EEENS1_60segmented_radix_sort_warp_sort_medium_config_static_selectorELNS0_4arch9wavefront6targetE0EEEvSK_.numbered_sgpr, 0
	.set _ZN7rocprim17ROCPRIM_400000_NS6detail17trampoline_kernelINS0_14default_configENS1_36segmented_radix_sort_config_selectorIalEEZNS1_25segmented_radix_sort_implIS3_Lb1EPKaPaPKlPlN2at6native12_GLOBAL__N_18offset_tEEE10hipError_tPvRmT1_PNSt15iterator_traitsISK_E10value_typeET2_T3_PNSL_ISQ_E10value_typeET4_jRbjT5_SW_jjP12ihipStream_tbEUlT_E0_NS1_11comp_targetILNS1_3genE4ELNS1_11target_archE910ELNS1_3gpuE8ELNS1_3repE0EEENS1_60segmented_radix_sort_warp_sort_medium_config_static_selectorELNS0_4arch9wavefront6targetE0EEEvSK_.num_named_barrier, 0
	.set _ZN7rocprim17ROCPRIM_400000_NS6detail17trampoline_kernelINS0_14default_configENS1_36segmented_radix_sort_config_selectorIalEEZNS1_25segmented_radix_sort_implIS3_Lb1EPKaPaPKlPlN2at6native12_GLOBAL__N_18offset_tEEE10hipError_tPvRmT1_PNSt15iterator_traitsISK_E10value_typeET2_T3_PNSL_ISQ_E10value_typeET4_jRbjT5_SW_jjP12ihipStream_tbEUlT_E0_NS1_11comp_targetILNS1_3genE4ELNS1_11target_archE910ELNS1_3gpuE8ELNS1_3repE0EEENS1_60segmented_radix_sort_warp_sort_medium_config_static_selectorELNS0_4arch9wavefront6targetE0EEEvSK_.private_seg_size, 0
	.set _ZN7rocprim17ROCPRIM_400000_NS6detail17trampoline_kernelINS0_14default_configENS1_36segmented_radix_sort_config_selectorIalEEZNS1_25segmented_radix_sort_implIS3_Lb1EPKaPaPKlPlN2at6native12_GLOBAL__N_18offset_tEEE10hipError_tPvRmT1_PNSt15iterator_traitsISK_E10value_typeET2_T3_PNSL_ISQ_E10value_typeET4_jRbjT5_SW_jjP12ihipStream_tbEUlT_E0_NS1_11comp_targetILNS1_3genE4ELNS1_11target_archE910ELNS1_3gpuE8ELNS1_3repE0EEENS1_60segmented_radix_sort_warp_sort_medium_config_static_selectorELNS0_4arch9wavefront6targetE0EEEvSK_.uses_vcc, 0
	.set _ZN7rocprim17ROCPRIM_400000_NS6detail17trampoline_kernelINS0_14default_configENS1_36segmented_radix_sort_config_selectorIalEEZNS1_25segmented_radix_sort_implIS3_Lb1EPKaPaPKlPlN2at6native12_GLOBAL__N_18offset_tEEE10hipError_tPvRmT1_PNSt15iterator_traitsISK_E10value_typeET2_T3_PNSL_ISQ_E10value_typeET4_jRbjT5_SW_jjP12ihipStream_tbEUlT_E0_NS1_11comp_targetILNS1_3genE4ELNS1_11target_archE910ELNS1_3gpuE8ELNS1_3repE0EEENS1_60segmented_radix_sort_warp_sort_medium_config_static_selectorELNS0_4arch9wavefront6targetE0EEEvSK_.uses_flat_scratch, 0
	.set _ZN7rocprim17ROCPRIM_400000_NS6detail17trampoline_kernelINS0_14default_configENS1_36segmented_radix_sort_config_selectorIalEEZNS1_25segmented_radix_sort_implIS3_Lb1EPKaPaPKlPlN2at6native12_GLOBAL__N_18offset_tEEE10hipError_tPvRmT1_PNSt15iterator_traitsISK_E10value_typeET2_T3_PNSL_ISQ_E10value_typeET4_jRbjT5_SW_jjP12ihipStream_tbEUlT_E0_NS1_11comp_targetILNS1_3genE4ELNS1_11target_archE910ELNS1_3gpuE8ELNS1_3repE0EEENS1_60segmented_radix_sort_warp_sort_medium_config_static_selectorELNS0_4arch9wavefront6targetE0EEEvSK_.has_dyn_sized_stack, 0
	.set _ZN7rocprim17ROCPRIM_400000_NS6detail17trampoline_kernelINS0_14default_configENS1_36segmented_radix_sort_config_selectorIalEEZNS1_25segmented_radix_sort_implIS3_Lb1EPKaPaPKlPlN2at6native12_GLOBAL__N_18offset_tEEE10hipError_tPvRmT1_PNSt15iterator_traitsISK_E10value_typeET2_T3_PNSL_ISQ_E10value_typeET4_jRbjT5_SW_jjP12ihipStream_tbEUlT_E0_NS1_11comp_targetILNS1_3genE4ELNS1_11target_archE910ELNS1_3gpuE8ELNS1_3repE0EEENS1_60segmented_radix_sort_warp_sort_medium_config_static_selectorELNS0_4arch9wavefront6targetE0EEEvSK_.has_recursion, 0
	.set _ZN7rocprim17ROCPRIM_400000_NS6detail17trampoline_kernelINS0_14default_configENS1_36segmented_radix_sort_config_selectorIalEEZNS1_25segmented_radix_sort_implIS3_Lb1EPKaPaPKlPlN2at6native12_GLOBAL__N_18offset_tEEE10hipError_tPvRmT1_PNSt15iterator_traitsISK_E10value_typeET2_T3_PNSL_ISQ_E10value_typeET4_jRbjT5_SW_jjP12ihipStream_tbEUlT_E0_NS1_11comp_targetILNS1_3genE4ELNS1_11target_archE910ELNS1_3gpuE8ELNS1_3repE0EEENS1_60segmented_radix_sort_warp_sort_medium_config_static_selectorELNS0_4arch9wavefront6targetE0EEEvSK_.has_indirect_call, 0
	.section	.AMDGPU.csdata,"",@progbits
; Kernel info:
; codeLenInByte = 0
; TotalNumSgprs: 0
; NumVgprs: 0
; ScratchSize: 0
; MemoryBound: 0
; FloatMode: 240
; IeeeMode: 1
; LDSByteSize: 0 bytes/workgroup (compile time only)
; SGPRBlocks: 0
; VGPRBlocks: 0
; NumSGPRsForWavesPerEU: 1
; NumVGPRsForWavesPerEU: 1
; Occupancy: 16
; WaveLimiterHint : 0
; COMPUTE_PGM_RSRC2:SCRATCH_EN: 0
; COMPUTE_PGM_RSRC2:USER_SGPR: 6
; COMPUTE_PGM_RSRC2:TRAP_HANDLER: 0
; COMPUTE_PGM_RSRC2:TGID_X_EN: 1
; COMPUTE_PGM_RSRC2:TGID_Y_EN: 0
; COMPUTE_PGM_RSRC2:TGID_Z_EN: 0
; COMPUTE_PGM_RSRC2:TIDIG_COMP_CNT: 0
	.section	.text._ZN7rocprim17ROCPRIM_400000_NS6detail17trampoline_kernelINS0_14default_configENS1_36segmented_radix_sort_config_selectorIalEEZNS1_25segmented_radix_sort_implIS3_Lb1EPKaPaPKlPlN2at6native12_GLOBAL__N_18offset_tEEE10hipError_tPvRmT1_PNSt15iterator_traitsISK_E10value_typeET2_T3_PNSL_ISQ_E10value_typeET4_jRbjT5_SW_jjP12ihipStream_tbEUlT_E0_NS1_11comp_targetILNS1_3genE3ELNS1_11target_archE908ELNS1_3gpuE7ELNS1_3repE0EEENS1_60segmented_radix_sort_warp_sort_medium_config_static_selectorELNS0_4arch9wavefront6targetE0EEEvSK_,"axG",@progbits,_ZN7rocprim17ROCPRIM_400000_NS6detail17trampoline_kernelINS0_14default_configENS1_36segmented_radix_sort_config_selectorIalEEZNS1_25segmented_radix_sort_implIS3_Lb1EPKaPaPKlPlN2at6native12_GLOBAL__N_18offset_tEEE10hipError_tPvRmT1_PNSt15iterator_traitsISK_E10value_typeET2_T3_PNSL_ISQ_E10value_typeET4_jRbjT5_SW_jjP12ihipStream_tbEUlT_E0_NS1_11comp_targetILNS1_3genE3ELNS1_11target_archE908ELNS1_3gpuE7ELNS1_3repE0EEENS1_60segmented_radix_sort_warp_sort_medium_config_static_selectorELNS0_4arch9wavefront6targetE0EEEvSK_,comdat
	.globl	_ZN7rocprim17ROCPRIM_400000_NS6detail17trampoline_kernelINS0_14default_configENS1_36segmented_radix_sort_config_selectorIalEEZNS1_25segmented_radix_sort_implIS3_Lb1EPKaPaPKlPlN2at6native12_GLOBAL__N_18offset_tEEE10hipError_tPvRmT1_PNSt15iterator_traitsISK_E10value_typeET2_T3_PNSL_ISQ_E10value_typeET4_jRbjT5_SW_jjP12ihipStream_tbEUlT_E0_NS1_11comp_targetILNS1_3genE3ELNS1_11target_archE908ELNS1_3gpuE7ELNS1_3repE0EEENS1_60segmented_radix_sort_warp_sort_medium_config_static_selectorELNS0_4arch9wavefront6targetE0EEEvSK_ ; -- Begin function _ZN7rocprim17ROCPRIM_400000_NS6detail17trampoline_kernelINS0_14default_configENS1_36segmented_radix_sort_config_selectorIalEEZNS1_25segmented_radix_sort_implIS3_Lb1EPKaPaPKlPlN2at6native12_GLOBAL__N_18offset_tEEE10hipError_tPvRmT1_PNSt15iterator_traitsISK_E10value_typeET2_T3_PNSL_ISQ_E10value_typeET4_jRbjT5_SW_jjP12ihipStream_tbEUlT_E0_NS1_11comp_targetILNS1_3genE3ELNS1_11target_archE908ELNS1_3gpuE7ELNS1_3repE0EEENS1_60segmented_radix_sort_warp_sort_medium_config_static_selectorELNS0_4arch9wavefront6targetE0EEEvSK_
	.p2align	8
	.type	_ZN7rocprim17ROCPRIM_400000_NS6detail17trampoline_kernelINS0_14default_configENS1_36segmented_radix_sort_config_selectorIalEEZNS1_25segmented_radix_sort_implIS3_Lb1EPKaPaPKlPlN2at6native12_GLOBAL__N_18offset_tEEE10hipError_tPvRmT1_PNSt15iterator_traitsISK_E10value_typeET2_T3_PNSL_ISQ_E10value_typeET4_jRbjT5_SW_jjP12ihipStream_tbEUlT_E0_NS1_11comp_targetILNS1_3genE3ELNS1_11target_archE908ELNS1_3gpuE7ELNS1_3repE0EEENS1_60segmented_radix_sort_warp_sort_medium_config_static_selectorELNS0_4arch9wavefront6targetE0EEEvSK_,@function
_ZN7rocprim17ROCPRIM_400000_NS6detail17trampoline_kernelINS0_14default_configENS1_36segmented_radix_sort_config_selectorIalEEZNS1_25segmented_radix_sort_implIS3_Lb1EPKaPaPKlPlN2at6native12_GLOBAL__N_18offset_tEEE10hipError_tPvRmT1_PNSt15iterator_traitsISK_E10value_typeET2_T3_PNSL_ISQ_E10value_typeET4_jRbjT5_SW_jjP12ihipStream_tbEUlT_E0_NS1_11comp_targetILNS1_3genE3ELNS1_11target_archE908ELNS1_3gpuE7ELNS1_3repE0EEENS1_60segmented_radix_sort_warp_sort_medium_config_static_selectorELNS0_4arch9wavefront6targetE0EEEvSK_: ; @_ZN7rocprim17ROCPRIM_400000_NS6detail17trampoline_kernelINS0_14default_configENS1_36segmented_radix_sort_config_selectorIalEEZNS1_25segmented_radix_sort_implIS3_Lb1EPKaPaPKlPlN2at6native12_GLOBAL__N_18offset_tEEE10hipError_tPvRmT1_PNSt15iterator_traitsISK_E10value_typeET2_T3_PNSL_ISQ_E10value_typeET4_jRbjT5_SW_jjP12ihipStream_tbEUlT_E0_NS1_11comp_targetILNS1_3genE3ELNS1_11target_archE908ELNS1_3gpuE7ELNS1_3repE0EEENS1_60segmented_radix_sort_warp_sort_medium_config_static_selectorELNS0_4arch9wavefront6targetE0EEEvSK_
; %bb.0:
	.section	.rodata,"a",@progbits
	.p2align	6, 0x0
	.amdhsa_kernel _ZN7rocprim17ROCPRIM_400000_NS6detail17trampoline_kernelINS0_14default_configENS1_36segmented_radix_sort_config_selectorIalEEZNS1_25segmented_radix_sort_implIS3_Lb1EPKaPaPKlPlN2at6native12_GLOBAL__N_18offset_tEEE10hipError_tPvRmT1_PNSt15iterator_traitsISK_E10value_typeET2_T3_PNSL_ISQ_E10value_typeET4_jRbjT5_SW_jjP12ihipStream_tbEUlT_E0_NS1_11comp_targetILNS1_3genE3ELNS1_11target_archE908ELNS1_3gpuE7ELNS1_3repE0EEENS1_60segmented_radix_sort_warp_sort_medium_config_static_selectorELNS0_4arch9wavefront6targetE0EEEvSK_
		.amdhsa_group_segment_fixed_size 0
		.amdhsa_private_segment_fixed_size 0
		.amdhsa_kernarg_size 88
		.amdhsa_user_sgpr_count 6
		.amdhsa_user_sgpr_private_segment_buffer 1
		.amdhsa_user_sgpr_dispatch_ptr 0
		.amdhsa_user_sgpr_queue_ptr 0
		.amdhsa_user_sgpr_kernarg_segment_ptr 1
		.amdhsa_user_sgpr_dispatch_id 0
		.amdhsa_user_sgpr_flat_scratch_init 0
		.amdhsa_user_sgpr_private_segment_size 0
		.amdhsa_wavefront_size32 1
		.amdhsa_uses_dynamic_stack 0
		.amdhsa_system_sgpr_private_segment_wavefront_offset 0
		.amdhsa_system_sgpr_workgroup_id_x 1
		.amdhsa_system_sgpr_workgroup_id_y 0
		.amdhsa_system_sgpr_workgroup_id_z 0
		.amdhsa_system_sgpr_workgroup_info 0
		.amdhsa_system_vgpr_workitem_id 0
		.amdhsa_next_free_vgpr 1
		.amdhsa_next_free_sgpr 1
		.amdhsa_reserve_vcc 0
		.amdhsa_reserve_flat_scratch 0
		.amdhsa_float_round_mode_32 0
		.amdhsa_float_round_mode_16_64 0
		.amdhsa_float_denorm_mode_32 3
		.amdhsa_float_denorm_mode_16_64 3
		.amdhsa_dx10_clamp 1
		.amdhsa_ieee_mode 1
		.amdhsa_fp16_overflow 0
		.amdhsa_workgroup_processor_mode 1
		.amdhsa_memory_ordered 1
		.amdhsa_forward_progress 1
		.amdhsa_shared_vgpr_count 0
		.amdhsa_exception_fp_ieee_invalid_op 0
		.amdhsa_exception_fp_denorm_src 0
		.amdhsa_exception_fp_ieee_div_zero 0
		.amdhsa_exception_fp_ieee_overflow 0
		.amdhsa_exception_fp_ieee_underflow 0
		.amdhsa_exception_fp_ieee_inexact 0
		.amdhsa_exception_int_div_zero 0
	.end_amdhsa_kernel
	.section	.text._ZN7rocprim17ROCPRIM_400000_NS6detail17trampoline_kernelINS0_14default_configENS1_36segmented_radix_sort_config_selectorIalEEZNS1_25segmented_radix_sort_implIS3_Lb1EPKaPaPKlPlN2at6native12_GLOBAL__N_18offset_tEEE10hipError_tPvRmT1_PNSt15iterator_traitsISK_E10value_typeET2_T3_PNSL_ISQ_E10value_typeET4_jRbjT5_SW_jjP12ihipStream_tbEUlT_E0_NS1_11comp_targetILNS1_3genE3ELNS1_11target_archE908ELNS1_3gpuE7ELNS1_3repE0EEENS1_60segmented_radix_sort_warp_sort_medium_config_static_selectorELNS0_4arch9wavefront6targetE0EEEvSK_,"axG",@progbits,_ZN7rocprim17ROCPRIM_400000_NS6detail17trampoline_kernelINS0_14default_configENS1_36segmented_radix_sort_config_selectorIalEEZNS1_25segmented_radix_sort_implIS3_Lb1EPKaPaPKlPlN2at6native12_GLOBAL__N_18offset_tEEE10hipError_tPvRmT1_PNSt15iterator_traitsISK_E10value_typeET2_T3_PNSL_ISQ_E10value_typeET4_jRbjT5_SW_jjP12ihipStream_tbEUlT_E0_NS1_11comp_targetILNS1_3genE3ELNS1_11target_archE908ELNS1_3gpuE7ELNS1_3repE0EEENS1_60segmented_radix_sort_warp_sort_medium_config_static_selectorELNS0_4arch9wavefront6targetE0EEEvSK_,comdat
.Lfunc_end301:
	.size	_ZN7rocprim17ROCPRIM_400000_NS6detail17trampoline_kernelINS0_14default_configENS1_36segmented_radix_sort_config_selectorIalEEZNS1_25segmented_radix_sort_implIS3_Lb1EPKaPaPKlPlN2at6native12_GLOBAL__N_18offset_tEEE10hipError_tPvRmT1_PNSt15iterator_traitsISK_E10value_typeET2_T3_PNSL_ISQ_E10value_typeET4_jRbjT5_SW_jjP12ihipStream_tbEUlT_E0_NS1_11comp_targetILNS1_3genE3ELNS1_11target_archE908ELNS1_3gpuE7ELNS1_3repE0EEENS1_60segmented_radix_sort_warp_sort_medium_config_static_selectorELNS0_4arch9wavefront6targetE0EEEvSK_, .Lfunc_end301-_ZN7rocprim17ROCPRIM_400000_NS6detail17trampoline_kernelINS0_14default_configENS1_36segmented_radix_sort_config_selectorIalEEZNS1_25segmented_radix_sort_implIS3_Lb1EPKaPaPKlPlN2at6native12_GLOBAL__N_18offset_tEEE10hipError_tPvRmT1_PNSt15iterator_traitsISK_E10value_typeET2_T3_PNSL_ISQ_E10value_typeET4_jRbjT5_SW_jjP12ihipStream_tbEUlT_E0_NS1_11comp_targetILNS1_3genE3ELNS1_11target_archE908ELNS1_3gpuE7ELNS1_3repE0EEENS1_60segmented_radix_sort_warp_sort_medium_config_static_selectorELNS0_4arch9wavefront6targetE0EEEvSK_
                                        ; -- End function
	.set _ZN7rocprim17ROCPRIM_400000_NS6detail17trampoline_kernelINS0_14default_configENS1_36segmented_radix_sort_config_selectorIalEEZNS1_25segmented_radix_sort_implIS3_Lb1EPKaPaPKlPlN2at6native12_GLOBAL__N_18offset_tEEE10hipError_tPvRmT1_PNSt15iterator_traitsISK_E10value_typeET2_T3_PNSL_ISQ_E10value_typeET4_jRbjT5_SW_jjP12ihipStream_tbEUlT_E0_NS1_11comp_targetILNS1_3genE3ELNS1_11target_archE908ELNS1_3gpuE7ELNS1_3repE0EEENS1_60segmented_radix_sort_warp_sort_medium_config_static_selectorELNS0_4arch9wavefront6targetE0EEEvSK_.num_vgpr, 0
	.set _ZN7rocprim17ROCPRIM_400000_NS6detail17trampoline_kernelINS0_14default_configENS1_36segmented_radix_sort_config_selectorIalEEZNS1_25segmented_radix_sort_implIS3_Lb1EPKaPaPKlPlN2at6native12_GLOBAL__N_18offset_tEEE10hipError_tPvRmT1_PNSt15iterator_traitsISK_E10value_typeET2_T3_PNSL_ISQ_E10value_typeET4_jRbjT5_SW_jjP12ihipStream_tbEUlT_E0_NS1_11comp_targetILNS1_3genE3ELNS1_11target_archE908ELNS1_3gpuE7ELNS1_3repE0EEENS1_60segmented_radix_sort_warp_sort_medium_config_static_selectorELNS0_4arch9wavefront6targetE0EEEvSK_.num_agpr, 0
	.set _ZN7rocprim17ROCPRIM_400000_NS6detail17trampoline_kernelINS0_14default_configENS1_36segmented_radix_sort_config_selectorIalEEZNS1_25segmented_radix_sort_implIS3_Lb1EPKaPaPKlPlN2at6native12_GLOBAL__N_18offset_tEEE10hipError_tPvRmT1_PNSt15iterator_traitsISK_E10value_typeET2_T3_PNSL_ISQ_E10value_typeET4_jRbjT5_SW_jjP12ihipStream_tbEUlT_E0_NS1_11comp_targetILNS1_3genE3ELNS1_11target_archE908ELNS1_3gpuE7ELNS1_3repE0EEENS1_60segmented_radix_sort_warp_sort_medium_config_static_selectorELNS0_4arch9wavefront6targetE0EEEvSK_.numbered_sgpr, 0
	.set _ZN7rocprim17ROCPRIM_400000_NS6detail17trampoline_kernelINS0_14default_configENS1_36segmented_radix_sort_config_selectorIalEEZNS1_25segmented_radix_sort_implIS3_Lb1EPKaPaPKlPlN2at6native12_GLOBAL__N_18offset_tEEE10hipError_tPvRmT1_PNSt15iterator_traitsISK_E10value_typeET2_T3_PNSL_ISQ_E10value_typeET4_jRbjT5_SW_jjP12ihipStream_tbEUlT_E0_NS1_11comp_targetILNS1_3genE3ELNS1_11target_archE908ELNS1_3gpuE7ELNS1_3repE0EEENS1_60segmented_radix_sort_warp_sort_medium_config_static_selectorELNS0_4arch9wavefront6targetE0EEEvSK_.num_named_barrier, 0
	.set _ZN7rocprim17ROCPRIM_400000_NS6detail17trampoline_kernelINS0_14default_configENS1_36segmented_radix_sort_config_selectorIalEEZNS1_25segmented_radix_sort_implIS3_Lb1EPKaPaPKlPlN2at6native12_GLOBAL__N_18offset_tEEE10hipError_tPvRmT1_PNSt15iterator_traitsISK_E10value_typeET2_T3_PNSL_ISQ_E10value_typeET4_jRbjT5_SW_jjP12ihipStream_tbEUlT_E0_NS1_11comp_targetILNS1_3genE3ELNS1_11target_archE908ELNS1_3gpuE7ELNS1_3repE0EEENS1_60segmented_radix_sort_warp_sort_medium_config_static_selectorELNS0_4arch9wavefront6targetE0EEEvSK_.private_seg_size, 0
	.set _ZN7rocprim17ROCPRIM_400000_NS6detail17trampoline_kernelINS0_14default_configENS1_36segmented_radix_sort_config_selectorIalEEZNS1_25segmented_radix_sort_implIS3_Lb1EPKaPaPKlPlN2at6native12_GLOBAL__N_18offset_tEEE10hipError_tPvRmT1_PNSt15iterator_traitsISK_E10value_typeET2_T3_PNSL_ISQ_E10value_typeET4_jRbjT5_SW_jjP12ihipStream_tbEUlT_E0_NS1_11comp_targetILNS1_3genE3ELNS1_11target_archE908ELNS1_3gpuE7ELNS1_3repE0EEENS1_60segmented_radix_sort_warp_sort_medium_config_static_selectorELNS0_4arch9wavefront6targetE0EEEvSK_.uses_vcc, 0
	.set _ZN7rocprim17ROCPRIM_400000_NS6detail17trampoline_kernelINS0_14default_configENS1_36segmented_radix_sort_config_selectorIalEEZNS1_25segmented_radix_sort_implIS3_Lb1EPKaPaPKlPlN2at6native12_GLOBAL__N_18offset_tEEE10hipError_tPvRmT1_PNSt15iterator_traitsISK_E10value_typeET2_T3_PNSL_ISQ_E10value_typeET4_jRbjT5_SW_jjP12ihipStream_tbEUlT_E0_NS1_11comp_targetILNS1_3genE3ELNS1_11target_archE908ELNS1_3gpuE7ELNS1_3repE0EEENS1_60segmented_radix_sort_warp_sort_medium_config_static_selectorELNS0_4arch9wavefront6targetE0EEEvSK_.uses_flat_scratch, 0
	.set _ZN7rocprim17ROCPRIM_400000_NS6detail17trampoline_kernelINS0_14default_configENS1_36segmented_radix_sort_config_selectorIalEEZNS1_25segmented_radix_sort_implIS3_Lb1EPKaPaPKlPlN2at6native12_GLOBAL__N_18offset_tEEE10hipError_tPvRmT1_PNSt15iterator_traitsISK_E10value_typeET2_T3_PNSL_ISQ_E10value_typeET4_jRbjT5_SW_jjP12ihipStream_tbEUlT_E0_NS1_11comp_targetILNS1_3genE3ELNS1_11target_archE908ELNS1_3gpuE7ELNS1_3repE0EEENS1_60segmented_radix_sort_warp_sort_medium_config_static_selectorELNS0_4arch9wavefront6targetE0EEEvSK_.has_dyn_sized_stack, 0
	.set _ZN7rocprim17ROCPRIM_400000_NS6detail17trampoline_kernelINS0_14default_configENS1_36segmented_radix_sort_config_selectorIalEEZNS1_25segmented_radix_sort_implIS3_Lb1EPKaPaPKlPlN2at6native12_GLOBAL__N_18offset_tEEE10hipError_tPvRmT1_PNSt15iterator_traitsISK_E10value_typeET2_T3_PNSL_ISQ_E10value_typeET4_jRbjT5_SW_jjP12ihipStream_tbEUlT_E0_NS1_11comp_targetILNS1_3genE3ELNS1_11target_archE908ELNS1_3gpuE7ELNS1_3repE0EEENS1_60segmented_radix_sort_warp_sort_medium_config_static_selectorELNS0_4arch9wavefront6targetE0EEEvSK_.has_recursion, 0
	.set _ZN7rocprim17ROCPRIM_400000_NS6detail17trampoline_kernelINS0_14default_configENS1_36segmented_radix_sort_config_selectorIalEEZNS1_25segmented_radix_sort_implIS3_Lb1EPKaPaPKlPlN2at6native12_GLOBAL__N_18offset_tEEE10hipError_tPvRmT1_PNSt15iterator_traitsISK_E10value_typeET2_T3_PNSL_ISQ_E10value_typeET4_jRbjT5_SW_jjP12ihipStream_tbEUlT_E0_NS1_11comp_targetILNS1_3genE3ELNS1_11target_archE908ELNS1_3gpuE7ELNS1_3repE0EEENS1_60segmented_radix_sort_warp_sort_medium_config_static_selectorELNS0_4arch9wavefront6targetE0EEEvSK_.has_indirect_call, 0
	.section	.AMDGPU.csdata,"",@progbits
; Kernel info:
; codeLenInByte = 0
; TotalNumSgprs: 0
; NumVgprs: 0
; ScratchSize: 0
; MemoryBound: 0
; FloatMode: 240
; IeeeMode: 1
; LDSByteSize: 0 bytes/workgroup (compile time only)
; SGPRBlocks: 0
; VGPRBlocks: 0
; NumSGPRsForWavesPerEU: 1
; NumVGPRsForWavesPerEU: 1
; Occupancy: 16
; WaveLimiterHint : 0
; COMPUTE_PGM_RSRC2:SCRATCH_EN: 0
; COMPUTE_PGM_RSRC2:USER_SGPR: 6
; COMPUTE_PGM_RSRC2:TRAP_HANDLER: 0
; COMPUTE_PGM_RSRC2:TGID_X_EN: 1
; COMPUTE_PGM_RSRC2:TGID_Y_EN: 0
; COMPUTE_PGM_RSRC2:TGID_Z_EN: 0
; COMPUTE_PGM_RSRC2:TIDIG_COMP_CNT: 0
	.section	.text._ZN7rocprim17ROCPRIM_400000_NS6detail17trampoline_kernelINS0_14default_configENS1_36segmented_radix_sort_config_selectorIalEEZNS1_25segmented_radix_sort_implIS3_Lb1EPKaPaPKlPlN2at6native12_GLOBAL__N_18offset_tEEE10hipError_tPvRmT1_PNSt15iterator_traitsISK_E10value_typeET2_T3_PNSL_ISQ_E10value_typeET4_jRbjT5_SW_jjP12ihipStream_tbEUlT_E0_NS1_11comp_targetILNS1_3genE2ELNS1_11target_archE906ELNS1_3gpuE6ELNS1_3repE0EEENS1_60segmented_radix_sort_warp_sort_medium_config_static_selectorELNS0_4arch9wavefront6targetE0EEEvSK_,"axG",@progbits,_ZN7rocprim17ROCPRIM_400000_NS6detail17trampoline_kernelINS0_14default_configENS1_36segmented_radix_sort_config_selectorIalEEZNS1_25segmented_radix_sort_implIS3_Lb1EPKaPaPKlPlN2at6native12_GLOBAL__N_18offset_tEEE10hipError_tPvRmT1_PNSt15iterator_traitsISK_E10value_typeET2_T3_PNSL_ISQ_E10value_typeET4_jRbjT5_SW_jjP12ihipStream_tbEUlT_E0_NS1_11comp_targetILNS1_3genE2ELNS1_11target_archE906ELNS1_3gpuE6ELNS1_3repE0EEENS1_60segmented_radix_sort_warp_sort_medium_config_static_selectorELNS0_4arch9wavefront6targetE0EEEvSK_,comdat
	.globl	_ZN7rocprim17ROCPRIM_400000_NS6detail17trampoline_kernelINS0_14default_configENS1_36segmented_radix_sort_config_selectorIalEEZNS1_25segmented_radix_sort_implIS3_Lb1EPKaPaPKlPlN2at6native12_GLOBAL__N_18offset_tEEE10hipError_tPvRmT1_PNSt15iterator_traitsISK_E10value_typeET2_T3_PNSL_ISQ_E10value_typeET4_jRbjT5_SW_jjP12ihipStream_tbEUlT_E0_NS1_11comp_targetILNS1_3genE2ELNS1_11target_archE906ELNS1_3gpuE6ELNS1_3repE0EEENS1_60segmented_radix_sort_warp_sort_medium_config_static_selectorELNS0_4arch9wavefront6targetE0EEEvSK_ ; -- Begin function _ZN7rocprim17ROCPRIM_400000_NS6detail17trampoline_kernelINS0_14default_configENS1_36segmented_radix_sort_config_selectorIalEEZNS1_25segmented_radix_sort_implIS3_Lb1EPKaPaPKlPlN2at6native12_GLOBAL__N_18offset_tEEE10hipError_tPvRmT1_PNSt15iterator_traitsISK_E10value_typeET2_T3_PNSL_ISQ_E10value_typeET4_jRbjT5_SW_jjP12ihipStream_tbEUlT_E0_NS1_11comp_targetILNS1_3genE2ELNS1_11target_archE906ELNS1_3gpuE6ELNS1_3repE0EEENS1_60segmented_radix_sort_warp_sort_medium_config_static_selectorELNS0_4arch9wavefront6targetE0EEEvSK_
	.p2align	8
	.type	_ZN7rocprim17ROCPRIM_400000_NS6detail17trampoline_kernelINS0_14default_configENS1_36segmented_radix_sort_config_selectorIalEEZNS1_25segmented_radix_sort_implIS3_Lb1EPKaPaPKlPlN2at6native12_GLOBAL__N_18offset_tEEE10hipError_tPvRmT1_PNSt15iterator_traitsISK_E10value_typeET2_T3_PNSL_ISQ_E10value_typeET4_jRbjT5_SW_jjP12ihipStream_tbEUlT_E0_NS1_11comp_targetILNS1_3genE2ELNS1_11target_archE906ELNS1_3gpuE6ELNS1_3repE0EEENS1_60segmented_radix_sort_warp_sort_medium_config_static_selectorELNS0_4arch9wavefront6targetE0EEEvSK_,@function
_ZN7rocprim17ROCPRIM_400000_NS6detail17trampoline_kernelINS0_14default_configENS1_36segmented_radix_sort_config_selectorIalEEZNS1_25segmented_radix_sort_implIS3_Lb1EPKaPaPKlPlN2at6native12_GLOBAL__N_18offset_tEEE10hipError_tPvRmT1_PNSt15iterator_traitsISK_E10value_typeET2_T3_PNSL_ISQ_E10value_typeET4_jRbjT5_SW_jjP12ihipStream_tbEUlT_E0_NS1_11comp_targetILNS1_3genE2ELNS1_11target_archE906ELNS1_3gpuE6ELNS1_3repE0EEENS1_60segmented_radix_sort_warp_sort_medium_config_static_selectorELNS0_4arch9wavefront6targetE0EEEvSK_: ; @_ZN7rocprim17ROCPRIM_400000_NS6detail17trampoline_kernelINS0_14default_configENS1_36segmented_radix_sort_config_selectorIalEEZNS1_25segmented_radix_sort_implIS3_Lb1EPKaPaPKlPlN2at6native12_GLOBAL__N_18offset_tEEE10hipError_tPvRmT1_PNSt15iterator_traitsISK_E10value_typeET2_T3_PNSL_ISQ_E10value_typeET4_jRbjT5_SW_jjP12ihipStream_tbEUlT_E0_NS1_11comp_targetILNS1_3genE2ELNS1_11target_archE906ELNS1_3gpuE6ELNS1_3repE0EEENS1_60segmented_radix_sort_warp_sort_medium_config_static_selectorELNS0_4arch9wavefront6targetE0EEEvSK_
; %bb.0:
	.section	.rodata,"a",@progbits
	.p2align	6, 0x0
	.amdhsa_kernel _ZN7rocprim17ROCPRIM_400000_NS6detail17trampoline_kernelINS0_14default_configENS1_36segmented_radix_sort_config_selectorIalEEZNS1_25segmented_radix_sort_implIS3_Lb1EPKaPaPKlPlN2at6native12_GLOBAL__N_18offset_tEEE10hipError_tPvRmT1_PNSt15iterator_traitsISK_E10value_typeET2_T3_PNSL_ISQ_E10value_typeET4_jRbjT5_SW_jjP12ihipStream_tbEUlT_E0_NS1_11comp_targetILNS1_3genE2ELNS1_11target_archE906ELNS1_3gpuE6ELNS1_3repE0EEENS1_60segmented_radix_sort_warp_sort_medium_config_static_selectorELNS0_4arch9wavefront6targetE0EEEvSK_
		.amdhsa_group_segment_fixed_size 0
		.amdhsa_private_segment_fixed_size 0
		.amdhsa_kernarg_size 88
		.amdhsa_user_sgpr_count 6
		.amdhsa_user_sgpr_private_segment_buffer 1
		.amdhsa_user_sgpr_dispatch_ptr 0
		.amdhsa_user_sgpr_queue_ptr 0
		.amdhsa_user_sgpr_kernarg_segment_ptr 1
		.amdhsa_user_sgpr_dispatch_id 0
		.amdhsa_user_sgpr_flat_scratch_init 0
		.amdhsa_user_sgpr_private_segment_size 0
		.amdhsa_wavefront_size32 1
		.amdhsa_uses_dynamic_stack 0
		.amdhsa_system_sgpr_private_segment_wavefront_offset 0
		.amdhsa_system_sgpr_workgroup_id_x 1
		.amdhsa_system_sgpr_workgroup_id_y 0
		.amdhsa_system_sgpr_workgroup_id_z 0
		.amdhsa_system_sgpr_workgroup_info 0
		.amdhsa_system_vgpr_workitem_id 0
		.amdhsa_next_free_vgpr 1
		.amdhsa_next_free_sgpr 1
		.amdhsa_reserve_vcc 0
		.amdhsa_reserve_flat_scratch 0
		.amdhsa_float_round_mode_32 0
		.amdhsa_float_round_mode_16_64 0
		.amdhsa_float_denorm_mode_32 3
		.amdhsa_float_denorm_mode_16_64 3
		.amdhsa_dx10_clamp 1
		.amdhsa_ieee_mode 1
		.amdhsa_fp16_overflow 0
		.amdhsa_workgroup_processor_mode 1
		.amdhsa_memory_ordered 1
		.amdhsa_forward_progress 1
		.amdhsa_shared_vgpr_count 0
		.amdhsa_exception_fp_ieee_invalid_op 0
		.amdhsa_exception_fp_denorm_src 0
		.amdhsa_exception_fp_ieee_div_zero 0
		.amdhsa_exception_fp_ieee_overflow 0
		.amdhsa_exception_fp_ieee_underflow 0
		.amdhsa_exception_fp_ieee_inexact 0
		.amdhsa_exception_int_div_zero 0
	.end_amdhsa_kernel
	.section	.text._ZN7rocprim17ROCPRIM_400000_NS6detail17trampoline_kernelINS0_14default_configENS1_36segmented_radix_sort_config_selectorIalEEZNS1_25segmented_radix_sort_implIS3_Lb1EPKaPaPKlPlN2at6native12_GLOBAL__N_18offset_tEEE10hipError_tPvRmT1_PNSt15iterator_traitsISK_E10value_typeET2_T3_PNSL_ISQ_E10value_typeET4_jRbjT5_SW_jjP12ihipStream_tbEUlT_E0_NS1_11comp_targetILNS1_3genE2ELNS1_11target_archE906ELNS1_3gpuE6ELNS1_3repE0EEENS1_60segmented_radix_sort_warp_sort_medium_config_static_selectorELNS0_4arch9wavefront6targetE0EEEvSK_,"axG",@progbits,_ZN7rocprim17ROCPRIM_400000_NS6detail17trampoline_kernelINS0_14default_configENS1_36segmented_radix_sort_config_selectorIalEEZNS1_25segmented_radix_sort_implIS3_Lb1EPKaPaPKlPlN2at6native12_GLOBAL__N_18offset_tEEE10hipError_tPvRmT1_PNSt15iterator_traitsISK_E10value_typeET2_T3_PNSL_ISQ_E10value_typeET4_jRbjT5_SW_jjP12ihipStream_tbEUlT_E0_NS1_11comp_targetILNS1_3genE2ELNS1_11target_archE906ELNS1_3gpuE6ELNS1_3repE0EEENS1_60segmented_radix_sort_warp_sort_medium_config_static_selectorELNS0_4arch9wavefront6targetE0EEEvSK_,comdat
.Lfunc_end302:
	.size	_ZN7rocprim17ROCPRIM_400000_NS6detail17trampoline_kernelINS0_14default_configENS1_36segmented_radix_sort_config_selectorIalEEZNS1_25segmented_radix_sort_implIS3_Lb1EPKaPaPKlPlN2at6native12_GLOBAL__N_18offset_tEEE10hipError_tPvRmT1_PNSt15iterator_traitsISK_E10value_typeET2_T3_PNSL_ISQ_E10value_typeET4_jRbjT5_SW_jjP12ihipStream_tbEUlT_E0_NS1_11comp_targetILNS1_3genE2ELNS1_11target_archE906ELNS1_3gpuE6ELNS1_3repE0EEENS1_60segmented_radix_sort_warp_sort_medium_config_static_selectorELNS0_4arch9wavefront6targetE0EEEvSK_, .Lfunc_end302-_ZN7rocprim17ROCPRIM_400000_NS6detail17trampoline_kernelINS0_14default_configENS1_36segmented_radix_sort_config_selectorIalEEZNS1_25segmented_radix_sort_implIS3_Lb1EPKaPaPKlPlN2at6native12_GLOBAL__N_18offset_tEEE10hipError_tPvRmT1_PNSt15iterator_traitsISK_E10value_typeET2_T3_PNSL_ISQ_E10value_typeET4_jRbjT5_SW_jjP12ihipStream_tbEUlT_E0_NS1_11comp_targetILNS1_3genE2ELNS1_11target_archE906ELNS1_3gpuE6ELNS1_3repE0EEENS1_60segmented_radix_sort_warp_sort_medium_config_static_selectorELNS0_4arch9wavefront6targetE0EEEvSK_
                                        ; -- End function
	.set _ZN7rocprim17ROCPRIM_400000_NS6detail17trampoline_kernelINS0_14default_configENS1_36segmented_radix_sort_config_selectorIalEEZNS1_25segmented_radix_sort_implIS3_Lb1EPKaPaPKlPlN2at6native12_GLOBAL__N_18offset_tEEE10hipError_tPvRmT1_PNSt15iterator_traitsISK_E10value_typeET2_T3_PNSL_ISQ_E10value_typeET4_jRbjT5_SW_jjP12ihipStream_tbEUlT_E0_NS1_11comp_targetILNS1_3genE2ELNS1_11target_archE906ELNS1_3gpuE6ELNS1_3repE0EEENS1_60segmented_radix_sort_warp_sort_medium_config_static_selectorELNS0_4arch9wavefront6targetE0EEEvSK_.num_vgpr, 0
	.set _ZN7rocprim17ROCPRIM_400000_NS6detail17trampoline_kernelINS0_14default_configENS1_36segmented_radix_sort_config_selectorIalEEZNS1_25segmented_radix_sort_implIS3_Lb1EPKaPaPKlPlN2at6native12_GLOBAL__N_18offset_tEEE10hipError_tPvRmT1_PNSt15iterator_traitsISK_E10value_typeET2_T3_PNSL_ISQ_E10value_typeET4_jRbjT5_SW_jjP12ihipStream_tbEUlT_E0_NS1_11comp_targetILNS1_3genE2ELNS1_11target_archE906ELNS1_3gpuE6ELNS1_3repE0EEENS1_60segmented_radix_sort_warp_sort_medium_config_static_selectorELNS0_4arch9wavefront6targetE0EEEvSK_.num_agpr, 0
	.set _ZN7rocprim17ROCPRIM_400000_NS6detail17trampoline_kernelINS0_14default_configENS1_36segmented_radix_sort_config_selectorIalEEZNS1_25segmented_radix_sort_implIS3_Lb1EPKaPaPKlPlN2at6native12_GLOBAL__N_18offset_tEEE10hipError_tPvRmT1_PNSt15iterator_traitsISK_E10value_typeET2_T3_PNSL_ISQ_E10value_typeET4_jRbjT5_SW_jjP12ihipStream_tbEUlT_E0_NS1_11comp_targetILNS1_3genE2ELNS1_11target_archE906ELNS1_3gpuE6ELNS1_3repE0EEENS1_60segmented_radix_sort_warp_sort_medium_config_static_selectorELNS0_4arch9wavefront6targetE0EEEvSK_.numbered_sgpr, 0
	.set _ZN7rocprim17ROCPRIM_400000_NS6detail17trampoline_kernelINS0_14default_configENS1_36segmented_radix_sort_config_selectorIalEEZNS1_25segmented_radix_sort_implIS3_Lb1EPKaPaPKlPlN2at6native12_GLOBAL__N_18offset_tEEE10hipError_tPvRmT1_PNSt15iterator_traitsISK_E10value_typeET2_T3_PNSL_ISQ_E10value_typeET4_jRbjT5_SW_jjP12ihipStream_tbEUlT_E0_NS1_11comp_targetILNS1_3genE2ELNS1_11target_archE906ELNS1_3gpuE6ELNS1_3repE0EEENS1_60segmented_radix_sort_warp_sort_medium_config_static_selectorELNS0_4arch9wavefront6targetE0EEEvSK_.num_named_barrier, 0
	.set _ZN7rocprim17ROCPRIM_400000_NS6detail17trampoline_kernelINS0_14default_configENS1_36segmented_radix_sort_config_selectorIalEEZNS1_25segmented_radix_sort_implIS3_Lb1EPKaPaPKlPlN2at6native12_GLOBAL__N_18offset_tEEE10hipError_tPvRmT1_PNSt15iterator_traitsISK_E10value_typeET2_T3_PNSL_ISQ_E10value_typeET4_jRbjT5_SW_jjP12ihipStream_tbEUlT_E0_NS1_11comp_targetILNS1_3genE2ELNS1_11target_archE906ELNS1_3gpuE6ELNS1_3repE0EEENS1_60segmented_radix_sort_warp_sort_medium_config_static_selectorELNS0_4arch9wavefront6targetE0EEEvSK_.private_seg_size, 0
	.set _ZN7rocprim17ROCPRIM_400000_NS6detail17trampoline_kernelINS0_14default_configENS1_36segmented_radix_sort_config_selectorIalEEZNS1_25segmented_radix_sort_implIS3_Lb1EPKaPaPKlPlN2at6native12_GLOBAL__N_18offset_tEEE10hipError_tPvRmT1_PNSt15iterator_traitsISK_E10value_typeET2_T3_PNSL_ISQ_E10value_typeET4_jRbjT5_SW_jjP12ihipStream_tbEUlT_E0_NS1_11comp_targetILNS1_3genE2ELNS1_11target_archE906ELNS1_3gpuE6ELNS1_3repE0EEENS1_60segmented_radix_sort_warp_sort_medium_config_static_selectorELNS0_4arch9wavefront6targetE0EEEvSK_.uses_vcc, 0
	.set _ZN7rocprim17ROCPRIM_400000_NS6detail17trampoline_kernelINS0_14default_configENS1_36segmented_radix_sort_config_selectorIalEEZNS1_25segmented_radix_sort_implIS3_Lb1EPKaPaPKlPlN2at6native12_GLOBAL__N_18offset_tEEE10hipError_tPvRmT1_PNSt15iterator_traitsISK_E10value_typeET2_T3_PNSL_ISQ_E10value_typeET4_jRbjT5_SW_jjP12ihipStream_tbEUlT_E0_NS1_11comp_targetILNS1_3genE2ELNS1_11target_archE906ELNS1_3gpuE6ELNS1_3repE0EEENS1_60segmented_radix_sort_warp_sort_medium_config_static_selectorELNS0_4arch9wavefront6targetE0EEEvSK_.uses_flat_scratch, 0
	.set _ZN7rocprim17ROCPRIM_400000_NS6detail17trampoline_kernelINS0_14default_configENS1_36segmented_radix_sort_config_selectorIalEEZNS1_25segmented_radix_sort_implIS3_Lb1EPKaPaPKlPlN2at6native12_GLOBAL__N_18offset_tEEE10hipError_tPvRmT1_PNSt15iterator_traitsISK_E10value_typeET2_T3_PNSL_ISQ_E10value_typeET4_jRbjT5_SW_jjP12ihipStream_tbEUlT_E0_NS1_11comp_targetILNS1_3genE2ELNS1_11target_archE906ELNS1_3gpuE6ELNS1_3repE0EEENS1_60segmented_radix_sort_warp_sort_medium_config_static_selectorELNS0_4arch9wavefront6targetE0EEEvSK_.has_dyn_sized_stack, 0
	.set _ZN7rocprim17ROCPRIM_400000_NS6detail17trampoline_kernelINS0_14default_configENS1_36segmented_radix_sort_config_selectorIalEEZNS1_25segmented_radix_sort_implIS3_Lb1EPKaPaPKlPlN2at6native12_GLOBAL__N_18offset_tEEE10hipError_tPvRmT1_PNSt15iterator_traitsISK_E10value_typeET2_T3_PNSL_ISQ_E10value_typeET4_jRbjT5_SW_jjP12ihipStream_tbEUlT_E0_NS1_11comp_targetILNS1_3genE2ELNS1_11target_archE906ELNS1_3gpuE6ELNS1_3repE0EEENS1_60segmented_radix_sort_warp_sort_medium_config_static_selectorELNS0_4arch9wavefront6targetE0EEEvSK_.has_recursion, 0
	.set _ZN7rocprim17ROCPRIM_400000_NS6detail17trampoline_kernelINS0_14default_configENS1_36segmented_radix_sort_config_selectorIalEEZNS1_25segmented_radix_sort_implIS3_Lb1EPKaPaPKlPlN2at6native12_GLOBAL__N_18offset_tEEE10hipError_tPvRmT1_PNSt15iterator_traitsISK_E10value_typeET2_T3_PNSL_ISQ_E10value_typeET4_jRbjT5_SW_jjP12ihipStream_tbEUlT_E0_NS1_11comp_targetILNS1_3genE2ELNS1_11target_archE906ELNS1_3gpuE6ELNS1_3repE0EEENS1_60segmented_radix_sort_warp_sort_medium_config_static_selectorELNS0_4arch9wavefront6targetE0EEEvSK_.has_indirect_call, 0
	.section	.AMDGPU.csdata,"",@progbits
; Kernel info:
; codeLenInByte = 0
; TotalNumSgprs: 0
; NumVgprs: 0
; ScratchSize: 0
; MemoryBound: 0
; FloatMode: 240
; IeeeMode: 1
; LDSByteSize: 0 bytes/workgroup (compile time only)
; SGPRBlocks: 0
; VGPRBlocks: 0
; NumSGPRsForWavesPerEU: 1
; NumVGPRsForWavesPerEU: 1
; Occupancy: 16
; WaveLimiterHint : 0
; COMPUTE_PGM_RSRC2:SCRATCH_EN: 0
; COMPUTE_PGM_RSRC2:USER_SGPR: 6
; COMPUTE_PGM_RSRC2:TRAP_HANDLER: 0
; COMPUTE_PGM_RSRC2:TGID_X_EN: 1
; COMPUTE_PGM_RSRC2:TGID_Y_EN: 0
; COMPUTE_PGM_RSRC2:TGID_Z_EN: 0
; COMPUTE_PGM_RSRC2:TIDIG_COMP_CNT: 0
	.section	.text._ZN7rocprim17ROCPRIM_400000_NS6detail17trampoline_kernelINS0_14default_configENS1_36segmented_radix_sort_config_selectorIalEEZNS1_25segmented_radix_sort_implIS3_Lb1EPKaPaPKlPlN2at6native12_GLOBAL__N_18offset_tEEE10hipError_tPvRmT1_PNSt15iterator_traitsISK_E10value_typeET2_T3_PNSL_ISQ_E10value_typeET4_jRbjT5_SW_jjP12ihipStream_tbEUlT_E0_NS1_11comp_targetILNS1_3genE10ELNS1_11target_archE1201ELNS1_3gpuE5ELNS1_3repE0EEENS1_60segmented_radix_sort_warp_sort_medium_config_static_selectorELNS0_4arch9wavefront6targetE0EEEvSK_,"axG",@progbits,_ZN7rocprim17ROCPRIM_400000_NS6detail17trampoline_kernelINS0_14default_configENS1_36segmented_radix_sort_config_selectorIalEEZNS1_25segmented_radix_sort_implIS3_Lb1EPKaPaPKlPlN2at6native12_GLOBAL__N_18offset_tEEE10hipError_tPvRmT1_PNSt15iterator_traitsISK_E10value_typeET2_T3_PNSL_ISQ_E10value_typeET4_jRbjT5_SW_jjP12ihipStream_tbEUlT_E0_NS1_11comp_targetILNS1_3genE10ELNS1_11target_archE1201ELNS1_3gpuE5ELNS1_3repE0EEENS1_60segmented_radix_sort_warp_sort_medium_config_static_selectorELNS0_4arch9wavefront6targetE0EEEvSK_,comdat
	.globl	_ZN7rocprim17ROCPRIM_400000_NS6detail17trampoline_kernelINS0_14default_configENS1_36segmented_radix_sort_config_selectorIalEEZNS1_25segmented_radix_sort_implIS3_Lb1EPKaPaPKlPlN2at6native12_GLOBAL__N_18offset_tEEE10hipError_tPvRmT1_PNSt15iterator_traitsISK_E10value_typeET2_T3_PNSL_ISQ_E10value_typeET4_jRbjT5_SW_jjP12ihipStream_tbEUlT_E0_NS1_11comp_targetILNS1_3genE10ELNS1_11target_archE1201ELNS1_3gpuE5ELNS1_3repE0EEENS1_60segmented_radix_sort_warp_sort_medium_config_static_selectorELNS0_4arch9wavefront6targetE0EEEvSK_ ; -- Begin function _ZN7rocprim17ROCPRIM_400000_NS6detail17trampoline_kernelINS0_14default_configENS1_36segmented_radix_sort_config_selectorIalEEZNS1_25segmented_radix_sort_implIS3_Lb1EPKaPaPKlPlN2at6native12_GLOBAL__N_18offset_tEEE10hipError_tPvRmT1_PNSt15iterator_traitsISK_E10value_typeET2_T3_PNSL_ISQ_E10value_typeET4_jRbjT5_SW_jjP12ihipStream_tbEUlT_E0_NS1_11comp_targetILNS1_3genE10ELNS1_11target_archE1201ELNS1_3gpuE5ELNS1_3repE0EEENS1_60segmented_radix_sort_warp_sort_medium_config_static_selectorELNS0_4arch9wavefront6targetE0EEEvSK_
	.p2align	8
	.type	_ZN7rocprim17ROCPRIM_400000_NS6detail17trampoline_kernelINS0_14default_configENS1_36segmented_radix_sort_config_selectorIalEEZNS1_25segmented_radix_sort_implIS3_Lb1EPKaPaPKlPlN2at6native12_GLOBAL__N_18offset_tEEE10hipError_tPvRmT1_PNSt15iterator_traitsISK_E10value_typeET2_T3_PNSL_ISQ_E10value_typeET4_jRbjT5_SW_jjP12ihipStream_tbEUlT_E0_NS1_11comp_targetILNS1_3genE10ELNS1_11target_archE1201ELNS1_3gpuE5ELNS1_3repE0EEENS1_60segmented_radix_sort_warp_sort_medium_config_static_selectorELNS0_4arch9wavefront6targetE0EEEvSK_,@function
_ZN7rocprim17ROCPRIM_400000_NS6detail17trampoline_kernelINS0_14default_configENS1_36segmented_radix_sort_config_selectorIalEEZNS1_25segmented_radix_sort_implIS3_Lb1EPKaPaPKlPlN2at6native12_GLOBAL__N_18offset_tEEE10hipError_tPvRmT1_PNSt15iterator_traitsISK_E10value_typeET2_T3_PNSL_ISQ_E10value_typeET4_jRbjT5_SW_jjP12ihipStream_tbEUlT_E0_NS1_11comp_targetILNS1_3genE10ELNS1_11target_archE1201ELNS1_3gpuE5ELNS1_3repE0EEENS1_60segmented_radix_sort_warp_sort_medium_config_static_selectorELNS0_4arch9wavefront6targetE0EEEvSK_: ; @_ZN7rocprim17ROCPRIM_400000_NS6detail17trampoline_kernelINS0_14default_configENS1_36segmented_radix_sort_config_selectorIalEEZNS1_25segmented_radix_sort_implIS3_Lb1EPKaPaPKlPlN2at6native12_GLOBAL__N_18offset_tEEE10hipError_tPvRmT1_PNSt15iterator_traitsISK_E10value_typeET2_T3_PNSL_ISQ_E10value_typeET4_jRbjT5_SW_jjP12ihipStream_tbEUlT_E0_NS1_11comp_targetILNS1_3genE10ELNS1_11target_archE1201ELNS1_3gpuE5ELNS1_3repE0EEENS1_60segmented_radix_sort_warp_sort_medium_config_static_selectorELNS0_4arch9wavefront6targetE0EEEvSK_
; %bb.0:
	.section	.rodata,"a",@progbits
	.p2align	6, 0x0
	.amdhsa_kernel _ZN7rocprim17ROCPRIM_400000_NS6detail17trampoline_kernelINS0_14default_configENS1_36segmented_radix_sort_config_selectorIalEEZNS1_25segmented_radix_sort_implIS3_Lb1EPKaPaPKlPlN2at6native12_GLOBAL__N_18offset_tEEE10hipError_tPvRmT1_PNSt15iterator_traitsISK_E10value_typeET2_T3_PNSL_ISQ_E10value_typeET4_jRbjT5_SW_jjP12ihipStream_tbEUlT_E0_NS1_11comp_targetILNS1_3genE10ELNS1_11target_archE1201ELNS1_3gpuE5ELNS1_3repE0EEENS1_60segmented_radix_sort_warp_sort_medium_config_static_selectorELNS0_4arch9wavefront6targetE0EEEvSK_
		.amdhsa_group_segment_fixed_size 0
		.amdhsa_private_segment_fixed_size 0
		.amdhsa_kernarg_size 88
		.amdhsa_user_sgpr_count 6
		.amdhsa_user_sgpr_private_segment_buffer 1
		.amdhsa_user_sgpr_dispatch_ptr 0
		.amdhsa_user_sgpr_queue_ptr 0
		.amdhsa_user_sgpr_kernarg_segment_ptr 1
		.amdhsa_user_sgpr_dispatch_id 0
		.amdhsa_user_sgpr_flat_scratch_init 0
		.amdhsa_user_sgpr_private_segment_size 0
		.amdhsa_wavefront_size32 1
		.amdhsa_uses_dynamic_stack 0
		.amdhsa_system_sgpr_private_segment_wavefront_offset 0
		.amdhsa_system_sgpr_workgroup_id_x 1
		.amdhsa_system_sgpr_workgroup_id_y 0
		.amdhsa_system_sgpr_workgroup_id_z 0
		.amdhsa_system_sgpr_workgroup_info 0
		.amdhsa_system_vgpr_workitem_id 0
		.amdhsa_next_free_vgpr 1
		.amdhsa_next_free_sgpr 1
		.amdhsa_reserve_vcc 0
		.amdhsa_reserve_flat_scratch 0
		.amdhsa_float_round_mode_32 0
		.amdhsa_float_round_mode_16_64 0
		.amdhsa_float_denorm_mode_32 3
		.amdhsa_float_denorm_mode_16_64 3
		.amdhsa_dx10_clamp 1
		.amdhsa_ieee_mode 1
		.amdhsa_fp16_overflow 0
		.amdhsa_workgroup_processor_mode 1
		.amdhsa_memory_ordered 1
		.amdhsa_forward_progress 1
		.amdhsa_shared_vgpr_count 0
		.amdhsa_exception_fp_ieee_invalid_op 0
		.amdhsa_exception_fp_denorm_src 0
		.amdhsa_exception_fp_ieee_div_zero 0
		.amdhsa_exception_fp_ieee_overflow 0
		.amdhsa_exception_fp_ieee_underflow 0
		.amdhsa_exception_fp_ieee_inexact 0
		.amdhsa_exception_int_div_zero 0
	.end_amdhsa_kernel
	.section	.text._ZN7rocprim17ROCPRIM_400000_NS6detail17trampoline_kernelINS0_14default_configENS1_36segmented_radix_sort_config_selectorIalEEZNS1_25segmented_radix_sort_implIS3_Lb1EPKaPaPKlPlN2at6native12_GLOBAL__N_18offset_tEEE10hipError_tPvRmT1_PNSt15iterator_traitsISK_E10value_typeET2_T3_PNSL_ISQ_E10value_typeET4_jRbjT5_SW_jjP12ihipStream_tbEUlT_E0_NS1_11comp_targetILNS1_3genE10ELNS1_11target_archE1201ELNS1_3gpuE5ELNS1_3repE0EEENS1_60segmented_radix_sort_warp_sort_medium_config_static_selectorELNS0_4arch9wavefront6targetE0EEEvSK_,"axG",@progbits,_ZN7rocprim17ROCPRIM_400000_NS6detail17trampoline_kernelINS0_14default_configENS1_36segmented_radix_sort_config_selectorIalEEZNS1_25segmented_radix_sort_implIS3_Lb1EPKaPaPKlPlN2at6native12_GLOBAL__N_18offset_tEEE10hipError_tPvRmT1_PNSt15iterator_traitsISK_E10value_typeET2_T3_PNSL_ISQ_E10value_typeET4_jRbjT5_SW_jjP12ihipStream_tbEUlT_E0_NS1_11comp_targetILNS1_3genE10ELNS1_11target_archE1201ELNS1_3gpuE5ELNS1_3repE0EEENS1_60segmented_radix_sort_warp_sort_medium_config_static_selectorELNS0_4arch9wavefront6targetE0EEEvSK_,comdat
.Lfunc_end303:
	.size	_ZN7rocprim17ROCPRIM_400000_NS6detail17trampoline_kernelINS0_14default_configENS1_36segmented_radix_sort_config_selectorIalEEZNS1_25segmented_radix_sort_implIS3_Lb1EPKaPaPKlPlN2at6native12_GLOBAL__N_18offset_tEEE10hipError_tPvRmT1_PNSt15iterator_traitsISK_E10value_typeET2_T3_PNSL_ISQ_E10value_typeET4_jRbjT5_SW_jjP12ihipStream_tbEUlT_E0_NS1_11comp_targetILNS1_3genE10ELNS1_11target_archE1201ELNS1_3gpuE5ELNS1_3repE0EEENS1_60segmented_radix_sort_warp_sort_medium_config_static_selectorELNS0_4arch9wavefront6targetE0EEEvSK_, .Lfunc_end303-_ZN7rocprim17ROCPRIM_400000_NS6detail17trampoline_kernelINS0_14default_configENS1_36segmented_radix_sort_config_selectorIalEEZNS1_25segmented_radix_sort_implIS3_Lb1EPKaPaPKlPlN2at6native12_GLOBAL__N_18offset_tEEE10hipError_tPvRmT1_PNSt15iterator_traitsISK_E10value_typeET2_T3_PNSL_ISQ_E10value_typeET4_jRbjT5_SW_jjP12ihipStream_tbEUlT_E0_NS1_11comp_targetILNS1_3genE10ELNS1_11target_archE1201ELNS1_3gpuE5ELNS1_3repE0EEENS1_60segmented_radix_sort_warp_sort_medium_config_static_selectorELNS0_4arch9wavefront6targetE0EEEvSK_
                                        ; -- End function
	.set _ZN7rocprim17ROCPRIM_400000_NS6detail17trampoline_kernelINS0_14default_configENS1_36segmented_radix_sort_config_selectorIalEEZNS1_25segmented_radix_sort_implIS3_Lb1EPKaPaPKlPlN2at6native12_GLOBAL__N_18offset_tEEE10hipError_tPvRmT1_PNSt15iterator_traitsISK_E10value_typeET2_T3_PNSL_ISQ_E10value_typeET4_jRbjT5_SW_jjP12ihipStream_tbEUlT_E0_NS1_11comp_targetILNS1_3genE10ELNS1_11target_archE1201ELNS1_3gpuE5ELNS1_3repE0EEENS1_60segmented_radix_sort_warp_sort_medium_config_static_selectorELNS0_4arch9wavefront6targetE0EEEvSK_.num_vgpr, 0
	.set _ZN7rocprim17ROCPRIM_400000_NS6detail17trampoline_kernelINS0_14default_configENS1_36segmented_radix_sort_config_selectorIalEEZNS1_25segmented_radix_sort_implIS3_Lb1EPKaPaPKlPlN2at6native12_GLOBAL__N_18offset_tEEE10hipError_tPvRmT1_PNSt15iterator_traitsISK_E10value_typeET2_T3_PNSL_ISQ_E10value_typeET4_jRbjT5_SW_jjP12ihipStream_tbEUlT_E0_NS1_11comp_targetILNS1_3genE10ELNS1_11target_archE1201ELNS1_3gpuE5ELNS1_3repE0EEENS1_60segmented_radix_sort_warp_sort_medium_config_static_selectorELNS0_4arch9wavefront6targetE0EEEvSK_.num_agpr, 0
	.set _ZN7rocprim17ROCPRIM_400000_NS6detail17trampoline_kernelINS0_14default_configENS1_36segmented_radix_sort_config_selectorIalEEZNS1_25segmented_radix_sort_implIS3_Lb1EPKaPaPKlPlN2at6native12_GLOBAL__N_18offset_tEEE10hipError_tPvRmT1_PNSt15iterator_traitsISK_E10value_typeET2_T3_PNSL_ISQ_E10value_typeET4_jRbjT5_SW_jjP12ihipStream_tbEUlT_E0_NS1_11comp_targetILNS1_3genE10ELNS1_11target_archE1201ELNS1_3gpuE5ELNS1_3repE0EEENS1_60segmented_radix_sort_warp_sort_medium_config_static_selectorELNS0_4arch9wavefront6targetE0EEEvSK_.numbered_sgpr, 0
	.set _ZN7rocprim17ROCPRIM_400000_NS6detail17trampoline_kernelINS0_14default_configENS1_36segmented_radix_sort_config_selectorIalEEZNS1_25segmented_radix_sort_implIS3_Lb1EPKaPaPKlPlN2at6native12_GLOBAL__N_18offset_tEEE10hipError_tPvRmT1_PNSt15iterator_traitsISK_E10value_typeET2_T3_PNSL_ISQ_E10value_typeET4_jRbjT5_SW_jjP12ihipStream_tbEUlT_E0_NS1_11comp_targetILNS1_3genE10ELNS1_11target_archE1201ELNS1_3gpuE5ELNS1_3repE0EEENS1_60segmented_radix_sort_warp_sort_medium_config_static_selectorELNS0_4arch9wavefront6targetE0EEEvSK_.num_named_barrier, 0
	.set _ZN7rocprim17ROCPRIM_400000_NS6detail17trampoline_kernelINS0_14default_configENS1_36segmented_radix_sort_config_selectorIalEEZNS1_25segmented_radix_sort_implIS3_Lb1EPKaPaPKlPlN2at6native12_GLOBAL__N_18offset_tEEE10hipError_tPvRmT1_PNSt15iterator_traitsISK_E10value_typeET2_T3_PNSL_ISQ_E10value_typeET4_jRbjT5_SW_jjP12ihipStream_tbEUlT_E0_NS1_11comp_targetILNS1_3genE10ELNS1_11target_archE1201ELNS1_3gpuE5ELNS1_3repE0EEENS1_60segmented_radix_sort_warp_sort_medium_config_static_selectorELNS0_4arch9wavefront6targetE0EEEvSK_.private_seg_size, 0
	.set _ZN7rocprim17ROCPRIM_400000_NS6detail17trampoline_kernelINS0_14default_configENS1_36segmented_radix_sort_config_selectorIalEEZNS1_25segmented_radix_sort_implIS3_Lb1EPKaPaPKlPlN2at6native12_GLOBAL__N_18offset_tEEE10hipError_tPvRmT1_PNSt15iterator_traitsISK_E10value_typeET2_T3_PNSL_ISQ_E10value_typeET4_jRbjT5_SW_jjP12ihipStream_tbEUlT_E0_NS1_11comp_targetILNS1_3genE10ELNS1_11target_archE1201ELNS1_3gpuE5ELNS1_3repE0EEENS1_60segmented_radix_sort_warp_sort_medium_config_static_selectorELNS0_4arch9wavefront6targetE0EEEvSK_.uses_vcc, 0
	.set _ZN7rocprim17ROCPRIM_400000_NS6detail17trampoline_kernelINS0_14default_configENS1_36segmented_radix_sort_config_selectorIalEEZNS1_25segmented_radix_sort_implIS3_Lb1EPKaPaPKlPlN2at6native12_GLOBAL__N_18offset_tEEE10hipError_tPvRmT1_PNSt15iterator_traitsISK_E10value_typeET2_T3_PNSL_ISQ_E10value_typeET4_jRbjT5_SW_jjP12ihipStream_tbEUlT_E0_NS1_11comp_targetILNS1_3genE10ELNS1_11target_archE1201ELNS1_3gpuE5ELNS1_3repE0EEENS1_60segmented_radix_sort_warp_sort_medium_config_static_selectorELNS0_4arch9wavefront6targetE0EEEvSK_.uses_flat_scratch, 0
	.set _ZN7rocprim17ROCPRIM_400000_NS6detail17trampoline_kernelINS0_14default_configENS1_36segmented_radix_sort_config_selectorIalEEZNS1_25segmented_radix_sort_implIS3_Lb1EPKaPaPKlPlN2at6native12_GLOBAL__N_18offset_tEEE10hipError_tPvRmT1_PNSt15iterator_traitsISK_E10value_typeET2_T3_PNSL_ISQ_E10value_typeET4_jRbjT5_SW_jjP12ihipStream_tbEUlT_E0_NS1_11comp_targetILNS1_3genE10ELNS1_11target_archE1201ELNS1_3gpuE5ELNS1_3repE0EEENS1_60segmented_radix_sort_warp_sort_medium_config_static_selectorELNS0_4arch9wavefront6targetE0EEEvSK_.has_dyn_sized_stack, 0
	.set _ZN7rocprim17ROCPRIM_400000_NS6detail17trampoline_kernelINS0_14default_configENS1_36segmented_radix_sort_config_selectorIalEEZNS1_25segmented_radix_sort_implIS3_Lb1EPKaPaPKlPlN2at6native12_GLOBAL__N_18offset_tEEE10hipError_tPvRmT1_PNSt15iterator_traitsISK_E10value_typeET2_T3_PNSL_ISQ_E10value_typeET4_jRbjT5_SW_jjP12ihipStream_tbEUlT_E0_NS1_11comp_targetILNS1_3genE10ELNS1_11target_archE1201ELNS1_3gpuE5ELNS1_3repE0EEENS1_60segmented_radix_sort_warp_sort_medium_config_static_selectorELNS0_4arch9wavefront6targetE0EEEvSK_.has_recursion, 0
	.set _ZN7rocprim17ROCPRIM_400000_NS6detail17trampoline_kernelINS0_14default_configENS1_36segmented_radix_sort_config_selectorIalEEZNS1_25segmented_radix_sort_implIS3_Lb1EPKaPaPKlPlN2at6native12_GLOBAL__N_18offset_tEEE10hipError_tPvRmT1_PNSt15iterator_traitsISK_E10value_typeET2_T3_PNSL_ISQ_E10value_typeET4_jRbjT5_SW_jjP12ihipStream_tbEUlT_E0_NS1_11comp_targetILNS1_3genE10ELNS1_11target_archE1201ELNS1_3gpuE5ELNS1_3repE0EEENS1_60segmented_radix_sort_warp_sort_medium_config_static_selectorELNS0_4arch9wavefront6targetE0EEEvSK_.has_indirect_call, 0
	.section	.AMDGPU.csdata,"",@progbits
; Kernel info:
; codeLenInByte = 0
; TotalNumSgprs: 0
; NumVgprs: 0
; ScratchSize: 0
; MemoryBound: 0
; FloatMode: 240
; IeeeMode: 1
; LDSByteSize: 0 bytes/workgroup (compile time only)
; SGPRBlocks: 0
; VGPRBlocks: 0
; NumSGPRsForWavesPerEU: 1
; NumVGPRsForWavesPerEU: 1
; Occupancy: 16
; WaveLimiterHint : 0
; COMPUTE_PGM_RSRC2:SCRATCH_EN: 0
; COMPUTE_PGM_RSRC2:USER_SGPR: 6
; COMPUTE_PGM_RSRC2:TRAP_HANDLER: 0
; COMPUTE_PGM_RSRC2:TGID_X_EN: 1
; COMPUTE_PGM_RSRC2:TGID_Y_EN: 0
; COMPUTE_PGM_RSRC2:TGID_Z_EN: 0
; COMPUTE_PGM_RSRC2:TIDIG_COMP_CNT: 0
	.section	.text._ZN7rocprim17ROCPRIM_400000_NS6detail17trampoline_kernelINS0_14default_configENS1_36segmented_radix_sort_config_selectorIalEEZNS1_25segmented_radix_sort_implIS3_Lb1EPKaPaPKlPlN2at6native12_GLOBAL__N_18offset_tEEE10hipError_tPvRmT1_PNSt15iterator_traitsISK_E10value_typeET2_T3_PNSL_ISQ_E10value_typeET4_jRbjT5_SW_jjP12ihipStream_tbEUlT_E0_NS1_11comp_targetILNS1_3genE10ELNS1_11target_archE1200ELNS1_3gpuE4ELNS1_3repE0EEENS1_60segmented_radix_sort_warp_sort_medium_config_static_selectorELNS0_4arch9wavefront6targetE0EEEvSK_,"axG",@progbits,_ZN7rocprim17ROCPRIM_400000_NS6detail17trampoline_kernelINS0_14default_configENS1_36segmented_radix_sort_config_selectorIalEEZNS1_25segmented_radix_sort_implIS3_Lb1EPKaPaPKlPlN2at6native12_GLOBAL__N_18offset_tEEE10hipError_tPvRmT1_PNSt15iterator_traitsISK_E10value_typeET2_T3_PNSL_ISQ_E10value_typeET4_jRbjT5_SW_jjP12ihipStream_tbEUlT_E0_NS1_11comp_targetILNS1_3genE10ELNS1_11target_archE1200ELNS1_3gpuE4ELNS1_3repE0EEENS1_60segmented_radix_sort_warp_sort_medium_config_static_selectorELNS0_4arch9wavefront6targetE0EEEvSK_,comdat
	.globl	_ZN7rocprim17ROCPRIM_400000_NS6detail17trampoline_kernelINS0_14default_configENS1_36segmented_radix_sort_config_selectorIalEEZNS1_25segmented_radix_sort_implIS3_Lb1EPKaPaPKlPlN2at6native12_GLOBAL__N_18offset_tEEE10hipError_tPvRmT1_PNSt15iterator_traitsISK_E10value_typeET2_T3_PNSL_ISQ_E10value_typeET4_jRbjT5_SW_jjP12ihipStream_tbEUlT_E0_NS1_11comp_targetILNS1_3genE10ELNS1_11target_archE1200ELNS1_3gpuE4ELNS1_3repE0EEENS1_60segmented_radix_sort_warp_sort_medium_config_static_selectorELNS0_4arch9wavefront6targetE0EEEvSK_ ; -- Begin function _ZN7rocprim17ROCPRIM_400000_NS6detail17trampoline_kernelINS0_14default_configENS1_36segmented_radix_sort_config_selectorIalEEZNS1_25segmented_radix_sort_implIS3_Lb1EPKaPaPKlPlN2at6native12_GLOBAL__N_18offset_tEEE10hipError_tPvRmT1_PNSt15iterator_traitsISK_E10value_typeET2_T3_PNSL_ISQ_E10value_typeET4_jRbjT5_SW_jjP12ihipStream_tbEUlT_E0_NS1_11comp_targetILNS1_3genE10ELNS1_11target_archE1200ELNS1_3gpuE4ELNS1_3repE0EEENS1_60segmented_radix_sort_warp_sort_medium_config_static_selectorELNS0_4arch9wavefront6targetE0EEEvSK_
	.p2align	8
	.type	_ZN7rocprim17ROCPRIM_400000_NS6detail17trampoline_kernelINS0_14default_configENS1_36segmented_radix_sort_config_selectorIalEEZNS1_25segmented_radix_sort_implIS3_Lb1EPKaPaPKlPlN2at6native12_GLOBAL__N_18offset_tEEE10hipError_tPvRmT1_PNSt15iterator_traitsISK_E10value_typeET2_T3_PNSL_ISQ_E10value_typeET4_jRbjT5_SW_jjP12ihipStream_tbEUlT_E0_NS1_11comp_targetILNS1_3genE10ELNS1_11target_archE1200ELNS1_3gpuE4ELNS1_3repE0EEENS1_60segmented_radix_sort_warp_sort_medium_config_static_selectorELNS0_4arch9wavefront6targetE0EEEvSK_,@function
_ZN7rocprim17ROCPRIM_400000_NS6detail17trampoline_kernelINS0_14default_configENS1_36segmented_radix_sort_config_selectorIalEEZNS1_25segmented_radix_sort_implIS3_Lb1EPKaPaPKlPlN2at6native12_GLOBAL__N_18offset_tEEE10hipError_tPvRmT1_PNSt15iterator_traitsISK_E10value_typeET2_T3_PNSL_ISQ_E10value_typeET4_jRbjT5_SW_jjP12ihipStream_tbEUlT_E0_NS1_11comp_targetILNS1_3genE10ELNS1_11target_archE1200ELNS1_3gpuE4ELNS1_3repE0EEENS1_60segmented_radix_sort_warp_sort_medium_config_static_selectorELNS0_4arch9wavefront6targetE0EEEvSK_: ; @_ZN7rocprim17ROCPRIM_400000_NS6detail17trampoline_kernelINS0_14default_configENS1_36segmented_radix_sort_config_selectorIalEEZNS1_25segmented_radix_sort_implIS3_Lb1EPKaPaPKlPlN2at6native12_GLOBAL__N_18offset_tEEE10hipError_tPvRmT1_PNSt15iterator_traitsISK_E10value_typeET2_T3_PNSL_ISQ_E10value_typeET4_jRbjT5_SW_jjP12ihipStream_tbEUlT_E0_NS1_11comp_targetILNS1_3genE10ELNS1_11target_archE1200ELNS1_3gpuE4ELNS1_3repE0EEENS1_60segmented_radix_sort_warp_sort_medium_config_static_selectorELNS0_4arch9wavefront6targetE0EEEvSK_
; %bb.0:
	.section	.rodata,"a",@progbits
	.p2align	6, 0x0
	.amdhsa_kernel _ZN7rocprim17ROCPRIM_400000_NS6detail17trampoline_kernelINS0_14default_configENS1_36segmented_radix_sort_config_selectorIalEEZNS1_25segmented_radix_sort_implIS3_Lb1EPKaPaPKlPlN2at6native12_GLOBAL__N_18offset_tEEE10hipError_tPvRmT1_PNSt15iterator_traitsISK_E10value_typeET2_T3_PNSL_ISQ_E10value_typeET4_jRbjT5_SW_jjP12ihipStream_tbEUlT_E0_NS1_11comp_targetILNS1_3genE10ELNS1_11target_archE1200ELNS1_3gpuE4ELNS1_3repE0EEENS1_60segmented_radix_sort_warp_sort_medium_config_static_selectorELNS0_4arch9wavefront6targetE0EEEvSK_
		.amdhsa_group_segment_fixed_size 0
		.amdhsa_private_segment_fixed_size 0
		.amdhsa_kernarg_size 88
		.amdhsa_user_sgpr_count 6
		.amdhsa_user_sgpr_private_segment_buffer 1
		.amdhsa_user_sgpr_dispatch_ptr 0
		.amdhsa_user_sgpr_queue_ptr 0
		.amdhsa_user_sgpr_kernarg_segment_ptr 1
		.amdhsa_user_sgpr_dispatch_id 0
		.amdhsa_user_sgpr_flat_scratch_init 0
		.amdhsa_user_sgpr_private_segment_size 0
		.amdhsa_wavefront_size32 1
		.amdhsa_uses_dynamic_stack 0
		.amdhsa_system_sgpr_private_segment_wavefront_offset 0
		.amdhsa_system_sgpr_workgroup_id_x 1
		.amdhsa_system_sgpr_workgroup_id_y 0
		.amdhsa_system_sgpr_workgroup_id_z 0
		.amdhsa_system_sgpr_workgroup_info 0
		.amdhsa_system_vgpr_workitem_id 0
		.amdhsa_next_free_vgpr 1
		.amdhsa_next_free_sgpr 1
		.amdhsa_reserve_vcc 0
		.amdhsa_reserve_flat_scratch 0
		.amdhsa_float_round_mode_32 0
		.amdhsa_float_round_mode_16_64 0
		.amdhsa_float_denorm_mode_32 3
		.amdhsa_float_denorm_mode_16_64 3
		.amdhsa_dx10_clamp 1
		.amdhsa_ieee_mode 1
		.amdhsa_fp16_overflow 0
		.amdhsa_workgroup_processor_mode 1
		.amdhsa_memory_ordered 1
		.amdhsa_forward_progress 1
		.amdhsa_shared_vgpr_count 0
		.amdhsa_exception_fp_ieee_invalid_op 0
		.amdhsa_exception_fp_denorm_src 0
		.amdhsa_exception_fp_ieee_div_zero 0
		.amdhsa_exception_fp_ieee_overflow 0
		.amdhsa_exception_fp_ieee_underflow 0
		.amdhsa_exception_fp_ieee_inexact 0
		.amdhsa_exception_int_div_zero 0
	.end_amdhsa_kernel
	.section	.text._ZN7rocprim17ROCPRIM_400000_NS6detail17trampoline_kernelINS0_14default_configENS1_36segmented_radix_sort_config_selectorIalEEZNS1_25segmented_radix_sort_implIS3_Lb1EPKaPaPKlPlN2at6native12_GLOBAL__N_18offset_tEEE10hipError_tPvRmT1_PNSt15iterator_traitsISK_E10value_typeET2_T3_PNSL_ISQ_E10value_typeET4_jRbjT5_SW_jjP12ihipStream_tbEUlT_E0_NS1_11comp_targetILNS1_3genE10ELNS1_11target_archE1200ELNS1_3gpuE4ELNS1_3repE0EEENS1_60segmented_radix_sort_warp_sort_medium_config_static_selectorELNS0_4arch9wavefront6targetE0EEEvSK_,"axG",@progbits,_ZN7rocprim17ROCPRIM_400000_NS6detail17trampoline_kernelINS0_14default_configENS1_36segmented_radix_sort_config_selectorIalEEZNS1_25segmented_radix_sort_implIS3_Lb1EPKaPaPKlPlN2at6native12_GLOBAL__N_18offset_tEEE10hipError_tPvRmT1_PNSt15iterator_traitsISK_E10value_typeET2_T3_PNSL_ISQ_E10value_typeET4_jRbjT5_SW_jjP12ihipStream_tbEUlT_E0_NS1_11comp_targetILNS1_3genE10ELNS1_11target_archE1200ELNS1_3gpuE4ELNS1_3repE0EEENS1_60segmented_radix_sort_warp_sort_medium_config_static_selectorELNS0_4arch9wavefront6targetE0EEEvSK_,comdat
.Lfunc_end304:
	.size	_ZN7rocprim17ROCPRIM_400000_NS6detail17trampoline_kernelINS0_14default_configENS1_36segmented_radix_sort_config_selectorIalEEZNS1_25segmented_radix_sort_implIS3_Lb1EPKaPaPKlPlN2at6native12_GLOBAL__N_18offset_tEEE10hipError_tPvRmT1_PNSt15iterator_traitsISK_E10value_typeET2_T3_PNSL_ISQ_E10value_typeET4_jRbjT5_SW_jjP12ihipStream_tbEUlT_E0_NS1_11comp_targetILNS1_3genE10ELNS1_11target_archE1200ELNS1_3gpuE4ELNS1_3repE0EEENS1_60segmented_radix_sort_warp_sort_medium_config_static_selectorELNS0_4arch9wavefront6targetE0EEEvSK_, .Lfunc_end304-_ZN7rocprim17ROCPRIM_400000_NS6detail17trampoline_kernelINS0_14default_configENS1_36segmented_radix_sort_config_selectorIalEEZNS1_25segmented_radix_sort_implIS3_Lb1EPKaPaPKlPlN2at6native12_GLOBAL__N_18offset_tEEE10hipError_tPvRmT1_PNSt15iterator_traitsISK_E10value_typeET2_T3_PNSL_ISQ_E10value_typeET4_jRbjT5_SW_jjP12ihipStream_tbEUlT_E0_NS1_11comp_targetILNS1_3genE10ELNS1_11target_archE1200ELNS1_3gpuE4ELNS1_3repE0EEENS1_60segmented_radix_sort_warp_sort_medium_config_static_selectorELNS0_4arch9wavefront6targetE0EEEvSK_
                                        ; -- End function
	.set _ZN7rocprim17ROCPRIM_400000_NS6detail17trampoline_kernelINS0_14default_configENS1_36segmented_radix_sort_config_selectorIalEEZNS1_25segmented_radix_sort_implIS3_Lb1EPKaPaPKlPlN2at6native12_GLOBAL__N_18offset_tEEE10hipError_tPvRmT1_PNSt15iterator_traitsISK_E10value_typeET2_T3_PNSL_ISQ_E10value_typeET4_jRbjT5_SW_jjP12ihipStream_tbEUlT_E0_NS1_11comp_targetILNS1_3genE10ELNS1_11target_archE1200ELNS1_3gpuE4ELNS1_3repE0EEENS1_60segmented_radix_sort_warp_sort_medium_config_static_selectorELNS0_4arch9wavefront6targetE0EEEvSK_.num_vgpr, 0
	.set _ZN7rocprim17ROCPRIM_400000_NS6detail17trampoline_kernelINS0_14default_configENS1_36segmented_radix_sort_config_selectorIalEEZNS1_25segmented_radix_sort_implIS3_Lb1EPKaPaPKlPlN2at6native12_GLOBAL__N_18offset_tEEE10hipError_tPvRmT1_PNSt15iterator_traitsISK_E10value_typeET2_T3_PNSL_ISQ_E10value_typeET4_jRbjT5_SW_jjP12ihipStream_tbEUlT_E0_NS1_11comp_targetILNS1_3genE10ELNS1_11target_archE1200ELNS1_3gpuE4ELNS1_3repE0EEENS1_60segmented_radix_sort_warp_sort_medium_config_static_selectorELNS0_4arch9wavefront6targetE0EEEvSK_.num_agpr, 0
	.set _ZN7rocprim17ROCPRIM_400000_NS6detail17trampoline_kernelINS0_14default_configENS1_36segmented_radix_sort_config_selectorIalEEZNS1_25segmented_radix_sort_implIS3_Lb1EPKaPaPKlPlN2at6native12_GLOBAL__N_18offset_tEEE10hipError_tPvRmT1_PNSt15iterator_traitsISK_E10value_typeET2_T3_PNSL_ISQ_E10value_typeET4_jRbjT5_SW_jjP12ihipStream_tbEUlT_E0_NS1_11comp_targetILNS1_3genE10ELNS1_11target_archE1200ELNS1_3gpuE4ELNS1_3repE0EEENS1_60segmented_radix_sort_warp_sort_medium_config_static_selectorELNS0_4arch9wavefront6targetE0EEEvSK_.numbered_sgpr, 0
	.set _ZN7rocprim17ROCPRIM_400000_NS6detail17trampoline_kernelINS0_14default_configENS1_36segmented_radix_sort_config_selectorIalEEZNS1_25segmented_radix_sort_implIS3_Lb1EPKaPaPKlPlN2at6native12_GLOBAL__N_18offset_tEEE10hipError_tPvRmT1_PNSt15iterator_traitsISK_E10value_typeET2_T3_PNSL_ISQ_E10value_typeET4_jRbjT5_SW_jjP12ihipStream_tbEUlT_E0_NS1_11comp_targetILNS1_3genE10ELNS1_11target_archE1200ELNS1_3gpuE4ELNS1_3repE0EEENS1_60segmented_radix_sort_warp_sort_medium_config_static_selectorELNS0_4arch9wavefront6targetE0EEEvSK_.num_named_barrier, 0
	.set _ZN7rocprim17ROCPRIM_400000_NS6detail17trampoline_kernelINS0_14default_configENS1_36segmented_radix_sort_config_selectorIalEEZNS1_25segmented_radix_sort_implIS3_Lb1EPKaPaPKlPlN2at6native12_GLOBAL__N_18offset_tEEE10hipError_tPvRmT1_PNSt15iterator_traitsISK_E10value_typeET2_T3_PNSL_ISQ_E10value_typeET4_jRbjT5_SW_jjP12ihipStream_tbEUlT_E0_NS1_11comp_targetILNS1_3genE10ELNS1_11target_archE1200ELNS1_3gpuE4ELNS1_3repE0EEENS1_60segmented_radix_sort_warp_sort_medium_config_static_selectorELNS0_4arch9wavefront6targetE0EEEvSK_.private_seg_size, 0
	.set _ZN7rocprim17ROCPRIM_400000_NS6detail17trampoline_kernelINS0_14default_configENS1_36segmented_radix_sort_config_selectorIalEEZNS1_25segmented_radix_sort_implIS3_Lb1EPKaPaPKlPlN2at6native12_GLOBAL__N_18offset_tEEE10hipError_tPvRmT1_PNSt15iterator_traitsISK_E10value_typeET2_T3_PNSL_ISQ_E10value_typeET4_jRbjT5_SW_jjP12ihipStream_tbEUlT_E0_NS1_11comp_targetILNS1_3genE10ELNS1_11target_archE1200ELNS1_3gpuE4ELNS1_3repE0EEENS1_60segmented_radix_sort_warp_sort_medium_config_static_selectorELNS0_4arch9wavefront6targetE0EEEvSK_.uses_vcc, 0
	.set _ZN7rocprim17ROCPRIM_400000_NS6detail17trampoline_kernelINS0_14default_configENS1_36segmented_radix_sort_config_selectorIalEEZNS1_25segmented_radix_sort_implIS3_Lb1EPKaPaPKlPlN2at6native12_GLOBAL__N_18offset_tEEE10hipError_tPvRmT1_PNSt15iterator_traitsISK_E10value_typeET2_T3_PNSL_ISQ_E10value_typeET4_jRbjT5_SW_jjP12ihipStream_tbEUlT_E0_NS1_11comp_targetILNS1_3genE10ELNS1_11target_archE1200ELNS1_3gpuE4ELNS1_3repE0EEENS1_60segmented_radix_sort_warp_sort_medium_config_static_selectorELNS0_4arch9wavefront6targetE0EEEvSK_.uses_flat_scratch, 0
	.set _ZN7rocprim17ROCPRIM_400000_NS6detail17trampoline_kernelINS0_14default_configENS1_36segmented_radix_sort_config_selectorIalEEZNS1_25segmented_radix_sort_implIS3_Lb1EPKaPaPKlPlN2at6native12_GLOBAL__N_18offset_tEEE10hipError_tPvRmT1_PNSt15iterator_traitsISK_E10value_typeET2_T3_PNSL_ISQ_E10value_typeET4_jRbjT5_SW_jjP12ihipStream_tbEUlT_E0_NS1_11comp_targetILNS1_3genE10ELNS1_11target_archE1200ELNS1_3gpuE4ELNS1_3repE0EEENS1_60segmented_radix_sort_warp_sort_medium_config_static_selectorELNS0_4arch9wavefront6targetE0EEEvSK_.has_dyn_sized_stack, 0
	.set _ZN7rocprim17ROCPRIM_400000_NS6detail17trampoline_kernelINS0_14default_configENS1_36segmented_radix_sort_config_selectorIalEEZNS1_25segmented_radix_sort_implIS3_Lb1EPKaPaPKlPlN2at6native12_GLOBAL__N_18offset_tEEE10hipError_tPvRmT1_PNSt15iterator_traitsISK_E10value_typeET2_T3_PNSL_ISQ_E10value_typeET4_jRbjT5_SW_jjP12ihipStream_tbEUlT_E0_NS1_11comp_targetILNS1_3genE10ELNS1_11target_archE1200ELNS1_3gpuE4ELNS1_3repE0EEENS1_60segmented_radix_sort_warp_sort_medium_config_static_selectorELNS0_4arch9wavefront6targetE0EEEvSK_.has_recursion, 0
	.set _ZN7rocprim17ROCPRIM_400000_NS6detail17trampoline_kernelINS0_14default_configENS1_36segmented_radix_sort_config_selectorIalEEZNS1_25segmented_radix_sort_implIS3_Lb1EPKaPaPKlPlN2at6native12_GLOBAL__N_18offset_tEEE10hipError_tPvRmT1_PNSt15iterator_traitsISK_E10value_typeET2_T3_PNSL_ISQ_E10value_typeET4_jRbjT5_SW_jjP12ihipStream_tbEUlT_E0_NS1_11comp_targetILNS1_3genE10ELNS1_11target_archE1200ELNS1_3gpuE4ELNS1_3repE0EEENS1_60segmented_radix_sort_warp_sort_medium_config_static_selectorELNS0_4arch9wavefront6targetE0EEEvSK_.has_indirect_call, 0
	.section	.AMDGPU.csdata,"",@progbits
; Kernel info:
; codeLenInByte = 0
; TotalNumSgprs: 0
; NumVgprs: 0
; ScratchSize: 0
; MemoryBound: 0
; FloatMode: 240
; IeeeMode: 1
; LDSByteSize: 0 bytes/workgroup (compile time only)
; SGPRBlocks: 0
; VGPRBlocks: 0
; NumSGPRsForWavesPerEU: 1
; NumVGPRsForWavesPerEU: 1
; Occupancy: 16
; WaveLimiterHint : 0
; COMPUTE_PGM_RSRC2:SCRATCH_EN: 0
; COMPUTE_PGM_RSRC2:USER_SGPR: 6
; COMPUTE_PGM_RSRC2:TRAP_HANDLER: 0
; COMPUTE_PGM_RSRC2:TGID_X_EN: 1
; COMPUTE_PGM_RSRC2:TGID_Y_EN: 0
; COMPUTE_PGM_RSRC2:TGID_Z_EN: 0
; COMPUTE_PGM_RSRC2:TIDIG_COMP_CNT: 0
	.section	.text._ZN7rocprim17ROCPRIM_400000_NS6detail17trampoline_kernelINS0_14default_configENS1_36segmented_radix_sort_config_selectorIalEEZNS1_25segmented_radix_sort_implIS3_Lb1EPKaPaPKlPlN2at6native12_GLOBAL__N_18offset_tEEE10hipError_tPvRmT1_PNSt15iterator_traitsISK_E10value_typeET2_T3_PNSL_ISQ_E10value_typeET4_jRbjT5_SW_jjP12ihipStream_tbEUlT_E0_NS1_11comp_targetILNS1_3genE9ELNS1_11target_archE1100ELNS1_3gpuE3ELNS1_3repE0EEENS1_60segmented_radix_sort_warp_sort_medium_config_static_selectorELNS0_4arch9wavefront6targetE0EEEvSK_,"axG",@progbits,_ZN7rocprim17ROCPRIM_400000_NS6detail17trampoline_kernelINS0_14default_configENS1_36segmented_radix_sort_config_selectorIalEEZNS1_25segmented_radix_sort_implIS3_Lb1EPKaPaPKlPlN2at6native12_GLOBAL__N_18offset_tEEE10hipError_tPvRmT1_PNSt15iterator_traitsISK_E10value_typeET2_T3_PNSL_ISQ_E10value_typeET4_jRbjT5_SW_jjP12ihipStream_tbEUlT_E0_NS1_11comp_targetILNS1_3genE9ELNS1_11target_archE1100ELNS1_3gpuE3ELNS1_3repE0EEENS1_60segmented_radix_sort_warp_sort_medium_config_static_selectorELNS0_4arch9wavefront6targetE0EEEvSK_,comdat
	.globl	_ZN7rocprim17ROCPRIM_400000_NS6detail17trampoline_kernelINS0_14default_configENS1_36segmented_radix_sort_config_selectorIalEEZNS1_25segmented_radix_sort_implIS3_Lb1EPKaPaPKlPlN2at6native12_GLOBAL__N_18offset_tEEE10hipError_tPvRmT1_PNSt15iterator_traitsISK_E10value_typeET2_T3_PNSL_ISQ_E10value_typeET4_jRbjT5_SW_jjP12ihipStream_tbEUlT_E0_NS1_11comp_targetILNS1_3genE9ELNS1_11target_archE1100ELNS1_3gpuE3ELNS1_3repE0EEENS1_60segmented_radix_sort_warp_sort_medium_config_static_selectorELNS0_4arch9wavefront6targetE0EEEvSK_ ; -- Begin function _ZN7rocprim17ROCPRIM_400000_NS6detail17trampoline_kernelINS0_14default_configENS1_36segmented_radix_sort_config_selectorIalEEZNS1_25segmented_radix_sort_implIS3_Lb1EPKaPaPKlPlN2at6native12_GLOBAL__N_18offset_tEEE10hipError_tPvRmT1_PNSt15iterator_traitsISK_E10value_typeET2_T3_PNSL_ISQ_E10value_typeET4_jRbjT5_SW_jjP12ihipStream_tbEUlT_E0_NS1_11comp_targetILNS1_3genE9ELNS1_11target_archE1100ELNS1_3gpuE3ELNS1_3repE0EEENS1_60segmented_radix_sort_warp_sort_medium_config_static_selectorELNS0_4arch9wavefront6targetE0EEEvSK_
	.p2align	8
	.type	_ZN7rocprim17ROCPRIM_400000_NS6detail17trampoline_kernelINS0_14default_configENS1_36segmented_radix_sort_config_selectorIalEEZNS1_25segmented_radix_sort_implIS3_Lb1EPKaPaPKlPlN2at6native12_GLOBAL__N_18offset_tEEE10hipError_tPvRmT1_PNSt15iterator_traitsISK_E10value_typeET2_T3_PNSL_ISQ_E10value_typeET4_jRbjT5_SW_jjP12ihipStream_tbEUlT_E0_NS1_11comp_targetILNS1_3genE9ELNS1_11target_archE1100ELNS1_3gpuE3ELNS1_3repE0EEENS1_60segmented_radix_sort_warp_sort_medium_config_static_selectorELNS0_4arch9wavefront6targetE0EEEvSK_,@function
_ZN7rocprim17ROCPRIM_400000_NS6detail17trampoline_kernelINS0_14default_configENS1_36segmented_radix_sort_config_selectorIalEEZNS1_25segmented_radix_sort_implIS3_Lb1EPKaPaPKlPlN2at6native12_GLOBAL__N_18offset_tEEE10hipError_tPvRmT1_PNSt15iterator_traitsISK_E10value_typeET2_T3_PNSL_ISQ_E10value_typeET4_jRbjT5_SW_jjP12ihipStream_tbEUlT_E0_NS1_11comp_targetILNS1_3genE9ELNS1_11target_archE1100ELNS1_3gpuE3ELNS1_3repE0EEENS1_60segmented_radix_sort_warp_sort_medium_config_static_selectorELNS0_4arch9wavefront6targetE0EEEvSK_: ; @_ZN7rocprim17ROCPRIM_400000_NS6detail17trampoline_kernelINS0_14default_configENS1_36segmented_radix_sort_config_selectorIalEEZNS1_25segmented_radix_sort_implIS3_Lb1EPKaPaPKlPlN2at6native12_GLOBAL__N_18offset_tEEE10hipError_tPvRmT1_PNSt15iterator_traitsISK_E10value_typeET2_T3_PNSL_ISQ_E10value_typeET4_jRbjT5_SW_jjP12ihipStream_tbEUlT_E0_NS1_11comp_targetILNS1_3genE9ELNS1_11target_archE1100ELNS1_3gpuE3ELNS1_3repE0EEENS1_60segmented_radix_sort_warp_sort_medium_config_static_selectorELNS0_4arch9wavefront6targetE0EEEvSK_
; %bb.0:
	.section	.rodata,"a",@progbits
	.p2align	6, 0x0
	.amdhsa_kernel _ZN7rocprim17ROCPRIM_400000_NS6detail17trampoline_kernelINS0_14default_configENS1_36segmented_radix_sort_config_selectorIalEEZNS1_25segmented_radix_sort_implIS3_Lb1EPKaPaPKlPlN2at6native12_GLOBAL__N_18offset_tEEE10hipError_tPvRmT1_PNSt15iterator_traitsISK_E10value_typeET2_T3_PNSL_ISQ_E10value_typeET4_jRbjT5_SW_jjP12ihipStream_tbEUlT_E0_NS1_11comp_targetILNS1_3genE9ELNS1_11target_archE1100ELNS1_3gpuE3ELNS1_3repE0EEENS1_60segmented_radix_sort_warp_sort_medium_config_static_selectorELNS0_4arch9wavefront6targetE0EEEvSK_
		.amdhsa_group_segment_fixed_size 0
		.amdhsa_private_segment_fixed_size 0
		.amdhsa_kernarg_size 88
		.amdhsa_user_sgpr_count 6
		.amdhsa_user_sgpr_private_segment_buffer 1
		.amdhsa_user_sgpr_dispatch_ptr 0
		.amdhsa_user_sgpr_queue_ptr 0
		.amdhsa_user_sgpr_kernarg_segment_ptr 1
		.amdhsa_user_sgpr_dispatch_id 0
		.amdhsa_user_sgpr_flat_scratch_init 0
		.amdhsa_user_sgpr_private_segment_size 0
		.amdhsa_wavefront_size32 1
		.amdhsa_uses_dynamic_stack 0
		.amdhsa_system_sgpr_private_segment_wavefront_offset 0
		.amdhsa_system_sgpr_workgroup_id_x 1
		.amdhsa_system_sgpr_workgroup_id_y 0
		.amdhsa_system_sgpr_workgroup_id_z 0
		.amdhsa_system_sgpr_workgroup_info 0
		.amdhsa_system_vgpr_workitem_id 0
		.amdhsa_next_free_vgpr 1
		.amdhsa_next_free_sgpr 1
		.amdhsa_reserve_vcc 0
		.amdhsa_reserve_flat_scratch 0
		.amdhsa_float_round_mode_32 0
		.amdhsa_float_round_mode_16_64 0
		.amdhsa_float_denorm_mode_32 3
		.amdhsa_float_denorm_mode_16_64 3
		.amdhsa_dx10_clamp 1
		.amdhsa_ieee_mode 1
		.amdhsa_fp16_overflow 0
		.amdhsa_workgroup_processor_mode 1
		.amdhsa_memory_ordered 1
		.amdhsa_forward_progress 1
		.amdhsa_shared_vgpr_count 0
		.amdhsa_exception_fp_ieee_invalid_op 0
		.amdhsa_exception_fp_denorm_src 0
		.amdhsa_exception_fp_ieee_div_zero 0
		.amdhsa_exception_fp_ieee_overflow 0
		.amdhsa_exception_fp_ieee_underflow 0
		.amdhsa_exception_fp_ieee_inexact 0
		.amdhsa_exception_int_div_zero 0
	.end_amdhsa_kernel
	.section	.text._ZN7rocprim17ROCPRIM_400000_NS6detail17trampoline_kernelINS0_14default_configENS1_36segmented_radix_sort_config_selectorIalEEZNS1_25segmented_radix_sort_implIS3_Lb1EPKaPaPKlPlN2at6native12_GLOBAL__N_18offset_tEEE10hipError_tPvRmT1_PNSt15iterator_traitsISK_E10value_typeET2_T3_PNSL_ISQ_E10value_typeET4_jRbjT5_SW_jjP12ihipStream_tbEUlT_E0_NS1_11comp_targetILNS1_3genE9ELNS1_11target_archE1100ELNS1_3gpuE3ELNS1_3repE0EEENS1_60segmented_radix_sort_warp_sort_medium_config_static_selectorELNS0_4arch9wavefront6targetE0EEEvSK_,"axG",@progbits,_ZN7rocprim17ROCPRIM_400000_NS6detail17trampoline_kernelINS0_14default_configENS1_36segmented_radix_sort_config_selectorIalEEZNS1_25segmented_radix_sort_implIS3_Lb1EPKaPaPKlPlN2at6native12_GLOBAL__N_18offset_tEEE10hipError_tPvRmT1_PNSt15iterator_traitsISK_E10value_typeET2_T3_PNSL_ISQ_E10value_typeET4_jRbjT5_SW_jjP12ihipStream_tbEUlT_E0_NS1_11comp_targetILNS1_3genE9ELNS1_11target_archE1100ELNS1_3gpuE3ELNS1_3repE0EEENS1_60segmented_radix_sort_warp_sort_medium_config_static_selectorELNS0_4arch9wavefront6targetE0EEEvSK_,comdat
.Lfunc_end305:
	.size	_ZN7rocprim17ROCPRIM_400000_NS6detail17trampoline_kernelINS0_14default_configENS1_36segmented_radix_sort_config_selectorIalEEZNS1_25segmented_radix_sort_implIS3_Lb1EPKaPaPKlPlN2at6native12_GLOBAL__N_18offset_tEEE10hipError_tPvRmT1_PNSt15iterator_traitsISK_E10value_typeET2_T3_PNSL_ISQ_E10value_typeET4_jRbjT5_SW_jjP12ihipStream_tbEUlT_E0_NS1_11comp_targetILNS1_3genE9ELNS1_11target_archE1100ELNS1_3gpuE3ELNS1_3repE0EEENS1_60segmented_radix_sort_warp_sort_medium_config_static_selectorELNS0_4arch9wavefront6targetE0EEEvSK_, .Lfunc_end305-_ZN7rocprim17ROCPRIM_400000_NS6detail17trampoline_kernelINS0_14default_configENS1_36segmented_radix_sort_config_selectorIalEEZNS1_25segmented_radix_sort_implIS3_Lb1EPKaPaPKlPlN2at6native12_GLOBAL__N_18offset_tEEE10hipError_tPvRmT1_PNSt15iterator_traitsISK_E10value_typeET2_T3_PNSL_ISQ_E10value_typeET4_jRbjT5_SW_jjP12ihipStream_tbEUlT_E0_NS1_11comp_targetILNS1_3genE9ELNS1_11target_archE1100ELNS1_3gpuE3ELNS1_3repE0EEENS1_60segmented_radix_sort_warp_sort_medium_config_static_selectorELNS0_4arch9wavefront6targetE0EEEvSK_
                                        ; -- End function
	.set _ZN7rocprim17ROCPRIM_400000_NS6detail17trampoline_kernelINS0_14default_configENS1_36segmented_radix_sort_config_selectorIalEEZNS1_25segmented_radix_sort_implIS3_Lb1EPKaPaPKlPlN2at6native12_GLOBAL__N_18offset_tEEE10hipError_tPvRmT1_PNSt15iterator_traitsISK_E10value_typeET2_T3_PNSL_ISQ_E10value_typeET4_jRbjT5_SW_jjP12ihipStream_tbEUlT_E0_NS1_11comp_targetILNS1_3genE9ELNS1_11target_archE1100ELNS1_3gpuE3ELNS1_3repE0EEENS1_60segmented_radix_sort_warp_sort_medium_config_static_selectorELNS0_4arch9wavefront6targetE0EEEvSK_.num_vgpr, 0
	.set _ZN7rocprim17ROCPRIM_400000_NS6detail17trampoline_kernelINS0_14default_configENS1_36segmented_radix_sort_config_selectorIalEEZNS1_25segmented_radix_sort_implIS3_Lb1EPKaPaPKlPlN2at6native12_GLOBAL__N_18offset_tEEE10hipError_tPvRmT1_PNSt15iterator_traitsISK_E10value_typeET2_T3_PNSL_ISQ_E10value_typeET4_jRbjT5_SW_jjP12ihipStream_tbEUlT_E0_NS1_11comp_targetILNS1_3genE9ELNS1_11target_archE1100ELNS1_3gpuE3ELNS1_3repE0EEENS1_60segmented_radix_sort_warp_sort_medium_config_static_selectorELNS0_4arch9wavefront6targetE0EEEvSK_.num_agpr, 0
	.set _ZN7rocprim17ROCPRIM_400000_NS6detail17trampoline_kernelINS0_14default_configENS1_36segmented_radix_sort_config_selectorIalEEZNS1_25segmented_radix_sort_implIS3_Lb1EPKaPaPKlPlN2at6native12_GLOBAL__N_18offset_tEEE10hipError_tPvRmT1_PNSt15iterator_traitsISK_E10value_typeET2_T3_PNSL_ISQ_E10value_typeET4_jRbjT5_SW_jjP12ihipStream_tbEUlT_E0_NS1_11comp_targetILNS1_3genE9ELNS1_11target_archE1100ELNS1_3gpuE3ELNS1_3repE0EEENS1_60segmented_radix_sort_warp_sort_medium_config_static_selectorELNS0_4arch9wavefront6targetE0EEEvSK_.numbered_sgpr, 0
	.set _ZN7rocprim17ROCPRIM_400000_NS6detail17trampoline_kernelINS0_14default_configENS1_36segmented_radix_sort_config_selectorIalEEZNS1_25segmented_radix_sort_implIS3_Lb1EPKaPaPKlPlN2at6native12_GLOBAL__N_18offset_tEEE10hipError_tPvRmT1_PNSt15iterator_traitsISK_E10value_typeET2_T3_PNSL_ISQ_E10value_typeET4_jRbjT5_SW_jjP12ihipStream_tbEUlT_E0_NS1_11comp_targetILNS1_3genE9ELNS1_11target_archE1100ELNS1_3gpuE3ELNS1_3repE0EEENS1_60segmented_radix_sort_warp_sort_medium_config_static_selectorELNS0_4arch9wavefront6targetE0EEEvSK_.num_named_barrier, 0
	.set _ZN7rocprim17ROCPRIM_400000_NS6detail17trampoline_kernelINS0_14default_configENS1_36segmented_radix_sort_config_selectorIalEEZNS1_25segmented_radix_sort_implIS3_Lb1EPKaPaPKlPlN2at6native12_GLOBAL__N_18offset_tEEE10hipError_tPvRmT1_PNSt15iterator_traitsISK_E10value_typeET2_T3_PNSL_ISQ_E10value_typeET4_jRbjT5_SW_jjP12ihipStream_tbEUlT_E0_NS1_11comp_targetILNS1_3genE9ELNS1_11target_archE1100ELNS1_3gpuE3ELNS1_3repE0EEENS1_60segmented_radix_sort_warp_sort_medium_config_static_selectorELNS0_4arch9wavefront6targetE0EEEvSK_.private_seg_size, 0
	.set _ZN7rocprim17ROCPRIM_400000_NS6detail17trampoline_kernelINS0_14default_configENS1_36segmented_radix_sort_config_selectorIalEEZNS1_25segmented_radix_sort_implIS3_Lb1EPKaPaPKlPlN2at6native12_GLOBAL__N_18offset_tEEE10hipError_tPvRmT1_PNSt15iterator_traitsISK_E10value_typeET2_T3_PNSL_ISQ_E10value_typeET4_jRbjT5_SW_jjP12ihipStream_tbEUlT_E0_NS1_11comp_targetILNS1_3genE9ELNS1_11target_archE1100ELNS1_3gpuE3ELNS1_3repE0EEENS1_60segmented_radix_sort_warp_sort_medium_config_static_selectorELNS0_4arch9wavefront6targetE0EEEvSK_.uses_vcc, 0
	.set _ZN7rocprim17ROCPRIM_400000_NS6detail17trampoline_kernelINS0_14default_configENS1_36segmented_radix_sort_config_selectorIalEEZNS1_25segmented_radix_sort_implIS3_Lb1EPKaPaPKlPlN2at6native12_GLOBAL__N_18offset_tEEE10hipError_tPvRmT1_PNSt15iterator_traitsISK_E10value_typeET2_T3_PNSL_ISQ_E10value_typeET4_jRbjT5_SW_jjP12ihipStream_tbEUlT_E0_NS1_11comp_targetILNS1_3genE9ELNS1_11target_archE1100ELNS1_3gpuE3ELNS1_3repE0EEENS1_60segmented_radix_sort_warp_sort_medium_config_static_selectorELNS0_4arch9wavefront6targetE0EEEvSK_.uses_flat_scratch, 0
	.set _ZN7rocprim17ROCPRIM_400000_NS6detail17trampoline_kernelINS0_14default_configENS1_36segmented_radix_sort_config_selectorIalEEZNS1_25segmented_radix_sort_implIS3_Lb1EPKaPaPKlPlN2at6native12_GLOBAL__N_18offset_tEEE10hipError_tPvRmT1_PNSt15iterator_traitsISK_E10value_typeET2_T3_PNSL_ISQ_E10value_typeET4_jRbjT5_SW_jjP12ihipStream_tbEUlT_E0_NS1_11comp_targetILNS1_3genE9ELNS1_11target_archE1100ELNS1_3gpuE3ELNS1_3repE0EEENS1_60segmented_radix_sort_warp_sort_medium_config_static_selectorELNS0_4arch9wavefront6targetE0EEEvSK_.has_dyn_sized_stack, 0
	.set _ZN7rocprim17ROCPRIM_400000_NS6detail17trampoline_kernelINS0_14default_configENS1_36segmented_radix_sort_config_selectorIalEEZNS1_25segmented_radix_sort_implIS3_Lb1EPKaPaPKlPlN2at6native12_GLOBAL__N_18offset_tEEE10hipError_tPvRmT1_PNSt15iterator_traitsISK_E10value_typeET2_T3_PNSL_ISQ_E10value_typeET4_jRbjT5_SW_jjP12ihipStream_tbEUlT_E0_NS1_11comp_targetILNS1_3genE9ELNS1_11target_archE1100ELNS1_3gpuE3ELNS1_3repE0EEENS1_60segmented_radix_sort_warp_sort_medium_config_static_selectorELNS0_4arch9wavefront6targetE0EEEvSK_.has_recursion, 0
	.set _ZN7rocprim17ROCPRIM_400000_NS6detail17trampoline_kernelINS0_14default_configENS1_36segmented_radix_sort_config_selectorIalEEZNS1_25segmented_radix_sort_implIS3_Lb1EPKaPaPKlPlN2at6native12_GLOBAL__N_18offset_tEEE10hipError_tPvRmT1_PNSt15iterator_traitsISK_E10value_typeET2_T3_PNSL_ISQ_E10value_typeET4_jRbjT5_SW_jjP12ihipStream_tbEUlT_E0_NS1_11comp_targetILNS1_3genE9ELNS1_11target_archE1100ELNS1_3gpuE3ELNS1_3repE0EEENS1_60segmented_radix_sort_warp_sort_medium_config_static_selectorELNS0_4arch9wavefront6targetE0EEEvSK_.has_indirect_call, 0
	.section	.AMDGPU.csdata,"",@progbits
; Kernel info:
; codeLenInByte = 0
; TotalNumSgprs: 0
; NumVgprs: 0
; ScratchSize: 0
; MemoryBound: 0
; FloatMode: 240
; IeeeMode: 1
; LDSByteSize: 0 bytes/workgroup (compile time only)
; SGPRBlocks: 0
; VGPRBlocks: 0
; NumSGPRsForWavesPerEU: 1
; NumVGPRsForWavesPerEU: 1
; Occupancy: 16
; WaveLimiterHint : 0
; COMPUTE_PGM_RSRC2:SCRATCH_EN: 0
; COMPUTE_PGM_RSRC2:USER_SGPR: 6
; COMPUTE_PGM_RSRC2:TRAP_HANDLER: 0
; COMPUTE_PGM_RSRC2:TGID_X_EN: 1
; COMPUTE_PGM_RSRC2:TGID_Y_EN: 0
; COMPUTE_PGM_RSRC2:TGID_Z_EN: 0
; COMPUTE_PGM_RSRC2:TIDIG_COMP_CNT: 0
	.text
	.p2align	2                               ; -- Begin function _ZN7rocprim17ROCPRIM_400000_NS6detail26segmented_warp_sort_helperINS1_20WarpSortHelperConfigILj32ELj4ELj256EEEalLi256ELb1EvE4sortIPKaPaPKlPlEEvT_T0_T1_T2_jjjjRNS5_12storage_typeE
	.type	_ZN7rocprim17ROCPRIM_400000_NS6detail26segmented_warp_sort_helperINS1_20WarpSortHelperConfigILj32ELj4ELj256EEEalLi256ELb1EvE4sortIPKaPaPKlPlEEvT_T0_T1_T2_jjjjRNS5_12storage_typeE,@function
_ZN7rocprim17ROCPRIM_400000_NS6detail26segmented_warp_sort_helperINS1_20WarpSortHelperConfigILj32ELj4ELj256EEEalLi256ELb1EvE4sortIPKaPaPKlPlEEvT_T0_T1_T2_jjjjRNS5_12storage_typeE: ; @_ZN7rocprim17ROCPRIM_400000_NS6detail26segmented_warp_sort_helperINS1_20WarpSortHelperConfigILj32ELj4ELj256EEEalLi256ELb1EvE4sortIPKaPaPKlPlEEvT_T0_T1_T2_jjjjRNS5_12storage_typeE
; %bb.0:
	s_waitcnt vmcnt(0) expcnt(0) lgkmcnt(0)
	v_mbcnt_lo_u32_b32 v15, -1, 0
	v_add_co_u32 v0, vcc_lo, v0, v8
	v_sub_nc_u32_e32 v14, v9, v8
	v_add_co_ci_u32_e64 v1, null, 0, v1, vcc_lo
	v_lshlrev_b32_e32 v22, 2, v15
	v_mov_b32_e32 v9, 0
	v_mov_b32_e32 v26, 0x80
	;; [unrolled: 1-line block ×4, first 2 shown]
	v_add_co_u32 v0, vcc_lo, v0, v22
	v_add_co_ci_u32_e64 v1, null, 0, v1, vcc_lo
	v_cmp_lt_u32_e32 vcc_lo, v22, v14
	v_mov_b32_e32 v27, 0x80
	s_and_saveexec_b32 s4, vcc_lo
	s_cbranch_execz .LBB306_2
; %bb.1:
	flat_load_ubyte v24, v[0:1]
	v_mov_b32_e32 v26, 0x80
	v_mov_b32_e32 v25, 0x80
	v_mov_b32_e32 v27, 0x80
.LBB306_2:
	s_or_b32 exec_lo, exec_lo, s4
	v_or_b32_e32 v15, 1, v22
	v_cmp_lt_u32_e64 s4, v15, v14
	s_and_saveexec_b32 s5, s4
	s_cbranch_execz .LBB306_4
; %bb.3:
	flat_load_ubyte v25, v[0:1] offset:1
.LBB306_4:
	s_or_b32 exec_lo, exec_lo, s5
	v_or_b32_e32 v15, 2, v22
	v_cmp_lt_u32_e64 s5, v15, v14
	s_and_saveexec_b32 s6, s5
	s_cbranch_execz .LBB306_6
; %bb.5:
	flat_load_ubyte v27, v[0:1] offset:2
.LBB306_6:
	;; [unrolled: 8-line block ×3, first 2 shown]
	s_or_b32 exec_lo, exec_lo, s7
	v_lshlrev_b64 v[0:1], 3, v[8:9]
	v_lshlrev_b32_e32 v23, 3, v22
	; wave barrier
	v_add_co_u32 v4, s7, v4, v0
	v_add_co_ci_u32_e64 v5, null, v5, v1, s7
	v_add_co_u32 v20, s7, v4, v23
	v_add_co_ci_u32_e64 v21, null, 0, v5, s7
                                        ; implicit-def: $vgpr4_vgpr5
	s_and_saveexec_b32 s7, vcc_lo
	s_cbranch_execnz .LBB306_147
; %bb.9:
	s_or_b32 exec_lo, exec_lo, s7
                                        ; implicit-def: $vgpr14_vgpr15
	s_and_saveexec_b32 s7, s4
	s_cbranch_execnz .LBB306_148
.LBB306_10:
	s_or_b32 exec_lo, exec_lo, s7
                                        ; implicit-def: $vgpr18_vgpr19
	s_and_saveexec_b32 s7, s5
	s_cbranch_execnz .LBB306_149
.LBB306_11:
	s_or_b32 exec_lo, exec_lo, s7
                                        ; implicit-def: $vgpr16_vgpr17
	s_and_saveexec_b32 s7, s6
	s_cbranch_execz .LBB306_13
.LBB306_12:
	flat_load_dwordx2 v[16:17], v[20:21] offset:24
.LBB306_13:
	s_or_b32 exec_lo, exec_lo, s7
	v_cmp_ne_u32_e64 s7, 0, v10
	v_cmp_ne_u32_e64 s10, 8, v11
	v_bfe_u32 v20, v31, 10, 10
	v_bfe_u32 v21, v31, 20, 10
	v_and_b32_e32 v9, 0x3ff, v31
	s_or_b32 s7, s7, s10
	; wave barrier
	s_and_saveexec_b32 s10, s7
	s_xor_b32 s16, exec_lo, s10
	s_cbranch_execz .LBB306_75
; %bb.14:
	s_load_dwordx2 s[10:11], s[8:9], 0x0
	v_mov_b32_e32 v28, 0
	v_lshlrev_b32_e64 v10, v10, -1
	s_waitcnt lgkmcnt(0)
	s_cmp_lt_u32 s13, s11
	s_cselect_b32 s7, 14, 20
	s_add_u32 s14, s8, s7
	s_addc_u32 s15, s9, 0
	s_cmp_lt_u32 s12, s10
	global_load_ushort v29, v28, s[14:15]
	s_cselect_b32 s7, 12, 18
	s_mov_b32 s14, exec_lo
	s_add_u32 s10, s8, s7
	s_addc_u32 s11, s9, 0
	global_load_ushort v28, v28, s[10:11]
	s_waitcnt vmcnt(1)
	v_mad_u32_u24 v20, v21, v29, v20
	v_lshlrev_b32_e64 v21, v11, -1
	s_waitcnt vmcnt(0)
	v_mul_lo_u32 v20, v20, v28
	v_xor_b32_e32 v28, v21, v10
	v_add_lshl_u32 v11, v20, v9, 2
	v_cmpx_gt_u32_e32 0x400, v11
	s_cbranch_execz .LBB306_24
; %bb.15:
	v_perm_b32 v9, v27, v26, 0xc0c0004
	v_perm_b32 v10, v25, v24, 0xc0c0004
	;; [unrolled: 1-line block ×3, first 2 shown]
	v_and_b32_e32 v21, v25, v28
	v_and_b32_e32 v24, v24, v28
	v_lshlrev_b32_e32 v9, 16, v9
	s_mov_b32 s11, exec_lo
	v_cmp_gt_i16_sdwa s7, sext(v21), sext(v24) src0_sel:BYTE_0 src1_sel:BYTE_0
	v_or_b32_e32 v10, v10, v9
	v_or_b32_e32 v9, v20, v9
	v_cndmask_b32_e64 v24, v9, v10, s7
	v_lshrrev_b32_e32 v20, 24, v24
	v_lshrrev_b32_e32 v25, 16, v24
	;; [unrolled: 1-line block ×3, first 2 shown]
	v_and_b32_e32 v9, v20, v28
	v_and_b32_e32 v10, v25, v28
	v_mov_b32_e32 v27, v20
	v_bfe_i32 v21, v9, 0, 8
	v_bfe_i32 v30, v10, 0, 8
	v_mov_b32_e32 v9, v18
	v_mov_b32_e32 v10, v19
	v_cmpx_gt_i16_e64 v21, v30
	s_cbranch_execz .LBB306_17
; %bb.16:
	v_mov_b32_e32 v9, v16
	v_mov_b32_e32 v10, v17
	v_mov_b32_e32 v16, v18
	v_mov_b32_e32 v27, v25
	v_mov_b32_e32 v17, v19
	v_mov_b32_e32 v25, v20
	v_mov_b32_e32 v30, v21
.LBB306_17:
	s_or_b32 exec_lo, exec_lo, s11
	v_and_b32_e32 v18, v26, v28
	v_cndmask_b32_e64 v20, v14, v4, s7
	v_cndmask_b32_e64 v21, v15, v5, s7
	v_bfe_i32 v29, v18, 0, 8
	v_mov_b32_e32 v18, v20
	v_mov_b32_e32 v19, v21
	v_cmp_gt_i16_e64 s10, v30, v29
	s_and_saveexec_b32 s11, s10
	s_xor_b32 s10, exec_lo, s11
	s_cbranch_execz .LBB306_19
; %bb.18:
	v_mov_b32_e32 v30, v26
	v_mov_b32_e32 v19, v10
	;; [unrolled: 1-line block ×4, first 2 shown]
	v_and_b32_e32 v29, v25, v28
	v_mov_b32_e32 v10, v21
	v_mov_b32_e32 v26, v25
	;; [unrolled: 1-line block ×3, first 2 shown]
.LBB306_19:
	s_or_b32 exec_lo, exec_lo, s10
	v_perm_b32 v20, v25, v27, 0xc0c0004
	v_perm_b32 v21, v26, v24, 0xc0c0004
	;; [unrolled: 1-line block ×3, first 2 shown]
	v_and_b32_e32 v24, v24, v28
	s_mov_b32 s15, exec_lo
	v_lshlrev_b32_e32 v20, 16, v20
	v_cmp_gt_i16_sdwa s10, sext(v29), sext(v24) src0_sel:BYTE_0 src1_sel:BYTE_0
	v_or_b32_e32 v21, v21, v20
	v_or_b32_e32 v20, v25, v20
	v_cndmask_b32_e64 v24, v20, v21, s10
	v_lshrrev_b32_e32 v30, 24, v24
	v_lshrrev_b32_e32 v27, 16, v24
	;; [unrolled: 1-line block ×3, first 2 shown]
	v_and_b32_e32 v20, v30, v28
	v_and_b32_e32 v21, v27, v28
	v_mov_b32_e32 v26, v30
	v_bfe_i32 v31, v20, 0, 8
	v_bfe_i32 v29, v21, 0, 8
	v_mov_b32_e32 v21, v10
	v_mov_b32_e32 v20, v9
	v_cmpx_gt_i16_e64 v31, v29
	s_cbranch_execz .LBB306_21
; %bb.20:
	v_mov_b32_e32 v21, v17
	v_mov_b32_e32 v20, v16
	;; [unrolled: 1-line block ×7, first 2 shown]
.LBB306_21:
	s_or_b32 exec_lo, exec_lo, s15
	v_cndmask_b32_e64 v9, v5, v15, s7
	v_cndmask_b32_e64 v10, v4, v14, s7
	v_and_b32_e32 v30, v25, v28
	v_cndmask_b32_e64 v5, v9, v19, s10
	v_cndmask_b32_e64 v4, v10, v18, s10
	v_cndmask_b32_e64 v15, v19, v9, s10
	v_cndmask_b32_e64 v14, v18, v10, s10
	v_mov_b32_e32 v18, v20
	v_cmp_gt_i16_sdwa s10, v29, sext(v30) src0_sel:DWORD src1_sel:BYTE_0
	v_mov_b32_e32 v19, v21
	s_and_saveexec_b32 s7, s10
; %bb.22:
	v_mov_b32_e32 v19, v15
	v_mov_b32_e32 v9, v25
	v_swap_b32 v25, v27
	v_mov_b32_e32 v18, v14
	v_mov_b32_e32 v14, v20
	;; [unrolled: 1-line block ×3, first 2 shown]
; %bb.23:
	s_or_b32 exec_lo, exec_lo, s7
.LBB306_24:
	s_or_b32 exec_lo, exec_lo, s14
	v_and_b32_e32 v9, 0xffffff80, v11
	v_or_b32_e32 v10, 4, v22
	v_and_b32_e32 v32, 0x78, v22
	v_perm_b32 v21, v24, v25, 0xc0c0004
	v_perm_b32 v29, v27, v26, 0xc0c0004
	v_sub_nc_u32_e64 v20, 0x400, v9 clamp
	v_add_co_u32 v11, s7, v12, v9
	v_add_co_ci_u32_e64 v12, null, 0, v13, s7
	v_min_u32_e32 v30, v20, v10
	v_and_b32_e32 v13, 4, v22
	v_lshl_or_b32 v21, v29, 16, v21
	s_mov_b32 s10, exec_lo
	v_add_nc_u32_e32 v10, 4, v30
	v_min_u32_e32 v33, v20, v13
	v_sub_nc_u32_e32 v35, v30, v32
	v_min_u32_e32 v31, v20, v10
	v_mad_u64_u32 v[9:10], null, v9, 7, v[11:12]
	v_add_co_u32 v10, null, v11, v22
	v_sub_nc_u32_e32 v13, v31, v30
	v_lshl_add_u32 v12, v22, 3, v9
	v_sub_nc_u32_e64 v34, v33, v13 clamp
	v_min_u32_e32 v13, v33, v35
	ds_write2_b64 v12, v[4:5], v[14:15] offset0:128 offset1:129
	ds_write_b64 v12, v[18:19] offset:1040
	ds_write_b32 v10, v21
	ds_write_b64 v12, v[16:17] offset:1048
	; wave barrier
	v_cmpx_lt_u32_e64 v34, v13
	s_cbranch_execz .LBB306_28
; %bb.25:
	v_add_co_u32 v21, null, v11, v32
	v_add_co_u32 v29, null, v11, v30
	s_mov_b32 s11, 0
	.p2align	6
.LBB306_26:                             ; =>This Inner Loop Header: Depth=1
	v_add_nc_u32_e32 v35, v13, v34
	v_lshrrev_b32_e32 v35, 1, v35
	v_not_b32_e32 v36, v35
	v_add_nc_u32_e32 v37, v21, v35
	v_add_nc_u32_e32 v38, 1, v35
	v_add3_u32 v36, v33, v36, v29
	ds_read_u8 v37, v37
	ds_read_u8 v36, v36
	s_waitcnt lgkmcnt(1)
	v_and_b32_e32 v37, v37, v28
	s_waitcnt lgkmcnt(0)
	v_and_b32_e32 v36, v36, v28
	v_cmp_gt_i16_sdwa s7, sext(v36), sext(v37) src0_sel:BYTE_0 src1_sel:BYTE_0
	v_cndmask_b32_e64 v13, v13, v35, s7
	v_cndmask_b32_e64 v34, v38, v34, s7
	v_cmp_ge_u32_e64 s7, v34, v13
	s_or_b32 s11, s7, s11
	s_andn2_b32 exec_lo, exec_lo, s11
	s_cbranch_execnz .LBB306_26
; %bb.27:
	s_or_b32 exec_lo, exec_lo, s11
.LBB306_28:
	s_or_b32 exec_lo, exec_lo, s10
	v_add_nc_u32_e32 v35, v30, v33
	v_add_nc_u32_e32 v33, v34, v32
	;; [unrolled: 1-line block ×5, first 2 shown]
	v_sub_nc_u32_e32 v32, v35, v34
	v_cmp_le_u32_e64 s7, v33, v30
	v_add_nc_u32_e32 v12, 0x418, v12
	v_cmp_le_u32_e64 s10, v32, v31
	s_or_b32 s7, s7, s10
	s_and_saveexec_b32 s17, s7
	s_cbranch_execz .LBB306_34
; %bb.29:
	v_cmp_lt_u32_e64 s7, v33, v30
                                        ; implicit-def: $vgpr24
	s_and_saveexec_b32 s10, s7
; %bb.30:
	v_add_nc_u32_e32 v4, v11, v33
	ds_read_u8 v24, v4
; %bb.31:
	s_or_b32 exec_lo, exec_lo, s10
	v_cmp_ge_u32_e64 s10, v32, v31
	s_mov_b32 s14, exec_lo
                                        ; implicit-def: $vgpr25
	v_cmpx_lt_u32_e64 v32, v31
; %bb.32:
	v_add_nc_u32_e32 v4, v11, v32
	ds_read_u8 v25, v4
; %bb.33:
	s_or_b32 exec_lo, exec_lo, s14
	s_waitcnt lgkmcnt(0)
	v_and_b32_e32 v4, v25, v28
	v_and_b32_e32 v5, v24, v28
	v_cmp_le_i16_sdwa s11, sext(v4), sext(v5) src0_sel:BYTE_0 src1_sel:BYTE_0
	s_and_b32 s7, s7, s11
	s_or_b32 s7, s10, s7
	v_cndmask_b32_e64 v4, v32, v33, s7
	v_cndmask_b32_e64 v5, v31, v30, s7
	v_add_nc_u32_e32 v14, 1, v4
	v_add_nc_u32_e32 v5, -1, v5
	v_lshl_add_u32 v4, v4, 3, v9
	v_min_u32_e32 v5, v14, v5
	v_add_nc_u32_e32 v5, v11, v5
	ds_read_u8 v5, v5
	s_waitcnt lgkmcnt(0)
	v_cndmask_b32_e64 v26, v5, v25, s7
	v_cndmask_b32_e64 v27, v24, v5, s7
	;; [unrolled: 1-line block ×5, first 2 shown]
	v_and_b32_e32 v15, v26, v28
	v_and_b32_e32 v16, v27, v28
	v_cmp_lt_u32_e64 s10, v5, v30
	v_cmp_ge_u32_e64 s11, v14, v31
	v_cmp_le_i16_sdwa s14, sext(v15), sext(v16) src0_sel:BYTE_0 src1_sel:BYTE_0
	s_and_b32 s10, s10, s14
	s_or_b32 s10, s11, s10
	v_cndmask_b32_e64 v15, v14, v5, s10
	v_cndmask_b32_e64 v16, v31, v30, s10
	;; [unrolled: 1-line block ×3, first 2 shown]
	v_add_nc_u32_e32 v17, 1, v15
	v_add_nc_u32_e32 v16, -1, v16
	v_cndmask_b32_e64 v5, v5, v17, s10
	v_min_u32_e32 v16, v17, v16
	v_cndmask_b32_e64 v14, v17, v14, s10
	v_cmp_lt_u32_e64 s11, v5, v30
	v_add_nc_u32_e32 v16, v11, v16
	v_cmp_ge_u32_e64 s14, v14, v31
	ds_read_u8 v16, v16
	s_waitcnt lgkmcnt(0)
	v_cndmask_b32_e64 v32, v16, v26, s10
	v_cndmask_b32_e64 v33, v27, v16, s10
	v_and_b32_e32 v16, v32, v28
	v_and_b32_e32 v18, v33, v28
	v_cmp_le_i16_sdwa s15, sext(v16), sext(v18) src0_sel:BYTE_0 src1_sel:BYTE_0
	s_and_b32 s11, s11, s15
	s_or_b32 s11, s14, s11
	v_cndmask_b32_e64 v16, v14, v5, s11
	v_cndmask_b32_e64 v17, v31, v30, s11
	;; [unrolled: 1-line block ×3, first 2 shown]
	v_add_nc_u32_e32 v18, 1, v16
	v_add_nc_u32_e32 v17, -1, v17
	v_lshl_add_u32 v16, v16, 3, v9
	v_cndmask_b32_e64 v5, v5, v18, s11
	v_min_u32_e32 v17, v18, v17
	v_cndmask_b32_e64 v14, v18, v14, s11
	v_cmp_lt_u32_e64 s14, v5, v30
	v_add_nc_u32_e32 v17, v11, v17
	v_cmp_ge_u32_e64 s15, v14, v31
	ds_read_u8 v17, v17
	s_waitcnt lgkmcnt(0)
	v_cndmask_b32_e64 v34, v17, v32, s11
	v_cndmask_b32_e64 v35, v33, v17, s11
	v_and_b32_e32 v17, v34, v28
	v_and_b32_e32 v19, v35, v28
	v_cmp_le_i16_sdwa s18, sext(v17), sext(v19) src0_sel:BYTE_0 src1_sel:BYTE_0
	s_and_b32 s14, s14, s18
	s_or_b32 s14, s15, s14
	v_cndmask_b32_e64 v5, v14, v5, s14
	v_lshl_add_u32 v14, v15, 3, v9
	v_cndmask_b32_e64 v26, v34, v35, s14
	v_lshl_add_u32 v17, v5, 3, v9
	ds_read_b64 v[4:5], v4 offset:1024
	ds_read_b64 v[14:15], v14 offset:1024
	;; [unrolled: 1-line block ×4, first 2 shown]
.LBB306_34:
	s_or_b32 exec_lo, exec_lo, s17
	v_and_b32_e32 v35, 0x70, v22
	v_and_b32_e32 v31, 12, v22
	s_mov_b32 s10, exec_lo
	; wave barrier
	v_or_b32_e32 v30, 8, v35
	v_min_u32_e32 v36, v20, v31
	ds_write_b8 v10, v24
	s_waitcnt lgkmcnt(4)
	ds_write_b64 v29, v[4:5]
	ds_write_b8 v10, v25 offset:1
	s_waitcnt lgkmcnt(5)
	ds_write_b64 v21, v[14:15]
	ds_write_b8 v10, v27 offset:2
	;; [unrolled: 3-line block ×3, first 2 shown]
	s_waitcnt lgkmcnt(7)
	ds_write_b64 v12, v[16:17]
	v_min_u32_e32 v33, v20, v30
	; wave barrier
	v_add_nc_u32_e32 v30, 8, v33
	v_sub_nc_u32_e32 v31, v33, v35
	v_min_u32_e32 v34, v20, v30
	v_sub_nc_u32_e32 v30, v34, v33
	v_sub_nc_u32_e64 v37, v36, v30 clamp
	v_min_u32_e32 v30, v36, v31
	v_cmpx_lt_u32_e64 v37, v30
	s_cbranch_execz .LBB306_38
; %bb.35:
	v_add_co_u32 v31, null, v11, v35
	v_add_co_u32 v32, null, v11, v33
	s_mov_b32 s11, 0
	.p2align	6
.LBB306_36:                             ; =>This Inner Loop Header: Depth=1
	v_add_nc_u32_e32 v38, v30, v37
	v_lshrrev_b32_e32 v38, 1, v38
	v_not_b32_e32 v39, v38
	v_add_nc_u32_e32 v48, v31, v38
	v_add_nc_u32_e32 v49, 1, v38
	v_add3_u32 v39, v36, v39, v32
	ds_read_u8 v48, v48
	ds_read_u8 v39, v39
	s_waitcnt lgkmcnt(1)
	v_and_b32_e32 v48, v48, v28
	s_waitcnt lgkmcnt(0)
	v_and_b32_e32 v39, v39, v28
	v_cmp_gt_i16_sdwa s7, sext(v39), sext(v48) src0_sel:BYTE_0 src1_sel:BYTE_0
	v_cndmask_b32_e64 v30, v30, v38, s7
	v_cndmask_b32_e64 v37, v49, v37, s7
	v_cmp_ge_u32_e64 s7, v37, v30
	s_or_b32 s11, s7, s11
	s_andn2_b32 exec_lo, exec_lo, s11
	s_cbranch_execnz .LBB306_36
; %bb.37:
	s_or_b32 exec_lo, exec_lo, s11
.LBB306_38:
	s_or_b32 exec_lo, exec_lo, s10
	v_add_nc_u32_e32 v38, v33, v36
	v_add_nc_u32_e32 v36, v37, v35
	;; [unrolled: 1-line block ×5, first 2 shown]
	v_sub_nc_u32_e32 v35, v38, v37
	v_cmp_le_u32_e64 s7, v36, v33
	v_cmp_le_u32_e64 s10, v35, v34
	s_or_b32 s7, s7, s10
	s_and_saveexec_b32 s17, s7
	s_cbranch_execz .LBB306_44
; %bb.39:
	v_cmp_lt_u32_e64 s7, v36, v33
                                        ; implicit-def: $vgpr24
	s_and_saveexec_b32 s10, s7
; %bb.40:
	v_add_nc_u32_e32 v4, v11, v36
	ds_read_u8 v24, v4
; %bb.41:
	s_or_b32 exec_lo, exec_lo, s10
	v_cmp_ge_u32_e64 s10, v35, v34
	s_mov_b32 s14, exec_lo
                                        ; implicit-def: $vgpr25
	v_cmpx_lt_u32_e64 v35, v34
; %bb.42:
	v_add_nc_u32_e32 v4, v11, v35
	ds_read_u8 v25, v4
; %bb.43:
	s_or_b32 exec_lo, exec_lo, s14
	s_waitcnt lgkmcnt(0)
	v_and_b32_e32 v4, v25, v28
	v_and_b32_e32 v5, v24, v28
	v_cmp_le_i16_sdwa s11, sext(v4), sext(v5) src0_sel:BYTE_0 src1_sel:BYTE_0
	s_and_b32 s7, s7, s11
	s_or_b32 s7, s10, s7
	v_cndmask_b32_e64 v4, v35, v36, s7
	v_cndmask_b32_e64 v5, v34, v33, s7
	v_add_nc_u32_e32 v14, 1, v4
	v_add_nc_u32_e32 v5, -1, v5
	v_lshl_add_u32 v4, v4, 3, v9
	v_min_u32_e32 v5, v14, v5
	v_add_nc_u32_e32 v5, v11, v5
	ds_read_u8 v5, v5
	s_waitcnt lgkmcnt(0)
	v_cndmask_b32_e64 v26, v5, v25, s7
	v_cndmask_b32_e64 v27, v24, v5, s7
	;; [unrolled: 1-line block ×5, first 2 shown]
	v_and_b32_e32 v15, v26, v28
	v_and_b32_e32 v16, v27, v28
	v_cmp_lt_u32_e64 s10, v5, v33
	v_cmp_ge_u32_e64 s11, v14, v34
	v_cmp_le_i16_sdwa s14, sext(v15), sext(v16) src0_sel:BYTE_0 src1_sel:BYTE_0
	s_and_b32 s10, s10, s14
	s_or_b32 s10, s11, s10
	v_cndmask_b32_e64 v15, v14, v5, s10
	v_cndmask_b32_e64 v16, v34, v33, s10
	;; [unrolled: 1-line block ×3, first 2 shown]
	v_add_nc_u32_e32 v17, 1, v15
	v_add_nc_u32_e32 v16, -1, v16
	v_cndmask_b32_e64 v5, v5, v17, s10
	v_min_u32_e32 v16, v17, v16
	v_cndmask_b32_e64 v14, v17, v14, s10
	v_cmp_lt_u32_e64 s11, v5, v33
	v_add_nc_u32_e32 v16, v11, v16
	v_cmp_ge_u32_e64 s14, v14, v34
	ds_read_u8 v16, v16
	s_waitcnt lgkmcnt(0)
	v_cndmask_b32_e64 v35, v16, v26, s10
	v_cndmask_b32_e64 v36, v27, v16, s10
	v_and_b32_e32 v16, v35, v28
	v_and_b32_e32 v18, v36, v28
	v_cmp_le_i16_sdwa s15, sext(v16), sext(v18) src0_sel:BYTE_0 src1_sel:BYTE_0
	s_and_b32 s11, s11, s15
	s_or_b32 s11, s14, s11
	v_cndmask_b32_e64 v16, v14, v5, s11
	v_cndmask_b32_e64 v17, v34, v33, s11
	;; [unrolled: 1-line block ×3, first 2 shown]
	v_add_nc_u32_e32 v18, 1, v16
	v_add_nc_u32_e32 v17, -1, v17
	v_lshl_add_u32 v16, v16, 3, v9
	v_cndmask_b32_e64 v5, v5, v18, s11
	v_min_u32_e32 v17, v18, v17
	v_cndmask_b32_e64 v14, v18, v14, s11
	v_cmp_lt_u32_e64 s14, v5, v33
	v_add_nc_u32_e32 v17, v11, v17
	v_cmp_ge_u32_e64 s15, v14, v34
	ds_read_u8 v17, v17
	s_waitcnt lgkmcnt(0)
	v_cndmask_b32_e64 v37, v17, v35, s11
	v_cndmask_b32_e64 v38, v36, v17, s11
	v_and_b32_e32 v17, v37, v28
	v_and_b32_e32 v19, v38, v28
	v_cmp_le_i16_sdwa s18, sext(v17), sext(v19) src0_sel:BYTE_0 src1_sel:BYTE_0
	s_and_b32 s14, s14, s18
	s_or_b32 s14, s15, s14
	v_cndmask_b32_e64 v5, v14, v5, s14
	v_lshl_add_u32 v14, v15, 3, v9
	v_cndmask_b32_e64 v26, v37, v38, s14
	v_lshl_add_u32 v17, v5, 3, v9
	ds_read_b64 v[4:5], v4 offset:1024
	ds_read_b64 v[14:15], v14 offset:1024
	;; [unrolled: 1-line block ×4, first 2 shown]
.LBB306_44:
	s_or_b32 exec_lo, exec_lo, s17
	v_and_b32_e32 v35, 0x60, v22
	v_and_b32_e32 v36, 28, v22
	s_mov_b32 s10, exec_lo
	; wave barrier
	v_or_b32_e32 v33, 16, v35
	v_min_u32_e32 v36, v20, v36
	ds_write_b8 v10, v24
	s_waitcnt lgkmcnt(4)
	ds_write_b64 v29, v[4:5]
	ds_write_b8 v32, v25
	s_waitcnt lgkmcnt(5)
	ds_write_b64 v21, v[14:15]
	;; [unrolled: 3-line block ×4, first 2 shown]
	v_min_u32_e32 v33, v20, v33
	; wave barrier
	v_add_nc_u32_e32 v34, 16, v33
	v_sub_nc_u32_e32 v38, v33, v35
	v_min_u32_e32 v34, v20, v34
	v_min_u32_e32 v38, v36, v38
	v_sub_nc_u32_e32 v37, v34, v33
	v_sub_nc_u32_e64 v37, v36, v37 clamp
	v_cmpx_lt_u32_e64 v37, v38
	s_cbranch_execz .LBB306_48
; %bb.45:
	v_add_co_u32 v39, null, v11, v35
	v_add_co_u32 v48, null, v11, v33
	s_mov_b32 s11, 0
	.p2align	6
.LBB306_46:                             ; =>This Inner Loop Header: Depth=1
	v_add_nc_u32_e32 v49, v38, v37
	v_lshrrev_b32_e32 v49, 1, v49
	v_not_b32_e32 v50, v49
	v_add_nc_u32_e32 v51, v39, v49
	v_add_nc_u32_e32 v52, 1, v49
	v_add3_u32 v50, v36, v50, v48
	ds_read_u8 v51, v51
	ds_read_u8 v50, v50
	s_waitcnt lgkmcnt(1)
	v_and_b32_e32 v51, v51, v28
	s_waitcnt lgkmcnt(0)
	v_and_b32_e32 v50, v50, v28
	v_cmp_gt_i16_sdwa s7, sext(v50), sext(v51) src0_sel:BYTE_0 src1_sel:BYTE_0
	v_cndmask_b32_e64 v38, v38, v49, s7
	v_cndmask_b32_e64 v37, v52, v37, s7
	v_cmp_ge_u32_e64 s7, v37, v38
	s_or_b32 s11, s7, s11
	s_andn2_b32 exec_lo, exec_lo, s11
	s_cbranch_execnz .LBB306_46
; %bb.47:
	s_or_b32 exec_lo, exec_lo, s11
.LBB306_48:
	s_or_b32 exec_lo, exec_lo, s10
	v_add_nc_u32_e32 v38, v33, v36
	v_add_nc_u32_e32 v36, v37, v35
	v_sub_nc_u32_e32 v35, v38, v37
	v_cmp_le_u32_e64 s7, v36, v33
	v_cmp_le_u32_e64 s10, v35, v34
	s_or_b32 s7, s7, s10
	s_and_saveexec_b32 s17, s7
	s_cbranch_execz .LBB306_54
; %bb.49:
	v_cmp_lt_u32_e64 s7, v36, v33
                                        ; implicit-def: $vgpr24
	s_and_saveexec_b32 s10, s7
; %bb.50:
	v_add_nc_u32_e32 v4, v11, v36
	ds_read_u8 v24, v4
; %bb.51:
	s_or_b32 exec_lo, exec_lo, s10
	v_cmp_ge_u32_e64 s10, v35, v34
	s_mov_b32 s14, exec_lo
                                        ; implicit-def: $vgpr25
	v_cmpx_lt_u32_e64 v35, v34
; %bb.52:
	v_add_nc_u32_e32 v4, v11, v35
	ds_read_u8 v25, v4
; %bb.53:
	s_or_b32 exec_lo, exec_lo, s14
	s_waitcnt lgkmcnt(0)
	v_and_b32_e32 v4, v25, v28
	v_and_b32_e32 v5, v24, v28
	v_cmp_le_i16_sdwa s11, sext(v4), sext(v5) src0_sel:BYTE_0 src1_sel:BYTE_0
	s_and_b32 s7, s7, s11
	s_or_b32 s7, s10, s7
	v_cndmask_b32_e64 v4, v35, v36, s7
	v_cndmask_b32_e64 v5, v34, v33, s7
	v_add_nc_u32_e32 v14, 1, v4
	v_add_nc_u32_e32 v5, -1, v5
	v_lshl_add_u32 v4, v4, 3, v9
	v_min_u32_e32 v5, v14, v5
	v_add_nc_u32_e32 v5, v11, v5
	ds_read_u8 v5, v5
	s_waitcnt lgkmcnt(0)
	v_cndmask_b32_e64 v26, v5, v25, s7
	v_cndmask_b32_e64 v27, v24, v5, s7
	;; [unrolled: 1-line block ×5, first 2 shown]
	v_and_b32_e32 v15, v26, v28
	v_and_b32_e32 v16, v27, v28
	v_cmp_lt_u32_e64 s10, v5, v33
	v_cmp_ge_u32_e64 s11, v14, v34
	v_cmp_le_i16_sdwa s14, sext(v15), sext(v16) src0_sel:BYTE_0 src1_sel:BYTE_0
	s_and_b32 s10, s10, s14
	s_or_b32 s10, s11, s10
	v_cndmask_b32_e64 v15, v14, v5, s10
	v_cndmask_b32_e64 v16, v34, v33, s10
	;; [unrolled: 1-line block ×3, first 2 shown]
	v_add_nc_u32_e32 v17, 1, v15
	v_add_nc_u32_e32 v16, -1, v16
	v_cndmask_b32_e64 v5, v5, v17, s10
	v_min_u32_e32 v16, v17, v16
	v_cndmask_b32_e64 v14, v17, v14, s10
	v_cmp_lt_u32_e64 s11, v5, v33
	v_add_nc_u32_e32 v16, v11, v16
	v_cmp_ge_u32_e64 s14, v14, v34
	ds_read_u8 v16, v16
	s_waitcnt lgkmcnt(0)
	v_cndmask_b32_e64 v35, v16, v26, s10
	v_cndmask_b32_e64 v36, v27, v16, s10
	v_and_b32_e32 v16, v35, v28
	v_and_b32_e32 v18, v36, v28
	v_cmp_le_i16_sdwa s15, sext(v16), sext(v18) src0_sel:BYTE_0 src1_sel:BYTE_0
	s_and_b32 s11, s11, s15
	s_or_b32 s11, s14, s11
	v_cndmask_b32_e64 v16, v14, v5, s11
	v_cndmask_b32_e64 v17, v34, v33, s11
	;; [unrolled: 1-line block ×3, first 2 shown]
	v_add_nc_u32_e32 v18, 1, v16
	v_add_nc_u32_e32 v17, -1, v17
	v_lshl_add_u32 v16, v16, 3, v9
	v_cndmask_b32_e64 v5, v5, v18, s11
	v_min_u32_e32 v17, v18, v17
	v_cndmask_b32_e64 v14, v18, v14, s11
	v_cmp_lt_u32_e64 s14, v5, v33
	v_add_nc_u32_e32 v17, v11, v17
	v_cmp_ge_u32_e64 s15, v14, v34
	ds_read_u8 v17, v17
	s_waitcnt lgkmcnt(0)
	v_cndmask_b32_e64 v37, v17, v35, s11
	v_cndmask_b32_e64 v38, v36, v17, s11
	v_and_b32_e32 v17, v37, v28
	v_and_b32_e32 v19, v38, v28
	v_cmp_le_i16_sdwa s18, sext(v17), sext(v19) src0_sel:BYTE_0 src1_sel:BYTE_0
	s_and_b32 s14, s14, s18
	s_or_b32 s14, s15, s14
	v_cndmask_b32_e64 v5, v14, v5, s14
	v_lshl_add_u32 v14, v15, 3, v9
	v_cndmask_b32_e64 v26, v37, v38, s14
	v_lshl_add_u32 v17, v5, 3, v9
	ds_read_b64 v[4:5], v4 offset:1024
	ds_read_b64 v[14:15], v14 offset:1024
	;; [unrolled: 1-line block ×4, first 2 shown]
.LBB306_54:
	s_or_b32 exec_lo, exec_lo, s17
	v_and_b32_e32 v35, 64, v22
	v_and_b32_e32 v36, 60, v22
	s_mov_b32 s10, exec_lo
	; wave barrier
	v_or_b32_e32 v33, 32, v35
	v_min_u32_e32 v36, v20, v36
	ds_write_b8 v10, v24
	s_waitcnt lgkmcnt(4)
	ds_write_b64 v29, v[4:5]
	ds_write_b8 v32, v25
	s_waitcnt lgkmcnt(5)
	ds_write_b64 v21, v[14:15]
	;; [unrolled: 3-line block ×4, first 2 shown]
	v_min_u32_e32 v33, v20, v33
	; wave barrier
	v_add_nc_u32_e32 v34, 32, v33
	v_sub_nc_u32_e32 v38, v33, v35
	v_min_u32_e32 v34, v20, v34
	v_min_u32_e32 v38, v36, v38
	v_sub_nc_u32_e32 v37, v34, v33
	v_sub_nc_u32_e64 v37, v36, v37 clamp
	v_cmpx_lt_u32_e64 v37, v38
	s_cbranch_execz .LBB306_58
; %bb.55:
	v_add_co_u32 v39, null, v11, v35
	v_add_co_u32 v48, null, v11, v33
	s_mov_b32 s11, 0
	.p2align	6
.LBB306_56:                             ; =>This Inner Loop Header: Depth=1
	v_add_nc_u32_e32 v49, v38, v37
	v_lshrrev_b32_e32 v49, 1, v49
	v_not_b32_e32 v50, v49
	v_add_nc_u32_e32 v51, v39, v49
	v_add_nc_u32_e32 v52, 1, v49
	v_add3_u32 v50, v36, v50, v48
	ds_read_u8 v51, v51
	ds_read_u8 v50, v50
	s_waitcnt lgkmcnt(1)
	v_and_b32_e32 v51, v51, v28
	s_waitcnt lgkmcnt(0)
	v_and_b32_e32 v50, v50, v28
	v_cmp_gt_i16_sdwa s7, sext(v50), sext(v51) src0_sel:BYTE_0 src1_sel:BYTE_0
	v_cndmask_b32_e64 v38, v38, v49, s7
	v_cndmask_b32_e64 v37, v52, v37, s7
	v_cmp_ge_u32_e64 s7, v37, v38
	s_or_b32 s11, s7, s11
	s_andn2_b32 exec_lo, exec_lo, s11
	s_cbranch_execnz .LBB306_56
; %bb.57:
	s_or_b32 exec_lo, exec_lo, s11
.LBB306_58:
	s_or_b32 exec_lo, exec_lo, s10
	v_add_nc_u32_e32 v38, v33, v36
	v_add_nc_u32_e32 v36, v37, v35
	v_sub_nc_u32_e32 v35, v38, v37
	v_cmp_le_u32_e64 s7, v36, v33
	v_cmp_le_u32_e64 s10, v35, v34
	s_or_b32 s7, s7, s10
	s_and_saveexec_b32 s17, s7
	s_cbranch_execz .LBB306_64
; %bb.59:
	v_cmp_lt_u32_e64 s7, v36, v33
                                        ; implicit-def: $vgpr24
	s_and_saveexec_b32 s10, s7
; %bb.60:
	v_add_nc_u32_e32 v4, v11, v36
	ds_read_u8 v24, v4
; %bb.61:
	s_or_b32 exec_lo, exec_lo, s10
	v_cmp_ge_u32_e64 s10, v35, v34
	s_mov_b32 s14, exec_lo
                                        ; implicit-def: $vgpr25
	v_cmpx_lt_u32_e64 v35, v34
; %bb.62:
	v_add_nc_u32_e32 v4, v11, v35
	ds_read_u8 v25, v4
; %bb.63:
	s_or_b32 exec_lo, exec_lo, s14
	s_waitcnt lgkmcnt(0)
	v_and_b32_e32 v4, v25, v28
	v_and_b32_e32 v5, v24, v28
	v_cmp_le_i16_sdwa s11, sext(v4), sext(v5) src0_sel:BYTE_0 src1_sel:BYTE_0
	s_and_b32 s7, s7, s11
	s_or_b32 s7, s10, s7
	v_cndmask_b32_e64 v4, v35, v36, s7
	v_cndmask_b32_e64 v5, v34, v33, s7
	v_add_nc_u32_e32 v14, 1, v4
	v_add_nc_u32_e32 v5, -1, v5
	v_lshl_add_u32 v4, v4, 3, v9
	v_min_u32_e32 v5, v14, v5
	v_add_nc_u32_e32 v5, v11, v5
	ds_read_u8 v5, v5
	s_waitcnt lgkmcnt(0)
	v_cndmask_b32_e64 v26, v5, v25, s7
	v_cndmask_b32_e64 v27, v24, v5, s7
	;; [unrolled: 1-line block ×5, first 2 shown]
	v_and_b32_e32 v15, v26, v28
	v_and_b32_e32 v16, v27, v28
	v_cmp_lt_u32_e64 s10, v5, v33
	v_cmp_ge_u32_e64 s11, v14, v34
	v_cmp_le_i16_sdwa s14, sext(v15), sext(v16) src0_sel:BYTE_0 src1_sel:BYTE_0
	s_and_b32 s10, s10, s14
	s_or_b32 s10, s11, s10
	v_cndmask_b32_e64 v15, v14, v5, s10
	v_cndmask_b32_e64 v16, v34, v33, s10
	;; [unrolled: 1-line block ×3, first 2 shown]
	v_add_nc_u32_e32 v17, 1, v15
	v_add_nc_u32_e32 v16, -1, v16
	v_cndmask_b32_e64 v5, v5, v17, s10
	v_min_u32_e32 v16, v17, v16
	v_cndmask_b32_e64 v14, v17, v14, s10
	v_cmp_lt_u32_e64 s11, v5, v33
	v_add_nc_u32_e32 v16, v11, v16
	v_cmp_ge_u32_e64 s14, v14, v34
	ds_read_u8 v16, v16
	s_waitcnt lgkmcnt(0)
	v_cndmask_b32_e64 v35, v16, v26, s10
	v_cndmask_b32_e64 v36, v27, v16, s10
	v_and_b32_e32 v16, v35, v28
	v_and_b32_e32 v18, v36, v28
	v_cmp_le_i16_sdwa s15, sext(v16), sext(v18) src0_sel:BYTE_0 src1_sel:BYTE_0
	s_and_b32 s11, s11, s15
	s_or_b32 s11, s14, s11
	v_cndmask_b32_e64 v16, v14, v5, s11
	v_cndmask_b32_e64 v17, v34, v33, s11
	;; [unrolled: 1-line block ×3, first 2 shown]
	v_add_nc_u32_e32 v18, 1, v16
	v_add_nc_u32_e32 v17, -1, v17
	v_lshl_add_u32 v16, v16, 3, v9
	v_cndmask_b32_e64 v5, v5, v18, s11
	v_min_u32_e32 v17, v18, v17
	v_cndmask_b32_e64 v14, v18, v14, s11
	v_cmp_lt_u32_e64 s14, v5, v33
	v_add_nc_u32_e32 v17, v11, v17
	v_cmp_ge_u32_e64 s15, v14, v34
	ds_read_u8 v17, v17
	s_waitcnt lgkmcnt(0)
	v_cndmask_b32_e64 v37, v17, v35, s11
	v_cndmask_b32_e64 v38, v36, v17, s11
	v_and_b32_e32 v17, v37, v28
	v_and_b32_e32 v19, v38, v28
	v_cmp_le_i16_sdwa s18, sext(v17), sext(v19) src0_sel:BYTE_0 src1_sel:BYTE_0
	s_and_b32 s14, s14, s18
	s_or_b32 s14, s15, s14
	v_cndmask_b32_e64 v5, v14, v5, s14
	v_lshl_add_u32 v14, v15, 3, v9
	v_cndmask_b32_e64 v26, v37, v38, s14
	v_lshl_add_u32 v17, v5, 3, v9
	ds_read_b64 v[4:5], v4 offset:1024
	ds_read_b64 v[14:15], v14 offset:1024
	;; [unrolled: 1-line block ×4, first 2 shown]
.LBB306_64:
	s_or_b32 exec_lo, exec_lo, s17
	v_min_u32_e32 v33, 64, v20
	; wave barrier
	ds_write_b8 v10, v24
	s_waitcnt lgkmcnt(4)
	ds_write_b64 v29, v[4:5]
	s_mov_b32 s10, exec_lo
	v_add_nc_u32_e32 v34, 64, v33
	ds_write_b8 v32, v25
	s_waitcnt lgkmcnt(5)
	ds_write_b64 v21, v[14:15]
	ds_write_b8 v31, v27
	s_waitcnt lgkmcnt(6)
	ds_write_b64 v13, v[18:19]
	;; [unrolled: 3-line block ×3, first 2 shown]
	; wave barrier
	v_min_u32_e32 v34, v20, v34
	v_min_u32_e32 v20, v20, v22
	v_sub_nc_u32_e32 v35, v34, v33
	v_min_u32_e32 v29, v20, v33
	v_sub_nc_u32_e64 v10, v20, v35 clamp
	v_cmpx_lt_u32_e64 v10, v29
	s_cbranch_execz .LBB306_68
; %bb.65:
	v_add_co_u32 v12, null, v11, v33
	s_mov_b32 s11, 0
	.p2align	6
.LBB306_66:                             ; =>This Inner Loop Header: Depth=1
	v_add_nc_u32_e32 v13, v29, v10
	v_lshrrev_b32_e32 v13, 1, v13
	v_not_b32_e32 v21, v13
	v_add_nc_u32_e32 v30, v11, v13
	v_add_nc_u32_e32 v31, 1, v13
	v_add3_u32 v21, v20, v21, v12
	ds_read_u8 v30, v30
	ds_read_u8 v21, v21
	s_waitcnt lgkmcnt(1)
	v_and_b32_e32 v30, v30, v28
	s_waitcnt lgkmcnt(0)
	v_and_b32_e32 v21, v21, v28
	v_cmp_gt_i16_sdwa s7, sext(v21), sext(v30) src0_sel:BYTE_0 src1_sel:BYTE_0
	v_cndmask_b32_e64 v29, v29, v13, s7
	v_cndmask_b32_e64 v10, v31, v10, s7
	v_cmp_ge_u32_e64 s7, v10, v29
	s_or_b32 s11, s7, s11
	s_andn2_b32 exec_lo, exec_lo, s11
	s_cbranch_execnz .LBB306_66
; %bb.67:
	s_or_b32 exec_lo, exec_lo, s11
.LBB306_68:
	s_or_b32 exec_lo, exec_lo, s10
	v_add_nc_u32_e32 v12, v33, v20
	v_cmp_le_u32_e64 s7, v10, v33
	v_sub_nc_u32_e32 v20, v12, v10
	v_cmp_le_u32_e64 s10, v20, v34
	s_or_b32 s7, s7, s10
	s_and_saveexec_b32 s17, s7
	s_cbranch_execz .LBB306_74
; %bb.69:
	v_cmp_lt_u32_e64 s7, v10, v33
                                        ; implicit-def: $vgpr12
	s_and_saveexec_b32 s10, s7
; %bb.70:
	v_add_nc_u32_e32 v4, v11, v10
	ds_read_u8 v12, v4
; %bb.71:
	s_or_b32 exec_lo, exec_lo, s10
	v_cmp_ge_u32_e64 s10, v20, v34
	s_mov_b32 s14, exec_lo
                                        ; implicit-def: $vgpr13
	v_cmpx_lt_u32_e64 v20, v34
; %bb.72:
	v_add_nc_u32_e32 v4, v11, v20
	ds_read_u8 v13, v4
; %bb.73:
	s_or_b32 exec_lo, exec_lo, s14
	s_waitcnt lgkmcnt(0)
	v_and_b32_e32 v4, v13, v28
	v_and_b32_e32 v5, v12, v28
	v_cmp_le_i16_sdwa s11, sext(v4), sext(v5) src0_sel:BYTE_0 src1_sel:BYTE_0
	s_and_b32 s7, s7, s11
	s_or_b32 s7, s10, s7
	v_cndmask_b32_e64 v4, v20, v10, s7
	v_cndmask_b32_e64 v5, v34, v33, s7
	;; [unrolled: 1-line block ×3, first 2 shown]
	v_add_nc_u32_e32 v14, 1, v4
	v_add_nc_u32_e32 v5, -1, v5
	v_lshl_add_u32 v4, v4, 3, v9
	v_min_u32_e32 v5, v14, v5
	v_add_nc_u32_e32 v5, v11, v5
	ds_read_u8 v5, v5
	s_waitcnt lgkmcnt(0)
	v_cndmask_b32_e64 v21, v5, v13, s7
	v_cndmask_b32_e64 v25, v12, v5, s7
	;; [unrolled: 1-line block ×4, first 2 shown]
	v_and_b32_e32 v10, v21, v28
	v_and_b32_e32 v15, v25, v28
	v_cmp_lt_u32_e64 s10, v5, v33
	v_cmp_ge_u32_e64 s11, v14, v34
	v_cmp_le_i16_sdwa s14, sext(v10), sext(v15) src0_sel:BYTE_0 src1_sel:BYTE_0
	s_and_b32 s10, s10, s14
	s_or_b32 s10, s11, s10
	v_cndmask_b32_e64 v10, v14, v5, s10
	v_cndmask_b32_e64 v15, v34, v33, s10
	v_add_nc_u32_e32 v16, 1, v10
	v_add_nc_u32_e32 v15, -1, v15
	v_lshl_add_u32 v10, v10, 3, v9
	v_cndmask_b32_e64 v5, v5, v16, s10
	v_min_u32_e32 v15, v16, v15
	v_cndmask_b32_e64 v14, v16, v14, s10
	v_cmp_lt_u32_e64 s11, v5, v33
	v_add_nc_u32_e32 v15, v11, v15
	v_cmp_ge_u32_e64 s14, v14, v34
	ds_read_u8 v15, v15
	s_waitcnt lgkmcnt(0)
	v_cndmask_b32_e64 v20, v15, v21, s10
	v_cndmask_b32_e64 v26, v25, v15, s10
	;; [unrolled: 1-line block ×3, first 2 shown]
	v_and_b32_e32 v15, v20, v28
	v_and_b32_e32 v17, v26, v28
	v_cmp_le_i16_sdwa s15, sext(v15), sext(v17) src0_sel:BYTE_0 src1_sel:BYTE_0
	s_and_b32 s11, s11, s15
	s_or_b32 s11, s14, s11
	v_cndmask_b32_e64 v15, v14, v5, s11
	v_cndmask_b32_e64 v16, v34, v33, s11
	;; [unrolled: 1-line block ×3, first 2 shown]
	v_add_nc_u32_e32 v17, 1, v15
	v_add_nc_u32_e32 v16, -1, v16
	v_cndmask_b32_e64 v5, v5, v17, s11
	v_min_u32_e32 v16, v17, v16
	v_cndmask_b32_e64 v14, v17, v14, s11
	v_cmp_lt_u32_e64 s14, v5, v33
	v_add_nc_u32_e32 v11, v11, v16
	v_cmp_ge_u32_e64 s15, v14, v34
	ds_read_u8 v11, v11
	s_waitcnt lgkmcnt(0)
	v_cndmask_b32_e64 v29, v11, v20, s11
	v_cndmask_b32_e64 v11, v26, v11, s11
	v_and_b32_e32 v16, v29, v28
	v_and_b32_e32 v18, v11, v28
	v_cmp_le_i16_sdwa s18, sext(v16), sext(v18) src0_sel:BYTE_0 src1_sel:BYTE_0
	v_lshl_add_u32 v16, v15, 3, v9
	s_and_b32 s14, s14, s18
	s_or_b32 s14, s15, s14
	v_cndmask_b32_e64 v5, v14, v5, s14
	v_cndmask_b32_e64 v26, v29, v11, s14
	v_lshl_add_u32 v9, v5, 3, v9
	ds_read_b64 v[4:5], v4 offset:1024
	ds_read_b64 v[14:15], v10 offset:1024
	;; [unrolled: 1-line block ×4, first 2 shown]
.LBB306_74:
	s_or_b32 exec_lo, exec_lo, s17
	; wave barrier
	s_waitcnt lgkmcnt(0)
	s_waitcnt_vscnt null, 0x0
	s_barrier
                                        ; implicit-def: $vgpr12
                                        ; implicit-def: $vgpr13
                                        ; implicit-def: $vgpr20
                                        ; implicit-def: $vgpr21
                                        ; implicit-def: $vgpr9
.LBB306_75:
	s_andn2_saveexec_b32 s14, s16
	s_cbranch_execz .LBB306_137
; %bb.76:
	s_load_dwordx2 s[10:11], s[8:9], 0x0
	v_mov_b32_e32 v10, 0
	s_waitcnt lgkmcnt(0)
	s_cmp_lt_u32 s13, s11
	s_cselect_b32 s7, 14, 20
	s_add_u32 s16, s8, s7
	s_addc_u32 s17, s9, 0
	s_cmp_lt_u32 s12, s10
	global_load_ushort v11, v10, s[16:17]
	s_cselect_b32 s7, 12, 18
	s_mov_b32 s10, exec_lo
	s_add_u32 s8, s8, s7
	s_addc_u32 s9, s9, 0
	global_load_ushort v10, v10, s[8:9]
	s_waitcnt vmcnt(1)
	v_mad_u32_u24 v11, v21, v11, v20
	s_waitcnt vmcnt(0)
	v_mul_lo_u32 v10, v11, v10
	v_add_lshl_u32 v11, v10, v9, 2
	v_cmpx_gt_u32_e32 0x400, v11
	s_cbranch_execz .LBB306_86
; %bb.77:
	v_perm_b32 v9, v27, v26, 0xc0c0004
	v_perm_b32 v10, v25, v24, 0xc0c0004
	;; [unrolled: 1-line block ×3, first 2 shown]
	v_cmp_gt_i16_sdwa s7, sext(v25), sext(v24) src0_sel:BYTE_0 src1_sel:BYTE_0
	s_mov_b32 s9, exec_lo
	v_lshlrev_b32_e32 v9, 16, v9
	v_or_b32_e32 v10, v10, v9
	v_or_b32_e32 v9, v20, v9
	v_cndmask_b32_e64 v24, v9, v10, s7
	v_mov_b32_e32 v9, v18
	v_mov_b32_e32 v10, v19
	v_lshrrev_b32_e32 v25, 24, v24
	v_lshrrev_b32_e32 v27, 16, v24
	;; [unrolled: 1-line block ×3, first 2 shown]
	v_bfe_i32 v20, v25, 0, 8
	v_bfe_i32 v28, v27, 0, 8
	v_cmpx_gt_i16_e64 v20, v28
	s_cbranch_execz .LBB306_79
; %bb.78:
	v_mov_b32_e32 v9, v16
	v_mov_b32_e32 v21, v27
	;; [unrolled: 1-line block ×4, first 2 shown]
	v_swap_b32 v27, v25
	v_mov_b32_e32 v17, v19
	v_mov_b32_e32 v28, v20
.LBB306_79:
	s_or_b32 exec_lo, exec_lo, s9
	v_cndmask_b32_e64 v20, v14, v4, s7
	v_cndmask_b32_e64 v21, v15, v5, s7
	v_bfe_i32 v29, v26, 0, 8
	v_mov_b32_e32 v18, v20
	v_mov_b32_e32 v19, v21
	v_cmp_gt_i16_e64 s8, v28, v29
	s_and_saveexec_b32 s9, s8
	s_xor_b32 s8, exec_lo, s9
	s_cbranch_execz .LBB306_81
; %bb.80:
	v_mov_b32_e32 v19, v10
	v_mov_b32_e32 v18, v9
	;; [unrolled: 1-line block ×7, first 2 shown]
.LBB306_81:
	s_or_b32 exec_lo, exec_lo, s8
	v_perm_b32 v20, v27, v25, 0xc0c0004
	v_perm_b32 v21, v29, v24, 0xc0c0004
	;; [unrolled: 1-line block ×3, first 2 shown]
	v_cmp_gt_i16_sdwa s8, v29, sext(v24) src0_sel:DWORD src1_sel:BYTE_0
	s_mov_b32 s11, exec_lo
	v_lshlrev_b32_e32 v20, 16, v20
	v_or_b32_e32 v21, v21, v20
	v_or_b32_e32 v20, v25, v20
	v_cndmask_b32_e64 v24, v20, v21, s8
	v_mov_b32_e32 v21, v10
	v_mov_b32_e32 v20, v9
	v_lshrrev_b32_e32 v26, 24, v24
	v_lshrrev_b32_e32 v27, 16, v24
	;; [unrolled: 1-line block ×3, first 2 shown]
	v_bfe_i32 v29, v26, 0, 8
	v_bfe_i32 v28, v27, 0, 8
	v_cmpx_gt_i16_e64 v29, v28
	s_cbranch_execz .LBB306_83
; %bb.82:
	v_mov_b32_e32 v21, v17
	v_mov_b32_e32 v28, v27
	;; [unrolled: 1-line block ×4, first 2 shown]
	v_swap_b32 v27, v26
	v_mov_b32_e32 v16, v9
	v_mov_b32_e32 v28, v29
.LBB306_83:
	s_or_b32 exec_lo, exec_lo, s11
	v_cndmask_b32_e64 v9, v5, v15, s7
	v_cndmask_b32_e64 v10, v4, v14, s7
	;; [unrolled: 1-line block ×6, first 2 shown]
	v_mov_b32_e32 v18, v20
	v_cmp_gt_i16_sdwa s8, v28, sext(v25) src0_sel:DWORD src1_sel:BYTE_0
	v_mov_b32_e32 v19, v21
	s_and_saveexec_b32 s7, s8
; %bb.84:
	v_mov_b32_e32 v19, v15
	v_mov_b32_e32 v18, v14
	;; [unrolled: 1-line block ×6, first 2 shown]
; %bb.85:
	s_or_b32 exec_lo, exec_lo, s7
.LBB306_86:
	s_or_b32 exec_lo, exec_lo, s10
	v_and_b32_e32 v9, 0xffffff80, v11
	v_or_b32_e32 v10, 4, v22
	v_and_b32_e32 v31, 0x78, v22
	v_perm_b32 v21, v24, v25, 0xc0c0004
	v_perm_b32 v28, v27, v26, 0xc0c0004
	v_sub_nc_u32_e64 v20, 0x400, v9 clamp
	v_add_co_u32 v11, s7, v12, v9
	v_add_co_ci_u32_e64 v12, null, 0, v13, s7
	v_min_u32_e32 v29, v20, v10
	v_and_b32_e32 v13, 4, v22
	v_lshl_or_b32 v21, v28, 16, v21
	s_mov_b32 s8, exec_lo
	v_add_nc_u32_e32 v10, 4, v29
	v_min_u32_e32 v32, v20, v13
	v_sub_nc_u32_e32 v34, v29, v31
	v_min_u32_e32 v30, v20, v10
	v_mad_u64_u32 v[9:10], null, v9, 7, v[11:12]
	v_add_co_u32 v10, null, v11, v22
	v_sub_nc_u32_e32 v13, v30, v29
	v_lshl_add_u32 v12, v22, 3, v9
	v_sub_nc_u32_e64 v33, v32, v13 clamp
	v_min_u32_e32 v13, v32, v34
	ds_write2_b64 v12, v[4:5], v[14:15] offset0:128 offset1:129
	ds_write_b64 v12, v[18:19] offset:1040
	ds_write_b32 v10, v21
	ds_write_b64 v12, v[16:17] offset:1048
	; wave barrier
	v_cmpx_lt_u32_e64 v33, v13
	s_cbranch_execz .LBB306_90
; %bb.87:
	v_add_co_u32 v21, null, v11, v31
	v_add_co_u32 v28, null, v11, v29
	s_mov_b32 s9, 0
	.p2align	6
.LBB306_88:                             ; =>This Inner Loop Header: Depth=1
	v_add_nc_u32_e32 v34, v13, v33
	v_lshrrev_b32_e32 v34, 1, v34
	v_not_b32_e32 v35, v34
	v_add_nc_u32_e32 v36, v21, v34
	v_add_nc_u32_e32 v37, 1, v34
	v_add3_u32 v35, v32, v35, v28
	ds_read_i8 v36, v36
	ds_read_i8 v35, v35
	s_waitcnt lgkmcnt(0)
	v_cmp_gt_i16_e64 s7, v35, v36
	v_cndmask_b32_e64 v13, v13, v34, s7
	v_cndmask_b32_e64 v33, v37, v33, s7
	v_cmp_ge_u32_e64 s7, v33, v13
	s_or_b32 s9, s7, s9
	s_andn2_b32 exec_lo, exec_lo, s9
	s_cbranch_execnz .LBB306_88
; %bb.89:
	s_or_b32 exec_lo, exec_lo, s9
.LBB306_90:
	s_or_b32 exec_lo, exec_lo, s8
	v_add_nc_u32_e32 v34, v29, v32
	v_add_nc_u32_e32 v32, v33, v31
	;; [unrolled: 1-line block ×5, first 2 shown]
	v_sub_nc_u32_e32 v31, v34, v33
	v_cmp_le_u32_e64 s7, v32, v29
	v_add_nc_u32_e32 v12, 0x418, v12
	v_cmp_le_u32_e64 s8, v31, v30
	s_or_b32 s7, s7, s8
	s_and_saveexec_b32 s12, s7
	s_cbranch_execz .LBB306_96
; %bb.91:
	v_cmp_lt_u32_e64 s7, v32, v29
                                        ; implicit-def: $vgpr24
	s_and_saveexec_b32 s8, s7
; %bb.92:
	v_add_nc_u32_e32 v4, v11, v32
	ds_read_u8 v24, v4
; %bb.93:
	s_or_b32 exec_lo, exec_lo, s8
	v_cmp_ge_u32_e64 s8, v31, v30
	s_mov_b32 s10, exec_lo
                                        ; implicit-def: $vgpr25
	v_cmpx_lt_u32_e64 v31, v30
; %bb.94:
	v_add_nc_u32_e32 v4, v11, v31
	ds_read_u8 v25, v4
; %bb.95:
	s_or_b32 exec_lo, exec_lo, s10
	s_waitcnt lgkmcnt(0)
	v_cmp_le_i16_sdwa s9, sext(v25), sext(v24) src0_sel:BYTE_0 src1_sel:BYTE_0
	s_and_b32 s7, s7, s9
	s_or_b32 s7, s8, s7
	v_cndmask_b32_e64 v4, v31, v32, s7
	v_cndmask_b32_e64 v5, v30, v29, s7
	v_add_nc_u32_e32 v14, 1, v4
	v_add_nc_u32_e32 v5, -1, v5
	v_lshl_add_u32 v4, v4, 3, v9
	v_cndmask_b32_e64 v15, v32, v14, s7
	v_min_u32_e32 v5, v14, v5
	v_cmp_lt_u32_e64 s8, v15, v29
	v_add_nc_u32_e32 v5, v11, v5
	ds_read_u8 v5, v5
	s_waitcnt lgkmcnt(0)
	v_cndmask_b32_e64 v26, v5, v25, s7
	v_cndmask_b32_e64 v27, v24, v5, s7
	;; [unrolled: 1-line block ×4, first 2 shown]
	v_cmp_le_i16_sdwa s10, sext(v26), sext(v27) src0_sel:BYTE_0 src1_sel:BYTE_0
	v_cmp_ge_u32_e64 s9, v5, v30
	s_and_b32 s8, s8, s10
	s_or_b32 s8, s9, s8
	v_cndmask_b32_e64 v14, v5, v15, s8
	v_cndmask_b32_e64 v16, v30, v29, s8
	v_cndmask_b32_e64 v25, v26, v27, s8
	v_add_nc_u32_e32 v17, 1, v14
	v_add_nc_u32_e32 v16, -1, v16
	v_lshl_add_u32 v14, v14, 3, v9
	v_cndmask_b32_e64 v15, v15, v17, s8
	v_min_u32_e32 v16, v17, v16
	v_cndmask_b32_e64 v5, v17, v5, s8
	v_cmp_lt_u32_e64 s9, v15, v29
	v_add_nc_u32_e32 v16, v11, v16
	v_cmp_ge_u32_e64 s10, v5, v30
	ds_read_u8 v16, v16
	s_waitcnt lgkmcnt(0)
	v_cndmask_b32_e64 v31, v16, v26, s8
	v_cndmask_b32_e64 v32, v27, v16, s8
	v_cmp_le_i16_sdwa s11, sext(v31), sext(v32) src0_sel:BYTE_0 src1_sel:BYTE_0
	s_and_b32 s9, s9, s11
	s_or_b32 s9, s10, s9
	v_cndmask_b32_e64 v16, v5, v15, s9
	v_cndmask_b32_e64 v17, v30, v29, s9
	;; [unrolled: 1-line block ×3, first 2 shown]
	v_add_nc_u32_e32 v18, 1, v16
	v_add_nc_u32_e32 v17, -1, v17
	v_lshl_add_u32 v16, v16, 3, v9
	v_cndmask_b32_e64 v15, v15, v18, s9
	v_min_u32_e32 v17, v18, v17
	v_cndmask_b32_e64 v5, v18, v5, s9
	v_cmp_lt_u32_e64 s10, v15, v29
	v_add_nc_u32_e32 v17, v11, v17
	v_cmp_ge_u32_e64 s11, v5, v30
	ds_read_u8 v17, v17
	s_waitcnt lgkmcnt(0)
	v_cndmask_b32_e64 v33, v17, v31, s9
	v_cndmask_b32_e64 v34, v32, v17, s9
	v_cmp_le_i16_sdwa s13, sext(v33), sext(v34) src0_sel:BYTE_0 src1_sel:BYTE_0
	s_and_b32 s10, s10, s13
	s_or_b32 s10, s11, s10
	v_cndmask_b32_e64 v5, v5, v15, s10
	v_cndmask_b32_e64 v26, v33, v34, s10
	v_lshl_add_u32 v17, v5, 3, v9
	ds_read_b64 v[4:5], v4 offset:1024
	ds_read_b64 v[14:15], v14 offset:1024
	;; [unrolled: 1-line block ×4, first 2 shown]
.LBB306_96:
	s_or_b32 exec_lo, exec_lo, s12
	v_and_b32_e32 v34, 0x70, v22
	v_and_b32_e32 v30, 12, v22
	s_mov_b32 s8, exec_lo
	; wave barrier
	v_or_b32_e32 v29, 8, v34
	v_min_u32_e32 v35, v20, v30
	ds_write_b8 v10, v24
	s_waitcnt lgkmcnt(4)
	ds_write_b64 v28, v[4:5]
	ds_write_b8 v10, v25 offset:1
	s_waitcnt lgkmcnt(5)
	ds_write_b64 v21, v[14:15]
	ds_write_b8 v10, v27 offset:2
	;; [unrolled: 3-line block ×3, first 2 shown]
	s_waitcnt lgkmcnt(7)
	ds_write_b64 v12, v[16:17]
	v_min_u32_e32 v32, v20, v29
	; wave barrier
	v_add_nc_u32_e32 v29, 8, v32
	v_sub_nc_u32_e32 v30, v32, v34
	v_min_u32_e32 v33, v20, v29
	v_sub_nc_u32_e32 v29, v33, v32
	v_sub_nc_u32_e64 v36, v35, v29 clamp
	v_min_u32_e32 v29, v35, v30
	v_cmpx_lt_u32_e64 v36, v29
	s_cbranch_execz .LBB306_100
; %bb.97:
	v_add_co_u32 v30, null, v11, v34
	v_add_co_u32 v31, null, v11, v32
	s_mov_b32 s9, 0
	.p2align	6
.LBB306_98:                             ; =>This Inner Loop Header: Depth=1
	v_add_nc_u32_e32 v37, v29, v36
	v_lshrrev_b32_e32 v37, 1, v37
	v_not_b32_e32 v38, v37
	v_add_nc_u32_e32 v39, v30, v37
	v_add_nc_u32_e32 v48, 1, v37
	v_add3_u32 v38, v35, v38, v31
	ds_read_i8 v39, v39
	ds_read_i8 v38, v38
	s_waitcnt lgkmcnt(0)
	v_cmp_gt_i16_e64 s7, v38, v39
	v_cndmask_b32_e64 v29, v29, v37, s7
	v_cndmask_b32_e64 v36, v48, v36, s7
	v_cmp_ge_u32_e64 s7, v36, v29
	s_or_b32 s9, s7, s9
	s_andn2_b32 exec_lo, exec_lo, s9
	s_cbranch_execnz .LBB306_98
; %bb.99:
	s_or_b32 exec_lo, exec_lo, s9
.LBB306_100:
	s_or_b32 exec_lo, exec_lo, s8
	v_add_nc_u32_e32 v37, v32, v35
	v_add_nc_u32_e32 v35, v36, v34
	v_add_nc_u32_e32 v31, 1, v10
	v_add_nc_u32_e32 v30, 2, v10
	v_add_nc_u32_e32 v29, 3, v10
	v_sub_nc_u32_e32 v34, v37, v36
	v_cmp_le_u32_e64 s7, v35, v32
	v_cmp_le_u32_e64 s8, v34, v33
	s_or_b32 s7, s7, s8
	s_and_saveexec_b32 s12, s7
	s_cbranch_execz .LBB306_106
; %bb.101:
	v_cmp_lt_u32_e64 s7, v35, v32
                                        ; implicit-def: $vgpr24
	s_and_saveexec_b32 s8, s7
; %bb.102:
	v_add_nc_u32_e32 v4, v11, v35
	ds_read_u8 v24, v4
; %bb.103:
	s_or_b32 exec_lo, exec_lo, s8
	v_cmp_ge_u32_e64 s8, v34, v33
	s_mov_b32 s10, exec_lo
                                        ; implicit-def: $vgpr25
	v_cmpx_lt_u32_e64 v34, v33
; %bb.104:
	v_add_nc_u32_e32 v4, v11, v34
	ds_read_u8 v25, v4
; %bb.105:
	s_or_b32 exec_lo, exec_lo, s10
	s_waitcnt lgkmcnt(0)
	v_cmp_le_i16_sdwa s9, sext(v25), sext(v24) src0_sel:BYTE_0 src1_sel:BYTE_0
	s_and_b32 s7, s7, s9
	s_or_b32 s7, s8, s7
	v_cndmask_b32_e64 v4, v34, v35, s7
	v_cndmask_b32_e64 v5, v33, v32, s7
	v_add_nc_u32_e32 v14, 1, v4
	v_add_nc_u32_e32 v5, -1, v5
	v_lshl_add_u32 v4, v4, 3, v9
	v_cndmask_b32_e64 v15, v35, v14, s7
	v_min_u32_e32 v5, v14, v5
	v_cmp_lt_u32_e64 s8, v15, v32
	v_add_nc_u32_e32 v5, v11, v5
	ds_read_u8 v5, v5
	s_waitcnt lgkmcnt(0)
	v_cndmask_b32_e64 v26, v5, v25, s7
	v_cndmask_b32_e64 v27, v24, v5, s7
	;; [unrolled: 1-line block ×4, first 2 shown]
	v_cmp_le_i16_sdwa s10, sext(v26), sext(v27) src0_sel:BYTE_0 src1_sel:BYTE_0
	v_cmp_ge_u32_e64 s9, v5, v33
	s_and_b32 s8, s8, s10
	s_or_b32 s8, s9, s8
	v_cndmask_b32_e64 v14, v5, v15, s8
	v_cndmask_b32_e64 v16, v33, v32, s8
	;; [unrolled: 1-line block ×3, first 2 shown]
	v_add_nc_u32_e32 v17, 1, v14
	v_add_nc_u32_e32 v16, -1, v16
	v_lshl_add_u32 v14, v14, 3, v9
	v_cndmask_b32_e64 v15, v15, v17, s8
	v_min_u32_e32 v16, v17, v16
	v_cndmask_b32_e64 v5, v17, v5, s8
	v_cmp_lt_u32_e64 s9, v15, v32
	v_add_nc_u32_e32 v16, v11, v16
	v_cmp_ge_u32_e64 s10, v5, v33
	ds_read_u8 v16, v16
	s_waitcnt lgkmcnt(0)
	v_cndmask_b32_e64 v34, v16, v26, s8
	v_cndmask_b32_e64 v35, v27, v16, s8
	v_cmp_le_i16_sdwa s11, sext(v34), sext(v35) src0_sel:BYTE_0 src1_sel:BYTE_0
	s_and_b32 s9, s9, s11
	s_or_b32 s9, s10, s9
	v_cndmask_b32_e64 v16, v5, v15, s9
	v_cndmask_b32_e64 v17, v33, v32, s9
	;; [unrolled: 1-line block ×3, first 2 shown]
	v_add_nc_u32_e32 v18, 1, v16
	v_add_nc_u32_e32 v17, -1, v17
	v_lshl_add_u32 v16, v16, 3, v9
	v_cndmask_b32_e64 v15, v15, v18, s9
	v_min_u32_e32 v17, v18, v17
	v_cndmask_b32_e64 v5, v18, v5, s9
	v_cmp_lt_u32_e64 s10, v15, v32
	v_add_nc_u32_e32 v17, v11, v17
	v_cmp_ge_u32_e64 s11, v5, v33
	ds_read_u8 v17, v17
	s_waitcnt lgkmcnt(0)
	v_cndmask_b32_e64 v36, v17, v34, s9
	v_cndmask_b32_e64 v37, v35, v17, s9
	v_cmp_le_i16_sdwa s13, sext(v36), sext(v37) src0_sel:BYTE_0 src1_sel:BYTE_0
	s_and_b32 s10, s10, s13
	s_or_b32 s10, s11, s10
	v_cndmask_b32_e64 v5, v5, v15, s10
	v_cndmask_b32_e64 v26, v36, v37, s10
	v_lshl_add_u32 v17, v5, 3, v9
	ds_read_b64 v[4:5], v4 offset:1024
	ds_read_b64 v[14:15], v14 offset:1024
	;; [unrolled: 1-line block ×4, first 2 shown]
.LBB306_106:
	s_or_b32 exec_lo, exec_lo, s12
	v_and_b32_e32 v34, 0x60, v22
	v_and_b32_e32 v35, 28, v22
	s_mov_b32 s8, exec_lo
	; wave barrier
	v_or_b32_e32 v32, 16, v34
	v_min_u32_e32 v35, v20, v35
	ds_write_b8 v10, v24
	s_waitcnt lgkmcnt(4)
	ds_write_b64 v28, v[4:5]
	ds_write_b8 v31, v25
	s_waitcnt lgkmcnt(5)
	ds_write_b64 v21, v[14:15]
	;; [unrolled: 3-line block ×4, first 2 shown]
	v_min_u32_e32 v32, v20, v32
	; wave barrier
	v_add_nc_u32_e32 v33, 16, v32
	v_sub_nc_u32_e32 v37, v32, v34
	v_min_u32_e32 v33, v20, v33
	v_min_u32_e32 v37, v35, v37
	v_sub_nc_u32_e32 v36, v33, v32
	v_sub_nc_u32_e64 v36, v35, v36 clamp
	v_cmpx_lt_u32_e64 v36, v37
	s_cbranch_execz .LBB306_110
; %bb.107:
	v_add_co_u32 v38, null, v11, v34
	v_add_co_u32 v39, null, v11, v32
	s_mov_b32 s9, 0
	.p2align	6
.LBB306_108:                            ; =>This Inner Loop Header: Depth=1
	v_add_nc_u32_e32 v48, v37, v36
	v_lshrrev_b32_e32 v48, 1, v48
	v_not_b32_e32 v49, v48
	v_add_nc_u32_e32 v50, v38, v48
	v_add_nc_u32_e32 v51, 1, v48
	v_add3_u32 v49, v35, v49, v39
	ds_read_i8 v50, v50
	ds_read_i8 v49, v49
	s_waitcnt lgkmcnt(0)
	v_cmp_gt_i16_e64 s7, v49, v50
	v_cndmask_b32_e64 v37, v37, v48, s7
	v_cndmask_b32_e64 v36, v51, v36, s7
	v_cmp_ge_u32_e64 s7, v36, v37
	s_or_b32 s9, s7, s9
	s_andn2_b32 exec_lo, exec_lo, s9
	s_cbranch_execnz .LBB306_108
; %bb.109:
	s_or_b32 exec_lo, exec_lo, s9
.LBB306_110:
	s_or_b32 exec_lo, exec_lo, s8
	v_add_nc_u32_e32 v37, v32, v35
	v_add_nc_u32_e32 v35, v36, v34
	v_sub_nc_u32_e32 v34, v37, v36
	v_cmp_le_u32_e64 s7, v35, v32
	v_cmp_le_u32_e64 s8, v34, v33
	s_or_b32 s7, s7, s8
	s_and_saveexec_b32 s12, s7
	s_cbranch_execz .LBB306_116
; %bb.111:
	v_cmp_lt_u32_e64 s7, v35, v32
                                        ; implicit-def: $vgpr24
	s_and_saveexec_b32 s8, s7
; %bb.112:
	v_add_nc_u32_e32 v4, v11, v35
	ds_read_u8 v24, v4
; %bb.113:
	s_or_b32 exec_lo, exec_lo, s8
	v_cmp_ge_u32_e64 s8, v34, v33
	s_mov_b32 s10, exec_lo
                                        ; implicit-def: $vgpr25
	v_cmpx_lt_u32_e64 v34, v33
; %bb.114:
	v_add_nc_u32_e32 v4, v11, v34
	ds_read_u8 v25, v4
; %bb.115:
	s_or_b32 exec_lo, exec_lo, s10
	s_waitcnt lgkmcnt(0)
	v_cmp_le_i16_sdwa s9, sext(v25), sext(v24) src0_sel:BYTE_0 src1_sel:BYTE_0
	s_and_b32 s7, s7, s9
	s_or_b32 s7, s8, s7
	v_cndmask_b32_e64 v4, v34, v35, s7
	v_cndmask_b32_e64 v5, v33, v32, s7
	v_add_nc_u32_e32 v14, 1, v4
	v_add_nc_u32_e32 v5, -1, v5
	v_lshl_add_u32 v4, v4, 3, v9
	v_cndmask_b32_e64 v15, v35, v14, s7
	v_min_u32_e32 v5, v14, v5
	v_cmp_lt_u32_e64 s8, v15, v32
	v_add_nc_u32_e32 v5, v11, v5
	ds_read_u8 v5, v5
	s_waitcnt lgkmcnt(0)
	v_cndmask_b32_e64 v26, v5, v25, s7
	v_cndmask_b32_e64 v27, v24, v5, s7
	;; [unrolled: 1-line block ×4, first 2 shown]
	v_cmp_le_i16_sdwa s10, sext(v26), sext(v27) src0_sel:BYTE_0 src1_sel:BYTE_0
	v_cmp_ge_u32_e64 s9, v5, v33
	s_and_b32 s8, s8, s10
	s_or_b32 s8, s9, s8
	v_cndmask_b32_e64 v14, v5, v15, s8
	v_cndmask_b32_e64 v16, v33, v32, s8
	;; [unrolled: 1-line block ×3, first 2 shown]
	v_add_nc_u32_e32 v17, 1, v14
	v_add_nc_u32_e32 v16, -1, v16
	v_lshl_add_u32 v14, v14, 3, v9
	v_cndmask_b32_e64 v15, v15, v17, s8
	v_min_u32_e32 v16, v17, v16
	v_cndmask_b32_e64 v5, v17, v5, s8
	v_cmp_lt_u32_e64 s9, v15, v32
	v_add_nc_u32_e32 v16, v11, v16
	v_cmp_ge_u32_e64 s10, v5, v33
	ds_read_u8 v16, v16
	s_waitcnt lgkmcnt(0)
	v_cndmask_b32_e64 v34, v16, v26, s8
	v_cndmask_b32_e64 v35, v27, v16, s8
	v_cmp_le_i16_sdwa s11, sext(v34), sext(v35) src0_sel:BYTE_0 src1_sel:BYTE_0
	s_and_b32 s9, s9, s11
	s_or_b32 s9, s10, s9
	v_cndmask_b32_e64 v16, v5, v15, s9
	v_cndmask_b32_e64 v17, v33, v32, s9
	;; [unrolled: 1-line block ×3, first 2 shown]
	v_add_nc_u32_e32 v18, 1, v16
	v_add_nc_u32_e32 v17, -1, v17
	v_lshl_add_u32 v16, v16, 3, v9
	v_cndmask_b32_e64 v15, v15, v18, s9
	v_min_u32_e32 v17, v18, v17
	v_cndmask_b32_e64 v5, v18, v5, s9
	v_cmp_lt_u32_e64 s10, v15, v32
	v_add_nc_u32_e32 v17, v11, v17
	v_cmp_ge_u32_e64 s11, v5, v33
	ds_read_u8 v17, v17
	s_waitcnt lgkmcnt(0)
	v_cndmask_b32_e64 v36, v17, v34, s9
	v_cndmask_b32_e64 v37, v35, v17, s9
	v_cmp_le_i16_sdwa s13, sext(v36), sext(v37) src0_sel:BYTE_0 src1_sel:BYTE_0
	s_and_b32 s10, s10, s13
	s_or_b32 s10, s11, s10
	v_cndmask_b32_e64 v5, v5, v15, s10
	v_cndmask_b32_e64 v26, v36, v37, s10
	v_lshl_add_u32 v17, v5, 3, v9
	ds_read_b64 v[4:5], v4 offset:1024
	ds_read_b64 v[14:15], v14 offset:1024
	;; [unrolled: 1-line block ×4, first 2 shown]
.LBB306_116:
	s_or_b32 exec_lo, exec_lo, s12
	v_and_b32_e32 v34, 64, v22
	v_and_b32_e32 v35, 60, v22
	s_mov_b32 s8, exec_lo
	; wave barrier
	v_or_b32_e32 v32, 32, v34
	v_min_u32_e32 v35, v20, v35
	ds_write_b8 v10, v24
	s_waitcnt lgkmcnt(4)
	ds_write_b64 v28, v[4:5]
	ds_write_b8 v31, v25
	s_waitcnt lgkmcnt(5)
	ds_write_b64 v21, v[14:15]
	;; [unrolled: 3-line block ×4, first 2 shown]
	v_min_u32_e32 v32, v20, v32
	; wave barrier
	v_add_nc_u32_e32 v33, 32, v32
	v_sub_nc_u32_e32 v37, v32, v34
	v_min_u32_e32 v33, v20, v33
	v_min_u32_e32 v37, v35, v37
	v_sub_nc_u32_e32 v36, v33, v32
	v_sub_nc_u32_e64 v36, v35, v36 clamp
	v_cmpx_lt_u32_e64 v36, v37
	s_cbranch_execz .LBB306_120
; %bb.117:
	v_add_co_u32 v38, null, v11, v34
	v_add_co_u32 v39, null, v11, v32
	s_mov_b32 s9, 0
	.p2align	6
.LBB306_118:                            ; =>This Inner Loop Header: Depth=1
	v_add_nc_u32_e32 v48, v37, v36
	v_lshrrev_b32_e32 v48, 1, v48
	v_not_b32_e32 v49, v48
	v_add_nc_u32_e32 v50, v38, v48
	v_add_nc_u32_e32 v51, 1, v48
	v_add3_u32 v49, v35, v49, v39
	ds_read_i8 v50, v50
	ds_read_i8 v49, v49
	s_waitcnt lgkmcnt(0)
	v_cmp_gt_i16_e64 s7, v49, v50
	v_cndmask_b32_e64 v37, v37, v48, s7
	v_cndmask_b32_e64 v36, v51, v36, s7
	v_cmp_ge_u32_e64 s7, v36, v37
	s_or_b32 s9, s7, s9
	s_andn2_b32 exec_lo, exec_lo, s9
	s_cbranch_execnz .LBB306_118
; %bb.119:
	s_or_b32 exec_lo, exec_lo, s9
.LBB306_120:
	s_or_b32 exec_lo, exec_lo, s8
	v_add_nc_u32_e32 v37, v32, v35
	v_add_nc_u32_e32 v35, v36, v34
	v_sub_nc_u32_e32 v34, v37, v36
	v_cmp_le_u32_e64 s7, v35, v32
	v_cmp_le_u32_e64 s8, v34, v33
	s_or_b32 s7, s7, s8
	s_and_saveexec_b32 s12, s7
	s_cbranch_execz .LBB306_126
; %bb.121:
	v_cmp_lt_u32_e64 s7, v35, v32
                                        ; implicit-def: $vgpr24
	s_and_saveexec_b32 s8, s7
; %bb.122:
	v_add_nc_u32_e32 v4, v11, v35
	ds_read_u8 v24, v4
; %bb.123:
	s_or_b32 exec_lo, exec_lo, s8
	v_cmp_ge_u32_e64 s8, v34, v33
	s_mov_b32 s10, exec_lo
                                        ; implicit-def: $vgpr25
	v_cmpx_lt_u32_e64 v34, v33
; %bb.124:
	v_add_nc_u32_e32 v4, v11, v34
	ds_read_u8 v25, v4
; %bb.125:
	s_or_b32 exec_lo, exec_lo, s10
	s_waitcnt lgkmcnt(0)
	v_cmp_le_i16_sdwa s9, sext(v25), sext(v24) src0_sel:BYTE_0 src1_sel:BYTE_0
	s_and_b32 s7, s7, s9
	s_or_b32 s7, s8, s7
	v_cndmask_b32_e64 v4, v34, v35, s7
	v_cndmask_b32_e64 v5, v33, v32, s7
	v_add_nc_u32_e32 v14, 1, v4
	v_add_nc_u32_e32 v5, -1, v5
	v_lshl_add_u32 v4, v4, 3, v9
	v_cndmask_b32_e64 v15, v35, v14, s7
	v_min_u32_e32 v5, v14, v5
	v_cmp_lt_u32_e64 s8, v15, v32
	v_add_nc_u32_e32 v5, v11, v5
	ds_read_u8 v5, v5
	s_waitcnt lgkmcnt(0)
	v_cndmask_b32_e64 v26, v5, v25, s7
	v_cndmask_b32_e64 v27, v24, v5, s7
	;; [unrolled: 1-line block ×4, first 2 shown]
	v_cmp_le_i16_sdwa s10, sext(v26), sext(v27) src0_sel:BYTE_0 src1_sel:BYTE_0
	v_cmp_ge_u32_e64 s9, v5, v33
	s_and_b32 s8, s8, s10
	s_or_b32 s8, s9, s8
	v_cndmask_b32_e64 v14, v5, v15, s8
	v_cndmask_b32_e64 v16, v33, v32, s8
	v_cndmask_b32_e64 v25, v26, v27, s8
	v_add_nc_u32_e32 v17, 1, v14
	v_add_nc_u32_e32 v16, -1, v16
	v_lshl_add_u32 v14, v14, 3, v9
	v_cndmask_b32_e64 v15, v15, v17, s8
	v_min_u32_e32 v16, v17, v16
	v_cndmask_b32_e64 v5, v17, v5, s8
	v_cmp_lt_u32_e64 s9, v15, v32
	v_add_nc_u32_e32 v16, v11, v16
	v_cmp_ge_u32_e64 s10, v5, v33
	ds_read_u8 v16, v16
	s_waitcnt lgkmcnt(0)
	v_cndmask_b32_e64 v34, v16, v26, s8
	v_cndmask_b32_e64 v35, v27, v16, s8
	v_cmp_le_i16_sdwa s11, sext(v34), sext(v35) src0_sel:BYTE_0 src1_sel:BYTE_0
	s_and_b32 s9, s9, s11
	s_or_b32 s9, s10, s9
	v_cndmask_b32_e64 v16, v5, v15, s9
	v_cndmask_b32_e64 v17, v33, v32, s9
	;; [unrolled: 1-line block ×3, first 2 shown]
	v_add_nc_u32_e32 v18, 1, v16
	v_add_nc_u32_e32 v17, -1, v17
	v_lshl_add_u32 v16, v16, 3, v9
	v_cndmask_b32_e64 v15, v15, v18, s9
	v_min_u32_e32 v17, v18, v17
	v_cndmask_b32_e64 v5, v18, v5, s9
	v_cmp_lt_u32_e64 s10, v15, v32
	v_add_nc_u32_e32 v17, v11, v17
	v_cmp_ge_u32_e64 s11, v5, v33
	ds_read_u8 v17, v17
	s_waitcnt lgkmcnt(0)
	v_cndmask_b32_e64 v36, v17, v34, s9
	v_cndmask_b32_e64 v37, v35, v17, s9
	v_cmp_le_i16_sdwa s13, sext(v36), sext(v37) src0_sel:BYTE_0 src1_sel:BYTE_0
	s_and_b32 s10, s10, s13
	s_or_b32 s10, s11, s10
	v_cndmask_b32_e64 v5, v5, v15, s10
	v_cndmask_b32_e64 v26, v36, v37, s10
	v_lshl_add_u32 v17, v5, 3, v9
	ds_read_b64 v[4:5], v4 offset:1024
	ds_read_b64 v[14:15], v14 offset:1024
	;; [unrolled: 1-line block ×4, first 2 shown]
.LBB306_126:
	s_or_b32 exec_lo, exec_lo, s12
	v_min_u32_e32 v32, 64, v20
	; wave barrier
	ds_write_b8 v10, v24
	s_waitcnt lgkmcnt(4)
	ds_write_b64 v28, v[4:5]
	s_mov_b32 s8, exec_lo
	v_add_nc_u32_e32 v33, 64, v32
	ds_write_b8 v31, v25
	s_waitcnt lgkmcnt(5)
	ds_write_b64 v21, v[14:15]
	ds_write_b8 v30, v27
	s_waitcnt lgkmcnt(6)
	ds_write_b64 v13, v[18:19]
	;; [unrolled: 3-line block ×3, first 2 shown]
	; wave barrier
	v_min_u32_e32 v33, v20, v33
	v_min_u32_e32 v20, v20, v22
	v_sub_nc_u32_e32 v34, v33, v32
	v_min_u32_e32 v28, v20, v32
	v_sub_nc_u32_e64 v10, v20, v34 clamp
	v_cmpx_lt_u32_e64 v10, v28
	s_cbranch_execz .LBB306_130
; %bb.127:
	v_add_co_u32 v12, null, v11, v32
	s_mov_b32 s9, 0
	.p2align	6
.LBB306_128:                            ; =>This Inner Loop Header: Depth=1
	v_add_nc_u32_e32 v13, v28, v10
	v_lshrrev_b32_e32 v13, 1, v13
	v_not_b32_e32 v21, v13
	v_add_nc_u32_e32 v29, v11, v13
	v_add_nc_u32_e32 v30, 1, v13
	v_add3_u32 v21, v20, v21, v12
	ds_read_i8 v29, v29
	ds_read_i8 v21, v21
	s_waitcnt lgkmcnt(0)
	v_cmp_gt_i16_e64 s7, v21, v29
	v_cndmask_b32_e64 v28, v28, v13, s7
	v_cndmask_b32_e64 v10, v30, v10, s7
	v_cmp_ge_u32_e64 s7, v10, v28
	s_or_b32 s9, s7, s9
	s_andn2_b32 exec_lo, exec_lo, s9
	s_cbranch_execnz .LBB306_128
; %bb.129:
	s_or_b32 exec_lo, exec_lo, s9
.LBB306_130:
	s_or_b32 exec_lo, exec_lo, s8
	v_add_nc_u32_e32 v12, v32, v20
	v_cmp_le_u32_e64 s7, v10, v32
	v_sub_nc_u32_e32 v20, v12, v10
	v_cmp_le_u32_e64 s8, v20, v33
	s_or_b32 s7, s7, s8
	s_and_saveexec_b32 s12, s7
	s_cbranch_execz .LBB306_136
; %bb.131:
	v_cmp_lt_u32_e64 s7, v10, v32
                                        ; implicit-def: $vgpr12
	s_and_saveexec_b32 s8, s7
; %bb.132:
	v_add_nc_u32_e32 v4, v11, v10
	ds_read_u8 v12, v4
; %bb.133:
	s_or_b32 exec_lo, exec_lo, s8
	v_cmp_ge_u32_e64 s8, v20, v33
	s_mov_b32 s10, exec_lo
                                        ; implicit-def: $vgpr13
	v_cmpx_lt_u32_e64 v20, v33
; %bb.134:
	v_add_nc_u32_e32 v4, v11, v20
	ds_read_u8 v13, v4
; %bb.135:
	s_or_b32 exec_lo, exec_lo, s10
	s_waitcnt lgkmcnt(0)
	v_cmp_le_i16_sdwa s9, sext(v13), sext(v12) src0_sel:BYTE_0 src1_sel:BYTE_0
	s_and_b32 s7, s7, s9
	s_or_b32 s7, s8, s7
	v_cndmask_b32_e64 v4, v20, v10, s7
	v_cndmask_b32_e64 v5, v33, v32, s7
	;; [unrolled: 1-line block ×3, first 2 shown]
	v_add_nc_u32_e32 v14, 1, v4
	v_add_nc_u32_e32 v5, -1, v5
	v_lshl_add_u32 v4, v4, 3, v9
	v_cndmask_b32_e64 v10, v10, v14, s7
	v_min_u32_e32 v5, v14, v5
	v_cmp_lt_u32_e64 s8, v10, v32
	v_add_nc_u32_e32 v5, v11, v5
	ds_read_u8 v5, v5
	s_waitcnt lgkmcnt(0)
	v_cndmask_b32_e64 v21, v5, v13, s7
	v_cndmask_b32_e64 v25, v12, v5, s7
	;; [unrolled: 1-line block ×3, first 2 shown]
	v_cmp_le_i16_sdwa s10, sext(v21), sext(v25) src0_sel:BYTE_0 src1_sel:BYTE_0
	v_cmp_ge_u32_e64 s9, v5, v33
	s_and_b32 s8, s8, s10
	s_or_b32 s8, s9, s8
	v_cndmask_b32_e64 v14, v5, v10, s8
	v_cndmask_b32_e64 v15, v33, v32, s8
	v_add_nc_u32_e32 v16, 1, v14
	v_add_nc_u32_e32 v15, -1, v15
	v_cndmask_b32_e64 v10, v10, v16, s8
	v_min_u32_e32 v15, v16, v15
	v_cndmask_b32_e64 v5, v16, v5, s8
	v_cmp_lt_u32_e64 s9, v10, v32
	v_add_nc_u32_e32 v15, v11, v15
	v_cmp_ge_u32_e64 s10, v5, v33
	ds_read_u8 v15, v15
	s_waitcnt lgkmcnt(0)
	v_cndmask_b32_e64 v20, v15, v21, s8
	v_cndmask_b32_e64 v26, v25, v15, s8
	v_cndmask_b32_e64 v25, v21, v25, s8
	v_cmp_le_i16_sdwa s11, sext(v20), sext(v26) src0_sel:BYTE_0 src1_sel:BYTE_0
	s_and_b32 s9, s9, s11
	s_or_b32 s9, s10, s9
	v_cndmask_b32_e64 v15, v5, v10, s9
	v_cndmask_b32_e64 v16, v33, v32, s9
	;; [unrolled: 1-line block ×3, first 2 shown]
	v_add_nc_u32_e32 v17, 1, v15
	v_add_nc_u32_e32 v16, -1, v16
	v_cndmask_b32_e64 v10, v10, v17, s9
	v_min_u32_e32 v16, v17, v16
	v_cndmask_b32_e64 v5, v17, v5, s9
	v_cmp_lt_u32_e64 s10, v10, v32
	v_add_nc_u32_e32 v11, v11, v16
	v_cmp_ge_u32_e64 s11, v5, v33
	v_lshl_add_u32 v16, v15, 3, v9
	ds_read_u8 v11, v11
	s_waitcnt lgkmcnt(0)
	v_cndmask_b32_e64 v28, v11, v20, s9
	v_cndmask_b32_e64 v11, v26, v11, s9
	v_cmp_le_i16_sdwa s13, sext(v28), sext(v11) src0_sel:BYTE_0 src1_sel:BYTE_0
	s_and_b32 s10, s10, s13
	s_or_b32 s10, s11, s10
	v_cndmask_b32_e64 v5, v5, v10, s10
	v_lshl_add_u32 v10, v14, 3, v9
	v_cndmask_b32_e64 v26, v28, v11, s10
	v_lshl_add_u32 v9, v5, 3, v9
	ds_read_b64 v[4:5], v4 offset:1024
	ds_read_b64 v[14:15], v10 offset:1024
	ds_read_b64 v[18:19], v16 offset:1024
	ds_read_b64 v[16:17], v9 offset:1024
.LBB306_136:
	s_or_b32 exec_lo, exec_lo, s12
	; wave barrier
	s_waitcnt lgkmcnt(0)
	s_waitcnt_vscnt null, 0x0
	s_barrier
.LBB306_137:
	s_or_b32 exec_lo, exec_lo, s14
	v_add_co_u32 v2, s7, v2, v8
	v_add_co_ci_u32_e64 v3, null, 0, v3, s7
	s_waitcnt vmcnt(0) lgkmcnt(0)
	s_waitcnt_vscnt null, 0x0
	buffer_gl0_inv
	v_add_co_u32 v2, s7, v2, v22
	v_add_co_ci_u32_e64 v3, null, 0, v3, s7
	; wave barrier
	s_and_saveexec_b32 s7, vcc_lo
	s_cbranch_execnz .LBB306_150
; %bb.138:
	s_or_b32 exec_lo, exec_lo, s7
	s_and_saveexec_b32 s7, s4
	s_cbranch_execnz .LBB306_151
.LBB306_139:
	s_or_b32 exec_lo, exec_lo, s7
	s_and_saveexec_b32 s7, s5
	s_cbranch_execnz .LBB306_152
.LBB306_140:
	s_or_b32 exec_lo, exec_lo, s7
	s_and_saveexec_b32 s7, s6
	s_cbranch_execz .LBB306_142
.LBB306_141:
	flat_store_byte v[2:3], v26 offset:3
.LBB306_142:
	s_or_b32 exec_lo, exec_lo, s7
	v_add_co_u32 v0, s7, v6, v0
	v_add_co_ci_u32_e64 v1, null, v7, v1, s7
	v_add_co_u32 v0, s7, v0, v23
	v_add_co_ci_u32_e64 v1, null, 0, v1, s7
	; wave barrier
	s_and_saveexec_b32 s7, vcc_lo
	s_cbranch_execnz .LBB306_153
; %bb.143:
	s_or_b32 exec_lo, exec_lo, s7
	s_and_saveexec_b32 s7, s4
	s_cbranch_execnz .LBB306_154
.LBB306_144:
	s_or_b32 exec_lo, exec_lo, s7
	s_and_saveexec_b32 s4, s5
	s_cbranch_execnz .LBB306_155
.LBB306_145:
	s_or_b32 exec_lo, exec_lo, s4
	s_and_saveexec_b32 s4, s6
	s_cbranch_execnz .LBB306_156
.LBB306_146:
	s_or_b32 exec_lo, exec_lo, s4
	s_waitcnt lgkmcnt(0)
	s_setpc_b64 s[30:31]
.LBB306_147:
	flat_load_dwordx2 v[4:5], v[20:21]
	s_or_b32 exec_lo, exec_lo, s7
                                        ; implicit-def: $vgpr14_vgpr15
	s_and_saveexec_b32 s7, s4
	s_cbranch_execz .LBB306_10
.LBB306_148:
	flat_load_dwordx2 v[14:15], v[20:21] offset:8
	s_or_b32 exec_lo, exec_lo, s7
                                        ; implicit-def: $vgpr18_vgpr19
	s_and_saveexec_b32 s7, s5
	s_cbranch_execz .LBB306_11
.LBB306_149:
	flat_load_dwordx2 v[18:19], v[20:21] offset:16
	s_or_b32 exec_lo, exec_lo, s7
                                        ; implicit-def: $vgpr16_vgpr17
	s_and_saveexec_b32 s7, s6
	s_cbranch_execnz .LBB306_12
	s_branch .LBB306_13
.LBB306_150:
	flat_store_byte v[2:3], v24
	s_or_b32 exec_lo, exec_lo, s7
	s_and_saveexec_b32 s7, s4
	s_cbranch_execz .LBB306_139
.LBB306_151:
	flat_store_byte v[2:3], v25 offset:1
	s_or_b32 exec_lo, exec_lo, s7
	s_and_saveexec_b32 s7, s5
	s_cbranch_execz .LBB306_140
.LBB306_152:
	flat_store_byte v[2:3], v27 offset:2
	s_or_b32 exec_lo, exec_lo, s7
	s_and_saveexec_b32 s7, s6
	s_cbranch_execnz .LBB306_141
	s_branch .LBB306_142
.LBB306_153:
	flat_store_dwordx2 v[0:1], v[4:5]
	s_or_b32 exec_lo, exec_lo, s7
	s_and_saveexec_b32 s7, s4
	s_cbranch_execz .LBB306_144
.LBB306_154:
	flat_store_dwordx2 v[0:1], v[14:15] offset:8
	s_or_b32 exec_lo, exec_lo, s7
	s_and_saveexec_b32 s4, s5
	s_cbranch_execz .LBB306_145
.LBB306_155:
	flat_store_dwordx2 v[0:1], v[18:19] offset:16
	s_or_b32 exec_lo, exec_lo, s4
	s_and_saveexec_b32 s4, s6
	s_cbranch_execz .LBB306_146
.LBB306_156:
	flat_store_dwordx2 v[0:1], v[16:17] offset:24
	s_or_b32 exec_lo, exec_lo, s4
	s_waitcnt lgkmcnt(0)
	s_setpc_b64 s[30:31]
.Lfunc_end306:
	.size	_ZN7rocprim17ROCPRIM_400000_NS6detail26segmented_warp_sort_helperINS1_20WarpSortHelperConfigILj32ELj4ELj256EEEalLi256ELb1EvE4sortIPKaPaPKlPlEEvT_T0_T1_T2_jjjjRNS5_12storage_typeE, .Lfunc_end306-_ZN7rocprim17ROCPRIM_400000_NS6detail26segmented_warp_sort_helperINS1_20WarpSortHelperConfigILj32ELj4ELj256EEEalLi256ELb1EvE4sortIPKaPaPKlPlEEvT_T0_T1_T2_jjjjRNS5_12storage_typeE
                                        ; -- End function
	.set .L_ZN7rocprim17ROCPRIM_400000_NS6detail26segmented_warp_sort_helperINS1_20WarpSortHelperConfigILj32ELj4ELj256EEEalLi256ELb1EvE4sortIPKaPaPKlPlEEvT_T0_T1_T2_jjjjRNS5_12storage_typeE.num_vgpr, 53
	.set .L_ZN7rocprim17ROCPRIM_400000_NS6detail26segmented_warp_sort_helperINS1_20WarpSortHelperConfigILj32ELj4ELj256EEEalLi256ELb1EvE4sortIPKaPaPKlPlEEvT_T0_T1_T2_jjjjRNS5_12storage_typeE.num_agpr, 0
	.set .L_ZN7rocprim17ROCPRIM_400000_NS6detail26segmented_warp_sort_helperINS1_20WarpSortHelperConfigILj32ELj4ELj256EEEalLi256ELb1EvE4sortIPKaPaPKlPlEEvT_T0_T1_T2_jjjjRNS5_12storage_typeE.numbered_sgpr, 32
	.set .L_ZN7rocprim17ROCPRIM_400000_NS6detail26segmented_warp_sort_helperINS1_20WarpSortHelperConfigILj32ELj4ELj256EEEalLi256ELb1EvE4sortIPKaPaPKlPlEEvT_T0_T1_T2_jjjjRNS5_12storage_typeE.num_named_barrier, 0
	.set .L_ZN7rocprim17ROCPRIM_400000_NS6detail26segmented_warp_sort_helperINS1_20WarpSortHelperConfigILj32ELj4ELj256EEEalLi256ELb1EvE4sortIPKaPaPKlPlEEvT_T0_T1_T2_jjjjRNS5_12storage_typeE.private_seg_size, 0
	.set .L_ZN7rocprim17ROCPRIM_400000_NS6detail26segmented_warp_sort_helperINS1_20WarpSortHelperConfigILj32ELj4ELj256EEEalLi256ELb1EvE4sortIPKaPaPKlPlEEvT_T0_T1_T2_jjjjRNS5_12storage_typeE.uses_vcc, 1
	.set .L_ZN7rocprim17ROCPRIM_400000_NS6detail26segmented_warp_sort_helperINS1_20WarpSortHelperConfigILj32ELj4ELj256EEEalLi256ELb1EvE4sortIPKaPaPKlPlEEvT_T0_T1_T2_jjjjRNS5_12storage_typeE.uses_flat_scratch, 0
	.set .L_ZN7rocprim17ROCPRIM_400000_NS6detail26segmented_warp_sort_helperINS1_20WarpSortHelperConfigILj32ELj4ELj256EEEalLi256ELb1EvE4sortIPKaPaPKlPlEEvT_T0_T1_T2_jjjjRNS5_12storage_typeE.has_dyn_sized_stack, 0
	.set .L_ZN7rocprim17ROCPRIM_400000_NS6detail26segmented_warp_sort_helperINS1_20WarpSortHelperConfigILj32ELj4ELj256EEEalLi256ELb1EvE4sortIPKaPaPKlPlEEvT_T0_T1_T2_jjjjRNS5_12storage_typeE.has_recursion, 0
	.set .L_ZN7rocprim17ROCPRIM_400000_NS6detail26segmented_warp_sort_helperINS1_20WarpSortHelperConfigILj32ELj4ELj256EEEalLi256ELb1EvE4sortIPKaPaPKlPlEEvT_T0_T1_T2_jjjjRNS5_12storage_typeE.has_indirect_call, 0
	.section	.AMDGPU.csdata,"",@progbits
; Function info:
; codeLenInByte = 10988
; TotalNumSgprs: 34
; NumVgprs: 53
; ScratchSize: 0
; MemoryBound: 0
	.section	.text._ZN7rocprim17ROCPRIM_400000_NS6detail17trampoline_kernelINS0_14default_configENS1_36segmented_radix_sort_config_selectorIalEEZNS1_25segmented_radix_sort_implIS3_Lb1EPKaPaPKlPlN2at6native12_GLOBAL__N_18offset_tEEE10hipError_tPvRmT1_PNSt15iterator_traitsISK_E10value_typeET2_T3_PNSL_ISQ_E10value_typeET4_jRbjT5_SW_jjP12ihipStream_tbEUlT_E0_NS1_11comp_targetILNS1_3genE8ELNS1_11target_archE1030ELNS1_3gpuE2ELNS1_3repE0EEENS1_60segmented_radix_sort_warp_sort_medium_config_static_selectorELNS0_4arch9wavefront6targetE0EEEvSK_,"axG",@progbits,_ZN7rocprim17ROCPRIM_400000_NS6detail17trampoline_kernelINS0_14default_configENS1_36segmented_radix_sort_config_selectorIalEEZNS1_25segmented_radix_sort_implIS3_Lb1EPKaPaPKlPlN2at6native12_GLOBAL__N_18offset_tEEE10hipError_tPvRmT1_PNSt15iterator_traitsISK_E10value_typeET2_T3_PNSL_ISQ_E10value_typeET4_jRbjT5_SW_jjP12ihipStream_tbEUlT_E0_NS1_11comp_targetILNS1_3genE8ELNS1_11target_archE1030ELNS1_3gpuE2ELNS1_3repE0EEENS1_60segmented_radix_sort_warp_sort_medium_config_static_selectorELNS0_4arch9wavefront6targetE0EEEvSK_,comdat
	.globl	_ZN7rocprim17ROCPRIM_400000_NS6detail17trampoline_kernelINS0_14default_configENS1_36segmented_radix_sort_config_selectorIalEEZNS1_25segmented_radix_sort_implIS3_Lb1EPKaPaPKlPlN2at6native12_GLOBAL__N_18offset_tEEE10hipError_tPvRmT1_PNSt15iterator_traitsISK_E10value_typeET2_T3_PNSL_ISQ_E10value_typeET4_jRbjT5_SW_jjP12ihipStream_tbEUlT_E0_NS1_11comp_targetILNS1_3genE8ELNS1_11target_archE1030ELNS1_3gpuE2ELNS1_3repE0EEENS1_60segmented_radix_sort_warp_sort_medium_config_static_selectorELNS0_4arch9wavefront6targetE0EEEvSK_ ; -- Begin function _ZN7rocprim17ROCPRIM_400000_NS6detail17trampoline_kernelINS0_14default_configENS1_36segmented_radix_sort_config_selectorIalEEZNS1_25segmented_radix_sort_implIS3_Lb1EPKaPaPKlPlN2at6native12_GLOBAL__N_18offset_tEEE10hipError_tPvRmT1_PNSt15iterator_traitsISK_E10value_typeET2_T3_PNSL_ISQ_E10value_typeET4_jRbjT5_SW_jjP12ihipStream_tbEUlT_E0_NS1_11comp_targetILNS1_3genE8ELNS1_11target_archE1030ELNS1_3gpuE2ELNS1_3repE0EEENS1_60segmented_radix_sort_warp_sort_medium_config_static_selectorELNS0_4arch9wavefront6targetE0EEEvSK_
	.p2align	8
	.type	_ZN7rocprim17ROCPRIM_400000_NS6detail17trampoline_kernelINS0_14default_configENS1_36segmented_radix_sort_config_selectorIalEEZNS1_25segmented_radix_sort_implIS3_Lb1EPKaPaPKlPlN2at6native12_GLOBAL__N_18offset_tEEE10hipError_tPvRmT1_PNSt15iterator_traitsISK_E10value_typeET2_T3_PNSL_ISQ_E10value_typeET4_jRbjT5_SW_jjP12ihipStream_tbEUlT_E0_NS1_11comp_targetILNS1_3genE8ELNS1_11target_archE1030ELNS1_3gpuE2ELNS1_3repE0EEENS1_60segmented_radix_sort_warp_sort_medium_config_static_selectorELNS0_4arch9wavefront6targetE0EEEvSK_,@function
_ZN7rocprim17ROCPRIM_400000_NS6detail17trampoline_kernelINS0_14default_configENS1_36segmented_radix_sort_config_selectorIalEEZNS1_25segmented_radix_sort_implIS3_Lb1EPKaPaPKlPlN2at6native12_GLOBAL__N_18offset_tEEE10hipError_tPvRmT1_PNSt15iterator_traitsISK_E10value_typeET2_T3_PNSL_ISQ_E10value_typeET4_jRbjT5_SW_jjP12ihipStream_tbEUlT_E0_NS1_11comp_targetILNS1_3genE8ELNS1_11target_archE1030ELNS1_3gpuE2ELNS1_3repE0EEENS1_60segmented_radix_sort_warp_sort_medium_config_static_selectorELNS0_4arch9wavefront6targetE0EEEvSK_: ; @_ZN7rocprim17ROCPRIM_400000_NS6detail17trampoline_kernelINS0_14default_configENS1_36segmented_radix_sort_config_selectorIalEEZNS1_25segmented_radix_sort_implIS3_Lb1EPKaPaPKlPlN2at6native12_GLOBAL__N_18offset_tEEE10hipError_tPvRmT1_PNSt15iterator_traitsISK_E10value_typeET2_T3_PNSL_ISQ_E10value_typeET4_jRbjT5_SW_jjP12ihipStream_tbEUlT_E0_NS1_11comp_targetILNS1_3genE8ELNS1_11target_archE1030ELNS1_3gpuE2ELNS1_3repE0EEENS1_60segmented_radix_sort_warp_sort_medium_config_static_selectorELNS0_4arch9wavefront6targetE0EEEvSK_
; %bb.0:
	s_add_u32 s0, s0, s8
	s_load_dword s8, s[4:5], 0x64
	s_addc_u32 s1, s1, 0
	s_mov_b32 s32, 0
	s_waitcnt lgkmcnt(0)
	s_lshr_b32 s9, s8, 16
	s_and_b32 s8, s8, 0xffff
	v_mad_u32_u24 v3, v2, s9, v1
	s_load_dword s9, s[4:5], 0x34
	v_mad_u64_u32 v[3:4], null, v3, s8, v[0:1]
	s_mov_b32 s8, exec_lo
	v_lshrrev_b32_e32 v3, 5, v3
	v_lshl_add_u32 v3, s6, 3, v3
	s_waitcnt lgkmcnt(0)
	v_cmpx_gt_u32_e64 s9, v3
	s_cbranch_execz .LBB307_6
; %bb.1:
	s_clause 0x1
	s_load_dwordx2 s[12:13], s[4:5], 0x38
	s_load_dwordx4 s[8:11], s[4:5], 0x40
	v_mov_b32_e32 v4, 0
	v_lshlrev_b64 v[3:4], 2, v[3:4]
	s_waitcnt lgkmcnt(0)
	v_add_co_u32 v3, vcc_lo, s12, v3
	v_add_co_ci_u32_e64 v4, null, s13, v4, vcc_lo
	global_load_dword v3, v[3:4], off
	s_waitcnt vmcnt(0)
	v_add_nc_u32_e32 v4, s9, v3
	v_add_nc_u32_e32 v3, s11, v3
	v_mul_lo_u32 v8, v4, s8
	v_mul_lo_u32 v40, v3, s10
	v_cmp_gt_u32_e32 vcc_lo, v40, v8
	s_and_b32 exec_lo, exec_lo, vcc_lo
	s_cbranch_execz .LBB307_6
; %bb.2:
	s_clause 0x3
	s_load_dword s8, s[4:5], 0x30
	s_load_dwordx4 s[36:39], s[4:5], 0x20
	s_load_dwordx8 s[20:27], s[4:5], 0x0
	s_load_dwordx2 s[28:29], s[4:5], 0x50
	v_lshlrev_b32_e32 v42, 20, v2
	v_lshlrev_b32_e32 v43, 10, v1
	s_waitcnt lgkmcnt(0)
	s_bitcmp0_b32 s8, 0
	s_mov_b32 s8, -1
	s_cbranch_scc0 .LBB307_4
; %bb.3:
	s_mov_b64 s[10:11], src_shared_base
	v_or3_b32 v31, v0, v43, v42
	v_mov_b32_e32 v41, v0
	v_mov_b32_e32 v0, s20
	;; [unrolled: 1-line block ×14, first 2 shown]
	s_add_u32 s8, s4, 0x58
	s_addc_u32 s9, s5, 0
	s_getpc_b64 s[14:15]
	s_add_u32 s14, s14, _ZN7rocprim17ROCPRIM_400000_NS6detail26segmented_warp_sort_helperINS1_20WarpSortHelperConfigILj32ELj4ELj256EEEalLi256ELb1EvE4sortIPKaPaPKlPlEEvT_T0_T1_T2_jjjjRNS5_12storage_typeE@rel32@lo+4
	s_addc_u32 s15, s15, _ZN7rocprim17ROCPRIM_400000_NS6detail26segmented_warp_sort_helperINS1_20WarpSortHelperConfigILj32ELj4ELj256EEEalLi256ELb1EvE4sortIPKaPaPKlPlEEvT_T0_T1_T2_jjjjRNS5_12storage_typeE@rel32@hi+12
	s_mov_b32 s12, s6
	s_mov_b32 s13, s7
	s_mov_b64 s[22:23], s[4:5]
	s_mov_b32 s19, s7
	s_mov_b32 s33, s6
	s_swappc_b64 s[30:31], s[14:15]
	v_mov_b32_e32 v0, v41
	s_mov_b32 s6, s33
	s_mov_b32 s7, s19
	s_mov_b64 s[4:5], s[22:23]
	s_mov_b32 s8, 0
.LBB307_4:
	s_andn2_b32 vcc_lo, exec_lo, s8
	s_cbranch_vccnz .LBB307_6
; %bb.5:
	s_mov_b64 s[10:11], src_shared_base
	v_or3_b32 v31, v0, v43, v42
	v_mov_b32_e32 v0, s20
	v_mov_b32_e32 v1, s21
	;; [unrolled: 1-line block ×13, first 2 shown]
	s_add_u32 s8, s4, 0x58
	s_addc_u32 s9, s5, 0
	s_getpc_b64 s[4:5]
	s_add_u32 s4, s4, _ZN7rocprim17ROCPRIM_400000_NS6detail26segmented_warp_sort_helperINS1_20WarpSortHelperConfigILj32ELj4ELj256EEEalLi256ELb1EvE4sortIPKaPaPKlPlEEvT_T0_T1_T2_jjjjRNS5_12storage_typeE@rel32@lo+4
	s_addc_u32 s5, s5, _ZN7rocprim17ROCPRIM_400000_NS6detail26segmented_warp_sort_helperINS1_20WarpSortHelperConfigILj32ELj4ELj256EEEalLi256ELb1EvE4sortIPKaPaPKlPlEEvT_T0_T1_T2_jjjjRNS5_12storage_typeE@rel32@hi+12
	s_mov_b32 s12, s6
	s_mov_b32 s13, s7
	s_swappc_b64 s[30:31], s[4:5]
.LBB307_6:
	s_endpgm
	.section	.rodata,"a",@progbits
	.p2align	6, 0x0
	.amdhsa_kernel _ZN7rocprim17ROCPRIM_400000_NS6detail17trampoline_kernelINS0_14default_configENS1_36segmented_radix_sort_config_selectorIalEEZNS1_25segmented_radix_sort_implIS3_Lb1EPKaPaPKlPlN2at6native12_GLOBAL__N_18offset_tEEE10hipError_tPvRmT1_PNSt15iterator_traitsISK_E10value_typeET2_T3_PNSL_ISQ_E10value_typeET4_jRbjT5_SW_jjP12ihipStream_tbEUlT_E0_NS1_11comp_targetILNS1_3genE8ELNS1_11target_archE1030ELNS1_3gpuE2ELNS1_3repE0EEENS1_60segmented_radix_sort_warp_sort_medium_config_static_selectorELNS0_4arch9wavefront6targetE0EEEvSK_
		.amdhsa_group_segment_fixed_size 9216
		.amdhsa_private_segment_fixed_size 0
		.amdhsa_kernarg_size 344
		.amdhsa_user_sgpr_count 6
		.amdhsa_user_sgpr_private_segment_buffer 1
		.amdhsa_user_sgpr_dispatch_ptr 0
		.amdhsa_user_sgpr_queue_ptr 0
		.amdhsa_user_sgpr_kernarg_segment_ptr 1
		.amdhsa_user_sgpr_dispatch_id 0
		.amdhsa_user_sgpr_flat_scratch_init 0
		.amdhsa_user_sgpr_private_segment_size 0
		.amdhsa_wavefront_size32 1
		.amdhsa_uses_dynamic_stack 0
		.amdhsa_system_sgpr_private_segment_wavefront_offset 0
		.amdhsa_system_sgpr_workgroup_id_x 1
		.amdhsa_system_sgpr_workgroup_id_y 1
		.amdhsa_system_sgpr_workgroup_id_z 0
		.amdhsa_system_sgpr_workgroup_info 0
		.amdhsa_system_vgpr_workitem_id 2
		.amdhsa_next_free_vgpr 53
		.amdhsa_next_free_sgpr 40
		.amdhsa_reserve_vcc 1
		.amdhsa_reserve_flat_scratch 0
		.amdhsa_float_round_mode_32 0
		.amdhsa_float_round_mode_16_64 0
		.amdhsa_float_denorm_mode_32 3
		.amdhsa_float_denorm_mode_16_64 3
		.amdhsa_dx10_clamp 1
		.amdhsa_ieee_mode 1
		.amdhsa_fp16_overflow 0
		.amdhsa_workgroup_processor_mode 1
		.amdhsa_memory_ordered 1
		.amdhsa_forward_progress 1
		.amdhsa_shared_vgpr_count 0
		.amdhsa_exception_fp_ieee_invalid_op 0
		.amdhsa_exception_fp_denorm_src 0
		.amdhsa_exception_fp_ieee_div_zero 0
		.amdhsa_exception_fp_ieee_overflow 0
		.amdhsa_exception_fp_ieee_underflow 0
		.amdhsa_exception_fp_ieee_inexact 0
		.amdhsa_exception_int_div_zero 0
	.end_amdhsa_kernel
	.section	.text._ZN7rocprim17ROCPRIM_400000_NS6detail17trampoline_kernelINS0_14default_configENS1_36segmented_radix_sort_config_selectorIalEEZNS1_25segmented_radix_sort_implIS3_Lb1EPKaPaPKlPlN2at6native12_GLOBAL__N_18offset_tEEE10hipError_tPvRmT1_PNSt15iterator_traitsISK_E10value_typeET2_T3_PNSL_ISQ_E10value_typeET4_jRbjT5_SW_jjP12ihipStream_tbEUlT_E0_NS1_11comp_targetILNS1_3genE8ELNS1_11target_archE1030ELNS1_3gpuE2ELNS1_3repE0EEENS1_60segmented_radix_sort_warp_sort_medium_config_static_selectorELNS0_4arch9wavefront6targetE0EEEvSK_,"axG",@progbits,_ZN7rocprim17ROCPRIM_400000_NS6detail17trampoline_kernelINS0_14default_configENS1_36segmented_radix_sort_config_selectorIalEEZNS1_25segmented_radix_sort_implIS3_Lb1EPKaPaPKlPlN2at6native12_GLOBAL__N_18offset_tEEE10hipError_tPvRmT1_PNSt15iterator_traitsISK_E10value_typeET2_T3_PNSL_ISQ_E10value_typeET4_jRbjT5_SW_jjP12ihipStream_tbEUlT_E0_NS1_11comp_targetILNS1_3genE8ELNS1_11target_archE1030ELNS1_3gpuE2ELNS1_3repE0EEENS1_60segmented_radix_sort_warp_sort_medium_config_static_selectorELNS0_4arch9wavefront6targetE0EEEvSK_,comdat
.Lfunc_end307:
	.size	_ZN7rocprim17ROCPRIM_400000_NS6detail17trampoline_kernelINS0_14default_configENS1_36segmented_radix_sort_config_selectorIalEEZNS1_25segmented_radix_sort_implIS3_Lb1EPKaPaPKlPlN2at6native12_GLOBAL__N_18offset_tEEE10hipError_tPvRmT1_PNSt15iterator_traitsISK_E10value_typeET2_T3_PNSL_ISQ_E10value_typeET4_jRbjT5_SW_jjP12ihipStream_tbEUlT_E0_NS1_11comp_targetILNS1_3genE8ELNS1_11target_archE1030ELNS1_3gpuE2ELNS1_3repE0EEENS1_60segmented_radix_sort_warp_sort_medium_config_static_selectorELNS0_4arch9wavefront6targetE0EEEvSK_, .Lfunc_end307-_ZN7rocprim17ROCPRIM_400000_NS6detail17trampoline_kernelINS0_14default_configENS1_36segmented_radix_sort_config_selectorIalEEZNS1_25segmented_radix_sort_implIS3_Lb1EPKaPaPKlPlN2at6native12_GLOBAL__N_18offset_tEEE10hipError_tPvRmT1_PNSt15iterator_traitsISK_E10value_typeET2_T3_PNSL_ISQ_E10value_typeET4_jRbjT5_SW_jjP12ihipStream_tbEUlT_E0_NS1_11comp_targetILNS1_3genE8ELNS1_11target_archE1030ELNS1_3gpuE2ELNS1_3repE0EEENS1_60segmented_radix_sort_warp_sort_medium_config_static_selectorELNS0_4arch9wavefront6targetE0EEEvSK_
                                        ; -- End function
	.set _ZN7rocprim17ROCPRIM_400000_NS6detail17trampoline_kernelINS0_14default_configENS1_36segmented_radix_sort_config_selectorIalEEZNS1_25segmented_radix_sort_implIS3_Lb1EPKaPaPKlPlN2at6native12_GLOBAL__N_18offset_tEEE10hipError_tPvRmT1_PNSt15iterator_traitsISK_E10value_typeET2_T3_PNSL_ISQ_E10value_typeET4_jRbjT5_SW_jjP12ihipStream_tbEUlT_E0_NS1_11comp_targetILNS1_3genE8ELNS1_11target_archE1030ELNS1_3gpuE2ELNS1_3repE0EEENS1_60segmented_radix_sort_warp_sort_medium_config_static_selectorELNS0_4arch9wavefront6targetE0EEEvSK_.num_vgpr, max(44, .L_ZN7rocprim17ROCPRIM_400000_NS6detail26segmented_warp_sort_helperINS1_20WarpSortHelperConfigILj32ELj4ELj256EEEalLi256ELb1EvE4sortIPKaPaPKlPlEEvT_T0_T1_T2_jjjjRNS5_12storage_typeE.num_vgpr)
	.set _ZN7rocprim17ROCPRIM_400000_NS6detail17trampoline_kernelINS0_14default_configENS1_36segmented_radix_sort_config_selectorIalEEZNS1_25segmented_radix_sort_implIS3_Lb1EPKaPaPKlPlN2at6native12_GLOBAL__N_18offset_tEEE10hipError_tPvRmT1_PNSt15iterator_traitsISK_E10value_typeET2_T3_PNSL_ISQ_E10value_typeET4_jRbjT5_SW_jjP12ihipStream_tbEUlT_E0_NS1_11comp_targetILNS1_3genE8ELNS1_11target_archE1030ELNS1_3gpuE2ELNS1_3repE0EEENS1_60segmented_radix_sort_warp_sort_medium_config_static_selectorELNS0_4arch9wavefront6targetE0EEEvSK_.num_agpr, max(0, .L_ZN7rocprim17ROCPRIM_400000_NS6detail26segmented_warp_sort_helperINS1_20WarpSortHelperConfigILj32ELj4ELj256EEEalLi256ELb1EvE4sortIPKaPaPKlPlEEvT_T0_T1_T2_jjjjRNS5_12storage_typeE.num_agpr)
	.set _ZN7rocprim17ROCPRIM_400000_NS6detail17trampoline_kernelINS0_14default_configENS1_36segmented_radix_sort_config_selectorIalEEZNS1_25segmented_radix_sort_implIS3_Lb1EPKaPaPKlPlN2at6native12_GLOBAL__N_18offset_tEEE10hipError_tPvRmT1_PNSt15iterator_traitsISK_E10value_typeET2_T3_PNSL_ISQ_E10value_typeET4_jRbjT5_SW_jjP12ihipStream_tbEUlT_E0_NS1_11comp_targetILNS1_3genE8ELNS1_11target_archE1030ELNS1_3gpuE2ELNS1_3repE0EEENS1_60segmented_radix_sort_warp_sort_medium_config_static_selectorELNS0_4arch9wavefront6targetE0EEEvSK_.numbered_sgpr, max(40, .L_ZN7rocprim17ROCPRIM_400000_NS6detail26segmented_warp_sort_helperINS1_20WarpSortHelperConfigILj32ELj4ELj256EEEalLi256ELb1EvE4sortIPKaPaPKlPlEEvT_T0_T1_T2_jjjjRNS5_12storage_typeE.numbered_sgpr)
	.set _ZN7rocprim17ROCPRIM_400000_NS6detail17trampoline_kernelINS0_14default_configENS1_36segmented_radix_sort_config_selectorIalEEZNS1_25segmented_radix_sort_implIS3_Lb1EPKaPaPKlPlN2at6native12_GLOBAL__N_18offset_tEEE10hipError_tPvRmT1_PNSt15iterator_traitsISK_E10value_typeET2_T3_PNSL_ISQ_E10value_typeET4_jRbjT5_SW_jjP12ihipStream_tbEUlT_E0_NS1_11comp_targetILNS1_3genE8ELNS1_11target_archE1030ELNS1_3gpuE2ELNS1_3repE0EEENS1_60segmented_radix_sort_warp_sort_medium_config_static_selectorELNS0_4arch9wavefront6targetE0EEEvSK_.num_named_barrier, max(0, .L_ZN7rocprim17ROCPRIM_400000_NS6detail26segmented_warp_sort_helperINS1_20WarpSortHelperConfigILj32ELj4ELj256EEEalLi256ELb1EvE4sortIPKaPaPKlPlEEvT_T0_T1_T2_jjjjRNS5_12storage_typeE.num_named_barrier)
	.set _ZN7rocprim17ROCPRIM_400000_NS6detail17trampoline_kernelINS0_14default_configENS1_36segmented_radix_sort_config_selectorIalEEZNS1_25segmented_radix_sort_implIS3_Lb1EPKaPaPKlPlN2at6native12_GLOBAL__N_18offset_tEEE10hipError_tPvRmT1_PNSt15iterator_traitsISK_E10value_typeET2_T3_PNSL_ISQ_E10value_typeET4_jRbjT5_SW_jjP12ihipStream_tbEUlT_E0_NS1_11comp_targetILNS1_3genE8ELNS1_11target_archE1030ELNS1_3gpuE2ELNS1_3repE0EEENS1_60segmented_radix_sort_warp_sort_medium_config_static_selectorELNS0_4arch9wavefront6targetE0EEEvSK_.private_seg_size, 0+max(.L_ZN7rocprim17ROCPRIM_400000_NS6detail26segmented_warp_sort_helperINS1_20WarpSortHelperConfigILj32ELj4ELj256EEEalLi256ELb1EvE4sortIPKaPaPKlPlEEvT_T0_T1_T2_jjjjRNS5_12storage_typeE.private_seg_size)
	.set _ZN7rocprim17ROCPRIM_400000_NS6detail17trampoline_kernelINS0_14default_configENS1_36segmented_radix_sort_config_selectorIalEEZNS1_25segmented_radix_sort_implIS3_Lb1EPKaPaPKlPlN2at6native12_GLOBAL__N_18offset_tEEE10hipError_tPvRmT1_PNSt15iterator_traitsISK_E10value_typeET2_T3_PNSL_ISQ_E10value_typeET4_jRbjT5_SW_jjP12ihipStream_tbEUlT_E0_NS1_11comp_targetILNS1_3genE8ELNS1_11target_archE1030ELNS1_3gpuE2ELNS1_3repE0EEENS1_60segmented_radix_sort_warp_sort_medium_config_static_selectorELNS0_4arch9wavefront6targetE0EEEvSK_.uses_vcc, or(1, .L_ZN7rocprim17ROCPRIM_400000_NS6detail26segmented_warp_sort_helperINS1_20WarpSortHelperConfigILj32ELj4ELj256EEEalLi256ELb1EvE4sortIPKaPaPKlPlEEvT_T0_T1_T2_jjjjRNS5_12storage_typeE.uses_vcc)
	.set _ZN7rocprim17ROCPRIM_400000_NS6detail17trampoline_kernelINS0_14default_configENS1_36segmented_radix_sort_config_selectorIalEEZNS1_25segmented_radix_sort_implIS3_Lb1EPKaPaPKlPlN2at6native12_GLOBAL__N_18offset_tEEE10hipError_tPvRmT1_PNSt15iterator_traitsISK_E10value_typeET2_T3_PNSL_ISQ_E10value_typeET4_jRbjT5_SW_jjP12ihipStream_tbEUlT_E0_NS1_11comp_targetILNS1_3genE8ELNS1_11target_archE1030ELNS1_3gpuE2ELNS1_3repE0EEENS1_60segmented_radix_sort_warp_sort_medium_config_static_selectorELNS0_4arch9wavefront6targetE0EEEvSK_.uses_flat_scratch, or(0, .L_ZN7rocprim17ROCPRIM_400000_NS6detail26segmented_warp_sort_helperINS1_20WarpSortHelperConfigILj32ELj4ELj256EEEalLi256ELb1EvE4sortIPKaPaPKlPlEEvT_T0_T1_T2_jjjjRNS5_12storage_typeE.uses_flat_scratch)
	.set _ZN7rocprim17ROCPRIM_400000_NS6detail17trampoline_kernelINS0_14default_configENS1_36segmented_radix_sort_config_selectorIalEEZNS1_25segmented_radix_sort_implIS3_Lb1EPKaPaPKlPlN2at6native12_GLOBAL__N_18offset_tEEE10hipError_tPvRmT1_PNSt15iterator_traitsISK_E10value_typeET2_T3_PNSL_ISQ_E10value_typeET4_jRbjT5_SW_jjP12ihipStream_tbEUlT_E0_NS1_11comp_targetILNS1_3genE8ELNS1_11target_archE1030ELNS1_3gpuE2ELNS1_3repE0EEENS1_60segmented_radix_sort_warp_sort_medium_config_static_selectorELNS0_4arch9wavefront6targetE0EEEvSK_.has_dyn_sized_stack, or(0, .L_ZN7rocprim17ROCPRIM_400000_NS6detail26segmented_warp_sort_helperINS1_20WarpSortHelperConfigILj32ELj4ELj256EEEalLi256ELb1EvE4sortIPKaPaPKlPlEEvT_T0_T1_T2_jjjjRNS5_12storage_typeE.has_dyn_sized_stack)
	.set _ZN7rocprim17ROCPRIM_400000_NS6detail17trampoline_kernelINS0_14default_configENS1_36segmented_radix_sort_config_selectorIalEEZNS1_25segmented_radix_sort_implIS3_Lb1EPKaPaPKlPlN2at6native12_GLOBAL__N_18offset_tEEE10hipError_tPvRmT1_PNSt15iterator_traitsISK_E10value_typeET2_T3_PNSL_ISQ_E10value_typeET4_jRbjT5_SW_jjP12ihipStream_tbEUlT_E0_NS1_11comp_targetILNS1_3genE8ELNS1_11target_archE1030ELNS1_3gpuE2ELNS1_3repE0EEENS1_60segmented_radix_sort_warp_sort_medium_config_static_selectorELNS0_4arch9wavefront6targetE0EEEvSK_.has_recursion, or(0, .L_ZN7rocprim17ROCPRIM_400000_NS6detail26segmented_warp_sort_helperINS1_20WarpSortHelperConfigILj32ELj4ELj256EEEalLi256ELb1EvE4sortIPKaPaPKlPlEEvT_T0_T1_T2_jjjjRNS5_12storage_typeE.has_recursion)
	.set _ZN7rocprim17ROCPRIM_400000_NS6detail17trampoline_kernelINS0_14default_configENS1_36segmented_radix_sort_config_selectorIalEEZNS1_25segmented_radix_sort_implIS3_Lb1EPKaPaPKlPlN2at6native12_GLOBAL__N_18offset_tEEE10hipError_tPvRmT1_PNSt15iterator_traitsISK_E10value_typeET2_T3_PNSL_ISQ_E10value_typeET4_jRbjT5_SW_jjP12ihipStream_tbEUlT_E0_NS1_11comp_targetILNS1_3genE8ELNS1_11target_archE1030ELNS1_3gpuE2ELNS1_3repE0EEENS1_60segmented_radix_sort_warp_sort_medium_config_static_selectorELNS0_4arch9wavefront6targetE0EEEvSK_.has_indirect_call, or(0, .L_ZN7rocprim17ROCPRIM_400000_NS6detail26segmented_warp_sort_helperINS1_20WarpSortHelperConfigILj32ELj4ELj256EEEalLi256ELb1EvE4sortIPKaPaPKlPlEEvT_T0_T1_T2_jjjjRNS5_12storage_typeE.has_indirect_call)
	.section	.AMDGPU.csdata,"",@progbits
; Kernel info:
; codeLenInByte = 516
; TotalNumSgprs: 42
; NumVgprs: 53
; ScratchSize: 0
; MemoryBound: 0
; FloatMode: 240
; IeeeMode: 1
; LDSByteSize: 9216 bytes/workgroup (compile time only)
; SGPRBlocks: 0
; VGPRBlocks: 6
; NumSGPRsForWavesPerEU: 42
; NumVGPRsForWavesPerEU: 53
; Occupancy: 16
; WaveLimiterHint : 0
; COMPUTE_PGM_RSRC2:SCRATCH_EN: 0
; COMPUTE_PGM_RSRC2:USER_SGPR: 6
; COMPUTE_PGM_RSRC2:TRAP_HANDLER: 0
; COMPUTE_PGM_RSRC2:TGID_X_EN: 1
; COMPUTE_PGM_RSRC2:TGID_Y_EN: 1
; COMPUTE_PGM_RSRC2:TGID_Z_EN: 0
; COMPUTE_PGM_RSRC2:TIDIG_COMP_CNT: 2
	.section	.text._ZN7rocprim17ROCPRIM_400000_NS6detail17trampoline_kernelINS0_14default_configENS1_36segmented_radix_sort_config_selectorIalEEZNS1_25segmented_radix_sort_implIS3_Lb1EPKaPaPKlPlN2at6native12_GLOBAL__N_18offset_tEEE10hipError_tPvRmT1_PNSt15iterator_traitsISK_E10value_typeET2_T3_PNSL_ISQ_E10value_typeET4_jRbjT5_SW_jjP12ihipStream_tbEUlT_E1_NS1_11comp_targetILNS1_3genE0ELNS1_11target_archE4294967295ELNS1_3gpuE0ELNS1_3repE0EEENS1_59segmented_radix_sort_warp_sort_small_config_static_selectorELNS0_4arch9wavefront6targetE0EEEvSK_,"axG",@progbits,_ZN7rocprim17ROCPRIM_400000_NS6detail17trampoline_kernelINS0_14default_configENS1_36segmented_radix_sort_config_selectorIalEEZNS1_25segmented_radix_sort_implIS3_Lb1EPKaPaPKlPlN2at6native12_GLOBAL__N_18offset_tEEE10hipError_tPvRmT1_PNSt15iterator_traitsISK_E10value_typeET2_T3_PNSL_ISQ_E10value_typeET4_jRbjT5_SW_jjP12ihipStream_tbEUlT_E1_NS1_11comp_targetILNS1_3genE0ELNS1_11target_archE4294967295ELNS1_3gpuE0ELNS1_3repE0EEENS1_59segmented_radix_sort_warp_sort_small_config_static_selectorELNS0_4arch9wavefront6targetE0EEEvSK_,comdat
	.globl	_ZN7rocprim17ROCPRIM_400000_NS6detail17trampoline_kernelINS0_14default_configENS1_36segmented_radix_sort_config_selectorIalEEZNS1_25segmented_radix_sort_implIS3_Lb1EPKaPaPKlPlN2at6native12_GLOBAL__N_18offset_tEEE10hipError_tPvRmT1_PNSt15iterator_traitsISK_E10value_typeET2_T3_PNSL_ISQ_E10value_typeET4_jRbjT5_SW_jjP12ihipStream_tbEUlT_E1_NS1_11comp_targetILNS1_3genE0ELNS1_11target_archE4294967295ELNS1_3gpuE0ELNS1_3repE0EEENS1_59segmented_radix_sort_warp_sort_small_config_static_selectorELNS0_4arch9wavefront6targetE0EEEvSK_ ; -- Begin function _ZN7rocprim17ROCPRIM_400000_NS6detail17trampoline_kernelINS0_14default_configENS1_36segmented_radix_sort_config_selectorIalEEZNS1_25segmented_radix_sort_implIS3_Lb1EPKaPaPKlPlN2at6native12_GLOBAL__N_18offset_tEEE10hipError_tPvRmT1_PNSt15iterator_traitsISK_E10value_typeET2_T3_PNSL_ISQ_E10value_typeET4_jRbjT5_SW_jjP12ihipStream_tbEUlT_E1_NS1_11comp_targetILNS1_3genE0ELNS1_11target_archE4294967295ELNS1_3gpuE0ELNS1_3repE0EEENS1_59segmented_radix_sort_warp_sort_small_config_static_selectorELNS0_4arch9wavefront6targetE0EEEvSK_
	.p2align	8
	.type	_ZN7rocprim17ROCPRIM_400000_NS6detail17trampoline_kernelINS0_14default_configENS1_36segmented_radix_sort_config_selectorIalEEZNS1_25segmented_radix_sort_implIS3_Lb1EPKaPaPKlPlN2at6native12_GLOBAL__N_18offset_tEEE10hipError_tPvRmT1_PNSt15iterator_traitsISK_E10value_typeET2_T3_PNSL_ISQ_E10value_typeET4_jRbjT5_SW_jjP12ihipStream_tbEUlT_E1_NS1_11comp_targetILNS1_3genE0ELNS1_11target_archE4294967295ELNS1_3gpuE0ELNS1_3repE0EEENS1_59segmented_radix_sort_warp_sort_small_config_static_selectorELNS0_4arch9wavefront6targetE0EEEvSK_,@function
_ZN7rocprim17ROCPRIM_400000_NS6detail17trampoline_kernelINS0_14default_configENS1_36segmented_radix_sort_config_selectorIalEEZNS1_25segmented_radix_sort_implIS3_Lb1EPKaPaPKlPlN2at6native12_GLOBAL__N_18offset_tEEE10hipError_tPvRmT1_PNSt15iterator_traitsISK_E10value_typeET2_T3_PNSL_ISQ_E10value_typeET4_jRbjT5_SW_jjP12ihipStream_tbEUlT_E1_NS1_11comp_targetILNS1_3genE0ELNS1_11target_archE4294967295ELNS1_3gpuE0ELNS1_3repE0EEENS1_59segmented_radix_sort_warp_sort_small_config_static_selectorELNS0_4arch9wavefront6targetE0EEEvSK_: ; @_ZN7rocprim17ROCPRIM_400000_NS6detail17trampoline_kernelINS0_14default_configENS1_36segmented_radix_sort_config_selectorIalEEZNS1_25segmented_radix_sort_implIS3_Lb1EPKaPaPKlPlN2at6native12_GLOBAL__N_18offset_tEEE10hipError_tPvRmT1_PNSt15iterator_traitsISK_E10value_typeET2_T3_PNSL_ISQ_E10value_typeET4_jRbjT5_SW_jjP12ihipStream_tbEUlT_E1_NS1_11comp_targetILNS1_3genE0ELNS1_11target_archE4294967295ELNS1_3gpuE0ELNS1_3repE0EEENS1_59segmented_radix_sort_warp_sort_small_config_static_selectorELNS0_4arch9wavefront6targetE0EEEvSK_
; %bb.0:
	.section	.rodata,"a",@progbits
	.p2align	6, 0x0
	.amdhsa_kernel _ZN7rocprim17ROCPRIM_400000_NS6detail17trampoline_kernelINS0_14default_configENS1_36segmented_radix_sort_config_selectorIalEEZNS1_25segmented_radix_sort_implIS3_Lb1EPKaPaPKlPlN2at6native12_GLOBAL__N_18offset_tEEE10hipError_tPvRmT1_PNSt15iterator_traitsISK_E10value_typeET2_T3_PNSL_ISQ_E10value_typeET4_jRbjT5_SW_jjP12ihipStream_tbEUlT_E1_NS1_11comp_targetILNS1_3genE0ELNS1_11target_archE4294967295ELNS1_3gpuE0ELNS1_3repE0EEENS1_59segmented_radix_sort_warp_sort_small_config_static_selectorELNS0_4arch9wavefront6targetE0EEEvSK_
		.amdhsa_group_segment_fixed_size 0
		.amdhsa_private_segment_fixed_size 0
		.amdhsa_kernarg_size 88
		.amdhsa_user_sgpr_count 6
		.amdhsa_user_sgpr_private_segment_buffer 1
		.amdhsa_user_sgpr_dispatch_ptr 0
		.amdhsa_user_sgpr_queue_ptr 0
		.amdhsa_user_sgpr_kernarg_segment_ptr 1
		.amdhsa_user_sgpr_dispatch_id 0
		.amdhsa_user_sgpr_flat_scratch_init 0
		.amdhsa_user_sgpr_private_segment_size 0
		.amdhsa_wavefront_size32 1
		.amdhsa_uses_dynamic_stack 0
		.amdhsa_system_sgpr_private_segment_wavefront_offset 0
		.amdhsa_system_sgpr_workgroup_id_x 1
		.amdhsa_system_sgpr_workgroup_id_y 0
		.amdhsa_system_sgpr_workgroup_id_z 0
		.amdhsa_system_sgpr_workgroup_info 0
		.amdhsa_system_vgpr_workitem_id 0
		.amdhsa_next_free_vgpr 1
		.amdhsa_next_free_sgpr 1
		.amdhsa_reserve_vcc 0
		.amdhsa_reserve_flat_scratch 0
		.amdhsa_float_round_mode_32 0
		.amdhsa_float_round_mode_16_64 0
		.amdhsa_float_denorm_mode_32 3
		.amdhsa_float_denorm_mode_16_64 3
		.amdhsa_dx10_clamp 1
		.amdhsa_ieee_mode 1
		.amdhsa_fp16_overflow 0
		.amdhsa_workgroup_processor_mode 1
		.amdhsa_memory_ordered 1
		.amdhsa_forward_progress 1
		.amdhsa_shared_vgpr_count 0
		.amdhsa_exception_fp_ieee_invalid_op 0
		.amdhsa_exception_fp_denorm_src 0
		.amdhsa_exception_fp_ieee_div_zero 0
		.amdhsa_exception_fp_ieee_overflow 0
		.amdhsa_exception_fp_ieee_underflow 0
		.amdhsa_exception_fp_ieee_inexact 0
		.amdhsa_exception_int_div_zero 0
	.end_amdhsa_kernel
	.section	.text._ZN7rocprim17ROCPRIM_400000_NS6detail17trampoline_kernelINS0_14default_configENS1_36segmented_radix_sort_config_selectorIalEEZNS1_25segmented_radix_sort_implIS3_Lb1EPKaPaPKlPlN2at6native12_GLOBAL__N_18offset_tEEE10hipError_tPvRmT1_PNSt15iterator_traitsISK_E10value_typeET2_T3_PNSL_ISQ_E10value_typeET4_jRbjT5_SW_jjP12ihipStream_tbEUlT_E1_NS1_11comp_targetILNS1_3genE0ELNS1_11target_archE4294967295ELNS1_3gpuE0ELNS1_3repE0EEENS1_59segmented_radix_sort_warp_sort_small_config_static_selectorELNS0_4arch9wavefront6targetE0EEEvSK_,"axG",@progbits,_ZN7rocprim17ROCPRIM_400000_NS6detail17trampoline_kernelINS0_14default_configENS1_36segmented_radix_sort_config_selectorIalEEZNS1_25segmented_radix_sort_implIS3_Lb1EPKaPaPKlPlN2at6native12_GLOBAL__N_18offset_tEEE10hipError_tPvRmT1_PNSt15iterator_traitsISK_E10value_typeET2_T3_PNSL_ISQ_E10value_typeET4_jRbjT5_SW_jjP12ihipStream_tbEUlT_E1_NS1_11comp_targetILNS1_3genE0ELNS1_11target_archE4294967295ELNS1_3gpuE0ELNS1_3repE0EEENS1_59segmented_radix_sort_warp_sort_small_config_static_selectorELNS0_4arch9wavefront6targetE0EEEvSK_,comdat
.Lfunc_end308:
	.size	_ZN7rocprim17ROCPRIM_400000_NS6detail17trampoline_kernelINS0_14default_configENS1_36segmented_radix_sort_config_selectorIalEEZNS1_25segmented_radix_sort_implIS3_Lb1EPKaPaPKlPlN2at6native12_GLOBAL__N_18offset_tEEE10hipError_tPvRmT1_PNSt15iterator_traitsISK_E10value_typeET2_T3_PNSL_ISQ_E10value_typeET4_jRbjT5_SW_jjP12ihipStream_tbEUlT_E1_NS1_11comp_targetILNS1_3genE0ELNS1_11target_archE4294967295ELNS1_3gpuE0ELNS1_3repE0EEENS1_59segmented_radix_sort_warp_sort_small_config_static_selectorELNS0_4arch9wavefront6targetE0EEEvSK_, .Lfunc_end308-_ZN7rocprim17ROCPRIM_400000_NS6detail17trampoline_kernelINS0_14default_configENS1_36segmented_radix_sort_config_selectorIalEEZNS1_25segmented_radix_sort_implIS3_Lb1EPKaPaPKlPlN2at6native12_GLOBAL__N_18offset_tEEE10hipError_tPvRmT1_PNSt15iterator_traitsISK_E10value_typeET2_T3_PNSL_ISQ_E10value_typeET4_jRbjT5_SW_jjP12ihipStream_tbEUlT_E1_NS1_11comp_targetILNS1_3genE0ELNS1_11target_archE4294967295ELNS1_3gpuE0ELNS1_3repE0EEENS1_59segmented_radix_sort_warp_sort_small_config_static_selectorELNS0_4arch9wavefront6targetE0EEEvSK_
                                        ; -- End function
	.set _ZN7rocprim17ROCPRIM_400000_NS6detail17trampoline_kernelINS0_14default_configENS1_36segmented_radix_sort_config_selectorIalEEZNS1_25segmented_radix_sort_implIS3_Lb1EPKaPaPKlPlN2at6native12_GLOBAL__N_18offset_tEEE10hipError_tPvRmT1_PNSt15iterator_traitsISK_E10value_typeET2_T3_PNSL_ISQ_E10value_typeET4_jRbjT5_SW_jjP12ihipStream_tbEUlT_E1_NS1_11comp_targetILNS1_3genE0ELNS1_11target_archE4294967295ELNS1_3gpuE0ELNS1_3repE0EEENS1_59segmented_radix_sort_warp_sort_small_config_static_selectorELNS0_4arch9wavefront6targetE0EEEvSK_.num_vgpr, 0
	.set _ZN7rocprim17ROCPRIM_400000_NS6detail17trampoline_kernelINS0_14default_configENS1_36segmented_radix_sort_config_selectorIalEEZNS1_25segmented_radix_sort_implIS3_Lb1EPKaPaPKlPlN2at6native12_GLOBAL__N_18offset_tEEE10hipError_tPvRmT1_PNSt15iterator_traitsISK_E10value_typeET2_T3_PNSL_ISQ_E10value_typeET4_jRbjT5_SW_jjP12ihipStream_tbEUlT_E1_NS1_11comp_targetILNS1_3genE0ELNS1_11target_archE4294967295ELNS1_3gpuE0ELNS1_3repE0EEENS1_59segmented_radix_sort_warp_sort_small_config_static_selectorELNS0_4arch9wavefront6targetE0EEEvSK_.num_agpr, 0
	.set _ZN7rocprim17ROCPRIM_400000_NS6detail17trampoline_kernelINS0_14default_configENS1_36segmented_radix_sort_config_selectorIalEEZNS1_25segmented_radix_sort_implIS3_Lb1EPKaPaPKlPlN2at6native12_GLOBAL__N_18offset_tEEE10hipError_tPvRmT1_PNSt15iterator_traitsISK_E10value_typeET2_T3_PNSL_ISQ_E10value_typeET4_jRbjT5_SW_jjP12ihipStream_tbEUlT_E1_NS1_11comp_targetILNS1_3genE0ELNS1_11target_archE4294967295ELNS1_3gpuE0ELNS1_3repE0EEENS1_59segmented_radix_sort_warp_sort_small_config_static_selectorELNS0_4arch9wavefront6targetE0EEEvSK_.numbered_sgpr, 0
	.set _ZN7rocprim17ROCPRIM_400000_NS6detail17trampoline_kernelINS0_14default_configENS1_36segmented_radix_sort_config_selectorIalEEZNS1_25segmented_radix_sort_implIS3_Lb1EPKaPaPKlPlN2at6native12_GLOBAL__N_18offset_tEEE10hipError_tPvRmT1_PNSt15iterator_traitsISK_E10value_typeET2_T3_PNSL_ISQ_E10value_typeET4_jRbjT5_SW_jjP12ihipStream_tbEUlT_E1_NS1_11comp_targetILNS1_3genE0ELNS1_11target_archE4294967295ELNS1_3gpuE0ELNS1_3repE0EEENS1_59segmented_radix_sort_warp_sort_small_config_static_selectorELNS0_4arch9wavefront6targetE0EEEvSK_.num_named_barrier, 0
	.set _ZN7rocprim17ROCPRIM_400000_NS6detail17trampoline_kernelINS0_14default_configENS1_36segmented_radix_sort_config_selectorIalEEZNS1_25segmented_radix_sort_implIS3_Lb1EPKaPaPKlPlN2at6native12_GLOBAL__N_18offset_tEEE10hipError_tPvRmT1_PNSt15iterator_traitsISK_E10value_typeET2_T3_PNSL_ISQ_E10value_typeET4_jRbjT5_SW_jjP12ihipStream_tbEUlT_E1_NS1_11comp_targetILNS1_3genE0ELNS1_11target_archE4294967295ELNS1_3gpuE0ELNS1_3repE0EEENS1_59segmented_radix_sort_warp_sort_small_config_static_selectorELNS0_4arch9wavefront6targetE0EEEvSK_.private_seg_size, 0
	.set _ZN7rocprim17ROCPRIM_400000_NS6detail17trampoline_kernelINS0_14default_configENS1_36segmented_radix_sort_config_selectorIalEEZNS1_25segmented_radix_sort_implIS3_Lb1EPKaPaPKlPlN2at6native12_GLOBAL__N_18offset_tEEE10hipError_tPvRmT1_PNSt15iterator_traitsISK_E10value_typeET2_T3_PNSL_ISQ_E10value_typeET4_jRbjT5_SW_jjP12ihipStream_tbEUlT_E1_NS1_11comp_targetILNS1_3genE0ELNS1_11target_archE4294967295ELNS1_3gpuE0ELNS1_3repE0EEENS1_59segmented_radix_sort_warp_sort_small_config_static_selectorELNS0_4arch9wavefront6targetE0EEEvSK_.uses_vcc, 0
	.set _ZN7rocprim17ROCPRIM_400000_NS6detail17trampoline_kernelINS0_14default_configENS1_36segmented_radix_sort_config_selectorIalEEZNS1_25segmented_radix_sort_implIS3_Lb1EPKaPaPKlPlN2at6native12_GLOBAL__N_18offset_tEEE10hipError_tPvRmT1_PNSt15iterator_traitsISK_E10value_typeET2_T3_PNSL_ISQ_E10value_typeET4_jRbjT5_SW_jjP12ihipStream_tbEUlT_E1_NS1_11comp_targetILNS1_3genE0ELNS1_11target_archE4294967295ELNS1_3gpuE0ELNS1_3repE0EEENS1_59segmented_radix_sort_warp_sort_small_config_static_selectorELNS0_4arch9wavefront6targetE0EEEvSK_.uses_flat_scratch, 0
	.set _ZN7rocprim17ROCPRIM_400000_NS6detail17trampoline_kernelINS0_14default_configENS1_36segmented_radix_sort_config_selectorIalEEZNS1_25segmented_radix_sort_implIS3_Lb1EPKaPaPKlPlN2at6native12_GLOBAL__N_18offset_tEEE10hipError_tPvRmT1_PNSt15iterator_traitsISK_E10value_typeET2_T3_PNSL_ISQ_E10value_typeET4_jRbjT5_SW_jjP12ihipStream_tbEUlT_E1_NS1_11comp_targetILNS1_3genE0ELNS1_11target_archE4294967295ELNS1_3gpuE0ELNS1_3repE0EEENS1_59segmented_radix_sort_warp_sort_small_config_static_selectorELNS0_4arch9wavefront6targetE0EEEvSK_.has_dyn_sized_stack, 0
	.set _ZN7rocprim17ROCPRIM_400000_NS6detail17trampoline_kernelINS0_14default_configENS1_36segmented_radix_sort_config_selectorIalEEZNS1_25segmented_radix_sort_implIS3_Lb1EPKaPaPKlPlN2at6native12_GLOBAL__N_18offset_tEEE10hipError_tPvRmT1_PNSt15iterator_traitsISK_E10value_typeET2_T3_PNSL_ISQ_E10value_typeET4_jRbjT5_SW_jjP12ihipStream_tbEUlT_E1_NS1_11comp_targetILNS1_3genE0ELNS1_11target_archE4294967295ELNS1_3gpuE0ELNS1_3repE0EEENS1_59segmented_radix_sort_warp_sort_small_config_static_selectorELNS0_4arch9wavefront6targetE0EEEvSK_.has_recursion, 0
	.set _ZN7rocprim17ROCPRIM_400000_NS6detail17trampoline_kernelINS0_14default_configENS1_36segmented_radix_sort_config_selectorIalEEZNS1_25segmented_radix_sort_implIS3_Lb1EPKaPaPKlPlN2at6native12_GLOBAL__N_18offset_tEEE10hipError_tPvRmT1_PNSt15iterator_traitsISK_E10value_typeET2_T3_PNSL_ISQ_E10value_typeET4_jRbjT5_SW_jjP12ihipStream_tbEUlT_E1_NS1_11comp_targetILNS1_3genE0ELNS1_11target_archE4294967295ELNS1_3gpuE0ELNS1_3repE0EEENS1_59segmented_radix_sort_warp_sort_small_config_static_selectorELNS0_4arch9wavefront6targetE0EEEvSK_.has_indirect_call, 0
	.section	.AMDGPU.csdata,"",@progbits
; Kernel info:
; codeLenInByte = 0
; TotalNumSgprs: 0
; NumVgprs: 0
; ScratchSize: 0
; MemoryBound: 0
; FloatMode: 240
; IeeeMode: 1
; LDSByteSize: 0 bytes/workgroup (compile time only)
; SGPRBlocks: 0
; VGPRBlocks: 0
; NumSGPRsForWavesPerEU: 1
; NumVGPRsForWavesPerEU: 1
; Occupancy: 16
; WaveLimiterHint : 0
; COMPUTE_PGM_RSRC2:SCRATCH_EN: 0
; COMPUTE_PGM_RSRC2:USER_SGPR: 6
; COMPUTE_PGM_RSRC2:TRAP_HANDLER: 0
; COMPUTE_PGM_RSRC2:TGID_X_EN: 1
; COMPUTE_PGM_RSRC2:TGID_Y_EN: 0
; COMPUTE_PGM_RSRC2:TGID_Z_EN: 0
; COMPUTE_PGM_RSRC2:TIDIG_COMP_CNT: 0
	.section	.text._ZN7rocprim17ROCPRIM_400000_NS6detail17trampoline_kernelINS0_14default_configENS1_36segmented_radix_sort_config_selectorIalEEZNS1_25segmented_radix_sort_implIS3_Lb1EPKaPaPKlPlN2at6native12_GLOBAL__N_18offset_tEEE10hipError_tPvRmT1_PNSt15iterator_traitsISK_E10value_typeET2_T3_PNSL_ISQ_E10value_typeET4_jRbjT5_SW_jjP12ihipStream_tbEUlT_E1_NS1_11comp_targetILNS1_3genE5ELNS1_11target_archE942ELNS1_3gpuE9ELNS1_3repE0EEENS1_59segmented_radix_sort_warp_sort_small_config_static_selectorELNS0_4arch9wavefront6targetE0EEEvSK_,"axG",@progbits,_ZN7rocprim17ROCPRIM_400000_NS6detail17trampoline_kernelINS0_14default_configENS1_36segmented_radix_sort_config_selectorIalEEZNS1_25segmented_radix_sort_implIS3_Lb1EPKaPaPKlPlN2at6native12_GLOBAL__N_18offset_tEEE10hipError_tPvRmT1_PNSt15iterator_traitsISK_E10value_typeET2_T3_PNSL_ISQ_E10value_typeET4_jRbjT5_SW_jjP12ihipStream_tbEUlT_E1_NS1_11comp_targetILNS1_3genE5ELNS1_11target_archE942ELNS1_3gpuE9ELNS1_3repE0EEENS1_59segmented_radix_sort_warp_sort_small_config_static_selectorELNS0_4arch9wavefront6targetE0EEEvSK_,comdat
	.globl	_ZN7rocprim17ROCPRIM_400000_NS6detail17trampoline_kernelINS0_14default_configENS1_36segmented_radix_sort_config_selectorIalEEZNS1_25segmented_radix_sort_implIS3_Lb1EPKaPaPKlPlN2at6native12_GLOBAL__N_18offset_tEEE10hipError_tPvRmT1_PNSt15iterator_traitsISK_E10value_typeET2_T3_PNSL_ISQ_E10value_typeET4_jRbjT5_SW_jjP12ihipStream_tbEUlT_E1_NS1_11comp_targetILNS1_3genE5ELNS1_11target_archE942ELNS1_3gpuE9ELNS1_3repE0EEENS1_59segmented_radix_sort_warp_sort_small_config_static_selectorELNS0_4arch9wavefront6targetE0EEEvSK_ ; -- Begin function _ZN7rocprim17ROCPRIM_400000_NS6detail17trampoline_kernelINS0_14default_configENS1_36segmented_radix_sort_config_selectorIalEEZNS1_25segmented_radix_sort_implIS3_Lb1EPKaPaPKlPlN2at6native12_GLOBAL__N_18offset_tEEE10hipError_tPvRmT1_PNSt15iterator_traitsISK_E10value_typeET2_T3_PNSL_ISQ_E10value_typeET4_jRbjT5_SW_jjP12ihipStream_tbEUlT_E1_NS1_11comp_targetILNS1_3genE5ELNS1_11target_archE942ELNS1_3gpuE9ELNS1_3repE0EEENS1_59segmented_radix_sort_warp_sort_small_config_static_selectorELNS0_4arch9wavefront6targetE0EEEvSK_
	.p2align	8
	.type	_ZN7rocprim17ROCPRIM_400000_NS6detail17trampoline_kernelINS0_14default_configENS1_36segmented_radix_sort_config_selectorIalEEZNS1_25segmented_radix_sort_implIS3_Lb1EPKaPaPKlPlN2at6native12_GLOBAL__N_18offset_tEEE10hipError_tPvRmT1_PNSt15iterator_traitsISK_E10value_typeET2_T3_PNSL_ISQ_E10value_typeET4_jRbjT5_SW_jjP12ihipStream_tbEUlT_E1_NS1_11comp_targetILNS1_3genE5ELNS1_11target_archE942ELNS1_3gpuE9ELNS1_3repE0EEENS1_59segmented_radix_sort_warp_sort_small_config_static_selectorELNS0_4arch9wavefront6targetE0EEEvSK_,@function
_ZN7rocprim17ROCPRIM_400000_NS6detail17trampoline_kernelINS0_14default_configENS1_36segmented_radix_sort_config_selectorIalEEZNS1_25segmented_radix_sort_implIS3_Lb1EPKaPaPKlPlN2at6native12_GLOBAL__N_18offset_tEEE10hipError_tPvRmT1_PNSt15iterator_traitsISK_E10value_typeET2_T3_PNSL_ISQ_E10value_typeET4_jRbjT5_SW_jjP12ihipStream_tbEUlT_E1_NS1_11comp_targetILNS1_3genE5ELNS1_11target_archE942ELNS1_3gpuE9ELNS1_3repE0EEENS1_59segmented_radix_sort_warp_sort_small_config_static_selectorELNS0_4arch9wavefront6targetE0EEEvSK_: ; @_ZN7rocprim17ROCPRIM_400000_NS6detail17trampoline_kernelINS0_14default_configENS1_36segmented_radix_sort_config_selectorIalEEZNS1_25segmented_radix_sort_implIS3_Lb1EPKaPaPKlPlN2at6native12_GLOBAL__N_18offset_tEEE10hipError_tPvRmT1_PNSt15iterator_traitsISK_E10value_typeET2_T3_PNSL_ISQ_E10value_typeET4_jRbjT5_SW_jjP12ihipStream_tbEUlT_E1_NS1_11comp_targetILNS1_3genE5ELNS1_11target_archE942ELNS1_3gpuE9ELNS1_3repE0EEENS1_59segmented_radix_sort_warp_sort_small_config_static_selectorELNS0_4arch9wavefront6targetE0EEEvSK_
; %bb.0:
	.section	.rodata,"a",@progbits
	.p2align	6, 0x0
	.amdhsa_kernel _ZN7rocprim17ROCPRIM_400000_NS6detail17trampoline_kernelINS0_14default_configENS1_36segmented_radix_sort_config_selectorIalEEZNS1_25segmented_radix_sort_implIS3_Lb1EPKaPaPKlPlN2at6native12_GLOBAL__N_18offset_tEEE10hipError_tPvRmT1_PNSt15iterator_traitsISK_E10value_typeET2_T3_PNSL_ISQ_E10value_typeET4_jRbjT5_SW_jjP12ihipStream_tbEUlT_E1_NS1_11comp_targetILNS1_3genE5ELNS1_11target_archE942ELNS1_3gpuE9ELNS1_3repE0EEENS1_59segmented_radix_sort_warp_sort_small_config_static_selectorELNS0_4arch9wavefront6targetE0EEEvSK_
		.amdhsa_group_segment_fixed_size 0
		.amdhsa_private_segment_fixed_size 0
		.amdhsa_kernarg_size 88
		.amdhsa_user_sgpr_count 6
		.amdhsa_user_sgpr_private_segment_buffer 1
		.amdhsa_user_sgpr_dispatch_ptr 0
		.amdhsa_user_sgpr_queue_ptr 0
		.amdhsa_user_sgpr_kernarg_segment_ptr 1
		.amdhsa_user_sgpr_dispatch_id 0
		.amdhsa_user_sgpr_flat_scratch_init 0
		.amdhsa_user_sgpr_private_segment_size 0
		.amdhsa_wavefront_size32 1
		.amdhsa_uses_dynamic_stack 0
		.amdhsa_system_sgpr_private_segment_wavefront_offset 0
		.amdhsa_system_sgpr_workgroup_id_x 1
		.amdhsa_system_sgpr_workgroup_id_y 0
		.amdhsa_system_sgpr_workgroup_id_z 0
		.amdhsa_system_sgpr_workgroup_info 0
		.amdhsa_system_vgpr_workitem_id 0
		.amdhsa_next_free_vgpr 1
		.amdhsa_next_free_sgpr 1
		.amdhsa_reserve_vcc 0
		.amdhsa_reserve_flat_scratch 0
		.amdhsa_float_round_mode_32 0
		.amdhsa_float_round_mode_16_64 0
		.amdhsa_float_denorm_mode_32 3
		.amdhsa_float_denorm_mode_16_64 3
		.amdhsa_dx10_clamp 1
		.amdhsa_ieee_mode 1
		.amdhsa_fp16_overflow 0
		.amdhsa_workgroup_processor_mode 1
		.amdhsa_memory_ordered 1
		.amdhsa_forward_progress 1
		.amdhsa_shared_vgpr_count 0
		.amdhsa_exception_fp_ieee_invalid_op 0
		.amdhsa_exception_fp_denorm_src 0
		.amdhsa_exception_fp_ieee_div_zero 0
		.amdhsa_exception_fp_ieee_overflow 0
		.amdhsa_exception_fp_ieee_underflow 0
		.amdhsa_exception_fp_ieee_inexact 0
		.amdhsa_exception_int_div_zero 0
	.end_amdhsa_kernel
	.section	.text._ZN7rocprim17ROCPRIM_400000_NS6detail17trampoline_kernelINS0_14default_configENS1_36segmented_radix_sort_config_selectorIalEEZNS1_25segmented_radix_sort_implIS3_Lb1EPKaPaPKlPlN2at6native12_GLOBAL__N_18offset_tEEE10hipError_tPvRmT1_PNSt15iterator_traitsISK_E10value_typeET2_T3_PNSL_ISQ_E10value_typeET4_jRbjT5_SW_jjP12ihipStream_tbEUlT_E1_NS1_11comp_targetILNS1_3genE5ELNS1_11target_archE942ELNS1_3gpuE9ELNS1_3repE0EEENS1_59segmented_radix_sort_warp_sort_small_config_static_selectorELNS0_4arch9wavefront6targetE0EEEvSK_,"axG",@progbits,_ZN7rocprim17ROCPRIM_400000_NS6detail17trampoline_kernelINS0_14default_configENS1_36segmented_radix_sort_config_selectorIalEEZNS1_25segmented_radix_sort_implIS3_Lb1EPKaPaPKlPlN2at6native12_GLOBAL__N_18offset_tEEE10hipError_tPvRmT1_PNSt15iterator_traitsISK_E10value_typeET2_T3_PNSL_ISQ_E10value_typeET4_jRbjT5_SW_jjP12ihipStream_tbEUlT_E1_NS1_11comp_targetILNS1_3genE5ELNS1_11target_archE942ELNS1_3gpuE9ELNS1_3repE0EEENS1_59segmented_radix_sort_warp_sort_small_config_static_selectorELNS0_4arch9wavefront6targetE0EEEvSK_,comdat
.Lfunc_end309:
	.size	_ZN7rocprim17ROCPRIM_400000_NS6detail17trampoline_kernelINS0_14default_configENS1_36segmented_radix_sort_config_selectorIalEEZNS1_25segmented_radix_sort_implIS3_Lb1EPKaPaPKlPlN2at6native12_GLOBAL__N_18offset_tEEE10hipError_tPvRmT1_PNSt15iterator_traitsISK_E10value_typeET2_T3_PNSL_ISQ_E10value_typeET4_jRbjT5_SW_jjP12ihipStream_tbEUlT_E1_NS1_11comp_targetILNS1_3genE5ELNS1_11target_archE942ELNS1_3gpuE9ELNS1_3repE0EEENS1_59segmented_radix_sort_warp_sort_small_config_static_selectorELNS0_4arch9wavefront6targetE0EEEvSK_, .Lfunc_end309-_ZN7rocprim17ROCPRIM_400000_NS6detail17trampoline_kernelINS0_14default_configENS1_36segmented_radix_sort_config_selectorIalEEZNS1_25segmented_radix_sort_implIS3_Lb1EPKaPaPKlPlN2at6native12_GLOBAL__N_18offset_tEEE10hipError_tPvRmT1_PNSt15iterator_traitsISK_E10value_typeET2_T3_PNSL_ISQ_E10value_typeET4_jRbjT5_SW_jjP12ihipStream_tbEUlT_E1_NS1_11comp_targetILNS1_3genE5ELNS1_11target_archE942ELNS1_3gpuE9ELNS1_3repE0EEENS1_59segmented_radix_sort_warp_sort_small_config_static_selectorELNS0_4arch9wavefront6targetE0EEEvSK_
                                        ; -- End function
	.set _ZN7rocprim17ROCPRIM_400000_NS6detail17trampoline_kernelINS0_14default_configENS1_36segmented_radix_sort_config_selectorIalEEZNS1_25segmented_radix_sort_implIS3_Lb1EPKaPaPKlPlN2at6native12_GLOBAL__N_18offset_tEEE10hipError_tPvRmT1_PNSt15iterator_traitsISK_E10value_typeET2_T3_PNSL_ISQ_E10value_typeET4_jRbjT5_SW_jjP12ihipStream_tbEUlT_E1_NS1_11comp_targetILNS1_3genE5ELNS1_11target_archE942ELNS1_3gpuE9ELNS1_3repE0EEENS1_59segmented_radix_sort_warp_sort_small_config_static_selectorELNS0_4arch9wavefront6targetE0EEEvSK_.num_vgpr, 0
	.set _ZN7rocprim17ROCPRIM_400000_NS6detail17trampoline_kernelINS0_14default_configENS1_36segmented_radix_sort_config_selectorIalEEZNS1_25segmented_radix_sort_implIS3_Lb1EPKaPaPKlPlN2at6native12_GLOBAL__N_18offset_tEEE10hipError_tPvRmT1_PNSt15iterator_traitsISK_E10value_typeET2_T3_PNSL_ISQ_E10value_typeET4_jRbjT5_SW_jjP12ihipStream_tbEUlT_E1_NS1_11comp_targetILNS1_3genE5ELNS1_11target_archE942ELNS1_3gpuE9ELNS1_3repE0EEENS1_59segmented_radix_sort_warp_sort_small_config_static_selectorELNS0_4arch9wavefront6targetE0EEEvSK_.num_agpr, 0
	.set _ZN7rocprim17ROCPRIM_400000_NS6detail17trampoline_kernelINS0_14default_configENS1_36segmented_radix_sort_config_selectorIalEEZNS1_25segmented_radix_sort_implIS3_Lb1EPKaPaPKlPlN2at6native12_GLOBAL__N_18offset_tEEE10hipError_tPvRmT1_PNSt15iterator_traitsISK_E10value_typeET2_T3_PNSL_ISQ_E10value_typeET4_jRbjT5_SW_jjP12ihipStream_tbEUlT_E1_NS1_11comp_targetILNS1_3genE5ELNS1_11target_archE942ELNS1_3gpuE9ELNS1_3repE0EEENS1_59segmented_radix_sort_warp_sort_small_config_static_selectorELNS0_4arch9wavefront6targetE0EEEvSK_.numbered_sgpr, 0
	.set _ZN7rocprim17ROCPRIM_400000_NS6detail17trampoline_kernelINS0_14default_configENS1_36segmented_radix_sort_config_selectorIalEEZNS1_25segmented_radix_sort_implIS3_Lb1EPKaPaPKlPlN2at6native12_GLOBAL__N_18offset_tEEE10hipError_tPvRmT1_PNSt15iterator_traitsISK_E10value_typeET2_T3_PNSL_ISQ_E10value_typeET4_jRbjT5_SW_jjP12ihipStream_tbEUlT_E1_NS1_11comp_targetILNS1_3genE5ELNS1_11target_archE942ELNS1_3gpuE9ELNS1_3repE0EEENS1_59segmented_radix_sort_warp_sort_small_config_static_selectorELNS0_4arch9wavefront6targetE0EEEvSK_.num_named_barrier, 0
	.set _ZN7rocprim17ROCPRIM_400000_NS6detail17trampoline_kernelINS0_14default_configENS1_36segmented_radix_sort_config_selectorIalEEZNS1_25segmented_radix_sort_implIS3_Lb1EPKaPaPKlPlN2at6native12_GLOBAL__N_18offset_tEEE10hipError_tPvRmT1_PNSt15iterator_traitsISK_E10value_typeET2_T3_PNSL_ISQ_E10value_typeET4_jRbjT5_SW_jjP12ihipStream_tbEUlT_E1_NS1_11comp_targetILNS1_3genE5ELNS1_11target_archE942ELNS1_3gpuE9ELNS1_3repE0EEENS1_59segmented_radix_sort_warp_sort_small_config_static_selectorELNS0_4arch9wavefront6targetE0EEEvSK_.private_seg_size, 0
	.set _ZN7rocprim17ROCPRIM_400000_NS6detail17trampoline_kernelINS0_14default_configENS1_36segmented_radix_sort_config_selectorIalEEZNS1_25segmented_radix_sort_implIS3_Lb1EPKaPaPKlPlN2at6native12_GLOBAL__N_18offset_tEEE10hipError_tPvRmT1_PNSt15iterator_traitsISK_E10value_typeET2_T3_PNSL_ISQ_E10value_typeET4_jRbjT5_SW_jjP12ihipStream_tbEUlT_E1_NS1_11comp_targetILNS1_3genE5ELNS1_11target_archE942ELNS1_3gpuE9ELNS1_3repE0EEENS1_59segmented_radix_sort_warp_sort_small_config_static_selectorELNS0_4arch9wavefront6targetE0EEEvSK_.uses_vcc, 0
	.set _ZN7rocprim17ROCPRIM_400000_NS6detail17trampoline_kernelINS0_14default_configENS1_36segmented_radix_sort_config_selectorIalEEZNS1_25segmented_radix_sort_implIS3_Lb1EPKaPaPKlPlN2at6native12_GLOBAL__N_18offset_tEEE10hipError_tPvRmT1_PNSt15iterator_traitsISK_E10value_typeET2_T3_PNSL_ISQ_E10value_typeET4_jRbjT5_SW_jjP12ihipStream_tbEUlT_E1_NS1_11comp_targetILNS1_3genE5ELNS1_11target_archE942ELNS1_3gpuE9ELNS1_3repE0EEENS1_59segmented_radix_sort_warp_sort_small_config_static_selectorELNS0_4arch9wavefront6targetE0EEEvSK_.uses_flat_scratch, 0
	.set _ZN7rocprim17ROCPRIM_400000_NS6detail17trampoline_kernelINS0_14default_configENS1_36segmented_radix_sort_config_selectorIalEEZNS1_25segmented_radix_sort_implIS3_Lb1EPKaPaPKlPlN2at6native12_GLOBAL__N_18offset_tEEE10hipError_tPvRmT1_PNSt15iterator_traitsISK_E10value_typeET2_T3_PNSL_ISQ_E10value_typeET4_jRbjT5_SW_jjP12ihipStream_tbEUlT_E1_NS1_11comp_targetILNS1_3genE5ELNS1_11target_archE942ELNS1_3gpuE9ELNS1_3repE0EEENS1_59segmented_radix_sort_warp_sort_small_config_static_selectorELNS0_4arch9wavefront6targetE0EEEvSK_.has_dyn_sized_stack, 0
	.set _ZN7rocprim17ROCPRIM_400000_NS6detail17trampoline_kernelINS0_14default_configENS1_36segmented_radix_sort_config_selectorIalEEZNS1_25segmented_radix_sort_implIS3_Lb1EPKaPaPKlPlN2at6native12_GLOBAL__N_18offset_tEEE10hipError_tPvRmT1_PNSt15iterator_traitsISK_E10value_typeET2_T3_PNSL_ISQ_E10value_typeET4_jRbjT5_SW_jjP12ihipStream_tbEUlT_E1_NS1_11comp_targetILNS1_3genE5ELNS1_11target_archE942ELNS1_3gpuE9ELNS1_3repE0EEENS1_59segmented_radix_sort_warp_sort_small_config_static_selectorELNS0_4arch9wavefront6targetE0EEEvSK_.has_recursion, 0
	.set _ZN7rocprim17ROCPRIM_400000_NS6detail17trampoline_kernelINS0_14default_configENS1_36segmented_radix_sort_config_selectorIalEEZNS1_25segmented_radix_sort_implIS3_Lb1EPKaPaPKlPlN2at6native12_GLOBAL__N_18offset_tEEE10hipError_tPvRmT1_PNSt15iterator_traitsISK_E10value_typeET2_T3_PNSL_ISQ_E10value_typeET4_jRbjT5_SW_jjP12ihipStream_tbEUlT_E1_NS1_11comp_targetILNS1_3genE5ELNS1_11target_archE942ELNS1_3gpuE9ELNS1_3repE0EEENS1_59segmented_radix_sort_warp_sort_small_config_static_selectorELNS0_4arch9wavefront6targetE0EEEvSK_.has_indirect_call, 0
	.section	.AMDGPU.csdata,"",@progbits
; Kernel info:
; codeLenInByte = 0
; TotalNumSgprs: 0
; NumVgprs: 0
; ScratchSize: 0
; MemoryBound: 0
; FloatMode: 240
; IeeeMode: 1
; LDSByteSize: 0 bytes/workgroup (compile time only)
; SGPRBlocks: 0
; VGPRBlocks: 0
; NumSGPRsForWavesPerEU: 1
; NumVGPRsForWavesPerEU: 1
; Occupancy: 16
; WaveLimiterHint : 0
; COMPUTE_PGM_RSRC2:SCRATCH_EN: 0
; COMPUTE_PGM_RSRC2:USER_SGPR: 6
; COMPUTE_PGM_RSRC2:TRAP_HANDLER: 0
; COMPUTE_PGM_RSRC2:TGID_X_EN: 1
; COMPUTE_PGM_RSRC2:TGID_Y_EN: 0
; COMPUTE_PGM_RSRC2:TGID_Z_EN: 0
; COMPUTE_PGM_RSRC2:TIDIG_COMP_CNT: 0
	.section	.text._ZN7rocprim17ROCPRIM_400000_NS6detail17trampoline_kernelINS0_14default_configENS1_36segmented_radix_sort_config_selectorIalEEZNS1_25segmented_radix_sort_implIS3_Lb1EPKaPaPKlPlN2at6native12_GLOBAL__N_18offset_tEEE10hipError_tPvRmT1_PNSt15iterator_traitsISK_E10value_typeET2_T3_PNSL_ISQ_E10value_typeET4_jRbjT5_SW_jjP12ihipStream_tbEUlT_E1_NS1_11comp_targetILNS1_3genE4ELNS1_11target_archE910ELNS1_3gpuE8ELNS1_3repE0EEENS1_59segmented_radix_sort_warp_sort_small_config_static_selectorELNS0_4arch9wavefront6targetE0EEEvSK_,"axG",@progbits,_ZN7rocprim17ROCPRIM_400000_NS6detail17trampoline_kernelINS0_14default_configENS1_36segmented_radix_sort_config_selectorIalEEZNS1_25segmented_radix_sort_implIS3_Lb1EPKaPaPKlPlN2at6native12_GLOBAL__N_18offset_tEEE10hipError_tPvRmT1_PNSt15iterator_traitsISK_E10value_typeET2_T3_PNSL_ISQ_E10value_typeET4_jRbjT5_SW_jjP12ihipStream_tbEUlT_E1_NS1_11comp_targetILNS1_3genE4ELNS1_11target_archE910ELNS1_3gpuE8ELNS1_3repE0EEENS1_59segmented_radix_sort_warp_sort_small_config_static_selectorELNS0_4arch9wavefront6targetE0EEEvSK_,comdat
	.globl	_ZN7rocprim17ROCPRIM_400000_NS6detail17trampoline_kernelINS0_14default_configENS1_36segmented_radix_sort_config_selectorIalEEZNS1_25segmented_radix_sort_implIS3_Lb1EPKaPaPKlPlN2at6native12_GLOBAL__N_18offset_tEEE10hipError_tPvRmT1_PNSt15iterator_traitsISK_E10value_typeET2_T3_PNSL_ISQ_E10value_typeET4_jRbjT5_SW_jjP12ihipStream_tbEUlT_E1_NS1_11comp_targetILNS1_3genE4ELNS1_11target_archE910ELNS1_3gpuE8ELNS1_3repE0EEENS1_59segmented_radix_sort_warp_sort_small_config_static_selectorELNS0_4arch9wavefront6targetE0EEEvSK_ ; -- Begin function _ZN7rocprim17ROCPRIM_400000_NS6detail17trampoline_kernelINS0_14default_configENS1_36segmented_radix_sort_config_selectorIalEEZNS1_25segmented_radix_sort_implIS3_Lb1EPKaPaPKlPlN2at6native12_GLOBAL__N_18offset_tEEE10hipError_tPvRmT1_PNSt15iterator_traitsISK_E10value_typeET2_T3_PNSL_ISQ_E10value_typeET4_jRbjT5_SW_jjP12ihipStream_tbEUlT_E1_NS1_11comp_targetILNS1_3genE4ELNS1_11target_archE910ELNS1_3gpuE8ELNS1_3repE0EEENS1_59segmented_radix_sort_warp_sort_small_config_static_selectorELNS0_4arch9wavefront6targetE0EEEvSK_
	.p2align	8
	.type	_ZN7rocprim17ROCPRIM_400000_NS6detail17trampoline_kernelINS0_14default_configENS1_36segmented_radix_sort_config_selectorIalEEZNS1_25segmented_radix_sort_implIS3_Lb1EPKaPaPKlPlN2at6native12_GLOBAL__N_18offset_tEEE10hipError_tPvRmT1_PNSt15iterator_traitsISK_E10value_typeET2_T3_PNSL_ISQ_E10value_typeET4_jRbjT5_SW_jjP12ihipStream_tbEUlT_E1_NS1_11comp_targetILNS1_3genE4ELNS1_11target_archE910ELNS1_3gpuE8ELNS1_3repE0EEENS1_59segmented_radix_sort_warp_sort_small_config_static_selectorELNS0_4arch9wavefront6targetE0EEEvSK_,@function
_ZN7rocprim17ROCPRIM_400000_NS6detail17trampoline_kernelINS0_14default_configENS1_36segmented_radix_sort_config_selectorIalEEZNS1_25segmented_radix_sort_implIS3_Lb1EPKaPaPKlPlN2at6native12_GLOBAL__N_18offset_tEEE10hipError_tPvRmT1_PNSt15iterator_traitsISK_E10value_typeET2_T3_PNSL_ISQ_E10value_typeET4_jRbjT5_SW_jjP12ihipStream_tbEUlT_E1_NS1_11comp_targetILNS1_3genE4ELNS1_11target_archE910ELNS1_3gpuE8ELNS1_3repE0EEENS1_59segmented_radix_sort_warp_sort_small_config_static_selectorELNS0_4arch9wavefront6targetE0EEEvSK_: ; @_ZN7rocprim17ROCPRIM_400000_NS6detail17trampoline_kernelINS0_14default_configENS1_36segmented_radix_sort_config_selectorIalEEZNS1_25segmented_radix_sort_implIS3_Lb1EPKaPaPKlPlN2at6native12_GLOBAL__N_18offset_tEEE10hipError_tPvRmT1_PNSt15iterator_traitsISK_E10value_typeET2_T3_PNSL_ISQ_E10value_typeET4_jRbjT5_SW_jjP12ihipStream_tbEUlT_E1_NS1_11comp_targetILNS1_3genE4ELNS1_11target_archE910ELNS1_3gpuE8ELNS1_3repE0EEENS1_59segmented_radix_sort_warp_sort_small_config_static_selectorELNS0_4arch9wavefront6targetE0EEEvSK_
; %bb.0:
	.section	.rodata,"a",@progbits
	.p2align	6, 0x0
	.amdhsa_kernel _ZN7rocprim17ROCPRIM_400000_NS6detail17trampoline_kernelINS0_14default_configENS1_36segmented_radix_sort_config_selectorIalEEZNS1_25segmented_radix_sort_implIS3_Lb1EPKaPaPKlPlN2at6native12_GLOBAL__N_18offset_tEEE10hipError_tPvRmT1_PNSt15iterator_traitsISK_E10value_typeET2_T3_PNSL_ISQ_E10value_typeET4_jRbjT5_SW_jjP12ihipStream_tbEUlT_E1_NS1_11comp_targetILNS1_3genE4ELNS1_11target_archE910ELNS1_3gpuE8ELNS1_3repE0EEENS1_59segmented_radix_sort_warp_sort_small_config_static_selectorELNS0_4arch9wavefront6targetE0EEEvSK_
		.amdhsa_group_segment_fixed_size 0
		.amdhsa_private_segment_fixed_size 0
		.amdhsa_kernarg_size 88
		.amdhsa_user_sgpr_count 6
		.amdhsa_user_sgpr_private_segment_buffer 1
		.amdhsa_user_sgpr_dispatch_ptr 0
		.amdhsa_user_sgpr_queue_ptr 0
		.amdhsa_user_sgpr_kernarg_segment_ptr 1
		.amdhsa_user_sgpr_dispatch_id 0
		.amdhsa_user_sgpr_flat_scratch_init 0
		.amdhsa_user_sgpr_private_segment_size 0
		.amdhsa_wavefront_size32 1
		.amdhsa_uses_dynamic_stack 0
		.amdhsa_system_sgpr_private_segment_wavefront_offset 0
		.amdhsa_system_sgpr_workgroup_id_x 1
		.amdhsa_system_sgpr_workgroup_id_y 0
		.amdhsa_system_sgpr_workgroup_id_z 0
		.amdhsa_system_sgpr_workgroup_info 0
		.amdhsa_system_vgpr_workitem_id 0
		.amdhsa_next_free_vgpr 1
		.amdhsa_next_free_sgpr 1
		.amdhsa_reserve_vcc 0
		.amdhsa_reserve_flat_scratch 0
		.amdhsa_float_round_mode_32 0
		.amdhsa_float_round_mode_16_64 0
		.amdhsa_float_denorm_mode_32 3
		.amdhsa_float_denorm_mode_16_64 3
		.amdhsa_dx10_clamp 1
		.amdhsa_ieee_mode 1
		.amdhsa_fp16_overflow 0
		.amdhsa_workgroup_processor_mode 1
		.amdhsa_memory_ordered 1
		.amdhsa_forward_progress 1
		.amdhsa_shared_vgpr_count 0
		.amdhsa_exception_fp_ieee_invalid_op 0
		.amdhsa_exception_fp_denorm_src 0
		.amdhsa_exception_fp_ieee_div_zero 0
		.amdhsa_exception_fp_ieee_overflow 0
		.amdhsa_exception_fp_ieee_underflow 0
		.amdhsa_exception_fp_ieee_inexact 0
		.amdhsa_exception_int_div_zero 0
	.end_amdhsa_kernel
	.section	.text._ZN7rocprim17ROCPRIM_400000_NS6detail17trampoline_kernelINS0_14default_configENS1_36segmented_radix_sort_config_selectorIalEEZNS1_25segmented_radix_sort_implIS3_Lb1EPKaPaPKlPlN2at6native12_GLOBAL__N_18offset_tEEE10hipError_tPvRmT1_PNSt15iterator_traitsISK_E10value_typeET2_T3_PNSL_ISQ_E10value_typeET4_jRbjT5_SW_jjP12ihipStream_tbEUlT_E1_NS1_11comp_targetILNS1_3genE4ELNS1_11target_archE910ELNS1_3gpuE8ELNS1_3repE0EEENS1_59segmented_radix_sort_warp_sort_small_config_static_selectorELNS0_4arch9wavefront6targetE0EEEvSK_,"axG",@progbits,_ZN7rocprim17ROCPRIM_400000_NS6detail17trampoline_kernelINS0_14default_configENS1_36segmented_radix_sort_config_selectorIalEEZNS1_25segmented_radix_sort_implIS3_Lb1EPKaPaPKlPlN2at6native12_GLOBAL__N_18offset_tEEE10hipError_tPvRmT1_PNSt15iterator_traitsISK_E10value_typeET2_T3_PNSL_ISQ_E10value_typeET4_jRbjT5_SW_jjP12ihipStream_tbEUlT_E1_NS1_11comp_targetILNS1_3genE4ELNS1_11target_archE910ELNS1_3gpuE8ELNS1_3repE0EEENS1_59segmented_radix_sort_warp_sort_small_config_static_selectorELNS0_4arch9wavefront6targetE0EEEvSK_,comdat
.Lfunc_end310:
	.size	_ZN7rocprim17ROCPRIM_400000_NS6detail17trampoline_kernelINS0_14default_configENS1_36segmented_radix_sort_config_selectorIalEEZNS1_25segmented_radix_sort_implIS3_Lb1EPKaPaPKlPlN2at6native12_GLOBAL__N_18offset_tEEE10hipError_tPvRmT1_PNSt15iterator_traitsISK_E10value_typeET2_T3_PNSL_ISQ_E10value_typeET4_jRbjT5_SW_jjP12ihipStream_tbEUlT_E1_NS1_11comp_targetILNS1_3genE4ELNS1_11target_archE910ELNS1_3gpuE8ELNS1_3repE0EEENS1_59segmented_radix_sort_warp_sort_small_config_static_selectorELNS0_4arch9wavefront6targetE0EEEvSK_, .Lfunc_end310-_ZN7rocprim17ROCPRIM_400000_NS6detail17trampoline_kernelINS0_14default_configENS1_36segmented_radix_sort_config_selectorIalEEZNS1_25segmented_radix_sort_implIS3_Lb1EPKaPaPKlPlN2at6native12_GLOBAL__N_18offset_tEEE10hipError_tPvRmT1_PNSt15iterator_traitsISK_E10value_typeET2_T3_PNSL_ISQ_E10value_typeET4_jRbjT5_SW_jjP12ihipStream_tbEUlT_E1_NS1_11comp_targetILNS1_3genE4ELNS1_11target_archE910ELNS1_3gpuE8ELNS1_3repE0EEENS1_59segmented_radix_sort_warp_sort_small_config_static_selectorELNS0_4arch9wavefront6targetE0EEEvSK_
                                        ; -- End function
	.set _ZN7rocprim17ROCPRIM_400000_NS6detail17trampoline_kernelINS0_14default_configENS1_36segmented_radix_sort_config_selectorIalEEZNS1_25segmented_radix_sort_implIS3_Lb1EPKaPaPKlPlN2at6native12_GLOBAL__N_18offset_tEEE10hipError_tPvRmT1_PNSt15iterator_traitsISK_E10value_typeET2_T3_PNSL_ISQ_E10value_typeET4_jRbjT5_SW_jjP12ihipStream_tbEUlT_E1_NS1_11comp_targetILNS1_3genE4ELNS1_11target_archE910ELNS1_3gpuE8ELNS1_3repE0EEENS1_59segmented_radix_sort_warp_sort_small_config_static_selectorELNS0_4arch9wavefront6targetE0EEEvSK_.num_vgpr, 0
	.set _ZN7rocprim17ROCPRIM_400000_NS6detail17trampoline_kernelINS0_14default_configENS1_36segmented_radix_sort_config_selectorIalEEZNS1_25segmented_radix_sort_implIS3_Lb1EPKaPaPKlPlN2at6native12_GLOBAL__N_18offset_tEEE10hipError_tPvRmT1_PNSt15iterator_traitsISK_E10value_typeET2_T3_PNSL_ISQ_E10value_typeET4_jRbjT5_SW_jjP12ihipStream_tbEUlT_E1_NS1_11comp_targetILNS1_3genE4ELNS1_11target_archE910ELNS1_3gpuE8ELNS1_3repE0EEENS1_59segmented_radix_sort_warp_sort_small_config_static_selectorELNS0_4arch9wavefront6targetE0EEEvSK_.num_agpr, 0
	.set _ZN7rocprim17ROCPRIM_400000_NS6detail17trampoline_kernelINS0_14default_configENS1_36segmented_radix_sort_config_selectorIalEEZNS1_25segmented_radix_sort_implIS3_Lb1EPKaPaPKlPlN2at6native12_GLOBAL__N_18offset_tEEE10hipError_tPvRmT1_PNSt15iterator_traitsISK_E10value_typeET2_T3_PNSL_ISQ_E10value_typeET4_jRbjT5_SW_jjP12ihipStream_tbEUlT_E1_NS1_11comp_targetILNS1_3genE4ELNS1_11target_archE910ELNS1_3gpuE8ELNS1_3repE0EEENS1_59segmented_radix_sort_warp_sort_small_config_static_selectorELNS0_4arch9wavefront6targetE0EEEvSK_.numbered_sgpr, 0
	.set _ZN7rocprim17ROCPRIM_400000_NS6detail17trampoline_kernelINS0_14default_configENS1_36segmented_radix_sort_config_selectorIalEEZNS1_25segmented_radix_sort_implIS3_Lb1EPKaPaPKlPlN2at6native12_GLOBAL__N_18offset_tEEE10hipError_tPvRmT1_PNSt15iterator_traitsISK_E10value_typeET2_T3_PNSL_ISQ_E10value_typeET4_jRbjT5_SW_jjP12ihipStream_tbEUlT_E1_NS1_11comp_targetILNS1_3genE4ELNS1_11target_archE910ELNS1_3gpuE8ELNS1_3repE0EEENS1_59segmented_radix_sort_warp_sort_small_config_static_selectorELNS0_4arch9wavefront6targetE0EEEvSK_.num_named_barrier, 0
	.set _ZN7rocprim17ROCPRIM_400000_NS6detail17trampoline_kernelINS0_14default_configENS1_36segmented_radix_sort_config_selectorIalEEZNS1_25segmented_radix_sort_implIS3_Lb1EPKaPaPKlPlN2at6native12_GLOBAL__N_18offset_tEEE10hipError_tPvRmT1_PNSt15iterator_traitsISK_E10value_typeET2_T3_PNSL_ISQ_E10value_typeET4_jRbjT5_SW_jjP12ihipStream_tbEUlT_E1_NS1_11comp_targetILNS1_3genE4ELNS1_11target_archE910ELNS1_3gpuE8ELNS1_3repE0EEENS1_59segmented_radix_sort_warp_sort_small_config_static_selectorELNS0_4arch9wavefront6targetE0EEEvSK_.private_seg_size, 0
	.set _ZN7rocprim17ROCPRIM_400000_NS6detail17trampoline_kernelINS0_14default_configENS1_36segmented_radix_sort_config_selectorIalEEZNS1_25segmented_radix_sort_implIS3_Lb1EPKaPaPKlPlN2at6native12_GLOBAL__N_18offset_tEEE10hipError_tPvRmT1_PNSt15iterator_traitsISK_E10value_typeET2_T3_PNSL_ISQ_E10value_typeET4_jRbjT5_SW_jjP12ihipStream_tbEUlT_E1_NS1_11comp_targetILNS1_3genE4ELNS1_11target_archE910ELNS1_3gpuE8ELNS1_3repE0EEENS1_59segmented_radix_sort_warp_sort_small_config_static_selectorELNS0_4arch9wavefront6targetE0EEEvSK_.uses_vcc, 0
	.set _ZN7rocprim17ROCPRIM_400000_NS6detail17trampoline_kernelINS0_14default_configENS1_36segmented_radix_sort_config_selectorIalEEZNS1_25segmented_radix_sort_implIS3_Lb1EPKaPaPKlPlN2at6native12_GLOBAL__N_18offset_tEEE10hipError_tPvRmT1_PNSt15iterator_traitsISK_E10value_typeET2_T3_PNSL_ISQ_E10value_typeET4_jRbjT5_SW_jjP12ihipStream_tbEUlT_E1_NS1_11comp_targetILNS1_3genE4ELNS1_11target_archE910ELNS1_3gpuE8ELNS1_3repE0EEENS1_59segmented_radix_sort_warp_sort_small_config_static_selectorELNS0_4arch9wavefront6targetE0EEEvSK_.uses_flat_scratch, 0
	.set _ZN7rocprim17ROCPRIM_400000_NS6detail17trampoline_kernelINS0_14default_configENS1_36segmented_radix_sort_config_selectorIalEEZNS1_25segmented_radix_sort_implIS3_Lb1EPKaPaPKlPlN2at6native12_GLOBAL__N_18offset_tEEE10hipError_tPvRmT1_PNSt15iterator_traitsISK_E10value_typeET2_T3_PNSL_ISQ_E10value_typeET4_jRbjT5_SW_jjP12ihipStream_tbEUlT_E1_NS1_11comp_targetILNS1_3genE4ELNS1_11target_archE910ELNS1_3gpuE8ELNS1_3repE0EEENS1_59segmented_radix_sort_warp_sort_small_config_static_selectorELNS0_4arch9wavefront6targetE0EEEvSK_.has_dyn_sized_stack, 0
	.set _ZN7rocprim17ROCPRIM_400000_NS6detail17trampoline_kernelINS0_14default_configENS1_36segmented_radix_sort_config_selectorIalEEZNS1_25segmented_radix_sort_implIS3_Lb1EPKaPaPKlPlN2at6native12_GLOBAL__N_18offset_tEEE10hipError_tPvRmT1_PNSt15iterator_traitsISK_E10value_typeET2_T3_PNSL_ISQ_E10value_typeET4_jRbjT5_SW_jjP12ihipStream_tbEUlT_E1_NS1_11comp_targetILNS1_3genE4ELNS1_11target_archE910ELNS1_3gpuE8ELNS1_3repE0EEENS1_59segmented_radix_sort_warp_sort_small_config_static_selectorELNS0_4arch9wavefront6targetE0EEEvSK_.has_recursion, 0
	.set _ZN7rocprim17ROCPRIM_400000_NS6detail17trampoline_kernelINS0_14default_configENS1_36segmented_radix_sort_config_selectorIalEEZNS1_25segmented_radix_sort_implIS3_Lb1EPKaPaPKlPlN2at6native12_GLOBAL__N_18offset_tEEE10hipError_tPvRmT1_PNSt15iterator_traitsISK_E10value_typeET2_T3_PNSL_ISQ_E10value_typeET4_jRbjT5_SW_jjP12ihipStream_tbEUlT_E1_NS1_11comp_targetILNS1_3genE4ELNS1_11target_archE910ELNS1_3gpuE8ELNS1_3repE0EEENS1_59segmented_radix_sort_warp_sort_small_config_static_selectorELNS0_4arch9wavefront6targetE0EEEvSK_.has_indirect_call, 0
	.section	.AMDGPU.csdata,"",@progbits
; Kernel info:
; codeLenInByte = 0
; TotalNumSgprs: 0
; NumVgprs: 0
; ScratchSize: 0
; MemoryBound: 0
; FloatMode: 240
; IeeeMode: 1
; LDSByteSize: 0 bytes/workgroup (compile time only)
; SGPRBlocks: 0
; VGPRBlocks: 0
; NumSGPRsForWavesPerEU: 1
; NumVGPRsForWavesPerEU: 1
; Occupancy: 16
; WaveLimiterHint : 0
; COMPUTE_PGM_RSRC2:SCRATCH_EN: 0
; COMPUTE_PGM_RSRC2:USER_SGPR: 6
; COMPUTE_PGM_RSRC2:TRAP_HANDLER: 0
; COMPUTE_PGM_RSRC2:TGID_X_EN: 1
; COMPUTE_PGM_RSRC2:TGID_Y_EN: 0
; COMPUTE_PGM_RSRC2:TGID_Z_EN: 0
; COMPUTE_PGM_RSRC2:TIDIG_COMP_CNT: 0
	.section	.text._ZN7rocprim17ROCPRIM_400000_NS6detail17trampoline_kernelINS0_14default_configENS1_36segmented_radix_sort_config_selectorIalEEZNS1_25segmented_radix_sort_implIS3_Lb1EPKaPaPKlPlN2at6native12_GLOBAL__N_18offset_tEEE10hipError_tPvRmT1_PNSt15iterator_traitsISK_E10value_typeET2_T3_PNSL_ISQ_E10value_typeET4_jRbjT5_SW_jjP12ihipStream_tbEUlT_E1_NS1_11comp_targetILNS1_3genE3ELNS1_11target_archE908ELNS1_3gpuE7ELNS1_3repE0EEENS1_59segmented_radix_sort_warp_sort_small_config_static_selectorELNS0_4arch9wavefront6targetE0EEEvSK_,"axG",@progbits,_ZN7rocprim17ROCPRIM_400000_NS6detail17trampoline_kernelINS0_14default_configENS1_36segmented_radix_sort_config_selectorIalEEZNS1_25segmented_radix_sort_implIS3_Lb1EPKaPaPKlPlN2at6native12_GLOBAL__N_18offset_tEEE10hipError_tPvRmT1_PNSt15iterator_traitsISK_E10value_typeET2_T3_PNSL_ISQ_E10value_typeET4_jRbjT5_SW_jjP12ihipStream_tbEUlT_E1_NS1_11comp_targetILNS1_3genE3ELNS1_11target_archE908ELNS1_3gpuE7ELNS1_3repE0EEENS1_59segmented_radix_sort_warp_sort_small_config_static_selectorELNS0_4arch9wavefront6targetE0EEEvSK_,comdat
	.globl	_ZN7rocprim17ROCPRIM_400000_NS6detail17trampoline_kernelINS0_14default_configENS1_36segmented_radix_sort_config_selectorIalEEZNS1_25segmented_radix_sort_implIS3_Lb1EPKaPaPKlPlN2at6native12_GLOBAL__N_18offset_tEEE10hipError_tPvRmT1_PNSt15iterator_traitsISK_E10value_typeET2_T3_PNSL_ISQ_E10value_typeET4_jRbjT5_SW_jjP12ihipStream_tbEUlT_E1_NS1_11comp_targetILNS1_3genE3ELNS1_11target_archE908ELNS1_3gpuE7ELNS1_3repE0EEENS1_59segmented_radix_sort_warp_sort_small_config_static_selectorELNS0_4arch9wavefront6targetE0EEEvSK_ ; -- Begin function _ZN7rocprim17ROCPRIM_400000_NS6detail17trampoline_kernelINS0_14default_configENS1_36segmented_radix_sort_config_selectorIalEEZNS1_25segmented_radix_sort_implIS3_Lb1EPKaPaPKlPlN2at6native12_GLOBAL__N_18offset_tEEE10hipError_tPvRmT1_PNSt15iterator_traitsISK_E10value_typeET2_T3_PNSL_ISQ_E10value_typeET4_jRbjT5_SW_jjP12ihipStream_tbEUlT_E1_NS1_11comp_targetILNS1_3genE3ELNS1_11target_archE908ELNS1_3gpuE7ELNS1_3repE0EEENS1_59segmented_radix_sort_warp_sort_small_config_static_selectorELNS0_4arch9wavefront6targetE0EEEvSK_
	.p2align	8
	.type	_ZN7rocprim17ROCPRIM_400000_NS6detail17trampoline_kernelINS0_14default_configENS1_36segmented_radix_sort_config_selectorIalEEZNS1_25segmented_radix_sort_implIS3_Lb1EPKaPaPKlPlN2at6native12_GLOBAL__N_18offset_tEEE10hipError_tPvRmT1_PNSt15iterator_traitsISK_E10value_typeET2_T3_PNSL_ISQ_E10value_typeET4_jRbjT5_SW_jjP12ihipStream_tbEUlT_E1_NS1_11comp_targetILNS1_3genE3ELNS1_11target_archE908ELNS1_3gpuE7ELNS1_3repE0EEENS1_59segmented_radix_sort_warp_sort_small_config_static_selectorELNS0_4arch9wavefront6targetE0EEEvSK_,@function
_ZN7rocprim17ROCPRIM_400000_NS6detail17trampoline_kernelINS0_14default_configENS1_36segmented_radix_sort_config_selectorIalEEZNS1_25segmented_radix_sort_implIS3_Lb1EPKaPaPKlPlN2at6native12_GLOBAL__N_18offset_tEEE10hipError_tPvRmT1_PNSt15iterator_traitsISK_E10value_typeET2_T3_PNSL_ISQ_E10value_typeET4_jRbjT5_SW_jjP12ihipStream_tbEUlT_E1_NS1_11comp_targetILNS1_3genE3ELNS1_11target_archE908ELNS1_3gpuE7ELNS1_3repE0EEENS1_59segmented_radix_sort_warp_sort_small_config_static_selectorELNS0_4arch9wavefront6targetE0EEEvSK_: ; @_ZN7rocprim17ROCPRIM_400000_NS6detail17trampoline_kernelINS0_14default_configENS1_36segmented_radix_sort_config_selectorIalEEZNS1_25segmented_radix_sort_implIS3_Lb1EPKaPaPKlPlN2at6native12_GLOBAL__N_18offset_tEEE10hipError_tPvRmT1_PNSt15iterator_traitsISK_E10value_typeET2_T3_PNSL_ISQ_E10value_typeET4_jRbjT5_SW_jjP12ihipStream_tbEUlT_E1_NS1_11comp_targetILNS1_3genE3ELNS1_11target_archE908ELNS1_3gpuE7ELNS1_3repE0EEENS1_59segmented_radix_sort_warp_sort_small_config_static_selectorELNS0_4arch9wavefront6targetE0EEEvSK_
; %bb.0:
	.section	.rodata,"a",@progbits
	.p2align	6, 0x0
	.amdhsa_kernel _ZN7rocprim17ROCPRIM_400000_NS6detail17trampoline_kernelINS0_14default_configENS1_36segmented_radix_sort_config_selectorIalEEZNS1_25segmented_radix_sort_implIS3_Lb1EPKaPaPKlPlN2at6native12_GLOBAL__N_18offset_tEEE10hipError_tPvRmT1_PNSt15iterator_traitsISK_E10value_typeET2_T3_PNSL_ISQ_E10value_typeET4_jRbjT5_SW_jjP12ihipStream_tbEUlT_E1_NS1_11comp_targetILNS1_3genE3ELNS1_11target_archE908ELNS1_3gpuE7ELNS1_3repE0EEENS1_59segmented_radix_sort_warp_sort_small_config_static_selectorELNS0_4arch9wavefront6targetE0EEEvSK_
		.amdhsa_group_segment_fixed_size 0
		.amdhsa_private_segment_fixed_size 0
		.amdhsa_kernarg_size 88
		.amdhsa_user_sgpr_count 6
		.amdhsa_user_sgpr_private_segment_buffer 1
		.amdhsa_user_sgpr_dispatch_ptr 0
		.amdhsa_user_sgpr_queue_ptr 0
		.amdhsa_user_sgpr_kernarg_segment_ptr 1
		.amdhsa_user_sgpr_dispatch_id 0
		.amdhsa_user_sgpr_flat_scratch_init 0
		.amdhsa_user_sgpr_private_segment_size 0
		.amdhsa_wavefront_size32 1
		.amdhsa_uses_dynamic_stack 0
		.amdhsa_system_sgpr_private_segment_wavefront_offset 0
		.amdhsa_system_sgpr_workgroup_id_x 1
		.amdhsa_system_sgpr_workgroup_id_y 0
		.amdhsa_system_sgpr_workgroup_id_z 0
		.amdhsa_system_sgpr_workgroup_info 0
		.amdhsa_system_vgpr_workitem_id 0
		.amdhsa_next_free_vgpr 1
		.amdhsa_next_free_sgpr 1
		.amdhsa_reserve_vcc 0
		.amdhsa_reserve_flat_scratch 0
		.amdhsa_float_round_mode_32 0
		.amdhsa_float_round_mode_16_64 0
		.amdhsa_float_denorm_mode_32 3
		.amdhsa_float_denorm_mode_16_64 3
		.amdhsa_dx10_clamp 1
		.amdhsa_ieee_mode 1
		.amdhsa_fp16_overflow 0
		.amdhsa_workgroup_processor_mode 1
		.amdhsa_memory_ordered 1
		.amdhsa_forward_progress 1
		.amdhsa_shared_vgpr_count 0
		.amdhsa_exception_fp_ieee_invalid_op 0
		.amdhsa_exception_fp_denorm_src 0
		.amdhsa_exception_fp_ieee_div_zero 0
		.amdhsa_exception_fp_ieee_overflow 0
		.amdhsa_exception_fp_ieee_underflow 0
		.amdhsa_exception_fp_ieee_inexact 0
		.amdhsa_exception_int_div_zero 0
	.end_amdhsa_kernel
	.section	.text._ZN7rocprim17ROCPRIM_400000_NS6detail17trampoline_kernelINS0_14default_configENS1_36segmented_radix_sort_config_selectorIalEEZNS1_25segmented_radix_sort_implIS3_Lb1EPKaPaPKlPlN2at6native12_GLOBAL__N_18offset_tEEE10hipError_tPvRmT1_PNSt15iterator_traitsISK_E10value_typeET2_T3_PNSL_ISQ_E10value_typeET4_jRbjT5_SW_jjP12ihipStream_tbEUlT_E1_NS1_11comp_targetILNS1_3genE3ELNS1_11target_archE908ELNS1_3gpuE7ELNS1_3repE0EEENS1_59segmented_radix_sort_warp_sort_small_config_static_selectorELNS0_4arch9wavefront6targetE0EEEvSK_,"axG",@progbits,_ZN7rocprim17ROCPRIM_400000_NS6detail17trampoline_kernelINS0_14default_configENS1_36segmented_radix_sort_config_selectorIalEEZNS1_25segmented_radix_sort_implIS3_Lb1EPKaPaPKlPlN2at6native12_GLOBAL__N_18offset_tEEE10hipError_tPvRmT1_PNSt15iterator_traitsISK_E10value_typeET2_T3_PNSL_ISQ_E10value_typeET4_jRbjT5_SW_jjP12ihipStream_tbEUlT_E1_NS1_11comp_targetILNS1_3genE3ELNS1_11target_archE908ELNS1_3gpuE7ELNS1_3repE0EEENS1_59segmented_radix_sort_warp_sort_small_config_static_selectorELNS0_4arch9wavefront6targetE0EEEvSK_,comdat
.Lfunc_end311:
	.size	_ZN7rocprim17ROCPRIM_400000_NS6detail17trampoline_kernelINS0_14default_configENS1_36segmented_radix_sort_config_selectorIalEEZNS1_25segmented_radix_sort_implIS3_Lb1EPKaPaPKlPlN2at6native12_GLOBAL__N_18offset_tEEE10hipError_tPvRmT1_PNSt15iterator_traitsISK_E10value_typeET2_T3_PNSL_ISQ_E10value_typeET4_jRbjT5_SW_jjP12ihipStream_tbEUlT_E1_NS1_11comp_targetILNS1_3genE3ELNS1_11target_archE908ELNS1_3gpuE7ELNS1_3repE0EEENS1_59segmented_radix_sort_warp_sort_small_config_static_selectorELNS0_4arch9wavefront6targetE0EEEvSK_, .Lfunc_end311-_ZN7rocprim17ROCPRIM_400000_NS6detail17trampoline_kernelINS0_14default_configENS1_36segmented_radix_sort_config_selectorIalEEZNS1_25segmented_radix_sort_implIS3_Lb1EPKaPaPKlPlN2at6native12_GLOBAL__N_18offset_tEEE10hipError_tPvRmT1_PNSt15iterator_traitsISK_E10value_typeET2_T3_PNSL_ISQ_E10value_typeET4_jRbjT5_SW_jjP12ihipStream_tbEUlT_E1_NS1_11comp_targetILNS1_3genE3ELNS1_11target_archE908ELNS1_3gpuE7ELNS1_3repE0EEENS1_59segmented_radix_sort_warp_sort_small_config_static_selectorELNS0_4arch9wavefront6targetE0EEEvSK_
                                        ; -- End function
	.set _ZN7rocprim17ROCPRIM_400000_NS6detail17trampoline_kernelINS0_14default_configENS1_36segmented_radix_sort_config_selectorIalEEZNS1_25segmented_radix_sort_implIS3_Lb1EPKaPaPKlPlN2at6native12_GLOBAL__N_18offset_tEEE10hipError_tPvRmT1_PNSt15iterator_traitsISK_E10value_typeET2_T3_PNSL_ISQ_E10value_typeET4_jRbjT5_SW_jjP12ihipStream_tbEUlT_E1_NS1_11comp_targetILNS1_3genE3ELNS1_11target_archE908ELNS1_3gpuE7ELNS1_3repE0EEENS1_59segmented_radix_sort_warp_sort_small_config_static_selectorELNS0_4arch9wavefront6targetE0EEEvSK_.num_vgpr, 0
	.set _ZN7rocprim17ROCPRIM_400000_NS6detail17trampoline_kernelINS0_14default_configENS1_36segmented_radix_sort_config_selectorIalEEZNS1_25segmented_radix_sort_implIS3_Lb1EPKaPaPKlPlN2at6native12_GLOBAL__N_18offset_tEEE10hipError_tPvRmT1_PNSt15iterator_traitsISK_E10value_typeET2_T3_PNSL_ISQ_E10value_typeET4_jRbjT5_SW_jjP12ihipStream_tbEUlT_E1_NS1_11comp_targetILNS1_3genE3ELNS1_11target_archE908ELNS1_3gpuE7ELNS1_3repE0EEENS1_59segmented_radix_sort_warp_sort_small_config_static_selectorELNS0_4arch9wavefront6targetE0EEEvSK_.num_agpr, 0
	.set _ZN7rocprim17ROCPRIM_400000_NS6detail17trampoline_kernelINS0_14default_configENS1_36segmented_radix_sort_config_selectorIalEEZNS1_25segmented_radix_sort_implIS3_Lb1EPKaPaPKlPlN2at6native12_GLOBAL__N_18offset_tEEE10hipError_tPvRmT1_PNSt15iterator_traitsISK_E10value_typeET2_T3_PNSL_ISQ_E10value_typeET4_jRbjT5_SW_jjP12ihipStream_tbEUlT_E1_NS1_11comp_targetILNS1_3genE3ELNS1_11target_archE908ELNS1_3gpuE7ELNS1_3repE0EEENS1_59segmented_radix_sort_warp_sort_small_config_static_selectorELNS0_4arch9wavefront6targetE0EEEvSK_.numbered_sgpr, 0
	.set _ZN7rocprim17ROCPRIM_400000_NS6detail17trampoline_kernelINS0_14default_configENS1_36segmented_radix_sort_config_selectorIalEEZNS1_25segmented_radix_sort_implIS3_Lb1EPKaPaPKlPlN2at6native12_GLOBAL__N_18offset_tEEE10hipError_tPvRmT1_PNSt15iterator_traitsISK_E10value_typeET2_T3_PNSL_ISQ_E10value_typeET4_jRbjT5_SW_jjP12ihipStream_tbEUlT_E1_NS1_11comp_targetILNS1_3genE3ELNS1_11target_archE908ELNS1_3gpuE7ELNS1_3repE0EEENS1_59segmented_radix_sort_warp_sort_small_config_static_selectorELNS0_4arch9wavefront6targetE0EEEvSK_.num_named_barrier, 0
	.set _ZN7rocprim17ROCPRIM_400000_NS6detail17trampoline_kernelINS0_14default_configENS1_36segmented_radix_sort_config_selectorIalEEZNS1_25segmented_radix_sort_implIS3_Lb1EPKaPaPKlPlN2at6native12_GLOBAL__N_18offset_tEEE10hipError_tPvRmT1_PNSt15iterator_traitsISK_E10value_typeET2_T3_PNSL_ISQ_E10value_typeET4_jRbjT5_SW_jjP12ihipStream_tbEUlT_E1_NS1_11comp_targetILNS1_3genE3ELNS1_11target_archE908ELNS1_3gpuE7ELNS1_3repE0EEENS1_59segmented_radix_sort_warp_sort_small_config_static_selectorELNS0_4arch9wavefront6targetE0EEEvSK_.private_seg_size, 0
	.set _ZN7rocprim17ROCPRIM_400000_NS6detail17trampoline_kernelINS0_14default_configENS1_36segmented_radix_sort_config_selectorIalEEZNS1_25segmented_radix_sort_implIS3_Lb1EPKaPaPKlPlN2at6native12_GLOBAL__N_18offset_tEEE10hipError_tPvRmT1_PNSt15iterator_traitsISK_E10value_typeET2_T3_PNSL_ISQ_E10value_typeET4_jRbjT5_SW_jjP12ihipStream_tbEUlT_E1_NS1_11comp_targetILNS1_3genE3ELNS1_11target_archE908ELNS1_3gpuE7ELNS1_3repE0EEENS1_59segmented_radix_sort_warp_sort_small_config_static_selectorELNS0_4arch9wavefront6targetE0EEEvSK_.uses_vcc, 0
	.set _ZN7rocprim17ROCPRIM_400000_NS6detail17trampoline_kernelINS0_14default_configENS1_36segmented_radix_sort_config_selectorIalEEZNS1_25segmented_radix_sort_implIS3_Lb1EPKaPaPKlPlN2at6native12_GLOBAL__N_18offset_tEEE10hipError_tPvRmT1_PNSt15iterator_traitsISK_E10value_typeET2_T3_PNSL_ISQ_E10value_typeET4_jRbjT5_SW_jjP12ihipStream_tbEUlT_E1_NS1_11comp_targetILNS1_3genE3ELNS1_11target_archE908ELNS1_3gpuE7ELNS1_3repE0EEENS1_59segmented_radix_sort_warp_sort_small_config_static_selectorELNS0_4arch9wavefront6targetE0EEEvSK_.uses_flat_scratch, 0
	.set _ZN7rocprim17ROCPRIM_400000_NS6detail17trampoline_kernelINS0_14default_configENS1_36segmented_radix_sort_config_selectorIalEEZNS1_25segmented_radix_sort_implIS3_Lb1EPKaPaPKlPlN2at6native12_GLOBAL__N_18offset_tEEE10hipError_tPvRmT1_PNSt15iterator_traitsISK_E10value_typeET2_T3_PNSL_ISQ_E10value_typeET4_jRbjT5_SW_jjP12ihipStream_tbEUlT_E1_NS1_11comp_targetILNS1_3genE3ELNS1_11target_archE908ELNS1_3gpuE7ELNS1_3repE0EEENS1_59segmented_radix_sort_warp_sort_small_config_static_selectorELNS0_4arch9wavefront6targetE0EEEvSK_.has_dyn_sized_stack, 0
	.set _ZN7rocprim17ROCPRIM_400000_NS6detail17trampoline_kernelINS0_14default_configENS1_36segmented_radix_sort_config_selectorIalEEZNS1_25segmented_radix_sort_implIS3_Lb1EPKaPaPKlPlN2at6native12_GLOBAL__N_18offset_tEEE10hipError_tPvRmT1_PNSt15iterator_traitsISK_E10value_typeET2_T3_PNSL_ISQ_E10value_typeET4_jRbjT5_SW_jjP12ihipStream_tbEUlT_E1_NS1_11comp_targetILNS1_3genE3ELNS1_11target_archE908ELNS1_3gpuE7ELNS1_3repE0EEENS1_59segmented_radix_sort_warp_sort_small_config_static_selectorELNS0_4arch9wavefront6targetE0EEEvSK_.has_recursion, 0
	.set _ZN7rocprim17ROCPRIM_400000_NS6detail17trampoline_kernelINS0_14default_configENS1_36segmented_radix_sort_config_selectorIalEEZNS1_25segmented_radix_sort_implIS3_Lb1EPKaPaPKlPlN2at6native12_GLOBAL__N_18offset_tEEE10hipError_tPvRmT1_PNSt15iterator_traitsISK_E10value_typeET2_T3_PNSL_ISQ_E10value_typeET4_jRbjT5_SW_jjP12ihipStream_tbEUlT_E1_NS1_11comp_targetILNS1_3genE3ELNS1_11target_archE908ELNS1_3gpuE7ELNS1_3repE0EEENS1_59segmented_radix_sort_warp_sort_small_config_static_selectorELNS0_4arch9wavefront6targetE0EEEvSK_.has_indirect_call, 0
	.section	.AMDGPU.csdata,"",@progbits
; Kernel info:
; codeLenInByte = 0
; TotalNumSgprs: 0
; NumVgprs: 0
; ScratchSize: 0
; MemoryBound: 0
; FloatMode: 240
; IeeeMode: 1
; LDSByteSize: 0 bytes/workgroup (compile time only)
; SGPRBlocks: 0
; VGPRBlocks: 0
; NumSGPRsForWavesPerEU: 1
; NumVGPRsForWavesPerEU: 1
; Occupancy: 16
; WaveLimiterHint : 0
; COMPUTE_PGM_RSRC2:SCRATCH_EN: 0
; COMPUTE_PGM_RSRC2:USER_SGPR: 6
; COMPUTE_PGM_RSRC2:TRAP_HANDLER: 0
; COMPUTE_PGM_RSRC2:TGID_X_EN: 1
; COMPUTE_PGM_RSRC2:TGID_Y_EN: 0
; COMPUTE_PGM_RSRC2:TGID_Z_EN: 0
; COMPUTE_PGM_RSRC2:TIDIG_COMP_CNT: 0
	.section	.text._ZN7rocprim17ROCPRIM_400000_NS6detail17trampoline_kernelINS0_14default_configENS1_36segmented_radix_sort_config_selectorIalEEZNS1_25segmented_radix_sort_implIS3_Lb1EPKaPaPKlPlN2at6native12_GLOBAL__N_18offset_tEEE10hipError_tPvRmT1_PNSt15iterator_traitsISK_E10value_typeET2_T3_PNSL_ISQ_E10value_typeET4_jRbjT5_SW_jjP12ihipStream_tbEUlT_E1_NS1_11comp_targetILNS1_3genE2ELNS1_11target_archE906ELNS1_3gpuE6ELNS1_3repE0EEENS1_59segmented_radix_sort_warp_sort_small_config_static_selectorELNS0_4arch9wavefront6targetE0EEEvSK_,"axG",@progbits,_ZN7rocprim17ROCPRIM_400000_NS6detail17trampoline_kernelINS0_14default_configENS1_36segmented_radix_sort_config_selectorIalEEZNS1_25segmented_radix_sort_implIS3_Lb1EPKaPaPKlPlN2at6native12_GLOBAL__N_18offset_tEEE10hipError_tPvRmT1_PNSt15iterator_traitsISK_E10value_typeET2_T3_PNSL_ISQ_E10value_typeET4_jRbjT5_SW_jjP12ihipStream_tbEUlT_E1_NS1_11comp_targetILNS1_3genE2ELNS1_11target_archE906ELNS1_3gpuE6ELNS1_3repE0EEENS1_59segmented_radix_sort_warp_sort_small_config_static_selectorELNS0_4arch9wavefront6targetE0EEEvSK_,comdat
	.globl	_ZN7rocprim17ROCPRIM_400000_NS6detail17trampoline_kernelINS0_14default_configENS1_36segmented_radix_sort_config_selectorIalEEZNS1_25segmented_radix_sort_implIS3_Lb1EPKaPaPKlPlN2at6native12_GLOBAL__N_18offset_tEEE10hipError_tPvRmT1_PNSt15iterator_traitsISK_E10value_typeET2_T3_PNSL_ISQ_E10value_typeET4_jRbjT5_SW_jjP12ihipStream_tbEUlT_E1_NS1_11comp_targetILNS1_3genE2ELNS1_11target_archE906ELNS1_3gpuE6ELNS1_3repE0EEENS1_59segmented_radix_sort_warp_sort_small_config_static_selectorELNS0_4arch9wavefront6targetE0EEEvSK_ ; -- Begin function _ZN7rocprim17ROCPRIM_400000_NS6detail17trampoline_kernelINS0_14default_configENS1_36segmented_radix_sort_config_selectorIalEEZNS1_25segmented_radix_sort_implIS3_Lb1EPKaPaPKlPlN2at6native12_GLOBAL__N_18offset_tEEE10hipError_tPvRmT1_PNSt15iterator_traitsISK_E10value_typeET2_T3_PNSL_ISQ_E10value_typeET4_jRbjT5_SW_jjP12ihipStream_tbEUlT_E1_NS1_11comp_targetILNS1_3genE2ELNS1_11target_archE906ELNS1_3gpuE6ELNS1_3repE0EEENS1_59segmented_radix_sort_warp_sort_small_config_static_selectorELNS0_4arch9wavefront6targetE0EEEvSK_
	.p2align	8
	.type	_ZN7rocprim17ROCPRIM_400000_NS6detail17trampoline_kernelINS0_14default_configENS1_36segmented_radix_sort_config_selectorIalEEZNS1_25segmented_radix_sort_implIS3_Lb1EPKaPaPKlPlN2at6native12_GLOBAL__N_18offset_tEEE10hipError_tPvRmT1_PNSt15iterator_traitsISK_E10value_typeET2_T3_PNSL_ISQ_E10value_typeET4_jRbjT5_SW_jjP12ihipStream_tbEUlT_E1_NS1_11comp_targetILNS1_3genE2ELNS1_11target_archE906ELNS1_3gpuE6ELNS1_3repE0EEENS1_59segmented_radix_sort_warp_sort_small_config_static_selectorELNS0_4arch9wavefront6targetE0EEEvSK_,@function
_ZN7rocprim17ROCPRIM_400000_NS6detail17trampoline_kernelINS0_14default_configENS1_36segmented_radix_sort_config_selectorIalEEZNS1_25segmented_radix_sort_implIS3_Lb1EPKaPaPKlPlN2at6native12_GLOBAL__N_18offset_tEEE10hipError_tPvRmT1_PNSt15iterator_traitsISK_E10value_typeET2_T3_PNSL_ISQ_E10value_typeET4_jRbjT5_SW_jjP12ihipStream_tbEUlT_E1_NS1_11comp_targetILNS1_3genE2ELNS1_11target_archE906ELNS1_3gpuE6ELNS1_3repE0EEENS1_59segmented_radix_sort_warp_sort_small_config_static_selectorELNS0_4arch9wavefront6targetE0EEEvSK_: ; @_ZN7rocprim17ROCPRIM_400000_NS6detail17trampoline_kernelINS0_14default_configENS1_36segmented_radix_sort_config_selectorIalEEZNS1_25segmented_radix_sort_implIS3_Lb1EPKaPaPKlPlN2at6native12_GLOBAL__N_18offset_tEEE10hipError_tPvRmT1_PNSt15iterator_traitsISK_E10value_typeET2_T3_PNSL_ISQ_E10value_typeET4_jRbjT5_SW_jjP12ihipStream_tbEUlT_E1_NS1_11comp_targetILNS1_3genE2ELNS1_11target_archE906ELNS1_3gpuE6ELNS1_3repE0EEENS1_59segmented_radix_sort_warp_sort_small_config_static_selectorELNS0_4arch9wavefront6targetE0EEEvSK_
; %bb.0:
	.section	.rodata,"a",@progbits
	.p2align	6, 0x0
	.amdhsa_kernel _ZN7rocprim17ROCPRIM_400000_NS6detail17trampoline_kernelINS0_14default_configENS1_36segmented_radix_sort_config_selectorIalEEZNS1_25segmented_radix_sort_implIS3_Lb1EPKaPaPKlPlN2at6native12_GLOBAL__N_18offset_tEEE10hipError_tPvRmT1_PNSt15iterator_traitsISK_E10value_typeET2_T3_PNSL_ISQ_E10value_typeET4_jRbjT5_SW_jjP12ihipStream_tbEUlT_E1_NS1_11comp_targetILNS1_3genE2ELNS1_11target_archE906ELNS1_3gpuE6ELNS1_3repE0EEENS1_59segmented_radix_sort_warp_sort_small_config_static_selectorELNS0_4arch9wavefront6targetE0EEEvSK_
		.amdhsa_group_segment_fixed_size 0
		.amdhsa_private_segment_fixed_size 0
		.amdhsa_kernarg_size 88
		.amdhsa_user_sgpr_count 6
		.amdhsa_user_sgpr_private_segment_buffer 1
		.amdhsa_user_sgpr_dispatch_ptr 0
		.amdhsa_user_sgpr_queue_ptr 0
		.amdhsa_user_sgpr_kernarg_segment_ptr 1
		.amdhsa_user_sgpr_dispatch_id 0
		.amdhsa_user_sgpr_flat_scratch_init 0
		.amdhsa_user_sgpr_private_segment_size 0
		.amdhsa_wavefront_size32 1
		.amdhsa_uses_dynamic_stack 0
		.amdhsa_system_sgpr_private_segment_wavefront_offset 0
		.amdhsa_system_sgpr_workgroup_id_x 1
		.amdhsa_system_sgpr_workgroup_id_y 0
		.amdhsa_system_sgpr_workgroup_id_z 0
		.amdhsa_system_sgpr_workgroup_info 0
		.amdhsa_system_vgpr_workitem_id 0
		.amdhsa_next_free_vgpr 1
		.amdhsa_next_free_sgpr 1
		.amdhsa_reserve_vcc 0
		.amdhsa_reserve_flat_scratch 0
		.amdhsa_float_round_mode_32 0
		.amdhsa_float_round_mode_16_64 0
		.amdhsa_float_denorm_mode_32 3
		.amdhsa_float_denorm_mode_16_64 3
		.amdhsa_dx10_clamp 1
		.amdhsa_ieee_mode 1
		.amdhsa_fp16_overflow 0
		.amdhsa_workgroup_processor_mode 1
		.amdhsa_memory_ordered 1
		.amdhsa_forward_progress 1
		.amdhsa_shared_vgpr_count 0
		.amdhsa_exception_fp_ieee_invalid_op 0
		.amdhsa_exception_fp_denorm_src 0
		.amdhsa_exception_fp_ieee_div_zero 0
		.amdhsa_exception_fp_ieee_overflow 0
		.amdhsa_exception_fp_ieee_underflow 0
		.amdhsa_exception_fp_ieee_inexact 0
		.amdhsa_exception_int_div_zero 0
	.end_amdhsa_kernel
	.section	.text._ZN7rocprim17ROCPRIM_400000_NS6detail17trampoline_kernelINS0_14default_configENS1_36segmented_radix_sort_config_selectorIalEEZNS1_25segmented_radix_sort_implIS3_Lb1EPKaPaPKlPlN2at6native12_GLOBAL__N_18offset_tEEE10hipError_tPvRmT1_PNSt15iterator_traitsISK_E10value_typeET2_T3_PNSL_ISQ_E10value_typeET4_jRbjT5_SW_jjP12ihipStream_tbEUlT_E1_NS1_11comp_targetILNS1_3genE2ELNS1_11target_archE906ELNS1_3gpuE6ELNS1_3repE0EEENS1_59segmented_radix_sort_warp_sort_small_config_static_selectorELNS0_4arch9wavefront6targetE0EEEvSK_,"axG",@progbits,_ZN7rocprim17ROCPRIM_400000_NS6detail17trampoline_kernelINS0_14default_configENS1_36segmented_radix_sort_config_selectorIalEEZNS1_25segmented_radix_sort_implIS3_Lb1EPKaPaPKlPlN2at6native12_GLOBAL__N_18offset_tEEE10hipError_tPvRmT1_PNSt15iterator_traitsISK_E10value_typeET2_T3_PNSL_ISQ_E10value_typeET4_jRbjT5_SW_jjP12ihipStream_tbEUlT_E1_NS1_11comp_targetILNS1_3genE2ELNS1_11target_archE906ELNS1_3gpuE6ELNS1_3repE0EEENS1_59segmented_radix_sort_warp_sort_small_config_static_selectorELNS0_4arch9wavefront6targetE0EEEvSK_,comdat
.Lfunc_end312:
	.size	_ZN7rocprim17ROCPRIM_400000_NS6detail17trampoline_kernelINS0_14default_configENS1_36segmented_radix_sort_config_selectorIalEEZNS1_25segmented_radix_sort_implIS3_Lb1EPKaPaPKlPlN2at6native12_GLOBAL__N_18offset_tEEE10hipError_tPvRmT1_PNSt15iterator_traitsISK_E10value_typeET2_T3_PNSL_ISQ_E10value_typeET4_jRbjT5_SW_jjP12ihipStream_tbEUlT_E1_NS1_11comp_targetILNS1_3genE2ELNS1_11target_archE906ELNS1_3gpuE6ELNS1_3repE0EEENS1_59segmented_radix_sort_warp_sort_small_config_static_selectorELNS0_4arch9wavefront6targetE0EEEvSK_, .Lfunc_end312-_ZN7rocprim17ROCPRIM_400000_NS6detail17trampoline_kernelINS0_14default_configENS1_36segmented_radix_sort_config_selectorIalEEZNS1_25segmented_radix_sort_implIS3_Lb1EPKaPaPKlPlN2at6native12_GLOBAL__N_18offset_tEEE10hipError_tPvRmT1_PNSt15iterator_traitsISK_E10value_typeET2_T3_PNSL_ISQ_E10value_typeET4_jRbjT5_SW_jjP12ihipStream_tbEUlT_E1_NS1_11comp_targetILNS1_3genE2ELNS1_11target_archE906ELNS1_3gpuE6ELNS1_3repE0EEENS1_59segmented_radix_sort_warp_sort_small_config_static_selectorELNS0_4arch9wavefront6targetE0EEEvSK_
                                        ; -- End function
	.set _ZN7rocprim17ROCPRIM_400000_NS6detail17trampoline_kernelINS0_14default_configENS1_36segmented_radix_sort_config_selectorIalEEZNS1_25segmented_radix_sort_implIS3_Lb1EPKaPaPKlPlN2at6native12_GLOBAL__N_18offset_tEEE10hipError_tPvRmT1_PNSt15iterator_traitsISK_E10value_typeET2_T3_PNSL_ISQ_E10value_typeET4_jRbjT5_SW_jjP12ihipStream_tbEUlT_E1_NS1_11comp_targetILNS1_3genE2ELNS1_11target_archE906ELNS1_3gpuE6ELNS1_3repE0EEENS1_59segmented_radix_sort_warp_sort_small_config_static_selectorELNS0_4arch9wavefront6targetE0EEEvSK_.num_vgpr, 0
	.set _ZN7rocprim17ROCPRIM_400000_NS6detail17trampoline_kernelINS0_14default_configENS1_36segmented_radix_sort_config_selectorIalEEZNS1_25segmented_radix_sort_implIS3_Lb1EPKaPaPKlPlN2at6native12_GLOBAL__N_18offset_tEEE10hipError_tPvRmT1_PNSt15iterator_traitsISK_E10value_typeET2_T3_PNSL_ISQ_E10value_typeET4_jRbjT5_SW_jjP12ihipStream_tbEUlT_E1_NS1_11comp_targetILNS1_3genE2ELNS1_11target_archE906ELNS1_3gpuE6ELNS1_3repE0EEENS1_59segmented_radix_sort_warp_sort_small_config_static_selectorELNS0_4arch9wavefront6targetE0EEEvSK_.num_agpr, 0
	.set _ZN7rocprim17ROCPRIM_400000_NS6detail17trampoline_kernelINS0_14default_configENS1_36segmented_radix_sort_config_selectorIalEEZNS1_25segmented_radix_sort_implIS3_Lb1EPKaPaPKlPlN2at6native12_GLOBAL__N_18offset_tEEE10hipError_tPvRmT1_PNSt15iterator_traitsISK_E10value_typeET2_T3_PNSL_ISQ_E10value_typeET4_jRbjT5_SW_jjP12ihipStream_tbEUlT_E1_NS1_11comp_targetILNS1_3genE2ELNS1_11target_archE906ELNS1_3gpuE6ELNS1_3repE0EEENS1_59segmented_radix_sort_warp_sort_small_config_static_selectorELNS0_4arch9wavefront6targetE0EEEvSK_.numbered_sgpr, 0
	.set _ZN7rocprim17ROCPRIM_400000_NS6detail17trampoline_kernelINS0_14default_configENS1_36segmented_radix_sort_config_selectorIalEEZNS1_25segmented_radix_sort_implIS3_Lb1EPKaPaPKlPlN2at6native12_GLOBAL__N_18offset_tEEE10hipError_tPvRmT1_PNSt15iterator_traitsISK_E10value_typeET2_T3_PNSL_ISQ_E10value_typeET4_jRbjT5_SW_jjP12ihipStream_tbEUlT_E1_NS1_11comp_targetILNS1_3genE2ELNS1_11target_archE906ELNS1_3gpuE6ELNS1_3repE0EEENS1_59segmented_radix_sort_warp_sort_small_config_static_selectorELNS0_4arch9wavefront6targetE0EEEvSK_.num_named_barrier, 0
	.set _ZN7rocprim17ROCPRIM_400000_NS6detail17trampoline_kernelINS0_14default_configENS1_36segmented_radix_sort_config_selectorIalEEZNS1_25segmented_radix_sort_implIS3_Lb1EPKaPaPKlPlN2at6native12_GLOBAL__N_18offset_tEEE10hipError_tPvRmT1_PNSt15iterator_traitsISK_E10value_typeET2_T3_PNSL_ISQ_E10value_typeET4_jRbjT5_SW_jjP12ihipStream_tbEUlT_E1_NS1_11comp_targetILNS1_3genE2ELNS1_11target_archE906ELNS1_3gpuE6ELNS1_3repE0EEENS1_59segmented_radix_sort_warp_sort_small_config_static_selectorELNS0_4arch9wavefront6targetE0EEEvSK_.private_seg_size, 0
	.set _ZN7rocprim17ROCPRIM_400000_NS6detail17trampoline_kernelINS0_14default_configENS1_36segmented_radix_sort_config_selectorIalEEZNS1_25segmented_radix_sort_implIS3_Lb1EPKaPaPKlPlN2at6native12_GLOBAL__N_18offset_tEEE10hipError_tPvRmT1_PNSt15iterator_traitsISK_E10value_typeET2_T3_PNSL_ISQ_E10value_typeET4_jRbjT5_SW_jjP12ihipStream_tbEUlT_E1_NS1_11comp_targetILNS1_3genE2ELNS1_11target_archE906ELNS1_3gpuE6ELNS1_3repE0EEENS1_59segmented_radix_sort_warp_sort_small_config_static_selectorELNS0_4arch9wavefront6targetE0EEEvSK_.uses_vcc, 0
	.set _ZN7rocprim17ROCPRIM_400000_NS6detail17trampoline_kernelINS0_14default_configENS1_36segmented_radix_sort_config_selectorIalEEZNS1_25segmented_radix_sort_implIS3_Lb1EPKaPaPKlPlN2at6native12_GLOBAL__N_18offset_tEEE10hipError_tPvRmT1_PNSt15iterator_traitsISK_E10value_typeET2_T3_PNSL_ISQ_E10value_typeET4_jRbjT5_SW_jjP12ihipStream_tbEUlT_E1_NS1_11comp_targetILNS1_3genE2ELNS1_11target_archE906ELNS1_3gpuE6ELNS1_3repE0EEENS1_59segmented_radix_sort_warp_sort_small_config_static_selectorELNS0_4arch9wavefront6targetE0EEEvSK_.uses_flat_scratch, 0
	.set _ZN7rocprim17ROCPRIM_400000_NS6detail17trampoline_kernelINS0_14default_configENS1_36segmented_radix_sort_config_selectorIalEEZNS1_25segmented_radix_sort_implIS3_Lb1EPKaPaPKlPlN2at6native12_GLOBAL__N_18offset_tEEE10hipError_tPvRmT1_PNSt15iterator_traitsISK_E10value_typeET2_T3_PNSL_ISQ_E10value_typeET4_jRbjT5_SW_jjP12ihipStream_tbEUlT_E1_NS1_11comp_targetILNS1_3genE2ELNS1_11target_archE906ELNS1_3gpuE6ELNS1_3repE0EEENS1_59segmented_radix_sort_warp_sort_small_config_static_selectorELNS0_4arch9wavefront6targetE0EEEvSK_.has_dyn_sized_stack, 0
	.set _ZN7rocprim17ROCPRIM_400000_NS6detail17trampoline_kernelINS0_14default_configENS1_36segmented_radix_sort_config_selectorIalEEZNS1_25segmented_radix_sort_implIS3_Lb1EPKaPaPKlPlN2at6native12_GLOBAL__N_18offset_tEEE10hipError_tPvRmT1_PNSt15iterator_traitsISK_E10value_typeET2_T3_PNSL_ISQ_E10value_typeET4_jRbjT5_SW_jjP12ihipStream_tbEUlT_E1_NS1_11comp_targetILNS1_3genE2ELNS1_11target_archE906ELNS1_3gpuE6ELNS1_3repE0EEENS1_59segmented_radix_sort_warp_sort_small_config_static_selectorELNS0_4arch9wavefront6targetE0EEEvSK_.has_recursion, 0
	.set _ZN7rocprim17ROCPRIM_400000_NS6detail17trampoline_kernelINS0_14default_configENS1_36segmented_radix_sort_config_selectorIalEEZNS1_25segmented_radix_sort_implIS3_Lb1EPKaPaPKlPlN2at6native12_GLOBAL__N_18offset_tEEE10hipError_tPvRmT1_PNSt15iterator_traitsISK_E10value_typeET2_T3_PNSL_ISQ_E10value_typeET4_jRbjT5_SW_jjP12ihipStream_tbEUlT_E1_NS1_11comp_targetILNS1_3genE2ELNS1_11target_archE906ELNS1_3gpuE6ELNS1_3repE0EEENS1_59segmented_radix_sort_warp_sort_small_config_static_selectorELNS0_4arch9wavefront6targetE0EEEvSK_.has_indirect_call, 0
	.section	.AMDGPU.csdata,"",@progbits
; Kernel info:
; codeLenInByte = 0
; TotalNumSgprs: 0
; NumVgprs: 0
; ScratchSize: 0
; MemoryBound: 0
; FloatMode: 240
; IeeeMode: 1
; LDSByteSize: 0 bytes/workgroup (compile time only)
; SGPRBlocks: 0
; VGPRBlocks: 0
; NumSGPRsForWavesPerEU: 1
; NumVGPRsForWavesPerEU: 1
; Occupancy: 16
; WaveLimiterHint : 0
; COMPUTE_PGM_RSRC2:SCRATCH_EN: 0
; COMPUTE_PGM_RSRC2:USER_SGPR: 6
; COMPUTE_PGM_RSRC2:TRAP_HANDLER: 0
; COMPUTE_PGM_RSRC2:TGID_X_EN: 1
; COMPUTE_PGM_RSRC2:TGID_Y_EN: 0
; COMPUTE_PGM_RSRC2:TGID_Z_EN: 0
; COMPUTE_PGM_RSRC2:TIDIG_COMP_CNT: 0
	.section	.text._ZN7rocprim17ROCPRIM_400000_NS6detail17trampoline_kernelINS0_14default_configENS1_36segmented_radix_sort_config_selectorIalEEZNS1_25segmented_radix_sort_implIS3_Lb1EPKaPaPKlPlN2at6native12_GLOBAL__N_18offset_tEEE10hipError_tPvRmT1_PNSt15iterator_traitsISK_E10value_typeET2_T3_PNSL_ISQ_E10value_typeET4_jRbjT5_SW_jjP12ihipStream_tbEUlT_E1_NS1_11comp_targetILNS1_3genE10ELNS1_11target_archE1201ELNS1_3gpuE5ELNS1_3repE0EEENS1_59segmented_radix_sort_warp_sort_small_config_static_selectorELNS0_4arch9wavefront6targetE0EEEvSK_,"axG",@progbits,_ZN7rocprim17ROCPRIM_400000_NS6detail17trampoline_kernelINS0_14default_configENS1_36segmented_radix_sort_config_selectorIalEEZNS1_25segmented_radix_sort_implIS3_Lb1EPKaPaPKlPlN2at6native12_GLOBAL__N_18offset_tEEE10hipError_tPvRmT1_PNSt15iterator_traitsISK_E10value_typeET2_T3_PNSL_ISQ_E10value_typeET4_jRbjT5_SW_jjP12ihipStream_tbEUlT_E1_NS1_11comp_targetILNS1_3genE10ELNS1_11target_archE1201ELNS1_3gpuE5ELNS1_3repE0EEENS1_59segmented_radix_sort_warp_sort_small_config_static_selectorELNS0_4arch9wavefront6targetE0EEEvSK_,comdat
	.globl	_ZN7rocprim17ROCPRIM_400000_NS6detail17trampoline_kernelINS0_14default_configENS1_36segmented_radix_sort_config_selectorIalEEZNS1_25segmented_radix_sort_implIS3_Lb1EPKaPaPKlPlN2at6native12_GLOBAL__N_18offset_tEEE10hipError_tPvRmT1_PNSt15iterator_traitsISK_E10value_typeET2_T3_PNSL_ISQ_E10value_typeET4_jRbjT5_SW_jjP12ihipStream_tbEUlT_E1_NS1_11comp_targetILNS1_3genE10ELNS1_11target_archE1201ELNS1_3gpuE5ELNS1_3repE0EEENS1_59segmented_radix_sort_warp_sort_small_config_static_selectorELNS0_4arch9wavefront6targetE0EEEvSK_ ; -- Begin function _ZN7rocprim17ROCPRIM_400000_NS6detail17trampoline_kernelINS0_14default_configENS1_36segmented_radix_sort_config_selectorIalEEZNS1_25segmented_radix_sort_implIS3_Lb1EPKaPaPKlPlN2at6native12_GLOBAL__N_18offset_tEEE10hipError_tPvRmT1_PNSt15iterator_traitsISK_E10value_typeET2_T3_PNSL_ISQ_E10value_typeET4_jRbjT5_SW_jjP12ihipStream_tbEUlT_E1_NS1_11comp_targetILNS1_3genE10ELNS1_11target_archE1201ELNS1_3gpuE5ELNS1_3repE0EEENS1_59segmented_radix_sort_warp_sort_small_config_static_selectorELNS0_4arch9wavefront6targetE0EEEvSK_
	.p2align	8
	.type	_ZN7rocprim17ROCPRIM_400000_NS6detail17trampoline_kernelINS0_14default_configENS1_36segmented_radix_sort_config_selectorIalEEZNS1_25segmented_radix_sort_implIS3_Lb1EPKaPaPKlPlN2at6native12_GLOBAL__N_18offset_tEEE10hipError_tPvRmT1_PNSt15iterator_traitsISK_E10value_typeET2_T3_PNSL_ISQ_E10value_typeET4_jRbjT5_SW_jjP12ihipStream_tbEUlT_E1_NS1_11comp_targetILNS1_3genE10ELNS1_11target_archE1201ELNS1_3gpuE5ELNS1_3repE0EEENS1_59segmented_radix_sort_warp_sort_small_config_static_selectorELNS0_4arch9wavefront6targetE0EEEvSK_,@function
_ZN7rocprim17ROCPRIM_400000_NS6detail17trampoline_kernelINS0_14default_configENS1_36segmented_radix_sort_config_selectorIalEEZNS1_25segmented_radix_sort_implIS3_Lb1EPKaPaPKlPlN2at6native12_GLOBAL__N_18offset_tEEE10hipError_tPvRmT1_PNSt15iterator_traitsISK_E10value_typeET2_T3_PNSL_ISQ_E10value_typeET4_jRbjT5_SW_jjP12ihipStream_tbEUlT_E1_NS1_11comp_targetILNS1_3genE10ELNS1_11target_archE1201ELNS1_3gpuE5ELNS1_3repE0EEENS1_59segmented_radix_sort_warp_sort_small_config_static_selectorELNS0_4arch9wavefront6targetE0EEEvSK_: ; @_ZN7rocprim17ROCPRIM_400000_NS6detail17trampoline_kernelINS0_14default_configENS1_36segmented_radix_sort_config_selectorIalEEZNS1_25segmented_radix_sort_implIS3_Lb1EPKaPaPKlPlN2at6native12_GLOBAL__N_18offset_tEEE10hipError_tPvRmT1_PNSt15iterator_traitsISK_E10value_typeET2_T3_PNSL_ISQ_E10value_typeET4_jRbjT5_SW_jjP12ihipStream_tbEUlT_E1_NS1_11comp_targetILNS1_3genE10ELNS1_11target_archE1201ELNS1_3gpuE5ELNS1_3repE0EEENS1_59segmented_radix_sort_warp_sort_small_config_static_selectorELNS0_4arch9wavefront6targetE0EEEvSK_
; %bb.0:
	.section	.rodata,"a",@progbits
	.p2align	6, 0x0
	.amdhsa_kernel _ZN7rocprim17ROCPRIM_400000_NS6detail17trampoline_kernelINS0_14default_configENS1_36segmented_radix_sort_config_selectorIalEEZNS1_25segmented_radix_sort_implIS3_Lb1EPKaPaPKlPlN2at6native12_GLOBAL__N_18offset_tEEE10hipError_tPvRmT1_PNSt15iterator_traitsISK_E10value_typeET2_T3_PNSL_ISQ_E10value_typeET4_jRbjT5_SW_jjP12ihipStream_tbEUlT_E1_NS1_11comp_targetILNS1_3genE10ELNS1_11target_archE1201ELNS1_3gpuE5ELNS1_3repE0EEENS1_59segmented_radix_sort_warp_sort_small_config_static_selectorELNS0_4arch9wavefront6targetE0EEEvSK_
		.amdhsa_group_segment_fixed_size 0
		.amdhsa_private_segment_fixed_size 0
		.amdhsa_kernarg_size 88
		.amdhsa_user_sgpr_count 6
		.amdhsa_user_sgpr_private_segment_buffer 1
		.amdhsa_user_sgpr_dispatch_ptr 0
		.amdhsa_user_sgpr_queue_ptr 0
		.amdhsa_user_sgpr_kernarg_segment_ptr 1
		.amdhsa_user_sgpr_dispatch_id 0
		.amdhsa_user_sgpr_flat_scratch_init 0
		.amdhsa_user_sgpr_private_segment_size 0
		.amdhsa_wavefront_size32 1
		.amdhsa_uses_dynamic_stack 0
		.amdhsa_system_sgpr_private_segment_wavefront_offset 0
		.amdhsa_system_sgpr_workgroup_id_x 1
		.amdhsa_system_sgpr_workgroup_id_y 0
		.amdhsa_system_sgpr_workgroup_id_z 0
		.amdhsa_system_sgpr_workgroup_info 0
		.amdhsa_system_vgpr_workitem_id 0
		.amdhsa_next_free_vgpr 1
		.amdhsa_next_free_sgpr 1
		.amdhsa_reserve_vcc 0
		.amdhsa_reserve_flat_scratch 0
		.amdhsa_float_round_mode_32 0
		.amdhsa_float_round_mode_16_64 0
		.amdhsa_float_denorm_mode_32 3
		.amdhsa_float_denorm_mode_16_64 3
		.amdhsa_dx10_clamp 1
		.amdhsa_ieee_mode 1
		.amdhsa_fp16_overflow 0
		.amdhsa_workgroup_processor_mode 1
		.amdhsa_memory_ordered 1
		.amdhsa_forward_progress 1
		.amdhsa_shared_vgpr_count 0
		.amdhsa_exception_fp_ieee_invalid_op 0
		.amdhsa_exception_fp_denorm_src 0
		.amdhsa_exception_fp_ieee_div_zero 0
		.amdhsa_exception_fp_ieee_overflow 0
		.amdhsa_exception_fp_ieee_underflow 0
		.amdhsa_exception_fp_ieee_inexact 0
		.amdhsa_exception_int_div_zero 0
	.end_amdhsa_kernel
	.section	.text._ZN7rocprim17ROCPRIM_400000_NS6detail17trampoline_kernelINS0_14default_configENS1_36segmented_radix_sort_config_selectorIalEEZNS1_25segmented_radix_sort_implIS3_Lb1EPKaPaPKlPlN2at6native12_GLOBAL__N_18offset_tEEE10hipError_tPvRmT1_PNSt15iterator_traitsISK_E10value_typeET2_T3_PNSL_ISQ_E10value_typeET4_jRbjT5_SW_jjP12ihipStream_tbEUlT_E1_NS1_11comp_targetILNS1_3genE10ELNS1_11target_archE1201ELNS1_3gpuE5ELNS1_3repE0EEENS1_59segmented_radix_sort_warp_sort_small_config_static_selectorELNS0_4arch9wavefront6targetE0EEEvSK_,"axG",@progbits,_ZN7rocprim17ROCPRIM_400000_NS6detail17trampoline_kernelINS0_14default_configENS1_36segmented_radix_sort_config_selectorIalEEZNS1_25segmented_radix_sort_implIS3_Lb1EPKaPaPKlPlN2at6native12_GLOBAL__N_18offset_tEEE10hipError_tPvRmT1_PNSt15iterator_traitsISK_E10value_typeET2_T3_PNSL_ISQ_E10value_typeET4_jRbjT5_SW_jjP12ihipStream_tbEUlT_E1_NS1_11comp_targetILNS1_3genE10ELNS1_11target_archE1201ELNS1_3gpuE5ELNS1_3repE0EEENS1_59segmented_radix_sort_warp_sort_small_config_static_selectorELNS0_4arch9wavefront6targetE0EEEvSK_,comdat
.Lfunc_end313:
	.size	_ZN7rocprim17ROCPRIM_400000_NS6detail17trampoline_kernelINS0_14default_configENS1_36segmented_radix_sort_config_selectorIalEEZNS1_25segmented_radix_sort_implIS3_Lb1EPKaPaPKlPlN2at6native12_GLOBAL__N_18offset_tEEE10hipError_tPvRmT1_PNSt15iterator_traitsISK_E10value_typeET2_T3_PNSL_ISQ_E10value_typeET4_jRbjT5_SW_jjP12ihipStream_tbEUlT_E1_NS1_11comp_targetILNS1_3genE10ELNS1_11target_archE1201ELNS1_3gpuE5ELNS1_3repE0EEENS1_59segmented_radix_sort_warp_sort_small_config_static_selectorELNS0_4arch9wavefront6targetE0EEEvSK_, .Lfunc_end313-_ZN7rocprim17ROCPRIM_400000_NS6detail17trampoline_kernelINS0_14default_configENS1_36segmented_radix_sort_config_selectorIalEEZNS1_25segmented_radix_sort_implIS3_Lb1EPKaPaPKlPlN2at6native12_GLOBAL__N_18offset_tEEE10hipError_tPvRmT1_PNSt15iterator_traitsISK_E10value_typeET2_T3_PNSL_ISQ_E10value_typeET4_jRbjT5_SW_jjP12ihipStream_tbEUlT_E1_NS1_11comp_targetILNS1_3genE10ELNS1_11target_archE1201ELNS1_3gpuE5ELNS1_3repE0EEENS1_59segmented_radix_sort_warp_sort_small_config_static_selectorELNS0_4arch9wavefront6targetE0EEEvSK_
                                        ; -- End function
	.set _ZN7rocprim17ROCPRIM_400000_NS6detail17trampoline_kernelINS0_14default_configENS1_36segmented_radix_sort_config_selectorIalEEZNS1_25segmented_radix_sort_implIS3_Lb1EPKaPaPKlPlN2at6native12_GLOBAL__N_18offset_tEEE10hipError_tPvRmT1_PNSt15iterator_traitsISK_E10value_typeET2_T3_PNSL_ISQ_E10value_typeET4_jRbjT5_SW_jjP12ihipStream_tbEUlT_E1_NS1_11comp_targetILNS1_3genE10ELNS1_11target_archE1201ELNS1_3gpuE5ELNS1_3repE0EEENS1_59segmented_radix_sort_warp_sort_small_config_static_selectorELNS0_4arch9wavefront6targetE0EEEvSK_.num_vgpr, 0
	.set _ZN7rocprim17ROCPRIM_400000_NS6detail17trampoline_kernelINS0_14default_configENS1_36segmented_radix_sort_config_selectorIalEEZNS1_25segmented_radix_sort_implIS3_Lb1EPKaPaPKlPlN2at6native12_GLOBAL__N_18offset_tEEE10hipError_tPvRmT1_PNSt15iterator_traitsISK_E10value_typeET2_T3_PNSL_ISQ_E10value_typeET4_jRbjT5_SW_jjP12ihipStream_tbEUlT_E1_NS1_11comp_targetILNS1_3genE10ELNS1_11target_archE1201ELNS1_3gpuE5ELNS1_3repE0EEENS1_59segmented_radix_sort_warp_sort_small_config_static_selectorELNS0_4arch9wavefront6targetE0EEEvSK_.num_agpr, 0
	.set _ZN7rocprim17ROCPRIM_400000_NS6detail17trampoline_kernelINS0_14default_configENS1_36segmented_radix_sort_config_selectorIalEEZNS1_25segmented_radix_sort_implIS3_Lb1EPKaPaPKlPlN2at6native12_GLOBAL__N_18offset_tEEE10hipError_tPvRmT1_PNSt15iterator_traitsISK_E10value_typeET2_T3_PNSL_ISQ_E10value_typeET4_jRbjT5_SW_jjP12ihipStream_tbEUlT_E1_NS1_11comp_targetILNS1_3genE10ELNS1_11target_archE1201ELNS1_3gpuE5ELNS1_3repE0EEENS1_59segmented_radix_sort_warp_sort_small_config_static_selectorELNS0_4arch9wavefront6targetE0EEEvSK_.numbered_sgpr, 0
	.set _ZN7rocprim17ROCPRIM_400000_NS6detail17trampoline_kernelINS0_14default_configENS1_36segmented_radix_sort_config_selectorIalEEZNS1_25segmented_radix_sort_implIS3_Lb1EPKaPaPKlPlN2at6native12_GLOBAL__N_18offset_tEEE10hipError_tPvRmT1_PNSt15iterator_traitsISK_E10value_typeET2_T3_PNSL_ISQ_E10value_typeET4_jRbjT5_SW_jjP12ihipStream_tbEUlT_E1_NS1_11comp_targetILNS1_3genE10ELNS1_11target_archE1201ELNS1_3gpuE5ELNS1_3repE0EEENS1_59segmented_radix_sort_warp_sort_small_config_static_selectorELNS0_4arch9wavefront6targetE0EEEvSK_.num_named_barrier, 0
	.set _ZN7rocprim17ROCPRIM_400000_NS6detail17trampoline_kernelINS0_14default_configENS1_36segmented_radix_sort_config_selectorIalEEZNS1_25segmented_radix_sort_implIS3_Lb1EPKaPaPKlPlN2at6native12_GLOBAL__N_18offset_tEEE10hipError_tPvRmT1_PNSt15iterator_traitsISK_E10value_typeET2_T3_PNSL_ISQ_E10value_typeET4_jRbjT5_SW_jjP12ihipStream_tbEUlT_E1_NS1_11comp_targetILNS1_3genE10ELNS1_11target_archE1201ELNS1_3gpuE5ELNS1_3repE0EEENS1_59segmented_radix_sort_warp_sort_small_config_static_selectorELNS0_4arch9wavefront6targetE0EEEvSK_.private_seg_size, 0
	.set _ZN7rocprim17ROCPRIM_400000_NS6detail17trampoline_kernelINS0_14default_configENS1_36segmented_radix_sort_config_selectorIalEEZNS1_25segmented_radix_sort_implIS3_Lb1EPKaPaPKlPlN2at6native12_GLOBAL__N_18offset_tEEE10hipError_tPvRmT1_PNSt15iterator_traitsISK_E10value_typeET2_T3_PNSL_ISQ_E10value_typeET4_jRbjT5_SW_jjP12ihipStream_tbEUlT_E1_NS1_11comp_targetILNS1_3genE10ELNS1_11target_archE1201ELNS1_3gpuE5ELNS1_3repE0EEENS1_59segmented_radix_sort_warp_sort_small_config_static_selectorELNS0_4arch9wavefront6targetE0EEEvSK_.uses_vcc, 0
	.set _ZN7rocprim17ROCPRIM_400000_NS6detail17trampoline_kernelINS0_14default_configENS1_36segmented_radix_sort_config_selectorIalEEZNS1_25segmented_radix_sort_implIS3_Lb1EPKaPaPKlPlN2at6native12_GLOBAL__N_18offset_tEEE10hipError_tPvRmT1_PNSt15iterator_traitsISK_E10value_typeET2_T3_PNSL_ISQ_E10value_typeET4_jRbjT5_SW_jjP12ihipStream_tbEUlT_E1_NS1_11comp_targetILNS1_3genE10ELNS1_11target_archE1201ELNS1_3gpuE5ELNS1_3repE0EEENS1_59segmented_radix_sort_warp_sort_small_config_static_selectorELNS0_4arch9wavefront6targetE0EEEvSK_.uses_flat_scratch, 0
	.set _ZN7rocprim17ROCPRIM_400000_NS6detail17trampoline_kernelINS0_14default_configENS1_36segmented_radix_sort_config_selectorIalEEZNS1_25segmented_radix_sort_implIS3_Lb1EPKaPaPKlPlN2at6native12_GLOBAL__N_18offset_tEEE10hipError_tPvRmT1_PNSt15iterator_traitsISK_E10value_typeET2_T3_PNSL_ISQ_E10value_typeET4_jRbjT5_SW_jjP12ihipStream_tbEUlT_E1_NS1_11comp_targetILNS1_3genE10ELNS1_11target_archE1201ELNS1_3gpuE5ELNS1_3repE0EEENS1_59segmented_radix_sort_warp_sort_small_config_static_selectorELNS0_4arch9wavefront6targetE0EEEvSK_.has_dyn_sized_stack, 0
	.set _ZN7rocprim17ROCPRIM_400000_NS6detail17trampoline_kernelINS0_14default_configENS1_36segmented_radix_sort_config_selectorIalEEZNS1_25segmented_radix_sort_implIS3_Lb1EPKaPaPKlPlN2at6native12_GLOBAL__N_18offset_tEEE10hipError_tPvRmT1_PNSt15iterator_traitsISK_E10value_typeET2_T3_PNSL_ISQ_E10value_typeET4_jRbjT5_SW_jjP12ihipStream_tbEUlT_E1_NS1_11comp_targetILNS1_3genE10ELNS1_11target_archE1201ELNS1_3gpuE5ELNS1_3repE0EEENS1_59segmented_radix_sort_warp_sort_small_config_static_selectorELNS0_4arch9wavefront6targetE0EEEvSK_.has_recursion, 0
	.set _ZN7rocprim17ROCPRIM_400000_NS6detail17trampoline_kernelINS0_14default_configENS1_36segmented_radix_sort_config_selectorIalEEZNS1_25segmented_radix_sort_implIS3_Lb1EPKaPaPKlPlN2at6native12_GLOBAL__N_18offset_tEEE10hipError_tPvRmT1_PNSt15iterator_traitsISK_E10value_typeET2_T3_PNSL_ISQ_E10value_typeET4_jRbjT5_SW_jjP12ihipStream_tbEUlT_E1_NS1_11comp_targetILNS1_3genE10ELNS1_11target_archE1201ELNS1_3gpuE5ELNS1_3repE0EEENS1_59segmented_radix_sort_warp_sort_small_config_static_selectorELNS0_4arch9wavefront6targetE0EEEvSK_.has_indirect_call, 0
	.section	.AMDGPU.csdata,"",@progbits
; Kernel info:
; codeLenInByte = 0
; TotalNumSgprs: 0
; NumVgprs: 0
; ScratchSize: 0
; MemoryBound: 0
; FloatMode: 240
; IeeeMode: 1
; LDSByteSize: 0 bytes/workgroup (compile time only)
; SGPRBlocks: 0
; VGPRBlocks: 0
; NumSGPRsForWavesPerEU: 1
; NumVGPRsForWavesPerEU: 1
; Occupancy: 16
; WaveLimiterHint : 0
; COMPUTE_PGM_RSRC2:SCRATCH_EN: 0
; COMPUTE_PGM_RSRC2:USER_SGPR: 6
; COMPUTE_PGM_RSRC2:TRAP_HANDLER: 0
; COMPUTE_PGM_RSRC2:TGID_X_EN: 1
; COMPUTE_PGM_RSRC2:TGID_Y_EN: 0
; COMPUTE_PGM_RSRC2:TGID_Z_EN: 0
; COMPUTE_PGM_RSRC2:TIDIG_COMP_CNT: 0
	.section	.text._ZN7rocprim17ROCPRIM_400000_NS6detail17trampoline_kernelINS0_14default_configENS1_36segmented_radix_sort_config_selectorIalEEZNS1_25segmented_radix_sort_implIS3_Lb1EPKaPaPKlPlN2at6native12_GLOBAL__N_18offset_tEEE10hipError_tPvRmT1_PNSt15iterator_traitsISK_E10value_typeET2_T3_PNSL_ISQ_E10value_typeET4_jRbjT5_SW_jjP12ihipStream_tbEUlT_E1_NS1_11comp_targetILNS1_3genE10ELNS1_11target_archE1200ELNS1_3gpuE4ELNS1_3repE0EEENS1_59segmented_radix_sort_warp_sort_small_config_static_selectorELNS0_4arch9wavefront6targetE0EEEvSK_,"axG",@progbits,_ZN7rocprim17ROCPRIM_400000_NS6detail17trampoline_kernelINS0_14default_configENS1_36segmented_radix_sort_config_selectorIalEEZNS1_25segmented_radix_sort_implIS3_Lb1EPKaPaPKlPlN2at6native12_GLOBAL__N_18offset_tEEE10hipError_tPvRmT1_PNSt15iterator_traitsISK_E10value_typeET2_T3_PNSL_ISQ_E10value_typeET4_jRbjT5_SW_jjP12ihipStream_tbEUlT_E1_NS1_11comp_targetILNS1_3genE10ELNS1_11target_archE1200ELNS1_3gpuE4ELNS1_3repE0EEENS1_59segmented_radix_sort_warp_sort_small_config_static_selectorELNS0_4arch9wavefront6targetE0EEEvSK_,comdat
	.globl	_ZN7rocprim17ROCPRIM_400000_NS6detail17trampoline_kernelINS0_14default_configENS1_36segmented_radix_sort_config_selectorIalEEZNS1_25segmented_radix_sort_implIS3_Lb1EPKaPaPKlPlN2at6native12_GLOBAL__N_18offset_tEEE10hipError_tPvRmT1_PNSt15iterator_traitsISK_E10value_typeET2_T3_PNSL_ISQ_E10value_typeET4_jRbjT5_SW_jjP12ihipStream_tbEUlT_E1_NS1_11comp_targetILNS1_3genE10ELNS1_11target_archE1200ELNS1_3gpuE4ELNS1_3repE0EEENS1_59segmented_radix_sort_warp_sort_small_config_static_selectorELNS0_4arch9wavefront6targetE0EEEvSK_ ; -- Begin function _ZN7rocprim17ROCPRIM_400000_NS6detail17trampoline_kernelINS0_14default_configENS1_36segmented_radix_sort_config_selectorIalEEZNS1_25segmented_radix_sort_implIS3_Lb1EPKaPaPKlPlN2at6native12_GLOBAL__N_18offset_tEEE10hipError_tPvRmT1_PNSt15iterator_traitsISK_E10value_typeET2_T3_PNSL_ISQ_E10value_typeET4_jRbjT5_SW_jjP12ihipStream_tbEUlT_E1_NS1_11comp_targetILNS1_3genE10ELNS1_11target_archE1200ELNS1_3gpuE4ELNS1_3repE0EEENS1_59segmented_radix_sort_warp_sort_small_config_static_selectorELNS0_4arch9wavefront6targetE0EEEvSK_
	.p2align	8
	.type	_ZN7rocprim17ROCPRIM_400000_NS6detail17trampoline_kernelINS0_14default_configENS1_36segmented_radix_sort_config_selectorIalEEZNS1_25segmented_radix_sort_implIS3_Lb1EPKaPaPKlPlN2at6native12_GLOBAL__N_18offset_tEEE10hipError_tPvRmT1_PNSt15iterator_traitsISK_E10value_typeET2_T3_PNSL_ISQ_E10value_typeET4_jRbjT5_SW_jjP12ihipStream_tbEUlT_E1_NS1_11comp_targetILNS1_3genE10ELNS1_11target_archE1200ELNS1_3gpuE4ELNS1_3repE0EEENS1_59segmented_radix_sort_warp_sort_small_config_static_selectorELNS0_4arch9wavefront6targetE0EEEvSK_,@function
_ZN7rocprim17ROCPRIM_400000_NS6detail17trampoline_kernelINS0_14default_configENS1_36segmented_radix_sort_config_selectorIalEEZNS1_25segmented_radix_sort_implIS3_Lb1EPKaPaPKlPlN2at6native12_GLOBAL__N_18offset_tEEE10hipError_tPvRmT1_PNSt15iterator_traitsISK_E10value_typeET2_T3_PNSL_ISQ_E10value_typeET4_jRbjT5_SW_jjP12ihipStream_tbEUlT_E1_NS1_11comp_targetILNS1_3genE10ELNS1_11target_archE1200ELNS1_3gpuE4ELNS1_3repE0EEENS1_59segmented_radix_sort_warp_sort_small_config_static_selectorELNS0_4arch9wavefront6targetE0EEEvSK_: ; @_ZN7rocprim17ROCPRIM_400000_NS6detail17trampoline_kernelINS0_14default_configENS1_36segmented_radix_sort_config_selectorIalEEZNS1_25segmented_radix_sort_implIS3_Lb1EPKaPaPKlPlN2at6native12_GLOBAL__N_18offset_tEEE10hipError_tPvRmT1_PNSt15iterator_traitsISK_E10value_typeET2_T3_PNSL_ISQ_E10value_typeET4_jRbjT5_SW_jjP12ihipStream_tbEUlT_E1_NS1_11comp_targetILNS1_3genE10ELNS1_11target_archE1200ELNS1_3gpuE4ELNS1_3repE0EEENS1_59segmented_radix_sort_warp_sort_small_config_static_selectorELNS0_4arch9wavefront6targetE0EEEvSK_
; %bb.0:
	.section	.rodata,"a",@progbits
	.p2align	6, 0x0
	.amdhsa_kernel _ZN7rocprim17ROCPRIM_400000_NS6detail17trampoline_kernelINS0_14default_configENS1_36segmented_radix_sort_config_selectorIalEEZNS1_25segmented_radix_sort_implIS3_Lb1EPKaPaPKlPlN2at6native12_GLOBAL__N_18offset_tEEE10hipError_tPvRmT1_PNSt15iterator_traitsISK_E10value_typeET2_T3_PNSL_ISQ_E10value_typeET4_jRbjT5_SW_jjP12ihipStream_tbEUlT_E1_NS1_11comp_targetILNS1_3genE10ELNS1_11target_archE1200ELNS1_3gpuE4ELNS1_3repE0EEENS1_59segmented_radix_sort_warp_sort_small_config_static_selectorELNS0_4arch9wavefront6targetE0EEEvSK_
		.amdhsa_group_segment_fixed_size 0
		.amdhsa_private_segment_fixed_size 0
		.amdhsa_kernarg_size 88
		.amdhsa_user_sgpr_count 6
		.amdhsa_user_sgpr_private_segment_buffer 1
		.amdhsa_user_sgpr_dispatch_ptr 0
		.amdhsa_user_sgpr_queue_ptr 0
		.amdhsa_user_sgpr_kernarg_segment_ptr 1
		.amdhsa_user_sgpr_dispatch_id 0
		.amdhsa_user_sgpr_flat_scratch_init 0
		.amdhsa_user_sgpr_private_segment_size 0
		.amdhsa_wavefront_size32 1
		.amdhsa_uses_dynamic_stack 0
		.amdhsa_system_sgpr_private_segment_wavefront_offset 0
		.amdhsa_system_sgpr_workgroup_id_x 1
		.amdhsa_system_sgpr_workgroup_id_y 0
		.amdhsa_system_sgpr_workgroup_id_z 0
		.amdhsa_system_sgpr_workgroup_info 0
		.amdhsa_system_vgpr_workitem_id 0
		.amdhsa_next_free_vgpr 1
		.amdhsa_next_free_sgpr 1
		.amdhsa_reserve_vcc 0
		.amdhsa_reserve_flat_scratch 0
		.amdhsa_float_round_mode_32 0
		.amdhsa_float_round_mode_16_64 0
		.amdhsa_float_denorm_mode_32 3
		.amdhsa_float_denorm_mode_16_64 3
		.amdhsa_dx10_clamp 1
		.amdhsa_ieee_mode 1
		.amdhsa_fp16_overflow 0
		.amdhsa_workgroup_processor_mode 1
		.amdhsa_memory_ordered 1
		.amdhsa_forward_progress 1
		.amdhsa_shared_vgpr_count 0
		.amdhsa_exception_fp_ieee_invalid_op 0
		.amdhsa_exception_fp_denorm_src 0
		.amdhsa_exception_fp_ieee_div_zero 0
		.amdhsa_exception_fp_ieee_overflow 0
		.amdhsa_exception_fp_ieee_underflow 0
		.amdhsa_exception_fp_ieee_inexact 0
		.amdhsa_exception_int_div_zero 0
	.end_amdhsa_kernel
	.section	.text._ZN7rocprim17ROCPRIM_400000_NS6detail17trampoline_kernelINS0_14default_configENS1_36segmented_radix_sort_config_selectorIalEEZNS1_25segmented_radix_sort_implIS3_Lb1EPKaPaPKlPlN2at6native12_GLOBAL__N_18offset_tEEE10hipError_tPvRmT1_PNSt15iterator_traitsISK_E10value_typeET2_T3_PNSL_ISQ_E10value_typeET4_jRbjT5_SW_jjP12ihipStream_tbEUlT_E1_NS1_11comp_targetILNS1_3genE10ELNS1_11target_archE1200ELNS1_3gpuE4ELNS1_3repE0EEENS1_59segmented_radix_sort_warp_sort_small_config_static_selectorELNS0_4arch9wavefront6targetE0EEEvSK_,"axG",@progbits,_ZN7rocprim17ROCPRIM_400000_NS6detail17trampoline_kernelINS0_14default_configENS1_36segmented_radix_sort_config_selectorIalEEZNS1_25segmented_radix_sort_implIS3_Lb1EPKaPaPKlPlN2at6native12_GLOBAL__N_18offset_tEEE10hipError_tPvRmT1_PNSt15iterator_traitsISK_E10value_typeET2_T3_PNSL_ISQ_E10value_typeET4_jRbjT5_SW_jjP12ihipStream_tbEUlT_E1_NS1_11comp_targetILNS1_3genE10ELNS1_11target_archE1200ELNS1_3gpuE4ELNS1_3repE0EEENS1_59segmented_radix_sort_warp_sort_small_config_static_selectorELNS0_4arch9wavefront6targetE0EEEvSK_,comdat
.Lfunc_end314:
	.size	_ZN7rocprim17ROCPRIM_400000_NS6detail17trampoline_kernelINS0_14default_configENS1_36segmented_radix_sort_config_selectorIalEEZNS1_25segmented_radix_sort_implIS3_Lb1EPKaPaPKlPlN2at6native12_GLOBAL__N_18offset_tEEE10hipError_tPvRmT1_PNSt15iterator_traitsISK_E10value_typeET2_T3_PNSL_ISQ_E10value_typeET4_jRbjT5_SW_jjP12ihipStream_tbEUlT_E1_NS1_11comp_targetILNS1_3genE10ELNS1_11target_archE1200ELNS1_3gpuE4ELNS1_3repE0EEENS1_59segmented_radix_sort_warp_sort_small_config_static_selectorELNS0_4arch9wavefront6targetE0EEEvSK_, .Lfunc_end314-_ZN7rocprim17ROCPRIM_400000_NS6detail17trampoline_kernelINS0_14default_configENS1_36segmented_radix_sort_config_selectorIalEEZNS1_25segmented_radix_sort_implIS3_Lb1EPKaPaPKlPlN2at6native12_GLOBAL__N_18offset_tEEE10hipError_tPvRmT1_PNSt15iterator_traitsISK_E10value_typeET2_T3_PNSL_ISQ_E10value_typeET4_jRbjT5_SW_jjP12ihipStream_tbEUlT_E1_NS1_11comp_targetILNS1_3genE10ELNS1_11target_archE1200ELNS1_3gpuE4ELNS1_3repE0EEENS1_59segmented_radix_sort_warp_sort_small_config_static_selectorELNS0_4arch9wavefront6targetE0EEEvSK_
                                        ; -- End function
	.set _ZN7rocprim17ROCPRIM_400000_NS6detail17trampoline_kernelINS0_14default_configENS1_36segmented_radix_sort_config_selectorIalEEZNS1_25segmented_radix_sort_implIS3_Lb1EPKaPaPKlPlN2at6native12_GLOBAL__N_18offset_tEEE10hipError_tPvRmT1_PNSt15iterator_traitsISK_E10value_typeET2_T3_PNSL_ISQ_E10value_typeET4_jRbjT5_SW_jjP12ihipStream_tbEUlT_E1_NS1_11comp_targetILNS1_3genE10ELNS1_11target_archE1200ELNS1_3gpuE4ELNS1_3repE0EEENS1_59segmented_radix_sort_warp_sort_small_config_static_selectorELNS0_4arch9wavefront6targetE0EEEvSK_.num_vgpr, 0
	.set _ZN7rocprim17ROCPRIM_400000_NS6detail17trampoline_kernelINS0_14default_configENS1_36segmented_radix_sort_config_selectorIalEEZNS1_25segmented_radix_sort_implIS3_Lb1EPKaPaPKlPlN2at6native12_GLOBAL__N_18offset_tEEE10hipError_tPvRmT1_PNSt15iterator_traitsISK_E10value_typeET2_T3_PNSL_ISQ_E10value_typeET4_jRbjT5_SW_jjP12ihipStream_tbEUlT_E1_NS1_11comp_targetILNS1_3genE10ELNS1_11target_archE1200ELNS1_3gpuE4ELNS1_3repE0EEENS1_59segmented_radix_sort_warp_sort_small_config_static_selectorELNS0_4arch9wavefront6targetE0EEEvSK_.num_agpr, 0
	.set _ZN7rocprim17ROCPRIM_400000_NS6detail17trampoline_kernelINS0_14default_configENS1_36segmented_radix_sort_config_selectorIalEEZNS1_25segmented_radix_sort_implIS3_Lb1EPKaPaPKlPlN2at6native12_GLOBAL__N_18offset_tEEE10hipError_tPvRmT1_PNSt15iterator_traitsISK_E10value_typeET2_T3_PNSL_ISQ_E10value_typeET4_jRbjT5_SW_jjP12ihipStream_tbEUlT_E1_NS1_11comp_targetILNS1_3genE10ELNS1_11target_archE1200ELNS1_3gpuE4ELNS1_3repE0EEENS1_59segmented_radix_sort_warp_sort_small_config_static_selectorELNS0_4arch9wavefront6targetE0EEEvSK_.numbered_sgpr, 0
	.set _ZN7rocprim17ROCPRIM_400000_NS6detail17trampoline_kernelINS0_14default_configENS1_36segmented_radix_sort_config_selectorIalEEZNS1_25segmented_radix_sort_implIS3_Lb1EPKaPaPKlPlN2at6native12_GLOBAL__N_18offset_tEEE10hipError_tPvRmT1_PNSt15iterator_traitsISK_E10value_typeET2_T3_PNSL_ISQ_E10value_typeET4_jRbjT5_SW_jjP12ihipStream_tbEUlT_E1_NS1_11comp_targetILNS1_3genE10ELNS1_11target_archE1200ELNS1_3gpuE4ELNS1_3repE0EEENS1_59segmented_radix_sort_warp_sort_small_config_static_selectorELNS0_4arch9wavefront6targetE0EEEvSK_.num_named_barrier, 0
	.set _ZN7rocprim17ROCPRIM_400000_NS6detail17trampoline_kernelINS0_14default_configENS1_36segmented_radix_sort_config_selectorIalEEZNS1_25segmented_radix_sort_implIS3_Lb1EPKaPaPKlPlN2at6native12_GLOBAL__N_18offset_tEEE10hipError_tPvRmT1_PNSt15iterator_traitsISK_E10value_typeET2_T3_PNSL_ISQ_E10value_typeET4_jRbjT5_SW_jjP12ihipStream_tbEUlT_E1_NS1_11comp_targetILNS1_3genE10ELNS1_11target_archE1200ELNS1_3gpuE4ELNS1_3repE0EEENS1_59segmented_radix_sort_warp_sort_small_config_static_selectorELNS0_4arch9wavefront6targetE0EEEvSK_.private_seg_size, 0
	.set _ZN7rocprim17ROCPRIM_400000_NS6detail17trampoline_kernelINS0_14default_configENS1_36segmented_radix_sort_config_selectorIalEEZNS1_25segmented_radix_sort_implIS3_Lb1EPKaPaPKlPlN2at6native12_GLOBAL__N_18offset_tEEE10hipError_tPvRmT1_PNSt15iterator_traitsISK_E10value_typeET2_T3_PNSL_ISQ_E10value_typeET4_jRbjT5_SW_jjP12ihipStream_tbEUlT_E1_NS1_11comp_targetILNS1_3genE10ELNS1_11target_archE1200ELNS1_3gpuE4ELNS1_3repE0EEENS1_59segmented_radix_sort_warp_sort_small_config_static_selectorELNS0_4arch9wavefront6targetE0EEEvSK_.uses_vcc, 0
	.set _ZN7rocprim17ROCPRIM_400000_NS6detail17trampoline_kernelINS0_14default_configENS1_36segmented_radix_sort_config_selectorIalEEZNS1_25segmented_radix_sort_implIS3_Lb1EPKaPaPKlPlN2at6native12_GLOBAL__N_18offset_tEEE10hipError_tPvRmT1_PNSt15iterator_traitsISK_E10value_typeET2_T3_PNSL_ISQ_E10value_typeET4_jRbjT5_SW_jjP12ihipStream_tbEUlT_E1_NS1_11comp_targetILNS1_3genE10ELNS1_11target_archE1200ELNS1_3gpuE4ELNS1_3repE0EEENS1_59segmented_radix_sort_warp_sort_small_config_static_selectorELNS0_4arch9wavefront6targetE0EEEvSK_.uses_flat_scratch, 0
	.set _ZN7rocprim17ROCPRIM_400000_NS6detail17trampoline_kernelINS0_14default_configENS1_36segmented_radix_sort_config_selectorIalEEZNS1_25segmented_radix_sort_implIS3_Lb1EPKaPaPKlPlN2at6native12_GLOBAL__N_18offset_tEEE10hipError_tPvRmT1_PNSt15iterator_traitsISK_E10value_typeET2_T3_PNSL_ISQ_E10value_typeET4_jRbjT5_SW_jjP12ihipStream_tbEUlT_E1_NS1_11comp_targetILNS1_3genE10ELNS1_11target_archE1200ELNS1_3gpuE4ELNS1_3repE0EEENS1_59segmented_radix_sort_warp_sort_small_config_static_selectorELNS0_4arch9wavefront6targetE0EEEvSK_.has_dyn_sized_stack, 0
	.set _ZN7rocprim17ROCPRIM_400000_NS6detail17trampoline_kernelINS0_14default_configENS1_36segmented_radix_sort_config_selectorIalEEZNS1_25segmented_radix_sort_implIS3_Lb1EPKaPaPKlPlN2at6native12_GLOBAL__N_18offset_tEEE10hipError_tPvRmT1_PNSt15iterator_traitsISK_E10value_typeET2_T3_PNSL_ISQ_E10value_typeET4_jRbjT5_SW_jjP12ihipStream_tbEUlT_E1_NS1_11comp_targetILNS1_3genE10ELNS1_11target_archE1200ELNS1_3gpuE4ELNS1_3repE0EEENS1_59segmented_radix_sort_warp_sort_small_config_static_selectorELNS0_4arch9wavefront6targetE0EEEvSK_.has_recursion, 0
	.set _ZN7rocprim17ROCPRIM_400000_NS6detail17trampoline_kernelINS0_14default_configENS1_36segmented_radix_sort_config_selectorIalEEZNS1_25segmented_radix_sort_implIS3_Lb1EPKaPaPKlPlN2at6native12_GLOBAL__N_18offset_tEEE10hipError_tPvRmT1_PNSt15iterator_traitsISK_E10value_typeET2_T3_PNSL_ISQ_E10value_typeET4_jRbjT5_SW_jjP12ihipStream_tbEUlT_E1_NS1_11comp_targetILNS1_3genE10ELNS1_11target_archE1200ELNS1_3gpuE4ELNS1_3repE0EEENS1_59segmented_radix_sort_warp_sort_small_config_static_selectorELNS0_4arch9wavefront6targetE0EEEvSK_.has_indirect_call, 0
	.section	.AMDGPU.csdata,"",@progbits
; Kernel info:
; codeLenInByte = 0
; TotalNumSgprs: 0
; NumVgprs: 0
; ScratchSize: 0
; MemoryBound: 0
; FloatMode: 240
; IeeeMode: 1
; LDSByteSize: 0 bytes/workgroup (compile time only)
; SGPRBlocks: 0
; VGPRBlocks: 0
; NumSGPRsForWavesPerEU: 1
; NumVGPRsForWavesPerEU: 1
; Occupancy: 16
; WaveLimiterHint : 0
; COMPUTE_PGM_RSRC2:SCRATCH_EN: 0
; COMPUTE_PGM_RSRC2:USER_SGPR: 6
; COMPUTE_PGM_RSRC2:TRAP_HANDLER: 0
; COMPUTE_PGM_RSRC2:TGID_X_EN: 1
; COMPUTE_PGM_RSRC2:TGID_Y_EN: 0
; COMPUTE_PGM_RSRC2:TGID_Z_EN: 0
; COMPUTE_PGM_RSRC2:TIDIG_COMP_CNT: 0
	.section	.text._ZN7rocprim17ROCPRIM_400000_NS6detail17trampoline_kernelINS0_14default_configENS1_36segmented_radix_sort_config_selectorIalEEZNS1_25segmented_radix_sort_implIS3_Lb1EPKaPaPKlPlN2at6native12_GLOBAL__N_18offset_tEEE10hipError_tPvRmT1_PNSt15iterator_traitsISK_E10value_typeET2_T3_PNSL_ISQ_E10value_typeET4_jRbjT5_SW_jjP12ihipStream_tbEUlT_E1_NS1_11comp_targetILNS1_3genE9ELNS1_11target_archE1100ELNS1_3gpuE3ELNS1_3repE0EEENS1_59segmented_radix_sort_warp_sort_small_config_static_selectorELNS0_4arch9wavefront6targetE0EEEvSK_,"axG",@progbits,_ZN7rocprim17ROCPRIM_400000_NS6detail17trampoline_kernelINS0_14default_configENS1_36segmented_radix_sort_config_selectorIalEEZNS1_25segmented_radix_sort_implIS3_Lb1EPKaPaPKlPlN2at6native12_GLOBAL__N_18offset_tEEE10hipError_tPvRmT1_PNSt15iterator_traitsISK_E10value_typeET2_T3_PNSL_ISQ_E10value_typeET4_jRbjT5_SW_jjP12ihipStream_tbEUlT_E1_NS1_11comp_targetILNS1_3genE9ELNS1_11target_archE1100ELNS1_3gpuE3ELNS1_3repE0EEENS1_59segmented_radix_sort_warp_sort_small_config_static_selectorELNS0_4arch9wavefront6targetE0EEEvSK_,comdat
	.globl	_ZN7rocprim17ROCPRIM_400000_NS6detail17trampoline_kernelINS0_14default_configENS1_36segmented_radix_sort_config_selectorIalEEZNS1_25segmented_radix_sort_implIS3_Lb1EPKaPaPKlPlN2at6native12_GLOBAL__N_18offset_tEEE10hipError_tPvRmT1_PNSt15iterator_traitsISK_E10value_typeET2_T3_PNSL_ISQ_E10value_typeET4_jRbjT5_SW_jjP12ihipStream_tbEUlT_E1_NS1_11comp_targetILNS1_3genE9ELNS1_11target_archE1100ELNS1_3gpuE3ELNS1_3repE0EEENS1_59segmented_radix_sort_warp_sort_small_config_static_selectorELNS0_4arch9wavefront6targetE0EEEvSK_ ; -- Begin function _ZN7rocprim17ROCPRIM_400000_NS6detail17trampoline_kernelINS0_14default_configENS1_36segmented_radix_sort_config_selectorIalEEZNS1_25segmented_radix_sort_implIS3_Lb1EPKaPaPKlPlN2at6native12_GLOBAL__N_18offset_tEEE10hipError_tPvRmT1_PNSt15iterator_traitsISK_E10value_typeET2_T3_PNSL_ISQ_E10value_typeET4_jRbjT5_SW_jjP12ihipStream_tbEUlT_E1_NS1_11comp_targetILNS1_3genE9ELNS1_11target_archE1100ELNS1_3gpuE3ELNS1_3repE0EEENS1_59segmented_radix_sort_warp_sort_small_config_static_selectorELNS0_4arch9wavefront6targetE0EEEvSK_
	.p2align	8
	.type	_ZN7rocprim17ROCPRIM_400000_NS6detail17trampoline_kernelINS0_14default_configENS1_36segmented_radix_sort_config_selectorIalEEZNS1_25segmented_radix_sort_implIS3_Lb1EPKaPaPKlPlN2at6native12_GLOBAL__N_18offset_tEEE10hipError_tPvRmT1_PNSt15iterator_traitsISK_E10value_typeET2_T3_PNSL_ISQ_E10value_typeET4_jRbjT5_SW_jjP12ihipStream_tbEUlT_E1_NS1_11comp_targetILNS1_3genE9ELNS1_11target_archE1100ELNS1_3gpuE3ELNS1_3repE0EEENS1_59segmented_radix_sort_warp_sort_small_config_static_selectorELNS0_4arch9wavefront6targetE0EEEvSK_,@function
_ZN7rocprim17ROCPRIM_400000_NS6detail17trampoline_kernelINS0_14default_configENS1_36segmented_radix_sort_config_selectorIalEEZNS1_25segmented_radix_sort_implIS3_Lb1EPKaPaPKlPlN2at6native12_GLOBAL__N_18offset_tEEE10hipError_tPvRmT1_PNSt15iterator_traitsISK_E10value_typeET2_T3_PNSL_ISQ_E10value_typeET4_jRbjT5_SW_jjP12ihipStream_tbEUlT_E1_NS1_11comp_targetILNS1_3genE9ELNS1_11target_archE1100ELNS1_3gpuE3ELNS1_3repE0EEENS1_59segmented_radix_sort_warp_sort_small_config_static_selectorELNS0_4arch9wavefront6targetE0EEEvSK_: ; @_ZN7rocprim17ROCPRIM_400000_NS6detail17trampoline_kernelINS0_14default_configENS1_36segmented_radix_sort_config_selectorIalEEZNS1_25segmented_radix_sort_implIS3_Lb1EPKaPaPKlPlN2at6native12_GLOBAL__N_18offset_tEEE10hipError_tPvRmT1_PNSt15iterator_traitsISK_E10value_typeET2_T3_PNSL_ISQ_E10value_typeET4_jRbjT5_SW_jjP12ihipStream_tbEUlT_E1_NS1_11comp_targetILNS1_3genE9ELNS1_11target_archE1100ELNS1_3gpuE3ELNS1_3repE0EEENS1_59segmented_radix_sort_warp_sort_small_config_static_selectorELNS0_4arch9wavefront6targetE0EEEvSK_
; %bb.0:
	.section	.rodata,"a",@progbits
	.p2align	6, 0x0
	.amdhsa_kernel _ZN7rocprim17ROCPRIM_400000_NS6detail17trampoline_kernelINS0_14default_configENS1_36segmented_radix_sort_config_selectorIalEEZNS1_25segmented_radix_sort_implIS3_Lb1EPKaPaPKlPlN2at6native12_GLOBAL__N_18offset_tEEE10hipError_tPvRmT1_PNSt15iterator_traitsISK_E10value_typeET2_T3_PNSL_ISQ_E10value_typeET4_jRbjT5_SW_jjP12ihipStream_tbEUlT_E1_NS1_11comp_targetILNS1_3genE9ELNS1_11target_archE1100ELNS1_3gpuE3ELNS1_3repE0EEENS1_59segmented_radix_sort_warp_sort_small_config_static_selectorELNS0_4arch9wavefront6targetE0EEEvSK_
		.amdhsa_group_segment_fixed_size 0
		.amdhsa_private_segment_fixed_size 0
		.amdhsa_kernarg_size 88
		.amdhsa_user_sgpr_count 6
		.amdhsa_user_sgpr_private_segment_buffer 1
		.amdhsa_user_sgpr_dispatch_ptr 0
		.amdhsa_user_sgpr_queue_ptr 0
		.amdhsa_user_sgpr_kernarg_segment_ptr 1
		.amdhsa_user_sgpr_dispatch_id 0
		.amdhsa_user_sgpr_flat_scratch_init 0
		.amdhsa_user_sgpr_private_segment_size 0
		.amdhsa_wavefront_size32 1
		.amdhsa_uses_dynamic_stack 0
		.amdhsa_system_sgpr_private_segment_wavefront_offset 0
		.amdhsa_system_sgpr_workgroup_id_x 1
		.amdhsa_system_sgpr_workgroup_id_y 0
		.amdhsa_system_sgpr_workgroup_id_z 0
		.amdhsa_system_sgpr_workgroup_info 0
		.amdhsa_system_vgpr_workitem_id 0
		.amdhsa_next_free_vgpr 1
		.amdhsa_next_free_sgpr 1
		.amdhsa_reserve_vcc 0
		.amdhsa_reserve_flat_scratch 0
		.amdhsa_float_round_mode_32 0
		.amdhsa_float_round_mode_16_64 0
		.amdhsa_float_denorm_mode_32 3
		.amdhsa_float_denorm_mode_16_64 3
		.amdhsa_dx10_clamp 1
		.amdhsa_ieee_mode 1
		.amdhsa_fp16_overflow 0
		.amdhsa_workgroup_processor_mode 1
		.amdhsa_memory_ordered 1
		.amdhsa_forward_progress 1
		.amdhsa_shared_vgpr_count 0
		.amdhsa_exception_fp_ieee_invalid_op 0
		.amdhsa_exception_fp_denorm_src 0
		.amdhsa_exception_fp_ieee_div_zero 0
		.amdhsa_exception_fp_ieee_overflow 0
		.amdhsa_exception_fp_ieee_underflow 0
		.amdhsa_exception_fp_ieee_inexact 0
		.amdhsa_exception_int_div_zero 0
	.end_amdhsa_kernel
	.section	.text._ZN7rocprim17ROCPRIM_400000_NS6detail17trampoline_kernelINS0_14default_configENS1_36segmented_radix_sort_config_selectorIalEEZNS1_25segmented_radix_sort_implIS3_Lb1EPKaPaPKlPlN2at6native12_GLOBAL__N_18offset_tEEE10hipError_tPvRmT1_PNSt15iterator_traitsISK_E10value_typeET2_T3_PNSL_ISQ_E10value_typeET4_jRbjT5_SW_jjP12ihipStream_tbEUlT_E1_NS1_11comp_targetILNS1_3genE9ELNS1_11target_archE1100ELNS1_3gpuE3ELNS1_3repE0EEENS1_59segmented_radix_sort_warp_sort_small_config_static_selectorELNS0_4arch9wavefront6targetE0EEEvSK_,"axG",@progbits,_ZN7rocprim17ROCPRIM_400000_NS6detail17trampoline_kernelINS0_14default_configENS1_36segmented_radix_sort_config_selectorIalEEZNS1_25segmented_radix_sort_implIS3_Lb1EPKaPaPKlPlN2at6native12_GLOBAL__N_18offset_tEEE10hipError_tPvRmT1_PNSt15iterator_traitsISK_E10value_typeET2_T3_PNSL_ISQ_E10value_typeET4_jRbjT5_SW_jjP12ihipStream_tbEUlT_E1_NS1_11comp_targetILNS1_3genE9ELNS1_11target_archE1100ELNS1_3gpuE3ELNS1_3repE0EEENS1_59segmented_radix_sort_warp_sort_small_config_static_selectorELNS0_4arch9wavefront6targetE0EEEvSK_,comdat
.Lfunc_end315:
	.size	_ZN7rocprim17ROCPRIM_400000_NS6detail17trampoline_kernelINS0_14default_configENS1_36segmented_radix_sort_config_selectorIalEEZNS1_25segmented_radix_sort_implIS3_Lb1EPKaPaPKlPlN2at6native12_GLOBAL__N_18offset_tEEE10hipError_tPvRmT1_PNSt15iterator_traitsISK_E10value_typeET2_T3_PNSL_ISQ_E10value_typeET4_jRbjT5_SW_jjP12ihipStream_tbEUlT_E1_NS1_11comp_targetILNS1_3genE9ELNS1_11target_archE1100ELNS1_3gpuE3ELNS1_3repE0EEENS1_59segmented_radix_sort_warp_sort_small_config_static_selectorELNS0_4arch9wavefront6targetE0EEEvSK_, .Lfunc_end315-_ZN7rocprim17ROCPRIM_400000_NS6detail17trampoline_kernelINS0_14default_configENS1_36segmented_radix_sort_config_selectorIalEEZNS1_25segmented_radix_sort_implIS3_Lb1EPKaPaPKlPlN2at6native12_GLOBAL__N_18offset_tEEE10hipError_tPvRmT1_PNSt15iterator_traitsISK_E10value_typeET2_T3_PNSL_ISQ_E10value_typeET4_jRbjT5_SW_jjP12ihipStream_tbEUlT_E1_NS1_11comp_targetILNS1_3genE9ELNS1_11target_archE1100ELNS1_3gpuE3ELNS1_3repE0EEENS1_59segmented_radix_sort_warp_sort_small_config_static_selectorELNS0_4arch9wavefront6targetE0EEEvSK_
                                        ; -- End function
	.set _ZN7rocprim17ROCPRIM_400000_NS6detail17trampoline_kernelINS0_14default_configENS1_36segmented_radix_sort_config_selectorIalEEZNS1_25segmented_radix_sort_implIS3_Lb1EPKaPaPKlPlN2at6native12_GLOBAL__N_18offset_tEEE10hipError_tPvRmT1_PNSt15iterator_traitsISK_E10value_typeET2_T3_PNSL_ISQ_E10value_typeET4_jRbjT5_SW_jjP12ihipStream_tbEUlT_E1_NS1_11comp_targetILNS1_3genE9ELNS1_11target_archE1100ELNS1_3gpuE3ELNS1_3repE0EEENS1_59segmented_radix_sort_warp_sort_small_config_static_selectorELNS0_4arch9wavefront6targetE0EEEvSK_.num_vgpr, 0
	.set _ZN7rocprim17ROCPRIM_400000_NS6detail17trampoline_kernelINS0_14default_configENS1_36segmented_radix_sort_config_selectorIalEEZNS1_25segmented_radix_sort_implIS3_Lb1EPKaPaPKlPlN2at6native12_GLOBAL__N_18offset_tEEE10hipError_tPvRmT1_PNSt15iterator_traitsISK_E10value_typeET2_T3_PNSL_ISQ_E10value_typeET4_jRbjT5_SW_jjP12ihipStream_tbEUlT_E1_NS1_11comp_targetILNS1_3genE9ELNS1_11target_archE1100ELNS1_3gpuE3ELNS1_3repE0EEENS1_59segmented_radix_sort_warp_sort_small_config_static_selectorELNS0_4arch9wavefront6targetE0EEEvSK_.num_agpr, 0
	.set _ZN7rocprim17ROCPRIM_400000_NS6detail17trampoline_kernelINS0_14default_configENS1_36segmented_radix_sort_config_selectorIalEEZNS1_25segmented_radix_sort_implIS3_Lb1EPKaPaPKlPlN2at6native12_GLOBAL__N_18offset_tEEE10hipError_tPvRmT1_PNSt15iterator_traitsISK_E10value_typeET2_T3_PNSL_ISQ_E10value_typeET4_jRbjT5_SW_jjP12ihipStream_tbEUlT_E1_NS1_11comp_targetILNS1_3genE9ELNS1_11target_archE1100ELNS1_3gpuE3ELNS1_3repE0EEENS1_59segmented_radix_sort_warp_sort_small_config_static_selectorELNS0_4arch9wavefront6targetE0EEEvSK_.numbered_sgpr, 0
	.set _ZN7rocprim17ROCPRIM_400000_NS6detail17trampoline_kernelINS0_14default_configENS1_36segmented_radix_sort_config_selectorIalEEZNS1_25segmented_radix_sort_implIS3_Lb1EPKaPaPKlPlN2at6native12_GLOBAL__N_18offset_tEEE10hipError_tPvRmT1_PNSt15iterator_traitsISK_E10value_typeET2_T3_PNSL_ISQ_E10value_typeET4_jRbjT5_SW_jjP12ihipStream_tbEUlT_E1_NS1_11comp_targetILNS1_3genE9ELNS1_11target_archE1100ELNS1_3gpuE3ELNS1_3repE0EEENS1_59segmented_radix_sort_warp_sort_small_config_static_selectorELNS0_4arch9wavefront6targetE0EEEvSK_.num_named_barrier, 0
	.set _ZN7rocprim17ROCPRIM_400000_NS6detail17trampoline_kernelINS0_14default_configENS1_36segmented_radix_sort_config_selectorIalEEZNS1_25segmented_radix_sort_implIS3_Lb1EPKaPaPKlPlN2at6native12_GLOBAL__N_18offset_tEEE10hipError_tPvRmT1_PNSt15iterator_traitsISK_E10value_typeET2_T3_PNSL_ISQ_E10value_typeET4_jRbjT5_SW_jjP12ihipStream_tbEUlT_E1_NS1_11comp_targetILNS1_3genE9ELNS1_11target_archE1100ELNS1_3gpuE3ELNS1_3repE0EEENS1_59segmented_radix_sort_warp_sort_small_config_static_selectorELNS0_4arch9wavefront6targetE0EEEvSK_.private_seg_size, 0
	.set _ZN7rocprim17ROCPRIM_400000_NS6detail17trampoline_kernelINS0_14default_configENS1_36segmented_radix_sort_config_selectorIalEEZNS1_25segmented_radix_sort_implIS3_Lb1EPKaPaPKlPlN2at6native12_GLOBAL__N_18offset_tEEE10hipError_tPvRmT1_PNSt15iterator_traitsISK_E10value_typeET2_T3_PNSL_ISQ_E10value_typeET4_jRbjT5_SW_jjP12ihipStream_tbEUlT_E1_NS1_11comp_targetILNS1_3genE9ELNS1_11target_archE1100ELNS1_3gpuE3ELNS1_3repE0EEENS1_59segmented_radix_sort_warp_sort_small_config_static_selectorELNS0_4arch9wavefront6targetE0EEEvSK_.uses_vcc, 0
	.set _ZN7rocprim17ROCPRIM_400000_NS6detail17trampoline_kernelINS0_14default_configENS1_36segmented_radix_sort_config_selectorIalEEZNS1_25segmented_radix_sort_implIS3_Lb1EPKaPaPKlPlN2at6native12_GLOBAL__N_18offset_tEEE10hipError_tPvRmT1_PNSt15iterator_traitsISK_E10value_typeET2_T3_PNSL_ISQ_E10value_typeET4_jRbjT5_SW_jjP12ihipStream_tbEUlT_E1_NS1_11comp_targetILNS1_3genE9ELNS1_11target_archE1100ELNS1_3gpuE3ELNS1_3repE0EEENS1_59segmented_radix_sort_warp_sort_small_config_static_selectorELNS0_4arch9wavefront6targetE0EEEvSK_.uses_flat_scratch, 0
	.set _ZN7rocprim17ROCPRIM_400000_NS6detail17trampoline_kernelINS0_14default_configENS1_36segmented_radix_sort_config_selectorIalEEZNS1_25segmented_radix_sort_implIS3_Lb1EPKaPaPKlPlN2at6native12_GLOBAL__N_18offset_tEEE10hipError_tPvRmT1_PNSt15iterator_traitsISK_E10value_typeET2_T3_PNSL_ISQ_E10value_typeET4_jRbjT5_SW_jjP12ihipStream_tbEUlT_E1_NS1_11comp_targetILNS1_3genE9ELNS1_11target_archE1100ELNS1_3gpuE3ELNS1_3repE0EEENS1_59segmented_radix_sort_warp_sort_small_config_static_selectorELNS0_4arch9wavefront6targetE0EEEvSK_.has_dyn_sized_stack, 0
	.set _ZN7rocprim17ROCPRIM_400000_NS6detail17trampoline_kernelINS0_14default_configENS1_36segmented_radix_sort_config_selectorIalEEZNS1_25segmented_radix_sort_implIS3_Lb1EPKaPaPKlPlN2at6native12_GLOBAL__N_18offset_tEEE10hipError_tPvRmT1_PNSt15iterator_traitsISK_E10value_typeET2_T3_PNSL_ISQ_E10value_typeET4_jRbjT5_SW_jjP12ihipStream_tbEUlT_E1_NS1_11comp_targetILNS1_3genE9ELNS1_11target_archE1100ELNS1_3gpuE3ELNS1_3repE0EEENS1_59segmented_radix_sort_warp_sort_small_config_static_selectorELNS0_4arch9wavefront6targetE0EEEvSK_.has_recursion, 0
	.set _ZN7rocprim17ROCPRIM_400000_NS6detail17trampoline_kernelINS0_14default_configENS1_36segmented_radix_sort_config_selectorIalEEZNS1_25segmented_radix_sort_implIS3_Lb1EPKaPaPKlPlN2at6native12_GLOBAL__N_18offset_tEEE10hipError_tPvRmT1_PNSt15iterator_traitsISK_E10value_typeET2_T3_PNSL_ISQ_E10value_typeET4_jRbjT5_SW_jjP12ihipStream_tbEUlT_E1_NS1_11comp_targetILNS1_3genE9ELNS1_11target_archE1100ELNS1_3gpuE3ELNS1_3repE0EEENS1_59segmented_radix_sort_warp_sort_small_config_static_selectorELNS0_4arch9wavefront6targetE0EEEvSK_.has_indirect_call, 0
	.section	.AMDGPU.csdata,"",@progbits
; Kernel info:
; codeLenInByte = 0
; TotalNumSgprs: 0
; NumVgprs: 0
; ScratchSize: 0
; MemoryBound: 0
; FloatMode: 240
; IeeeMode: 1
; LDSByteSize: 0 bytes/workgroup (compile time only)
; SGPRBlocks: 0
; VGPRBlocks: 0
; NumSGPRsForWavesPerEU: 1
; NumVGPRsForWavesPerEU: 1
; Occupancy: 16
; WaveLimiterHint : 0
; COMPUTE_PGM_RSRC2:SCRATCH_EN: 0
; COMPUTE_PGM_RSRC2:USER_SGPR: 6
; COMPUTE_PGM_RSRC2:TRAP_HANDLER: 0
; COMPUTE_PGM_RSRC2:TGID_X_EN: 1
; COMPUTE_PGM_RSRC2:TGID_Y_EN: 0
; COMPUTE_PGM_RSRC2:TGID_Z_EN: 0
; COMPUTE_PGM_RSRC2:TIDIG_COMP_CNT: 0
	.section	.text._ZN7rocprim17ROCPRIM_400000_NS6detail17trampoline_kernelINS0_14default_configENS1_36segmented_radix_sort_config_selectorIalEEZNS1_25segmented_radix_sort_implIS3_Lb1EPKaPaPKlPlN2at6native12_GLOBAL__N_18offset_tEEE10hipError_tPvRmT1_PNSt15iterator_traitsISK_E10value_typeET2_T3_PNSL_ISQ_E10value_typeET4_jRbjT5_SW_jjP12ihipStream_tbEUlT_E1_NS1_11comp_targetILNS1_3genE8ELNS1_11target_archE1030ELNS1_3gpuE2ELNS1_3repE0EEENS1_59segmented_radix_sort_warp_sort_small_config_static_selectorELNS0_4arch9wavefront6targetE0EEEvSK_,"axG",@progbits,_ZN7rocprim17ROCPRIM_400000_NS6detail17trampoline_kernelINS0_14default_configENS1_36segmented_radix_sort_config_selectorIalEEZNS1_25segmented_radix_sort_implIS3_Lb1EPKaPaPKlPlN2at6native12_GLOBAL__N_18offset_tEEE10hipError_tPvRmT1_PNSt15iterator_traitsISK_E10value_typeET2_T3_PNSL_ISQ_E10value_typeET4_jRbjT5_SW_jjP12ihipStream_tbEUlT_E1_NS1_11comp_targetILNS1_3genE8ELNS1_11target_archE1030ELNS1_3gpuE2ELNS1_3repE0EEENS1_59segmented_radix_sort_warp_sort_small_config_static_selectorELNS0_4arch9wavefront6targetE0EEEvSK_,comdat
	.globl	_ZN7rocprim17ROCPRIM_400000_NS6detail17trampoline_kernelINS0_14default_configENS1_36segmented_radix_sort_config_selectorIalEEZNS1_25segmented_radix_sort_implIS3_Lb1EPKaPaPKlPlN2at6native12_GLOBAL__N_18offset_tEEE10hipError_tPvRmT1_PNSt15iterator_traitsISK_E10value_typeET2_T3_PNSL_ISQ_E10value_typeET4_jRbjT5_SW_jjP12ihipStream_tbEUlT_E1_NS1_11comp_targetILNS1_3genE8ELNS1_11target_archE1030ELNS1_3gpuE2ELNS1_3repE0EEENS1_59segmented_radix_sort_warp_sort_small_config_static_selectorELNS0_4arch9wavefront6targetE0EEEvSK_ ; -- Begin function _ZN7rocprim17ROCPRIM_400000_NS6detail17trampoline_kernelINS0_14default_configENS1_36segmented_radix_sort_config_selectorIalEEZNS1_25segmented_radix_sort_implIS3_Lb1EPKaPaPKlPlN2at6native12_GLOBAL__N_18offset_tEEE10hipError_tPvRmT1_PNSt15iterator_traitsISK_E10value_typeET2_T3_PNSL_ISQ_E10value_typeET4_jRbjT5_SW_jjP12ihipStream_tbEUlT_E1_NS1_11comp_targetILNS1_3genE8ELNS1_11target_archE1030ELNS1_3gpuE2ELNS1_3repE0EEENS1_59segmented_radix_sort_warp_sort_small_config_static_selectorELNS0_4arch9wavefront6targetE0EEEvSK_
	.p2align	8
	.type	_ZN7rocprim17ROCPRIM_400000_NS6detail17trampoline_kernelINS0_14default_configENS1_36segmented_radix_sort_config_selectorIalEEZNS1_25segmented_radix_sort_implIS3_Lb1EPKaPaPKlPlN2at6native12_GLOBAL__N_18offset_tEEE10hipError_tPvRmT1_PNSt15iterator_traitsISK_E10value_typeET2_T3_PNSL_ISQ_E10value_typeET4_jRbjT5_SW_jjP12ihipStream_tbEUlT_E1_NS1_11comp_targetILNS1_3genE8ELNS1_11target_archE1030ELNS1_3gpuE2ELNS1_3repE0EEENS1_59segmented_radix_sort_warp_sort_small_config_static_selectorELNS0_4arch9wavefront6targetE0EEEvSK_,@function
_ZN7rocprim17ROCPRIM_400000_NS6detail17trampoline_kernelINS0_14default_configENS1_36segmented_radix_sort_config_selectorIalEEZNS1_25segmented_radix_sort_implIS3_Lb1EPKaPaPKlPlN2at6native12_GLOBAL__N_18offset_tEEE10hipError_tPvRmT1_PNSt15iterator_traitsISK_E10value_typeET2_T3_PNSL_ISQ_E10value_typeET4_jRbjT5_SW_jjP12ihipStream_tbEUlT_E1_NS1_11comp_targetILNS1_3genE8ELNS1_11target_archE1030ELNS1_3gpuE2ELNS1_3repE0EEENS1_59segmented_radix_sort_warp_sort_small_config_static_selectorELNS0_4arch9wavefront6targetE0EEEvSK_: ; @_ZN7rocprim17ROCPRIM_400000_NS6detail17trampoline_kernelINS0_14default_configENS1_36segmented_radix_sort_config_selectorIalEEZNS1_25segmented_radix_sort_implIS3_Lb1EPKaPaPKlPlN2at6native12_GLOBAL__N_18offset_tEEE10hipError_tPvRmT1_PNSt15iterator_traitsISK_E10value_typeET2_T3_PNSL_ISQ_E10value_typeET4_jRbjT5_SW_jjP12ihipStream_tbEUlT_E1_NS1_11comp_targetILNS1_3genE8ELNS1_11target_archE1030ELNS1_3gpuE2ELNS1_3repE0EEENS1_59segmented_radix_sort_warp_sort_small_config_static_selectorELNS0_4arch9wavefront6targetE0EEEvSK_
; %bb.0:
	s_add_u32 s0, s0, s8
	s_load_dword s8, s[4:5], 0x64
	s_addc_u32 s1, s1, 0
	s_mov_b32 s32, 0
	s_waitcnt lgkmcnt(0)
	s_lshr_b32 s9, s8, 16
	s_and_b32 s8, s8, 0xffff
	v_mad_u32_u24 v3, v2, s9, v1
	s_load_dword s9, s[4:5], 0x34
	v_mad_u64_u32 v[3:4], null, v3, s8, v[0:1]
	s_mov_b32 s8, exec_lo
	v_lshrrev_b32_e32 v3, 5, v3
	v_lshl_add_u32 v3, s6, 3, v3
	s_waitcnt lgkmcnt(0)
	v_cmpx_gt_u32_e64 s9, v3
	s_cbranch_execz .LBB316_6
; %bb.1:
	s_clause 0x1
	s_load_dwordx2 s[12:13], s[4:5], 0x38
	s_load_dwordx4 s[8:11], s[4:5], 0x40
	v_mov_b32_e32 v4, 0
	v_lshlrev_b64 v[3:4], 2, v[3:4]
	s_waitcnt lgkmcnt(0)
	v_sub_co_u32 v3, vcc_lo, s12, v3
	v_sub_co_ci_u32_e64 v4, null, s13, v4, vcc_lo
	global_load_dword v3, v[3:4], off offset:-4
	s_waitcnt vmcnt(0)
	v_add_nc_u32_e32 v4, s9, v3
	v_add_nc_u32_e32 v3, s11, v3
	v_mul_lo_u32 v8, v4, s8
	v_mul_lo_u32 v40, v3, s10
	v_cmp_gt_u32_e32 vcc_lo, v40, v8
	s_and_b32 exec_lo, exec_lo, vcc_lo
	s_cbranch_execz .LBB316_6
; %bb.2:
	s_clause 0x3
	s_load_dword s8, s[4:5], 0x30
	s_load_dwordx4 s[36:39], s[4:5], 0x20
	s_load_dwordx8 s[20:27], s[4:5], 0x0
	s_load_dwordx2 s[28:29], s[4:5], 0x50
	v_lshlrev_b32_e32 v42, 20, v2
	v_lshlrev_b32_e32 v43, 10, v1
	s_waitcnt lgkmcnt(0)
	s_bitcmp0_b32 s8, 0
	s_mov_b32 s8, -1
	s_cbranch_scc0 .LBB316_4
; %bb.3:
	s_mov_b64 s[10:11], src_shared_base
	v_or3_b32 v31, v0, v43, v42
	v_mov_b32_e32 v41, v0
	v_mov_b32_e32 v0, s20
	;; [unrolled: 1-line block ×14, first 2 shown]
	s_add_u32 s8, s4, 0x58
	s_addc_u32 s9, s5, 0
	s_getpc_b64 s[14:15]
	s_add_u32 s14, s14, _ZN7rocprim17ROCPRIM_400000_NS6detail26segmented_warp_sort_helperINS1_20WarpSortHelperConfigILj32ELj4ELj256EEEalLi256ELb1EvE4sortIPKaPaPKlPlEEvT_T0_T1_T2_jjjjRNS5_12storage_typeE@rel32@lo+4
	s_addc_u32 s15, s15, _ZN7rocprim17ROCPRIM_400000_NS6detail26segmented_warp_sort_helperINS1_20WarpSortHelperConfigILj32ELj4ELj256EEEalLi256ELb1EvE4sortIPKaPaPKlPlEEvT_T0_T1_T2_jjjjRNS5_12storage_typeE@rel32@hi+12
	s_mov_b32 s12, s6
	s_mov_b32 s13, s7
	s_mov_b64 s[22:23], s[4:5]
	s_mov_b32 s19, s7
	s_mov_b32 s33, s6
	s_swappc_b64 s[30:31], s[14:15]
	v_mov_b32_e32 v0, v41
	s_mov_b32 s6, s33
	s_mov_b32 s7, s19
	s_mov_b64 s[4:5], s[22:23]
	s_mov_b32 s8, 0
.LBB316_4:
	s_andn2_b32 vcc_lo, exec_lo, s8
	s_cbranch_vccnz .LBB316_6
; %bb.5:
	s_mov_b64 s[10:11], src_shared_base
	v_or3_b32 v31, v0, v43, v42
	v_mov_b32_e32 v0, s20
	v_mov_b32_e32 v1, s21
	;; [unrolled: 1-line block ×13, first 2 shown]
	s_add_u32 s8, s4, 0x58
	s_addc_u32 s9, s5, 0
	s_getpc_b64 s[4:5]
	s_add_u32 s4, s4, _ZN7rocprim17ROCPRIM_400000_NS6detail26segmented_warp_sort_helperINS1_20WarpSortHelperConfigILj32ELj4ELj256EEEalLi256ELb1EvE4sortIPKaPaPKlPlEEvT_T0_T1_T2_jjjjRNS5_12storage_typeE@rel32@lo+4
	s_addc_u32 s5, s5, _ZN7rocprim17ROCPRIM_400000_NS6detail26segmented_warp_sort_helperINS1_20WarpSortHelperConfigILj32ELj4ELj256EEEalLi256ELb1EvE4sortIPKaPaPKlPlEEvT_T0_T1_T2_jjjjRNS5_12storage_typeE@rel32@hi+12
	s_mov_b32 s12, s6
	s_mov_b32 s13, s7
	s_swappc_b64 s[30:31], s[4:5]
.LBB316_6:
	s_endpgm
	.section	.rodata,"a",@progbits
	.p2align	6, 0x0
	.amdhsa_kernel _ZN7rocprim17ROCPRIM_400000_NS6detail17trampoline_kernelINS0_14default_configENS1_36segmented_radix_sort_config_selectorIalEEZNS1_25segmented_radix_sort_implIS3_Lb1EPKaPaPKlPlN2at6native12_GLOBAL__N_18offset_tEEE10hipError_tPvRmT1_PNSt15iterator_traitsISK_E10value_typeET2_T3_PNSL_ISQ_E10value_typeET4_jRbjT5_SW_jjP12ihipStream_tbEUlT_E1_NS1_11comp_targetILNS1_3genE8ELNS1_11target_archE1030ELNS1_3gpuE2ELNS1_3repE0EEENS1_59segmented_radix_sort_warp_sort_small_config_static_selectorELNS0_4arch9wavefront6targetE0EEEvSK_
		.amdhsa_group_segment_fixed_size 9216
		.amdhsa_private_segment_fixed_size 0
		.amdhsa_kernarg_size 344
		.amdhsa_user_sgpr_count 6
		.amdhsa_user_sgpr_private_segment_buffer 1
		.amdhsa_user_sgpr_dispatch_ptr 0
		.amdhsa_user_sgpr_queue_ptr 0
		.amdhsa_user_sgpr_kernarg_segment_ptr 1
		.amdhsa_user_sgpr_dispatch_id 0
		.amdhsa_user_sgpr_flat_scratch_init 0
		.amdhsa_user_sgpr_private_segment_size 0
		.amdhsa_wavefront_size32 1
		.amdhsa_uses_dynamic_stack 0
		.amdhsa_system_sgpr_private_segment_wavefront_offset 0
		.amdhsa_system_sgpr_workgroup_id_x 1
		.amdhsa_system_sgpr_workgroup_id_y 1
		.amdhsa_system_sgpr_workgroup_id_z 0
		.amdhsa_system_sgpr_workgroup_info 0
		.amdhsa_system_vgpr_workitem_id 2
		.amdhsa_next_free_vgpr 53
		.amdhsa_next_free_sgpr 40
		.amdhsa_reserve_vcc 1
		.amdhsa_reserve_flat_scratch 0
		.amdhsa_float_round_mode_32 0
		.amdhsa_float_round_mode_16_64 0
		.amdhsa_float_denorm_mode_32 3
		.amdhsa_float_denorm_mode_16_64 3
		.amdhsa_dx10_clamp 1
		.amdhsa_ieee_mode 1
		.amdhsa_fp16_overflow 0
		.amdhsa_workgroup_processor_mode 1
		.amdhsa_memory_ordered 1
		.amdhsa_forward_progress 1
		.amdhsa_shared_vgpr_count 0
		.amdhsa_exception_fp_ieee_invalid_op 0
		.amdhsa_exception_fp_denorm_src 0
		.amdhsa_exception_fp_ieee_div_zero 0
		.amdhsa_exception_fp_ieee_overflow 0
		.amdhsa_exception_fp_ieee_underflow 0
		.amdhsa_exception_fp_ieee_inexact 0
		.amdhsa_exception_int_div_zero 0
	.end_amdhsa_kernel
	.section	.text._ZN7rocprim17ROCPRIM_400000_NS6detail17trampoline_kernelINS0_14default_configENS1_36segmented_radix_sort_config_selectorIalEEZNS1_25segmented_radix_sort_implIS3_Lb1EPKaPaPKlPlN2at6native12_GLOBAL__N_18offset_tEEE10hipError_tPvRmT1_PNSt15iterator_traitsISK_E10value_typeET2_T3_PNSL_ISQ_E10value_typeET4_jRbjT5_SW_jjP12ihipStream_tbEUlT_E1_NS1_11comp_targetILNS1_3genE8ELNS1_11target_archE1030ELNS1_3gpuE2ELNS1_3repE0EEENS1_59segmented_radix_sort_warp_sort_small_config_static_selectorELNS0_4arch9wavefront6targetE0EEEvSK_,"axG",@progbits,_ZN7rocprim17ROCPRIM_400000_NS6detail17trampoline_kernelINS0_14default_configENS1_36segmented_radix_sort_config_selectorIalEEZNS1_25segmented_radix_sort_implIS3_Lb1EPKaPaPKlPlN2at6native12_GLOBAL__N_18offset_tEEE10hipError_tPvRmT1_PNSt15iterator_traitsISK_E10value_typeET2_T3_PNSL_ISQ_E10value_typeET4_jRbjT5_SW_jjP12ihipStream_tbEUlT_E1_NS1_11comp_targetILNS1_3genE8ELNS1_11target_archE1030ELNS1_3gpuE2ELNS1_3repE0EEENS1_59segmented_radix_sort_warp_sort_small_config_static_selectorELNS0_4arch9wavefront6targetE0EEEvSK_,comdat
.Lfunc_end316:
	.size	_ZN7rocprim17ROCPRIM_400000_NS6detail17trampoline_kernelINS0_14default_configENS1_36segmented_radix_sort_config_selectorIalEEZNS1_25segmented_radix_sort_implIS3_Lb1EPKaPaPKlPlN2at6native12_GLOBAL__N_18offset_tEEE10hipError_tPvRmT1_PNSt15iterator_traitsISK_E10value_typeET2_T3_PNSL_ISQ_E10value_typeET4_jRbjT5_SW_jjP12ihipStream_tbEUlT_E1_NS1_11comp_targetILNS1_3genE8ELNS1_11target_archE1030ELNS1_3gpuE2ELNS1_3repE0EEENS1_59segmented_radix_sort_warp_sort_small_config_static_selectorELNS0_4arch9wavefront6targetE0EEEvSK_, .Lfunc_end316-_ZN7rocprim17ROCPRIM_400000_NS6detail17trampoline_kernelINS0_14default_configENS1_36segmented_radix_sort_config_selectorIalEEZNS1_25segmented_radix_sort_implIS3_Lb1EPKaPaPKlPlN2at6native12_GLOBAL__N_18offset_tEEE10hipError_tPvRmT1_PNSt15iterator_traitsISK_E10value_typeET2_T3_PNSL_ISQ_E10value_typeET4_jRbjT5_SW_jjP12ihipStream_tbEUlT_E1_NS1_11comp_targetILNS1_3genE8ELNS1_11target_archE1030ELNS1_3gpuE2ELNS1_3repE0EEENS1_59segmented_radix_sort_warp_sort_small_config_static_selectorELNS0_4arch9wavefront6targetE0EEEvSK_
                                        ; -- End function
	.set _ZN7rocprim17ROCPRIM_400000_NS6detail17trampoline_kernelINS0_14default_configENS1_36segmented_radix_sort_config_selectorIalEEZNS1_25segmented_radix_sort_implIS3_Lb1EPKaPaPKlPlN2at6native12_GLOBAL__N_18offset_tEEE10hipError_tPvRmT1_PNSt15iterator_traitsISK_E10value_typeET2_T3_PNSL_ISQ_E10value_typeET4_jRbjT5_SW_jjP12ihipStream_tbEUlT_E1_NS1_11comp_targetILNS1_3genE8ELNS1_11target_archE1030ELNS1_3gpuE2ELNS1_3repE0EEENS1_59segmented_radix_sort_warp_sort_small_config_static_selectorELNS0_4arch9wavefront6targetE0EEEvSK_.num_vgpr, max(44, .L_ZN7rocprim17ROCPRIM_400000_NS6detail26segmented_warp_sort_helperINS1_20WarpSortHelperConfigILj32ELj4ELj256EEEalLi256ELb1EvE4sortIPKaPaPKlPlEEvT_T0_T1_T2_jjjjRNS5_12storage_typeE.num_vgpr)
	.set _ZN7rocprim17ROCPRIM_400000_NS6detail17trampoline_kernelINS0_14default_configENS1_36segmented_radix_sort_config_selectorIalEEZNS1_25segmented_radix_sort_implIS3_Lb1EPKaPaPKlPlN2at6native12_GLOBAL__N_18offset_tEEE10hipError_tPvRmT1_PNSt15iterator_traitsISK_E10value_typeET2_T3_PNSL_ISQ_E10value_typeET4_jRbjT5_SW_jjP12ihipStream_tbEUlT_E1_NS1_11comp_targetILNS1_3genE8ELNS1_11target_archE1030ELNS1_3gpuE2ELNS1_3repE0EEENS1_59segmented_radix_sort_warp_sort_small_config_static_selectorELNS0_4arch9wavefront6targetE0EEEvSK_.num_agpr, max(0, .L_ZN7rocprim17ROCPRIM_400000_NS6detail26segmented_warp_sort_helperINS1_20WarpSortHelperConfigILj32ELj4ELj256EEEalLi256ELb1EvE4sortIPKaPaPKlPlEEvT_T0_T1_T2_jjjjRNS5_12storage_typeE.num_agpr)
	.set _ZN7rocprim17ROCPRIM_400000_NS6detail17trampoline_kernelINS0_14default_configENS1_36segmented_radix_sort_config_selectorIalEEZNS1_25segmented_radix_sort_implIS3_Lb1EPKaPaPKlPlN2at6native12_GLOBAL__N_18offset_tEEE10hipError_tPvRmT1_PNSt15iterator_traitsISK_E10value_typeET2_T3_PNSL_ISQ_E10value_typeET4_jRbjT5_SW_jjP12ihipStream_tbEUlT_E1_NS1_11comp_targetILNS1_3genE8ELNS1_11target_archE1030ELNS1_3gpuE2ELNS1_3repE0EEENS1_59segmented_radix_sort_warp_sort_small_config_static_selectorELNS0_4arch9wavefront6targetE0EEEvSK_.numbered_sgpr, max(40, .L_ZN7rocprim17ROCPRIM_400000_NS6detail26segmented_warp_sort_helperINS1_20WarpSortHelperConfigILj32ELj4ELj256EEEalLi256ELb1EvE4sortIPKaPaPKlPlEEvT_T0_T1_T2_jjjjRNS5_12storage_typeE.numbered_sgpr)
	.set _ZN7rocprim17ROCPRIM_400000_NS6detail17trampoline_kernelINS0_14default_configENS1_36segmented_radix_sort_config_selectorIalEEZNS1_25segmented_radix_sort_implIS3_Lb1EPKaPaPKlPlN2at6native12_GLOBAL__N_18offset_tEEE10hipError_tPvRmT1_PNSt15iterator_traitsISK_E10value_typeET2_T3_PNSL_ISQ_E10value_typeET4_jRbjT5_SW_jjP12ihipStream_tbEUlT_E1_NS1_11comp_targetILNS1_3genE8ELNS1_11target_archE1030ELNS1_3gpuE2ELNS1_3repE0EEENS1_59segmented_radix_sort_warp_sort_small_config_static_selectorELNS0_4arch9wavefront6targetE0EEEvSK_.num_named_barrier, max(0, .L_ZN7rocprim17ROCPRIM_400000_NS6detail26segmented_warp_sort_helperINS1_20WarpSortHelperConfigILj32ELj4ELj256EEEalLi256ELb1EvE4sortIPKaPaPKlPlEEvT_T0_T1_T2_jjjjRNS5_12storage_typeE.num_named_barrier)
	.set _ZN7rocprim17ROCPRIM_400000_NS6detail17trampoline_kernelINS0_14default_configENS1_36segmented_radix_sort_config_selectorIalEEZNS1_25segmented_radix_sort_implIS3_Lb1EPKaPaPKlPlN2at6native12_GLOBAL__N_18offset_tEEE10hipError_tPvRmT1_PNSt15iterator_traitsISK_E10value_typeET2_T3_PNSL_ISQ_E10value_typeET4_jRbjT5_SW_jjP12ihipStream_tbEUlT_E1_NS1_11comp_targetILNS1_3genE8ELNS1_11target_archE1030ELNS1_3gpuE2ELNS1_3repE0EEENS1_59segmented_radix_sort_warp_sort_small_config_static_selectorELNS0_4arch9wavefront6targetE0EEEvSK_.private_seg_size, 0+max(.L_ZN7rocprim17ROCPRIM_400000_NS6detail26segmented_warp_sort_helperINS1_20WarpSortHelperConfigILj32ELj4ELj256EEEalLi256ELb1EvE4sortIPKaPaPKlPlEEvT_T0_T1_T2_jjjjRNS5_12storage_typeE.private_seg_size)
	.set _ZN7rocprim17ROCPRIM_400000_NS6detail17trampoline_kernelINS0_14default_configENS1_36segmented_radix_sort_config_selectorIalEEZNS1_25segmented_radix_sort_implIS3_Lb1EPKaPaPKlPlN2at6native12_GLOBAL__N_18offset_tEEE10hipError_tPvRmT1_PNSt15iterator_traitsISK_E10value_typeET2_T3_PNSL_ISQ_E10value_typeET4_jRbjT5_SW_jjP12ihipStream_tbEUlT_E1_NS1_11comp_targetILNS1_3genE8ELNS1_11target_archE1030ELNS1_3gpuE2ELNS1_3repE0EEENS1_59segmented_radix_sort_warp_sort_small_config_static_selectorELNS0_4arch9wavefront6targetE0EEEvSK_.uses_vcc, or(1, .L_ZN7rocprim17ROCPRIM_400000_NS6detail26segmented_warp_sort_helperINS1_20WarpSortHelperConfigILj32ELj4ELj256EEEalLi256ELb1EvE4sortIPKaPaPKlPlEEvT_T0_T1_T2_jjjjRNS5_12storage_typeE.uses_vcc)
	.set _ZN7rocprim17ROCPRIM_400000_NS6detail17trampoline_kernelINS0_14default_configENS1_36segmented_radix_sort_config_selectorIalEEZNS1_25segmented_radix_sort_implIS3_Lb1EPKaPaPKlPlN2at6native12_GLOBAL__N_18offset_tEEE10hipError_tPvRmT1_PNSt15iterator_traitsISK_E10value_typeET2_T3_PNSL_ISQ_E10value_typeET4_jRbjT5_SW_jjP12ihipStream_tbEUlT_E1_NS1_11comp_targetILNS1_3genE8ELNS1_11target_archE1030ELNS1_3gpuE2ELNS1_3repE0EEENS1_59segmented_radix_sort_warp_sort_small_config_static_selectorELNS0_4arch9wavefront6targetE0EEEvSK_.uses_flat_scratch, or(0, .L_ZN7rocprim17ROCPRIM_400000_NS6detail26segmented_warp_sort_helperINS1_20WarpSortHelperConfigILj32ELj4ELj256EEEalLi256ELb1EvE4sortIPKaPaPKlPlEEvT_T0_T1_T2_jjjjRNS5_12storage_typeE.uses_flat_scratch)
	.set _ZN7rocprim17ROCPRIM_400000_NS6detail17trampoline_kernelINS0_14default_configENS1_36segmented_radix_sort_config_selectorIalEEZNS1_25segmented_radix_sort_implIS3_Lb1EPKaPaPKlPlN2at6native12_GLOBAL__N_18offset_tEEE10hipError_tPvRmT1_PNSt15iterator_traitsISK_E10value_typeET2_T3_PNSL_ISQ_E10value_typeET4_jRbjT5_SW_jjP12ihipStream_tbEUlT_E1_NS1_11comp_targetILNS1_3genE8ELNS1_11target_archE1030ELNS1_3gpuE2ELNS1_3repE0EEENS1_59segmented_radix_sort_warp_sort_small_config_static_selectorELNS0_4arch9wavefront6targetE0EEEvSK_.has_dyn_sized_stack, or(0, .L_ZN7rocprim17ROCPRIM_400000_NS6detail26segmented_warp_sort_helperINS1_20WarpSortHelperConfigILj32ELj4ELj256EEEalLi256ELb1EvE4sortIPKaPaPKlPlEEvT_T0_T1_T2_jjjjRNS5_12storage_typeE.has_dyn_sized_stack)
	.set _ZN7rocprim17ROCPRIM_400000_NS6detail17trampoline_kernelINS0_14default_configENS1_36segmented_radix_sort_config_selectorIalEEZNS1_25segmented_radix_sort_implIS3_Lb1EPKaPaPKlPlN2at6native12_GLOBAL__N_18offset_tEEE10hipError_tPvRmT1_PNSt15iterator_traitsISK_E10value_typeET2_T3_PNSL_ISQ_E10value_typeET4_jRbjT5_SW_jjP12ihipStream_tbEUlT_E1_NS1_11comp_targetILNS1_3genE8ELNS1_11target_archE1030ELNS1_3gpuE2ELNS1_3repE0EEENS1_59segmented_radix_sort_warp_sort_small_config_static_selectorELNS0_4arch9wavefront6targetE0EEEvSK_.has_recursion, or(0, .L_ZN7rocprim17ROCPRIM_400000_NS6detail26segmented_warp_sort_helperINS1_20WarpSortHelperConfigILj32ELj4ELj256EEEalLi256ELb1EvE4sortIPKaPaPKlPlEEvT_T0_T1_T2_jjjjRNS5_12storage_typeE.has_recursion)
	.set _ZN7rocprim17ROCPRIM_400000_NS6detail17trampoline_kernelINS0_14default_configENS1_36segmented_radix_sort_config_selectorIalEEZNS1_25segmented_radix_sort_implIS3_Lb1EPKaPaPKlPlN2at6native12_GLOBAL__N_18offset_tEEE10hipError_tPvRmT1_PNSt15iterator_traitsISK_E10value_typeET2_T3_PNSL_ISQ_E10value_typeET4_jRbjT5_SW_jjP12ihipStream_tbEUlT_E1_NS1_11comp_targetILNS1_3genE8ELNS1_11target_archE1030ELNS1_3gpuE2ELNS1_3repE0EEENS1_59segmented_radix_sort_warp_sort_small_config_static_selectorELNS0_4arch9wavefront6targetE0EEEvSK_.has_indirect_call, or(0, .L_ZN7rocprim17ROCPRIM_400000_NS6detail26segmented_warp_sort_helperINS1_20WarpSortHelperConfigILj32ELj4ELj256EEEalLi256ELb1EvE4sortIPKaPaPKlPlEEvT_T0_T1_T2_jjjjRNS5_12storage_typeE.has_indirect_call)
	.section	.AMDGPU.csdata,"",@progbits
; Kernel info:
; codeLenInByte = 516
; TotalNumSgprs: 42
; NumVgprs: 53
; ScratchSize: 0
; MemoryBound: 0
; FloatMode: 240
; IeeeMode: 1
; LDSByteSize: 9216 bytes/workgroup (compile time only)
; SGPRBlocks: 0
; VGPRBlocks: 6
; NumSGPRsForWavesPerEU: 42
; NumVGPRsForWavesPerEU: 53
; Occupancy: 16
; WaveLimiterHint : 0
; COMPUTE_PGM_RSRC2:SCRATCH_EN: 0
; COMPUTE_PGM_RSRC2:USER_SGPR: 6
; COMPUTE_PGM_RSRC2:TRAP_HANDLER: 0
; COMPUTE_PGM_RSRC2:TGID_X_EN: 1
; COMPUTE_PGM_RSRC2:TGID_Y_EN: 1
; COMPUTE_PGM_RSRC2:TGID_Z_EN: 0
; COMPUTE_PGM_RSRC2:TIDIG_COMP_CNT: 2
	.section	.text._ZN7rocprim17ROCPRIM_400000_NS6detail17trampoline_kernelINS0_14default_configENS1_36segmented_radix_sort_config_selectorIalEEZNS1_25segmented_radix_sort_implIS3_Lb1EPKaPaPKlPlN2at6native12_GLOBAL__N_18offset_tEEE10hipError_tPvRmT1_PNSt15iterator_traitsISK_E10value_typeET2_T3_PNSL_ISQ_E10value_typeET4_jRbjT5_SW_jjP12ihipStream_tbEUlT_E2_NS1_11comp_targetILNS1_3genE0ELNS1_11target_archE4294967295ELNS1_3gpuE0ELNS1_3repE0EEENS1_30default_config_static_selectorELNS0_4arch9wavefront6targetE0EEEvSK_,"axG",@progbits,_ZN7rocprim17ROCPRIM_400000_NS6detail17trampoline_kernelINS0_14default_configENS1_36segmented_radix_sort_config_selectorIalEEZNS1_25segmented_radix_sort_implIS3_Lb1EPKaPaPKlPlN2at6native12_GLOBAL__N_18offset_tEEE10hipError_tPvRmT1_PNSt15iterator_traitsISK_E10value_typeET2_T3_PNSL_ISQ_E10value_typeET4_jRbjT5_SW_jjP12ihipStream_tbEUlT_E2_NS1_11comp_targetILNS1_3genE0ELNS1_11target_archE4294967295ELNS1_3gpuE0ELNS1_3repE0EEENS1_30default_config_static_selectorELNS0_4arch9wavefront6targetE0EEEvSK_,comdat
	.globl	_ZN7rocprim17ROCPRIM_400000_NS6detail17trampoline_kernelINS0_14default_configENS1_36segmented_radix_sort_config_selectorIalEEZNS1_25segmented_radix_sort_implIS3_Lb1EPKaPaPKlPlN2at6native12_GLOBAL__N_18offset_tEEE10hipError_tPvRmT1_PNSt15iterator_traitsISK_E10value_typeET2_T3_PNSL_ISQ_E10value_typeET4_jRbjT5_SW_jjP12ihipStream_tbEUlT_E2_NS1_11comp_targetILNS1_3genE0ELNS1_11target_archE4294967295ELNS1_3gpuE0ELNS1_3repE0EEENS1_30default_config_static_selectorELNS0_4arch9wavefront6targetE0EEEvSK_ ; -- Begin function _ZN7rocprim17ROCPRIM_400000_NS6detail17trampoline_kernelINS0_14default_configENS1_36segmented_radix_sort_config_selectorIalEEZNS1_25segmented_radix_sort_implIS3_Lb1EPKaPaPKlPlN2at6native12_GLOBAL__N_18offset_tEEE10hipError_tPvRmT1_PNSt15iterator_traitsISK_E10value_typeET2_T3_PNSL_ISQ_E10value_typeET4_jRbjT5_SW_jjP12ihipStream_tbEUlT_E2_NS1_11comp_targetILNS1_3genE0ELNS1_11target_archE4294967295ELNS1_3gpuE0ELNS1_3repE0EEENS1_30default_config_static_selectorELNS0_4arch9wavefront6targetE0EEEvSK_
	.p2align	8
	.type	_ZN7rocprim17ROCPRIM_400000_NS6detail17trampoline_kernelINS0_14default_configENS1_36segmented_radix_sort_config_selectorIalEEZNS1_25segmented_radix_sort_implIS3_Lb1EPKaPaPKlPlN2at6native12_GLOBAL__N_18offset_tEEE10hipError_tPvRmT1_PNSt15iterator_traitsISK_E10value_typeET2_T3_PNSL_ISQ_E10value_typeET4_jRbjT5_SW_jjP12ihipStream_tbEUlT_E2_NS1_11comp_targetILNS1_3genE0ELNS1_11target_archE4294967295ELNS1_3gpuE0ELNS1_3repE0EEENS1_30default_config_static_selectorELNS0_4arch9wavefront6targetE0EEEvSK_,@function
_ZN7rocprim17ROCPRIM_400000_NS6detail17trampoline_kernelINS0_14default_configENS1_36segmented_radix_sort_config_selectorIalEEZNS1_25segmented_radix_sort_implIS3_Lb1EPKaPaPKlPlN2at6native12_GLOBAL__N_18offset_tEEE10hipError_tPvRmT1_PNSt15iterator_traitsISK_E10value_typeET2_T3_PNSL_ISQ_E10value_typeET4_jRbjT5_SW_jjP12ihipStream_tbEUlT_E2_NS1_11comp_targetILNS1_3genE0ELNS1_11target_archE4294967295ELNS1_3gpuE0ELNS1_3repE0EEENS1_30default_config_static_selectorELNS0_4arch9wavefront6targetE0EEEvSK_: ; @_ZN7rocprim17ROCPRIM_400000_NS6detail17trampoline_kernelINS0_14default_configENS1_36segmented_radix_sort_config_selectorIalEEZNS1_25segmented_radix_sort_implIS3_Lb1EPKaPaPKlPlN2at6native12_GLOBAL__N_18offset_tEEE10hipError_tPvRmT1_PNSt15iterator_traitsISK_E10value_typeET2_T3_PNSL_ISQ_E10value_typeET4_jRbjT5_SW_jjP12ihipStream_tbEUlT_E2_NS1_11comp_targetILNS1_3genE0ELNS1_11target_archE4294967295ELNS1_3gpuE0ELNS1_3repE0EEENS1_30default_config_static_selectorELNS0_4arch9wavefront6targetE0EEEvSK_
; %bb.0:
	.section	.rodata,"a",@progbits
	.p2align	6, 0x0
	.amdhsa_kernel _ZN7rocprim17ROCPRIM_400000_NS6detail17trampoline_kernelINS0_14default_configENS1_36segmented_radix_sort_config_selectorIalEEZNS1_25segmented_radix_sort_implIS3_Lb1EPKaPaPKlPlN2at6native12_GLOBAL__N_18offset_tEEE10hipError_tPvRmT1_PNSt15iterator_traitsISK_E10value_typeET2_T3_PNSL_ISQ_E10value_typeET4_jRbjT5_SW_jjP12ihipStream_tbEUlT_E2_NS1_11comp_targetILNS1_3genE0ELNS1_11target_archE4294967295ELNS1_3gpuE0ELNS1_3repE0EEENS1_30default_config_static_selectorELNS0_4arch9wavefront6targetE0EEEvSK_
		.amdhsa_group_segment_fixed_size 0
		.amdhsa_private_segment_fixed_size 0
		.amdhsa_kernarg_size 80
		.amdhsa_user_sgpr_count 6
		.amdhsa_user_sgpr_private_segment_buffer 1
		.amdhsa_user_sgpr_dispatch_ptr 0
		.amdhsa_user_sgpr_queue_ptr 0
		.amdhsa_user_sgpr_kernarg_segment_ptr 1
		.amdhsa_user_sgpr_dispatch_id 0
		.amdhsa_user_sgpr_flat_scratch_init 0
		.amdhsa_user_sgpr_private_segment_size 0
		.amdhsa_wavefront_size32 1
		.amdhsa_uses_dynamic_stack 0
		.amdhsa_system_sgpr_private_segment_wavefront_offset 0
		.amdhsa_system_sgpr_workgroup_id_x 1
		.amdhsa_system_sgpr_workgroup_id_y 0
		.amdhsa_system_sgpr_workgroup_id_z 0
		.amdhsa_system_sgpr_workgroup_info 0
		.amdhsa_system_vgpr_workitem_id 0
		.amdhsa_next_free_vgpr 1
		.amdhsa_next_free_sgpr 1
		.amdhsa_reserve_vcc 0
		.amdhsa_reserve_flat_scratch 0
		.amdhsa_float_round_mode_32 0
		.amdhsa_float_round_mode_16_64 0
		.amdhsa_float_denorm_mode_32 3
		.amdhsa_float_denorm_mode_16_64 3
		.amdhsa_dx10_clamp 1
		.amdhsa_ieee_mode 1
		.amdhsa_fp16_overflow 0
		.amdhsa_workgroup_processor_mode 1
		.amdhsa_memory_ordered 1
		.amdhsa_forward_progress 1
		.amdhsa_shared_vgpr_count 0
		.amdhsa_exception_fp_ieee_invalid_op 0
		.amdhsa_exception_fp_denorm_src 0
		.amdhsa_exception_fp_ieee_div_zero 0
		.amdhsa_exception_fp_ieee_overflow 0
		.amdhsa_exception_fp_ieee_underflow 0
		.amdhsa_exception_fp_ieee_inexact 0
		.amdhsa_exception_int_div_zero 0
	.end_amdhsa_kernel
	.section	.text._ZN7rocprim17ROCPRIM_400000_NS6detail17trampoline_kernelINS0_14default_configENS1_36segmented_radix_sort_config_selectorIalEEZNS1_25segmented_radix_sort_implIS3_Lb1EPKaPaPKlPlN2at6native12_GLOBAL__N_18offset_tEEE10hipError_tPvRmT1_PNSt15iterator_traitsISK_E10value_typeET2_T3_PNSL_ISQ_E10value_typeET4_jRbjT5_SW_jjP12ihipStream_tbEUlT_E2_NS1_11comp_targetILNS1_3genE0ELNS1_11target_archE4294967295ELNS1_3gpuE0ELNS1_3repE0EEENS1_30default_config_static_selectorELNS0_4arch9wavefront6targetE0EEEvSK_,"axG",@progbits,_ZN7rocprim17ROCPRIM_400000_NS6detail17trampoline_kernelINS0_14default_configENS1_36segmented_radix_sort_config_selectorIalEEZNS1_25segmented_radix_sort_implIS3_Lb1EPKaPaPKlPlN2at6native12_GLOBAL__N_18offset_tEEE10hipError_tPvRmT1_PNSt15iterator_traitsISK_E10value_typeET2_T3_PNSL_ISQ_E10value_typeET4_jRbjT5_SW_jjP12ihipStream_tbEUlT_E2_NS1_11comp_targetILNS1_3genE0ELNS1_11target_archE4294967295ELNS1_3gpuE0ELNS1_3repE0EEENS1_30default_config_static_selectorELNS0_4arch9wavefront6targetE0EEEvSK_,comdat
.Lfunc_end317:
	.size	_ZN7rocprim17ROCPRIM_400000_NS6detail17trampoline_kernelINS0_14default_configENS1_36segmented_radix_sort_config_selectorIalEEZNS1_25segmented_radix_sort_implIS3_Lb1EPKaPaPKlPlN2at6native12_GLOBAL__N_18offset_tEEE10hipError_tPvRmT1_PNSt15iterator_traitsISK_E10value_typeET2_T3_PNSL_ISQ_E10value_typeET4_jRbjT5_SW_jjP12ihipStream_tbEUlT_E2_NS1_11comp_targetILNS1_3genE0ELNS1_11target_archE4294967295ELNS1_3gpuE0ELNS1_3repE0EEENS1_30default_config_static_selectorELNS0_4arch9wavefront6targetE0EEEvSK_, .Lfunc_end317-_ZN7rocprim17ROCPRIM_400000_NS6detail17trampoline_kernelINS0_14default_configENS1_36segmented_radix_sort_config_selectorIalEEZNS1_25segmented_radix_sort_implIS3_Lb1EPKaPaPKlPlN2at6native12_GLOBAL__N_18offset_tEEE10hipError_tPvRmT1_PNSt15iterator_traitsISK_E10value_typeET2_T3_PNSL_ISQ_E10value_typeET4_jRbjT5_SW_jjP12ihipStream_tbEUlT_E2_NS1_11comp_targetILNS1_3genE0ELNS1_11target_archE4294967295ELNS1_3gpuE0ELNS1_3repE0EEENS1_30default_config_static_selectorELNS0_4arch9wavefront6targetE0EEEvSK_
                                        ; -- End function
	.set _ZN7rocprim17ROCPRIM_400000_NS6detail17trampoline_kernelINS0_14default_configENS1_36segmented_radix_sort_config_selectorIalEEZNS1_25segmented_radix_sort_implIS3_Lb1EPKaPaPKlPlN2at6native12_GLOBAL__N_18offset_tEEE10hipError_tPvRmT1_PNSt15iterator_traitsISK_E10value_typeET2_T3_PNSL_ISQ_E10value_typeET4_jRbjT5_SW_jjP12ihipStream_tbEUlT_E2_NS1_11comp_targetILNS1_3genE0ELNS1_11target_archE4294967295ELNS1_3gpuE0ELNS1_3repE0EEENS1_30default_config_static_selectorELNS0_4arch9wavefront6targetE0EEEvSK_.num_vgpr, 0
	.set _ZN7rocprim17ROCPRIM_400000_NS6detail17trampoline_kernelINS0_14default_configENS1_36segmented_radix_sort_config_selectorIalEEZNS1_25segmented_radix_sort_implIS3_Lb1EPKaPaPKlPlN2at6native12_GLOBAL__N_18offset_tEEE10hipError_tPvRmT1_PNSt15iterator_traitsISK_E10value_typeET2_T3_PNSL_ISQ_E10value_typeET4_jRbjT5_SW_jjP12ihipStream_tbEUlT_E2_NS1_11comp_targetILNS1_3genE0ELNS1_11target_archE4294967295ELNS1_3gpuE0ELNS1_3repE0EEENS1_30default_config_static_selectorELNS0_4arch9wavefront6targetE0EEEvSK_.num_agpr, 0
	.set _ZN7rocprim17ROCPRIM_400000_NS6detail17trampoline_kernelINS0_14default_configENS1_36segmented_radix_sort_config_selectorIalEEZNS1_25segmented_radix_sort_implIS3_Lb1EPKaPaPKlPlN2at6native12_GLOBAL__N_18offset_tEEE10hipError_tPvRmT1_PNSt15iterator_traitsISK_E10value_typeET2_T3_PNSL_ISQ_E10value_typeET4_jRbjT5_SW_jjP12ihipStream_tbEUlT_E2_NS1_11comp_targetILNS1_3genE0ELNS1_11target_archE4294967295ELNS1_3gpuE0ELNS1_3repE0EEENS1_30default_config_static_selectorELNS0_4arch9wavefront6targetE0EEEvSK_.numbered_sgpr, 0
	.set _ZN7rocprim17ROCPRIM_400000_NS6detail17trampoline_kernelINS0_14default_configENS1_36segmented_radix_sort_config_selectorIalEEZNS1_25segmented_radix_sort_implIS3_Lb1EPKaPaPKlPlN2at6native12_GLOBAL__N_18offset_tEEE10hipError_tPvRmT1_PNSt15iterator_traitsISK_E10value_typeET2_T3_PNSL_ISQ_E10value_typeET4_jRbjT5_SW_jjP12ihipStream_tbEUlT_E2_NS1_11comp_targetILNS1_3genE0ELNS1_11target_archE4294967295ELNS1_3gpuE0ELNS1_3repE0EEENS1_30default_config_static_selectorELNS0_4arch9wavefront6targetE0EEEvSK_.num_named_barrier, 0
	.set _ZN7rocprim17ROCPRIM_400000_NS6detail17trampoline_kernelINS0_14default_configENS1_36segmented_radix_sort_config_selectorIalEEZNS1_25segmented_radix_sort_implIS3_Lb1EPKaPaPKlPlN2at6native12_GLOBAL__N_18offset_tEEE10hipError_tPvRmT1_PNSt15iterator_traitsISK_E10value_typeET2_T3_PNSL_ISQ_E10value_typeET4_jRbjT5_SW_jjP12ihipStream_tbEUlT_E2_NS1_11comp_targetILNS1_3genE0ELNS1_11target_archE4294967295ELNS1_3gpuE0ELNS1_3repE0EEENS1_30default_config_static_selectorELNS0_4arch9wavefront6targetE0EEEvSK_.private_seg_size, 0
	.set _ZN7rocprim17ROCPRIM_400000_NS6detail17trampoline_kernelINS0_14default_configENS1_36segmented_radix_sort_config_selectorIalEEZNS1_25segmented_radix_sort_implIS3_Lb1EPKaPaPKlPlN2at6native12_GLOBAL__N_18offset_tEEE10hipError_tPvRmT1_PNSt15iterator_traitsISK_E10value_typeET2_T3_PNSL_ISQ_E10value_typeET4_jRbjT5_SW_jjP12ihipStream_tbEUlT_E2_NS1_11comp_targetILNS1_3genE0ELNS1_11target_archE4294967295ELNS1_3gpuE0ELNS1_3repE0EEENS1_30default_config_static_selectorELNS0_4arch9wavefront6targetE0EEEvSK_.uses_vcc, 0
	.set _ZN7rocprim17ROCPRIM_400000_NS6detail17trampoline_kernelINS0_14default_configENS1_36segmented_radix_sort_config_selectorIalEEZNS1_25segmented_radix_sort_implIS3_Lb1EPKaPaPKlPlN2at6native12_GLOBAL__N_18offset_tEEE10hipError_tPvRmT1_PNSt15iterator_traitsISK_E10value_typeET2_T3_PNSL_ISQ_E10value_typeET4_jRbjT5_SW_jjP12ihipStream_tbEUlT_E2_NS1_11comp_targetILNS1_3genE0ELNS1_11target_archE4294967295ELNS1_3gpuE0ELNS1_3repE0EEENS1_30default_config_static_selectorELNS0_4arch9wavefront6targetE0EEEvSK_.uses_flat_scratch, 0
	.set _ZN7rocprim17ROCPRIM_400000_NS6detail17trampoline_kernelINS0_14default_configENS1_36segmented_radix_sort_config_selectorIalEEZNS1_25segmented_radix_sort_implIS3_Lb1EPKaPaPKlPlN2at6native12_GLOBAL__N_18offset_tEEE10hipError_tPvRmT1_PNSt15iterator_traitsISK_E10value_typeET2_T3_PNSL_ISQ_E10value_typeET4_jRbjT5_SW_jjP12ihipStream_tbEUlT_E2_NS1_11comp_targetILNS1_3genE0ELNS1_11target_archE4294967295ELNS1_3gpuE0ELNS1_3repE0EEENS1_30default_config_static_selectorELNS0_4arch9wavefront6targetE0EEEvSK_.has_dyn_sized_stack, 0
	.set _ZN7rocprim17ROCPRIM_400000_NS6detail17trampoline_kernelINS0_14default_configENS1_36segmented_radix_sort_config_selectorIalEEZNS1_25segmented_radix_sort_implIS3_Lb1EPKaPaPKlPlN2at6native12_GLOBAL__N_18offset_tEEE10hipError_tPvRmT1_PNSt15iterator_traitsISK_E10value_typeET2_T3_PNSL_ISQ_E10value_typeET4_jRbjT5_SW_jjP12ihipStream_tbEUlT_E2_NS1_11comp_targetILNS1_3genE0ELNS1_11target_archE4294967295ELNS1_3gpuE0ELNS1_3repE0EEENS1_30default_config_static_selectorELNS0_4arch9wavefront6targetE0EEEvSK_.has_recursion, 0
	.set _ZN7rocprim17ROCPRIM_400000_NS6detail17trampoline_kernelINS0_14default_configENS1_36segmented_radix_sort_config_selectorIalEEZNS1_25segmented_radix_sort_implIS3_Lb1EPKaPaPKlPlN2at6native12_GLOBAL__N_18offset_tEEE10hipError_tPvRmT1_PNSt15iterator_traitsISK_E10value_typeET2_T3_PNSL_ISQ_E10value_typeET4_jRbjT5_SW_jjP12ihipStream_tbEUlT_E2_NS1_11comp_targetILNS1_3genE0ELNS1_11target_archE4294967295ELNS1_3gpuE0ELNS1_3repE0EEENS1_30default_config_static_selectorELNS0_4arch9wavefront6targetE0EEEvSK_.has_indirect_call, 0
	.section	.AMDGPU.csdata,"",@progbits
; Kernel info:
; codeLenInByte = 0
; TotalNumSgprs: 0
; NumVgprs: 0
; ScratchSize: 0
; MemoryBound: 0
; FloatMode: 240
; IeeeMode: 1
; LDSByteSize: 0 bytes/workgroup (compile time only)
; SGPRBlocks: 0
; VGPRBlocks: 0
; NumSGPRsForWavesPerEU: 1
; NumVGPRsForWavesPerEU: 1
; Occupancy: 16
; WaveLimiterHint : 0
; COMPUTE_PGM_RSRC2:SCRATCH_EN: 0
; COMPUTE_PGM_RSRC2:USER_SGPR: 6
; COMPUTE_PGM_RSRC2:TRAP_HANDLER: 0
; COMPUTE_PGM_RSRC2:TGID_X_EN: 1
; COMPUTE_PGM_RSRC2:TGID_Y_EN: 0
; COMPUTE_PGM_RSRC2:TGID_Z_EN: 0
; COMPUTE_PGM_RSRC2:TIDIG_COMP_CNT: 0
	.section	.text._ZN7rocprim17ROCPRIM_400000_NS6detail17trampoline_kernelINS0_14default_configENS1_36segmented_radix_sort_config_selectorIalEEZNS1_25segmented_radix_sort_implIS3_Lb1EPKaPaPKlPlN2at6native12_GLOBAL__N_18offset_tEEE10hipError_tPvRmT1_PNSt15iterator_traitsISK_E10value_typeET2_T3_PNSL_ISQ_E10value_typeET4_jRbjT5_SW_jjP12ihipStream_tbEUlT_E2_NS1_11comp_targetILNS1_3genE5ELNS1_11target_archE942ELNS1_3gpuE9ELNS1_3repE0EEENS1_30default_config_static_selectorELNS0_4arch9wavefront6targetE0EEEvSK_,"axG",@progbits,_ZN7rocprim17ROCPRIM_400000_NS6detail17trampoline_kernelINS0_14default_configENS1_36segmented_radix_sort_config_selectorIalEEZNS1_25segmented_radix_sort_implIS3_Lb1EPKaPaPKlPlN2at6native12_GLOBAL__N_18offset_tEEE10hipError_tPvRmT1_PNSt15iterator_traitsISK_E10value_typeET2_T3_PNSL_ISQ_E10value_typeET4_jRbjT5_SW_jjP12ihipStream_tbEUlT_E2_NS1_11comp_targetILNS1_3genE5ELNS1_11target_archE942ELNS1_3gpuE9ELNS1_3repE0EEENS1_30default_config_static_selectorELNS0_4arch9wavefront6targetE0EEEvSK_,comdat
	.globl	_ZN7rocprim17ROCPRIM_400000_NS6detail17trampoline_kernelINS0_14default_configENS1_36segmented_radix_sort_config_selectorIalEEZNS1_25segmented_radix_sort_implIS3_Lb1EPKaPaPKlPlN2at6native12_GLOBAL__N_18offset_tEEE10hipError_tPvRmT1_PNSt15iterator_traitsISK_E10value_typeET2_T3_PNSL_ISQ_E10value_typeET4_jRbjT5_SW_jjP12ihipStream_tbEUlT_E2_NS1_11comp_targetILNS1_3genE5ELNS1_11target_archE942ELNS1_3gpuE9ELNS1_3repE0EEENS1_30default_config_static_selectorELNS0_4arch9wavefront6targetE0EEEvSK_ ; -- Begin function _ZN7rocprim17ROCPRIM_400000_NS6detail17trampoline_kernelINS0_14default_configENS1_36segmented_radix_sort_config_selectorIalEEZNS1_25segmented_radix_sort_implIS3_Lb1EPKaPaPKlPlN2at6native12_GLOBAL__N_18offset_tEEE10hipError_tPvRmT1_PNSt15iterator_traitsISK_E10value_typeET2_T3_PNSL_ISQ_E10value_typeET4_jRbjT5_SW_jjP12ihipStream_tbEUlT_E2_NS1_11comp_targetILNS1_3genE5ELNS1_11target_archE942ELNS1_3gpuE9ELNS1_3repE0EEENS1_30default_config_static_selectorELNS0_4arch9wavefront6targetE0EEEvSK_
	.p2align	8
	.type	_ZN7rocprim17ROCPRIM_400000_NS6detail17trampoline_kernelINS0_14default_configENS1_36segmented_radix_sort_config_selectorIalEEZNS1_25segmented_radix_sort_implIS3_Lb1EPKaPaPKlPlN2at6native12_GLOBAL__N_18offset_tEEE10hipError_tPvRmT1_PNSt15iterator_traitsISK_E10value_typeET2_T3_PNSL_ISQ_E10value_typeET4_jRbjT5_SW_jjP12ihipStream_tbEUlT_E2_NS1_11comp_targetILNS1_3genE5ELNS1_11target_archE942ELNS1_3gpuE9ELNS1_3repE0EEENS1_30default_config_static_selectorELNS0_4arch9wavefront6targetE0EEEvSK_,@function
_ZN7rocprim17ROCPRIM_400000_NS6detail17trampoline_kernelINS0_14default_configENS1_36segmented_radix_sort_config_selectorIalEEZNS1_25segmented_radix_sort_implIS3_Lb1EPKaPaPKlPlN2at6native12_GLOBAL__N_18offset_tEEE10hipError_tPvRmT1_PNSt15iterator_traitsISK_E10value_typeET2_T3_PNSL_ISQ_E10value_typeET4_jRbjT5_SW_jjP12ihipStream_tbEUlT_E2_NS1_11comp_targetILNS1_3genE5ELNS1_11target_archE942ELNS1_3gpuE9ELNS1_3repE0EEENS1_30default_config_static_selectorELNS0_4arch9wavefront6targetE0EEEvSK_: ; @_ZN7rocprim17ROCPRIM_400000_NS6detail17trampoline_kernelINS0_14default_configENS1_36segmented_radix_sort_config_selectorIalEEZNS1_25segmented_radix_sort_implIS3_Lb1EPKaPaPKlPlN2at6native12_GLOBAL__N_18offset_tEEE10hipError_tPvRmT1_PNSt15iterator_traitsISK_E10value_typeET2_T3_PNSL_ISQ_E10value_typeET4_jRbjT5_SW_jjP12ihipStream_tbEUlT_E2_NS1_11comp_targetILNS1_3genE5ELNS1_11target_archE942ELNS1_3gpuE9ELNS1_3repE0EEENS1_30default_config_static_selectorELNS0_4arch9wavefront6targetE0EEEvSK_
; %bb.0:
	.section	.rodata,"a",@progbits
	.p2align	6, 0x0
	.amdhsa_kernel _ZN7rocprim17ROCPRIM_400000_NS6detail17trampoline_kernelINS0_14default_configENS1_36segmented_radix_sort_config_selectorIalEEZNS1_25segmented_radix_sort_implIS3_Lb1EPKaPaPKlPlN2at6native12_GLOBAL__N_18offset_tEEE10hipError_tPvRmT1_PNSt15iterator_traitsISK_E10value_typeET2_T3_PNSL_ISQ_E10value_typeET4_jRbjT5_SW_jjP12ihipStream_tbEUlT_E2_NS1_11comp_targetILNS1_3genE5ELNS1_11target_archE942ELNS1_3gpuE9ELNS1_3repE0EEENS1_30default_config_static_selectorELNS0_4arch9wavefront6targetE0EEEvSK_
		.amdhsa_group_segment_fixed_size 0
		.amdhsa_private_segment_fixed_size 0
		.amdhsa_kernarg_size 80
		.amdhsa_user_sgpr_count 6
		.amdhsa_user_sgpr_private_segment_buffer 1
		.amdhsa_user_sgpr_dispatch_ptr 0
		.amdhsa_user_sgpr_queue_ptr 0
		.amdhsa_user_sgpr_kernarg_segment_ptr 1
		.amdhsa_user_sgpr_dispatch_id 0
		.amdhsa_user_sgpr_flat_scratch_init 0
		.amdhsa_user_sgpr_private_segment_size 0
		.amdhsa_wavefront_size32 1
		.amdhsa_uses_dynamic_stack 0
		.amdhsa_system_sgpr_private_segment_wavefront_offset 0
		.amdhsa_system_sgpr_workgroup_id_x 1
		.amdhsa_system_sgpr_workgroup_id_y 0
		.amdhsa_system_sgpr_workgroup_id_z 0
		.amdhsa_system_sgpr_workgroup_info 0
		.amdhsa_system_vgpr_workitem_id 0
		.amdhsa_next_free_vgpr 1
		.amdhsa_next_free_sgpr 1
		.amdhsa_reserve_vcc 0
		.amdhsa_reserve_flat_scratch 0
		.amdhsa_float_round_mode_32 0
		.amdhsa_float_round_mode_16_64 0
		.amdhsa_float_denorm_mode_32 3
		.amdhsa_float_denorm_mode_16_64 3
		.amdhsa_dx10_clamp 1
		.amdhsa_ieee_mode 1
		.amdhsa_fp16_overflow 0
		.amdhsa_workgroup_processor_mode 1
		.amdhsa_memory_ordered 1
		.amdhsa_forward_progress 1
		.amdhsa_shared_vgpr_count 0
		.amdhsa_exception_fp_ieee_invalid_op 0
		.amdhsa_exception_fp_denorm_src 0
		.amdhsa_exception_fp_ieee_div_zero 0
		.amdhsa_exception_fp_ieee_overflow 0
		.amdhsa_exception_fp_ieee_underflow 0
		.amdhsa_exception_fp_ieee_inexact 0
		.amdhsa_exception_int_div_zero 0
	.end_amdhsa_kernel
	.section	.text._ZN7rocprim17ROCPRIM_400000_NS6detail17trampoline_kernelINS0_14default_configENS1_36segmented_radix_sort_config_selectorIalEEZNS1_25segmented_radix_sort_implIS3_Lb1EPKaPaPKlPlN2at6native12_GLOBAL__N_18offset_tEEE10hipError_tPvRmT1_PNSt15iterator_traitsISK_E10value_typeET2_T3_PNSL_ISQ_E10value_typeET4_jRbjT5_SW_jjP12ihipStream_tbEUlT_E2_NS1_11comp_targetILNS1_3genE5ELNS1_11target_archE942ELNS1_3gpuE9ELNS1_3repE0EEENS1_30default_config_static_selectorELNS0_4arch9wavefront6targetE0EEEvSK_,"axG",@progbits,_ZN7rocprim17ROCPRIM_400000_NS6detail17trampoline_kernelINS0_14default_configENS1_36segmented_radix_sort_config_selectorIalEEZNS1_25segmented_radix_sort_implIS3_Lb1EPKaPaPKlPlN2at6native12_GLOBAL__N_18offset_tEEE10hipError_tPvRmT1_PNSt15iterator_traitsISK_E10value_typeET2_T3_PNSL_ISQ_E10value_typeET4_jRbjT5_SW_jjP12ihipStream_tbEUlT_E2_NS1_11comp_targetILNS1_3genE5ELNS1_11target_archE942ELNS1_3gpuE9ELNS1_3repE0EEENS1_30default_config_static_selectorELNS0_4arch9wavefront6targetE0EEEvSK_,comdat
.Lfunc_end318:
	.size	_ZN7rocprim17ROCPRIM_400000_NS6detail17trampoline_kernelINS0_14default_configENS1_36segmented_radix_sort_config_selectorIalEEZNS1_25segmented_radix_sort_implIS3_Lb1EPKaPaPKlPlN2at6native12_GLOBAL__N_18offset_tEEE10hipError_tPvRmT1_PNSt15iterator_traitsISK_E10value_typeET2_T3_PNSL_ISQ_E10value_typeET4_jRbjT5_SW_jjP12ihipStream_tbEUlT_E2_NS1_11comp_targetILNS1_3genE5ELNS1_11target_archE942ELNS1_3gpuE9ELNS1_3repE0EEENS1_30default_config_static_selectorELNS0_4arch9wavefront6targetE0EEEvSK_, .Lfunc_end318-_ZN7rocprim17ROCPRIM_400000_NS6detail17trampoline_kernelINS0_14default_configENS1_36segmented_radix_sort_config_selectorIalEEZNS1_25segmented_radix_sort_implIS3_Lb1EPKaPaPKlPlN2at6native12_GLOBAL__N_18offset_tEEE10hipError_tPvRmT1_PNSt15iterator_traitsISK_E10value_typeET2_T3_PNSL_ISQ_E10value_typeET4_jRbjT5_SW_jjP12ihipStream_tbEUlT_E2_NS1_11comp_targetILNS1_3genE5ELNS1_11target_archE942ELNS1_3gpuE9ELNS1_3repE0EEENS1_30default_config_static_selectorELNS0_4arch9wavefront6targetE0EEEvSK_
                                        ; -- End function
	.set _ZN7rocprim17ROCPRIM_400000_NS6detail17trampoline_kernelINS0_14default_configENS1_36segmented_radix_sort_config_selectorIalEEZNS1_25segmented_radix_sort_implIS3_Lb1EPKaPaPKlPlN2at6native12_GLOBAL__N_18offset_tEEE10hipError_tPvRmT1_PNSt15iterator_traitsISK_E10value_typeET2_T3_PNSL_ISQ_E10value_typeET4_jRbjT5_SW_jjP12ihipStream_tbEUlT_E2_NS1_11comp_targetILNS1_3genE5ELNS1_11target_archE942ELNS1_3gpuE9ELNS1_3repE0EEENS1_30default_config_static_selectorELNS0_4arch9wavefront6targetE0EEEvSK_.num_vgpr, 0
	.set _ZN7rocprim17ROCPRIM_400000_NS6detail17trampoline_kernelINS0_14default_configENS1_36segmented_radix_sort_config_selectorIalEEZNS1_25segmented_radix_sort_implIS3_Lb1EPKaPaPKlPlN2at6native12_GLOBAL__N_18offset_tEEE10hipError_tPvRmT1_PNSt15iterator_traitsISK_E10value_typeET2_T3_PNSL_ISQ_E10value_typeET4_jRbjT5_SW_jjP12ihipStream_tbEUlT_E2_NS1_11comp_targetILNS1_3genE5ELNS1_11target_archE942ELNS1_3gpuE9ELNS1_3repE0EEENS1_30default_config_static_selectorELNS0_4arch9wavefront6targetE0EEEvSK_.num_agpr, 0
	.set _ZN7rocprim17ROCPRIM_400000_NS6detail17trampoline_kernelINS0_14default_configENS1_36segmented_radix_sort_config_selectorIalEEZNS1_25segmented_radix_sort_implIS3_Lb1EPKaPaPKlPlN2at6native12_GLOBAL__N_18offset_tEEE10hipError_tPvRmT1_PNSt15iterator_traitsISK_E10value_typeET2_T3_PNSL_ISQ_E10value_typeET4_jRbjT5_SW_jjP12ihipStream_tbEUlT_E2_NS1_11comp_targetILNS1_3genE5ELNS1_11target_archE942ELNS1_3gpuE9ELNS1_3repE0EEENS1_30default_config_static_selectorELNS0_4arch9wavefront6targetE0EEEvSK_.numbered_sgpr, 0
	.set _ZN7rocprim17ROCPRIM_400000_NS6detail17trampoline_kernelINS0_14default_configENS1_36segmented_radix_sort_config_selectorIalEEZNS1_25segmented_radix_sort_implIS3_Lb1EPKaPaPKlPlN2at6native12_GLOBAL__N_18offset_tEEE10hipError_tPvRmT1_PNSt15iterator_traitsISK_E10value_typeET2_T3_PNSL_ISQ_E10value_typeET4_jRbjT5_SW_jjP12ihipStream_tbEUlT_E2_NS1_11comp_targetILNS1_3genE5ELNS1_11target_archE942ELNS1_3gpuE9ELNS1_3repE0EEENS1_30default_config_static_selectorELNS0_4arch9wavefront6targetE0EEEvSK_.num_named_barrier, 0
	.set _ZN7rocprim17ROCPRIM_400000_NS6detail17trampoline_kernelINS0_14default_configENS1_36segmented_radix_sort_config_selectorIalEEZNS1_25segmented_radix_sort_implIS3_Lb1EPKaPaPKlPlN2at6native12_GLOBAL__N_18offset_tEEE10hipError_tPvRmT1_PNSt15iterator_traitsISK_E10value_typeET2_T3_PNSL_ISQ_E10value_typeET4_jRbjT5_SW_jjP12ihipStream_tbEUlT_E2_NS1_11comp_targetILNS1_3genE5ELNS1_11target_archE942ELNS1_3gpuE9ELNS1_3repE0EEENS1_30default_config_static_selectorELNS0_4arch9wavefront6targetE0EEEvSK_.private_seg_size, 0
	.set _ZN7rocprim17ROCPRIM_400000_NS6detail17trampoline_kernelINS0_14default_configENS1_36segmented_radix_sort_config_selectorIalEEZNS1_25segmented_radix_sort_implIS3_Lb1EPKaPaPKlPlN2at6native12_GLOBAL__N_18offset_tEEE10hipError_tPvRmT1_PNSt15iterator_traitsISK_E10value_typeET2_T3_PNSL_ISQ_E10value_typeET4_jRbjT5_SW_jjP12ihipStream_tbEUlT_E2_NS1_11comp_targetILNS1_3genE5ELNS1_11target_archE942ELNS1_3gpuE9ELNS1_3repE0EEENS1_30default_config_static_selectorELNS0_4arch9wavefront6targetE0EEEvSK_.uses_vcc, 0
	.set _ZN7rocprim17ROCPRIM_400000_NS6detail17trampoline_kernelINS0_14default_configENS1_36segmented_radix_sort_config_selectorIalEEZNS1_25segmented_radix_sort_implIS3_Lb1EPKaPaPKlPlN2at6native12_GLOBAL__N_18offset_tEEE10hipError_tPvRmT1_PNSt15iterator_traitsISK_E10value_typeET2_T3_PNSL_ISQ_E10value_typeET4_jRbjT5_SW_jjP12ihipStream_tbEUlT_E2_NS1_11comp_targetILNS1_3genE5ELNS1_11target_archE942ELNS1_3gpuE9ELNS1_3repE0EEENS1_30default_config_static_selectorELNS0_4arch9wavefront6targetE0EEEvSK_.uses_flat_scratch, 0
	.set _ZN7rocprim17ROCPRIM_400000_NS6detail17trampoline_kernelINS0_14default_configENS1_36segmented_radix_sort_config_selectorIalEEZNS1_25segmented_radix_sort_implIS3_Lb1EPKaPaPKlPlN2at6native12_GLOBAL__N_18offset_tEEE10hipError_tPvRmT1_PNSt15iterator_traitsISK_E10value_typeET2_T3_PNSL_ISQ_E10value_typeET4_jRbjT5_SW_jjP12ihipStream_tbEUlT_E2_NS1_11comp_targetILNS1_3genE5ELNS1_11target_archE942ELNS1_3gpuE9ELNS1_3repE0EEENS1_30default_config_static_selectorELNS0_4arch9wavefront6targetE0EEEvSK_.has_dyn_sized_stack, 0
	.set _ZN7rocprim17ROCPRIM_400000_NS6detail17trampoline_kernelINS0_14default_configENS1_36segmented_radix_sort_config_selectorIalEEZNS1_25segmented_radix_sort_implIS3_Lb1EPKaPaPKlPlN2at6native12_GLOBAL__N_18offset_tEEE10hipError_tPvRmT1_PNSt15iterator_traitsISK_E10value_typeET2_T3_PNSL_ISQ_E10value_typeET4_jRbjT5_SW_jjP12ihipStream_tbEUlT_E2_NS1_11comp_targetILNS1_3genE5ELNS1_11target_archE942ELNS1_3gpuE9ELNS1_3repE0EEENS1_30default_config_static_selectorELNS0_4arch9wavefront6targetE0EEEvSK_.has_recursion, 0
	.set _ZN7rocprim17ROCPRIM_400000_NS6detail17trampoline_kernelINS0_14default_configENS1_36segmented_radix_sort_config_selectorIalEEZNS1_25segmented_radix_sort_implIS3_Lb1EPKaPaPKlPlN2at6native12_GLOBAL__N_18offset_tEEE10hipError_tPvRmT1_PNSt15iterator_traitsISK_E10value_typeET2_T3_PNSL_ISQ_E10value_typeET4_jRbjT5_SW_jjP12ihipStream_tbEUlT_E2_NS1_11comp_targetILNS1_3genE5ELNS1_11target_archE942ELNS1_3gpuE9ELNS1_3repE0EEENS1_30default_config_static_selectorELNS0_4arch9wavefront6targetE0EEEvSK_.has_indirect_call, 0
	.section	.AMDGPU.csdata,"",@progbits
; Kernel info:
; codeLenInByte = 0
; TotalNumSgprs: 0
; NumVgprs: 0
; ScratchSize: 0
; MemoryBound: 0
; FloatMode: 240
; IeeeMode: 1
; LDSByteSize: 0 bytes/workgroup (compile time only)
; SGPRBlocks: 0
; VGPRBlocks: 0
; NumSGPRsForWavesPerEU: 1
; NumVGPRsForWavesPerEU: 1
; Occupancy: 16
; WaveLimiterHint : 0
; COMPUTE_PGM_RSRC2:SCRATCH_EN: 0
; COMPUTE_PGM_RSRC2:USER_SGPR: 6
; COMPUTE_PGM_RSRC2:TRAP_HANDLER: 0
; COMPUTE_PGM_RSRC2:TGID_X_EN: 1
; COMPUTE_PGM_RSRC2:TGID_Y_EN: 0
; COMPUTE_PGM_RSRC2:TGID_Z_EN: 0
; COMPUTE_PGM_RSRC2:TIDIG_COMP_CNT: 0
	.section	.text._ZN7rocprim17ROCPRIM_400000_NS6detail17trampoline_kernelINS0_14default_configENS1_36segmented_radix_sort_config_selectorIalEEZNS1_25segmented_radix_sort_implIS3_Lb1EPKaPaPKlPlN2at6native12_GLOBAL__N_18offset_tEEE10hipError_tPvRmT1_PNSt15iterator_traitsISK_E10value_typeET2_T3_PNSL_ISQ_E10value_typeET4_jRbjT5_SW_jjP12ihipStream_tbEUlT_E2_NS1_11comp_targetILNS1_3genE4ELNS1_11target_archE910ELNS1_3gpuE8ELNS1_3repE0EEENS1_30default_config_static_selectorELNS0_4arch9wavefront6targetE0EEEvSK_,"axG",@progbits,_ZN7rocprim17ROCPRIM_400000_NS6detail17trampoline_kernelINS0_14default_configENS1_36segmented_radix_sort_config_selectorIalEEZNS1_25segmented_radix_sort_implIS3_Lb1EPKaPaPKlPlN2at6native12_GLOBAL__N_18offset_tEEE10hipError_tPvRmT1_PNSt15iterator_traitsISK_E10value_typeET2_T3_PNSL_ISQ_E10value_typeET4_jRbjT5_SW_jjP12ihipStream_tbEUlT_E2_NS1_11comp_targetILNS1_3genE4ELNS1_11target_archE910ELNS1_3gpuE8ELNS1_3repE0EEENS1_30default_config_static_selectorELNS0_4arch9wavefront6targetE0EEEvSK_,comdat
	.globl	_ZN7rocprim17ROCPRIM_400000_NS6detail17trampoline_kernelINS0_14default_configENS1_36segmented_radix_sort_config_selectorIalEEZNS1_25segmented_radix_sort_implIS3_Lb1EPKaPaPKlPlN2at6native12_GLOBAL__N_18offset_tEEE10hipError_tPvRmT1_PNSt15iterator_traitsISK_E10value_typeET2_T3_PNSL_ISQ_E10value_typeET4_jRbjT5_SW_jjP12ihipStream_tbEUlT_E2_NS1_11comp_targetILNS1_3genE4ELNS1_11target_archE910ELNS1_3gpuE8ELNS1_3repE0EEENS1_30default_config_static_selectorELNS0_4arch9wavefront6targetE0EEEvSK_ ; -- Begin function _ZN7rocprim17ROCPRIM_400000_NS6detail17trampoline_kernelINS0_14default_configENS1_36segmented_radix_sort_config_selectorIalEEZNS1_25segmented_radix_sort_implIS3_Lb1EPKaPaPKlPlN2at6native12_GLOBAL__N_18offset_tEEE10hipError_tPvRmT1_PNSt15iterator_traitsISK_E10value_typeET2_T3_PNSL_ISQ_E10value_typeET4_jRbjT5_SW_jjP12ihipStream_tbEUlT_E2_NS1_11comp_targetILNS1_3genE4ELNS1_11target_archE910ELNS1_3gpuE8ELNS1_3repE0EEENS1_30default_config_static_selectorELNS0_4arch9wavefront6targetE0EEEvSK_
	.p2align	8
	.type	_ZN7rocprim17ROCPRIM_400000_NS6detail17trampoline_kernelINS0_14default_configENS1_36segmented_radix_sort_config_selectorIalEEZNS1_25segmented_radix_sort_implIS3_Lb1EPKaPaPKlPlN2at6native12_GLOBAL__N_18offset_tEEE10hipError_tPvRmT1_PNSt15iterator_traitsISK_E10value_typeET2_T3_PNSL_ISQ_E10value_typeET4_jRbjT5_SW_jjP12ihipStream_tbEUlT_E2_NS1_11comp_targetILNS1_3genE4ELNS1_11target_archE910ELNS1_3gpuE8ELNS1_3repE0EEENS1_30default_config_static_selectorELNS0_4arch9wavefront6targetE0EEEvSK_,@function
_ZN7rocprim17ROCPRIM_400000_NS6detail17trampoline_kernelINS0_14default_configENS1_36segmented_radix_sort_config_selectorIalEEZNS1_25segmented_radix_sort_implIS3_Lb1EPKaPaPKlPlN2at6native12_GLOBAL__N_18offset_tEEE10hipError_tPvRmT1_PNSt15iterator_traitsISK_E10value_typeET2_T3_PNSL_ISQ_E10value_typeET4_jRbjT5_SW_jjP12ihipStream_tbEUlT_E2_NS1_11comp_targetILNS1_3genE4ELNS1_11target_archE910ELNS1_3gpuE8ELNS1_3repE0EEENS1_30default_config_static_selectorELNS0_4arch9wavefront6targetE0EEEvSK_: ; @_ZN7rocprim17ROCPRIM_400000_NS6detail17trampoline_kernelINS0_14default_configENS1_36segmented_radix_sort_config_selectorIalEEZNS1_25segmented_radix_sort_implIS3_Lb1EPKaPaPKlPlN2at6native12_GLOBAL__N_18offset_tEEE10hipError_tPvRmT1_PNSt15iterator_traitsISK_E10value_typeET2_T3_PNSL_ISQ_E10value_typeET4_jRbjT5_SW_jjP12ihipStream_tbEUlT_E2_NS1_11comp_targetILNS1_3genE4ELNS1_11target_archE910ELNS1_3gpuE8ELNS1_3repE0EEENS1_30default_config_static_selectorELNS0_4arch9wavefront6targetE0EEEvSK_
; %bb.0:
	.section	.rodata,"a",@progbits
	.p2align	6, 0x0
	.amdhsa_kernel _ZN7rocprim17ROCPRIM_400000_NS6detail17trampoline_kernelINS0_14default_configENS1_36segmented_radix_sort_config_selectorIalEEZNS1_25segmented_radix_sort_implIS3_Lb1EPKaPaPKlPlN2at6native12_GLOBAL__N_18offset_tEEE10hipError_tPvRmT1_PNSt15iterator_traitsISK_E10value_typeET2_T3_PNSL_ISQ_E10value_typeET4_jRbjT5_SW_jjP12ihipStream_tbEUlT_E2_NS1_11comp_targetILNS1_3genE4ELNS1_11target_archE910ELNS1_3gpuE8ELNS1_3repE0EEENS1_30default_config_static_selectorELNS0_4arch9wavefront6targetE0EEEvSK_
		.amdhsa_group_segment_fixed_size 0
		.amdhsa_private_segment_fixed_size 0
		.amdhsa_kernarg_size 80
		.amdhsa_user_sgpr_count 6
		.amdhsa_user_sgpr_private_segment_buffer 1
		.amdhsa_user_sgpr_dispatch_ptr 0
		.amdhsa_user_sgpr_queue_ptr 0
		.amdhsa_user_sgpr_kernarg_segment_ptr 1
		.amdhsa_user_sgpr_dispatch_id 0
		.amdhsa_user_sgpr_flat_scratch_init 0
		.amdhsa_user_sgpr_private_segment_size 0
		.amdhsa_wavefront_size32 1
		.amdhsa_uses_dynamic_stack 0
		.amdhsa_system_sgpr_private_segment_wavefront_offset 0
		.amdhsa_system_sgpr_workgroup_id_x 1
		.amdhsa_system_sgpr_workgroup_id_y 0
		.amdhsa_system_sgpr_workgroup_id_z 0
		.amdhsa_system_sgpr_workgroup_info 0
		.amdhsa_system_vgpr_workitem_id 0
		.amdhsa_next_free_vgpr 1
		.amdhsa_next_free_sgpr 1
		.amdhsa_reserve_vcc 0
		.amdhsa_reserve_flat_scratch 0
		.amdhsa_float_round_mode_32 0
		.amdhsa_float_round_mode_16_64 0
		.amdhsa_float_denorm_mode_32 3
		.amdhsa_float_denorm_mode_16_64 3
		.amdhsa_dx10_clamp 1
		.amdhsa_ieee_mode 1
		.amdhsa_fp16_overflow 0
		.amdhsa_workgroup_processor_mode 1
		.amdhsa_memory_ordered 1
		.amdhsa_forward_progress 1
		.amdhsa_shared_vgpr_count 0
		.amdhsa_exception_fp_ieee_invalid_op 0
		.amdhsa_exception_fp_denorm_src 0
		.amdhsa_exception_fp_ieee_div_zero 0
		.amdhsa_exception_fp_ieee_overflow 0
		.amdhsa_exception_fp_ieee_underflow 0
		.amdhsa_exception_fp_ieee_inexact 0
		.amdhsa_exception_int_div_zero 0
	.end_amdhsa_kernel
	.section	.text._ZN7rocprim17ROCPRIM_400000_NS6detail17trampoline_kernelINS0_14default_configENS1_36segmented_radix_sort_config_selectorIalEEZNS1_25segmented_radix_sort_implIS3_Lb1EPKaPaPKlPlN2at6native12_GLOBAL__N_18offset_tEEE10hipError_tPvRmT1_PNSt15iterator_traitsISK_E10value_typeET2_T3_PNSL_ISQ_E10value_typeET4_jRbjT5_SW_jjP12ihipStream_tbEUlT_E2_NS1_11comp_targetILNS1_3genE4ELNS1_11target_archE910ELNS1_3gpuE8ELNS1_3repE0EEENS1_30default_config_static_selectorELNS0_4arch9wavefront6targetE0EEEvSK_,"axG",@progbits,_ZN7rocprim17ROCPRIM_400000_NS6detail17trampoline_kernelINS0_14default_configENS1_36segmented_radix_sort_config_selectorIalEEZNS1_25segmented_radix_sort_implIS3_Lb1EPKaPaPKlPlN2at6native12_GLOBAL__N_18offset_tEEE10hipError_tPvRmT1_PNSt15iterator_traitsISK_E10value_typeET2_T3_PNSL_ISQ_E10value_typeET4_jRbjT5_SW_jjP12ihipStream_tbEUlT_E2_NS1_11comp_targetILNS1_3genE4ELNS1_11target_archE910ELNS1_3gpuE8ELNS1_3repE0EEENS1_30default_config_static_selectorELNS0_4arch9wavefront6targetE0EEEvSK_,comdat
.Lfunc_end319:
	.size	_ZN7rocprim17ROCPRIM_400000_NS6detail17trampoline_kernelINS0_14default_configENS1_36segmented_radix_sort_config_selectorIalEEZNS1_25segmented_radix_sort_implIS3_Lb1EPKaPaPKlPlN2at6native12_GLOBAL__N_18offset_tEEE10hipError_tPvRmT1_PNSt15iterator_traitsISK_E10value_typeET2_T3_PNSL_ISQ_E10value_typeET4_jRbjT5_SW_jjP12ihipStream_tbEUlT_E2_NS1_11comp_targetILNS1_3genE4ELNS1_11target_archE910ELNS1_3gpuE8ELNS1_3repE0EEENS1_30default_config_static_selectorELNS0_4arch9wavefront6targetE0EEEvSK_, .Lfunc_end319-_ZN7rocprim17ROCPRIM_400000_NS6detail17trampoline_kernelINS0_14default_configENS1_36segmented_radix_sort_config_selectorIalEEZNS1_25segmented_radix_sort_implIS3_Lb1EPKaPaPKlPlN2at6native12_GLOBAL__N_18offset_tEEE10hipError_tPvRmT1_PNSt15iterator_traitsISK_E10value_typeET2_T3_PNSL_ISQ_E10value_typeET4_jRbjT5_SW_jjP12ihipStream_tbEUlT_E2_NS1_11comp_targetILNS1_3genE4ELNS1_11target_archE910ELNS1_3gpuE8ELNS1_3repE0EEENS1_30default_config_static_selectorELNS0_4arch9wavefront6targetE0EEEvSK_
                                        ; -- End function
	.set _ZN7rocprim17ROCPRIM_400000_NS6detail17trampoline_kernelINS0_14default_configENS1_36segmented_radix_sort_config_selectorIalEEZNS1_25segmented_radix_sort_implIS3_Lb1EPKaPaPKlPlN2at6native12_GLOBAL__N_18offset_tEEE10hipError_tPvRmT1_PNSt15iterator_traitsISK_E10value_typeET2_T3_PNSL_ISQ_E10value_typeET4_jRbjT5_SW_jjP12ihipStream_tbEUlT_E2_NS1_11comp_targetILNS1_3genE4ELNS1_11target_archE910ELNS1_3gpuE8ELNS1_3repE0EEENS1_30default_config_static_selectorELNS0_4arch9wavefront6targetE0EEEvSK_.num_vgpr, 0
	.set _ZN7rocprim17ROCPRIM_400000_NS6detail17trampoline_kernelINS0_14default_configENS1_36segmented_radix_sort_config_selectorIalEEZNS1_25segmented_radix_sort_implIS3_Lb1EPKaPaPKlPlN2at6native12_GLOBAL__N_18offset_tEEE10hipError_tPvRmT1_PNSt15iterator_traitsISK_E10value_typeET2_T3_PNSL_ISQ_E10value_typeET4_jRbjT5_SW_jjP12ihipStream_tbEUlT_E2_NS1_11comp_targetILNS1_3genE4ELNS1_11target_archE910ELNS1_3gpuE8ELNS1_3repE0EEENS1_30default_config_static_selectorELNS0_4arch9wavefront6targetE0EEEvSK_.num_agpr, 0
	.set _ZN7rocprim17ROCPRIM_400000_NS6detail17trampoline_kernelINS0_14default_configENS1_36segmented_radix_sort_config_selectorIalEEZNS1_25segmented_radix_sort_implIS3_Lb1EPKaPaPKlPlN2at6native12_GLOBAL__N_18offset_tEEE10hipError_tPvRmT1_PNSt15iterator_traitsISK_E10value_typeET2_T3_PNSL_ISQ_E10value_typeET4_jRbjT5_SW_jjP12ihipStream_tbEUlT_E2_NS1_11comp_targetILNS1_3genE4ELNS1_11target_archE910ELNS1_3gpuE8ELNS1_3repE0EEENS1_30default_config_static_selectorELNS0_4arch9wavefront6targetE0EEEvSK_.numbered_sgpr, 0
	.set _ZN7rocprim17ROCPRIM_400000_NS6detail17trampoline_kernelINS0_14default_configENS1_36segmented_radix_sort_config_selectorIalEEZNS1_25segmented_radix_sort_implIS3_Lb1EPKaPaPKlPlN2at6native12_GLOBAL__N_18offset_tEEE10hipError_tPvRmT1_PNSt15iterator_traitsISK_E10value_typeET2_T3_PNSL_ISQ_E10value_typeET4_jRbjT5_SW_jjP12ihipStream_tbEUlT_E2_NS1_11comp_targetILNS1_3genE4ELNS1_11target_archE910ELNS1_3gpuE8ELNS1_3repE0EEENS1_30default_config_static_selectorELNS0_4arch9wavefront6targetE0EEEvSK_.num_named_barrier, 0
	.set _ZN7rocprim17ROCPRIM_400000_NS6detail17trampoline_kernelINS0_14default_configENS1_36segmented_radix_sort_config_selectorIalEEZNS1_25segmented_radix_sort_implIS3_Lb1EPKaPaPKlPlN2at6native12_GLOBAL__N_18offset_tEEE10hipError_tPvRmT1_PNSt15iterator_traitsISK_E10value_typeET2_T3_PNSL_ISQ_E10value_typeET4_jRbjT5_SW_jjP12ihipStream_tbEUlT_E2_NS1_11comp_targetILNS1_3genE4ELNS1_11target_archE910ELNS1_3gpuE8ELNS1_3repE0EEENS1_30default_config_static_selectorELNS0_4arch9wavefront6targetE0EEEvSK_.private_seg_size, 0
	.set _ZN7rocprim17ROCPRIM_400000_NS6detail17trampoline_kernelINS0_14default_configENS1_36segmented_radix_sort_config_selectorIalEEZNS1_25segmented_radix_sort_implIS3_Lb1EPKaPaPKlPlN2at6native12_GLOBAL__N_18offset_tEEE10hipError_tPvRmT1_PNSt15iterator_traitsISK_E10value_typeET2_T3_PNSL_ISQ_E10value_typeET4_jRbjT5_SW_jjP12ihipStream_tbEUlT_E2_NS1_11comp_targetILNS1_3genE4ELNS1_11target_archE910ELNS1_3gpuE8ELNS1_3repE0EEENS1_30default_config_static_selectorELNS0_4arch9wavefront6targetE0EEEvSK_.uses_vcc, 0
	.set _ZN7rocprim17ROCPRIM_400000_NS6detail17trampoline_kernelINS0_14default_configENS1_36segmented_radix_sort_config_selectorIalEEZNS1_25segmented_radix_sort_implIS3_Lb1EPKaPaPKlPlN2at6native12_GLOBAL__N_18offset_tEEE10hipError_tPvRmT1_PNSt15iterator_traitsISK_E10value_typeET2_T3_PNSL_ISQ_E10value_typeET4_jRbjT5_SW_jjP12ihipStream_tbEUlT_E2_NS1_11comp_targetILNS1_3genE4ELNS1_11target_archE910ELNS1_3gpuE8ELNS1_3repE0EEENS1_30default_config_static_selectorELNS0_4arch9wavefront6targetE0EEEvSK_.uses_flat_scratch, 0
	.set _ZN7rocprim17ROCPRIM_400000_NS6detail17trampoline_kernelINS0_14default_configENS1_36segmented_radix_sort_config_selectorIalEEZNS1_25segmented_radix_sort_implIS3_Lb1EPKaPaPKlPlN2at6native12_GLOBAL__N_18offset_tEEE10hipError_tPvRmT1_PNSt15iterator_traitsISK_E10value_typeET2_T3_PNSL_ISQ_E10value_typeET4_jRbjT5_SW_jjP12ihipStream_tbEUlT_E2_NS1_11comp_targetILNS1_3genE4ELNS1_11target_archE910ELNS1_3gpuE8ELNS1_3repE0EEENS1_30default_config_static_selectorELNS0_4arch9wavefront6targetE0EEEvSK_.has_dyn_sized_stack, 0
	.set _ZN7rocprim17ROCPRIM_400000_NS6detail17trampoline_kernelINS0_14default_configENS1_36segmented_radix_sort_config_selectorIalEEZNS1_25segmented_radix_sort_implIS3_Lb1EPKaPaPKlPlN2at6native12_GLOBAL__N_18offset_tEEE10hipError_tPvRmT1_PNSt15iterator_traitsISK_E10value_typeET2_T3_PNSL_ISQ_E10value_typeET4_jRbjT5_SW_jjP12ihipStream_tbEUlT_E2_NS1_11comp_targetILNS1_3genE4ELNS1_11target_archE910ELNS1_3gpuE8ELNS1_3repE0EEENS1_30default_config_static_selectorELNS0_4arch9wavefront6targetE0EEEvSK_.has_recursion, 0
	.set _ZN7rocprim17ROCPRIM_400000_NS6detail17trampoline_kernelINS0_14default_configENS1_36segmented_radix_sort_config_selectorIalEEZNS1_25segmented_radix_sort_implIS3_Lb1EPKaPaPKlPlN2at6native12_GLOBAL__N_18offset_tEEE10hipError_tPvRmT1_PNSt15iterator_traitsISK_E10value_typeET2_T3_PNSL_ISQ_E10value_typeET4_jRbjT5_SW_jjP12ihipStream_tbEUlT_E2_NS1_11comp_targetILNS1_3genE4ELNS1_11target_archE910ELNS1_3gpuE8ELNS1_3repE0EEENS1_30default_config_static_selectorELNS0_4arch9wavefront6targetE0EEEvSK_.has_indirect_call, 0
	.section	.AMDGPU.csdata,"",@progbits
; Kernel info:
; codeLenInByte = 0
; TotalNumSgprs: 0
; NumVgprs: 0
; ScratchSize: 0
; MemoryBound: 0
; FloatMode: 240
; IeeeMode: 1
; LDSByteSize: 0 bytes/workgroup (compile time only)
; SGPRBlocks: 0
; VGPRBlocks: 0
; NumSGPRsForWavesPerEU: 1
; NumVGPRsForWavesPerEU: 1
; Occupancy: 16
; WaveLimiterHint : 0
; COMPUTE_PGM_RSRC2:SCRATCH_EN: 0
; COMPUTE_PGM_RSRC2:USER_SGPR: 6
; COMPUTE_PGM_RSRC2:TRAP_HANDLER: 0
; COMPUTE_PGM_RSRC2:TGID_X_EN: 1
; COMPUTE_PGM_RSRC2:TGID_Y_EN: 0
; COMPUTE_PGM_RSRC2:TGID_Z_EN: 0
; COMPUTE_PGM_RSRC2:TIDIG_COMP_CNT: 0
	.section	.text._ZN7rocprim17ROCPRIM_400000_NS6detail17trampoline_kernelINS0_14default_configENS1_36segmented_radix_sort_config_selectorIalEEZNS1_25segmented_radix_sort_implIS3_Lb1EPKaPaPKlPlN2at6native12_GLOBAL__N_18offset_tEEE10hipError_tPvRmT1_PNSt15iterator_traitsISK_E10value_typeET2_T3_PNSL_ISQ_E10value_typeET4_jRbjT5_SW_jjP12ihipStream_tbEUlT_E2_NS1_11comp_targetILNS1_3genE3ELNS1_11target_archE908ELNS1_3gpuE7ELNS1_3repE0EEENS1_30default_config_static_selectorELNS0_4arch9wavefront6targetE0EEEvSK_,"axG",@progbits,_ZN7rocprim17ROCPRIM_400000_NS6detail17trampoline_kernelINS0_14default_configENS1_36segmented_radix_sort_config_selectorIalEEZNS1_25segmented_radix_sort_implIS3_Lb1EPKaPaPKlPlN2at6native12_GLOBAL__N_18offset_tEEE10hipError_tPvRmT1_PNSt15iterator_traitsISK_E10value_typeET2_T3_PNSL_ISQ_E10value_typeET4_jRbjT5_SW_jjP12ihipStream_tbEUlT_E2_NS1_11comp_targetILNS1_3genE3ELNS1_11target_archE908ELNS1_3gpuE7ELNS1_3repE0EEENS1_30default_config_static_selectorELNS0_4arch9wavefront6targetE0EEEvSK_,comdat
	.globl	_ZN7rocprim17ROCPRIM_400000_NS6detail17trampoline_kernelINS0_14default_configENS1_36segmented_radix_sort_config_selectorIalEEZNS1_25segmented_radix_sort_implIS3_Lb1EPKaPaPKlPlN2at6native12_GLOBAL__N_18offset_tEEE10hipError_tPvRmT1_PNSt15iterator_traitsISK_E10value_typeET2_T3_PNSL_ISQ_E10value_typeET4_jRbjT5_SW_jjP12ihipStream_tbEUlT_E2_NS1_11comp_targetILNS1_3genE3ELNS1_11target_archE908ELNS1_3gpuE7ELNS1_3repE0EEENS1_30default_config_static_selectorELNS0_4arch9wavefront6targetE0EEEvSK_ ; -- Begin function _ZN7rocprim17ROCPRIM_400000_NS6detail17trampoline_kernelINS0_14default_configENS1_36segmented_radix_sort_config_selectorIalEEZNS1_25segmented_radix_sort_implIS3_Lb1EPKaPaPKlPlN2at6native12_GLOBAL__N_18offset_tEEE10hipError_tPvRmT1_PNSt15iterator_traitsISK_E10value_typeET2_T3_PNSL_ISQ_E10value_typeET4_jRbjT5_SW_jjP12ihipStream_tbEUlT_E2_NS1_11comp_targetILNS1_3genE3ELNS1_11target_archE908ELNS1_3gpuE7ELNS1_3repE0EEENS1_30default_config_static_selectorELNS0_4arch9wavefront6targetE0EEEvSK_
	.p2align	8
	.type	_ZN7rocprim17ROCPRIM_400000_NS6detail17trampoline_kernelINS0_14default_configENS1_36segmented_radix_sort_config_selectorIalEEZNS1_25segmented_radix_sort_implIS3_Lb1EPKaPaPKlPlN2at6native12_GLOBAL__N_18offset_tEEE10hipError_tPvRmT1_PNSt15iterator_traitsISK_E10value_typeET2_T3_PNSL_ISQ_E10value_typeET4_jRbjT5_SW_jjP12ihipStream_tbEUlT_E2_NS1_11comp_targetILNS1_3genE3ELNS1_11target_archE908ELNS1_3gpuE7ELNS1_3repE0EEENS1_30default_config_static_selectorELNS0_4arch9wavefront6targetE0EEEvSK_,@function
_ZN7rocprim17ROCPRIM_400000_NS6detail17trampoline_kernelINS0_14default_configENS1_36segmented_radix_sort_config_selectorIalEEZNS1_25segmented_radix_sort_implIS3_Lb1EPKaPaPKlPlN2at6native12_GLOBAL__N_18offset_tEEE10hipError_tPvRmT1_PNSt15iterator_traitsISK_E10value_typeET2_T3_PNSL_ISQ_E10value_typeET4_jRbjT5_SW_jjP12ihipStream_tbEUlT_E2_NS1_11comp_targetILNS1_3genE3ELNS1_11target_archE908ELNS1_3gpuE7ELNS1_3repE0EEENS1_30default_config_static_selectorELNS0_4arch9wavefront6targetE0EEEvSK_: ; @_ZN7rocprim17ROCPRIM_400000_NS6detail17trampoline_kernelINS0_14default_configENS1_36segmented_radix_sort_config_selectorIalEEZNS1_25segmented_radix_sort_implIS3_Lb1EPKaPaPKlPlN2at6native12_GLOBAL__N_18offset_tEEE10hipError_tPvRmT1_PNSt15iterator_traitsISK_E10value_typeET2_T3_PNSL_ISQ_E10value_typeET4_jRbjT5_SW_jjP12ihipStream_tbEUlT_E2_NS1_11comp_targetILNS1_3genE3ELNS1_11target_archE908ELNS1_3gpuE7ELNS1_3repE0EEENS1_30default_config_static_selectorELNS0_4arch9wavefront6targetE0EEEvSK_
; %bb.0:
	.section	.rodata,"a",@progbits
	.p2align	6, 0x0
	.amdhsa_kernel _ZN7rocprim17ROCPRIM_400000_NS6detail17trampoline_kernelINS0_14default_configENS1_36segmented_radix_sort_config_selectorIalEEZNS1_25segmented_radix_sort_implIS3_Lb1EPKaPaPKlPlN2at6native12_GLOBAL__N_18offset_tEEE10hipError_tPvRmT1_PNSt15iterator_traitsISK_E10value_typeET2_T3_PNSL_ISQ_E10value_typeET4_jRbjT5_SW_jjP12ihipStream_tbEUlT_E2_NS1_11comp_targetILNS1_3genE3ELNS1_11target_archE908ELNS1_3gpuE7ELNS1_3repE0EEENS1_30default_config_static_selectorELNS0_4arch9wavefront6targetE0EEEvSK_
		.amdhsa_group_segment_fixed_size 0
		.amdhsa_private_segment_fixed_size 0
		.amdhsa_kernarg_size 80
		.amdhsa_user_sgpr_count 6
		.amdhsa_user_sgpr_private_segment_buffer 1
		.amdhsa_user_sgpr_dispatch_ptr 0
		.amdhsa_user_sgpr_queue_ptr 0
		.amdhsa_user_sgpr_kernarg_segment_ptr 1
		.amdhsa_user_sgpr_dispatch_id 0
		.amdhsa_user_sgpr_flat_scratch_init 0
		.amdhsa_user_sgpr_private_segment_size 0
		.amdhsa_wavefront_size32 1
		.amdhsa_uses_dynamic_stack 0
		.amdhsa_system_sgpr_private_segment_wavefront_offset 0
		.amdhsa_system_sgpr_workgroup_id_x 1
		.amdhsa_system_sgpr_workgroup_id_y 0
		.amdhsa_system_sgpr_workgroup_id_z 0
		.amdhsa_system_sgpr_workgroup_info 0
		.amdhsa_system_vgpr_workitem_id 0
		.amdhsa_next_free_vgpr 1
		.amdhsa_next_free_sgpr 1
		.amdhsa_reserve_vcc 0
		.amdhsa_reserve_flat_scratch 0
		.amdhsa_float_round_mode_32 0
		.amdhsa_float_round_mode_16_64 0
		.amdhsa_float_denorm_mode_32 3
		.amdhsa_float_denorm_mode_16_64 3
		.amdhsa_dx10_clamp 1
		.amdhsa_ieee_mode 1
		.amdhsa_fp16_overflow 0
		.amdhsa_workgroup_processor_mode 1
		.amdhsa_memory_ordered 1
		.amdhsa_forward_progress 1
		.amdhsa_shared_vgpr_count 0
		.amdhsa_exception_fp_ieee_invalid_op 0
		.amdhsa_exception_fp_denorm_src 0
		.amdhsa_exception_fp_ieee_div_zero 0
		.amdhsa_exception_fp_ieee_overflow 0
		.amdhsa_exception_fp_ieee_underflow 0
		.amdhsa_exception_fp_ieee_inexact 0
		.amdhsa_exception_int_div_zero 0
	.end_amdhsa_kernel
	.section	.text._ZN7rocprim17ROCPRIM_400000_NS6detail17trampoline_kernelINS0_14default_configENS1_36segmented_radix_sort_config_selectorIalEEZNS1_25segmented_radix_sort_implIS3_Lb1EPKaPaPKlPlN2at6native12_GLOBAL__N_18offset_tEEE10hipError_tPvRmT1_PNSt15iterator_traitsISK_E10value_typeET2_T3_PNSL_ISQ_E10value_typeET4_jRbjT5_SW_jjP12ihipStream_tbEUlT_E2_NS1_11comp_targetILNS1_3genE3ELNS1_11target_archE908ELNS1_3gpuE7ELNS1_3repE0EEENS1_30default_config_static_selectorELNS0_4arch9wavefront6targetE0EEEvSK_,"axG",@progbits,_ZN7rocprim17ROCPRIM_400000_NS6detail17trampoline_kernelINS0_14default_configENS1_36segmented_radix_sort_config_selectorIalEEZNS1_25segmented_radix_sort_implIS3_Lb1EPKaPaPKlPlN2at6native12_GLOBAL__N_18offset_tEEE10hipError_tPvRmT1_PNSt15iterator_traitsISK_E10value_typeET2_T3_PNSL_ISQ_E10value_typeET4_jRbjT5_SW_jjP12ihipStream_tbEUlT_E2_NS1_11comp_targetILNS1_3genE3ELNS1_11target_archE908ELNS1_3gpuE7ELNS1_3repE0EEENS1_30default_config_static_selectorELNS0_4arch9wavefront6targetE0EEEvSK_,comdat
.Lfunc_end320:
	.size	_ZN7rocprim17ROCPRIM_400000_NS6detail17trampoline_kernelINS0_14default_configENS1_36segmented_radix_sort_config_selectorIalEEZNS1_25segmented_radix_sort_implIS3_Lb1EPKaPaPKlPlN2at6native12_GLOBAL__N_18offset_tEEE10hipError_tPvRmT1_PNSt15iterator_traitsISK_E10value_typeET2_T3_PNSL_ISQ_E10value_typeET4_jRbjT5_SW_jjP12ihipStream_tbEUlT_E2_NS1_11comp_targetILNS1_3genE3ELNS1_11target_archE908ELNS1_3gpuE7ELNS1_3repE0EEENS1_30default_config_static_selectorELNS0_4arch9wavefront6targetE0EEEvSK_, .Lfunc_end320-_ZN7rocprim17ROCPRIM_400000_NS6detail17trampoline_kernelINS0_14default_configENS1_36segmented_radix_sort_config_selectorIalEEZNS1_25segmented_radix_sort_implIS3_Lb1EPKaPaPKlPlN2at6native12_GLOBAL__N_18offset_tEEE10hipError_tPvRmT1_PNSt15iterator_traitsISK_E10value_typeET2_T3_PNSL_ISQ_E10value_typeET4_jRbjT5_SW_jjP12ihipStream_tbEUlT_E2_NS1_11comp_targetILNS1_3genE3ELNS1_11target_archE908ELNS1_3gpuE7ELNS1_3repE0EEENS1_30default_config_static_selectorELNS0_4arch9wavefront6targetE0EEEvSK_
                                        ; -- End function
	.set _ZN7rocprim17ROCPRIM_400000_NS6detail17trampoline_kernelINS0_14default_configENS1_36segmented_radix_sort_config_selectorIalEEZNS1_25segmented_radix_sort_implIS3_Lb1EPKaPaPKlPlN2at6native12_GLOBAL__N_18offset_tEEE10hipError_tPvRmT1_PNSt15iterator_traitsISK_E10value_typeET2_T3_PNSL_ISQ_E10value_typeET4_jRbjT5_SW_jjP12ihipStream_tbEUlT_E2_NS1_11comp_targetILNS1_3genE3ELNS1_11target_archE908ELNS1_3gpuE7ELNS1_3repE0EEENS1_30default_config_static_selectorELNS0_4arch9wavefront6targetE0EEEvSK_.num_vgpr, 0
	.set _ZN7rocprim17ROCPRIM_400000_NS6detail17trampoline_kernelINS0_14default_configENS1_36segmented_radix_sort_config_selectorIalEEZNS1_25segmented_radix_sort_implIS3_Lb1EPKaPaPKlPlN2at6native12_GLOBAL__N_18offset_tEEE10hipError_tPvRmT1_PNSt15iterator_traitsISK_E10value_typeET2_T3_PNSL_ISQ_E10value_typeET4_jRbjT5_SW_jjP12ihipStream_tbEUlT_E2_NS1_11comp_targetILNS1_3genE3ELNS1_11target_archE908ELNS1_3gpuE7ELNS1_3repE0EEENS1_30default_config_static_selectorELNS0_4arch9wavefront6targetE0EEEvSK_.num_agpr, 0
	.set _ZN7rocprim17ROCPRIM_400000_NS6detail17trampoline_kernelINS0_14default_configENS1_36segmented_radix_sort_config_selectorIalEEZNS1_25segmented_radix_sort_implIS3_Lb1EPKaPaPKlPlN2at6native12_GLOBAL__N_18offset_tEEE10hipError_tPvRmT1_PNSt15iterator_traitsISK_E10value_typeET2_T3_PNSL_ISQ_E10value_typeET4_jRbjT5_SW_jjP12ihipStream_tbEUlT_E2_NS1_11comp_targetILNS1_3genE3ELNS1_11target_archE908ELNS1_3gpuE7ELNS1_3repE0EEENS1_30default_config_static_selectorELNS0_4arch9wavefront6targetE0EEEvSK_.numbered_sgpr, 0
	.set _ZN7rocprim17ROCPRIM_400000_NS6detail17trampoline_kernelINS0_14default_configENS1_36segmented_radix_sort_config_selectorIalEEZNS1_25segmented_radix_sort_implIS3_Lb1EPKaPaPKlPlN2at6native12_GLOBAL__N_18offset_tEEE10hipError_tPvRmT1_PNSt15iterator_traitsISK_E10value_typeET2_T3_PNSL_ISQ_E10value_typeET4_jRbjT5_SW_jjP12ihipStream_tbEUlT_E2_NS1_11comp_targetILNS1_3genE3ELNS1_11target_archE908ELNS1_3gpuE7ELNS1_3repE0EEENS1_30default_config_static_selectorELNS0_4arch9wavefront6targetE0EEEvSK_.num_named_barrier, 0
	.set _ZN7rocprim17ROCPRIM_400000_NS6detail17trampoline_kernelINS0_14default_configENS1_36segmented_radix_sort_config_selectorIalEEZNS1_25segmented_radix_sort_implIS3_Lb1EPKaPaPKlPlN2at6native12_GLOBAL__N_18offset_tEEE10hipError_tPvRmT1_PNSt15iterator_traitsISK_E10value_typeET2_T3_PNSL_ISQ_E10value_typeET4_jRbjT5_SW_jjP12ihipStream_tbEUlT_E2_NS1_11comp_targetILNS1_3genE3ELNS1_11target_archE908ELNS1_3gpuE7ELNS1_3repE0EEENS1_30default_config_static_selectorELNS0_4arch9wavefront6targetE0EEEvSK_.private_seg_size, 0
	.set _ZN7rocprim17ROCPRIM_400000_NS6detail17trampoline_kernelINS0_14default_configENS1_36segmented_radix_sort_config_selectorIalEEZNS1_25segmented_radix_sort_implIS3_Lb1EPKaPaPKlPlN2at6native12_GLOBAL__N_18offset_tEEE10hipError_tPvRmT1_PNSt15iterator_traitsISK_E10value_typeET2_T3_PNSL_ISQ_E10value_typeET4_jRbjT5_SW_jjP12ihipStream_tbEUlT_E2_NS1_11comp_targetILNS1_3genE3ELNS1_11target_archE908ELNS1_3gpuE7ELNS1_3repE0EEENS1_30default_config_static_selectorELNS0_4arch9wavefront6targetE0EEEvSK_.uses_vcc, 0
	.set _ZN7rocprim17ROCPRIM_400000_NS6detail17trampoline_kernelINS0_14default_configENS1_36segmented_radix_sort_config_selectorIalEEZNS1_25segmented_radix_sort_implIS3_Lb1EPKaPaPKlPlN2at6native12_GLOBAL__N_18offset_tEEE10hipError_tPvRmT1_PNSt15iterator_traitsISK_E10value_typeET2_T3_PNSL_ISQ_E10value_typeET4_jRbjT5_SW_jjP12ihipStream_tbEUlT_E2_NS1_11comp_targetILNS1_3genE3ELNS1_11target_archE908ELNS1_3gpuE7ELNS1_3repE0EEENS1_30default_config_static_selectorELNS0_4arch9wavefront6targetE0EEEvSK_.uses_flat_scratch, 0
	.set _ZN7rocprim17ROCPRIM_400000_NS6detail17trampoline_kernelINS0_14default_configENS1_36segmented_radix_sort_config_selectorIalEEZNS1_25segmented_radix_sort_implIS3_Lb1EPKaPaPKlPlN2at6native12_GLOBAL__N_18offset_tEEE10hipError_tPvRmT1_PNSt15iterator_traitsISK_E10value_typeET2_T3_PNSL_ISQ_E10value_typeET4_jRbjT5_SW_jjP12ihipStream_tbEUlT_E2_NS1_11comp_targetILNS1_3genE3ELNS1_11target_archE908ELNS1_3gpuE7ELNS1_3repE0EEENS1_30default_config_static_selectorELNS0_4arch9wavefront6targetE0EEEvSK_.has_dyn_sized_stack, 0
	.set _ZN7rocprim17ROCPRIM_400000_NS6detail17trampoline_kernelINS0_14default_configENS1_36segmented_radix_sort_config_selectorIalEEZNS1_25segmented_radix_sort_implIS3_Lb1EPKaPaPKlPlN2at6native12_GLOBAL__N_18offset_tEEE10hipError_tPvRmT1_PNSt15iterator_traitsISK_E10value_typeET2_T3_PNSL_ISQ_E10value_typeET4_jRbjT5_SW_jjP12ihipStream_tbEUlT_E2_NS1_11comp_targetILNS1_3genE3ELNS1_11target_archE908ELNS1_3gpuE7ELNS1_3repE0EEENS1_30default_config_static_selectorELNS0_4arch9wavefront6targetE0EEEvSK_.has_recursion, 0
	.set _ZN7rocprim17ROCPRIM_400000_NS6detail17trampoline_kernelINS0_14default_configENS1_36segmented_radix_sort_config_selectorIalEEZNS1_25segmented_radix_sort_implIS3_Lb1EPKaPaPKlPlN2at6native12_GLOBAL__N_18offset_tEEE10hipError_tPvRmT1_PNSt15iterator_traitsISK_E10value_typeET2_T3_PNSL_ISQ_E10value_typeET4_jRbjT5_SW_jjP12ihipStream_tbEUlT_E2_NS1_11comp_targetILNS1_3genE3ELNS1_11target_archE908ELNS1_3gpuE7ELNS1_3repE0EEENS1_30default_config_static_selectorELNS0_4arch9wavefront6targetE0EEEvSK_.has_indirect_call, 0
	.section	.AMDGPU.csdata,"",@progbits
; Kernel info:
; codeLenInByte = 0
; TotalNumSgprs: 0
; NumVgprs: 0
; ScratchSize: 0
; MemoryBound: 0
; FloatMode: 240
; IeeeMode: 1
; LDSByteSize: 0 bytes/workgroup (compile time only)
; SGPRBlocks: 0
; VGPRBlocks: 0
; NumSGPRsForWavesPerEU: 1
; NumVGPRsForWavesPerEU: 1
; Occupancy: 16
; WaveLimiterHint : 0
; COMPUTE_PGM_RSRC2:SCRATCH_EN: 0
; COMPUTE_PGM_RSRC2:USER_SGPR: 6
; COMPUTE_PGM_RSRC2:TRAP_HANDLER: 0
; COMPUTE_PGM_RSRC2:TGID_X_EN: 1
; COMPUTE_PGM_RSRC2:TGID_Y_EN: 0
; COMPUTE_PGM_RSRC2:TGID_Z_EN: 0
; COMPUTE_PGM_RSRC2:TIDIG_COMP_CNT: 0
	.section	.text._ZN7rocprim17ROCPRIM_400000_NS6detail17trampoline_kernelINS0_14default_configENS1_36segmented_radix_sort_config_selectorIalEEZNS1_25segmented_radix_sort_implIS3_Lb1EPKaPaPKlPlN2at6native12_GLOBAL__N_18offset_tEEE10hipError_tPvRmT1_PNSt15iterator_traitsISK_E10value_typeET2_T3_PNSL_ISQ_E10value_typeET4_jRbjT5_SW_jjP12ihipStream_tbEUlT_E2_NS1_11comp_targetILNS1_3genE2ELNS1_11target_archE906ELNS1_3gpuE6ELNS1_3repE0EEENS1_30default_config_static_selectorELNS0_4arch9wavefront6targetE0EEEvSK_,"axG",@progbits,_ZN7rocprim17ROCPRIM_400000_NS6detail17trampoline_kernelINS0_14default_configENS1_36segmented_radix_sort_config_selectorIalEEZNS1_25segmented_radix_sort_implIS3_Lb1EPKaPaPKlPlN2at6native12_GLOBAL__N_18offset_tEEE10hipError_tPvRmT1_PNSt15iterator_traitsISK_E10value_typeET2_T3_PNSL_ISQ_E10value_typeET4_jRbjT5_SW_jjP12ihipStream_tbEUlT_E2_NS1_11comp_targetILNS1_3genE2ELNS1_11target_archE906ELNS1_3gpuE6ELNS1_3repE0EEENS1_30default_config_static_selectorELNS0_4arch9wavefront6targetE0EEEvSK_,comdat
	.globl	_ZN7rocprim17ROCPRIM_400000_NS6detail17trampoline_kernelINS0_14default_configENS1_36segmented_radix_sort_config_selectorIalEEZNS1_25segmented_radix_sort_implIS3_Lb1EPKaPaPKlPlN2at6native12_GLOBAL__N_18offset_tEEE10hipError_tPvRmT1_PNSt15iterator_traitsISK_E10value_typeET2_T3_PNSL_ISQ_E10value_typeET4_jRbjT5_SW_jjP12ihipStream_tbEUlT_E2_NS1_11comp_targetILNS1_3genE2ELNS1_11target_archE906ELNS1_3gpuE6ELNS1_3repE0EEENS1_30default_config_static_selectorELNS0_4arch9wavefront6targetE0EEEvSK_ ; -- Begin function _ZN7rocprim17ROCPRIM_400000_NS6detail17trampoline_kernelINS0_14default_configENS1_36segmented_radix_sort_config_selectorIalEEZNS1_25segmented_radix_sort_implIS3_Lb1EPKaPaPKlPlN2at6native12_GLOBAL__N_18offset_tEEE10hipError_tPvRmT1_PNSt15iterator_traitsISK_E10value_typeET2_T3_PNSL_ISQ_E10value_typeET4_jRbjT5_SW_jjP12ihipStream_tbEUlT_E2_NS1_11comp_targetILNS1_3genE2ELNS1_11target_archE906ELNS1_3gpuE6ELNS1_3repE0EEENS1_30default_config_static_selectorELNS0_4arch9wavefront6targetE0EEEvSK_
	.p2align	8
	.type	_ZN7rocprim17ROCPRIM_400000_NS6detail17trampoline_kernelINS0_14default_configENS1_36segmented_radix_sort_config_selectorIalEEZNS1_25segmented_radix_sort_implIS3_Lb1EPKaPaPKlPlN2at6native12_GLOBAL__N_18offset_tEEE10hipError_tPvRmT1_PNSt15iterator_traitsISK_E10value_typeET2_T3_PNSL_ISQ_E10value_typeET4_jRbjT5_SW_jjP12ihipStream_tbEUlT_E2_NS1_11comp_targetILNS1_3genE2ELNS1_11target_archE906ELNS1_3gpuE6ELNS1_3repE0EEENS1_30default_config_static_selectorELNS0_4arch9wavefront6targetE0EEEvSK_,@function
_ZN7rocprim17ROCPRIM_400000_NS6detail17trampoline_kernelINS0_14default_configENS1_36segmented_radix_sort_config_selectorIalEEZNS1_25segmented_radix_sort_implIS3_Lb1EPKaPaPKlPlN2at6native12_GLOBAL__N_18offset_tEEE10hipError_tPvRmT1_PNSt15iterator_traitsISK_E10value_typeET2_T3_PNSL_ISQ_E10value_typeET4_jRbjT5_SW_jjP12ihipStream_tbEUlT_E2_NS1_11comp_targetILNS1_3genE2ELNS1_11target_archE906ELNS1_3gpuE6ELNS1_3repE0EEENS1_30default_config_static_selectorELNS0_4arch9wavefront6targetE0EEEvSK_: ; @_ZN7rocprim17ROCPRIM_400000_NS6detail17trampoline_kernelINS0_14default_configENS1_36segmented_radix_sort_config_selectorIalEEZNS1_25segmented_radix_sort_implIS3_Lb1EPKaPaPKlPlN2at6native12_GLOBAL__N_18offset_tEEE10hipError_tPvRmT1_PNSt15iterator_traitsISK_E10value_typeET2_T3_PNSL_ISQ_E10value_typeET4_jRbjT5_SW_jjP12ihipStream_tbEUlT_E2_NS1_11comp_targetILNS1_3genE2ELNS1_11target_archE906ELNS1_3gpuE6ELNS1_3repE0EEENS1_30default_config_static_selectorELNS0_4arch9wavefront6targetE0EEEvSK_
; %bb.0:
	.section	.rodata,"a",@progbits
	.p2align	6, 0x0
	.amdhsa_kernel _ZN7rocprim17ROCPRIM_400000_NS6detail17trampoline_kernelINS0_14default_configENS1_36segmented_radix_sort_config_selectorIalEEZNS1_25segmented_radix_sort_implIS3_Lb1EPKaPaPKlPlN2at6native12_GLOBAL__N_18offset_tEEE10hipError_tPvRmT1_PNSt15iterator_traitsISK_E10value_typeET2_T3_PNSL_ISQ_E10value_typeET4_jRbjT5_SW_jjP12ihipStream_tbEUlT_E2_NS1_11comp_targetILNS1_3genE2ELNS1_11target_archE906ELNS1_3gpuE6ELNS1_3repE0EEENS1_30default_config_static_selectorELNS0_4arch9wavefront6targetE0EEEvSK_
		.amdhsa_group_segment_fixed_size 0
		.amdhsa_private_segment_fixed_size 0
		.amdhsa_kernarg_size 80
		.amdhsa_user_sgpr_count 6
		.amdhsa_user_sgpr_private_segment_buffer 1
		.amdhsa_user_sgpr_dispatch_ptr 0
		.amdhsa_user_sgpr_queue_ptr 0
		.amdhsa_user_sgpr_kernarg_segment_ptr 1
		.amdhsa_user_sgpr_dispatch_id 0
		.amdhsa_user_sgpr_flat_scratch_init 0
		.amdhsa_user_sgpr_private_segment_size 0
		.amdhsa_wavefront_size32 1
		.amdhsa_uses_dynamic_stack 0
		.amdhsa_system_sgpr_private_segment_wavefront_offset 0
		.amdhsa_system_sgpr_workgroup_id_x 1
		.amdhsa_system_sgpr_workgroup_id_y 0
		.amdhsa_system_sgpr_workgroup_id_z 0
		.amdhsa_system_sgpr_workgroup_info 0
		.amdhsa_system_vgpr_workitem_id 0
		.amdhsa_next_free_vgpr 1
		.amdhsa_next_free_sgpr 1
		.amdhsa_reserve_vcc 0
		.amdhsa_reserve_flat_scratch 0
		.amdhsa_float_round_mode_32 0
		.amdhsa_float_round_mode_16_64 0
		.amdhsa_float_denorm_mode_32 3
		.amdhsa_float_denorm_mode_16_64 3
		.amdhsa_dx10_clamp 1
		.amdhsa_ieee_mode 1
		.amdhsa_fp16_overflow 0
		.amdhsa_workgroup_processor_mode 1
		.amdhsa_memory_ordered 1
		.amdhsa_forward_progress 1
		.amdhsa_shared_vgpr_count 0
		.amdhsa_exception_fp_ieee_invalid_op 0
		.amdhsa_exception_fp_denorm_src 0
		.amdhsa_exception_fp_ieee_div_zero 0
		.amdhsa_exception_fp_ieee_overflow 0
		.amdhsa_exception_fp_ieee_underflow 0
		.amdhsa_exception_fp_ieee_inexact 0
		.amdhsa_exception_int_div_zero 0
	.end_amdhsa_kernel
	.section	.text._ZN7rocprim17ROCPRIM_400000_NS6detail17trampoline_kernelINS0_14default_configENS1_36segmented_radix_sort_config_selectorIalEEZNS1_25segmented_radix_sort_implIS3_Lb1EPKaPaPKlPlN2at6native12_GLOBAL__N_18offset_tEEE10hipError_tPvRmT1_PNSt15iterator_traitsISK_E10value_typeET2_T3_PNSL_ISQ_E10value_typeET4_jRbjT5_SW_jjP12ihipStream_tbEUlT_E2_NS1_11comp_targetILNS1_3genE2ELNS1_11target_archE906ELNS1_3gpuE6ELNS1_3repE0EEENS1_30default_config_static_selectorELNS0_4arch9wavefront6targetE0EEEvSK_,"axG",@progbits,_ZN7rocprim17ROCPRIM_400000_NS6detail17trampoline_kernelINS0_14default_configENS1_36segmented_radix_sort_config_selectorIalEEZNS1_25segmented_radix_sort_implIS3_Lb1EPKaPaPKlPlN2at6native12_GLOBAL__N_18offset_tEEE10hipError_tPvRmT1_PNSt15iterator_traitsISK_E10value_typeET2_T3_PNSL_ISQ_E10value_typeET4_jRbjT5_SW_jjP12ihipStream_tbEUlT_E2_NS1_11comp_targetILNS1_3genE2ELNS1_11target_archE906ELNS1_3gpuE6ELNS1_3repE0EEENS1_30default_config_static_selectorELNS0_4arch9wavefront6targetE0EEEvSK_,comdat
.Lfunc_end321:
	.size	_ZN7rocprim17ROCPRIM_400000_NS6detail17trampoline_kernelINS0_14default_configENS1_36segmented_radix_sort_config_selectorIalEEZNS1_25segmented_radix_sort_implIS3_Lb1EPKaPaPKlPlN2at6native12_GLOBAL__N_18offset_tEEE10hipError_tPvRmT1_PNSt15iterator_traitsISK_E10value_typeET2_T3_PNSL_ISQ_E10value_typeET4_jRbjT5_SW_jjP12ihipStream_tbEUlT_E2_NS1_11comp_targetILNS1_3genE2ELNS1_11target_archE906ELNS1_3gpuE6ELNS1_3repE0EEENS1_30default_config_static_selectorELNS0_4arch9wavefront6targetE0EEEvSK_, .Lfunc_end321-_ZN7rocprim17ROCPRIM_400000_NS6detail17trampoline_kernelINS0_14default_configENS1_36segmented_radix_sort_config_selectorIalEEZNS1_25segmented_radix_sort_implIS3_Lb1EPKaPaPKlPlN2at6native12_GLOBAL__N_18offset_tEEE10hipError_tPvRmT1_PNSt15iterator_traitsISK_E10value_typeET2_T3_PNSL_ISQ_E10value_typeET4_jRbjT5_SW_jjP12ihipStream_tbEUlT_E2_NS1_11comp_targetILNS1_3genE2ELNS1_11target_archE906ELNS1_3gpuE6ELNS1_3repE0EEENS1_30default_config_static_selectorELNS0_4arch9wavefront6targetE0EEEvSK_
                                        ; -- End function
	.set _ZN7rocprim17ROCPRIM_400000_NS6detail17trampoline_kernelINS0_14default_configENS1_36segmented_radix_sort_config_selectorIalEEZNS1_25segmented_radix_sort_implIS3_Lb1EPKaPaPKlPlN2at6native12_GLOBAL__N_18offset_tEEE10hipError_tPvRmT1_PNSt15iterator_traitsISK_E10value_typeET2_T3_PNSL_ISQ_E10value_typeET4_jRbjT5_SW_jjP12ihipStream_tbEUlT_E2_NS1_11comp_targetILNS1_3genE2ELNS1_11target_archE906ELNS1_3gpuE6ELNS1_3repE0EEENS1_30default_config_static_selectorELNS0_4arch9wavefront6targetE0EEEvSK_.num_vgpr, 0
	.set _ZN7rocprim17ROCPRIM_400000_NS6detail17trampoline_kernelINS0_14default_configENS1_36segmented_radix_sort_config_selectorIalEEZNS1_25segmented_radix_sort_implIS3_Lb1EPKaPaPKlPlN2at6native12_GLOBAL__N_18offset_tEEE10hipError_tPvRmT1_PNSt15iterator_traitsISK_E10value_typeET2_T3_PNSL_ISQ_E10value_typeET4_jRbjT5_SW_jjP12ihipStream_tbEUlT_E2_NS1_11comp_targetILNS1_3genE2ELNS1_11target_archE906ELNS1_3gpuE6ELNS1_3repE0EEENS1_30default_config_static_selectorELNS0_4arch9wavefront6targetE0EEEvSK_.num_agpr, 0
	.set _ZN7rocprim17ROCPRIM_400000_NS6detail17trampoline_kernelINS0_14default_configENS1_36segmented_radix_sort_config_selectorIalEEZNS1_25segmented_radix_sort_implIS3_Lb1EPKaPaPKlPlN2at6native12_GLOBAL__N_18offset_tEEE10hipError_tPvRmT1_PNSt15iterator_traitsISK_E10value_typeET2_T3_PNSL_ISQ_E10value_typeET4_jRbjT5_SW_jjP12ihipStream_tbEUlT_E2_NS1_11comp_targetILNS1_3genE2ELNS1_11target_archE906ELNS1_3gpuE6ELNS1_3repE0EEENS1_30default_config_static_selectorELNS0_4arch9wavefront6targetE0EEEvSK_.numbered_sgpr, 0
	.set _ZN7rocprim17ROCPRIM_400000_NS6detail17trampoline_kernelINS0_14default_configENS1_36segmented_radix_sort_config_selectorIalEEZNS1_25segmented_radix_sort_implIS3_Lb1EPKaPaPKlPlN2at6native12_GLOBAL__N_18offset_tEEE10hipError_tPvRmT1_PNSt15iterator_traitsISK_E10value_typeET2_T3_PNSL_ISQ_E10value_typeET4_jRbjT5_SW_jjP12ihipStream_tbEUlT_E2_NS1_11comp_targetILNS1_3genE2ELNS1_11target_archE906ELNS1_3gpuE6ELNS1_3repE0EEENS1_30default_config_static_selectorELNS0_4arch9wavefront6targetE0EEEvSK_.num_named_barrier, 0
	.set _ZN7rocprim17ROCPRIM_400000_NS6detail17trampoline_kernelINS0_14default_configENS1_36segmented_radix_sort_config_selectorIalEEZNS1_25segmented_radix_sort_implIS3_Lb1EPKaPaPKlPlN2at6native12_GLOBAL__N_18offset_tEEE10hipError_tPvRmT1_PNSt15iterator_traitsISK_E10value_typeET2_T3_PNSL_ISQ_E10value_typeET4_jRbjT5_SW_jjP12ihipStream_tbEUlT_E2_NS1_11comp_targetILNS1_3genE2ELNS1_11target_archE906ELNS1_3gpuE6ELNS1_3repE0EEENS1_30default_config_static_selectorELNS0_4arch9wavefront6targetE0EEEvSK_.private_seg_size, 0
	.set _ZN7rocprim17ROCPRIM_400000_NS6detail17trampoline_kernelINS0_14default_configENS1_36segmented_radix_sort_config_selectorIalEEZNS1_25segmented_radix_sort_implIS3_Lb1EPKaPaPKlPlN2at6native12_GLOBAL__N_18offset_tEEE10hipError_tPvRmT1_PNSt15iterator_traitsISK_E10value_typeET2_T3_PNSL_ISQ_E10value_typeET4_jRbjT5_SW_jjP12ihipStream_tbEUlT_E2_NS1_11comp_targetILNS1_3genE2ELNS1_11target_archE906ELNS1_3gpuE6ELNS1_3repE0EEENS1_30default_config_static_selectorELNS0_4arch9wavefront6targetE0EEEvSK_.uses_vcc, 0
	.set _ZN7rocprim17ROCPRIM_400000_NS6detail17trampoline_kernelINS0_14default_configENS1_36segmented_radix_sort_config_selectorIalEEZNS1_25segmented_radix_sort_implIS3_Lb1EPKaPaPKlPlN2at6native12_GLOBAL__N_18offset_tEEE10hipError_tPvRmT1_PNSt15iterator_traitsISK_E10value_typeET2_T3_PNSL_ISQ_E10value_typeET4_jRbjT5_SW_jjP12ihipStream_tbEUlT_E2_NS1_11comp_targetILNS1_3genE2ELNS1_11target_archE906ELNS1_3gpuE6ELNS1_3repE0EEENS1_30default_config_static_selectorELNS0_4arch9wavefront6targetE0EEEvSK_.uses_flat_scratch, 0
	.set _ZN7rocprim17ROCPRIM_400000_NS6detail17trampoline_kernelINS0_14default_configENS1_36segmented_radix_sort_config_selectorIalEEZNS1_25segmented_radix_sort_implIS3_Lb1EPKaPaPKlPlN2at6native12_GLOBAL__N_18offset_tEEE10hipError_tPvRmT1_PNSt15iterator_traitsISK_E10value_typeET2_T3_PNSL_ISQ_E10value_typeET4_jRbjT5_SW_jjP12ihipStream_tbEUlT_E2_NS1_11comp_targetILNS1_3genE2ELNS1_11target_archE906ELNS1_3gpuE6ELNS1_3repE0EEENS1_30default_config_static_selectorELNS0_4arch9wavefront6targetE0EEEvSK_.has_dyn_sized_stack, 0
	.set _ZN7rocprim17ROCPRIM_400000_NS6detail17trampoline_kernelINS0_14default_configENS1_36segmented_radix_sort_config_selectorIalEEZNS1_25segmented_radix_sort_implIS3_Lb1EPKaPaPKlPlN2at6native12_GLOBAL__N_18offset_tEEE10hipError_tPvRmT1_PNSt15iterator_traitsISK_E10value_typeET2_T3_PNSL_ISQ_E10value_typeET4_jRbjT5_SW_jjP12ihipStream_tbEUlT_E2_NS1_11comp_targetILNS1_3genE2ELNS1_11target_archE906ELNS1_3gpuE6ELNS1_3repE0EEENS1_30default_config_static_selectorELNS0_4arch9wavefront6targetE0EEEvSK_.has_recursion, 0
	.set _ZN7rocprim17ROCPRIM_400000_NS6detail17trampoline_kernelINS0_14default_configENS1_36segmented_radix_sort_config_selectorIalEEZNS1_25segmented_radix_sort_implIS3_Lb1EPKaPaPKlPlN2at6native12_GLOBAL__N_18offset_tEEE10hipError_tPvRmT1_PNSt15iterator_traitsISK_E10value_typeET2_T3_PNSL_ISQ_E10value_typeET4_jRbjT5_SW_jjP12ihipStream_tbEUlT_E2_NS1_11comp_targetILNS1_3genE2ELNS1_11target_archE906ELNS1_3gpuE6ELNS1_3repE0EEENS1_30default_config_static_selectorELNS0_4arch9wavefront6targetE0EEEvSK_.has_indirect_call, 0
	.section	.AMDGPU.csdata,"",@progbits
; Kernel info:
; codeLenInByte = 0
; TotalNumSgprs: 0
; NumVgprs: 0
; ScratchSize: 0
; MemoryBound: 0
; FloatMode: 240
; IeeeMode: 1
; LDSByteSize: 0 bytes/workgroup (compile time only)
; SGPRBlocks: 0
; VGPRBlocks: 0
; NumSGPRsForWavesPerEU: 1
; NumVGPRsForWavesPerEU: 1
; Occupancy: 16
; WaveLimiterHint : 0
; COMPUTE_PGM_RSRC2:SCRATCH_EN: 0
; COMPUTE_PGM_RSRC2:USER_SGPR: 6
; COMPUTE_PGM_RSRC2:TRAP_HANDLER: 0
; COMPUTE_PGM_RSRC2:TGID_X_EN: 1
; COMPUTE_PGM_RSRC2:TGID_Y_EN: 0
; COMPUTE_PGM_RSRC2:TGID_Z_EN: 0
; COMPUTE_PGM_RSRC2:TIDIG_COMP_CNT: 0
	.section	.text._ZN7rocprim17ROCPRIM_400000_NS6detail17trampoline_kernelINS0_14default_configENS1_36segmented_radix_sort_config_selectorIalEEZNS1_25segmented_radix_sort_implIS3_Lb1EPKaPaPKlPlN2at6native12_GLOBAL__N_18offset_tEEE10hipError_tPvRmT1_PNSt15iterator_traitsISK_E10value_typeET2_T3_PNSL_ISQ_E10value_typeET4_jRbjT5_SW_jjP12ihipStream_tbEUlT_E2_NS1_11comp_targetILNS1_3genE10ELNS1_11target_archE1201ELNS1_3gpuE5ELNS1_3repE0EEENS1_30default_config_static_selectorELNS0_4arch9wavefront6targetE0EEEvSK_,"axG",@progbits,_ZN7rocprim17ROCPRIM_400000_NS6detail17trampoline_kernelINS0_14default_configENS1_36segmented_radix_sort_config_selectorIalEEZNS1_25segmented_radix_sort_implIS3_Lb1EPKaPaPKlPlN2at6native12_GLOBAL__N_18offset_tEEE10hipError_tPvRmT1_PNSt15iterator_traitsISK_E10value_typeET2_T3_PNSL_ISQ_E10value_typeET4_jRbjT5_SW_jjP12ihipStream_tbEUlT_E2_NS1_11comp_targetILNS1_3genE10ELNS1_11target_archE1201ELNS1_3gpuE5ELNS1_3repE0EEENS1_30default_config_static_selectorELNS0_4arch9wavefront6targetE0EEEvSK_,comdat
	.globl	_ZN7rocprim17ROCPRIM_400000_NS6detail17trampoline_kernelINS0_14default_configENS1_36segmented_radix_sort_config_selectorIalEEZNS1_25segmented_radix_sort_implIS3_Lb1EPKaPaPKlPlN2at6native12_GLOBAL__N_18offset_tEEE10hipError_tPvRmT1_PNSt15iterator_traitsISK_E10value_typeET2_T3_PNSL_ISQ_E10value_typeET4_jRbjT5_SW_jjP12ihipStream_tbEUlT_E2_NS1_11comp_targetILNS1_3genE10ELNS1_11target_archE1201ELNS1_3gpuE5ELNS1_3repE0EEENS1_30default_config_static_selectorELNS0_4arch9wavefront6targetE0EEEvSK_ ; -- Begin function _ZN7rocprim17ROCPRIM_400000_NS6detail17trampoline_kernelINS0_14default_configENS1_36segmented_radix_sort_config_selectorIalEEZNS1_25segmented_radix_sort_implIS3_Lb1EPKaPaPKlPlN2at6native12_GLOBAL__N_18offset_tEEE10hipError_tPvRmT1_PNSt15iterator_traitsISK_E10value_typeET2_T3_PNSL_ISQ_E10value_typeET4_jRbjT5_SW_jjP12ihipStream_tbEUlT_E2_NS1_11comp_targetILNS1_3genE10ELNS1_11target_archE1201ELNS1_3gpuE5ELNS1_3repE0EEENS1_30default_config_static_selectorELNS0_4arch9wavefront6targetE0EEEvSK_
	.p2align	8
	.type	_ZN7rocprim17ROCPRIM_400000_NS6detail17trampoline_kernelINS0_14default_configENS1_36segmented_radix_sort_config_selectorIalEEZNS1_25segmented_radix_sort_implIS3_Lb1EPKaPaPKlPlN2at6native12_GLOBAL__N_18offset_tEEE10hipError_tPvRmT1_PNSt15iterator_traitsISK_E10value_typeET2_T3_PNSL_ISQ_E10value_typeET4_jRbjT5_SW_jjP12ihipStream_tbEUlT_E2_NS1_11comp_targetILNS1_3genE10ELNS1_11target_archE1201ELNS1_3gpuE5ELNS1_3repE0EEENS1_30default_config_static_selectorELNS0_4arch9wavefront6targetE0EEEvSK_,@function
_ZN7rocprim17ROCPRIM_400000_NS6detail17trampoline_kernelINS0_14default_configENS1_36segmented_radix_sort_config_selectorIalEEZNS1_25segmented_radix_sort_implIS3_Lb1EPKaPaPKlPlN2at6native12_GLOBAL__N_18offset_tEEE10hipError_tPvRmT1_PNSt15iterator_traitsISK_E10value_typeET2_T3_PNSL_ISQ_E10value_typeET4_jRbjT5_SW_jjP12ihipStream_tbEUlT_E2_NS1_11comp_targetILNS1_3genE10ELNS1_11target_archE1201ELNS1_3gpuE5ELNS1_3repE0EEENS1_30default_config_static_selectorELNS0_4arch9wavefront6targetE0EEEvSK_: ; @_ZN7rocprim17ROCPRIM_400000_NS6detail17trampoline_kernelINS0_14default_configENS1_36segmented_radix_sort_config_selectorIalEEZNS1_25segmented_radix_sort_implIS3_Lb1EPKaPaPKlPlN2at6native12_GLOBAL__N_18offset_tEEE10hipError_tPvRmT1_PNSt15iterator_traitsISK_E10value_typeET2_T3_PNSL_ISQ_E10value_typeET4_jRbjT5_SW_jjP12ihipStream_tbEUlT_E2_NS1_11comp_targetILNS1_3genE10ELNS1_11target_archE1201ELNS1_3gpuE5ELNS1_3repE0EEENS1_30default_config_static_selectorELNS0_4arch9wavefront6targetE0EEEvSK_
; %bb.0:
	.section	.rodata,"a",@progbits
	.p2align	6, 0x0
	.amdhsa_kernel _ZN7rocprim17ROCPRIM_400000_NS6detail17trampoline_kernelINS0_14default_configENS1_36segmented_radix_sort_config_selectorIalEEZNS1_25segmented_radix_sort_implIS3_Lb1EPKaPaPKlPlN2at6native12_GLOBAL__N_18offset_tEEE10hipError_tPvRmT1_PNSt15iterator_traitsISK_E10value_typeET2_T3_PNSL_ISQ_E10value_typeET4_jRbjT5_SW_jjP12ihipStream_tbEUlT_E2_NS1_11comp_targetILNS1_3genE10ELNS1_11target_archE1201ELNS1_3gpuE5ELNS1_3repE0EEENS1_30default_config_static_selectorELNS0_4arch9wavefront6targetE0EEEvSK_
		.amdhsa_group_segment_fixed_size 0
		.amdhsa_private_segment_fixed_size 0
		.amdhsa_kernarg_size 80
		.amdhsa_user_sgpr_count 6
		.amdhsa_user_sgpr_private_segment_buffer 1
		.amdhsa_user_sgpr_dispatch_ptr 0
		.amdhsa_user_sgpr_queue_ptr 0
		.amdhsa_user_sgpr_kernarg_segment_ptr 1
		.amdhsa_user_sgpr_dispatch_id 0
		.amdhsa_user_sgpr_flat_scratch_init 0
		.amdhsa_user_sgpr_private_segment_size 0
		.amdhsa_wavefront_size32 1
		.amdhsa_uses_dynamic_stack 0
		.amdhsa_system_sgpr_private_segment_wavefront_offset 0
		.amdhsa_system_sgpr_workgroup_id_x 1
		.amdhsa_system_sgpr_workgroup_id_y 0
		.amdhsa_system_sgpr_workgroup_id_z 0
		.amdhsa_system_sgpr_workgroup_info 0
		.amdhsa_system_vgpr_workitem_id 0
		.amdhsa_next_free_vgpr 1
		.amdhsa_next_free_sgpr 1
		.amdhsa_reserve_vcc 0
		.amdhsa_reserve_flat_scratch 0
		.amdhsa_float_round_mode_32 0
		.amdhsa_float_round_mode_16_64 0
		.amdhsa_float_denorm_mode_32 3
		.amdhsa_float_denorm_mode_16_64 3
		.amdhsa_dx10_clamp 1
		.amdhsa_ieee_mode 1
		.amdhsa_fp16_overflow 0
		.amdhsa_workgroup_processor_mode 1
		.amdhsa_memory_ordered 1
		.amdhsa_forward_progress 1
		.amdhsa_shared_vgpr_count 0
		.amdhsa_exception_fp_ieee_invalid_op 0
		.amdhsa_exception_fp_denorm_src 0
		.amdhsa_exception_fp_ieee_div_zero 0
		.amdhsa_exception_fp_ieee_overflow 0
		.amdhsa_exception_fp_ieee_underflow 0
		.amdhsa_exception_fp_ieee_inexact 0
		.amdhsa_exception_int_div_zero 0
	.end_amdhsa_kernel
	.section	.text._ZN7rocprim17ROCPRIM_400000_NS6detail17trampoline_kernelINS0_14default_configENS1_36segmented_radix_sort_config_selectorIalEEZNS1_25segmented_radix_sort_implIS3_Lb1EPKaPaPKlPlN2at6native12_GLOBAL__N_18offset_tEEE10hipError_tPvRmT1_PNSt15iterator_traitsISK_E10value_typeET2_T3_PNSL_ISQ_E10value_typeET4_jRbjT5_SW_jjP12ihipStream_tbEUlT_E2_NS1_11comp_targetILNS1_3genE10ELNS1_11target_archE1201ELNS1_3gpuE5ELNS1_3repE0EEENS1_30default_config_static_selectorELNS0_4arch9wavefront6targetE0EEEvSK_,"axG",@progbits,_ZN7rocprim17ROCPRIM_400000_NS6detail17trampoline_kernelINS0_14default_configENS1_36segmented_radix_sort_config_selectorIalEEZNS1_25segmented_radix_sort_implIS3_Lb1EPKaPaPKlPlN2at6native12_GLOBAL__N_18offset_tEEE10hipError_tPvRmT1_PNSt15iterator_traitsISK_E10value_typeET2_T3_PNSL_ISQ_E10value_typeET4_jRbjT5_SW_jjP12ihipStream_tbEUlT_E2_NS1_11comp_targetILNS1_3genE10ELNS1_11target_archE1201ELNS1_3gpuE5ELNS1_3repE0EEENS1_30default_config_static_selectorELNS0_4arch9wavefront6targetE0EEEvSK_,comdat
.Lfunc_end322:
	.size	_ZN7rocprim17ROCPRIM_400000_NS6detail17trampoline_kernelINS0_14default_configENS1_36segmented_radix_sort_config_selectorIalEEZNS1_25segmented_radix_sort_implIS3_Lb1EPKaPaPKlPlN2at6native12_GLOBAL__N_18offset_tEEE10hipError_tPvRmT1_PNSt15iterator_traitsISK_E10value_typeET2_T3_PNSL_ISQ_E10value_typeET4_jRbjT5_SW_jjP12ihipStream_tbEUlT_E2_NS1_11comp_targetILNS1_3genE10ELNS1_11target_archE1201ELNS1_3gpuE5ELNS1_3repE0EEENS1_30default_config_static_selectorELNS0_4arch9wavefront6targetE0EEEvSK_, .Lfunc_end322-_ZN7rocprim17ROCPRIM_400000_NS6detail17trampoline_kernelINS0_14default_configENS1_36segmented_radix_sort_config_selectorIalEEZNS1_25segmented_radix_sort_implIS3_Lb1EPKaPaPKlPlN2at6native12_GLOBAL__N_18offset_tEEE10hipError_tPvRmT1_PNSt15iterator_traitsISK_E10value_typeET2_T3_PNSL_ISQ_E10value_typeET4_jRbjT5_SW_jjP12ihipStream_tbEUlT_E2_NS1_11comp_targetILNS1_3genE10ELNS1_11target_archE1201ELNS1_3gpuE5ELNS1_3repE0EEENS1_30default_config_static_selectorELNS0_4arch9wavefront6targetE0EEEvSK_
                                        ; -- End function
	.set _ZN7rocprim17ROCPRIM_400000_NS6detail17trampoline_kernelINS0_14default_configENS1_36segmented_radix_sort_config_selectorIalEEZNS1_25segmented_radix_sort_implIS3_Lb1EPKaPaPKlPlN2at6native12_GLOBAL__N_18offset_tEEE10hipError_tPvRmT1_PNSt15iterator_traitsISK_E10value_typeET2_T3_PNSL_ISQ_E10value_typeET4_jRbjT5_SW_jjP12ihipStream_tbEUlT_E2_NS1_11comp_targetILNS1_3genE10ELNS1_11target_archE1201ELNS1_3gpuE5ELNS1_3repE0EEENS1_30default_config_static_selectorELNS0_4arch9wavefront6targetE0EEEvSK_.num_vgpr, 0
	.set _ZN7rocprim17ROCPRIM_400000_NS6detail17trampoline_kernelINS0_14default_configENS1_36segmented_radix_sort_config_selectorIalEEZNS1_25segmented_radix_sort_implIS3_Lb1EPKaPaPKlPlN2at6native12_GLOBAL__N_18offset_tEEE10hipError_tPvRmT1_PNSt15iterator_traitsISK_E10value_typeET2_T3_PNSL_ISQ_E10value_typeET4_jRbjT5_SW_jjP12ihipStream_tbEUlT_E2_NS1_11comp_targetILNS1_3genE10ELNS1_11target_archE1201ELNS1_3gpuE5ELNS1_3repE0EEENS1_30default_config_static_selectorELNS0_4arch9wavefront6targetE0EEEvSK_.num_agpr, 0
	.set _ZN7rocprim17ROCPRIM_400000_NS6detail17trampoline_kernelINS0_14default_configENS1_36segmented_radix_sort_config_selectorIalEEZNS1_25segmented_radix_sort_implIS3_Lb1EPKaPaPKlPlN2at6native12_GLOBAL__N_18offset_tEEE10hipError_tPvRmT1_PNSt15iterator_traitsISK_E10value_typeET2_T3_PNSL_ISQ_E10value_typeET4_jRbjT5_SW_jjP12ihipStream_tbEUlT_E2_NS1_11comp_targetILNS1_3genE10ELNS1_11target_archE1201ELNS1_3gpuE5ELNS1_3repE0EEENS1_30default_config_static_selectorELNS0_4arch9wavefront6targetE0EEEvSK_.numbered_sgpr, 0
	.set _ZN7rocprim17ROCPRIM_400000_NS6detail17trampoline_kernelINS0_14default_configENS1_36segmented_radix_sort_config_selectorIalEEZNS1_25segmented_radix_sort_implIS3_Lb1EPKaPaPKlPlN2at6native12_GLOBAL__N_18offset_tEEE10hipError_tPvRmT1_PNSt15iterator_traitsISK_E10value_typeET2_T3_PNSL_ISQ_E10value_typeET4_jRbjT5_SW_jjP12ihipStream_tbEUlT_E2_NS1_11comp_targetILNS1_3genE10ELNS1_11target_archE1201ELNS1_3gpuE5ELNS1_3repE0EEENS1_30default_config_static_selectorELNS0_4arch9wavefront6targetE0EEEvSK_.num_named_barrier, 0
	.set _ZN7rocprim17ROCPRIM_400000_NS6detail17trampoline_kernelINS0_14default_configENS1_36segmented_radix_sort_config_selectorIalEEZNS1_25segmented_radix_sort_implIS3_Lb1EPKaPaPKlPlN2at6native12_GLOBAL__N_18offset_tEEE10hipError_tPvRmT1_PNSt15iterator_traitsISK_E10value_typeET2_T3_PNSL_ISQ_E10value_typeET4_jRbjT5_SW_jjP12ihipStream_tbEUlT_E2_NS1_11comp_targetILNS1_3genE10ELNS1_11target_archE1201ELNS1_3gpuE5ELNS1_3repE0EEENS1_30default_config_static_selectorELNS0_4arch9wavefront6targetE0EEEvSK_.private_seg_size, 0
	.set _ZN7rocprim17ROCPRIM_400000_NS6detail17trampoline_kernelINS0_14default_configENS1_36segmented_radix_sort_config_selectorIalEEZNS1_25segmented_radix_sort_implIS3_Lb1EPKaPaPKlPlN2at6native12_GLOBAL__N_18offset_tEEE10hipError_tPvRmT1_PNSt15iterator_traitsISK_E10value_typeET2_T3_PNSL_ISQ_E10value_typeET4_jRbjT5_SW_jjP12ihipStream_tbEUlT_E2_NS1_11comp_targetILNS1_3genE10ELNS1_11target_archE1201ELNS1_3gpuE5ELNS1_3repE0EEENS1_30default_config_static_selectorELNS0_4arch9wavefront6targetE0EEEvSK_.uses_vcc, 0
	.set _ZN7rocprim17ROCPRIM_400000_NS6detail17trampoline_kernelINS0_14default_configENS1_36segmented_radix_sort_config_selectorIalEEZNS1_25segmented_radix_sort_implIS3_Lb1EPKaPaPKlPlN2at6native12_GLOBAL__N_18offset_tEEE10hipError_tPvRmT1_PNSt15iterator_traitsISK_E10value_typeET2_T3_PNSL_ISQ_E10value_typeET4_jRbjT5_SW_jjP12ihipStream_tbEUlT_E2_NS1_11comp_targetILNS1_3genE10ELNS1_11target_archE1201ELNS1_3gpuE5ELNS1_3repE0EEENS1_30default_config_static_selectorELNS0_4arch9wavefront6targetE0EEEvSK_.uses_flat_scratch, 0
	.set _ZN7rocprim17ROCPRIM_400000_NS6detail17trampoline_kernelINS0_14default_configENS1_36segmented_radix_sort_config_selectorIalEEZNS1_25segmented_radix_sort_implIS3_Lb1EPKaPaPKlPlN2at6native12_GLOBAL__N_18offset_tEEE10hipError_tPvRmT1_PNSt15iterator_traitsISK_E10value_typeET2_T3_PNSL_ISQ_E10value_typeET4_jRbjT5_SW_jjP12ihipStream_tbEUlT_E2_NS1_11comp_targetILNS1_3genE10ELNS1_11target_archE1201ELNS1_3gpuE5ELNS1_3repE0EEENS1_30default_config_static_selectorELNS0_4arch9wavefront6targetE0EEEvSK_.has_dyn_sized_stack, 0
	.set _ZN7rocprim17ROCPRIM_400000_NS6detail17trampoline_kernelINS0_14default_configENS1_36segmented_radix_sort_config_selectorIalEEZNS1_25segmented_radix_sort_implIS3_Lb1EPKaPaPKlPlN2at6native12_GLOBAL__N_18offset_tEEE10hipError_tPvRmT1_PNSt15iterator_traitsISK_E10value_typeET2_T3_PNSL_ISQ_E10value_typeET4_jRbjT5_SW_jjP12ihipStream_tbEUlT_E2_NS1_11comp_targetILNS1_3genE10ELNS1_11target_archE1201ELNS1_3gpuE5ELNS1_3repE0EEENS1_30default_config_static_selectorELNS0_4arch9wavefront6targetE0EEEvSK_.has_recursion, 0
	.set _ZN7rocprim17ROCPRIM_400000_NS6detail17trampoline_kernelINS0_14default_configENS1_36segmented_radix_sort_config_selectorIalEEZNS1_25segmented_radix_sort_implIS3_Lb1EPKaPaPKlPlN2at6native12_GLOBAL__N_18offset_tEEE10hipError_tPvRmT1_PNSt15iterator_traitsISK_E10value_typeET2_T3_PNSL_ISQ_E10value_typeET4_jRbjT5_SW_jjP12ihipStream_tbEUlT_E2_NS1_11comp_targetILNS1_3genE10ELNS1_11target_archE1201ELNS1_3gpuE5ELNS1_3repE0EEENS1_30default_config_static_selectorELNS0_4arch9wavefront6targetE0EEEvSK_.has_indirect_call, 0
	.section	.AMDGPU.csdata,"",@progbits
; Kernel info:
; codeLenInByte = 0
; TotalNumSgprs: 0
; NumVgprs: 0
; ScratchSize: 0
; MemoryBound: 0
; FloatMode: 240
; IeeeMode: 1
; LDSByteSize: 0 bytes/workgroup (compile time only)
; SGPRBlocks: 0
; VGPRBlocks: 0
; NumSGPRsForWavesPerEU: 1
; NumVGPRsForWavesPerEU: 1
; Occupancy: 16
; WaveLimiterHint : 0
; COMPUTE_PGM_RSRC2:SCRATCH_EN: 0
; COMPUTE_PGM_RSRC2:USER_SGPR: 6
; COMPUTE_PGM_RSRC2:TRAP_HANDLER: 0
; COMPUTE_PGM_RSRC2:TGID_X_EN: 1
; COMPUTE_PGM_RSRC2:TGID_Y_EN: 0
; COMPUTE_PGM_RSRC2:TGID_Z_EN: 0
; COMPUTE_PGM_RSRC2:TIDIG_COMP_CNT: 0
	.section	.text._ZN7rocprim17ROCPRIM_400000_NS6detail17trampoline_kernelINS0_14default_configENS1_36segmented_radix_sort_config_selectorIalEEZNS1_25segmented_radix_sort_implIS3_Lb1EPKaPaPKlPlN2at6native12_GLOBAL__N_18offset_tEEE10hipError_tPvRmT1_PNSt15iterator_traitsISK_E10value_typeET2_T3_PNSL_ISQ_E10value_typeET4_jRbjT5_SW_jjP12ihipStream_tbEUlT_E2_NS1_11comp_targetILNS1_3genE10ELNS1_11target_archE1200ELNS1_3gpuE4ELNS1_3repE0EEENS1_30default_config_static_selectorELNS0_4arch9wavefront6targetE0EEEvSK_,"axG",@progbits,_ZN7rocprim17ROCPRIM_400000_NS6detail17trampoline_kernelINS0_14default_configENS1_36segmented_radix_sort_config_selectorIalEEZNS1_25segmented_radix_sort_implIS3_Lb1EPKaPaPKlPlN2at6native12_GLOBAL__N_18offset_tEEE10hipError_tPvRmT1_PNSt15iterator_traitsISK_E10value_typeET2_T3_PNSL_ISQ_E10value_typeET4_jRbjT5_SW_jjP12ihipStream_tbEUlT_E2_NS1_11comp_targetILNS1_3genE10ELNS1_11target_archE1200ELNS1_3gpuE4ELNS1_3repE0EEENS1_30default_config_static_selectorELNS0_4arch9wavefront6targetE0EEEvSK_,comdat
	.globl	_ZN7rocprim17ROCPRIM_400000_NS6detail17trampoline_kernelINS0_14default_configENS1_36segmented_radix_sort_config_selectorIalEEZNS1_25segmented_radix_sort_implIS3_Lb1EPKaPaPKlPlN2at6native12_GLOBAL__N_18offset_tEEE10hipError_tPvRmT1_PNSt15iterator_traitsISK_E10value_typeET2_T3_PNSL_ISQ_E10value_typeET4_jRbjT5_SW_jjP12ihipStream_tbEUlT_E2_NS1_11comp_targetILNS1_3genE10ELNS1_11target_archE1200ELNS1_3gpuE4ELNS1_3repE0EEENS1_30default_config_static_selectorELNS0_4arch9wavefront6targetE0EEEvSK_ ; -- Begin function _ZN7rocprim17ROCPRIM_400000_NS6detail17trampoline_kernelINS0_14default_configENS1_36segmented_radix_sort_config_selectorIalEEZNS1_25segmented_radix_sort_implIS3_Lb1EPKaPaPKlPlN2at6native12_GLOBAL__N_18offset_tEEE10hipError_tPvRmT1_PNSt15iterator_traitsISK_E10value_typeET2_T3_PNSL_ISQ_E10value_typeET4_jRbjT5_SW_jjP12ihipStream_tbEUlT_E2_NS1_11comp_targetILNS1_3genE10ELNS1_11target_archE1200ELNS1_3gpuE4ELNS1_3repE0EEENS1_30default_config_static_selectorELNS0_4arch9wavefront6targetE0EEEvSK_
	.p2align	8
	.type	_ZN7rocprim17ROCPRIM_400000_NS6detail17trampoline_kernelINS0_14default_configENS1_36segmented_radix_sort_config_selectorIalEEZNS1_25segmented_radix_sort_implIS3_Lb1EPKaPaPKlPlN2at6native12_GLOBAL__N_18offset_tEEE10hipError_tPvRmT1_PNSt15iterator_traitsISK_E10value_typeET2_T3_PNSL_ISQ_E10value_typeET4_jRbjT5_SW_jjP12ihipStream_tbEUlT_E2_NS1_11comp_targetILNS1_3genE10ELNS1_11target_archE1200ELNS1_3gpuE4ELNS1_3repE0EEENS1_30default_config_static_selectorELNS0_4arch9wavefront6targetE0EEEvSK_,@function
_ZN7rocprim17ROCPRIM_400000_NS6detail17trampoline_kernelINS0_14default_configENS1_36segmented_radix_sort_config_selectorIalEEZNS1_25segmented_radix_sort_implIS3_Lb1EPKaPaPKlPlN2at6native12_GLOBAL__N_18offset_tEEE10hipError_tPvRmT1_PNSt15iterator_traitsISK_E10value_typeET2_T3_PNSL_ISQ_E10value_typeET4_jRbjT5_SW_jjP12ihipStream_tbEUlT_E2_NS1_11comp_targetILNS1_3genE10ELNS1_11target_archE1200ELNS1_3gpuE4ELNS1_3repE0EEENS1_30default_config_static_selectorELNS0_4arch9wavefront6targetE0EEEvSK_: ; @_ZN7rocprim17ROCPRIM_400000_NS6detail17trampoline_kernelINS0_14default_configENS1_36segmented_radix_sort_config_selectorIalEEZNS1_25segmented_radix_sort_implIS3_Lb1EPKaPaPKlPlN2at6native12_GLOBAL__N_18offset_tEEE10hipError_tPvRmT1_PNSt15iterator_traitsISK_E10value_typeET2_T3_PNSL_ISQ_E10value_typeET4_jRbjT5_SW_jjP12ihipStream_tbEUlT_E2_NS1_11comp_targetILNS1_3genE10ELNS1_11target_archE1200ELNS1_3gpuE4ELNS1_3repE0EEENS1_30default_config_static_selectorELNS0_4arch9wavefront6targetE0EEEvSK_
; %bb.0:
	.section	.rodata,"a",@progbits
	.p2align	6, 0x0
	.amdhsa_kernel _ZN7rocprim17ROCPRIM_400000_NS6detail17trampoline_kernelINS0_14default_configENS1_36segmented_radix_sort_config_selectorIalEEZNS1_25segmented_radix_sort_implIS3_Lb1EPKaPaPKlPlN2at6native12_GLOBAL__N_18offset_tEEE10hipError_tPvRmT1_PNSt15iterator_traitsISK_E10value_typeET2_T3_PNSL_ISQ_E10value_typeET4_jRbjT5_SW_jjP12ihipStream_tbEUlT_E2_NS1_11comp_targetILNS1_3genE10ELNS1_11target_archE1200ELNS1_3gpuE4ELNS1_3repE0EEENS1_30default_config_static_selectorELNS0_4arch9wavefront6targetE0EEEvSK_
		.amdhsa_group_segment_fixed_size 0
		.amdhsa_private_segment_fixed_size 0
		.amdhsa_kernarg_size 80
		.amdhsa_user_sgpr_count 6
		.amdhsa_user_sgpr_private_segment_buffer 1
		.amdhsa_user_sgpr_dispatch_ptr 0
		.amdhsa_user_sgpr_queue_ptr 0
		.amdhsa_user_sgpr_kernarg_segment_ptr 1
		.amdhsa_user_sgpr_dispatch_id 0
		.amdhsa_user_sgpr_flat_scratch_init 0
		.amdhsa_user_sgpr_private_segment_size 0
		.amdhsa_wavefront_size32 1
		.amdhsa_uses_dynamic_stack 0
		.amdhsa_system_sgpr_private_segment_wavefront_offset 0
		.amdhsa_system_sgpr_workgroup_id_x 1
		.amdhsa_system_sgpr_workgroup_id_y 0
		.amdhsa_system_sgpr_workgroup_id_z 0
		.amdhsa_system_sgpr_workgroup_info 0
		.amdhsa_system_vgpr_workitem_id 0
		.amdhsa_next_free_vgpr 1
		.amdhsa_next_free_sgpr 1
		.amdhsa_reserve_vcc 0
		.amdhsa_reserve_flat_scratch 0
		.amdhsa_float_round_mode_32 0
		.amdhsa_float_round_mode_16_64 0
		.amdhsa_float_denorm_mode_32 3
		.amdhsa_float_denorm_mode_16_64 3
		.amdhsa_dx10_clamp 1
		.amdhsa_ieee_mode 1
		.amdhsa_fp16_overflow 0
		.amdhsa_workgroup_processor_mode 1
		.amdhsa_memory_ordered 1
		.amdhsa_forward_progress 1
		.amdhsa_shared_vgpr_count 0
		.amdhsa_exception_fp_ieee_invalid_op 0
		.amdhsa_exception_fp_denorm_src 0
		.amdhsa_exception_fp_ieee_div_zero 0
		.amdhsa_exception_fp_ieee_overflow 0
		.amdhsa_exception_fp_ieee_underflow 0
		.amdhsa_exception_fp_ieee_inexact 0
		.amdhsa_exception_int_div_zero 0
	.end_amdhsa_kernel
	.section	.text._ZN7rocprim17ROCPRIM_400000_NS6detail17trampoline_kernelINS0_14default_configENS1_36segmented_radix_sort_config_selectorIalEEZNS1_25segmented_radix_sort_implIS3_Lb1EPKaPaPKlPlN2at6native12_GLOBAL__N_18offset_tEEE10hipError_tPvRmT1_PNSt15iterator_traitsISK_E10value_typeET2_T3_PNSL_ISQ_E10value_typeET4_jRbjT5_SW_jjP12ihipStream_tbEUlT_E2_NS1_11comp_targetILNS1_3genE10ELNS1_11target_archE1200ELNS1_3gpuE4ELNS1_3repE0EEENS1_30default_config_static_selectorELNS0_4arch9wavefront6targetE0EEEvSK_,"axG",@progbits,_ZN7rocprim17ROCPRIM_400000_NS6detail17trampoline_kernelINS0_14default_configENS1_36segmented_radix_sort_config_selectorIalEEZNS1_25segmented_radix_sort_implIS3_Lb1EPKaPaPKlPlN2at6native12_GLOBAL__N_18offset_tEEE10hipError_tPvRmT1_PNSt15iterator_traitsISK_E10value_typeET2_T3_PNSL_ISQ_E10value_typeET4_jRbjT5_SW_jjP12ihipStream_tbEUlT_E2_NS1_11comp_targetILNS1_3genE10ELNS1_11target_archE1200ELNS1_3gpuE4ELNS1_3repE0EEENS1_30default_config_static_selectorELNS0_4arch9wavefront6targetE0EEEvSK_,comdat
.Lfunc_end323:
	.size	_ZN7rocprim17ROCPRIM_400000_NS6detail17trampoline_kernelINS0_14default_configENS1_36segmented_radix_sort_config_selectorIalEEZNS1_25segmented_radix_sort_implIS3_Lb1EPKaPaPKlPlN2at6native12_GLOBAL__N_18offset_tEEE10hipError_tPvRmT1_PNSt15iterator_traitsISK_E10value_typeET2_T3_PNSL_ISQ_E10value_typeET4_jRbjT5_SW_jjP12ihipStream_tbEUlT_E2_NS1_11comp_targetILNS1_3genE10ELNS1_11target_archE1200ELNS1_3gpuE4ELNS1_3repE0EEENS1_30default_config_static_selectorELNS0_4arch9wavefront6targetE0EEEvSK_, .Lfunc_end323-_ZN7rocprim17ROCPRIM_400000_NS6detail17trampoline_kernelINS0_14default_configENS1_36segmented_radix_sort_config_selectorIalEEZNS1_25segmented_radix_sort_implIS3_Lb1EPKaPaPKlPlN2at6native12_GLOBAL__N_18offset_tEEE10hipError_tPvRmT1_PNSt15iterator_traitsISK_E10value_typeET2_T3_PNSL_ISQ_E10value_typeET4_jRbjT5_SW_jjP12ihipStream_tbEUlT_E2_NS1_11comp_targetILNS1_3genE10ELNS1_11target_archE1200ELNS1_3gpuE4ELNS1_3repE0EEENS1_30default_config_static_selectorELNS0_4arch9wavefront6targetE0EEEvSK_
                                        ; -- End function
	.set _ZN7rocprim17ROCPRIM_400000_NS6detail17trampoline_kernelINS0_14default_configENS1_36segmented_radix_sort_config_selectorIalEEZNS1_25segmented_radix_sort_implIS3_Lb1EPKaPaPKlPlN2at6native12_GLOBAL__N_18offset_tEEE10hipError_tPvRmT1_PNSt15iterator_traitsISK_E10value_typeET2_T3_PNSL_ISQ_E10value_typeET4_jRbjT5_SW_jjP12ihipStream_tbEUlT_E2_NS1_11comp_targetILNS1_3genE10ELNS1_11target_archE1200ELNS1_3gpuE4ELNS1_3repE0EEENS1_30default_config_static_selectorELNS0_4arch9wavefront6targetE0EEEvSK_.num_vgpr, 0
	.set _ZN7rocprim17ROCPRIM_400000_NS6detail17trampoline_kernelINS0_14default_configENS1_36segmented_radix_sort_config_selectorIalEEZNS1_25segmented_radix_sort_implIS3_Lb1EPKaPaPKlPlN2at6native12_GLOBAL__N_18offset_tEEE10hipError_tPvRmT1_PNSt15iterator_traitsISK_E10value_typeET2_T3_PNSL_ISQ_E10value_typeET4_jRbjT5_SW_jjP12ihipStream_tbEUlT_E2_NS1_11comp_targetILNS1_3genE10ELNS1_11target_archE1200ELNS1_3gpuE4ELNS1_3repE0EEENS1_30default_config_static_selectorELNS0_4arch9wavefront6targetE0EEEvSK_.num_agpr, 0
	.set _ZN7rocprim17ROCPRIM_400000_NS6detail17trampoline_kernelINS0_14default_configENS1_36segmented_radix_sort_config_selectorIalEEZNS1_25segmented_radix_sort_implIS3_Lb1EPKaPaPKlPlN2at6native12_GLOBAL__N_18offset_tEEE10hipError_tPvRmT1_PNSt15iterator_traitsISK_E10value_typeET2_T3_PNSL_ISQ_E10value_typeET4_jRbjT5_SW_jjP12ihipStream_tbEUlT_E2_NS1_11comp_targetILNS1_3genE10ELNS1_11target_archE1200ELNS1_3gpuE4ELNS1_3repE0EEENS1_30default_config_static_selectorELNS0_4arch9wavefront6targetE0EEEvSK_.numbered_sgpr, 0
	.set _ZN7rocprim17ROCPRIM_400000_NS6detail17trampoline_kernelINS0_14default_configENS1_36segmented_radix_sort_config_selectorIalEEZNS1_25segmented_radix_sort_implIS3_Lb1EPKaPaPKlPlN2at6native12_GLOBAL__N_18offset_tEEE10hipError_tPvRmT1_PNSt15iterator_traitsISK_E10value_typeET2_T3_PNSL_ISQ_E10value_typeET4_jRbjT5_SW_jjP12ihipStream_tbEUlT_E2_NS1_11comp_targetILNS1_3genE10ELNS1_11target_archE1200ELNS1_3gpuE4ELNS1_3repE0EEENS1_30default_config_static_selectorELNS0_4arch9wavefront6targetE0EEEvSK_.num_named_barrier, 0
	.set _ZN7rocprim17ROCPRIM_400000_NS6detail17trampoline_kernelINS0_14default_configENS1_36segmented_radix_sort_config_selectorIalEEZNS1_25segmented_radix_sort_implIS3_Lb1EPKaPaPKlPlN2at6native12_GLOBAL__N_18offset_tEEE10hipError_tPvRmT1_PNSt15iterator_traitsISK_E10value_typeET2_T3_PNSL_ISQ_E10value_typeET4_jRbjT5_SW_jjP12ihipStream_tbEUlT_E2_NS1_11comp_targetILNS1_3genE10ELNS1_11target_archE1200ELNS1_3gpuE4ELNS1_3repE0EEENS1_30default_config_static_selectorELNS0_4arch9wavefront6targetE0EEEvSK_.private_seg_size, 0
	.set _ZN7rocprim17ROCPRIM_400000_NS6detail17trampoline_kernelINS0_14default_configENS1_36segmented_radix_sort_config_selectorIalEEZNS1_25segmented_radix_sort_implIS3_Lb1EPKaPaPKlPlN2at6native12_GLOBAL__N_18offset_tEEE10hipError_tPvRmT1_PNSt15iterator_traitsISK_E10value_typeET2_T3_PNSL_ISQ_E10value_typeET4_jRbjT5_SW_jjP12ihipStream_tbEUlT_E2_NS1_11comp_targetILNS1_3genE10ELNS1_11target_archE1200ELNS1_3gpuE4ELNS1_3repE0EEENS1_30default_config_static_selectorELNS0_4arch9wavefront6targetE0EEEvSK_.uses_vcc, 0
	.set _ZN7rocprim17ROCPRIM_400000_NS6detail17trampoline_kernelINS0_14default_configENS1_36segmented_radix_sort_config_selectorIalEEZNS1_25segmented_radix_sort_implIS3_Lb1EPKaPaPKlPlN2at6native12_GLOBAL__N_18offset_tEEE10hipError_tPvRmT1_PNSt15iterator_traitsISK_E10value_typeET2_T3_PNSL_ISQ_E10value_typeET4_jRbjT5_SW_jjP12ihipStream_tbEUlT_E2_NS1_11comp_targetILNS1_3genE10ELNS1_11target_archE1200ELNS1_3gpuE4ELNS1_3repE0EEENS1_30default_config_static_selectorELNS0_4arch9wavefront6targetE0EEEvSK_.uses_flat_scratch, 0
	.set _ZN7rocprim17ROCPRIM_400000_NS6detail17trampoline_kernelINS0_14default_configENS1_36segmented_radix_sort_config_selectorIalEEZNS1_25segmented_radix_sort_implIS3_Lb1EPKaPaPKlPlN2at6native12_GLOBAL__N_18offset_tEEE10hipError_tPvRmT1_PNSt15iterator_traitsISK_E10value_typeET2_T3_PNSL_ISQ_E10value_typeET4_jRbjT5_SW_jjP12ihipStream_tbEUlT_E2_NS1_11comp_targetILNS1_3genE10ELNS1_11target_archE1200ELNS1_3gpuE4ELNS1_3repE0EEENS1_30default_config_static_selectorELNS0_4arch9wavefront6targetE0EEEvSK_.has_dyn_sized_stack, 0
	.set _ZN7rocprim17ROCPRIM_400000_NS6detail17trampoline_kernelINS0_14default_configENS1_36segmented_radix_sort_config_selectorIalEEZNS1_25segmented_radix_sort_implIS3_Lb1EPKaPaPKlPlN2at6native12_GLOBAL__N_18offset_tEEE10hipError_tPvRmT1_PNSt15iterator_traitsISK_E10value_typeET2_T3_PNSL_ISQ_E10value_typeET4_jRbjT5_SW_jjP12ihipStream_tbEUlT_E2_NS1_11comp_targetILNS1_3genE10ELNS1_11target_archE1200ELNS1_3gpuE4ELNS1_3repE0EEENS1_30default_config_static_selectorELNS0_4arch9wavefront6targetE0EEEvSK_.has_recursion, 0
	.set _ZN7rocprim17ROCPRIM_400000_NS6detail17trampoline_kernelINS0_14default_configENS1_36segmented_radix_sort_config_selectorIalEEZNS1_25segmented_radix_sort_implIS3_Lb1EPKaPaPKlPlN2at6native12_GLOBAL__N_18offset_tEEE10hipError_tPvRmT1_PNSt15iterator_traitsISK_E10value_typeET2_T3_PNSL_ISQ_E10value_typeET4_jRbjT5_SW_jjP12ihipStream_tbEUlT_E2_NS1_11comp_targetILNS1_3genE10ELNS1_11target_archE1200ELNS1_3gpuE4ELNS1_3repE0EEENS1_30default_config_static_selectorELNS0_4arch9wavefront6targetE0EEEvSK_.has_indirect_call, 0
	.section	.AMDGPU.csdata,"",@progbits
; Kernel info:
; codeLenInByte = 0
; TotalNumSgprs: 0
; NumVgprs: 0
; ScratchSize: 0
; MemoryBound: 0
; FloatMode: 240
; IeeeMode: 1
; LDSByteSize: 0 bytes/workgroup (compile time only)
; SGPRBlocks: 0
; VGPRBlocks: 0
; NumSGPRsForWavesPerEU: 1
; NumVGPRsForWavesPerEU: 1
; Occupancy: 16
; WaveLimiterHint : 0
; COMPUTE_PGM_RSRC2:SCRATCH_EN: 0
; COMPUTE_PGM_RSRC2:USER_SGPR: 6
; COMPUTE_PGM_RSRC2:TRAP_HANDLER: 0
; COMPUTE_PGM_RSRC2:TGID_X_EN: 1
; COMPUTE_PGM_RSRC2:TGID_Y_EN: 0
; COMPUTE_PGM_RSRC2:TGID_Z_EN: 0
; COMPUTE_PGM_RSRC2:TIDIG_COMP_CNT: 0
	.section	.text._ZN7rocprim17ROCPRIM_400000_NS6detail17trampoline_kernelINS0_14default_configENS1_36segmented_radix_sort_config_selectorIalEEZNS1_25segmented_radix_sort_implIS3_Lb1EPKaPaPKlPlN2at6native12_GLOBAL__N_18offset_tEEE10hipError_tPvRmT1_PNSt15iterator_traitsISK_E10value_typeET2_T3_PNSL_ISQ_E10value_typeET4_jRbjT5_SW_jjP12ihipStream_tbEUlT_E2_NS1_11comp_targetILNS1_3genE9ELNS1_11target_archE1100ELNS1_3gpuE3ELNS1_3repE0EEENS1_30default_config_static_selectorELNS0_4arch9wavefront6targetE0EEEvSK_,"axG",@progbits,_ZN7rocprim17ROCPRIM_400000_NS6detail17trampoline_kernelINS0_14default_configENS1_36segmented_radix_sort_config_selectorIalEEZNS1_25segmented_radix_sort_implIS3_Lb1EPKaPaPKlPlN2at6native12_GLOBAL__N_18offset_tEEE10hipError_tPvRmT1_PNSt15iterator_traitsISK_E10value_typeET2_T3_PNSL_ISQ_E10value_typeET4_jRbjT5_SW_jjP12ihipStream_tbEUlT_E2_NS1_11comp_targetILNS1_3genE9ELNS1_11target_archE1100ELNS1_3gpuE3ELNS1_3repE0EEENS1_30default_config_static_selectorELNS0_4arch9wavefront6targetE0EEEvSK_,comdat
	.globl	_ZN7rocprim17ROCPRIM_400000_NS6detail17trampoline_kernelINS0_14default_configENS1_36segmented_radix_sort_config_selectorIalEEZNS1_25segmented_radix_sort_implIS3_Lb1EPKaPaPKlPlN2at6native12_GLOBAL__N_18offset_tEEE10hipError_tPvRmT1_PNSt15iterator_traitsISK_E10value_typeET2_T3_PNSL_ISQ_E10value_typeET4_jRbjT5_SW_jjP12ihipStream_tbEUlT_E2_NS1_11comp_targetILNS1_3genE9ELNS1_11target_archE1100ELNS1_3gpuE3ELNS1_3repE0EEENS1_30default_config_static_selectorELNS0_4arch9wavefront6targetE0EEEvSK_ ; -- Begin function _ZN7rocprim17ROCPRIM_400000_NS6detail17trampoline_kernelINS0_14default_configENS1_36segmented_radix_sort_config_selectorIalEEZNS1_25segmented_radix_sort_implIS3_Lb1EPKaPaPKlPlN2at6native12_GLOBAL__N_18offset_tEEE10hipError_tPvRmT1_PNSt15iterator_traitsISK_E10value_typeET2_T3_PNSL_ISQ_E10value_typeET4_jRbjT5_SW_jjP12ihipStream_tbEUlT_E2_NS1_11comp_targetILNS1_3genE9ELNS1_11target_archE1100ELNS1_3gpuE3ELNS1_3repE0EEENS1_30default_config_static_selectorELNS0_4arch9wavefront6targetE0EEEvSK_
	.p2align	8
	.type	_ZN7rocprim17ROCPRIM_400000_NS6detail17trampoline_kernelINS0_14default_configENS1_36segmented_radix_sort_config_selectorIalEEZNS1_25segmented_radix_sort_implIS3_Lb1EPKaPaPKlPlN2at6native12_GLOBAL__N_18offset_tEEE10hipError_tPvRmT1_PNSt15iterator_traitsISK_E10value_typeET2_T3_PNSL_ISQ_E10value_typeET4_jRbjT5_SW_jjP12ihipStream_tbEUlT_E2_NS1_11comp_targetILNS1_3genE9ELNS1_11target_archE1100ELNS1_3gpuE3ELNS1_3repE0EEENS1_30default_config_static_selectorELNS0_4arch9wavefront6targetE0EEEvSK_,@function
_ZN7rocprim17ROCPRIM_400000_NS6detail17trampoline_kernelINS0_14default_configENS1_36segmented_radix_sort_config_selectorIalEEZNS1_25segmented_radix_sort_implIS3_Lb1EPKaPaPKlPlN2at6native12_GLOBAL__N_18offset_tEEE10hipError_tPvRmT1_PNSt15iterator_traitsISK_E10value_typeET2_T3_PNSL_ISQ_E10value_typeET4_jRbjT5_SW_jjP12ihipStream_tbEUlT_E2_NS1_11comp_targetILNS1_3genE9ELNS1_11target_archE1100ELNS1_3gpuE3ELNS1_3repE0EEENS1_30default_config_static_selectorELNS0_4arch9wavefront6targetE0EEEvSK_: ; @_ZN7rocprim17ROCPRIM_400000_NS6detail17trampoline_kernelINS0_14default_configENS1_36segmented_radix_sort_config_selectorIalEEZNS1_25segmented_radix_sort_implIS3_Lb1EPKaPaPKlPlN2at6native12_GLOBAL__N_18offset_tEEE10hipError_tPvRmT1_PNSt15iterator_traitsISK_E10value_typeET2_T3_PNSL_ISQ_E10value_typeET4_jRbjT5_SW_jjP12ihipStream_tbEUlT_E2_NS1_11comp_targetILNS1_3genE9ELNS1_11target_archE1100ELNS1_3gpuE3ELNS1_3repE0EEENS1_30default_config_static_selectorELNS0_4arch9wavefront6targetE0EEEvSK_
; %bb.0:
	.section	.rodata,"a",@progbits
	.p2align	6, 0x0
	.amdhsa_kernel _ZN7rocprim17ROCPRIM_400000_NS6detail17trampoline_kernelINS0_14default_configENS1_36segmented_radix_sort_config_selectorIalEEZNS1_25segmented_radix_sort_implIS3_Lb1EPKaPaPKlPlN2at6native12_GLOBAL__N_18offset_tEEE10hipError_tPvRmT1_PNSt15iterator_traitsISK_E10value_typeET2_T3_PNSL_ISQ_E10value_typeET4_jRbjT5_SW_jjP12ihipStream_tbEUlT_E2_NS1_11comp_targetILNS1_3genE9ELNS1_11target_archE1100ELNS1_3gpuE3ELNS1_3repE0EEENS1_30default_config_static_selectorELNS0_4arch9wavefront6targetE0EEEvSK_
		.amdhsa_group_segment_fixed_size 0
		.amdhsa_private_segment_fixed_size 0
		.amdhsa_kernarg_size 80
		.amdhsa_user_sgpr_count 6
		.amdhsa_user_sgpr_private_segment_buffer 1
		.amdhsa_user_sgpr_dispatch_ptr 0
		.amdhsa_user_sgpr_queue_ptr 0
		.amdhsa_user_sgpr_kernarg_segment_ptr 1
		.amdhsa_user_sgpr_dispatch_id 0
		.amdhsa_user_sgpr_flat_scratch_init 0
		.amdhsa_user_sgpr_private_segment_size 0
		.amdhsa_wavefront_size32 1
		.amdhsa_uses_dynamic_stack 0
		.amdhsa_system_sgpr_private_segment_wavefront_offset 0
		.amdhsa_system_sgpr_workgroup_id_x 1
		.amdhsa_system_sgpr_workgroup_id_y 0
		.amdhsa_system_sgpr_workgroup_id_z 0
		.amdhsa_system_sgpr_workgroup_info 0
		.amdhsa_system_vgpr_workitem_id 0
		.amdhsa_next_free_vgpr 1
		.amdhsa_next_free_sgpr 1
		.amdhsa_reserve_vcc 0
		.amdhsa_reserve_flat_scratch 0
		.amdhsa_float_round_mode_32 0
		.amdhsa_float_round_mode_16_64 0
		.amdhsa_float_denorm_mode_32 3
		.amdhsa_float_denorm_mode_16_64 3
		.amdhsa_dx10_clamp 1
		.amdhsa_ieee_mode 1
		.amdhsa_fp16_overflow 0
		.amdhsa_workgroup_processor_mode 1
		.amdhsa_memory_ordered 1
		.amdhsa_forward_progress 1
		.amdhsa_shared_vgpr_count 0
		.amdhsa_exception_fp_ieee_invalid_op 0
		.amdhsa_exception_fp_denorm_src 0
		.amdhsa_exception_fp_ieee_div_zero 0
		.amdhsa_exception_fp_ieee_overflow 0
		.amdhsa_exception_fp_ieee_underflow 0
		.amdhsa_exception_fp_ieee_inexact 0
		.amdhsa_exception_int_div_zero 0
	.end_amdhsa_kernel
	.section	.text._ZN7rocprim17ROCPRIM_400000_NS6detail17trampoline_kernelINS0_14default_configENS1_36segmented_radix_sort_config_selectorIalEEZNS1_25segmented_radix_sort_implIS3_Lb1EPKaPaPKlPlN2at6native12_GLOBAL__N_18offset_tEEE10hipError_tPvRmT1_PNSt15iterator_traitsISK_E10value_typeET2_T3_PNSL_ISQ_E10value_typeET4_jRbjT5_SW_jjP12ihipStream_tbEUlT_E2_NS1_11comp_targetILNS1_3genE9ELNS1_11target_archE1100ELNS1_3gpuE3ELNS1_3repE0EEENS1_30default_config_static_selectorELNS0_4arch9wavefront6targetE0EEEvSK_,"axG",@progbits,_ZN7rocprim17ROCPRIM_400000_NS6detail17trampoline_kernelINS0_14default_configENS1_36segmented_radix_sort_config_selectorIalEEZNS1_25segmented_radix_sort_implIS3_Lb1EPKaPaPKlPlN2at6native12_GLOBAL__N_18offset_tEEE10hipError_tPvRmT1_PNSt15iterator_traitsISK_E10value_typeET2_T3_PNSL_ISQ_E10value_typeET4_jRbjT5_SW_jjP12ihipStream_tbEUlT_E2_NS1_11comp_targetILNS1_3genE9ELNS1_11target_archE1100ELNS1_3gpuE3ELNS1_3repE0EEENS1_30default_config_static_selectorELNS0_4arch9wavefront6targetE0EEEvSK_,comdat
.Lfunc_end324:
	.size	_ZN7rocprim17ROCPRIM_400000_NS6detail17trampoline_kernelINS0_14default_configENS1_36segmented_radix_sort_config_selectorIalEEZNS1_25segmented_radix_sort_implIS3_Lb1EPKaPaPKlPlN2at6native12_GLOBAL__N_18offset_tEEE10hipError_tPvRmT1_PNSt15iterator_traitsISK_E10value_typeET2_T3_PNSL_ISQ_E10value_typeET4_jRbjT5_SW_jjP12ihipStream_tbEUlT_E2_NS1_11comp_targetILNS1_3genE9ELNS1_11target_archE1100ELNS1_3gpuE3ELNS1_3repE0EEENS1_30default_config_static_selectorELNS0_4arch9wavefront6targetE0EEEvSK_, .Lfunc_end324-_ZN7rocprim17ROCPRIM_400000_NS6detail17trampoline_kernelINS0_14default_configENS1_36segmented_radix_sort_config_selectorIalEEZNS1_25segmented_radix_sort_implIS3_Lb1EPKaPaPKlPlN2at6native12_GLOBAL__N_18offset_tEEE10hipError_tPvRmT1_PNSt15iterator_traitsISK_E10value_typeET2_T3_PNSL_ISQ_E10value_typeET4_jRbjT5_SW_jjP12ihipStream_tbEUlT_E2_NS1_11comp_targetILNS1_3genE9ELNS1_11target_archE1100ELNS1_3gpuE3ELNS1_3repE0EEENS1_30default_config_static_selectorELNS0_4arch9wavefront6targetE0EEEvSK_
                                        ; -- End function
	.set _ZN7rocprim17ROCPRIM_400000_NS6detail17trampoline_kernelINS0_14default_configENS1_36segmented_radix_sort_config_selectorIalEEZNS1_25segmented_radix_sort_implIS3_Lb1EPKaPaPKlPlN2at6native12_GLOBAL__N_18offset_tEEE10hipError_tPvRmT1_PNSt15iterator_traitsISK_E10value_typeET2_T3_PNSL_ISQ_E10value_typeET4_jRbjT5_SW_jjP12ihipStream_tbEUlT_E2_NS1_11comp_targetILNS1_3genE9ELNS1_11target_archE1100ELNS1_3gpuE3ELNS1_3repE0EEENS1_30default_config_static_selectorELNS0_4arch9wavefront6targetE0EEEvSK_.num_vgpr, 0
	.set _ZN7rocprim17ROCPRIM_400000_NS6detail17trampoline_kernelINS0_14default_configENS1_36segmented_radix_sort_config_selectorIalEEZNS1_25segmented_radix_sort_implIS3_Lb1EPKaPaPKlPlN2at6native12_GLOBAL__N_18offset_tEEE10hipError_tPvRmT1_PNSt15iterator_traitsISK_E10value_typeET2_T3_PNSL_ISQ_E10value_typeET4_jRbjT5_SW_jjP12ihipStream_tbEUlT_E2_NS1_11comp_targetILNS1_3genE9ELNS1_11target_archE1100ELNS1_3gpuE3ELNS1_3repE0EEENS1_30default_config_static_selectorELNS0_4arch9wavefront6targetE0EEEvSK_.num_agpr, 0
	.set _ZN7rocprim17ROCPRIM_400000_NS6detail17trampoline_kernelINS0_14default_configENS1_36segmented_radix_sort_config_selectorIalEEZNS1_25segmented_radix_sort_implIS3_Lb1EPKaPaPKlPlN2at6native12_GLOBAL__N_18offset_tEEE10hipError_tPvRmT1_PNSt15iterator_traitsISK_E10value_typeET2_T3_PNSL_ISQ_E10value_typeET4_jRbjT5_SW_jjP12ihipStream_tbEUlT_E2_NS1_11comp_targetILNS1_3genE9ELNS1_11target_archE1100ELNS1_3gpuE3ELNS1_3repE0EEENS1_30default_config_static_selectorELNS0_4arch9wavefront6targetE0EEEvSK_.numbered_sgpr, 0
	.set _ZN7rocprim17ROCPRIM_400000_NS6detail17trampoline_kernelINS0_14default_configENS1_36segmented_radix_sort_config_selectorIalEEZNS1_25segmented_radix_sort_implIS3_Lb1EPKaPaPKlPlN2at6native12_GLOBAL__N_18offset_tEEE10hipError_tPvRmT1_PNSt15iterator_traitsISK_E10value_typeET2_T3_PNSL_ISQ_E10value_typeET4_jRbjT5_SW_jjP12ihipStream_tbEUlT_E2_NS1_11comp_targetILNS1_3genE9ELNS1_11target_archE1100ELNS1_3gpuE3ELNS1_3repE0EEENS1_30default_config_static_selectorELNS0_4arch9wavefront6targetE0EEEvSK_.num_named_barrier, 0
	.set _ZN7rocprim17ROCPRIM_400000_NS6detail17trampoline_kernelINS0_14default_configENS1_36segmented_radix_sort_config_selectorIalEEZNS1_25segmented_radix_sort_implIS3_Lb1EPKaPaPKlPlN2at6native12_GLOBAL__N_18offset_tEEE10hipError_tPvRmT1_PNSt15iterator_traitsISK_E10value_typeET2_T3_PNSL_ISQ_E10value_typeET4_jRbjT5_SW_jjP12ihipStream_tbEUlT_E2_NS1_11comp_targetILNS1_3genE9ELNS1_11target_archE1100ELNS1_3gpuE3ELNS1_3repE0EEENS1_30default_config_static_selectorELNS0_4arch9wavefront6targetE0EEEvSK_.private_seg_size, 0
	.set _ZN7rocprim17ROCPRIM_400000_NS6detail17trampoline_kernelINS0_14default_configENS1_36segmented_radix_sort_config_selectorIalEEZNS1_25segmented_radix_sort_implIS3_Lb1EPKaPaPKlPlN2at6native12_GLOBAL__N_18offset_tEEE10hipError_tPvRmT1_PNSt15iterator_traitsISK_E10value_typeET2_T3_PNSL_ISQ_E10value_typeET4_jRbjT5_SW_jjP12ihipStream_tbEUlT_E2_NS1_11comp_targetILNS1_3genE9ELNS1_11target_archE1100ELNS1_3gpuE3ELNS1_3repE0EEENS1_30default_config_static_selectorELNS0_4arch9wavefront6targetE0EEEvSK_.uses_vcc, 0
	.set _ZN7rocprim17ROCPRIM_400000_NS6detail17trampoline_kernelINS0_14default_configENS1_36segmented_radix_sort_config_selectorIalEEZNS1_25segmented_radix_sort_implIS3_Lb1EPKaPaPKlPlN2at6native12_GLOBAL__N_18offset_tEEE10hipError_tPvRmT1_PNSt15iterator_traitsISK_E10value_typeET2_T3_PNSL_ISQ_E10value_typeET4_jRbjT5_SW_jjP12ihipStream_tbEUlT_E2_NS1_11comp_targetILNS1_3genE9ELNS1_11target_archE1100ELNS1_3gpuE3ELNS1_3repE0EEENS1_30default_config_static_selectorELNS0_4arch9wavefront6targetE0EEEvSK_.uses_flat_scratch, 0
	.set _ZN7rocprim17ROCPRIM_400000_NS6detail17trampoline_kernelINS0_14default_configENS1_36segmented_radix_sort_config_selectorIalEEZNS1_25segmented_radix_sort_implIS3_Lb1EPKaPaPKlPlN2at6native12_GLOBAL__N_18offset_tEEE10hipError_tPvRmT1_PNSt15iterator_traitsISK_E10value_typeET2_T3_PNSL_ISQ_E10value_typeET4_jRbjT5_SW_jjP12ihipStream_tbEUlT_E2_NS1_11comp_targetILNS1_3genE9ELNS1_11target_archE1100ELNS1_3gpuE3ELNS1_3repE0EEENS1_30default_config_static_selectorELNS0_4arch9wavefront6targetE0EEEvSK_.has_dyn_sized_stack, 0
	.set _ZN7rocprim17ROCPRIM_400000_NS6detail17trampoline_kernelINS0_14default_configENS1_36segmented_radix_sort_config_selectorIalEEZNS1_25segmented_radix_sort_implIS3_Lb1EPKaPaPKlPlN2at6native12_GLOBAL__N_18offset_tEEE10hipError_tPvRmT1_PNSt15iterator_traitsISK_E10value_typeET2_T3_PNSL_ISQ_E10value_typeET4_jRbjT5_SW_jjP12ihipStream_tbEUlT_E2_NS1_11comp_targetILNS1_3genE9ELNS1_11target_archE1100ELNS1_3gpuE3ELNS1_3repE0EEENS1_30default_config_static_selectorELNS0_4arch9wavefront6targetE0EEEvSK_.has_recursion, 0
	.set _ZN7rocprim17ROCPRIM_400000_NS6detail17trampoline_kernelINS0_14default_configENS1_36segmented_radix_sort_config_selectorIalEEZNS1_25segmented_radix_sort_implIS3_Lb1EPKaPaPKlPlN2at6native12_GLOBAL__N_18offset_tEEE10hipError_tPvRmT1_PNSt15iterator_traitsISK_E10value_typeET2_T3_PNSL_ISQ_E10value_typeET4_jRbjT5_SW_jjP12ihipStream_tbEUlT_E2_NS1_11comp_targetILNS1_3genE9ELNS1_11target_archE1100ELNS1_3gpuE3ELNS1_3repE0EEENS1_30default_config_static_selectorELNS0_4arch9wavefront6targetE0EEEvSK_.has_indirect_call, 0
	.section	.AMDGPU.csdata,"",@progbits
; Kernel info:
; codeLenInByte = 0
; TotalNumSgprs: 0
; NumVgprs: 0
; ScratchSize: 0
; MemoryBound: 0
; FloatMode: 240
; IeeeMode: 1
; LDSByteSize: 0 bytes/workgroup (compile time only)
; SGPRBlocks: 0
; VGPRBlocks: 0
; NumSGPRsForWavesPerEU: 1
; NumVGPRsForWavesPerEU: 1
; Occupancy: 16
; WaveLimiterHint : 0
; COMPUTE_PGM_RSRC2:SCRATCH_EN: 0
; COMPUTE_PGM_RSRC2:USER_SGPR: 6
; COMPUTE_PGM_RSRC2:TRAP_HANDLER: 0
; COMPUTE_PGM_RSRC2:TGID_X_EN: 1
; COMPUTE_PGM_RSRC2:TGID_Y_EN: 0
; COMPUTE_PGM_RSRC2:TGID_Z_EN: 0
; COMPUTE_PGM_RSRC2:TIDIG_COMP_CNT: 0
	.section	.text._ZN7rocprim17ROCPRIM_400000_NS6detail17trampoline_kernelINS0_14default_configENS1_36segmented_radix_sort_config_selectorIalEEZNS1_25segmented_radix_sort_implIS3_Lb1EPKaPaPKlPlN2at6native12_GLOBAL__N_18offset_tEEE10hipError_tPvRmT1_PNSt15iterator_traitsISK_E10value_typeET2_T3_PNSL_ISQ_E10value_typeET4_jRbjT5_SW_jjP12ihipStream_tbEUlT_E2_NS1_11comp_targetILNS1_3genE8ELNS1_11target_archE1030ELNS1_3gpuE2ELNS1_3repE0EEENS1_30default_config_static_selectorELNS0_4arch9wavefront6targetE0EEEvSK_,"axG",@progbits,_ZN7rocprim17ROCPRIM_400000_NS6detail17trampoline_kernelINS0_14default_configENS1_36segmented_radix_sort_config_selectorIalEEZNS1_25segmented_radix_sort_implIS3_Lb1EPKaPaPKlPlN2at6native12_GLOBAL__N_18offset_tEEE10hipError_tPvRmT1_PNSt15iterator_traitsISK_E10value_typeET2_T3_PNSL_ISQ_E10value_typeET4_jRbjT5_SW_jjP12ihipStream_tbEUlT_E2_NS1_11comp_targetILNS1_3genE8ELNS1_11target_archE1030ELNS1_3gpuE2ELNS1_3repE0EEENS1_30default_config_static_selectorELNS0_4arch9wavefront6targetE0EEEvSK_,comdat
	.globl	_ZN7rocprim17ROCPRIM_400000_NS6detail17trampoline_kernelINS0_14default_configENS1_36segmented_radix_sort_config_selectorIalEEZNS1_25segmented_radix_sort_implIS3_Lb1EPKaPaPKlPlN2at6native12_GLOBAL__N_18offset_tEEE10hipError_tPvRmT1_PNSt15iterator_traitsISK_E10value_typeET2_T3_PNSL_ISQ_E10value_typeET4_jRbjT5_SW_jjP12ihipStream_tbEUlT_E2_NS1_11comp_targetILNS1_3genE8ELNS1_11target_archE1030ELNS1_3gpuE2ELNS1_3repE0EEENS1_30default_config_static_selectorELNS0_4arch9wavefront6targetE0EEEvSK_ ; -- Begin function _ZN7rocprim17ROCPRIM_400000_NS6detail17trampoline_kernelINS0_14default_configENS1_36segmented_radix_sort_config_selectorIalEEZNS1_25segmented_radix_sort_implIS3_Lb1EPKaPaPKlPlN2at6native12_GLOBAL__N_18offset_tEEE10hipError_tPvRmT1_PNSt15iterator_traitsISK_E10value_typeET2_T3_PNSL_ISQ_E10value_typeET4_jRbjT5_SW_jjP12ihipStream_tbEUlT_E2_NS1_11comp_targetILNS1_3genE8ELNS1_11target_archE1030ELNS1_3gpuE2ELNS1_3repE0EEENS1_30default_config_static_selectorELNS0_4arch9wavefront6targetE0EEEvSK_
	.p2align	8
	.type	_ZN7rocprim17ROCPRIM_400000_NS6detail17trampoline_kernelINS0_14default_configENS1_36segmented_radix_sort_config_selectorIalEEZNS1_25segmented_radix_sort_implIS3_Lb1EPKaPaPKlPlN2at6native12_GLOBAL__N_18offset_tEEE10hipError_tPvRmT1_PNSt15iterator_traitsISK_E10value_typeET2_T3_PNSL_ISQ_E10value_typeET4_jRbjT5_SW_jjP12ihipStream_tbEUlT_E2_NS1_11comp_targetILNS1_3genE8ELNS1_11target_archE1030ELNS1_3gpuE2ELNS1_3repE0EEENS1_30default_config_static_selectorELNS0_4arch9wavefront6targetE0EEEvSK_,@function
_ZN7rocprim17ROCPRIM_400000_NS6detail17trampoline_kernelINS0_14default_configENS1_36segmented_radix_sort_config_selectorIalEEZNS1_25segmented_radix_sort_implIS3_Lb1EPKaPaPKlPlN2at6native12_GLOBAL__N_18offset_tEEE10hipError_tPvRmT1_PNSt15iterator_traitsISK_E10value_typeET2_T3_PNSL_ISQ_E10value_typeET4_jRbjT5_SW_jjP12ihipStream_tbEUlT_E2_NS1_11comp_targetILNS1_3genE8ELNS1_11target_archE1030ELNS1_3gpuE2ELNS1_3repE0EEENS1_30default_config_static_selectorELNS0_4arch9wavefront6targetE0EEEvSK_: ; @_ZN7rocprim17ROCPRIM_400000_NS6detail17trampoline_kernelINS0_14default_configENS1_36segmented_radix_sort_config_selectorIalEEZNS1_25segmented_radix_sort_implIS3_Lb1EPKaPaPKlPlN2at6native12_GLOBAL__N_18offset_tEEE10hipError_tPvRmT1_PNSt15iterator_traitsISK_E10value_typeET2_T3_PNSL_ISQ_E10value_typeET4_jRbjT5_SW_jjP12ihipStream_tbEUlT_E2_NS1_11comp_targetILNS1_3genE8ELNS1_11target_archE1030ELNS1_3gpuE2ELNS1_3repE0EEENS1_30default_config_static_selectorELNS0_4arch9wavefront6targetE0EEEvSK_
; %bb.0:
	s_add_u32 s0, s0, s8
	s_load_dwordx4 s[8:11], s[4:5], 0x34
	s_addc_u32 s1, s1, 0
	s_mov_b32 s32, 0
	s_waitcnt lgkmcnt(0)
	s_add_i32 s58, s9, s6
	s_add_i32 s59, s11, s6
	s_mul_i32 s58, s58, s8
	s_mul_i32 s59, s59, s10
	s_cmp_le_u32 s59, s58
	s_cbranch_scc1 .LBB325_1262
; %bb.1:
	s_clause 0x3
	s_load_dword s8, s[4:5], 0x30
	s_load_dwordx4 s[52:55], s[4:5], 0x20
	s_load_dwordx4 s[40:43], s[4:5], 0x44
	s_load_dwordx8 s[44:51], s[4:5], 0x0
	s_waitcnt lgkmcnt(0)
	s_bitcmp1_b32 s8, 0
	s_mov_b32 s8, -1
	s_cselect_b32 s43, -1, 0
	s_sub_i32 s60, s59, s58
	s_cmpk_lt_u32 s60, 0x1101
	s_cbranch_scc0 .LBB325_15
; %bb.2:
	s_cmpk_lt_u32 s60, 0x81
	s_cbranch_scc0 .LBB325_9
; %bb.3:
	s_load_dword s8, s[4:5], 0x5c
	s_mov_b32 s19, exec_lo
	s_waitcnt lgkmcnt(0)
	s_lshr_b32 s9, s8, 16
	s_and_b32 s8, s8, 0xffff
	v_mad_u32_u24 v3, v2, s9, v1
	v_mad_u64_u32 v[3:4], null, v3, s8, v[0:1]
	v_cmpx_gt_u32_e32 32, v3
	s_cbranch_execz .LBB325_8
; %bb.4:
	v_cndmask_b32_e64 v3, 0, 1, s43
	s_and_b32 s8, s40, 1
	v_cmp_ne_u32_e32 vcc_lo, s8, v3
	s_mov_b32 s8, -1
	s_cbranch_vccnz .LBB325_6
; %bb.5:
	v_lshlrev_b32_e32 v3, 20, v2
	v_lshlrev_b32_e32 v4, 10, v1
	s_mov_b64 s[10:11], src_shared_base
	v_mov_b32_e32 v40, v0
	v_mov_b32_e32 v41, v1
	;; [unrolled: 1-line block ×3, first 2 shown]
	v_or3_b32 v31, v0, v4, v3
	v_mov_b32_e32 v0, s44
	v_mov_b32_e32 v42, v2
	;; [unrolled: 1-line block ×14, first 2 shown]
	s_add_u32 s8, s4, 0x50
	s_addc_u32 s9, s5, 0
	s_getpc_b64 s[14:15]
	s_add_u32 s14, s14, _ZN7rocprim17ROCPRIM_400000_NS6detail26segmented_warp_sort_helperINS1_20WarpSortHelperConfigILj32ELj4ELj256EEEalLi256ELb1EvE4sortIPKaPaPKlPlEEvT_T0_T1_T2_jjjjRNS5_12storage_typeE@rel32@lo+4
	s_addc_u32 s15, s15, _ZN7rocprim17ROCPRIM_400000_NS6detail26segmented_warp_sort_helperINS1_20WarpSortHelperConfigILj32ELj4ELj256EEEalLi256ELb1EvE4sortIPKaPaPKlPlEEvT_T0_T1_T2_jjjjRNS5_12storage_typeE@rel32@hi+12
	s_mov_b32 s12, s6
	s_mov_b32 s13, s7
	s_mov_b64 s[20:21], s[4:5]
	s_mov_b32 s22, s7
	s_mov_b32 s23, s6
	s_swappc_b64 s[30:31], s[14:15]
	v_mov_b32_e32 v1, v41
	v_mov_b32_e32 v2, v42
	;; [unrolled: 1-line block ×3, first 2 shown]
	s_mov_b32 s6, s23
	s_mov_b32 s7, s22
	s_mov_b64 s[4:5], s[20:21]
	s_mov_b32 s8, 0
.LBB325_6:
	s_andn2_b32 vcc_lo, exec_lo, s8
	s_cbranch_vccnz .LBB325_8
; %bb.7:
	v_lshlrev_b32_e32 v3, 20, v2
	v_lshlrev_b32_e32 v4, 10, v1
	s_mov_b64 s[10:11], src_shared_base
	v_mov_b32_e32 v40, v0
	v_mov_b32_e32 v41, v1
	;; [unrolled: 1-line block ×3, first 2 shown]
	v_or3_b32 v31, v0, v4, v3
	v_mov_b32_e32 v0, s44
	v_mov_b32_e32 v42, v2
	;; [unrolled: 1-line block ×14, first 2 shown]
	s_add_u32 s8, s4, 0x50
	s_addc_u32 s9, s5, 0
	s_getpc_b64 s[14:15]
	s_add_u32 s14, s14, _ZN7rocprim17ROCPRIM_400000_NS6detail26segmented_warp_sort_helperINS1_20WarpSortHelperConfigILj32ELj4ELj256EEEalLi256ELb1EvE4sortIPKaPaPKlPlEEvT_T0_T1_T2_jjjjRNS5_12storage_typeE@rel32@lo+4
	s_addc_u32 s15, s15, _ZN7rocprim17ROCPRIM_400000_NS6detail26segmented_warp_sort_helperINS1_20WarpSortHelperConfigILj32ELj4ELj256EEEalLi256ELb1EvE4sortIPKaPaPKlPlEEvT_T0_T1_T2_jjjjRNS5_12storage_typeE@rel32@hi+12
	s_mov_b32 s12, s6
	s_mov_b32 s13, s7
	s_mov_b64 s[20:21], s[4:5]
	s_mov_b32 s23, s7
	s_mov_b32 s22, s6
	s_swappc_b64 s[30:31], s[14:15]
	v_mov_b32_e32 v1, v41
	v_mov_b32_e32 v2, v42
	;; [unrolled: 1-line block ×3, first 2 shown]
	s_mov_b32 s6, s22
	s_mov_b32 s7, s23
	s_mov_b64 s[4:5], s[20:21]
.LBB325_8:
	s_or_b32 exec_lo, exec_lo, s19
	s_mov_b32 s8, 0
.LBB325_9:
	s_andn2_b32 vcc_lo, exec_lo, s8
	s_cbranch_vccnz .LBB325_14
; %bb.10:
	v_cndmask_b32_e64 v3, 0, 1, s43
	s_and_b32 s8, s40, 1
	v_lshlrev_b32_e32 v41, 20, v2
	v_lshlrev_b32_e32 v42, 10, v1
	v_cmp_ne_u32_e32 vcc_lo, s8, v3
	s_mov_b32 s8, -1
	s_cbranch_vccnz .LBB325_12
; %bb.11:
	s_mov_b64 s[10:11], src_shared_base
	v_or3_b32 v31, v0, v42, v41
	v_mov_b32_e32 v40, v0
	v_mov_b32_e32 v0, s44
	v_mov_b32_e32 v43, v1
	v_mov_b32_e32 v1, s45
	v_mov_b32_e32 v44, v2
	v_mov_b32_e32 v2, s48
	v_mov_b32_e32 v3, s49
	v_mov_b32_e32 v4, s50
	v_mov_b32_e32 v5, s51
	v_mov_b32_e32 v6, s54
	v_mov_b32_e32 v7, s55
	v_mov_b32_e32 v8, s58
	v_mov_b32_e32 v9, s59
	v_mov_b32_e32 v10, s41
	v_mov_b32_e32 v11, s42
	v_mov_b32_e32 v12, 0
	v_mov_b32_e32 v13, s11
	s_add_u32 s8, s4, 0x50
	s_addc_u32 s9, s5, 0
	s_getpc_b64 s[14:15]
	s_add_u32 s14, s14, _ZN7rocprim17ROCPRIM_400000_NS6detail40segmented_radix_sort_single_block_helperIalLj256ELj17ELb1EE4sortIPKaPaPKlPlEEbT_T0_T1_T2_jjjjRNS3_12storage_typeE@rel32@lo+4
	s_addc_u32 s15, s15, _ZN7rocprim17ROCPRIM_400000_NS6detail40segmented_radix_sort_single_block_helperIalLj256ELj17ELb1EE4sortIPKaPaPKlPlEEbT_T0_T1_T2_jjjjRNS3_12storage_typeE@rel32@hi+12
	s_mov_b32 s12, s6
	s_mov_b32 s13, s7
	s_mov_b64 s[28:29], s[4:5]
	s_mov_b32 s33, s7
	s_mov_b32 s34, s6
	s_swappc_b64 s[30:31], s[14:15]
	v_mov_b32_e32 v1, v43
	v_mov_b32_e32 v2, v44
	;; [unrolled: 1-line block ×3, first 2 shown]
	s_mov_b32 s6, s34
	s_mov_b32 s7, s33
	s_mov_b64 s[4:5], s[28:29]
	s_mov_b32 s8, 0
.LBB325_12:
	s_andn2_b32 vcc_lo, exec_lo, s8
	s_cbranch_vccnz .LBB325_14
; %bb.13:
	s_mov_b64 s[10:11], src_shared_base
	v_or3_b32 v31, v0, v42, v41
	v_mov_b32_e32 v40, v0
	v_mov_b32_e32 v0, s44
	v_mov_b32_e32 v41, v1
	v_mov_b32_e32 v1, s45
	v_mov_b32_e32 v42, v2
	v_mov_b32_e32 v2, s46
	v_mov_b32_e32 v3, s47
	v_mov_b32_e32 v4, s50
	v_mov_b32_e32 v5, s51
	v_mov_b32_e32 v6, s52
	v_mov_b32_e32 v7, s53
	v_mov_b32_e32 v8, s58
	v_mov_b32_e32 v9, s59
	v_mov_b32_e32 v10, s41
	v_mov_b32_e32 v11, s42
	v_mov_b32_e32 v12, 0
	v_mov_b32_e32 v13, s11
	s_add_u32 s8, s4, 0x50
	s_addc_u32 s9, s5, 0
	s_getpc_b64 s[14:15]
	s_add_u32 s14, s14, _ZN7rocprim17ROCPRIM_400000_NS6detail40segmented_radix_sort_single_block_helperIalLj256ELj17ELb1EE4sortIPKaPaPKlPlEEbT_T0_T1_T2_jjjjRNS3_12storage_typeE@rel32@lo+4
	s_addc_u32 s15, s15, _ZN7rocprim17ROCPRIM_400000_NS6detail40segmented_radix_sort_single_block_helperIalLj256ELj17ELb1EE4sortIPKaPaPKlPlEEbT_T0_T1_T2_jjjjRNS3_12storage_typeE@rel32@hi+12
	s_mov_b32 s12, s6
	s_mov_b32 s13, s7
	s_mov_b64 s[28:29], s[4:5]
	s_mov_b32 s34, s7
	s_mov_b32 s33, s6
	s_swappc_b64 s[30:31], s[14:15]
	v_mov_b32_e32 v1, v41
	v_mov_b32_e32 v2, v42
	;; [unrolled: 1-line block ×3, first 2 shown]
	s_mov_b32 s6, s33
	s_mov_b32 s7, s34
	s_mov_b64 s[4:5], s[28:29]
.LBB325_14:
	s_mov_b32 s8, 0
.LBB325_15:
	s_andn2_b32 vcc_lo, exec_lo, s8
	s_cbranch_vccnz .LBB325_1262
; %bb.16:
	s_cmp_ge_u32 s41, s42
	s_cbranch_scc1 .LBB325_1262
; %bb.17:
	v_lshlrev_b32_e32 v43, 2, v0
	v_and_b32_e32 v3, 3, v0
	v_and_b32_e32 v5, 0xe0, v0
	s_add_u32 s56, s4, 0x50
	v_lshrrev_b32_e32 v7, 3, v0
	v_mad_u32_u24 v64, v0, 12, v43
	v_lshlrev_b32_e32 v63, 2, v3
	v_min_u32_e32 v6, 0x60, v5
	v_or_b32_e32 v3, 31, v5
	v_mul_u32_u24_e32 v68, 17, v5
	v_add_nc_u32_e32 v69, v64, v43
	v_lshlrev_b32_e32 v5, 4, v0
	v_or_b32_e32 v6, 31, v6
	v_cmp_eq_u32_e64 s4, v0, v3
	v_add_nc_u32_e32 v3, 1, v0
	v_mbcnt_lo_u32_b32 v86, -1, 0
	v_sub_nc_u32_e32 v70, v69, v5
	v_lshlrev_b32_e32 v5, 3, v68
	v_cmp_eq_u32_e64 s9, v0, v6
	v_mul_u32_u24_e32 v71, 36, v3
	v_cmp_ne_u32_e64 s14, 0x80, v3
	v_and_b32_e32 v62, 28, v7
	v_add_co_u32 v73, s15, s54, v5
	v_add_co_ci_u32_e64 v74, null, s55, 0, s15
	v_add_co_u32 v3, s15, s48, v68
	v_add_co_ci_u32_e64 v6, null, s49, 0, s15
	;; [unrolled: 2-line block ×6, first 2 shown]
	v_add_co_u32 v84, s15, s50, v5
	v_add_co_u32 v45, s8, s48, v0
	v_add_co_ci_u32_e64 v85, null, s51, 0, s15
	v_add_co_u32 v87, s15, s44, v68
	v_add_co_u32 v90, vcc_lo, v3, v86
	v_mov_b32_e32 v4, 0
	v_or_b32_e32 v44, 0x100, v0
	v_add_co_ci_u32_e64 v46, null, s49, 0, s8
	v_or_b32_e32 v47, 0x200, v0
	v_or_b32_e32 v48, 0x300, v0
	;; [unrolled: 1-line block ×15, first 2 shown]
	v_cmp_gt_u32_e64 s8, 0x80, v0
	v_or_b32_e32 v65, 0x8a00, v62
	v_cmp_gt_u32_e64 s10, 4, v0
	v_add_nc_u32_e32 v66, 0x8a00, v43
	v_cmp_lt_u32_e64 s11, 31, v0
	v_add_nc_u32_e32 v67, 0x89fc, v62
	v_cmp_gt_u32_e64 s12, 8, v0
	v_cmp_eq_u32_e64 s13, 0, v0
	v_lshlrev_b32_e32 v72, 5, v0
	v_mul_u32_u24_e32 v75, 7, v0
	v_add_co_ci_u32_e64 v88, null, s45, 0, s15
	v_mov_b32_e32 v89, 1
	v_add_co_ci_u32_e64 v91, null, 0, v6, vcc_lo
	v_mov_b32_e32 v92, 0xffff
	v_mov_b32_e32 v93, 0x7f
	s_addc_u32 s57, s5, 0
	s_mov_b32 s51, 0
	s_mov_b32 s61, s41
	s_branch .LBB325_20
.LBB325_18:                             ;   in Loop: Header=BB325_20 Depth=1
	s_waitcnt lgkmcnt(0)
	s_barrier
.LBB325_19:                             ;   in Loop: Header=BB325_20 Depth=1
	s_add_i32 s61, s61, 7
	buffer_gl0_inv
	s_cmp_ge_u32 s61, s42
	s_cbranch_scc1 .LBB325_1262
.LBB325_20:                             ; =>This Loop Header: Depth=1
                                        ;     Child Loop BB325_24 Depth 2
                                        ;     Child Loop BB325_108 Depth 2
	;; [unrolled: 1-line block ×8, first 2 shown]
	s_sub_i32 s5, s42, s61
	s_xor_b32 s43, s43, -1
	s_min_u32 s5, s5, 7
	ds_write2st64_b32 v43, v4, v4 offset1:4
	s_lshl_b32 s5, -1, s5
	s_waitcnt lgkmcnt(0)
	s_waitcnt_vscnt null, 0x0
	s_not_b32 s62, s5
	s_cmp_lg_u32 s61, s41
	s_mov_b32 s5, -1
	s_cbranch_scc0 .LBB325_642
; %bb.21:                               ;   in Loop: Header=BB325_20 Depth=1
	s_and_b32 vcc_lo, exec_lo, s43
	s_cbranch_vccz .LBB325_331
; %bb.22:                               ;   in Loop: Header=BB325_20 Depth=1
	v_mov_b32_e32 v17, 0
	v_mov_b32_e32 v20, 0
	;; [unrolled: 1-line block ×17, first 2 shown]
	s_mov_b32 s5, s60
	s_mov_b32 s17, s58
	s_barrier
	buffer_gl0_inv
	s_branch .LBB325_24
.LBB325_23:                             ;   in Loop: Header=BB325_24 Depth=2
	s_or_b32 exec_lo, exec_lo, s16
	s_addk_i32 s5, 0xef00
	s_cmp_ge_u32 s15, s59
	s_mov_b32 s17, s15
	s_cbranch_scc1 .LBB325_96
.LBB325_24:                             ;   Parent Loop BB325_20 Depth=1
                                        ; =>  This Inner Loop Header: Depth=2
	s_add_i32 s15, s17, 0x1100
	s_mov_b32 s16, -1
	s_cmp_gt_u32 s15, s59
                                        ; implicit-def: $vgpr21
                                        ; implicit-def: $vgpr22
                                        ; implicit-def: $vgpr23
                                        ; implicit-def: $vgpr24
                                        ; implicit-def: $vgpr25
                                        ; implicit-def: $vgpr26
                                        ; implicit-def: $vgpr27
                                        ; implicit-def: $vgpr28
                                        ; implicit-def: $vgpr29
                                        ; implicit-def: $vgpr30
                                        ; implicit-def: $vgpr31
                                        ; implicit-def: $vgpr32
                                        ; implicit-def: $vgpr33
                                        ; implicit-def: $vgpr34
                                        ; implicit-def: $vgpr35
                                        ; implicit-def: $vgpr36
                                        ; implicit-def: $vgpr37
	s_cbranch_scc1 .LBB325_26
; %bb.25:                               ;   in Loop: Header=BB325_24 Depth=2
	v_add_co_u32 v38, vcc_lo, v45, s17
	v_add_co_ci_u32_e64 v39, null, 0, v46, vcc_lo
	s_mov_b32 s16, 0
	v_add_co_u32 v21, vcc_lo, 0x800, v38
	v_add_co_ci_u32_e64 v22, null, 0, v39, vcc_lo
	v_add_co_u32 v23, vcc_lo, 0x1000, v38
	v_add_co_ci_u32_e64 v24, null, 0, v39, vcc_lo
	s_clause 0x10
	global_load_ubyte v36, v[21:22], off offset:1792
	global_load_ubyte v37, v[23:24], off
	global_load_ubyte v35, v[21:22], off offset:1536
	global_load_ubyte v34, v[21:22], off offset:1280
	;; [unrolled: 1-line block ×6, first 2 shown]
	global_load_ubyte v29, v[21:22], off
	global_load_ubyte v28, v[38:39], off offset:1792
	global_load_ubyte v27, v[38:39], off offset:1536
	;; [unrolled: 1-line block ×7, first 2 shown]
	global_load_ubyte v21, v[38:39], off
.LBB325_26:                             ;   in Loop: Header=BB325_24 Depth=2
	s_andn2_b32 vcc_lo, exec_lo, s16
	s_movk_i32 s16, 0x1100
	s_cbranch_vccnz .LBB325_46
; %bb.27:                               ;   in Loop: Header=BB325_24 Depth=2
	s_add_u32 s16, s48, s17
	s_addc_u32 s17, s49, 0
	s_mov_b32 s18, exec_lo
	v_cmpx_gt_u32_e64 s5, v0
	s_cbranch_execnz .LBB325_80
; %bb.28:                               ;   in Loop: Header=BB325_24 Depth=2
	s_or_b32 exec_lo, exec_lo, s18
	s_mov_b32 s18, exec_lo
	v_cmpx_gt_u32_e64 s5, v44
	s_cbranch_execnz .LBB325_81
.LBB325_29:                             ;   in Loop: Header=BB325_24 Depth=2
	s_or_b32 exec_lo, exec_lo, s18
	s_mov_b32 s18, exec_lo
	v_cmpx_gt_u32_e64 s5, v47
	s_cbranch_execnz .LBB325_82
.LBB325_30:                             ;   in Loop: Header=BB325_24 Depth=2
	s_or_b32 exec_lo, exec_lo, s18
	s_mov_b32 s18, exec_lo
	v_cmpx_gt_u32_e64 s5, v48
	s_cbranch_execnz .LBB325_83
.LBB325_31:                             ;   in Loop: Header=BB325_24 Depth=2
	s_or_b32 exec_lo, exec_lo, s18
	s_mov_b32 s18, exec_lo
	v_cmpx_gt_u32_e64 s5, v49
	s_cbranch_execnz .LBB325_84
.LBB325_32:                             ;   in Loop: Header=BB325_24 Depth=2
	s_or_b32 exec_lo, exec_lo, s18
	s_mov_b32 s18, exec_lo
	v_cmpx_gt_u32_e64 s5, v50
	s_cbranch_execnz .LBB325_85
.LBB325_33:                             ;   in Loop: Header=BB325_24 Depth=2
	s_or_b32 exec_lo, exec_lo, s18
	s_mov_b32 s18, exec_lo
	v_cmpx_gt_u32_e64 s5, v51
	s_cbranch_execnz .LBB325_86
.LBB325_34:                             ;   in Loop: Header=BB325_24 Depth=2
	s_or_b32 exec_lo, exec_lo, s18
	s_mov_b32 s18, exec_lo
	v_cmpx_gt_u32_e64 s5, v52
	s_cbranch_execnz .LBB325_87
.LBB325_35:                             ;   in Loop: Header=BB325_24 Depth=2
	s_or_b32 exec_lo, exec_lo, s18
	s_mov_b32 s18, exec_lo
	v_cmpx_gt_u32_e64 s5, v53
	s_cbranch_execnz .LBB325_88
.LBB325_36:                             ;   in Loop: Header=BB325_24 Depth=2
	s_or_b32 exec_lo, exec_lo, s18
	s_mov_b32 s18, exec_lo
	v_cmpx_gt_u32_e64 s5, v54
	s_cbranch_execnz .LBB325_89
.LBB325_37:                             ;   in Loop: Header=BB325_24 Depth=2
	s_or_b32 exec_lo, exec_lo, s18
	s_mov_b32 s18, exec_lo
	v_cmpx_gt_u32_e64 s5, v55
	s_cbranch_execnz .LBB325_90
.LBB325_38:                             ;   in Loop: Header=BB325_24 Depth=2
	s_or_b32 exec_lo, exec_lo, s18
	s_mov_b32 s18, exec_lo
	v_cmpx_gt_u32_e64 s5, v56
	s_cbranch_execnz .LBB325_91
.LBB325_39:                             ;   in Loop: Header=BB325_24 Depth=2
	s_or_b32 exec_lo, exec_lo, s18
	s_mov_b32 s18, exec_lo
	v_cmpx_gt_u32_e64 s5, v57
	s_cbranch_execnz .LBB325_92
.LBB325_40:                             ;   in Loop: Header=BB325_24 Depth=2
	s_or_b32 exec_lo, exec_lo, s18
	s_mov_b32 s18, exec_lo
	v_cmpx_gt_u32_e64 s5, v58
	s_cbranch_execnz .LBB325_93
.LBB325_41:                             ;   in Loop: Header=BB325_24 Depth=2
	s_or_b32 exec_lo, exec_lo, s18
	s_mov_b32 s18, exec_lo
	v_cmpx_gt_u32_e64 s5, v59
	s_cbranch_execnz .LBB325_94
.LBB325_42:                             ;   in Loop: Header=BB325_24 Depth=2
	s_or_b32 exec_lo, exec_lo, s18
	s_mov_b32 s18, exec_lo
	v_cmpx_gt_u32_e64 s5, v60
	s_cbranch_execnz .LBB325_95
.LBB325_43:                             ;   in Loop: Header=BB325_24 Depth=2
	s_or_b32 exec_lo, exec_lo, s18
	s_mov_b32 s18, exec_lo
	v_cmpx_gt_u32_e64 s5, v61
	s_cbranch_execz .LBB325_45
.LBB325_44:                             ;   in Loop: Header=BB325_24 Depth=2
	s_waitcnt vmcnt(0)
	v_add_co_u32 v21, s16, s16, v61
	v_add_co_ci_u32_e64 v22, null, s17, 0, s16
	global_load_ubyte v3, v[21:22], off
.LBB325_45:                             ;   in Loop: Header=BB325_24 Depth=2
	s_or_b32 exec_lo, exec_lo, s18
	s_waitcnt vmcnt(0)
	v_mov_b32_e32 v21, v17
	v_mov_b32_e32 v22, v20
	;; [unrolled: 1-line block ×17, first 2 shown]
	s_mov_b32 s16, s5
.LBB325_46:                             ;   in Loop: Header=BB325_24 Depth=2
	s_waitcnt vmcnt(15)
	v_mov_b32_e32 v3, v37
	v_mov_b32_e32 v5, v36
	s_waitcnt vmcnt(14)
	v_mov_b32_e32 v6, v35
	s_waitcnt vmcnt(13)
	;; [unrolled: 2-line block ×15, first 2 shown]
	v_mov_b32_e32 v17, v21
	s_mov_b32 s17, exec_lo
	v_cmpx_gt_u32_e64 s16, v0
	s_cbranch_execnz .LBB325_63
; %bb.47:                               ;   in Loop: Header=BB325_24 Depth=2
	s_or_b32 exec_lo, exec_lo, s17
	s_mov_b32 s17, exec_lo
	v_cmpx_gt_u32_e64 s16, v44
	s_cbranch_execnz .LBB325_64
.LBB325_48:                             ;   in Loop: Header=BB325_24 Depth=2
	s_or_b32 exec_lo, exec_lo, s17
	s_mov_b32 s17, exec_lo
	v_cmpx_gt_u32_e64 s16, v47
	s_cbranch_execnz .LBB325_65
.LBB325_49:                             ;   in Loop: Header=BB325_24 Depth=2
	s_or_b32 exec_lo, exec_lo, s17
	s_mov_b32 s17, exec_lo
	v_cmpx_gt_u32_e64 s16, v48
	s_cbranch_execnz .LBB325_66
.LBB325_50:                             ;   in Loop: Header=BB325_24 Depth=2
	s_or_b32 exec_lo, exec_lo, s17
	s_mov_b32 s17, exec_lo
	v_cmpx_gt_u32_e64 s16, v49
	s_cbranch_execnz .LBB325_67
.LBB325_51:                             ;   in Loop: Header=BB325_24 Depth=2
	s_or_b32 exec_lo, exec_lo, s17
	s_mov_b32 s17, exec_lo
	v_cmpx_gt_u32_e64 s16, v50
	s_cbranch_execnz .LBB325_68
.LBB325_52:                             ;   in Loop: Header=BB325_24 Depth=2
	s_or_b32 exec_lo, exec_lo, s17
	s_mov_b32 s17, exec_lo
	v_cmpx_gt_u32_e64 s16, v51
	s_cbranch_execnz .LBB325_69
.LBB325_53:                             ;   in Loop: Header=BB325_24 Depth=2
	s_or_b32 exec_lo, exec_lo, s17
	s_mov_b32 s17, exec_lo
	v_cmpx_gt_u32_e64 s16, v52
	s_cbranch_execnz .LBB325_70
.LBB325_54:                             ;   in Loop: Header=BB325_24 Depth=2
	s_or_b32 exec_lo, exec_lo, s17
	s_mov_b32 s17, exec_lo
	v_cmpx_gt_u32_e64 s16, v53
	s_cbranch_execnz .LBB325_71
.LBB325_55:                             ;   in Loop: Header=BB325_24 Depth=2
	s_or_b32 exec_lo, exec_lo, s17
	s_mov_b32 s17, exec_lo
	v_cmpx_gt_u32_e64 s16, v54
	s_cbranch_execnz .LBB325_72
.LBB325_56:                             ;   in Loop: Header=BB325_24 Depth=2
	s_or_b32 exec_lo, exec_lo, s17
	s_mov_b32 s17, exec_lo
	v_cmpx_gt_u32_e64 s16, v55
	s_cbranch_execnz .LBB325_73
.LBB325_57:                             ;   in Loop: Header=BB325_24 Depth=2
	s_or_b32 exec_lo, exec_lo, s17
	s_mov_b32 s17, exec_lo
	v_cmpx_gt_u32_e64 s16, v56
	s_cbranch_execnz .LBB325_74
.LBB325_58:                             ;   in Loop: Header=BB325_24 Depth=2
	s_or_b32 exec_lo, exec_lo, s17
	s_mov_b32 s17, exec_lo
	v_cmpx_gt_u32_e64 s16, v57
	s_cbranch_execnz .LBB325_75
.LBB325_59:                             ;   in Loop: Header=BB325_24 Depth=2
	s_or_b32 exec_lo, exec_lo, s17
	s_mov_b32 s17, exec_lo
	v_cmpx_gt_u32_e64 s16, v58
	s_cbranch_execnz .LBB325_76
.LBB325_60:                             ;   in Loop: Header=BB325_24 Depth=2
	s_or_b32 exec_lo, exec_lo, s17
	s_mov_b32 s17, exec_lo
	v_cmpx_gt_u32_e64 s16, v59
	s_cbranch_execnz .LBB325_77
.LBB325_61:                             ;   in Loop: Header=BB325_24 Depth=2
	s_or_b32 exec_lo, exec_lo, s17
	s_mov_b32 s17, exec_lo
	v_cmpx_gt_u32_e64 s16, v60
	s_cbranch_execnz .LBB325_78
.LBB325_62:                             ;   in Loop: Header=BB325_24 Depth=2
	s_or_b32 exec_lo, exec_lo, s17
	v_cmp_gt_u32_e32 vcc_lo, s16, v61
	s_and_saveexec_b32 s16, vcc_lo
	s_cbranch_execz .LBB325_23
	s_branch .LBB325_79
.LBB325_63:                             ;   in Loop: Header=BB325_24 Depth=2
	v_xor_b32_e32 v21, 0x7f, v17
	v_lshrrev_b32_sdwa v21, s61, v21 dst_sel:DWORD dst_unused:UNUSED_PAD src0_sel:DWORD src1_sel:BYTE_0
	v_and_b32_e32 v21, s62, v21
	v_lshl_or_b32 v21, v21, 4, v63
	ds_add_u32 v21, v89
	s_or_b32 exec_lo, exec_lo, s17
	s_mov_b32 s17, exec_lo
	v_cmpx_gt_u32_e64 s16, v44
	s_cbranch_execz .LBB325_48
.LBB325_64:                             ;   in Loop: Header=BB325_24 Depth=2
	v_xor_b32_e32 v21, 0x7f, v20
	v_lshrrev_b32_sdwa v21, s61, v21 dst_sel:DWORD dst_unused:UNUSED_PAD src0_sel:DWORD src1_sel:BYTE_0
	v_and_b32_e32 v21, s62, v21
	v_lshl_or_b32 v21, v21, 4, v63
	ds_add_u32 v21, v89
	s_or_b32 exec_lo, exec_lo, s17
	s_mov_b32 s17, exec_lo
	v_cmpx_gt_u32_e64 s16, v47
	s_cbranch_execz .LBB325_49
.LBB325_65:                             ;   in Loop: Header=BB325_24 Depth=2
	v_xor_b32_e32 v21, 0x7f, v19
	v_lshrrev_b32_sdwa v21, s61, v21 dst_sel:DWORD dst_unused:UNUSED_PAD src0_sel:DWORD src1_sel:BYTE_0
	v_and_b32_e32 v21, s62, v21
	v_lshl_or_b32 v21, v21, 4, v63
	ds_add_u32 v21, v89
	s_or_b32 exec_lo, exec_lo, s17
	s_mov_b32 s17, exec_lo
	v_cmpx_gt_u32_e64 s16, v48
	s_cbranch_execz .LBB325_50
.LBB325_66:                             ;   in Loop: Header=BB325_24 Depth=2
	v_xor_b32_e32 v21, 0x7f, v18
	v_lshrrev_b32_sdwa v21, s61, v21 dst_sel:DWORD dst_unused:UNUSED_PAD src0_sel:DWORD src1_sel:BYTE_0
	v_and_b32_e32 v21, s62, v21
	v_lshl_or_b32 v21, v21, 4, v63
	ds_add_u32 v21, v89
	s_or_b32 exec_lo, exec_lo, s17
	s_mov_b32 s17, exec_lo
	v_cmpx_gt_u32_e64 s16, v49
	s_cbranch_execz .LBB325_51
.LBB325_67:                             ;   in Loop: Header=BB325_24 Depth=2
	v_xor_b32_e32 v21, 0x7f, v16
	v_lshrrev_b32_sdwa v21, s61, v21 dst_sel:DWORD dst_unused:UNUSED_PAD src0_sel:DWORD src1_sel:BYTE_0
	v_and_b32_e32 v21, s62, v21
	v_lshl_or_b32 v21, v21, 4, v63
	ds_add_u32 v21, v89
	s_or_b32 exec_lo, exec_lo, s17
	s_mov_b32 s17, exec_lo
	v_cmpx_gt_u32_e64 s16, v50
	s_cbranch_execz .LBB325_52
.LBB325_68:                             ;   in Loop: Header=BB325_24 Depth=2
	v_xor_b32_e32 v21, 0x7f, v15
	v_lshrrev_b32_sdwa v21, s61, v21 dst_sel:DWORD dst_unused:UNUSED_PAD src0_sel:DWORD src1_sel:BYTE_0
	v_and_b32_e32 v21, s62, v21
	v_lshl_or_b32 v21, v21, 4, v63
	ds_add_u32 v21, v89
	s_or_b32 exec_lo, exec_lo, s17
	s_mov_b32 s17, exec_lo
	v_cmpx_gt_u32_e64 s16, v51
	s_cbranch_execz .LBB325_53
.LBB325_69:                             ;   in Loop: Header=BB325_24 Depth=2
	v_xor_b32_e32 v21, 0x7f, v14
	v_lshrrev_b32_sdwa v21, s61, v21 dst_sel:DWORD dst_unused:UNUSED_PAD src0_sel:DWORD src1_sel:BYTE_0
	v_and_b32_e32 v21, s62, v21
	v_lshl_or_b32 v21, v21, 4, v63
	ds_add_u32 v21, v89
	s_or_b32 exec_lo, exec_lo, s17
	s_mov_b32 s17, exec_lo
	v_cmpx_gt_u32_e64 s16, v52
	s_cbranch_execz .LBB325_54
.LBB325_70:                             ;   in Loop: Header=BB325_24 Depth=2
	v_xor_b32_e32 v21, 0x7f, v13
	v_lshrrev_b32_sdwa v21, s61, v21 dst_sel:DWORD dst_unused:UNUSED_PAD src0_sel:DWORD src1_sel:BYTE_0
	v_and_b32_e32 v21, s62, v21
	v_lshl_or_b32 v21, v21, 4, v63
	ds_add_u32 v21, v89
	s_or_b32 exec_lo, exec_lo, s17
	s_mov_b32 s17, exec_lo
	v_cmpx_gt_u32_e64 s16, v53
	s_cbranch_execz .LBB325_55
.LBB325_71:                             ;   in Loop: Header=BB325_24 Depth=2
	v_xor_b32_e32 v21, 0x7f, v12
	v_lshrrev_b32_sdwa v21, s61, v21 dst_sel:DWORD dst_unused:UNUSED_PAD src0_sel:DWORD src1_sel:BYTE_0
	v_and_b32_e32 v21, s62, v21
	v_lshl_or_b32 v21, v21, 4, v63
	ds_add_u32 v21, v89
	s_or_b32 exec_lo, exec_lo, s17
	s_mov_b32 s17, exec_lo
	v_cmpx_gt_u32_e64 s16, v54
	s_cbranch_execz .LBB325_56
.LBB325_72:                             ;   in Loop: Header=BB325_24 Depth=2
	v_xor_b32_e32 v21, 0x7f, v11
	v_lshrrev_b32_sdwa v21, s61, v21 dst_sel:DWORD dst_unused:UNUSED_PAD src0_sel:DWORD src1_sel:BYTE_0
	v_and_b32_e32 v21, s62, v21
	v_lshl_or_b32 v21, v21, 4, v63
	ds_add_u32 v21, v89
	s_or_b32 exec_lo, exec_lo, s17
	s_mov_b32 s17, exec_lo
	v_cmpx_gt_u32_e64 s16, v55
	s_cbranch_execz .LBB325_57
.LBB325_73:                             ;   in Loop: Header=BB325_24 Depth=2
	v_xor_b32_e32 v21, 0x7f, v10
	v_lshrrev_b32_sdwa v21, s61, v21 dst_sel:DWORD dst_unused:UNUSED_PAD src0_sel:DWORD src1_sel:BYTE_0
	v_and_b32_e32 v21, s62, v21
	v_lshl_or_b32 v21, v21, 4, v63
	ds_add_u32 v21, v89
	s_or_b32 exec_lo, exec_lo, s17
	s_mov_b32 s17, exec_lo
	v_cmpx_gt_u32_e64 s16, v56
	s_cbranch_execz .LBB325_58
.LBB325_74:                             ;   in Loop: Header=BB325_24 Depth=2
	v_xor_b32_e32 v21, 0x7f, v9
	v_lshrrev_b32_sdwa v21, s61, v21 dst_sel:DWORD dst_unused:UNUSED_PAD src0_sel:DWORD src1_sel:BYTE_0
	v_and_b32_e32 v21, s62, v21
	v_lshl_or_b32 v21, v21, 4, v63
	ds_add_u32 v21, v89
	s_or_b32 exec_lo, exec_lo, s17
	s_mov_b32 s17, exec_lo
	v_cmpx_gt_u32_e64 s16, v57
	s_cbranch_execz .LBB325_59
.LBB325_75:                             ;   in Loop: Header=BB325_24 Depth=2
	v_xor_b32_e32 v21, 0x7f, v8
	v_lshrrev_b32_sdwa v21, s61, v21 dst_sel:DWORD dst_unused:UNUSED_PAD src0_sel:DWORD src1_sel:BYTE_0
	v_and_b32_e32 v21, s62, v21
	v_lshl_or_b32 v21, v21, 4, v63
	ds_add_u32 v21, v89
	s_or_b32 exec_lo, exec_lo, s17
	s_mov_b32 s17, exec_lo
	v_cmpx_gt_u32_e64 s16, v58
	s_cbranch_execz .LBB325_60
.LBB325_76:                             ;   in Loop: Header=BB325_24 Depth=2
	v_xor_b32_e32 v21, 0x7f, v7
	v_lshrrev_b32_sdwa v21, s61, v21 dst_sel:DWORD dst_unused:UNUSED_PAD src0_sel:DWORD src1_sel:BYTE_0
	v_and_b32_e32 v21, s62, v21
	v_lshl_or_b32 v21, v21, 4, v63
	ds_add_u32 v21, v89
	s_or_b32 exec_lo, exec_lo, s17
	s_mov_b32 s17, exec_lo
	v_cmpx_gt_u32_e64 s16, v59
	s_cbranch_execz .LBB325_61
.LBB325_77:                             ;   in Loop: Header=BB325_24 Depth=2
	v_xor_b32_e32 v21, 0x7f, v6
	v_lshrrev_b32_sdwa v21, s61, v21 dst_sel:DWORD dst_unused:UNUSED_PAD src0_sel:DWORD src1_sel:BYTE_0
	v_and_b32_e32 v21, s62, v21
	v_lshl_or_b32 v21, v21, 4, v63
	ds_add_u32 v21, v89
	s_or_b32 exec_lo, exec_lo, s17
	s_mov_b32 s17, exec_lo
	v_cmpx_gt_u32_e64 s16, v60
	s_cbranch_execz .LBB325_62
.LBB325_78:                             ;   in Loop: Header=BB325_24 Depth=2
	v_xor_b32_e32 v21, 0x7f, v5
	v_lshrrev_b32_sdwa v21, s61, v21 dst_sel:DWORD dst_unused:UNUSED_PAD src0_sel:DWORD src1_sel:BYTE_0
	v_and_b32_e32 v21, s62, v21
	v_lshl_or_b32 v21, v21, 4, v63
	ds_add_u32 v21, v89
	s_or_b32 exec_lo, exec_lo, s17
	v_cmp_gt_u32_e32 vcc_lo, s16, v61
	s_and_saveexec_b32 s16, vcc_lo
	s_cbranch_execz .LBB325_23
.LBB325_79:                             ;   in Loop: Header=BB325_24 Depth=2
	v_xor_b32_e32 v21, 0x7f, v3
	v_lshrrev_b32_sdwa v21, s61, v21 dst_sel:DWORD dst_unused:UNUSED_PAD src0_sel:DWORD src1_sel:BYTE_0
	v_and_b32_e32 v21, s62, v21
	v_lshl_or_b32 v21, v21, 4, v63
	ds_add_u32 v21, v89
	s_branch .LBB325_23
.LBB325_80:                             ;   in Loop: Header=BB325_24 Depth=2
	s_waitcnt vmcnt(0)
	v_add_co_u32 v21, s19, s16, v0
	v_add_co_ci_u32_e64 v22, null, s17, 0, s19
	global_load_ubyte v17, v[21:22], off
	s_or_b32 exec_lo, exec_lo, s18
	s_mov_b32 s18, exec_lo
	v_cmpx_gt_u32_e64 s5, v44
	s_cbranch_execz .LBB325_29
.LBB325_81:                             ;   in Loop: Header=BB325_24 Depth=2
	v_add_co_u32 v20, s19, s16, v0
	s_waitcnt vmcnt(0)
	v_add_co_ci_u32_e64 v21, null, s17, 0, s19
	global_load_ubyte v20, v[20:21], off offset:256
	s_or_b32 exec_lo, exec_lo, s18
	s_mov_b32 s18, exec_lo
	v_cmpx_gt_u32_e64 s5, v47
	s_cbranch_execz .LBB325_30
.LBB325_82:                             ;   in Loop: Header=BB325_24 Depth=2
	s_waitcnt vmcnt(0)
	v_add_co_u32 v21, s19, s16, v0
	v_add_co_ci_u32_e64 v22, null, s17, 0, s19
	global_load_ubyte v19, v[21:22], off offset:512
	s_or_b32 exec_lo, exec_lo, s18
	s_mov_b32 s18, exec_lo
	v_cmpx_gt_u32_e64 s5, v48
	s_cbranch_execz .LBB325_31
.LBB325_83:                             ;   in Loop: Header=BB325_24 Depth=2
	s_waitcnt vmcnt(0)
	v_add_co_u32 v21, s19, s16, v0
	v_add_co_ci_u32_e64 v22, null, s17, 0, s19
	global_load_ubyte v18, v[21:22], off offset:768
	s_or_b32 exec_lo, exec_lo, s18
	s_mov_b32 s18, exec_lo
	v_cmpx_gt_u32_e64 s5, v49
	s_cbranch_execz .LBB325_32
.LBB325_84:                             ;   in Loop: Header=BB325_24 Depth=2
	s_waitcnt vmcnt(0)
	v_add_co_u32 v21, s19, s16, v0
	v_add_co_ci_u32_e64 v22, null, s17, 0, s19
	global_load_ubyte v16, v[21:22], off offset:1024
	s_or_b32 exec_lo, exec_lo, s18
	s_mov_b32 s18, exec_lo
	v_cmpx_gt_u32_e64 s5, v50
	s_cbranch_execz .LBB325_33
.LBB325_85:                             ;   in Loop: Header=BB325_24 Depth=2
	s_waitcnt vmcnt(0)
	v_add_co_u32 v21, s19, s16, v0
	v_add_co_ci_u32_e64 v22, null, s17, 0, s19
	global_load_ubyte v15, v[21:22], off offset:1280
	s_or_b32 exec_lo, exec_lo, s18
	s_mov_b32 s18, exec_lo
	v_cmpx_gt_u32_e64 s5, v51
	s_cbranch_execz .LBB325_34
.LBB325_86:                             ;   in Loop: Header=BB325_24 Depth=2
	s_waitcnt vmcnt(0)
	v_add_co_u32 v21, s19, s16, v0
	v_add_co_ci_u32_e64 v22, null, s17, 0, s19
	global_load_ubyte v14, v[21:22], off offset:1536
	s_or_b32 exec_lo, exec_lo, s18
	s_mov_b32 s18, exec_lo
	v_cmpx_gt_u32_e64 s5, v52
	s_cbranch_execz .LBB325_35
.LBB325_87:                             ;   in Loop: Header=BB325_24 Depth=2
	s_waitcnt vmcnt(0)
	v_add_co_u32 v21, s19, s16, v0
	v_add_co_ci_u32_e64 v22, null, s17, 0, s19
	global_load_ubyte v13, v[21:22], off offset:1792
	s_or_b32 exec_lo, exec_lo, s18
	s_mov_b32 s18, exec_lo
	v_cmpx_gt_u32_e64 s5, v53
	s_cbranch_execz .LBB325_36
.LBB325_88:                             ;   in Loop: Header=BB325_24 Depth=2
	s_waitcnt vmcnt(0)
	v_add_co_u32 v21, s19, s16, v53
	v_add_co_ci_u32_e64 v22, null, s17, 0, s19
	global_load_ubyte v12, v[21:22], off
	s_or_b32 exec_lo, exec_lo, s18
	s_mov_b32 s18, exec_lo
	v_cmpx_gt_u32_e64 s5, v54
	s_cbranch_execz .LBB325_37
.LBB325_89:                             ;   in Loop: Header=BB325_24 Depth=2
	s_waitcnt vmcnt(0)
	v_add_co_u32 v21, s19, s16, v54
	v_add_co_ci_u32_e64 v22, null, s17, 0, s19
	global_load_ubyte v11, v[21:22], off
	s_or_b32 exec_lo, exec_lo, s18
	s_mov_b32 s18, exec_lo
	v_cmpx_gt_u32_e64 s5, v55
	s_cbranch_execz .LBB325_38
.LBB325_90:                             ;   in Loop: Header=BB325_24 Depth=2
	s_waitcnt vmcnt(0)
	v_add_co_u32 v21, s19, s16, v55
	v_add_co_ci_u32_e64 v22, null, s17, 0, s19
	global_load_ubyte v10, v[21:22], off
	s_or_b32 exec_lo, exec_lo, s18
	s_mov_b32 s18, exec_lo
	v_cmpx_gt_u32_e64 s5, v56
	s_cbranch_execz .LBB325_39
.LBB325_91:                             ;   in Loop: Header=BB325_24 Depth=2
	s_waitcnt vmcnt(0)
	v_add_co_u32 v21, s19, s16, v56
	v_add_co_ci_u32_e64 v22, null, s17, 0, s19
	global_load_ubyte v9, v[21:22], off
	s_or_b32 exec_lo, exec_lo, s18
	s_mov_b32 s18, exec_lo
	v_cmpx_gt_u32_e64 s5, v57
	s_cbranch_execz .LBB325_40
.LBB325_92:                             ;   in Loop: Header=BB325_24 Depth=2
	s_waitcnt vmcnt(0)
	v_add_co_u32 v21, s19, s16, v57
	v_add_co_ci_u32_e64 v22, null, s17, 0, s19
	global_load_ubyte v8, v[21:22], off
	s_or_b32 exec_lo, exec_lo, s18
	s_mov_b32 s18, exec_lo
	v_cmpx_gt_u32_e64 s5, v58
	s_cbranch_execz .LBB325_41
.LBB325_93:                             ;   in Loop: Header=BB325_24 Depth=2
	s_waitcnt vmcnt(0)
	v_add_co_u32 v21, s19, s16, v58
	v_add_co_ci_u32_e64 v22, null, s17, 0, s19
	global_load_ubyte v7, v[21:22], off
	s_or_b32 exec_lo, exec_lo, s18
	s_mov_b32 s18, exec_lo
	v_cmpx_gt_u32_e64 s5, v59
	s_cbranch_execz .LBB325_42
.LBB325_94:                             ;   in Loop: Header=BB325_24 Depth=2
	s_waitcnt vmcnt(0)
	v_add_co_u32 v21, s19, s16, v59
	v_add_co_ci_u32_e64 v22, null, s17, 0, s19
	global_load_ubyte v6, v[21:22], off
	s_or_b32 exec_lo, exec_lo, s18
	s_mov_b32 s18, exec_lo
	v_cmpx_gt_u32_e64 s5, v60
	s_cbranch_execz .LBB325_43
.LBB325_95:                             ;   in Loop: Header=BB325_24 Depth=2
	s_waitcnt vmcnt(0)
	v_add_co_u32 v21, s19, s16, v60
	v_add_co_ci_u32_e64 v22, null, s17, 0, s19
	global_load_ubyte v5, v[21:22], off
	s_or_b32 exec_lo, exec_lo, s18
	s_mov_b32 s18, exec_lo
	v_cmpx_gt_u32_e64 s5, v61
	s_cbranch_execnz .LBB325_44
	s_branch .LBB325_45
.LBB325_96:                             ;   in Loop: Header=BB325_20 Depth=1
	v_mov_b32_e32 v3, 0
	s_waitcnt lgkmcnt(0)
	s_barrier
	buffer_gl0_inv
	s_and_saveexec_b32 s5, s8
	s_cbranch_execz .LBB325_98
; %bb.97:                               ;   in Loop: Header=BB325_20 Depth=1
	ds_read2_b64 v[5:8], v64 offset1:1
	s_waitcnt lgkmcnt(0)
	v_add_nc_u32_e32 v3, v6, v5
	v_add3_u32 v3, v3, v7, v8
.LBB325_98:                             ;   in Loop: Header=BB325_20 Depth=1
	s_or_b32 exec_lo, exec_lo, s5
	v_and_b32_e32 v5, 15, v86
	v_mov_b32_dpp v6, v3 row_shr:1 row_mask:0xf bank_mask:0xf
	v_and_b32_e32 v7, 16, v86
	v_cmp_eq_u32_e64 s5, 0, v5
	v_cmp_lt_u32_e64 s15, 1, v5
	v_cmp_lt_u32_e64 s16, 3, v5
	;; [unrolled: 1-line block ×3, first 2 shown]
	v_cmp_eq_u32_e64 s18, 0, v7
	v_cndmask_b32_e64 v6, v6, 0, s5
	v_add_nc_u32_e32 v3, v6, v3
	v_mov_b32_dpp v6, v3 row_shr:2 row_mask:0xf bank_mask:0xf
	v_cndmask_b32_e64 v6, 0, v6, s15
	v_add_nc_u32_e32 v3, v3, v6
	v_mov_b32_dpp v6, v3 row_shr:4 row_mask:0xf bank_mask:0xf
	v_cndmask_b32_e64 v6, 0, v6, s16
	v_add_nc_u32_e32 v3, v3, v6
	v_mov_b32_dpp v6, v3 row_shr:8 row_mask:0xf bank_mask:0xf
	v_cndmask_b32_e64 v5, 0, v6, s17
	v_bfe_i32 v6, v86, 4, 1
	v_add_nc_u32_e32 v3, v3, v5
	ds_swizzle_b32 v5, v3 offset:swizzle(BROADCAST,32,15)
	s_waitcnt lgkmcnt(0)
	v_and_b32_e32 v5, v6, v5
	v_add_nc_u32_e32 v3, v3, v5
	s_and_saveexec_b32 s19, s9
; %bb.99:                               ;   in Loop: Header=BB325_20 Depth=1
	ds_write_b32 v65, v3
; %bb.100:                              ;   in Loop: Header=BB325_20 Depth=1
	s_or_b32 exec_lo, exec_lo, s19
	s_waitcnt lgkmcnt(0)
	s_barrier
	buffer_gl0_inv
	s_and_saveexec_b32 s19, s10
	s_cbranch_execz .LBB325_102
; %bb.101:                              ;   in Loop: Header=BB325_20 Depth=1
	ds_read_b32 v5, v66
	v_and_b32_e32 v6, 3, v86
	v_cmp_ne_u32_e32 vcc_lo, 0, v6
	s_waitcnt lgkmcnt(0)
	v_mov_b32_dpp v7, v5 row_shr:1 row_mask:0xf bank_mask:0xf
	v_cndmask_b32_e32 v7, 0, v7, vcc_lo
	v_cmp_lt_u32_e32 vcc_lo, 1, v6
	v_add_nc_u32_e32 v5, v7, v5
	v_mov_b32_dpp v7, v5 row_shr:2 row_mask:0xf bank_mask:0xf
	v_cndmask_b32_e32 v6, 0, v7, vcc_lo
	v_add_nc_u32_e32 v5, v5, v6
	ds_write_b32 v66, v5
.LBB325_102:                            ;   in Loop: Header=BB325_20 Depth=1
	s_or_b32 exec_lo, exec_lo, s19
	v_mov_b32_e32 v5, 0
	s_waitcnt lgkmcnt(0)
	s_barrier
	buffer_gl0_inv
	s_and_saveexec_b32 s19, s11
; %bb.103:                              ;   in Loop: Header=BB325_20 Depth=1
	ds_read_b32 v5, v67
; %bb.104:                              ;   in Loop: Header=BB325_20 Depth=1
	s_or_b32 exec_lo, exec_lo, s19
	v_sub_co_u32 v6, s19, v86, 1
	s_waitcnt lgkmcnt(0)
	v_add_nc_u32_e32 v3, v5, v3
	s_barrier
	v_cmp_gt_i32_e32 vcc_lo, 0, v6
	buffer_gl0_inv
	v_cndmask_b32_e32 v6, v6, v86, vcc_lo
	v_lshlrev_b32_e32 v94, 2, v6
	ds_bpermute_b32 v3, v94, v3
	s_and_saveexec_b32 s20, s8
	s_cbranch_execz .LBB325_106
; %bb.105:                              ;   in Loop: Header=BB325_20 Depth=1
	s_waitcnt lgkmcnt(0)
	v_cndmask_b32_e64 v3, v3, v5, s19
	v_add_nc_u32_e32 v3, s58, v3
	ds_write_b32 v43, v3
.LBB325_106:                            ;   in Loop: Header=BB325_20 Depth=1
	s_or_b32 exec_lo, exec_lo, s20
	s_clause 0x1
	s_load_dword s20, s[56:57], 0x4
	s_load_dword s23, s[56:57], 0xc
	v_and_b32_e32 v5, 7, v86
	v_lshlrev_b32_e32 v6, 3, v86
	v_or_b32_e32 v95, v86, v68
	v_mov_b32_e32 v115, 0
	s_mov_b32 s63, s60
	v_cmp_lt_u32_e64 s22, 3, v5
	v_add_co_u32 v96, vcc_lo, v73, v6
	v_add_co_ci_u32_e64 v97, null, 0, v74, vcc_lo
	v_add_nc_u32_e32 v98, 32, v95
	v_add_nc_u32_e32 v99, 64, v95
	;; [unrolled: 1-line block ×8, first 2 shown]
	s_waitcnt lgkmcnt(0)
	s_cmp_lt_u32 s7, s20
	v_add_nc_u32_e32 v106, 0x120, v95
	s_cselect_b32 s20, 14, 20
	v_add_nc_u32_e32 v107, 0x140, v95
	s_add_u32 s20, s56, s20
	s_addc_u32 s21, s57, 0
	s_and_b32 s23, s23, 0xffff
	global_load_ushort v3, v4, s[20:21]
	v_cmp_eq_u32_e64 s20, 0, v5
	v_cmp_lt_u32_e64 s21, 1, v5
	v_add_nc_u32_e32 v108, 0x160, v95
	v_add_nc_u32_e32 v109, 0x180, v95
	;; [unrolled: 1-line block ×6, first 2 shown]
	s_mov_b32 s50, s58
                                        ; implicit-def: $vgpr7_vgpr8
                                        ; implicit-def: $vgpr9_vgpr10
                                        ; implicit-def: $vgpr11_vgpr12
                                        ; implicit-def: $vgpr13_vgpr14
                                        ; implicit-def: $vgpr15_vgpr16
                                        ; implicit-def: $vgpr19_vgpr20
                                        ; implicit-def: $vgpr23_vgpr24
                                        ; implicit-def: $vgpr27_vgpr28
                                        ; implicit-def: $vgpr17_vgpr18
                                        ; implicit-def: $vgpr21_vgpr22
                                        ; implicit-def: $vgpr25_vgpr26
                                        ; implicit-def: $vgpr29_vgpr30
                                        ; implicit-def: $vgpr31_vgpr32
                                        ; implicit-def: $vgpr33_vgpr34
                                        ; implicit-def: $vgpr35_vgpr36
                                        ; implicit-def: $vgpr37_vgpr38
                                        ; implicit-def: $vgpr116
                                        ; implicit-def: $vgpr117
                                        ; implicit-def: $vgpr118
                                        ; implicit-def: $vgpr119
                                        ; implicit-def: $vgpr120
                                        ; implicit-def: $vgpr121
                                        ; implicit-def: $vgpr122
                                        ; implicit-def: $vgpr123
                                        ; implicit-def: $vgpr124
                                        ; implicit-def: $vgpr125
                                        ; implicit-def: $vgpr126
                                        ; implicit-def: $vgpr127
                                        ; implicit-def: $vgpr128
                                        ; implicit-def: $vgpr129
                                        ; implicit-def: $vgpr130
                                        ; implicit-def: $vgpr131
                                        ; implicit-def: $vgpr132
                                        ; implicit-def: $vgpr133
                                        ; implicit-def: $vgpr134
	s_waitcnt vmcnt(0)
	v_mad_u32_u24 v3, v2, v3, v1
	v_mad_u64_u32 v[5:6], null, v3, s23, v[0:1]
	v_lshrrev_b32_e32 v3, 3, v5
                                        ; implicit-def: $vgpr5_vgpr6
	v_and_b32_e32 v114, 0x1ffffffc, v3
	s_branch .LBB325_108
.LBB325_107:                            ;   in Loop: Header=BB325_108 Depth=2
	s_or_b32 exec_lo, exec_lo, s23
	s_addk_i32 s63, 0xef00
	s_cmp_lt_u32 s64, s59
	s_mov_b32 s50, s64
	s_cbranch_scc0 .LBB325_330
.LBB325_108:                            ;   Parent Loop BB325_20 Depth=1
                                        ; =>  This Inner Loop Header: Depth=2
	s_add_i32 s64, s50, 0x1100
	s_cmp_gt_u32 s64, s59
	s_cbranch_scc1 .LBB325_110
; %bb.109:                              ;   in Loop: Header=BB325_108 Depth=2
	v_add_co_u32 v39, vcc_lo, v90, s50
	v_add_co_ci_u32_e64 v40, null, 0, v91, vcc_lo
	s_mov_b32 s23, -1
	s_clause 0xf
	global_load_ubyte v42, v[39:40], off offset:480
	global_load_ubyte v41, v[39:40], off offset:448
	;; [unrolled: 1-line block ×15, first 2 shown]
	global_load_ubyte v144, v[39:40], off
	s_movk_i32 s24, 0x1100
	s_cbranch_execz .LBB325_111
	s_branch .LBB325_129
.LBB325_110:                            ;   in Loop: Header=BB325_108 Depth=2
	s_mov_b32 s23, 0
                                        ; implicit-def: $vgpr144
                                        ; implicit-def: $vgpr145
                                        ; implicit-def: $vgpr146
                                        ; implicit-def: $vgpr149
                                        ; implicit-def: $vgpr148
                                        ; implicit-def: $vgpr141
                                        ; implicit-def: $vgpr142
                                        ; implicit-def: $vgpr143
                                        ; implicit-def: $vgpr140
                                        ; implicit-def: $vgpr137
                                        ; implicit-def: $vgpr138
                                        ; implicit-def: $vgpr139
                                        ; implicit-def: $vgpr135
                                        ; implicit-def: $vgpr3
                                        ; implicit-def: $vgpr41
                                        ; implicit-def: $vgpr42
                                        ; implicit-def: $vgpr115
	s_movk_i32 s24, 0x1100
.LBB325_111:                            ;   in Loop: Header=BB325_108 Depth=2
	v_add_co_u32 v39, vcc_lo, v90, s50
	v_add_co_ci_u32_e64 v40, null, 0, v91, vcc_lo
	v_mov_b32_e32 v115, 0x80
	s_waitcnt vmcnt(0)
	v_mov_b32_e32 v144, 0x80
	v_mov_b32_e32 v145, 0x80
	;; [unrolled: 1-line block ×16, first 2 shown]
	s_mov_b32 s23, exec_lo
	v_cmpx_gt_u32_e64 s63, v95
	s_cbranch_execnz .LBB325_315
; %bb.112:                              ;   in Loop: Header=BB325_108 Depth=2
	s_or_b32 exec_lo, exec_lo, s23
	s_mov_b32 s23, exec_lo
	v_cmpx_gt_u32_e64 s63, v98
	s_cbranch_execnz .LBB325_316
.LBB325_113:                            ;   in Loop: Header=BB325_108 Depth=2
	s_or_b32 exec_lo, exec_lo, s23
	s_mov_b32 s23, exec_lo
	v_cmpx_gt_u32_e64 s63, v99
	s_cbranch_execnz .LBB325_317
.LBB325_114:                            ;   in Loop: Header=BB325_108 Depth=2
	s_or_b32 exec_lo, exec_lo, s23
	s_mov_b32 s23, exec_lo
	v_cmpx_gt_u32_e64 s63, v100
	s_cbranch_execnz .LBB325_318
.LBB325_115:                            ;   in Loop: Header=BB325_108 Depth=2
	s_or_b32 exec_lo, exec_lo, s23
	s_mov_b32 s23, exec_lo
	v_cmpx_gt_u32_e64 s63, v101
	s_cbranch_execnz .LBB325_319
.LBB325_116:                            ;   in Loop: Header=BB325_108 Depth=2
	s_or_b32 exec_lo, exec_lo, s23
	s_mov_b32 s23, exec_lo
	v_cmpx_gt_u32_e64 s63, v102
	s_cbranch_execnz .LBB325_320
.LBB325_117:                            ;   in Loop: Header=BB325_108 Depth=2
	s_or_b32 exec_lo, exec_lo, s23
	s_mov_b32 s23, exec_lo
	v_cmpx_gt_u32_e64 s63, v103
	s_cbranch_execnz .LBB325_321
.LBB325_118:                            ;   in Loop: Header=BB325_108 Depth=2
	s_or_b32 exec_lo, exec_lo, s23
	s_mov_b32 s23, exec_lo
	v_cmpx_gt_u32_e64 s63, v104
	s_cbranch_execnz .LBB325_322
.LBB325_119:                            ;   in Loop: Header=BB325_108 Depth=2
	s_or_b32 exec_lo, exec_lo, s23
	s_mov_b32 s23, exec_lo
	v_cmpx_gt_u32_e64 s63, v105
	s_cbranch_execnz .LBB325_323
.LBB325_120:                            ;   in Loop: Header=BB325_108 Depth=2
	s_or_b32 exec_lo, exec_lo, s23
	s_mov_b32 s23, exec_lo
	v_cmpx_gt_u32_e64 s63, v106
	s_cbranch_execnz .LBB325_324
.LBB325_121:                            ;   in Loop: Header=BB325_108 Depth=2
	s_or_b32 exec_lo, exec_lo, s23
	s_mov_b32 s23, exec_lo
	v_cmpx_gt_u32_e64 s63, v107
	s_cbranch_execnz .LBB325_325
.LBB325_122:                            ;   in Loop: Header=BB325_108 Depth=2
	s_or_b32 exec_lo, exec_lo, s23
	s_mov_b32 s23, exec_lo
	v_cmpx_gt_u32_e64 s63, v108
	s_cbranch_execnz .LBB325_326
.LBB325_123:                            ;   in Loop: Header=BB325_108 Depth=2
	s_or_b32 exec_lo, exec_lo, s23
	s_mov_b32 s23, exec_lo
	v_cmpx_gt_u32_e64 s63, v109
	s_cbranch_execnz .LBB325_327
.LBB325_124:                            ;   in Loop: Header=BB325_108 Depth=2
	s_or_b32 exec_lo, exec_lo, s23
	s_mov_b32 s23, exec_lo
	v_cmpx_gt_u32_e64 s63, v110
	s_cbranch_execnz .LBB325_328
.LBB325_125:                            ;   in Loop: Header=BB325_108 Depth=2
	s_or_b32 exec_lo, exec_lo, s23
	s_mov_b32 s23, exec_lo
	v_cmpx_gt_u32_e64 s63, v111
	s_cbranch_execnz .LBB325_329
.LBB325_126:                            ;   in Loop: Header=BB325_108 Depth=2
	s_or_b32 exec_lo, exec_lo, s23
	s_mov_b32 s23, exec_lo
	v_cmpx_gt_u32_e64 s63, v112
	s_cbranch_execz .LBB325_128
.LBB325_127:                            ;   in Loop: Header=BB325_108 Depth=2
	global_load_ubyte v42, v[39:40], off offset:480
.LBB325_128:                            ;   in Loop: Header=BB325_108 Depth=2
	s_or_b32 exec_lo, exec_lo, s23
	v_cmp_gt_u32_e64 s23, s63, v113
	s_sub_i32 s24, s59, s50
.LBB325_129:                            ;   in Loop: Header=BB325_108 Depth=2
	v_mov_b32_e32 v136, s63
	s_and_saveexec_b32 s25, s23
	s_cbranch_execz .LBB325_131
; %bb.130:                              ;   in Loop: Header=BB325_108 Depth=2
	v_add_co_u32 v39, vcc_lo, v90, s50
	v_add_co_ci_u32_e64 v40, null, s51, v91, vcc_lo
	v_mov_b32_e32 v136, s24
	global_load_ubyte v115, v[39:40], off offset:512
.LBB325_131:                            ;   in Loop: Header=BB325_108 Depth=2
	s_or_b32 exec_lo, exec_lo, s25
	s_waitcnt vmcnt(0)
	v_xor_b32_e32 v39, 0x7f, v144
	ds_write2_b32 v69, v4, v4 offset0:136 offset1:137
	ds_write2_b32 v69, v4, v4 offset0:138 offset1:139
	ds_write_b32 v69, v4 offset:560
	s_waitcnt lgkmcnt(0)
	s_barrier
	v_and_b32_sdwa v40, v92, v39 dst_sel:DWORD dst_unused:UNUSED_PAD src0_sel:DWORD src1_sel:BYTE_0
	buffer_gl0_inv
	; wave barrier
	v_lshrrev_b32_e32 v40, s61, v40
	v_and_b32_e32 v147, s62, v40
	v_and_b32_e32 v40, 1, v147
	v_lshlrev_b32_e32 v144, 30, v147
	v_lshlrev_b32_e32 v150, 29, v147
	;; [unrolled: 1-line block ×4, first 2 shown]
	v_add_co_u32 v40, s23, v40, -1
	v_cndmask_b32_e64 v151, 0, 1, s23
	v_not_b32_e32 v155, v144
	v_cmp_gt_i32_e64 s23, 0, v144
	v_not_b32_e32 v144, v150
	v_lshlrev_b32_e32 v154, 26, v147
	v_cmp_ne_u32_e32 vcc_lo, 0, v151
	v_ashrrev_i32_e32 v155, 31, v155
	v_lshlrev_b32_e32 v151, 25, v147
	v_ashrrev_i32_e32 v144, 31, v144
	v_mul_u32_u24_e32 v147, 36, v147
	v_xor_b32_e32 v40, vcc_lo, v40
	v_cmp_gt_i32_e32 vcc_lo, 0, v150
	v_not_b32_e32 v150, v152
	v_xor_b32_e32 v155, s23, v155
	v_cmp_gt_i32_e64 s23, 0, v152
	v_and_b32_e32 v40, exec_lo, v40
	v_not_b32_e32 v152, v153
	v_ashrrev_i32_e32 v150, 31, v150
	v_xor_b32_e32 v144, vcc_lo, v144
	v_cmp_gt_i32_e32 vcc_lo, 0, v153
	v_and_b32_e32 v40, v40, v155
	v_not_b32_e32 v153, v154
	v_ashrrev_i32_e32 v152, 31, v152
	v_xor_b32_e32 v150, s23, v150
	v_cmp_gt_i32_e64 s23, 0, v154
	v_and_b32_e32 v40, v40, v144
	v_not_b32_e32 v144, v151
	v_ashrrev_i32_e32 v153, 31, v153
	v_xor_b32_e32 v152, vcc_lo, v152
	v_cmp_gt_i32_e32 vcc_lo, 0, v151
	v_and_b32_e32 v40, v40, v150
	v_ashrrev_i32_e32 v144, 31, v144
	v_xor_b32_e32 v150, s23, v153
	v_add_nc_u32_e32 v147, v114, v147
	v_and_b32_e32 v40, v40, v152
	v_xor_b32_e32 v144, vcc_lo, v144
	v_and_b32_e32 v40, v40, v150
	v_and_b32_e32 v40, v40, v144
	v_mbcnt_lo_u32_b32 v144, v40, 0
	v_cmp_ne_u32_e64 s23, 0, v40
	v_cmp_eq_u32_e32 vcc_lo, 0, v144
	s_and_b32 s24, s23, vcc_lo
	s_and_saveexec_b32 s23, s24
; %bb.132:                              ;   in Loop: Header=BB325_108 Depth=2
	v_bcnt_u32_b32 v40, v40, 0
	ds_write_b32 v147, v40 offset:544
; %bb.133:                              ;   in Loop: Header=BB325_108 Depth=2
	s_or_b32 exec_lo, exec_lo, s23
	v_xor_b32_sdwa v40, v145, v93 dst_sel:BYTE_1 dst_unused:UNUSED_PAD src0_sel:DWORD src1_sel:DWORD
	v_xor_b32_e32 v146, 0x7f, v146
	v_xor_b32_sdwa v149, v149, v93 dst_sel:BYTE_1 dst_unused:UNUSED_PAD src0_sel:DWORD src1_sel:DWORD
	; wave barrier
	v_or_b32_sdwa v145, v39, v40 dst_sel:DWORD dst_unused:UNUSED_PAD src0_sel:BYTE_0 src1_sel:DWORD
	v_or_b32_sdwa v39, v146, v149 dst_sel:WORD_1 dst_unused:UNUSED_PAD src0_sel:BYTE_0 src1_sel:DWORD
	v_or_b32_sdwa v146, v145, v39 dst_sel:DWORD dst_unused:UNUSED_PAD src0_sel:WORD_0 src1_sel:DWORD
	v_lshrrev_b32_sdwa v39, s61, v146 dst_sel:DWORD dst_unused:UNUSED_PAD src0_sel:DWORD src1_sel:BYTE_1
	v_and_b32_e32 v40, s62, v39
	v_and_b32_e32 v39, 1, v40
	v_lshlrev_b32_e32 v149, 30, v40
	v_lshlrev_b32_e32 v150, 29, v40
	;; [unrolled: 1-line block ×4, first 2 shown]
	v_add_co_u32 v39, s23, v39, -1
	v_cndmask_b32_e64 v151, 0, 1, s23
	v_not_b32_e32 v155, v149
	v_cmp_gt_i32_e64 s23, 0, v149
	v_not_b32_e32 v149, v150
	v_lshlrev_b32_e32 v154, 26, v40
	v_cmp_ne_u32_e32 vcc_lo, 0, v151
	v_ashrrev_i32_e32 v155, 31, v155
	v_lshlrev_b32_e32 v151, 25, v40
	v_ashrrev_i32_e32 v149, 31, v149
	v_xor_b32_e32 v39, vcc_lo, v39
	v_cmp_gt_i32_e32 vcc_lo, 0, v150
	v_not_b32_e32 v150, v152
	v_xor_b32_e32 v155, s23, v155
	v_cmp_gt_i32_e64 s23, 0, v152
	v_and_b32_e32 v39, exec_lo, v39
	v_not_b32_e32 v152, v153
	v_ashrrev_i32_e32 v150, 31, v150
	v_xor_b32_e32 v149, vcc_lo, v149
	v_cmp_gt_i32_e32 vcc_lo, 0, v153
	v_and_b32_e32 v39, v39, v155
	v_not_b32_e32 v153, v154
	v_ashrrev_i32_e32 v152, 31, v152
	v_xor_b32_e32 v150, s23, v150
	v_cmp_gt_i32_e64 s23, 0, v154
	v_and_b32_e32 v39, v39, v149
	v_not_b32_e32 v149, v151
	v_ashrrev_i32_e32 v153, 31, v153
	v_xor_b32_e32 v152, vcc_lo, v152
	v_cmp_gt_i32_e32 vcc_lo, 0, v151
	v_and_b32_e32 v39, v39, v150
	v_ashrrev_i32_e32 v149, 31, v149
	v_xor_b32_e32 v150, s23, v153
	v_mad_u32_u24 v151, v40, 36, v114
	v_mul_u32_u24_e32 v40, 36, v40
	v_and_b32_e32 v39, v39, v152
	v_xor_b32_e32 v152, vcc_lo, v149
	ds_read_b32 v149, v151 offset:544
	v_add_nc_u32_e32 v151, v114, v40
	v_and_b32_e32 v39, v39, v150
	; wave barrier
	v_and_b32_e32 v39, v39, v152
	v_mbcnt_lo_u32_b32 v150, v39, 0
	v_cmp_ne_u32_e64 s23, 0, v39
	v_cmp_eq_u32_e32 vcc_lo, 0, v150
	s_and_b32 s24, s23, vcc_lo
	s_and_saveexec_b32 s23, s24
	s_cbranch_execz .LBB325_135
; %bb.134:                              ;   in Loop: Header=BB325_108 Depth=2
	s_waitcnt lgkmcnt(0)
	v_bcnt_u32_b32 v39, v39, v149
	ds_write_b32 v151, v39 offset:544
.LBB325_135:                            ;   in Loop: Header=BB325_108 Depth=2
	s_or_b32 exec_lo, exec_lo, s23
	v_lshrrev_b32_sdwa v39, s61, v146 dst_sel:DWORD dst_unused:UNUSED_PAD src0_sel:DWORD src1_sel:BYTE_2
	; wave barrier
	v_and_b32_e32 v40, s62, v39
	v_and_b32_e32 v39, 1, v40
	v_lshlrev_b32_e32 v152, 30, v40
	v_lshlrev_b32_e32 v153, 29, v40
	v_lshlrev_b32_e32 v155, 28, v40
	v_lshlrev_b32_e32 v156, 27, v40
	v_add_co_u32 v39, s23, v39, -1
	v_cndmask_b32_e64 v154, 0, 1, s23
	v_not_b32_e32 v158, v152
	v_cmp_gt_i32_e64 s23, 0, v152
	v_not_b32_e32 v152, v153
	v_lshlrev_b32_e32 v157, 26, v40
	v_cmp_ne_u32_e32 vcc_lo, 0, v154
	v_ashrrev_i32_e32 v158, 31, v158
	v_lshlrev_b32_e32 v154, 25, v40
	v_ashrrev_i32_e32 v152, 31, v152
	v_xor_b32_e32 v39, vcc_lo, v39
	v_cmp_gt_i32_e32 vcc_lo, 0, v153
	v_not_b32_e32 v153, v155
	v_xor_b32_e32 v158, s23, v158
	v_cmp_gt_i32_e64 s23, 0, v155
	v_and_b32_e32 v39, exec_lo, v39
	v_not_b32_e32 v155, v156
	v_ashrrev_i32_e32 v153, 31, v153
	v_xor_b32_e32 v152, vcc_lo, v152
	v_cmp_gt_i32_e32 vcc_lo, 0, v156
	v_and_b32_e32 v39, v39, v158
	v_not_b32_e32 v156, v157
	v_ashrrev_i32_e32 v155, 31, v155
	v_xor_b32_e32 v153, s23, v153
	v_cmp_gt_i32_e64 s23, 0, v157
	v_and_b32_e32 v39, v39, v152
	v_not_b32_e32 v152, v154
	v_ashrrev_i32_e32 v156, 31, v156
	v_xor_b32_e32 v155, vcc_lo, v155
	v_cmp_gt_i32_e32 vcc_lo, 0, v154
	v_and_b32_e32 v39, v39, v153
	v_ashrrev_i32_e32 v152, 31, v152
	v_xor_b32_e32 v153, s23, v156
	v_mad_u32_u24 v154, v40, 36, v114
	v_mul_u32_u24_e32 v40, 36, v40
	v_and_b32_e32 v39, v39, v155
	v_xor_b32_e32 v155, vcc_lo, v152
	ds_read_b32 v152, v154 offset:544
	v_and_b32_e32 v39, v39, v153
	; wave barrier
	v_and_b32_e32 v39, v39, v155
	v_add_nc_u32_e32 v155, v114, v40
	v_mbcnt_lo_u32_b32 v153, v39, 0
	v_cmp_ne_u32_e64 s23, 0, v39
	v_cmp_eq_u32_e32 vcc_lo, 0, v153
	s_and_b32 s24, s23, vcc_lo
	s_and_saveexec_b32 s23, s24
	s_cbranch_execz .LBB325_137
; %bb.136:                              ;   in Loop: Header=BB325_108 Depth=2
	s_waitcnt lgkmcnt(0)
	v_bcnt_u32_b32 v39, v39, v152
	ds_write_b32 v155, v39 offset:544
.LBB325_137:                            ;   in Loop: Header=BB325_108 Depth=2
	s_or_b32 exec_lo, exec_lo, s23
	v_lshrrev_b32_e32 v154, 24, v146
	; wave barrier
	v_lshrrev_b32_e32 v39, s61, v154
	v_and_b32_e32 v40, s62, v39
	v_and_b32_e32 v39, 1, v40
	v_lshlrev_b32_e32 v156, 30, v40
	v_lshlrev_b32_e32 v157, 29, v40
	;; [unrolled: 1-line block ×4, first 2 shown]
	v_add_co_u32 v39, s23, v39, -1
	v_cndmask_b32_e64 v158, 0, 1, s23
	v_not_b32_e32 v162, v156
	v_cmp_gt_i32_e64 s23, 0, v156
	v_not_b32_e32 v156, v157
	v_lshlrev_b32_e32 v161, 26, v40
	v_cmp_ne_u32_e32 vcc_lo, 0, v158
	v_ashrrev_i32_e32 v162, 31, v162
	v_lshlrev_b32_e32 v158, 25, v40
	v_ashrrev_i32_e32 v156, 31, v156
	v_xor_b32_e32 v39, vcc_lo, v39
	v_cmp_gt_i32_e32 vcc_lo, 0, v157
	v_not_b32_e32 v157, v159
	v_xor_b32_e32 v162, s23, v162
	v_cmp_gt_i32_e64 s23, 0, v159
	v_and_b32_e32 v39, exec_lo, v39
	v_not_b32_e32 v159, v160
	v_ashrrev_i32_e32 v157, 31, v157
	v_xor_b32_e32 v156, vcc_lo, v156
	v_cmp_gt_i32_e32 vcc_lo, 0, v160
	v_and_b32_e32 v39, v39, v162
	v_not_b32_e32 v160, v161
	v_ashrrev_i32_e32 v159, 31, v159
	v_xor_b32_e32 v157, s23, v157
	v_cmp_gt_i32_e64 s23, 0, v161
	v_and_b32_e32 v39, v39, v156
	v_not_b32_e32 v156, v158
	v_ashrrev_i32_e32 v160, 31, v160
	v_xor_b32_e32 v159, vcc_lo, v159
	v_cmp_gt_i32_e32 vcc_lo, 0, v158
	v_and_b32_e32 v39, v39, v157
	v_ashrrev_i32_e32 v156, 31, v156
	v_xor_b32_e32 v157, s23, v160
	v_mad_u32_u24 v158, v40, 36, v114
	v_mul_u32_u24_e32 v40, 36, v40
	v_and_b32_e32 v39, v39, v159
	v_xor_b32_e32 v159, vcc_lo, v156
	ds_read_b32 v156, v158 offset:544
	v_add_nc_u32_e32 v158, v114, v40
	v_and_b32_e32 v39, v39, v157
	; wave barrier
	v_and_b32_e32 v39, v39, v159
	v_mbcnt_lo_u32_b32 v157, v39, 0
	v_cmp_ne_u32_e64 s23, 0, v39
	v_cmp_eq_u32_e32 vcc_lo, 0, v157
	s_and_b32 s24, s23, vcc_lo
	s_and_saveexec_b32 s23, s24
	s_cbranch_execz .LBB325_139
; %bb.138:                              ;   in Loop: Header=BB325_108 Depth=2
	s_waitcnt lgkmcnt(0)
	v_bcnt_u32_b32 v39, v39, v156
	ds_write_b32 v158, v39 offset:544
.LBB325_139:                            ;   in Loop: Header=BB325_108 Depth=2
	s_or_b32 exec_lo, exec_lo, s23
	v_xor_b32_e32 v39, 0x7f, v148
	; wave barrier
	v_and_b32_sdwa v40, v92, v39 dst_sel:DWORD dst_unused:UNUSED_PAD src0_sel:DWORD src1_sel:BYTE_0
	v_lshrrev_b32_e32 v40, s61, v40
	v_and_b32_e32 v160, s62, v40
	v_and_b32_e32 v40, 1, v160
	v_lshlrev_b32_e32 v148, 30, v160
	v_lshlrev_b32_e32 v159, 29, v160
	v_lshlrev_b32_e32 v162, 28, v160
	v_lshlrev_b32_e32 v163, 27, v160
	v_add_co_u32 v40, s23, v40, -1
	v_cndmask_b32_e64 v161, 0, 1, s23
	v_not_b32_e32 v165, v148
	v_cmp_gt_i32_e64 s23, 0, v148
	v_not_b32_e32 v148, v159
	v_lshlrev_b32_e32 v164, 26, v160
	v_cmp_ne_u32_e32 vcc_lo, 0, v161
	v_ashrrev_i32_e32 v165, 31, v165
	v_lshlrev_b32_e32 v161, 25, v160
	v_ashrrev_i32_e32 v148, 31, v148
	v_xor_b32_e32 v40, vcc_lo, v40
	v_cmp_gt_i32_e32 vcc_lo, 0, v159
	v_not_b32_e32 v159, v162
	v_xor_b32_e32 v165, s23, v165
	v_cmp_gt_i32_e64 s23, 0, v162
	v_and_b32_e32 v40, exec_lo, v40
	v_not_b32_e32 v162, v163
	v_ashrrev_i32_e32 v159, 31, v159
	v_xor_b32_e32 v148, vcc_lo, v148
	v_cmp_gt_i32_e32 vcc_lo, 0, v163
	v_and_b32_e32 v40, v40, v165
	v_not_b32_e32 v163, v164
	v_ashrrev_i32_e32 v162, 31, v162
	v_xor_b32_e32 v159, s23, v159
	v_cmp_gt_i32_e64 s23, 0, v164
	v_and_b32_e32 v40, v40, v148
	v_not_b32_e32 v148, v161
	v_ashrrev_i32_e32 v163, 31, v163
	v_xor_b32_e32 v162, vcc_lo, v162
	v_cmp_gt_i32_e32 vcc_lo, 0, v161
	v_and_b32_e32 v40, v40, v159
	v_ashrrev_i32_e32 v148, 31, v148
	v_xor_b32_e32 v159, s23, v163
	v_mad_u32_u24 v161, v160, 36, v114
	v_mul_u32_u24_e32 v160, 36, v160
	v_and_b32_e32 v40, v40, v162
	v_xor_b32_e32 v162, vcc_lo, v148
	ds_read_b32 v148, v161 offset:544
	v_add_nc_u32_e32 v160, v114, v160
	v_and_b32_e32 v40, v40, v159
	; wave barrier
	v_and_b32_e32 v40, v40, v162
	v_mbcnt_lo_u32_b32 v159, v40, 0
	v_cmp_ne_u32_e64 s23, 0, v40
	v_cmp_eq_u32_e32 vcc_lo, 0, v159
	s_and_b32 s24, s23, vcc_lo
	s_and_saveexec_b32 s23, s24
	s_cbranch_execz .LBB325_141
; %bb.140:                              ;   in Loop: Header=BB325_108 Depth=2
	s_waitcnt lgkmcnt(0)
	v_bcnt_u32_b32 v40, v40, v148
	ds_write_b32 v160, v40 offset:544
.LBB325_141:                            ;   in Loop: Header=BB325_108 Depth=2
	s_or_b32 exec_lo, exec_lo, s23
	v_xor_b32_sdwa v40, v141, v93 dst_sel:BYTE_1 dst_unused:UNUSED_PAD src0_sel:DWORD src1_sel:DWORD
	v_xor_b32_e32 v142, 0x7f, v142
	v_xor_b32_sdwa v143, v143, v93 dst_sel:BYTE_1 dst_unused:UNUSED_PAD src0_sel:DWORD src1_sel:DWORD
	; wave barrier
	v_or_b32_sdwa v141, v39, v40 dst_sel:DWORD dst_unused:UNUSED_PAD src0_sel:BYTE_0 src1_sel:DWORD
	v_or_b32_sdwa v39, v142, v143 dst_sel:WORD_1 dst_unused:UNUSED_PAD src0_sel:BYTE_0 src1_sel:DWORD
	v_or_b32_sdwa v142, v141, v39 dst_sel:DWORD dst_unused:UNUSED_PAD src0_sel:WORD_0 src1_sel:DWORD
	v_lshrrev_b32_sdwa v39, s61, v142 dst_sel:DWORD dst_unused:UNUSED_PAD src0_sel:DWORD src1_sel:BYTE_1
	v_and_b32_e32 v40, s62, v39
	v_and_b32_e32 v39, 1, v40
	v_lshlrev_b32_e32 v143, 30, v40
	v_lshlrev_b32_e32 v161, 29, v40
	;; [unrolled: 1-line block ×4, first 2 shown]
	v_add_co_u32 v39, s23, v39, -1
	v_cndmask_b32_e64 v162, 0, 1, s23
	v_not_b32_e32 v166, v143
	v_cmp_gt_i32_e64 s23, 0, v143
	v_not_b32_e32 v143, v161
	v_lshlrev_b32_e32 v165, 26, v40
	v_cmp_ne_u32_e32 vcc_lo, 0, v162
	v_ashrrev_i32_e32 v166, 31, v166
	v_lshlrev_b32_e32 v162, 25, v40
	v_ashrrev_i32_e32 v143, 31, v143
	v_xor_b32_e32 v39, vcc_lo, v39
	v_cmp_gt_i32_e32 vcc_lo, 0, v161
	v_not_b32_e32 v161, v163
	v_xor_b32_e32 v166, s23, v166
	v_cmp_gt_i32_e64 s23, 0, v163
	v_and_b32_e32 v39, exec_lo, v39
	v_not_b32_e32 v163, v164
	v_ashrrev_i32_e32 v161, 31, v161
	v_xor_b32_e32 v143, vcc_lo, v143
	v_cmp_gt_i32_e32 vcc_lo, 0, v164
	v_and_b32_e32 v39, v39, v166
	v_not_b32_e32 v164, v165
	v_ashrrev_i32_e32 v163, 31, v163
	v_xor_b32_e32 v161, s23, v161
	v_cmp_gt_i32_e64 s23, 0, v165
	v_and_b32_e32 v39, v39, v143
	v_not_b32_e32 v143, v162
	v_ashrrev_i32_e32 v164, 31, v164
	v_xor_b32_e32 v163, vcc_lo, v163
	v_cmp_gt_i32_e32 vcc_lo, 0, v162
	v_and_b32_e32 v39, v39, v161
	v_ashrrev_i32_e32 v143, 31, v143
	v_xor_b32_e32 v161, s23, v164
	v_mad_u32_u24 v162, v40, 36, v114
	v_mul_u32_u24_e32 v40, 36, v40
	v_and_b32_e32 v39, v39, v163
	v_xor_b32_e32 v163, vcc_lo, v143
	ds_read_b32 v143, v162 offset:544
	v_add_nc_u32_e32 v162, v114, v40
	v_and_b32_e32 v39, v39, v161
	; wave barrier
	v_and_b32_e32 v39, v39, v163
	v_mbcnt_lo_u32_b32 v161, v39, 0
	v_cmp_ne_u32_e64 s23, 0, v39
	v_cmp_eq_u32_e32 vcc_lo, 0, v161
	s_and_b32 s24, s23, vcc_lo
	s_and_saveexec_b32 s23, s24
	s_cbranch_execz .LBB325_143
; %bb.142:                              ;   in Loop: Header=BB325_108 Depth=2
	s_waitcnt lgkmcnt(0)
	v_bcnt_u32_b32 v39, v39, v143
	ds_write_b32 v162, v39 offset:544
.LBB325_143:                            ;   in Loop: Header=BB325_108 Depth=2
	s_or_b32 exec_lo, exec_lo, s23
	v_lshrrev_b32_sdwa v39, s61, v142 dst_sel:DWORD dst_unused:UNUSED_PAD src0_sel:DWORD src1_sel:BYTE_2
	; wave barrier
	v_and_b32_e32 v40, s62, v39
	v_and_b32_e32 v39, 1, v40
	v_lshlrev_b32_e32 v163, 30, v40
	v_lshlrev_b32_e32 v164, 29, v40
	v_lshlrev_b32_e32 v166, 28, v40
	v_lshlrev_b32_e32 v167, 27, v40
	v_add_co_u32 v39, s23, v39, -1
	v_cndmask_b32_e64 v165, 0, 1, s23
	v_not_b32_e32 v169, v163
	v_cmp_gt_i32_e64 s23, 0, v163
	v_not_b32_e32 v163, v164
	v_lshlrev_b32_e32 v168, 26, v40
	v_cmp_ne_u32_e32 vcc_lo, 0, v165
	v_ashrrev_i32_e32 v169, 31, v169
	v_lshlrev_b32_e32 v165, 25, v40
	v_ashrrev_i32_e32 v163, 31, v163
	v_xor_b32_e32 v39, vcc_lo, v39
	v_cmp_gt_i32_e32 vcc_lo, 0, v164
	v_not_b32_e32 v164, v166
	v_xor_b32_e32 v169, s23, v169
	v_cmp_gt_i32_e64 s23, 0, v166
	v_and_b32_e32 v39, exec_lo, v39
	v_not_b32_e32 v166, v167
	v_ashrrev_i32_e32 v164, 31, v164
	v_xor_b32_e32 v163, vcc_lo, v163
	v_cmp_gt_i32_e32 vcc_lo, 0, v167
	v_and_b32_e32 v39, v39, v169
	v_not_b32_e32 v167, v168
	v_ashrrev_i32_e32 v166, 31, v166
	v_xor_b32_e32 v164, s23, v164
	v_cmp_gt_i32_e64 s23, 0, v168
	v_and_b32_e32 v39, v39, v163
	v_not_b32_e32 v163, v165
	v_ashrrev_i32_e32 v167, 31, v167
	v_xor_b32_e32 v166, vcc_lo, v166
	v_cmp_gt_i32_e32 vcc_lo, 0, v165
	v_and_b32_e32 v39, v39, v164
	v_ashrrev_i32_e32 v163, 31, v163
	v_xor_b32_e32 v164, s23, v167
	v_mad_u32_u24 v165, v40, 36, v114
	v_mul_u32_u24_e32 v40, 36, v40
	v_and_b32_e32 v39, v39, v166
	v_xor_b32_e32 v166, vcc_lo, v163
	ds_read_b32 v163, v165 offset:544
	v_and_b32_e32 v39, v39, v164
	; wave barrier
	v_and_b32_e32 v39, v39, v166
	v_add_nc_u32_e32 v166, v114, v40
	v_mbcnt_lo_u32_b32 v164, v39, 0
	v_cmp_ne_u32_e64 s23, 0, v39
	v_cmp_eq_u32_e32 vcc_lo, 0, v164
	s_and_b32 s24, s23, vcc_lo
	s_and_saveexec_b32 s23, s24
	s_cbranch_execz .LBB325_145
; %bb.144:                              ;   in Loop: Header=BB325_108 Depth=2
	s_waitcnt lgkmcnt(0)
	v_bcnt_u32_b32 v39, v39, v163
	ds_write_b32 v166, v39 offset:544
.LBB325_145:                            ;   in Loop: Header=BB325_108 Depth=2
	s_or_b32 exec_lo, exec_lo, s23
	v_lshrrev_b32_e32 v165, 24, v142
	; wave barrier
	v_lshrrev_b32_e32 v39, s61, v165
	v_and_b32_e32 v40, s62, v39
	v_and_b32_e32 v39, 1, v40
	v_lshlrev_b32_e32 v167, 30, v40
	v_lshlrev_b32_e32 v168, 29, v40
	;; [unrolled: 1-line block ×4, first 2 shown]
	v_add_co_u32 v39, s23, v39, -1
	v_cndmask_b32_e64 v169, 0, 1, s23
	v_not_b32_e32 v173, v167
	v_cmp_gt_i32_e64 s23, 0, v167
	v_not_b32_e32 v167, v168
	v_lshlrev_b32_e32 v172, 26, v40
	v_cmp_ne_u32_e32 vcc_lo, 0, v169
	v_ashrrev_i32_e32 v173, 31, v173
	v_lshlrev_b32_e32 v169, 25, v40
	v_ashrrev_i32_e32 v167, 31, v167
	v_xor_b32_e32 v39, vcc_lo, v39
	v_cmp_gt_i32_e32 vcc_lo, 0, v168
	v_not_b32_e32 v168, v170
	v_xor_b32_e32 v173, s23, v173
	v_cmp_gt_i32_e64 s23, 0, v170
	v_and_b32_e32 v39, exec_lo, v39
	v_not_b32_e32 v170, v171
	v_ashrrev_i32_e32 v168, 31, v168
	v_xor_b32_e32 v167, vcc_lo, v167
	v_cmp_gt_i32_e32 vcc_lo, 0, v171
	v_and_b32_e32 v39, v39, v173
	v_not_b32_e32 v171, v172
	v_ashrrev_i32_e32 v170, 31, v170
	v_xor_b32_e32 v168, s23, v168
	v_cmp_gt_i32_e64 s23, 0, v172
	v_and_b32_e32 v39, v39, v167
	v_not_b32_e32 v167, v169
	v_ashrrev_i32_e32 v171, 31, v171
	v_xor_b32_e32 v170, vcc_lo, v170
	v_cmp_gt_i32_e32 vcc_lo, 0, v169
	v_and_b32_e32 v39, v39, v168
	v_ashrrev_i32_e32 v167, 31, v167
	v_xor_b32_e32 v168, s23, v171
	v_mad_u32_u24 v169, v40, 36, v114
	v_mul_u32_u24_e32 v40, 36, v40
	v_and_b32_e32 v39, v39, v170
	v_xor_b32_e32 v170, vcc_lo, v167
	ds_read_b32 v167, v169 offset:544
	v_add_nc_u32_e32 v169, v114, v40
	v_and_b32_e32 v39, v39, v168
	; wave barrier
	v_and_b32_e32 v39, v39, v170
	v_mbcnt_lo_u32_b32 v168, v39, 0
	v_cmp_ne_u32_e64 s23, 0, v39
	v_cmp_eq_u32_e32 vcc_lo, 0, v168
	s_and_b32 s24, s23, vcc_lo
	s_and_saveexec_b32 s23, s24
	s_cbranch_execz .LBB325_147
; %bb.146:                              ;   in Loop: Header=BB325_108 Depth=2
	s_waitcnt lgkmcnt(0)
	v_bcnt_u32_b32 v39, v39, v167
	ds_write_b32 v169, v39 offset:544
.LBB325_147:                            ;   in Loop: Header=BB325_108 Depth=2
	s_or_b32 exec_lo, exec_lo, s23
	v_xor_b32_e32 v39, 0x7f, v140
	; wave barrier
	v_and_b32_sdwa v40, v92, v39 dst_sel:DWORD dst_unused:UNUSED_PAD src0_sel:DWORD src1_sel:BYTE_0
	v_lshrrev_b32_e32 v40, s61, v40
	v_and_b32_e32 v171, s62, v40
	v_and_b32_e32 v40, 1, v171
	v_lshlrev_b32_e32 v140, 30, v171
	v_lshlrev_b32_e32 v170, 29, v171
	;; [unrolled: 1-line block ×4, first 2 shown]
	v_add_co_u32 v40, s23, v40, -1
	v_cndmask_b32_e64 v172, 0, 1, s23
	v_not_b32_e32 v176, v140
	v_cmp_gt_i32_e64 s23, 0, v140
	v_not_b32_e32 v140, v170
	v_lshlrev_b32_e32 v175, 26, v171
	v_cmp_ne_u32_e32 vcc_lo, 0, v172
	v_ashrrev_i32_e32 v176, 31, v176
	v_lshlrev_b32_e32 v172, 25, v171
	v_ashrrev_i32_e32 v140, 31, v140
	v_xor_b32_e32 v40, vcc_lo, v40
	v_cmp_gt_i32_e32 vcc_lo, 0, v170
	v_not_b32_e32 v170, v173
	v_xor_b32_e32 v176, s23, v176
	v_cmp_gt_i32_e64 s23, 0, v173
	v_and_b32_e32 v40, exec_lo, v40
	v_not_b32_e32 v173, v174
	v_ashrrev_i32_e32 v170, 31, v170
	v_xor_b32_e32 v140, vcc_lo, v140
	v_cmp_gt_i32_e32 vcc_lo, 0, v174
	v_and_b32_e32 v40, v40, v176
	v_not_b32_e32 v174, v175
	v_ashrrev_i32_e32 v173, 31, v173
	v_xor_b32_e32 v170, s23, v170
	v_cmp_gt_i32_e64 s23, 0, v175
	v_and_b32_e32 v40, v40, v140
	v_not_b32_e32 v140, v172
	v_ashrrev_i32_e32 v174, 31, v174
	v_xor_b32_e32 v173, vcc_lo, v173
	v_cmp_gt_i32_e32 vcc_lo, 0, v172
	v_and_b32_e32 v40, v40, v170
	v_ashrrev_i32_e32 v140, 31, v140
	v_xor_b32_e32 v170, s23, v174
	v_mad_u32_u24 v172, v171, 36, v114
	v_mul_u32_u24_e32 v171, 36, v171
	v_and_b32_e32 v40, v40, v173
	v_xor_b32_e32 v173, vcc_lo, v140
	ds_read_b32 v140, v172 offset:544
	v_add_nc_u32_e32 v171, v114, v171
	v_and_b32_e32 v40, v40, v170
	; wave barrier
	v_and_b32_e32 v40, v40, v173
	v_mbcnt_lo_u32_b32 v170, v40, 0
	v_cmp_ne_u32_e64 s23, 0, v40
	v_cmp_eq_u32_e32 vcc_lo, 0, v170
	s_and_b32 s24, s23, vcc_lo
	s_and_saveexec_b32 s23, s24
	s_cbranch_execz .LBB325_149
; %bb.148:                              ;   in Loop: Header=BB325_108 Depth=2
	s_waitcnt lgkmcnt(0)
	v_bcnt_u32_b32 v40, v40, v140
	ds_write_b32 v171, v40 offset:544
.LBB325_149:                            ;   in Loop: Header=BB325_108 Depth=2
	s_or_b32 exec_lo, exec_lo, s23
	v_xor_b32_sdwa v40, v137, v93 dst_sel:BYTE_1 dst_unused:UNUSED_PAD src0_sel:DWORD src1_sel:DWORD
	v_xor_b32_e32 v138, 0x7f, v138
	v_xor_b32_sdwa v139, v139, v93 dst_sel:BYTE_1 dst_unused:UNUSED_PAD src0_sel:DWORD src1_sel:DWORD
	; wave barrier
	v_or_b32_sdwa v137, v39, v40 dst_sel:DWORD dst_unused:UNUSED_PAD src0_sel:BYTE_0 src1_sel:DWORD
	v_or_b32_sdwa v39, v138, v139 dst_sel:WORD_1 dst_unused:UNUSED_PAD src0_sel:BYTE_0 src1_sel:DWORD
	v_or_b32_sdwa v138, v137, v39 dst_sel:DWORD dst_unused:UNUSED_PAD src0_sel:WORD_0 src1_sel:DWORD
	v_lshrrev_b32_sdwa v39, s61, v138 dst_sel:DWORD dst_unused:UNUSED_PAD src0_sel:DWORD src1_sel:BYTE_1
	v_and_b32_e32 v40, s62, v39
	v_and_b32_e32 v39, 1, v40
	v_lshlrev_b32_e32 v139, 30, v40
	v_lshlrev_b32_e32 v172, 29, v40
	v_lshlrev_b32_e32 v174, 28, v40
	v_lshlrev_b32_e32 v175, 27, v40
	v_add_co_u32 v39, s23, v39, -1
	v_cndmask_b32_e64 v173, 0, 1, s23
	v_not_b32_e32 v177, v139
	v_cmp_gt_i32_e64 s23, 0, v139
	v_not_b32_e32 v139, v172
	v_lshlrev_b32_e32 v176, 26, v40
	v_cmp_ne_u32_e32 vcc_lo, 0, v173
	v_ashrrev_i32_e32 v177, 31, v177
	v_lshlrev_b32_e32 v173, 25, v40
	v_ashrrev_i32_e32 v139, 31, v139
	v_xor_b32_e32 v39, vcc_lo, v39
	v_cmp_gt_i32_e32 vcc_lo, 0, v172
	v_not_b32_e32 v172, v174
	v_xor_b32_e32 v177, s23, v177
	v_cmp_gt_i32_e64 s23, 0, v174
	v_and_b32_e32 v39, exec_lo, v39
	v_not_b32_e32 v174, v175
	v_ashrrev_i32_e32 v172, 31, v172
	v_xor_b32_e32 v139, vcc_lo, v139
	v_cmp_gt_i32_e32 vcc_lo, 0, v175
	v_and_b32_e32 v39, v39, v177
	v_not_b32_e32 v175, v176
	v_ashrrev_i32_e32 v174, 31, v174
	v_xor_b32_e32 v172, s23, v172
	v_cmp_gt_i32_e64 s23, 0, v176
	v_and_b32_e32 v39, v39, v139
	v_not_b32_e32 v139, v173
	v_ashrrev_i32_e32 v175, 31, v175
	v_xor_b32_e32 v174, vcc_lo, v174
	v_cmp_gt_i32_e32 vcc_lo, 0, v173
	v_and_b32_e32 v39, v39, v172
	v_ashrrev_i32_e32 v139, 31, v139
	v_xor_b32_e32 v172, s23, v175
	v_mad_u32_u24 v173, v40, 36, v114
	v_mul_u32_u24_e32 v40, 36, v40
	v_and_b32_e32 v39, v39, v174
	v_xor_b32_e32 v174, vcc_lo, v139
	ds_read_b32 v139, v173 offset:544
	v_add_nc_u32_e32 v173, v114, v40
	v_and_b32_e32 v39, v39, v172
	; wave barrier
	v_and_b32_e32 v39, v39, v174
	v_mbcnt_lo_u32_b32 v172, v39, 0
	v_cmp_ne_u32_e64 s23, 0, v39
	v_cmp_eq_u32_e32 vcc_lo, 0, v172
	s_and_b32 s24, s23, vcc_lo
	s_and_saveexec_b32 s23, s24
	s_cbranch_execz .LBB325_151
; %bb.150:                              ;   in Loop: Header=BB325_108 Depth=2
	s_waitcnt lgkmcnt(0)
	v_bcnt_u32_b32 v39, v39, v139
	ds_write_b32 v173, v39 offset:544
.LBB325_151:                            ;   in Loop: Header=BB325_108 Depth=2
	s_or_b32 exec_lo, exec_lo, s23
	v_lshrrev_b32_sdwa v39, s61, v138 dst_sel:DWORD dst_unused:UNUSED_PAD src0_sel:DWORD src1_sel:BYTE_2
	; wave barrier
	v_and_b32_e32 v40, s62, v39
	v_and_b32_e32 v39, 1, v40
	v_lshlrev_b32_e32 v174, 30, v40
	v_lshlrev_b32_e32 v175, 29, v40
	;; [unrolled: 1-line block ×4, first 2 shown]
	v_add_co_u32 v39, s23, v39, -1
	v_cndmask_b32_e64 v176, 0, 1, s23
	v_not_b32_e32 v180, v174
	v_cmp_gt_i32_e64 s23, 0, v174
	v_not_b32_e32 v174, v175
	v_lshlrev_b32_e32 v179, 26, v40
	v_cmp_ne_u32_e32 vcc_lo, 0, v176
	v_ashrrev_i32_e32 v180, 31, v180
	v_lshlrev_b32_e32 v176, 25, v40
	v_ashrrev_i32_e32 v174, 31, v174
	v_xor_b32_e32 v39, vcc_lo, v39
	v_cmp_gt_i32_e32 vcc_lo, 0, v175
	v_not_b32_e32 v175, v177
	v_xor_b32_e32 v180, s23, v180
	v_cmp_gt_i32_e64 s23, 0, v177
	v_and_b32_e32 v39, exec_lo, v39
	v_not_b32_e32 v177, v178
	v_ashrrev_i32_e32 v175, 31, v175
	v_xor_b32_e32 v174, vcc_lo, v174
	v_cmp_gt_i32_e32 vcc_lo, 0, v178
	v_and_b32_e32 v39, v39, v180
	v_not_b32_e32 v178, v179
	v_ashrrev_i32_e32 v177, 31, v177
	v_xor_b32_e32 v175, s23, v175
	v_cmp_gt_i32_e64 s23, 0, v179
	v_and_b32_e32 v39, v39, v174
	v_not_b32_e32 v174, v176
	v_ashrrev_i32_e32 v178, 31, v178
	v_xor_b32_e32 v177, vcc_lo, v177
	v_cmp_gt_i32_e32 vcc_lo, 0, v176
	v_and_b32_e32 v39, v39, v175
	v_ashrrev_i32_e32 v174, 31, v174
	v_xor_b32_e32 v175, s23, v178
	v_mad_u32_u24 v176, v40, 36, v114
	v_mul_u32_u24_e32 v40, 36, v40
	v_and_b32_e32 v39, v39, v177
	v_xor_b32_e32 v177, vcc_lo, v174
	ds_read_b32 v174, v176 offset:544
	v_and_b32_e32 v39, v39, v175
	; wave barrier
	v_and_b32_e32 v39, v39, v177
	v_add_nc_u32_e32 v177, v114, v40
	v_mbcnt_lo_u32_b32 v175, v39, 0
	v_cmp_ne_u32_e64 s23, 0, v39
	v_cmp_eq_u32_e32 vcc_lo, 0, v175
	s_and_b32 s24, s23, vcc_lo
	s_and_saveexec_b32 s23, s24
	s_cbranch_execz .LBB325_153
; %bb.152:                              ;   in Loop: Header=BB325_108 Depth=2
	s_waitcnt lgkmcnt(0)
	v_bcnt_u32_b32 v39, v39, v174
	ds_write_b32 v177, v39 offset:544
.LBB325_153:                            ;   in Loop: Header=BB325_108 Depth=2
	s_or_b32 exec_lo, exec_lo, s23
	v_lshrrev_b32_e32 v176, 24, v138
	; wave barrier
	v_lshrrev_b32_e32 v39, s61, v176
	v_and_b32_e32 v40, s62, v39
	v_and_b32_e32 v39, 1, v40
	v_lshlrev_b32_e32 v178, 30, v40
	v_lshlrev_b32_e32 v179, 29, v40
	v_lshlrev_b32_e32 v181, 28, v40
	v_lshlrev_b32_e32 v182, 27, v40
	v_add_co_u32 v39, s23, v39, -1
	v_cndmask_b32_e64 v180, 0, 1, s23
	v_not_b32_e32 v184, v178
	v_cmp_gt_i32_e64 s23, 0, v178
	v_not_b32_e32 v178, v179
	v_lshlrev_b32_e32 v183, 26, v40
	v_cmp_ne_u32_e32 vcc_lo, 0, v180
	v_ashrrev_i32_e32 v184, 31, v184
	v_lshlrev_b32_e32 v180, 25, v40
	v_ashrrev_i32_e32 v178, 31, v178
	v_xor_b32_e32 v39, vcc_lo, v39
	v_cmp_gt_i32_e32 vcc_lo, 0, v179
	v_not_b32_e32 v179, v181
	v_xor_b32_e32 v184, s23, v184
	v_cmp_gt_i32_e64 s23, 0, v181
	v_and_b32_e32 v39, exec_lo, v39
	v_not_b32_e32 v181, v182
	v_ashrrev_i32_e32 v179, 31, v179
	v_xor_b32_e32 v178, vcc_lo, v178
	v_cmp_gt_i32_e32 vcc_lo, 0, v182
	v_and_b32_e32 v39, v39, v184
	v_not_b32_e32 v182, v183
	v_ashrrev_i32_e32 v181, 31, v181
	v_xor_b32_e32 v179, s23, v179
	v_cmp_gt_i32_e64 s23, 0, v183
	v_and_b32_e32 v39, v39, v178
	v_not_b32_e32 v178, v180
	v_ashrrev_i32_e32 v182, 31, v182
	v_xor_b32_e32 v181, vcc_lo, v181
	v_cmp_gt_i32_e32 vcc_lo, 0, v180
	v_and_b32_e32 v39, v39, v179
	v_ashrrev_i32_e32 v178, 31, v178
	v_xor_b32_e32 v179, s23, v182
	v_mad_u32_u24 v180, v40, 36, v114
	v_mul_u32_u24_e32 v40, 36, v40
	v_and_b32_e32 v39, v39, v181
	v_xor_b32_e32 v181, vcc_lo, v178
	ds_read_b32 v178, v180 offset:544
	v_add_nc_u32_e32 v180, v114, v40
	v_and_b32_e32 v39, v39, v179
	; wave barrier
	v_and_b32_e32 v39, v39, v181
	v_mbcnt_lo_u32_b32 v179, v39, 0
	v_cmp_ne_u32_e64 s23, 0, v39
	v_cmp_eq_u32_e32 vcc_lo, 0, v179
	s_and_b32 s24, s23, vcc_lo
	s_and_saveexec_b32 s23, s24
	s_cbranch_execz .LBB325_155
; %bb.154:                              ;   in Loop: Header=BB325_108 Depth=2
	s_waitcnt lgkmcnt(0)
	v_bcnt_u32_b32 v39, v39, v178
	ds_write_b32 v180, v39 offset:544
.LBB325_155:                            ;   in Loop: Header=BB325_108 Depth=2
	s_or_b32 exec_lo, exec_lo, s23
	v_xor_b32_e32 v39, 0x7f, v135
	; wave barrier
	v_and_b32_sdwa v40, v92, v39 dst_sel:DWORD dst_unused:UNUSED_PAD src0_sel:DWORD src1_sel:BYTE_0
	v_lshrrev_b32_e32 v40, s61, v40
	v_and_b32_e32 v182, s62, v40
	v_and_b32_e32 v40, 1, v182
	v_lshlrev_b32_e32 v135, 30, v182
	v_lshlrev_b32_e32 v181, 29, v182
	;; [unrolled: 1-line block ×4, first 2 shown]
	v_add_co_u32 v40, s23, v40, -1
	v_cndmask_b32_e64 v183, 0, 1, s23
	v_not_b32_e32 v187, v135
	v_cmp_gt_i32_e64 s23, 0, v135
	v_not_b32_e32 v135, v181
	v_lshlrev_b32_e32 v186, 26, v182
	v_cmp_ne_u32_e32 vcc_lo, 0, v183
	v_ashrrev_i32_e32 v187, 31, v187
	v_lshlrev_b32_e32 v183, 25, v182
	v_ashrrev_i32_e32 v135, 31, v135
	v_xor_b32_e32 v40, vcc_lo, v40
	v_cmp_gt_i32_e32 vcc_lo, 0, v181
	v_not_b32_e32 v181, v184
	v_xor_b32_e32 v187, s23, v187
	v_cmp_gt_i32_e64 s23, 0, v184
	v_and_b32_e32 v40, exec_lo, v40
	v_not_b32_e32 v184, v185
	v_ashrrev_i32_e32 v181, 31, v181
	v_xor_b32_e32 v135, vcc_lo, v135
	v_cmp_gt_i32_e32 vcc_lo, 0, v185
	v_and_b32_e32 v40, v40, v187
	v_not_b32_e32 v185, v186
	v_ashrrev_i32_e32 v184, 31, v184
	v_xor_b32_e32 v181, s23, v181
	v_cmp_gt_i32_e64 s23, 0, v186
	v_and_b32_e32 v40, v40, v135
	v_not_b32_e32 v135, v183
	v_ashrrev_i32_e32 v185, 31, v185
	v_xor_b32_e32 v184, vcc_lo, v184
	v_cmp_gt_i32_e32 vcc_lo, 0, v183
	v_and_b32_e32 v40, v40, v181
	v_ashrrev_i32_e32 v135, 31, v135
	v_xor_b32_e32 v181, s23, v185
	v_mad_u32_u24 v183, v182, 36, v114
	v_mul_u32_u24_e32 v182, 36, v182
	v_and_b32_e32 v40, v40, v184
	v_xor_b32_e32 v184, vcc_lo, v135
	ds_read_b32 v135, v183 offset:544
	v_add_nc_u32_e32 v183, v114, v182
	v_and_b32_e32 v40, v40, v181
	; wave barrier
	v_and_b32_e32 v40, v40, v184
	v_mbcnt_lo_u32_b32 v181, v40, 0
	v_cmp_ne_u32_e64 s23, 0, v40
	v_cmp_eq_u32_e32 vcc_lo, 0, v181
	s_and_b32 s24, s23, vcc_lo
	s_and_saveexec_b32 s23, s24
	s_cbranch_execz .LBB325_157
; %bb.156:                              ;   in Loop: Header=BB325_108 Depth=2
	s_waitcnt lgkmcnt(0)
	v_bcnt_u32_b32 v40, v40, v135
	ds_write_b32 v183, v40 offset:544
.LBB325_157:                            ;   in Loop: Header=BB325_108 Depth=2
	s_or_b32 exec_lo, exec_lo, s23
	v_xor_b32_sdwa v3, v3, v93 dst_sel:BYTE_1 dst_unused:UNUSED_PAD src0_sel:DWORD src1_sel:DWORD
	v_xor_b32_e32 v40, 0x7f, v41
	v_xor_b32_sdwa v41, v42, v93 dst_sel:BYTE_1 dst_unused:UNUSED_PAD src0_sel:DWORD src1_sel:DWORD
	; wave barrier
	v_or_b32_sdwa v182, v39, v3 dst_sel:DWORD dst_unused:UNUSED_PAD src0_sel:BYTE_0 src1_sel:DWORD
	v_or_b32_sdwa v3, v40, v41 dst_sel:WORD_1 dst_unused:UNUSED_PAD src0_sel:BYTE_0 src1_sel:DWORD
	v_or_b32_sdwa v3, v182, v3 dst_sel:DWORD dst_unused:UNUSED_PAD src0_sel:WORD_0 src1_sel:DWORD
	v_lshrrev_b32_sdwa v39, s61, v3 dst_sel:DWORD dst_unused:UNUSED_PAD src0_sel:DWORD src1_sel:BYTE_1
	v_and_b32_e32 v40, s62, v39
	v_and_b32_e32 v39, 1, v40
	v_lshlrev_b32_e32 v41, 30, v40
	v_lshlrev_b32_e32 v42, 29, v40
	;; [unrolled: 1-line block ×4, first 2 shown]
	v_add_co_u32 v39, s23, v39, -1
	v_cndmask_b32_e64 v184, 0, 1, s23
	v_not_b32_e32 v188, v41
	v_cmp_gt_i32_e64 s23, 0, v41
	v_not_b32_e32 v41, v42
	v_lshlrev_b32_e32 v187, 26, v40
	v_cmp_ne_u32_e32 vcc_lo, 0, v184
	v_ashrrev_i32_e32 v188, 31, v188
	v_lshlrev_b32_e32 v184, 25, v40
	v_ashrrev_i32_e32 v41, 31, v41
	v_xor_b32_e32 v39, vcc_lo, v39
	v_cmp_gt_i32_e32 vcc_lo, 0, v42
	v_not_b32_e32 v42, v185
	v_xor_b32_e32 v188, s23, v188
	v_cmp_gt_i32_e64 s23, 0, v185
	v_and_b32_e32 v39, exec_lo, v39
	v_not_b32_e32 v185, v186
	v_ashrrev_i32_e32 v42, 31, v42
	v_xor_b32_e32 v41, vcc_lo, v41
	v_cmp_gt_i32_e32 vcc_lo, 0, v186
	v_and_b32_e32 v39, v39, v188
	v_not_b32_e32 v186, v187
	v_ashrrev_i32_e32 v185, 31, v185
	v_xor_b32_e32 v42, s23, v42
	v_cmp_gt_i32_e64 s23, 0, v187
	v_and_b32_e32 v39, v39, v41
	v_not_b32_e32 v41, v184
	v_ashrrev_i32_e32 v186, 31, v186
	v_xor_b32_e32 v185, vcc_lo, v185
	v_cmp_gt_i32_e32 vcc_lo, 0, v184
	v_and_b32_e32 v39, v39, v42
	v_ashrrev_i32_e32 v41, 31, v41
	v_xor_b32_e32 v42, s23, v186
	v_mad_u32_u24 v184, v40, 36, v114
	v_mul_u32_u24_e32 v40, 36, v40
	v_and_b32_e32 v39, v39, v185
	v_xor_b32_e32 v41, vcc_lo, v41
	ds_read_b32 v184, v184 offset:544
	v_add_nc_u32_e32 v186, v114, v40
	v_and_b32_e32 v39, v39, v42
	; wave barrier
	v_and_b32_e32 v39, v39, v41
	v_mbcnt_lo_u32_b32 v185, v39, 0
	v_cmp_ne_u32_e64 s23, 0, v39
	v_cmp_eq_u32_e32 vcc_lo, 0, v185
	s_and_b32 s24, s23, vcc_lo
	s_and_saveexec_b32 s23, s24
	s_cbranch_execz .LBB325_159
; %bb.158:                              ;   in Loop: Header=BB325_108 Depth=2
	s_waitcnt lgkmcnt(0)
	v_bcnt_u32_b32 v39, v39, v184
	ds_write_b32 v186, v39 offset:544
.LBB325_159:                            ;   in Loop: Header=BB325_108 Depth=2
	s_or_b32 exec_lo, exec_lo, s23
	v_lshrrev_b32_sdwa v39, s61, v3 dst_sel:DWORD dst_unused:UNUSED_PAD src0_sel:DWORD src1_sel:BYTE_2
	; wave barrier
	v_and_b32_e32 v40, s62, v39
	v_and_b32_e32 v39, 1, v40
	v_lshlrev_b32_e32 v41, 30, v40
	v_lshlrev_b32_e32 v42, 29, v40
	;; [unrolled: 1-line block ×4, first 2 shown]
	v_add_co_u32 v39, s23, v39, -1
	v_cndmask_b32_e64 v187, 0, 1, s23
	v_not_b32_e32 v191, v41
	v_cmp_gt_i32_e64 s23, 0, v41
	v_not_b32_e32 v41, v42
	v_lshlrev_b32_e32 v190, 26, v40
	v_cmp_ne_u32_e32 vcc_lo, 0, v187
	v_ashrrev_i32_e32 v191, 31, v191
	v_lshlrev_b32_e32 v187, 25, v40
	v_ashrrev_i32_e32 v41, 31, v41
	v_xor_b32_e32 v39, vcc_lo, v39
	v_cmp_gt_i32_e32 vcc_lo, 0, v42
	v_not_b32_e32 v42, v188
	v_xor_b32_e32 v191, s23, v191
	v_cmp_gt_i32_e64 s23, 0, v188
	v_and_b32_e32 v39, exec_lo, v39
	v_not_b32_e32 v188, v189
	v_ashrrev_i32_e32 v42, 31, v42
	v_xor_b32_e32 v41, vcc_lo, v41
	v_cmp_gt_i32_e32 vcc_lo, 0, v189
	v_and_b32_e32 v39, v39, v191
	v_not_b32_e32 v189, v190
	v_ashrrev_i32_e32 v188, 31, v188
	v_xor_b32_e32 v42, s23, v42
	v_cmp_gt_i32_e64 s23, 0, v190
	v_and_b32_e32 v39, v39, v41
	v_not_b32_e32 v41, v187
	v_ashrrev_i32_e32 v189, 31, v189
	v_xor_b32_e32 v188, vcc_lo, v188
	v_cmp_gt_i32_e32 vcc_lo, 0, v187
	v_and_b32_e32 v39, v39, v42
	v_ashrrev_i32_e32 v41, 31, v41
	v_xor_b32_e32 v42, s23, v189
	v_mad_u32_u24 v187, v40, 36, v114
	v_mul_u32_u24_e32 v40, 36, v40
	v_and_b32_e32 v39, v39, v188
	v_xor_b32_e32 v41, vcc_lo, v41
	ds_read_b32 v187, v187 offset:544
	v_add_nc_u32_e32 v190, v114, v40
	v_and_b32_e32 v39, v39, v42
	; wave barrier
	v_and_b32_e32 v39, v39, v41
	v_mbcnt_lo_u32_b32 v188, v39, 0
	v_cmp_ne_u32_e64 s23, 0, v39
	v_cmp_eq_u32_e32 vcc_lo, 0, v188
	s_and_b32 s24, s23, vcc_lo
	s_and_saveexec_b32 s23, s24
	s_cbranch_execz .LBB325_161
; %bb.160:                              ;   in Loop: Header=BB325_108 Depth=2
	s_waitcnt lgkmcnt(0)
	v_bcnt_u32_b32 v39, v39, v187
	ds_write_b32 v190, v39 offset:544
.LBB325_161:                            ;   in Loop: Header=BB325_108 Depth=2
	s_or_b32 exec_lo, exec_lo, s23
	v_lshrrev_b32_e32 v189, 24, v3
	; wave barrier
	v_lshrrev_b32_e32 v39, s61, v189
	v_and_b32_e32 v40, s62, v39
	v_and_b32_e32 v39, 1, v40
	v_lshlrev_b32_e32 v41, 30, v40
	v_lshlrev_b32_e32 v42, 29, v40
	;; [unrolled: 1-line block ×4, first 2 shown]
	v_add_co_u32 v39, s23, v39, -1
	v_cndmask_b32_e64 v191, 0, 1, s23
	v_not_b32_e32 v195, v41
	v_cmp_gt_i32_e64 s23, 0, v41
	v_not_b32_e32 v41, v42
	v_lshlrev_b32_e32 v194, 26, v40
	v_cmp_ne_u32_e32 vcc_lo, 0, v191
	v_ashrrev_i32_e32 v195, 31, v195
	v_lshlrev_b32_e32 v191, 25, v40
	v_ashrrev_i32_e32 v41, 31, v41
	v_xor_b32_e32 v39, vcc_lo, v39
	v_cmp_gt_i32_e32 vcc_lo, 0, v42
	v_not_b32_e32 v42, v192
	v_xor_b32_e32 v195, s23, v195
	v_cmp_gt_i32_e64 s23, 0, v192
	v_and_b32_e32 v39, exec_lo, v39
	v_not_b32_e32 v192, v193
	v_ashrrev_i32_e32 v42, 31, v42
	v_xor_b32_e32 v41, vcc_lo, v41
	v_cmp_gt_i32_e32 vcc_lo, 0, v193
	v_and_b32_e32 v39, v39, v195
	v_not_b32_e32 v193, v194
	v_ashrrev_i32_e32 v192, 31, v192
	v_xor_b32_e32 v42, s23, v42
	v_cmp_gt_i32_e64 s23, 0, v194
	v_and_b32_e32 v39, v39, v41
	v_not_b32_e32 v41, v191
	v_ashrrev_i32_e32 v193, 31, v193
	v_xor_b32_e32 v192, vcc_lo, v192
	v_cmp_gt_i32_e32 vcc_lo, 0, v191
	v_and_b32_e32 v39, v39, v42
	v_ashrrev_i32_e32 v41, 31, v41
	v_xor_b32_e32 v42, s23, v193
	v_mad_u32_u24 v191, v40, 36, v114
	v_mul_u32_u24_e32 v40, 36, v40
	v_and_b32_e32 v39, v39, v192
	v_xor_b32_e32 v41, vcc_lo, v41
	ds_read_b32 v191, v191 offset:544
	v_add_nc_u32_e32 v193, v114, v40
	v_and_b32_e32 v39, v39, v42
	; wave barrier
	v_and_b32_e32 v39, v39, v41
	v_mbcnt_lo_u32_b32 v192, v39, 0
	v_cmp_ne_u32_e64 s23, 0, v39
	v_cmp_eq_u32_e32 vcc_lo, 0, v192
	s_and_b32 s24, s23, vcc_lo
	s_and_saveexec_b32 s23, s24
	s_cbranch_execz .LBB325_163
; %bb.162:                              ;   in Loop: Header=BB325_108 Depth=2
	s_waitcnt lgkmcnt(0)
	v_bcnt_u32_b32 v39, v39, v191
	ds_write_b32 v193, v39 offset:544
.LBB325_163:                            ;   in Loop: Header=BB325_108 Depth=2
	s_or_b32 exec_lo, exec_lo, s23
	v_xor_b32_e32 v115, 0x7f, v115
	; wave barrier
	v_lshrrev_b32_sdwa v39, s61, v115 dst_sel:DWORD dst_unused:UNUSED_PAD src0_sel:DWORD src1_sel:BYTE_0
	v_and_b32_e32 v40, s62, v39
	v_and_b32_e32 v39, 1, v40
	v_lshlrev_b32_e32 v41, 30, v40
	v_lshlrev_b32_e32 v42, 29, v40
	;; [unrolled: 1-line block ×4, first 2 shown]
	v_add_co_u32 v39, s23, v39, -1
	v_cndmask_b32_e64 v194, 0, 1, s23
	v_not_b32_e32 v198, v41
	v_cmp_gt_i32_e64 s23, 0, v41
	v_not_b32_e32 v41, v42
	v_lshlrev_b32_e32 v197, 26, v40
	v_cmp_ne_u32_e32 vcc_lo, 0, v194
	v_ashrrev_i32_e32 v198, 31, v198
	v_lshlrev_b32_e32 v194, 25, v40
	v_ashrrev_i32_e32 v41, 31, v41
	v_xor_b32_e32 v39, vcc_lo, v39
	v_cmp_gt_i32_e32 vcc_lo, 0, v42
	v_not_b32_e32 v42, v195
	v_xor_b32_e32 v198, s23, v198
	v_cmp_gt_i32_e64 s23, 0, v195
	v_and_b32_e32 v39, exec_lo, v39
	v_not_b32_e32 v195, v196
	v_ashrrev_i32_e32 v42, 31, v42
	v_xor_b32_e32 v41, vcc_lo, v41
	v_cmp_gt_i32_e32 vcc_lo, 0, v196
	v_and_b32_e32 v39, v39, v198
	v_not_b32_e32 v196, v197
	v_ashrrev_i32_e32 v195, 31, v195
	v_xor_b32_e32 v42, s23, v42
	v_cmp_gt_i32_e64 s23, 0, v197
	v_and_b32_e32 v39, v39, v41
	v_not_b32_e32 v41, v194
	v_ashrrev_i32_e32 v196, 31, v196
	v_xor_b32_e32 v195, vcc_lo, v195
	v_cmp_gt_i32_e32 vcc_lo, 0, v194
	v_and_b32_e32 v39, v39, v42
	v_ashrrev_i32_e32 v41, 31, v41
	v_xor_b32_e32 v42, s23, v196
	v_mad_u32_u24 v194, v40, 36, v114
	v_mul_u32_u24_e32 v40, 36, v40
	v_and_b32_e32 v39, v39, v195
	v_xor_b32_e32 v41, vcc_lo, v41
	ds_read_b32 v194, v194 offset:544
	v_add_nc_u32_e32 v196, v114, v40
	v_and_b32_e32 v39, v39, v42
	; wave barrier
	v_and_b32_e32 v39, v39, v41
	v_mbcnt_lo_u32_b32 v195, v39, 0
	v_cmp_ne_u32_e64 s23, 0, v39
	v_cmp_eq_u32_e32 vcc_lo, 0, v195
	s_and_b32 s24, s23, vcc_lo
	s_and_saveexec_b32 s23, s24
	s_cbranch_execz .LBB325_165
; %bb.164:                              ;   in Loop: Header=BB325_108 Depth=2
	s_waitcnt lgkmcnt(0)
	v_bcnt_u32_b32 v39, v39, v194
	ds_write_b32 v196, v39 offset:544
.LBB325_165:                            ;   in Loop: Header=BB325_108 Depth=2
	s_or_b32 exec_lo, exec_lo, s23
	; wave barrier
	s_waitcnt lgkmcnt(0)
	s_barrier
	buffer_gl0_inv
	ds_read2_b32 v[41:42], v69 offset0:136 offset1:137
	ds_read2_b32 v[39:40], v69 offset0:138 offset1:139
	ds_read_b32 v197, v69 offset:560
	s_waitcnt lgkmcnt(1)
	v_add3_u32 v198, v42, v41, v39
	s_waitcnt lgkmcnt(0)
	v_add3_u32 v197, v198, v40, v197
	v_mov_b32_dpp v198, v197 row_shr:1 row_mask:0xf bank_mask:0xf
	v_cndmask_b32_e64 v198, v198, 0, s5
	v_add_nc_u32_e32 v197, v198, v197
	v_mov_b32_dpp v198, v197 row_shr:2 row_mask:0xf bank_mask:0xf
	v_cndmask_b32_e64 v198, 0, v198, s15
	v_add_nc_u32_e32 v197, v197, v198
	;; [unrolled: 3-line block ×4, first 2 shown]
	ds_swizzle_b32 v198, v197 offset:swizzle(BROADCAST,32,15)
	s_waitcnt lgkmcnt(0)
	v_cndmask_b32_e64 v198, v198, 0, s18
	v_add_nc_u32_e32 v197, v197, v198
	s_and_saveexec_b32 s23, s4
; %bb.166:                              ;   in Loop: Header=BB325_108 Depth=2
	ds_write_b32 v62, v197 offset:512
; %bb.167:                              ;   in Loop: Header=BB325_108 Depth=2
	s_or_b32 exec_lo, exec_lo, s23
	s_waitcnt lgkmcnt(0)
	s_barrier
	buffer_gl0_inv
	s_and_saveexec_b32 s23, s12
	s_cbranch_execz .LBB325_169
; %bb.168:                              ;   in Loop: Header=BB325_108 Depth=2
	ds_read_b32 v198, v70 offset:512
	s_waitcnt lgkmcnt(0)
	v_mov_b32_dpp v199, v198 row_shr:1 row_mask:0xf bank_mask:0xf
	v_cndmask_b32_e64 v199, v199, 0, s20
	v_add_nc_u32_e32 v198, v199, v198
	v_mov_b32_dpp v199, v198 row_shr:2 row_mask:0xf bank_mask:0xf
	v_cndmask_b32_e64 v199, 0, v199, s21
	v_add_nc_u32_e32 v198, v198, v199
	;; [unrolled: 3-line block ×3, first 2 shown]
	ds_write_b32 v70, v198 offset:512
.LBB325_169:                            ;   in Loop: Header=BB325_108 Depth=2
	s_or_b32 exec_lo, exec_lo, s23
	v_mov_b32_e32 v198, 0
	s_waitcnt lgkmcnt(0)
	s_barrier
	buffer_gl0_inv
	s_and_saveexec_b32 s23, s11
; %bb.170:                              ;   in Loop: Header=BB325_108 Depth=2
	ds_read_b32 v198, v62 offset:508
; %bb.171:                              ;   in Loop: Header=BB325_108 Depth=2
	s_or_b32 exec_lo, exec_lo, s23
	s_waitcnt lgkmcnt(0)
	v_add_nc_u32_e32 v197, v198, v197
	ds_bpermute_b32 v197, v94, v197
	s_waitcnt lgkmcnt(0)
	v_cndmask_b32_e64 v197, v197, v198, s19
	v_cndmask_b32_e64 v197, v197, 0, s13
	v_add_nc_u32_e32 v41, v197, v41
	v_add_nc_u32_e32 v42, v41, v42
	;; [unrolled: 1-line block ×4, first 2 shown]
	ds_write2_b32 v69, v197, v41 offset0:136 offset1:137
	ds_write2_b32 v69, v42, v39 offset0:138 offset1:139
	ds_write_b32 v69, v40 offset:560
	s_waitcnt lgkmcnt(0)
	s_barrier
	buffer_gl0_inv
	ds_read_b32 v39, v147 offset:544
	ds_read_b32 v40, v151 offset:544
	;; [unrolled: 1-line block ×17, first 2 shown]
	s_and_saveexec_b32 s23, s8
	s_cbranch_execz .LBB325_175
; %bb.172:                              ;   in Loop: Header=BB325_108 Depth=2
	v_add_nc_u32_e32 v133, v70, v72
	v_mov_b32_e32 v134, 0x1100
	ds_read_b32 v133, v133 offset:544
	s_and_saveexec_b32 s24, s14
; %bb.173:                              ;   in Loop: Header=BB325_108 Depth=2
	ds_read_b32 v134, v71 offset:544
; %bb.174:                              ;   in Loop: Header=BB325_108 Depth=2
	s_or_b32 exec_lo, exec_lo, s24
	s_waitcnt lgkmcnt(0)
	v_sub_nc_u32_e32 v134, v134, v133
.LBB325_175:                            ;   in Loop: Header=BB325_108 Depth=2
	s_or_b32 exec_lo, exec_lo, s23
	v_lshrrev_b32_e32 v201, 8, v146
	v_lshrrev_b32_e32 v202, 16, v146
	;; [unrolled: 1-line block ×8, first 2 shown]
	s_waitcnt lgkmcnt(0)
	s_barrier
	buffer_gl0_inv
	s_and_saveexec_b32 s23, s8
	s_cbranch_execz .LBB325_177
; %bb.176:                              ;   in Loop: Header=BB325_108 Depth=2
	ds_read_b32 v3, v43
	s_waitcnt lgkmcnt(0)
	v_sub_nc_u32_e32 v3, v3, v133
	ds_write_b32 v43, v3
.LBB325_177:                            ;   in Loop: Header=BB325_108 Depth=2
	s_or_b32 exec_lo, exec_lo, s23
	v_add_nc_u32_e32 v155, v39, v144
	v_add3_u32 v151, v150, v149, v40
	v_add3_u32 v150, v153, v152, v41
	;; [unrolled: 1-line block ×16, first 2 shown]
	v_cmp_lt_u32_e64 s39, v0, v136
	ds_write_b8 v155, v145 offset:512
	ds_write_b8 v151, v201 offset:512
	;; [unrolled: 1-line block ×17, first 2 shown]
	s_waitcnt lgkmcnt(0)
	s_barrier
	buffer_gl0_inv
	s_and_saveexec_b32 s23, s39
	s_cbranch_execnz .LBB325_250
; %bb.178:                              ;   in Loop: Header=BB325_108 Depth=2
	s_or_b32 exec_lo, exec_lo, s23
	v_cmp_lt_u32_e64 s38, v44, v136
	s_and_saveexec_b32 s23, s38
	s_cbranch_execnz .LBB325_251
.LBB325_179:                            ;   in Loop: Header=BB325_108 Depth=2
	s_or_b32 exec_lo, exec_lo, s23
	v_cmp_lt_u32_e64 s37, v47, v136
	s_and_saveexec_b32 s23, s37
	s_cbranch_execnz .LBB325_252
.LBB325_180:                            ;   in Loop: Header=BB325_108 Depth=2
	s_or_b32 exec_lo, exec_lo, s23
	v_cmp_lt_u32_e64 s36, v48, v136
	s_and_saveexec_b32 s23, s36
	s_cbranch_execnz .LBB325_253
.LBB325_181:                            ;   in Loop: Header=BB325_108 Depth=2
	s_or_b32 exec_lo, exec_lo, s23
	v_cmp_lt_u32_e64 s35, v49, v136
	s_and_saveexec_b32 s23, s35
	s_cbranch_execnz .LBB325_254
.LBB325_182:                            ;   in Loop: Header=BB325_108 Depth=2
	s_or_b32 exec_lo, exec_lo, s23
	v_cmp_lt_u32_e64 s34, v50, v136
	s_and_saveexec_b32 s23, s34
	s_cbranch_execnz .LBB325_255
.LBB325_183:                            ;   in Loop: Header=BB325_108 Depth=2
	s_or_b32 exec_lo, exec_lo, s23
	v_cmp_lt_u32_e64 s33, v51, v136
	s_and_saveexec_b32 s23, s33
	s_cbranch_execnz .LBB325_256
.LBB325_184:                            ;   in Loop: Header=BB325_108 Depth=2
	s_or_b32 exec_lo, exec_lo, s23
	v_cmp_lt_u32_e64 s31, v52, v136
	s_and_saveexec_b32 s23, s31
	s_cbranch_execnz .LBB325_257
.LBB325_185:                            ;   in Loop: Header=BB325_108 Depth=2
	s_or_b32 exec_lo, exec_lo, s23
	v_cmp_lt_u32_e64 s30, v53, v136
	s_and_saveexec_b32 s23, s30
	s_cbranch_execnz .LBB325_258
.LBB325_186:                            ;   in Loop: Header=BB325_108 Depth=2
	s_or_b32 exec_lo, exec_lo, s23
	v_cmp_lt_u32_e64 s29, v54, v136
	s_and_saveexec_b32 s23, s29
	s_cbranch_execnz .LBB325_259
.LBB325_187:                            ;   in Loop: Header=BB325_108 Depth=2
	s_or_b32 exec_lo, exec_lo, s23
	v_cmp_lt_u32_e64 s28, v55, v136
	s_and_saveexec_b32 s23, s28
	s_cbranch_execnz .LBB325_260
.LBB325_188:                            ;   in Loop: Header=BB325_108 Depth=2
	s_or_b32 exec_lo, exec_lo, s23
	v_cmp_lt_u32_e64 s27, v56, v136
	s_and_saveexec_b32 s23, s27
	s_cbranch_execnz .LBB325_261
.LBB325_189:                            ;   in Loop: Header=BB325_108 Depth=2
	s_or_b32 exec_lo, exec_lo, s23
	v_cmp_lt_u32_e64 s26, v57, v136
	s_and_saveexec_b32 s23, s26
	s_cbranch_execnz .LBB325_262
.LBB325_190:                            ;   in Loop: Header=BB325_108 Depth=2
	s_or_b32 exec_lo, exec_lo, s23
	v_cmp_lt_u32_e64 s25, v58, v136
	s_and_saveexec_b32 s23, s25
	s_cbranch_execnz .LBB325_263
.LBB325_191:                            ;   in Loop: Header=BB325_108 Depth=2
	s_or_b32 exec_lo, exec_lo, s23
	v_cmp_lt_u32_e64 s24, v59, v136
	s_and_saveexec_b32 s23, s24
	s_cbranch_execnz .LBB325_264
.LBB325_192:                            ;   in Loop: Header=BB325_108 Depth=2
	s_or_b32 exec_lo, exec_lo, s23
	v_cmp_lt_u32_e64 s23, v60, v136
	s_and_saveexec_b32 s40, s23
	s_cbranch_execnz .LBB325_265
.LBB325_193:                            ;   in Loop: Header=BB325_108 Depth=2
	s_or_b32 exec_lo, exec_lo, s40
	v_cmp_lt_u32_e32 vcc_lo, v61, v136
	s_and_saveexec_b32 s40, vcc_lo
	s_cbranch_execz .LBB325_195
.LBB325_194:                            ;   in Loop: Header=BB325_108 Depth=2
	ds_read_u8 v39, v0 offset:4608
	s_waitcnt lgkmcnt(0)
	v_lshrrev_b32_sdwa v40, s61, v39 dst_sel:DWORD dst_unused:UNUSED_PAD src0_sel:DWORD src1_sel:BYTE_0
	v_xor_b32_e32 v39, 0x7f, v39
	v_and_b32_e32 v40, s62, v40
	v_lshlrev_b32_e32 v40, 2, v40
	ds_read_b32 v40, v40
	s_waitcnt lgkmcnt(0)
	v_add_nc_u32_e32 v40, v40, v61
	global_store_byte v40, v39, s[46:47]
.LBB325_195:                            ;   in Loop: Header=BB325_108 Depth=2
	s_or_b32 exec_lo, exec_lo, s40
	s_lshl_b64 s[66:67], s[50:51], 3
	v_add_co_u32 v39, s40, v96, s66
	v_add_co_ci_u32_e64 v40, null, s67, v97, s40
	v_cmp_lt_u32_e64 s40, v95, v136
	s_and_saveexec_b32 s50, s40
	s_xor_b32 s40, exec_lo, s50
	s_cbranch_execnz .LBB325_266
; %bb.196:                              ;   in Loop: Header=BB325_108 Depth=2
	s_or_b32 exec_lo, exec_lo, s40
	s_mov_b32 s50, exec_lo
	v_cmpx_lt_u32_e64 v98, v136
	s_cbranch_execnz .LBB325_267
.LBB325_197:                            ;   in Loop: Header=BB325_108 Depth=2
	s_or_b32 exec_lo, exec_lo, s50
	s_mov_b32 s50, exec_lo
	v_cmpx_lt_u32_e64 v99, v136
	s_cbranch_execnz .LBB325_268
.LBB325_198:                            ;   in Loop: Header=BB325_108 Depth=2
	s_or_b32 exec_lo, exec_lo, s50
	s_mov_b32 s50, exec_lo
	v_cmpx_lt_u32_e64 v100, v136
	s_cbranch_execnz .LBB325_269
.LBB325_199:                            ;   in Loop: Header=BB325_108 Depth=2
	s_or_b32 exec_lo, exec_lo, s50
	s_mov_b32 s50, exec_lo
	v_cmpx_lt_u32_e64 v101, v136
	s_cbranch_execnz .LBB325_270
.LBB325_200:                            ;   in Loop: Header=BB325_108 Depth=2
	s_or_b32 exec_lo, exec_lo, s50
	s_mov_b32 s50, exec_lo
	v_cmpx_lt_u32_e64 v102, v136
	s_cbranch_execnz .LBB325_271
.LBB325_201:                            ;   in Loop: Header=BB325_108 Depth=2
	s_or_b32 exec_lo, exec_lo, s50
	s_mov_b32 s50, exec_lo
	v_cmpx_lt_u32_e64 v103, v136
	s_cbranch_execnz .LBB325_272
.LBB325_202:                            ;   in Loop: Header=BB325_108 Depth=2
	s_or_b32 exec_lo, exec_lo, s50
	s_mov_b32 s50, exec_lo
	v_cmpx_lt_u32_e64 v104, v136
	s_cbranch_execnz .LBB325_273
.LBB325_203:                            ;   in Loop: Header=BB325_108 Depth=2
	s_or_b32 exec_lo, exec_lo, s50
	s_mov_b32 s50, exec_lo
	v_cmpx_lt_u32_e64 v105, v136
	s_cbranch_execnz .LBB325_274
.LBB325_204:                            ;   in Loop: Header=BB325_108 Depth=2
	s_or_b32 exec_lo, exec_lo, s50
	s_mov_b32 s50, exec_lo
	v_cmpx_lt_u32_e64 v106, v136
	s_cbranch_execnz .LBB325_275
.LBB325_205:                            ;   in Loop: Header=BB325_108 Depth=2
	s_or_b32 exec_lo, exec_lo, s50
	s_mov_b32 s50, exec_lo
	v_cmpx_lt_u32_e64 v107, v136
	s_cbranch_execnz .LBB325_276
.LBB325_206:                            ;   in Loop: Header=BB325_108 Depth=2
	s_or_b32 exec_lo, exec_lo, s50
	s_mov_b32 s50, exec_lo
	v_cmpx_lt_u32_e64 v108, v136
	s_cbranch_execnz .LBB325_277
.LBB325_207:                            ;   in Loop: Header=BB325_108 Depth=2
	s_or_b32 exec_lo, exec_lo, s50
	s_mov_b32 s50, exec_lo
	v_cmpx_lt_u32_e64 v109, v136
	s_cbranch_execnz .LBB325_278
.LBB325_208:                            ;   in Loop: Header=BB325_108 Depth=2
	s_or_b32 exec_lo, exec_lo, s50
	s_mov_b32 s50, exec_lo
	v_cmpx_lt_u32_e64 v110, v136
	s_cbranch_execnz .LBB325_279
.LBB325_209:                            ;   in Loop: Header=BB325_108 Depth=2
	s_or_b32 exec_lo, exec_lo, s50
	s_mov_b32 s50, exec_lo
	v_cmpx_lt_u32_e64 v111, v136
	s_cbranch_execnz .LBB325_280
.LBB325_210:                            ;   in Loop: Header=BB325_108 Depth=2
	s_or_b32 exec_lo, exec_lo, s50
	s_mov_b32 s50, exec_lo
	v_cmpx_lt_u32_e64 v112, v136
	s_cbranch_execnz .LBB325_281
.LBB325_211:                            ;   in Loop: Header=BB325_108 Depth=2
	s_or_b32 exec_lo, exec_lo, s50
	s_mov_b32 s50, exec_lo
	v_cmpx_lt_u32_e64 v113, v136
	s_cbranch_execnz .LBB325_282
.LBB325_212:                            ;   in Loop: Header=BB325_108 Depth=2
	s_or_b32 exec_lo, exec_lo, s50
	s_and_saveexec_b32 s40, s39
	s_cbranch_execnz .LBB325_283
.LBB325_213:                            ;   in Loop: Header=BB325_108 Depth=2
	s_or_b32 exec_lo, exec_lo, s40
	s_and_saveexec_b32 s40, s38
	s_cbranch_execnz .LBB325_284
.LBB325_214:                            ;   in Loop: Header=BB325_108 Depth=2
	s_or_b32 exec_lo, exec_lo, s40
	s_and_saveexec_b32 s40, s37
	s_cbranch_execnz .LBB325_285
.LBB325_215:                            ;   in Loop: Header=BB325_108 Depth=2
	s_or_b32 exec_lo, exec_lo, s40
	s_and_saveexec_b32 s40, s36
	s_cbranch_execnz .LBB325_286
.LBB325_216:                            ;   in Loop: Header=BB325_108 Depth=2
	s_or_b32 exec_lo, exec_lo, s40
	s_and_saveexec_b32 s40, s35
	s_cbranch_execnz .LBB325_287
.LBB325_217:                            ;   in Loop: Header=BB325_108 Depth=2
	s_or_b32 exec_lo, exec_lo, s40
	s_and_saveexec_b32 s40, s34
	s_cbranch_execnz .LBB325_288
.LBB325_218:                            ;   in Loop: Header=BB325_108 Depth=2
	s_or_b32 exec_lo, exec_lo, s40
	s_and_saveexec_b32 s40, s33
	s_cbranch_execnz .LBB325_289
.LBB325_219:                            ;   in Loop: Header=BB325_108 Depth=2
	s_or_b32 exec_lo, exec_lo, s40
	s_and_saveexec_b32 s40, s31
	s_cbranch_execnz .LBB325_290
.LBB325_220:                            ;   in Loop: Header=BB325_108 Depth=2
	s_or_b32 exec_lo, exec_lo, s40
	s_and_saveexec_b32 s40, s30
	s_cbranch_execnz .LBB325_291
.LBB325_221:                            ;   in Loop: Header=BB325_108 Depth=2
	s_or_b32 exec_lo, exec_lo, s40
	s_and_saveexec_b32 s40, s29
	s_cbranch_execnz .LBB325_292
.LBB325_222:                            ;   in Loop: Header=BB325_108 Depth=2
	s_or_b32 exec_lo, exec_lo, s40
	s_and_saveexec_b32 s40, s28
	s_cbranch_execnz .LBB325_293
.LBB325_223:                            ;   in Loop: Header=BB325_108 Depth=2
	s_or_b32 exec_lo, exec_lo, s40
	s_and_saveexec_b32 s40, s27
	s_cbranch_execnz .LBB325_294
.LBB325_224:                            ;   in Loop: Header=BB325_108 Depth=2
	s_or_b32 exec_lo, exec_lo, s40
	s_and_saveexec_b32 s40, s26
	s_cbranch_execnz .LBB325_295
.LBB325_225:                            ;   in Loop: Header=BB325_108 Depth=2
	s_or_b32 exec_lo, exec_lo, s40
	s_and_saveexec_b32 s40, s25
	s_cbranch_execnz .LBB325_296
.LBB325_226:                            ;   in Loop: Header=BB325_108 Depth=2
	s_or_b32 exec_lo, exec_lo, s40
	s_and_saveexec_b32 s40, s24
	s_cbranch_execnz .LBB325_297
.LBB325_227:                            ;   in Loop: Header=BB325_108 Depth=2
	s_or_b32 exec_lo, exec_lo, s40
	s_and_saveexec_b32 s40, s23
	s_cbranch_execnz .LBB325_298
.LBB325_228:                            ;   in Loop: Header=BB325_108 Depth=2
	s_or_b32 exec_lo, exec_lo, s40
	s_and_saveexec_b32 s40, vcc_lo
	s_cbranch_execz .LBB325_230
.LBB325_229:                            ;   in Loop: Header=BB325_108 Depth=2
	ds_read_u8 v39, v0 offset:4608
	s_waitcnt lgkmcnt(0)
	v_lshrrev_b32_e32 v39, s61, v39
	v_and_b32_e32 v116, s62, v39
.LBB325_230:                            ;   in Loop: Header=BB325_108 Depth=2
	s_or_b32 exec_lo, exec_lo, s40
	v_lshlrev_b32_e32 v39, 3, v155
	v_lshlrev_b32_e32 v40, 3, v151
	s_waitcnt vmcnt(0)
	s_waitcnt_vscnt null, 0x0
	s_barrier
	buffer_gl0_inv
	ds_write_b64 v39, v[37:38] offset:512
	ds_write_b64 v40, v[35:36] offset:512
	v_lshlrev_b32_e32 v39, 3, v150
	v_lshlrev_b32_e32 v40, 3, v149
	v_lshlrev_b32_e32 v136, 3, v148
	v_lshlrev_b32_e32 v137, 3, v147
	v_lshlrev_b32_e32 v141, 3, v146
	ds_write_b64 v39, v[33:34] offset:512
	ds_write_b64 v40, v[31:32] offset:512
	ds_write_b64 v136, v[29:30] offset:512
	ds_write_b64 v137, v[25:26] offset:512
	ds_write_b64 v141, v[21:22] offset:512
	v_lshlrev_b32_e32 v39, 3, v144
	v_lshlrev_b32_e32 v40, 3, v143
	v_lshlrev_b32_e32 v136, 3, v142
	v_lshlrev_b32_e32 v137, 3, v140
	v_lshlrev_b32_e32 v139, 3, v139
	ds_write_b64 v39, v[17:18] offset:512
	ds_write_b64 v40, v[27:28] offset:512
	ds_write_b64 v136, v[23:24] offset:512
	ds_write_b64 v137, v[19:20] offset:512
	ds_write_b64 v139, v[15:16] offset:512
	v_lshlrev_b32_e32 v39, 3, v138
	v_lshlrev_b32_e32 v40, 3, v135
	v_lshlrev_b32_e32 v42, 3, v42
	v_lshlrev_b32_e32 v41, 3, v41
	v_lshlrev_b32_e32 v3, 3, v3
	ds_write_b64 v39, v[13:14] offset:512
	ds_write_b64 v40, v[11:12] offset:512
	ds_write_b64 v42, v[9:10] offset:512
	ds_write_b64 v41, v[7:8] offset:512
	ds_write_b64 v3, v[5:6] offset:512
	s_waitcnt lgkmcnt(0)
	s_barrier
	buffer_gl0_inv
	s_and_saveexec_b32 s40, s39
	s_cbranch_execnz .LBB325_299
; %bb.231:                              ;   in Loop: Header=BB325_108 Depth=2
	s_or_b32 exec_lo, exec_lo, s40
	s_and_saveexec_b32 s39, s38
	s_cbranch_execnz .LBB325_300
.LBB325_232:                            ;   in Loop: Header=BB325_108 Depth=2
	s_or_b32 exec_lo, exec_lo, s39
	s_and_saveexec_b32 s38, s37
	s_cbranch_execnz .LBB325_301
.LBB325_233:                            ;   in Loop: Header=BB325_108 Depth=2
	s_or_b32 exec_lo, exec_lo, s38
	s_and_saveexec_b32 s37, s36
	s_cbranch_execnz .LBB325_302
.LBB325_234:                            ;   in Loop: Header=BB325_108 Depth=2
	s_or_b32 exec_lo, exec_lo, s37
	s_and_saveexec_b32 s36, s35
	s_cbranch_execnz .LBB325_303
.LBB325_235:                            ;   in Loop: Header=BB325_108 Depth=2
	s_or_b32 exec_lo, exec_lo, s36
	s_and_saveexec_b32 s35, s34
	s_cbranch_execnz .LBB325_304
.LBB325_236:                            ;   in Loop: Header=BB325_108 Depth=2
	s_or_b32 exec_lo, exec_lo, s35
	s_and_saveexec_b32 s34, s33
	s_cbranch_execnz .LBB325_305
.LBB325_237:                            ;   in Loop: Header=BB325_108 Depth=2
	s_or_b32 exec_lo, exec_lo, s34
	s_and_saveexec_b32 s33, s31
	s_cbranch_execnz .LBB325_306
.LBB325_238:                            ;   in Loop: Header=BB325_108 Depth=2
	s_or_b32 exec_lo, exec_lo, s33
	s_and_saveexec_b32 s31, s30
	s_cbranch_execnz .LBB325_307
.LBB325_239:                            ;   in Loop: Header=BB325_108 Depth=2
	s_or_b32 exec_lo, exec_lo, s31
	s_and_saveexec_b32 s30, s29
	s_cbranch_execnz .LBB325_308
.LBB325_240:                            ;   in Loop: Header=BB325_108 Depth=2
	s_or_b32 exec_lo, exec_lo, s30
	s_and_saveexec_b32 s29, s28
	s_cbranch_execnz .LBB325_309
.LBB325_241:                            ;   in Loop: Header=BB325_108 Depth=2
	s_or_b32 exec_lo, exec_lo, s29
	s_and_saveexec_b32 s28, s27
	s_cbranch_execnz .LBB325_310
.LBB325_242:                            ;   in Loop: Header=BB325_108 Depth=2
	s_or_b32 exec_lo, exec_lo, s28
	s_and_saveexec_b32 s27, s26
	s_cbranch_execnz .LBB325_311
.LBB325_243:                            ;   in Loop: Header=BB325_108 Depth=2
	s_or_b32 exec_lo, exec_lo, s27
	s_and_saveexec_b32 s26, s25
	s_cbranch_execnz .LBB325_312
.LBB325_244:                            ;   in Loop: Header=BB325_108 Depth=2
	s_or_b32 exec_lo, exec_lo, s26
	s_and_saveexec_b32 s25, s24
	s_cbranch_execnz .LBB325_313
.LBB325_245:                            ;   in Loop: Header=BB325_108 Depth=2
	s_or_b32 exec_lo, exec_lo, s25
	s_and_saveexec_b32 s24, s23
	s_cbranch_execnz .LBB325_314
.LBB325_246:                            ;   in Loop: Header=BB325_108 Depth=2
	s_or_b32 exec_lo, exec_lo, s24
	s_and_saveexec_b32 s23, vcc_lo
	s_cbranch_execz .LBB325_248
.LBB325_247:                            ;   in Loop: Header=BB325_108 Depth=2
	v_lshlrev_b32_e32 v3, 2, v116
	v_add_nc_u32_e32 v39, v0, v75
	ds_read_b32 v3, v3
	ds_read_b64 v[39:40], v39 offset:33280
	s_waitcnt lgkmcnt(1)
	v_add_nc_u32_e32 v3, v3, v61
	v_lshlrev_b64 v[41:42], 3, v[3:4]
	v_add_co_u32 v41, vcc_lo, s52, v41
	v_add_co_ci_u32_e64 v42, null, s53, v42, vcc_lo
	s_waitcnt lgkmcnt(0)
	global_store_dwordx2 v[41:42], v[39:40], off
.LBB325_248:                            ;   in Loop: Header=BB325_108 Depth=2
	s_or_b32 exec_lo, exec_lo, s23
	s_waitcnt_vscnt null, 0x0
	s_barrier
	buffer_gl0_inv
	s_and_saveexec_b32 s23, s8
	s_cbranch_execz .LBB325_107
; %bb.249:                              ;   in Loop: Header=BB325_108 Depth=2
	ds_read_b32 v3, v43
	s_waitcnt lgkmcnt(0)
	v_add3_u32 v3, v133, v134, v3
	ds_write_b32 v43, v3
	s_branch .LBB325_107
.LBB325_250:                            ;   in Loop: Header=BB325_108 Depth=2
	ds_read_u8 v39, v0 offset:512
	s_waitcnt lgkmcnt(0)
	v_lshrrev_b32_sdwa v40, s61, v39 dst_sel:DWORD dst_unused:UNUSED_PAD src0_sel:DWORD src1_sel:BYTE_0
	v_xor_b32_e32 v39, 0x7f, v39
	v_and_b32_e32 v40, s62, v40
	v_lshlrev_b32_e32 v40, 2, v40
	ds_read_b32 v40, v40
	s_waitcnt lgkmcnt(0)
	v_add_nc_u32_e32 v40, v40, v0
	global_store_byte v40, v39, s[46:47]
	s_or_b32 exec_lo, exec_lo, s23
	v_cmp_lt_u32_e64 s38, v44, v136
	s_and_saveexec_b32 s23, s38
	s_cbranch_execz .LBB325_179
.LBB325_251:                            ;   in Loop: Header=BB325_108 Depth=2
	ds_read_u8 v39, v0 offset:768
	s_waitcnt lgkmcnt(0)
	v_lshrrev_b32_sdwa v40, s61, v39 dst_sel:DWORD dst_unused:UNUSED_PAD src0_sel:DWORD src1_sel:BYTE_0
	v_xor_b32_e32 v39, 0x7f, v39
	v_and_b32_e32 v40, s62, v40
	v_lshlrev_b32_e32 v40, 2, v40
	ds_read_b32 v40, v40
	s_waitcnt lgkmcnt(0)
	v_add_nc_u32_e32 v40, v40, v44
	global_store_byte v40, v39, s[46:47]
	s_or_b32 exec_lo, exec_lo, s23
	v_cmp_lt_u32_e64 s37, v47, v136
	s_and_saveexec_b32 s23, s37
	s_cbranch_execz .LBB325_180
.LBB325_252:                            ;   in Loop: Header=BB325_108 Depth=2
	ds_read_u8 v39, v0 offset:1024
	s_waitcnt lgkmcnt(0)
	v_lshrrev_b32_sdwa v40, s61, v39 dst_sel:DWORD dst_unused:UNUSED_PAD src0_sel:DWORD src1_sel:BYTE_0
	v_xor_b32_e32 v39, 0x7f, v39
	v_and_b32_e32 v40, s62, v40
	v_lshlrev_b32_e32 v40, 2, v40
	ds_read_b32 v40, v40
	s_waitcnt lgkmcnt(0)
	v_add_nc_u32_e32 v40, v40, v47
	global_store_byte v40, v39, s[46:47]
	s_or_b32 exec_lo, exec_lo, s23
	v_cmp_lt_u32_e64 s36, v48, v136
	s_and_saveexec_b32 s23, s36
	s_cbranch_execz .LBB325_181
.LBB325_253:                            ;   in Loop: Header=BB325_108 Depth=2
	ds_read_u8 v39, v0 offset:1280
	s_waitcnt lgkmcnt(0)
	v_lshrrev_b32_sdwa v40, s61, v39 dst_sel:DWORD dst_unused:UNUSED_PAD src0_sel:DWORD src1_sel:BYTE_0
	v_xor_b32_e32 v39, 0x7f, v39
	v_and_b32_e32 v40, s62, v40
	v_lshlrev_b32_e32 v40, 2, v40
	ds_read_b32 v40, v40
	s_waitcnt lgkmcnt(0)
	v_add_nc_u32_e32 v40, v40, v48
	global_store_byte v40, v39, s[46:47]
	s_or_b32 exec_lo, exec_lo, s23
	v_cmp_lt_u32_e64 s35, v49, v136
	s_and_saveexec_b32 s23, s35
	s_cbranch_execz .LBB325_182
.LBB325_254:                            ;   in Loop: Header=BB325_108 Depth=2
	ds_read_u8 v39, v0 offset:1536
	s_waitcnt lgkmcnt(0)
	v_lshrrev_b32_sdwa v40, s61, v39 dst_sel:DWORD dst_unused:UNUSED_PAD src0_sel:DWORD src1_sel:BYTE_0
	v_xor_b32_e32 v39, 0x7f, v39
	v_and_b32_e32 v40, s62, v40
	v_lshlrev_b32_e32 v40, 2, v40
	ds_read_b32 v40, v40
	s_waitcnt lgkmcnt(0)
	v_add_nc_u32_e32 v40, v40, v49
	global_store_byte v40, v39, s[46:47]
	s_or_b32 exec_lo, exec_lo, s23
	v_cmp_lt_u32_e64 s34, v50, v136
	s_and_saveexec_b32 s23, s34
	s_cbranch_execz .LBB325_183
.LBB325_255:                            ;   in Loop: Header=BB325_108 Depth=2
	ds_read_u8 v39, v0 offset:1792
	s_waitcnt lgkmcnt(0)
	v_lshrrev_b32_sdwa v40, s61, v39 dst_sel:DWORD dst_unused:UNUSED_PAD src0_sel:DWORD src1_sel:BYTE_0
	v_xor_b32_e32 v39, 0x7f, v39
	v_and_b32_e32 v40, s62, v40
	v_lshlrev_b32_e32 v40, 2, v40
	ds_read_b32 v40, v40
	s_waitcnt lgkmcnt(0)
	v_add_nc_u32_e32 v40, v40, v50
	global_store_byte v40, v39, s[46:47]
	s_or_b32 exec_lo, exec_lo, s23
	v_cmp_lt_u32_e64 s33, v51, v136
	s_and_saveexec_b32 s23, s33
	s_cbranch_execz .LBB325_184
.LBB325_256:                            ;   in Loop: Header=BB325_108 Depth=2
	ds_read_u8 v39, v0 offset:2048
	s_waitcnt lgkmcnt(0)
	v_lshrrev_b32_sdwa v40, s61, v39 dst_sel:DWORD dst_unused:UNUSED_PAD src0_sel:DWORD src1_sel:BYTE_0
	v_xor_b32_e32 v39, 0x7f, v39
	v_and_b32_e32 v40, s62, v40
	v_lshlrev_b32_e32 v40, 2, v40
	ds_read_b32 v40, v40
	s_waitcnt lgkmcnt(0)
	v_add_nc_u32_e32 v40, v40, v51
	global_store_byte v40, v39, s[46:47]
	s_or_b32 exec_lo, exec_lo, s23
	v_cmp_lt_u32_e64 s31, v52, v136
	s_and_saveexec_b32 s23, s31
	s_cbranch_execz .LBB325_185
.LBB325_257:                            ;   in Loop: Header=BB325_108 Depth=2
	ds_read_u8 v39, v0 offset:2304
	s_waitcnt lgkmcnt(0)
	v_lshrrev_b32_sdwa v40, s61, v39 dst_sel:DWORD dst_unused:UNUSED_PAD src0_sel:DWORD src1_sel:BYTE_0
	v_xor_b32_e32 v39, 0x7f, v39
	v_and_b32_e32 v40, s62, v40
	v_lshlrev_b32_e32 v40, 2, v40
	ds_read_b32 v40, v40
	s_waitcnt lgkmcnt(0)
	v_add_nc_u32_e32 v40, v40, v52
	global_store_byte v40, v39, s[46:47]
	s_or_b32 exec_lo, exec_lo, s23
	v_cmp_lt_u32_e64 s30, v53, v136
	s_and_saveexec_b32 s23, s30
	s_cbranch_execz .LBB325_186
.LBB325_258:                            ;   in Loop: Header=BB325_108 Depth=2
	ds_read_u8 v39, v0 offset:2560
	s_waitcnt lgkmcnt(0)
	v_lshrrev_b32_sdwa v40, s61, v39 dst_sel:DWORD dst_unused:UNUSED_PAD src0_sel:DWORD src1_sel:BYTE_0
	v_xor_b32_e32 v39, 0x7f, v39
	v_and_b32_e32 v40, s62, v40
	v_lshlrev_b32_e32 v40, 2, v40
	ds_read_b32 v40, v40
	s_waitcnt lgkmcnt(0)
	v_add_nc_u32_e32 v40, v40, v53
	global_store_byte v40, v39, s[46:47]
	s_or_b32 exec_lo, exec_lo, s23
	v_cmp_lt_u32_e64 s29, v54, v136
	s_and_saveexec_b32 s23, s29
	s_cbranch_execz .LBB325_187
.LBB325_259:                            ;   in Loop: Header=BB325_108 Depth=2
	ds_read_u8 v39, v0 offset:2816
	s_waitcnt lgkmcnt(0)
	v_lshrrev_b32_sdwa v40, s61, v39 dst_sel:DWORD dst_unused:UNUSED_PAD src0_sel:DWORD src1_sel:BYTE_0
	v_xor_b32_e32 v39, 0x7f, v39
	v_and_b32_e32 v40, s62, v40
	v_lshlrev_b32_e32 v40, 2, v40
	ds_read_b32 v40, v40
	s_waitcnt lgkmcnt(0)
	v_add_nc_u32_e32 v40, v40, v54
	global_store_byte v40, v39, s[46:47]
	s_or_b32 exec_lo, exec_lo, s23
	v_cmp_lt_u32_e64 s28, v55, v136
	s_and_saveexec_b32 s23, s28
	s_cbranch_execz .LBB325_188
.LBB325_260:                            ;   in Loop: Header=BB325_108 Depth=2
	ds_read_u8 v39, v0 offset:3072
	s_waitcnt lgkmcnt(0)
	v_lshrrev_b32_sdwa v40, s61, v39 dst_sel:DWORD dst_unused:UNUSED_PAD src0_sel:DWORD src1_sel:BYTE_0
	v_xor_b32_e32 v39, 0x7f, v39
	v_and_b32_e32 v40, s62, v40
	v_lshlrev_b32_e32 v40, 2, v40
	ds_read_b32 v40, v40
	s_waitcnt lgkmcnt(0)
	v_add_nc_u32_e32 v40, v40, v55
	global_store_byte v40, v39, s[46:47]
	s_or_b32 exec_lo, exec_lo, s23
	v_cmp_lt_u32_e64 s27, v56, v136
	s_and_saveexec_b32 s23, s27
	s_cbranch_execz .LBB325_189
.LBB325_261:                            ;   in Loop: Header=BB325_108 Depth=2
	ds_read_u8 v39, v0 offset:3328
	s_waitcnt lgkmcnt(0)
	v_lshrrev_b32_sdwa v40, s61, v39 dst_sel:DWORD dst_unused:UNUSED_PAD src0_sel:DWORD src1_sel:BYTE_0
	v_xor_b32_e32 v39, 0x7f, v39
	v_and_b32_e32 v40, s62, v40
	v_lshlrev_b32_e32 v40, 2, v40
	ds_read_b32 v40, v40
	s_waitcnt lgkmcnt(0)
	v_add_nc_u32_e32 v40, v40, v56
	global_store_byte v40, v39, s[46:47]
	s_or_b32 exec_lo, exec_lo, s23
	v_cmp_lt_u32_e64 s26, v57, v136
	s_and_saveexec_b32 s23, s26
	s_cbranch_execz .LBB325_190
.LBB325_262:                            ;   in Loop: Header=BB325_108 Depth=2
	ds_read_u8 v39, v0 offset:3584
	s_waitcnt lgkmcnt(0)
	v_lshrrev_b32_sdwa v40, s61, v39 dst_sel:DWORD dst_unused:UNUSED_PAD src0_sel:DWORD src1_sel:BYTE_0
	v_xor_b32_e32 v39, 0x7f, v39
	v_and_b32_e32 v40, s62, v40
	v_lshlrev_b32_e32 v40, 2, v40
	ds_read_b32 v40, v40
	s_waitcnt lgkmcnt(0)
	v_add_nc_u32_e32 v40, v40, v57
	global_store_byte v40, v39, s[46:47]
	s_or_b32 exec_lo, exec_lo, s23
	v_cmp_lt_u32_e64 s25, v58, v136
	s_and_saveexec_b32 s23, s25
	s_cbranch_execz .LBB325_191
.LBB325_263:                            ;   in Loop: Header=BB325_108 Depth=2
	ds_read_u8 v39, v0 offset:3840
	s_waitcnt lgkmcnt(0)
	v_lshrrev_b32_sdwa v40, s61, v39 dst_sel:DWORD dst_unused:UNUSED_PAD src0_sel:DWORD src1_sel:BYTE_0
	v_xor_b32_e32 v39, 0x7f, v39
	v_and_b32_e32 v40, s62, v40
	v_lshlrev_b32_e32 v40, 2, v40
	ds_read_b32 v40, v40
	s_waitcnt lgkmcnt(0)
	v_add_nc_u32_e32 v40, v40, v58
	global_store_byte v40, v39, s[46:47]
	s_or_b32 exec_lo, exec_lo, s23
	v_cmp_lt_u32_e64 s24, v59, v136
	s_and_saveexec_b32 s23, s24
	s_cbranch_execz .LBB325_192
.LBB325_264:                            ;   in Loop: Header=BB325_108 Depth=2
	ds_read_u8 v39, v0 offset:4096
	s_waitcnt lgkmcnt(0)
	v_lshrrev_b32_sdwa v40, s61, v39 dst_sel:DWORD dst_unused:UNUSED_PAD src0_sel:DWORD src1_sel:BYTE_0
	v_xor_b32_e32 v39, 0x7f, v39
	v_and_b32_e32 v40, s62, v40
	v_lshlrev_b32_e32 v40, 2, v40
	ds_read_b32 v40, v40
	s_waitcnt lgkmcnt(0)
	v_add_nc_u32_e32 v40, v40, v59
	global_store_byte v40, v39, s[46:47]
	s_or_b32 exec_lo, exec_lo, s23
	v_cmp_lt_u32_e64 s23, v60, v136
	s_and_saveexec_b32 s40, s23
	s_cbranch_execz .LBB325_193
.LBB325_265:                            ;   in Loop: Header=BB325_108 Depth=2
	ds_read_u8 v39, v0 offset:4352
	s_waitcnt lgkmcnt(0)
	v_lshrrev_b32_sdwa v40, s61, v39 dst_sel:DWORD dst_unused:UNUSED_PAD src0_sel:DWORD src1_sel:BYTE_0
	v_xor_b32_e32 v39, 0x7f, v39
	v_and_b32_e32 v40, s62, v40
	v_lshlrev_b32_e32 v40, 2, v40
	ds_read_b32 v40, v40
	s_waitcnt lgkmcnt(0)
	v_add_nc_u32_e32 v40, v40, v60
	global_store_byte v40, v39, s[46:47]
	s_or_b32 exec_lo, exec_lo, s40
	v_cmp_lt_u32_e32 vcc_lo, v61, v136
	s_and_saveexec_b32 s40, vcc_lo
	s_cbranch_execnz .LBB325_194
	s_branch .LBB325_195
.LBB325_266:                            ;   in Loop: Header=BB325_108 Depth=2
	global_load_dwordx2 v[37:38], v[39:40], off
	s_or_b32 exec_lo, exec_lo, s40
	s_mov_b32 s50, exec_lo
	v_cmpx_lt_u32_e64 v98, v136
	s_cbranch_execz .LBB325_197
.LBB325_267:                            ;   in Loop: Header=BB325_108 Depth=2
	global_load_dwordx2 v[35:36], v[39:40], off offset:256
	s_or_b32 exec_lo, exec_lo, s50
	s_mov_b32 s50, exec_lo
	v_cmpx_lt_u32_e64 v99, v136
	s_cbranch_execz .LBB325_198
.LBB325_268:                            ;   in Loop: Header=BB325_108 Depth=2
	global_load_dwordx2 v[33:34], v[39:40], off offset:512
	s_or_b32 exec_lo, exec_lo, s50
	s_mov_b32 s50, exec_lo
	v_cmpx_lt_u32_e64 v100, v136
	s_cbranch_execz .LBB325_199
.LBB325_269:                            ;   in Loop: Header=BB325_108 Depth=2
	global_load_dwordx2 v[31:32], v[39:40], off offset:768
	s_or_b32 exec_lo, exec_lo, s50
	s_mov_b32 s50, exec_lo
	v_cmpx_lt_u32_e64 v101, v136
	s_cbranch_execz .LBB325_200
.LBB325_270:                            ;   in Loop: Header=BB325_108 Depth=2
	global_load_dwordx2 v[29:30], v[39:40], off offset:1024
	s_or_b32 exec_lo, exec_lo, s50
	s_mov_b32 s50, exec_lo
	v_cmpx_lt_u32_e64 v102, v136
	s_cbranch_execz .LBB325_201
.LBB325_271:                            ;   in Loop: Header=BB325_108 Depth=2
	global_load_dwordx2 v[25:26], v[39:40], off offset:1280
	s_or_b32 exec_lo, exec_lo, s50
	s_mov_b32 s50, exec_lo
	v_cmpx_lt_u32_e64 v103, v136
	s_cbranch_execz .LBB325_202
.LBB325_272:                            ;   in Loop: Header=BB325_108 Depth=2
	global_load_dwordx2 v[21:22], v[39:40], off offset:1536
	s_or_b32 exec_lo, exec_lo, s50
	s_mov_b32 s50, exec_lo
	v_cmpx_lt_u32_e64 v104, v136
	s_cbranch_execz .LBB325_203
.LBB325_273:                            ;   in Loop: Header=BB325_108 Depth=2
	global_load_dwordx2 v[17:18], v[39:40], off offset:1792
	s_or_b32 exec_lo, exec_lo, s50
	s_mov_b32 s50, exec_lo
	v_cmpx_lt_u32_e64 v105, v136
	s_cbranch_execz .LBB325_204
.LBB325_274:                            ;   in Loop: Header=BB325_108 Depth=2
	v_add_co_u32 v27, s40, 0x800, v39
	v_add_co_ci_u32_e64 v28, null, 0, v40, s40
	global_load_dwordx2 v[27:28], v[27:28], off
	s_or_b32 exec_lo, exec_lo, s50
	s_mov_b32 s50, exec_lo
	v_cmpx_lt_u32_e64 v106, v136
	s_cbranch_execz .LBB325_205
.LBB325_275:                            ;   in Loop: Header=BB325_108 Depth=2
	v_add_co_u32 v23, s40, 0x800, v39
	v_add_co_ci_u32_e64 v24, null, 0, v40, s40
	global_load_dwordx2 v[23:24], v[23:24], off offset:256
	s_or_b32 exec_lo, exec_lo, s50
	s_mov_b32 s50, exec_lo
	v_cmpx_lt_u32_e64 v107, v136
	s_cbranch_execz .LBB325_206
.LBB325_276:                            ;   in Loop: Header=BB325_108 Depth=2
	v_add_co_u32 v19, s40, 0x800, v39
	v_add_co_ci_u32_e64 v20, null, 0, v40, s40
	global_load_dwordx2 v[19:20], v[19:20], off offset:512
	s_or_b32 exec_lo, exec_lo, s50
	s_mov_b32 s50, exec_lo
	v_cmpx_lt_u32_e64 v108, v136
	s_cbranch_execz .LBB325_207
.LBB325_277:                            ;   in Loop: Header=BB325_108 Depth=2
	v_add_co_u32 v15, s40, 0x800, v39
	v_add_co_ci_u32_e64 v16, null, 0, v40, s40
	global_load_dwordx2 v[15:16], v[15:16], off offset:768
	s_or_b32 exec_lo, exec_lo, s50
	s_mov_b32 s50, exec_lo
	v_cmpx_lt_u32_e64 v109, v136
	s_cbranch_execz .LBB325_208
.LBB325_278:                            ;   in Loop: Header=BB325_108 Depth=2
	v_add_co_u32 v13, s40, 0x800, v39
	v_add_co_ci_u32_e64 v14, null, 0, v40, s40
	global_load_dwordx2 v[13:14], v[13:14], off offset:1024
	s_or_b32 exec_lo, exec_lo, s50
	s_mov_b32 s50, exec_lo
	v_cmpx_lt_u32_e64 v110, v136
	s_cbranch_execz .LBB325_209
.LBB325_279:                            ;   in Loop: Header=BB325_108 Depth=2
	v_add_co_u32 v11, s40, 0x800, v39
	v_add_co_ci_u32_e64 v12, null, 0, v40, s40
	global_load_dwordx2 v[11:12], v[11:12], off offset:1280
	s_or_b32 exec_lo, exec_lo, s50
	s_mov_b32 s50, exec_lo
	v_cmpx_lt_u32_e64 v111, v136
	s_cbranch_execz .LBB325_210
.LBB325_280:                            ;   in Loop: Header=BB325_108 Depth=2
	v_add_co_u32 v9, s40, 0x800, v39
	v_add_co_ci_u32_e64 v10, null, 0, v40, s40
	global_load_dwordx2 v[9:10], v[9:10], off offset:1536
	s_or_b32 exec_lo, exec_lo, s50
	s_mov_b32 s50, exec_lo
	v_cmpx_lt_u32_e64 v112, v136
	s_cbranch_execz .LBB325_211
.LBB325_281:                            ;   in Loop: Header=BB325_108 Depth=2
	v_add_co_u32 v7, s40, 0x800, v39
	v_add_co_ci_u32_e64 v8, null, 0, v40, s40
	global_load_dwordx2 v[7:8], v[7:8], off offset:1792
	s_or_b32 exec_lo, exec_lo, s50
	s_mov_b32 s50, exec_lo
	v_cmpx_lt_u32_e64 v113, v136
	s_cbranch_execz .LBB325_212
.LBB325_282:                            ;   in Loop: Header=BB325_108 Depth=2
	v_add_co_u32 v5, s40, 0x1000, v39
	v_add_co_ci_u32_e64 v6, null, 0, v40, s40
	global_load_dwordx2 v[5:6], v[5:6], off
	s_or_b32 exec_lo, exec_lo, s50
	s_and_saveexec_b32 s40, s39
	s_cbranch_execz .LBB325_213
.LBB325_283:                            ;   in Loop: Header=BB325_108 Depth=2
	ds_read_u8 v39, v0 offset:512
	s_waitcnt lgkmcnt(0)
	v_lshrrev_b32_e32 v39, s61, v39
	v_and_b32_e32 v132, s62, v39
	s_or_b32 exec_lo, exec_lo, s40
	s_and_saveexec_b32 s40, s38
	s_cbranch_execz .LBB325_214
.LBB325_284:                            ;   in Loop: Header=BB325_108 Depth=2
	ds_read_u8 v39, v0 offset:768
	s_waitcnt lgkmcnt(0)
	v_lshrrev_b32_e32 v39, s61, v39
	v_and_b32_e32 v131, s62, v39
	s_or_b32 exec_lo, exec_lo, s40
	s_and_saveexec_b32 s40, s37
	s_cbranch_execz .LBB325_215
.LBB325_285:                            ;   in Loop: Header=BB325_108 Depth=2
	ds_read_u8 v39, v0 offset:1024
	s_waitcnt lgkmcnt(0)
	v_lshrrev_b32_e32 v39, s61, v39
	v_and_b32_e32 v130, s62, v39
	s_or_b32 exec_lo, exec_lo, s40
	s_and_saveexec_b32 s40, s36
	s_cbranch_execz .LBB325_216
.LBB325_286:                            ;   in Loop: Header=BB325_108 Depth=2
	ds_read_u8 v39, v0 offset:1280
	s_waitcnt lgkmcnt(0)
	v_lshrrev_b32_e32 v39, s61, v39
	v_and_b32_e32 v129, s62, v39
	s_or_b32 exec_lo, exec_lo, s40
	s_and_saveexec_b32 s40, s35
	s_cbranch_execz .LBB325_217
.LBB325_287:                            ;   in Loop: Header=BB325_108 Depth=2
	ds_read_u8 v39, v0 offset:1536
	s_waitcnt lgkmcnt(0)
	v_lshrrev_b32_e32 v39, s61, v39
	v_and_b32_e32 v128, s62, v39
	s_or_b32 exec_lo, exec_lo, s40
	s_and_saveexec_b32 s40, s34
	s_cbranch_execz .LBB325_218
.LBB325_288:                            ;   in Loop: Header=BB325_108 Depth=2
	ds_read_u8 v39, v0 offset:1792
	s_waitcnt lgkmcnt(0)
	v_lshrrev_b32_e32 v39, s61, v39
	v_and_b32_e32 v127, s62, v39
	s_or_b32 exec_lo, exec_lo, s40
	s_and_saveexec_b32 s40, s33
	s_cbranch_execz .LBB325_219
.LBB325_289:                            ;   in Loop: Header=BB325_108 Depth=2
	ds_read_u8 v39, v0 offset:2048
	s_waitcnt lgkmcnt(0)
	v_lshrrev_b32_e32 v39, s61, v39
	v_and_b32_e32 v126, s62, v39
	s_or_b32 exec_lo, exec_lo, s40
	s_and_saveexec_b32 s40, s31
	s_cbranch_execz .LBB325_220
.LBB325_290:                            ;   in Loop: Header=BB325_108 Depth=2
	ds_read_u8 v39, v0 offset:2304
	s_waitcnt lgkmcnt(0)
	v_lshrrev_b32_e32 v39, s61, v39
	v_and_b32_e32 v125, s62, v39
	s_or_b32 exec_lo, exec_lo, s40
	s_and_saveexec_b32 s40, s30
	s_cbranch_execz .LBB325_221
.LBB325_291:                            ;   in Loop: Header=BB325_108 Depth=2
	ds_read_u8 v39, v0 offset:2560
	s_waitcnt lgkmcnt(0)
	v_lshrrev_b32_e32 v39, s61, v39
	v_and_b32_e32 v124, s62, v39
	s_or_b32 exec_lo, exec_lo, s40
	s_and_saveexec_b32 s40, s29
	s_cbranch_execz .LBB325_222
.LBB325_292:                            ;   in Loop: Header=BB325_108 Depth=2
	ds_read_u8 v39, v0 offset:2816
	s_waitcnt lgkmcnt(0)
	v_lshrrev_b32_e32 v39, s61, v39
	v_and_b32_e32 v123, s62, v39
	s_or_b32 exec_lo, exec_lo, s40
	s_and_saveexec_b32 s40, s28
	s_cbranch_execz .LBB325_223
.LBB325_293:                            ;   in Loop: Header=BB325_108 Depth=2
	ds_read_u8 v39, v0 offset:3072
	s_waitcnt lgkmcnt(0)
	v_lshrrev_b32_e32 v39, s61, v39
	v_and_b32_e32 v122, s62, v39
	s_or_b32 exec_lo, exec_lo, s40
	s_and_saveexec_b32 s40, s27
	s_cbranch_execz .LBB325_224
.LBB325_294:                            ;   in Loop: Header=BB325_108 Depth=2
	ds_read_u8 v39, v0 offset:3328
	s_waitcnt lgkmcnt(0)
	v_lshrrev_b32_e32 v39, s61, v39
	v_and_b32_e32 v121, s62, v39
	s_or_b32 exec_lo, exec_lo, s40
	s_and_saveexec_b32 s40, s26
	s_cbranch_execz .LBB325_225
.LBB325_295:                            ;   in Loop: Header=BB325_108 Depth=2
	ds_read_u8 v39, v0 offset:3584
	s_waitcnt lgkmcnt(0)
	v_lshrrev_b32_e32 v39, s61, v39
	v_and_b32_e32 v120, s62, v39
	s_or_b32 exec_lo, exec_lo, s40
	s_and_saveexec_b32 s40, s25
	s_cbranch_execz .LBB325_226
.LBB325_296:                            ;   in Loop: Header=BB325_108 Depth=2
	ds_read_u8 v39, v0 offset:3840
	s_waitcnt lgkmcnt(0)
	v_lshrrev_b32_e32 v39, s61, v39
	v_and_b32_e32 v119, s62, v39
	s_or_b32 exec_lo, exec_lo, s40
	s_and_saveexec_b32 s40, s24
	s_cbranch_execz .LBB325_227
.LBB325_297:                            ;   in Loop: Header=BB325_108 Depth=2
	ds_read_u8 v39, v0 offset:4096
	s_waitcnt lgkmcnt(0)
	v_lshrrev_b32_e32 v39, s61, v39
	v_and_b32_e32 v118, s62, v39
	s_or_b32 exec_lo, exec_lo, s40
	s_and_saveexec_b32 s40, s23
	s_cbranch_execz .LBB325_228
.LBB325_298:                            ;   in Loop: Header=BB325_108 Depth=2
	ds_read_u8 v39, v0 offset:4352
	s_waitcnt lgkmcnt(0)
	v_lshrrev_b32_e32 v39, s61, v39
	v_and_b32_e32 v117, s62, v39
	s_or_b32 exec_lo, exec_lo, s40
	s_and_saveexec_b32 s40, vcc_lo
	s_cbranch_execnz .LBB325_229
	s_branch .LBB325_230
.LBB325_299:                            ;   in Loop: Header=BB325_108 Depth=2
	v_lshlrev_b32_e32 v3, 2, v132
	v_add_nc_u32_e32 v39, v0, v75
	ds_read_b32 v3, v3
	ds_read_b64 v[39:40], v39 offset:512
	s_waitcnt lgkmcnt(1)
	v_add_nc_u32_e32 v3, v3, v0
	v_lshlrev_b64 v[41:42], 3, v[3:4]
	v_add_co_u32 v41, s39, s52, v41
	v_add_co_ci_u32_e64 v42, null, s53, v42, s39
	s_waitcnt lgkmcnt(0)
	global_store_dwordx2 v[41:42], v[39:40], off
	s_or_b32 exec_lo, exec_lo, s40
	s_and_saveexec_b32 s39, s38
	s_cbranch_execz .LBB325_232
.LBB325_300:                            ;   in Loop: Header=BB325_108 Depth=2
	v_lshlrev_b32_e32 v3, 2, v131
	v_add_nc_u32_e32 v39, v0, v75
	ds_read_b32 v3, v3
	ds_read_b64 v[39:40], v39 offset:2560
	s_waitcnt lgkmcnt(1)
	v_add_nc_u32_e32 v3, v3, v44
	v_lshlrev_b64 v[41:42], 3, v[3:4]
	v_add_co_u32 v41, s38, s52, v41
	v_add_co_ci_u32_e64 v42, null, s53, v42, s38
	s_waitcnt lgkmcnt(0)
	global_store_dwordx2 v[41:42], v[39:40], off
	s_or_b32 exec_lo, exec_lo, s39
	s_and_saveexec_b32 s38, s37
	s_cbranch_execz .LBB325_233
.LBB325_301:                            ;   in Loop: Header=BB325_108 Depth=2
	v_lshlrev_b32_e32 v3, 2, v130
	v_add_nc_u32_e32 v39, v0, v75
	ds_read_b32 v3, v3
	ds_read_b64 v[39:40], v39 offset:4608
	s_waitcnt lgkmcnt(1)
	v_add_nc_u32_e32 v3, v3, v47
	v_lshlrev_b64 v[41:42], 3, v[3:4]
	v_add_co_u32 v41, s37, s52, v41
	v_add_co_ci_u32_e64 v42, null, s53, v42, s37
	s_waitcnt lgkmcnt(0)
	global_store_dwordx2 v[41:42], v[39:40], off
	s_or_b32 exec_lo, exec_lo, s38
	s_and_saveexec_b32 s37, s36
	s_cbranch_execz .LBB325_234
.LBB325_302:                            ;   in Loop: Header=BB325_108 Depth=2
	v_lshlrev_b32_e32 v3, 2, v129
	v_add_nc_u32_e32 v39, v0, v75
	ds_read_b32 v3, v3
	ds_read_b64 v[39:40], v39 offset:6656
	s_waitcnt lgkmcnt(1)
	v_add_nc_u32_e32 v3, v3, v48
	v_lshlrev_b64 v[41:42], 3, v[3:4]
	v_add_co_u32 v41, s36, s52, v41
	v_add_co_ci_u32_e64 v42, null, s53, v42, s36
	s_waitcnt lgkmcnt(0)
	global_store_dwordx2 v[41:42], v[39:40], off
	s_or_b32 exec_lo, exec_lo, s37
	s_and_saveexec_b32 s36, s35
	s_cbranch_execz .LBB325_235
.LBB325_303:                            ;   in Loop: Header=BB325_108 Depth=2
	v_lshlrev_b32_e32 v3, 2, v128
	v_add_nc_u32_e32 v39, v0, v75
	ds_read_b32 v3, v3
	ds_read_b64 v[39:40], v39 offset:8704
	s_waitcnt lgkmcnt(1)
	v_add_nc_u32_e32 v3, v3, v49
	v_lshlrev_b64 v[41:42], 3, v[3:4]
	v_add_co_u32 v41, s35, s52, v41
	v_add_co_ci_u32_e64 v42, null, s53, v42, s35
	s_waitcnt lgkmcnt(0)
	global_store_dwordx2 v[41:42], v[39:40], off
	s_or_b32 exec_lo, exec_lo, s36
	s_and_saveexec_b32 s35, s34
	s_cbranch_execz .LBB325_236
.LBB325_304:                            ;   in Loop: Header=BB325_108 Depth=2
	v_lshlrev_b32_e32 v3, 2, v127
	v_add_nc_u32_e32 v39, v0, v75
	ds_read_b32 v3, v3
	ds_read_b64 v[39:40], v39 offset:10752
	s_waitcnt lgkmcnt(1)
	v_add_nc_u32_e32 v3, v3, v50
	v_lshlrev_b64 v[41:42], 3, v[3:4]
	v_add_co_u32 v41, s34, s52, v41
	v_add_co_ci_u32_e64 v42, null, s53, v42, s34
	s_waitcnt lgkmcnt(0)
	global_store_dwordx2 v[41:42], v[39:40], off
	s_or_b32 exec_lo, exec_lo, s35
	s_and_saveexec_b32 s34, s33
	s_cbranch_execz .LBB325_237
.LBB325_305:                            ;   in Loop: Header=BB325_108 Depth=2
	v_lshlrev_b32_e32 v3, 2, v126
	v_add_nc_u32_e32 v39, v0, v75
	ds_read_b32 v3, v3
	ds_read_b64 v[39:40], v39 offset:12800
	s_waitcnt lgkmcnt(1)
	v_add_nc_u32_e32 v3, v3, v51
	v_lshlrev_b64 v[41:42], 3, v[3:4]
	v_add_co_u32 v41, s33, s52, v41
	v_add_co_ci_u32_e64 v42, null, s53, v42, s33
	s_waitcnt lgkmcnt(0)
	global_store_dwordx2 v[41:42], v[39:40], off
	s_or_b32 exec_lo, exec_lo, s34
	s_and_saveexec_b32 s33, s31
	s_cbranch_execz .LBB325_238
.LBB325_306:                            ;   in Loop: Header=BB325_108 Depth=2
	v_lshlrev_b32_e32 v3, 2, v125
	v_add_nc_u32_e32 v39, v0, v75
	ds_read_b32 v3, v3
	ds_read_b64 v[39:40], v39 offset:14848
	s_waitcnt lgkmcnt(1)
	v_add_nc_u32_e32 v3, v3, v52
	v_lshlrev_b64 v[41:42], 3, v[3:4]
	v_add_co_u32 v41, s31, s52, v41
	v_add_co_ci_u32_e64 v42, null, s53, v42, s31
	s_waitcnt lgkmcnt(0)
	global_store_dwordx2 v[41:42], v[39:40], off
	s_or_b32 exec_lo, exec_lo, s33
	s_and_saveexec_b32 s31, s30
	s_cbranch_execz .LBB325_239
.LBB325_307:                            ;   in Loop: Header=BB325_108 Depth=2
	v_lshlrev_b32_e32 v3, 2, v124
	v_add_nc_u32_e32 v39, v0, v75
	ds_read_b32 v3, v3
	ds_read_b64 v[39:40], v39 offset:16896
	s_waitcnt lgkmcnt(1)
	v_add_nc_u32_e32 v3, v3, v53
	v_lshlrev_b64 v[41:42], 3, v[3:4]
	v_add_co_u32 v41, s30, s52, v41
	v_add_co_ci_u32_e64 v42, null, s53, v42, s30
	s_waitcnt lgkmcnt(0)
	global_store_dwordx2 v[41:42], v[39:40], off
	s_or_b32 exec_lo, exec_lo, s31
	s_and_saveexec_b32 s30, s29
	s_cbranch_execz .LBB325_240
.LBB325_308:                            ;   in Loop: Header=BB325_108 Depth=2
	v_lshlrev_b32_e32 v3, 2, v123
	v_add_nc_u32_e32 v39, v0, v75
	ds_read_b32 v3, v3
	ds_read_b64 v[39:40], v39 offset:18944
	s_waitcnt lgkmcnt(1)
	v_add_nc_u32_e32 v3, v3, v54
	v_lshlrev_b64 v[41:42], 3, v[3:4]
	v_add_co_u32 v41, s29, s52, v41
	v_add_co_ci_u32_e64 v42, null, s53, v42, s29
	s_waitcnt lgkmcnt(0)
	global_store_dwordx2 v[41:42], v[39:40], off
	s_or_b32 exec_lo, exec_lo, s30
	s_and_saveexec_b32 s29, s28
	s_cbranch_execz .LBB325_241
.LBB325_309:                            ;   in Loop: Header=BB325_108 Depth=2
	v_lshlrev_b32_e32 v3, 2, v122
	v_add_nc_u32_e32 v39, v0, v75
	ds_read_b32 v3, v3
	ds_read_b64 v[39:40], v39 offset:20992
	s_waitcnt lgkmcnt(1)
	v_add_nc_u32_e32 v3, v3, v55
	v_lshlrev_b64 v[41:42], 3, v[3:4]
	v_add_co_u32 v41, s28, s52, v41
	v_add_co_ci_u32_e64 v42, null, s53, v42, s28
	s_waitcnt lgkmcnt(0)
	global_store_dwordx2 v[41:42], v[39:40], off
	s_or_b32 exec_lo, exec_lo, s29
	s_and_saveexec_b32 s28, s27
	s_cbranch_execz .LBB325_242
.LBB325_310:                            ;   in Loop: Header=BB325_108 Depth=2
	v_lshlrev_b32_e32 v3, 2, v121
	v_add_nc_u32_e32 v39, v0, v75
	ds_read_b32 v3, v3
	ds_read_b64 v[39:40], v39 offset:23040
	s_waitcnt lgkmcnt(1)
	v_add_nc_u32_e32 v3, v3, v56
	v_lshlrev_b64 v[41:42], 3, v[3:4]
	v_add_co_u32 v41, s27, s52, v41
	v_add_co_ci_u32_e64 v42, null, s53, v42, s27
	s_waitcnt lgkmcnt(0)
	global_store_dwordx2 v[41:42], v[39:40], off
	s_or_b32 exec_lo, exec_lo, s28
	s_and_saveexec_b32 s27, s26
	s_cbranch_execz .LBB325_243
.LBB325_311:                            ;   in Loop: Header=BB325_108 Depth=2
	v_lshlrev_b32_e32 v3, 2, v120
	v_add_nc_u32_e32 v39, v0, v75
	ds_read_b32 v3, v3
	ds_read_b64 v[39:40], v39 offset:25088
	s_waitcnt lgkmcnt(1)
	v_add_nc_u32_e32 v3, v3, v57
	v_lshlrev_b64 v[41:42], 3, v[3:4]
	v_add_co_u32 v41, s26, s52, v41
	v_add_co_ci_u32_e64 v42, null, s53, v42, s26
	s_waitcnt lgkmcnt(0)
	global_store_dwordx2 v[41:42], v[39:40], off
	s_or_b32 exec_lo, exec_lo, s27
	s_and_saveexec_b32 s26, s25
	s_cbranch_execz .LBB325_244
.LBB325_312:                            ;   in Loop: Header=BB325_108 Depth=2
	v_lshlrev_b32_e32 v3, 2, v119
	v_add_nc_u32_e32 v39, v0, v75
	ds_read_b32 v3, v3
	ds_read_b64 v[39:40], v39 offset:27136
	s_waitcnt lgkmcnt(1)
	v_add_nc_u32_e32 v3, v3, v58
	v_lshlrev_b64 v[41:42], 3, v[3:4]
	v_add_co_u32 v41, s25, s52, v41
	v_add_co_ci_u32_e64 v42, null, s53, v42, s25
	s_waitcnt lgkmcnt(0)
	global_store_dwordx2 v[41:42], v[39:40], off
	s_or_b32 exec_lo, exec_lo, s26
	s_and_saveexec_b32 s25, s24
	s_cbranch_execz .LBB325_245
.LBB325_313:                            ;   in Loop: Header=BB325_108 Depth=2
	v_lshlrev_b32_e32 v3, 2, v118
	v_add_nc_u32_e32 v39, v0, v75
	ds_read_b32 v3, v3
	ds_read_b64 v[39:40], v39 offset:29184
	s_waitcnt lgkmcnt(1)
	v_add_nc_u32_e32 v3, v3, v59
	v_lshlrev_b64 v[41:42], 3, v[3:4]
	v_add_co_u32 v41, s24, s52, v41
	v_add_co_ci_u32_e64 v42, null, s53, v42, s24
	s_waitcnt lgkmcnt(0)
	global_store_dwordx2 v[41:42], v[39:40], off
	s_or_b32 exec_lo, exec_lo, s25
	s_and_saveexec_b32 s24, s23
	s_cbranch_execz .LBB325_246
.LBB325_314:                            ;   in Loop: Header=BB325_108 Depth=2
	v_lshlrev_b32_e32 v3, 2, v117
	v_add_nc_u32_e32 v39, v0, v75
	ds_read_b32 v3, v3
	ds_read_b64 v[39:40], v39 offset:31232
	s_waitcnt lgkmcnt(1)
	v_add_nc_u32_e32 v3, v3, v60
	v_lshlrev_b64 v[41:42], 3, v[3:4]
	v_add_co_u32 v41, s23, s52, v41
	v_add_co_ci_u32_e64 v42, null, s53, v42, s23
	s_waitcnt lgkmcnt(0)
	global_store_dwordx2 v[41:42], v[39:40], off
	s_or_b32 exec_lo, exec_lo, s24
	s_and_saveexec_b32 s23, vcc_lo
	s_cbranch_execnz .LBB325_247
	s_branch .LBB325_248
.LBB325_315:                            ;   in Loop: Header=BB325_108 Depth=2
	global_load_ubyte v144, v[39:40], off
	v_mov_b32_e32 v115, 0x80
	v_mov_b32_e32 v145, 0x80
	;; [unrolled: 1-line block ×16, first 2 shown]
	s_or_b32 exec_lo, exec_lo, s23
	s_mov_b32 s23, exec_lo
	v_cmpx_gt_u32_e64 s63, v98
	s_cbranch_execz .LBB325_113
.LBB325_316:                            ;   in Loop: Header=BB325_108 Depth=2
	global_load_ubyte v145, v[39:40], off offset:32
	s_or_b32 exec_lo, exec_lo, s23
	s_mov_b32 s23, exec_lo
	v_cmpx_gt_u32_e64 s63, v99
	s_cbranch_execz .LBB325_114
.LBB325_317:                            ;   in Loop: Header=BB325_108 Depth=2
	global_load_ubyte v146, v[39:40], off offset:64
	s_or_b32 exec_lo, exec_lo, s23
	s_mov_b32 s23, exec_lo
	v_cmpx_gt_u32_e64 s63, v100
	s_cbranch_execz .LBB325_115
.LBB325_318:                            ;   in Loop: Header=BB325_108 Depth=2
	global_load_ubyte v149, v[39:40], off offset:96
	s_or_b32 exec_lo, exec_lo, s23
	s_mov_b32 s23, exec_lo
	v_cmpx_gt_u32_e64 s63, v101
	s_cbranch_execz .LBB325_116
.LBB325_319:                            ;   in Loop: Header=BB325_108 Depth=2
	global_load_ubyte v148, v[39:40], off offset:128
	s_or_b32 exec_lo, exec_lo, s23
	s_mov_b32 s23, exec_lo
	v_cmpx_gt_u32_e64 s63, v102
	s_cbranch_execz .LBB325_117
.LBB325_320:                            ;   in Loop: Header=BB325_108 Depth=2
	global_load_ubyte v141, v[39:40], off offset:160
	s_or_b32 exec_lo, exec_lo, s23
	s_mov_b32 s23, exec_lo
	v_cmpx_gt_u32_e64 s63, v103
	s_cbranch_execz .LBB325_118
.LBB325_321:                            ;   in Loop: Header=BB325_108 Depth=2
	global_load_ubyte v142, v[39:40], off offset:192
	s_or_b32 exec_lo, exec_lo, s23
	s_mov_b32 s23, exec_lo
	v_cmpx_gt_u32_e64 s63, v104
	s_cbranch_execz .LBB325_119
.LBB325_322:                            ;   in Loop: Header=BB325_108 Depth=2
	global_load_ubyte v143, v[39:40], off offset:224
	s_or_b32 exec_lo, exec_lo, s23
	s_mov_b32 s23, exec_lo
	v_cmpx_gt_u32_e64 s63, v105
	s_cbranch_execz .LBB325_120
.LBB325_323:                            ;   in Loop: Header=BB325_108 Depth=2
	global_load_ubyte v140, v[39:40], off offset:256
	s_or_b32 exec_lo, exec_lo, s23
	s_mov_b32 s23, exec_lo
	v_cmpx_gt_u32_e64 s63, v106
	s_cbranch_execz .LBB325_121
.LBB325_324:                            ;   in Loop: Header=BB325_108 Depth=2
	global_load_ubyte v137, v[39:40], off offset:288
	s_or_b32 exec_lo, exec_lo, s23
	s_mov_b32 s23, exec_lo
	v_cmpx_gt_u32_e64 s63, v107
	s_cbranch_execz .LBB325_122
.LBB325_325:                            ;   in Loop: Header=BB325_108 Depth=2
	global_load_ubyte v138, v[39:40], off offset:320
	s_or_b32 exec_lo, exec_lo, s23
	s_mov_b32 s23, exec_lo
	v_cmpx_gt_u32_e64 s63, v108
	s_cbranch_execz .LBB325_123
.LBB325_326:                            ;   in Loop: Header=BB325_108 Depth=2
	global_load_ubyte v139, v[39:40], off offset:352
	s_or_b32 exec_lo, exec_lo, s23
	s_mov_b32 s23, exec_lo
	v_cmpx_gt_u32_e64 s63, v109
	s_cbranch_execz .LBB325_124
.LBB325_327:                            ;   in Loop: Header=BB325_108 Depth=2
	global_load_ubyte v135, v[39:40], off offset:384
	s_or_b32 exec_lo, exec_lo, s23
	s_mov_b32 s23, exec_lo
	v_cmpx_gt_u32_e64 s63, v110
	s_cbranch_execz .LBB325_125
.LBB325_328:                            ;   in Loop: Header=BB325_108 Depth=2
	global_load_ubyte v3, v[39:40], off offset:416
	s_or_b32 exec_lo, exec_lo, s23
	s_mov_b32 s23, exec_lo
	v_cmpx_gt_u32_e64 s63, v111
	s_cbranch_execz .LBB325_126
.LBB325_329:                            ;   in Loop: Header=BB325_108 Depth=2
	global_load_ubyte v41, v[39:40], off offset:448
	s_or_b32 exec_lo, exec_lo, s23
	s_mov_b32 s23, exec_lo
	v_cmpx_gt_u32_e64 s63, v112
	s_cbranch_execnz .LBB325_127
	s_branch .LBB325_128
.LBB325_330:                            ;   in Loop: Header=BB325_20 Depth=1
	s_waitcnt lgkmcnt(0)
	s_mov_b32 s5, 0
	s_barrier
.LBB325_331:                            ;   in Loop: Header=BB325_20 Depth=1
	s_and_b32 vcc_lo, exec_lo, s5
	s_cbranch_vccz .LBB325_641
; %bb.332:                              ;   in Loop: Header=BB325_20 Depth=1
	v_mov_b32_e32 v17, 0
	v_mov_b32_e32 v20, 0
	;; [unrolled: 1-line block ×17, first 2 shown]
	s_mov_b32 s5, s60
	s_mov_b32 s17, s58
	s_barrier
	buffer_gl0_inv
	s_branch .LBB325_334
.LBB325_333:                            ;   in Loop: Header=BB325_334 Depth=2
	s_or_b32 exec_lo, exec_lo, s16
	s_addk_i32 s5, 0xef00
	s_cmp_ge_u32 s15, s59
	s_mov_b32 s17, s15
	s_cbranch_scc1 .LBB325_406
.LBB325_334:                            ;   Parent Loop BB325_20 Depth=1
                                        ; =>  This Inner Loop Header: Depth=2
	s_add_i32 s15, s17, 0x1100
	s_mov_b32 s16, -1
	s_cmp_gt_u32 s15, s59
                                        ; implicit-def: $vgpr21
                                        ; implicit-def: $vgpr22
                                        ; implicit-def: $vgpr23
                                        ; implicit-def: $vgpr24
                                        ; implicit-def: $vgpr25
                                        ; implicit-def: $vgpr26
                                        ; implicit-def: $vgpr27
                                        ; implicit-def: $vgpr28
                                        ; implicit-def: $vgpr29
                                        ; implicit-def: $vgpr30
                                        ; implicit-def: $vgpr31
                                        ; implicit-def: $vgpr32
                                        ; implicit-def: $vgpr33
                                        ; implicit-def: $vgpr34
                                        ; implicit-def: $vgpr35
                                        ; implicit-def: $vgpr36
                                        ; implicit-def: $vgpr37
	s_cbranch_scc1 .LBB325_336
; %bb.335:                              ;   in Loop: Header=BB325_334 Depth=2
	v_add_co_u32 v38, vcc_lo, v76, s17
	v_add_co_ci_u32_e64 v39, null, 0, v77, vcc_lo
	s_mov_b32 s16, 0
	v_add_co_u32 v21, vcc_lo, 0x800, v38
	v_add_co_ci_u32_e64 v22, null, 0, v39, vcc_lo
	v_add_co_u32 v23, vcc_lo, 0x1000, v38
	v_add_co_ci_u32_e64 v24, null, 0, v39, vcc_lo
	s_clause 0x10
	global_load_ubyte v36, v[21:22], off offset:1792
	global_load_ubyte v37, v[23:24], off
	global_load_ubyte v35, v[21:22], off offset:1536
	global_load_ubyte v34, v[21:22], off offset:1280
	;; [unrolled: 1-line block ×6, first 2 shown]
	global_load_ubyte v29, v[21:22], off
	global_load_ubyte v28, v[38:39], off offset:1792
	global_load_ubyte v27, v[38:39], off offset:1536
	;; [unrolled: 1-line block ×7, first 2 shown]
	global_load_ubyte v21, v[38:39], off
.LBB325_336:                            ;   in Loop: Header=BB325_334 Depth=2
	s_andn2_b32 vcc_lo, exec_lo, s16
	s_movk_i32 s16, 0x1100
	s_cbranch_vccnz .LBB325_356
; %bb.337:                              ;   in Loop: Header=BB325_334 Depth=2
	s_add_u32 s16, s46, s17
	s_addc_u32 s17, s47, 0
	s_mov_b32 s18, exec_lo
	v_cmpx_gt_u32_e64 s5, v0
	s_cbranch_execnz .LBB325_390
; %bb.338:                              ;   in Loop: Header=BB325_334 Depth=2
	s_or_b32 exec_lo, exec_lo, s18
	s_mov_b32 s18, exec_lo
	v_cmpx_gt_u32_e64 s5, v44
	s_cbranch_execnz .LBB325_391
.LBB325_339:                            ;   in Loop: Header=BB325_334 Depth=2
	s_or_b32 exec_lo, exec_lo, s18
	s_mov_b32 s18, exec_lo
	v_cmpx_gt_u32_e64 s5, v47
	s_cbranch_execnz .LBB325_392
.LBB325_340:                            ;   in Loop: Header=BB325_334 Depth=2
	s_or_b32 exec_lo, exec_lo, s18
	s_mov_b32 s18, exec_lo
	v_cmpx_gt_u32_e64 s5, v48
	s_cbranch_execnz .LBB325_393
.LBB325_341:                            ;   in Loop: Header=BB325_334 Depth=2
	s_or_b32 exec_lo, exec_lo, s18
	s_mov_b32 s18, exec_lo
	v_cmpx_gt_u32_e64 s5, v49
	s_cbranch_execnz .LBB325_394
.LBB325_342:                            ;   in Loop: Header=BB325_334 Depth=2
	s_or_b32 exec_lo, exec_lo, s18
	s_mov_b32 s18, exec_lo
	v_cmpx_gt_u32_e64 s5, v50
	s_cbranch_execnz .LBB325_395
.LBB325_343:                            ;   in Loop: Header=BB325_334 Depth=2
	s_or_b32 exec_lo, exec_lo, s18
	s_mov_b32 s18, exec_lo
	v_cmpx_gt_u32_e64 s5, v51
	s_cbranch_execnz .LBB325_396
.LBB325_344:                            ;   in Loop: Header=BB325_334 Depth=2
	s_or_b32 exec_lo, exec_lo, s18
	s_mov_b32 s18, exec_lo
	v_cmpx_gt_u32_e64 s5, v52
	s_cbranch_execnz .LBB325_397
.LBB325_345:                            ;   in Loop: Header=BB325_334 Depth=2
	s_or_b32 exec_lo, exec_lo, s18
	s_mov_b32 s18, exec_lo
	v_cmpx_gt_u32_e64 s5, v53
	s_cbranch_execnz .LBB325_398
.LBB325_346:                            ;   in Loop: Header=BB325_334 Depth=2
	s_or_b32 exec_lo, exec_lo, s18
	s_mov_b32 s18, exec_lo
	v_cmpx_gt_u32_e64 s5, v54
	s_cbranch_execnz .LBB325_399
.LBB325_347:                            ;   in Loop: Header=BB325_334 Depth=2
	s_or_b32 exec_lo, exec_lo, s18
	s_mov_b32 s18, exec_lo
	v_cmpx_gt_u32_e64 s5, v55
	s_cbranch_execnz .LBB325_400
.LBB325_348:                            ;   in Loop: Header=BB325_334 Depth=2
	s_or_b32 exec_lo, exec_lo, s18
	s_mov_b32 s18, exec_lo
	v_cmpx_gt_u32_e64 s5, v56
	s_cbranch_execnz .LBB325_401
.LBB325_349:                            ;   in Loop: Header=BB325_334 Depth=2
	s_or_b32 exec_lo, exec_lo, s18
	s_mov_b32 s18, exec_lo
	v_cmpx_gt_u32_e64 s5, v57
	s_cbranch_execnz .LBB325_402
.LBB325_350:                            ;   in Loop: Header=BB325_334 Depth=2
	s_or_b32 exec_lo, exec_lo, s18
	s_mov_b32 s18, exec_lo
	v_cmpx_gt_u32_e64 s5, v58
	s_cbranch_execnz .LBB325_403
.LBB325_351:                            ;   in Loop: Header=BB325_334 Depth=2
	s_or_b32 exec_lo, exec_lo, s18
	s_mov_b32 s18, exec_lo
	v_cmpx_gt_u32_e64 s5, v59
	s_cbranch_execnz .LBB325_404
.LBB325_352:                            ;   in Loop: Header=BB325_334 Depth=2
	s_or_b32 exec_lo, exec_lo, s18
	s_mov_b32 s18, exec_lo
	v_cmpx_gt_u32_e64 s5, v60
	s_cbranch_execnz .LBB325_405
.LBB325_353:                            ;   in Loop: Header=BB325_334 Depth=2
	s_or_b32 exec_lo, exec_lo, s18
	s_mov_b32 s18, exec_lo
	v_cmpx_gt_u32_e64 s5, v61
	s_cbranch_execz .LBB325_355
.LBB325_354:                            ;   in Loop: Header=BB325_334 Depth=2
	s_waitcnt vmcnt(0)
	v_add_co_u32 v21, s16, s16, v61
	v_add_co_ci_u32_e64 v22, null, s17, 0, s16
	global_load_ubyte v3, v[21:22], off
.LBB325_355:                            ;   in Loop: Header=BB325_334 Depth=2
	s_or_b32 exec_lo, exec_lo, s18
	s_waitcnt vmcnt(0)
	v_mov_b32_e32 v21, v17
	v_mov_b32_e32 v22, v20
	;; [unrolled: 1-line block ×17, first 2 shown]
	s_mov_b32 s16, s5
.LBB325_356:                            ;   in Loop: Header=BB325_334 Depth=2
	s_waitcnt vmcnt(15)
	v_mov_b32_e32 v3, v37
	v_mov_b32_e32 v5, v36
	s_waitcnt vmcnt(14)
	v_mov_b32_e32 v6, v35
	s_waitcnt vmcnt(13)
	;; [unrolled: 2-line block ×15, first 2 shown]
	v_mov_b32_e32 v17, v21
	s_mov_b32 s17, exec_lo
	v_cmpx_gt_u32_e64 s16, v0
	s_cbranch_execnz .LBB325_373
; %bb.357:                              ;   in Loop: Header=BB325_334 Depth=2
	s_or_b32 exec_lo, exec_lo, s17
	s_mov_b32 s17, exec_lo
	v_cmpx_gt_u32_e64 s16, v44
	s_cbranch_execnz .LBB325_374
.LBB325_358:                            ;   in Loop: Header=BB325_334 Depth=2
	s_or_b32 exec_lo, exec_lo, s17
	s_mov_b32 s17, exec_lo
	v_cmpx_gt_u32_e64 s16, v47
	s_cbranch_execnz .LBB325_375
.LBB325_359:                            ;   in Loop: Header=BB325_334 Depth=2
	s_or_b32 exec_lo, exec_lo, s17
	s_mov_b32 s17, exec_lo
	v_cmpx_gt_u32_e64 s16, v48
	s_cbranch_execnz .LBB325_376
.LBB325_360:                            ;   in Loop: Header=BB325_334 Depth=2
	s_or_b32 exec_lo, exec_lo, s17
	s_mov_b32 s17, exec_lo
	v_cmpx_gt_u32_e64 s16, v49
	s_cbranch_execnz .LBB325_377
.LBB325_361:                            ;   in Loop: Header=BB325_334 Depth=2
	s_or_b32 exec_lo, exec_lo, s17
	s_mov_b32 s17, exec_lo
	v_cmpx_gt_u32_e64 s16, v50
	s_cbranch_execnz .LBB325_378
.LBB325_362:                            ;   in Loop: Header=BB325_334 Depth=2
	s_or_b32 exec_lo, exec_lo, s17
	s_mov_b32 s17, exec_lo
	v_cmpx_gt_u32_e64 s16, v51
	s_cbranch_execnz .LBB325_379
.LBB325_363:                            ;   in Loop: Header=BB325_334 Depth=2
	s_or_b32 exec_lo, exec_lo, s17
	s_mov_b32 s17, exec_lo
	v_cmpx_gt_u32_e64 s16, v52
	s_cbranch_execnz .LBB325_380
.LBB325_364:                            ;   in Loop: Header=BB325_334 Depth=2
	s_or_b32 exec_lo, exec_lo, s17
	s_mov_b32 s17, exec_lo
	v_cmpx_gt_u32_e64 s16, v53
	s_cbranch_execnz .LBB325_381
.LBB325_365:                            ;   in Loop: Header=BB325_334 Depth=2
	s_or_b32 exec_lo, exec_lo, s17
	s_mov_b32 s17, exec_lo
	v_cmpx_gt_u32_e64 s16, v54
	s_cbranch_execnz .LBB325_382
.LBB325_366:                            ;   in Loop: Header=BB325_334 Depth=2
	s_or_b32 exec_lo, exec_lo, s17
	s_mov_b32 s17, exec_lo
	v_cmpx_gt_u32_e64 s16, v55
	s_cbranch_execnz .LBB325_383
.LBB325_367:                            ;   in Loop: Header=BB325_334 Depth=2
	s_or_b32 exec_lo, exec_lo, s17
	s_mov_b32 s17, exec_lo
	v_cmpx_gt_u32_e64 s16, v56
	s_cbranch_execnz .LBB325_384
.LBB325_368:                            ;   in Loop: Header=BB325_334 Depth=2
	s_or_b32 exec_lo, exec_lo, s17
	s_mov_b32 s17, exec_lo
	v_cmpx_gt_u32_e64 s16, v57
	s_cbranch_execnz .LBB325_385
.LBB325_369:                            ;   in Loop: Header=BB325_334 Depth=2
	s_or_b32 exec_lo, exec_lo, s17
	s_mov_b32 s17, exec_lo
	v_cmpx_gt_u32_e64 s16, v58
	s_cbranch_execnz .LBB325_386
.LBB325_370:                            ;   in Loop: Header=BB325_334 Depth=2
	s_or_b32 exec_lo, exec_lo, s17
	s_mov_b32 s17, exec_lo
	v_cmpx_gt_u32_e64 s16, v59
	s_cbranch_execnz .LBB325_387
.LBB325_371:                            ;   in Loop: Header=BB325_334 Depth=2
	s_or_b32 exec_lo, exec_lo, s17
	s_mov_b32 s17, exec_lo
	v_cmpx_gt_u32_e64 s16, v60
	s_cbranch_execnz .LBB325_388
.LBB325_372:                            ;   in Loop: Header=BB325_334 Depth=2
	s_or_b32 exec_lo, exec_lo, s17
	v_cmp_gt_u32_e32 vcc_lo, s16, v61
	s_and_saveexec_b32 s16, vcc_lo
	s_cbranch_execz .LBB325_333
	s_branch .LBB325_389
.LBB325_373:                            ;   in Loop: Header=BB325_334 Depth=2
	v_xor_b32_e32 v21, 0x7f, v17
	v_lshrrev_b32_sdwa v21, s61, v21 dst_sel:DWORD dst_unused:UNUSED_PAD src0_sel:DWORD src1_sel:BYTE_0
	v_and_b32_e32 v21, s62, v21
	v_lshl_or_b32 v21, v21, 4, v63
	ds_add_u32 v21, v89
	s_or_b32 exec_lo, exec_lo, s17
	s_mov_b32 s17, exec_lo
	v_cmpx_gt_u32_e64 s16, v44
	s_cbranch_execz .LBB325_358
.LBB325_374:                            ;   in Loop: Header=BB325_334 Depth=2
	v_xor_b32_e32 v21, 0x7f, v20
	v_lshrrev_b32_sdwa v21, s61, v21 dst_sel:DWORD dst_unused:UNUSED_PAD src0_sel:DWORD src1_sel:BYTE_0
	v_and_b32_e32 v21, s62, v21
	v_lshl_or_b32 v21, v21, 4, v63
	ds_add_u32 v21, v89
	s_or_b32 exec_lo, exec_lo, s17
	s_mov_b32 s17, exec_lo
	v_cmpx_gt_u32_e64 s16, v47
	s_cbranch_execz .LBB325_359
.LBB325_375:                            ;   in Loop: Header=BB325_334 Depth=2
	v_xor_b32_e32 v21, 0x7f, v19
	v_lshrrev_b32_sdwa v21, s61, v21 dst_sel:DWORD dst_unused:UNUSED_PAD src0_sel:DWORD src1_sel:BYTE_0
	v_and_b32_e32 v21, s62, v21
	v_lshl_or_b32 v21, v21, 4, v63
	ds_add_u32 v21, v89
	s_or_b32 exec_lo, exec_lo, s17
	s_mov_b32 s17, exec_lo
	v_cmpx_gt_u32_e64 s16, v48
	s_cbranch_execz .LBB325_360
.LBB325_376:                            ;   in Loop: Header=BB325_334 Depth=2
	v_xor_b32_e32 v21, 0x7f, v18
	v_lshrrev_b32_sdwa v21, s61, v21 dst_sel:DWORD dst_unused:UNUSED_PAD src0_sel:DWORD src1_sel:BYTE_0
	v_and_b32_e32 v21, s62, v21
	v_lshl_or_b32 v21, v21, 4, v63
	ds_add_u32 v21, v89
	s_or_b32 exec_lo, exec_lo, s17
	s_mov_b32 s17, exec_lo
	v_cmpx_gt_u32_e64 s16, v49
	s_cbranch_execz .LBB325_361
.LBB325_377:                            ;   in Loop: Header=BB325_334 Depth=2
	v_xor_b32_e32 v21, 0x7f, v16
	v_lshrrev_b32_sdwa v21, s61, v21 dst_sel:DWORD dst_unused:UNUSED_PAD src0_sel:DWORD src1_sel:BYTE_0
	v_and_b32_e32 v21, s62, v21
	v_lshl_or_b32 v21, v21, 4, v63
	ds_add_u32 v21, v89
	s_or_b32 exec_lo, exec_lo, s17
	s_mov_b32 s17, exec_lo
	v_cmpx_gt_u32_e64 s16, v50
	s_cbranch_execz .LBB325_362
.LBB325_378:                            ;   in Loop: Header=BB325_334 Depth=2
	v_xor_b32_e32 v21, 0x7f, v15
	v_lshrrev_b32_sdwa v21, s61, v21 dst_sel:DWORD dst_unused:UNUSED_PAD src0_sel:DWORD src1_sel:BYTE_0
	v_and_b32_e32 v21, s62, v21
	v_lshl_or_b32 v21, v21, 4, v63
	ds_add_u32 v21, v89
	s_or_b32 exec_lo, exec_lo, s17
	s_mov_b32 s17, exec_lo
	v_cmpx_gt_u32_e64 s16, v51
	s_cbranch_execz .LBB325_363
.LBB325_379:                            ;   in Loop: Header=BB325_334 Depth=2
	v_xor_b32_e32 v21, 0x7f, v14
	v_lshrrev_b32_sdwa v21, s61, v21 dst_sel:DWORD dst_unused:UNUSED_PAD src0_sel:DWORD src1_sel:BYTE_0
	v_and_b32_e32 v21, s62, v21
	v_lshl_or_b32 v21, v21, 4, v63
	ds_add_u32 v21, v89
	s_or_b32 exec_lo, exec_lo, s17
	s_mov_b32 s17, exec_lo
	v_cmpx_gt_u32_e64 s16, v52
	s_cbranch_execz .LBB325_364
.LBB325_380:                            ;   in Loop: Header=BB325_334 Depth=2
	v_xor_b32_e32 v21, 0x7f, v13
	v_lshrrev_b32_sdwa v21, s61, v21 dst_sel:DWORD dst_unused:UNUSED_PAD src0_sel:DWORD src1_sel:BYTE_0
	v_and_b32_e32 v21, s62, v21
	v_lshl_or_b32 v21, v21, 4, v63
	ds_add_u32 v21, v89
	s_or_b32 exec_lo, exec_lo, s17
	s_mov_b32 s17, exec_lo
	v_cmpx_gt_u32_e64 s16, v53
	s_cbranch_execz .LBB325_365
.LBB325_381:                            ;   in Loop: Header=BB325_334 Depth=2
	v_xor_b32_e32 v21, 0x7f, v12
	v_lshrrev_b32_sdwa v21, s61, v21 dst_sel:DWORD dst_unused:UNUSED_PAD src0_sel:DWORD src1_sel:BYTE_0
	v_and_b32_e32 v21, s62, v21
	v_lshl_or_b32 v21, v21, 4, v63
	ds_add_u32 v21, v89
	s_or_b32 exec_lo, exec_lo, s17
	s_mov_b32 s17, exec_lo
	v_cmpx_gt_u32_e64 s16, v54
	s_cbranch_execz .LBB325_366
.LBB325_382:                            ;   in Loop: Header=BB325_334 Depth=2
	v_xor_b32_e32 v21, 0x7f, v11
	v_lshrrev_b32_sdwa v21, s61, v21 dst_sel:DWORD dst_unused:UNUSED_PAD src0_sel:DWORD src1_sel:BYTE_0
	v_and_b32_e32 v21, s62, v21
	v_lshl_or_b32 v21, v21, 4, v63
	ds_add_u32 v21, v89
	s_or_b32 exec_lo, exec_lo, s17
	s_mov_b32 s17, exec_lo
	v_cmpx_gt_u32_e64 s16, v55
	s_cbranch_execz .LBB325_367
.LBB325_383:                            ;   in Loop: Header=BB325_334 Depth=2
	v_xor_b32_e32 v21, 0x7f, v10
	v_lshrrev_b32_sdwa v21, s61, v21 dst_sel:DWORD dst_unused:UNUSED_PAD src0_sel:DWORD src1_sel:BYTE_0
	v_and_b32_e32 v21, s62, v21
	v_lshl_or_b32 v21, v21, 4, v63
	ds_add_u32 v21, v89
	s_or_b32 exec_lo, exec_lo, s17
	s_mov_b32 s17, exec_lo
	v_cmpx_gt_u32_e64 s16, v56
	s_cbranch_execz .LBB325_368
.LBB325_384:                            ;   in Loop: Header=BB325_334 Depth=2
	v_xor_b32_e32 v21, 0x7f, v9
	v_lshrrev_b32_sdwa v21, s61, v21 dst_sel:DWORD dst_unused:UNUSED_PAD src0_sel:DWORD src1_sel:BYTE_0
	v_and_b32_e32 v21, s62, v21
	v_lshl_or_b32 v21, v21, 4, v63
	ds_add_u32 v21, v89
	s_or_b32 exec_lo, exec_lo, s17
	s_mov_b32 s17, exec_lo
	v_cmpx_gt_u32_e64 s16, v57
	s_cbranch_execz .LBB325_369
.LBB325_385:                            ;   in Loop: Header=BB325_334 Depth=2
	v_xor_b32_e32 v21, 0x7f, v8
	v_lshrrev_b32_sdwa v21, s61, v21 dst_sel:DWORD dst_unused:UNUSED_PAD src0_sel:DWORD src1_sel:BYTE_0
	v_and_b32_e32 v21, s62, v21
	v_lshl_or_b32 v21, v21, 4, v63
	ds_add_u32 v21, v89
	s_or_b32 exec_lo, exec_lo, s17
	s_mov_b32 s17, exec_lo
	v_cmpx_gt_u32_e64 s16, v58
	s_cbranch_execz .LBB325_370
.LBB325_386:                            ;   in Loop: Header=BB325_334 Depth=2
	v_xor_b32_e32 v21, 0x7f, v7
	v_lshrrev_b32_sdwa v21, s61, v21 dst_sel:DWORD dst_unused:UNUSED_PAD src0_sel:DWORD src1_sel:BYTE_0
	v_and_b32_e32 v21, s62, v21
	v_lshl_or_b32 v21, v21, 4, v63
	ds_add_u32 v21, v89
	s_or_b32 exec_lo, exec_lo, s17
	s_mov_b32 s17, exec_lo
	v_cmpx_gt_u32_e64 s16, v59
	s_cbranch_execz .LBB325_371
.LBB325_387:                            ;   in Loop: Header=BB325_334 Depth=2
	v_xor_b32_e32 v21, 0x7f, v6
	v_lshrrev_b32_sdwa v21, s61, v21 dst_sel:DWORD dst_unused:UNUSED_PAD src0_sel:DWORD src1_sel:BYTE_0
	v_and_b32_e32 v21, s62, v21
	v_lshl_or_b32 v21, v21, 4, v63
	ds_add_u32 v21, v89
	s_or_b32 exec_lo, exec_lo, s17
	s_mov_b32 s17, exec_lo
	v_cmpx_gt_u32_e64 s16, v60
	s_cbranch_execz .LBB325_372
.LBB325_388:                            ;   in Loop: Header=BB325_334 Depth=2
	v_xor_b32_e32 v21, 0x7f, v5
	v_lshrrev_b32_sdwa v21, s61, v21 dst_sel:DWORD dst_unused:UNUSED_PAD src0_sel:DWORD src1_sel:BYTE_0
	v_and_b32_e32 v21, s62, v21
	v_lshl_or_b32 v21, v21, 4, v63
	ds_add_u32 v21, v89
	s_or_b32 exec_lo, exec_lo, s17
	v_cmp_gt_u32_e32 vcc_lo, s16, v61
	s_and_saveexec_b32 s16, vcc_lo
	s_cbranch_execz .LBB325_333
.LBB325_389:                            ;   in Loop: Header=BB325_334 Depth=2
	v_xor_b32_e32 v21, 0x7f, v3
	v_lshrrev_b32_sdwa v21, s61, v21 dst_sel:DWORD dst_unused:UNUSED_PAD src0_sel:DWORD src1_sel:BYTE_0
	v_and_b32_e32 v21, s62, v21
	v_lshl_or_b32 v21, v21, 4, v63
	ds_add_u32 v21, v89
	s_branch .LBB325_333
.LBB325_390:                            ;   in Loop: Header=BB325_334 Depth=2
	s_waitcnt vmcnt(0)
	v_add_co_u32 v21, s19, s16, v0
	v_add_co_ci_u32_e64 v22, null, s17, 0, s19
	global_load_ubyte v17, v[21:22], off
	s_or_b32 exec_lo, exec_lo, s18
	s_mov_b32 s18, exec_lo
	v_cmpx_gt_u32_e64 s5, v44
	s_cbranch_execz .LBB325_339
.LBB325_391:                            ;   in Loop: Header=BB325_334 Depth=2
	v_add_co_u32 v20, s19, s16, v0
	s_waitcnt vmcnt(0)
	v_add_co_ci_u32_e64 v21, null, s17, 0, s19
	global_load_ubyte v20, v[20:21], off offset:256
	s_or_b32 exec_lo, exec_lo, s18
	s_mov_b32 s18, exec_lo
	v_cmpx_gt_u32_e64 s5, v47
	s_cbranch_execz .LBB325_340
.LBB325_392:                            ;   in Loop: Header=BB325_334 Depth=2
	s_waitcnt vmcnt(0)
	v_add_co_u32 v21, s19, s16, v0
	v_add_co_ci_u32_e64 v22, null, s17, 0, s19
	global_load_ubyte v19, v[21:22], off offset:512
	s_or_b32 exec_lo, exec_lo, s18
	s_mov_b32 s18, exec_lo
	v_cmpx_gt_u32_e64 s5, v48
	s_cbranch_execz .LBB325_341
.LBB325_393:                            ;   in Loop: Header=BB325_334 Depth=2
	s_waitcnt vmcnt(0)
	v_add_co_u32 v21, s19, s16, v0
	v_add_co_ci_u32_e64 v22, null, s17, 0, s19
	global_load_ubyte v18, v[21:22], off offset:768
	s_or_b32 exec_lo, exec_lo, s18
	s_mov_b32 s18, exec_lo
	v_cmpx_gt_u32_e64 s5, v49
	s_cbranch_execz .LBB325_342
.LBB325_394:                            ;   in Loop: Header=BB325_334 Depth=2
	s_waitcnt vmcnt(0)
	v_add_co_u32 v21, s19, s16, v0
	v_add_co_ci_u32_e64 v22, null, s17, 0, s19
	global_load_ubyte v16, v[21:22], off offset:1024
	s_or_b32 exec_lo, exec_lo, s18
	s_mov_b32 s18, exec_lo
	v_cmpx_gt_u32_e64 s5, v50
	s_cbranch_execz .LBB325_343
.LBB325_395:                            ;   in Loop: Header=BB325_334 Depth=2
	s_waitcnt vmcnt(0)
	v_add_co_u32 v21, s19, s16, v0
	v_add_co_ci_u32_e64 v22, null, s17, 0, s19
	global_load_ubyte v15, v[21:22], off offset:1280
	s_or_b32 exec_lo, exec_lo, s18
	s_mov_b32 s18, exec_lo
	v_cmpx_gt_u32_e64 s5, v51
	s_cbranch_execz .LBB325_344
.LBB325_396:                            ;   in Loop: Header=BB325_334 Depth=2
	s_waitcnt vmcnt(0)
	v_add_co_u32 v21, s19, s16, v0
	v_add_co_ci_u32_e64 v22, null, s17, 0, s19
	global_load_ubyte v14, v[21:22], off offset:1536
	s_or_b32 exec_lo, exec_lo, s18
	s_mov_b32 s18, exec_lo
	v_cmpx_gt_u32_e64 s5, v52
	s_cbranch_execz .LBB325_345
.LBB325_397:                            ;   in Loop: Header=BB325_334 Depth=2
	s_waitcnt vmcnt(0)
	v_add_co_u32 v21, s19, s16, v0
	v_add_co_ci_u32_e64 v22, null, s17, 0, s19
	global_load_ubyte v13, v[21:22], off offset:1792
	s_or_b32 exec_lo, exec_lo, s18
	s_mov_b32 s18, exec_lo
	v_cmpx_gt_u32_e64 s5, v53
	s_cbranch_execz .LBB325_346
.LBB325_398:                            ;   in Loop: Header=BB325_334 Depth=2
	s_waitcnt vmcnt(0)
	v_add_co_u32 v21, s19, s16, v53
	v_add_co_ci_u32_e64 v22, null, s17, 0, s19
	global_load_ubyte v12, v[21:22], off
	s_or_b32 exec_lo, exec_lo, s18
	s_mov_b32 s18, exec_lo
	v_cmpx_gt_u32_e64 s5, v54
	s_cbranch_execz .LBB325_347
.LBB325_399:                            ;   in Loop: Header=BB325_334 Depth=2
	s_waitcnt vmcnt(0)
	v_add_co_u32 v21, s19, s16, v54
	v_add_co_ci_u32_e64 v22, null, s17, 0, s19
	global_load_ubyte v11, v[21:22], off
	s_or_b32 exec_lo, exec_lo, s18
	s_mov_b32 s18, exec_lo
	v_cmpx_gt_u32_e64 s5, v55
	s_cbranch_execz .LBB325_348
.LBB325_400:                            ;   in Loop: Header=BB325_334 Depth=2
	s_waitcnt vmcnt(0)
	v_add_co_u32 v21, s19, s16, v55
	v_add_co_ci_u32_e64 v22, null, s17, 0, s19
	global_load_ubyte v10, v[21:22], off
	s_or_b32 exec_lo, exec_lo, s18
	s_mov_b32 s18, exec_lo
	v_cmpx_gt_u32_e64 s5, v56
	s_cbranch_execz .LBB325_349
.LBB325_401:                            ;   in Loop: Header=BB325_334 Depth=2
	s_waitcnt vmcnt(0)
	v_add_co_u32 v21, s19, s16, v56
	v_add_co_ci_u32_e64 v22, null, s17, 0, s19
	global_load_ubyte v9, v[21:22], off
	s_or_b32 exec_lo, exec_lo, s18
	s_mov_b32 s18, exec_lo
	v_cmpx_gt_u32_e64 s5, v57
	s_cbranch_execz .LBB325_350
.LBB325_402:                            ;   in Loop: Header=BB325_334 Depth=2
	s_waitcnt vmcnt(0)
	v_add_co_u32 v21, s19, s16, v57
	v_add_co_ci_u32_e64 v22, null, s17, 0, s19
	global_load_ubyte v8, v[21:22], off
	s_or_b32 exec_lo, exec_lo, s18
	s_mov_b32 s18, exec_lo
	v_cmpx_gt_u32_e64 s5, v58
	s_cbranch_execz .LBB325_351
.LBB325_403:                            ;   in Loop: Header=BB325_334 Depth=2
	s_waitcnt vmcnt(0)
	v_add_co_u32 v21, s19, s16, v58
	v_add_co_ci_u32_e64 v22, null, s17, 0, s19
	global_load_ubyte v7, v[21:22], off
	s_or_b32 exec_lo, exec_lo, s18
	s_mov_b32 s18, exec_lo
	v_cmpx_gt_u32_e64 s5, v59
	s_cbranch_execz .LBB325_352
.LBB325_404:                            ;   in Loop: Header=BB325_334 Depth=2
	s_waitcnt vmcnt(0)
	v_add_co_u32 v21, s19, s16, v59
	v_add_co_ci_u32_e64 v22, null, s17, 0, s19
	global_load_ubyte v6, v[21:22], off
	s_or_b32 exec_lo, exec_lo, s18
	s_mov_b32 s18, exec_lo
	v_cmpx_gt_u32_e64 s5, v60
	s_cbranch_execz .LBB325_353
.LBB325_405:                            ;   in Loop: Header=BB325_334 Depth=2
	s_waitcnt vmcnt(0)
	v_add_co_u32 v21, s19, s16, v60
	v_add_co_ci_u32_e64 v22, null, s17, 0, s19
	global_load_ubyte v5, v[21:22], off
	s_or_b32 exec_lo, exec_lo, s18
	s_mov_b32 s18, exec_lo
	v_cmpx_gt_u32_e64 s5, v61
	s_cbranch_execnz .LBB325_354
	s_branch .LBB325_355
.LBB325_406:                            ;   in Loop: Header=BB325_20 Depth=1
	v_mov_b32_e32 v3, 0
	s_waitcnt lgkmcnt(0)
	s_barrier
	buffer_gl0_inv
	s_and_saveexec_b32 s5, s8
	s_cbranch_execz .LBB325_408
; %bb.407:                              ;   in Loop: Header=BB325_20 Depth=1
	ds_read2_b64 v[5:8], v64 offset1:1
	s_waitcnt lgkmcnt(0)
	v_add_nc_u32_e32 v3, v6, v5
	v_add3_u32 v3, v3, v7, v8
.LBB325_408:                            ;   in Loop: Header=BB325_20 Depth=1
	s_or_b32 exec_lo, exec_lo, s5
	v_and_b32_e32 v5, 15, v86
	v_mov_b32_dpp v6, v3 row_shr:1 row_mask:0xf bank_mask:0xf
	v_and_b32_e32 v7, 16, v86
	v_cmp_eq_u32_e64 s5, 0, v5
	v_cmp_lt_u32_e64 s15, 1, v5
	v_cmp_lt_u32_e64 s16, 3, v5
	;; [unrolled: 1-line block ×3, first 2 shown]
	v_cmp_eq_u32_e64 s18, 0, v7
	v_cndmask_b32_e64 v6, v6, 0, s5
	v_add_nc_u32_e32 v3, v6, v3
	v_mov_b32_dpp v6, v3 row_shr:2 row_mask:0xf bank_mask:0xf
	v_cndmask_b32_e64 v6, 0, v6, s15
	v_add_nc_u32_e32 v3, v3, v6
	v_mov_b32_dpp v6, v3 row_shr:4 row_mask:0xf bank_mask:0xf
	;; [unrolled: 3-line block ×3, first 2 shown]
	v_cndmask_b32_e64 v5, 0, v6, s17
	v_bfe_i32 v6, v86, 4, 1
	v_add_nc_u32_e32 v3, v3, v5
	ds_swizzle_b32 v5, v3 offset:swizzle(BROADCAST,32,15)
	s_waitcnt lgkmcnt(0)
	v_and_b32_e32 v5, v6, v5
	v_add_nc_u32_e32 v3, v3, v5
	s_and_saveexec_b32 s19, s9
; %bb.409:                              ;   in Loop: Header=BB325_20 Depth=1
	ds_write_b32 v65, v3
; %bb.410:                              ;   in Loop: Header=BB325_20 Depth=1
	s_or_b32 exec_lo, exec_lo, s19
	s_waitcnt lgkmcnt(0)
	s_barrier
	buffer_gl0_inv
	s_and_saveexec_b32 s19, s10
	s_cbranch_execz .LBB325_412
; %bb.411:                              ;   in Loop: Header=BB325_20 Depth=1
	ds_read_b32 v5, v66
	v_and_b32_e32 v6, 3, v86
	v_cmp_ne_u32_e32 vcc_lo, 0, v6
	s_waitcnt lgkmcnt(0)
	v_mov_b32_dpp v7, v5 row_shr:1 row_mask:0xf bank_mask:0xf
	v_cndmask_b32_e32 v7, 0, v7, vcc_lo
	v_cmp_lt_u32_e32 vcc_lo, 1, v6
	v_add_nc_u32_e32 v5, v7, v5
	v_mov_b32_dpp v7, v5 row_shr:2 row_mask:0xf bank_mask:0xf
	v_cndmask_b32_e32 v6, 0, v7, vcc_lo
	v_add_nc_u32_e32 v5, v5, v6
	ds_write_b32 v66, v5
.LBB325_412:                            ;   in Loop: Header=BB325_20 Depth=1
	s_or_b32 exec_lo, exec_lo, s19
	v_mov_b32_e32 v5, 0
	s_waitcnt lgkmcnt(0)
	s_barrier
	buffer_gl0_inv
	s_and_saveexec_b32 s19, s11
; %bb.413:                              ;   in Loop: Header=BB325_20 Depth=1
	ds_read_b32 v5, v67
; %bb.414:                              ;   in Loop: Header=BB325_20 Depth=1
	s_or_b32 exec_lo, exec_lo, s19
	v_sub_co_u32 v6, s19, v86, 1
	s_waitcnt lgkmcnt(0)
	v_add_nc_u32_e32 v3, v5, v3
	s_barrier
	v_cmp_gt_i32_e32 vcc_lo, 0, v6
	buffer_gl0_inv
	v_cndmask_b32_e32 v6, v6, v86, vcc_lo
	v_lshlrev_b32_e32 v94, 2, v6
	ds_bpermute_b32 v3, v94, v3
	s_and_saveexec_b32 s20, s8
	s_cbranch_execz .LBB325_416
; %bb.415:                              ;   in Loop: Header=BB325_20 Depth=1
	s_waitcnt lgkmcnt(0)
	v_cndmask_b32_e64 v3, v3, v5, s19
	v_add_nc_u32_e32 v3, s58, v3
	ds_write_b32 v43, v3
.LBB325_416:                            ;   in Loop: Header=BB325_20 Depth=1
	s_or_b32 exec_lo, exec_lo, s20
	s_load_dwordx2 s[20:21], s[56:57], 0x0
	v_and_b32_e32 v6, 7, v86
	v_lshlrev_b32_e32 v7, 3, v86
	v_or_b32_e32 v95, v86, v68
	v_add_co_u32 v96, vcc_lo, v80, v86
	v_add_co_ci_u32_e64 v97, null, 0, v81, vcc_lo
	v_add_co_u32 v98, vcc_lo, v78, v7
	v_add_co_ci_u32_e64 v99, null, 0, v79, vcc_lo
	v_add_nc_u32_e32 v100, 32, v95
	v_add_nc_u32_e32 v101, 64, v95
	;; [unrolled: 1-line block ×8, first 2 shown]
	s_waitcnt lgkmcnt(0)
	s_cmp_lt_u32 s7, s21
	v_add_nc_u32_e32 v108, 0x120, v95
	s_cselect_b32 s21, 14, 20
	v_add_nc_u32_e32 v109, 0x140, v95
	s_add_u32 s22, s56, s21
	s_addc_u32 s23, s57, 0
	s_cmp_lt_u32 s6, s20
	global_load_ushort v3, v4, s[22:23]
	s_cselect_b32 s20, 12, 18
	v_add_nc_u32_e32 v110, 0x160, v95
	s_add_u32 s20, s56, s20
	s_addc_u32 s21, s57, 0
	v_add_nc_u32_e32 v111, 0x180, v95
	global_load_ushort v5, v4, s[20:21]
	v_cmp_eq_u32_e64 s20, 0, v6
	v_cmp_lt_u32_e64 s21, 1, v6
	v_cmp_lt_u32_e64 s22, 3, v6
	v_add_nc_u32_e32 v112, 0x1a0, v95
	v_add_nc_u32_e32 v113, 0x1c0, v95
	;; [unrolled: 1-line block ×4, first 2 shown]
	v_mov_b32_e32 v117, 0
	s_mov_b32 s63, s60
	s_mov_b32 s50, s58
                                        ; implicit-def: $vgpr7_vgpr8
                                        ; implicit-def: $vgpr9_vgpr10
                                        ; implicit-def: $vgpr11_vgpr12
                                        ; implicit-def: $vgpr13_vgpr14
                                        ; implicit-def: $vgpr15_vgpr16
                                        ; implicit-def: $vgpr19_vgpr20
                                        ; implicit-def: $vgpr23_vgpr24
                                        ; implicit-def: $vgpr27_vgpr28
                                        ; implicit-def: $vgpr17_vgpr18
                                        ; implicit-def: $vgpr21_vgpr22
                                        ; implicit-def: $vgpr25_vgpr26
                                        ; implicit-def: $vgpr29_vgpr30
                                        ; implicit-def: $vgpr31_vgpr32
                                        ; implicit-def: $vgpr33_vgpr34
                                        ; implicit-def: $vgpr35_vgpr36
                                        ; implicit-def: $vgpr37_vgpr38
                                        ; implicit-def: $vgpr118
                                        ; implicit-def: $vgpr119
                                        ; implicit-def: $vgpr120
                                        ; implicit-def: $vgpr121
                                        ; implicit-def: $vgpr122
                                        ; implicit-def: $vgpr123
                                        ; implicit-def: $vgpr124
                                        ; implicit-def: $vgpr125
                                        ; implicit-def: $vgpr126
                                        ; implicit-def: $vgpr127
                                        ; implicit-def: $vgpr128
                                        ; implicit-def: $vgpr129
                                        ; implicit-def: $vgpr130
                                        ; implicit-def: $vgpr131
                                        ; implicit-def: $vgpr132
                                        ; implicit-def: $vgpr133
                                        ; implicit-def: $vgpr134
                                        ; implicit-def: $vgpr135
                                        ; implicit-def: $vgpr136
	s_waitcnt vmcnt(1)
	v_mad_u32_u24 v3, v2, v3, v1
	s_waitcnt vmcnt(0)
	v_mad_u64_u32 v[5:6], null, v3, v5, v[0:1]
	v_lshrrev_b32_e32 v3, 3, v5
                                        ; implicit-def: $vgpr5_vgpr6
	v_and_b32_e32 v116, 0x1ffffffc, v3
	s_branch .LBB325_418
.LBB325_417:                            ;   in Loop: Header=BB325_418 Depth=2
	s_or_b32 exec_lo, exec_lo, s23
	s_addk_i32 s63, 0xef00
	s_cmp_lt_u32 s64, s59
	s_mov_b32 s50, s64
	s_cbranch_scc0 .LBB325_640
.LBB325_418:                            ;   Parent Loop BB325_20 Depth=1
                                        ; =>  This Inner Loop Header: Depth=2
	s_add_i32 s64, s50, 0x1100
	s_cmp_gt_u32 s64, s59
	s_cbranch_scc1 .LBB325_420
; %bb.419:                              ;   in Loop: Header=BB325_418 Depth=2
	v_add_co_u32 v39, vcc_lo, v96, s50
	v_add_co_ci_u32_e64 v40, null, 0, v97, vcc_lo
	s_mov_b32 s23, -1
	s_clause 0xf
	global_load_ubyte v42, v[39:40], off offset:480
	global_load_ubyte v41, v[39:40], off offset:448
	;; [unrolled: 1-line block ×15, first 2 shown]
	global_load_ubyte v146, v[39:40], off
	s_movk_i32 s24, 0x1100
	s_cbranch_execz .LBB325_421
	s_branch .LBB325_439
.LBB325_420:                            ;   in Loop: Header=BB325_418 Depth=2
	s_mov_b32 s23, 0
                                        ; implicit-def: $vgpr146
                                        ; implicit-def: $vgpr147
                                        ; implicit-def: $vgpr148
                                        ; implicit-def: $vgpr151
                                        ; implicit-def: $vgpr150
                                        ; implicit-def: $vgpr143
                                        ; implicit-def: $vgpr144
                                        ; implicit-def: $vgpr145
                                        ; implicit-def: $vgpr142
                                        ; implicit-def: $vgpr139
                                        ; implicit-def: $vgpr140
                                        ; implicit-def: $vgpr141
                                        ; implicit-def: $vgpr137
                                        ; implicit-def: $vgpr3
                                        ; implicit-def: $vgpr41
                                        ; implicit-def: $vgpr42
                                        ; implicit-def: $vgpr117
	s_movk_i32 s24, 0x1100
.LBB325_421:                            ;   in Loop: Header=BB325_418 Depth=2
	v_add_co_u32 v39, vcc_lo, v96, s50
	v_add_co_ci_u32_e64 v40, null, 0, v97, vcc_lo
	v_mov_b32_e32 v117, 0x80
	s_waitcnt vmcnt(0)
	v_mov_b32_e32 v146, 0x80
	v_mov_b32_e32 v147, 0x80
	;; [unrolled: 1-line block ×16, first 2 shown]
	s_mov_b32 s23, exec_lo
	v_cmpx_gt_u32_e64 s63, v95
	s_cbranch_execnz .LBB325_625
; %bb.422:                              ;   in Loop: Header=BB325_418 Depth=2
	s_or_b32 exec_lo, exec_lo, s23
	s_mov_b32 s23, exec_lo
	v_cmpx_gt_u32_e64 s63, v100
	s_cbranch_execnz .LBB325_626
.LBB325_423:                            ;   in Loop: Header=BB325_418 Depth=2
	s_or_b32 exec_lo, exec_lo, s23
	s_mov_b32 s23, exec_lo
	v_cmpx_gt_u32_e64 s63, v101
	s_cbranch_execnz .LBB325_627
.LBB325_424:                            ;   in Loop: Header=BB325_418 Depth=2
	s_or_b32 exec_lo, exec_lo, s23
	s_mov_b32 s23, exec_lo
	v_cmpx_gt_u32_e64 s63, v102
	s_cbranch_execnz .LBB325_628
.LBB325_425:                            ;   in Loop: Header=BB325_418 Depth=2
	s_or_b32 exec_lo, exec_lo, s23
	s_mov_b32 s23, exec_lo
	v_cmpx_gt_u32_e64 s63, v103
	s_cbranch_execnz .LBB325_629
.LBB325_426:                            ;   in Loop: Header=BB325_418 Depth=2
	s_or_b32 exec_lo, exec_lo, s23
	s_mov_b32 s23, exec_lo
	v_cmpx_gt_u32_e64 s63, v104
	s_cbranch_execnz .LBB325_630
.LBB325_427:                            ;   in Loop: Header=BB325_418 Depth=2
	s_or_b32 exec_lo, exec_lo, s23
	s_mov_b32 s23, exec_lo
	v_cmpx_gt_u32_e64 s63, v105
	s_cbranch_execnz .LBB325_631
.LBB325_428:                            ;   in Loop: Header=BB325_418 Depth=2
	s_or_b32 exec_lo, exec_lo, s23
	s_mov_b32 s23, exec_lo
	v_cmpx_gt_u32_e64 s63, v106
	s_cbranch_execnz .LBB325_632
.LBB325_429:                            ;   in Loop: Header=BB325_418 Depth=2
	s_or_b32 exec_lo, exec_lo, s23
	s_mov_b32 s23, exec_lo
	v_cmpx_gt_u32_e64 s63, v107
	s_cbranch_execnz .LBB325_633
.LBB325_430:                            ;   in Loop: Header=BB325_418 Depth=2
	s_or_b32 exec_lo, exec_lo, s23
	s_mov_b32 s23, exec_lo
	v_cmpx_gt_u32_e64 s63, v108
	s_cbranch_execnz .LBB325_634
.LBB325_431:                            ;   in Loop: Header=BB325_418 Depth=2
	s_or_b32 exec_lo, exec_lo, s23
	s_mov_b32 s23, exec_lo
	v_cmpx_gt_u32_e64 s63, v109
	s_cbranch_execnz .LBB325_635
.LBB325_432:                            ;   in Loop: Header=BB325_418 Depth=2
	s_or_b32 exec_lo, exec_lo, s23
	s_mov_b32 s23, exec_lo
	v_cmpx_gt_u32_e64 s63, v110
	s_cbranch_execnz .LBB325_636
.LBB325_433:                            ;   in Loop: Header=BB325_418 Depth=2
	s_or_b32 exec_lo, exec_lo, s23
	s_mov_b32 s23, exec_lo
	v_cmpx_gt_u32_e64 s63, v111
	s_cbranch_execnz .LBB325_637
.LBB325_434:                            ;   in Loop: Header=BB325_418 Depth=2
	s_or_b32 exec_lo, exec_lo, s23
	s_mov_b32 s23, exec_lo
	v_cmpx_gt_u32_e64 s63, v112
	s_cbranch_execnz .LBB325_638
.LBB325_435:                            ;   in Loop: Header=BB325_418 Depth=2
	s_or_b32 exec_lo, exec_lo, s23
	s_mov_b32 s23, exec_lo
	v_cmpx_gt_u32_e64 s63, v113
	s_cbranch_execnz .LBB325_639
.LBB325_436:                            ;   in Loop: Header=BB325_418 Depth=2
	s_or_b32 exec_lo, exec_lo, s23
	s_mov_b32 s23, exec_lo
	v_cmpx_gt_u32_e64 s63, v114
	s_cbranch_execz .LBB325_438
.LBB325_437:                            ;   in Loop: Header=BB325_418 Depth=2
	global_load_ubyte v42, v[39:40], off offset:480
.LBB325_438:                            ;   in Loop: Header=BB325_418 Depth=2
	s_or_b32 exec_lo, exec_lo, s23
	v_cmp_gt_u32_e64 s23, s63, v115
	s_sub_i32 s24, s59, s50
.LBB325_439:                            ;   in Loop: Header=BB325_418 Depth=2
	v_mov_b32_e32 v138, s63
	s_and_saveexec_b32 s25, s23
	s_cbranch_execz .LBB325_441
; %bb.440:                              ;   in Loop: Header=BB325_418 Depth=2
	v_add_co_u32 v39, vcc_lo, v96, s50
	v_add_co_ci_u32_e64 v40, null, s51, v97, vcc_lo
	v_mov_b32_e32 v138, s24
	global_load_ubyte v117, v[39:40], off offset:512
.LBB325_441:                            ;   in Loop: Header=BB325_418 Depth=2
	s_or_b32 exec_lo, exec_lo, s25
	s_waitcnt vmcnt(0)
	v_xor_b32_e32 v39, 0x7f, v146
	ds_write2_b32 v69, v4, v4 offset0:136 offset1:137
	ds_write2_b32 v69, v4, v4 offset0:138 offset1:139
	ds_write_b32 v69, v4 offset:560
	s_waitcnt lgkmcnt(0)
	s_barrier
	v_and_b32_sdwa v40, v92, v39 dst_sel:DWORD dst_unused:UNUSED_PAD src0_sel:DWORD src1_sel:BYTE_0
	buffer_gl0_inv
	; wave barrier
	v_lshrrev_b32_e32 v40, s61, v40
	v_and_b32_e32 v149, s62, v40
	v_and_b32_e32 v40, 1, v149
	v_lshlrev_b32_e32 v146, 30, v149
	v_lshlrev_b32_e32 v152, 29, v149
	;; [unrolled: 1-line block ×4, first 2 shown]
	v_add_co_u32 v40, s23, v40, -1
	v_cndmask_b32_e64 v153, 0, 1, s23
	v_not_b32_e32 v157, v146
	v_cmp_gt_i32_e64 s23, 0, v146
	v_not_b32_e32 v146, v152
	v_lshlrev_b32_e32 v156, 26, v149
	v_cmp_ne_u32_e32 vcc_lo, 0, v153
	v_ashrrev_i32_e32 v157, 31, v157
	v_lshlrev_b32_e32 v153, 25, v149
	v_ashrrev_i32_e32 v146, 31, v146
	v_mul_u32_u24_e32 v149, 36, v149
	v_xor_b32_e32 v40, vcc_lo, v40
	v_cmp_gt_i32_e32 vcc_lo, 0, v152
	v_not_b32_e32 v152, v154
	v_xor_b32_e32 v157, s23, v157
	v_cmp_gt_i32_e64 s23, 0, v154
	v_and_b32_e32 v40, exec_lo, v40
	v_not_b32_e32 v154, v155
	v_ashrrev_i32_e32 v152, 31, v152
	v_xor_b32_e32 v146, vcc_lo, v146
	v_cmp_gt_i32_e32 vcc_lo, 0, v155
	v_and_b32_e32 v40, v40, v157
	v_not_b32_e32 v155, v156
	v_ashrrev_i32_e32 v154, 31, v154
	v_xor_b32_e32 v152, s23, v152
	v_cmp_gt_i32_e64 s23, 0, v156
	v_and_b32_e32 v40, v40, v146
	v_not_b32_e32 v146, v153
	v_ashrrev_i32_e32 v155, 31, v155
	v_xor_b32_e32 v154, vcc_lo, v154
	v_cmp_gt_i32_e32 vcc_lo, 0, v153
	v_and_b32_e32 v40, v40, v152
	v_ashrrev_i32_e32 v146, 31, v146
	v_xor_b32_e32 v152, s23, v155
	v_add_nc_u32_e32 v149, v116, v149
	v_and_b32_e32 v40, v40, v154
	v_xor_b32_e32 v146, vcc_lo, v146
	v_and_b32_e32 v40, v40, v152
	v_and_b32_e32 v40, v40, v146
	v_mbcnt_lo_u32_b32 v146, v40, 0
	v_cmp_ne_u32_e64 s23, 0, v40
	v_cmp_eq_u32_e32 vcc_lo, 0, v146
	s_and_b32 s24, s23, vcc_lo
	s_and_saveexec_b32 s23, s24
; %bb.442:                              ;   in Loop: Header=BB325_418 Depth=2
	v_bcnt_u32_b32 v40, v40, 0
	ds_write_b32 v149, v40 offset:544
; %bb.443:                              ;   in Loop: Header=BB325_418 Depth=2
	s_or_b32 exec_lo, exec_lo, s23
	v_xor_b32_sdwa v40, v147, v93 dst_sel:BYTE_1 dst_unused:UNUSED_PAD src0_sel:DWORD src1_sel:DWORD
	v_xor_b32_e32 v148, 0x7f, v148
	v_xor_b32_sdwa v151, v151, v93 dst_sel:BYTE_1 dst_unused:UNUSED_PAD src0_sel:DWORD src1_sel:DWORD
	; wave barrier
	v_or_b32_sdwa v147, v39, v40 dst_sel:DWORD dst_unused:UNUSED_PAD src0_sel:BYTE_0 src1_sel:DWORD
	v_or_b32_sdwa v39, v148, v151 dst_sel:WORD_1 dst_unused:UNUSED_PAD src0_sel:BYTE_0 src1_sel:DWORD
	v_or_b32_sdwa v148, v147, v39 dst_sel:DWORD dst_unused:UNUSED_PAD src0_sel:WORD_0 src1_sel:DWORD
	v_lshrrev_b32_sdwa v39, s61, v148 dst_sel:DWORD dst_unused:UNUSED_PAD src0_sel:DWORD src1_sel:BYTE_1
	v_and_b32_e32 v40, s62, v39
	v_and_b32_e32 v39, 1, v40
	v_lshlrev_b32_e32 v151, 30, v40
	v_lshlrev_b32_e32 v152, 29, v40
	;; [unrolled: 1-line block ×4, first 2 shown]
	v_add_co_u32 v39, s23, v39, -1
	v_cndmask_b32_e64 v153, 0, 1, s23
	v_not_b32_e32 v157, v151
	v_cmp_gt_i32_e64 s23, 0, v151
	v_not_b32_e32 v151, v152
	v_lshlrev_b32_e32 v156, 26, v40
	v_cmp_ne_u32_e32 vcc_lo, 0, v153
	v_ashrrev_i32_e32 v157, 31, v157
	v_lshlrev_b32_e32 v153, 25, v40
	v_ashrrev_i32_e32 v151, 31, v151
	v_xor_b32_e32 v39, vcc_lo, v39
	v_cmp_gt_i32_e32 vcc_lo, 0, v152
	v_not_b32_e32 v152, v154
	v_xor_b32_e32 v157, s23, v157
	v_cmp_gt_i32_e64 s23, 0, v154
	v_and_b32_e32 v39, exec_lo, v39
	v_not_b32_e32 v154, v155
	v_ashrrev_i32_e32 v152, 31, v152
	v_xor_b32_e32 v151, vcc_lo, v151
	v_cmp_gt_i32_e32 vcc_lo, 0, v155
	v_and_b32_e32 v39, v39, v157
	v_not_b32_e32 v155, v156
	v_ashrrev_i32_e32 v154, 31, v154
	v_xor_b32_e32 v152, s23, v152
	v_cmp_gt_i32_e64 s23, 0, v156
	v_and_b32_e32 v39, v39, v151
	v_not_b32_e32 v151, v153
	v_ashrrev_i32_e32 v155, 31, v155
	v_xor_b32_e32 v154, vcc_lo, v154
	v_cmp_gt_i32_e32 vcc_lo, 0, v153
	v_and_b32_e32 v39, v39, v152
	v_ashrrev_i32_e32 v151, 31, v151
	v_xor_b32_e32 v152, s23, v155
	v_mad_u32_u24 v153, v40, 36, v116
	v_mul_u32_u24_e32 v40, 36, v40
	v_and_b32_e32 v39, v39, v154
	v_xor_b32_e32 v154, vcc_lo, v151
	ds_read_b32 v151, v153 offset:544
	v_add_nc_u32_e32 v153, v116, v40
	v_and_b32_e32 v39, v39, v152
	; wave barrier
	v_and_b32_e32 v39, v39, v154
	v_mbcnt_lo_u32_b32 v152, v39, 0
	v_cmp_ne_u32_e64 s23, 0, v39
	v_cmp_eq_u32_e32 vcc_lo, 0, v152
	s_and_b32 s24, s23, vcc_lo
	s_and_saveexec_b32 s23, s24
	s_cbranch_execz .LBB325_445
; %bb.444:                              ;   in Loop: Header=BB325_418 Depth=2
	s_waitcnt lgkmcnt(0)
	v_bcnt_u32_b32 v39, v39, v151
	ds_write_b32 v153, v39 offset:544
.LBB325_445:                            ;   in Loop: Header=BB325_418 Depth=2
	s_or_b32 exec_lo, exec_lo, s23
	v_lshrrev_b32_sdwa v39, s61, v148 dst_sel:DWORD dst_unused:UNUSED_PAD src0_sel:DWORD src1_sel:BYTE_2
	; wave barrier
	v_and_b32_e32 v40, s62, v39
	v_and_b32_e32 v39, 1, v40
	v_lshlrev_b32_e32 v154, 30, v40
	v_lshlrev_b32_e32 v155, 29, v40
	v_lshlrev_b32_e32 v157, 28, v40
	v_lshlrev_b32_e32 v158, 27, v40
	v_add_co_u32 v39, s23, v39, -1
	v_cndmask_b32_e64 v156, 0, 1, s23
	v_not_b32_e32 v160, v154
	v_cmp_gt_i32_e64 s23, 0, v154
	v_not_b32_e32 v154, v155
	v_lshlrev_b32_e32 v159, 26, v40
	v_cmp_ne_u32_e32 vcc_lo, 0, v156
	v_ashrrev_i32_e32 v160, 31, v160
	v_lshlrev_b32_e32 v156, 25, v40
	v_ashrrev_i32_e32 v154, 31, v154
	v_xor_b32_e32 v39, vcc_lo, v39
	v_cmp_gt_i32_e32 vcc_lo, 0, v155
	v_not_b32_e32 v155, v157
	v_xor_b32_e32 v160, s23, v160
	v_cmp_gt_i32_e64 s23, 0, v157
	v_and_b32_e32 v39, exec_lo, v39
	v_not_b32_e32 v157, v158
	v_ashrrev_i32_e32 v155, 31, v155
	v_xor_b32_e32 v154, vcc_lo, v154
	v_cmp_gt_i32_e32 vcc_lo, 0, v158
	v_and_b32_e32 v39, v39, v160
	v_not_b32_e32 v158, v159
	v_ashrrev_i32_e32 v157, 31, v157
	v_xor_b32_e32 v155, s23, v155
	v_cmp_gt_i32_e64 s23, 0, v159
	v_and_b32_e32 v39, v39, v154
	v_not_b32_e32 v154, v156
	v_ashrrev_i32_e32 v158, 31, v158
	v_xor_b32_e32 v157, vcc_lo, v157
	v_cmp_gt_i32_e32 vcc_lo, 0, v156
	v_and_b32_e32 v39, v39, v155
	v_ashrrev_i32_e32 v154, 31, v154
	v_xor_b32_e32 v155, s23, v158
	v_mad_u32_u24 v156, v40, 36, v116
	v_mul_u32_u24_e32 v40, 36, v40
	v_and_b32_e32 v39, v39, v157
	v_xor_b32_e32 v157, vcc_lo, v154
	ds_read_b32 v154, v156 offset:544
	v_and_b32_e32 v39, v39, v155
	; wave barrier
	v_and_b32_e32 v39, v39, v157
	v_add_nc_u32_e32 v157, v116, v40
	v_mbcnt_lo_u32_b32 v155, v39, 0
	v_cmp_ne_u32_e64 s23, 0, v39
	v_cmp_eq_u32_e32 vcc_lo, 0, v155
	s_and_b32 s24, s23, vcc_lo
	s_and_saveexec_b32 s23, s24
	s_cbranch_execz .LBB325_447
; %bb.446:                              ;   in Loop: Header=BB325_418 Depth=2
	s_waitcnt lgkmcnt(0)
	v_bcnt_u32_b32 v39, v39, v154
	ds_write_b32 v157, v39 offset:544
.LBB325_447:                            ;   in Loop: Header=BB325_418 Depth=2
	s_or_b32 exec_lo, exec_lo, s23
	v_lshrrev_b32_e32 v156, 24, v148
	; wave barrier
	v_lshrrev_b32_e32 v39, s61, v156
	v_and_b32_e32 v40, s62, v39
	v_and_b32_e32 v39, 1, v40
	v_lshlrev_b32_e32 v158, 30, v40
	v_lshlrev_b32_e32 v159, 29, v40
	;; [unrolled: 1-line block ×4, first 2 shown]
	v_add_co_u32 v39, s23, v39, -1
	v_cndmask_b32_e64 v160, 0, 1, s23
	v_not_b32_e32 v164, v158
	v_cmp_gt_i32_e64 s23, 0, v158
	v_not_b32_e32 v158, v159
	v_lshlrev_b32_e32 v163, 26, v40
	v_cmp_ne_u32_e32 vcc_lo, 0, v160
	v_ashrrev_i32_e32 v164, 31, v164
	v_lshlrev_b32_e32 v160, 25, v40
	v_ashrrev_i32_e32 v158, 31, v158
	v_xor_b32_e32 v39, vcc_lo, v39
	v_cmp_gt_i32_e32 vcc_lo, 0, v159
	v_not_b32_e32 v159, v161
	v_xor_b32_e32 v164, s23, v164
	v_cmp_gt_i32_e64 s23, 0, v161
	v_and_b32_e32 v39, exec_lo, v39
	v_not_b32_e32 v161, v162
	v_ashrrev_i32_e32 v159, 31, v159
	v_xor_b32_e32 v158, vcc_lo, v158
	v_cmp_gt_i32_e32 vcc_lo, 0, v162
	v_and_b32_e32 v39, v39, v164
	v_not_b32_e32 v162, v163
	v_ashrrev_i32_e32 v161, 31, v161
	v_xor_b32_e32 v159, s23, v159
	v_cmp_gt_i32_e64 s23, 0, v163
	v_and_b32_e32 v39, v39, v158
	v_not_b32_e32 v158, v160
	v_ashrrev_i32_e32 v162, 31, v162
	v_xor_b32_e32 v161, vcc_lo, v161
	v_cmp_gt_i32_e32 vcc_lo, 0, v160
	v_and_b32_e32 v39, v39, v159
	v_ashrrev_i32_e32 v158, 31, v158
	v_xor_b32_e32 v159, s23, v162
	v_mad_u32_u24 v160, v40, 36, v116
	v_mul_u32_u24_e32 v40, 36, v40
	v_and_b32_e32 v39, v39, v161
	v_xor_b32_e32 v161, vcc_lo, v158
	ds_read_b32 v158, v160 offset:544
	v_add_nc_u32_e32 v160, v116, v40
	v_and_b32_e32 v39, v39, v159
	; wave barrier
	v_and_b32_e32 v39, v39, v161
	v_mbcnt_lo_u32_b32 v159, v39, 0
	v_cmp_ne_u32_e64 s23, 0, v39
	v_cmp_eq_u32_e32 vcc_lo, 0, v159
	s_and_b32 s24, s23, vcc_lo
	s_and_saveexec_b32 s23, s24
	s_cbranch_execz .LBB325_449
; %bb.448:                              ;   in Loop: Header=BB325_418 Depth=2
	s_waitcnt lgkmcnt(0)
	v_bcnt_u32_b32 v39, v39, v158
	ds_write_b32 v160, v39 offset:544
.LBB325_449:                            ;   in Loop: Header=BB325_418 Depth=2
	s_or_b32 exec_lo, exec_lo, s23
	v_xor_b32_e32 v39, 0x7f, v150
	; wave barrier
	v_and_b32_sdwa v40, v92, v39 dst_sel:DWORD dst_unused:UNUSED_PAD src0_sel:DWORD src1_sel:BYTE_0
	v_lshrrev_b32_e32 v40, s61, v40
	v_and_b32_e32 v162, s62, v40
	v_and_b32_e32 v40, 1, v162
	v_lshlrev_b32_e32 v150, 30, v162
	v_lshlrev_b32_e32 v161, 29, v162
	;; [unrolled: 1-line block ×4, first 2 shown]
	v_add_co_u32 v40, s23, v40, -1
	v_cndmask_b32_e64 v163, 0, 1, s23
	v_not_b32_e32 v167, v150
	v_cmp_gt_i32_e64 s23, 0, v150
	v_not_b32_e32 v150, v161
	v_lshlrev_b32_e32 v166, 26, v162
	v_cmp_ne_u32_e32 vcc_lo, 0, v163
	v_ashrrev_i32_e32 v167, 31, v167
	v_lshlrev_b32_e32 v163, 25, v162
	v_ashrrev_i32_e32 v150, 31, v150
	v_xor_b32_e32 v40, vcc_lo, v40
	v_cmp_gt_i32_e32 vcc_lo, 0, v161
	v_not_b32_e32 v161, v164
	v_xor_b32_e32 v167, s23, v167
	v_cmp_gt_i32_e64 s23, 0, v164
	v_and_b32_e32 v40, exec_lo, v40
	v_not_b32_e32 v164, v165
	v_ashrrev_i32_e32 v161, 31, v161
	v_xor_b32_e32 v150, vcc_lo, v150
	v_cmp_gt_i32_e32 vcc_lo, 0, v165
	v_and_b32_e32 v40, v40, v167
	v_not_b32_e32 v165, v166
	v_ashrrev_i32_e32 v164, 31, v164
	v_xor_b32_e32 v161, s23, v161
	v_cmp_gt_i32_e64 s23, 0, v166
	v_and_b32_e32 v40, v40, v150
	v_not_b32_e32 v150, v163
	v_ashrrev_i32_e32 v165, 31, v165
	v_xor_b32_e32 v164, vcc_lo, v164
	v_cmp_gt_i32_e32 vcc_lo, 0, v163
	v_and_b32_e32 v40, v40, v161
	v_ashrrev_i32_e32 v150, 31, v150
	v_xor_b32_e32 v161, s23, v165
	v_mad_u32_u24 v163, v162, 36, v116
	v_mul_u32_u24_e32 v162, 36, v162
	v_and_b32_e32 v40, v40, v164
	v_xor_b32_e32 v164, vcc_lo, v150
	ds_read_b32 v150, v163 offset:544
	v_add_nc_u32_e32 v162, v116, v162
	v_and_b32_e32 v40, v40, v161
	; wave barrier
	v_and_b32_e32 v40, v40, v164
	v_mbcnt_lo_u32_b32 v161, v40, 0
	v_cmp_ne_u32_e64 s23, 0, v40
	v_cmp_eq_u32_e32 vcc_lo, 0, v161
	s_and_b32 s24, s23, vcc_lo
	s_and_saveexec_b32 s23, s24
	s_cbranch_execz .LBB325_451
; %bb.450:                              ;   in Loop: Header=BB325_418 Depth=2
	s_waitcnt lgkmcnt(0)
	v_bcnt_u32_b32 v40, v40, v150
	ds_write_b32 v162, v40 offset:544
.LBB325_451:                            ;   in Loop: Header=BB325_418 Depth=2
	s_or_b32 exec_lo, exec_lo, s23
	v_xor_b32_sdwa v40, v143, v93 dst_sel:BYTE_1 dst_unused:UNUSED_PAD src0_sel:DWORD src1_sel:DWORD
	v_xor_b32_e32 v144, 0x7f, v144
	v_xor_b32_sdwa v145, v145, v93 dst_sel:BYTE_1 dst_unused:UNUSED_PAD src0_sel:DWORD src1_sel:DWORD
	; wave barrier
	v_or_b32_sdwa v143, v39, v40 dst_sel:DWORD dst_unused:UNUSED_PAD src0_sel:BYTE_0 src1_sel:DWORD
	v_or_b32_sdwa v39, v144, v145 dst_sel:WORD_1 dst_unused:UNUSED_PAD src0_sel:BYTE_0 src1_sel:DWORD
	v_or_b32_sdwa v144, v143, v39 dst_sel:DWORD dst_unused:UNUSED_PAD src0_sel:WORD_0 src1_sel:DWORD
	v_lshrrev_b32_sdwa v39, s61, v144 dst_sel:DWORD dst_unused:UNUSED_PAD src0_sel:DWORD src1_sel:BYTE_1
	v_and_b32_e32 v40, s62, v39
	v_and_b32_e32 v39, 1, v40
	v_lshlrev_b32_e32 v145, 30, v40
	v_lshlrev_b32_e32 v163, 29, v40
	;; [unrolled: 1-line block ×4, first 2 shown]
	v_add_co_u32 v39, s23, v39, -1
	v_cndmask_b32_e64 v164, 0, 1, s23
	v_not_b32_e32 v168, v145
	v_cmp_gt_i32_e64 s23, 0, v145
	v_not_b32_e32 v145, v163
	v_lshlrev_b32_e32 v167, 26, v40
	v_cmp_ne_u32_e32 vcc_lo, 0, v164
	v_ashrrev_i32_e32 v168, 31, v168
	v_lshlrev_b32_e32 v164, 25, v40
	v_ashrrev_i32_e32 v145, 31, v145
	v_xor_b32_e32 v39, vcc_lo, v39
	v_cmp_gt_i32_e32 vcc_lo, 0, v163
	v_not_b32_e32 v163, v165
	v_xor_b32_e32 v168, s23, v168
	v_cmp_gt_i32_e64 s23, 0, v165
	v_and_b32_e32 v39, exec_lo, v39
	v_not_b32_e32 v165, v166
	v_ashrrev_i32_e32 v163, 31, v163
	v_xor_b32_e32 v145, vcc_lo, v145
	v_cmp_gt_i32_e32 vcc_lo, 0, v166
	v_and_b32_e32 v39, v39, v168
	v_not_b32_e32 v166, v167
	v_ashrrev_i32_e32 v165, 31, v165
	v_xor_b32_e32 v163, s23, v163
	v_cmp_gt_i32_e64 s23, 0, v167
	v_and_b32_e32 v39, v39, v145
	v_not_b32_e32 v145, v164
	v_ashrrev_i32_e32 v166, 31, v166
	v_xor_b32_e32 v165, vcc_lo, v165
	v_cmp_gt_i32_e32 vcc_lo, 0, v164
	v_and_b32_e32 v39, v39, v163
	v_ashrrev_i32_e32 v145, 31, v145
	v_xor_b32_e32 v163, s23, v166
	v_mad_u32_u24 v164, v40, 36, v116
	v_mul_u32_u24_e32 v40, 36, v40
	v_and_b32_e32 v39, v39, v165
	v_xor_b32_e32 v165, vcc_lo, v145
	ds_read_b32 v145, v164 offset:544
	v_add_nc_u32_e32 v164, v116, v40
	v_and_b32_e32 v39, v39, v163
	; wave barrier
	v_and_b32_e32 v39, v39, v165
	v_mbcnt_lo_u32_b32 v163, v39, 0
	v_cmp_ne_u32_e64 s23, 0, v39
	v_cmp_eq_u32_e32 vcc_lo, 0, v163
	s_and_b32 s24, s23, vcc_lo
	s_and_saveexec_b32 s23, s24
	s_cbranch_execz .LBB325_453
; %bb.452:                              ;   in Loop: Header=BB325_418 Depth=2
	s_waitcnt lgkmcnt(0)
	v_bcnt_u32_b32 v39, v39, v145
	ds_write_b32 v164, v39 offset:544
.LBB325_453:                            ;   in Loop: Header=BB325_418 Depth=2
	s_or_b32 exec_lo, exec_lo, s23
	v_lshrrev_b32_sdwa v39, s61, v144 dst_sel:DWORD dst_unused:UNUSED_PAD src0_sel:DWORD src1_sel:BYTE_2
	; wave barrier
	v_and_b32_e32 v40, s62, v39
	v_and_b32_e32 v39, 1, v40
	v_lshlrev_b32_e32 v165, 30, v40
	v_lshlrev_b32_e32 v166, 29, v40
	;; [unrolled: 1-line block ×4, first 2 shown]
	v_add_co_u32 v39, s23, v39, -1
	v_cndmask_b32_e64 v167, 0, 1, s23
	v_not_b32_e32 v171, v165
	v_cmp_gt_i32_e64 s23, 0, v165
	v_not_b32_e32 v165, v166
	v_lshlrev_b32_e32 v170, 26, v40
	v_cmp_ne_u32_e32 vcc_lo, 0, v167
	v_ashrrev_i32_e32 v171, 31, v171
	v_lshlrev_b32_e32 v167, 25, v40
	v_ashrrev_i32_e32 v165, 31, v165
	v_xor_b32_e32 v39, vcc_lo, v39
	v_cmp_gt_i32_e32 vcc_lo, 0, v166
	v_not_b32_e32 v166, v168
	v_xor_b32_e32 v171, s23, v171
	v_cmp_gt_i32_e64 s23, 0, v168
	v_and_b32_e32 v39, exec_lo, v39
	v_not_b32_e32 v168, v169
	v_ashrrev_i32_e32 v166, 31, v166
	v_xor_b32_e32 v165, vcc_lo, v165
	v_cmp_gt_i32_e32 vcc_lo, 0, v169
	v_and_b32_e32 v39, v39, v171
	v_not_b32_e32 v169, v170
	v_ashrrev_i32_e32 v168, 31, v168
	v_xor_b32_e32 v166, s23, v166
	v_cmp_gt_i32_e64 s23, 0, v170
	v_and_b32_e32 v39, v39, v165
	v_not_b32_e32 v165, v167
	v_ashrrev_i32_e32 v169, 31, v169
	v_xor_b32_e32 v168, vcc_lo, v168
	v_cmp_gt_i32_e32 vcc_lo, 0, v167
	v_and_b32_e32 v39, v39, v166
	v_ashrrev_i32_e32 v165, 31, v165
	v_xor_b32_e32 v166, s23, v169
	v_mad_u32_u24 v167, v40, 36, v116
	v_mul_u32_u24_e32 v40, 36, v40
	v_and_b32_e32 v39, v39, v168
	v_xor_b32_e32 v168, vcc_lo, v165
	ds_read_b32 v165, v167 offset:544
	v_and_b32_e32 v39, v39, v166
	; wave barrier
	v_and_b32_e32 v39, v39, v168
	v_add_nc_u32_e32 v168, v116, v40
	v_mbcnt_lo_u32_b32 v166, v39, 0
	v_cmp_ne_u32_e64 s23, 0, v39
	v_cmp_eq_u32_e32 vcc_lo, 0, v166
	s_and_b32 s24, s23, vcc_lo
	s_and_saveexec_b32 s23, s24
	s_cbranch_execz .LBB325_455
; %bb.454:                              ;   in Loop: Header=BB325_418 Depth=2
	s_waitcnt lgkmcnt(0)
	v_bcnt_u32_b32 v39, v39, v165
	ds_write_b32 v168, v39 offset:544
.LBB325_455:                            ;   in Loop: Header=BB325_418 Depth=2
	s_or_b32 exec_lo, exec_lo, s23
	v_lshrrev_b32_e32 v167, 24, v144
	; wave barrier
	v_lshrrev_b32_e32 v39, s61, v167
	v_and_b32_e32 v40, s62, v39
	v_and_b32_e32 v39, 1, v40
	v_lshlrev_b32_e32 v169, 30, v40
	v_lshlrev_b32_e32 v170, 29, v40
	v_lshlrev_b32_e32 v172, 28, v40
	v_lshlrev_b32_e32 v173, 27, v40
	v_add_co_u32 v39, s23, v39, -1
	v_cndmask_b32_e64 v171, 0, 1, s23
	v_not_b32_e32 v175, v169
	v_cmp_gt_i32_e64 s23, 0, v169
	v_not_b32_e32 v169, v170
	v_lshlrev_b32_e32 v174, 26, v40
	v_cmp_ne_u32_e32 vcc_lo, 0, v171
	v_ashrrev_i32_e32 v175, 31, v175
	v_lshlrev_b32_e32 v171, 25, v40
	v_ashrrev_i32_e32 v169, 31, v169
	v_xor_b32_e32 v39, vcc_lo, v39
	v_cmp_gt_i32_e32 vcc_lo, 0, v170
	v_not_b32_e32 v170, v172
	v_xor_b32_e32 v175, s23, v175
	v_cmp_gt_i32_e64 s23, 0, v172
	v_and_b32_e32 v39, exec_lo, v39
	v_not_b32_e32 v172, v173
	v_ashrrev_i32_e32 v170, 31, v170
	v_xor_b32_e32 v169, vcc_lo, v169
	v_cmp_gt_i32_e32 vcc_lo, 0, v173
	v_and_b32_e32 v39, v39, v175
	v_not_b32_e32 v173, v174
	v_ashrrev_i32_e32 v172, 31, v172
	v_xor_b32_e32 v170, s23, v170
	v_cmp_gt_i32_e64 s23, 0, v174
	v_and_b32_e32 v39, v39, v169
	v_not_b32_e32 v169, v171
	v_ashrrev_i32_e32 v173, 31, v173
	v_xor_b32_e32 v172, vcc_lo, v172
	v_cmp_gt_i32_e32 vcc_lo, 0, v171
	v_and_b32_e32 v39, v39, v170
	v_ashrrev_i32_e32 v169, 31, v169
	v_xor_b32_e32 v170, s23, v173
	v_mad_u32_u24 v171, v40, 36, v116
	v_mul_u32_u24_e32 v40, 36, v40
	v_and_b32_e32 v39, v39, v172
	v_xor_b32_e32 v172, vcc_lo, v169
	ds_read_b32 v169, v171 offset:544
	v_add_nc_u32_e32 v171, v116, v40
	v_and_b32_e32 v39, v39, v170
	; wave barrier
	v_and_b32_e32 v39, v39, v172
	v_mbcnt_lo_u32_b32 v170, v39, 0
	v_cmp_ne_u32_e64 s23, 0, v39
	v_cmp_eq_u32_e32 vcc_lo, 0, v170
	s_and_b32 s24, s23, vcc_lo
	s_and_saveexec_b32 s23, s24
	s_cbranch_execz .LBB325_457
; %bb.456:                              ;   in Loop: Header=BB325_418 Depth=2
	s_waitcnt lgkmcnt(0)
	v_bcnt_u32_b32 v39, v39, v169
	ds_write_b32 v171, v39 offset:544
.LBB325_457:                            ;   in Loop: Header=BB325_418 Depth=2
	s_or_b32 exec_lo, exec_lo, s23
	v_xor_b32_e32 v39, 0x7f, v142
	; wave barrier
	v_and_b32_sdwa v40, v92, v39 dst_sel:DWORD dst_unused:UNUSED_PAD src0_sel:DWORD src1_sel:BYTE_0
	v_lshrrev_b32_e32 v40, s61, v40
	v_and_b32_e32 v173, s62, v40
	v_and_b32_e32 v40, 1, v173
	v_lshlrev_b32_e32 v142, 30, v173
	v_lshlrev_b32_e32 v172, 29, v173
	;; [unrolled: 1-line block ×4, first 2 shown]
	v_add_co_u32 v40, s23, v40, -1
	v_cndmask_b32_e64 v174, 0, 1, s23
	v_not_b32_e32 v178, v142
	v_cmp_gt_i32_e64 s23, 0, v142
	v_not_b32_e32 v142, v172
	v_lshlrev_b32_e32 v177, 26, v173
	v_cmp_ne_u32_e32 vcc_lo, 0, v174
	v_ashrrev_i32_e32 v178, 31, v178
	v_lshlrev_b32_e32 v174, 25, v173
	v_ashrrev_i32_e32 v142, 31, v142
	v_xor_b32_e32 v40, vcc_lo, v40
	v_cmp_gt_i32_e32 vcc_lo, 0, v172
	v_not_b32_e32 v172, v175
	v_xor_b32_e32 v178, s23, v178
	v_cmp_gt_i32_e64 s23, 0, v175
	v_and_b32_e32 v40, exec_lo, v40
	v_not_b32_e32 v175, v176
	v_ashrrev_i32_e32 v172, 31, v172
	v_xor_b32_e32 v142, vcc_lo, v142
	v_cmp_gt_i32_e32 vcc_lo, 0, v176
	v_and_b32_e32 v40, v40, v178
	v_not_b32_e32 v176, v177
	v_ashrrev_i32_e32 v175, 31, v175
	v_xor_b32_e32 v172, s23, v172
	v_cmp_gt_i32_e64 s23, 0, v177
	v_and_b32_e32 v40, v40, v142
	v_not_b32_e32 v142, v174
	v_ashrrev_i32_e32 v176, 31, v176
	v_xor_b32_e32 v175, vcc_lo, v175
	v_cmp_gt_i32_e32 vcc_lo, 0, v174
	v_and_b32_e32 v40, v40, v172
	v_ashrrev_i32_e32 v142, 31, v142
	v_xor_b32_e32 v172, s23, v176
	v_mad_u32_u24 v174, v173, 36, v116
	v_mul_u32_u24_e32 v173, 36, v173
	v_and_b32_e32 v40, v40, v175
	v_xor_b32_e32 v175, vcc_lo, v142
	ds_read_b32 v142, v174 offset:544
	v_add_nc_u32_e32 v173, v116, v173
	v_and_b32_e32 v40, v40, v172
	; wave barrier
	v_and_b32_e32 v40, v40, v175
	v_mbcnt_lo_u32_b32 v172, v40, 0
	v_cmp_ne_u32_e64 s23, 0, v40
	v_cmp_eq_u32_e32 vcc_lo, 0, v172
	s_and_b32 s24, s23, vcc_lo
	s_and_saveexec_b32 s23, s24
	s_cbranch_execz .LBB325_459
; %bb.458:                              ;   in Loop: Header=BB325_418 Depth=2
	s_waitcnt lgkmcnt(0)
	v_bcnt_u32_b32 v40, v40, v142
	ds_write_b32 v173, v40 offset:544
.LBB325_459:                            ;   in Loop: Header=BB325_418 Depth=2
	s_or_b32 exec_lo, exec_lo, s23
	v_xor_b32_sdwa v40, v139, v93 dst_sel:BYTE_1 dst_unused:UNUSED_PAD src0_sel:DWORD src1_sel:DWORD
	v_xor_b32_e32 v140, 0x7f, v140
	v_xor_b32_sdwa v141, v141, v93 dst_sel:BYTE_1 dst_unused:UNUSED_PAD src0_sel:DWORD src1_sel:DWORD
	; wave barrier
	v_or_b32_sdwa v139, v39, v40 dst_sel:DWORD dst_unused:UNUSED_PAD src0_sel:BYTE_0 src1_sel:DWORD
	v_or_b32_sdwa v39, v140, v141 dst_sel:WORD_1 dst_unused:UNUSED_PAD src0_sel:BYTE_0 src1_sel:DWORD
	v_or_b32_sdwa v140, v139, v39 dst_sel:DWORD dst_unused:UNUSED_PAD src0_sel:WORD_0 src1_sel:DWORD
	v_lshrrev_b32_sdwa v39, s61, v140 dst_sel:DWORD dst_unused:UNUSED_PAD src0_sel:DWORD src1_sel:BYTE_1
	v_and_b32_e32 v40, s62, v39
	v_and_b32_e32 v39, 1, v40
	v_lshlrev_b32_e32 v141, 30, v40
	v_lshlrev_b32_e32 v174, 29, v40
	;; [unrolled: 1-line block ×4, first 2 shown]
	v_add_co_u32 v39, s23, v39, -1
	v_cndmask_b32_e64 v175, 0, 1, s23
	v_not_b32_e32 v179, v141
	v_cmp_gt_i32_e64 s23, 0, v141
	v_not_b32_e32 v141, v174
	v_lshlrev_b32_e32 v178, 26, v40
	v_cmp_ne_u32_e32 vcc_lo, 0, v175
	v_ashrrev_i32_e32 v179, 31, v179
	v_lshlrev_b32_e32 v175, 25, v40
	v_ashrrev_i32_e32 v141, 31, v141
	v_xor_b32_e32 v39, vcc_lo, v39
	v_cmp_gt_i32_e32 vcc_lo, 0, v174
	v_not_b32_e32 v174, v176
	v_xor_b32_e32 v179, s23, v179
	v_cmp_gt_i32_e64 s23, 0, v176
	v_and_b32_e32 v39, exec_lo, v39
	v_not_b32_e32 v176, v177
	v_ashrrev_i32_e32 v174, 31, v174
	v_xor_b32_e32 v141, vcc_lo, v141
	v_cmp_gt_i32_e32 vcc_lo, 0, v177
	v_and_b32_e32 v39, v39, v179
	v_not_b32_e32 v177, v178
	v_ashrrev_i32_e32 v176, 31, v176
	v_xor_b32_e32 v174, s23, v174
	v_cmp_gt_i32_e64 s23, 0, v178
	v_and_b32_e32 v39, v39, v141
	v_not_b32_e32 v141, v175
	v_ashrrev_i32_e32 v177, 31, v177
	v_xor_b32_e32 v176, vcc_lo, v176
	v_cmp_gt_i32_e32 vcc_lo, 0, v175
	v_and_b32_e32 v39, v39, v174
	v_ashrrev_i32_e32 v141, 31, v141
	v_xor_b32_e32 v174, s23, v177
	v_mad_u32_u24 v175, v40, 36, v116
	v_mul_u32_u24_e32 v40, 36, v40
	v_and_b32_e32 v39, v39, v176
	v_xor_b32_e32 v176, vcc_lo, v141
	ds_read_b32 v141, v175 offset:544
	v_add_nc_u32_e32 v175, v116, v40
	v_and_b32_e32 v39, v39, v174
	; wave barrier
	v_and_b32_e32 v39, v39, v176
	v_mbcnt_lo_u32_b32 v174, v39, 0
	v_cmp_ne_u32_e64 s23, 0, v39
	v_cmp_eq_u32_e32 vcc_lo, 0, v174
	s_and_b32 s24, s23, vcc_lo
	s_and_saveexec_b32 s23, s24
	s_cbranch_execz .LBB325_461
; %bb.460:                              ;   in Loop: Header=BB325_418 Depth=2
	s_waitcnt lgkmcnt(0)
	v_bcnt_u32_b32 v39, v39, v141
	ds_write_b32 v175, v39 offset:544
.LBB325_461:                            ;   in Loop: Header=BB325_418 Depth=2
	s_or_b32 exec_lo, exec_lo, s23
	v_lshrrev_b32_sdwa v39, s61, v140 dst_sel:DWORD dst_unused:UNUSED_PAD src0_sel:DWORD src1_sel:BYTE_2
	; wave barrier
	v_and_b32_e32 v40, s62, v39
	v_and_b32_e32 v39, 1, v40
	v_lshlrev_b32_e32 v176, 30, v40
	v_lshlrev_b32_e32 v177, 29, v40
	;; [unrolled: 1-line block ×4, first 2 shown]
	v_add_co_u32 v39, s23, v39, -1
	v_cndmask_b32_e64 v178, 0, 1, s23
	v_not_b32_e32 v182, v176
	v_cmp_gt_i32_e64 s23, 0, v176
	v_not_b32_e32 v176, v177
	v_lshlrev_b32_e32 v181, 26, v40
	v_cmp_ne_u32_e32 vcc_lo, 0, v178
	v_ashrrev_i32_e32 v182, 31, v182
	v_lshlrev_b32_e32 v178, 25, v40
	v_ashrrev_i32_e32 v176, 31, v176
	v_xor_b32_e32 v39, vcc_lo, v39
	v_cmp_gt_i32_e32 vcc_lo, 0, v177
	v_not_b32_e32 v177, v179
	v_xor_b32_e32 v182, s23, v182
	v_cmp_gt_i32_e64 s23, 0, v179
	v_and_b32_e32 v39, exec_lo, v39
	v_not_b32_e32 v179, v180
	v_ashrrev_i32_e32 v177, 31, v177
	v_xor_b32_e32 v176, vcc_lo, v176
	v_cmp_gt_i32_e32 vcc_lo, 0, v180
	v_and_b32_e32 v39, v39, v182
	v_not_b32_e32 v180, v181
	v_ashrrev_i32_e32 v179, 31, v179
	v_xor_b32_e32 v177, s23, v177
	v_cmp_gt_i32_e64 s23, 0, v181
	v_and_b32_e32 v39, v39, v176
	v_not_b32_e32 v176, v178
	v_ashrrev_i32_e32 v180, 31, v180
	v_xor_b32_e32 v179, vcc_lo, v179
	v_cmp_gt_i32_e32 vcc_lo, 0, v178
	v_and_b32_e32 v39, v39, v177
	v_ashrrev_i32_e32 v176, 31, v176
	v_xor_b32_e32 v177, s23, v180
	v_mad_u32_u24 v178, v40, 36, v116
	v_mul_u32_u24_e32 v40, 36, v40
	v_and_b32_e32 v39, v39, v179
	v_xor_b32_e32 v179, vcc_lo, v176
	ds_read_b32 v176, v178 offset:544
	v_and_b32_e32 v39, v39, v177
	; wave barrier
	v_and_b32_e32 v39, v39, v179
	v_add_nc_u32_e32 v179, v116, v40
	v_mbcnt_lo_u32_b32 v177, v39, 0
	v_cmp_ne_u32_e64 s23, 0, v39
	v_cmp_eq_u32_e32 vcc_lo, 0, v177
	s_and_b32 s24, s23, vcc_lo
	s_and_saveexec_b32 s23, s24
	s_cbranch_execz .LBB325_463
; %bb.462:                              ;   in Loop: Header=BB325_418 Depth=2
	s_waitcnt lgkmcnt(0)
	v_bcnt_u32_b32 v39, v39, v176
	ds_write_b32 v179, v39 offset:544
.LBB325_463:                            ;   in Loop: Header=BB325_418 Depth=2
	s_or_b32 exec_lo, exec_lo, s23
	v_lshrrev_b32_e32 v178, 24, v140
	; wave barrier
	v_lshrrev_b32_e32 v39, s61, v178
	v_and_b32_e32 v40, s62, v39
	v_and_b32_e32 v39, 1, v40
	v_lshlrev_b32_e32 v180, 30, v40
	v_lshlrev_b32_e32 v181, 29, v40
	;; [unrolled: 1-line block ×4, first 2 shown]
	v_add_co_u32 v39, s23, v39, -1
	v_cndmask_b32_e64 v182, 0, 1, s23
	v_not_b32_e32 v186, v180
	v_cmp_gt_i32_e64 s23, 0, v180
	v_not_b32_e32 v180, v181
	v_lshlrev_b32_e32 v185, 26, v40
	v_cmp_ne_u32_e32 vcc_lo, 0, v182
	v_ashrrev_i32_e32 v186, 31, v186
	v_lshlrev_b32_e32 v182, 25, v40
	v_ashrrev_i32_e32 v180, 31, v180
	v_xor_b32_e32 v39, vcc_lo, v39
	v_cmp_gt_i32_e32 vcc_lo, 0, v181
	v_not_b32_e32 v181, v183
	v_xor_b32_e32 v186, s23, v186
	v_cmp_gt_i32_e64 s23, 0, v183
	v_and_b32_e32 v39, exec_lo, v39
	v_not_b32_e32 v183, v184
	v_ashrrev_i32_e32 v181, 31, v181
	v_xor_b32_e32 v180, vcc_lo, v180
	v_cmp_gt_i32_e32 vcc_lo, 0, v184
	v_and_b32_e32 v39, v39, v186
	v_not_b32_e32 v184, v185
	v_ashrrev_i32_e32 v183, 31, v183
	v_xor_b32_e32 v181, s23, v181
	v_cmp_gt_i32_e64 s23, 0, v185
	v_and_b32_e32 v39, v39, v180
	v_not_b32_e32 v180, v182
	v_ashrrev_i32_e32 v184, 31, v184
	v_xor_b32_e32 v183, vcc_lo, v183
	v_cmp_gt_i32_e32 vcc_lo, 0, v182
	v_and_b32_e32 v39, v39, v181
	v_ashrrev_i32_e32 v180, 31, v180
	v_xor_b32_e32 v181, s23, v184
	v_mad_u32_u24 v182, v40, 36, v116
	v_mul_u32_u24_e32 v40, 36, v40
	v_and_b32_e32 v39, v39, v183
	v_xor_b32_e32 v183, vcc_lo, v180
	ds_read_b32 v180, v182 offset:544
	v_add_nc_u32_e32 v182, v116, v40
	v_and_b32_e32 v39, v39, v181
	; wave barrier
	v_and_b32_e32 v39, v39, v183
	v_mbcnt_lo_u32_b32 v181, v39, 0
	v_cmp_ne_u32_e64 s23, 0, v39
	v_cmp_eq_u32_e32 vcc_lo, 0, v181
	s_and_b32 s24, s23, vcc_lo
	s_and_saveexec_b32 s23, s24
	s_cbranch_execz .LBB325_465
; %bb.464:                              ;   in Loop: Header=BB325_418 Depth=2
	s_waitcnt lgkmcnt(0)
	v_bcnt_u32_b32 v39, v39, v180
	ds_write_b32 v182, v39 offset:544
.LBB325_465:                            ;   in Loop: Header=BB325_418 Depth=2
	s_or_b32 exec_lo, exec_lo, s23
	v_xor_b32_e32 v39, 0x7f, v137
	; wave barrier
	v_and_b32_sdwa v40, v92, v39 dst_sel:DWORD dst_unused:UNUSED_PAD src0_sel:DWORD src1_sel:BYTE_0
	v_lshrrev_b32_e32 v40, s61, v40
	v_and_b32_e32 v184, s62, v40
	v_and_b32_e32 v40, 1, v184
	v_lshlrev_b32_e32 v137, 30, v184
	v_lshlrev_b32_e32 v183, 29, v184
	;; [unrolled: 1-line block ×4, first 2 shown]
	v_add_co_u32 v40, s23, v40, -1
	v_cndmask_b32_e64 v185, 0, 1, s23
	v_not_b32_e32 v189, v137
	v_cmp_gt_i32_e64 s23, 0, v137
	v_not_b32_e32 v137, v183
	v_lshlrev_b32_e32 v188, 26, v184
	v_cmp_ne_u32_e32 vcc_lo, 0, v185
	v_ashrrev_i32_e32 v189, 31, v189
	v_lshlrev_b32_e32 v185, 25, v184
	v_ashrrev_i32_e32 v137, 31, v137
	v_xor_b32_e32 v40, vcc_lo, v40
	v_cmp_gt_i32_e32 vcc_lo, 0, v183
	v_not_b32_e32 v183, v186
	v_xor_b32_e32 v189, s23, v189
	v_cmp_gt_i32_e64 s23, 0, v186
	v_and_b32_e32 v40, exec_lo, v40
	v_not_b32_e32 v186, v187
	v_ashrrev_i32_e32 v183, 31, v183
	v_xor_b32_e32 v137, vcc_lo, v137
	v_cmp_gt_i32_e32 vcc_lo, 0, v187
	v_and_b32_e32 v40, v40, v189
	v_not_b32_e32 v187, v188
	v_ashrrev_i32_e32 v186, 31, v186
	v_xor_b32_e32 v183, s23, v183
	v_cmp_gt_i32_e64 s23, 0, v188
	v_and_b32_e32 v40, v40, v137
	v_not_b32_e32 v137, v185
	v_ashrrev_i32_e32 v187, 31, v187
	v_xor_b32_e32 v186, vcc_lo, v186
	v_cmp_gt_i32_e32 vcc_lo, 0, v185
	v_and_b32_e32 v40, v40, v183
	v_ashrrev_i32_e32 v137, 31, v137
	v_xor_b32_e32 v183, s23, v187
	v_mad_u32_u24 v185, v184, 36, v116
	v_mul_u32_u24_e32 v184, 36, v184
	v_and_b32_e32 v40, v40, v186
	v_xor_b32_e32 v186, vcc_lo, v137
	ds_read_b32 v137, v185 offset:544
	v_add_nc_u32_e32 v185, v116, v184
	v_and_b32_e32 v40, v40, v183
	; wave barrier
	v_and_b32_e32 v40, v40, v186
	v_mbcnt_lo_u32_b32 v183, v40, 0
	v_cmp_ne_u32_e64 s23, 0, v40
	v_cmp_eq_u32_e32 vcc_lo, 0, v183
	s_and_b32 s24, s23, vcc_lo
	s_and_saveexec_b32 s23, s24
	s_cbranch_execz .LBB325_467
; %bb.466:                              ;   in Loop: Header=BB325_418 Depth=2
	s_waitcnt lgkmcnt(0)
	v_bcnt_u32_b32 v40, v40, v137
	ds_write_b32 v185, v40 offset:544
.LBB325_467:                            ;   in Loop: Header=BB325_418 Depth=2
	s_or_b32 exec_lo, exec_lo, s23
	v_xor_b32_sdwa v3, v3, v93 dst_sel:BYTE_1 dst_unused:UNUSED_PAD src0_sel:DWORD src1_sel:DWORD
	v_xor_b32_e32 v40, 0x7f, v41
	v_xor_b32_sdwa v41, v42, v93 dst_sel:BYTE_1 dst_unused:UNUSED_PAD src0_sel:DWORD src1_sel:DWORD
	; wave barrier
	v_or_b32_sdwa v184, v39, v3 dst_sel:DWORD dst_unused:UNUSED_PAD src0_sel:BYTE_0 src1_sel:DWORD
	v_or_b32_sdwa v3, v40, v41 dst_sel:WORD_1 dst_unused:UNUSED_PAD src0_sel:BYTE_0 src1_sel:DWORD
	v_or_b32_sdwa v3, v184, v3 dst_sel:DWORD dst_unused:UNUSED_PAD src0_sel:WORD_0 src1_sel:DWORD
	v_lshrrev_b32_sdwa v39, s61, v3 dst_sel:DWORD dst_unused:UNUSED_PAD src0_sel:DWORD src1_sel:BYTE_1
	v_and_b32_e32 v40, s62, v39
	v_and_b32_e32 v39, 1, v40
	v_lshlrev_b32_e32 v41, 30, v40
	v_lshlrev_b32_e32 v42, 29, v40
	;; [unrolled: 1-line block ×4, first 2 shown]
	v_add_co_u32 v39, s23, v39, -1
	v_cndmask_b32_e64 v186, 0, 1, s23
	v_not_b32_e32 v190, v41
	v_cmp_gt_i32_e64 s23, 0, v41
	v_not_b32_e32 v41, v42
	v_lshlrev_b32_e32 v189, 26, v40
	v_cmp_ne_u32_e32 vcc_lo, 0, v186
	v_ashrrev_i32_e32 v190, 31, v190
	v_lshlrev_b32_e32 v186, 25, v40
	v_ashrrev_i32_e32 v41, 31, v41
	v_xor_b32_e32 v39, vcc_lo, v39
	v_cmp_gt_i32_e32 vcc_lo, 0, v42
	v_not_b32_e32 v42, v187
	v_xor_b32_e32 v190, s23, v190
	v_cmp_gt_i32_e64 s23, 0, v187
	v_and_b32_e32 v39, exec_lo, v39
	v_not_b32_e32 v187, v188
	v_ashrrev_i32_e32 v42, 31, v42
	v_xor_b32_e32 v41, vcc_lo, v41
	v_cmp_gt_i32_e32 vcc_lo, 0, v188
	v_and_b32_e32 v39, v39, v190
	v_not_b32_e32 v188, v189
	v_ashrrev_i32_e32 v187, 31, v187
	v_xor_b32_e32 v42, s23, v42
	v_cmp_gt_i32_e64 s23, 0, v189
	v_and_b32_e32 v39, v39, v41
	v_not_b32_e32 v41, v186
	v_ashrrev_i32_e32 v188, 31, v188
	v_xor_b32_e32 v187, vcc_lo, v187
	v_cmp_gt_i32_e32 vcc_lo, 0, v186
	v_and_b32_e32 v39, v39, v42
	v_ashrrev_i32_e32 v41, 31, v41
	v_xor_b32_e32 v42, s23, v188
	v_mad_u32_u24 v186, v40, 36, v116
	v_mul_u32_u24_e32 v40, 36, v40
	v_and_b32_e32 v39, v39, v187
	v_xor_b32_e32 v41, vcc_lo, v41
	ds_read_b32 v186, v186 offset:544
	v_add_nc_u32_e32 v188, v116, v40
	v_and_b32_e32 v39, v39, v42
	; wave barrier
	v_and_b32_e32 v39, v39, v41
	v_mbcnt_lo_u32_b32 v187, v39, 0
	v_cmp_ne_u32_e64 s23, 0, v39
	v_cmp_eq_u32_e32 vcc_lo, 0, v187
	s_and_b32 s24, s23, vcc_lo
	s_and_saveexec_b32 s23, s24
	s_cbranch_execz .LBB325_469
; %bb.468:                              ;   in Loop: Header=BB325_418 Depth=2
	s_waitcnt lgkmcnt(0)
	v_bcnt_u32_b32 v39, v39, v186
	ds_write_b32 v188, v39 offset:544
.LBB325_469:                            ;   in Loop: Header=BB325_418 Depth=2
	s_or_b32 exec_lo, exec_lo, s23
	v_lshrrev_b32_sdwa v39, s61, v3 dst_sel:DWORD dst_unused:UNUSED_PAD src0_sel:DWORD src1_sel:BYTE_2
	; wave barrier
	v_and_b32_e32 v40, s62, v39
	v_and_b32_e32 v39, 1, v40
	v_lshlrev_b32_e32 v41, 30, v40
	v_lshlrev_b32_e32 v42, 29, v40
	;; [unrolled: 1-line block ×4, first 2 shown]
	v_add_co_u32 v39, s23, v39, -1
	v_cndmask_b32_e64 v189, 0, 1, s23
	v_not_b32_e32 v193, v41
	v_cmp_gt_i32_e64 s23, 0, v41
	v_not_b32_e32 v41, v42
	v_lshlrev_b32_e32 v192, 26, v40
	v_cmp_ne_u32_e32 vcc_lo, 0, v189
	v_ashrrev_i32_e32 v193, 31, v193
	v_lshlrev_b32_e32 v189, 25, v40
	v_ashrrev_i32_e32 v41, 31, v41
	v_xor_b32_e32 v39, vcc_lo, v39
	v_cmp_gt_i32_e32 vcc_lo, 0, v42
	v_not_b32_e32 v42, v190
	v_xor_b32_e32 v193, s23, v193
	v_cmp_gt_i32_e64 s23, 0, v190
	v_and_b32_e32 v39, exec_lo, v39
	v_not_b32_e32 v190, v191
	v_ashrrev_i32_e32 v42, 31, v42
	v_xor_b32_e32 v41, vcc_lo, v41
	v_cmp_gt_i32_e32 vcc_lo, 0, v191
	v_and_b32_e32 v39, v39, v193
	v_not_b32_e32 v191, v192
	v_ashrrev_i32_e32 v190, 31, v190
	v_xor_b32_e32 v42, s23, v42
	v_cmp_gt_i32_e64 s23, 0, v192
	v_and_b32_e32 v39, v39, v41
	v_not_b32_e32 v41, v189
	v_ashrrev_i32_e32 v191, 31, v191
	v_xor_b32_e32 v190, vcc_lo, v190
	v_cmp_gt_i32_e32 vcc_lo, 0, v189
	v_and_b32_e32 v39, v39, v42
	v_ashrrev_i32_e32 v41, 31, v41
	v_xor_b32_e32 v42, s23, v191
	v_mad_u32_u24 v189, v40, 36, v116
	v_mul_u32_u24_e32 v40, 36, v40
	v_and_b32_e32 v39, v39, v190
	v_xor_b32_e32 v41, vcc_lo, v41
	ds_read_b32 v189, v189 offset:544
	v_add_nc_u32_e32 v192, v116, v40
	v_and_b32_e32 v39, v39, v42
	; wave barrier
	v_and_b32_e32 v39, v39, v41
	v_mbcnt_lo_u32_b32 v190, v39, 0
	v_cmp_ne_u32_e64 s23, 0, v39
	v_cmp_eq_u32_e32 vcc_lo, 0, v190
	s_and_b32 s24, s23, vcc_lo
	s_and_saveexec_b32 s23, s24
	s_cbranch_execz .LBB325_471
; %bb.470:                              ;   in Loop: Header=BB325_418 Depth=2
	s_waitcnt lgkmcnt(0)
	v_bcnt_u32_b32 v39, v39, v189
	ds_write_b32 v192, v39 offset:544
.LBB325_471:                            ;   in Loop: Header=BB325_418 Depth=2
	s_or_b32 exec_lo, exec_lo, s23
	v_lshrrev_b32_e32 v191, 24, v3
	; wave barrier
	v_lshrrev_b32_e32 v39, s61, v191
	v_and_b32_e32 v40, s62, v39
	v_and_b32_e32 v39, 1, v40
	v_lshlrev_b32_e32 v41, 30, v40
	v_lshlrev_b32_e32 v42, 29, v40
	;; [unrolled: 1-line block ×4, first 2 shown]
	v_add_co_u32 v39, s23, v39, -1
	v_cndmask_b32_e64 v193, 0, 1, s23
	v_not_b32_e32 v197, v41
	v_cmp_gt_i32_e64 s23, 0, v41
	v_not_b32_e32 v41, v42
	v_lshlrev_b32_e32 v196, 26, v40
	v_cmp_ne_u32_e32 vcc_lo, 0, v193
	v_ashrrev_i32_e32 v197, 31, v197
	v_lshlrev_b32_e32 v193, 25, v40
	v_ashrrev_i32_e32 v41, 31, v41
	v_xor_b32_e32 v39, vcc_lo, v39
	v_cmp_gt_i32_e32 vcc_lo, 0, v42
	v_not_b32_e32 v42, v194
	v_xor_b32_e32 v197, s23, v197
	v_cmp_gt_i32_e64 s23, 0, v194
	v_and_b32_e32 v39, exec_lo, v39
	v_not_b32_e32 v194, v195
	v_ashrrev_i32_e32 v42, 31, v42
	v_xor_b32_e32 v41, vcc_lo, v41
	v_cmp_gt_i32_e32 vcc_lo, 0, v195
	v_and_b32_e32 v39, v39, v197
	v_not_b32_e32 v195, v196
	v_ashrrev_i32_e32 v194, 31, v194
	v_xor_b32_e32 v42, s23, v42
	v_cmp_gt_i32_e64 s23, 0, v196
	v_and_b32_e32 v39, v39, v41
	v_not_b32_e32 v41, v193
	v_ashrrev_i32_e32 v195, 31, v195
	v_xor_b32_e32 v194, vcc_lo, v194
	v_cmp_gt_i32_e32 vcc_lo, 0, v193
	v_and_b32_e32 v39, v39, v42
	v_ashrrev_i32_e32 v41, 31, v41
	v_xor_b32_e32 v42, s23, v195
	v_mad_u32_u24 v193, v40, 36, v116
	v_mul_u32_u24_e32 v40, 36, v40
	v_and_b32_e32 v39, v39, v194
	v_xor_b32_e32 v41, vcc_lo, v41
	ds_read_b32 v193, v193 offset:544
	v_add_nc_u32_e32 v195, v116, v40
	v_and_b32_e32 v39, v39, v42
	; wave barrier
	v_and_b32_e32 v39, v39, v41
	v_mbcnt_lo_u32_b32 v194, v39, 0
	v_cmp_ne_u32_e64 s23, 0, v39
	v_cmp_eq_u32_e32 vcc_lo, 0, v194
	s_and_b32 s24, s23, vcc_lo
	s_and_saveexec_b32 s23, s24
	s_cbranch_execz .LBB325_473
; %bb.472:                              ;   in Loop: Header=BB325_418 Depth=2
	s_waitcnt lgkmcnt(0)
	v_bcnt_u32_b32 v39, v39, v193
	ds_write_b32 v195, v39 offset:544
.LBB325_473:                            ;   in Loop: Header=BB325_418 Depth=2
	s_or_b32 exec_lo, exec_lo, s23
	v_xor_b32_e32 v117, 0x7f, v117
	; wave barrier
	v_lshrrev_b32_sdwa v39, s61, v117 dst_sel:DWORD dst_unused:UNUSED_PAD src0_sel:DWORD src1_sel:BYTE_0
	v_and_b32_e32 v40, s62, v39
	v_and_b32_e32 v39, 1, v40
	v_lshlrev_b32_e32 v41, 30, v40
	v_lshlrev_b32_e32 v42, 29, v40
	v_lshlrev_b32_e32 v197, 28, v40
	v_lshlrev_b32_e32 v198, 27, v40
	v_add_co_u32 v39, s23, v39, -1
	v_cndmask_b32_e64 v196, 0, 1, s23
	v_not_b32_e32 v200, v41
	v_cmp_gt_i32_e64 s23, 0, v41
	v_not_b32_e32 v41, v42
	v_lshlrev_b32_e32 v199, 26, v40
	v_cmp_ne_u32_e32 vcc_lo, 0, v196
	v_ashrrev_i32_e32 v200, 31, v200
	v_lshlrev_b32_e32 v196, 25, v40
	v_ashrrev_i32_e32 v41, 31, v41
	v_xor_b32_e32 v39, vcc_lo, v39
	v_cmp_gt_i32_e32 vcc_lo, 0, v42
	v_not_b32_e32 v42, v197
	v_xor_b32_e32 v200, s23, v200
	v_cmp_gt_i32_e64 s23, 0, v197
	v_and_b32_e32 v39, exec_lo, v39
	v_not_b32_e32 v197, v198
	v_ashrrev_i32_e32 v42, 31, v42
	v_xor_b32_e32 v41, vcc_lo, v41
	v_cmp_gt_i32_e32 vcc_lo, 0, v198
	v_and_b32_e32 v39, v39, v200
	v_not_b32_e32 v198, v199
	v_ashrrev_i32_e32 v197, 31, v197
	v_xor_b32_e32 v42, s23, v42
	v_cmp_gt_i32_e64 s23, 0, v199
	v_and_b32_e32 v39, v39, v41
	v_not_b32_e32 v41, v196
	v_ashrrev_i32_e32 v198, 31, v198
	v_xor_b32_e32 v197, vcc_lo, v197
	v_cmp_gt_i32_e32 vcc_lo, 0, v196
	v_and_b32_e32 v39, v39, v42
	v_ashrrev_i32_e32 v41, 31, v41
	v_xor_b32_e32 v42, s23, v198
	v_mad_u32_u24 v196, v40, 36, v116
	v_mul_u32_u24_e32 v40, 36, v40
	v_and_b32_e32 v39, v39, v197
	v_xor_b32_e32 v41, vcc_lo, v41
	ds_read_b32 v196, v196 offset:544
	v_add_nc_u32_e32 v198, v116, v40
	v_and_b32_e32 v39, v39, v42
	; wave barrier
	v_and_b32_e32 v39, v39, v41
	v_mbcnt_lo_u32_b32 v197, v39, 0
	v_cmp_ne_u32_e64 s23, 0, v39
	v_cmp_eq_u32_e32 vcc_lo, 0, v197
	s_and_b32 s24, s23, vcc_lo
	s_and_saveexec_b32 s23, s24
	s_cbranch_execz .LBB325_475
; %bb.474:                              ;   in Loop: Header=BB325_418 Depth=2
	s_waitcnt lgkmcnt(0)
	v_bcnt_u32_b32 v39, v39, v196
	ds_write_b32 v198, v39 offset:544
.LBB325_475:                            ;   in Loop: Header=BB325_418 Depth=2
	s_or_b32 exec_lo, exec_lo, s23
	; wave barrier
	s_waitcnt lgkmcnt(0)
	s_barrier
	buffer_gl0_inv
	ds_read2_b32 v[41:42], v69 offset0:136 offset1:137
	ds_read2_b32 v[39:40], v69 offset0:138 offset1:139
	ds_read_b32 v199, v69 offset:560
	s_waitcnt lgkmcnt(1)
	v_add3_u32 v200, v42, v41, v39
	s_waitcnt lgkmcnt(0)
	v_add3_u32 v199, v200, v40, v199
	v_mov_b32_dpp v200, v199 row_shr:1 row_mask:0xf bank_mask:0xf
	v_cndmask_b32_e64 v200, v200, 0, s5
	v_add_nc_u32_e32 v199, v200, v199
	v_mov_b32_dpp v200, v199 row_shr:2 row_mask:0xf bank_mask:0xf
	v_cndmask_b32_e64 v200, 0, v200, s15
	v_add_nc_u32_e32 v199, v199, v200
	;; [unrolled: 3-line block ×4, first 2 shown]
	ds_swizzle_b32 v200, v199 offset:swizzle(BROADCAST,32,15)
	s_waitcnt lgkmcnt(0)
	v_cndmask_b32_e64 v200, v200, 0, s18
	v_add_nc_u32_e32 v199, v199, v200
	s_and_saveexec_b32 s23, s4
; %bb.476:                              ;   in Loop: Header=BB325_418 Depth=2
	ds_write_b32 v62, v199 offset:512
; %bb.477:                              ;   in Loop: Header=BB325_418 Depth=2
	s_or_b32 exec_lo, exec_lo, s23
	s_waitcnt lgkmcnt(0)
	s_barrier
	buffer_gl0_inv
	s_and_saveexec_b32 s23, s12
	s_cbranch_execz .LBB325_479
; %bb.478:                              ;   in Loop: Header=BB325_418 Depth=2
	ds_read_b32 v200, v70 offset:512
	s_waitcnt lgkmcnt(0)
	v_mov_b32_dpp v201, v200 row_shr:1 row_mask:0xf bank_mask:0xf
	v_cndmask_b32_e64 v201, v201, 0, s20
	v_add_nc_u32_e32 v200, v201, v200
	v_mov_b32_dpp v201, v200 row_shr:2 row_mask:0xf bank_mask:0xf
	v_cndmask_b32_e64 v201, 0, v201, s21
	v_add_nc_u32_e32 v200, v200, v201
	;; [unrolled: 3-line block ×3, first 2 shown]
	ds_write_b32 v70, v200 offset:512
.LBB325_479:                            ;   in Loop: Header=BB325_418 Depth=2
	s_or_b32 exec_lo, exec_lo, s23
	v_mov_b32_e32 v200, 0
	s_waitcnt lgkmcnt(0)
	s_barrier
	buffer_gl0_inv
	s_and_saveexec_b32 s23, s11
; %bb.480:                              ;   in Loop: Header=BB325_418 Depth=2
	ds_read_b32 v200, v62 offset:508
; %bb.481:                              ;   in Loop: Header=BB325_418 Depth=2
	s_or_b32 exec_lo, exec_lo, s23
	s_waitcnt lgkmcnt(0)
	v_add_nc_u32_e32 v199, v200, v199
	ds_bpermute_b32 v199, v94, v199
	s_waitcnt lgkmcnt(0)
	v_cndmask_b32_e64 v199, v199, v200, s19
	v_cndmask_b32_e64 v199, v199, 0, s13
	v_add_nc_u32_e32 v41, v199, v41
	v_add_nc_u32_e32 v42, v41, v42
	;; [unrolled: 1-line block ×4, first 2 shown]
	ds_write2_b32 v69, v199, v41 offset0:136 offset1:137
	ds_write2_b32 v69, v42, v39 offset0:138 offset1:139
	ds_write_b32 v69, v40 offset:560
	s_waitcnt lgkmcnt(0)
	s_barrier
	buffer_gl0_inv
	ds_read_b32 v39, v149 offset:544
	ds_read_b32 v40, v153 offset:544
	ds_read_b32 v41, v157 offset:544
	ds_read_b32 v42, v160 offset:544
	ds_read_b32 v149, v162 offset:544
	ds_read_b32 v160, v164 offset:544
	ds_read_b32 v162, v168 offset:544
	ds_read_b32 v164, v171 offset:544
	ds_read_b32 v168, v173 offset:544
	ds_read_b32 v171, v175 offset:544
	ds_read_b32 v173, v179 offset:544
	ds_read_b32 v175, v182 offset:544
	ds_read_b32 v179, v185 offset:544
	ds_read_b32 v182, v188 offset:544
	ds_read_b32 v185, v192 offset:544
	ds_read_b32 v188, v195 offset:544
	ds_read_b32 v192, v198 offset:544
	s_and_saveexec_b32 s23, s8
	s_cbranch_execz .LBB325_485
; %bb.482:                              ;   in Loop: Header=BB325_418 Depth=2
	v_add_nc_u32_e32 v135, v70, v72
	v_mov_b32_e32 v136, 0x1100
	ds_read_b32 v135, v135 offset:544
	s_and_saveexec_b32 s24, s14
; %bb.483:                              ;   in Loop: Header=BB325_418 Depth=2
	ds_read_b32 v136, v71 offset:544
; %bb.484:                              ;   in Loop: Header=BB325_418 Depth=2
	s_or_b32 exec_lo, exec_lo, s24
	s_waitcnt lgkmcnt(0)
	v_sub_nc_u32_e32 v136, v136, v135
.LBB325_485:                            ;   in Loop: Header=BB325_418 Depth=2
	s_or_b32 exec_lo, exec_lo, s23
	v_lshrrev_b32_e32 v203, 8, v148
	v_lshrrev_b32_e32 v204, 16, v148
	;; [unrolled: 1-line block ×8, first 2 shown]
	s_waitcnt lgkmcnt(0)
	s_barrier
	buffer_gl0_inv
	s_and_saveexec_b32 s23, s8
	s_cbranch_execz .LBB325_487
; %bb.486:                              ;   in Loop: Header=BB325_418 Depth=2
	ds_read_b32 v3, v43
	s_waitcnt lgkmcnt(0)
	v_sub_nc_u32_e32 v3, v3, v135
	ds_write_b32 v43, v3
.LBB325_487:                            ;   in Loop: Header=BB325_418 Depth=2
	s_or_b32 exec_lo, exec_lo, s23
	v_add_nc_u32_e32 v157, v39, v146
	v_add3_u32 v153, v152, v151, v40
	v_add3_u32 v152, v155, v154, v41
	;; [unrolled: 1-line block ×16, first 2 shown]
	v_cmp_lt_u32_e64 s39, v0, v138
	ds_write_b8 v157, v147 offset:512
	ds_write_b8 v153, v203 offset:512
	;; [unrolled: 1-line block ×17, first 2 shown]
	s_waitcnt lgkmcnt(0)
	s_barrier
	buffer_gl0_inv
	s_and_saveexec_b32 s23, s39
	s_cbranch_execnz .LBB325_560
; %bb.488:                              ;   in Loop: Header=BB325_418 Depth=2
	s_or_b32 exec_lo, exec_lo, s23
	v_cmp_lt_u32_e64 s38, v44, v138
	s_and_saveexec_b32 s23, s38
	s_cbranch_execnz .LBB325_561
.LBB325_489:                            ;   in Loop: Header=BB325_418 Depth=2
	s_or_b32 exec_lo, exec_lo, s23
	v_cmp_lt_u32_e64 s37, v47, v138
	s_and_saveexec_b32 s23, s37
	s_cbranch_execnz .LBB325_562
.LBB325_490:                            ;   in Loop: Header=BB325_418 Depth=2
	s_or_b32 exec_lo, exec_lo, s23
	v_cmp_lt_u32_e64 s36, v48, v138
	s_and_saveexec_b32 s23, s36
	s_cbranch_execnz .LBB325_563
.LBB325_491:                            ;   in Loop: Header=BB325_418 Depth=2
	s_or_b32 exec_lo, exec_lo, s23
	v_cmp_lt_u32_e64 s35, v49, v138
	s_and_saveexec_b32 s23, s35
	s_cbranch_execnz .LBB325_564
.LBB325_492:                            ;   in Loop: Header=BB325_418 Depth=2
	s_or_b32 exec_lo, exec_lo, s23
	v_cmp_lt_u32_e64 s34, v50, v138
	s_and_saveexec_b32 s23, s34
	s_cbranch_execnz .LBB325_565
.LBB325_493:                            ;   in Loop: Header=BB325_418 Depth=2
	s_or_b32 exec_lo, exec_lo, s23
	v_cmp_lt_u32_e64 s33, v51, v138
	s_and_saveexec_b32 s23, s33
	s_cbranch_execnz .LBB325_566
.LBB325_494:                            ;   in Loop: Header=BB325_418 Depth=2
	s_or_b32 exec_lo, exec_lo, s23
	v_cmp_lt_u32_e64 s31, v52, v138
	s_and_saveexec_b32 s23, s31
	s_cbranch_execnz .LBB325_567
.LBB325_495:                            ;   in Loop: Header=BB325_418 Depth=2
	s_or_b32 exec_lo, exec_lo, s23
	v_cmp_lt_u32_e64 s30, v53, v138
	s_and_saveexec_b32 s23, s30
	s_cbranch_execnz .LBB325_568
.LBB325_496:                            ;   in Loop: Header=BB325_418 Depth=2
	s_or_b32 exec_lo, exec_lo, s23
	v_cmp_lt_u32_e64 s29, v54, v138
	s_and_saveexec_b32 s23, s29
	s_cbranch_execnz .LBB325_569
.LBB325_497:                            ;   in Loop: Header=BB325_418 Depth=2
	s_or_b32 exec_lo, exec_lo, s23
	v_cmp_lt_u32_e64 s28, v55, v138
	s_and_saveexec_b32 s23, s28
	s_cbranch_execnz .LBB325_570
.LBB325_498:                            ;   in Loop: Header=BB325_418 Depth=2
	s_or_b32 exec_lo, exec_lo, s23
	v_cmp_lt_u32_e64 s27, v56, v138
	s_and_saveexec_b32 s23, s27
	s_cbranch_execnz .LBB325_571
.LBB325_499:                            ;   in Loop: Header=BB325_418 Depth=2
	s_or_b32 exec_lo, exec_lo, s23
	v_cmp_lt_u32_e64 s26, v57, v138
	s_and_saveexec_b32 s23, s26
	s_cbranch_execnz .LBB325_572
.LBB325_500:                            ;   in Loop: Header=BB325_418 Depth=2
	s_or_b32 exec_lo, exec_lo, s23
	v_cmp_lt_u32_e64 s25, v58, v138
	s_and_saveexec_b32 s23, s25
	s_cbranch_execnz .LBB325_573
.LBB325_501:                            ;   in Loop: Header=BB325_418 Depth=2
	s_or_b32 exec_lo, exec_lo, s23
	v_cmp_lt_u32_e64 s24, v59, v138
	s_and_saveexec_b32 s23, s24
	s_cbranch_execnz .LBB325_574
.LBB325_502:                            ;   in Loop: Header=BB325_418 Depth=2
	s_or_b32 exec_lo, exec_lo, s23
	v_cmp_lt_u32_e64 s23, v60, v138
	s_and_saveexec_b32 s40, s23
	s_cbranch_execnz .LBB325_575
.LBB325_503:                            ;   in Loop: Header=BB325_418 Depth=2
	s_or_b32 exec_lo, exec_lo, s40
	v_cmp_lt_u32_e32 vcc_lo, v61, v138
	s_and_saveexec_b32 s40, vcc_lo
	s_cbranch_execz .LBB325_505
.LBB325_504:                            ;   in Loop: Header=BB325_418 Depth=2
	ds_read_u8 v39, v0 offset:4608
	s_waitcnt lgkmcnt(0)
	v_lshrrev_b32_sdwa v40, s61, v39 dst_sel:DWORD dst_unused:UNUSED_PAD src0_sel:DWORD src1_sel:BYTE_0
	v_xor_b32_e32 v39, 0x7f, v39
	v_and_b32_e32 v40, s62, v40
	v_lshlrev_b32_e32 v40, 2, v40
	ds_read_b32 v40, v40
	s_waitcnt lgkmcnt(0)
	v_add_nc_u32_e32 v40, v40, v61
	global_store_byte v40, v39, s[48:49]
.LBB325_505:                            ;   in Loop: Header=BB325_418 Depth=2
	s_or_b32 exec_lo, exec_lo, s40
	s_lshl_b64 s[66:67], s[50:51], 3
	v_add_co_u32 v39, s40, v98, s66
	v_add_co_ci_u32_e64 v40, null, s67, v99, s40
	v_cmp_lt_u32_e64 s40, v95, v138
	s_and_saveexec_b32 s50, s40
	s_xor_b32 s40, exec_lo, s50
	s_cbranch_execnz .LBB325_576
; %bb.506:                              ;   in Loop: Header=BB325_418 Depth=2
	s_or_b32 exec_lo, exec_lo, s40
	s_mov_b32 s50, exec_lo
	v_cmpx_lt_u32_e64 v100, v138
	s_cbranch_execnz .LBB325_577
.LBB325_507:                            ;   in Loop: Header=BB325_418 Depth=2
	s_or_b32 exec_lo, exec_lo, s50
	s_mov_b32 s50, exec_lo
	v_cmpx_lt_u32_e64 v101, v138
	s_cbranch_execnz .LBB325_578
.LBB325_508:                            ;   in Loop: Header=BB325_418 Depth=2
	s_or_b32 exec_lo, exec_lo, s50
	s_mov_b32 s50, exec_lo
	v_cmpx_lt_u32_e64 v102, v138
	s_cbranch_execnz .LBB325_579
.LBB325_509:                            ;   in Loop: Header=BB325_418 Depth=2
	s_or_b32 exec_lo, exec_lo, s50
	s_mov_b32 s50, exec_lo
	v_cmpx_lt_u32_e64 v103, v138
	s_cbranch_execnz .LBB325_580
.LBB325_510:                            ;   in Loop: Header=BB325_418 Depth=2
	s_or_b32 exec_lo, exec_lo, s50
	s_mov_b32 s50, exec_lo
	v_cmpx_lt_u32_e64 v104, v138
	s_cbranch_execnz .LBB325_581
.LBB325_511:                            ;   in Loop: Header=BB325_418 Depth=2
	s_or_b32 exec_lo, exec_lo, s50
	s_mov_b32 s50, exec_lo
	v_cmpx_lt_u32_e64 v105, v138
	s_cbranch_execnz .LBB325_582
.LBB325_512:                            ;   in Loop: Header=BB325_418 Depth=2
	s_or_b32 exec_lo, exec_lo, s50
	s_mov_b32 s50, exec_lo
	v_cmpx_lt_u32_e64 v106, v138
	s_cbranch_execnz .LBB325_583
.LBB325_513:                            ;   in Loop: Header=BB325_418 Depth=2
	s_or_b32 exec_lo, exec_lo, s50
	s_mov_b32 s50, exec_lo
	v_cmpx_lt_u32_e64 v107, v138
	s_cbranch_execnz .LBB325_584
.LBB325_514:                            ;   in Loop: Header=BB325_418 Depth=2
	s_or_b32 exec_lo, exec_lo, s50
	s_mov_b32 s50, exec_lo
	v_cmpx_lt_u32_e64 v108, v138
	s_cbranch_execnz .LBB325_585
.LBB325_515:                            ;   in Loop: Header=BB325_418 Depth=2
	s_or_b32 exec_lo, exec_lo, s50
	s_mov_b32 s50, exec_lo
	v_cmpx_lt_u32_e64 v109, v138
	s_cbranch_execnz .LBB325_586
.LBB325_516:                            ;   in Loop: Header=BB325_418 Depth=2
	s_or_b32 exec_lo, exec_lo, s50
	s_mov_b32 s50, exec_lo
	v_cmpx_lt_u32_e64 v110, v138
	s_cbranch_execnz .LBB325_587
.LBB325_517:                            ;   in Loop: Header=BB325_418 Depth=2
	s_or_b32 exec_lo, exec_lo, s50
	s_mov_b32 s50, exec_lo
	v_cmpx_lt_u32_e64 v111, v138
	s_cbranch_execnz .LBB325_588
.LBB325_518:                            ;   in Loop: Header=BB325_418 Depth=2
	s_or_b32 exec_lo, exec_lo, s50
	s_mov_b32 s50, exec_lo
	v_cmpx_lt_u32_e64 v112, v138
	s_cbranch_execnz .LBB325_589
.LBB325_519:                            ;   in Loop: Header=BB325_418 Depth=2
	s_or_b32 exec_lo, exec_lo, s50
	s_mov_b32 s50, exec_lo
	v_cmpx_lt_u32_e64 v113, v138
	s_cbranch_execnz .LBB325_590
.LBB325_520:                            ;   in Loop: Header=BB325_418 Depth=2
	s_or_b32 exec_lo, exec_lo, s50
	s_mov_b32 s50, exec_lo
	v_cmpx_lt_u32_e64 v114, v138
	s_cbranch_execnz .LBB325_591
.LBB325_521:                            ;   in Loop: Header=BB325_418 Depth=2
	s_or_b32 exec_lo, exec_lo, s50
	s_mov_b32 s50, exec_lo
	v_cmpx_lt_u32_e64 v115, v138
	s_cbranch_execnz .LBB325_592
.LBB325_522:                            ;   in Loop: Header=BB325_418 Depth=2
	s_or_b32 exec_lo, exec_lo, s50
	s_and_saveexec_b32 s40, s39
	s_cbranch_execnz .LBB325_593
.LBB325_523:                            ;   in Loop: Header=BB325_418 Depth=2
	s_or_b32 exec_lo, exec_lo, s40
	s_and_saveexec_b32 s40, s38
	s_cbranch_execnz .LBB325_594
.LBB325_524:                            ;   in Loop: Header=BB325_418 Depth=2
	s_or_b32 exec_lo, exec_lo, s40
	s_and_saveexec_b32 s40, s37
	s_cbranch_execnz .LBB325_595
.LBB325_525:                            ;   in Loop: Header=BB325_418 Depth=2
	s_or_b32 exec_lo, exec_lo, s40
	s_and_saveexec_b32 s40, s36
	s_cbranch_execnz .LBB325_596
.LBB325_526:                            ;   in Loop: Header=BB325_418 Depth=2
	s_or_b32 exec_lo, exec_lo, s40
	s_and_saveexec_b32 s40, s35
	s_cbranch_execnz .LBB325_597
.LBB325_527:                            ;   in Loop: Header=BB325_418 Depth=2
	s_or_b32 exec_lo, exec_lo, s40
	s_and_saveexec_b32 s40, s34
	s_cbranch_execnz .LBB325_598
.LBB325_528:                            ;   in Loop: Header=BB325_418 Depth=2
	s_or_b32 exec_lo, exec_lo, s40
	s_and_saveexec_b32 s40, s33
	s_cbranch_execnz .LBB325_599
.LBB325_529:                            ;   in Loop: Header=BB325_418 Depth=2
	s_or_b32 exec_lo, exec_lo, s40
	s_and_saveexec_b32 s40, s31
	s_cbranch_execnz .LBB325_600
.LBB325_530:                            ;   in Loop: Header=BB325_418 Depth=2
	s_or_b32 exec_lo, exec_lo, s40
	s_and_saveexec_b32 s40, s30
	s_cbranch_execnz .LBB325_601
.LBB325_531:                            ;   in Loop: Header=BB325_418 Depth=2
	s_or_b32 exec_lo, exec_lo, s40
	s_and_saveexec_b32 s40, s29
	s_cbranch_execnz .LBB325_602
.LBB325_532:                            ;   in Loop: Header=BB325_418 Depth=2
	s_or_b32 exec_lo, exec_lo, s40
	s_and_saveexec_b32 s40, s28
	s_cbranch_execnz .LBB325_603
.LBB325_533:                            ;   in Loop: Header=BB325_418 Depth=2
	s_or_b32 exec_lo, exec_lo, s40
	s_and_saveexec_b32 s40, s27
	s_cbranch_execnz .LBB325_604
.LBB325_534:                            ;   in Loop: Header=BB325_418 Depth=2
	s_or_b32 exec_lo, exec_lo, s40
	s_and_saveexec_b32 s40, s26
	s_cbranch_execnz .LBB325_605
.LBB325_535:                            ;   in Loop: Header=BB325_418 Depth=2
	s_or_b32 exec_lo, exec_lo, s40
	s_and_saveexec_b32 s40, s25
	s_cbranch_execnz .LBB325_606
.LBB325_536:                            ;   in Loop: Header=BB325_418 Depth=2
	s_or_b32 exec_lo, exec_lo, s40
	s_and_saveexec_b32 s40, s24
	s_cbranch_execnz .LBB325_607
.LBB325_537:                            ;   in Loop: Header=BB325_418 Depth=2
	s_or_b32 exec_lo, exec_lo, s40
	s_and_saveexec_b32 s40, s23
	s_cbranch_execnz .LBB325_608
.LBB325_538:                            ;   in Loop: Header=BB325_418 Depth=2
	s_or_b32 exec_lo, exec_lo, s40
	s_and_saveexec_b32 s40, vcc_lo
	s_cbranch_execz .LBB325_540
.LBB325_539:                            ;   in Loop: Header=BB325_418 Depth=2
	ds_read_u8 v39, v0 offset:4608
	s_waitcnt lgkmcnt(0)
	v_lshrrev_b32_e32 v39, s61, v39
	v_and_b32_e32 v118, s62, v39
.LBB325_540:                            ;   in Loop: Header=BB325_418 Depth=2
	s_or_b32 exec_lo, exec_lo, s40
	v_lshlrev_b32_e32 v39, 3, v157
	v_lshlrev_b32_e32 v40, 3, v153
	s_waitcnt vmcnt(0)
	s_waitcnt_vscnt null, 0x0
	s_barrier
	buffer_gl0_inv
	ds_write_b64 v39, v[37:38] offset:512
	ds_write_b64 v40, v[35:36] offset:512
	v_lshlrev_b32_e32 v39, 3, v152
	v_lshlrev_b32_e32 v40, 3, v151
	v_lshlrev_b32_e32 v138, 3, v150
	v_lshlrev_b32_e32 v139, 3, v149
	v_lshlrev_b32_e32 v143, 3, v148
	ds_write_b64 v39, v[33:34] offset:512
	ds_write_b64 v40, v[31:32] offset:512
	ds_write_b64 v138, v[29:30] offset:512
	ds_write_b64 v139, v[25:26] offset:512
	ds_write_b64 v143, v[21:22] offset:512
	v_lshlrev_b32_e32 v39, 3, v146
	v_lshlrev_b32_e32 v40, 3, v145
	v_lshlrev_b32_e32 v138, 3, v144
	v_lshlrev_b32_e32 v139, 3, v142
	v_lshlrev_b32_e32 v141, 3, v141
	ds_write_b64 v39, v[17:18] offset:512
	ds_write_b64 v40, v[27:28] offset:512
	ds_write_b64 v138, v[23:24] offset:512
	;; [unrolled: 10-line block ×3, first 2 shown]
	ds_write_b64 v41, v[7:8] offset:512
	ds_write_b64 v3, v[5:6] offset:512
	s_waitcnt lgkmcnt(0)
	s_barrier
	buffer_gl0_inv
	s_and_saveexec_b32 s40, s39
	s_cbranch_execnz .LBB325_609
; %bb.541:                              ;   in Loop: Header=BB325_418 Depth=2
	s_or_b32 exec_lo, exec_lo, s40
	s_and_saveexec_b32 s39, s38
	s_cbranch_execnz .LBB325_610
.LBB325_542:                            ;   in Loop: Header=BB325_418 Depth=2
	s_or_b32 exec_lo, exec_lo, s39
	s_and_saveexec_b32 s38, s37
	s_cbranch_execnz .LBB325_611
.LBB325_543:                            ;   in Loop: Header=BB325_418 Depth=2
	s_or_b32 exec_lo, exec_lo, s38
	s_and_saveexec_b32 s37, s36
	s_cbranch_execnz .LBB325_612
.LBB325_544:                            ;   in Loop: Header=BB325_418 Depth=2
	s_or_b32 exec_lo, exec_lo, s37
	s_and_saveexec_b32 s36, s35
	s_cbranch_execnz .LBB325_613
.LBB325_545:                            ;   in Loop: Header=BB325_418 Depth=2
	s_or_b32 exec_lo, exec_lo, s36
	s_and_saveexec_b32 s35, s34
	s_cbranch_execnz .LBB325_614
.LBB325_546:                            ;   in Loop: Header=BB325_418 Depth=2
	s_or_b32 exec_lo, exec_lo, s35
	s_and_saveexec_b32 s34, s33
	s_cbranch_execnz .LBB325_615
.LBB325_547:                            ;   in Loop: Header=BB325_418 Depth=2
	s_or_b32 exec_lo, exec_lo, s34
	s_and_saveexec_b32 s33, s31
	s_cbranch_execnz .LBB325_616
.LBB325_548:                            ;   in Loop: Header=BB325_418 Depth=2
	s_or_b32 exec_lo, exec_lo, s33
	s_and_saveexec_b32 s31, s30
	s_cbranch_execnz .LBB325_617
.LBB325_549:                            ;   in Loop: Header=BB325_418 Depth=2
	s_or_b32 exec_lo, exec_lo, s31
	s_and_saveexec_b32 s30, s29
	s_cbranch_execnz .LBB325_618
.LBB325_550:                            ;   in Loop: Header=BB325_418 Depth=2
	s_or_b32 exec_lo, exec_lo, s30
	s_and_saveexec_b32 s29, s28
	s_cbranch_execnz .LBB325_619
.LBB325_551:                            ;   in Loop: Header=BB325_418 Depth=2
	s_or_b32 exec_lo, exec_lo, s29
	s_and_saveexec_b32 s28, s27
	s_cbranch_execnz .LBB325_620
.LBB325_552:                            ;   in Loop: Header=BB325_418 Depth=2
	s_or_b32 exec_lo, exec_lo, s28
	s_and_saveexec_b32 s27, s26
	s_cbranch_execnz .LBB325_621
.LBB325_553:                            ;   in Loop: Header=BB325_418 Depth=2
	s_or_b32 exec_lo, exec_lo, s27
	s_and_saveexec_b32 s26, s25
	s_cbranch_execnz .LBB325_622
.LBB325_554:                            ;   in Loop: Header=BB325_418 Depth=2
	s_or_b32 exec_lo, exec_lo, s26
	s_and_saveexec_b32 s25, s24
	s_cbranch_execnz .LBB325_623
.LBB325_555:                            ;   in Loop: Header=BB325_418 Depth=2
	s_or_b32 exec_lo, exec_lo, s25
	s_and_saveexec_b32 s24, s23
	s_cbranch_execnz .LBB325_624
.LBB325_556:                            ;   in Loop: Header=BB325_418 Depth=2
	s_or_b32 exec_lo, exec_lo, s24
	s_and_saveexec_b32 s23, vcc_lo
	s_cbranch_execz .LBB325_558
.LBB325_557:                            ;   in Loop: Header=BB325_418 Depth=2
	v_lshlrev_b32_e32 v3, 2, v118
	v_add_nc_u32_e32 v39, v0, v75
	ds_read_b32 v3, v3
	ds_read_b64 v[39:40], v39 offset:33280
	s_waitcnt lgkmcnt(1)
	v_add_nc_u32_e32 v3, v3, v61
	v_lshlrev_b64 v[41:42], 3, v[3:4]
	v_add_co_u32 v41, vcc_lo, s54, v41
	v_add_co_ci_u32_e64 v42, null, s55, v42, vcc_lo
	s_waitcnt lgkmcnt(0)
	global_store_dwordx2 v[41:42], v[39:40], off
.LBB325_558:                            ;   in Loop: Header=BB325_418 Depth=2
	s_or_b32 exec_lo, exec_lo, s23
	s_waitcnt_vscnt null, 0x0
	s_barrier
	buffer_gl0_inv
	s_and_saveexec_b32 s23, s8
	s_cbranch_execz .LBB325_417
; %bb.559:                              ;   in Loop: Header=BB325_418 Depth=2
	ds_read_b32 v3, v43
	s_waitcnt lgkmcnt(0)
	v_add3_u32 v3, v135, v136, v3
	ds_write_b32 v43, v3
	s_branch .LBB325_417
.LBB325_560:                            ;   in Loop: Header=BB325_418 Depth=2
	ds_read_u8 v39, v0 offset:512
	s_waitcnt lgkmcnt(0)
	v_lshrrev_b32_sdwa v40, s61, v39 dst_sel:DWORD dst_unused:UNUSED_PAD src0_sel:DWORD src1_sel:BYTE_0
	v_xor_b32_e32 v39, 0x7f, v39
	v_and_b32_e32 v40, s62, v40
	v_lshlrev_b32_e32 v40, 2, v40
	ds_read_b32 v40, v40
	s_waitcnt lgkmcnt(0)
	v_add_nc_u32_e32 v40, v40, v0
	global_store_byte v40, v39, s[48:49]
	s_or_b32 exec_lo, exec_lo, s23
	v_cmp_lt_u32_e64 s38, v44, v138
	s_and_saveexec_b32 s23, s38
	s_cbranch_execz .LBB325_489
.LBB325_561:                            ;   in Loop: Header=BB325_418 Depth=2
	ds_read_u8 v39, v0 offset:768
	s_waitcnt lgkmcnt(0)
	v_lshrrev_b32_sdwa v40, s61, v39 dst_sel:DWORD dst_unused:UNUSED_PAD src0_sel:DWORD src1_sel:BYTE_0
	v_xor_b32_e32 v39, 0x7f, v39
	v_and_b32_e32 v40, s62, v40
	v_lshlrev_b32_e32 v40, 2, v40
	ds_read_b32 v40, v40
	s_waitcnt lgkmcnt(0)
	v_add_nc_u32_e32 v40, v40, v44
	global_store_byte v40, v39, s[48:49]
	s_or_b32 exec_lo, exec_lo, s23
	v_cmp_lt_u32_e64 s37, v47, v138
	s_and_saveexec_b32 s23, s37
	s_cbranch_execz .LBB325_490
.LBB325_562:                            ;   in Loop: Header=BB325_418 Depth=2
	ds_read_u8 v39, v0 offset:1024
	s_waitcnt lgkmcnt(0)
	v_lshrrev_b32_sdwa v40, s61, v39 dst_sel:DWORD dst_unused:UNUSED_PAD src0_sel:DWORD src1_sel:BYTE_0
	v_xor_b32_e32 v39, 0x7f, v39
	v_and_b32_e32 v40, s62, v40
	v_lshlrev_b32_e32 v40, 2, v40
	ds_read_b32 v40, v40
	s_waitcnt lgkmcnt(0)
	v_add_nc_u32_e32 v40, v40, v47
	global_store_byte v40, v39, s[48:49]
	s_or_b32 exec_lo, exec_lo, s23
	v_cmp_lt_u32_e64 s36, v48, v138
	s_and_saveexec_b32 s23, s36
	s_cbranch_execz .LBB325_491
.LBB325_563:                            ;   in Loop: Header=BB325_418 Depth=2
	ds_read_u8 v39, v0 offset:1280
	s_waitcnt lgkmcnt(0)
	v_lshrrev_b32_sdwa v40, s61, v39 dst_sel:DWORD dst_unused:UNUSED_PAD src0_sel:DWORD src1_sel:BYTE_0
	v_xor_b32_e32 v39, 0x7f, v39
	v_and_b32_e32 v40, s62, v40
	v_lshlrev_b32_e32 v40, 2, v40
	ds_read_b32 v40, v40
	s_waitcnt lgkmcnt(0)
	v_add_nc_u32_e32 v40, v40, v48
	global_store_byte v40, v39, s[48:49]
	s_or_b32 exec_lo, exec_lo, s23
	v_cmp_lt_u32_e64 s35, v49, v138
	s_and_saveexec_b32 s23, s35
	s_cbranch_execz .LBB325_492
.LBB325_564:                            ;   in Loop: Header=BB325_418 Depth=2
	ds_read_u8 v39, v0 offset:1536
	s_waitcnt lgkmcnt(0)
	v_lshrrev_b32_sdwa v40, s61, v39 dst_sel:DWORD dst_unused:UNUSED_PAD src0_sel:DWORD src1_sel:BYTE_0
	v_xor_b32_e32 v39, 0x7f, v39
	v_and_b32_e32 v40, s62, v40
	v_lshlrev_b32_e32 v40, 2, v40
	ds_read_b32 v40, v40
	s_waitcnt lgkmcnt(0)
	v_add_nc_u32_e32 v40, v40, v49
	global_store_byte v40, v39, s[48:49]
	s_or_b32 exec_lo, exec_lo, s23
	v_cmp_lt_u32_e64 s34, v50, v138
	s_and_saveexec_b32 s23, s34
	s_cbranch_execz .LBB325_493
.LBB325_565:                            ;   in Loop: Header=BB325_418 Depth=2
	ds_read_u8 v39, v0 offset:1792
	s_waitcnt lgkmcnt(0)
	v_lshrrev_b32_sdwa v40, s61, v39 dst_sel:DWORD dst_unused:UNUSED_PAD src0_sel:DWORD src1_sel:BYTE_0
	v_xor_b32_e32 v39, 0x7f, v39
	v_and_b32_e32 v40, s62, v40
	v_lshlrev_b32_e32 v40, 2, v40
	ds_read_b32 v40, v40
	s_waitcnt lgkmcnt(0)
	v_add_nc_u32_e32 v40, v40, v50
	global_store_byte v40, v39, s[48:49]
	s_or_b32 exec_lo, exec_lo, s23
	v_cmp_lt_u32_e64 s33, v51, v138
	s_and_saveexec_b32 s23, s33
	s_cbranch_execz .LBB325_494
.LBB325_566:                            ;   in Loop: Header=BB325_418 Depth=2
	ds_read_u8 v39, v0 offset:2048
	s_waitcnt lgkmcnt(0)
	v_lshrrev_b32_sdwa v40, s61, v39 dst_sel:DWORD dst_unused:UNUSED_PAD src0_sel:DWORD src1_sel:BYTE_0
	v_xor_b32_e32 v39, 0x7f, v39
	v_and_b32_e32 v40, s62, v40
	v_lshlrev_b32_e32 v40, 2, v40
	ds_read_b32 v40, v40
	s_waitcnt lgkmcnt(0)
	v_add_nc_u32_e32 v40, v40, v51
	global_store_byte v40, v39, s[48:49]
	s_or_b32 exec_lo, exec_lo, s23
	v_cmp_lt_u32_e64 s31, v52, v138
	s_and_saveexec_b32 s23, s31
	s_cbranch_execz .LBB325_495
.LBB325_567:                            ;   in Loop: Header=BB325_418 Depth=2
	ds_read_u8 v39, v0 offset:2304
	s_waitcnt lgkmcnt(0)
	v_lshrrev_b32_sdwa v40, s61, v39 dst_sel:DWORD dst_unused:UNUSED_PAD src0_sel:DWORD src1_sel:BYTE_0
	v_xor_b32_e32 v39, 0x7f, v39
	v_and_b32_e32 v40, s62, v40
	v_lshlrev_b32_e32 v40, 2, v40
	ds_read_b32 v40, v40
	s_waitcnt lgkmcnt(0)
	v_add_nc_u32_e32 v40, v40, v52
	global_store_byte v40, v39, s[48:49]
	s_or_b32 exec_lo, exec_lo, s23
	v_cmp_lt_u32_e64 s30, v53, v138
	s_and_saveexec_b32 s23, s30
	s_cbranch_execz .LBB325_496
.LBB325_568:                            ;   in Loop: Header=BB325_418 Depth=2
	ds_read_u8 v39, v0 offset:2560
	s_waitcnt lgkmcnt(0)
	v_lshrrev_b32_sdwa v40, s61, v39 dst_sel:DWORD dst_unused:UNUSED_PAD src0_sel:DWORD src1_sel:BYTE_0
	v_xor_b32_e32 v39, 0x7f, v39
	v_and_b32_e32 v40, s62, v40
	v_lshlrev_b32_e32 v40, 2, v40
	ds_read_b32 v40, v40
	s_waitcnt lgkmcnt(0)
	v_add_nc_u32_e32 v40, v40, v53
	global_store_byte v40, v39, s[48:49]
	s_or_b32 exec_lo, exec_lo, s23
	v_cmp_lt_u32_e64 s29, v54, v138
	s_and_saveexec_b32 s23, s29
	s_cbranch_execz .LBB325_497
.LBB325_569:                            ;   in Loop: Header=BB325_418 Depth=2
	ds_read_u8 v39, v0 offset:2816
	s_waitcnt lgkmcnt(0)
	v_lshrrev_b32_sdwa v40, s61, v39 dst_sel:DWORD dst_unused:UNUSED_PAD src0_sel:DWORD src1_sel:BYTE_0
	v_xor_b32_e32 v39, 0x7f, v39
	v_and_b32_e32 v40, s62, v40
	v_lshlrev_b32_e32 v40, 2, v40
	ds_read_b32 v40, v40
	s_waitcnt lgkmcnt(0)
	v_add_nc_u32_e32 v40, v40, v54
	global_store_byte v40, v39, s[48:49]
	s_or_b32 exec_lo, exec_lo, s23
	v_cmp_lt_u32_e64 s28, v55, v138
	s_and_saveexec_b32 s23, s28
	s_cbranch_execz .LBB325_498
.LBB325_570:                            ;   in Loop: Header=BB325_418 Depth=2
	ds_read_u8 v39, v0 offset:3072
	s_waitcnt lgkmcnt(0)
	v_lshrrev_b32_sdwa v40, s61, v39 dst_sel:DWORD dst_unused:UNUSED_PAD src0_sel:DWORD src1_sel:BYTE_0
	v_xor_b32_e32 v39, 0x7f, v39
	v_and_b32_e32 v40, s62, v40
	v_lshlrev_b32_e32 v40, 2, v40
	ds_read_b32 v40, v40
	s_waitcnt lgkmcnt(0)
	v_add_nc_u32_e32 v40, v40, v55
	global_store_byte v40, v39, s[48:49]
	s_or_b32 exec_lo, exec_lo, s23
	v_cmp_lt_u32_e64 s27, v56, v138
	s_and_saveexec_b32 s23, s27
	s_cbranch_execz .LBB325_499
.LBB325_571:                            ;   in Loop: Header=BB325_418 Depth=2
	ds_read_u8 v39, v0 offset:3328
	s_waitcnt lgkmcnt(0)
	v_lshrrev_b32_sdwa v40, s61, v39 dst_sel:DWORD dst_unused:UNUSED_PAD src0_sel:DWORD src1_sel:BYTE_0
	v_xor_b32_e32 v39, 0x7f, v39
	v_and_b32_e32 v40, s62, v40
	v_lshlrev_b32_e32 v40, 2, v40
	ds_read_b32 v40, v40
	s_waitcnt lgkmcnt(0)
	v_add_nc_u32_e32 v40, v40, v56
	global_store_byte v40, v39, s[48:49]
	s_or_b32 exec_lo, exec_lo, s23
	v_cmp_lt_u32_e64 s26, v57, v138
	s_and_saveexec_b32 s23, s26
	s_cbranch_execz .LBB325_500
.LBB325_572:                            ;   in Loop: Header=BB325_418 Depth=2
	ds_read_u8 v39, v0 offset:3584
	s_waitcnt lgkmcnt(0)
	v_lshrrev_b32_sdwa v40, s61, v39 dst_sel:DWORD dst_unused:UNUSED_PAD src0_sel:DWORD src1_sel:BYTE_0
	v_xor_b32_e32 v39, 0x7f, v39
	v_and_b32_e32 v40, s62, v40
	v_lshlrev_b32_e32 v40, 2, v40
	ds_read_b32 v40, v40
	s_waitcnt lgkmcnt(0)
	v_add_nc_u32_e32 v40, v40, v57
	global_store_byte v40, v39, s[48:49]
	s_or_b32 exec_lo, exec_lo, s23
	v_cmp_lt_u32_e64 s25, v58, v138
	s_and_saveexec_b32 s23, s25
	s_cbranch_execz .LBB325_501
.LBB325_573:                            ;   in Loop: Header=BB325_418 Depth=2
	ds_read_u8 v39, v0 offset:3840
	s_waitcnt lgkmcnt(0)
	v_lshrrev_b32_sdwa v40, s61, v39 dst_sel:DWORD dst_unused:UNUSED_PAD src0_sel:DWORD src1_sel:BYTE_0
	v_xor_b32_e32 v39, 0x7f, v39
	v_and_b32_e32 v40, s62, v40
	v_lshlrev_b32_e32 v40, 2, v40
	ds_read_b32 v40, v40
	s_waitcnt lgkmcnt(0)
	v_add_nc_u32_e32 v40, v40, v58
	global_store_byte v40, v39, s[48:49]
	s_or_b32 exec_lo, exec_lo, s23
	v_cmp_lt_u32_e64 s24, v59, v138
	s_and_saveexec_b32 s23, s24
	s_cbranch_execz .LBB325_502
.LBB325_574:                            ;   in Loop: Header=BB325_418 Depth=2
	ds_read_u8 v39, v0 offset:4096
	s_waitcnt lgkmcnt(0)
	v_lshrrev_b32_sdwa v40, s61, v39 dst_sel:DWORD dst_unused:UNUSED_PAD src0_sel:DWORD src1_sel:BYTE_0
	v_xor_b32_e32 v39, 0x7f, v39
	v_and_b32_e32 v40, s62, v40
	v_lshlrev_b32_e32 v40, 2, v40
	ds_read_b32 v40, v40
	s_waitcnt lgkmcnt(0)
	v_add_nc_u32_e32 v40, v40, v59
	global_store_byte v40, v39, s[48:49]
	s_or_b32 exec_lo, exec_lo, s23
	v_cmp_lt_u32_e64 s23, v60, v138
	s_and_saveexec_b32 s40, s23
	s_cbranch_execz .LBB325_503
.LBB325_575:                            ;   in Loop: Header=BB325_418 Depth=2
	ds_read_u8 v39, v0 offset:4352
	s_waitcnt lgkmcnt(0)
	v_lshrrev_b32_sdwa v40, s61, v39 dst_sel:DWORD dst_unused:UNUSED_PAD src0_sel:DWORD src1_sel:BYTE_0
	v_xor_b32_e32 v39, 0x7f, v39
	v_and_b32_e32 v40, s62, v40
	v_lshlrev_b32_e32 v40, 2, v40
	ds_read_b32 v40, v40
	s_waitcnt lgkmcnt(0)
	v_add_nc_u32_e32 v40, v40, v60
	global_store_byte v40, v39, s[48:49]
	s_or_b32 exec_lo, exec_lo, s40
	v_cmp_lt_u32_e32 vcc_lo, v61, v138
	s_and_saveexec_b32 s40, vcc_lo
	s_cbranch_execnz .LBB325_504
	s_branch .LBB325_505
.LBB325_576:                            ;   in Loop: Header=BB325_418 Depth=2
	global_load_dwordx2 v[37:38], v[39:40], off
	s_or_b32 exec_lo, exec_lo, s40
	s_mov_b32 s50, exec_lo
	v_cmpx_lt_u32_e64 v100, v138
	s_cbranch_execz .LBB325_507
.LBB325_577:                            ;   in Loop: Header=BB325_418 Depth=2
	global_load_dwordx2 v[35:36], v[39:40], off offset:256
	s_or_b32 exec_lo, exec_lo, s50
	s_mov_b32 s50, exec_lo
	v_cmpx_lt_u32_e64 v101, v138
	s_cbranch_execz .LBB325_508
.LBB325_578:                            ;   in Loop: Header=BB325_418 Depth=2
	global_load_dwordx2 v[33:34], v[39:40], off offset:512
	s_or_b32 exec_lo, exec_lo, s50
	s_mov_b32 s50, exec_lo
	v_cmpx_lt_u32_e64 v102, v138
	s_cbranch_execz .LBB325_509
.LBB325_579:                            ;   in Loop: Header=BB325_418 Depth=2
	global_load_dwordx2 v[31:32], v[39:40], off offset:768
	s_or_b32 exec_lo, exec_lo, s50
	s_mov_b32 s50, exec_lo
	v_cmpx_lt_u32_e64 v103, v138
	s_cbranch_execz .LBB325_510
.LBB325_580:                            ;   in Loop: Header=BB325_418 Depth=2
	global_load_dwordx2 v[29:30], v[39:40], off offset:1024
	s_or_b32 exec_lo, exec_lo, s50
	s_mov_b32 s50, exec_lo
	v_cmpx_lt_u32_e64 v104, v138
	s_cbranch_execz .LBB325_511
.LBB325_581:                            ;   in Loop: Header=BB325_418 Depth=2
	global_load_dwordx2 v[25:26], v[39:40], off offset:1280
	s_or_b32 exec_lo, exec_lo, s50
	s_mov_b32 s50, exec_lo
	v_cmpx_lt_u32_e64 v105, v138
	s_cbranch_execz .LBB325_512
.LBB325_582:                            ;   in Loop: Header=BB325_418 Depth=2
	global_load_dwordx2 v[21:22], v[39:40], off offset:1536
	s_or_b32 exec_lo, exec_lo, s50
	s_mov_b32 s50, exec_lo
	v_cmpx_lt_u32_e64 v106, v138
	s_cbranch_execz .LBB325_513
.LBB325_583:                            ;   in Loop: Header=BB325_418 Depth=2
	global_load_dwordx2 v[17:18], v[39:40], off offset:1792
	s_or_b32 exec_lo, exec_lo, s50
	s_mov_b32 s50, exec_lo
	v_cmpx_lt_u32_e64 v107, v138
	s_cbranch_execz .LBB325_514
.LBB325_584:                            ;   in Loop: Header=BB325_418 Depth=2
	v_add_co_u32 v27, s40, 0x800, v39
	v_add_co_ci_u32_e64 v28, null, 0, v40, s40
	global_load_dwordx2 v[27:28], v[27:28], off
	s_or_b32 exec_lo, exec_lo, s50
	s_mov_b32 s50, exec_lo
	v_cmpx_lt_u32_e64 v108, v138
	s_cbranch_execz .LBB325_515
.LBB325_585:                            ;   in Loop: Header=BB325_418 Depth=2
	v_add_co_u32 v23, s40, 0x800, v39
	v_add_co_ci_u32_e64 v24, null, 0, v40, s40
	global_load_dwordx2 v[23:24], v[23:24], off offset:256
	s_or_b32 exec_lo, exec_lo, s50
	s_mov_b32 s50, exec_lo
	v_cmpx_lt_u32_e64 v109, v138
	s_cbranch_execz .LBB325_516
.LBB325_586:                            ;   in Loop: Header=BB325_418 Depth=2
	v_add_co_u32 v19, s40, 0x800, v39
	v_add_co_ci_u32_e64 v20, null, 0, v40, s40
	global_load_dwordx2 v[19:20], v[19:20], off offset:512
	s_or_b32 exec_lo, exec_lo, s50
	s_mov_b32 s50, exec_lo
	v_cmpx_lt_u32_e64 v110, v138
	s_cbranch_execz .LBB325_517
.LBB325_587:                            ;   in Loop: Header=BB325_418 Depth=2
	v_add_co_u32 v15, s40, 0x800, v39
	v_add_co_ci_u32_e64 v16, null, 0, v40, s40
	global_load_dwordx2 v[15:16], v[15:16], off offset:768
	s_or_b32 exec_lo, exec_lo, s50
	s_mov_b32 s50, exec_lo
	v_cmpx_lt_u32_e64 v111, v138
	s_cbranch_execz .LBB325_518
.LBB325_588:                            ;   in Loop: Header=BB325_418 Depth=2
	v_add_co_u32 v13, s40, 0x800, v39
	v_add_co_ci_u32_e64 v14, null, 0, v40, s40
	global_load_dwordx2 v[13:14], v[13:14], off offset:1024
	s_or_b32 exec_lo, exec_lo, s50
	s_mov_b32 s50, exec_lo
	v_cmpx_lt_u32_e64 v112, v138
	s_cbranch_execz .LBB325_519
.LBB325_589:                            ;   in Loop: Header=BB325_418 Depth=2
	v_add_co_u32 v11, s40, 0x800, v39
	v_add_co_ci_u32_e64 v12, null, 0, v40, s40
	global_load_dwordx2 v[11:12], v[11:12], off offset:1280
	s_or_b32 exec_lo, exec_lo, s50
	s_mov_b32 s50, exec_lo
	v_cmpx_lt_u32_e64 v113, v138
	s_cbranch_execz .LBB325_520
.LBB325_590:                            ;   in Loop: Header=BB325_418 Depth=2
	v_add_co_u32 v9, s40, 0x800, v39
	v_add_co_ci_u32_e64 v10, null, 0, v40, s40
	global_load_dwordx2 v[9:10], v[9:10], off offset:1536
	s_or_b32 exec_lo, exec_lo, s50
	s_mov_b32 s50, exec_lo
	v_cmpx_lt_u32_e64 v114, v138
	s_cbranch_execz .LBB325_521
.LBB325_591:                            ;   in Loop: Header=BB325_418 Depth=2
	v_add_co_u32 v7, s40, 0x800, v39
	v_add_co_ci_u32_e64 v8, null, 0, v40, s40
	global_load_dwordx2 v[7:8], v[7:8], off offset:1792
	s_or_b32 exec_lo, exec_lo, s50
	s_mov_b32 s50, exec_lo
	v_cmpx_lt_u32_e64 v115, v138
	s_cbranch_execz .LBB325_522
.LBB325_592:                            ;   in Loop: Header=BB325_418 Depth=2
	v_add_co_u32 v5, s40, 0x1000, v39
	v_add_co_ci_u32_e64 v6, null, 0, v40, s40
	global_load_dwordx2 v[5:6], v[5:6], off
	s_or_b32 exec_lo, exec_lo, s50
	s_and_saveexec_b32 s40, s39
	s_cbranch_execz .LBB325_523
.LBB325_593:                            ;   in Loop: Header=BB325_418 Depth=2
	ds_read_u8 v39, v0 offset:512
	s_waitcnt lgkmcnt(0)
	v_lshrrev_b32_e32 v39, s61, v39
	v_and_b32_e32 v134, s62, v39
	s_or_b32 exec_lo, exec_lo, s40
	s_and_saveexec_b32 s40, s38
	s_cbranch_execz .LBB325_524
.LBB325_594:                            ;   in Loop: Header=BB325_418 Depth=2
	ds_read_u8 v39, v0 offset:768
	s_waitcnt lgkmcnt(0)
	v_lshrrev_b32_e32 v39, s61, v39
	v_and_b32_e32 v133, s62, v39
	s_or_b32 exec_lo, exec_lo, s40
	s_and_saveexec_b32 s40, s37
	s_cbranch_execz .LBB325_525
.LBB325_595:                            ;   in Loop: Header=BB325_418 Depth=2
	ds_read_u8 v39, v0 offset:1024
	s_waitcnt lgkmcnt(0)
	v_lshrrev_b32_e32 v39, s61, v39
	v_and_b32_e32 v132, s62, v39
	s_or_b32 exec_lo, exec_lo, s40
	s_and_saveexec_b32 s40, s36
	s_cbranch_execz .LBB325_526
.LBB325_596:                            ;   in Loop: Header=BB325_418 Depth=2
	ds_read_u8 v39, v0 offset:1280
	s_waitcnt lgkmcnt(0)
	v_lshrrev_b32_e32 v39, s61, v39
	v_and_b32_e32 v131, s62, v39
	s_or_b32 exec_lo, exec_lo, s40
	s_and_saveexec_b32 s40, s35
	s_cbranch_execz .LBB325_527
.LBB325_597:                            ;   in Loop: Header=BB325_418 Depth=2
	ds_read_u8 v39, v0 offset:1536
	s_waitcnt lgkmcnt(0)
	v_lshrrev_b32_e32 v39, s61, v39
	v_and_b32_e32 v130, s62, v39
	s_or_b32 exec_lo, exec_lo, s40
	s_and_saveexec_b32 s40, s34
	s_cbranch_execz .LBB325_528
.LBB325_598:                            ;   in Loop: Header=BB325_418 Depth=2
	ds_read_u8 v39, v0 offset:1792
	s_waitcnt lgkmcnt(0)
	v_lshrrev_b32_e32 v39, s61, v39
	v_and_b32_e32 v129, s62, v39
	s_or_b32 exec_lo, exec_lo, s40
	s_and_saveexec_b32 s40, s33
	s_cbranch_execz .LBB325_529
.LBB325_599:                            ;   in Loop: Header=BB325_418 Depth=2
	ds_read_u8 v39, v0 offset:2048
	s_waitcnt lgkmcnt(0)
	v_lshrrev_b32_e32 v39, s61, v39
	v_and_b32_e32 v128, s62, v39
	s_or_b32 exec_lo, exec_lo, s40
	s_and_saveexec_b32 s40, s31
	s_cbranch_execz .LBB325_530
.LBB325_600:                            ;   in Loop: Header=BB325_418 Depth=2
	ds_read_u8 v39, v0 offset:2304
	s_waitcnt lgkmcnt(0)
	v_lshrrev_b32_e32 v39, s61, v39
	v_and_b32_e32 v127, s62, v39
	s_or_b32 exec_lo, exec_lo, s40
	s_and_saveexec_b32 s40, s30
	s_cbranch_execz .LBB325_531
.LBB325_601:                            ;   in Loop: Header=BB325_418 Depth=2
	ds_read_u8 v39, v0 offset:2560
	s_waitcnt lgkmcnt(0)
	v_lshrrev_b32_e32 v39, s61, v39
	v_and_b32_e32 v126, s62, v39
	s_or_b32 exec_lo, exec_lo, s40
	s_and_saveexec_b32 s40, s29
	s_cbranch_execz .LBB325_532
.LBB325_602:                            ;   in Loop: Header=BB325_418 Depth=2
	ds_read_u8 v39, v0 offset:2816
	s_waitcnt lgkmcnt(0)
	v_lshrrev_b32_e32 v39, s61, v39
	v_and_b32_e32 v125, s62, v39
	s_or_b32 exec_lo, exec_lo, s40
	s_and_saveexec_b32 s40, s28
	s_cbranch_execz .LBB325_533
.LBB325_603:                            ;   in Loop: Header=BB325_418 Depth=2
	ds_read_u8 v39, v0 offset:3072
	s_waitcnt lgkmcnt(0)
	v_lshrrev_b32_e32 v39, s61, v39
	v_and_b32_e32 v124, s62, v39
	s_or_b32 exec_lo, exec_lo, s40
	s_and_saveexec_b32 s40, s27
	s_cbranch_execz .LBB325_534
.LBB325_604:                            ;   in Loop: Header=BB325_418 Depth=2
	ds_read_u8 v39, v0 offset:3328
	s_waitcnt lgkmcnt(0)
	v_lshrrev_b32_e32 v39, s61, v39
	v_and_b32_e32 v123, s62, v39
	s_or_b32 exec_lo, exec_lo, s40
	s_and_saveexec_b32 s40, s26
	s_cbranch_execz .LBB325_535
.LBB325_605:                            ;   in Loop: Header=BB325_418 Depth=2
	ds_read_u8 v39, v0 offset:3584
	s_waitcnt lgkmcnt(0)
	v_lshrrev_b32_e32 v39, s61, v39
	v_and_b32_e32 v122, s62, v39
	s_or_b32 exec_lo, exec_lo, s40
	s_and_saveexec_b32 s40, s25
	s_cbranch_execz .LBB325_536
.LBB325_606:                            ;   in Loop: Header=BB325_418 Depth=2
	ds_read_u8 v39, v0 offset:3840
	s_waitcnt lgkmcnt(0)
	v_lshrrev_b32_e32 v39, s61, v39
	v_and_b32_e32 v121, s62, v39
	s_or_b32 exec_lo, exec_lo, s40
	s_and_saveexec_b32 s40, s24
	s_cbranch_execz .LBB325_537
.LBB325_607:                            ;   in Loop: Header=BB325_418 Depth=2
	ds_read_u8 v39, v0 offset:4096
	s_waitcnt lgkmcnt(0)
	v_lshrrev_b32_e32 v39, s61, v39
	v_and_b32_e32 v120, s62, v39
	s_or_b32 exec_lo, exec_lo, s40
	s_and_saveexec_b32 s40, s23
	s_cbranch_execz .LBB325_538
.LBB325_608:                            ;   in Loop: Header=BB325_418 Depth=2
	ds_read_u8 v39, v0 offset:4352
	s_waitcnt lgkmcnt(0)
	v_lshrrev_b32_e32 v39, s61, v39
	v_and_b32_e32 v119, s62, v39
	s_or_b32 exec_lo, exec_lo, s40
	s_and_saveexec_b32 s40, vcc_lo
	s_cbranch_execnz .LBB325_539
	s_branch .LBB325_540
.LBB325_609:                            ;   in Loop: Header=BB325_418 Depth=2
	v_lshlrev_b32_e32 v3, 2, v134
	v_add_nc_u32_e32 v39, v0, v75
	ds_read_b32 v3, v3
	ds_read_b64 v[39:40], v39 offset:512
	s_waitcnt lgkmcnt(1)
	v_add_nc_u32_e32 v3, v3, v0
	v_lshlrev_b64 v[41:42], 3, v[3:4]
	v_add_co_u32 v41, s39, s54, v41
	v_add_co_ci_u32_e64 v42, null, s55, v42, s39
	s_waitcnt lgkmcnt(0)
	global_store_dwordx2 v[41:42], v[39:40], off
	s_or_b32 exec_lo, exec_lo, s40
	s_and_saveexec_b32 s39, s38
	s_cbranch_execz .LBB325_542
.LBB325_610:                            ;   in Loop: Header=BB325_418 Depth=2
	v_lshlrev_b32_e32 v3, 2, v133
	v_add_nc_u32_e32 v39, v0, v75
	ds_read_b32 v3, v3
	ds_read_b64 v[39:40], v39 offset:2560
	s_waitcnt lgkmcnt(1)
	v_add_nc_u32_e32 v3, v3, v44
	v_lshlrev_b64 v[41:42], 3, v[3:4]
	v_add_co_u32 v41, s38, s54, v41
	v_add_co_ci_u32_e64 v42, null, s55, v42, s38
	s_waitcnt lgkmcnt(0)
	global_store_dwordx2 v[41:42], v[39:40], off
	s_or_b32 exec_lo, exec_lo, s39
	s_and_saveexec_b32 s38, s37
	s_cbranch_execz .LBB325_543
.LBB325_611:                            ;   in Loop: Header=BB325_418 Depth=2
	v_lshlrev_b32_e32 v3, 2, v132
	v_add_nc_u32_e32 v39, v0, v75
	ds_read_b32 v3, v3
	ds_read_b64 v[39:40], v39 offset:4608
	s_waitcnt lgkmcnt(1)
	v_add_nc_u32_e32 v3, v3, v47
	v_lshlrev_b64 v[41:42], 3, v[3:4]
	v_add_co_u32 v41, s37, s54, v41
	v_add_co_ci_u32_e64 v42, null, s55, v42, s37
	s_waitcnt lgkmcnt(0)
	global_store_dwordx2 v[41:42], v[39:40], off
	s_or_b32 exec_lo, exec_lo, s38
	s_and_saveexec_b32 s37, s36
	s_cbranch_execz .LBB325_544
.LBB325_612:                            ;   in Loop: Header=BB325_418 Depth=2
	v_lshlrev_b32_e32 v3, 2, v131
	v_add_nc_u32_e32 v39, v0, v75
	ds_read_b32 v3, v3
	ds_read_b64 v[39:40], v39 offset:6656
	s_waitcnt lgkmcnt(1)
	v_add_nc_u32_e32 v3, v3, v48
	v_lshlrev_b64 v[41:42], 3, v[3:4]
	v_add_co_u32 v41, s36, s54, v41
	v_add_co_ci_u32_e64 v42, null, s55, v42, s36
	s_waitcnt lgkmcnt(0)
	global_store_dwordx2 v[41:42], v[39:40], off
	s_or_b32 exec_lo, exec_lo, s37
	s_and_saveexec_b32 s36, s35
	s_cbranch_execz .LBB325_545
.LBB325_613:                            ;   in Loop: Header=BB325_418 Depth=2
	v_lshlrev_b32_e32 v3, 2, v130
	v_add_nc_u32_e32 v39, v0, v75
	ds_read_b32 v3, v3
	ds_read_b64 v[39:40], v39 offset:8704
	s_waitcnt lgkmcnt(1)
	v_add_nc_u32_e32 v3, v3, v49
	v_lshlrev_b64 v[41:42], 3, v[3:4]
	v_add_co_u32 v41, s35, s54, v41
	v_add_co_ci_u32_e64 v42, null, s55, v42, s35
	s_waitcnt lgkmcnt(0)
	global_store_dwordx2 v[41:42], v[39:40], off
	s_or_b32 exec_lo, exec_lo, s36
	s_and_saveexec_b32 s35, s34
	s_cbranch_execz .LBB325_546
.LBB325_614:                            ;   in Loop: Header=BB325_418 Depth=2
	v_lshlrev_b32_e32 v3, 2, v129
	v_add_nc_u32_e32 v39, v0, v75
	ds_read_b32 v3, v3
	ds_read_b64 v[39:40], v39 offset:10752
	s_waitcnt lgkmcnt(1)
	v_add_nc_u32_e32 v3, v3, v50
	v_lshlrev_b64 v[41:42], 3, v[3:4]
	v_add_co_u32 v41, s34, s54, v41
	v_add_co_ci_u32_e64 v42, null, s55, v42, s34
	s_waitcnt lgkmcnt(0)
	global_store_dwordx2 v[41:42], v[39:40], off
	s_or_b32 exec_lo, exec_lo, s35
	s_and_saveexec_b32 s34, s33
	s_cbranch_execz .LBB325_547
.LBB325_615:                            ;   in Loop: Header=BB325_418 Depth=2
	v_lshlrev_b32_e32 v3, 2, v128
	v_add_nc_u32_e32 v39, v0, v75
	ds_read_b32 v3, v3
	ds_read_b64 v[39:40], v39 offset:12800
	s_waitcnt lgkmcnt(1)
	v_add_nc_u32_e32 v3, v3, v51
	v_lshlrev_b64 v[41:42], 3, v[3:4]
	v_add_co_u32 v41, s33, s54, v41
	v_add_co_ci_u32_e64 v42, null, s55, v42, s33
	s_waitcnt lgkmcnt(0)
	global_store_dwordx2 v[41:42], v[39:40], off
	s_or_b32 exec_lo, exec_lo, s34
	s_and_saveexec_b32 s33, s31
	s_cbranch_execz .LBB325_548
.LBB325_616:                            ;   in Loop: Header=BB325_418 Depth=2
	v_lshlrev_b32_e32 v3, 2, v127
	v_add_nc_u32_e32 v39, v0, v75
	ds_read_b32 v3, v3
	ds_read_b64 v[39:40], v39 offset:14848
	s_waitcnt lgkmcnt(1)
	v_add_nc_u32_e32 v3, v3, v52
	v_lshlrev_b64 v[41:42], 3, v[3:4]
	v_add_co_u32 v41, s31, s54, v41
	v_add_co_ci_u32_e64 v42, null, s55, v42, s31
	s_waitcnt lgkmcnt(0)
	global_store_dwordx2 v[41:42], v[39:40], off
	s_or_b32 exec_lo, exec_lo, s33
	s_and_saveexec_b32 s31, s30
	s_cbranch_execz .LBB325_549
.LBB325_617:                            ;   in Loop: Header=BB325_418 Depth=2
	v_lshlrev_b32_e32 v3, 2, v126
	v_add_nc_u32_e32 v39, v0, v75
	ds_read_b32 v3, v3
	ds_read_b64 v[39:40], v39 offset:16896
	s_waitcnt lgkmcnt(1)
	v_add_nc_u32_e32 v3, v3, v53
	v_lshlrev_b64 v[41:42], 3, v[3:4]
	v_add_co_u32 v41, s30, s54, v41
	v_add_co_ci_u32_e64 v42, null, s55, v42, s30
	s_waitcnt lgkmcnt(0)
	global_store_dwordx2 v[41:42], v[39:40], off
	s_or_b32 exec_lo, exec_lo, s31
	s_and_saveexec_b32 s30, s29
	s_cbranch_execz .LBB325_550
.LBB325_618:                            ;   in Loop: Header=BB325_418 Depth=2
	v_lshlrev_b32_e32 v3, 2, v125
	v_add_nc_u32_e32 v39, v0, v75
	ds_read_b32 v3, v3
	ds_read_b64 v[39:40], v39 offset:18944
	s_waitcnt lgkmcnt(1)
	v_add_nc_u32_e32 v3, v3, v54
	v_lshlrev_b64 v[41:42], 3, v[3:4]
	v_add_co_u32 v41, s29, s54, v41
	v_add_co_ci_u32_e64 v42, null, s55, v42, s29
	s_waitcnt lgkmcnt(0)
	global_store_dwordx2 v[41:42], v[39:40], off
	s_or_b32 exec_lo, exec_lo, s30
	s_and_saveexec_b32 s29, s28
	s_cbranch_execz .LBB325_551
.LBB325_619:                            ;   in Loop: Header=BB325_418 Depth=2
	v_lshlrev_b32_e32 v3, 2, v124
	v_add_nc_u32_e32 v39, v0, v75
	ds_read_b32 v3, v3
	ds_read_b64 v[39:40], v39 offset:20992
	s_waitcnt lgkmcnt(1)
	v_add_nc_u32_e32 v3, v3, v55
	v_lshlrev_b64 v[41:42], 3, v[3:4]
	v_add_co_u32 v41, s28, s54, v41
	v_add_co_ci_u32_e64 v42, null, s55, v42, s28
	s_waitcnt lgkmcnt(0)
	global_store_dwordx2 v[41:42], v[39:40], off
	s_or_b32 exec_lo, exec_lo, s29
	s_and_saveexec_b32 s28, s27
	s_cbranch_execz .LBB325_552
.LBB325_620:                            ;   in Loop: Header=BB325_418 Depth=2
	v_lshlrev_b32_e32 v3, 2, v123
	v_add_nc_u32_e32 v39, v0, v75
	ds_read_b32 v3, v3
	ds_read_b64 v[39:40], v39 offset:23040
	s_waitcnt lgkmcnt(1)
	v_add_nc_u32_e32 v3, v3, v56
	v_lshlrev_b64 v[41:42], 3, v[3:4]
	v_add_co_u32 v41, s27, s54, v41
	v_add_co_ci_u32_e64 v42, null, s55, v42, s27
	s_waitcnt lgkmcnt(0)
	global_store_dwordx2 v[41:42], v[39:40], off
	s_or_b32 exec_lo, exec_lo, s28
	s_and_saveexec_b32 s27, s26
	s_cbranch_execz .LBB325_553
.LBB325_621:                            ;   in Loop: Header=BB325_418 Depth=2
	v_lshlrev_b32_e32 v3, 2, v122
	v_add_nc_u32_e32 v39, v0, v75
	ds_read_b32 v3, v3
	ds_read_b64 v[39:40], v39 offset:25088
	s_waitcnt lgkmcnt(1)
	v_add_nc_u32_e32 v3, v3, v57
	v_lshlrev_b64 v[41:42], 3, v[3:4]
	v_add_co_u32 v41, s26, s54, v41
	v_add_co_ci_u32_e64 v42, null, s55, v42, s26
	s_waitcnt lgkmcnt(0)
	global_store_dwordx2 v[41:42], v[39:40], off
	s_or_b32 exec_lo, exec_lo, s27
	s_and_saveexec_b32 s26, s25
	s_cbranch_execz .LBB325_554
.LBB325_622:                            ;   in Loop: Header=BB325_418 Depth=2
	v_lshlrev_b32_e32 v3, 2, v121
	v_add_nc_u32_e32 v39, v0, v75
	ds_read_b32 v3, v3
	ds_read_b64 v[39:40], v39 offset:27136
	s_waitcnt lgkmcnt(1)
	v_add_nc_u32_e32 v3, v3, v58
	v_lshlrev_b64 v[41:42], 3, v[3:4]
	v_add_co_u32 v41, s25, s54, v41
	v_add_co_ci_u32_e64 v42, null, s55, v42, s25
	s_waitcnt lgkmcnt(0)
	global_store_dwordx2 v[41:42], v[39:40], off
	s_or_b32 exec_lo, exec_lo, s26
	s_and_saveexec_b32 s25, s24
	s_cbranch_execz .LBB325_555
.LBB325_623:                            ;   in Loop: Header=BB325_418 Depth=2
	v_lshlrev_b32_e32 v3, 2, v120
	v_add_nc_u32_e32 v39, v0, v75
	ds_read_b32 v3, v3
	ds_read_b64 v[39:40], v39 offset:29184
	s_waitcnt lgkmcnt(1)
	v_add_nc_u32_e32 v3, v3, v59
	v_lshlrev_b64 v[41:42], 3, v[3:4]
	v_add_co_u32 v41, s24, s54, v41
	v_add_co_ci_u32_e64 v42, null, s55, v42, s24
	s_waitcnt lgkmcnt(0)
	global_store_dwordx2 v[41:42], v[39:40], off
	s_or_b32 exec_lo, exec_lo, s25
	s_and_saveexec_b32 s24, s23
	s_cbranch_execz .LBB325_556
.LBB325_624:                            ;   in Loop: Header=BB325_418 Depth=2
	v_lshlrev_b32_e32 v3, 2, v119
	v_add_nc_u32_e32 v39, v0, v75
	ds_read_b32 v3, v3
	ds_read_b64 v[39:40], v39 offset:31232
	s_waitcnt lgkmcnt(1)
	v_add_nc_u32_e32 v3, v3, v60
	v_lshlrev_b64 v[41:42], 3, v[3:4]
	v_add_co_u32 v41, s23, s54, v41
	v_add_co_ci_u32_e64 v42, null, s55, v42, s23
	s_waitcnt lgkmcnt(0)
	global_store_dwordx2 v[41:42], v[39:40], off
	s_or_b32 exec_lo, exec_lo, s24
	s_and_saveexec_b32 s23, vcc_lo
	s_cbranch_execnz .LBB325_557
	s_branch .LBB325_558
.LBB325_625:                            ;   in Loop: Header=BB325_418 Depth=2
	global_load_ubyte v146, v[39:40], off
	v_mov_b32_e32 v117, 0x80
	v_mov_b32_e32 v147, 0x80
	;; [unrolled: 1-line block ×16, first 2 shown]
	s_or_b32 exec_lo, exec_lo, s23
	s_mov_b32 s23, exec_lo
	v_cmpx_gt_u32_e64 s63, v100
	s_cbranch_execz .LBB325_423
.LBB325_626:                            ;   in Loop: Header=BB325_418 Depth=2
	global_load_ubyte v147, v[39:40], off offset:32
	s_or_b32 exec_lo, exec_lo, s23
	s_mov_b32 s23, exec_lo
	v_cmpx_gt_u32_e64 s63, v101
	s_cbranch_execz .LBB325_424
.LBB325_627:                            ;   in Loop: Header=BB325_418 Depth=2
	global_load_ubyte v148, v[39:40], off offset:64
	s_or_b32 exec_lo, exec_lo, s23
	s_mov_b32 s23, exec_lo
	v_cmpx_gt_u32_e64 s63, v102
	s_cbranch_execz .LBB325_425
.LBB325_628:                            ;   in Loop: Header=BB325_418 Depth=2
	global_load_ubyte v151, v[39:40], off offset:96
	s_or_b32 exec_lo, exec_lo, s23
	s_mov_b32 s23, exec_lo
	v_cmpx_gt_u32_e64 s63, v103
	s_cbranch_execz .LBB325_426
.LBB325_629:                            ;   in Loop: Header=BB325_418 Depth=2
	global_load_ubyte v150, v[39:40], off offset:128
	s_or_b32 exec_lo, exec_lo, s23
	s_mov_b32 s23, exec_lo
	v_cmpx_gt_u32_e64 s63, v104
	s_cbranch_execz .LBB325_427
.LBB325_630:                            ;   in Loop: Header=BB325_418 Depth=2
	global_load_ubyte v143, v[39:40], off offset:160
	s_or_b32 exec_lo, exec_lo, s23
	s_mov_b32 s23, exec_lo
	v_cmpx_gt_u32_e64 s63, v105
	s_cbranch_execz .LBB325_428
.LBB325_631:                            ;   in Loop: Header=BB325_418 Depth=2
	global_load_ubyte v144, v[39:40], off offset:192
	s_or_b32 exec_lo, exec_lo, s23
	s_mov_b32 s23, exec_lo
	v_cmpx_gt_u32_e64 s63, v106
	s_cbranch_execz .LBB325_429
.LBB325_632:                            ;   in Loop: Header=BB325_418 Depth=2
	global_load_ubyte v145, v[39:40], off offset:224
	s_or_b32 exec_lo, exec_lo, s23
	s_mov_b32 s23, exec_lo
	v_cmpx_gt_u32_e64 s63, v107
	s_cbranch_execz .LBB325_430
.LBB325_633:                            ;   in Loop: Header=BB325_418 Depth=2
	global_load_ubyte v142, v[39:40], off offset:256
	s_or_b32 exec_lo, exec_lo, s23
	s_mov_b32 s23, exec_lo
	v_cmpx_gt_u32_e64 s63, v108
	s_cbranch_execz .LBB325_431
.LBB325_634:                            ;   in Loop: Header=BB325_418 Depth=2
	global_load_ubyte v139, v[39:40], off offset:288
	s_or_b32 exec_lo, exec_lo, s23
	s_mov_b32 s23, exec_lo
	v_cmpx_gt_u32_e64 s63, v109
	s_cbranch_execz .LBB325_432
.LBB325_635:                            ;   in Loop: Header=BB325_418 Depth=2
	global_load_ubyte v140, v[39:40], off offset:320
	s_or_b32 exec_lo, exec_lo, s23
	s_mov_b32 s23, exec_lo
	v_cmpx_gt_u32_e64 s63, v110
	s_cbranch_execz .LBB325_433
.LBB325_636:                            ;   in Loop: Header=BB325_418 Depth=2
	global_load_ubyte v141, v[39:40], off offset:352
	s_or_b32 exec_lo, exec_lo, s23
	s_mov_b32 s23, exec_lo
	v_cmpx_gt_u32_e64 s63, v111
	s_cbranch_execz .LBB325_434
.LBB325_637:                            ;   in Loop: Header=BB325_418 Depth=2
	global_load_ubyte v137, v[39:40], off offset:384
	s_or_b32 exec_lo, exec_lo, s23
	s_mov_b32 s23, exec_lo
	v_cmpx_gt_u32_e64 s63, v112
	s_cbranch_execz .LBB325_435
.LBB325_638:                            ;   in Loop: Header=BB325_418 Depth=2
	global_load_ubyte v3, v[39:40], off offset:416
	s_or_b32 exec_lo, exec_lo, s23
	s_mov_b32 s23, exec_lo
	v_cmpx_gt_u32_e64 s63, v113
	s_cbranch_execz .LBB325_436
.LBB325_639:                            ;   in Loop: Header=BB325_418 Depth=2
	global_load_ubyte v41, v[39:40], off offset:448
	s_or_b32 exec_lo, exec_lo, s23
	s_mov_b32 s23, exec_lo
	v_cmpx_gt_u32_e64 s63, v114
	s_cbranch_execnz .LBB325_437
	s_branch .LBB325_438
.LBB325_640:                            ;   in Loop: Header=BB325_20 Depth=1
	s_waitcnt lgkmcnt(0)
	s_barrier
.LBB325_641:                            ;   in Loop: Header=BB325_20 Depth=1
	s_mov_b32 s5, 0
.LBB325_642:                            ;   in Loop: Header=BB325_20 Depth=1
	s_andn2_b32 vcc_lo, exec_lo, s5
	s_cbranch_vccnz .LBB325_19
; %bb.643:                              ;   in Loop: Header=BB325_20 Depth=1
	s_and_b32 vcc_lo, exec_lo, s43
	s_mov_b32 s5, -1
	s_cbranch_vccz .LBB325_953
; %bb.644:                              ;   in Loop: Header=BB325_20 Depth=1
	v_mov_b32_e32 v17, 0
	v_mov_b32_e32 v20, 0
	;; [unrolled: 1-line block ×17, first 2 shown]
	s_mov_b32 s5, s60
	s_mov_b32 s17, s58
	s_barrier
	buffer_gl0_inv
	s_branch .LBB325_646
.LBB325_645:                            ;   in Loop: Header=BB325_646 Depth=2
	s_or_b32 exec_lo, exec_lo, s16
	s_addk_i32 s5, 0xef00
	s_cmp_ge_u32 s15, s59
	s_mov_b32 s17, s15
	s_cbranch_scc1 .LBB325_718
.LBB325_646:                            ;   Parent Loop BB325_20 Depth=1
                                        ; =>  This Inner Loop Header: Depth=2
	s_add_i32 s15, s17, 0x1100
	s_mov_b32 s16, -1
	s_cmp_gt_u32 s15, s59
                                        ; implicit-def: $vgpr21
                                        ; implicit-def: $vgpr22
                                        ; implicit-def: $vgpr23
                                        ; implicit-def: $vgpr24
                                        ; implicit-def: $vgpr25
                                        ; implicit-def: $vgpr26
                                        ; implicit-def: $vgpr27
                                        ; implicit-def: $vgpr28
                                        ; implicit-def: $vgpr29
                                        ; implicit-def: $vgpr30
                                        ; implicit-def: $vgpr31
                                        ; implicit-def: $vgpr32
                                        ; implicit-def: $vgpr33
                                        ; implicit-def: $vgpr34
                                        ; implicit-def: $vgpr35
                                        ; implicit-def: $vgpr36
                                        ; implicit-def: $vgpr37
	s_cbranch_scc1 .LBB325_648
; %bb.647:                              ;   in Loop: Header=BB325_646 Depth=2
	v_add_co_u32 v38, vcc_lo, v82, s17
	v_add_co_ci_u32_e64 v39, null, 0, v83, vcc_lo
	s_mov_b32 s16, 0
	v_add_co_u32 v21, vcc_lo, 0x800, v38
	v_add_co_ci_u32_e64 v22, null, 0, v39, vcc_lo
	v_add_co_u32 v23, vcc_lo, 0x1000, v38
	v_add_co_ci_u32_e64 v24, null, 0, v39, vcc_lo
	s_clause 0x10
	global_load_ubyte v36, v[21:22], off offset:1792
	global_load_ubyte v37, v[23:24], off
	global_load_ubyte v35, v[21:22], off offset:1536
	global_load_ubyte v34, v[21:22], off offset:1280
	;; [unrolled: 1-line block ×6, first 2 shown]
	global_load_ubyte v29, v[21:22], off
	global_load_ubyte v28, v[38:39], off offset:1792
	global_load_ubyte v27, v[38:39], off offset:1536
	;; [unrolled: 1-line block ×7, first 2 shown]
	global_load_ubyte v21, v[38:39], off
.LBB325_648:                            ;   in Loop: Header=BB325_646 Depth=2
	s_andn2_b32 vcc_lo, exec_lo, s16
	s_movk_i32 s16, 0x1100
	s_cbranch_vccnz .LBB325_668
; %bb.649:                              ;   in Loop: Header=BB325_646 Depth=2
	s_add_u32 s16, s44, s17
	s_addc_u32 s17, s45, 0
	s_mov_b32 s18, exec_lo
	v_cmpx_gt_u32_e64 s5, v0
	s_cbranch_execnz .LBB325_702
; %bb.650:                              ;   in Loop: Header=BB325_646 Depth=2
	s_or_b32 exec_lo, exec_lo, s18
	s_mov_b32 s18, exec_lo
	v_cmpx_gt_u32_e64 s5, v44
	s_cbranch_execnz .LBB325_703
.LBB325_651:                            ;   in Loop: Header=BB325_646 Depth=2
	s_or_b32 exec_lo, exec_lo, s18
	s_mov_b32 s18, exec_lo
	v_cmpx_gt_u32_e64 s5, v47
	s_cbranch_execnz .LBB325_704
.LBB325_652:                            ;   in Loop: Header=BB325_646 Depth=2
	s_or_b32 exec_lo, exec_lo, s18
	s_mov_b32 s18, exec_lo
	v_cmpx_gt_u32_e64 s5, v48
	s_cbranch_execnz .LBB325_705
.LBB325_653:                            ;   in Loop: Header=BB325_646 Depth=2
	s_or_b32 exec_lo, exec_lo, s18
	s_mov_b32 s18, exec_lo
	v_cmpx_gt_u32_e64 s5, v49
	s_cbranch_execnz .LBB325_706
.LBB325_654:                            ;   in Loop: Header=BB325_646 Depth=2
	s_or_b32 exec_lo, exec_lo, s18
	s_mov_b32 s18, exec_lo
	v_cmpx_gt_u32_e64 s5, v50
	s_cbranch_execnz .LBB325_707
.LBB325_655:                            ;   in Loop: Header=BB325_646 Depth=2
	s_or_b32 exec_lo, exec_lo, s18
	s_mov_b32 s18, exec_lo
	v_cmpx_gt_u32_e64 s5, v51
	s_cbranch_execnz .LBB325_708
.LBB325_656:                            ;   in Loop: Header=BB325_646 Depth=2
	s_or_b32 exec_lo, exec_lo, s18
	s_mov_b32 s18, exec_lo
	v_cmpx_gt_u32_e64 s5, v52
	s_cbranch_execnz .LBB325_709
.LBB325_657:                            ;   in Loop: Header=BB325_646 Depth=2
	s_or_b32 exec_lo, exec_lo, s18
	s_mov_b32 s18, exec_lo
	v_cmpx_gt_u32_e64 s5, v53
	s_cbranch_execnz .LBB325_710
.LBB325_658:                            ;   in Loop: Header=BB325_646 Depth=2
	s_or_b32 exec_lo, exec_lo, s18
	s_mov_b32 s18, exec_lo
	v_cmpx_gt_u32_e64 s5, v54
	s_cbranch_execnz .LBB325_711
.LBB325_659:                            ;   in Loop: Header=BB325_646 Depth=2
	s_or_b32 exec_lo, exec_lo, s18
	s_mov_b32 s18, exec_lo
	v_cmpx_gt_u32_e64 s5, v55
	s_cbranch_execnz .LBB325_712
.LBB325_660:                            ;   in Loop: Header=BB325_646 Depth=2
	s_or_b32 exec_lo, exec_lo, s18
	s_mov_b32 s18, exec_lo
	v_cmpx_gt_u32_e64 s5, v56
	s_cbranch_execnz .LBB325_713
.LBB325_661:                            ;   in Loop: Header=BB325_646 Depth=2
	s_or_b32 exec_lo, exec_lo, s18
	s_mov_b32 s18, exec_lo
	v_cmpx_gt_u32_e64 s5, v57
	s_cbranch_execnz .LBB325_714
.LBB325_662:                            ;   in Loop: Header=BB325_646 Depth=2
	s_or_b32 exec_lo, exec_lo, s18
	s_mov_b32 s18, exec_lo
	v_cmpx_gt_u32_e64 s5, v58
	s_cbranch_execnz .LBB325_715
.LBB325_663:                            ;   in Loop: Header=BB325_646 Depth=2
	s_or_b32 exec_lo, exec_lo, s18
	s_mov_b32 s18, exec_lo
	v_cmpx_gt_u32_e64 s5, v59
	s_cbranch_execnz .LBB325_716
.LBB325_664:                            ;   in Loop: Header=BB325_646 Depth=2
	s_or_b32 exec_lo, exec_lo, s18
	s_mov_b32 s18, exec_lo
	v_cmpx_gt_u32_e64 s5, v60
	s_cbranch_execnz .LBB325_717
.LBB325_665:                            ;   in Loop: Header=BB325_646 Depth=2
	s_or_b32 exec_lo, exec_lo, s18
	s_mov_b32 s18, exec_lo
	v_cmpx_gt_u32_e64 s5, v61
	s_cbranch_execz .LBB325_667
.LBB325_666:                            ;   in Loop: Header=BB325_646 Depth=2
	s_waitcnt vmcnt(0)
	v_add_co_u32 v21, s16, s16, v61
	v_add_co_ci_u32_e64 v22, null, s17, 0, s16
	global_load_ubyte v3, v[21:22], off
.LBB325_667:                            ;   in Loop: Header=BB325_646 Depth=2
	s_or_b32 exec_lo, exec_lo, s18
	s_waitcnt vmcnt(0)
	v_mov_b32_e32 v21, v17
	v_mov_b32_e32 v22, v20
	;; [unrolled: 1-line block ×17, first 2 shown]
	s_mov_b32 s16, s5
.LBB325_668:                            ;   in Loop: Header=BB325_646 Depth=2
	s_waitcnt vmcnt(15)
	v_mov_b32_e32 v3, v37
	v_mov_b32_e32 v5, v36
	s_waitcnt vmcnt(14)
	v_mov_b32_e32 v6, v35
	s_waitcnt vmcnt(13)
	;; [unrolled: 2-line block ×15, first 2 shown]
	v_mov_b32_e32 v17, v21
	s_mov_b32 s17, exec_lo
	v_cmpx_gt_u32_e64 s16, v0
	s_cbranch_execnz .LBB325_685
; %bb.669:                              ;   in Loop: Header=BB325_646 Depth=2
	s_or_b32 exec_lo, exec_lo, s17
	s_mov_b32 s17, exec_lo
	v_cmpx_gt_u32_e64 s16, v44
	s_cbranch_execnz .LBB325_686
.LBB325_670:                            ;   in Loop: Header=BB325_646 Depth=2
	s_or_b32 exec_lo, exec_lo, s17
	s_mov_b32 s17, exec_lo
	v_cmpx_gt_u32_e64 s16, v47
	s_cbranch_execnz .LBB325_687
.LBB325_671:                            ;   in Loop: Header=BB325_646 Depth=2
	s_or_b32 exec_lo, exec_lo, s17
	s_mov_b32 s17, exec_lo
	v_cmpx_gt_u32_e64 s16, v48
	s_cbranch_execnz .LBB325_688
.LBB325_672:                            ;   in Loop: Header=BB325_646 Depth=2
	s_or_b32 exec_lo, exec_lo, s17
	s_mov_b32 s17, exec_lo
	v_cmpx_gt_u32_e64 s16, v49
	s_cbranch_execnz .LBB325_689
.LBB325_673:                            ;   in Loop: Header=BB325_646 Depth=2
	s_or_b32 exec_lo, exec_lo, s17
	s_mov_b32 s17, exec_lo
	v_cmpx_gt_u32_e64 s16, v50
	s_cbranch_execnz .LBB325_690
.LBB325_674:                            ;   in Loop: Header=BB325_646 Depth=2
	s_or_b32 exec_lo, exec_lo, s17
	s_mov_b32 s17, exec_lo
	v_cmpx_gt_u32_e64 s16, v51
	s_cbranch_execnz .LBB325_691
.LBB325_675:                            ;   in Loop: Header=BB325_646 Depth=2
	s_or_b32 exec_lo, exec_lo, s17
	s_mov_b32 s17, exec_lo
	v_cmpx_gt_u32_e64 s16, v52
	s_cbranch_execnz .LBB325_692
.LBB325_676:                            ;   in Loop: Header=BB325_646 Depth=2
	s_or_b32 exec_lo, exec_lo, s17
	s_mov_b32 s17, exec_lo
	v_cmpx_gt_u32_e64 s16, v53
	s_cbranch_execnz .LBB325_693
.LBB325_677:                            ;   in Loop: Header=BB325_646 Depth=2
	s_or_b32 exec_lo, exec_lo, s17
	s_mov_b32 s17, exec_lo
	v_cmpx_gt_u32_e64 s16, v54
	s_cbranch_execnz .LBB325_694
.LBB325_678:                            ;   in Loop: Header=BB325_646 Depth=2
	s_or_b32 exec_lo, exec_lo, s17
	s_mov_b32 s17, exec_lo
	v_cmpx_gt_u32_e64 s16, v55
	s_cbranch_execnz .LBB325_695
.LBB325_679:                            ;   in Loop: Header=BB325_646 Depth=2
	s_or_b32 exec_lo, exec_lo, s17
	s_mov_b32 s17, exec_lo
	v_cmpx_gt_u32_e64 s16, v56
	s_cbranch_execnz .LBB325_696
.LBB325_680:                            ;   in Loop: Header=BB325_646 Depth=2
	s_or_b32 exec_lo, exec_lo, s17
	s_mov_b32 s17, exec_lo
	v_cmpx_gt_u32_e64 s16, v57
	s_cbranch_execnz .LBB325_697
.LBB325_681:                            ;   in Loop: Header=BB325_646 Depth=2
	s_or_b32 exec_lo, exec_lo, s17
	s_mov_b32 s17, exec_lo
	v_cmpx_gt_u32_e64 s16, v58
	s_cbranch_execnz .LBB325_698
.LBB325_682:                            ;   in Loop: Header=BB325_646 Depth=2
	s_or_b32 exec_lo, exec_lo, s17
	s_mov_b32 s17, exec_lo
	v_cmpx_gt_u32_e64 s16, v59
	s_cbranch_execnz .LBB325_699
.LBB325_683:                            ;   in Loop: Header=BB325_646 Depth=2
	s_or_b32 exec_lo, exec_lo, s17
	s_mov_b32 s17, exec_lo
	v_cmpx_gt_u32_e64 s16, v60
	s_cbranch_execnz .LBB325_700
.LBB325_684:                            ;   in Loop: Header=BB325_646 Depth=2
	s_or_b32 exec_lo, exec_lo, s17
	v_cmp_gt_u32_e32 vcc_lo, s16, v61
	s_and_saveexec_b32 s16, vcc_lo
	s_cbranch_execz .LBB325_645
	s_branch .LBB325_701
.LBB325_685:                            ;   in Loop: Header=BB325_646 Depth=2
	v_xor_b32_e32 v21, 0x7f, v17
	v_lshrrev_b32_sdwa v21, s41, v21 dst_sel:DWORD dst_unused:UNUSED_PAD src0_sel:DWORD src1_sel:BYTE_0
	v_and_b32_e32 v21, s62, v21
	v_lshl_or_b32 v21, v21, 4, v63
	ds_add_u32 v21, v89
	s_or_b32 exec_lo, exec_lo, s17
	s_mov_b32 s17, exec_lo
	v_cmpx_gt_u32_e64 s16, v44
	s_cbranch_execz .LBB325_670
.LBB325_686:                            ;   in Loop: Header=BB325_646 Depth=2
	v_xor_b32_e32 v21, 0x7f, v20
	v_lshrrev_b32_sdwa v21, s41, v21 dst_sel:DWORD dst_unused:UNUSED_PAD src0_sel:DWORD src1_sel:BYTE_0
	v_and_b32_e32 v21, s62, v21
	v_lshl_or_b32 v21, v21, 4, v63
	ds_add_u32 v21, v89
	s_or_b32 exec_lo, exec_lo, s17
	s_mov_b32 s17, exec_lo
	v_cmpx_gt_u32_e64 s16, v47
	s_cbranch_execz .LBB325_671
.LBB325_687:                            ;   in Loop: Header=BB325_646 Depth=2
	v_xor_b32_e32 v21, 0x7f, v19
	v_lshrrev_b32_sdwa v21, s41, v21 dst_sel:DWORD dst_unused:UNUSED_PAD src0_sel:DWORD src1_sel:BYTE_0
	v_and_b32_e32 v21, s62, v21
	v_lshl_or_b32 v21, v21, 4, v63
	ds_add_u32 v21, v89
	s_or_b32 exec_lo, exec_lo, s17
	s_mov_b32 s17, exec_lo
	v_cmpx_gt_u32_e64 s16, v48
	s_cbranch_execz .LBB325_672
.LBB325_688:                            ;   in Loop: Header=BB325_646 Depth=2
	v_xor_b32_e32 v21, 0x7f, v18
	v_lshrrev_b32_sdwa v21, s41, v21 dst_sel:DWORD dst_unused:UNUSED_PAD src0_sel:DWORD src1_sel:BYTE_0
	v_and_b32_e32 v21, s62, v21
	v_lshl_or_b32 v21, v21, 4, v63
	ds_add_u32 v21, v89
	s_or_b32 exec_lo, exec_lo, s17
	s_mov_b32 s17, exec_lo
	v_cmpx_gt_u32_e64 s16, v49
	s_cbranch_execz .LBB325_673
.LBB325_689:                            ;   in Loop: Header=BB325_646 Depth=2
	v_xor_b32_e32 v21, 0x7f, v16
	v_lshrrev_b32_sdwa v21, s41, v21 dst_sel:DWORD dst_unused:UNUSED_PAD src0_sel:DWORD src1_sel:BYTE_0
	v_and_b32_e32 v21, s62, v21
	v_lshl_or_b32 v21, v21, 4, v63
	ds_add_u32 v21, v89
	s_or_b32 exec_lo, exec_lo, s17
	s_mov_b32 s17, exec_lo
	v_cmpx_gt_u32_e64 s16, v50
	s_cbranch_execz .LBB325_674
.LBB325_690:                            ;   in Loop: Header=BB325_646 Depth=2
	v_xor_b32_e32 v21, 0x7f, v15
	v_lshrrev_b32_sdwa v21, s41, v21 dst_sel:DWORD dst_unused:UNUSED_PAD src0_sel:DWORD src1_sel:BYTE_0
	v_and_b32_e32 v21, s62, v21
	v_lshl_or_b32 v21, v21, 4, v63
	ds_add_u32 v21, v89
	s_or_b32 exec_lo, exec_lo, s17
	s_mov_b32 s17, exec_lo
	v_cmpx_gt_u32_e64 s16, v51
	s_cbranch_execz .LBB325_675
.LBB325_691:                            ;   in Loop: Header=BB325_646 Depth=2
	v_xor_b32_e32 v21, 0x7f, v14
	v_lshrrev_b32_sdwa v21, s41, v21 dst_sel:DWORD dst_unused:UNUSED_PAD src0_sel:DWORD src1_sel:BYTE_0
	v_and_b32_e32 v21, s62, v21
	v_lshl_or_b32 v21, v21, 4, v63
	ds_add_u32 v21, v89
	s_or_b32 exec_lo, exec_lo, s17
	s_mov_b32 s17, exec_lo
	v_cmpx_gt_u32_e64 s16, v52
	s_cbranch_execz .LBB325_676
.LBB325_692:                            ;   in Loop: Header=BB325_646 Depth=2
	v_xor_b32_e32 v21, 0x7f, v13
	v_lshrrev_b32_sdwa v21, s41, v21 dst_sel:DWORD dst_unused:UNUSED_PAD src0_sel:DWORD src1_sel:BYTE_0
	v_and_b32_e32 v21, s62, v21
	v_lshl_or_b32 v21, v21, 4, v63
	ds_add_u32 v21, v89
	s_or_b32 exec_lo, exec_lo, s17
	s_mov_b32 s17, exec_lo
	v_cmpx_gt_u32_e64 s16, v53
	s_cbranch_execz .LBB325_677
.LBB325_693:                            ;   in Loop: Header=BB325_646 Depth=2
	v_xor_b32_e32 v21, 0x7f, v12
	v_lshrrev_b32_sdwa v21, s41, v21 dst_sel:DWORD dst_unused:UNUSED_PAD src0_sel:DWORD src1_sel:BYTE_0
	v_and_b32_e32 v21, s62, v21
	v_lshl_or_b32 v21, v21, 4, v63
	ds_add_u32 v21, v89
	s_or_b32 exec_lo, exec_lo, s17
	s_mov_b32 s17, exec_lo
	v_cmpx_gt_u32_e64 s16, v54
	s_cbranch_execz .LBB325_678
.LBB325_694:                            ;   in Loop: Header=BB325_646 Depth=2
	v_xor_b32_e32 v21, 0x7f, v11
	v_lshrrev_b32_sdwa v21, s41, v21 dst_sel:DWORD dst_unused:UNUSED_PAD src0_sel:DWORD src1_sel:BYTE_0
	v_and_b32_e32 v21, s62, v21
	v_lshl_or_b32 v21, v21, 4, v63
	ds_add_u32 v21, v89
	s_or_b32 exec_lo, exec_lo, s17
	s_mov_b32 s17, exec_lo
	v_cmpx_gt_u32_e64 s16, v55
	s_cbranch_execz .LBB325_679
.LBB325_695:                            ;   in Loop: Header=BB325_646 Depth=2
	v_xor_b32_e32 v21, 0x7f, v10
	v_lshrrev_b32_sdwa v21, s41, v21 dst_sel:DWORD dst_unused:UNUSED_PAD src0_sel:DWORD src1_sel:BYTE_0
	v_and_b32_e32 v21, s62, v21
	v_lshl_or_b32 v21, v21, 4, v63
	ds_add_u32 v21, v89
	s_or_b32 exec_lo, exec_lo, s17
	s_mov_b32 s17, exec_lo
	v_cmpx_gt_u32_e64 s16, v56
	s_cbranch_execz .LBB325_680
.LBB325_696:                            ;   in Loop: Header=BB325_646 Depth=2
	v_xor_b32_e32 v21, 0x7f, v9
	v_lshrrev_b32_sdwa v21, s41, v21 dst_sel:DWORD dst_unused:UNUSED_PAD src0_sel:DWORD src1_sel:BYTE_0
	v_and_b32_e32 v21, s62, v21
	v_lshl_or_b32 v21, v21, 4, v63
	ds_add_u32 v21, v89
	s_or_b32 exec_lo, exec_lo, s17
	s_mov_b32 s17, exec_lo
	v_cmpx_gt_u32_e64 s16, v57
	s_cbranch_execz .LBB325_681
.LBB325_697:                            ;   in Loop: Header=BB325_646 Depth=2
	v_xor_b32_e32 v21, 0x7f, v8
	v_lshrrev_b32_sdwa v21, s41, v21 dst_sel:DWORD dst_unused:UNUSED_PAD src0_sel:DWORD src1_sel:BYTE_0
	v_and_b32_e32 v21, s62, v21
	v_lshl_or_b32 v21, v21, 4, v63
	ds_add_u32 v21, v89
	s_or_b32 exec_lo, exec_lo, s17
	s_mov_b32 s17, exec_lo
	v_cmpx_gt_u32_e64 s16, v58
	s_cbranch_execz .LBB325_682
.LBB325_698:                            ;   in Loop: Header=BB325_646 Depth=2
	v_xor_b32_e32 v21, 0x7f, v7
	v_lshrrev_b32_sdwa v21, s41, v21 dst_sel:DWORD dst_unused:UNUSED_PAD src0_sel:DWORD src1_sel:BYTE_0
	v_and_b32_e32 v21, s62, v21
	v_lshl_or_b32 v21, v21, 4, v63
	ds_add_u32 v21, v89
	s_or_b32 exec_lo, exec_lo, s17
	s_mov_b32 s17, exec_lo
	v_cmpx_gt_u32_e64 s16, v59
	s_cbranch_execz .LBB325_683
.LBB325_699:                            ;   in Loop: Header=BB325_646 Depth=2
	v_xor_b32_e32 v21, 0x7f, v6
	v_lshrrev_b32_sdwa v21, s41, v21 dst_sel:DWORD dst_unused:UNUSED_PAD src0_sel:DWORD src1_sel:BYTE_0
	v_and_b32_e32 v21, s62, v21
	v_lshl_or_b32 v21, v21, 4, v63
	ds_add_u32 v21, v89
	s_or_b32 exec_lo, exec_lo, s17
	s_mov_b32 s17, exec_lo
	v_cmpx_gt_u32_e64 s16, v60
	s_cbranch_execz .LBB325_684
.LBB325_700:                            ;   in Loop: Header=BB325_646 Depth=2
	v_xor_b32_e32 v21, 0x7f, v5
	v_lshrrev_b32_sdwa v21, s41, v21 dst_sel:DWORD dst_unused:UNUSED_PAD src0_sel:DWORD src1_sel:BYTE_0
	v_and_b32_e32 v21, s62, v21
	v_lshl_or_b32 v21, v21, 4, v63
	ds_add_u32 v21, v89
	s_or_b32 exec_lo, exec_lo, s17
	v_cmp_gt_u32_e32 vcc_lo, s16, v61
	s_and_saveexec_b32 s16, vcc_lo
	s_cbranch_execz .LBB325_645
.LBB325_701:                            ;   in Loop: Header=BB325_646 Depth=2
	v_xor_b32_e32 v21, 0x7f, v3
	v_lshrrev_b32_sdwa v21, s41, v21 dst_sel:DWORD dst_unused:UNUSED_PAD src0_sel:DWORD src1_sel:BYTE_0
	v_and_b32_e32 v21, s62, v21
	v_lshl_or_b32 v21, v21, 4, v63
	ds_add_u32 v21, v89
	s_branch .LBB325_645
.LBB325_702:                            ;   in Loop: Header=BB325_646 Depth=2
	s_waitcnt vmcnt(0)
	v_add_co_u32 v21, s19, s16, v0
	v_add_co_ci_u32_e64 v22, null, s17, 0, s19
	global_load_ubyte v17, v[21:22], off
	s_or_b32 exec_lo, exec_lo, s18
	s_mov_b32 s18, exec_lo
	v_cmpx_gt_u32_e64 s5, v44
	s_cbranch_execz .LBB325_651
.LBB325_703:                            ;   in Loop: Header=BB325_646 Depth=2
	v_add_co_u32 v20, s19, s16, v0
	s_waitcnt vmcnt(0)
	v_add_co_ci_u32_e64 v21, null, s17, 0, s19
	global_load_ubyte v20, v[20:21], off offset:256
	s_or_b32 exec_lo, exec_lo, s18
	s_mov_b32 s18, exec_lo
	v_cmpx_gt_u32_e64 s5, v47
	s_cbranch_execz .LBB325_652
.LBB325_704:                            ;   in Loop: Header=BB325_646 Depth=2
	s_waitcnt vmcnt(0)
	v_add_co_u32 v21, s19, s16, v0
	v_add_co_ci_u32_e64 v22, null, s17, 0, s19
	global_load_ubyte v19, v[21:22], off offset:512
	s_or_b32 exec_lo, exec_lo, s18
	s_mov_b32 s18, exec_lo
	v_cmpx_gt_u32_e64 s5, v48
	s_cbranch_execz .LBB325_653
.LBB325_705:                            ;   in Loop: Header=BB325_646 Depth=2
	s_waitcnt vmcnt(0)
	v_add_co_u32 v21, s19, s16, v0
	v_add_co_ci_u32_e64 v22, null, s17, 0, s19
	global_load_ubyte v18, v[21:22], off offset:768
	s_or_b32 exec_lo, exec_lo, s18
	s_mov_b32 s18, exec_lo
	v_cmpx_gt_u32_e64 s5, v49
	s_cbranch_execz .LBB325_654
.LBB325_706:                            ;   in Loop: Header=BB325_646 Depth=2
	s_waitcnt vmcnt(0)
	v_add_co_u32 v21, s19, s16, v0
	v_add_co_ci_u32_e64 v22, null, s17, 0, s19
	global_load_ubyte v16, v[21:22], off offset:1024
	s_or_b32 exec_lo, exec_lo, s18
	s_mov_b32 s18, exec_lo
	v_cmpx_gt_u32_e64 s5, v50
	s_cbranch_execz .LBB325_655
.LBB325_707:                            ;   in Loop: Header=BB325_646 Depth=2
	s_waitcnt vmcnt(0)
	v_add_co_u32 v21, s19, s16, v0
	v_add_co_ci_u32_e64 v22, null, s17, 0, s19
	global_load_ubyte v15, v[21:22], off offset:1280
	s_or_b32 exec_lo, exec_lo, s18
	s_mov_b32 s18, exec_lo
	v_cmpx_gt_u32_e64 s5, v51
	s_cbranch_execz .LBB325_656
.LBB325_708:                            ;   in Loop: Header=BB325_646 Depth=2
	s_waitcnt vmcnt(0)
	v_add_co_u32 v21, s19, s16, v0
	v_add_co_ci_u32_e64 v22, null, s17, 0, s19
	global_load_ubyte v14, v[21:22], off offset:1536
	s_or_b32 exec_lo, exec_lo, s18
	s_mov_b32 s18, exec_lo
	v_cmpx_gt_u32_e64 s5, v52
	s_cbranch_execz .LBB325_657
.LBB325_709:                            ;   in Loop: Header=BB325_646 Depth=2
	s_waitcnt vmcnt(0)
	v_add_co_u32 v21, s19, s16, v0
	v_add_co_ci_u32_e64 v22, null, s17, 0, s19
	global_load_ubyte v13, v[21:22], off offset:1792
	s_or_b32 exec_lo, exec_lo, s18
	s_mov_b32 s18, exec_lo
	v_cmpx_gt_u32_e64 s5, v53
	s_cbranch_execz .LBB325_658
.LBB325_710:                            ;   in Loop: Header=BB325_646 Depth=2
	s_waitcnt vmcnt(0)
	v_add_co_u32 v21, s19, s16, v53
	v_add_co_ci_u32_e64 v22, null, s17, 0, s19
	global_load_ubyte v12, v[21:22], off
	s_or_b32 exec_lo, exec_lo, s18
	s_mov_b32 s18, exec_lo
	v_cmpx_gt_u32_e64 s5, v54
	s_cbranch_execz .LBB325_659
.LBB325_711:                            ;   in Loop: Header=BB325_646 Depth=2
	s_waitcnt vmcnt(0)
	v_add_co_u32 v21, s19, s16, v54
	v_add_co_ci_u32_e64 v22, null, s17, 0, s19
	global_load_ubyte v11, v[21:22], off
	s_or_b32 exec_lo, exec_lo, s18
	s_mov_b32 s18, exec_lo
	v_cmpx_gt_u32_e64 s5, v55
	s_cbranch_execz .LBB325_660
.LBB325_712:                            ;   in Loop: Header=BB325_646 Depth=2
	s_waitcnt vmcnt(0)
	v_add_co_u32 v21, s19, s16, v55
	v_add_co_ci_u32_e64 v22, null, s17, 0, s19
	global_load_ubyte v10, v[21:22], off
	s_or_b32 exec_lo, exec_lo, s18
	s_mov_b32 s18, exec_lo
	v_cmpx_gt_u32_e64 s5, v56
	s_cbranch_execz .LBB325_661
.LBB325_713:                            ;   in Loop: Header=BB325_646 Depth=2
	s_waitcnt vmcnt(0)
	v_add_co_u32 v21, s19, s16, v56
	v_add_co_ci_u32_e64 v22, null, s17, 0, s19
	global_load_ubyte v9, v[21:22], off
	s_or_b32 exec_lo, exec_lo, s18
	s_mov_b32 s18, exec_lo
	v_cmpx_gt_u32_e64 s5, v57
	s_cbranch_execz .LBB325_662
.LBB325_714:                            ;   in Loop: Header=BB325_646 Depth=2
	s_waitcnt vmcnt(0)
	v_add_co_u32 v21, s19, s16, v57
	v_add_co_ci_u32_e64 v22, null, s17, 0, s19
	global_load_ubyte v8, v[21:22], off
	s_or_b32 exec_lo, exec_lo, s18
	s_mov_b32 s18, exec_lo
	v_cmpx_gt_u32_e64 s5, v58
	s_cbranch_execz .LBB325_663
.LBB325_715:                            ;   in Loop: Header=BB325_646 Depth=2
	s_waitcnt vmcnt(0)
	v_add_co_u32 v21, s19, s16, v58
	v_add_co_ci_u32_e64 v22, null, s17, 0, s19
	global_load_ubyte v7, v[21:22], off
	s_or_b32 exec_lo, exec_lo, s18
	s_mov_b32 s18, exec_lo
	v_cmpx_gt_u32_e64 s5, v59
	s_cbranch_execz .LBB325_664
.LBB325_716:                            ;   in Loop: Header=BB325_646 Depth=2
	s_waitcnt vmcnt(0)
	v_add_co_u32 v21, s19, s16, v59
	v_add_co_ci_u32_e64 v22, null, s17, 0, s19
	global_load_ubyte v6, v[21:22], off
	s_or_b32 exec_lo, exec_lo, s18
	s_mov_b32 s18, exec_lo
	v_cmpx_gt_u32_e64 s5, v60
	s_cbranch_execz .LBB325_665
.LBB325_717:                            ;   in Loop: Header=BB325_646 Depth=2
	s_waitcnt vmcnt(0)
	v_add_co_u32 v21, s19, s16, v60
	v_add_co_ci_u32_e64 v22, null, s17, 0, s19
	global_load_ubyte v5, v[21:22], off
	s_or_b32 exec_lo, exec_lo, s18
	s_mov_b32 s18, exec_lo
	v_cmpx_gt_u32_e64 s5, v61
	s_cbranch_execnz .LBB325_666
	s_branch .LBB325_667
.LBB325_718:                            ;   in Loop: Header=BB325_20 Depth=1
	v_mov_b32_e32 v3, 0
	s_waitcnt lgkmcnt(0)
	s_barrier
	buffer_gl0_inv
	s_and_saveexec_b32 s5, s8
	s_cbranch_execz .LBB325_720
; %bb.719:                              ;   in Loop: Header=BB325_20 Depth=1
	ds_read2_b64 v[5:8], v64 offset1:1
	s_waitcnt lgkmcnt(0)
	v_add_nc_u32_e32 v3, v6, v5
	v_add3_u32 v3, v3, v7, v8
.LBB325_720:                            ;   in Loop: Header=BB325_20 Depth=1
	s_or_b32 exec_lo, exec_lo, s5
	v_and_b32_e32 v5, 15, v86
	v_mov_b32_dpp v6, v3 row_shr:1 row_mask:0xf bank_mask:0xf
	v_and_b32_e32 v7, 16, v86
	v_cmp_eq_u32_e64 s5, 0, v5
	v_cmp_lt_u32_e64 s15, 1, v5
	v_cmp_lt_u32_e64 s16, 3, v5
	v_cmp_lt_u32_e64 s17, 7, v5
	v_cmp_eq_u32_e64 s18, 0, v7
	v_cndmask_b32_e64 v6, v6, 0, s5
	v_add_nc_u32_e32 v3, v6, v3
	v_mov_b32_dpp v6, v3 row_shr:2 row_mask:0xf bank_mask:0xf
	v_cndmask_b32_e64 v6, 0, v6, s15
	v_add_nc_u32_e32 v3, v3, v6
	v_mov_b32_dpp v6, v3 row_shr:4 row_mask:0xf bank_mask:0xf
	;; [unrolled: 3-line block ×3, first 2 shown]
	v_cndmask_b32_e64 v5, 0, v6, s17
	v_bfe_i32 v6, v86, 4, 1
	v_add_nc_u32_e32 v3, v3, v5
	ds_swizzle_b32 v5, v3 offset:swizzle(BROADCAST,32,15)
	s_waitcnt lgkmcnt(0)
	v_and_b32_e32 v5, v6, v5
	v_add_nc_u32_e32 v3, v3, v5
	s_and_saveexec_b32 s19, s9
; %bb.721:                              ;   in Loop: Header=BB325_20 Depth=1
	ds_write_b32 v65, v3
; %bb.722:                              ;   in Loop: Header=BB325_20 Depth=1
	s_or_b32 exec_lo, exec_lo, s19
	s_waitcnt lgkmcnt(0)
	s_barrier
	buffer_gl0_inv
	s_and_saveexec_b32 s19, s10
	s_cbranch_execz .LBB325_724
; %bb.723:                              ;   in Loop: Header=BB325_20 Depth=1
	ds_read_b32 v5, v66
	v_and_b32_e32 v6, 3, v86
	v_cmp_ne_u32_e32 vcc_lo, 0, v6
	s_waitcnt lgkmcnt(0)
	v_mov_b32_dpp v7, v5 row_shr:1 row_mask:0xf bank_mask:0xf
	v_cndmask_b32_e32 v7, 0, v7, vcc_lo
	v_cmp_lt_u32_e32 vcc_lo, 1, v6
	v_add_nc_u32_e32 v5, v7, v5
	v_mov_b32_dpp v7, v5 row_shr:2 row_mask:0xf bank_mask:0xf
	v_cndmask_b32_e32 v6, 0, v7, vcc_lo
	v_add_nc_u32_e32 v5, v5, v6
	ds_write_b32 v66, v5
.LBB325_724:                            ;   in Loop: Header=BB325_20 Depth=1
	s_or_b32 exec_lo, exec_lo, s19
	v_mov_b32_e32 v5, 0
	s_waitcnt lgkmcnt(0)
	s_barrier
	buffer_gl0_inv
	s_and_saveexec_b32 s19, s11
; %bb.725:                              ;   in Loop: Header=BB325_20 Depth=1
	ds_read_b32 v5, v67
; %bb.726:                              ;   in Loop: Header=BB325_20 Depth=1
	s_or_b32 exec_lo, exec_lo, s19
	v_sub_co_u32 v6, s19, v86, 1
	s_waitcnt lgkmcnt(0)
	v_add_nc_u32_e32 v3, v5, v3
	s_barrier
	v_cmp_gt_i32_e32 vcc_lo, 0, v6
	buffer_gl0_inv
	v_cndmask_b32_e32 v6, v6, v86, vcc_lo
	v_lshlrev_b32_e32 v94, 2, v6
	ds_bpermute_b32 v3, v94, v3
	s_and_saveexec_b32 s20, s8
	s_cbranch_execz .LBB325_728
; %bb.727:                              ;   in Loop: Header=BB325_20 Depth=1
	s_waitcnt lgkmcnt(0)
	v_cndmask_b32_e64 v3, v3, v5, s19
	v_add_nc_u32_e32 v3, s58, v3
	ds_write_b32 v43, v3
.LBB325_728:                            ;   in Loop: Header=BB325_20 Depth=1
	s_or_b32 exec_lo, exec_lo, s20
	s_load_dwordx2 s[20:21], s[56:57], 0x0
	v_and_b32_e32 v6, 7, v86
	v_lshlrev_b32_e32 v7, 3, v86
	v_or_b32_e32 v95, v86, v68
	v_add_co_u32 v96, vcc_lo, v87, v86
	v_add_co_ci_u32_e64 v97, null, 0, v88, vcc_lo
	v_add_co_u32 v98, vcc_lo, v84, v7
	v_add_co_ci_u32_e64 v99, null, 0, v85, vcc_lo
	v_add_nc_u32_e32 v100, 32, v95
	v_add_nc_u32_e32 v101, 64, v95
	;; [unrolled: 1-line block ×8, first 2 shown]
	s_waitcnt lgkmcnt(0)
	s_cmp_lt_u32 s7, s21
	v_add_nc_u32_e32 v108, 0x120, v95
	s_cselect_b32 s21, 14, 20
	v_add_nc_u32_e32 v109, 0x140, v95
	s_add_u32 s22, s56, s21
	s_addc_u32 s23, s57, 0
	s_cmp_lt_u32 s6, s20
	global_load_ushort v3, v4, s[22:23]
	s_cselect_b32 s20, 12, 18
	v_add_nc_u32_e32 v110, 0x160, v95
	s_add_u32 s20, s56, s20
	s_addc_u32 s21, s57, 0
	v_add_nc_u32_e32 v111, 0x180, v95
	global_load_ushort v5, v4, s[20:21]
	v_cmp_eq_u32_e64 s20, 0, v6
	v_cmp_lt_u32_e64 s21, 1, v6
	v_cmp_lt_u32_e64 s22, 3, v6
	v_add_nc_u32_e32 v112, 0x1a0, v95
	v_add_nc_u32_e32 v113, 0x1c0, v95
	;; [unrolled: 1-line block ×4, first 2 shown]
	v_mov_b32_e32 v117, 0
	s_mov_b32 s63, s60
	s_mov_b32 s50, s58
                                        ; implicit-def: $vgpr7_vgpr8
                                        ; implicit-def: $vgpr9_vgpr10
                                        ; implicit-def: $vgpr11_vgpr12
                                        ; implicit-def: $vgpr13_vgpr14
                                        ; implicit-def: $vgpr15_vgpr16
                                        ; implicit-def: $vgpr19_vgpr20
                                        ; implicit-def: $vgpr23_vgpr24
                                        ; implicit-def: $vgpr27_vgpr28
                                        ; implicit-def: $vgpr17_vgpr18
                                        ; implicit-def: $vgpr21_vgpr22
                                        ; implicit-def: $vgpr25_vgpr26
                                        ; implicit-def: $vgpr29_vgpr30
                                        ; implicit-def: $vgpr31_vgpr32
                                        ; implicit-def: $vgpr33_vgpr34
                                        ; implicit-def: $vgpr35_vgpr36
                                        ; implicit-def: $vgpr37_vgpr38
                                        ; implicit-def: $vgpr118
                                        ; implicit-def: $vgpr119
                                        ; implicit-def: $vgpr120
                                        ; implicit-def: $vgpr121
                                        ; implicit-def: $vgpr122
                                        ; implicit-def: $vgpr123
                                        ; implicit-def: $vgpr124
                                        ; implicit-def: $vgpr125
                                        ; implicit-def: $vgpr126
                                        ; implicit-def: $vgpr127
                                        ; implicit-def: $vgpr128
                                        ; implicit-def: $vgpr129
                                        ; implicit-def: $vgpr130
                                        ; implicit-def: $vgpr131
                                        ; implicit-def: $vgpr132
                                        ; implicit-def: $vgpr133
                                        ; implicit-def: $vgpr134
                                        ; implicit-def: $vgpr135
                                        ; implicit-def: $vgpr136
	s_waitcnt vmcnt(1)
	v_mad_u32_u24 v3, v2, v3, v1
	s_waitcnt vmcnt(0)
	v_mad_u64_u32 v[5:6], null, v3, v5, v[0:1]
	v_lshrrev_b32_e32 v3, 3, v5
                                        ; implicit-def: $vgpr5_vgpr6
	v_and_b32_e32 v116, 0x1ffffffc, v3
	s_branch .LBB325_730
.LBB325_729:                            ;   in Loop: Header=BB325_730 Depth=2
	s_or_b32 exec_lo, exec_lo, s23
	s_addk_i32 s63, 0xef00
	s_cmp_lt_u32 s64, s59
	s_mov_b32 s50, s64
	s_cbranch_scc0 .LBB325_952
.LBB325_730:                            ;   Parent Loop BB325_20 Depth=1
                                        ; =>  This Inner Loop Header: Depth=2
	s_add_i32 s64, s50, 0x1100
	s_cmp_gt_u32 s64, s59
	s_cbranch_scc1 .LBB325_732
; %bb.731:                              ;   in Loop: Header=BB325_730 Depth=2
	v_add_co_u32 v39, vcc_lo, v96, s50
	v_add_co_ci_u32_e64 v40, null, 0, v97, vcc_lo
	s_mov_b32 s23, -1
	s_clause 0xf
	global_load_ubyte v42, v[39:40], off offset:480
	global_load_ubyte v41, v[39:40], off offset:448
	;; [unrolled: 1-line block ×15, first 2 shown]
	global_load_ubyte v146, v[39:40], off
	s_movk_i32 s24, 0x1100
	s_cbranch_execz .LBB325_733
	s_branch .LBB325_751
.LBB325_732:                            ;   in Loop: Header=BB325_730 Depth=2
	s_mov_b32 s23, 0
                                        ; implicit-def: $vgpr146
                                        ; implicit-def: $vgpr147
                                        ; implicit-def: $vgpr148
                                        ; implicit-def: $vgpr151
                                        ; implicit-def: $vgpr150
                                        ; implicit-def: $vgpr143
                                        ; implicit-def: $vgpr144
                                        ; implicit-def: $vgpr145
                                        ; implicit-def: $vgpr142
                                        ; implicit-def: $vgpr139
                                        ; implicit-def: $vgpr140
                                        ; implicit-def: $vgpr141
                                        ; implicit-def: $vgpr137
                                        ; implicit-def: $vgpr3
                                        ; implicit-def: $vgpr41
                                        ; implicit-def: $vgpr42
                                        ; implicit-def: $vgpr117
	s_movk_i32 s24, 0x1100
.LBB325_733:                            ;   in Loop: Header=BB325_730 Depth=2
	v_add_co_u32 v39, vcc_lo, v96, s50
	v_add_co_ci_u32_e64 v40, null, 0, v97, vcc_lo
	v_mov_b32_e32 v117, 0x80
	s_waitcnt vmcnt(0)
	v_mov_b32_e32 v146, 0x80
	v_mov_b32_e32 v147, 0x80
	v_mov_b32_e32 v148, 0x80
	v_mov_b32_e32 v151, 0x80
	v_mov_b32_e32 v150, 0x80
	v_mov_b32_e32 v143, 0x80
	v_mov_b32_e32 v144, 0x80
	v_mov_b32_e32 v145, 0x80
	v_mov_b32_e32 v142, 0x80
	v_mov_b32_e32 v139, 0x80
	v_mov_b32_e32 v140, 0x80
	v_mov_b32_e32 v141, 0x80
	v_mov_b32_e32 v137, 0x80
	v_mov_b32_e32 v3, 0x80
	v_mov_b32_e32 v41, 0x80
	v_mov_b32_e32 v42, 0x80
	s_mov_b32 s23, exec_lo
	v_cmpx_gt_u32_e64 s63, v95
	s_cbranch_execnz .LBB325_937
; %bb.734:                              ;   in Loop: Header=BB325_730 Depth=2
	s_or_b32 exec_lo, exec_lo, s23
	s_mov_b32 s23, exec_lo
	v_cmpx_gt_u32_e64 s63, v100
	s_cbranch_execnz .LBB325_938
.LBB325_735:                            ;   in Loop: Header=BB325_730 Depth=2
	s_or_b32 exec_lo, exec_lo, s23
	s_mov_b32 s23, exec_lo
	v_cmpx_gt_u32_e64 s63, v101
	s_cbranch_execnz .LBB325_939
.LBB325_736:                            ;   in Loop: Header=BB325_730 Depth=2
	s_or_b32 exec_lo, exec_lo, s23
	s_mov_b32 s23, exec_lo
	v_cmpx_gt_u32_e64 s63, v102
	s_cbranch_execnz .LBB325_940
.LBB325_737:                            ;   in Loop: Header=BB325_730 Depth=2
	s_or_b32 exec_lo, exec_lo, s23
	s_mov_b32 s23, exec_lo
	v_cmpx_gt_u32_e64 s63, v103
	s_cbranch_execnz .LBB325_941
.LBB325_738:                            ;   in Loop: Header=BB325_730 Depth=2
	s_or_b32 exec_lo, exec_lo, s23
	s_mov_b32 s23, exec_lo
	v_cmpx_gt_u32_e64 s63, v104
	s_cbranch_execnz .LBB325_942
.LBB325_739:                            ;   in Loop: Header=BB325_730 Depth=2
	s_or_b32 exec_lo, exec_lo, s23
	s_mov_b32 s23, exec_lo
	v_cmpx_gt_u32_e64 s63, v105
	s_cbranch_execnz .LBB325_943
.LBB325_740:                            ;   in Loop: Header=BB325_730 Depth=2
	s_or_b32 exec_lo, exec_lo, s23
	s_mov_b32 s23, exec_lo
	v_cmpx_gt_u32_e64 s63, v106
	s_cbranch_execnz .LBB325_944
.LBB325_741:                            ;   in Loop: Header=BB325_730 Depth=2
	s_or_b32 exec_lo, exec_lo, s23
	s_mov_b32 s23, exec_lo
	v_cmpx_gt_u32_e64 s63, v107
	s_cbranch_execnz .LBB325_945
.LBB325_742:                            ;   in Loop: Header=BB325_730 Depth=2
	s_or_b32 exec_lo, exec_lo, s23
	s_mov_b32 s23, exec_lo
	v_cmpx_gt_u32_e64 s63, v108
	s_cbranch_execnz .LBB325_946
.LBB325_743:                            ;   in Loop: Header=BB325_730 Depth=2
	s_or_b32 exec_lo, exec_lo, s23
	s_mov_b32 s23, exec_lo
	v_cmpx_gt_u32_e64 s63, v109
	s_cbranch_execnz .LBB325_947
.LBB325_744:                            ;   in Loop: Header=BB325_730 Depth=2
	s_or_b32 exec_lo, exec_lo, s23
	s_mov_b32 s23, exec_lo
	v_cmpx_gt_u32_e64 s63, v110
	s_cbranch_execnz .LBB325_948
.LBB325_745:                            ;   in Loop: Header=BB325_730 Depth=2
	s_or_b32 exec_lo, exec_lo, s23
	s_mov_b32 s23, exec_lo
	v_cmpx_gt_u32_e64 s63, v111
	s_cbranch_execnz .LBB325_949
.LBB325_746:                            ;   in Loop: Header=BB325_730 Depth=2
	s_or_b32 exec_lo, exec_lo, s23
	s_mov_b32 s23, exec_lo
	v_cmpx_gt_u32_e64 s63, v112
	s_cbranch_execnz .LBB325_950
.LBB325_747:                            ;   in Loop: Header=BB325_730 Depth=2
	s_or_b32 exec_lo, exec_lo, s23
	s_mov_b32 s23, exec_lo
	v_cmpx_gt_u32_e64 s63, v113
	s_cbranch_execnz .LBB325_951
.LBB325_748:                            ;   in Loop: Header=BB325_730 Depth=2
	s_or_b32 exec_lo, exec_lo, s23
	s_mov_b32 s23, exec_lo
	v_cmpx_gt_u32_e64 s63, v114
	s_cbranch_execz .LBB325_750
.LBB325_749:                            ;   in Loop: Header=BB325_730 Depth=2
	global_load_ubyte v42, v[39:40], off offset:480
.LBB325_750:                            ;   in Loop: Header=BB325_730 Depth=2
	s_or_b32 exec_lo, exec_lo, s23
	v_cmp_gt_u32_e64 s23, s63, v115
	s_sub_i32 s24, s59, s50
.LBB325_751:                            ;   in Loop: Header=BB325_730 Depth=2
	v_mov_b32_e32 v138, s63
	s_and_saveexec_b32 s25, s23
	s_cbranch_execz .LBB325_753
; %bb.752:                              ;   in Loop: Header=BB325_730 Depth=2
	v_add_co_u32 v39, vcc_lo, v96, s50
	v_add_co_ci_u32_e64 v40, null, s51, v97, vcc_lo
	v_mov_b32_e32 v138, s24
	global_load_ubyte v117, v[39:40], off offset:512
.LBB325_753:                            ;   in Loop: Header=BB325_730 Depth=2
	s_or_b32 exec_lo, exec_lo, s25
	s_waitcnt vmcnt(0)
	v_xor_b32_e32 v39, 0x7f, v146
	ds_write2_b32 v69, v4, v4 offset0:136 offset1:137
	ds_write2_b32 v69, v4, v4 offset0:138 offset1:139
	ds_write_b32 v69, v4 offset:560
	s_waitcnt lgkmcnt(0)
	s_barrier
	v_and_b32_sdwa v40, v92, v39 dst_sel:DWORD dst_unused:UNUSED_PAD src0_sel:DWORD src1_sel:BYTE_0
	buffer_gl0_inv
	; wave barrier
	v_lshrrev_b32_e32 v40, s41, v40
	v_and_b32_e32 v149, s62, v40
	v_and_b32_e32 v40, 1, v149
	v_lshlrev_b32_e32 v146, 30, v149
	v_lshlrev_b32_e32 v152, 29, v149
	;; [unrolled: 1-line block ×4, first 2 shown]
	v_add_co_u32 v40, s23, v40, -1
	v_cndmask_b32_e64 v153, 0, 1, s23
	v_not_b32_e32 v157, v146
	v_cmp_gt_i32_e64 s23, 0, v146
	v_not_b32_e32 v146, v152
	v_lshlrev_b32_e32 v156, 26, v149
	v_cmp_ne_u32_e32 vcc_lo, 0, v153
	v_ashrrev_i32_e32 v157, 31, v157
	v_lshlrev_b32_e32 v153, 25, v149
	v_ashrrev_i32_e32 v146, 31, v146
	v_mul_u32_u24_e32 v149, 36, v149
	v_xor_b32_e32 v40, vcc_lo, v40
	v_cmp_gt_i32_e32 vcc_lo, 0, v152
	v_not_b32_e32 v152, v154
	v_xor_b32_e32 v157, s23, v157
	v_cmp_gt_i32_e64 s23, 0, v154
	v_and_b32_e32 v40, exec_lo, v40
	v_not_b32_e32 v154, v155
	v_ashrrev_i32_e32 v152, 31, v152
	v_xor_b32_e32 v146, vcc_lo, v146
	v_cmp_gt_i32_e32 vcc_lo, 0, v155
	v_and_b32_e32 v40, v40, v157
	v_not_b32_e32 v155, v156
	v_ashrrev_i32_e32 v154, 31, v154
	v_xor_b32_e32 v152, s23, v152
	v_cmp_gt_i32_e64 s23, 0, v156
	v_and_b32_e32 v40, v40, v146
	v_not_b32_e32 v146, v153
	v_ashrrev_i32_e32 v155, 31, v155
	v_xor_b32_e32 v154, vcc_lo, v154
	v_cmp_gt_i32_e32 vcc_lo, 0, v153
	v_and_b32_e32 v40, v40, v152
	v_ashrrev_i32_e32 v146, 31, v146
	v_xor_b32_e32 v152, s23, v155
	v_add_nc_u32_e32 v149, v116, v149
	v_and_b32_e32 v40, v40, v154
	v_xor_b32_e32 v146, vcc_lo, v146
	v_and_b32_e32 v40, v40, v152
	v_and_b32_e32 v40, v40, v146
	v_mbcnt_lo_u32_b32 v146, v40, 0
	v_cmp_ne_u32_e64 s23, 0, v40
	v_cmp_eq_u32_e32 vcc_lo, 0, v146
	s_and_b32 s24, s23, vcc_lo
	s_and_saveexec_b32 s23, s24
; %bb.754:                              ;   in Loop: Header=BB325_730 Depth=2
	v_bcnt_u32_b32 v40, v40, 0
	ds_write_b32 v149, v40 offset:544
; %bb.755:                              ;   in Loop: Header=BB325_730 Depth=2
	s_or_b32 exec_lo, exec_lo, s23
	v_xor_b32_sdwa v40, v147, v93 dst_sel:BYTE_1 dst_unused:UNUSED_PAD src0_sel:DWORD src1_sel:DWORD
	v_xor_b32_e32 v148, 0x7f, v148
	v_xor_b32_sdwa v151, v151, v93 dst_sel:BYTE_1 dst_unused:UNUSED_PAD src0_sel:DWORD src1_sel:DWORD
	; wave barrier
	v_or_b32_sdwa v147, v39, v40 dst_sel:DWORD dst_unused:UNUSED_PAD src0_sel:BYTE_0 src1_sel:DWORD
	v_or_b32_sdwa v39, v148, v151 dst_sel:WORD_1 dst_unused:UNUSED_PAD src0_sel:BYTE_0 src1_sel:DWORD
	v_or_b32_sdwa v148, v147, v39 dst_sel:DWORD dst_unused:UNUSED_PAD src0_sel:WORD_0 src1_sel:DWORD
	v_lshrrev_b32_sdwa v39, s41, v148 dst_sel:DWORD dst_unused:UNUSED_PAD src0_sel:DWORD src1_sel:BYTE_1
	v_and_b32_e32 v40, s62, v39
	v_and_b32_e32 v39, 1, v40
	v_lshlrev_b32_e32 v151, 30, v40
	v_lshlrev_b32_e32 v152, 29, v40
	;; [unrolled: 1-line block ×4, first 2 shown]
	v_add_co_u32 v39, s23, v39, -1
	v_cndmask_b32_e64 v153, 0, 1, s23
	v_not_b32_e32 v157, v151
	v_cmp_gt_i32_e64 s23, 0, v151
	v_not_b32_e32 v151, v152
	v_lshlrev_b32_e32 v156, 26, v40
	v_cmp_ne_u32_e32 vcc_lo, 0, v153
	v_ashrrev_i32_e32 v157, 31, v157
	v_lshlrev_b32_e32 v153, 25, v40
	v_ashrrev_i32_e32 v151, 31, v151
	v_xor_b32_e32 v39, vcc_lo, v39
	v_cmp_gt_i32_e32 vcc_lo, 0, v152
	v_not_b32_e32 v152, v154
	v_xor_b32_e32 v157, s23, v157
	v_cmp_gt_i32_e64 s23, 0, v154
	v_and_b32_e32 v39, exec_lo, v39
	v_not_b32_e32 v154, v155
	v_ashrrev_i32_e32 v152, 31, v152
	v_xor_b32_e32 v151, vcc_lo, v151
	v_cmp_gt_i32_e32 vcc_lo, 0, v155
	v_and_b32_e32 v39, v39, v157
	v_not_b32_e32 v155, v156
	v_ashrrev_i32_e32 v154, 31, v154
	v_xor_b32_e32 v152, s23, v152
	v_cmp_gt_i32_e64 s23, 0, v156
	v_and_b32_e32 v39, v39, v151
	v_not_b32_e32 v151, v153
	v_ashrrev_i32_e32 v155, 31, v155
	v_xor_b32_e32 v154, vcc_lo, v154
	v_cmp_gt_i32_e32 vcc_lo, 0, v153
	v_and_b32_e32 v39, v39, v152
	v_ashrrev_i32_e32 v151, 31, v151
	v_xor_b32_e32 v152, s23, v155
	v_mad_u32_u24 v153, v40, 36, v116
	v_mul_u32_u24_e32 v40, 36, v40
	v_and_b32_e32 v39, v39, v154
	v_xor_b32_e32 v154, vcc_lo, v151
	ds_read_b32 v151, v153 offset:544
	v_add_nc_u32_e32 v153, v116, v40
	v_and_b32_e32 v39, v39, v152
	; wave barrier
	v_and_b32_e32 v39, v39, v154
	v_mbcnt_lo_u32_b32 v152, v39, 0
	v_cmp_ne_u32_e64 s23, 0, v39
	v_cmp_eq_u32_e32 vcc_lo, 0, v152
	s_and_b32 s24, s23, vcc_lo
	s_and_saveexec_b32 s23, s24
	s_cbranch_execz .LBB325_757
; %bb.756:                              ;   in Loop: Header=BB325_730 Depth=2
	s_waitcnt lgkmcnt(0)
	v_bcnt_u32_b32 v39, v39, v151
	ds_write_b32 v153, v39 offset:544
.LBB325_757:                            ;   in Loop: Header=BB325_730 Depth=2
	s_or_b32 exec_lo, exec_lo, s23
	v_lshrrev_b32_sdwa v39, s41, v148 dst_sel:DWORD dst_unused:UNUSED_PAD src0_sel:DWORD src1_sel:BYTE_2
	; wave barrier
	v_and_b32_e32 v40, s62, v39
	v_and_b32_e32 v39, 1, v40
	v_lshlrev_b32_e32 v154, 30, v40
	v_lshlrev_b32_e32 v155, 29, v40
	;; [unrolled: 1-line block ×4, first 2 shown]
	v_add_co_u32 v39, s23, v39, -1
	v_cndmask_b32_e64 v156, 0, 1, s23
	v_not_b32_e32 v160, v154
	v_cmp_gt_i32_e64 s23, 0, v154
	v_not_b32_e32 v154, v155
	v_lshlrev_b32_e32 v159, 26, v40
	v_cmp_ne_u32_e32 vcc_lo, 0, v156
	v_ashrrev_i32_e32 v160, 31, v160
	v_lshlrev_b32_e32 v156, 25, v40
	v_ashrrev_i32_e32 v154, 31, v154
	v_xor_b32_e32 v39, vcc_lo, v39
	v_cmp_gt_i32_e32 vcc_lo, 0, v155
	v_not_b32_e32 v155, v157
	v_xor_b32_e32 v160, s23, v160
	v_cmp_gt_i32_e64 s23, 0, v157
	v_and_b32_e32 v39, exec_lo, v39
	v_not_b32_e32 v157, v158
	v_ashrrev_i32_e32 v155, 31, v155
	v_xor_b32_e32 v154, vcc_lo, v154
	v_cmp_gt_i32_e32 vcc_lo, 0, v158
	v_and_b32_e32 v39, v39, v160
	v_not_b32_e32 v158, v159
	v_ashrrev_i32_e32 v157, 31, v157
	v_xor_b32_e32 v155, s23, v155
	v_cmp_gt_i32_e64 s23, 0, v159
	v_and_b32_e32 v39, v39, v154
	v_not_b32_e32 v154, v156
	v_ashrrev_i32_e32 v158, 31, v158
	v_xor_b32_e32 v157, vcc_lo, v157
	v_cmp_gt_i32_e32 vcc_lo, 0, v156
	v_and_b32_e32 v39, v39, v155
	v_ashrrev_i32_e32 v154, 31, v154
	v_xor_b32_e32 v155, s23, v158
	v_mad_u32_u24 v156, v40, 36, v116
	v_mul_u32_u24_e32 v40, 36, v40
	v_and_b32_e32 v39, v39, v157
	v_xor_b32_e32 v157, vcc_lo, v154
	ds_read_b32 v154, v156 offset:544
	v_and_b32_e32 v39, v39, v155
	; wave barrier
	v_and_b32_e32 v39, v39, v157
	v_add_nc_u32_e32 v157, v116, v40
	v_mbcnt_lo_u32_b32 v155, v39, 0
	v_cmp_ne_u32_e64 s23, 0, v39
	v_cmp_eq_u32_e32 vcc_lo, 0, v155
	s_and_b32 s24, s23, vcc_lo
	s_and_saveexec_b32 s23, s24
	s_cbranch_execz .LBB325_759
; %bb.758:                              ;   in Loop: Header=BB325_730 Depth=2
	s_waitcnt lgkmcnt(0)
	v_bcnt_u32_b32 v39, v39, v154
	ds_write_b32 v157, v39 offset:544
.LBB325_759:                            ;   in Loop: Header=BB325_730 Depth=2
	s_or_b32 exec_lo, exec_lo, s23
	v_lshrrev_b32_e32 v156, 24, v148
	; wave barrier
	v_lshrrev_b32_e32 v39, s41, v156
	v_and_b32_e32 v40, s62, v39
	v_and_b32_e32 v39, 1, v40
	v_lshlrev_b32_e32 v158, 30, v40
	v_lshlrev_b32_e32 v159, 29, v40
	;; [unrolled: 1-line block ×4, first 2 shown]
	v_add_co_u32 v39, s23, v39, -1
	v_cndmask_b32_e64 v160, 0, 1, s23
	v_not_b32_e32 v164, v158
	v_cmp_gt_i32_e64 s23, 0, v158
	v_not_b32_e32 v158, v159
	v_lshlrev_b32_e32 v163, 26, v40
	v_cmp_ne_u32_e32 vcc_lo, 0, v160
	v_ashrrev_i32_e32 v164, 31, v164
	v_lshlrev_b32_e32 v160, 25, v40
	v_ashrrev_i32_e32 v158, 31, v158
	v_xor_b32_e32 v39, vcc_lo, v39
	v_cmp_gt_i32_e32 vcc_lo, 0, v159
	v_not_b32_e32 v159, v161
	v_xor_b32_e32 v164, s23, v164
	v_cmp_gt_i32_e64 s23, 0, v161
	v_and_b32_e32 v39, exec_lo, v39
	v_not_b32_e32 v161, v162
	v_ashrrev_i32_e32 v159, 31, v159
	v_xor_b32_e32 v158, vcc_lo, v158
	v_cmp_gt_i32_e32 vcc_lo, 0, v162
	v_and_b32_e32 v39, v39, v164
	v_not_b32_e32 v162, v163
	v_ashrrev_i32_e32 v161, 31, v161
	v_xor_b32_e32 v159, s23, v159
	v_cmp_gt_i32_e64 s23, 0, v163
	v_and_b32_e32 v39, v39, v158
	v_not_b32_e32 v158, v160
	v_ashrrev_i32_e32 v162, 31, v162
	v_xor_b32_e32 v161, vcc_lo, v161
	v_cmp_gt_i32_e32 vcc_lo, 0, v160
	v_and_b32_e32 v39, v39, v159
	v_ashrrev_i32_e32 v158, 31, v158
	v_xor_b32_e32 v159, s23, v162
	v_mad_u32_u24 v160, v40, 36, v116
	v_mul_u32_u24_e32 v40, 36, v40
	v_and_b32_e32 v39, v39, v161
	v_xor_b32_e32 v161, vcc_lo, v158
	ds_read_b32 v158, v160 offset:544
	v_add_nc_u32_e32 v160, v116, v40
	v_and_b32_e32 v39, v39, v159
	; wave barrier
	v_and_b32_e32 v39, v39, v161
	v_mbcnt_lo_u32_b32 v159, v39, 0
	v_cmp_ne_u32_e64 s23, 0, v39
	v_cmp_eq_u32_e32 vcc_lo, 0, v159
	s_and_b32 s24, s23, vcc_lo
	s_and_saveexec_b32 s23, s24
	s_cbranch_execz .LBB325_761
; %bb.760:                              ;   in Loop: Header=BB325_730 Depth=2
	s_waitcnt lgkmcnt(0)
	v_bcnt_u32_b32 v39, v39, v158
	ds_write_b32 v160, v39 offset:544
.LBB325_761:                            ;   in Loop: Header=BB325_730 Depth=2
	s_or_b32 exec_lo, exec_lo, s23
	v_xor_b32_e32 v39, 0x7f, v150
	; wave barrier
	v_and_b32_sdwa v40, v92, v39 dst_sel:DWORD dst_unused:UNUSED_PAD src0_sel:DWORD src1_sel:BYTE_0
	v_lshrrev_b32_e32 v40, s41, v40
	v_and_b32_e32 v162, s62, v40
	v_and_b32_e32 v40, 1, v162
	v_lshlrev_b32_e32 v150, 30, v162
	v_lshlrev_b32_e32 v161, 29, v162
	;; [unrolled: 1-line block ×4, first 2 shown]
	v_add_co_u32 v40, s23, v40, -1
	v_cndmask_b32_e64 v163, 0, 1, s23
	v_not_b32_e32 v167, v150
	v_cmp_gt_i32_e64 s23, 0, v150
	v_not_b32_e32 v150, v161
	v_lshlrev_b32_e32 v166, 26, v162
	v_cmp_ne_u32_e32 vcc_lo, 0, v163
	v_ashrrev_i32_e32 v167, 31, v167
	v_lshlrev_b32_e32 v163, 25, v162
	v_ashrrev_i32_e32 v150, 31, v150
	v_xor_b32_e32 v40, vcc_lo, v40
	v_cmp_gt_i32_e32 vcc_lo, 0, v161
	v_not_b32_e32 v161, v164
	v_xor_b32_e32 v167, s23, v167
	v_cmp_gt_i32_e64 s23, 0, v164
	v_and_b32_e32 v40, exec_lo, v40
	v_not_b32_e32 v164, v165
	v_ashrrev_i32_e32 v161, 31, v161
	v_xor_b32_e32 v150, vcc_lo, v150
	v_cmp_gt_i32_e32 vcc_lo, 0, v165
	v_and_b32_e32 v40, v40, v167
	v_not_b32_e32 v165, v166
	v_ashrrev_i32_e32 v164, 31, v164
	v_xor_b32_e32 v161, s23, v161
	v_cmp_gt_i32_e64 s23, 0, v166
	v_and_b32_e32 v40, v40, v150
	v_not_b32_e32 v150, v163
	v_ashrrev_i32_e32 v165, 31, v165
	v_xor_b32_e32 v164, vcc_lo, v164
	v_cmp_gt_i32_e32 vcc_lo, 0, v163
	v_and_b32_e32 v40, v40, v161
	v_ashrrev_i32_e32 v150, 31, v150
	v_xor_b32_e32 v161, s23, v165
	v_mad_u32_u24 v163, v162, 36, v116
	v_mul_u32_u24_e32 v162, 36, v162
	v_and_b32_e32 v40, v40, v164
	v_xor_b32_e32 v164, vcc_lo, v150
	ds_read_b32 v150, v163 offset:544
	v_add_nc_u32_e32 v162, v116, v162
	v_and_b32_e32 v40, v40, v161
	; wave barrier
	v_and_b32_e32 v40, v40, v164
	v_mbcnt_lo_u32_b32 v161, v40, 0
	v_cmp_ne_u32_e64 s23, 0, v40
	v_cmp_eq_u32_e32 vcc_lo, 0, v161
	s_and_b32 s24, s23, vcc_lo
	s_and_saveexec_b32 s23, s24
	s_cbranch_execz .LBB325_763
; %bb.762:                              ;   in Loop: Header=BB325_730 Depth=2
	s_waitcnt lgkmcnt(0)
	v_bcnt_u32_b32 v40, v40, v150
	ds_write_b32 v162, v40 offset:544
.LBB325_763:                            ;   in Loop: Header=BB325_730 Depth=2
	s_or_b32 exec_lo, exec_lo, s23
	v_xor_b32_sdwa v40, v143, v93 dst_sel:BYTE_1 dst_unused:UNUSED_PAD src0_sel:DWORD src1_sel:DWORD
	v_xor_b32_e32 v144, 0x7f, v144
	v_xor_b32_sdwa v145, v145, v93 dst_sel:BYTE_1 dst_unused:UNUSED_PAD src0_sel:DWORD src1_sel:DWORD
	; wave barrier
	v_or_b32_sdwa v143, v39, v40 dst_sel:DWORD dst_unused:UNUSED_PAD src0_sel:BYTE_0 src1_sel:DWORD
	v_or_b32_sdwa v39, v144, v145 dst_sel:WORD_1 dst_unused:UNUSED_PAD src0_sel:BYTE_0 src1_sel:DWORD
	v_or_b32_sdwa v144, v143, v39 dst_sel:DWORD dst_unused:UNUSED_PAD src0_sel:WORD_0 src1_sel:DWORD
	v_lshrrev_b32_sdwa v39, s41, v144 dst_sel:DWORD dst_unused:UNUSED_PAD src0_sel:DWORD src1_sel:BYTE_1
	v_and_b32_e32 v40, s62, v39
	v_and_b32_e32 v39, 1, v40
	v_lshlrev_b32_e32 v145, 30, v40
	v_lshlrev_b32_e32 v163, 29, v40
	;; [unrolled: 1-line block ×4, first 2 shown]
	v_add_co_u32 v39, s23, v39, -1
	v_cndmask_b32_e64 v164, 0, 1, s23
	v_not_b32_e32 v168, v145
	v_cmp_gt_i32_e64 s23, 0, v145
	v_not_b32_e32 v145, v163
	v_lshlrev_b32_e32 v167, 26, v40
	v_cmp_ne_u32_e32 vcc_lo, 0, v164
	v_ashrrev_i32_e32 v168, 31, v168
	v_lshlrev_b32_e32 v164, 25, v40
	v_ashrrev_i32_e32 v145, 31, v145
	v_xor_b32_e32 v39, vcc_lo, v39
	v_cmp_gt_i32_e32 vcc_lo, 0, v163
	v_not_b32_e32 v163, v165
	v_xor_b32_e32 v168, s23, v168
	v_cmp_gt_i32_e64 s23, 0, v165
	v_and_b32_e32 v39, exec_lo, v39
	v_not_b32_e32 v165, v166
	v_ashrrev_i32_e32 v163, 31, v163
	v_xor_b32_e32 v145, vcc_lo, v145
	v_cmp_gt_i32_e32 vcc_lo, 0, v166
	v_and_b32_e32 v39, v39, v168
	v_not_b32_e32 v166, v167
	v_ashrrev_i32_e32 v165, 31, v165
	v_xor_b32_e32 v163, s23, v163
	v_cmp_gt_i32_e64 s23, 0, v167
	v_and_b32_e32 v39, v39, v145
	v_not_b32_e32 v145, v164
	v_ashrrev_i32_e32 v166, 31, v166
	v_xor_b32_e32 v165, vcc_lo, v165
	v_cmp_gt_i32_e32 vcc_lo, 0, v164
	v_and_b32_e32 v39, v39, v163
	v_ashrrev_i32_e32 v145, 31, v145
	v_xor_b32_e32 v163, s23, v166
	v_mad_u32_u24 v164, v40, 36, v116
	v_mul_u32_u24_e32 v40, 36, v40
	v_and_b32_e32 v39, v39, v165
	v_xor_b32_e32 v165, vcc_lo, v145
	ds_read_b32 v145, v164 offset:544
	v_add_nc_u32_e32 v164, v116, v40
	v_and_b32_e32 v39, v39, v163
	; wave barrier
	v_and_b32_e32 v39, v39, v165
	v_mbcnt_lo_u32_b32 v163, v39, 0
	v_cmp_ne_u32_e64 s23, 0, v39
	v_cmp_eq_u32_e32 vcc_lo, 0, v163
	s_and_b32 s24, s23, vcc_lo
	s_and_saveexec_b32 s23, s24
	s_cbranch_execz .LBB325_765
; %bb.764:                              ;   in Loop: Header=BB325_730 Depth=2
	s_waitcnt lgkmcnt(0)
	v_bcnt_u32_b32 v39, v39, v145
	ds_write_b32 v164, v39 offset:544
.LBB325_765:                            ;   in Loop: Header=BB325_730 Depth=2
	s_or_b32 exec_lo, exec_lo, s23
	v_lshrrev_b32_sdwa v39, s41, v144 dst_sel:DWORD dst_unused:UNUSED_PAD src0_sel:DWORD src1_sel:BYTE_2
	; wave barrier
	v_and_b32_e32 v40, s62, v39
	v_and_b32_e32 v39, 1, v40
	v_lshlrev_b32_e32 v165, 30, v40
	v_lshlrev_b32_e32 v166, 29, v40
	;; [unrolled: 1-line block ×4, first 2 shown]
	v_add_co_u32 v39, s23, v39, -1
	v_cndmask_b32_e64 v167, 0, 1, s23
	v_not_b32_e32 v171, v165
	v_cmp_gt_i32_e64 s23, 0, v165
	v_not_b32_e32 v165, v166
	v_lshlrev_b32_e32 v170, 26, v40
	v_cmp_ne_u32_e32 vcc_lo, 0, v167
	v_ashrrev_i32_e32 v171, 31, v171
	v_lshlrev_b32_e32 v167, 25, v40
	v_ashrrev_i32_e32 v165, 31, v165
	v_xor_b32_e32 v39, vcc_lo, v39
	v_cmp_gt_i32_e32 vcc_lo, 0, v166
	v_not_b32_e32 v166, v168
	v_xor_b32_e32 v171, s23, v171
	v_cmp_gt_i32_e64 s23, 0, v168
	v_and_b32_e32 v39, exec_lo, v39
	v_not_b32_e32 v168, v169
	v_ashrrev_i32_e32 v166, 31, v166
	v_xor_b32_e32 v165, vcc_lo, v165
	v_cmp_gt_i32_e32 vcc_lo, 0, v169
	v_and_b32_e32 v39, v39, v171
	v_not_b32_e32 v169, v170
	v_ashrrev_i32_e32 v168, 31, v168
	v_xor_b32_e32 v166, s23, v166
	v_cmp_gt_i32_e64 s23, 0, v170
	v_and_b32_e32 v39, v39, v165
	v_not_b32_e32 v165, v167
	v_ashrrev_i32_e32 v169, 31, v169
	v_xor_b32_e32 v168, vcc_lo, v168
	v_cmp_gt_i32_e32 vcc_lo, 0, v167
	v_and_b32_e32 v39, v39, v166
	v_ashrrev_i32_e32 v165, 31, v165
	v_xor_b32_e32 v166, s23, v169
	v_mad_u32_u24 v167, v40, 36, v116
	v_mul_u32_u24_e32 v40, 36, v40
	v_and_b32_e32 v39, v39, v168
	v_xor_b32_e32 v168, vcc_lo, v165
	ds_read_b32 v165, v167 offset:544
	v_and_b32_e32 v39, v39, v166
	; wave barrier
	v_and_b32_e32 v39, v39, v168
	v_add_nc_u32_e32 v168, v116, v40
	v_mbcnt_lo_u32_b32 v166, v39, 0
	v_cmp_ne_u32_e64 s23, 0, v39
	v_cmp_eq_u32_e32 vcc_lo, 0, v166
	s_and_b32 s24, s23, vcc_lo
	s_and_saveexec_b32 s23, s24
	s_cbranch_execz .LBB325_767
; %bb.766:                              ;   in Loop: Header=BB325_730 Depth=2
	s_waitcnt lgkmcnt(0)
	v_bcnt_u32_b32 v39, v39, v165
	ds_write_b32 v168, v39 offset:544
.LBB325_767:                            ;   in Loop: Header=BB325_730 Depth=2
	s_or_b32 exec_lo, exec_lo, s23
	v_lshrrev_b32_e32 v167, 24, v144
	; wave barrier
	v_lshrrev_b32_e32 v39, s41, v167
	v_and_b32_e32 v40, s62, v39
	v_and_b32_e32 v39, 1, v40
	v_lshlrev_b32_e32 v169, 30, v40
	v_lshlrev_b32_e32 v170, 29, v40
	;; [unrolled: 1-line block ×4, first 2 shown]
	v_add_co_u32 v39, s23, v39, -1
	v_cndmask_b32_e64 v171, 0, 1, s23
	v_not_b32_e32 v175, v169
	v_cmp_gt_i32_e64 s23, 0, v169
	v_not_b32_e32 v169, v170
	v_lshlrev_b32_e32 v174, 26, v40
	v_cmp_ne_u32_e32 vcc_lo, 0, v171
	v_ashrrev_i32_e32 v175, 31, v175
	v_lshlrev_b32_e32 v171, 25, v40
	v_ashrrev_i32_e32 v169, 31, v169
	v_xor_b32_e32 v39, vcc_lo, v39
	v_cmp_gt_i32_e32 vcc_lo, 0, v170
	v_not_b32_e32 v170, v172
	v_xor_b32_e32 v175, s23, v175
	v_cmp_gt_i32_e64 s23, 0, v172
	v_and_b32_e32 v39, exec_lo, v39
	v_not_b32_e32 v172, v173
	v_ashrrev_i32_e32 v170, 31, v170
	v_xor_b32_e32 v169, vcc_lo, v169
	v_cmp_gt_i32_e32 vcc_lo, 0, v173
	v_and_b32_e32 v39, v39, v175
	v_not_b32_e32 v173, v174
	v_ashrrev_i32_e32 v172, 31, v172
	v_xor_b32_e32 v170, s23, v170
	v_cmp_gt_i32_e64 s23, 0, v174
	v_and_b32_e32 v39, v39, v169
	v_not_b32_e32 v169, v171
	v_ashrrev_i32_e32 v173, 31, v173
	v_xor_b32_e32 v172, vcc_lo, v172
	v_cmp_gt_i32_e32 vcc_lo, 0, v171
	v_and_b32_e32 v39, v39, v170
	v_ashrrev_i32_e32 v169, 31, v169
	v_xor_b32_e32 v170, s23, v173
	v_mad_u32_u24 v171, v40, 36, v116
	v_mul_u32_u24_e32 v40, 36, v40
	v_and_b32_e32 v39, v39, v172
	v_xor_b32_e32 v172, vcc_lo, v169
	ds_read_b32 v169, v171 offset:544
	v_add_nc_u32_e32 v171, v116, v40
	v_and_b32_e32 v39, v39, v170
	; wave barrier
	v_and_b32_e32 v39, v39, v172
	v_mbcnt_lo_u32_b32 v170, v39, 0
	v_cmp_ne_u32_e64 s23, 0, v39
	v_cmp_eq_u32_e32 vcc_lo, 0, v170
	s_and_b32 s24, s23, vcc_lo
	s_and_saveexec_b32 s23, s24
	s_cbranch_execz .LBB325_769
; %bb.768:                              ;   in Loop: Header=BB325_730 Depth=2
	s_waitcnt lgkmcnt(0)
	v_bcnt_u32_b32 v39, v39, v169
	ds_write_b32 v171, v39 offset:544
.LBB325_769:                            ;   in Loop: Header=BB325_730 Depth=2
	s_or_b32 exec_lo, exec_lo, s23
	v_xor_b32_e32 v39, 0x7f, v142
	; wave barrier
	v_and_b32_sdwa v40, v92, v39 dst_sel:DWORD dst_unused:UNUSED_PAD src0_sel:DWORD src1_sel:BYTE_0
	v_lshrrev_b32_e32 v40, s41, v40
	v_and_b32_e32 v173, s62, v40
	v_and_b32_e32 v40, 1, v173
	v_lshlrev_b32_e32 v142, 30, v173
	v_lshlrev_b32_e32 v172, 29, v173
	;; [unrolled: 1-line block ×4, first 2 shown]
	v_add_co_u32 v40, s23, v40, -1
	v_cndmask_b32_e64 v174, 0, 1, s23
	v_not_b32_e32 v178, v142
	v_cmp_gt_i32_e64 s23, 0, v142
	v_not_b32_e32 v142, v172
	v_lshlrev_b32_e32 v177, 26, v173
	v_cmp_ne_u32_e32 vcc_lo, 0, v174
	v_ashrrev_i32_e32 v178, 31, v178
	v_lshlrev_b32_e32 v174, 25, v173
	v_ashrrev_i32_e32 v142, 31, v142
	v_xor_b32_e32 v40, vcc_lo, v40
	v_cmp_gt_i32_e32 vcc_lo, 0, v172
	v_not_b32_e32 v172, v175
	v_xor_b32_e32 v178, s23, v178
	v_cmp_gt_i32_e64 s23, 0, v175
	v_and_b32_e32 v40, exec_lo, v40
	v_not_b32_e32 v175, v176
	v_ashrrev_i32_e32 v172, 31, v172
	v_xor_b32_e32 v142, vcc_lo, v142
	v_cmp_gt_i32_e32 vcc_lo, 0, v176
	v_and_b32_e32 v40, v40, v178
	v_not_b32_e32 v176, v177
	v_ashrrev_i32_e32 v175, 31, v175
	v_xor_b32_e32 v172, s23, v172
	v_cmp_gt_i32_e64 s23, 0, v177
	v_and_b32_e32 v40, v40, v142
	v_not_b32_e32 v142, v174
	v_ashrrev_i32_e32 v176, 31, v176
	v_xor_b32_e32 v175, vcc_lo, v175
	v_cmp_gt_i32_e32 vcc_lo, 0, v174
	v_and_b32_e32 v40, v40, v172
	v_ashrrev_i32_e32 v142, 31, v142
	v_xor_b32_e32 v172, s23, v176
	v_mad_u32_u24 v174, v173, 36, v116
	v_mul_u32_u24_e32 v173, 36, v173
	v_and_b32_e32 v40, v40, v175
	v_xor_b32_e32 v175, vcc_lo, v142
	ds_read_b32 v142, v174 offset:544
	v_add_nc_u32_e32 v173, v116, v173
	v_and_b32_e32 v40, v40, v172
	; wave barrier
	v_and_b32_e32 v40, v40, v175
	v_mbcnt_lo_u32_b32 v172, v40, 0
	v_cmp_ne_u32_e64 s23, 0, v40
	v_cmp_eq_u32_e32 vcc_lo, 0, v172
	s_and_b32 s24, s23, vcc_lo
	s_and_saveexec_b32 s23, s24
	s_cbranch_execz .LBB325_771
; %bb.770:                              ;   in Loop: Header=BB325_730 Depth=2
	s_waitcnt lgkmcnt(0)
	v_bcnt_u32_b32 v40, v40, v142
	ds_write_b32 v173, v40 offset:544
.LBB325_771:                            ;   in Loop: Header=BB325_730 Depth=2
	s_or_b32 exec_lo, exec_lo, s23
	v_xor_b32_sdwa v40, v139, v93 dst_sel:BYTE_1 dst_unused:UNUSED_PAD src0_sel:DWORD src1_sel:DWORD
	v_xor_b32_e32 v140, 0x7f, v140
	v_xor_b32_sdwa v141, v141, v93 dst_sel:BYTE_1 dst_unused:UNUSED_PAD src0_sel:DWORD src1_sel:DWORD
	; wave barrier
	v_or_b32_sdwa v139, v39, v40 dst_sel:DWORD dst_unused:UNUSED_PAD src0_sel:BYTE_0 src1_sel:DWORD
	v_or_b32_sdwa v39, v140, v141 dst_sel:WORD_1 dst_unused:UNUSED_PAD src0_sel:BYTE_0 src1_sel:DWORD
	v_or_b32_sdwa v140, v139, v39 dst_sel:DWORD dst_unused:UNUSED_PAD src0_sel:WORD_0 src1_sel:DWORD
	v_lshrrev_b32_sdwa v39, s41, v140 dst_sel:DWORD dst_unused:UNUSED_PAD src0_sel:DWORD src1_sel:BYTE_1
	v_and_b32_e32 v40, s62, v39
	v_and_b32_e32 v39, 1, v40
	v_lshlrev_b32_e32 v141, 30, v40
	v_lshlrev_b32_e32 v174, 29, v40
	v_lshlrev_b32_e32 v176, 28, v40
	v_lshlrev_b32_e32 v177, 27, v40
	v_add_co_u32 v39, s23, v39, -1
	v_cndmask_b32_e64 v175, 0, 1, s23
	v_not_b32_e32 v179, v141
	v_cmp_gt_i32_e64 s23, 0, v141
	v_not_b32_e32 v141, v174
	v_lshlrev_b32_e32 v178, 26, v40
	v_cmp_ne_u32_e32 vcc_lo, 0, v175
	v_ashrrev_i32_e32 v179, 31, v179
	v_lshlrev_b32_e32 v175, 25, v40
	v_ashrrev_i32_e32 v141, 31, v141
	v_xor_b32_e32 v39, vcc_lo, v39
	v_cmp_gt_i32_e32 vcc_lo, 0, v174
	v_not_b32_e32 v174, v176
	v_xor_b32_e32 v179, s23, v179
	v_cmp_gt_i32_e64 s23, 0, v176
	v_and_b32_e32 v39, exec_lo, v39
	v_not_b32_e32 v176, v177
	v_ashrrev_i32_e32 v174, 31, v174
	v_xor_b32_e32 v141, vcc_lo, v141
	v_cmp_gt_i32_e32 vcc_lo, 0, v177
	v_and_b32_e32 v39, v39, v179
	v_not_b32_e32 v177, v178
	v_ashrrev_i32_e32 v176, 31, v176
	v_xor_b32_e32 v174, s23, v174
	v_cmp_gt_i32_e64 s23, 0, v178
	v_and_b32_e32 v39, v39, v141
	v_not_b32_e32 v141, v175
	v_ashrrev_i32_e32 v177, 31, v177
	v_xor_b32_e32 v176, vcc_lo, v176
	v_cmp_gt_i32_e32 vcc_lo, 0, v175
	v_and_b32_e32 v39, v39, v174
	v_ashrrev_i32_e32 v141, 31, v141
	v_xor_b32_e32 v174, s23, v177
	v_mad_u32_u24 v175, v40, 36, v116
	v_mul_u32_u24_e32 v40, 36, v40
	v_and_b32_e32 v39, v39, v176
	v_xor_b32_e32 v176, vcc_lo, v141
	ds_read_b32 v141, v175 offset:544
	v_add_nc_u32_e32 v175, v116, v40
	v_and_b32_e32 v39, v39, v174
	; wave barrier
	v_and_b32_e32 v39, v39, v176
	v_mbcnt_lo_u32_b32 v174, v39, 0
	v_cmp_ne_u32_e64 s23, 0, v39
	v_cmp_eq_u32_e32 vcc_lo, 0, v174
	s_and_b32 s24, s23, vcc_lo
	s_and_saveexec_b32 s23, s24
	s_cbranch_execz .LBB325_773
; %bb.772:                              ;   in Loop: Header=BB325_730 Depth=2
	s_waitcnt lgkmcnt(0)
	v_bcnt_u32_b32 v39, v39, v141
	ds_write_b32 v175, v39 offset:544
.LBB325_773:                            ;   in Loop: Header=BB325_730 Depth=2
	s_or_b32 exec_lo, exec_lo, s23
	v_lshrrev_b32_sdwa v39, s41, v140 dst_sel:DWORD dst_unused:UNUSED_PAD src0_sel:DWORD src1_sel:BYTE_2
	; wave barrier
	v_and_b32_e32 v40, s62, v39
	v_and_b32_e32 v39, 1, v40
	v_lshlrev_b32_e32 v176, 30, v40
	v_lshlrev_b32_e32 v177, 29, v40
	;; [unrolled: 1-line block ×4, first 2 shown]
	v_add_co_u32 v39, s23, v39, -1
	v_cndmask_b32_e64 v178, 0, 1, s23
	v_not_b32_e32 v182, v176
	v_cmp_gt_i32_e64 s23, 0, v176
	v_not_b32_e32 v176, v177
	v_lshlrev_b32_e32 v181, 26, v40
	v_cmp_ne_u32_e32 vcc_lo, 0, v178
	v_ashrrev_i32_e32 v182, 31, v182
	v_lshlrev_b32_e32 v178, 25, v40
	v_ashrrev_i32_e32 v176, 31, v176
	v_xor_b32_e32 v39, vcc_lo, v39
	v_cmp_gt_i32_e32 vcc_lo, 0, v177
	v_not_b32_e32 v177, v179
	v_xor_b32_e32 v182, s23, v182
	v_cmp_gt_i32_e64 s23, 0, v179
	v_and_b32_e32 v39, exec_lo, v39
	v_not_b32_e32 v179, v180
	v_ashrrev_i32_e32 v177, 31, v177
	v_xor_b32_e32 v176, vcc_lo, v176
	v_cmp_gt_i32_e32 vcc_lo, 0, v180
	v_and_b32_e32 v39, v39, v182
	v_not_b32_e32 v180, v181
	v_ashrrev_i32_e32 v179, 31, v179
	v_xor_b32_e32 v177, s23, v177
	v_cmp_gt_i32_e64 s23, 0, v181
	v_and_b32_e32 v39, v39, v176
	v_not_b32_e32 v176, v178
	v_ashrrev_i32_e32 v180, 31, v180
	v_xor_b32_e32 v179, vcc_lo, v179
	v_cmp_gt_i32_e32 vcc_lo, 0, v178
	v_and_b32_e32 v39, v39, v177
	v_ashrrev_i32_e32 v176, 31, v176
	v_xor_b32_e32 v177, s23, v180
	v_mad_u32_u24 v178, v40, 36, v116
	v_mul_u32_u24_e32 v40, 36, v40
	v_and_b32_e32 v39, v39, v179
	v_xor_b32_e32 v179, vcc_lo, v176
	ds_read_b32 v176, v178 offset:544
	v_and_b32_e32 v39, v39, v177
	; wave barrier
	v_and_b32_e32 v39, v39, v179
	v_add_nc_u32_e32 v179, v116, v40
	v_mbcnt_lo_u32_b32 v177, v39, 0
	v_cmp_ne_u32_e64 s23, 0, v39
	v_cmp_eq_u32_e32 vcc_lo, 0, v177
	s_and_b32 s24, s23, vcc_lo
	s_and_saveexec_b32 s23, s24
	s_cbranch_execz .LBB325_775
; %bb.774:                              ;   in Loop: Header=BB325_730 Depth=2
	s_waitcnt lgkmcnt(0)
	v_bcnt_u32_b32 v39, v39, v176
	ds_write_b32 v179, v39 offset:544
.LBB325_775:                            ;   in Loop: Header=BB325_730 Depth=2
	s_or_b32 exec_lo, exec_lo, s23
	v_lshrrev_b32_e32 v178, 24, v140
	; wave barrier
	v_lshrrev_b32_e32 v39, s41, v178
	v_and_b32_e32 v40, s62, v39
	v_and_b32_e32 v39, 1, v40
	v_lshlrev_b32_e32 v180, 30, v40
	v_lshlrev_b32_e32 v181, 29, v40
	;; [unrolled: 1-line block ×4, first 2 shown]
	v_add_co_u32 v39, s23, v39, -1
	v_cndmask_b32_e64 v182, 0, 1, s23
	v_not_b32_e32 v186, v180
	v_cmp_gt_i32_e64 s23, 0, v180
	v_not_b32_e32 v180, v181
	v_lshlrev_b32_e32 v185, 26, v40
	v_cmp_ne_u32_e32 vcc_lo, 0, v182
	v_ashrrev_i32_e32 v186, 31, v186
	v_lshlrev_b32_e32 v182, 25, v40
	v_ashrrev_i32_e32 v180, 31, v180
	v_xor_b32_e32 v39, vcc_lo, v39
	v_cmp_gt_i32_e32 vcc_lo, 0, v181
	v_not_b32_e32 v181, v183
	v_xor_b32_e32 v186, s23, v186
	v_cmp_gt_i32_e64 s23, 0, v183
	v_and_b32_e32 v39, exec_lo, v39
	v_not_b32_e32 v183, v184
	v_ashrrev_i32_e32 v181, 31, v181
	v_xor_b32_e32 v180, vcc_lo, v180
	v_cmp_gt_i32_e32 vcc_lo, 0, v184
	v_and_b32_e32 v39, v39, v186
	v_not_b32_e32 v184, v185
	v_ashrrev_i32_e32 v183, 31, v183
	v_xor_b32_e32 v181, s23, v181
	v_cmp_gt_i32_e64 s23, 0, v185
	v_and_b32_e32 v39, v39, v180
	v_not_b32_e32 v180, v182
	v_ashrrev_i32_e32 v184, 31, v184
	v_xor_b32_e32 v183, vcc_lo, v183
	v_cmp_gt_i32_e32 vcc_lo, 0, v182
	v_and_b32_e32 v39, v39, v181
	v_ashrrev_i32_e32 v180, 31, v180
	v_xor_b32_e32 v181, s23, v184
	v_mad_u32_u24 v182, v40, 36, v116
	v_mul_u32_u24_e32 v40, 36, v40
	v_and_b32_e32 v39, v39, v183
	v_xor_b32_e32 v183, vcc_lo, v180
	ds_read_b32 v180, v182 offset:544
	v_add_nc_u32_e32 v182, v116, v40
	v_and_b32_e32 v39, v39, v181
	; wave barrier
	v_and_b32_e32 v39, v39, v183
	v_mbcnt_lo_u32_b32 v181, v39, 0
	v_cmp_ne_u32_e64 s23, 0, v39
	v_cmp_eq_u32_e32 vcc_lo, 0, v181
	s_and_b32 s24, s23, vcc_lo
	s_and_saveexec_b32 s23, s24
	s_cbranch_execz .LBB325_777
; %bb.776:                              ;   in Loop: Header=BB325_730 Depth=2
	s_waitcnt lgkmcnt(0)
	v_bcnt_u32_b32 v39, v39, v180
	ds_write_b32 v182, v39 offset:544
.LBB325_777:                            ;   in Loop: Header=BB325_730 Depth=2
	s_or_b32 exec_lo, exec_lo, s23
	v_xor_b32_e32 v39, 0x7f, v137
	; wave barrier
	v_and_b32_sdwa v40, v92, v39 dst_sel:DWORD dst_unused:UNUSED_PAD src0_sel:DWORD src1_sel:BYTE_0
	v_lshrrev_b32_e32 v40, s41, v40
	v_and_b32_e32 v184, s62, v40
	v_and_b32_e32 v40, 1, v184
	v_lshlrev_b32_e32 v137, 30, v184
	v_lshlrev_b32_e32 v183, 29, v184
	;; [unrolled: 1-line block ×4, first 2 shown]
	v_add_co_u32 v40, s23, v40, -1
	v_cndmask_b32_e64 v185, 0, 1, s23
	v_not_b32_e32 v189, v137
	v_cmp_gt_i32_e64 s23, 0, v137
	v_not_b32_e32 v137, v183
	v_lshlrev_b32_e32 v188, 26, v184
	v_cmp_ne_u32_e32 vcc_lo, 0, v185
	v_ashrrev_i32_e32 v189, 31, v189
	v_lshlrev_b32_e32 v185, 25, v184
	v_ashrrev_i32_e32 v137, 31, v137
	v_xor_b32_e32 v40, vcc_lo, v40
	v_cmp_gt_i32_e32 vcc_lo, 0, v183
	v_not_b32_e32 v183, v186
	v_xor_b32_e32 v189, s23, v189
	v_cmp_gt_i32_e64 s23, 0, v186
	v_and_b32_e32 v40, exec_lo, v40
	v_not_b32_e32 v186, v187
	v_ashrrev_i32_e32 v183, 31, v183
	v_xor_b32_e32 v137, vcc_lo, v137
	v_cmp_gt_i32_e32 vcc_lo, 0, v187
	v_and_b32_e32 v40, v40, v189
	v_not_b32_e32 v187, v188
	v_ashrrev_i32_e32 v186, 31, v186
	v_xor_b32_e32 v183, s23, v183
	v_cmp_gt_i32_e64 s23, 0, v188
	v_and_b32_e32 v40, v40, v137
	v_not_b32_e32 v137, v185
	v_ashrrev_i32_e32 v187, 31, v187
	v_xor_b32_e32 v186, vcc_lo, v186
	v_cmp_gt_i32_e32 vcc_lo, 0, v185
	v_and_b32_e32 v40, v40, v183
	v_ashrrev_i32_e32 v137, 31, v137
	v_xor_b32_e32 v183, s23, v187
	v_mad_u32_u24 v185, v184, 36, v116
	v_mul_u32_u24_e32 v184, 36, v184
	v_and_b32_e32 v40, v40, v186
	v_xor_b32_e32 v186, vcc_lo, v137
	ds_read_b32 v137, v185 offset:544
	v_add_nc_u32_e32 v185, v116, v184
	v_and_b32_e32 v40, v40, v183
	; wave barrier
	v_and_b32_e32 v40, v40, v186
	v_mbcnt_lo_u32_b32 v183, v40, 0
	v_cmp_ne_u32_e64 s23, 0, v40
	v_cmp_eq_u32_e32 vcc_lo, 0, v183
	s_and_b32 s24, s23, vcc_lo
	s_and_saveexec_b32 s23, s24
	s_cbranch_execz .LBB325_779
; %bb.778:                              ;   in Loop: Header=BB325_730 Depth=2
	s_waitcnt lgkmcnt(0)
	v_bcnt_u32_b32 v40, v40, v137
	ds_write_b32 v185, v40 offset:544
.LBB325_779:                            ;   in Loop: Header=BB325_730 Depth=2
	s_or_b32 exec_lo, exec_lo, s23
	v_xor_b32_sdwa v3, v3, v93 dst_sel:BYTE_1 dst_unused:UNUSED_PAD src0_sel:DWORD src1_sel:DWORD
	v_xor_b32_e32 v40, 0x7f, v41
	v_xor_b32_sdwa v41, v42, v93 dst_sel:BYTE_1 dst_unused:UNUSED_PAD src0_sel:DWORD src1_sel:DWORD
	; wave barrier
	v_or_b32_sdwa v184, v39, v3 dst_sel:DWORD dst_unused:UNUSED_PAD src0_sel:BYTE_0 src1_sel:DWORD
	v_or_b32_sdwa v3, v40, v41 dst_sel:WORD_1 dst_unused:UNUSED_PAD src0_sel:BYTE_0 src1_sel:DWORD
	v_or_b32_sdwa v3, v184, v3 dst_sel:DWORD dst_unused:UNUSED_PAD src0_sel:WORD_0 src1_sel:DWORD
	v_lshrrev_b32_sdwa v39, s41, v3 dst_sel:DWORD dst_unused:UNUSED_PAD src0_sel:DWORD src1_sel:BYTE_1
	v_and_b32_e32 v40, s62, v39
	v_and_b32_e32 v39, 1, v40
	v_lshlrev_b32_e32 v41, 30, v40
	v_lshlrev_b32_e32 v42, 29, v40
	;; [unrolled: 1-line block ×4, first 2 shown]
	v_add_co_u32 v39, s23, v39, -1
	v_cndmask_b32_e64 v186, 0, 1, s23
	v_not_b32_e32 v190, v41
	v_cmp_gt_i32_e64 s23, 0, v41
	v_not_b32_e32 v41, v42
	v_lshlrev_b32_e32 v189, 26, v40
	v_cmp_ne_u32_e32 vcc_lo, 0, v186
	v_ashrrev_i32_e32 v190, 31, v190
	v_lshlrev_b32_e32 v186, 25, v40
	v_ashrrev_i32_e32 v41, 31, v41
	v_xor_b32_e32 v39, vcc_lo, v39
	v_cmp_gt_i32_e32 vcc_lo, 0, v42
	v_not_b32_e32 v42, v187
	v_xor_b32_e32 v190, s23, v190
	v_cmp_gt_i32_e64 s23, 0, v187
	v_and_b32_e32 v39, exec_lo, v39
	v_not_b32_e32 v187, v188
	v_ashrrev_i32_e32 v42, 31, v42
	v_xor_b32_e32 v41, vcc_lo, v41
	v_cmp_gt_i32_e32 vcc_lo, 0, v188
	v_and_b32_e32 v39, v39, v190
	v_not_b32_e32 v188, v189
	v_ashrrev_i32_e32 v187, 31, v187
	v_xor_b32_e32 v42, s23, v42
	v_cmp_gt_i32_e64 s23, 0, v189
	v_and_b32_e32 v39, v39, v41
	v_not_b32_e32 v41, v186
	v_ashrrev_i32_e32 v188, 31, v188
	v_xor_b32_e32 v187, vcc_lo, v187
	v_cmp_gt_i32_e32 vcc_lo, 0, v186
	v_and_b32_e32 v39, v39, v42
	v_ashrrev_i32_e32 v41, 31, v41
	v_xor_b32_e32 v42, s23, v188
	v_mad_u32_u24 v186, v40, 36, v116
	v_mul_u32_u24_e32 v40, 36, v40
	v_and_b32_e32 v39, v39, v187
	v_xor_b32_e32 v41, vcc_lo, v41
	ds_read_b32 v186, v186 offset:544
	v_add_nc_u32_e32 v188, v116, v40
	v_and_b32_e32 v39, v39, v42
	; wave barrier
	v_and_b32_e32 v39, v39, v41
	v_mbcnt_lo_u32_b32 v187, v39, 0
	v_cmp_ne_u32_e64 s23, 0, v39
	v_cmp_eq_u32_e32 vcc_lo, 0, v187
	s_and_b32 s24, s23, vcc_lo
	s_and_saveexec_b32 s23, s24
	s_cbranch_execz .LBB325_781
; %bb.780:                              ;   in Loop: Header=BB325_730 Depth=2
	s_waitcnt lgkmcnt(0)
	v_bcnt_u32_b32 v39, v39, v186
	ds_write_b32 v188, v39 offset:544
.LBB325_781:                            ;   in Loop: Header=BB325_730 Depth=2
	s_or_b32 exec_lo, exec_lo, s23
	v_lshrrev_b32_sdwa v39, s41, v3 dst_sel:DWORD dst_unused:UNUSED_PAD src0_sel:DWORD src1_sel:BYTE_2
	; wave barrier
	v_and_b32_e32 v40, s62, v39
	v_and_b32_e32 v39, 1, v40
	v_lshlrev_b32_e32 v41, 30, v40
	v_lshlrev_b32_e32 v42, 29, v40
	;; [unrolled: 1-line block ×4, first 2 shown]
	v_add_co_u32 v39, s23, v39, -1
	v_cndmask_b32_e64 v189, 0, 1, s23
	v_not_b32_e32 v193, v41
	v_cmp_gt_i32_e64 s23, 0, v41
	v_not_b32_e32 v41, v42
	v_lshlrev_b32_e32 v192, 26, v40
	v_cmp_ne_u32_e32 vcc_lo, 0, v189
	v_ashrrev_i32_e32 v193, 31, v193
	v_lshlrev_b32_e32 v189, 25, v40
	v_ashrrev_i32_e32 v41, 31, v41
	v_xor_b32_e32 v39, vcc_lo, v39
	v_cmp_gt_i32_e32 vcc_lo, 0, v42
	v_not_b32_e32 v42, v190
	v_xor_b32_e32 v193, s23, v193
	v_cmp_gt_i32_e64 s23, 0, v190
	v_and_b32_e32 v39, exec_lo, v39
	v_not_b32_e32 v190, v191
	v_ashrrev_i32_e32 v42, 31, v42
	v_xor_b32_e32 v41, vcc_lo, v41
	v_cmp_gt_i32_e32 vcc_lo, 0, v191
	v_and_b32_e32 v39, v39, v193
	v_not_b32_e32 v191, v192
	v_ashrrev_i32_e32 v190, 31, v190
	v_xor_b32_e32 v42, s23, v42
	v_cmp_gt_i32_e64 s23, 0, v192
	v_and_b32_e32 v39, v39, v41
	v_not_b32_e32 v41, v189
	v_ashrrev_i32_e32 v191, 31, v191
	v_xor_b32_e32 v190, vcc_lo, v190
	v_cmp_gt_i32_e32 vcc_lo, 0, v189
	v_and_b32_e32 v39, v39, v42
	v_ashrrev_i32_e32 v41, 31, v41
	v_xor_b32_e32 v42, s23, v191
	v_mad_u32_u24 v189, v40, 36, v116
	v_mul_u32_u24_e32 v40, 36, v40
	v_and_b32_e32 v39, v39, v190
	v_xor_b32_e32 v41, vcc_lo, v41
	ds_read_b32 v189, v189 offset:544
	v_add_nc_u32_e32 v192, v116, v40
	v_and_b32_e32 v39, v39, v42
	; wave barrier
	v_and_b32_e32 v39, v39, v41
	v_mbcnt_lo_u32_b32 v190, v39, 0
	v_cmp_ne_u32_e64 s23, 0, v39
	v_cmp_eq_u32_e32 vcc_lo, 0, v190
	s_and_b32 s24, s23, vcc_lo
	s_and_saveexec_b32 s23, s24
	s_cbranch_execz .LBB325_783
; %bb.782:                              ;   in Loop: Header=BB325_730 Depth=2
	s_waitcnt lgkmcnt(0)
	v_bcnt_u32_b32 v39, v39, v189
	ds_write_b32 v192, v39 offset:544
.LBB325_783:                            ;   in Loop: Header=BB325_730 Depth=2
	s_or_b32 exec_lo, exec_lo, s23
	v_lshrrev_b32_e32 v191, 24, v3
	; wave barrier
	v_lshrrev_b32_e32 v39, s41, v191
	v_and_b32_e32 v40, s62, v39
	v_and_b32_e32 v39, 1, v40
	v_lshlrev_b32_e32 v41, 30, v40
	v_lshlrev_b32_e32 v42, 29, v40
	;; [unrolled: 1-line block ×4, first 2 shown]
	v_add_co_u32 v39, s23, v39, -1
	v_cndmask_b32_e64 v193, 0, 1, s23
	v_not_b32_e32 v197, v41
	v_cmp_gt_i32_e64 s23, 0, v41
	v_not_b32_e32 v41, v42
	v_lshlrev_b32_e32 v196, 26, v40
	v_cmp_ne_u32_e32 vcc_lo, 0, v193
	v_ashrrev_i32_e32 v197, 31, v197
	v_lshlrev_b32_e32 v193, 25, v40
	v_ashrrev_i32_e32 v41, 31, v41
	v_xor_b32_e32 v39, vcc_lo, v39
	v_cmp_gt_i32_e32 vcc_lo, 0, v42
	v_not_b32_e32 v42, v194
	v_xor_b32_e32 v197, s23, v197
	v_cmp_gt_i32_e64 s23, 0, v194
	v_and_b32_e32 v39, exec_lo, v39
	v_not_b32_e32 v194, v195
	v_ashrrev_i32_e32 v42, 31, v42
	v_xor_b32_e32 v41, vcc_lo, v41
	v_cmp_gt_i32_e32 vcc_lo, 0, v195
	v_and_b32_e32 v39, v39, v197
	v_not_b32_e32 v195, v196
	v_ashrrev_i32_e32 v194, 31, v194
	v_xor_b32_e32 v42, s23, v42
	v_cmp_gt_i32_e64 s23, 0, v196
	v_and_b32_e32 v39, v39, v41
	v_not_b32_e32 v41, v193
	v_ashrrev_i32_e32 v195, 31, v195
	v_xor_b32_e32 v194, vcc_lo, v194
	v_cmp_gt_i32_e32 vcc_lo, 0, v193
	v_and_b32_e32 v39, v39, v42
	v_ashrrev_i32_e32 v41, 31, v41
	v_xor_b32_e32 v42, s23, v195
	v_mad_u32_u24 v193, v40, 36, v116
	v_mul_u32_u24_e32 v40, 36, v40
	v_and_b32_e32 v39, v39, v194
	v_xor_b32_e32 v41, vcc_lo, v41
	ds_read_b32 v193, v193 offset:544
	v_add_nc_u32_e32 v195, v116, v40
	v_and_b32_e32 v39, v39, v42
	; wave barrier
	v_and_b32_e32 v39, v39, v41
	v_mbcnt_lo_u32_b32 v194, v39, 0
	v_cmp_ne_u32_e64 s23, 0, v39
	v_cmp_eq_u32_e32 vcc_lo, 0, v194
	s_and_b32 s24, s23, vcc_lo
	s_and_saveexec_b32 s23, s24
	s_cbranch_execz .LBB325_785
; %bb.784:                              ;   in Loop: Header=BB325_730 Depth=2
	s_waitcnt lgkmcnt(0)
	v_bcnt_u32_b32 v39, v39, v193
	ds_write_b32 v195, v39 offset:544
.LBB325_785:                            ;   in Loop: Header=BB325_730 Depth=2
	s_or_b32 exec_lo, exec_lo, s23
	v_xor_b32_e32 v117, 0x7f, v117
	; wave barrier
	v_lshrrev_b32_sdwa v39, s41, v117 dst_sel:DWORD dst_unused:UNUSED_PAD src0_sel:DWORD src1_sel:BYTE_0
	v_and_b32_e32 v40, s62, v39
	v_and_b32_e32 v39, 1, v40
	v_lshlrev_b32_e32 v41, 30, v40
	v_lshlrev_b32_e32 v42, 29, v40
	;; [unrolled: 1-line block ×4, first 2 shown]
	v_add_co_u32 v39, s23, v39, -1
	v_cndmask_b32_e64 v196, 0, 1, s23
	v_not_b32_e32 v200, v41
	v_cmp_gt_i32_e64 s23, 0, v41
	v_not_b32_e32 v41, v42
	v_lshlrev_b32_e32 v199, 26, v40
	v_cmp_ne_u32_e32 vcc_lo, 0, v196
	v_ashrrev_i32_e32 v200, 31, v200
	v_lshlrev_b32_e32 v196, 25, v40
	v_ashrrev_i32_e32 v41, 31, v41
	v_xor_b32_e32 v39, vcc_lo, v39
	v_cmp_gt_i32_e32 vcc_lo, 0, v42
	v_not_b32_e32 v42, v197
	v_xor_b32_e32 v200, s23, v200
	v_cmp_gt_i32_e64 s23, 0, v197
	v_and_b32_e32 v39, exec_lo, v39
	v_not_b32_e32 v197, v198
	v_ashrrev_i32_e32 v42, 31, v42
	v_xor_b32_e32 v41, vcc_lo, v41
	v_cmp_gt_i32_e32 vcc_lo, 0, v198
	v_and_b32_e32 v39, v39, v200
	v_not_b32_e32 v198, v199
	v_ashrrev_i32_e32 v197, 31, v197
	v_xor_b32_e32 v42, s23, v42
	v_cmp_gt_i32_e64 s23, 0, v199
	v_and_b32_e32 v39, v39, v41
	v_not_b32_e32 v41, v196
	v_ashrrev_i32_e32 v198, 31, v198
	v_xor_b32_e32 v197, vcc_lo, v197
	v_cmp_gt_i32_e32 vcc_lo, 0, v196
	v_and_b32_e32 v39, v39, v42
	v_ashrrev_i32_e32 v41, 31, v41
	v_xor_b32_e32 v42, s23, v198
	v_mad_u32_u24 v196, v40, 36, v116
	v_mul_u32_u24_e32 v40, 36, v40
	v_and_b32_e32 v39, v39, v197
	v_xor_b32_e32 v41, vcc_lo, v41
	ds_read_b32 v196, v196 offset:544
	v_add_nc_u32_e32 v198, v116, v40
	v_and_b32_e32 v39, v39, v42
	; wave barrier
	v_and_b32_e32 v39, v39, v41
	v_mbcnt_lo_u32_b32 v197, v39, 0
	v_cmp_ne_u32_e64 s23, 0, v39
	v_cmp_eq_u32_e32 vcc_lo, 0, v197
	s_and_b32 s24, s23, vcc_lo
	s_and_saveexec_b32 s23, s24
	s_cbranch_execz .LBB325_787
; %bb.786:                              ;   in Loop: Header=BB325_730 Depth=2
	s_waitcnt lgkmcnt(0)
	v_bcnt_u32_b32 v39, v39, v196
	ds_write_b32 v198, v39 offset:544
.LBB325_787:                            ;   in Loop: Header=BB325_730 Depth=2
	s_or_b32 exec_lo, exec_lo, s23
	; wave barrier
	s_waitcnt lgkmcnt(0)
	s_barrier
	buffer_gl0_inv
	ds_read2_b32 v[41:42], v69 offset0:136 offset1:137
	ds_read2_b32 v[39:40], v69 offset0:138 offset1:139
	ds_read_b32 v199, v69 offset:560
	s_waitcnt lgkmcnt(1)
	v_add3_u32 v200, v42, v41, v39
	s_waitcnt lgkmcnt(0)
	v_add3_u32 v199, v200, v40, v199
	v_mov_b32_dpp v200, v199 row_shr:1 row_mask:0xf bank_mask:0xf
	v_cndmask_b32_e64 v200, v200, 0, s5
	v_add_nc_u32_e32 v199, v200, v199
	v_mov_b32_dpp v200, v199 row_shr:2 row_mask:0xf bank_mask:0xf
	v_cndmask_b32_e64 v200, 0, v200, s15
	v_add_nc_u32_e32 v199, v199, v200
	;; [unrolled: 3-line block ×4, first 2 shown]
	ds_swizzle_b32 v200, v199 offset:swizzle(BROADCAST,32,15)
	s_waitcnt lgkmcnt(0)
	v_cndmask_b32_e64 v200, v200, 0, s18
	v_add_nc_u32_e32 v199, v199, v200
	s_and_saveexec_b32 s23, s4
; %bb.788:                              ;   in Loop: Header=BB325_730 Depth=2
	ds_write_b32 v62, v199 offset:512
; %bb.789:                              ;   in Loop: Header=BB325_730 Depth=2
	s_or_b32 exec_lo, exec_lo, s23
	s_waitcnt lgkmcnt(0)
	s_barrier
	buffer_gl0_inv
	s_and_saveexec_b32 s23, s12
	s_cbranch_execz .LBB325_791
; %bb.790:                              ;   in Loop: Header=BB325_730 Depth=2
	ds_read_b32 v200, v70 offset:512
	s_waitcnt lgkmcnt(0)
	v_mov_b32_dpp v201, v200 row_shr:1 row_mask:0xf bank_mask:0xf
	v_cndmask_b32_e64 v201, v201, 0, s20
	v_add_nc_u32_e32 v200, v201, v200
	v_mov_b32_dpp v201, v200 row_shr:2 row_mask:0xf bank_mask:0xf
	v_cndmask_b32_e64 v201, 0, v201, s21
	v_add_nc_u32_e32 v200, v200, v201
	;; [unrolled: 3-line block ×3, first 2 shown]
	ds_write_b32 v70, v200 offset:512
.LBB325_791:                            ;   in Loop: Header=BB325_730 Depth=2
	s_or_b32 exec_lo, exec_lo, s23
	v_mov_b32_e32 v200, 0
	s_waitcnt lgkmcnt(0)
	s_barrier
	buffer_gl0_inv
	s_and_saveexec_b32 s23, s11
; %bb.792:                              ;   in Loop: Header=BB325_730 Depth=2
	ds_read_b32 v200, v62 offset:508
; %bb.793:                              ;   in Loop: Header=BB325_730 Depth=2
	s_or_b32 exec_lo, exec_lo, s23
	s_waitcnt lgkmcnt(0)
	v_add_nc_u32_e32 v199, v200, v199
	ds_bpermute_b32 v199, v94, v199
	s_waitcnt lgkmcnt(0)
	v_cndmask_b32_e64 v199, v199, v200, s19
	v_cndmask_b32_e64 v199, v199, 0, s13
	v_add_nc_u32_e32 v41, v199, v41
	v_add_nc_u32_e32 v42, v41, v42
	;; [unrolled: 1-line block ×4, first 2 shown]
	ds_write2_b32 v69, v199, v41 offset0:136 offset1:137
	ds_write2_b32 v69, v42, v39 offset0:138 offset1:139
	ds_write_b32 v69, v40 offset:560
	s_waitcnt lgkmcnt(0)
	s_barrier
	buffer_gl0_inv
	ds_read_b32 v39, v149 offset:544
	ds_read_b32 v40, v153 offset:544
	ds_read_b32 v41, v157 offset:544
	ds_read_b32 v42, v160 offset:544
	ds_read_b32 v149, v162 offset:544
	ds_read_b32 v160, v164 offset:544
	ds_read_b32 v162, v168 offset:544
	ds_read_b32 v164, v171 offset:544
	ds_read_b32 v168, v173 offset:544
	ds_read_b32 v171, v175 offset:544
	ds_read_b32 v173, v179 offset:544
	ds_read_b32 v175, v182 offset:544
	ds_read_b32 v179, v185 offset:544
	ds_read_b32 v182, v188 offset:544
	ds_read_b32 v185, v192 offset:544
	ds_read_b32 v188, v195 offset:544
	ds_read_b32 v192, v198 offset:544
	s_and_saveexec_b32 s23, s8
	s_cbranch_execz .LBB325_797
; %bb.794:                              ;   in Loop: Header=BB325_730 Depth=2
	v_add_nc_u32_e32 v135, v70, v72
	v_mov_b32_e32 v136, 0x1100
	ds_read_b32 v135, v135 offset:544
	s_and_saveexec_b32 s24, s14
; %bb.795:                              ;   in Loop: Header=BB325_730 Depth=2
	ds_read_b32 v136, v71 offset:544
; %bb.796:                              ;   in Loop: Header=BB325_730 Depth=2
	s_or_b32 exec_lo, exec_lo, s24
	s_waitcnt lgkmcnt(0)
	v_sub_nc_u32_e32 v136, v136, v135
.LBB325_797:                            ;   in Loop: Header=BB325_730 Depth=2
	s_or_b32 exec_lo, exec_lo, s23
	v_lshrrev_b32_e32 v203, 8, v148
	v_lshrrev_b32_e32 v204, 16, v148
	;; [unrolled: 1-line block ×8, first 2 shown]
	s_waitcnt lgkmcnt(0)
	s_barrier
	buffer_gl0_inv
	s_and_saveexec_b32 s23, s8
	s_cbranch_execz .LBB325_799
; %bb.798:                              ;   in Loop: Header=BB325_730 Depth=2
	ds_read_b32 v3, v43
	s_waitcnt lgkmcnt(0)
	v_sub_nc_u32_e32 v3, v3, v135
	ds_write_b32 v43, v3
.LBB325_799:                            ;   in Loop: Header=BB325_730 Depth=2
	s_or_b32 exec_lo, exec_lo, s23
	v_add_nc_u32_e32 v157, v39, v146
	v_add3_u32 v153, v152, v151, v40
	v_add3_u32 v152, v155, v154, v41
	;; [unrolled: 1-line block ×16, first 2 shown]
	v_cmp_lt_u32_e64 s39, v0, v138
	ds_write_b8 v157, v147 offset:512
	ds_write_b8 v153, v203 offset:512
	;; [unrolled: 1-line block ×17, first 2 shown]
	s_waitcnt lgkmcnt(0)
	s_barrier
	buffer_gl0_inv
	s_and_saveexec_b32 s23, s39
	s_cbranch_execnz .LBB325_872
; %bb.800:                              ;   in Loop: Header=BB325_730 Depth=2
	s_or_b32 exec_lo, exec_lo, s23
	v_cmp_lt_u32_e64 s38, v44, v138
	s_and_saveexec_b32 s23, s38
	s_cbranch_execnz .LBB325_873
.LBB325_801:                            ;   in Loop: Header=BB325_730 Depth=2
	s_or_b32 exec_lo, exec_lo, s23
	v_cmp_lt_u32_e64 s37, v47, v138
	s_and_saveexec_b32 s23, s37
	s_cbranch_execnz .LBB325_874
.LBB325_802:                            ;   in Loop: Header=BB325_730 Depth=2
	s_or_b32 exec_lo, exec_lo, s23
	v_cmp_lt_u32_e64 s36, v48, v138
	s_and_saveexec_b32 s23, s36
	s_cbranch_execnz .LBB325_875
.LBB325_803:                            ;   in Loop: Header=BB325_730 Depth=2
	s_or_b32 exec_lo, exec_lo, s23
	v_cmp_lt_u32_e64 s35, v49, v138
	s_and_saveexec_b32 s23, s35
	s_cbranch_execnz .LBB325_876
.LBB325_804:                            ;   in Loop: Header=BB325_730 Depth=2
	s_or_b32 exec_lo, exec_lo, s23
	v_cmp_lt_u32_e64 s34, v50, v138
	s_and_saveexec_b32 s23, s34
	s_cbranch_execnz .LBB325_877
.LBB325_805:                            ;   in Loop: Header=BB325_730 Depth=2
	s_or_b32 exec_lo, exec_lo, s23
	v_cmp_lt_u32_e64 s33, v51, v138
	s_and_saveexec_b32 s23, s33
	s_cbranch_execnz .LBB325_878
.LBB325_806:                            ;   in Loop: Header=BB325_730 Depth=2
	s_or_b32 exec_lo, exec_lo, s23
	v_cmp_lt_u32_e64 s31, v52, v138
	s_and_saveexec_b32 s23, s31
	s_cbranch_execnz .LBB325_879
.LBB325_807:                            ;   in Loop: Header=BB325_730 Depth=2
	s_or_b32 exec_lo, exec_lo, s23
	v_cmp_lt_u32_e64 s30, v53, v138
	s_and_saveexec_b32 s23, s30
	s_cbranch_execnz .LBB325_880
.LBB325_808:                            ;   in Loop: Header=BB325_730 Depth=2
	s_or_b32 exec_lo, exec_lo, s23
	v_cmp_lt_u32_e64 s29, v54, v138
	s_and_saveexec_b32 s23, s29
	s_cbranch_execnz .LBB325_881
.LBB325_809:                            ;   in Loop: Header=BB325_730 Depth=2
	s_or_b32 exec_lo, exec_lo, s23
	v_cmp_lt_u32_e64 s28, v55, v138
	s_and_saveexec_b32 s23, s28
	s_cbranch_execnz .LBB325_882
.LBB325_810:                            ;   in Loop: Header=BB325_730 Depth=2
	s_or_b32 exec_lo, exec_lo, s23
	v_cmp_lt_u32_e64 s27, v56, v138
	s_and_saveexec_b32 s23, s27
	s_cbranch_execnz .LBB325_883
.LBB325_811:                            ;   in Loop: Header=BB325_730 Depth=2
	s_or_b32 exec_lo, exec_lo, s23
	v_cmp_lt_u32_e64 s26, v57, v138
	s_and_saveexec_b32 s23, s26
	s_cbranch_execnz .LBB325_884
.LBB325_812:                            ;   in Loop: Header=BB325_730 Depth=2
	s_or_b32 exec_lo, exec_lo, s23
	v_cmp_lt_u32_e64 s25, v58, v138
	s_and_saveexec_b32 s23, s25
	s_cbranch_execnz .LBB325_885
.LBB325_813:                            ;   in Loop: Header=BB325_730 Depth=2
	s_or_b32 exec_lo, exec_lo, s23
	v_cmp_lt_u32_e64 s24, v59, v138
	s_and_saveexec_b32 s23, s24
	s_cbranch_execnz .LBB325_886
.LBB325_814:                            ;   in Loop: Header=BB325_730 Depth=2
	s_or_b32 exec_lo, exec_lo, s23
	v_cmp_lt_u32_e64 s23, v60, v138
	s_and_saveexec_b32 s40, s23
	s_cbranch_execnz .LBB325_887
.LBB325_815:                            ;   in Loop: Header=BB325_730 Depth=2
	s_or_b32 exec_lo, exec_lo, s40
	v_cmp_lt_u32_e32 vcc_lo, v61, v138
	s_and_saveexec_b32 s40, vcc_lo
	s_cbranch_execz .LBB325_817
.LBB325_816:                            ;   in Loop: Header=BB325_730 Depth=2
	ds_read_u8 v39, v0 offset:4608
	s_waitcnt lgkmcnt(0)
	v_lshrrev_b32_sdwa v40, s41, v39 dst_sel:DWORD dst_unused:UNUSED_PAD src0_sel:DWORD src1_sel:BYTE_0
	v_xor_b32_e32 v39, 0x7f, v39
	v_and_b32_e32 v40, s62, v40
	v_lshlrev_b32_e32 v40, 2, v40
	ds_read_b32 v40, v40
	s_waitcnt lgkmcnt(0)
	v_add_nc_u32_e32 v40, v40, v61
	global_store_byte v40, v39, s[46:47]
.LBB325_817:                            ;   in Loop: Header=BB325_730 Depth=2
	s_or_b32 exec_lo, exec_lo, s40
	s_lshl_b64 s[66:67], s[50:51], 3
	v_add_co_u32 v39, s40, v98, s66
	v_add_co_ci_u32_e64 v40, null, s67, v99, s40
	v_cmp_lt_u32_e64 s40, v95, v138
	s_and_saveexec_b32 s50, s40
	s_xor_b32 s40, exec_lo, s50
	s_cbranch_execnz .LBB325_888
; %bb.818:                              ;   in Loop: Header=BB325_730 Depth=2
	s_or_b32 exec_lo, exec_lo, s40
	s_mov_b32 s50, exec_lo
	v_cmpx_lt_u32_e64 v100, v138
	s_cbranch_execnz .LBB325_889
.LBB325_819:                            ;   in Loop: Header=BB325_730 Depth=2
	s_or_b32 exec_lo, exec_lo, s50
	s_mov_b32 s50, exec_lo
	v_cmpx_lt_u32_e64 v101, v138
	s_cbranch_execnz .LBB325_890
.LBB325_820:                            ;   in Loop: Header=BB325_730 Depth=2
	s_or_b32 exec_lo, exec_lo, s50
	s_mov_b32 s50, exec_lo
	v_cmpx_lt_u32_e64 v102, v138
	s_cbranch_execnz .LBB325_891
.LBB325_821:                            ;   in Loop: Header=BB325_730 Depth=2
	s_or_b32 exec_lo, exec_lo, s50
	s_mov_b32 s50, exec_lo
	v_cmpx_lt_u32_e64 v103, v138
	s_cbranch_execnz .LBB325_892
.LBB325_822:                            ;   in Loop: Header=BB325_730 Depth=2
	s_or_b32 exec_lo, exec_lo, s50
	s_mov_b32 s50, exec_lo
	v_cmpx_lt_u32_e64 v104, v138
	s_cbranch_execnz .LBB325_893
.LBB325_823:                            ;   in Loop: Header=BB325_730 Depth=2
	s_or_b32 exec_lo, exec_lo, s50
	s_mov_b32 s50, exec_lo
	v_cmpx_lt_u32_e64 v105, v138
	s_cbranch_execnz .LBB325_894
.LBB325_824:                            ;   in Loop: Header=BB325_730 Depth=2
	s_or_b32 exec_lo, exec_lo, s50
	s_mov_b32 s50, exec_lo
	v_cmpx_lt_u32_e64 v106, v138
	s_cbranch_execnz .LBB325_895
.LBB325_825:                            ;   in Loop: Header=BB325_730 Depth=2
	s_or_b32 exec_lo, exec_lo, s50
	s_mov_b32 s50, exec_lo
	v_cmpx_lt_u32_e64 v107, v138
	s_cbranch_execnz .LBB325_896
.LBB325_826:                            ;   in Loop: Header=BB325_730 Depth=2
	s_or_b32 exec_lo, exec_lo, s50
	s_mov_b32 s50, exec_lo
	v_cmpx_lt_u32_e64 v108, v138
	s_cbranch_execnz .LBB325_897
.LBB325_827:                            ;   in Loop: Header=BB325_730 Depth=2
	s_or_b32 exec_lo, exec_lo, s50
	s_mov_b32 s50, exec_lo
	v_cmpx_lt_u32_e64 v109, v138
	s_cbranch_execnz .LBB325_898
.LBB325_828:                            ;   in Loop: Header=BB325_730 Depth=2
	s_or_b32 exec_lo, exec_lo, s50
	s_mov_b32 s50, exec_lo
	v_cmpx_lt_u32_e64 v110, v138
	s_cbranch_execnz .LBB325_899
.LBB325_829:                            ;   in Loop: Header=BB325_730 Depth=2
	s_or_b32 exec_lo, exec_lo, s50
	s_mov_b32 s50, exec_lo
	v_cmpx_lt_u32_e64 v111, v138
	s_cbranch_execnz .LBB325_900
.LBB325_830:                            ;   in Loop: Header=BB325_730 Depth=2
	s_or_b32 exec_lo, exec_lo, s50
	s_mov_b32 s50, exec_lo
	v_cmpx_lt_u32_e64 v112, v138
	s_cbranch_execnz .LBB325_901
.LBB325_831:                            ;   in Loop: Header=BB325_730 Depth=2
	s_or_b32 exec_lo, exec_lo, s50
	s_mov_b32 s50, exec_lo
	v_cmpx_lt_u32_e64 v113, v138
	s_cbranch_execnz .LBB325_902
.LBB325_832:                            ;   in Loop: Header=BB325_730 Depth=2
	s_or_b32 exec_lo, exec_lo, s50
	s_mov_b32 s50, exec_lo
	v_cmpx_lt_u32_e64 v114, v138
	s_cbranch_execnz .LBB325_903
.LBB325_833:                            ;   in Loop: Header=BB325_730 Depth=2
	s_or_b32 exec_lo, exec_lo, s50
	s_mov_b32 s50, exec_lo
	v_cmpx_lt_u32_e64 v115, v138
	s_cbranch_execnz .LBB325_904
.LBB325_834:                            ;   in Loop: Header=BB325_730 Depth=2
	s_or_b32 exec_lo, exec_lo, s50
	s_and_saveexec_b32 s40, s39
	s_cbranch_execnz .LBB325_905
.LBB325_835:                            ;   in Loop: Header=BB325_730 Depth=2
	s_or_b32 exec_lo, exec_lo, s40
	s_and_saveexec_b32 s40, s38
	s_cbranch_execnz .LBB325_906
.LBB325_836:                            ;   in Loop: Header=BB325_730 Depth=2
	s_or_b32 exec_lo, exec_lo, s40
	s_and_saveexec_b32 s40, s37
	s_cbranch_execnz .LBB325_907
.LBB325_837:                            ;   in Loop: Header=BB325_730 Depth=2
	s_or_b32 exec_lo, exec_lo, s40
	s_and_saveexec_b32 s40, s36
	s_cbranch_execnz .LBB325_908
.LBB325_838:                            ;   in Loop: Header=BB325_730 Depth=2
	s_or_b32 exec_lo, exec_lo, s40
	s_and_saveexec_b32 s40, s35
	s_cbranch_execnz .LBB325_909
.LBB325_839:                            ;   in Loop: Header=BB325_730 Depth=2
	s_or_b32 exec_lo, exec_lo, s40
	s_and_saveexec_b32 s40, s34
	s_cbranch_execnz .LBB325_910
.LBB325_840:                            ;   in Loop: Header=BB325_730 Depth=2
	s_or_b32 exec_lo, exec_lo, s40
	s_and_saveexec_b32 s40, s33
	s_cbranch_execnz .LBB325_911
.LBB325_841:                            ;   in Loop: Header=BB325_730 Depth=2
	s_or_b32 exec_lo, exec_lo, s40
	s_and_saveexec_b32 s40, s31
	s_cbranch_execnz .LBB325_912
.LBB325_842:                            ;   in Loop: Header=BB325_730 Depth=2
	s_or_b32 exec_lo, exec_lo, s40
	s_and_saveexec_b32 s40, s30
	s_cbranch_execnz .LBB325_913
.LBB325_843:                            ;   in Loop: Header=BB325_730 Depth=2
	s_or_b32 exec_lo, exec_lo, s40
	s_and_saveexec_b32 s40, s29
	s_cbranch_execnz .LBB325_914
.LBB325_844:                            ;   in Loop: Header=BB325_730 Depth=2
	s_or_b32 exec_lo, exec_lo, s40
	s_and_saveexec_b32 s40, s28
	s_cbranch_execnz .LBB325_915
.LBB325_845:                            ;   in Loop: Header=BB325_730 Depth=2
	s_or_b32 exec_lo, exec_lo, s40
	s_and_saveexec_b32 s40, s27
	s_cbranch_execnz .LBB325_916
.LBB325_846:                            ;   in Loop: Header=BB325_730 Depth=2
	s_or_b32 exec_lo, exec_lo, s40
	s_and_saveexec_b32 s40, s26
	s_cbranch_execnz .LBB325_917
.LBB325_847:                            ;   in Loop: Header=BB325_730 Depth=2
	s_or_b32 exec_lo, exec_lo, s40
	s_and_saveexec_b32 s40, s25
	s_cbranch_execnz .LBB325_918
.LBB325_848:                            ;   in Loop: Header=BB325_730 Depth=2
	s_or_b32 exec_lo, exec_lo, s40
	s_and_saveexec_b32 s40, s24
	s_cbranch_execnz .LBB325_919
.LBB325_849:                            ;   in Loop: Header=BB325_730 Depth=2
	s_or_b32 exec_lo, exec_lo, s40
	s_and_saveexec_b32 s40, s23
	s_cbranch_execnz .LBB325_920
.LBB325_850:                            ;   in Loop: Header=BB325_730 Depth=2
	s_or_b32 exec_lo, exec_lo, s40
	s_and_saveexec_b32 s40, vcc_lo
	s_cbranch_execz .LBB325_852
.LBB325_851:                            ;   in Loop: Header=BB325_730 Depth=2
	ds_read_u8 v39, v0 offset:4608
	s_waitcnt lgkmcnt(0)
	v_lshrrev_b32_e32 v39, s41, v39
	v_and_b32_e32 v118, s62, v39
.LBB325_852:                            ;   in Loop: Header=BB325_730 Depth=2
	s_or_b32 exec_lo, exec_lo, s40
	v_lshlrev_b32_e32 v39, 3, v157
	v_lshlrev_b32_e32 v40, 3, v153
	s_waitcnt vmcnt(0)
	s_waitcnt_vscnt null, 0x0
	s_barrier
	buffer_gl0_inv
	ds_write_b64 v39, v[37:38] offset:512
	ds_write_b64 v40, v[35:36] offset:512
	v_lshlrev_b32_e32 v39, 3, v152
	v_lshlrev_b32_e32 v40, 3, v151
	v_lshlrev_b32_e32 v138, 3, v150
	v_lshlrev_b32_e32 v139, 3, v149
	v_lshlrev_b32_e32 v143, 3, v148
	ds_write_b64 v39, v[33:34] offset:512
	ds_write_b64 v40, v[31:32] offset:512
	ds_write_b64 v138, v[29:30] offset:512
	ds_write_b64 v139, v[25:26] offset:512
	ds_write_b64 v143, v[21:22] offset:512
	v_lshlrev_b32_e32 v39, 3, v146
	v_lshlrev_b32_e32 v40, 3, v145
	v_lshlrev_b32_e32 v138, 3, v144
	v_lshlrev_b32_e32 v139, 3, v142
	v_lshlrev_b32_e32 v141, 3, v141
	ds_write_b64 v39, v[17:18] offset:512
	ds_write_b64 v40, v[27:28] offset:512
	ds_write_b64 v138, v[23:24] offset:512
	;; [unrolled: 10-line block ×3, first 2 shown]
	ds_write_b64 v41, v[7:8] offset:512
	ds_write_b64 v3, v[5:6] offset:512
	s_waitcnt lgkmcnt(0)
	s_barrier
	buffer_gl0_inv
	s_and_saveexec_b32 s40, s39
	s_cbranch_execnz .LBB325_921
; %bb.853:                              ;   in Loop: Header=BB325_730 Depth=2
	s_or_b32 exec_lo, exec_lo, s40
	s_and_saveexec_b32 s39, s38
	s_cbranch_execnz .LBB325_922
.LBB325_854:                            ;   in Loop: Header=BB325_730 Depth=2
	s_or_b32 exec_lo, exec_lo, s39
	s_and_saveexec_b32 s38, s37
	s_cbranch_execnz .LBB325_923
.LBB325_855:                            ;   in Loop: Header=BB325_730 Depth=2
	s_or_b32 exec_lo, exec_lo, s38
	s_and_saveexec_b32 s37, s36
	s_cbranch_execnz .LBB325_924
.LBB325_856:                            ;   in Loop: Header=BB325_730 Depth=2
	s_or_b32 exec_lo, exec_lo, s37
	s_and_saveexec_b32 s36, s35
	s_cbranch_execnz .LBB325_925
.LBB325_857:                            ;   in Loop: Header=BB325_730 Depth=2
	s_or_b32 exec_lo, exec_lo, s36
	s_and_saveexec_b32 s35, s34
	s_cbranch_execnz .LBB325_926
.LBB325_858:                            ;   in Loop: Header=BB325_730 Depth=2
	s_or_b32 exec_lo, exec_lo, s35
	s_and_saveexec_b32 s34, s33
	s_cbranch_execnz .LBB325_927
.LBB325_859:                            ;   in Loop: Header=BB325_730 Depth=2
	s_or_b32 exec_lo, exec_lo, s34
	s_and_saveexec_b32 s33, s31
	s_cbranch_execnz .LBB325_928
.LBB325_860:                            ;   in Loop: Header=BB325_730 Depth=2
	s_or_b32 exec_lo, exec_lo, s33
	s_and_saveexec_b32 s31, s30
	s_cbranch_execnz .LBB325_929
.LBB325_861:                            ;   in Loop: Header=BB325_730 Depth=2
	s_or_b32 exec_lo, exec_lo, s31
	s_and_saveexec_b32 s30, s29
	s_cbranch_execnz .LBB325_930
.LBB325_862:                            ;   in Loop: Header=BB325_730 Depth=2
	s_or_b32 exec_lo, exec_lo, s30
	s_and_saveexec_b32 s29, s28
	s_cbranch_execnz .LBB325_931
.LBB325_863:                            ;   in Loop: Header=BB325_730 Depth=2
	s_or_b32 exec_lo, exec_lo, s29
	s_and_saveexec_b32 s28, s27
	s_cbranch_execnz .LBB325_932
.LBB325_864:                            ;   in Loop: Header=BB325_730 Depth=2
	s_or_b32 exec_lo, exec_lo, s28
	s_and_saveexec_b32 s27, s26
	s_cbranch_execnz .LBB325_933
.LBB325_865:                            ;   in Loop: Header=BB325_730 Depth=2
	s_or_b32 exec_lo, exec_lo, s27
	s_and_saveexec_b32 s26, s25
	s_cbranch_execnz .LBB325_934
.LBB325_866:                            ;   in Loop: Header=BB325_730 Depth=2
	s_or_b32 exec_lo, exec_lo, s26
	s_and_saveexec_b32 s25, s24
	s_cbranch_execnz .LBB325_935
.LBB325_867:                            ;   in Loop: Header=BB325_730 Depth=2
	s_or_b32 exec_lo, exec_lo, s25
	s_and_saveexec_b32 s24, s23
	s_cbranch_execnz .LBB325_936
.LBB325_868:                            ;   in Loop: Header=BB325_730 Depth=2
	s_or_b32 exec_lo, exec_lo, s24
	s_and_saveexec_b32 s23, vcc_lo
	s_cbranch_execz .LBB325_870
.LBB325_869:                            ;   in Loop: Header=BB325_730 Depth=2
	v_lshlrev_b32_e32 v3, 2, v118
	v_add_nc_u32_e32 v39, v0, v75
	ds_read_b32 v3, v3
	ds_read_b64 v[39:40], v39 offset:33280
	s_waitcnt lgkmcnt(1)
	v_add_nc_u32_e32 v3, v3, v61
	v_lshlrev_b64 v[41:42], 3, v[3:4]
	v_add_co_u32 v41, vcc_lo, s52, v41
	v_add_co_ci_u32_e64 v42, null, s53, v42, vcc_lo
	s_waitcnt lgkmcnt(0)
	global_store_dwordx2 v[41:42], v[39:40], off
.LBB325_870:                            ;   in Loop: Header=BB325_730 Depth=2
	s_or_b32 exec_lo, exec_lo, s23
	s_waitcnt_vscnt null, 0x0
	s_barrier
	buffer_gl0_inv
	s_and_saveexec_b32 s23, s8
	s_cbranch_execz .LBB325_729
; %bb.871:                              ;   in Loop: Header=BB325_730 Depth=2
	ds_read_b32 v3, v43
	s_waitcnt lgkmcnt(0)
	v_add3_u32 v3, v135, v136, v3
	ds_write_b32 v43, v3
	s_branch .LBB325_729
.LBB325_872:                            ;   in Loop: Header=BB325_730 Depth=2
	ds_read_u8 v39, v0 offset:512
	s_waitcnt lgkmcnt(0)
	v_lshrrev_b32_sdwa v40, s41, v39 dst_sel:DWORD dst_unused:UNUSED_PAD src0_sel:DWORD src1_sel:BYTE_0
	v_xor_b32_e32 v39, 0x7f, v39
	v_and_b32_e32 v40, s62, v40
	v_lshlrev_b32_e32 v40, 2, v40
	ds_read_b32 v40, v40
	s_waitcnt lgkmcnt(0)
	v_add_nc_u32_e32 v40, v40, v0
	global_store_byte v40, v39, s[46:47]
	s_or_b32 exec_lo, exec_lo, s23
	v_cmp_lt_u32_e64 s38, v44, v138
	s_and_saveexec_b32 s23, s38
	s_cbranch_execz .LBB325_801
.LBB325_873:                            ;   in Loop: Header=BB325_730 Depth=2
	ds_read_u8 v39, v0 offset:768
	s_waitcnt lgkmcnt(0)
	v_lshrrev_b32_sdwa v40, s41, v39 dst_sel:DWORD dst_unused:UNUSED_PAD src0_sel:DWORD src1_sel:BYTE_0
	v_xor_b32_e32 v39, 0x7f, v39
	v_and_b32_e32 v40, s62, v40
	v_lshlrev_b32_e32 v40, 2, v40
	ds_read_b32 v40, v40
	s_waitcnt lgkmcnt(0)
	v_add_nc_u32_e32 v40, v40, v44
	global_store_byte v40, v39, s[46:47]
	s_or_b32 exec_lo, exec_lo, s23
	v_cmp_lt_u32_e64 s37, v47, v138
	s_and_saveexec_b32 s23, s37
	s_cbranch_execz .LBB325_802
.LBB325_874:                            ;   in Loop: Header=BB325_730 Depth=2
	ds_read_u8 v39, v0 offset:1024
	s_waitcnt lgkmcnt(0)
	v_lshrrev_b32_sdwa v40, s41, v39 dst_sel:DWORD dst_unused:UNUSED_PAD src0_sel:DWORD src1_sel:BYTE_0
	v_xor_b32_e32 v39, 0x7f, v39
	v_and_b32_e32 v40, s62, v40
	v_lshlrev_b32_e32 v40, 2, v40
	ds_read_b32 v40, v40
	s_waitcnt lgkmcnt(0)
	v_add_nc_u32_e32 v40, v40, v47
	global_store_byte v40, v39, s[46:47]
	s_or_b32 exec_lo, exec_lo, s23
	v_cmp_lt_u32_e64 s36, v48, v138
	s_and_saveexec_b32 s23, s36
	s_cbranch_execz .LBB325_803
.LBB325_875:                            ;   in Loop: Header=BB325_730 Depth=2
	ds_read_u8 v39, v0 offset:1280
	s_waitcnt lgkmcnt(0)
	v_lshrrev_b32_sdwa v40, s41, v39 dst_sel:DWORD dst_unused:UNUSED_PAD src0_sel:DWORD src1_sel:BYTE_0
	v_xor_b32_e32 v39, 0x7f, v39
	v_and_b32_e32 v40, s62, v40
	v_lshlrev_b32_e32 v40, 2, v40
	ds_read_b32 v40, v40
	s_waitcnt lgkmcnt(0)
	v_add_nc_u32_e32 v40, v40, v48
	global_store_byte v40, v39, s[46:47]
	s_or_b32 exec_lo, exec_lo, s23
	v_cmp_lt_u32_e64 s35, v49, v138
	s_and_saveexec_b32 s23, s35
	s_cbranch_execz .LBB325_804
.LBB325_876:                            ;   in Loop: Header=BB325_730 Depth=2
	ds_read_u8 v39, v0 offset:1536
	s_waitcnt lgkmcnt(0)
	v_lshrrev_b32_sdwa v40, s41, v39 dst_sel:DWORD dst_unused:UNUSED_PAD src0_sel:DWORD src1_sel:BYTE_0
	v_xor_b32_e32 v39, 0x7f, v39
	v_and_b32_e32 v40, s62, v40
	v_lshlrev_b32_e32 v40, 2, v40
	ds_read_b32 v40, v40
	s_waitcnt lgkmcnt(0)
	v_add_nc_u32_e32 v40, v40, v49
	global_store_byte v40, v39, s[46:47]
	s_or_b32 exec_lo, exec_lo, s23
	v_cmp_lt_u32_e64 s34, v50, v138
	s_and_saveexec_b32 s23, s34
	s_cbranch_execz .LBB325_805
.LBB325_877:                            ;   in Loop: Header=BB325_730 Depth=2
	ds_read_u8 v39, v0 offset:1792
	s_waitcnt lgkmcnt(0)
	v_lshrrev_b32_sdwa v40, s41, v39 dst_sel:DWORD dst_unused:UNUSED_PAD src0_sel:DWORD src1_sel:BYTE_0
	v_xor_b32_e32 v39, 0x7f, v39
	v_and_b32_e32 v40, s62, v40
	v_lshlrev_b32_e32 v40, 2, v40
	ds_read_b32 v40, v40
	s_waitcnt lgkmcnt(0)
	v_add_nc_u32_e32 v40, v40, v50
	global_store_byte v40, v39, s[46:47]
	s_or_b32 exec_lo, exec_lo, s23
	v_cmp_lt_u32_e64 s33, v51, v138
	s_and_saveexec_b32 s23, s33
	s_cbranch_execz .LBB325_806
.LBB325_878:                            ;   in Loop: Header=BB325_730 Depth=2
	ds_read_u8 v39, v0 offset:2048
	s_waitcnt lgkmcnt(0)
	v_lshrrev_b32_sdwa v40, s41, v39 dst_sel:DWORD dst_unused:UNUSED_PAD src0_sel:DWORD src1_sel:BYTE_0
	v_xor_b32_e32 v39, 0x7f, v39
	v_and_b32_e32 v40, s62, v40
	v_lshlrev_b32_e32 v40, 2, v40
	ds_read_b32 v40, v40
	s_waitcnt lgkmcnt(0)
	v_add_nc_u32_e32 v40, v40, v51
	global_store_byte v40, v39, s[46:47]
	s_or_b32 exec_lo, exec_lo, s23
	v_cmp_lt_u32_e64 s31, v52, v138
	s_and_saveexec_b32 s23, s31
	s_cbranch_execz .LBB325_807
.LBB325_879:                            ;   in Loop: Header=BB325_730 Depth=2
	ds_read_u8 v39, v0 offset:2304
	s_waitcnt lgkmcnt(0)
	v_lshrrev_b32_sdwa v40, s41, v39 dst_sel:DWORD dst_unused:UNUSED_PAD src0_sel:DWORD src1_sel:BYTE_0
	v_xor_b32_e32 v39, 0x7f, v39
	v_and_b32_e32 v40, s62, v40
	v_lshlrev_b32_e32 v40, 2, v40
	ds_read_b32 v40, v40
	s_waitcnt lgkmcnt(0)
	v_add_nc_u32_e32 v40, v40, v52
	global_store_byte v40, v39, s[46:47]
	s_or_b32 exec_lo, exec_lo, s23
	v_cmp_lt_u32_e64 s30, v53, v138
	s_and_saveexec_b32 s23, s30
	s_cbranch_execz .LBB325_808
.LBB325_880:                            ;   in Loop: Header=BB325_730 Depth=2
	ds_read_u8 v39, v0 offset:2560
	s_waitcnt lgkmcnt(0)
	v_lshrrev_b32_sdwa v40, s41, v39 dst_sel:DWORD dst_unused:UNUSED_PAD src0_sel:DWORD src1_sel:BYTE_0
	v_xor_b32_e32 v39, 0x7f, v39
	v_and_b32_e32 v40, s62, v40
	v_lshlrev_b32_e32 v40, 2, v40
	ds_read_b32 v40, v40
	s_waitcnt lgkmcnt(0)
	v_add_nc_u32_e32 v40, v40, v53
	global_store_byte v40, v39, s[46:47]
	s_or_b32 exec_lo, exec_lo, s23
	v_cmp_lt_u32_e64 s29, v54, v138
	s_and_saveexec_b32 s23, s29
	s_cbranch_execz .LBB325_809
.LBB325_881:                            ;   in Loop: Header=BB325_730 Depth=2
	ds_read_u8 v39, v0 offset:2816
	s_waitcnt lgkmcnt(0)
	v_lshrrev_b32_sdwa v40, s41, v39 dst_sel:DWORD dst_unused:UNUSED_PAD src0_sel:DWORD src1_sel:BYTE_0
	v_xor_b32_e32 v39, 0x7f, v39
	v_and_b32_e32 v40, s62, v40
	v_lshlrev_b32_e32 v40, 2, v40
	ds_read_b32 v40, v40
	s_waitcnt lgkmcnt(0)
	v_add_nc_u32_e32 v40, v40, v54
	global_store_byte v40, v39, s[46:47]
	s_or_b32 exec_lo, exec_lo, s23
	v_cmp_lt_u32_e64 s28, v55, v138
	s_and_saveexec_b32 s23, s28
	s_cbranch_execz .LBB325_810
.LBB325_882:                            ;   in Loop: Header=BB325_730 Depth=2
	ds_read_u8 v39, v0 offset:3072
	s_waitcnt lgkmcnt(0)
	v_lshrrev_b32_sdwa v40, s41, v39 dst_sel:DWORD dst_unused:UNUSED_PAD src0_sel:DWORD src1_sel:BYTE_0
	v_xor_b32_e32 v39, 0x7f, v39
	v_and_b32_e32 v40, s62, v40
	v_lshlrev_b32_e32 v40, 2, v40
	ds_read_b32 v40, v40
	s_waitcnt lgkmcnt(0)
	v_add_nc_u32_e32 v40, v40, v55
	global_store_byte v40, v39, s[46:47]
	s_or_b32 exec_lo, exec_lo, s23
	v_cmp_lt_u32_e64 s27, v56, v138
	s_and_saveexec_b32 s23, s27
	s_cbranch_execz .LBB325_811
.LBB325_883:                            ;   in Loop: Header=BB325_730 Depth=2
	ds_read_u8 v39, v0 offset:3328
	s_waitcnt lgkmcnt(0)
	v_lshrrev_b32_sdwa v40, s41, v39 dst_sel:DWORD dst_unused:UNUSED_PAD src0_sel:DWORD src1_sel:BYTE_0
	v_xor_b32_e32 v39, 0x7f, v39
	v_and_b32_e32 v40, s62, v40
	v_lshlrev_b32_e32 v40, 2, v40
	ds_read_b32 v40, v40
	s_waitcnt lgkmcnt(0)
	v_add_nc_u32_e32 v40, v40, v56
	global_store_byte v40, v39, s[46:47]
	s_or_b32 exec_lo, exec_lo, s23
	v_cmp_lt_u32_e64 s26, v57, v138
	s_and_saveexec_b32 s23, s26
	s_cbranch_execz .LBB325_812
.LBB325_884:                            ;   in Loop: Header=BB325_730 Depth=2
	ds_read_u8 v39, v0 offset:3584
	s_waitcnt lgkmcnt(0)
	v_lshrrev_b32_sdwa v40, s41, v39 dst_sel:DWORD dst_unused:UNUSED_PAD src0_sel:DWORD src1_sel:BYTE_0
	v_xor_b32_e32 v39, 0x7f, v39
	v_and_b32_e32 v40, s62, v40
	v_lshlrev_b32_e32 v40, 2, v40
	ds_read_b32 v40, v40
	s_waitcnt lgkmcnt(0)
	v_add_nc_u32_e32 v40, v40, v57
	global_store_byte v40, v39, s[46:47]
	s_or_b32 exec_lo, exec_lo, s23
	v_cmp_lt_u32_e64 s25, v58, v138
	s_and_saveexec_b32 s23, s25
	s_cbranch_execz .LBB325_813
.LBB325_885:                            ;   in Loop: Header=BB325_730 Depth=2
	ds_read_u8 v39, v0 offset:3840
	s_waitcnt lgkmcnt(0)
	v_lshrrev_b32_sdwa v40, s41, v39 dst_sel:DWORD dst_unused:UNUSED_PAD src0_sel:DWORD src1_sel:BYTE_0
	v_xor_b32_e32 v39, 0x7f, v39
	v_and_b32_e32 v40, s62, v40
	v_lshlrev_b32_e32 v40, 2, v40
	ds_read_b32 v40, v40
	s_waitcnt lgkmcnt(0)
	v_add_nc_u32_e32 v40, v40, v58
	global_store_byte v40, v39, s[46:47]
	s_or_b32 exec_lo, exec_lo, s23
	v_cmp_lt_u32_e64 s24, v59, v138
	s_and_saveexec_b32 s23, s24
	s_cbranch_execz .LBB325_814
.LBB325_886:                            ;   in Loop: Header=BB325_730 Depth=2
	ds_read_u8 v39, v0 offset:4096
	s_waitcnt lgkmcnt(0)
	v_lshrrev_b32_sdwa v40, s41, v39 dst_sel:DWORD dst_unused:UNUSED_PAD src0_sel:DWORD src1_sel:BYTE_0
	v_xor_b32_e32 v39, 0x7f, v39
	v_and_b32_e32 v40, s62, v40
	v_lshlrev_b32_e32 v40, 2, v40
	ds_read_b32 v40, v40
	s_waitcnt lgkmcnt(0)
	v_add_nc_u32_e32 v40, v40, v59
	global_store_byte v40, v39, s[46:47]
	s_or_b32 exec_lo, exec_lo, s23
	v_cmp_lt_u32_e64 s23, v60, v138
	s_and_saveexec_b32 s40, s23
	s_cbranch_execz .LBB325_815
.LBB325_887:                            ;   in Loop: Header=BB325_730 Depth=2
	ds_read_u8 v39, v0 offset:4352
	s_waitcnt lgkmcnt(0)
	v_lshrrev_b32_sdwa v40, s41, v39 dst_sel:DWORD dst_unused:UNUSED_PAD src0_sel:DWORD src1_sel:BYTE_0
	v_xor_b32_e32 v39, 0x7f, v39
	v_and_b32_e32 v40, s62, v40
	v_lshlrev_b32_e32 v40, 2, v40
	ds_read_b32 v40, v40
	s_waitcnt lgkmcnt(0)
	v_add_nc_u32_e32 v40, v40, v60
	global_store_byte v40, v39, s[46:47]
	s_or_b32 exec_lo, exec_lo, s40
	v_cmp_lt_u32_e32 vcc_lo, v61, v138
	s_and_saveexec_b32 s40, vcc_lo
	s_cbranch_execnz .LBB325_816
	s_branch .LBB325_817
.LBB325_888:                            ;   in Loop: Header=BB325_730 Depth=2
	global_load_dwordx2 v[37:38], v[39:40], off
	s_or_b32 exec_lo, exec_lo, s40
	s_mov_b32 s50, exec_lo
	v_cmpx_lt_u32_e64 v100, v138
	s_cbranch_execz .LBB325_819
.LBB325_889:                            ;   in Loop: Header=BB325_730 Depth=2
	global_load_dwordx2 v[35:36], v[39:40], off offset:256
	s_or_b32 exec_lo, exec_lo, s50
	s_mov_b32 s50, exec_lo
	v_cmpx_lt_u32_e64 v101, v138
	s_cbranch_execz .LBB325_820
.LBB325_890:                            ;   in Loop: Header=BB325_730 Depth=2
	global_load_dwordx2 v[33:34], v[39:40], off offset:512
	s_or_b32 exec_lo, exec_lo, s50
	s_mov_b32 s50, exec_lo
	v_cmpx_lt_u32_e64 v102, v138
	s_cbranch_execz .LBB325_821
.LBB325_891:                            ;   in Loop: Header=BB325_730 Depth=2
	global_load_dwordx2 v[31:32], v[39:40], off offset:768
	s_or_b32 exec_lo, exec_lo, s50
	s_mov_b32 s50, exec_lo
	v_cmpx_lt_u32_e64 v103, v138
	s_cbranch_execz .LBB325_822
.LBB325_892:                            ;   in Loop: Header=BB325_730 Depth=2
	global_load_dwordx2 v[29:30], v[39:40], off offset:1024
	s_or_b32 exec_lo, exec_lo, s50
	s_mov_b32 s50, exec_lo
	v_cmpx_lt_u32_e64 v104, v138
	s_cbranch_execz .LBB325_823
.LBB325_893:                            ;   in Loop: Header=BB325_730 Depth=2
	global_load_dwordx2 v[25:26], v[39:40], off offset:1280
	s_or_b32 exec_lo, exec_lo, s50
	s_mov_b32 s50, exec_lo
	v_cmpx_lt_u32_e64 v105, v138
	s_cbranch_execz .LBB325_824
.LBB325_894:                            ;   in Loop: Header=BB325_730 Depth=2
	global_load_dwordx2 v[21:22], v[39:40], off offset:1536
	s_or_b32 exec_lo, exec_lo, s50
	s_mov_b32 s50, exec_lo
	v_cmpx_lt_u32_e64 v106, v138
	s_cbranch_execz .LBB325_825
.LBB325_895:                            ;   in Loop: Header=BB325_730 Depth=2
	global_load_dwordx2 v[17:18], v[39:40], off offset:1792
	s_or_b32 exec_lo, exec_lo, s50
	s_mov_b32 s50, exec_lo
	v_cmpx_lt_u32_e64 v107, v138
	s_cbranch_execz .LBB325_826
.LBB325_896:                            ;   in Loop: Header=BB325_730 Depth=2
	v_add_co_u32 v27, s40, 0x800, v39
	v_add_co_ci_u32_e64 v28, null, 0, v40, s40
	global_load_dwordx2 v[27:28], v[27:28], off
	s_or_b32 exec_lo, exec_lo, s50
	s_mov_b32 s50, exec_lo
	v_cmpx_lt_u32_e64 v108, v138
	s_cbranch_execz .LBB325_827
.LBB325_897:                            ;   in Loop: Header=BB325_730 Depth=2
	v_add_co_u32 v23, s40, 0x800, v39
	v_add_co_ci_u32_e64 v24, null, 0, v40, s40
	global_load_dwordx2 v[23:24], v[23:24], off offset:256
	s_or_b32 exec_lo, exec_lo, s50
	s_mov_b32 s50, exec_lo
	v_cmpx_lt_u32_e64 v109, v138
	s_cbranch_execz .LBB325_828
.LBB325_898:                            ;   in Loop: Header=BB325_730 Depth=2
	v_add_co_u32 v19, s40, 0x800, v39
	v_add_co_ci_u32_e64 v20, null, 0, v40, s40
	global_load_dwordx2 v[19:20], v[19:20], off offset:512
	s_or_b32 exec_lo, exec_lo, s50
	s_mov_b32 s50, exec_lo
	v_cmpx_lt_u32_e64 v110, v138
	s_cbranch_execz .LBB325_829
.LBB325_899:                            ;   in Loop: Header=BB325_730 Depth=2
	v_add_co_u32 v15, s40, 0x800, v39
	v_add_co_ci_u32_e64 v16, null, 0, v40, s40
	global_load_dwordx2 v[15:16], v[15:16], off offset:768
	s_or_b32 exec_lo, exec_lo, s50
	s_mov_b32 s50, exec_lo
	v_cmpx_lt_u32_e64 v111, v138
	s_cbranch_execz .LBB325_830
.LBB325_900:                            ;   in Loop: Header=BB325_730 Depth=2
	v_add_co_u32 v13, s40, 0x800, v39
	v_add_co_ci_u32_e64 v14, null, 0, v40, s40
	global_load_dwordx2 v[13:14], v[13:14], off offset:1024
	s_or_b32 exec_lo, exec_lo, s50
	s_mov_b32 s50, exec_lo
	v_cmpx_lt_u32_e64 v112, v138
	s_cbranch_execz .LBB325_831
.LBB325_901:                            ;   in Loop: Header=BB325_730 Depth=2
	v_add_co_u32 v11, s40, 0x800, v39
	v_add_co_ci_u32_e64 v12, null, 0, v40, s40
	global_load_dwordx2 v[11:12], v[11:12], off offset:1280
	s_or_b32 exec_lo, exec_lo, s50
	s_mov_b32 s50, exec_lo
	v_cmpx_lt_u32_e64 v113, v138
	s_cbranch_execz .LBB325_832
.LBB325_902:                            ;   in Loop: Header=BB325_730 Depth=2
	v_add_co_u32 v9, s40, 0x800, v39
	v_add_co_ci_u32_e64 v10, null, 0, v40, s40
	global_load_dwordx2 v[9:10], v[9:10], off offset:1536
	s_or_b32 exec_lo, exec_lo, s50
	s_mov_b32 s50, exec_lo
	v_cmpx_lt_u32_e64 v114, v138
	s_cbranch_execz .LBB325_833
.LBB325_903:                            ;   in Loop: Header=BB325_730 Depth=2
	v_add_co_u32 v7, s40, 0x800, v39
	v_add_co_ci_u32_e64 v8, null, 0, v40, s40
	global_load_dwordx2 v[7:8], v[7:8], off offset:1792
	s_or_b32 exec_lo, exec_lo, s50
	s_mov_b32 s50, exec_lo
	v_cmpx_lt_u32_e64 v115, v138
	s_cbranch_execz .LBB325_834
.LBB325_904:                            ;   in Loop: Header=BB325_730 Depth=2
	v_add_co_u32 v5, s40, 0x1000, v39
	v_add_co_ci_u32_e64 v6, null, 0, v40, s40
	global_load_dwordx2 v[5:6], v[5:6], off
	s_or_b32 exec_lo, exec_lo, s50
	s_and_saveexec_b32 s40, s39
	s_cbranch_execz .LBB325_835
.LBB325_905:                            ;   in Loop: Header=BB325_730 Depth=2
	ds_read_u8 v39, v0 offset:512
	s_waitcnt lgkmcnt(0)
	v_lshrrev_b32_e32 v39, s41, v39
	v_and_b32_e32 v134, s62, v39
	s_or_b32 exec_lo, exec_lo, s40
	s_and_saveexec_b32 s40, s38
	s_cbranch_execz .LBB325_836
.LBB325_906:                            ;   in Loop: Header=BB325_730 Depth=2
	ds_read_u8 v39, v0 offset:768
	s_waitcnt lgkmcnt(0)
	v_lshrrev_b32_e32 v39, s41, v39
	v_and_b32_e32 v133, s62, v39
	s_or_b32 exec_lo, exec_lo, s40
	s_and_saveexec_b32 s40, s37
	s_cbranch_execz .LBB325_837
.LBB325_907:                            ;   in Loop: Header=BB325_730 Depth=2
	ds_read_u8 v39, v0 offset:1024
	s_waitcnt lgkmcnt(0)
	v_lshrrev_b32_e32 v39, s41, v39
	v_and_b32_e32 v132, s62, v39
	s_or_b32 exec_lo, exec_lo, s40
	s_and_saveexec_b32 s40, s36
	s_cbranch_execz .LBB325_838
.LBB325_908:                            ;   in Loop: Header=BB325_730 Depth=2
	ds_read_u8 v39, v0 offset:1280
	s_waitcnt lgkmcnt(0)
	v_lshrrev_b32_e32 v39, s41, v39
	v_and_b32_e32 v131, s62, v39
	s_or_b32 exec_lo, exec_lo, s40
	s_and_saveexec_b32 s40, s35
	s_cbranch_execz .LBB325_839
.LBB325_909:                            ;   in Loop: Header=BB325_730 Depth=2
	ds_read_u8 v39, v0 offset:1536
	s_waitcnt lgkmcnt(0)
	v_lshrrev_b32_e32 v39, s41, v39
	v_and_b32_e32 v130, s62, v39
	s_or_b32 exec_lo, exec_lo, s40
	s_and_saveexec_b32 s40, s34
	s_cbranch_execz .LBB325_840
.LBB325_910:                            ;   in Loop: Header=BB325_730 Depth=2
	ds_read_u8 v39, v0 offset:1792
	s_waitcnt lgkmcnt(0)
	v_lshrrev_b32_e32 v39, s41, v39
	v_and_b32_e32 v129, s62, v39
	s_or_b32 exec_lo, exec_lo, s40
	s_and_saveexec_b32 s40, s33
	s_cbranch_execz .LBB325_841
.LBB325_911:                            ;   in Loop: Header=BB325_730 Depth=2
	ds_read_u8 v39, v0 offset:2048
	s_waitcnt lgkmcnt(0)
	v_lshrrev_b32_e32 v39, s41, v39
	v_and_b32_e32 v128, s62, v39
	s_or_b32 exec_lo, exec_lo, s40
	s_and_saveexec_b32 s40, s31
	s_cbranch_execz .LBB325_842
.LBB325_912:                            ;   in Loop: Header=BB325_730 Depth=2
	ds_read_u8 v39, v0 offset:2304
	s_waitcnt lgkmcnt(0)
	v_lshrrev_b32_e32 v39, s41, v39
	v_and_b32_e32 v127, s62, v39
	s_or_b32 exec_lo, exec_lo, s40
	s_and_saveexec_b32 s40, s30
	s_cbranch_execz .LBB325_843
.LBB325_913:                            ;   in Loop: Header=BB325_730 Depth=2
	ds_read_u8 v39, v0 offset:2560
	s_waitcnt lgkmcnt(0)
	v_lshrrev_b32_e32 v39, s41, v39
	v_and_b32_e32 v126, s62, v39
	s_or_b32 exec_lo, exec_lo, s40
	s_and_saveexec_b32 s40, s29
	s_cbranch_execz .LBB325_844
.LBB325_914:                            ;   in Loop: Header=BB325_730 Depth=2
	ds_read_u8 v39, v0 offset:2816
	s_waitcnt lgkmcnt(0)
	v_lshrrev_b32_e32 v39, s41, v39
	v_and_b32_e32 v125, s62, v39
	s_or_b32 exec_lo, exec_lo, s40
	s_and_saveexec_b32 s40, s28
	s_cbranch_execz .LBB325_845
.LBB325_915:                            ;   in Loop: Header=BB325_730 Depth=2
	ds_read_u8 v39, v0 offset:3072
	s_waitcnt lgkmcnt(0)
	v_lshrrev_b32_e32 v39, s41, v39
	v_and_b32_e32 v124, s62, v39
	s_or_b32 exec_lo, exec_lo, s40
	s_and_saveexec_b32 s40, s27
	s_cbranch_execz .LBB325_846
.LBB325_916:                            ;   in Loop: Header=BB325_730 Depth=2
	ds_read_u8 v39, v0 offset:3328
	s_waitcnt lgkmcnt(0)
	v_lshrrev_b32_e32 v39, s41, v39
	v_and_b32_e32 v123, s62, v39
	s_or_b32 exec_lo, exec_lo, s40
	s_and_saveexec_b32 s40, s26
	s_cbranch_execz .LBB325_847
.LBB325_917:                            ;   in Loop: Header=BB325_730 Depth=2
	ds_read_u8 v39, v0 offset:3584
	s_waitcnt lgkmcnt(0)
	v_lshrrev_b32_e32 v39, s41, v39
	v_and_b32_e32 v122, s62, v39
	s_or_b32 exec_lo, exec_lo, s40
	s_and_saveexec_b32 s40, s25
	s_cbranch_execz .LBB325_848
.LBB325_918:                            ;   in Loop: Header=BB325_730 Depth=2
	ds_read_u8 v39, v0 offset:3840
	s_waitcnt lgkmcnt(0)
	v_lshrrev_b32_e32 v39, s41, v39
	v_and_b32_e32 v121, s62, v39
	s_or_b32 exec_lo, exec_lo, s40
	s_and_saveexec_b32 s40, s24
	s_cbranch_execz .LBB325_849
.LBB325_919:                            ;   in Loop: Header=BB325_730 Depth=2
	ds_read_u8 v39, v0 offset:4096
	s_waitcnt lgkmcnt(0)
	v_lshrrev_b32_e32 v39, s41, v39
	v_and_b32_e32 v120, s62, v39
	s_or_b32 exec_lo, exec_lo, s40
	s_and_saveexec_b32 s40, s23
	s_cbranch_execz .LBB325_850
.LBB325_920:                            ;   in Loop: Header=BB325_730 Depth=2
	ds_read_u8 v39, v0 offset:4352
	s_waitcnt lgkmcnt(0)
	v_lshrrev_b32_e32 v39, s41, v39
	v_and_b32_e32 v119, s62, v39
	s_or_b32 exec_lo, exec_lo, s40
	s_and_saveexec_b32 s40, vcc_lo
	s_cbranch_execnz .LBB325_851
	s_branch .LBB325_852
.LBB325_921:                            ;   in Loop: Header=BB325_730 Depth=2
	v_lshlrev_b32_e32 v3, 2, v134
	v_add_nc_u32_e32 v39, v0, v75
	ds_read_b32 v3, v3
	ds_read_b64 v[39:40], v39 offset:512
	s_waitcnt lgkmcnt(1)
	v_add_nc_u32_e32 v3, v3, v0
	v_lshlrev_b64 v[41:42], 3, v[3:4]
	v_add_co_u32 v41, s39, s52, v41
	v_add_co_ci_u32_e64 v42, null, s53, v42, s39
	s_waitcnt lgkmcnt(0)
	global_store_dwordx2 v[41:42], v[39:40], off
	s_or_b32 exec_lo, exec_lo, s40
	s_and_saveexec_b32 s39, s38
	s_cbranch_execz .LBB325_854
.LBB325_922:                            ;   in Loop: Header=BB325_730 Depth=2
	v_lshlrev_b32_e32 v3, 2, v133
	v_add_nc_u32_e32 v39, v0, v75
	ds_read_b32 v3, v3
	ds_read_b64 v[39:40], v39 offset:2560
	s_waitcnt lgkmcnt(1)
	v_add_nc_u32_e32 v3, v3, v44
	v_lshlrev_b64 v[41:42], 3, v[3:4]
	v_add_co_u32 v41, s38, s52, v41
	v_add_co_ci_u32_e64 v42, null, s53, v42, s38
	s_waitcnt lgkmcnt(0)
	global_store_dwordx2 v[41:42], v[39:40], off
	s_or_b32 exec_lo, exec_lo, s39
	s_and_saveexec_b32 s38, s37
	s_cbranch_execz .LBB325_855
.LBB325_923:                            ;   in Loop: Header=BB325_730 Depth=2
	v_lshlrev_b32_e32 v3, 2, v132
	v_add_nc_u32_e32 v39, v0, v75
	ds_read_b32 v3, v3
	ds_read_b64 v[39:40], v39 offset:4608
	s_waitcnt lgkmcnt(1)
	v_add_nc_u32_e32 v3, v3, v47
	v_lshlrev_b64 v[41:42], 3, v[3:4]
	v_add_co_u32 v41, s37, s52, v41
	v_add_co_ci_u32_e64 v42, null, s53, v42, s37
	s_waitcnt lgkmcnt(0)
	global_store_dwordx2 v[41:42], v[39:40], off
	s_or_b32 exec_lo, exec_lo, s38
	s_and_saveexec_b32 s37, s36
	s_cbranch_execz .LBB325_856
.LBB325_924:                            ;   in Loop: Header=BB325_730 Depth=2
	v_lshlrev_b32_e32 v3, 2, v131
	v_add_nc_u32_e32 v39, v0, v75
	ds_read_b32 v3, v3
	ds_read_b64 v[39:40], v39 offset:6656
	s_waitcnt lgkmcnt(1)
	v_add_nc_u32_e32 v3, v3, v48
	v_lshlrev_b64 v[41:42], 3, v[3:4]
	v_add_co_u32 v41, s36, s52, v41
	v_add_co_ci_u32_e64 v42, null, s53, v42, s36
	s_waitcnt lgkmcnt(0)
	global_store_dwordx2 v[41:42], v[39:40], off
	s_or_b32 exec_lo, exec_lo, s37
	s_and_saveexec_b32 s36, s35
	s_cbranch_execz .LBB325_857
.LBB325_925:                            ;   in Loop: Header=BB325_730 Depth=2
	v_lshlrev_b32_e32 v3, 2, v130
	v_add_nc_u32_e32 v39, v0, v75
	ds_read_b32 v3, v3
	ds_read_b64 v[39:40], v39 offset:8704
	s_waitcnt lgkmcnt(1)
	v_add_nc_u32_e32 v3, v3, v49
	v_lshlrev_b64 v[41:42], 3, v[3:4]
	v_add_co_u32 v41, s35, s52, v41
	v_add_co_ci_u32_e64 v42, null, s53, v42, s35
	s_waitcnt lgkmcnt(0)
	global_store_dwordx2 v[41:42], v[39:40], off
	s_or_b32 exec_lo, exec_lo, s36
	s_and_saveexec_b32 s35, s34
	s_cbranch_execz .LBB325_858
.LBB325_926:                            ;   in Loop: Header=BB325_730 Depth=2
	v_lshlrev_b32_e32 v3, 2, v129
	v_add_nc_u32_e32 v39, v0, v75
	ds_read_b32 v3, v3
	ds_read_b64 v[39:40], v39 offset:10752
	s_waitcnt lgkmcnt(1)
	v_add_nc_u32_e32 v3, v3, v50
	v_lshlrev_b64 v[41:42], 3, v[3:4]
	v_add_co_u32 v41, s34, s52, v41
	v_add_co_ci_u32_e64 v42, null, s53, v42, s34
	s_waitcnt lgkmcnt(0)
	global_store_dwordx2 v[41:42], v[39:40], off
	s_or_b32 exec_lo, exec_lo, s35
	s_and_saveexec_b32 s34, s33
	s_cbranch_execz .LBB325_859
.LBB325_927:                            ;   in Loop: Header=BB325_730 Depth=2
	v_lshlrev_b32_e32 v3, 2, v128
	v_add_nc_u32_e32 v39, v0, v75
	ds_read_b32 v3, v3
	ds_read_b64 v[39:40], v39 offset:12800
	s_waitcnt lgkmcnt(1)
	v_add_nc_u32_e32 v3, v3, v51
	v_lshlrev_b64 v[41:42], 3, v[3:4]
	v_add_co_u32 v41, s33, s52, v41
	v_add_co_ci_u32_e64 v42, null, s53, v42, s33
	s_waitcnt lgkmcnt(0)
	global_store_dwordx2 v[41:42], v[39:40], off
	s_or_b32 exec_lo, exec_lo, s34
	s_and_saveexec_b32 s33, s31
	s_cbranch_execz .LBB325_860
.LBB325_928:                            ;   in Loop: Header=BB325_730 Depth=2
	v_lshlrev_b32_e32 v3, 2, v127
	v_add_nc_u32_e32 v39, v0, v75
	ds_read_b32 v3, v3
	ds_read_b64 v[39:40], v39 offset:14848
	s_waitcnt lgkmcnt(1)
	v_add_nc_u32_e32 v3, v3, v52
	v_lshlrev_b64 v[41:42], 3, v[3:4]
	v_add_co_u32 v41, s31, s52, v41
	v_add_co_ci_u32_e64 v42, null, s53, v42, s31
	s_waitcnt lgkmcnt(0)
	global_store_dwordx2 v[41:42], v[39:40], off
	s_or_b32 exec_lo, exec_lo, s33
	s_and_saveexec_b32 s31, s30
	s_cbranch_execz .LBB325_861
.LBB325_929:                            ;   in Loop: Header=BB325_730 Depth=2
	v_lshlrev_b32_e32 v3, 2, v126
	v_add_nc_u32_e32 v39, v0, v75
	ds_read_b32 v3, v3
	ds_read_b64 v[39:40], v39 offset:16896
	s_waitcnt lgkmcnt(1)
	v_add_nc_u32_e32 v3, v3, v53
	v_lshlrev_b64 v[41:42], 3, v[3:4]
	v_add_co_u32 v41, s30, s52, v41
	v_add_co_ci_u32_e64 v42, null, s53, v42, s30
	s_waitcnt lgkmcnt(0)
	global_store_dwordx2 v[41:42], v[39:40], off
	s_or_b32 exec_lo, exec_lo, s31
	s_and_saveexec_b32 s30, s29
	s_cbranch_execz .LBB325_862
.LBB325_930:                            ;   in Loop: Header=BB325_730 Depth=2
	v_lshlrev_b32_e32 v3, 2, v125
	v_add_nc_u32_e32 v39, v0, v75
	ds_read_b32 v3, v3
	ds_read_b64 v[39:40], v39 offset:18944
	s_waitcnt lgkmcnt(1)
	v_add_nc_u32_e32 v3, v3, v54
	v_lshlrev_b64 v[41:42], 3, v[3:4]
	v_add_co_u32 v41, s29, s52, v41
	v_add_co_ci_u32_e64 v42, null, s53, v42, s29
	s_waitcnt lgkmcnt(0)
	global_store_dwordx2 v[41:42], v[39:40], off
	s_or_b32 exec_lo, exec_lo, s30
	s_and_saveexec_b32 s29, s28
	s_cbranch_execz .LBB325_863
.LBB325_931:                            ;   in Loop: Header=BB325_730 Depth=2
	v_lshlrev_b32_e32 v3, 2, v124
	v_add_nc_u32_e32 v39, v0, v75
	ds_read_b32 v3, v3
	ds_read_b64 v[39:40], v39 offset:20992
	s_waitcnt lgkmcnt(1)
	v_add_nc_u32_e32 v3, v3, v55
	v_lshlrev_b64 v[41:42], 3, v[3:4]
	v_add_co_u32 v41, s28, s52, v41
	v_add_co_ci_u32_e64 v42, null, s53, v42, s28
	s_waitcnt lgkmcnt(0)
	global_store_dwordx2 v[41:42], v[39:40], off
	s_or_b32 exec_lo, exec_lo, s29
	s_and_saveexec_b32 s28, s27
	s_cbranch_execz .LBB325_864
.LBB325_932:                            ;   in Loop: Header=BB325_730 Depth=2
	v_lshlrev_b32_e32 v3, 2, v123
	v_add_nc_u32_e32 v39, v0, v75
	ds_read_b32 v3, v3
	ds_read_b64 v[39:40], v39 offset:23040
	s_waitcnt lgkmcnt(1)
	v_add_nc_u32_e32 v3, v3, v56
	v_lshlrev_b64 v[41:42], 3, v[3:4]
	v_add_co_u32 v41, s27, s52, v41
	v_add_co_ci_u32_e64 v42, null, s53, v42, s27
	s_waitcnt lgkmcnt(0)
	global_store_dwordx2 v[41:42], v[39:40], off
	s_or_b32 exec_lo, exec_lo, s28
	s_and_saveexec_b32 s27, s26
	s_cbranch_execz .LBB325_865
.LBB325_933:                            ;   in Loop: Header=BB325_730 Depth=2
	v_lshlrev_b32_e32 v3, 2, v122
	v_add_nc_u32_e32 v39, v0, v75
	ds_read_b32 v3, v3
	ds_read_b64 v[39:40], v39 offset:25088
	s_waitcnt lgkmcnt(1)
	v_add_nc_u32_e32 v3, v3, v57
	v_lshlrev_b64 v[41:42], 3, v[3:4]
	v_add_co_u32 v41, s26, s52, v41
	v_add_co_ci_u32_e64 v42, null, s53, v42, s26
	s_waitcnt lgkmcnt(0)
	global_store_dwordx2 v[41:42], v[39:40], off
	s_or_b32 exec_lo, exec_lo, s27
	s_and_saveexec_b32 s26, s25
	s_cbranch_execz .LBB325_866
.LBB325_934:                            ;   in Loop: Header=BB325_730 Depth=2
	v_lshlrev_b32_e32 v3, 2, v121
	v_add_nc_u32_e32 v39, v0, v75
	ds_read_b32 v3, v3
	ds_read_b64 v[39:40], v39 offset:27136
	s_waitcnt lgkmcnt(1)
	v_add_nc_u32_e32 v3, v3, v58
	v_lshlrev_b64 v[41:42], 3, v[3:4]
	v_add_co_u32 v41, s25, s52, v41
	v_add_co_ci_u32_e64 v42, null, s53, v42, s25
	s_waitcnt lgkmcnt(0)
	global_store_dwordx2 v[41:42], v[39:40], off
	s_or_b32 exec_lo, exec_lo, s26
	s_and_saveexec_b32 s25, s24
	s_cbranch_execz .LBB325_867
.LBB325_935:                            ;   in Loop: Header=BB325_730 Depth=2
	v_lshlrev_b32_e32 v3, 2, v120
	v_add_nc_u32_e32 v39, v0, v75
	ds_read_b32 v3, v3
	ds_read_b64 v[39:40], v39 offset:29184
	s_waitcnt lgkmcnt(1)
	v_add_nc_u32_e32 v3, v3, v59
	v_lshlrev_b64 v[41:42], 3, v[3:4]
	v_add_co_u32 v41, s24, s52, v41
	v_add_co_ci_u32_e64 v42, null, s53, v42, s24
	s_waitcnt lgkmcnt(0)
	global_store_dwordx2 v[41:42], v[39:40], off
	s_or_b32 exec_lo, exec_lo, s25
	s_and_saveexec_b32 s24, s23
	s_cbranch_execz .LBB325_868
.LBB325_936:                            ;   in Loop: Header=BB325_730 Depth=2
	v_lshlrev_b32_e32 v3, 2, v119
	v_add_nc_u32_e32 v39, v0, v75
	ds_read_b32 v3, v3
	ds_read_b64 v[39:40], v39 offset:31232
	s_waitcnt lgkmcnt(1)
	v_add_nc_u32_e32 v3, v3, v60
	v_lshlrev_b64 v[41:42], 3, v[3:4]
	v_add_co_u32 v41, s23, s52, v41
	v_add_co_ci_u32_e64 v42, null, s53, v42, s23
	s_waitcnt lgkmcnt(0)
	global_store_dwordx2 v[41:42], v[39:40], off
	s_or_b32 exec_lo, exec_lo, s24
	s_and_saveexec_b32 s23, vcc_lo
	s_cbranch_execnz .LBB325_869
	s_branch .LBB325_870
.LBB325_937:                            ;   in Loop: Header=BB325_730 Depth=2
	global_load_ubyte v146, v[39:40], off
	v_mov_b32_e32 v117, 0x80
	v_mov_b32_e32 v147, 0x80
	;; [unrolled: 1-line block ×16, first 2 shown]
	s_or_b32 exec_lo, exec_lo, s23
	s_mov_b32 s23, exec_lo
	v_cmpx_gt_u32_e64 s63, v100
	s_cbranch_execz .LBB325_735
.LBB325_938:                            ;   in Loop: Header=BB325_730 Depth=2
	global_load_ubyte v147, v[39:40], off offset:32
	s_or_b32 exec_lo, exec_lo, s23
	s_mov_b32 s23, exec_lo
	v_cmpx_gt_u32_e64 s63, v101
	s_cbranch_execz .LBB325_736
.LBB325_939:                            ;   in Loop: Header=BB325_730 Depth=2
	global_load_ubyte v148, v[39:40], off offset:64
	s_or_b32 exec_lo, exec_lo, s23
	s_mov_b32 s23, exec_lo
	v_cmpx_gt_u32_e64 s63, v102
	s_cbranch_execz .LBB325_737
.LBB325_940:                            ;   in Loop: Header=BB325_730 Depth=2
	global_load_ubyte v151, v[39:40], off offset:96
	s_or_b32 exec_lo, exec_lo, s23
	s_mov_b32 s23, exec_lo
	v_cmpx_gt_u32_e64 s63, v103
	s_cbranch_execz .LBB325_738
.LBB325_941:                            ;   in Loop: Header=BB325_730 Depth=2
	global_load_ubyte v150, v[39:40], off offset:128
	s_or_b32 exec_lo, exec_lo, s23
	s_mov_b32 s23, exec_lo
	v_cmpx_gt_u32_e64 s63, v104
	s_cbranch_execz .LBB325_739
.LBB325_942:                            ;   in Loop: Header=BB325_730 Depth=2
	global_load_ubyte v143, v[39:40], off offset:160
	s_or_b32 exec_lo, exec_lo, s23
	s_mov_b32 s23, exec_lo
	v_cmpx_gt_u32_e64 s63, v105
	s_cbranch_execz .LBB325_740
.LBB325_943:                            ;   in Loop: Header=BB325_730 Depth=2
	global_load_ubyte v144, v[39:40], off offset:192
	s_or_b32 exec_lo, exec_lo, s23
	s_mov_b32 s23, exec_lo
	v_cmpx_gt_u32_e64 s63, v106
	s_cbranch_execz .LBB325_741
.LBB325_944:                            ;   in Loop: Header=BB325_730 Depth=2
	global_load_ubyte v145, v[39:40], off offset:224
	s_or_b32 exec_lo, exec_lo, s23
	s_mov_b32 s23, exec_lo
	v_cmpx_gt_u32_e64 s63, v107
	s_cbranch_execz .LBB325_742
.LBB325_945:                            ;   in Loop: Header=BB325_730 Depth=2
	global_load_ubyte v142, v[39:40], off offset:256
	s_or_b32 exec_lo, exec_lo, s23
	s_mov_b32 s23, exec_lo
	v_cmpx_gt_u32_e64 s63, v108
	s_cbranch_execz .LBB325_743
.LBB325_946:                            ;   in Loop: Header=BB325_730 Depth=2
	global_load_ubyte v139, v[39:40], off offset:288
	s_or_b32 exec_lo, exec_lo, s23
	s_mov_b32 s23, exec_lo
	v_cmpx_gt_u32_e64 s63, v109
	s_cbranch_execz .LBB325_744
.LBB325_947:                            ;   in Loop: Header=BB325_730 Depth=2
	global_load_ubyte v140, v[39:40], off offset:320
	s_or_b32 exec_lo, exec_lo, s23
	s_mov_b32 s23, exec_lo
	v_cmpx_gt_u32_e64 s63, v110
	s_cbranch_execz .LBB325_745
.LBB325_948:                            ;   in Loop: Header=BB325_730 Depth=2
	global_load_ubyte v141, v[39:40], off offset:352
	s_or_b32 exec_lo, exec_lo, s23
	s_mov_b32 s23, exec_lo
	v_cmpx_gt_u32_e64 s63, v111
	s_cbranch_execz .LBB325_746
.LBB325_949:                            ;   in Loop: Header=BB325_730 Depth=2
	global_load_ubyte v137, v[39:40], off offset:384
	s_or_b32 exec_lo, exec_lo, s23
	s_mov_b32 s23, exec_lo
	v_cmpx_gt_u32_e64 s63, v112
	s_cbranch_execz .LBB325_747
.LBB325_950:                            ;   in Loop: Header=BB325_730 Depth=2
	global_load_ubyte v3, v[39:40], off offset:416
	s_or_b32 exec_lo, exec_lo, s23
	s_mov_b32 s23, exec_lo
	v_cmpx_gt_u32_e64 s63, v113
	s_cbranch_execz .LBB325_748
.LBB325_951:                            ;   in Loop: Header=BB325_730 Depth=2
	global_load_ubyte v41, v[39:40], off offset:448
	s_or_b32 exec_lo, exec_lo, s23
	s_mov_b32 s23, exec_lo
	v_cmpx_gt_u32_e64 s63, v114
	s_cbranch_execnz .LBB325_749
	s_branch .LBB325_750
.LBB325_952:                            ;   in Loop: Header=BB325_20 Depth=1
	s_waitcnt lgkmcnt(0)
	s_mov_b32 s5, 0
	s_barrier
.LBB325_953:                            ;   in Loop: Header=BB325_20 Depth=1
	s_and_b32 vcc_lo, exec_lo, s5
	s_cbranch_vccz .LBB325_19
; %bb.954:                              ;   in Loop: Header=BB325_20 Depth=1
	v_mov_b32_e32 v17, 0
	v_mov_b32_e32 v20, 0
	;; [unrolled: 1-line block ×17, first 2 shown]
	s_mov_b32 s5, s60
	s_mov_b32 s17, s58
	s_barrier
	buffer_gl0_inv
	s_branch .LBB325_956
.LBB325_955:                            ;   in Loop: Header=BB325_956 Depth=2
	s_or_b32 exec_lo, exec_lo, s16
	s_addk_i32 s5, 0xef00
	s_cmp_ge_u32 s15, s59
	s_mov_b32 s17, s15
	s_cbranch_scc1 .LBB325_1028
.LBB325_956:                            ;   Parent Loop BB325_20 Depth=1
                                        ; =>  This Inner Loop Header: Depth=2
	s_add_i32 s15, s17, 0x1100
	s_mov_b32 s16, -1
	s_cmp_gt_u32 s15, s59
                                        ; implicit-def: $vgpr21
                                        ; implicit-def: $vgpr22
                                        ; implicit-def: $vgpr23
                                        ; implicit-def: $vgpr24
                                        ; implicit-def: $vgpr25
                                        ; implicit-def: $vgpr26
                                        ; implicit-def: $vgpr27
                                        ; implicit-def: $vgpr28
                                        ; implicit-def: $vgpr29
                                        ; implicit-def: $vgpr30
                                        ; implicit-def: $vgpr31
                                        ; implicit-def: $vgpr32
                                        ; implicit-def: $vgpr33
                                        ; implicit-def: $vgpr34
                                        ; implicit-def: $vgpr35
                                        ; implicit-def: $vgpr36
                                        ; implicit-def: $vgpr37
	s_cbranch_scc1 .LBB325_958
; %bb.957:                              ;   in Loop: Header=BB325_956 Depth=2
	v_add_co_u32 v38, vcc_lo, v82, s17
	v_add_co_ci_u32_e64 v39, null, 0, v83, vcc_lo
	s_mov_b32 s16, 0
	v_add_co_u32 v21, vcc_lo, 0x800, v38
	v_add_co_ci_u32_e64 v22, null, 0, v39, vcc_lo
	v_add_co_u32 v23, vcc_lo, 0x1000, v38
	v_add_co_ci_u32_e64 v24, null, 0, v39, vcc_lo
	s_clause 0x10
	global_load_ubyte v36, v[21:22], off offset:1792
	global_load_ubyte v37, v[23:24], off
	global_load_ubyte v35, v[21:22], off offset:1536
	global_load_ubyte v34, v[21:22], off offset:1280
	;; [unrolled: 1-line block ×6, first 2 shown]
	global_load_ubyte v29, v[21:22], off
	global_load_ubyte v28, v[38:39], off offset:1792
	global_load_ubyte v27, v[38:39], off offset:1536
	;; [unrolled: 1-line block ×7, first 2 shown]
	global_load_ubyte v21, v[38:39], off
.LBB325_958:                            ;   in Loop: Header=BB325_956 Depth=2
	s_andn2_b32 vcc_lo, exec_lo, s16
	s_movk_i32 s16, 0x1100
	s_cbranch_vccnz .LBB325_978
; %bb.959:                              ;   in Loop: Header=BB325_956 Depth=2
	s_add_u32 s16, s44, s17
	s_addc_u32 s17, s45, 0
	s_mov_b32 s18, exec_lo
	v_cmpx_gt_u32_e64 s5, v0
	s_cbranch_execnz .LBB325_1012
; %bb.960:                              ;   in Loop: Header=BB325_956 Depth=2
	s_or_b32 exec_lo, exec_lo, s18
	s_mov_b32 s18, exec_lo
	v_cmpx_gt_u32_e64 s5, v44
	s_cbranch_execnz .LBB325_1013
.LBB325_961:                            ;   in Loop: Header=BB325_956 Depth=2
	s_or_b32 exec_lo, exec_lo, s18
	s_mov_b32 s18, exec_lo
	v_cmpx_gt_u32_e64 s5, v47
	s_cbranch_execnz .LBB325_1014
.LBB325_962:                            ;   in Loop: Header=BB325_956 Depth=2
	s_or_b32 exec_lo, exec_lo, s18
	s_mov_b32 s18, exec_lo
	v_cmpx_gt_u32_e64 s5, v48
	s_cbranch_execnz .LBB325_1015
.LBB325_963:                            ;   in Loop: Header=BB325_956 Depth=2
	s_or_b32 exec_lo, exec_lo, s18
	s_mov_b32 s18, exec_lo
	v_cmpx_gt_u32_e64 s5, v49
	s_cbranch_execnz .LBB325_1016
.LBB325_964:                            ;   in Loop: Header=BB325_956 Depth=2
	s_or_b32 exec_lo, exec_lo, s18
	s_mov_b32 s18, exec_lo
	v_cmpx_gt_u32_e64 s5, v50
	s_cbranch_execnz .LBB325_1017
.LBB325_965:                            ;   in Loop: Header=BB325_956 Depth=2
	s_or_b32 exec_lo, exec_lo, s18
	s_mov_b32 s18, exec_lo
	v_cmpx_gt_u32_e64 s5, v51
	s_cbranch_execnz .LBB325_1018
.LBB325_966:                            ;   in Loop: Header=BB325_956 Depth=2
	s_or_b32 exec_lo, exec_lo, s18
	s_mov_b32 s18, exec_lo
	v_cmpx_gt_u32_e64 s5, v52
	s_cbranch_execnz .LBB325_1019
.LBB325_967:                            ;   in Loop: Header=BB325_956 Depth=2
	s_or_b32 exec_lo, exec_lo, s18
	s_mov_b32 s18, exec_lo
	v_cmpx_gt_u32_e64 s5, v53
	s_cbranch_execnz .LBB325_1020
.LBB325_968:                            ;   in Loop: Header=BB325_956 Depth=2
	s_or_b32 exec_lo, exec_lo, s18
	s_mov_b32 s18, exec_lo
	v_cmpx_gt_u32_e64 s5, v54
	s_cbranch_execnz .LBB325_1021
.LBB325_969:                            ;   in Loop: Header=BB325_956 Depth=2
	s_or_b32 exec_lo, exec_lo, s18
	s_mov_b32 s18, exec_lo
	v_cmpx_gt_u32_e64 s5, v55
	s_cbranch_execnz .LBB325_1022
.LBB325_970:                            ;   in Loop: Header=BB325_956 Depth=2
	s_or_b32 exec_lo, exec_lo, s18
	s_mov_b32 s18, exec_lo
	v_cmpx_gt_u32_e64 s5, v56
	s_cbranch_execnz .LBB325_1023
.LBB325_971:                            ;   in Loop: Header=BB325_956 Depth=2
	s_or_b32 exec_lo, exec_lo, s18
	s_mov_b32 s18, exec_lo
	v_cmpx_gt_u32_e64 s5, v57
	s_cbranch_execnz .LBB325_1024
.LBB325_972:                            ;   in Loop: Header=BB325_956 Depth=2
	s_or_b32 exec_lo, exec_lo, s18
	s_mov_b32 s18, exec_lo
	v_cmpx_gt_u32_e64 s5, v58
	s_cbranch_execnz .LBB325_1025
.LBB325_973:                            ;   in Loop: Header=BB325_956 Depth=2
	s_or_b32 exec_lo, exec_lo, s18
	s_mov_b32 s18, exec_lo
	v_cmpx_gt_u32_e64 s5, v59
	s_cbranch_execnz .LBB325_1026
.LBB325_974:                            ;   in Loop: Header=BB325_956 Depth=2
	s_or_b32 exec_lo, exec_lo, s18
	s_mov_b32 s18, exec_lo
	v_cmpx_gt_u32_e64 s5, v60
	s_cbranch_execnz .LBB325_1027
.LBB325_975:                            ;   in Loop: Header=BB325_956 Depth=2
	s_or_b32 exec_lo, exec_lo, s18
	s_mov_b32 s18, exec_lo
	v_cmpx_gt_u32_e64 s5, v61
	s_cbranch_execz .LBB325_977
.LBB325_976:                            ;   in Loop: Header=BB325_956 Depth=2
	s_waitcnt vmcnt(0)
	v_add_co_u32 v21, s16, s16, v61
	v_add_co_ci_u32_e64 v22, null, s17, 0, s16
	global_load_ubyte v3, v[21:22], off
.LBB325_977:                            ;   in Loop: Header=BB325_956 Depth=2
	s_or_b32 exec_lo, exec_lo, s18
	s_waitcnt vmcnt(0)
	v_mov_b32_e32 v21, v17
	v_mov_b32_e32 v22, v20
	;; [unrolled: 1-line block ×17, first 2 shown]
	s_mov_b32 s16, s5
.LBB325_978:                            ;   in Loop: Header=BB325_956 Depth=2
	s_waitcnt vmcnt(15)
	v_mov_b32_e32 v3, v37
	v_mov_b32_e32 v5, v36
	s_waitcnt vmcnt(14)
	v_mov_b32_e32 v6, v35
	s_waitcnt vmcnt(13)
	;; [unrolled: 2-line block ×15, first 2 shown]
	v_mov_b32_e32 v17, v21
	s_mov_b32 s17, exec_lo
	v_cmpx_gt_u32_e64 s16, v0
	s_cbranch_execnz .LBB325_995
; %bb.979:                              ;   in Loop: Header=BB325_956 Depth=2
	s_or_b32 exec_lo, exec_lo, s17
	s_mov_b32 s17, exec_lo
	v_cmpx_gt_u32_e64 s16, v44
	s_cbranch_execnz .LBB325_996
.LBB325_980:                            ;   in Loop: Header=BB325_956 Depth=2
	s_or_b32 exec_lo, exec_lo, s17
	s_mov_b32 s17, exec_lo
	v_cmpx_gt_u32_e64 s16, v47
	s_cbranch_execnz .LBB325_997
.LBB325_981:                            ;   in Loop: Header=BB325_956 Depth=2
	s_or_b32 exec_lo, exec_lo, s17
	s_mov_b32 s17, exec_lo
	v_cmpx_gt_u32_e64 s16, v48
	s_cbranch_execnz .LBB325_998
.LBB325_982:                            ;   in Loop: Header=BB325_956 Depth=2
	s_or_b32 exec_lo, exec_lo, s17
	s_mov_b32 s17, exec_lo
	v_cmpx_gt_u32_e64 s16, v49
	s_cbranch_execnz .LBB325_999
.LBB325_983:                            ;   in Loop: Header=BB325_956 Depth=2
	s_or_b32 exec_lo, exec_lo, s17
	s_mov_b32 s17, exec_lo
	v_cmpx_gt_u32_e64 s16, v50
	s_cbranch_execnz .LBB325_1000
.LBB325_984:                            ;   in Loop: Header=BB325_956 Depth=2
	s_or_b32 exec_lo, exec_lo, s17
	s_mov_b32 s17, exec_lo
	v_cmpx_gt_u32_e64 s16, v51
	s_cbranch_execnz .LBB325_1001
.LBB325_985:                            ;   in Loop: Header=BB325_956 Depth=2
	s_or_b32 exec_lo, exec_lo, s17
	s_mov_b32 s17, exec_lo
	v_cmpx_gt_u32_e64 s16, v52
	s_cbranch_execnz .LBB325_1002
.LBB325_986:                            ;   in Loop: Header=BB325_956 Depth=2
	s_or_b32 exec_lo, exec_lo, s17
	s_mov_b32 s17, exec_lo
	v_cmpx_gt_u32_e64 s16, v53
	s_cbranch_execnz .LBB325_1003
.LBB325_987:                            ;   in Loop: Header=BB325_956 Depth=2
	s_or_b32 exec_lo, exec_lo, s17
	s_mov_b32 s17, exec_lo
	v_cmpx_gt_u32_e64 s16, v54
	s_cbranch_execnz .LBB325_1004
.LBB325_988:                            ;   in Loop: Header=BB325_956 Depth=2
	s_or_b32 exec_lo, exec_lo, s17
	s_mov_b32 s17, exec_lo
	v_cmpx_gt_u32_e64 s16, v55
	s_cbranch_execnz .LBB325_1005
.LBB325_989:                            ;   in Loop: Header=BB325_956 Depth=2
	s_or_b32 exec_lo, exec_lo, s17
	s_mov_b32 s17, exec_lo
	v_cmpx_gt_u32_e64 s16, v56
	s_cbranch_execnz .LBB325_1006
.LBB325_990:                            ;   in Loop: Header=BB325_956 Depth=2
	s_or_b32 exec_lo, exec_lo, s17
	s_mov_b32 s17, exec_lo
	v_cmpx_gt_u32_e64 s16, v57
	s_cbranch_execnz .LBB325_1007
.LBB325_991:                            ;   in Loop: Header=BB325_956 Depth=2
	s_or_b32 exec_lo, exec_lo, s17
	s_mov_b32 s17, exec_lo
	v_cmpx_gt_u32_e64 s16, v58
	s_cbranch_execnz .LBB325_1008
.LBB325_992:                            ;   in Loop: Header=BB325_956 Depth=2
	s_or_b32 exec_lo, exec_lo, s17
	s_mov_b32 s17, exec_lo
	v_cmpx_gt_u32_e64 s16, v59
	s_cbranch_execnz .LBB325_1009
.LBB325_993:                            ;   in Loop: Header=BB325_956 Depth=2
	s_or_b32 exec_lo, exec_lo, s17
	s_mov_b32 s17, exec_lo
	v_cmpx_gt_u32_e64 s16, v60
	s_cbranch_execnz .LBB325_1010
.LBB325_994:                            ;   in Loop: Header=BB325_956 Depth=2
	s_or_b32 exec_lo, exec_lo, s17
	v_cmp_gt_u32_e32 vcc_lo, s16, v61
	s_and_saveexec_b32 s16, vcc_lo
	s_cbranch_execz .LBB325_955
	s_branch .LBB325_1011
.LBB325_995:                            ;   in Loop: Header=BB325_956 Depth=2
	v_xor_b32_e32 v21, 0x7f, v17
	v_lshrrev_b32_sdwa v21, s41, v21 dst_sel:DWORD dst_unused:UNUSED_PAD src0_sel:DWORD src1_sel:BYTE_0
	v_and_b32_e32 v21, s62, v21
	v_lshl_or_b32 v21, v21, 4, v63
	ds_add_u32 v21, v89
	s_or_b32 exec_lo, exec_lo, s17
	s_mov_b32 s17, exec_lo
	v_cmpx_gt_u32_e64 s16, v44
	s_cbranch_execz .LBB325_980
.LBB325_996:                            ;   in Loop: Header=BB325_956 Depth=2
	v_xor_b32_e32 v21, 0x7f, v20
	v_lshrrev_b32_sdwa v21, s41, v21 dst_sel:DWORD dst_unused:UNUSED_PAD src0_sel:DWORD src1_sel:BYTE_0
	v_and_b32_e32 v21, s62, v21
	v_lshl_or_b32 v21, v21, 4, v63
	ds_add_u32 v21, v89
	s_or_b32 exec_lo, exec_lo, s17
	s_mov_b32 s17, exec_lo
	v_cmpx_gt_u32_e64 s16, v47
	s_cbranch_execz .LBB325_981
.LBB325_997:                            ;   in Loop: Header=BB325_956 Depth=2
	v_xor_b32_e32 v21, 0x7f, v19
	v_lshrrev_b32_sdwa v21, s41, v21 dst_sel:DWORD dst_unused:UNUSED_PAD src0_sel:DWORD src1_sel:BYTE_0
	v_and_b32_e32 v21, s62, v21
	v_lshl_or_b32 v21, v21, 4, v63
	ds_add_u32 v21, v89
	s_or_b32 exec_lo, exec_lo, s17
	s_mov_b32 s17, exec_lo
	v_cmpx_gt_u32_e64 s16, v48
	s_cbranch_execz .LBB325_982
.LBB325_998:                            ;   in Loop: Header=BB325_956 Depth=2
	v_xor_b32_e32 v21, 0x7f, v18
	v_lshrrev_b32_sdwa v21, s41, v21 dst_sel:DWORD dst_unused:UNUSED_PAD src0_sel:DWORD src1_sel:BYTE_0
	v_and_b32_e32 v21, s62, v21
	v_lshl_or_b32 v21, v21, 4, v63
	ds_add_u32 v21, v89
	s_or_b32 exec_lo, exec_lo, s17
	s_mov_b32 s17, exec_lo
	v_cmpx_gt_u32_e64 s16, v49
	s_cbranch_execz .LBB325_983
.LBB325_999:                            ;   in Loop: Header=BB325_956 Depth=2
	v_xor_b32_e32 v21, 0x7f, v16
	v_lshrrev_b32_sdwa v21, s41, v21 dst_sel:DWORD dst_unused:UNUSED_PAD src0_sel:DWORD src1_sel:BYTE_0
	v_and_b32_e32 v21, s62, v21
	v_lshl_or_b32 v21, v21, 4, v63
	ds_add_u32 v21, v89
	s_or_b32 exec_lo, exec_lo, s17
	s_mov_b32 s17, exec_lo
	v_cmpx_gt_u32_e64 s16, v50
	s_cbranch_execz .LBB325_984
.LBB325_1000:                           ;   in Loop: Header=BB325_956 Depth=2
	v_xor_b32_e32 v21, 0x7f, v15
	v_lshrrev_b32_sdwa v21, s41, v21 dst_sel:DWORD dst_unused:UNUSED_PAD src0_sel:DWORD src1_sel:BYTE_0
	v_and_b32_e32 v21, s62, v21
	v_lshl_or_b32 v21, v21, 4, v63
	ds_add_u32 v21, v89
	s_or_b32 exec_lo, exec_lo, s17
	s_mov_b32 s17, exec_lo
	v_cmpx_gt_u32_e64 s16, v51
	s_cbranch_execz .LBB325_985
.LBB325_1001:                           ;   in Loop: Header=BB325_956 Depth=2
	v_xor_b32_e32 v21, 0x7f, v14
	v_lshrrev_b32_sdwa v21, s41, v21 dst_sel:DWORD dst_unused:UNUSED_PAD src0_sel:DWORD src1_sel:BYTE_0
	v_and_b32_e32 v21, s62, v21
	v_lshl_or_b32 v21, v21, 4, v63
	ds_add_u32 v21, v89
	s_or_b32 exec_lo, exec_lo, s17
	s_mov_b32 s17, exec_lo
	v_cmpx_gt_u32_e64 s16, v52
	s_cbranch_execz .LBB325_986
.LBB325_1002:                           ;   in Loop: Header=BB325_956 Depth=2
	v_xor_b32_e32 v21, 0x7f, v13
	v_lshrrev_b32_sdwa v21, s41, v21 dst_sel:DWORD dst_unused:UNUSED_PAD src0_sel:DWORD src1_sel:BYTE_0
	v_and_b32_e32 v21, s62, v21
	v_lshl_or_b32 v21, v21, 4, v63
	ds_add_u32 v21, v89
	s_or_b32 exec_lo, exec_lo, s17
	s_mov_b32 s17, exec_lo
	v_cmpx_gt_u32_e64 s16, v53
	s_cbranch_execz .LBB325_987
.LBB325_1003:                           ;   in Loop: Header=BB325_956 Depth=2
	v_xor_b32_e32 v21, 0x7f, v12
	v_lshrrev_b32_sdwa v21, s41, v21 dst_sel:DWORD dst_unused:UNUSED_PAD src0_sel:DWORD src1_sel:BYTE_0
	v_and_b32_e32 v21, s62, v21
	v_lshl_or_b32 v21, v21, 4, v63
	ds_add_u32 v21, v89
	s_or_b32 exec_lo, exec_lo, s17
	s_mov_b32 s17, exec_lo
	v_cmpx_gt_u32_e64 s16, v54
	s_cbranch_execz .LBB325_988
.LBB325_1004:                           ;   in Loop: Header=BB325_956 Depth=2
	v_xor_b32_e32 v21, 0x7f, v11
	v_lshrrev_b32_sdwa v21, s41, v21 dst_sel:DWORD dst_unused:UNUSED_PAD src0_sel:DWORD src1_sel:BYTE_0
	v_and_b32_e32 v21, s62, v21
	v_lshl_or_b32 v21, v21, 4, v63
	ds_add_u32 v21, v89
	s_or_b32 exec_lo, exec_lo, s17
	s_mov_b32 s17, exec_lo
	v_cmpx_gt_u32_e64 s16, v55
	s_cbranch_execz .LBB325_989
.LBB325_1005:                           ;   in Loop: Header=BB325_956 Depth=2
	v_xor_b32_e32 v21, 0x7f, v10
	v_lshrrev_b32_sdwa v21, s41, v21 dst_sel:DWORD dst_unused:UNUSED_PAD src0_sel:DWORD src1_sel:BYTE_0
	v_and_b32_e32 v21, s62, v21
	v_lshl_or_b32 v21, v21, 4, v63
	ds_add_u32 v21, v89
	s_or_b32 exec_lo, exec_lo, s17
	s_mov_b32 s17, exec_lo
	v_cmpx_gt_u32_e64 s16, v56
	s_cbranch_execz .LBB325_990
.LBB325_1006:                           ;   in Loop: Header=BB325_956 Depth=2
	v_xor_b32_e32 v21, 0x7f, v9
	v_lshrrev_b32_sdwa v21, s41, v21 dst_sel:DWORD dst_unused:UNUSED_PAD src0_sel:DWORD src1_sel:BYTE_0
	v_and_b32_e32 v21, s62, v21
	v_lshl_or_b32 v21, v21, 4, v63
	ds_add_u32 v21, v89
	s_or_b32 exec_lo, exec_lo, s17
	s_mov_b32 s17, exec_lo
	v_cmpx_gt_u32_e64 s16, v57
	s_cbranch_execz .LBB325_991
.LBB325_1007:                           ;   in Loop: Header=BB325_956 Depth=2
	v_xor_b32_e32 v21, 0x7f, v8
	v_lshrrev_b32_sdwa v21, s41, v21 dst_sel:DWORD dst_unused:UNUSED_PAD src0_sel:DWORD src1_sel:BYTE_0
	v_and_b32_e32 v21, s62, v21
	v_lshl_or_b32 v21, v21, 4, v63
	ds_add_u32 v21, v89
	s_or_b32 exec_lo, exec_lo, s17
	s_mov_b32 s17, exec_lo
	v_cmpx_gt_u32_e64 s16, v58
	s_cbranch_execz .LBB325_992
.LBB325_1008:                           ;   in Loop: Header=BB325_956 Depth=2
	v_xor_b32_e32 v21, 0x7f, v7
	v_lshrrev_b32_sdwa v21, s41, v21 dst_sel:DWORD dst_unused:UNUSED_PAD src0_sel:DWORD src1_sel:BYTE_0
	v_and_b32_e32 v21, s62, v21
	v_lshl_or_b32 v21, v21, 4, v63
	ds_add_u32 v21, v89
	s_or_b32 exec_lo, exec_lo, s17
	s_mov_b32 s17, exec_lo
	v_cmpx_gt_u32_e64 s16, v59
	s_cbranch_execz .LBB325_993
.LBB325_1009:                           ;   in Loop: Header=BB325_956 Depth=2
	v_xor_b32_e32 v21, 0x7f, v6
	v_lshrrev_b32_sdwa v21, s41, v21 dst_sel:DWORD dst_unused:UNUSED_PAD src0_sel:DWORD src1_sel:BYTE_0
	v_and_b32_e32 v21, s62, v21
	v_lshl_or_b32 v21, v21, 4, v63
	ds_add_u32 v21, v89
	s_or_b32 exec_lo, exec_lo, s17
	s_mov_b32 s17, exec_lo
	v_cmpx_gt_u32_e64 s16, v60
	s_cbranch_execz .LBB325_994
.LBB325_1010:                           ;   in Loop: Header=BB325_956 Depth=2
	v_xor_b32_e32 v21, 0x7f, v5
	v_lshrrev_b32_sdwa v21, s41, v21 dst_sel:DWORD dst_unused:UNUSED_PAD src0_sel:DWORD src1_sel:BYTE_0
	v_and_b32_e32 v21, s62, v21
	v_lshl_or_b32 v21, v21, 4, v63
	ds_add_u32 v21, v89
	s_or_b32 exec_lo, exec_lo, s17
	v_cmp_gt_u32_e32 vcc_lo, s16, v61
	s_and_saveexec_b32 s16, vcc_lo
	s_cbranch_execz .LBB325_955
.LBB325_1011:                           ;   in Loop: Header=BB325_956 Depth=2
	v_xor_b32_e32 v21, 0x7f, v3
	v_lshrrev_b32_sdwa v21, s41, v21 dst_sel:DWORD dst_unused:UNUSED_PAD src0_sel:DWORD src1_sel:BYTE_0
	v_and_b32_e32 v21, s62, v21
	v_lshl_or_b32 v21, v21, 4, v63
	ds_add_u32 v21, v89
	s_branch .LBB325_955
.LBB325_1012:                           ;   in Loop: Header=BB325_956 Depth=2
	s_waitcnt vmcnt(0)
	v_add_co_u32 v21, s19, s16, v0
	v_add_co_ci_u32_e64 v22, null, s17, 0, s19
	global_load_ubyte v17, v[21:22], off
	s_or_b32 exec_lo, exec_lo, s18
	s_mov_b32 s18, exec_lo
	v_cmpx_gt_u32_e64 s5, v44
	s_cbranch_execz .LBB325_961
.LBB325_1013:                           ;   in Loop: Header=BB325_956 Depth=2
	v_add_co_u32 v20, s19, s16, v0
	s_waitcnt vmcnt(0)
	v_add_co_ci_u32_e64 v21, null, s17, 0, s19
	global_load_ubyte v20, v[20:21], off offset:256
	s_or_b32 exec_lo, exec_lo, s18
	s_mov_b32 s18, exec_lo
	v_cmpx_gt_u32_e64 s5, v47
	s_cbranch_execz .LBB325_962
.LBB325_1014:                           ;   in Loop: Header=BB325_956 Depth=2
	s_waitcnt vmcnt(0)
	v_add_co_u32 v21, s19, s16, v0
	v_add_co_ci_u32_e64 v22, null, s17, 0, s19
	global_load_ubyte v19, v[21:22], off offset:512
	s_or_b32 exec_lo, exec_lo, s18
	s_mov_b32 s18, exec_lo
	v_cmpx_gt_u32_e64 s5, v48
	s_cbranch_execz .LBB325_963
.LBB325_1015:                           ;   in Loop: Header=BB325_956 Depth=2
	s_waitcnt vmcnt(0)
	v_add_co_u32 v21, s19, s16, v0
	v_add_co_ci_u32_e64 v22, null, s17, 0, s19
	global_load_ubyte v18, v[21:22], off offset:768
	s_or_b32 exec_lo, exec_lo, s18
	s_mov_b32 s18, exec_lo
	v_cmpx_gt_u32_e64 s5, v49
	s_cbranch_execz .LBB325_964
.LBB325_1016:                           ;   in Loop: Header=BB325_956 Depth=2
	s_waitcnt vmcnt(0)
	v_add_co_u32 v21, s19, s16, v0
	v_add_co_ci_u32_e64 v22, null, s17, 0, s19
	global_load_ubyte v16, v[21:22], off offset:1024
	s_or_b32 exec_lo, exec_lo, s18
	s_mov_b32 s18, exec_lo
	v_cmpx_gt_u32_e64 s5, v50
	s_cbranch_execz .LBB325_965
.LBB325_1017:                           ;   in Loop: Header=BB325_956 Depth=2
	s_waitcnt vmcnt(0)
	v_add_co_u32 v21, s19, s16, v0
	v_add_co_ci_u32_e64 v22, null, s17, 0, s19
	global_load_ubyte v15, v[21:22], off offset:1280
	s_or_b32 exec_lo, exec_lo, s18
	s_mov_b32 s18, exec_lo
	v_cmpx_gt_u32_e64 s5, v51
	s_cbranch_execz .LBB325_966
.LBB325_1018:                           ;   in Loop: Header=BB325_956 Depth=2
	s_waitcnt vmcnt(0)
	v_add_co_u32 v21, s19, s16, v0
	v_add_co_ci_u32_e64 v22, null, s17, 0, s19
	global_load_ubyte v14, v[21:22], off offset:1536
	s_or_b32 exec_lo, exec_lo, s18
	s_mov_b32 s18, exec_lo
	v_cmpx_gt_u32_e64 s5, v52
	s_cbranch_execz .LBB325_967
.LBB325_1019:                           ;   in Loop: Header=BB325_956 Depth=2
	s_waitcnt vmcnt(0)
	v_add_co_u32 v21, s19, s16, v0
	v_add_co_ci_u32_e64 v22, null, s17, 0, s19
	global_load_ubyte v13, v[21:22], off offset:1792
	s_or_b32 exec_lo, exec_lo, s18
	s_mov_b32 s18, exec_lo
	v_cmpx_gt_u32_e64 s5, v53
	s_cbranch_execz .LBB325_968
.LBB325_1020:                           ;   in Loop: Header=BB325_956 Depth=2
	s_waitcnt vmcnt(0)
	v_add_co_u32 v21, s19, s16, v53
	v_add_co_ci_u32_e64 v22, null, s17, 0, s19
	global_load_ubyte v12, v[21:22], off
	s_or_b32 exec_lo, exec_lo, s18
	s_mov_b32 s18, exec_lo
	v_cmpx_gt_u32_e64 s5, v54
	s_cbranch_execz .LBB325_969
.LBB325_1021:                           ;   in Loop: Header=BB325_956 Depth=2
	s_waitcnt vmcnt(0)
	v_add_co_u32 v21, s19, s16, v54
	v_add_co_ci_u32_e64 v22, null, s17, 0, s19
	global_load_ubyte v11, v[21:22], off
	s_or_b32 exec_lo, exec_lo, s18
	s_mov_b32 s18, exec_lo
	v_cmpx_gt_u32_e64 s5, v55
	s_cbranch_execz .LBB325_970
.LBB325_1022:                           ;   in Loop: Header=BB325_956 Depth=2
	s_waitcnt vmcnt(0)
	v_add_co_u32 v21, s19, s16, v55
	v_add_co_ci_u32_e64 v22, null, s17, 0, s19
	global_load_ubyte v10, v[21:22], off
	s_or_b32 exec_lo, exec_lo, s18
	s_mov_b32 s18, exec_lo
	v_cmpx_gt_u32_e64 s5, v56
	s_cbranch_execz .LBB325_971
.LBB325_1023:                           ;   in Loop: Header=BB325_956 Depth=2
	s_waitcnt vmcnt(0)
	v_add_co_u32 v21, s19, s16, v56
	v_add_co_ci_u32_e64 v22, null, s17, 0, s19
	global_load_ubyte v9, v[21:22], off
	s_or_b32 exec_lo, exec_lo, s18
	s_mov_b32 s18, exec_lo
	v_cmpx_gt_u32_e64 s5, v57
	s_cbranch_execz .LBB325_972
.LBB325_1024:                           ;   in Loop: Header=BB325_956 Depth=2
	s_waitcnt vmcnt(0)
	v_add_co_u32 v21, s19, s16, v57
	v_add_co_ci_u32_e64 v22, null, s17, 0, s19
	global_load_ubyte v8, v[21:22], off
	s_or_b32 exec_lo, exec_lo, s18
	s_mov_b32 s18, exec_lo
	v_cmpx_gt_u32_e64 s5, v58
	s_cbranch_execz .LBB325_973
.LBB325_1025:                           ;   in Loop: Header=BB325_956 Depth=2
	s_waitcnt vmcnt(0)
	v_add_co_u32 v21, s19, s16, v58
	v_add_co_ci_u32_e64 v22, null, s17, 0, s19
	global_load_ubyte v7, v[21:22], off
	s_or_b32 exec_lo, exec_lo, s18
	s_mov_b32 s18, exec_lo
	v_cmpx_gt_u32_e64 s5, v59
	s_cbranch_execz .LBB325_974
.LBB325_1026:                           ;   in Loop: Header=BB325_956 Depth=2
	s_waitcnt vmcnt(0)
	v_add_co_u32 v21, s19, s16, v59
	v_add_co_ci_u32_e64 v22, null, s17, 0, s19
	global_load_ubyte v6, v[21:22], off
	s_or_b32 exec_lo, exec_lo, s18
	s_mov_b32 s18, exec_lo
	v_cmpx_gt_u32_e64 s5, v60
	s_cbranch_execz .LBB325_975
.LBB325_1027:                           ;   in Loop: Header=BB325_956 Depth=2
	s_waitcnt vmcnt(0)
	v_add_co_u32 v21, s19, s16, v60
	v_add_co_ci_u32_e64 v22, null, s17, 0, s19
	global_load_ubyte v5, v[21:22], off
	s_or_b32 exec_lo, exec_lo, s18
	s_mov_b32 s18, exec_lo
	v_cmpx_gt_u32_e64 s5, v61
	s_cbranch_execnz .LBB325_976
	s_branch .LBB325_977
.LBB325_1028:                           ;   in Loop: Header=BB325_20 Depth=1
	v_mov_b32_e32 v3, 0
	s_waitcnt lgkmcnt(0)
	s_barrier
	buffer_gl0_inv
	s_and_saveexec_b32 s5, s8
	s_cbranch_execz .LBB325_1030
; %bb.1029:                             ;   in Loop: Header=BB325_20 Depth=1
	ds_read2_b64 v[5:8], v64 offset1:1
	s_waitcnt lgkmcnt(0)
	v_add_nc_u32_e32 v3, v6, v5
	v_add3_u32 v3, v3, v7, v8
.LBB325_1030:                           ;   in Loop: Header=BB325_20 Depth=1
	s_or_b32 exec_lo, exec_lo, s5
	v_and_b32_e32 v5, 15, v86
	v_mov_b32_dpp v6, v3 row_shr:1 row_mask:0xf bank_mask:0xf
	v_and_b32_e32 v7, 16, v86
	v_cmp_eq_u32_e64 s5, 0, v5
	v_cmp_lt_u32_e64 s15, 1, v5
	v_cmp_lt_u32_e64 s16, 3, v5
	;; [unrolled: 1-line block ×3, first 2 shown]
	v_cmp_eq_u32_e64 s18, 0, v7
	v_cndmask_b32_e64 v6, v6, 0, s5
	v_add_nc_u32_e32 v3, v6, v3
	v_mov_b32_dpp v6, v3 row_shr:2 row_mask:0xf bank_mask:0xf
	v_cndmask_b32_e64 v6, 0, v6, s15
	v_add_nc_u32_e32 v3, v3, v6
	v_mov_b32_dpp v6, v3 row_shr:4 row_mask:0xf bank_mask:0xf
	;; [unrolled: 3-line block ×3, first 2 shown]
	v_cndmask_b32_e64 v5, 0, v6, s17
	v_bfe_i32 v6, v86, 4, 1
	v_add_nc_u32_e32 v3, v3, v5
	ds_swizzle_b32 v5, v3 offset:swizzle(BROADCAST,32,15)
	s_waitcnt lgkmcnt(0)
	v_and_b32_e32 v5, v6, v5
	v_add_nc_u32_e32 v3, v3, v5
	s_and_saveexec_b32 s19, s9
; %bb.1031:                             ;   in Loop: Header=BB325_20 Depth=1
	ds_write_b32 v65, v3
; %bb.1032:                             ;   in Loop: Header=BB325_20 Depth=1
	s_or_b32 exec_lo, exec_lo, s19
	s_waitcnt lgkmcnt(0)
	s_barrier
	buffer_gl0_inv
	s_and_saveexec_b32 s19, s10
	s_cbranch_execz .LBB325_1034
; %bb.1033:                             ;   in Loop: Header=BB325_20 Depth=1
	ds_read_b32 v5, v66
	v_and_b32_e32 v6, 3, v86
	v_cmp_ne_u32_e32 vcc_lo, 0, v6
	s_waitcnt lgkmcnt(0)
	v_mov_b32_dpp v7, v5 row_shr:1 row_mask:0xf bank_mask:0xf
	v_cndmask_b32_e32 v7, 0, v7, vcc_lo
	v_cmp_lt_u32_e32 vcc_lo, 1, v6
	v_add_nc_u32_e32 v5, v7, v5
	v_mov_b32_dpp v7, v5 row_shr:2 row_mask:0xf bank_mask:0xf
	v_cndmask_b32_e32 v6, 0, v7, vcc_lo
	v_add_nc_u32_e32 v5, v5, v6
	ds_write_b32 v66, v5
.LBB325_1034:                           ;   in Loop: Header=BB325_20 Depth=1
	s_or_b32 exec_lo, exec_lo, s19
	v_mov_b32_e32 v5, 0
	s_waitcnt lgkmcnt(0)
	s_barrier
	buffer_gl0_inv
	s_and_saveexec_b32 s19, s11
; %bb.1035:                             ;   in Loop: Header=BB325_20 Depth=1
	ds_read_b32 v5, v67
; %bb.1036:                             ;   in Loop: Header=BB325_20 Depth=1
	s_or_b32 exec_lo, exec_lo, s19
	v_sub_co_u32 v6, s19, v86, 1
	s_waitcnt lgkmcnt(0)
	v_add_nc_u32_e32 v3, v5, v3
	s_barrier
	v_cmp_gt_i32_e32 vcc_lo, 0, v6
	buffer_gl0_inv
	v_cndmask_b32_e32 v6, v6, v86, vcc_lo
	v_lshlrev_b32_e32 v94, 2, v6
	ds_bpermute_b32 v3, v94, v3
	s_and_saveexec_b32 s20, s8
	s_cbranch_execz .LBB325_1038
; %bb.1037:                             ;   in Loop: Header=BB325_20 Depth=1
	s_waitcnt lgkmcnt(0)
	v_cndmask_b32_e64 v3, v3, v5, s19
	v_add_nc_u32_e32 v3, s58, v3
	ds_write_b32 v43, v3
.LBB325_1038:                           ;   in Loop: Header=BB325_20 Depth=1
	s_or_b32 exec_lo, exec_lo, s20
	s_load_dwordx2 s[20:21], s[56:57], 0x0
	v_and_b32_e32 v6, 7, v86
	v_lshlrev_b32_e32 v7, 3, v86
	v_or_b32_e32 v95, v86, v68
	v_add_co_u32 v96, vcc_lo, v87, v86
	v_add_co_ci_u32_e64 v97, null, 0, v88, vcc_lo
	v_add_co_u32 v98, vcc_lo, v84, v7
	v_add_co_ci_u32_e64 v99, null, 0, v85, vcc_lo
	v_add_nc_u32_e32 v100, 32, v95
	v_add_nc_u32_e32 v101, 64, v95
	;; [unrolled: 1-line block ×8, first 2 shown]
	s_waitcnt lgkmcnt(0)
	s_cmp_lt_u32 s7, s21
	v_add_nc_u32_e32 v108, 0x120, v95
	s_cselect_b32 s21, 14, 20
	v_add_nc_u32_e32 v109, 0x140, v95
	s_add_u32 s22, s56, s21
	s_addc_u32 s23, s57, 0
	s_cmp_lt_u32 s6, s20
	global_load_ushort v3, v4, s[22:23]
	s_cselect_b32 s20, 12, 18
	v_add_nc_u32_e32 v110, 0x160, v95
	s_add_u32 s20, s56, s20
	s_addc_u32 s21, s57, 0
	v_add_nc_u32_e32 v111, 0x180, v95
	global_load_ushort v5, v4, s[20:21]
	v_cmp_eq_u32_e64 s20, 0, v6
	v_cmp_lt_u32_e64 s21, 1, v6
	v_cmp_lt_u32_e64 s22, 3, v6
	v_add_nc_u32_e32 v112, 0x1a0, v95
	v_add_nc_u32_e32 v113, 0x1c0, v95
	;; [unrolled: 1-line block ×4, first 2 shown]
	v_mov_b32_e32 v117, 0
	s_mov_b32 s63, s60
	s_mov_b32 s50, s58
                                        ; implicit-def: $vgpr7_vgpr8
                                        ; implicit-def: $vgpr9_vgpr10
                                        ; implicit-def: $vgpr11_vgpr12
                                        ; implicit-def: $vgpr13_vgpr14
                                        ; implicit-def: $vgpr15_vgpr16
                                        ; implicit-def: $vgpr19_vgpr20
                                        ; implicit-def: $vgpr23_vgpr24
                                        ; implicit-def: $vgpr27_vgpr28
                                        ; implicit-def: $vgpr17_vgpr18
                                        ; implicit-def: $vgpr21_vgpr22
                                        ; implicit-def: $vgpr25_vgpr26
                                        ; implicit-def: $vgpr29_vgpr30
                                        ; implicit-def: $vgpr31_vgpr32
                                        ; implicit-def: $vgpr33_vgpr34
                                        ; implicit-def: $vgpr35_vgpr36
                                        ; implicit-def: $vgpr37_vgpr38
                                        ; implicit-def: $vgpr118
                                        ; implicit-def: $vgpr119
                                        ; implicit-def: $vgpr120
                                        ; implicit-def: $vgpr121
                                        ; implicit-def: $vgpr122
                                        ; implicit-def: $vgpr123
                                        ; implicit-def: $vgpr124
                                        ; implicit-def: $vgpr125
                                        ; implicit-def: $vgpr126
                                        ; implicit-def: $vgpr127
                                        ; implicit-def: $vgpr128
                                        ; implicit-def: $vgpr129
                                        ; implicit-def: $vgpr130
                                        ; implicit-def: $vgpr131
                                        ; implicit-def: $vgpr132
                                        ; implicit-def: $vgpr133
                                        ; implicit-def: $vgpr134
                                        ; implicit-def: $vgpr135
                                        ; implicit-def: $vgpr136
	s_waitcnt vmcnt(1)
	v_mad_u32_u24 v3, v2, v3, v1
	s_waitcnt vmcnt(0)
	v_mad_u64_u32 v[5:6], null, v3, v5, v[0:1]
	v_lshrrev_b32_e32 v3, 3, v5
                                        ; implicit-def: $vgpr5_vgpr6
	v_and_b32_e32 v116, 0x1ffffffc, v3
	s_branch .LBB325_1040
.LBB325_1039:                           ;   in Loop: Header=BB325_1040 Depth=2
	s_or_b32 exec_lo, exec_lo, s23
	s_addk_i32 s63, 0xef00
	s_cmp_lt_u32 s64, s59
	s_mov_b32 s50, s64
	s_cbranch_scc0 .LBB325_18
.LBB325_1040:                           ;   Parent Loop BB325_20 Depth=1
                                        ; =>  This Inner Loop Header: Depth=2
	s_add_i32 s64, s50, 0x1100
	s_cmp_gt_u32 s64, s59
	s_cbranch_scc1 .LBB325_1042
; %bb.1041:                             ;   in Loop: Header=BB325_1040 Depth=2
	v_add_co_u32 v39, vcc_lo, v96, s50
	v_add_co_ci_u32_e64 v40, null, 0, v97, vcc_lo
	s_mov_b32 s23, -1
	s_clause 0xf
	global_load_ubyte v42, v[39:40], off offset:480
	global_load_ubyte v41, v[39:40], off offset:448
	global_load_ubyte v3, v[39:40], off offset:416
	global_load_ubyte v137, v[39:40], off offset:384
	global_load_ubyte v141, v[39:40], off offset:352
	global_load_ubyte v140, v[39:40], off offset:320
	global_load_ubyte v139, v[39:40], off offset:288
	global_load_ubyte v142, v[39:40], off offset:256
	global_load_ubyte v145, v[39:40], off offset:224
	global_load_ubyte v144, v[39:40], off offset:192
	global_load_ubyte v143, v[39:40], off offset:160
	global_load_ubyte v150, v[39:40], off offset:128
	global_load_ubyte v151, v[39:40], off offset:96
	global_load_ubyte v148, v[39:40], off offset:64
	global_load_ubyte v147, v[39:40], off offset:32
	global_load_ubyte v146, v[39:40], off
	s_movk_i32 s24, 0x1100
	s_cbranch_execz .LBB325_1043
	s_branch .LBB325_1061
.LBB325_1042:                           ;   in Loop: Header=BB325_1040 Depth=2
	s_mov_b32 s23, 0
                                        ; implicit-def: $vgpr146
                                        ; implicit-def: $vgpr147
                                        ; implicit-def: $vgpr148
                                        ; implicit-def: $vgpr151
                                        ; implicit-def: $vgpr150
                                        ; implicit-def: $vgpr143
                                        ; implicit-def: $vgpr144
                                        ; implicit-def: $vgpr145
                                        ; implicit-def: $vgpr142
                                        ; implicit-def: $vgpr139
                                        ; implicit-def: $vgpr140
                                        ; implicit-def: $vgpr141
                                        ; implicit-def: $vgpr137
                                        ; implicit-def: $vgpr3
                                        ; implicit-def: $vgpr41
                                        ; implicit-def: $vgpr42
                                        ; implicit-def: $vgpr117
	s_movk_i32 s24, 0x1100
.LBB325_1043:                           ;   in Loop: Header=BB325_1040 Depth=2
	v_add_co_u32 v39, vcc_lo, v96, s50
	v_add_co_ci_u32_e64 v40, null, 0, v97, vcc_lo
	v_mov_b32_e32 v117, 0x80
	s_waitcnt vmcnt(0)
	v_mov_b32_e32 v146, 0x80
	v_mov_b32_e32 v147, 0x80
	;; [unrolled: 1-line block ×16, first 2 shown]
	s_mov_b32 s23, exec_lo
	v_cmpx_gt_u32_e64 s63, v95
	s_cbranch_execnz .LBB325_1247
; %bb.1044:                             ;   in Loop: Header=BB325_1040 Depth=2
	s_or_b32 exec_lo, exec_lo, s23
	s_mov_b32 s23, exec_lo
	v_cmpx_gt_u32_e64 s63, v100
	s_cbranch_execnz .LBB325_1248
.LBB325_1045:                           ;   in Loop: Header=BB325_1040 Depth=2
	s_or_b32 exec_lo, exec_lo, s23
	s_mov_b32 s23, exec_lo
	v_cmpx_gt_u32_e64 s63, v101
	s_cbranch_execnz .LBB325_1249
.LBB325_1046:                           ;   in Loop: Header=BB325_1040 Depth=2
	s_or_b32 exec_lo, exec_lo, s23
	s_mov_b32 s23, exec_lo
	v_cmpx_gt_u32_e64 s63, v102
	s_cbranch_execnz .LBB325_1250
.LBB325_1047:                           ;   in Loop: Header=BB325_1040 Depth=2
	s_or_b32 exec_lo, exec_lo, s23
	s_mov_b32 s23, exec_lo
	v_cmpx_gt_u32_e64 s63, v103
	s_cbranch_execnz .LBB325_1251
.LBB325_1048:                           ;   in Loop: Header=BB325_1040 Depth=2
	s_or_b32 exec_lo, exec_lo, s23
	s_mov_b32 s23, exec_lo
	v_cmpx_gt_u32_e64 s63, v104
	s_cbranch_execnz .LBB325_1252
.LBB325_1049:                           ;   in Loop: Header=BB325_1040 Depth=2
	s_or_b32 exec_lo, exec_lo, s23
	s_mov_b32 s23, exec_lo
	v_cmpx_gt_u32_e64 s63, v105
	s_cbranch_execnz .LBB325_1253
.LBB325_1050:                           ;   in Loop: Header=BB325_1040 Depth=2
	s_or_b32 exec_lo, exec_lo, s23
	s_mov_b32 s23, exec_lo
	v_cmpx_gt_u32_e64 s63, v106
	s_cbranch_execnz .LBB325_1254
.LBB325_1051:                           ;   in Loop: Header=BB325_1040 Depth=2
	s_or_b32 exec_lo, exec_lo, s23
	s_mov_b32 s23, exec_lo
	v_cmpx_gt_u32_e64 s63, v107
	s_cbranch_execnz .LBB325_1255
.LBB325_1052:                           ;   in Loop: Header=BB325_1040 Depth=2
	s_or_b32 exec_lo, exec_lo, s23
	s_mov_b32 s23, exec_lo
	v_cmpx_gt_u32_e64 s63, v108
	s_cbranch_execnz .LBB325_1256
.LBB325_1053:                           ;   in Loop: Header=BB325_1040 Depth=2
	s_or_b32 exec_lo, exec_lo, s23
	s_mov_b32 s23, exec_lo
	v_cmpx_gt_u32_e64 s63, v109
	s_cbranch_execnz .LBB325_1257
.LBB325_1054:                           ;   in Loop: Header=BB325_1040 Depth=2
	s_or_b32 exec_lo, exec_lo, s23
	s_mov_b32 s23, exec_lo
	v_cmpx_gt_u32_e64 s63, v110
	s_cbranch_execnz .LBB325_1258
.LBB325_1055:                           ;   in Loop: Header=BB325_1040 Depth=2
	s_or_b32 exec_lo, exec_lo, s23
	s_mov_b32 s23, exec_lo
	v_cmpx_gt_u32_e64 s63, v111
	s_cbranch_execnz .LBB325_1259
.LBB325_1056:                           ;   in Loop: Header=BB325_1040 Depth=2
	s_or_b32 exec_lo, exec_lo, s23
	s_mov_b32 s23, exec_lo
	v_cmpx_gt_u32_e64 s63, v112
	s_cbranch_execnz .LBB325_1260
.LBB325_1057:                           ;   in Loop: Header=BB325_1040 Depth=2
	s_or_b32 exec_lo, exec_lo, s23
	s_mov_b32 s23, exec_lo
	v_cmpx_gt_u32_e64 s63, v113
	s_cbranch_execnz .LBB325_1261
.LBB325_1058:                           ;   in Loop: Header=BB325_1040 Depth=2
	s_or_b32 exec_lo, exec_lo, s23
	s_mov_b32 s23, exec_lo
	v_cmpx_gt_u32_e64 s63, v114
	s_cbranch_execz .LBB325_1060
.LBB325_1059:                           ;   in Loop: Header=BB325_1040 Depth=2
	global_load_ubyte v42, v[39:40], off offset:480
.LBB325_1060:                           ;   in Loop: Header=BB325_1040 Depth=2
	s_or_b32 exec_lo, exec_lo, s23
	v_cmp_gt_u32_e64 s23, s63, v115
	s_sub_i32 s24, s59, s50
.LBB325_1061:                           ;   in Loop: Header=BB325_1040 Depth=2
	v_mov_b32_e32 v138, s63
	s_and_saveexec_b32 s25, s23
	s_cbranch_execz .LBB325_1063
; %bb.1062:                             ;   in Loop: Header=BB325_1040 Depth=2
	v_add_co_u32 v39, vcc_lo, v96, s50
	v_add_co_ci_u32_e64 v40, null, s51, v97, vcc_lo
	v_mov_b32_e32 v138, s24
	global_load_ubyte v117, v[39:40], off offset:512
.LBB325_1063:                           ;   in Loop: Header=BB325_1040 Depth=2
	s_or_b32 exec_lo, exec_lo, s25
	s_waitcnt vmcnt(0)
	v_xor_b32_e32 v39, 0x7f, v146
	ds_write2_b32 v69, v4, v4 offset0:136 offset1:137
	ds_write2_b32 v69, v4, v4 offset0:138 offset1:139
	ds_write_b32 v69, v4 offset:560
	s_waitcnt lgkmcnt(0)
	s_barrier
	v_and_b32_sdwa v40, v92, v39 dst_sel:DWORD dst_unused:UNUSED_PAD src0_sel:DWORD src1_sel:BYTE_0
	buffer_gl0_inv
	; wave barrier
	v_lshrrev_b32_e32 v40, s41, v40
	v_and_b32_e32 v149, s62, v40
	v_and_b32_e32 v40, 1, v149
	v_lshlrev_b32_e32 v146, 30, v149
	v_lshlrev_b32_e32 v152, 29, v149
	;; [unrolled: 1-line block ×4, first 2 shown]
	v_add_co_u32 v40, s23, v40, -1
	v_cndmask_b32_e64 v153, 0, 1, s23
	v_not_b32_e32 v157, v146
	v_cmp_gt_i32_e64 s23, 0, v146
	v_not_b32_e32 v146, v152
	v_lshlrev_b32_e32 v156, 26, v149
	v_cmp_ne_u32_e32 vcc_lo, 0, v153
	v_ashrrev_i32_e32 v157, 31, v157
	v_lshlrev_b32_e32 v153, 25, v149
	v_ashrrev_i32_e32 v146, 31, v146
	v_mul_u32_u24_e32 v149, 36, v149
	v_xor_b32_e32 v40, vcc_lo, v40
	v_cmp_gt_i32_e32 vcc_lo, 0, v152
	v_not_b32_e32 v152, v154
	v_xor_b32_e32 v157, s23, v157
	v_cmp_gt_i32_e64 s23, 0, v154
	v_and_b32_e32 v40, exec_lo, v40
	v_not_b32_e32 v154, v155
	v_ashrrev_i32_e32 v152, 31, v152
	v_xor_b32_e32 v146, vcc_lo, v146
	v_cmp_gt_i32_e32 vcc_lo, 0, v155
	v_and_b32_e32 v40, v40, v157
	v_not_b32_e32 v155, v156
	v_ashrrev_i32_e32 v154, 31, v154
	v_xor_b32_e32 v152, s23, v152
	v_cmp_gt_i32_e64 s23, 0, v156
	v_and_b32_e32 v40, v40, v146
	v_not_b32_e32 v146, v153
	v_ashrrev_i32_e32 v155, 31, v155
	v_xor_b32_e32 v154, vcc_lo, v154
	v_cmp_gt_i32_e32 vcc_lo, 0, v153
	v_and_b32_e32 v40, v40, v152
	v_ashrrev_i32_e32 v146, 31, v146
	v_xor_b32_e32 v152, s23, v155
	v_add_nc_u32_e32 v149, v116, v149
	v_and_b32_e32 v40, v40, v154
	v_xor_b32_e32 v146, vcc_lo, v146
	v_and_b32_e32 v40, v40, v152
	v_and_b32_e32 v40, v40, v146
	v_mbcnt_lo_u32_b32 v146, v40, 0
	v_cmp_ne_u32_e64 s23, 0, v40
	v_cmp_eq_u32_e32 vcc_lo, 0, v146
	s_and_b32 s24, s23, vcc_lo
	s_and_saveexec_b32 s23, s24
; %bb.1064:                             ;   in Loop: Header=BB325_1040 Depth=2
	v_bcnt_u32_b32 v40, v40, 0
	ds_write_b32 v149, v40 offset:544
; %bb.1065:                             ;   in Loop: Header=BB325_1040 Depth=2
	s_or_b32 exec_lo, exec_lo, s23
	v_xor_b32_sdwa v40, v147, v93 dst_sel:BYTE_1 dst_unused:UNUSED_PAD src0_sel:DWORD src1_sel:DWORD
	v_xor_b32_e32 v148, 0x7f, v148
	v_xor_b32_sdwa v151, v151, v93 dst_sel:BYTE_1 dst_unused:UNUSED_PAD src0_sel:DWORD src1_sel:DWORD
	; wave barrier
	v_or_b32_sdwa v147, v39, v40 dst_sel:DWORD dst_unused:UNUSED_PAD src0_sel:BYTE_0 src1_sel:DWORD
	v_or_b32_sdwa v39, v148, v151 dst_sel:WORD_1 dst_unused:UNUSED_PAD src0_sel:BYTE_0 src1_sel:DWORD
	v_or_b32_sdwa v148, v147, v39 dst_sel:DWORD dst_unused:UNUSED_PAD src0_sel:WORD_0 src1_sel:DWORD
	v_lshrrev_b32_sdwa v39, s41, v148 dst_sel:DWORD dst_unused:UNUSED_PAD src0_sel:DWORD src1_sel:BYTE_1
	v_and_b32_e32 v40, s62, v39
	v_and_b32_e32 v39, 1, v40
	v_lshlrev_b32_e32 v151, 30, v40
	v_lshlrev_b32_e32 v152, 29, v40
	;; [unrolled: 1-line block ×4, first 2 shown]
	v_add_co_u32 v39, s23, v39, -1
	v_cndmask_b32_e64 v153, 0, 1, s23
	v_not_b32_e32 v157, v151
	v_cmp_gt_i32_e64 s23, 0, v151
	v_not_b32_e32 v151, v152
	v_lshlrev_b32_e32 v156, 26, v40
	v_cmp_ne_u32_e32 vcc_lo, 0, v153
	v_ashrrev_i32_e32 v157, 31, v157
	v_lshlrev_b32_e32 v153, 25, v40
	v_ashrrev_i32_e32 v151, 31, v151
	v_xor_b32_e32 v39, vcc_lo, v39
	v_cmp_gt_i32_e32 vcc_lo, 0, v152
	v_not_b32_e32 v152, v154
	v_xor_b32_e32 v157, s23, v157
	v_cmp_gt_i32_e64 s23, 0, v154
	v_and_b32_e32 v39, exec_lo, v39
	v_not_b32_e32 v154, v155
	v_ashrrev_i32_e32 v152, 31, v152
	v_xor_b32_e32 v151, vcc_lo, v151
	v_cmp_gt_i32_e32 vcc_lo, 0, v155
	v_and_b32_e32 v39, v39, v157
	v_not_b32_e32 v155, v156
	v_ashrrev_i32_e32 v154, 31, v154
	v_xor_b32_e32 v152, s23, v152
	v_cmp_gt_i32_e64 s23, 0, v156
	v_and_b32_e32 v39, v39, v151
	v_not_b32_e32 v151, v153
	v_ashrrev_i32_e32 v155, 31, v155
	v_xor_b32_e32 v154, vcc_lo, v154
	v_cmp_gt_i32_e32 vcc_lo, 0, v153
	v_and_b32_e32 v39, v39, v152
	v_ashrrev_i32_e32 v151, 31, v151
	v_xor_b32_e32 v152, s23, v155
	v_mad_u32_u24 v153, v40, 36, v116
	v_mul_u32_u24_e32 v40, 36, v40
	v_and_b32_e32 v39, v39, v154
	v_xor_b32_e32 v154, vcc_lo, v151
	ds_read_b32 v151, v153 offset:544
	v_add_nc_u32_e32 v153, v116, v40
	v_and_b32_e32 v39, v39, v152
	; wave barrier
	v_and_b32_e32 v39, v39, v154
	v_mbcnt_lo_u32_b32 v152, v39, 0
	v_cmp_ne_u32_e64 s23, 0, v39
	v_cmp_eq_u32_e32 vcc_lo, 0, v152
	s_and_b32 s24, s23, vcc_lo
	s_and_saveexec_b32 s23, s24
	s_cbranch_execz .LBB325_1067
; %bb.1066:                             ;   in Loop: Header=BB325_1040 Depth=2
	s_waitcnt lgkmcnt(0)
	v_bcnt_u32_b32 v39, v39, v151
	ds_write_b32 v153, v39 offset:544
.LBB325_1067:                           ;   in Loop: Header=BB325_1040 Depth=2
	s_or_b32 exec_lo, exec_lo, s23
	v_lshrrev_b32_sdwa v39, s41, v148 dst_sel:DWORD dst_unused:UNUSED_PAD src0_sel:DWORD src1_sel:BYTE_2
	; wave barrier
	v_and_b32_e32 v40, s62, v39
	v_and_b32_e32 v39, 1, v40
	v_lshlrev_b32_e32 v154, 30, v40
	v_lshlrev_b32_e32 v155, 29, v40
	;; [unrolled: 1-line block ×4, first 2 shown]
	v_add_co_u32 v39, s23, v39, -1
	v_cndmask_b32_e64 v156, 0, 1, s23
	v_not_b32_e32 v160, v154
	v_cmp_gt_i32_e64 s23, 0, v154
	v_not_b32_e32 v154, v155
	v_lshlrev_b32_e32 v159, 26, v40
	v_cmp_ne_u32_e32 vcc_lo, 0, v156
	v_ashrrev_i32_e32 v160, 31, v160
	v_lshlrev_b32_e32 v156, 25, v40
	v_ashrrev_i32_e32 v154, 31, v154
	v_xor_b32_e32 v39, vcc_lo, v39
	v_cmp_gt_i32_e32 vcc_lo, 0, v155
	v_not_b32_e32 v155, v157
	v_xor_b32_e32 v160, s23, v160
	v_cmp_gt_i32_e64 s23, 0, v157
	v_and_b32_e32 v39, exec_lo, v39
	v_not_b32_e32 v157, v158
	v_ashrrev_i32_e32 v155, 31, v155
	v_xor_b32_e32 v154, vcc_lo, v154
	v_cmp_gt_i32_e32 vcc_lo, 0, v158
	v_and_b32_e32 v39, v39, v160
	v_not_b32_e32 v158, v159
	v_ashrrev_i32_e32 v157, 31, v157
	v_xor_b32_e32 v155, s23, v155
	v_cmp_gt_i32_e64 s23, 0, v159
	v_and_b32_e32 v39, v39, v154
	v_not_b32_e32 v154, v156
	v_ashrrev_i32_e32 v158, 31, v158
	v_xor_b32_e32 v157, vcc_lo, v157
	v_cmp_gt_i32_e32 vcc_lo, 0, v156
	v_and_b32_e32 v39, v39, v155
	v_ashrrev_i32_e32 v154, 31, v154
	v_xor_b32_e32 v155, s23, v158
	v_mad_u32_u24 v156, v40, 36, v116
	v_mul_u32_u24_e32 v40, 36, v40
	v_and_b32_e32 v39, v39, v157
	v_xor_b32_e32 v157, vcc_lo, v154
	ds_read_b32 v154, v156 offset:544
	v_and_b32_e32 v39, v39, v155
	; wave barrier
	v_and_b32_e32 v39, v39, v157
	v_add_nc_u32_e32 v157, v116, v40
	v_mbcnt_lo_u32_b32 v155, v39, 0
	v_cmp_ne_u32_e64 s23, 0, v39
	v_cmp_eq_u32_e32 vcc_lo, 0, v155
	s_and_b32 s24, s23, vcc_lo
	s_and_saveexec_b32 s23, s24
	s_cbranch_execz .LBB325_1069
; %bb.1068:                             ;   in Loop: Header=BB325_1040 Depth=2
	s_waitcnt lgkmcnt(0)
	v_bcnt_u32_b32 v39, v39, v154
	ds_write_b32 v157, v39 offset:544
.LBB325_1069:                           ;   in Loop: Header=BB325_1040 Depth=2
	s_or_b32 exec_lo, exec_lo, s23
	v_lshrrev_b32_e32 v156, 24, v148
	; wave barrier
	v_lshrrev_b32_e32 v39, s41, v156
	v_and_b32_e32 v40, s62, v39
	v_and_b32_e32 v39, 1, v40
	v_lshlrev_b32_e32 v158, 30, v40
	v_lshlrev_b32_e32 v159, 29, v40
	;; [unrolled: 1-line block ×4, first 2 shown]
	v_add_co_u32 v39, s23, v39, -1
	v_cndmask_b32_e64 v160, 0, 1, s23
	v_not_b32_e32 v164, v158
	v_cmp_gt_i32_e64 s23, 0, v158
	v_not_b32_e32 v158, v159
	v_lshlrev_b32_e32 v163, 26, v40
	v_cmp_ne_u32_e32 vcc_lo, 0, v160
	v_ashrrev_i32_e32 v164, 31, v164
	v_lshlrev_b32_e32 v160, 25, v40
	v_ashrrev_i32_e32 v158, 31, v158
	v_xor_b32_e32 v39, vcc_lo, v39
	v_cmp_gt_i32_e32 vcc_lo, 0, v159
	v_not_b32_e32 v159, v161
	v_xor_b32_e32 v164, s23, v164
	v_cmp_gt_i32_e64 s23, 0, v161
	v_and_b32_e32 v39, exec_lo, v39
	v_not_b32_e32 v161, v162
	v_ashrrev_i32_e32 v159, 31, v159
	v_xor_b32_e32 v158, vcc_lo, v158
	v_cmp_gt_i32_e32 vcc_lo, 0, v162
	v_and_b32_e32 v39, v39, v164
	v_not_b32_e32 v162, v163
	v_ashrrev_i32_e32 v161, 31, v161
	v_xor_b32_e32 v159, s23, v159
	v_cmp_gt_i32_e64 s23, 0, v163
	v_and_b32_e32 v39, v39, v158
	v_not_b32_e32 v158, v160
	v_ashrrev_i32_e32 v162, 31, v162
	v_xor_b32_e32 v161, vcc_lo, v161
	v_cmp_gt_i32_e32 vcc_lo, 0, v160
	v_and_b32_e32 v39, v39, v159
	v_ashrrev_i32_e32 v158, 31, v158
	v_xor_b32_e32 v159, s23, v162
	v_mad_u32_u24 v160, v40, 36, v116
	v_mul_u32_u24_e32 v40, 36, v40
	v_and_b32_e32 v39, v39, v161
	v_xor_b32_e32 v161, vcc_lo, v158
	ds_read_b32 v158, v160 offset:544
	v_add_nc_u32_e32 v160, v116, v40
	v_and_b32_e32 v39, v39, v159
	; wave barrier
	v_and_b32_e32 v39, v39, v161
	v_mbcnt_lo_u32_b32 v159, v39, 0
	v_cmp_ne_u32_e64 s23, 0, v39
	v_cmp_eq_u32_e32 vcc_lo, 0, v159
	s_and_b32 s24, s23, vcc_lo
	s_and_saveexec_b32 s23, s24
	s_cbranch_execz .LBB325_1071
; %bb.1070:                             ;   in Loop: Header=BB325_1040 Depth=2
	s_waitcnt lgkmcnt(0)
	v_bcnt_u32_b32 v39, v39, v158
	ds_write_b32 v160, v39 offset:544
.LBB325_1071:                           ;   in Loop: Header=BB325_1040 Depth=2
	s_or_b32 exec_lo, exec_lo, s23
	v_xor_b32_e32 v39, 0x7f, v150
	; wave barrier
	v_and_b32_sdwa v40, v92, v39 dst_sel:DWORD dst_unused:UNUSED_PAD src0_sel:DWORD src1_sel:BYTE_0
	v_lshrrev_b32_e32 v40, s41, v40
	v_and_b32_e32 v162, s62, v40
	v_and_b32_e32 v40, 1, v162
	v_lshlrev_b32_e32 v150, 30, v162
	v_lshlrev_b32_e32 v161, 29, v162
	;; [unrolled: 1-line block ×4, first 2 shown]
	v_add_co_u32 v40, s23, v40, -1
	v_cndmask_b32_e64 v163, 0, 1, s23
	v_not_b32_e32 v167, v150
	v_cmp_gt_i32_e64 s23, 0, v150
	v_not_b32_e32 v150, v161
	v_lshlrev_b32_e32 v166, 26, v162
	v_cmp_ne_u32_e32 vcc_lo, 0, v163
	v_ashrrev_i32_e32 v167, 31, v167
	v_lshlrev_b32_e32 v163, 25, v162
	v_ashrrev_i32_e32 v150, 31, v150
	v_xor_b32_e32 v40, vcc_lo, v40
	v_cmp_gt_i32_e32 vcc_lo, 0, v161
	v_not_b32_e32 v161, v164
	v_xor_b32_e32 v167, s23, v167
	v_cmp_gt_i32_e64 s23, 0, v164
	v_and_b32_e32 v40, exec_lo, v40
	v_not_b32_e32 v164, v165
	v_ashrrev_i32_e32 v161, 31, v161
	v_xor_b32_e32 v150, vcc_lo, v150
	v_cmp_gt_i32_e32 vcc_lo, 0, v165
	v_and_b32_e32 v40, v40, v167
	v_not_b32_e32 v165, v166
	v_ashrrev_i32_e32 v164, 31, v164
	v_xor_b32_e32 v161, s23, v161
	v_cmp_gt_i32_e64 s23, 0, v166
	v_and_b32_e32 v40, v40, v150
	v_not_b32_e32 v150, v163
	v_ashrrev_i32_e32 v165, 31, v165
	v_xor_b32_e32 v164, vcc_lo, v164
	v_cmp_gt_i32_e32 vcc_lo, 0, v163
	v_and_b32_e32 v40, v40, v161
	v_ashrrev_i32_e32 v150, 31, v150
	v_xor_b32_e32 v161, s23, v165
	v_mad_u32_u24 v163, v162, 36, v116
	v_mul_u32_u24_e32 v162, 36, v162
	v_and_b32_e32 v40, v40, v164
	v_xor_b32_e32 v164, vcc_lo, v150
	ds_read_b32 v150, v163 offset:544
	v_add_nc_u32_e32 v162, v116, v162
	v_and_b32_e32 v40, v40, v161
	; wave barrier
	v_and_b32_e32 v40, v40, v164
	v_mbcnt_lo_u32_b32 v161, v40, 0
	v_cmp_ne_u32_e64 s23, 0, v40
	v_cmp_eq_u32_e32 vcc_lo, 0, v161
	s_and_b32 s24, s23, vcc_lo
	s_and_saveexec_b32 s23, s24
	s_cbranch_execz .LBB325_1073
; %bb.1072:                             ;   in Loop: Header=BB325_1040 Depth=2
	s_waitcnt lgkmcnt(0)
	v_bcnt_u32_b32 v40, v40, v150
	ds_write_b32 v162, v40 offset:544
.LBB325_1073:                           ;   in Loop: Header=BB325_1040 Depth=2
	s_or_b32 exec_lo, exec_lo, s23
	v_xor_b32_sdwa v40, v143, v93 dst_sel:BYTE_1 dst_unused:UNUSED_PAD src0_sel:DWORD src1_sel:DWORD
	v_xor_b32_e32 v144, 0x7f, v144
	v_xor_b32_sdwa v145, v145, v93 dst_sel:BYTE_1 dst_unused:UNUSED_PAD src0_sel:DWORD src1_sel:DWORD
	; wave barrier
	v_or_b32_sdwa v143, v39, v40 dst_sel:DWORD dst_unused:UNUSED_PAD src0_sel:BYTE_0 src1_sel:DWORD
	v_or_b32_sdwa v39, v144, v145 dst_sel:WORD_1 dst_unused:UNUSED_PAD src0_sel:BYTE_0 src1_sel:DWORD
	v_or_b32_sdwa v144, v143, v39 dst_sel:DWORD dst_unused:UNUSED_PAD src0_sel:WORD_0 src1_sel:DWORD
	v_lshrrev_b32_sdwa v39, s41, v144 dst_sel:DWORD dst_unused:UNUSED_PAD src0_sel:DWORD src1_sel:BYTE_1
	v_and_b32_e32 v40, s62, v39
	v_and_b32_e32 v39, 1, v40
	v_lshlrev_b32_e32 v145, 30, v40
	v_lshlrev_b32_e32 v163, 29, v40
	v_lshlrev_b32_e32 v165, 28, v40
	v_lshlrev_b32_e32 v166, 27, v40
	v_add_co_u32 v39, s23, v39, -1
	v_cndmask_b32_e64 v164, 0, 1, s23
	v_not_b32_e32 v168, v145
	v_cmp_gt_i32_e64 s23, 0, v145
	v_not_b32_e32 v145, v163
	v_lshlrev_b32_e32 v167, 26, v40
	v_cmp_ne_u32_e32 vcc_lo, 0, v164
	v_ashrrev_i32_e32 v168, 31, v168
	v_lshlrev_b32_e32 v164, 25, v40
	v_ashrrev_i32_e32 v145, 31, v145
	v_xor_b32_e32 v39, vcc_lo, v39
	v_cmp_gt_i32_e32 vcc_lo, 0, v163
	v_not_b32_e32 v163, v165
	v_xor_b32_e32 v168, s23, v168
	v_cmp_gt_i32_e64 s23, 0, v165
	v_and_b32_e32 v39, exec_lo, v39
	v_not_b32_e32 v165, v166
	v_ashrrev_i32_e32 v163, 31, v163
	v_xor_b32_e32 v145, vcc_lo, v145
	v_cmp_gt_i32_e32 vcc_lo, 0, v166
	v_and_b32_e32 v39, v39, v168
	v_not_b32_e32 v166, v167
	v_ashrrev_i32_e32 v165, 31, v165
	v_xor_b32_e32 v163, s23, v163
	v_cmp_gt_i32_e64 s23, 0, v167
	v_and_b32_e32 v39, v39, v145
	v_not_b32_e32 v145, v164
	v_ashrrev_i32_e32 v166, 31, v166
	v_xor_b32_e32 v165, vcc_lo, v165
	v_cmp_gt_i32_e32 vcc_lo, 0, v164
	v_and_b32_e32 v39, v39, v163
	v_ashrrev_i32_e32 v145, 31, v145
	v_xor_b32_e32 v163, s23, v166
	v_mad_u32_u24 v164, v40, 36, v116
	v_mul_u32_u24_e32 v40, 36, v40
	v_and_b32_e32 v39, v39, v165
	v_xor_b32_e32 v165, vcc_lo, v145
	ds_read_b32 v145, v164 offset:544
	v_add_nc_u32_e32 v164, v116, v40
	v_and_b32_e32 v39, v39, v163
	; wave barrier
	v_and_b32_e32 v39, v39, v165
	v_mbcnt_lo_u32_b32 v163, v39, 0
	v_cmp_ne_u32_e64 s23, 0, v39
	v_cmp_eq_u32_e32 vcc_lo, 0, v163
	s_and_b32 s24, s23, vcc_lo
	s_and_saveexec_b32 s23, s24
	s_cbranch_execz .LBB325_1075
; %bb.1074:                             ;   in Loop: Header=BB325_1040 Depth=2
	s_waitcnt lgkmcnt(0)
	v_bcnt_u32_b32 v39, v39, v145
	ds_write_b32 v164, v39 offset:544
.LBB325_1075:                           ;   in Loop: Header=BB325_1040 Depth=2
	s_or_b32 exec_lo, exec_lo, s23
	v_lshrrev_b32_sdwa v39, s41, v144 dst_sel:DWORD dst_unused:UNUSED_PAD src0_sel:DWORD src1_sel:BYTE_2
	; wave barrier
	v_and_b32_e32 v40, s62, v39
	v_and_b32_e32 v39, 1, v40
	v_lshlrev_b32_e32 v165, 30, v40
	v_lshlrev_b32_e32 v166, 29, v40
	;; [unrolled: 1-line block ×4, first 2 shown]
	v_add_co_u32 v39, s23, v39, -1
	v_cndmask_b32_e64 v167, 0, 1, s23
	v_not_b32_e32 v171, v165
	v_cmp_gt_i32_e64 s23, 0, v165
	v_not_b32_e32 v165, v166
	v_lshlrev_b32_e32 v170, 26, v40
	v_cmp_ne_u32_e32 vcc_lo, 0, v167
	v_ashrrev_i32_e32 v171, 31, v171
	v_lshlrev_b32_e32 v167, 25, v40
	v_ashrrev_i32_e32 v165, 31, v165
	v_xor_b32_e32 v39, vcc_lo, v39
	v_cmp_gt_i32_e32 vcc_lo, 0, v166
	v_not_b32_e32 v166, v168
	v_xor_b32_e32 v171, s23, v171
	v_cmp_gt_i32_e64 s23, 0, v168
	v_and_b32_e32 v39, exec_lo, v39
	v_not_b32_e32 v168, v169
	v_ashrrev_i32_e32 v166, 31, v166
	v_xor_b32_e32 v165, vcc_lo, v165
	v_cmp_gt_i32_e32 vcc_lo, 0, v169
	v_and_b32_e32 v39, v39, v171
	v_not_b32_e32 v169, v170
	v_ashrrev_i32_e32 v168, 31, v168
	v_xor_b32_e32 v166, s23, v166
	v_cmp_gt_i32_e64 s23, 0, v170
	v_and_b32_e32 v39, v39, v165
	v_not_b32_e32 v165, v167
	v_ashrrev_i32_e32 v169, 31, v169
	v_xor_b32_e32 v168, vcc_lo, v168
	v_cmp_gt_i32_e32 vcc_lo, 0, v167
	v_and_b32_e32 v39, v39, v166
	v_ashrrev_i32_e32 v165, 31, v165
	v_xor_b32_e32 v166, s23, v169
	v_mad_u32_u24 v167, v40, 36, v116
	v_mul_u32_u24_e32 v40, 36, v40
	v_and_b32_e32 v39, v39, v168
	v_xor_b32_e32 v168, vcc_lo, v165
	ds_read_b32 v165, v167 offset:544
	v_and_b32_e32 v39, v39, v166
	; wave barrier
	v_and_b32_e32 v39, v39, v168
	v_add_nc_u32_e32 v168, v116, v40
	v_mbcnt_lo_u32_b32 v166, v39, 0
	v_cmp_ne_u32_e64 s23, 0, v39
	v_cmp_eq_u32_e32 vcc_lo, 0, v166
	s_and_b32 s24, s23, vcc_lo
	s_and_saveexec_b32 s23, s24
	s_cbranch_execz .LBB325_1077
; %bb.1076:                             ;   in Loop: Header=BB325_1040 Depth=2
	s_waitcnt lgkmcnt(0)
	v_bcnt_u32_b32 v39, v39, v165
	ds_write_b32 v168, v39 offset:544
.LBB325_1077:                           ;   in Loop: Header=BB325_1040 Depth=2
	s_or_b32 exec_lo, exec_lo, s23
	v_lshrrev_b32_e32 v167, 24, v144
	; wave barrier
	v_lshrrev_b32_e32 v39, s41, v167
	v_and_b32_e32 v40, s62, v39
	v_and_b32_e32 v39, 1, v40
	v_lshlrev_b32_e32 v169, 30, v40
	v_lshlrev_b32_e32 v170, 29, v40
	;; [unrolled: 1-line block ×4, first 2 shown]
	v_add_co_u32 v39, s23, v39, -1
	v_cndmask_b32_e64 v171, 0, 1, s23
	v_not_b32_e32 v175, v169
	v_cmp_gt_i32_e64 s23, 0, v169
	v_not_b32_e32 v169, v170
	v_lshlrev_b32_e32 v174, 26, v40
	v_cmp_ne_u32_e32 vcc_lo, 0, v171
	v_ashrrev_i32_e32 v175, 31, v175
	v_lshlrev_b32_e32 v171, 25, v40
	v_ashrrev_i32_e32 v169, 31, v169
	v_xor_b32_e32 v39, vcc_lo, v39
	v_cmp_gt_i32_e32 vcc_lo, 0, v170
	v_not_b32_e32 v170, v172
	v_xor_b32_e32 v175, s23, v175
	v_cmp_gt_i32_e64 s23, 0, v172
	v_and_b32_e32 v39, exec_lo, v39
	v_not_b32_e32 v172, v173
	v_ashrrev_i32_e32 v170, 31, v170
	v_xor_b32_e32 v169, vcc_lo, v169
	v_cmp_gt_i32_e32 vcc_lo, 0, v173
	v_and_b32_e32 v39, v39, v175
	v_not_b32_e32 v173, v174
	v_ashrrev_i32_e32 v172, 31, v172
	v_xor_b32_e32 v170, s23, v170
	v_cmp_gt_i32_e64 s23, 0, v174
	v_and_b32_e32 v39, v39, v169
	v_not_b32_e32 v169, v171
	v_ashrrev_i32_e32 v173, 31, v173
	v_xor_b32_e32 v172, vcc_lo, v172
	v_cmp_gt_i32_e32 vcc_lo, 0, v171
	v_and_b32_e32 v39, v39, v170
	v_ashrrev_i32_e32 v169, 31, v169
	v_xor_b32_e32 v170, s23, v173
	v_mad_u32_u24 v171, v40, 36, v116
	v_mul_u32_u24_e32 v40, 36, v40
	v_and_b32_e32 v39, v39, v172
	v_xor_b32_e32 v172, vcc_lo, v169
	ds_read_b32 v169, v171 offset:544
	v_add_nc_u32_e32 v171, v116, v40
	v_and_b32_e32 v39, v39, v170
	; wave barrier
	v_and_b32_e32 v39, v39, v172
	v_mbcnt_lo_u32_b32 v170, v39, 0
	v_cmp_ne_u32_e64 s23, 0, v39
	v_cmp_eq_u32_e32 vcc_lo, 0, v170
	s_and_b32 s24, s23, vcc_lo
	s_and_saveexec_b32 s23, s24
	s_cbranch_execz .LBB325_1079
; %bb.1078:                             ;   in Loop: Header=BB325_1040 Depth=2
	s_waitcnt lgkmcnt(0)
	v_bcnt_u32_b32 v39, v39, v169
	ds_write_b32 v171, v39 offset:544
.LBB325_1079:                           ;   in Loop: Header=BB325_1040 Depth=2
	s_or_b32 exec_lo, exec_lo, s23
	v_xor_b32_e32 v39, 0x7f, v142
	; wave barrier
	v_and_b32_sdwa v40, v92, v39 dst_sel:DWORD dst_unused:UNUSED_PAD src0_sel:DWORD src1_sel:BYTE_0
	v_lshrrev_b32_e32 v40, s41, v40
	v_and_b32_e32 v173, s62, v40
	v_and_b32_e32 v40, 1, v173
	v_lshlrev_b32_e32 v142, 30, v173
	v_lshlrev_b32_e32 v172, 29, v173
	;; [unrolled: 1-line block ×4, first 2 shown]
	v_add_co_u32 v40, s23, v40, -1
	v_cndmask_b32_e64 v174, 0, 1, s23
	v_not_b32_e32 v178, v142
	v_cmp_gt_i32_e64 s23, 0, v142
	v_not_b32_e32 v142, v172
	v_lshlrev_b32_e32 v177, 26, v173
	v_cmp_ne_u32_e32 vcc_lo, 0, v174
	v_ashrrev_i32_e32 v178, 31, v178
	v_lshlrev_b32_e32 v174, 25, v173
	v_ashrrev_i32_e32 v142, 31, v142
	v_xor_b32_e32 v40, vcc_lo, v40
	v_cmp_gt_i32_e32 vcc_lo, 0, v172
	v_not_b32_e32 v172, v175
	v_xor_b32_e32 v178, s23, v178
	v_cmp_gt_i32_e64 s23, 0, v175
	v_and_b32_e32 v40, exec_lo, v40
	v_not_b32_e32 v175, v176
	v_ashrrev_i32_e32 v172, 31, v172
	v_xor_b32_e32 v142, vcc_lo, v142
	v_cmp_gt_i32_e32 vcc_lo, 0, v176
	v_and_b32_e32 v40, v40, v178
	v_not_b32_e32 v176, v177
	v_ashrrev_i32_e32 v175, 31, v175
	v_xor_b32_e32 v172, s23, v172
	v_cmp_gt_i32_e64 s23, 0, v177
	v_and_b32_e32 v40, v40, v142
	v_not_b32_e32 v142, v174
	v_ashrrev_i32_e32 v176, 31, v176
	v_xor_b32_e32 v175, vcc_lo, v175
	v_cmp_gt_i32_e32 vcc_lo, 0, v174
	v_and_b32_e32 v40, v40, v172
	v_ashrrev_i32_e32 v142, 31, v142
	v_xor_b32_e32 v172, s23, v176
	v_mad_u32_u24 v174, v173, 36, v116
	v_mul_u32_u24_e32 v173, 36, v173
	v_and_b32_e32 v40, v40, v175
	v_xor_b32_e32 v175, vcc_lo, v142
	ds_read_b32 v142, v174 offset:544
	v_add_nc_u32_e32 v173, v116, v173
	v_and_b32_e32 v40, v40, v172
	; wave barrier
	v_and_b32_e32 v40, v40, v175
	v_mbcnt_lo_u32_b32 v172, v40, 0
	v_cmp_ne_u32_e64 s23, 0, v40
	v_cmp_eq_u32_e32 vcc_lo, 0, v172
	s_and_b32 s24, s23, vcc_lo
	s_and_saveexec_b32 s23, s24
	s_cbranch_execz .LBB325_1081
; %bb.1080:                             ;   in Loop: Header=BB325_1040 Depth=2
	s_waitcnt lgkmcnt(0)
	v_bcnt_u32_b32 v40, v40, v142
	ds_write_b32 v173, v40 offset:544
.LBB325_1081:                           ;   in Loop: Header=BB325_1040 Depth=2
	s_or_b32 exec_lo, exec_lo, s23
	v_xor_b32_sdwa v40, v139, v93 dst_sel:BYTE_1 dst_unused:UNUSED_PAD src0_sel:DWORD src1_sel:DWORD
	v_xor_b32_e32 v140, 0x7f, v140
	v_xor_b32_sdwa v141, v141, v93 dst_sel:BYTE_1 dst_unused:UNUSED_PAD src0_sel:DWORD src1_sel:DWORD
	; wave barrier
	v_or_b32_sdwa v139, v39, v40 dst_sel:DWORD dst_unused:UNUSED_PAD src0_sel:BYTE_0 src1_sel:DWORD
	v_or_b32_sdwa v39, v140, v141 dst_sel:WORD_1 dst_unused:UNUSED_PAD src0_sel:BYTE_0 src1_sel:DWORD
	v_or_b32_sdwa v140, v139, v39 dst_sel:DWORD dst_unused:UNUSED_PAD src0_sel:WORD_0 src1_sel:DWORD
	v_lshrrev_b32_sdwa v39, s41, v140 dst_sel:DWORD dst_unused:UNUSED_PAD src0_sel:DWORD src1_sel:BYTE_1
	v_and_b32_e32 v40, s62, v39
	v_and_b32_e32 v39, 1, v40
	v_lshlrev_b32_e32 v141, 30, v40
	v_lshlrev_b32_e32 v174, 29, v40
	;; [unrolled: 1-line block ×4, first 2 shown]
	v_add_co_u32 v39, s23, v39, -1
	v_cndmask_b32_e64 v175, 0, 1, s23
	v_not_b32_e32 v179, v141
	v_cmp_gt_i32_e64 s23, 0, v141
	v_not_b32_e32 v141, v174
	v_lshlrev_b32_e32 v178, 26, v40
	v_cmp_ne_u32_e32 vcc_lo, 0, v175
	v_ashrrev_i32_e32 v179, 31, v179
	v_lshlrev_b32_e32 v175, 25, v40
	v_ashrrev_i32_e32 v141, 31, v141
	v_xor_b32_e32 v39, vcc_lo, v39
	v_cmp_gt_i32_e32 vcc_lo, 0, v174
	v_not_b32_e32 v174, v176
	v_xor_b32_e32 v179, s23, v179
	v_cmp_gt_i32_e64 s23, 0, v176
	v_and_b32_e32 v39, exec_lo, v39
	v_not_b32_e32 v176, v177
	v_ashrrev_i32_e32 v174, 31, v174
	v_xor_b32_e32 v141, vcc_lo, v141
	v_cmp_gt_i32_e32 vcc_lo, 0, v177
	v_and_b32_e32 v39, v39, v179
	v_not_b32_e32 v177, v178
	v_ashrrev_i32_e32 v176, 31, v176
	v_xor_b32_e32 v174, s23, v174
	v_cmp_gt_i32_e64 s23, 0, v178
	v_and_b32_e32 v39, v39, v141
	v_not_b32_e32 v141, v175
	v_ashrrev_i32_e32 v177, 31, v177
	v_xor_b32_e32 v176, vcc_lo, v176
	v_cmp_gt_i32_e32 vcc_lo, 0, v175
	v_and_b32_e32 v39, v39, v174
	v_ashrrev_i32_e32 v141, 31, v141
	v_xor_b32_e32 v174, s23, v177
	v_mad_u32_u24 v175, v40, 36, v116
	v_mul_u32_u24_e32 v40, 36, v40
	v_and_b32_e32 v39, v39, v176
	v_xor_b32_e32 v176, vcc_lo, v141
	ds_read_b32 v141, v175 offset:544
	v_add_nc_u32_e32 v175, v116, v40
	v_and_b32_e32 v39, v39, v174
	; wave barrier
	v_and_b32_e32 v39, v39, v176
	v_mbcnt_lo_u32_b32 v174, v39, 0
	v_cmp_ne_u32_e64 s23, 0, v39
	v_cmp_eq_u32_e32 vcc_lo, 0, v174
	s_and_b32 s24, s23, vcc_lo
	s_and_saveexec_b32 s23, s24
	s_cbranch_execz .LBB325_1083
; %bb.1082:                             ;   in Loop: Header=BB325_1040 Depth=2
	s_waitcnt lgkmcnt(0)
	v_bcnt_u32_b32 v39, v39, v141
	ds_write_b32 v175, v39 offset:544
.LBB325_1083:                           ;   in Loop: Header=BB325_1040 Depth=2
	s_or_b32 exec_lo, exec_lo, s23
	v_lshrrev_b32_sdwa v39, s41, v140 dst_sel:DWORD dst_unused:UNUSED_PAD src0_sel:DWORD src1_sel:BYTE_2
	; wave barrier
	v_and_b32_e32 v40, s62, v39
	v_and_b32_e32 v39, 1, v40
	v_lshlrev_b32_e32 v176, 30, v40
	v_lshlrev_b32_e32 v177, 29, v40
	;; [unrolled: 1-line block ×4, first 2 shown]
	v_add_co_u32 v39, s23, v39, -1
	v_cndmask_b32_e64 v178, 0, 1, s23
	v_not_b32_e32 v182, v176
	v_cmp_gt_i32_e64 s23, 0, v176
	v_not_b32_e32 v176, v177
	v_lshlrev_b32_e32 v181, 26, v40
	v_cmp_ne_u32_e32 vcc_lo, 0, v178
	v_ashrrev_i32_e32 v182, 31, v182
	v_lshlrev_b32_e32 v178, 25, v40
	v_ashrrev_i32_e32 v176, 31, v176
	v_xor_b32_e32 v39, vcc_lo, v39
	v_cmp_gt_i32_e32 vcc_lo, 0, v177
	v_not_b32_e32 v177, v179
	v_xor_b32_e32 v182, s23, v182
	v_cmp_gt_i32_e64 s23, 0, v179
	v_and_b32_e32 v39, exec_lo, v39
	v_not_b32_e32 v179, v180
	v_ashrrev_i32_e32 v177, 31, v177
	v_xor_b32_e32 v176, vcc_lo, v176
	v_cmp_gt_i32_e32 vcc_lo, 0, v180
	v_and_b32_e32 v39, v39, v182
	v_not_b32_e32 v180, v181
	v_ashrrev_i32_e32 v179, 31, v179
	v_xor_b32_e32 v177, s23, v177
	v_cmp_gt_i32_e64 s23, 0, v181
	v_and_b32_e32 v39, v39, v176
	v_not_b32_e32 v176, v178
	v_ashrrev_i32_e32 v180, 31, v180
	v_xor_b32_e32 v179, vcc_lo, v179
	v_cmp_gt_i32_e32 vcc_lo, 0, v178
	v_and_b32_e32 v39, v39, v177
	v_ashrrev_i32_e32 v176, 31, v176
	v_xor_b32_e32 v177, s23, v180
	v_mad_u32_u24 v178, v40, 36, v116
	v_mul_u32_u24_e32 v40, 36, v40
	v_and_b32_e32 v39, v39, v179
	v_xor_b32_e32 v179, vcc_lo, v176
	ds_read_b32 v176, v178 offset:544
	v_and_b32_e32 v39, v39, v177
	; wave barrier
	v_and_b32_e32 v39, v39, v179
	v_add_nc_u32_e32 v179, v116, v40
	v_mbcnt_lo_u32_b32 v177, v39, 0
	v_cmp_ne_u32_e64 s23, 0, v39
	v_cmp_eq_u32_e32 vcc_lo, 0, v177
	s_and_b32 s24, s23, vcc_lo
	s_and_saveexec_b32 s23, s24
	s_cbranch_execz .LBB325_1085
; %bb.1084:                             ;   in Loop: Header=BB325_1040 Depth=2
	s_waitcnt lgkmcnt(0)
	v_bcnt_u32_b32 v39, v39, v176
	ds_write_b32 v179, v39 offset:544
.LBB325_1085:                           ;   in Loop: Header=BB325_1040 Depth=2
	s_or_b32 exec_lo, exec_lo, s23
	v_lshrrev_b32_e32 v178, 24, v140
	; wave barrier
	v_lshrrev_b32_e32 v39, s41, v178
	v_and_b32_e32 v40, s62, v39
	v_and_b32_e32 v39, 1, v40
	v_lshlrev_b32_e32 v180, 30, v40
	v_lshlrev_b32_e32 v181, 29, v40
	;; [unrolled: 1-line block ×4, first 2 shown]
	v_add_co_u32 v39, s23, v39, -1
	v_cndmask_b32_e64 v182, 0, 1, s23
	v_not_b32_e32 v186, v180
	v_cmp_gt_i32_e64 s23, 0, v180
	v_not_b32_e32 v180, v181
	v_lshlrev_b32_e32 v185, 26, v40
	v_cmp_ne_u32_e32 vcc_lo, 0, v182
	v_ashrrev_i32_e32 v186, 31, v186
	v_lshlrev_b32_e32 v182, 25, v40
	v_ashrrev_i32_e32 v180, 31, v180
	v_xor_b32_e32 v39, vcc_lo, v39
	v_cmp_gt_i32_e32 vcc_lo, 0, v181
	v_not_b32_e32 v181, v183
	v_xor_b32_e32 v186, s23, v186
	v_cmp_gt_i32_e64 s23, 0, v183
	v_and_b32_e32 v39, exec_lo, v39
	v_not_b32_e32 v183, v184
	v_ashrrev_i32_e32 v181, 31, v181
	v_xor_b32_e32 v180, vcc_lo, v180
	v_cmp_gt_i32_e32 vcc_lo, 0, v184
	v_and_b32_e32 v39, v39, v186
	v_not_b32_e32 v184, v185
	v_ashrrev_i32_e32 v183, 31, v183
	v_xor_b32_e32 v181, s23, v181
	v_cmp_gt_i32_e64 s23, 0, v185
	v_and_b32_e32 v39, v39, v180
	v_not_b32_e32 v180, v182
	v_ashrrev_i32_e32 v184, 31, v184
	v_xor_b32_e32 v183, vcc_lo, v183
	v_cmp_gt_i32_e32 vcc_lo, 0, v182
	v_and_b32_e32 v39, v39, v181
	v_ashrrev_i32_e32 v180, 31, v180
	v_xor_b32_e32 v181, s23, v184
	v_mad_u32_u24 v182, v40, 36, v116
	v_mul_u32_u24_e32 v40, 36, v40
	v_and_b32_e32 v39, v39, v183
	v_xor_b32_e32 v183, vcc_lo, v180
	ds_read_b32 v180, v182 offset:544
	v_add_nc_u32_e32 v182, v116, v40
	v_and_b32_e32 v39, v39, v181
	; wave barrier
	v_and_b32_e32 v39, v39, v183
	v_mbcnt_lo_u32_b32 v181, v39, 0
	v_cmp_ne_u32_e64 s23, 0, v39
	v_cmp_eq_u32_e32 vcc_lo, 0, v181
	s_and_b32 s24, s23, vcc_lo
	s_and_saveexec_b32 s23, s24
	s_cbranch_execz .LBB325_1087
; %bb.1086:                             ;   in Loop: Header=BB325_1040 Depth=2
	s_waitcnt lgkmcnt(0)
	v_bcnt_u32_b32 v39, v39, v180
	ds_write_b32 v182, v39 offset:544
.LBB325_1087:                           ;   in Loop: Header=BB325_1040 Depth=2
	s_or_b32 exec_lo, exec_lo, s23
	v_xor_b32_e32 v39, 0x7f, v137
	; wave barrier
	v_and_b32_sdwa v40, v92, v39 dst_sel:DWORD dst_unused:UNUSED_PAD src0_sel:DWORD src1_sel:BYTE_0
	v_lshrrev_b32_e32 v40, s41, v40
	v_and_b32_e32 v184, s62, v40
	v_and_b32_e32 v40, 1, v184
	v_lshlrev_b32_e32 v137, 30, v184
	v_lshlrev_b32_e32 v183, 29, v184
	;; [unrolled: 1-line block ×4, first 2 shown]
	v_add_co_u32 v40, s23, v40, -1
	v_cndmask_b32_e64 v185, 0, 1, s23
	v_not_b32_e32 v189, v137
	v_cmp_gt_i32_e64 s23, 0, v137
	v_not_b32_e32 v137, v183
	v_lshlrev_b32_e32 v188, 26, v184
	v_cmp_ne_u32_e32 vcc_lo, 0, v185
	v_ashrrev_i32_e32 v189, 31, v189
	v_lshlrev_b32_e32 v185, 25, v184
	v_ashrrev_i32_e32 v137, 31, v137
	v_xor_b32_e32 v40, vcc_lo, v40
	v_cmp_gt_i32_e32 vcc_lo, 0, v183
	v_not_b32_e32 v183, v186
	v_xor_b32_e32 v189, s23, v189
	v_cmp_gt_i32_e64 s23, 0, v186
	v_and_b32_e32 v40, exec_lo, v40
	v_not_b32_e32 v186, v187
	v_ashrrev_i32_e32 v183, 31, v183
	v_xor_b32_e32 v137, vcc_lo, v137
	v_cmp_gt_i32_e32 vcc_lo, 0, v187
	v_and_b32_e32 v40, v40, v189
	v_not_b32_e32 v187, v188
	v_ashrrev_i32_e32 v186, 31, v186
	v_xor_b32_e32 v183, s23, v183
	v_cmp_gt_i32_e64 s23, 0, v188
	v_and_b32_e32 v40, v40, v137
	v_not_b32_e32 v137, v185
	v_ashrrev_i32_e32 v187, 31, v187
	v_xor_b32_e32 v186, vcc_lo, v186
	v_cmp_gt_i32_e32 vcc_lo, 0, v185
	v_and_b32_e32 v40, v40, v183
	v_ashrrev_i32_e32 v137, 31, v137
	v_xor_b32_e32 v183, s23, v187
	v_mad_u32_u24 v185, v184, 36, v116
	v_mul_u32_u24_e32 v184, 36, v184
	v_and_b32_e32 v40, v40, v186
	v_xor_b32_e32 v186, vcc_lo, v137
	ds_read_b32 v137, v185 offset:544
	v_add_nc_u32_e32 v185, v116, v184
	v_and_b32_e32 v40, v40, v183
	; wave barrier
	v_and_b32_e32 v40, v40, v186
	v_mbcnt_lo_u32_b32 v183, v40, 0
	v_cmp_ne_u32_e64 s23, 0, v40
	v_cmp_eq_u32_e32 vcc_lo, 0, v183
	s_and_b32 s24, s23, vcc_lo
	s_and_saveexec_b32 s23, s24
	s_cbranch_execz .LBB325_1089
; %bb.1088:                             ;   in Loop: Header=BB325_1040 Depth=2
	s_waitcnt lgkmcnt(0)
	v_bcnt_u32_b32 v40, v40, v137
	ds_write_b32 v185, v40 offset:544
.LBB325_1089:                           ;   in Loop: Header=BB325_1040 Depth=2
	s_or_b32 exec_lo, exec_lo, s23
	v_xor_b32_sdwa v3, v3, v93 dst_sel:BYTE_1 dst_unused:UNUSED_PAD src0_sel:DWORD src1_sel:DWORD
	v_xor_b32_e32 v40, 0x7f, v41
	v_xor_b32_sdwa v41, v42, v93 dst_sel:BYTE_1 dst_unused:UNUSED_PAD src0_sel:DWORD src1_sel:DWORD
	; wave barrier
	v_or_b32_sdwa v184, v39, v3 dst_sel:DWORD dst_unused:UNUSED_PAD src0_sel:BYTE_0 src1_sel:DWORD
	v_or_b32_sdwa v3, v40, v41 dst_sel:WORD_1 dst_unused:UNUSED_PAD src0_sel:BYTE_0 src1_sel:DWORD
	v_or_b32_sdwa v3, v184, v3 dst_sel:DWORD dst_unused:UNUSED_PAD src0_sel:WORD_0 src1_sel:DWORD
	v_lshrrev_b32_sdwa v39, s41, v3 dst_sel:DWORD dst_unused:UNUSED_PAD src0_sel:DWORD src1_sel:BYTE_1
	v_and_b32_e32 v40, s62, v39
	v_and_b32_e32 v39, 1, v40
	v_lshlrev_b32_e32 v41, 30, v40
	v_lshlrev_b32_e32 v42, 29, v40
	;; [unrolled: 1-line block ×4, first 2 shown]
	v_add_co_u32 v39, s23, v39, -1
	v_cndmask_b32_e64 v186, 0, 1, s23
	v_not_b32_e32 v190, v41
	v_cmp_gt_i32_e64 s23, 0, v41
	v_not_b32_e32 v41, v42
	v_lshlrev_b32_e32 v189, 26, v40
	v_cmp_ne_u32_e32 vcc_lo, 0, v186
	v_ashrrev_i32_e32 v190, 31, v190
	v_lshlrev_b32_e32 v186, 25, v40
	v_ashrrev_i32_e32 v41, 31, v41
	v_xor_b32_e32 v39, vcc_lo, v39
	v_cmp_gt_i32_e32 vcc_lo, 0, v42
	v_not_b32_e32 v42, v187
	v_xor_b32_e32 v190, s23, v190
	v_cmp_gt_i32_e64 s23, 0, v187
	v_and_b32_e32 v39, exec_lo, v39
	v_not_b32_e32 v187, v188
	v_ashrrev_i32_e32 v42, 31, v42
	v_xor_b32_e32 v41, vcc_lo, v41
	v_cmp_gt_i32_e32 vcc_lo, 0, v188
	v_and_b32_e32 v39, v39, v190
	v_not_b32_e32 v188, v189
	v_ashrrev_i32_e32 v187, 31, v187
	v_xor_b32_e32 v42, s23, v42
	v_cmp_gt_i32_e64 s23, 0, v189
	v_and_b32_e32 v39, v39, v41
	v_not_b32_e32 v41, v186
	v_ashrrev_i32_e32 v188, 31, v188
	v_xor_b32_e32 v187, vcc_lo, v187
	v_cmp_gt_i32_e32 vcc_lo, 0, v186
	v_and_b32_e32 v39, v39, v42
	v_ashrrev_i32_e32 v41, 31, v41
	v_xor_b32_e32 v42, s23, v188
	v_mad_u32_u24 v186, v40, 36, v116
	v_mul_u32_u24_e32 v40, 36, v40
	v_and_b32_e32 v39, v39, v187
	v_xor_b32_e32 v41, vcc_lo, v41
	ds_read_b32 v186, v186 offset:544
	v_add_nc_u32_e32 v188, v116, v40
	v_and_b32_e32 v39, v39, v42
	; wave barrier
	v_and_b32_e32 v39, v39, v41
	v_mbcnt_lo_u32_b32 v187, v39, 0
	v_cmp_ne_u32_e64 s23, 0, v39
	v_cmp_eq_u32_e32 vcc_lo, 0, v187
	s_and_b32 s24, s23, vcc_lo
	s_and_saveexec_b32 s23, s24
	s_cbranch_execz .LBB325_1091
; %bb.1090:                             ;   in Loop: Header=BB325_1040 Depth=2
	s_waitcnt lgkmcnt(0)
	v_bcnt_u32_b32 v39, v39, v186
	ds_write_b32 v188, v39 offset:544
.LBB325_1091:                           ;   in Loop: Header=BB325_1040 Depth=2
	s_or_b32 exec_lo, exec_lo, s23
	v_lshrrev_b32_sdwa v39, s41, v3 dst_sel:DWORD dst_unused:UNUSED_PAD src0_sel:DWORD src1_sel:BYTE_2
	; wave barrier
	v_and_b32_e32 v40, s62, v39
	v_and_b32_e32 v39, 1, v40
	v_lshlrev_b32_e32 v41, 30, v40
	v_lshlrev_b32_e32 v42, 29, v40
	;; [unrolled: 1-line block ×4, first 2 shown]
	v_add_co_u32 v39, s23, v39, -1
	v_cndmask_b32_e64 v189, 0, 1, s23
	v_not_b32_e32 v193, v41
	v_cmp_gt_i32_e64 s23, 0, v41
	v_not_b32_e32 v41, v42
	v_lshlrev_b32_e32 v192, 26, v40
	v_cmp_ne_u32_e32 vcc_lo, 0, v189
	v_ashrrev_i32_e32 v193, 31, v193
	v_lshlrev_b32_e32 v189, 25, v40
	v_ashrrev_i32_e32 v41, 31, v41
	v_xor_b32_e32 v39, vcc_lo, v39
	v_cmp_gt_i32_e32 vcc_lo, 0, v42
	v_not_b32_e32 v42, v190
	v_xor_b32_e32 v193, s23, v193
	v_cmp_gt_i32_e64 s23, 0, v190
	v_and_b32_e32 v39, exec_lo, v39
	v_not_b32_e32 v190, v191
	v_ashrrev_i32_e32 v42, 31, v42
	v_xor_b32_e32 v41, vcc_lo, v41
	v_cmp_gt_i32_e32 vcc_lo, 0, v191
	v_and_b32_e32 v39, v39, v193
	v_not_b32_e32 v191, v192
	v_ashrrev_i32_e32 v190, 31, v190
	v_xor_b32_e32 v42, s23, v42
	v_cmp_gt_i32_e64 s23, 0, v192
	v_and_b32_e32 v39, v39, v41
	v_not_b32_e32 v41, v189
	v_ashrrev_i32_e32 v191, 31, v191
	v_xor_b32_e32 v190, vcc_lo, v190
	v_cmp_gt_i32_e32 vcc_lo, 0, v189
	v_and_b32_e32 v39, v39, v42
	v_ashrrev_i32_e32 v41, 31, v41
	v_xor_b32_e32 v42, s23, v191
	v_mad_u32_u24 v189, v40, 36, v116
	v_mul_u32_u24_e32 v40, 36, v40
	v_and_b32_e32 v39, v39, v190
	v_xor_b32_e32 v41, vcc_lo, v41
	ds_read_b32 v189, v189 offset:544
	v_add_nc_u32_e32 v192, v116, v40
	v_and_b32_e32 v39, v39, v42
	; wave barrier
	v_and_b32_e32 v39, v39, v41
	v_mbcnt_lo_u32_b32 v190, v39, 0
	v_cmp_ne_u32_e64 s23, 0, v39
	v_cmp_eq_u32_e32 vcc_lo, 0, v190
	s_and_b32 s24, s23, vcc_lo
	s_and_saveexec_b32 s23, s24
	s_cbranch_execz .LBB325_1093
; %bb.1092:                             ;   in Loop: Header=BB325_1040 Depth=2
	s_waitcnt lgkmcnt(0)
	v_bcnt_u32_b32 v39, v39, v189
	ds_write_b32 v192, v39 offset:544
.LBB325_1093:                           ;   in Loop: Header=BB325_1040 Depth=2
	s_or_b32 exec_lo, exec_lo, s23
	v_lshrrev_b32_e32 v191, 24, v3
	; wave barrier
	v_lshrrev_b32_e32 v39, s41, v191
	v_and_b32_e32 v40, s62, v39
	v_and_b32_e32 v39, 1, v40
	v_lshlrev_b32_e32 v41, 30, v40
	v_lshlrev_b32_e32 v42, 29, v40
	;; [unrolled: 1-line block ×4, first 2 shown]
	v_add_co_u32 v39, s23, v39, -1
	v_cndmask_b32_e64 v193, 0, 1, s23
	v_not_b32_e32 v197, v41
	v_cmp_gt_i32_e64 s23, 0, v41
	v_not_b32_e32 v41, v42
	v_lshlrev_b32_e32 v196, 26, v40
	v_cmp_ne_u32_e32 vcc_lo, 0, v193
	v_ashrrev_i32_e32 v197, 31, v197
	v_lshlrev_b32_e32 v193, 25, v40
	v_ashrrev_i32_e32 v41, 31, v41
	v_xor_b32_e32 v39, vcc_lo, v39
	v_cmp_gt_i32_e32 vcc_lo, 0, v42
	v_not_b32_e32 v42, v194
	v_xor_b32_e32 v197, s23, v197
	v_cmp_gt_i32_e64 s23, 0, v194
	v_and_b32_e32 v39, exec_lo, v39
	v_not_b32_e32 v194, v195
	v_ashrrev_i32_e32 v42, 31, v42
	v_xor_b32_e32 v41, vcc_lo, v41
	v_cmp_gt_i32_e32 vcc_lo, 0, v195
	v_and_b32_e32 v39, v39, v197
	v_not_b32_e32 v195, v196
	v_ashrrev_i32_e32 v194, 31, v194
	v_xor_b32_e32 v42, s23, v42
	v_cmp_gt_i32_e64 s23, 0, v196
	v_and_b32_e32 v39, v39, v41
	v_not_b32_e32 v41, v193
	v_ashrrev_i32_e32 v195, 31, v195
	v_xor_b32_e32 v194, vcc_lo, v194
	v_cmp_gt_i32_e32 vcc_lo, 0, v193
	v_and_b32_e32 v39, v39, v42
	v_ashrrev_i32_e32 v41, 31, v41
	v_xor_b32_e32 v42, s23, v195
	v_mad_u32_u24 v193, v40, 36, v116
	v_mul_u32_u24_e32 v40, 36, v40
	v_and_b32_e32 v39, v39, v194
	v_xor_b32_e32 v41, vcc_lo, v41
	ds_read_b32 v193, v193 offset:544
	v_add_nc_u32_e32 v195, v116, v40
	v_and_b32_e32 v39, v39, v42
	; wave barrier
	v_and_b32_e32 v39, v39, v41
	v_mbcnt_lo_u32_b32 v194, v39, 0
	v_cmp_ne_u32_e64 s23, 0, v39
	v_cmp_eq_u32_e32 vcc_lo, 0, v194
	s_and_b32 s24, s23, vcc_lo
	s_and_saveexec_b32 s23, s24
	s_cbranch_execz .LBB325_1095
; %bb.1094:                             ;   in Loop: Header=BB325_1040 Depth=2
	s_waitcnt lgkmcnt(0)
	v_bcnt_u32_b32 v39, v39, v193
	ds_write_b32 v195, v39 offset:544
.LBB325_1095:                           ;   in Loop: Header=BB325_1040 Depth=2
	s_or_b32 exec_lo, exec_lo, s23
	v_xor_b32_e32 v117, 0x7f, v117
	; wave barrier
	v_lshrrev_b32_sdwa v39, s41, v117 dst_sel:DWORD dst_unused:UNUSED_PAD src0_sel:DWORD src1_sel:BYTE_0
	v_and_b32_e32 v40, s62, v39
	v_and_b32_e32 v39, 1, v40
	v_lshlrev_b32_e32 v41, 30, v40
	v_lshlrev_b32_e32 v42, 29, v40
	;; [unrolled: 1-line block ×4, first 2 shown]
	v_add_co_u32 v39, s23, v39, -1
	v_cndmask_b32_e64 v196, 0, 1, s23
	v_not_b32_e32 v200, v41
	v_cmp_gt_i32_e64 s23, 0, v41
	v_not_b32_e32 v41, v42
	v_lshlrev_b32_e32 v199, 26, v40
	v_cmp_ne_u32_e32 vcc_lo, 0, v196
	v_ashrrev_i32_e32 v200, 31, v200
	v_lshlrev_b32_e32 v196, 25, v40
	v_ashrrev_i32_e32 v41, 31, v41
	v_xor_b32_e32 v39, vcc_lo, v39
	v_cmp_gt_i32_e32 vcc_lo, 0, v42
	v_not_b32_e32 v42, v197
	v_xor_b32_e32 v200, s23, v200
	v_cmp_gt_i32_e64 s23, 0, v197
	v_and_b32_e32 v39, exec_lo, v39
	v_not_b32_e32 v197, v198
	v_ashrrev_i32_e32 v42, 31, v42
	v_xor_b32_e32 v41, vcc_lo, v41
	v_cmp_gt_i32_e32 vcc_lo, 0, v198
	v_and_b32_e32 v39, v39, v200
	v_not_b32_e32 v198, v199
	v_ashrrev_i32_e32 v197, 31, v197
	v_xor_b32_e32 v42, s23, v42
	v_cmp_gt_i32_e64 s23, 0, v199
	v_and_b32_e32 v39, v39, v41
	v_not_b32_e32 v41, v196
	v_ashrrev_i32_e32 v198, 31, v198
	v_xor_b32_e32 v197, vcc_lo, v197
	v_cmp_gt_i32_e32 vcc_lo, 0, v196
	v_and_b32_e32 v39, v39, v42
	v_ashrrev_i32_e32 v41, 31, v41
	v_xor_b32_e32 v42, s23, v198
	v_mad_u32_u24 v196, v40, 36, v116
	v_mul_u32_u24_e32 v40, 36, v40
	v_and_b32_e32 v39, v39, v197
	v_xor_b32_e32 v41, vcc_lo, v41
	ds_read_b32 v196, v196 offset:544
	v_add_nc_u32_e32 v198, v116, v40
	v_and_b32_e32 v39, v39, v42
	; wave barrier
	v_and_b32_e32 v39, v39, v41
	v_mbcnt_lo_u32_b32 v197, v39, 0
	v_cmp_ne_u32_e64 s23, 0, v39
	v_cmp_eq_u32_e32 vcc_lo, 0, v197
	s_and_b32 s24, s23, vcc_lo
	s_and_saveexec_b32 s23, s24
	s_cbranch_execz .LBB325_1097
; %bb.1096:                             ;   in Loop: Header=BB325_1040 Depth=2
	s_waitcnt lgkmcnt(0)
	v_bcnt_u32_b32 v39, v39, v196
	ds_write_b32 v198, v39 offset:544
.LBB325_1097:                           ;   in Loop: Header=BB325_1040 Depth=2
	s_or_b32 exec_lo, exec_lo, s23
	; wave barrier
	s_waitcnt lgkmcnt(0)
	s_barrier
	buffer_gl0_inv
	ds_read2_b32 v[41:42], v69 offset0:136 offset1:137
	ds_read2_b32 v[39:40], v69 offset0:138 offset1:139
	ds_read_b32 v199, v69 offset:560
	s_waitcnt lgkmcnt(1)
	v_add3_u32 v200, v42, v41, v39
	s_waitcnt lgkmcnt(0)
	v_add3_u32 v199, v200, v40, v199
	v_mov_b32_dpp v200, v199 row_shr:1 row_mask:0xf bank_mask:0xf
	v_cndmask_b32_e64 v200, v200, 0, s5
	v_add_nc_u32_e32 v199, v200, v199
	v_mov_b32_dpp v200, v199 row_shr:2 row_mask:0xf bank_mask:0xf
	v_cndmask_b32_e64 v200, 0, v200, s15
	v_add_nc_u32_e32 v199, v199, v200
	;; [unrolled: 3-line block ×4, first 2 shown]
	ds_swizzle_b32 v200, v199 offset:swizzle(BROADCAST,32,15)
	s_waitcnt lgkmcnt(0)
	v_cndmask_b32_e64 v200, v200, 0, s18
	v_add_nc_u32_e32 v199, v199, v200
	s_and_saveexec_b32 s23, s4
; %bb.1098:                             ;   in Loop: Header=BB325_1040 Depth=2
	ds_write_b32 v62, v199 offset:512
; %bb.1099:                             ;   in Loop: Header=BB325_1040 Depth=2
	s_or_b32 exec_lo, exec_lo, s23
	s_waitcnt lgkmcnt(0)
	s_barrier
	buffer_gl0_inv
	s_and_saveexec_b32 s23, s12
	s_cbranch_execz .LBB325_1101
; %bb.1100:                             ;   in Loop: Header=BB325_1040 Depth=2
	ds_read_b32 v200, v70 offset:512
	s_waitcnt lgkmcnt(0)
	v_mov_b32_dpp v201, v200 row_shr:1 row_mask:0xf bank_mask:0xf
	v_cndmask_b32_e64 v201, v201, 0, s20
	v_add_nc_u32_e32 v200, v201, v200
	v_mov_b32_dpp v201, v200 row_shr:2 row_mask:0xf bank_mask:0xf
	v_cndmask_b32_e64 v201, 0, v201, s21
	v_add_nc_u32_e32 v200, v200, v201
	;; [unrolled: 3-line block ×3, first 2 shown]
	ds_write_b32 v70, v200 offset:512
.LBB325_1101:                           ;   in Loop: Header=BB325_1040 Depth=2
	s_or_b32 exec_lo, exec_lo, s23
	v_mov_b32_e32 v200, 0
	s_waitcnt lgkmcnt(0)
	s_barrier
	buffer_gl0_inv
	s_and_saveexec_b32 s23, s11
; %bb.1102:                             ;   in Loop: Header=BB325_1040 Depth=2
	ds_read_b32 v200, v62 offset:508
; %bb.1103:                             ;   in Loop: Header=BB325_1040 Depth=2
	s_or_b32 exec_lo, exec_lo, s23
	s_waitcnt lgkmcnt(0)
	v_add_nc_u32_e32 v199, v200, v199
	ds_bpermute_b32 v199, v94, v199
	s_waitcnt lgkmcnt(0)
	v_cndmask_b32_e64 v199, v199, v200, s19
	v_cndmask_b32_e64 v199, v199, 0, s13
	v_add_nc_u32_e32 v41, v199, v41
	v_add_nc_u32_e32 v42, v41, v42
	;; [unrolled: 1-line block ×4, first 2 shown]
	ds_write2_b32 v69, v199, v41 offset0:136 offset1:137
	ds_write2_b32 v69, v42, v39 offset0:138 offset1:139
	ds_write_b32 v69, v40 offset:560
	s_waitcnt lgkmcnt(0)
	s_barrier
	buffer_gl0_inv
	ds_read_b32 v39, v149 offset:544
	ds_read_b32 v40, v153 offset:544
	;; [unrolled: 1-line block ×17, first 2 shown]
	s_and_saveexec_b32 s23, s8
	s_cbranch_execz .LBB325_1107
; %bb.1104:                             ;   in Loop: Header=BB325_1040 Depth=2
	v_add_nc_u32_e32 v135, v70, v72
	v_mov_b32_e32 v136, 0x1100
	ds_read_b32 v135, v135 offset:544
	s_and_saveexec_b32 s24, s14
; %bb.1105:                             ;   in Loop: Header=BB325_1040 Depth=2
	ds_read_b32 v136, v71 offset:544
; %bb.1106:                             ;   in Loop: Header=BB325_1040 Depth=2
	s_or_b32 exec_lo, exec_lo, s24
	s_waitcnt lgkmcnt(0)
	v_sub_nc_u32_e32 v136, v136, v135
.LBB325_1107:                           ;   in Loop: Header=BB325_1040 Depth=2
	s_or_b32 exec_lo, exec_lo, s23
	v_lshrrev_b32_e32 v203, 8, v148
	v_lshrrev_b32_e32 v204, 16, v148
	;; [unrolled: 1-line block ×8, first 2 shown]
	s_waitcnt lgkmcnt(0)
	s_barrier
	buffer_gl0_inv
	s_and_saveexec_b32 s23, s8
	s_cbranch_execz .LBB325_1109
; %bb.1108:                             ;   in Loop: Header=BB325_1040 Depth=2
	ds_read_b32 v3, v43
	s_waitcnt lgkmcnt(0)
	v_sub_nc_u32_e32 v3, v3, v135
	ds_write_b32 v43, v3
.LBB325_1109:                           ;   in Loop: Header=BB325_1040 Depth=2
	s_or_b32 exec_lo, exec_lo, s23
	v_add_nc_u32_e32 v157, v39, v146
	v_add3_u32 v153, v152, v151, v40
	v_add3_u32 v152, v155, v154, v41
	;; [unrolled: 1-line block ×16, first 2 shown]
	v_cmp_lt_u32_e64 s38, v0, v138
	ds_write_b8 v157, v147 offset:512
	ds_write_b8 v153, v203 offset:512
	;; [unrolled: 1-line block ×17, first 2 shown]
	s_waitcnt lgkmcnt(0)
	s_barrier
	buffer_gl0_inv
	s_and_saveexec_b32 s23, s38
	s_cbranch_execnz .LBB325_1182
; %bb.1110:                             ;   in Loop: Header=BB325_1040 Depth=2
	s_or_b32 exec_lo, exec_lo, s23
	v_cmp_lt_u32_e64 s39, v44, v138
	s_and_saveexec_b32 s23, s39
	s_cbranch_execnz .LBB325_1183
.LBB325_1111:                           ;   in Loop: Header=BB325_1040 Depth=2
	s_or_b32 exec_lo, exec_lo, s23
	v_cmp_lt_u32_e64 s37, v47, v138
	s_and_saveexec_b32 s23, s37
	s_cbranch_execnz .LBB325_1184
.LBB325_1112:                           ;   in Loop: Header=BB325_1040 Depth=2
	s_or_b32 exec_lo, exec_lo, s23
	v_cmp_lt_u32_e64 s36, v48, v138
	s_and_saveexec_b32 s23, s36
	s_cbranch_execnz .LBB325_1185
.LBB325_1113:                           ;   in Loop: Header=BB325_1040 Depth=2
	s_or_b32 exec_lo, exec_lo, s23
	v_cmp_lt_u32_e64 s35, v49, v138
	s_and_saveexec_b32 s23, s35
	s_cbranch_execnz .LBB325_1186
.LBB325_1114:                           ;   in Loop: Header=BB325_1040 Depth=2
	s_or_b32 exec_lo, exec_lo, s23
	v_cmp_lt_u32_e64 s34, v50, v138
	s_and_saveexec_b32 s23, s34
	s_cbranch_execnz .LBB325_1187
.LBB325_1115:                           ;   in Loop: Header=BB325_1040 Depth=2
	s_or_b32 exec_lo, exec_lo, s23
	v_cmp_lt_u32_e64 s33, v51, v138
	s_and_saveexec_b32 s23, s33
	s_cbranch_execnz .LBB325_1188
.LBB325_1116:                           ;   in Loop: Header=BB325_1040 Depth=2
	s_or_b32 exec_lo, exec_lo, s23
	v_cmp_lt_u32_e64 s31, v52, v138
	s_and_saveexec_b32 s23, s31
	s_cbranch_execnz .LBB325_1189
.LBB325_1117:                           ;   in Loop: Header=BB325_1040 Depth=2
	s_or_b32 exec_lo, exec_lo, s23
	v_cmp_lt_u32_e64 s30, v53, v138
	s_and_saveexec_b32 s23, s30
	s_cbranch_execnz .LBB325_1190
.LBB325_1118:                           ;   in Loop: Header=BB325_1040 Depth=2
	s_or_b32 exec_lo, exec_lo, s23
	v_cmp_lt_u32_e64 s29, v54, v138
	s_and_saveexec_b32 s23, s29
	s_cbranch_execnz .LBB325_1191
.LBB325_1119:                           ;   in Loop: Header=BB325_1040 Depth=2
	s_or_b32 exec_lo, exec_lo, s23
	v_cmp_lt_u32_e64 s28, v55, v138
	s_and_saveexec_b32 s23, s28
	s_cbranch_execnz .LBB325_1192
.LBB325_1120:                           ;   in Loop: Header=BB325_1040 Depth=2
	s_or_b32 exec_lo, exec_lo, s23
	v_cmp_lt_u32_e64 s27, v56, v138
	s_and_saveexec_b32 s23, s27
	s_cbranch_execnz .LBB325_1193
.LBB325_1121:                           ;   in Loop: Header=BB325_1040 Depth=2
	s_or_b32 exec_lo, exec_lo, s23
	v_cmp_lt_u32_e64 s26, v57, v138
	s_and_saveexec_b32 s23, s26
	s_cbranch_execnz .LBB325_1194
.LBB325_1122:                           ;   in Loop: Header=BB325_1040 Depth=2
	s_or_b32 exec_lo, exec_lo, s23
	v_cmp_lt_u32_e64 s25, v58, v138
	s_and_saveexec_b32 s23, s25
	s_cbranch_execnz .LBB325_1195
.LBB325_1123:                           ;   in Loop: Header=BB325_1040 Depth=2
	s_or_b32 exec_lo, exec_lo, s23
	v_cmp_lt_u32_e64 s24, v59, v138
	s_and_saveexec_b32 s23, s24
	s_cbranch_execnz .LBB325_1196
.LBB325_1124:                           ;   in Loop: Header=BB325_1040 Depth=2
	s_or_b32 exec_lo, exec_lo, s23
	v_cmp_lt_u32_e64 s23, v60, v138
	s_and_saveexec_b32 s40, s23
	s_cbranch_execnz .LBB325_1197
.LBB325_1125:                           ;   in Loop: Header=BB325_1040 Depth=2
	s_or_b32 exec_lo, exec_lo, s40
	v_cmp_lt_u32_e32 vcc_lo, v61, v138
	s_and_saveexec_b32 s40, vcc_lo
	s_cbranch_execz .LBB325_1127
.LBB325_1126:                           ;   in Loop: Header=BB325_1040 Depth=2
	ds_read_u8 v39, v0 offset:4608
	s_waitcnt lgkmcnt(0)
	v_lshrrev_b32_sdwa v40, s41, v39 dst_sel:DWORD dst_unused:UNUSED_PAD src0_sel:DWORD src1_sel:BYTE_0
	v_xor_b32_e32 v39, 0x7f, v39
	v_and_b32_e32 v40, s62, v40
	v_lshlrev_b32_e32 v40, 2, v40
	ds_read_b32 v40, v40
	s_waitcnt lgkmcnt(0)
	v_add_nc_u32_e32 v40, v40, v61
	global_store_byte v40, v39, s[48:49]
.LBB325_1127:                           ;   in Loop: Header=BB325_1040 Depth=2
	s_or_b32 exec_lo, exec_lo, s40
	s_lshl_b64 s[66:67], s[50:51], 3
	v_add_co_u32 v39, s40, v98, s66
	v_add_co_ci_u32_e64 v40, null, s67, v99, s40
	v_cmp_lt_u32_e64 s40, v95, v138
	s_and_saveexec_b32 s50, s40
	s_xor_b32 s40, exec_lo, s50
	s_cbranch_execnz .LBB325_1198
; %bb.1128:                             ;   in Loop: Header=BB325_1040 Depth=2
	s_or_b32 exec_lo, exec_lo, s40
	s_mov_b32 s50, exec_lo
	v_cmpx_lt_u32_e64 v100, v138
	s_cbranch_execnz .LBB325_1199
.LBB325_1129:                           ;   in Loop: Header=BB325_1040 Depth=2
	s_or_b32 exec_lo, exec_lo, s50
	s_mov_b32 s50, exec_lo
	v_cmpx_lt_u32_e64 v101, v138
	s_cbranch_execnz .LBB325_1200
.LBB325_1130:                           ;   in Loop: Header=BB325_1040 Depth=2
	s_or_b32 exec_lo, exec_lo, s50
	s_mov_b32 s50, exec_lo
	v_cmpx_lt_u32_e64 v102, v138
	s_cbranch_execnz .LBB325_1201
.LBB325_1131:                           ;   in Loop: Header=BB325_1040 Depth=2
	s_or_b32 exec_lo, exec_lo, s50
	s_mov_b32 s50, exec_lo
	v_cmpx_lt_u32_e64 v103, v138
	s_cbranch_execnz .LBB325_1202
.LBB325_1132:                           ;   in Loop: Header=BB325_1040 Depth=2
	s_or_b32 exec_lo, exec_lo, s50
	s_mov_b32 s50, exec_lo
	v_cmpx_lt_u32_e64 v104, v138
	s_cbranch_execnz .LBB325_1203
.LBB325_1133:                           ;   in Loop: Header=BB325_1040 Depth=2
	s_or_b32 exec_lo, exec_lo, s50
	s_mov_b32 s50, exec_lo
	v_cmpx_lt_u32_e64 v105, v138
	s_cbranch_execnz .LBB325_1204
.LBB325_1134:                           ;   in Loop: Header=BB325_1040 Depth=2
	s_or_b32 exec_lo, exec_lo, s50
	s_mov_b32 s50, exec_lo
	v_cmpx_lt_u32_e64 v106, v138
	s_cbranch_execnz .LBB325_1205
.LBB325_1135:                           ;   in Loop: Header=BB325_1040 Depth=2
	s_or_b32 exec_lo, exec_lo, s50
	s_mov_b32 s50, exec_lo
	v_cmpx_lt_u32_e64 v107, v138
	s_cbranch_execnz .LBB325_1206
.LBB325_1136:                           ;   in Loop: Header=BB325_1040 Depth=2
	s_or_b32 exec_lo, exec_lo, s50
	s_mov_b32 s50, exec_lo
	v_cmpx_lt_u32_e64 v108, v138
	s_cbranch_execnz .LBB325_1207
.LBB325_1137:                           ;   in Loop: Header=BB325_1040 Depth=2
	s_or_b32 exec_lo, exec_lo, s50
	s_mov_b32 s50, exec_lo
	v_cmpx_lt_u32_e64 v109, v138
	s_cbranch_execnz .LBB325_1208
.LBB325_1138:                           ;   in Loop: Header=BB325_1040 Depth=2
	s_or_b32 exec_lo, exec_lo, s50
	s_mov_b32 s50, exec_lo
	v_cmpx_lt_u32_e64 v110, v138
	s_cbranch_execnz .LBB325_1209
.LBB325_1139:                           ;   in Loop: Header=BB325_1040 Depth=2
	s_or_b32 exec_lo, exec_lo, s50
	s_mov_b32 s50, exec_lo
	v_cmpx_lt_u32_e64 v111, v138
	s_cbranch_execnz .LBB325_1210
.LBB325_1140:                           ;   in Loop: Header=BB325_1040 Depth=2
	s_or_b32 exec_lo, exec_lo, s50
	s_mov_b32 s50, exec_lo
	v_cmpx_lt_u32_e64 v112, v138
	s_cbranch_execnz .LBB325_1211
.LBB325_1141:                           ;   in Loop: Header=BB325_1040 Depth=2
	s_or_b32 exec_lo, exec_lo, s50
	s_mov_b32 s50, exec_lo
	v_cmpx_lt_u32_e64 v113, v138
	s_cbranch_execnz .LBB325_1212
.LBB325_1142:                           ;   in Loop: Header=BB325_1040 Depth=2
	s_or_b32 exec_lo, exec_lo, s50
	s_mov_b32 s50, exec_lo
	v_cmpx_lt_u32_e64 v114, v138
	s_cbranch_execnz .LBB325_1213
.LBB325_1143:                           ;   in Loop: Header=BB325_1040 Depth=2
	s_or_b32 exec_lo, exec_lo, s50
	s_mov_b32 s50, exec_lo
	v_cmpx_lt_u32_e64 v115, v138
	s_cbranch_execnz .LBB325_1214
.LBB325_1144:                           ;   in Loop: Header=BB325_1040 Depth=2
	s_or_b32 exec_lo, exec_lo, s50
	s_and_saveexec_b32 s40, s38
	s_cbranch_execnz .LBB325_1215
.LBB325_1145:                           ;   in Loop: Header=BB325_1040 Depth=2
	s_or_b32 exec_lo, exec_lo, s40
	s_and_saveexec_b32 s40, s39
	s_cbranch_execnz .LBB325_1216
.LBB325_1146:                           ;   in Loop: Header=BB325_1040 Depth=2
	s_or_b32 exec_lo, exec_lo, s40
	s_and_saveexec_b32 s40, s37
	s_cbranch_execnz .LBB325_1217
.LBB325_1147:                           ;   in Loop: Header=BB325_1040 Depth=2
	s_or_b32 exec_lo, exec_lo, s40
	s_and_saveexec_b32 s40, s36
	s_cbranch_execnz .LBB325_1218
.LBB325_1148:                           ;   in Loop: Header=BB325_1040 Depth=2
	s_or_b32 exec_lo, exec_lo, s40
	s_and_saveexec_b32 s40, s35
	s_cbranch_execnz .LBB325_1219
.LBB325_1149:                           ;   in Loop: Header=BB325_1040 Depth=2
	s_or_b32 exec_lo, exec_lo, s40
	s_and_saveexec_b32 s40, s34
	s_cbranch_execnz .LBB325_1220
.LBB325_1150:                           ;   in Loop: Header=BB325_1040 Depth=2
	s_or_b32 exec_lo, exec_lo, s40
	s_and_saveexec_b32 s40, s33
	s_cbranch_execnz .LBB325_1221
.LBB325_1151:                           ;   in Loop: Header=BB325_1040 Depth=2
	s_or_b32 exec_lo, exec_lo, s40
	s_and_saveexec_b32 s40, s31
	s_cbranch_execnz .LBB325_1222
.LBB325_1152:                           ;   in Loop: Header=BB325_1040 Depth=2
	s_or_b32 exec_lo, exec_lo, s40
	s_and_saveexec_b32 s40, s30
	s_cbranch_execnz .LBB325_1223
.LBB325_1153:                           ;   in Loop: Header=BB325_1040 Depth=2
	s_or_b32 exec_lo, exec_lo, s40
	s_and_saveexec_b32 s40, s29
	s_cbranch_execnz .LBB325_1224
.LBB325_1154:                           ;   in Loop: Header=BB325_1040 Depth=2
	s_or_b32 exec_lo, exec_lo, s40
	s_and_saveexec_b32 s40, s28
	s_cbranch_execnz .LBB325_1225
.LBB325_1155:                           ;   in Loop: Header=BB325_1040 Depth=2
	s_or_b32 exec_lo, exec_lo, s40
	s_and_saveexec_b32 s40, s27
	s_cbranch_execnz .LBB325_1226
.LBB325_1156:                           ;   in Loop: Header=BB325_1040 Depth=2
	s_or_b32 exec_lo, exec_lo, s40
	s_and_saveexec_b32 s40, s26
	s_cbranch_execnz .LBB325_1227
.LBB325_1157:                           ;   in Loop: Header=BB325_1040 Depth=2
	s_or_b32 exec_lo, exec_lo, s40
	s_and_saveexec_b32 s40, s25
	s_cbranch_execnz .LBB325_1228
.LBB325_1158:                           ;   in Loop: Header=BB325_1040 Depth=2
	s_or_b32 exec_lo, exec_lo, s40
	s_and_saveexec_b32 s40, s24
	s_cbranch_execnz .LBB325_1229
.LBB325_1159:                           ;   in Loop: Header=BB325_1040 Depth=2
	s_or_b32 exec_lo, exec_lo, s40
	s_and_saveexec_b32 s40, s23
	s_cbranch_execnz .LBB325_1230
.LBB325_1160:                           ;   in Loop: Header=BB325_1040 Depth=2
	s_or_b32 exec_lo, exec_lo, s40
	s_and_saveexec_b32 s40, vcc_lo
	s_cbranch_execz .LBB325_1162
.LBB325_1161:                           ;   in Loop: Header=BB325_1040 Depth=2
	ds_read_u8 v39, v0 offset:4608
	s_waitcnt lgkmcnt(0)
	v_lshrrev_b32_e32 v39, s41, v39
	v_and_b32_e32 v118, s62, v39
.LBB325_1162:                           ;   in Loop: Header=BB325_1040 Depth=2
	s_or_b32 exec_lo, exec_lo, s40
	v_lshlrev_b32_e32 v39, 3, v157
	s_waitcnt vmcnt(0)
	s_waitcnt_vscnt null, 0x0
	v_lshlrev_b32_e32 v40, 3, v153
	s_barrier
	buffer_gl0_inv
	ds_write_b64 v39, v[37:38] offset:512
	v_lshlrev_b32_e32 v39, 3, v152
	ds_write_b64 v40, v[35:36] offset:512
	v_lshlrev_b32_e32 v40, 3, v151
	v_lshlrev_b32_e32 v138, 3, v150
	;; [unrolled: 1-line block ×3, first 2 shown]
	ds_write_b64 v39, v[33:34] offset:512
	v_lshlrev_b32_e32 v39, 3, v148
	ds_write_b64 v40, v[31:32] offset:512
	ds_write_b64 v138, v[29:30] offset:512
	;; [unrolled: 1-line block ×3, first 2 shown]
	v_lshlrev_b32_e32 v40, 3, v146
	v_lshlrev_b32_e32 v138, 3, v144
	v_lshlrev_b32_e32 v139, 3, v142
	ds_write_b64 v39, v[21:22] offset:512
	v_lshlrev_b32_e32 v39, 3, v145
	ds_write_b64 v40, v[17:18] offset:512
	v_lshlrev_b32_e32 v40, 3, v141
	ds_write_b64 v39, v[27:28] offset:512
	ds_write_b64 v138, v[23:24] offset:512
	;; [unrolled: 1-line block ×3, first 2 shown]
	v_lshlrev_b32_e32 v39, 3, v140
	ds_write_b64 v40, v[15:16] offset:512
	v_lshlrev_b32_e32 v40, 3, v137
	v_lshlrev_b32_e32 v3, 3, v3
	;; [unrolled: 1-line block ×3, first 2 shown]
	ds_write_b64 v39, v[13:14] offset:512
	v_add_nc_u32_e32 v39, v0, v75
	v_lshlrev_b32_e32 v41, 3, v41
	ds_write_b64 v40, v[11:12] offset:512
	ds_write_b64 v42, v[9:10] offset:512
	;; [unrolled: 1-line block ×4, first 2 shown]
	s_waitcnt lgkmcnt(0)
	s_barrier
	buffer_gl0_inv
	s_and_saveexec_b32 s40, s38
	s_cbranch_execnz .LBB325_1231
; %bb.1163:                             ;   in Loop: Header=BB325_1040 Depth=2
	s_or_b32 exec_lo, exec_lo, s40
	s_and_saveexec_b32 s40, s39
	s_cbranch_execnz .LBB325_1232
.LBB325_1164:                           ;   in Loop: Header=BB325_1040 Depth=2
	s_or_b32 exec_lo, exec_lo, s40
	s_and_saveexec_b32 s38, s37
	s_cbranch_execnz .LBB325_1233
.LBB325_1165:                           ;   in Loop: Header=BB325_1040 Depth=2
	s_or_b32 exec_lo, exec_lo, s38
	s_and_saveexec_b32 s37, s36
	s_cbranch_execnz .LBB325_1234
.LBB325_1166:                           ;   in Loop: Header=BB325_1040 Depth=2
	s_or_b32 exec_lo, exec_lo, s37
	s_and_saveexec_b32 s36, s35
	s_cbranch_execnz .LBB325_1235
.LBB325_1167:                           ;   in Loop: Header=BB325_1040 Depth=2
	s_or_b32 exec_lo, exec_lo, s36
	s_and_saveexec_b32 s35, s34
	s_cbranch_execnz .LBB325_1236
.LBB325_1168:                           ;   in Loop: Header=BB325_1040 Depth=2
	s_or_b32 exec_lo, exec_lo, s35
	s_and_saveexec_b32 s34, s33
	s_cbranch_execnz .LBB325_1237
.LBB325_1169:                           ;   in Loop: Header=BB325_1040 Depth=2
	s_or_b32 exec_lo, exec_lo, s34
	s_and_saveexec_b32 s33, s31
	s_cbranch_execnz .LBB325_1238
.LBB325_1170:                           ;   in Loop: Header=BB325_1040 Depth=2
	s_or_b32 exec_lo, exec_lo, s33
	s_and_saveexec_b32 s31, s30
	s_cbranch_execnz .LBB325_1239
.LBB325_1171:                           ;   in Loop: Header=BB325_1040 Depth=2
	s_or_b32 exec_lo, exec_lo, s31
	s_and_saveexec_b32 s30, s29
	s_cbranch_execnz .LBB325_1240
.LBB325_1172:                           ;   in Loop: Header=BB325_1040 Depth=2
	s_or_b32 exec_lo, exec_lo, s30
	s_and_saveexec_b32 s29, s28
	s_cbranch_execnz .LBB325_1241
.LBB325_1173:                           ;   in Loop: Header=BB325_1040 Depth=2
	s_or_b32 exec_lo, exec_lo, s29
	s_and_saveexec_b32 s28, s27
	s_cbranch_execnz .LBB325_1242
.LBB325_1174:                           ;   in Loop: Header=BB325_1040 Depth=2
	s_or_b32 exec_lo, exec_lo, s28
	s_and_saveexec_b32 s27, s26
	s_cbranch_execnz .LBB325_1243
.LBB325_1175:                           ;   in Loop: Header=BB325_1040 Depth=2
	s_or_b32 exec_lo, exec_lo, s27
	s_and_saveexec_b32 s26, s25
	s_cbranch_execnz .LBB325_1244
.LBB325_1176:                           ;   in Loop: Header=BB325_1040 Depth=2
	s_or_b32 exec_lo, exec_lo, s26
	s_and_saveexec_b32 s25, s24
	s_cbranch_execnz .LBB325_1245
.LBB325_1177:                           ;   in Loop: Header=BB325_1040 Depth=2
	s_or_b32 exec_lo, exec_lo, s25
	s_and_saveexec_b32 s24, s23
	s_cbranch_execnz .LBB325_1246
.LBB325_1178:                           ;   in Loop: Header=BB325_1040 Depth=2
	s_or_b32 exec_lo, exec_lo, s24
	s_and_saveexec_b32 s23, vcc_lo
	s_cbranch_execz .LBB325_1180
.LBB325_1179:                           ;   in Loop: Header=BB325_1040 Depth=2
	v_lshlrev_b32_e32 v3, 2, v118
	ds_read_b32 v3, v3
	ds_read_b64 v[39:40], v39 offset:33280
	s_waitcnt lgkmcnt(1)
	v_add_nc_u32_e32 v3, v3, v61
	v_lshlrev_b64 v[41:42], 3, v[3:4]
	v_add_co_u32 v41, vcc_lo, s54, v41
	v_add_co_ci_u32_e64 v42, null, s55, v42, vcc_lo
	s_waitcnt lgkmcnt(0)
	global_store_dwordx2 v[41:42], v[39:40], off
.LBB325_1180:                           ;   in Loop: Header=BB325_1040 Depth=2
	s_or_b32 exec_lo, exec_lo, s23
	s_waitcnt_vscnt null, 0x0
	s_barrier
	buffer_gl0_inv
	s_and_saveexec_b32 s23, s8
	s_cbranch_execz .LBB325_1039
; %bb.1181:                             ;   in Loop: Header=BB325_1040 Depth=2
	ds_read_b32 v3, v43
	s_waitcnt lgkmcnt(0)
	v_add3_u32 v3, v135, v136, v3
	ds_write_b32 v43, v3
	s_branch .LBB325_1039
.LBB325_1182:                           ;   in Loop: Header=BB325_1040 Depth=2
	ds_read_u8 v39, v0 offset:512
	s_waitcnt lgkmcnt(0)
	v_lshrrev_b32_sdwa v40, s41, v39 dst_sel:DWORD dst_unused:UNUSED_PAD src0_sel:DWORD src1_sel:BYTE_0
	v_xor_b32_e32 v39, 0x7f, v39
	v_and_b32_e32 v40, s62, v40
	v_lshlrev_b32_e32 v40, 2, v40
	ds_read_b32 v40, v40
	s_waitcnt lgkmcnt(0)
	v_add_nc_u32_e32 v40, v40, v0
	global_store_byte v40, v39, s[48:49]
	s_or_b32 exec_lo, exec_lo, s23
	v_cmp_lt_u32_e64 s39, v44, v138
	s_and_saveexec_b32 s23, s39
	s_cbranch_execz .LBB325_1111
.LBB325_1183:                           ;   in Loop: Header=BB325_1040 Depth=2
	ds_read_u8 v39, v0 offset:768
	s_waitcnt lgkmcnt(0)
	v_lshrrev_b32_sdwa v40, s41, v39 dst_sel:DWORD dst_unused:UNUSED_PAD src0_sel:DWORD src1_sel:BYTE_0
	v_xor_b32_e32 v39, 0x7f, v39
	v_and_b32_e32 v40, s62, v40
	v_lshlrev_b32_e32 v40, 2, v40
	ds_read_b32 v40, v40
	s_waitcnt lgkmcnt(0)
	v_add_nc_u32_e32 v40, v40, v44
	global_store_byte v40, v39, s[48:49]
	s_or_b32 exec_lo, exec_lo, s23
	v_cmp_lt_u32_e64 s37, v47, v138
	s_and_saveexec_b32 s23, s37
	s_cbranch_execz .LBB325_1112
.LBB325_1184:                           ;   in Loop: Header=BB325_1040 Depth=2
	ds_read_u8 v39, v0 offset:1024
	s_waitcnt lgkmcnt(0)
	v_lshrrev_b32_sdwa v40, s41, v39 dst_sel:DWORD dst_unused:UNUSED_PAD src0_sel:DWORD src1_sel:BYTE_0
	v_xor_b32_e32 v39, 0x7f, v39
	v_and_b32_e32 v40, s62, v40
	v_lshlrev_b32_e32 v40, 2, v40
	ds_read_b32 v40, v40
	s_waitcnt lgkmcnt(0)
	v_add_nc_u32_e32 v40, v40, v47
	global_store_byte v40, v39, s[48:49]
	s_or_b32 exec_lo, exec_lo, s23
	v_cmp_lt_u32_e64 s36, v48, v138
	s_and_saveexec_b32 s23, s36
	s_cbranch_execz .LBB325_1113
.LBB325_1185:                           ;   in Loop: Header=BB325_1040 Depth=2
	ds_read_u8 v39, v0 offset:1280
	s_waitcnt lgkmcnt(0)
	v_lshrrev_b32_sdwa v40, s41, v39 dst_sel:DWORD dst_unused:UNUSED_PAD src0_sel:DWORD src1_sel:BYTE_0
	v_xor_b32_e32 v39, 0x7f, v39
	v_and_b32_e32 v40, s62, v40
	v_lshlrev_b32_e32 v40, 2, v40
	ds_read_b32 v40, v40
	s_waitcnt lgkmcnt(0)
	v_add_nc_u32_e32 v40, v40, v48
	global_store_byte v40, v39, s[48:49]
	s_or_b32 exec_lo, exec_lo, s23
	v_cmp_lt_u32_e64 s35, v49, v138
	s_and_saveexec_b32 s23, s35
	s_cbranch_execz .LBB325_1114
.LBB325_1186:                           ;   in Loop: Header=BB325_1040 Depth=2
	ds_read_u8 v39, v0 offset:1536
	s_waitcnt lgkmcnt(0)
	v_lshrrev_b32_sdwa v40, s41, v39 dst_sel:DWORD dst_unused:UNUSED_PAD src0_sel:DWORD src1_sel:BYTE_0
	v_xor_b32_e32 v39, 0x7f, v39
	v_and_b32_e32 v40, s62, v40
	v_lshlrev_b32_e32 v40, 2, v40
	ds_read_b32 v40, v40
	s_waitcnt lgkmcnt(0)
	v_add_nc_u32_e32 v40, v40, v49
	global_store_byte v40, v39, s[48:49]
	s_or_b32 exec_lo, exec_lo, s23
	v_cmp_lt_u32_e64 s34, v50, v138
	s_and_saveexec_b32 s23, s34
	s_cbranch_execz .LBB325_1115
.LBB325_1187:                           ;   in Loop: Header=BB325_1040 Depth=2
	ds_read_u8 v39, v0 offset:1792
	s_waitcnt lgkmcnt(0)
	v_lshrrev_b32_sdwa v40, s41, v39 dst_sel:DWORD dst_unused:UNUSED_PAD src0_sel:DWORD src1_sel:BYTE_0
	v_xor_b32_e32 v39, 0x7f, v39
	v_and_b32_e32 v40, s62, v40
	v_lshlrev_b32_e32 v40, 2, v40
	ds_read_b32 v40, v40
	s_waitcnt lgkmcnt(0)
	v_add_nc_u32_e32 v40, v40, v50
	global_store_byte v40, v39, s[48:49]
	s_or_b32 exec_lo, exec_lo, s23
	v_cmp_lt_u32_e64 s33, v51, v138
	s_and_saveexec_b32 s23, s33
	s_cbranch_execz .LBB325_1116
.LBB325_1188:                           ;   in Loop: Header=BB325_1040 Depth=2
	ds_read_u8 v39, v0 offset:2048
	s_waitcnt lgkmcnt(0)
	v_lshrrev_b32_sdwa v40, s41, v39 dst_sel:DWORD dst_unused:UNUSED_PAD src0_sel:DWORD src1_sel:BYTE_0
	v_xor_b32_e32 v39, 0x7f, v39
	v_and_b32_e32 v40, s62, v40
	v_lshlrev_b32_e32 v40, 2, v40
	ds_read_b32 v40, v40
	s_waitcnt lgkmcnt(0)
	v_add_nc_u32_e32 v40, v40, v51
	global_store_byte v40, v39, s[48:49]
	s_or_b32 exec_lo, exec_lo, s23
	v_cmp_lt_u32_e64 s31, v52, v138
	s_and_saveexec_b32 s23, s31
	s_cbranch_execz .LBB325_1117
.LBB325_1189:                           ;   in Loop: Header=BB325_1040 Depth=2
	ds_read_u8 v39, v0 offset:2304
	s_waitcnt lgkmcnt(0)
	v_lshrrev_b32_sdwa v40, s41, v39 dst_sel:DWORD dst_unused:UNUSED_PAD src0_sel:DWORD src1_sel:BYTE_0
	v_xor_b32_e32 v39, 0x7f, v39
	v_and_b32_e32 v40, s62, v40
	v_lshlrev_b32_e32 v40, 2, v40
	ds_read_b32 v40, v40
	s_waitcnt lgkmcnt(0)
	v_add_nc_u32_e32 v40, v40, v52
	global_store_byte v40, v39, s[48:49]
	s_or_b32 exec_lo, exec_lo, s23
	v_cmp_lt_u32_e64 s30, v53, v138
	s_and_saveexec_b32 s23, s30
	s_cbranch_execz .LBB325_1118
.LBB325_1190:                           ;   in Loop: Header=BB325_1040 Depth=2
	ds_read_u8 v39, v0 offset:2560
	s_waitcnt lgkmcnt(0)
	v_lshrrev_b32_sdwa v40, s41, v39 dst_sel:DWORD dst_unused:UNUSED_PAD src0_sel:DWORD src1_sel:BYTE_0
	v_xor_b32_e32 v39, 0x7f, v39
	v_and_b32_e32 v40, s62, v40
	v_lshlrev_b32_e32 v40, 2, v40
	ds_read_b32 v40, v40
	s_waitcnt lgkmcnt(0)
	v_add_nc_u32_e32 v40, v40, v53
	global_store_byte v40, v39, s[48:49]
	s_or_b32 exec_lo, exec_lo, s23
	v_cmp_lt_u32_e64 s29, v54, v138
	s_and_saveexec_b32 s23, s29
	s_cbranch_execz .LBB325_1119
.LBB325_1191:                           ;   in Loop: Header=BB325_1040 Depth=2
	ds_read_u8 v39, v0 offset:2816
	s_waitcnt lgkmcnt(0)
	v_lshrrev_b32_sdwa v40, s41, v39 dst_sel:DWORD dst_unused:UNUSED_PAD src0_sel:DWORD src1_sel:BYTE_0
	v_xor_b32_e32 v39, 0x7f, v39
	v_and_b32_e32 v40, s62, v40
	v_lshlrev_b32_e32 v40, 2, v40
	ds_read_b32 v40, v40
	s_waitcnt lgkmcnt(0)
	v_add_nc_u32_e32 v40, v40, v54
	global_store_byte v40, v39, s[48:49]
	s_or_b32 exec_lo, exec_lo, s23
	v_cmp_lt_u32_e64 s28, v55, v138
	s_and_saveexec_b32 s23, s28
	s_cbranch_execz .LBB325_1120
.LBB325_1192:                           ;   in Loop: Header=BB325_1040 Depth=2
	ds_read_u8 v39, v0 offset:3072
	s_waitcnt lgkmcnt(0)
	v_lshrrev_b32_sdwa v40, s41, v39 dst_sel:DWORD dst_unused:UNUSED_PAD src0_sel:DWORD src1_sel:BYTE_0
	v_xor_b32_e32 v39, 0x7f, v39
	v_and_b32_e32 v40, s62, v40
	v_lshlrev_b32_e32 v40, 2, v40
	ds_read_b32 v40, v40
	s_waitcnt lgkmcnt(0)
	v_add_nc_u32_e32 v40, v40, v55
	global_store_byte v40, v39, s[48:49]
	s_or_b32 exec_lo, exec_lo, s23
	v_cmp_lt_u32_e64 s27, v56, v138
	s_and_saveexec_b32 s23, s27
	s_cbranch_execz .LBB325_1121
.LBB325_1193:                           ;   in Loop: Header=BB325_1040 Depth=2
	ds_read_u8 v39, v0 offset:3328
	s_waitcnt lgkmcnt(0)
	v_lshrrev_b32_sdwa v40, s41, v39 dst_sel:DWORD dst_unused:UNUSED_PAD src0_sel:DWORD src1_sel:BYTE_0
	v_xor_b32_e32 v39, 0x7f, v39
	v_and_b32_e32 v40, s62, v40
	v_lshlrev_b32_e32 v40, 2, v40
	ds_read_b32 v40, v40
	s_waitcnt lgkmcnt(0)
	v_add_nc_u32_e32 v40, v40, v56
	global_store_byte v40, v39, s[48:49]
	s_or_b32 exec_lo, exec_lo, s23
	v_cmp_lt_u32_e64 s26, v57, v138
	s_and_saveexec_b32 s23, s26
	s_cbranch_execz .LBB325_1122
.LBB325_1194:                           ;   in Loop: Header=BB325_1040 Depth=2
	ds_read_u8 v39, v0 offset:3584
	s_waitcnt lgkmcnt(0)
	v_lshrrev_b32_sdwa v40, s41, v39 dst_sel:DWORD dst_unused:UNUSED_PAD src0_sel:DWORD src1_sel:BYTE_0
	v_xor_b32_e32 v39, 0x7f, v39
	v_and_b32_e32 v40, s62, v40
	v_lshlrev_b32_e32 v40, 2, v40
	ds_read_b32 v40, v40
	s_waitcnt lgkmcnt(0)
	v_add_nc_u32_e32 v40, v40, v57
	global_store_byte v40, v39, s[48:49]
	s_or_b32 exec_lo, exec_lo, s23
	v_cmp_lt_u32_e64 s25, v58, v138
	s_and_saveexec_b32 s23, s25
	s_cbranch_execz .LBB325_1123
.LBB325_1195:                           ;   in Loop: Header=BB325_1040 Depth=2
	ds_read_u8 v39, v0 offset:3840
	s_waitcnt lgkmcnt(0)
	v_lshrrev_b32_sdwa v40, s41, v39 dst_sel:DWORD dst_unused:UNUSED_PAD src0_sel:DWORD src1_sel:BYTE_0
	v_xor_b32_e32 v39, 0x7f, v39
	v_and_b32_e32 v40, s62, v40
	v_lshlrev_b32_e32 v40, 2, v40
	ds_read_b32 v40, v40
	s_waitcnt lgkmcnt(0)
	v_add_nc_u32_e32 v40, v40, v58
	global_store_byte v40, v39, s[48:49]
	s_or_b32 exec_lo, exec_lo, s23
	v_cmp_lt_u32_e64 s24, v59, v138
	s_and_saveexec_b32 s23, s24
	s_cbranch_execz .LBB325_1124
.LBB325_1196:                           ;   in Loop: Header=BB325_1040 Depth=2
	ds_read_u8 v39, v0 offset:4096
	s_waitcnt lgkmcnt(0)
	v_lshrrev_b32_sdwa v40, s41, v39 dst_sel:DWORD dst_unused:UNUSED_PAD src0_sel:DWORD src1_sel:BYTE_0
	v_xor_b32_e32 v39, 0x7f, v39
	v_and_b32_e32 v40, s62, v40
	v_lshlrev_b32_e32 v40, 2, v40
	ds_read_b32 v40, v40
	s_waitcnt lgkmcnt(0)
	v_add_nc_u32_e32 v40, v40, v59
	global_store_byte v40, v39, s[48:49]
	s_or_b32 exec_lo, exec_lo, s23
	v_cmp_lt_u32_e64 s23, v60, v138
	s_and_saveexec_b32 s40, s23
	s_cbranch_execz .LBB325_1125
.LBB325_1197:                           ;   in Loop: Header=BB325_1040 Depth=2
	ds_read_u8 v39, v0 offset:4352
	s_waitcnt lgkmcnt(0)
	v_lshrrev_b32_sdwa v40, s41, v39 dst_sel:DWORD dst_unused:UNUSED_PAD src0_sel:DWORD src1_sel:BYTE_0
	v_xor_b32_e32 v39, 0x7f, v39
	v_and_b32_e32 v40, s62, v40
	v_lshlrev_b32_e32 v40, 2, v40
	ds_read_b32 v40, v40
	s_waitcnt lgkmcnt(0)
	v_add_nc_u32_e32 v40, v40, v60
	global_store_byte v40, v39, s[48:49]
	s_or_b32 exec_lo, exec_lo, s40
	v_cmp_lt_u32_e32 vcc_lo, v61, v138
	s_and_saveexec_b32 s40, vcc_lo
	s_cbranch_execnz .LBB325_1126
	s_branch .LBB325_1127
.LBB325_1198:                           ;   in Loop: Header=BB325_1040 Depth=2
	global_load_dwordx2 v[37:38], v[39:40], off
	s_or_b32 exec_lo, exec_lo, s40
	s_mov_b32 s50, exec_lo
	v_cmpx_lt_u32_e64 v100, v138
	s_cbranch_execz .LBB325_1129
.LBB325_1199:                           ;   in Loop: Header=BB325_1040 Depth=2
	global_load_dwordx2 v[35:36], v[39:40], off offset:256
	s_or_b32 exec_lo, exec_lo, s50
	s_mov_b32 s50, exec_lo
	v_cmpx_lt_u32_e64 v101, v138
	s_cbranch_execz .LBB325_1130
.LBB325_1200:                           ;   in Loop: Header=BB325_1040 Depth=2
	global_load_dwordx2 v[33:34], v[39:40], off offset:512
	s_or_b32 exec_lo, exec_lo, s50
	s_mov_b32 s50, exec_lo
	v_cmpx_lt_u32_e64 v102, v138
	s_cbranch_execz .LBB325_1131
.LBB325_1201:                           ;   in Loop: Header=BB325_1040 Depth=2
	global_load_dwordx2 v[31:32], v[39:40], off offset:768
	s_or_b32 exec_lo, exec_lo, s50
	s_mov_b32 s50, exec_lo
	v_cmpx_lt_u32_e64 v103, v138
	s_cbranch_execz .LBB325_1132
.LBB325_1202:                           ;   in Loop: Header=BB325_1040 Depth=2
	global_load_dwordx2 v[29:30], v[39:40], off offset:1024
	s_or_b32 exec_lo, exec_lo, s50
	s_mov_b32 s50, exec_lo
	v_cmpx_lt_u32_e64 v104, v138
	s_cbranch_execz .LBB325_1133
.LBB325_1203:                           ;   in Loop: Header=BB325_1040 Depth=2
	global_load_dwordx2 v[25:26], v[39:40], off offset:1280
	s_or_b32 exec_lo, exec_lo, s50
	s_mov_b32 s50, exec_lo
	v_cmpx_lt_u32_e64 v105, v138
	s_cbranch_execz .LBB325_1134
.LBB325_1204:                           ;   in Loop: Header=BB325_1040 Depth=2
	global_load_dwordx2 v[21:22], v[39:40], off offset:1536
	s_or_b32 exec_lo, exec_lo, s50
	s_mov_b32 s50, exec_lo
	v_cmpx_lt_u32_e64 v106, v138
	s_cbranch_execz .LBB325_1135
.LBB325_1205:                           ;   in Loop: Header=BB325_1040 Depth=2
	global_load_dwordx2 v[17:18], v[39:40], off offset:1792
	s_or_b32 exec_lo, exec_lo, s50
	s_mov_b32 s50, exec_lo
	v_cmpx_lt_u32_e64 v107, v138
	s_cbranch_execz .LBB325_1136
.LBB325_1206:                           ;   in Loop: Header=BB325_1040 Depth=2
	v_add_co_u32 v27, s40, 0x800, v39
	v_add_co_ci_u32_e64 v28, null, 0, v40, s40
	global_load_dwordx2 v[27:28], v[27:28], off
	s_or_b32 exec_lo, exec_lo, s50
	s_mov_b32 s50, exec_lo
	v_cmpx_lt_u32_e64 v108, v138
	s_cbranch_execz .LBB325_1137
.LBB325_1207:                           ;   in Loop: Header=BB325_1040 Depth=2
	v_add_co_u32 v23, s40, 0x800, v39
	v_add_co_ci_u32_e64 v24, null, 0, v40, s40
	global_load_dwordx2 v[23:24], v[23:24], off offset:256
	s_or_b32 exec_lo, exec_lo, s50
	s_mov_b32 s50, exec_lo
	v_cmpx_lt_u32_e64 v109, v138
	s_cbranch_execz .LBB325_1138
.LBB325_1208:                           ;   in Loop: Header=BB325_1040 Depth=2
	v_add_co_u32 v19, s40, 0x800, v39
	v_add_co_ci_u32_e64 v20, null, 0, v40, s40
	global_load_dwordx2 v[19:20], v[19:20], off offset:512
	s_or_b32 exec_lo, exec_lo, s50
	s_mov_b32 s50, exec_lo
	v_cmpx_lt_u32_e64 v110, v138
	s_cbranch_execz .LBB325_1139
.LBB325_1209:                           ;   in Loop: Header=BB325_1040 Depth=2
	v_add_co_u32 v15, s40, 0x800, v39
	v_add_co_ci_u32_e64 v16, null, 0, v40, s40
	global_load_dwordx2 v[15:16], v[15:16], off offset:768
	s_or_b32 exec_lo, exec_lo, s50
	s_mov_b32 s50, exec_lo
	v_cmpx_lt_u32_e64 v111, v138
	s_cbranch_execz .LBB325_1140
.LBB325_1210:                           ;   in Loop: Header=BB325_1040 Depth=2
	v_add_co_u32 v13, s40, 0x800, v39
	v_add_co_ci_u32_e64 v14, null, 0, v40, s40
	global_load_dwordx2 v[13:14], v[13:14], off offset:1024
	s_or_b32 exec_lo, exec_lo, s50
	s_mov_b32 s50, exec_lo
	v_cmpx_lt_u32_e64 v112, v138
	s_cbranch_execz .LBB325_1141
.LBB325_1211:                           ;   in Loop: Header=BB325_1040 Depth=2
	v_add_co_u32 v11, s40, 0x800, v39
	v_add_co_ci_u32_e64 v12, null, 0, v40, s40
	global_load_dwordx2 v[11:12], v[11:12], off offset:1280
	s_or_b32 exec_lo, exec_lo, s50
	s_mov_b32 s50, exec_lo
	v_cmpx_lt_u32_e64 v113, v138
	s_cbranch_execz .LBB325_1142
.LBB325_1212:                           ;   in Loop: Header=BB325_1040 Depth=2
	v_add_co_u32 v9, s40, 0x800, v39
	v_add_co_ci_u32_e64 v10, null, 0, v40, s40
	global_load_dwordx2 v[9:10], v[9:10], off offset:1536
	s_or_b32 exec_lo, exec_lo, s50
	s_mov_b32 s50, exec_lo
	v_cmpx_lt_u32_e64 v114, v138
	s_cbranch_execz .LBB325_1143
.LBB325_1213:                           ;   in Loop: Header=BB325_1040 Depth=2
	v_add_co_u32 v7, s40, 0x800, v39
	v_add_co_ci_u32_e64 v8, null, 0, v40, s40
	global_load_dwordx2 v[7:8], v[7:8], off offset:1792
	s_or_b32 exec_lo, exec_lo, s50
	s_mov_b32 s50, exec_lo
	v_cmpx_lt_u32_e64 v115, v138
	s_cbranch_execz .LBB325_1144
.LBB325_1214:                           ;   in Loop: Header=BB325_1040 Depth=2
	v_add_co_u32 v5, s40, 0x1000, v39
	v_add_co_ci_u32_e64 v6, null, 0, v40, s40
	global_load_dwordx2 v[5:6], v[5:6], off
	s_or_b32 exec_lo, exec_lo, s50
	s_and_saveexec_b32 s40, s38
	s_cbranch_execz .LBB325_1145
.LBB325_1215:                           ;   in Loop: Header=BB325_1040 Depth=2
	ds_read_u8 v39, v0 offset:512
	s_waitcnt lgkmcnt(0)
	v_lshrrev_b32_e32 v39, s41, v39
	v_and_b32_e32 v134, s62, v39
	s_or_b32 exec_lo, exec_lo, s40
	s_and_saveexec_b32 s40, s39
	s_cbranch_execz .LBB325_1146
.LBB325_1216:                           ;   in Loop: Header=BB325_1040 Depth=2
	ds_read_u8 v39, v0 offset:768
	s_waitcnt lgkmcnt(0)
	v_lshrrev_b32_e32 v39, s41, v39
	v_and_b32_e32 v133, s62, v39
	s_or_b32 exec_lo, exec_lo, s40
	s_and_saveexec_b32 s40, s37
	s_cbranch_execz .LBB325_1147
.LBB325_1217:                           ;   in Loop: Header=BB325_1040 Depth=2
	ds_read_u8 v39, v0 offset:1024
	s_waitcnt lgkmcnt(0)
	v_lshrrev_b32_e32 v39, s41, v39
	v_and_b32_e32 v132, s62, v39
	s_or_b32 exec_lo, exec_lo, s40
	s_and_saveexec_b32 s40, s36
	s_cbranch_execz .LBB325_1148
.LBB325_1218:                           ;   in Loop: Header=BB325_1040 Depth=2
	ds_read_u8 v39, v0 offset:1280
	s_waitcnt lgkmcnt(0)
	v_lshrrev_b32_e32 v39, s41, v39
	v_and_b32_e32 v131, s62, v39
	s_or_b32 exec_lo, exec_lo, s40
	s_and_saveexec_b32 s40, s35
	s_cbranch_execz .LBB325_1149
.LBB325_1219:                           ;   in Loop: Header=BB325_1040 Depth=2
	ds_read_u8 v39, v0 offset:1536
	s_waitcnt lgkmcnt(0)
	v_lshrrev_b32_e32 v39, s41, v39
	v_and_b32_e32 v130, s62, v39
	s_or_b32 exec_lo, exec_lo, s40
	s_and_saveexec_b32 s40, s34
	s_cbranch_execz .LBB325_1150
.LBB325_1220:                           ;   in Loop: Header=BB325_1040 Depth=2
	ds_read_u8 v39, v0 offset:1792
	s_waitcnt lgkmcnt(0)
	v_lshrrev_b32_e32 v39, s41, v39
	v_and_b32_e32 v129, s62, v39
	s_or_b32 exec_lo, exec_lo, s40
	s_and_saveexec_b32 s40, s33
	s_cbranch_execz .LBB325_1151
.LBB325_1221:                           ;   in Loop: Header=BB325_1040 Depth=2
	ds_read_u8 v39, v0 offset:2048
	s_waitcnt lgkmcnt(0)
	v_lshrrev_b32_e32 v39, s41, v39
	v_and_b32_e32 v128, s62, v39
	s_or_b32 exec_lo, exec_lo, s40
	s_and_saveexec_b32 s40, s31
	s_cbranch_execz .LBB325_1152
.LBB325_1222:                           ;   in Loop: Header=BB325_1040 Depth=2
	ds_read_u8 v39, v0 offset:2304
	s_waitcnt lgkmcnt(0)
	v_lshrrev_b32_e32 v39, s41, v39
	v_and_b32_e32 v127, s62, v39
	s_or_b32 exec_lo, exec_lo, s40
	s_and_saveexec_b32 s40, s30
	s_cbranch_execz .LBB325_1153
.LBB325_1223:                           ;   in Loop: Header=BB325_1040 Depth=2
	ds_read_u8 v39, v0 offset:2560
	s_waitcnt lgkmcnt(0)
	v_lshrrev_b32_e32 v39, s41, v39
	v_and_b32_e32 v126, s62, v39
	s_or_b32 exec_lo, exec_lo, s40
	s_and_saveexec_b32 s40, s29
	s_cbranch_execz .LBB325_1154
.LBB325_1224:                           ;   in Loop: Header=BB325_1040 Depth=2
	ds_read_u8 v39, v0 offset:2816
	s_waitcnt lgkmcnt(0)
	v_lshrrev_b32_e32 v39, s41, v39
	v_and_b32_e32 v125, s62, v39
	s_or_b32 exec_lo, exec_lo, s40
	s_and_saveexec_b32 s40, s28
	s_cbranch_execz .LBB325_1155
.LBB325_1225:                           ;   in Loop: Header=BB325_1040 Depth=2
	ds_read_u8 v39, v0 offset:3072
	s_waitcnt lgkmcnt(0)
	v_lshrrev_b32_e32 v39, s41, v39
	v_and_b32_e32 v124, s62, v39
	s_or_b32 exec_lo, exec_lo, s40
	s_and_saveexec_b32 s40, s27
	s_cbranch_execz .LBB325_1156
.LBB325_1226:                           ;   in Loop: Header=BB325_1040 Depth=2
	ds_read_u8 v39, v0 offset:3328
	s_waitcnt lgkmcnt(0)
	v_lshrrev_b32_e32 v39, s41, v39
	v_and_b32_e32 v123, s62, v39
	s_or_b32 exec_lo, exec_lo, s40
	s_and_saveexec_b32 s40, s26
	s_cbranch_execz .LBB325_1157
.LBB325_1227:                           ;   in Loop: Header=BB325_1040 Depth=2
	ds_read_u8 v39, v0 offset:3584
	s_waitcnt lgkmcnt(0)
	v_lshrrev_b32_e32 v39, s41, v39
	v_and_b32_e32 v122, s62, v39
	s_or_b32 exec_lo, exec_lo, s40
	s_and_saveexec_b32 s40, s25
	s_cbranch_execz .LBB325_1158
.LBB325_1228:                           ;   in Loop: Header=BB325_1040 Depth=2
	ds_read_u8 v39, v0 offset:3840
	s_waitcnt lgkmcnt(0)
	v_lshrrev_b32_e32 v39, s41, v39
	v_and_b32_e32 v121, s62, v39
	s_or_b32 exec_lo, exec_lo, s40
	s_and_saveexec_b32 s40, s24
	s_cbranch_execz .LBB325_1159
.LBB325_1229:                           ;   in Loop: Header=BB325_1040 Depth=2
	ds_read_u8 v39, v0 offset:4096
	s_waitcnt lgkmcnt(0)
	v_lshrrev_b32_e32 v39, s41, v39
	v_and_b32_e32 v120, s62, v39
	s_or_b32 exec_lo, exec_lo, s40
	s_and_saveexec_b32 s40, s23
	s_cbranch_execz .LBB325_1160
.LBB325_1230:                           ;   in Loop: Header=BB325_1040 Depth=2
	ds_read_u8 v39, v0 offset:4352
	s_waitcnt lgkmcnt(0)
	v_lshrrev_b32_e32 v39, s41, v39
	v_and_b32_e32 v119, s62, v39
	s_or_b32 exec_lo, exec_lo, s40
	s_and_saveexec_b32 s40, vcc_lo
	s_cbranch_execnz .LBB325_1161
	s_branch .LBB325_1162
.LBB325_1231:                           ;   in Loop: Header=BB325_1040 Depth=2
	v_lshlrev_b32_e32 v3, 2, v134
	ds_read_b32 v3, v3
	ds_read_b64 v[40:41], v39 offset:512
	s_waitcnt lgkmcnt(1)
	v_add_nc_u32_e32 v3, v3, v0
	v_lshlrev_b64 v[137:138], 3, v[3:4]
	v_add_co_u32 v137, s38, s54, v137
	v_add_co_ci_u32_e64 v138, null, s55, v138, s38
	s_waitcnt lgkmcnt(0)
	global_store_dwordx2 v[137:138], v[40:41], off
	s_or_b32 exec_lo, exec_lo, s40
	s_and_saveexec_b32 s40, s39
	s_cbranch_execz .LBB325_1164
.LBB325_1232:                           ;   in Loop: Header=BB325_1040 Depth=2
	v_lshlrev_b32_e32 v3, 2, v133
	ds_read_b32 v3, v3
	ds_read_b64 v[40:41], v39 offset:2560
	s_waitcnt lgkmcnt(1)
	v_add_nc_u32_e32 v3, v3, v44
	v_lshlrev_b64 v[137:138], 3, v[3:4]
	v_add_co_u32 v137, s38, s54, v137
	v_add_co_ci_u32_e64 v138, null, s55, v138, s38
	s_waitcnt lgkmcnt(0)
	global_store_dwordx2 v[137:138], v[40:41], off
	s_or_b32 exec_lo, exec_lo, s40
	s_and_saveexec_b32 s38, s37
	s_cbranch_execz .LBB325_1165
.LBB325_1233:                           ;   in Loop: Header=BB325_1040 Depth=2
	v_lshlrev_b32_e32 v3, 2, v132
	ds_read_b32 v3, v3
	ds_read_b64 v[40:41], v39 offset:4608
	s_waitcnt lgkmcnt(1)
	v_add_nc_u32_e32 v3, v3, v47
	v_lshlrev_b64 v[137:138], 3, v[3:4]
	v_add_co_u32 v137, s37, s54, v137
	v_add_co_ci_u32_e64 v138, null, s55, v138, s37
	s_waitcnt lgkmcnt(0)
	global_store_dwordx2 v[137:138], v[40:41], off
	s_or_b32 exec_lo, exec_lo, s38
	s_and_saveexec_b32 s37, s36
	s_cbranch_execz .LBB325_1166
.LBB325_1234:                           ;   in Loop: Header=BB325_1040 Depth=2
	v_lshlrev_b32_e32 v3, 2, v131
	ds_read_b32 v3, v3
	ds_read_b64 v[40:41], v39 offset:6656
	s_waitcnt lgkmcnt(1)
	v_add_nc_u32_e32 v3, v3, v48
	v_lshlrev_b64 v[137:138], 3, v[3:4]
	v_add_co_u32 v137, s36, s54, v137
	v_add_co_ci_u32_e64 v138, null, s55, v138, s36
	s_waitcnt lgkmcnt(0)
	global_store_dwordx2 v[137:138], v[40:41], off
	s_or_b32 exec_lo, exec_lo, s37
	s_and_saveexec_b32 s36, s35
	s_cbranch_execz .LBB325_1167
.LBB325_1235:                           ;   in Loop: Header=BB325_1040 Depth=2
	v_lshlrev_b32_e32 v3, 2, v130
	ds_read_b32 v3, v3
	ds_read_b64 v[40:41], v39 offset:8704
	s_waitcnt lgkmcnt(1)
	v_add_nc_u32_e32 v3, v3, v49
	v_lshlrev_b64 v[137:138], 3, v[3:4]
	v_add_co_u32 v137, s35, s54, v137
	v_add_co_ci_u32_e64 v138, null, s55, v138, s35
	s_waitcnt lgkmcnt(0)
	global_store_dwordx2 v[137:138], v[40:41], off
	s_or_b32 exec_lo, exec_lo, s36
	s_and_saveexec_b32 s35, s34
	s_cbranch_execz .LBB325_1168
.LBB325_1236:                           ;   in Loop: Header=BB325_1040 Depth=2
	v_lshlrev_b32_e32 v3, 2, v129
	ds_read_b32 v3, v3
	ds_read_b64 v[40:41], v39 offset:10752
	s_waitcnt lgkmcnt(1)
	v_add_nc_u32_e32 v3, v3, v50
	v_lshlrev_b64 v[137:138], 3, v[3:4]
	v_add_co_u32 v137, s34, s54, v137
	v_add_co_ci_u32_e64 v138, null, s55, v138, s34
	s_waitcnt lgkmcnt(0)
	global_store_dwordx2 v[137:138], v[40:41], off
	s_or_b32 exec_lo, exec_lo, s35
	s_and_saveexec_b32 s34, s33
	s_cbranch_execz .LBB325_1169
.LBB325_1237:                           ;   in Loop: Header=BB325_1040 Depth=2
	v_lshlrev_b32_e32 v3, 2, v128
	ds_read_b32 v3, v3
	ds_read_b64 v[40:41], v39 offset:12800
	s_waitcnt lgkmcnt(1)
	v_add_nc_u32_e32 v3, v3, v51
	v_lshlrev_b64 v[137:138], 3, v[3:4]
	v_add_co_u32 v137, s33, s54, v137
	v_add_co_ci_u32_e64 v138, null, s55, v138, s33
	s_waitcnt lgkmcnt(0)
	global_store_dwordx2 v[137:138], v[40:41], off
	s_or_b32 exec_lo, exec_lo, s34
	s_and_saveexec_b32 s33, s31
	s_cbranch_execz .LBB325_1170
.LBB325_1238:                           ;   in Loop: Header=BB325_1040 Depth=2
	v_lshlrev_b32_e32 v3, 2, v127
	ds_read_b32 v3, v3
	ds_read_b64 v[40:41], v39 offset:14848
	s_waitcnt lgkmcnt(1)
	v_add_nc_u32_e32 v3, v3, v52
	v_lshlrev_b64 v[137:138], 3, v[3:4]
	v_add_co_u32 v137, s31, s54, v137
	v_add_co_ci_u32_e64 v138, null, s55, v138, s31
	s_waitcnt lgkmcnt(0)
	global_store_dwordx2 v[137:138], v[40:41], off
	s_or_b32 exec_lo, exec_lo, s33
	s_and_saveexec_b32 s31, s30
	s_cbranch_execz .LBB325_1171
.LBB325_1239:                           ;   in Loop: Header=BB325_1040 Depth=2
	v_lshlrev_b32_e32 v3, 2, v126
	ds_read_b32 v3, v3
	ds_read_b64 v[40:41], v39 offset:16896
	s_waitcnt lgkmcnt(1)
	v_add_nc_u32_e32 v3, v3, v53
	v_lshlrev_b64 v[137:138], 3, v[3:4]
	v_add_co_u32 v137, s30, s54, v137
	v_add_co_ci_u32_e64 v138, null, s55, v138, s30
	s_waitcnt lgkmcnt(0)
	global_store_dwordx2 v[137:138], v[40:41], off
	s_or_b32 exec_lo, exec_lo, s31
	s_and_saveexec_b32 s30, s29
	s_cbranch_execz .LBB325_1172
.LBB325_1240:                           ;   in Loop: Header=BB325_1040 Depth=2
	v_lshlrev_b32_e32 v3, 2, v125
	ds_read_b32 v3, v3
	ds_read_b64 v[40:41], v39 offset:18944
	s_waitcnt lgkmcnt(1)
	v_add_nc_u32_e32 v3, v3, v54
	v_lshlrev_b64 v[137:138], 3, v[3:4]
	v_add_co_u32 v137, s29, s54, v137
	v_add_co_ci_u32_e64 v138, null, s55, v138, s29
	s_waitcnt lgkmcnt(0)
	global_store_dwordx2 v[137:138], v[40:41], off
	s_or_b32 exec_lo, exec_lo, s30
	s_and_saveexec_b32 s29, s28
	s_cbranch_execz .LBB325_1173
.LBB325_1241:                           ;   in Loop: Header=BB325_1040 Depth=2
	v_lshlrev_b32_e32 v3, 2, v124
	ds_read_b32 v3, v3
	ds_read_b64 v[40:41], v39 offset:20992
	s_waitcnt lgkmcnt(1)
	v_add_nc_u32_e32 v3, v3, v55
	v_lshlrev_b64 v[137:138], 3, v[3:4]
	v_add_co_u32 v137, s28, s54, v137
	v_add_co_ci_u32_e64 v138, null, s55, v138, s28
	s_waitcnt lgkmcnt(0)
	global_store_dwordx2 v[137:138], v[40:41], off
	s_or_b32 exec_lo, exec_lo, s29
	s_and_saveexec_b32 s28, s27
	s_cbranch_execz .LBB325_1174
.LBB325_1242:                           ;   in Loop: Header=BB325_1040 Depth=2
	v_lshlrev_b32_e32 v3, 2, v123
	ds_read_b32 v3, v3
	ds_read_b64 v[40:41], v39 offset:23040
	s_waitcnt lgkmcnt(1)
	v_add_nc_u32_e32 v3, v3, v56
	v_lshlrev_b64 v[137:138], 3, v[3:4]
	v_add_co_u32 v137, s27, s54, v137
	v_add_co_ci_u32_e64 v138, null, s55, v138, s27
	s_waitcnt lgkmcnt(0)
	global_store_dwordx2 v[137:138], v[40:41], off
	s_or_b32 exec_lo, exec_lo, s28
	s_and_saveexec_b32 s27, s26
	s_cbranch_execz .LBB325_1175
.LBB325_1243:                           ;   in Loop: Header=BB325_1040 Depth=2
	v_lshlrev_b32_e32 v3, 2, v122
	ds_read_b32 v3, v3
	ds_read_b64 v[40:41], v39 offset:25088
	s_waitcnt lgkmcnt(1)
	v_add_nc_u32_e32 v3, v3, v57
	v_lshlrev_b64 v[137:138], 3, v[3:4]
	v_add_co_u32 v137, s26, s54, v137
	v_add_co_ci_u32_e64 v138, null, s55, v138, s26
	s_waitcnt lgkmcnt(0)
	global_store_dwordx2 v[137:138], v[40:41], off
	s_or_b32 exec_lo, exec_lo, s27
	s_and_saveexec_b32 s26, s25
	s_cbranch_execz .LBB325_1176
.LBB325_1244:                           ;   in Loop: Header=BB325_1040 Depth=2
	v_lshlrev_b32_e32 v3, 2, v121
	ds_read_b32 v3, v3
	ds_read_b64 v[40:41], v39 offset:27136
	s_waitcnt lgkmcnt(1)
	v_add_nc_u32_e32 v3, v3, v58
	v_lshlrev_b64 v[137:138], 3, v[3:4]
	v_add_co_u32 v137, s25, s54, v137
	v_add_co_ci_u32_e64 v138, null, s55, v138, s25
	s_waitcnt lgkmcnt(0)
	global_store_dwordx2 v[137:138], v[40:41], off
	s_or_b32 exec_lo, exec_lo, s26
	s_and_saveexec_b32 s25, s24
	s_cbranch_execz .LBB325_1177
.LBB325_1245:                           ;   in Loop: Header=BB325_1040 Depth=2
	v_lshlrev_b32_e32 v3, 2, v120
	ds_read_b32 v3, v3
	ds_read_b64 v[40:41], v39 offset:29184
	s_waitcnt lgkmcnt(1)
	v_add_nc_u32_e32 v3, v3, v59
	v_lshlrev_b64 v[137:138], 3, v[3:4]
	v_add_co_u32 v137, s24, s54, v137
	v_add_co_ci_u32_e64 v138, null, s55, v138, s24
	s_waitcnt lgkmcnt(0)
	global_store_dwordx2 v[137:138], v[40:41], off
	s_or_b32 exec_lo, exec_lo, s25
	s_and_saveexec_b32 s24, s23
	s_cbranch_execz .LBB325_1178
.LBB325_1246:                           ;   in Loop: Header=BB325_1040 Depth=2
	v_lshlrev_b32_e32 v3, 2, v119
	ds_read_b32 v3, v3
	ds_read_b64 v[40:41], v39 offset:31232
	s_waitcnt lgkmcnt(1)
	v_add_nc_u32_e32 v3, v3, v60
	v_lshlrev_b64 v[137:138], 3, v[3:4]
	v_add_co_u32 v137, s23, s54, v137
	v_add_co_ci_u32_e64 v138, null, s55, v138, s23
	s_waitcnt lgkmcnt(0)
	global_store_dwordx2 v[137:138], v[40:41], off
	s_or_b32 exec_lo, exec_lo, s24
	s_and_saveexec_b32 s23, vcc_lo
	s_cbranch_execnz .LBB325_1179
	s_branch .LBB325_1180
.LBB325_1247:                           ;   in Loop: Header=BB325_1040 Depth=2
	global_load_ubyte v146, v[39:40], off
	v_mov_b32_e32 v117, 0x80
	v_mov_b32_e32 v147, 0x80
	;; [unrolled: 1-line block ×16, first 2 shown]
	s_or_b32 exec_lo, exec_lo, s23
	s_mov_b32 s23, exec_lo
	v_cmpx_gt_u32_e64 s63, v100
	s_cbranch_execz .LBB325_1045
.LBB325_1248:                           ;   in Loop: Header=BB325_1040 Depth=2
	global_load_ubyte v147, v[39:40], off offset:32
	s_or_b32 exec_lo, exec_lo, s23
	s_mov_b32 s23, exec_lo
	v_cmpx_gt_u32_e64 s63, v101
	s_cbranch_execz .LBB325_1046
.LBB325_1249:                           ;   in Loop: Header=BB325_1040 Depth=2
	global_load_ubyte v148, v[39:40], off offset:64
	s_or_b32 exec_lo, exec_lo, s23
	s_mov_b32 s23, exec_lo
	v_cmpx_gt_u32_e64 s63, v102
	s_cbranch_execz .LBB325_1047
.LBB325_1250:                           ;   in Loop: Header=BB325_1040 Depth=2
	global_load_ubyte v151, v[39:40], off offset:96
	s_or_b32 exec_lo, exec_lo, s23
	s_mov_b32 s23, exec_lo
	v_cmpx_gt_u32_e64 s63, v103
	s_cbranch_execz .LBB325_1048
.LBB325_1251:                           ;   in Loop: Header=BB325_1040 Depth=2
	global_load_ubyte v150, v[39:40], off offset:128
	s_or_b32 exec_lo, exec_lo, s23
	s_mov_b32 s23, exec_lo
	v_cmpx_gt_u32_e64 s63, v104
	s_cbranch_execz .LBB325_1049
.LBB325_1252:                           ;   in Loop: Header=BB325_1040 Depth=2
	global_load_ubyte v143, v[39:40], off offset:160
	s_or_b32 exec_lo, exec_lo, s23
	s_mov_b32 s23, exec_lo
	v_cmpx_gt_u32_e64 s63, v105
	s_cbranch_execz .LBB325_1050
.LBB325_1253:                           ;   in Loop: Header=BB325_1040 Depth=2
	global_load_ubyte v144, v[39:40], off offset:192
	s_or_b32 exec_lo, exec_lo, s23
	s_mov_b32 s23, exec_lo
	v_cmpx_gt_u32_e64 s63, v106
	s_cbranch_execz .LBB325_1051
.LBB325_1254:                           ;   in Loop: Header=BB325_1040 Depth=2
	global_load_ubyte v145, v[39:40], off offset:224
	s_or_b32 exec_lo, exec_lo, s23
	s_mov_b32 s23, exec_lo
	v_cmpx_gt_u32_e64 s63, v107
	s_cbranch_execz .LBB325_1052
.LBB325_1255:                           ;   in Loop: Header=BB325_1040 Depth=2
	global_load_ubyte v142, v[39:40], off offset:256
	s_or_b32 exec_lo, exec_lo, s23
	s_mov_b32 s23, exec_lo
	v_cmpx_gt_u32_e64 s63, v108
	s_cbranch_execz .LBB325_1053
.LBB325_1256:                           ;   in Loop: Header=BB325_1040 Depth=2
	global_load_ubyte v139, v[39:40], off offset:288
	s_or_b32 exec_lo, exec_lo, s23
	s_mov_b32 s23, exec_lo
	v_cmpx_gt_u32_e64 s63, v109
	s_cbranch_execz .LBB325_1054
.LBB325_1257:                           ;   in Loop: Header=BB325_1040 Depth=2
	global_load_ubyte v140, v[39:40], off offset:320
	s_or_b32 exec_lo, exec_lo, s23
	s_mov_b32 s23, exec_lo
	v_cmpx_gt_u32_e64 s63, v110
	s_cbranch_execz .LBB325_1055
.LBB325_1258:                           ;   in Loop: Header=BB325_1040 Depth=2
	global_load_ubyte v141, v[39:40], off offset:352
	s_or_b32 exec_lo, exec_lo, s23
	s_mov_b32 s23, exec_lo
	v_cmpx_gt_u32_e64 s63, v111
	s_cbranch_execz .LBB325_1056
.LBB325_1259:                           ;   in Loop: Header=BB325_1040 Depth=2
	global_load_ubyte v137, v[39:40], off offset:384
	s_or_b32 exec_lo, exec_lo, s23
	s_mov_b32 s23, exec_lo
	v_cmpx_gt_u32_e64 s63, v112
	s_cbranch_execz .LBB325_1057
.LBB325_1260:                           ;   in Loop: Header=BB325_1040 Depth=2
	global_load_ubyte v3, v[39:40], off offset:416
	s_or_b32 exec_lo, exec_lo, s23
	s_mov_b32 s23, exec_lo
	v_cmpx_gt_u32_e64 s63, v113
	s_cbranch_execz .LBB325_1058
.LBB325_1261:                           ;   in Loop: Header=BB325_1040 Depth=2
	global_load_ubyte v41, v[39:40], off offset:448
	s_or_b32 exec_lo, exec_lo, s23
	s_mov_b32 s23, exec_lo
	v_cmpx_gt_u32_e64 s63, v114
	s_cbranch_execnz .LBB325_1059
	s_branch .LBB325_1060
.LBB325_1262:
	s_endpgm
	.section	.rodata,"a",@progbits
	.p2align	6, 0x0
	.amdhsa_kernel _ZN7rocprim17ROCPRIM_400000_NS6detail17trampoline_kernelINS0_14default_configENS1_36segmented_radix_sort_config_selectorIalEEZNS1_25segmented_radix_sort_implIS3_Lb1EPKaPaPKlPlN2at6native12_GLOBAL__N_18offset_tEEE10hipError_tPvRmT1_PNSt15iterator_traitsISK_E10value_typeET2_T3_PNSL_ISQ_E10value_typeET4_jRbjT5_SW_jjP12ihipStream_tbEUlT_E2_NS1_11comp_targetILNS1_3genE8ELNS1_11target_archE1030ELNS1_3gpuE2ELNS1_3repE0EEENS1_30default_config_static_selectorELNS0_4arch9wavefront6targetE0EEEvSK_
		.amdhsa_group_segment_fixed_size 35344
		.amdhsa_private_segment_fixed_size 240
		.amdhsa_kernarg_size 336
		.amdhsa_user_sgpr_count 6
		.amdhsa_user_sgpr_private_segment_buffer 1
		.amdhsa_user_sgpr_dispatch_ptr 0
		.amdhsa_user_sgpr_queue_ptr 0
		.amdhsa_user_sgpr_kernarg_segment_ptr 1
		.amdhsa_user_sgpr_dispatch_id 0
		.amdhsa_user_sgpr_flat_scratch_init 0
		.amdhsa_user_sgpr_private_segment_size 0
		.amdhsa_wavefront_size32 1
		.amdhsa_uses_dynamic_stack 0
		.amdhsa_system_sgpr_private_segment_wavefront_offset 1
		.amdhsa_system_sgpr_workgroup_id_x 1
		.amdhsa_system_sgpr_workgroup_id_y 1
		.amdhsa_system_sgpr_workgroup_id_z 0
		.amdhsa_system_sgpr_workgroup_info 0
		.amdhsa_system_vgpr_workitem_id 2
		.amdhsa_next_free_vgpr 248
		.amdhsa_next_free_sgpr 68
		.amdhsa_reserve_vcc 1
		.amdhsa_reserve_flat_scratch 0
		.amdhsa_float_round_mode_32 0
		.amdhsa_float_round_mode_16_64 0
		.amdhsa_float_denorm_mode_32 3
		.amdhsa_float_denorm_mode_16_64 3
		.amdhsa_dx10_clamp 1
		.amdhsa_ieee_mode 1
		.amdhsa_fp16_overflow 0
		.amdhsa_workgroup_processor_mode 1
		.amdhsa_memory_ordered 1
		.amdhsa_forward_progress 1
		.amdhsa_shared_vgpr_count 0
		.amdhsa_exception_fp_ieee_invalid_op 0
		.amdhsa_exception_fp_denorm_src 0
		.amdhsa_exception_fp_ieee_div_zero 0
		.amdhsa_exception_fp_ieee_overflow 0
		.amdhsa_exception_fp_ieee_underflow 0
		.amdhsa_exception_fp_ieee_inexact 0
		.amdhsa_exception_int_div_zero 0
	.end_amdhsa_kernel
	.section	.text._ZN7rocprim17ROCPRIM_400000_NS6detail17trampoline_kernelINS0_14default_configENS1_36segmented_radix_sort_config_selectorIalEEZNS1_25segmented_radix_sort_implIS3_Lb1EPKaPaPKlPlN2at6native12_GLOBAL__N_18offset_tEEE10hipError_tPvRmT1_PNSt15iterator_traitsISK_E10value_typeET2_T3_PNSL_ISQ_E10value_typeET4_jRbjT5_SW_jjP12ihipStream_tbEUlT_E2_NS1_11comp_targetILNS1_3genE8ELNS1_11target_archE1030ELNS1_3gpuE2ELNS1_3repE0EEENS1_30default_config_static_selectorELNS0_4arch9wavefront6targetE0EEEvSK_,"axG",@progbits,_ZN7rocprim17ROCPRIM_400000_NS6detail17trampoline_kernelINS0_14default_configENS1_36segmented_radix_sort_config_selectorIalEEZNS1_25segmented_radix_sort_implIS3_Lb1EPKaPaPKlPlN2at6native12_GLOBAL__N_18offset_tEEE10hipError_tPvRmT1_PNSt15iterator_traitsISK_E10value_typeET2_T3_PNSL_ISQ_E10value_typeET4_jRbjT5_SW_jjP12ihipStream_tbEUlT_E2_NS1_11comp_targetILNS1_3genE8ELNS1_11target_archE1030ELNS1_3gpuE2ELNS1_3repE0EEENS1_30default_config_static_selectorELNS0_4arch9wavefront6targetE0EEEvSK_,comdat
.Lfunc_end325:
	.size	_ZN7rocprim17ROCPRIM_400000_NS6detail17trampoline_kernelINS0_14default_configENS1_36segmented_radix_sort_config_selectorIalEEZNS1_25segmented_radix_sort_implIS3_Lb1EPKaPaPKlPlN2at6native12_GLOBAL__N_18offset_tEEE10hipError_tPvRmT1_PNSt15iterator_traitsISK_E10value_typeET2_T3_PNSL_ISQ_E10value_typeET4_jRbjT5_SW_jjP12ihipStream_tbEUlT_E2_NS1_11comp_targetILNS1_3genE8ELNS1_11target_archE1030ELNS1_3gpuE2ELNS1_3repE0EEENS1_30default_config_static_selectorELNS0_4arch9wavefront6targetE0EEEvSK_, .Lfunc_end325-_ZN7rocprim17ROCPRIM_400000_NS6detail17trampoline_kernelINS0_14default_configENS1_36segmented_radix_sort_config_selectorIalEEZNS1_25segmented_radix_sort_implIS3_Lb1EPKaPaPKlPlN2at6native12_GLOBAL__N_18offset_tEEE10hipError_tPvRmT1_PNSt15iterator_traitsISK_E10value_typeET2_T3_PNSL_ISQ_E10value_typeET4_jRbjT5_SW_jjP12ihipStream_tbEUlT_E2_NS1_11comp_targetILNS1_3genE8ELNS1_11target_archE1030ELNS1_3gpuE2ELNS1_3repE0EEENS1_30default_config_static_selectorELNS0_4arch9wavefront6targetE0EEEvSK_
                                        ; -- End function
	.set _ZN7rocprim17ROCPRIM_400000_NS6detail17trampoline_kernelINS0_14default_configENS1_36segmented_radix_sort_config_selectorIalEEZNS1_25segmented_radix_sort_implIS3_Lb1EPKaPaPKlPlN2at6native12_GLOBAL__N_18offset_tEEE10hipError_tPvRmT1_PNSt15iterator_traitsISK_E10value_typeET2_T3_PNSL_ISQ_E10value_typeET4_jRbjT5_SW_jjP12ihipStream_tbEUlT_E2_NS1_11comp_targetILNS1_3genE8ELNS1_11target_archE1030ELNS1_3gpuE2ELNS1_3repE0EEENS1_30default_config_static_selectorELNS0_4arch9wavefront6targetE0EEEvSK_.num_vgpr, max(205, .L_ZN7rocprim17ROCPRIM_400000_NS6detail26segmented_warp_sort_helperINS1_20WarpSortHelperConfigILj32ELj4ELj256EEEalLi256ELb1EvE4sortIPKaPaPKlPlEEvT_T0_T1_T2_jjjjRNS5_12storage_typeE.num_vgpr, .L_ZN7rocprim17ROCPRIM_400000_NS6detail40segmented_radix_sort_single_block_helperIalLj256ELj17ELb1EE4sortIPKaPaPKlPlEEbT_T0_T1_T2_jjjjRNS3_12storage_typeE.num_vgpr)
	.set _ZN7rocprim17ROCPRIM_400000_NS6detail17trampoline_kernelINS0_14default_configENS1_36segmented_radix_sort_config_selectorIalEEZNS1_25segmented_radix_sort_implIS3_Lb1EPKaPaPKlPlN2at6native12_GLOBAL__N_18offset_tEEE10hipError_tPvRmT1_PNSt15iterator_traitsISK_E10value_typeET2_T3_PNSL_ISQ_E10value_typeET4_jRbjT5_SW_jjP12ihipStream_tbEUlT_E2_NS1_11comp_targetILNS1_3genE8ELNS1_11target_archE1030ELNS1_3gpuE2ELNS1_3repE0EEENS1_30default_config_static_selectorELNS0_4arch9wavefront6targetE0EEEvSK_.num_agpr, max(0, .L_ZN7rocprim17ROCPRIM_400000_NS6detail26segmented_warp_sort_helperINS1_20WarpSortHelperConfigILj32ELj4ELj256EEEalLi256ELb1EvE4sortIPKaPaPKlPlEEvT_T0_T1_T2_jjjjRNS5_12storage_typeE.num_agpr, .L_ZN7rocprim17ROCPRIM_400000_NS6detail40segmented_radix_sort_single_block_helperIalLj256ELj17ELb1EE4sortIPKaPaPKlPlEEbT_T0_T1_T2_jjjjRNS3_12storage_typeE.num_agpr)
	.set _ZN7rocprim17ROCPRIM_400000_NS6detail17trampoline_kernelINS0_14default_configENS1_36segmented_radix_sort_config_selectorIalEEZNS1_25segmented_radix_sort_implIS3_Lb1EPKaPaPKlPlN2at6native12_GLOBAL__N_18offset_tEEE10hipError_tPvRmT1_PNSt15iterator_traitsISK_E10value_typeET2_T3_PNSL_ISQ_E10value_typeET4_jRbjT5_SW_jjP12ihipStream_tbEUlT_E2_NS1_11comp_targetILNS1_3genE8ELNS1_11target_archE1030ELNS1_3gpuE2ELNS1_3repE0EEENS1_30default_config_static_selectorELNS0_4arch9wavefront6targetE0EEEvSK_.numbered_sgpr, max(68, .L_ZN7rocprim17ROCPRIM_400000_NS6detail26segmented_warp_sort_helperINS1_20WarpSortHelperConfigILj32ELj4ELj256EEEalLi256ELb1EvE4sortIPKaPaPKlPlEEvT_T0_T1_T2_jjjjRNS5_12storage_typeE.numbered_sgpr, .L_ZN7rocprim17ROCPRIM_400000_NS6detail40segmented_radix_sort_single_block_helperIalLj256ELj17ELb1EE4sortIPKaPaPKlPlEEbT_T0_T1_T2_jjjjRNS3_12storage_typeE.numbered_sgpr)
	.set _ZN7rocprim17ROCPRIM_400000_NS6detail17trampoline_kernelINS0_14default_configENS1_36segmented_radix_sort_config_selectorIalEEZNS1_25segmented_radix_sort_implIS3_Lb1EPKaPaPKlPlN2at6native12_GLOBAL__N_18offset_tEEE10hipError_tPvRmT1_PNSt15iterator_traitsISK_E10value_typeET2_T3_PNSL_ISQ_E10value_typeET4_jRbjT5_SW_jjP12ihipStream_tbEUlT_E2_NS1_11comp_targetILNS1_3genE8ELNS1_11target_archE1030ELNS1_3gpuE2ELNS1_3repE0EEENS1_30default_config_static_selectorELNS0_4arch9wavefront6targetE0EEEvSK_.num_named_barrier, max(0, .L_ZN7rocprim17ROCPRIM_400000_NS6detail26segmented_warp_sort_helperINS1_20WarpSortHelperConfigILj32ELj4ELj256EEEalLi256ELb1EvE4sortIPKaPaPKlPlEEvT_T0_T1_T2_jjjjRNS5_12storage_typeE.num_named_barrier, .L_ZN7rocprim17ROCPRIM_400000_NS6detail40segmented_radix_sort_single_block_helperIalLj256ELj17ELb1EE4sortIPKaPaPKlPlEEbT_T0_T1_T2_jjjjRNS3_12storage_typeE.num_named_barrier)
	.set _ZN7rocprim17ROCPRIM_400000_NS6detail17trampoline_kernelINS0_14default_configENS1_36segmented_radix_sort_config_selectorIalEEZNS1_25segmented_radix_sort_implIS3_Lb1EPKaPaPKlPlN2at6native12_GLOBAL__N_18offset_tEEE10hipError_tPvRmT1_PNSt15iterator_traitsISK_E10value_typeET2_T3_PNSL_ISQ_E10value_typeET4_jRbjT5_SW_jjP12ihipStream_tbEUlT_E2_NS1_11comp_targetILNS1_3genE8ELNS1_11target_archE1030ELNS1_3gpuE2ELNS1_3repE0EEENS1_30default_config_static_selectorELNS0_4arch9wavefront6targetE0EEEvSK_.private_seg_size, 0+max(.L_ZN7rocprim17ROCPRIM_400000_NS6detail26segmented_warp_sort_helperINS1_20WarpSortHelperConfigILj32ELj4ELj256EEEalLi256ELb1EvE4sortIPKaPaPKlPlEEvT_T0_T1_T2_jjjjRNS5_12storage_typeE.private_seg_size, .L_ZN7rocprim17ROCPRIM_400000_NS6detail40segmented_radix_sort_single_block_helperIalLj256ELj17ELb1EE4sortIPKaPaPKlPlEEbT_T0_T1_T2_jjjjRNS3_12storage_typeE.private_seg_size)
	.set _ZN7rocprim17ROCPRIM_400000_NS6detail17trampoline_kernelINS0_14default_configENS1_36segmented_radix_sort_config_selectorIalEEZNS1_25segmented_radix_sort_implIS3_Lb1EPKaPaPKlPlN2at6native12_GLOBAL__N_18offset_tEEE10hipError_tPvRmT1_PNSt15iterator_traitsISK_E10value_typeET2_T3_PNSL_ISQ_E10value_typeET4_jRbjT5_SW_jjP12ihipStream_tbEUlT_E2_NS1_11comp_targetILNS1_3genE8ELNS1_11target_archE1030ELNS1_3gpuE2ELNS1_3repE0EEENS1_30default_config_static_selectorELNS0_4arch9wavefront6targetE0EEEvSK_.uses_vcc, or(1, .L_ZN7rocprim17ROCPRIM_400000_NS6detail26segmented_warp_sort_helperINS1_20WarpSortHelperConfigILj32ELj4ELj256EEEalLi256ELb1EvE4sortIPKaPaPKlPlEEvT_T0_T1_T2_jjjjRNS5_12storage_typeE.uses_vcc, .L_ZN7rocprim17ROCPRIM_400000_NS6detail40segmented_radix_sort_single_block_helperIalLj256ELj17ELb1EE4sortIPKaPaPKlPlEEbT_T0_T1_T2_jjjjRNS3_12storage_typeE.uses_vcc)
	.set _ZN7rocprim17ROCPRIM_400000_NS6detail17trampoline_kernelINS0_14default_configENS1_36segmented_radix_sort_config_selectorIalEEZNS1_25segmented_radix_sort_implIS3_Lb1EPKaPaPKlPlN2at6native12_GLOBAL__N_18offset_tEEE10hipError_tPvRmT1_PNSt15iterator_traitsISK_E10value_typeET2_T3_PNSL_ISQ_E10value_typeET4_jRbjT5_SW_jjP12ihipStream_tbEUlT_E2_NS1_11comp_targetILNS1_3genE8ELNS1_11target_archE1030ELNS1_3gpuE2ELNS1_3repE0EEENS1_30default_config_static_selectorELNS0_4arch9wavefront6targetE0EEEvSK_.uses_flat_scratch, or(0, .L_ZN7rocprim17ROCPRIM_400000_NS6detail26segmented_warp_sort_helperINS1_20WarpSortHelperConfigILj32ELj4ELj256EEEalLi256ELb1EvE4sortIPKaPaPKlPlEEvT_T0_T1_T2_jjjjRNS5_12storage_typeE.uses_flat_scratch, .L_ZN7rocprim17ROCPRIM_400000_NS6detail40segmented_radix_sort_single_block_helperIalLj256ELj17ELb1EE4sortIPKaPaPKlPlEEbT_T0_T1_T2_jjjjRNS3_12storage_typeE.uses_flat_scratch)
	.set _ZN7rocprim17ROCPRIM_400000_NS6detail17trampoline_kernelINS0_14default_configENS1_36segmented_radix_sort_config_selectorIalEEZNS1_25segmented_radix_sort_implIS3_Lb1EPKaPaPKlPlN2at6native12_GLOBAL__N_18offset_tEEE10hipError_tPvRmT1_PNSt15iterator_traitsISK_E10value_typeET2_T3_PNSL_ISQ_E10value_typeET4_jRbjT5_SW_jjP12ihipStream_tbEUlT_E2_NS1_11comp_targetILNS1_3genE8ELNS1_11target_archE1030ELNS1_3gpuE2ELNS1_3repE0EEENS1_30default_config_static_selectorELNS0_4arch9wavefront6targetE0EEEvSK_.has_dyn_sized_stack, or(0, .L_ZN7rocprim17ROCPRIM_400000_NS6detail26segmented_warp_sort_helperINS1_20WarpSortHelperConfigILj32ELj4ELj256EEEalLi256ELb1EvE4sortIPKaPaPKlPlEEvT_T0_T1_T2_jjjjRNS5_12storage_typeE.has_dyn_sized_stack, .L_ZN7rocprim17ROCPRIM_400000_NS6detail40segmented_radix_sort_single_block_helperIalLj256ELj17ELb1EE4sortIPKaPaPKlPlEEbT_T0_T1_T2_jjjjRNS3_12storage_typeE.has_dyn_sized_stack)
	.set _ZN7rocprim17ROCPRIM_400000_NS6detail17trampoline_kernelINS0_14default_configENS1_36segmented_radix_sort_config_selectorIalEEZNS1_25segmented_radix_sort_implIS3_Lb1EPKaPaPKlPlN2at6native12_GLOBAL__N_18offset_tEEE10hipError_tPvRmT1_PNSt15iterator_traitsISK_E10value_typeET2_T3_PNSL_ISQ_E10value_typeET4_jRbjT5_SW_jjP12ihipStream_tbEUlT_E2_NS1_11comp_targetILNS1_3genE8ELNS1_11target_archE1030ELNS1_3gpuE2ELNS1_3repE0EEENS1_30default_config_static_selectorELNS0_4arch9wavefront6targetE0EEEvSK_.has_recursion, or(0, .L_ZN7rocprim17ROCPRIM_400000_NS6detail26segmented_warp_sort_helperINS1_20WarpSortHelperConfigILj32ELj4ELj256EEEalLi256ELb1EvE4sortIPKaPaPKlPlEEvT_T0_T1_T2_jjjjRNS5_12storage_typeE.has_recursion, .L_ZN7rocprim17ROCPRIM_400000_NS6detail40segmented_radix_sort_single_block_helperIalLj256ELj17ELb1EE4sortIPKaPaPKlPlEEbT_T0_T1_T2_jjjjRNS3_12storage_typeE.has_recursion)
	.set _ZN7rocprim17ROCPRIM_400000_NS6detail17trampoline_kernelINS0_14default_configENS1_36segmented_radix_sort_config_selectorIalEEZNS1_25segmented_radix_sort_implIS3_Lb1EPKaPaPKlPlN2at6native12_GLOBAL__N_18offset_tEEE10hipError_tPvRmT1_PNSt15iterator_traitsISK_E10value_typeET2_T3_PNSL_ISQ_E10value_typeET4_jRbjT5_SW_jjP12ihipStream_tbEUlT_E2_NS1_11comp_targetILNS1_3genE8ELNS1_11target_archE1030ELNS1_3gpuE2ELNS1_3repE0EEENS1_30default_config_static_selectorELNS0_4arch9wavefront6targetE0EEEvSK_.has_indirect_call, or(0, .L_ZN7rocprim17ROCPRIM_400000_NS6detail26segmented_warp_sort_helperINS1_20WarpSortHelperConfigILj32ELj4ELj256EEEalLi256ELb1EvE4sortIPKaPaPKlPlEEvT_T0_T1_T2_jjjjRNS5_12storage_typeE.has_indirect_call, .L_ZN7rocprim17ROCPRIM_400000_NS6detail40segmented_radix_sort_single_block_helperIalLj256ELj17ELb1EE4sortIPKaPaPKlPlEEbT_T0_T1_T2_jjjjRNS3_12storage_typeE.has_indirect_call)
	.section	.AMDGPU.csdata,"",@progbits
; Kernel info:
; codeLenInByte = 66728
; TotalNumSgprs: 70
; NumVgprs: 248
; ScratchSize: 240
; MemoryBound: 0
; FloatMode: 240
; IeeeMode: 1
; LDSByteSize: 35344 bytes/workgroup (compile time only)
; SGPRBlocks: 0
; VGPRBlocks: 30
; NumSGPRsForWavesPerEU: 70
; NumVGPRsForWavesPerEU: 248
; Occupancy: 4
; WaveLimiterHint : 1
; COMPUTE_PGM_RSRC2:SCRATCH_EN: 1
; COMPUTE_PGM_RSRC2:USER_SGPR: 6
; COMPUTE_PGM_RSRC2:TRAP_HANDLER: 0
; COMPUTE_PGM_RSRC2:TGID_X_EN: 1
; COMPUTE_PGM_RSRC2:TGID_Y_EN: 1
; COMPUTE_PGM_RSRC2:TGID_Z_EN: 0
; COMPUTE_PGM_RSRC2:TIDIG_COMP_CNT: 2
	.section	.text._ZN7rocprim17ROCPRIM_400000_NS6detail17trampoline_kernelINS0_13select_configILj256ELj13ELNS0_17block_load_methodE3ELS4_3ELS4_3ELNS0_20block_scan_algorithmE0ELj4294967295EEENS1_25partition_config_selectorILNS1_17partition_subalgoE4EjNS0_10empty_typeEbEEZZNS1_14partition_implILS8_4ELb0ES6_15HIP_vector_typeIjLj2EENS0_17counting_iteratorIjlEEPS9_SG_NS0_5tupleIJPjSI_NS0_16reverse_iteratorISI_EEEEENSH_IJSG_SG_SG_EEES9_SI_JZNS1_25segmented_radix_sort_implINS0_14default_configELb0EPKaPaPKlPlN2at6native12_GLOBAL__N_18offset_tEEE10hipError_tPvRmT1_PNSt15iterator_traitsIS12_E10value_typeET2_T3_PNS13_IS18_E10value_typeET4_jRbjT5_S1E_jjP12ihipStream_tbEUljE_ZNSN_ISO_Lb0ESQ_SR_ST_SU_SY_EESZ_S10_S11_S12_S16_S17_S18_S1B_S1C_jS1D_jS1E_S1E_jjS1G_bEUljE0_EEESZ_S10_S11_S18_S1C_S1E_T6_T7_T9_mT8_S1G_bDpT10_ENKUlT_T0_E_clISt17integral_constantIbLb0EES1U_EEDaS1P_S1Q_EUlS1P_E_NS1_11comp_targetILNS1_3genE0ELNS1_11target_archE4294967295ELNS1_3gpuE0ELNS1_3repE0EEENS1_30default_config_static_selectorELNS0_4arch9wavefront6targetE0EEEvS12_,"axG",@progbits,_ZN7rocprim17ROCPRIM_400000_NS6detail17trampoline_kernelINS0_13select_configILj256ELj13ELNS0_17block_load_methodE3ELS4_3ELS4_3ELNS0_20block_scan_algorithmE0ELj4294967295EEENS1_25partition_config_selectorILNS1_17partition_subalgoE4EjNS0_10empty_typeEbEEZZNS1_14partition_implILS8_4ELb0ES6_15HIP_vector_typeIjLj2EENS0_17counting_iteratorIjlEEPS9_SG_NS0_5tupleIJPjSI_NS0_16reverse_iteratorISI_EEEEENSH_IJSG_SG_SG_EEES9_SI_JZNS1_25segmented_radix_sort_implINS0_14default_configELb0EPKaPaPKlPlN2at6native12_GLOBAL__N_18offset_tEEE10hipError_tPvRmT1_PNSt15iterator_traitsIS12_E10value_typeET2_T3_PNS13_IS18_E10value_typeET4_jRbjT5_S1E_jjP12ihipStream_tbEUljE_ZNSN_ISO_Lb0ESQ_SR_ST_SU_SY_EESZ_S10_S11_S12_S16_S17_S18_S1B_S1C_jS1D_jS1E_S1E_jjS1G_bEUljE0_EEESZ_S10_S11_S18_S1C_S1E_T6_T7_T9_mT8_S1G_bDpT10_ENKUlT_T0_E_clISt17integral_constantIbLb0EES1U_EEDaS1P_S1Q_EUlS1P_E_NS1_11comp_targetILNS1_3genE0ELNS1_11target_archE4294967295ELNS1_3gpuE0ELNS1_3repE0EEENS1_30default_config_static_selectorELNS0_4arch9wavefront6targetE0EEEvS12_,comdat
	.globl	_ZN7rocprim17ROCPRIM_400000_NS6detail17trampoline_kernelINS0_13select_configILj256ELj13ELNS0_17block_load_methodE3ELS4_3ELS4_3ELNS0_20block_scan_algorithmE0ELj4294967295EEENS1_25partition_config_selectorILNS1_17partition_subalgoE4EjNS0_10empty_typeEbEEZZNS1_14partition_implILS8_4ELb0ES6_15HIP_vector_typeIjLj2EENS0_17counting_iteratorIjlEEPS9_SG_NS0_5tupleIJPjSI_NS0_16reverse_iteratorISI_EEEEENSH_IJSG_SG_SG_EEES9_SI_JZNS1_25segmented_radix_sort_implINS0_14default_configELb0EPKaPaPKlPlN2at6native12_GLOBAL__N_18offset_tEEE10hipError_tPvRmT1_PNSt15iterator_traitsIS12_E10value_typeET2_T3_PNS13_IS18_E10value_typeET4_jRbjT5_S1E_jjP12ihipStream_tbEUljE_ZNSN_ISO_Lb0ESQ_SR_ST_SU_SY_EESZ_S10_S11_S12_S16_S17_S18_S1B_S1C_jS1D_jS1E_S1E_jjS1G_bEUljE0_EEESZ_S10_S11_S18_S1C_S1E_T6_T7_T9_mT8_S1G_bDpT10_ENKUlT_T0_E_clISt17integral_constantIbLb0EES1U_EEDaS1P_S1Q_EUlS1P_E_NS1_11comp_targetILNS1_3genE0ELNS1_11target_archE4294967295ELNS1_3gpuE0ELNS1_3repE0EEENS1_30default_config_static_selectorELNS0_4arch9wavefront6targetE0EEEvS12_ ; -- Begin function _ZN7rocprim17ROCPRIM_400000_NS6detail17trampoline_kernelINS0_13select_configILj256ELj13ELNS0_17block_load_methodE3ELS4_3ELS4_3ELNS0_20block_scan_algorithmE0ELj4294967295EEENS1_25partition_config_selectorILNS1_17partition_subalgoE4EjNS0_10empty_typeEbEEZZNS1_14partition_implILS8_4ELb0ES6_15HIP_vector_typeIjLj2EENS0_17counting_iteratorIjlEEPS9_SG_NS0_5tupleIJPjSI_NS0_16reverse_iteratorISI_EEEEENSH_IJSG_SG_SG_EEES9_SI_JZNS1_25segmented_radix_sort_implINS0_14default_configELb0EPKaPaPKlPlN2at6native12_GLOBAL__N_18offset_tEEE10hipError_tPvRmT1_PNSt15iterator_traitsIS12_E10value_typeET2_T3_PNS13_IS18_E10value_typeET4_jRbjT5_S1E_jjP12ihipStream_tbEUljE_ZNSN_ISO_Lb0ESQ_SR_ST_SU_SY_EESZ_S10_S11_S12_S16_S17_S18_S1B_S1C_jS1D_jS1E_S1E_jjS1G_bEUljE0_EEESZ_S10_S11_S18_S1C_S1E_T6_T7_T9_mT8_S1G_bDpT10_ENKUlT_T0_E_clISt17integral_constantIbLb0EES1U_EEDaS1P_S1Q_EUlS1P_E_NS1_11comp_targetILNS1_3genE0ELNS1_11target_archE4294967295ELNS1_3gpuE0ELNS1_3repE0EEENS1_30default_config_static_selectorELNS0_4arch9wavefront6targetE0EEEvS12_
	.p2align	8
	.type	_ZN7rocprim17ROCPRIM_400000_NS6detail17trampoline_kernelINS0_13select_configILj256ELj13ELNS0_17block_load_methodE3ELS4_3ELS4_3ELNS0_20block_scan_algorithmE0ELj4294967295EEENS1_25partition_config_selectorILNS1_17partition_subalgoE4EjNS0_10empty_typeEbEEZZNS1_14partition_implILS8_4ELb0ES6_15HIP_vector_typeIjLj2EENS0_17counting_iteratorIjlEEPS9_SG_NS0_5tupleIJPjSI_NS0_16reverse_iteratorISI_EEEEENSH_IJSG_SG_SG_EEES9_SI_JZNS1_25segmented_radix_sort_implINS0_14default_configELb0EPKaPaPKlPlN2at6native12_GLOBAL__N_18offset_tEEE10hipError_tPvRmT1_PNSt15iterator_traitsIS12_E10value_typeET2_T3_PNS13_IS18_E10value_typeET4_jRbjT5_S1E_jjP12ihipStream_tbEUljE_ZNSN_ISO_Lb0ESQ_SR_ST_SU_SY_EESZ_S10_S11_S12_S16_S17_S18_S1B_S1C_jS1D_jS1E_S1E_jjS1G_bEUljE0_EEESZ_S10_S11_S18_S1C_S1E_T6_T7_T9_mT8_S1G_bDpT10_ENKUlT_T0_E_clISt17integral_constantIbLb0EES1U_EEDaS1P_S1Q_EUlS1P_E_NS1_11comp_targetILNS1_3genE0ELNS1_11target_archE4294967295ELNS1_3gpuE0ELNS1_3repE0EEENS1_30default_config_static_selectorELNS0_4arch9wavefront6targetE0EEEvS12_,@function
_ZN7rocprim17ROCPRIM_400000_NS6detail17trampoline_kernelINS0_13select_configILj256ELj13ELNS0_17block_load_methodE3ELS4_3ELS4_3ELNS0_20block_scan_algorithmE0ELj4294967295EEENS1_25partition_config_selectorILNS1_17partition_subalgoE4EjNS0_10empty_typeEbEEZZNS1_14partition_implILS8_4ELb0ES6_15HIP_vector_typeIjLj2EENS0_17counting_iteratorIjlEEPS9_SG_NS0_5tupleIJPjSI_NS0_16reverse_iteratorISI_EEEEENSH_IJSG_SG_SG_EEES9_SI_JZNS1_25segmented_radix_sort_implINS0_14default_configELb0EPKaPaPKlPlN2at6native12_GLOBAL__N_18offset_tEEE10hipError_tPvRmT1_PNSt15iterator_traitsIS12_E10value_typeET2_T3_PNS13_IS18_E10value_typeET4_jRbjT5_S1E_jjP12ihipStream_tbEUljE_ZNSN_ISO_Lb0ESQ_SR_ST_SU_SY_EESZ_S10_S11_S12_S16_S17_S18_S1B_S1C_jS1D_jS1E_S1E_jjS1G_bEUljE0_EEESZ_S10_S11_S18_S1C_S1E_T6_T7_T9_mT8_S1G_bDpT10_ENKUlT_T0_E_clISt17integral_constantIbLb0EES1U_EEDaS1P_S1Q_EUlS1P_E_NS1_11comp_targetILNS1_3genE0ELNS1_11target_archE4294967295ELNS1_3gpuE0ELNS1_3repE0EEENS1_30default_config_static_selectorELNS0_4arch9wavefront6targetE0EEEvS12_: ; @_ZN7rocprim17ROCPRIM_400000_NS6detail17trampoline_kernelINS0_13select_configILj256ELj13ELNS0_17block_load_methodE3ELS4_3ELS4_3ELNS0_20block_scan_algorithmE0ELj4294967295EEENS1_25partition_config_selectorILNS1_17partition_subalgoE4EjNS0_10empty_typeEbEEZZNS1_14partition_implILS8_4ELb0ES6_15HIP_vector_typeIjLj2EENS0_17counting_iteratorIjlEEPS9_SG_NS0_5tupleIJPjSI_NS0_16reverse_iteratorISI_EEEEENSH_IJSG_SG_SG_EEES9_SI_JZNS1_25segmented_radix_sort_implINS0_14default_configELb0EPKaPaPKlPlN2at6native12_GLOBAL__N_18offset_tEEE10hipError_tPvRmT1_PNSt15iterator_traitsIS12_E10value_typeET2_T3_PNS13_IS18_E10value_typeET4_jRbjT5_S1E_jjP12ihipStream_tbEUljE_ZNSN_ISO_Lb0ESQ_SR_ST_SU_SY_EESZ_S10_S11_S12_S16_S17_S18_S1B_S1C_jS1D_jS1E_S1E_jjS1G_bEUljE0_EEESZ_S10_S11_S18_S1C_S1E_T6_T7_T9_mT8_S1G_bDpT10_ENKUlT_T0_E_clISt17integral_constantIbLb0EES1U_EEDaS1P_S1Q_EUlS1P_E_NS1_11comp_targetILNS1_3genE0ELNS1_11target_archE4294967295ELNS1_3gpuE0ELNS1_3repE0EEENS1_30default_config_static_selectorELNS0_4arch9wavefront6targetE0EEEvS12_
; %bb.0:
	.section	.rodata,"a",@progbits
	.p2align	6, 0x0
	.amdhsa_kernel _ZN7rocprim17ROCPRIM_400000_NS6detail17trampoline_kernelINS0_13select_configILj256ELj13ELNS0_17block_load_methodE3ELS4_3ELS4_3ELNS0_20block_scan_algorithmE0ELj4294967295EEENS1_25partition_config_selectorILNS1_17partition_subalgoE4EjNS0_10empty_typeEbEEZZNS1_14partition_implILS8_4ELb0ES6_15HIP_vector_typeIjLj2EENS0_17counting_iteratorIjlEEPS9_SG_NS0_5tupleIJPjSI_NS0_16reverse_iteratorISI_EEEEENSH_IJSG_SG_SG_EEES9_SI_JZNS1_25segmented_radix_sort_implINS0_14default_configELb0EPKaPaPKlPlN2at6native12_GLOBAL__N_18offset_tEEE10hipError_tPvRmT1_PNSt15iterator_traitsIS12_E10value_typeET2_T3_PNS13_IS18_E10value_typeET4_jRbjT5_S1E_jjP12ihipStream_tbEUljE_ZNSN_ISO_Lb0ESQ_SR_ST_SU_SY_EESZ_S10_S11_S12_S16_S17_S18_S1B_S1C_jS1D_jS1E_S1E_jjS1G_bEUljE0_EEESZ_S10_S11_S18_S1C_S1E_T6_T7_T9_mT8_S1G_bDpT10_ENKUlT_T0_E_clISt17integral_constantIbLb0EES1U_EEDaS1P_S1Q_EUlS1P_E_NS1_11comp_targetILNS1_3genE0ELNS1_11target_archE4294967295ELNS1_3gpuE0ELNS1_3repE0EEENS1_30default_config_static_selectorELNS0_4arch9wavefront6targetE0EEEvS12_
		.amdhsa_group_segment_fixed_size 0
		.amdhsa_private_segment_fixed_size 0
		.amdhsa_kernarg_size 176
		.amdhsa_user_sgpr_count 6
		.amdhsa_user_sgpr_private_segment_buffer 1
		.amdhsa_user_sgpr_dispatch_ptr 0
		.amdhsa_user_sgpr_queue_ptr 0
		.amdhsa_user_sgpr_kernarg_segment_ptr 1
		.amdhsa_user_sgpr_dispatch_id 0
		.amdhsa_user_sgpr_flat_scratch_init 0
		.amdhsa_user_sgpr_private_segment_size 0
		.amdhsa_wavefront_size32 1
		.amdhsa_uses_dynamic_stack 0
		.amdhsa_system_sgpr_private_segment_wavefront_offset 0
		.amdhsa_system_sgpr_workgroup_id_x 1
		.amdhsa_system_sgpr_workgroup_id_y 0
		.amdhsa_system_sgpr_workgroup_id_z 0
		.amdhsa_system_sgpr_workgroup_info 0
		.amdhsa_system_vgpr_workitem_id 0
		.amdhsa_next_free_vgpr 1
		.amdhsa_next_free_sgpr 1
		.amdhsa_reserve_vcc 0
		.amdhsa_reserve_flat_scratch 0
		.amdhsa_float_round_mode_32 0
		.amdhsa_float_round_mode_16_64 0
		.amdhsa_float_denorm_mode_32 3
		.amdhsa_float_denorm_mode_16_64 3
		.amdhsa_dx10_clamp 1
		.amdhsa_ieee_mode 1
		.amdhsa_fp16_overflow 0
		.amdhsa_workgroup_processor_mode 1
		.amdhsa_memory_ordered 1
		.amdhsa_forward_progress 1
		.amdhsa_shared_vgpr_count 0
		.amdhsa_exception_fp_ieee_invalid_op 0
		.amdhsa_exception_fp_denorm_src 0
		.amdhsa_exception_fp_ieee_div_zero 0
		.amdhsa_exception_fp_ieee_overflow 0
		.amdhsa_exception_fp_ieee_underflow 0
		.amdhsa_exception_fp_ieee_inexact 0
		.amdhsa_exception_int_div_zero 0
	.end_amdhsa_kernel
	.section	.text._ZN7rocprim17ROCPRIM_400000_NS6detail17trampoline_kernelINS0_13select_configILj256ELj13ELNS0_17block_load_methodE3ELS4_3ELS4_3ELNS0_20block_scan_algorithmE0ELj4294967295EEENS1_25partition_config_selectorILNS1_17partition_subalgoE4EjNS0_10empty_typeEbEEZZNS1_14partition_implILS8_4ELb0ES6_15HIP_vector_typeIjLj2EENS0_17counting_iteratorIjlEEPS9_SG_NS0_5tupleIJPjSI_NS0_16reverse_iteratorISI_EEEEENSH_IJSG_SG_SG_EEES9_SI_JZNS1_25segmented_radix_sort_implINS0_14default_configELb0EPKaPaPKlPlN2at6native12_GLOBAL__N_18offset_tEEE10hipError_tPvRmT1_PNSt15iterator_traitsIS12_E10value_typeET2_T3_PNS13_IS18_E10value_typeET4_jRbjT5_S1E_jjP12ihipStream_tbEUljE_ZNSN_ISO_Lb0ESQ_SR_ST_SU_SY_EESZ_S10_S11_S12_S16_S17_S18_S1B_S1C_jS1D_jS1E_S1E_jjS1G_bEUljE0_EEESZ_S10_S11_S18_S1C_S1E_T6_T7_T9_mT8_S1G_bDpT10_ENKUlT_T0_E_clISt17integral_constantIbLb0EES1U_EEDaS1P_S1Q_EUlS1P_E_NS1_11comp_targetILNS1_3genE0ELNS1_11target_archE4294967295ELNS1_3gpuE0ELNS1_3repE0EEENS1_30default_config_static_selectorELNS0_4arch9wavefront6targetE0EEEvS12_,"axG",@progbits,_ZN7rocprim17ROCPRIM_400000_NS6detail17trampoline_kernelINS0_13select_configILj256ELj13ELNS0_17block_load_methodE3ELS4_3ELS4_3ELNS0_20block_scan_algorithmE0ELj4294967295EEENS1_25partition_config_selectorILNS1_17partition_subalgoE4EjNS0_10empty_typeEbEEZZNS1_14partition_implILS8_4ELb0ES6_15HIP_vector_typeIjLj2EENS0_17counting_iteratorIjlEEPS9_SG_NS0_5tupleIJPjSI_NS0_16reverse_iteratorISI_EEEEENSH_IJSG_SG_SG_EEES9_SI_JZNS1_25segmented_radix_sort_implINS0_14default_configELb0EPKaPaPKlPlN2at6native12_GLOBAL__N_18offset_tEEE10hipError_tPvRmT1_PNSt15iterator_traitsIS12_E10value_typeET2_T3_PNS13_IS18_E10value_typeET4_jRbjT5_S1E_jjP12ihipStream_tbEUljE_ZNSN_ISO_Lb0ESQ_SR_ST_SU_SY_EESZ_S10_S11_S12_S16_S17_S18_S1B_S1C_jS1D_jS1E_S1E_jjS1G_bEUljE0_EEESZ_S10_S11_S18_S1C_S1E_T6_T7_T9_mT8_S1G_bDpT10_ENKUlT_T0_E_clISt17integral_constantIbLb0EES1U_EEDaS1P_S1Q_EUlS1P_E_NS1_11comp_targetILNS1_3genE0ELNS1_11target_archE4294967295ELNS1_3gpuE0ELNS1_3repE0EEENS1_30default_config_static_selectorELNS0_4arch9wavefront6targetE0EEEvS12_,comdat
.Lfunc_end326:
	.size	_ZN7rocprim17ROCPRIM_400000_NS6detail17trampoline_kernelINS0_13select_configILj256ELj13ELNS0_17block_load_methodE3ELS4_3ELS4_3ELNS0_20block_scan_algorithmE0ELj4294967295EEENS1_25partition_config_selectorILNS1_17partition_subalgoE4EjNS0_10empty_typeEbEEZZNS1_14partition_implILS8_4ELb0ES6_15HIP_vector_typeIjLj2EENS0_17counting_iteratorIjlEEPS9_SG_NS0_5tupleIJPjSI_NS0_16reverse_iteratorISI_EEEEENSH_IJSG_SG_SG_EEES9_SI_JZNS1_25segmented_radix_sort_implINS0_14default_configELb0EPKaPaPKlPlN2at6native12_GLOBAL__N_18offset_tEEE10hipError_tPvRmT1_PNSt15iterator_traitsIS12_E10value_typeET2_T3_PNS13_IS18_E10value_typeET4_jRbjT5_S1E_jjP12ihipStream_tbEUljE_ZNSN_ISO_Lb0ESQ_SR_ST_SU_SY_EESZ_S10_S11_S12_S16_S17_S18_S1B_S1C_jS1D_jS1E_S1E_jjS1G_bEUljE0_EEESZ_S10_S11_S18_S1C_S1E_T6_T7_T9_mT8_S1G_bDpT10_ENKUlT_T0_E_clISt17integral_constantIbLb0EES1U_EEDaS1P_S1Q_EUlS1P_E_NS1_11comp_targetILNS1_3genE0ELNS1_11target_archE4294967295ELNS1_3gpuE0ELNS1_3repE0EEENS1_30default_config_static_selectorELNS0_4arch9wavefront6targetE0EEEvS12_, .Lfunc_end326-_ZN7rocprim17ROCPRIM_400000_NS6detail17trampoline_kernelINS0_13select_configILj256ELj13ELNS0_17block_load_methodE3ELS4_3ELS4_3ELNS0_20block_scan_algorithmE0ELj4294967295EEENS1_25partition_config_selectorILNS1_17partition_subalgoE4EjNS0_10empty_typeEbEEZZNS1_14partition_implILS8_4ELb0ES6_15HIP_vector_typeIjLj2EENS0_17counting_iteratorIjlEEPS9_SG_NS0_5tupleIJPjSI_NS0_16reverse_iteratorISI_EEEEENSH_IJSG_SG_SG_EEES9_SI_JZNS1_25segmented_radix_sort_implINS0_14default_configELb0EPKaPaPKlPlN2at6native12_GLOBAL__N_18offset_tEEE10hipError_tPvRmT1_PNSt15iterator_traitsIS12_E10value_typeET2_T3_PNS13_IS18_E10value_typeET4_jRbjT5_S1E_jjP12ihipStream_tbEUljE_ZNSN_ISO_Lb0ESQ_SR_ST_SU_SY_EESZ_S10_S11_S12_S16_S17_S18_S1B_S1C_jS1D_jS1E_S1E_jjS1G_bEUljE0_EEESZ_S10_S11_S18_S1C_S1E_T6_T7_T9_mT8_S1G_bDpT10_ENKUlT_T0_E_clISt17integral_constantIbLb0EES1U_EEDaS1P_S1Q_EUlS1P_E_NS1_11comp_targetILNS1_3genE0ELNS1_11target_archE4294967295ELNS1_3gpuE0ELNS1_3repE0EEENS1_30default_config_static_selectorELNS0_4arch9wavefront6targetE0EEEvS12_
                                        ; -- End function
	.set _ZN7rocprim17ROCPRIM_400000_NS6detail17trampoline_kernelINS0_13select_configILj256ELj13ELNS0_17block_load_methodE3ELS4_3ELS4_3ELNS0_20block_scan_algorithmE0ELj4294967295EEENS1_25partition_config_selectorILNS1_17partition_subalgoE4EjNS0_10empty_typeEbEEZZNS1_14partition_implILS8_4ELb0ES6_15HIP_vector_typeIjLj2EENS0_17counting_iteratorIjlEEPS9_SG_NS0_5tupleIJPjSI_NS0_16reverse_iteratorISI_EEEEENSH_IJSG_SG_SG_EEES9_SI_JZNS1_25segmented_radix_sort_implINS0_14default_configELb0EPKaPaPKlPlN2at6native12_GLOBAL__N_18offset_tEEE10hipError_tPvRmT1_PNSt15iterator_traitsIS12_E10value_typeET2_T3_PNS13_IS18_E10value_typeET4_jRbjT5_S1E_jjP12ihipStream_tbEUljE_ZNSN_ISO_Lb0ESQ_SR_ST_SU_SY_EESZ_S10_S11_S12_S16_S17_S18_S1B_S1C_jS1D_jS1E_S1E_jjS1G_bEUljE0_EEESZ_S10_S11_S18_S1C_S1E_T6_T7_T9_mT8_S1G_bDpT10_ENKUlT_T0_E_clISt17integral_constantIbLb0EES1U_EEDaS1P_S1Q_EUlS1P_E_NS1_11comp_targetILNS1_3genE0ELNS1_11target_archE4294967295ELNS1_3gpuE0ELNS1_3repE0EEENS1_30default_config_static_selectorELNS0_4arch9wavefront6targetE0EEEvS12_.num_vgpr, 0
	.set _ZN7rocprim17ROCPRIM_400000_NS6detail17trampoline_kernelINS0_13select_configILj256ELj13ELNS0_17block_load_methodE3ELS4_3ELS4_3ELNS0_20block_scan_algorithmE0ELj4294967295EEENS1_25partition_config_selectorILNS1_17partition_subalgoE4EjNS0_10empty_typeEbEEZZNS1_14partition_implILS8_4ELb0ES6_15HIP_vector_typeIjLj2EENS0_17counting_iteratorIjlEEPS9_SG_NS0_5tupleIJPjSI_NS0_16reverse_iteratorISI_EEEEENSH_IJSG_SG_SG_EEES9_SI_JZNS1_25segmented_radix_sort_implINS0_14default_configELb0EPKaPaPKlPlN2at6native12_GLOBAL__N_18offset_tEEE10hipError_tPvRmT1_PNSt15iterator_traitsIS12_E10value_typeET2_T3_PNS13_IS18_E10value_typeET4_jRbjT5_S1E_jjP12ihipStream_tbEUljE_ZNSN_ISO_Lb0ESQ_SR_ST_SU_SY_EESZ_S10_S11_S12_S16_S17_S18_S1B_S1C_jS1D_jS1E_S1E_jjS1G_bEUljE0_EEESZ_S10_S11_S18_S1C_S1E_T6_T7_T9_mT8_S1G_bDpT10_ENKUlT_T0_E_clISt17integral_constantIbLb0EES1U_EEDaS1P_S1Q_EUlS1P_E_NS1_11comp_targetILNS1_3genE0ELNS1_11target_archE4294967295ELNS1_3gpuE0ELNS1_3repE0EEENS1_30default_config_static_selectorELNS0_4arch9wavefront6targetE0EEEvS12_.num_agpr, 0
	.set _ZN7rocprim17ROCPRIM_400000_NS6detail17trampoline_kernelINS0_13select_configILj256ELj13ELNS0_17block_load_methodE3ELS4_3ELS4_3ELNS0_20block_scan_algorithmE0ELj4294967295EEENS1_25partition_config_selectorILNS1_17partition_subalgoE4EjNS0_10empty_typeEbEEZZNS1_14partition_implILS8_4ELb0ES6_15HIP_vector_typeIjLj2EENS0_17counting_iteratorIjlEEPS9_SG_NS0_5tupleIJPjSI_NS0_16reverse_iteratorISI_EEEEENSH_IJSG_SG_SG_EEES9_SI_JZNS1_25segmented_radix_sort_implINS0_14default_configELb0EPKaPaPKlPlN2at6native12_GLOBAL__N_18offset_tEEE10hipError_tPvRmT1_PNSt15iterator_traitsIS12_E10value_typeET2_T3_PNS13_IS18_E10value_typeET4_jRbjT5_S1E_jjP12ihipStream_tbEUljE_ZNSN_ISO_Lb0ESQ_SR_ST_SU_SY_EESZ_S10_S11_S12_S16_S17_S18_S1B_S1C_jS1D_jS1E_S1E_jjS1G_bEUljE0_EEESZ_S10_S11_S18_S1C_S1E_T6_T7_T9_mT8_S1G_bDpT10_ENKUlT_T0_E_clISt17integral_constantIbLb0EES1U_EEDaS1P_S1Q_EUlS1P_E_NS1_11comp_targetILNS1_3genE0ELNS1_11target_archE4294967295ELNS1_3gpuE0ELNS1_3repE0EEENS1_30default_config_static_selectorELNS0_4arch9wavefront6targetE0EEEvS12_.numbered_sgpr, 0
	.set _ZN7rocprim17ROCPRIM_400000_NS6detail17trampoline_kernelINS0_13select_configILj256ELj13ELNS0_17block_load_methodE3ELS4_3ELS4_3ELNS0_20block_scan_algorithmE0ELj4294967295EEENS1_25partition_config_selectorILNS1_17partition_subalgoE4EjNS0_10empty_typeEbEEZZNS1_14partition_implILS8_4ELb0ES6_15HIP_vector_typeIjLj2EENS0_17counting_iteratorIjlEEPS9_SG_NS0_5tupleIJPjSI_NS0_16reverse_iteratorISI_EEEEENSH_IJSG_SG_SG_EEES9_SI_JZNS1_25segmented_radix_sort_implINS0_14default_configELb0EPKaPaPKlPlN2at6native12_GLOBAL__N_18offset_tEEE10hipError_tPvRmT1_PNSt15iterator_traitsIS12_E10value_typeET2_T3_PNS13_IS18_E10value_typeET4_jRbjT5_S1E_jjP12ihipStream_tbEUljE_ZNSN_ISO_Lb0ESQ_SR_ST_SU_SY_EESZ_S10_S11_S12_S16_S17_S18_S1B_S1C_jS1D_jS1E_S1E_jjS1G_bEUljE0_EEESZ_S10_S11_S18_S1C_S1E_T6_T7_T9_mT8_S1G_bDpT10_ENKUlT_T0_E_clISt17integral_constantIbLb0EES1U_EEDaS1P_S1Q_EUlS1P_E_NS1_11comp_targetILNS1_3genE0ELNS1_11target_archE4294967295ELNS1_3gpuE0ELNS1_3repE0EEENS1_30default_config_static_selectorELNS0_4arch9wavefront6targetE0EEEvS12_.num_named_barrier, 0
	.set _ZN7rocprim17ROCPRIM_400000_NS6detail17trampoline_kernelINS0_13select_configILj256ELj13ELNS0_17block_load_methodE3ELS4_3ELS4_3ELNS0_20block_scan_algorithmE0ELj4294967295EEENS1_25partition_config_selectorILNS1_17partition_subalgoE4EjNS0_10empty_typeEbEEZZNS1_14partition_implILS8_4ELb0ES6_15HIP_vector_typeIjLj2EENS0_17counting_iteratorIjlEEPS9_SG_NS0_5tupleIJPjSI_NS0_16reverse_iteratorISI_EEEEENSH_IJSG_SG_SG_EEES9_SI_JZNS1_25segmented_radix_sort_implINS0_14default_configELb0EPKaPaPKlPlN2at6native12_GLOBAL__N_18offset_tEEE10hipError_tPvRmT1_PNSt15iterator_traitsIS12_E10value_typeET2_T3_PNS13_IS18_E10value_typeET4_jRbjT5_S1E_jjP12ihipStream_tbEUljE_ZNSN_ISO_Lb0ESQ_SR_ST_SU_SY_EESZ_S10_S11_S12_S16_S17_S18_S1B_S1C_jS1D_jS1E_S1E_jjS1G_bEUljE0_EEESZ_S10_S11_S18_S1C_S1E_T6_T7_T9_mT8_S1G_bDpT10_ENKUlT_T0_E_clISt17integral_constantIbLb0EES1U_EEDaS1P_S1Q_EUlS1P_E_NS1_11comp_targetILNS1_3genE0ELNS1_11target_archE4294967295ELNS1_3gpuE0ELNS1_3repE0EEENS1_30default_config_static_selectorELNS0_4arch9wavefront6targetE0EEEvS12_.private_seg_size, 0
	.set _ZN7rocprim17ROCPRIM_400000_NS6detail17trampoline_kernelINS0_13select_configILj256ELj13ELNS0_17block_load_methodE3ELS4_3ELS4_3ELNS0_20block_scan_algorithmE0ELj4294967295EEENS1_25partition_config_selectorILNS1_17partition_subalgoE4EjNS0_10empty_typeEbEEZZNS1_14partition_implILS8_4ELb0ES6_15HIP_vector_typeIjLj2EENS0_17counting_iteratorIjlEEPS9_SG_NS0_5tupleIJPjSI_NS0_16reverse_iteratorISI_EEEEENSH_IJSG_SG_SG_EEES9_SI_JZNS1_25segmented_radix_sort_implINS0_14default_configELb0EPKaPaPKlPlN2at6native12_GLOBAL__N_18offset_tEEE10hipError_tPvRmT1_PNSt15iterator_traitsIS12_E10value_typeET2_T3_PNS13_IS18_E10value_typeET4_jRbjT5_S1E_jjP12ihipStream_tbEUljE_ZNSN_ISO_Lb0ESQ_SR_ST_SU_SY_EESZ_S10_S11_S12_S16_S17_S18_S1B_S1C_jS1D_jS1E_S1E_jjS1G_bEUljE0_EEESZ_S10_S11_S18_S1C_S1E_T6_T7_T9_mT8_S1G_bDpT10_ENKUlT_T0_E_clISt17integral_constantIbLb0EES1U_EEDaS1P_S1Q_EUlS1P_E_NS1_11comp_targetILNS1_3genE0ELNS1_11target_archE4294967295ELNS1_3gpuE0ELNS1_3repE0EEENS1_30default_config_static_selectorELNS0_4arch9wavefront6targetE0EEEvS12_.uses_vcc, 0
	.set _ZN7rocprim17ROCPRIM_400000_NS6detail17trampoline_kernelINS0_13select_configILj256ELj13ELNS0_17block_load_methodE3ELS4_3ELS4_3ELNS0_20block_scan_algorithmE0ELj4294967295EEENS1_25partition_config_selectorILNS1_17partition_subalgoE4EjNS0_10empty_typeEbEEZZNS1_14partition_implILS8_4ELb0ES6_15HIP_vector_typeIjLj2EENS0_17counting_iteratorIjlEEPS9_SG_NS0_5tupleIJPjSI_NS0_16reverse_iteratorISI_EEEEENSH_IJSG_SG_SG_EEES9_SI_JZNS1_25segmented_radix_sort_implINS0_14default_configELb0EPKaPaPKlPlN2at6native12_GLOBAL__N_18offset_tEEE10hipError_tPvRmT1_PNSt15iterator_traitsIS12_E10value_typeET2_T3_PNS13_IS18_E10value_typeET4_jRbjT5_S1E_jjP12ihipStream_tbEUljE_ZNSN_ISO_Lb0ESQ_SR_ST_SU_SY_EESZ_S10_S11_S12_S16_S17_S18_S1B_S1C_jS1D_jS1E_S1E_jjS1G_bEUljE0_EEESZ_S10_S11_S18_S1C_S1E_T6_T7_T9_mT8_S1G_bDpT10_ENKUlT_T0_E_clISt17integral_constantIbLb0EES1U_EEDaS1P_S1Q_EUlS1P_E_NS1_11comp_targetILNS1_3genE0ELNS1_11target_archE4294967295ELNS1_3gpuE0ELNS1_3repE0EEENS1_30default_config_static_selectorELNS0_4arch9wavefront6targetE0EEEvS12_.uses_flat_scratch, 0
	.set _ZN7rocprim17ROCPRIM_400000_NS6detail17trampoline_kernelINS0_13select_configILj256ELj13ELNS0_17block_load_methodE3ELS4_3ELS4_3ELNS0_20block_scan_algorithmE0ELj4294967295EEENS1_25partition_config_selectorILNS1_17partition_subalgoE4EjNS0_10empty_typeEbEEZZNS1_14partition_implILS8_4ELb0ES6_15HIP_vector_typeIjLj2EENS0_17counting_iteratorIjlEEPS9_SG_NS0_5tupleIJPjSI_NS0_16reverse_iteratorISI_EEEEENSH_IJSG_SG_SG_EEES9_SI_JZNS1_25segmented_radix_sort_implINS0_14default_configELb0EPKaPaPKlPlN2at6native12_GLOBAL__N_18offset_tEEE10hipError_tPvRmT1_PNSt15iterator_traitsIS12_E10value_typeET2_T3_PNS13_IS18_E10value_typeET4_jRbjT5_S1E_jjP12ihipStream_tbEUljE_ZNSN_ISO_Lb0ESQ_SR_ST_SU_SY_EESZ_S10_S11_S12_S16_S17_S18_S1B_S1C_jS1D_jS1E_S1E_jjS1G_bEUljE0_EEESZ_S10_S11_S18_S1C_S1E_T6_T7_T9_mT8_S1G_bDpT10_ENKUlT_T0_E_clISt17integral_constantIbLb0EES1U_EEDaS1P_S1Q_EUlS1P_E_NS1_11comp_targetILNS1_3genE0ELNS1_11target_archE4294967295ELNS1_3gpuE0ELNS1_3repE0EEENS1_30default_config_static_selectorELNS0_4arch9wavefront6targetE0EEEvS12_.has_dyn_sized_stack, 0
	.set _ZN7rocprim17ROCPRIM_400000_NS6detail17trampoline_kernelINS0_13select_configILj256ELj13ELNS0_17block_load_methodE3ELS4_3ELS4_3ELNS0_20block_scan_algorithmE0ELj4294967295EEENS1_25partition_config_selectorILNS1_17partition_subalgoE4EjNS0_10empty_typeEbEEZZNS1_14partition_implILS8_4ELb0ES6_15HIP_vector_typeIjLj2EENS0_17counting_iteratorIjlEEPS9_SG_NS0_5tupleIJPjSI_NS0_16reverse_iteratorISI_EEEEENSH_IJSG_SG_SG_EEES9_SI_JZNS1_25segmented_radix_sort_implINS0_14default_configELb0EPKaPaPKlPlN2at6native12_GLOBAL__N_18offset_tEEE10hipError_tPvRmT1_PNSt15iterator_traitsIS12_E10value_typeET2_T3_PNS13_IS18_E10value_typeET4_jRbjT5_S1E_jjP12ihipStream_tbEUljE_ZNSN_ISO_Lb0ESQ_SR_ST_SU_SY_EESZ_S10_S11_S12_S16_S17_S18_S1B_S1C_jS1D_jS1E_S1E_jjS1G_bEUljE0_EEESZ_S10_S11_S18_S1C_S1E_T6_T7_T9_mT8_S1G_bDpT10_ENKUlT_T0_E_clISt17integral_constantIbLb0EES1U_EEDaS1P_S1Q_EUlS1P_E_NS1_11comp_targetILNS1_3genE0ELNS1_11target_archE4294967295ELNS1_3gpuE0ELNS1_3repE0EEENS1_30default_config_static_selectorELNS0_4arch9wavefront6targetE0EEEvS12_.has_recursion, 0
	.set _ZN7rocprim17ROCPRIM_400000_NS6detail17trampoline_kernelINS0_13select_configILj256ELj13ELNS0_17block_load_methodE3ELS4_3ELS4_3ELNS0_20block_scan_algorithmE0ELj4294967295EEENS1_25partition_config_selectorILNS1_17partition_subalgoE4EjNS0_10empty_typeEbEEZZNS1_14partition_implILS8_4ELb0ES6_15HIP_vector_typeIjLj2EENS0_17counting_iteratorIjlEEPS9_SG_NS0_5tupleIJPjSI_NS0_16reverse_iteratorISI_EEEEENSH_IJSG_SG_SG_EEES9_SI_JZNS1_25segmented_radix_sort_implINS0_14default_configELb0EPKaPaPKlPlN2at6native12_GLOBAL__N_18offset_tEEE10hipError_tPvRmT1_PNSt15iterator_traitsIS12_E10value_typeET2_T3_PNS13_IS18_E10value_typeET4_jRbjT5_S1E_jjP12ihipStream_tbEUljE_ZNSN_ISO_Lb0ESQ_SR_ST_SU_SY_EESZ_S10_S11_S12_S16_S17_S18_S1B_S1C_jS1D_jS1E_S1E_jjS1G_bEUljE0_EEESZ_S10_S11_S18_S1C_S1E_T6_T7_T9_mT8_S1G_bDpT10_ENKUlT_T0_E_clISt17integral_constantIbLb0EES1U_EEDaS1P_S1Q_EUlS1P_E_NS1_11comp_targetILNS1_3genE0ELNS1_11target_archE4294967295ELNS1_3gpuE0ELNS1_3repE0EEENS1_30default_config_static_selectorELNS0_4arch9wavefront6targetE0EEEvS12_.has_indirect_call, 0
	.section	.AMDGPU.csdata,"",@progbits
; Kernel info:
; codeLenInByte = 0
; TotalNumSgprs: 0
; NumVgprs: 0
; ScratchSize: 0
; MemoryBound: 0
; FloatMode: 240
; IeeeMode: 1
; LDSByteSize: 0 bytes/workgroup (compile time only)
; SGPRBlocks: 0
; VGPRBlocks: 0
; NumSGPRsForWavesPerEU: 1
; NumVGPRsForWavesPerEU: 1
; Occupancy: 16
; WaveLimiterHint : 0
; COMPUTE_PGM_RSRC2:SCRATCH_EN: 0
; COMPUTE_PGM_RSRC2:USER_SGPR: 6
; COMPUTE_PGM_RSRC2:TRAP_HANDLER: 0
; COMPUTE_PGM_RSRC2:TGID_X_EN: 1
; COMPUTE_PGM_RSRC2:TGID_Y_EN: 0
; COMPUTE_PGM_RSRC2:TGID_Z_EN: 0
; COMPUTE_PGM_RSRC2:TIDIG_COMP_CNT: 0
	.section	.text._ZN7rocprim17ROCPRIM_400000_NS6detail17trampoline_kernelINS0_13select_configILj256ELj13ELNS0_17block_load_methodE3ELS4_3ELS4_3ELNS0_20block_scan_algorithmE0ELj4294967295EEENS1_25partition_config_selectorILNS1_17partition_subalgoE4EjNS0_10empty_typeEbEEZZNS1_14partition_implILS8_4ELb0ES6_15HIP_vector_typeIjLj2EENS0_17counting_iteratorIjlEEPS9_SG_NS0_5tupleIJPjSI_NS0_16reverse_iteratorISI_EEEEENSH_IJSG_SG_SG_EEES9_SI_JZNS1_25segmented_radix_sort_implINS0_14default_configELb0EPKaPaPKlPlN2at6native12_GLOBAL__N_18offset_tEEE10hipError_tPvRmT1_PNSt15iterator_traitsIS12_E10value_typeET2_T3_PNS13_IS18_E10value_typeET4_jRbjT5_S1E_jjP12ihipStream_tbEUljE_ZNSN_ISO_Lb0ESQ_SR_ST_SU_SY_EESZ_S10_S11_S12_S16_S17_S18_S1B_S1C_jS1D_jS1E_S1E_jjS1G_bEUljE0_EEESZ_S10_S11_S18_S1C_S1E_T6_T7_T9_mT8_S1G_bDpT10_ENKUlT_T0_E_clISt17integral_constantIbLb0EES1U_EEDaS1P_S1Q_EUlS1P_E_NS1_11comp_targetILNS1_3genE5ELNS1_11target_archE942ELNS1_3gpuE9ELNS1_3repE0EEENS1_30default_config_static_selectorELNS0_4arch9wavefront6targetE0EEEvS12_,"axG",@progbits,_ZN7rocprim17ROCPRIM_400000_NS6detail17trampoline_kernelINS0_13select_configILj256ELj13ELNS0_17block_load_methodE3ELS4_3ELS4_3ELNS0_20block_scan_algorithmE0ELj4294967295EEENS1_25partition_config_selectorILNS1_17partition_subalgoE4EjNS0_10empty_typeEbEEZZNS1_14partition_implILS8_4ELb0ES6_15HIP_vector_typeIjLj2EENS0_17counting_iteratorIjlEEPS9_SG_NS0_5tupleIJPjSI_NS0_16reverse_iteratorISI_EEEEENSH_IJSG_SG_SG_EEES9_SI_JZNS1_25segmented_radix_sort_implINS0_14default_configELb0EPKaPaPKlPlN2at6native12_GLOBAL__N_18offset_tEEE10hipError_tPvRmT1_PNSt15iterator_traitsIS12_E10value_typeET2_T3_PNS13_IS18_E10value_typeET4_jRbjT5_S1E_jjP12ihipStream_tbEUljE_ZNSN_ISO_Lb0ESQ_SR_ST_SU_SY_EESZ_S10_S11_S12_S16_S17_S18_S1B_S1C_jS1D_jS1E_S1E_jjS1G_bEUljE0_EEESZ_S10_S11_S18_S1C_S1E_T6_T7_T9_mT8_S1G_bDpT10_ENKUlT_T0_E_clISt17integral_constantIbLb0EES1U_EEDaS1P_S1Q_EUlS1P_E_NS1_11comp_targetILNS1_3genE5ELNS1_11target_archE942ELNS1_3gpuE9ELNS1_3repE0EEENS1_30default_config_static_selectorELNS0_4arch9wavefront6targetE0EEEvS12_,comdat
	.globl	_ZN7rocprim17ROCPRIM_400000_NS6detail17trampoline_kernelINS0_13select_configILj256ELj13ELNS0_17block_load_methodE3ELS4_3ELS4_3ELNS0_20block_scan_algorithmE0ELj4294967295EEENS1_25partition_config_selectorILNS1_17partition_subalgoE4EjNS0_10empty_typeEbEEZZNS1_14partition_implILS8_4ELb0ES6_15HIP_vector_typeIjLj2EENS0_17counting_iteratorIjlEEPS9_SG_NS0_5tupleIJPjSI_NS0_16reverse_iteratorISI_EEEEENSH_IJSG_SG_SG_EEES9_SI_JZNS1_25segmented_radix_sort_implINS0_14default_configELb0EPKaPaPKlPlN2at6native12_GLOBAL__N_18offset_tEEE10hipError_tPvRmT1_PNSt15iterator_traitsIS12_E10value_typeET2_T3_PNS13_IS18_E10value_typeET4_jRbjT5_S1E_jjP12ihipStream_tbEUljE_ZNSN_ISO_Lb0ESQ_SR_ST_SU_SY_EESZ_S10_S11_S12_S16_S17_S18_S1B_S1C_jS1D_jS1E_S1E_jjS1G_bEUljE0_EEESZ_S10_S11_S18_S1C_S1E_T6_T7_T9_mT8_S1G_bDpT10_ENKUlT_T0_E_clISt17integral_constantIbLb0EES1U_EEDaS1P_S1Q_EUlS1P_E_NS1_11comp_targetILNS1_3genE5ELNS1_11target_archE942ELNS1_3gpuE9ELNS1_3repE0EEENS1_30default_config_static_selectorELNS0_4arch9wavefront6targetE0EEEvS12_ ; -- Begin function _ZN7rocprim17ROCPRIM_400000_NS6detail17trampoline_kernelINS0_13select_configILj256ELj13ELNS0_17block_load_methodE3ELS4_3ELS4_3ELNS0_20block_scan_algorithmE0ELj4294967295EEENS1_25partition_config_selectorILNS1_17partition_subalgoE4EjNS0_10empty_typeEbEEZZNS1_14partition_implILS8_4ELb0ES6_15HIP_vector_typeIjLj2EENS0_17counting_iteratorIjlEEPS9_SG_NS0_5tupleIJPjSI_NS0_16reverse_iteratorISI_EEEEENSH_IJSG_SG_SG_EEES9_SI_JZNS1_25segmented_radix_sort_implINS0_14default_configELb0EPKaPaPKlPlN2at6native12_GLOBAL__N_18offset_tEEE10hipError_tPvRmT1_PNSt15iterator_traitsIS12_E10value_typeET2_T3_PNS13_IS18_E10value_typeET4_jRbjT5_S1E_jjP12ihipStream_tbEUljE_ZNSN_ISO_Lb0ESQ_SR_ST_SU_SY_EESZ_S10_S11_S12_S16_S17_S18_S1B_S1C_jS1D_jS1E_S1E_jjS1G_bEUljE0_EEESZ_S10_S11_S18_S1C_S1E_T6_T7_T9_mT8_S1G_bDpT10_ENKUlT_T0_E_clISt17integral_constantIbLb0EES1U_EEDaS1P_S1Q_EUlS1P_E_NS1_11comp_targetILNS1_3genE5ELNS1_11target_archE942ELNS1_3gpuE9ELNS1_3repE0EEENS1_30default_config_static_selectorELNS0_4arch9wavefront6targetE0EEEvS12_
	.p2align	8
	.type	_ZN7rocprim17ROCPRIM_400000_NS6detail17trampoline_kernelINS0_13select_configILj256ELj13ELNS0_17block_load_methodE3ELS4_3ELS4_3ELNS0_20block_scan_algorithmE0ELj4294967295EEENS1_25partition_config_selectorILNS1_17partition_subalgoE4EjNS0_10empty_typeEbEEZZNS1_14partition_implILS8_4ELb0ES6_15HIP_vector_typeIjLj2EENS0_17counting_iteratorIjlEEPS9_SG_NS0_5tupleIJPjSI_NS0_16reverse_iteratorISI_EEEEENSH_IJSG_SG_SG_EEES9_SI_JZNS1_25segmented_radix_sort_implINS0_14default_configELb0EPKaPaPKlPlN2at6native12_GLOBAL__N_18offset_tEEE10hipError_tPvRmT1_PNSt15iterator_traitsIS12_E10value_typeET2_T3_PNS13_IS18_E10value_typeET4_jRbjT5_S1E_jjP12ihipStream_tbEUljE_ZNSN_ISO_Lb0ESQ_SR_ST_SU_SY_EESZ_S10_S11_S12_S16_S17_S18_S1B_S1C_jS1D_jS1E_S1E_jjS1G_bEUljE0_EEESZ_S10_S11_S18_S1C_S1E_T6_T7_T9_mT8_S1G_bDpT10_ENKUlT_T0_E_clISt17integral_constantIbLb0EES1U_EEDaS1P_S1Q_EUlS1P_E_NS1_11comp_targetILNS1_3genE5ELNS1_11target_archE942ELNS1_3gpuE9ELNS1_3repE0EEENS1_30default_config_static_selectorELNS0_4arch9wavefront6targetE0EEEvS12_,@function
_ZN7rocprim17ROCPRIM_400000_NS6detail17trampoline_kernelINS0_13select_configILj256ELj13ELNS0_17block_load_methodE3ELS4_3ELS4_3ELNS0_20block_scan_algorithmE0ELj4294967295EEENS1_25partition_config_selectorILNS1_17partition_subalgoE4EjNS0_10empty_typeEbEEZZNS1_14partition_implILS8_4ELb0ES6_15HIP_vector_typeIjLj2EENS0_17counting_iteratorIjlEEPS9_SG_NS0_5tupleIJPjSI_NS0_16reverse_iteratorISI_EEEEENSH_IJSG_SG_SG_EEES9_SI_JZNS1_25segmented_radix_sort_implINS0_14default_configELb0EPKaPaPKlPlN2at6native12_GLOBAL__N_18offset_tEEE10hipError_tPvRmT1_PNSt15iterator_traitsIS12_E10value_typeET2_T3_PNS13_IS18_E10value_typeET4_jRbjT5_S1E_jjP12ihipStream_tbEUljE_ZNSN_ISO_Lb0ESQ_SR_ST_SU_SY_EESZ_S10_S11_S12_S16_S17_S18_S1B_S1C_jS1D_jS1E_S1E_jjS1G_bEUljE0_EEESZ_S10_S11_S18_S1C_S1E_T6_T7_T9_mT8_S1G_bDpT10_ENKUlT_T0_E_clISt17integral_constantIbLb0EES1U_EEDaS1P_S1Q_EUlS1P_E_NS1_11comp_targetILNS1_3genE5ELNS1_11target_archE942ELNS1_3gpuE9ELNS1_3repE0EEENS1_30default_config_static_selectorELNS0_4arch9wavefront6targetE0EEEvS12_: ; @_ZN7rocprim17ROCPRIM_400000_NS6detail17trampoline_kernelINS0_13select_configILj256ELj13ELNS0_17block_load_methodE3ELS4_3ELS4_3ELNS0_20block_scan_algorithmE0ELj4294967295EEENS1_25partition_config_selectorILNS1_17partition_subalgoE4EjNS0_10empty_typeEbEEZZNS1_14partition_implILS8_4ELb0ES6_15HIP_vector_typeIjLj2EENS0_17counting_iteratorIjlEEPS9_SG_NS0_5tupleIJPjSI_NS0_16reverse_iteratorISI_EEEEENSH_IJSG_SG_SG_EEES9_SI_JZNS1_25segmented_radix_sort_implINS0_14default_configELb0EPKaPaPKlPlN2at6native12_GLOBAL__N_18offset_tEEE10hipError_tPvRmT1_PNSt15iterator_traitsIS12_E10value_typeET2_T3_PNS13_IS18_E10value_typeET4_jRbjT5_S1E_jjP12ihipStream_tbEUljE_ZNSN_ISO_Lb0ESQ_SR_ST_SU_SY_EESZ_S10_S11_S12_S16_S17_S18_S1B_S1C_jS1D_jS1E_S1E_jjS1G_bEUljE0_EEESZ_S10_S11_S18_S1C_S1E_T6_T7_T9_mT8_S1G_bDpT10_ENKUlT_T0_E_clISt17integral_constantIbLb0EES1U_EEDaS1P_S1Q_EUlS1P_E_NS1_11comp_targetILNS1_3genE5ELNS1_11target_archE942ELNS1_3gpuE9ELNS1_3repE0EEENS1_30default_config_static_selectorELNS0_4arch9wavefront6targetE0EEEvS12_
; %bb.0:
	.section	.rodata,"a",@progbits
	.p2align	6, 0x0
	.amdhsa_kernel _ZN7rocprim17ROCPRIM_400000_NS6detail17trampoline_kernelINS0_13select_configILj256ELj13ELNS0_17block_load_methodE3ELS4_3ELS4_3ELNS0_20block_scan_algorithmE0ELj4294967295EEENS1_25partition_config_selectorILNS1_17partition_subalgoE4EjNS0_10empty_typeEbEEZZNS1_14partition_implILS8_4ELb0ES6_15HIP_vector_typeIjLj2EENS0_17counting_iteratorIjlEEPS9_SG_NS0_5tupleIJPjSI_NS0_16reverse_iteratorISI_EEEEENSH_IJSG_SG_SG_EEES9_SI_JZNS1_25segmented_radix_sort_implINS0_14default_configELb0EPKaPaPKlPlN2at6native12_GLOBAL__N_18offset_tEEE10hipError_tPvRmT1_PNSt15iterator_traitsIS12_E10value_typeET2_T3_PNS13_IS18_E10value_typeET4_jRbjT5_S1E_jjP12ihipStream_tbEUljE_ZNSN_ISO_Lb0ESQ_SR_ST_SU_SY_EESZ_S10_S11_S12_S16_S17_S18_S1B_S1C_jS1D_jS1E_S1E_jjS1G_bEUljE0_EEESZ_S10_S11_S18_S1C_S1E_T6_T7_T9_mT8_S1G_bDpT10_ENKUlT_T0_E_clISt17integral_constantIbLb0EES1U_EEDaS1P_S1Q_EUlS1P_E_NS1_11comp_targetILNS1_3genE5ELNS1_11target_archE942ELNS1_3gpuE9ELNS1_3repE0EEENS1_30default_config_static_selectorELNS0_4arch9wavefront6targetE0EEEvS12_
		.amdhsa_group_segment_fixed_size 0
		.amdhsa_private_segment_fixed_size 0
		.amdhsa_kernarg_size 176
		.amdhsa_user_sgpr_count 6
		.amdhsa_user_sgpr_private_segment_buffer 1
		.amdhsa_user_sgpr_dispatch_ptr 0
		.amdhsa_user_sgpr_queue_ptr 0
		.amdhsa_user_sgpr_kernarg_segment_ptr 1
		.amdhsa_user_sgpr_dispatch_id 0
		.amdhsa_user_sgpr_flat_scratch_init 0
		.amdhsa_user_sgpr_private_segment_size 0
		.amdhsa_wavefront_size32 1
		.amdhsa_uses_dynamic_stack 0
		.amdhsa_system_sgpr_private_segment_wavefront_offset 0
		.amdhsa_system_sgpr_workgroup_id_x 1
		.amdhsa_system_sgpr_workgroup_id_y 0
		.amdhsa_system_sgpr_workgroup_id_z 0
		.amdhsa_system_sgpr_workgroup_info 0
		.amdhsa_system_vgpr_workitem_id 0
		.amdhsa_next_free_vgpr 1
		.amdhsa_next_free_sgpr 1
		.amdhsa_reserve_vcc 0
		.amdhsa_reserve_flat_scratch 0
		.amdhsa_float_round_mode_32 0
		.amdhsa_float_round_mode_16_64 0
		.amdhsa_float_denorm_mode_32 3
		.amdhsa_float_denorm_mode_16_64 3
		.amdhsa_dx10_clamp 1
		.amdhsa_ieee_mode 1
		.amdhsa_fp16_overflow 0
		.amdhsa_workgroup_processor_mode 1
		.amdhsa_memory_ordered 1
		.amdhsa_forward_progress 1
		.amdhsa_shared_vgpr_count 0
		.amdhsa_exception_fp_ieee_invalid_op 0
		.amdhsa_exception_fp_denorm_src 0
		.amdhsa_exception_fp_ieee_div_zero 0
		.amdhsa_exception_fp_ieee_overflow 0
		.amdhsa_exception_fp_ieee_underflow 0
		.amdhsa_exception_fp_ieee_inexact 0
		.amdhsa_exception_int_div_zero 0
	.end_amdhsa_kernel
	.section	.text._ZN7rocprim17ROCPRIM_400000_NS6detail17trampoline_kernelINS0_13select_configILj256ELj13ELNS0_17block_load_methodE3ELS4_3ELS4_3ELNS0_20block_scan_algorithmE0ELj4294967295EEENS1_25partition_config_selectorILNS1_17partition_subalgoE4EjNS0_10empty_typeEbEEZZNS1_14partition_implILS8_4ELb0ES6_15HIP_vector_typeIjLj2EENS0_17counting_iteratorIjlEEPS9_SG_NS0_5tupleIJPjSI_NS0_16reverse_iteratorISI_EEEEENSH_IJSG_SG_SG_EEES9_SI_JZNS1_25segmented_radix_sort_implINS0_14default_configELb0EPKaPaPKlPlN2at6native12_GLOBAL__N_18offset_tEEE10hipError_tPvRmT1_PNSt15iterator_traitsIS12_E10value_typeET2_T3_PNS13_IS18_E10value_typeET4_jRbjT5_S1E_jjP12ihipStream_tbEUljE_ZNSN_ISO_Lb0ESQ_SR_ST_SU_SY_EESZ_S10_S11_S12_S16_S17_S18_S1B_S1C_jS1D_jS1E_S1E_jjS1G_bEUljE0_EEESZ_S10_S11_S18_S1C_S1E_T6_T7_T9_mT8_S1G_bDpT10_ENKUlT_T0_E_clISt17integral_constantIbLb0EES1U_EEDaS1P_S1Q_EUlS1P_E_NS1_11comp_targetILNS1_3genE5ELNS1_11target_archE942ELNS1_3gpuE9ELNS1_3repE0EEENS1_30default_config_static_selectorELNS0_4arch9wavefront6targetE0EEEvS12_,"axG",@progbits,_ZN7rocprim17ROCPRIM_400000_NS6detail17trampoline_kernelINS0_13select_configILj256ELj13ELNS0_17block_load_methodE3ELS4_3ELS4_3ELNS0_20block_scan_algorithmE0ELj4294967295EEENS1_25partition_config_selectorILNS1_17partition_subalgoE4EjNS0_10empty_typeEbEEZZNS1_14partition_implILS8_4ELb0ES6_15HIP_vector_typeIjLj2EENS0_17counting_iteratorIjlEEPS9_SG_NS0_5tupleIJPjSI_NS0_16reverse_iteratorISI_EEEEENSH_IJSG_SG_SG_EEES9_SI_JZNS1_25segmented_radix_sort_implINS0_14default_configELb0EPKaPaPKlPlN2at6native12_GLOBAL__N_18offset_tEEE10hipError_tPvRmT1_PNSt15iterator_traitsIS12_E10value_typeET2_T3_PNS13_IS18_E10value_typeET4_jRbjT5_S1E_jjP12ihipStream_tbEUljE_ZNSN_ISO_Lb0ESQ_SR_ST_SU_SY_EESZ_S10_S11_S12_S16_S17_S18_S1B_S1C_jS1D_jS1E_S1E_jjS1G_bEUljE0_EEESZ_S10_S11_S18_S1C_S1E_T6_T7_T9_mT8_S1G_bDpT10_ENKUlT_T0_E_clISt17integral_constantIbLb0EES1U_EEDaS1P_S1Q_EUlS1P_E_NS1_11comp_targetILNS1_3genE5ELNS1_11target_archE942ELNS1_3gpuE9ELNS1_3repE0EEENS1_30default_config_static_selectorELNS0_4arch9wavefront6targetE0EEEvS12_,comdat
.Lfunc_end327:
	.size	_ZN7rocprim17ROCPRIM_400000_NS6detail17trampoline_kernelINS0_13select_configILj256ELj13ELNS0_17block_load_methodE3ELS4_3ELS4_3ELNS0_20block_scan_algorithmE0ELj4294967295EEENS1_25partition_config_selectorILNS1_17partition_subalgoE4EjNS0_10empty_typeEbEEZZNS1_14partition_implILS8_4ELb0ES6_15HIP_vector_typeIjLj2EENS0_17counting_iteratorIjlEEPS9_SG_NS0_5tupleIJPjSI_NS0_16reverse_iteratorISI_EEEEENSH_IJSG_SG_SG_EEES9_SI_JZNS1_25segmented_radix_sort_implINS0_14default_configELb0EPKaPaPKlPlN2at6native12_GLOBAL__N_18offset_tEEE10hipError_tPvRmT1_PNSt15iterator_traitsIS12_E10value_typeET2_T3_PNS13_IS18_E10value_typeET4_jRbjT5_S1E_jjP12ihipStream_tbEUljE_ZNSN_ISO_Lb0ESQ_SR_ST_SU_SY_EESZ_S10_S11_S12_S16_S17_S18_S1B_S1C_jS1D_jS1E_S1E_jjS1G_bEUljE0_EEESZ_S10_S11_S18_S1C_S1E_T6_T7_T9_mT8_S1G_bDpT10_ENKUlT_T0_E_clISt17integral_constantIbLb0EES1U_EEDaS1P_S1Q_EUlS1P_E_NS1_11comp_targetILNS1_3genE5ELNS1_11target_archE942ELNS1_3gpuE9ELNS1_3repE0EEENS1_30default_config_static_selectorELNS0_4arch9wavefront6targetE0EEEvS12_, .Lfunc_end327-_ZN7rocprim17ROCPRIM_400000_NS6detail17trampoline_kernelINS0_13select_configILj256ELj13ELNS0_17block_load_methodE3ELS4_3ELS4_3ELNS0_20block_scan_algorithmE0ELj4294967295EEENS1_25partition_config_selectorILNS1_17partition_subalgoE4EjNS0_10empty_typeEbEEZZNS1_14partition_implILS8_4ELb0ES6_15HIP_vector_typeIjLj2EENS0_17counting_iteratorIjlEEPS9_SG_NS0_5tupleIJPjSI_NS0_16reverse_iteratorISI_EEEEENSH_IJSG_SG_SG_EEES9_SI_JZNS1_25segmented_radix_sort_implINS0_14default_configELb0EPKaPaPKlPlN2at6native12_GLOBAL__N_18offset_tEEE10hipError_tPvRmT1_PNSt15iterator_traitsIS12_E10value_typeET2_T3_PNS13_IS18_E10value_typeET4_jRbjT5_S1E_jjP12ihipStream_tbEUljE_ZNSN_ISO_Lb0ESQ_SR_ST_SU_SY_EESZ_S10_S11_S12_S16_S17_S18_S1B_S1C_jS1D_jS1E_S1E_jjS1G_bEUljE0_EEESZ_S10_S11_S18_S1C_S1E_T6_T7_T9_mT8_S1G_bDpT10_ENKUlT_T0_E_clISt17integral_constantIbLb0EES1U_EEDaS1P_S1Q_EUlS1P_E_NS1_11comp_targetILNS1_3genE5ELNS1_11target_archE942ELNS1_3gpuE9ELNS1_3repE0EEENS1_30default_config_static_selectorELNS0_4arch9wavefront6targetE0EEEvS12_
                                        ; -- End function
	.set _ZN7rocprim17ROCPRIM_400000_NS6detail17trampoline_kernelINS0_13select_configILj256ELj13ELNS0_17block_load_methodE3ELS4_3ELS4_3ELNS0_20block_scan_algorithmE0ELj4294967295EEENS1_25partition_config_selectorILNS1_17partition_subalgoE4EjNS0_10empty_typeEbEEZZNS1_14partition_implILS8_4ELb0ES6_15HIP_vector_typeIjLj2EENS0_17counting_iteratorIjlEEPS9_SG_NS0_5tupleIJPjSI_NS0_16reverse_iteratorISI_EEEEENSH_IJSG_SG_SG_EEES9_SI_JZNS1_25segmented_radix_sort_implINS0_14default_configELb0EPKaPaPKlPlN2at6native12_GLOBAL__N_18offset_tEEE10hipError_tPvRmT1_PNSt15iterator_traitsIS12_E10value_typeET2_T3_PNS13_IS18_E10value_typeET4_jRbjT5_S1E_jjP12ihipStream_tbEUljE_ZNSN_ISO_Lb0ESQ_SR_ST_SU_SY_EESZ_S10_S11_S12_S16_S17_S18_S1B_S1C_jS1D_jS1E_S1E_jjS1G_bEUljE0_EEESZ_S10_S11_S18_S1C_S1E_T6_T7_T9_mT8_S1G_bDpT10_ENKUlT_T0_E_clISt17integral_constantIbLb0EES1U_EEDaS1P_S1Q_EUlS1P_E_NS1_11comp_targetILNS1_3genE5ELNS1_11target_archE942ELNS1_3gpuE9ELNS1_3repE0EEENS1_30default_config_static_selectorELNS0_4arch9wavefront6targetE0EEEvS12_.num_vgpr, 0
	.set _ZN7rocprim17ROCPRIM_400000_NS6detail17trampoline_kernelINS0_13select_configILj256ELj13ELNS0_17block_load_methodE3ELS4_3ELS4_3ELNS0_20block_scan_algorithmE0ELj4294967295EEENS1_25partition_config_selectorILNS1_17partition_subalgoE4EjNS0_10empty_typeEbEEZZNS1_14partition_implILS8_4ELb0ES6_15HIP_vector_typeIjLj2EENS0_17counting_iteratorIjlEEPS9_SG_NS0_5tupleIJPjSI_NS0_16reverse_iteratorISI_EEEEENSH_IJSG_SG_SG_EEES9_SI_JZNS1_25segmented_radix_sort_implINS0_14default_configELb0EPKaPaPKlPlN2at6native12_GLOBAL__N_18offset_tEEE10hipError_tPvRmT1_PNSt15iterator_traitsIS12_E10value_typeET2_T3_PNS13_IS18_E10value_typeET4_jRbjT5_S1E_jjP12ihipStream_tbEUljE_ZNSN_ISO_Lb0ESQ_SR_ST_SU_SY_EESZ_S10_S11_S12_S16_S17_S18_S1B_S1C_jS1D_jS1E_S1E_jjS1G_bEUljE0_EEESZ_S10_S11_S18_S1C_S1E_T6_T7_T9_mT8_S1G_bDpT10_ENKUlT_T0_E_clISt17integral_constantIbLb0EES1U_EEDaS1P_S1Q_EUlS1P_E_NS1_11comp_targetILNS1_3genE5ELNS1_11target_archE942ELNS1_3gpuE9ELNS1_3repE0EEENS1_30default_config_static_selectorELNS0_4arch9wavefront6targetE0EEEvS12_.num_agpr, 0
	.set _ZN7rocprim17ROCPRIM_400000_NS6detail17trampoline_kernelINS0_13select_configILj256ELj13ELNS0_17block_load_methodE3ELS4_3ELS4_3ELNS0_20block_scan_algorithmE0ELj4294967295EEENS1_25partition_config_selectorILNS1_17partition_subalgoE4EjNS0_10empty_typeEbEEZZNS1_14partition_implILS8_4ELb0ES6_15HIP_vector_typeIjLj2EENS0_17counting_iteratorIjlEEPS9_SG_NS0_5tupleIJPjSI_NS0_16reverse_iteratorISI_EEEEENSH_IJSG_SG_SG_EEES9_SI_JZNS1_25segmented_radix_sort_implINS0_14default_configELb0EPKaPaPKlPlN2at6native12_GLOBAL__N_18offset_tEEE10hipError_tPvRmT1_PNSt15iterator_traitsIS12_E10value_typeET2_T3_PNS13_IS18_E10value_typeET4_jRbjT5_S1E_jjP12ihipStream_tbEUljE_ZNSN_ISO_Lb0ESQ_SR_ST_SU_SY_EESZ_S10_S11_S12_S16_S17_S18_S1B_S1C_jS1D_jS1E_S1E_jjS1G_bEUljE0_EEESZ_S10_S11_S18_S1C_S1E_T6_T7_T9_mT8_S1G_bDpT10_ENKUlT_T0_E_clISt17integral_constantIbLb0EES1U_EEDaS1P_S1Q_EUlS1P_E_NS1_11comp_targetILNS1_3genE5ELNS1_11target_archE942ELNS1_3gpuE9ELNS1_3repE0EEENS1_30default_config_static_selectorELNS0_4arch9wavefront6targetE0EEEvS12_.numbered_sgpr, 0
	.set _ZN7rocprim17ROCPRIM_400000_NS6detail17trampoline_kernelINS0_13select_configILj256ELj13ELNS0_17block_load_methodE3ELS4_3ELS4_3ELNS0_20block_scan_algorithmE0ELj4294967295EEENS1_25partition_config_selectorILNS1_17partition_subalgoE4EjNS0_10empty_typeEbEEZZNS1_14partition_implILS8_4ELb0ES6_15HIP_vector_typeIjLj2EENS0_17counting_iteratorIjlEEPS9_SG_NS0_5tupleIJPjSI_NS0_16reverse_iteratorISI_EEEEENSH_IJSG_SG_SG_EEES9_SI_JZNS1_25segmented_radix_sort_implINS0_14default_configELb0EPKaPaPKlPlN2at6native12_GLOBAL__N_18offset_tEEE10hipError_tPvRmT1_PNSt15iterator_traitsIS12_E10value_typeET2_T3_PNS13_IS18_E10value_typeET4_jRbjT5_S1E_jjP12ihipStream_tbEUljE_ZNSN_ISO_Lb0ESQ_SR_ST_SU_SY_EESZ_S10_S11_S12_S16_S17_S18_S1B_S1C_jS1D_jS1E_S1E_jjS1G_bEUljE0_EEESZ_S10_S11_S18_S1C_S1E_T6_T7_T9_mT8_S1G_bDpT10_ENKUlT_T0_E_clISt17integral_constantIbLb0EES1U_EEDaS1P_S1Q_EUlS1P_E_NS1_11comp_targetILNS1_3genE5ELNS1_11target_archE942ELNS1_3gpuE9ELNS1_3repE0EEENS1_30default_config_static_selectorELNS0_4arch9wavefront6targetE0EEEvS12_.num_named_barrier, 0
	.set _ZN7rocprim17ROCPRIM_400000_NS6detail17trampoline_kernelINS0_13select_configILj256ELj13ELNS0_17block_load_methodE3ELS4_3ELS4_3ELNS0_20block_scan_algorithmE0ELj4294967295EEENS1_25partition_config_selectorILNS1_17partition_subalgoE4EjNS0_10empty_typeEbEEZZNS1_14partition_implILS8_4ELb0ES6_15HIP_vector_typeIjLj2EENS0_17counting_iteratorIjlEEPS9_SG_NS0_5tupleIJPjSI_NS0_16reverse_iteratorISI_EEEEENSH_IJSG_SG_SG_EEES9_SI_JZNS1_25segmented_radix_sort_implINS0_14default_configELb0EPKaPaPKlPlN2at6native12_GLOBAL__N_18offset_tEEE10hipError_tPvRmT1_PNSt15iterator_traitsIS12_E10value_typeET2_T3_PNS13_IS18_E10value_typeET4_jRbjT5_S1E_jjP12ihipStream_tbEUljE_ZNSN_ISO_Lb0ESQ_SR_ST_SU_SY_EESZ_S10_S11_S12_S16_S17_S18_S1B_S1C_jS1D_jS1E_S1E_jjS1G_bEUljE0_EEESZ_S10_S11_S18_S1C_S1E_T6_T7_T9_mT8_S1G_bDpT10_ENKUlT_T0_E_clISt17integral_constantIbLb0EES1U_EEDaS1P_S1Q_EUlS1P_E_NS1_11comp_targetILNS1_3genE5ELNS1_11target_archE942ELNS1_3gpuE9ELNS1_3repE0EEENS1_30default_config_static_selectorELNS0_4arch9wavefront6targetE0EEEvS12_.private_seg_size, 0
	.set _ZN7rocprim17ROCPRIM_400000_NS6detail17trampoline_kernelINS0_13select_configILj256ELj13ELNS0_17block_load_methodE3ELS4_3ELS4_3ELNS0_20block_scan_algorithmE0ELj4294967295EEENS1_25partition_config_selectorILNS1_17partition_subalgoE4EjNS0_10empty_typeEbEEZZNS1_14partition_implILS8_4ELb0ES6_15HIP_vector_typeIjLj2EENS0_17counting_iteratorIjlEEPS9_SG_NS0_5tupleIJPjSI_NS0_16reverse_iteratorISI_EEEEENSH_IJSG_SG_SG_EEES9_SI_JZNS1_25segmented_radix_sort_implINS0_14default_configELb0EPKaPaPKlPlN2at6native12_GLOBAL__N_18offset_tEEE10hipError_tPvRmT1_PNSt15iterator_traitsIS12_E10value_typeET2_T3_PNS13_IS18_E10value_typeET4_jRbjT5_S1E_jjP12ihipStream_tbEUljE_ZNSN_ISO_Lb0ESQ_SR_ST_SU_SY_EESZ_S10_S11_S12_S16_S17_S18_S1B_S1C_jS1D_jS1E_S1E_jjS1G_bEUljE0_EEESZ_S10_S11_S18_S1C_S1E_T6_T7_T9_mT8_S1G_bDpT10_ENKUlT_T0_E_clISt17integral_constantIbLb0EES1U_EEDaS1P_S1Q_EUlS1P_E_NS1_11comp_targetILNS1_3genE5ELNS1_11target_archE942ELNS1_3gpuE9ELNS1_3repE0EEENS1_30default_config_static_selectorELNS0_4arch9wavefront6targetE0EEEvS12_.uses_vcc, 0
	.set _ZN7rocprim17ROCPRIM_400000_NS6detail17trampoline_kernelINS0_13select_configILj256ELj13ELNS0_17block_load_methodE3ELS4_3ELS4_3ELNS0_20block_scan_algorithmE0ELj4294967295EEENS1_25partition_config_selectorILNS1_17partition_subalgoE4EjNS0_10empty_typeEbEEZZNS1_14partition_implILS8_4ELb0ES6_15HIP_vector_typeIjLj2EENS0_17counting_iteratorIjlEEPS9_SG_NS0_5tupleIJPjSI_NS0_16reverse_iteratorISI_EEEEENSH_IJSG_SG_SG_EEES9_SI_JZNS1_25segmented_radix_sort_implINS0_14default_configELb0EPKaPaPKlPlN2at6native12_GLOBAL__N_18offset_tEEE10hipError_tPvRmT1_PNSt15iterator_traitsIS12_E10value_typeET2_T3_PNS13_IS18_E10value_typeET4_jRbjT5_S1E_jjP12ihipStream_tbEUljE_ZNSN_ISO_Lb0ESQ_SR_ST_SU_SY_EESZ_S10_S11_S12_S16_S17_S18_S1B_S1C_jS1D_jS1E_S1E_jjS1G_bEUljE0_EEESZ_S10_S11_S18_S1C_S1E_T6_T7_T9_mT8_S1G_bDpT10_ENKUlT_T0_E_clISt17integral_constantIbLb0EES1U_EEDaS1P_S1Q_EUlS1P_E_NS1_11comp_targetILNS1_3genE5ELNS1_11target_archE942ELNS1_3gpuE9ELNS1_3repE0EEENS1_30default_config_static_selectorELNS0_4arch9wavefront6targetE0EEEvS12_.uses_flat_scratch, 0
	.set _ZN7rocprim17ROCPRIM_400000_NS6detail17trampoline_kernelINS0_13select_configILj256ELj13ELNS0_17block_load_methodE3ELS4_3ELS4_3ELNS0_20block_scan_algorithmE0ELj4294967295EEENS1_25partition_config_selectorILNS1_17partition_subalgoE4EjNS0_10empty_typeEbEEZZNS1_14partition_implILS8_4ELb0ES6_15HIP_vector_typeIjLj2EENS0_17counting_iteratorIjlEEPS9_SG_NS0_5tupleIJPjSI_NS0_16reverse_iteratorISI_EEEEENSH_IJSG_SG_SG_EEES9_SI_JZNS1_25segmented_radix_sort_implINS0_14default_configELb0EPKaPaPKlPlN2at6native12_GLOBAL__N_18offset_tEEE10hipError_tPvRmT1_PNSt15iterator_traitsIS12_E10value_typeET2_T3_PNS13_IS18_E10value_typeET4_jRbjT5_S1E_jjP12ihipStream_tbEUljE_ZNSN_ISO_Lb0ESQ_SR_ST_SU_SY_EESZ_S10_S11_S12_S16_S17_S18_S1B_S1C_jS1D_jS1E_S1E_jjS1G_bEUljE0_EEESZ_S10_S11_S18_S1C_S1E_T6_T7_T9_mT8_S1G_bDpT10_ENKUlT_T0_E_clISt17integral_constantIbLb0EES1U_EEDaS1P_S1Q_EUlS1P_E_NS1_11comp_targetILNS1_3genE5ELNS1_11target_archE942ELNS1_3gpuE9ELNS1_3repE0EEENS1_30default_config_static_selectorELNS0_4arch9wavefront6targetE0EEEvS12_.has_dyn_sized_stack, 0
	.set _ZN7rocprim17ROCPRIM_400000_NS6detail17trampoline_kernelINS0_13select_configILj256ELj13ELNS0_17block_load_methodE3ELS4_3ELS4_3ELNS0_20block_scan_algorithmE0ELj4294967295EEENS1_25partition_config_selectorILNS1_17partition_subalgoE4EjNS0_10empty_typeEbEEZZNS1_14partition_implILS8_4ELb0ES6_15HIP_vector_typeIjLj2EENS0_17counting_iteratorIjlEEPS9_SG_NS0_5tupleIJPjSI_NS0_16reverse_iteratorISI_EEEEENSH_IJSG_SG_SG_EEES9_SI_JZNS1_25segmented_radix_sort_implINS0_14default_configELb0EPKaPaPKlPlN2at6native12_GLOBAL__N_18offset_tEEE10hipError_tPvRmT1_PNSt15iterator_traitsIS12_E10value_typeET2_T3_PNS13_IS18_E10value_typeET4_jRbjT5_S1E_jjP12ihipStream_tbEUljE_ZNSN_ISO_Lb0ESQ_SR_ST_SU_SY_EESZ_S10_S11_S12_S16_S17_S18_S1B_S1C_jS1D_jS1E_S1E_jjS1G_bEUljE0_EEESZ_S10_S11_S18_S1C_S1E_T6_T7_T9_mT8_S1G_bDpT10_ENKUlT_T0_E_clISt17integral_constantIbLb0EES1U_EEDaS1P_S1Q_EUlS1P_E_NS1_11comp_targetILNS1_3genE5ELNS1_11target_archE942ELNS1_3gpuE9ELNS1_3repE0EEENS1_30default_config_static_selectorELNS0_4arch9wavefront6targetE0EEEvS12_.has_recursion, 0
	.set _ZN7rocprim17ROCPRIM_400000_NS6detail17trampoline_kernelINS0_13select_configILj256ELj13ELNS0_17block_load_methodE3ELS4_3ELS4_3ELNS0_20block_scan_algorithmE0ELj4294967295EEENS1_25partition_config_selectorILNS1_17partition_subalgoE4EjNS0_10empty_typeEbEEZZNS1_14partition_implILS8_4ELb0ES6_15HIP_vector_typeIjLj2EENS0_17counting_iteratorIjlEEPS9_SG_NS0_5tupleIJPjSI_NS0_16reverse_iteratorISI_EEEEENSH_IJSG_SG_SG_EEES9_SI_JZNS1_25segmented_radix_sort_implINS0_14default_configELb0EPKaPaPKlPlN2at6native12_GLOBAL__N_18offset_tEEE10hipError_tPvRmT1_PNSt15iterator_traitsIS12_E10value_typeET2_T3_PNS13_IS18_E10value_typeET4_jRbjT5_S1E_jjP12ihipStream_tbEUljE_ZNSN_ISO_Lb0ESQ_SR_ST_SU_SY_EESZ_S10_S11_S12_S16_S17_S18_S1B_S1C_jS1D_jS1E_S1E_jjS1G_bEUljE0_EEESZ_S10_S11_S18_S1C_S1E_T6_T7_T9_mT8_S1G_bDpT10_ENKUlT_T0_E_clISt17integral_constantIbLb0EES1U_EEDaS1P_S1Q_EUlS1P_E_NS1_11comp_targetILNS1_3genE5ELNS1_11target_archE942ELNS1_3gpuE9ELNS1_3repE0EEENS1_30default_config_static_selectorELNS0_4arch9wavefront6targetE0EEEvS12_.has_indirect_call, 0
	.section	.AMDGPU.csdata,"",@progbits
; Kernel info:
; codeLenInByte = 0
; TotalNumSgprs: 0
; NumVgprs: 0
; ScratchSize: 0
; MemoryBound: 0
; FloatMode: 240
; IeeeMode: 1
; LDSByteSize: 0 bytes/workgroup (compile time only)
; SGPRBlocks: 0
; VGPRBlocks: 0
; NumSGPRsForWavesPerEU: 1
; NumVGPRsForWavesPerEU: 1
; Occupancy: 16
; WaveLimiterHint : 0
; COMPUTE_PGM_RSRC2:SCRATCH_EN: 0
; COMPUTE_PGM_RSRC2:USER_SGPR: 6
; COMPUTE_PGM_RSRC2:TRAP_HANDLER: 0
; COMPUTE_PGM_RSRC2:TGID_X_EN: 1
; COMPUTE_PGM_RSRC2:TGID_Y_EN: 0
; COMPUTE_PGM_RSRC2:TGID_Z_EN: 0
; COMPUTE_PGM_RSRC2:TIDIG_COMP_CNT: 0
	.section	.text._ZN7rocprim17ROCPRIM_400000_NS6detail17trampoline_kernelINS0_13select_configILj256ELj13ELNS0_17block_load_methodE3ELS4_3ELS4_3ELNS0_20block_scan_algorithmE0ELj4294967295EEENS1_25partition_config_selectorILNS1_17partition_subalgoE4EjNS0_10empty_typeEbEEZZNS1_14partition_implILS8_4ELb0ES6_15HIP_vector_typeIjLj2EENS0_17counting_iteratorIjlEEPS9_SG_NS0_5tupleIJPjSI_NS0_16reverse_iteratorISI_EEEEENSH_IJSG_SG_SG_EEES9_SI_JZNS1_25segmented_radix_sort_implINS0_14default_configELb0EPKaPaPKlPlN2at6native12_GLOBAL__N_18offset_tEEE10hipError_tPvRmT1_PNSt15iterator_traitsIS12_E10value_typeET2_T3_PNS13_IS18_E10value_typeET4_jRbjT5_S1E_jjP12ihipStream_tbEUljE_ZNSN_ISO_Lb0ESQ_SR_ST_SU_SY_EESZ_S10_S11_S12_S16_S17_S18_S1B_S1C_jS1D_jS1E_S1E_jjS1G_bEUljE0_EEESZ_S10_S11_S18_S1C_S1E_T6_T7_T9_mT8_S1G_bDpT10_ENKUlT_T0_E_clISt17integral_constantIbLb0EES1U_EEDaS1P_S1Q_EUlS1P_E_NS1_11comp_targetILNS1_3genE4ELNS1_11target_archE910ELNS1_3gpuE8ELNS1_3repE0EEENS1_30default_config_static_selectorELNS0_4arch9wavefront6targetE0EEEvS12_,"axG",@progbits,_ZN7rocprim17ROCPRIM_400000_NS6detail17trampoline_kernelINS0_13select_configILj256ELj13ELNS0_17block_load_methodE3ELS4_3ELS4_3ELNS0_20block_scan_algorithmE0ELj4294967295EEENS1_25partition_config_selectorILNS1_17partition_subalgoE4EjNS0_10empty_typeEbEEZZNS1_14partition_implILS8_4ELb0ES6_15HIP_vector_typeIjLj2EENS0_17counting_iteratorIjlEEPS9_SG_NS0_5tupleIJPjSI_NS0_16reverse_iteratorISI_EEEEENSH_IJSG_SG_SG_EEES9_SI_JZNS1_25segmented_radix_sort_implINS0_14default_configELb0EPKaPaPKlPlN2at6native12_GLOBAL__N_18offset_tEEE10hipError_tPvRmT1_PNSt15iterator_traitsIS12_E10value_typeET2_T3_PNS13_IS18_E10value_typeET4_jRbjT5_S1E_jjP12ihipStream_tbEUljE_ZNSN_ISO_Lb0ESQ_SR_ST_SU_SY_EESZ_S10_S11_S12_S16_S17_S18_S1B_S1C_jS1D_jS1E_S1E_jjS1G_bEUljE0_EEESZ_S10_S11_S18_S1C_S1E_T6_T7_T9_mT8_S1G_bDpT10_ENKUlT_T0_E_clISt17integral_constantIbLb0EES1U_EEDaS1P_S1Q_EUlS1P_E_NS1_11comp_targetILNS1_3genE4ELNS1_11target_archE910ELNS1_3gpuE8ELNS1_3repE0EEENS1_30default_config_static_selectorELNS0_4arch9wavefront6targetE0EEEvS12_,comdat
	.globl	_ZN7rocprim17ROCPRIM_400000_NS6detail17trampoline_kernelINS0_13select_configILj256ELj13ELNS0_17block_load_methodE3ELS4_3ELS4_3ELNS0_20block_scan_algorithmE0ELj4294967295EEENS1_25partition_config_selectorILNS1_17partition_subalgoE4EjNS0_10empty_typeEbEEZZNS1_14partition_implILS8_4ELb0ES6_15HIP_vector_typeIjLj2EENS0_17counting_iteratorIjlEEPS9_SG_NS0_5tupleIJPjSI_NS0_16reverse_iteratorISI_EEEEENSH_IJSG_SG_SG_EEES9_SI_JZNS1_25segmented_radix_sort_implINS0_14default_configELb0EPKaPaPKlPlN2at6native12_GLOBAL__N_18offset_tEEE10hipError_tPvRmT1_PNSt15iterator_traitsIS12_E10value_typeET2_T3_PNS13_IS18_E10value_typeET4_jRbjT5_S1E_jjP12ihipStream_tbEUljE_ZNSN_ISO_Lb0ESQ_SR_ST_SU_SY_EESZ_S10_S11_S12_S16_S17_S18_S1B_S1C_jS1D_jS1E_S1E_jjS1G_bEUljE0_EEESZ_S10_S11_S18_S1C_S1E_T6_T7_T9_mT8_S1G_bDpT10_ENKUlT_T0_E_clISt17integral_constantIbLb0EES1U_EEDaS1P_S1Q_EUlS1P_E_NS1_11comp_targetILNS1_3genE4ELNS1_11target_archE910ELNS1_3gpuE8ELNS1_3repE0EEENS1_30default_config_static_selectorELNS0_4arch9wavefront6targetE0EEEvS12_ ; -- Begin function _ZN7rocprim17ROCPRIM_400000_NS6detail17trampoline_kernelINS0_13select_configILj256ELj13ELNS0_17block_load_methodE3ELS4_3ELS4_3ELNS0_20block_scan_algorithmE0ELj4294967295EEENS1_25partition_config_selectorILNS1_17partition_subalgoE4EjNS0_10empty_typeEbEEZZNS1_14partition_implILS8_4ELb0ES6_15HIP_vector_typeIjLj2EENS0_17counting_iteratorIjlEEPS9_SG_NS0_5tupleIJPjSI_NS0_16reverse_iteratorISI_EEEEENSH_IJSG_SG_SG_EEES9_SI_JZNS1_25segmented_radix_sort_implINS0_14default_configELb0EPKaPaPKlPlN2at6native12_GLOBAL__N_18offset_tEEE10hipError_tPvRmT1_PNSt15iterator_traitsIS12_E10value_typeET2_T3_PNS13_IS18_E10value_typeET4_jRbjT5_S1E_jjP12ihipStream_tbEUljE_ZNSN_ISO_Lb0ESQ_SR_ST_SU_SY_EESZ_S10_S11_S12_S16_S17_S18_S1B_S1C_jS1D_jS1E_S1E_jjS1G_bEUljE0_EEESZ_S10_S11_S18_S1C_S1E_T6_T7_T9_mT8_S1G_bDpT10_ENKUlT_T0_E_clISt17integral_constantIbLb0EES1U_EEDaS1P_S1Q_EUlS1P_E_NS1_11comp_targetILNS1_3genE4ELNS1_11target_archE910ELNS1_3gpuE8ELNS1_3repE0EEENS1_30default_config_static_selectorELNS0_4arch9wavefront6targetE0EEEvS12_
	.p2align	8
	.type	_ZN7rocprim17ROCPRIM_400000_NS6detail17trampoline_kernelINS0_13select_configILj256ELj13ELNS0_17block_load_methodE3ELS4_3ELS4_3ELNS0_20block_scan_algorithmE0ELj4294967295EEENS1_25partition_config_selectorILNS1_17partition_subalgoE4EjNS0_10empty_typeEbEEZZNS1_14partition_implILS8_4ELb0ES6_15HIP_vector_typeIjLj2EENS0_17counting_iteratorIjlEEPS9_SG_NS0_5tupleIJPjSI_NS0_16reverse_iteratorISI_EEEEENSH_IJSG_SG_SG_EEES9_SI_JZNS1_25segmented_radix_sort_implINS0_14default_configELb0EPKaPaPKlPlN2at6native12_GLOBAL__N_18offset_tEEE10hipError_tPvRmT1_PNSt15iterator_traitsIS12_E10value_typeET2_T3_PNS13_IS18_E10value_typeET4_jRbjT5_S1E_jjP12ihipStream_tbEUljE_ZNSN_ISO_Lb0ESQ_SR_ST_SU_SY_EESZ_S10_S11_S12_S16_S17_S18_S1B_S1C_jS1D_jS1E_S1E_jjS1G_bEUljE0_EEESZ_S10_S11_S18_S1C_S1E_T6_T7_T9_mT8_S1G_bDpT10_ENKUlT_T0_E_clISt17integral_constantIbLb0EES1U_EEDaS1P_S1Q_EUlS1P_E_NS1_11comp_targetILNS1_3genE4ELNS1_11target_archE910ELNS1_3gpuE8ELNS1_3repE0EEENS1_30default_config_static_selectorELNS0_4arch9wavefront6targetE0EEEvS12_,@function
_ZN7rocprim17ROCPRIM_400000_NS6detail17trampoline_kernelINS0_13select_configILj256ELj13ELNS0_17block_load_methodE3ELS4_3ELS4_3ELNS0_20block_scan_algorithmE0ELj4294967295EEENS1_25partition_config_selectorILNS1_17partition_subalgoE4EjNS0_10empty_typeEbEEZZNS1_14partition_implILS8_4ELb0ES6_15HIP_vector_typeIjLj2EENS0_17counting_iteratorIjlEEPS9_SG_NS0_5tupleIJPjSI_NS0_16reverse_iteratorISI_EEEEENSH_IJSG_SG_SG_EEES9_SI_JZNS1_25segmented_radix_sort_implINS0_14default_configELb0EPKaPaPKlPlN2at6native12_GLOBAL__N_18offset_tEEE10hipError_tPvRmT1_PNSt15iterator_traitsIS12_E10value_typeET2_T3_PNS13_IS18_E10value_typeET4_jRbjT5_S1E_jjP12ihipStream_tbEUljE_ZNSN_ISO_Lb0ESQ_SR_ST_SU_SY_EESZ_S10_S11_S12_S16_S17_S18_S1B_S1C_jS1D_jS1E_S1E_jjS1G_bEUljE0_EEESZ_S10_S11_S18_S1C_S1E_T6_T7_T9_mT8_S1G_bDpT10_ENKUlT_T0_E_clISt17integral_constantIbLb0EES1U_EEDaS1P_S1Q_EUlS1P_E_NS1_11comp_targetILNS1_3genE4ELNS1_11target_archE910ELNS1_3gpuE8ELNS1_3repE0EEENS1_30default_config_static_selectorELNS0_4arch9wavefront6targetE0EEEvS12_: ; @_ZN7rocprim17ROCPRIM_400000_NS6detail17trampoline_kernelINS0_13select_configILj256ELj13ELNS0_17block_load_methodE3ELS4_3ELS4_3ELNS0_20block_scan_algorithmE0ELj4294967295EEENS1_25partition_config_selectorILNS1_17partition_subalgoE4EjNS0_10empty_typeEbEEZZNS1_14partition_implILS8_4ELb0ES6_15HIP_vector_typeIjLj2EENS0_17counting_iteratorIjlEEPS9_SG_NS0_5tupleIJPjSI_NS0_16reverse_iteratorISI_EEEEENSH_IJSG_SG_SG_EEES9_SI_JZNS1_25segmented_radix_sort_implINS0_14default_configELb0EPKaPaPKlPlN2at6native12_GLOBAL__N_18offset_tEEE10hipError_tPvRmT1_PNSt15iterator_traitsIS12_E10value_typeET2_T3_PNS13_IS18_E10value_typeET4_jRbjT5_S1E_jjP12ihipStream_tbEUljE_ZNSN_ISO_Lb0ESQ_SR_ST_SU_SY_EESZ_S10_S11_S12_S16_S17_S18_S1B_S1C_jS1D_jS1E_S1E_jjS1G_bEUljE0_EEESZ_S10_S11_S18_S1C_S1E_T6_T7_T9_mT8_S1G_bDpT10_ENKUlT_T0_E_clISt17integral_constantIbLb0EES1U_EEDaS1P_S1Q_EUlS1P_E_NS1_11comp_targetILNS1_3genE4ELNS1_11target_archE910ELNS1_3gpuE8ELNS1_3repE0EEENS1_30default_config_static_selectorELNS0_4arch9wavefront6targetE0EEEvS12_
; %bb.0:
	.section	.rodata,"a",@progbits
	.p2align	6, 0x0
	.amdhsa_kernel _ZN7rocprim17ROCPRIM_400000_NS6detail17trampoline_kernelINS0_13select_configILj256ELj13ELNS0_17block_load_methodE3ELS4_3ELS4_3ELNS0_20block_scan_algorithmE0ELj4294967295EEENS1_25partition_config_selectorILNS1_17partition_subalgoE4EjNS0_10empty_typeEbEEZZNS1_14partition_implILS8_4ELb0ES6_15HIP_vector_typeIjLj2EENS0_17counting_iteratorIjlEEPS9_SG_NS0_5tupleIJPjSI_NS0_16reverse_iteratorISI_EEEEENSH_IJSG_SG_SG_EEES9_SI_JZNS1_25segmented_radix_sort_implINS0_14default_configELb0EPKaPaPKlPlN2at6native12_GLOBAL__N_18offset_tEEE10hipError_tPvRmT1_PNSt15iterator_traitsIS12_E10value_typeET2_T3_PNS13_IS18_E10value_typeET4_jRbjT5_S1E_jjP12ihipStream_tbEUljE_ZNSN_ISO_Lb0ESQ_SR_ST_SU_SY_EESZ_S10_S11_S12_S16_S17_S18_S1B_S1C_jS1D_jS1E_S1E_jjS1G_bEUljE0_EEESZ_S10_S11_S18_S1C_S1E_T6_T7_T9_mT8_S1G_bDpT10_ENKUlT_T0_E_clISt17integral_constantIbLb0EES1U_EEDaS1P_S1Q_EUlS1P_E_NS1_11comp_targetILNS1_3genE4ELNS1_11target_archE910ELNS1_3gpuE8ELNS1_3repE0EEENS1_30default_config_static_selectorELNS0_4arch9wavefront6targetE0EEEvS12_
		.amdhsa_group_segment_fixed_size 0
		.amdhsa_private_segment_fixed_size 0
		.amdhsa_kernarg_size 176
		.amdhsa_user_sgpr_count 6
		.amdhsa_user_sgpr_private_segment_buffer 1
		.amdhsa_user_sgpr_dispatch_ptr 0
		.amdhsa_user_sgpr_queue_ptr 0
		.amdhsa_user_sgpr_kernarg_segment_ptr 1
		.amdhsa_user_sgpr_dispatch_id 0
		.amdhsa_user_sgpr_flat_scratch_init 0
		.amdhsa_user_sgpr_private_segment_size 0
		.amdhsa_wavefront_size32 1
		.amdhsa_uses_dynamic_stack 0
		.amdhsa_system_sgpr_private_segment_wavefront_offset 0
		.amdhsa_system_sgpr_workgroup_id_x 1
		.amdhsa_system_sgpr_workgroup_id_y 0
		.amdhsa_system_sgpr_workgroup_id_z 0
		.amdhsa_system_sgpr_workgroup_info 0
		.amdhsa_system_vgpr_workitem_id 0
		.amdhsa_next_free_vgpr 1
		.amdhsa_next_free_sgpr 1
		.amdhsa_reserve_vcc 0
		.amdhsa_reserve_flat_scratch 0
		.amdhsa_float_round_mode_32 0
		.amdhsa_float_round_mode_16_64 0
		.amdhsa_float_denorm_mode_32 3
		.amdhsa_float_denorm_mode_16_64 3
		.amdhsa_dx10_clamp 1
		.amdhsa_ieee_mode 1
		.amdhsa_fp16_overflow 0
		.amdhsa_workgroup_processor_mode 1
		.amdhsa_memory_ordered 1
		.amdhsa_forward_progress 1
		.amdhsa_shared_vgpr_count 0
		.amdhsa_exception_fp_ieee_invalid_op 0
		.amdhsa_exception_fp_denorm_src 0
		.amdhsa_exception_fp_ieee_div_zero 0
		.amdhsa_exception_fp_ieee_overflow 0
		.amdhsa_exception_fp_ieee_underflow 0
		.amdhsa_exception_fp_ieee_inexact 0
		.amdhsa_exception_int_div_zero 0
	.end_amdhsa_kernel
	.section	.text._ZN7rocprim17ROCPRIM_400000_NS6detail17trampoline_kernelINS0_13select_configILj256ELj13ELNS0_17block_load_methodE3ELS4_3ELS4_3ELNS0_20block_scan_algorithmE0ELj4294967295EEENS1_25partition_config_selectorILNS1_17partition_subalgoE4EjNS0_10empty_typeEbEEZZNS1_14partition_implILS8_4ELb0ES6_15HIP_vector_typeIjLj2EENS0_17counting_iteratorIjlEEPS9_SG_NS0_5tupleIJPjSI_NS0_16reverse_iteratorISI_EEEEENSH_IJSG_SG_SG_EEES9_SI_JZNS1_25segmented_radix_sort_implINS0_14default_configELb0EPKaPaPKlPlN2at6native12_GLOBAL__N_18offset_tEEE10hipError_tPvRmT1_PNSt15iterator_traitsIS12_E10value_typeET2_T3_PNS13_IS18_E10value_typeET4_jRbjT5_S1E_jjP12ihipStream_tbEUljE_ZNSN_ISO_Lb0ESQ_SR_ST_SU_SY_EESZ_S10_S11_S12_S16_S17_S18_S1B_S1C_jS1D_jS1E_S1E_jjS1G_bEUljE0_EEESZ_S10_S11_S18_S1C_S1E_T6_T7_T9_mT8_S1G_bDpT10_ENKUlT_T0_E_clISt17integral_constantIbLb0EES1U_EEDaS1P_S1Q_EUlS1P_E_NS1_11comp_targetILNS1_3genE4ELNS1_11target_archE910ELNS1_3gpuE8ELNS1_3repE0EEENS1_30default_config_static_selectorELNS0_4arch9wavefront6targetE0EEEvS12_,"axG",@progbits,_ZN7rocprim17ROCPRIM_400000_NS6detail17trampoline_kernelINS0_13select_configILj256ELj13ELNS0_17block_load_methodE3ELS4_3ELS4_3ELNS0_20block_scan_algorithmE0ELj4294967295EEENS1_25partition_config_selectorILNS1_17partition_subalgoE4EjNS0_10empty_typeEbEEZZNS1_14partition_implILS8_4ELb0ES6_15HIP_vector_typeIjLj2EENS0_17counting_iteratorIjlEEPS9_SG_NS0_5tupleIJPjSI_NS0_16reverse_iteratorISI_EEEEENSH_IJSG_SG_SG_EEES9_SI_JZNS1_25segmented_radix_sort_implINS0_14default_configELb0EPKaPaPKlPlN2at6native12_GLOBAL__N_18offset_tEEE10hipError_tPvRmT1_PNSt15iterator_traitsIS12_E10value_typeET2_T3_PNS13_IS18_E10value_typeET4_jRbjT5_S1E_jjP12ihipStream_tbEUljE_ZNSN_ISO_Lb0ESQ_SR_ST_SU_SY_EESZ_S10_S11_S12_S16_S17_S18_S1B_S1C_jS1D_jS1E_S1E_jjS1G_bEUljE0_EEESZ_S10_S11_S18_S1C_S1E_T6_T7_T9_mT8_S1G_bDpT10_ENKUlT_T0_E_clISt17integral_constantIbLb0EES1U_EEDaS1P_S1Q_EUlS1P_E_NS1_11comp_targetILNS1_3genE4ELNS1_11target_archE910ELNS1_3gpuE8ELNS1_3repE0EEENS1_30default_config_static_selectorELNS0_4arch9wavefront6targetE0EEEvS12_,comdat
.Lfunc_end328:
	.size	_ZN7rocprim17ROCPRIM_400000_NS6detail17trampoline_kernelINS0_13select_configILj256ELj13ELNS0_17block_load_methodE3ELS4_3ELS4_3ELNS0_20block_scan_algorithmE0ELj4294967295EEENS1_25partition_config_selectorILNS1_17partition_subalgoE4EjNS0_10empty_typeEbEEZZNS1_14partition_implILS8_4ELb0ES6_15HIP_vector_typeIjLj2EENS0_17counting_iteratorIjlEEPS9_SG_NS0_5tupleIJPjSI_NS0_16reverse_iteratorISI_EEEEENSH_IJSG_SG_SG_EEES9_SI_JZNS1_25segmented_radix_sort_implINS0_14default_configELb0EPKaPaPKlPlN2at6native12_GLOBAL__N_18offset_tEEE10hipError_tPvRmT1_PNSt15iterator_traitsIS12_E10value_typeET2_T3_PNS13_IS18_E10value_typeET4_jRbjT5_S1E_jjP12ihipStream_tbEUljE_ZNSN_ISO_Lb0ESQ_SR_ST_SU_SY_EESZ_S10_S11_S12_S16_S17_S18_S1B_S1C_jS1D_jS1E_S1E_jjS1G_bEUljE0_EEESZ_S10_S11_S18_S1C_S1E_T6_T7_T9_mT8_S1G_bDpT10_ENKUlT_T0_E_clISt17integral_constantIbLb0EES1U_EEDaS1P_S1Q_EUlS1P_E_NS1_11comp_targetILNS1_3genE4ELNS1_11target_archE910ELNS1_3gpuE8ELNS1_3repE0EEENS1_30default_config_static_selectorELNS0_4arch9wavefront6targetE0EEEvS12_, .Lfunc_end328-_ZN7rocprim17ROCPRIM_400000_NS6detail17trampoline_kernelINS0_13select_configILj256ELj13ELNS0_17block_load_methodE3ELS4_3ELS4_3ELNS0_20block_scan_algorithmE0ELj4294967295EEENS1_25partition_config_selectorILNS1_17partition_subalgoE4EjNS0_10empty_typeEbEEZZNS1_14partition_implILS8_4ELb0ES6_15HIP_vector_typeIjLj2EENS0_17counting_iteratorIjlEEPS9_SG_NS0_5tupleIJPjSI_NS0_16reverse_iteratorISI_EEEEENSH_IJSG_SG_SG_EEES9_SI_JZNS1_25segmented_radix_sort_implINS0_14default_configELb0EPKaPaPKlPlN2at6native12_GLOBAL__N_18offset_tEEE10hipError_tPvRmT1_PNSt15iterator_traitsIS12_E10value_typeET2_T3_PNS13_IS18_E10value_typeET4_jRbjT5_S1E_jjP12ihipStream_tbEUljE_ZNSN_ISO_Lb0ESQ_SR_ST_SU_SY_EESZ_S10_S11_S12_S16_S17_S18_S1B_S1C_jS1D_jS1E_S1E_jjS1G_bEUljE0_EEESZ_S10_S11_S18_S1C_S1E_T6_T7_T9_mT8_S1G_bDpT10_ENKUlT_T0_E_clISt17integral_constantIbLb0EES1U_EEDaS1P_S1Q_EUlS1P_E_NS1_11comp_targetILNS1_3genE4ELNS1_11target_archE910ELNS1_3gpuE8ELNS1_3repE0EEENS1_30default_config_static_selectorELNS0_4arch9wavefront6targetE0EEEvS12_
                                        ; -- End function
	.set _ZN7rocprim17ROCPRIM_400000_NS6detail17trampoline_kernelINS0_13select_configILj256ELj13ELNS0_17block_load_methodE3ELS4_3ELS4_3ELNS0_20block_scan_algorithmE0ELj4294967295EEENS1_25partition_config_selectorILNS1_17partition_subalgoE4EjNS0_10empty_typeEbEEZZNS1_14partition_implILS8_4ELb0ES6_15HIP_vector_typeIjLj2EENS0_17counting_iteratorIjlEEPS9_SG_NS0_5tupleIJPjSI_NS0_16reverse_iteratorISI_EEEEENSH_IJSG_SG_SG_EEES9_SI_JZNS1_25segmented_radix_sort_implINS0_14default_configELb0EPKaPaPKlPlN2at6native12_GLOBAL__N_18offset_tEEE10hipError_tPvRmT1_PNSt15iterator_traitsIS12_E10value_typeET2_T3_PNS13_IS18_E10value_typeET4_jRbjT5_S1E_jjP12ihipStream_tbEUljE_ZNSN_ISO_Lb0ESQ_SR_ST_SU_SY_EESZ_S10_S11_S12_S16_S17_S18_S1B_S1C_jS1D_jS1E_S1E_jjS1G_bEUljE0_EEESZ_S10_S11_S18_S1C_S1E_T6_T7_T9_mT8_S1G_bDpT10_ENKUlT_T0_E_clISt17integral_constantIbLb0EES1U_EEDaS1P_S1Q_EUlS1P_E_NS1_11comp_targetILNS1_3genE4ELNS1_11target_archE910ELNS1_3gpuE8ELNS1_3repE0EEENS1_30default_config_static_selectorELNS0_4arch9wavefront6targetE0EEEvS12_.num_vgpr, 0
	.set _ZN7rocprim17ROCPRIM_400000_NS6detail17trampoline_kernelINS0_13select_configILj256ELj13ELNS0_17block_load_methodE3ELS4_3ELS4_3ELNS0_20block_scan_algorithmE0ELj4294967295EEENS1_25partition_config_selectorILNS1_17partition_subalgoE4EjNS0_10empty_typeEbEEZZNS1_14partition_implILS8_4ELb0ES6_15HIP_vector_typeIjLj2EENS0_17counting_iteratorIjlEEPS9_SG_NS0_5tupleIJPjSI_NS0_16reverse_iteratorISI_EEEEENSH_IJSG_SG_SG_EEES9_SI_JZNS1_25segmented_radix_sort_implINS0_14default_configELb0EPKaPaPKlPlN2at6native12_GLOBAL__N_18offset_tEEE10hipError_tPvRmT1_PNSt15iterator_traitsIS12_E10value_typeET2_T3_PNS13_IS18_E10value_typeET4_jRbjT5_S1E_jjP12ihipStream_tbEUljE_ZNSN_ISO_Lb0ESQ_SR_ST_SU_SY_EESZ_S10_S11_S12_S16_S17_S18_S1B_S1C_jS1D_jS1E_S1E_jjS1G_bEUljE0_EEESZ_S10_S11_S18_S1C_S1E_T6_T7_T9_mT8_S1G_bDpT10_ENKUlT_T0_E_clISt17integral_constantIbLb0EES1U_EEDaS1P_S1Q_EUlS1P_E_NS1_11comp_targetILNS1_3genE4ELNS1_11target_archE910ELNS1_3gpuE8ELNS1_3repE0EEENS1_30default_config_static_selectorELNS0_4arch9wavefront6targetE0EEEvS12_.num_agpr, 0
	.set _ZN7rocprim17ROCPRIM_400000_NS6detail17trampoline_kernelINS0_13select_configILj256ELj13ELNS0_17block_load_methodE3ELS4_3ELS4_3ELNS0_20block_scan_algorithmE0ELj4294967295EEENS1_25partition_config_selectorILNS1_17partition_subalgoE4EjNS0_10empty_typeEbEEZZNS1_14partition_implILS8_4ELb0ES6_15HIP_vector_typeIjLj2EENS0_17counting_iteratorIjlEEPS9_SG_NS0_5tupleIJPjSI_NS0_16reverse_iteratorISI_EEEEENSH_IJSG_SG_SG_EEES9_SI_JZNS1_25segmented_radix_sort_implINS0_14default_configELb0EPKaPaPKlPlN2at6native12_GLOBAL__N_18offset_tEEE10hipError_tPvRmT1_PNSt15iterator_traitsIS12_E10value_typeET2_T3_PNS13_IS18_E10value_typeET4_jRbjT5_S1E_jjP12ihipStream_tbEUljE_ZNSN_ISO_Lb0ESQ_SR_ST_SU_SY_EESZ_S10_S11_S12_S16_S17_S18_S1B_S1C_jS1D_jS1E_S1E_jjS1G_bEUljE0_EEESZ_S10_S11_S18_S1C_S1E_T6_T7_T9_mT8_S1G_bDpT10_ENKUlT_T0_E_clISt17integral_constantIbLb0EES1U_EEDaS1P_S1Q_EUlS1P_E_NS1_11comp_targetILNS1_3genE4ELNS1_11target_archE910ELNS1_3gpuE8ELNS1_3repE0EEENS1_30default_config_static_selectorELNS0_4arch9wavefront6targetE0EEEvS12_.numbered_sgpr, 0
	.set _ZN7rocprim17ROCPRIM_400000_NS6detail17trampoline_kernelINS0_13select_configILj256ELj13ELNS0_17block_load_methodE3ELS4_3ELS4_3ELNS0_20block_scan_algorithmE0ELj4294967295EEENS1_25partition_config_selectorILNS1_17partition_subalgoE4EjNS0_10empty_typeEbEEZZNS1_14partition_implILS8_4ELb0ES6_15HIP_vector_typeIjLj2EENS0_17counting_iteratorIjlEEPS9_SG_NS0_5tupleIJPjSI_NS0_16reverse_iteratorISI_EEEEENSH_IJSG_SG_SG_EEES9_SI_JZNS1_25segmented_radix_sort_implINS0_14default_configELb0EPKaPaPKlPlN2at6native12_GLOBAL__N_18offset_tEEE10hipError_tPvRmT1_PNSt15iterator_traitsIS12_E10value_typeET2_T3_PNS13_IS18_E10value_typeET4_jRbjT5_S1E_jjP12ihipStream_tbEUljE_ZNSN_ISO_Lb0ESQ_SR_ST_SU_SY_EESZ_S10_S11_S12_S16_S17_S18_S1B_S1C_jS1D_jS1E_S1E_jjS1G_bEUljE0_EEESZ_S10_S11_S18_S1C_S1E_T6_T7_T9_mT8_S1G_bDpT10_ENKUlT_T0_E_clISt17integral_constantIbLb0EES1U_EEDaS1P_S1Q_EUlS1P_E_NS1_11comp_targetILNS1_3genE4ELNS1_11target_archE910ELNS1_3gpuE8ELNS1_3repE0EEENS1_30default_config_static_selectorELNS0_4arch9wavefront6targetE0EEEvS12_.num_named_barrier, 0
	.set _ZN7rocprim17ROCPRIM_400000_NS6detail17trampoline_kernelINS0_13select_configILj256ELj13ELNS0_17block_load_methodE3ELS4_3ELS4_3ELNS0_20block_scan_algorithmE0ELj4294967295EEENS1_25partition_config_selectorILNS1_17partition_subalgoE4EjNS0_10empty_typeEbEEZZNS1_14partition_implILS8_4ELb0ES6_15HIP_vector_typeIjLj2EENS0_17counting_iteratorIjlEEPS9_SG_NS0_5tupleIJPjSI_NS0_16reverse_iteratorISI_EEEEENSH_IJSG_SG_SG_EEES9_SI_JZNS1_25segmented_radix_sort_implINS0_14default_configELb0EPKaPaPKlPlN2at6native12_GLOBAL__N_18offset_tEEE10hipError_tPvRmT1_PNSt15iterator_traitsIS12_E10value_typeET2_T3_PNS13_IS18_E10value_typeET4_jRbjT5_S1E_jjP12ihipStream_tbEUljE_ZNSN_ISO_Lb0ESQ_SR_ST_SU_SY_EESZ_S10_S11_S12_S16_S17_S18_S1B_S1C_jS1D_jS1E_S1E_jjS1G_bEUljE0_EEESZ_S10_S11_S18_S1C_S1E_T6_T7_T9_mT8_S1G_bDpT10_ENKUlT_T0_E_clISt17integral_constantIbLb0EES1U_EEDaS1P_S1Q_EUlS1P_E_NS1_11comp_targetILNS1_3genE4ELNS1_11target_archE910ELNS1_3gpuE8ELNS1_3repE0EEENS1_30default_config_static_selectorELNS0_4arch9wavefront6targetE0EEEvS12_.private_seg_size, 0
	.set _ZN7rocprim17ROCPRIM_400000_NS6detail17trampoline_kernelINS0_13select_configILj256ELj13ELNS0_17block_load_methodE3ELS4_3ELS4_3ELNS0_20block_scan_algorithmE0ELj4294967295EEENS1_25partition_config_selectorILNS1_17partition_subalgoE4EjNS0_10empty_typeEbEEZZNS1_14partition_implILS8_4ELb0ES6_15HIP_vector_typeIjLj2EENS0_17counting_iteratorIjlEEPS9_SG_NS0_5tupleIJPjSI_NS0_16reverse_iteratorISI_EEEEENSH_IJSG_SG_SG_EEES9_SI_JZNS1_25segmented_radix_sort_implINS0_14default_configELb0EPKaPaPKlPlN2at6native12_GLOBAL__N_18offset_tEEE10hipError_tPvRmT1_PNSt15iterator_traitsIS12_E10value_typeET2_T3_PNS13_IS18_E10value_typeET4_jRbjT5_S1E_jjP12ihipStream_tbEUljE_ZNSN_ISO_Lb0ESQ_SR_ST_SU_SY_EESZ_S10_S11_S12_S16_S17_S18_S1B_S1C_jS1D_jS1E_S1E_jjS1G_bEUljE0_EEESZ_S10_S11_S18_S1C_S1E_T6_T7_T9_mT8_S1G_bDpT10_ENKUlT_T0_E_clISt17integral_constantIbLb0EES1U_EEDaS1P_S1Q_EUlS1P_E_NS1_11comp_targetILNS1_3genE4ELNS1_11target_archE910ELNS1_3gpuE8ELNS1_3repE0EEENS1_30default_config_static_selectorELNS0_4arch9wavefront6targetE0EEEvS12_.uses_vcc, 0
	.set _ZN7rocprim17ROCPRIM_400000_NS6detail17trampoline_kernelINS0_13select_configILj256ELj13ELNS0_17block_load_methodE3ELS4_3ELS4_3ELNS0_20block_scan_algorithmE0ELj4294967295EEENS1_25partition_config_selectorILNS1_17partition_subalgoE4EjNS0_10empty_typeEbEEZZNS1_14partition_implILS8_4ELb0ES6_15HIP_vector_typeIjLj2EENS0_17counting_iteratorIjlEEPS9_SG_NS0_5tupleIJPjSI_NS0_16reverse_iteratorISI_EEEEENSH_IJSG_SG_SG_EEES9_SI_JZNS1_25segmented_radix_sort_implINS0_14default_configELb0EPKaPaPKlPlN2at6native12_GLOBAL__N_18offset_tEEE10hipError_tPvRmT1_PNSt15iterator_traitsIS12_E10value_typeET2_T3_PNS13_IS18_E10value_typeET4_jRbjT5_S1E_jjP12ihipStream_tbEUljE_ZNSN_ISO_Lb0ESQ_SR_ST_SU_SY_EESZ_S10_S11_S12_S16_S17_S18_S1B_S1C_jS1D_jS1E_S1E_jjS1G_bEUljE0_EEESZ_S10_S11_S18_S1C_S1E_T6_T7_T9_mT8_S1G_bDpT10_ENKUlT_T0_E_clISt17integral_constantIbLb0EES1U_EEDaS1P_S1Q_EUlS1P_E_NS1_11comp_targetILNS1_3genE4ELNS1_11target_archE910ELNS1_3gpuE8ELNS1_3repE0EEENS1_30default_config_static_selectorELNS0_4arch9wavefront6targetE0EEEvS12_.uses_flat_scratch, 0
	.set _ZN7rocprim17ROCPRIM_400000_NS6detail17trampoline_kernelINS0_13select_configILj256ELj13ELNS0_17block_load_methodE3ELS4_3ELS4_3ELNS0_20block_scan_algorithmE0ELj4294967295EEENS1_25partition_config_selectorILNS1_17partition_subalgoE4EjNS0_10empty_typeEbEEZZNS1_14partition_implILS8_4ELb0ES6_15HIP_vector_typeIjLj2EENS0_17counting_iteratorIjlEEPS9_SG_NS0_5tupleIJPjSI_NS0_16reverse_iteratorISI_EEEEENSH_IJSG_SG_SG_EEES9_SI_JZNS1_25segmented_radix_sort_implINS0_14default_configELb0EPKaPaPKlPlN2at6native12_GLOBAL__N_18offset_tEEE10hipError_tPvRmT1_PNSt15iterator_traitsIS12_E10value_typeET2_T3_PNS13_IS18_E10value_typeET4_jRbjT5_S1E_jjP12ihipStream_tbEUljE_ZNSN_ISO_Lb0ESQ_SR_ST_SU_SY_EESZ_S10_S11_S12_S16_S17_S18_S1B_S1C_jS1D_jS1E_S1E_jjS1G_bEUljE0_EEESZ_S10_S11_S18_S1C_S1E_T6_T7_T9_mT8_S1G_bDpT10_ENKUlT_T0_E_clISt17integral_constantIbLb0EES1U_EEDaS1P_S1Q_EUlS1P_E_NS1_11comp_targetILNS1_3genE4ELNS1_11target_archE910ELNS1_3gpuE8ELNS1_3repE0EEENS1_30default_config_static_selectorELNS0_4arch9wavefront6targetE0EEEvS12_.has_dyn_sized_stack, 0
	.set _ZN7rocprim17ROCPRIM_400000_NS6detail17trampoline_kernelINS0_13select_configILj256ELj13ELNS0_17block_load_methodE3ELS4_3ELS4_3ELNS0_20block_scan_algorithmE0ELj4294967295EEENS1_25partition_config_selectorILNS1_17partition_subalgoE4EjNS0_10empty_typeEbEEZZNS1_14partition_implILS8_4ELb0ES6_15HIP_vector_typeIjLj2EENS0_17counting_iteratorIjlEEPS9_SG_NS0_5tupleIJPjSI_NS0_16reverse_iteratorISI_EEEEENSH_IJSG_SG_SG_EEES9_SI_JZNS1_25segmented_radix_sort_implINS0_14default_configELb0EPKaPaPKlPlN2at6native12_GLOBAL__N_18offset_tEEE10hipError_tPvRmT1_PNSt15iterator_traitsIS12_E10value_typeET2_T3_PNS13_IS18_E10value_typeET4_jRbjT5_S1E_jjP12ihipStream_tbEUljE_ZNSN_ISO_Lb0ESQ_SR_ST_SU_SY_EESZ_S10_S11_S12_S16_S17_S18_S1B_S1C_jS1D_jS1E_S1E_jjS1G_bEUljE0_EEESZ_S10_S11_S18_S1C_S1E_T6_T7_T9_mT8_S1G_bDpT10_ENKUlT_T0_E_clISt17integral_constantIbLb0EES1U_EEDaS1P_S1Q_EUlS1P_E_NS1_11comp_targetILNS1_3genE4ELNS1_11target_archE910ELNS1_3gpuE8ELNS1_3repE0EEENS1_30default_config_static_selectorELNS0_4arch9wavefront6targetE0EEEvS12_.has_recursion, 0
	.set _ZN7rocprim17ROCPRIM_400000_NS6detail17trampoline_kernelINS0_13select_configILj256ELj13ELNS0_17block_load_methodE3ELS4_3ELS4_3ELNS0_20block_scan_algorithmE0ELj4294967295EEENS1_25partition_config_selectorILNS1_17partition_subalgoE4EjNS0_10empty_typeEbEEZZNS1_14partition_implILS8_4ELb0ES6_15HIP_vector_typeIjLj2EENS0_17counting_iteratorIjlEEPS9_SG_NS0_5tupleIJPjSI_NS0_16reverse_iteratorISI_EEEEENSH_IJSG_SG_SG_EEES9_SI_JZNS1_25segmented_radix_sort_implINS0_14default_configELb0EPKaPaPKlPlN2at6native12_GLOBAL__N_18offset_tEEE10hipError_tPvRmT1_PNSt15iterator_traitsIS12_E10value_typeET2_T3_PNS13_IS18_E10value_typeET4_jRbjT5_S1E_jjP12ihipStream_tbEUljE_ZNSN_ISO_Lb0ESQ_SR_ST_SU_SY_EESZ_S10_S11_S12_S16_S17_S18_S1B_S1C_jS1D_jS1E_S1E_jjS1G_bEUljE0_EEESZ_S10_S11_S18_S1C_S1E_T6_T7_T9_mT8_S1G_bDpT10_ENKUlT_T0_E_clISt17integral_constantIbLb0EES1U_EEDaS1P_S1Q_EUlS1P_E_NS1_11comp_targetILNS1_3genE4ELNS1_11target_archE910ELNS1_3gpuE8ELNS1_3repE0EEENS1_30default_config_static_selectorELNS0_4arch9wavefront6targetE0EEEvS12_.has_indirect_call, 0
	.section	.AMDGPU.csdata,"",@progbits
; Kernel info:
; codeLenInByte = 0
; TotalNumSgprs: 0
; NumVgprs: 0
; ScratchSize: 0
; MemoryBound: 0
; FloatMode: 240
; IeeeMode: 1
; LDSByteSize: 0 bytes/workgroup (compile time only)
; SGPRBlocks: 0
; VGPRBlocks: 0
; NumSGPRsForWavesPerEU: 1
; NumVGPRsForWavesPerEU: 1
; Occupancy: 16
; WaveLimiterHint : 0
; COMPUTE_PGM_RSRC2:SCRATCH_EN: 0
; COMPUTE_PGM_RSRC2:USER_SGPR: 6
; COMPUTE_PGM_RSRC2:TRAP_HANDLER: 0
; COMPUTE_PGM_RSRC2:TGID_X_EN: 1
; COMPUTE_PGM_RSRC2:TGID_Y_EN: 0
; COMPUTE_PGM_RSRC2:TGID_Z_EN: 0
; COMPUTE_PGM_RSRC2:TIDIG_COMP_CNT: 0
	.section	.text._ZN7rocprim17ROCPRIM_400000_NS6detail17trampoline_kernelINS0_13select_configILj256ELj13ELNS0_17block_load_methodE3ELS4_3ELS4_3ELNS0_20block_scan_algorithmE0ELj4294967295EEENS1_25partition_config_selectorILNS1_17partition_subalgoE4EjNS0_10empty_typeEbEEZZNS1_14partition_implILS8_4ELb0ES6_15HIP_vector_typeIjLj2EENS0_17counting_iteratorIjlEEPS9_SG_NS0_5tupleIJPjSI_NS0_16reverse_iteratorISI_EEEEENSH_IJSG_SG_SG_EEES9_SI_JZNS1_25segmented_radix_sort_implINS0_14default_configELb0EPKaPaPKlPlN2at6native12_GLOBAL__N_18offset_tEEE10hipError_tPvRmT1_PNSt15iterator_traitsIS12_E10value_typeET2_T3_PNS13_IS18_E10value_typeET4_jRbjT5_S1E_jjP12ihipStream_tbEUljE_ZNSN_ISO_Lb0ESQ_SR_ST_SU_SY_EESZ_S10_S11_S12_S16_S17_S18_S1B_S1C_jS1D_jS1E_S1E_jjS1G_bEUljE0_EEESZ_S10_S11_S18_S1C_S1E_T6_T7_T9_mT8_S1G_bDpT10_ENKUlT_T0_E_clISt17integral_constantIbLb0EES1U_EEDaS1P_S1Q_EUlS1P_E_NS1_11comp_targetILNS1_3genE3ELNS1_11target_archE908ELNS1_3gpuE7ELNS1_3repE0EEENS1_30default_config_static_selectorELNS0_4arch9wavefront6targetE0EEEvS12_,"axG",@progbits,_ZN7rocprim17ROCPRIM_400000_NS6detail17trampoline_kernelINS0_13select_configILj256ELj13ELNS0_17block_load_methodE3ELS4_3ELS4_3ELNS0_20block_scan_algorithmE0ELj4294967295EEENS1_25partition_config_selectorILNS1_17partition_subalgoE4EjNS0_10empty_typeEbEEZZNS1_14partition_implILS8_4ELb0ES6_15HIP_vector_typeIjLj2EENS0_17counting_iteratorIjlEEPS9_SG_NS0_5tupleIJPjSI_NS0_16reverse_iteratorISI_EEEEENSH_IJSG_SG_SG_EEES9_SI_JZNS1_25segmented_radix_sort_implINS0_14default_configELb0EPKaPaPKlPlN2at6native12_GLOBAL__N_18offset_tEEE10hipError_tPvRmT1_PNSt15iterator_traitsIS12_E10value_typeET2_T3_PNS13_IS18_E10value_typeET4_jRbjT5_S1E_jjP12ihipStream_tbEUljE_ZNSN_ISO_Lb0ESQ_SR_ST_SU_SY_EESZ_S10_S11_S12_S16_S17_S18_S1B_S1C_jS1D_jS1E_S1E_jjS1G_bEUljE0_EEESZ_S10_S11_S18_S1C_S1E_T6_T7_T9_mT8_S1G_bDpT10_ENKUlT_T0_E_clISt17integral_constantIbLb0EES1U_EEDaS1P_S1Q_EUlS1P_E_NS1_11comp_targetILNS1_3genE3ELNS1_11target_archE908ELNS1_3gpuE7ELNS1_3repE0EEENS1_30default_config_static_selectorELNS0_4arch9wavefront6targetE0EEEvS12_,comdat
	.globl	_ZN7rocprim17ROCPRIM_400000_NS6detail17trampoline_kernelINS0_13select_configILj256ELj13ELNS0_17block_load_methodE3ELS4_3ELS4_3ELNS0_20block_scan_algorithmE0ELj4294967295EEENS1_25partition_config_selectorILNS1_17partition_subalgoE4EjNS0_10empty_typeEbEEZZNS1_14partition_implILS8_4ELb0ES6_15HIP_vector_typeIjLj2EENS0_17counting_iteratorIjlEEPS9_SG_NS0_5tupleIJPjSI_NS0_16reverse_iteratorISI_EEEEENSH_IJSG_SG_SG_EEES9_SI_JZNS1_25segmented_radix_sort_implINS0_14default_configELb0EPKaPaPKlPlN2at6native12_GLOBAL__N_18offset_tEEE10hipError_tPvRmT1_PNSt15iterator_traitsIS12_E10value_typeET2_T3_PNS13_IS18_E10value_typeET4_jRbjT5_S1E_jjP12ihipStream_tbEUljE_ZNSN_ISO_Lb0ESQ_SR_ST_SU_SY_EESZ_S10_S11_S12_S16_S17_S18_S1B_S1C_jS1D_jS1E_S1E_jjS1G_bEUljE0_EEESZ_S10_S11_S18_S1C_S1E_T6_T7_T9_mT8_S1G_bDpT10_ENKUlT_T0_E_clISt17integral_constantIbLb0EES1U_EEDaS1P_S1Q_EUlS1P_E_NS1_11comp_targetILNS1_3genE3ELNS1_11target_archE908ELNS1_3gpuE7ELNS1_3repE0EEENS1_30default_config_static_selectorELNS0_4arch9wavefront6targetE0EEEvS12_ ; -- Begin function _ZN7rocprim17ROCPRIM_400000_NS6detail17trampoline_kernelINS0_13select_configILj256ELj13ELNS0_17block_load_methodE3ELS4_3ELS4_3ELNS0_20block_scan_algorithmE0ELj4294967295EEENS1_25partition_config_selectorILNS1_17partition_subalgoE4EjNS0_10empty_typeEbEEZZNS1_14partition_implILS8_4ELb0ES6_15HIP_vector_typeIjLj2EENS0_17counting_iteratorIjlEEPS9_SG_NS0_5tupleIJPjSI_NS0_16reverse_iteratorISI_EEEEENSH_IJSG_SG_SG_EEES9_SI_JZNS1_25segmented_radix_sort_implINS0_14default_configELb0EPKaPaPKlPlN2at6native12_GLOBAL__N_18offset_tEEE10hipError_tPvRmT1_PNSt15iterator_traitsIS12_E10value_typeET2_T3_PNS13_IS18_E10value_typeET4_jRbjT5_S1E_jjP12ihipStream_tbEUljE_ZNSN_ISO_Lb0ESQ_SR_ST_SU_SY_EESZ_S10_S11_S12_S16_S17_S18_S1B_S1C_jS1D_jS1E_S1E_jjS1G_bEUljE0_EEESZ_S10_S11_S18_S1C_S1E_T6_T7_T9_mT8_S1G_bDpT10_ENKUlT_T0_E_clISt17integral_constantIbLb0EES1U_EEDaS1P_S1Q_EUlS1P_E_NS1_11comp_targetILNS1_3genE3ELNS1_11target_archE908ELNS1_3gpuE7ELNS1_3repE0EEENS1_30default_config_static_selectorELNS0_4arch9wavefront6targetE0EEEvS12_
	.p2align	8
	.type	_ZN7rocprim17ROCPRIM_400000_NS6detail17trampoline_kernelINS0_13select_configILj256ELj13ELNS0_17block_load_methodE3ELS4_3ELS4_3ELNS0_20block_scan_algorithmE0ELj4294967295EEENS1_25partition_config_selectorILNS1_17partition_subalgoE4EjNS0_10empty_typeEbEEZZNS1_14partition_implILS8_4ELb0ES6_15HIP_vector_typeIjLj2EENS0_17counting_iteratorIjlEEPS9_SG_NS0_5tupleIJPjSI_NS0_16reverse_iteratorISI_EEEEENSH_IJSG_SG_SG_EEES9_SI_JZNS1_25segmented_radix_sort_implINS0_14default_configELb0EPKaPaPKlPlN2at6native12_GLOBAL__N_18offset_tEEE10hipError_tPvRmT1_PNSt15iterator_traitsIS12_E10value_typeET2_T3_PNS13_IS18_E10value_typeET4_jRbjT5_S1E_jjP12ihipStream_tbEUljE_ZNSN_ISO_Lb0ESQ_SR_ST_SU_SY_EESZ_S10_S11_S12_S16_S17_S18_S1B_S1C_jS1D_jS1E_S1E_jjS1G_bEUljE0_EEESZ_S10_S11_S18_S1C_S1E_T6_T7_T9_mT8_S1G_bDpT10_ENKUlT_T0_E_clISt17integral_constantIbLb0EES1U_EEDaS1P_S1Q_EUlS1P_E_NS1_11comp_targetILNS1_3genE3ELNS1_11target_archE908ELNS1_3gpuE7ELNS1_3repE0EEENS1_30default_config_static_selectorELNS0_4arch9wavefront6targetE0EEEvS12_,@function
_ZN7rocprim17ROCPRIM_400000_NS6detail17trampoline_kernelINS0_13select_configILj256ELj13ELNS0_17block_load_methodE3ELS4_3ELS4_3ELNS0_20block_scan_algorithmE0ELj4294967295EEENS1_25partition_config_selectorILNS1_17partition_subalgoE4EjNS0_10empty_typeEbEEZZNS1_14partition_implILS8_4ELb0ES6_15HIP_vector_typeIjLj2EENS0_17counting_iteratorIjlEEPS9_SG_NS0_5tupleIJPjSI_NS0_16reverse_iteratorISI_EEEEENSH_IJSG_SG_SG_EEES9_SI_JZNS1_25segmented_radix_sort_implINS0_14default_configELb0EPKaPaPKlPlN2at6native12_GLOBAL__N_18offset_tEEE10hipError_tPvRmT1_PNSt15iterator_traitsIS12_E10value_typeET2_T3_PNS13_IS18_E10value_typeET4_jRbjT5_S1E_jjP12ihipStream_tbEUljE_ZNSN_ISO_Lb0ESQ_SR_ST_SU_SY_EESZ_S10_S11_S12_S16_S17_S18_S1B_S1C_jS1D_jS1E_S1E_jjS1G_bEUljE0_EEESZ_S10_S11_S18_S1C_S1E_T6_T7_T9_mT8_S1G_bDpT10_ENKUlT_T0_E_clISt17integral_constantIbLb0EES1U_EEDaS1P_S1Q_EUlS1P_E_NS1_11comp_targetILNS1_3genE3ELNS1_11target_archE908ELNS1_3gpuE7ELNS1_3repE0EEENS1_30default_config_static_selectorELNS0_4arch9wavefront6targetE0EEEvS12_: ; @_ZN7rocprim17ROCPRIM_400000_NS6detail17trampoline_kernelINS0_13select_configILj256ELj13ELNS0_17block_load_methodE3ELS4_3ELS4_3ELNS0_20block_scan_algorithmE0ELj4294967295EEENS1_25partition_config_selectorILNS1_17partition_subalgoE4EjNS0_10empty_typeEbEEZZNS1_14partition_implILS8_4ELb0ES6_15HIP_vector_typeIjLj2EENS0_17counting_iteratorIjlEEPS9_SG_NS0_5tupleIJPjSI_NS0_16reverse_iteratorISI_EEEEENSH_IJSG_SG_SG_EEES9_SI_JZNS1_25segmented_radix_sort_implINS0_14default_configELb0EPKaPaPKlPlN2at6native12_GLOBAL__N_18offset_tEEE10hipError_tPvRmT1_PNSt15iterator_traitsIS12_E10value_typeET2_T3_PNS13_IS18_E10value_typeET4_jRbjT5_S1E_jjP12ihipStream_tbEUljE_ZNSN_ISO_Lb0ESQ_SR_ST_SU_SY_EESZ_S10_S11_S12_S16_S17_S18_S1B_S1C_jS1D_jS1E_S1E_jjS1G_bEUljE0_EEESZ_S10_S11_S18_S1C_S1E_T6_T7_T9_mT8_S1G_bDpT10_ENKUlT_T0_E_clISt17integral_constantIbLb0EES1U_EEDaS1P_S1Q_EUlS1P_E_NS1_11comp_targetILNS1_3genE3ELNS1_11target_archE908ELNS1_3gpuE7ELNS1_3repE0EEENS1_30default_config_static_selectorELNS0_4arch9wavefront6targetE0EEEvS12_
; %bb.0:
	.section	.rodata,"a",@progbits
	.p2align	6, 0x0
	.amdhsa_kernel _ZN7rocprim17ROCPRIM_400000_NS6detail17trampoline_kernelINS0_13select_configILj256ELj13ELNS0_17block_load_methodE3ELS4_3ELS4_3ELNS0_20block_scan_algorithmE0ELj4294967295EEENS1_25partition_config_selectorILNS1_17partition_subalgoE4EjNS0_10empty_typeEbEEZZNS1_14partition_implILS8_4ELb0ES6_15HIP_vector_typeIjLj2EENS0_17counting_iteratorIjlEEPS9_SG_NS0_5tupleIJPjSI_NS0_16reverse_iteratorISI_EEEEENSH_IJSG_SG_SG_EEES9_SI_JZNS1_25segmented_radix_sort_implINS0_14default_configELb0EPKaPaPKlPlN2at6native12_GLOBAL__N_18offset_tEEE10hipError_tPvRmT1_PNSt15iterator_traitsIS12_E10value_typeET2_T3_PNS13_IS18_E10value_typeET4_jRbjT5_S1E_jjP12ihipStream_tbEUljE_ZNSN_ISO_Lb0ESQ_SR_ST_SU_SY_EESZ_S10_S11_S12_S16_S17_S18_S1B_S1C_jS1D_jS1E_S1E_jjS1G_bEUljE0_EEESZ_S10_S11_S18_S1C_S1E_T6_T7_T9_mT8_S1G_bDpT10_ENKUlT_T0_E_clISt17integral_constantIbLb0EES1U_EEDaS1P_S1Q_EUlS1P_E_NS1_11comp_targetILNS1_3genE3ELNS1_11target_archE908ELNS1_3gpuE7ELNS1_3repE0EEENS1_30default_config_static_selectorELNS0_4arch9wavefront6targetE0EEEvS12_
		.amdhsa_group_segment_fixed_size 0
		.amdhsa_private_segment_fixed_size 0
		.amdhsa_kernarg_size 176
		.amdhsa_user_sgpr_count 6
		.amdhsa_user_sgpr_private_segment_buffer 1
		.amdhsa_user_sgpr_dispatch_ptr 0
		.amdhsa_user_sgpr_queue_ptr 0
		.amdhsa_user_sgpr_kernarg_segment_ptr 1
		.amdhsa_user_sgpr_dispatch_id 0
		.amdhsa_user_sgpr_flat_scratch_init 0
		.amdhsa_user_sgpr_private_segment_size 0
		.amdhsa_wavefront_size32 1
		.amdhsa_uses_dynamic_stack 0
		.amdhsa_system_sgpr_private_segment_wavefront_offset 0
		.amdhsa_system_sgpr_workgroup_id_x 1
		.amdhsa_system_sgpr_workgroup_id_y 0
		.amdhsa_system_sgpr_workgroup_id_z 0
		.amdhsa_system_sgpr_workgroup_info 0
		.amdhsa_system_vgpr_workitem_id 0
		.amdhsa_next_free_vgpr 1
		.amdhsa_next_free_sgpr 1
		.amdhsa_reserve_vcc 0
		.amdhsa_reserve_flat_scratch 0
		.amdhsa_float_round_mode_32 0
		.amdhsa_float_round_mode_16_64 0
		.amdhsa_float_denorm_mode_32 3
		.amdhsa_float_denorm_mode_16_64 3
		.amdhsa_dx10_clamp 1
		.amdhsa_ieee_mode 1
		.amdhsa_fp16_overflow 0
		.amdhsa_workgroup_processor_mode 1
		.amdhsa_memory_ordered 1
		.amdhsa_forward_progress 1
		.amdhsa_shared_vgpr_count 0
		.amdhsa_exception_fp_ieee_invalid_op 0
		.amdhsa_exception_fp_denorm_src 0
		.amdhsa_exception_fp_ieee_div_zero 0
		.amdhsa_exception_fp_ieee_overflow 0
		.amdhsa_exception_fp_ieee_underflow 0
		.amdhsa_exception_fp_ieee_inexact 0
		.amdhsa_exception_int_div_zero 0
	.end_amdhsa_kernel
	.section	.text._ZN7rocprim17ROCPRIM_400000_NS6detail17trampoline_kernelINS0_13select_configILj256ELj13ELNS0_17block_load_methodE3ELS4_3ELS4_3ELNS0_20block_scan_algorithmE0ELj4294967295EEENS1_25partition_config_selectorILNS1_17partition_subalgoE4EjNS0_10empty_typeEbEEZZNS1_14partition_implILS8_4ELb0ES6_15HIP_vector_typeIjLj2EENS0_17counting_iteratorIjlEEPS9_SG_NS0_5tupleIJPjSI_NS0_16reverse_iteratorISI_EEEEENSH_IJSG_SG_SG_EEES9_SI_JZNS1_25segmented_radix_sort_implINS0_14default_configELb0EPKaPaPKlPlN2at6native12_GLOBAL__N_18offset_tEEE10hipError_tPvRmT1_PNSt15iterator_traitsIS12_E10value_typeET2_T3_PNS13_IS18_E10value_typeET4_jRbjT5_S1E_jjP12ihipStream_tbEUljE_ZNSN_ISO_Lb0ESQ_SR_ST_SU_SY_EESZ_S10_S11_S12_S16_S17_S18_S1B_S1C_jS1D_jS1E_S1E_jjS1G_bEUljE0_EEESZ_S10_S11_S18_S1C_S1E_T6_T7_T9_mT8_S1G_bDpT10_ENKUlT_T0_E_clISt17integral_constantIbLb0EES1U_EEDaS1P_S1Q_EUlS1P_E_NS1_11comp_targetILNS1_3genE3ELNS1_11target_archE908ELNS1_3gpuE7ELNS1_3repE0EEENS1_30default_config_static_selectorELNS0_4arch9wavefront6targetE0EEEvS12_,"axG",@progbits,_ZN7rocprim17ROCPRIM_400000_NS6detail17trampoline_kernelINS0_13select_configILj256ELj13ELNS0_17block_load_methodE3ELS4_3ELS4_3ELNS0_20block_scan_algorithmE0ELj4294967295EEENS1_25partition_config_selectorILNS1_17partition_subalgoE4EjNS0_10empty_typeEbEEZZNS1_14partition_implILS8_4ELb0ES6_15HIP_vector_typeIjLj2EENS0_17counting_iteratorIjlEEPS9_SG_NS0_5tupleIJPjSI_NS0_16reverse_iteratorISI_EEEEENSH_IJSG_SG_SG_EEES9_SI_JZNS1_25segmented_radix_sort_implINS0_14default_configELb0EPKaPaPKlPlN2at6native12_GLOBAL__N_18offset_tEEE10hipError_tPvRmT1_PNSt15iterator_traitsIS12_E10value_typeET2_T3_PNS13_IS18_E10value_typeET4_jRbjT5_S1E_jjP12ihipStream_tbEUljE_ZNSN_ISO_Lb0ESQ_SR_ST_SU_SY_EESZ_S10_S11_S12_S16_S17_S18_S1B_S1C_jS1D_jS1E_S1E_jjS1G_bEUljE0_EEESZ_S10_S11_S18_S1C_S1E_T6_T7_T9_mT8_S1G_bDpT10_ENKUlT_T0_E_clISt17integral_constantIbLb0EES1U_EEDaS1P_S1Q_EUlS1P_E_NS1_11comp_targetILNS1_3genE3ELNS1_11target_archE908ELNS1_3gpuE7ELNS1_3repE0EEENS1_30default_config_static_selectorELNS0_4arch9wavefront6targetE0EEEvS12_,comdat
.Lfunc_end329:
	.size	_ZN7rocprim17ROCPRIM_400000_NS6detail17trampoline_kernelINS0_13select_configILj256ELj13ELNS0_17block_load_methodE3ELS4_3ELS4_3ELNS0_20block_scan_algorithmE0ELj4294967295EEENS1_25partition_config_selectorILNS1_17partition_subalgoE4EjNS0_10empty_typeEbEEZZNS1_14partition_implILS8_4ELb0ES6_15HIP_vector_typeIjLj2EENS0_17counting_iteratorIjlEEPS9_SG_NS0_5tupleIJPjSI_NS0_16reverse_iteratorISI_EEEEENSH_IJSG_SG_SG_EEES9_SI_JZNS1_25segmented_radix_sort_implINS0_14default_configELb0EPKaPaPKlPlN2at6native12_GLOBAL__N_18offset_tEEE10hipError_tPvRmT1_PNSt15iterator_traitsIS12_E10value_typeET2_T3_PNS13_IS18_E10value_typeET4_jRbjT5_S1E_jjP12ihipStream_tbEUljE_ZNSN_ISO_Lb0ESQ_SR_ST_SU_SY_EESZ_S10_S11_S12_S16_S17_S18_S1B_S1C_jS1D_jS1E_S1E_jjS1G_bEUljE0_EEESZ_S10_S11_S18_S1C_S1E_T6_T7_T9_mT8_S1G_bDpT10_ENKUlT_T0_E_clISt17integral_constantIbLb0EES1U_EEDaS1P_S1Q_EUlS1P_E_NS1_11comp_targetILNS1_3genE3ELNS1_11target_archE908ELNS1_3gpuE7ELNS1_3repE0EEENS1_30default_config_static_selectorELNS0_4arch9wavefront6targetE0EEEvS12_, .Lfunc_end329-_ZN7rocprim17ROCPRIM_400000_NS6detail17trampoline_kernelINS0_13select_configILj256ELj13ELNS0_17block_load_methodE3ELS4_3ELS4_3ELNS0_20block_scan_algorithmE0ELj4294967295EEENS1_25partition_config_selectorILNS1_17partition_subalgoE4EjNS0_10empty_typeEbEEZZNS1_14partition_implILS8_4ELb0ES6_15HIP_vector_typeIjLj2EENS0_17counting_iteratorIjlEEPS9_SG_NS0_5tupleIJPjSI_NS0_16reverse_iteratorISI_EEEEENSH_IJSG_SG_SG_EEES9_SI_JZNS1_25segmented_radix_sort_implINS0_14default_configELb0EPKaPaPKlPlN2at6native12_GLOBAL__N_18offset_tEEE10hipError_tPvRmT1_PNSt15iterator_traitsIS12_E10value_typeET2_T3_PNS13_IS18_E10value_typeET4_jRbjT5_S1E_jjP12ihipStream_tbEUljE_ZNSN_ISO_Lb0ESQ_SR_ST_SU_SY_EESZ_S10_S11_S12_S16_S17_S18_S1B_S1C_jS1D_jS1E_S1E_jjS1G_bEUljE0_EEESZ_S10_S11_S18_S1C_S1E_T6_T7_T9_mT8_S1G_bDpT10_ENKUlT_T0_E_clISt17integral_constantIbLb0EES1U_EEDaS1P_S1Q_EUlS1P_E_NS1_11comp_targetILNS1_3genE3ELNS1_11target_archE908ELNS1_3gpuE7ELNS1_3repE0EEENS1_30default_config_static_selectorELNS0_4arch9wavefront6targetE0EEEvS12_
                                        ; -- End function
	.set _ZN7rocprim17ROCPRIM_400000_NS6detail17trampoline_kernelINS0_13select_configILj256ELj13ELNS0_17block_load_methodE3ELS4_3ELS4_3ELNS0_20block_scan_algorithmE0ELj4294967295EEENS1_25partition_config_selectorILNS1_17partition_subalgoE4EjNS0_10empty_typeEbEEZZNS1_14partition_implILS8_4ELb0ES6_15HIP_vector_typeIjLj2EENS0_17counting_iteratorIjlEEPS9_SG_NS0_5tupleIJPjSI_NS0_16reverse_iteratorISI_EEEEENSH_IJSG_SG_SG_EEES9_SI_JZNS1_25segmented_radix_sort_implINS0_14default_configELb0EPKaPaPKlPlN2at6native12_GLOBAL__N_18offset_tEEE10hipError_tPvRmT1_PNSt15iterator_traitsIS12_E10value_typeET2_T3_PNS13_IS18_E10value_typeET4_jRbjT5_S1E_jjP12ihipStream_tbEUljE_ZNSN_ISO_Lb0ESQ_SR_ST_SU_SY_EESZ_S10_S11_S12_S16_S17_S18_S1B_S1C_jS1D_jS1E_S1E_jjS1G_bEUljE0_EEESZ_S10_S11_S18_S1C_S1E_T6_T7_T9_mT8_S1G_bDpT10_ENKUlT_T0_E_clISt17integral_constantIbLb0EES1U_EEDaS1P_S1Q_EUlS1P_E_NS1_11comp_targetILNS1_3genE3ELNS1_11target_archE908ELNS1_3gpuE7ELNS1_3repE0EEENS1_30default_config_static_selectorELNS0_4arch9wavefront6targetE0EEEvS12_.num_vgpr, 0
	.set _ZN7rocprim17ROCPRIM_400000_NS6detail17trampoline_kernelINS0_13select_configILj256ELj13ELNS0_17block_load_methodE3ELS4_3ELS4_3ELNS0_20block_scan_algorithmE0ELj4294967295EEENS1_25partition_config_selectorILNS1_17partition_subalgoE4EjNS0_10empty_typeEbEEZZNS1_14partition_implILS8_4ELb0ES6_15HIP_vector_typeIjLj2EENS0_17counting_iteratorIjlEEPS9_SG_NS0_5tupleIJPjSI_NS0_16reverse_iteratorISI_EEEEENSH_IJSG_SG_SG_EEES9_SI_JZNS1_25segmented_radix_sort_implINS0_14default_configELb0EPKaPaPKlPlN2at6native12_GLOBAL__N_18offset_tEEE10hipError_tPvRmT1_PNSt15iterator_traitsIS12_E10value_typeET2_T3_PNS13_IS18_E10value_typeET4_jRbjT5_S1E_jjP12ihipStream_tbEUljE_ZNSN_ISO_Lb0ESQ_SR_ST_SU_SY_EESZ_S10_S11_S12_S16_S17_S18_S1B_S1C_jS1D_jS1E_S1E_jjS1G_bEUljE0_EEESZ_S10_S11_S18_S1C_S1E_T6_T7_T9_mT8_S1G_bDpT10_ENKUlT_T0_E_clISt17integral_constantIbLb0EES1U_EEDaS1P_S1Q_EUlS1P_E_NS1_11comp_targetILNS1_3genE3ELNS1_11target_archE908ELNS1_3gpuE7ELNS1_3repE0EEENS1_30default_config_static_selectorELNS0_4arch9wavefront6targetE0EEEvS12_.num_agpr, 0
	.set _ZN7rocprim17ROCPRIM_400000_NS6detail17trampoline_kernelINS0_13select_configILj256ELj13ELNS0_17block_load_methodE3ELS4_3ELS4_3ELNS0_20block_scan_algorithmE0ELj4294967295EEENS1_25partition_config_selectorILNS1_17partition_subalgoE4EjNS0_10empty_typeEbEEZZNS1_14partition_implILS8_4ELb0ES6_15HIP_vector_typeIjLj2EENS0_17counting_iteratorIjlEEPS9_SG_NS0_5tupleIJPjSI_NS0_16reverse_iteratorISI_EEEEENSH_IJSG_SG_SG_EEES9_SI_JZNS1_25segmented_radix_sort_implINS0_14default_configELb0EPKaPaPKlPlN2at6native12_GLOBAL__N_18offset_tEEE10hipError_tPvRmT1_PNSt15iterator_traitsIS12_E10value_typeET2_T3_PNS13_IS18_E10value_typeET4_jRbjT5_S1E_jjP12ihipStream_tbEUljE_ZNSN_ISO_Lb0ESQ_SR_ST_SU_SY_EESZ_S10_S11_S12_S16_S17_S18_S1B_S1C_jS1D_jS1E_S1E_jjS1G_bEUljE0_EEESZ_S10_S11_S18_S1C_S1E_T6_T7_T9_mT8_S1G_bDpT10_ENKUlT_T0_E_clISt17integral_constantIbLb0EES1U_EEDaS1P_S1Q_EUlS1P_E_NS1_11comp_targetILNS1_3genE3ELNS1_11target_archE908ELNS1_3gpuE7ELNS1_3repE0EEENS1_30default_config_static_selectorELNS0_4arch9wavefront6targetE0EEEvS12_.numbered_sgpr, 0
	.set _ZN7rocprim17ROCPRIM_400000_NS6detail17trampoline_kernelINS0_13select_configILj256ELj13ELNS0_17block_load_methodE3ELS4_3ELS4_3ELNS0_20block_scan_algorithmE0ELj4294967295EEENS1_25partition_config_selectorILNS1_17partition_subalgoE4EjNS0_10empty_typeEbEEZZNS1_14partition_implILS8_4ELb0ES6_15HIP_vector_typeIjLj2EENS0_17counting_iteratorIjlEEPS9_SG_NS0_5tupleIJPjSI_NS0_16reverse_iteratorISI_EEEEENSH_IJSG_SG_SG_EEES9_SI_JZNS1_25segmented_radix_sort_implINS0_14default_configELb0EPKaPaPKlPlN2at6native12_GLOBAL__N_18offset_tEEE10hipError_tPvRmT1_PNSt15iterator_traitsIS12_E10value_typeET2_T3_PNS13_IS18_E10value_typeET4_jRbjT5_S1E_jjP12ihipStream_tbEUljE_ZNSN_ISO_Lb0ESQ_SR_ST_SU_SY_EESZ_S10_S11_S12_S16_S17_S18_S1B_S1C_jS1D_jS1E_S1E_jjS1G_bEUljE0_EEESZ_S10_S11_S18_S1C_S1E_T6_T7_T9_mT8_S1G_bDpT10_ENKUlT_T0_E_clISt17integral_constantIbLb0EES1U_EEDaS1P_S1Q_EUlS1P_E_NS1_11comp_targetILNS1_3genE3ELNS1_11target_archE908ELNS1_3gpuE7ELNS1_3repE0EEENS1_30default_config_static_selectorELNS0_4arch9wavefront6targetE0EEEvS12_.num_named_barrier, 0
	.set _ZN7rocprim17ROCPRIM_400000_NS6detail17trampoline_kernelINS0_13select_configILj256ELj13ELNS0_17block_load_methodE3ELS4_3ELS4_3ELNS0_20block_scan_algorithmE0ELj4294967295EEENS1_25partition_config_selectorILNS1_17partition_subalgoE4EjNS0_10empty_typeEbEEZZNS1_14partition_implILS8_4ELb0ES6_15HIP_vector_typeIjLj2EENS0_17counting_iteratorIjlEEPS9_SG_NS0_5tupleIJPjSI_NS0_16reverse_iteratorISI_EEEEENSH_IJSG_SG_SG_EEES9_SI_JZNS1_25segmented_radix_sort_implINS0_14default_configELb0EPKaPaPKlPlN2at6native12_GLOBAL__N_18offset_tEEE10hipError_tPvRmT1_PNSt15iterator_traitsIS12_E10value_typeET2_T3_PNS13_IS18_E10value_typeET4_jRbjT5_S1E_jjP12ihipStream_tbEUljE_ZNSN_ISO_Lb0ESQ_SR_ST_SU_SY_EESZ_S10_S11_S12_S16_S17_S18_S1B_S1C_jS1D_jS1E_S1E_jjS1G_bEUljE0_EEESZ_S10_S11_S18_S1C_S1E_T6_T7_T9_mT8_S1G_bDpT10_ENKUlT_T0_E_clISt17integral_constantIbLb0EES1U_EEDaS1P_S1Q_EUlS1P_E_NS1_11comp_targetILNS1_3genE3ELNS1_11target_archE908ELNS1_3gpuE7ELNS1_3repE0EEENS1_30default_config_static_selectorELNS0_4arch9wavefront6targetE0EEEvS12_.private_seg_size, 0
	.set _ZN7rocprim17ROCPRIM_400000_NS6detail17trampoline_kernelINS0_13select_configILj256ELj13ELNS0_17block_load_methodE3ELS4_3ELS4_3ELNS0_20block_scan_algorithmE0ELj4294967295EEENS1_25partition_config_selectorILNS1_17partition_subalgoE4EjNS0_10empty_typeEbEEZZNS1_14partition_implILS8_4ELb0ES6_15HIP_vector_typeIjLj2EENS0_17counting_iteratorIjlEEPS9_SG_NS0_5tupleIJPjSI_NS0_16reverse_iteratorISI_EEEEENSH_IJSG_SG_SG_EEES9_SI_JZNS1_25segmented_radix_sort_implINS0_14default_configELb0EPKaPaPKlPlN2at6native12_GLOBAL__N_18offset_tEEE10hipError_tPvRmT1_PNSt15iterator_traitsIS12_E10value_typeET2_T3_PNS13_IS18_E10value_typeET4_jRbjT5_S1E_jjP12ihipStream_tbEUljE_ZNSN_ISO_Lb0ESQ_SR_ST_SU_SY_EESZ_S10_S11_S12_S16_S17_S18_S1B_S1C_jS1D_jS1E_S1E_jjS1G_bEUljE0_EEESZ_S10_S11_S18_S1C_S1E_T6_T7_T9_mT8_S1G_bDpT10_ENKUlT_T0_E_clISt17integral_constantIbLb0EES1U_EEDaS1P_S1Q_EUlS1P_E_NS1_11comp_targetILNS1_3genE3ELNS1_11target_archE908ELNS1_3gpuE7ELNS1_3repE0EEENS1_30default_config_static_selectorELNS0_4arch9wavefront6targetE0EEEvS12_.uses_vcc, 0
	.set _ZN7rocprim17ROCPRIM_400000_NS6detail17trampoline_kernelINS0_13select_configILj256ELj13ELNS0_17block_load_methodE3ELS4_3ELS4_3ELNS0_20block_scan_algorithmE0ELj4294967295EEENS1_25partition_config_selectorILNS1_17partition_subalgoE4EjNS0_10empty_typeEbEEZZNS1_14partition_implILS8_4ELb0ES6_15HIP_vector_typeIjLj2EENS0_17counting_iteratorIjlEEPS9_SG_NS0_5tupleIJPjSI_NS0_16reverse_iteratorISI_EEEEENSH_IJSG_SG_SG_EEES9_SI_JZNS1_25segmented_radix_sort_implINS0_14default_configELb0EPKaPaPKlPlN2at6native12_GLOBAL__N_18offset_tEEE10hipError_tPvRmT1_PNSt15iterator_traitsIS12_E10value_typeET2_T3_PNS13_IS18_E10value_typeET4_jRbjT5_S1E_jjP12ihipStream_tbEUljE_ZNSN_ISO_Lb0ESQ_SR_ST_SU_SY_EESZ_S10_S11_S12_S16_S17_S18_S1B_S1C_jS1D_jS1E_S1E_jjS1G_bEUljE0_EEESZ_S10_S11_S18_S1C_S1E_T6_T7_T9_mT8_S1G_bDpT10_ENKUlT_T0_E_clISt17integral_constantIbLb0EES1U_EEDaS1P_S1Q_EUlS1P_E_NS1_11comp_targetILNS1_3genE3ELNS1_11target_archE908ELNS1_3gpuE7ELNS1_3repE0EEENS1_30default_config_static_selectorELNS0_4arch9wavefront6targetE0EEEvS12_.uses_flat_scratch, 0
	.set _ZN7rocprim17ROCPRIM_400000_NS6detail17trampoline_kernelINS0_13select_configILj256ELj13ELNS0_17block_load_methodE3ELS4_3ELS4_3ELNS0_20block_scan_algorithmE0ELj4294967295EEENS1_25partition_config_selectorILNS1_17partition_subalgoE4EjNS0_10empty_typeEbEEZZNS1_14partition_implILS8_4ELb0ES6_15HIP_vector_typeIjLj2EENS0_17counting_iteratorIjlEEPS9_SG_NS0_5tupleIJPjSI_NS0_16reverse_iteratorISI_EEEEENSH_IJSG_SG_SG_EEES9_SI_JZNS1_25segmented_radix_sort_implINS0_14default_configELb0EPKaPaPKlPlN2at6native12_GLOBAL__N_18offset_tEEE10hipError_tPvRmT1_PNSt15iterator_traitsIS12_E10value_typeET2_T3_PNS13_IS18_E10value_typeET4_jRbjT5_S1E_jjP12ihipStream_tbEUljE_ZNSN_ISO_Lb0ESQ_SR_ST_SU_SY_EESZ_S10_S11_S12_S16_S17_S18_S1B_S1C_jS1D_jS1E_S1E_jjS1G_bEUljE0_EEESZ_S10_S11_S18_S1C_S1E_T6_T7_T9_mT8_S1G_bDpT10_ENKUlT_T0_E_clISt17integral_constantIbLb0EES1U_EEDaS1P_S1Q_EUlS1P_E_NS1_11comp_targetILNS1_3genE3ELNS1_11target_archE908ELNS1_3gpuE7ELNS1_3repE0EEENS1_30default_config_static_selectorELNS0_4arch9wavefront6targetE0EEEvS12_.has_dyn_sized_stack, 0
	.set _ZN7rocprim17ROCPRIM_400000_NS6detail17trampoline_kernelINS0_13select_configILj256ELj13ELNS0_17block_load_methodE3ELS4_3ELS4_3ELNS0_20block_scan_algorithmE0ELj4294967295EEENS1_25partition_config_selectorILNS1_17partition_subalgoE4EjNS0_10empty_typeEbEEZZNS1_14partition_implILS8_4ELb0ES6_15HIP_vector_typeIjLj2EENS0_17counting_iteratorIjlEEPS9_SG_NS0_5tupleIJPjSI_NS0_16reverse_iteratorISI_EEEEENSH_IJSG_SG_SG_EEES9_SI_JZNS1_25segmented_radix_sort_implINS0_14default_configELb0EPKaPaPKlPlN2at6native12_GLOBAL__N_18offset_tEEE10hipError_tPvRmT1_PNSt15iterator_traitsIS12_E10value_typeET2_T3_PNS13_IS18_E10value_typeET4_jRbjT5_S1E_jjP12ihipStream_tbEUljE_ZNSN_ISO_Lb0ESQ_SR_ST_SU_SY_EESZ_S10_S11_S12_S16_S17_S18_S1B_S1C_jS1D_jS1E_S1E_jjS1G_bEUljE0_EEESZ_S10_S11_S18_S1C_S1E_T6_T7_T9_mT8_S1G_bDpT10_ENKUlT_T0_E_clISt17integral_constantIbLb0EES1U_EEDaS1P_S1Q_EUlS1P_E_NS1_11comp_targetILNS1_3genE3ELNS1_11target_archE908ELNS1_3gpuE7ELNS1_3repE0EEENS1_30default_config_static_selectorELNS0_4arch9wavefront6targetE0EEEvS12_.has_recursion, 0
	.set _ZN7rocprim17ROCPRIM_400000_NS6detail17trampoline_kernelINS0_13select_configILj256ELj13ELNS0_17block_load_methodE3ELS4_3ELS4_3ELNS0_20block_scan_algorithmE0ELj4294967295EEENS1_25partition_config_selectorILNS1_17partition_subalgoE4EjNS0_10empty_typeEbEEZZNS1_14partition_implILS8_4ELb0ES6_15HIP_vector_typeIjLj2EENS0_17counting_iteratorIjlEEPS9_SG_NS0_5tupleIJPjSI_NS0_16reverse_iteratorISI_EEEEENSH_IJSG_SG_SG_EEES9_SI_JZNS1_25segmented_radix_sort_implINS0_14default_configELb0EPKaPaPKlPlN2at6native12_GLOBAL__N_18offset_tEEE10hipError_tPvRmT1_PNSt15iterator_traitsIS12_E10value_typeET2_T3_PNS13_IS18_E10value_typeET4_jRbjT5_S1E_jjP12ihipStream_tbEUljE_ZNSN_ISO_Lb0ESQ_SR_ST_SU_SY_EESZ_S10_S11_S12_S16_S17_S18_S1B_S1C_jS1D_jS1E_S1E_jjS1G_bEUljE0_EEESZ_S10_S11_S18_S1C_S1E_T6_T7_T9_mT8_S1G_bDpT10_ENKUlT_T0_E_clISt17integral_constantIbLb0EES1U_EEDaS1P_S1Q_EUlS1P_E_NS1_11comp_targetILNS1_3genE3ELNS1_11target_archE908ELNS1_3gpuE7ELNS1_3repE0EEENS1_30default_config_static_selectorELNS0_4arch9wavefront6targetE0EEEvS12_.has_indirect_call, 0
	.section	.AMDGPU.csdata,"",@progbits
; Kernel info:
; codeLenInByte = 0
; TotalNumSgprs: 0
; NumVgprs: 0
; ScratchSize: 0
; MemoryBound: 0
; FloatMode: 240
; IeeeMode: 1
; LDSByteSize: 0 bytes/workgroup (compile time only)
; SGPRBlocks: 0
; VGPRBlocks: 0
; NumSGPRsForWavesPerEU: 1
; NumVGPRsForWavesPerEU: 1
; Occupancy: 16
; WaveLimiterHint : 0
; COMPUTE_PGM_RSRC2:SCRATCH_EN: 0
; COMPUTE_PGM_RSRC2:USER_SGPR: 6
; COMPUTE_PGM_RSRC2:TRAP_HANDLER: 0
; COMPUTE_PGM_RSRC2:TGID_X_EN: 1
; COMPUTE_PGM_RSRC2:TGID_Y_EN: 0
; COMPUTE_PGM_RSRC2:TGID_Z_EN: 0
; COMPUTE_PGM_RSRC2:TIDIG_COMP_CNT: 0
	.section	.text._ZN7rocprim17ROCPRIM_400000_NS6detail17trampoline_kernelINS0_13select_configILj256ELj13ELNS0_17block_load_methodE3ELS4_3ELS4_3ELNS0_20block_scan_algorithmE0ELj4294967295EEENS1_25partition_config_selectorILNS1_17partition_subalgoE4EjNS0_10empty_typeEbEEZZNS1_14partition_implILS8_4ELb0ES6_15HIP_vector_typeIjLj2EENS0_17counting_iteratorIjlEEPS9_SG_NS0_5tupleIJPjSI_NS0_16reverse_iteratorISI_EEEEENSH_IJSG_SG_SG_EEES9_SI_JZNS1_25segmented_radix_sort_implINS0_14default_configELb0EPKaPaPKlPlN2at6native12_GLOBAL__N_18offset_tEEE10hipError_tPvRmT1_PNSt15iterator_traitsIS12_E10value_typeET2_T3_PNS13_IS18_E10value_typeET4_jRbjT5_S1E_jjP12ihipStream_tbEUljE_ZNSN_ISO_Lb0ESQ_SR_ST_SU_SY_EESZ_S10_S11_S12_S16_S17_S18_S1B_S1C_jS1D_jS1E_S1E_jjS1G_bEUljE0_EEESZ_S10_S11_S18_S1C_S1E_T6_T7_T9_mT8_S1G_bDpT10_ENKUlT_T0_E_clISt17integral_constantIbLb0EES1U_EEDaS1P_S1Q_EUlS1P_E_NS1_11comp_targetILNS1_3genE2ELNS1_11target_archE906ELNS1_3gpuE6ELNS1_3repE0EEENS1_30default_config_static_selectorELNS0_4arch9wavefront6targetE0EEEvS12_,"axG",@progbits,_ZN7rocprim17ROCPRIM_400000_NS6detail17trampoline_kernelINS0_13select_configILj256ELj13ELNS0_17block_load_methodE3ELS4_3ELS4_3ELNS0_20block_scan_algorithmE0ELj4294967295EEENS1_25partition_config_selectorILNS1_17partition_subalgoE4EjNS0_10empty_typeEbEEZZNS1_14partition_implILS8_4ELb0ES6_15HIP_vector_typeIjLj2EENS0_17counting_iteratorIjlEEPS9_SG_NS0_5tupleIJPjSI_NS0_16reverse_iteratorISI_EEEEENSH_IJSG_SG_SG_EEES9_SI_JZNS1_25segmented_radix_sort_implINS0_14default_configELb0EPKaPaPKlPlN2at6native12_GLOBAL__N_18offset_tEEE10hipError_tPvRmT1_PNSt15iterator_traitsIS12_E10value_typeET2_T3_PNS13_IS18_E10value_typeET4_jRbjT5_S1E_jjP12ihipStream_tbEUljE_ZNSN_ISO_Lb0ESQ_SR_ST_SU_SY_EESZ_S10_S11_S12_S16_S17_S18_S1B_S1C_jS1D_jS1E_S1E_jjS1G_bEUljE0_EEESZ_S10_S11_S18_S1C_S1E_T6_T7_T9_mT8_S1G_bDpT10_ENKUlT_T0_E_clISt17integral_constantIbLb0EES1U_EEDaS1P_S1Q_EUlS1P_E_NS1_11comp_targetILNS1_3genE2ELNS1_11target_archE906ELNS1_3gpuE6ELNS1_3repE0EEENS1_30default_config_static_selectorELNS0_4arch9wavefront6targetE0EEEvS12_,comdat
	.globl	_ZN7rocprim17ROCPRIM_400000_NS6detail17trampoline_kernelINS0_13select_configILj256ELj13ELNS0_17block_load_methodE3ELS4_3ELS4_3ELNS0_20block_scan_algorithmE0ELj4294967295EEENS1_25partition_config_selectorILNS1_17partition_subalgoE4EjNS0_10empty_typeEbEEZZNS1_14partition_implILS8_4ELb0ES6_15HIP_vector_typeIjLj2EENS0_17counting_iteratorIjlEEPS9_SG_NS0_5tupleIJPjSI_NS0_16reverse_iteratorISI_EEEEENSH_IJSG_SG_SG_EEES9_SI_JZNS1_25segmented_radix_sort_implINS0_14default_configELb0EPKaPaPKlPlN2at6native12_GLOBAL__N_18offset_tEEE10hipError_tPvRmT1_PNSt15iterator_traitsIS12_E10value_typeET2_T3_PNS13_IS18_E10value_typeET4_jRbjT5_S1E_jjP12ihipStream_tbEUljE_ZNSN_ISO_Lb0ESQ_SR_ST_SU_SY_EESZ_S10_S11_S12_S16_S17_S18_S1B_S1C_jS1D_jS1E_S1E_jjS1G_bEUljE0_EEESZ_S10_S11_S18_S1C_S1E_T6_T7_T9_mT8_S1G_bDpT10_ENKUlT_T0_E_clISt17integral_constantIbLb0EES1U_EEDaS1P_S1Q_EUlS1P_E_NS1_11comp_targetILNS1_3genE2ELNS1_11target_archE906ELNS1_3gpuE6ELNS1_3repE0EEENS1_30default_config_static_selectorELNS0_4arch9wavefront6targetE0EEEvS12_ ; -- Begin function _ZN7rocprim17ROCPRIM_400000_NS6detail17trampoline_kernelINS0_13select_configILj256ELj13ELNS0_17block_load_methodE3ELS4_3ELS4_3ELNS0_20block_scan_algorithmE0ELj4294967295EEENS1_25partition_config_selectorILNS1_17partition_subalgoE4EjNS0_10empty_typeEbEEZZNS1_14partition_implILS8_4ELb0ES6_15HIP_vector_typeIjLj2EENS0_17counting_iteratorIjlEEPS9_SG_NS0_5tupleIJPjSI_NS0_16reverse_iteratorISI_EEEEENSH_IJSG_SG_SG_EEES9_SI_JZNS1_25segmented_radix_sort_implINS0_14default_configELb0EPKaPaPKlPlN2at6native12_GLOBAL__N_18offset_tEEE10hipError_tPvRmT1_PNSt15iterator_traitsIS12_E10value_typeET2_T3_PNS13_IS18_E10value_typeET4_jRbjT5_S1E_jjP12ihipStream_tbEUljE_ZNSN_ISO_Lb0ESQ_SR_ST_SU_SY_EESZ_S10_S11_S12_S16_S17_S18_S1B_S1C_jS1D_jS1E_S1E_jjS1G_bEUljE0_EEESZ_S10_S11_S18_S1C_S1E_T6_T7_T9_mT8_S1G_bDpT10_ENKUlT_T0_E_clISt17integral_constantIbLb0EES1U_EEDaS1P_S1Q_EUlS1P_E_NS1_11comp_targetILNS1_3genE2ELNS1_11target_archE906ELNS1_3gpuE6ELNS1_3repE0EEENS1_30default_config_static_selectorELNS0_4arch9wavefront6targetE0EEEvS12_
	.p2align	8
	.type	_ZN7rocprim17ROCPRIM_400000_NS6detail17trampoline_kernelINS0_13select_configILj256ELj13ELNS0_17block_load_methodE3ELS4_3ELS4_3ELNS0_20block_scan_algorithmE0ELj4294967295EEENS1_25partition_config_selectorILNS1_17partition_subalgoE4EjNS0_10empty_typeEbEEZZNS1_14partition_implILS8_4ELb0ES6_15HIP_vector_typeIjLj2EENS0_17counting_iteratorIjlEEPS9_SG_NS0_5tupleIJPjSI_NS0_16reverse_iteratorISI_EEEEENSH_IJSG_SG_SG_EEES9_SI_JZNS1_25segmented_radix_sort_implINS0_14default_configELb0EPKaPaPKlPlN2at6native12_GLOBAL__N_18offset_tEEE10hipError_tPvRmT1_PNSt15iterator_traitsIS12_E10value_typeET2_T3_PNS13_IS18_E10value_typeET4_jRbjT5_S1E_jjP12ihipStream_tbEUljE_ZNSN_ISO_Lb0ESQ_SR_ST_SU_SY_EESZ_S10_S11_S12_S16_S17_S18_S1B_S1C_jS1D_jS1E_S1E_jjS1G_bEUljE0_EEESZ_S10_S11_S18_S1C_S1E_T6_T7_T9_mT8_S1G_bDpT10_ENKUlT_T0_E_clISt17integral_constantIbLb0EES1U_EEDaS1P_S1Q_EUlS1P_E_NS1_11comp_targetILNS1_3genE2ELNS1_11target_archE906ELNS1_3gpuE6ELNS1_3repE0EEENS1_30default_config_static_selectorELNS0_4arch9wavefront6targetE0EEEvS12_,@function
_ZN7rocprim17ROCPRIM_400000_NS6detail17trampoline_kernelINS0_13select_configILj256ELj13ELNS0_17block_load_methodE3ELS4_3ELS4_3ELNS0_20block_scan_algorithmE0ELj4294967295EEENS1_25partition_config_selectorILNS1_17partition_subalgoE4EjNS0_10empty_typeEbEEZZNS1_14partition_implILS8_4ELb0ES6_15HIP_vector_typeIjLj2EENS0_17counting_iteratorIjlEEPS9_SG_NS0_5tupleIJPjSI_NS0_16reverse_iteratorISI_EEEEENSH_IJSG_SG_SG_EEES9_SI_JZNS1_25segmented_radix_sort_implINS0_14default_configELb0EPKaPaPKlPlN2at6native12_GLOBAL__N_18offset_tEEE10hipError_tPvRmT1_PNSt15iterator_traitsIS12_E10value_typeET2_T3_PNS13_IS18_E10value_typeET4_jRbjT5_S1E_jjP12ihipStream_tbEUljE_ZNSN_ISO_Lb0ESQ_SR_ST_SU_SY_EESZ_S10_S11_S12_S16_S17_S18_S1B_S1C_jS1D_jS1E_S1E_jjS1G_bEUljE0_EEESZ_S10_S11_S18_S1C_S1E_T6_T7_T9_mT8_S1G_bDpT10_ENKUlT_T0_E_clISt17integral_constantIbLb0EES1U_EEDaS1P_S1Q_EUlS1P_E_NS1_11comp_targetILNS1_3genE2ELNS1_11target_archE906ELNS1_3gpuE6ELNS1_3repE0EEENS1_30default_config_static_selectorELNS0_4arch9wavefront6targetE0EEEvS12_: ; @_ZN7rocprim17ROCPRIM_400000_NS6detail17trampoline_kernelINS0_13select_configILj256ELj13ELNS0_17block_load_methodE3ELS4_3ELS4_3ELNS0_20block_scan_algorithmE0ELj4294967295EEENS1_25partition_config_selectorILNS1_17partition_subalgoE4EjNS0_10empty_typeEbEEZZNS1_14partition_implILS8_4ELb0ES6_15HIP_vector_typeIjLj2EENS0_17counting_iteratorIjlEEPS9_SG_NS0_5tupleIJPjSI_NS0_16reverse_iteratorISI_EEEEENSH_IJSG_SG_SG_EEES9_SI_JZNS1_25segmented_radix_sort_implINS0_14default_configELb0EPKaPaPKlPlN2at6native12_GLOBAL__N_18offset_tEEE10hipError_tPvRmT1_PNSt15iterator_traitsIS12_E10value_typeET2_T3_PNS13_IS18_E10value_typeET4_jRbjT5_S1E_jjP12ihipStream_tbEUljE_ZNSN_ISO_Lb0ESQ_SR_ST_SU_SY_EESZ_S10_S11_S12_S16_S17_S18_S1B_S1C_jS1D_jS1E_S1E_jjS1G_bEUljE0_EEESZ_S10_S11_S18_S1C_S1E_T6_T7_T9_mT8_S1G_bDpT10_ENKUlT_T0_E_clISt17integral_constantIbLb0EES1U_EEDaS1P_S1Q_EUlS1P_E_NS1_11comp_targetILNS1_3genE2ELNS1_11target_archE906ELNS1_3gpuE6ELNS1_3repE0EEENS1_30default_config_static_selectorELNS0_4arch9wavefront6targetE0EEEvS12_
; %bb.0:
	.section	.rodata,"a",@progbits
	.p2align	6, 0x0
	.amdhsa_kernel _ZN7rocprim17ROCPRIM_400000_NS6detail17trampoline_kernelINS0_13select_configILj256ELj13ELNS0_17block_load_methodE3ELS4_3ELS4_3ELNS0_20block_scan_algorithmE0ELj4294967295EEENS1_25partition_config_selectorILNS1_17partition_subalgoE4EjNS0_10empty_typeEbEEZZNS1_14partition_implILS8_4ELb0ES6_15HIP_vector_typeIjLj2EENS0_17counting_iteratorIjlEEPS9_SG_NS0_5tupleIJPjSI_NS0_16reverse_iteratorISI_EEEEENSH_IJSG_SG_SG_EEES9_SI_JZNS1_25segmented_radix_sort_implINS0_14default_configELb0EPKaPaPKlPlN2at6native12_GLOBAL__N_18offset_tEEE10hipError_tPvRmT1_PNSt15iterator_traitsIS12_E10value_typeET2_T3_PNS13_IS18_E10value_typeET4_jRbjT5_S1E_jjP12ihipStream_tbEUljE_ZNSN_ISO_Lb0ESQ_SR_ST_SU_SY_EESZ_S10_S11_S12_S16_S17_S18_S1B_S1C_jS1D_jS1E_S1E_jjS1G_bEUljE0_EEESZ_S10_S11_S18_S1C_S1E_T6_T7_T9_mT8_S1G_bDpT10_ENKUlT_T0_E_clISt17integral_constantIbLb0EES1U_EEDaS1P_S1Q_EUlS1P_E_NS1_11comp_targetILNS1_3genE2ELNS1_11target_archE906ELNS1_3gpuE6ELNS1_3repE0EEENS1_30default_config_static_selectorELNS0_4arch9wavefront6targetE0EEEvS12_
		.amdhsa_group_segment_fixed_size 0
		.amdhsa_private_segment_fixed_size 0
		.amdhsa_kernarg_size 176
		.amdhsa_user_sgpr_count 6
		.amdhsa_user_sgpr_private_segment_buffer 1
		.amdhsa_user_sgpr_dispatch_ptr 0
		.amdhsa_user_sgpr_queue_ptr 0
		.amdhsa_user_sgpr_kernarg_segment_ptr 1
		.amdhsa_user_sgpr_dispatch_id 0
		.amdhsa_user_sgpr_flat_scratch_init 0
		.amdhsa_user_sgpr_private_segment_size 0
		.amdhsa_wavefront_size32 1
		.amdhsa_uses_dynamic_stack 0
		.amdhsa_system_sgpr_private_segment_wavefront_offset 0
		.amdhsa_system_sgpr_workgroup_id_x 1
		.amdhsa_system_sgpr_workgroup_id_y 0
		.amdhsa_system_sgpr_workgroup_id_z 0
		.amdhsa_system_sgpr_workgroup_info 0
		.amdhsa_system_vgpr_workitem_id 0
		.amdhsa_next_free_vgpr 1
		.amdhsa_next_free_sgpr 1
		.amdhsa_reserve_vcc 0
		.amdhsa_reserve_flat_scratch 0
		.amdhsa_float_round_mode_32 0
		.amdhsa_float_round_mode_16_64 0
		.amdhsa_float_denorm_mode_32 3
		.amdhsa_float_denorm_mode_16_64 3
		.amdhsa_dx10_clamp 1
		.amdhsa_ieee_mode 1
		.amdhsa_fp16_overflow 0
		.amdhsa_workgroup_processor_mode 1
		.amdhsa_memory_ordered 1
		.amdhsa_forward_progress 1
		.amdhsa_shared_vgpr_count 0
		.amdhsa_exception_fp_ieee_invalid_op 0
		.amdhsa_exception_fp_denorm_src 0
		.amdhsa_exception_fp_ieee_div_zero 0
		.amdhsa_exception_fp_ieee_overflow 0
		.amdhsa_exception_fp_ieee_underflow 0
		.amdhsa_exception_fp_ieee_inexact 0
		.amdhsa_exception_int_div_zero 0
	.end_amdhsa_kernel
	.section	.text._ZN7rocprim17ROCPRIM_400000_NS6detail17trampoline_kernelINS0_13select_configILj256ELj13ELNS0_17block_load_methodE3ELS4_3ELS4_3ELNS0_20block_scan_algorithmE0ELj4294967295EEENS1_25partition_config_selectorILNS1_17partition_subalgoE4EjNS0_10empty_typeEbEEZZNS1_14partition_implILS8_4ELb0ES6_15HIP_vector_typeIjLj2EENS0_17counting_iteratorIjlEEPS9_SG_NS0_5tupleIJPjSI_NS0_16reverse_iteratorISI_EEEEENSH_IJSG_SG_SG_EEES9_SI_JZNS1_25segmented_radix_sort_implINS0_14default_configELb0EPKaPaPKlPlN2at6native12_GLOBAL__N_18offset_tEEE10hipError_tPvRmT1_PNSt15iterator_traitsIS12_E10value_typeET2_T3_PNS13_IS18_E10value_typeET4_jRbjT5_S1E_jjP12ihipStream_tbEUljE_ZNSN_ISO_Lb0ESQ_SR_ST_SU_SY_EESZ_S10_S11_S12_S16_S17_S18_S1B_S1C_jS1D_jS1E_S1E_jjS1G_bEUljE0_EEESZ_S10_S11_S18_S1C_S1E_T6_T7_T9_mT8_S1G_bDpT10_ENKUlT_T0_E_clISt17integral_constantIbLb0EES1U_EEDaS1P_S1Q_EUlS1P_E_NS1_11comp_targetILNS1_3genE2ELNS1_11target_archE906ELNS1_3gpuE6ELNS1_3repE0EEENS1_30default_config_static_selectorELNS0_4arch9wavefront6targetE0EEEvS12_,"axG",@progbits,_ZN7rocprim17ROCPRIM_400000_NS6detail17trampoline_kernelINS0_13select_configILj256ELj13ELNS0_17block_load_methodE3ELS4_3ELS4_3ELNS0_20block_scan_algorithmE0ELj4294967295EEENS1_25partition_config_selectorILNS1_17partition_subalgoE4EjNS0_10empty_typeEbEEZZNS1_14partition_implILS8_4ELb0ES6_15HIP_vector_typeIjLj2EENS0_17counting_iteratorIjlEEPS9_SG_NS0_5tupleIJPjSI_NS0_16reverse_iteratorISI_EEEEENSH_IJSG_SG_SG_EEES9_SI_JZNS1_25segmented_radix_sort_implINS0_14default_configELb0EPKaPaPKlPlN2at6native12_GLOBAL__N_18offset_tEEE10hipError_tPvRmT1_PNSt15iterator_traitsIS12_E10value_typeET2_T3_PNS13_IS18_E10value_typeET4_jRbjT5_S1E_jjP12ihipStream_tbEUljE_ZNSN_ISO_Lb0ESQ_SR_ST_SU_SY_EESZ_S10_S11_S12_S16_S17_S18_S1B_S1C_jS1D_jS1E_S1E_jjS1G_bEUljE0_EEESZ_S10_S11_S18_S1C_S1E_T6_T7_T9_mT8_S1G_bDpT10_ENKUlT_T0_E_clISt17integral_constantIbLb0EES1U_EEDaS1P_S1Q_EUlS1P_E_NS1_11comp_targetILNS1_3genE2ELNS1_11target_archE906ELNS1_3gpuE6ELNS1_3repE0EEENS1_30default_config_static_selectorELNS0_4arch9wavefront6targetE0EEEvS12_,comdat
.Lfunc_end330:
	.size	_ZN7rocprim17ROCPRIM_400000_NS6detail17trampoline_kernelINS0_13select_configILj256ELj13ELNS0_17block_load_methodE3ELS4_3ELS4_3ELNS0_20block_scan_algorithmE0ELj4294967295EEENS1_25partition_config_selectorILNS1_17partition_subalgoE4EjNS0_10empty_typeEbEEZZNS1_14partition_implILS8_4ELb0ES6_15HIP_vector_typeIjLj2EENS0_17counting_iteratorIjlEEPS9_SG_NS0_5tupleIJPjSI_NS0_16reverse_iteratorISI_EEEEENSH_IJSG_SG_SG_EEES9_SI_JZNS1_25segmented_radix_sort_implINS0_14default_configELb0EPKaPaPKlPlN2at6native12_GLOBAL__N_18offset_tEEE10hipError_tPvRmT1_PNSt15iterator_traitsIS12_E10value_typeET2_T3_PNS13_IS18_E10value_typeET4_jRbjT5_S1E_jjP12ihipStream_tbEUljE_ZNSN_ISO_Lb0ESQ_SR_ST_SU_SY_EESZ_S10_S11_S12_S16_S17_S18_S1B_S1C_jS1D_jS1E_S1E_jjS1G_bEUljE0_EEESZ_S10_S11_S18_S1C_S1E_T6_T7_T9_mT8_S1G_bDpT10_ENKUlT_T0_E_clISt17integral_constantIbLb0EES1U_EEDaS1P_S1Q_EUlS1P_E_NS1_11comp_targetILNS1_3genE2ELNS1_11target_archE906ELNS1_3gpuE6ELNS1_3repE0EEENS1_30default_config_static_selectorELNS0_4arch9wavefront6targetE0EEEvS12_, .Lfunc_end330-_ZN7rocprim17ROCPRIM_400000_NS6detail17trampoline_kernelINS0_13select_configILj256ELj13ELNS0_17block_load_methodE3ELS4_3ELS4_3ELNS0_20block_scan_algorithmE0ELj4294967295EEENS1_25partition_config_selectorILNS1_17partition_subalgoE4EjNS0_10empty_typeEbEEZZNS1_14partition_implILS8_4ELb0ES6_15HIP_vector_typeIjLj2EENS0_17counting_iteratorIjlEEPS9_SG_NS0_5tupleIJPjSI_NS0_16reverse_iteratorISI_EEEEENSH_IJSG_SG_SG_EEES9_SI_JZNS1_25segmented_radix_sort_implINS0_14default_configELb0EPKaPaPKlPlN2at6native12_GLOBAL__N_18offset_tEEE10hipError_tPvRmT1_PNSt15iterator_traitsIS12_E10value_typeET2_T3_PNS13_IS18_E10value_typeET4_jRbjT5_S1E_jjP12ihipStream_tbEUljE_ZNSN_ISO_Lb0ESQ_SR_ST_SU_SY_EESZ_S10_S11_S12_S16_S17_S18_S1B_S1C_jS1D_jS1E_S1E_jjS1G_bEUljE0_EEESZ_S10_S11_S18_S1C_S1E_T6_T7_T9_mT8_S1G_bDpT10_ENKUlT_T0_E_clISt17integral_constantIbLb0EES1U_EEDaS1P_S1Q_EUlS1P_E_NS1_11comp_targetILNS1_3genE2ELNS1_11target_archE906ELNS1_3gpuE6ELNS1_3repE0EEENS1_30default_config_static_selectorELNS0_4arch9wavefront6targetE0EEEvS12_
                                        ; -- End function
	.set _ZN7rocprim17ROCPRIM_400000_NS6detail17trampoline_kernelINS0_13select_configILj256ELj13ELNS0_17block_load_methodE3ELS4_3ELS4_3ELNS0_20block_scan_algorithmE0ELj4294967295EEENS1_25partition_config_selectorILNS1_17partition_subalgoE4EjNS0_10empty_typeEbEEZZNS1_14partition_implILS8_4ELb0ES6_15HIP_vector_typeIjLj2EENS0_17counting_iteratorIjlEEPS9_SG_NS0_5tupleIJPjSI_NS0_16reverse_iteratorISI_EEEEENSH_IJSG_SG_SG_EEES9_SI_JZNS1_25segmented_radix_sort_implINS0_14default_configELb0EPKaPaPKlPlN2at6native12_GLOBAL__N_18offset_tEEE10hipError_tPvRmT1_PNSt15iterator_traitsIS12_E10value_typeET2_T3_PNS13_IS18_E10value_typeET4_jRbjT5_S1E_jjP12ihipStream_tbEUljE_ZNSN_ISO_Lb0ESQ_SR_ST_SU_SY_EESZ_S10_S11_S12_S16_S17_S18_S1B_S1C_jS1D_jS1E_S1E_jjS1G_bEUljE0_EEESZ_S10_S11_S18_S1C_S1E_T6_T7_T9_mT8_S1G_bDpT10_ENKUlT_T0_E_clISt17integral_constantIbLb0EES1U_EEDaS1P_S1Q_EUlS1P_E_NS1_11comp_targetILNS1_3genE2ELNS1_11target_archE906ELNS1_3gpuE6ELNS1_3repE0EEENS1_30default_config_static_selectorELNS0_4arch9wavefront6targetE0EEEvS12_.num_vgpr, 0
	.set _ZN7rocprim17ROCPRIM_400000_NS6detail17trampoline_kernelINS0_13select_configILj256ELj13ELNS0_17block_load_methodE3ELS4_3ELS4_3ELNS0_20block_scan_algorithmE0ELj4294967295EEENS1_25partition_config_selectorILNS1_17partition_subalgoE4EjNS0_10empty_typeEbEEZZNS1_14partition_implILS8_4ELb0ES6_15HIP_vector_typeIjLj2EENS0_17counting_iteratorIjlEEPS9_SG_NS0_5tupleIJPjSI_NS0_16reverse_iteratorISI_EEEEENSH_IJSG_SG_SG_EEES9_SI_JZNS1_25segmented_radix_sort_implINS0_14default_configELb0EPKaPaPKlPlN2at6native12_GLOBAL__N_18offset_tEEE10hipError_tPvRmT1_PNSt15iterator_traitsIS12_E10value_typeET2_T3_PNS13_IS18_E10value_typeET4_jRbjT5_S1E_jjP12ihipStream_tbEUljE_ZNSN_ISO_Lb0ESQ_SR_ST_SU_SY_EESZ_S10_S11_S12_S16_S17_S18_S1B_S1C_jS1D_jS1E_S1E_jjS1G_bEUljE0_EEESZ_S10_S11_S18_S1C_S1E_T6_T7_T9_mT8_S1G_bDpT10_ENKUlT_T0_E_clISt17integral_constantIbLb0EES1U_EEDaS1P_S1Q_EUlS1P_E_NS1_11comp_targetILNS1_3genE2ELNS1_11target_archE906ELNS1_3gpuE6ELNS1_3repE0EEENS1_30default_config_static_selectorELNS0_4arch9wavefront6targetE0EEEvS12_.num_agpr, 0
	.set _ZN7rocprim17ROCPRIM_400000_NS6detail17trampoline_kernelINS0_13select_configILj256ELj13ELNS0_17block_load_methodE3ELS4_3ELS4_3ELNS0_20block_scan_algorithmE0ELj4294967295EEENS1_25partition_config_selectorILNS1_17partition_subalgoE4EjNS0_10empty_typeEbEEZZNS1_14partition_implILS8_4ELb0ES6_15HIP_vector_typeIjLj2EENS0_17counting_iteratorIjlEEPS9_SG_NS0_5tupleIJPjSI_NS0_16reverse_iteratorISI_EEEEENSH_IJSG_SG_SG_EEES9_SI_JZNS1_25segmented_radix_sort_implINS0_14default_configELb0EPKaPaPKlPlN2at6native12_GLOBAL__N_18offset_tEEE10hipError_tPvRmT1_PNSt15iterator_traitsIS12_E10value_typeET2_T3_PNS13_IS18_E10value_typeET4_jRbjT5_S1E_jjP12ihipStream_tbEUljE_ZNSN_ISO_Lb0ESQ_SR_ST_SU_SY_EESZ_S10_S11_S12_S16_S17_S18_S1B_S1C_jS1D_jS1E_S1E_jjS1G_bEUljE0_EEESZ_S10_S11_S18_S1C_S1E_T6_T7_T9_mT8_S1G_bDpT10_ENKUlT_T0_E_clISt17integral_constantIbLb0EES1U_EEDaS1P_S1Q_EUlS1P_E_NS1_11comp_targetILNS1_3genE2ELNS1_11target_archE906ELNS1_3gpuE6ELNS1_3repE0EEENS1_30default_config_static_selectorELNS0_4arch9wavefront6targetE0EEEvS12_.numbered_sgpr, 0
	.set _ZN7rocprim17ROCPRIM_400000_NS6detail17trampoline_kernelINS0_13select_configILj256ELj13ELNS0_17block_load_methodE3ELS4_3ELS4_3ELNS0_20block_scan_algorithmE0ELj4294967295EEENS1_25partition_config_selectorILNS1_17partition_subalgoE4EjNS0_10empty_typeEbEEZZNS1_14partition_implILS8_4ELb0ES6_15HIP_vector_typeIjLj2EENS0_17counting_iteratorIjlEEPS9_SG_NS0_5tupleIJPjSI_NS0_16reverse_iteratorISI_EEEEENSH_IJSG_SG_SG_EEES9_SI_JZNS1_25segmented_radix_sort_implINS0_14default_configELb0EPKaPaPKlPlN2at6native12_GLOBAL__N_18offset_tEEE10hipError_tPvRmT1_PNSt15iterator_traitsIS12_E10value_typeET2_T3_PNS13_IS18_E10value_typeET4_jRbjT5_S1E_jjP12ihipStream_tbEUljE_ZNSN_ISO_Lb0ESQ_SR_ST_SU_SY_EESZ_S10_S11_S12_S16_S17_S18_S1B_S1C_jS1D_jS1E_S1E_jjS1G_bEUljE0_EEESZ_S10_S11_S18_S1C_S1E_T6_T7_T9_mT8_S1G_bDpT10_ENKUlT_T0_E_clISt17integral_constantIbLb0EES1U_EEDaS1P_S1Q_EUlS1P_E_NS1_11comp_targetILNS1_3genE2ELNS1_11target_archE906ELNS1_3gpuE6ELNS1_3repE0EEENS1_30default_config_static_selectorELNS0_4arch9wavefront6targetE0EEEvS12_.num_named_barrier, 0
	.set _ZN7rocprim17ROCPRIM_400000_NS6detail17trampoline_kernelINS0_13select_configILj256ELj13ELNS0_17block_load_methodE3ELS4_3ELS4_3ELNS0_20block_scan_algorithmE0ELj4294967295EEENS1_25partition_config_selectorILNS1_17partition_subalgoE4EjNS0_10empty_typeEbEEZZNS1_14partition_implILS8_4ELb0ES6_15HIP_vector_typeIjLj2EENS0_17counting_iteratorIjlEEPS9_SG_NS0_5tupleIJPjSI_NS0_16reverse_iteratorISI_EEEEENSH_IJSG_SG_SG_EEES9_SI_JZNS1_25segmented_radix_sort_implINS0_14default_configELb0EPKaPaPKlPlN2at6native12_GLOBAL__N_18offset_tEEE10hipError_tPvRmT1_PNSt15iterator_traitsIS12_E10value_typeET2_T3_PNS13_IS18_E10value_typeET4_jRbjT5_S1E_jjP12ihipStream_tbEUljE_ZNSN_ISO_Lb0ESQ_SR_ST_SU_SY_EESZ_S10_S11_S12_S16_S17_S18_S1B_S1C_jS1D_jS1E_S1E_jjS1G_bEUljE0_EEESZ_S10_S11_S18_S1C_S1E_T6_T7_T9_mT8_S1G_bDpT10_ENKUlT_T0_E_clISt17integral_constantIbLb0EES1U_EEDaS1P_S1Q_EUlS1P_E_NS1_11comp_targetILNS1_3genE2ELNS1_11target_archE906ELNS1_3gpuE6ELNS1_3repE0EEENS1_30default_config_static_selectorELNS0_4arch9wavefront6targetE0EEEvS12_.private_seg_size, 0
	.set _ZN7rocprim17ROCPRIM_400000_NS6detail17trampoline_kernelINS0_13select_configILj256ELj13ELNS0_17block_load_methodE3ELS4_3ELS4_3ELNS0_20block_scan_algorithmE0ELj4294967295EEENS1_25partition_config_selectorILNS1_17partition_subalgoE4EjNS0_10empty_typeEbEEZZNS1_14partition_implILS8_4ELb0ES6_15HIP_vector_typeIjLj2EENS0_17counting_iteratorIjlEEPS9_SG_NS0_5tupleIJPjSI_NS0_16reverse_iteratorISI_EEEEENSH_IJSG_SG_SG_EEES9_SI_JZNS1_25segmented_radix_sort_implINS0_14default_configELb0EPKaPaPKlPlN2at6native12_GLOBAL__N_18offset_tEEE10hipError_tPvRmT1_PNSt15iterator_traitsIS12_E10value_typeET2_T3_PNS13_IS18_E10value_typeET4_jRbjT5_S1E_jjP12ihipStream_tbEUljE_ZNSN_ISO_Lb0ESQ_SR_ST_SU_SY_EESZ_S10_S11_S12_S16_S17_S18_S1B_S1C_jS1D_jS1E_S1E_jjS1G_bEUljE0_EEESZ_S10_S11_S18_S1C_S1E_T6_T7_T9_mT8_S1G_bDpT10_ENKUlT_T0_E_clISt17integral_constantIbLb0EES1U_EEDaS1P_S1Q_EUlS1P_E_NS1_11comp_targetILNS1_3genE2ELNS1_11target_archE906ELNS1_3gpuE6ELNS1_3repE0EEENS1_30default_config_static_selectorELNS0_4arch9wavefront6targetE0EEEvS12_.uses_vcc, 0
	.set _ZN7rocprim17ROCPRIM_400000_NS6detail17trampoline_kernelINS0_13select_configILj256ELj13ELNS0_17block_load_methodE3ELS4_3ELS4_3ELNS0_20block_scan_algorithmE0ELj4294967295EEENS1_25partition_config_selectorILNS1_17partition_subalgoE4EjNS0_10empty_typeEbEEZZNS1_14partition_implILS8_4ELb0ES6_15HIP_vector_typeIjLj2EENS0_17counting_iteratorIjlEEPS9_SG_NS0_5tupleIJPjSI_NS0_16reverse_iteratorISI_EEEEENSH_IJSG_SG_SG_EEES9_SI_JZNS1_25segmented_radix_sort_implINS0_14default_configELb0EPKaPaPKlPlN2at6native12_GLOBAL__N_18offset_tEEE10hipError_tPvRmT1_PNSt15iterator_traitsIS12_E10value_typeET2_T3_PNS13_IS18_E10value_typeET4_jRbjT5_S1E_jjP12ihipStream_tbEUljE_ZNSN_ISO_Lb0ESQ_SR_ST_SU_SY_EESZ_S10_S11_S12_S16_S17_S18_S1B_S1C_jS1D_jS1E_S1E_jjS1G_bEUljE0_EEESZ_S10_S11_S18_S1C_S1E_T6_T7_T9_mT8_S1G_bDpT10_ENKUlT_T0_E_clISt17integral_constantIbLb0EES1U_EEDaS1P_S1Q_EUlS1P_E_NS1_11comp_targetILNS1_3genE2ELNS1_11target_archE906ELNS1_3gpuE6ELNS1_3repE0EEENS1_30default_config_static_selectorELNS0_4arch9wavefront6targetE0EEEvS12_.uses_flat_scratch, 0
	.set _ZN7rocprim17ROCPRIM_400000_NS6detail17trampoline_kernelINS0_13select_configILj256ELj13ELNS0_17block_load_methodE3ELS4_3ELS4_3ELNS0_20block_scan_algorithmE0ELj4294967295EEENS1_25partition_config_selectorILNS1_17partition_subalgoE4EjNS0_10empty_typeEbEEZZNS1_14partition_implILS8_4ELb0ES6_15HIP_vector_typeIjLj2EENS0_17counting_iteratorIjlEEPS9_SG_NS0_5tupleIJPjSI_NS0_16reverse_iteratorISI_EEEEENSH_IJSG_SG_SG_EEES9_SI_JZNS1_25segmented_radix_sort_implINS0_14default_configELb0EPKaPaPKlPlN2at6native12_GLOBAL__N_18offset_tEEE10hipError_tPvRmT1_PNSt15iterator_traitsIS12_E10value_typeET2_T3_PNS13_IS18_E10value_typeET4_jRbjT5_S1E_jjP12ihipStream_tbEUljE_ZNSN_ISO_Lb0ESQ_SR_ST_SU_SY_EESZ_S10_S11_S12_S16_S17_S18_S1B_S1C_jS1D_jS1E_S1E_jjS1G_bEUljE0_EEESZ_S10_S11_S18_S1C_S1E_T6_T7_T9_mT8_S1G_bDpT10_ENKUlT_T0_E_clISt17integral_constantIbLb0EES1U_EEDaS1P_S1Q_EUlS1P_E_NS1_11comp_targetILNS1_3genE2ELNS1_11target_archE906ELNS1_3gpuE6ELNS1_3repE0EEENS1_30default_config_static_selectorELNS0_4arch9wavefront6targetE0EEEvS12_.has_dyn_sized_stack, 0
	.set _ZN7rocprim17ROCPRIM_400000_NS6detail17trampoline_kernelINS0_13select_configILj256ELj13ELNS0_17block_load_methodE3ELS4_3ELS4_3ELNS0_20block_scan_algorithmE0ELj4294967295EEENS1_25partition_config_selectorILNS1_17partition_subalgoE4EjNS0_10empty_typeEbEEZZNS1_14partition_implILS8_4ELb0ES6_15HIP_vector_typeIjLj2EENS0_17counting_iteratorIjlEEPS9_SG_NS0_5tupleIJPjSI_NS0_16reverse_iteratorISI_EEEEENSH_IJSG_SG_SG_EEES9_SI_JZNS1_25segmented_radix_sort_implINS0_14default_configELb0EPKaPaPKlPlN2at6native12_GLOBAL__N_18offset_tEEE10hipError_tPvRmT1_PNSt15iterator_traitsIS12_E10value_typeET2_T3_PNS13_IS18_E10value_typeET4_jRbjT5_S1E_jjP12ihipStream_tbEUljE_ZNSN_ISO_Lb0ESQ_SR_ST_SU_SY_EESZ_S10_S11_S12_S16_S17_S18_S1B_S1C_jS1D_jS1E_S1E_jjS1G_bEUljE0_EEESZ_S10_S11_S18_S1C_S1E_T6_T7_T9_mT8_S1G_bDpT10_ENKUlT_T0_E_clISt17integral_constantIbLb0EES1U_EEDaS1P_S1Q_EUlS1P_E_NS1_11comp_targetILNS1_3genE2ELNS1_11target_archE906ELNS1_3gpuE6ELNS1_3repE0EEENS1_30default_config_static_selectorELNS0_4arch9wavefront6targetE0EEEvS12_.has_recursion, 0
	.set _ZN7rocprim17ROCPRIM_400000_NS6detail17trampoline_kernelINS0_13select_configILj256ELj13ELNS0_17block_load_methodE3ELS4_3ELS4_3ELNS0_20block_scan_algorithmE0ELj4294967295EEENS1_25partition_config_selectorILNS1_17partition_subalgoE4EjNS0_10empty_typeEbEEZZNS1_14partition_implILS8_4ELb0ES6_15HIP_vector_typeIjLj2EENS0_17counting_iteratorIjlEEPS9_SG_NS0_5tupleIJPjSI_NS0_16reverse_iteratorISI_EEEEENSH_IJSG_SG_SG_EEES9_SI_JZNS1_25segmented_radix_sort_implINS0_14default_configELb0EPKaPaPKlPlN2at6native12_GLOBAL__N_18offset_tEEE10hipError_tPvRmT1_PNSt15iterator_traitsIS12_E10value_typeET2_T3_PNS13_IS18_E10value_typeET4_jRbjT5_S1E_jjP12ihipStream_tbEUljE_ZNSN_ISO_Lb0ESQ_SR_ST_SU_SY_EESZ_S10_S11_S12_S16_S17_S18_S1B_S1C_jS1D_jS1E_S1E_jjS1G_bEUljE0_EEESZ_S10_S11_S18_S1C_S1E_T6_T7_T9_mT8_S1G_bDpT10_ENKUlT_T0_E_clISt17integral_constantIbLb0EES1U_EEDaS1P_S1Q_EUlS1P_E_NS1_11comp_targetILNS1_3genE2ELNS1_11target_archE906ELNS1_3gpuE6ELNS1_3repE0EEENS1_30default_config_static_selectorELNS0_4arch9wavefront6targetE0EEEvS12_.has_indirect_call, 0
	.section	.AMDGPU.csdata,"",@progbits
; Kernel info:
; codeLenInByte = 0
; TotalNumSgprs: 0
; NumVgprs: 0
; ScratchSize: 0
; MemoryBound: 0
; FloatMode: 240
; IeeeMode: 1
; LDSByteSize: 0 bytes/workgroup (compile time only)
; SGPRBlocks: 0
; VGPRBlocks: 0
; NumSGPRsForWavesPerEU: 1
; NumVGPRsForWavesPerEU: 1
; Occupancy: 16
; WaveLimiterHint : 0
; COMPUTE_PGM_RSRC2:SCRATCH_EN: 0
; COMPUTE_PGM_RSRC2:USER_SGPR: 6
; COMPUTE_PGM_RSRC2:TRAP_HANDLER: 0
; COMPUTE_PGM_RSRC2:TGID_X_EN: 1
; COMPUTE_PGM_RSRC2:TGID_Y_EN: 0
; COMPUTE_PGM_RSRC2:TGID_Z_EN: 0
; COMPUTE_PGM_RSRC2:TIDIG_COMP_CNT: 0
	.section	.text._ZN7rocprim17ROCPRIM_400000_NS6detail17trampoline_kernelINS0_13select_configILj256ELj13ELNS0_17block_load_methodE3ELS4_3ELS4_3ELNS0_20block_scan_algorithmE0ELj4294967295EEENS1_25partition_config_selectorILNS1_17partition_subalgoE4EjNS0_10empty_typeEbEEZZNS1_14partition_implILS8_4ELb0ES6_15HIP_vector_typeIjLj2EENS0_17counting_iteratorIjlEEPS9_SG_NS0_5tupleIJPjSI_NS0_16reverse_iteratorISI_EEEEENSH_IJSG_SG_SG_EEES9_SI_JZNS1_25segmented_radix_sort_implINS0_14default_configELb0EPKaPaPKlPlN2at6native12_GLOBAL__N_18offset_tEEE10hipError_tPvRmT1_PNSt15iterator_traitsIS12_E10value_typeET2_T3_PNS13_IS18_E10value_typeET4_jRbjT5_S1E_jjP12ihipStream_tbEUljE_ZNSN_ISO_Lb0ESQ_SR_ST_SU_SY_EESZ_S10_S11_S12_S16_S17_S18_S1B_S1C_jS1D_jS1E_S1E_jjS1G_bEUljE0_EEESZ_S10_S11_S18_S1C_S1E_T6_T7_T9_mT8_S1G_bDpT10_ENKUlT_T0_E_clISt17integral_constantIbLb0EES1U_EEDaS1P_S1Q_EUlS1P_E_NS1_11comp_targetILNS1_3genE10ELNS1_11target_archE1200ELNS1_3gpuE4ELNS1_3repE0EEENS1_30default_config_static_selectorELNS0_4arch9wavefront6targetE0EEEvS12_,"axG",@progbits,_ZN7rocprim17ROCPRIM_400000_NS6detail17trampoline_kernelINS0_13select_configILj256ELj13ELNS0_17block_load_methodE3ELS4_3ELS4_3ELNS0_20block_scan_algorithmE0ELj4294967295EEENS1_25partition_config_selectorILNS1_17partition_subalgoE4EjNS0_10empty_typeEbEEZZNS1_14partition_implILS8_4ELb0ES6_15HIP_vector_typeIjLj2EENS0_17counting_iteratorIjlEEPS9_SG_NS0_5tupleIJPjSI_NS0_16reverse_iteratorISI_EEEEENSH_IJSG_SG_SG_EEES9_SI_JZNS1_25segmented_radix_sort_implINS0_14default_configELb0EPKaPaPKlPlN2at6native12_GLOBAL__N_18offset_tEEE10hipError_tPvRmT1_PNSt15iterator_traitsIS12_E10value_typeET2_T3_PNS13_IS18_E10value_typeET4_jRbjT5_S1E_jjP12ihipStream_tbEUljE_ZNSN_ISO_Lb0ESQ_SR_ST_SU_SY_EESZ_S10_S11_S12_S16_S17_S18_S1B_S1C_jS1D_jS1E_S1E_jjS1G_bEUljE0_EEESZ_S10_S11_S18_S1C_S1E_T6_T7_T9_mT8_S1G_bDpT10_ENKUlT_T0_E_clISt17integral_constantIbLb0EES1U_EEDaS1P_S1Q_EUlS1P_E_NS1_11comp_targetILNS1_3genE10ELNS1_11target_archE1200ELNS1_3gpuE4ELNS1_3repE0EEENS1_30default_config_static_selectorELNS0_4arch9wavefront6targetE0EEEvS12_,comdat
	.globl	_ZN7rocprim17ROCPRIM_400000_NS6detail17trampoline_kernelINS0_13select_configILj256ELj13ELNS0_17block_load_methodE3ELS4_3ELS4_3ELNS0_20block_scan_algorithmE0ELj4294967295EEENS1_25partition_config_selectorILNS1_17partition_subalgoE4EjNS0_10empty_typeEbEEZZNS1_14partition_implILS8_4ELb0ES6_15HIP_vector_typeIjLj2EENS0_17counting_iteratorIjlEEPS9_SG_NS0_5tupleIJPjSI_NS0_16reverse_iteratorISI_EEEEENSH_IJSG_SG_SG_EEES9_SI_JZNS1_25segmented_radix_sort_implINS0_14default_configELb0EPKaPaPKlPlN2at6native12_GLOBAL__N_18offset_tEEE10hipError_tPvRmT1_PNSt15iterator_traitsIS12_E10value_typeET2_T3_PNS13_IS18_E10value_typeET4_jRbjT5_S1E_jjP12ihipStream_tbEUljE_ZNSN_ISO_Lb0ESQ_SR_ST_SU_SY_EESZ_S10_S11_S12_S16_S17_S18_S1B_S1C_jS1D_jS1E_S1E_jjS1G_bEUljE0_EEESZ_S10_S11_S18_S1C_S1E_T6_T7_T9_mT8_S1G_bDpT10_ENKUlT_T0_E_clISt17integral_constantIbLb0EES1U_EEDaS1P_S1Q_EUlS1P_E_NS1_11comp_targetILNS1_3genE10ELNS1_11target_archE1200ELNS1_3gpuE4ELNS1_3repE0EEENS1_30default_config_static_selectorELNS0_4arch9wavefront6targetE0EEEvS12_ ; -- Begin function _ZN7rocprim17ROCPRIM_400000_NS6detail17trampoline_kernelINS0_13select_configILj256ELj13ELNS0_17block_load_methodE3ELS4_3ELS4_3ELNS0_20block_scan_algorithmE0ELj4294967295EEENS1_25partition_config_selectorILNS1_17partition_subalgoE4EjNS0_10empty_typeEbEEZZNS1_14partition_implILS8_4ELb0ES6_15HIP_vector_typeIjLj2EENS0_17counting_iteratorIjlEEPS9_SG_NS0_5tupleIJPjSI_NS0_16reverse_iteratorISI_EEEEENSH_IJSG_SG_SG_EEES9_SI_JZNS1_25segmented_radix_sort_implINS0_14default_configELb0EPKaPaPKlPlN2at6native12_GLOBAL__N_18offset_tEEE10hipError_tPvRmT1_PNSt15iterator_traitsIS12_E10value_typeET2_T3_PNS13_IS18_E10value_typeET4_jRbjT5_S1E_jjP12ihipStream_tbEUljE_ZNSN_ISO_Lb0ESQ_SR_ST_SU_SY_EESZ_S10_S11_S12_S16_S17_S18_S1B_S1C_jS1D_jS1E_S1E_jjS1G_bEUljE0_EEESZ_S10_S11_S18_S1C_S1E_T6_T7_T9_mT8_S1G_bDpT10_ENKUlT_T0_E_clISt17integral_constantIbLb0EES1U_EEDaS1P_S1Q_EUlS1P_E_NS1_11comp_targetILNS1_3genE10ELNS1_11target_archE1200ELNS1_3gpuE4ELNS1_3repE0EEENS1_30default_config_static_selectorELNS0_4arch9wavefront6targetE0EEEvS12_
	.p2align	8
	.type	_ZN7rocprim17ROCPRIM_400000_NS6detail17trampoline_kernelINS0_13select_configILj256ELj13ELNS0_17block_load_methodE3ELS4_3ELS4_3ELNS0_20block_scan_algorithmE0ELj4294967295EEENS1_25partition_config_selectorILNS1_17partition_subalgoE4EjNS0_10empty_typeEbEEZZNS1_14partition_implILS8_4ELb0ES6_15HIP_vector_typeIjLj2EENS0_17counting_iteratorIjlEEPS9_SG_NS0_5tupleIJPjSI_NS0_16reverse_iteratorISI_EEEEENSH_IJSG_SG_SG_EEES9_SI_JZNS1_25segmented_radix_sort_implINS0_14default_configELb0EPKaPaPKlPlN2at6native12_GLOBAL__N_18offset_tEEE10hipError_tPvRmT1_PNSt15iterator_traitsIS12_E10value_typeET2_T3_PNS13_IS18_E10value_typeET4_jRbjT5_S1E_jjP12ihipStream_tbEUljE_ZNSN_ISO_Lb0ESQ_SR_ST_SU_SY_EESZ_S10_S11_S12_S16_S17_S18_S1B_S1C_jS1D_jS1E_S1E_jjS1G_bEUljE0_EEESZ_S10_S11_S18_S1C_S1E_T6_T7_T9_mT8_S1G_bDpT10_ENKUlT_T0_E_clISt17integral_constantIbLb0EES1U_EEDaS1P_S1Q_EUlS1P_E_NS1_11comp_targetILNS1_3genE10ELNS1_11target_archE1200ELNS1_3gpuE4ELNS1_3repE0EEENS1_30default_config_static_selectorELNS0_4arch9wavefront6targetE0EEEvS12_,@function
_ZN7rocprim17ROCPRIM_400000_NS6detail17trampoline_kernelINS0_13select_configILj256ELj13ELNS0_17block_load_methodE3ELS4_3ELS4_3ELNS0_20block_scan_algorithmE0ELj4294967295EEENS1_25partition_config_selectorILNS1_17partition_subalgoE4EjNS0_10empty_typeEbEEZZNS1_14partition_implILS8_4ELb0ES6_15HIP_vector_typeIjLj2EENS0_17counting_iteratorIjlEEPS9_SG_NS0_5tupleIJPjSI_NS0_16reverse_iteratorISI_EEEEENSH_IJSG_SG_SG_EEES9_SI_JZNS1_25segmented_radix_sort_implINS0_14default_configELb0EPKaPaPKlPlN2at6native12_GLOBAL__N_18offset_tEEE10hipError_tPvRmT1_PNSt15iterator_traitsIS12_E10value_typeET2_T3_PNS13_IS18_E10value_typeET4_jRbjT5_S1E_jjP12ihipStream_tbEUljE_ZNSN_ISO_Lb0ESQ_SR_ST_SU_SY_EESZ_S10_S11_S12_S16_S17_S18_S1B_S1C_jS1D_jS1E_S1E_jjS1G_bEUljE0_EEESZ_S10_S11_S18_S1C_S1E_T6_T7_T9_mT8_S1G_bDpT10_ENKUlT_T0_E_clISt17integral_constantIbLb0EES1U_EEDaS1P_S1Q_EUlS1P_E_NS1_11comp_targetILNS1_3genE10ELNS1_11target_archE1200ELNS1_3gpuE4ELNS1_3repE0EEENS1_30default_config_static_selectorELNS0_4arch9wavefront6targetE0EEEvS12_: ; @_ZN7rocprim17ROCPRIM_400000_NS6detail17trampoline_kernelINS0_13select_configILj256ELj13ELNS0_17block_load_methodE3ELS4_3ELS4_3ELNS0_20block_scan_algorithmE0ELj4294967295EEENS1_25partition_config_selectorILNS1_17partition_subalgoE4EjNS0_10empty_typeEbEEZZNS1_14partition_implILS8_4ELb0ES6_15HIP_vector_typeIjLj2EENS0_17counting_iteratorIjlEEPS9_SG_NS0_5tupleIJPjSI_NS0_16reverse_iteratorISI_EEEEENSH_IJSG_SG_SG_EEES9_SI_JZNS1_25segmented_radix_sort_implINS0_14default_configELb0EPKaPaPKlPlN2at6native12_GLOBAL__N_18offset_tEEE10hipError_tPvRmT1_PNSt15iterator_traitsIS12_E10value_typeET2_T3_PNS13_IS18_E10value_typeET4_jRbjT5_S1E_jjP12ihipStream_tbEUljE_ZNSN_ISO_Lb0ESQ_SR_ST_SU_SY_EESZ_S10_S11_S12_S16_S17_S18_S1B_S1C_jS1D_jS1E_S1E_jjS1G_bEUljE0_EEESZ_S10_S11_S18_S1C_S1E_T6_T7_T9_mT8_S1G_bDpT10_ENKUlT_T0_E_clISt17integral_constantIbLb0EES1U_EEDaS1P_S1Q_EUlS1P_E_NS1_11comp_targetILNS1_3genE10ELNS1_11target_archE1200ELNS1_3gpuE4ELNS1_3repE0EEENS1_30default_config_static_selectorELNS0_4arch9wavefront6targetE0EEEvS12_
; %bb.0:
	.section	.rodata,"a",@progbits
	.p2align	6, 0x0
	.amdhsa_kernel _ZN7rocprim17ROCPRIM_400000_NS6detail17trampoline_kernelINS0_13select_configILj256ELj13ELNS0_17block_load_methodE3ELS4_3ELS4_3ELNS0_20block_scan_algorithmE0ELj4294967295EEENS1_25partition_config_selectorILNS1_17partition_subalgoE4EjNS0_10empty_typeEbEEZZNS1_14partition_implILS8_4ELb0ES6_15HIP_vector_typeIjLj2EENS0_17counting_iteratorIjlEEPS9_SG_NS0_5tupleIJPjSI_NS0_16reverse_iteratorISI_EEEEENSH_IJSG_SG_SG_EEES9_SI_JZNS1_25segmented_radix_sort_implINS0_14default_configELb0EPKaPaPKlPlN2at6native12_GLOBAL__N_18offset_tEEE10hipError_tPvRmT1_PNSt15iterator_traitsIS12_E10value_typeET2_T3_PNS13_IS18_E10value_typeET4_jRbjT5_S1E_jjP12ihipStream_tbEUljE_ZNSN_ISO_Lb0ESQ_SR_ST_SU_SY_EESZ_S10_S11_S12_S16_S17_S18_S1B_S1C_jS1D_jS1E_S1E_jjS1G_bEUljE0_EEESZ_S10_S11_S18_S1C_S1E_T6_T7_T9_mT8_S1G_bDpT10_ENKUlT_T0_E_clISt17integral_constantIbLb0EES1U_EEDaS1P_S1Q_EUlS1P_E_NS1_11comp_targetILNS1_3genE10ELNS1_11target_archE1200ELNS1_3gpuE4ELNS1_3repE0EEENS1_30default_config_static_selectorELNS0_4arch9wavefront6targetE0EEEvS12_
		.amdhsa_group_segment_fixed_size 0
		.amdhsa_private_segment_fixed_size 0
		.amdhsa_kernarg_size 176
		.amdhsa_user_sgpr_count 6
		.amdhsa_user_sgpr_private_segment_buffer 1
		.amdhsa_user_sgpr_dispatch_ptr 0
		.amdhsa_user_sgpr_queue_ptr 0
		.amdhsa_user_sgpr_kernarg_segment_ptr 1
		.amdhsa_user_sgpr_dispatch_id 0
		.amdhsa_user_sgpr_flat_scratch_init 0
		.amdhsa_user_sgpr_private_segment_size 0
		.amdhsa_wavefront_size32 1
		.amdhsa_uses_dynamic_stack 0
		.amdhsa_system_sgpr_private_segment_wavefront_offset 0
		.amdhsa_system_sgpr_workgroup_id_x 1
		.amdhsa_system_sgpr_workgroup_id_y 0
		.amdhsa_system_sgpr_workgroup_id_z 0
		.amdhsa_system_sgpr_workgroup_info 0
		.amdhsa_system_vgpr_workitem_id 0
		.amdhsa_next_free_vgpr 1
		.amdhsa_next_free_sgpr 1
		.amdhsa_reserve_vcc 0
		.amdhsa_reserve_flat_scratch 0
		.amdhsa_float_round_mode_32 0
		.amdhsa_float_round_mode_16_64 0
		.amdhsa_float_denorm_mode_32 3
		.amdhsa_float_denorm_mode_16_64 3
		.amdhsa_dx10_clamp 1
		.amdhsa_ieee_mode 1
		.amdhsa_fp16_overflow 0
		.amdhsa_workgroup_processor_mode 1
		.amdhsa_memory_ordered 1
		.amdhsa_forward_progress 1
		.amdhsa_shared_vgpr_count 0
		.amdhsa_exception_fp_ieee_invalid_op 0
		.amdhsa_exception_fp_denorm_src 0
		.amdhsa_exception_fp_ieee_div_zero 0
		.amdhsa_exception_fp_ieee_overflow 0
		.amdhsa_exception_fp_ieee_underflow 0
		.amdhsa_exception_fp_ieee_inexact 0
		.amdhsa_exception_int_div_zero 0
	.end_amdhsa_kernel
	.section	.text._ZN7rocprim17ROCPRIM_400000_NS6detail17trampoline_kernelINS0_13select_configILj256ELj13ELNS0_17block_load_methodE3ELS4_3ELS4_3ELNS0_20block_scan_algorithmE0ELj4294967295EEENS1_25partition_config_selectorILNS1_17partition_subalgoE4EjNS0_10empty_typeEbEEZZNS1_14partition_implILS8_4ELb0ES6_15HIP_vector_typeIjLj2EENS0_17counting_iteratorIjlEEPS9_SG_NS0_5tupleIJPjSI_NS0_16reverse_iteratorISI_EEEEENSH_IJSG_SG_SG_EEES9_SI_JZNS1_25segmented_radix_sort_implINS0_14default_configELb0EPKaPaPKlPlN2at6native12_GLOBAL__N_18offset_tEEE10hipError_tPvRmT1_PNSt15iterator_traitsIS12_E10value_typeET2_T3_PNS13_IS18_E10value_typeET4_jRbjT5_S1E_jjP12ihipStream_tbEUljE_ZNSN_ISO_Lb0ESQ_SR_ST_SU_SY_EESZ_S10_S11_S12_S16_S17_S18_S1B_S1C_jS1D_jS1E_S1E_jjS1G_bEUljE0_EEESZ_S10_S11_S18_S1C_S1E_T6_T7_T9_mT8_S1G_bDpT10_ENKUlT_T0_E_clISt17integral_constantIbLb0EES1U_EEDaS1P_S1Q_EUlS1P_E_NS1_11comp_targetILNS1_3genE10ELNS1_11target_archE1200ELNS1_3gpuE4ELNS1_3repE0EEENS1_30default_config_static_selectorELNS0_4arch9wavefront6targetE0EEEvS12_,"axG",@progbits,_ZN7rocprim17ROCPRIM_400000_NS6detail17trampoline_kernelINS0_13select_configILj256ELj13ELNS0_17block_load_methodE3ELS4_3ELS4_3ELNS0_20block_scan_algorithmE0ELj4294967295EEENS1_25partition_config_selectorILNS1_17partition_subalgoE4EjNS0_10empty_typeEbEEZZNS1_14partition_implILS8_4ELb0ES6_15HIP_vector_typeIjLj2EENS0_17counting_iteratorIjlEEPS9_SG_NS0_5tupleIJPjSI_NS0_16reverse_iteratorISI_EEEEENSH_IJSG_SG_SG_EEES9_SI_JZNS1_25segmented_radix_sort_implINS0_14default_configELb0EPKaPaPKlPlN2at6native12_GLOBAL__N_18offset_tEEE10hipError_tPvRmT1_PNSt15iterator_traitsIS12_E10value_typeET2_T3_PNS13_IS18_E10value_typeET4_jRbjT5_S1E_jjP12ihipStream_tbEUljE_ZNSN_ISO_Lb0ESQ_SR_ST_SU_SY_EESZ_S10_S11_S12_S16_S17_S18_S1B_S1C_jS1D_jS1E_S1E_jjS1G_bEUljE0_EEESZ_S10_S11_S18_S1C_S1E_T6_T7_T9_mT8_S1G_bDpT10_ENKUlT_T0_E_clISt17integral_constantIbLb0EES1U_EEDaS1P_S1Q_EUlS1P_E_NS1_11comp_targetILNS1_3genE10ELNS1_11target_archE1200ELNS1_3gpuE4ELNS1_3repE0EEENS1_30default_config_static_selectorELNS0_4arch9wavefront6targetE0EEEvS12_,comdat
.Lfunc_end331:
	.size	_ZN7rocprim17ROCPRIM_400000_NS6detail17trampoline_kernelINS0_13select_configILj256ELj13ELNS0_17block_load_methodE3ELS4_3ELS4_3ELNS0_20block_scan_algorithmE0ELj4294967295EEENS1_25partition_config_selectorILNS1_17partition_subalgoE4EjNS0_10empty_typeEbEEZZNS1_14partition_implILS8_4ELb0ES6_15HIP_vector_typeIjLj2EENS0_17counting_iteratorIjlEEPS9_SG_NS0_5tupleIJPjSI_NS0_16reverse_iteratorISI_EEEEENSH_IJSG_SG_SG_EEES9_SI_JZNS1_25segmented_radix_sort_implINS0_14default_configELb0EPKaPaPKlPlN2at6native12_GLOBAL__N_18offset_tEEE10hipError_tPvRmT1_PNSt15iterator_traitsIS12_E10value_typeET2_T3_PNS13_IS18_E10value_typeET4_jRbjT5_S1E_jjP12ihipStream_tbEUljE_ZNSN_ISO_Lb0ESQ_SR_ST_SU_SY_EESZ_S10_S11_S12_S16_S17_S18_S1B_S1C_jS1D_jS1E_S1E_jjS1G_bEUljE0_EEESZ_S10_S11_S18_S1C_S1E_T6_T7_T9_mT8_S1G_bDpT10_ENKUlT_T0_E_clISt17integral_constantIbLb0EES1U_EEDaS1P_S1Q_EUlS1P_E_NS1_11comp_targetILNS1_3genE10ELNS1_11target_archE1200ELNS1_3gpuE4ELNS1_3repE0EEENS1_30default_config_static_selectorELNS0_4arch9wavefront6targetE0EEEvS12_, .Lfunc_end331-_ZN7rocprim17ROCPRIM_400000_NS6detail17trampoline_kernelINS0_13select_configILj256ELj13ELNS0_17block_load_methodE3ELS4_3ELS4_3ELNS0_20block_scan_algorithmE0ELj4294967295EEENS1_25partition_config_selectorILNS1_17partition_subalgoE4EjNS0_10empty_typeEbEEZZNS1_14partition_implILS8_4ELb0ES6_15HIP_vector_typeIjLj2EENS0_17counting_iteratorIjlEEPS9_SG_NS0_5tupleIJPjSI_NS0_16reverse_iteratorISI_EEEEENSH_IJSG_SG_SG_EEES9_SI_JZNS1_25segmented_radix_sort_implINS0_14default_configELb0EPKaPaPKlPlN2at6native12_GLOBAL__N_18offset_tEEE10hipError_tPvRmT1_PNSt15iterator_traitsIS12_E10value_typeET2_T3_PNS13_IS18_E10value_typeET4_jRbjT5_S1E_jjP12ihipStream_tbEUljE_ZNSN_ISO_Lb0ESQ_SR_ST_SU_SY_EESZ_S10_S11_S12_S16_S17_S18_S1B_S1C_jS1D_jS1E_S1E_jjS1G_bEUljE0_EEESZ_S10_S11_S18_S1C_S1E_T6_T7_T9_mT8_S1G_bDpT10_ENKUlT_T0_E_clISt17integral_constantIbLb0EES1U_EEDaS1P_S1Q_EUlS1P_E_NS1_11comp_targetILNS1_3genE10ELNS1_11target_archE1200ELNS1_3gpuE4ELNS1_3repE0EEENS1_30default_config_static_selectorELNS0_4arch9wavefront6targetE0EEEvS12_
                                        ; -- End function
	.set _ZN7rocprim17ROCPRIM_400000_NS6detail17trampoline_kernelINS0_13select_configILj256ELj13ELNS0_17block_load_methodE3ELS4_3ELS4_3ELNS0_20block_scan_algorithmE0ELj4294967295EEENS1_25partition_config_selectorILNS1_17partition_subalgoE4EjNS0_10empty_typeEbEEZZNS1_14partition_implILS8_4ELb0ES6_15HIP_vector_typeIjLj2EENS0_17counting_iteratorIjlEEPS9_SG_NS0_5tupleIJPjSI_NS0_16reverse_iteratorISI_EEEEENSH_IJSG_SG_SG_EEES9_SI_JZNS1_25segmented_radix_sort_implINS0_14default_configELb0EPKaPaPKlPlN2at6native12_GLOBAL__N_18offset_tEEE10hipError_tPvRmT1_PNSt15iterator_traitsIS12_E10value_typeET2_T3_PNS13_IS18_E10value_typeET4_jRbjT5_S1E_jjP12ihipStream_tbEUljE_ZNSN_ISO_Lb0ESQ_SR_ST_SU_SY_EESZ_S10_S11_S12_S16_S17_S18_S1B_S1C_jS1D_jS1E_S1E_jjS1G_bEUljE0_EEESZ_S10_S11_S18_S1C_S1E_T6_T7_T9_mT8_S1G_bDpT10_ENKUlT_T0_E_clISt17integral_constantIbLb0EES1U_EEDaS1P_S1Q_EUlS1P_E_NS1_11comp_targetILNS1_3genE10ELNS1_11target_archE1200ELNS1_3gpuE4ELNS1_3repE0EEENS1_30default_config_static_selectorELNS0_4arch9wavefront6targetE0EEEvS12_.num_vgpr, 0
	.set _ZN7rocprim17ROCPRIM_400000_NS6detail17trampoline_kernelINS0_13select_configILj256ELj13ELNS0_17block_load_methodE3ELS4_3ELS4_3ELNS0_20block_scan_algorithmE0ELj4294967295EEENS1_25partition_config_selectorILNS1_17partition_subalgoE4EjNS0_10empty_typeEbEEZZNS1_14partition_implILS8_4ELb0ES6_15HIP_vector_typeIjLj2EENS0_17counting_iteratorIjlEEPS9_SG_NS0_5tupleIJPjSI_NS0_16reverse_iteratorISI_EEEEENSH_IJSG_SG_SG_EEES9_SI_JZNS1_25segmented_radix_sort_implINS0_14default_configELb0EPKaPaPKlPlN2at6native12_GLOBAL__N_18offset_tEEE10hipError_tPvRmT1_PNSt15iterator_traitsIS12_E10value_typeET2_T3_PNS13_IS18_E10value_typeET4_jRbjT5_S1E_jjP12ihipStream_tbEUljE_ZNSN_ISO_Lb0ESQ_SR_ST_SU_SY_EESZ_S10_S11_S12_S16_S17_S18_S1B_S1C_jS1D_jS1E_S1E_jjS1G_bEUljE0_EEESZ_S10_S11_S18_S1C_S1E_T6_T7_T9_mT8_S1G_bDpT10_ENKUlT_T0_E_clISt17integral_constantIbLb0EES1U_EEDaS1P_S1Q_EUlS1P_E_NS1_11comp_targetILNS1_3genE10ELNS1_11target_archE1200ELNS1_3gpuE4ELNS1_3repE0EEENS1_30default_config_static_selectorELNS0_4arch9wavefront6targetE0EEEvS12_.num_agpr, 0
	.set _ZN7rocprim17ROCPRIM_400000_NS6detail17trampoline_kernelINS0_13select_configILj256ELj13ELNS0_17block_load_methodE3ELS4_3ELS4_3ELNS0_20block_scan_algorithmE0ELj4294967295EEENS1_25partition_config_selectorILNS1_17partition_subalgoE4EjNS0_10empty_typeEbEEZZNS1_14partition_implILS8_4ELb0ES6_15HIP_vector_typeIjLj2EENS0_17counting_iteratorIjlEEPS9_SG_NS0_5tupleIJPjSI_NS0_16reverse_iteratorISI_EEEEENSH_IJSG_SG_SG_EEES9_SI_JZNS1_25segmented_radix_sort_implINS0_14default_configELb0EPKaPaPKlPlN2at6native12_GLOBAL__N_18offset_tEEE10hipError_tPvRmT1_PNSt15iterator_traitsIS12_E10value_typeET2_T3_PNS13_IS18_E10value_typeET4_jRbjT5_S1E_jjP12ihipStream_tbEUljE_ZNSN_ISO_Lb0ESQ_SR_ST_SU_SY_EESZ_S10_S11_S12_S16_S17_S18_S1B_S1C_jS1D_jS1E_S1E_jjS1G_bEUljE0_EEESZ_S10_S11_S18_S1C_S1E_T6_T7_T9_mT8_S1G_bDpT10_ENKUlT_T0_E_clISt17integral_constantIbLb0EES1U_EEDaS1P_S1Q_EUlS1P_E_NS1_11comp_targetILNS1_3genE10ELNS1_11target_archE1200ELNS1_3gpuE4ELNS1_3repE0EEENS1_30default_config_static_selectorELNS0_4arch9wavefront6targetE0EEEvS12_.numbered_sgpr, 0
	.set _ZN7rocprim17ROCPRIM_400000_NS6detail17trampoline_kernelINS0_13select_configILj256ELj13ELNS0_17block_load_methodE3ELS4_3ELS4_3ELNS0_20block_scan_algorithmE0ELj4294967295EEENS1_25partition_config_selectorILNS1_17partition_subalgoE4EjNS0_10empty_typeEbEEZZNS1_14partition_implILS8_4ELb0ES6_15HIP_vector_typeIjLj2EENS0_17counting_iteratorIjlEEPS9_SG_NS0_5tupleIJPjSI_NS0_16reverse_iteratorISI_EEEEENSH_IJSG_SG_SG_EEES9_SI_JZNS1_25segmented_radix_sort_implINS0_14default_configELb0EPKaPaPKlPlN2at6native12_GLOBAL__N_18offset_tEEE10hipError_tPvRmT1_PNSt15iterator_traitsIS12_E10value_typeET2_T3_PNS13_IS18_E10value_typeET4_jRbjT5_S1E_jjP12ihipStream_tbEUljE_ZNSN_ISO_Lb0ESQ_SR_ST_SU_SY_EESZ_S10_S11_S12_S16_S17_S18_S1B_S1C_jS1D_jS1E_S1E_jjS1G_bEUljE0_EEESZ_S10_S11_S18_S1C_S1E_T6_T7_T9_mT8_S1G_bDpT10_ENKUlT_T0_E_clISt17integral_constantIbLb0EES1U_EEDaS1P_S1Q_EUlS1P_E_NS1_11comp_targetILNS1_3genE10ELNS1_11target_archE1200ELNS1_3gpuE4ELNS1_3repE0EEENS1_30default_config_static_selectorELNS0_4arch9wavefront6targetE0EEEvS12_.num_named_barrier, 0
	.set _ZN7rocprim17ROCPRIM_400000_NS6detail17trampoline_kernelINS0_13select_configILj256ELj13ELNS0_17block_load_methodE3ELS4_3ELS4_3ELNS0_20block_scan_algorithmE0ELj4294967295EEENS1_25partition_config_selectorILNS1_17partition_subalgoE4EjNS0_10empty_typeEbEEZZNS1_14partition_implILS8_4ELb0ES6_15HIP_vector_typeIjLj2EENS0_17counting_iteratorIjlEEPS9_SG_NS0_5tupleIJPjSI_NS0_16reverse_iteratorISI_EEEEENSH_IJSG_SG_SG_EEES9_SI_JZNS1_25segmented_radix_sort_implINS0_14default_configELb0EPKaPaPKlPlN2at6native12_GLOBAL__N_18offset_tEEE10hipError_tPvRmT1_PNSt15iterator_traitsIS12_E10value_typeET2_T3_PNS13_IS18_E10value_typeET4_jRbjT5_S1E_jjP12ihipStream_tbEUljE_ZNSN_ISO_Lb0ESQ_SR_ST_SU_SY_EESZ_S10_S11_S12_S16_S17_S18_S1B_S1C_jS1D_jS1E_S1E_jjS1G_bEUljE0_EEESZ_S10_S11_S18_S1C_S1E_T6_T7_T9_mT8_S1G_bDpT10_ENKUlT_T0_E_clISt17integral_constantIbLb0EES1U_EEDaS1P_S1Q_EUlS1P_E_NS1_11comp_targetILNS1_3genE10ELNS1_11target_archE1200ELNS1_3gpuE4ELNS1_3repE0EEENS1_30default_config_static_selectorELNS0_4arch9wavefront6targetE0EEEvS12_.private_seg_size, 0
	.set _ZN7rocprim17ROCPRIM_400000_NS6detail17trampoline_kernelINS0_13select_configILj256ELj13ELNS0_17block_load_methodE3ELS4_3ELS4_3ELNS0_20block_scan_algorithmE0ELj4294967295EEENS1_25partition_config_selectorILNS1_17partition_subalgoE4EjNS0_10empty_typeEbEEZZNS1_14partition_implILS8_4ELb0ES6_15HIP_vector_typeIjLj2EENS0_17counting_iteratorIjlEEPS9_SG_NS0_5tupleIJPjSI_NS0_16reverse_iteratorISI_EEEEENSH_IJSG_SG_SG_EEES9_SI_JZNS1_25segmented_radix_sort_implINS0_14default_configELb0EPKaPaPKlPlN2at6native12_GLOBAL__N_18offset_tEEE10hipError_tPvRmT1_PNSt15iterator_traitsIS12_E10value_typeET2_T3_PNS13_IS18_E10value_typeET4_jRbjT5_S1E_jjP12ihipStream_tbEUljE_ZNSN_ISO_Lb0ESQ_SR_ST_SU_SY_EESZ_S10_S11_S12_S16_S17_S18_S1B_S1C_jS1D_jS1E_S1E_jjS1G_bEUljE0_EEESZ_S10_S11_S18_S1C_S1E_T6_T7_T9_mT8_S1G_bDpT10_ENKUlT_T0_E_clISt17integral_constantIbLb0EES1U_EEDaS1P_S1Q_EUlS1P_E_NS1_11comp_targetILNS1_3genE10ELNS1_11target_archE1200ELNS1_3gpuE4ELNS1_3repE0EEENS1_30default_config_static_selectorELNS0_4arch9wavefront6targetE0EEEvS12_.uses_vcc, 0
	.set _ZN7rocprim17ROCPRIM_400000_NS6detail17trampoline_kernelINS0_13select_configILj256ELj13ELNS0_17block_load_methodE3ELS4_3ELS4_3ELNS0_20block_scan_algorithmE0ELj4294967295EEENS1_25partition_config_selectorILNS1_17partition_subalgoE4EjNS0_10empty_typeEbEEZZNS1_14partition_implILS8_4ELb0ES6_15HIP_vector_typeIjLj2EENS0_17counting_iteratorIjlEEPS9_SG_NS0_5tupleIJPjSI_NS0_16reverse_iteratorISI_EEEEENSH_IJSG_SG_SG_EEES9_SI_JZNS1_25segmented_radix_sort_implINS0_14default_configELb0EPKaPaPKlPlN2at6native12_GLOBAL__N_18offset_tEEE10hipError_tPvRmT1_PNSt15iterator_traitsIS12_E10value_typeET2_T3_PNS13_IS18_E10value_typeET4_jRbjT5_S1E_jjP12ihipStream_tbEUljE_ZNSN_ISO_Lb0ESQ_SR_ST_SU_SY_EESZ_S10_S11_S12_S16_S17_S18_S1B_S1C_jS1D_jS1E_S1E_jjS1G_bEUljE0_EEESZ_S10_S11_S18_S1C_S1E_T6_T7_T9_mT8_S1G_bDpT10_ENKUlT_T0_E_clISt17integral_constantIbLb0EES1U_EEDaS1P_S1Q_EUlS1P_E_NS1_11comp_targetILNS1_3genE10ELNS1_11target_archE1200ELNS1_3gpuE4ELNS1_3repE0EEENS1_30default_config_static_selectorELNS0_4arch9wavefront6targetE0EEEvS12_.uses_flat_scratch, 0
	.set _ZN7rocprim17ROCPRIM_400000_NS6detail17trampoline_kernelINS0_13select_configILj256ELj13ELNS0_17block_load_methodE3ELS4_3ELS4_3ELNS0_20block_scan_algorithmE0ELj4294967295EEENS1_25partition_config_selectorILNS1_17partition_subalgoE4EjNS0_10empty_typeEbEEZZNS1_14partition_implILS8_4ELb0ES6_15HIP_vector_typeIjLj2EENS0_17counting_iteratorIjlEEPS9_SG_NS0_5tupleIJPjSI_NS0_16reverse_iteratorISI_EEEEENSH_IJSG_SG_SG_EEES9_SI_JZNS1_25segmented_radix_sort_implINS0_14default_configELb0EPKaPaPKlPlN2at6native12_GLOBAL__N_18offset_tEEE10hipError_tPvRmT1_PNSt15iterator_traitsIS12_E10value_typeET2_T3_PNS13_IS18_E10value_typeET4_jRbjT5_S1E_jjP12ihipStream_tbEUljE_ZNSN_ISO_Lb0ESQ_SR_ST_SU_SY_EESZ_S10_S11_S12_S16_S17_S18_S1B_S1C_jS1D_jS1E_S1E_jjS1G_bEUljE0_EEESZ_S10_S11_S18_S1C_S1E_T6_T7_T9_mT8_S1G_bDpT10_ENKUlT_T0_E_clISt17integral_constantIbLb0EES1U_EEDaS1P_S1Q_EUlS1P_E_NS1_11comp_targetILNS1_3genE10ELNS1_11target_archE1200ELNS1_3gpuE4ELNS1_3repE0EEENS1_30default_config_static_selectorELNS0_4arch9wavefront6targetE0EEEvS12_.has_dyn_sized_stack, 0
	.set _ZN7rocprim17ROCPRIM_400000_NS6detail17trampoline_kernelINS0_13select_configILj256ELj13ELNS0_17block_load_methodE3ELS4_3ELS4_3ELNS0_20block_scan_algorithmE0ELj4294967295EEENS1_25partition_config_selectorILNS1_17partition_subalgoE4EjNS0_10empty_typeEbEEZZNS1_14partition_implILS8_4ELb0ES6_15HIP_vector_typeIjLj2EENS0_17counting_iteratorIjlEEPS9_SG_NS0_5tupleIJPjSI_NS0_16reverse_iteratorISI_EEEEENSH_IJSG_SG_SG_EEES9_SI_JZNS1_25segmented_radix_sort_implINS0_14default_configELb0EPKaPaPKlPlN2at6native12_GLOBAL__N_18offset_tEEE10hipError_tPvRmT1_PNSt15iterator_traitsIS12_E10value_typeET2_T3_PNS13_IS18_E10value_typeET4_jRbjT5_S1E_jjP12ihipStream_tbEUljE_ZNSN_ISO_Lb0ESQ_SR_ST_SU_SY_EESZ_S10_S11_S12_S16_S17_S18_S1B_S1C_jS1D_jS1E_S1E_jjS1G_bEUljE0_EEESZ_S10_S11_S18_S1C_S1E_T6_T7_T9_mT8_S1G_bDpT10_ENKUlT_T0_E_clISt17integral_constantIbLb0EES1U_EEDaS1P_S1Q_EUlS1P_E_NS1_11comp_targetILNS1_3genE10ELNS1_11target_archE1200ELNS1_3gpuE4ELNS1_3repE0EEENS1_30default_config_static_selectorELNS0_4arch9wavefront6targetE0EEEvS12_.has_recursion, 0
	.set _ZN7rocprim17ROCPRIM_400000_NS6detail17trampoline_kernelINS0_13select_configILj256ELj13ELNS0_17block_load_methodE3ELS4_3ELS4_3ELNS0_20block_scan_algorithmE0ELj4294967295EEENS1_25partition_config_selectorILNS1_17partition_subalgoE4EjNS0_10empty_typeEbEEZZNS1_14partition_implILS8_4ELb0ES6_15HIP_vector_typeIjLj2EENS0_17counting_iteratorIjlEEPS9_SG_NS0_5tupleIJPjSI_NS0_16reverse_iteratorISI_EEEEENSH_IJSG_SG_SG_EEES9_SI_JZNS1_25segmented_radix_sort_implINS0_14default_configELb0EPKaPaPKlPlN2at6native12_GLOBAL__N_18offset_tEEE10hipError_tPvRmT1_PNSt15iterator_traitsIS12_E10value_typeET2_T3_PNS13_IS18_E10value_typeET4_jRbjT5_S1E_jjP12ihipStream_tbEUljE_ZNSN_ISO_Lb0ESQ_SR_ST_SU_SY_EESZ_S10_S11_S12_S16_S17_S18_S1B_S1C_jS1D_jS1E_S1E_jjS1G_bEUljE0_EEESZ_S10_S11_S18_S1C_S1E_T6_T7_T9_mT8_S1G_bDpT10_ENKUlT_T0_E_clISt17integral_constantIbLb0EES1U_EEDaS1P_S1Q_EUlS1P_E_NS1_11comp_targetILNS1_3genE10ELNS1_11target_archE1200ELNS1_3gpuE4ELNS1_3repE0EEENS1_30default_config_static_selectorELNS0_4arch9wavefront6targetE0EEEvS12_.has_indirect_call, 0
	.section	.AMDGPU.csdata,"",@progbits
; Kernel info:
; codeLenInByte = 0
; TotalNumSgprs: 0
; NumVgprs: 0
; ScratchSize: 0
; MemoryBound: 0
; FloatMode: 240
; IeeeMode: 1
; LDSByteSize: 0 bytes/workgroup (compile time only)
; SGPRBlocks: 0
; VGPRBlocks: 0
; NumSGPRsForWavesPerEU: 1
; NumVGPRsForWavesPerEU: 1
; Occupancy: 16
; WaveLimiterHint : 0
; COMPUTE_PGM_RSRC2:SCRATCH_EN: 0
; COMPUTE_PGM_RSRC2:USER_SGPR: 6
; COMPUTE_PGM_RSRC2:TRAP_HANDLER: 0
; COMPUTE_PGM_RSRC2:TGID_X_EN: 1
; COMPUTE_PGM_RSRC2:TGID_Y_EN: 0
; COMPUTE_PGM_RSRC2:TGID_Z_EN: 0
; COMPUTE_PGM_RSRC2:TIDIG_COMP_CNT: 0
	.section	.text._ZN7rocprim17ROCPRIM_400000_NS6detail17trampoline_kernelINS0_13select_configILj256ELj13ELNS0_17block_load_methodE3ELS4_3ELS4_3ELNS0_20block_scan_algorithmE0ELj4294967295EEENS1_25partition_config_selectorILNS1_17partition_subalgoE4EjNS0_10empty_typeEbEEZZNS1_14partition_implILS8_4ELb0ES6_15HIP_vector_typeIjLj2EENS0_17counting_iteratorIjlEEPS9_SG_NS0_5tupleIJPjSI_NS0_16reverse_iteratorISI_EEEEENSH_IJSG_SG_SG_EEES9_SI_JZNS1_25segmented_radix_sort_implINS0_14default_configELb0EPKaPaPKlPlN2at6native12_GLOBAL__N_18offset_tEEE10hipError_tPvRmT1_PNSt15iterator_traitsIS12_E10value_typeET2_T3_PNS13_IS18_E10value_typeET4_jRbjT5_S1E_jjP12ihipStream_tbEUljE_ZNSN_ISO_Lb0ESQ_SR_ST_SU_SY_EESZ_S10_S11_S12_S16_S17_S18_S1B_S1C_jS1D_jS1E_S1E_jjS1G_bEUljE0_EEESZ_S10_S11_S18_S1C_S1E_T6_T7_T9_mT8_S1G_bDpT10_ENKUlT_T0_E_clISt17integral_constantIbLb0EES1U_EEDaS1P_S1Q_EUlS1P_E_NS1_11comp_targetILNS1_3genE9ELNS1_11target_archE1100ELNS1_3gpuE3ELNS1_3repE0EEENS1_30default_config_static_selectorELNS0_4arch9wavefront6targetE0EEEvS12_,"axG",@progbits,_ZN7rocprim17ROCPRIM_400000_NS6detail17trampoline_kernelINS0_13select_configILj256ELj13ELNS0_17block_load_methodE3ELS4_3ELS4_3ELNS0_20block_scan_algorithmE0ELj4294967295EEENS1_25partition_config_selectorILNS1_17partition_subalgoE4EjNS0_10empty_typeEbEEZZNS1_14partition_implILS8_4ELb0ES6_15HIP_vector_typeIjLj2EENS0_17counting_iteratorIjlEEPS9_SG_NS0_5tupleIJPjSI_NS0_16reverse_iteratorISI_EEEEENSH_IJSG_SG_SG_EEES9_SI_JZNS1_25segmented_radix_sort_implINS0_14default_configELb0EPKaPaPKlPlN2at6native12_GLOBAL__N_18offset_tEEE10hipError_tPvRmT1_PNSt15iterator_traitsIS12_E10value_typeET2_T3_PNS13_IS18_E10value_typeET4_jRbjT5_S1E_jjP12ihipStream_tbEUljE_ZNSN_ISO_Lb0ESQ_SR_ST_SU_SY_EESZ_S10_S11_S12_S16_S17_S18_S1B_S1C_jS1D_jS1E_S1E_jjS1G_bEUljE0_EEESZ_S10_S11_S18_S1C_S1E_T6_T7_T9_mT8_S1G_bDpT10_ENKUlT_T0_E_clISt17integral_constantIbLb0EES1U_EEDaS1P_S1Q_EUlS1P_E_NS1_11comp_targetILNS1_3genE9ELNS1_11target_archE1100ELNS1_3gpuE3ELNS1_3repE0EEENS1_30default_config_static_selectorELNS0_4arch9wavefront6targetE0EEEvS12_,comdat
	.globl	_ZN7rocprim17ROCPRIM_400000_NS6detail17trampoline_kernelINS0_13select_configILj256ELj13ELNS0_17block_load_methodE3ELS4_3ELS4_3ELNS0_20block_scan_algorithmE0ELj4294967295EEENS1_25partition_config_selectorILNS1_17partition_subalgoE4EjNS0_10empty_typeEbEEZZNS1_14partition_implILS8_4ELb0ES6_15HIP_vector_typeIjLj2EENS0_17counting_iteratorIjlEEPS9_SG_NS0_5tupleIJPjSI_NS0_16reverse_iteratorISI_EEEEENSH_IJSG_SG_SG_EEES9_SI_JZNS1_25segmented_radix_sort_implINS0_14default_configELb0EPKaPaPKlPlN2at6native12_GLOBAL__N_18offset_tEEE10hipError_tPvRmT1_PNSt15iterator_traitsIS12_E10value_typeET2_T3_PNS13_IS18_E10value_typeET4_jRbjT5_S1E_jjP12ihipStream_tbEUljE_ZNSN_ISO_Lb0ESQ_SR_ST_SU_SY_EESZ_S10_S11_S12_S16_S17_S18_S1B_S1C_jS1D_jS1E_S1E_jjS1G_bEUljE0_EEESZ_S10_S11_S18_S1C_S1E_T6_T7_T9_mT8_S1G_bDpT10_ENKUlT_T0_E_clISt17integral_constantIbLb0EES1U_EEDaS1P_S1Q_EUlS1P_E_NS1_11comp_targetILNS1_3genE9ELNS1_11target_archE1100ELNS1_3gpuE3ELNS1_3repE0EEENS1_30default_config_static_selectorELNS0_4arch9wavefront6targetE0EEEvS12_ ; -- Begin function _ZN7rocprim17ROCPRIM_400000_NS6detail17trampoline_kernelINS0_13select_configILj256ELj13ELNS0_17block_load_methodE3ELS4_3ELS4_3ELNS0_20block_scan_algorithmE0ELj4294967295EEENS1_25partition_config_selectorILNS1_17partition_subalgoE4EjNS0_10empty_typeEbEEZZNS1_14partition_implILS8_4ELb0ES6_15HIP_vector_typeIjLj2EENS0_17counting_iteratorIjlEEPS9_SG_NS0_5tupleIJPjSI_NS0_16reverse_iteratorISI_EEEEENSH_IJSG_SG_SG_EEES9_SI_JZNS1_25segmented_radix_sort_implINS0_14default_configELb0EPKaPaPKlPlN2at6native12_GLOBAL__N_18offset_tEEE10hipError_tPvRmT1_PNSt15iterator_traitsIS12_E10value_typeET2_T3_PNS13_IS18_E10value_typeET4_jRbjT5_S1E_jjP12ihipStream_tbEUljE_ZNSN_ISO_Lb0ESQ_SR_ST_SU_SY_EESZ_S10_S11_S12_S16_S17_S18_S1B_S1C_jS1D_jS1E_S1E_jjS1G_bEUljE0_EEESZ_S10_S11_S18_S1C_S1E_T6_T7_T9_mT8_S1G_bDpT10_ENKUlT_T0_E_clISt17integral_constantIbLb0EES1U_EEDaS1P_S1Q_EUlS1P_E_NS1_11comp_targetILNS1_3genE9ELNS1_11target_archE1100ELNS1_3gpuE3ELNS1_3repE0EEENS1_30default_config_static_selectorELNS0_4arch9wavefront6targetE0EEEvS12_
	.p2align	8
	.type	_ZN7rocprim17ROCPRIM_400000_NS6detail17trampoline_kernelINS0_13select_configILj256ELj13ELNS0_17block_load_methodE3ELS4_3ELS4_3ELNS0_20block_scan_algorithmE0ELj4294967295EEENS1_25partition_config_selectorILNS1_17partition_subalgoE4EjNS0_10empty_typeEbEEZZNS1_14partition_implILS8_4ELb0ES6_15HIP_vector_typeIjLj2EENS0_17counting_iteratorIjlEEPS9_SG_NS0_5tupleIJPjSI_NS0_16reverse_iteratorISI_EEEEENSH_IJSG_SG_SG_EEES9_SI_JZNS1_25segmented_radix_sort_implINS0_14default_configELb0EPKaPaPKlPlN2at6native12_GLOBAL__N_18offset_tEEE10hipError_tPvRmT1_PNSt15iterator_traitsIS12_E10value_typeET2_T3_PNS13_IS18_E10value_typeET4_jRbjT5_S1E_jjP12ihipStream_tbEUljE_ZNSN_ISO_Lb0ESQ_SR_ST_SU_SY_EESZ_S10_S11_S12_S16_S17_S18_S1B_S1C_jS1D_jS1E_S1E_jjS1G_bEUljE0_EEESZ_S10_S11_S18_S1C_S1E_T6_T7_T9_mT8_S1G_bDpT10_ENKUlT_T0_E_clISt17integral_constantIbLb0EES1U_EEDaS1P_S1Q_EUlS1P_E_NS1_11comp_targetILNS1_3genE9ELNS1_11target_archE1100ELNS1_3gpuE3ELNS1_3repE0EEENS1_30default_config_static_selectorELNS0_4arch9wavefront6targetE0EEEvS12_,@function
_ZN7rocprim17ROCPRIM_400000_NS6detail17trampoline_kernelINS0_13select_configILj256ELj13ELNS0_17block_load_methodE3ELS4_3ELS4_3ELNS0_20block_scan_algorithmE0ELj4294967295EEENS1_25partition_config_selectorILNS1_17partition_subalgoE4EjNS0_10empty_typeEbEEZZNS1_14partition_implILS8_4ELb0ES6_15HIP_vector_typeIjLj2EENS0_17counting_iteratorIjlEEPS9_SG_NS0_5tupleIJPjSI_NS0_16reverse_iteratorISI_EEEEENSH_IJSG_SG_SG_EEES9_SI_JZNS1_25segmented_radix_sort_implINS0_14default_configELb0EPKaPaPKlPlN2at6native12_GLOBAL__N_18offset_tEEE10hipError_tPvRmT1_PNSt15iterator_traitsIS12_E10value_typeET2_T3_PNS13_IS18_E10value_typeET4_jRbjT5_S1E_jjP12ihipStream_tbEUljE_ZNSN_ISO_Lb0ESQ_SR_ST_SU_SY_EESZ_S10_S11_S12_S16_S17_S18_S1B_S1C_jS1D_jS1E_S1E_jjS1G_bEUljE0_EEESZ_S10_S11_S18_S1C_S1E_T6_T7_T9_mT8_S1G_bDpT10_ENKUlT_T0_E_clISt17integral_constantIbLb0EES1U_EEDaS1P_S1Q_EUlS1P_E_NS1_11comp_targetILNS1_3genE9ELNS1_11target_archE1100ELNS1_3gpuE3ELNS1_3repE0EEENS1_30default_config_static_selectorELNS0_4arch9wavefront6targetE0EEEvS12_: ; @_ZN7rocprim17ROCPRIM_400000_NS6detail17trampoline_kernelINS0_13select_configILj256ELj13ELNS0_17block_load_methodE3ELS4_3ELS4_3ELNS0_20block_scan_algorithmE0ELj4294967295EEENS1_25partition_config_selectorILNS1_17partition_subalgoE4EjNS0_10empty_typeEbEEZZNS1_14partition_implILS8_4ELb0ES6_15HIP_vector_typeIjLj2EENS0_17counting_iteratorIjlEEPS9_SG_NS0_5tupleIJPjSI_NS0_16reverse_iteratorISI_EEEEENSH_IJSG_SG_SG_EEES9_SI_JZNS1_25segmented_radix_sort_implINS0_14default_configELb0EPKaPaPKlPlN2at6native12_GLOBAL__N_18offset_tEEE10hipError_tPvRmT1_PNSt15iterator_traitsIS12_E10value_typeET2_T3_PNS13_IS18_E10value_typeET4_jRbjT5_S1E_jjP12ihipStream_tbEUljE_ZNSN_ISO_Lb0ESQ_SR_ST_SU_SY_EESZ_S10_S11_S12_S16_S17_S18_S1B_S1C_jS1D_jS1E_S1E_jjS1G_bEUljE0_EEESZ_S10_S11_S18_S1C_S1E_T6_T7_T9_mT8_S1G_bDpT10_ENKUlT_T0_E_clISt17integral_constantIbLb0EES1U_EEDaS1P_S1Q_EUlS1P_E_NS1_11comp_targetILNS1_3genE9ELNS1_11target_archE1100ELNS1_3gpuE3ELNS1_3repE0EEENS1_30default_config_static_selectorELNS0_4arch9wavefront6targetE0EEEvS12_
; %bb.0:
	.section	.rodata,"a",@progbits
	.p2align	6, 0x0
	.amdhsa_kernel _ZN7rocprim17ROCPRIM_400000_NS6detail17trampoline_kernelINS0_13select_configILj256ELj13ELNS0_17block_load_methodE3ELS4_3ELS4_3ELNS0_20block_scan_algorithmE0ELj4294967295EEENS1_25partition_config_selectorILNS1_17partition_subalgoE4EjNS0_10empty_typeEbEEZZNS1_14partition_implILS8_4ELb0ES6_15HIP_vector_typeIjLj2EENS0_17counting_iteratorIjlEEPS9_SG_NS0_5tupleIJPjSI_NS0_16reverse_iteratorISI_EEEEENSH_IJSG_SG_SG_EEES9_SI_JZNS1_25segmented_radix_sort_implINS0_14default_configELb0EPKaPaPKlPlN2at6native12_GLOBAL__N_18offset_tEEE10hipError_tPvRmT1_PNSt15iterator_traitsIS12_E10value_typeET2_T3_PNS13_IS18_E10value_typeET4_jRbjT5_S1E_jjP12ihipStream_tbEUljE_ZNSN_ISO_Lb0ESQ_SR_ST_SU_SY_EESZ_S10_S11_S12_S16_S17_S18_S1B_S1C_jS1D_jS1E_S1E_jjS1G_bEUljE0_EEESZ_S10_S11_S18_S1C_S1E_T6_T7_T9_mT8_S1G_bDpT10_ENKUlT_T0_E_clISt17integral_constantIbLb0EES1U_EEDaS1P_S1Q_EUlS1P_E_NS1_11comp_targetILNS1_3genE9ELNS1_11target_archE1100ELNS1_3gpuE3ELNS1_3repE0EEENS1_30default_config_static_selectorELNS0_4arch9wavefront6targetE0EEEvS12_
		.amdhsa_group_segment_fixed_size 0
		.amdhsa_private_segment_fixed_size 0
		.amdhsa_kernarg_size 176
		.amdhsa_user_sgpr_count 6
		.amdhsa_user_sgpr_private_segment_buffer 1
		.amdhsa_user_sgpr_dispatch_ptr 0
		.amdhsa_user_sgpr_queue_ptr 0
		.amdhsa_user_sgpr_kernarg_segment_ptr 1
		.amdhsa_user_sgpr_dispatch_id 0
		.amdhsa_user_sgpr_flat_scratch_init 0
		.amdhsa_user_sgpr_private_segment_size 0
		.amdhsa_wavefront_size32 1
		.amdhsa_uses_dynamic_stack 0
		.amdhsa_system_sgpr_private_segment_wavefront_offset 0
		.amdhsa_system_sgpr_workgroup_id_x 1
		.amdhsa_system_sgpr_workgroup_id_y 0
		.amdhsa_system_sgpr_workgroup_id_z 0
		.amdhsa_system_sgpr_workgroup_info 0
		.amdhsa_system_vgpr_workitem_id 0
		.amdhsa_next_free_vgpr 1
		.amdhsa_next_free_sgpr 1
		.amdhsa_reserve_vcc 0
		.amdhsa_reserve_flat_scratch 0
		.amdhsa_float_round_mode_32 0
		.amdhsa_float_round_mode_16_64 0
		.amdhsa_float_denorm_mode_32 3
		.amdhsa_float_denorm_mode_16_64 3
		.amdhsa_dx10_clamp 1
		.amdhsa_ieee_mode 1
		.amdhsa_fp16_overflow 0
		.amdhsa_workgroup_processor_mode 1
		.amdhsa_memory_ordered 1
		.amdhsa_forward_progress 1
		.amdhsa_shared_vgpr_count 0
		.amdhsa_exception_fp_ieee_invalid_op 0
		.amdhsa_exception_fp_denorm_src 0
		.amdhsa_exception_fp_ieee_div_zero 0
		.amdhsa_exception_fp_ieee_overflow 0
		.amdhsa_exception_fp_ieee_underflow 0
		.amdhsa_exception_fp_ieee_inexact 0
		.amdhsa_exception_int_div_zero 0
	.end_amdhsa_kernel
	.section	.text._ZN7rocprim17ROCPRIM_400000_NS6detail17trampoline_kernelINS0_13select_configILj256ELj13ELNS0_17block_load_methodE3ELS4_3ELS4_3ELNS0_20block_scan_algorithmE0ELj4294967295EEENS1_25partition_config_selectorILNS1_17partition_subalgoE4EjNS0_10empty_typeEbEEZZNS1_14partition_implILS8_4ELb0ES6_15HIP_vector_typeIjLj2EENS0_17counting_iteratorIjlEEPS9_SG_NS0_5tupleIJPjSI_NS0_16reverse_iteratorISI_EEEEENSH_IJSG_SG_SG_EEES9_SI_JZNS1_25segmented_radix_sort_implINS0_14default_configELb0EPKaPaPKlPlN2at6native12_GLOBAL__N_18offset_tEEE10hipError_tPvRmT1_PNSt15iterator_traitsIS12_E10value_typeET2_T3_PNS13_IS18_E10value_typeET4_jRbjT5_S1E_jjP12ihipStream_tbEUljE_ZNSN_ISO_Lb0ESQ_SR_ST_SU_SY_EESZ_S10_S11_S12_S16_S17_S18_S1B_S1C_jS1D_jS1E_S1E_jjS1G_bEUljE0_EEESZ_S10_S11_S18_S1C_S1E_T6_T7_T9_mT8_S1G_bDpT10_ENKUlT_T0_E_clISt17integral_constantIbLb0EES1U_EEDaS1P_S1Q_EUlS1P_E_NS1_11comp_targetILNS1_3genE9ELNS1_11target_archE1100ELNS1_3gpuE3ELNS1_3repE0EEENS1_30default_config_static_selectorELNS0_4arch9wavefront6targetE0EEEvS12_,"axG",@progbits,_ZN7rocprim17ROCPRIM_400000_NS6detail17trampoline_kernelINS0_13select_configILj256ELj13ELNS0_17block_load_methodE3ELS4_3ELS4_3ELNS0_20block_scan_algorithmE0ELj4294967295EEENS1_25partition_config_selectorILNS1_17partition_subalgoE4EjNS0_10empty_typeEbEEZZNS1_14partition_implILS8_4ELb0ES6_15HIP_vector_typeIjLj2EENS0_17counting_iteratorIjlEEPS9_SG_NS0_5tupleIJPjSI_NS0_16reverse_iteratorISI_EEEEENSH_IJSG_SG_SG_EEES9_SI_JZNS1_25segmented_radix_sort_implINS0_14default_configELb0EPKaPaPKlPlN2at6native12_GLOBAL__N_18offset_tEEE10hipError_tPvRmT1_PNSt15iterator_traitsIS12_E10value_typeET2_T3_PNS13_IS18_E10value_typeET4_jRbjT5_S1E_jjP12ihipStream_tbEUljE_ZNSN_ISO_Lb0ESQ_SR_ST_SU_SY_EESZ_S10_S11_S12_S16_S17_S18_S1B_S1C_jS1D_jS1E_S1E_jjS1G_bEUljE0_EEESZ_S10_S11_S18_S1C_S1E_T6_T7_T9_mT8_S1G_bDpT10_ENKUlT_T0_E_clISt17integral_constantIbLb0EES1U_EEDaS1P_S1Q_EUlS1P_E_NS1_11comp_targetILNS1_3genE9ELNS1_11target_archE1100ELNS1_3gpuE3ELNS1_3repE0EEENS1_30default_config_static_selectorELNS0_4arch9wavefront6targetE0EEEvS12_,comdat
.Lfunc_end332:
	.size	_ZN7rocprim17ROCPRIM_400000_NS6detail17trampoline_kernelINS0_13select_configILj256ELj13ELNS0_17block_load_methodE3ELS4_3ELS4_3ELNS0_20block_scan_algorithmE0ELj4294967295EEENS1_25partition_config_selectorILNS1_17partition_subalgoE4EjNS0_10empty_typeEbEEZZNS1_14partition_implILS8_4ELb0ES6_15HIP_vector_typeIjLj2EENS0_17counting_iteratorIjlEEPS9_SG_NS0_5tupleIJPjSI_NS0_16reverse_iteratorISI_EEEEENSH_IJSG_SG_SG_EEES9_SI_JZNS1_25segmented_radix_sort_implINS0_14default_configELb0EPKaPaPKlPlN2at6native12_GLOBAL__N_18offset_tEEE10hipError_tPvRmT1_PNSt15iterator_traitsIS12_E10value_typeET2_T3_PNS13_IS18_E10value_typeET4_jRbjT5_S1E_jjP12ihipStream_tbEUljE_ZNSN_ISO_Lb0ESQ_SR_ST_SU_SY_EESZ_S10_S11_S12_S16_S17_S18_S1B_S1C_jS1D_jS1E_S1E_jjS1G_bEUljE0_EEESZ_S10_S11_S18_S1C_S1E_T6_T7_T9_mT8_S1G_bDpT10_ENKUlT_T0_E_clISt17integral_constantIbLb0EES1U_EEDaS1P_S1Q_EUlS1P_E_NS1_11comp_targetILNS1_3genE9ELNS1_11target_archE1100ELNS1_3gpuE3ELNS1_3repE0EEENS1_30default_config_static_selectorELNS0_4arch9wavefront6targetE0EEEvS12_, .Lfunc_end332-_ZN7rocprim17ROCPRIM_400000_NS6detail17trampoline_kernelINS0_13select_configILj256ELj13ELNS0_17block_load_methodE3ELS4_3ELS4_3ELNS0_20block_scan_algorithmE0ELj4294967295EEENS1_25partition_config_selectorILNS1_17partition_subalgoE4EjNS0_10empty_typeEbEEZZNS1_14partition_implILS8_4ELb0ES6_15HIP_vector_typeIjLj2EENS0_17counting_iteratorIjlEEPS9_SG_NS0_5tupleIJPjSI_NS0_16reverse_iteratorISI_EEEEENSH_IJSG_SG_SG_EEES9_SI_JZNS1_25segmented_radix_sort_implINS0_14default_configELb0EPKaPaPKlPlN2at6native12_GLOBAL__N_18offset_tEEE10hipError_tPvRmT1_PNSt15iterator_traitsIS12_E10value_typeET2_T3_PNS13_IS18_E10value_typeET4_jRbjT5_S1E_jjP12ihipStream_tbEUljE_ZNSN_ISO_Lb0ESQ_SR_ST_SU_SY_EESZ_S10_S11_S12_S16_S17_S18_S1B_S1C_jS1D_jS1E_S1E_jjS1G_bEUljE0_EEESZ_S10_S11_S18_S1C_S1E_T6_T7_T9_mT8_S1G_bDpT10_ENKUlT_T0_E_clISt17integral_constantIbLb0EES1U_EEDaS1P_S1Q_EUlS1P_E_NS1_11comp_targetILNS1_3genE9ELNS1_11target_archE1100ELNS1_3gpuE3ELNS1_3repE0EEENS1_30default_config_static_selectorELNS0_4arch9wavefront6targetE0EEEvS12_
                                        ; -- End function
	.set _ZN7rocprim17ROCPRIM_400000_NS6detail17trampoline_kernelINS0_13select_configILj256ELj13ELNS0_17block_load_methodE3ELS4_3ELS4_3ELNS0_20block_scan_algorithmE0ELj4294967295EEENS1_25partition_config_selectorILNS1_17partition_subalgoE4EjNS0_10empty_typeEbEEZZNS1_14partition_implILS8_4ELb0ES6_15HIP_vector_typeIjLj2EENS0_17counting_iteratorIjlEEPS9_SG_NS0_5tupleIJPjSI_NS0_16reverse_iteratorISI_EEEEENSH_IJSG_SG_SG_EEES9_SI_JZNS1_25segmented_radix_sort_implINS0_14default_configELb0EPKaPaPKlPlN2at6native12_GLOBAL__N_18offset_tEEE10hipError_tPvRmT1_PNSt15iterator_traitsIS12_E10value_typeET2_T3_PNS13_IS18_E10value_typeET4_jRbjT5_S1E_jjP12ihipStream_tbEUljE_ZNSN_ISO_Lb0ESQ_SR_ST_SU_SY_EESZ_S10_S11_S12_S16_S17_S18_S1B_S1C_jS1D_jS1E_S1E_jjS1G_bEUljE0_EEESZ_S10_S11_S18_S1C_S1E_T6_T7_T9_mT8_S1G_bDpT10_ENKUlT_T0_E_clISt17integral_constantIbLb0EES1U_EEDaS1P_S1Q_EUlS1P_E_NS1_11comp_targetILNS1_3genE9ELNS1_11target_archE1100ELNS1_3gpuE3ELNS1_3repE0EEENS1_30default_config_static_selectorELNS0_4arch9wavefront6targetE0EEEvS12_.num_vgpr, 0
	.set _ZN7rocprim17ROCPRIM_400000_NS6detail17trampoline_kernelINS0_13select_configILj256ELj13ELNS0_17block_load_methodE3ELS4_3ELS4_3ELNS0_20block_scan_algorithmE0ELj4294967295EEENS1_25partition_config_selectorILNS1_17partition_subalgoE4EjNS0_10empty_typeEbEEZZNS1_14partition_implILS8_4ELb0ES6_15HIP_vector_typeIjLj2EENS0_17counting_iteratorIjlEEPS9_SG_NS0_5tupleIJPjSI_NS0_16reverse_iteratorISI_EEEEENSH_IJSG_SG_SG_EEES9_SI_JZNS1_25segmented_radix_sort_implINS0_14default_configELb0EPKaPaPKlPlN2at6native12_GLOBAL__N_18offset_tEEE10hipError_tPvRmT1_PNSt15iterator_traitsIS12_E10value_typeET2_T3_PNS13_IS18_E10value_typeET4_jRbjT5_S1E_jjP12ihipStream_tbEUljE_ZNSN_ISO_Lb0ESQ_SR_ST_SU_SY_EESZ_S10_S11_S12_S16_S17_S18_S1B_S1C_jS1D_jS1E_S1E_jjS1G_bEUljE0_EEESZ_S10_S11_S18_S1C_S1E_T6_T7_T9_mT8_S1G_bDpT10_ENKUlT_T0_E_clISt17integral_constantIbLb0EES1U_EEDaS1P_S1Q_EUlS1P_E_NS1_11comp_targetILNS1_3genE9ELNS1_11target_archE1100ELNS1_3gpuE3ELNS1_3repE0EEENS1_30default_config_static_selectorELNS0_4arch9wavefront6targetE0EEEvS12_.num_agpr, 0
	.set _ZN7rocprim17ROCPRIM_400000_NS6detail17trampoline_kernelINS0_13select_configILj256ELj13ELNS0_17block_load_methodE3ELS4_3ELS4_3ELNS0_20block_scan_algorithmE0ELj4294967295EEENS1_25partition_config_selectorILNS1_17partition_subalgoE4EjNS0_10empty_typeEbEEZZNS1_14partition_implILS8_4ELb0ES6_15HIP_vector_typeIjLj2EENS0_17counting_iteratorIjlEEPS9_SG_NS0_5tupleIJPjSI_NS0_16reverse_iteratorISI_EEEEENSH_IJSG_SG_SG_EEES9_SI_JZNS1_25segmented_radix_sort_implINS0_14default_configELb0EPKaPaPKlPlN2at6native12_GLOBAL__N_18offset_tEEE10hipError_tPvRmT1_PNSt15iterator_traitsIS12_E10value_typeET2_T3_PNS13_IS18_E10value_typeET4_jRbjT5_S1E_jjP12ihipStream_tbEUljE_ZNSN_ISO_Lb0ESQ_SR_ST_SU_SY_EESZ_S10_S11_S12_S16_S17_S18_S1B_S1C_jS1D_jS1E_S1E_jjS1G_bEUljE0_EEESZ_S10_S11_S18_S1C_S1E_T6_T7_T9_mT8_S1G_bDpT10_ENKUlT_T0_E_clISt17integral_constantIbLb0EES1U_EEDaS1P_S1Q_EUlS1P_E_NS1_11comp_targetILNS1_3genE9ELNS1_11target_archE1100ELNS1_3gpuE3ELNS1_3repE0EEENS1_30default_config_static_selectorELNS0_4arch9wavefront6targetE0EEEvS12_.numbered_sgpr, 0
	.set _ZN7rocprim17ROCPRIM_400000_NS6detail17trampoline_kernelINS0_13select_configILj256ELj13ELNS0_17block_load_methodE3ELS4_3ELS4_3ELNS0_20block_scan_algorithmE0ELj4294967295EEENS1_25partition_config_selectorILNS1_17partition_subalgoE4EjNS0_10empty_typeEbEEZZNS1_14partition_implILS8_4ELb0ES6_15HIP_vector_typeIjLj2EENS0_17counting_iteratorIjlEEPS9_SG_NS0_5tupleIJPjSI_NS0_16reverse_iteratorISI_EEEEENSH_IJSG_SG_SG_EEES9_SI_JZNS1_25segmented_radix_sort_implINS0_14default_configELb0EPKaPaPKlPlN2at6native12_GLOBAL__N_18offset_tEEE10hipError_tPvRmT1_PNSt15iterator_traitsIS12_E10value_typeET2_T3_PNS13_IS18_E10value_typeET4_jRbjT5_S1E_jjP12ihipStream_tbEUljE_ZNSN_ISO_Lb0ESQ_SR_ST_SU_SY_EESZ_S10_S11_S12_S16_S17_S18_S1B_S1C_jS1D_jS1E_S1E_jjS1G_bEUljE0_EEESZ_S10_S11_S18_S1C_S1E_T6_T7_T9_mT8_S1G_bDpT10_ENKUlT_T0_E_clISt17integral_constantIbLb0EES1U_EEDaS1P_S1Q_EUlS1P_E_NS1_11comp_targetILNS1_3genE9ELNS1_11target_archE1100ELNS1_3gpuE3ELNS1_3repE0EEENS1_30default_config_static_selectorELNS0_4arch9wavefront6targetE0EEEvS12_.num_named_barrier, 0
	.set _ZN7rocprim17ROCPRIM_400000_NS6detail17trampoline_kernelINS0_13select_configILj256ELj13ELNS0_17block_load_methodE3ELS4_3ELS4_3ELNS0_20block_scan_algorithmE0ELj4294967295EEENS1_25partition_config_selectorILNS1_17partition_subalgoE4EjNS0_10empty_typeEbEEZZNS1_14partition_implILS8_4ELb0ES6_15HIP_vector_typeIjLj2EENS0_17counting_iteratorIjlEEPS9_SG_NS0_5tupleIJPjSI_NS0_16reverse_iteratorISI_EEEEENSH_IJSG_SG_SG_EEES9_SI_JZNS1_25segmented_radix_sort_implINS0_14default_configELb0EPKaPaPKlPlN2at6native12_GLOBAL__N_18offset_tEEE10hipError_tPvRmT1_PNSt15iterator_traitsIS12_E10value_typeET2_T3_PNS13_IS18_E10value_typeET4_jRbjT5_S1E_jjP12ihipStream_tbEUljE_ZNSN_ISO_Lb0ESQ_SR_ST_SU_SY_EESZ_S10_S11_S12_S16_S17_S18_S1B_S1C_jS1D_jS1E_S1E_jjS1G_bEUljE0_EEESZ_S10_S11_S18_S1C_S1E_T6_T7_T9_mT8_S1G_bDpT10_ENKUlT_T0_E_clISt17integral_constantIbLb0EES1U_EEDaS1P_S1Q_EUlS1P_E_NS1_11comp_targetILNS1_3genE9ELNS1_11target_archE1100ELNS1_3gpuE3ELNS1_3repE0EEENS1_30default_config_static_selectorELNS0_4arch9wavefront6targetE0EEEvS12_.private_seg_size, 0
	.set _ZN7rocprim17ROCPRIM_400000_NS6detail17trampoline_kernelINS0_13select_configILj256ELj13ELNS0_17block_load_methodE3ELS4_3ELS4_3ELNS0_20block_scan_algorithmE0ELj4294967295EEENS1_25partition_config_selectorILNS1_17partition_subalgoE4EjNS0_10empty_typeEbEEZZNS1_14partition_implILS8_4ELb0ES6_15HIP_vector_typeIjLj2EENS0_17counting_iteratorIjlEEPS9_SG_NS0_5tupleIJPjSI_NS0_16reverse_iteratorISI_EEEEENSH_IJSG_SG_SG_EEES9_SI_JZNS1_25segmented_radix_sort_implINS0_14default_configELb0EPKaPaPKlPlN2at6native12_GLOBAL__N_18offset_tEEE10hipError_tPvRmT1_PNSt15iterator_traitsIS12_E10value_typeET2_T3_PNS13_IS18_E10value_typeET4_jRbjT5_S1E_jjP12ihipStream_tbEUljE_ZNSN_ISO_Lb0ESQ_SR_ST_SU_SY_EESZ_S10_S11_S12_S16_S17_S18_S1B_S1C_jS1D_jS1E_S1E_jjS1G_bEUljE0_EEESZ_S10_S11_S18_S1C_S1E_T6_T7_T9_mT8_S1G_bDpT10_ENKUlT_T0_E_clISt17integral_constantIbLb0EES1U_EEDaS1P_S1Q_EUlS1P_E_NS1_11comp_targetILNS1_3genE9ELNS1_11target_archE1100ELNS1_3gpuE3ELNS1_3repE0EEENS1_30default_config_static_selectorELNS0_4arch9wavefront6targetE0EEEvS12_.uses_vcc, 0
	.set _ZN7rocprim17ROCPRIM_400000_NS6detail17trampoline_kernelINS0_13select_configILj256ELj13ELNS0_17block_load_methodE3ELS4_3ELS4_3ELNS0_20block_scan_algorithmE0ELj4294967295EEENS1_25partition_config_selectorILNS1_17partition_subalgoE4EjNS0_10empty_typeEbEEZZNS1_14partition_implILS8_4ELb0ES6_15HIP_vector_typeIjLj2EENS0_17counting_iteratorIjlEEPS9_SG_NS0_5tupleIJPjSI_NS0_16reverse_iteratorISI_EEEEENSH_IJSG_SG_SG_EEES9_SI_JZNS1_25segmented_radix_sort_implINS0_14default_configELb0EPKaPaPKlPlN2at6native12_GLOBAL__N_18offset_tEEE10hipError_tPvRmT1_PNSt15iterator_traitsIS12_E10value_typeET2_T3_PNS13_IS18_E10value_typeET4_jRbjT5_S1E_jjP12ihipStream_tbEUljE_ZNSN_ISO_Lb0ESQ_SR_ST_SU_SY_EESZ_S10_S11_S12_S16_S17_S18_S1B_S1C_jS1D_jS1E_S1E_jjS1G_bEUljE0_EEESZ_S10_S11_S18_S1C_S1E_T6_T7_T9_mT8_S1G_bDpT10_ENKUlT_T0_E_clISt17integral_constantIbLb0EES1U_EEDaS1P_S1Q_EUlS1P_E_NS1_11comp_targetILNS1_3genE9ELNS1_11target_archE1100ELNS1_3gpuE3ELNS1_3repE0EEENS1_30default_config_static_selectorELNS0_4arch9wavefront6targetE0EEEvS12_.uses_flat_scratch, 0
	.set _ZN7rocprim17ROCPRIM_400000_NS6detail17trampoline_kernelINS0_13select_configILj256ELj13ELNS0_17block_load_methodE3ELS4_3ELS4_3ELNS0_20block_scan_algorithmE0ELj4294967295EEENS1_25partition_config_selectorILNS1_17partition_subalgoE4EjNS0_10empty_typeEbEEZZNS1_14partition_implILS8_4ELb0ES6_15HIP_vector_typeIjLj2EENS0_17counting_iteratorIjlEEPS9_SG_NS0_5tupleIJPjSI_NS0_16reverse_iteratorISI_EEEEENSH_IJSG_SG_SG_EEES9_SI_JZNS1_25segmented_radix_sort_implINS0_14default_configELb0EPKaPaPKlPlN2at6native12_GLOBAL__N_18offset_tEEE10hipError_tPvRmT1_PNSt15iterator_traitsIS12_E10value_typeET2_T3_PNS13_IS18_E10value_typeET4_jRbjT5_S1E_jjP12ihipStream_tbEUljE_ZNSN_ISO_Lb0ESQ_SR_ST_SU_SY_EESZ_S10_S11_S12_S16_S17_S18_S1B_S1C_jS1D_jS1E_S1E_jjS1G_bEUljE0_EEESZ_S10_S11_S18_S1C_S1E_T6_T7_T9_mT8_S1G_bDpT10_ENKUlT_T0_E_clISt17integral_constantIbLb0EES1U_EEDaS1P_S1Q_EUlS1P_E_NS1_11comp_targetILNS1_3genE9ELNS1_11target_archE1100ELNS1_3gpuE3ELNS1_3repE0EEENS1_30default_config_static_selectorELNS0_4arch9wavefront6targetE0EEEvS12_.has_dyn_sized_stack, 0
	.set _ZN7rocprim17ROCPRIM_400000_NS6detail17trampoline_kernelINS0_13select_configILj256ELj13ELNS0_17block_load_methodE3ELS4_3ELS4_3ELNS0_20block_scan_algorithmE0ELj4294967295EEENS1_25partition_config_selectorILNS1_17partition_subalgoE4EjNS0_10empty_typeEbEEZZNS1_14partition_implILS8_4ELb0ES6_15HIP_vector_typeIjLj2EENS0_17counting_iteratorIjlEEPS9_SG_NS0_5tupleIJPjSI_NS0_16reverse_iteratorISI_EEEEENSH_IJSG_SG_SG_EEES9_SI_JZNS1_25segmented_radix_sort_implINS0_14default_configELb0EPKaPaPKlPlN2at6native12_GLOBAL__N_18offset_tEEE10hipError_tPvRmT1_PNSt15iterator_traitsIS12_E10value_typeET2_T3_PNS13_IS18_E10value_typeET4_jRbjT5_S1E_jjP12ihipStream_tbEUljE_ZNSN_ISO_Lb0ESQ_SR_ST_SU_SY_EESZ_S10_S11_S12_S16_S17_S18_S1B_S1C_jS1D_jS1E_S1E_jjS1G_bEUljE0_EEESZ_S10_S11_S18_S1C_S1E_T6_T7_T9_mT8_S1G_bDpT10_ENKUlT_T0_E_clISt17integral_constantIbLb0EES1U_EEDaS1P_S1Q_EUlS1P_E_NS1_11comp_targetILNS1_3genE9ELNS1_11target_archE1100ELNS1_3gpuE3ELNS1_3repE0EEENS1_30default_config_static_selectorELNS0_4arch9wavefront6targetE0EEEvS12_.has_recursion, 0
	.set _ZN7rocprim17ROCPRIM_400000_NS6detail17trampoline_kernelINS0_13select_configILj256ELj13ELNS0_17block_load_methodE3ELS4_3ELS4_3ELNS0_20block_scan_algorithmE0ELj4294967295EEENS1_25partition_config_selectorILNS1_17partition_subalgoE4EjNS0_10empty_typeEbEEZZNS1_14partition_implILS8_4ELb0ES6_15HIP_vector_typeIjLj2EENS0_17counting_iteratorIjlEEPS9_SG_NS0_5tupleIJPjSI_NS0_16reverse_iteratorISI_EEEEENSH_IJSG_SG_SG_EEES9_SI_JZNS1_25segmented_radix_sort_implINS0_14default_configELb0EPKaPaPKlPlN2at6native12_GLOBAL__N_18offset_tEEE10hipError_tPvRmT1_PNSt15iterator_traitsIS12_E10value_typeET2_T3_PNS13_IS18_E10value_typeET4_jRbjT5_S1E_jjP12ihipStream_tbEUljE_ZNSN_ISO_Lb0ESQ_SR_ST_SU_SY_EESZ_S10_S11_S12_S16_S17_S18_S1B_S1C_jS1D_jS1E_S1E_jjS1G_bEUljE0_EEESZ_S10_S11_S18_S1C_S1E_T6_T7_T9_mT8_S1G_bDpT10_ENKUlT_T0_E_clISt17integral_constantIbLb0EES1U_EEDaS1P_S1Q_EUlS1P_E_NS1_11comp_targetILNS1_3genE9ELNS1_11target_archE1100ELNS1_3gpuE3ELNS1_3repE0EEENS1_30default_config_static_selectorELNS0_4arch9wavefront6targetE0EEEvS12_.has_indirect_call, 0
	.section	.AMDGPU.csdata,"",@progbits
; Kernel info:
; codeLenInByte = 0
; TotalNumSgprs: 0
; NumVgprs: 0
; ScratchSize: 0
; MemoryBound: 0
; FloatMode: 240
; IeeeMode: 1
; LDSByteSize: 0 bytes/workgroup (compile time only)
; SGPRBlocks: 0
; VGPRBlocks: 0
; NumSGPRsForWavesPerEU: 1
; NumVGPRsForWavesPerEU: 1
; Occupancy: 16
; WaveLimiterHint : 0
; COMPUTE_PGM_RSRC2:SCRATCH_EN: 0
; COMPUTE_PGM_RSRC2:USER_SGPR: 6
; COMPUTE_PGM_RSRC2:TRAP_HANDLER: 0
; COMPUTE_PGM_RSRC2:TGID_X_EN: 1
; COMPUTE_PGM_RSRC2:TGID_Y_EN: 0
; COMPUTE_PGM_RSRC2:TGID_Z_EN: 0
; COMPUTE_PGM_RSRC2:TIDIG_COMP_CNT: 0
	.section	.text._ZN7rocprim17ROCPRIM_400000_NS6detail17trampoline_kernelINS0_13select_configILj256ELj13ELNS0_17block_load_methodE3ELS4_3ELS4_3ELNS0_20block_scan_algorithmE0ELj4294967295EEENS1_25partition_config_selectorILNS1_17partition_subalgoE4EjNS0_10empty_typeEbEEZZNS1_14partition_implILS8_4ELb0ES6_15HIP_vector_typeIjLj2EENS0_17counting_iteratorIjlEEPS9_SG_NS0_5tupleIJPjSI_NS0_16reverse_iteratorISI_EEEEENSH_IJSG_SG_SG_EEES9_SI_JZNS1_25segmented_radix_sort_implINS0_14default_configELb0EPKaPaPKlPlN2at6native12_GLOBAL__N_18offset_tEEE10hipError_tPvRmT1_PNSt15iterator_traitsIS12_E10value_typeET2_T3_PNS13_IS18_E10value_typeET4_jRbjT5_S1E_jjP12ihipStream_tbEUljE_ZNSN_ISO_Lb0ESQ_SR_ST_SU_SY_EESZ_S10_S11_S12_S16_S17_S18_S1B_S1C_jS1D_jS1E_S1E_jjS1G_bEUljE0_EEESZ_S10_S11_S18_S1C_S1E_T6_T7_T9_mT8_S1G_bDpT10_ENKUlT_T0_E_clISt17integral_constantIbLb0EES1U_EEDaS1P_S1Q_EUlS1P_E_NS1_11comp_targetILNS1_3genE8ELNS1_11target_archE1030ELNS1_3gpuE2ELNS1_3repE0EEENS1_30default_config_static_selectorELNS0_4arch9wavefront6targetE0EEEvS12_,"axG",@progbits,_ZN7rocprim17ROCPRIM_400000_NS6detail17trampoline_kernelINS0_13select_configILj256ELj13ELNS0_17block_load_methodE3ELS4_3ELS4_3ELNS0_20block_scan_algorithmE0ELj4294967295EEENS1_25partition_config_selectorILNS1_17partition_subalgoE4EjNS0_10empty_typeEbEEZZNS1_14partition_implILS8_4ELb0ES6_15HIP_vector_typeIjLj2EENS0_17counting_iteratorIjlEEPS9_SG_NS0_5tupleIJPjSI_NS0_16reverse_iteratorISI_EEEEENSH_IJSG_SG_SG_EEES9_SI_JZNS1_25segmented_radix_sort_implINS0_14default_configELb0EPKaPaPKlPlN2at6native12_GLOBAL__N_18offset_tEEE10hipError_tPvRmT1_PNSt15iterator_traitsIS12_E10value_typeET2_T3_PNS13_IS18_E10value_typeET4_jRbjT5_S1E_jjP12ihipStream_tbEUljE_ZNSN_ISO_Lb0ESQ_SR_ST_SU_SY_EESZ_S10_S11_S12_S16_S17_S18_S1B_S1C_jS1D_jS1E_S1E_jjS1G_bEUljE0_EEESZ_S10_S11_S18_S1C_S1E_T6_T7_T9_mT8_S1G_bDpT10_ENKUlT_T0_E_clISt17integral_constantIbLb0EES1U_EEDaS1P_S1Q_EUlS1P_E_NS1_11comp_targetILNS1_3genE8ELNS1_11target_archE1030ELNS1_3gpuE2ELNS1_3repE0EEENS1_30default_config_static_selectorELNS0_4arch9wavefront6targetE0EEEvS12_,comdat
	.globl	_ZN7rocprim17ROCPRIM_400000_NS6detail17trampoline_kernelINS0_13select_configILj256ELj13ELNS0_17block_load_methodE3ELS4_3ELS4_3ELNS0_20block_scan_algorithmE0ELj4294967295EEENS1_25partition_config_selectorILNS1_17partition_subalgoE4EjNS0_10empty_typeEbEEZZNS1_14partition_implILS8_4ELb0ES6_15HIP_vector_typeIjLj2EENS0_17counting_iteratorIjlEEPS9_SG_NS0_5tupleIJPjSI_NS0_16reverse_iteratorISI_EEEEENSH_IJSG_SG_SG_EEES9_SI_JZNS1_25segmented_radix_sort_implINS0_14default_configELb0EPKaPaPKlPlN2at6native12_GLOBAL__N_18offset_tEEE10hipError_tPvRmT1_PNSt15iterator_traitsIS12_E10value_typeET2_T3_PNS13_IS18_E10value_typeET4_jRbjT5_S1E_jjP12ihipStream_tbEUljE_ZNSN_ISO_Lb0ESQ_SR_ST_SU_SY_EESZ_S10_S11_S12_S16_S17_S18_S1B_S1C_jS1D_jS1E_S1E_jjS1G_bEUljE0_EEESZ_S10_S11_S18_S1C_S1E_T6_T7_T9_mT8_S1G_bDpT10_ENKUlT_T0_E_clISt17integral_constantIbLb0EES1U_EEDaS1P_S1Q_EUlS1P_E_NS1_11comp_targetILNS1_3genE8ELNS1_11target_archE1030ELNS1_3gpuE2ELNS1_3repE0EEENS1_30default_config_static_selectorELNS0_4arch9wavefront6targetE0EEEvS12_ ; -- Begin function _ZN7rocprim17ROCPRIM_400000_NS6detail17trampoline_kernelINS0_13select_configILj256ELj13ELNS0_17block_load_methodE3ELS4_3ELS4_3ELNS0_20block_scan_algorithmE0ELj4294967295EEENS1_25partition_config_selectorILNS1_17partition_subalgoE4EjNS0_10empty_typeEbEEZZNS1_14partition_implILS8_4ELb0ES6_15HIP_vector_typeIjLj2EENS0_17counting_iteratorIjlEEPS9_SG_NS0_5tupleIJPjSI_NS0_16reverse_iteratorISI_EEEEENSH_IJSG_SG_SG_EEES9_SI_JZNS1_25segmented_radix_sort_implINS0_14default_configELb0EPKaPaPKlPlN2at6native12_GLOBAL__N_18offset_tEEE10hipError_tPvRmT1_PNSt15iterator_traitsIS12_E10value_typeET2_T3_PNS13_IS18_E10value_typeET4_jRbjT5_S1E_jjP12ihipStream_tbEUljE_ZNSN_ISO_Lb0ESQ_SR_ST_SU_SY_EESZ_S10_S11_S12_S16_S17_S18_S1B_S1C_jS1D_jS1E_S1E_jjS1G_bEUljE0_EEESZ_S10_S11_S18_S1C_S1E_T6_T7_T9_mT8_S1G_bDpT10_ENKUlT_T0_E_clISt17integral_constantIbLb0EES1U_EEDaS1P_S1Q_EUlS1P_E_NS1_11comp_targetILNS1_3genE8ELNS1_11target_archE1030ELNS1_3gpuE2ELNS1_3repE0EEENS1_30default_config_static_selectorELNS0_4arch9wavefront6targetE0EEEvS12_
	.p2align	8
	.type	_ZN7rocprim17ROCPRIM_400000_NS6detail17trampoline_kernelINS0_13select_configILj256ELj13ELNS0_17block_load_methodE3ELS4_3ELS4_3ELNS0_20block_scan_algorithmE0ELj4294967295EEENS1_25partition_config_selectorILNS1_17partition_subalgoE4EjNS0_10empty_typeEbEEZZNS1_14partition_implILS8_4ELb0ES6_15HIP_vector_typeIjLj2EENS0_17counting_iteratorIjlEEPS9_SG_NS0_5tupleIJPjSI_NS0_16reverse_iteratorISI_EEEEENSH_IJSG_SG_SG_EEES9_SI_JZNS1_25segmented_radix_sort_implINS0_14default_configELb0EPKaPaPKlPlN2at6native12_GLOBAL__N_18offset_tEEE10hipError_tPvRmT1_PNSt15iterator_traitsIS12_E10value_typeET2_T3_PNS13_IS18_E10value_typeET4_jRbjT5_S1E_jjP12ihipStream_tbEUljE_ZNSN_ISO_Lb0ESQ_SR_ST_SU_SY_EESZ_S10_S11_S12_S16_S17_S18_S1B_S1C_jS1D_jS1E_S1E_jjS1G_bEUljE0_EEESZ_S10_S11_S18_S1C_S1E_T6_T7_T9_mT8_S1G_bDpT10_ENKUlT_T0_E_clISt17integral_constantIbLb0EES1U_EEDaS1P_S1Q_EUlS1P_E_NS1_11comp_targetILNS1_3genE8ELNS1_11target_archE1030ELNS1_3gpuE2ELNS1_3repE0EEENS1_30default_config_static_selectorELNS0_4arch9wavefront6targetE0EEEvS12_,@function
_ZN7rocprim17ROCPRIM_400000_NS6detail17trampoline_kernelINS0_13select_configILj256ELj13ELNS0_17block_load_methodE3ELS4_3ELS4_3ELNS0_20block_scan_algorithmE0ELj4294967295EEENS1_25partition_config_selectorILNS1_17partition_subalgoE4EjNS0_10empty_typeEbEEZZNS1_14partition_implILS8_4ELb0ES6_15HIP_vector_typeIjLj2EENS0_17counting_iteratorIjlEEPS9_SG_NS0_5tupleIJPjSI_NS0_16reverse_iteratorISI_EEEEENSH_IJSG_SG_SG_EEES9_SI_JZNS1_25segmented_radix_sort_implINS0_14default_configELb0EPKaPaPKlPlN2at6native12_GLOBAL__N_18offset_tEEE10hipError_tPvRmT1_PNSt15iterator_traitsIS12_E10value_typeET2_T3_PNS13_IS18_E10value_typeET4_jRbjT5_S1E_jjP12ihipStream_tbEUljE_ZNSN_ISO_Lb0ESQ_SR_ST_SU_SY_EESZ_S10_S11_S12_S16_S17_S18_S1B_S1C_jS1D_jS1E_S1E_jjS1G_bEUljE0_EEESZ_S10_S11_S18_S1C_S1E_T6_T7_T9_mT8_S1G_bDpT10_ENKUlT_T0_E_clISt17integral_constantIbLb0EES1U_EEDaS1P_S1Q_EUlS1P_E_NS1_11comp_targetILNS1_3genE8ELNS1_11target_archE1030ELNS1_3gpuE2ELNS1_3repE0EEENS1_30default_config_static_selectorELNS0_4arch9wavefront6targetE0EEEvS12_: ; @_ZN7rocprim17ROCPRIM_400000_NS6detail17trampoline_kernelINS0_13select_configILj256ELj13ELNS0_17block_load_methodE3ELS4_3ELS4_3ELNS0_20block_scan_algorithmE0ELj4294967295EEENS1_25partition_config_selectorILNS1_17partition_subalgoE4EjNS0_10empty_typeEbEEZZNS1_14partition_implILS8_4ELb0ES6_15HIP_vector_typeIjLj2EENS0_17counting_iteratorIjlEEPS9_SG_NS0_5tupleIJPjSI_NS0_16reverse_iteratorISI_EEEEENSH_IJSG_SG_SG_EEES9_SI_JZNS1_25segmented_radix_sort_implINS0_14default_configELb0EPKaPaPKlPlN2at6native12_GLOBAL__N_18offset_tEEE10hipError_tPvRmT1_PNSt15iterator_traitsIS12_E10value_typeET2_T3_PNS13_IS18_E10value_typeET4_jRbjT5_S1E_jjP12ihipStream_tbEUljE_ZNSN_ISO_Lb0ESQ_SR_ST_SU_SY_EESZ_S10_S11_S12_S16_S17_S18_S1B_S1C_jS1D_jS1E_S1E_jjS1G_bEUljE0_EEESZ_S10_S11_S18_S1C_S1E_T6_T7_T9_mT8_S1G_bDpT10_ENKUlT_T0_E_clISt17integral_constantIbLb0EES1U_EEDaS1P_S1Q_EUlS1P_E_NS1_11comp_targetILNS1_3genE8ELNS1_11target_archE1030ELNS1_3gpuE2ELNS1_3repE0EEENS1_30default_config_static_selectorELNS0_4arch9wavefront6targetE0EEEvS12_
; %bb.0:
	s_clause 0x6
	s_load_dword s3, s[4:5], 0x80
	s_load_dwordx2 s[34:35], s[4:5], 0x10
	s_load_dwordx2 s[0:1], s[4:5], 0x68
	s_load_dword s7, s[4:5], 0x8
	s_load_dwordx4 s[24:27], s[4:5], 0x58
	s_load_dwordx2 s[40:41], s[4:5], 0xa8
	s_load_dwordx8 s[16:23], s[4:5], 0x88
	s_mul_i32 s42, s6, 0xd00
	s_waitcnt lgkmcnt(0)
	s_mul_i32 s2, s3, 0xd00
	s_add_i32 s3, s3, -1
	s_add_u32 s8, s34, s2
	s_addc_u32 s9, s35, 0
	s_load_dwordx4 s[28:31], s[26:27], 0x0
	s_cmp_eq_u32 s6, s3
	v_cmp_gt_u64_e64 s1, s[0:1], s[8:9]
	s_cselect_b32 s33, -1, 0
	s_cmp_lg_u32 s6, s3
	s_cselect_b32 s3, -1, 0
	s_add_i32 s7, s7, s42
	s_or_b32 s1, s3, s1
	s_add_i32 s7, s7, s34
	s_and_b32 vcc_lo, exec_lo, s1
	v_add_nc_u32_e32 v1, s7, v0
	s_mov_b32 s3, -1
	v_add_nc_u32_e32 v2, 0x100, v1
	v_add_nc_u32_e32 v3, 0x200, v1
	;; [unrolled: 1-line block ×12, first 2 shown]
	s_cbranch_vccz .LBB333_2
; %bb.1:
	v_lshlrev_b32_e32 v14, 2, v0
	s_mov_b32 s3, 0
	ds_write2st64_b32 v14, v1, v2 offset1:4
	ds_write2st64_b32 v14, v3, v4 offset0:8 offset1:12
	ds_write2st64_b32 v14, v5, v6 offset0:16 offset1:20
	ds_write2st64_b32 v14, v7, v8 offset0:24 offset1:28
	ds_write2st64_b32 v14, v9, v10 offset0:32 offset1:36
	ds_write2st64_b32 v14, v11, v12 offset0:40 offset1:44
	ds_write_b32 v14, v13 offset:12288
	s_waitcnt lgkmcnt(0)
	s_barrier
.LBB333_2:
	s_andn2_b32 vcc_lo, exec_lo, s3
	s_add_i32 s2, s2, s34
	s_cbranch_vccnz .LBB333_4
; %bb.3:
	v_lshlrev_b32_e32 v14, 2, v0
	ds_write2st64_b32 v14, v1, v2 offset1:4
	ds_write2st64_b32 v14, v3, v4 offset0:8 offset1:12
	ds_write2st64_b32 v14, v5, v6 offset0:16 offset1:20
	;; [unrolled: 1-line block ×5, first 2 shown]
	ds_write_b32 v14, v13 offset:12288
	s_waitcnt lgkmcnt(0)
	s_barrier
.LBB333_4:
	v_mul_u32_u24_e32 v29, 13, v0
	s_clause 0x1
	s_load_dwordx4 s[36:39], s[4:5], 0x28
	s_load_dwordx2 s[26:27], s[4:5], 0x38
	s_waitcnt lgkmcnt(0)
	buffer_gl0_inv
	v_cndmask_b32_e64 v27, 0, 1, s1
	s_sub_i32 s43, s0, s2
	v_lshlrev_b32_e32 v1, 2, v29
	s_andn2_b32 vcc_lo, exec_lo, s1
	ds_read_b32 v28, v1 offset:48
	ds_read2_b32 v[9:10], v1 offset0:10 offset1:11
	ds_read2_b32 v[11:12], v1 offset0:8 offset1:9
	;; [unrolled: 1-line block ×4, first 2 shown]
	ds_read2_b32 v[19:20], v1 offset1:1
	ds_read2_b32 v[17:18], v1 offset0:2 offset1:3
	s_waitcnt lgkmcnt(0)
	s_barrier
	buffer_gl0_inv
	s_cbranch_vccnz .LBB333_32
; %bb.5:
	v_add_nc_u32_e32 v1, s17, v19
	v_add_nc_u32_e32 v2, s19, v19
	s_mov_b32 s45, 0
	s_mov_b32 s44, 0
	s_mov_b32 s1, exec_lo
	v_mul_lo_u32 v1, v1, s16
	v_mul_lo_u32 v2, v2, s18
	v_sub_nc_u32_e32 v1, v1, v2
	v_cmp_lt_u32_e32 vcc_lo, s20, v1
	v_cmpx_ge_u32_e64 s20, v1
	s_cbranch_execz .LBB333_7
; %bb.6:
	v_add_nc_u32_e32 v1, s22, v19
	v_add_nc_u32_e32 v2, s40, v19
	v_mul_lo_u32 v1, v1, s21
	v_mul_lo_u32 v2, v2, s23
	v_sub_nc_u32_e32 v1, v1, v2
	v_cmp_lt_u32_e64 s0, s41, v1
	s_and_b32 s44, s0, exec_lo
.LBB333_7:
	s_or_b32 exec_lo, exec_lo, s1
	v_add_nc_u32_e32 v1, s17, v20
	v_add_nc_u32_e32 v2, s19, v20
	s_mov_b32 s2, exec_lo
	v_mul_lo_u32 v1, v1, s16
	v_mul_lo_u32 v2, v2, s18
	v_sub_nc_u32_e32 v1, v1, v2
	v_cmp_lt_u32_e64 s0, s20, v1
	v_cmpx_ge_u32_e64 s20, v1
	s_cbranch_execz .LBB333_9
; %bb.8:
	v_add_nc_u32_e32 v1, s22, v20
	v_add_nc_u32_e32 v2, s40, v20
	v_mul_lo_u32 v1, v1, s21
	v_mul_lo_u32 v2, v2, s23
	v_sub_nc_u32_e32 v1, v1, v2
	v_cmp_lt_u32_e64 s1, s41, v1
	s_and_b32 s45, s1, exec_lo
.LBB333_9:
	s_or_b32 exec_lo, exec_lo, s2
	v_add_nc_u32_e32 v1, s17, v17
	v_add_nc_u32_e32 v2, s19, v17
	s_mov_b32 s47, 0
	s_mov_b32 s46, 0
	s_mov_b32 s3, exec_lo
	v_mul_lo_u32 v1, v1, s16
	v_mul_lo_u32 v2, v2, s18
	v_sub_nc_u32_e32 v1, v1, v2
	v_cmp_lt_u32_e64 s1, s20, v1
	v_cmpx_ge_u32_e64 s20, v1
	s_cbranch_execz .LBB333_11
; %bb.10:
	v_add_nc_u32_e32 v1, s22, v17
	v_add_nc_u32_e32 v2, s40, v17
	v_mul_lo_u32 v1, v1, s21
	v_mul_lo_u32 v2, v2, s23
	v_sub_nc_u32_e32 v1, v1, v2
	v_cmp_lt_u32_e64 s2, s41, v1
	s_and_b32 s46, s2, exec_lo
.LBB333_11:
	s_or_b32 exec_lo, exec_lo, s3
	v_add_nc_u32_e32 v1, s17, v18
	v_add_nc_u32_e32 v2, s19, v18
	s_mov_b32 s7, exec_lo
	v_mul_lo_u32 v1, v1, s16
	v_mul_lo_u32 v2, v2, s18
	v_sub_nc_u32_e32 v1, v1, v2
	v_cmp_lt_u32_e64 s2, s20, v1
	v_cmpx_ge_u32_e64 s20, v1
	s_cbranch_execz .LBB333_13
; %bb.12:
	v_add_nc_u32_e32 v1, s22, v18
	v_add_nc_u32_e32 v2, s40, v18
	v_mul_lo_u32 v1, v1, s21
	v_mul_lo_u32 v2, v2, s23
	v_sub_nc_u32_e32 v1, v1, v2
	v_cmp_lt_u32_e64 s3, s41, v1
	s_and_b32 s47, s3, exec_lo
.LBB333_13:
	s_or_b32 exec_lo, exec_lo, s7
	v_add_nc_u32_e32 v1, s17, v15
	v_add_nc_u32_e32 v2, s19, v15
	s_mov_b32 s49, 0
	s_mov_b32 s48, 0
	s_mov_b32 s8, exec_lo
	v_mul_lo_u32 v1, v1, s16
	v_mul_lo_u32 v2, v2, s18
	v_sub_nc_u32_e32 v1, v1, v2
	v_cmp_lt_u32_e64 s3, s20, v1
	;; [unrolled: 40-line block ×6, first 2 shown]
	v_cmpx_ge_u32_e64 s20, v1
	s_cbranch_execz .LBB333_31
; %bb.30:
	v_add_nc_u32_e32 v1, s22, v28
	v_add_nc_u32_e32 v2, s40, v28
	v_mul_lo_u32 v1, v1, s21
	v_mul_lo_u32 v2, v2, s23
	v_sub_nc_u32_e32 v1, v1, v2
	v_cmp_lt_u32_e64 s15, s41, v1
	s_and_b32 s57, s15, exec_lo
.LBB333_31:
	s_or_b32 exec_lo, exec_lo, s58
	v_cndmask_b32_e64 v2, 0, 1, s0
	v_cndmask_b32_e64 v4, 0, 1, s2
	v_cndmask_b32_e64 v1, 0, 1, vcc_lo
	v_cndmask_b32_e64 v3, 0, 1, s1
	v_cndmask_b32_e64 v6, 0, 1, s7
	v_lshlrev_b16 v2, 8, v2
	v_lshlrev_b16 v4, 8, v4
	v_cndmask_b32_e64 v8, 0, 1, s9
	v_cndmask_b32_e64 v22, 0, 1, s11
	;; [unrolled: 1-line block ×3, first 2 shown]
	v_or_b32_e32 v1, v1, v2
	v_or_b32_sdwa v2, v3, v4 dst_sel:WORD_1 dst_unused:UNUSED_PAD src0_sel:DWORD src1_sel:DWORD
	v_cndmask_b32_e64 v3, 0, 1, s44
	v_cndmask_b32_e64 v5, 0, 1, s3
	;; [unrolled: 1-line block ×11, first 2 shown]
	v_or_b32_sdwa v30, v1, v2 dst_sel:DWORD dst_unused:UNUSED_PAD src0_sel:WORD_0 src1_sel:DWORD
	v_lshlrev_b16 v1, 8, v6
	v_lshlrev_b16 v2, 8, v8
	;; [unrolled: 1-line block ×5, first 2 shown]
	v_cndmask_b32_e64 v26, 0, 1, s53
	v_cndmask_b32_e64 v32, 0, 1, s51
	;; [unrolled: 1-line block ×5, first 2 shown]
	v_or_b32_e32 v1, v5, v1
	v_or_b32_sdwa v2, v7, v2 dst_sel:WORD_1 dst_unused:UNUSED_PAD src0_sel:DWORD src1_sel:DWORD
	v_or_b32_e32 v5, v21, v6
	v_or_b32_sdwa v6, v23, v8 dst_sel:WORD_1 dst_unused:UNUSED_PAD src0_sel:DWORD src1_sel:DWORD
	v_or_b32_e32 v3, v4, v3
	v_lshlrev_b16 v4, 8, v39
	v_lshlrev_b16 v7, 8, v36
	;; [unrolled: 1-line block ×5, first 2 shown]
	v_or_b32_sdwa v4, v40, v4 dst_sel:WORD_1 dst_unused:UNUSED_PAD src0_sel:DWORD src1_sel:DWORD
	v_or_b32_e32 v7, v38, v7
	v_or_b32_sdwa v8, v35, v8 dst_sel:WORD_1 dst_unused:UNUSED_PAD src0_sel:DWORD src1_sel:DWORD
	v_or_b32_e32 v21, v32, v21
	v_or_b32_sdwa v22, v26, v22 dst_sel:WORD_1 dst_unused:UNUSED_PAD src0_sel:DWORD src1_sel:DWORD
	v_cndmask_b32_e64 v34, 0, 1, s55
	v_cndmask_b32_e64 v37, 0, 1, s57
	v_or_b32_sdwa v32, v1, v2 dst_sel:DWORD dst_unused:UNUSED_PAD src0_sel:WORD_0 src1_sel:DWORD
	v_or_b32_sdwa v35, v5, v6 dst_sel:DWORD dst_unused:UNUSED_PAD src0_sel:WORD_0 src1_sel:DWORD
	;; [unrolled: 1-line block ×5, first 2 shown]
	s_load_dwordx2 s[4:5], s[4:5], 0x78
	s_and_b32 vcc_lo, exec_lo, s54
	s_add_i32 s7, s43, 0xd00
	s_cbranch_vccnz .LBB333_33
	s_branch .LBB333_110
.LBB333_32:
                                        ; implicit-def: $vgpr37
                                        ; implicit-def: $vgpr34
                                        ; implicit-def: $vgpr33
                                        ; implicit-def: $vgpr31
                                        ; implicit-def: $vgpr36
                                        ; implicit-def: $vgpr35
                                        ; implicit-def: $vgpr32
                                        ; implicit-def: $vgpr30
	s_load_dwordx2 s[4:5], s[4:5], 0x78
	s_add_i32 s7, s43, 0xd00
	s_cbranch_execz .LBB333_110
.LBB333_33:
	v_mov_b32_e32 v2, 0
	v_mov_b32_e32 v1, 0
	s_mov_b32 s1, exec_lo
	v_cmpx_gt_u32_e64 s7, v29
	s_cbranch_execz .LBB333_37
; %bb.34:
	v_add_nc_u32_e32 v1, s17, v19
	v_add_nc_u32_e32 v2, s19, v19
	s_mov_b32 s3, 0
	s_mov_b32 s2, exec_lo
	v_mul_lo_u32 v1, v1, s16
	v_mul_lo_u32 v2, v2, s18
	v_sub_nc_u32_e32 v1, v1, v2
	v_cmp_lt_u32_e32 vcc_lo, s20, v1
	v_cmpx_ge_u32_e64 s20, v1
	s_cbranch_execz .LBB333_36
; %bb.35:
	v_add_nc_u32_e32 v1, s22, v19
	v_add_nc_u32_e32 v2, s40, v19
	v_mul_lo_u32 v1, v1, s21
	v_mul_lo_u32 v2, v2, s23
	v_sub_nc_u32_e32 v1, v1, v2
	v_cmp_lt_u32_e64 s0, s41, v1
	s_and_b32 s3, s0, exec_lo
.LBB333_36:
	s_or_b32 exec_lo, exec_lo, s2
	v_cndmask_b32_e64 v2, 0, 1, s3
	v_cndmask_b32_e64 v1, 0, 1, vcc_lo
.LBB333_37:
	s_or_b32 exec_lo, exec_lo, s1
	v_add_nc_u32_e32 v3, 1, v29
	v_lshlrev_b16 v21, 8, v2
	v_and_b32_e32 v6, 0xff, v1
	v_lshlrev_b16 v7, 8, 0
                                        ; implicit-def: $vgpr5
                                        ; implicit-def: $vgpr8
                                        ; implicit-def: $vgpr2
                                        ; implicit-def: $vgpr4
	v_cmp_le_u32_e32 vcc_lo, s7, v3
                                        ; implicit-def: $vgpr3
	s_and_saveexec_b32 s0, vcc_lo
	s_xor_b32 s0, exec_lo, s0
	s_cbranch_execz .LBB333_39
; %bb.38:
	v_mov_b32_e32 v1, 8
	v_mov_b32_e32 v2, 0xff
	;; [unrolled: 1-line block ×3, first 2 shown]
	v_and_b32_e32 v4, 0xffff, v7
	v_and_b32_e32 v3, 0xffff, v7
	v_lshrrev_b32_sdwa v1, v1, v21 dst_sel:BYTE_1 dst_unused:UNUSED_PAD src0_sel:DWORD src1_sel:WORD_0
	v_and_b32_sdwa v2, v21, v2 dst_sel:DWORD dst_unused:UNUSED_PAD src0_sel:WORD_0 src1_sel:DWORD
                                        ; implicit-def: $vgpr21
	v_or_b32_e32 v1, v2, v1
	v_and_b32_e32 v2, 0xffff, v7
                                        ; implicit-def: $vgpr7
	v_and_b32_e32 v8, 0xffff, v1
                                        ; implicit-def: $vgpr1
.LBB333_39:
	s_andn2_saveexec_b32 s1, s0
	s_cbranch_execz .LBB333_43
; %bb.40:
	v_add_nc_u32_e32 v2, s17, v20
	v_add_nc_u32_e32 v3, s19, v20
	s_mov_b32 s2, 0
	s_mov_b32 s3, exec_lo
	v_mul_lo_u32 v2, v2, s16
	v_mul_lo_u32 v3, v3, s18
	v_sub_nc_u32_e32 v2, v2, v3
	v_cmp_lt_u32_e32 vcc_lo, s20, v2
	v_cmpx_ge_u32_e64 s20, v2
	s_cbranch_execz .LBB333_42
; %bb.41:
	v_add_nc_u32_e32 v2, s22, v20
	v_add_nc_u32_e32 v3, s40, v20
	v_mul_lo_u32 v2, v2, s21
	v_mul_lo_u32 v3, v3, s23
	v_sub_nc_u32_e32 v2, v2, v3
	v_cmp_lt_u32_e64 s0, s41, v2
	s_and_b32 s2, s0, exec_lo
.LBB333_42:
	s_or_b32 exec_lo, exec_lo, s3
	v_mov_b32_e32 v2, 0xff
	v_mov_b32_e32 v3, 8
	v_cndmask_b32_e64 v4, 0, 1, vcc_lo
	v_mov_b32_e32 v5, 0
	v_and_b32_sdwa v2, v21, v2 dst_sel:DWORD dst_unused:UNUSED_PAD src0_sel:WORD_0 src1_sel:DWORD
	v_lshrrev_b32_sdwa v3, v3, v21 dst_sel:BYTE_1 dst_unused:UNUSED_PAD src0_sel:DWORD src1_sel:WORD_0
	v_lshlrev_b16 v4, 8, v4
	v_or_b32_e32 v2, v2, v3
	v_cndmask_b32_e64 v3, 0, 1, s2
	v_or_b32_sdwa v1, v1, v4 dst_sel:DWORD dst_unused:UNUSED_PAD src0_sel:BYTE_0 src1_sel:DWORD
	v_and_b32_e32 v4, 0xffff, v7
	v_and_b32_e32 v8, 0xffff, v2
	v_mov_b32_e32 v2, 0
	v_and_b32_e32 v6, 0xffff, v1
	v_lshl_or_b32 v8, v3, 16, v8
	v_and_b32_e32 v3, 0xffff, v7
.LBB333_43:
	s_or_b32 exec_lo, exec_lo, s1
	v_add_nc_u32_e32 v1, 2, v29
                                        ; implicit-def: $vgpr7
	v_cmp_le_u32_e32 vcc_lo, s7, v1
                                        ; implicit-def: $vgpr1
	s_and_saveexec_b32 s0, vcc_lo
	s_xor_b32 s0, exec_lo, s0
	s_cbranch_execz .LBB333_45
; %bb.44:
	v_lshrrev_b32_e32 v1, 24, v6
	v_mov_b32_e32 v7, 8
	v_and_b32_e32 v21, 0xff0000, v8
	v_perm_b32 v4, v4, v4, 0x3060504
	v_perm_b32 v1, v1, v6, 0x40c0100
	v_lshrrev_b32_sdwa v6, v7, v1 dst_sel:BYTE_1 dst_unused:UNUSED_PAD src0_sel:DWORD src1_sel:DWORD
	v_or_b32_sdwa v6, v1, v6 dst_sel:DWORD dst_unused:UNUSED_PAD src0_sel:BYTE_0 src1_sel:DWORD
	v_and_b32_e32 v6, 0xffff, v6
	v_and_or_b32 v7, 0xff000000, v1, v6
	v_perm_b32 v1, v8, v21, 0x3020504
                                        ; implicit-def: $vgpr6
                                        ; implicit-def: $vgpr8
.LBB333_45:
	s_andn2_saveexec_b32 s1, s0
	s_cbranch_execz .LBB333_49
; %bb.46:
	v_add_nc_u32_e32 v1, s17, v17
	v_add_nc_u32_e32 v7, s19, v17
	s_mov_b32 s2, 0
	s_mov_b32 s3, exec_lo
	v_mul_lo_u32 v1, v1, s16
	v_mul_lo_u32 v7, v7, s18
	v_sub_nc_u32_e32 v1, v1, v7
	v_cmp_lt_u32_e32 vcc_lo, s20, v1
	v_cmpx_ge_u32_e64 s20, v1
	s_cbranch_execz .LBB333_48
; %bb.47:
	v_add_nc_u32_e32 v1, s22, v17
	v_add_nc_u32_e32 v7, s40, v17
	v_mul_lo_u32 v1, v1, s21
	v_mul_lo_u32 v7, v7, s23
	v_sub_nc_u32_e32 v1, v1, v7
	v_cmp_lt_u32_e64 s0, s41, v1
	s_and_b32 s2, s0, exec_lo
.LBB333_48:
	s_or_b32 exec_lo, exec_lo, s3
	v_mov_b32_e32 v1, 8
	v_mov_b32_e32 v7, 24
	v_cndmask_b32_e64 v22, 0, 1, s2
	v_mov_b32_e32 v23, 0xff
	v_cndmask_b32_e64 v21, 0, 1, vcc_lo
	v_lshrrev_b32_sdwa v24, v1, v6 dst_sel:BYTE_1 dst_unused:UNUSED_PAD src0_sel:DWORD src1_sel:DWORD
	v_lshrrev_b32_sdwa v7, v7, v6 dst_sel:BYTE_1 dst_unused:UNUSED_PAD src0_sel:DWORD src1_sel:DWORD
	;; [unrolled: 1-line block ×3, first 2 shown]
	v_lshlrev_b16 v22, 8, v22
	v_and_b32_sdwa v23, v8, v23 dst_sel:DWORD dst_unused:UNUSED_PAD src0_sel:WORD_1 src1_sel:DWORD
	v_or_b32_sdwa v6, v6, v24 dst_sel:DWORD dst_unused:UNUSED_PAD src0_sel:BYTE_0 src1_sel:DWORD
	v_or_b32_sdwa v7, v21, v7 dst_sel:WORD_1 dst_unused:UNUSED_PAD src0_sel:DWORD src1_sel:DWORD
	v_or_b32_sdwa v1, v8, v1 dst_sel:DWORD dst_unused:UNUSED_PAD src0_sel:BYTE_0 src1_sel:DWORD
	v_or_b32_sdwa v8, v23, v22 dst_sel:WORD_1 dst_unused:UNUSED_PAD src0_sel:DWORD src1_sel:DWORD
	v_or_b32_sdwa v7, v6, v7 dst_sel:DWORD dst_unused:UNUSED_PAD src0_sel:WORD_0 src1_sel:DWORD
	v_or_b32_sdwa v1, v1, v8 dst_sel:DWORD dst_unused:UNUSED_PAD src0_sel:WORD_0 src1_sel:DWORD
.LBB333_49:
	s_or_b32 exec_lo, exec_lo, s1
	v_add_nc_u32_e32 v6, 3, v29
                                        ; implicit-def: $vgpr30
	v_cmp_le_u32_e32 vcc_lo, s7, v6
                                        ; implicit-def: $vgpr6
	s_and_saveexec_b32 s0, vcc_lo
	s_xor_b32 s0, exec_lo, s0
	s_cbranch_execz .LBB333_51
; %bb.50:
	v_mov_b32_e32 v6, 24
	v_mov_b32_e32 v8, 0xff
	;; [unrolled: 1-line block ×3, first 2 shown]
	v_and_b32_e32 v22, 0xff0000, v7
	v_perm_b32 v4, v4, v4, 0x3060504
	v_lshrrev_b32_sdwa v6, v6, v5 dst_sel:BYTE_1 dst_unused:UNUSED_PAD src0_sel:DWORD src1_sel:DWORD
	v_and_b32_sdwa v8, v5, v8 dst_sel:DWORD dst_unused:UNUSED_PAD src0_sel:WORD_1 src1_sel:DWORD
	v_lshrrev_b32_sdwa v5, v21, v5 dst_sel:BYTE_1 dst_unused:UNUSED_PAD src0_sel:DWORD src1_sel:DWORD
	v_perm_b32 v30, v7, v22, 0x3020504
	v_perm_b32 v3, v3, v3, 0x3060504
                                        ; implicit-def: $vgpr7
	v_or_b32_sdwa v6, v8, v6 dst_sel:WORD_1 dst_unused:UNUSED_PAD src0_sel:DWORD src1_sel:DWORD
	v_or_b32_sdwa v6, v5, v6 dst_sel:DWORD dst_unused:UNUSED_PAD src0_sel:WORD_0 src1_sel:DWORD
                                        ; implicit-def: $vgpr5
.LBB333_51:
	s_andn2_saveexec_b32 s1, s0
	s_cbranch_execz .LBB333_55
; %bb.52:
	v_add_nc_u32_e32 v6, s17, v18
	v_add_nc_u32_e32 v8, s19, v18
	s_mov_b32 s2, 0
	s_mov_b32 s3, exec_lo
	v_mul_lo_u32 v6, v6, s16
	v_mul_lo_u32 v8, v8, s18
	v_sub_nc_u32_e32 v6, v6, v8
	v_cmp_lt_u32_e32 vcc_lo, s20, v6
	v_cmpx_ge_u32_e64 s20, v6
	s_cbranch_execz .LBB333_54
; %bb.53:
	v_add_nc_u32_e32 v6, s22, v18
	v_add_nc_u32_e32 v8, s40, v18
	v_mul_lo_u32 v6, v6, s21
	v_mul_lo_u32 v8, v8, s23
	v_sub_nc_u32_e32 v6, v6, v8
	v_cmp_lt_u32_e64 s0, s41, v6
	s_and_b32 s2, s0, exec_lo
.LBB333_54:
	s_or_b32 exec_lo, exec_lo, s3
	v_mov_b32_e32 v6, 8
	v_cndmask_b32_e64 v8, 0, 1, vcc_lo
	v_mov_b32_e32 v21, 0xff
	v_mov_b32_e32 v22, 24
	v_cndmask_b32_e64 v23, 0, 1, s2
	v_lshrrev_b32_sdwa v24, v6, v7 dst_sel:BYTE_1 dst_unused:UNUSED_PAD src0_sel:DWORD src1_sel:DWORD
	v_lshlrev_b16 v8, 8, v8
	v_and_b32_sdwa v25, v7, v21 dst_sel:DWORD dst_unused:UNUSED_PAD src0_sel:WORD_1 src1_sel:DWORD
	v_lshrrev_b32_sdwa v22, v22, v5 dst_sel:BYTE_1 dst_unused:UNUSED_PAD src0_sel:DWORD src1_sel:DWORD
	v_and_b32_sdwa v21, v5, v21 dst_sel:DWORD dst_unused:UNUSED_PAD src0_sel:WORD_1 src1_sel:DWORD
	v_lshrrev_b32_sdwa v5, v6, v5 dst_sel:BYTE_1 dst_unused:UNUSED_PAD src0_sel:DWORD src1_sel:DWORD
	v_or_b32_sdwa v6, v7, v24 dst_sel:DWORD dst_unused:UNUSED_PAD src0_sel:BYTE_0 src1_sel:DWORD
	v_or_b32_sdwa v7, v25, v8 dst_sel:WORD_1 dst_unused:UNUSED_PAD src0_sel:DWORD src1_sel:DWORD
	v_or_b32_sdwa v8, v21, v22 dst_sel:WORD_1 dst_unused:UNUSED_PAD src0_sel:DWORD src1_sel:DWORD
	v_or_b32_e32 v5, v23, v5
	v_or_b32_sdwa v30, v6, v7 dst_sel:DWORD dst_unused:UNUSED_PAD src0_sel:WORD_0 src1_sel:DWORD
	v_or_b32_sdwa v6, v5, v8 dst_sel:DWORD dst_unused:UNUSED_PAD src0_sel:WORD_0 src1_sel:DWORD
.LBB333_55:
	s_or_b32 exec_lo, exec_lo, s1
	v_add_nc_u32_e32 v5, 4, v29
                                        ; implicit-def: $vgpr7
	v_cmp_le_u32_e32 vcc_lo, s7, v5
                                        ; implicit-def: $vgpr5
	s_and_saveexec_b32 s0, vcc_lo
	s_xor_b32 s0, exec_lo, s0
	s_cbranch_execz .LBB333_57
; %bb.56:
	v_mov_b32_e32 v5, 24
	v_mov_b32_e32 v7, 0xff
	v_mov_b32_e32 v8, 8
	v_perm_b32 v3, v3, v3, 0x3060504
	v_lshrrev_b32_sdwa v21, v5, v4 dst_sel:BYTE_1 dst_unused:UNUSED_PAD src0_sel:DWORD src1_sel:DWORD
	v_and_b32_sdwa v22, v4, v7 dst_sel:DWORD dst_unused:UNUSED_PAD src0_sel:WORD_1 src1_sel:DWORD
	v_lshrrev_b32_sdwa v5, v5, v6 dst_sel:BYTE_1 dst_unused:UNUSED_PAD src0_sel:DWORD src1_sel:DWORD
	v_and_b32_sdwa v7, v6, v7 dst_sel:DWORD dst_unused:UNUSED_PAD src0_sel:WORD_1 src1_sel:DWORD
	v_lshrrev_b32_sdwa v4, v8, v4 dst_sel:BYTE_1 dst_unused:UNUSED_PAD src0_sel:DWORD src1_sel:DWORD
	v_or_b32_sdwa v8, v22, v21 dst_sel:WORD_1 dst_unused:UNUSED_PAD src0_sel:DWORD src1_sel:DWORD
	v_or_b32_e32 v7, v7, v5
	v_or_b32_sdwa v5, v4, v8 dst_sel:DWORD dst_unused:UNUSED_PAD src0_sel:WORD_0 src1_sel:DWORD
                                        ; implicit-def: $vgpr4
	v_perm_b32 v7, v7, v6, 0x5040c00
                                        ; implicit-def: $vgpr6
.LBB333_57:
	s_andn2_saveexec_b32 s1, s0
	s_cbranch_execz .LBB333_61
; %bb.58:
	v_add_nc_u32_e32 v5, s17, v15
	v_add_nc_u32_e32 v7, s19, v15
	s_mov_b32 s2, 0
	s_mov_b32 s3, exec_lo
	v_mul_lo_u32 v5, v5, s16
	v_mul_lo_u32 v7, v7, s18
	v_sub_nc_u32_e32 v5, v5, v7
	v_cmp_lt_u32_e32 vcc_lo, s20, v5
	v_cmpx_ge_u32_e64 s20, v5
	s_cbranch_execz .LBB333_60
; %bb.59:
	v_add_nc_u32_e32 v5, s22, v15
	v_add_nc_u32_e32 v7, s40, v15
	v_mul_lo_u32 v5, v5, s21
	v_mul_lo_u32 v7, v7, s23
	v_sub_nc_u32_e32 v5, v5, v7
	v_cmp_lt_u32_e64 s0, s41, v5
	s_and_b32 s2, s0, exec_lo
.LBB333_60:
	s_or_b32 exec_lo, exec_lo, s3
	v_mov_b32_e32 v5, 24
	v_mov_b32_e32 v7, 0xff
	;; [unrolled: 1-line block ×3, first 2 shown]
	v_cndmask_b32_e64 v21, 0, 1, s2
	v_cndmask_b32_e64 v22, 0, 1, vcc_lo
	v_lshrrev_b32_sdwa v23, v5, v4 dst_sel:BYTE_1 dst_unused:UNUSED_PAD src0_sel:DWORD src1_sel:DWORD
	v_and_b32_sdwa v24, v4, v7 dst_sel:DWORD dst_unused:UNUSED_PAD src0_sel:WORD_1 src1_sel:DWORD
	v_lshrrev_b32_sdwa v4, v8, v4 dst_sel:BYTE_1 dst_unused:UNUSED_PAD src0_sel:DWORD src1_sel:DWORD
	v_lshlrev_b16 v8, 8, v21
	v_lshrrev_b32_sdwa v5, v5, v6 dst_sel:BYTE_1 dst_unused:UNUSED_PAD src0_sel:DWORD src1_sel:DWORD
	v_and_b32_sdwa v7, v6, v7 dst_sel:DWORD dst_unused:UNUSED_PAD src0_sel:WORD_1 src1_sel:DWORD
	v_or_b32_sdwa v21, v24, v23 dst_sel:WORD_1 dst_unused:UNUSED_PAD src0_sel:DWORD src1_sel:DWORD
	v_or_b32_e32 v4, v22, v4
	v_or_b32_sdwa v6, v6, v8 dst_sel:DWORD dst_unused:UNUSED_PAD src0_sel:BYTE_0 src1_sel:DWORD
	v_or_b32_sdwa v7, v7, v5 dst_sel:WORD_1 dst_unused:UNUSED_PAD src0_sel:DWORD src1_sel:DWORD
	v_or_b32_sdwa v5, v4, v21 dst_sel:DWORD dst_unused:UNUSED_PAD src0_sel:WORD_0 src1_sel:DWORD
	v_or_b32_sdwa v7, v6, v7 dst_sel:DWORD dst_unused:UNUSED_PAD src0_sel:WORD_0 src1_sel:DWORD
.LBB333_61:
	s_or_b32 exec_lo, exec_lo, s1
	v_add_nc_u32_e32 v4, 5, v29
                                        ; implicit-def: $vgpr6
	v_cmp_le_u32_e32 vcc_lo, s7, v4
                                        ; implicit-def: $vgpr4
	s_and_saveexec_b32 s0, vcc_lo
	s_xor_b32 s0, exec_lo, s0
	s_cbranch_execz .LBB333_63
; %bb.62:
	v_lshrrev_b32_e32 v4, 24, v7
	v_mov_b32_e32 v6, 8
	v_mov_b32_e32 v8, 0xff
	v_perm_b32 v3, v3, v3, 0x3060504
	v_perm_b32 v4, v4, v7, 0x40c0100
	v_mov_b32_e32 v7, 24
	v_and_b32_sdwa v8, v5, v8 dst_sel:DWORD dst_unused:UNUSED_PAD src0_sel:WORD_1 src1_sel:DWORD
	v_lshrrev_b32_sdwa v6, v6, v4 dst_sel:BYTE_1 dst_unused:UNUSED_PAD src0_sel:DWORD src1_sel:DWORD
	v_lshrrev_b32_sdwa v7, v7, v5 dst_sel:BYTE_1 dst_unused:UNUSED_PAD src0_sel:DWORD src1_sel:DWORD
	v_or_b32_sdwa v6, v4, v6 dst_sel:DWORD dst_unused:UNUSED_PAD src0_sel:BYTE_0 src1_sel:DWORD
	v_or_b32_e32 v7, v8, v7
	v_and_b32_e32 v8, 0xffff, v6
	v_perm_b32 v6, v7, v5, 0x5040c00
                                        ; implicit-def: $vgpr5
                                        ; implicit-def: $vgpr7
	v_and_or_b32 v4, 0xff000000, v4, v8
.LBB333_63:
	s_andn2_saveexec_b32 s1, s0
	s_cbranch_execz .LBB333_67
; %bb.64:
	v_add_nc_u32_e32 v4, s17, v16
	v_add_nc_u32_e32 v6, s19, v16
	s_mov_b32 s2, 0
	s_mov_b32 s3, exec_lo
	v_mul_lo_u32 v4, v4, s16
	v_mul_lo_u32 v6, v6, s18
	v_sub_nc_u32_e32 v4, v4, v6
	v_cmp_lt_u32_e32 vcc_lo, s20, v4
	v_cmpx_ge_u32_e64 s20, v4
	s_cbranch_execz .LBB333_66
; %bb.65:
	v_add_nc_u32_e32 v4, s22, v16
	v_add_nc_u32_e32 v6, s40, v16
	v_mul_lo_u32 v4, v4, s21
	v_mul_lo_u32 v6, v6, s23
	v_sub_nc_u32_e32 v4, v4, v6
	v_cmp_lt_u32_e64 s0, s41, v4
	s_and_b32 s2, s0, exec_lo
.LBB333_66:
	s_or_b32 exec_lo, exec_lo, s3
	v_cndmask_b32_e64 v4, 0, 1, vcc_lo
	v_mov_b32_e32 v6, 24
	v_mov_b32_e32 v8, 0xff
	;; [unrolled: 1-line block ×3, first 2 shown]
	v_cndmask_b32_e64 v22, 0, 1, s2
	v_lshlrev_b16 v4, 8, v4
	v_lshrrev_b32_sdwa v23, v6, v5 dst_sel:BYTE_1 dst_unused:UNUSED_PAD src0_sel:DWORD src1_sel:DWORD
	v_and_b32_sdwa v8, v5, v8 dst_sel:DWORD dst_unused:UNUSED_PAD src0_sel:WORD_1 src1_sel:DWORD
	v_lshrrev_b32_sdwa v21, v21, v7 dst_sel:BYTE_1 dst_unused:UNUSED_PAD src0_sel:DWORD src1_sel:DWORD
	v_lshrrev_b32_sdwa v6, v6, v7 dst_sel:BYTE_1 dst_unused:UNUSED_PAD src0_sel:DWORD src1_sel:DWORD
	v_or_b32_sdwa v4, v5, v4 dst_sel:DWORD dst_unused:UNUSED_PAD src0_sel:BYTE_0 src1_sel:DWORD
	v_or_b32_sdwa v5, v8, v23 dst_sel:WORD_1 dst_unused:UNUSED_PAD src0_sel:DWORD src1_sel:DWORD
	v_or_b32_sdwa v7, v7, v21 dst_sel:DWORD dst_unused:UNUSED_PAD src0_sel:BYTE_0 src1_sel:DWORD
	v_or_b32_sdwa v8, v22, v6 dst_sel:WORD_1 dst_unused:UNUSED_PAD src0_sel:DWORD src1_sel:DWORD
	v_or_b32_sdwa v6, v4, v5 dst_sel:DWORD dst_unused:UNUSED_PAD src0_sel:WORD_0 src1_sel:DWORD
	v_or_b32_sdwa v4, v7, v8 dst_sel:DWORD dst_unused:UNUSED_PAD src0_sel:WORD_0 src1_sel:DWORD
.LBB333_67:
	s_or_b32 exec_lo, exec_lo, s1
	v_add_nc_u32_e32 v5, 6, v29
                                        ; implicit-def: $vgpr31
	v_cmp_le_u32_e32 vcc_lo, s7, v5
                                        ; implicit-def: $vgpr5
	s_and_saveexec_b32 s0, vcc_lo
	s_xor_b32 s0, exec_lo, s0
	s_cbranch_execz .LBB333_69
; %bb.68:
	v_lshrrev_b32_e32 v5, 24, v6
	v_mov_b32_e32 v7, 8
	v_perm_b32 v3, v3, v3, 0x3060504
	v_perm_b32 v5, v5, v6, 0x40c0100
	v_lshrrev_b32_sdwa v6, v7, v5 dst_sel:BYTE_1 dst_unused:UNUSED_PAD src0_sel:DWORD src1_sel:DWORD
	v_and_b32_e32 v7, 0xff0000, v4
	v_or_b32_sdwa v6, v5, v6 dst_sel:DWORD dst_unused:UNUSED_PAD src0_sel:BYTE_0 src1_sel:DWORD
	v_perm_b32 v31, v4, v7, 0x3020504
                                        ; implicit-def: $vgpr4
	v_and_b32_e32 v6, 0xffff, v6
	v_and_or_b32 v5, 0xff000000, v5, v6
                                        ; implicit-def: $vgpr6
.LBB333_69:
	s_andn2_saveexec_b32 s1, s0
	s_cbranch_execz .LBB333_73
; %bb.70:
	v_add_nc_u32_e32 v5, s17, v13
	v_add_nc_u32_e32 v7, s19, v13
	s_mov_b32 s2, 0
	s_mov_b32 s3, exec_lo
	v_mul_lo_u32 v5, v5, s16
	v_mul_lo_u32 v7, v7, s18
	v_sub_nc_u32_e32 v5, v5, v7
	v_cmp_lt_u32_e32 vcc_lo, s20, v5
	v_cmpx_ge_u32_e64 s20, v5
	s_cbranch_execz .LBB333_72
; %bb.71:
	v_add_nc_u32_e32 v5, s22, v13
	v_add_nc_u32_e32 v7, s40, v13
	v_mul_lo_u32 v5, v5, s21
	v_mul_lo_u32 v7, v7, s23
	v_sub_nc_u32_e32 v5, v5, v7
	v_cmp_lt_u32_e64 s0, s41, v5
	s_and_b32 s2, s0, exec_lo
.LBB333_72:
	s_or_b32 exec_lo, exec_lo, s3
	v_mov_b32_e32 v5, 8
	v_mov_b32_e32 v7, 24
	v_cndmask_b32_e64 v21, 0, 1, s2
	v_mov_b32_e32 v22, 0xff
	v_cndmask_b32_e64 v8, 0, 1, vcc_lo
	v_lshrrev_b32_sdwa v23, v5, v6 dst_sel:BYTE_1 dst_unused:UNUSED_PAD src0_sel:DWORD src1_sel:DWORD
	v_lshrrev_b32_sdwa v7, v7, v6 dst_sel:BYTE_1 dst_unused:UNUSED_PAD src0_sel:DWORD src1_sel:DWORD
	;; [unrolled: 1-line block ×3, first 2 shown]
	v_lshlrev_b16 v21, 8, v21
	v_and_b32_sdwa v22, v4, v22 dst_sel:DWORD dst_unused:UNUSED_PAD src0_sel:WORD_1 src1_sel:DWORD
	v_or_b32_sdwa v6, v6, v23 dst_sel:DWORD dst_unused:UNUSED_PAD src0_sel:BYTE_0 src1_sel:DWORD
	v_or_b32_sdwa v7, v8, v7 dst_sel:WORD_1 dst_unused:UNUSED_PAD src0_sel:DWORD src1_sel:DWORD
	v_or_b32_sdwa v4, v4, v5 dst_sel:DWORD dst_unused:UNUSED_PAD src0_sel:BYTE_0 src1_sel:DWORD
	v_or_b32_sdwa v8, v22, v21 dst_sel:WORD_1 dst_unused:UNUSED_PAD src0_sel:DWORD src1_sel:DWORD
	v_or_b32_sdwa v5, v6, v7 dst_sel:DWORD dst_unused:UNUSED_PAD src0_sel:WORD_0 src1_sel:DWORD
	v_or_b32_sdwa v31, v4, v8 dst_sel:DWORD dst_unused:UNUSED_PAD src0_sel:WORD_0 src1_sel:DWORD
.LBB333_73:
	s_or_b32 exec_lo, exec_lo, s1
	v_add_nc_u32_e32 v4, 7, v29
                                        ; implicit-def: $vgpr32
	v_cmp_le_u32_e32 vcc_lo, s7, v4
                                        ; implicit-def: $vgpr4
	s_and_saveexec_b32 s0, vcc_lo
	s_xor_b32 s0, exec_lo, s0
	s_cbranch_execz .LBB333_75
; %bb.74:
	v_mov_b32_e32 v4, 24
	v_mov_b32_e32 v6, 0xff
	;; [unrolled: 1-line block ×3, first 2 shown]
	v_lshrrev_b32_sdwa v4, v4, v3 dst_sel:BYTE_1 dst_unused:UNUSED_PAD src0_sel:DWORD src1_sel:DWORD
	v_and_b32_sdwa v6, v3, v6 dst_sel:DWORD dst_unused:UNUSED_PAD src0_sel:WORD_1 src1_sel:DWORD
	v_lshrrev_b32_sdwa v3, v7, v3 dst_sel:BYTE_1 dst_unused:UNUSED_PAD src0_sel:DWORD src1_sel:DWORD
	v_and_b32_e32 v7, 0xff0000, v5
	v_or_b32_sdwa v4, v6, v4 dst_sel:WORD_1 dst_unused:UNUSED_PAD src0_sel:DWORD src1_sel:DWORD
	v_perm_b32 v32, v5, v7, 0x3020504
                                        ; implicit-def: $vgpr5
	v_or_b32_sdwa v4, v3, v4 dst_sel:DWORD dst_unused:UNUSED_PAD src0_sel:WORD_0 src1_sel:DWORD
                                        ; implicit-def: $vgpr3
.LBB333_75:
	s_andn2_saveexec_b32 s1, s0
	s_cbranch_execz .LBB333_79
; %bb.76:
	v_add_nc_u32_e32 v4, s17, v14
	v_add_nc_u32_e32 v6, s19, v14
	s_mov_b32 s2, 0
	s_mov_b32 s3, exec_lo
	v_mul_lo_u32 v4, v4, s16
	v_mul_lo_u32 v6, v6, s18
	v_sub_nc_u32_e32 v4, v4, v6
	v_cmp_lt_u32_e32 vcc_lo, s20, v4
	v_cmpx_ge_u32_e64 s20, v4
	s_cbranch_execz .LBB333_78
; %bb.77:
	v_add_nc_u32_e32 v4, s22, v14
	v_add_nc_u32_e32 v6, s40, v14
	v_mul_lo_u32 v4, v4, s21
	v_mul_lo_u32 v6, v6, s23
	v_sub_nc_u32_e32 v4, v4, v6
	v_cmp_lt_u32_e64 s0, s41, v4
	s_and_b32 s2, s0, exec_lo
.LBB333_78:
	s_or_b32 exec_lo, exec_lo, s3
	v_mov_b32_e32 v4, 8
	v_cndmask_b32_e64 v6, 0, 1, vcc_lo
	v_mov_b32_e32 v7, 0xff
	v_mov_b32_e32 v8, 24
	v_cndmask_b32_e64 v21, 0, 1, s2
	v_lshrrev_b32_sdwa v22, v4, v5 dst_sel:BYTE_1 dst_unused:UNUSED_PAD src0_sel:DWORD src1_sel:DWORD
	v_lshlrev_b16 v6, 8, v6
	v_and_b32_sdwa v23, v5, v7 dst_sel:DWORD dst_unused:UNUSED_PAD src0_sel:WORD_1 src1_sel:DWORD
	v_lshrrev_b32_sdwa v8, v8, v3 dst_sel:BYTE_1 dst_unused:UNUSED_PAD src0_sel:DWORD src1_sel:DWORD
	v_and_b32_sdwa v7, v3, v7 dst_sel:DWORD dst_unused:UNUSED_PAD src0_sel:WORD_1 src1_sel:DWORD
	v_lshrrev_b32_sdwa v3, v4, v3 dst_sel:BYTE_1 dst_unused:UNUSED_PAD src0_sel:DWORD src1_sel:DWORD
	v_or_b32_sdwa v4, v5, v22 dst_sel:DWORD dst_unused:UNUSED_PAD src0_sel:BYTE_0 src1_sel:DWORD
	v_or_b32_sdwa v5, v23, v6 dst_sel:WORD_1 dst_unused:UNUSED_PAD src0_sel:DWORD src1_sel:DWORD
	v_or_b32_sdwa v6, v7, v8 dst_sel:WORD_1 dst_unused:UNUSED_PAD src0_sel:DWORD src1_sel:DWORD
	v_or_b32_e32 v3, v21, v3
	v_or_b32_sdwa v32, v4, v5 dst_sel:DWORD dst_unused:UNUSED_PAD src0_sel:WORD_0 src1_sel:DWORD
	v_or_b32_sdwa v4, v3, v6 dst_sel:DWORD dst_unused:UNUSED_PAD src0_sel:WORD_0 src1_sel:DWORD
.LBB333_79:
	s_or_b32 exec_lo, exec_lo, s1
	v_add_nc_u32_e32 v3, 8, v29
                                        ; implicit-def: $vgpr5
	v_cmp_le_u32_e32 vcc_lo, s7, v3
                                        ; implicit-def: $vgpr3
	s_and_saveexec_b32 s0, vcc_lo
	s_xor_b32 s0, exec_lo, s0
	s_cbranch_execz .LBB333_81
; %bb.80:
	v_mov_b32_e32 v3, 24
	v_mov_b32_e32 v5, 0xff
	;; [unrolled: 1-line block ×3, first 2 shown]
	v_perm_b32 v1, v1, v1, 0x3060504
	v_lshrrev_b32_sdwa v7, v3, v4 dst_sel:BYTE_1 dst_unused:UNUSED_PAD src0_sel:DWORD src1_sel:DWORD
	v_lshrrev_b32_sdwa v3, v3, v2 dst_sel:BYTE_1 dst_unused:UNUSED_PAD src0_sel:DWORD src1_sel:DWORD
	v_and_b32_sdwa v8, v2, v5 dst_sel:DWORD dst_unused:UNUSED_PAD src0_sel:WORD_1 src1_sel:DWORD
	v_and_b32_sdwa v5, v4, v5 dst_sel:DWORD dst_unused:UNUSED_PAD src0_sel:WORD_1 src1_sel:DWORD
	v_lshrrev_b32_sdwa v2, v6, v2 dst_sel:BYTE_1 dst_unused:UNUSED_PAD src0_sel:DWORD src1_sel:DWORD
	v_or_b32_sdwa v3, v8, v3 dst_sel:WORD_1 dst_unused:UNUSED_PAD src0_sel:DWORD src1_sel:DWORD
	v_or_b32_e32 v5, v5, v7
	v_or_b32_sdwa v3, v2, v3 dst_sel:DWORD dst_unused:UNUSED_PAD src0_sel:WORD_0 src1_sel:DWORD
	v_perm_b32 v5, v5, v4, 0x5040c00
                                        ; implicit-def: $vgpr2
                                        ; implicit-def: $vgpr4
.LBB333_81:
	s_andn2_saveexec_b32 s1, s0
	s_cbranch_execz .LBB333_85
; %bb.82:
	v_add_nc_u32_e32 v3, s17, v11
	v_add_nc_u32_e32 v5, s19, v11
	s_mov_b32 s2, 0
	s_mov_b32 s3, exec_lo
	v_mul_lo_u32 v3, v3, s16
	v_mul_lo_u32 v5, v5, s18
	v_sub_nc_u32_e32 v3, v3, v5
	v_cmp_lt_u32_e32 vcc_lo, s20, v3
	v_cmpx_ge_u32_e64 s20, v3
	s_cbranch_execz .LBB333_84
; %bb.83:
	v_add_nc_u32_e32 v3, s22, v11
	v_add_nc_u32_e32 v5, s40, v11
	v_mul_lo_u32 v3, v3, s21
	v_mul_lo_u32 v5, v5, s23
	v_sub_nc_u32_e32 v3, v3, v5
	v_cmp_lt_u32_e64 s0, s41, v3
	s_and_b32 s2, s0, exec_lo
.LBB333_84:
	s_or_b32 exec_lo, exec_lo, s3
	v_mov_b32_e32 v3, 24
	v_mov_b32_e32 v5, 0xff
	v_mov_b32_e32 v6, 8
	v_cndmask_b32_e64 v7, 0, 1, s2
	v_cndmask_b32_e64 v8, 0, 1, vcc_lo
	v_lshrrev_b32_sdwa v21, v3, v2 dst_sel:BYTE_1 dst_unused:UNUSED_PAD src0_sel:DWORD src1_sel:DWORD
	v_and_b32_sdwa v22, v2, v5 dst_sel:DWORD dst_unused:UNUSED_PAD src0_sel:WORD_1 src1_sel:DWORD
	v_lshrrev_b32_sdwa v2, v6, v2 dst_sel:BYTE_1 dst_unused:UNUSED_PAD src0_sel:DWORD src1_sel:DWORD
	v_lshlrev_b16 v6, 8, v7
	v_lshrrev_b32_sdwa v3, v3, v4 dst_sel:BYTE_1 dst_unused:UNUSED_PAD src0_sel:DWORD src1_sel:DWORD
	v_and_b32_sdwa v5, v4, v5 dst_sel:DWORD dst_unused:UNUSED_PAD src0_sel:WORD_1 src1_sel:DWORD
	v_or_b32_sdwa v7, v22, v21 dst_sel:WORD_1 dst_unused:UNUSED_PAD src0_sel:DWORD src1_sel:DWORD
	v_or_b32_e32 v2, v8, v2
	v_or_b32_sdwa v4, v4, v6 dst_sel:DWORD dst_unused:UNUSED_PAD src0_sel:BYTE_0 src1_sel:DWORD
	v_or_b32_sdwa v5, v5, v3 dst_sel:WORD_1 dst_unused:UNUSED_PAD src0_sel:DWORD src1_sel:DWORD
	v_or_b32_sdwa v3, v2, v7 dst_sel:DWORD dst_unused:UNUSED_PAD src0_sel:WORD_0 src1_sel:DWORD
	v_or_b32_sdwa v5, v4, v5 dst_sel:DWORD dst_unused:UNUSED_PAD src0_sel:WORD_0 src1_sel:DWORD
.LBB333_85:
	s_or_b32 exec_lo, exec_lo, s1
	v_add_nc_u32_e32 v2, 9, v29
                                        ; implicit-def: $vgpr4
	v_cmp_le_u32_e32 vcc_lo, s7, v2
                                        ; implicit-def: $vgpr2
	s_and_saveexec_b32 s0, vcc_lo
	s_xor_b32 s0, exec_lo, s0
	s_cbranch_execz .LBB333_87
; %bb.86:
	v_lshrrev_b32_e32 v2, 24, v5
	v_mov_b32_e32 v4, 8
	v_mov_b32_e32 v6, 0xff
	v_perm_b32 v1, v1, v1, 0x3060504
	v_perm_b32 v2, v2, v5, 0x40c0100
	v_mov_b32_e32 v5, 24
	v_and_b32_sdwa v6, v3, v6 dst_sel:DWORD dst_unused:UNUSED_PAD src0_sel:WORD_1 src1_sel:DWORD
	v_lshrrev_b32_sdwa v4, v4, v2 dst_sel:BYTE_1 dst_unused:UNUSED_PAD src0_sel:DWORD src1_sel:DWORD
	v_lshrrev_b32_sdwa v5, v5, v3 dst_sel:BYTE_1 dst_unused:UNUSED_PAD src0_sel:DWORD src1_sel:DWORD
	v_or_b32_sdwa v4, v2, v4 dst_sel:DWORD dst_unused:UNUSED_PAD src0_sel:BYTE_0 src1_sel:DWORD
	v_or_b32_e32 v5, v6, v5
	v_and_b32_e32 v6, 0xffff, v4
	v_perm_b32 v4, v5, v3, 0x5040c00
                                        ; implicit-def: $vgpr3
                                        ; implicit-def: $vgpr5
	v_and_or_b32 v2, 0xff000000, v2, v6
.LBB333_87:
	s_andn2_saveexec_b32 s1, s0
	s_cbranch_execz .LBB333_91
; %bb.88:
	v_add_nc_u32_e32 v2, s17, v12
	v_add_nc_u32_e32 v4, s19, v12
	s_mov_b32 s2, 0
	s_mov_b32 s3, exec_lo
	v_mul_lo_u32 v2, v2, s16
	v_mul_lo_u32 v4, v4, s18
	v_sub_nc_u32_e32 v2, v2, v4
	v_cmp_lt_u32_e32 vcc_lo, s20, v2
	v_cmpx_ge_u32_e64 s20, v2
	s_cbranch_execz .LBB333_90
; %bb.89:
	v_add_nc_u32_e32 v2, s22, v12
	v_add_nc_u32_e32 v4, s40, v12
	v_mul_lo_u32 v2, v2, s21
	v_mul_lo_u32 v4, v4, s23
	v_sub_nc_u32_e32 v2, v2, v4
	v_cmp_lt_u32_e64 s0, s41, v2
	s_and_b32 s2, s0, exec_lo
.LBB333_90:
	s_or_b32 exec_lo, exec_lo, s3
	v_cndmask_b32_e64 v2, 0, 1, vcc_lo
	v_mov_b32_e32 v4, 24
	v_mov_b32_e32 v6, 0xff
	;; [unrolled: 1-line block ×3, first 2 shown]
	v_cndmask_b32_e64 v8, 0, 1, s2
	v_lshlrev_b16 v2, 8, v2
	v_lshrrev_b32_sdwa v21, v4, v3 dst_sel:BYTE_1 dst_unused:UNUSED_PAD src0_sel:DWORD src1_sel:DWORD
	v_and_b32_sdwa v6, v3, v6 dst_sel:DWORD dst_unused:UNUSED_PAD src0_sel:WORD_1 src1_sel:DWORD
	v_lshrrev_b32_sdwa v7, v7, v5 dst_sel:BYTE_1 dst_unused:UNUSED_PAD src0_sel:DWORD src1_sel:DWORD
	v_lshrrev_b32_sdwa v4, v4, v5 dst_sel:BYTE_1 dst_unused:UNUSED_PAD src0_sel:DWORD src1_sel:DWORD
	v_or_b32_sdwa v2, v3, v2 dst_sel:DWORD dst_unused:UNUSED_PAD src0_sel:BYTE_0 src1_sel:DWORD
	v_or_b32_sdwa v3, v6, v21 dst_sel:WORD_1 dst_unused:UNUSED_PAD src0_sel:DWORD src1_sel:DWORD
	v_or_b32_sdwa v5, v5, v7 dst_sel:DWORD dst_unused:UNUSED_PAD src0_sel:BYTE_0 src1_sel:DWORD
	v_or_b32_sdwa v6, v8, v4 dst_sel:WORD_1 dst_unused:UNUSED_PAD src0_sel:DWORD src1_sel:DWORD
	v_or_b32_sdwa v4, v2, v3 dst_sel:DWORD dst_unused:UNUSED_PAD src0_sel:WORD_0 src1_sel:DWORD
	v_or_b32_sdwa v2, v5, v6 dst_sel:DWORD dst_unused:UNUSED_PAD src0_sel:WORD_0 src1_sel:DWORD
.LBB333_91:
	s_or_b32 exec_lo, exec_lo, s1
	v_add_nc_u32_e32 v3, 10, v29
                                        ; implicit-def: $vgpr33
	v_cmp_le_u32_e32 vcc_lo, s7, v3
                                        ; implicit-def: $vgpr3
	s_and_saveexec_b32 s0, vcc_lo
	s_xor_b32 s0, exec_lo, s0
	s_cbranch_execz .LBB333_93
; %bb.92:
	v_lshrrev_b32_e32 v3, 24, v4
	v_mov_b32_e32 v5, 8
	v_perm_b32 v1, v1, v1, 0x3060504
	v_perm_b32 v3, v3, v4, 0x40c0100
	v_lshrrev_b32_sdwa v4, v5, v3 dst_sel:BYTE_1 dst_unused:UNUSED_PAD src0_sel:DWORD src1_sel:DWORD
	v_and_b32_e32 v5, 0xff0000, v2
	v_or_b32_sdwa v4, v3, v4 dst_sel:DWORD dst_unused:UNUSED_PAD src0_sel:BYTE_0 src1_sel:DWORD
	v_perm_b32 v33, v2, v5, 0x3020504
                                        ; implicit-def: $vgpr2
	v_and_b32_e32 v4, 0xffff, v4
	v_and_or_b32 v3, 0xff000000, v3, v4
                                        ; implicit-def: $vgpr4
.LBB333_93:
	s_andn2_saveexec_b32 s1, s0
	s_cbranch_execz .LBB333_97
; %bb.94:
	v_add_nc_u32_e32 v3, s17, v9
	v_add_nc_u32_e32 v5, s19, v9
	s_mov_b32 s2, 0
	s_mov_b32 s3, exec_lo
	v_mul_lo_u32 v3, v3, s16
	v_mul_lo_u32 v5, v5, s18
	v_sub_nc_u32_e32 v3, v3, v5
	v_cmp_lt_u32_e32 vcc_lo, s20, v3
	v_cmpx_ge_u32_e64 s20, v3
	s_cbranch_execz .LBB333_96
; %bb.95:
	v_add_nc_u32_e32 v3, s22, v9
	v_add_nc_u32_e32 v5, s40, v9
	v_mul_lo_u32 v3, v3, s21
	v_mul_lo_u32 v5, v5, s23
	v_sub_nc_u32_e32 v3, v3, v5
	v_cmp_lt_u32_e64 s0, s41, v3
	s_and_b32 s2, s0, exec_lo
.LBB333_96:
	s_or_b32 exec_lo, exec_lo, s3
	v_mov_b32_e32 v3, 8
	v_mov_b32_e32 v5, 24
	v_cndmask_b32_e64 v7, 0, 1, s2
	v_mov_b32_e32 v8, 0xff
	v_cndmask_b32_e64 v6, 0, 1, vcc_lo
	v_lshrrev_b32_sdwa v21, v3, v4 dst_sel:BYTE_1 dst_unused:UNUSED_PAD src0_sel:DWORD src1_sel:DWORD
	v_lshrrev_b32_sdwa v5, v5, v4 dst_sel:BYTE_1 dst_unused:UNUSED_PAD src0_sel:DWORD src1_sel:DWORD
	;; [unrolled: 1-line block ×3, first 2 shown]
	v_lshlrev_b16 v7, 8, v7
	v_and_b32_sdwa v8, v2, v8 dst_sel:DWORD dst_unused:UNUSED_PAD src0_sel:WORD_1 src1_sel:DWORD
	v_or_b32_sdwa v4, v4, v21 dst_sel:DWORD dst_unused:UNUSED_PAD src0_sel:BYTE_0 src1_sel:DWORD
	v_or_b32_sdwa v5, v6, v5 dst_sel:WORD_1 dst_unused:UNUSED_PAD src0_sel:DWORD src1_sel:DWORD
	v_or_b32_sdwa v2, v2, v3 dst_sel:DWORD dst_unused:UNUSED_PAD src0_sel:BYTE_0 src1_sel:DWORD
	v_or_b32_sdwa v6, v8, v7 dst_sel:WORD_1 dst_unused:UNUSED_PAD src0_sel:DWORD src1_sel:DWORD
	v_or_b32_sdwa v3, v4, v5 dst_sel:DWORD dst_unused:UNUSED_PAD src0_sel:WORD_0 src1_sel:DWORD
	v_or_b32_sdwa v33, v2, v6 dst_sel:DWORD dst_unused:UNUSED_PAD src0_sel:WORD_0 src1_sel:DWORD
.LBB333_97:
	s_or_b32 exec_lo, exec_lo, s1
	v_add_nc_u32_e32 v2, 11, v29
	v_mov_b32_e32 v34, 0
	s_mov_b32 s0, exec_lo
                                        ; implicit-def: $vgpr35
	v_cmpx_le_u32_e64 s7, v2
	s_xor_b32 s0, exec_lo, s0
; %bb.98:
	v_and_b32_e32 v2, 0xff0000, v3
	v_perm_b32 v1, v1, v1, 0x3060504
	v_perm_b32 v35, v3, v2, 0x3020504
                                        ; implicit-def: $vgpr3
; %bb.99:
	s_andn2_saveexec_b32 s1, s0
	s_cbranch_execz .LBB333_103
; %bb.100:
	v_add_nc_u32_e32 v2, s17, v10
	v_add_nc_u32_e32 v4, s19, v10
	s_mov_b32 s2, 0
	s_mov_b32 s3, exec_lo
	v_mul_lo_u32 v2, v2, s16
	v_mul_lo_u32 v4, v4, s18
	v_sub_nc_u32_e32 v2, v2, v4
	v_cmp_lt_u32_e32 vcc_lo, s20, v2
	v_cmpx_ge_u32_e64 s20, v2
	s_cbranch_execz .LBB333_102
; %bb.101:
	v_add_nc_u32_e32 v2, s22, v10
	v_add_nc_u32_e32 v4, s40, v10
	v_mul_lo_u32 v2, v2, s21
	v_mul_lo_u32 v4, v4, s23
	v_sub_nc_u32_e32 v2, v2, v4
	v_cmp_lt_u32_e64 s0, s41, v2
	s_and_b32 s2, s0, exec_lo
.LBB333_102:
	s_or_b32 exec_lo, exec_lo, s3
	v_mov_b32_e32 v2, 8
	v_cndmask_b32_e64 v4, 0, 1, vcc_lo
	v_mov_b32_e32 v5, 0xff
	v_cndmask_b32_e64 v34, 0, 1, s2
	v_lshrrev_b32_sdwa v2, v2, v3 dst_sel:BYTE_1 dst_unused:UNUSED_PAD src0_sel:DWORD src1_sel:DWORD
	v_lshlrev_b16 v4, 8, v4
	v_and_b32_sdwa v5, v3, v5 dst_sel:DWORD dst_unused:UNUSED_PAD src0_sel:WORD_1 src1_sel:DWORD
	v_or_b32_sdwa v2, v3, v2 dst_sel:DWORD dst_unused:UNUSED_PAD src0_sel:BYTE_0 src1_sel:DWORD
	v_or_b32_sdwa v3, v5, v4 dst_sel:WORD_1 dst_unused:UNUSED_PAD src0_sel:DWORD src1_sel:DWORD
	v_or_b32_sdwa v35, v2, v3 dst_sel:DWORD dst_unused:UNUSED_PAD src0_sel:WORD_0 src1_sel:DWORD
.LBB333_103:
	s_or_b32 exec_lo, exec_lo, s1
	v_add_nc_u32_e32 v2, 12, v29
	s_mov_b32 s0, exec_lo
                                        ; implicit-def: $vgpr36
	v_cmpx_le_u32_e64 s7, v2
	s_xor_b32 s0, exec_lo, s0
	s_cbranch_execz .LBB333_105
; %bb.104:
	v_mov_b32_e32 v2, 24
	v_mov_b32_e32 v3, 0xff
	;; [unrolled: 1-line block ×3, first 2 shown]
	v_lshrrev_b32_sdwa v2, v2, v1 dst_sel:BYTE_1 dst_unused:UNUSED_PAD src0_sel:DWORD src1_sel:DWORD
	v_and_b32_sdwa v3, v1, v3 dst_sel:DWORD dst_unused:UNUSED_PAD src0_sel:WORD_1 src1_sel:DWORD
	v_lshrrev_b32_sdwa v1, v4, v1 dst_sel:BYTE_1 dst_unused:UNUSED_PAD src0_sel:DWORD src1_sel:DWORD
	v_or_b32_sdwa v2, v3, v2 dst_sel:WORD_1 dst_unused:UNUSED_PAD src0_sel:DWORD src1_sel:DWORD
	v_or_b32_sdwa v36, v1, v2 dst_sel:DWORD dst_unused:UNUSED_PAD src0_sel:WORD_0 src1_sel:DWORD
                                        ; implicit-def: $vgpr1
.LBB333_105:
	s_or_saveexec_b32 s1, s0
	v_mov_b32_e32 v37, 0
	s_xor_b32 exec_lo, exec_lo, s1
	s_cbranch_execz .LBB333_109
; %bb.106:
	v_add_nc_u32_e32 v2, s17, v28
	v_add_nc_u32_e32 v3, s19, v28
	s_mov_b32 s2, 0
	s_mov_b32 s3, exec_lo
	v_mul_lo_u32 v2, v2, s16
	v_mul_lo_u32 v3, v3, s18
	v_sub_nc_u32_e32 v2, v2, v3
	v_cmp_lt_u32_e32 vcc_lo, s20, v2
	v_cmpx_ge_u32_e64 s20, v2
	s_cbranch_execz .LBB333_108
; %bb.107:
	v_add_nc_u32_e32 v2, s22, v28
	v_add_nc_u32_e32 v3, s40, v28
	v_mul_lo_u32 v2, v2, s21
	v_mul_lo_u32 v3, v3, s23
	v_sub_nc_u32_e32 v2, v2, v3
	v_cmp_lt_u32_e64 s0, s41, v2
	s_and_b32 s2, s0, exec_lo
.LBB333_108:
	s_or_b32 exec_lo, exec_lo, s3
	v_mov_b32_e32 v2, 24
	v_mov_b32_e32 v3, 0xff
	;; [unrolled: 1-line block ×3, first 2 shown]
	v_cndmask_b32_e64 v5, 0, 1, vcc_lo
	v_cndmask_b32_e64 v37, 0, 1, s2
	v_lshrrev_b32_sdwa v2, v2, v1 dst_sel:BYTE_1 dst_unused:UNUSED_PAD src0_sel:DWORD src1_sel:DWORD
	v_and_b32_sdwa v3, v1, v3 dst_sel:DWORD dst_unused:UNUSED_PAD src0_sel:WORD_1 src1_sel:DWORD
	v_lshrrev_b32_sdwa v1, v4, v1 dst_sel:BYTE_1 dst_unused:UNUSED_PAD src0_sel:DWORD src1_sel:DWORD
	v_or_b32_sdwa v2, v3, v2 dst_sel:WORD_1 dst_unused:UNUSED_PAD src0_sel:DWORD src1_sel:DWORD
	v_or_b32_e32 v1, v5, v1
	v_or_b32_sdwa v36, v1, v2 dst_sel:DWORD dst_unused:UNUSED_PAD src0_sel:WORD_0 src1_sel:DWORD
.LBB333_109:
	s_or_b32 exec_lo, exec_lo, s1
.LBB333_110:
	v_and_b32_e32 v60, 0xff, v30
	v_bfe_u32 v61, v36, 8, 8
	v_bfe_u32 v57, v30, 8, 8
	;; [unrolled: 1-line block ×4, first 2 shown]
	v_lshrrev_b32_e32 v43, 24, v36
	v_lshrrev_b32_e32 v42, 24, v30
	v_and_b32_e32 v56, 0xff, v31
	v_and_b32_e32 v54, 0xff, v32
	v_bfe_u32 v55, v31, 8, 8
	v_add3_u32 v1, v57, v60, v59
	v_add3_u32 v2, v58, v61, v43
	v_bfe_u32 v52, v32, 8, 8
	v_bfe_u32 v53, v31, 16, 8
	;; [unrolled: 1-line block ×3, first 2 shown]
	v_lshrrev_b32_e32 v41, 24, v31
	v_add3_u32 v1, v1, v42, v54
	v_add3_u32 v2, v2, v56, v55
	v_lshrrev_b32_e32 v40, 24, v32
	v_and_b32_e32 v51, 0xff, v33
	v_and_b32_e32 v49, 0xff, v35
	v_bfe_u32 v50, v33, 8, 8
	v_add3_u32 v1, v1, v52, v46
	v_add3_u32 v2, v2, v53, v41
	v_bfe_u32 v47, v35, 8, 8
	v_bfe_u32 v48, v33, 16, 8
	v_bfe_u32 v45, v35, 16, 8
	v_lshrrev_b32_e32 v39, 24, v33
	v_add3_u32 v1, v1, v40, v49
	v_add3_u32 v2, v2, v51, v50
	v_mbcnt_lo_u32_b32 v62, -1, 0
	v_lshrrev_b32_e32 v38, 24, v35
	v_and_b32_e32 v44, 0xff, v34
	v_and_b32_e32 v3, 0xff, v36
	;; [unrolled: 1-line block ×3, first 2 shown]
	v_add3_u32 v1, v1, v47, v45
	v_add3_u32 v2, v2, v48, v39
	v_and_b32_e32 v64, 15, v62
	v_and_b32_e32 v66, 16, v62
	v_lshrrev_b32_e32 v63, 5, v0
	v_add3_u32 v67, v1, v38, v3
	v_add3_u32 v68, v2, v44, v4
	v_cmp_eq_u32_e64 s1, 0, v64
	v_cmp_lt_u32_e64 s0, 1, v64
	v_cmp_lt_u32_e64 s2, 3, v64
	v_or_b32_e32 v65, 31, v0
	s_cmp_lg_u32 s6, 0
	s_mov_b32 s3, -1
	v_cmp_lt_u32_e32 vcc_lo, 7, v64
	s_cbranch_scc0 .LBB333_132
; %bb.111:
	v_mov_b32_dpp v1, v68 row_shr:1 row_mask:0xf bank_mask:0xf
	v_mov_b32_dpp v2, v67 row_shr:1 row_mask:0xf bank_mask:0xf
	s_mov_b32 s3, exec_lo
	v_add_nc_u32_e32 v1, v1, v68
	v_add_nc_u32_e32 v2, v2, v67
	v_cndmask_b32_e64 v1, v1, v68, s1
	v_cndmask_b32_e64 v2, v2, v67, s1
	v_mov_b32_dpp v3, v1 row_shr:2 row_mask:0xf bank_mask:0xf
	v_mov_b32_dpp v4, v2 row_shr:2 row_mask:0xf bank_mask:0xf
	v_add_nc_u32_e32 v3, v1, v3
	v_add_nc_u32_e32 v4, v2, v4
	v_cndmask_b32_e64 v1, v1, v3, s0
	v_cndmask_b32_e64 v2, v2, v4, s0
	v_mov_b32_dpp v3, v1 row_shr:4 row_mask:0xf bank_mask:0xf
	v_mov_b32_dpp v4, v2 row_shr:4 row_mask:0xf bank_mask:0xf
	;; [unrolled: 6-line block ×3, first 2 shown]
	v_add_nc_u32_e32 v3, v1, v3
	v_add_nc_u32_e32 v4, v2, v4
	v_cndmask_b32_e32 v1, v1, v3, vcc_lo
	v_cndmask_b32_e32 v2, v2, v4, vcc_lo
	v_cmp_eq_u32_e32 vcc_lo, 0, v66
	ds_swizzle_b32 v3, v1 offset:swizzle(BROADCAST,32,15)
	ds_swizzle_b32 v4, v2 offset:swizzle(BROADCAST,32,15)
	s_waitcnt lgkmcnt(0)
	v_add_nc_u32_e32 v3, v1, v3
	v_add_nc_u32_e32 v4, v2, v4
	v_cmpx_eq_u32_e64 v0, v65
	s_cbranch_execz .LBB333_113
; %bb.112:
	v_lshlrev_b32_e32 v7, 3, v63
	v_cndmask_b32_e32 v6, v3, v1, vcc_lo
	v_cndmask_b32_e32 v5, v4, v2, vcc_lo
	ds_write_b64 v7, v[5:6]
.LBB333_113:
	s_or_b32 exec_lo, exec_lo, s3
	s_mov_b32 s3, exec_lo
	s_waitcnt lgkmcnt(0)
	s_barrier
	buffer_gl0_inv
	v_cmpx_gt_u32_e32 8, v0
	s_cbranch_execz .LBB333_115
; %bb.114:
	v_lshlrev_b32_e32 v7, 3, v0
	v_and_b32_e32 v22, 7, v62
	ds_read_b64 v[5:6], v7
	v_cmp_eq_u32_e64 s2, 0, v22
	s_waitcnt lgkmcnt(0)
	v_mov_b32_dpp v8, v5 row_shr:1 row_mask:0xf bank_mask:0xf
	v_mov_b32_dpp v21, v6 row_shr:1 row_mask:0xf bank_mask:0xf
	v_add_nc_u32_e32 v8, v8, v5
	v_add_nc_u32_e32 v21, v21, v6
	v_cndmask_b32_e64 v5, v8, v5, s2
	v_cndmask_b32_e64 v6, v21, v6, s2
	v_cmp_lt_u32_e64 s2, 1, v22
	v_mov_b32_dpp v8, v5 row_shr:2 row_mask:0xf bank_mask:0xf
	v_mov_b32_dpp v21, v6 row_shr:2 row_mask:0xf bank_mask:0xf
	v_add_nc_u32_e32 v8, v5, v8
	v_add_nc_u32_e32 v21, v6, v21
	v_cndmask_b32_e64 v5, v5, v8, s2
	v_cndmask_b32_e64 v6, v6, v21, s2
	v_cmp_lt_u32_e64 s2, 3, v22
	v_mov_b32_dpp v8, v5 row_shr:4 row_mask:0xf bank_mask:0xf
	v_mov_b32_dpp v21, v6 row_shr:4 row_mask:0xf bank_mask:0xf
	v_cndmask_b32_e64 v8, 0, v8, s2
	v_cndmask_b32_e64 v21, 0, v21, s2
	v_add_nc_u32_e32 v5, v8, v5
	v_add_nc_u32_e32 v6, v21, v6
	ds_write_b64 v7, v[5:6]
.LBB333_115:
	s_or_b32 exec_lo, exec_lo, s3
	v_cndmask_b32_e32 v1, v3, v1, vcc_lo
	v_cndmask_b32_e32 v2, v4, v2, vcc_lo
	s_mov_b32 s3, exec_lo
	v_cmp_gt_u32_e32 vcc_lo, 32, v0
	s_waitcnt lgkmcnt(0)
	s_barrier
	buffer_gl0_inv
                                        ; implicit-def: $vgpr21
	v_cmpx_lt_u32_e32 31, v0
	s_cbranch_execz .LBB333_117
; %bb.116:
	v_lshl_add_u32 v3, v63, 3, -8
	ds_read_b64 v[21:22], v3
	s_waitcnt lgkmcnt(0)
	v_add_nc_u32_e32 v1, v22, v1
	v_add_nc_u32_e32 v2, v21, v2
.LBB333_117:
	s_or_b32 exec_lo, exec_lo, s3
	v_sub_co_u32 v3, s2, v62, 1
	v_cmp_gt_i32_e64 s3, 0, v3
	v_cndmask_b32_e64 v3, v3, v62, s3
	v_lshlrev_b32_e32 v3, 2, v3
	ds_bpermute_b32 v69, v3, v2
	ds_bpermute_b32 v70, v3, v1
	s_and_saveexec_b32 s3, vcc_lo
	s_cbranch_execz .LBB333_137
; %bb.118:
	v_mov_b32_e32 v4, 0
	ds_read_b64 v[1:2], v4 offset:56
	s_and_saveexec_b32 s8, s2
	s_cbranch_execz .LBB333_120
; %bb.119:
	s_add_i32 s10, s6, 32
	s_mov_b32 s11, 0
	v_mov_b32_e32 v3, 1
	s_lshl_b64 s[10:11], s[10:11], 4
	s_add_u32 s10, s4, s10
	s_addc_u32 s11, s5, s11
	v_mov_b32_e32 v5, s10
	v_mov_b32_e32 v6, s11
	s_waitcnt lgkmcnt(0)
	;;#ASMSTART
	global_store_dwordx4 v[5:6], v[1:4] off	
s_waitcnt vmcnt(0)
	;;#ASMEND
.LBB333_120:
	s_or_b32 exec_lo, exec_lo, s8
	v_xad_u32 v23, v62, -1, s6
	s_mov_b32 s9, 0
	v_add_nc_u32_e32 v3, 32, v23
	v_lshlrev_b64 v[5:6], 4, v[3:4]
	v_add_co_u32 v24, vcc_lo, s4, v5
	v_add_co_ci_u32_e64 v25, null, s5, v6, vcc_lo
	;;#ASMSTART
	global_load_dwordx4 v[5:8], v[24:25] off glc dlc	
s_waitcnt vmcnt(0)
	;;#ASMEND
	v_cmp_eq_u16_sdwa s10, v7, v4 src0_sel:BYTE_0 src1_sel:DWORD
	s_and_saveexec_b32 s8, s10
	s_cbranch_execz .LBB333_124
; %bb.121:
	v_mov_b32_e32 v3, 0
.LBB333_122:                            ; =>This Inner Loop Header: Depth=1
	;;#ASMSTART
	global_load_dwordx4 v[5:8], v[24:25] off glc dlc	
s_waitcnt vmcnt(0)
	;;#ASMEND
	v_cmp_ne_u16_sdwa s10, v7, v3 src0_sel:BYTE_0 src1_sel:DWORD
	s_or_b32 s9, s10, s9
	s_andn2_b32 exec_lo, exec_lo, s9
	s_cbranch_execnz .LBB333_122
; %bb.123:
	s_or_b32 exec_lo, exec_lo, s9
.LBB333_124:
	s_or_b32 exec_lo, exec_lo, s8
	v_cmp_ne_u32_e32 vcc_lo, 31, v62
	v_mov_b32_e32 v72, 2
	v_lshlrev_b32_e64 v73, v62, -1
	v_add_nc_u32_e32 v75, 2, v62
	v_add_nc_u32_e32 v77, 4, v62
	v_add_co_ci_u32_e64 v3, null, 0, v62, vcc_lo
	v_cmp_eq_u16_sdwa s8, v7, v72 src0_sel:BYTE_0 src1_sel:DWORD
	v_cmp_gt_u32_e32 vcc_lo, 30, v62
	v_add_nc_u32_e32 v79, 8, v62
	v_lshlrev_b32_e32 v71, 2, v3
	v_lshl_or_b32 v80, v62, 2, 64
	v_and_b32_e32 v8, s8, v73
	v_cndmask_b32_e64 v24, 0, 2, vcc_lo
	v_add_nc_u32_e32 v81, 16, v62
	ds_bpermute_b32 v3, v71, v6
	ds_bpermute_b32 v4, v71, v5
	v_or_b32_e32 v8, 0x80000000, v8
	v_add_lshl_u32 v74, v24, v62, 2
	v_ffbl_b32_e32 v8, v8
	v_cmp_lt_u32_e32 vcc_lo, v62, v8
	s_waitcnt lgkmcnt(1)
	v_add_nc_u32_e32 v3, v3, v6
	s_waitcnt lgkmcnt(0)
	v_add_nc_u32_e32 v4, v4, v5
	v_cndmask_b32_e32 v3, v6, v3, vcc_lo
	v_cndmask_b32_e32 v4, v5, v4, vcc_lo
	v_cmp_gt_u32_e32 vcc_lo, 28, v62
	ds_bpermute_b32 v5, v74, v3
	ds_bpermute_b32 v6, v74, v4
	v_cndmask_b32_e64 v24, 0, 4, vcc_lo
	v_cmp_gt_u32_e32 vcc_lo, v75, v8
	v_add_lshl_u32 v76, v24, v62, 2
	s_waitcnt lgkmcnt(1)
	v_add_nc_u32_e32 v5, v3, v5
	s_waitcnt lgkmcnt(0)
	v_add_nc_u32_e32 v6, v4, v6
	v_cndmask_b32_e32 v3, v5, v3, vcc_lo
	v_cndmask_b32_e32 v4, v6, v4, vcc_lo
	v_cmp_gt_u32_e32 vcc_lo, 24, v62
	ds_bpermute_b32 v5, v76, v3
	ds_bpermute_b32 v6, v76, v4
	v_cndmask_b32_e64 v24, 0, 8, vcc_lo
	v_cmp_gt_u32_e32 vcc_lo, v77, v8
	v_add_lshl_u32 v78, v24, v62, 2
	v_mov_b32_e32 v24, 0
	s_waitcnt lgkmcnt(1)
	v_add_nc_u32_e32 v5, v3, v5
	s_waitcnt lgkmcnt(0)
	v_add_nc_u32_e32 v6, v4, v6
	v_cndmask_b32_e32 v3, v5, v3, vcc_lo
	v_cndmask_b32_e32 v4, v6, v4, vcc_lo
	v_cmp_gt_u32_e32 vcc_lo, v79, v8
	ds_bpermute_b32 v5, v78, v3
	ds_bpermute_b32 v6, v78, v4
	s_waitcnt lgkmcnt(1)
	v_add_nc_u32_e32 v5, v3, v5
	s_waitcnt lgkmcnt(0)
	v_add_nc_u32_e32 v6, v4, v6
	v_cndmask_b32_e32 v3, v5, v3, vcc_lo
	v_cndmask_b32_e32 v4, v6, v4, vcc_lo
	v_cmp_le_u32_e32 vcc_lo, v81, v8
	ds_bpermute_b32 v6, v80, v3
	ds_bpermute_b32 v5, v80, v4
	s_waitcnt lgkmcnt(1)
	v_cndmask_b32_e32 v6, 0, v6, vcc_lo
	s_waitcnt lgkmcnt(0)
	v_cndmask_b32_e32 v5, 0, v5, vcc_lo
	v_add_nc_u32_e32 v6, v6, v3
	v_add_nc_u32_e32 v5, v5, v4
	s_branch .LBB333_128
.LBB333_125:                            ;   in Loop: Header=BB333_128 Depth=1
	s_or_b32 exec_lo, exec_lo, s9
.LBB333_126:                            ;   in Loop: Header=BB333_128 Depth=1
	s_or_b32 exec_lo, exec_lo, s8
	ds_bpermute_b32 v8, v71, v5
	ds_bpermute_b32 v25, v71, v6
	v_cmp_eq_u16_sdwa s8, v7, v72 src0_sel:BYTE_0 src1_sel:DWORD
	v_subrev_nc_u32_e32 v23, 32, v23
	v_and_or_b32 v26, s8, v73, 0x80000000
	s_mov_b32 s8, 0
	v_ffbl_b32_e32 v26, v26
	v_cmp_lt_u32_e32 vcc_lo, v62, v26
	s_waitcnt lgkmcnt(1)
	v_add_nc_u32_e32 v8, v8, v5
	s_waitcnt lgkmcnt(0)
	v_add_nc_u32_e32 v25, v25, v6
	v_cndmask_b32_e32 v5, v5, v8, vcc_lo
	v_cndmask_b32_e32 v6, v6, v25, vcc_lo
	v_cmp_gt_u32_e32 vcc_lo, v75, v26
	ds_bpermute_b32 v8, v74, v5
	ds_bpermute_b32 v25, v74, v6
	s_waitcnt lgkmcnt(1)
	v_add_nc_u32_e32 v8, v5, v8
	s_waitcnt lgkmcnt(0)
	v_add_nc_u32_e32 v25, v6, v25
	v_cndmask_b32_e32 v5, v8, v5, vcc_lo
	v_cndmask_b32_e32 v6, v25, v6, vcc_lo
	v_cmp_gt_u32_e32 vcc_lo, v77, v26
	ds_bpermute_b32 v8, v76, v5
	ds_bpermute_b32 v25, v76, v6
	;; [unrolled: 9-line block ×3, first 2 shown]
	s_waitcnt lgkmcnt(1)
	v_add_nc_u32_e32 v8, v5, v8
	s_waitcnt lgkmcnt(0)
	v_add_nc_u32_e32 v25, v6, v25
	v_cndmask_b32_e32 v5, v8, v5, vcc_lo
	v_cndmask_b32_e32 v6, v25, v6, vcc_lo
	v_cmp_le_u32_e32 vcc_lo, v81, v26
	ds_bpermute_b32 v8, v80, v5
	ds_bpermute_b32 v25, v80, v6
	s_waitcnt lgkmcnt(1)
	v_cndmask_b32_e32 v8, 0, v8, vcc_lo
	s_waitcnt lgkmcnt(0)
	v_cndmask_b32_e32 v25, 0, v25, vcc_lo
	v_add3_u32 v5, v5, v3, v8
	v_add3_u32 v6, v6, v4, v25
.LBB333_127:                            ;   in Loop: Header=BB333_128 Depth=1
	s_and_b32 vcc_lo, exec_lo, s8
	s_cbranch_vccnz .LBB333_133
.LBB333_128:                            ; =>This Loop Header: Depth=1
                                        ;     Child Loop BB333_131 Depth 2
	v_cmp_ne_u16_sdwa s8, v7, v72 src0_sel:BYTE_0 src1_sel:DWORD
	v_mov_b32_e32 v3, v5
	v_mov_b32_e32 v4, v6
                                        ; implicit-def: $vgpr7
                                        ; implicit-def: $vgpr5_vgpr6
	s_cmp_lg_u32 s8, exec_lo
	s_mov_b32 s8, -1
	s_cbranch_scc1 .LBB333_127
; %bb.129:                              ;   in Loop: Header=BB333_128 Depth=1
	v_lshlrev_b64 v[5:6], 4, v[23:24]
	v_add_co_u32 v25, vcc_lo, s4, v5
	v_add_co_ci_u32_e64 v26, null, s5, v6, vcc_lo
	;;#ASMSTART
	global_load_dwordx4 v[5:8], v[25:26] off glc dlc	
s_waitcnt vmcnt(0)
	;;#ASMEND
	v_cmp_eq_u16_sdwa s9, v7, v24 src0_sel:BYTE_0 src1_sel:DWORD
	s_and_saveexec_b32 s8, s9
	s_cbranch_execz .LBB333_126
; %bb.130:                              ;   in Loop: Header=BB333_128 Depth=1
	s_mov_b32 s9, 0
.LBB333_131:                            ;   Parent Loop BB333_128 Depth=1
                                        ; =>  This Inner Loop Header: Depth=2
	;;#ASMSTART
	global_load_dwordx4 v[5:8], v[25:26] off glc dlc	
s_waitcnt vmcnt(0)
	;;#ASMEND
	v_cmp_ne_u16_sdwa s10, v7, v24 src0_sel:BYTE_0 src1_sel:DWORD
	s_or_b32 s9, s10, s9
	s_andn2_b32 exec_lo, exec_lo, s9
	s_cbranch_execnz .LBB333_131
	s_branch .LBB333_125
.LBB333_132:
                                        ; implicit-def: $vgpr23
                                        ; implicit-def: $vgpr3
                                        ; implicit-def: $vgpr24
	s_and_b32 vcc_lo, exec_lo, s3
	s_cbranch_vccnz .LBB333_138
	s_branch .LBB333_147
.LBB333_133:
	s_and_saveexec_b32 s8, s2
	s_cbranch_execnz .LBB333_375
; %bb.134:
	s_or_b32 exec_lo, exec_lo, s8
	s_and_saveexec_b32 s6, s2
	s_cbranch_execnz .LBB333_376
.LBB333_135:
	s_or_b32 exec_lo, exec_lo, s6
	v_cmp_eq_u32_e32 vcc_lo, 0, v0
	s_and_b32 exec_lo, exec_lo, vcc_lo
.LBB333_136:
	v_mov_b32_e32 v1, 0
	ds_write_b64 v1, v[3:4] offset:56
.LBB333_137:
	s_or_b32 exec_lo, exec_lo, s3
	v_mov_b32_e32 v1, 0
	s_waitcnt lgkmcnt(0)
	s_barrier
	buffer_gl0_inv
	v_cndmask_b32_e64 v7, v69, v21, s2
	ds_read_b64 v[5:6], v1 offset:56
	s_waitcnt lgkmcnt(0)
	s_barrier
	buffer_gl0_inv
	ds_read_b128 v[1:4], v1 offset:13312
	v_cndmask_b32_e64 v8, v70, v22, s2
	v_cmp_eq_u32_e32 vcc_lo, 0, v0
	v_add_nc_u32_e32 v7, v5, v7
	v_add_nc_u32_e32 v8, v6, v8
	v_cndmask_b32_e32 v24, v7, v5, vcc_lo
	v_cndmask_b32_e32 v23, v8, v6, vcc_lo
	s_branch .LBB333_147
.LBB333_138:
	s_waitcnt lgkmcnt(0)
	v_mov_b32_dpp v1, v67 row_shr:1 row_mask:0xf bank_mask:0xf
	v_mov_b32_dpp v2, v68 row_shr:1 row_mask:0xf bank_mask:0xf
	v_cmp_lt_u32_e32 vcc_lo, 3, v64
	v_add_nc_u32_e32 v1, v1, v67
	v_add_nc_u32_e32 v2, v2, v68
	v_cndmask_b32_e64 v1, v1, v67, s1
	v_cndmask_b32_e64 v2, v2, v68, s1
	s_mov_b32 s1, exec_lo
	v_mov_b32_dpp v3, v1 row_shr:2 row_mask:0xf bank_mask:0xf
	v_mov_b32_dpp v4, v2 row_shr:2 row_mask:0xf bank_mask:0xf
	v_add_nc_u32_e32 v3, v1, v3
	v_add_nc_u32_e32 v4, v2, v4
	v_cndmask_b32_e64 v1, v1, v3, s0
	v_cndmask_b32_e64 v2, v2, v4, s0
	v_mov_b32_dpp v3, v1 row_shr:4 row_mask:0xf bank_mask:0xf
	v_mov_b32_dpp v4, v2 row_shr:4 row_mask:0xf bank_mask:0xf
	v_add_nc_u32_e32 v3, v1, v3
	v_add_nc_u32_e32 v4, v2, v4
	v_cndmask_b32_e32 v3, v1, v3, vcc_lo
	v_cndmask_b32_e32 v2, v2, v4, vcc_lo
	v_cmp_lt_u32_e32 vcc_lo, 7, v64
	v_mov_b32_dpp v1, v3 row_shr:8 row_mask:0xf bank_mask:0xf
	v_mov_b32_dpp v4, v2 row_shr:8 row_mask:0xf bank_mask:0xf
	v_add_nc_u32_e32 v5, v3, v1
	v_add_nc_u32_e32 v1, v2, v4
	v_cndmask_b32_e32 v1, v2, v1, vcc_lo
	v_cndmask_b32_e32 v2, v3, v5, vcc_lo
	v_cmp_eq_u32_e32 vcc_lo, 0, v66
	ds_swizzle_b32 v3, v1 offset:swizzle(BROADCAST,32,15)
	ds_swizzle_b32 v4, v2 offset:swizzle(BROADCAST,32,15)
	s_waitcnt lgkmcnt(1)
	v_add_nc_u32_e32 v3, v1, v3
	s_waitcnt lgkmcnt(0)
	v_add_nc_u32_e32 v4, v2, v4
	v_cmpx_eq_u32_e64 v0, v65
	s_cbranch_execz .LBB333_140
; %bb.139:
	v_cndmask_b32_e32 v5, v4, v2, vcc_lo
	v_cndmask_b32_e32 v6, v3, v1, vcc_lo
	v_lshlrev_b32_e32 v7, 3, v63
	ds_write_b64 v7, v[5:6]
.LBB333_140:
	s_or_b32 exec_lo, exec_lo, s1
	s_mov_b32 s1, exec_lo
	s_waitcnt lgkmcnt(0)
	s_barrier
	buffer_gl0_inv
	v_cmpx_gt_u32_e32 8, v0
	s_cbranch_execz .LBB333_142
; %bb.141:
	v_lshlrev_b32_e32 v7, 3, v0
	v_and_b32_e32 v22, 7, v62
	ds_read_b64 v[5:6], v7
	v_cmp_eq_u32_e64 s0, 0, v22
	s_waitcnt lgkmcnt(0)
	v_mov_b32_dpp v8, v5 row_shr:1 row_mask:0xf bank_mask:0xf
	v_mov_b32_dpp v21, v6 row_shr:1 row_mask:0xf bank_mask:0xf
	v_add_nc_u32_e32 v8, v8, v5
	v_add_nc_u32_e32 v21, v21, v6
	v_cndmask_b32_e64 v5, v8, v5, s0
	v_cndmask_b32_e64 v6, v21, v6, s0
	v_cmp_lt_u32_e64 s0, 1, v22
	v_mov_b32_dpp v8, v5 row_shr:2 row_mask:0xf bank_mask:0xf
	v_mov_b32_dpp v21, v6 row_shr:2 row_mask:0xf bank_mask:0xf
	v_add_nc_u32_e32 v8, v5, v8
	v_add_nc_u32_e32 v21, v6, v21
	v_cndmask_b32_e64 v5, v5, v8, s0
	v_cndmask_b32_e64 v6, v6, v21, s0
	v_cmp_lt_u32_e64 s0, 3, v22
	v_mov_b32_dpp v8, v5 row_shr:4 row_mask:0xf bank_mask:0xf
	v_mov_b32_dpp v21, v6 row_shr:4 row_mask:0xf bank_mask:0xf
	v_cndmask_b32_e64 v8, 0, v8, s0
	v_cndmask_b32_e64 v21, 0, v21, s0
	v_add_nc_u32_e32 v5, v8, v5
	v_add_nc_u32_e32 v6, v21, v6
	ds_write_b64 v7, v[5:6]
.LBB333_142:
	s_or_b32 exec_lo, exec_lo, s1
	v_mov_b32_e32 v7, 0
	v_mov_b32_e32 v5, 0
	;; [unrolled: 1-line block ×3, first 2 shown]
	s_mov_b32 s1, exec_lo
	s_waitcnt lgkmcnt(0)
	s_barrier
	buffer_gl0_inv
	v_cmpx_lt_u32_e32 31, v0
; %bb.143:
	v_lshl_add_u32 v5, v63, 3, -8
	ds_read_b64 v[5:6], v5
; %bb.144:
	s_or_b32 exec_lo, exec_lo, s1
	v_sub_co_u32 v8, s0, v62, 1
	v_cndmask_b32_e32 v2, v4, v2, vcc_lo
	v_cndmask_b32_e32 v1, v3, v1, vcc_lo
	v_cmp_eq_u32_e32 vcc_lo, 0, v0
	v_cmp_gt_i32_e64 s1, 0, v8
	s_waitcnt lgkmcnt(0)
	v_add_nc_u32_e32 v2, v5, v2
	v_add_nc_u32_e32 v1, v6, v1
	v_cndmask_b32_e64 v4, v8, v62, s1
	v_lshlrev_b32_e32 v3, 2, v4
	ds_bpermute_b32 v8, v3, v2
	ds_bpermute_b32 v21, v3, v1
	ds_read_b64 v[1:2], v7 offset:56
	s_and_saveexec_b32 s1, vcc_lo
	s_cbranch_execz .LBB333_146
; %bb.145:
	s_add_u32 s2, s4, 0x200
	s_addc_u32 s3, s5, 0
	v_mov_b32_e32 v3, 2
	v_mov_b32_e32 v23, s3
	;; [unrolled: 1-line block ×4, first 2 shown]
	s_waitcnt lgkmcnt(0)
	;;#ASMSTART
	global_store_dwordx4 v[22:23], v[1:4] off	
s_waitcnt vmcnt(0)
	;;#ASMEND
.LBB333_146:
	s_or_b32 exec_lo, exec_lo, s1
	s_waitcnt lgkmcnt(1)
	v_cndmask_b32_e64 v3, v21, v6, s0
	v_cndmask_b32_e64 v5, v8, v5, s0
	v_mov_b32_e32 v4, 0
	s_waitcnt lgkmcnt(0)
	s_barrier
	v_cndmask_b32_e64 v23, v3, 0, vcc_lo
	v_cndmask_b32_e64 v24, v5, 0, vcc_lo
	v_mov_b32_e32 v3, 0
	buffer_gl0_inv
.LBB333_147:
	v_add_nc_u32_e32 v61, v23, v61
	v_add_nc_u32_e32 v60, v24, v60
	s_waitcnt lgkmcnt(0)
	v_sub_nc_u32_e32 v23, v23, v4
	v_lshrrev_b32_e32 v26, 8, v36
	v_lshlrev_b32_e32 v66, 1, v1
	v_add_nc_u32_e32 v58, v61, v58
	v_sub_nc_u32_e32 v61, v61, v4
	v_add_nc_u32_e32 v57, v60, v57
	v_sub_nc_u32_e32 v24, v24, v3
	v_sub_nc_u32_e32 v60, v60, v3
	v_add_nc_u32_e32 v23, v23, v1
	v_add_nc_u32_e32 v61, v61, v1
	v_and_b32_e32 v26, 1, v26
	v_mov_b32_e32 v68, 1
	v_add3_u32 v29, v66, v2, v29
	v_add_nc_u32_e32 v73, v24, v23
	v_add_nc_u32_e32 v72, v61, v60
	v_cmp_eq_u32_e32 vcc_lo, 1, v26
	v_and_b32_sdwa v71, v68, v36 dst_sel:DWORD dst_unused:UNUSED_PAD src0_sel:DWORD src1_sel:WORD_1
	v_lshrrev_b32_e32 v25, 8, v30
	v_sub_nc_u32_e32 v73, v29, v73
	v_sub_nc_u32_e32 v72, v29, v72
	v_and_b32_e32 v67, 1, v30
	v_add_nc_u32_e32 v62, v58, v43
	v_and_b32_e32 v25, 1, v25
	v_cndmask_b32_e32 v23, v73, v23, vcc_lo
	v_add_nc_u32_e32 v72, 1, v72
	v_cmp_eq_u32_e32 vcc_lo, 1, v71
	v_sub_nc_u32_e32 v58, v58, v4
	v_add_nc_u32_e32 v59, v57, v59
	v_sub_nc_u32_e32 v57, v57, v3
	v_add_co_u32 v5, s0, s28, v3
	v_cndmask_b32_e32 v26, v72, v61, vcc_lo
	v_cmp_eq_u32_e32 vcc_lo, 1, v67
	v_add_nc_u32_e32 v58, v58, v1
	v_add_co_ci_u32_e64 v6, null, s29, 0, s0
	v_sub_co_u32 v64, s0, s30, v1
	v_cndmask_b32_e32 v67, v23, v24, vcc_lo
	v_cmp_eq_u32_e32 vcc_lo, 1, v25
	v_sub_co_ci_u32_e64 v65, null, s31, 0, s0
	v_and_b32_e32 v43, 1, v43
	v_add_nc_u32_e32 v56, v62, v56
	v_cndmask_b32_e32 v25, v26, v60, vcc_lo
	v_add_nc_u32_e32 v26, v58, v57
	v_add_co_u32 v23, vcc_lo, v64, v4
	v_add_co_ci_u32_e64 v24, null, 0, v65, vcc_lo
	v_sub_nc_u32_e32 v26, v29, v26
	v_sub_nc_u32_e32 v62, v62, v4
	v_and_b32_sdwa v30, v68, v30 dst_sel:DWORD dst_unused:UNUSED_PAD src0_sel:DWORD src1_sel:WORD_1
	v_cmp_eq_u32_e32 vcc_lo, 1, v43
	v_add_nc_u32_e32 v63, v59, v42
	v_add_nc_u32_e32 v26, 2, v26
	v_sub_nc_u32_e32 v59, v59, v3
	v_add_nc_u32_e32 v62, v62, v1
	v_add_nc_u32_e32 v55, v56, v55
	v_lshlrev_b32_e32 v60, 2, v67
	v_cndmask_b32_e32 v26, v26, v58, vcc_lo
	v_cmp_eq_u32_e32 vcc_lo, 1, v30
	v_lshlrev_b32_e32 v25, 2, v25
	v_sub_nc_u32_e32 v56, v56, v4
	v_add_nc_u32_e32 v43, v59, v62
	v_sub_nc_u32_e32 v58, v63, v3
	v_cndmask_b32_e32 v26, v26, v57, vcc_lo
	ds_write_b32 v60, v19
	v_add_nc_u32_e32 v56, v56, v1
	v_sub_nc_u32_e32 v19, v29, v43
	ds_write_b32 v25, v20
	v_lshlrev_b32_e32 v25, 2, v26
	v_and_b32_e32 v26, 1, v31
	v_lshrrev_b32_e32 v22, 8, v31
	v_add_nc_u32_e32 v54, v63, v54
	v_add_nc_u32_e32 v20, v58, v56
	;; [unrolled: 1-line block ×3, first 2 shown]
	v_and_b32_e32 v30, 1, v42
	v_sub_nc_u32_e32 v42, v55, v4
	v_cmp_eq_u32_e32 vcc_lo, 1, v26
	v_sub_nc_u32_e32 v20, v29, v20
	v_and_b32_e32 v22, 1, v22
	v_sub_nc_u32_e32 v26, v54, v3
	v_add_nc_u32_e32 v42, v42, v1
	v_cndmask_b32_e32 v19, v19, v62, vcc_lo
	v_cmp_eq_u32_e32 vcc_lo, 1, v30
	v_add_nc_u32_e32 v20, 4, v20
	v_and_b32_e32 v30, 1, v32
	v_add_nc_u32_e32 v43, v26, v42
	v_lshrrev_b32_e32 v21, 8, v32
	v_cndmask_b32_e32 v19, v19, v59, vcc_lo
	v_cmp_eq_u32_e32 vcc_lo, 1, v22
	v_add_nc_u32_e32 v53, v55, v53
	ds_write_b32 v25, v17
	v_and_b32_sdwa v25, v68, v31 dst_sel:DWORD dst_unused:UNUSED_PAD src0_sel:DWORD src1_sel:WORD_1
	v_lshlrev_b32_e32 v17, 2, v19
	v_cndmask_b32_e32 v20, v20, v56, vcc_lo
	v_sub_nc_u32_e32 v19, v29, v43
	v_cmp_eq_u32_e32 vcc_lo, 1, v30
	v_add_nc_u32_e32 v52, v54, v52
	v_add_nc_u32_e32 v69, v53, v41
	v_and_b32_e32 v21, 1, v21
	v_sub_nc_u32_e32 v22, v53, v4
	v_cndmask_b32_e32 v20, v20, v58, vcc_lo
	v_add_nc_u32_e32 v19, 5, v19
	v_cmp_eq_u32_e32 vcc_lo, 1, v25
	v_add_nc_u32_e32 v46, v52, v46
	v_sub_nc_u32_e32 v30, v52, v3
	v_sub_nc_u32_e32 v31, v69, v4
	v_add_nc_u32_e32 v22, v22, v1
	v_cndmask_b32_e32 v19, v19, v42, vcc_lo
	v_cmp_eq_u32_e32 vcc_lo, 1, v21
	v_sub_nc_u32_e32 v25, v46, v3
	v_add_nc_u32_e32 v31, v31, v1
	v_lshlrev_b32_e32 v20, 2, v20
	v_add_nc_u32_e32 v42, v30, v22
	v_cndmask_b32_e32 v19, v19, v26, vcc_lo
	ds_write_b32 v17, v18
	v_add_nc_u32_e32 v21, v25, v31
	ds_write_b32 v20, v15
	v_sub_nc_u32_e32 v17, v29, v42
	v_lshlrev_b32_e32 v15, 2, v19
	v_and_b32_e32 v19, 1, v41
	v_sub_nc_u32_e32 v18, v29, v21
	v_and_b32_e32 v21, 1, v33
	v_add_nc_u32_e32 v17, 6, v17
	v_add_nc_u32_e32 v51, v69, v51
	v_cmp_eq_u32_e32 vcc_lo, 1, v19
	v_and_b32_sdwa v20, v68, v32 dst_sel:DWORD dst_unused:UNUSED_PAD src0_sel:DWORD src1_sel:WORD_1
	v_add_nc_u32_e32 v18, 7, v18
	v_add_nc_u32_e32 v70, v46, v40
	v_sub_nc_u32_e32 v19, v51, v4
	v_cndmask_b32_e32 v17, v17, v22, vcc_lo
	v_cmp_eq_u32_e32 vcc_lo, 1, v21
	v_and_b32_e32 v22, 1, v40
	v_add_nc_u32_e32 v50, v51, v50
	v_sub_nc_u32_e32 v21, v70, v3
	v_add_nc_u32_e32 v19, v19, v1
	v_cndmask_b32_e32 v18, v18, v31, vcc_lo
	v_cmp_eq_u32_e32 vcc_lo, 1, v20
	v_lshrrev_b32_e32 v8, 8, v33
	v_add_nc_u32_e32 v49, v70, v49
	v_add_nc_u32_e32 v20, v21, v19
	ds_write_b32 v15, v16
	v_cndmask_b32_e32 v17, v17, v30, vcc_lo
	v_cmp_eq_u32_e32 vcc_lo, 1, v22
	v_sub_nc_u32_e32 v15, v50, v4
	v_add_nc_u32_e32 v48, v50, v48
	v_and_b32_e32 v8, 1, v8
	v_lshlrev_b32_e32 v16, 2, v17
	v_cndmask_b32_e32 v18, v18, v25, vcc_lo
	v_add_nc_u32_e32 v15, v15, v1
	v_add_nc_u32_e32 v47, v49, v47
	v_cmp_eq_u32_e32 vcc_lo, 1, v8
	v_lshrrev_b32_e32 v7, 8, v35
	v_lshlrev_b32_e32 v17, 2, v18
	v_sub_nc_u32_e32 v18, v29, v20
	v_sub_nc_u32_e32 v20, v49, v3
	ds_write_b32 v16, v13
	ds_write_b32 v17, v14
	v_and_b32_e32 v16, 1, v35
	v_add_nc_u32_e32 v13, 8, v18
	v_add_nc_u32_e32 v14, v20, v15
	v_sub_nc_u32_e32 v17, v48, v4
	v_add_nc_u32_e32 v74, v48, v39
	v_add_nc_u32_e32 v45, v47, v45
	v_cndmask_b32_e32 v8, v13, v19, vcc_lo
	v_sub_nc_u32_e32 v13, v29, v14
	v_sub_nc_u32_e32 v14, v47, v3
	v_add_nc_u32_e32 v17, v17, v1
	v_cmp_eq_u32_e32 vcc_lo, 1, v16
	v_and_b32_sdwa v16, v68, v33 dst_sel:DWORD dst_unused:UNUSED_PAD src0_sel:DWORD src1_sel:WORD_1
	v_add_nc_u32_e32 v44, v74, v44
	v_add_nc_u32_e32 v13, 9, v13
	v_and_b32_e32 v7, 1, v7
	v_cndmask_b32_e32 v8, v8, v21, vcc_lo
	v_add_nc_u32_e32 v18, v14, v17
	v_sub_nc_u32_e32 v19, v74, v4
	v_cmp_eq_u32_e32 vcc_lo, 1, v16
	v_add_nc_u32_e32 v61, v45, v38
	v_and_b32_e32 v25, 1, v37
	v_sub_nc_u32_e32 v16, v29, v18
	v_sub_nc_u32_e32 v18, v45, v3
	v_cndmask_b32_e32 v13, v13, v15, vcc_lo
	v_sub_nc_u32_e32 v15, v44, v4
	v_add_nc_u32_e32 v19, v19, v1
	v_cmp_eq_u32_e32 vcc_lo, 1, v7
	v_sub_nc_u32_e32 v3, v61, v3
	v_add_nc_u32_e32 v16, 10, v16
	v_add_nc_u32_e32 v15, v15, v1
	v_and_b32_sdwa v22, v68, v35 dst_sel:DWORD dst_unused:UNUSED_PAD src0_sel:DWORD src1_sel:WORD_1
	v_cndmask_b32_e32 v7, v13, v20, vcc_lo
	v_add_nc_u32_e32 v13, v18, v19
	v_and_b32_e32 v20, 1, v39
	v_add_nc_u32_e32 v21, v3, v15
	v_lshlrev_b32_e32 v8, 2, v8
	v_lshlrev_b32_e32 v7, 2, v7
	v_sub_nc_u32_e32 v13, v29, v13
	v_cmp_eq_u32_e32 vcc_lo, 1, v20
	v_and_b32_e32 v20, 1, v34
	v_add_nc_u32_e32 v13, 11, v13
	v_cndmask_b32_e32 v16, v16, v17, vcc_lo
	v_sub_nc_u32_e32 v17, v29, v21
	v_cmp_eq_u32_e32 vcc_lo, 1, v20
	v_and_b32_e32 v21, 1, v38
	v_add_nc_u32_e32 v17, 12, v17
	v_cndmask_b32_e32 v13, v13, v19, vcc_lo
	v_cmp_eq_u32_e32 vcc_lo, 1, v25
	v_and_b32_e32 v19, 1, v36
	v_cndmask_b32_e32 v15, v17, v15, vcc_lo
	v_cmp_eq_u32_e32 vcc_lo, 1, v22
	v_cndmask_b32_e32 v14, v16, v14, vcc_lo
	v_cmp_eq_u32_e32 vcc_lo, 1, v21
	v_lshlrev_b32_e32 v14, 2, v14
	v_cndmask_b32_e32 v13, v13, v18, vcc_lo
	v_cmp_eq_u32_e32 vcc_lo, 1, v19
	v_lshlrev_b32_e32 v13, 2, v13
	v_cndmask_b32_e32 v3, v15, v3, vcc_lo
	v_lshlrev_b32_e32 v3, 2, v3
	ds_write_b32 v8, v11
	ds_write_b32 v7, v12
	;; [unrolled: 1-line block ×5, first 2 shown]
	v_add_co_u32 v3, s0, v2, v66
	v_add_co_ci_u32_e64 v7, null, 0, 0, s0
	s_add_u32 s0, s34, s42
	v_add_co_u32 v3, vcc_lo, v3, v23
	v_add_co_ci_u32_e64 v7, null, v7, v24, vcc_lo
	s_addc_u32 s1, s35, 0
	v_add_co_u32 v3, vcc_lo, v3, v5
	v_add_co_ci_u32_e64 v9, null, v7, v6, vcc_lo
	v_lshlrev_b64 v[7:8], 2, v[23:24]
	v_sub_co_u32 v3, vcc_lo, s0, v3
	v_sub_co_ci_u32_e64 v11, null, s1, v9, vcc_lo
	v_lshlrev_b64 v[9:10], 2, v[5:6]
	v_add_co_u32 v7, vcc_lo, s38, v7
	v_add_co_ci_u32_e64 v8, null, s39, v8, vcc_lo
	v_cmp_ne_u32_e32 vcc_lo, 1, v27
	v_add_co_u32 v9, s0, s36, v9
	v_add_nc_u32_e32 v12, v1, v2
	v_add_co_ci_u32_e64 v10, null, s37, v10, s0
	s_and_b32 vcc_lo, exec_lo, vcc_lo
	s_mov_b32 s0, -1
	s_waitcnt lgkmcnt(0)
	s_barrier
	buffer_gl0_inv
	s_cbranch_vccz .LBB333_151
; %bb.148:
	s_and_b32 vcc_lo, exec_lo, s0
	s_cbranch_vccnz .LBB333_256
.LBB333_149:
	v_cmp_eq_u32_e32 vcc_lo, 0, v0
	s_and_b32 s0, vcc_lo, s33
	s_and_saveexec_b32 s1, s0
	s_cbranch_execnz .LBB333_374
.LBB333_150:
	s_endpgm
.LBB333_151:
	s_mov_b32 s0, exec_lo
	v_cmpx_ge_u32_e64 v0, v1
	s_xor_b32 s0, exec_lo, s0
	s_cbranch_execz .LBB333_157
; %bb.152:
	s_mov_b32 s1, exec_lo
	v_cmpx_ge_u32_e64 v0, v12
	s_xor_b32 s1, exec_lo, s1
	s_cbranch_execz .LBB333_154
; %bb.153:
	v_lshlrev_b32_e32 v13, 2, v0
	ds_read_b32 v15, v13
	v_add_co_u32 v13, vcc_lo, v3, v0
	v_add_co_ci_u32_e64 v14, null, 0, v11, vcc_lo
	v_lshlrev_b64 v[13:14], 2, v[13:14]
	v_sub_co_u32 v13, vcc_lo, s26, v13
	v_sub_co_ci_u32_e64 v14, null, s27, v14, vcc_lo
	s_waitcnt lgkmcnt(0)
	global_store_dword v[13:14], v15, off offset:-4
.LBB333_154:
	s_andn2_saveexec_b32 s1, s1
	s_cbranch_execz .LBB333_156
; %bb.155:
	v_lshlrev_b32_e32 v13, 2, v0
	v_readfirstlane_b32 s2, v7
	v_readfirstlane_b32 s3, v8
	ds_read_b32 v14, v13
	s_waitcnt lgkmcnt(0)
	global_store_dword v13, v14, s[2:3]
.LBB333_156:
	s_or_b32 exec_lo, exec_lo, s1
.LBB333_157:
	s_andn2_saveexec_b32 s0, s0
	s_cbranch_execz .LBB333_159
; %bb.158:
	v_lshlrev_b32_e32 v13, 2, v0
	v_readfirstlane_b32 s2, v9
	v_readfirstlane_b32 s3, v10
	ds_read_b32 v14, v13
	s_waitcnt lgkmcnt(0)
	global_store_dword v13, v14, s[2:3]
.LBB333_159:
	s_or_b32 exec_lo, exec_lo, s0
	v_or_b32_e32 v13, 0x100, v0
	s_mov_b32 s0, exec_lo
	v_cmpx_ge_u32_e64 v13, v1
	s_xor_b32 s0, exec_lo, s0
	s_cbranch_execz .LBB333_165
; %bb.160:
	s_mov_b32 s1, exec_lo
	v_cmpx_ge_u32_e64 v13, v12
	s_xor_b32 s1, exec_lo, s1
	s_cbranch_execz .LBB333_162
; %bb.161:
	v_lshlrev_b32_e32 v13, 2, v0
	ds_read_b32 v15, v13 offset:1024
	v_add_co_u32 v13, vcc_lo, v3, v0
	v_add_co_ci_u32_e64 v14, null, 0, v11, vcc_lo
	v_lshlrev_b64 v[13:14], 2, v[13:14]
	v_sub_co_u32 v13, vcc_lo, s26, v13
	v_sub_co_ci_u32_e64 v14, null, s27, v14, vcc_lo
	s_waitcnt lgkmcnt(0)
	global_store_dword v[13:14], v15, off offset:-1028
.LBB333_162:
	s_andn2_saveexec_b32 s1, s1
	s_cbranch_execz .LBB333_164
; %bb.163:
	v_lshlrev_b32_e32 v13, 2, v0
	v_readfirstlane_b32 s2, v7
	v_readfirstlane_b32 s3, v8
	ds_read_b32 v14, v13 offset:1024
	s_waitcnt lgkmcnt(0)
	global_store_dword v13, v14, s[2:3] offset:1024
.LBB333_164:
	s_or_b32 exec_lo, exec_lo, s1
.LBB333_165:
	s_andn2_saveexec_b32 s0, s0
	s_cbranch_execz .LBB333_167
; %bb.166:
	v_lshlrev_b32_e32 v13, 2, v0
	v_readfirstlane_b32 s2, v9
	v_readfirstlane_b32 s3, v10
	ds_read_b32 v14, v13 offset:1024
	s_waitcnt lgkmcnt(0)
	global_store_dword v13, v14, s[2:3] offset:1024
.LBB333_167:
	s_or_b32 exec_lo, exec_lo, s0
	v_or_b32_e32 v13, 0x200, v0
	s_mov_b32 s0, exec_lo
	v_cmpx_ge_u32_e64 v13, v1
	s_xor_b32 s0, exec_lo, s0
	s_cbranch_execz .LBB333_173
; %bb.168:
	s_mov_b32 s1, exec_lo
	v_cmpx_ge_u32_e64 v13, v12
	s_xor_b32 s1, exec_lo, s1
	s_cbranch_execz .LBB333_170
; %bb.169:
	v_lshlrev_b32_e32 v15, 2, v0
	v_add_co_u32 v13, vcc_lo, v3, v0
	v_add_co_ci_u32_e64 v14, null, 0, v11, vcc_lo
	ds_read_b32 v15, v15 offset:2048
	v_lshlrev_b64 v[13:14], 2, v[13:14]
	v_sub_co_u32 v13, vcc_lo, s26, v13
	v_sub_co_ci_u32_e64 v14, null, s27, v14, vcc_lo
	v_add_co_u32 v13, vcc_lo, 0xfffff800, v13
	v_add_co_ci_u32_e64 v14, null, -1, v14, vcc_lo
	s_waitcnt lgkmcnt(0)
	global_store_dword v[13:14], v15, off offset:-4
                                        ; implicit-def: $vgpr13
.LBB333_170:
	s_andn2_saveexec_b32 s1, s1
	s_cbranch_execz .LBB333_172
; %bb.171:
	v_lshlrev_b32_e32 v14, 2, v0
	v_lshlrev_b32_e32 v13, 2, v13
	v_readfirstlane_b32 s2, v7
	v_readfirstlane_b32 s3, v8
	ds_read_b32 v14, v14 offset:2048
	s_waitcnt lgkmcnt(0)
	global_store_dword v13, v14, s[2:3]
.LBB333_172:
	s_or_b32 exec_lo, exec_lo, s1
                                        ; implicit-def: $vgpr13
.LBB333_173:
	s_andn2_saveexec_b32 s0, s0
	s_cbranch_execz .LBB333_175
; %bb.174:
	v_lshlrev_b32_e32 v14, 2, v0
	v_lshlrev_b32_e32 v13, 2, v13
	v_readfirstlane_b32 s2, v9
	v_readfirstlane_b32 s3, v10
	ds_read_b32 v14, v14 offset:2048
	s_waitcnt lgkmcnt(0)
	global_store_dword v13, v14, s[2:3]
.LBB333_175:
	s_or_b32 exec_lo, exec_lo, s0
	v_or_b32_e32 v13, 0x300, v0
	s_mov_b32 s0, exec_lo
	v_cmpx_ge_u32_e64 v13, v1
	s_xor_b32 s0, exec_lo, s0
	s_cbranch_execz .LBB333_181
; %bb.176:
	s_mov_b32 s1, exec_lo
	v_cmpx_ge_u32_e64 v13, v12
	s_xor_b32 s1, exec_lo, s1
	s_cbranch_execz .LBB333_178
; %bb.177:
	v_lshlrev_b32_e32 v14, 2, v0
	v_add_co_u32 v13, vcc_lo, v3, v13
	ds_read_b32 v15, v14 offset:3072
	v_add_co_ci_u32_e64 v14, null, 0, v11, vcc_lo
	v_lshlrev_b64 v[13:14], 2, v[13:14]
	v_sub_co_u32 v13, vcc_lo, s26, v13
	v_sub_co_ci_u32_e64 v14, null, s27, v14, vcc_lo
	s_waitcnt lgkmcnt(0)
	global_store_dword v[13:14], v15, off offset:-4
                                        ; implicit-def: $vgpr13
.LBB333_178:
	s_andn2_saveexec_b32 s1, s1
	s_cbranch_execz .LBB333_180
; %bb.179:
	v_lshlrev_b32_e32 v14, 2, v0
	v_lshlrev_b32_e32 v13, 2, v13
	v_readfirstlane_b32 s2, v7
	v_readfirstlane_b32 s3, v8
	ds_read_b32 v14, v14 offset:3072
	s_waitcnt lgkmcnt(0)
	global_store_dword v13, v14, s[2:3]
.LBB333_180:
	s_or_b32 exec_lo, exec_lo, s1
                                        ; implicit-def: $vgpr13
.LBB333_181:
	s_andn2_saveexec_b32 s0, s0
	s_cbranch_execz .LBB333_183
; %bb.182:
	v_lshlrev_b32_e32 v14, 2, v0
	v_lshlrev_b32_e32 v13, 2, v13
	v_readfirstlane_b32 s2, v9
	v_readfirstlane_b32 s3, v10
	ds_read_b32 v14, v14 offset:3072
	s_waitcnt lgkmcnt(0)
	global_store_dword v13, v14, s[2:3]
.LBB333_183:
	s_or_b32 exec_lo, exec_lo, s0
	v_or_b32_e32 v13, 0x400, v0
	s_mov_b32 s0, exec_lo
	v_cmpx_ge_u32_e64 v13, v1
	s_xor_b32 s0, exec_lo, s0
	s_cbranch_execz .LBB333_189
; %bb.184:
	s_mov_b32 s1, exec_lo
	v_cmpx_ge_u32_e64 v13, v12
	s_xor_b32 s1, exec_lo, s1
	s_cbranch_execz .LBB333_186
; %bb.185:
	v_lshlrev_b32_e32 v14, 2, v0
	v_add_co_u32 v13, vcc_lo, v3, v13
	ds_read_b32 v15, v14 offset:4096
	v_add_co_ci_u32_e64 v14, null, 0, v11, vcc_lo
	v_lshlrev_b64 v[13:14], 2, v[13:14]
	v_sub_co_u32 v13, vcc_lo, s26, v13
	v_sub_co_ci_u32_e64 v14, null, s27, v14, vcc_lo
	s_waitcnt lgkmcnt(0)
	global_store_dword v[13:14], v15, off offset:-4
                                        ; implicit-def: $vgpr13
.LBB333_186:
	s_andn2_saveexec_b32 s1, s1
	s_cbranch_execz .LBB333_188
; %bb.187:
	v_lshlrev_b32_e32 v14, 2, v0
	v_lshlrev_b32_e32 v13, 2, v13
	v_readfirstlane_b32 s2, v7
	v_readfirstlane_b32 s3, v8
	ds_read_b32 v14, v14 offset:4096
	s_waitcnt lgkmcnt(0)
	global_store_dword v13, v14, s[2:3]
.LBB333_188:
	s_or_b32 exec_lo, exec_lo, s1
                                        ; implicit-def: $vgpr13
.LBB333_189:
	;; [unrolled: 48-line block ×10, first 2 shown]
	s_andn2_saveexec_b32 s0, s0
	s_cbranch_execz .LBB333_255
; %bb.254:
	v_lshlrev_b32_e32 v14, 2, v0
	v_lshlrev_b32_e32 v13, 2, v13
	v_readfirstlane_b32 s2, v9
	v_readfirstlane_b32 s3, v10
	ds_read_b32 v14, v14 offset:12288
	s_waitcnt lgkmcnt(0)
	global_store_dword v13, v14, s[2:3]
.LBB333_255:
	s_or_b32 exec_lo, exec_lo, s0
	s_branch .LBB333_149
.LBB333_256:
	s_mov_b32 s0, exec_lo
	v_cmpx_gt_u32_e64 s7, v0
	s_cbranch_execz .LBB333_265
; %bb.257:
	s_mov_b32 s1, exec_lo
	v_cmpx_ge_u32_e64 v0, v1
	s_xor_b32 s1, exec_lo, s1
	s_cbranch_execz .LBB333_263
; %bb.258:
	s_mov_b32 s2, exec_lo
	v_cmpx_ge_u32_e64 v0, v12
	s_xor_b32 s2, exec_lo, s2
	s_cbranch_execz .LBB333_260
; %bb.259:
	v_lshlrev_b32_e32 v13, 2, v0
	ds_read_b32 v15, v13
	v_add_co_u32 v13, vcc_lo, v3, v0
	v_add_co_ci_u32_e64 v14, null, 0, v11, vcc_lo
	v_lshlrev_b64 v[13:14], 2, v[13:14]
	v_sub_co_u32 v13, vcc_lo, s26, v13
	v_sub_co_ci_u32_e64 v14, null, s27, v14, vcc_lo
	s_waitcnt lgkmcnt(0)
	global_store_dword v[13:14], v15, off offset:-4
.LBB333_260:
	s_andn2_saveexec_b32 s2, s2
	s_cbranch_execz .LBB333_262
; %bb.261:
	v_lshlrev_b32_e32 v13, 2, v0
	v_readfirstlane_b32 s4, v7
	v_readfirstlane_b32 s5, v8
	ds_read_b32 v14, v13
	s_waitcnt lgkmcnt(0)
	global_store_dword v13, v14, s[4:5]
.LBB333_262:
	s_or_b32 exec_lo, exec_lo, s2
.LBB333_263:
	s_andn2_saveexec_b32 s1, s1
	s_cbranch_execz .LBB333_265
; %bb.264:
	v_lshlrev_b32_e32 v13, 2, v0
	v_readfirstlane_b32 s2, v9
	v_readfirstlane_b32 s3, v10
	ds_read_b32 v14, v13
	s_waitcnt lgkmcnt(0)
	global_store_dword v13, v14, s[2:3]
.LBB333_265:
	s_or_b32 exec_lo, exec_lo, s0
	v_or_b32_e32 v13, 0x100, v0
	s_mov_b32 s0, exec_lo
	v_cmpx_gt_u32_e64 s7, v13
	s_cbranch_execz .LBB333_274
; %bb.266:
	s_mov_b32 s1, exec_lo
	v_cmpx_ge_u32_e64 v13, v1
	s_xor_b32 s1, exec_lo, s1
	s_cbranch_execz .LBB333_272
; %bb.267:
	s_mov_b32 s2, exec_lo
	v_cmpx_ge_u32_e64 v13, v12
	s_xor_b32 s2, exec_lo, s2
	s_cbranch_execz .LBB333_269
; %bb.268:
	v_lshlrev_b32_e32 v13, 2, v0
	ds_read_b32 v15, v13 offset:1024
	v_add_co_u32 v13, vcc_lo, v3, v0
	v_add_co_ci_u32_e64 v14, null, 0, v11, vcc_lo
	v_lshlrev_b64 v[13:14], 2, v[13:14]
	v_sub_co_u32 v13, vcc_lo, s26, v13
	v_sub_co_ci_u32_e64 v14, null, s27, v14, vcc_lo
	s_waitcnt lgkmcnt(0)
	global_store_dword v[13:14], v15, off offset:-1028
.LBB333_269:
	s_andn2_saveexec_b32 s2, s2
	s_cbranch_execz .LBB333_271
; %bb.270:
	v_lshlrev_b32_e32 v13, 2, v0
	v_readfirstlane_b32 s4, v7
	v_readfirstlane_b32 s5, v8
	ds_read_b32 v14, v13 offset:1024
	s_waitcnt lgkmcnt(0)
	global_store_dword v13, v14, s[4:5] offset:1024
.LBB333_271:
	s_or_b32 exec_lo, exec_lo, s2
.LBB333_272:
	s_andn2_saveexec_b32 s1, s1
	s_cbranch_execz .LBB333_274
; %bb.273:
	v_lshlrev_b32_e32 v13, 2, v0
	v_readfirstlane_b32 s2, v9
	v_readfirstlane_b32 s3, v10
	ds_read_b32 v14, v13 offset:1024
	s_waitcnt lgkmcnt(0)
	global_store_dword v13, v14, s[2:3] offset:1024
.LBB333_274:
	s_or_b32 exec_lo, exec_lo, s0
	v_or_b32_e32 v13, 0x200, v0
	s_mov_b32 s0, exec_lo
	v_cmpx_gt_u32_e64 s7, v13
	s_cbranch_execz .LBB333_283
; %bb.275:
	s_mov_b32 s1, exec_lo
	v_cmpx_ge_u32_e64 v13, v1
	s_xor_b32 s1, exec_lo, s1
	s_cbranch_execz .LBB333_281
; %bb.276:
	s_mov_b32 s2, exec_lo
	v_cmpx_ge_u32_e64 v13, v12
	s_xor_b32 s2, exec_lo, s2
	s_cbranch_execz .LBB333_278
; %bb.277:
	v_lshlrev_b32_e32 v15, 2, v0
	v_add_co_u32 v13, vcc_lo, v3, v0
	v_add_co_ci_u32_e64 v14, null, 0, v11, vcc_lo
	ds_read_b32 v15, v15 offset:2048
	v_lshlrev_b64 v[13:14], 2, v[13:14]
	v_sub_co_u32 v13, vcc_lo, s26, v13
	v_sub_co_ci_u32_e64 v14, null, s27, v14, vcc_lo
	v_add_co_u32 v13, vcc_lo, 0xfffff800, v13
	v_add_co_ci_u32_e64 v14, null, -1, v14, vcc_lo
	s_waitcnt lgkmcnt(0)
	global_store_dword v[13:14], v15, off offset:-4
                                        ; implicit-def: $vgpr13
.LBB333_278:
	s_andn2_saveexec_b32 s2, s2
	s_cbranch_execz .LBB333_280
; %bb.279:
	v_lshlrev_b32_e32 v14, 2, v0
	v_lshlrev_b32_e32 v13, 2, v13
	v_readfirstlane_b32 s4, v7
	v_readfirstlane_b32 s5, v8
	ds_read_b32 v14, v14 offset:2048
	s_waitcnt lgkmcnt(0)
	global_store_dword v13, v14, s[4:5]
.LBB333_280:
	s_or_b32 exec_lo, exec_lo, s2
                                        ; implicit-def: $vgpr13
.LBB333_281:
	s_andn2_saveexec_b32 s1, s1
	s_cbranch_execz .LBB333_283
; %bb.282:
	v_lshlrev_b32_e32 v14, 2, v0
	v_lshlrev_b32_e32 v13, 2, v13
	v_readfirstlane_b32 s2, v9
	v_readfirstlane_b32 s3, v10
	ds_read_b32 v14, v14 offset:2048
	s_waitcnt lgkmcnt(0)
	global_store_dword v13, v14, s[2:3]
.LBB333_283:
	s_or_b32 exec_lo, exec_lo, s0
	v_or_b32_e32 v13, 0x300, v0
	s_mov_b32 s0, exec_lo
	v_cmpx_gt_u32_e64 s7, v13
	s_cbranch_execz .LBB333_292
; %bb.284:
	s_mov_b32 s1, exec_lo
	v_cmpx_ge_u32_e64 v13, v1
	s_xor_b32 s1, exec_lo, s1
	s_cbranch_execz .LBB333_290
; %bb.285:
	s_mov_b32 s2, exec_lo
	v_cmpx_ge_u32_e64 v13, v12
	s_xor_b32 s2, exec_lo, s2
	s_cbranch_execz .LBB333_287
; %bb.286:
	v_lshlrev_b32_e32 v14, 2, v0
	v_add_co_u32 v13, vcc_lo, v3, v13
	ds_read_b32 v15, v14 offset:3072
	v_add_co_ci_u32_e64 v14, null, 0, v11, vcc_lo
	v_lshlrev_b64 v[13:14], 2, v[13:14]
	v_sub_co_u32 v13, vcc_lo, s26, v13
	v_sub_co_ci_u32_e64 v14, null, s27, v14, vcc_lo
	s_waitcnt lgkmcnt(0)
	global_store_dword v[13:14], v15, off offset:-4
                                        ; implicit-def: $vgpr13
.LBB333_287:
	s_andn2_saveexec_b32 s2, s2
	s_cbranch_execz .LBB333_289
; %bb.288:
	v_lshlrev_b32_e32 v14, 2, v0
	v_lshlrev_b32_e32 v13, 2, v13
	v_readfirstlane_b32 s4, v7
	v_readfirstlane_b32 s5, v8
	ds_read_b32 v14, v14 offset:3072
	s_waitcnt lgkmcnt(0)
	global_store_dword v13, v14, s[4:5]
.LBB333_289:
	s_or_b32 exec_lo, exec_lo, s2
                                        ; implicit-def: $vgpr13
.LBB333_290:
	s_andn2_saveexec_b32 s1, s1
	s_cbranch_execz .LBB333_292
; %bb.291:
	v_lshlrev_b32_e32 v14, 2, v0
	v_lshlrev_b32_e32 v13, 2, v13
	v_readfirstlane_b32 s2, v9
	v_readfirstlane_b32 s3, v10
	ds_read_b32 v14, v14 offset:3072
	s_waitcnt lgkmcnt(0)
	global_store_dword v13, v14, s[2:3]
.LBB333_292:
	s_or_b32 exec_lo, exec_lo, s0
	v_or_b32_e32 v13, 0x400, v0
	s_mov_b32 s0, exec_lo
	v_cmpx_gt_u32_e64 s7, v13
	s_cbranch_execz .LBB333_301
; %bb.293:
	s_mov_b32 s1, exec_lo
	v_cmpx_ge_u32_e64 v13, v1
	s_xor_b32 s1, exec_lo, s1
	s_cbranch_execz .LBB333_299
; %bb.294:
	s_mov_b32 s2, exec_lo
	v_cmpx_ge_u32_e64 v13, v12
	s_xor_b32 s2, exec_lo, s2
	s_cbranch_execz .LBB333_296
; %bb.295:
	v_lshlrev_b32_e32 v14, 2, v0
	v_add_co_u32 v13, vcc_lo, v3, v13
	ds_read_b32 v15, v14 offset:4096
	v_add_co_ci_u32_e64 v14, null, 0, v11, vcc_lo
	v_lshlrev_b64 v[13:14], 2, v[13:14]
	v_sub_co_u32 v13, vcc_lo, s26, v13
	v_sub_co_ci_u32_e64 v14, null, s27, v14, vcc_lo
	s_waitcnt lgkmcnt(0)
	global_store_dword v[13:14], v15, off offset:-4
                                        ; implicit-def: $vgpr13
.LBB333_296:
	s_andn2_saveexec_b32 s2, s2
	s_cbranch_execz .LBB333_298
; %bb.297:
	v_lshlrev_b32_e32 v14, 2, v0
	v_lshlrev_b32_e32 v13, 2, v13
	v_readfirstlane_b32 s4, v7
	v_readfirstlane_b32 s5, v8
	ds_read_b32 v14, v14 offset:4096
	s_waitcnt lgkmcnt(0)
	global_store_dword v13, v14, s[4:5]
.LBB333_298:
	s_or_b32 exec_lo, exec_lo, s2
                                        ; implicit-def: $vgpr13
.LBB333_299:
	s_andn2_saveexec_b32 s1, s1
	s_cbranch_execz .LBB333_301
; %bb.300:
	v_lshlrev_b32_e32 v14, 2, v0
	v_lshlrev_b32_e32 v13, 2, v13
	v_readfirstlane_b32 s2, v9
	v_readfirstlane_b32 s3, v10
	ds_read_b32 v14, v14 offset:4096
	s_waitcnt lgkmcnt(0)
	global_store_dword v13, v14, s[2:3]
.LBB333_301:
	;; [unrolled: 52-line block ×9, first 2 shown]
	s_or_b32 exec_lo, exec_lo, s0
	v_or_b32_e32 v13, 0xc00, v0
	s_mov_b32 s0, exec_lo
	v_cmpx_gt_u32_e64 s7, v13
	s_cbranch_execz .LBB333_373
; %bb.365:
	s_mov_b32 s1, exec_lo
	v_cmpx_ge_u32_e64 v13, v1
	s_xor_b32 s1, exec_lo, s1
	s_cbranch_execz .LBB333_371
; %bb.366:
	s_mov_b32 s2, exec_lo
	v_cmpx_ge_u32_e64 v13, v12
	s_xor_b32 s2, exec_lo, s2
	s_cbranch_execz .LBB333_368
; %bb.367:
	v_lshlrev_b32_e32 v7, 2, v0
	ds_read_b32 v9, v7 offset:12288
	v_add_co_u32 v7, vcc_lo, v3, v13
	v_add_co_ci_u32_e64 v8, null, 0, v11, vcc_lo
                                        ; implicit-def: $vgpr13
	v_lshlrev_b64 v[7:8], 2, v[7:8]
	v_sub_co_u32 v7, vcc_lo, s26, v7
	v_sub_co_ci_u32_e64 v8, null, s27, v8, vcc_lo
	s_waitcnt lgkmcnt(0)
	global_store_dword v[7:8], v9, off offset:-4
                                        ; implicit-def: $vgpr7_vgpr8
.LBB333_368:
	s_andn2_saveexec_b32 s2, s2
	s_cbranch_execz .LBB333_370
; %bb.369:
	v_lshlrev_b32_e32 v3, 2, v0
	v_lshlrev_b32_e32 v9, 2, v13
	v_readfirstlane_b32 s4, v7
	v_readfirstlane_b32 s5, v8
	ds_read_b32 v3, v3 offset:12288
	s_waitcnt lgkmcnt(0)
	global_store_dword v9, v3, s[4:5]
.LBB333_370:
	s_or_b32 exec_lo, exec_lo, s2
                                        ; implicit-def: $vgpr13
                                        ; implicit-def: $vgpr9_vgpr10
.LBB333_371:
	s_andn2_saveexec_b32 s1, s1
	s_cbranch_execz .LBB333_373
; %bb.372:
	v_lshlrev_b32_e32 v3, 2, v0
	v_lshlrev_b32_e32 v7, 2, v13
	v_readfirstlane_b32 s2, v9
	v_readfirstlane_b32 s3, v10
	ds_read_b32 v3, v3 offset:12288
	s_waitcnt lgkmcnt(0)
	global_store_dword v7, v3, s[2:3]
.LBB333_373:
	s_or_b32 exec_lo, exec_lo, s0
	v_cmp_eq_u32_e32 vcc_lo, 0, v0
	s_and_b32 s0, vcc_lo, s33
	s_and_saveexec_b32 s1, s0
	s_cbranch_execz .LBB333_150
.LBB333_374:
	v_add_co_u32 v0, s0, s30, v2
	v_add_co_ci_u32_e64 v3, null, s31, 0, s0
	v_mov_b32_e32 v7, 0
	v_add_co_u32 v2, vcc_lo, v0, v4
	v_add_co_ci_u32_e64 v3, null, 0, v3, vcc_lo
	v_add_co_u32 v0, vcc_lo, v5, v1
	v_add_co_ci_u32_e64 v1, null, 0, v6, vcc_lo
	global_store_dwordx4 v7, v[0:3], s[24:25]
	s_endpgm
.LBB333_375:
	s_add_i32 s10, s6, 32
	s_mov_b32 s11, 0
	v_add_nc_u32_e32 v6, v4, v2
	s_lshl_b64 s[10:11], s[10:11], 4
	v_add_nc_u32_e32 v5, v3, v1
	s_add_u32 s10, s4, s10
	s_addc_u32 s11, s5, s11
	v_mov_b32_e32 v7, 2
	v_mov_b32_e32 v24, s11
	v_mov_b32_e32 v8, 0
	v_mov_b32_e32 v23, s10
	;;#ASMSTART
	global_store_dwordx4 v[23:24], v[5:8] off	
s_waitcnt vmcnt(0)
	;;#ASMEND
	s_or_b32 exec_lo, exec_lo, s8
	s_and_saveexec_b32 s6, s2
	s_cbranch_execz .LBB333_135
.LBB333_376:
	v_mov_b32_e32 v5, 0
	ds_write_b128 v5, v[1:4] offset:13312
	s_or_b32 exec_lo, exec_lo, s6
	v_cmp_eq_u32_e32 vcc_lo, 0, v0
	s_and_b32 exec_lo, exec_lo, vcc_lo
	s_cbranch_execnz .LBB333_136
	s_branch .LBB333_137
	.section	.rodata,"a",@progbits
	.p2align	6, 0x0
	.amdhsa_kernel _ZN7rocprim17ROCPRIM_400000_NS6detail17trampoline_kernelINS0_13select_configILj256ELj13ELNS0_17block_load_methodE3ELS4_3ELS4_3ELNS0_20block_scan_algorithmE0ELj4294967295EEENS1_25partition_config_selectorILNS1_17partition_subalgoE4EjNS0_10empty_typeEbEEZZNS1_14partition_implILS8_4ELb0ES6_15HIP_vector_typeIjLj2EENS0_17counting_iteratorIjlEEPS9_SG_NS0_5tupleIJPjSI_NS0_16reverse_iteratorISI_EEEEENSH_IJSG_SG_SG_EEES9_SI_JZNS1_25segmented_radix_sort_implINS0_14default_configELb0EPKaPaPKlPlN2at6native12_GLOBAL__N_18offset_tEEE10hipError_tPvRmT1_PNSt15iterator_traitsIS12_E10value_typeET2_T3_PNS13_IS18_E10value_typeET4_jRbjT5_S1E_jjP12ihipStream_tbEUljE_ZNSN_ISO_Lb0ESQ_SR_ST_SU_SY_EESZ_S10_S11_S12_S16_S17_S18_S1B_S1C_jS1D_jS1E_S1E_jjS1G_bEUljE0_EEESZ_S10_S11_S18_S1C_S1E_T6_T7_T9_mT8_S1G_bDpT10_ENKUlT_T0_E_clISt17integral_constantIbLb0EES1U_EEDaS1P_S1Q_EUlS1P_E_NS1_11comp_targetILNS1_3genE8ELNS1_11target_archE1030ELNS1_3gpuE2ELNS1_3repE0EEENS1_30default_config_static_selectorELNS0_4arch9wavefront6targetE0EEEvS12_
		.amdhsa_group_segment_fixed_size 13328
		.amdhsa_private_segment_fixed_size 0
		.amdhsa_kernarg_size 176
		.amdhsa_user_sgpr_count 6
		.amdhsa_user_sgpr_private_segment_buffer 1
		.amdhsa_user_sgpr_dispatch_ptr 0
		.amdhsa_user_sgpr_queue_ptr 0
		.amdhsa_user_sgpr_kernarg_segment_ptr 1
		.amdhsa_user_sgpr_dispatch_id 0
		.amdhsa_user_sgpr_flat_scratch_init 0
		.amdhsa_user_sgpr_private_segment_size 0
		.amdhsa_wavefront_size32 1
		.amdhsa_uses_dynamic_stack 0
		.amdhsa_system_sgpr_private_segment_wavefront_offset 0
		.amdhsa_system_sgpr_workgroup_id_x 1
		.amdhsa_system_sgpr_workgroup_id_y 0
		.amdhsa_system_sgpr_workgroup_id_z 0
		.amdhsa_system_sgpr_workgroup_info 0
		.amdhsa_system_vgpr_workitem_id 0
		.amdhsa_next_free_vgpr 82
		.amdhsa_next_free_sgpr 59
		.amdhsa_reserve_vcc 1
		.amdhsa_reserve_flat_scratch 0
		.amdhsa_float_round_mode_32 0
		.amdhsa_float_round_mode_16_64 0
		.amdhsa_float_denorm_mode_32 3
		.amdhsa_float_denorm_mode_16_64 3
		.amdhsa_dx10_clamp 1
		.amdhsa_ieee_mode 1
		.amdhsa_fp16_overflow 0
		.amdhsa_workgroup_processor_mode 1
		.amdhsa_memory_ordered 1
		.amdhsa_forward_progress 1
		.amdhsa_shared_vgpr_count 0
		.amdhsa_exception_fp_ieee_invalid_op 0
		.amdhsa_exception_fp_denorm_src 0
		.amdhsa_exception_fp_ieee_div_zero 0
		.amdhsa_exception_fp_ieee_overflow 0
		.amdhsa_exception_fp_ieee_underflow 0
		.amdhsa_exception_fp_ieee_inexact 0
		.amdhsa_exception_int_div_zero 0
	.end_amdhsa_kernel
	.section	.text._ZN7rocprim17ROCPRIM_400000_NS6detail17trampoline_kernelINS0_13select_configILj256ELj13ELNS0_17block_load_methodE3ELS4_3ELS4_3ELNS0_20block_scan_algorithmE0ELj4294967295EEENS1_25partition_config_selectorILNS1_17partition_subalgoE4EjNS0_10empty_typeEbEEZZNS1_14partition_implILS8_4ELb0ES6_15HIP_vector_typeIjLj2EENS0_17counting_iteratorIjlEEPS9_SG_NS0_5tupleIJPjSI_NS0_16reverse_iteratorISI_EEEEENSH_IJSG_SG_SG_EEES9_SI_JZNS1_25segmented_radix_sort_implINS0_14default_configELb0EPKaPaPKlPlN2at6native12_GLOBAL__N_18offset_tEEE10hipError_tPvRmT1_PNSt15iterator_traitsIS12_E10value_typeET2_T3_PNS13_IS18_E10value_typeET4_jRbjT5_S1E_jjP12ihipStream_tbEUljE_ZNSN_ISO_Lb0ESQ_SR_ST_SU_SY_EESZ_S10_S11_S12_S16_S17_S18_S1B_S1C_jS1D_jS1E_S1E_jjS1G_bEUljE0_EEESZ_S10_S11_S18_S1C_S1E_T6_T7_T9_mT8_S1G_bDpT10_ENKUlT_T0_E_clISt17integral_constantIbLb0EES1U_EEDaS1P_S1Q_EUlS1P_E_NS1_11comp_targetILNS1_3genE8ELNS1_11target_archE1030ELNS1_3gpuE2ELNS1_3repE0EEENS1_30default_config_static_selectorELNS0_4arch9wavefront6targetE0EEEvS12_,"axG",@progbits,_ZN7rocprim17ROCPRIM_400000_NS6detail17trampoline_kernelINS0_13select_configILj256ELj13ELNS0_17block_load_methodE3ELS4_3ELS4_3ELNS0_20block_scan_algorithmE0ELj4294967295EEENS1_25partition_config_selectorILNS1_17partition_subalgoE4EjNS0_10empty_typeEbEEZZNS1_14partition_implILS8_4ELb0ES6_15HIP_vector_typeIjLj2EENS0_17counting_iteratorIjlEEPS9_SG_NS0_5tupleIJPjSI_NS0_16reverse_iteratorISI_EEEEENSH_IJSG_SG_SG_EEES9_SI_JZNS1_25segmented_radix_sort_implINS0_14default_configELb0EPKaPaPKlPlN2at6native12_GLOBAL__N_18offset_tEEE10hipError_tPvRmT1_PNSt15iterator_traitsIS12_E10value_typeET2_T3_PNS13_IS18_E10value_typeET4_jRbjT5_S1E_jjP12ihipStream_tbEUljE_ZNSN_ISO_Lb0ESQ_SR_ST_SU_SY_EESZ_S10_S11_S12_S16_S17_S18_S1B_S1C_jS1D_jS1E_S1E_jjS1G_bEUljE0_EEESZ_S10_S11_S18_S1C_S1E_T6_T7_T9_mT8_S1G_bDpT10_ENKUlT_T0_E_clISt17integral_constantIbLb0EES1U_EEDaS1P_S1Q_EUlS1P_E_NS1_11comp_targetILNS1_3genE8ELNS1_11target_archE1030ELNS1_3gpuE2ELNS1_3repE0EEENS1_30default_config_static_selectorELNS0_4arch9wavefront6targetE0EEEvS12_,comdat
.Lfunc_end333:
	.size	_ZN7rocprim17ROCPRIM_400000_NS6detail17trampoline_kernelINS0_13select_configILj256ELj13ELNS0_17block_load_methodE3ELS4_3ELS4_3ELNS0_20block_scan_algorithmE0ELj4294967295EEENS1_25partition_config_selectorILNS1_17partition_subalgoE4EjNS0_10empty_typeEbEEZZNS1_14partition_implILS8_4ELb0ES6_15HIP_vector_typeIjLj2EENS0_17counting_iteratorIjlEEPS9_SG_NS0_5tupleIJPjSI_NS0_16reverse_iteratorISI_EEEEENSH_IJSG_SG_SG_EEES9_SI_JZNS1_25segmented_radix_sort_implINS0_14default_configELb0EPKaPaPKlPlN2at6native12_GLOBAL__N_18offset_tEEE10hipError_tPvRmT1_PNSt15iterator_traitsIS12_E10value_typeET2_T3_PNS13_IS18_E10value_typeET4_jRbjT5_S1E_jjP12ihipStream_tbEUljE_ZNSN_ISO_Lb0ESQ_SR_ST_SU_SY_EESZ_S10_S11_S12_S16_S17_S18_S1B_S1C_jS1D_jS1E_S1E_jjS1G_bEUljE0_EEESZ_S10_S11_S18_S1C_S1E_T6_T7_T9_mT8_S1G_bDpT10_ENKUlT_T0_E_clISt17integral_constantIbLb0EES1U_EEDaS1P_S1Q_EUlS1P_E_NS1_11comp_targetILNS1_3genE8ELNS1_11target_archE1030ELNS1_3gpuE2ELNS1_3repE0EEENS1_30default_config_static_selectorELNS0_4arch9wavefront6targetE0EEEvS12_, .Lfunc_end333-_ZN7rocprim17ROCPRIM_400000_NS6detail17trampoline_kernelINS0_13select_configILj256ELj13ELNS0_17block_load_methodE3ELS4_3ELS4_3ELNS0_20block_scan_algorithmE0ELj4294967295EEENS1_25partition_config_selectorILNS1_17partition_subalgoE4EjNS0_10empty_typeEbEEZZNS1_14partition_implILS8_4ELb0ES6_15HIP_vector_typeIjLj2EENS0_17counting_iteratorIjlEEPS9_SG_NS0_5tupleIJPjSI_NS0_16reverse_iteratorISI_EEEEENSH_IJSG_SG_SG_EEES9_SI_JZNS1_25segmented_radix_sort_implINS0_14default_configELb0EPKaPaPKlPlN2at6native12_GLOBAL__N_18offset_tEEE10hipError_tPvRmT1_PNSt15iterator_traitsIS12_E10value_typeET2_T3_PNS13_IS18_E10value_typeET4_jRbjT5_S1E_jjP12ihipStream_tbEUljE_ZNSN_ISO_Lb0ESQ_SR_ST_SU_SY_EESZ_S10_S11_S12_S16_S17_S18_S1B_S1C_jS1D_jS1E_S1E_jjS1G_bEUljE0_EEESZ_S10_S11_S18_S1C_S1E_T6_T7_T9_mT8_S1G_bDpT10_ENKUlT_T0_E_clISt17integral_constantIbLb0EES1U_EEDaS1P_S1Q_EUlS1P_E_NS1_11comp_targetILNS1_3genE8ELNS1_11target_archE1030ELNS1_3gpuE2ELNS1_3repE0EEENS1_30default_config_static_selectorELNS0_4arch9wavefront6targetE0EEEvS12_
                                        ; -- End function
	.set _ZN7rocprim17ROCPRIM_400000_NS6detail17trampoline_kernelINS0_13select_configILj256ELj13ELNS0_17block_load_methodE3ELS4_3ELS4_3ELNS0_20block_scan_algorithmE0ELj4294967295EEENS1_25partition_config_selectorILNS1_17partition_subalgoE4EjNS0_10empty_typeEbEEZZNS1_14partition_implILS8_4ELb0ES6_15HIP_vector_typeIjLj2EENS0_17counting_iteratorIjlEEPS9_SG_NS0_5tupleIJPjSI_NS0_16reverse_iteratorISI_EEEEENSH_IJSG_SG_SG_EEES9_SI_JZNS1_25segmented_radix_sort_implINS0_14default_configELb0EPKaPaPKlPlN2at6native12_GLOBAL__N_18offset_tEEE10hipError_tPvRmT1_PNSt15iterator_traitsIS12_E10value_typeET2_T3_PNS13_IS18_E10value_typeET4_jRbjT5_S1E_jjP12ihipStream_tbEUljE_ZNSN_ISO_Lb0ESQ_SR_ST_SU_SY_EESZ_S10_S11_S12_S16_S17_S18_S1B_S1C_jS1D_jS1E_S1E_jjS1G_bEUljE0_EEESZ_S10_S11_S18_S1C_S1E_T6_T7_T9_mT8_S1G_bDpT10_ENKUlT_T0_E_clISt17integral_constantIbLb0EES1U_EEDaS1P_S1Q_EUlS1P_E_NS1_11comp_targetILNS1_3genE8ELNS1_11target_archE1030ELNS1_3gpuE2ELNS1_3repE0EEENS1_30default_config_static_selectorELNS0_4arch9wavefront6targetE0EEEvS12_.num_vgpr, 82
	.set _ZN7rocprim17ROCPRIM_400000_NS6detail17trampoline_kernelINS0_13select_configILj256ELj13ELNS0_17block_load_methodE3ELS4_3ELS4_3ELNS0_20block_scan_algorithmE0ELj4294967295EEENS1_25partition_config_selectorILNS1_17partition_subalgoE4EjNS0_10empty_typeEbEEZZNS1_14partition_implILS8_4ELb0ES6_15HIP_vector_typeIjLj2EENS0_17counting_iteratorIjlEEPS9_SG_NS0_5tupleIJPjSI_NS0_16reverse_iteratorISI_EEEEENSH_IJSG_SG_SG_EEES9_SI_JZNS1_25segmented_radix_sort_implINS0_14default_configELb0EPKaPaPKlPlN2at6native12_GLOBAL__N_18offset_tEEE10hipError_tPvRmT1_PNSt15iterator_traitsIS12_E10value_typeET2_T3_PNS13_IS18_E10value_typeET4_jRbjT5_S1E_jjP12ihipStream_tbEUljE_ZNSN_ISO_Lb0ESQ_SR_ST_SU_SY_EESZ_S10_S11_S12_S16_S17_S18_S1B_S1C_jS1D_jS1E_S1E_jjS1G_bEUljE0_EEESZ_S10_S11_S18_S1C_S1E_T6_T7_T9_mT8_S1G_bDpT10_ENKUlT_T0_E_clISt17integral_constantIbLb0EES1U_EEDaS1P_S1Q_EUlS1P_E_NS1_11comp_targetILNS1_3genE8ELNS1_11target_archE1030ELNS1_3gpuE2ELNS1_3repE0EEENS1_30default_config_static_selectorELNS0_4arch9wavefront6targetE0EEEvS12_.num_agpr, 0
	.set _ZN7rocprim17ROCPRIM_400000_NS6detail17trampoline_kernelINS0_13select_configILj256ELj13ELNS0_17block_load_methodE3ELS4_3ELS4_3ELNS0_20block_scan_algorithmE0ELj4294967295EEENS1_25partition_config_selectorILNS1_17partition_subalgoE4EjNS0_10empty_typeEbEEZZNS1_14partition_implILS8_4ELb0ES6_15HIP_vector_typeIjLj2EENS0_17counting_iteratorIjlEEPS9_SG_NS0_5tupleIJPjSI_NS0_16reverse_iteratorISI_EEEEENSH_IJSG_SG_SG_EEES9_SI_JZNS1_25segmented_radix_sort_implINS0_14default_configELb0EPKaPaPKlPlN2at6native12_GLOBAL__N_18offset_tEEE10hipError_tPvRmT1_PNSt15iterator_traitsIS12_E10value_typeET2_T3_PNS13_IS18_E10value_typeET4_jRbjT5_S1E_jjP12ihipStream_tbEUljE_ZNSN_ISO_Lb0ESQ_SR_ST_SU_SY_EESZ_S10_S11_S12_S16_S17_S18_S1B_S1C_jS1D_jS1E_S1E_jjS1G_bEUljE0_EEESZ_S10_S11_S18_S1C_S1E_T6_T7_T9_mT8_S1G_bDpT10_ENKUlT_T0_E_clISt17integral_constantIbLb0EES1U_EEDaS1P_S1Q_EUlS1P_E_NS1_11comp_targetILNS1_3genE8ELNS1_11target_archE1030ELNS1_3gpuE2ELNS1_3repE0EEENS1_30default_config_static_selectorELNS0_4arch9wavefront6targetE0EEEvS12_.numbered_sgpr, 59
	.set _ZN7rocprim17ROCPRIM_400000_NS6detail17trampoline_kernelINS0_13select_configILj256ELj13ELNS0_17block_load_methodE3ELS4_3ELS4_3ELNS0_20block_scan_algorithmE0ELj4294967295EEENS1_25partition_config_selectorILNS1_17partition_subalgoE4EjNS0_10empty_typeEbEEZZNS1_14partition_implILS8_4ELb0ES6_15HIP_vector_typeIjLj2EENS0_17counting_iteratorIjlEEPS9_SG_NS0_5tupleIJPjSI_NS0_16reverse_iteratorISI_EEEEENSH_IJSG_SG_SG_EEES9_SI_JZNS1_25segmented_radix_sort_implINS0_14default_configELb0EPKaPaPKlPlN2at6native12_GLOBAL__N_18offset_tEEE10hipError_tPvRmT1_PNSt15iterator_traitsIS12_E10value_typeET2_T3_PNS13_IS18_E10value_typeET4_jRbjT5_S1E_jjP12ihipStream_tbEUljE_ZNSN_ISO_Lb0ESQ_SR_ST_SU_SY_EESZ_S10_S11_S12_S16_S17_S18_S1B_S1C_jS1D_jS1E_S1E_jjS1G_bEUljE0_EEESZ_S10_S11_S18_S1C_S1E_T6_T7_T9_mT8_S1G_bDpT10_ENKUlT_T0_E_clISt17integral_constantIbLb0EES1U_EEDaS1P_S1Q_EUlS1P_E_NS1_11comp_targetILNS1_3genE8ELNS1_11target_archE1030ELNS1_3gpuE2ELNS1_3repE0EEENS1_30default_config_static_selectorELNS0_4arch9wavefront6targetE0EEEvS12_.num_named_barrier, 0
	.set _ZN7rocprim17ROCPRIM_400000_NS6detail17trampoline_kernelINS0_13select_configILj256ELj13ELNS0_17block_load_methodE3ELS4_3ELS4_3ELNS0_20block_scan_algorithmE0ELj4294967295EEENS1_25partition_config_selectorILNS1_17partition_subalgoE4EjNS0_10empty_typeEbEEZZNS1_14partition_implILS8_4ELb0ES6_15HIP_vector_typeIjLj2EENS0_17counting_iteratorIjlEEPS9_SG_NS0_5tupleIJPjSI_NS0_16reverse_iteratorISI_EEEEENSH_IJSG_SG_SG_EEES9_SI_JZNS1_25segmented_radix_sort_implINS0_14default_configELb0EPKaPaPKlPlN2at6native12_GLOBAL__N_18offset_tEEE10hipError_tPvRmT1_PNSt15iterator_traitsIS12_E10value_typeET2_T3_PNS13_IS18_E10value_typeET4_jRbjT5_S1E_jjP12ihipStream_tbEUljE_ZNSN_ISO_Lb0ESQ_SR_ST_SU_SY_EESZ_S10_S11_S12_S16_S17_S18_S1B_S1C_jS1D_jS1E_S1E_jjS1G_bEUljE0_EEESZ_S10_S11_S18_S1C_S1E_T6_T7_T9_mT8_S1G_bDpT10_ENKUlT_T0_E_clISt17integral_constantIbLb0EES1U_EEDaS1P_S1Q_EUlS1P_E_NS1_11comp_targetILNS1_3genE8ELNS1_11target_archE1030ELNS1_3gpuE2ELNS1_3repE0EEENS1_30default_config_static_selectorELNS0_4arch9wavefront6targetE0EEEvS12_.private_seg_size, 0
	.set _ZN7rocprim17ROCPRIM_400000_NS6detail17trampoline_kernelINS0_13select_configILj256ELj13ELNS0_17block_load_methodE3ELS4_3ELS4_3ELNS0_20block_scan_algorithmE0ELj4294967295EEENS1_25partition_config_selectorILNS1_17partition_subalgoE4EjNS0_10empty_typeEbEEZZNS1_14partition_implILS8_4ELb0ES6_15HIP_vector_typeIjLj2EENS0_17counting_iteratorIjlEEPS9_SG_NS0_5tupleIJPjSI_NS0_16reverse_iteratorISI_EEEEENSH_IJSG_SG_SG_EEES9_SI_JZNS1_25segmented_radix_sort_implINS0_14default_configELb0EPKaPaPKlPlN2at6native12_GLOBAL__N_18offset_tEEE10hipError_tPvRmT1_PNSt15iterator_traitsIS12_E10value_typeET2_T3_PNS13_IS18_E10value_typeET4_jRbjT5_S1E_jjP12ihipStream_tbEUljE_ZNSN_ISO_Lb0ESQ_SR_ST_SU_SY_EESZ_S10_S11_S12_S16_S17_S18_S1B_S1C_jS1D_jS1E_S1E_jjS1G_bEUljE0_EEESZ_S10_S11_S18_S1C_S1E_T6_T7_T9_mT8_S1G_bDpT10_ENKUlT_T0_E_clISt17integral_constantIbLb0EES1U_EEDaS1P_S1Q_EUlS1P_E_NS1_11comp_targetILNS1_3genE8ELNS1_11target_archE1030ELNS1_3gpuE2ELNS1_3repE0EEENS1_30default_config_static_selectorELNS0_4arch9wavefront6targetE0EEEvS12_.uses_vcc, 1
	.set _ZN7rocprim17ROCPRIM_400000_NS6detail17trampoline_kernelINS0_13select_configILj256ELj13ELNS0_17block_load_methodE3ELS4_3ELS4_3ELNS0_20block_scan_algorithmE0ELj4294967295EEENS1_25partition_config_selectorILNS1_17partition_subalgoE4EjNS0_10empty_typeEbEEZZNS1_14partition_implILS8_4ELb0ES6_15HIP_vector_typeIjLj2EENS0_17counting_iteratorIjlEEPS9_SG_NS0_5tupleIJPjSI_NS0_16reverse_iteratorISI_EEEEENSH_IJSG_SG_SG_EEES9_SI_JZNS1_25segmented_radix_sort_implINS0_14default_configELb0EPKaPaPKlPlN2at6native12_GLOBAL__N_18offset_tEEE10hipError_tPvRmT1_PNSt15iterator_traitsIS12_E10value_typeET2_T3_PNS13_IS18_E10value_typeET4_jRbjT5_S1E_jjP12ihipStream_tbEUljE_ZNSN_ISO_Lb0ESQ_SR_ST_SU_SY_EESZ_S10_S11_S12_S16_S17_S18_S1B_S1C_jS1D_jS1E_S1E_jjS1G_bEUljE0_EEESZ_S10_S11_S18_S1C_S1E_T6_T7_T9_mT8_S1G_bDpT10_ENKUlT_T0_E_clISt17integral_constantIbLb0EES1U_EEDaS1P_S1Q_EUlS1P_E_NS1_11comp_targetILNS1_3genE8ELNS1_11target_archE1030ELNS1_3gpuE2ELNS1_3repE0EEENS1_30default_config_static_selectorELNS0_4arch9wavefront6targetE0EEEvS12_.uses_flat_scratch, 0
	.set _ZN7rocprim17ROCPRIM_400000_NS6detail17trampoline_kernelINS0_13select_configILj256ELj13ELNS0_17block_load_methodE3ELS4_3ELS4_3ELNS0_20block_scan_algorithmE0ELj4294967295EEENS1_25partition_config_selectorILNS1_17partition_subalgoE4EjNS0_10empty_typeEbEEZZNS1_14partition_implILS8_4ELb0ES6_15HIP_vector_typeIjLj2EENS0_17counting_iteratorIjlEEPS9_SG_NS0_5tupleIJPjSI_NS0_16reverse_iteratorISI_EEEEENSH_IJSG_SG_SG_EEES9_SI_JZNS1_25segmented_radix_sort_implINS0_14default_configELb0EPKaPaPKlPlN2at6native12_GLOBAL__N_18offset_tEEE10hipError_tPvRmT1_PNSt15iterator_traitsIS12_E10value_typeET2_T3_PNS13_IS18_E10value_typeET4_jRbjT5_S1E_jjP12ihipStream_tbEUljE_ZNSN_ISO_Lb0ESQ_SR_ST_SU_SY_EESZ_S10_S11_S12_S16_S17_S18_S1B_S1C_jS1D_jS1E_S1E_jjS1G_bEUljE0_EEESZ_S10_S11_S18_S1C_S1E_T6_T7_T9_mT8_S1G_bDpT10_ENKUlT_T0_E_clISt17integral_constantIbLb0EES1U_EEDaS1P_S1Q_EUlS1P_E_NS1_11comp_targetILNS1_3genE8ELNS1_11target_archE1030ELNS1_3gpuE2ELNS1_3repE0EEENS1_30default_config_static_selectorELNS0_4arch9wavefront6targetE0EEEvS12_.has_dyn_sized_stack, 0
	.set _ZN7rocprim17ROCPRIM_400000_NS6detail17trampoline_kernelINS0_13select_configILj256ELj13ELNS0_17block_load_methodE3ELS4_3ELS4_3ELNS0_20block_scan_algorithmE0ELj4294967295EEENS1_25partition_config_selectorILNS1_17partition_subalgoE4EjNS0_10empty_typeEbEEZZNS1_14partition_implILS8_4ELb0ES6_15HIP_vector_typeIjLj2EENS0_17counting_iteratorIjlEEPS9_SG_NS0_5tupleIJPjSI_NS0_16reverse_iteratorISI_EEEEENSH_IJSG_SG_SG_EEES9_SI_JZNS1_25segmented_radix_sort_implINS0_14default_configELb0EPKaPaPKlPlN2at6native12_GLOBAL__N_18offset_tEEE10hipError_tPvRmT1_PNSt15iterator_traitsIS12_E10value_typeET2_T3_PNS13_IS18_E10value_typeET4_jRbjT5_S1E_jjP12ihipStream_tbEUljE_ZNSN_ISO_Lb0ESQ_SR_ST_SU_SY_EESZ_S10_S11_S12_S16_S17_S18_S1B_S1C_jS1D_jS1E_S1E_jjS1G_bEUljE0_EEESZ_S10_S11_S18_S1C_S1E_T6_T7_T9_mT8_S1G_bDpT10_ENKUlT_T0_E_clISt17integral_constantIbLb0EES1U_EEDaS1P_S1Q_EUlS1P_E_NS1_11comp_targetILNS1_3genE8ELNS1_11target_archE1030ELNS1_3gpuE2ELNS1_3repE0EEENS1_30default_config_static_selectorELNS0_4arch9wavefront6targetE0EEEvS12_.has_recursion, 0
	.set _ZN7rocprim17ROCPRIM_400000_NS6detail17trampoline_kernelINS0_13select_configILj256ELj13ELNS0_17block_load_methodE3ELS4_3ELS4_3ELNS0_20block_scan_algorithmE0ELj4294967295EEENS1_25partition_config_selectorILNS1_17partition_subalgoE4EjNS0_10empty_typeEbEEZZNS1_14partition_implILS8_4ELb0ES6_15HIP_vector_typeIjLj2EENS0_17counting_iteratorIjlEEPS9_SG_NS0_5tupleIJPjSI_NS0_16reverse_iteratorISI_EEEEENSH_IJSG_SG_SG_EEES9_SI_JZNS1_25segmented_radix_sort_implINS0_14default_configELb0EPKaPaPKlPlN2at6native12_GLOBAL__N_18offset_tEEE10hipError_tPvRmT1_PNSt15iterator_traitsIS12_E10value_typeET2_T3_PNS13_IS18_E10value_typeET4_jRbjT5_S1E_jjP12ihipStream_tbEUljE_ZNSN_ISO_Lb0ESQ_SR_ST_SU_SY_EESZ_S10_S11_S12_S16_S17_S18_S1B_S1C_jS1D_jS1E_S1E_jjS1G_bEUljE0_EEESZ_S10_S11_S18_S1C_S1E_T6_T7_T9_mT8_S1G_bDpT10_ENKUlT_T0_E_clISt17integral_constantIbLb0EES1U_EEDaS1P_S1Q_EUlS1P_E_NS1_11comp_targetILNS1_3genE8ELNS1_11target_archE1030ELNS1_3gpuE2ELNS1_3repE0EEENS1_30default_config_static_selectorELNS0_4arch9wavefront6targetE0EEEvS12_.has_indirect_call, 0
	.section	.AMDGPU.csdata,"",@progbits
; Kernel info:
; codeLenInByte = 16236
; TotalNumSgprs: 61
; NumVgprs: 82
; ScratchSize: 0
; MemoryBound: 0
; FloatMode: 240
; IeeeMode: 1
; LDSByteSize: 13328 bytes/workgroup (compile time only)
; SGPRBlocks: 0
; VGPRBlocks: 10
; NumSGPRsForWavesPerEU: 61
; NumVGPRsForWavesPerEU: 82
; Occupancy: 10
; WaveLimiterHint : 1
; COMPUTE_PGM_RSRC2:SCRATCH_EN: 0
; COMPUTE_PGM_RSRC2:USER_SGPR: 6
; COMPUTE_PGM_RSRC2:TRAP_HANDLER: 0
; COMPUTE_PGM_RSRC2:TGID_X_EN: 1
; COMPUTE_PGM_RSRC2:TGID_Y_EN: 0
; COMPUTE_PGM_RSRC2:TGID_Z_EN: 0
; COMPUTE_PGM_RSRC2:TIDIG_COMP_CNT: 0
	.section	.text._ZN7rocprim17ROCPRIM_400000_NS6detail17trampoline_kernelINS0_13select_configILj256ELj13ELNS0_17block_load_methodE3ELS4_3ELS4_3ELNS0_20block_scan_algorithmE0ELj4294967295EEENS1_25partition_config_selectorILNS1_17partition_subalgoE4EjNS0_10empty_typeEbEEZZNS1_14partition_implILS8_4ELb0ES6_15HIP_vector_typeIjLj2EENS0_17counting_iteratorIjlEEPS9_SG_NS0_5tupleIJPjSI_NS0_16reverse_iteratorISI_EEEEENSH_IJSG_SG_SG_EEES9_SI_JZNS1_25segmented_radix_sort_implINS0_14default_configELb0EPKaPaPKlPlN2at6native12_GLOBAL__N_18offset_tEEE10hipError_tPvRmT1_PNSt15iterator_traitsIS12_E10value_typeET2_T3_PNS13_IS18_E10value_typeET4_jRbjT5_S1E_jjP12ihipStream_tbEUljE_ZNSN_ISO_Lb0ESQ_SR_ST_SU_SY_EESZ_S10_S11_S12_S16_S17_S18_S1B_S1C_jS1D_jS1E_S1E_jjS1G_bEUljE0_EEESZ_S10_S11_S18_S1C_S1E_T6_T7_T9_mT8_S1G_bDpT10_ENKUlT_T0_E_clISt17integral_constantIbLb1EES1U_EEDaS1P_S1Q_EUlS1P_E_NS1_11comp_targetILNS1_3genE0ELNS1_11target_archE4294967295ELNS1_3gpuE0ELNS1_3repE0EEENS1_30default_config_static_selectorELNS0_4arch9wavefront6targetE0EEEvS12_,"axG",@progbits,_ZN7rocprim17ROCPRIM_400000_NS6detail17trampoline_kernelINS0_13select_configILj256ELj13ELNS0_17block_load_methodE3ELS4_3ELS4_3ELNS0_20block_scan_algorithmE0ELj4294967295EEENS1_25partition_config_selectorILNS1_17partition_subalgoE4EjNS0_10empty_typeEbEEZZNS1_14partition_implILS8_4ELb0ES6_15HIP_vector_typeIjLj2EENS0_17counting_iteratorIjlEEPS9_SG_NS0_5tupleIJPjSI_NS0_16reverse_iteratorISI_EEEEENSH_IJSG_SG_SG_EEES9_SI_JZNS1_25segmented_radix_sort_implINS0_14default_configELb0EPKaPaPKlPlN2at6native12_GLOBAL__N_18offset_tEEE10hipError_tPvRmT1_PNSt15iterator_traitsIS12_E10value_typeET2_T3_PNS13_IS18_E10value_typeET4_jRbjT5_S1E_jjP12ihipStream_tbEUljE_ZNSN_ISO_Lb0ESQ_SR_ST_SU_SY_EESZ_S10_S11_S12_S16_S17_S18_S1B_S1C_jS1D_jS1E_S1E_jjS1G_bEUljE0_EEESZ_S10_S11_S18_S1C_S1E_T6_T7_T9_mT8_S1G_bDpT10_ENKUlT_T0_E_clISt17integral_constantIbLb1EES1U_EEDaS1P_S1Q_EUlS1P_E_NS1_11comp_targetILNS1_3genE0ELNS1_11target_archE4294967295ELNS1_3gpuE0ELNS1_3repE0EEENS1_30default_config_static_selectorELNS0_4arch9wavefront6targetE0EEEvS12_,comdat
	.globl	_ZN7rocprim17ROCPRIM_400000_NS6detail17trampoline_kernelINS0_13select_configILj256ELj13ELNS0_17block_load_methodE3ELS4_3ELS4_3ELNS0_20block_scan_algorithmE0ELj4294967295EEENS1_25partition_config_selectorILNS1_17partition_subalgoE4EjNS0_10empty_typeEbEEZZNS1_14partition_implILS8_4ELb0ES6_15HIP_vector_typeIjLj2EENS0_17counting_iteratorIjlEEPS9_SG_NS0_5tupleIJPjSI_NS0_16reverse_iteratorISI_EEEEENSH_IJSG_SG_SG_EEES9_SI_JZNS1_25segmented_radix_sort_implINS0_14default_configELb0EPKaPaPKlPlN2at6native12_GLOBAL__N_18offset_tEEE10hipError_tPvRmT1_PNSt15iterator_traitsIS12_E10value_typeET2_T3_PNS13_IS18_E10value_typeET4_jRbjT5_S1E_jjP12ihipStream_tbEUljE_ZNSN_ISO_Lb0ESQ_SR_ST_SU_SY_EESZ_S10_S11_S12_S16_S17_S18_S1B_S1C_jS1D_jS1E_S1E_jjS1G_bEUljE0_EEESZ_S10_S11_S18_S1C_S1E_T6_T7_T9_mT8_S1G_bDpT10_ENKUlT_T0_E_clISt17integral_constantIbLb1EES1U_EEDaS1P_S1Q_EUlS1P_E_NS1_11comp_targetILNS1_3genE0ELNS1_11target_archE4294967295ELNS1_3gpuE0ELNS1_3repE0EEENS1_30default_config_static_selectorELNS0_4arch9wavefront6targetE0EEEvS12_ ; -- Begin function _ZN7rocprim17ROCPRIM_400000_NS6detail17trampoline_kernelINS0_13select_configILj256ELj13ELNS0_17block_load_methodE3ELS4_3ELS4_3ELNS0_20block_scan_algorithmE0ELj4294967295EEENS1_25partition_config_selectorILNS1_17partition_subalgoE4EjNS0_10empty_typeEbEEZZNS1_14partition_implILS8_4ELb0ES6_15HIP_vector_typeIjLj2EENS0_17counting_iteratorIjlEEPS9_SG_NS0_5tupleIJPjSI_NS0_16reverse_iteratorISI_EEEEENSH_IJSG_SG_SG_EEES9_SI_JZNS1_25segmented_radix_sort_implINS0_14default_configELb0EPKaPaPKlPlN2at6native12_GLOBAL__N_18offset_tEEE10hipError_tPvRmT1_PNSt15iterator_traitsIS12_E10value_typeET2_T3_PNS13_IS18_E10value_typeET4_jRbjT5_S1E_jjP12ihipStream_tbEUljE_ZNSN_ISO_Lb0ESQ_SR_ST_SU_SY_EESZ_S10_S11_S12_S16_S17_S18_S1B_S1C_jS1D_jS1E_S1E_jjS1G_bEUljE0_EEESZ_S10_S11_S18_S1C_S1E_T6_T7_T9_mT8_S1G_bDpT10_ENKUlT_T0_E_clISt17integral_constantIbLb1EES1U_EEDaS1P_S1Q_EUlS1P_E_NS1_11comp_targetILNS1_3genE0ELNS1_11target_archE4294967295ELNS1_3gpuE0ELNS1_3repE0EEENS1_30default_config_static_selectorELNS0_4arch9wavefront6targetE0EEEvS12_
	.p2align	8
	.type	_ZN7rocprim17ROCPRIM_400000_NS6detail17trampoline_kernelINS0_13select_configILj256ELj13ELNS0_17block_load_methodE3ELS4_3ELS4_3ELNS0_20block_scan_algorithmE0ELj4294967295EEENS1_25partition_config_selectorILNS1_17partition_subalgoE4EjNS0_10empty_typeEbEEZZNS1_14partition_implILS8_4ELb0ES6_15HIP_vector_typeIjLj2EENS0_17counting_iteratorIjlEEPS9_SG_NS0_5tupleIJPjSI_NS0_16reverse_iteratorISI_EEEEENSH_IJSG_SG_SG_EEES9_SI_JZNS1_25segmented_radix_sort_implINS0_14default_configELb0EPKaPaPKlPlN2at6native12_GLOBAL__N_18offset_tEEE10hipError_tPvRmT1_PNSt15iterator_traitsIS12_E10value_typeET2_T3_PNS13_IS18_E10value_typeET4_jRbjT5_S1E_jjP12ihipStream_tbEUljE_ZNSN_ISO_Lb0ESQ_SR_ST_SU_SY_EESZ_S10_S11_S12_S16_S17_S18_S1B_S1C_jS1D_jS1E_S1E_jjS1G_bEUljE0_EEESZ_S10_S11_S18_S1C_S1E_T6_T7_T9_mT8_S1G_bDpT10_ENKUlT_T0_E_clISt17integral_constantIbLb1EES1U_EEDaS1P_S1Q_EUlS1P_E_NS1_11comp_targetILNS1_3genE0ELNS1_11target_archE4294967295ELNS1_3gpuE0ELNS1_3repE0EEENS1_30default_config_static_selectorELNS0_4arch9wavefront6targetE0EEEvS12_,@function
_ZN7rocprim17ROCPRIM_400000_NS6detail17trampoline_kernelINS0_13select_configILj256ELj13ELNS0_17block_load_methodE3ELS4_3ELS4_3ELNS0_20block_scan_algorithmE0ELj4294967295EEENS1_25partition_config_selectorILNS1_17partition_subalgoE4EjNS0_10empty_typeEbEEZZNS1_14partition_implILS8_4ELb0ES6_15HIP_vector_typeIjLj2EENS0_17counting_iteratorIjlEEPS9_SG_NS0_5tupleIJPjSI_NS0_16reverse_iteratorISI_EEEEENSH_IJSG_SG_SG_EEES9_SI_JZNS1_25segmented_radix_sort_implINS0_14default_configELb0EPKaPaPKlPlN2at6native12_GLOBAL__N_18offset_tEEE10hipError_tPvRmT1_PNSt15iterator_traitsIS12_E10value_typeET2_T3_PNS13_IS18_E10value_typeET4_jRbjT5_S1E_jjP12ihipStream_tbEUljE_ZNSN_ISO_Lb0ESQ_SR_ST_SU_SY_EESZ_S10_S11_S12_S16_S17_S18_S1B_S1C_jS1D_jS1E_S1E_jjS1G_bEUljE0_EEESZ_S10_S11_S18_S1C_S1E_T6_T7_T9_mT8_S1G_bDpT10_ENKUlT_T0_E_clISt17integral_constantIbLb1EES1U_EEDaS1P_S1Q_EUlS1P_E_NS1_11comp_targetILNS1_3genE0ELNS1_11target_archE4294967295ELNS1_3gpuE0ELNS1_3repE0EEENS1_30default_config_static_selectorELNS0_4arch9wavefront6targetE0EEEvS12_: ; @_ZN7rocprim17ROCPRIM_400000_NS6detail17trampoline_kernelINS0_13select_configILj256ELj13ELNS0_17block_load_methodE3ELS4_3ELS4_3ELNS0_20block_scan_algorithmE0ELj4294967295EEENS1_25partition_config_selectorILNS1_17partition_subalgoE4EjNS0_10empty_typeEbEEZZNS1_14partition_implILS8_4ELb0ES6_15HIP_vector_typeIjLj2EENS0_17counting_iteratorIjlEEPS9_SG_NS0_5tupleIJPjSI_NS0_16reverse_iteratorISI_EEEEENSH_IJSG_SG_SG_EEES9_SI_JZNS1_25segmented_radix_sort_implINS0_14default_configELb0EPKaPaPKlPlN2at6native12_GLOBAL__N_18offset_tEEE10hipError_tPvRmT1_PNSt15iterator_traitsIS12_E10value_typeET2_T3_PNS13_IS18_E10value_typeET4_jRbjT5_S1E_jjP12ihipStream_tbEUljE_ZNSN_ISO_Lb0ESQ_SR_ST_SU_SY_EESZ_S10_S11_S12_S16_S17_S18_S1B_S1C_jS1D_jS1E_S1E_jjS1G_bEUljE0_EEESZ_S10_S11_S18_S1C_S1E_T6_T7_T9_mT8_S1G_bDpT10_ENKUlT_T0_E_clISt17integral_constantIbLb1EES1U_EEDaS1P_S1Q_EUlS1P_E_NS1_11comp_targetILNS1_3genE0ELNS1_11target_archE4294967295ELNS1_3gpuE0ELNS1_3repE0EEENS1_30default_config_static_selectorELNS0_4arch9wavefront6targetE0EEEvS12_
; %bb.0:
	.section	.rodata,"a",@progbits
	.p2align	6, 0x0
	.amdhsa_kernel _ZN7rocprim17ROCPRIM_400000_NS6detail17trampoline_kernelINS0_13select_configILj256ELj13ELNS0_17block_load_methodE3ELS4_3ELS4_3ELNS0_20block_scan_algorithmE0ELj4294967295EEENS1_25partition_config_selectorILNS1_17partition_subalgoE4EjNS0_10empty_typeEbEEZZNS1_14partition_implILS8_4ELb0ES6_15HIP_vector_typeIjLj2EENS0_17counting_iteratorIjlEEPS9_SG_NS0_5tupleIJPjSI_NS0_16reverse_iteratorISI_EEEEENSH_IJSG_SG_SG_EEES9_SI_JZNS1_25segmented_radix_sort_implINS0_14default_configELb0EPKaPaPKlPlN2at6native12_GLOBAL__N_18offset_tEEE10hipError_tPvRmT1_PNSt15iterator_traitsIS12_E10value_typeET2_T3_PNS13_IS18_E10value_typeET4_jRbjT5_S1E_jjP12ihipStream_tbEUljE_ZNSN_ISO_Lb0ESQ_SR_ST_SU_SY_EESZ_S10_S11_S12_S16_S17_S18_S1B_S1C_jS1D_jS1E_S1E_jjS1G_bEUljE0_EEESZ_S10_S11_S18_S1C_S1E_T6_T7_T9_mT8_S1G_bDpT10_ENKUlT_T0_E_clISt17integral_constantIbLb1EES1U_EEDaS1P_S1Q_EUlS1P_E_NS1_11comp_targetILNS1_3genE0ELNS1_11target_archE4294967295ELNS1_3gpuE0ELNS1_3repE0EEENS1_30default_config_static_selectorELNS0_4arch9wavefront6targetE0EEEvS12_
		.amdhsa_group_segment_fixed_size 0
		.amdhsa_private_segment_fixed_size 0
		.amdhsa_kernarg_size 184
		.amdhsa_user_sgpr_count 6
		.amdhsa_user_sgpr_private_segment_buffer 1
		.amdhsa_user_sgpr_dispatch_ptr 0
		.amdhsa_user_sgpr_queue_ptr 0
		.amdhsa_user_sgpr_kernarg_segment_ptr 1
		.amdhsa_user_sgpr_dispatch_id 0
		.amdhsa_user_sgpr_flat_scratch_init 0
		.amdhsa_user_sgpr_private_segment_size 0
		.amdhsa_wavefront_size32 1
		.amdhsa_uses_dynamic_stack 0
		.amdhsa_system_sgpr_private_segment_wavefront_offset 0
		.amdhsa_system_sgpr_workgroup_id_x 1
		.amdhsa_system_sgpr_workgroup_id_y 0
		.amdhsa_system_sgpr_workgroup_id_z 0
		.amdhsa_system_sgpr_workgroup_info 0
		.amdhsa_system_vgpr_workitem_id 0
		.amdhsa_next_free_vgpr 1
		.amdhsa_next_free_sgpr 1
		.amdhsa_reserve_vcc 0
		.amdhsa_reserve_flat_scratch 0
		.amdhsa_float_round_mode_32 0
		.amdhsa_float_round_mode_16_64 0
		.amdhsa_float_denorm_mode_32 3
		.amdhsa_float_denorm_mode_16_64 3
		.amdhsa_dx10_clamp 1
		.amdhsa_ieee_mode 1
		.amdhsa_fp16_overflow 0
		.amdhsa_workgroup_processor_mode 1
		.amdhsa_memory_ordered 1
		.amdhsa_forward_progress 1
		.amdhsa_shared_vgpr_count 0
		.amdhsa_exception_fp_ieee_invalid_op 0
		.amdhsa_exception_fp_denorm_src 0
		.amdhsa_exception_fp_ieee_div_zero 0
		.amdhsa_exception_fp_ieee_overflow 0
		.amdhsa_exception_fp_ieee_underflow 0
		.amdhsa_exception_fp_ieee_inexact 0
		.amdhsa_exception_int_div_zero 0
	.end_amdhsa_kernel
	.section	.text._ZN7rocprim17ROCPRIM_400000_NS6detail17trampoline_kernelINS0_13select_configILj256ELj13ELNS0_17block_load_methodE3ELS4_3ELS4_3ELNS0_20block_scan_algorithmE0ELj4294967295EEENS1_25partition_config_selectorILNS1_17partition_subalgoE4EjNS0_10empty_typeEbEEZZNS1_14partition_implILS8_4ELb0ES6_15HIP_vector_typeIjLj2EENS0_17counting_iteratorIjlEEPS9_SG_NS0_5tupleIJPjSI_NS0_16reverse_iteratorISI_EEEEENSH_IJSG_SG_SG_EEES9_SI_JZNS1_25segmented_radix_sort_implINS0_14default_configELb0EPKaPaPKlPlN2at6native12_GLOBAL__N_18offset_tEEE10hipError_tPvRmT1_PNSt15iterator_traitsIS12_E10value_typeET2_T3_PNS13_IS18_E10value_typeET4_jRbjT5_S1E_jjP12ihipStream_tbEUljE_ZNSN_ISO_Lb0ESQ_SR_ST_SU_SY_EESZ_S10_S11_S12_S16_S17_S18_S1B_S1C_jS1D_jS1E_S1E_jjS1G_bEUljE0_EEESZ_S10_S11_S18_S1C_S1E_T6_T7_T9_mT8_S1G_bDpT10_ENKUlT_T0_E_clISt17integral_constantIbLb1EES1U_EEDaS1P_S1Q_EUlS1P_E_NS1_11comp_targetILNS1_3genE0ELNS1_11target_archE4294967295ELNS1_3gpuE0ELNS1_3repE0EEENS1_30default_config_static_selectorELNS0_4arch9wavefront6targetE0EEEvS12_,"axG",@progbits,_ZN7rocprim17ROCPRIM_400000_NS6detail17trampoline_kernelINS0_13select_configILj256ELj13ELNS0_17block_load_methodE3ELS4_3ELS4_3ELNS0_20block_scan_algorithmE0ELj4294967295EEENS1_25partition_config_selectorILNS1_17partition_subalgoE4EjNS0_10empty_typeEbEEZZNS1_14partition_implILS8_4ELb0ES6_15HIP_vector_typeIjLj2EENS0_17counting_iteratorIjlEEPS9_SG_NS0_5tupleIJPjSI_NS0_16reverse_iteratorISI_EEEEENSH_IJSG_SG_SG_EEES9_SI_JZNS1_25segmented_radix_sort_implINS0_14default_configELb0EPKaPaPKlPlN2at6native12_GLOBAL__N_18offset_tEEE10hipError_tPvRmT1_PNSt15iterator_traitsIS12_E10value_typeET2_T3_PNS13_IS18_E10value_typeET4_jRbjT5_S1E_jjP12ihipStream_tbEUljE_ZNSN_ISO_Lb0ESQ_SR_ST_SU_SY_EESZ_S10_S11_S12_S16_S17_S18_S1B_S1C_jS1D_jS1E_S1E_jjS1G_bEUljE0_EEESZ_S10_S11_S18_S1C_S1E_T6_T7_T9_mT8_S1G_bDpT10_ENKUlT_T0_E_clISt17integral_constantIbLb1EES1U_EEDaS1P_S1Q_EUlS1P_E_NS1_11comp_targetILNS1_3genE0ELNS1_11target_archE4294967295ELNS1_3gpuE0ELNS1_3repE0EEENS1_30default_config_static_selectorELNS0_4arch9wavefront6targetE0EEEvS12_,comdat
.Lfunc_end334:
	.size	_ZN7rocprim17ROCPRIM_400000_NS6detail17trampoline_kernelINS0_13select_configILj256ELj13ELNS0_17block_load_methodE3ELS4_3ELS4_3ELNS0_20block_scan_algorithmE0ELj4294967295EEENS1_25partition_config_selectorILNS1_17partition_subalgoE4EjNS0_10empty_typeEbEEZZNS1_14partition_implILS8_4ELb0ES6_15HIP_vector_typeIjLj2EENS0_17counting_iteratorIjlEEPS9_SG_NS0_5tupleIJPjSI_NS0_16reverse_iteratorISI_EEEEENSH_IJSG_SG_SG_EEES9_SI_JZNS1_25segmented_radix_sort_implINS0_14default_configELb0EPKaPaPKlPlN2at6native12_GLOBAL__N_18offset_tEEE10hipError_tPvRmT1_PNSt15iterator_traitsIS12_E10value_typeET2_T3_PNS13_IS18_E10value_typeET4_jRbjT5_S1E_jjP12ihipStream_tbEUljE_ZNSN_ISO_Lb0ESQ_SR_ST_SU_SY_EESZ_S10_S11_S12_S16_S17_S18_S1B_S1C_jS1D_jS1E_S1E_jjS1G_bEUljE0_EEESZ_S10_S11_S18_S1C_S1E_T6_T7_T9_mT8_S1G_bDpT10_ENKUlT_T0_E_clISt17integral_constantIbLb1EES1U_EEDaS1P_S1Q_EUlS1P_E_NS1_11comp_targetILNS1_3genE0ELNS1_11target_archE4294967295ELNS1_3gpuE0ELNS1_3repE0EEENS1_30default_config_static_selectorELNS0_4arch9wavefront6targetE0EEEvS12_, .Lfunc_end334-_ZN7rocprim17ROCPRIM_400000_NS6detail17trampoline_kernelINS0_13select_configILj256ELj13ELNS0_17block_load_methodE3ELS4_3ELS4_3ELNS0_20block_scan_algorithmE0ELj4294967295EEENS1_25partition_config_selectorILNS1_17partition_subalgoE4EjNS0_10empty_typeEbEEZZNS1_14partition_implILS8_4ELb0ES6_15HIP_vector_typeIjLj2EENS0_17counting_iteratorIjlEEPS9_SG_NS0_5tupleIJPjSI_NS0_16reverse_iteratorISI_EEEEENSH_IJSG_SG_SG_EEES9_SI_JZNS1_25segmented_radix_sort_implINS0_14default_configELb0EPKaPaPKlPlN2at6native12_GLOBAL__N_18offset_tEEE10hipError_tPvRmT1_PNSt15iterator_traitsIS12_E10value_typeET2_T3_PNS13_IS18_E10value_typeET4_jRbjT5_S1E_jjP12ihipStream_tbEUljE_ZNSN_ISO_Lb0ESQ_SR_ST_SU_SY_EESZ_S10_S11_S12_S16_S17_S18_S1B_S1C_jS1D_jS1E_S1E_jjS1G_bEUljE0_EEESZ_S10_S11_S18_S1C_S1E_T6_T7_T9_mT8_S1G_bDpT10_ENKUlT_T0_E_clISt17integral_constantIbLb1EES1U_EEDaS1P_S1Q_EUlS1P_E_NS1_11comp_targetILNS1_3genE0ELNS1_11target_archE4294967295ELNS1_3gpuE0ELNS1_3repE0EEENS1_30default_config_static_selectorELNS0_4arch9wavefront6targetE0EEEvS12_
                                        ; -- End function
	.set _ZN7rocprim17ROCPRIM_400000_NS6detail17trampoline_kernelINS0_13select_configILj256ELj13ELNS0_17block_load_methodE3ELS4_3ELS4_3ELNS0_20block_scan_algorithmE0ELj4294967295EEENS1_25partition_config_selectorILNS1_17partition_subalgoE4EjNS0_10empty_typeEbEEZZNS1_14partition_implILS8_4ELb0ES6_15HIP_vector_typeIjLj2EENS0_17counting_iteratorIjlEEPS9_SG_NS0_5tupleIJPjSI_NS0_16reverse_iteratorISI_EEEEENSH_IJSG_SG_SG_EEES9_SI_JZNS1_25segmented_radix_sort_implINS0_14default_configELb0EPKaPaPKlPlN2at6native12_GLOBAL__N_18offset_tEEE10hipError_tPvRmT1_PNSt15iterator_traitsIS12_E10value_typeET2_T3_PNS13_IS18_E10value_typeET4_jRbjT5_S1E_jjP12ihipStream_tbEUljE_ZNSN_ISO_Lb0ESQ_SR_ST_SU_SY_EESZ_S10_S11_S12_S16_S17_S18_S1B_S1C_jS1D_jS1E_S1E_jjS1G_bEUljE0_EEESZ_S10_S11_S18_S1C_S1E_T6_T7_T9_mT8_S1G_bDpT10_ENKUlT_T0_E_clISt17integral_constantIbLb1EES1U_EEDaS1P_S1Q_EUlS1P_E_NS1_11comp_targetILNS1_3genE0ELNS1_11target_archE4294967295ELNS1_3gpuE0ELNS1_3repE0EEENS1_30default_config_static_selectorELNS0_4arch9wavefront6targetE0EEEvS12_.num_vgpr, 0
	.set _ZN7rocprim17ROCPRIM_400000_NS6detail17trampoline_kernelINS0_13select_configILj256ELj13ELNS0_17block_load_methodE3ELS4_3ELS4_3ELNS0_20block_scan_algorithmE0ELj4294967295EEENS1_25partition_config_selectorILNS1_17partition_subalgoE4EjNS0_10empty_typeEbEEZZNS1_14partition_implILS8_4ELb0ES6_15HIP_vector_typeIjLj2EENS0_17counting_iteratorIjlEEPS9_SG_NS0_5tupleIJPjSI_NS0_16reverse_iteratorISI_EEEEENSH_IJSG_SG_SG_EEES9_SI_JZNS1_25segmented_radix_sort_implINS0_14default_configELb0EPKaPaPKlPlN2at6native12_GLOBAL__N_18offset_tEEE10hipError_tPvRmT1_PNSt15iterator_traitsIS12_E10value_typeET2_T3_PNS13_IS18_E10value_typeET4_jRbjT5_S1E_jjP12ihipStream_tbEUljE_ZNSN_ISO_Lb0ESQ_SR_ST_SU_SY_EESZ_S10_S11_S12_S16_S17_S18_S1B_S1C_jS1D_jS1E_S1E_jjS1G_bEUljE0_EEESZ_S10_S11_S18_S1C_S1E_T6_T7_T9_mT8_S1G_bDpT10_ENKUlT_T0_E_clISt17integral_constantIbLb1EES1U_EEDaS1P_S1Q_EUlS1P_E_NS1_11comp_targetILNS1_3genE0ELNS1_11target_archE4294967295ELNS1_3gpuE0ELNS1_3repE0EEENS1_30default_config_static_selectorELNS0_4arch9wavefront6targetE0EEEvS12_.num_agpr, 0
	.set _ZN7rocprim17ROCPRIM_400000_NS6detail17trampoline_kernelINS0_13select_configILj256ELj13ELNS0_17block_load_methodE3ELS4_3ELS4_3ELNS0_20block_scan_algorithmE0ELj4294967295EEENS1_25partition_config_selectorILNS1_17partition_subalgoE4EjNS0_10empty_typeEbEEZZNS1_14partition_implILS8_4ELb0ES6_15HIP_vector_typeIjLj2EENS0_17counting_iteratorIjlEEPS9_SG_NS0_5tupleIJPjSI_NS0_16reverse_iteratorISI_EEEEENSH_IJSG_SG_SG_EEES9_SI_JZNS1_25segmented_radix_sort_implINS0_14default_configELb0EPKaPaPKlPlN2at6native12_GLOBAL__N_18offset_tEEE10hipError_tPvRmT1_PNSt15iterator_traitsIS12_E10value_typeET2_T3_PNS13_IS18_E10value_typeET4_jRbjT5_S1E_jjP12ihipStream_tbEUljE_ZNSN_ISO_Lb0ESQ_SR_ST_SU_SY_EESZ_S10_S11_S12_S16_S17_S18_S1B_S1C_jS1D_jS1E_S1E_jjS1G_bEUljE0_EEESZ_S10_S11_S18_S1C_S1E_T6_T7_T9_mT8_S1G_bDpT10_ENKUlT_T0_E_clISt17integral_constantIbLb1EES1U_EEDaS1P_S1Q_EUlS1P_E_NS1_11comp_targetILNS1_3genE0ELNS1_11target_archE4294967295ELNS1_3gpuE0ELNS1_3repE0EEENS1_30default_config_static_selectorELNS0_4arch9wavefront6targetE0EEEvS12_.numbered_sgpr, 0
	.set _ZN7rocprim17ROCPRIM_400000_NS6detail17trampoline_kernelINS0_13select_configILj256ELj13ELNS0_17block_load_methodE3ELS4_3ELS4_3ELNS0_20block_scan_algorithmE0ELj4294967295EEENS1_25partition_config_selectorILNS1_17partition_subalgoE4EjNS0_10empty_typeEbEEZZNS1_14partition_implILS8_4ELb0ES6_15HIP_vector_typeIjLj2EENS0_17counting_iteratorIjlEEPS9_SG_NS0_5tupleIJPjSI_NS0_16reverse_iteratorISI_EEEEENSH_IJSG_SG_SG_EEES9_SI_JZNS1_25segmented_radix_sort_implINS0_14default_configELb0EPKaPaPKlPlN2at6native12_GLOBAL__N_18offset_tEEE10hipError_tPvRmT1_PNSt15iterator_traitsIS12_E10value_typeET2_T3_PNS13_IS18_E10value_typeET4_jRbjT5_S1E_jjP12ihipStream_tbEUljE_ZNSN_ISO_Lb0ESQ_SR_ST_SU_SY_EESZ_S10_S11_S12_S16_S17_S18_S1B_S1C_jS1D_jS1E_S1E_jjS1G_bEUljE0_EEESZ_S10_S11_S18_S1C_S1E_T6_T7_T9_mT8_S1G_bDpT10_ENKUlT_T0_E_clISt17integral_constantIbLb1EES1U_EEDaS1P_S1Q_EUlS1P_E_NS1_11comp_targetILNS1_3genE0ELNS1_11target_archE4294967295ELNS1_3gpuE0ELNS1_3repE0EEENS1_30default_config_static_selectorELNS0_4arch9wavefront6targetE0EEEvS12_.num_named_barrier, 0
	.set _ZN7rocprim17ROCPRIM_400000_NS6detail17trampoline_kernelINS0_13select_configILj256ELj13ELNS0_17block_load_methodE3ELS4_3ELS4_3ELNS0_20block_scan_algorithmE0ELj4294967295EEENS1_25partition_config_selectorILNS1_17partition_subalgoE4EjNS0_10empty_typeEbEEZZNS1_14partition_implILS8_4ELb0ES6_15HIP_vector_typeIjLj2EENS0_17counting_iteratorIjlEEPS9_SG_NS0_5tupleIJPjSI_NS0_16reverse_iteratorISI_EEEEENSH_IJSG_SG_SG_EEES9_SI_JZNS1_25segmented_radix_sort_implINS0_14default_configELb0EPKaPaPKlPlN2at6native12_GLOBAL__N_18offset_tEEE10hipError_tPvRmT1_PNSt15iterator_traitsIS12_E10value_typeET2_T3_PNS13_IS18_E10value_typeET4_jRbjT5_S1E_jjP12ihipStream_tbEUljE_ZNSN_ISO_Lb0ESQ_SR_ST_SU_SY_EESZ_S10_S11_S12_S16_S17_S18_S1B_S1C_jS1D_jS1E_S1E_jjS1G_bEUljE0_EEESZ_S10_S11_S18_S1C_S1E_T6_T7_T9_mT8_S1G_bDpT10_ENKUlT_T0_E_clISt17integral_constantIbLb1EES1U_EEDaS1P_S1Q_EUlS1P_E_NS1_11comp_targetILNS1_3genE0ELNS1_11target_archE4294967295ELNS1_3gpuE0ELNS1_3repE0EEENS1_30default_config_static_selectorELNS0_4arch9wavefront6targetE0EEEvS12_.private_seg_size, 0
	.set _ZN7rocprim17ROCPRIM_400000_NS6detail17trampoline_kernelINS0_13select_configILj256ELj13ELNS0_17block_load_methodE3ELS4_3ELS4_3ELNS0_20block_scan_algorithmE0ELj4294967295EEENS1_25partition_config_selectorILNS1_17partition_subalgoE4EjNS0_10empty_typeEbEEZZNS1_14partition_implILS8_4ELb0ES6_15HIP_vector_typeIjLj2EENS0_17counting_iteratorIjlEEPS9_SG_NS0_5tupleIJPjSI_NS0_16reverse_iteratorISI_EEEEENSH_IJSG_SG_SG_EEES9_SI_JZNS1_25segmented_radix_sort_implINS0_14default_configELb0EPKaPaPKlPlN2at6native12_GLOBAL__N_18offset_tEEE10hipError_tPvRmT1_PNSt15iterator_traitsIS12_E10value_typeET2_T3_PNS13_IS18_E10value_typeET4_jRbjT5_S1E_jjP12ihipStream_tbEUljE_ZNSN_ISO_Lb0ESQ_SR_ST_SU_SY_EESZ_S10_S11_S12_S16_S17_S18_S1B_S1C_jS1D_jS1E_S1E_jjS1G_bEUljE0_EEESZ_S10_S11_S18_S1C_S1E_T6_T7_T9_mT8_S1G_bDpT10_ENKUlT_T0_E_clISt17integral_constantIbLb1EES1U_EEDaS1P_S1Q_EUlS1P_E_NS1_11comp_targetILNS1_3genE0ELNS1_11target_archE4294967295ELNS1_3gpuE0ELNS1_3repE0EEENS1_30default_config_static_selectorELNS0_4arch9wavefront6targetE0EEEvS12_.uses_vcc, 0
	.set _ZN7rocprim17ROCPRIM_400000_NS6detail17trampoline_kernelINS0_13select_configILj256ELj13ELNS0_17block_load_methodE3ELS4_3ELS4_3ELNS0_20block_scan_algorithmE0ELj4294967295EEENS1_25partition_config_selectorILNS1_17partition_subalgoE4EjNS0_10empty_typeEbEEZZNS1_14partition_implILS8_4ELb0ES6_15HIP_vector_typeIjLj2EENS0_17counting_iteratorIjlEEPS9_SG_NS0_5tupleIJPjSI_NS0_16reverse_iteratorISI_EEEEENSH_IJSG_SG_SG_EEES9_SI_JZNS1_25segmented_radix_sort_implINS0_14default_configELb0EPKaPaPKlPlN2at6native12_GLOBAL__N_18offset_tEEE10hipError_tPvRmT1_PNSt15iterator_traitsIS12_E10value_typeET2_T3_PNS13_IS18_E10value_typeET4_jRbjT5_S1E_jjP12ihipStream_tbEUljE_ZNSN_ISO_Lb0ESQ_SR_ST_SU_SY_EESZ_S10_S11_S12_S16_S17_S18_S1B_S1C_jS1D_jS1E_S1E_jjS1G_bEUljE0_EEESZ_S10_S11_S18_S1C_S1E_T6_T7_T9_mT8_S1G_bDpT10_ENKUlT_T0_E_clISt17integral_constantIbLb1EES1U_EEDaS1P_S1Q_EUlS1P_E_NS1_11comp_targetILNS1_3genE0ELNS1_11target_archE4294967295ELNS1_3gpuE0ELNS1_3repE0EEENS1_30default_config_static_selectorELNS0_4arch9wavefront6targetE0EEEvS12_.uses_flat_scratch, 0
	.set _ZN7rocprim17ROCPRIM_400000_NS6detail17trampoline_kernelINS0_13select_configILj256ELj13ELNS0_17block_load_methodE3ELS4_3ELS4_3ELNS0_20block_scan_algorithmE0ELj4294967295EEENS1_25partition_config_selectorILNS1_17partition_subalgoE4EjNS0_10empty_typeEbEEZZNS1_14partition_implILS8_4ELb0ES6_15HIP_vector_typeIjLj2EENS0_17counting_iteratorIjlEEPS9_SG_NS0_5tupleIJPjSI_NS0_16reverse_iteratorISI_EEEEENSH_IJSG_SG_SG_EEES9_SI_JZNS1_25segmented_radix_sort_implINS0_14default_configELb0EPKaPaPKlPlN2at6native12_GLOBAL__N_18offset_tEEE10hipError_tPvRmT1_PNSt15iterator_traitsIS12_E10value_typeET2_T3_PNS13_IS18_E10value_typeET4_jRbjT5_S1E_jjP12ihipStream_tbEUljE_ZNSN_ISO_Lb0ESQ_SR_ST_SU_SY_EESZ_S10_S11_S12_S16_S17_S18_S1B_S1C_jS1D_jS1E_S1E_jjS1G_bEUljE0_EEESZ_S10_S11_S18_S1C_S1E_T6_T7_T9_mT8_S1G_bDpT10_ENKUlT_T0_E_clISt17integral_constantIbLb1EES1U_EEDaS1P_S1Q_EUlS1P_E_NS1_11comp_targetILNS1_3genE0ELNS1_11target_archE4294967295ELNS1_3gpuE0ELNS1_3repE0EEENS1_30default_config_static_selectorELNS0_4arch9wavefront6targetE0EEEvS12_.has_dyn_sized_stack, 0
	.set _ZN7rocprim17ROCPRIM_400000_NS6detail17trampoline_kernelINS0_13select_configILj256ELj13ELNS0_17block_load_methodE3ELS4_3ELS4_3ELNS0_20block_scan_algorithmE0ELj4294967295EEENS1_25partition_config_selectorILNS1_17partition_subalgoE4EjNS0_10empty_typeEbEEZZNS1_14partition_implILS8_4ELb0ES6_15HIP_vector_typeIjLj2EENS0_17counting_iteratorIjlEEPS9_SG_NS0_5tupleIJPjSI_NS0_16reverse_iteratorISI_EEEEENSH_IJSG_SG_SG_EEES9_SI_JZNS1_25segmented_radix_sort_implINS0_14default_configELb0EPKaPaPKlPlN2at6native12_GLOBAL__N_18offset_tEEE10hipError_tPvRmT1_PNSt15iterator_traitsIS12_E10value_typeET2_T3_PNS13_IS18_E10value_typeET4_jRbjT5_S1E_jjP12ihipStream_tbEUljE_ZNSN_ISO_Lb0ESQ_SR_ST_SU_SY_EESZ_S10_S11_S12_S16_S17_S18_S1B_S1C_jS1D_jS1E_S1E_jjS1G_bEUljE0_EEESZ_S10_S11_S18_S1C_S1E_T6_T7_T9_mT8_S1G_bDpT10_ENKUlT_T0_E_clISt17integral_constantIbLb1EES1U_EEDaS1P_S1Q_EUlS1P_E_NS1_11comp_targetILNS1_3genE0ELNS1_11target_archE4294967295ELNS1_3gpuE0ELNS1_3repE0EEENS1_30default_config_static_selectorELNS0_4arch9wavefront6targetE0EEEvS12_.has_recursion, 0
	.set _ZN7rocprim17ROCPRIM_400000_NS6detail17trampoline_kernelINS0_13select_configILj256ELj13ELNS0_17block_load_methodE3ELS4_3ELS4_3ELNS0_20block_scan_algorithmE0ELj4294967295EEENS1_25partition_config_selectorILNS1_17partition_subalgoE4EjNS0_10empty_typeEbEEZZNS1_14partition_implILS8_4ELb0ES6_15HIP_vector_typeIjLj2EENS0_17counting_iteratorIjlEEPS9_SG_NS0_5tupleIJPjSI_NS0_16reverse_iteratorISI_EEEEENSH_IJSG_SG_SG_EEES9_SI_JZNS1_25segmented_radix_sort_implINS0_14default_configELb0EPKaPaPKlPlN2at6native12_GLOBAL__N_18offset_tEEE10hipError_tPvRmT1_PNSt15iterator_traitsIS12_E10value_typeET2_T3_PNS13_IS18_E10value_typeET4_jRbjT5_S1E_jjP12ihipStream_tbEUljE_ZNSN_ISO_Lb0ESQ_SR_ST_SU_SY_EESZ_S10_S11_S12_S16_S17_S18_S1B_S1C_jS1D_jS1E_S1E_jjS1G_bEUljE0_EEESZ_S10_S11_S18_S1C_S1E_T6_T7_T9_mT8_S1G_bDpT10_ENKUlT_T0_E_clISt17integral_constantIbLb1EES1U_EEDaS1P_S1Q_EUlS1P_E_NS1_11comp_targetILNS1_3genE0ELNS1_11target_archE4294967295ELNS1_3gpuE0ELNS1_3repE0EEENS1_30default_config_static_selectorELNS0_4arch9wavefront6targetE0EEEvS12_.has_indirect_call, 0
	.section	.AMDGPU.csdata,"",@progbits
; Kernel info:
; codeLenInByte = 0
; TotalNumSgprs: 0
; NumVgprs: 0
; ScratchSize: 0
; MemoryBound: 0
; FloatMode: 240
; IeeeMode: 1
; LDSByteSize: 0 bytes/workgroup (compile time only)
; SGPRBlocks: 0
; VGPRBlocks: 0
; NumSGPRsForWavesPerEU: 1
; NumVGPRsForWavesPerEU: 1
; Occupancy: 16
; WaveLimiterHint : 0
; COMPUTE_PGM_RSRC2:SCRATCH_EN: 0
; COMPUTE_PGM_RSRC2:USER_SGPR: 6
; COMPUTE_PGM_RSRC2:TRAP_HANDLER: 0
; COMPUTE_PGM_RSRC2:TGID_X_EN: 1
; COMPUTE_PGM_RSRC2:TGID_Y_EN: 0
; COMPUTE_PGM_RSRC2:TGID_Z_EN: 0
; COMPUTE_PGM_RSRC2:TIDIG_COMP_CNT: 0
	.section	.text._ZN7rocprim17ROCPRIM_400000_NS6detail17trampoline_kernelINS0_13select_configILj256ELj13ELNS0_17block_load_methodE3ELS4_3ELS4_3ELNS0_20block_scan_algorithmE0ELj4294967295EEENS1_25partition_config_selectorILNS1_17partition_subalgoE4EjNS0_10empty_typeEbEEZZNS1_14partition_implILS8_4ELb0ES6_15HIP_vector_typeIjLj2EENS0_17counting_iteratorIjlEEPS9_SG_NS0_5tupleIJPjSI_NS0_16reverse_iteratorISI_EEEEENSH_IJSG_SG_SG_EEES9_SI_JZNS1_25segmented_radix_sort_implINS0_14default_configELb0EPKaPaPKlPlN2at6native12_GLOBAL__N_18offset_tEEE10hipError_tPvRmT1_PNSt15iterator_traitsIS12_E10value_typeET2_T3_PNS13_IS18_E10value_typeET4_jRbjT5_S1E_jjP12ihipStream_tbEUljE_ZNSN_ISO_Lb0ESQ_SR_ST_SU_SY_EESZ_S10_S11_S12_S16_S17_S18_S1B_S1C_jS1D_jS1E_S1E_jjS1G_bEUljE0_EEESZ_S10_S11_S18_S1C_S1E_T6_T7_T9_mT8_S1G_bDpT10_ENKUlT_T0_E_clISt17integral_constantIbLb1EES1U_EEDaS1P_S1Q_EUlS1P_E_NS1_11comp_targetILNS1_3genE5ELNS1_11target_archE942ELNS1_3gpuE9ELNS1_3repE0EEENS1_30default_config_static_selectorELNS0_4arch9wavefront6targetE0EEEvS12_,"axG",@progbits,_ZN7rocprim17ROCPRIM_400000_NS6detail17trampoline_kernelINS0_13select_configILj256ELj13ELNS0_17block_load_methodE3ELS4_3ELS4_3ELNS0_20block_scan_algorithmE0ELj4294967295EEENS1_25partition_config_selectorILNS1_17partition_subalgoE4EjNS0_10empty_typeEbEEZZNS1_14partition_implILS8_4ELb0ES6_15HIP_vector_typeIjLj2EENS0_17counting_iteratorIjlEEPS9_SG_NS0_5tupleIJPjSI_NS0_16reverse_iteratorISI_EEEEENSH_IJSG_SG_SG_EEES9_SI_JZNS1_25segmented_radix_sort_implINS0_14default_configELb0EPKaPaPKlPlN2at6native12_GLOBAL__N_18offset_tEEE10hipError_tPvRmT1_PNSt15iterator_traitsIS12_E10value_typeET2_T3_PNS13_IS18_E10value_typeET4_jRbjT5_S1E_jjP12ihipStream_tbEUljE_ZNSN_ISO_Lb0ESQ_SR_ST_SU_SY_EESZ_S10_S11_S12_S16_S17_S18_S1B_S1C_jS1D_jS1E_S1E_jjS1G_bEUljE0_EEESZ_S10_S11_S18_S1C_S1E_T6_T7_T9_mT8_S1G_bDpT10_ENKUlT_T0_E_clISt17integral_constantIbLb1EES1U_EEDaS1P_S1Q_EUlS1P_E_NS1_11comp_targetILNS1_3genE5ELNS1_11target_archE942ELNS1_3gpuE9ELNS1_3repE0EEENS1_30default_config_static_selectorELNS0_4arch9wavefront6targetE0EEEvS12_,comdat
	.globl	_ZN7rocprim17ROCPRIM_400000_NS6detail17trampoline_kernelINS0_13select_configILj256ELj13ELNS0_17block_load_methodE3ELS4_3ELS4_3ELNS0_20block_scan_algorithmE0ELj4294967295EEENS1_25partition_config_selectorILNS1_17partition_subalgoE4EjNS0_10empty_typeEbEEZZNS1_14partition_implILS8_4ELb0ES6_15HIP_vector_typeIjLj2EENS0_17counting_iteratorIjlEEPS9_SG_NS0_5tupleIJPjSI_NS0_16reverse_iteratorISI_EEEEENSH_IJSG_SG_SG_EEES9_SI_JZNS1_25segmented_radix_sort_implINS0_14default_configELb0EPKaPaPKlPlN2at6native12_GLOBAL__N_18offset_tEEE10hipError_tPvRmT1_PNSt15iterator_traitsIS12_E10value_typeET2_T3_PNS13_IS18_E10value_typeET4_jRbjT5_S1E_jjP12ihipStream_tbEUljE_ZNSN_ISO_Lb0ESQ_SR_ST_SU_SY_EESZ_S10_S11_S12_S16_S17_S18_S1B_S1C_jS1D_jS1E_S1E_jjS1G_bEUljE0_EEESZ_S10_S11_S18_S1C_S1E_T6_T7_T9_mT8_S1G_bDpT10_ENKUlT_T0_E_clISt17integral_constantIbLb1EES1U_EEDaS1P_S1Q_EUlS1P_E_NS1_11comp_targetILNS1_3genE5ELNS1_11target_archE942ELNS1_3gpuE9ELNS1_3repE0EEENS1_30default_config_static_selectorELNS0_4arch9wavefront6targetE0EEEvS12_ ; -- Begin function _ZN7rocprim17ROCPRIM_400000_NS6detail17trampoline_kernelINS0_13select_configILj256ELj13ELNS0_17block_load_methodE3ELS4_3ELS4_3ELNS0_20block_scan_algorithmE0ELj4294967295EEENS1_25partition_config_selectorILNS1_17partition_subalgoE4EjNS0_10empty_typeEbEEZZNS1_14partition_implILS8_4ELb0ES6_15HIP_vector_typeIjLj2EENS0_17counting_iteratorIjlEEPS9_SG_NS0_5tupleIJPjSI_NS0_16reverse_iteratorISI_EEEEENSH_IJSG_SG_SG_EEES9_SI_JZNS1_25segmented_radix_sort_implINS0_14default_configELb0EPKaPaPKlPlN2at6native12_GLOBAL__N_18offset_tEEE10hipError_tPvRmT1_PNSt15iterator_traitsIS12_E10value_typeET2_T3_PNS13_IS18_E10value_typeET4_jRbjT5_S1E_jjP12ihipStream_tbEUljE_ZNSN_ISO_Lb0ESQ_SR_ST_SU_SY_EESZ_S10_S11_S12_S16_S17_S18_S1B_S1C_jS1D_jS1E_S1E_jjS1G_bEUljE0_EEESZ_S10_S11_S18_S1C_S1E_T6_T7_T9_mT8_S1G_bDpT10_ENKUlT_T0_E_clISt17integral_constantIbLb1EES1U_EEDaS1P_S1Q_EUlS1P_E_NS1_11comp_targetILNS1_3genE5ELNS1_11target_archE942ELNS1_3gpuE9ELNS1_3repE0EEENS1_30default_config_static_selectorELNS0_4arch9wavefront6targetE0EEEvS12_
	.p2align	8
	.type	_ZN7rocprim17ROCPRIM_400000_NS6detail17trampoline_kernelINS0_13select_configILj256ELj13ELNS0_17block_load_methodE3ELS4_3ELS4_3ELNS0_20block_scan_algorithmE0ELj4294967295EEENS1_25partition_config_selectorILNS1_17partition_subalgoE4EjNS0_10empty_typeEbEEZZNS1_14partition_implILS8_4ELb0ES6_15HIP_vector_typeIjLj2EENS0_17counting_iteratorIjlEEPS9_SG_NS0_5tupleIJPjSI_NS0_16reverse_iteratorISI_EEEEENSH_IJSG_SG_SG_EEES9_SI_JZNS1_25segmented_radix_sort_implINS0_14default_configELb0EPKaPaPKlPlN2at6native12_GLOBAL__N_18offset_tEEE10hipError_tPvRmT1_PNSt15iterator_traitsIS12_E10value_typeET2_T3_PNS13_IS18_E10value_typeET4_jRbjT5_S1E_jjP12ihipStream_tbEUljE_ZNSN_ISO_Lb0ESQ_SR_ST_SU_SY_EESZ_S10_S11_S12_S16_S17_S18_S1B_S1C_jS1D_jS1E_S1E_jjS1G_bEUljE0_EEESZ_S10_S11_S18_S1C_S1E_T6_T7_T9_mT8_S1G_bDpT10_ENKUlT_T0_E_clISt17integral_constantIbLb1EES1U_EEDaS1P_S1Q_EUlS1P_E_NS1_11comp_targetILNS1_3genE5ELNS1_11target_archE942ELNS1_3gpuE9ELNS1_3repE0EEENS1_30default_config_static_selectorELNS0_4arch9wavefront6targetE0EEEvS12_,@function
_ZN7rocprim17ROCPRIM_400000_NS6detail17trampoline_kernelINS0_13select_configILj256ELj13ELNS0_17block_load_methodE3ELS4_3ELS4_3ELNS0_20block_scan_algorithmE0ELj4294967295EEENS1_25partition_config_selectorILNS1_17partition_subalgoE4EjNS0_10empty_typeEbEEZZNS1_14partition_implILS8_4ELb0ES6_15HIP_vector_typeIjLj2EENS0_17counting_iteratorIjlEEPS9_SG_NS0_5tupleIJPjSI_NS0_16reverse_iteratorISI_EEEEENSH_IJSG_SG_SG_EEES9_SI_JZNS1_25segmented_radix_sort_implINS0_14default_configELb0EPKaPaPKlPlN2at6native12_GLOBAL__N_18offset_tEEE10hipError_tPvRmT1_PNSt15iterator_traitsIS12_E10value_typeET2_T3_PNS13_IS18_E10value_typeET4_jRbjT5_S1E_jjP12ihipStream_tbEUljE_ZNSN_ISO_Lb0ESQ_SR_ST_SU_SY_EESZ_S10_S11_S12_S16_S17_S18_S1B_S1C_jS1D_jS1E_S1E_jjS1G_bEUljE0_EEESZ_S10_S11_S18_S1C_S1E_T6_T7_T9_mT8_S1G_bDpT10_ENKUlT_T0_E_clISt17integral_constantIbLb1EES1U_EEDaS1P_S1Q_EUlS1P_E_NS1_11comp_targetILNS1_3genE5ELNS1_11target_archE942ELNS1_3gpuE9ELNS1_3repE0EEENS1_30default_config_static_selectorELNS0_4arch9wavefront6targetE0EEEvS12_: ; @_ZN7rocprim17ROCPRIM_400000_NS6detail17trampoline_kernelINS0_13select_configILj256ELj13ELNS0_17block_load_methodE3ELS4_3ELS4_3ELNS0_20block_scan_algorithmE0ELj4294967295EEENS1_25partition_config_selectorILNS1_17partition_subalgoE4EjNS0_10empty_typeEbEEZZNS1_14partition_implILS8_4ELb0ES6_15HIP_vector_typeIjLj2EENS0_17counting_iteratorIjlEEPS9_SG_NS0_5tupleIJPjSI_NS0_16reverse_iteratorISI_EEEEENSH_IJSG_SG_SG_EEES9_SI_JZNS1_25segmented_radix_sort_implINS0_14default_configELb0EPKaPaPKlPlN2at6native12_GLOBAL__N_18offset_tEEE10hipError_tPvRmT1_PNSt15iterator_traitsIS12_E10value_typeET2_T3_PNS13_IS18_E10value_typeET4_jRbjT5_S1E_jjP12ihipStream_tbEUljE_ZNSN_ISO_Lb0ESQ_SR_ST_SU_SY_EESZ_S10_S11_S12_S16_S17_S18_S1B_S1C_jS1D_jS1E_S1E_jjS1G_bEUljE0_EEESZ_S10_S11_S18_S1C_S1E_T6_T7_T9_mT8_S1G_bDpT10_ENKUlT_T0_E_clISt17integral_constantIbLb1EES1U_EEDaS1P_S1Q_EUlS1P_E_NS1_11comp_targetILNS1_3genE5ELNS1_11target_archE942ELNS1_3gpuE9ELNS1_3repE0EEENS1_30default_config_static_selectorELNS0_4arch9wavefront6targetE0EEEvS12_
; %bb.0:
	.section	.rodata,"a",@progbits
	.p2align	6, 0x0
	.amdhsa_kernel _ZN7rocprim17ROCPRIM_400000_NS6detail17trampoline_kernelINS0_13select_configILj256ELj13ELNS0_17block_load_methodE3ELS4_3ELS4_3ELNS0_20block_scan_algorithmE0ELj4294967295EEENS1_25partition_config_selectorILNS1_17partition_subalgoE4EjNS0_10empty_typeEbEEZZNS1_14partition_implILS8_4ELb0ES6_15HIP_vector_typeIjLj2EENS0_17counting_iteratorIjlEEPS9_SG_NS0_5tupleIJPjSI_NS0_16reverse_iteratorISI_EEEEENSH_IJSG_SG_SG_EEES9_SI_JZNS1_25segmented_radix_sort_implINS0_14default_configELb0EPKaPaPKlPlN2at6native12_GLOBAL__N_18offset_tEEE10hipError_tPvRmT1_PNSt15iterator_traitsIS12_E10value_typeET2_T3_PNS13_IS18_E10value_typeET4_jRbjT5_S1E_jjP12ihipStream_tbEUljE_ZNSN_ISO_Lb0ESQ_SR_ST_SU_SY_EESZ_S10_S11_S12_S16_S17_S18_S1B_S1C_jS1D_jS1E_S1E_jjS1G_bEUljE0_EEESZ_S10_S11_S18_S1C_S1E_T6_T7_T9_mT8_S1G_bDpT10_ENKUlT_T0_E_clISt17integral_constantIbLb1EES1U_EEDaS1P_S1Q_EUlS1P_E_NS1_11comp_targetILNS1_3genE5ELNS1_11target_archE942ELNS1_3gpuE9ELNS1_3repE0EEENS1_30default_config_static_selectorELNS0_4arch9wavefront6targetE0EEEvS12_
		.amdhsa_group_segment_fixed_size 0
		.amdhsa_private_segment_fixed_size 0
		.amdhsa_kernarg_size 184
		.amdhsa_user_sgpr_count 6
		.amdhsa_user_sgpr_private_segment_buffer 1
		.amdhsa_user_sgpr_dispatch_ptr 0
		.amdhsa_user_sgpr_queue_ptr 0
		.amdhsa_user_sgpr_kernarg_segment_ptr 1
		.amdhsa_user_sgpr_dispatch_id 0
		.amdhsa_user_sgpr_flat_scratch_init 0
		.amdhsa_user_sgpr_private_segment_size 0
		.amdhsa_wavefront_size32 1
		.amdhsa_uses_dynamic_stack 0
		.amdhsa_system_sgpr_private_segment_wavefront_offset 0
		.amdhsa_system_sgpr_workgroup_id_x 1
		.amdhsa_system_sgpr_workgroup_id_y 0
		.amdhsa_system_sgpr_workgroup_id_z 0
		.amdhsa_system_sgpr_workgroup_info 0
		.amdhsa_system_vgpr_workitem_id 0
		.amdhsa_next_free_vgpr 1
		.amdhsa_next_free_sgpr 1
		.amdhsa_reserve_vcc 0
		.amdhsa_reserve_flat_scratch 0
		.amdhsa_float_round_mode_32 0
		.amdhsa_float_round_mode_16_64 0
		.amdhsa_float_denorm_mode_32 3
		.amdhsa_float_denorm_mode_16_64 3
		.amdhsa_dx10_clamp 1
		.amdhsa_ieee_mode 1
		.amdhsa_fp16_overflow 0
		.amdhsa_workgroup_processor_mode 1
		.amdhsa_memory_ordered 1
		.amdhsa_forward_progress 1
		.amdhsa_shared_vgpr_count 0
		.amdhsa_exception_fp_ieee_invalid_op 0
		.amdhsa_exception_fp_denorm_src 0
		.amdhsa_exception_fp_ieee_div_zero 0
		.amdhsa_exception_fp_ieee_overflow 0
		.amdhsa_exception_fp_ieee_underflow 0
		.amdhsa_exception_fp_ieee_inexact 0
		.amdhsa_exception_int_div_zero 0
	.end_amdhsa_kernel
	.section	.text._ZN7rocprim17ROCPRIM_400000_NS6detail17trampoline_kernelINS0_13select_configILj256ELj13ELNS0_17block_load_methodE3ELS4_3ELS4_3ELNS0_20block_scan_algorithmE0ELj4294967295EEENS1_25partition_config_selectorILNS1_17partition_subalgoE4EjNS0_10empty_typeEbEEZZNS1_14partition_implILS8_4ELb0ES6_15HIP_vector_typeIjLj2EENS0_17counting_iteratorIjlEEPS9_SG_NS0_5tupleIJPjSI_NS0_16reverse_iteratorISI_EEEEENSH_IJSG_SG_SG_EEES9_SI_JZNS1_25segmented_radix_sort_implINS0_14default_configELb0EPKaPaPKlPlN2at6native12_GLOBAL__N_18offset_tEEE10hipError_tPvRmT1_PNSt15iterator_traitsIS12_E10value_typeET2_T3_PNS13_IS18_E10value_typeET4_jRbjT5_S1E_jjP12ihipStream_tbEUljE_ZNSN_ISO_Lb0ESQ_SR_ST_SU_SY_EESZ_S10_S11_S12_S16_S17_S18_S1B_S1C_jS1D_jS1E_S1E_jjS1G_bEUljE0_EEESZ_S10_S11_S18_S1C_S1E_T6_T7_T9_mT8_S1G_bDpT10_ENKUlT_T0_E_clISt17integral_constantIbLb1EES1U_EEDaS1P_S1Q_EUlS1P_E_NS1_11comp_targetILNS1_3genE5ELNS1_11target_archE942ELNS1_3gpuE9ELNS1_3repE0EEENS1_30default_config_static_selectorELNS0_4arch9wavefront6targetE0EEEvS12_,"axG",@progbits,_ZN7rocprim17ROCPRIM_400000_NS6detail17trampoline_kernelINS0_13select_configILj256ELj13ELNS0_17block_load_methodE3ELS4_3ELS4_3ELNS0_20block_scan_algorithmE0ELj4294967295EEENS1_25partition_config_selectorILNS1_17partition_subalgoE4EjNS0_10empty_typeEbEEZZNS1_14partition_implILS8_4ELb0ES6_15HIP_vector_typeIjLj2EENS0_17counting_iteratorIjlEEPS9_SG_NS0_5tupleIJPjSI_NS0_16reverse_iteratorISI_EEEEENSH_IJSG_SG_SG_EEES9_SI_JZNS1_25segmented_radix_sort_implINS0_14default_configELb0EPKaPaPKlPlN2at6native12_GLOBAL__N_18offset_tEEE10hipError_tPvRmT1_PNSt15iterator_traitsIS12_E10value_typeET2_T3_PNS13_IS18_E10value_typeET4_jRbjT5_S1E_jjP12ihipStream_tbEUljE_ZNSN_ISO_Lb0ESQ_SR_ST_SU_SY_EESZ_S10_S11_S12_S16_S17_S18_S1B_S1C_jS1D_jS1E_S1E_jjS1G_bEUljE0_EEESZ_S10_S11_S18_S1C_S1E_T6_T7_T9_mT8_S1G_bDpT10_ENKUlT_T0_E_clISt17integral_constantIbLb1EES1U_EEDaS1P_S1Q_EUlS1P_E_NS1_11comp_targetILNS1_3genE5ELNS1_11target_archE942ELNS1_3gpuE9ELNS1_3repE0EEENS1_30default_config_static_selectorELNS0_4arch9wavefront6targetE0EEEvS12_,comdat
.Lfunc_end335:
	.size	_ZN7rocprim17ROCPRIM_400000_NS6detail17trampoline_kernelINS0_13select_configILj256ELj13ELNS0_17block_load_methodE3ELS4_3ELS4_3ELNS0_20block_scan_algorithmE0ELj4294967295EEENS1_25partition_config_selectorILNS1_17partition_subalgoE4EjNS0_10empty_typeEbEEZZNS1_14partition_implILS8_4ELb0ES6_15HIP_vector_typeIjLj2EENS0_17counting_iteratorIjlEEPS9_SG_NS0_5tupleIJPjSI_NS0_16reverse_iteratorISI_EEEEENSH_IJSG_SG_SG_EEES9_SI_JZNS1_25segmented_radix_sort_implINS0_14default_configELb0EPKaPaPKlPlN2at6native12_GLOBAL__N_18offset_tEEE10hipError_tPvRmT1_PNSt15iterator_traitsIS12_E10value_typeET2_T3_PNS13_IS18_E10value_typeET4_jRbjT5_S1E_jjP12ihipStream_tbEUljE_ZNSN_ISO_Lb0ESQ_SR_ST_SU_SY_EESZ_S10_S11_S12_S16_S17_S18_S1B_S1C_jS1D_jS1E_S1E_jjS1G_bEUljE0_EEESZ_S10_S11_S18_S1C_S1E_T6_T7_T9_mT8_S1G_bDpT10_ENKUlT_T0_E_clISt17integral_constantIbLb1EES1U_EEDaS1P_S1Q_EUlS1P_E_NS1_11comp_targetILNS1_3genE5ELNS1_11target_archE942ELNS1_3gpuE9ELNS1_3repE0EEENS1_30default_config_static_selectorELNS0_4arch9wavefront6targetE0EEEvS12_, .Lfunc_end335-_ZN7rocprim17ROCPRIM_400000_NS6detail17trampoline_kernelINS0_13select_configILj256ELj13ELNS0_17block_load_methodE3ELS4_3ELS4_3ELNS0_20block_scan_algorithmE0ELj4294967295EEENS1_25partition_config_selectorILNS1_17partition_subalgoE4EjNS0_10empty_typeEbEEZZNS1_14partition_implILS8_4ELb0ES6_15HIP_vector_typeIjLj2EENS0_17counting_iteratorIjlEEPS9_SG_NS0_5tupleIJPjSI_NS0_16reverse_iteratorISI_EEEEENSH_IJSG_SG_SG_EEES9_SI_JZNS1_25segmented_radix_sort_implINS0_14default_configELb0EPKaPaPKlPlN2at6native12_GLOBAL__N_18offset_tEEE10hipError_tPvRmT1_PNSt15iterator_traitsIS12_E10value_typeET2_T3_PNS13_IS18_E10value_typeET4_jRbjT5_S1E_jjP12ihipStream_tbEUljE_ZNSN_ISO_Lb0ESQ_SR_ST_SU_SY_EESZ_S10_S11_S12_S16_S17_S18_S1B_S1C_jS1D_jS1E_S1E_jjS1G_bEUljE0_EEESZ_S10_S11_S18_S1C_S1E_T6_T7_T9_mT8_S1G_bDpT10_ENKUlT_T0_E_clISt17integral_constantIbLb1EES1U_EEDaS1P_S1Q_EUlS1P_E_NS1_11comp_targetILNS1_3genE5ELNS1_11target_archE942ELNS1_3gpuE9ELNS1_3repE0EEENS1_30default_config_static_selectorELNS0_4arch9wavefront6targetE0EEEvS12_
                                        ; -- End function
	.set _ZN7rocprim17ROCPRIM_400000_NS6detail17trampoline_kernelINS0_13select_configILj256ELj13ELNS0_17block_load_methodE3ELS4_3ELS4_3ELNS0_20block_scan_algorithmE0ELj4294967295EEENS1_25partition_config_selectorILNS1_17partition_subalgoE4EjNS0_10empty_typeEbEEZZNS1_14partition_implILS8_4ELb0ES6_15HIP_vector_typeIjLj2EENS0_17counting_iteratorIjlEEPS9_SG_NS0_5tupleIJPjSI_NS0_16reverse_iteratorISI_EEEEENSH_IJSG_SG_SG_EEES9_SI_JZNS1_25segmented_radix_sort_implINS0_14default_configELb0EPKaPaPKlPlN2at6native12_GLOBAL__N_18offset_tEEE10hipError_tPvRmT1_PNSt15iterator_traitsIS12_E10value_typeET2_T3_PNS13_IS18_E10value_typeET4_jRbjT5_S1E_jjP12ihipStream_tbEUljE_ZNSN_ISO_Lb0ESQ_SR_ST_SU_SY_EESZ_S10_S11_S12_S16_S17_S18_S1B_S1C_jS1D_jS1E_S1E_jjS1G_bEUljE0_EEESZ_S10_S11_S18_S1C_S1E_T6_T7_T9_mT8_S1G_bDpT10_ENKUlT_T0_E_clISt17integral_constantIbLb1EES1U_EEDaS1P_S1Q_EUlS1P_E_NS1_11comp_targetILNS1_3genE5ELNS1_11target_archE942ELNS1_3gpuE9ELNS1_3repE0EEENS1_30default_config_static_selectorELNS0_4arch9wavefront6targetE0EEEvS12_.num_vgpr, 0
	.set _ZN7rocprim17ROCPRIM_400000_NS6detail17trampoline_kernelINS0_13select_configILj256ELj13ELNS0_17block_load_methodE3ELS4_3ELS4_3ELNS0_20block_scan_algorithmE0ELj4294967295EEENS1_25partition_config_selectorILNS1_17partition_subalgoE4EjNS0_10empty_typeEbEEZZNS1_14partition_implILS8_4ELb0ES6_15HIP_vector_typeIjLj2EENS0_17counting_iteratorIjlEEPS9_SG_NS0_5tupleIJPjSI_NS0_16reverse_iteratorISI_EEEEENSH_IJSG_SG_SG_EEES9_SI_JZNS1_25segmented_radix_sort_implINS0_14default_configELb0EPKaPaPKlPlN2at6native12_GLOBAL__N_18offset_tEEE10hipError_tPvRmT1_PNSt15iterator_traitsIS12_E10value_typeET2_T3_PNS13_IS18_E10value_typeET4_jRbjT5_S1E_jjP12ihipStream_tbEUljE_ZNSN_ISO_Lb0ESQ_SR_ST_SU_SY_EESZ_S10_S11_S12_S16_S17_S18_S1B_S1C_jS1D_jS1E_S1E_jjS1G_bEUljE0_EEESZ_S10_S11_S18_S1C_S1E_T6_T7_T9_mT8_S1G_bDpT10_ENKUlT_T0_E_clISt17integral_constantIbLb1EES1U_EEDaS1P_S1Q_EUlS1P_E_NS1_11comp_targetILNS1_3genE5ELNS1_11target_archE942ELNS1_3gpuE9ELNS1_3repE0EEENS1_30default_config_static_selectorELNS0_4arch9wavefront6targetE0EEEvS12_.num_agpr, 0
	.set _ZN7rocprim17ROCPRIM_400000_NS6detail17trampoline_kernelINS0_13select_configILj256ELj13ELNS0_17block_load_methodE3ELS4_3ELS4_3ELNS0_20block_scan_algorithmE0ELj4294967295EEENS1_25partition_config_selectorILNS1_17partition_subalgoE4EjNS0_10empty_typeEbEEZZNS1_14partition_implILS8_4ELb0ES6_15HIP_vector_typeIjLj2EENS0_17counting_iteratorIjlEEPS9_SG_NS0_5tupleIJPjSI_NS0_16reverse_iteratorISI_EEEEENSH_IJSG_SG_SG_EEES9_SI_JZNS1_25segmented_radix_sort_implINS0_14default_configELb0EPKaPaPKlPlN2at6native12_GLOBAL__N_18offset_tEEE10hipError_tPvRmT1_PNSt15iterator_traitsIS12_E10value_typeET2_T3_PNS13_IS18_E10value_typeET4_jRbjT5_S1E_jjP12ihipStream_tbEUljE_ZNSN_ISO_Lb0ESQ_SR_ST_SU_SY_EESZ_S10_S11_S12_S16_S17_S18_S1B_S1C_jS1D_jS1E_S1E_jjS1G_bEUljE0_EEESZ_S10_S11_S18_S1C_S1E_T6_T7_T9_mT8_S1G_bDpT10_ENKUlT_T0_E_clISt17integral_constantIbLb1EES1U_EEDaS1P_S1Q_EUlS1P_E_NS1_11comp_targetILNS1_3genE5ELNS1_11target_archE942ELNS1_3gpuE9ELNS1_3repE0EEENS1_30default_config_static_selectorELNS0_4arch9wavefront6targetE0EEEvS12_.numbered_sgpr, 0
	.set _ZN7rocprim17ROCPRIM_400000_NS6detail17trampoline_kernelINS0_13select_configILj256ELj13ELNS0_17block_load_methodE3ELS4_3ELS4_3ELNS0_20block_scan_algorithmE0ELj4294967295EEENS1_25partition_config_selectorILNS1_17partition_subalgoE4EjNS0_10empty_typeEbEEZZNS1_14partition_implILS8_4ELb0ES6_15HIP_vector_typeIjLj2EENS0_17counting_iteratorIjlEEPS9_SG_NS0_5tupleIJPjSI_NS0_16reverse_iteratorISI_EEEEENSH_IJSG_SG_SG_EEES9_SI_JZNS1_25segmented_radix_sort_implINS0_14default_configELb0EPKaPaPKlPlN2at6native12_GLOBAL__N_18offset_tEEE10hipError_tPvRmT1_PNSt15iterator_traitsIS12_E10value_typeET2_T3_PNS13_IS18_E10value_typeET4_jRbjT5_S1E_jjP12ihipStream_tbEUljE_ZNSN_ISO_Lb0ESQ_SR_ST_SU_SY_EESZ_S10_S11_S12_S16_S17_S18_S1B_S1C_jS1D_jS1E_S1E_jjS1G_bEUljE0_EEESZ_S10_S11_S18_S1C_S1E_T6_T7_T9_mT8_S1G_bDpT10_ENKUlT_T0_E_clISt17integral_constantIbLb1EES1U_EEDaS1P_S1Q_EUlS1P_E_NS1_11comp_targetILNS1_3genE5ELNS1_11target_archE942ELNS1_3gpuE9ELNS1_3repE0EEENS1_30default_config_static_selectorELNS0_4arch9wavefront6targetE0EEEvS12_.num_named_barrier, 0
	.set _ZN7rocprim17ROCPRIM_400000_NS6detail17trampoline_kernelINS0_13select_configILj256ELj13ELNS0_17block_load_methodE3ELS4_3ELS4_3ELNS0_20block_scan_algorithmE0ELj4294967295EEENS1_25partition_config_selectorILNS1_17partition_subalgoE4EjNS0_10empty_typeEbEEZZNS1_14partition_implILS8_4ELb0ES6_15HIP_vector_typeIjLj2EENS0_17counting_iteratorIjlEEPS9_SG_NS0_5tupleIJPjSI_NS0_16reverse_iteratorISI_EEEEENSH_IJSG_SG_SG_EEES9_SI_JZNS1_25segmented_radix_sort_implINS0_14default_configELb0EPKaPaPKlPlN2at6native12_GLOBAL__N_18offset_tEEE10hipError_tPvRmT1_PNSt15iterator_traitsIS12_E10value_typeET2_T3_PNS13_IS18_E10value_typeET4_jRbjT5_S1E_jjP12ihipStream_tbEUljE_ZNSN_ISO_Lb0ESQ_SR_ST_SU_SY_EESZ_S10_S11_S12_S16_S17_S18_S1B_S1C_jS1D_jS1E_S1E_jjS1G_bEUljE0_EEESZ_S10_S11_S18_S1C_S1E_T6_T7_T9_mT8_S1G_bDpT10_ENKUlT_T0_E_clISt17integral_constantIbLb1EES1U_EEDaS1P_S1Q_EUlS1P_E_NS1_11comp_targetILNS1_3genE5ELNS1_11target_archE942ELNS1_3gpuE9ELNS1_3repE0EEENS1_30default_config_static_selectorELNS0_4arch9wavefront6targetE0EEEvS12_.private_seg_size, 0
	.set _ZN7rocprim17ROCPRIM_400000_NS6detail17trampoline_kernelINS0_13select_configILj256ELj13ELNS0_17block_load_methodE3ELS4_3ELS4_3ELNS0_20block_scan_algorithmE0ELj4294967295EEENS1_25partition_config_selectorILNS1_17partition_subalgoE4EjNS0_10empty_typeEbEEZZNS1_14partition_implILS8_4ELb0ES6_15HIP_vector_typeIjLj2EENS0_17counting_iteratorIjlEEPS9_SG_NS0_5tupleIJPjSI_NS0_16reverse_iteratorISI_EEEEENSH_IJSG_SG_SG_EEES9_SI_JZNS1_25segmented_radix_sort_implINS0_14default_configELb0EPKaPaPKlPlN2at6native12_GLOBAL__N_18offset_tEEE10hipError_tPvRmT1_PNSt15iterator_traitsIS12_E10value_typeET2_T3_PNS13_IS18_E10value_typeET4_jRbjT5_S1E_jjP12ihipStream_tbEUljE_ZNSN_ISO_Lb0ESQ_SR_ST_SU_SY_EESZ_S10_S11_S12_S16_S17_S18_S1B_S1C_jS1D_jS1E_S1E_jjS1G_bEUljE0_EEESZ_S10_S11_S18_S1C_S1E_T6_T7_T9_mT8_S1G_bDpT10_ENKUlT_T0_E_clISt17integral_constantIbLb1EES1U_EEDaS1P_S1Q_EUlS1P_E_NS1_11comp_targetILNS1_3genE5ELNS1_11target_archE942ELNS1_3gpuE9ELNS1_3repE0EEENS1_30default_config_static_selectorELNS0_4arch9wavefront6targetE0EEEvS12_.uses_vcc, 0
	.set _ZN7rocprim17ROCPRIM_400000_NS6detail17trampoline_kernelINS0_13select_configILj256ELj13ELNS0_17block_load_methodE3ELS4_3ELS4_3ELNS0_20block_scan_algorithmE0ELj4294967295EEENS1_25partition_config_selectorILNS1_17partition_subalgoE4EjNS0_10empty_typeEbEEZZNS1_14partition_implILS8_4ELb0ES6_15HIP_vector_typeIjLj2EENS0_17counting_iteratorIjlEEPS9_SG_NS0_5tupleIJPjSI_NS0_16reverse_iteratorISI_EEEEENSH_IJSG_SG_SG_EEES9_SI_JZNS1_25segmented_radix_sort_implINS0_14default_configELb0EPKaPaPKlPlN2at6native12_GLOBAL__N_18offset_tEEE10hipError_tPvRmT1_PNSt15iterator_traitsIS12_E10value_typeET2_T3_PNS13_IS18_E10value_typeET4_jRbjT5_S1E_jjP12ihipStream_tbEUljE_ZNSN_ISO_Lb0ESQ_SR_ST_SU_SY_EESZ_S10_S11_S12_S16_S17_S18_S1B_S1C_jS1D_jS1E_S1E_jjS1G_bEUljE0_EEESZ_S10_S11_S18_S1C_S1E_T6_T7_T9_mT8_S1G_bDpT10_ENKUlT_T0_E_clISt17integral_constantIbLb1EES1U_EEDaS1P_S1Q_EUlS1P_E_NS1_11comp_targetILNS1_3genE5ELNS1_11target_archE942ELNS1_3gpuE9ELNS1_3repE0EEENS1_30default_config_static_selectorELNS0_4arch9wavefront6targetE0EEEvS12_.uses_flat_scratch, 0
	.set _ZN7rocprim17ROCPRIM_400000_NS6detail17trampoline_kernelINS0_13select_configILj256ELj13ELNS0_17block_load_methodE3ELS4_3ELS4_3ELNS0_20block_scan_algorithmE0ELj4294967295EEENS1_25partition_config_selectorILNS1_17partition_subalgoE4EjNS0_10empty_typeEbEEZZNS1_14partition_implILS8_4ELb0ES6_15HIP_vector_typeIjLj2EENS0_17counting_iteratorIjlEEPS9_SG_NS0_5tupleIJPjSI_NS0_16reverse_iteratorISI_EEEEENSH_IJSG_SG_SG_EEES9_SI_JZNS1_25segmented_radix_sort_implINS0_14default_configELb0EPKaPaPKlPlN2at6native12_GLOBAL__N_18offset_tEEE10hipError_tPvRmT1_PNSt15iterator_traitsIS12_E10value_typeET2_T3_PNS13_IS18_E10value_typeET4_jRbjT5_S1E_jjP12ihipStream_tbEUljE_ZNSN_ISO_Lb0ESQ_SR_ST_SU_SY_EESZ_S10_S11_S12_S16_S17_S18_S1B_S1C_jS1D_jS1E_S1E_jjS1G_bEUljE0_EEESZ_S10_S11_S18_S1C_S1E_T6_T7_T9_mT8_S1G_bDpT10_ENKUlT_T0_E_clISt17integral_constantIbLb1EES1U_EEDaS1P_S1Q_EUlS1P_E_NS1_11comp_targetILNS1_3genE5ELNS1_11target_archE942ELNS1_3gpuE9ELNS1_3repE0EEENS1_30default_config_static_selectorELNS0_4arch9wavefront6targetE0EEEvS12_.has_dyn_sized_stack, 0
	.set _ZN7rocprim17ROCPRIM_400000_NS6detail17trampoline_kernelINS0_13select_configILj256ELj13ELNS0_17block_load_methodE3ELS4_3ELS4_3ELNS0_20block_scan_algorithmE0ELj4294967295EEENS1_25partition_config_selectorILNS1_17partition_subalgoE4EjNS0_10empty_typeEbEEZZNS1_14partition_implILS8_4ELb0ES6_15HIP_vector_typeIjLj2EENS0_17counting_iteratorIjlEEPS9_SG_NS0_5tupleIJPjSI_NS0_16reverse_iteratorISI_EEEEENSH_IJSG_SG_SG_EEES9_SI_JZNS1_25segmented_radix_sort_implINS0_14default_configELb0EPKaPaPKlPlN2at6native12_GLOBAL__N_18offset_tEEE10hipError_tPvRmT1_PNSt15iterator_traitsIS12_E10value_typeET2_T3_PNS13_IS18_E10value_typeET4_jRbjT5_S1E_jjP12ihipStream_tbEUljE_ZNSN_ISO_Lb0ESQ_SR_ST_SU_SY_EESZ_S10_S11_S12_S16_S17_S18_S1B_S1C_jS1D_jS1E_S1E_jjS1G_bEUljE0_EEESZ_S10_S11_S18_S1C_S1E_T6_T7_T9_mT8_S1G_bDpT10_ENKUlT_T0_E_clISt17integral_constantIbLb1EES1U_EEDaS1P_S1Q_EUlS1P_E_NS1_11comp_targetILNS1_3genE5ELNS1_11target_archE942ELNS1_3gpuE9ELNS1_3repE0EEENS1_30default_config_static_selectorELNS0_4arch9wavefront6targetE0EEEvS12_.has_recursion, 0
	.set _ZN7rocprim17ROCPRIM_400000_NS6detail17trampoline_kernelINS0_13select_configILj256ELj13ELNS0_17block_load_methodE3ELS4_3ELS4_3ELNS0_20block_scan_algorithmE0ELj4294967295EEENS1_25partition_config_selectorILNS1_17partition_subalgoE4EjNS0_10empty_typeEbEEZZNS1_14partition_implILS8_4ELb0ES6_15HIP_vector_typeIjLj2EENS0_17counting_iteratorIjlEEPS9_SG_NS0_5tupleIJPjSI_NS0_16reverse_iteratorISI_EEEEENSH_IJSG_SG_SG_EEES9_SI_JZNS1_25segmented_radix_sort_implINS0_14default_configELb0EPKaPaPKlPlN2at6native12_GLOBAL__N_18offset_tEEE10hipError_tPvRmT1_PNSt15iterator_traitsIS12_E10value_typeET2_T3_PNS13_IS18_E10value_typeET4_jRbjT5_S1E_jjP12ihipStream_tbEUljE_ZNSN_ISO_Lb0ESQ_SR_ST_SU_SY_EESZ_S10_S11_S12_S16_S17_S18_S1B_S1C_jS1D_jS1E_S1E_jjS1G_bEUljE0_EEESZ_S10_S11_S18_S1C_S1E_T6_T7_T9_mT8_S1G_bDpT10_ENKUlT_T0_E_clISt17integral_constantIbLb1EES1U_EEDaS1P_S1Q_EUlS1P_E_NS1_11comp_targetILNS1_3genE5ELNS1_11target_archE942ELNS1_3gpuE9ELNS1_3repE0EEENS1_30default_config_static_selectorELNS0_4arch9wavefront6targetE0EEEvS12_.has_indirect_call, 0
	.section	.AMDGPU.csdata,"",@progbits
; Kernel info:
; codeLenInByte = 0
; TotalNumSgprs: 0
; NumVgprs: 0
; ScratchSize: 0
; MemoryBound: 0
; FloatMode: 240
; IeeeMode: 1
; LDSByteSize: 0 bytes/workgroup (compile time only)
; SGPRBlocks: 0
; VGPRBlocks: 0
; NumSGPRsForWavesPerEU: 1
; NumVGPRsForWavesPerEU: 1
; Occupancy: 16
; WaveLimiterHint : 0
; COMPUTE_PGM_RSRC2:SCRATCH_EN: 0
; COMPUTE_PGM_RSRC2:USER_SGPR: 6
; COMPUTE_PGM_RSRC2:TRAP_HANDLER: 0
; COMPUTE_PGM_RSRC2:TGID_X_EN: 1
; COMPUTE_PGM_RSRC2:TGID_Y_EN: 0
; COMPUTE_PGM_RSRC2:TGID_Z_EN: 0
; COMPUTE_PGM_RSRC2:TIDIG_COMP_CNT: 0
	.section	.text._ZN7rocprim17ROCPRIM_400000_NS6detail17trampoline_kernelINS0_13select_configILj256ELj13ELNS0_17block_load_methodE3ELS4_3ELS4_3ELNS0_20block_scan_algorithmE0ELj4294967295EEENS1_25partition_config_selectorILNS1_17partition_subalgoE4EjNS0_10empty_typeEbEEZZNS1_14partition_implILS8_4ELb0ES6_15HIP_vector_typeIjLj2EENS0_17counting_iteratorIjlEEPS9_SG_NS0_5tupleIJPjSI_NS0_16reverse_iteratorISI_EEEEENSH_IJSG_SG_SG_EEES9_SI_JZNS1_25segmented_radix_sort_implINS0_14default_configELb0EPKaPaPKlPlN2at6native12_GLOBAL__N_18offset_tEEE10hipError_tPvRmT1_PNSt15iterator_traitsIS12_E10value_typeET2_T3_PNS13_IS18_E10value_typeET4_jRbjT5_S1E_jjP12ihipStream_tbEUljE_ZNSN_ISO_Lb0ESQ_SR_ST_SU_SY_EESZ_S10_S11_S12_S16_S17_S18_S1B_S1C_jS1D_jS1E_S1E_jjS1G_bEUljE0_EEESZ_S10_S11_S18_S1C_S1E_T6_T7_T9_mT8_S1G_bDpT10_ENKUlT_T0_E_clISt17integral_constantIbLb1EES1U_EEDaS1P_S1Q_EUlS1P_E_NS1_11comp_targetILNS1_3genE4ELNS1_11target_archE910ELNS1_3gpuE8ELNS1_3repE0EEENS1_30default_config_static_selectorELNS0_4arch9wavefront6targetE0EEEvS12_,"axG",@progbits,_ZN7rocprim17ROCPRIM_400000_NS6detail17trampoline_kernelINS0_13select_configILj256ELj13ELNS0_17block_load_methodE3ELS4_3ELS4_3ELNS0_20block_scan_algorithmE0ELj4294967295EEENS1_25partition_config_selectorILNS1_17partition_subalgoE4EjNS0_10empty_typeEbEEZZNS1_14partition_implILS8_4ELb0ES6_15HIP_vector_typeIjLj2EENS0_17counting_iteratorIjlEEPS9_SG_NS0_5tupleIJPjSI_NS0_16reverse_iteratorISI_EEEEENSH_IJSG_SG_SG_EEES9_SI_JZNS1_25segmented_radix_sort_implINS0_14default_configELb0EPKaPaPKlPlN2at6native12_GLOBAL__N_18offset_tEEE10hipError_tPvRmT1_PNSt15iterator_traitsIS12_E10value_typeET2_T3_PNS13_IS18_E10value_typeET4_jRbjT5_S1E_jjP12ihipStream_tbEUljE_ZNSN_ISO_Lb0ESQ_SR_ST_SU_SY_EESZ_S10_S11_S12_S16_S17_S18_S1B_S1C_jS1D_jS1E_S1E_jjS1G_bEUljE0_EEESZ_S10_S11_S18_S1C_S1E_T6_T7_T9_mT8_S1G_bDpT10_ENKUlT_T0_E_clISt17integral_constantIbLb1EES1U_EEDaS1P_S1Q_EUlS1P_E_NS1_11comp_targetILNS1_3genE4ELNS1_11target_archE910ELNS1_3gpuE8ELNS1_3repE0EEENS1_30default_config_static_selectorELNS0_4arch9wavefront6targetE0EEEvS12_,comdat
	.globl	_ZN7rocprim17ROCPRIM_400000_NS6detail17trampoline_kernelINS0_13select_configILj256ELj13ELNS0_17block_load_methodE3ELS4_3ELS4_3ELNS0_20block_scan_algorithmE0ELj4294967295EEENS1_25partition_config_selectorILNS1_17partition_subalgoE4EjNS0_10empty_typeEbEEZZNS1_14partition_implILS8_4ELb0ES6_15HIP_vector_typeIjLj2EENS0_17counting_iteratorIjlEEPS9_SG_NS0_5tupleIJPjSI_NS0_16reverse_iteratorISI_EEEEENSH_IJSG_SG_SG_EEES9_SI_JZNS1_25segmented_radix_sort_implINS0_14default_configELb0EPKaPaPKlPlN2at6native12_GLOBAL__N_18offset_tEEE10hipError_tPvRmT1_PNSt15iterator_traitsIS12_E10value_typeET2_T3_PNS13_IS18_E10value_typeET4_jRbjT5_S1E_jjP12ihipStream_tbEUljE_ZNSN_ISO_Lb0ESQ_SR_ST_SU_SY_EESZ_S10_S11_S12_S16_S17_S18_S1B_S1C_jS1D_jS1E_S1E_jjS1G_bEUljE0_EEESZ_S10_S11_S18_S1C_S1E_T6_T7_T9_mT8_S1G_bDpT10_ENKUlT_T0_E_clISt17integral_constantIbLb1EES1U_EEDaS1P_S1Q_EUlS1P_E_NS1_11comp_targetILNS1_3genE4ELNS1_11target_archE910ELNS1_3gpuE8ELNS1_3repE0EEENS1_30default_config_static_selectorELNS0_4arch9wavefront6targetE0EEEvS12_ ; -- Begin function _ZN7rocprim17ROCPRIM_400000_NS6detail17trampoline_kernelINS0_13select_configILj256ELj13ELNS0_17block_load_methodE3ELS4_3ELS4_3ELNS0_20block_scan_algorithmE0ELj4294967295EEENS1_25partition_config_selectorILNS1_17partition_subalgoE4EjNS0_10empty_typeEbEEZZNS1_14partition_implILS8_4ELb0ES6_15HIP_vector_typeIjLj2EENS0_17counting_iteratorIjlEEPS9_SG_NS0_5tupleIJPjSI_NS0_16reverse_iteratorISI_EEEEENSH_IJSG_SG_SG_EEES9_SI_JZNS1_25segmented_radix_sort_implINS0_14default_configELb0EPKaPaPKlPlN2at6native12_GLOBAL__N_18offset_tEEE10hipError_tPvRmT1_PNSt15iterator_traitsIS12_E10value_typeET2_T3_PNS13_IS18_E10value_typeET4_jRbjT5_S1E_jjP12ihipStream_tbEUljE_ZNSN_ISO_Lb0ESQ_SR_ST_SU_SY_EESZ_S10_S11_S12_S16_S17_S18_S1B_S1C_jS1D_jS1E_S1E_jjS1G_bEUljE0_EEESZ_S10_S11_S18_S1C_S1E_T6_T7_T9_mT8_S1G_bDpT10_ENKUlT_T0_E_clISt17integral_constantIbLb1EES1U_EEDaS1P_S1Q_EUlS1P_E_NS1_11comp_targetILNS1_3genE4ELNS1_11target_archE910ELNS1_3gpuE8ELNS1_3repE0EEENS1_30default_config_static_selectorELNS0_4arch9wavefront6targetE0EEEvS12_
	.p2align	8
	.type	_ZN7rocprim17ROCPRIM_400000_NS6detail17trampoline_kernelINS0_13select_configILj256ELj13ELNS0_17block_load_methodE3ELS4_3ELS4_3ELNS0_20block_scan_algorithmE0ELj4294967295EEENS1_25partition_config_selectorILNS1_17partition_subalgoE4EjNS0_10empty_typeEbEEZZNS1_14partition_implILS8_4ELb0ES6_15HIP_vector_typeIjLj2EENS0_17counting_iteratorIjlEEPS9_SG_NS0_5tupleIJPjSI_NS0_16reverse_iteratorISI_EEEEENSH_IJSG_SG_SG_EEES9_SI_JZNS1_25segmented_radix_sort_implINS0_14default_configELb0EPKaPaPKlPlN2at6native12_GLOBAL__N_18offset_tEEE10hipError_tPvRmT1_PNSt15iterator_traitsIS12_E10value_typeET2_T3_PNS13_IS18_E10value_typeET4_jRbjT5_S1E_jjP12ihipStream_tbEUljE_ZNSN_ISO_Lb0ESQ_SR_ST_SU_SY_EESZ_S10_S11_S12_S16_S17_S18_S1B_S1C_jS1D_jS1E_S1E_jjS1G_bEUljE0_EEESZ_S10_S11_S18_S1C_S1E_T6_T7_T9_mT8_S1G_bDpT10_ENKUlT_T0_E_clISt17integral_constantIbLb1EES1U_EEDaS1P_S1Q_EUlS1P_E_NS1_11comp_targetILNS1_3genE4ELNS1_11target_archE910ELNS1_3gpuE8ELNS1_3repE0EEENS1_30default_config_static_selectorELNS0_4arch9wavefront6targetE0EEEvS12_,@function
_ZN7rocprim17ROCPRIM_400000_NS6detail17trampoline_kernelINS0_13select_configILj256ELj13ELNS0_17block_load_methodE3ELS4_3ELS4_3ELNS0_20block_scan_algorithmE0ELj4294967295EEENS1_25partition_config_selectorILNS1_17partition_subalgoE4EjNS0_10empty_typeEbEEZZNS1_14partition_implILS8_4ELb0ES6_15HIP_vector_typeIjLj2EENS0_17counting_iteratorIjlEEPS9_SG_NS0_5tupleIJPjSI_NS0_16reverse_iteratorISI_EEEEENSH_IJSG_SG_SG_EEES9_SI_JZNS1_25segmented_radix_sort_implINS0_14default_configELb0EPKaPaPKlPlN2at6native12_GLOBAL__N_18offset_tEEE10hipError_tPvRmT1_PNSt15iterator_traitsIS12_E10value_typeET2_T3_PNS13_IS18_E10value_typeET4_jRbjT5_S1E_jjP12ihipStream_tbEUljE_ZNSN_ISO_Lb0ESQ_SR_ST_SU_SY_EESZ_S10_S11_S12_S16_S17_S18_S1B_S1C_jS1D_jS1E_S1E_jjS1G_bEUljE0_EEESZ_S10_S11_S18_S1C_S1E_T6_T7_T9_mT8_S1G_bDpT10_ENKUlT_T0_E_clISt17integral_constantIbLb1EES1U_EEDaS1P_S1Q_EUlS1P_E_NS1_11comp_targetILNS1_3genE4ELNS1_11target_archE910ELNS1_3gpuE8ELNS1_3repE0EEENS1_30default_config_static_selectorELNS0_4arch9wavefront6targetE0EEEvS12_: ; @_ZN7rocprim17ROCPRIM_400000_NS6detail17trampoline_kernelINS0_13select_configILj256ELj13ELNS0_17block_load_methodE3ELS4_3ELS4_3ELNS0_20block_scan_algorithmE0ELj4294967295EEENS1_25partition_config_selectorILNS1_17partition_subalgoE4EjNS0_10empty_typeEbEEZZNS1_14partition_implILS8_4ELb0ES6_15HIP_vector_typeIjLj2EENS0_17counting_iteratorIjlEEPS9_SG_NS0_5tupleIJPjSI_NS0_16reverse_iteratorISI_EEEEENSH_IJSG_SG_SG_EEES9_SI_JZNS1_25segmented_radix_sort_implINS0_14default_configELb0EPKaPaPKlPlN2at6native12_GLOBAL__N_18offset_tEEE10hipError_tPvRmT1_PNSt15iterator_traitsIS12_E10value_typeET2_T3_PNS13_IS18_E10value_typeET4_jRbjT5_S1E_jjP12ihipStream_tbEUljE_ZNSN_ISO_Lb0ESQ_SR_ST_SU_SY_EESZ_S10_S11_S12_S16_S17_S18_S1B_S1C_jS1D_jS1E_S1E_jjS1G_bEUljE0_EEESZ_S10_S11_S18_S1C_S1E_T6_T7_T9_mT8_S1G_bDpT10_ENKUlT_T0_E_clISt17integral_constantIbLb1EES1U_EEDaS1P_S1Q_EUlS1P_E_NS1_11comp_targetILNS1_3genE4ELNS1_11target_archE910ELNS1_3gpuE8ELNS1_3repE0EEENS1_30default_config_static_selectorELNS0_4arch9wavefront6targetE0EEEvS12_
; %bb.0:
	.section	.rodata,"a",@progbits
	.p2align	6, 0x0
	.amdhsa_kernel _ZN7rocprim17ROCPRIM_400000_NS6detail17trampoline_kernelINS0_13select_configILj256ELj13ELNS0_17block_load_methodE3ELS4_3ELS4_3ELNS0_20block_scan_algorithmE0ELj4294967295EEENS1_25partition_config_selectorILNS1_17partition_subalgoE4EjNS0_10empty_typeEbEEZZNS1_14partition_implILS8_4ELb0ES6_15HIP_vector_typeIjLj2EENS0_17counting_iteratorIjlEEPS9_SG_NS0_5tupleIJPjSI_NS0_16reverse_iteratorISI_EEEEENSH_IJSG_SG_SG_EEES9_SI_JZNS1_25segmented_radix_sort_implINS0_14default_configELb0EPKaPaPKlPlN2at6native12_GLOBAL__N_18offset_tEEE10hipError_tPvRmT1_PNSt15iterator_traitsIS12_E10value_typeET2_T3_PNS13_IS18_E10value_typeET4_jRbjT5_S1E_jjP12ihipStream_tbEUljE_ZNSN_ISO_Lb0ESQ_SR_ST_SU_SY_EESZ_S10_S11_S12_S16_S17_S18_S1B_S1C_jS1D_jS1E_S1E_jjS1G_bEUljE0_EEESZ_S10_S11_S18_S1C_S1E_T6_T7_T9_mT8_S1G_bDpT10_ENKUlT_T0_E_clISt17integral_constantIbLb1EES1U_EEDaS1P_S1Q_EUlS1P_E_NS1_11comp_targetILNS1_3genE4ELNS1_11target_archE910ELNS1_3gpuE8ELNS1_3repE0EEENS1_30default_config_static_selectorELNS0_4arch9wavefront6targetE0EEEvS12_
		.amdhsa_group_segment_fixed_size 0
		.amdhsa_private_segment_fixed_size 0
		.amdhsa_kernarg_size 184
		.amdhsa_user_sgpr_count 6
		.amdhsa_user_sgpr_private_segment_buffer 1
		.amdhsa_user_sgpr_dispatch_ptr 0
		.amdhsa_user_sgpr_queue_ptr 0
		.amdhsa_user_sgpr_kernarg_segment_ptr 1
		.amdhsa_user_sgpr_dispatch_id 0
		.amdhsa_user_sgpr_flat_scratch_init 0
		.amdhsa_user_sgpr_private_segment_size 0
		.amdhsa_wavefront_size32 1
		.amdhsa_uses_dynamic_stack 0
		.amdhsa_system_sgpr_private_segment_wavefront_offset 0
		.amdhsa_system_sgpr_workgroup_id_x 1
		.amdhsa_system_sgpr_workgroup_id_y 0
		.amdhsa_system_sgpr_workgroup_id_z 0
		.amdhsa_system_sgpr_workgroup_info 0
		.amdhsa_system_vgpr_workitem_id 0
		.amdhsa_next_free_vgpr 1
		.amdhsa_next_free_sgpr 1
		.amdhsa_reserve_vcc 0
		.amdhsa_reserve_flat_scratch 0
		.amdhsa_float_round_mode_32 0
		.amdhsa_float_round_mode_16_64 0
		.amdhsa_float_denorm_mode_32 3
		.amdhsa_float_denorm_mode_16_64 3
		.amdhsa_dx10_clamp 1
		.amdhsa_ieee_mode 1
		.amdhsa_fp16_overflow 0
		.amdhsa_workgroup_processor_mode 1
		.amdhsa_memory_ordered 1
		.amdhsa_forward_progress 1
		.amdhsa_shared_vgpr_count 0
		.amdhsa_exception_fp_ieee_invalid_op 0
		.amdhsa_exception_fp_denorm_src 0
		.amdhsa_exception_fp_ieee_div_zero 0
		.amdhsa_exception_fp_ieee_overflow 0
		.amdhsa_exception_fp_ieee_underflow 0
		.amdhsa_exception_fp_ieee_inexact 0
		.amdhsa_exception_int_div_zero 0
	.end_amdhsa_kernel
	.section	.text._ZN7rocprim17ROCPRIM_400000_NS6detail17trampoline_kernelINS0_13select_configILj256ELj13ELNS0_17block_load_methodE3ELS4_3ELS4_3ELNS0_20block_scan_algorithmE0ELj4294967295EEENS1_25partition_config_selectorILNS1_17partition_subalgoE4EjNS0_10empty_typeEbEEZZNS1_14partition_implILS8_4ELb0ES6_15HIP_vector_typeIjLj2EENS0_17counting_iteratorIjlEEPS9_SG_NS0_5tupleIJPjSI_NS0_16reverse_iteratorISI_EEEEENSH_IJSG_SG_SG_EEES9_SI_JZNS1_25segmented_radix_sort_implINS0_14default_configELb0EPKaPaPKlPlN2at6native12_GLOBAL__N_18offset_tEEE10hipError_tPvRmT1_PNSt15iterator_traitsIS12_E10value_typeET2_T3_PNS13_IS18_E10value_typeET4_jRbjT5_S1E_jjP12ihipStream_tbEUljE_ZNSN_ISO_Lb0ESQ_SR_ST_SU_SY_EESZ_S10_S11_S12_S16_S17_S18_S1B_S1C_jS1D_jS1E_S1E_jjS1G_bEUljE0_EEESZ_S10_S11_S18_S1C_S1E_T6_T7_T9_mT8_S1G_bDpT10_ENKUlT_T0_E_clISt17integral_constantIbLb1EES1U_EEDaS1P_S1Q_EUlS1P_E_NS1_11comp_targetILNS1_3genE4ELNS1_11target_archE910ELNS1_3gpuE8ELNS1_3repE0EEENS1_30default_config_static_selectorELNS0_4arch9wavefront6targetE0EEEvS12_,"axG",@progbits,_ZN7rocprim17ROCPRIM_400000_NS6detail17trampoline_kernelINS0_13select_configILj256ELj13ELNS0_17block_load_methodE3ELS4_3ELS4_3ELNS0_20block_scan_algorithmE0ELj4294967295EEENS1_25partition_config_selectorILNS1_17partition_subalgoE4EjNS0_10empty_typeEbEEZZNS1_14partition_implILS8_4ELb0ES6_15HIP_vector_typeIjLj2EENS0_17counting_iteratorIjlEEPS9_SG_NS0_5tupleIJPjSI_NS0_16reverse_iteratorISI_EEEEENSH_IJSG_SG_SG_EEES9_SI_JZNS1_25segmented_radix_sort_implINS0_14default_configELb0EPKaPaPKlPlN2at6native12_GLOBAL__N_18offset_tEEE10hipError_tPvRmT1_PNSt15iterator_traitsIS12_E10value_typeET2_T3_PNS13_IS18_E10value_typeET4_jRbjT5_S1E_jjP12ihipStream_tbEUljE_ZNSN_ISO_Lb0ESQ_SR_ST_SU_SY_EESZ_S10_S11_S12_S16_S17_S18_S1B_S1C_jS1D_jS1E_S1E_jjS1G_bEUljE0_EEESZ_S10_S11_S18_S1C_S1E_T6_T7_T9_mT8_S1G_bDpT10_ENKUlT_T0_E_clISt17integral_constantIbLb1EES1U_EEDaS1P_S1Q_EUlS1P_E_NS1_11comp_targetILNS1_3genE4ELNS1_11target_archE910ELNS1_3gpuE8ELNS1_3repE0EEENS1_30default_config_static_selectorELNS0_4arch9wavefront6targetE0EEEvS12_,comdat
.Lfunc_end336:
	.size	_ZN7rocprim17ROCPRIM_400000_NS6detail17trampoline_kernelINS0_13select_configILj256ELj13ELNS0_17block_load_methodE3ELS4_3ELS4_3ELNS0_20block_scan_algorithmE0ELj4294967295EEENS1_25partition_config_selectorILNS1_17partition_subalgoE4EjNS0_10empty_typeEbEEZZNS1_14partition_implILS8_4ELb0ES6_15HIP_vector_typeIjLj2EENS0_17counting_iteratorIjlEEPS9_SG_NS0_5tupleIJPjSI_NS0_16reverse_iteratorISI_EEEEENSH_IJSG_SG_SG_EEES9_SI_JZNS1_25segmented_radix_sort_implINS0_14default_configELb0EPKaPaPKlPlN2at6native12_GLOBAL__N_18offset_tEEE10hipError_tPvRmT1_PNSt15iterator_traitsIS12_E10value_typeET2_T3_PNS13_IS18_E10value_typeET4_jRbjT5_S1E_jjP12ihipStream_tbEUljE_ZNSN_ISO_Lb0ESQ_SR_ST_SU_SY_EESZ_S10_S11_S12_S16_S17_S18_S1B_S1C_jS1D_jS1E_S1E_jjS1G_bEUljE0_EEESZ_S10_S11_S18_S1C_S1E_T6_T7_T9_mT8_S1G_bDpT10_ENKUlT_T0_E_clISt17integral_constantIbLb1EES1U_EEDaS1P_S1Q_EUlS1P_E_NS1_11comp_targetILNS1_3genE4ELNS1_11target_archE910ELNS1_3gpuE8ELNS1_3repE0EEENS1_30default_config_static_selectorELNS0_4arch9wavefront6targetE0EEEvS12_, .Lfunc_end336-_ZN7rocprim17ROCPRIM_400000_NS6detail17trampoline_kernelINS0_13select_configILj256ELj13ELNS0_17block_load_methodE3ELS4_3ELS4_3ELNS0_20block_scan_algorithmE0ELj4294967295EEENS1_25partition_config_selectorILNS1_17partition_subalgoE4EjNS0_10empty_typeEbEEZZNS1_14partition_implILS8_4ELb0ES6_15HIP_vector_typeIjLj2EENS0_17counting_iteratorIjlEEPS9_SG_NS0_5tupleIJPjSI_NS0_16reverse_iteratorISI_EEEEENSH_IJSG_SG_SG_EEES9_SI_JZNS1_25segmented_radix_sort_implINS0_14default_configELb0EPKaPaPKlPlN2at6native12_GLOBAL__N_18offset_tEEE10hipError_tPvRmT1_PNSt15iterator_traitsIS12_E10value_typeET2_T3_PNS13_IS18_E10value_typeET4_jRbjT5_S1E_jjP12ihipStream_tbEUljE_ZNSN_ISO_Lb0ESQ_SR_ST_SU_SY_EESZ_S10_S11_S12_S16_S17_S18_S1B_S1C_jS1D_jS1E_S1E_jjS1G_bEUljE0_EEESZ_S10_S11_S18_S1C_S1E_T6_T7_T9_mT8_S1G_bDpT10_ENKUlT_T0_E_clISt17integral_constantIbLb1EES1U_EEDaS1P_S1Q_EUlS1P_E_NS1_11comp_targetILNS1_3genE4ELNS1_11target_archE910ELNS1_3gpuE8ELNS1_3repE0EEENS1_30default_config_static_selectorELNS0_4arch9wavefront6targetE0EEEvS12_
                                        ; -- End function
	.set _ZN7rocprim17ROCPRIM_400000_NS6detail17trampoline_kernelINS0_13select_configILj256ELj13ELNS0_17block_load_methodE3ELS4_3ELS4_3ELNS0_20block_scan_algorithmE0ELj4294967295EEENS1_25partition_config_selectorILNS1_17partition_subalgoE4EjNS0_10empty_typeEbEEZZNS1_14partition_implILS8_4ELb0ES6_15HIP_vector_typeIjLj2EENS0_17counting_iteratorIjlEEPS9_SG_NS0_5tupleIJPjSI_NS0_16reverse_iteratorISI_EEEEENSH_IJSG_SG_SG_EEES9_SI_JZNS1_25segmented_radix_sort_implINS0_14default_configELb0EPKaPaPKlPlN2at6native12_GLOBAL__N_18offset_tEEE10hipError_tPvRmT1_PNSt15iterator_traitsIS12_E10value_typeET2_T3_PNS13_IS18_E10value_typeET4_jRbjT5_S1E_jjP12ihipStream_tbEUljE_ZNSN_ISO_Lb0ESQ_SR_ST_SU_SY_EESZ_S10_S11_S12_S16_S17_S18_S1B_S1C_jS1D_jS1E_S1E_jjS1G_bEUljE0_EEESZ_S10_S11_S18_S1C_S1E_T6_T7_T9_mT8_S1G_bDpT10_ENKUlT_T0_E_clISt17integral_constantIbLb1EES1U_EEDaS1P_S1Q_EUlS1P_E_NS1_11comp_targetILNS1_3genE4ELNS1_11target_archE910ELNS1_3gpuE8ELNS1_3repE0EEENS1_30default_config_static_selectorELNS0_4arch9wavefront6targetE0EEEvS12_.num_vgpr, 0
	.set _ZN7rocprim17ROCPRIM_400000_NS6detail17trampoline_kernelINS0_13select_configILj256ELj13ELNS0_17block_load_methodE3ELS4_3ELS4_3ELNS0_20block_scan_algorithmE0ELj4294967295EEENS1_25partition_config_selectorILNS1_17partition_subalgoE4EjNS0_10empty_typeEbEEZZNS1_14partition_implILS8_4ELb0ES6_15HIP_vector_typeIjLj2EENS0_17counting_iteratorIjlEEPS9_SG_NS0_5tupleIJPjSI_NS0_16reverse_iteratorISI_EEEEENSH_IJSG_SG_SG_EEES9_SI_JZNS1_25segmented_radix_sort_implINS0_14default_configELb0EPKaPaPKlPlN2at6native12_GLOBAL__N_18offset_tEEE10hipError_tPvRmT1_PNSt15iterator_traitsIS12_E10value_typeET2_T3_PNS13_IS18_E10value_typeET4_jRbjT5_S1E_jjP12ihipStream_tbEUljE_ZNSN_ISO_Lb0ESQ_SR_ST_SU_SY_EESZ_S10_S11_S12_S16_S17_S18_S1B_S1C_jS1D_jS1E_S1E_jjS1G_bEUljE0_EEESZ_S10_S11_S18_S1C_S1E_T6_T7_T9_mT8_S1G_bDpT10_ENKUlT_T0_E_clISt17integral_constantIbLb1EES1U_EEDaS1P_S1Q_EUlS1P_E_NS1_11comp_targetILNS1_3genE4ELNS1_11target_archE910ELNS1_3gpuE8ELNS1_3repE0EEENS1_30default_config_static_selectorELNS0_4arch9wavefront6targetE0EEEvS12_.num_agpr, 0
	.set _ZN7rocprim17ROCPRIM_400000_NS6detail17trampoline_kernelINS0_13select_configILj256ELj13ELNS0_17block_load_methodE3ELS4_3ELS4_3ELNS0_20block_scan_algorithmE0ELj4294967295EEENS1_25partition_config_selectorILNS1_17partition_subalgoE4EjNS0_10empty_typeEbEEZZNS1_14partition_implILS8_4ELb0ES6_15HIP_vector_typeIjLj2EENS0_17counting_iteratorIjlEEPS9_SG_NS0_5tupleIJPjSI_NS0_16reverse_iteratorISI_EEEEENSH_IJSG_SG_SG_EEES9_SI_JZNS1_25segmented_radix_sort_implINS0_14default_configELb0EPKaPaPKlPlN2at6native12_GLOBAL__N_18offset_tEEE10hipError_tPvRmT1_PNSt15iterator_traitsIS12_E10value_typeET2_T3_PNS13_IS18_E10value_typeET4_jRbjT5_S1E_jjP12ihipStream_tbEUljE_ZNSN_ISO_Lb0ESQ_SR_ST_SU_SY_EESZ_S10_S11_S12_S16_S17_S18_S1B_S1C_jS1D_jS1E_S1E_jjS1G_bEUljE0_EEESZ_S10_S11_S18_S1C_S1E_T6_T7_T9_mT8_S1G_bDpT10_ENKUlT_T0_E_clISt17integral_constantIbLb1EES1U_EEDaS1P_S1Q_EUlS1P_E_NS1_11comp_targetILNS1_3genE4ELNS1_11target_archE910ELNS1_3gpuE8ELNS1_3repE0EEENS1_30default_config_static_selectorELNS0_4arch9wavefront6targetE0EEEvS12_.numbered_sgpr, 0
	.set _ZN7rocprim17ROCPRIM_400000_NS6detail17trampoline_kernelINS0_13select_configILj256ELj13ELNS0_17block_load_methodE3ELS4_3ELS4_3ELNS0_20block_scan_algorithmE0ELj4294967295EEENS1_25partition_config_selectorILNS1_17partition_subalgoE4EjNS0_10empty_typeEbEEZZNS1_14partition_implILS8_4ELb0ES6_15HIP_vector_typeIjLj2EENS0_17counting_iteratorIjlEEPS9_SG_NS0_5tupleIJPjSI_NS0_16reverse_iteratorISI_EEEEENSH_IJSG_SG_SG_EEES9_SI_JZNS1_25segmented_radix_sort_implINS0_14default_configELb0EPKaPaPKlPlN2at6native12_GLOBAL__N_18offset_tEEE10hipError_tPvRmT1_PNSt15iterator_traitsIS12_E10value_typeET2_T3_PNS13_IS18_E10value_typeET4_jRbjT5_S1E_jjP12ihipStream_tbEUljE_ZNSN_ISO_Lb0ESQ_SR_ST_SU_SY_EESZ_S10_S11_S12_S16_S17_S18_S1B_S1C_jS1D_jS1E_S1E_jjS1G_bEUljE0_EEESZ_S10_S11_S18_S1C_S1E_T6_T7_T9_mT8_S1G_bDpT10_ENKUlT_T0_E_clISt17integral_constantIbLb1EES1U_EEDaS1P_S1Q_EUlS1P_E_NS1_11comp_targetILNS1_3genE4ELNS1_11target_archE910ELNS1_3gpuE8ELNS1_3repE0EEENS1_30default_config_static_selectorELNS0_4arch9wavefront6targetE0EEEvS12_.num_named_barrier, 0
	.set _ZN7rocprim17ROCPRIM_400000_NS6detail17trampoline_kernelINS0_13select_configILj256ELj13ELNS0_17block_load_methodE3ELS4_3ELS4_3ELNS0_20block_scan_algorithmE0ELj4294967295EEENS1_25partition_config_selectorILNS1_17partition_subalgoE4EjNS0_10empty_typeEbEEZZNS1_14partition_implILS8_4ELb0ES6_15HIP_vector_typeIjLj2EENS0_17counting_iteratorIjlEEPS9_SG_NS0_5tupleIJPjSI_NS0_16reverse_iteratorISI_EEEEENSH_IJSG_SG_SG_EEES9_SI_JZNS1_25segmented_radix_sort_implINS0_14default_configELb0EPKaPaPKlPlN2at6native12_GLOBAL__N_18offset_tEEE10hipError_tPvRmT1_PNSt15iterator_traitsIS12_E10value_typeET2_T3_PNS13_IS18_E10value_typeET4_jRbjT5_S1E_jjP12ihipStream_tbEUljE_ZNSN_ISO_Lb0ESQ_SR_ST_SU_SY_EESZ_S10_S11_S12_S16_S17_S18_S1B_S1C_jS1D_jS1E_S1E_jjS1G_bEUljE0_EEESZ_S10_S11_S18_S1C_S1E_T6_T7_T9_mT8_S1G_bDpT10_ENKUlT_T0_E_clISt17integral_constantIbLb1EES1U_EEDaS1P_S1Q_EUlS1P_E_NS1_11comp_targetILNS1_3genE4ELNS1_11target_archE910ELNS1_3gpuE8ELNS1_3repE0EEENS1_30default_config_static_selectorELNS0_4arch9wavefront6targetE0EEEvS12_.private_seg_size, 0
	.set _ZN7rocprim17ROCPRIM_400000_NS6detail17trampoline_kernelINS0_13select_configILj256ELj13ELNS0_17block_load_methodE3ELS4_3ELS4_3ELNS0_20block_scan_algorithmE0ELj4294967295EEENS1_25partition_config_selectorILNS1_17partition_subalgoE4EjNS0_10empty_typeEbEEZZNS1_14partition_implILS8_4ELb0ES6_15HIP_vector_typeIjLj2EENS0_17counting_iteratorIjlEEPS9_SG_NS0_5tupleIJPjSI_NS0_16reverse_iteratorISI_EEEEENSH_IJSG_SG_SG_EEES9_SI_JZNS1_25segmented_radix_sort_implINS0_14default_configELb0EPKaPaPKlPlN2at6native12_GLOBAL__N_18offset_tEEE10hipError_tPvRmT1_PNSt15iterator_traitsIS12_E10value_typeET2_T3_PNS13_IS18_E10value_typeET4_jRbjT5_S1E_jjP12ihipStream_tbEUljE_ZNSN_ISO_Lb0ESQ_SR_ST_SU_SY_EESZ_S10_S11_S12_S16_S17_S18_S1B_S1C_jS1D_jS1E_S1E_jjS1G_bEUljE0_EEESZ_S10_S11_S18_S1C_S1E_T6_T7_T9_mT8_S1G_bDpT10_ENKUlT_T0_E_clISt17integral_constantIbLb1EES1U_EEDaS1P_S1Q_EUlS1P_E_NS1_11comp_targetILNS1_3genE4ELNS1_11target_archE910ELNS1_3gpuE8ELNS1_3repE0EEENS1_30default_config_static_selectorELNS0_4arch9wavefront6targetE0EEEvS12_.uses_vcc, 0
	.set _ZN7rocprim17ROCPRIM_400000_NS6detail17trampoline_kernelINS0_13select_configILj256ELj13ELNS0_17block_load_methodE3ELS4_3ELS4_3ELNS0_20block_scan_algorithmE0ELj4294967295EEENS1_25partition_config_selectorILNS1_17partition_subalgoE4EjNS0_10empty_typeEbEEZZNS1_14partition_implILS8_4ELb0ES6_15HIP_vector_typeIjLj2EENS0_17counting_iteratorIjlEEPS9_SG_NS0_5tupleIJPjSI_NS0_16reverse_iteratorISI_EEEEENSH_IJSG_SG_SG_EEES9_SI_JZNS1_25segmented_radix_sort_implINS0_14default_configELb0EPKaPaPKlPlN2at6native12_GLOBAL__N_18offset_tEEE10hipError_tPvRmT1_PNSt15iterator_traitsIS12_E10value_typeET2_T3_PNS13_IS18_E10value_typeET4_jRbjT5_S1E_jjP12ihipStream_tbEUljE_ZNSN_ISO_Lb0ESQ_SR_ST_SU_SY_EESZ_S10_S11_S12_S16_S17_S18_S1B_S1C_jS1D_jS1E_S1E_jjS1G_bEUljE0_EEESZ_S10_S11_S18_S1C_S1E_T6_T7_T9_mT8_S1G_bDpT10_ENKUlT_T0_E_clISt17integral_constantIbLb1EES1U_EEDaS1P_S1Q_EUlS1P_E_NS1_11comp_targetILNS1_3genE4ELNS1_11target_archE910ELNS1_3gpuE8ELNS1_3repE0EEENS1_30default_config_static_selectorELNS0_4arch9wavefront6targetE0EEEvS12_.uses_flat_scratch, 0
	.set _ZN7rocprim17ROCPRIM_400000_NS6detail17trampoline_kernelINS0_13select_configILj256ELj13ELNS0_17block_load_methodE3ELS4_3ELS4_3ELNS0_20block_scan_algorithmE0ELj4294967295EEENS1_25partition_config_selectorILNS1_17partition_subalgoE4EjNS0_10empty_typeEbEEZZNS1_14partition_implILS8_4ELb0ES6_15HIP_vector_typeIjLj2EENS0_17counting_iteratorIjlEEPS9_SG_NS0_5tupleIJPjSI_NS0_16reverse_iteratorISI_EEEEENSH_IJSG_SG_SG_EEES9_SI_JZNS1_25segmented_radix_sort_implINS0_14default_configELb0EPKaPaPKlPlN2at6native12_GLOBAL__N_18offset_tEEE10hipError_tPvRmT1_PNSt15iterator_traitsIS12_E10value_typeET2_T3_PNS13_IS18_E10value_typeET4_jRbjT5_S1E_jjP12ihipStream_tbEUljE_ZNSN_ISO_Lb0ESQ_SR_ST_SU_SY_EESZ_S10_S11_S12_S16_S17_S18_S1B_S1C_jS1D_jS1E_S1E_jjS1G_bEUljE0_EEESZ_S10_S11_S18_S1C_S1E_T6_T7_T9_mT8_S1G_bDpT10_ENKUlT_T0_E_clISt17integral_constantIbLb1EES1U_EEDaS1P_S1Q_EUlS1P_E_NS1_11comp_targetILNS1_3genE4ELNS1_11target_archE910ELNS1_3gpuE8ELNS1_3repE0EEENS1_30default_config_static_selectorELNS0_4arch9wavefront6targetE0EEEvS12_.has_dyn_sized_stack, 0
	.set _ZN7rocprim17ROCPRIM_400000_NS6detail17trampoline_kernelINS0_13select_configILj256ELj13ELNS0_17block_load_methodE3ELS4_3ELS4_3ELNS0_20block_scan_algorithmE0ELj4294967295EEENS1_25partition_config_selectorILNS1_17partition_subalgoE4EjNS0_10empty_typeEbEEZZNS1_14partition_implILS8_4ELb0ES6_15HIP_vector_typeIjLj2EENS0_17counting_iteratorIjlEEPS9_SG_NS0_5tupleIJPjSI_NS0_16reverse_iteratorISI_EEEEENSH_IJSG_SG_SG_EEES9_SI_JZNS1_25segmented_radix_sort_implINS0_14default_configELb0EPKaPaPKlPlN2at6native12_GLOBAL__N_18offset_tEEE10hipError_tPvRmT1_PNSt15iterator_traitsIS12_E10value_typeET2_T3_PNS13_IS18_E10value_typeET4_jRbjT5_S1E_jjP12ihipStream_tbEUljE_ZNSN_ISO_Lb0ESQ_SR_ST_SU_SY_EESZ_S10_S11_S12_S16_S17_S18_S1B_S1C_jS1D_jS1E_S1E_jjS1G_bEUljE0_EEESZ_S10_S11_S18_S1C_S1E_T6_T7_T9_mT8_S1G_bDpT10_ENKUlT_T0_E_clISt17integral_constantIbLb1EES1U_EEDaS1P_S1Q_EUlS1P_E_NS1_11comp_targetILNS1_3genE4ELNS1_11target_archE910ELNS1_3gpuE8ELNS1_3repE0EEENS1_30default_config_static_selectorELNS0_4arch9wavefront6targetE0EEEvS12_.has_recursion, 0
	.set _ZN7rocprim17ROCPRIM_400000_NS6detail17trampoline_kernelINS0_13select_configILj256ELj13ELNS0_17block_load_methodE3ELS4_3ELS4_3ELNS0_20block_scan_algorithmE0ELj4294967295EEENS1_25partition_config_selectorILNS1_17partition_subalgoE4EjNS0_10empty_typeEbEEZZNS1_14partition_implILS8_4ELb0ES6_15HIP_vector_typeIjLj2EENS0_17counting_iteratorIjlEEPS9_SG_NS0_5tupleIJPjSI_NS0_16reverse_iteratorISI_EEEEENSH_IJSG_SG_SG_EEES9_SI_JZNS1_25segmented_radix_sort_implINS0_14default_configELb0EPKaPaPKlPlN2at6native12_GLOBAL__N_18offset_tEEE10hipError_tPvRmT1_PNSt15iterator_traitsIS12_E10value_typeET2_T3_PNS13_IS18_E10value_typeET4_jRbjT5_S1E_jjP12ihipStream_tbEUljE_ZNSN_ISO_Lb0ESQ_SR_ST_SU_SY_EESZ_S10_S11_S12_S16_S17_S18_S1B_S1C_jS1D_jS1E_S1E_jjS1G_bEUljE0_EEESZ_S10_S11_S18_S1C_S1E_T6_T7_T9_mT8_S1G_bDpT10_ENKUlT_T0_E_clISt17integral_constantIbLb1EES1U_EEDaS1P_S1Q_EUlS1P_E_NS1_11comp_targetILNS1_3genE4ELNS1_11target_archE910ELNS1_3gpuE8ELNS1_3repE0EEENS1_30default_config_static_selectorELNS0_4arch9wavefront6targetE0EEEvS12_.has_indirect_call, 0
	.section	.AMDGPU.csdata,"",@progbits
; Kernel info:
; codeLenInByte = 0
; TotalNumSgprs: 0
; NumVgprs: 0
; ScratchSize: 0
; MemoryBound: 0
; FloatMode: 240
; IeeeMode: 1
; LDSByteSize: 0 bytes/workgroup (compile time only)
; SGPRBlocks: 0
; VGPRBlocks: 0
; NumSGPRsForWavesPerEU: 1
; NumVGPRsForWavesPerEU: 1
; Occupancy: 16
; WaveLimiterHint : 0
; COMPUTE_PGM_RSRC2:SCRATCH_EN: 0
; COMPUTE_PGM_RSRC2:USER_SGPR: 6
; COMPUTE_PGM_RSRC2:TRAP_HANDLER: 0
; COMPUTE_PGM_RSRC2:TGID_X_EN: 1
; COMPUTE_PGM_RSRC2:TGID_Y_EN: 0
; COMPUTE_PGM_RSRC2:TGID_Z_EN: 0
; COMPUTE_PGM_RSRC2:TIDIG_COMP_CNT: 0
	.section	.text._ZN7rocprim17ROCPRIM_400000_NS6detail17trampoline_kernelINS0_13select_configILj256ELj13ELNS0_17block_load_methodE3ELS4_3ELS4_3ELNS0_20block_scan_algorithmE0ELj4294967295EEENS1_25partition_config_selectorILNS1_17partition_subalgoE4EjNS0_10empty_typeEbEEZZNS1_14partition_implILS8_4ELb0ES6_15HIP_vector_typeIjLj2EENS0_17counting_iteratorIjlEEPS9_SG_NS0_5tupleIJPjSI_NS0_16reverse_iteratorISI_EEEEENSH_IJSG_SG_SG_EEES9_SI_JZNS1_25segmented_radix_sort_implINS0_14default_configELb0EPKaPaPKlPlN2at6native12_GLOBAL__N_18offset_tEEE10hipError_tPvRmT1_PNSt15iterator_traitsIS12_E10value_typeET2_T3_PNS13_IS18_E10value_typeET4_jRbjT5_S1E_jjP12ihipStream_tbEUljE_ZNSN_ISO_Lb0ESQ_SR_ST_SU_SY_EESZ_S10_S11_S12_S16_S17_S18_S1B_S1C_jS1D_jS1E_S1E_jjS1G_bEUljE0_EEESZ_S10_S11_S18_S1C_S1E_T6_T7_T9_mT8_S1G_bDpT10_ENKUlT_T0_E_clISt17integral_constantIbLb1EES1U_EEDaS1P_S1Q_EUlS1P_E_NS1_11comp_targetILNS1_3genE3ELNS1_11target_archE908ELNS1_3gpuE7ELNS1_3repE0EEENS1_30default_config_static_selectorELNS0_4arch9wavefront6targetE0EEEvS12_,"axG",@progbits,_ZN7rocprim17ROCPRIM_400000_NS6detail17trampoline_kernelINS0_13select_configILj256ELj13ELNS0_17block_load_methodE3ELS4_3ELS4_3ELNS0_20block_scan_algorithmE0ELj4294967295EEENS1_25partition_config_selectorILNS1_17partition_subalgoE4EjNS0_10empty_typeEbEEZZNS1_14partition_implILS8_4ELb0ES6_15HIP_vector_typeIjLj2EENS0_17counting_iteratorIjlEEPS9_SG_NS0_5tupleIJPjSI_NS0_16reverse_iteratorISI_EEEEENSH_IJSG_SG_SG_EEES9_SI_JZNS1_25segmented_radix_sort_implINS0_14default_configELb0EPKaPaPKlPlN2at6native12_GLOBAL__N_18offset_tEEE10hipError_tPvRmT1_PNSt15iterator_traitsIS12_E10value_typeET2_T3_PNS13_IS18_E10value_typeET4_jRbjT5_S1E_jjP12ihipStream_tbEUljE_ZNSN_ISO_Lb0ESQ_SR_ST_SU_SY_EESZ_S10_S11_S12_S16_S17_S18_S1B_S1C_jS1D_jS1E_S1E_jjS1G_bEUljE0_EEESZ_S10_S11_S18_S1C_S1E_T6_T7_T9_mT8_S1G_bDpT10_ENKUlT_T0_E_clISt17integral_constantIbLb1EES1U_EEDaS1P_S1Q_EUlS1P_E_NS1_11comp_targetILNS1_3genE3ELNS1_11target_archE908ELNS1_3gpuE7ELNS1_3repE0EEENS1_30default_config_static_selectorELNS0_4arch9wavefront6targetE0EEEvS12_,comdat
	.globl	_ZN7rocprim17ROCPRIM_400000_NS6detail17trampoline_kernelINS0_13select_configILj256ELj13ELNS0_17block_load_methodE3ELS4_3ELS4_3ELNS0_20block_scan_algorithmE0ELj4294967295EEENS1_25partition_config_selectorILNS1_17partition_subalgoE4EjNS0_10empty_typeEbEEZZNS1_14partition_implILS8_4ELb0ES6_15HIP_vector_typeIjLj2EENS0_17counting_iteratorIjlEEPS9_SG_NS0_5tupleIJPjSI_NS0_16reverse_iteratorISI_EEEEENSH_IJSG_SG_SG_EEES9_SI_JZNS1_25segmented_radix_sort_implINS0_14default_configELb0EPKaPaPKlPlN2at6native12_GLOBAL__N_18offset_tEEE10hipError_tPvRmT1_PNSt15iterator_traitsIS12_E10value_typeET2_T3_PNS13_IS18_E10value_typeET4_jRbjT5_S1E_jjP12ihipStream_tbEUljE_ZNSN_ISO_Lb0ESQ_SR_ST_SU_SY_EESZ_S10_S11_S12_S16_S17_S18_S1B_S1C_jS1D_jS1E_S1E_jjS1G_bEUljE0_EEESZ_S10_S11_S18_S1C_S1E_T6_T7_T9_mT8_S1G_bDpT10_ENKUlT_T0_E_clISt17integral_constantIbLb1EES1U_EEDaS1P_S1Q_EUlS1P_E_NS1_11comp_targetILNS1_3genE3ELNS1_11target_archE908ELNS1_3gpuE7ELNS1_3repE0EEENS1_30default_config_static_selectorELNS0_4arch9wavefront6targetE0EEEvS12_ ; -- Begin function _ZN7rocprim17ROCPRIM_400000_NS6detail17trampoline_kernelINS0_13select_configILj256ELj13ELNS0_17block_load_methodE3ELS4_3ELS4_3ELNS0_20block_scan_algorithmE0ELj4294967295EEENS1_25partition_config_selectorILNS1_17partition_subalgoE4EjNS0_10empty_typeEbEEZZNS1_14partition_implILS8_4ELb0ES6_15HIP_vector_typeIjLj2EENS0_17counting_iteratorIjlEEPS9_SG_NS0_5tupleIJPjSI_NS0_16reverse_iteratorISI_EEEEENSH_IJSG_SG_SG_EEES9_SI_JZNS1_25segmented_radix_sort_implINS0_14default_configELb0EPKaPaPKlPlN2at6native12_GLOBAL__N_18offset_tEEE10hipError_tPvRmT1_PNSt15iterator_traitsIS12_E10value_typeET2_T3_PNS13_IS18_E10value_typeET4_jRbjT5_S1E_jjP12ihipStream_tbEUljE_ZNSN_ISO_Lb0ESQ_SR_ST_SU_SY_EESZ_S10_S11_S12_S16_S17_S18_S1B_S1C_jS1D_jS1E_S1E_jjS1G_bEUljE0_EEESZ_S10_S11_S18_S1C_S1E_T6_T7_T9_mT8_S1G_bDpT10_ENKUlT_T0_E_clISt17integral_constantIbLb1EES1U_EEDaS1P_S1Q_EUlS1P_E_NS1_11comp_targetILNS1_3genE3ELNS1_11target_archE908ELNS1_3gpuE7ELNS1_3repE0EEENS1_30default_config_static_selectorELNS0_4arch9wavefront6targetE0EEEvS12_
	.p2align	8
	.type	_ZN7rocprim17ROCPRIM_400000_NS6detail17trampoline_kernelINS0_13select_configILj256ELj13ELNS0_17block_load_methodE3ELS4_3ELS4_3ELNS0_20block_scan_algorithmE0ELj4294967295EEENS1_25partition_config_selectorILNS1_17partition_subalgoE4EjNS0_10empty_typeEbEEZZNS1_14partition_implILS8_4ELb0ES6_15HIP_vector_typeIjLj2EENS0_17counting_iteratorIjlEEPS9_SG_NS0_5tupleIJPjSI_NS0_16reverse_iteratorISI_EEEEENSH_IJSG_SG_SG_EEES9_SI_JZNS1_25segmented_radix_sort_implINS0_14default_configELb0EPKaPaPKlPlN2at6native12_GLOBAL__N_18offset_tEEE10hipError_tPvRmT1_PNSt15iterator_traitsIS12_E10value_typeET2_T3_PNS13_IS18_E10value_typeET4_jRbjT5_S1E_jjP12ihipStream_tbEUljE_ZNSN_ISO_Lb0ESQ_SR_ST_SU_SY_EESZ_S10_S11_S12_S16_S17_S18_S1B_S1C_jS1D_jS1E_S1E_jjS1G_bEUljE0_EEESZ_S10_S11_S18_S1C_S1E_T6_T7_T9_mT8_S1G_bDpT10_ENKUlT_T0_E_clISt17integral_constantIbLb1EES1U_EEDaS1P_S1Q_EUlS1P_E_NS1_11comp_targetILNS1_3genE3ELNS1_11target_archE908ELNS1_3gpuE7ELNS1_3repE0EEENS1_30default_config_static_selectorELNS0_4arch9wavefront6targetE0EEEvS12_,@function
_ZN7rocprim17ROCPRIM_400000_NS6detail17trampoline_kernelINS0_13select_configILj256ELj13ELNS0_17block_load_methodE3ELS4_3ELS4_3ELNS0_20block_scan_algorithmE0ELj4294967295EEENS1_25partition_config_selectorILNS1_17partition_subalgoE4EjNS0_10empty_typeEbEEZZNS1_14partition_implILS8_4ELb0ES6_15HIP_vector_typeIjLj2EENS0_17counting_iteratorIjlEEPS9_SG_NS0_5tupleIJPjSI_NS0_16reverse_iteratorISI_EEEEENSH_IJSG_SG_SG_EEES9_SI_JZNS1_25segmented_radix_sort_implINS0_14default_configELb0EPKaPaPKlPlN2at6native12_GLOBAL__N_18offset_tEEE10hipError_tPvRmT1_PNSt15iterator_traitsIS12_E10value_typeET2_T3_PNS13_IS18_E10value_typeET4_jRbjT5_S1E_jjP12ihipStream_tbEUljE_ZNSN_ISO_Lb0ESQ_SR_ST_SU_SY_EESZ_S10_S11_S12_S16_S17_S18_S1B_S1C_jS1D_jS1E_S1E_jjS1G_bEUljE0_EEESZ_S10_S11_S18_S1C_S1E_T6_T7_T9_mT8_S1G_bDpT10_ENKUlT_T0_E_clISt17integral_constantIbLb1EES1U_EEDaS1P_S1Q_EUlS1P_E_NS1_11comp_targetILNS1_3genE3ELNS1_11target_archE908ELNS1_3gpuE7ELNS1_3repE0EEENS1_30default_config_static_selectorELNS0_4arch9wavefront6targetE0EEEvS12_: ; @_ZN7rocprim17ROCPRIM_400000_NS6detail17trampoline_kernelINS0_13select_configILj256ELj13ELNS0_17block_load_methodE3ELS4_3ELS4_3ELNS0_20block_scan_algorithmE0ELj4294967295EEENS1_25partition_config_selectorILNS1_17partition_subalgoE4EjNS0_10empty_typeEbEEZZNS1_14partition_implILS8_4ELb0ES6_15HIP_vector_typeIjLj2EENS0_17counting_iteratorIjlEEPS9_SG_NS0_5tupleIJPjSI_NS0_16reverse_iteratorISI_EEEEENSH_IJSG_SG_SG_EEES9_SI_JZNS1_25segmented_radix_sort_implINS0_14default_configELb0EPKaPaPKlPlN2at6native12_GLOBAL__N_18offset_tEEE10hipError_tPvRmT1_PNSt15iterator_traitsIS12_E10value_typeET2_T3_PNS13_IS18_E10value_typeET4_jRbjT5_S1E_jjP12ihipStream_tbEUljE_ZNSN_ISO_Lb0ESQ_SR_ST_SU_SY_EESZ_S10_S11_S12_S16_S17_S18_S1B_S1C_jS1D_jS1E_S1E_jjS1G_bEUljE0_EEESZ_S10_S11_S18_S1C_S1E_T6_T7_T9_mT8_S1G_bDpT10_ENKUlT_T0_E_clISt17integral_constantIbLb1EES1U_EEDaS1P_S1Q_EUlS1P_E_NS1_11comp_targetILNS1_3genE3ELNS1_11target_archE908ELNS1_3gpuE7ELNS1_3repE0EEENS1_30default_config_static_selectorELNS0_4arch9wavefront6targetE0EEEvS12_
; %bb.0:
	.section	.rodata,"a",@progbits
	.p2align	6, 0x0
	.amdhsa_kernel _ZN7rocprim17ROCPRIM_400000_NS6detail17trampoline_kernelINS0_13select_configILj256ELj13ELNS0_17block_load_methodE3ELS4_3ELS4_3ELNS0_20block_scan_algorithmE0ELj4294967295EEENS1_25partition_config_selectorILNS1_17partition_subalgoE4EjNS0_10empty_typeEbEEZZNS1_14partition_implILS8_4ELb0ES6_15HIP_vector_typeIjLj2EENS0_17counting_iteratorIjlEEPS9_SG_NS0_5tupleIJPjSI_NS0_16reverse_iteratorISI_EEEEENSH_IJSG_SG_SG_EEES9_SI_JZNS1_25segmented_radix_sort_implINS0_14default_configELb0EPKaPaPKlPlN2at6native12_GLOBAL__N_18offset_tEEE10hipError_tPvRmT1_PNSt15iterator_traitsIS12_E10value_typeET2_T3_PNS13_IS18_E10value_typeET4_jRbjT5_S1E_jjP12ihipStream_tbEUljE_ZNSN_ISO_Lb0ESQ_SR_ST_SU_SY_EESZ_S10_S11_S12_S16_S17_S18_S1B_S1C_jS1D_jS1E_S1E_jjS1G_bEUljE0_EEESZ_S10_S11_S18_S1C_S1E_T6_T7_T9_mT8_S1G_bDpT10_ENKUlT_T0_E_clISt17integral_constantIbLb1EES1U_EEDaS1P_S1Q_EUlS1P_E_NS1_11comp_targetILNS1_3genE3ELNS1_11target_archE908ELNS1_3gpuE7ELNS1_3repE0EEENS1_30default_config_static_selectorELNS0_4arch9wavefront6targetE0EEEvS12_
		.amdhsa_group_segment_fixed_size 0
		.amdhsa_private_segment_fixed_size 0
		.amdhsa_kernarg_size 184
		.amdhsa_user_sgpr_count 6
		.amdhsa_user_sgpr_private_segment_buffer 1
		.amdhsa_user_sgpr_dispatch_ptr 0
		.amdhsa_user_sgpr_queue_ptr 0
		.amdhsa_user_sgpr_kernarg_segment_ptr 1
		.amdhsa_user_sgpr_dispatch_id 0
		.amdhsa_user_sgpr_flat_scratch_init 0
		.amdhsa_user_sgpr_private_segment_size 0
		.amdhsa_wavefront_size32 1
		.amdhsa_uses_dynamic_stack 0
		.amdhsa_system_sgpr_private_segment_wavefront_offset 0
		.amdhsa_system_sgpr_workgroup_id_x 1
		.amdhsa_system_sgpr_workgroup_id_y 0
		.amdhsa_system_sgpr_workgroup_id_z 0
		.amdhsa_system_sgpr_workgroup_info 0
		.amdhsa_system_vgpr_workitem_id 0
		.amdhsa_next_free_vgpr 1
		.amdhsa_next_free_sgpr 1
		.amdhsa_reserve_vcc 0
		.amdhsa_reserve_flat_scratch 0
		.amdhsa_float_round_mode_32 0
		.amdhsa_float_round_mode_16_64 0
		.amdhsa_float_denorm_mode_32 3
		.amdhsa_float_denorm_mode_16_64 3
		.amdhsa_dx10_clamp 1
		.amdhsa_ieee_mode 1
		.amdhsa_fp16_overflow 0
		.amdhsa_workgroup_processor_mode 1
		.amdhsa_memory_ordered 1
		.amdhsa_forward_progress 1
		.amdhsa_shared_vgpr_count 0
		.amdhsa_exception_fp_ieee_invalid_op 0
		.amdhsa_exception_fp_denorm_src 0
		.amdhsa_exception_fp_ieee_div_zero 0
		.amdhsa_exception_fp_ieee_overflow 0
		.amdhsa_exception_fp_ieee_underflow 0
		.amdhsa_exception_fp_ieee_inexact 0
		.amdhsa_exception_int_div_zero 0
	.end_amdhsa_kernel
	.section	.text._ZN7rocprim17ROCPRIM_400000_NS6detail17trampoline_kernelINS0_13select_configILj256ELj13ELNS0_17block_load_methodE3ELS4_3ELS4_3ELNS0_20block_scan_algorithmE0ELj4294967295EEENS1_25partition_config_selectorILNS1_17partition_subalgoE4EjNS0_10empty_typeEbEEZZNS1_14partition_implILS8_4ELb0ES6_15HIP_vector_typeIjLj2EENS0_17counting_iteratorIjlEEPS9_SG_NS0_5tupleIJPjSI_NS0_16reverse_iteratorISI_EEEEENSH_IJSG_SG_SG_EEES9_SI_JZNS1_25segmented_radix_sort_implINS0_14default_configELb0EPKaPaPKlPlN2at6native12_GLOBAL__N_18offset_tEEE10hipError_tPvRmT1_PNSt15iterator_traitsIS12_E10value_typeET2_T3_PNS13_IS18_E10value_typeET4_jRbjT5_S1E_jjP12ihipStream_tbEUljE_ZNSN_ISO_Lb0ESQ_SR_ST_SU_SY_EESZ_S10_S11_S12_S16_S17_S18_S1B_S1C_jS1D_jS1E_S1E_jjS1G_bEUljE0_EEESZ_S10_S11_S18_S1C_S1E_T6_T7_T9_mT8_S1G_bDpT10_ENKUlT_T0_E_clISt17integral_constantIbLb1EES1U_EEDaS1P_S1Q_EUlS1P_E_NS1_11comp_targetILNS1_3genE3ELNS1_11target_archE908ELNS1_3gpuE7ELNS1_3repE0EEENS1_30default_config_static_selectorELNS0_4arch9wavefront6targetE0EEEvS12_,"axG",@progbits,_ZN7rocprim17ROCPRIM_400000_NS6detail17trampoline_kernelINS0_13select_configILj256ELj13ELNS0_17block_load_methodE3ELS4_3ELS4_3ELNS0_20block_scan_algorithmE0ELj4294967295EEENS1_25partition_config_selectorILNS1_17partition_subalgoE4EjNS0_10empty_typeEbEEZZNS1_14partition_implILS8_4ELb0ES6_15HIP_vector_typeIjLj2EENS0_17counting_iteratorIjlEEPS9_SG_NS0_5tupleIJPjSI_NS0_16reverse_iteratorISI_EEEEENSH_IJSG_SG_SG_EEES9_SI_JZNS1_25segmented_radix_sort_implINS0_14default_configELb0EPKaPaPKlPlN2at6native12_GLOBAL__N_18offset_tEEE10hipError_tPvRmT1_PNSt15iterator_traitsIS12_E10value_typeET2_T3_PNS13_IS18_E10value_typeET4_jRbjT5_S1E_jjP12ihipStream_tbEUljE_ZNSN_ISO_Lb0ESQ_SR_ST_SU_SY_EESZ_S10_S11_S12_S16_S17_S18_S1B_S1C_jS1D_jS1E_S1E_jjS1G_bEUljE0_EEESZ_S10_S11_S18_S1C_S1E_T6_T7_T9_mT8_S1G_bDpT10_ENKUlT_T0_E_clISt17integral_constantIbLb1EES1U_EEDaS1P_S1Q_EUlS1P_E_NS1_11comp_targetILNS1_3genE3ELNS1_11target_archE908ELNS1_3gpuE7ELNS1_3repE0EEENS1_30default_config_static_selectorELNS0_4arch9wavefront6targetE0EEEvS12_,comdat
.Lfunc_end337:
	.size	_ZN7rocprim17ROCPRIM_400000_NS6detail17trampoline_kernelINS0_13select_configILj256ELj13ELNS0_17block_load_methodE3ELS4_3ELS4_3ELNS0_20block_scan_algorithmE0ELj4294967295EEENS1_25partition_config_selectorILNS1_17partition_subalgoE4EjNS0_10empty_typeEbEEZZNS1_14partition_implILS8_4ELb0ES6_15HIP_vector_typeIjLj2EENS0_17counting_iteratorIjlEEPS9_SG_NS0_5tupleIJPjSI_NS0_16reverse_iteratorISI_EEEEENSH_IJSG_SG_SG_EEES9_SI_JZNS1_25segmented_radix_sort_implINS0_14default_configELb0EPKaPaPKlPlN2at6native12_GLOBAL__N_18offset_tEEE10hipError_tPvRmT1_PNSt15iterator_traitsIS12_E10value_typeET2_T3_PNS13_IS18_E10value_typeET4_jRbjT5_S1E_jjP12ihipStream_tbEUljE_ZNSN_ISO_Lb0ESQ_SR_ST_SU_SY_EESZ_S10_S11_S12_S16_S17_S18_S1B_S1C_jS1D_jS1E_S1E_jjS1G_bEUljE0_EEESZ_S10_S11_S18_S1C_S1E_T6_T7_T9_mT8_S1G_bDpT10_ENKUlT_T0_E_clISt17integral_constantIbLb1EES1U_EEDaS1P_S1Q_EUlS1P_E_NS1_11comp_targetILNS1_3genE3ELNS1_11target_archE908ELNS1_3gpuE7ELNS1_3repE0EEENS1_30default_config_static_selectorELNS0_4arch9wavefront6targetE0EEEvS12_, .Lfunc_end337-_ZN7rocprim17ROCPRIM_400000_NS6detail17trampoline_kernelINS0_13select_configILj256ELj13ELNS0_17block_load_methodE3ELS4_3ELS4_3ELNS0_20block_scan_algorithmE0ELj4294967295EEENS1_25partition_config_selectorILNS1_17partition_subalgoE4EjNS0_10empty_typeEbEEZZNS1_14partition_implILS8_4ELb0ES6_15HIP_vector_typeIjLj2EENS0_17counting_iteratorIjlEEPS9_SG_NS0_5tupleIJPjSI_NS0_16reverse_iteratorISI_EEEEENSH_IJSG_SG_SG_EEES9_SI_JZNS1_25segmented_radix_sort_implINS0_14default_configELb0EPKaPaPKlPlN2at6native12_GLOBAL__N_18offset_tEEE10hipError_tPvRmT1_PNSt15iterator_traitsIS12_E10value_typeET2_T3_PNS13_IS18_E10value_typeET4_jRbjT5_S1E_jjP12ihipStream_tbEUljE_ZNSN_ISO_Lb0ESQ_SR_ST_SU_SY_EESZ_S10_S11_S12_S16_S17_S18_S1B_S1C_jS1D_jS1E_S1E_jjS1G_bEUljE0_EEESZ_S10_S11_S18_S1C_S1E_T6_T7_T9_mT8_S1G_bDpT10_ENKUlT_T0_E_clISt17integral_constantIbLb1EES1U_EEDaS1P_S1Q_EUlS1P_E_NS1_11comp_targetILNS1_3genE3ELNS1_11target_archE908ELNS1_3gpuE7ELNS1_3repE0EEENS1_30default_config_static_selectorELNS0_4arch9wavefront6targetE0EEEvS12_
                                        ; -- End function
	.set _ZN7rocprim17ROCPRIM_400000_NS6detail17trampoline_kernelINS0_13select_configILj256ELj13ELNS0_17block_load_methodE3ELS4_3ELS4_3ELNS0_20block_scan_algorithmE0ELj4294967295EEENS1_25partition_config_selectorILNS1_17partition_subalgoE4EjNS0_10empty_typeEbEEZZNS1_14partition_implILS8_4ELb0ES6_15HIP_vector_typeIjLj2EENS0_17counting_iteratorIjlEEPS9_SG_NS0_5tupleIJPjSI_NS0_16reverse_iteratorISI_EEEEENSH_IJSG_SG_SG_EEES9_SI_JZNS1_25segmented_radix_sort_implINS0_14default_configELb0EPKaPaPKlPlN2at6native12_GLOBAL__N_18offset_tEEE10hipError_tPvRmT1_PNSt15iterator_traitsIS12_E10value_typeET2_T3_PNS13_IS18_E10value_typeET4_jRbjT5_S1E_jjP12ihipStream_tbEUljE_ZNSN_ISO_Lb0ESQ_SR_ST_SU_SY_EESZ_S10_S11_S12_S16_S17_S18_S1B_S1C_jS1D_jS1E_S1E_jjS1G_bEUljE0_EEESZ_S10_S11_S18_S1C_S1E_T6_T7_T9_mT8_S1G_bDpT10_ENKUlT_T0_E_clISt17integral_constantIbLb1EES1U_EEDaS1P_S1Q_EUlS1P_E_NS1_11comp_targetILNS1_3genE3ELNS1_11target_archE908ELNS1_3gpuE7ELNS1_3repE0EEENS1_30default_config_static_selectorELNS0_4arch9wavefront6targetE0EEEvS12_.num_vgpr, 0
	.set _ZN7rocprim17ROCPRIM_400000_NS6detail17trampoline_kernelINS0_13select_configILj256ELj13ELNS0_17block_load_methodE3ELS4_3ELS4_3ELNS0_20block_scan_algorithmE0ELj4294967295EEENS1_25partition_config_selectorILNS1_17partition_subalgoE4EjNS0_10empty_typeEbEEZZNS1_14partition_implILS8_4ELb0ES6_15HIP_vector_typeIjLj2EENS0_17counting_iteratorIjlEEPS9_SG_NS0_5tupleIJPjSI_NS0_16reverse_iteratorISI_EEEEENSH_IJSG_SG_SG_EEES9_SI_JZNS1_25segmented_radix_sort_implINS0_14default_configELb0EPKaPaPKlPlN2at6native12_GLOBAL__N_18offset_tEEE10hipError_tPvRmT1_PNSt15iterator_traitsIS12_E10value_typeET2_T3_PNS13_IS18_E10value_typeET4_jRbjT5_S1E_jjP12ihipStream_tbEUljE_ZNSN_ISO_Lb0ESQ_SR_ST_SU_SY_EESZ_S10_S11_S12_S16_S17_S18_S1B_S1C_jS1D_jS1E_S1E_jjS1G_bEUljE0_EEESZ_S10_S11_S18_S1C_S1E_T6_T7_T9_mT8_S1G_bDpT10_ENKUlT_T0_E_clISt17integral_constantIbLb1EES1U_EEDaS1P_S1Q_EUlS1P_E_NS1_11comp_targetILNS1_3genE3ELNS1_11target_archE908ELNS1_3gpuE7ELNS1_3repE0EEENS1_30default_config_static_selectorELNS0_4arch9wavefront6targetE0EEEvS12_.num_agpr, 0
	.set _ZN7rocprim17ROCPRIM_400000_NS6detail17trampoline_kernelINS0_13select_configILj256ELj13ELNS0_17block_load_methodE3ELS4_3ELS4_3ELNS0_20block_scan_algorithmE0ELj4294967295EEENS1_25partition_config_selectorILNS1_17partition_subalgoE4EjNS0_10empty_typeEbEEZZNS1_14partition_implILS8_4ELb0ES6_15HIP_vector_typeIjLj2EENS0_17counting_iteratorIjlEEPS9_SG_NS0_5tupleIJPjSI_NS0_16reverse_iteratorISI_EEEEENSH_IJSG_SG_SG_EEES9_SI_JZNS1_25segmented_radix_sort_implINS0_14default_configELb0EPKaPaPKlPlN2at6native12_GLOBAL__N_18offset_tEEE10hipError_tPvRmT1_PNSt15iterator_traitsIS12_E10value_typeET2_T3_PNS13_IS18_E10value_typeET4_jRbjT5_S1E_jjP12ihipStream_tbEUljE_ZNSN_ISO_Lb0ESQ_SR_ST_SU_SY_EESZ_S10_S11_S12_S16_S17_S18_S1B_S1C_jS1D_jS1E_S1E_jjS1G_bEUljE0_EEESZ_S10_S11_S18_S1C_S1E_T6_T7_T9_mT8_S1G_bDpT10_ENKUlT_T0_E_clISt17integral_constantIbLb1EES1U_EEDaS1P_S1Q_EUlS1P_E_NS1_11comp_targetILNS1_3genE3ELNS1_11target_archE908ELNS1_3gpuE7ELNS1_3repE0EEENS1_30default_config_static_selectorELNS0_4arch9wavefront6targetE0EEEvS12_.numbered_sgpr, 0
	.set _ZN7rocprim17ROCPRIM_400000_NS6detail17trampoline_kernelINS0_13select_configILj256ELj13ELNS0_17block_load_methodE3ELS4_3ELS4_3ELNS0_20block_scan_algorithmE0ELj4294967295EEENS1_25partition_config_selectorILNS1_17partition_subalgoE4EjNS0_10empty_typeEbEEZZNS1_14partition_implILS8_4ELb0ES6_15HIP_vector_typeIjLj2EENS0_17counting_iteratorIjlEEPS9_SG_NS0_5tupleIJPjSI_NS0_16reverse_iteratorISI_EEEEENSH_IJSG_SG_SG_EEES9_SI_JZNS1_25segmented_radix_sort_implINS0_14default_configELb0EPKaPaPKlPlN2at6native12_GLOBAL__N_18offset_tEEE10hipError_tPvRmT1_PNSt15iterator_traitsIS12_E10value_typeET2_T3_PNS13_IS18_E10value_typeET4_jRbjT5_S1E_jjP12ihipStream_tbEUljE_ZNSN_ISO_Lb0ESQ_SR_ST_SU_SY_EESZ_S10_S11_S12_S16_S17_S18_S1B_S1C_jS1D_jS1E_S1E_jjS1G_bEUljE0_EEESZ_S10_S11_S18_S1C_S1E_T6_T7_T9_mT8_S1G_bDpT10_ENKUlT_T0_E_clISt17integral_constantIbLb1EES1U_EEDaS1P_S1Q_EUlS1P_E_NS1_11comp_targetILNS1_3genE3ELNS1_11target_archE908ELNS1_3gpuE7ELNS1_3repE0EEENS1_30default_config_static_selectorELNS0_4arch9wavefront6targetE0EEEvS12_.num_named_barrier, 0
	.set _ZN7rocprim17ROCPRIM_400000_NS6detail17trampoline_kernelINS0_13select_configILj256ELj13ELNS0_17block_load_methodE3ELS4_3ELS4_3ELNS0_20block_scan_algorithmE0ELj4294967295EEENS1_25partition_config_selectorILNS1_17partition_subalgoE4EjNS0_10empty_typeEbEEZZNS1_14partition_implILS8_4ELb0ES6_15HIP_vector_typeIjLj2EENS0_17counting_iteratorIjlEEPS9_SG_NS0_5tupleIJPjSI_NS0_16reverse_iteratorISI_EEEEENSH_IJSG_SG_SG_EEES9_SI_JZNS1_25segmented_radix_sort_implINS0_14default_configELb0EPKaPaPKlPlN2at6native12_GLOBAL__N_18offset_tEEE10hipError_tPvRmT1_PNSt15iterator_traitsIS12_E10value_typeET2_T3_PNS13_IS18_E10value_typeET4_jRbjT5_S1E_jjP12ihipStream_tbEUljE_ZNSN_ISO_Lb0ESQ_SR_ST_SU_SY_EESZ_S10_S11_S12_S16_S17_S18_S1B_S1C_jS1D_jS1E_S1E_jjS1G_bEUljE0_EEESZ_S10_S11_S18_S1C_S1E_T6_T7_T9_mT8_S1G_bDpT10_ENKUlT_T0_E_clISt17integral_constantIbLb1EES1U_EEDaS1P_S1Q_EUlS1P_E_NS1_11comp_targetILNS1_3genE3ELNS1_11target_archE908ELNS1_3gpuE7ELNS1_3repE0EEENS1_30default_config_static_selectorELNS0_4arch9wavefront6targetE0EEEvS12_.private_seg_size, 0
	.set _ZN7rocprim17ROCPRIM_400000_NS6detail17trampoline_kernelINS0_13select_configILj256ELj13ELNS0_17block_load_methodE3ELS4_3ELS4_3ELNS0_20block_scan_algorithmE0ELj4294967295EEENS1_25partition_config_selectorILNS1_17partition_subalgoE4EjNS0_10empty_typeEbEEZZNS1_14partition_implILS8_4ELb0ES6_15HIP_vector_typeIjLj2EENS0_17counting_iteratorIjlEEPS9_SG_NS0_5tupleIJPjSI_NS0_16reverse_iteratorISI_EEEEENSH_IJSG_SG_SG_EEES9_SI_JZNS1_25segmented_radix_sort_implINS0_14default_configELb0EPKaPaPKlPlN2at6native12_GLOBAL__N_18offset_tEEE10hipError_tPvRmT1_PNSt15iterator_traitsIS12_E10value_typeET2_T3_PNS13_IS18_E10value_typeET4_jRbjT5_S1E_jjP12ihipStream_tbEUljE_ZNSN_ISO_Lb0ESQ_SR_ST_SU_SY_EESZ_S10_S11_S12_S16_S17_S18_S1B_S1C_jS1D_jS1E_S1E_jjS1G_bEUljE0_EEESZ_S10_S11_S18_S1C_S1E_T6_T7_T9_mT8_S1G_bDpT10_ENKUlT_T0_E_clISt17integral_constantIbLb1EES1U_EEDaS1P_S1Q_EUlS1P_E_NS1_11comp_targetILNS1_3genE3ELNS1_11target_archE908ELNS1_3gpuE7ELNS1_3repE0EEENS1_30default_config_static_selectorELNS0_4arch9wavefront6targetE0EEEvS12_.uses_vcc, 0
	.set _ZN7rocprim17ROCPRIM_400000_NS6detail17trampoline_kernelINS0_13select_configILj256ELj13ELNS0_17block_load_methodE3ELS4_3ELS4_3ELNS0_20block_scan_algorithmE0ELj4294967295EEENS1_25partition_config_selectorILNS1_17partition_subalgoE4EjNS0_10empty_typeEbEEZZNS1_14partition_implILS8_4ELb0ES6_15HIP_vector_typeIjLj2EENS0_17counting_iteratorIjlEEPS9_SG_NS0_5tupleIJPjSI_NS0_16reverse_iteratorISI_EEEEENSH_IJSG_SG_SG_EEES9_SI_JZNS1_25segmented_radix_sort_implINS0_14default_configELb0EPKaPaPKlPlN2at6native12_GLOBAL__N_18offset_tEEE10hipError_tPvRmT1_PNSt15iterator_traitsIS12_E10value_typeET2_T3_PNS13_IS18_E10value_typeET4_jRbjT5_S1E_jjP12ihipStream_tbEUljE_ZNSN_ISO_Lb0ESQ_SR_ST_SU_SY_EESZ_S10_S11_S12_S16_S17_S18_S1B_S1C_jS1D_jS1E_S1E_jjS1G_bEUljE0_EEESZ_S10_S11_S18_S1C_S1E_T6_T7_T9_mT8_S1G_bDpT10_ENKUlT_T0_E_clISt17integral_constantIbLb1EES1U_EEDaS1P_S1Q_EUlS1P_E_NS1_11comp_targetILNS1_3genE3ELNS1_11target_archE908ELNS1_3gpuE7ELNS1_3repE0EEENS1_30default_config_static_selectorELNS0_4arch9wavefront6targetE0EEEvS12_.uses_flat_scratch, 0
	.set _ZN7rocprim17ROCPRIM_400000_NS6detail17trampoline_kernelINS0_13select_configILj256ELj13ELNS0_17block_load_methodE3ELS4_3ELS4_3ELNS0_20block_scan_algorithmE0ELj4294967295EEENS1_25partition_config_selectorILNS1_17partition_subalgoE4EjNS0_10empty_typeEbEEZZNS1_14partition_implILS8_4ELb0ES6_15HIP_vector_typeIjLj2EENS0_17counting_iteratorIjlEEPS9_SG_NS0_5tupleIJPjSI_NS0_16reverse_iteratorISI_EEEEENSH_IJSG_SG_SG_EEES9_SI_JZNS1_25segmented_radix_sort_implINS0_14default_configELb0EPKaPaPKlPlN2at6native12_GLOBAL__N_18offset_tEEE10hipError_tPvRmT1_PNSt15iterator_traitsIS12_E10value_typeET2_T3_PNS13_IS18_E10value_typeET4_jRbjT5_S1E_jjP12ihipStream_tbEUljE_ZNSN_ISO_Lb0ESQ_SR_ST_SU_SY_EESZ_S10_S11_S12_S16_S17_S18_S1B_S1C_jS1D_jS1E_S1E_jjS1G_bEUljE0_EEESZ_S10_S11_S18_S1C_S1E_T6_T7_T9_mT8_S1G_bDpT10_ENKUlT_T0_E_clISt17integral_constantIbLb1EES1U_EEDaS1P_S1Q_EUlS1P_E_NS1_11comp_targetILNS1_3genE3ELNS1_11target_archE908ELNS1_3gpuE7ELNS1_3repE0EEENS1_30default_config_static_selectorELNS0_4arch9wavefront6targetE0EEEvS12_.has_dyn_sized_stack, 0
	.set _ZN7rocprim17ROCPRIM_400000_NS6detail17trampoline_kernelINS0_13select_configILj256ELj13ELNS0_17block_load_methodE3ELS4_3ELS4_3ELNS0_20block_scan_algorithmE0ELj4294967295EEENS1_25partition_config_selectorILNS1_17partition_subalgoE4EjNS0_10empty_typeEbEEZZNS1_14partition_implILS8_4ELb0ES6_15HIP_vector_typeIjLj2EENS0_17counting_iteratorIjlEEPS9_SG_NS0_5tupleIJPjSI_NS0_16reverse_iteratorISI_EEEEENSH_IJSG_SG_SG_EEES9_SI_JZNS1_25segmented_radix_sort_implINS0_14default_configELb0EPKaPaPKlPlN2at6native12_GLOBAL__N_18offset_tEEE10hipError_tPvRmT1_PNSt15iterator_traitsIS12_E10value_typeET2_T3_PNS13_IS18_E10value_typeET4_jRbjT5_S1E_jjP12ihipStream_tbEUljE_ZNSN_ISO_Lb0ESQ_SR_ST_SU_SY_EESZ_S10_S11_S12_S16_S17_S18_S1B_S1C_jS1D_jS1E_S1E_jjS1G_bEUljE0_EEESZ_S10_S11_S18_S1C_S1E_T6_T7_T9_mT8_S1G_bDpT10_ENKUlT_T0_E_clISt17integral_constantIbLb1EES1U_EEDaS1P_S1Q_EUlS1P_E_NS1_11comp_targetILNS1_3genE3ELNS1_11target_archE908ELNS1_3gpuE7ELNS1_3repE0EEENS1_30default_config_static_selectorELNS0_4arch9wavefront6targetE0EEEvS12_.has_recursion, 0
	.set _ZN7rocprim17ROCPRIM_400000_NS6detail17trampoline_kernelINS0_13select_configILj256ELj13ELNS0_17block_load_methodE3ELS4_3ELS4_3ELNS0_20block_scan_algorithmE0ELj4294967295EEENS1_25partition_config_selectorILNS1_17partition_subalgoE4EjNS0_10empty_typeEbEEZZNS1_14partition_implILS8_4ELb0ES6_15HIP_vector_typeIjLj2EENS0_17counting_iteratorIjlEEPS9_SG_NS0_5tupleIJPjSI_NS0_16reverse_iteratorISI_EEEEENSH_IJSG_SG_SG_EEES9_SI_JZNS1_25segmented_radix_sort_implINS0_14default_configELb0EPKaPaPKlPlN2at6native12_GLOBAL__N_18offset_tEEE10hipError_tPvRmT1_PNSt15iterator_traitsIS12_E10value_typeET2_T3_PNS13_IS18_E10value_typeET4_jRbjT5_S1E_jjP12ihipStream_tbEUljE_ZNSN_ISO_Lb0ESQ_SR_ST_SU_SY_EESZ_S10_S11_S12_S16_S17_S18_S1B_S1C_jS1D_jS1E_S1E_jjS1G_bEUljE0_EEESZ_S10_S11_S18_S1C_S1E_T6_T7_T9_mT8_S1G_bDpT10_ENKUlT_T0_E_clISt17integral_constantIbLb1EES1U_EEDaS1P_S1Q_EUlS1P_E_NS1_11comp_targetILNS1_3genE3ELNS1_11target_archE908ELNS1_3gpuE7ELNS1_3repE0EEENS1_30default_config_static_selectorELNS0_4arch9wavefront6targetE0EEEvS12_.has_indirect_call, 0
	.section	.AMDGPU.csdata,"",@progbits
; Kernel info:
; codeLenInByte = 0
; TotalNumSgprs: 0
; NumVgprs: 0
; ScratchSize: 0
; MemoryBound: 0
; FloatMode: 240
; IeeeMode: 1
; LDSByteSize: 0 bytes/workgroup (compile time only)
; SGPRBlocks: 0
; VGPRBlocks: 0
; NumSGPRsForWavesPerEU: 1
; NumVGPRsForWavesPerEU: 1
; Occupancy: 16
; WaveLimiterHint : 0
; COMPUTE_PGM_RSRC2:SCRATCH_EN: 0
; COMPUTE_PGM_RSRC2:USER_SGPR: 6
; COMPUTE_PGM_RSRC2:TRAP_HANDLER: 0
; COMPUTE_PGM_RSRC2:TGID_X_EN: 1
; COMPUTE_PGM_RSRC2:TGID_Y_EN: 0
; COMPUTE_PGM_RSRC2:TGID_Z_EN: 0
; COMPUTE_PGM_RSRC2:TIDIG_COMP_CNT: 0
	.section	.text._ZN7rocprim17ROCPRIM_400000_NS6detail17trampoline_kernelINS0_13select_configILj256ELj13ELNS0_17block_load_methodE3ELS4_3ELS4_3ELNS0_20block_scan_algorithmE0ELj4294967295EEENS1_25partition_config_selectorILNS1_17partition_subalgoE4EjNS0_10empty_typeEbEEZZNS1_14partition_implILS8_4ELb0ES6_15HIP_vector_typeIjLj2EENS0_17counting_iteratorIjlEEPS9_SG_NS0_5tupleIJPjSI_NS0_16reverse_iteratorISI_EEEEENSH_IJSG_SG_SG_EEES9_SI_JZNS1_25segmented_radix_sort_implINS0_14default_configELb0EPKaPaPKlPlN2at6native12_GLOBAL__N_18offset_tEEE10hipError_tPvRmT1_PNSt15iterator_traitsIS12_E10value_typeET2_T3_PNS13_IS18_E10value_typeET4_jRbjT5_S1E_jjP12ihipStream_tbEUljE_ZNSN_ISO_Lb0ESQ_SR_ST_SU_SY_EESZ_S10_S11_S12_S16_S17_S18_S1B_S1C_jS1D_jS1E_S1E_jjS1G_bEUljE0_EEESZ_S10_S11_S18_S1C_S1E_T6_T7_T9_mT8_S1G_bDpT10_ENKUlT_T0_E_clISt17integral_constantIbLb1EES1U_EEDaS1P_S1Q_EUlS1P_E_NS1_11comp_targetILNS1_3genE2ELNS1_11target_archE906ELNS1_3gpuE6ELNS1_3repE0EEENS1_30default_config_static_selectorELNS0_4arch9wavefront6targetE0EEEvS12_,"axG",@progbits,_ZN7rocprim17ROCPRIM_400000_NS6detail17trampoline_kernelINS0_13select_configILj256ELj13ELNS0_17block_load_methodE3ELS4_3ELS4_3ELNS0_20block_scan_algorithmE0ELj4294967295EEENS1_25partition_config_selectorILNS1_17partition_subalgoE4EjNS0_10empty_typeEbEEZZNS1_14partition_implILS8_4ELb0ES6_15HIP_vector_typeIjLj2EENS0_17counting_iteratorIjlEEPS9_SG_NS0_5tupleIJPjSI_NS0_16reverse_iteratorISI_EEEEENSH_IJSG_SG_SG_EEES9_SI_JZNS1_25segmented_radix_sort_implINS0_14default_configELb0EPKaPaPKlPlN2at6native12_GLOBAL__N_18offset_tEEE10hipError_tPvRmT1_PNSt15iterator_traitsIS12_E10value_typeET2_T3_PNS13_IS18_E10value_typeET4_jRbjT5_S1E_jjP12ihipStream_tbEUljE_ZNSN_ISO_Lb0ESQ_SR_ST_SU_SY_EESZ_S10_S11_S12_S16_S17_S18_S1B_S1C_jS1D_jS1E_S1E_jjS1G_bEUljE0_EEESZ_S10_S11_S18_S1C_S1E_T6_T7_T9_mT8_S1G_bDpT10_ENKUlT_T0_E_clISt17integral_constantIbLb1EES1U_EEDaS1P_S1Q_EUlS1P_E_NS1_11comp_targetILNS1_3genE2ELNS1_11target_archE906ELNS1_3gpuE6ELNS1_3repE0EEENS1_30default_config_static_selectorELNS0_4arch9wavefront6targetE0EEEvS12_,comdat
	.globl	_ZN7rocprim17ROCPRIM_400000_NS6detail17trampoline_kernelINS0_13select_configILj256ELj13ELNS0_17block_load_methodE3ELS4_3ELS4_3ELNS0_20block_scan_algorithmE0ELj4294967295EEENS1_25partition_config_selectorILNS1_17partition_subalgoE4EjNS0_10empty_typeEbEEZZNS1_14partition_implILS8_4ELb0ES6_15HIP_vector_typeIjLj2EENS0_17counting_iteratorIjlEEPS9_SG_NS0_5tupleIJPjSI_NS0_16reverse_iteratorISI_EEEEENSH_IJSG_SG_SG_EEES9_SI_JZNS1_25segmented_radix_sort_implINS0_14default_configELb0EPKaPaPKlPlN2at6native12_GLOBAL__N_18offset_tEEE10hipError_tPvRmT1_PNSt15iterator_traitsIS12_E10value_typeET2_T3_PNS13_IS18_E10value_typeET4_jRbjT5_S1E_jjP12ihipStream_tbEUljE_ZNSN_ISO_Lb0ESQ_SR_ST_SU_SY_EESZ_S10_S11_S12_S16_S17_S18_S1B_S1C_jS1D_jS1E_S1E_jjS1G_bEUljE0_EEESZ_S10_S11_S18_S1C_S1E_T6_T7_T9_mT8_S1G_bDpT10_ENKUlT_T0_E_clISt17integral_constantIbLb1EES1U_EEDaS1P_S1Q_EUlS1P_E_NS1_11comp_targetILNS1_3genE2ELNS1_11target_archE906ELNS1_3gpuE6ELNS1_3repE0EEENS1_30default_config_static_selectorELNS0_4arch9wavefront6targetE0EEEvS12_ ; -- Begin function _ZN7rocprim17ROCPRIM_400000_NS6detail17trampoline_kernelINS0_13select_configILj256ELj13ELNS0_17block_load_methodE3ELS4_3ELS4_3ELNS0_20block_scan_algorithmE0ELj4294967295EEENS1_25partition_config_selectorILNS1_17partition_subalgoE4EjNS0_10empty_typeEbEEZZNS1_14partition_implILS8_4ELb0ES6_15HIP_vector_typeIjLj2EENS0_17counting_iteratorIjlEEPS9_SG_NS0_5tupleIJPjSI_NS0_16reverse_iteratorISI_EEEEENSH_IJSG_SG_SG_EEES9_SI_JZNS1_25segmented_radix_sort_implINS0_14default_configELb0EPKaPaPKlPlN2at6native12_GLOBAL__N_18offset_tEEE10hipError_tPvRmT1_PNSt15iterator_traitsIS12_E10value_typeET2_T3_PNS13_IS18_E10value_typeET4_jRbjT5_S1E_jjP12ihipStream_tbEUljE_ZNSN_ISO_Lb0ESQ_SR_ST_SU_SY_EESZ_S10_S11_S12_S16_S17_S18_S1B_S1C_jS1D_jS1E_S1E_jjS1G_bEUljE0_EEESZ_S10_S11_S18_S1C_S1E_T6_T7_T9_mT8_S1G_bDpT10_ENKUlT_T0_E_clISt17integral_constantIbLb1EES1U_EEDaS1P_S1Q_EUlS1P_E_NS1_11comp_targetILNS1_3genE2ELNS1_11target_archE906ELNS1_3gpuE6ELNS1_3repE0EEENS1_30default_config_static_selectorELNS0_4arch9wavefront6targetE0EEEvS12_
	.p2align	8
	.type	_ZN7rocprim17ROCPRIM_400000_NS6detail17trampoline_kernelINS0_13select_configILj256ELj13ELNS0_17block_load_methodE3ELS4_3ELS4_3ELNS0_20block_scan_algorithmE0ELj4294967295EEENS1_25partition_config_selectorILNS1_17partition_subalgoE4EjNS0_10empty_typeEbEEZZNS1_14partition_implILS8_4ELb0ES6_15HIP_vector_typeIjLj2EENS0_17counting_iteratorIjlEEPS9_SG_NS0_5tupleIJPjSI_NS0_16reverse_iteratorISI_EEEEENSH_IJSG_SG_SG_EEES9_SI_JZNS1_25segmented_radix_sort_implINS0_14default_configELb0EPKaPaPKlPlN2at6native12_GLOBAL__N_18offset_tEEE10hipError_tPvRmT1_PNSt15iterator_traitsIS12_E10value_typeET2_T3_PNS13_IS18_E10value_typeET4_jRbjT5_S1E_jjP12ihipStream_tbEUljE_ZNSN_ISO_Lb0ESQ_SR_ST_SU_SY_EESZ_S10_S11_S12_S16_S17_S18_S1B_S1C_jS1D_jS1E_S1E_jjS1G_bEUljE0_EEESZ_S10_S11_S18_S1C_S1E_T6_T7_T9_mT8_S1G_bDpT10_ENKUlT_T0_E_clISt17integral_constantIbLb1EES1U_EEDaS1P_S1Q_EUlS1P_E_NS1_11comp_targetILNS1_3genE2ELNS1_11target_archE906ELNS1_3gpuE6ELNS1_3repE0EEENS1_30default_config_static_selectorELNS0_4arch9wavefront6targetE0EEEvS12_,@function
_ZN7rocprim17ROCPRIM_400000_NS6detail17trampoline_kernelINS0_13select_configILj256ELj13ELNS0_17block_load_methodE3ELS4_3ELS4_3ELNS0_20block_scan_algorithmE0ELj4294967295EEENS1_25partition_config_selectorILNS1_17partition_subalgoE4EjNS0_10empty_typeEbEEZZNS1_14partition_implILS8_4ELb0ES6_15HIP_vector_typeIjLj2EENS0_17counting_iteratorIjlEEPS9_SG_NS0_5tupleIJPjSI_NS0_16reverse_iteratorISI_EEEEENSH_IJSG_SG_SG_EEES9_SI_JZNS1_25segmented_radix_sort_implINS0_14default_configELb0EPKaPaPKlPlN2at6native12_GLOBAL__N_18offset_tEEE10hipError_tPvRmT1_PNSt15iterator_traitsIS12_E10value_typeET2_T3_PNS13_IS18_E10value_typeET4_jRbjT5_S1E_jjP12ihipStream_tbEUljE_ZNSN_ISO_Lb0ESQ_SR_ST_SU_SY_EESZ_S10_S11_S12_S16_S17_S18_S1B_S1C_jS1D_jS1E_S1E_jjS1G_bEUljE0_EEESZ_S10_S11_S18_S1C_S1E_T6_T7_T9_mT8_S1G_bDpT10_ENKUlT_T0_E_clISt17integral_constantIbLb1EES1U_EEDaS1P_S1Q_EUlS1P_E_NS1_11comp_targetILNS1_3genE2ELNS1_11target_archE906ELNS1_3gpuE6ELNS1_3repE0EEENS1_30default_config_static_selectorELNS0_4arch9wavefront6targetE0EEEvS12_: ; @_ZN7rocprim17ROCPRIM_400000_NS6detail17trampoline_kernelINS0_13select_configILj256ELj13ELNS0_17block_load_methodE3ELS4_3ELS4_3ELNS0_20block_scan_algorithmE0ELj4294967295EEENS1_25partition_config_selectorILNS1_17partition_subalgoE4EjNS0_10empty_typeEbEEZZNS1_14partition_implILS8_4ELb0ES6_15HIP_vector_typeIjLj2EENS0_17counting_iteratorIjlEEPS9_SG_NS0_5tupleIJPjSI_NS0_16reverse_iteratorISI_EEEEENSH_IJSG_SG_SG_EEES9_SI_JZNS1_25segmented_radix_sort_implINS0_14default_configELb0EPKaPaPKlPlN2at6native12_GLOBAL__N_18offset_tEEE10hipError_tPvRmT1_PNSt15iterator_traitsIS12_E10value_typeET2_T3_PNS13_IS18_E10value_typeET4_jRbjT5_S1E_jjP12ihipStream_tbEUljE_ZNSN_ISO_Lb0ESQ_SR_ST_SU_SY_EESZ_S10_S11_S12_S16_S17_S18_S1B_S1C_jS1D_jS1E_S1E_jjS1G_bEUljE0_EEESZ_S10_S11_S18_S1C_S1E_T6_T7_T9_mT8_S1G_bDpT10_ENKUlT_T0_E_clISt17integral_constantIbLb1EES1U_EEDaS1P_S1Q_EUlS1P_E_NS1_11comp_targetILNS1_3genE2ELNS1_11target_archE906ELNS1_3gpuE6ELNS1_3repE0EEENS1_30default_config_static_selectorELNS0_4arch9wavefront6targetE0EEEvS12_
; %bb.0:
	.section	.rodata,"a",@progbits
	.p2align	6, 0x0
	.amdhsa_kernel _ZN7rocprim17ROCPRIM_400000_NS6detail17trampoline_kernelINS0_13select_configILj256ELj13ELNS0_17block_load_methodE3ELS4_3ELS4_3ELNS0_20block_scan_algorithmE0ELj4294967295EEENS1_25partition_config_selectorILNS1_17partition_subalgoE4EjNS0_10empty_typeEbEEZZNS1_14partition_implILS8_4ELb0ES6_15HIP_vector_typeIjLj2EENS0_17counting_iteratorIjlEEPS9_SG_NS0_5tupleIJPjSI_NS0_16reverse_iteratorISI_EEEEENSH_IJSG_SG_SG_EEES9_SI_JZNS1_25segmented_radix_sort_implINS0_14default_configELb0EPKaPaPKlPlN2at6native12_GLOBAL__N_18offset_tEEE10hipError_tPvRmT1_PNSt15iterator_traitsIS12_E10value_typeET2_T3_PNS13_IS18_E10value_typeET4_jRbjT5_S1E_jjP12ihipStream_tbEUljE_ZNSN_ISO_Lb0ESQ_SR_ST_SU_SY_EESZ_S10_S11_S12_S16_S17_S18_S1B_S1C_jS1D_jS1E_S1E_jjS1G_bEUljE0_EEESZ_S10_S11_S18_S1C_S1E_T6_T7_T9_mT8_S1G_bDpT10_ENKUlT_T0_E_clISt17integral_constantIbLb1EES1U_EEDaS1P_S1Q_EUlS1P_E_NS1_11comp_targetILNS1_3genE2ELNS1_11target_archE906ELNS1_3gpuE6ELNS1_3repE0EEENS1_30default_config_static_selectorELNS0_4arch9wavefront6targetE0EEEvS12_
		.amdhsa_group_segment_fixed_size 0
		.amdhsa_private_segment_fixed_size 0
		.amdhsa_kernarg_size 184
		.amdhsa_user_sgpr_count 6
		.amdhsa_user_sgpr_private_segment_buffer 1
		.amdhsa_user_sgpr_dispatch_ptr 0
		.amdhsa_user_sgpr_queue_ptr 0
		.amdhsa_user_sgpr_kernarg_segment_ptr 1
		.amdhsa_user_sgpr_dispatch_id 0
		.amdhsa_user_sgpr_flat_scratch_init 0
		.amdhsa_user_sgpr_private_segment_size 0
		.amdhsa_wavefront_size32 1
		.amdhsa_uses_dynamic_stack 0
		.amdhsa_system_sgpr_private_segment_wavefront_offset 0
		.amdhsa_system_sgpr_workgroup_id_x 1
		.amdhsa_system_sgpr_workgroup_id_y 0
		.amdhsa_system_sgpr_workgroup_id_z 0
		.amdhsa_system_sgpr_workgroup_info 0
		.amdhsa_system_vgpr_workitem_id 0
		.amdhsa_next_free_vgpr 1
		.amdhsa_next_free_sgpr 1
		.amdhsa_reserve_vcc 0
		.amdhsa_reserve_flat_scratch 0
		.amdhsa_float_round_mode_32 0
		.amdhsa_float_round_mode_16_64 0
		.amdhsa_float_denorm_mode_32 3
		.amdhsa_float_denorm_mode_16_64 3
		.amdhsa_dx10_clamp 1
		.amdhsa_ieee_mode 1
		.amdhsa_fp16_overflow 0
		.amdhsa_workgroup_processor_mode 1
		.amdhsa_memory_ordered 1
		.amdhsa_forward_progress 1
		.amdhsa_shared_vgpr_count 0
		.amdhsa_exception_fp_ieee_invalid_op 0
		.amdhsa_exception_fp_denorm_src 0
		.amdhsa_exception_fp_ieee_div_zero 0
		.amdhsa_exception_fp_ieee_overflow 0
		.amdhsa_exception_fp_ieee_underflow 0
		.amdhsa_exception_fp_ieee_inexact 0
		.amdhsa_exception_int_div_zero 0
	.end_amdhsa_kernel
	.section	.text._ZN7rocprim17ROCPRIM_400000_NS6detail17trampoline_kernelINS0_13select_configILj256ELj13ELNS0_17block_load_methodE3ELS4_3ELS4_3ELNS0_20block_scan_algorithmE0ELj4294967295EEENS1_25partition_config_selectorILNS1_17partition_subalgoE4EjNS0_10empty_typeEbEEZZNS1_14partition_implILS8_4ELb0ES6_15HIP_vector_typeIjLj2EENS0_17counting_iteratorIjlEEPS9_SG_NS0_5tupleIJPjSI_NS0_16reverse_iteratorISI_EEEEENSH_IJSG_SG_SG_EEES9_SI_JZNS1_25segmented_radix_sort_implINS0_14default_configELb0EPKaPaPKlPlN2at6native12_GLOBAL__N_18offset_tEEE10hipError_tPvRmT1_PNSt15iterator_traitsIS12_E10value_typeET2_T3_PNS13_IS18_E10value_typeET4_jRbjT5_S1E_jjP12ihipStream_tbEUljE_ZNSN_ISO_Lb0ESQ_SR_ST_SU_SY_EESZ_S10_S11_S12_S16_S17_S18_S1B_S1C_jS1D_jS1E_S1E_jjS1G_bEUljE0_EEESZ_S10_S11_S18_S1C_S1E_T6_T7_T9_mT8_S1G_bDpT10_ENKUlT_T0_E_clISt17integral_constantIbLb1EES1U_EEDaS1P_S1Q_EUlS1P_E_NS1_11comp_targetILNS1_3genE2ELNS1_11target_archE906ELNS1_3gpuE6ELNS1_3repE0EEENS1_30default_config_static_selectorELNS0_4arch9wavefront6targetE0EEEvS12_,"axG",@progbits,_ZN7rocprim17ROCPRIM_400000_NS6detail17trampoline_kernelINS0_13select_configILj256ELj13ELNS0_17block_load_methodE3ELS4_3ELS4_3ELNS0_20block_scan_algorithmE0ELj4294967295EEENS1_25partition_config_selectorILNS1_17partition_subalgoE4EjNS0_10empty_typeEbEEZZNS1_14partition_implILS8_4ELb0ES6_15HIP_vector_typeIjLj2EENS0_17counting_iteratorIjlEEPS9_SG_NS0_5tupleIJPjSI_NS0_16reverse_iteratorISI_EEEEENSH_IJSG_SG_SG_EEES9_SI_JZNS1_25segmented_radix_sort_implINS0_14default_configELb0EPKaPaPKlPlN2at6native12_GLOBAL__N_18offset_tEEE10hipError_tPvRmT1_PNSt15iterator_traitsIS12_E10value_typeET2_T3_PNS13_IS18_E10value_typeET4_jRbjT5_S1E_jjP12ihipStream_tbEUljE_ZNSN_ISO_Lb0ESQ_SR_ST_SU_SY_EESZ_S10_S11_S12_S16_S17_S18_S1B_S1C_jS1D_jS1E_S1E_jjS1G_bEUljE0_EEESZ_S10_S11_S18_S1C_S1E_T6_T7_T9_mT8_S1G_bDpT10_ENKUlT_T0_E_clISt17integral_constantIbLb1EES1U_EEDaS1P_S1Q_EUlS1P_E_NS1_11comp_targetILNS1_3genE2ELNS1_11target_archE906ELNS1_3gpuE6ELNS1_3repE0EEENS1_30default_config_static_selectorELNS0_4arch9wavefront6targetE0EEEvS12_,comdat
.Lfunc_end338:
	.size	_ZN7rocprim17ROCPRIM_400000_NS6detail17trampoline_kernelINS0_13select_configILj256ELj13ELNS0_17block_load_methodE3ELS4_3ELS4_3ELNS0_20block_scan_algorithmE0ELj4294967295EEENS1_25partition_config_selectorILNS1_17partition_subalgoE4EjNS0_10empty_typeEbEEZZNS1_14partition_implILS8_4ELb0ES6_15HIP_vector_typeIjLj2EENS0_17counting_iteratorIjlEEPS9_SG_NS0_5tupleIJPjSI_NS0_16reverse_iteratorISI_EEEEENSH_IJSG_SG_SG_EEES9_SI_JZNS1_25segmented_radix_sort_implINS0_14default_configELb0EPKaPaPKlPlN2at6native12_GLOBAL__N_18offset_tEEE10hipError_tPvRmT1_PNSt15iterator_traitsIS12_E10value_typeET2_T3_PNS13_IS18_E10value_typeET4_jRbjT5_S1E_jjP12ihipStream_tbEUljE_ZNSN_ISO_Lb0ESQ_SR_ST_SU_SY_EESZ_S10_S11_S12_S16_S17_S18_S1B_S1C_jS1D_jS1E_S1E_jjS1G_bEUljE0_EEESZ_S10_S11_S18_S1C_S1E_T6_T7_T9_mT8_S1G_bDpT10_ENKUlT_T0_E_clISt17integral_constantIbLb1EES1U_EEDaS1P_S1Q_EUlS1P_E_NS1_11comp_targetILNS1_3genE2ELNS1_11target_archE906ELNS1_3gpuE6ELNS1_3repE0EEENS1_30default_config_static_selectorELNS0_4arch9wavefront6targetE0EEEvS12_, .Lfunc_end338-_ZN7rocprim17ROCPRIM_400000_NS6detail17trampoline_kernelINS0_13select_configILj256ELj13ELNS0_17block_load_methodE3ELS4_3ELS4_3ELNS0_20block_scan_algorithmE0ELj4294967295EEENS1_25partition_config_selectorILNS1_17partition_subalgoE4EjNS0_10empty_typeEbEEZZNS1_14partition_implILS8_4ELb0ES6_15HIP_vector_typeIjLj2EENS0_17counting_iteratorIjlEEPS9_SG_NS0_5tupleIJPjSI_NS0_16reverse_iteratorISI_EEEEENSH_IJSG_SG_SG_EEES9_SI_JZNS1_25segmented_radix_sort_implINS0_14default_configELb0EPKaPaPKlPlN2at6native12_GLOBAL__N_18offset_tEEE10hipError_tPvRmT1_PNSt15iterator_traitsIS12_E10value_typeET2_T3_PNS13_IS18_E10value_typeET4_jRbjT5_S1E_jjP12ihipStream_tbEUljE_ZNSN_ISO_Lb0ESQ_SR_ST_SU_SY_EESZ_S10_S11_S12_S16_S17_S18_S1B_S1C_jS1D_jS1E_S1E_jjS1G_bEUljE0_EEESZ_S10_S11_S18_S1C_S1E_T6_T7_T9_mT8_S1G_bDpT10_ENKUlT_T0_E_clISt17integral_constantIbLb1EES1U_EEDaS1P_S1Q_EUlS1P_E_NS1_11comp_targetILNS1_3genE2ELNS1_11target_archE906ELNS1_3gpuE6ELNS1_3repE0EEENS1_30default_config_static_selectorELNS0_4arch9wavefront6targetE0EEEvS12_
                                        ; -- End function
	.set _ZN7rocprim17ROCPRIM_400000_NS6detail17trampoline_kernelINS0_13select_configILj256ELj13ELNS0_17block_load_methodE3ELS4_3ELS4_3ELNS0_20block_scan_algorithmE0ELj4294967295EEENS1_25partition_config_selectorILNS1_17partition_subalgoE4EjNS0_10empty_typeEbEEZZNS1_14partition_implILS8_4ELb0ES6_15HIP_vector_typeIjLj2EENS0_17counting_iteratorIjlEEPS9_SG_NS0_5tupleIJPjSI_NS0_16reverse_iteratorISI_EEEEENSH_IJSG_SG_SG_EEES9_SI_JZNS1_25segmented_radix_sort_implINS0_14default_configELb0EPKaPaPKlPlN2at6native12_GLOBAL__N_18offset_tEEE10hipError_tPvRmT1_PNSt15iterator_traitsIS12_E10value_typeET2_T3_PNS13_IS18_E10value_typeET4_jRbjT5_S1E_jjP12ihipStream_tbEUljE_ZNSN_ISO_Lb0ESQ_SR_ST_SU_SY_EESZ_S10_S11_S12_S16_S17_S18_S1B_S1C_jS1D_jS1E_S1E_jjS1G_bEUljE0_EEESZ_S10_S11_S18_S1C_S1E_T6_T7_T9_mT8_S1G_bDpT10_ENKUlT_T0_E_clISt17integral_constantIbLb1EES1U_EEDaS1P_S1Q_EUlS1P_E_NS1_11comp_targetILNS1_3genE2ELNS1_11target_archE906ELNS1_3gpuE6ELNS1_3repE0EEENS1_30default_config_static_selectorELNS0_4arch9wavefront6targetE0EEEvS12_.num_vgpr, 0
	.set _ZN7rocprim17ROCPRIM_400000_NS6detail17trampoline_kernelINS0_13select_configILj256ELj13ELNS0_17block_load_methodE3ELS4_3ELS4_3ELNS0_20block_scan_algorithmE0ELj4294967295EEENS1_25partition_config_selectorILNS1_17partition_subalgoE4EjNS0_10empty_typeEbEEZZNS1_14partition_implILS8_4ELb0ES6_15HIP_vector_typeIjLj2EENS0_17counting_iteratorIjlEEPS9_SG_NS0_5tupleIJPjSI_NS0_16reverse_iteratorISI_EEEEENSH_IJSG_SG_SG_EEES9_SI_JZNS1_25segmented_radix_sort_implINS0_14default_configELb0EPKaPaPKlPlN2at6native12_GLOBAL__N_18offset_tEEE10hipError_tPvRmT1_PNSt15iterator_traitsIS12_E10value_typeET2_T3_PNS13_IS18_E10value_typeET4_jRbjT5_S1E_jjP12ihipStream_tbEUljE_ZNSN_ISO_Lb0ESQ_SR_ST_SU_SY_EESZ_S10_S11_S12_S16_S17_S18_S1B_S1C_jS1D_jS1E_S1E_jjS1G_bEUljE0_EEESZ_S10_S11_S18_S1C_S1E_T6_T7_T9_mT8_S1G_bDpT10_ENKUlT_T0_E_clISt17integral_constantIbLb1EES1U_EEDaS1P_S1Q_EUlS1P_E_NS1_11comp_targetILNS1_3genE2ELNS1_11target_archE906ELNS1_3gpuE6ELNS1_3repE0EEENS1_30default_config_static_selectorELNS0_4arch9wavefront6targetE0EEEvS12_.num_agpr, 0
	.set _ZN7rocprim17ROCPRIM_400000_NS6detail17trampoline_kernelINS0_13select_configILj256ELj13ELNS0_17block_load_methodE3ELS4_3ELS4_3ELNS0_20block_scan_algorithmE0ELj4294967295EEENS1_25partition_config_selectorILNS1_17partition_subalgoE4EjNS0_10empty_typeEbEEZZNS1_14partition_implILS8_4ELb0ES6_15HIP_vector_typeIjLj2EENS0_17counting_iteratorIjlEEPS9_SG_NS0_5tupleIJPjSI_NS0_16reverse_iteratorISI_EEEEENSH_IJSG_SG_SG_EEES9_SI_JZNS1_25segmented_radix_sort_implINS0_14default_configELb0EPKaPaPKlPlN2at6native12_GLOBAL__N_18offset_tEEE10hipError_tPvRmT1_PNSt15iterator_traitsIS12_E10value_typeET2_T3_PNS13_IS18_E10value_typeET4_jRbjT5_S1E_jjP12ihipStream_tbEUljE_ZNSN_ISO_Lb0ESQ_SR_ST_SU_SY_EESZ_S10_S11_S12_S16_S17_S18_S1B_S1C_jS1D_jS1E_S1E_jjS1G_bEUljE0_EEESZ_S10_S11_S18_S1C_S1E_T6_T7_T9_mT8_S1G_bDpT10_ENKUlT_T0_E_clISt17integral_constantIbLb1EES1U_EEDaS1P_S1Q_EUlS1P_E_NS1_11comp_targetILNS1_3genE2ELNS1_11target_archE906ELNS1_3gpuE6ELNS1_3repE0EEENS1_30default_config_static_selectorELNS0_4arch9wavefront6targetE0EEEvS12_.numbered_sgpr, 0
	.set _ZN7rocprim17ROCPRIM_400000_NS6detail17trampoline_kernelINS0_13select_configILj256ELj13ELNS0_17block_load_methodE3ELS4_3ELS4_3ELNS0_20block_scan_algorithmE0ELj4294967295EEENS1_25partition_config_selectorILNS1_17partition_subalgoE4EjNS0_10empty_typeEbEEZZNS1_14partition_implILS8_4ELb0ES6_15HIP_vector_typeIjLj2EENS0_17counting_iteratorIjlEEPS9_SG_NS0_5tupleIJPjSI_NS0_16reverse_iteratorISI_EEEEENSH_IJSG_SG_SG_EEES9_SI_JZNS1_25segmented_radix_sort_implINS0_14default_configELb0EPKaPaPKlPlN2at6native12_GLOBAL__N_18offset_tEEE10hipError_tPvRmT1_PNSt15iterator_traitsIS12_E10value_typeET2_T3_PNS13_IS18_E10value_typeET4_jRbjT5_S1E_jjP12ihipStream_tbEUljE_ZNSN_ISO_Lb0ESQ_SR_ST_SU_SY_EESZ_S10_S11_S12_S16_S17_S18_S1B_S1C_jS1D_jS1E_S1E_jjS1G_bEUljE0_EEESZ_S10_S11_S18_S1C_S1E_T6_T7_T9_mT8_S1G_bDpT10_ENKUlT_T0_E_clISt17integral_constantIbLb1EES1U_EEDaS1P_S1Q_EUlS1P_E_NS1_11comp_targetILNS1_3genE2ELNS1_11target_archE906ELNS1_3gpuE6ELNS1_3repE0EEENS1_30default_config_static_selectorELNS0_4arch9wavefront6targetE0EEEvS12_.num_named_barrier, 0
	.set _ZN7rocprim17ROCPRIM_400000_NS6detail17trampoline_kernelINS0_13select_configILj256ELj13ELNS0_17block_load_methodE3ELS4_3ELS4_3ELNS0_20block_scan_algorithmE0ELj4294967295EEENS1_25partition_config_selectorILNS1_17partition_subalgoE4EjNS0_10empty_typeEbEEZZNS1_14partition_implILS8_4ELb0ES6_15HIP_vector_typeIjLj2EENS0_17counting_iteratorIjlEEPS9_SG_NS0_5tupleIJPjSI_NS0_16reverse_iteratorISI_EEEEENSH_IJSG_SG_SG_EEES9_SI_JZNS1_25segmented_radix_sort_implINS0_14default_configELb0EPKaPaPKlPlN2at6native12_GLOBAL__N_18offset_tEEE10hipError_tPvRmT1_PNSt15iterator_traitsIS12_E10value_typeET2_T3_PNS13_IS18_E10value_typeET4_jRbjT5_S1E_jjP12ihipStream_tbEUljE_ZNSN_ISO_Lb0ESQ_SR_ST_SU_SY_EESZ_S10_S11_S12_S16_S17_S18_S1B_S1C_jS1D_jS1E_S1E_jjS1G_bEUljE0_EEESZ_S10_S11_S18_S1C_S1E_T6_T7_T9_mT8_S1G_bDpT10_ENKUlT_T0_E_clISt17integral_constantIbLb1EES1U_EEDaS1P_S1Q_EUlS1P_E_NS1_11comp_targetILNS1_3genE2ELNS1_11target_archE906ELNS1_3gpuE6ELNS1_3repE0EEENS1_30default_config_static_selectorELNS0_4arch9wavefront6targetE0EEEvS12_.private_seg_size, 0
	.set _ZN7rocprim17ROCPRIM_400000_NS6detail17trampoline_kernelINS0_13select_configILj256ELj13ELNS0_17block_load_methodE3ELS4_3ELS4_3ELNS0_20block_scan_algorithmE0ELj4294967295EEENS1_25partition_config_selectorILNS1_17partition_subalgoE4EjNS0_10empty_typeEbEEZZNS1_14partition_implILS8_4ELb0ES6_15HIP_vector_typeIjLj2EENS0_17counting_iteratorIjlEEPS9_SG_NS0_5tupleIJPjSI_NS0_16reverse_iteratorISI_EEEEENSH_IJSG_SG_SG_EEES9_SI_JZNS1_25segmented_radix_sort_implINS0_14default_configELb0EPKaPaPKlPlN2at6native12_GLOBAL__N_18offset_tEEE10hipError_tPvRmT1_PNSt15iterator_traitsIS12_E10value_typeET2_T3_PNS13_IS18_E10value_typeET4_jRbjT5_S1E_jjP12ihipStream_tbEUljE_ZNSN_ISO_Lb0ESQ_SR_ST_SU_SY_EESZ_S10_S11_S12_S16_S17_S18_S1B_S1C_jS1D_jS1E_S1E_jjS1G_bEUljE0_EEESZ_S10_S11_S18_S1C_S1E_T6_T7_T9_mT8_S1G_bDpT10_ENKUlT_T0_E_clISt17integral_constantIbLb1EES1U_EEDaS1P_S1Q_EUlS1P_E_NS1_11comp_targetILNS1_3genE2ELNS1_11target_archE906ELNS1_3gpuE6ELNS1_3repE0EEENS1_30default_config_static_selectorELNS0_4arch9wavefront6targetE0EEEvS12_.uses_vcc, 0
	.set _ZN7rocprim17ROCPRIM_400000_NS6detail17trampoline_kernelINS0_13select_configILj256ELj13ELNS0_17block_load_methodE3ELS4_3ELS4_3ELNS0_20block_scan_algorithmE0ELj4294967295EEENS1_25partition_config_selectorILNS1_17partition_subalgoE4EjNS0_10empty_typeEbEEZZNS1_14partition_implILS8_4ELb0ES6_15HIP_vector_typeIjLj2EENS0_17counting_iteratorIjlEEPS9_SG_NS0_5tupleIJPjSI_NS0_16reverse_iteratorISI_EEEEENSH_IJSG_SG_SG_EEES9_SI_JZNS1_25segmented_radix_sort_implINS0_14default_configELb0EPKaPaPKlPlN2at6native12_GLOBAL__N_18offset_tEEE10hipError_tPvRmT1_PNSt15iterator_traitsIS12_E10value_typeET2_T3_PNS13_IS18_E10value_typeET4_jRbjT5_S1E_jjP12ihipStream_tbEUljE_ZNSN_ISO_Lb0ESQ_SR_ST_SU_SY_EESZ_S10_S11_S12_S16_S17_S18_S1B_S1C_jS1D_jS1E_S1E_jjS1G_bEUljE0_EEESZ_S10_S11_S18_S1C_S1E_T6_T7_T9_mT8_S1G_bDpT10_ENKUlT_T0_E_clISt17integral_constantIbLb1EES1U_EEDaS1P_S1Q_EUlS1P_E_NS1_11comp_targetILNS1_3genE2ELNS1_11target_archE906ELNS1_3gpuE6ELNS1_3repE0EEENS1_30default_config_static_selectorELNS0_4arch9wavefront6targetE0EEEvS12_.uses_flat_scratch, 0
	.set _ZN7rocprim17ROCPRIM_400000_NS6detail17trampoline_kernelINS0_13select_configILj256ELj13ELNS0_17block_load_methodE3ELS4_3ELS4_3ELNS0_20block_scan_algorithmE0ELj4294967295EEENS1_25partition_config_selectorILNS1_17partition_subalgoE4EjNS0_10empty_typeEbEEZZNS1_14partition_implILS8_4ELb0ES6_15HIP_vector_typeIjLj2EENS0_17counting_iteratorIjlEEPS9_SG_NS0_5tupleIJPjSI_NS0_16reverse_iteratorISI_EEEEENSH_IJSG_SG_SG_EEES9_SI_JZNS1_25segmented_radix_sort_implINS0_14default_configELb0EPKaPaPKlPlN2at6native12_GLOBAL__N_18offset_tEEE10hipError_tPvRmT1_PNSt15iterator_traitsIS12_E10value_typeET2_T3_PNS13_IS18_E10value_typeET4_jRbjT5_S1E_jjP12ihipStream_tbEUljE_ZNSN_ISO_Lb0ESQ_SR_ST_SU_SY_EESZ_S10_S11_S12_S16_S17_S18_S1B_S1C_jS1D_jS1E_S1E_jjS1G_bEUljE0_EEESZ_S10_S11_S18_S1C_S1E_T6_T7_T9_mT8_S1G_bDpT10_ENKUlT_T0_E_clISt17integral_constantIbLb1EES1U_EEDaS1P_S1Q_EUlS1P_E_NS1_11comp_targetILNS1_3genE2ELNS1_11target_archE906ELNS1_3gpuE6ELNS1_3repE0EEENS1_30default_config_static_selectorELNS0_4arch9wavefront6targetE0EEEvS12_.has_dyn_sized_stack, 0
	.set _ZN7rocprim17ROCPRIM_400000_NS6detail17trampoline_kernelINS0_13select_configILj256ELj13ELNS0_17block_load_methodE3ELS4_3ELS4_3ELNS0_20block_scan_algorithmE0ELj4294967295EEENS1_25partition_config_selectorILNS1_17partition_subalgoE4EjNS0_10empty_typeEbEEZZNS1_14partition_implILS8_4ELb0ES6_15HIP_vector_typeIjLj2EENS0_17counting_iteratorIjlEEPS9_SG_NS0_5tupleIJPjSI_NS0_16reverse_iteratorISI_EEEEENSH_IJSG_SG_SG_EEES9_SI_JZNS1_25segmented_radix_sort_implINS0_14default_configELb0EPKaPaPKlPlN2at6native12_GLOBAL__N_18offset_tEEE10hipError_tPvRmT1_PNSt15iterator_traitsIS12_E10value_typeET2_T3_PNS13_IS18_E10value_typeET4_jRbjT5_S1E_jjP12ihipStream_tbEUljE_ZNSN_ISO_Lb0ESQ_SR_ST_SU_SY_EESZ_S10_S11_S12_S16_S17_S18_S1B_S1C_jS1D_jS1E_S1E_jjS1G_bEUljE0_EEESZ_S10_S11_S18_S1C_S1E_T6_T7_T9_mT8_S1G_bDpT10_ENKUlT_T0_E_clISt17integral_constantIbLb1EES1U_EEDaS1P_S1Q_EUlS1P_E_NS1_11comp_targetILNS1_3genE2ELNS1_11target_archE906ELNS1_3gpuE6ELNS1_3repE0EEENS1_30default_config_static_selectorELNS0_4arch9wavefront6targetE0EEEvS12_.has_recursion, 0
	.set _ZN7rocprim17ROCPRIM_400000_NS6detail17trampoline_kernelINS0_13select_configILj256ELj13ELNS0_17block_load_methodE3ELS4_3ELS4_3ELNS0_20block_scan_algorithmE0ELj4294967295EEENS1_25partition_config_selectorILNS1_17partition_subalgoE4EjNS0_10empty_typeEbEEZZNS1_14partition_implILS8_4ELb0ES6_15HIP_vector_typeIjLj2EENS0_17counting_iteratorIjlEEPS9_SG_NS0_5tupleIJPjSI_NS0_16reverse_iteratorISI_EEEEENSH_IJSG_SG_SG_EEES9_SI_JZNS1_25segmented_radix_sort_implINS0_14default_configELb0EPKaPaPKlPlN2at6native12_GLOBAL__N_18offset_tEEE10hipError_tPvRmT1_PNSt15iterator_traitsIS12_E10value_typeET2_T3_PNS13_IS18_E10value_typeET4_jRbjT5_S1E_jjP12ihipStream_tbEUljE_ZNSN_ISO_Lb0ESQ_SR_ST_SU_SY_EESZ_S10_S11_S12_S16_S17_S18_S1B_S1C_jS1D_jS1E_S1E_jjS1G_bEUljE0_EEESZ_S10_S11_S18_S1C_S1E_T6_T7_T9_mT8_S1G_bDpT10_ENKUlT_T0_E_clISt17integral_constantIbLb1EES1U_EEDaS1P_S1Q_EUlS1P_E_NS1_11comp_targetILNS1_3genE2ELNS1_11target_archE906ELNS1_3gpuE6ELNS1_3repE0EEENS1_30default_config_static_selectorELNS0_4arch9wavefront6targetE0EEEvS12_.has_indirect_call, 0
	.section	.AMDGPU.csdata,"",@progbits
; Kernel info:
; codeLenInByte = 0
; TotalNumSgprs: 0
; NumVgprs: 0
; ScratchSize: 0
; MemoryBound: 0
; FloatMode: 240
; IeeeMode: 1
; LDSByteSize: 0 bytes/workgroup (compile time only)
; SGPRBlocks: 0
; VGPRBlocks: 0
; NumSGPRsForWavesPerEU: 1
; NumVGPRsForWavesPerEU: 1
; Occupancy: 16
; WaveLimiterHint : 0
; COMPUTE_PGM_RSRC2:SCRATCH_EN: 0
; COMPUTE_PGM_RSRC2:USER_SGPR: 6
; COMPUTE_PGM_RSRC2:TRAP_HANDLER: 0
; COMPUTE_PGM_RSRC2:TGID_X_EN: 1
; COMPUTE_PGM_RSRC2:TGID_Y_EN: 0
; COMPUTE_PGM_RSRC2:TGID_Z_EN: 0
; COMPUTE_PGM_RSRC2:TIDIG_COMP_CNT: 0
	.section	.text._ZN7rocprim17ROCPRIM_400000_NS6detail17trampoline_kernelINS0_13select_configILj256ELj13ELNS0_17block_load_methodE3ELS4_3ELS4_3ELNS0_20block_scan_algorithmE0ELj4294967295EEENS1_25partition_config_selectorILNS1_17partition_subalgoE4EjNS0_10empty_typeEbEEZZNS1_14partition_implILS8_4ELb0ES6_15HIP_vector_typeIjLj2EENS0_17counting_iteratorIjlEEPS9_SG_NS0_5tupleIJPjSI_NS0_16reverse_iteratorISI_EEEEENSH_IJSG_SG_SG_EEES9_SI_JZNS1_25segmented_radix_sort_implINS0_14default_configELb0EPKaPaPKlPlN2at6native12_GLOBAL__N_18offset_tEEE10hipError_tPvRmT1_PNSt15iterator_traitsIS12_E10value_typeET2_T3_PNS13_IS18_E10value_typeET4_jRbjT5_S1E_jjP12ihipStream_tbEUljE_ZNSN_ISO_Lb0ESQ_SR_ST_SU_SY_EESZ_S10_S11_S12_S16_S17_S18_S1B_S1C_jS1D_jS1E_S1E_jjS1G_bEUljE0_EEESZ_S10_S11_S18_S1C_S1E_T6_T7_T9_mT8_S1G_bDpT10_ENKUlT_T0_E_clISt17integral_constantIbLb1EES1U_EEDaS1P_S1Q_EUlS1P_E_NS1_11comp_targetILNS1_3genE10ELNS1_11target_archE1200ELNS1_3gpuE4ELNS1_3repE0EEENS1_30default_config_static_selectorELNS0_4arch9wavefront6targetE0EEEvS12_,"axG",@progbits,_ZN7rocprim17ROCPRIM_400000_NS6detail17trampoline_kernelINS0_13select_configILj256ELj13ELNS0_17block_load_methodE3ELS4_3ELS4_3ELNS0_20block_scan_algorithmE0ELj4294967295EEENS1_25partition_config_selectorILNS1_17partition_subalgoE4EjNS0_10empty_typeEbEEZZNS1_14partition_implILS8_4ELb0ES6_15HIP_vector_typeIjLj2EENS0_17counting_iteratorIjlEEPS9_SG_NS0_5tupleIJPjSI_NS0_16reverse_iteratorISI_EEEEENSH_IJSG_SG_SG_EEES9_SI_JZNS1_25segmented_radix_sort_implINS0_14default_configELb0EPKaPaPKlPlN2at6native12_GLOBAL__N_18offset_tEEE10hipError_tPvRmT1_PNSt15iterator_traitsIS12_E10value_typeET2_T3_PNS13_IS18_E10value_typeET4_jRbjT5_S1E_jjP12ihipStream_tbEUljE_ZNSN_ISO_Lb0ESQ_SR_ST_SU_SY_EESZ_S10_S11_S12_S16_S17_S18_S1B_S1C_jS1D_jS1E_S1E_jjS1G_bEUljE0_EEESZ_S10_S11_S18_S1C_S1E_T6_T7_T9_mT8_S1G_bDpT10_ENKUlT_T0_E_clISt17integral_constantIbLb1EES1U_EEDaS1P_S1Q_EUlS1P_E_NS1_11comp_targetILNS1_3genE10ELNS1_11target_archE1200ELNS1_3gpuE4ELNS1_3repE0EEENS1_30default_config_static_selectorELNS0_4arch9wavefront6targetE0EEEvS12_,comdat
	.globl	_ZN7rocprim17ROCPRIM_400000_NS6detail17trampoline_kernelINS0_13select_configILj256ELj13ELNS0_17block_load_methodE3ELS4_3ELS4_3ELNS0_20block_scan_algorithmE0ELj4294967295EEENS1_25partition_config_selectorILNS1_17partition_subalgoE4EjNS0_10empty_typeEbEEZZNS1_14partition_implILS8_4ELb0ES6_15HIP_vector_typeIjLj2EENS0_17counting_iteratorIjlEEPS9_SG_NS0_5tupleIJPjSI_NS0_16reverse_iteratorISI_EEEEENSH_IJSG_SG_SG_EEES9_SI_JZNS1_25segmented_radix_sort_implINS0_14default_configELb0EPKaPaPKlPlN2at6native12_GLOBAL__N_18offset_tEEE10hipError_tPvRmT1_PNSt15iterator_traitsIS12_E10value_typeET2_T3_PNS13_IS18_E10value_typeET4_jRbjT5_S1E_jjP12ihipStream_tbEUljE_ZNSN_ISO_Lb0ESQ_SR_ST_SU_SY_EESZ_S10_S11_S12_S16_S17_S18_S1B_S1C_jS1D_jS1E_S1E_jjS1G_bEUljE0_EEESZ_S10_S11_S18_S1C_S1E_T6_T7_T9_mT8_S1G_bDpT10_ENKUlT_T0_E_clISt17integral_constantIbLb1EES1U_EEDaS1P_S1Q_EUlS1P_E_NS1_11comp_targetILNS1_3genE10ELNS1_11target_archE1200ELNS1_3gpuE4ELNS1_3repE0EEENS1_30default_config_static_selectorELNS0_4arch9wavefront6targetE0EEEvS12_ ; -- Begin function _ZN7rocprim17ROCPRIM_400000_NS6detail17trampoline_kernelINS0_13select_configILj256ELj13ELNS0_17block_load_methodE3ELS4_3ELS4_3ELNS0_20block_scan_algorithmE0ELj4294967295EEENS1_25partition_config_selectorILNS1_17partition_subalgoE4EjNS0_10empty_typeEbEEZZNS1_14partition_implILS8_4ELb0ES6_15HIP_vector_typeIjLj2EENS0_17counting_iteratorIjlEEPS9_SG_NS0_5tupleIJPjSI_NS0_16reverse_iteratorISI_EEEEENSH_IJSG_SG_SG_EEES9_SI_JZNS1_25segmented_radix_sort_implINS0_14default_configELb0EPKaPaPKlPlN2at6native12_GLOBAL__N_18offset_tEEE10hipError_tPvRmT1_PNSt15iterator_traitsIS12_E10value_typeET2_T3_PNS13_IS18_E10value_typeET4_jRbjT5_S1E_jjP12ihipStream_tbEUljE_ZNSN_ISO_Lb0ESQ_SR_ST_SU_SY_EESZ_S10_S11_S12_S16_S17_S18_S1B_S1C_jS1D_jS1E_S1E_jjS1G_bEUljE0_EEESZ_S10_S11_S18_S1C_S1E_T6_T7_T9_mT8_S1G_bDpT10_ENKUlT_T0_E_clISt17integral_constantIbLb1EES1U_EEDaS1P_S1Q_EUlS1P_E_NS1_11comp_targetILNS1_3genE10ELNS1_11target_archE1200ELNS1_3gpuE4ELNS1_3repE0EEENS1_30default_config_static_selectorELNS0_4arch9wavefront6targetE0EEEvS12_
	.p2align	8
	.type	_ZN7rocprim17ROCPRIM_400000_NS6detail17trampoline_kernelINS0_13select_configILj256ELj13ELNS0_17block_load_methodE3ELS4_3ELS4_3ELNS0_20block_scan_algorithmE0ELj4294967295EEENS1_25partition_config_selectorILNS1_17partition_subalgoE4EjNS0_10empty_typeEbEEZZNS1_14partition_implILS8_4ELb0ES6_15HIP_vector_typeIjLj2EENS0_17counting_iteratorIjlEEPS9_SG_NS0_5tupleIJPjSI_NS0_16reverse_iteratorISI_EEEEENSH_IJSG_SG_SG_EEES9_SI_JZNS1_25segmented_radix_sort_implINS0_14default_configELb0EPKaPaPKlPlN2at6native12_GLOBAL__N_18offset_tEEE10hipError_tPvRmT1_PNSt15iterator_traitsIS12_E10value_typeET2_T3_PNS13_IS18_E10value_typeET4_jRbjT5_S1E_jjP12ihipStream_tbEUljE_ZNSN_ISO_Lb0ESQ_SR_ST_SU_SY_EESZ_S10_S11_S12_S16_S17_S18_S1B_S1C_jS1D_jS1E_S1E_jjS1G_bEUljE0_EEESZ_S10_S11_S18_S1C_S1E_T6_T7_T9_mT8_S1G_bDpT10_ENKUlT_T0_E_clISt17integral_constantIbLb1EES1U_EEDaS1P_S1Q_EUlS1P_E_NS1_11comp_targetILNS1_3genE10ELNS1_11target_archE1200ELNS1_3gpuE4ELNS1_3repE0EEENS1_30default_config_static_selectorELNS0_4arch9wavefront6targetE0EEEvS12_,@function
_ZN7rocprim17ROCPRIM_400000_NS6detail17trampoline_kernelINS0_13select_configILj256ELj13ELNS0_17block_load_methodE3ELS4_3ELS4_3ELNS0_20block_scan_algorithmE0ELj4294967295EEENS1_25partition_config_selectorILNS1_17partition_subalgoE4EjNS0_10empty_typeEbEEZZNS1_14partition_implILS8_4ELb0ES6_15HIP_vector_typeIjLj2EENS0_17counting_iteratorIjlEEPS9_SG_NS0_5tupleIJPjSI_NS0_16reverse_iteratorISI_EEEEENSH_IJSG_SG_SG_EEES9_SI_JZNS1_25segmented_radix_sort_implINS0_14default_configELb0EPKaPaPKlPlN2at6native12_GLOBAL__N_18offset_tEEE10hipError_tPvRmT1_PNSt15iterator_traitsIS12_E10value_typeET2_T3_PNS13_IS18_E10value_typeET4_jRbjT5_S1E_jjP12ihipStream_tbEUljE_ZNSN_ISO_Lb0ESQ_SR_ST_SU_SY_EESZ_S10_S11_S12_S16_S17_S18_S1B_S1C_jS1D_jS1E_S1E_jjS1G_bEUljE0_EEESZ_S10_S11_S18_S1C_S1E_T6_T7_T9_mT8_S1G_bDpT10_ENKUlT_T0_E_clISt17integral_constantIbLb1EES1U_EEDaS1P_S1Q_EUlS1P_E_NS1_11comp_targetILNS1_3genE10ELNS1_11target_archE1200ELNS1_3gpuE4ELNS1_3repE0EEENS1_30default_config_static_selectorELNS0_4arch9wavefront6targetE0EEEvS12_: ; @_ZN7rocprim17ROCPRIM_400000_NS6detail17trampoline_kernelINS0_13select_configILj256ELj13ELNS0_17block_load_methodE3ELS4_3ELS4_3ELNS0_20block_scan_algorithmE0ELj4294967295EEENS1_25partition_config_selectorILNS1_17partition_subalgoE4EjNS0_10empty_typeEbEEZZNS1_14partition_implILS8_4ELb0ES6_15HIP_vector_typeIjLj2EENS0_17counting_iteratorIjlEEPS9_SG_NS0_5tupleIJPjSI_NS0_16reverse_iteratorISI_EEEEENSH_IJSG_SG_SG_EEES9_SI_JZNS1_25segmented_radix_sort_implINS0_14default_configELb0EPKaPaPKlPlN2at6native12_GLOBAL__N_18offset_tEEE10hipError_tPvRmT1_PNSt15iterator_traitsIS12_E10value_typeET2_T3_PNS13_IS18_E10value_typeET4_jRbjT5_S1E_jjP12ihipStream_tbEUljE_ZNSN_ISO_Lb0ESQ_SR_ST_SU_SY_EESZ_S10_S11_S12_S16_S17_S18_S1B_S1C_jS1D_jS1E_S1E_jjS1G_bEUljE0_EEESZ_S10_S11_S18_S1C_S1E_T6_T7_T9_mT8_S1G_bDpT10_ENKUlT_T0_E_clISt17integral_constantIbLb1EES1U_EEDaS1P_S1Q_EUlS1P_E_NS1_11comp_targetILNS1_3genE10ELNS1_11target_archE1200ELNS1_3gpuE4ELNS1_3repE0EEENS1_30default_config_static_selectorELNS0_4arch9wavefront6targetE0EEEvS12_
; %bb.0:
	.section	.rodata,"a",@progbits
	.p2align	6, 0x0
	.amdhsa_kernel _ZN7rocprim17ROCPRIM_400000_NS6detail17trampoline_kernelINS0_13select_configILj256ELj13ELNS0_17block_load_methodE3ELS4_3ELS4_3ELNS0_20block_scan_algorithmE0ELj4294967295EEENS1_25partition_config_selectorILNS1_17partition_subalgoE4EjNS0_10empty_typeEbEEZZNS1_14partition_implILS8_4ELb0ES6_15HIP_vector_typeIjLj2EENS0_17counting_iteratorIjlEEPS9_SG_NS0_5tupleIJPjSI_NS0_16reverse_iteratorISI_EEEEENSH_IJSG_SG_SG_EEES9_SI_JZNS1_25segmented_radix_sort_implINS0_14default_configELb0EPKaPaPKlPlN2at6native12_GLOBAL__N_18offset_tEEE10hipError_tPvRmT1_PNSt15iterator_traitsIS12_E10value_typeET2_T3_PNS13_IS18_E10value_typeET4_jRbjT5_S1E_jjP12ihipStream_tbEUljE_ZNSN_ISO_Lb0ESQ_SR_ST_SU_SY_EESZ_S10_S11_S12_S16_S17_S18_S1B_S1C_jS1D_jS1E_S1E_jjS1G_bEUljE0_EEESZ_S10_S11_S18_S1C_S1E_T6_T7_T9_mT8_S1G_bDpT10_ENKUlT_T0_E_clISt17integral_constantIbLb1EES1U_EEDaS1P_S1Q_EUlS1P_E_NS1_11comp_targetILNS1_3genE10ELNS1_11target_archE1200ELNS1_3gpuE4ELNS1_3repE0EEENS1_30default_config_static_selectorELNS0_4arch9wavefront6targetE0EEEvS12_
		.amdhsa_group_segment_fixed_size 0
		.amdhsa_private_segment_fixed_size 0
		.amdhsa_kernarg_size 184
		.amdhsa_user_sgpr_count 6
		.amdhsa_user_sgpr_private_segment_buffer 1
		.amdhsa_user_sgpr_dispatch_ptr 0
		.amdhsa_user_sgpr_queue_ptr 0
		.amdhsa_user_sgpr_kernarg_segment_ptr 1
		.amdhsa_user_sgpr_dispatch_id 0
		.amdhsa_user_sgpr_flat_scratch_init 0
		.amdhsa_user_sgpr_private_segment_size 0
		.amdhsa_wavefront_size32 1
		.amdhsa_uses_dynamic_stack 0
		.amdhsa_system_sgpr_private_segment_wavefront_offset 0
		.amdhsa_system_sgpr_workgroup_id_x 1
		.amdhsa_system_sgpr_workgroup_id_y 0
		.amdhsa_system_sgpr_workgroup_id_z 0
		.amdhsa_system_sgpr_workgroup_info 0
		.amdhsa_system_vgpr_workitem_id 0
		.amdhsa_next_free_vgpr 1
		.amdhsa_next_free_sgpr 1
		.amdhsa_reserve_vcc 0
		.amdhsa_reserve_flat_scratch 0
		.amdhsa_float_round_mode_32 0
		.amdhsa_float_round_mode_16_64 0
		.amdhsa_float_denorm_mode_32 3
		.amdhsa_float_denorm_mode_16_64 3
		.amdhsa_dx10_clamp 1
		.amdhsa_ieee_mode 1
		.amdhsa_fp16_overflow 0
		.amdhsa_workgroup_processor_mode 1
		.amdhsa_memory_ordered 1
		.amdhsa_forward_progress 1
		.amdhsa_shared_vgpr_count 0
		.amdhsa_exception_fp_ieee_invalid_op 0
		.amdhsa_exception_fp_denorm_src 0
		.amdhsa_exception_fp_ieee_div_zero 0
		.amdhsa_exception_fp_ieee_overflow 0
		.amdhsa_exception_fp_ieee_underflow 0
		.amdhsa_exception_fp_ieee_inexact 0
		.amdhsa_exception_int_div_zero 0
	.end_amdhsa_kernel
	.section	.text._ZN7rocprim17ROCPRIM_400000_NS6detail17trampoline_kernelINS0_13select_configILj256ELj13ELNS0_17block_load_methodE3ELS4_3ELS4_3ELNS0_20block_scan_algorithmE0ELj4294967295EEENS1_25partition_config_selectorILNS1_17partition_subalgoE4EjNS0_10empty_typeEbEEZZNS1_14partition_implILS8_4ELb0ES6_15HIP_vector_typeIjLj2EENS0_17counting_iteratorIjlEEPS9_SG_NS0_5tupleIJPjSI_NS0_16reverse_iteratorISI_EEEEENSH_IJSG_SG_SG_EEES9_SI_JZNS1_25segmented_radix_sort_implINS0_14default_configELb0EPKaPaPKlPlN2at6native12_GLOBAL__N_18offset_tEEE10hipError_tPvRmT1_PNSt15iterator_traitsIS12_E10value_typeET2_T3_PNS13_IS18_E10value_typeET4_jRbjT5_S1E_jjP12ihipStream_tbEUljE_ZNSN_ISO_Lb0ESQ_SR_ST_SU_SY_EESZ_S10_S11_S12_S16_S17_S18_S1B_S1C_jS1D_jS1E_S1E_jjS1G_bEUljE0_EEESZ_S10_S11_S18_S1C_S1E_T6_T7_T9_mT8_S1G_bDpT10_ENKUlT_T0_E_clISt17integral_constantIbLb1EES1U_EEDaS1P_S1Q_EUlS1P_E_NS1_11comp_targetILNS1_3genE10ELNS1_11target_archE1200ELNS1_3gpuE4ELNS1_3repE0EEENS1_30default_config_static_selectorELNS0_4arch9wavefront6targetE0EEEvS12_,"axG",@progbits,_ZN7rocprim17ROCPRIM_400000_NS6detail17trampoline_kernelINS0_13select_configILj256ELj13ELNS0_17block_load_methodE3ELS4_3ELS4_3ELNS0_20block_scan_algorithmE0ELj4294967295EEENS1_25partition_config_selectorILNS1_17partition_subalgoE4EjNS0_10empty_typeEbEEZZNS1_14partition_implILS8_4ELb0ES6_15HIP_vector_typeIjLj2EENS0_17counting_iteratorIjlEEPS9_SG_NS0_5tupleIJPjSI_NS0_16reverse_iteratorISI_EEEEENSH_IJSG_SG_SG_EEES9_SI_JZNS1_25segmented_radix_sort_implINS0_14default_configELb0EPKaPaPKlPlN2at6native12_GLOBAL__N_18offset_tEEE10hipError_tPvRmT1_PNSt15iterator_traitsIS12_E10value_typeET2_T3_PNS13_IS18_E10value_typeET4_jRbjT5_S1E_jjP12ihipStream_tbEUljE_ZNSN_ISO_Lb0ESQ_SR_ST_SU_SY_EESZ_S10_S11_S12_S16_S17_S18_S1B_S1C_jS1D_jS1E_S1E_jjS1G_bEUljE0_EEESZ_S10_S11_S18_S1C_S1E_T6_T7_T9_mT8_S1G_bDpT10_ENKUlT_T0_E_clISt17integral_constantIbLb1EES1U_EEDaS1P_S1Q_EUlS1P_E_NS1_11comp_targetILNS1_3genE10ELNS1_11target_archE1200ELNS1_3gpuE4ELNS1_3repE0EEENS1_30default_config_static_selectorELNS0_4arch9wavefront6targetE0EEEvS12_,comdat
.Lfunc_end339:
	.size	_ZN7rocprim17ROCPRIM_400000_NS6detail17trampoline_kernelINS0_13select_configILj256ELj13ELNS0_17block_load_methodE3ELS4_3ELS4_3ELNS0_20block_scan_algorithmE0ELj4294967295EEENS1_25partition_config_selectorILNS1_17partition_subalgoE4EjNS0_10empty_typeEbEEZZNS1_14partition_implILS8_4ELb0ES6_15HIP_vector_typeIjLj2EENS0_17counting_iteratorIjlEEPS9_SG_NS0_5tupleIJPjSI_NS0_16reverse_iteratorISI_EEEEENSH_IJSG_SG_SG_EEES9_SI_JZNS1_25segmented_radix_sort_implINS0_14default_configELb0EPKaPaPKlPlN2at6native12_GLOBAL__N_18offset_tEEE10hipError_tPvRmT1_PNSt15iterator_traitsIS12_E10value_typeET2_T3_PNS13_IS18_E10value_typeET4_jRbjT5_S1E_jjP12ihipStream_tbEUljE_ZNSN_ISO_Lb0ESQ_SR_ST_SU_SY_EESZ_S10_S11_S12_S16_S17_S18_S1B_S1C_jS1D_jS1E_S1E_jjS1G_bEUljE0_EEESZ_S10_S11_S18_S1C_S1E_T6_T7_T9_mT8_S1G_bDpT10_ENKUlT_T0_E_clISt17integral_constantIbLb1EES1U_EEDaS1P_S1Q_EUlS1P_E_NS1_11comp_targetILNS1_3genE10ELNS1_11target_archE1200ELNS1_3gpuE4ELNS1_3repE0EEENS1_30default_config_static_selectorELNS0_4arch9wavefront6targetE0EEEvS12_, .Lfunc_end339-_ZN7rocprim17ROCPRIM_400000_NS6detail17trampoline_kernelINS0_13select_configILj256ELj13ELNS0_17block_load_methodE3ELS4_3ELS4_3ELNS0_20block_scan_algorithmE0ELj4294967295EEENS1_25partition_config_selectorILNS1_17partition_subalgoE4EjNS0_10empty_typeEbEEZZNS1_14partition_implILS8_4ELb0ES6_15HIP_vector_typeIjLj2EENS0_17counting_iteratorIjlEEPS9_SG_NS0_5tupleIJPjSI_NS0_16reverse_iteratorISI_EEEEENSH_IJSG_SG_SG_EEES9_SI_JZNS1_25segmented_radix_sort_implINS0_14default_configELb0EPKaPaPKlPlN2at6native12_GLOBAL__N_18offset_tEEE10hipError_tPvRmT1_PNSt15iterator_traitsIS12_E10value_typeET2_T3_PNS13_IS18_E10value_typeET4_jRbjT5_S1E_jjP12ihipStream_tbEUljE_ZNSN_ISO_Lb0ESQ_SR_ST_SU_SY_EESZ_S10_S11_S12_S16_S17_S18_S1B_S1C_jS1D_jS1E_S1E_jjS1G_bEUljE0_EEESZ_S10_S11_S18_S1C_S1E_T6_T7_T9_mT8_S1G_bDpT10_ENKUlT_T0_E_clISt17integral_constantIbLb1EES1U_EEDaS1P_S1Q_EUlS1P_E_NS1_11comp_targetILNS1_3genE10ELNS1_11target_archE1200ELNS1_3gpuE4ELNS1_3repE0EEENS1_30default_config_static_selectorELNS0_4arch9wavefront6targetE0EEEvS12_
                                        ; -- End function
	.set _ZN7rocprim17ROCPRIM_400000_NS6detail17trampoline_kernelINS0_13select_configILj256ELj13ELNS0_17block_load_methodE3ELS4_3ELS4_3ELNS0_20block_scan_algorithmE0ELj4294967295EEENS1_25partition_config_selectorILNS1_17partition_subalgoE4EjNS0_10empty_typeEbEEZZNS1_14partition_implILS8_4ELb0ES6_15HIP_vector_typeIjLj2EENS0_17counting_iteratorIjlEEPS9_SG_NS0_5tupleIJPjSI_NS0_16reverse_iteratorISI_EEEEENSH_IJSG_SG_SG_EEES9_SI_JZNS1_25segmented_radix_sort_implINS0_14default_configELb0EPKaPaPKlPlN2at6native12_GLOBAL__N_18offset_tEEE10hipError_tPvRmT1_PNSt15iterator_traitsIS12_E10value_typeET2_T3_PNS13_IS18_E10value_typeET4_jRbjT5_S1E_jjP12ihipStream_tbEUljE_ZNSN_ISO_Lb0ESQ_SR_ST_SU_SY_EESZ_S10_S11_S12_S16_S17_S18_S1B_S1C_jS1D_jS1E_S1E_jjS1G_bEUljE0_EEESZ_S10_S11_S18_S1C_S1E_T6_T7_T9_mT8_S1G_bDpT10_ENKUlT_T0_E_clISt17integral_constantIbLb1EES1U_EEDaS1P_S1Q_EUlS1P_E_NS1_11comp_targetILNS1_3genE10ELNS1_11target_archE1200ELNS1_3gpuE4ELNS1_3repE0EEENS1_30default_config_static_selectorELNS0_4arch9wavefront6targetE0EEEvS12_.num_vgpr, 0
	.set _ZN7rocprim17ROCPRIM_400000_NS6detail17trampoline_kernelINS0_13select_configILj256ELj13ELNS0_17block_load_methodE3ELS4_3ELS4_3ELNS0_20block_scan_algorithmE0ELj4294967295EEENS1_25partition_config_selectorILNS1_17partition_subalgoE4EjNS0_10empty_typeEbEEZZNS1_14partition_implILS8_4ELb0ES6_15HIP_vector_typeIjLj2EENS0_17counting_iteratorIjlEEPS9_SG_NS0_5tupleIJPjSI_NS0_16reverse_iteratorISI_EEEEENSH_IJSG_SG_SG_EEES9_SI_JZNS1_25segmented_radix_sort_implINS0_14default_configELb0EPKaPaPKlPlN2at6native12_GLOBAL__N_18offset_tEEE10hipError_tPvRmT1_PNSt15iterator_traitsIS12_E10value_typeET2_T3_PNS13_IS18_E10value_typeET4_jRbjT5_S1E_jjP12ihipStream_tbEUljE_ZNSN_ISO_Lb0ESQ_SR_ST_SU_SY_EESZ_S10_S11_S12_S16_S17_S18_S1B_S1C_jS1D_jS1E_S1E_jjS1G_bEUljE0_EEESZ_S10_S11_S18_S1C_S1E_T6_T7_T9_mT8_S1G_bDpT10_ENKUlT_T0_E_clISt17integral_constantIbLb1EES1U_EEDaS1P_S1Q_EUlS1P_E_NS1_11comp_targetILNS1_3genE10ELNS1_11target_archE1200ELNS1_3gpuE4ELNS1_3repE0EEENS1_30default_config_static_selectorELNS0_4arch9wavefront6targetE0EEEvS12_.num_agpr, 0
	.set _ZN7rocprim17ROCPRIM_400000_NS6detail17trampoline_kernelINS0_13select_configILj256ELj13ELNS0_17block_load_methodE3ELS4_3ELS4_3ELNS0_20block_scan_algorithmE0ELj4294967295EEENS1_25partition_config_selectorILNS1_17partition_subalgoE4EjNS0_10empty_typeEbEEZZNS1_14partition_implILS8_4ELb0ES6_15HIP_vector_typeIjLj2EENS0_17counting_iteratorIjlEEPS9_SG_NS0_5tupleIJPjSI_NS0_16reverse_iteratorISI_EEEEENSH_IJSG_SG_SG_EEES9_SI_JZNS1_25segmented_radix_sort_implINS0_14default_configELb0EPKaPaPKlPlN2at6native12_GLOBAL__N_18offset_tEEE10hipError_tPvRmT1_PNSt15iterator_traitsIS12_E10value_typeET2_T3_PNS13_IS18_E10value_typeET4_jRbjT5_S1E_jjP12ihipStream_tbEUljE_ZNSN_ISO_Lb0ESQ_SR_ST_SU_SY_EESZ_S10_S11_S12_S16_S17_S18_S1B_S1C_jS1D_jS1E_S1E_jjS1G_bEUljE0_EEESZ_S10_S11_S18_S1C_S1E_T6_T7_T9_mT8_S1G_bDpT10_ENKUlT_T0_E_clISt17integral_constantIbLb1EES1U_EEDaS1P_S1Q_EUlS1P_E_NS1_11comp_targetILNS1_3genE10ELNS1_11target_archE1200ELNS1_3gpuE4ELNS1_3repE0EEENS1_30default_config_static_selectorELNS0_4arch9wavefront6targetE0EEEvS12_.numbered_sgpr, 0
	.set _ZN7rocprim17ROCPRIM_400000_NS6detail17trampoline_kernelINS0_13select_configILj256ELj13ELNS0_17block_load_methodE3ELS4_3ELS4_3ELNS0_20block_scan_algorithmE0ELj4294967295EEENS1_25partition_config_selectorILNS1_17partition_subalgoE4EjNS0_10empty_typeEbEEZZNS1_14partition_implILS8_4ELb0ES6_15HIP_vector_typeIjLj2EENS0_17counting_iteratorIjlEEPS9_SG_NS0_5tupleIJPjSI_NS0_16reverse_iteratorISI_EEEEENSH_IJSG_SG_SG_EEES9_SI_JZNS1_25segmented_radix_sort_implINS0_14default_configELb0EPKaPaPKlPlN2at6native12_GLOBAL__N_18offset_tEEE10hipError_tPvRmT1_PNSt15iterator_traitsIS12_E10value_typeET2_T3_PNS13_IS18_E10value_typeET4_jRbjT5_S1E_jjP12ihipStream_tbEUljE_ZNSN_ISO_Lb0ESQ_SR_ST_SU_SY_EESZ_S10_S11_S12_S16_S17_S18_S1B_S1C_jS1D_jS1E_S1E_jjS1G_bEUljE0_EEESZ_S10_S11_S18_S1C_S1E_T6_T7_T9_mT8_S1G_bDpT10_ENKUlT_T0_E_clISt17integral_constantIbLb1EES1U_EEDaS1P_S1Q_EUlS1P_E_NS1_11comp_targetILNS1_3genE10ELNS1_11target_archE1200ELNS1_3gpuE4ELNS1_3repE0EEENS1_30default_config_static_selectorELNS0_4arch9wavefront6targetE0EEEvS12_.num_named_barrier, 0
	.set _ZN7rocprim17ROCPRIM_400000_NS6detail17trampoline_kernelINS0_13select_configILj256ELj13ELNS0_17block_load_methodE3ELS4_3ELS4_3ELNS0_20block_scan_algorithmE0ELj4294967295EEENS1_25partition_config_selectorILNS1_17partition_subalgoE4EjNS0_10empty_typeEbEEZZNS1_14partition_implILS8_4ELb0ES6_15HIP_vector_typeIjLj2EENS0_17counting_iteratorIjlEEPS9_SG_NS0_5tupleIJPjSI_NS0_16reverse_iteratorISI_EEEEENSH_IJSG_SG_SG_EEES9_SI_JZNS1_25segmented_radix_sort_implINS0_14default_configELb0EPKaPaPKlPlN2at6native12_GLOBAL__N_18offset_tEEE10hipError_tPvRmT1_PNSt15iterator_traitsIS12_E10value_typeET2_T3_PNS13_IS18_E10value_typeET4_jRbjT5_S1E_jjP12ihipStream_tbEUljE_ZNSN_ISO_Lb0ESQ_SR_ST_SU_SY_EESZ_S10_S11_S12_S16_S17_S18_S1B_S1C_jS1D_jS1E_S1E_jjS1G_bEUljE0_EEESZ_S10_S11_S18_S1C_S1E_T6_T7_T9_mT8_S1G_bDpT10_ENKUlT_T0_E_clISt17integral_constantIbLb1EES1U_EEDaS1P_S1Q_EUlS1P_E_NS1_11comp_targetILNS1_3genE10ELNS1_11target_archE1200ELNS1_3gpuE4ELNS1_3repE0EEENS1_30default_config_static_selectorELNS0_4arch9wavefront6targetE0EEEvS12_.private_seg_size, 0
	.set _ZN7rocprim17ROCPRIM_400000_NS6detail17trampoline_kernelINS0_13select_configILj256ELj13ELNS0_17block_load_methodE3ELS4_3ELS4_3ELNS0_20block_scan_algorithmE0ELj4294967295EEENS1_25partition_config_selectorILNS1_17partition_subalgoE4EjNS0_10empty_typeEbEEZZNS1_14partition_implILS8_4ELb0ES6_15HIP_vector_typeIjLj2EENS0_17counting_iteratorIjlEEPS9_SG_NS0_5tupleIJPjSI_NS0_16reverse_iteratorISI_EEEEENSH_IJSG_SG_SG_EEES9_SI_JZNS1_25segmented_radix_sort_implINS0_14default_configELb0EPKaPaPKlPlN2at6native12_GLOBAL__N_18offset_tEEE10hipError_tPvRmT1_PNSt15iterator_traitsIS12_E10value_typeET2_T3_PNS13_IS18_E10value_typeET4_jRbjT5_S1E_jjP12ihipStream_tbEUljE_ZNSN_ISO_Lb0ESQ_SR_ST_SU_SY_EESZ_S10_S11_S12_S16_S17_S18_S1B_S1C_jS1D_jS1E_S1E_jjS1G_bEUljE0_EEESZ_S10_S11_S18_S1C_S1E_T6_T7_T9_mT8_S1G_bDpT10_ENKUlT_T0_E_clISt17integral_constantIbLb1EES1U_EEDaS1P_S1Q_EUlS1P_E_NS1_11comp_targetILNS1_3genE10ELNS1_11target_archE1200ELNS1_3gpuE4ELNS1_3repE0EEENS1_30default_config_static_selectorELNS0_4arch9wavefront6targetE0EEEvS12_.uses_vcc, 0
	.set _ZN7rocprim17ROCPRIM_400000_NS6detail17trampoline_kernelINS0_13select_configILj256ELj13ELNS0_17block_load_methodE3ELS4_3ELS4_3ELNS0_20block_scan_algorithmE0ELj4294967295EEENS1_25partition_config_selectorILNS1_17partition_subalgoE4EjNS0_10empty_typeEbEEZZNS1_14partition_implILS8_4ELb0ES6_15HIP_vector_typeIjLj2EENS0_17counting_iteratorIjlEEPS9_SG_NS0_5tupleIJPjSI_NS0_16reverse_iteratorISI_EEEEENSH_IJSG_SG_SG_EEES9_SI_JZNS1_25segmented_radix_sort_implINS0_14default_configELb0EPKaPaPKlPlN2at6native12_GLOBAL__N_18offset_tEEE10hipError_tPvRmT1_PNSt15iterator_traitsIS12_E10value_typeET2_T3_PNS13_IS18_E10value_typeET4_jRbjT5_S1E_jjP12ihipStream_tbEUljE_ZNSN_ISO_Lb0ESQ_SR_ST_SU_SY_EESZ_S10_S11_S12_S16_S17_S18_S1B_S1C_jS1D_jS1E_S1E_jjS1G_bEUljE0_EEESZ_S10_S11_S18_S1C_S1E_T6_T7_T9_mT8_S1G_bDpT10_ENKUlT_T0_E_clISt17integral_constantIbLb1EES1U_EEDaS1P_S1Q_EUlS1P_E_NS1_11comp_targetILNS1_3genE10ELNS1_11target_archE1200ELNS1_3gpuE4ELNS1_3repE0EEENS1_30default_config_static_selectorELNS0_4arch9wavefront6targetE0EEEvS12_.uses_flat_scratch, 0
	.set _ZN7rocprim17ROCPRIM_400000_NS6detail17trampoline_kernelINS0_13select_configILj256ELj13ELNS0_17block_load_methodE3ELS4_3ELS4_3ELNS0_20block_scan_algorithmE0ELj4294967295EEENS1_25partition_config_selectorILNS1_17partition_subalgoE4EjNS0_10empty_typeEbEEZZNS1_14partition_implILS8_4ELb0ES6_15HIP_vector_typeIjLj2EENS0_17counting_iteratorIjlEEPS9_SG_NS0_5tupleIJPjSI_NS0_16reverse_iteratorISI_EEEEENSH_IJSG_SG_SG_EEES9_SI_JZNS1_25segmented_radix_sort_implINS0_14default_configELb0EPKaPaPKlPlN2at6native12_GLOBAL__N_18offset_tEEE10hipError_tPvRmT1_PNSt15iterator_traitsIS12_E10value_typeET2_T3_PNS13_IS18_E10value_typeET4_jRbjT5_S1E_jjP12ihipStream_tbEUljE_ZNSN_ISO_Lb0ESQ_SR_ST_SU_SY_EESZ_S10_S11_S12_S16_S17_S18_S1B_S1C_jS1D_jS1E_S1E_jjS1G_bEUljE0_EEESZ_S10_S11_S18_S1C_S1E_T6_T7_T9_mT8_S1G_bDpT10_ENKUlT_T0_E_clISt17integral_constantIbLb1EES1U_EEDaS1P_S1Q_EUlS1P_E_NS1_11comp_targetILNS1_3genE10ELNS1_11target_archE1200ELNS1_3gpuE4ELNS1_3repE0EEENS1_30default_config_static_selectorELNS0_4arch9wavefront6targetE0EEEvS12_.has_dyn_sized_stack, 0
	.set _ZN7rocprim17ROCPRIM_400000_NS6detail17trampoline_kernelINS0_13select_configILj256ELj13ELNS0_17block_load_methodE3ELS4_3ELS4_3ELNS0_20block_scan_algorithmE0ELj4294967295EEENS1_25partition_config_selectorILNS1_17partition_subalgoE4EjNS0_10empty_typeEbEEZZNS1_14partition_implILS8_4ELb0ES6_15HIP_vector_typeIjLj2EENS0_17counting_iteratorIjlEEPS9_SG_NS0_5tupleIJPjSI_NS0_16reverse_iteratorISI_EEEEENSH_IJSG_SG_SG_EEES9_SI_JZNS1_25segmented_radix_sort_implINS0_14default_configELb0EPKaPaPKlPlN2at6native12_GLOBAL__N_18offset_tEEE10hipError_tPvRmT1_PNSt15iterator_traitsIS12_E10value_typeET2_T3_PNS13_IS18_E10value_typeET4_jRbjT5_S1E_jjP12ihipStream_tbEUljE_ZNSN_ISO_Lb0ESQ_SR_ST_SU_SY_EESZ_S10_S11_S12_S16_S17_S18_S1B_S1C_jS1D_jS1E_S1E_jjS1G_bEUljE0_EEESZ_S10_S11_S18_S1C_S1E_T6_T7_T9_mT8_S1G_bDpT10_ENKUlT_T0_E_clISt17integral_constantIbLb1EES1U_EEDaS1P_S1Q_EUlS1P_E_NS1_11comp_targetILNS1_3genE10ELNS1_11target_archE1200ELNS1_3gpuE4ELNS1_3repE0EEENS1_30default_config_static_selectorELNS0_4arch9wavefront6targetE0EEEvS12_.has_recursion, 0
	.set _ZN7rocprim17ROCPRIM_400000_NS6detail17trampoline_kernelINS0_13select_configILj256ELj13ELNS0_17block_load_methodE3ELS4_3ELS4_3ELNS0_20block_scan_algorithmE0ELj4294967295EEENS1_25partition_config_selectorILNS1_17partition_subalgoE4EjNS0_10empty_typeEbEEZZNS1_14partition_implILS8_4ELb0ES6_15HIP_vector_typeIjLj2EENS0_17counting_iteratorIjlEEPS9_SG_NS0_5tupleIJPjSI_NS0_16reverse_iteratorISI_EEEEENSH_IJSG_SG_SG_EEES9_SI_JZNS1_25segmented_radix_sort_implINS0_14default_configELb0EPKaPaPKlPlN2at6native12_GLOBAL__N_18offset_tEEE10hipError_tPvRmT1_PNSt15iterator_traitsIS12_E10value_typeET2_T3_PNS13_IS18_E10value_typeET4_jRbjT5_S1E_jjP12ihipStream_tbEUljE_ZNSN_ISO_Lb0ESQ_SR_ST_SU_SY_EESZ_S10_S11_S12_S16_S17_S18_S1B_S1C_jS1D_jS1E_S1E_jjS1G_bEUljE0_EEESZ_S10_S11_S18_S1C_S1E_T6_T7_T9_mT8_S1G_bDpT10_ENKUlT_T0_E_clISt17integral_constantIbLb1EES1U_EEDaS1P_S1Q_EUlS1P_E_NS1_11comp_targetILNS1_3genE10ELNS1_11target_archE1200ELNS1_3gpuE4ELNS1_3repE0EEENS1_30default_config_static_selectorELNS0_4arch9wavefront6targetE0EEEvS12_.has_indirect_call, 0
	.section	.AMDGPU.csdata,"",@progbits
; Kernel info:
; codeLenInByte = 0
; TotalNumSgprs: 0
; NumVgprs: 0
; ScratchSize: 0
; MemoryBound: 0
; FloatMode: 240
; IeeeMode: 1
; LDSByteSize: 0 bytes/workgroup (compile time only)
; SGPRBlocks: 0
; VGPRBlocks: 0
; NumSGPRsForWavesPerEU: 1
; NumVGPRsForWavesPerEU: 1
; Occupancy: 16
; WaveLimiterHint : 0
; COMPUTE_PGM_RSRC2:SCRATCH_EN: 0
; COMPUTE_PGM_RSRC2:USER_SGPR: 6
; COMPUTE_PGM_RSRC2:TRAP_HANDLER: 0
; COMPUTE_PGM_RSRC2:TGID_X_EN: 1
; COMPUTE_PGM_RSRC2:TGID_Y_EN: 0
; COMPUTE_PGM_RSRC2:TGID_Z_EN: 0
; COMPUTE_PGM_RSRC2:TIDIG_COMP_CNT: 0
	.section	.text._ZN7rocprim17ROCPRIM_400000_NS6detail17trampoline_kernelINS0_13select_configILj256ELj13ELNS0_17block_load_methodE3ELS4_3ELS4_3ELNS0_20block_scan_algorithmE0ELj4294967295EEENS1_25partition_config_selectorILNS1_17partition_subalgoE4EjNS0_10empty_typeEbEEZZNS1_14partition_implILS8_4ELb0ES6_15HIP_vector_typeIjLj2EENS0_17counting_iteratorIjlEEPS9_SG_NS0_5tupleIJPjSI_NS0_16reverse_iteratorISI_EEEEENSH_IJSG_SG_SG_EEES9_SI_JZNS1_25segmented_radix_sort_implINS0_14default_configELb0EPKaPaPKlPlN2at6native12_GLOBAL__N_18offset_tEEE10hipError_tPvRmT1_PNSt15iterator_traitsIS12_E10value_typeET2_T3_PNS13_IS18_E10value_typeET4_jRbjT5_S1E_jjP12ihipStream_tbEUljE_ZNSN_ISO_Lb0ESQ_SR_ST_SU_SY_EESZ_S10_S11_S12_S16_S17_S18_S1B_S1C_jS1D_jS1E_S1E_jjS1G_bEUljE0_EEESZ_S10_S11_S18_S1C_S1E_T6_T7_T9_mT8_S1G_bDpT10_ENKUlT_T0_E_clISt17integral_constantIbLb1EES1U_EEDaS1P_S1Q_EUlS1P_E_NS1_11comp_targetILNS1_3genE9ELNS1_11target_archE1100ELNS1_3gpuE3ELNS1_3repE0EEENS1_30default_config_static_selectorELNS0_4arch9wavefront6targetE0EEEvS12_,"axG",@progbits,_ZN7rocprim17ROCPRIM_400000_NS6detail17trampoline_kernelINS0_13select_configILj256ELj13ELNS0_17block_load_methodE3ELS4_3ELS4_3ELNS0_20block_scan_algorithmE0ELj4294967295EEENS1_25partition_config_selectorILNS1_17partition_subalgoE4EjNS0_10empty_typeEbEEZZNS1_14partition_implILS8_4ELb0ES6_15HIP_vector_typeIjLj2EENS0_17counting_iteratorIjlEEPS9_SG_NS0_5tupleIJPjSI_NS0_16reverse_iteratorISI_EEEEENSH_IJSG_SG_SG_EEES9_SI_JZNS1_25segmented_radix_sort_implINS0_14default_configELb0EPKaPaPKlPlN2at6native12_GLOBAL__N_18offset_tEEE10hipError_tPvRmT1_PNSt15iterator_traitsIS12_E10value_typeET2_T3_PNS13_IS18_E10value_typeET4_jRbjT5_S1E_jjP12ihipStream_tbEUljE_ZNSN_ISO_Lb0ESQ_SR_ST_SU_SY_EESZ_S10_S11_S12_S16_S17_S18_S1B_S1C_jS1D_jS1E_S1E_jjS1G_bEUljE0_EEESZ_S10_S11_S18_S1C_S1E_T6_T7_T9_mT8_S1G_bDpT10_ENKUlT_T0_E_clISt17integral_constantIbLb1EES1U_EEDaS1P_S1Q_EUlS1P_E_NS1_11comp_targetILNS1_3genE9ELNS1_11target_archE1100ELNS1_3gpuE3ELNS1_3repE0EEENS1_30default_config_static_selectorELNS0_4arch9wavefront6targetE0EEEvS12_,comdat
	.globl	_ZN7rocprim17ROCPRIM_400000_NS6detail17trampoline_kernelINS0_13select_configILj256ELj13ELNS0_17block_load_methodE3ELS4_3ELS4_3ELNS0_20block_scan_algorithmE0ELj4294967295EEENS1_25partition_config_selectorILNS1_17partition_subalgoE4EjNS0_10empty_typeEbEEZZNS1_14partition_implILS8_4ELb0ES6_15HIP_vector_typeIjLj2EENS0_17counting_iteratorIjlEEPS9_SG_NS0_5tupleIJPjSI_NS0_16reverse_iteratorISI_EEEEENSH_IJSG_SG_SG_EEES9_SI_JZNS1_25segmented_radix_sort_implINS0_14default_configELb0EPKaPaPKlPlN2at6native12_GLOBAL__N_18offset_tEEE10hipError_tPvRmT1_PNSt15iterator_traitsIS12_E10value_typeET2_T3_PNS13_IS18_E10value_typeET4_jRbjT5_S1E_jjP12ihipStream_tbEUljE_ZNSN_ISO_Lb0ESQ_SR_ST_SU_SY_EESZ_S10_S11_S12_S16_S17_S18_S1B_S1C_jS1D_jS1E_S1E_jjS1G_bEUljE0_EEESZ_S10_S11_S18_S1C_S1E_T6_T7_T9_mT8_S1G_bDpT10_ENKUlT_T0_E_clISt17integral_constantIbLb1EES1U_EEDaS1P_S1Q_EUlS1P_E_NS1_11comp_targetILNS1_3genE9ELNS1_11target_archE1100ELNS1_3gpuE3ELNS1_3repE0EEENS1_30default_config_static_selectorELNS0_4arch9wavefront6targetE0EEEvS12_ ; -- Begin function _ZN7rocprim17ROCPRIM_400000_NS6detail17trampoline_kernelINS0_13select_configILj256ELj13ELNS0_17block_load_methodE3ELS4_3ELS4_3ELNS0_20block_scan_algorithmE0ELj4294967295EEENS1_25partition_config_selectorILNS1_17partition_subalgoE4EjNS0_10empty_typeEbEEZZNS1_14partition_implILS8_4ELb0ES6_15HIP_vector_typeIjLj2EENS0_17counting_iteratorIjlEEPS9_SG_NS0_5tupleIJPjSI_NS0_16reverse_iteratorISI_EEEEENSH_IJSG_SG_SG_EEES9_SI_JZNS1_25segmented_radix_sort_implINS0_14default_configELb0EPKaPaPKlPlN2at6native12_GLOBAL__N_18offset_tEEE10hipError_tPvRmT1_PNSt15iterator_traitsIS12_E10value_typeET2_T3_PNS13_IS18_E10value_typeET4_jRbjT5_S1E_jjP12ihipStream_tbEUljE_ZNSN_ISO_Lb0ESQ_SR_ST_SU_SY_EESZ_S10_S11_S12_S16_S17_S18_S1B_S1C_jS1D_jS1E_S1E_jjS1G_bEUljE0_EEESZ_S10_S11_S18_S1C_S1E_T6_T7_T9_mT8_S1G_bDpT10_ENKUlT_T0_E_clISt17integral_constantIbLb1EES1U_EEDaS1P_S1Q_EUlS1P_E_NS1_11comp_targetILNS1_3genE9ELNS1_11target_archE1100ELNS1_3gpuE3ELNS1_3repE0EEENS1_30default_config_static_selectorELNS0_4arch9wavefront6targetE0EEEvS12_
	.p2align	8
	.type	_ZN7rocprim17ROCPRIM_400000_NS6detail17trampoline_kernelINS0_13select_configILj256ELj13ELNS0_17block_load_methodE3ELS4_3ELS4_3ELNS0_20block_scan_algorithmE0ELj4294967295EEENS1_25partition_config_selectorILNS1_17partition_subalgoE4EjNS0_10empty_typeEbEEZZNS1_14partition_implILS8_4ELb0ES6_15HIP_vector_typeIjLj2EENS0_17counting_iteratorIjlEEPS9_SG_NS0_5tupleIJPjSI_NS0_16reverse_iteratorISI_EEEEENSH_IJSG_SG_SG_EEES9_SI_JZNS1_25segmented_radix_sort_implINS0_14default_configELb0EPKaPaPKlPlN2at6native12_GLOBAL__N_18offset_tEEE10hipError_tPvRmT1_PNSt15iterator_traitsIS12_E10value_typeET2_T3_PNS13_IS18_E10value_typeET4_jRbjT5_S1E_jjP12ihipStream_tbEUljE_ZNSN_ISO_Lb0ESQ_SR_ST_SU_SY_EESZ_S10_S11_S12_S16_S17_S18_S1B_S1C_jS1D_jS1E_S1E_jjS1G_bEUljE0_EEESZ_S10_S11_S18_S1C_S1E_T6_T7_T9_mT8_S1G_bDpT10_ENKUlT_T0_E_clISt17integral_constantIbLb1EES1U_EEDaS1P_S1Q_EUlS1P_E_NS1_11comp_targetILNS1_3genE9ELNS1_11target_archE1100ELNS1_3gpuE3ELNS1_3repE0EEENS1_30default_config_static_selectorELNS0_4arch9wavefront6targetE0EEEvS12_,@function
_ZN7rocprim17ROCPRIM_400000_NS6detail17trampoline_kernelINS0_13select_configILj256ELj13ELNS0_17block_load_methodE3ELS4_3ELS4_3ELNS0_20block_scan_algorithmE0ELj4294967295EEENS1_25partition_config_selectorILNS1_17partition_subalgoE4EjNS0_10empty_typeEbEEZZNS1_14partition_implILS8_4ELb0ES6_15HIP_vector_typeIjLj2EENS0_17counting_iteratorIjlEEPS9_SG_NS0_5tupleIJPjSI_NS0_16reverse_iteratorISI_EEEEENSH_IJSG_SG_SG_EEES9_SI_JZNS1_25segmented_radix_sort_implINS0_14default_configELb0EPKaPaPKlPlN2at6native12_GLOBAL__N_18offset_tEEE10hipError_tPvRmT1_PNSt15iterator_traitsIS12_E10value_typeET2_T3_PNS13_IS18_E10value_typeET4_jRbjT5_S1E_jjP12ihipStream_tbEUljE_ZNSN_ISO_Lb0ESQ_SR_ST_SU_SY_EESZ_S10_S11_S12_S16_S17_S18_S1B_S1C_jS1D_jS1E_S1E_jjS1G_bEUljE0_EEESZ_S10_S11_S18_S1C_S1E_T6_T7_T9_mT8_S1G_bDpT10_ENKUlT_T0_E_clISt17integral_constantIbLb1EES1U_EEDaS1P_S1Q_EUlS1P_E_NS1_11comp_targetILNS1_3genE9ELNS1_11target_archE1100ELNS1_3gpuE3ELNS1_3repE0EEENS1_30default_config_static_selectorELNS0_4arch9wavefront6targetE0EEEvS12_: ; @_ZN7rocprim17ROCPRIM_400000_NS6detail17trampoline_kernelINS0_13select_configILj256ELj13ELNS0_17block_load_methodE3ELS4_3ELS4_3ELNS0_20block_scan_algorithmE0ELj4294967295EEENS1_25partition_config_selectorILNS1_17partition_subalgoE4EjNS0_10empty_typeEbEEZZNS1_14partition_implILS8_4ELb0ES6_15HIP_vector_typeIjLj2EENS0_17counting_iteratorIjlEEPS9_SG_NS0_5tupleIJPjSI_NS0_16reverse_iteratorISI_EEEEENSH_IJSG_SG_SG_EEES9_SI_JZNS1_25segmented_radix_sort_implINS0_14default_configELb0EPKaPaPKlPlN2at6native12_GLOBAL__N_18offset_tEEE10hipError_tPvRmT1_PNSt15iterator_traitsIS12_E10value_typeET2_T3_PNS13_IS18_E10value_typeET4_jRbjT5_S1E_jjP12ihipStream_tbEUljE_ZNSN_ISO_Lb0ESQ_SR_ST_SU_SY_EESZ_S10_S11_S12_S16_S17_S18_S1B_S1C_jS1D_jS1E_S1E_jjS1G_bEUljE0_EEESZ_S10_S11_S18_S1C_S1E_T6_T7_T9_mT8_S1G_bDpT10_ENKUlT_T0_E_clISt17integral_constantIbLb1EES1U_EEDaS1P_S1Q_EUlS1P_E_NS1_11comp_targetILNS1_3genE9ELNS1_11target_archE1100ELNS1_3gpuE3ELNS1_3repE0EEENS1_30default_config_static_selectorELNS0_4arch9wavefront6targetE0EEEvS12_
; %bb.0:
	.section	.rodata,"a",@progbits
	.p2align	6, 0x0
	.amdhsa_kernel _ZN7rocprim17ROCPRIM_400000_NS6detail17trampoline_kernelINS0_13select_configILj256ELj13ELNS0_17block_load_methodE3ELS4_3ELS4_3ELNS0_20block_scan_algorithmE0ELj4294967295EEENS1_25partition_config_selectorILNS1_17partition_subalgoE4EjNS0_10empty_typeEbEEZZNS1_14partition_implILS8_4ELb0ES6_15HIP_vector_typeIjLj2EENS0_17counting_iteratorIjlEEPS9_SG_NS0_5tupleIJPjSI_NS0_16reverse_iteratorISI_EEEEENSH_IJSG_SG_SG_EEES9_SI_JZNS1_25segmented_radix_sort_implINS0_14default_configELb0EPKaPaPKlPlN2at6native12_GLOBAL__N_18offset_tEEE10hipError_tPvRmT1_PNSt15iterator_traitsIS12_E10value_typeET2_T3_PNS13_IS18_E10value_typeET4_jRbjT5_S1E_jjP12ihipStream_tbEUljE_ZNSN_ISO_Lb0ESQ_SR_ST_SU_SY_EESZ_S10_S11_S12_S16_S17_S18_S1B_S1C_jS1D_jS1E_S1E_jjS1G_bEUljE0_EEESZ_S10_S11_S18_S1C_S1E_T6_T7_T9_mT8_S1G_bDpT10_ENKUlT_T0_E_clISt17integral_constantIbLb1EES1U_EEDaS1P_S1Q_EUlS1P_E_NS1_11comp_targetILNS1_3genE9ELNS1_11target_archE1100ELNS1_3gpuE3ELNS1_3repE0EEENS1_30default_config_static_selectorELNS0_4arch9wavefront6targetE0EEEvS12_
		.amdhsa_group_segment_fixed_size 0
		.amdhsa_private_segment_fixed_size 0
		.amdhsa_kernarg_size 184
		.amdhsa_user_sgpr_count 6
		.amdhsa_user_sgpr_private_segment_buffer 1
		.amdhsa_user_sgpr_dispatch_ptr 0
		.amdhsa_user_sgpr_queue_ptr 0
		.amdhsa_user_sgpr_kernarg_segment_ptr 1
		.amdhsa_user_sgpr_dispatch_id 0
		.amdhsa_user_sgpr_flat_scratch_init 0
		.amdhsa_user_sgpr_private_segment_size 0
		.amdhsa_wavefront_size32 1
		.amdhsa_uses_dynamic_stack 0
		.amdhsa_system_sgpr_private_segment_wavefront_offset 0
		.amdhsa_system_sgpr_workgroup_id_x 1
		.amdhsa_system_sgpr_workgroup_id_y 0
		.amdhsa_system_sgpr_workgroup_id_z 0
		.amdhsa_system_sgpr_workgroup_info 0
		.amdhsa_system_vgpr_workitem_id 0
		.amdhsa_next_free_vgpr 1
		.amdhsa_next_free_sgpr 1
		.amdhsa_reserve_vcc 0
		.amdhsa_reserve_flat_scratch 0
		.amdhsa_float_round_mode_32 0
		.amdhsa_float_round_mode_16_64 0
		.amdhsa_float_denorm_mode_32 3
		.amdhsa_float_denorm_mode_16_64 3
		.amdhsa_dx10_clamp 1
		.amdhsa_ieee_mode 1
		.amdhsa_fp16_overflow 0
		.amdhsa_workgroup_processor_mode 1
		.amdhsa_memory_ordered 1
		.amdhsa_forward_progress 1
		.amdhsa_shared_vgpr_count 0
		.amdhsa_exception_fp_ieee_invalid_op 0
		.amdhsa_exception_fp_denorm_src 0
		.amdhsa_exception_fp_ieee_div_zero 0
		.amdhsa_exception_fp_ieee_overflow 0
		.amdhsa_exception_fp_ieee_underflow 0
		.amdhsa_exception_fp_ieee_inexact 0
		.amdhsa_exception_int_div_zero 0
	.end_amdhsa_kernel
	.section	.text._ZN7rocprim17ROCPRIM_400000_NS6detail17trampoline_kernelINS0_13select_configILj256ELj13ELNS0_17block_load_methodE3ELS4_3ELS4_3ELNS0_20block_scan_algorithmE0ELj4294967295EEENS1_25partition_config_selectorILNS1_17partition_subalgoE4EjNS0_10empty_typeEbEEZZNS1_14partition_implILS8_4ELb0ES6_15HIP_vector_typeIjLj2EENS0_17counting_iteratorIjlEEPS9_SG_NS0_5tupleIJPjSI_NS0_16reverse_iteratorISI_EEEEENSH_IJSG_SG_SG_EEES9_SI_JZNS1_25segmented_radix_sort_implINS0_14default_configELb0EPKaPaPKlPlN2at6native12_GLOBAL__N_18offset_tEEE10hipError_tPvRmT1_PNSt15iterator_traitsIS12_E10value_typeET2_T3_PNS13_IS18_E10value_typeET4_jRbjT5_S1E_jjP12ihipStream_tbEUljE_ZNSN_ISO_Lb0ESQ_SR_ST_SU_SY_EESZ_S10_S11_S12_S16_S17_S18_S1B_S1C_jS1D_jS1E_S1E_jjS1G_bEUljE0_EEESZ_S10_S11_S18_S1C_S1E_T6_T7_T9_mT8_S1G_bDpT10_ENKUlT_T0_E_clISt17integral_constantIbLb1EES1U_EEDaS1P_S1Q_EUlS1P_E_NS1_11comp_targetILNS1_3genE9ELNS1_11target_archE1100ELNS1_3gpuE3ELNS1_3repE0EEENS1_30default_config_static_selectorELNS0_4arch9wavefront6targetE0EEEvS12_,"axG",@progbits,_ZN7rocprim17ROCPRIM_400000_NS6detail17trampoline_kernelINS0_13select_configILj256ELj13ELNS0_17block_load_methodE3ELS4_3ELS4_3ELNS0_20block_scan_algorithmE0ELj4294967295EEENS1_25partition_config_selectorILNS1_17partition_subalgoE4EjNS0_10empty_typeEbEEZZNS1_14partition_implILS8_4ELb0ES6_15HIP_vector_typeIjLj2EENS0_17counting_iteratorIjlEEPS9_SG_NS0_5tupleIJPjSI_NS0_16reverse_iteratorISI_EEEEENSH_IJSG_SG_SG_EEES9_SI_JZNS1_25segmented_radix_sort_implINS0_14default_configELb0EPKaPaPKlPlN2at6native12_GLOBAL__N_18offset_tEEE10hipError_tPvRmT1_PNSt15iterator_traitsIS12_E10value_typeET2_T3_PNS13_IS18_E10value_typeET4_jRbjT5_S1E_jjP12ihipStream_tbEUljE_ZNSN_ISO_Lb0ESQ_SR_ST_SU_SY_EESZ_S10_S11_S12_S16_S17_S18_S1B_S1C_jS1D_jS1E_S1E_jjS1G_bEUljE0_EEESZ_S10_S11_S18_S1C_S1E_T6_T7_T9_mT8_S1G_bDpT10_ENKUlT_T0_E_clISt17integral_constantIbLb1EES1U_EEDaS1P_S1Q_EUlS1P_E_NS1_11comp_targetILNS1_3genE9ELNS1_11target_archE1100ELNS1_3gpuE3ELNS1_3repE0EEENS1_30default_config_static_selectorELNS0_4arch9wavefront6targetE0EEEvS12_,comdat
.Lfunc_end340:
	.size	_ZN7rocprim17ROCPRIM_400000_NS6detail17trampoline_kernelINS0_13select_configILj256ELj13ELNS0_17block_load_methodE3ELS4_3ELS4_3ELNS0_20block_scan_algorithmE0ELj4294967295EEENS1_25partition_config_selectorILNS1_17partition_subalgoE4EjNS0_10empty_typeEbEEZZNS1_14partition_implILS8_4ELb0ES6_15HIP_vector_typeIjLj2EENS0_17counting_iteratorIjlEEPS9_SG_NS0_5tupleIJPjSI_NS0_16reverse_iteratorISI_EEEEENSH_IJSG_SG_SG_EEES9_SI_JZNS1_25segmented_radix_sort_implINS0_14default_configELb0EPKaPaPKlPlN2at6native12_GLOBAL__N_18offset_tEEE10hipError_tPvRmT1_PNSt15iterator_traitsIS12_E10value_typeET2_T3_PNS13_IS18_E10value_typeET4_jRbjT5_S1E_jjP12ihipStream_tbEUljE_ZNSN_ISO_Lb0ESQ_SR_ST_SU_SY_EESZ_S10_S11_S12_S16_S17_S18_S1B_S1C_jS1D_jS1E_S1E_jjS1G_bEUljE0_EEESZ_S10_S11_S18_S1C_S1E_T6_T7_T9_mT8_S1G_bDpT10_ENKUlT_T0_E_clISt17integral_constantIbLb1EES1U_EEDaS1P_S1Q_EUlS1P_E_NS1_11comp_targetILNS1_3genE9ELNS1_11target_archE1100ELNS1_3gpuE3ELNS1_3repE0EEENS1_30default_config_static_selectorELNS0_4arch9wavefront6targetE0EEEvS12_, .Lfunc_end340-_ZN7rocprim17ROCPRIM_400000_NS6detail17trampoline_kernelINS0_13select_configILj256ELj13ELNS0_17block_load_methodE3ELS4_3ELS4_3ELNS0_20block_scan_algorithmE0ELj4294967295EEENS1_25partition_config_selectorILNS1_17partition_subalgoE4EjNS0_10empty_typeEbEEZZNS1_14partition_implILS8_4ELb0ES6_15HIP_vector_typeIjLj2EENS0_17counting_iteratorIjlEEPS9_SG_NS0_5tupleIJPjSI_NS0_16reverse_iteratorISI_EEEEENSH_IJSG_SG_SG_EEES9_SI_JZNS1_25segmented_radix_sort_implINS0_14default_configELb0EPKaPaPKlPlN2at6native12_GLOBAL__N_18offset_tEEE10hipError_tPvRmT1_PNSt15iterator_traitsIS12_E10value_typeET2_T3_PNS13_IS18_E10value_typeET4_jRbjT5_S1E_jjP12ihipStream_tbEUljE_ZNSN_ISO_Lb0ESQ_SR_ST_SU_SY_EESZ_S10_S11_S12_S16_S17_S18_S1B_S1C_jS1D_jS1E_S1E_jjS1G_bEUljE0_EEESZ_S10_S11_S18_S1C_S1E_T6_T7_T9_mT8_S1G_bDpT10_ENKUlT_T0_E_clISt17integral_constantIbLb1EES1U_EEDaS1P_S1Q_EUlS1P_E_NS1_11comp_targetILNS1_3genE9ELNS1_11target_archE1100ELNS1_3gpuE3ELNS1_3repE0EEENS1_30default_config_static_selectorELNS0_4arch9wavefront6targetE0EEEvS12_
                                        ; -- End function
	.set _ZN7rocprim17ROCPRIM_400000_NS6detail17trampoline_kernelINS0_13select_configILj256ELj13ELNS0_17block_load_methodE3ELS4_3ELS4_3ELNS0_20block_scan_algorithmE0ELj4294967295EEENS1_25partition_config_selectorILNS1_17partition_subalgoE4EjNS0_10empty_typeEbEEZZNS1_14partition_implILS8_4ELb0ES6_15HIP_vector_typeIjLj2EENS0_17counting_iteratorIjlEEPS9_SG_NS0_5tupleIJPjSI_NS0_16reverse_iteratorISI_EEEEENSH_IJSG_SG_SG_EEES9_SI_JZNS1_25segmented_radix_sort_implINS0_14default_configELb0EPKaPaPKlPlN2at6native12_GLOBAL__N_18offset_tEEE10hipError_tPvRmT1_PNSt15iterator_traitsIS12_E10value_typeET2_T3_PNS13_IS18_E10value_typeET4_jRbjT5_S1E_jjP12ihipStream_tbEUljE_ZNSN_ISO_Lb0ESQ_SR_ST_SU_SY_EESZ_S10_S11_S12_S16_S17_S18_S1B_S1C_jS1D_jS1E_S1E_jjS1G_bEUljE0_EEESZ_S10_S11_S18_S1C_S1E_T6_T7_T9_mT8_S1G_bDpT10_ENKUlT_T0_E_clISt17integral_constantIbLb1EES1U_EEDaS1P_S1Q_EUlS1P_E_NS1_11comp_targetILNS1_3genE9ELNS1_11target_archE1100ELNS1_3gpuE3ELNS1_3repE0EEENS1_30default_config_static_selectorELNS0_4arch9wavefront6targetE0EEEvS12_.num_vgpr, 0
	.set _ZN7rocprim17ROCPRIM_400000_NS6detail17trampoline_kernelINS0_13select_configILj256ELj13ELNS0_17block_load_methodE3ELS4_3ELS4_3ELNS0_20block_scan_algorithmE0ELj4294967295EEENS1_25partition_config_selectorILNS1_17partition_subalgoE4EjNS0_10empty_typeEbEEZZNS1_14partition_implILS8_4ELb0ES6_15HIP_vector_typeIjLj2EENS0_17counting_iteratorIjlEEPS9_SG_NS0_5tupleIJPjSI_NS0_16reverse_iteratorISI_EEEEENSH_IJSG_SG_SG_EEES9_SI_JZNS1_25segmented_radix_sort_implINS0_14default_configELb0EPKaPaPKlPlN2at6native12_GLOBAL__N_18offset_tEEE10hipError_tPvRmT1_PNSt15iterator_traitsIS12_E10value_typeET2_T3_PNS13_IS18_E10value_typeET4_jRbjT5_S1E_jjP12ihipStream_tbEUljE_ZNSN_ISO_Lb0ESQ_SR_ST_SU_SY_EESZ_S10_S11_S12_S16_S17_S18_S1B_S1C_jS1D_jS1E_S1E_jjS1G_bEUljE0_EEESZ_S10_S11_S18_S1C_S1E_T6_T7_T9_mT8_S1G_bDpT10_ENKUlT_T0_E_clISt17integral_constantIbLb1EES1U_EEDaS1P_S1Q_EUlS1P_E_NS1_11comp_targetILNS1_3genE9ELNS1_11target_archE1100ELNS1_3gpuE3ELNS1_3repE0EEENS1_30default_config_static_selectorELNS0_4arch9wavefront6targetE0EEEvS12_.num_agpr, 0
	.set _ZN7rocprim17ROCPRIM_400000_NS6detail17trampoline_kernelINS0_13select_configILj256ELj13ELNS0_17block_load_methodE3ELS4_3ELS4_3ELNS0_20block_scan_algorithmE0ELj4294967295EEENS1_25partition_config_selectorILNS1_17partition_subalgoE4EjNS0_10empty_typeEbEEZZNS1_14partition_implILS8_4ELb0ES6_15HIP_vector_typeIjLj2EENS0_17counting_iteratorIjlEEPS9_SG_NS0_5tupleIJPjSI_NS0_16reverse_iteratorISI_EEEEENSH_IJSG_SG_SG_EEES9_SI_JZNS1_25segmented_radix_sort_implINS0_14default_configELb0EPKaPaPKlPlN2at6native12_GLOBAL__N_18offset_tEEE10hipError_tPvRmT1_PNSt15iterator_traitsIS12_E10value_typeET2_T3_PNS13_IS18_E10value_typeET4_jRbjT5_S1E_jjP12ihipStream_tbEUljE_ZNSN_ISO_Lb0ESQ_SR_ST_SU_SY_EESZ_S10_S11_S12_S16_S17_S18_S1B_S1C_jS1D_jS1E_S1E_jjS1G_bEUljE0_EEESZ_S10_S11_S18_S1C_S1E_T6_T7_T9_mT8_S1G_bDpT10_ENKUlT_T0_E_clISt17integral_constantIbLb1EES1U_EEDaS1P_S1Q_EUlS1P_E_NS1_11comp_targetILNS1_3genE9ELNS1_11target_archE1100ELNS1_3gpuE3ELNS1_3repE0EEENS1_30default_config_static_selectorELNS0_4arch9wavefront6targetE0EEEvS12_.numbered_sgpr, 0
	.set _ZN7rocprim17ROCPRIM_400000_NS6detail17trampoline_kernelINS0_13select_configILj256ELj13ELNS0_17block_load_methodE3ELS4_3ELS4_3ELNS0_20block_scan_algorithmE0ELj4294967295EEENS1_25partition_config_selectorILNS1_17partition_subalgoE4EjNS0_10empty_typeEbEEZZNS1_14partition_implILS8_4ELb0ES6_15HIP_vector_typeIjLj2EENS0_17counting_iteratorIjlEEPS9_SG_NS0_5tupleIJPjSI_NS0_16reverse_iteratorISI_EEEEENSH_IJSG_SG_SG_EEES9_SI_JZNS1_25segmented_radix_sort_implINS0_14default_configELb0EPKaPaPKlPlN2at6native12_GLOBAL__N_18offset_tEEE10hipError_tPvRmT1_PNSt15iterator_traitsIS12_E10value_typeET2_T3_PNS13_IS18_E10value_typeET4_jRbjT5_S1E_jjP12ihipStream_tbEUljE_ZNSN_ISO_Lb0ESQ_SR_ST_SU_SY_EESZ_S10_S11_S12_S16_S17_S18_S1B_S1C_jS1D_jS1E_S1E_jjS1G_bEUljE0_EEESZ_S10_S11_S18_S1C_S1E_T6_T7_T9_mT8_S1G_bDpT10_ENKUlT_T0_E_clISt17integral_constantIbLb1EES1U_EEDaS1P_S1Q_EUlS1P_E_NS1_11comp_targetILNS1_3genE9ELNS1_11target_archE1100ELNS1_3gpuE3ELNS1_3repE0EEENS1_30default_config_static_selectorELNS0_4arch9wavefront6targetE0EEEvS12_.num_named_barrier, 0
	.set _ZN7rocprim17ROCPRIM_400000_NS6detail17trampoline_kernelINS0_13select_configILj256ELj13ELNS0_17block_load_methodE3ELS4_3ELS4_3ELNS0_20block_scan_algorithmE0ELj4294967295EEENS1_25partition_config_selectorILNS1_17partition_subalgoE4EjNS0_10empty_typeEbEEZZNS1_14partition_implILS8_4ELb0ES6_15HIP_vector_typeIjLj2EENS0_17counting_iteratorIjlEEPS9_SG_NS0_5tupleIJPjSI_NS0_16reverse_iteratorISI_EEEEENSH_IJSG_SG_SG_EEES9_SI_JZNS1_25segmented_radix_sort_implINS0_14default_configELb0EPKaPaPKlPlN2at6native12_GLOBAL__N_18offset_tEEE10hipError_tPvRmT1_PNSt15iterator_traitsIS12_E10value_typeET2_T3_PNS13_IS18_E10value_typeET4_jRbjT5_S1E_jjP12ihipStream_tbEUljE_ZNSN_ISO_Lb0ESQ_SR_ST_SU_SY_EESZ_S10_S11_S12_S16_S17_S18_S1B_S1C_jS1D_jS1E_S1E_jjS1G_bEUljE0_EEESZ_S10_S11_S18_S1C_S1E_T6_T7_T9_mT8_S1G_bDpT10_ENKUlT_T0_E_clISt17integral_constantIbLb1EES1U_EEDaS1P_S1Q_EUlS1P_E_NS1_11comp_targetILNS1_3genE9ELNS1_11target_archE1100ELNS1_3gpuE3ELNS1_3repE0EEENS1_30default_config_static_selectorELNS0_4arch9wavefront6targetE0EEEvS12_.private_seg_size, 0
	.set _ZN7rocprim17ROCPRIM_400000_NS6detail17trampoline_kernelINS0_13select_configILj256ELj13ELNS0_17block_load_methodE3ELS4_3ELS4_3ELNS0_20block_scan_algorithmE0ELj4294967295EEENS1_25partition_config_selectorILNS1_17partition_subalgoE4EjNS0_10empty_typeEbEEZZNS1_14partition_implILS8_4ELb0ES6_15HIP_vector_typeIjLj2EENS0_17counting_iteratorIjlEEPS9_SG_NS0_5tupleIJPjSI_NS0_16reverse_iteratorISI_EEEEENSH_IJSG_SG_SG_EEES9_SI_JZNS1_25segmented_radix_sort_implINS0_14default_configELb0EPKaPaPKlPlN2at6native12_GLOBAL__N_18offset_tEEE10hipError_tPvRmT1_PNSt15iterator_traitsIS12_E10value_typeET2_T3_PNS13_IS18_E10value_typeET4_jRbjT5_S1E_jjP12ihipStream_tbEUljE_ZNSN_ISO_Lb0ESQ_SR_ST_SU_SY_EESZ_S10_S11_S12_S16_S17_S18_S1B_S1C_jS1D_jS1E_S1E_jjS1G_bEUljE0_EEESZ_S10_S11_S18_S1C_S1E_T6_T7_T9_mT8_S1G_bDpT10_ENKUlT_T0_E_clISt17integral_constantIbLb1EES1U_EEDaS1P_S1Q_EUlS1P_E_NS1_11comp_targetILNS1_3genE9ELNS1_11target_archE1100ELNS1_3gpuE3ELNS1_3repE0EEENS1_30default_config_static_selectorELNS0_4arch9wavefront6targetE0EEEvS12_.uses_vcc, 0
	.set _ZN7rocprim17ROCPRIM_400000_NS6detail17trampoline_kernelINS0_13select_configILj256ELj13ELNS0_17block_load_methodE3ELS4_3ELS4_3ELNS0_20block_scan_algorithmE0ELj4294967295EEENS1_25partition_config_selectorILNS1_17partition_subalgoE4EjNS0_10empty_typeEbEEZZNS1_14partition_implILS8_4ELb0ES6_15HIP_vector_typeIjLj2EENS0_17counting_iteratorIjlEEPS9_SG_NS0_5tupleIJPjSI_NS0_16reverse_iteratorISI_EEEEENSH_IJSG_SG_SG_EEES9_SI_JZNS1_25segmented_radix_sort_implINS0_14default_configELb0EPKaPaPKlPlN2at6native12_GLOBAL__N_18offset_tEEE10hipError_tPvRmT1_PNSt15iterator_traitsIS12_E10value_typeET2_T3_PNS13_IS18_E10value_typeET4_jRbjT5_S1E_jjP12ihipStream_tbEUljE_ZNSN_ISO_Lb0ESQ_SR_ST_SU_SY_EESZ_S10_S11_S12_S16_S17_S18_S1B_S1C_jS1D_jS1E_S1E_jjS1G_bEUljE0_EEESZ_S10_S11_S18_S1C_S1E_T6_T7_T9_mT8_S1G_bDpT10_ENKUlT_T0_E_clISt17integral_constantIbLb1EES1U_EEDaS1P_S1Q_EUlS1P_E_NS1_11comp_targetILNS1_3genE9ELNS1_11target_archE1100ELNS1_3gpuE3ELNS1_3repE0EEENS1_30default_config_static_selectorELNS0_4arch9wavefront6targetE0EEEvS12_.uses_flat_scratch, 0
	.set _ZN7rocprim17ROCPRIM_400000_NS6detail17trampoline_kernelINS0_13select_configILj256ELj13ELNS0_17block_load_methodE3ELS4_3ELS4_3ELNS0_20block_scan_algorithmE0ELj4294967295EEENS1_25partition_config_selectorILNS1_17partition_subalgoE4EjNS0_10empty_typeEbEEZZNS1_14partition_implILS8_4ELb0ES6_15HIP_vector_typeIjLj2EENS0_17counting_iteratorIjlEEPS9_SG_NS0_5tupleIJPjSI_NS0_16reverse_iteratorISI_EEEEENSH_IJSG_SG_SG_EEES9_SI_JZNS1_25segmented_radix_sort_implINS0_14default_configELb0EPKaPaPKlPlN2at6native12_GLOBAL__N_18offset_tEEE10hipError_tPvRmT1_PNSt15iterator_traitsIS12_E10value_typeET2_T3_PNS13_IS18_E10value_typeET4_jRbjT5_S1E_jjP12ihipStream_tbEUljE_ZNSN_ISO_Lb0ESQ_SR_ST_SU_SY_EESZ_S10_S11_S12_S16_S17_S18_S1B_S1C_jS1D_jS1E_S1E_jjS1G_bEUljE0_EEESZ_S10_S11_S18_S1C_S1E_T6_T7_T9_mT8_S1G_bDpT10_ENKUlT_T0_E_clISt17integral_constantIbLb1EES1U_EEDaS1P_S1Q_EUlS1P_E_NS1_11comp_targetILNS1_3genE9ELNS1_11target_archE1100ELNS1_3gpuE3ELNS1_3repE0EEENS1_30default_config_static_selectorELNS0_4arch9wavefront6targetE0EEEvS12_.has_dyn_sized_stack, 0
	.set _ZN7rocprim17ROCPRIM_400000_NS6detail17trampoline_kernelINS0_13select_configILj256ELj13ELNS0_17block_load_methodE3ELS4_3ELS4_3ELNS0_20block_scan_algorithmE0ELj4294967295EEENS1_25partition_config_selectorILNS1_17partition_subalgoE4EjNS0_10empty_typeEbEEZZNS1_14partition_implILS8_4ELb0ES6_15HIP_vector_typeIjLj2EENS0_17counting_iteratorIjlEEPS9_SG_NS0_5tupleIJPjSI_NS0_16reverse_iteratorISI_EEEEENSH_IJSG_SG_SG_EEES9_SI_JZNS1_25segmented_radix_sort_implINS0_14default_configELb0EPKaPaPKlPlN2at6native12_GLOBAL__N_18offset_tEEE10hipError_tPvRmT1_PNSt15iterator_traitsIS12_E10value_typeET2_T3_PNS13_IS18_E10value_typeET4_jRbjT5_S1E_jjP12ihipStream_tbEUljE_ZNSN_ISO_Lb0ESQ_SR_ST_SU_SY_EESZ_S10_S11_S12_S16_S17_S18_S1B_S1C_jS1D_jS1E_S1E_jjS1G_bEUljE0_EEESZ_S10_S11_S18_S1C_S1E_T6_T7_T9_mT8_S1G_bDpT10_ENKUlT_T0_E_clISt17integral_constantIbLb1EES1U_EEDaS1P_S1Q_EUlS1P_E_NS1_11comp_targetILNS1_3genE9ELNS1_11target_archE1100ELNS1_3gpuE3ELNS1_3repE0EEENS1_30default_config_static_selectorELNS0_4arch9wavefront6targetE0EEEvS12_.has_recursion, 0
	.set _ZN7rocprim17ROCPRIM_400000_NS6detail17trampoline_kernelINS0_13select_configILj256ELj13ELNS0_17block_load_methodE3ELS4_3ELS4_3ELNS0_20block_scan_algorithmE0ELj4294967295EEENS1_25partition_config_selectorILNS1_17partition_subalgoE4EjNS0_10empty_typeEbEEZZNS1_14partition_implILS8_4ELb0ES6_15HIP_vector_typeIjLj2EENS0_17counting_iteratorIjlEEPS9_SG_NS0_5tupleIJPjSI_NS0_16reverse_iteratorISI_EEEEENSH_IJSG_SG_SG_EEES9_SI_JZNS1_25segmented_radix_sort_implINS0_14default_configELb0EPKaPaPKlPlN2at6native12_GLOBAL__N_18offset_tEEE10hipError_tPvRmT1_PNSt15iterator_traitsIS12_E10value_typeET2_T3_PNS13_IS18_E10value_typeET4_jRbjT5_S1E_jjP12ihipStream_tbEUljE_ZNSN_ISO_Lb0ESQ_SR_ST_SU_SY_EESZ_S10_S11_S12_S16_S17_S18_S1B_S1C_jS1D_jS1E_S1E_jjS1G_bEUljE0_EEESZ_S10_S11_S18_S1C_S1E_T6_T7_T9_mT8_S1G_bDpT10_ENKUlT_T0_E_clISt17integral_constantIbLb1EES1U_EEDaS1P_S1Q_EUlS1P_E_NS1_11comp_targetILNS1_3genE9ELNS1_11target_archE1100ELNS1_3gpuE3ELNS1_3repE0EEENS1_30default_config_static_selectorELNS0_4arch9wavefront6targetE0EEEvS12_.has_indirect_call, 0
	.section	.AMDGPU.csdata,"",@progbits
; Kernel info:
; codeLenInByte = 0
; TotalNumSgprs: 0
; NumVgprs: 0
; ScratchSize: 0
; MemoryBound: 0
; FloatMode: 240
; IeeeMode: 1
; LDSByteSize: 0 bytes/workgroup (compile time only)
; SGPRBlocks: 0
; VGPRBlocks: 0
; NumSGPRsForWavesPerEU: 1
; NumVGPRsForWavesPerEU: 1
; Occupancy: 16
; WaveLimiterHint : 0
; COMPUTE_PGM_RSRC2:SCRATCH_EN: 0
; COMPUTE_PGM_RSRC2:USER_SGPR: 6
; COMPUTE_PGM_RSRC2:TRAP_HANDLER: 0
; COMPUTE_PGM_RSRC2:TGID_X_EN: 1
; COMPUTE_PGM_RSRC2:TGID_Y_EN: 0
; COMPUTE_PGM_RSRC2:TGID_Z_EN: 0
; COMPUTE_PGM_RSRC2:TIDIG_COMP_CNT: 0
	.section	.text._ZN7rocprim17ROCPRIM_400000_NS6detail17trampoline_kernelINS0_13select_configILj256ELj13ELNS0_17block_load_methodE3ELS4_3ELS4_3ELNS0_20block_scan_algorithmE0ELj4294967295EEENS1_25partition_config_selectorILNS1_17partition_subalgoE4EjNS0_10empty_typeEbEEZZNS1_14partition_implILS8_4ELb0ES6_15HIP_vector_typeIjLj2EENS0_17counting_iteratorIjlEEPS9_SG_NS0_5tupleIJPjSI_NS0_16reverse_iteratorISI_EEEEENSH_IJSG_SG_SG_EEES9_SI_JZNS1_25segmented_radix_sort_implINS0_14default_configELb0EPKaPaPKlPlN2at6native12_GLOBAL__N_18offset_tEEE10hipError_tPvRmT1_PNSt15iterator_traitsIS12_E10value_typeET2_T3_PNS13_IS18_E10value_typeET4_jRbjT5_S1E_jjP12ihipStream_tbEUljE_ZNSN_ISO_Lb0ESQ_SR_ST_SU_SY_EESZ_S10_S11_S12_S16_S17_S18_S1B_S1C_jS1D_jS1E_S1E_jjS1G_bEUljE0_EEESZ_S10_S11_S18_S1C_S1E_T6_T7_T9_mT8_S1G_bDpT10_ENKUlT_T0_E_clISt17integral_constantIbLb1EES1U_EEDaS1P_S1Q_EUlS1P_E_NS1_11comp_targetILNS1_3genE8ELNS1_11target_archE1030ELNS1_3gpuE2ELNS1_3repE0EEENS1_30default_config_static_selectorELNS0_4arch9wavefront6targetE0EEEvS12_,"axG",@progbits,_ZN7rocprim17ROCPRIM_400000_NS6detail17trampoline_kernelINS0_13select_configILj256ELj13ELNS0_17block_load_methodE3ELS4_3ELS4_3ELNS0_20block_scan_algorithmE0ELj4294967295EEENS1_25partition_config_selectorILNS1_17partition_subalgoE4EjNS0_10empty_typeEbEEZZNS1_14partition_implILS8_4ELb0ES6_15HIP_vector_typeIjLj2EENS0_17counting_iteratorIjlEEPS9_SG_NS0_5tupleIJPjSI_NS0_16reverse_iteratorISI_EEEEENSH_IJSG_SG_SG_EEES9_SI_JZNS1_25segmented_radix_sort_implINS0_14default_configELb0EPKaPaPKlPlN2at6native12_GLOBAL__N_18offset_tEEE10hipError_tPvRmT1_PNSt15iterator_traitsIS12_E10value_typeET2_T3_PNS13_IS18_E10value_typeET4_jRbjT5_S1E_jjP12ihipStream_tbEUljE_ZNSN_ISO_Lb0ESQ_SR_ST_SU_SY_EESZ_S10_S11_S12_S16_S17_S18_S1B_S1C_jS1D_jS1E_S1E_jjS1G_bEUljE0_EEESZ_S10_S11_S18_S1C_S1E_T6_T7_T9_mT8_S1G_bDpT10_ENKUlT_T0_E_clISt17integral_constantIbLb1EES1U_EEDaS1P_S1Q_EUlS1P_E_NS1_11comp_targetILNS1_3genE8ELNS1_11target_archE1030ELNS1_3gpuE2ELNS1_3repE0EEENS1_30default_config_static_selectorELNS0_4arch9wavefront6targetE0EEEvS12_,comdat
	.globl	_ZN7rocprim17ROCPRIM_400000_NS6detail17trampoline_kernelINS0_13select_configILj256ELj13ELNS0_17block_load_methodE3ELS4_3ELS4_3ELNS0_20block_scan_algorithmE0ELj4294967295EEENS1_25partition_config_selectorILNS1_17partition_subalgoE4EjNS0_10empty_typeEbEEZZNS1_14partition_implILS8_4ELb0ES6_15HIP_vector_typeIjLj2EENS0_17counting_iteratorIjlEEPS9_SG_NS0_5tupleIJPjSI_NS0_16reverse_iteratorISI_EEEEENSH_IJSG_SG_SG_EEES9_SI_JZNS1_25segmented_radix_sort_implINS0_14default_configELb0EPKaPaPKlPlN2at6native12_GLOBAL__N_18offset_tEEE10hipError_tPvRmT1_PNSt15iterator_traitsIS12_E10value_typeET2_T3_PNS13_IS18_E10value_typeET4_jRbjT5_S1E_jjP12ihipStream_tbEUljE_ZNSN_ISO_Lb0ESQ_SR_ST_SU_SY_EESZ_S10_S11_S12_S16_S17_S18_S1B_S1C_jS1D_jS1E_S1E_jjS1G_bEUljE0_EEESZ_S10_S11_S18_S1C_S1E_T6_T7_T9_mT8_S1G_bDpT10_ENKUlT_T0_E_clISt17integral_constantIbLb1EES1U_EEDaS1P_S1Q_EUlS1P_E_NS1_11comp_targetILNS1_3genE8ELNS1_11target_archE1030ELNS1_3gpuE2ELNS1_3repE0EEENS1_30default_config_static_selectorELNS0_4arch9wavefront6targetE0EEEvS12_ ; -- Begin function _ZN7rocprim17ROCPRIM_400000_NS6detail17trampoline_kernelINS0_13select_configILj256ELj13ELNS0_17block_load_methodE3ELS4_3ELS4_3ELNS0_20block_scan_algorithmE0ELj4294967295EEENS1_25partition_config_selectorILNS1_17partition_subalgoE4EjNS0_10empty_typeEbEEZZNS1_14partition_implILS8_4ELb0ES6_15HIP_vector_typeIjLj2EENS0_17counting_iteratorIjlEEPS9_SG_NS0_5tupleIJPjSI_NS0_16reverse_iteratorISI_EEEEENSH_IJSG_SG_SG_EEES9_SI_JZNS1_25segmented_radix_sort_implINS0_14default_configELb0EPKaPaPKlPlN2at6native12_GLOBAL__N_18offset_tEEE10hipError_tPvRmT1_PNSt15iterator_traitsIS12_E10value_typeET2_T3_PNS13_IS18_E10value_typeET4_jRbjT5_S1E_jjP12ihipStream_tbEUljE_ZNSN_ISO_Lb0ESQ_SR_ST_SU_SY_EESZ_S10_S11_S12_S16_S17_S18_S1B_S1C_jS1D_jS1E_S1E_jjS1G_bEUljE0_EEESZ_S10_S11_S18_S1C_S1E_T6_T7_T9_mT8_S1G_bDpT10_ENKUlT_T0_E_clISt17integral_constantIbLb1EES1U_EEDaS1P_S1Q_EUlS1P_E_NS1_11comp_targetILNS1_3genE8ELNS1_11target_archE1030ELNS1_3gpuE2ELNS1_3repE0EEENS1_30default_config_static_selectorELNS0_4arch9wavefront6targetE0EEEvS12_
	.p2align	8
	.type	_ZN7rocprim17ROCPRIM_400000_NS6detail17trampoline_kernelINS0_13select_configILj256ELj13ELNS0_17block_load_methodE3ELS4_3ELS4_3ELNS0_20block_scan_algorithmE0ELj4294967295EEENS1_25partition_config_selectorILNS1_17partition_subalgoE4EjNS0_10empty_typeEbEEZZNS1_14partition_implILS8_4ELb0ES6_15HIP_vector_typeIjLj2EENS0_17counting_iteratorIjlEEPS9_SG_NS0_5tupleIJPjSI_NS0_16reverse_iteratorISI_EEEEENSH_IJSG_SG_SG_EEES9_SI_JZNS1_25segmented_radix_sort_implINS0_14default_configELb0EPKaPaPKlPlN2at6native12_GLOBAL__N_18offset_tEEE10hipError_tPvRmT1_PNSt15iterator_traitsIS12_E10value_typeET2_T3_PNS13_IS18_E10value_typeET4_jRbjT5_S1E_jjP12ihipStream_tbEUljE_ZNSN_ISO_Lb0ESQ_SR_ST_SU_SY_EESZ_S10_S11_S12_S16_S17_S18_S1B_S1C_jS1D_jS1E_S1E_jjS1G_bEUljE0_EEESZ_S10_S11_S18_S1C_S1E_T6_T7_T9_mT8_S1G_bDpT10_ENKUlT_T0_E_clISt17integral_constantIbLb1EES1U_EEDaS1P_S1Q_EUlS1P_E_NS1_11comp_targetILNS1_3genE8ELNS1_11target_archE1030ELNS1_3gpuE2ELNS1_3repE0EEENS1_30default_config_static_selectorELNS0_4arch9wavefront6targetE0EEEvS12_,@function
_ZN7rocprim17ROCPRIM_400000_NS6detail17trampoline_kernelINS0_13select_configILj256ELj13ELNS0_17block_load_methodE3ELS4_3ELS4_3ELNS0_20block_scan_algorithmE0ELj4294967295EEENS1_25partition_config_selectorILNS1_17partition_subalgoE4EjNS0_10empty_typeEbEEZZNS1_14partition_implILS8_4ELb0ES6_15HIP_vector_typeIjLj2EENS0_17counting_iteratorIjlEEPS9_SG_NS0_5tupleIJPjSI_NS0_16reverse_iteratorISI_EEEEENSH_IJSG_SG_SG_EEES9_SI_JZNS1_25segmented_radix_sort_implINS0_14default_configELb0EPKaPaPKlPlN2at6native12_GLOBAL__N_18offset_tEEE10hipError_tPvRmT1_PNSt15iterator_traitsIS12_E10value_typeET2_T3_PNS13_IS18_E10value_typeET4_jRbjT5_S1E_jjP12ihipStream_tbEUljE_ZNSN_ISO_Lb0ESQ_SR_ST_SU_SY_EESZ_S10_S11_S12_S16_S17_S18_S1B_S1C_jS1D_jS1E_S1E_jjS1G_bEUljE0_EEESZ_S10_S11_S18_S1C_S1E_T6_T7_T9_mT8_S1G_bDpT10_ENKUlT_T0_E_clISt17integral_constantIbLb1EES1U_EEDaS1P_S1Q_EUlS1P_E_NS1_11comp_targetILNS1_3genE8ELNS1_11target_archE1030ELNS1_3gpuE2ELNS1_3repE0EEENS1_30default_config_static_selectorELNS0_4arch9wavefront6targetE0EEEvS12_: ; @_ZN7rocprim17ROCPRIM_400000_NS6detail17trampoline_kernelINS0_13select_configILj256ELj13ELNS0_17block_load_methodE3ELS4_3ELS4_3ELNS0_20block_scan_algorithmE0ELj4294967295EEENS1_25partition_config_selectorILNS1_17partition_subalgoE4EjNS0_10empty_typeEbEEZZNS1_14partition_implILS8_4ELb0ES6_15HIP_vector_typeIjLj2EENS0_17counting_iteratorIjlEEPS9_SG_NS0_5tupleIJPjSI_NS0_16reverse_iteratorISI_EEEEENSH_IJSG_SG_SG_EEES9_SI_JZNS1_25segmented_radix_sort_implINS0_14default_configELb0EPKaPaPKlPlN2at6native12_GLOBAL__N_18offset_tEEE10hipError_tPvRmT1_PNSt15iterator_traitsIS12_E10value_typeET2_T3_PNS13_IS18_E10value_typeET4_jRbjT5_S1E_jjP12ihipStream_tbEUljE_ZNSN_ISO_Lb0ESQ_SR_ST_SU_SY_EESZ_S10_S11_S12_S16_S17_S18_S1B_S1C_jS1D_jS1E_S1E_jjS1G_bEUljE0_EEESZ_S10_S11_S18_S1C_S1E_T6_T7_T9_mT8_S1G_bDpT10_ENKUlT_T0_E_clISt17integral_constantIbLb1EES1U_EEDaS1P_S1Q_EUlS1P_E_NS1_11comp_targetILNS1_3genE8ELNS1_11target_archE1030ELNS1_3gpuE2ELNS1_3repE0EEENS1_30default_config_static_selectorELNS0_4arch9wavefront6targetE0EEEvS12_
; %bb.0:
	s_endpgm
	.section	.rodata,"a",@progbits
	.p2align	6, 0x0
	.amdhsa_kernel _ZN7rocprim17ROCPRIM_400000_NS6detail17trampoline_kernelINS0_13select_configILj256ELj13ELNS0_17block_load_methodE3ELS4_3ELS4_3ELNS0_20block_scan_algorithmE0ELj4294967295EEENS1_25partition_config_selectorILNS1_17partition_subalgoE4EjNS0_10empty_typeEbEEZZNS1_14partition_implILS8_4ELb0ES6_15HIP_vector_typeIjLj2EENS0_17counting_iteratorIjlEEPS9_SG_NS0_5tupleIJPjSI_NS0_16reverse_iteratorISI_EEEEENSH_IJSG_SG_SG_EEES9_SI_JZNS1_25segmented_radix_sort_implINS0_14default_configELb0EPKaPaPKlPlN2at6native12_GLOBAL__N_18offset_tEEE10hipError_tPvRmT1_PNSt15iterator_traitsIS12_E10value_typeET2_T3_PNS13_IS18_E10value_typeET4_jRbjT5_S1E_jjP12ihipStream_tbEUljE_ZNSN_ISO_Lb0ESQ_SR_ST_SU_SY_EESZ_S10_S11_S12_S16_S17_S18_S1B_S1C_jS1D_jS1E_S1E_jjS1G_bEUljE0_EEESZ_S10_S11_S18_S1C_S1E_T6_T7_T9_mT8_S1G_bDpT10_ENKUlT_T0_E_clISt17integral_constantIbLb1EES1U_EEDaS1P_S1Q_EUlS1P_E_NS1_11comp_targetILNS1_3genE8ELNS1_11target_archE1030ELNS1_3gpuE2ELNS1_3repE0EEENS1_30default_config_static_selectorELNS0_4arch9wavefront6targetE0EEEvS12_
		.amdhsa_group_segment_fixed_size 0
		.amdhsa_private_segment_fixed_size 0
		.amdhsa_kernarg_size 184
		.amdhsa_user_sgpr_count 6
		.amdhsa_user_sgpr_private_segment_buffer 1
		.amdhsa_user_sgpr_dispatch_ptr 0
		.amdhsa_user_sgpr_queue_ptr 0
		.amdhsa_user_sgpr_kernarg_segment_ptr 1
		.amdhsa_user_sgpr_dispatch_id 0
		.amdhsa_user_sgpr_flat_scratch_init 0
		.amdhsa_user_sgpr_private_segment_size 0
		.amdhsa_wavefront_size32 1
		.amdhsa_uses_dynamic_stack 0
		.amdhsa_system_sgpr_private_segment_wavefront_offset 0
		.amdhsa_system_sgpr_workgroup_id_x 1
		.amdhsa_system_sgpr_workgroup_id_y 0
		.amdhsa_system_sgpr_workgroup_id_z 0
		.amdhsa_system_sgpr_workgroup_info 0
		.amdhsa_system_vgpr_workitem_id 0
		.amdhsa_next_free_vgpr 1
		.amdhsa_next_free_sgpr 1
		.amdhsa_reserve_vcc 0
		.amdhsa_reserve_flat_scratch 0
		.amdhsa_float_round_mode_32 0
		.amdhsa_float_round_mode_16_64 0
		.amdhsa_float_denorm_mode_32 3
		.amdhsa_float_denorm_mode_16_64 3
		.amdhsa_dx10_clamp 1
		.amdhsa_ieee_mode 1
		.amdhsa_fp16_overflow 0
		.amdhsa_workgroup_processor_mode 1
		.amdhsa_memory_ordered 1
		.amdhsa_forward_progress 1
		.amdhsa_shared_vgpr_count 0
		.amdhsa_exception_fp_ieee_invalid_op 0
		.amdhsa_exception_fp_denorm_src 0
		.amdhsa_exception_fp_ieee_div_zero 0
		.amdhsa_exception_fp_ieee_overflow 0
		.amdhsa_exception_fp_ieee_underflow 0
		.amdhsa_exception_fp_ieee_inexact 0
		.amdhsa_exception_int_div_zero 0
	.end_amdhsa_kernel
	.section	.text._ZN7rocprim17ROCPRIM_400000_NS6detail17trampoline_kernelINS0_13select_configILj256ELj13ELNS0_17block_load_methodE3ELS4_3ELS4_3ELNS0_20block_scan_algorithmE0ELj4294967295EEENS1_25partition_config_selectorILNS1_17partition_subalgoE4EjNS0_10empty_typeEbEEZZNS1_14partition_implILS8_4ELb0ES6_15HIP_vector_typeIjLj2EENS0_17counting_iteratorIjlEEPS9_SG_NS0_5tupleIJPjSI_NS0_16reverse_iteratorISI_EEEEENSH_IJSG_SG_SG_EEES9_SI_JZNS1_25segmented_radix_sort_implINS0_14default_configELb0EPKaPaPKlPlN2at6native12_GLOBAL__N_18offset_tEEE10hipError_tPvRmT1_PNSt15iterator_traitsIS12_E10value_typeET2_T3_PNS13_IS18_E10value_typeET4_jRbjT5_S1E_jjP12ihipStream_tbEUljE_ZNSN_ISO_Lb0ESQ_SR_ST_SU_SY_EESZ_S10_S11_S12_S16_S17_S18_S1B_S1C_jS1D_jS1E_S1E_jjS1G_bEUljE0_EEESZ_S10_S11_S18_S1C_S1E_T6_T7_T9_mT8_S1G_bDpT10_ENKUlT_T0_E_clISt17integral_constantIbLb1EES1U_EEDaS1P_S1Q_EUlS1P_E_NS1_11comp_targetILNS1_3genE8ELNS1_11target_archE1030ELNS1_3gpuE2ELNS1_3repE0EEENS1_30default_config_static_selectorELNS0_4arch9wavefront6targetE0EEEvS12_,"axG",@progbits,_ZN7rocprim17ROCPRIM_400000_NS6detail17trampoline_kernelINS0_13select_configILj256ELj13ELNS0_17block_load_methodE3ELS4_3ELS4_3ELNS0_20block_scan_algorithmE0ELj4294967295EEENS1_25partition_config_selectorILNS1_17partition_subalgoE4EjNS0_10empty_typeEbEEZZNS1_14partition_implILS8_4ELb0ES6_15HIP_vector_typeIjLj2EENS0_17counting_iteratorIjlEEPS9_SG_NS0_5tupleIJPjSI_NS0_16reverse_iteratorISI_EEEEENSH_IJSG_SG_SG_EEES9_SI_JZNS1_25segmented_radix_sort_implINS0_14default_configELb0EPKaPaPKlPlN2at6native12_GLOBAL__N_18offset_tEEE10hipError_tPvRmT1_PNSt15iterator_traitsIS12_E10value_typeET2_T3_PNS13_IS18_E10value_typeET4_jRbjT5_S1E_jjP12ihipStream_tbEUljE_ZNSN_ISO_Lb0ESQ_SR_ST_SU_SY_EESZ_S10_S11_S12_S16_S17_S18_S1B_S1C_jS1D_jS1E_S1E_jjS1G_bEUljE0_EEESZ_S10_S11_S18_S1C_S1E_T6_T7_T9_mT8_S1G_bDpT10_ENKUlT_T0_E_clISt17integral_constantIbLb1EES1U_EEDaS1P_S1Q_EUlS1P_E_NS1_11comp_targetILNS1_3genE8ELNS1_11target_archE1030ELNS1_3gpuE2ELNS1_3repE0EEENS1_30default_config_static_selectorELNS0_4arch9wavefront6targetE0EEEvS12_,comdat
.Lfunc_end341:
	.size	_ZN7rocprim17ROCPRIM_400000_NS6detail17trampoline_kernelINS0_13select_configILj256ELj13ELNS0_17block_load_methodE3ELS4_3ELS4_3ELNS0_20block_scan_algorithmE0ELj4294967295EEENS1_25partition_config_selectorILNS1_17partition_subalgoE4EjNS0_10empty_typeEbEEZZNS1_14partition_implILS8_4ELb0ES6_15HIP_vector_typeIjLj2EENS0_17counting_iteratorIjlEEPS9_SG_NS0_5tupleIJPjSI_NS0_16reverse_iteratorISI_EEEEENSH_IJSG_SG_SG_EEES9_SI_JZNS1_25segmented_radix_sort_implINS0_14default_configELb0EPKaPaPKlPlN2at6native12_GLOBAL__N_18offset_tEEE10hipError_tPvRmT1_PNSt15iterator_traitsIS12_E10value_typeET2_T3_PNS13_IS18_E10value_typeET4_jRbjT5_S1E_jjP12ihipStream_tbEUljE_ZNSN_ISO_Lb0ESQ_SR_ST_SU_SY_EESZ_S10_S11_S12_S16_S17_S18_S1B_S1C_jS1D_jS1E_S1E_jjS1G_bEUljE0_EEESZ_S10_S11_S18_S1C_S1E_T6_T7_T9_mT8_S1G_bDpT10_ENKUlT_T0_E_clISt17integral_constantIbLb1EES1U_EEDaS1P_S1Q_EUlS1P_E_NS1_11comp_targetILNS1_3genE8ELNS1_11target_archE1030ELNS1_3gpuE2ELNS1_3repE0EEENS1_30default_config_static_selectorELNS0_4arch9wavefront6targetE0EEEvS12_, .Lfunc_end341-_ZN7rocprim17ROCPRIM_400000_NS6detail17trampoline_kernelINS0_13select_configILj256ELj13ELNS0_17block_load_methodE3ELS4_3ELS4_3ELNS0_20block_scan_algorithmE0ELj4294967295EEENS1_25partition_config_selectorILNS1_17partition_subalgoE4EjNS0_10empty_typeEbEEZZNS1_14partition_implILS8_4ELb0ES6_15HIP_vector_typeIjLj2EENS0_17counting_iteratorIjlEEPS9_SG_NS0_5tupleIJPjSI_NS0_16reverse_iteratorISI_EEEEENSH_IJSG_SG_SG_EEES9_SI_JZNS1_25segmented_radix_sort_implINS0_14default_configELb0EPKaPaPKlPlN2at6native12_GLOBAL__N_18offset_tEEE10hipError_tPvRmT1_PNSt15iterator_traitsIS12_E10value_typeET2_T3_PNS13_IS18_E10value_typeET4_jRbjT5_S1E_jjP12ihipStream_tbEUljE_ZNSN_ISO_Lb0ESQ_SR_ST_SU_SY_EESZ_S10_S11_S12_S16_S17_S18_S1B_S1C_jS1D_jS1E_S1E_jjS1G_bEUljE0_EEESZ_S10_S11_S18_S1C_S1E_T6_T7_T9_mT8_S1G_bDpT10_ENKUlT_T0_E_clISt17integral_constantIbLb1EES1U_EEDaS1P_S1Q_EUlS1P_E_NS1_11comp_targetILNS1_3genE8ELNS1_11target_archE1030ELNS1_3gpuE2ELNS1_3repE0EEENS1_30default_config_static_selectorELNS0_4arch9wavefront6targetE0EEEvS12_
                                        ; -- End function
	.set _ZN7rocprim17ROCPRIM_400000_NS6detail17trampoline_kernelINS0_13select_configILj256ELj13ELNS0_17block_load_methodE3ELS4_3ELS4_3ELNS0_20block_scan_algorithmE0ELj4294967295EEENS1_25partition_config_selectorILNS1_17partition_subalgoE4EjNS0_10empty_typeEbEEZZNS1_14partition_implILS8_4ELb0ES6_15HIP_vector_typeIjLj2EENS0_17counting_iteratorIjlEEPS9_SG_NS0_5tupleIJPjSI_NS0_16reverse_iteratorISI_EEEEENSH_IJSG_SG_SG_EEES9_SI_JZNS1_25segmented_radix_sort_implINS0_14default_configELb0EPKaPaPKlPlN2at6native12_GLOBAL__N_18offset_tEEE10hipError_tPvRmT1_PNSt15iterator_traitsIS12_E10value_typeET2_T3_PNS13_IS18_E10value_typeET4_jRbjT5_S1E_jjP12ihipStream_tbEUljE_ZNSN_ISO_Lb0ESQ_SR_ST_SU_SY_EESZ_S10_S11_S12_S16_S17_S18_S1B_S1C_jS1D_jS1E_S1E_jjS1G_bEUljE0_EEESZ_S10_S11_S18_S1C_S1E_T6_T7_T9_mT8_S1G_bDpT10_ENKUlT_T0_E_clISt17integral_constantIbLb1EES1U_EEDaS1P_S1Q_EUlS1P_E_NS1_11comp_targetILNS1_3genE8ELNS1_11target_archE1030ELNS1_3gpuE2ELNS1_3repE0EEENS1_30default_config_static_selectorELNS0_4arch9wavefront6targetE0EEEvS12_.num_vgpr, 0
	.set _ZN7rocprim17ROCPRIM_400000_NS6detail17trampoline_kernelINS0_13select_configILj256ELj13ELNS0_17block_load_methodE3ELS4_3ELS4_3ELNS0_20block_scan_algorithmE0ELj4294967295EEENS1_25partition_config_selectorILNS1_17partition_subalgoE4EjNS0_10empty_typeEbEEZZNS1_14partition_implILS8_4ELb0ES6_15HIP_vector_typeIjLj2EENS0_17counting_iteratorIjlEEPS9_SG_NS0_5tupleIJPjSI_NS0_16reverse_iteratorISI_EEEEENSH_IJSG_SG_SG_EEES9_SI_JZNS1_25segmented_radix_sort_implINS0_14default_configELb0EPKaPaPKlPlN2at6native12_GLOBAL__N_18offset_tEEE10hipError_tPvRmT1_PNSt15iterator_traitsIS12_E10value_typeET2_T3_PNS13_IS18_E10value_typeET4_jRbjT5_S1E_jjP12ihipStream_tbEUljE_ZNSN_ISO_Lb0ESQ_SR_ST_SU_SY_EESZ_S10_S11_S12_S16_S17_S18_S1B_S1C_jS1D_jS1E_S1E_jjS1G_bEUljE0_EEESZ_S10_S11_S18_S1C_S1E_T6_T7_T9_mT8_S1G_bDpT10_ENKUlT_T0_E_clISt17integral_constantIbLb1EES1U_EEDaS1P_S1Q_EUlS1P_E_NS1_11comp_targetILNS1_3genE8ELNS1_11target_archE1030ELNS1_3gpuE2ELNS1_3repE0EEENS1_30default_config_static_selectorELNS0_4arch9wavefront6targetE0EEEvS12_.num_agpr, 0
	.set _ZN7rocprim17ROCPRIM_400000_NS6detail17trampoline_kernelINS0_13select_configILj256ELj13ELNS0_17block_load_methodE3ELS4_3ELS4_3ELNS0_20block_scan_algorithmE0ELj4294967295EEENS1_25partition_config_selectorILNS1_17partition_subalgoE4EjNS0_10empty_typeEbEEZZNS1_14partition_implILS8_4ELb0ES6_15HIP_vector_typeIjLj2EENS0_17counting_iteratorIjlEEPS9_SG_NS0_5tupleIJPjSI_NS0_16reverse_iteratorISI_EEEEENSH_IJSG_SG_SG_EEES9_SI_JZNS1_25segmented_radix_sort_implINS0_14default_configELb0EPKaPaPKlPlN2at6native12_GLOBAL__N_18offset_tEEE10hipError_tPvRmT1_PNSt15iterator_traitsIS12_E10value_typeET2_T3_PNS13_IS18_E10value_typeET4_jRbjT5_S1E_jjP12ihipStream_tbEUljE_ZNSN_ISO_Lb0ESQ_SR_ST_SU_SY_EESZ_S10_S11_S12_S16_S17_S18_S1B_S1C_jS1D_jS1E_S1E_jjS1G_bEUljE0_EEESZ_S10_S11_S18_S1C_S1E_T6_T7_T9_mT8_S1G_bDpT10_ENKUlT_T0_E_clISt17integral_constantIbLb1EES1U_EEDaS1P_S1Q_EUlS1P_E_NS1_11comp_targetILNS1_3genE8ELNS1_11target_archE1030ELNS1_3gpuE2ELNS1_3repE0EEENS1_30default_config_static_selectorELNS0_4arch9wavefront6targetE0EEEvS12_.numbered_sgpr, 0
	.set _ZN7rocprim17ROCPRIM_400000_NS6detail17trampoline_kernelINS0_13select_configILj256ELj13ELNS0_17block_load_methodE3ELS4_3ELS4_3ELNS0_20block_scan_algorithmE0ELj4294967295EEENS1_25partition_config_selectorILNS1_17partition_subalgoE4EjNS0_10empty_typeEbEEZZNS1_14partition_implILS8_4ELb0ES6_15HIP_vector_typeIjLj2EENS0_17counting_iteratorIjlEEPS9_SG_NS0_5tupleIJPjSI_NS0_16reverse_iteratorISI_EEEEENSH_IJSG_SG_SG_EEES9_SI_JZNS1_25segmented_radix_sort_implINS0_14default_configELb0EPKaPaPKlPlN2at6native12_GLOBAL__N_18offset_tEEE10hipError_tPvRmT1_PNSt15iterator_traitsIS12_E10value_typeET2_T3_PNS13_IS18_E10value_typeET4_jRbjT5_S1E_jjP12ihipStream_tbEUljE_ZNSN_ISO_Lb0ESQ_SR_ST_SU_SY_EESZ_S10_S11_S12_S16_S17_S18_S1B_S1C_jS1D_jS1E_S1E_jjS1G_bEUljE0_EEESZ_S10_S11_S18_S1C_S1E_T6_T7_T9_mT8_S1G_bDpT10_ENKUlT_T0_E_clISt17integral_constantIbLb1EES1U_EEDaS1P_S1Q_EUlS1P_E_NS1_11comp_targetILNS1_3genE8ELNS1_11target_archE1030ELNS1_3gpuE2ELNS1_3repE0EEENS1_30default_config_static_selectorELNS0_4arch9wavefront6targetE0EEEvS12_.num_named_barrier, 0
	.set _ZN7rocprim17ROCPRIM_400000_NS6detail17trampoline_kernelINS0_13select_configILj256ELj13ELNS0_17block_load_methodE3ELS4_3ELS4_3ELNS0_20block_scan_algorithmE0ELj4294967295EEENS1_25partition_config_selectorILNS1_17partition_subalgoE4EjNS0_10empty_typeEbEEZZNS1_14partition_implILS8_4ELb0ES6_15HIP_vector_typeIjLj2EENS0_17counting_iteratorIjlEEPS9_SG_NS0_5tupleIJPjSI_NS0_16reverse_iteratorISI_EEEEENSH_IJSG_SG_SG_EEES9_SI_JZNS1_25segmented_radix_sort_implINS0_14default_configELb0EPKaPaPKlPlN2at6native12_GLOBAL__N_18offset_tEEE10hipError_tPvRmT1_PNSt15iterator_traitsIS12_E10value_typeET2_T3_PNS13_IS18_E10value_typeET4_jRbjT5_S1E_jjP12ihipStream_tbEUljE_ZNSN_ISO_Lb0ESQ_SR_ST_SU_SY_EESZ_S10_S11_S12_S16_S17_S18_S1B_S1C_jS1D_jS1E_S1E_jjS1G_bEUljE0_EEESZ_S10_S11_S18_S1C_S1E_T6_T7_T9_mT8_S1G_bDpT10_ENKUlT_T0_E_clISt17integral_constantIbLb1EES1U_EEDaS1P_S1Q_EUlS1P_E_NS1_11comp_targetILNS1_3genE8ELNS1_11target_archE1030ELNS1_3gpuE2ELNS1_3repE0EEENS1_30default_config_static_selectorELNS0_4arch9wavefront6targetE0EEEvS12_.private_seg_size, 0
	.set _ZN7rocprim17ROCPRIM_400000_NS6detail17trampoline_kernelINS0_13select_configILj256ELj13ELNS0_17block_load_methodE3ELS4_3ELS4_3ELNS0_20block_scan_algorithmE0ELj4294967295EEENS1_25partition_config_selectorILNS1_17partition_subalgoE4EjNS0_10empty_typeEbEEZZNS1_14partition_implILS8_4ELb0ES6_15HIP_vector_typeIjLj2EENS0_17counting_iteratorIjlEEPS9_SG_NS0_5tupleIJPjSI_NS0_16reverse_iteratorISI_EEEEENSH_IJSG_SG_SG_EEES9_SI_JZNS1_25segmented_radix_sort_implINS0_14default_configELb0EPKaPaPKlPlN2at6native12_GLOBAL__N_18offset_tEEE10hipError_tPvRmT1_PNSt15iterator_traitsIS12_E10value_typeET2_T3_PNS13_IS18_E10value_typeET4_jRbjT5_S1E_jjP12ihipStream_tbEUljE_ZNSN_ISO_Lb0ESQ_SR_ST_SU_SY_EESZ_S10_S11_S12_S16_S17_S18_S1B_S1C_jS1D_jS1E_S1E_jjS1G_bEUljE0_EEESZ_S10_S11_S18_S1C_S1E_T6_T7_T9_mT8_S1G_bDpT10_ENKUlT_T0_E_clISt17integral_constantIbLb1EES1U_EEDaS1P_S1Q_EUlS1P_E_NS1_11comp_targetILNS1_3genE8ELNS1_11target_archE1030ELNS1_3gpuE2ELNS1_3repE0EEENS1_30default_config_static_selectorELNS0_4arch9wavefront6targetE0EEEvS12_.uses_vcc, 0
	.set _ZN7rocprim17ROCPRIM_400000_NS6detail17trampoline_kernelINS0_13select_configILj256ELj13ELNS0_17block_load_methodE3ELS4_3ELS4_3ELNS0_20block_scan_algorithmE0ELj4294967295EEENS1_25partition_config_selectorILNS1_17partition_subalgoE4EjNS0_10empty_typeEbEEZZNS1_14partition_implILS8_4ELb0ES6_15HIP_vector_typeIjLj2EENS0_17counting_iteratorIjlEEPS9_SG_NS0_5tupleIJPjSI_NS0_16reverse_iteratorISI_EEEEENSH_IJSG_SG_SG_EEES9_SI_JZNS1_25segmented_radix_sort_implINS0_14default_configELb0EPKaPaPKlPlN2at6native12_GLOBAL__N_18offset_tEEE10hipError_tPvRmT1_PNSt15iterator_traitsIS12_E10value_typeET2_T3_PNS13_IS18_E10value_typeET4_jRbjT5_S1E_jjP12ihipStream_tbEUljE_ZNSN_ISO_Lb0ESQ_SR_ST_SU_SY_EESZ_S10_S11_S12_S16_S17_S18_S1B_S1C_jS1D_jS1E_S1E_jjS1G_bEUljE0_EEESZ_S10_S11_S18_S1C_S1E_T6_T7_T9_mT8_S1G_bDpT10_ENKUlT_T0_E_clISt17integral_constantIbLb1EES1U_EEDaS1P_S1Q_EUlS1P_E_NS1_11comp_targetILNS1_3genE8ELNS1_11target_archE1030ELNS1_3gpuE2ELNS1_3repE0EEENS1_30default_config_static_selectorELNS0_4arch9wavefront6targetE0EEEvS12_.uses_flat_scratch, 0
	.set _ZN7rocprim17ROCPRIM_400000_NS6detail17trampoline_kernelINS0_13select_configILj256ELj13ELNS0_17block_load_methodE3ELS4_3ELS4_3ELNS0_20block_scan_algorithmE0ELj4294967295EEENS1_25partition_config_selectorILNS1_17partition_subalgoE4EjNS0_10empty_typeEbEEZZNS1_14partition_implILS8_4ELb0ES6_15HIP_vector_typeIjLj2EENS0_17counting_iteratorIjlEEPS9_SG_NS0_5tupleIJPjSI_NS0_16reverse_iteratorISI_EEEEENSH_IJSG_SG_SG_EEES9_SI_JZNS1_25segmented_radix_sort_implINS0_14default_configELb0EPKaPaPKlPlN2at6native12_GLOBAL__N_18offset_tEEE10hipError_tPvRmT1_PNSt15iterator_traitsIS12_E10value_typeET2_T3_PNS13_IS18_E10value_typeET4_jRbjT5_S1E_jjP12ihipStream_tbEUljE_ZNSN_ISO_Lb0ESQ_SR_ST_SU_SY_EESZ_S10_S11_S12_S16_S17_S18_S1B_S1C_jS1D_jS1E_S1E_jjS1G_bEUljE0_EEESZ_S10_S11_S18_S1C_S1E_T6_T7_T9_mT8_S1G_bDpT10_ENKUlT_T0_E_clISt17integral_constantIbLb1EES1U_EEDaS1P_S1Q_EUlS1P_E_NS1_11comp_targetILNS1_3genE8ELNS1_11target_archE1030ELNS1_3gpuE2ELNS1_3repE0EEENS1_30default_config_static_selectorELNS0_4arch9wavefront6targetE0EEEvS12_.has_dyn_sized_stack, 0
	.set _ZN7rocprim17ROCPRIM_400000_NS6detail17trampoline_kernelINS0_13select_configILj256ELj13ELNS0_17block_load_methodE3ELS4_3ELS4_3ELNS0_20block_scan_algorithmE0ELj4294967295EEENS1_25partition_config_selectorILNS1_17partition_subalgoE4EjNS0_10empty_typeEbEEZZNS1_14partition_implILS8_4ELb0ES6_15HIP_vector_typeIjLj2EENS0_17counting_iteratorIjlEEPS9_SG_NS0_5tupleIJPjSI_NS0_16reverse_iteratorISI_EEEEENSH_IJSG_SG_SG_EEES9_SI_JZNS1_25segmented_radix_sort_implINS0_14default_configELb0EPKaPaPKlPlN2at6native12_GLOBAL__N_18offset_tEEE10hipError_tPvRmT1_PNSt15iterator_traitsIS12_E10value_typeET2_T3_PNS13_IS18_E10value_typeET4_jRbjT5_S1E_jjP12ihipStream_tbEUljE_ZNSN_ISO_Lb0ESQ_SR_ST_SU_SY_EESZ_S10_S11_S12_S16_S17_S18_S1B_S1C_jS1D_jS1E_S1E_jjS1G_bEUljE0_EEESZ_S10_S11_S18_S1C_S1E_T6_T7_T9_mT8_S1G_bDpT10_ENKUlT_T0_E_clISt17integral_constantIbLb1EES1U_EEDaS1P_S1Q_EUlS1P_E_NS1_11comp_targetILNS1_3genE8ELNS1_11target_archE1030ELNS1_3gpuE2ELNS1_3repE0EEENS1_30default_config_static_selectorELNS0_4arch9wavefront6targetE0EEEvS12_.has_recursion, 0
	.set _ZN7rocprim17ROCPRIM_400000_NS6detail17trampoline_kernelINS0_13select_configILj256ELj13ELNS0_17block_load_methodE3ELS4_3ELS4_3ELNS0_20block_scan_algorithmE0ELj4294967295EEENS1_25partition_config_selectorILNS1_17partition_subalgoE4EjNS0_10empty_typeEbEEZZNS1_14partition_implILS8_4ELb0ES6_15HIP_vector_typeIjLj2EENS0_17counting_iteratorIjlEEPS9_SG_NS0_5tupleIJPjSI_NS0_16reverse_iteratorISI_EEEEENSH_IJSG_SG_SG_EEES9_SI_JZNS1_25segmented_radix_sort_implINS0_14default_configELb0EPKaPaPKlPlN2at6native12_GLOBAL__N_18offset_tEEE10hipError_tPvRmT1_PNSt15iterator_traitsIS12_E10value_typeET2_T3_PNS13_IS18_E10value_typeET4_jRbjT5_S1E_jjP12ihipStream_tbEUljE_ZNSN_ISO_Lb0ESQ_SR_ST_SU_SY_EESZ_S10_S11_S12_S16_S17_S18_S1B_S1C_jS1D_jS1E_S1E_jjS1G_bEUljE0_EEESZ_S10_S11_S18_S1C_S1E_T6_T7_T9_mT8_S1G_bDpT10_ENKUlT_T0_E_clISt17integral_constantIbLb1EES1U_EEDaS1P_S1Q_EUlS1P_E_NS1_11comp_targetILNS1_3genE8ELNS1_11target_archE1030ELNS1_3gpuE2ELNS1_3repE0EEENS1_30default_config_static_selectorELNS0_4arch9wavefront6targetE0EEEvS12_.has_indirect_call, 0
	.section	.AMDGPU.csdata,"",@progbits
; Kernel info:
; codeLenInByte = 4
; TotalNumSgprs: 0
; NumVgprs: 0
; ScratchSize: 0
; MemoryBound: 0
; FloatMode: 240
; IeeeMode: 1
; LDSByteSize: 0 bytes/workgroup (compile time only)
; SGPRBlocks: 0
; VGPRBlocks: 0
; NumSGPRsForWavesPerEU: 1
; NumVGPRsForWavesPerEU: 1
; Occupancy: 16
; WaveLimiterHint : 0
; COMPUTE_PGM_RSRC2:SCRATCH_EN: 0
; COMPUTE_PGM_RSRC2:USER_SGPR: 6
; COMPUTE_PGM_RSRC2:TRAP_HANDLER: 0
; COMPUTE_PGM_RSRC2:TGID_X_EN: 1
; COMPUTE_PGM_RSRC2:TGID_Y_EN: 0
; COMPUTE_PGM_RSRC2:TGID_Z_EN: 0
; COMPUTE_PGM_RSRC2:TIDIG_COMP_CNT: 0
	.section	.text._ZN7rocprim17ROCPRIM_400000_NS6detail17trampoline_kernelINS0_13select_configILj256ELj13ELNS0_17block_load_methodE3ELS4_3ELS4_3ELNS0_20block_scan_algorithmE0ELj4294967295EEENS1_25partition_config_selectorILNS1_17partition_subalgoE4EjNS0_10empty_typeEbEEZZNS1_14partition_implILS8_4ELb0ES6_15HIP_vector_typeIjLj2EENS0_17counting_iteratorIjlEEPS9_SG_NS0_5tupleIJPjSI_NS0_16reverse_iteratorISI_EEEEENSH_IJSG_SG_SG_EEES9_SI_JZNS1_25segmented_radix_sort_implINS0_14default_configELb0EPKaPaPKlPlN2at6native12_GLOBAL__N_18offset_tEEE10hipError_tPvRmT1_PNSt15iterator_traitsIS12_E10value_typeET2_T3_PNS13_IS18_E10value_typeET4_jRbjT5_S1E_jjP12ihipStream_tbEUljE_ZNSN_ISO_Lb0ESQ_SR_ST_SU_SY_EESZ_S10_S11_S12_S16_S17_S18_S1B_S1C_jS1D_jS1E_S1E_jjS1G_bEUljE0_EEESZ_S10_S11_S18_S1C_S1E_T6_T7_T9_mT8_S1G_bDpT10_ENKUlT_T0_E_clISt17integral_constantIbLb1EES1T_IbLb0EEEEDaS1P_S1Q_EUlS1P_E_NS1_11comp_targetILNS1_3genE0ELNS1_11target_archE4294967295ELNS1_3gpuE0ELNS1_3repE0EEENS1_30default_config_static_selectorELNS0_4arch9wavefront6targetE0EEEvS12_,"axG",@progbits,_ZN7rocprim17ROCPRIM_400000_NS6detail17trampoline_kernelINS0_13select_configILj256ELj13ELNS0_17block_load_methodE3ELS4_3ELS4_3ELNS0_20block_scan_algorithmE0ELj4294967295EEENS1_25partition_config_selectorILNS1_17partition_subalgoE4EjNS0_10empty_typeEbEEZZNS1_14partition_implILS8_4ELb0ES6_15HIP_vector_typeIjLj2EENS0_17counting_iteratorIjlEEPS9_SG_NS0_5tupleIJPjSI_NS0_16reverse_iteratorISI_EEEEENSH_IJSG_SG_SG_EEES9_SI_JZNS1_25segmented_radix_sort_implINS0_14default_configELb0EPKaPaPKlPlN2at6native12_GLOBAL__N_18offset_tEEE10hipError_tPvRmT1_PNSt15iterator_traitsIS12_E10value_typeET2_T3_PNS13_IS18_E10value_typeET4_jRbjT5_S1E_jjP12ihipStream_tbEUljE_ZNSN_ISO_Lb0ESQ_SR_ST_SU_SY_EESZ_S10_S11_S12_S16_S17_S18_S1B_S1C_jS1D_jS1E_S1E_jjS1G_bEUljE0_EEESZ_S10_S11_S18_S1C_S1E_T6_T7_T9_mT8_S1G_bDpT10_ENKUlT_T0_E_clISt17integral_constantIbLb1EES1T_IbLb0EEEEDaS1P_S1Q_EUlS1P_E_NS1_11comp_targetILNS1_3genE0ELNS1_11target_archE4294967295ELNS1_3gpuE0ELNS1_3repE0EEENS1_30default_config_static_selectorELNS0_4arch9wavefront6targetE0EEEvS12_,comdat
	.globl	_ZN7rocprim17ROCPRIM_400000_NS6detail17trampoline_kernelINS0_13select_configILj256ELj13ELNS0_17block_load_methodE3ELS4_3ELS4_3ELNS0_20block_scan_algorithmE0ELj4294967295EEENS1_25partition_config_selectorILNS1_17partition_subalgoE4EjNS0_10empty_typeEbEEZZNS1_14partition_implILS8_4ELb0ES6_15HIP_vector_typeIjLj2EENS0_17counting_iteratorIjlEEPS9_SG_NS0_5tupleIJPjSI_NS0_16reverse_iteratorISI_EEEEENSH_IJSG_SG_SG_EEES9_SI_JZNS1_25segmented_radix_sort_implINS0_14default_configELb0EPKaPaPKlPlN2at6native12_GLOBAL__N_18offset_tEEE10hipError_tPvRmT1_PNSt15iterator_traitsIS12_E10value_typeET2_T3_PNS13_IS18_E10value_typeET4_jRbjT5_S1E_jjP12ihipStream_tbEUljE_ZNSN_ISO_Lb0ESQ_SR_ST_SU_SY_EESZ_S10_S11_S12_S16_S17_S18_S1B_S1C_jS1D_jS1E_S1E_jjS1G_bEUljE0_EEESZ_S10_S11_S18_S1C_S1E_T6_T7_T9_mT8_S1G_bDpT10_ENKUlT_T0_E_clISt17integral_constantIbLb1EES1T_IbLb0EEEEDaS1P_S1Q_EUlS1P_E_NS1_11comp_targetILNS1_3genE0ELNS1_11target_archE4294967295ELNS1_3gpuE0ELNS1_3repE0EEENS1_30default_config_static_selectorELNS0_4arch9wavefront6targetE0EEEvS12_ ; -- Begin function _ZN7rocprim17ROCPRIM_400000_NS6detail17trampoline_kernelINS0_13select_configILj256ELj13ELNS0_17block_load_methodE3ELS4_3ELS4_3ELNS0_20block_scan_algorithmE0ELj4294967295EEENS1_25partition_config_selectorILNS1_17partition_subalgoE4EjNS0_10empty_typeEbEEZZNS1_14partition_implILS8_4ELb0ES6_15HIP_vector_typeIjLj2EENS0_17counting_iteratorIjlEEPS9_SG_NS0_5tupleIJPjSI_NS0_16reverse_iteratorISI_EEEEENSH_IJSG_SG_SG_EEES9_SI_JZNS1_25segmented_radix_sort_implINS0_14default_configELb0EPKaPaPKlPlN2at6native12_GLOBAL__N_18offset_tEEE10hipError_tPvRmT1_PNSt15iterator_traitsIS12_E10value_typeET2_T3_PNS13_IS18_E10value_typeET4_jRbjT5_S1E_jjP12ihipStream_tbEUljE_ZNSN_ISO_Lb0ESQ_SR_ST_SU_SY_EESZ_S10_S11_S12_S16_S17_S18_S1B_S1C_jS1D_jS1E_S1E_jjS1G_bEUljE0_EEESZ_S10_S11_S18_S1C_S1E_T6_T7_T9_mT8_S1G_bDpT10_ENKUlT_T0_E_clISt17integral_constantIbLb1EES1T_IbLb0EEEEDaS1P_S1Q_EUlS1P_E_NS1_11comp_targetILNS1_3genE0ELNS1_11target_archE4294967295ELNS1_3gpuE0ELNS1_3repE0EEENS1_30default_config_static_selectorELNS0_4arch9wavefront6targetE0EEEvS12_
	.p2align	8
	.type	_ZN7rocprim17ROCPRIM_400000_NS6detail17trampoline_kernelINS0_13select_configILj256ELj13ELNS0_17block_load_methodE3ELS4_3ELS4_3ELNS0_20block_scan_algorithmE0ELj4294967295EEENS1_25partition_config_selectorILNS1_17partition_subalgoE4EjNS0_10empty_typeEbEEZZNS1_14partition_implILS8_4ELb0ES6_15HIP_vector_typeIjLj2EENS0_17counting_iteratorIjlEEPS9_SG_NS0_5tupleIJPjSI_NS0_16reverse_iteratorISI_EEEEENSH_IJSG_SG_SG_EEES9_SI_JZNS1_25segmented_radix_sort_implINS0_14default_configELb0EPKaPaPKlPlN2at6native12_GLOBAL__N_18offset_tEEE10hipError_tPvRmT1_PNSt15iterator_traitsIS12_E10value_typeET2_T3_PNS13_IS18_E10value_typeET4_jRbjT5_S1E_jjP12ihipStream_tbEUljE_ZNSN_ISO_Lb0ESQ_SR_ST_SU_SY_EESZ_S10_S11_S12_S16_S17_S18_S1B_S1C_jS1D_jS1E_S1E_jjS1G_bEUljE0_EEESZ_S10_S11_S18_S1C_S1E_T6_T7_T9_mT8_S1G_bDpT10_ENKUlT_T0_E_clISt17integral_constantIbLb1EES1T_IbLb0EEEEDaS1P_S1Q_EUlS1P_E_NS1_11comp_targetILNS1_3genE0ELNS1_11target_archE4294967295ELNS1_3gpuE0ELNS1_3repE0EEENS1_30default_config_static_selectorELNS0_4arch9wavefront6targetE0EEEvS12_,@function
_ZN7rocprim17ROCPRIM_400000_NS6detail17trampoline_kernelINS0_13select_configILj256ELj13ELNS0_17block_load_methodE3ELS4_3ELS4_3ELNS0_20block_scan_algorithmE0ELj4294967295EEENS1_25partition_config_selectorILNS1_17partition_subalgoE4EjNS0_10empty_typeEbEEZZNS1_14partition_implILS8_4ELb0ES6_15HIP_vector_typeIjLj2EENS0_17counting_iteratorIjlEEPS9_SG_NS0_5tupleIJPjSI_NS0_16reverse_iteratorISI_EEEEENSH_IJSG_SG_SG_EEES9_SI_JZNS1_25segmented_radix_sort_implINS0_14default_configELb0EPKaPaPKlPlN2at6native12_GLOBAL__N_18offset_tEEE10hipError_tPvRmT1_PNSt15iterator_traitsIS12_E10value_typeET2_T3_PNS13_IS18_E10value_typeET4_jRbjT5_S1E_jjP12ihipStream_tbEUljE_ZNSN_ISO_Lb0ESQ_SR_ST_SU_SY_EESZ_S10_S11_S12_S16_S17_S18_S1B_S1C_jS1D_jS1E_S1E_jjS1G_bEUljE0_EEESZ_S10_S11_S18_S1C_S1E_T6_T7_T9_mT8_S1G_bDpT10_ENKUlT_T0_E_clISt17integral_constantIbLb1EES1T_IbLb0EEEEDaS1P_S1Q_EUlS1P_E_NS1_11comp_targetILNS1_3genE0ELNS1_11target_archE4294967295ELNS1_3gpuE0ELNS1_3repE0EEENS1_30default_config_static_selectorELNS0_4arch9wavefront6targetE0EEEvS12_: ; @_ZN7rocprim17ROCPRIM_400000_NS6detail17trampoline_kernelINS0_13select_configILj256ELj13ELNS0_17block_load_methodE3ELS4_3ELS4_3ELNS0_20block_scan_algorithmE0ELj4294967295EEENS1_25partition_config_selectorILNS1_17partition_subalgoE4EjNS0_10empty_typeEbEEZZNS1_14partition_implILS8_4ELb0ES6_15HIP_vector_typeIjLj2EENS0_17counting_iteratorIjlEEPS9_SG_NS0_5tupleIJPjSI_NS0_16reverse_iteratorISI_EEEEENSH_IJSG_SG_SG_EEES9_SI_JZNS1_25segmented_radix_sort_implINS0_14default_configELb0EPKaPaPKlPlN2at6native12_GLOBAL__N_18offset_tEEE10hipError_tPvRmT1_PNSt15iterator_traitsIS12_E10value_typeET2_T3_PNS13_IS18_E10value_typeET4_jRbjT5_S1E_jjP12ihipStream_tbEUljE_ZNSN_ISO_Lb0ESQ_SR_ST_SU_SY_EESZ_S10_S11_S12_S16_S17_S18_S1B_S1C_jS1D_jS1E_S1E_jjS1G_bEUljE0_EEESZ_S10_S11_S18_S1C_S1E_T6_T7_T9_mT8_S1G_bDpT10_ENKUlT_T0_E_clISt17integral_constantIbLb1EES1T_IbLb0EEEEDaS1P_S1Q_EUlS1P_E_NS1_11comp_targetILNS1_3genE0ELNS1_11target_archE4294967295ELNS1_3gpuE0ELNS1_3repE0EEENS1_30default_config_static_selectorELNS0_4arch9wavefront6targetE0EEEvS12_
; %bb.0:
	.section	.rodata,"a",@progbits
	.p2align	6, 0x0
	.amdhsa_kernel _ZN7rocprim17ROCPRIM_400000_NS6detail17trampoline_kernelINS0_13select_configILj256ELj13ELNS0_17block_load_methodE3ELS4_3ELS4_3ELNS0_20block_scan_algorithmE0ELj4294967295EEENS1_25partition_config_selectorILNS1_17partition_subalgoE4EjNS0_10empty_typeEbEEZZNS1_14partition_implILS8_4ELb0ES6_15HIP_vector_typeIjLj2EENS0_17counting_iteratorIjlEEPS9_SG_NS0_5tupleIJPjSI_NS0_16reverse_iteratorISI_EEEEENSH_IJSG_SG_SG_EEES9_SI_JZNS1_25segmented_radix_sort_implINS0_14default_configELb0EPKaPaPKlPlN2at6native12_GLOBAL__N_18offset_tEEE10hipError_tPvRmT1_PNSt15iterator_traitsIS12_E10value_typeET2_T3_PNS13_IS18_E10value_typeET4_jRbjT5_S1E_jjP12ihipStream_tbEUljE_ZNSN_ISO_Lb0ESQ_SR_ST_SU_SY_EESZ_S10_S11_S12_S16_S17_S18_S1B_S1C_jS1D_jS1E_S1E_jjS1G_bEUljE0_EEESZ_S10_S11_S18_S1C_S1E_T6_T7_T9_mT8_S1G_bDpT10_ENKUlT_T0_E_clISt17integral_constantIbLb1EES1T_IbLb0EEEEDaS1P_S1Q_EUlS1P_E_NS1_11comp_targetILNS1_3genE0ELNS1_11target_archE4294967295ELNS1_3gpuE0ELNS1_3repE0EEENS1_30default_config_static_selectorELNS0_4arch9wavefront6targetE0EEEvS12_
		.amdhsa_group_segment_fixed_size 0
		.amdhsa_private_segment_fixed_size 0
		.amdhsa_kernarg_size 176
		.amdhsa_user_sgpr_count 6
		.amdhsa_user_sgpr_private_segment_buffer 1
		.amdhsa_user_sgpr_dispatch_ptr 0
		.amdhsa_user_sgpr_queue_ptr 0
		.amdhsa_user_sgpr_kernarg_segment_ptr 1
		.amdhsa_user_sgpr_dispatch_id 0
		.amdhsa_user_sgpr_flat_scratch_init 0
		.amdhsa_user_sgpr_private_segment_size 0
		.amdhsa_wavefront_size32 1
		.amdhsa_uses_dynamic_stack 0
		.amdhsa_system_sgpr_private_segment_wavefront_offset 0
		.amdhsa_system_sgpr_workgroup_id_x 1
		.amdhsa_system_sgpr_workgroup_id_y 0
		.amdhsa_system_sgpr_workgroup_id_z 0
		.amdhsa_system_sgpr_workgroup_info 0
		.amdhsa_system_vgpr_workitem_id 0
		.amdhsa_next_free_vgpr 1
		.amdhsa_next_free_sgpr 1
		.amdhsa_reserve_vcc 0
		.amdhsa_reserve_flat_scratch 0
		.amdhsa_float_round_mode_32 0
		.amdhsa_float_round_mode_16_64 0
		.amdhsa_float_denorm_mode_32 3
		.amdhsa_float_denorm_mode_16_64 3
		.amdhsa_dx10_clamp 1
		.amdhsa_ieee_mode 1
		.amdhsa_fp16_overflow 0
		.amdhsa_workgroup_processor_mode 1
		.amdhsa_memory_ordered 1
		.amdhsa_forward_progress 1
		.amdhsa_shared_vgpr_count 0
		.amdhsa_exception_fp_ieee_invalid_op 0
		.amdhsa_exception_fp_denorm_src 0
		.amdhsa_exception_fp_ieee_div_zero 0
		.amdhsa_exception_fp_ieee_overflow 0
		.amdhsa_exception_fp_ieee_underflow 0
		.amdhsa_exception_fp_ieee_inexact 0
		.amdhsa_exception_int_div_zero 0
	.end_amdhsa_kernel
	.section	.text._ZN7rocprim17ROCPRIM_400000_NS6detail17trampoline_kernelINS0_13select_configILj256ELj13ELNS0_17block_load_methodE3ELS4_3ELS4_3ELNS0_20block_scan_algorithmE0ELj4294967295EEENS1_25partition_config_selectorILNS1_17partition_subalgoE4EjNS0_10empty_typeEbEEZZNS1_14partition_implILS8_4ELb0ES6_15HIP_vector_typeIjLj2EENS0_17counting_iteratorIjlEEPS9_SG_NS0_5tupleIJPjSI_NS0_16reverse_iteratorISI_EEEEENSH_IJSG_SG_SG_EEES9_SI_JZNS1_25segmented_radix_sort_implINS0_14default_configELb0EPKaPaPKlPlN2at6native12_GLOBAL__N_18offset_tEEE10hipError_tPvRmT1_PNSt15iterator_traitsIS12_E10value_typeET2_T3_PNS13_IS18_E10value_typeET4_jRbjT5_S1E_jjP12ihipStream_tbEUljE_ZNSN_ISO_Lb0ESQ_SR_ST_SU_SY_EESZ_S10_S11_S12_S16_S17_S18_S1B_S1C_jS1D_jS1E_S1E_jjS1G_bEUljE0_EEESZ_S10_S11_S18_S1C_S1E_T6_T7_T9_mT8_S1G_bDpT10_ENKUlT_T0_E_clISt17integral_constantIbLb1EES1T_IbLb0EEEEDaS1P_S1Q_EUlS1P_E_NS1_11comp_targetILNS1_3genE0ELNS1_11target_archE4294967295ELNS1_3gpuE0ELNS1_3repE0EEENS1_30default_config_static_selectorELNS0_4arch9wavefront6targetE0EEEvS12_,"axG",@progbits,_ZN7rocprim17ROCPRIM_400000_NS6detail17trampoline_kernelINS0_13select_configILj256ELj13ELNS0_17block_load_methodE3ELS4_3ELS4_3ELNS0_20block_scan_algorithmE0ELj4294967295EEENS1_25partition_config_selectorILNS1_17partition_subalgoE4EjNS0_10empty_typeEbEEZZNS1_14partition_implILS8_4ELb0ES6_15HIP_vector_typeIjLj2EENS0_17counting_iteratorIjlEEPS9_SG_NS0_5tupleIJPjSI_NS0_16reverse_iteratorISI_EEEEENSH_IJSG_SG_SG_EEES9_SI_JZNS1_25segmented_radix_sort_implINS0_14default_configELb0EPKaPaPKlPlN2at6native12_GLOBAL__N_18offset_tEEE10hipError_tPvRmT1_PNSt15iterator_traitsIS12_E10value_typeET2_T3_PNS13_IS18_E10value_typeET4_jRbjT5_S1E_jjP12ihipStream_tbEUljE_ZNSN_ISO_Lb0ESQ_SR_ST_SU_SY_EESZ_S10_S11_S12_S16_S17_S18_S1B_S1C_jS1D_jS1E_S1E_jjS1G_bEUljE0_EEESZ_S10_S11_S18_S1C_S1E_T6_T7_T9_mT8_S1G_bDpT10_ENKUlT_T0_E_clISt17integral_constantIbLb1EES1T_IbLb0EEEEDaS1P_S1Q_EUlS1P_E_NS1_11comp_targetILNS1_3genE0ELNS1_11target_archE4294967295ELNS1_3gpuE0ELNS1_3repE0EEENS1_30default_config_static_selectorELNS0_4arch9wavefront6targetE0EEEvS12_,comdat
.Lfunc_end342:
	.size	_ZN7rocprim17ROCPRIM_400000_NS6detail17trampoline_kernelINS0_13select_configILj256ELj13ELNS0_17block_load_methodE3ELS4_3ELS4_3ELNS0_20block_scan_algorithmE0ELj4294967295EEENS1_25partition_config_selectorILNS1_17partition_subalgoE4EjNS0_10empty_typeEbEEZZNS1_14partition_implILS8_4ELb0ES6_15HIP_vector_typeIjLj2EENS0_17counting_iteratorIjlEEPS9_SG_NS0_5tupleIJPjSI_NS0_16reverse_iteratorISI_EEEEENSH_IJSG_SG_SG_EEES9_SI_JZNS1_25segmented_radix_sort_implINS0_14default_configELb0EPKaPaPKlPlN2at6native12_GLOBAL__N_18offset_tEEE10hipError_tPvRmT1_PNSt15iterator_traitsIS12_E10value_typeET2_T3_PNS13_IS18_E10value_typeET4_jRbjT5_S1E_jjP12ihipStream_tbEUljE_ZNSN_ISO_Lb0ESQ_SR_ST_SU_SY_EESZ_S10_S11_S12_S16_S17_S18_S1B_S1C_jS1D_jS1E_S1E_jjS1G_bEUljE0_EEESZ_S10_S11_S18_S1C_S1E_T6_T7_T9_mT8_S1G_bDpT10_ENKUlT_T0_E_clISt17integral_constantIbLb1EES1T_IbLb0EEEEDaS1P_S1Q_EUlS1P_E_NS1_11comp_targetILNS1_3genE0ELNS1_11target_archE4294967295ELNS1_3gpuE0ELNS1_3repE0EEENS1_30default_config_static_selectorELNS0_4arch9wavefront6targetE0EEEvS12_, .Lfunc_end342-_ZN7rocprim17ROCPRIM_400000_NS6detail17trampoline_kernelINS0_13select_configILj256ELj13ELNS0_17block_load_methodE3ELS4_3ELS4_3ELNS0_20block_scan_algorithmE0ELj4294967295EEENS1_25partition_config_selectorILNS1_17partition_subalgoE4EjNS0_10empty_typeEbEEZZNS1_14partition_implILS8_4ELb0ES6_15HIP_vector_typeIjLj2EENS0_17counting_iteratorIjlEEPS9_SG_NS0_5tupleIJPjSI_NS0_16reverse_iteratorISI_EEEEENSH_IJSG_SG_SG_EEES9_SI_JZNS1_25segmented_radix_sort_implINS0_14default_configELb0EPKaPaPKlPlN2at6native12_GLOBAL__N_18offset_tEEE10hipError_tPvRmT1_PNSt15iterator_traitsIS12_E10value_typeET2_T3_PNS13_IS18_E10value_typeET4_jRbjT5_S1E_jjP12ihipStream_tbEUljE_ZNSN_ISO_Lb0ESQ_SR_ST_SU_SY_EESZ_S10_S11_S12_S16_S17_S18_S1B_S1C_jS1D_jS1E_S1E_jjS1G_bEUljE0_EEESZ_S10_S11_S18_S1C_S1E_T6_T7_T9_mT8_S1G_bDpT10_ENKUlT_T0_E_clISt17integral_constantIbLb1EES1T_IbLb0EEEEDaS1P_S1Q_EUlS1P_E_NS1_11comp_targetILNS1_3genE0ELNS1_11target_archE4294967295ELNS1_3gpuE0ELNS1_3repE0EEENS1_30default_config_static_selectorELNS0_4arch9wavefront6targetE0EEEvS12_
                                        ; -- End function
	.set _ZN7rocprim17ROCPRIM_400000_NS6detail17trampoline_kernelINS0_13select_configILj256ELj13ELNS0_17block_load_methodE3ELS4_3ELS4_3ELNS0_20block_scan_algorithmE0ELj4294967295EEENS1_25partition_config_selectorILNS1_17partition_subalgoE4EjNS0_10empty_typeEbEEZZNS1_14partition_implILS8_4ELb0ES6_15HIP_vector_typeIjLj2EENS0_17counting_iteratorIjlEEPS9_SG_NS0_5tupleIJPjSI_NS0_16reverse_iteratorISI_EEEEENSH_IJSG_SG_SG_EEES9_SI_JZNS1_25segmented_radix_sort_implINS0_14default_configELb0EPKaPaPKlPlN2at6native12_GLOBAL__N_18offset_tEEE10hipError_tPvRmT1_PNSt15iterator_traitsIS12_E10value_typeET2_T3_PNS13_IS18_E10value_typeET4_jRbjT5_S1E_jjP12ihipStream_tbEUljE_ZNSN_ISO_Lb0ESQ_SR_ST_SU_SY_EESZ_S10_S11_S12_S16_S17_S18_S1B_S1C_jS1D_jS1E_S1E_jjS1G_bEUljE0_EEESZ_S10_S11_S18_S1C_S1E_T6_T7_T9_mT8_S1G_bDpT10_ENKUlT_T0_E_clISt17integral_constantIbLb1EES1T_IbLb0EEEEDaS1P_S1Q_EUlS1P_E_NS1_11comp_targetILNS1_3genE0ELNS1_11target_archE4294967295ELNS1_3gpuE0ELNS1_3repE0EEENS1_30default_config_static_selectorELNS0_4arch9wavefront6targetE0EEEvS12_.num_vgpr, 0
	.set _ZN7rocprim17ROCPRIM_400000_NS6detail17trampoline_kernelINS0_13select_configILj256ELj13ELNS0_17block_load_methodE3ELS4_3ELS4_3ELNS0_20block_scan_algorithmE0ELj4294967295EEENS1_25partition_config_selectorILNS1_17partition_subalgoE4EjNS0_10empty_typeEbEEZZNS1_14partition_implILS8_4ELb0ES6_15HIP_vector_typeIjLj2EENS0_17counting_iteratorIjlEEPS9_SG_NS0_5tupleIJPjSI_NS0_16reverse_iteratorISI_EEEEENSH_IJSG_SG_SG_EEES9_SI_JZNS1_25segmented_radix_sort_implINS0_14default_configELb0EPKaPaPKlPlN2at6native12_GLOBAL__N_18offset_tEEE10hipError_tPvRmT1_PNSt15iterator_traitsIS12_E10value_typeET2_T3_PNS13_IS18_E10value_typeET4_jRbjT5_S1E_jjP12ihipStream_tbEUljE_ZNSN_ISO_Lb0ESQ_SR_ST_SU_SY_EESZ_S10_S11_S12_S16_S17_S18_S1B_S1C_jS1D_jS1E_S1E_jjS1G_bEUljE0_EEESZ_S10_S11_S18_S1C_S1E_T6_T7_T9_mT8_S1G_bDpT10_ENKUlT_T0_E_clISt17integral_constantIbLb1EES1T_IbLb0EEEEDaS1P_S1Q_EUlS1P_E_NS1_11comp_targetILNS1_3genE0ELNS1_11target_archE4294967295ELNS1_3gpuE0ELNS1_3repE0EEENS1_30default_config_static_selectorELNS0_4arch9wavefront6targetE0EEEvS12_.num_agpr, 0
	.set _ZN7rocprim17ROCPRIM_400000_NS6detail17trampoline_kernelINS0_13select_configILj256ELj13ELNS0_17block_load_methodE3ELS4_3ELS4_3ELNS0_20block_scan_algorithmE0ELj4294967295EEENS1_25partition_config_selectorILNS1_17partition_subalgoE4EjNS0_10empty_typeEbEEZZNS1_14partition_implILS8_4ELb0ES6_15HIP_vector_typeIjLj2EENS0_17counting_iteratorIjlEEPS9_SG_NS0_5tupleIJPjSI_NS0_16reverse_iteratorISI_EEEEENSH_IJSG_SG_SG_EEES9_SI_JZNS1_25segmented_radix_sort_implINS0_14default_configELb0EPKaPaPKlPlN2at6native12_GLOBAL__N_18offset_tEEE10hipError_tPvRmT1_PNSt15iterator_traitsIS12_E10value_typeET2_T3_PNS13_IS18_E10value_typeET4_jRbjT5_S1E_jjP12ihipStream_tbEUljE_ZNSN_ISO_Lb0ESQ_SR_ST_SU_SY_EESZ_S10_S11_S12_S16_S17_S18_S1B_S1C_jS1D_jS1E_S1E_jjS1G_bEUljE0_EEESZ_S10_S11_S18_S1C_S1E_T6_T7_T9_mT8_S1G_bDpT10_ENKUlT_T0_E_clISt17integral_constantIbLb1EES1T_IbLb0EEEEDaS1P_S1Q_EUlS1P_E_NS1_11comp_targetILNS1_3genE0ELNS1_11target_archE4294967295ELNS1_3gpuE0ELNS1_3repE0EEENS1_30default_config_static_selectorELNS0_4arch9wavefront6targetE0EEEvS12_.numbered_sgpr, 0
	.set _ZN7rocprim17ROCPRIM_400000_NS6detail17trampoline_kernelINS0_13select_configILj256ELj13ELNS0_17block_load_methodE3ELS4_3ELS4_3ELNS0_20block_scan_algorithmE0ELj4294967295EEENS1_25partition_config_selectorILNS1_17partition_subalgoE4EjNS0_10empty_typeEbEEZZNS1_14partition_implILS8_4ELb0ES6_15HIP_vector_typeIjLj2EENS0_17counting_iteratorIjlEEPS9_SG_NS0_5tupleIJPjSI_NS0_16reverse_iteratorISI_EEEEENSH_IJSG_SG_SG_EEES9_SI_JZNS1_25segmented_radix_sort_implINS0_14default_configELb0EPKaPaPKlPlN2at6native12_GLOBAL__N_18offset_tEEE10hipError_tPvRmT1_PNSt15iterator_traitsIS12_E10value_typeET2_T3_PNS13_IS18_E10value_typeET4_jRbjT5_S1E_jjP12ihipStream_tbEUljE_ZNSN_ISO_Lb0ESQ_SR_ST_SU_SY_EESZ_S10_S11_S12_S16_S17_S18_S1B_S1C_jS1D_jS1E_S1E_jjS1G_bEUljE0_EEESZ_S10_S11_S18_S1C_S1E_T6_T7_T9_mT8_S1G_bDpT10_ENKUlT_T0_E_clISt17integral_constantIbLb1EES1T_IbLb0EEEEDaS1P_S1Q_EUlS1P_E_NS1_11comp_targetILNS1_3genE0ELNS1_11target_archE4294967295ELNS1_3gpuE0ELNS1_3repE0EEENS1_30default_config_static_selectorELNS0_4arch9wavefront6targetE0EEEvS12_.num_named_barrier, 0
	.set _ZN7rocprim17ROCPRIM_400000_NS6detail17trampoline_kernelINS0_13select_configILj256ELj13ELNS0_17block_load_methodE3ELS4_3ELS4_3ELNS0_20block_scan_algorithmE0ELj4294967295EEENS1_25partition_config_selectorILNS1_17partition_subalgoE4EjNS0_10empty_typeEbEEZZNS1_14partition_implILS8_4ELb0ES6_15HIP_vector_typeIjLj2EENS0_17counting_iteratorIjlEEPS9_SG_NS0_5tupleIJPjSI_NS0_16reverse_iteratorISI_EEEEENSH_IJSG_SG_SG_EEES9_SI_JZNS1_25segmented_radix_sort_implINS0_14default_configELb0EPKaPaPKlPlN2at6native12_GLOBAL__N_18offset_tEEE10hipError_tPvRmT1_PNSt15iterator_traitsIS12_E10value_typeET2_T3_PNS13_IS18_E10value_typeET4_jRbjT5_S1E_jjP12ihipStream_tbEUljE_ZNSN_ISO_Lb0ESQ_SR_ST_SU_SY_EESZ_S10_S11_S12_S16_S17_S18_S1B_S1C_jS1D_jS1E_S1E_jjS1G_bEUljE0_EEESZ_S10_S11_S18_S1C_S1E_T6_T7_T9_mT8_S1G_bDpT10_ENKUlT_T0_E_clISt17integral_constantIbLb1EES1T_IbLb0EEEEDaS1P_S1Q_EUlS1P_E_NS1_11comp_targetILNS1_3genE0ELNS1_11target_archE4294967295ELNS1_3gpuE0ELNS1_3repE0EEENS1_30default_config_static_selectorELNS0_4arch9wavefront6targetE0EEEvS12_.private_seg_size, 0
	.set _ZN7rocprim17ROCPRIM_400000_NS6detail17trampoline_kernelINS0_13select_configILj256ELj13ELNS0_17block_load_methodE3ELS4_3ELS4_3ELNS0_20block_scan_algorithmE0ELj4294967295EEENS1_25partition_config_selectorILNS1_17partition_subalgoE4EjNS0_10empty_typeEbEEZZNS1_14partition_implILS8_4ELb0ES6_15HIP_vector_typeIjLj2EENS0_17counting_iteratorIjlEEPS9_SG_NS0_5tupleIJPjSI_NS0_16reverse_iteratorISI_EEEEENSH_IJSG_SG_SG_EEES9_SI_JZNS1_25segmented_radix_sort_implINS0_14default_configELb0EPKaPaPKlPlN2at6native12_GLOBAL__N_18offset_tEEE10hipError_tPvRmT1_PNSt15iterator_traitsIS12_E10value_typeET2_T3_PNS13_IS18_E10value_typeET4_jRbjT5_S1E_jjP12ihipStream_tbEUljE_ZNSN_ISO_Lb0ESQ_SR_ST_SU_SY_EESZ_S10_S11_S12_S16_S17_S18_S1B_S1C_jS1D_jS1E_S1E_jjS1G_bEUljE0_EEESZ_S10_S11_S18_S1C_S1E_T6_T7_T9_mT8_S1G_bDpT10_ENKUlT_T0_E_clISt17integral_constantIbLb1EES1T_IbLb0EEEEDaS1P_S1Q_EUlS1P_E_NS1_11comp_targetILNS1_3genE0ELNS1_11target_archE4294967295ELNS1_3gpuE0ELNS1_3repE0EEENS1_30default_config_static_selectorELNS0_4arch9wavefront6targetE0EEEvS12_.uses_vcc, 0
	.set _ZN7rocprim17ROCPRIM_400000_NS6detail17trampoline_kernelINS0_13select_configILj256ELj13ELNS0_17block_load_methodE3ELS4_3ELS4_3ELNS0_20block_scan_algorithmE0ELj4294967295EEENS1_25partition_config_selectorILNS1_17partition_subalgoE4EjNS0_10empty_typeEbEEZZNS1_14partition_implILS8_4ELb0ES6_15HIP_vector_typeIjLj2EENS0_17counting_iteratorIjlEEPS9_SG_NS0_5tupleIJPjSI_NS0_16reverse_iteratorISI_EEEEENSH_IJSG_SG_SG_EEES9_SI_JZNS1_25segmented_radix_sort_implINS0_14default_configELb0EPKaPaPKlPlN2at6native12_GLOBAL__N_18offset_tEEE10hipError_tPvRmT1_PNSt15iterator_traitsIS12_E10value_typeET2_T3_PNS13_IS18_E10value_typeET4_jRbjT5_S1E_jjP12ihipStream_tbEUljE_ZNSN_ISO_Lb0ESQ_SR_ST_SU_SY_EESZ_S10_S11_S12_S16_S17_S18_S1B_S1C_jS1D_jS1E_S1E_jjS1G_bEUljE0_EEESZ_S10_S11_S18_S1C_S1E_T6_T7_T9_mT8_S1G_bDpT10_ENKUlT_T0_E_clISt17integral_constantIbLb1EES1T_IbLb0EEEEDaS1P_S1Q_EUlS1P_E_NS1_11comp_targetILNS1_3genE0ELNS1_11target_archE4294967295ELNS1_3gpuE0ELNS1_3repE0EEENS1_30default_config_static_selectorELNS0_4arch9wavefront6targetE0EEEvS12_.uses_flat_scratch, 0
	.set _ZN7rocprim17ROCPRIM_400000_NS6detail17trampoline_kernelINS0_13select_configILj256ELj13ELNS0_17block_load_methodE3ELS4_3ELS4_3ELNS0_20block_scan_algorithmE0ELj4294967295EEENS1_25partition_config_selectorILNS1_17partition_subalgoE4EjNS0_10empty_typeEbEEZZNS1_14partition_implILS8_4ELb0ES6_15HIP_vector_typeIjLj2EENS0_17counting_iteratorIjlEEPS9_SG_NS0_5tupleIJPjSI_NS0_16reverse_iteratorISI_EEEEENSH_IJSG_SG_SG_EEES9_SI_JZNS1_25segmented_radix_sort_implINS0_14default_configELb0EPKaPaPKlPlN2at6native12_GLOBAL__N_18offset_tEEE10hipError_tPvRmT1_PNSt15iterator_traitsIS12_E10value_typeET2_T3_PNS13_IS18_E10value_typeET4_jRbjT5_S1E_jjP12ihipStream_tbEUljE_ZNSN_ISO_Lb0ESQ_SR_ST_SU_SY_EESZ_S10_S11_S12_S16_S17_S18_S1B_S1C_jS1D_jS1E_S1E_jjS1G_bEUljE0_EEESZ_S10_S11_S18_S1C_S1E_T6_T7_T9_mT8_S1G_bDpT10_ENKUlT_T0_E_clISt17integral_constantIbLb1EES1T_IbLb0EEEEDaS1P_S1Q_EUlS1P_E_NS1_11comp_targetILNS1_3genE0ELNS1_11target_archE4294967295ELNS1_3gpuE0ELNS1_3repE0EEENS1_30default_config_static_selectorELNS0_4arch9wavefront6targetE0EEEvS12_.has_dyn_sized_stack, 0
	.set _ZN7rocprim17ROCPRIM_400000_NS6detail17trampoline_kernelINS0_13select_configILj256ELj13ELNS0_17block_load_methodE3ELS4_3ELS4_3ELNS0_20block_scan_algorithmE0ELj4294967295EEENS1_25partition_config_selectorILNS1_17partition_subalgoE4EjNS0_10empty_typeEbEEZZNS1_14partition_implILS8_4ELb0ES6_15HIP_vector_typeIjLj2EENS0_17counting_iteratorIjlEEPS9_SG_NS0_5tupleIJPjSI_NS0_16reverse_iteratorISI_EEEEENSH_IJSG_SG_SG_EEES9_SI_JZNS1_25segmented_radix_sort_implINS0_14default_configELb0EPKaPaPKlPlN2at6native12_GLOBAL__N_18offset_tEEE10hipError_tPvRmT1_PNSt15iterator_traitsIS12_E10value_typeET2_T3_PNS13_IS18_E10value_typeET4_jRbjT5_S1E_jjP12ihipStream_tbEUljE_ZNSN_ISO_Lb0ESQ_SR_ST_SU_SY_EESZ_S10_S11_S12_S16_S17_S18_S1B_S1C_jS1D_jS1E_S1E_jjS1G_bEUljE0_EEESZ_S10_S11_S18_S1C_S1E_T6_T7_T9_mT8_S1G_bDpT10_ENKUlT_T0_E_clISt17integral_constantIbLb1EES1T_IbLb0EEEEDaS1P_S1Q_EUlS1P_E_NS1_11comp_targetILNS1_3genE0ELNS1_11target_archE4294967295ELNS1_3gpuE0ELNS1_3repE0EEENS1_30default_config_static_selectorELNS0_4arch9wavefront6targetE0EEEvS12_.has_recursion, 0
	.set _ZN7rocprim17ROCPRIM_400000_NS6detail17trampoline_kernelINS0_13select_configILj256ELj13ELNS0_17block_load_methodE3ELS4_3ELS4_3ELNS0_20block_scan_algorithmE0ELj4294967295EEENS1_25partition_config_selectorILNS1_17partition_subalgoE4EjNS0_10empty_typeEbEEZZNS1_14partition_implILS8_4ELb0ES6_15HIP_vector_typeIjLj2EENS0_17counting_iteratorIjlEEPS9_SG_NS0_5tupleIJPjSI_NS0_16reverse_iteratorISI_EEEEENSH_IJSG_SG_SG_EEES9_SI_JZNS1_25segmented_radix_sort_implINS0_14default_configELb0EPKaPaPKlPlN2at6native12_GLOBAL__N_18offset_tEEE10hipError_tPvRmT1_PNSt15iterator_traitsIS12_E10value_typeET2_T3_PNS13_IS18_E10value_typeET4_jRbjT5_S1E_jjP12ihipStream_tbEUljE_ZNSN_ISO_Lb0ESQ_SR_ST_SU_SY_EESZ_S10_S11_S12_S16_S17_S18_S1B_S1C_jS1D_jS1E_S1E_jjS1G_bEUljE0_EEESZ_S10_S11_S18_S1C_S1E_T6_T7_T9_mT8_S1G_bDpT10_ENKUlT_T0_E_clISt17integral_constantIbLb1EES1T_IbLb0EEEEDaS1P_S1Q_EUlS1P_E_NS1_11comp_targetILNS1_3genE0ELNS1_11target_archE4294967295ELNS1_3gpuE0ELNS1_3repE0EEENS1_30default_config_static_selectorELNS0_4arch9wavefront6targetE0EEEvS12_.has_indirect_call, 0
	.section	.AMDGPU.csdata,"",@progbits
; Kernel info:
; codeLenInByte = 0
; TotalNumSgprs: 0
; NumVgprs: 0
; ScratchSize: 0
; MemoryBound: 0
; FloatMode: 240
; IeeeMode: 1
; LDSByteSize: 0 bytes/workgroup (compile time only)
; SGPRBlocks: 0
; VGPRBlocks: 0
; NumSGPRsForWavesPerEU: 1
; NumVGPRsForWavesPerEU: 1
; Occupancy: 16
; WaveLimiterHint : 0
; COMPUTE_PGM_RSRC2:SCRATCH_EN: 0
; COMPUTE_PGM_RSRC2:USER_SGPR: 6
; COMPUTE_PGM_RSRC2:TRAP_HANDLER: 0
; COMPUTE_PGM_RSRC2:TGID_X_EN: 1
; COMPUTE_PGM_RSRC2:TGID_Y_EN: 0
; COMPUTE_PGM_RSRC2:TGID_Z_EN: 0
; COMPUTE_PGM_RSRC2:TIDIG_COMP_CNT: 0
	.section	.text._ZN7rocprim17ROCPRIM_400000_NS6detail17trampoline_kernelINS0_13select_configILj256ELj13ELNS0_17block_load_methodE3ELS4_3ELS4_3ELNS0_20block_scan_algorithmE0ELj4294967295EEENS1_25partition_config_selectorILNS1_17partition_subalgoE4EjNS0_10empty_typeEbEEZZNS1_14partition_implILS8_4ELb0ES6_15HIP_vector_typeIjLj2EENS0_17counting_iteratorIjlEEPS9_SG_NS0_5tupleIJPjSI_NS0_16reverse_iteratorISI_EEEEENSH_IJSG_SG_SG_EEES9_SI_JZNS1_25segmented_radix_sort_implINS0_14default_configELb0EPKaPaPKlPlN2at6native12_GLOBAL__N_18offset_tEEE10hipError_tPvRmT1_PNSt15iterator_traitsIS12_E10value_typeET2_T3_PNS13_IS18_E10value_typeET4_jRbjT5_S1E_jjP12ihipStream_tbEUljE_ZNSN_ISO_Lb0ESQ_SR_ST_SU_SY_EESZ_S10_S11_S12_S16_S17_S18_S1B_S1C_jS1D_jS1E_S1E_jjS1G_bEUljE0_EEESZ_S10_S11_S18_S1C_S1E_T6_T7_T9_mT8_S1G_bDpT10_ENKUlT_T0_E_clISt17integral_constantIbLb1EES1T_IbLb0EEEEDaS1P_S1Q_EUlS1P_E_NS1_11comp_targetILNS1_3genE5ELNS1_11target_archE942ELNS1_3gpuE9ELNS1_3repE0EEENS1_30default_config_static_selectorELNS0_4arch9wavefront6targetE0EEEvS12_,"axG",@progbits,_ZN7rocprim17ROCPRIM_400000_NS6detail17trampoline_kernelINS0_13select_configILj256ELj13ELNS0_17block_load_methodE3ELS4_3ELS4_3ELNS0_20block_scan_algorithmE0ELj4294967295EEENS1_25partition_config_selectorILNS1_17partition_subalgoE4EjNS0_10empty_typeEbEEZZNS1_14partition_implILS8_4ELb0ES6_15HIP_vector_typeIjLj2EENS0_17counting_iteratorIjlEEPS9_SG_NS0_5tupleIJPjSI_NS0_16reverse_iteratorISI_EEEEENSH_IJSG_SG_SG_EEES9_SI_JZNS1_25segmented_radix_sort_implINS0_14default_configELb0EPKaPaPKlPlN2at6native12_GLOBAL__N_18offset_tEEE10hipError_tPvRmT1_PNSt15iterator_traitsIS12_E10value_typeET2_T3_PNS13_IS18_E10value_typeET4_jRbjT5_S1E_jjP12ihipStream_tbEUljE_ZNSN_ISO_Lb0ESQ_SR_ST_SU_SY_EESZ_S10_S11_S12_S16_S17_S18_S1B_S1C_jS1D_jS1E_S1E_jjS1G_bEUljE0_EEESZ_S10_S11_S18_S1C_S1E_T6_T7_T9_mT8_S1G_bDpT10_ENKUlT_T0_E_clISt17integral_constantIbLb1EES1T_IbLb0EEEEDaS1P_S1Q_EUlS1P_E_NS1_11comp_targetILNS1_3genE5ELNS1_11target_archE942ELNS1_3gpuE9ELNS1_3repE0EEENS1_30default_config_static_selectorELNS0_4arch9wavefront6targetE0EEEvS12_,comdat
	.globl	_ZN7rocprim17ROCPRIM_400000_NS6detail17trampoline_kernelINS0_13select_configILj256ELj13ELNS0_17block_load_methodE3ELS4_3ELS4_3ELNS0_20block_scan_algorithmE0ELj4294967295EEENS1_25partition_config_selectorILNS1_17partition_subalgoE4EjNS0_10empty_typeEbEEZZNS1_14partition_implILS8_4ELb0ES6_15HIP_vector_typeIjLj2EENS0_17counting_iteratorIjlEEPS9_SG_NS0_5tupleIJPjSI_NS0_16reverse_iteratorISI_EEEEENSH_IJSG_SG_SG_EEES9_SI_JZNS1_25segmented_radix_sort_implINS0_14default_configELb0EPKaPaPKlPlN2at6native12_GLOBAL__N_18offset_tEEE10hipError_tPvRmT1_PNSt15iterator_traitsIS12_E10value_typeET2_T3_PNS13_IS18_E10value_typeET4_jRbjT5_S1E_jjP12ihipStream_tbEUljE_ZNSN_ISO_Lb0ESQ_SR_ST_SU_SY_EESZ_S10_S11_S12_S16_S17_S18_S1B_S1C_jS1D_jS1E_S1E_jjS1G_bEUljE0_EEESZ_S10_S11_S18_S1C_S1E_T6_T7_T9_mT8_S1G_bDpT10_ENKUlT_T0_E_clISt17integral_constantIbLb1EES1T_IbLb0EEEEDaS1P_S1Q_EUlS1P_E_NS1_11comp_targetILNS1_3genE5ELNS1_11target_archE942ELNS1_3gpuE9ELNS1_3repE0EEENS1_30default_config_static_selectorELNS0_4arch9wavefront6targetE0EEEvS12_ ; -- Begin function _ZN7rocprim17ROCPRIM_400000_NS6detail17trampoline_kernelINS0_13select_configILj256ELj13ELNS0_17block_load_methodE3ELS4_3ELS4_3ELNS0_20block_scan_algorithmE0ELj4294967295EEENS1_25partition_config_selectorILNS1_17partition_subalgoE4EjNS0_10empty_typeEbEEZZNS1_14partition_implILS8_4ELb0ES6_15HIP_vector_typeIjLj2EENS0_17counting_iteratorIjlEEPS9_SG_NS0_5tupleIJPjSI_NS0_16reverse_iteratorISI_EEEEENSH_IJSG_SG_SG_EEES9_SI_JZNS1_25segmented_radix_sort_implINS0_14default_configELb0EPKaPaPKlPlN2at6native12_GLOBAL__N_18offset_tEEE10hipError_tPvRmT1_PNSt15iterator_traitsIS12_E10value_typeET2_T3_PNS13_IS18_E10value_typeET4_jRbjT5_S1E_jjP12ihipStream_tbEUljE_ZNSN_ISO_Lb0ESQ_SR_ST_SU_SY_EESZ_S10_S11_S12_S16_S17_S18_S1B_S1C_jS1D_jS1E_S1E_jjS1G_bEUljE0_EEESZ_S10_S11_S18_S1C_S1E_T6_T7_T9_mT8_S1G_bDpT10_ENKUlT_T0_E_clISt17integral_constantIbLb1EES1T_IbLb0EEEEDaS1P_S1Q_EUlS1P_E_NS1_11comp_targetILNS1_3genE5ELNS1_11target_archE942ELNS1_3gpuE9ELNS1_3repE0EEENS1_30default_config_static_selectorELNS0_4arch9wavefront6targetE0EEEvS12_
	.p2align	8
	.type	_ZN7rocprim17ROCPRIM_400000_NS6detail17trampoline_kernelINS0_13select_configILj256ELj13ELNS0_17block_load_methodE3ELS4_3ELS4_3ELNS0_20block_scan_algorithmE0ELj4294967295EEENS1_25partition_config_selectorILNS1_17partition_subalgoE4EjNS0_10empty_typeEbEEZZNS1_14partition_implILS8_4ELb0ES6_15HIP_vector_typeIjLj2EENS0_17counting_iteratorIjlEEPS9_SG_NS0_5tupleIJPjSI_NS0_16reverse_iteratorISI_EEEEENSH_IJSG_SG_SG_EEES9_SI_JZNS1_25segmented_radix_sort_implINS0_14default_configELb0EPKaPaPKlPlN2at6native12_GLOBAL__N_18offset_tEEE10hipError_tPvRmT1_PNSt15iterator_traitsIS12_E10value_typeET2_T3_PNS13_IS18_E10value_typeET4_jRbjT5_S1E_jjP12ihipStream_tbEUljE_ZNSN_ISO_Lb0ESQ_SR_ST_SU_SY_EESZ_S10_S11_S12_S16_S17_S18_S1B_S1C_jS1D_jS1E_S1E_jjS1G_bEUljE0_EEESZ_S10_S11_S18_S1C_S1E_T6_T7_T9_mT8_S1G_bDpT10_ENKUlT_T0_E_clISt17integral_constantIbLb1EES1T_IbLb0EEEEDaS1P_S1Q_EUlS1P_E_NS1_11comp_targetILNS1_3genE5ELNS1_11target_archE942ELNS1_3gpuE9ELNS1_3repE0EEENS1_30default_config_static_selectorELNS0_4arch9wavefront6targetE0EEEvS12_,@function
_ZN7rocprim17ROCPRIM_400000_NS6detail17trampoline_kernelINS0_13select_configILj256ELj13ELNS0_17block_load_methodE3ELS4_3ELS4_3ELNS0_20block_scan_algorithmE0ELj4294967295EEENS1_25partition_config_selectorILNS1_17partition_subalgoE4EjNS0_10empty_typeEbEEZZNS1_14partition_implILS8_4ELb0ES6_15HIP_vector_typeIjLj2EENS0_17counting_iteratorIjlEEPS9_SG_NS0_5tupleIJPjSI_NS0_16reverse_iteratorISI_EEEEENSH_IJSG_SG_SG_EEES9_SI_JZNS1_25segmented_radix_sort_implINS0_14default_configELb0EPKaPaPKlPlN2at6native12_GLOBAL__N_18offset_tEEE10hipError_tPvRmT1_PNSt15iterator_traitsIS12_E10value_typeET2_T3_PNS13_IS18_E10value_typeET4_jRbjT5_S1E_jjP12ihipStream_tbEUljE_ZNSN_ISO_Lb0ESQ_SR_ST_SU_SY_EESZ_S10_S11_S12_S16_S17_S18_S1B_S1C_jS1D_jS1E_S1E_jjS1G_bEUljE0_EEESZ_S10_S11_S18_S1C_S1E_T6_T7_T9_mT8_S1G_bDpT10_ENKUlT_T0_E_clISt17integral_constantIbLb1EES1T_IbLb0EEEEDaS1P_S1Q_EUlS1P_E_NS1_11comp_targetILNS1_3genE5ELNS1_11target_archE942ELNS1_3gpuE9ELNS1_3repE0EEENS1_30default_config_static_selectorELNS0_4arch9wavefront6targetE0EEEvS12_: ; @_ZN7rocprim17ROCPRIM_400000_NS6detail17trampoline_kernelINS0_13select_configILj256ELj13ELNS0_17block_load_methodE3ELS4_3ELS4_3ELNS0_20block_scan_algorithmE0ELj4294967295EEENS1_25partition_config_selectorILNS1_17partition_subalgoE4EjNS0_10empty_typeEbEEZZNS1_14partition_implILS8_4ELb0ES6_15HIP_vector_typeIjLj2EENS0_17counting_iteratorIjlEEPS9_SG_NS0_5tupleIJPjSI_NS0_16reverse_iteratorISI_EEEEENSH_IJSG_SG_SG_EEES9_SI_JZNS1_25segmented_radix_sort_implINS0_14default_configELb0EPKaPaPKlPlN2at6native12_GLOBAL__N_18offset_tEEE10hipError_tPvRmT1_PNSt15iterator_traitsIS12_E10value_typeET2_T3_PNS13_IS18_E10value_typeET4_jRbjT5_S1E_jjP12ihipStream_tbEUljE_ZNSN_ISO_Lb0ESQ_SR_ST_SU_SY_EESZ_S10_S11_S12_S16_S17_S18_S1B_S1C_jS1D_jS1E_S1E_jjS1G_bEUljE0_EEESZ_S10_S11_S18_S1C_S1E_T6_T7_T9_mT8_S1G_bDpT10_ENKUlT_T0_E_clISt17integral_constantIbLb1EES1T_IbLb0EEEEDaS1P_S1Q_EUlS1P_E_NS1_11comp_targetILNS1_3genE5ELNS1_11target_archE942ELNS1_3gpuE9ELNS1_3repE0EEENS1_30default_config_static_selectorELNS0_4arch9wavefront6targetE0EEEvS12_
; %bb.0:
	.section	.rodata,"a",@progbits
	.p2align	6, 0x0
	.amdhsa_kernel _ZN7rocprim17ROCPRIM_400000_NS6detail17trampoline_kernelINS0_13select_configILj256ELj13ELNS0_17block_load_methodE3ELS4_3ELS4_3ELNS0_20block_scan_algorithmE0ELj4294967295EEENS1_25partition_config_selectorILNS1_17partition_subalgoE4EjNS0_10empty_typeEbEEZZNS1_14partition_implILS8_4ELb0ES6_15HIP_vector_typeIjLj2EENS0_17counting_iteratorIjlEEPS9_SG_NS0_5tupleIJPjSI_NS0_16reverse_iteratorISI_EEEEENSH_IJSG_SG_SG_EEES9_SI_JZNS1_25segmented_radix_sort_implINS0_14default_configELb0EPKaPaPKlPlN2at6native12_GLOBAL__N_18offset_tEEE10hipError_tPvRmT1_PNSt15iterator_traitsIS12_E10value_typeET2_T3_PNS13_IS18_E10value_typeET4_jRbjT5_S1E_jjP12ihipStream_tbEUljE_ZNSN_ISO_Lb0ESQ_SR_ST_SU_SY_EESZ_S10_S11_S12_S16_S17_S18_S1B_S1C_jS1D_jS1E_S1E_jjS1G_bEUljE0_EEESZ_S10_S11_S18_S1C_S1E_T6_T7_T9_mT8_S1G_bDpT10_ENKUlT_T0_E_clISt17integral_constantIbLb1EES1T_IbLb0EEEEDaS1P_S1Q_EUlS1P_E_NS1_11comp_targetILNS1_3genE5ELNS1_11target_archE942ELNS1_3gpuE9ELNS1_3repE0EEENS1_30default_config_static_selectorELNS0_4arch9wavefront6targetE0EEEvS12_
		.amdhsa_group_segment_fixed_size 0
		.amdhsa_private_segment_fixed_size 0
		.amdhsa_kernarg_size 176
		.amdhsa_user_sgpr_count 6
		.amdhsa_user_sgpr_private_segment_buffer 1
		.amdhsa_user_sgpr_dispatch_ptr 0
		.amdhsa_user_sgpr_queue_ptr 0
		.amdhsa_user_sgpr_kernarg_segment_ptr 1
		.amdhsa_user_sgpr_dispatch_id 0
		.amdhsa_user_sgpr_flat_scratch_init 0
		.amdhsa_user_sgpr_private_segment_size 0
		.amdhsa_wavefront_size32 1
		.amdhsa_uses_dynamic_stack 0
		.amdhsa_system_sgpr_private_segment_wavefront_offset 0
		.amdhsa_system_sgpr_workgroup_id_x 1
		.amdhsa_system_sgpr_workgroup_id_y 0
		.amdhsa_system_sgpr_workgroup_id_z 0
		.amdhsa_system_sgpr_workgroup_info 0
		.amdhsa_system_vgpr_workitem_id 0
		.amdhsa_next_free_vgpr 1
		.amdhsa_next_free_sgpr 1
		.amdhsa_reserve_vcc 0
		.amdhsa_reserve_flat_scratch 0
		.amdhsa_float_round_mode_32 0
		.amdhsa_float_round_mode_16_64 0
		.amdhsa_float_denorm_mode_32 3
		.amdhsa_float_denorm_mode_16_64 3
		.amdhsa_dx10_clamp 1
		.amdhsa_ieee_mode 1
		.amdhsa_fp16_overflow 0
		.amdhsa_workgroup_processor_mode 1
		.amdhsa_memory_ordered 1
		.amdhsa_forward_progress 1
		.amdhsa_shared_vgpr_count 0
		.amdhsa_exception_fp_ieee_invalid_op 0
		.amdhsa_exception_fp_denorm_src 0
		.amdhsa_exception_fp_ieee_div_zero 0
		.amdhsa_exception_fp_ieee_overflow 0
		.amdhsa_exception_fp_ieee_underflow 0
		.amdhsa_exception_fp_ieee_inexact 0
		.amdhsa_exception_int_div_zero 0
	.end_amdhsa_kernel
	.section	.text._ZN7rocprim17ROCPRIM_400000_NS6detail17trampoline_kernelINS0_13select_configILj256ELj13ELNS0_17block_load_methodE3ELS4_3ELS4_3ELNS0_20block_scan_algorithmE0ELj4294967295EEENS1_25partition_config_selectorILNS1_17partition_subalgoE4EjNS0_10empty_typeEbEEZZNS1_14partition_implILS8_4ELb0ES6_15HIP_vector_typeIjLj2EENS0_17counting_iteratorIjlEEPS9_SG_NS0_5tupleIJPjSI_NS0_16reverse_iteratorISI_EEEEENSH_IJSG_SG_SG_EEES9_SI_JZNS1_25segmented_radix_sort_implINS0_14default_configELb0EPKaPaPKlPlN2at6native12_GLOBAL__N_18offset_tEEE10hipError_tPvRmT1_PNSt15iterator_traitsIS12_E10value_typeET2_T3_PNS13_IS18_E10value_typeET4_jRbjT5_S1E_jjP12ihipStream_tbEUljE_ZNSN_ISO_Lb0ESQ_SR_ST_SU_SY_EESZ_S10_S11_S12_S16_S17_S18_S1B_S1C_jS1D_jS1E_S1E_jjS1G_bEUljE0_EEESZ_S10_S11_S18_S1C_S1E_T6_T7_T9_mT8_S1G_bDpT10_ENKUlT_T0_E_clISt17integral_constantIbLb1EES1T_IbLb0EEEEDaS1P_S1Q_EUlS1P_E_NS1_11comp_targetILNS1_3genE5ELNS1_11target_archE942ELNS1_3gpuE9ELNS1_3repE0EEENS1_30default_config_static_selectorELNS0_4arch9wavefront6targetE0EEEvS12_,"axG",@progbits,_ZN7rocprim17ROCPRIM_400000_NS6detail17trampoline_kernelINS0_13select_configILj256ELj13ELNS0_17block_load_methodE3ELS4_3ELS4_3ELNS0_20block_scan_algorithmE0ELj4294967295EEENS1_25partition_config_selectorILNS1_17partition_subalgoE4EjNS0_10empty_typeEbEEZZNS1_14partition_implILS8_4ELb0ES6_15HIP_vector_typeIjLj2EENS0_17counting_iteratorIjlEEPS9_SG_NS0_5tupleIJPjSI_NS0_16reverse_iteratorISI_EEEEENSH_IJSG_SG_SG_EEES9_SI_JZNS1_25segmented_radix_sort_implINS0_14default_configELb0EPKaPaPKlPlN2at6native12_GLOBAL__N_18offset_tEEE10hipError_tPvRmT1_PNSt15iterator_traitsIS12_E10value_typeET2_T3_PNS13_IS18_E10value_typeET4_jRbjT5_S1E_jjP12ihipStream_tbEUljE_ZNSN_ISO_Lb0ESQ_SR_ST_SU_SY_EESZ_S10_S11_S12_S16_S17_S18_S1B_S1C_jS1D_jS1E_S1E_jjS1G_bEUljE0_EEESZ_S10_S11_S18_S1C_S1E_T6_T7_T9_mT8_S1G_bDpT10_ENKUlT_T0_E_clISt17integral_constantIbLb1EES1T_IbLb0EEEEDaS1P_S1Q_EUlS1P_E_NS1_11comp_targetILNS1_3genE5ELNS1_11target_archE942ELNS1_3gpuE9ELNS1_3repE0EEENS1_30default_config_static_selectorELNS0_4arch9wavefront6targetE0EEEvS12_,comdat
.Lfunc_end343:
	.size	_ZN7rocprim17ROCPRIM_400000_NS6detail17trampoline_kernelINS0_13select_configILj256ELj13ELNS0_17block_load_methodE3ELS4_3ELS4_3ELNS0_20block_scan_algorithmE0ELj4294967295EEENS1_25partition_config_selectorILNS1_17partition_subalgoE4EjNS0_10empty_typeEbEEZZNS1_14partition_implILS8_4ELb0ES6_15HIP_vector_typeIjLj2EENS0_17counting_iteratorIjlEEPS9_SG_NS0_5tupleIJPjSI_NS0_16reverse_iteratorISI_EEEEENSH_IJSG_SG_SG_EEES9_SI_JZNS1_25segmented_radix_sort_implINS0_14default_configELb0EPKaPaPKlPlN2at6native12_GLOBAL__N_18offset_tEEE10hipError_tPvRmT1_PNSt15iterator_traitsIS12_E10value_typeET2_T3_PNS13_IS18_E10value_typeET4_jRbjT5_S1E_jjP12ihipStream_tbEUljE_ZNSN_ISO_Lb0ESQ_SR_ST_SU_SY_EESZ_S10_S11_S12_S16_S17_S18_S1B_S1C_jS1D_jS1E_S1E_jjS1G_bEUljE0_EEESZ_S10_S11_S18_S1C_S1E_T6_T7_T9_mT8_S1G_bDpT10_ENKUlT_T0_E_clISt17integral_constantIbLb1EES1T_IbLb0EEEEDaS1P_S1Q_EUlS1P_E_NS1_11comp_targetILNS1_3genE5ELNS1_11target_archE942ELNS1_3gpuE9ELNS1_3repE0EEENS1_30default_config_static_selectorELNS0_4arch9wavefront6targetE0EEEvS12_, .Lfunc_end343-_ZN7rocprim17ROCPRIM_400000_NS6detail17trampoline_kernelINS0_13select_configILj256ELj13ELNS0_17block_load_methodE3ELS4_3ELS4_3ELNS0_20block_scan_algorithmE0ELj4294967295EEENS1_25partition_config_selectorILNS1_17partition_subalgoE4EjNS0_10empty_typeEbEEZZNS1_14partition_implILS8_4ELb0ES6_15HIP_vector_typeIjLj2EENS0_17counting_iteratorIjlEEPS9_SG_NS0_5tupleIJPjSI_NS0_16reverse_iteratorISI_EEEEENSH_IJSG_SG_SG_EEES9_SI_JZNS1_25segmented_radix_sort_implINS0_14default_configELb0EPKaPaPKlPlN2at6native12_GLOBAL__N_18offset_tEEE10hipError_tPvRmT1_PNSt15iterator_traitsIS12_E10value_typeET2_T3_PNS13_IS18_E10value_typeET4_jRbjT5_S1E_jjP12ihipStream_tbEUljE_ZNSN_ISO_Lb0ESQ_SR_ST_SU_SY_EESZ_S10_S11_S12_S16_S17_S18_S1B_S1C_jS1D_jS1E_S1E_jjS1G_bEUljE0_EEESZ_S10_S11_S18_S1C_S1E_T6_T7_T9_mT8_S1G_bDpT10_ENKUlT_T0_E_clISt17integral_constantIbLb1EES1T_IbLb0EEEEDaS1P_S1Q_EUlS1P_E_NS1_11comp_targetILNS1_3genE5ELNS1_11target_archE942ELNS1_3gpuE9ELNS1_3repE0EEENS1_30default_config_static_selectorELNS0_4arch9wavefront6targetE0EEEvS12_
                                        ; -- End function
	.set _ZN7rocprim17ROCPRIM_400000_NS6detail17trampoline_kernelINS0_13select_configILj256ELj13ELNS0_17block_load_methodE3ELS4_3ELS4_3ELNS0_20block_scan_algorithmE0ELj4294967295EEENS1_25partition_config_selectorILNS1_17partition_subalgoE4EjNS0_10empty_typeEbEEZZNS1_14partition_implILS8_4ELb0ES6_15HIP_vector_typeIjLj2EENS0_17counting_iteratorIjlEEPS9_SG_NS0_5tupleIJPjSI_NS0_16reverse_iteratorISI_EEEEENSH_IJSG_SG_SG_EEES9_SI_JZNS1_25segmented_radix_sort_implINS0_14default_configELb0EPKaPaPKlPlN2at6native12_GLOBAL__N_18offset_tEEE10hipError_tPvRmT1_PNSt15iterator_traitsIS12_E10value_typeET2_T3_PNS13_IS18_E10value_typeET4_jRbjT5_S1E_jjP12ihipStream_tbEUljE_ZNSN_ISO_Lb0ESQ_SR_ST_SU_SY_EESZ_S10_S11_S12_S16_S17_S18_S1B_S1C_jS1D_jS1E_S1E_jjS1G_bEUljE0_EEESZ_S10_S11_S18_S1C_S1E_T6_T7_T9_mT8_S1G_bDpT10_ENKUlT_T0_E_clISt17integral_constantIbLb1EES1T_IbLb0EEEEDaS1P_S1Q_EUlS1P_E_NS1_11comp_targetILNS1_3genE5ELNS1_11target_archE942ELNS1_3gpuE9ELNS1_3repE0EEENS1_30default_config_static_selectorELNS0_4arch9wavefront6targetE0EEEvS12_.num_vgpr, 0
	.set _ZN7rocprim17ROCPRIM_400000_NS6detail17trampoline_kernelINS0_13select_configILj256ELj13ELNS0_17block_load_methodE3ELS4_3ELS4_3ELNS0_20block_scan_algorithmE0ELj4294967295EEENS1_25partition_config_selectorILNS1_17partition_subalgoE4EjNS0_10empty_typeEbEEZZNS1_14partition_implILS8_4ELb0ES6_15HIP_vector_typeIjLj2EENS0_17counting_iteratorIjlEEPS9_SG_NS0_5tupleIJPjSI_NS0_16reverse_iteratorISI_EEEEENSH_IJSG_SG_SG_EEES9_SI_JZNS1_25segmented_radix_sort_implINS0_14default_configELb0EPKaPaPKlPlN2at6native12_GLOBAL__N_18offset_tEEE10hipError_tPvRmT1_PNSt15iterator_traitsIS12_E10value_typeET2_T3_PNS13_IS18_E10value_typeET4_jRbjT5_S1E_jjP12ihipStream_tbEUljE_ZNSN_ISO_Lb0ESQ_SR_ST_SU_SY_EESZ_S10_S11_S12_S16_S17_S18_S1B_S1C_jS1D_jS1E_S1E_jjS1G_bEUljE0_EEESZ_S10_S11_S18_S1C_S1E_T6_T7_T9_mT8_S1G_bDpT10_ENKUlT_T0_E_clISt17integral_constantIbLb1EES1T_IbLb0EEEEDaS1P_S1Q_EUlS1P_E_NS1_11comp_targetILNS1_3genE5ELNS1_11target_archE942ELNS1_3gpuE9ELNS1_3repE0EEENS1_30default_config_static_selectorELNS0_4arch9wavefront6targetE0EEEvS12_.num_agpr, 0
	.set _ZN7rocprim17ROCPRIM_400000_NS6detail17trampoline_kernelINS0_13select_configILj256ELj13ELNS0_17block_load_methodE3ELS4_3ELS4_3ELNS0_20block_scan_algorithmE0ELj4294967295EEENS1_25partition_config_selectorILNS1_17partition_subalgoE4EjNS0_10empty_typeEbEEZZNS1_14partition_implILS8_4ELb0ES6_15HIP_vector_typeIjLj2EENS0_17counting_iteratorIjlEEPS9_SG_NS0_5tupleIJPjSI_NS0_16reverse_iteratorISI_EEEEENSH_IJSG_SG_SG_EEES9_SI_JZNS1_25segmented_radix_sort_implINS0_14default_configELb0EPKaPaPKlPlN2at6native12_GLOBAL__N_18offset_tEEE10hipError_tPvRmT1_PNSt15iterator_traitsIS12_E10value_typeET2_T3_PNS13_IS18_E10value_typeET4_jRbjT5_S1E_jjP12ihipStream_tbEUljE_ZNSN_ISO_Lb0ESQ_SR_ST_SU_SY_EESZ_S10_S11_S12_S16_S17_S18_S1B_S1C_jS1D_jS1E_S1E_jjS1G_bEUljE0_EEESZ_S10_S11_S18_S1C_S1E_T6_T7_T9_mT8_S1G_bDpT10_ENKUlT_T0_E_clISt17integral_constantIbLb1EES1T_IbLb0EEEEDaS1P_S1Q_EUlS1P_E_NS1_11comp_targetILNS1_3genE5ELNS1_11target_archE942ELNS1_3gpuE9ELNS1_3repE0EEENS1_30default_config_static_selectorELNS0_4arch9wavefront6targetE0EEEvS12_.numbered_sgpr, 0
	.set _ZN7rocprim17ROCPRIM_400000_NS6detail17trampoline_kernelINS0_13select_configILj256ELj13ELNS0_17block_load_methodE3ELS4_3ELS4_3ELNS0_20block_scan_algorithmE0ELj4294967295EEENS1_25partition_config_selectorILNS1_17partition_subalgoE4EjNS0_10empty_typeEbEEZZNS1_14partition_implILS8_4ELb0ES6_15HIP_vector_typeIjLj2EENS0_17counting_iteratorIjlEEPS9_SG_NS0_5tupleIJPjSI_NS0_16reverse_iteratorISI_EEEEENSH_IJSG_SG_SG_EEES9_SI_JZNS1_25segmented_radix_sort_implINS0_14default_configELb0EPKaPaPKlPlN2at6native12_GLOBAL__N_18offset_tEEE10hipError_tPvRmT1_PNSt15iterator_traitsIS12_E10value_typeET2_T3_PNS13_IS18_E10value_typeET4_jRbjT5_S1E_jjP12ihipStream_tbEUljE_ZNSN_ISO_Lb0ESQ_SR_ST_SU_SY_EESZ_S10_S11_S12_S16_S17_S18_S1B_S1C_jS1D_jS1E_S1E_jjS1G_bEUljE0_EEESZ_S10_S11_S18_S1C_S1E_T6_T7_T9_mT8_S1G_bDpT10_ENKUlT_T0_E_clISt17integral_constantIbLb1EES1T_IbLb0EEEEDaS1P_S1Q_EUlS1P_E_NS1_11comp_targetILNS1_3genE5ELNS1_11target_archE942ELNS1_3gpuE9ELNS1_3repE0EEENS1_30default_config_static_selectorELNS0_4arch9wavefront6targetE0EEEvS12_.num_named_barrier, 0
	.set _ZN7rocprim17ROCPRIM_400000_NS6detail17trampoline_kernelINS0_13select_configILj256ELj13ELNS0_17block_load_methodE3ELS4_3ELS4_3ELNS0_20block_scan_algorithmE0ELj4294967295EEENS1_25partition_config_selectorILNS1_17partition_subalgoE4EjNS0_10empty_typeEbEEZZNS1_14partition_implILS8_4ELb0ES6_15HIP_vector_typeIjLj2EENS0_17counting_iteratorIjlEEPS9_SG_NS0_5tupleIJPjSI_NS0_16reverse_iteratorISI_EEEEENSH_IJSG_SG_SG_EEES9_SI_JZNS1_25segmented_radix_sort_implINS0_14default_configELb0EPKaPaPKlPlN2at6native12_GLOBAL__N_18offset_tEEE10hipError_tPvRmT1_PNSt15iterator_traitsIS12_E10value_typeET2_T3_PNS13_IS18_E10value_typeET4_jRbjT5_S1E_jjP12ihipStream_tbEUljE_ZNSN_ISO_Lb0ESQ_SR_ST_SU_SY_EESZ_S10_S11_S12_S16_S17_S18_S1B_S1C_jS1D_jS1E_S1E_jjS1G_bEUljE0_EEESZ_S10_S11_S18_S1C_S1E_T6_T7_T9_mT8_S1G_bDpT10_ENKUlT_T0_E_clISt17integral_constantIbLb1EES1T_IbLb0EEEEDaS1P_S1Q_EUlS1P_E_NS1_11comp_targetILNS1_3genE5ELNS1_11target_archE942ELNS1_3gpuE9ELNS1_3repE0EEENS1_30default_config_static_selectorELNS0_4arch9wavefront6targetE0EEEvS12_.private_seg_size, 0
	.set _ZN7rocprim17ROCPRIM_400000_NS6detail17trampoline_kernelINS0_13select_configILj256ELj13ELNS0_17block_load_methodE3ELS4_3ELS4_3ELNS0_20block_scan_algorithmE0ELj4294967295EEENS1_25partition_config_selectorILNS1_17partition_subalgoE4EjNS0_10empty_typeEbEEZZNS1_14partition_implILS8_4ELb0ES6_15HIP_vector_typeIjLj2EENS0_17counting_iteratorIjlEEPS9_SG_NS0_5tupleIJPjSI_NS0_16reverse_iteratorISI_EEEEENSH_IJSG_SG_SG_EEES9_SI_JZNS1_25segmented_radix_sort_implINS0_14default_configELb0EPKaPaPKlPlN2at6native12_GLOBAL__N_18offset_tEEE10hipError_tPvRmT1_PNSt15iterator_traitsIS12_E10value_typeET2_T3_PNS13_IS18_E10value_typeET4_jRbjT5_S1E_jjP12ihipStream_tbEUljE_ZNSN_ISO_Lb0ESQ_SR_ST_SU_SY_EESZ_S10_S11_S12_S16_S17_S18_S1B_S1C_jS1D_jS1E_S1E_jjS1G_bEUljE0_EEESZ_S10_S11_S18_S1C_S1E_T6_T7_T9_mT8_S1G_bDpT10_ENKUlT_T0_E_clISt17integral_constantIbLb1EES1T_IbLb0EEEEDaS1P_S1Q_EUlS1P_E_NS1_11comp_targetILNS1_3genE5ELNS1_11target_archE942ELNS1_3gpuE9ELNS1_3repE0EEENS1_30default_config_static_selectorELNS0_4arch9wavefront6targetE0EEEvS12_.uses_vcc, 0
	.set _ZN7rocprim17ROCPRIM_400000_NS6detail17trampoline_kernelINS0_13select_configILj256ELj13ELNS0_17block_load_methodE3ELS4_3ELS4_3ELNS0_20block_scan_algorithmE0ELj4294967295EEENS1_25partition_config_selectorILNS1_17partition_subalgoE4EjNS0_10empty_typeEbEEZZNS1_14partition_implILS8_4ELb0ES6_15HIP_vector_typeIjLj2EENS0_17counting_iteratorIjlEEPS9_SG_NS0_5tupleIJPjSI_NS0_16reverse_iteratorISI_EEEEENSH_IJSG_SG_SG_EEES9_SI_JZNS1_25segmented_radix_sort_implINS0_14default_configELb0EPKaPaPKlPlN2at6native12_GLOBAL__N_18offset_tEEE10hipError_tPvRmT1_PNSt15iterator_traitsIS12_E10value_typeET2_T3_PNS13_IS18_E10value_typeET4_jRbjT5_S1E_jjP12ihipStream_tbEUljE_ZNSN_ISO_Lb0ESQ_SR_ST_SU_SY_EESZ_S10_S11_S12_S16_S17_S18_S1B_S1C_jS1D_jS1E_S1E_jjS1G_bEUljE0_EEESZ_S10_S11_S18_S1C_S1E_T6_T7_T9_mT8_S1G_bDpT10_ENKUlT_T0_E_clISt17integral_constantIbLb1EES1T_IbLb0EEEEDaS1P_S1Q_EUlS1P_E_NS1_11comp_targetILNS1_3genE5ELNS1_11target_archE942ELNS1_3gpuE9ELNS1_3repE0EEENS1_30default_config_static_selectorELNS0_4arch9wavefront6targetE0EEEvS12_.uses_flat_scratch, 0
	.set _ZN7rocprim17ROCPRIM_400000_NS6detail17trampoline_kernelINS0_13select_configILj256ELj13ELNS0_17block_load_methodE3ELS4_3ELS4_3ELNS0_20block_scan_algorithmE0ELj4294967295EEENS1_25partition_config_selectorILNS1_17partition_subalgoE4EjNS0_10empty_typeEbEEZZNS1_14partition_implILS8_4ELb0ES6_15HIP_vector_typeIjLj2EENS0_17counting_iteratorIjlEEPS9_SG_NS0_5tupleIJPjSI_NS0_16reverse_iteratorISI_EEEEENSH_IJSG_SG_SG_EEES9_SI_JZNS1_25segmented_radix_sort_implINS0_14default_configELb0EPKaPaPKlPlN2at6native12_GLOBAL__N_18offset_tEEE10hipError_tPvRmT1_PNSt15iterator_traitsIS12_E10value_typeET2_T3_PNS13_IS18_E10value_typeET4_jRbjT5_S1E_jjP12ihipStream_tbEUljE_ZNSN_ISO_Lb0ESQ_SR_ST_SU_SY_EESZ_S10_S11_S12_S16_S17_S18_S1B_S1C_jS1D_jS1E_S1E_jjS1G_bEUljE0_EEESZ_S10_S11_S18_S1C_S1E_T6_T7_T9_mT8_S1G_bDpT10_ENKUlT_T0_E_clISt17integral_constantIbLb1EES1T_IbLb0EEEEDaS1P_S1Q_EUlS1P_E_NS1_11comp_targetILNS1_3genE5ELNS1_11target_archE942ELNS1_3gpuE9ELNS1_3repE0EEENS1_30default_config_static_selectorELNS0_4arch9wavefront6targetE0EEEvS12_.has_dyn_sized_stack, 0
	.set _ZN7rocprim17ROCPRIM_400000_NS6detail17trampoline_kernelINS0_13select_configILj256ELj13ELNS0_17block_load_methodE3ELS4_3ELS4_3ELNS0_20block_scan_algorithmE0ELj4294967295EEENS1_25partition_config_selectorILNS1_17partition_subalgoE4EjNS0_10empty_typeEbEEZZNS1_14partition_implILS8_4ELb0ES6_15HIP_vector_typeIjLj2EENS0_17counting_iteratorIjlEEPS9_SG_NS0_5tupleIJPjSI_NS0_16reverse_iteratorISI_EEEEENSH_IJSG_SG_SG_EEES9_SI_JZNS1_25segmented_radix_sort_implINS0_14default_configELb0EPKaPaPKlPlN2at6native12_GLOBAL__N_18offset_tEEE10hipError_tPvRmT1_PNSt15iterator_traitsIS12_E10value_typeET2_T3_PNS13_IS18_E10value_typeET4_jRbjT5_S1E_jjP12ihipStream_tbEUljE_ZNSN_ISO_Lb0ESQ_SR_ST_SU_SY_EESZ_S10_S11_S12_S16_S17_S18_S1B_S1C_jS1D_jS1E_S1E_jjS1G_bEUljE0_EEESZ_S10_S11_S18_S1C_S1E_T6_T7_T9_mT8_S1G_bDpT10_ENKUlT_T0_E_clISt17integral_constantIbLb1EES1T_IbLb0EEEEDaS1P_S1Q_EUlS1P_E_NS1_11comp_targetILNS1_3genE5ELNS1_11target_archE942ELNS1_3gpuE9ELNS1_3repE0EEENS1_30default_config_static_selectorELNS0_4arch9wavefront6targetE0EEEvS12_.has_recursion, 0
	.set _ZN7rocprim17ROCPRIM_400000_NS6detail17trampoline_kernelINS0_13select_configILj256ELj13ELNS0_17block_load_methodE3ELS4_3ELS4_3ELNS0_20block_scan_algorithmE0ELj4294967295EEENS1_25partition_config_selectorILNS1_17partition_subalgoE4EjNS0_10empty_typeEbEEZZNS1_14partition_implILS8_4ELb0ES6_15HIP_vector_typeIjLj2EENS0_17counting_iteratorIjlEEPS9_SG_NS0_5tupleIJPjSI_NS0_16reverse_iteratorISI_EEEEENSH_IJSG_SG_SG_EEES9_SI_JZNS1_25segmented_radix_sort_implINS0_14default_configELb0EPKaPaPKlPlN2at6native12_GLOBAL__N_18offset_tEEE10hipError_tPvRmT1_PNSt15iterator_traitsIS12_E10value_typeET2_T3_PNS13_IS18_E10value_typeET4_jRbjT5_S1E_jjP12ihipStream_tbEUljE_ZNSN_ISO_Lb0ESQ_SR_ST_SU_SY_EESZ_S10_S11_S12_S16_S17_S18_S1B_S1C_jS1D_jS1E_S1E_jjS1G_bEUljE0_EEESZ_S10_S11_S18_S1C_S1E_T6_T7_T9_mT8_S1G_bDpT10_ENKUlT_T0_E_clISt17integral_constantIbLb1EES1T_IbLb0EEEEDaS1P_S1Q_EUlS1P_E_NS1_11comp_targetILNS1_3genE5ELNS1_11target_archE942ELNS1_3gpuE9ELNS1_3repE0EEENS1_30default_config_static_selectorELNS0_4arch9wavefront6targetE0EEEvS12_.has_indirect_call, 0
	.section	.AMDGPU.csdata,"",@progbits
; Kernel info:
; codeLenInByte = 0
; TotalNumSgprs: 0
; NumVgprs: 0
; ScratchSize: 0
; MemoryBound: 0
; FloatMode: 240
; IeeeMode: 1
; LDSByteSize: 0 bytes/workgroup (compile time only)
; SGPRBlocks: 0
; VGPRBlocks: 0
; NumSGPRsForWavesPerEU: 1
; NumVGPRsForWavesPerEU: 1
; Occupancy: 16
; WaveLimiterHint : 0
; COMPUTE_PGM_RSRC2:SCRATCH_EN: 0
; COMPUTE_PGM_RSRC2:USER_SGPR: 6
; COMPUTE_PGM_RSRC2:TRAP_HANDLER: 0
; COMPUTE_PGM_RSRC2:TGID_X_EN: 1
; COMPUTE_PGM_RSRC2:TGID_Y_EN: 0
; COMPUTE_PGM_RSRC2:TGID_Z_EN: 0
; COMPUTE_PGM_RSRC2:TIDIG_COMP_CNT: 0
	.section	.text._ZN7rocprim17ROCPRIM_400000_NS6detail17trampoline_kernelINS0_13select_configILj256ELj13ELNS0_17block_load_methodE3ELS4_3ELS4_3ELNS0_20block_scan_algorithmE0ELj4294967295EEENS1_25partition_config_selectorILNS1_17partition_subalgoE4EjNS0_10empty_typeEbEEZZNS1_14partition_implILS8_4ELb0ES6_15HIP_vector_typeIjLj2EENS0_17counting_iteratorIjlEEPS9_SG_NS0_5tupleIJPjSI_NS0_16reverse_iteratorISI_EEEEENSH_IJSG_SG_SG_EEES9_SI_JZNS1_25segmented_radix_sort_implINS0_14default_configELb0EPKaPaPKlPlN2at6native12_GLOBAL__N_18offset_tEEE10hipError_tPvRmT1_PNSt15iterator_traitsIS12_E10value_typeET2_T3_PNS13_IS18_E10value_typeET4_jRbjT5_S1E_jjP12ihipStream_tbEUljE_ZNSN_ISO_Lb0ESQ_SR_ST_SU_SY_EESZ_S10_S11_S12_S16_S17_S18_S1B_S1C_jS1D_jS1E_S1E_jjS1G_bEUljE0_EEESZ_S10_S11_S18_S1C_S1E_T6_T7_T9_mT8_S1G_bDpT10_ENKUlT_T0_E_clISt17integral_constantIbLb1EES1T_IbLb0EEEEDaS1P_S1Q_EUlS1P_E_NS1_11comp_targetILNS1_3genE4ELNS1_11target_archE910ELNS1_3gpuE8ELNS1_3repE0EEENS1_30default_config_static_selectorELNS0_4arch9wavefront6targetE0EEEvS12_,"axG",@progbits,_ZN7rocprim17ROCPRIM_400000_NS6detail17trampoline_kernelINS0_13select_configILj256ELj13ELNS0_17block_load_methodE3ELS4_3ELS4_3ELNS0_20block_scan_algorithmE0ELj4294967295EEENS1_25partition_config_selectorILNS1_17partition_subalgoE4EjNS0_10empty_typeEbEEZZNS1_14partition_implILS8_4ELb0ES6_15HIP_vector_typeIjLj2EENS0_17counting_iteratorIjlEEPS9_SG_NS0_5tupleIJPjSI_NS0_16reverse_iteratorISI_EEEEENSH_IJSG_SG_SG_EEES9_SI_JZNS1_25segmented_radix_sort_implINS0_14default_configELb0EPKaPaPKlPlN2at6native12_GLOBAL__N_18offset_tEEE10hipError_tPvRmT1_PNSt15iterator_traitsIS12_E10value_typeET2_T3_PNS13_IS18_E10value_typeET4_jRbjT5_S1E_jjP12ihipStream_tbEUljE_ZNSN_ISO_Lb0ESQ_SR_ST_SU_SY_EESZ_S10_S11_S12_S16_S17_S18_S1B_S1C_jS1D_jS1E_S1E_jjS1G_bEUljE0_EEESZ_S10_S11_S18_S1C_S1E_T6_T7_T9_mT8_S1G_bDpT10_ENKUlT_T0_E_clISt17integral_constantIbLb1EES1T_IbLb0EEEEDaS1P_S1Q_EUlS1P_E_NS1_11comp_targetILNS1_3genE4ELNS1_11target_archE910ELNS1_3gpuE8ELNS1_3repE0EEENS1_30default_config_static_selectorELNS0_4arch9wavefront6targetE0EEEvS12_,comdat
	.globl	_ZN7rocprim17ROCPRIM_400000_NS6detail17trampoline_kernelINS0_13select_configILj256ELj13ELNS0_17block_load_methodE3ELS4_3ELS4_3ELNS0_20block_scan_algorithmE0ELj4294967295EEENS1_25partition_config_selectorILNS1_17partition_subalgoE4EjNS0_10empty_typeEbEEZZNS1_14partition_implILS8_4ELb0ES6_15HIP_vector_typeIjLj2EENS0_17counting_iteratorIjlEEPS9_SG_NS0_5tupleIJPjSI_NS0_16reverse_iteratorISI_EEEEENSH_IJSG_SG_SG_EEES9_SI_JZNS1_25segmented_radix_sort_implINS0_14default_configELb0EPKaPaPKlPlN2at6native12_GLOBAL__N_18offset_tEEE10hipError_tPvRmT1_PNSt15iterator_traitsIS12_E10value_typeET2_T3_PNS13_IS18_E10value_typeET4_jRbjT5_S1E_jjP12ihipStream_tbEUljE_ZNSN_ISO_Lb0ESQ_SR_ST_SU_SY_EESZ_S10_S11_S12_S16_S17_S18_S1B_S1C_jS1D_jS1E_S1E_jjS1G_bEUljE0_EEESZ_S10_S11_S18_S1C_S1E_T6_T7_T9_mT8_S1G_bDpT10_ENKUlT_T0_E_clISt17integral_constantIbLb1EES1T_IbLb0EEEEDaS1P_S1Q_EUlS1P_E_NS1_11comp_targetILNS1_3genE4ELNS1_11target_archE910ELNS1_3gpuE8ELNS1_3repE0EEENS1_30default_config_static_selectorELNS0_4arch9wavefront6targetE0EEEvS12_ ; -- Begin function _ZN7rocprim17ROCPRIM_400000_NS6detail17trampoline_kernelINS0_13select_configILj256ELj13ELNS0_17block_load_methodE3ELS4_3ELS4_3ELNS0_20block_scan_algorithmE0ELj4294967295EEENS1_25partition_config_selectorILNS1_17partition_subalgoE4EjNS0_10empty_typeEbEEZZNS1_14partition_implILS8_4ELb0ES6_15HIP_vector_typeIjLj2EENS0_17counting_iteratorIjlEEPS9_SG_NS0_5tupleIJPjSI_NS0_16reverse_iteratorISI_EEEEENSH_IJSG_SG_SG_EEES9_SI_JZNS1_25segmented_radix_sort_implINS0_14default_configELb0EPKaPaPKlPlN2at6native12_GLOBAL__N_18offset_tEEE10hipError_tPvRmT1_PNSt15iterator_traitsIS12_E10value_typeET2_T3_PNS13_IS18_E10value_typeET4_jRbjT5_S1E_jjP12ihipStream_tbEUljE_ZNSN_ISO_Lb0ESQ_SR_ST_SU_SY_EESZ_S10_S11_S12_S16_S17_S18_S1B_S1C_jS1D_jS1E_S1E_jjS1G_bEUljE0_EEESZ_S10_S11_S18_S1C_S1E_T6_T7_T9_mT8_S1G_bDpT10_ENKUlT_T0_E_clISt17integral_constantIbLb1EES1T_IbLb0EEEEDaS1P_S1Q_EUlS1P_E_NS1_11comp_targetILNS1_3genE4ELNS1_11target_archE910ELNS1_3gpuE8ELNS1_3repE0EEENS1_30default_config_static_selectorELNS0_4arch9wavefront6targetE0EEEvS12_
	.p2align	8
	.type	_ZN7rocprim17ROCPRIM_400000_NS6detail17trampoline_kernelINS0_13select_configILj256ELj13ELNS0_17block_load_methodE3ELS4_3ELS4_3ELNS0_20block_scan_algorithmE0ELj4294967295EEENS1_25partition_config_selectorILNS1_17partition_subalgoE4EjNS0_10empty_typeEbEEZZNS1_14partition_implILS8_4ELb0ES6_15HIP_vector_typeIjLj2EENS0_17counting_iteratorIjlEEPS9_SG_NS0_5tupleIJPjSI_NS0_16reverse_iteratorISI_EEEEENSH_IJSG_SG_SG_EEES9_SI_JZNS1_25segmented_radix_sort_implINS0_14default_configELb0EPKaPaPKlPlN2at6native12_GLOBAL__N_18offset_tEEE10hipError_tPvRmT1_PNSt15iterator_traitsIS12_E10value_typeET2_T3_PNS13_IS18_E10value_typeET4_jRbjT5_S1E_jjP12ihipStream_tbEUljE_ZNSN_ISO_Lb0ESQ_SR_ST_SU_SY_EESZ_S10_S11_S12_S16_S17_S18_S1B_S1C_jS1D_jS1E_S1E_jjS1G_bEUljE0_EEESZ_S10_S11_S18_S1C_S1E_T6_T7_T9_mT8_S1G_bDpT10_ENKUlT_T0_E_clISt17integral_constantIbLb1EES1T_IbLb0EEEEDaS1P_S1Q_EUlS1P_E_NS1_11comp_targetILNS1_3genE4ELNS1_11target_archE910ELNS1_3gpuE8ELNS1_3repE0EEENS1_30default_config_static_selectorELNS0_4arch9wavefront6targetE0EEEvS12_,@function
_ZN7rocprim17ROCPRIM_400000_NS6detail17trampoline_kernelINS0_13select_configILj256ELj13ELNS0_17block_load_methodE3ELS4_3ELS4_3ELNS0_20block_scan_algorithmE0ELj4294967295EEENS1_25partition_config_selectorILNS1_17partition_subalgoE4EjNS0_10empty_typeEbEEZZNS1_14partition_implILS8_4ELb0ES6_15HIP_vector_typeIjLj2EENS0_17counting_iteratorIjlEEPS9_SG_NS0_5tupleIJPjSI_NS0_16reverse_iteratorISI_EEEEENSH_IJSG_SG_SG_EEES9_SI_JZNS1_25segmented_radix_sort_implINS0_14default_configELb0EPKaPaPKlPlN2at6native12_GLOBAL__N_18offset_tEEE10hipError_tPvRmT1_PNSt15iterator_traitsIS12_E10value_typeET2_T3_PNS13_IS18_E10value_typeET4_jRbjT5_S1E_jjP12ihipStream_tbEUljE_ZNSN_ISO_Lb0ESQ_SR_ST_SU_SY_EESZ_S10_S11_S12_S16_S17_S18_S1B_S1C_jS1D_jS1E_S1E_jjS1G_bEUljE0_EEESZ_S10_S11_S18_S1C_S1E_T6_T7_T9_mT8_S1G_bDpT10_ENKUlT_T0_E_clISt17integral_constantIbLb1EES1T_IbLb0EEEEDaS1P_S1Q_EUlS1P_E_NS1_11comp_targetILNS1_3genE4ELNS1_11target_archE910ELNS1_3gpuE8ELNS1_3repE0EEENS1_30default_config_static_selectorELNS0_4arch9wavefront6targetE0EEEvS12_: ; @_ZN7rocprim17ROCPRIM_400000_NS6detail17trampoline_kernelINS0_13select_configILj256ELj13ELNS0_17block_load_methodE3ELS4_3ELS4_3ELNS0_20block_scan_algorithmE0ELj4294967295EEENS1_25partition_config_selectorILNS1_17partition_subalgoE4EjNS0_10empty_typeEbEEZZNS1_14partition_implILS8_4ELb0ES6_15HIP_vector_typeIjLj2EENS0_17counting_iteratorIjlEEPS9_SG_NS0_5tupleIJPjSI_NS0_16reverse_iteratorISI_EEEEENSH_IJSG_SG_SG_EEES9_SI_JZNS1_25segmented_radix_sort_implINS0_14default_configELb0EPKaPaPKlPlN2at6native12_GLOBAL__N_18offset_tEEE10hipError_tPvRmT1_PNSt15iterator_traitsIS12_E10value_typeET2_T3_PNS13_IS18_E10value_typeET4_jRbjT5_S1E_jjP12ihipStream_tbEUljE_ZNSN_ISO_Lb0ESQ_SR_ST_SU_SY_EESZ_S10_S11_S12_S16_S17_S18_S1B_S1C_jS1D_jS1E_S1E_jjS1G_bEUljE0_EEESZ_S10_S11_S18_S1C_S1E_T6_T7_T9_mT8_S1G_bDpT10_ENKUlT_T0_E_clISt17integral_constantIbLb1EES1T_IbLb0EEEEDaS1P_S1Q_EUlS1P_E_NS1_11comp_targetILNS1_3genE4ELNS1_11target_archE910ELNS1_3gpuE8ELNS1_3repE0EEENS1_30default_config_static_selectorELNS0_4arch9wavefront6targetE0EEEvS12_
; %bb.0:
	.section	.rodata,"a",@progbits
	.p2align	6, 0x0
	.amdhsa_kernel _ZN7rocprim17ROCPRIM_400000_NS6detail17trampoline_kernelINS0_13select_configILj256ELj13ELNS0_17block_load_methodE3ELS4_3ELS4_3ELNS0_20block_scan_algorithmE0ELj4294967295EEENS1_25partition_config_selectorILNS1_17partition_subalgoE4EjNS0_10empty_typeEbEEZZNS1_14partition_implILS8_4ELb0ES6_15HIP_vector_typeIjLj2EENS0_17counting_iteratorIjlEEPS9_SG_NS0_5tupleIJPjSI_NS0_16reverse_iteratorISI_EEEEENSH_IJSG_SG_SG_EEES9_SI_JZNS1_25segmented_radix_sort_implINS0_14default_configELb0EPKaPaPKlPlN2at6native12_GLOBAL__N_18offset_tEEE10hipError_tPvRmT1_PNSt15iterator_traitsIS12_E10value_typeET2_T3_PNS13_IS18_E10value_typeET4_jRbjT5_S1E_jjP12ihipStream_tbEUljE_ZNSN_ISO_Lb0ESQ_SR_ST_SU_SY_EESZ_S10_S11_S12_S16_S17_S18_S1B_S1C_jS1D_jS1E_S1E_jjS1G_bEUljE0_EEESZ_S10_S11_S18_S1C_S1E_T6_T7_T9_mT8_S1G_bDpT10_ENKUlT_T0_E_clISt17integral_constantIbLb1EES1T_IbLb0EEEEDaS1P_S1Q_EUlS1P_E_NS1_11comp_targetILNS1_3genE4ELNS1_11target_archE910ELNS1_3gpuE8ELNS1_3repE0EEENS1_30default_config_static_selectorELNS0_4arch9wavefront6targetE0EEEvS12_
		.amdhsa_group_segment_fixed_size 0
		.amdhsa_private_segment_fixed_size 0
		.amdhsa_kernarg_size 176
		.amdhsa_user_sgpr_count 6
		.amdhsa_user_sgpr_private_segment_buffer 1
		.amdhsa_user_sgpr_dispatch_ptr 0
		.amdhsa_user_sgpr_queue_ptr 0
		.amdhsa_user_sgpr_kernarg_segment_ptr 1
		.amdhsa_user_sgpr_dispatch_id 0
		.amdhsa_user_sgpr_flat_scratch_init 0
		.amdhsa_user_sgpr_private_segment_size 0
		.amdhsa_wavefront_size32 1
		.amdhsa_uses_dynamic_stack 0
		.amdhsa_system_sgpr_private_segment_wavefront_offset 0
		.amdhsa_system_sgpr_workgroup_id_x 1
		.amdhsa_system_sgpr_workgroup_id_y 0
		.amdhsa_system_sgpr_workgroup_id_z 0
		.amdhsa_system_sgpr_workgroup_info 0
		.amdhsa_system_vgpr_workitem_id 0
		.amdhsa_next_free_vgpr 1
		.amdhsa_next_free_sgpr 1
		.amdhsa_reserve_vcc 0
		.amdhsa_reserve_flat_scratch 0
		.amdhsa_float_round_mode_32 0
		.amdhsa_float_round_mode_16_64 0
		.amdhsa_float_denorm_mode_32 3
		.amdhsa_float_denorm_mode_16_64 3
		.amdhsa_dx10_clamp 1
		.amdhsa_ieee_mode 1
		.amdhsa_fp16_overflow 0
		.amdhsa_workgroup_processor_mode 1
		.amdhsa_memory_ordered 1
		.amdhsa_forward_progress 1
		.amdhsa_shared_vgpr_count 0
		.amdhsa_exception_fp_ieee_invalid_op 0
		.amdhsa_exception_fp_denorm_src 0
		.amdhsa_exception_fp_ieee_div_zero 0
		.amdhsa_exception_fp_ieee_overflow 0
		.amdhsa_exception_fp_ieee_underflow 0
		.amdhsa_exception_fp_ieee_inexact 0
		.amdhsa_exception_int_div_zero 0
	.end_amdhsa_kernel
	.section	.text._ZN7rocprim17ROCPRIM_400000_NS6detail17trampoline_kernelINS0_13select_configILj256ELj13ELNS0_17block_load_methodE3ELS4_3ELS4_3ELNS0_20block_scan_algorithmE0ELj4294967295EEENS1_25partition_config_selectorILNS1_17partition_subalgoE4EjNS0_10empty_typeEbEEZZNS1_14partition_implILS8_4ELb0ES6_15HIP_vector_typeIjLj2EENS0_17counting_iteratorIjlEEPS9_SG_NS0_5tupleIJPjSI_NS0_16reverse_iteratorISI_EEEEENSH_IJSG_SG_SG_EEES9_SI_JZNS1_25segmented_radix_sort_implINS0_14default_configELb0EPKaPaPKlPlN2at6native12_GLOBAL__N_18offset_tEEE10hipError_tPvRmT1_PNSt15iterator_traitsIS12_E10value_typeET2_T3_PNS13_IS18_E10value_typeET4_jRbjT5_S1E_jjP12ihipStream_tbEUljE_ZNSN_ISO_Lb0ESQ_SR_ST_SU_SY_EESZ_S10_S11_S12_S16_S17_S18_S1B_S1C_jS1D_jS1E_S1E_jjS1G_bEUljE0_EEESZ_S10_S11_S18_S1C_S1E_T6_T7_T9_mT8_S1G_bDpT10_ENKUlT_T0_E_clISt17integral_constantIbLb1EES1T_IbLb0EEEEDaS1P_S1Q_EUlS1P_E_NS1_11comp_targetILNS1_3genE4ELNS1_11target_archE910ELNS1_3gpuE8ELNS1_3repE0EEENS1_30default_config_static_selectorELNS0_4arch9wavefront6targetE0EEEvS12_,"axG",@progbits,_ZN7rocprim17ROCPRIM_400000_NS6detail17trampoline_kernelINS0_13select_configILj256ELj13ELNS0_17block_load_methodE3ELS4_3ELS4_3ELNS0_20block_scan_algorithmE0ELj4294967295EEENS1_25partition_config_selectorILNS1_17partition_subalgoE4EjNS0_10empty_typeEbEEZZNS1_14partition_implILS8_4ELb0ES6_15HIP_vector_typeIjLj2EENS0_17counting_iteratorIjlEEPS9_SG_NS0_5tupleIJPjSI_NS0_16reverse_iteratorISI_EEEEENSH_IJSG_SG_SG_EEES9_SI_JZNS1_25segmented_radix_sort_implINS0_14default_configELb0EPKaPaPKlPlN2at6native12_GLOBAL__N_18offset_tEEE10hipError_tPvRmT1_PNSt15iterator_traitsIS12_E10value_typeET2_T3_PNS13_IS18_E10value_typeET4_jRbjT5_S1E_jjP12ihipStream_tbEUljE_ZNSN_ISO_Lb0ESQ_SR_ST_SU_SY_EESZ_S10_S11_S12_S16_S17_S18_S1B_S1C_jS1D_jS1E_S1E_jjS1G_bEUljE0_EEESZ_S10_S11_S18_S1C_S1E_T6_T7_T9_mT8_S1G_bDpT10_ENKUlT_T0_E_clISt17integral_constantIbLb1EES1T_IbLb0EEEEDaS1P_S1Q_EUlS1P_E_NS1_11comp_targetILNS1_3genE4ELNS1_11target_archE910ELNS1_3gpuE8ELNS1_3repE0EEENS1_30default_config_static_selectorELNS0_4arch9wavefront6targetE0EEEvS12_,comdat
.Lfunc_end344:
	.size	_ZN7rocprim17ROCPRIM_400000_NS6detail17trampoline_kernelINS0_13select_configILj256ELj13ELNS0_17block_load_methodE3ELS4_3ELS4_3ELNS0_20block_scan_algorithmE0ELj4294967295EEENS1_25partition_config_selectorILNS1_17partition_subalgoE4EjNS0_10empty_typeEbEEZZNS1_14partition_implILS8_4ELb0ES6_15HIP_vector_typeIjLj2EENS0_17counting_iteratorIjlEEPS9_SG_NS0_5tupleIJPjSI_NS0_16reverse_iteratorISI_EEEEENSH_IJSG_SG_SG_EEES9_SI_JZNS1_25segmented_radix_sort_implINS0_14default_configELb0EPKaPaPKlPlN2at6native12_GLOBAL__N_18offset_tEEE10hipError_tPvRmT1_PNSt15iterator_traitsIS12_E10value_typeET2_T3_PNS13_IS18_E10value_typeET4_jRbjT5_S1E_jjP12ihipStream_tbEUljE_ZNSN_ISO_Lb0ESQ_SR_ST_SU_SY_EESZ_S10_S11_S12_S16_S17_S18_S1B_S1C_jS1D_jS1E_S1E_jjS1G_bEUljE0_EEESZ_S10_S11_S18_S1C_S1E_T6_T7_T9_mT8_S1G_bDpT10_ENKUlT_T0_E_clISt17integral_constantIbLb1EES1T_IbLb0EEEEDaS1P_S1Q_EUlS1P_E_NS1_11comp_targetILNS1_3genE4ELNS1_11target_archE910ELNS1_3gpuE8ELNS1_3repE0EEENS1_30default_config_static_selectorELNS0_4arch9wavefront6targetE0EEEvS12_, .Lfunc_end344-_ZN7rocprim17ROCPRIM_400000_NS6detail17trampoline_kernelINS0_13select_configILj256ELj13ELNS0_17block_load_methodE3ELS4_3ELS4_3ELNS0_20block_scan_algorithmE0ELj4294967295EEENS1_25partition_config_selectorILNS1_17partition_subalgoE4EjNS0_10empty_typeEbEEZZNS1_14partition_implILS8_4ELb0ES6_15HIP_vector_typeIjLj2EENS0_17counting_iteratorIjlEEPS9_SG_NS0_5tupleIJPjSI_NS0_16reverse_iteratorISI_EEEEENSH_IJSG_SG_SG_EEES9_SI_JZNS1_25segmented_radix_sort_implINS0_14default_configELb0EPKaPaPKlPlN2at6native12_GLOBAL__N_18offset_tEEE10hipError_tPvRmT1_PNSt15iterator_traitsIS12_E10value_typeET2_T3_PNS13_IS18_E10value_typeET4_jRbjT5_S1E_jjP12ihipStream_tbEUljE_ZNSN_ISO_Lb0ESQ_SR_ST_SU_SY_EESZ_S10_S11_S12_S16_S17_S18_S1B_S1C_jS1D_jS1E_S1E_jjS1G_bEUljE0_EEESZ_S10_S11_S18_S1C_S1E_T6_T7_T9_mT8_S1G_bDpT10_ENKUlT_T0_E_clISt17integral_constantIbLb1EES1T_IbLb0EEEEDaS1P_S1Q_EUlS1P_E_NS1_11comp_targetILNS1_3genE4ELNS1_11target_archE910ELNS1_3gpuE8ELNS1_3repE0EEENS1_30default_config_static_selectorELNS0_4arch9wavefront6targetE0EEEvS12_
                                        ; -- End function
	.set _ZN7rocprim17ROCPRIM_400000_NS6detail17trampoline_kernelINS0_13select_configILj256ELj13ELNS0_17block_load_methodE3ELS4_3ELS4_3ELNS0_20block_scan_algorithmE0ELj4294967295EEENS1_25partition_config_selectorILNS1_17partition_subalgoE4EjNS0_10empty_typeEbEEZZNS1_14partition_implILS8_4ELb0ES6_15HIP_vector_typeIjLj2EENS0_17counting_iteratorIjlEEPS9_SG_NS0_5tupleIJPjSI_NS0_16reverse_iteratorISI_EEEEENSH_IJSG_SG_SG_EEES9_SI_JZNS1_25segmented_radix_sort_implINS0_14default_configELb0EPKaPaPKlPlN2at6native12_GLOBAL__N_18offset_tEEE10hipError_tPvRmT1_PNSt15iterator_traitsIS12_E10value_typeET2_T3_PNS13_IS18_E10value_typeET4_jRbjT5_S1E_jjP12ihipStream_tbEUljE_ZNSN_ISO_Lb0ESQ_SR_ST_SU_SY_EESZ_S10_S11_S12_S16_S17_S18_S1B_S1C_jS1D_jS1E_S1E_jjS1G_bEUljE0_EEESZ_S10_S11_S18_S1C_S1E_T6_T7_T9_mT8_S1G_bDpT10_ENKUlT_T0_E_clISt17integral_constantIbLb1EES1T_IbLb0EEEEDaS1P_S1Q_EUlS1P_E_NS1_11comp_targetILNS1_3genE4ELNS1_11target_archE910ELNS1_3gpuE8ELNS1_3repE0EEENS1_30default_config_static_selectorELNS0_4arch9wavefront6targetE0EEEvS12_.num_vgpr, 0
	.set _ZN7rocprim17ROCPRIM_400000_NS6detail17trampoline_kernelINS0_13select_configILj256ELj13ELNS0_17block_load_methodE3ELS4_3ELS4_3ELNS0_20block_scan_algorithmE0ELj4294967295EEENS1_25partition_config_selectorILNS1_17partition_subalgoE4EjNS0_10empty_typeEbEEZZNS1_14partition_implILS8_4ELb0ES6_15HIP_vector_typeIjLj2EENS0_17counting_iteratorIjlEEPS9_SG_NS0_5tupleIJPjSI_NS0_16reverse_iteratorISI_EEEEENSH_IJSG_SG_SG_EEES9_SI_JZNS1_25segmented_radix_sort_implINS0_14default_configELb0EPKaPaPKlPlN2at6native12_GLOBAL__N_18offset_tEEE10hipError_tPvRmT1_PNSt15iterator_traitsIS12_E10value_typeET2_T3_PNS13_IS18_E10value_typeET4_jRbjT5_S1E_jjP12ihipStream_tbEUljE_ZNSN_ISO_Lb0ESQ_SR_ST_SU_SY_EESZ_S10_S11_S12_S16_S17_S18_S1B_S1C_jS1D_jS1E_S1E_jjS1G_bEUljE0_EEESZ_S10_S11_S18_S1C_S1E_T6_T7_T9_mT8_S1G_bDpT10_ENKUlT_T0_E_clISt17integral_constantIbLb1EES1T_IbLb0EEEEDaS1P_S1Q_EUlS1P_E_NS1_11comp_targetILNS1_3genE4ELNS1_11target_archE910ELNS1_3gpuE8ELNS1_3repE0EEENS1_30default_config_static_selectorELNS0_4arch9wavefront6targetE0EEEvS12_.num_agpr, 0
	.set _ZN7rocprim17ROCPRIM_400000_NS6detail17trampoline_kernelINS0_13select_configILj256ELj13ELNS0_17block_load_methodE3ELS4_3ELS4_3ELNS0_20block_scan_algorithmE0ELj4294967295EEENS1_25partition_config_selectorILNS1_17partition_subalgoE4EjNS0_10empty_typeEbEEZZNS1_14partition_implILS8_4ELb0ES6_15HIP_vector_typeIjLj2EENS0_17counting_iteratorIjlEEPS9_SG_NS0_5tupleIJPjSI_NS0_16reverse_iteratorISI_EEEEENSH_IJSG_SG_SG_EEES9_SI_JZNS1_25segmented_radix_sort_implINS0_14default_configELb0EPKaPaPKlPlN2at6native12_GLOBAL__N_18offset_tEEE10hipError_tPvRmT1_PNSt15iterator_traitsIS12_E10value_typeET2_T3_PNS13_IS18_E10value_typeET4_jRbjT5_S1E_jjP12ihipStream_tbEUljE_ZNSN_ISO_Lb0ESQ_SR_ST_SU_SY_EESZ_S10_S11_S12_S16_S17_S18_S1B_S1C_jS1D_jS1E_S1E_jjS1G_bEUljE0_EEESZ_S10_S11_S18_S1C_S1E_T6_T7_T9_mT8_S1G_bDpT10_ENKUlT_T0_E_clISt17integral_constantIbLb1EES1T_IbLb0EEEEDaS1P_S1Q_EUlS1P_E_NS1_11comp_targetILNS1_3genE4ELNS1_11target_archE910ELNS1_3gpuE8ELNS1_3repE0EEENS1_30default_config_static_selectorELNS0_4arch9wavefront6targetE0EEEvS12_.numbered_sgpr, 0
	.set _ZN7rocprim17ROCPRIM_400000_NS6detail17trampoline_kernelINS0_13select_configILj256ELj13ELNS0_17block_load_methodE3ELS4_3ELS4_3ELNS0_20block_scan_algorithmE0ELj4294967295EEENS1_25partition_config_selectorILNS1_17partition_subalgoE4EjNS0_10empty_typeEbEEZZNS1_14partition_implILS8_4ELb0ES6_15HIP_vector_typeIjLj2EENS0_17counting_iteratorIjlEEPS9_SG_NS0_5tupleIJPjSI_NS0_16reverse_iteratorISI_EEEEENSH_IJSG_SG_SG_EEES9_SI_JZNS1_25segmented_radix_sort_implINS0_14default_configELb0EPKaPaPKlPlN2at6native12_GLOBAL__N_18offset_tEEE10hipError_tPvRmT1_PNSt15iterator_traitsIS12_E10value_typeET2_T3_PNS13_IS18_E10value_typeET4_jRbjT5_S1E_jjP12ihipStream_tbEUljE_ZNSN_ISO_Lb0ESQ_SR_ST_SU_SY_EESZ_S10_S11_S12_S16_S17_S18_S1B_S1C_jS1D_jS1E_S1E_jjS1G_bEUljE0_EEESZ_S10_S11_S18_S1C_S1E_T6_T7_T9_mT8_S1G_bDpT10_ENKUlT_T0_E_clISt17integral_constantIbLb1EES1T_IbLb0EEEEDaS1P_S1Q_EUlS1P_E_NS1_11comp_targetILNS1_3genE4ELNS1_11target_archE910ELNS1_3gpuE8ELNS1_3repE0EEENS1_30default_config_static_selectorELNS0_4arch9wavefront6targetE0EEEvS12_.num_named_barrier, 0
	.set _ZN7rocprim17ROCPRIM_400000_NS6detail17trampoline_kernelINS0_13select_configILj256ELj13ELNS0_17block_load_methodE3ELS4_3ELS4_3ELNS0_20block_scan_algorithmE0ELj4294967295EEENS1_25partition_config_selectorILNS1_17partition_subalgoE4EjNS0_10empty_typeEbEEZZNS1_14partition_implILS8_4ELb0ES6_15HIP_vector_typeIjLj2EENS0_17counting_iteratorIjlEEPS9_SG_NS0_5tupleIJPjSI_NS0_16reverse_iteratorISI_EEEEENSH_IJSG_SG_SG_EEES9_SI_JZNS1_25segmented_radix_sort_implINS0_14default_configELb0EPKaPaPKlPlN2at6native12_GLOBAL__N_18offset_tEEE10hipError_tPvRmT1_PNSt15iterator_traitsIS12_E10value_typeET2_T3_PNS13_IS18_E10value_typeET4_jRbjT5_S1E_jjP12ihipStream_tbEUljE_ZNSN_ISO_Lb0ESQ_SR_ST_SU_SY_EESZ_S10_S11_S12_S16_S17_S18_S1B_S1C_jS1D_jS1E_S1E_jjS1G_bEUljE0_EEESZ_S10_S11_S18_S1C_S1E_T6_T7_T9_mT8_S1G_bDpT10_ENKUlT_T0_E_clISt17integral_constantIbLb1EES1T_IbLb0EEEEDaS1P_S1Q_EUlS1P_E_NS1_11comp_targetILNS1_3genE4ELNS1_11target_archE910ELNS1_3gpuE8ELNS1_3repE0EEENS1_30default_config_static_selectorELNS0_4arch9wavefront6targetE0EEEvS12_.private_seg_size, 0
	.set _ZN7rocprim17ROCPRIM_400000_NS6detail17trampoline_kernelINS0_13select_configILj256ELj13ELNS0_17block_load_methodE3ELS4_3ELS4_3ELNS0_20block_scan_algorithmE0ELj4294967295EEENS1_25partition_config_selectorILNS1_17partition_subalgoE4EjNS0_10empty_typeEbEEZZNS1_14partition_implILS8_4ELb0ES6_15HIP_vector_typeIjLj2EENS0_17counting_iteratorIjlEEPS9_SG_NS0_5tupleIJPjSI_NS0_16reverse_iteratorISI_EEEEENSH_IJSG_SG_SG_EEES9_SI_JZNS1_25segmented_radix_sort_implINS0_14default_configELb0EPKaPaPKlPlN2at6native12_GLOBAL__N_18offset_tEEE10hipError_tPvRmT1_PNSt15iterator_traitsIS12_E10value_typeET2_T3_PNS13_IS18_E10value_typeET4_jRbjT5_S1E_jjP12ihipStream_tbEUljE_ZNSN_ISO_Lb0ESQ_SR_ST_SU_SY_EESZ_S10_S11_S12_S16_S17_S18_S1B_S1C_jS1D_jS1E_S1E_jjS1G_bEUljE0_EEESZ_S10_S11_S18_S1C_S1E_T6_T7_T9_mT8_S1G_bDpT10_ENKUlT_T0_E_clISt17integral_constantIbLb1EES1T_IbLb0EEEEDaS1P_S1Q_EUlS1P_E_NS1_11comp_targetILNS1_3genE4ELNS1_11target_archE910ELNS1_3gpuE8ELNS1_3repE0EEENS1_30default_config_static_selectorELNS0_4arch9wavefront6targetE0EEEvS12_.uses_vcc, 0
	.set _ZN7rocprim17ROCPRIM_400000_NS6detail17trampoline_kernelINS0_13select_configILj256ELj13ELNS0_17block_load_methodE3ELS4_3ELS4_3ELNS0_20block_scan_algorithmE0ELj4294967295EEENS1_25partition_config_selectorILNS1_17partition_subalgoE4EjNS0_10empty_typeEbEEZZNS1_14partition_implILS8_4ELb0ES6_15HIP_vector_typeIjLj2EENS0_17counting_iteratorIjlEEPS9_SG_NS0_5tupleIJPjSI_NS0_16reverse_iteratorISI_EEEEENSH_IJSG_SG_SG_EEES9_SI_JZNS1_25segmented_radix_sort_implINS0_14default_configELb0EPKaPaPKlPlN2at6native12_GLOBAL__N_18offset_tEEE10hipError_tPvRmT1_PNSt15iterator_traitsIS12_E10value_typeET2_T3_PNS13_IS18_E10value_typeET4_jRbjT5_S1E_jjP12ihipStream_tbEUljE_ZNSN_ISO_Lb0ESQ_SR_ST_SU_SY_EESZ_S10_S11_S12_S16_S17_S18_S1B_S1C_jS1D_jS1E_S1E_jjS1G_bEUljE0_EEESZ_S10_S11_S18_S1C_S1E_T6_T7_T9_mT8_S1G_bDpT10_ENKUlT_T0_E_clISt17integral_constantIbLb1EES1T_IbLb0EEEEDaS1P_S1Q_EUlS1P_E_NS1_11comp_targetILNS1_3genE4ELNS1_11target_archE910ELNS1_3gpuE8ELNS1_3repE0EEENS1_30default_config_static_selectorELNS0_4arch9wavefront6targetE0EEEvS12_.uses_flat_scratch, 0
	.set _ZN7rocprim17ROCPRIM_400000_NS6detail17trampoline_kernelINS0_13select_configILj256ELj13ELNS0_17block_load_methodE3ELS4_3ELS4_3ELNS0_20block_scan_algorithmE0ELj4294967295EEENS1_25partition_config_selectorILNS1_17partition_subalgoE4EjNS0_10empty_typeEbEEZZNS1_14partition_implILS8_4ELb0ES6_15HIP_vector_typeIjLj2EENS0_17counting_iteratorIjlEEPS9_SG_NS0_5tupleIJPjSI_NS0_16reverse_iteratorISI_EEEEENSH_IJSG_SG_SG_EEES9_SI_JZNS1_25segmented_radix_sort_implINS0_14default_configELb0EPKaPaPKlPlN2at6native12_GLOBAL__N_18offset_tEEE10hipError_tPvRmT1_PNSt15iterator_traitsIS12_E10value_typeET2_T3_PNS13_IS18_E10value_typeET4_jRbjT5_S1E_jjP12ihipStream_tbEUljE_ZNSN_ISO_Lb0ESQ_SR_ST_SU_SY_EESZ_S10_S11_S12_S16_S17_S18_S1B_S1C_jS1D_jS1E_S1E_jjS1G_bEUljE0_EEESZ_S10_S11_S18_S1C_S1E_T6_T7_T9_mT8_S1G_bDpT10_ENKUlT_T0_E_clISt17integral_constantIbLb1EES1T_IbLb0EEEEDaS1P_S1Q_EUlS1P_E_NS1_11comp_targetILNS1_3genE4ELNS1_11target_archE910ELNS1_3gpuE8ELNS1_3repE0EEENS1_30default_config_static_selectorELNS0_4arch9wavefront6targetE0EEEvS12_.has_dyn_sized_stack, 0
	.set _ZN7rocprim17ROCPRIM_400000_NS6detail17trampoline_kernelINS0_13select_configILj256ELj13ELNS0_17block_load_methodE3ELS4_3ELS4_3ELNS0_20block_scan_algorithmE0ELj4294967295EEENS1_25partition_config_selectorILNS1_17partition_subalgoE4EjNS0_10empty_typeEbEEZZNS1_14partition_implILS8_4ELb0ES6_15HIP_vector_typeIjLj2EENS0_17counting_iteratorIjlEEPS9_SG_NS0_5tupleIJPjSI_NS0_16reverse_iteratorISI_EEEEENSH_IJSG_SG_SG_EEES9_SI_JZNS1_25segmented_radix_sort_implINS0_14default_configELb0EPKaPaPKlPlN2at6native12_GLOBAL__N_18offset_tEEE10hipError_tPvRmT1_PNSt15iterator_traitsIS12_E10value_typeET2_T3_PNS13_IS18_E10value_typeET4_jRbjT5_S1E_jjP12ihipStream_tbEUljE_ZNSN_ISO_Lb0ESQ_SR_ST_SU_SY_EESZ_S10_S11_S12_S16_S17_S18_S1B_S1C_jS1D_jS1E_S1E_jjS1G_bEUljE0_EEESZ_S10_S11_S18_S1C_S1E_T6_T7_T9_mT8_S1G_bDpT10_ENKUlT_T0_E_clISt17integral_constantIbLb1EES1T_IbLb0EEEEDaS1P_S1Q_EUlS1P_E_NS1_11comp_targetILNS1_3genE4ELNS1_11target_archE910ELNS1_3gpuE8ELNS1_3repE0EEENS1_30default_config_static_selectorELNS0_4arch9wavefront6targetE0EEEvS12_.has_recursion, 0
	.set _ZN7rocprim17ROCPRIM_400000_NS6detail17trampoline_kernelINS0_13select_configILj256ELj13ELNS0_17block_load_methodE3ELS4_3ELS4_3ELNS0_20block_scan_algorithmE0ELj4294967295EEENS1_25partition_config_selectorILNS1_17partition_subalgoE4EjNS0_10empty_typeEbEEZZNS1_14partition_implILS8_4ELb0ES6_15HIP_vector_typeIjLj2EENS0_17counting_iteratorIjlEEPS9_SG_NS0_5tupleIJPjSI_NS0_16reverse_iteratorISI_EEEEENSH_IJSG_SG_SG_EEES9_SI_JZNS1_25segmented_radix_sort_implINS0_14default_configELb0EPKaPaPKlPlN2at6native12_GLOBAL__N_18offset_tEEE10hipError_tPvRmT1_PNSt15iterator_traitsIS12_E10value_typeET2_T3_PNS13_IS18_E10value_typeET4_jRbjT5_S1E_jjP12ihipStream_tbEUljE_ZNSN_ISO_Lb0ESQ_SR_ST_SU_SY_EESZ_S10_S11_S12_S16_S17_S18_S1B_S1C_jS1D_jS1E_S1E_jjS1G_bEUljE0_EEESZ_S10_S11_S18_S1C_S1E_T6_T7_T9_mT8_S1G_bDpT10_ENKUlT_T0_E_clISt17integral_constantIbLb1EES1T_IbLb0EEEEDaS1P_S1Q_EUlS1P_E_NS1_11comp_targetILNS1_3genE4ELNS1_11target_archE910ELNS1_3gpuE8ELNS1_3repE0EEENS1_30default_config_static_selectorELNS0_4arch9wavefront6targetE0EEEvS12_.has_indirect_call, 0
	.section	.AMDGPU.csdata,"",@progbits
; Kernel info:
; codeLenInByte = 0
; TotalNumSgprs: 0
; NumVgprs: 0
; ScratchSize: 0
; MemoryBound: 0
; FloatMode: 240
; IeeeMode: 1
; LDSByteSize: 0 bytes/workgroup (compile time only)
; SGPRBlocks: 0
; VGPRBlocks: 0
; NumSGPRsForWavesPerEU: 1
; NumVGPRsForWavesPerEU: 1
; Occupancy: 16
; WaveLimiterHint : 0
; COMPUTE_PGM_RSRC2:SCRATCH_EN: 0
; COMPUTE_PGM_RSRC2:USER_SGPR: 6
; COMPUTE_PGM_RSRC2:TRAP_HANDLER: 0
; COMPUTE_PGM_RSRC2:TGID_X_EN: 1
; COMPUTE_PGM_RSRC2:TGID_Y_EN: 0
; COMPUTE_PGM_RSRC2:TGID_Z_EN: 0
; COMPUTE_PGM_RSRC2:TIDIG_COMP_CNT: 0
	.section	.text._ZN7rocprim17ROCPRIM_400000_NS6detail17trampoline_kernelINS0_13select_configILj256ELj13ELNS0_17block_load_methodE3ELS4_3ELS4_3ELNS0_20block_scan_algorithmE0ELj4294967295EEENS1_25partition_config_selectorILNS1_17partition_subalgoE4EjNS0_10empty_typeEbEEZZNS1_14partition_implILS8_4ELb0ES6_15HIP_vector_typeIjLj2EENS0_17counting_iteratorIjlEEPS9_SG_NS0_5tupleIJPjSI_NS0_16reverse_iteratorISI_EEEEENSH_IJSG_SG_SG_EEES9_SI_JZNS1_25segmented_radix_sort_implINS0_14default_configELb0EPKaPaPKlPlN2at6native12_GLOBAL__N_18offset_tEEE10hipError_tPvRmT1_PNSt15iterator_traitsIS12_E10value_typeET2_T3_PNS13_IS18_E10value_typeET4_jRbjT5_S1E_jjP12ihipStream_tbEUljE_ZNSN_ISO_Lb0ESQ_SR_ST_SU_SY_EESZ_S10_S11_S12_S16_S17_S18_S1B_S1C_jS1D_jS1E_S1E_jjS1G_bEUljE0_EEESZ_S10_S11_S18_S1C_S1E_T6_T7_T9_mT8_S1G_bDpT10_ENKUlT_T0_E_clISt17integral_constantIbLb1EES1T_IbLb0EEEEDaS1P_S1Q_EUlS1P_E_NS1_11comp_targetILNS1_3genE3ELNS1_11target_archE908ELNS1_3gpuE7ELNS1_3repE0EEENS1_30default_config_static_selectorELNS0_4arch9wavefront6targetE0EEEvS12_,"axG",@progbits,_ZN7rocprim17ROCPRIM_400000_NS6detail17trampoline_kernelINS0_13select_configILj256ELj13ELNS0_17block_load_methodE3ELS4_3ELS4_3ELNS0_20block_scan_algorithmE0ELj4294967295EEENS1_25partition_config_selectorILNS1_17partition_subalgoE4EjNS0_10empty_typeEbEEZZNS1_14partition_implILS8_4ELb0ES6_15HIP_vector_typeIjLj2EENS0_17counting_iteratorIjlEEPS9_SG_NS0_5tupleIJPjSI_NS0_16reverse_iteratorISI_EEEEENSH_IJSG_SG_SG_EEES9_SI_JZNS1_25segmented_radix_sort_implINS0_14default_configELb0EPKaPaPKlPlN2at6native12_GLOBAL__N_18offset_tEEE10hipError_tPvRmT1_PNSt15iterator_traitsIS12_E10value_typeET2_T3_PNS13_IS18_E10value_typeET4_jRbjT5_S1E_jjP12ihipStream_tbEUljE_ZNSN_ISO_Lb0ESQ_SR_ST_SU_SY_EESZ_S10_S11_S12_S16_S17_S18_S1B_S1C_jS1D_jS1E_S1E_jjS1G_bEUljE0_EEESZ_S10_S11_S18_S1C_S1E_T6_T7_T9_mT8_S1G_bDpT10_ENKUlT_T0_E_clISt17integral_constantIbLb1EES1T_IbLb0EEEEDaS1P_S1Q_EUlS1P_E_NS1_11comp_targetILNS1_3genE3ELNS1_11target_archE908ELNS1_3gpuE7ELNS1_3repE0EEENS1_30default_config_static_selectorELNS0_4arch9wavefront6targetE0EEEvS12_,comdat
	.globl	_ZN7rocprim17ROCPRIM_400000_NS6detail17trampoline_kernelINS0_13select_configILj256ELj13ELNS0_17block_load_methodE3ELS4_3ELS4_3ELNS0_20block_scan_algorithmE0ELj4294967295EEENS1_25partition_config_selectorILNS1_17partition_subalgoE4EjNS0_10empty_typeEbEEZZNS1_14partition_implILS8_4ELb0ES6_15HIP_vector_typeIjLj2EENS0_17counting_iteratorIjlEEPS9_SG_NS0_5tupleIJPjSI_NS0_16reverse_iteratorISI_EEEEENSH_IJSG_SG_SG_EEES9_SI_JZNS1_25segmented_radix_sort_implINS0_14default_configELb0EPKaPaPKlPlN2at6native12_GLOBAL__N_18offset_tEEE10hipError_tPvRmT1_PNSt15iterator_traitsIS12_E10value_typeET2_T3_PNS13_IS18_E10value_typeET4_jRbjT5_S1E_jjP12ihipStream_tbEUljE_ZNSN_ISO_Lb0ESQ_SR_ST_SU_SY_EESZ_S10_S11_S12_S16_S17_S18_S1B_S1C_jS1D_jS1E_S1E_jjS1G_bEUljE0_EEESZ_S10_S11_S18_S1C_S1E_T6_T7_T9_mT8_S1G_bDpT10_ENKUlT_T0_E_clISt17integral_constantIbLb1EES1T_IbLb0EEEEDaS1P_S1Q_EUlS1P_E_NS1_11comp_targetILNS1_3genE3ELNS1_11target_archE908ELNS1_3gpuE7ELNS1_3repE0EEENS1_30default_config_static_selectorELNS0_4arch9wavefront6targetE0EEEvS12_ ; -- Begin function _ZN7rocprim17ROCPRIM_400000_NS6detail17trampoline_kernelINS0_13select_configILj256ELj13ELNS0_17block_load_methodE3ELS4_3ELS4_3ELNS0_20block_scan_algorithmE0ELj4294967295EEENS1_25partition_config_selectorILNS1_17partition_subalgoE4EjNS0_10empty_typeEbEEZZNS1_14partition_implILS8_4ELb0ES6_15HIP_vector_typeIjLj2EENS0_17counting_iteratorIjlEEPS9_SG_NS0_5tupleIJPjSI_NS0_16reverse_iteratorISI_EEEEENSH_IJSG_SG_SG_EEES9_SI_JZNS1_25segmented_radix_sort_implINS0_14default_configELb0EPKaPaPKlPlN2at6native12_GLOBAL__N_18offset_tEEE10hipError_tPvRmT1_PNSt15iterator_traitsIS12_E10value_typeET2_T3_PNS13_IS18_E10value_typeET4_jRbjT5_S1E_jjP12ihipStream_tbEUljE_ZNSN_ISO_Lb0ESQ_SR_ST_SU_SY_EESZ_S10_S11_S12_S16_S17_S18_S1B_S1C_jS1D_jS1E_S1E_jjS1G_bEUljE0_EEESZ_S10_S11_S18_S1C_S1E_T6_T7_T9_mT8_S1G_bDpT10_ENKUlT_T0_E_clISt17integral_constantIbLb1EES1T_IbLb0EEEEDaS1P_S1Q_EUlS1P_E_NS1_11comp_targetILNS1_3genE3ELNS1_11target_archE908ELNS1_3gpuE7ELNS1_3repE0EEENS1_30default_config_static_selectorELNS0_4arch9wavefront6targetE0EEEvS12_
	.p2align	8
	.type	_ZN7rocprim17ROCPRIM_400000_NS6detail17trampoline_kernelINS0_13select_configILj256ELj13ELNS0_17block_load_methodE3ELS4_3ELS4_3ELNS0_20block_scan_algorithmE0ELj4294967295EEENS1_25partition_config_selectorILNS1_17partition_subalgoE4EjNS0_10empty_typeEbEEZZNS1_14partition_implILS8_4ELb0ES6_15HIP_vector_typeIjLj2EENS0_17counting_iteratorIjlEEPS9_SG_NS0_5tupleIJPjSI_NS0_16reverse_iteratorISI_EEEEENSH_IJSG_SG_SG_EEES9_SI_JZNS1_25segmented_radix_sort_implINS0_14default_configELb0EPKaPaPKlPlN2at6native12_GLOBAL__N_18offset_tEEE10hipError_tPvRmT1_PNSt15iterator_traitsIS12_E10value_typeET2_T3_PNS13_IS18_E10value_typeET4_jRbjT5_S1E_jjP12ihipStream_tbEUljE_ZNSN_ISO_Lb0ESQ_SR_ST_SU_SY_EESZ_S10_S11_S12_S16_S17_S18_S1B_S1C_jS1D_jS1E_S1E_jjS1G_bEUljE0_EEESZ_S10_S11_S18_S1C_S1E_T6_T7_T9_mT8_S1G_bDpT10_ENKUlT_T0_E_clISt17integral_constantIbLb1EES1T_IbLb0EEEEDaS1P_S1Q_EUlS1P_E_NS1_11comp_targetILNS1_3genE3ELNS1_11target_archE908ELNS1_3gpuE7ELNS1_3repE0EEENS1_30default_config_static_selectorELNS0_4arch9wavefront6targetE0EEEvS12_,@function
_ZN7rocprim17ROCPRIM_400000_NS6detail17trampoline_kernelINS0_13select_configILj256ELj13ELNS0_17block_load_methodE3ELS4_3ELS4_3ELNS0_20block_scan_algorithmE0ELj4294967295EEENS1_25partition_config_selectorILNS1_17partition_subalgoE4EjNS0_10empty_typeEbEEZZNS1_14partition_implILS8_4ELb0ES6_15HIP_vector_typeIjLj2EENS0_17counting_iteratorIjlEEPS9_SG_NS0_5tupleIJPjSI_NS0_16reverse_iteratorISI_EEEEENSH_IJSG_SG_SG_EEES9_SI_JZNS1_25segmented_radix_sort_implINS0_14default_configELb0EPKaPaPKlPlN2at6native12_GLOBAL__N_18offset_tEEE10hipError_tPvRmT1_PNSt15iterator_traitsIS12_E10value_typeET2_T3_PNS13_IS18_E10value_typeET4_jRbjT5_S1E_jjP12ihipStream_tbEUljE_ZNSN_ISO_Lb0ESQ_SR_ST_SU_SY_EESZ_S10_S11_S12_S16_S17_S18_S1B_S1C_jS1D_jS1E_S1E_jjS1G_bEUljE0_EEESZ_S10_S11_S18_S1C_S1E_T6_T7_T9_mT8_S1G_bDpT10_ENKUlT_T0_E_clISt17integral_constantIbLb1EES1T_IbLb0EEEEDaS1P_S1Q_EUlS1P_E_NS1_11comp_targetILNS1_3genE3ELNS1_11target_archE908ELNS1_3gpuE7ELNS1_3repE0EEENS1_30default_config_static_selectorELNS0_4arch9wavefront6targetE0EEEvS12_: ; @_ZN7rocprim17ROCPRIM_400000_NS6detail17trampoline_kernelINS0_13select_configILj256ELj13ELNS0_17block_load_methodE3ELS4_3ELS4_3ELNS0_20block_scan_algorithmE0ELj4294967295EEENS1_25partition_config_selectorILNS1_17partition_subalgoE4EjNS0_10empty_typeEbEEZZNS1_14partition_implILS8_4ELb0ES6_15HIP_vector_typeIjLj2EENS0_17counting_iteratorIjlEEPS9_SG_NS0_5tupleIJPjSI_NS0_16reverse_iteratorISI_EEEEENSH_IJSG_SG_SG_EEES9_SI_JZNS1_25segmented_radix_sort_implINS0_14default_configELb0EPKaPaPKlPlN2at6native12_GLOBAL__N_18offset_tEEE10hipError_tPvRmT1_PNSt15iterator_traitsIS12_E10value_typeET2_T3_PNS13_IS18_E10value_typeET4_jRbjT5_S1E_jjP12ihipStream_tbEUljE_ZNSN_ISO_Lb0ESQ_SR_ST_SU_SY_EESZ_S10_S11_S12_S16_S17_S18_S1B_S1C_jS1D_jS1E_S1E_jjS1G_bEUljE0_EEESZ_S10_S11_S18_S1C_S1E_T6_T7_T9_mT8_S1G_bDpT10_ENKUlT_T0_E_clISt17integral_constantIbLb1EES1T_IbLb0EEEEDaS1P_S1Q_EUlS1P_E_NS1_11comp_targetILNS1_3genE3ELNS1_11target_archE908ELNS1_3gpuE7ELNS1_3repE0EEENS1_30default_config_static_selectorELNS0_4arch9wavefront6targetE0EEEvS12_
; %bb.0:
	.section	.rodata,"a",@progbits
	.p2align	6, 0x0
	.amdhsa_kernel _ZN7rocprim17ROCPRIM_400000_NS6detail17trampoline_kernelINS0_13select_configILj256ELj13ELNS0_17block_load_methodE3ELS4_3ELS4_3ELNS0_20block_scan_algorithmE0ELj4294967295EEENS1_25partition_config_selectorILNS1_17partition_subalgoE4EjNS0_10empty_typeEbEEZZNS1_14partition_implILS8_4ELb0ES6_15HIP_vector_typeIjLj2EENS0_17counting_iteratorIjlEEPS9_SG_NS0_5tupleIJPjSI_NS0_16reverse_iteratorISI_EEEEENSH_IJSG_SG_SG_EEES9_SI_JZNS1_25segmented_radix_sort_implINS0_14default_configELb0EPKaPaPKlPlN2at6native12_GLOBAL__N_18offset_tEEE10hipError_tPvRmT1_PNSt15iterator_traitsIS12_E10value_typeET2_T3_PNS13_IS18_E10value_typeET4_jRbjT5_S1E_jjP12ihipStream_tbEUljE_ZNSN_ISO_Lb0ESQ_SR_ST_SU_SY_EESZ_S10_S11_S12_S16_S17_S18_S1B_S1C_jS1D_jS1E_S1E_jjS1G_bEUljE0_EEESZ_S10_S11_S18_S1C_S1E_T6_T7_T9_mT8_S1G_bDpT10_ENKUlT_T0_E_clISt17integral_constantIbLb1EES1T_IbLb0EEEEDaS1P_S1Q_EUlS1P_E_NS1_11comp_targetILNS1_3genE3ELNS1_11target_archE908ELNS1_3gpuE7ELNS1_3repE0EEENS1_30default_config_static_selectorELNS0_4arch9wavefront6targetE0EEEvS12_
		.amdhsa_group_segment_fixed_size 0
		.amdhsa_private_segment_fixed_size 0
		.amdhsa_kernarg_size 176
		.amdhsa_user_sgpr_count 6
		.amdhsa_user_sgpr_private_segment_buffer 1
		.amdhsa_user_sgpr_dispatch_ptr 0
		.amdhsa_user_sgpr_queue_ptr 0
		.amdhsa_user_sgpr_kernarg_segment_ptr 1
		.amdhsa_user_sgpr_dispatch_id 0
		.amdhsa_user_sgpr_flat_scratch_init 0
		.amdhsa_user_sgpr_private_segment_size 0
		.amdhsa_wavefront_size32 1
		.amdhsa_uses_dynamic_stack 0
		.amdhsa_system_sgpr_private_segment_wavefront_offset 0
		.amdhsa_system_sgpr_workgroup_id_x 1
		.amdhsa_system_sgpr_workgroup_id_y 0
		.amdhsa_system_sgpr_workgroup_id_z 0
		.amdhsa_system_sgpr_workgroup_info 0
		.amdhsa_system_vgpr_workitem_id 0
		.amdhsa_next_free_vgpr 1
		.amdhsa_next_free_sgpr 1
		.amdhsa_reserve_vcc 0
		.amdhsa_reserve_flat_scratch 0
		.amdhsa_float_round_mode_32 0
		.amdhsa_float_round_mode_16_64 0
		.amdhsa_float_denorm_mode_32 3
		.amdhsa_float_denorm_mode_16_64 3
		.amdhsa_dx10_clamp 1
		.amdhsa_ieee_mode 1
		.amdhsa_fp16_overflow 0
		.amdhsa_workgroup_processor_mode 1
		.amdhsa_memory_ordered 1
		.amdhsa_forward_progress 1
		.amdhsa_shared_vgpr_count 0
		.amdhsa_exception_fp_ieee_invalid_op 0
		.amdhsa_exception_fp_denorm_src 0
		.amdhsa_exception_fp_ieee_div_zero 0
		.amdhsa_exception_fp_ieee_overflow 0
		.amdhsa_exception_fp_ieee_underflow 0
		.amdhsa_exception_fp_ieee_inexact 0
		.amdhsa_exception_int_div_zero 0
	.end_amdhsa_kernel
	.section	.text._ZN7rocprim17ROCPRIM_400000_NS6detail17trampoline_kernelINS0_13select_configILj256ELj13ELNS0_17block_load_methodE3ELS4_3ELS4_3ELNS0_20block_scan_algorithmE0ELj4294967295EEENS1_25partition_config_selectorILNS1_17partition_subalgoE4EjNS0_10empty_typeEbEEZZNS1_14partition_implILS8_4ELb0ES6_15HIP_vector_typeIjLj2EENS0_17counting_iteratorIjlEEPS9_SG_NS0_5tupleIJPjSI_NS0_16reverse_iteratorISI_EEEEENSH_IJSG_SG_SG_EEES9_SI_JZNS1_25segmented_radix_sort_implINS0_14default_configELb0EPKaPaPKlPlN2at6native12_GLOBAL__N_18offset_tEEE10hipError_tPvRmT1_PNSt15iterator_traitsIS12_E10value_typeET2_T3_PNS13_IS18_E10value_typeET4_jRbjT5_S1E_jjP12ihipStream_tbEUljE_ZNSN_ISO_Lb0ESQ_SR_ST_SU_SY_EESZ_S10_S11_S12_S16_S17_S18_S1B_S1C_jS1D_jS1E_S1E_jjS1G_bEUljE0_EEESZ_S10_S11_S18_S1C_S1E_T6_T7_T9_mT8_S1G_bDpT10_ENKUlT_T0_E_clISt17integral_constantIbLb1EES1T_IbLb0EEEEDaS1P_S1Q_EUlS1P_E_NS1_11comp_targetILNS1_3genE3ELNS1_11target_archE908ELNS1_3gpuE7ELNS1_3repE0EEENS1_30default_config_static_selectorELNS0_4arch9wavefront6targetE0EEEvS12_,"axG",@progbits,_ZN7rocprim17ROCPRIM_400000_NS6detail17trampoline_kernelINS0_13select_configILj256ELj13ELNS0_17block_load_methodE3ELS4_3ELS4_3ELNS0_20block_scan_algorithmE0ELj4294967295EEENS1_25partition_config_selectorILNS1_17partition_subalgoE4EjNS0_10empty_typeEbEEZZNS1_14partition_implILS8_4ELb0ES6_15HIP_vector_typeIjLj2EENS0_17counting_iteratorIjlEEPS9_SG_NS0_5tupleIJPjSI_NS0_16reverse_iteratorISI_EEEEENSH_IJSG_SG_SG_EEES9_SI_JZNS1_25segmented_radix_sort_implINS0_14default_configELb0EPKaPaPKlPlN2at6native12_GLOBAL__N_18offset_tEEE10hipError_tPvRmT1_PNSt15iterator_traitsIS12_E10value_typeET2_T3_PNS13_IS18_E10value_typeET4_jRbjT5_S1E_jjP12ihipStream_tbEUljE_ZNSN_ISO_Lb0ESQ_SR_ST_SU_SY_EESZ_S10_S11_S12_S16_S17_S18_S1B_S1C_jS1D_jS1E_S1E_jjS1G_bEUljE0_EEESZ_S10_S11_S18_S1C_S1E_T6_T7_T9_mT8_S1G_bDpT10_ENKUlT_T0_E_clISt17integral_constantIbLb1EES1T_IbLb0EEEEDaS1P_S1Q_EUlS1P_E_NS1_11comp_targetILNS1_3genE3ELNS1_11target_archE908ELNS1_3gpuE7ELNS1_3repE0EEENS1_30default_config_static_selectorELNS0_4arch9wavefront6targetE0EEEvS12_,comdat
.Lfunc_end345:
	.size	_ZN7rocprim17ROCPRIM_400000_NS6detail17trampoline_kernelINS0_13select_configILj256ELj13ELNS0_17block_load_methodE3ELS4_3ELS4_3ELNS0_20block_scan_algorithmE0ELj4294967295EEENS1_25partition_config_selectorILNS1_17partition_subalgoE4EjNS0_10empty_typeEbEEZZNS1_14partition_implILS8_4ELb0ES6_15HIP_vector_typeIjLj2EENS0_17counting_iteratorIjlEEPS9_SG_NS0_5tupleIJPjSI_NS0_16reverse_iteratorISI_EEEEENSH_IJSG_SG_SG_EEES9_SI_JZNS1_25segmented_radix_sort_implINS0_14default_configELb0EPKaPaPKlPlN2at6native12_GLOBAL__N_18offset_tEEE10hipError_tPvRmT1_PNSt15iterator_traitsIS12_E10value_typeET2_T3_PNS13_IS18_E10value_typeET4_jRbjT5_S1E_jjP12ihipStream_tbEUljE_ZNSN_ISO_Lb0ESQ_SR_ST_SU_SY_EESZ_S10_S11_S12_S16_S17_S18_S1B_S1C_jS1D_jS1E_S1E_jjS1G_bEUljE0_EEESZ_S10_S11_S18_S1C_S1E_T6_T7_T9_mT8_S1G_bDpT10_ENKUlT_T0_E_clISt17integral_constantIbLb1EES1T_IbLb0EEEEDaS1P_S1Q_EUlS1P_E_NS1_11comp_targetILNS1_3genE3ELNS1_11target_archE908ELNS1_3gpuE7ELNS1_3repE0EEENS1_30default_config_static_selectorELNS0_4arch9wavefront6targetE0EEEvS12_, .Lfunc_end345-_ZN7rocprim17ROCPRIM_400000_NS6detail17trampoline_kernelINS0_13select_configILj256ELj13ELNS0_17block_load_methodE3ELS4_3ELS4_3ELNS0_20block_scan_algorithmE0ELj4294967295EEENS1_25partition_config_selectorILNS1_17partition_subalgoE4EjNS0_10empty_typeEbEEZZNS1_14partition_implILS8_4ELb0ES6_15HIP_vector_typeIjLj2EENS0_17counting_iteratorIjlEEPS9_SG_NS0_5tupleIJPjSI_NS0_16reverse_iteratorISI_EEEEENSH_IJSG_SG_SG_EEES9_SI_JZNS1_25segmented_radix_sort_implINS0_14default_configELb0EPKaPaPKlPlN2at6native12_GLOBAL__N_18offset_tEEE10hipError_tPvRmT1_PNSt15iterator_traitsIS12_E10value_typeET2_T3_PNS13_IS18_E10value_typeET4_jRbjT5_S1E_jjP12ihipStream_tbEUljE_ZNSN_ISO_Lb0ESQ_SR_ST_SU_SY_EESZ_S10_S11_S12_S16_S17_S18_S1B_S1C_jS1D_jS1E_S1E_jjS1G_bEUljE0_EEESZ_S10_S11_S18_S1C_S1E_T6_T7_T9_mT8_S1G_bDpT10_ENKUlT_T0_E_clISt17integral_constantIbLb1EES1T_IbLb0EEEEDaS1P_S1Q_EUlS1P_E_NS1_11comp_targetILNS1_3genE3ELNS1_11target_archE908ELNS1_3gpuE7ELNS1_3repE0EEENS1_30default_config_static_selectorELNS0_4arch9wavefront6targetE0EEEvS12_
                                        ; -- End function
	.set _ZN7rocprim17ROCPRIM_400000_NS6detail17trampoline_kernelINS0_13select_configILj256ELj13ELNS0_17block_load_methodE3ELS4_3ELS4_3ELNS0_20block_scan_algorithmE0ELj4294967295EEENS1_25partition_config_selectorILNS1_17partition_subalgoE4EjNS0_10empty_typeEbEEZZNS1_14partition_implILS8_4ELb0ES6_15HIP_vector_typeIjLj2EENS0_17counting_iteratorIjlEEPS9_SG_NS0_5tupleIJPjSI_NS0_16reverse_iteratorISI_EEEEENSH_IJSG_SG_SG_EEES9_SI_JZNS1_25segmented_radix_sort_implINS0_14default_configELb0EPKaPaPKlPlN2at6native12_GLOBAL__N_18offset_tEEE10hipError_tPvRmT1_PNSt15iterator_traitsIS12_E10value_typeET2_T3_PNS13_IS18_E10value_typeET4_jRbjT5_S1E_jjP12ihipStream_tbEUljE_ZNSN_ISO_Lb0ESQ_SR_ST_SU_SY_EESZ_S10_S11_S12_S16_S17_S18_S1B_S1C_jS1D_jS1E_S1E_jjS1G_bEUljE0_EEESZ_S10_S11_S18_S1C_S1E_T6_T7_T9_mT8_S1G_bDpT10_ENKUlT_T0_E_clISt17integral_constantIbLb1EES1T_IbLb0EEEEDaS1P_S1Q_EUlS1P_E_NS1_11comp_targetILNS1_3genE3ELNS1_11target_archE908ELNS1_3gpuE7ELNS1_3repE0EEENS1_30default_config_static_selectorELNS0_4arch9wavefront6targetE0EEEvS12_.num_vgpr, 0
	.set _ZN7rocprim17ROCPRIM_400000_NS6detail17trampoline_kernelINS0_13select_configILj256ELj13ELNS0_17block_load_methodE3ELS4_3ELS4_3ELNS0_20block_scan_algorithmE0ELj4294967295EEENS1_25partition_config_selectorILNS1_17partition_subalgoE4EjNS0_10empty_typeEbEEZZNS1_14partition_implILS8_4ELb0ES6_15HIP_vector_typeIjLj2EENS0_17counting_iteratorIjlEEPS9_SG_NS0_5tupleIJPjSI_NS0_16reverse_iteratorISI_EEEEENSH_IJSG_SG_SG_EEES9_SI_JZNS1_25segmented_radix_sort_implINS0_14default_configELb0EPKaPaPKlPlN2at6native12_GLOBAL__N_18offset_tEEE10hipError_tPvRmT1_PNSt15iterator_traitsIS12_E10value_typeET2_T3_PNS13_IS18_E10value_typeET4_jRbjT5_S1E_jjP12ihipStream_tbEUljE_ZNSN_ISO_Lb0ESQ_SR_ST_SU_SY_EESZ_S10_S11_S12_S16_S17_S18_S1B_S1C_jS1D_jS1E_S1E_jjS1G_bEUljE0_EEESZ_S10_S11_S18_S1C_S1E_T6_T7_T9_mT8_S1G_bDpT10_ENKUlT_T0_E_clISt17integral_constantIbLb1EES1T_IbLb0EEEEDaS1P_S1Q_EUlS1P_E_NS1_11comp_targetILNS1_3genE3ELNS1_11target_archE908ELNS1_3gpuE7ELNS1_3repE0EEENS1_30default_config_static_selectorELNS0_4arch9wavefront6targetE0EEEvS12_.num_agpr, 0
	.set _ZN7rocprim17ROCPRIM_400000_NS6detail17trampoline_kernelINS0_13select_configILj256ELj13ELNS0_17block_load_methodE3ELS4_3ELS4_3ELNS0_20block_scan_algorithmE0ELj4294967295EEENS1_25partition_config_selectorILNS1_17partition_subalgoE4EjNS0_10empty_typeEbEEZZNS1_14partition_implILS8_4ELb0ES6_15HIP_vector_typeIjLj2EENS0_17counting_iteratorIjlEEPS9_SG_NS0_5tupleIJPjSI_NS0_16reverse_iteratorISI_EEEEENSH_IJSG_SG_SG_EEES9_SI_JZNS1_25segmented_radix_sort_implINS0_14default_configELb0EPKaPaPKlPlN2at6native12_GLOBAL__N_18offset_tEEE10hipError_tPvRmT1_PNSt15iterator_traitsIS12_E10value_typeET2_T3_PNS13_IS18_E10value_typeET4_jRbjT5_S1E_jjP12ihipStream_tbEUljE_ZNSN_ISO_Lb0ESQ_SR_ST_SU_SY_EESZ_S10_S11_S12_S16_S17_S18_S1B_S1C_jS1D_jS1E_S1E_jjS1G_bEUljE0_EEESZ_S10_S11_S18_S1C_S1E_T6_T7_T9_mT8_S1G_bDpT10_ENKUlT_T0_E_clISt17integral_constantIbLb1EES1T_IbLb0EEEEDaS1P_S1Q_EUlS1P_E_NS1_11comp_targetILNS1_3genE3ELNS1_11target_archE908ELNS1_3gpuE7ELNS1_3repE0EEENS1_30default_config_static_selectorELNS0_4arch9wavefront6targetE0EEEvS12_.numbered_sgpr, 0
	.set _ZN7rocprim17ROCPRIM_400000_NS6detail17trampoline_kernelINS0_13select_configILj256ELj13ELNS0_17block_load_methodE3ELS4_3ELS4_3ELNS0_20block_scan_algorithmE0ELj4294967295EEENS1_25partition_config_selectorILNS1_17partition_subalgoE4EjNS0_10empty_typeEbEEZZNS1_14partition_implILS8_4ELb0ES6_15HIP_vector_typeIjLj2EENS0_17counting_iteratorIjlEEPS9_SG_NS0_5tupleIJPjSI_NS0_16reverse_iteratorISI_EEEEENSH_IJSG_SG_SG_EEES9_SI_JZNS1_25segmented_radix_sort_implINS0_14default_configELb0EPKaPaPKlPlN2at6native12_GLOBAL__N_18offset_tEEE10hipError_tPvRmT1_PNSt15iterator_traitsIS12_E10value_typeET2_T3_PNS13_IS18_E10value_typeET4_jRbjT5_S1E_jjP12ihipStream_tbEUljE_ZNSN_ISO_Lb0ESQ_SR_ST_SU_SY_EESZ_S10_S11_S12_S16_S17_S18_S1B_S1C_jS1D_jS1E_S1E_jjS1G_bEUljE0_EEESZ_S10_S11_S18_S1C_S1E_T6_T7_T9_mT8_S1G_bDpT10_ENKUlT_T0_E_clISt17integral_constantIbLb1EES1T_IbLb0EEEEDaS1P_S1Q_EUlS1P_E_NS1_11comp_targetILNS1_3genE3ELNS1_11target_archE908ELNS1_3gpuE7ELNS1_3repE0EEENS1_30default_config_static_selectorELNS0_4arch9wavefront6targetE0EEEvS12_.num_named_barrier, 0
	.set _ZN7rocprim17ROCPRIM_400000_NS6detail17trampoline_kernelINS0_13select_configILj256ELj13ELNS0_17block_load_methodE3ELS4_3ELS4_3ELNS0_20block_scan_algorithmE0ELj4294967295EEENS1_25partition_config_selectorILNS1_17partition_subalgoE4EjNS0_10empty_typeEbEEZZNS1_14partition_implILS8_4ELb0ES6_15HIP_vector_typeIjLj2EENS0_17counting_iteratorIjlEEPS9_SG_NS0_5tupleIJPjSI_NS0_16reverse_iteratorISI_EEEEENSH_IJSG_SG_SG_EEES9_SI_JZNS1_25segmented_radix_sort_implINS0_14default_configELb0EPKaPaPKlPlN2at6native12_GLOBAL__N_18offset_tEEE10hipError_tPvRmT1_PNSt15iterator_traitsIS12_E10value_typeET2_T3_PNS13_IS18_E10value_typeET4_jRbjT5_S1E_jjP12ihipStream_tbEUljE_ZNSN_ISO_Lb0ESQ_SR_ST_SU_SY_EESZ_S10_S11_S12_S16_S17_S18_S1B_S1C_jS1D_jS1E_S1E_jjS1G_bEUljE0_EEESZ_S10_S11_S18_S1C_S1E_T6_T7_T9_mT8_S1G_bDpT10_ENKUlT_T0_E_clISt17integral_constantIbLb1EES1T_IbLb0EEEEDaS1P_S1Q_EUlS1P_E_NS1_11comp_targetILNS1_3genE3ELNS1_11target_archE908ELNS1_3gpuE7ELNS1_3repE0EEENS1_30default_config_static_selectorELNS0_4arch9wavefront6targetE0EEEvS12_.private_seg_size, 0
	.set _ZN7rocprim17ROCPRIM_400000_NS6detail17trampoline_kernelINS0_13select_configILj256ELj13ELNS0_17block_load_methodE3ELS4_3ELS4_3ELNS0_20block_scan_algorithmE0ELj4294967295EEENS1_25partition_config_selectorILNS1_17partition_subalgoE4EjNS0_10empty_typeEbEEZZNS1_14partition_implILS8_4ELb0ES6_15HIP_vector_typeIjLj2EENS0_17counting_iteratorIjlEEPS9_SG_NS0_5tupleIJPjSI_NS0_16reverse_iteratorISI_EEEEENSH_IJSG_SG_SG_EEES9_SI_JZNS1_25segmented_radix_sort_implINS0_14default_configELb0EPKaPaPKlPlN2at6native12_GLOBAL__N_18offset_tEEE10hipError_tPvRmT1_PNSt15iterator_traitsIS12_E10value_typeET2_T3_PNS13_IS18_E10value_typeET4_jRbjT5_S1E_jjP12ihipStream_tbEUljE_ZNSN_ISO_Lb0ESQ_SR_ST_SU_SY_EESZ_S10_S11_S12_S16_S17_S18_S1B_S1C_jS1D_jS1E_S1E_jjS1G_bEUljE0_EEESZ_S10_S11_S18_S1C_S1E_T6_T7_T9_mT8_S1G_bDpT10_ENKUlT_T0_E_clISt17integral_constantIbLb1EES1T_IbLb0EEEEDaS1P_S1Q_EUlS1P_E_NS1_11comp_targetILNS1_3genE3ELNS1_11target_archE908ELNS1_3gpuE7ELNS1_3repE0EEENS1_30default_config_static_selectorELNS0_4arch9wavefront6targetE0EEEvS12_.uses_vcc, 0
	.set _ZN7rocprim17ROCPRIM_400000_NS6detail17trampoline_kernelINS0_13select_configILj256ELj13ELNS0_17block_load_methodE3ELS4_3ELS4_3ELNS0_20block_scan_algorithmE0ELj4294967295EEENS1_25partition_config_selectorILNS1_17partition_subalgoE4EjNS0_10empty_typeEbEEZZNS1_14partition_implILS8_4ELb0ES6_15HIP_vector_typeIjLj2EENS0_17counting_iteratorIjlEEPS9_SG_NS0_5tupleIJPjSI_NS0_16reverse_iteratorISI_EEEEENSH_IJSG_SG_SG_EEES9_SI_JZNS1_25segmented_radix_sort_implINS0_14default_configELb0EPKaPaPKlPlN2at6native12_GLOBAL__N_18offset_tEEE10hipError_tPvRmT1_PNSt15iterator_traitsIS12_E10value_typeET2_T3_PNS13_IS18_E10value_typeET4_jRbjT5_S1E_jjP12ihipStream_tbEUljE_ZNSN_ISO_Lb0ESQ_SR_ST_SU_SY_EESZ_S10_S11_S12_S16_S17_S18_S1B_S1C_jS1D_jS1E_S1E_jjS1G_bEUljE0_EEESZ_S10_S11_S18_S1C_S1E_T6_T7_T9_mT8_S1G_bDpT10_ENKUlT_T0_E_clISt17integral_constantIbLb1EES1T_IbLb0EEEEDaS1P_S1Q_EUlS1P_E_NS1_11comp_targetILNS1_3genE3ELNS1_11target_archE908ELNS1_3gpuE7ELNS1_3repE0EEENS1_30default_config_static_selectorELNS0_4arch9wavefront6targetE0EEEvS12_.uses_flat_scratch, 0
	.set _ZN7rocprim17ROCPRIM_400000_NS6detail17trampoline_kernelINS0_13select_configILj256ELj13ELNS0_17block_load_methodE3ELS4_3ELS4_3ELNS0_20block_scan_algorithmE0ELj4294967295EEENS1_25partition_config_selectorILNS1_17partition_subalgoE4EjNS0_10empty_typeEbEEZZNS1_14partition_implILS8_4ELb0ES6_15HIP_vector_typeIjLj2EENS0_17counting_iteratorIjlEEPS9_SG_NS0_5tupleIJPjSI_NS0_16reverse_iteratorISI_EEEEENSH_IJSG_SG_SG_EEES9_SI_JZNS1_25segmented_radix_sort_implINS0_14default_configELb0EPKaPaPKlPlN2at6native12_GLOBAL__N_18offset_tEEE10hipError_tPvRmT1_PNSt15iterator_traitsIS12_E10value_typeET2_T3_PNS13_IS18_E10value_typeET4_jRbjT5_S1E_jjP12ihipStream_tbEUljE_ZNSN_ISO_Lb0ESQ_SR_ST_SU_SY_EESZ_S10_S11_S12_S16_S17_S18_S1B_S1C_jS1D_jS1E_S1E_jjS1G_bEUljE0_EEESZ_S10_S11_S18_S1C_S1E_T6_T7_T9_mT8_S1G_bDpT10_ENKUlT_T0_E_clISt17integral_constantIbLb1EES1T_IbLb0EEEEDaS1P_S1Q_EUlS1P_E_NS1_11comp_targetILNS1_3genE3ELNS1_11target_archE908ELNS1_3gpuE7ELNS1_3repE0EEENS1_30default_config_static_selectorELNS0_4arch9wavefront6targetE0EEEvS12_.has_dyn_sized_stack, 0
	.set _ZN7rocprim17ROCPRIM_400000_NS6detail17trampoline_kernelINS0_13select_configILj256ELj13ELNS0_17block_load_methodE3ELS4_3ELS4_3ELNS0_20block_scan_algorithmE0ELj4294967295EEENS1_25partition_config_selectorILNS1_17partition_subalgoE4EjNS0_10empty_typeEbEEZZNS1_14partition_implILS8_4ELb0ES6_15HIP_vector_typeIjLj2EENS0_17counting_iteratorIjlEEPS9_SG_NS0_5tupleIJPjSI_NS0_16reverse_iteratorISI_EEEEENSH_IJSG_SG_SG_EEES9_SI_JZNS1_25segmented_radix_sort_implINS0_14default_configELb0EPKaPaPKlPlN2at6native12_GLOBAL__N_18offset_tEEE10hipError_tPvRmT1_PNSt15iterator_traitsIS12_E10value_typeET2_T3_PNS13_IS18_E10value_typeET4_jRbjT5_S1E_jjP12ihipStream_tbEUljE_ZNSN_ISO_Lb0ESQ_SR_ST_SU_SY_EESZ_S10_S11_S12_S16_S17_S18_S1B_S1C_jS1D_jS1E_S1E_jjS1G_bEUljE0_EEESZ_S10_S11_S18_S1C_S1E_T6_T7_T9_mT8_S1G_bDpT10_ENKUlT_T0_E_clISt17integral_constantIbLb1EES1T_IbLb0EEEEDaS1P_S1Q_EUlS1P_E_NS1_11comp_targetILNS1_3genE3ELNS1_11target_archE908ELNS1_3gpuE7ELNS1_3repE0EEENS1_30default_config_static_selectorELNS0_4arch9wavefront6targetE0EEEvS12_.has_recursion, 0
	.set _ZN7rocprim17ROCPRIM_400000_NS6detail17trampoline_kernelINS0_13select_configILj256ELj13ELNS0_17block_load_methodE3ELS4_3ELS4_3ELNS0_20block_scan_algorithmE0ELj4294967295EEENS1_25partition_config_selectorILNS1_17partition_subalgoE4EjNS0_10empty_typeEbEEZZNS1_14partition_implILS8_4ELb0ES6_15HIP_vector_typeIjLj2EENS0_17counting_iteratorIjlEEPS9_SG_NS0_5tupleIJPjSI_NS0_16reverse_iteratorISI_EEEEENSH_IJSG_SG_SG_EEES9_SI_JZNS1_25segmented_radix_sort_implINS0_14default_configELb0EPKaPaPKlPlN2at6native12_GLOBAL__N_18offset_tEEE10hipError_tPvRmT1_PNSt15iterator_traitsIS12_E10value_typeET2_T3_PNS13_IS18_E10value_typeET4_jRbjT5_S1E_jjP12ihipStream_tbEUljE_ZNSN_ISO_Lb0ESQ_SR_ST_SU_SY_EESZ_S10_S11_S12_S16_S17_S18_S1B_S1C_jS1D_jS1E_S1E_jjS1G_bEUljE0_EEESZ_S10_S11_S18_S1C_S1E_T6_T7_T9_mT8_S1G_bDpT10_ENKUlT_T0_E_clISt17integral_constantIbLb1EES1T_IbLb0EEEEDaS1P_S1Q_EUlS1P_E_NS1_11comp_targetILNS1_3genE3ELNS1_11target_archE908ELNS1_3gpuE7ELNS1_3repE0EEENS1_30default_config_static_selectorELNS0_4arch9wavefront6targetE0EEEvS12_.has_indirect_call, 0
	.section	.AMDGPU.csdata,"",@progbits
; Kernel info:
; codeLenInByte = 0
; TotalNumSgprs: 0
; NumVgprs: 0
; ScratchSize: 0
; MemoryBound: 0
; FloatMode: 240
; IeeeMode: 1
; LDSByteSize: 0 bytes/workgroup (compile time only)
; SGPRBlocks: 0
; VGPRBlocks: 0
; NumSGPRsForWavesPerEU: 1
; NumVGPRsForWavesPerEU: 1
; Occupancy: 16
; WaveLimiterHint : 0
; COMPUTE_PGM_RSRC2:SCRATCH_EN: 0
; COMPUTE_PGM_RSRC2:USER_SGPR: 6
; COMPUTE_PGM_RSRC2:TRAP_HANDLER: 0
; COMPUTE_PGM_RSRC2:TGID_X_EN: 1
; COMPUTE_PGM_RSRC2:TGID_Y_EN: 0
; COMPUTE_PGM_RSRC2:TGID_Z_EN: 0
; COMPUTE_PGM_RSRC2:TIDIG_COMP_CNT: 0
	.section	.text._ZN7rocprim17ROCPRIM_400000_NS6detail17trampoline_kernelINS0_13select_configILj256ELj13ELNS0_17block_load_methodE3ELS4_3ELS4_3ELNS0_20block_scan_algorithmE0ELj4294967295EEENS1_25partition_config_selectorILNS1_17partition_subalgoE4EjNS0_10empty_typeEbEEZZNS1_14partition_implILS8_4ELb0ES6_15HIP_vector_typeIjLj2EENS0_17counting_iteratorIjlEEPS9_SG_NS0_5tupleIJPjSI_NS0_16reverse_iteratorISI_EEEEENSH_IJSG_SG_SG_EEES9_SI_JZNS1_25segmented_radix_sort_implINS0_14default_configELb0EPKaPaPKlPlN2at6native12_GLOBAL__N_18offset_tEEE10hipError_tPvRmT1_PNSt15iterator_traitsIS12_E10value_typeET2_T3_PNS13_IS18_E10value_typeET4_jRbjT5_S1E_jjP12ihipStream_tbEUljE_ZNSN_ISO_Lb0ESQ_SR_ST_SU_SY_EESZ_S10_S11_S12_S16_S17_S18_S1B_S1C_jS1D_jS1E_S1E_jjS1G_bEUljE0_EEESZ_S10_S11_S18_S1C_S1E_T6_T7_T9_mT8_S1G_bDpT10_ENKUlT_T0_E_clISt17integral_constantIbLb1EES1T_IbLb0EEEEDaS1P_S1Q_EUlS1P_E_NS1_11comp_targetILNS1_3genE2ELNS1_11target_archE906ELNS1_3gpuE6ELNS1_3repE0EEENS1_30default_config_static_selectorELNS0_4arch9wavefront6targetE0EEEvS12_,"axG",@progbits,_ZN7rocprim17ROCPRIM_400000_NS6detail17trampoline_kernelINS0_13select_configILj256ELj13ELNS0_17block_load_methodE3ELS4_3ELS4_3ELNS0_20block_scan_algorithmE0ELj4294967295EEENS1_25partition_config_selectorILNS1_17partition_subalgoE4EjNS0_10empty_typeEbEEZZNS1_14partition_implILS8_4ELb0ES6_15HIP_vector_typeIjLj2EENS0_17counting_iteratorIjlEEPS9_SG_NS0_5tupleIJPjSI_NS0_16reverse_iteratorISI_EEEEENSH_IJSG_SG_SG_EEES9_SI_JZNS1_25segmented_radix_sort_implINS0_14default_configELb0EPKaPaPKlPlN2at6native12_GLOBAL__N_18offset_tEEE10hipError_tPvRmT1_PNSt15iterator_traitsIS12_E10value_typeET2_T3_PNS13_IS18_E10value_typeET4_jRbjT5_S1E_jjP12ihipStream_tbEUljE_ZNSN_ISO_Lb0ESQ_SR_ST_SU_SY_EESZ_S10_S11_S12_S16_S17_S18_S1B_S1C_jS1D_jS1E_S1E_jjS1G_bEUljE0_EEESZ_S10_S11_S18_S1C_S1E_T6_T7_T9_mT8_S1G_bDpT10_ENKUlT_T0_E_clISt17integral_constantIbLb1EES1T_IbLb0EEEEDaS1P_S1Q_EUlS1P_E_NS1_11comp_targetILNS1_3genE2ELNS1_11target_archE906ELNS1_3gpuE6ELNS1_3repE0EEENS1_30default_config_static_selectorELNS0_4arch9wavefront6targetE0EEEvS12_,comdat
	.globl	_ZN7rocprim17ROCPRIM_400000_NS6detail17trampoline_kernelINS0_13select_configILj256ELj13ELNS0_17block_load_methodE3ELS4_3ELS4_3ELNS0_20block_scan_algorithmE0ELj4294967295EEENS1_25partition_config_selectorILNS1_17partition_subalgoE4EjNS0_10empty_typeEbEEZZNS1_14partition_implILS8_4ELb0ES6_15HIP_vector_typeIjLj2EENS0_17counting_iteratorIjlEEPS9_SG_NS0_5tupleIJPjSI_NS0_16reverse_iteratorISI_EEEEENSH_IJSG_SG_SG_EEES9_SI_JZNS1_25segmented_radix_sort_implINS0_14default_configELb0EPKaPaPKlPlN2at6native12_GLOBAL__N_18offset_tEEE10hipError_tPvRmT1_PNSt15iterator_traitsIS12_E10value_typeET2_T3_PNS13_IS18_E10value_typeET4_jRbjT5_S1E_jjP12ihipStream_tbEUljE_ZNSN_ISO_Lb0ESQ_SR_ST_SU_SY_EESZ_S10_S11_S12_S16_S17_S18_S1B_S1C_jS1D_jS1E_S1E_jjS1G_bEUljE0_EEESZ_S10_S11_S18_S1C_S1E_T6_T7_T9_mT8_S1G_bDpT10_ENKUlT_T0_E_clISt17integral_constantIbLb1EES1T_IbLb0EEEEDaS1P_S1Q_EUlS1P_E_NS1_11comp_targetILNS1_3genE2ELNS1_11target_archE906ELNS1_3gpuE6ELNS1_3repE0EEENS1_30default_config_static_selectorELNS0_4arch9wavefront6targetE0EEEvS12_ ; -- Begin function _ZN7rocprim17ROCPRIM_400000_NS6detail17trampoline_kernelINS0_13select_configILj256ELj13ELNS0_17block_load_methodE3ELS4_3ELS4_3ELNS0_20block_scan_algorithmE0ELj4294967295EEENS1_25partition_config_selectorILNS1_17partition_subalgoE4EjNS0_10empty_typeEbEEZZNS1_14partition_implILS8_4ELb0ES6_15HIP_vector_typeIjLj2EENS0_17counting_iteratorIjlEEPS9_SG_NS0_5tupleIJPjSI_NS0_16reverse_iteratorISI_EEEEENSH_IJSG_SG_SG_EEES9_SI_JZNS1_25segmented_radix_sort_implINS0_14default_configELb0EPKaPaPKlPlN2at6native12_GLOBAL__N_18offset_tEEE10hipError_tPvRmT1_PNSt15iterator_traitsIS12_E10value_typeET2_T3_PNS13_IS18_E10value_typeET4_jRbjT5_S1E_jjP12ihipStream_tbEUljE_ZNSN_ISO_Lb0ESQ_SR_ST_SU_SY_EESZ_S10_S11_S12_S16_S17_S18_S1B_S1C_jS1D_jS1E_S1E_jjS1G_bEUljE0_EEESZ_S10_S11_S18_S1C_S1E_T6_T7_T9_mT8_S1G_bDpT10_ENKUlT_T0_E_clISt17integral_constantIbLb1EES1T_IbLb0EEEEDaS1P_S1Q_EUlS1P_E_NS1_11comp_targetILNS1_3genE2ELNS1_11target_archE906ELNS1_3gpuE6ELNS1_3repE0EEENS1_30default_config_static_selectorELNS0_4arch9wavefront6targetE0EEEvS12_
	.p2align	8
	.type	_ZN7rocprim17ROCPRIM_400000_NS6detail17trampoline_kernelINS0_13select_configILj256ELj13ELNS0_17block_load_methodE3ELS4_3ELS4_3ELNS0_20block_scan_algorithmE0ELj4294967295EEENS1_25partition_config_selectorILNS1_17partition_subalgoE4EjNS0_10empty_typeEbEEZZNS1_14partition_implILS8_4ELb0ES6_15HIP_vector_typeIjLj2EENS0_17counting_iteratorIjlEEPS9_SG_NS0_5tupleIJPjSI_NS0_16reverse_iteratorISI_EEEEENSH_IJSG_SG_SG_EEES9_SI_JZNS1_25segmented_radix_sort_implINS0_14default_configELb0EPKaPaPKlPlN2at6native12_GLOBAL__N_18offset_tEEE10hipError_tPvRmT1_PNSt15iterator_traitsIS12_E10value_typeET2_T3_PNS13_IS18_E10value_typeET4_jRbjT5_S1E_jjP12ihipStream_tbEUljE_ZNSN_ISO_Lb0ESQ_SR_ST_SU_SY_EESZ_S10_S11_S12_S16_S17_S18_S1B_S1C_jS1D_jS1E_S1E_jjS1G_bEUljE0_EEESZ_S10_S11_S18_S1C_S1E_T6_T7_T9_mT8_S1G_bDpT10_ENKUlT_T0_E_clISt17integral_constantIbLb1EES1T_IbLb0EEEEDaS1P_S1Q_EUlS1P_E_NS1_11comp_targetILNS1_3genE2ELNS1_11target_archE906ELNS1_3gpuE6ELNS1_3repE0EEENS1_30default_config_static_selectorELNS0_4arch9wavefront6targetE0EEEvS12_,@function
_ZN7rocprim17ROCPRIM_400000_NS6detail17trampoline_kernelINS0_13select_configILj256ELj13ELNS0_17block_load_methodE3ELS4_3ELS4_3ELNS0_20block_scan_algorithmE0ELj4294967295EEENS1_25partition_config_selectorILNS1_17partition_subalgoE4EjNS0_10empty_typeEbEEZZNS1_14partition_implILS8_4ELb0ES6_15HIP_vector_typeIjLj2EENS0_17counting_iteratorIjlEEPS9_SG_NS0_5tupleIJPjSI_NS0_16reverse_iteratorISI_EEEEENSH_IJSG_SG_SG_EEES9_SI_JZNS1_25segmented_radix_sort_implINS0_14default_configELb0EPKaPaPKlPlN2at6native12_GLOBAL__N_18offset_tEEE10hipError_tPvRmT1_PNSt15iterator_traitsIS12_E10value_typeET2_T3_PNS13_IS18_E10value_typeET4_jRbjT5_S1E_jjP12ihipStream_tbEUljE_ZNSN_ISO_Lb0ESQ_SR_ST_SU_SY_EESZ_S10_S11_S12_S16_S17_S18_S1B_S1C_jS1D_jS1E_S1E_jjS1G_bEUljE0_EEESZ_S10_S11_S18_S1C_S1E_T6_T7_T9_mT8_S1G_bDpT10_ENKUlT_T0_E_clISt17integral_constantIbLb1EES1T_IbLb0EEEEDaS1P_S1Q_EUlS1P_E_NS1_11comp_targetILNS1_3genE2ELNS1_11target_archE906ELNS1_3gpuE6ELNS1_3repE0EEENS1_30default_config_static_selectorELNS0_4arch9wavefront6targetE0EEEvS12_: ; @_ZN7rocprim17ROCPRIM_400000_NS6detail17trampoline_kernelINS0_13select_configILj256ELj13ELNS0_17block_load_methodE3ELS4_3ELS4_3ELNS0_20block_scan_algorithmE0ELj4294967295EEENS1_25partition_config_selectorILNS1_17partition_subalgoE4EjNS0_10empty_typeEbEEZZNS1_14partition_implILS8_4ELb0ES6_15HIP_vector_typeIjLj2EENS0_17counting_iteratorIjlEEPS9_SG_NS0_5tupleIJPjSI_NS0_16reverse_iteratorISI_EEEEENSH_IJSG_SG_SG_EEES9_SI_JZNS1_25segmented_radix_sort_implINS0_14default_configELb0EPKaPaPKlPlN2at6native12_GLOBAL__N_18offset_tEEE10hipError_tPvRmT1_PNSt15iterator_traitsIS12_E10value_typeET2_T3_PNS13_IS18_E10value_typeET4_jRbjT5_S1E_jjP12ihipStream_tbEUljE_ZNSN_ISO_Lb0ESQ_SR_ST_SU_SY_EESZ_S10_S11_S12_S16_S17_S18_S1B_S1C_jS1D_jS1E_S1E_jjS1G_bEUljE0_EEESZ_S10_S11_S18_S1C_S1E_T6_T7_T9_mT8_S1G_bDpT10_ENKUlT_T0_E_clISt17integral_constantIbLb1EES1T_IbLb0EEEEDaS1P_S1Q_EUlS1P_E_NS1_11comp_targetILNS1_3genE2ELNS1_11target_archE906ELNS1_3gpuE6ELNS1_3repE0EEENS1_30default_config_static_selectorELNS0_4arch9wavefront6targetE0EEEvS12_
; %bb.0:
	.section	.rodata,"a",@progbits
	.p2align	6, 0x0
	.amdhsa_kernel _ZN7rocprim17ROCPRIM_400000_NS6detail17trampoline_kernelINS0_13select_configILj256ELj13ELNS0_17block_load_methodE3ELS4_3ELS4_3ELNS0_20block_scan_algorithmE0ELj4294967295EEENS1_25partition_config_selectorILNS1_17partition_subalgoE4EjNS0_10empty_typeEbEEZZNS1_14partition_implILS8_4ELb0ES6_15HIP_vector_typeIjLj2EENS0_17counting_iteratorIjlEEPS9_SG_NS0_5tupleIJPjSI_NS0_16reverse_iteratorISI_EEEEENSH_IJSG_SG_SG_EEES9_SI_JZNS1_25segmented_radix_sort_implINS0_14default_configELb0EPKaPaPKlPlN2at6native12_GLOBAL__N_18offset_tEEE10hipError_tPvRmT1_PNSt15iterator_traitsIS12_E10value_typeET2_T3_PNS13_IS18_E10value_typeET4_jRbjT5_S1E_jjP12ihipStream_tbEUljE_ZNSN_ISO_Lb0ESQ_SR_ST_SU_SY_EESZ_S10_S11_S12_S16_S17_S18_S1B_S1C_jS1D_jS1E_S1E_jjS1G_bEUljE0_EEESZ_S10_S11_S18_S1C_S1E_T6_T7_T9_mT8_S1G_bDpT10_ENKUlT_T0_E_clISt17integral_constantIbLb1EES1T_IbLb0EEEEDaS1P_S1Q_EUlS1P_E_NS1_11comp_targetILNS1_3genE2ELNS1_11target_archE906ELNS1_3gpuE6ELNS1_3repE0EEENS1_30default_config_static_selectorELNS0_4arch9wavefront6targetE0EEEvS12_
		.amdhsa_group_segment_fixed_size 0
		.amdhsa_private_segment_fixed_size 0
		.amdhsa_kernarg_size 176
		.amdhsa_user_sgpr_count 6
		.amdhsa_user_sgpr_private_segment_buffer 1
		.amdhsa_user_sgpr_dispatch_ptr 0
		.amdhsa_user_sgpr_queue_ptr 0
		.amdhsa_user_sgpr_kernarg_segment_ptr 1
		.amdhsa_user_sgpr_dispatch_id 0
		.amdhsa_user_sgpr_flat_scratch_init 0
		.amdhsa_user_sgpr_private_segment_size 0
		.amdhsa_wavefront_size32 1
		.amdhsa_uses_dynamic_stack 0
		.amdhsa_system_sgpr_private_segment_wavefront_offset 0
		.amdhsa_system_sgpr_workgroup_id_x 1
		.amdhsa_system_sgpr_workgroup_id_y 0
		.amdhsa_system_sgpr_workgroup_id_z 0
		.amdhsa_system_sgpr_workgroup_info 0
		.amdhsa_system_vgpr_workitem_id 0
		.amdhsa_next_free_vgpr 1
		.amdhsa_next_free_sgpr 1
		.amdhsa_reserve_vcc 0
		.amdhsa_reserve_flat_scratch 0
		.amdhsa_float_round_mode_32 0
		.amdhsa_float_round_mode_16_64 0
		.amdhsa_float_denorm_mode_32 3
		.amdhsa_float_denorm_mode_16_64 3
		.amdhsa_dx10_clamp 1
		.amdhsa_ieee_mode 1
		.amdhsa_fp16_overflow 0
		.amdhsa_workgroup_processor_mode 1
		.amdhsa_memory_ordered 1
		.amdhsa_forward_progress 1
		.amdhsa_shared_vgpr_count 0
		.amdhsa_exception_fp_ieee_invalid_op 0
		.amdhsa_exception_fp_denorm_src 0
		.amdhsa_exception_fp_ieee_div_zero 0
		.amdhsa_exception_fp_ieee_overflow 0
		.amdhsa_exception_fp_ieee_underflow 0
		.amdhsa_exception_fp_ieee_inexact 0
		.amdhsa_exception_int_div_zero 0
	.end_amdhsa_kernel
	.section	.text._ZN7rocprim17ROCPRIM_400000_NS6detail17trampoline_kernelINS0_13select_configILj256ELj13ELNS0_17block_load_methodE3ELS4_3ELS4_3ELNS0_20block_scan_algorithmE0ELj4294967295EEENS1_25partition_config_selectorILNS1_17partition_subalgoE4EjNS0_10empty_typeEbEEZZNS1_14partition_implILS8_4ELb0ES6_15HIP_vector_typeIjLj2EENS0_17counting_iteratorIjlEEPS9_SG_NS0_5tupleIJPjSI_NS0_16reverse_iteratorISI_EEEEENSH_IJSG_SG_SG_EEES9_SI_JZNS1_25segmented_radix_sort_implINS0_14default_configELb0EPKaPaPKlPlN2at6native12_GLOBAL__N_18offset_tEEE10hipError_tPvRmT1_PNSt15iterator_traitsIS12_E10value_typeET2_T3_PNS13_IS18_E10value_typeET4_jRbjT5_S1E_jjP12ihipStream_tbEUljE_ZNSN_ISO_Lb0ESQ_SR_ST_SU_SY_EESZ_S10_S11_S12_S16_S17_S18_S1B_S1C_jS1D_jS1E_S1E_jjS1G_bEUljE0_EEESZ_S10_S11_S18_S1C_S1E_T6_T7_T9_mT8_S1G_bDpT10_ENKUlT_T0_E_clISt17integral_constantIbLb1EES1T_IbLb0EEEEDaS1P_S1Q_EUlS1P_E_NS1_11comp_targetILNS1_3genE2ELNS1_11target_archE906ELNS1_3gpuE6ELNS1_3repE0EEENS1_30default_config_static_selectorELNS0_4arch9wavefront6targetE0EEEvS12_,"axG",@progbits,_ZN7rocprim17ROCPRIM_400000_NS6detail17trampoline_kernelINS0_13select_configILj256ELj13ELNS0_17block_load_methodE3ELS4_3ELS4_3ELNS0_20block_scan_algorithmE0ELj4294967295EEENS1_25partition_config_selectorILNS1_17partition_subalgoE4EjNS0_10empty_typeEbEEZZNS1_14partition_implILS8_4ELb0ES6_15HIP_vector_typeIjLj2EENS0_17counting_iteratorIjlEEPS9_SG_NS0_5tupleIJPjSI_NS0_16reverse_iteratorISI_EEEEENSH_IJSG_SG_SG_EEES9_SI_JZNS1_25segmented_radix_sort_implINS0_14default_configELb0EPKaPaPKlPlN2at6native12_GLOBAL__N_18offset_tEEE10hipError_tPvRmT1_PNSt15iterator_traitsIS12_E10value_typeET2_T3_PNS13_IS18_E10value_typeET4_jRbjT5_S1E_jjP12ihipStream_tbEUljE_ZNSN_ISO_Lb0ESQ_SR_ST_SU_SY_EESZ_S10_S11_S12_S16_S17_S18_S1B_S1C_jS1D_jS1E_S1E_jjS1G_bEUljE0_EEESZ_S10_S11_S18_S1C_S1E_T6_T7_T9_mT8_S1G_bDpT10_ENKUlT_T0_E_clISt17integral_constantIbLb1EES1T_IbLb0EEEEDaS1P_S1Q_EUlS1P_E_NS1_11comp_targetILNS1_3genE2ELNS1_11target_archE906ELNS1_3gpuE6ELNS1_3repE0EEENS1_30default_config_static_selectorELNS0_4arch9wavefront6targetE0EEEvS12_,comdat
.Lfunc_end346:
	.size	_ZN7rocprim17ROCPRIM_400000_NS6detail17trampoline_kernelINS0_13select_configILj256ELj13ELNS0_17block_load_methodE3ELS4_3ELS4_3ELNS0_20block_scan_algorithmE0ELj4294967295EEENS1_25partition_config_selectorILNS1_17partition_subalgoE4EjNS0_10empty_typeEbEEZZNS1_14partition_implILS8_4ELb0ES6_15HIP_vector_typeIjLj2EENS0_17counting_iteratorIjlEEPS9_SG_NS0_5tupleIJPjSI_NS0_16reverse_iteratorISI_EEEEENSH_IJSG_SG_SG_EEES9_SI_JZNS1_25segmented_radix_sort_implINS0_14default_configELb0EPKaPaPKlPlN2at6native12_GLOBAL__N_18offset_tEEE10hipError_tPvRmT1_PNSt15iterator_traitsIS12_E10value_typeET2_T3_PNS13_IS18_E10value_typeET4_jRbjT5_S1E_jjP12ihipStream_tbEUljE_ZNSN_ISO_Lb0ESQ_SR_ST_SU_SY_EESZ_S10_S11_S12_S16_S17_S18_S1B_S1C_jS1D_jS1E_S1E_jjS1G_bEUljE0_EEESZ_S10_S11_S18_S1C_S1E_T6_T7_T9_mT8_S1G_bDpT10_ENKUlT_T0_E_clISt17integral_constantIbLb1EES1T_IbLb0EEEEDaS1P_S1Q_EUlS1P_E_NS1_11comp_targetILNS1_3genE2ELNS1_11target_archE906ELNS1_3gpuE6ELNS1_3repE0EEENS1_30default_config_static_selectorELNS0_4arch9wavefront6targetE0EEEvS12_, .Lfunc_end346-_ZN7rocprim17ROCPRIM_400000_NS6detail17trampoline_kernelINS0_13select_configILj256ELj13ELNS0_17block_load_methodE3ELS4_3ELS4_3ELNS0_20block_scan_algorithmE0ELj4294967295EEENS1_25partition_config_selectorILNS1_17partition_subalgoE4EjNS0_10empty_typeEbEEZZNS1_14partition_implILS8_4ELb0ES6_15HIP_vector_typeIjLj2EENS0_17counting_iteratorIjlEEPS9_SG_NS0_5tupleIJPjSI_NS0_16reverse_iteratorISI_EEEEENSH_IJSG_SG_SG_EEES9_SI_JZNS1_25segmented_radix_sort_implINS0_14default_configELb0EPKaPaPKlPlN2at6native12_GLOBAL__N_18offset_tEEE10hipError_tPvRmT1_PNSt15iterator_traitsIS12_E10value_typeET2_T3_PNS13_IS18_E10value_typeET4_jRbjT5_S1E_jjP12ihipStream_tbEUljE_ZNSN_ISO_Lb0ESQ_SR_ST_SU_SY_EESZ_S10_S11_S12_S16_S17_S18_S1B_S1C_jS1D_jS1E_S1E_jjS1G_bEUljE0_EEESZ_S10_S11_S18_S1C_S1E_T6_T7_T9_mT8_S1G_bDpT10_ENKUlT_T0_E_clISt17integral_constantIbLb1EES1T_IbLb0EEEEDaS1P_S1Q_EUlS1P_E_NS1_11comp_targetILNS1_3genE2ELNS1_11target_archE906ELNS1_3gpuE6ELNS1_3repE0EEENS1_30default_config_static_selectorELNS0_4arch9wavefront6targetE0EEEvS12_
                                        ; -- End function
	.set _ZN7rocprim17ROCPRIM_400000_NS6detail17trampoline_kernelINS0_13select_configILj256ELj13ELNS0_17block_load_methodE3ELS4_3ELS4_3ELNS0_20block_scan_algorithmE0ELj4294967295EEENS1_25partition_config_selectorILNS1_17partition_subalgoE4EjNS0_10empty_typeEbEEZZNS1_14partition_implILS8_4ELb0ES6_15HIP_vector_typeIjLj2EENS0_17counting_iteratorIjlEEPS9_SG_NS0_5tupleIJPjSI_NS0_16reverse_iteratorISI_EEEEENSH_IJSG_SG_SG_EEES9_SI_JZNS1_25segmented_radix_sort_implINS0_14default_configELb0EPKaPaPKlPlN2at6native12_GLOBAL__N_18offset_tEEE10hipError_tPvRmT1_PNSt15iterator_traitsIS12_E10value_typeET2_T3_PNS13_IS18_E10value_typeET4_jRbjT5_S1E_jjP12ihipStream_tbEUljE_ZNSN_ISO_Lb0ESQ_SR_ST_SU_SY_EESZ_S10_S11_S12_S16_S17_S18_S1B_S1C_jS1D_jS1E_S1E_jjS1G_bEUljE0_EEESZ_S10_S11_S18_S1C_S1E_T6_T7_T9_mT8_S1G_bDpT10_ENKUlT_T0_E_clISt17integral_constantIbLb1EES1T_IbLb0EEEEDaS1P_S1Q_EUlS1P_E_NS1_11comp_targetILNS1_3genE2ELNS1_11target_archE906ELNS1_3gpuE6ELNS1_3repE0EEENS1_30default_config_static_selectorELNS0_4arch9wavefront6targetE0EEEvS12_.num_vgpr, 0
	.set _ZN7rocprim17ROCPRIM_400000_NS6detail17trampoline_kernelINS0_13select_configILj256ELj13ELNS0_17block_load_methodE3ELS4_3ELS4_3ELNS0_20block_scan_algorithmE0ELj4294967295EEENS1_25partition_config_selectorILNS1_17partition_subalgoE4EjNS0_10empty_typeEbEEZZNS1_14partition_implILS8_4ELb0ES6_15HIP_vector_typeIjLj2EENS0_17counting_iteratorIjlEEPS9_SG_NS0_5tupleIJPjSI_NS0_16reverse_iteratorISI_EEEEENSH_IJSG_SG_SG_EEES9_SI_JZNS1_25segmented_radix_sort_implINS0_14default_configELb0EPKaPaPKlPlN2at6native12_GLOBAL__N_18offset_tEEE10hipError_tPvRmT1_PNSt15iterator_traitsIS12_E10value_typeET2_T3_PNS13_IS18_E10value_typeET4_jRbjT5_S1E_jjP12ihipStream_tbEUljE_ZNSN_ISO_Lb0ESQ_SR_ST_SU_SY_EESZ_S10_S11_S12_S16_S17_S18_S1B_S1C_jS1D_jS1E_S1E_jjS1G_bEUljE0_EEESZ_S10_S11_S18_S1C_S1E_T6_T7_T9_mT8_S1G_bDpT10_ENKUlT_T0_E_clISt17integral_constantIbLb1EES1T_IbLb0EEEEDaS1P_S1Q_EUlS1P_E_NS1_11comp_targetILNS1_3genE2ELNS1_11target_archE906ELNS1_3gpuE6ELNS1_3repE0EEENS1_30default_config_static_selectorELNS0_4arch9wavefront6targetE0EEEvS12_.num_agpr, 0
	.set _ZN7rocprim17ROCPRIM_400000_NS6detail17trampoline_kernelINS0_13select_configILj256ELj13ELNS0_17block_load_methodE3ELS4_3ELS4_3ELNS0_20block_scan_algorithmE0ELj4294967295EEENS1_25partition_config_selectorILNS1_17partition_subalgoE4EjNS0_10empty_typeEbEEZZNS1_14partition_implILS8_4ELb0ES6_15HIP_vector_typeIjLj2EENS0_17counting_iteratorIjlEEPS9_SG_NS0_5tupleIJPjSI_NS0_16reverse_iteratorISI_EEEEENSH_IJSG_SG_SG_EEES9_SI_JZNS1_25segmented_radix_sort_implINS0_14default_configELb0EPKaPaPKlPlN2at6native12_GLOBAL__N_18offset_tEEE10hipError_tPvRmT1_PNSt15iterator_traitsIS12_E10value_typeET2_T3_PNS13_IS18_E10value_typeET4_jRbjT5_S1E_jjP12ihipStream_tbEUljE_ZNSN_ISO_Lb0ESQ_SR_ST_SU_SY_EESZ_S10_S11_S12_S16_S17_S18_S1B_S1C_jS1D_jS1E_S1E_jjS1G_bEUljE0_EEESZ_S10_S11_S18_S1C_S1E_T6_T7_T9_mT8_S1G_bDpT10_ENKUlT_T0_E_clISt17integral_constantIbLb1EES1T_IbLb0EEEEDaS1P_S1Q_EUlS1P_E_NS1_11comp_targetILNS1_3genE2ELNS1_11target_archE906ELNS1_3gpuE6ELNS1_3repE0EEENS1_30default_config_static_selectorELNS0_4arch9wavefront6targetE0EEEvS12_.numbered_sgpr, 0
	.set _ZN7rocprim17ROCPRIM_400000_NS6detail17trampoline_kernelINS0_13select_configILj256ELj13ELNS0_17block_load_methodE3ELS4_3ELS4_3ELNS0_20block_scan_algorithmE0ELj4294967295EEENS1_25partition_config_selectorILNS1_17partition_subalgoE4EjNS0_10empty_typeEbEEZZNS1_14partition_implILS8_4ELb0ES6_15HIP_vector_typeIjLj2EENS0_17counting_iteratorIjlEEPS9_SG_NS0_5tupleIJPjSI_NS0_16reverse_iteratorISI_EEEEENSH_IJSG_SG_SG_EEES9_SI_JZNS1_25segmented_radix_sort_implINS0_14default_configELb0EPKaPaPKlPlN2at6native12_GLOBAL__N_18offset_tEEE10hipError_tPvRmT1_PNSt15iterator_traitsIS12_E10value_typeET2_T3_PNS13_IS18_E10value_typeET4_jRbjT5_S1E_jjP12ihipStream_tbEUljE_ZNSN_ISO_Lb0ESQ_SR_ST_SU_SY_EESZ_S10_S11_S12_S16_S17_S18_S1B_S1C_jS1D_jS1E_S1E_jjS1G_bEUljE0_EEESZ_S10_S11_S18_S1C_S1E_T6_T7_T9_mT8_S1G_bDpT10_ENKUlT_T0_E_clISt17integral_constantIbLb1EES1T_IbLb0EEEEDaS1P_S1Q_EUlS1P_E_NS1_11comp_targetILNS1_3genE2ELNS1_11target_archE906ELNS1_3gpuE6ELNS1_3repE0EEENS1_30default_config_static_selectorELNS0_4arch9wavefront6targetE0EEEvS12_.num_named_barrier, 0
	.set _ZN7rocprim17ROCPRIM_400000_NS6detail17trampoline_kernelINS0_13select_configILj256ELj13ELNS0_17block_load_methodE3ELS4_3ELS4_3ELNS0_20block_scan_algorithmE0ELj4294967295EEENS1_25partition_config_selectorILNS1_17partition_subalgoE4EjNS0_10empty_typeEbEEZZNS1_14partition_implILS8_4ELb0ES6_15HIP_vector_typeIjLj2EENS0_17counting_iteratorIjlEEPS9_SG_NS0_5tupleIJPjSI_NS0_16reverse_iteratorISI_EEEEENSH_IJSG_SG_SG_EEES9_SI_JZNS1_25segmented_radix_sort_implINS0_14default_configELb0EPKaPaPKlPlN2at6native12_GLOBAL__N_18offset_tEEE10hipError_tPvRmT1_PNSt15iterator_traitsIS12_E10value_typeET2_T3_PNS13_IS18_E10value_typeET4_jRbjT5_S1E_jjP12ihipStream_tbEUljE_ZNSN_ISO_Lb0ESQ_SR_ST_SU_SY_EESZ_S10_S11_S12_S16_S17_S18_S1B_S1C_jS1D_jS1E_S1E_jjS1G_bEUljE0_EEESZ_S10_S11_S18_S1C_S1E_T6_T7_T9_mT8_S1G_bDpT10_ENKUlT_T0_E_clISt17integral_constantIbLb1EES1T_IbLb0EEEEDaS1P_S1Q_EUlS1P_E_NS1_11comp_targetILNS1_3genE2ELNS1_11target_archE906ELNS1_3gpuE6ELNS1_3repE0EEENS1_30default_config_static_selectorELNS0_4arch9wavefront6targetE0EEEvS12_.private_seg_size, 0
	.set _ZN7rocprim17ROCPRIM_400000_NS6detail17trampoline_kernelINS0_13select_configILj256ELj13ELNS0_17block_load_methodE3ELS4_3ELS4_3ELNS0_20block_scan_algorithmE0ELj4294967295EEENS1_25partition_config_selectorILNS1_17partition_subalgoE4EjNS0_10empty_typeEbEEZZNS1_14partition_implILS8_4ELb0ES6_15HIP_vector_typeIjLj2EENS0_17counting_iteratorIjlEEPS9_SG_NS0_5tupleIJPjSI_NS0_16reverse_iteratorISI_EEEEENSH_IJSG_SG_SG_EEES9_SI_JZNS1_25segmented_radix_sort_implINS0_14default_configELb0EPKaPaPKlPlN2at6native12_GLOBAL__N_18offset_tEEE10hipError_tPvRmT1_PNSt15iterator_traitsIS12_E10value_typeET2_T3_PNS13_IS18_E10value_typeET4_jRbjT5_S1E_jjP12ihipStream_tbEUljE_ZNSN_ISO_Lb0ESQ_SR_ST_SU_SY_EESZ_S10_S11_S12_S16_S17_S18_S1B_S1C_jS1D_jS1E_S1E_jjS1G_bEUljE0_EEESZ_S10_S11_S18_S1C_S1E_T6_T7_T9_mT8_S1G_bDpT10_ENKUlT_T0_E_clISt17integral_constantIbLb1EES1T_IbLb0EEEEDaS1P_S1Q_EUlS1P_E_NS1_11comp_targetILNS1_3genE2ELNS1_11target_archE906ELNS1_3gpuE6ELNS1_3repE0EEENS1_30default_config_static_selectorELNS0_4arch9wavefront6targetE0EEEvS12_.uses_vcc, 0
	.set _ZN7rocprim17ROCPRIM_400000_NS6detail17trampoline_kernelINS0_13select_configILj256ELj13ELNS0_17block_load_methodE3ELS4_3ELS4_3ELNS0_20block_scan_algorithmE0ELj4294967295EEENS1_25partition_config_selectorILNS1_17partition_subalgoE4EjNS0_10empty_typeEbEEZZNS1_14partition_implILS8_4ELb0ES6_15HIP_vector_typeIjLj2EENS0_17counting_iteratorIjlEEPS9_SG_NS0_5tupleIJPjSI_NS0_16reverse_iteratorISI_EEEEENSH_IJSG_SG_SG_EEES9_SI_JZNS1_25segmented_radix_sort_implINS0_14default_configELb0EPKaPaPKlPlN2at6native12_GLOBAL__N_18offset_tEEE10hipError_tPvRmT1_PNSt15iterator_traitsIS12_E10value_typeET2_T3_PNS13_IS18_E10value_typeET4_jRbjT5_S1E_jjP12ihipStream_tbEUljE_ZNSN_ISO_Lb0ESQ_SR_ST_SU_SY_EESZ_S10_S11_S12_S16_S17_S18_S1B_S1C_jS1D_jS1E_S1E_jjS1G_bEUljE0_EEESZ_S10_S11_S18_S1C_S1E_T6_T7_T9_mT8_S1G_bDpT10_ENKUlT_T0_E_clISt17integral_constantIbLb1EES1T_IbLb0EEEEDaS1P_S1Q_EUlS1P_E_NS1_11comp_targetILNS1_3genE2ELNS1_11target_archE906ELNS1_3gpuE6ELNS1_3repE0EEENS1_30default_config_static_selectorELNS0_4arch9wavefront6targetE0EEEvS12_.uses_flat_scratch, 0
	.set _ZN7rocprim17ROCPRIM_400000_NS6detail17trampoline_kernelINS0_13select_configILj256ELj13ELNS0_17block_load_methodE3ELS4_3ELS4_3ELNS0_20block_scan_algorithmE0ELj4294967295EEENS1_25partition_config_selectorILNS1_17partition_subalgoE4EjNS0_10empty_typeEbEEZZNS1_14partition_implILS8_4ELb0ES6_15HIP_vector_typeIjLj2EENS0_17counting_iteratorIjlEEPS9_SG_NS0_5tupleIJPjSI_NS0_16reverse_iteratorISI_EEEEENSH_IJSG_SG_SG_EEES9_SI_JZNS1_25segmented_radix_sort_implINS0_14default_configELb0EPKaPaPKlPlN2at6native12_GLOBAL__N_18offset_tEEE10hipError_tPvRmT1_PNSt15iterator_traitsIS12_E10value_typeET2_T3_PNS13_IS18_E10value_typeET4_jRbjT5_S1E_jjP12ihipStream_tbEUljE_ZNSN_ISO_Lb0ESQ_SR_ST_SU_SY_EESZ_S10_S11_S12_S16_S17_S18_S1B_S1C_jS1D_jS1E_S1E_jjS1G_bEUljE0_EEESZ_S10_S11_S18_S1C_S1E_T6_T7_T9_mT8_S1G_bDpT10_ENKUlT_T0_E_clISt17integral_constantIbLb1EES1T_IbLb0EEEEDaS1P_S1Q_EUlS1P_E_NS1_11comp_targetILNS1_3genE2ELNS1_11target_archE906ELNS1_3gpuE6ELNS1_3repE0EEENS1_30default_config_static_selectorELNS0_4arch9wavefront6targetE0EEEvS12_.has_dyn_sized_stack, 0
	.set _ZN7rocprim17ROCPRIM_400000_NS6detail17trampoline_kernelINS0_13select_configILj256ELj13ELNS0_17block_load_methodE3ELS4_3ELS4_3ELNS0_20block_scan_algorithmE0ELj4294967295EEENS1_25partition_config_selectorILNS1_17partition_subalgoE4EjNS0_10empty_typeEbEEZZNS1_14partition_implILS8_4ELb0ES6_15HIP_vector_typeIjLj2EENS0_17counting_iteratorIjlEEPS9_SG_NS0_5tupleIJPjSI_NS0_16reverse_iteratorISI_EEEEENSH_IJSG_SG_SG_EEES9_SI_JZNS1_25segmented_radix_sort_implINS0_14default_configELb0EPKaPaPKlPlN2at6native12_GLOBAL__N_18offset_tEEE10hipError_tPvRmT1_PNSt15iterator_traitsIS12_E10value_typeET2_T3_PNS13_IS18_E10value_typeET4_jRbjT5_S1E_jjP12ihipStream_tbEUljE_ZNSN_ISO_Lb0ESQ_SR_ST_SU_SY_EESZ_S10_S11_S12_S16_S17_S18_S1B_S1C_jS1D_jS1E_S1E_jjS1G_bEUljE0_EEESZ_S10_S11_S18_S1C_S1E_T6_T7_T9_mT8_S1G_bDpT10_ENKUlT_T0_E_clISt17integral_constantIbLb1EES1T_IbLb0EEEEDaS1P_S1Q_EUlS1P_E_NS1_11comp_targetILNS1_3genE2ELNS1_11target_archE906ELNS1_3gpuE6ELNS1_3repE0EEENS1_30default_config_static_selectorELNS0_4arch9wavefront6targetE0EEEvS12_.has_recursion, 0
	.set _ZN7rocprim17ROCPRIM_400000_NS6detail17trampoline_kernelINS0_13select_configILj256ELj13ELNS0_17block_load_methodE3ELS4_3ELS4_3ELNS0_20block_scan_algorithmE0ELj4294967295EEENS1_25partition_config_selectorILNS1_17partition_subalgoE4EjNS0_10empty_typeEbEEZZNS1_14partition_implILS8_4ELb0ES6_15HIP_vector_typeIjLj2EENS0_17counting_iteratorIjlEEPS9_SG_NS0_5tupleIJPjSI_NS0_16reverse_iteratorISI_EEEEENSH_IJSG_SG_SG_EEES9_SI_JZNS1_25segmented_radix_sort_implINS0_14default_configELb0EPKaPaPKlPlN2at6native12_GLOBAL__N_18offset_tEEE10hipError_tPvRmT1_PNSt15iterator_traitsIS12_E10value_typeET2_T3_PNS13_IS18_E10value_typeET4_jRbjT5_S1E_jjP12ihipStream_tbEUljE_ZNSN_ISO_Lb0ESQ_SR_ST_SU_SY_EESZ_S10_S11_S12_S16_S17_S18_S1B_S1C_jS1D_jS1E_S1E_jjS1G_bEUljE0_EEESZ_S10_S11_S18_S1C_S1E_T6_T7_T9_mT8_S1G_bDpT10_ENKUlT_T0_E_clISt17integral_constantIbLb1EES1T_IbLb0EEEEDaS1P_S1Q_EUlS1P_E_NS1_11comp_targetILNS1_3genE2ELNS1_11target_archE906ELNS1_3gpuE6ELNS1_3repE0EEENS1_30default_config_static_selectorELNS0_4arch9wavefront6targetE0EEEvS12_.has_indirect_call, 0
	.section	.AMDGPU.csdata,"",@progbits
; Kernel info:
; codeLenInByte = 0
; TotalNumSgprs: 0
; NumVgprs: 0
; ScratchSize: 0
; MemoryBound: 0
; FloatMode: 240
; IeeeMode: 1
; LDSByteSize: 0 bytes/workgroup (compile time only)
; SGPRBlocks: 0
; VGPRBlocks: 0
; NumSGPRsForWavesPerEU: 1
; NumVGPRsForWavesPerEU: 1
; Occupancy: 16
; WaveLimiterHint : 0
; COMPUTE_PGM_RSRC2:SCRATCH_EN: 0
; COMPUTE_PGM_RSRC2:USER_SGPR: 6
; COMPUTE_PGM_RSRC2:TRAP_HANDLER: 0
; COMPUTE_PGM_RSRC2:TGID_X_EN: 1
; COMPUTE_PGM_RSRC2:TGID_Y_EN: 0
; COMPUTE_PGM_RSRC2:TGID_Z_EN: 0
; COMPUTE_PGM_RSRC2:TIDIG_COMP_CNT: 0
	.section	.text._ZN7rocprim17ROCPRIM_400000_NS6detail17trampoline_kernelINS0_13select_configILj256ELj13ELNS0_17block_load_methodE3ELS4_3ELS4_3ELNS0_20block_scan_algorithmE0ELj4294967295EEENS1_25partition_config_selectorILNS1_17partition_subalgoE4EjNS0_10empty_typeEbEEZZNS1_14partition_implILS8_4ELb0ES6_15HIP_vector_typeIjLj2EENS0_17counting_iteratorIjlEEPS9_SG_NS0_5tupleIJPjSI_NS0_16reverse_iteratorISI_EEEEENSH_IJSG_SG_SG_EEES9_SI_JZNS1_25segmented_radix_sort_implINS0_14default_configELb0EPKaPaPKlPlN2at6native12_GLOBAL__N_18offset_tEEE10hipError_tPvRmT1_PNSt15iterator_traitsIS12_E10value_typeET2_T3_PNS13_IS18_E10value_typeET4_jRbjT5_S1E_jjP12ihipStream_tbEUljE_ZNSN_ISO_Lb0ESQ_SR_ST_SU_SY_EESZ_S10_S11_S12_S16_S17_S18_S1B_S1C_jS1D_jS1E_S1E_jjS1G_bEUljE0_EEESZ_S10_S11_S18_S1C_S1E_T6_T7_T9_mT8_S1G_bDpT10_ENKUlT_T0_E_clISt17integral_constantIbLb1EES1T_IbLb0EEEEDaS1P_S1Q_EUlS1P_E_NS1_11comp_targetILNS1_3genE10ELNS1_11target_archE1200ELNS1_3gpuE4ELNS1_3repE0EEENS1_30default_config_static_selectorELNS0_4arch9wavefront6targetE0EEEvS12_,"axG",@progbits,_ZN7rocprim17ROCPRIM_400000_NS6detail17trampoline_kernelINS0_13select_configILj256ELj13ELNS0_17block_load_methodE3ELS4_3ELS4_3ELNS0_20block_scan_algorithmE0ELj4294967295EEENS1_25partition_config_selectorILNS1_17partition_subalgoE4EjNS0_10empty_typeEbEEZZNS1_14partition_implILS8_4ELb0ES6_15HIP_vector_typeIjLj2EENS0_17counting_iteratorIjlEEPS9_SG_NS0_5tupleIJPjSI_NS0_16reverse_iteratorISI_EEEEENSH_IJSG_SG_SG_EEES9_SI_JZNS1_25segmented_radix_sort_implINS0_14default_configELb0EPKaPaPKlPlN2at6native12_GLOBAL__N_18offset_tEEE10hipError_tPvRmT1_PNSt15iterator_traitsIS12_E10value_typeET2_T3_PNS13_IS18_E10value_typeET4_jRbjT5_S1E_jjP12ihipStream_tbEUljE_ZNSN_ISO_Lb0ESQ_SR_ST_SU_SY_EESZ_S10_S11_S12_S16_S17_S18_S1B_S1C_jS1D_jS1E_S1E_jjS1G_bEUljE0_EEESZ_S10_S11_S18_S1C_S1E_T6_T7_T9_mT8_S1G_bDpT10_ENKUlT_T0_E_clISt17integral_constantIbLb1EES1T_IbLb0EEEEDaS1P_S1Q_EUlS1P_E_NS1_11comp_targetILNS1_3genE10ELNS1_11target_archE1200ELNS1_3gpuE4ELNS1_3repE0EEENS1_30default_config_static_selectorELNS0_4arch9wavefront6targetE0EEEvS12_,comdat
	.globl	_ZN7rocprim17ROCPRIM_400000_NS6detail17trampoline_kernelINS0_13select_configILj256ELj13ELNS0_17block_load_methodE3ELS4_3ELS4_3ELNS0_20block_scan_algorithmE0ELj4294967295EEENS1_25partition_config_selectorILNS1_17partition_subalgoE4EjNS0_10empty_typeEbEEZZNS1_14partition_implILS8_4ELb0ES6_15HIP_vector_typeIjLj2EENS0_17counting_iteratorIjlEEPS9_SG_NS0_5tupleIJPjSI_NS0_16reverse_iteratorISI_EEEEENSH_IJSG_SG_SG_EEES9_SI_JZNS1_25segmented_radix_sort_implINS0_14default_configELb0EPKaPaPKlPlN2at6native12_GLOBAL__N_18offset_tEEE10hipError_tPvRmT1_PNSt15iterator_traitsIS12_E10value_typeET2_T3_PNS13_IS18_E10value_typeET4_jRbjT5_S1E_jjP12ihipStream_tbEUljE_ZNSN_ISO_Lb0ESQ_SR_ST_SU_SY_EESZ_S10_S11_S12_S16_S17_S18_S1B_S1C_jS1D_jS1E_S1E_jjS1G_bEUljE0_EEESZ_S10_S11_S18_S1C_S1E_T6_T7_T9_mT8_S1G_bDpT10_ENKUlT_T0_E_clISt17integral_constantIbLb1EES1T_IbLb0EEEEDaS1P_S1Q_EUlS1P_E_NS1_11comp_targetILNS1_3genE10ELNS1_11target_archE1200ELNS1_3gpuE4ELNS1_3repE0EEENS1_30default_config_static_selectorELNS0_4arch9wavefront6targetE0EEEvS12_ ; -- Begin function _ZN7rocprim17ROCPRIM_400000_NS6detail17trampoline_kernelINS0_13select_configILj256ELj13ELNS0_17block_load_methodE3ELS4_3ELS4_3ELNS0_20block_scan_algorithmE0ELj4294967295EEENS1_25partition_config_selectorILNS1_17partition_subalgoE4EjNS0_10empty_typeEbEEZZNS1_14partition_implILS8_4ELb0ES6_15HIP_vector_typeIjLj2EENS0_17counting_iteratorIjlEEPS9_SG_NS0_5tupleIJPjSI_NS0_16reverse_iteratorISI_EEEEENSH_IJSG_SG_SG_EEES9_SI_JZNS1_25segmented_radix_sort_implINS0_14default_configELb0EPKaPaPKlPlN2at6native12_GLOBAL__N_18offset_tEEE10hipError_tPvRmT1_PNSt15iterator_traitsIS12_E10value_typeET2_T3_PNS13_IS18_E10value_typeET4_jRbjT5_S1E_jjP12ihipStream_tbEUljE_ZNSN_ISO_Lb0ESQ_SR_ST_SU_SY_EESZ_S10_S11_S12_S16_S17_S18_S1B_S1C_jS1D_jS1E_S1E_jjS1G_bEUljE0_EEESZ_S10_S11_S18_S1C_S1E_T6_T7_T9_mT8_S1G_bDpT10_ENKUlT_T0_E_clISt17integral_constantIbLb1EES1T_IbLb0EEEEDaS1P_S1Q_EUlS1P_E_NS1_11comp_targetILNS1_3genE10ELNS1_11target_archE1200ELNS1_3gpuE4ELNS1_3repE0EEENS1_30default_config_static_selectorELNS0_4arch9wavefront6targetE0EEEvS12_
	.p2align	8
	.type	_ZN7rocprim17ROCPRIM_400000_NS6detail17trampoline_kernelINS0_13select_configILj256ELj13ELNS0_17block_load_methodE3ELS4_3ELS4_3ELNS0_20block_scan_algorithmE0ELj4294967295EEENS1_25partition_config_selectorILNS1_17partition_subalgoE4EjNS0_10empty_typeEbEEZZNS1_14partition_implILS8_4ELb0ES6_15HIP_vector_typeIjLj2EENS0_17counting_iteratorIjlEEPS9_SG_NS0_5tupleIJPjSI_NS0_16reverse_iteratorISI_EEEEENSH_IJSG_SG_SG_EEES9_SI_JZNS1_25segmented_radix_sort_implINS0_14default_configELb0EPKaPaPKlPlN2at6native12_GLOBAL__N_18offset_tEEE10hipError_tPvRmT1_PNSt15iterator_traitsIS12_E10value_typeET2_T3_PNS13_IS18_E10value_typeET4_jRbjT5_S1E_jjP12ihipStream_tbEUljE_ZNSN_ISO_Lb0ESQ_SR_ST_SU_SY_EESZ_S10_S11_S12_S16_S17_S18_S1B_S1C_jS1D_jS1E_S1E_jjS1G_bEUljE0_EEESZ_S10_S11_S18_S1C_S1E_T6_T7_T9_mT8_S1G_bDpT10_ENKUlT_T0_E_clISt17integral_constantIbLb1EES1T_IbLb0EEEEDaS1P_S1Q_EUlS1P_E_NS1_11comp_targetILNS1_3genE10ELNS1_11target_archE1200ELNS1_3gpuE4ELNS1_3repE0EEENS1_30default_config_static_selectorELNS0_4arch9wavefront6targetE0EEEvS12_,@function
_ZN7rocprim17ROCPRIM_400000_NS6detail17trampoline_kernelINS0_13select_configILj256ELj13ELNS0_17block_load_methodE3ELS4_3ELS4_3ELNS0_20block_scan_algorithmE0ELj4294967295EEENS1_25partition_config_selectorILNS1_17partition_subalgoE4EjNS0_10empty_typeEbEEZZNS1_14partition_implILS8_4ELb0ES6_15HIP_vector_typeIjLj2EENS0_17counting_iteratorIjlEEPS9_SG_NS0_5tupleIJPjSI_NS0_16reverse_iteratorISI_EEEEENSH_IJSG_SG_SG_EEES9_SI_JZNS1_25segmented_radix_sort_implINS0_14default_configELb0EPKaPaPKlPlN2at6native12_GLOBAL__N_18offset_tEEE10hipError_tPvRmT1_PNSt15iterator_traitsIS12_E10value_typeET2_T3_PNS13_IS18_E10value_typeET4_jRbjT5_S1E_jjP12ihipStream_tbEUljE_ZNSN_ISO_Lb0ESQ_SR_ST_SU_SY_EESZ_S10_S11_S12_S16_S17_S18_S1B_S1C_jS1D_jS1E_S1E_jjS1G_bEUljE0_EEESZ_S10_S11_S18_S1C_S1E_T6_T7_T9_mT8_S1G_bDpT10_ENKUlT_T0_E_clISt17integral_constantIbLb1EES1T_IbLb0EEEEDaS1P_S1Q_EUlS1P_E_NS1_11comp_targetILNS1_3genE10ELNS1_11target_archE1200ELNS1_3gpuE4ELNS1_3repE0EEENS1_30default_config_static_selectorELNS0_4arch9wavefront6targetE0EEEvS12_: ; @_ZN7rocprim17ROCPRIM_400000_NS6detail17trampoline_kernelINS0_13select_configILj256ELj13ELNS0_17block_load_methodE3ELS4_3ELS4_3ELNS0_20block_scan_algorithmE0ELj4294967295EEENS1_25partition_config_selectorILNS1_17partition_subalgoE4EjNS0_10empty_typeEbEEZZNS1_14partition_implILS8_4ELb0ES6_15HIP_vector_typeIjLj2EENS0_17counting_iteratorIjlEEPS9_SG_NS0_5tupleIJPjSI_NS0_16reverse_iteratorISI_EEEEENSH_IJSG_SG_SG_EEES9_SI_JZNS1_25segmented_radix_sort_implINS0_14default_configELb0EPKaPaPKlPlN2at6native12_GLOBAL__N_18offset_tEEE10hipError_tPvRmT1_PNSt15iterator_traitsIS12_E10value_typeET2_T3_PNS13_IS18_E10value_typeET4_jRbjT5_S1E_jjP12ihipStream_tbEUljE_ZNSN_ISO_Lb0ESQ_SR_ST_SU_SY_EESZ_S10_S11_S12_S16_S17_S18_S1B_S1C_jS1D_jS1E_S1E_jjS1G_bEUljE0_EEESZ_S10_S11_S18_S1C_S1E_T6_T7_T9_mT8_S1G_bDpT10_ENKUlT_T0_E_clISt17integral_constantIbLb1EES1T_IbLb0EEEEDaS1P_S1Q_EUlS1P_E_NS1_11comp_targetILNS1_3genE10ELNS1_11target_archE1200ELNS1_3gpuE4ELNS1_3repE0EEENS1_30default_config_static_selectorELNS0_4arch9wavefront6targetE0EEEvS12_
; %bb.0:
	.section	.rodata,"a",@progbits
	.p2align	6, 0x0
	.amdhsa_kernel _ZN7rocprim17ROCPRIM_400000_NS6detail17trampoline_kernelINS0_13select_configILj256ELj13ELNS0_17block_load_methodE3ELS4_3ELS4_3ELNS0_20block_scan_algorithmE0ELj4294967295EEENS1_25partition_config_selectorILNS1_17partition_subalgoE4EjNS0_10empty_typeEbEEZZNS1_14partition_implILS8_4ELb0ES6_15HIP_vector_typeIjLj2EENS0_17counting_iteratorIjlEEPS9_SG_NS0_5tupleIJPjSI_NS0_16reverse_iteratorISI_EEEEENSH_IJSG_SG_SG_EEES9_SI_JZNS1_25segmented_radix_sort_implINS0_14default_configELb0EPKaPaPKlPlN2at6native12_GLOBAL__N_18offset_tEEE10hipError_tPvRmT1_PNSt15iterator_traitsIS12_E10value_typeET2_T3_PNS13_IS18_E10value_typeET4_jRbjT5_S1E_jjP12ihipStream_tbEUljE_ZNSN_ISO_Lb0ESQ_SR_ST_SU_SY_EESZ_S10_S11_S12_S16_S17_S18_S1B_S1C_jS1D_jS1E_S1E_jjS1G_bEUljE0_EEESZ_S10_S11_S18_S1C_S1E_T6_T7_T9_mT8_S1G_bDpT10_ENKUlT_T0_E_clISt17integral_constantIbLb1EES1T_IbLb0EEEEDaS1P_S1Q_EUlS1P_E_NS1_11comp_targetILNS1_3genE10ELNS1_11target_archE1200ELNS1_3gpuE4ELNS1_3repE0EEENS1_30default_config_static_selectorELNS0_4arch9wavefront6targetE0EEEvS12_
		.amdhsa_group_segment_fixed_size 0
		.amdhsa_private_segment_fixed_size 0
		.amdhsa_kernarg_size 176
		.amdhsa_user_sgpr_count 6
		.amdhsa_user_sgpr_private_segment_buffer 1
		.amdhsa_user_sgpr_dispatch_ptr 0
		.amdhsa_user_sgpr_queue_ptr 0
		.amdhsa_user_sgpr_kernarg_segment_ptr 1
		.amdhsa_user_sgpr_dispatch_id 0
		.amdhsa_user_sgpr_flat_scratch_init 0
		.amdhsa_user_sgpr_private_segment_size 0
		.amdhsa_wavefront_size32 1
		.amdhsa_uses_dynamic_stack 0
		.amdhsa_system_sgpr_private_segment_wavefront_offset 0
		.amdhsa_system_sgpr_workgroup_id_x 1
		.amdhsa_system_sgpr_workgroup_id_y 0
		.amdhsa_system_sgpr_workgroup_id_z 0
		.amdhsa_system_sgpr_workgroup_info 0
		.amdhsa_system_vgpr_workitem_id 0
		.amdhsa_next_free_vgpr 1
		.amdhsa_next_free_sgpr 1
		.amdhsa_reserve_vcc 0
		.amdhsa_reserve_flat_scratch 0
		.amdhsa_float_round_mode_32 0
		.amdhsa_float_round_mode_16_64 0
		.amdhsa_float_denorm_mode_32 3
		.amdhsa_float_denorm_mode_16_64 3
		.amdhsa_dx10_clamp 1
		.amdhsa_ieee_mode 1
		.amdhsa_fp16_overflow 0
		.amdhsa_workgroup_processor_mode 1
		.amdhsa_memory_ordered 1
		.amdhsa_forward_progress 1
		.amdhsa_shared_vgpr_count 0
		.amdhsa_exception_fp_ieee_invalid_op 0
		.amdhsa_exception_fp_denorm_src 0
		.amdhsa_exception_fp_ieee_div_zero 0
		.amdhsa_exception_fp_ieee_overflow 0
		.amdhsa_exception_fp_ieee_underflow 0
		.amdhsa_exception_fp_ieee_inexact 0
		.amdhsa_exception_int_div_zero 0
	.end_amdhsa_kernel
	.section	.text._ZN7rocprim17ROCPRIM_400000_NS6detail17trampoline_kernelINS0_13select_configILj256ELj13ELNS0_17block_load_methodE3ELS4_3ELS4_3ELNS0_20block_scan_algorithmE0ELj4294967295EEENS1_25partition_config_selectorILNS1_17partition_subalgoE4EjNS0_10empty_typeEbEEZZNS1_14partition_implILS8_4ELb0ES6_15HIP_vector_typeIjLj2EENS0_17counting_iteratorIjlEEPS9_SG_NS0_5tupleIJPjSI_NS0_16reverse_iteratorISI_EEEEENSH_IJSG_SG_SG_EEES9_SI_JZNS1_25segmented_radix_sort_implINS0_14default_configELb0EPKaPaPKlPlN2at6native12_GLOBAL__N_18offset_tEEE10hipError_tPvRmT1_PNSt15iterator_traitsIS12_E10value_typeET2_T3_PNS13_IS18_E10value_typeET4_jRbjT5_S1E_jjP12ihipStream_tbEUljE_ZNSN_ISO_Lb0ESQ_SR_ST_SU_SY_EESZ_S10_S11_S12_S16_S17_S18_S1B_S1C_jS1D_jS1E_S1E_jjS1G_bEUljE0_EEESZ_S10_S11_S18_S1C_S1E_T6_T7_T9_mT8_S1G_bDpT10_ENKUlT_T0_E_clISt17integral_constantIbLb1EES1T_IbLb0EEEEDaS1P_S1Q_EUlS1P_E_NS1_11comp_targetILNS1_3genE10ELNS1_11target_archE1200ELNS1_3gpuE4ELNS1_3repE0EEENS1_30default_config_static_selectorELNS0_4arch9wavefront6targetE0EEEvS12_,"axG",@progbits,_ZN7rocprim17ROCPRIM_400000_NS6detail17trampoline_kernelINS0_13select_configILj256ELj13ELNS0_17block_load_methodE3ELS4_3ELS4_3ELNS0_20block_scan_algorithmE0ELj4294967295EEENS1_25partition_config_selectorILNS1_17partition_subalgoE4EjNS0_10empty_typeEbEEZZNS1_14partition_implILS8_4ELb0ES6_15HIP_vector_typeIjLj2EENS0_17counting_iteratorIjlEEPS9_SG_NS0_5tupleIJPjSI_NS0_16reverse_iteratorISI_EEEEENSH_IJSG_SG_SG_EEES9_SI_JZNS1_25segmented_radix_sort_implINS0_14default_configELb0EPKaPaPKlPlN2at6native12_GLOBAL__N_18offset_tEEE10hipError_tPvRmT1_PNSt15iterator_traitsIS12_E10value_typeET2_T3_PNS13_IS18_E10value_typeET4_jRbjT5_S1E_jjP12ihipStream_tbEUljE_ZNSN_ISO_Lb0ESQ_SR_ST_SU_SY_EESZ_S10_S11_S12_S16_S17_S18_S1B_S1C_jS1D_jS1E_S1E_jjS1G_bEUljE0_EEESZ_S10_S11_S18_S1C_S1E_T6_T7_T9_mT8_S1G_bDpT10_ENKUlT_T0_E_clISt17integral_constantIbLb1EES1T_IbLb0EEEEDaS1P_S1Q_EUlS1P_E_NS1_11comp_targetILNS1_3genE10ELNS1_11target_archE1200ELNS1_3gpuE4ELNS1_3repE0EEENS1_30default_config_static_selectorELNS0_4arch9wavefront6targetE0EEEvS12_,comdat
.Lfunc_end347:
	.size	_ZN7rocprim17ROCPRIM_400000_NS6detail17trampoline_kernelINS0_13select_configILj256ELj13ELNS0_17block_load_methodE3ELS4_3ELS4_3ELNS0_20block_scan_algorithmE0ELj4294967295EEENS1_25partition_config_selectorILNS1_17partition_subalgoE4EjNS0_10empty_typeEbEEZZNS1_14partition_implILS8_4ELb0ES6_15HIP_vector_typeIjLj2EENS0_17counting_iteratorIjlEEPS9_SG_NS0_5tupleIJPjSI_NS0_16reverse_iteratorISI_EEEEENSH_IJSG_SG_SG_EEES9_SI_JZNS1_25segmented_radix_sort_implINS0_14default_configELb0EPKaPaPKlPlN2at6native12_GLOBAL__N_18offset_tEEE10hipError_tPvRmT1_PNSt15iterator_traitsIS12_E10value_typeET2_T3_PNS13_IS18_E10value_typeET4_jRbjT5_S1E_jjP12ihipStream_tbEUljE_ZNSN_ISO_Lb0ESQ_SR_ST_SU_SY_EESZ_S10_S11_S12_S16_S17_S18_S1B_S1C_jS1D_jS1E_S1E_jjS1G_bEUljE0_EEESZ_S10_S11_S18_S1C_S1E_T6_T7_T9_mT8_S1G_bDpT10_ENKUlT_T0_E_clISt17integral_constantIbLb1EES1T_IbLb0EEEEDaS1P_S1Q_EUlS1P_E_NS1_11comp_targetILNS1_3genE10ELNS1_11target_archE1200ELNS1_3gpuE4ELNS1_3repE0EEENS1_30default_config_static_selectorELNS0_4arch9wavefront6targetE0EEEvS12_, .Lfunc_end347-_ZN7rocprim17ROCPRIM_400000_NS6detail17trampoline_kernelINS0_13select_configILj256ELj13ELNS0_17block_load_methodE3ELS4_3ELS4_3ELNS0_20block_scan_algorithmE0ELj4294967295EEENS1_25partition_config_selectorILNS1_17partition_subalgoE4EjNS0_10empty_typeEbEEZZNS1_14partition_implILS8_4ELb0ES6_15HIP_vector_typeIjLj2EENS0_17counting_iteratorIjlEEPS9_SG_NS0_5tupleIJPjSI_NS0_16reverse_iteratorISI_EEEEENSH_IJSG_SG_SG_EEES9_SI_JZNS1_25segmented_radix_sort_implINS0_14default_configELb0EPKaPaPKlPlN2at6native12_GLOBAL__N_18offset_tEEE10hipError_tPvRmT1_PNSt15iterator_traitsIS12_E10value_typeET2_T3_PNS13_IS18_E10value_typeET4_jRbjT5_S1E_jjP12ihipStream_tbEUljE_ZNSN_ISO_Lb0ESQ_SR_ST_SU_SY_EESZ_S10_S11_S12_S16_S17_S18_S1B_S1C_jS1D_jS1E_S1E_jjS1G_bEUljE0_EEESZ_S10_S11_S18_S1C_S1E_T6_T7_T9_mT8_S1G_bDpT10_ENKUlT_T0_E_clISt17integral_constantIbLb1EES1T_IbLb0EEEEDaS1P_S1Q_EUlS1P_E_NS1_11comp_targetILNS1_3genE10ELNS1_11target_archE1200ELNS1_3gpuE4ELNS1_3repE0EEENS1_30default_config_static_selectorELNS0_4arch9wavefront6targetE0EEEvS12_
                                        ; -- End function
	.set _ZN7rocprim17ROCPRIM_400000_NS6detail17trampoline_kernelINS0_13select_configILj256ELj13ELNS0_17block_load_methodE3ELS4_3ELS4_3ELNS0_20block_scan_algorithmE0ELj4294967295EEENS1_25partition_config_selectorILNS1_17partition_subalgoE4EjNS0_10empty_typeEbEEZZNS1_14partition_implILS8_4ELb0ES6_15HIP_vector_typeIjLj2EENS0_17counting_iteratorIjlEEPS9_SG_NS0_5tupleIJPjSI_NS0_16reverse_iteratorISI_EEEEENSH_IJSG_SG_SG_EEES9_SI_JZNS1_25segmented_radix_sort_implINS0_14default_configELb0EPKaPaPKlPlN2at6native12_GLOBAL__N_18offset_tEEE10hipError_tPvRmT1_PNSt15iterator_traitsIS12_E10value_typeET2_T3_PNS13_IS18_E10value_typeET4_jRbjT5_S1E_jjP12ihipStream_tbEUljE_ZNSN_ISO_Lb0ESQ_SR_ST_SU_SY_EESZ_S10_S11_S12_S16_S17_S18_S1B_S1C_jS1D_jS1E_S1E_jjS1G_bEUljE0_EEESZ_S10_S11_S18_S1C_S1E_T6_T7_T9_mT8_S1G_bDpT10_ENKUlT_T0_E_clISt17integral_constantIbLb1EES1T_IbLb0EEEEDaS1P_S1Q_EUlS1P_E_NS1_11comp_targetILNS1_3genE10ELNS1_11target_archE1200ELNS1_3gpuE4ELNS1_3repE0EEENS1_30default_config_static_selectorELNS0_4arch9wavefront6targetE0EEEvS12_.num_vgpr, 0
	.set _ZN7rocprim17ROCPRIM_400000_NS6detail17trampoline_kernelINS0_13select_configILj256ELj13ELNS0_17block_load_methodE3ELS4_3ELS4_3ELNS0_20block_scan_algorithmE0ELj4294967295EEENS1_25partition_config_selectorILNS1_17partition_subalgoE4EjNS0_10empty_typeEbEEZZNS1_14partition_implILS8_4ELb0ES6_15HIP_vector_typeIjLj2EENS0_17counting_iteratorIjlEEPS9_SG_NS0_5tupleIJPjSI_NS0_16reverse_iteratorISI_EEEEENSH_IJSG_SG_SG_EEES9_SI_JZNS1_25segmented_radix_sort_implINS0_14default_configELb0EPKaPaPKlPlN2at6native12_GLOBAL__N_18offset_tEEE10hipError_tPvRmT1_PNSt15iterator_traitsIS12_E10value_typeET2_T3_PNS13_IS18_E10value_typeET4_jRbjT5_S1E_jjP12ihipStream_tbEUljE_ZNSN_ISO_Lb0ESQ_SR_ST_SU_SY_EESZ_S10_S11_S12_S16_S17_S18_S1B_S1C_jS1D_jS1E_S1E_jjS1G_bEUljE0_EEESZ_S10_S11_S18_S1C_S1E_T6_T7_T9_mT8_S1G_bDpT10_ENKUlT_T0_E_clISt17integral_constantIbLb1EES1T_IbLb0EEEEDaS1P_S1Q_EUlS1P_E_NS1_11comp_targetILNS1_3genE10ELNS1_11target_archE1200ELNS1_3gpuE4ELNS1_3repE0EEENS1_30default_config_static_selectorELNS0_4arch9wavefront6targetE0EEEvS12_.num_agpr, 0
	.set _ZN7rocprim17ROCPRIM_400000_NS6detail17trampoline_kernelINS0_13select_configILj256ELj13ELNS0_17block_load_methodE3ELS4_3ELS4_3ELNS0_20block_scan_algorithmE0ELj4294967295EEENS1_25partition_config_selectorILNS1_17partition_subalgoE4EjNS0_10empty_typeEbEEZZNS1_14partition_implILS8_4ELb0ES6_15HIP_vector_typeIjLj2EENS0_17counting_iteratorIjlEEPS9_SG_NS0_5tupleIJPjSI_NS0_16reverse_iteratorISI_EEEEENSH_IJSG_SG_SG_EEES9_SI_JZNS1_25segmented_radix_sort_implINS0_14default_configELb0EPKaPaPKlPlN2at6native12_GLOBAL__N_18offset_tEEE10hipError_tPvRmT1_PNSt15iterator_traitsIS12_E10value_typeET2_T3_PNS13_IS18_E10value_typeET4_jRbjT5_S1E_jjP12ihipStream_tbEUljE_ZNSN_ISO_Lb0ESQ_SR_ST_SU_SY_EESZ_S10_S11_S12_S16_S17_S18_S1B_S1C_jS1D_jS1E_S1E_jjS1G_bEUljE0_EEESZ_S10_S11_S18_S1C_S1E_T6_T7_T9_mT8_S1G_bDpT10_ENKUlT_T0_E_clISt17integral_constantIbLb1EES1T_IbLb0EEEEDaS1P_S1Q_EUlS1P_E_NS1_11comp_targetILNS1_3genE10ELNS1_11target_archE1200ELNS1_3gpuE4ELNS1_3repE0EEENS1_30default_config_static_selectorELNS0_4arch9wavefront6targetE0EEEvS12_.numbered_sgpr, 0
	.set _ZN7rocprim17ROCPRIM_400000_NS6detail17trampoline_kernelINS0_13select_configILj256ELj13ELNS0_17block_load_methodE3ELS4_3ELS4_3ELNS0_20block_scan_algorithmE0ELj4294967295EEENS1_25partition_config_selectorILNS1_17partition_subalgoE4EjNS0_10empty_typeEbEEZZNS1_14partition_implILS8_4ELb0ES6_15HIP_vector_typeIjLj2EENS0_17counting_iteratorIjlEEPS9_SG_NS0_5tupleIJPjSI_NS0_16reverse_iteratorISI_EEEEENSH_IJSG_SG_SG_EEES9_SI_JZNS1_25segmented_radix_sort_implINS0_14default_configELb0EPKaPaPKlPlN2at6native12_GLOBAL__N_18offset_tEEE10hipError_tPvRmT1_PNSt15iterator_traitsIS12_E10value_typeET2_T3_PNS13_IS18_E10value_typeET4_jRbjT5_S1E_jjP12ihipStream_tbEUljE_ZNSN_ISO_Lb0ESQ_SR_ST_SU_SY_EESZ_S10_S11_S12_S16_S17_S18_S1B_S1C_jS1D_jS1E_S1E_jjS1G_bEUljE0_EEESZ_S10_S11_S18_S1C_S1E_T6_T7_T9_mT8_S1G_bDpT10_ENKUlT_T0_E_clISt17integral_constantIbLb1EES1T_IbLb0EEEEDaS1P_S1Q_EUlS1P_E_NS1_11comp_targetILNS1_3genE10ELNS1_11target_archE1200ELNS1_3gpuE4ELNS1_3repE0EEENS1_30default_config_static_selectorELNS0_4arch9wavefront6targetE0EEEvS12_.num_named_barrier, 0
	.set _ZN7rocprim17ROCPRIM_400000_NS6detail17trampoline_kernelINS0_13select_configILj256ELj13ELNS0_17block_load_methodE3ELS4_3ELS4_3ELNS0_20block_scan_algorithmE0ELj4294967295EEENS1_25partition_config_selectorILNS1_17partition_subalgoE4EjNS0_10empty_typeEbEEZZNS1_14partition_implILS8_4ELb0ES6_15HIP_vector_typeIjLj2EENS0_17counting_iteratorIjlEEPS9_SG_NS0_5tupleIJPjSI_NS0_16reverse_iteratorISI_EEEEENSH_IJSG_SG_SG_EEES9_SI_JZNS1_25segmented_radix_sort_implINS0_14default_configELb0EPKaPaPKlPlN2at6native12_GLOBAL__N_18offset_tEEE10hipError_tPvRmT1_PNSt15iterator_traitsIS12_E10value_typeET2_T3_PNS13_IS18_E10value_typeET4_jRbjT5_S1E_jjP12ihipStream_tbEUljE_ZNSN_ISO_Lb0ESQ_SR_ST_SU_SY_EESZ_S10_S11_S12_S16_S17_S18_S1B_S1C_jS1D_jS1E_S1E_jjS1G_bEUljE0_EEESZ_S10_S11_S18_S1C_S1E_T6_T7_T9_mT8_S1G_bDpT10_ENKUlT_T0_E_clISt17integral_constantIbLb1EES1T_IbLb0EEEEDaS1P_S1Q_EUlS1P_E_NS1_11comp_targetILNS1_3genE10ELNS1_11target_archE1200ELNS1_3gpuE4ELNS1_3repE0EEENS1_30default_config_static_selectorELNS0_4arch9wavefront6targetE0EEEvS12_.private_seg_size, 0
	.set _ZN7rocprim17ROCPRIM_400000_NS6detail17trampoline_kernelINS0_13select_configILj256ELj13ELNS0_17block_load_methodE3ELS4_3ELS4_3ELNS0_20block_scan_algorithmE0ELj4294967295EEENS1_25partition_config_selectorILNS1_17partition_subalgoE4EjNS0_10empty_typeEbEEZZNS1_14partition_implILS8_4ELb0ES6_15HIP_vector_typeIjLj2EENS0_17counting_iteratorIjlEEPS9_SG_NS0_5tupleIJPjSI_NS0_16reverse_iteratorISI_EEEEENSH_IJSG_SG_SG_EEES9_SI_JZNS1_25segmented_radix_sort_implINS0_14default_configELb0EPKaPaPKlPlN2at6native12_GLOBAL__N_18offset_tEEE10hipError_tPvRmT1_PNSt15iterator_traitsIS12_E10value_typeET2_T3_PNS13_IS18_E10value_typeET4_jRbjT5_S1E_jjP12ihipStream_tbEUljE_ZNSN_ISO_Lb0ESQ_SR_ST_SU_SY_EESZ_S10_S11_S12_S16_S17_S18_S1B_S1C_jS1D_jS1E_S1E_jjS1G_bEUljE0_EEESZ_S10_S11_S18_S1C_S1E_T6_T7_T9_mT8_S1G_bDpT10_ENKUlT_T0_E_clISt17integral_constantIbLb1EES1T_IbLb0EEEEDaS1P_S1Q_EUlS1P_E_NS1_11comp_targetILNS1_3genE10ELNS1_11target_archE1200ELNS1_3gpuE4ELNS1_3repE0EEENS1_30default_config_static_selectorELNS0_4arch9wavefront6targetE0EEEvS12_.uses_vcc, 0
	.set _ZN7rocprim17ROCPRIM_400000_NS6detail17trampoline_kernelINS0_13select_configILj256ELj13ELNS0_17block_load_methodE3ELS4_3ELS4_3ELNS0_20block_scan_algorithmE0ELj4294967295EEENS1_25partition_config_selectorILNS1_17partition_subalgoE4EjNS0_10empty_typeEbEEZZNS1_14partition_implILS8_4ELb0ES6_15HIP_vector_typeIjLj2EENS0_17counting_iteratorIjlEEPS9_SG_NS0_5tupleIJPjSI_NS0_16reverse_iteratorISI_EEEEENSH_IJSG_SG_SG_EEES9_SI_JZNS1_25segmented_radix_sort_implINS0_14default_configELb0EPKaPaPKlPlN2at6native12_GLOBAL__N_18offset_tEEE10hipError_tPvRmT1_PNSt15iterator_traitsIS12_E10value_typeET2_T3_PNS13_IS18_E10value_typeET4_jRbjT5_S1E_jjP12ihipStream_tbEUljE_ZNSN_ISO_Lb0ESQ_SR_ST_SU_SY_EESZ_S10_S11_S12_S16_S17_S18_S1B_S1C_jS1D_jS1E_S1E_jjS1G_bEUljE0_EEESZ_S10_S11_S18_S1C_S1E_T6_T7_T9_mT8_S1G_bDpT10_ENKUlT_T0_E_clISt17integral_constantIbLb1EES1T_IbLb0EEEEDaS1P_S1Q_EUlS1P_E_NS1_11comp_targetILNS1_3genE10ELNS1_11target_archE1200ELNS1_3gpuE4ELNS1_3repE0EEENS1_30default_config_static_selectorELNS0_4arch9wavefront6targetE0EEEvS12_.uses_flat_scratch, 0
	.set _ZN7rocprim17ROCPRIM_400000_NS6detail17trampoline_kernelINS0_13select_configILj256ELj13ELNS0_17block_load_methodE3ELS4_3ELS4_3ELNS0_20block_scan_algorithmE0ELj4294967295EEENS1_25partition_config_selectorILNS1_17partition_subalgoE4EjNS0_10empty_typeEbEEZZNS1_14partition_implILS8_4ELb0ES6_15HIP_vector_typeIjLj2EENS0_17counting_iteratorIjlEEPS9_SG_NS0_5tupleIJPjSI_NS0_16reverse_iteratorISI_EEEEENSH_IJSG_SG_SG_EEES9_SI_JZNS1_25segmented_radix_sort_implINS0_14default_configELb0EPKaPaPKlPlN2at6native12_GLOBAL__N_18offset_tEEE10hipError_tPvRmT1_PNSt15iterator_traitsIS12_E10value_typeET2_T3_PNS13_IS18_E10value_typeET4_jRbjT5_S1E_jjP12ihipStream_tbEUljE_ZNSN_ISO_Lb0ESQ_SR_ST_SU_SY_EESZ_S10_S11_S12_S16_S17_S18_S1B_S1C_jS1D_jS1E_S1E_jjS1G_bEUljE0_EEESZ_S10_S11_S18_S1C_S1E_T6_T7_T9_mT8_S1G_bDpT10_ENKUlT_T0_E_clISt17integral_constantIbLb1EES1T_IbLb0EEEEDaS1P_S1Q_EUlS1P_E_NS1_11comp_targetILNS1_3genE10ELNS1_11target_archE1200ELNS1_3gpuE4ELNS1_3repE0EEENS1_30default_config_static_selectorELNS0_4arch9wavefront6targetE0EEEvS12_.has_dyn_sized_stack, 0
	.set _ZN7rocprim17ROCPRIM_400000_NS6detail17trampoline_kernelINS0_13select_configILj256ELj13ELNS0_17block_load_methodE3ELS4_3ELS4_3ELNS0_20block_scan_algorithmE0ELj4294967295EEENS1_25partition_config_selectorILNS1_17partition_subalgoE4EjNS0_10empty_typeEbEEZZNS1_14partition_implILS8_4ELb0ES6_15HIP_vector_typeIjLj2EENS0_17counting_iteratorIjlEEPS9_SG_NS0_5tupleIJPjSI_NS0_16reverse_iteratorISI_EEEEENSH_IJSG_SG_SG_EEES9_SI_JZNS1_25segmented_radix_sort_implINS0_14default_configELb0EPKaPaPKlPlN2at6native12_GLOBAL__N_18offset_tEEE10hipError_tPvRmT1_PNSt15iterator_traitsIS12_E10value_typeET2_T3_PNS13_IS18_E10value_typeET4_jRbjT5_S1E_jjP12ihipStream_tbEUljE_ZNSN_ISO_Lb0ESQ_SR_ST_SU_SY_EESZ_S10_S11_S12_S16_S17_S18_S1B_S1C_jS1D_jS1E_S1E_jjS1G_bEUljE0_EEESZ_S10_S11_S18_S1C_S1E_T6_T7_T9_mT8_S1G_bDpT10_ENKUlT_T0_E_clISt17integral_constantIbLb1EES1T_IbLb0EEEEDaS1P_S1Q_EUlS1P_E_NS1_11comp_targetILNS1_3genE10ELNS1_11target_archE1200ELNS1_3gpuE4ELNS1_3repE0EEENS1_30default_config_static_selectorELNS0_4arch9wavefront6targetE0EEEvS12_.has_recursion, 0
	.set _ZN7rocprim17ROCPRIM_400000_NS6detail17trampoline_kernelINS0_13select_configILj256ELj13ELNS0_17block_load_methodE3ELS4_3ELS4_3ELNS0_20block_scan_algorithmE0ELj4294967295EEENS1_25partition_config_selectorILNS1_17partition_subalgoE4EjNS0_10empty_typeEbEEZZNS1_14partition_implILS8_4ELb0ES6_15HIP_vector_typeIjLj2EENS0_17counting_iteratorIjlEEPS9_SG_NS0_5tupleIJPjSI_NS0_16reverse_iteratorISI_EEEEENSH_IJSG_SG_SG_EEES9_SI_JZNS1_25segmented_radix_sort_implINS0_14default_configELb0EPKaPaPKlPlN2at6native12_GLOBAL__N_18offset_tEEE10hipError_tPvRmT1_PNSt15iterator_traitsIS12_E10value_typeET2_T3_PNS13_IS18_E10value_typeET4_jRbjT5_S1E_jjP12ihipStream_tbEUljE_ZNSN_ISO_Lb0ESQ_SR_ST_SU_SY_EESZ_S10_S11_S12_S16_S17_S18_S1B_S1C_jS1D_jS1E_S1E_jjS1G_bEUljE0_EEESZ_S10_S11_S18_S1C_S1E_T6_T7_T9_mT8_S1G_bDpT10_ENKUlT_T0_E_clISt17integral_constantIbLb1EES1T_IbLb0EEEEDaS1P_S1Q_EUlS1P_E_NS1_11comp_targetILNS1_3genE10ELNS1_11target_archE1200ELNS1_3gpuE4ELNS1_3repE0EEENS1_30default_config_static_selectorELNS0_4arch9wavefront6targetE0EEEvS12_.has_indirect_call, 0
	.section	.AMDGPU.csdata,"",@progbits
; Kernel info:
; codeLenInByte = 0
; TotalNumSgprs: 0
; NumVgprs: 0
; ScratchSize: 0
; MemoryBound: 0
; FloatMode: 240
; IeeeMode: 1
; LDSByteSize: 0 bytes/workgroup (compile time only)
; SGPRBlocks: 0
; VGPRBlocks: 0
; NumSGPRsForWavesPerEU: 1
; NumVGPRsForWavesPerEU: 1
; Occupancy: 16
; WaveLimiterHint : 0
; COMPUTE_PGM_RSRC2:SCRATCH_EN: 0
; COMPUTE_PGM_RSRC2:USER_SGPR: 6
; COMPUTE_PGM_RSRC2:TRAP_HANDLER: 0
; COMPUTE_PGM_RSRC2:TGID_X_EN: 1
; COMPUTE_PGM_RSRC2:TGID_Y_EN: 0
; COMPUTE_PGM_RSRC2:TGID_Z_EN: 0
; COMPUTE_PGM_RSRC2:TIDIG_COMP_CNT: 0
	.section	.text._ZN7rocprim17ROCPRIM_400000_NS6detail17trampoline_kernelINS0_13select_configILj256ELj13ELNS0_17block_load_methodE3ELS4_3ELS4_3ELNS0_20block_scan_algorithmE0ELj4294967295EEENS1_25partition_config_selectorILNS1_17partition_subalgoE4EjNS0_10empty_typeEbEEZZNS1_14partition_implILS8_4ELb0ES6_15HIP_vector_typeIjLj2EENS0_17counting_iteratorIjlEEPS9_SG_NS0_5tupleIJPjSI_NS0_16reverse_iteratorISI_EEEEENSH_IJSG_SG_SG_EEES9_SI_JZNS1_25segmented_radix_sort_implINS0_14default_configELb0EPKaPaPKlPlN2at6native12_GLOBAL__N_18offset_tEEE10hipError_tPvRmT1_PNSt15iterator_traitsIS12_E10value_typeET2_T3_PNS13_IS18_E10value_typeET4_jRbjT5_S1E_jjP12ihipStream_tbEUljE_ZNSN_ISO_Lb0ESQ_SR_ST_SU_SY_EESZ_S10_S11_S12_S16_S17_S18_S1B_S1C_jS1D_jS1E_S1E_jjS1G_bEUljE0_EEESZ_S10_S11_S18_S1C_S1E_T6_T7_T9_mT8_S1G_bDpT10_ENKUlT_T0_E_clISt17integral_constantIbLb1EES1T_IbLb0EEEEDaS1P_S1Q_EUlS1P_E_NS1_11comp_targetILNS1_3genE9ELNS1_11target_archE1100ELNS1_3gpuE3ELNS1_3repE0EEENS1_30default_config_static_selectorELNS0_4arch9wavefront6targetE0EEEvS12_,"axG",@progbits,_ZN7rocprim17ROCPRIM_400000_NS6detail17trampoline_kernelINS0_13select_configILj256ELj13ELNS0_17block_load_methodE3ELS4_3ELS4_3ELNS0_20block_scan_algorithmE0ELj4294967295EEENS1_25partition_config_selectorILNS1_17partition_subalgoE4EjNS0_10empty_typeEbEEZZNS1_14partition_implILS8_4ELb0ES6_15HIP_vector_typeIjLj2EENS0_17counting_iteratorIjlEEPS9_SG_NS0_5tupleIJPjSI_NS0_16reverse_iteratorISI_EEEEENSH_IJSG_SG_SG_EEES9_SI_JZNS1_25segmented_radix_sort_implINS0_14default_configELb0EPKaPaPKlPlN2at6native12_GLOBAL__N_18offset_tEEE10hipError_tPvRmT1_PNSt15iterator_traitsIS12_E10value_typeET2_T3_PNS13_IS18_E10value_typeET4_jRbjT5_S1E_jjP12ihipStream_tbEUljE_ZNSN_ISO_Lb0ESQ_SR_ST_SU_SY_EESZ_S10_S11_S12_S16_S17_S18_S1B_S1C_jS1D_jS1E_S1E_jjS1G_bEUljE0_EEESZ_S10_S11_S18_S1C_S1E_T6_T7_T9_mT8_S1G_bDpT10_ENKUlT_T0_E_clISt17integral_constantIbLb1EES1T_IbLb0EEEEDaS1P_S1Q_EUlS1P_E_NS1_11comp_targetILNS1_3genE9ELNS1_11target_archE1100ELNS1_3gpuE3ELNS1_3repE0EEENS1_30default_config_static_selectorELNS0_4arch9wavefront6targetE0EEEvS12_,comdat
	.globl	_ZN7rocprim17ROCPRIM_400000_NS6detail17trampoline_kernelINS0_13select_configILj256ELj13ELNS0_17block_load_methodE3ELS4_3ELS4_3ELNS0_20block_scan_algorithmE0ELj4294967295EEENS1_25partition_config_selectorILNS1_17partition_subalgoE4EjNS0_10empty_typeEbEEZZNS1_14partition_implILS8_4ELb0ES6_15HIP_vector_typeIjLj2EENS0_17counting_iteratorIjlEEPS9_SG_NS0_5tupleIJPjSI_NS0_16reverse_iteratorISI_EEEEENSH_IJSG_SG_SG_EEES9_SI_JZNS1_25segmented_radix_sort_implINS0_14default_configELb0EPKaPaPKlPlN2at6native12_GLOBAL__N_18offset_tEEE10hipError_tPvRmT1_PNSt15iterator_traitsIS12_E10value_typeET2_T3_PNS13_IS18_E10value_typeET4_jRbjT5_S1E_jjP12ihipStream_tbEUljE_ZNSN_ISO_Lb0ESQ_SR_ST_SU_SY_EESZ_S10_S11_S12_S16_S17_S18_S1B_S1C_jS1D_jS1E_S1E_jjS1G_bEUljE0_EEESZ_S10_S11_S18_S1C_S1E_T6_T7_T9_mT8_S1G_bDpT10_ENKUlT_T0_E_clISt17integral_constantIbLb1EES1T_IbLb0EEEEDaS1P_S1Q_EUlS1P_E_NS1_11comp_targetILNS1_3genE9ELNS1_11target_archE1100ELNS1_3gpuE3ELNS1_3repE0EEENS1_30default_config_static_selectorELNS0_4arch9wavefront6targetE0EEEvS12_ ; -- Begin function _ZN7rocprim17ROCPRIM_400000_NS6detail17trampoline_kernelINS0_13select_configILj256ELj13ELNS0_17block_load_methodE3ELS4_3ELS4_3ELNS0_20block_scan_algorithmE0ELj4294967295EEENS1_25partition_config_selectorILNS1_17partition_subalgoE4EjNS0_10empty_typeEbEEZZNS1_14partition_implILS8_4ELb0ES6_15HIP_vector_typeIjLj2EENS0_17counting_iteratorIjlEEPS9_SG_NS0_5tupleIJPjSI_NS0_16reverse_iteratorISI_EEEEENSH_IJSG_SG_SG_EEES9_SI_JZNS1_25segmented_radix_sort_implINS0_14default_configELb0EPKaPaPKlPlN2at6native12_GLOBAL__N_18offset_tEEE10hipError_tPvRmT1_PNSt15iterator_traitsIS12_E10value_typeET2_T3_PNS13_IS18_E10value_typeET4_jRbjT5_S1E_jjP12ihipStream_tbEUljE_ZNSN_ISO_Lb0ESQ_SR_ST_SU_SY_EESZ_S10_S11_S12_S16_S17_S18_S1B_S1C_jS1D_jS1E_S1E_jjS1G_bEUljE0_EEESZ_S10_S11_S18_S1C_S1E_T6_T7_T9_mT8_S1G_bDpT10_ENKUlT_T0_E_clISt17integral_constantIbLb1EES1T_IbLb0EEEEDaS1P_S1Q_EUlS1P_E_NS1_11comp_targetILNS1_3genE9ELNS1_11target_archE1100ELNS1_3gpuE3ELNS1_3repE0EEENS1_30default_config_static_selectorELNS0_4arch9wavefront6targetE0EEEvS12_
	.p2align	8
	.type	_ZN7rocprim17ROCPRIM_400000_NS6detail17trampoline_kernelINS0_13select_configILj256ELj13ELNS0_17block_load_methodE3ELS4_3ELS4_3ELNS0_20block_scan_algorithmE0ELj4294967295EEENS1_25partition_config_selectorILNS1_17partition_subalgoE4EjNS0_10empty_typeEbEEZZNS1_14partition_implILS8_4ELb0ES6_15HIP_vector_typeIjLj2EENS0_17counting_iteratorIjlEEPS9_SG_NS0_5tupleIJPjSI_NS0_16reverse_iteratorISI_EEEEENSH_IJSG_SG_SG_EEES9_SI_JZNS1_25segmented_radix_sort_implINS0_14default_configELb0EPKaPaPKlPlN2at6native12_GLOBAL__N_18offset_tEEE10hipError_tPvRmT1_PNSt15iterator_traitsIS12_E10value_typeET2_T3_PNS13_IS18_E10value_typeET4_jRbjT5_S1E_jjP12ihipStream_tbEUljE_ZNSN_ISO_Lb0ESQ_SR_ST_SU_SY_EESZ_S10_S11_S12_S16_S17_S18_S1B_S1C_jS1D_jS1E_S1E_jjS1G_bEUljE0_EEESZ_S10_S11_S18_S1C_S1E_T6_T7_T9_mT8_S1G_bDpT10_ENKUlT_T0_E_clISt17integral_constantIbLb1EES1T_IbLb0EEEEDaS1P_S1Q_EUlS1P_E_NS1_11comp_targetILNS1_3genE9ELNS1_11target_archE1100ELNS1_3gpuE3ELNS1_3repE0EEENS1_30default_config_static_selectorELNS0_4arch9wavefront6targetE0EEEvS12_,@function
_ZN7rocprim17ROCPRIM_400000_NS6detail17trampoline_kernelINS0_13select_configILj256ELj13ELNS0_17block_load_methodE3ELS4_3ELS4_3ELNS0_20block_scan_algorithmE0ELj4294967295EEENS1_25partition_config_selectorILNS1_17partition_subalgoE4EjNS0_10empty_typeEbEEZZNS1_14partition_implILS8_4ELb0ES6_15HIP_vector_typeIjLj2EENS0_17counting_iteratorIjlEEPS9_SG_NS0_5tupleIJPjSI_NS0_16reverse_iteratorISI_EEEEENSH_IJSG_SG_SG_EEES9_SI_JZNS1_25segmented_radix_sort_implINS0_14default_configELb0EPKaPaPKlPlN2at6native12_GLOBAL__N_18offset_tEEE10hipError_tPvRmT1_PNSt15iterator_traitsIS12_E10value_typeET2_T3_PNS13_IS18_E10value_typeET4_jRbjT5_S1E_jjP12ihipStream_tbEUljE_ZNSN_ISO_Lb0ESQ_SR_ST_SU_SY_EESZ_S10_S11_S12_S16_S17_S18_S1B_S1C_jS1D_jS1E_S1E_jjS1G_bEUljE0_EEESZ_S10_S11_S18_S1C_S1E_T6_T7_T9_mT8_S1G_bDpT10_ENKUlT_T0_E_clISt17integral_constantIbLb1EES1T_IbLb0EEEEDaS1P_S1Q_EUlS1P_E_NS1_11comp_targetILNS1_3genE9ELNS1_11target_archE1100ELNS1_3gpuE3ELNS1_3repE0EEENS1_30default_config_static_selectorELNS0_4arch9wavefront6targetE0EEEvS12_: ; @_ZN7rocprim17ROCPRIM_400000_NS6detail17trampoline_kernelINS0_13select_configILj256ELj13ELNS0_17block_load_methodE3ELS4_3ELS4_3ELNS0_20block_scan_algorithmE0ELj4294967295EEENS1_25partition_config_selectorILNS1_17partition_subalgoE4EjNS0_10empty_typeEbEEZZNS1_14partition_implILS8_4ELb0ES6_15HIP_vector_typeIjLj2EENS0_17counting_iteratorIjlEEPS9_SG_NS0_5tupleIJPjSI_NS0_16reverse_iteratorISI_EEEEENSH_IJSG_SG_SG_EEES9_SI_JZNS1_25segmented_radix_sort_implINS0_14default_configELb0EPKaPaPKlPlN2at6native12_GLOBAL__N_18offset_tEEE10hipError_tPvRmT1_PNSt15iterator_traitsIS12_E10value_typeET2_T3_PNS13_IS18_E10value_typeET4_jRbjT5_S1E_jjP12ihipStream_tbEUljE_ZNSN_ISO_Lb0ESQ_SR_ST_SU_SY_EESZ_S10_S11_S12_S16_S17_S18_S1B_S1C_jS1D_jS1E_S1E_jjS1G_bEUljE0_EEESZ_S10_S11_S18_S1C_S1E_T6_T7_T9_mT8_S1G_bDpT10_ENKUlT_T0_E_clISt17integral_constantIbLb1EES1T_IbLb0EEEEDaS1P_S1Q_EUlS1P_E_NS1_11comp_targetILNS1_3genE9ELNS1_11target_archE1100ELNS1_3gpuE3ELNS1_3repE0EEENS1_30default_config_static_selectorELNS0_4arch9wavefront6targetE0EEEvS12_
; %bb.0:
	.section	.rodata,"a",@progbits
	.p2align	6, 0x0
	.amdhsa_kernel _ZN7rocprim17ROCPRIM_400000_NS6detail17trampoline_kernelINS0_13select_configILj256ELj13ELNS0_17block_load_methodE3ELS4_3ELS4_3ELNS0_20block_scan_algorithmE0ELj4294967295EEENS1_25partition_config_selectorILNS1_17partition_subalgoE4EjNS0_10empty_typeEbEEZZNS1_14partition_implILS8_4ELb0ES6_15HIP_vector_typeIjLj2EENS0_17counting_iteratorIjlEEPS9_SG_NS0_5tupleIJPjSI_NS0_16reverse_iteratorISI_EEEEENSH_IJSG_SG_SG_EEES9_SI_JZNS1_25segmented_radix_sort_implINS0_14default_configELb0EPKaPaPKlPlN2at6native12_GLOBAL__N_18offset_tEEE10hipError_tPvRmT1_PNSt15iterator_traitsIS12_E10value_typeET2_T3_PNS13_IS18_E10value_typeET4_jRbjT5_S1E_jjP12ihipStream_tbEUljE_ZNSN_ISO_Lb0ESQ_SR_ST_SU_SY_EESZ_S10_S11_S12_S16_S17_S18_S1B_S1C_jS1D_jS1E_S1E_jjS1G_bEUljE0_EEESZ_S10_S11_S18_S1C_S1E_T6_T7_T9_mT8_S1G_bDpT10_ENKUlT_T0_E_clISt17integral_constantIbLb1EES1T_IbLb0EEEEDaS1P_S1Q_EUlS1P_E_NS1_11comp_targetILNS1_3genE9ELNS1_11target_archE1100ELNS1_3gpuE3ELNS1_3repE0EEENS1_30default_config_static_selectorELNS0_4arch9wavefront6targetE0EEEvS12_
		.amdhsa_group_segment_fixed_size 0
		.amdhsa_private_segment_fixed_size 0
		.amdhsa_kernarg_size 176
		.amdhsa_user_sgpr_count 6
		.amdhsa_user_sgpr_private_segment_buffer 1
		.amdhsa_user_sgpr_dispatch_ptr 0
		.amdhsa_user_sgpr_queue_ptr 0
		.amdhsa_user_sgpr_kernarg_segment_ptr 1
		.amdhsa_user_sgpr_dispatch_id 0
		.amdhsa_user_sgpr_flat_scratch_init 0
		.amdhsa_user_sgpr_private_segment_size 0
		.amdhsa_wavefront_size32 1
		.amdhsa_uses_dynamic_stack 0
		.amdhsa_system_sgpr_private_segment_wavefront_offset 0
		.amdhsa_system_sgpr_workgroup_id_x 1
		.amdhsa_system_sgpr_workgroup_id_y 0
		.amdhsa_system_sgpr_workgroup_id_z 0
		.amdhsa_system_sgpr_workgroup_info 0
		.amdhsa_system_vgpr_workitem_id 0
		.amdhsa_next_free_vgpr 1
		.amdhsa_next_free_sgpr 1
		.amdhsa_reserve_vcc 0
		.amdhsa_reserve_flat_scratch 0
		.amdhsa_float_round_mode_32 0
		.amdhsa_float_round_mode_16_64 0
		.amdhsa_float_denorm_mode_32 3
		.amdhsa_float_denorm_mode_16_64 3
		.amdhsa_dx10_clamp 1
		.amdhsa_ieee_mode 1
		.amdhsa_fp16_overflow 0
		.amdhsa_workgroup_processor_mode 1
		.amdhsa_memory_ordered 1
		.amdhsa_forward_progress 1
		.amdhsa_shared_vgpr_count 0
		.amdhsa_exception_fp_ieee_invalid_op 0
		.amdhsa_exception_fp_denorm_src 0
		.amdhsa_exception_fp_ieee_div_zero 0
		.amdhsa_exception_fp_ieee_overflow 0
		.amdhsa_exception_fp_ieee_underflow 0
		.amdhsa_exception_fp_ieee_inexact 0
		.amdhsa_exception_int_div_zero 0
	.end_amdhsa_kernel
	.section	.text._ZN7rocprim17ROCPRIM_400000_NS6detail17trampoline_kernelINS0_13select_configILj256ELj13ELNS0_17block_load_methodE3ELS4_3ELS4_3ELNS0_20block_scan_algorithmE0ELj4294967295EEENS1_25partition_config_selectorILNS1_17partition_subalgoE4EjNS0_10empty_typeEbEEZZNS1_14partition_implILS8_4ELb0ES6_15HIP_vector_typeIjLj2EENS0_17counting_iteratorIjlEEPS9_SG_NS0_5tupleIJPjSI_NS0_16reverse_iteratorISI_EEEEENSH_IJSG_SG_SG_EEES9_SI_JZNS1_25segmented_radix_sort_implINS0_14default_configELb0EPKaPaPKlPlN2at6native12_GLOBAL__N_18offset_tEEE10hipError_tPvRmT1_PNSt15iterator_traitsIS12_E10value_typeET2_T3_PNS13_IS18_E10value_typeET4_jRbjT5_S1E_jjP12ihipStream_tbEUljE_ZNSN_ISO_Lb0ESQ_SR_ST_SU_SY_EESZ_S10_S11_S12_S16_S17_S18_S1B_S1C_jS1D_jS1E_S1E_jjS1G_bEUljE0_EEESZ_S10_S11_S18_S1C_S1E_T6_T7_T9_mT8_S1G_bDpT10_ENKUlT_T0_E_clISt17integral_constantIbLb1EES1T_IbLb0EEEEDaS1P_S1Q_EUlS1P_E_NS1_11comp_targetILNS1_3genE9ELNS1_11target_archE1100ELNS1_3gpuE3ELNS1_3repE0EEENS1_30default_config_static_selectorELNS0_4arch9wavefront6targetE0EEEvS12_,"axG",@progbits,_ZN7rocprim17ROCPRIM_400000_NS6detail17trampoline_kernelINS0_13select_configILj256ELj13ELNS0_17block_load_methodE3ELS4_3ELS4_3ELNS0_20block_scan_algorithmE0ELj4294967295EEENS1_25partition_config_selectorILNS1_17partition_subalgoE4EjNS0_10empty_typeEbEEZZNS1_14partition_implILS8_4ELb0ES6_15HIP_vector_typeIjLj2EENS0_17counting_iteratorIjlEEPS9_SG_NS0_5tupleIJPjSI_NS0_16reverse_iteratorISI_EEEEENSH_IJSG_SG_SG_EEES9_SI_JZNS1_25segmented_radix_sort_implINS0_14default_configELb0EPKaPaPKlPlN2at6native12_GLOBAL__N_18offset_tEEE10hipError_tPvRmT1_PNSt15iterator_traitsIS12_E10value_typeET2_T3_PNS13_IS18_E10value_typeET4_jRbjT5_S1E_jjP12ihipStream_tbEUljE_ZNSN_ISO_Lb0ESQ_SR_ST_SU_SY_EESZ_S10_S11_S12_S16_S17_S18_S1B_S1C_jS1D_jS1E_S1E_jjS1G_bEUljE0_EEESZ_S10_S11_S18_S1C_S1E_T6_T7_T9_mT8_S1G_bDpT10_ENKUlT_T0_E_clISt17integral_constantIbLb1EES1T_IbLb0EEEEDaS1P_S1Q_EUlS1P_E_NS1_11comp_targetILNS1_3genE9ELNS1_11target_archE1100ELNS1_3gpuE3ELNS1_3repE0EEENS1_30default_config_static_selectorELNS0_4arch9wavefront6targetE0EEEvS12_,comdat
.Lfunc_end348:
	.size	_ZN7rocprim17ROCPRIM_400000_NS6detail17trampoline_kernelINS0_13select_configILj256ELj13ELNS0_17block_load_methodE3ELS4_3ELS4_3ELNS0_20block_scan_algorithmE0ELj4294967295EEENS1_25partition_config_selectorILNS1_17partition_subalgoE4EjNS0_10empty_typeEbEEZZNS1_14partition_implILS8_4ELb0ES6_15HIP_vector_typeIjLj2EENS0_17counting_iteratorIjlEEPS9_SG_NS0_5tupleIJPjSI_NS0_16reverse_iteratorISI_EEEEENSH_IJSG_SG_SG_EEES9_SI_JZNS1_25segmented_radix_sort_implINS0_14default_configELb0EPKaPaPKlPlN2at6native12_GLOBAL__N_18offset_tEEE10hipError_tPvRmT1_PNSt15iterator_traitsIS12_E10value_typeET2_T3_PNS13_IS18_E10value_typeET4_jRbjT5_S1E_jjP12ihipStream_tbEUljE_ZNSN_ISO_Lb0ESQ_SR_ST_SU_SY_EESZ_S10_S11_S12_S16_S17_S18_S1B_S1C_jS1D_jS1E_S1E_jjS1G_bEUljE0_EEESZ_S10_S11_S18_S1C_S1E_T6_T7_T9_mT8_S1G_bDpT10_ENKUlT_T0_E_clISt17integral_constantIbLb1EES1T_IbLb0EEEEDaS1P_S1Q_EUlS1P_E_NS1_11comp_targetILNS1_3genE9ELNS1_11target_archE1100ELNS1_3gpuE3ELNS1_3repE0EEENS1_30default_config_static_selectorELNS0_4arch9wavefront6targetE0EEEvS12_, .Lfunc_end348-_ZN7rocprim17ROCPRIM_400000_NS6detail17trampoline_kernelINS0_13select_configILj256ELj13ELNS0_17block_load_methodE3ELS4_3ELS4_3ELNS0_20block_scan_algorithmE0ELj4294967295EEENS1_25partition_config_selectorILNS1_17partition_subalgoE4EjNS0_10empty_typeEbEEZZNS1_14partition_implILS8_4ELb0ES6_15HIP_vector_typeIjLj2EENS0_17counting_iteratorIjlEEPS9_SG_NS0_5tupleIJPjSI_NS0_16reverse_iteratorISI_EEEEENSH_IJSG_SG_SG_EEES9_SI_JZNS1_25segmented_radix_sort_implINS0_14default_configELb0EPKaPaPKlPlN2at6native12_GLOBAL__N_18offset_tEEE10hipError_tPvRmT1_PNSt15iterator_traitsIS12_E10value_typeET2_T3_PNS13_IS18_E10value_typeET4_jRbjT5_S1E_jjP12ihipStream_tbEUljE_ZNSN_ISO_Lb0ESQ_SR_ST_SU_SY_EESZ_S10_S11_S12_S16_S17_S18_S1B_S1C_jS1D_jS1E_S1E_jjS1G_bEUljE0_EEESZ_S10_S11_S18_S1C_S1E_T6_T7_T9_mT8_S1G_bDpT10_ENKUlT_T0_E_clISt17integral_constantIbLb1EES1T_IbLb0EEEEDaS1P_S1Q_EUlS1P_E_NS1_11comp_targetILNS1_3genE9ELNS1_11target_archE1100ELNS1_3gpuE3ELNS1_3repE0EEENS1_30default_config_static_selectorELNS0_4arch9wavefront6targetE0EEEvS12_
                                        ; -- End function
	.set _ZN7rocprim17ROCPRIM_400000_NS6detail17trampoline_kernelINS0_13select_configILj256ELj13ELNS0_17block_load_methodE3ELS4_3ELS4_3ELNS0_20block_scan_algorithmE0ELj4294967295EEENS1_25partition_config_selectorILNS1_17partition_subalgoE4EjNS0_10empty_typeEbEEZZNS1_14partition_implILS8_4ELb0ES6_15HIP_vector_typeIjLj2EENS0_17counting_iteratorIjlEEPS9_SG_NS0_5tupleIJPjSI_NS0_16reverse_iteratorISI_EEEEENSH_IJSG_SG_SG_EEES9_SI_JZNS1_25segmented_radix_sort_implINS0_14default_configELb0EPKaPaPKlPlN2at6native12_GLOBAL__N_18offset_tEEE10hipError_tPvRmT1_PNSt15iterator_traitsIS12_E10value_typeET2_T3_PNS13_IS18_E10value_typeET4_jRbjT5_S1E_jjP12ihipStream_tbEUljE_ZNSN_ISO_Lb0ESQ_SR_ST_SU_SY_EESZ_S10_S11_S12_S16_S17_S18_S1B_S1C_jS1D_jS1E_S1E_jjS1G_bEUljE0_EEESZ_S10_S11_S18_S1C_S1E_T6_T7_T9_mT8_S1G_bDpT10_ENKUlT_T0_E_clISt17integral_constantIbLb1EES1T_IbLb0EEEEDaS1P_S1Q_EUlS1P_E_NS1_11comp_targetILNS1_3genE9ELNS1_11target_archE1100ELNS1_3gpuE3ELNS1_3repE0EEENS1_30default_config_static_selectorELNS0_4arch9wavefront6targetE0EEEvS12_.num_vgpr, 0
	.set _ZN7rocprim17ROCPRIM_400000_NS6detail17trampoline_kernelINS0_13select_configILj256ELj13ELNS0_17block_load_methodE3ELS4_3ELS4_3ELNS0_20block_scan_algorithmE0ELj4294967295EEENS1_25partition_config_selectorILNS1_17partition_subalgoE4EjNS0_10empty_typeEbEEZZNS1_14partition_implILS8_4ELb0ES6_15HIP_vector_typeIjLj2EENS0_17counting_iteratorIjlEEPS9_SG_NS0_5tupleIJPjSI_NS0_16reverse_iteratorISI_EEEEENSH_IJSG_SG_SG_EEES9_SI_JZNS1_25segmented_radix_sort_implINS0_14default_configELb0EPKaPaPKlPlN2at6native12_GLOBAL__N_18offset_tEEE10hipError_tPvRmT1_PNSt15iterator_traitsIS12_E10value_typeET2_T3_PNS13_IS18_E10value_typeET4_jRbjT5_S1E_jjP12ihipStream_tbEUljE_ZNSN_ISO_Lb0ESQ_SR_ST_SU_SY_EESZ_S10_S11_S12_S16_S17_S18_S1B_S1C_jS1D_jS1E_S1E_jjS1G_bEUljE0_EEESZ_S10_S11_S18_S1C_S1E_T6_T7_T9_mT8_S1G_bDpT10_ENKUlT_T0_E_clISt17integral_constantIbLb1EES1T_IbLb0EEEEDaS1P_S1Q_EUlS1P_E_NS1_11comp_targetILNS1_3genE9ELNS1_11target_archE1100ELNS1_3gpuE3ELNS1_3repE0EEENS1_30default_config_static_selectorELNS0_4arch9wavefront6targetE0EEEvS12_.num_agpr, 0
	.set _ZN7rocprim17ROCPRIM_400000_NS6detail17trampoline_kernelINS0_13select_configILj256ELj13ELNS0_17block_load_methodE3ELS4_3ELS4_3ELNS0_20block_scan_algorithmE0ELj4294967295EEENS1_25partition_config_selectorILNS1_17partition_subalgoE4EjNS0_10empty_typeEbEEZZNS1_14partition_implILS8_4ELb0ES6_15HIP_vector_typeIjLj2EENS0_17counting_iteratorIjlEEPS9_SG_NS0_5tupleIJPjSI_NS0_16reverse_iteratorISI_EEEEENSH_IJSG_SG_SG_EEES9_SI_JZNS1_25segmented_radix_sort_implINS0_14default_configELb0EPKaPaPKlPlN2at6native12_GLOBAL__N_18offset_tEEE10hipError_tPvRmT1_PNSt15iterator_traitsIS12_E10value_typeET2_T3_PNS13_IS18_E10value_typeET4_jRbjT5_S1E_jjP12ihipStream_tbEUljE_ZNSN_ISO_Lb0ESQ_SR_ST_SU_SY_EESZ_S10_S11_S12_S16_S17_S18_S1B_S1C_jS1D_jS1E_S1E_jjS1G_bEUljE0_EEESZ_S10_S11_S18_S1C_S1E_T6_T7_T9_mT8_S1G_bDpT10_ENKUlT_T0_E_clISt17integral_constantIbLb1EES1T_IbLb0EEEEDaS1P_S1Q_EUlS1P_E_NS1_11comp_targetILNS1_3genE9ELNS1_11target_archE1100ELNS1_3gpuE3ELNS1_3repE0EEENS1_30default_config_static_selectorELNS0_4arch9wavefront6targetE0EEEvS12_.numbered_sgpr, 0
	.set _ZN7rocprim17ROCPRIM_400000_NS6detail17trampoline_kernelINS0_13select_configILj256ELj13ELNS0_17block_load_methodE3ELS4_3ELS4_3ELNS0_20block_scan_algorithmE0ELj4294967295EEENS1_25partition_config_selectorILNS1_17partition_subalgoE4EjNS0_10empty_typeEbEEZZNS1_14partition_implILS8_4ELb0ES6_15HIP_vector_typeIjLj2EENS0_17counting_iteratorIjlEEPS9_SG_NS0_5tupleIJPjSI_NS0_16reverse_iteratorISI_EEEEENSH_IJSG_SG_SG_EEES9_SI_JZNS1_25segmented_radix_sort_implINS0_14default_configELb0EPKaPaPKlPlN2at6native12_GLOBAL__N_18offset_tEEE10hipError_tPvRmT1_PNSt15iterator_traitsIS12_E10value_typeET2_T3_PNS13_IS18_E10value_typeET4_jRbjT5_S1E_jjP12ihipStream_tbEUljE_ZNSN_ISO_Lb0ESQ_SR_ST_SU_SY_EESZ_S10_S11_S12_S16_S17_S18_S1B_S1C_jS1D_jS1E_S1E_jjS1G_bEUljE0_EEESZ_S10_S11_S18_S1C_S1E_T6_T7_T9_mT8_S1G_bDpT10_ENKUlT_T0_E_clISt17integral_constantIbLb1EES1T_IbLb0EEEEDaS1P_S1Q_EUlS1P_E_NS1_11comp_targetILNS1_3genE9ELNS1_11target_archE1100ELNS1_3gpuE3ELNS1_3repE0EEENS1_30default_config_static_selectorELNS0_4arch9wavefront6targetE0EEEvS12_.num_named_barrier, 0
	.set _ZN7rocprim17ROCPRIM_400000_NS6detail17trampoline_kernelINS0_13select_configILj256ELj13ELNS0_17block_load_methodE3ELS4_3ELS4_3ELNS0_20block_scan_algorithmE0ELj4294967295EEENS1_25partition_config_selectorILNS1_17partition_subalgoE4EjNS0_10empty_typeEbEEZZNS1_14partition_implILS8_4ELb0ES6_15HIP_vector_typeIjLj2EENS0_17counting_iteratorIjlEEPS9_SG_NS0_5tupleIJPjSI_NS0_16reverse_iteratorISI_EEEEENSH_IJSG_SG_SG_EEES9_SI_JZNS1_25segmented_radix_sort_implINS0_14default_configELb0EPKaPaPKlPlN2at6native12_GLOBAL__N_18offset_tEEE10hipError_tPvRmT1_PNSt15iterator_traitsIS12_E10value_typeET2_T3_PNS13_IS18_E10value_typeET4_jRbjT5_S1E_jjP12ihipStream_tbEUljE_ZNSN_ISO_Lb0ESQ_SR_ST_SU_SY_EESZ_S10_S11_S12_S16_S17_S18_S1B_S1C_jS1D_jS1E_S1E_jjS1G_bEUljE0_EEESZ_S10_S11_S18_S1C_S1E_T6_T7_T9_mT8_S1G_bDpT10_ENKUlT_T0_E_clISt17integral_constantIbLb1EES1T_IbLb0EEEEDaS1P_S1Q_EUlS1P_E_NS1_11comp_targetILNS1_3genE9ELNS1_11target_archE1100ELNS1_3gpuE3ELNS1_3repE0EEENS1_30default_config_static_selectorELNS0_4arch9wavefront6targetE0EEEvS12_.private_seg_size, 0
	.set _ZN7rocprim17ROCPRIM_400000_NS6detail17trampoline_kernelINS0_13select_configILj256ELj13ELNS0_17block_load_methodE3ELS4_3ELS4_3ELNS0_20block_scan_algorithmE0ELj4294967295EEENS1_25partition_config_selectorILNS1_17partition_subalgoE4EjNS0_10empty_typeEbEEZZNS1_14partition_implILS8_4ELb0ES6_15HIP_vector_typeIjLj2EENS0_17counting_iteratorIjlEEPS9_SG_NS0_5tupleIJPjSI_NS0_16reverse_iteratorISI_EEEEENSH_IJSG_SG_SG_EEES9_SI_JZNS1_25segmented_radix_sort_implINS0_14default_configELb0EPKaPaPKlPlN2at6native12_GLOBAL__N_18offset_tEEE10hipError_tPvRmT1_PNSt15iterator_traitsIS12_E10value_typeET2_T3_PNS13_IS18_E10value_typeET4_jRbjT5_S1E_jjP12ihipStream_tbEUljE_ZNSN_ISO_Lb0ESQ_SR_ST_SU_SY_EESZ_S10_S11_S12_S16_S17_S18_S1B_S1C_jS1D_jS1E_S1E_jjS1G_bEUljE0_EEESZ_S10_S11_S18_S1C_S1E_T6_T7_T9_mT8_S1G_bDpT10_ENKUlT_T0_E_clISt17integral_constantIbLb1EES1T_IbLb0EEEEDaS1P_S1Q_EUlS1P_E_NS1_11comp_targetILNS1_3genE9ELNS1_11target_archE1100ELNS1_3gpuE3ELNS1_3repE0EEENS1_30default_config_static_selectorELNS0_4arch9wavefront6targetE0EEEvS12_.uses_vcc, 0
	.set _ZN7rocprim17ROCPRIM_400000_NS6detail17trampoline_kernelINS0_13select_configILj256ELj13ELNS0_17block_load_methodE3ELS4_3ELS4_3ELNS0_20block_scan_algorithmE0ELj4294967295EEENS1_25partition_config_selectorILNS1_17partition_subalgoE4EjNS0_10empty_typeEbEEZZNS1_14partition_implILS8_4ELb0ES6_15HIP_vector_typeIjLj2EENS0_17counting_iteratorIjlEEPS9_SG_NS0_5tupleIJPjSI_NS0_16reverse_iteratorISI_EEEEENSH_IJSG_SG_SG_EEES9_SI_JZNS1_25segmented_radix_sort_implINS0_14default_configELb0EPKaPaPKlPlN2at6native12_GLOBAL__N_18offset_tEEE10hipError_tPvRmT1_PNSt15iterator_traitsIS12_E10value_typeET2_T3_PNS13_IS18_E10value_typeET4_jRbjT5_S1E_jjP12ihipStream_tbEUljE_ZNSN_ISO_Lb0ESQ_SR_ST_SU_SY_EESZ_S10_S11_S12_S16_S17_S18_S1B_S1C_jS1D_jS1E_S1E_jjS1G_bEUljE0_EEESZ_S10_S11_S18_S1C_S1E_T6_T7_T9_mT8_S1G_bDpT10_ENKUlT_T0_E_clISt17integral_constantIbLb1EES1T_IbLb0EEEEDaS1P_S1Q_EUlS1P_E_NS1_11comp_targetILNS1_3genE9ELNS1_11target_archE1100ELNS1_3gpuE3ELNS1_3repE0EEENS1_30default_config_static_selectorELNS0_4arch9wavefront6targetE0EEEvS12_.uses_flat_scratch, 0
	.set _ZN7rocprim17ROCPRIM_400000_NS6detail17trampoline_kernelINS0_13select_configILj256ELj13ELNS0_17block_load_methodE3ELS4_3ELS4_3ELNS0_20block_scan_algorithmE0ELj4294967295EEENS1_25partition_config_selectorILNS1_17partition_subalgoE4EjNS0_10empty_typeEbEEZZNS1_14partition_implILS8_4ELb0ES6_15HIP_vector_typeIjLj2EENS0_17counting_iteratorIjlEEPS9_SG_NS0_5tupleIJPjSI_NS0_16reverse_iteratorISI_EEEEENSH_IJSG_SG_SG_EEES9_SI_JZNS1_25segmented_radix_sort_implINS0_14default_configELb0EPKaPaPKlPlN2at6native12_GLOBAL__N_18offset_tEEE10hipError_tPvRmT1_PNSt15iterator_traitsIS12_E10value_typeET2_T3_PNS13_IS18_E10value_typeET4_jRbjT5_S1E_jjP12ihipStream_tbEUljE_ZNSN_ISO_Lb0ESQ_SR_ST_SU_SY_EESZ_S10_S11_S12_S16_S17_S18_S1B_S1C_jS1D_jS1E_S1E_jjS1G_bEUljE0_EEESZ_S10_S11_S18_S1C_S1E_T6_T7_T9_mT8_S1G_bDpT10_ENKUlT_T0_E_clISt17integral_constantIbLb1EES1T_IbLb0EEEEDaS1P_S1Q_EUlS1P_E_NS1_11comp_targetILNS1_3genE9ELNS1_11target_archE1100ELNS1_3gpuE3ELNS1_3repE0EEENS1_30default_config_static_selectorELNS0_4arch9wavefront6targetE0EEEvS12_.has_dyn_sized_stack, 0
	.set _ZN7rocprim17ROCPRIM_400000_NS6detail17trampoline_kernelINS0_13select_configILj256ELj13ELNS0_17block_load_methodE3ELS4_3ELS4_3ELNS0_20block_scan_algorithmE0ELj4294967295EEENS1_25partition_config_selectorILNS1_17partition_subalgoE4EjNS0_10empty_typeEbEEZZNS1_14partition_implILS8_4ELb0ES6_15HIP_vector_typeIjLj2EENS0_17counting_iteratorIjlEEPS9_SG_NS0_5tupleIJPjSI_NS0_16reverse_iteratorISI_EEEEENSH_IJSG_SG_SG_EEES9_SI_JZNS1_25segmented_radix_sort_implINS0_14default_configELb0EPKaPaPKlPlN2at6native12_GLOBAL__N_18offset_tEEE10hipError_tPvRmT1_PNSt15iterator_traitsIS12_E10value_typeET2_T3_PNS13_IS18_E10value_typeET4_jRbjT5_S1E_jjP12ihipStream_tbEUljE_ZNSN_ISO_Lb0ESQ_SR_ST_SU_SY_EESZ_S10_S11_S12_S16_S17_S18_S1B_S1C_jS1D_jS1E_S1E_jjS1G_bEUljE0_EEESZ_S10_S11_S18_S1C_S1E_T6_T7_T9_mT8_S1G_bDpT10_ENKUlT_T0_E_clISt17integral_constantIbLb1EES1T_IbLb0EEEEDaS1P_S1Q_EUlS1P_E_NS1_11comp_targetILNS1_3genE9ELNS1_11target_archE1100ELNS1_3gpuE3ELNS1_3repE0EEENS1_30default_config_static_selectorELNS0_4arch9wavefront6targetE0EEEvS12_.has_recursion, 0
	.set _ZN7rocprim17ROCPRIM_400000_NS6detail17trampoline_kernelINS0_13select_configILj256ELj13ELNS0_17block_load_methodE3ELS4_3ELS4_3ELNS0_20block_scan_algorithmE0ELj4294967295EEENS1_25partition_config_selectorILNS1_17partition_subalgoE4EjNS0_10empty_typeEbEEZZNS1_14partition_implILS8_4ELb0ES6_15HIP_vector_typeIjLj2EENS0_17counting_iteratorIjlEEPS9_SG_NS0_5tupleIJPjSI_NS0_16reverse_iteratorISI_EEEEENSH_IJSG_SG_SG_EEES9_SI_JZNS1_25segmented_radix_sort_implINS0_14default_configELb0EPKaPaPKlPlN2at6native12_GLOBAL__N_18offset_tEEE10hipError_tPvRmT1_PNSt15iterator_traitsIS12_E10value_typeET2_T3_PNS13_IS18_E10value_typeET4_jRbjT5_S1E_jjP12ihipStream_tbEUljE_ZNSN_ISO_Lb0ESQ_SR_ST_SU_SY_EESZ_S10_S11_S12_S16_S17_S18_S1B_S1C_jS1D_jS1E_S1E_jjS1G_bEUljE0_EEESZ_S10_S11_S18_S1C_S1E_T6_T7_T9_mT8_S1G_bDpT10_ENKUlT_T0_E_clISt17integral_constantIbLb1EES1T_IbLb0EEEEDaS1P_S1Q_EUlS1P_E_NS1_11comp_targetILNS1_3genE9ELNS1_11target_archE1100ELNS1_3gpuE3ELNS1_3repE0EEENS1_30default_config_static_selectorELNS0_4arch9wavefront6targetE0EEEvS12_.has_indirect_call, 0
	.section	.AMDGPU.csdata,"",@progbits
; Kernel info:
; codeLenInByte = 0
; TotalNumSgprs: 0
; NumVgprs: 0
; ScratchSize: 0
; MemoryBound: 0
; FloatMode: 240
; IeeeMode: 1
; LDSByteSize: 0 bytes/workgroup (compile time only)
; SGPRBlocks: 0
; VGPRBlocks: 0
; NumSGPRsForWavesPerEU: 1
; NumVGPRsForWavesPerEU: 1
; Occupancy: 16
; WaveLimiterHint : 0
; COMPUTE_PGM_RSRC2:SCRATCH_EN: 0
; COMPUTE_PGM_RSRC2:USER_SGPR: 6
; COMPUTE_PGM_RSRC2:TRAP_HANDLER: 0
; COMPUTE_PGM_RSRC2:TGID_X_EN: 1
; COMPUTE_PGM_RSRC2:TGID_Y_EN: 0
; COMPUTE_PGM_RSRC2:TGID_Z_EN: 0
; COMPUTE_PGM_RSRC2:TIDIG_COMP_CNT: 0
	.section	.text._ZN7rocprim17ROCPRIM_400000_NS6detail17trampoline_kernelINS0_13select_configILj256ELj13ELNS0_17block_load_methodE3ELS4_3ELS4_3ELNS0_20block_scan_algorithmE0ELj4294967295EEENS1_25partition_config_selectorILNS1_17partition_subalgoE4EjNS0_10empty_typeEbEEZZNS1_14partition_implILS8_4ELb0ES6_15HIP_vector_typeIjLj2EENS0_17counting_iteratorIjlEEPS9_SG_NS0_5tupleIJPjSI_NS0_16reverse_iteratorISI_EEEEENSH_IJSG_SG_SG_EEES9_SI_JZNS1_25segmented_radix_sort_implINS0_14default_configELb0EPKaPaPKlPlN2at6native12_GLOBAL__N_18offset_tEEE10hipError_tPvRmT1_PNSt15iterator_traitsIS12_E10value_typeET2_T3_PNS13_IS18_E10value_typeET4_jRbjT5_S1E_jjP12ihipStream_tbEUljE_ZNSN_ISO_Lb0ESQ_SR_ST_SU_SY_EESZ_S10_S11_S12_S16_S17_S18_S1B_S1C_jS1D_jS1E_S1E_jjS1G_bEUljE0_EEESZ_S10_S11_S18_S1C_S1E_T6_T7_T9_mT8_S1G_bDpT10_ENKUlT_T0_E_clISt17integral_constantIbLb1EES1T_IbLb0EEEEDaS1P_S1Q_EUlS1P_E_NS1_11comp_targetILNS1_3genE8ELNS1_11target_archE1030ELNS1_3gpuE2ELNS1_3repE0EEENS1_30default_config_static_selectorELNS0_4arch9wavefront6targetE0EEEvS12_,"axG",@progbits,_ZN7rocprim17ROCPRIM_400000_NS6detail17trampoline_kernelINS0_13select_configILj256ELj13ELNS0_17block_load_methodE3ELS4_3ELS4_3ELNS0_20block_scan_algorithmE0ELj4294967295EEENS1_25partition_config_selectorILNS1_17partition_subalgoE4EjNS0_10empty_typeEbEEZZNS1_14partition_implILS8_4ELb0ES6_15HIP_vector_typeIjLj2EENS0_17counting_iteratorIjlEEPS9_SG_NS0_5tupleIJPjSI_NS0_16reverse_iteratorISI_EEEEENSH_IJSG_SG_SG_EEES9_SI_JZNS1_25segmented_radix_sort_implINS0_14default_configELb0EPKaPaPKlPlN2at6native12_GLOBAL__N_18offset_tEEE10hipError_tPvRmT1_PNSt15iterator_traitsIS12_E10value_typeET2_T3_PNS13_IS18_E10value_typeET4_jRbjT5_S1E_jjP12ihipStream_tbEUljE_ZNSN_ISO_Lb0ESQ_SR_ST_SU_SY_EESZ_S10_S11_S12_S16_S17_S18_S1B_S1C_jS1D_jS1E_S1E_jjS1G_bEUljE0_EEESZ_S10_S11_S18_S1C_S1E_T6_T7_T9_mT8_S1G_bDpT10_ENKUlT_T0_E_clISt17integral_constantIbLb1EES1T_IbLb0EEEEDaS1P_S1Q_EUlS1P_E_NS1_11comp_targetILNS1_3genE8ELNS1_11target_archE1030ELNS1_3gpuE2ELNS1_3repE0EEENS1_30default_config_static_selectorELNS0_4arch9wavefront6targetE0EEEvS12_,comdat
	.globl	_ZN7rocprim17ROCPRIM_400000_NS6detail17trampoline_kernelINS0_13select_configILj256ELj13ELNS0_17block_load_methodE3ELS4_3ELS4_3ELNS0_20block_scan_algorithmE0ELj4294967295EEENS1_25partition_config_selectorILNS1_17partition_subalgoE4EjNS0_10empty_typeEbEEZZNS1_14partition_implILS8_4ELb0ES6_15HIP_vector_typeIjLj2EENS0_17counting_iteratorIjlEEPS9_SG_NS0_5tupleIJPjSI_NS0_16reverse_iteratorISI_EEEEENSH_IJSG_SG_SG_EEES9_SI_JZNS1_25segmented_radix_sort_implINS0_14default_configELb0EPKaPaPKlPlN2at6native12_GLOBAL__N_18offset_tEEE10hipError_tPvRmT1_PNSt15iterator_traitsIS12_E10value_typeET2_T3_PNS13_IS18_E10value_typeET4_jRbjT5_S1E_jjP12ihipStream_tbEUljE_ZNSN_ISO_Lb0ESQ_SR_ST_SU_SY_EESZ_S10_S11_S12_S16_S17_S18_S1B_S1C_jS1D_jS1E_S1E_jjS1G_bEUljE0_EEESZ_S10_S11_S18_S1C_S1E_T6_T7_T9_mT8_S1G_bDpT10_ENKUlT_T0_E_clISt17integral_constantIbLb1EES1T_IbLb0EEEEDaS1P_S1Q_EUlS1P_E_NS1_11comp_targetILNS1_3genE8ELNS1_11target_archE1030ELNS1_3gpuE2ELNS1_3repE0EEENS1_30default_config_static_selectorELNS0_4arch9wavefront6targetE0EEEvS12_ ; -- Begin function _ZN7rocprim17ROCPRIM_400000_NS6detail17trampoline_kernelINS0_13select_configILj256ELj13ELNS0_17block_load_methodE3ELS4_3ELS4_3ELNS0_20block_scan_algorithmE0ELj4294967295EEENS1_25partition_config_selectorILNS1_17partition_subalgoE4EjNS0_10empty_typeEbEEZZNS1_14partition_implILS8_4ELb0ES6_15HIP_vector_typeIjLj2EENS0_17counting_iteratorIjlEEPS9_SG_NS0_5tupleIJPjSI_NS0_16reverse_iteratorISI_EEEEENSH_IJSG_SG_SG_EEES9_SI_JZNS1_25segmented_radix_sort_implINS0_14default_configELb0EPKaPaPKlPlN2at6native12_GLOBAL__N_18offset_tEEE10hipError_tPvRmT1_PNSt15iterator_traitsIS12_E10value_typeET2_T3_PNS13_IS18_E10value_typeET4_jRbjT5_S1E_jjP12ihipStream_tbEUljE_ZNSN_ISO_Lb0ESQ_SR_ST_SU_SY_EESZ_S10_S11_S12_S16_S17_S18_S1B_S1C_jS1D_jS1E_S1E_jjS1G_bEUljE0_EEESZ_S10_S11_S18_S1C_S1E_T6_T7_T9_mT8_S1G_bDpT10_ENKUlT_T0_E_clISt17integral_constantIbLb1EES1T_IbLb0EEEEDaS1P_S1Q_EUlS1P_E_NS1_11comp_targetILNS1_3genE8ELNS1_11target_archE1030ELNS1_3gpuE2ELNS1_3repE0EEENS1_30default_config_static_selectorELNS0_4arch9wavefront6targetE0EEEvS12_
	.p2align	8
	.type	_ZN7rocprim17ROCPRIM_400000_NS6detail17trampoline_kernelINS0_13select_configILj256ELj13ELNS0_17block_load_methodE3ELS4_3ELS4_3ELNS0_20block_scan_algorithmE0ELj4294967295EEENS1_25partition_config_selectorILNS1_17partition_subalgoE4EjNS0_10empty_typeEbEEZZNS1_14partition_implILS8_4ELb0ES6_15HIP_vector_typeIjLj2EENS0_17counting_iteratorIjlEEPS9_SG_NS0_5tupleIJPjSI_NS0_16reverse_iteratorISI_EEEEENSH_IJSG_SG_SG_EEES9_SI_JZNS1_25segmented_radix_sort_implINS0_14default_configELb0EPKaPaPKlPlN2at6native12_GLOBAL__N_18offset_tEEE10hipError_tPvRmT1_PNSt15iterator_traitsIS12_E10value_typeET2_T3_PNS13_IS18_E10value_typeET4_jRbjT5_S1E_jjP12ihipStream_tbEUljE_ZNSN_ISO_Lb0ESQ_SR_ST_SU_SY_EESZ_S10_S11_S12_S16_S17_S18_S1B_S1C_jS1D_jS1E_S1E_jjS1G_bEUljE0_EEESZ_S10_S11_S18_S1C_S1E_T6_T7_T9_mT8_S1G_bDpT10_ENKUlT_T0_E_clISt17integral_constantIbLb1EES1T_IbLb0EEEEDaS1P_S1Q_EUlS1P_E_NS1_11comp_targetILNS1_3genE8ELNS1_11target_archE1030ELNS1_3gpuE2ELNS1_3repE0EEENS1_30default_config_static_selectorELNS0_4arch9wavefront6targetE0EEEvS12_,@function
_ZN7rocprim17ROCPRIM_400000_NS6detail17trampoline_kernelINS0_13select_configILj256ELj13ELNS0_17block_load_methodE3ELS4_3ELS4_3ELNS0_20block_scan_algorithmE0ELj4294967295EEENS1_25partition_config_selectorILNS1_17partition_subalgoE4EjNS0_10empty_typeEbEEZZNS1_14partition_implILS8_4ELb0ES6_15HIP_vector_typeIjLj2EENS0_17counting_iteratorIjlEEPS9_SG_NS0_5tupleIJPjSI_NS0_16reverse_iteratorISI_EEEEENSH_IJSG_SG_SG_EEES9_SI_JZNS1_25segmented_radix_sort_implINS0_14default_configELb0EPKaPaPKlPlN2at6native12_GLOBAL__N_18offset_tEEE10hipError_tPvRmT1_PNSt15iterator_traitsIS12_E10value_typeET2_T3_PNS13_IS18_E10value_typeET4_jRbjT5_S1E_jjP12ihipStream_tbEUljE_ZNSN_ISO_Lb0ESQ_SR_ST_SU_SY_EESZ_S10_S11_S12_S16_S17_S18_S1B_S1C_jS1D_jS1E_S1E_jjS1G_bEUljE0_EEESZ_S10_S11_S18_S1C_S1E_T6_T7_T9_mT8_S1G_bDpT10_ENKUlT_T0_E_clISt17integral_constantIbLb1EES1T_IbLb0EEEEDaS1P_S1Q_EUlS1P_E_NS1_11comp_targetILNS1_3genE8ELNS1_11target_archE1030ELNS1_3gpuE2ELNS1_3repE0EEENS1_30default_config_static_selectorELNS0_4arch9wavefront6targetE0EEEvS12_: ; @_ZN7rocprim17ROCPRIM_400000_NS6detail17trampoline_kernelINS0_13select_configILj256ELj13ELNS0_17block_load_methodE3ELS4_3ELS4_3ELNS0_20block_scan_algorithmE0ELj4294967295EEENS1_25partition_config_selectorILNS1_17partition_subalgoE4EjNS0_10empty_typeEbEEZZNS1_14partition_implILS8_4ELb0ES6_15HIP_vector_typeIjLj2EENS0_17counting_iteratorIjlEEPS9_SG_NS0_5tupleIJPjSI_NS0_16reverse_iteratorISI_EEEEENSH_IJSG_SG_SG_EEES9_SI_JZNS1_25segmented_radix_sort_implINS0_14default_configELb0EPKaPaPKlPlN2at6native12_GLOBAL__N_18offset_tEEE10hipError_tPvRmT1_PNSt15iterator_traitsIS12_E10value_typeET2_T3_PNS13_IS18_E10value_typeET4_jRbjT5_S1E_jjP12ihipStream_tbEUljE_ZNSN_ISO_Lb0ESQ_SR_ST_SU_SY_EESZ_S10_S11_S12_S16_S17_S18_S1B_S1C_jS1D_jS1E_S1E_jjS1G_bEUljE0_EEESZ_S10_S11_S18_S1C_S1E_T6_T7_T9_mT8_S1G_bDpT10_ENKUlT_T0_E_clISt17integral_constantIbLb1EES1T_IbLb0EEEEDaS1P_S1Q_EUlS1P_E_NS1_11comp_targetILNS1_3genE8ELNS1_11target_archE1030ELNS1_3gpuE2ELNS1_3repE0EEENS1_30default_config_static_selectorELNS0_4arch9wavefront6targetE0EEEvS12_
; %bb.0:
	s_endpgm
	.section	.rodata,"a",@progbits
	.p2align	6, 0x0
	.amdhsa_kernel _ZN7rocprim17ROCPRIM_400000_NS6detail17trampoline_kernelINS0_13select_configILj256ELj13ELNS0_17block_load_methodE3ELS4_3ELS4_3ELNS0_20block_scan_algorithmE0ELj4294967295EEENS1_25partition_config_selectorILNS1_17partition_subalgoE4EjNS0_10empty_typeEbEEZZNS1_14partition_implILS8_4ELb0ES6_15HIP_vector_typeIjLj2EENS0_17counting_iteratorIjlEEPS9_SG_NS0_5tupleIJPjSI_NS0_16reverse_iteratorISI_EEEEENSH_IJSG_SG_SG_EEES9_SI_JZNS1_25segmented_radix_sort_implINS0_14default_configELb0EPKaPaPKlPlN2at6native12_GLOBAL__N_18offset_tEEE10hipError_tPvRmT1_PNSt15iterator_traitsIS12_E10value_typeET2_T3_PNS13_IS18_E10value_typeET4_jRbjT5_S1E_jjP12ihipStream_tbEUljE_ZNSN_ISO_Lb0ESQ_SR_ST_SU_SY_EESZ_S10_S11_S12_S16_S17_S18_S1B_S1C_jS1D_jS1E_S1E_jjS1G_bEUljE0_EEESZ_S10_S11_S18_S1C_S1E_T6_T7_T9_mT8_S1G_bDpT10_ENKUlT_T0_E_clISt17integral_constantIbLb1EES1T_IbLb0EEEEDaS1P_S1Q_EUlS1P_E_NS1_11comp_targetILNS1_3genE8ELNS1_11target_archE1030ELNS1_3gpuE2ELNS1_3repE0EEENS1_30default_config_static_selectorELNS0_4arch9wavefront6targetE0EEEvS12_
		.amdhsa_group_segment_fixed_size 0
		.amdhsa_private_segment_fixed_size 0
		.amdhsa_kernarg_size 176
		.amdhsa_user_sgpr_count 6
		.amdhsa_user_sgpr_private_segment_buffer 1
		.amdhsa_user_sgpr_dispatch_ptr 0
		.amdhsa_user_sgpr_queue_ptr 0
		.amdhsa_user_sgpr_kernarg_segment_ptr 1
		.amdhsa_user_sgpr_dispatch_id 0
		.amdhsa_user_sgpr_flat_scratch_init 0
		.amdhsa_user_sgpr_private_segment_size 0
		.amdhsa_wavefront_size32 1
		.amdhsa_uses_dynamic_stack 0
		.amdhsa_system_sgpr_private_segment_wavefront_offset 0
		.amdhsa_system_sgpr_workgroup_id_x 1
		.amdhsa_system_sgpr_workgroup_id_y 0
		.amdhsa_system_sgpr_workgroup_id_z 0
		.amdhsa_system_sgpr_workgroup_info 0
		.amdhsa_system_vgpr_workitem_id 0
		.amdhsa_next_free_vgpr 1
		.amdhsa_next_free_sgpr 1
		.amdhsa_reserve_vcc 0
		.amdhsa_reserve_flat_scratch 0
		.amdhsa_float_round_mode_32 0
		.amdhsa_float_round_mode_16_64 0
		.amdhsa_float_denorm_mode_32 3
		.amdhsa_float_denorm_mode_16_64 3
		.amdhsa_dx10_clamp 1
		.amdhsa_ieee_mode 1
		.amdhsa_fp16_overflow 0
		.amdhsa_workgroup_processor_mode 1
		.amdhsa_memory_ordered 1
		.amdhsa_forward_progress 1
		.amdhsa_shared_vgpr_count 0
		.amdhsa_exception_fp_ieee_invalid_op 0
		.amdhsa_exception_fp_denorm_src 0
		.amdhsa_exception_fp_ieee_div_zero 0
		.amdhsa_exception_fp_ieee_overflow 0
		.amdhsa_exception_fp_ieee_underflow 0
		.amdhsa_exception_fp_ieee_inexact 0
		.amdhsa_exception_int_div_zero 0
	.end_amdhsa_kernel
	.section	.text._ZN7rocprim17ROCPRIM_400000_NS6detail17trampoline_kernelINS0_13select_configILj256ELj13ELNS0_17block_load_methodE3ELS4_3ELS4_3ELNS0_20block_scan_algorithmE0ELj4294967295EEENS1_25partition_config_selectorILNS1_17partition_subalgoE4EjNS0_10empty_typeEbEEZZNS1_14partition_implILS8_4ELb0ES6_15HIP_vector_typeIjLj2EENS0_17counting_iteratorIjlEEPS9_SG_NS0_5tupleIJPjSI_NS0_16reverse_iteratorISI_EEEEENSH_IJSG_SG_SG_EEES9_SI_JZNS1_25segmented_radix_sort_implINS0_14default_configELb0EPKaPaPKlPlN2at6native12_GLOBAL__N_18offset_tEEE10hipError_tPvRmT1_PNSt15iterator_traitsIS12_E10value_typeET2_T3_PNS13_IS18_E10value_typeET4_jRbjT5_S1E_jjP12ihipStream_tbEUljE_ZNSN_ISO_Lb0ESQ_SR_ST_SU_SY_EESZ_S10_S11_S12_S16_S17_S18_S1B_S1C_jS1D_jS1E_S1E_jjS1G_bEUljE0_EEESZ_S10_S11_S18_S1C_S1E_T6_T7_T9_mT8_S1G_bDpT10_ENKUlT_T0_E_clISt17integral_constantIbLb1EES1T_IbLb0EEEEDaS1P_S1Q_EUlS1P_E_NS1_11comp_targetILNS1_3genE8ELNS1_11target_archE1030ELNS1_3gpuE2ELNS1_3repE0EEENS1_30default_config_static_selectorELNS0_4arch9wavefront6targetE0EEEvS12_,"axG",@progbits,_ZN7rocprim17ROCPRIM_400000_NS6detail17trampoline_kernelINS0_13select_configILj256ELj13ELNS0_17block_load_methodE3ELS4_3ELS4_3ELNS0_20block_scan_algorithmE0ELj4294967295EEENS1_25partition_config_selectorILNS1_17partition_subalgoE4EjNS0_10empty_typeEbEEZZNS1_14partition_implILS8_4ELb0ES6_15HIP_vector_typeIjLj2EENS0_17counting_iteratorIjlEEPS9_SG_NS0_5tupleIJPjSI_NS0_16reverse_iteratorISI_EEEEENSH_IJSG_SG_SG_EEES9_SI_JZNS1_25segmented_radix_sort_implINS0_14default_configELb0EPKaPaPKlPlN2at6native12_GLOBAL__N_18offset_tEEE10hipError_tPvRmT1_PNSt15iterator_traitsIS12_E10value_typeET2_T3_PNS13_IS18_E10value_typeET4_jRbjT5_S1E_jjP12ihipStream_tbEUljE_ZNSN_ISO_Lb0ESQ_SR_ST_SU_SY_EESZ_S10_S11_S12_S16_S17_S18_S1B_S1C_jS1D_jS1E_S1E_jjS1G_bEUljE0_EEESZ_S10_S11_S18_S1C_S1E_T6_T7_T9_mT8_S1G_bDpT10_ENKUlT_T0_E_clISt17integral_constantIbLb1EES1T_IbLb0EEEEDaS1P_S1Q_EUlS1P_E_NS1_11comp_targetILNS1_3genE8ELNS1_11target_archE1030ELNS1_3gpuE2ELNS1_3repE0EEENS1_30default_config_static_selectorELNS0_4arch9wavefront6targetE0EEEvS12_,comdat
.Lfunc_end349:
	.size	_ZN7rocprim17ROCPRIM_400000_NS6detail17trampoline_kernelINS0_13select_configILj256ELj13ELNS0_17block_load_methodE3ELS4_3ELS4_3ELNS0_20block_scan_algorithmE0ELj4294967295EEENS1_25partition_config_selectorILNS1_17partition_subalgoE4EjNS0_10empty_typeEbEEZZNS1_14partition_implILS8_4ELb0ES6_15HIP_vector_typeIjLj2EENS0_17counting_iteratorIjlEEPS9_SG_NS0_5tupleIJPjSI_NS0_16reverse_iteratorISI_EEEEENSH_IJSG_SG_SG_EEES9_SI_JZNS1_25segmented_radix_sort_implINS0_14default_configELb0EPKaPaPKlPlN2at6native12_GLOBAL__N_18offset_tEEE10hipError_tPvRmT1_PNSt15iterator_traitsIS12_E10value_typeET2_T3_PNS13_IS18_E10value_typeET4_jRbjT5_S1E_jjP12ihipStream_tbEUljE_ZNSN_ISO_Lb0ESQ_SR_ST_SU_SY_EESZ_S10_S11_S12_S16_S17_S18_S1B_S1C_jS1D_jS1E_S1E_jjS1G_bEUljE0_EEESZ_S10_S11_S18_S1C_S1E_T6_T7_T9_mT8_S1G_bDpT10_ENKUlT_T0_E_clISt17integral_constantIbLb1EES1T_IbLb0EEEEDaS1P_S1Q_EUlS1P_E_NS1_11comp_targetILNS1_3genE8ELNS1_11target_archE1030ELNS1_3gpuE2ELNS1_3repE0EEENS1_30default_config_static_selectorELNS0_4arch9wavefront6targetE0EEEvS12_, .Lfunc_end349-_ZN7rocprim17ROCPRIM_400000_NS6detail17trampoline_kernelINS0_13select_configILj256ELj13ELNS0_17block_load_methodE3ELS4_3ELS4_3ELNS0_20block_scan_algorithmE0ELj4294967295EEENS1_25partition_config_selectorILNS1_17partition_subalgoE4EjNS0_10empty_typeEbEEZZNS1_14partition_implILS8_4ELb0ES6_15HIP_vector_typeIjLj2EENS0_17counting_iteratorIjlEEPS9_SG_NS0_5tupleIJPjSI_NS0_16reverse_iteratorISI_EEEEENSH_IJSG_SG_SG_EEES9_SI_JZNS1_25segmented_radix_sort_implINS0_14default_configELb0EPKaPaPKlPlN2at6native12_GLOBAL__N_18offset_tEEE10hipError_tPvRmT1_PNSt15iterator_traitsIS12_E10value_typeET2_T3_PNS13_IS18_E10value_typeET4_jRbjT5_S1E_jjP12ihipStream_tbEUljE_ZNSN_ISO_Lb0ESQ_SR_ST_SU_SY_EESZ_S10_S11_S12_S16_S17_S18_S1B_S1C_jS1D_jS1E_S1E_jjS1G_bEUljE0_EEESZ_S10_S11_S18_S1C_S1E_T6_T7_T9_mT8_S1G_bDpT10_ENKUlT_T0_E_clISt17integral_constantIbLb1EES1T_IbLb0EEEEDaS1P_S1Q_EUlS1P_E_NS1_11comp_targetILNS1_3genE8ELNS1_11target_archE1030ELNS1_3gpuE2ELNS1_3repE0EEENS1_30default_config_static_selectorELNS0_4arch9wavefront6targetE0EEEvS12_
                                        ; -- End function
	.set _ZN7rocprim17ROCPRIM_400000_NS6detail17trampoline_kernelINS0_13select_configILj256ELj13ELNS0_17block_load_methodE3ELS4_3ELS4_3ELNS0_20block_scan_algorithmE0ELj4294967295EEENS1_25partition_config_selectorILNS1_17partition_subalgoE4EjNS0_10empty_typeEbEEZZNS1_14partition_implILS8_4ELb0ES6_15HIP_vector_typeIjLj2EENS0_17counting_iteratorIjlEEPS9_SG_NS0_5tupleIJPjSI_NS0_16reverse_iteratorISI_EEEEENSH_IJSG_SG_SG_EEES9_SI_JZNS1_25segmented_radix_sort_implINS0_14default_configELb0EPKaPaPKlPlN2at6native12_GLOBAL__N_18offset_tEEE10hipError_tPvRmT1_PNSt15iterator_traitsIS12_E10value_typeET2_T3_PNS13_IS18_E10value_typeET4_jRbjT5_S1E_jjP12ihipStream_tbEUljE_ZNSN_ISO_Lb0ESQ_SR_ST_SU_SY_EESZ_S10_S11_S12_S16_S17_S18_S1B_S1C_jS1D_jS1E_S1E_jjS1G_bEUljE0_EEESZ_S10_S11_S18_S1C_S1E_T6_T7_T9_mT8_S1G_bDpT10_ENKUlT_T0_E_clISt17integral_constantIbLb1EES1T_IbLb0EEEEDaS1P_S1Q_EUlS1P_E_NS1_11comp_targetILNS1_3genE8ELNS1_11target_archE1030ELNS1_3gpuE2ELNS1_3repE0EEENS1_30default_config_static_selectorELNS0_4arch9wavefront6targetE0EEEvS12_.num_vgpr, 0
	.set _ZN7rocprim17ROCPRIM_400000_NS6detail17trampoline_kernelINS0_13select_configILj256ELj13ELNS0_17block_load_methodE3ELS4_3ELS4_3ELNS0_20block_scan_algorithmE0ELj4294967295EEENS1_25partition_config_selectorILNS1_17partition_subalgoE4EjNS0_10empty_typeEbEEZZNS1_14partition_implILS8_4ELb0ES6_15HIP_vector_typeIjLj2EENS0_17counting_iteratorIjlEEPS9_SG_NS0_5tupleIJPjSI_NS0_16reverse_iteratorISI_EEEEENSH_IJSG_SG_SG_EEES9_SI_JZNS1_25segmented_radix_sort_implINS0_14default_configELb0EPKaPaPKlPlN2at6native12_GLOBAL__N_18offset_tEEE10hipError_tPvRmT1_PNSt15iterator_traitsIS12_E10value_typeET2_T3_PNS13_IS18_E10value_typeET4_jRbjT5_S1E_jjP12ihipStream_tbEUljE_ZNSN_ISO_Lb0ESQ_SR_ST_SU_SY_EESZ_S10_S11_S12_S16_S17_S18_S1B_S1C_jS1D_jS1E_S1E_jjS1G_bEUljE0_EEESZ_S10_S11_S18_S1C_S1E_T6_T7_T9_mT8_S1G_bDpT10_ENKUlT_T0_E_clISt17integral_constantIbLb1EES1T_IbLb0EEEEDaS1P_S1Q_EUlS1P_E_NS1_11comp_targetILNS1_3genE8ELNS1_11target_archE1030ELNS1_3gpuE2ELNS1_3repE0EEENS1_30default_config_static_selectorELNS0_4arch9wavefront6targetE0EEEvS12_.num_agpr, 0
	.set _ZN7rocprim17ROCPRIM_400000_NS6detail17trampoline_kernelINS0_13select_configILj256ELj13ELNS0_17block_load_methodE3ELS4_3ELS4_3ELNS0_20block_scan_algorithmE0ELj4294967295EEENS1_25partition_config_selectorILNS1_17partition_subalgoE4EjNS0_10empty_typeEbEEZZNS1_14partition_implILS8_4ELb0ES6_15HIP_vector_typeIjLj2EENS0_17counting_iteratorIjlEEPS9_SG_NS0_5tupleIJPjSI_NS0_16reverse_iteratorISI_EEEEENSH_IJSG_SG_SG_EEES9_SI_JZNS1_25segmented_radix_sort_implINS0_14default_configELb0EPKaPaPKlPlN2at6native12_GLOBAL__N_18offset_tEEE10hipError_tPvRmT1_PNSt15iterator_traitsIS12_E10value_typeET2_T3_PNS13_IS18_E10value_typeET4_jRbjT5_S1E_jjP12ihipStream_tbEUljE_ZNSN_ISO_Lb0ESQ_SR_ST_SU_SY_EESZ_S10_S11_S12_S16_S17_S18_S1B_S1C_jS1D_jS1E_S1E_jjS1G_bEUljE0_EEESZ_S10_S11_S18_S1C_S1E_T6_T7_T9_mT8_S1G_bDpT10_ENKUlT_T0_E_clISt17integral_constantIbLb1EES1T_IbLb0EEEEDaS1P_S1Q_EUlS1P_E_NS1_11comp_targetILNS1_3genE8ELNS1_11target_archE1030ELNS1_3gpuE2ELNS1_3repE0EEENS1_30default_config_static_selectorELNS0_4arch9wavefront6targetE0EEEvS12_.numbered_sgpr, 0
	.set _ZN7rocprim17ROCPRIM_400000_NS6detail17trampoline_kernelINS0_13select_configILj256ELj13ELNS0_17block_load_methodE3ELS4_3ELS4_3ELNS0_20block_scan_algorithmE0ELj4294967295EEENS1_25partition_config_selectorILNS1_17partition_subalgoE4EjNS0_10empty_typeEbEEZZNS1_14partition_implILS8_4ELb0ES6_15HIP_vector_typeIjLj2EENS0_17counting_iteratorIjlEEPS9_SG_NS0_5tupleIJPjSI_NS0_16reverse_iteratorISI_EEEEENSH_IJSG_SG_SG_EEES9_SI_JZNS1_25segmented_radix_sort_implINS0_14default_configELb0EPKaPaPKlPlN2at6native12_GLOBAL__N_18offset_tEEE10hipError_tPvRmT1_PNSt15iterator_traitsIS12_E10value_typeET2_T3_PNS13_IS18_E10value_typeET4_jRbjT5_S1E_jjP12ihipStream_tbEUljE_ZNSN_ISO_Lb0ESQ_SR_ST_SU_SY_EESZ_S10_S11_S12_S16_S17_S18_S1B_S1C_jS1D_jS1E_S1E_jjS1G_bEUljE0_EEESZ_S10_S11_S18_S1C_S1E_T6_T7_T9_mT8_S1G_bDpT10_ENKUlT_T0_E_clISt17integral_constantIbLb1EES1T_IbLb0EEEEDaS1P_S1Q_EUlS1P_E_NS1_11comp_targetILNS1_3genE8ELNS1_11target_archE1030ELNS1_3gpuE2ELNS1_3repE0EEENS1_30default_config_static_selectorELNS0_4arch9wavefront6targetE0EEEvS12_.num_named_barrier, 0
	.set _ZN7rocprim17ROCPRIM_400000_NS6detail17trampoline_kernelINS0_13select_configILj256ELj13ELNS0_17block_load_methodE3ELS4_3ELS4_3ELNS0_20block_scan_algorithmE0ELj4294967295EEENS1_25partition_config_selectorILNS1_17partition_subalgoE4EjNS0_10empty_typeEbEEZZNS1_14partition_implILS8_4ELb0ES6_15HIP_vector_typeIjLj2EENS0_17counting_iteratorIjlEEPS9_SG_NS0_5tupleIJPjSI_NS0_16reverse_iteratorISI_EEEEENSH_IJSG_SG_SG_EEES9_SI_JZNS1_25segmented_radix_sort_implINS0_14default_configELb0EPKaPaPKlPlN2at6native12_GLOBAL__N_18offset_tEEE10hipError_tPvRmT1_PNSt15iterator_traitsIS12_E10value_typeET2_T3_PNS13_IS18_E10value_typeET4_jRbjT5_S1E_jjP12ihipStream_tbEUljE_ZNSN_ISO_Lb0ESQ_SR_ST_SU_SY_EESZ_S10_S11_S12_S16_S17_S18_S1B_S1C_jS1D_jS1E_S1E_jjS1G_bEUljE0_EEESZ_S10_S11_S18_S1C_S1E_T6_T7_T9_mT8_S1G_bDpT10_ENKUlT_T0_E_clISt17integral_constantIbLb1EES1T_IbLb0EEEEDaS1P_S1Q_EUlS1P_E_NS1_11comp_targetILNS1_3genE8ELNS1_11target_archE1030ELNS1_3gpuE2ELNS1_3repE0EEENS1_30default_config_static_selectorELNS0_4arch9wavefront6targetE0EEEvS12_.private_seg_size, 0
	.set _ZN7rocprim17ROCPRIM_400000_NS6detail17trampoline_kernelINS0_13select_configILj256ELj13ELNS0_17block_load_methodE3ELS4_3ELS4_3ELNS0_20block_scan_algorithmE0ELj4294967295EEENS1_25partition_config_selectorILNS1_17partition_subalgoE4EjNS0_10empty_typeEbEEZZNS1_14partition_implILS8_4ELb0ES6_15HIP_vector_typeIjLj2EENS0_17counting_iteratorIjlEEPS9_SG_NS0_5tupleIJPjSI_NS0_16reverse_iteratorISI_EEEEENSH_IJSG_SG_SG_EEES9_SI_JZNS1_25segmented_radix_sort_implINS0_14default_configELb0EPKaPaPKlPlN2at6native12_GLOBAL__N_18offset_tEEE10hipError_tPvRmT1_PNSt15iterator_traitsIS12_E10value_typeET2_T3_PNS13_IS18_E10value_typeET4_jRbjT5_S1E_jjP12ihipStream_tbEUljE_ZNSN_ISO_Lb0ESQ_SR_ST_SU_SY_EESZ_S10_S11_S12_S16_S17_S18_S1B_S1C_jS1D_jS1E_S1E_jjS1G_bEUljE0_EEESZ_S10_S11_S18_S1C_S1E_T6_T7_T9_mT8_S1G_bDpT10_ENKUlT_T0_E_clISt17integral_constantIbLb1EES1T_IbLb0EEEEDaS1P_S1Q_EUlS1P_E_NS1_11comp_targetILNS1_3genE8ELNS1_11target_archE1030ELNS1_3gpuE2ELNS1_3repE0EEENS1_30default_config_static_selectorELNS0_4arch9wavefront6targetE0EEEvS12_.uses_vcc, 0
	.set _ZN7rocprim17ROCPRIM_400000_NS6detail17trampoline_kernelINS0_13select_configILj256ELj13ELNS0_17block_load_methodE3ELS4_3ELS4_3ELNS0_20block_scan_algorithmE0ELj4294967295EEENS1_25partition_config_selectorILNS1_17partition_subalgoE4EjNS0_10empty_typeEbEEZZNS1_14partition_implILS8_4ELb0ES6_15HIP_vector_typeIjLj2EENS0_17counting_iteratorIjlEEPS9_SG_NS0_5tupleIJPjSI_NS0_16reverse_iteratorISI_EEEEENSH_IJSG_SG_SG_EEES9_SI_JZNS1_25segmented_radix_sort_implINS0_14default_configELb0EPKaPaPKlPlN2at6native12_GLOBAL__N_18offset_tEEE10hipError_tPvRmT1_PNSt15iterator_traitsIS12_E10value_typeET2_T3_PNS13_IS18_E10value_typeET4_jRbjT5_S1E_jjP12ihipStream_tbEUljE_ZNSN_ISO_Lb0ESQ_SR_ST_SU_SY_EESZ_S10_S11_S12_S16_S17_S18_S1B_S1C_jS1D_jS1E_S1E_jjS1G_bEUljE0_EEESZ_S10_S11_S18_S1C_S1E_T6_T7_T9_mT8_S1G_bDpT10_ENKUlT_T0_E_clISt17integral_constantIbLb1EES1T_IbLb0EEEEDaS1P_S1Q_EUlS1P_E_NS1_11comp_targetILNS1_3genE8ELNS1_11target_archE1030ELNS1_3gpuE2ELNS1_3repE0EEENS1_30default_config_static_selectorELNS0_4arch9wavefront6targetE0EEEvS12_.uses_flat_scratch, 0
	.set _ZN7rocprim17ROCPRIM_400000_NS6detail17trampoline_kernelINS0_13select_configILj256ELj13ELNS0_17block_load_methodE3ELS4_3ELS4_3ELNS0_20block_scan_algorithmE0ELj4294967295EEENS1_25partition_config_selectorILNS1_17partition_subalgoE4EjNS0_10empty_typeEbEEZZNS1_14partition_implILS8_4ELb0ES6_15HIP_vector_typeIjLj2EENS0_17counting_iteratorIjlEEPS9_SG_NS0_5tupleIJPjSI_NS0_16reverse_iteratorISI_EEEEENSH_IJSG_SG_SG_EEES9_SI_JZNS1_25segmented_radix_sort_implINS0_14default_configELb0EPKaPaPKlPlN2at6native12_GLOBAL__N_18offset_tEEE10hipError_tPvRmT1_PNSt15iterator_traitsIS12_E10value_typeET2_T3_PNS13_IS18_E10value_typeET4_jRbjT5_S1E_jjP12ihipStream_tbEUljE_ZNSN_ISO_Lb0ESQ_SR_ST_SU_SY_EESZ_S10_S11_S12_S16_S17_S18_S1B_S1C_jS1D_jS1E_S1E_jjS1G_bEUljE0_EEESZ_S10_S11_S18_S1C_S1E_T6_T7_T9_mT8_S1G_bDpT10_ENKUlT_T0_E_clISt17integral_constantIbLb1EES1T_IbLb0EEEEDaS1P_S1Q_EUlS1P_E_NS1_11comp_targetILNS1_3genE8ELNS1_11target_archE1030ELNS1_3gpuE2ELNS1_3repE0EEENS1_30default_config_static_selectorELNS0_4arch9wavefront6targetE0EEEvS12_.has_dyn_sized_stack, 0
	.set _ZN7rocprim17ROCPRIM_400000_NS6detail17trampoline_kernelINS0_13select_configILj256ELj13ELNS0_17block_load_methodE3ELS4_3ELS4_3ELNS0_20block_scan_algorithmE0ELj4294967295EEENS1_25partition_config_selectorILNS1_17partition_subalgoE4EjNS0_10empty_typeEbEEZZNS1_14partition_implILS8_4ELb0ES6_15HIP_vector_typeIjLj2EENS0_17counting_iteratorIjlEEPS9_SG_NS0_5tupleIJPjSI_NS0_16reverse_iteratorISI_EEEEENSH_IJSG_SG_SG_EEES9_SI_JZNS1_25segmented_radix_sort_implINS0_14default_configELb0EPKaPaPKlPlN2at6native12_GLOBAL__N_18offset_tEEE10hipError_tPvRmT1_PNSt15iterator_traitsIS12_E10value_typeET2_T3_PNS13_IS18_E10value_typeET4_jRbjT5_S1E_jjP12ihipStream_tbEUljE_ZNSN_ISO_Lb0ESQ_SR_ST_SU_SY_EESZ_S10_S11_S12_S16_S17_S18_S1B_S1C_jS1D_jS1E_S1E_jjS1G_bEUljE0_EEESZ_S10_S11_S18_S1C_S1E_T6_T7_T9_mT8_S1G_bDpT10_ENKUlT_T0_E_clISt17integral_constantIbLb1EES1T_IbLb0EEEEDaS1P_S1Q_EUlS1P_E_NS1_11comp_targetILNS1_3genE8ELNS1_11target_archE1030ELNS1_3gpuE2ELNS1_3repE0EEENS1_30default_config_static_selectorELNS0_4arch9wavefront6targetE0EEEvS12_.has_recursion, 0
	.set _ZN7rocprim17ROCPRIM_400000_NS6detail17trampoline_kernelINS0_13select_configILj256ELj13ELNS0_17block_load_methodE3ELS4_3ELS4_3ELNS0_20block_scan_algorithmE0ELj4294967295EEENS1_25partition_config_selectorILNS1_17partition_subalgoE4EjNS0_10empty_typeEbEEZZNS1_14partition_implILS8_4ELb0ES6_15HIP_vector_typeIjLj2EENS0_17counting_iteratorIjlEEPS9_SG_NS0_5tupleIJPjSI_NS0_16reverse_iteratorISI_EEEEENSH_IJSG_SG_SG_EEES9_SI_JZNS1_25segmented_radix_sort_implINS0_14default_configELb0EPKaPaPKlPlN2at6native12_GLOBAL__N_18offset_tEEE10hipError_tPvRmT1_PNSt15iterator_traitsIS12_E10value_typeET2_T3_PNS13_IS18_E10value_typeET4_jRbjT5_S1E_jjP12ihipStream_tbEUljE_ZNSN_ISO_Lb0ESQ_SR_ST_SU_SY_EESZ_S10_S11_S12_S16_S17_S18_S1B_S1C_jS1D_jS1E_S1E_jjS1G_bEUljE0_EEESZ_S10_S11_S18_S1C_S1E_T6_T7_T9_mT8_S1G_bDpT10_ENKUlT_T0_E_clISt17integral_constantIbLb1EES1T_IbLb0EEEEDaS1P_S1Q_EUlS1P_E_NS1_11comp_targetILNS1_3genE8ELNS1_11target_archE1030ELNS1_3gpuE2ELNS1_3repE0EEENS1_30default_config_static_selectorELNS0_4arch9wavefront6targetE0EEEvS12_.has_indirect_call, 0
	.section	.AMDGPU.csdata,"",@progbits
; Kernel info:
; codeLenInByte = 4
; TotalNumSgprs: 0
; NumVgprs: 0
; ScratchSize: 0
; MemoryBound: 0
; FloatMode: 240
; IeeeMode: 1
; LDSByteSize: 0 bytes/workgroup (compile time only)
; SGPRBlocks: 0
; VGPRBlocks: 0
; NumSGPRsForWavesPerEU: 1
; NumVGPRsForWavesPerEU: 1
; Occupancy: 16
; WaveLimiterHint : 0
; COMPUTE_PGM_RSRC2:SCRATCH_EN: 0
; COMPUTE_PGM_RSRC2:USER_SGPR: 6
; COMPUTE_PGM_RSRC2:TRAP_HANDLER: 0
; COMPUTE_PGM_RSRC2:TGID_X_EN: 1
; COMPUTE_PGM_RSRC2:TGID_Y_EN: 0
; COMPUTE_PGM_RSRC2:TGID_Z_EN: 0
; COMPUTE_PGM_RSRC2:TIDIG_COMP_CNT: 0
	.section	.text._ZN7rocprim17ROCPRIM_400000_NS6detail17trampoline_kernelINS0_13select_configILj256ELj13ELNS0_17block_load_methodE3ELS4_3ELS4_3ELNS0_20block_scan_algorithmE0ELj4294967295EEENS1_25partition_config_selectorILNS1_17partition_subalgoE4EjNS0_10empty_typeEbEEZZNS1_14partition_implILS8_4ELb0ES6_15HIP_vector_typeIjLj2EENS0_17counting_iteratorIjlEEPS9_SG_NS0_5tupleIJPjSI_NS0_16reverse_iteratorISI_EEEEENSH_IJSG_SG_SG_EEES9_SI_JZNS1_25segmented_radix_sort_implINS0_14default_configELb0EPKaPaPKlPlN2at6native12_GLOBAL__N_18offset_tEEE10hipError_tPvRmT1_PNSt15iterator_traitsIS12_E10value_typeET2_T3_PNS13_IS18_E10value_typeET4_jRbjT5_S1E_jjP12ihipStream_tbEUljE_ZNSN_ISO_Lb0ESQ_SR_ST_SU_SY_EESZ_S10_S11_S12_S16_S17_S18_S1B_S1C_jS1D_jS1E_S1E_jjS1G_bEUljE0_EEESZ_S10_S11_S18_S1C_S1E_T6_T7_T9_mT8_S1G_bDpT10_ENKUlT_T0_E_clISt17integral_constantIbLb0EES1T_IbLb1EEEEDaS1P_S1Q_EUlS1P_E_NS1_11comp_targetILNS1_3genE0ELNS1_11target_archE4294967295ELNS1_3gpuE0ELNS1_3repE0EEENS1_30default_config_static_selectorELNS0_4arch9wavefront6targetE0EEEvS12_,"axG",@progbits,_ZN7rocprim17ROCPRIM_400000_NS6detail17trampoline_kernelINS0_13select_configILj256ELj13ELNS0_17block_load_methodE3ELS4_3ELS4_3ELNS0_20block_scan_algorithmE0ELj4294967295EEENS1_25partition_config_selectorILNS1_17partition_subalgoE4EjNS0_10empty_typeEbEEZZNS1_14partition_implILS8_4ELb0ES6_15HIP_vector_typeIjLj2EENS0_17counting_iteratorIjlEEPS9_SG_NS0_5tupleIJPjSI_NS0_16reverse_iteratorISI_EEEEENSH_IJSG_SG_SG_EEES9_SI_JZNS1_25segmented_radix_sort_implINS0_14default_configELb0EPKaPaPKlPlN2at6native12_GLOBAL__N_18offset_tEEE10hipError_tPvRmT1_PNSt15iterator_traitsIS12_E10value_typeET2_T3_PNS13_IS18_E10value_typeET4_jRbjT5_S1E_jjP12ihipStream_tbEUljE_ZNSN_ISO_Lb0ESQ_SR_ST_SU_SY_EESZ_S10_S11_S12_S16_S17_S18_S1B_S1C_jS1D_jS1E_S1E_jjS1G_bEUljE0_EEESZ_S10_S11_S18_S1C_S1E_T6_T7_T9_mT8_S1G_bDpT10_ENKUlT_T0_E_clISt17integral_constantIbLb0EES1T_IbLb1EEEEDaS1P_S1Q_EUlS1P_E_NS1_11comp_targetILNS1_3genE0ELNS1_11target_archE4294967295ELNS1_3gpuE0ELNS1_3repE0EEENS1_30default_config_static_selectorELNS0_4arch9wavefront6targetE0EEEvS12_,comdat
	.globl	_ZN7rocprim17ROCPRIM_400000_NS6detail17trampoline_kernelINS0_13select_configILj256ELj13ELNS0_17block_load_methodE3ELS4_3ELS4_3ELNS0_20block_scan_algorithmE0ELj4294967295EEENS1_25partition_config_selectorILNS1_17partition_subalgoE4EjNS0_10empty_typeEbEEZZNS1_14partition_implILS8_4ELb0ES6_15HIP_vector_typeIjLj2EENS0_17counting_iteratorIjlEEPS9_SG_NS0_5tupleIJPjSI_NS0_16reverse_iteratorISI_EEEEENSH_IJSG_SG_SG_EEES9_SI_JZNS1_25segmented_radix_sort_implINS0_14default_configELb0EPKaPaPKlPlN2at6native12_GLOBAL__N_18offset_tEEE10hipError_tPvRmT1_PNSt15iterator_traitsIS12_E10value_typeET2_T3_PNS13_IS18_E10value_typeET4_jRbjT5_S1E_jjP12ihipStream_tbEUljE_ZNSN_ISO_Lb0ESQ_SR_ST_SU_SY_EESZ_S10_S11_S12_S16_S17_S18_S1B_S1C_jS1D_jS1E_S1E_jjS1G_bEUljE0_EEESZ_S10_S11_S18_S1C_S1E_T6_T7_T9_mT8_S1G_bDpT10_ENKUlT_T0_E_clISt17integral_constantIbLb0EES1T_IbLb1EEEEDaS1P_S1Q_EUlS1P_E_NS1_11comp_targetILNS1_3genE0ELNS1_11target_archE4294967295ELNS1_3gpuE0ELNS1_3repE0EEENS1_30default_config_static_selectorELNS0_4arch9wavefront6targetE0EEEvS12_ ; -- Begin function _ZN7rocprim17ROCPRIM_400000_NS6detail17trampoline_kernelINS0_13select_configILj256ELj13ELNS0_17block_load_methodE3ELS4_3ELS4_3ELNS0_20block_scan_algorithmE0ELj4294967295EEENS1_25partition_config_selectorILNS1_17partition_subalgoE4EjNS0_10empty_typeEbEEZZNS1_14partition_implILS8_4ELb0ES6_15HIP_vector_typeIjLj2EENS0_17counting_iteratorIjlEEPS9_SG_NS0_5tupleIJPjSI_NS0_16reverse_iteratorISI_EEEEENSH_IJSG_SG_SG_EEES9_SI_JZNS1_25segmented_radix_sort_implINS0_14default_configELb0EPKaPaPKlPlN2at6native12_GLOBAL__N_18offset_tEEE10hipError_tPvRmT1_PNSt15iterator_traitsIS12_E10value_typeET2_T3_PNS13_IS18_E10value_typeET4_jRbjT5_S1E_jjP12ihipStream_tbEUljE_ZNSN_ISO_Lb0ESQ_SR_ST_SU_SY_EESZ_S10_S11_S12_S16_S17_S18_S1B_S1C_jS1D_jS1E_S1E_jjS1G_bEUljE0_EEESZ_S10_S11_S18_S1C_S1E_T6_T7_T9_mT8_S1G_bDpT10_ENKUlT_T0_E_clISt17integral_constantIbLb0EES1T_IbLb1EEEEDaS1P_S1Q_EUlS1P_E_NS1_11comp_targetILNS1_3genE0ELNS1_11target_archE4294967295ELNS1_3gpuE0ELNS1_3repE0EEENS1_30default_config_static_selectorELNS0_4arch9wavefront6targetE0EEEvS12_
	.p2align	8
	.type	_ZN7rocprim17ROCPRIM_400000_NS6detail17trampoline_kernelINS0_13select_configILj256ELj13ELNS0_17block_load_methodE3ELS4_3ELS4_3ELNS0_20block_scan_algorithmE0ELj4294967295EEENS1_25partition_config_selectorILNS1_17partition_subalgoE4EjNS0_10empty_typeEbEEZZNS1_14partition_implILS8_4ELb0ES6_15HIP_vector_typeIjLj2EENS0_17counting_iteratorIjlEEPS9_SG_NS0_5tupleIJPjSI_NS0_16reverse_iteratorISI_EEEEENSH_IJSG_SG_SG_EEES9_SI_JZNS1_25segmented_radix_sort_implINS0_14default_configELb0EPKaPaPKlPlN2at6native12_GLOBAL__N_18offset_tEEE10hipError_tPvRmT1_PNSt15iterator_traitsIS12_E10value_typeET2_T3_PNS13_IS18_E10value_typeET4_jRbjT5_S1E_jjP12ihipStream_tbEUljE_ZNSN_ISO_Lb0ESQ_SR_ST_SU_SY_EESZ_S10_S11_S12_S16_S17_S18_S1B_S1C_jS1D_jS1E_S1E_jjS1G_bEUljE0_EEESZ_S10_S11_S18_S1C_S1E_T6_T7_T9_mT8_S1G_bDpT10_ENKUlT_T0_E_clISt17integral_constantIbLb0EES1T_IbLb1EEEEDaS1P_S1Q_EUlS1P_E_NS1_11comp_targetILNS1_3genE0ELNS1_11target_archE4294967295ELNS1_3gpuE0ELNS1_3repE0EEENS1_30default_config_static_selectorELNS0_4arch9wavefront6targetE0EEEvS12_,@function
_ZN7rocprim17ROCPRIM_400000_NS6detail17trampoline_kernelINS0_13select_configILj256ELj13ELNS0_17block_load_methodE3ELS4_3ELS4_3ELNS0_20block_scan_algorithmE0ELj4294967295EEENS1_25partition_config_selectorILNS1_17partition_subalgoE4EjNS0_10empty_typeEbEEZZNS1_14partition_implILS8_4ELb0ES6_15HIP_vector_typeIjLj2EENS0_17counting_iteratorIjlEEPS9_SG_NS0_5tupleIJPjSI_NS0_16reverse_iteratorISI_EEEEENSH_IJSG_SG_SG_EEES9_SI_JZNS1_25segmented_radix_sort_implINS0_14default_configELb0EPKaPaPKlPlN2at6native12_GLOBAL__N_18offset_tEEE10hipError_tPvRmT1_PNSt15iterator_traitsIS12_E10value_typeET2_T3_PNS13_IS18_E10value_typeET4_jRbjT5_S1E_jjP12ihipStream_tbEUljE_ZNSN_ISO_Lb0ESQ_SR_ST_SU_SY_EESZ_S10_S11_S12_S16_S17_S18_S1B_S1C_jS1D_jS1E_S1E_jjS1G_bEUljE0_EEESZ_S10_S11_S18_S1C_S1E_T6_T7_T9_mT8_S1G_bDpT10_ENKUlT_T0_E_clISt17integral_constantIbLb0EES1T_IbLb1EEEEDaS1P_S1Q_EUlS1P_E_NS1_11comp_targetILNS1_3genE0ELNS1_11target_archE4294967295ELNS1_3gpuE0ELNS1_3repE0EEENS1_30default_config_static_selectorELNS0_4arch9wavefront6targetE0EEEvS12_: ; @_ZN7rocprim17ROCPRIM_400000_NS6detail17trampoline_kernelINS0_13select_configILj256ELj13ELNS0_17block_load_methodE3ELS4_3ELS4_3ELNS0_20block_scan_algorithmE0ELj4294967295EEENS1_25partition_config_selectorILNS1_17partition_subalgoE4EjNS0_10empty_typeEbEEZZNS1_14partition_implILS8_4ELb0ES6_15HIP_vector_typeIjLj2EENS0_17counting_iteratorIjlEEPS9_SG_NS0_5tupleIJPjSI_NS0_16reverse_iteratorISI_EEEEENSH_IJSG_SG_SG_EEES9_SI_JZNS1_25segmented_radix_sort_implINS0_14default_configELb0EPKaPaPKlPlN2at6native12_GLOBAL__N_18offset_tEEE10hipError_tPvRmT1_PNSt15iterator_traitsIS12_E10value_typeET2_T3_PNS13_IS18_E10value_typeET4_jRbjT5_S1E_jjP12ihipStream_tbEUljE_ZNSN_ISO_Lb0ESQ_SR_ST_SU_SY_EESZ_S10_S11_S12_S16_S17_S18_S1B_S1C_jS1D_jS1E_S1E_jjS1G_bEUljE0_EEESZ_S10_S11_S18_S1C_S1E_T6_T7_T9_mT8_S1G_bDpT10_ENKUlT_T0_E_clISt17integral_constantIbLb0EES1T_IbLb1EEEEDaS1P_S1Q_EUlS1P_E_NS1_11comp_targetILNS1_3genE0ELNS1_11target_archE4294967295ELNS1_3gpuE0ELNS1_3repE0EEENS1_30default_config_static_selectorELNS0_4arch9wavefront6targetE0EEEvS12_
; %bb.0:
	.section	.rodata,"a",@progbits
	.p2align	6, 0x0
	.amdhsa_kernel _ZN7rocprim17ROCPRIM_400000_NS6detail17trampoline_kernelINS0_13select_configILj256ELj13ELNS0_17block_load_methodE3ELS4_3ELS4_3ELNS0_20block_scan_algorithmE0ELj4294967295EEENS1_25partition_config_selectorILNS1_17partition_subalgoE4EjNS0_10empty_typeEbEEZZNS1_14partition_implILS8_4ELb0ES6_15HIP_vector_typeIjLj2EENS0_17counting_iteratorIjlEEPS9_SG_NS0_5tupleIJPjSI_NS0_16reverse_iteratorISI_EEEEENSH_IJSG_SG_SG_EEES9_SI_JZNS1_25segmented_radix_sort_implINS0_14default_configELb0EPKaPaPKlPlN2at6native12_GLOBAL__N_18offset_tEEE10hipError_tPvRmT1_PNSt15iterator_traitsIS12_E10value_typeET2_T3_PNS13_IS18_E10value_typeET4_jRbjT5_S1E_jjP12ihipStream_tbEUljE_ZNSN_ISO_Lb0ESQ_SR_ST_SU_SY_EESZ_S10_S11_S12_S16_S17_S18_S1B_S1C_jS1D_jS1E_S1E_jjS1G_bEUljE0_EEESZ_S10_S11_S18_S1C_S1E_T6_T7_T9_mT8_S1G_bDpT10_ENKUlT_T0_E_clISt17integral_constantIbLb0EES1T_IbLb1EEEEDaS1P_S1Q_EUlS1P_E_NS1_11comp_targetILNS1_3genE0ELNS1_11target_archE4294967295ELNS1_3gpuE0ELNS1_3repE0EEENS1_30default_config_static_selectorELNS0_4arch9wavefront6targetE0EEEvS12_
		.amdhsa_group_segment_fixed_size 0
		.amdhsa_private_segment_fixed_size 0
		.amdhsa_kernarg_size 184
		.amdhsa_user_sgpr_count 6
		.amdhsa_user_sgpr_private_segment_buffer 1
		.amdhsa_user_sgpr_dispatch_ptr 0
		.amdhsa_user_sgpr_queue_ptr 0
		.amdhsa_user_sgpr_kernarg_segment_ptr 1
		.amdhsa_user_sgpr_dispatch_id 0
		.amdhsa_user_sgpr_flat_scratch_init 0
		.amdhsa_user_sgpr_private_segment_size 0
		.amdhsa_wavefront_size32 1
		.amdhsa_uses_dynamic_stack 0
		.amdhsa_system_sgpr_private_segment_wavefront_offset 0
		.amdhsa_system_sgpr_workgroup_id_x 1
		.amdhsa_system_sgpr_workgroup_id_y 0
		.amdhsa_system_sgpr_workgroup_id_z 0
		.amdhsa_system_sgpr_workgroup_info 0
		.amdhsa_system_vgpr_workitem_id 0
		.amdhsa_next_free_vgpr 1
		.amdhsa_next_free_sgpr 1
		.amdhsa_reserve_vcc 0
		.amdhsa_reserve_flat_scratch 0
		.amdhsa_float_round_mode_32 0
		.amdhsa_float_round_mode_16_64 0
		.amdhsa_float_denorm_mode_32 3
		.amdhsa_float_denorm_mode_16_64 3
		.amdhsa_dx10_clamp 1
		.amdhsa_ieee_mode 1
		.amdhsa_fp16_overflow 0
		.amdhsa_workgroup_processor_mode 1
		.amdhsa_memory_ordered 1
		.amdhsa_forward_progress 1
		.amdhsa_shared_vgpr_count 0
		.amdhsa_exception_fp_ieee_invalid_op 0
		.amdhsa_exception_fp_denorm_src 0
		.amdhsa_exception_fp_ieee_div_zero 0
		.amdhsa_exception_fp_ieee_overflow 0
		.amdhsa_exception_fp_ieee_underflow 0
		.amdhsa_exception_fp_ieee_inexact 0
		.amdhsa_exception_int_div_zero 0
	.end_amdhsa_kernel
	.section	.text._ZN7rocprim17ROCPRIM_400000_NS6detail17trampoline_kernelINS0_13select_configILj256ELj13ELNS0_17block_load_methodE3ELS4_3ELS4_3ELNS0_20block_scan_algorithmE0ELj4294967295EEENS1_25partition_config_selectorILNS1_17partition_subalgoE4EjNS0_10empty_typeEbEEZZNS1_14partition_implILS8_4ELb0ES6_15HIP_vector_typeIjLj2EENS0_17counting_iteratorIjlEEPS9_SG_NS0_5tupleIJPjSI_NS0_16reverse_iteratorISI_EEEEENSH_IJSG_SG_SG_EEES9_SI_JZNS1_25segmented_radix_sort_implINS0_14default_configELb0EPKaPaPKlPlN2at6native12_GLOBAL__N_18offset_tEEE10hipError_tPvRmT1_PNSt15iterator_traitsIS12_E10value_typeET2_T3_PNS13_IS18_E10value_typeET4_jRbjT5_S1E_jjP12ihipStream_tbEUljE_ZNSN_ISO_Lb0ESQ_SR_ST_SU_SY_EESZ_S10_S11_S12_S16_S17_S18_S1B_S1C_jS1D_jS1E_S1E_jjS1G_bEUljE0_EEESZ_S10_S11_S18_S1C_S1E_T6_T7_T9_mT8_S1G_bDpT10_ENKUlT_T0_E_clISt17integral_constantIbLb0EES1T_IbLb1EEEEDaS1P_S1Q_EUlS1P_E_NS1_11comp_targetILNS1_3genE0ELNS1_11target_archE4294967295ELNS1_3gpuE0ELNS1_3repE0EEENS1_30default_config_static_selectorELNS0_4arch9wavefront6targetE0EEEvS12_,"axG",@progbits,_ZN7rocprim17ROCPRIM_400000_NS6detail17trampoline_kernelINS0_13select_configILj256ELj13ELNS0_17block_load_methodE3ELS4_3ELS4_3ELNS0_20block_scan_algorithmE0ELj4294967295EEENS1_25partition_config_selectorILNS1_17partition_subalgoE4EjNS0_10empty_typeEbEEZZNS1_14partition_implILS8_4ELb0ES6_15HIP_vector_typeIjLj2EENS0_17counting_iteratorIjlEEPS9_SG_NS0_5tupleIJPjSI_NS0_16reverse_iteratorISI_EEEEENSH_IJSG_SG_SG_EEES9_SI_JZNS1_25segmented_radix_sort_implINS0_14default_configELb0EPKaPaPKlPlN2at6native12_GLOBAL__N_18offset_tEEE10hipError_tPvRmT1_PNSt15iterator_traitsIS12_E10value_typeET2_T3_PNS13_IS18_E10value_typeET4_jRbjT5_S1E_jjP12ihipStream_tbEUljE_ZNSN_ISO_Lb0ESQ_SR_ST_SU_SY_EESZ_S10_S11_S12_S16_S17_S18_S1B_S1C_jS1D_jS1E_S1E_jjS1G_bEUljE0_EEESZ_S10_S11_S18_S1C_S1E_T6_T7_T9_mT8_S1G_bDpT10_ENKUlT_T0_E_clISt17integral_constantIbLb0EES1T_IbLb1EEEEDaS1P_S1Q_EUlS1P_E_NS1_11comp_targetILNS1_3genE0ELNS1_11target_archE4294967295ELNS1_3gpuE0ELNS1_3repE0EEENS1_30default_config_static_selectorELNS0_4arch9wavefront6targetE0EEEvS12_,comdat
.Lfunc_end350:
	.size	_ZN7rocprim17ROCPRIM_400000_NS6detail17trampoline_kernelINS0_13select_configILj256ELj13ELNS0_17block_load_methodE3ELS4_3ELS4_3ELNS0_20block_scan_algorithmE0ELj4294967295EEENS1_25partition_config_selectorILNS1_17partition_subalgoE4EjNS0_10empty_typeEbEEZZNS1_14partition_implILS8_4ELb0ES6_15HIP_vector_typeIjLj2EENS0_17counting_iteratorIjlEEPS9_SG_NS0_5tupleIJPjSI_NS0_16reverse_iteratorISI_EEEEENSH_IJSG_SG_SG_EEES9_SI_JZNS1_25segmented_radix_sort_implINS0_14default_configELb0EPKaPaPKlPlN2at6native12_GLOBAL__N_18offset_tEEE10hipError_tPvRmT1_PNSt15iterator_traitsIS12_E10value_typeET2_T3_PNS13_IS18_E10value_typeET4_jRbjT5_S1E_jjP12ihipStream_tbEUljE_ZNSN_ISO_Lb0ESQ_SR_ST_SU_SY_EESZ_S10_S11_S12_S16_S17_S18_S1B_S1C_jS1D_jS1E_S1E_jjS1G_bEUljE0_EEESZ_S10_S11_S18_S1C_S1E_T6_T7_T9_mT8_S1G_bDpT10_ENKUlT_T0_E_clISt17integral_constantIbLb0EES1T_IbLb1EEEEDaS1P_S1Q_EUlS1P_E_NS1_11comp_targetILNS1_3genE0ELNS1_11target_archE4294967295ELNS1_3gpuE0ELNS1_3repE0EEENS1_30default_config_static_selectorELNS0_4arch9wavefront6targetE0EEEvS12_, .Lfunc_end350-_ZN7rocprim17ROCPRIM_400000_NS6detail17trampoline_kernelINS0_13select_configILj256ELj13ELNS0_17block_load_methodE3ELS4_3ELS4_3ELNS0_20block_scan_algorithmE0ELj4294967295EEENS1_25partition_config_selectorILNS1_17partition_subalgoE4EjNS0_10empty_typeEbEEZZNS1_14partition_implILS8_4ELb0ES6_15HIP_vector_typeIjLj2EENS0_17counting_iteratorIjlEEPS9_SG_NS0_5tupleIJPjSI_NS0_16reverse_iteratorISI_EEEEENSH_IJSG_SG_SG_EEES9_SI_JZNS1_25segmented_radix_sort_implINS0_14default_configELb0EPKaPaPKlPlN2at6native12_GLOBAL__N_18offset_tEEE10hipError_tPvRmT1_PNSt15iterator_traitsIS12_E10value_typeET2_T3_PNS13_IS18_E10value_typeET4_jRbjT5_S1E_jjP12ihipStream_tbEUljE_ZNSN_ISO_Lb0ESQ_SR_ST_SU_SY_EESZ_S10_S11_S12_S16_S17_S18_S1B_S1C_jS1D_jS1E_S1E_jjS1G_bEUljE0_EEESZ_S10_S11_S18_S1C_S1E_T6_T7_T9_mT8_S1G_bDpT10_ENKUlT_T0_E_clISt17integral_constantIbLb0EES1T_IbLb1EEEEDaS1P_S1Q_EUlS1P_E_NS1_11comp_targetILNS1_3genE0ELNS1_11target_archE4294967295ELNS1_3gpuE0ELNS1_3repE0EEENS1_30default_config_static_selectorELNS0_4arch9wavefront6targetE0EEEvS12_
                                        ; -- End function
	.set _ZN7rocprim17ROCPRIM_400000_NS6detail17trampoline_kernelINS0_13select_configILj256ELj13ELNS0_17block_load_methodE3ELS4_3ELS4_3ELNS0_20block_scan_algorithmE0ELj4294967295EEENS1_25partition_config_selectorILNS1_17partition_subalgoE4EjNS0_10empty_typeEbEEZZNS1_14partition_implILS8_4ELb0ES6_15HIP_vector_typeIjLj2EENS0_17counting_iteratorIjlEEPS9_SG_NS0_5tupleIJPjSI_NS0_16reverse_iteratorISI_EEEEENSH_IJSG_SG_SG_EEES9_SI_JZNS1_25segmented_radix_sort_implINS0_14default_configELb0EPKaPaPKlPlN2at6native12_GLOBAL__N_18offset_tEEE10hipError_tPvRmT1_PNSt15iterator_traitsIS12_E10value_typeET2_T3_PNS13_IS18_E10value_typeET4_jRbjT5_S1E_jjP12ihipStream_tbEUljE_ZNSN_ISO_Lb0ESQ_SR_ST_SU_SY_EESZ_S10_S11_S12_S16_S17_S18_S1B_S1C_jS1D_jS1E_S1E_jjS1G_bEUljE0_EEESZ_S10_S11_S18_S1C_S1E_T6_T7_T9_mT8_S1G_bDpT10_ENKUlT_T0_E_clISt17integral_constantIbLb0EES1T_IbLb1EEEEDaS1P_S1Q_EUlS1P_E_NS1_11comp_targetILNS1_3genE0ELNS1_11target_archE4294967295ELNS1_3gpuE0ELNS1_3repE0EEENS1_30default_config_static_selectorELNS0_4arch9wavefront6targetE0EEEvS12_.num_vgpr, 0
	.set _ZN7rocprim17ROCPRIM_400000_NS6detail17trampoline_kernelINS0_13select_configILj256ELj13ELNS0_17block_load_methodE3ELS4_3ELS4_3ELNS0_20block_scan_algorithmE0ELj4294967295EEENS1_25partition_config_selectorILNS1_17partition_subalgoE4EjNS0_10empty_typeEbEEZZNS1_14partition_implILS8_4ELb0ES6_15HIP_vector_typeIjLj2EENS0_17counting_iteratorIjlEEPS9_SG_NS0_5tupleIJPjSI_NS0_16reverse_iteratorISI_EEEEENSH_IJSG_SG_SG_EEES9_SI_JZNS1_25segmented_radix_sort_implINS0_14default_configELb0EPKaPaPKlPlN2at6native12_GLOBAL__N_18offset_tEEE10hipError_tPvRmT1_PNSt15iterator_traitsIS12_E10value_typeET2_T3_PNS13_IS18_E10value_typeET4_jRbjT5_S1E_jjP12ihipStream_tbEUljE_ZNSN_ISO_Lb0ESQ_SR_ST_SU_SY_EESZ_S10_S11_S12_S16_S17_S18_S1B_S1C_jS1D_jS1E_S1E_jjS1G_bEUljE0_EEESZ_S10_S11_S18_S1C_S1E_T6_T7_T9_mT8_S1G_bDpT10_ENKUlT_T0_E_clISt17integral_constantIbLb0EES1T_IbLb1EEEEDaS1P_S1Q_EUlS1P_E_NS1_11comp_targetILNS1_3genE0ELNS1_11target_archE4294967295ELNS1_3gpuE0ELNS1_3repE0EEENS1_30default_config_static_selectorELNS0_4arch9wavefront6targetE0EEEvS12_.num_agpr, 0
	.set _ZN7rocprim17ROCPRIM_400000_NS6detail17trampoline_kernelINS0_13select_configILj256ELj13ELNS0_17block_load_methodE3ELS4_3ELS4_3ELNS0_20block_scan_algorithmE0ELj4294967295EEENS1_25partition_config_selectorILNS1_17partition_subalgoE4EjNS0_10empty_typeEbEEZZNS1_14partition_implILS8_4ELb0ES6_15HIP_vector_typeIjLj2EENS0_17counting_iteratorIjlEEPS9_SG_NS0_5tupleIJPjSI_NS0_16reverse_iteratorISI_EEEEENSH_IJSG_SG_SG_EEES9_SI_JZNS1_25segmented_radix_sort_implINS0_14default_configELb0EPKaPaPKlPlN2at6native12_GLOBAL__N_18offset_tEEE10hipError_tPvRmT1_PNSt15iterator_traitsIS12_E10value_typeET2_T3_PNS13_IS18_E10value_typeET4_jRbjT5_S1E_jjP12ihipStream_tbEUljE_ZNSN_ISO_Lb0ESQ_SR_ST_SU_SY_EESZ_S10_S11_S12_S16_S17_S18_S1B_S1C_jS1D_jS1E_S1E_jjS1G_bEUljE0_EEESZ_S10_S11_S18_S1C_S1E_T6_T7_T9_mT8_S1G_bDpT10_ENKUlT_T0_E_clISt17integral_constantIbLb0EES1T_IbLb1EEEEDaS1P_S1Q_EUlS1P_E_NS1_11comp_targetILNS1_3genE0ELNS1_11target_archE4294967295ELNS1_3gpuE0ELNS1_3repE0EEENS1_30default_config_static_selectorELNS0_4arch9wavefront6targetE0EEEvS12_.numbered_sgpr, 0
	.set _ZN7rocprim17ROCPRIM_400000_NS6detail17trampoline_kernelINS0_13select_configILj256ELj13ELNS0_17block_load_methodE3ELS4_3ELS4_3ELNS0_20block_scan_algorithmE0ELj4294967295EEENS1_25partition_config_selectorILNS1_17partition_subalgoE4EjNS0_10empty_typeEbEEZZNS1_14partition_implILS8_4ELb0ES6_15HIP_vector_typeIjLj2EENS0_17counting_iteratorIjlEEPS9_SG_NS0_5tupleIJPjSI_NS0_16reverse_iteratorISI_EEEEENSH_IJSG_SG_SG_EEES9_SI_JZNS1_25segmented_radix_sort_implINS0_14default_configELb0EPKaPaPKlPlN2at6native12_GLOBAL__N_18offset_tEEE10hipError_tPvRmT1_PNSt15iterator_traitsIS12_E10value_typeET2_T3_PNS13_IS18_E10value_typeET4_jRbjT5_S1E_jjP12ihipStream_tbEUljE_ZNSN_ISO_Lb0ESQ_SR_ST_SU_SY_EESZ_S10_S11_S12_S16_S17_S18_S1B_S1C_jS1D_jS1E_S1E_jjS1G_bEUljE0_EEESZ_S10_S11_S18_S1C_S1E_T6_T7_T9_mT8_S1G_bDpT10_ENKUlT_T0_E_clISt17integral_constantIbLb0EES1T_IbLb1EEEEDaS1P_S1Q_EUlS1P_E_NS1_11comp_targetILNS1_3genE0ELNS1_11target_archE4294967295ELNS1_3gpuE0ELNS1_3repE0EEENS1_30default_config_static_selectorELNS0_4arch9wavefront6targetE0EEEvS12_.num_named_barrier, 0
	.set _ZN7rocprim17ROCPRIM_400000_NS6detail17trampoline_kernelINS0_13select_configILj256ELj13ELNS0_17block_load_methodE3ELS4_3ELS4_3ELNS0_20block_scan_algorithmE0ELj4294967295EEENS1_25partition_config_selectorILNS1_17partition_subalgoE4EjNS0_10empty_typeEbEEZZNS1_14partition_implILS8_4ELb0ES6_15HIP_vector_typeIjLj2EENS0_17counting_iteratorIjlEEPS9_SG_NS0_5tupleIJPjSI_NS0_16reverse_iteratorISI_EEEEENSH_IJSG_SG_SG_EEES9_SI_JZNS1_25segmented_radix_sort_implINS0_14default_configELb0EPKaPaPKlPlN2at6native12_GLOBAL__N_18offset_tEEE10hipError_tPvRmT1_PNSt15iterator_traitsIS12_E10value_typeET2_T3_PNS13_IS18_E10value_typeET4_jRbjT5_S1E_jjP12ihipStream_tbEUljE_ZNSN_ISO_Lb0ESQ_SR_ST_SU_SY_EESZ_S10_S11_S12_S16_S17_S18_S1B_S1C_jS1D_jS1E_S1E_jjS1G_bEUljE0_EEESZ_S10_S11_S18_S1C_S1E_T6_T7_T9_mT8_S1G_bDpT10_ENKUlT_T0_E_clISt17integral_constantIbLb0EES1T_IbLb1EEEEDaS1P_S1Q_EUlS1P_E_NS1_11comp_targetILNS1_3genE0ELNS1_11target_archE4294967295ELNS1_3gpuE0ELNS1_3repE0EEENS1_30default_config_static_selectorELNS0_4arch9wavefront6targetE0EEEvS12_.private_seg_size, 0
	.set _ZN7rocprim17ROCPRIM_400000_NS6detail17trampoline_kernelINS0_13select_configILj256ELj13ELNS0_17block_load_methodE3ELS4_3ELS4_3ELNS0_20block_scan_algorithmE0ELj4294967295EEENS1_25partition_config_selectorILNS1_17partition_subalgoE4EjNS0_10empty_typeEbEEZZNS1_14partition_implILS8_4ELb0ES6_15HIP_vector_typeIjLj2EENS0_17counting_iteratorIjlEEPS9_SG_NS0_5tupleIJPjSI_NS0_16reverse_iteratorISI_EEEEENSH_IJSG_SG_SG_EEES9_SI_JZNS1_25segmented_radix_sort_implINS0_14default_configELb0EPKaPaPKlPlN2at6native12_GLOBAL__N_18offset_tEEE10hipError_tPvRmT1_PNSt15iterator_traitsIS12_E10value_typeET2_T3_PNS13_IS18_E10value_typeET4_jRbjT5_S1E_jjP12ihipStream_tbEUljE_ZNSN_ISO_Lb0ESQ_SR_ST_SU_SY_EESZ_S10_S11_S12_S16_S17_S18_S1B_S1C_jS1D_jS1E_S1E_jjS1G_bEUljE0_EEESZ_S10_S11_S18_S1C_S1E_T6_T7_T9_mT8_S1G_bDpT10_ENKUlT_T0_E_clISt17integral_constantIbLb0EES1T_IbLb1EEEEDaS1P_S1Q_EUlS1P_E_NS1_11comp_targetILNS1_3genE0ELNS1_11target_archE4294967295ELNS1_3gpuE0ELNS1_3repE0EEENS1_30default_config_static_selectorELNS0_4arch9wavefront6targetE0EEEvS12_.uses_vcc, 0
	.set _ZN7rocprim17ROCPRIM_400000_NS6detail17trampoline_kernelINS0_13select_configILj256ELj13ELNS0_17block_load_methodE3ELS4_3ELS4_3ELNS0_20block_scan_algorithmE0ELj4294967295EEENS1_25partition_config_selectorILNS1_17partition_subalgoE4EjNS0_10empty_typeEbEEZZNS1_14partition_implILS8_4ELb0ES6_15HIP_vector_typeIjLj2EENS0_17counting_iteratorIjlEEPS9_SG_NS0_5tupleIJPjSI_NS0_16reverse_iteratorISI_EEEEENSH_IJSG_SG_SG_EEES9_SI_JZNS1_25segmented_radix_sort_implINS0_14default_configELb0EPKaPaPKlPlN2at6native12_GLOBAL__N_18offset_tEEE10hipError_tPvRmT1_PNSt15iterator_traitsIS12_E10value_typeET2_T3_PNS13_IS18_E10value_typeET4_jRbjT5_S1E_jjP12ihipStream_tbEUljE_ZNSN_ISO_Lb0ESQ_SR_ST_SU_SY_EESZ_S10_S11_S12_S16_S17_S18_S1B_S1C_jS1D_jS1E_S1E_jjS1G_bEUljE0_EEESZ_S10_S11_S18_S1C_S1E_T6_T7_T9_mT8_S1G_bDpT10_ENKUlT_T0_E_clISt17integral_constantIbLb0EES1T_IbLb1EEEEDaS1P_S1Q_EUlS1P_E_NS1_11comp_targetILNS1_3genE0ELNS1_11target_archE4294967295ELNS1_3gpuE0ELNS1_3repE0EEENS1_30default_config_static_selectorELNS0_4arch9wavefront6targetE0EEEvS12_.uses_flat_scratch, 0
	.set _ZN7rocprim17ROCPRIM_400000_NS6detail17trampoline_kernelINS0_13select_configILj256ELj13ELNS0_17block_load_methodE3ELS4_3ELS4_3ELNS0_20block_scan_algorithmE0ELj4294967295EEENS1_25partition_config_selectorILNS1_17partition_subalgoE4EjNS0_10empty_typeEbEEZZNS1_14partition_implILS8_4ELb0ES6_15HIP_vector_typeIjLj2EENS0_17counting_iteratorIjlEEPS9_SG_NS0_5tupleIJPjSI_NS0_16reverse_iteratorISI_EEEEENSH_IJSG_SG_SG_EEES9_SI_JZNS1_25segmented_radix_sort_implINS0_14default_configELb0EPKaPaPKlPlN2at6native12_GLOBAL__N_18offset_tEEE10hipError_tPvRmT1_PNSt15iterator_traitsIS12_E10value_typeET2_T3_PNS13_IS18_E10value_typeET4_jRbjT5_S1E_jjP12ihipStream_tbEUljE_ZNSN_ISO_Lb0ESQ_SR_ST_SU_SY_EESZ_S10_S11_S12_S16_S17_S18_S1B_S1C_jS1D_jS1E_S1E_jjS1G_bEUljE0_EEESZ_S10_S11_S18_S1C_S1E_T6_T7_T9_mT8_S1G_bDpT10_ENKUlT_T0_E_clISt17integral_constantIbLb0EES1T_IbLb1EEEEDaS1P_S1Q_EUlS1P_E_NS1_11comp_targetILNS1_3genE0ELNS1_11target_archE4294967295ELNS1_3gpuE0ELNS1_3repE0EEENS1_30default_config_static_selectorELNS0_4arch9wavefront6targetE0EEEvS12_.has_dyn_sized_stack, 0
	.set _ZN7rocprim17ROCPRIM_400000_NS6detail17trampoline_kernelINS0_13select_configILj256ELj13ELNS0_17block_load_methodE3ELS4_3ELS4_3ELNS0_20block_scan_algorithmE0ELj4294967295EEENS1_25partition_config_selectorILNS1_17partition_subalgoE4EjNS0_10empty_typeEbEEZZNS1_14partition_implILS8_4ELb0ES6_15HIP_vector_typeIjLj2EENS0_17counting_iteratorIjlEEPS9_SG_NS0_5tupleIJPjSI_NS0_16reverse_iteratorISI_EEEEENSH_IJSG_SG_SG_EEES9_SI_JZNS1_25segmented_radix_sort_implINS0_14default_configELb0EPKaPaPKlPlN2at6native12_GLOBAL__N_18offset_tEEE10hipError_tPvRmT1_PNSt15iterator_traitsIS12_E10value_typeET2_T3_PNS13_IS18_E10value_typeET4_jRbjT5_S1E_jjP12ihipStream_tbEUljE_ZNSN_ISO_Lb0ESQ_SR_ST_SU_SY_EESZ_S10_S11_S12_S16_S17_S18_S1B_S1C_jS1D_jS1E_S1E_jjS1G_bEUljE0_EEESZ_S10_S11_S18_S1C_S1E_T6_T7_T9_mT8_S1G_bDpT10_ENKUlT_T0_E_clISt17integral_constantIbLb0EES1T_IbLb1EEEEDaS1P_S1Q_EUlS1P_E_NS1_11comp_targetILNS1_3genE0ELNS1_11target_archE4294967295ELNS1_3gpuE0ELNS1_3repE0EEENS1_30default_config_static_selectorELNS0_4arch9wavefront6targetE0EEEvS12_.has_recursion, 0
	.set _ZN7rocprim17ROCPRIM_400000_NS6detail17trampoline_kernelINS0_13select_configILj256ELj13ELNS0_17block_load_methodE3ELS4_3ELS4_3ELNS0_20block_scan_algorithmE0ELj4294967295EEENS1_25partition_config_selectorILNS1_17partition_subalgoE4EjNS0_10empty_typeEbEEZZNS1_14partition_implILS8_4ELb0ES6_15HIP_vector_typeIjLj2EENS0_17counting_iteratorIjlEEPS9_SG_NS0_5tupleIJPjSI_NS0_16reverse_iteratorISI_EEEEENSH_IJSG_SG_SG_EEES9_SI_JZNS1_25segmented_radix_sort_implINS0_14default_configELb0EPKaPaPKlPlN2at6native12_GLOBAL__N_18offset_tEEE10hipError_tPvRmT1_PNSt15iterator_traitsIS12_E10value_typeET2_T3_PNS13_IS18_E10value_typeET4_jRbjT5_S1E_jjP12ihipStream_tbEUljE_ZNSN_ISO_Lb0ESQ_SR_ST_SU_SY_EESZ_S10_S11_S12_S16_S17_S18_S1B_S1C_jS1D_jS1E_S1E_jjS1G_bEUljE0_EEESZ_S10_S11_S18_S1C_S1E_T6_T7_T9_mT8_S1G_bDpT10_ENKUlT_T0_E_clISt17integral_constantIbLb0EES1T_IbLb1EEEEDaS1P_S1Q_EUlS1P_E_NS1_11comp_targetILNS1_3genE0ELNS1_11target_archE4294967295ELNS1_3gpuE0ELNS1_3repE0EEENS1_30default_config_static_selectorELNS0_4arch9wavefront6targetE0EEEvS12_.has_indirect_call, 0
	.section	.AMDGPU.csdata,"",@progbits
; Kernel info:
; codeLenInByte = 0
; TotalNumSgprs: 0
; NumVgprs: 0
; ScratchSize: 0
; MemoryBound: 0
; FloatMode: 240
; IeeeMode: 1
; LDSByteSize: 0 bytes/workgroup (compile time only)
; SGPRBlocks: 0
; VGPRBlocks: 0
; NumSGPRsForWavesPerEU: 1
; NumVGPRsForWavesPerEU: 1
; Occupancy: 16
; WaveLimiterHint : 0
; COMPUTE_PGM_RSRC2:SCRATCH_EN: 0
; COMPUTE_PGM_RSRC2:USER_SGPR: 6
; COMPUTE_PGM_RSRC2:TRAP_HANDLER: 0
; COMPUTE_PGM_RSRC2:TGID_X_EN: 1
; COMPUTE_PGM_RSRC2:TGID_Y_EN: 0
; COMPUTE_PGM_RSRC2:TGID_Z_EN: 0
; COMPUTE_PGM_RSRC2:TIDIG_COMP_CNT: 0
	.section	.text._ZN7rocprim17ROCPRIM_400000_NS6detail17trampoline_kernelINS0_13select_configILj256ELj13ELNS0_17block_load_methodE3ELS4_3ELS4_3ELNS0_20block_scan_algorithmE0ELj4294967295EEENS1_25partition_config_selectorILNS1_17partition_subalgoE4EjNS0_10empty_typeEbEEZZNS1_14partition_implILS8_4ELb0ES6_15HIP_vector_typeIjLj2EENS0_17counting_iteratorIjlEEPS9_SG_NS0_5tupleIJPjSI_NS0_16reverse_iteratorISI_EEEEENSH_IJSG_SG_SG_EEES9_SI_JZNS1_25segmented_radix_sort_implINS0_14default_configELb0EPKaPaPKlPlN2at6native12_GLOBAL__N_18offset_tEEE10hipError_tPvRmT1_PNSt15iterator_traitsIS12_E10value_typeET2_T3_PNS13_IS18_E10value_typeET4_jRbjT5_S1E_jjP12ihipStream_tbEUljE_ZNSN_ISO_Lb0ESQ_SR_ST_SU_SY_EESZ_S10_S11_S12_S16_S17_S18_S1B_S1C_jS1D_jS1E_S1E_jjS1G_bEUljE0_EEESZ_S10_S11_S18_S1C_S1E_T6_T7_T9_mT8_S1G_bDpT10_ENKUlT_T0_E_clISt17integral_constantIbLb0EES1T_IbLb1EEEEDaS1P_S1Q_EUlS1P_E_NS1_11comp_targetILNS1_3genE5ELNS1_11target_archE942ELNS1_3gpuE9ELNS1_3repE0EEENS1_30default_config_static_selectorELNS0_4arch9wavefront6targetE0EEEvS12_,"axG",@progbits,_ZN7rocprim17ROCPRIM_400000_NS6detail17trampoline_kernelINS0_13select_configILj256ELj13ELNS0_17block_load_methodE3ELS4_3ELS4_3ELNS0_20block_scan_algorithmE0ELj4294967295EEENS1_25partition_config_selectorILNS1_17partition_subalgoE4EjNS0_10empty_typeEbEEZZNS1_14partition_implILS8_4ELb0ES6_15HIP_vector_typeIjLj2EENS0_17counting_iteratorIjlEEPS9_SG_NS0_5tupleIJPjSI_NS0_16reverse_iteratorISI_EEEEENSH_IJSG_SG_SG_EEES9_SI_JZNS1_25segmented_radix_sort_implINS0_14default_configELb0EPKaPaPKlPlN2at6native12_GLOBAL__N_18offset_tEEE10hipError_tPvRmT1_PNSt15iterator_traitsIS12_E10value_typeET2_T3_PNS13_IS18_E10value_typeET4_jRbjT5_S1E_jjP12ihipStream_tbEUljE_ZNSN_ISO_Lb0ESQ_SR_ST_SU_SY_EESZ_S10_S11_S12_S16_S17_S18_S1B_S1C_jS1D_jS1E_S1E_jjS1G_bEUljE0_EEESZ_S10_S11_S18_S1C_S1E_T6_T7_T9_mT8_S1G_bDpT10_ENKUlT_T0_E_clISt17integral_constantIbLb0EES1T_IbLb1EEEEDaS1P_S1Q_EUlS1P_E_NS1_11comp_targetILNS1_3genE5ELNS1_11target_archE942ELNS1_3gpuE9ELNS1_3repE0EEENS1_30default_config_static_selectorELNS0_4arch9wavefront6targetE0EEEvS12_,comdat
	.globl	_ZN7rocprim17ROCPRIM_400000_NS6detail17trampoline_kernelINS0_13select_configILj256ELj13ELNS0_17block_load_methodE3ELS4_3ELS4_3ELNS0_20block_scan_algorithmE0ELj4294967295EEENS1_25partition_config_selectorILNS1_17partition_subalgoE4EjNS0_10empty_typeEbEEZZNS1_14partition_implILS8_4ELb0ES6_15HIP_vector_typeIjLj2EENS0_17counting_iteratorIjlEEPS9_SG_NS0_5tupleIJPjSI_NS0_16reverse_iteratorISI_EEEEENSH_IJSG_SG_SG_EEES9_SI_JZNS1_25segmented_radix_sort_implINS0_14default_configELb0EPKaPaPKlPlN2at6native12_GLOBAL__N_18offset_tEEE10hipError_tPvRmT1_PNSt15iterator_traitsIS12_E10value_typeET2_T3_PNS13_IS18_E10value_typeET4_jRbjT5_S1E_jjP12ihipStream_tbEUljE_ZNSN_ISO_Lb0ESQ_SR_ST_SU_SY_EESZ_S10_S11_S12_S16_S17_S18_S1B_S1C_jS1D_jS1E_S1E_jjS1G_bEUljE0_EEESZ_S10_S11_S18_S1C_S1E_T6_T7_T9_mT8_S1G_bDpT10_ENKUlT_T0_E_clISt17integral_constantIbLb0EES1T_IbLb1EEEEDaS1P_S1Q_EUlS1P_E_NS1_11comp_targetILNS1_3genE5ELNS1_11target_archE942ELNS1_3gpuE9ELNS1_3repE0EEENS1_30default_config_static_selectorELNS0_4arch9wavefront6targetE0EEEvS12_ ; -- Begin function _ZN7rocprim17ROCPRIM_400000_NS6detail17trampoline_kernelINS0_13select_configILj256ELj13ELNS0_17block_load_methodE3ELS4_3ELS4_3ELNS0_20block_scan_algorithmE0ELj4294967295EEENS1_25partition_config_selectorILNS1_17partition_subalgoE4EjNS0_10empty_typeEbEEZZNS1_14partition_implILS8_4ELb0ES6_15HIP_vector_typeIjLj2EENS0_17counting_iteratorIjlEEPS9_SG_NS0_5tupleIJPjSI_NS0_16reverse_iteratorISI_EEEEENSH_IJSG_SG_SG_EEES9_SI_JZNS1_25segmented_radix_sort_implINS0_14default_configELb0EPKaPaPKlPlN2at6native12_GLOBAL__N_18offset_tEEE10hipError_tPvRmT1_PNSt15iterator_traitsIS12_E10value_typeET2_T3_PNS13_IS18_E10value_typeET4_jRbjT5_S1E_jjP12ihipStream_tbEUljE_ZNSN_ISO_Lb0ESQ_SR_ST_SU_SY_EESZ_S10_S11_S12_S16_S17_S18_S1B_S1C_jS1D_jS1E_S1E_jjS1G_bEUljE0_EEESZ_S10_S11_S18_S1C_S1E_T6_T7_T9_mT8_S1G_bDpT10_ENKUlT_T0_E_clISt17integral_constantIbLb0EES1T_IbLb1EEEEDaS1P_S1Q_EUlS1P_E_NS1_11comp_targetILNS1_3genE5ELNS1_11target_archE942ELNS1_3gpuE9ELNS1_3repE0EEENS1_30default_config_static_selectorELNS0_4arch9wavefront6targetE0EEEvS12_
	.p2align	8
	.type	_ZN7rocprim17ROCPRIM_400000_NS6detail17trampoline_kernelINS0_13select_configILj256ELj13ELNS0_17block_load_methodE3ELS4_3ELS4_3ELNS0_20block_scan_algorithmE0ELj4294967295EEENS1_25partition_config_selectorILNS1_17partition_subalgoE4EjNS0_10empty_typeEbEEZZNS1_14partition_implILS8_4ELb0ES6_15HIP_vector_typeIjLj2EENS0_17counting_iteratorIjlEEPS9_SG_NS0_5tupleIJPjSI_NS0_16reverse_iteratorISI_EEEEENSH_IJSG_SG_SG_EEES9_SI_JZNS1_25segmented_radix_sort_implINS0_14default_configELb0EPKaPaPKlPlN2at6native12_GLOBAL__N_18offset_tEEE10hipError_tPvRmT1_PNSt15iterator_traitsIS12_E10value_typeET2_T3_PNS13_IS18_E10value_typeET4_jRbjT5_S1E_jjP12ihipStream_tbEUljE_ZNSN_ISO_Lb0ESQ_SR_ST_SU_SY_EESZ_S10_S11_S12_S16_S17_S18_S1B_S1C_jS1D_jS1E_S1E_jjS1G_bEUljE0_EEESZ_S10_S11_S18_S1C_S1E_T6_T7_T9_mT8_S1G_bDpT10_ENKUlT_T0_E_clISt17integral_constantIbLb0EES1T_IbLb1EEEEDaS1P_S1Q_EUlS1P_E_NS1_11comp_targetILNS1_3genE5ELNS1_11target_archE942ELNS1_3gpuE9ELNS1_3repE0EEENS1_30default_config_static_selectorELNS0_4arch9wavefront6targetE0EEEvS12_,@function
_ZN7rocprim17ROCPRIM_400000_NS6detail17trampoline_kernelINS0_13select_configILj256ELj13ELNS0_17block_load_methodE3ELS4_3ELS4_3ELNS0_20block_scan_algorithmE0ELj4294967295EEENS1_25partition_config_selectorILNS1_17partition_subalgoE4EjNS0_10empty_typeEbEEZZNS1_14partition_implILS8_4ELb0ES6_15HIP_vector_typeIjLj2EENS0_17counting_iteratorIjlEEPS9_SG_NS0_5tupleIJPjSI_NS0_16reverse_iteratorISI_EEEEENSH_IJSG_SG_SG_EEES9_SI_JZNS1_25segmented_radix_sort_implINS0_14default_configELb0EPKaPaPKlPlN2at6native12_GLOBAL__N_18offset_tEEE10hipError_tPvRmT1_PNSt15iterator_traitsIS12_E10value_typeET2_T3_PNS13_IS18_E10value_typeET4_jRbjT5_S1E_jjP12ihipStream_tbEUljE_ZNSN_ISO_Lb0ESQ_SR_ST_SU_SY_EESZ_S10_S11_S12_S16_S17_S18_S1B_S1C_jS1D_jS1E_S1E_jjS1G_bEUljE0_EEESZ_S10_S11_S18_S1C_S1E_T6_T7_T9_mT8_S1G_bDpT10_ENKUlT_T0_E_clISt17integral_constantIbLb0EES1T_IbLb1EEEEDaS1P_S1Q_EUlS1P_E_NS1_11comp_targetILNS1_3genE5ELNS1_11target_archE942ELNS1_3gpuE9ELNS1_3repE0EEENS1_30default_config_static_selectorELNS0_4arch9wavefront6targetE0EEEvS12_: ; @_ZN7rocprim17ROCPRIM_400000_NS6detail17trampoline_kernelINS0_13select_configILj256ELj13ELNS0_17block_load_methodE3ELS4_3ELS4_3ELNS0_20block_scan_algorithmE0ELj4294967295EEENS1_25partition_config_selectorILNS1_17partition_subalgoE4EjNS0_10empty_typeEbEEZZNS1_14partition_implILS8_4ELb0ES6_15HIP_vector_typeIjLj2EENS0_17counting_iteratorIjlEEPS9_SG_NS0_5tupleIJPjSI_NS0_16reverse_iteratorISI_EEEEENSH_IJSG_SG_SG_EEES9_SI_JZNS1_25segmented_radix_sort_implINS0_14default_configELb0EPKaPaPKlPlN2at6native12_GLOBAL__N_18offset_tEEE10hipError_tPvRmT1_PNSt15iterator_traitsIS12_E10value_typeET2_T3_PNS13_IS18_E10value_typeET4_jRbjT5_S1E_jjP12ihipStream_tbEUljE_ZNSN_ISO_Lb0ESQ_SR_ST_SU_SY_EESZ_S10_S11_S12_S16_S17_S18_S1B_S1C_jS1D_jS1E_S1E_jjS1G_bEUljE0_EEESZ_S10_S11_S18_S1C_S1E_T6_T7_T9_mT8_S1G_bDpT10_ENKUlT_T0_E_clISt17integral_constantIbLb0EES1T_IbLb1EEEEDaS1P_S1Q_EUlS1P_E_NS1_11comp_targetILNS1_3genE5ELNS1_11target_archE942ELNS1_3gpuE9ELNS1_3repE0EEENS1_30default_config_static_selectorELNS0_4arch9wavefront6targetE0EEEvS12_
; %bb.0:
	.section	.rodata,"a",@progbits
	.p2align	6, 0x0
	.amdhsa_kernel _ZN7rocprim17ROCPRIM_400000_NS6detail17trampoline_kernelINS0_13select_configILj256ELj13ELNS0_17block_load_methodE3ELS4_3ELS4_3ELNS0_20block_scan_algorithmE0ELj4294967295EEENS1_25partition_config_selectorILNS1_17partition_subalgoE4EjNS0_10empty_typeEbEEZZNS1_14partition_implILS8_4ELb0ES6_15HIP_vector_typeIjLj2EENS0_17counting_iteratorIjlEEPS9_SG_NS0_5tupleIJPjSI_NS0_16reverse_iteratorISI_EEEEENSH_IJSG_SG_SG_EEES9_SI_JZNS1_25segmented_radix_sort_implINS0_14default_configELb0EPKaPaPKlPlN2at6native12_GLOBAL__N_18offset_tEEE10hipError_tPvRmT1_PNSt15iterator_traitsIS12_E10value_typeET2_T3_PNS13_IS18_E10value_typeET4_jRbjT5_S1E_jjP12ihipStream_tbEUljE_ZNSN_ISO_Lb0ESQ_SR_ST_SU_SY_EESZ_S10_S11_S12_S16_S17_S18_S1B_S1C_jS1D_jS1E_S1E_jjS1G_bEUljE0_EEESZ_S10_S11_S18_S1C_S1E_T6_T7_T9_mT8_S1G_bDpT10_ENKUlT_T0_E_clISt17integral_constantIbLb0EES1T_IbLb1EEEEDaS1P_S1Q_EUlS1P_E_NS1_11comp_targetILNS1_3genE5ELNS1_11target_archE942ELNS1_3gpuE9ELNS1_3repE0EEENS1_30default_config_static_selectorELNS0_4arch9wavefront6targetE0EEEvS12_
		.amdhsa_group_segment_fixed_size 0
		.amdhsa_private_segment_fixed_size 0
		.amdhsa_kernarg_size 184
		.amdhsa_user_sgpr_count 6
		.amdhsa_user_sgpr_private_segment_buffer 1
		.amdhsa_user_sgpr_dispatch_ptr 0
		.amdhsa_user_sgpr_queue_ptr 0
		.amdhsa_user_sgpr_kernarg_segment_ptr 1
		.amdhsa_user_sgpr_dispatch_id 0
		.amdhsa_user_sgpr_flat_scratch_init 0
		.amdhsa_user_sgpr_private_segment_size 0
		.amdhsa_wavefront_size32 1
		.amdhsa_uses_dynamic_stack 0
		.amdhsa_system_sgpr_private_segment_wavefront_offset 0
		.amdhsa_system_sgpr_workgroup_id_x 1
		.amdhsa_system_sgpr_workgroup_id_y 0
		.amdhsa_system_sgpr_workgroup_id_z 0
		.amdhsa_system_sgpr_workgroup_info 0
		.amdhsa_system_vgpr_workitem_id 0
		.amdhsa_next_free_vgpr 1
		.amdhsa_next_free_sgpr 1
		.amdhsa_reserve_vcc 0
		.amdhsa_reserve_flat_scratch 0
		.amdhsa_float_round_mode_32 0
		.amdhsa_float_round_mode_16_64 0
		.amdhsa_float_denorm_mode_32 3
		.amdhsa_float_denorm_mode_16_64 3
		.amdhsa_dx10_clamp 1
		.amdhsa_ieee_mode 1
		.amdhsa_fp16_overflow 0
		.amdhsa_workgroup_processor_mode 1
		.amdhsa_memory_ordered 1
		.amdhsa_forward_progress 1
		.amdhsa_shared_vgpr_count 0
		.amdhsa_exception_fp_ieee_invalid_op 0
		.amdhsa_exception_fp_denorm_src 0
		.amdhsa_exception_fp_ieee_div_zero 0
		.amdhsa_exception_fp_ieee_overflow 0
		.amdhsa_exception_fp_ieee_underflow 0
		.amdhsa_exception_fp_ieee_inexact 0
		.amdhsa_exception_int_div_zero 0
	.end_amdhsa_kernel
	.section	.text._ZN7rocprim17ROCPRIM_400000_NS6detail17trampoline_kernelINS0_13select_configILj256ELj13ELNS0_17block_load_methodE3ELS4_3ELS4_3ELNS0_20block_scan_algorithmE0ELj4294967295EEENS1_25partition_config_selectorILNS1_17partition_subalgoE4EjNS0_10empty_typeEbEEZZNS1_14partition_implILS8_4ELb0ES6_15HIP_vector_typeIjLj2EENS0_17counting_iteratorIjlEEPS9_SG_NS0_5tupleIJPjSI_NS0_16reverse_iteratorISI_EEEEENSH_IJSG_SG_SG_EEES9_SI_JZNS1_25segmented_radix_sort_implINS0_14default_configELb0EPKaPaPKlPlN2at6native12_GLOBAL__N_18offset_tEEE10hipError_tPvRmT1_PNSt15iterator_traitsIS12_E10value_typeET2_T3_PNS13_IS18_E10value_typeET4_jRbjT5_S1E_jjP12ihipStream_tbEUljE_ZNSN_ISO_Lb0ESQ_SR_ST_SU_SY_EESZ_S10_S11_S12_S16_S17_S18_S1B_S1C_jS1D_jS1E_S1E_jjS1G_bEUljE0_EEESZ_S10_S11_S18_S1C_S1E_T6_T7_T9_mT8_S1G_bDpT10_ENKUlT_T0_E_clISt17integral_constantIbLb0EES1T_IbLb1EEEEDaS1P_S1Q_EUlS1P_E_NS1_11comp_targetILNS1_3genE5ELNS1_11target_archE942ELNS1_3gpuE9ELNS1_3repE0EEENS1_30default_config_static_selectorELNS0_4arch9wavefront6targetE0EEEvS12_,"axG",@progbits,_ZN7rocprim17ROCPRIM_400000_NS6detail17trampoline_kernelINS0_13select_configILj256ELj13ELNS0_17block_load_methodE3ELS4_3ELS4_3ELNS0_20block_scan_algorithmE0ELj4294967295EEENS1_25partition_config_selectorILNS1_17partition_subalgoE4EjNS0_10empty_typeEbEEZZNS1_14partition_implILS8_4ELb0ES6_15HIP_vector_typeIjLj2EENS0_17counting_iteratorIjlEEPS9_SG_NS0_5tupleIJPjSI_NS0_16reverse_iteratorISI_EEEEENSH_IJSG_SG_SG_EEES9_SI_JZNS1_25segmented_radix_sort_implINS0_14default_configELb0EPKaPaPKlPlN2at6native12_GLOBAL__N_18offset_tEEE10hipError_tPvRmT1_PNSt15iterator_traitsIS12_E10value_typeET2_T3_PNS13_IS18_E10value_typeET4_jRbjT5_S1E_jjP12ihipStream_tbEUljE_ZNSN_ISO_Lb0ESQ_SR_ST_SU_SY_EESZ_S10_S11_S12_S16_S17_S18_S1B_S1C_jS1D_jS1E_S1E_jjS1G_bEUljE0_EEESZ_S10_S11_S18_S1C_S1E_T6_T7_T9_mT8_S1G_bDpT10_ENKUlT_T0_E_clISt17integral_constantIbLb0EES1T_IbLb1EEEEDaS1P_S1Q_EUlS1P_E_NS1_11comp_targetILNS1_3genE5ELNS1_11target_archE942ELNS1_3gpuE9ELNS1_3repE0EEENS1_30default_config_static_selectorELNS0_4arch9wavefront6targetE0EEEvS12_,comdat
.Lfunc_end351:
	.size	_ZN7rocprim17ROCPRIM_400000_NS6detail17trampoline_kernelINS0_13select_configILj256ELj13ELNS0_17block_load_methodE3ELS4_3ELS4_3ELNS0_20block_scan_algorithmE0ELj4294967295EEENS1_25partition_config_selectorILNS1_17partition_subalgoE4EjNS0_10empty_typeEbEEZZNS1_14partition_implILS8_4ELb0ES6_15HIP_vector_typeIjLj2EENS0_17counting_iteratorIjlEEPS9_SG_NS0_5tupleIJPjSI_NS0_16reverse_iteratorISI_EEEEENSH_IJSG_SG_SG_EEES9_SI_JZNS1_25segmented_radix_sort_implINS0_14default_configELb0EPKaPaPKlPlN2at6native12_GLOBAL__N_18offset_tEEE10hipError_tPvRmT1_PNSt15iterator_traitsIS12_E10value_typeET2_T3_PNS13_IS18_E10value_typeET4_jRbjT5_S1E_jjP12ihipStream_tbEUljE_ZNSN_ISO_Lb0ESQ_SR_ST_SU_SY_EESZ_S10_S11_S12_S16_S17_S18_S1B_S1C_jS1D_jS1E_S1E_jjS1G_bEUljE0_EEESZ_S10_S11_S18_S1C_S1E_T6_T7_T9_mT8_S1G_bDpT10_ENKUlT_T0_E_clISt17integral_constantIbLb0EES1T_IbLb1EEEEDaS1P_S1Q_EUlS1P_E_NS1_11comp_targetILNS1_3genE5ELNS1_11target_archE942ELNS1_3gpuE9ELNS1_3repE0EEENS1_30default_config_static_selectorELNS0_4arch9wavefront6targetE0EEEvS12_, .Lfunc_end351-_ZN7rocprim17ROCPRIM_400000_NS6detail17trampoline_kernelINS0_13select_configILj256ELj13ELNS0_17block_load_methodE3ELS4_3ELS4_3ELNS0_20block_scan_algorithmE0ELj4294967295EEENS1_25partition_config_selectorILNS1_17partition_subalgoE4EjNS0_10empty_typeEbEEZZNS1_14partition_implILS8_4ELb0ES6_15HIP_vector_typeIjLj2EENS0_17counting_iteratorIjlEEPS9_SG_NS0_5tupleIJPjSI_NS0_16reverse_iteratorISI_EEEEENSH_IJSG_SG_SG_EEES9_SI_JZNS1_25segmented_radix_sort_implINS0_14default_configELb0EPKaPaPKlPlN2at6native12_GLOBAL__N_18offset_tEEE10hipError_tPvRmT1_PNSt15iterator_traitsIS12_E10value_typeET2_T3_PNS13_IS18_E10value_typeET4_jRbjT5_S1E_jjP12ihipStream_tbEUljE_ZNSN_ISO_Lb0ESQ_SR_ST_SU_SY_EESZ_S10_S11_S12_S16_S17_S18_S1B_S1C_jS1D_jS1E_S1E_jjS1G_bEUljE0_EEESZ_S10_S11_S18_S1C_S1E_T6_T7_T9_mT8_S1G_bDpT10_ENKUlT_T0_E_clISt17integral_constantIbLb0EES1T_IbLb1EEEEDaS1P_S1Q_EUlS1P_E_NS1_11comp_targetILNS1_3genE5ELNS1_11target_archE942ELNS1_3gpuE9ELNS1_3repE0EEENS1_30default_config_static_selectorELNS0_4arch9wavefront6targetE0EEEvS12_
                                        ; -- End function
	.set _ZN7rocprim17ROCPRIM_400000_NS6detail17trampoline_kernelINS0_13select_configILj256ELj13ELNS0_17block_load_methodE3ELS4_3ELS4_3ELNS0_20block_scan_algorithmE0ELj4294967295EEENS1_25partition_config_selectorILNS1_17partition_subalgoE4EjNS0_10empty_typeEbEEZZNS1_14partition_implILS8_4ELb0ES6_15HIP_vector_typeIjLj2EENS0_17counting_iteratorIjlEEPS9_SG_NS0_5tupleIJPjSI_NS0_16reverse_iteratorISI_EEEEENSH_IJSG_SG_SG_EEES9_SI_JZNS1_25segmented_radix_sort_implINS0_14default_configELb0EPKaPaPKlPlN2at6native12_GLOBAL__N_18offset_tEEE10hipError_tPvRmT1_PNSt15iterator_traitsIS12_E10value_typeET2_T3_PNS13_IS18_E10value_typeET4_jRbjT5_S1E_jjP12ihipStream_tbEUljE_ZNSN_ISO_Lb0ESQ_SR_ST_SU_SY_EESZ_S10_S11_S12_S16_S17_S18_S1B_S1C_jS1D_jS1E_S1E_jjS1G_bEUljE0_EEESZ_S10_S11_S18_S1C_S1E_T6_T7_T9_mT8_S1G_bDpT10_ENKUlT_T0_E_clISt17integral_constantIbLb0EES1T_IbLb1EEEEDaS1P_S1Q_EUlS1P_E_NS1_11comp_targetILNS1_3genE5ELNS1_11target_archE942ELNS1_3gpuE9ELNS1_3repE0EEENS1_30default_config_static_selectorELNS0_4arch9wavefront6targetE0EEEvS12_.num_vgpr, 0
	.set _ZN7rocprim17ROCPRIM_400000_NS6detail17trampoline_kernelINS0_13select_configILj256ELj13ELNS0_17block_load_methodE3ELS4_3ELS4_3ELNS0_20block_scan_algorithmE0ELj4294967295EEENS1_25partition_config_selectorILNS1_17partition_subalgoE4EjNS0_10empty_typeEbEEZZNS1_14partition_implILS8_4ELb0ES6_15HIP_vector_typeIjLj2EENS0_17counting_iteratorIjlEEPS9_SG_NS0_5tupleIJPjSI_NS0_16reverse_iteratorISI_EEEEENSH_IJSG_SG_SG_EEES9_SI_JZNS1_25segmented_radix_sort_implINS0_14default_configELb0EPKaPaPKlPlN2at6native12_GLOBAL__N_18offset_tEEE10hipError_tPvRmT1_PNSt15iterator_traitsIS12_E10value_typeET2_T3_PNS13_IS18_E10value_typeET4_jRbjT5_S1E_jjP12ihipStream_tbEUljE_ZNSN_ISO_Lb0ESQ_SR_ST_SU_SY_EESZ_S10_S11_S12_S16_S17_S18_S1B_S1C_jS1D_jS1E_S1E_jjS1G_bEUljE0_EEESZ_S10_S11_S18_S1C_S1E_T6_T7_T9_mT8_S1G_bDpT10_ENKUlT_T0_E_clISt17integral_constantIbLb0EES1T_IbLb1EEEEDaS1P_S1Q_EUlS1P_E_NS1_11comp_targetILNS1_3genE5ELNS1_11target_archE942ELNS1_3gpuE9ELNS1_3repE0EEENS1_30default_config_static_selectorELNS0_4arch9wavefront6targetE0EEEvS12_.num_agpr, 0
	.set _ZN7rocprim17ROCPRIM_400000_NS6detail17trampoline_kernelINS0_13select_configILj256ELj13ELNS0_17block_load_methodE3ELS4_3ELS4_3ELNS0_20block_scan_algorithmE0ELj4294967295EEENS1_25partition_config_selectorILNS1_17partition_subalgoE4EjNS0_10empty_typeEbEEZZNS1_14partition_implILS8_4ELb0ES6_15HIP_vector_typeIjLj2EENS0_17counting_iteratorIjlEEPS9_SG_NS0_5tupleIJPjSI_NS0_16reverse_iteratorISI_EEEEENSH_IJSG_SG_SG_EEES9_SI_JZNS1_25segmented_radix_sort_implINS0_14default_configELb0EPKaPaPKlPlN2at6native12_GLOBAL__N_18offset_tEEE10hipError_tPvRmT1_PNSt15iterator_traitsIS12_E10value_typeET2_T3_PNS13_IS18_E10value_typeET4_jRbjT5_S1E_jjP12ihipStream_tbEUljE_ZNSN_ISO_Lb0ESQ_SR_ST_SU_SY_EESZ_S10_S11_S12_S16_S17_S18_S1B_S1C_jS1D_jS1E_S1E_jjS1G_bEUljE0_EEESZ_S10_S11_S18_S1C_S1E_T6_T7_T9_mT8_S1G_bDpT10_ENKUlT_T0_E_clISt17integral_constantIbLb0EES1T_IbLb1EEEEDaS1P_S1Q_EUlS1P_E_NS1_11comp_targetILNS1_3genE5ELNS1_11target_archE942ELNS1_3gpuE9ELNS1_3repE0EEENS1_30default_config_static_selectorELNS0_4arch9wavefront6targetE0EEEvS12_.numbered_sgpr, 0
	.set _ZN7rocprim17ROCPRIM_400000_NS6detail17trampoline_kernelINS0_13select_configILj256ELj13ELNS0_17block_load_methodE3ELS4_3ELS4_3ELNS0_20block_scan_algorithmE0ELj4294967295EEENS1_25partition_config_selectorILNS1_17partition_subalgoE4EjNS0_10empty_typeEbEEZZNS1_14partition_implILS8_4ELb0ES6_15HIP_vector_typeIjLj2EENS0_17counting_iteratorIjlEEPS9_SG_NS0_5tupleIJPjSI_NS0_16reverse_iteratorISI_EEEEENSH_IJSG_SG_SG_EEES9_SI_JZNS1_25segmented_radix_sort_implINS0_14default_configELb0EPKaPaPKlPlN2at6native12_GLOBAL__N_18offset_tEEE10hipError_tPvRmT1_PNSt15iterator_traitsIS12_E10value_typeET2_T3_PNS13_IS18_E10value_typeET4_jRbjT5_S1E_jjP12ihipStream_tbEUljE_ZNSN_ISO_Lb0ESQ_SR_ST_SU_SY_EESZ_S10_S11_S12_S16_S17_S18_S1B_S1C_jS1D_jS1E_S1E_jjS1G_bEUljE0_EEESZ_S10_S11_S18_S1C_S1E_T6_T7_T9_mT8_S1G_bDpT10_ENKUlT_T0_E_clISt17integral_constantIbLb0EES1T_IbLb1EEEEDaS1P_S1Q_EUlS1P_E_NS1_11comp_targetILNS1_3genE5ELNS1_11target_archE942ELNS1_3gpuE9ELNS1_3repE0EEENS1_30default_config_static_selectorELNS0_4arch9wavefront6targetE0EEEvS12_.num_named_barrier, 0
	.set _ZN7rocprim17ROCPRIM_400000_NS6detail17trampoline_kernelINS0_13select_configILj256ELj13ELNS0_17block_load_methodE3ELS4_3ELS4_3ELNS0_20block_scan_algorithmE0ELj4294967295EEENS1_25partition_config_selectorILNS1_17partition_subalgoE4EjNS0_10empty_typeEbEEZZNS1_14partition_implILS8_4ELb0ES6_15HIP_vector_typeIjLj2EENS0_17counting_iteratorIjlEEPS9_SG_NS0_5tupleIJPjSI_NS0_16reverse_iteratorISI_EEEEENSH_IJSG_SG_SG_EEES9_SI_JZNS1_25segmented_radix_sort_implINS0_14default_configELb0EPKaPaPKlPlN2at6native12_GLOBAL__N_18offset_tEEE10hipError_tPvRmT1_PNSt15iterator_traitsIS12_E10value_typeET2_T3_PNS13_IS18_E10value_typeET4_jRbjT5_S1E_jjP12ihipStream_tbEUljE_ZNSN_ISO_Lb0ESQ_SR_ST_SU_SY_EESZ_S10_S11_S12_S16_S17_S18_S1B_S1C_jS1D_jS1E_S1E_jjS1G_bEUljE0_EEESZ_S10_S11_S18_S1C_S1E_T6_T7_T9_mT8_S1G_bDpT10_ENKUlT_T0_E_clISt17integral_constantIbLb0EES1T_IbLb1EEEEDaS1P_S1Q_EUlS1P_E_NS1_11comp_targetILNS1_3genE5ELNS1_11target_archE942ELNS1_3gpuE9ELNS1_3repE0EEENS1_30default_config_static_selectorELNS0_4arch9wavefront6targetE0EEEvS12_.private_seg_size, 0
	.set _ZN7rocprim17ROCPRIM_400000_NS6detail17trampoline_kernelINS0_13select_configILj256ELj13ELNS0_17block_load_methodE3ELS4_3ELS4_3ELNS0_20block_scan_algorithmE0ELj4294967295EEENS1_25partition_config_selectorILNS1_17partition_subalgoE4EjNS0_10empty_typeEbEEZZNS1_14partition_implILS8_4ELb0ES6_15HIP_vector_typeIjLj2EENS0_17counting_iteratorIjlEEPS9_SG_NS0_5tupleIJPjSI_NS0_16reverse_iteratorISI_EEEEENSH_IJSG_SG_SG_EEES9_SI_JZNS1_25segmented_radix_sort_implINS0_14default_configELb0EPKaPaPKlPlN2at6native12_GLOBAL__N_18offset_tEEE10hipError_tPvRmT1_PNSt15iterator_traitsIS12_E10value_typeET2_T3_PNS13_IS18_E10value_typeET4_jRbjT5_S1E_jjP12ihipStream_tbEUljE_ZNSN_ISO_Lb0ESQ_SR_ST_SU_SY_EESZ_S10_S11_S12_S16_S17_S18_S1B_S1C_jS1D_jS1E_S1E_jjS1G_bEUljE0_EEESZ_S10_S11_S18_S1C_S1E_T6_T7_T9_mT8_S1G_bDpT10_ENKUlT_T0_E_clISt17integral_constantIbLb0EES1T_IbLb1EEEEDaS1P_S1Q_EUlS1P_E_NS1_11comp_targetILNS1_3genE5ELNS1_11target_archE942ELNS1_3gpuE9ELNS1_3repE0EEENS1_30default_config_static_selectorELNS0_4arch9wavefront6targetE0EEEvS12_.uses_vcc, 0
	.set _ZN7rocprim17ROCPRIM_400000_NS6detail17trampoline_kernelINS0_13select_configILj256ELj13ELNS0_17block_load_methodE3ELS4_3ELS4_3ELNS0_20block_scan_algorithmE0ELj4294967295EEENS1_25partition_config_selectorILNS1_17partition_subalgoE4EjNS0_10empty_typeEbEEZZNS1_14partition_implILS8_4ELb0ES6_15HIP_vector_typeIjLj2EENS0_17counting_iteratorIjlEEPS9_SG_NS0_5tupleIJPjSI_NS0_16reverse_iteratorISI_EEEEENSH_IJSG_SG_SG_EEES9_SI_JZNS1_25segmented_radix_sort_implINS0_14default_configELb0EPKaPaPKlPlN2at6native12_GLOBAL__N_18offset_tEEE10hipError_tPvRmT1_PNSt15iterator_traitsIS12_E10value_typeET2_T3_PNS13_IS18_E10value_typeET4_jRbjT5_S1E_jjP12ihipStream_tbEUljE_ZNSN_ISO_Lb0ESQ_SR_ST_SU_SY_EESZ_S10_S11_S12_S16_S17_S18_S1B_S1C_jS1D_jS1E_S1E_jjS1G_bEUljE0_EEESZ_S10_S11_S18_S1C_S1E_T6_T7_T9_mT8_S1G_bDpT10_ENKUlT_T0_E_clISt17integral_constantIbLb0EES1T_IbLb1EEEEDaS1P_S1Q_EUlS1P_E_NS1_11comp_targetILNS1_3genE5ELNS1_11target_archE942ELNS1_3gpuE9ELNS1_3repE0EEENS1_30default_config_static_selectorELNS0_4arch9wavefront6targetE0EEEvS12_.uses_flat_scratch, 0
	.set _ZN7rocprim17ROCPRIM_400000_NS6detail17trampoline_kernelINS0_13select_configILj256ELj13ELNS0_17block_load_methodE3ELS4_3ELS4_3ELNS0_20block_scan_algorithmE0ELj4294967295EEENS1_25partition_config_selectorILNS1_17partition_subalgoE4EjNS0_10empty_typeEbEEZZNS1_14partition_implILS8_4ELb0ES6_15HIP_vector_typeIjLj2EENS0_17counting_iteratorIjlEEPS9_SG_NS0_5tupleIJPjSI_NS0_16reverse_iteratorISI_EEEEENSH_IJSG_SG_SG_EEES9_SI_JZNS1_25segmented_radix_sort_implINS0_14default_configELb0EPKaPaPKlPlN2at6native12_GLOBAL__N_18offset_tEEE10hipError_tPvRmT1_PNSt15iterator_traitsIS12_E10value_typeET2_T3_PNS13_IS18_E10value_typeET4_jRbjT5_S1E_jjP12ihipStream_tbEUljE_ZNSN_ISO_Lb0ESQ_SR_ST_SU_SY_EESZ_S10_S11_S12_S16_S17_S18_S1B_S1C_jS1D_jS1E_S1E_jjS1G_bEUljE0_EEESZ_S10_S11_S18_S1C_S1E_T6_T7_T9_mT8_S1G_bDpT10_ENKUlT_T0_E_clISt17integral_constantIbLb0EES1T_IbLb1EEEEDaS1P_S1Q_EUlS1P_E_NS1_11comp_targetILNS1_3genE5ELNS1_11target_archE942ELNS1_3gpuE9ELNS1_3repE0EEENS1_30default_config_static_selectorELNS0_4arch9wavefront6targetE0EEEvS12_.has_dyn_sized_stack, 0
	.set _ZN7rocprim17ROCPRIM_400000_NS6detail17trampoline_kernelINS0_13select_configILj256ELj13ELNS0_17block_load_methodE3ELS4_3ELS4_3ELNS0_20block_scan_algorithmE0ELj4294967295EEENS1_25partition_config_selectorILNS1_17partition_subalgoE4EjNS0_10empty_typeEbEEZZNS1_14partition_implILS8_4ELb0ES6_15HIP_vector_typeIjLj2EENS0_17counting_iteratorIjlEEPS9_SG_NS0_5tupleIJPjSI_NS0_16reverse_iteratorISI_EEEEENSH_IJSG_SG_SG_EEES9_SI_JZNS1_25segmented_radix_sort_implINS0_14default_configELb0EPKaPaPKlPlN2at6native12_GLOBAL__N_18offset_tEEE10hipError_tPvRmT1_PNSt15iterator_traitsIS12_E10value_typeET2_T3_PNS13_IS18_E10value_typeET4_jRbjT5_S1E_jjP12ihipStream_tbEUljE_ZNSN_ISO_Lb0ESQ_SR_ST_SU_SY_EESZ_S10_S11_S12_S16_S17_S18_S1B_S1C_jS1D_jS1E_S1E_jjS1G_bEUljE0_EEESZ_S10_S11_S18_S1C_S1E_T6_T7_T9_mT8_S1G_bDpT10_ENKUlT_T0_E_clISt17integral_constantIbLb0EES1T_IbLb1EEEEDaS1P_S1Q_EUlS1P_E_NS1_11comp_targetILNS1_3genE5ELNS1_11target_archE942ELNS1_3gpuE9ELNS1_3repE0EEENS1_30default_config_static_selectorELNS0_4arch9wavefront6targetE0EEEvS12_.has_recursion, 0
	.set _ZN7rocprim17ROCPRIM_400000_NS6detail17trampoline_kernelINS0_13select_configILj256ELj13ELNS0_17block_load_methodE3ELS4_3ELS4_3ELNS0_20block_scan_algorithmE0ELj4294967295EEENS1_25partition_config_selectorILNS1_17partition_subalgoE4EjNS0_10empty_typeEbEEZZNS1_14partition_implILS8_4ELb0ES6_15HIP_vector_typeIjLj2EENS0_17counting_iteratorIjlEEPS9_SG_NS0_5tupleIJPjSI_NS0_16reverse_iteratorISI_EEEEENSH_IJSG_SG_SG_EEES9_SI_JZNS1_25segmented_radix_sort_implINS0_14default_configELb0EPKaPaPKlPlN2at6native12_GLOBAL__N_18offset_tEEE10hipError_tPvRmT1_PNSt15iterator_traitsIS12_E10value_typeET2_T3_PNS13_IS18_E10value_typeET4_jRbjT5_S1E_jjP12ihipStream_tbEUljE_ZNSN_ISO_Lb0ESQ_SR_ST_SU_SY_EESZ_S10_S11_S12_S16_S17_S18_S1B_S1C_jS1D_jS1E_S1E_jjS1G_bEUljE0_EEESZ_S10_S11_S18_S1C_S1E_T6_T7_T9_mT8_S1G_bDpT10_ENKUlT_T0_E_clISt17integral_constantIbLb0EES1T_IbLb1EEEEDaS1P_S1Q_EUlS1P_E_NS1_11comp_targetILNS1_3genE5ELNS1_11target_archE942ELNS1_3gpuE9ELNS1_3repE0EEENS1_30default_config_static_selectorELNS0_4arch9wavefront6targetE0EEEvS12_.has_indirect_call, 0
	.section	.AMDGPU.csdata,"",@progbits
; Kernel info:
; codeLenInByte = 0
; TotalNumSgprs: 0
; NumVgprs: 0
; ScratchSize: 0
; MemoryBound: 0
; FloatMode: 240
; IeeeMode: 1
; LDSByteSize: 0 bytes/workgroup (compile time only)
; SGPRBlocks: 0
; VGPRBlocks: 0
; NumSGPRsForWavesPerEU: 1
; NumVGPRsForWavesPerEU: 1
; Occupancy: 16
; WaveLimiterHint : 0
; COMPUTE_PGM_RSRC2:SCRATCH_EN: 0
; COMPUTE_PGM_RSRC2:USER_SGPR: 6
; COMPUTE_PGM_RSRC2:TRAP_HANDLER: 0
; COMPUTE_PGM_RSRC2:TGID_X_EN: 1
; COMPUTE_PGM_RSRC2:TGID_Y_EN: 0
; COMPUTE_PGM_RSRC2:TGID_Z_EN: 0
; COMPUTE_PGM_RSRC2:TIDIG_COMP_CNT: 0
	.section	.text._ZN7rocprim17ROCPRIM_400000_NS6detail17trampoline_kernelINS0_13select_configILj256ELj13ELNS0_17block_load_methodE3ELS4_3ELS4_3ELNS0_20block_scan_algorithmE0ELj4294967295EEENS1_25partition_config_selectorILNS1_17partition_subalgoE4EjNS0_10empty_typeEbEEZZNS1_14partition_implILS8_4ELb0ES6_15HIP_vector_typeIjLj2EENS0_17counting_iteratorIjlEEPS9_SG_NS0_5tupleIJPjSI_NS0_16reverse_iteratorISI_EEEEENSH_IJSG_SG_SG_EEES9_SI_JZNS1_25segmented_radix_sort_implINS0_14default_configELb0EPKaPaPKlPlN2at6native12_GLOBAL__N_18offset_tEEE10hipError_tPvRmT1_PNSt15iterator_traitsIS12_E10value_typeET2_T3_PNS13_IS18_E10value_typeET4_jRbjT5_S1E_jjP12ihipStream_tbEUljE_ZNSN_ISO_Lb0ESQ_SR_ST_SU_SY_EESZ_S10_S11_S12_S16_S17_S18_S1B_S1C_jS1D_jS1E_S1E_jjS1G_bEUljE0_EEESZ_S10_S11_S18_S1C_S1E_T6_T7_T9_mT8_S1G_bDpT10_ENKUlT_T0_E_clISt17integral_constantIbLb0EES1T_IbLb1EEEEDaS1P_S1Q_EUlS1P_E_NS1_11comp_targetILNS1_3genE4ELNS1_11target_archE910ELNS1_3gpuE8ELNS1_3repE0EEENS1_30default_config_static_selectorELNS0_4arch9wavefront6targetE0EEEvS12_,"axG",@progbits,_ZN7rocprim17ROCPRIM_400000_NS6detail17trampoline_kernelINS0_13select_configILj256ELj13ELNS0_17block_load_methodE3ELS4_3ELS4_3ELNS0_20block_scan_algorithmE0ELj4294967295EEENS1_25partition_config_selectorILNS1_17partition_subalgoE4EjNS0_10empty_typeEbEEZZNS1_14partition_implILS8_4ELb0ES6_15HIP_vector_typeIjLj2EENS0_17counting_iteratorIjlEEPS9_SG_NS0_5tupleIJPjSI_NS0_16reverse_iteratorISI_EEEEENSH_IJSG_SG_SG_EEES9_SI_JZNS1_25segmented_radix_sort_implINS0_14default_configELb0EPKaPaPKlPlN2at6native12_GLOBAL__N_18offset_tEEE10hipError_tPvRmT1_PNSt15iterator_traitsIS12_E10value_typeET2_T3_PNS13_IS18_E10value_typeET4_jRbjT5_S1E_jjP12ihipStream_tbEUljE_ZNSN_ISO_Lb0ESQ_SR_ST_SU_SY_EESZ_S10_S11_S12_S16_S17_S18_S1B_S1C_jS1D_jS1E_S1E_jjS1G_bEUljE0_EEESZ_S10_S11_S18_S1C_S1E_T6_T7_T9_mT8_S1G_bDpT10_ENKUlT_T0_E_clISt17integral_constantIbLb0EES1T_IbLb1EEEEDaS1P_S1Q_EUlS1P_E_NS1_11comp_targetILNS1_3genE4ELNS1_11target_archE910ELNS1_3gpuE8ELNS1_3repE0EEENS1_30default_config_static_selectorELNS0_4arch9wavefront6targetE0EEEvS12_,comdat
	.globl	_ZN7rocprim17ROCPRIM_400000_NS6detail17trampoline_kernelINS0_13select_configILj256ELj13ELNS0_17block_load_methodE3ELS4_3ELS4_3ELNS0_20block_scan_algorithmE0ELj4294967295EEENS1_25partition_config_selectorILNS1_17partition_subalgoE4EjNS0_10empty_typeEbEEZZNS1_14partition_implILS8_4ELb0ES6_15HIP_vector_typeIjLj2EENS0_17counting_iteratorIjlEEPS9_SG_NS0_5tupleIJPjSI_NS0_16reverse_iteratorISI_EEEEENSH_IJSG_SG_SG_EEES9_SI_JZNS1_25segmented_radix_sort_implINS0_14default_configELb0EPKaPaPKlPlN2at6native12_GLOBAL__N_18offset_tEEE10hipError_tPvRmT1_PNSt15iterator_traitsIS12_E10value_typeET2_T3_PNS13_IS18_E10value_typeET4_jRbjT5_S1E_jjP12ihipStream_tbEUljE_ZNSN_ISO_Lb0ESQ_SR_ST_SU_SY_EESZ_S10_S11_S12_S16_S17_S18_S1B_S1C_jS1D_jS1E_S1E_jjS1G_bEUljE0_EEESZ_S10_S11_S18_S1C_S1E_T6_T7_T9_mT8_S1G_bDpT10_ENKUlT_T0_E_clISt17integral_constantIbLb0EES1T_IbLb1EEEEDaS1P_S1Q_EUlS1P_E_NS1_11comp_targetILNS1_3genE4ELNS1_11target_archE910ELNS1_3gpuE8ELNS1_3repE0EEENS1_30default_config_static_selectorELNS0_4arch9wavefront6targetE0EEEvS12_ ; -- Begin function _ZN7rocprim17ROCPRIM_400000_NS6detail17trampoline_kernelINS0_13select_configILj256ELj13ELNS0_17block_load_methodE3ELS4_3ELS4_3ELNS0_20block_scan_algorithmE0ELj4294967295EEENS1_25partition_config_selectorILNS1_17partition_subalgoE4EjNS0_10empty_typeEbEEZZNS1_14partition_implILS8_4ELb0ES6_15HIP_vector_typeIjLj2EENS0_17counting_iteratorIjlEEPS9_SG_NS0_5tupleIJPjSI_NS0_16reverse_iteratorISI_EEEEENSH_IJSG_SG_SG_EEES9_SI_JZNS1_25segmented_radix_sort_implINS0_14default_configELb0EPKaPaPKlPlN2at6native12_GLOBAL__N_18offset_tEEE10hipError_tPvRmT1_PNSt15iterator_traitsIS12_E10value_typeET2_T3_PNS13_IS18_E10value_typeET4_jRbjT5_S1E_jjP12ihipStream_tbEUljE_ZNSN_ISO_Lb0ESQ_SR_ST_SU_SY_EESZ_S10_S11_S12_S16_S17_S18_S1B_S1C_jS1D_jS1E_S1E_jjS1G_bEUljE0_EEESZ_S10_S11_S18_S1C_S1E_T6_T7_T9_mT8_S1G_bDpT10_ENKUlT_T0_E_clISt17integral_constantIbLb0EES1T_IbLb1EEEEDaS1P_S1Q_EUlS1P_E_NS1_11comp_targetILNS1_3genE4ELNS1_11target_archE910ELNS1_3gpuE8ELNS1_3repE0EEENS1_30default_config_static_selectorELNS0_4arch9wavefront6targetE0EEEvS12_
	.p2align	8
	.type	_ZN7rocprim17ROCPRIM_400000_NS6detail17trampoline_kernelINS0_13select_configILj256ELj13ELNS0_17block_load_methodE3ELS4_3ELS4_3ELNS0_20block_scan_algorithmE0ELj4294967295EEENS1_25partition_config_selectorILNS1_17partition_subalgoE4EjNS0_10empty_typeEbEEZZNS1_14partition_implILS8_4ELb0ES6_15HIP_vector_typeIjLj2EENS0_17counting_iteratorIjlEEPS9_SG_NS0_5tupleIJPjSI_NS0_16reverse_iteratorISI_EEEEENSH_IJSG_SG_SG_EEES9_SI_JZNS1_25segmented_radix_sort_implINS0_14default_configELb0EPKaPaPKlPlN2at6native12_GLOBAL__N_18offset_tEEE10hipError_tPvRmT1_PNSt15iterator_traitsIS12_E10value_typeET2_T3_PNS13_IS18_E10value_typeET4_jRbjT5_S1E_jjP12ihipStream_tbEUljE_ZNSN_ISO_Lb0ESQ_SR_ST_SU_SY_EESZ_S10_S11_S12_S16_S17_S18_S1B_S1C_jS1D_jS1E_S1E_jjS1G_bEUljE0_EEESZ_S10_S11_S18_S1C_S1E_T6_T7_T9_mT8_S1G_bDpT10_ENKUlT_T0_E_clISt17integral_constantIbLb0EES1T_IbLb1EEEEDaS1P_S1Q_EUlS1P_E_NS1_11comp_targetILNS1_3genE4ELNS1_11target_archE910ELNS1_3gpuE8ELNS1_3repE0EEENS1_30default_config_static_selectorELNS0_4arch9wavefront6targetE0EEEvS12_,@function
_ZN7rocprim17ROCPRIM_400000_NS6detail17trampoline_kernelINS0_13select_configILj256ELj13ELNS0_17block_load_methodE3ELS4_3ELS4_3ELNS0_20block_scan_algorithmE0ELj4294967295EEENS1_25partition_config_selectorILNS1_17partition_subalgoE4EjNS0_10empty_typeEbEEZZNS1_14partition_implILS8_4ELb0ES6_15HIP_vector_typeIjLj2EENS0_17counting_iteratorIjlEEPS9_SG_NS0_5tupleIJPjSI_NS0_16reverse_iteratorISI_EEEEENSH_IJSG_SG_SG_EEES9_SI_JZNS1_25segmented_radix_sort_implINS0_14default_configELb0EPKaPaPKlPlN2at6native12_GLOBAL__N_18offset_tEEE10hipError_tPvRmT1_PNSt15iterator_traitsIS12_E10value_typeET2_T3_PNS13_IS18_E10value_typeET4_jRbjT5_S1E_jjP12ihipStream_tbEUljE_ZNSN_ISO_Lb0ESQ_SR_ST_SU_SY_EESZ_S10_S11_S12_S16_S17_S18_S1B_S1C_jS1D_jS1E_S1E_jjS1G_bEUljE0_EEESZ_S10_S11_S18_S1C_S1E_T6_T7_T9_mT8_S1G_bDpT10_ENKUlT_T0_E_clISt17integral_constantIbLb0EES1T_IbLb1EEEEDaS1P_S1Q_EUlS1P_E_NS1_11comp_targetILNS1_3genE4ELNS1_11target_archE910ELNS1_3gpuE8ELNS1_3repE0EEENS1_30default_config_static_selectorELNS0_4arch9wavefront6targetE0EEEvS12_: ; @_ZN7rocprim17ROCPRIM_400000_NS6detail17trampoline_kernelINS0_13select_configILj256ELj13ELNS0_17block_load_methodE3ELS4_3ELS4_3ELNS0_20block_scan_algorithmE0ELj4294967295EEENS1_25partition_config_selectorILNS1_17partition_subalgoE4EjNS0_10empty_typeEbEEZZNS1_14partition_implILS8_4ELb0ES6_15HIP_vector_typeIjLj2EENS0_17counting_iteratorIjlEEPS9_SG_NS0_5tupleIJPjSI_NS0_16reverse_iteratorISI_EEEEENSH_IJSG_SG_SG_EEES9_SI_JZNS1_25segmented_radix_sort_implINS0_14default_configELb0EPKaPaPKlPlN2at6native12_GLOBAL__N_18offset_tEEE10hipError_tPvRmT1_PNSt15iterator_traitsIS12_E10value_typeET2_T3_PNS13_IS18_E10value_typeET4_jRbjT5_S1E_jjP12ihipStream_tbEUljE_ZNSN_ISO_Lb0ESQ_SR_ST_SU_SY_EESZ_S10_S11_S12_S16_S17_S18_S1B_S1C_jS1D_jS1E_S1E_jjS1G_bEUljE0_EEESZ_S10_S11_S18_S1C_S1E_T6_T7_T9_mT8_S1G_bDpT10_ENKUlT_T0_E_clISt17integral_constantIbLb0EES1T_IbLb1EEEEDaS1P_S1Q_EUlS1P_E_NS1_11comp_targetILNS1_3genE4ELNS1_11target_archE910ELNS1_3gpuE8ELNS1_3repE0EEENS1_30default_config_static_selectorELNS0_4arch9wavefront6targetE0EEEvS12_
; %bb.0:
	.section	.rodata,"a",@progbits
	.p2align	6, 0x0
	.amdhsa_kernel _ZN7rocprim17ROCPRIM_400000_NS6detail17trampoline_kernelINS0_13select_configILj256ELj13ELNS0_17block_load_methodE3ELS4_3ELS4_3ELNS0_20block_scan_algorithmE0ELj4294967295EEENS1_25partition_config_selectorILNS1_17partition_subalgoE4EjNS0_10empty_typeEbEEZZNS1_14partition_implILS8_4ELb0ES6_15HIP_vector_typeIjLj2EENS0_17counting_iteratorIjlEEPS9_SG_NS0_5tupleIJPjSI_NS0_16reverse_iteratorISI_EEEEENSH_IJSG_SG_SG_EEES9_SI_JZNS1_25segmented_radix_sort_implINS0_14default_configELb0EPKaPaPKlPlN2at6native12_GLOBAL__N_18offset_tEEE10hipError_tPvRmT1_PNSt15iterator_traitsIS12_E10value_typeET2_T3_PNS13_IS18_E10value_typeET4_jRbjT5_S1E_jjP12ihipStream_tbEUljE_ZNSN_ISO_Lb0ESQ_SR_ST_SU_SY_EESZ_S10_S11_S12_S16_S17_S18_S1B_S1C_jS1D_jS1E_S1E_jjS1G_bEUljE0_EEESZ_S10_S11_S18_S1C_S1E_T6_T7_T9_mT8_S1G_bDpT10_ENKUlT_T0_E_clISt17integral_constantIbLb0EES1T_IbLb1EEEEDaS1P_S1Q_EUlS1P_E_NS1_11comp_targetILNS1_3genE4ELNS1_11target_archE910ELNS1_3gpuE8ELNS1_3repE0EEENS1_30default_config_static_selectorELNS0_4arch9wavefront6targetE0EEEvS12_
		.amdhsa_group_segment_fixed_size 0
		.amdhsa_private_segment_fixed_size 0
		.amdhsa_kernarg_size 184
		.amdhsa_user_sgpr_count 6
		.amdhsa_user_sgpr_private_segment_buffer 1
		.amdhsa_user_sgpr_dispatch_ptr 0
		.amdhsa_user_sgpr_queue_ptr 0
		.amdhsa_user_sgpr_kernarg_segment_ptr 1
		.amdhsa_user_sgpr_dispatch_id 0
		.amdhsa_user_sgpr_flat_scratch_init 0
		.amdhsa_user_sgpr_private_segment_size 0
		.amdhsa_wavefront_size32 1
		.amdhsa_uses_dynamic_stack 0
		.amdhsa_system_sgpr_private_segment_wavefront_offset 0
		.amdhsa_system_sgpr_workgroup_id_x 1
		.amdhsa_system_sgpr_workgroup_id_y 0
		.amdhsa_system_sgpr_workgroup_id_z 0
		.amdhsa_system_sgpr_workgroup_info 0
		.amdhsa_system_vgpr_workitem_id 0
		.amdhsa_next_free_vgpr 1
		.amdhsa_next_free_sgpr 1
		.amdhsa_reserve_vcc 0
		.amdhsa_reserve_flat_scratch 0
		.amdhsa_float_round_mode_32 0
		.amdhsa_float_round_mode_16_64 0
		.amdhsa_float_denorm_mode_32 3
		.amdhsa_float_denorm_mode_16_64 3
		.amdhsa_dx10_clamp 1
		.amdhsa_ieee_mode 1
		.amdhsa_fp16_overflow 0
		.amdhsa_workgroup_processor_mode 1
		.amdhsa_memory_ordered 1
		.amdhsa_forward_progress 1
		.amdhsa_shared_vgpr_count 0
		.amdhsa_exception_fp_ieee_invalid_op 0
		.amdhsa_exception_fp_denorm_src 0
		.amdhsa_exception_fp_ieee_div_zero 0
		.amdhsa_exception_fp_ieee_overflow 0
		.amdhsa_exception_fp_ieee_underflow 0
		.amdhsa_exception_fp_ieee_inexact 0
		.amdhsa_exception_int_div_zero 0
	.end_amdhsa_kernel
	.section	.text._ZN7rocprim17ROCPRIM_400000_NS6detail17trampoline_kernelINS0_13select_configILj256ELj13ELNS0_17block_load_methodE3ELS4_3ELS4_3ELNS0_20block_scan_algorithmE0ELj4294967295EEENS1_25partition_config_selectorILNS1_17partition_subalgoE4EjNS0_10empty_typeEbEEZZNS1_14partition_implILS8_4ELb0ES6_15HIP_vector_typeIjLj2EENS0_17counting_iteratorIjlEEPS9_SG_NS0_5tupleIJPjSI_NS0_16reverse_iteratorISI_EEEEENSH_IJSG_SG_SG_EEES9_SI_JZNS1_25segmented_radix_sort_implINS0_14default_configELb0EPKaPaPKlPlN2at6native12_GLOBAL__N_18offset_tEEE10hipError_tPvRmT1_PNSt15iterator_traitsIS12_E10value_typeET2_T3_PNS13_IS18_E10value_typeET4_jRbjT5_S1E_jjP12ihipStream_tbEUljE_ZNSN_ISO_Lb0ESQ_SR_ST_SU_SY_EESZ_S10_S11_S12_S16_S17_S18_S1B_S1C_jS1D_jS1E_S1E_jjS1G_bEUljE0_EEESZ_S10_S11_S18_S1C_S1E_T6_T7_T9_mT8_S1G_bDpT10_ENKUlT_T0_E_clISt17integral_constantIbLb0EES1T_IbLb1EEEEDaS1P_S1Q_EUlS1P_E_NS1_11comp_targetILNS1_3genE4ELNS1_11target_archE910ELNS1_3gpuE8ELNS1_3repE0EEENS1_30default_config_static_selectorELNS0_4arch9wavefront6targetE0EEEvS12_,"axG",@progbits,_ZN7rocprim17ROCPRIM_400000_NS6detail17trampoline_kernelINS0_13select_configILj256ELj13ELNS0_17block_load_methodE3ELS4_3ELS4_3ELNS0_20block_scan_algorithmE0ELj4294967295EEENS1_25partition_config_selectorILNS1_17partition_subalgoE4EjNS0_10empty_typeEbEEZZNS1_14partition_implILS8_4ELb0ES6_15HIP_vector_typeIjLj2EENS0_17counting_iteratorIjlEEPS9_SG_NS0_5tupleIJPjSI_NS0_16reverse_iteratorISI_EEEEENSH_IJSG_SG_SG_EEES9_SI_JZNS1_25segmented_radix_sort_implINS0_14default_configELb0EPKaPaPKlPlN2at6native12_GLOBAL__N_18offset_tEEE10hipError_tPvRmT1_PNSt15iterator_traitsIS12_E10value_typeET2_T3_PNS13_IS18_E10value_typeET4_jRbjT5_S1E_jjP12ihipStream_tbEUljE_ZNSN_ISO_Lb0ESQ_SR_ST_SU_SY_EESZ_S10_S11_S12_S16_S17_S18_S1B_S1C_jS1D_jS1E_S1E_jjS1G_bEUljE0_EEESZ_S10_S11_S18_S1C_S1E_T6_T7_T9_mT8_S1G_bDpT10_ENKUlT_T0_E_clISt17integral_constantIbLb0EES1T_IbLb1EEEEDaS1P_S1Q_EUlS1P_E_NS1_11comp_targetILNS1_3genE4ELNS1_11target_archE910ELNS1_3gpuE8ELNS1_3repE0EEENS1_30default_config_static_selectorELNS0_4arch9wavefront6targetE0EEEvS12_,comdat
.Lfunc_end352:
	.size	_ZN7rocprim17ROCPRIM_400000_NS6detail17trampoline_kernelINS0_13select_configILj256ELj13ELNS0_17block_load_methodE3ELS4_3ELS4_3ELNS0_20block_scan_algorithmE0ELj4294967295EEENS1_25partition_config_selectorILNS1_17partition_subalgoE4EjNS0_10empty_typeEbEEZZNS1_14partition_implILS8_4ELb0ES6_15HIP_vector_typeIjLj2EENS0_17counting_iteratorIjlEEPS9_SG_NS0_5tupleIJPjSI_NS0_16reverse_iteratorISI_EEEEENSH_IJSG_SG_SG_EEES9_SI_JZNS1_25segmented_radix_sort_implINS0_14default_configELb0EPKaPaPKlPlN2at6native12_GLOBAL__N_18offset_tEEE10hipError_tPvRmT1_PNSt15iterator_traitsIS12_E10value_typeET2_T3_PNS13_IS18_E10value_typeET4_jRbjT5_S1E_jjP12ihipStream_tbEUljE_ZNSN_ISO_Lb0ESQ_SR_ST_SU_SY_EESZ_S10_S11_S12_S16_S17_S18_S1B_S1C_jS1D_jS1E_S1E_jjS1G_bEUljE0_EEESZ_S10_S11_S18_S1C_S1E_T6_T7_T9_mT8_S1G_bDpT10_ENKUlT_T0_E_clISt17integral_constantIbLb0EES1T_IbLb1EEEEDaS1P_S1Q_EUlS1P_E_NS1_11comp_targetILNS1_3genE4ELNS1_11target_archE910ELNS1_3gpuE8ELNS1_3repE0EEENS1_30default_config_static_selectorELNS0_4arch9wavefront6targetE0EEEvS12_, .Lfunc_end352-_ZN7rocprim17ROCPRIM_400000_NS6detail17trampoline_kernelINS0_13select_configILj256ELj13ELNS0_17block_load_methodE3ELS4_3ELS4_3ELNS0_20block_scan_algorithmE0ELj4294967295EEENS1_25partition_config_selectorILNS1_17partition_subalgoE4EjNS0_10empty_typeEbEEZZNS1_14partition_implILS8_4ELb0ES6_15HIP_vector_typeIjLj2EENS0_17counting_iteratorIjlEEPS9_SG_NS0_5tupleIJPjSI_NS0_16reverse_iteratorISI_EEEEENSH_IJSG_SG_SG_EEES9_SI_JZNS1_25segmented_radix_sort_implINS0_14default_configELb0EPKaPaPKlPlN2at6native12_GLOBAL__N_18offset_tEEE10hipError_tPvRmT1_PNSt15iterator_traitsIS12_E10value_typeET2_T3_PNS13_IS18_E10value_typeET4_jRbjT5_S1E_jjP12ihipStream_tbEUljE_ZNSN_ISO_Lb0ESQ_SR_ST_SU_SY_EESZ_S10_S11_S12_S16_S17_S18_S1B_S1C_jS1D_jS1E_S1E_jjS1G_bEUljE0_EEESZ_S10_S11_S18_S1C_S1E_T6_T7_T9_mT8_S1G_bDpT10_ENKUlT_T0_E_clISt17integral_constantIbLb0EES1T_IbLb1EEEEDaS1P_S1Q_EUlS1P_E_NS1_11comp_targetILNS1_3genE4ELNS1_11target_archE910ELNS1_3gpuE8ELNS1_3repE0EEENS1_30default_config_static_selectorELNS0_4arch9wavefront6targetE0EEEvS12_
                                        ; -- End function
	.set _ZN7rocprim17ROCPRIM_400000_NS6detail17trampoline_kernelINS0_13select_configILj256ELj13ELNS0_17block_load_methodE3ELS4_3ELS4_3ELNS0_20block_scan_algorithmE0ELj4294967295EEENS1_25partition_config_selectorILNS1_17partition_subalgoE4EjNS0_10empty_typeEbEEZZNS1_14partition_implILS8_4ELb0ES6_15HIP_vector_typeIjLj2EENS0_17counting_iteratorIjlEEPS9_SG_NS0_5tupleIJPjSI_NS0_16reverse_iteratorISI_EEEEENSH_IJSG_SG_SG_EEES9_SI_JZNS1_25segmented_radix_sort_implINS0_14default_configELb0EPKaPaPKlPlN2at6native12_GLOBAL__N_18offset_tEEE10hipError_tPvRmT1_PNSt15iterator_traitsIS12_E10value_typeET2_T3_PNS13_IS18_E10value_typeET4_jRbjT5_S1E_jjP12ihipStream_tbEUljE_ZNSN_ISO_Lb0ESQ_SR_ST_SU_SY_EESZ_S10_S11_S12_S16_S17_S18_S1B_S1C_jS1D_jS1E_S1E_jjS1G_bEUljE0_EEESZ_S10_S11_S18_S1C_S1E_T6_T7_T9_mT8_S1G_bDpT10_ENKUlT_T0_E_clISt17integral_constantIbLb0EES1T_IbLb1EEEEDaS1P_S1Q_EUlS1P_E_NS1_11comp_targetILNS1_3genE4ELNS1_11target_archE910ELNS1_3gpuE8ELNS1_3repE0EEENS1_30default_config_static_selectorELNS0_4arch9wavefront6targetE0EEEvS12_.num_vgpr, 0
	.set _ZN7rocprim17ROCPRIM_400000_NS6detail17trampoline_kernelINS0_13select_configILj256ELj13ELNS0_17block_load_methodE3ELS4_3ELS4_3ELNS0_20block_scan_algorithmE0ELj4294967295EEENS1_25partition_config_selectorILNS1_17partition_subalgoE4EjNS0_10empty_typeEbEEZZNS1_14partition_implILS8_4ELb0ES6_15HIP_vector_typeIjLj2EENS0_17counting_iteratorIjlEEPS9_SG_NS0_5tupleIJPjSI_NS0_16reverse_iteratorISI_EEEEENSH_IJSG_SG_SG_EEES9_SI_JZNS1_25segmented_radix_sort_implINS0_14default_configELb0EPKaPaPKlPlN2at6native12_GLOBAL__N_18offset_tEEE10hipError_tPvRmT1_PNSt15iterator_traitsIS12_E10value_typeET2_T3_PNS13_IS18_E10value_typeET4_jRbjT5_S1E_jjP12ihipStream_tbEUljE_ZNSN_ISO_Lb0ESQ_SR_ST_SU_SY_EESZ_S10_S11_S12_S16_S17_S18_S1B_S1C_jS1D_jS1E_S1E_jjS1G_bEUljE0_EEESZ_S10_S11_S18_S1C_S1E_T6_T7_T9_mT8_S1G_bDpT10_ENKUlT_T0_E_clISt17integral_constantIbLb0EES1T_IbLb1EEEEDaS1P_S1Q_EUlS1P_E_NS1_11comp_targetILNS1_3genE4ELNS1_11target_archE910ELNS1_3gpuE8ELNS1_3repE0EEENS1_30default_config_static_selectorELNS0_4arch9wavefront6targetE0EEEvS12_.num_agpr, 0
	.set _ZN7rocprim17ROCPRIM_400000_NS6detail17trampoline_kernelINS0_13select_configILj256ELj13ELNS0_17block_load_methodE3ELS4_3ELS4_3ELNS0_20block_scan_algorithmE0ELj4294967295EEENS1_25partition_config_selectorILNS1_17partition_subalgoE4EjNS0_10empty_typeEbEEZZNS1_14partition_implILS8_4ELb0ES6_15HIP_vector_typeIjLj2EENS0_17counting_iteratorIjlEEPS9_SG_NS0_5tupleIJPjSI_NS0_16reverse_iteratorISI_EEEEENSH_IJSG_SG_SG_EEES9_SI_JZNS1_25segmented_radix_sort_implINS0_14default_configELb0EPKaPaPKlPlN2at6native12_GLOBAL__N_18offset_tEEE10hipError_tPvRmT1_PNSt15iterator_traitsIS12_E10value_typeET2_T3_PNS13_IS18_E10value_typeET4_jRbjT5_S1E_jjP12ihipStream_tbEUljE_ZNSN_ISO_Lb0ESQ_SR_ST_SU_SY_EESZ_S10_S11_S12_S16_S17_S18_S1B_S1C_jS1D_jS1E_S1E_jjS1G_bEUljE0_EEESZ_S10_S11_S18_S1C_S1E_T6_T7_T9_mT8_S1G_bDpT10_ENKUlT_T0_E_clISt17integral_constantIbLb0EES1T_IbLb1EEEEDaS1P_S1Q_EUlS1P_E_NS1_11comp_targetILNS1_3genE4ELNS1_11target_archE910ELNS1_3gpuE8ELNS1_3repE0EEENS1_30default_config_static_selectorELNS0_4arch9wavefront6targetE0EEEvS12_.numbered_sgpr, 0
	.set _ZN7rocprim17ROCPRIM_400000_NS6detail17trampoline_kernelINS0_13select_configILj256ELj13ELNS0_17block_load_methodE3ELS4_3ELS4_3ELNS0_20block_scan_algorithmE0ELj4294967295EEENS1_25partition_config_selectorILNS1_17partition_subalgoE4EjNS0_10empty_typeEbEEZZNS1_14partition_implILS8_4ELb0ES6_15HIP_vector_typeIjLj2EENS0_17counting_iteratorIjlEEPS9_SG_NS0_5tupleIJPjSI_NS0_16reverse_iteratorISI_EEEEENSH_IJSG_SG_SG_EEES9_SI_JZNS1_25segmented_radix_sort_implINS0_14default_configELb0EPKaPaPKlPlN2at6native12_GLOBAL__N_18offset_tEEE10hipError_tPvRmT1_PNSt15iterator_traitsIS12_E10value_typeET2_T3_PNS13_IS18_E10value_typeET4_jRbjT5_S1E_jjP12ihipStream_tbEUljE_ZNSN_ISO_Lb0ESQ_SR_ST_SU_SY_EESZ_S10_S11_S12_S16_S17_S18_S1B_S1C_jS1D_jS1E_S1E_jjS1G_bEUljE0_EEESZ_S10_S11_S18_S1C_S1E_T6_T7_T9_mT8_S1G_bDpT10_ENKUlT_T0_E_clISt17integral_constantIbLb0EES1T_IbLb1EEEEDaS1P_S1Q_EUlS1P_E_NS1_11comp_targetILNS1_3genE4ELNS1_11target_archE910ELNS1_3gpuE8ELNS1_3repE0EEENS1_30default_config_static_selectorELNS0_4arch9wavefront6targetE0EEEvS12_.num_named_barrier, 0
	.set _ZN7rocprim17ROCPRIM_400000_NS6detail17trampoline_kernelINS0_13select_configILj256ELj13ELNS0_17block_load_methodE3ELS4_3ELS4_3ELNS0_20block_scan_algorithmE0ELj4294967295EEENS1_25partition_config_selectorILNS1_17partition_subalgoE4EjNS0_10empty_typeEbEEZZNS1_14partition_implILS8_4ELb0ES6_15HIP_vector_typeIjLj2EENS0_17counting_iteratorIjlEEPS9_SG_NS0_5tupleIJPjSI_NS0_16reverse_iteratorISI_EEEEENSH_IJSG_SG_SG_EEES9_SI_JZNS1_25segmented_radix_sort_implINS0_14default_configELb0EPKaPaPKlPlN2at6native12_GLOBAL__N_18offset_tEEE10hipError_tPvRmT1_PNSt15iterator_traitsIS12_E10value_typeET2_T3_PNS13_IS18_E10value_typeET4_jRbjT5_S1E_jjP12ihipStream_tbEUljE_ZNSN_ISO_Lb0ESQ_SR_ST_SU_SY_EESZ_S10_S11_S12_S16_S17_S18_S1B_S1C_jS1D_jS1E_S1E_jjS1G_bEUljE0_EEESZ_S10_S11_S18_S1C_S1E_T6_T7_T9_mT8_S1G_bDpT10_ENKUlT_T0_E_clISt17integral_constantIbLb0EES1T_IbLb1EEEEDaS1P_S1Q_EUlS1P_E_NS1_11comp_targetILNS1_3genE4ELNS1_11target_archE910ELNS1_3gpuE8ELNS1_3repE0EEENS1_30default_config_static_selectorELNS0_4arch9wavefront6targetE0EEEvS12_.private_seg_size, 0
	.set _ZN7rocprim17ROCPRIM_400000_NS6detail17trampoline_kernelINS0_13select_configILj256ELj13ELNS0_17block_load_methodE3ELS4_3ELS4_3ELNS0_20block_scan_algorithmE0ELj4294967295EEENS1_25partition_config_selectorILNS1_17partition_subalgoE4EjNS0_10empty_typeEbEEZZNS1_14partition_implILS8_4ELb0ES6_15HIP_vector_typeIjLj2EENS0_17counting_iteratorIjlEEPS9_SG_NS0_5tupleIJPjSI_NS0_16reverse_iteratorISI_EEEEENSH_IJSG_SG_SG_EEES9_SI_JZNS1_25segmented_radix_sort_implINS0_14default_configELb0EPKaPaPKlPlN2at6native12_GLOBAL__N_18offset_tEEE10hipError_tPvRmT1_PNSt15iterator_traitsIS12_E10value_typeET2_T3_PNS13_IS18_E10value_typeET4_jRbjT5_S1E_jjP12ihipStream_tbEUljE_ZNSN_ISO_Lb0ESQ_SR_ST_SU_SY_EESZ_S10_S11_S12_S16_S17_S18_S1B_S1C_jS1D_jS1E_S1E_jjS1G_bEUljE0_EEESZ_S10_S11_S18_S1C_S1E_T6_T7_T9_mT8_S1G_bDpT10_ENKUlT_T0_E_clISt17integral_constantIbLb0EES1T_IbLb1EEEEDaS1P_S1Q_EUlS1P_E_NS1_11comp_targetILNS1_3genE4ELNS1_11target_archE910ELNS1_3gpuE8ELNS1_3repE0EEENS1_30default_config_static_selectorELNS0_4arch9wavefront6targetE0EEEvS12_.uses_vcc, 0
	.set _ZN7rocprim17ROCPRIM_400000_NS6detail17trampoline_kernelINS0_13select_configILj256ELj13ELNS0_17block_load_methodE3ELS4_3ELS4_3ELNS0_20block_scan_algorithmE0ELj4294967295EEENS1_25partition_config_selectorILNS1_17partition_subalgoE4EjNS0_10empty_typeEbEEZZNS1_14partition_implILS8_4ELb0ES6_15HIP_vector_typeIjLj2EENS0_17counting_iteratorIjlEEPS9_SG_NS0_5tupleIJPjSI_NS0_16reverse_iteratorISI_EEEEENSH_IJSG_SG_SG_EEES9_SI_JZNS1_25segmented_radix_sort_implINS0_14default_configELb0EPKaPaPKlPlN2at6native12_GLOBAL__N_18offset_tEEE10hipError_tPvRmT1_PNSt15iterator_traitsIS12_E10value_typeET2_T3_PNS13_IS18_E10value_typeET4_jRbjT5_S1E_jjP12ihipStream_tbEUljE_ZNSN_ISO_Lb0ESQ_SR_ST_SU_SY_EESZ_S10_S11_S12_S16_S17_S18_S1B_S1C_jS1D_jS1E_S1E_jjS1G_bEUljE0_EEESZ_S10_S11_S18_S1C_S1E_T6_T7_T9_mT8_S1G_bDpT10_ENKUlT_T0_E_clISt17integral_constantIbLb0EES1T_IbLb1EEEEDaS1P_S1Q_EUlS1P_E_NS1_11comp_targetILNS1_3genE4ELNS1_11target_archE910ELNS1_3gpuE8ELNS1_3repE0EEENS1_30default_config_static_selectorELNS0_4arch9wavefront6targetE0EEEvS12_.uses_flat_scratch, 0
	.set _ZN7rocprim17ROCPRIM_400000_NS6detail17trampoline_kernelINS0_13select_configILj256ELj13ELNS0_17block_load_methodE3ELS4_3ELS4_3ELNS0_20block_scan_algorithmE0ELj4294967295EEENS1_25partition_config_selectorILNS1_17partition_subalgoE4EjNS0_10empty_typeEbEEZZNS1_14partition_implILS8_4ELb0ES6_15HIP_vector_typeIjLj2EENS0_17counting_iteratorIjlEEPS9_SG_NS0_5tupleIJPjSI_NS0_16reverse_iteratorISI_EEEEENSH_IJSG_SG_SG_EEES9_SI_JZNS1_25segmented_radix_sort_implINS0_14default_configELb0EPKaPaPKlPlN2at6native12_GLOBAL__N_18offset_tEEE10hipError_tPvRmT1_PNSt15iterator_traitsIS12_E10value_typeET2_T3_PNS13_IS18_E10value_typeET4_jRbjT5_S1E_jjP12ihipStream_tbEUljE_ZNSN_ISO_Lb0ESQ_SR_ST_SU_SY_EESZ_S10_S11_S12_S16_S17_S18_S1B_S1C_jS1D_jS1E_S1E_jjS1G_bEUljE0_EEESZ_S10_S11_S18_S1C_S1E_T6_T7_T9_mT8_S1G_bDpT10_ENKUlT_T0_E_clISt17integral_constantIbLb0EES1T_IbLb1EEEEDaS1P_S1Q_EUlS1P_E_NS1_11comp_targetILNS1_3genE4ELNS1_11target_archE910ELNS1_3gpuE8ELNS1_3repE0EEENS1_30default_config_static_selectorELNS0_4arch9wavefront6targetE0EEEvS12_.has_dyn_sized_stack, 0
	.set _ZN7rocprim17ROCPRIM_400000_NS6detail17trampoline_kernelINS0_13select_configILj256ELj13ELNS0_17block_load_methodE3ELS4_3ELS4_3ELNS0_20block_scan_algorithmE0ELj4294967295EEENS1_25partition_config_selectorILNS1_17partition_subalgoE4EjNS0_10empty_typeEbEEZZNS1_14partition_implILS8_4ELb0ES6_15HIP_vector_typeIjLj2EENS0_17counting_iteratorIjlEEPS9_SG_NS0_5tupleIJPjSI_NS0_16reverse_iteratorISI_EEEEENSH_IJSG_SG_SG_EEES9_SI_JZNS1_25segmented_radix_sort_implINS0_14default_configELb0EPKaPaPKlPlN2at6native12_GLOBAL__N_18offset_tEEE10hipError_tPvRmT1_PNSt15iterator_traitsIS12_E10value_typeET2_T3_PNS13_IS18_E10value_typeET4_jRbjT5_S1E_jjP12ihipStream_tbEUljE_ZNSN_ISO_Lb0ESQ_SR_ST_SU_SY_EESZ_S10_S11_S12_S16_S17_S18_S1B_S1C_jS1D_jS1E_S1E_jjS1G_bEUljE0_EEESZ_S10_S11_S18_S1C_S1E_T6_T7_T9_mT8_S1G_bDpT10_ENKUlT_T0_E_clISt17integral_constantIbLb0EES1T_IbLb1EEEEDaS1P_S1Q_EUlS1P_E_NS1_11comp_targetILNS1_3genE4ELNS1_11target_archE910ELNS1_3gpuE8ELNS1_3repE0EEENS1_30default_config_static_selectorELNS0_4arch9wavefront6targetE0EEEvS12_.has_recursion, 0
	.set _ZN7rocprim17ROCPRIM_400000_NS6detail17trampoline_kernelINS0_13select_configILj256ELj13ELNS0_17block_load_methodE3ELS4_3ELS4_3ELNS0_20block_scan_algorithmE0ELj4294967295EEENS1_25partition_config_selectorILNS1_17partition_subalgoE4EjNS0_10empty_typeEbEEZZNS1_14partition_implILS8_4ELb0ES6_15HIP_vector_typeIjLj2EENS0_17counting_iteratorIjlEEPS9_SG_NS0_5tupleIJPjSI_NS0_16reverse_iteratorISI_EEEEENSH_IJSG_SG_SG_EEES9_SI_JZNS1_25segmented_radix_sort_implINS0_14default_configELb0EPKaPaPKlPlN2at6native12_GLOBAL__N_18offset_tEEE10hipError_tPvRmT1_PNSt15iterator_traitsIS12_E10value_typeET2_T3_PNS13_IS18_E10value_typeET4_jRbjT5_S1E_jjP12ihipStream_tbEUljE_ZNSN_ISO_Lb0ESQ_SR_ST_SU_SY_EESZ_S10_S11_S12_S16_S17_S18_S1B_S1C_jS1D_jS1E_S1E_jjS1G_bEUljE0_EEESZ_S10_S11_S18_S1C_S1E_T6_T7_T9_mT8_S1G_bDpT10_ENKUlT_T0_E_clISt17integral_constantIbLb0EES1T_IbLb1EEEEDaS1P_S1Q_EUlS1P_E_NS1_11comp_targetILNS1_3genE4ELNS1_11target_archE910ELNS1_3gpuE8ELNS1_3repE0EEENS1_30default_config_static_selectorELNS0_4arch9wavefront6targetE0EEEvS12_.has_indirect_call, 0
	.section	.AMDGPU.csdata,"",@progbits
; Kernel info:
; codeLenInByte = 0
; TotalNumSgprs: 0
; NumVgprs: 0
; ScratchSize: 0
; MemoryBound: 0
; FloatMode: 240
; IeeeMode: 1
; LDSByteSize: 0 bytes/workgroup (compile time only)
; SGPRBlocks: 0
; VGPRBlocks: 0
; NumSGPRsForWavesPerEU: 1
; NumVGPRsForWavesPerEU: 1
; Occupancy: 16
; WaveLimiterHint : 0
; COMPUTE_PGM_RSRC2:SCRATCH_EN: 0
; COMPUTE_PGM_RSRC2:USER_SGPR: 6
; COMPUTE_PGM_RSRC2:TRAP_HANDLER: 0
; COMPUTE_PGM_RSRC2:TGID_X_EN: 1
; COMPUTE_PGM_RSRC2:TGID_Y_EN: 0
; COMPUTE_PGM_RSRC2:TGID_Z_EN: 0
; COMPUTE_PGM_RSRC2:TIDIG_COMP_CNT: 0
	.section	.text._ZN7rocprim17ROCPRIM_400000_NS6detail17trampoline_kernelINS0_13select_configILj256ELj13ELNS0_17block_load_methodE3ELS4_3ELS4_3ELNS0_20block_scan_algorithmE0ELj4294967295EEENS1_25partition_config_selectorILNS1_17partition_subalgoE4EjNS0_10empty_typeEbEEZZNS1_14partition_implILS8_4ELb0ES6_15HIP_vector_typeIjLj2EENS0_17counting_iteratorIjlEEPS9_SG_NS0_5tupleIJPjSI_NS0_16reverse_iteratorISI_EEEEENSH_IJSG_SG_SG_EEES9_SI_JZNS1_25segmented_radix_sort_implINS0_14default_configELb0EPKaPaPKlPlN2at6native12_GLOBAL__N_18offset_tEEE10hipError_tPvRmT1_PNSt15iterator_traitsIS12_E10value_typeET2_T3_PNS13_IS18_E10value_typeET4_jRbjT5_S1E_jjP12ihipStream_tbEUljE_ZNSN_ISO_Lb0ESQ_SR_ST_SU_SY_EESZ_S10_S11_S12_S16_S17_S18_S1B_S1C_jS1D_jS1E_S1E_jjS1G_bEUljE0_EEESZ_S10_S11_S18_S1C_S1E_T6_T7_T9_mT8_S1G_bDpT10_ENKUlT_T0_E_clISt17integral_constantIbLb0EES1T_IbLb1EEEEDaS1P_S1Q_EUlS1P_E_NS1_11comp_targetILNS1_3genE3ELNS1_11target_archE908ELNS1_3gpuE7ELNS1_3repE0EEENS1_30default_config_static_selectorELNS0_4arch9wavefront6targetE0EEEvS12_,"axG",@progbits,_ZN7rocprim17ROCPRIM_400000_NS6detail17trampoline_kernelINS0_13select_configILj256ELj13ELNS0_17block_load_methodE3ELS4_3ELS4_3ELNS0_20block_scan_algorithmE0ELj4294967295EEENS1_25partition_config_selectorILNS1_17partition_subalgoE4EjNS0_10empty_typeEbEEZZNS1_14partition_implILS8_4ELb0ES6_15HIP_vector_typeIjLj2EENS0_17counting_iteratorIjlEEPS9_SG_NS0_5tupleIJPjSI_NS0_16reverse_iteratorISI_EEEEENSH_IJSG_SG_SG_EEES9_SI_JZNS1_25segmented_radix_sort_implINS0_14default_configELb0EPKaPaPKlPlN2at6native12_GLOBAL__N_18offset_tEEE10hipError_tPvRmT1_PNSt15iterator_traitsIS12_E10value_typeET2_T3_PNS13_IS18_E10value_typeET4_jRbjT5_S1E_jjP12ihipStream_tbEUljE_ZNSN_ISO_Lb0ESQ_SR_ST_SU_SY_EESZ_S10_S11_S12_S16_S17_S18_S1B_S1C_jS1D_jS1E_S1E_jjS1G_bEUljE0_EEESZ_S10_S11_S18_S1C_S1E_T6_T7_T9_mT8_S1G_bDpT10_ENKUlT_T0_E_clISt17integral_constantIbLb0EES1T_IbLb1EEEEDaS1P_S1Q_EUlS1P_E_NS1_11comp_targetILNS1_3genE3ELNS1_11target_archE908ELNS1_3gpuE7ELNS1_3repE0EEENS1_30default_config_static_selectorELNS0_4arch9wavefront6targetE0EEEvS12_,comdat
	.globl	_ZN7rocprim17ROCPRIM_400000_NS6detail17trampoline_kernelINS0_13select_configILj256ELj13ELNS0_17block_load_methodE3ELS4_3ELS4_3ELNS0_20block_scan_algorithmE0ELj4294967295EEENS1_25partition_config_selectorILNS1_17partition_subalgoE4EjNS0_10empty_typeEbEEZZNS1_14partition_implILS8_4ELb0ES6_15HIP_vector_typeIjLj2EENS0_17counting_iteratorIjlEEPS9_SG_NS0_5tupleIJPjSI_NS0_16reverse_iteratorISI_EEEEENSH_IJSG_SG_SG_EEES9_SI_JZNS1_25segmented_radix_sort_implINS0_14default_configELb0EPKaPaPKlPlN2at6native12_GLOBAL__N_18offset_tEEE10hipError_tPvRmT1_PNSt15iterator_traitsIS12_E10value_typeET2_T3_PNS13_IS18_E10value_typeET4_jRbjT5_S1E_jjP12ihipStream_tbEUljE_ZNSN_ISO_Lb0ESQ_SR_ST_SU_SY_EESZ_S10_S11_S12_S16_S17_S18_S1B_S1C_jS1D_jS1E_S1E_jjS1G_bEUljE0_EEESZ_S10_S11_S18_S1C_S1E_T6_T7_T9_mT8_S1G_bDpT10_ENKUlT_T0_E_clISt17integral_constantIbLb0EES1T_IbLb1EEEEDaS1P_S1Q_EUlS1P_E_NS1_11comp_targetILNS1_3genE3ELNS1_11target_archE908ELNS1_3gpuE7ELNS1_3repE0EEENS1_30default_config_static_selectorELNS0_4arch9wavefront6targetE0EEEvS12_ ; -- Begin function _ZN7rocprim17ROCPRIM_400000_NS6detail17trampoline_kernelINS0_13select_configILj256ELj13ELNS0_17block_load_methodE3ELS4_3ELS4_3ELNS0_20block_scan_algorithmE0ELj4294967295EEENS1_25partition_config_selectorILNS1_17partition_subalgoE4EjNS0_10empty_typeEbEEZZNS1_14partition_implILS8_4ELb0ES6_15HIP_vector_typeIjLj2EENS0_17counting_iteratorIjlEEPS9_SG_NS0_5tupleIJPjSI_NS0_16reverse_iteratorISI_EEEEENSH_IJSG_SG_SG_EEES9_SI_JZNS1_25segmented_radix_sort_implINS0_14default_configELb0EPKaPaPKlPlN2at6native12_GLOBAL__N_18offset_tEEE10hipError_tPvRmT1_PNSt15iterator_traitsIS12_E10value_typeET2_T3_PNS13_IS18_E10value_typeET4_jRbjT5_S1E_jjP12ihipStream_tbEUljE_ZNSN_ISO_Lb0ESQ_SR_ST_SU_SY_EESZ_S10_S11_S12_S16_S17_S18_S1B_S1C_jS1D_jS1E_S1E_jjS1G_bEUljE0_EEESZ_S10_S11_S18_S1C_S1E_T6_T7_T9_mT8_S1G_bDpT10_ENKUlT_T0_E_clISt17integral_constantIbLb0EES1T_IbLb1EEEEDaS1P_S1Q_EUlS1P_E_NS1_11comp_targetILNS1_3genE3ELNS1_11target_archE908ELNS1_3gpuE7ELNS1_3repE0EEENS1_30default_config_static_selectorELNS0_4arch9wavefront6targetE0EEEvS12_
	.p2align	8
	.type	_ZN7rocprim17ROCPRIM_400000_NS6detail17trampoline_kernelINS0_13select_configILj256ELj13ELNS0_17block_load_methodE3ELS4_3ELS4_3ELNS0_20block_scan_algorithmE0ELj4294967295EEENS1_25partition_config_selectorILNS1_17partition_subalgoE4EjNS0_10empty_typeEbEEZZNS1_14partition_implILS8_4ELb0ES6_15HIP_vector_typeIjLj2EENS0_17counting_iteratorIjlEEPS9_SG_NS0_5tupleIJPjSI_NS0_16reverse_iteratorISI_EEEEENSH_IJSG_SG_SG_EEES9_SI_JZNS1_25segmented_radix_sort_implINS0_14default_configELb0EPKaPaPKlPlN2at6native12_GLOBAL__N_18offset_tEEE10hipError_tPvRmT1_PNSt15iterator_traitsIS12_E10value_typeET2_T3_PNS13_IS18_E10value_typeET4_jRbjT5_S1E_jjP12ihipStream_tbEUljE_ZNSN_ISO_Lb0ESQ_SR_ST_SU_SY_EESZ_S10_S11_S12_S16_S17_S18_S1B_S1C_jS1D_jS1E_S1E_jjS1G_bEUljE0_EEESZ_S10_S11_S18_S1C_S1E_T6_T7_T9_mT8_S1G_bDpT10_ENKUlT_T0_E_clISt17integral_constantIbLb0EES1T_IbLb1EEEEDaS1P_S1Q_EUlS1P_E_NS1_11comp_targetILNS1_3genE3ELNS1_11target_archE908ELNS1_3gpuE7ELNS1_3repE0EEENS1_30default_config_static_selectorELNS0_4arch9wavefront6targetE0EEEvS12_,@function
_ZN7rocprim17ROCPRIM_400000_NS6detail17trampoline_kernelINS0_13select_configILj256ELj13ELNS0_17block_load_methodE3ELS4_3ELS4_3ELNS0_20block_scan_algorithmE0ELj4294967295EEENS1_25partition_config_selectorILNS1_17partition_subalgoE4EjNS0_10empty_typeEbEEZZNS1_14partition_implILS8_4ELb0ES6_15HIP_vector_typeIjLj2EENS0_17counting_iteratorIjlEEPS9_SG_NS0_5tupleIJPjSI_NS0_16reverse_iteratorISI_EEEEENSH_IJSG_SG_SG_EEES9_SI_JZNS1_25segmented_radix_sort_implINS0_14default_configELb0EPKaPaPKlPlN2at6native12_GLOBAL__N_18offset_tEEE10hipError_tPvRmT1_PNSt15iterator_traitsIS12_E10value_typeET2_T3_PNS13_IS18_E10value_typeET4_jRbjT5_S1E_jjP12ihipStream_tbEUljE_ZNSN_ISO_Lb0ESQ_SR_ST_SU_SY_EESZ_S10_S11_S12_S16_S17_S18_S1B_S1C_jS1D_jS1E_S1E_jjS1G_bEUljE0_EEESZ_S10_S11_S18_S1C_S1E_T6_T7_T9_mT8_S1G_bDpT10_ENKUlT_T0_E_clISt17integral_constantIbLb0EES1T_IbLb1EEEEDaS1P_S1Q_EUlS1P_E_NS1_11comp_targetILNS1_3genE3ELNS1_11target_archE908ELNS1_3gpuE7ELNS1_3repE0EEENS1_30default_config_static_selectorELNS0_4arch9wavefront6targetE0EEEvS12_: ; @_ZN7rocprim17ROCPRIM_400000_NS6detail17trampoline_kernelINS0_13select_configILj256ELj13ELNS0_17block_load_methodE3ELS4_3ELS4_3ELNS0_20block_scan_algorithmE0ELj4294967295EEENS1_25partition_config_selectorILNS1_17partition_subalgoE4EjNS0_10empty_typeEbEEZZNS1_14partition_implILS8_4ELb0ES6_15HIP_vector_typeIjLj2EENS0_17counting_iteratorIjlEEPS9_SG_NS0_5tupleIJPjSI_NS0_16reverse_iteratorISI_EEEEENSH_IJSG_SG_SG_EEES9_SI_JZNS1_25segmented_radix_sort_implINS0_14default_configELb0EPKaPaPKlPlN2at6native12_GLOBAL__N_18offset_tEEE10hipError_tPvRmT1_PNSt15iterator_traitsIS12_E10value_typeET2_T3_PNS13_IS18_E10value_typeET4_jRbjT5_S1E_jjP12ihipStream_tbEUljE_ZNSN_ISO_Lb0ESQ_SR_ST_SU_SY_EESZ_S10_S11_S12_S16_S17_S18_S1B_S1C_jS1D_jS1E_S1E_jjS1G_bEUljE0_EEESZ_S10_S11_S18_S1C_S1E_T6_T7_T9_mT8_S1G_bDpT10_ENKUlT_T0_E_clISt17integral_constantIbLb0EES1T_IbLb1EEEEDaS1P_S1Q_EUlS1P_E_NS1_11comp_targetILNS1_3genE3ELNS1_11target_archE908ELNS1_3gpuE7ELNS1_3repE0EEENS1_30default_config_static_selectorELNS0_4arch9wavefront6targetE0EEEvS12_
; %bb.0:
	.section	.rodata,"a",@progbits
	.p2align	6, 0x0
	.amdhsa_kernel _ZN7rocprim17ROCPRIM_400000_NS6detail17trampoline_kernelINS0_13select_configILj256ELj13ELNS0_17block_load_methodE3ELS4_3ELS4_3ELNS0_20block_scan_algorithmE0ELj4294967295EEENS1_25partition_config_selectorILNS1_17partition_subalgoE4EjNS0_10empty_typeEbEEZZNS1_14partition_implILS8_4ELb0ES6_15HIP_vector_typeIjLj2EENS0_17counting_iteratorIjlEEPS9_SG_NS0_5tupleIJPjSI_NS0_16reverse_iteratorISI_EEEEENSH_IJSG_SG_SG_EEES9_SI_JZNS1_25segmented_radix_sort_implINS0_14default_configELb0EPKaPaPKlPlN2at6native12_GLOBAL__N_18offset_tEEE10hipError_tPvRmT1_PNSt15iterator_traitsIS12_E10value_typeET2_T3_PNS13_IS18_E10value_typeET4_jRbjT5_S1E_jjP12ihipStream_tbEUljE_ZNSN_ISO_Lb0ESQ_SR_ST_SU_SY_EESZ_S10_S11_S12_S16_S17_S18_S1B_S1C_jS1D_jS1E_S1E_jjS1G_bEUljE0_EEESZ_S10_S11_S18_S1C_S1E_T6_T7_T9_mT8_S1G_bDpT10_ENKUlT_T0_E_clISt17integral_constantIbLb0EES1T_IbLb1EEEEDaS1P_S1Q_EUlS1P_E_NS1_11comp_targetILNS1_3genE3ELNS1_11target_archE908ELNS1_3gpuE7ELNS1_3repE0EEENS1_30default_config_static_selectorELNS0_4arch9wavefront6targetE0EEEvS12_
		.amdhsa_group_segment_fixed_size 0
		.amdhsa_private_segment_fixed_size 0
		.amdhsa_kernarg_size 184
		.amdhsa_user_sgpr_count 6
		.amdhsa_user_sgpr_private_segment_buffer 1
		.amdhsa_user_sgpr_dispatch_ptr 0
		.amdhsa_user_sgpr_queue_ptr 0
		.amdhsa_user_sgpr_kernarg_segment_ptr 1
		.amdhsa_user_sgpr_dispatch_id 0
		.amdhsa_user_sgpr_flat_scratch_init 0
		.amdhsa_user_sgpr_private_segment_size 0
		.amdhsa_wavefront_size32 1
		.amdhsa_uses_dynamic_stack 0
		.amdhsa_system_sgpr_private_segment_wavefront_offset 0
		.amdhsa_system_sgpr_workgroup_id_x 1
		.amdhsa_system_sgpr_workgroup_id_y 0
		.amdhsa_system_sgpr_workgroup_id_z 0
		.amdhsa_system_sgpr_workgroup_info 0
		.amdhsa_system_vgpr_workitem_id 0
		.amdhsa_next_free_vgpr 1
		.amdhsa_next_free_sgpr 1
		.amdhsa_reserve_vcc 0
		.amdhsa_reserve_flat_scratch 0
		.amdhsa_float_round_mode_32 0
		.amdhsa_float_round_mode_16_64 0
		.amdhsa_float_denorm_mode_32 3
		.amdhsa_float_denorm_mode_16_64 3
		.amdhsa_dx10_clamp 1
		.amdhsa_ieee_mode 1
		.amdhsa_fp16_overflow 0
		.amdhsa_workgroup_processor_mode 1
		.amdhsa_memory_ordered 1
		.amdhsa_forward_progress 1
		.amdhsa_shared_vgpr_count 0
		.amdhsa_exception_fp_ieee_invalid_op 0
		.amdhsa_exception_fp_denorm_src 0
		.amdhsa_exception_fp_ieee_div_zero 0
		.amdhsa_exception_fp_ieee_overflow 0
		.amdhsa_exception_fp_ieee_underflow 0
		.amdhsa_exception_fp_ieee_inexact 0
		.amdhsa_exception_int_div_zero 0
	.end_amdhsa_kernel
	.section	.text._ZN7rocprim17ROCPRIM_400000_NS6detail17trampoline_kernelINS0_13select_configILj256ELj13ELNS0_17block_load_methodE3ELS4_3ELS4_3ELNS0_20block_scan_algorithmE0ELj4294967295EEENS1_25partition_config_selectorILNS1_17partition_subalgoE4EjNS0_10empty_typeEbEEZZNS1_14partition_implILS8_4ELb0ES6_15HIP_vector_typeIjLj2EENS0_17counting_iteratorIjlEEPS9_SG_NS0_5tupleIJPjSI_NS0_16reverse_iteratorISI_EEEEENSH_IJSG_SG_SG_EEES9_SI_JZNS1_25segmented_radix_sort_implINS0_14default_configELb0EPKaPaPKlPlN2at6native12_GLOBAL__N_18offset_tEEE10hipError_tPvRmT1_PNSt15iterator_traitsIS12_E10value_typeET2_T3_PNS13_IS18_E10value_typeET4_jRbjT5_S1E_jjP12ihipStream_tbEUljE_ZNSN_ISO_Lb0ESQ_SR_ST_SU_SY_EESZ_S10_S11_S12_S16_S17_S18_S1B_S1C_jS1D_jS1E_S1E_jjS1G_bEUljE0_EEESZ_S10_S11_S18_S1C_S1E_T6_T7_T9_mT8_S1G_bDpT10_ENKUlT_T0_E_clISt17integral_constantIbLb0EES1T_IbLb1EEEEDaS1P_S1Q_EUlS1P_E_NS1_11comp_targetILNS1_3genE3ELNS1_11target_archE908ELNS1_3gpuE7ELNS1_3repE0EEENS1_30default_config_static_selectorELNS0_4arch9wavefront6targetE0EEEvS12_,"axG",@progbits,_ZN7rocprim17ROCPRIM_400000_NS6detail17trampoline_kernelINS0_13select_configILj256ELj13ELNS0_17block_load_methodE3ELS4_3ELS4_3ELNS0_20block_scan_algorithmE0ELj4294967295EEENS1_25partition_config_selectorILNS1_17partition_subalgoE4EjNS0_10empty_typeEbEEZZNS1_14partition_implILS8_4ELb0ES6_15HIP_vector_typeIjLj2EENS0_17counting_iteratorIjlEEPS9_SG_NS0_5tupleIJPjSI_NS0_16reverse_iteratorISI_EEEEENSH_IJSG_SG_SG_EEES9_SI_JZNS1_25segmented_radix_sort_implINS0_14default_configELb0EPKaPaPKlPlN2at6native12_GLOBAL__N_18offset_tEEE10hipError_tPvRmT1_PNSt15iterator_traitsIS12_E10value_typeET2_T3_PNS13_IS18_E10value_typeET4_jRbjT5_S1E_jjP12ihipStream_tbEUljE_ZNSN_ISO_Lb0ESQ_SR_ST_SU_SY_EESZ_S10_S11_S12_S16_S17_S18_S1B_S1C_jS1D_jS1E_S1E_jjS1G_bEUljE0_EEESZ_S10_S11_S18_S1C_S1E_T6_T7_T9_mT8_S1G_bDpT10_ENKUlT_T0_E_clISt17integral_constantIbLb0EES1T_IbLb1EEEEDaS1P_S1Q_EUlS1P_E_NS1_11comp_targetILNS1_3genE3ELNS1_11target_archE908ELNS1_3gpuE7ELNS1_3repE0EEENS1_30default_config_static_selectorELNS0_4arch9wavefront6targetE0EEEvS12_,comdat
.Lfunc_end353:
	.size	_ZN7rocprim17ROCPRIM_400000_NS6detail17trampoline_kernelINS0_13select_configILj256ELj13ELNS0_17block_load_methodE3ELS4_3ELS4_3ELNS0_20block_scan_algorithmE0ELj4294967295EEENS1_25partition_config_selectorILNS1_17partition_subalgoE4EjNS0_10empty_typeEbEEZZNS1_14partition_implILS8_4ELb0ES6_15HIP_vector_typeIjLj2EENS0_17counting_iteratorIjlEEPS9_SG_NS0_5tupleIJPjSI_NS0_16reverse_iteratorISI_EEEEENSH_IJSG_SG_SG_EEES9_SI_JZNS1_25segmented_radix_sort_implINS0_14default_configELb0EPKaPaPKlPlN2at6native12_GLOBAL__N_18offset_tEEE10hipError_tPvRmT1_PNSt15iterator_traitsIS12_E10value_typeET2_T3_PNS13_IS18_E10value_typeET4_jRbjT5_S1E_jjP12ihipStream_tbEUljE_ZNSN_ISO_Lb0ESQ_SR_ST_SU_SY_EESZ_S10_S11_S12_S16_S17_S18_S1B_S1C_jS1D_jS1E_S1E_jjS1G_bEUljE0_EEESZ_S10_S11_S18_S1C_S1E_T6_T7_T9_mT8_S1G_bDpT10_ENKUlT_T0_E_clISt17integral_constantIbLb0EES1T_IbLb1EEEEDaS1P_S1Q_EUlS1P_E_NS1_11comp_targetILNS1_3genE3ELNS1_11target_archE908ELNS1_3gpuE7ELNS1_3repE0EEENS1_30default_config_static_selectorELNS0_4arch9wavefront6targetE0EEEvS12_, .Lfunc_end353-_ZN7rocprim17ROCPRIM_400000_NS6detail17trampoline_kernelINS0_13select_configILj256ELj13ELNS0_17block_load_methodE3ELS4_3ELS4_3ELNS0_20block_scan_algorithmE0ELj4294967295EEENS1_25partition_config_selectorILNS1_17partition_subalgoE4EjNS0_10empty_typeEbEEZZNS1_14partition_implILS8_4ELb0ES6_15HIP_vector_typeIjLj2EENS0_17counting_iteratorIjlEEPS9_SG_NS0_5tupleIJPjSI_NS0_16reverse_iteratorISI_EEEEENSH_IJSG_SG_SG_EEES9_SI_JZNS1_25segmented_radix_sort_implINS0_14default_configELb0EPKaPaPKlPlN2at6native12_GLOBAL__N_18offset_tEEE10hipError_tPvRmT1_PNSt15iterator_traitsIS12_E10value_typeET2_T3_PNS13_IS18_E10value_typeET4_jRbjT5_S1E_jjP12ihipStream_tbEUljE_ZNSN_ISO_Lb0ESQ_SR_ST_SU_SY_EESZ_S10_S11_S12_S16_S17_S18_S1B_S1C_jS1D_jS1E_S1E_jjS1G_bEUljE0_EEESZ_S10_S11_S18_S1C_S1E_T6_T7_T9_mT8_S1G_bDpT10_ENKUlT_T0_E_clISt17integral_constantIbLb0EES1T_IbLb1EEEEDaS1P_S1Q_EUlS1P_E_NS1_11comp_targetILNS1_3genE3ELNS1_11target_archE908ELNS1_3gpuE7ELNS1_3repE0EEENS1_30default_config_static_selectorELNS0_4arch9wavefront6targetE0EEEvS12_
                                        ; -- End function
	.set _ZN7rocprim17ROCPRIM_400000_NS6detail17trampoline_kernelINS0_13select_configILj256ELj13ELNS0_17block_load_methodE3ELS4_3ELS4_3ELNS0_20block_scan_algorithmE0ELj4294967295EEENS1_25partition_config_selectorILNS1_17partition_subalgoE4EjNS0_10empty_typeEbEEZZNS1_14partition_implILS8_4ELb0ES6_15HIP_vector_typeIjLj2EENS0_17counting_iteratorIjlEEPS9_SG_NS0_5tupleIJPjSI_NS0_16reverse_iteratorISI_EEEEENSH_IJSG_SG_SG_EEES9_SI_JZNS1_25segmented_radix_sort_implINS0_14default_configELb0EPKaPaPKlPlN2at6native12_GLOBAL__N_18offset_tEEE10hipError_tPvRmT1_PNSt15iterator_traitsIS12_E10value_typeET2_T3_PNS13_IS18_E10value_typeET4_jRbjT5_S1E_jjP12ihipStream_tbEUljE_ZNSN_ISO_Lb0ESQ_SR_ST_SU_SY_EESZ_S10_S11_S12_S16_S17_S18_S1B_S1C_jS1D_jS1E_S1E_jjS1G_bEUljE0_EEESZ_S10_S11_S18_S1C_S1E_T6_T7_T9_mT8_S1G_bDpT10_ENKUlT_T0_E_clISt17integral_constantIbLb0EES1T_IbLb1EEEEDaS1P_S1Q_EUlS1P_E_NS1_11comp_targetILNS1_3genE3ELNS1_11target_archE908ELNS1_3gpuE7ELNS1_3repE0EEENS1_30default_config_static_selectorELNS0_4arch9wavefront6targetE0EEEvS12_.num_vgpr, 0
	.set _ZN7rocprim17ROCPRIM_400000_NS6detail17trampoline_kernelINS0_13select_configILj256ELj13ELNS0_17block_load_methodE3ELS4_3ELS4_3ELNS0_20block_scan_algorithmE0ELj4294967295EEENS1_25partition_config_selectorILNS1_17partition_subalgoE4EjNS0_10empty_typeEbEEZZNS1_14partition_implILS8_4ELb0ES6_15HIP_vector_typeIjLj2EENS0_17counting_iteratorIjlEEPS9_SG_NS0_5tupleIJPjSI_NS0_16reverse_iteratorISI_EEEEENSH_IJSG_SG_SG_EEES9_SI_JZNS1_25segmented_radix_sort_implINS0_14default_configELb0EPKaPaPKlPlN2at6native12_GLOBAL__N_18offset_tEEE10hipError_tPvRmT1_PNSt15iterator_traitsIS12_E10value_typeET2_T3_PNS13_IS18_E10value_typeET4_jRbjT5_S1E_jjP12ihipStream_tbEUljE_ZNSN_ISO_Lb0ESQ_SR_ST_SU_SY_EESZ_S10_S11_S12_S16_S17_S18_S1B_S1C_jS1D_jS1E_S1E_jjS1G_bEUljE0_EEESZ_S10_S11_S18_S1C_S1E_T6_T7_T9_mT8_S1G_bDpT10_ENKUlT_T0_E_clISt17integral_constantIbLb0EES1T_IbLb1EEEEDaS1P_S1Q_EUlS1P_E_NS1_11comp_targetILNS1_3genE3ELNS1_11target_archE908ELNS1_3gpuE7ELNS1_3repE0EEENS1_30default_config_static_selectorELNS0_4arch9wavefront6targetE0EEEvS12_.num_agpr, 0
	.set _ZN7rocprim17ROCPRIM_400000_NS6detail17trampoline_kernelINS0_13select_configILj256ELj13ELNS0_17block_load_methodE3ELS4_3ELS4_3ELNS0_20block_scan_algorithmE0ELj4294967295EEENS1_25partition_config_selectorILNS1_17partition_subalgoE4EjNS0_10empty_typeEbEEZZNS1_14partition_implILS8_4ELb0ES6_15HIP_vector_typeIjLj2EENS0_17counting_iteratorIjlEEPS9_SG_NS0_5tupleIJPjSI_NS0_16reverse_iteratorISI_EEEEENSH_IJSG_SG_SG_EEES9_SI_JZNS1_25segmented_radix_sort_implINS0_14default_configELb0EPKaPaPKlPlN2at6native12_GLOBAL__N_18offset_tEEE10hipError_tPvRmT1_PNSt15iterator_traitsIS12_E10value_typeET2_T3_PNS13_IS18_E10value_typeET4_jRbjT5_S1E_jjP12ihipStream_tbEUljE_ZNSN_ISO_Lb0ESQ_SR_ST_SU_SY_EESZ_S10_S11_S12_S16_S17_S18_S1B_S1C_jS1D_jS1E_S1E_jjS1G_bEUljE0_EEESZ_S10_S11_S18_S1C_S1E_T6_T7_T9_mT8_S1G_bDpT10_ENKUlT_T0_E_clISt17integral_constantIbLb0EES1T_IbLb1EEEEDaS1P_S1Q_EUlS1P_E_NS1_11comp_targetILNS1_3genE3ELNS1_11target_archE908ELNS1_3gpuE7ELNS1_3repE0EEENS1_30default_config_static_selectorELNS0_4arch9wavefront6targetE0EEEvS12_.numbered_sgpr, 0
	.set _ZN7rocprim17ROCPRIM_400000_NS6detail17trampoline_kernelINS0_13select_configILj256ELj13ELNS0_17block_load_methodE3ELS4_3ELS4_3ELNS0_20block_scan_algorithmE0ELj4294967295EEENS1_25partition_config_selectorILNS1_17partition_subalgoE4EjNS0_10empty_typeEbEEZZNS1_14partition_implILS8_4ELb0ES6_15HIP_vector_typeIjLj2EENS0_17counting_iteratorIjlEEPS9_SG_NS0_5tupleIJPjSI_NS0_16reverse_iteratorISI_EEEEENSH_IJSG_SG_SG_EEES9_SI_JZNS1_25segmented_radix_sort_implINS0_14default_configELb0EPKaPaPKlPlN2at6native12_GLOBAL__N_18offset_tEEE10hipError_tPvRmT1_PNSt15iterator_traitsIS12_E10value_typeET2_T3_PNS13_IS18_E10value_typeET4_jRbjT5_S1E_jjP12ihipStream_tbEUljE_ZNSN_ISO_Lb0ESQ_SR_ST_SU_SY_EESZ_S10_S11_S12_S16_S17_S18_S1B_S1C_jS1D_jS1E_S1E_jjS1G_bEUljE0_EEESZ_S10_S11_S18_S1C_S1E_T6_T7_T9_mT8_S1G_bDpT10_ENKUlT_T0_E_clISt17integral_constantIbLb0EES1T_IbLb1EEEEDaS1P_S1Q_EUlS1P_E_NS1_11comp_targetILNS1_3genE3ELNS1_11target_archE908ELNS1_3gpuE7ELNS1_3repE0EEENS1_30default_config_static_selectorELNS0_4arch9wavefront6targetE0EEEvS12_.num_named_barrier, 0
	.set _ZN7rocprim17ROCPRIM_400000_NS6detail17trampoline_kernelINS0_13select_configILj256ELj13ELNS0_17block_load_methodE3ELS4_3ELS4_3ELNS0_20block_scan_algorithmE0ELj4294967295EEENS1_25partition_config_selectorILNS1_17partition_subalgoE4EjNS0_10empty_typeEbEEZZNS1_14partition_implILS8_4ELb0ES6_15HIP_vector_typeIjLj2EENS0_17counting_iteratorIjlEEPS9_SG_NS0_5tupleIJPjSI_NS0_16reverse_iteratorISI_EEEEENSH_IJSG_SG_SG_EEES9_SI_JZNS1_25segmented_radix_sort_implINS0_14default_configELb0EPKaPaPKlPlN2at6native12_GLOBAL__N_18offset_tEEE10hipError_tPvRmT1_PNSt15iterator_traitsIS12_E10value_typeET2_T3_PNS13_IS18_E10value_typeET4_jRbjT5_S1E_jjP12ihipStream_tbEUljE_ZNSN_ISO_Lb0ESQ_SR_ST_SU_SY_EESZ_S10_S11_S12_S16_S17_S18_S1B_S1C_jS1D_jS1E_S1E_jjS1G_bEUljE0_EEESZ_S10_S11_S18_S1C_S1E_T6_T7_T9_mT8_S1G_bDpT10_ENKUlT_T0_E_clISt17integral_constantIbLb0EES1T_IbLb1EEEEDaS1P_S1Q_EUlS1P_E_NS1_11comp_targetILNS1_3genE3ELNS1_11target_archE908ELNS1_3gpuE7ELNS1_3repE0EEENS1_30default_config_static_selectorELNS0_4arch9wavefront6targetE0EEEvS12_.private_seg_size, 0
	.set _ZN7rocprim17ROCPRIM_400000_NS6detail17trampoline_kernelINS0_13select_configILj256ELj13ELNS0_17block_load_methodE3ELS4_3ELS4_3ELNS0_20block_scan_algorithmE0ELj4294967295EEENS1_25partition_config_selectorILNS1_17partition_subalgoE4EjNS0_10empty_typeEbEEZZNS1_14partition_implILS8_4ELb0ES6_15HIP_vector_typeIjLj2EENS0_17counting_iteratorIjlEEPS9_SG_NS0_5tupleIJPjSI_NS0_16reverse_iteratorISI_EEEEENSH_IJSG_SG_SG_EEES9_SI_JZNS1_25segmented_radix_sort_implINS0_14default_configELb0EPKaPaPKlPlN2at6native12_GLOBAL__N_18offset_tEEE10hipError_tPvRmT1_PNSt15iterator_traitsIS12_E10value_typeET2_T3_PNS13_IS18_E10value_typeET4_jRbjT5_S1E_jjP12ihipStream_tbEUljE_ZNSN_ISO_Lb0ESQ_SR_ST_SU_SY_EESZ_S10_S11_S12_S16_S17_S18_S1B_S1C_jS1D_jS1E_S1E_jjS1G_bEUljE0_EEESZ_S10_S11_S18_S1C_S1E_T6_T7_T9_mT8_S1G_bDpT10_ENKUlT_T0_E_clISt17integral_constantIbLb0EES1T_IbLb1EEEEDaS1P_S1Q_EUlS1P_E_NS1_11comp_targetILNS1_3genE3ELNS1_11target_archE908ELNS1_3gpuE7ELNS1_3repE0EEENS1_30default_config_static_selectorELNS0_4arch9wavefront6targetE0EEEvS12_.uses_vcc, 0
	.set _ZN7rocprim17ROCPRIM_400000_NS6detail17trampoline_kernelINS0_13select_configILj256ELj13ELNS0_17block_load_methodE3ELS4_3ELS4_3ELNS0_20block_scan_algorithmE0ELj4294967295EEENS1_25partition_config_selectorILNS1_17partition_subalgoE4EjNS0_10empty_typeEbEEZZNS1_14partition_implILS8_4ELb0ES6_15HIP_vector_typeIjLj2EENS0_17counting_iteratorIjlEEPS9_SG_NS0_5tupleIJPjSI_NS0_16reverse_iteratorISI_EEEEENSH_IJSG_SG_SG_EEES9_SI_JZNS1_25segmented_radix_sort_implINS0_14default_configELb0EPKaPaPKlPlN2at6native12_GLOBAL__N_18offset_tEEE10hipError_tPvRmT1_PNSt15iterator_traitsIS12_E10value_typeET2_T3_PNS13_IS18_E10value_typeET4_jRbjT5_S1E_jjP12ihipStream_tbEUljE_ZNSN_ISO_Lb0ESQ_SR_ST_SU_SY_EESZ_S10_S11_S12_S16_S17_S18_S1B_S1C_jS1D_jS1E_S1E_jjS1G_bEUljE0_EEESZ_S10_S11_S18_S1C_S1E_T6_T7_T9_mT8_S1G_bDpT10_ENKUlT_T0_E_clISt17integral_constantIbLb0EES1T_IbLb1EEEEDaS1P_S1Q_EUlS1P_E_NS1_11comp_targetILNS1_3genE3ELNS1_11target_archE908ELNS1_3gpuE7ELNS1_3repE0EEENS1_30default_config_static_selectorELNS0_4arch9wavefront6targetE0EEEvS12_.uses_flat_scratch, 0
	.set _ZN7rocprim17ROCPRIM_400000_NS6detail17trampoline_kernelINS0_13select_configILj256ELj13ELNS0_17block_load_methodE3ELS4_3ELS4_3ELNS0_20block_scan_algorithmE0ELj4294967295EEENS1_25partition_config_selectorILNS1_17partition_subalgoE4EjNS0_10empty_typeEbEEZZNS1_14partition_implILS8_4ELb0ES6_15HIP_vector_typeIjLj2EENS0_17counting_iteratorIjlEEPS9_SG_NS0_5tupleIJPjSI_NS0_16reverse_iteratorISI_EEEEENSH_IJSG_SG_SG_EEES9_SI_JZNS1_25segmented_radix_sort_implINS0_14default_configELb0EPKaPaPKlPlN2at6native12_GLOBAL__N_18offset_tEEE10hipError_tPvRmT1_PNSt15iterator_traitsIS12_E10value_typeET2_T3_PNS13_IS18_E10value_typeET4_jRbjT5_S1E_jjP12ihipStream_tbEUljE_ZNSN_ISO_Lb0ESQ_SR_ST_SU_SY_EESZ_S10_S11_S12_S16_S17_S18_S1B_S1C_jS1D_jS1E_S1E_jjS1G_bEUljE0_EEESZ_S10_S11_S18_S1C_S1E_T6_T7_T9_mT8_S1G_bDpT10_ENKUlT_T0_E_clISt17integral_constantIbLb0EES1T_IbLb1EEEEDaS1P_S1Q_EUlS1P_E_NS1_11comp_targetILNS1_3genE3ELNS1_11target_archE908ELNS1_3gpuE7ELNS1_3repE0EEENS1_30default_config_static_selectorELNS0_4arch9wavefront6targetE0EEEvS12_.has_dyn_sized_stack, 0
	.set _ZN7rocprim17ROCPRIM_400000_NS6detail17trampoline_kernelINS0_13select_configILj256ELj13ELNS0_17block_load_methodE3ELS4_3ELS4_3ELNS0_20block_scan_algorithmE0ELj4294967295EEENS1_25partition_config_selectorILNS1_17partition_subalgoE4EjNS0_10empty_typeEbEEZZNS1_14partition_implILS8_4ELb0ES6_15HIP_vector_typeIjLj2EENS0_17counting_iteratorIjlEEPS9_SG_NS0_5tupleIJPjSI_NS0_16reverse_iteratorISI_EEEEENSH_IJSG_SG_SG_EEES9_SI_JZNS1_25segmented_radix_sort_implINS0_14default_configELb0EPKaPaPKlPlN2at6native12_GLOBAL__N_18offset_tEEE10hipError_tPvRmT1_PNSt15iterator_traitsIS12_E10value_typeET2_T3_PNS13_IS18_E10value_typeET4_jRbjT5_S1E_jjP12ihipStream_tbEUljE_ZNSN_ISO_Lb0ESQ_SR_ST_SU_SY_EESZ_S10_S11_S12_S16_S17_S18_S1B_S1C_jS1D_jS1E_S1E_jjS1G_bEUljE0_EEESZ_S10_S11_S18_S1C_S1E_T6_T7_T9_mT8_S1G_bDpT10_ENKUlT_T0_E_clISt17integral_constantIbLb0EES1T_IbLb1EEEEDaS1P_S1Q_EUlS1P_E_NS1_11comp_targetILNS1_3genE3ELNS1_11target_archE908ELNS1_3gpuE7ELNS1_3repE0EEENS1_30default_config_static_selectorELNS0_4arch9wavefront6targetE0EEEvS12_.has_recursion, 0
	.set _ZN7rocprim17ROCPRIM_400000_NS6detail17trampoline_kernelINS0_13select_configILj256ELj13ELNS0_17block_load_methodE3ELS4_3ELS4_3ELNS0_20block_scan_algorithmE0ELj4294967295EEENS1_25partition_config_selectorILNS1_17partition_subalgoE4EjNS0_10empty_typeEbEEZZNS1_14partition_implILS8_4ELb0ES6_15HIP_vector_typeIjLj2EENS0_17counting_iteratorIjlEEPS9_SG_NS0_5tupleIJPjSI_NS0_16reverse_iteratorISI_EEEEENSH_IJSG_SG_SG_EEES9_SI_JZNS1_25segmented_radix_sort_implINS0_14default_configELb0EPKaPaPKlPlN2at6native12_GLOBAL__N_18offset_tEEE10hipError_tPvRmT1_PNSt15iterator_traitsIS12_E10value_typeET2_T3_PNS13_IS18_E10value_typeET4_jRbjT5_S1E_jjP12ihipStream_tbEUljE_ZNSN_ISO_Lb0ESQ_SR_ST_SU_SY_EESZ_S10_S11_S12_S16_S17_S18_S1B_S1C_jS1D_jS1E_S1E_jjS1G_bEUljE0_EEESZ_S10_S11_S18_S1C_S1E_T6_T7_T9_mT8_S1G_bDpT10_ENKUlT_T0_E_clISt17integral_constantIbLb0EES1T_IbLb1EEEEDaS1P_S1Q_EUlS1P_E_NS1_11comp_targetILNS1_3genE3ELNS1_11target_archE908ELNS1_3gpuE7ELNS1_3repE0EEENS1_30default_config_static_selectorELNS0_4arch9wavefront6targetE0EEEvS12_.has_indirect_call, 0
	.section	.AMDGPU.csdata,"",@progbits
; Kernel info:
; codeLenInByte = 0
; TotalNumSgprs: 0
; NumVgprs: 0
; ScratchSize: 0
; MemoryBound: 0
; FloatMode: 240
; IeeeMode: 1
; LDSByteSize: 0 bytes/workgroup (compile time only)
; SGPRBlocks: 0
; VGPRBlocks: 0
; NumSGPRsForWavesPerEU: 1
; NumVGPRsForWavesPerEU: 1
; Occupancy: 16
; WaveLimiterHint : 0
; COMPUTE_PGM_RSRC2:SCRATCH_EN: 0
; COMPUTE_PGM_RSRC2:USER_SGPR: 6
; COMPUTE_PGM_RSRC2:TRAP_HANDLER: 0
; COMPUTE_PGM_RSRC2:TGID_X_EN: 1
; COMPUTE_PGM_RSRC2:TGID_Y_EN: 0
; COMPUTE_PGM_RSRC2:TGID_Z_EN: 0
; COMPUTE_PGM_RSRC2:TIDIG_COMP_CNT: 0
	.section	.text._ZN7rocprim17ROCPRIM_400000_NS6detail17trampoline_kernelINS0_13select_configILj256ELj13ELNS0_17block_load_methodE3ELS4_3ELS4_3ELNS0_20block_scan_algorithmE0ELj4294967295EEENS1_25partition_config_selectorILNS1_17partition_subalgoE4EjNS0_10empty_typeEbEEZZNS1_14partition_implILS8_4ELb0ES6_15HIP_vector_typeIjLj2EENS0_17counting_iteratorIjlEEPS9_SG_NS0_5tupleIJPjSI_NS0_16reverse_iteratorISI_EEEEENSH_IJSG_SG_SG_EEES9_SI_JZNS1_25segmented_radix_sort_implINS0_14default_configELb0EPKaPaPKlPlN2at6native12_GLOBAL__N_18offset_tEEE10hipError_tPvRmT1_PNSt15iterator_traitsIS12_E10value_typeET2_T3_PNS13_IS18_E10value_typeET4_jRbjT5_S1E_jjP12ihipStream_tbEUljE_ZNSN_ISO_Lb0ESQ_SR_ST_SU_SY_EESZ_S10_S11_S12_S16_S17_S18_S1B_S1C_jS1D_jS1E_S1E_jjS1G_bEUljE0_EEESZ_S10_S11_S18_S1C_S1E_T6_T7_T9_mT8_S1G_bDpT10_ENKUlT_T0_E_clISt17integral_constantIbLb0EES1T_IbLb1EEEEDaS1P_S1Q_EUlS1P_E_NS1_11comp_targetILNS1_3genE2ELNS1_11target_archE906ELNS1_3gpuE6ELNS1_3repE0EEENS1_30default_config_static_selectorELNS0_4arch9wavefront6targetE0EEEvS12_,"axG",@progbits,_ZN7rocprim17ROCPRIM_400000_NS6detail17trampoline_kernelINS0_13select_configILj256ELj13ELNS0_17block_load_methodE3ELS4_3ELS4_3ELNS0_20block_scan_algorithmE0ELj4294967295EEENS1_25partition_config_selectorILNS1_17partition_subalgoE4EjNS0_10empty_typeEbEEZZNS1_14partition_implILS8_4ELb0ES6_15HIP_vector_typeIjLj2EENS0_17counting_iteratorIjlEEPS9_SG_NS0_5tupleIJPjSI_NS0_16reverse_iteratorISI_EEEEENSH_IJSG_SG_SG_EEES9_SI_JZNS1_25segmented_radix_sort_implINS0_14default_configELb0EPKaPaPKlPlN2at6native12_GLOBAL__N_18offset_tEEE10hipError_tPvRmT1_PNSt15iterator_traitsIS12_E10value_typeET2_T3_PNS13_IS18_E10value_typeET4_jRbjT5_S1E_jjP12ihipStream_tbEUljE_ZNSN_ISO_Lb0ESQ_SR_ST_SU_SY_EESZ_S10_S11_S12_S16_S17_S18_S1B_S1C_jS1D_jS1E_S1E_jjS1G_bEUljE0_EEESZ_S10_S11_S18_S1C_S1E_T6_T7_T9_mT8_S1G_bDpT10_ENKUlT_T0_E_clISt17integral_constantIbLb0EES1T_IbLb1EEEEDaS1P_S1Q_EUlS1P_E_NS1_11comp_targetILNS1_3genE2ELNS1_11target_archE906ELNS1_3gpuE6ELNS1_3repE0EEENS1_30default_config_static_selectorELNS0_4arch9wavefront6targetE0EEEvS12_,comdat
	.globl	_ZN7rocprim17ROCPRIM_400000_NS6detail17trampoline_kernelINS0_13select_configILj256ELj13ELNS0_17block_load_methodE3ELS4_3ELS4_3ELNS0_20block_scan_algorithmE0ELj4294967295EEENS1_25partition_config_selectorILNS1_17partition_subalgoE4EjNS0_10empty_typeEbEEZZNS1_14partition_implILS8_4ELb0ES6_15HIP_vector_typeIjLj2EENS0_17counting_iteratorIjlEEPS9_SG_NS0_5tupleIJPjSI_NS0_16reverse_iteratorISI_EEEEENSH_IJSG_SG_SG_EEES9_SI_JZNS1_25segmented_radix_sort_implINS0_14default_configELb0EPKaPaPKlPlN2at6native12_GLOBAL__N_18offset_tEEE10hipError_tPvRmT1_PNSt15iterator_traitsIS12_E10value_typeET2_T3_PNS13_IS18_E10value_typeET4_jRbjT5_S1E_jjP12ihipStream_tbEUljE_ZNSN_ISO_Lb0ESQ_SR_ST_SU_SY_EESZ_S10_S11_S12_S16_S17_S18_S1B_S1C_jS1D_jS1E_S1E_jjS1G_bEUljE0_EEESZ_S10_S11_S18_S1C_S1E_T6_T7_T9_mT8_S1G_bDpT10_ENKUlT_T0_E_clISt17integral_constantIbLb0EES1T_IbLb1EEEEDaS1P_S1Q_EUlS1P_E_NS1_11comp_targetILNS1_3genE2ELNS1_11target_archE906ELNS1_3gpuE6ELNS1_3repE0EEENS1_30default_config_static_selectorELNS0_4arch9wavefront6targetE0EEEvS12_ ; -- Begin function _ZN7rocprim17ROCPRIM_400000_NS6detail17trampoline_kernelINS0_13select_configILj256ELj13ELNS0_17block_load_methodE3ELS4_3ELS4_3ELNS0_20block_scan_algorithmE0ELj4294967295EEENS1_25partition_config_selectorILNS1_17partition_subalgoE4EjNS0_10empty_typeEbEEZZNS1_14partition_implILS8_4ELb0ES6_15HIP_vector_typeIjLj2EENS0_17counting_iteratorIjlEEPS9_SG_NS0_5tupleIJPjSI_NS0_16reverse_iteratorISI_EEEEENSH_IJSG_SG_SG_EEES9_SI_JZNS1_25segmented_radix_sort_implINS0_14default_configELb0EPKaPaPKlPlN2at6native12_GLOBAL__N_18offset_tEEE10hipError_tPvRmT1_PNSt15iterator_traitsIS12_E10value_typeET2_T3_PNS13_IS18_E10value_typeET4_jRbjT5_S1E_jjP12ihipStream_tbEUljE_ZNSN_ISO_Lb0ESQ_SR_ST_SU_SY_EESZ_S10_S11_S12_S16_S17_S18_S1B_S1C_jS1D_jS1E_S1E_jjS1G_bEUljE0_EEESZ_S10_S11_S18_S1C_S1E_T6_T7_T9_mT8_S1G_bDpT10_ENKUlT_T0_E_clISt17integral_constantIbLb0EES1T_IbLb1EEEEDaS1P_S1Q_EUlS1P_E_NS1_11comp_targetILNS1_3genE2ELNS1_11target_archE906ELNS1_3gpuE6ELNS1_3repE0EEENS1_30default_config_static_selectorELNS0_4arch9wavefront6targetE0EEEvS12_
	.p2align	8
	.type	_ZN7rocprim17ROCPRIM_400000_NS6detail17trampoline_kernelINS0_13select_configILj256ELj13ELNS0_17block_load_methodE3ELS4_3ELS4_3ELNS0_20block_scan_algorithmE0ELj4294967295EEENS1_25partition_config_selectorILNS1_17partition_subalgoE4EjNS0_10empty_typeEbEEZZNS1_14partition_implILS8_4ELb0ES6_15HIP_vector_typeIjLj2EENS0_17counting_iteratorIjlEEPS9_SG_NS0_5tupleIJPjSI_NS0_16reverse_iteratorISI_EEEEENSH_IJSG_SG_SG_EEES9_SI_JZNS1_25segmented_radix_sort_implINS0_14default_configELb0EPKaPaPKlPlN2at6native12_GLOBAL__N_18offset_tEEE10hipError_tPvRmT1_PNSt15iterator_traitsIS12_E10value_typeET2_T3_PNS13_IS18_E10value_typeET4_jRbjT5_S1E_jjP12ihipStream_tbEUljE_ZNSN_ISO_Lb0ESQ_SR_ST_SU_SY_EESZ_S10_S11_S12_S16_S17_S18_S1B_S1C_jS1D_jS1E_S1E_jjS1G_bEUljE0_EEESZ_S10_S11_S18_S1C_S1E_T6_T7_T9_mT8_S1G_bDpT10_ENKUlT_T0_E_clISt17integral_constantIbLb0EES1T_IbLb1EEEEDaS1P_S1Q_EUlS1P_E_NS1_11comp_targetILNS1_3genE2ELNS1_11target_archE906ELNS1_3gpuE6ELNS1_3repE0EEENS1_30default_config_static_selectorELNS0_4arch9wavefront6targetE0EEEvS12_,@function
_ZN7rocprim17ROCPRIM_400000_NS6detail17trampoline_kernelINS0_13select_configILj256ELj13ELNS0_17block_load_methodE3ELS4_3ELS4_3ELNS0_20block_scan_algorithmE0ELj4294967295EEENS1_25partition_config_selectorILNS1_17partition_subalgoE4EjNS0_10empty_typeEbEEZZNS1_14partition_implILS8_4ELb0ES6_15HIP_vector_typeIjLj2EENS0_17counting_iteratorIjlEEPS9_SG_NS0_5tupleIJPjSI_NS0_16reverse_iteratorISI_EEEEENSH_IJSG_SG_SG_EEES9_SI_JZNS1_25segmented_radix_sort_implINS0_14default_configELb0EPKaPaPKlPlN2at6native12_GLOBAL__N_18offset_tEEE10hipError_tPvRmT1_PNSt15iterator_traitsIS12_E10value_typeET2_T3_PNS13_IS18_E10value_typeET4_jRbjT5_S1E_jjP12ihipStream_tbEUljE_ZNSN_ISO_Lb0ESQ_SR_ST_SU_SY_EESZ_S10_S11_S12_S16_S17_S18_S1B_S1C_jS1D_jS1E_S1E_jjS1G_bEUljE0_EEESZ_S10_S11_S18_S1C_S1E_T6_T7_T9_mT8_S1G_bDpT10_ENKUlT_T0_E_clISt17integral_constantIbLb0EES1T_IbLb1EEEEDaS1P_S1Q_EUlS1P_E_NS1_11comp_targetILNS1_3genE2ELNS1_11target_archE906ELNS1_3gpuE6ELNS1_3repE0EEENS1_30default_config_static_selectorELNS0_4arch9wavefront6targetE0EEEvS12_: ; @_ZN7rocprim17ROCPRIM_400000_NS6detail17trampoline_kernelINS0_13select_configILj256ELj13ELNS0_17block_load_methodE3ELS4_3ELS4_3ELNS0_20block_scan_algorithmE0ELj4294967295EEENS1_25partition_config_selectorILNS1_17partition_subalgoE4EjNS0_10empty_typeEbEEZZNS1_14partition_implILS8_4ELb0ES6_15HIP_vector_typeIjLj2EENS0_17counting_iteratorIjlEEPS9_SG_NS0_5tupleIJPjSI_NS0_16reverse_iteratorISI_EEEEENSH_IJSG_SG_SG_EEES9_SI_JZNS1_25segmented_radix_sort_implINS0_14default_configELb0EPKaPaPKlPlN2at6native12_GLOBAL__N_18offset_tEEE10hipError_tPvRmT1_PNSt15iterator_traitsIS12_E10value_typeET2_T3_PNS13_IS18_E10value_typeET4_jRbjT5_S1E_jjP12ihipStream_tbEUljE_ZNSN_ISO_Lb0ESQ_SR_ST_SU_SY_EESZ_S10_S11_S12_S16_S17_S18_S1B_S1C_jS1D_jS1E_S1E_jjS1G_bEUljE0_EEESZ_S10_S11_S18_S1C_S1E_T6_T7_T9_mT8_S1G_bDpT10_ENKUlT_T0_E_clISt17integral_constantIbLb0EES1T_IbLb1EEEEDaS1P_S1Q_EUlS1P_E_NS1_11comp_targetILNS1_3genE2ELNS1_11target_archE906ELNS1_3gpuE6ELNS1_3repE0EEENS1_30default_config_static_selectorELNS0_4arch9wavefront6targetE0EEEvS12_
; %bb.0:
	.section	.rodata,"a",@progbits
	.p2align	6, 0x0
	.amdhsa_kernel _ZN7rocprim17ROCPRIM_400000_NS6detail17trampoline_kernelINS0_13select_configILj256ELj13ELNS0_17block_load_methodE3ELS4_3ELS4_3ELNS0_20block_scan_algorithmE0ELj4294967295EEENS1_25partition_config_selectorILNS1_17partition_subalgoE4EjNS0_10empty_typeEbEEZZNS1_14partition_implILS8_4ELb0ES6_15HIP_vector_typeIjLj2EENS0_17counting_iteratorIjlEEPS9_SG_NS0_5tupleIJPjSI_NS0_16reverse_iteratorISI_EEEEENSH_IJSG_SG_SG_EEES9_SI_JZNS1_25segmented_radix_sort_implINS0_14default_configELb0EPKaPaPKlPlN2at6native12_GLOBAL__N_18offset_tEEE10hipError_tPvRmT1_PNSt15iterator_traitsIS12_E10value_typeET2_T3_PNS13_IS18_E10value_typeET4_jRbjT5_S1E_jjP12ihipStream_tbEUljE_ZNSN_ISO_Lb0ESQ_SR_ST_SU_SY_EESZ_S10_S11_S12_S16_S17_S18_S1B_S1C_jS1D_jS1E_S1E_jjS1G_bEUljE0_EEESZ_S10_S11_S18_S1C_S1E_T6_T7_T9_mT8_S1G_bDpT10_ENKUlT_T0_E_clISt17integral_constantIbLb0EES1T_IbLb1EEEEDaS1P_S1Q_EUlS1P_E_NS1_11comp_targetILNS1_3genE2ELNS1_11target_archE906ELNS1_3gpuE6ELNS1_3repE0EEENS1_30default_config_static_selectorELNS0_4arch9wavefront6targetE0EEEvS12_
		.amdhsa_group_segment_fixed_size 0
		.amdhsa_private_segment_fixed_size 0
		.amdhsa_kernarg_size 184
		.amdhsa_user_sgpr_count 6
		.amdhsa_user_sgpr_private_segment_buffer 1
		.amdhsa_user_sgpr_dispatch_ptr 0
		.amdhsa_user_sgpr_queue_ptr 0
		.amdhsa_user_sgpr_kernarg_segment_ptr 1
		.amdhsa_user_sgpr_dispatch_id 0
		.amdhsa_user_sgpr_flat_scratch_init 0
		.amdhsa_user_sgpr_private_segment_size 0
		.amdhsa_wavefront_size32 1
		.amdhsa_uses_dynamic_stack 0
		.amdhsa_system_sgpr_private_segment_wavefront_offset 0
		.amdhsa_system_sgpr_workgroup_id_x 1
		.amdhsa_system_sgpr_workgroup_id_y 0
		.amdhsa_system_sgpr_workgroup_id_z 0
		.amdhsa_system_sgpr_workgroup_info 0
		.amdhsa_system_vgpr_workitem_id 0
		.amdhsa_next_free_vgpr 1
		.amdhsa_next_free_sgpr 1
		.amdhsa_reserve_vcc 0
		.amdhsa_reserve_flat_scratch 0
		.amdhsa_float_round_mode_32 0
		.amdhsa_float_round_mode_16_64 0
		.amdhsa_float_denorm_mode_32 3
		.amdhsa_float_denorm_mode_16_64 3
		.amdhsa_dx10_clamp 1
		.amdhsa_ieee_mode 1
		.amdhsa_fp16_overflow 0
		.amdhsa_workgroup_processor_mode 1
		.amdhsa_memory_ordered 1
		.amdhsa_forward_progress 1
		.amdhsa_shared_vgpr_count 0
		.amdhsa_exception_fp_ieee_invalid_op 0
		.amdhsa_exception_fp_denorm_src 0
		.amdhsa_exception_fp_ieee_div_zero 0
		.amdhsa_exception_fp_ieee_overflow 0
		.amdhsa_exception_fp_ieee_underflow 0
		.amdhsa_exception_fp_ieee_inexact 0
		.amdhsa_exception_int_div_zero 0
	.end_amdhsa_kernel
	.section	.text._ZN7rocprim17ROCPRIM_400000_NS6detail17trampoline_kernelINS0_13select_configILj256ELj13ELNS0_17block_load_methodE3ELS4_3ELS4_3ELNS0_20block_scan_algorithmE0ELj4294967295EEENS1_25partition_config_selectorILNS1_17partition_subalgoE4EjNS0_10empty_typeEbEEZZNS1_14partition_implILS8_4ELb0ES6_15HIP_vector_typeIjLj2EENS0_17counting_iteratorIjlEEPS9_SG_NS0_5tupleIJPjSI_NS0_16reverse_iteratorISI_EEEEENSH_IJSG_SG_SG_EEES9_SI_JZNS1_25segmented_radix_sort_implINS0_14default_configELb0EPKaPaPKlPlN2at6native12_GLOBAL__N_18offset_tEEE10hipError_tPvRmT1_PNSt15iterator_traitsIS12_E10value_typeET2_T3_PNS13_IS18_E10value_typeET4_jRbjT5_S1E_jjP12ihipStream_tbEUljE_ZNSN_ISO_Lb0ESQ_SR_ST_SU_SY_EESZ_S10_S11_S12_S16_S17_S18_S1B_S1C_jS1D_jS1E_S1E_jjS1G_bEUljE0_EEESZ_S10_S11_S18_S1C_S1E_T6_T7_T9_mT8_S1G_bDpT10_ENKUlT_T0_E_clISt17integral_constantIbLb0EES1T_IbLb1EEEEDaS1P_S1Q_EUlS1P_E_NS1_11comp_targetILNS1_3genE2ELNS1_11target_archE906ELNS1_3gpuE6ELNS1_3repE0EEENS1_30default_config_static_selectorELNS0_4arch9wavefront6targetE0EEEvS12_,"axG",@progbits,_ZN7rocprim17ROCPRIM_400000_NS6detail17trampoline_kernelINS0_13select_configILj256ELj13ELNS0_17block_load_methodE3ELS4_3ELS4_3ELNS0_20block_scan_algorithmE0ELj4294967295EEENS1_25partition_config_selectorILNS1_17partition_subalgoE4EjNS0_10empty_typeEbEEZZNS1_14partition_implILS8_4ELb0ES6_15HIP_vector_typeIjLj2EENS0_17counting_iteratorIjlEEPS9_SG_NS0_5tupleIJPjSI_NS0_16reverse_iteratorISI_EEEEENSH_IJSG_SG_SG_EEES9_SI_JZNS1_25segmented_radix_sort_implINS0_14default_configELb0EPKaPaPKlPlN2at6native12_GLOBAL__N_18offset_tEEE10hipError_tPvRmT1_PNSt15iterator_traitsIS12_E10value_typeET2_T3_PNS13_IS18_E10value_typeET4_jRbjT5_S1E_jjP12ihipStream_tbEUljE_ZNSN_ISO_Lb0ESQ_SR_ST_SU_SY_EESZ_S10_S11_S12_S16_S17_S18_S1B_S1C_jS1D_jS1E_S1E_jjS1G_bEUljE0_EEESZ_S10_S11_S18_S1C_S1E_T6_T7_T9_mT8_S1G_bDpT10_ENKUlT_T0_E_clISt17integral_constantIbLb0EES1T_IbLb1EEEEDaS1P_S1Q_EUlS1P_E_NS1_11comp_targetILNS1_3genE2ELNS1_11target_archE906ELNS1_3gpuE6ELNS1_3repE0EEENS1_30default_config_static_selectorELNS0_4arch9wavefront6targetE0EEEvS12_,comdat
.Lfunc_end354:
	.size	_ZN7rocprim17ROCPRIM_400000_NS6detail17trampoline_kernelINS0_13select_configILj256ELj13ELNS0_17block_load_methodE3ELS4_3ELS4_3ELNS0_20block_scan_algorithmE0ELj4294967295EEENS1_25partition_config_selectorILNS1_17partition_subalgoE4EjNS0_10empty_typeEbEEZZNS1_14partition_implILS8_4ELb0ES6_15HIP_vector_typeIjLj2EENS0_17counting_iteratorIjlEEPS9_SG_NS0_5tupleIJPjSI_NS0_16reverse_iteratorISI_EEEEENSH_IJSG_SG_SG_EEES9_SI_JZNS1_25segmented_radix_sort_implINS0_14default_configELb0EPKaPaPKlPlN2at6native12_GLOBAL__N_18offset_tEEE10hipError_tPvRmT1_PNSt15iterator_traitsIS12_E10value_typeET2_T3_PNS13_IS18_E10value_typeET4_jRbjT5_S1E_jjP12ihipStream_tbEUljE_ZNSN_ISO_Lb0ESQ_SR_ST_SU_SY_EESZ_S10_S11_S12_S16_S17_S18_S1B_S1C_jS1D_jS1E_S1E_jjS1G_bEUljE0_EEESZ_S10_S11_S18_S1C_S1E_T6_T7_T9_mT8_S1G_bDpT10_ENKUlT_T0_E_clISt17integral_constantIbLb0EES1T_IbLb1EEEEDaS1P_S1Q_EUlS1P_E_NS1_11comp_targetILNS1_3genE2ELNS1_11target_archE906ELNS1_3gpuE6ELNS1_3repE0EEENS1_30default_config_static_selectorELNS0_4arch9wavefront6targetE0EEEvS12_, .Lfunc_end354-_ZN7rocprim17ROCPRIM_400000_NS6detail17trampoline_kernelINS0_13select_configILj256ELj13ELNS0_17block_load_methodE3ELS4_3ELS4_3ELNS0_20block_scan_algorithmE0ELj4294967295EEENS1_25partition_config_selectorILNS1_17partition_subalgoE4EjNS0_10empty_typeEbEEZZNS1_14partition_implILS8_4ELb0ES6_15HIP_vector_typeIjLj2EENS0_17counting_iteratorIjlEEPS9_SG_NS0_5tupleIJPjSI_NS0_16reverse_iteratorISI_EEEEENSH_IJSG_SG_SG_EEES9_SI_JZNS1_25segmented_radix_sort_implINS0_14default_configELb0EPKaPaPKlPlN2at6native12_GLOBAL__N_18offset_tEEE10hipError_tPvRmT1_PNSt15iterator_traitsIS12_E10value_typeET2_T3_PNS13_IS18_E10value_typeET4_jRbjT5_S1E_jjP12ihipStream_tbEUljE_ZNSN_ISO_Lb0ESQ_SR_ST_SU_SY_EESZ_S10_S11_S12_S16_S17_S18_S1B_S1C_jS1D_jS1E_S1E_jjS1G_bEUljE0_EEESZ_S10_S11_S18_S1C_S1E_T6_T7_T9_mT8_S1G_bDpT10_ENKUlT_T0_E_clISt17integral_constantIbLb0EES1T_IbLb1EEEEDaS1P_S1Q_EUlS1P_E_NS1_11comp_targetILNS1_3genE2ELNS1_11target_archE906ELNS1_3gpuE6ELNS1_3repE0EEENS1_30default_config_static_selectorELNS0_4arch9wavefront6targetE0EEEvS12_
                                        ; -- End function
	.set _ZN7rocprim17ROCPRIM_400000_NS6detail17trampoline_kernelINS0_13select_configILj256ELj13ELNS0_17block_load_methodE3ELS4_3ELS4_3ELNS0_20block_scan_algorithmE0ELj4294967295EEENS1_25partition_config_selectorILNS1_17partition_subalgoE4EjNS0_10empty_typeEbEEZZNS1_14partition_implILS8_4ELb0ES6_15HIP_vector_typeIjLj2EENS0_17counting_iteratorIjlEEPS9_SG_NS0_5tupleIJPjSI_NS0_16reverse_iteratorISI_EEEEENSH_IJSG_SG_SG_EEES9_SI_JZNS1_25segmented_radix_sort_implINS0_14default_configELb0EPKaPaPKlPlN2at6native12_GLOBAL__N_18offset_tEEE10hipError_tPvRmT1_PNSt15iterator_traitsIS12_E10value_typeET2_T3_PNS13_IS18_E10value_typeET4_jRbjT5_S1E_jjP12ihipStream_tbEUljE_ZNSN_ISO_Lb0ESQ_SR_ST_SU_SY_EESZ_S10_S11_S12_S16_S17_S18_S1B_S1C_jS1D_jS1E_S1E_jjS1G_bEUljE0_EEESZ_S10_S11_S18_S1C_S1E_T6_T7_T9_mT8_S1G_bDpT10_ENKUlT_T0_E_clISt17integral_constantIbLb0EES1T_IbLb1EEEEDaS1P_S1Q_EUlS1P_E_NS1_11comp_targetILNS1_3genE2ELNS1_11target_archE906ELNS1_3gpuE6ELNS1_3repE0EEENS1_30default_config_static_selectorELNS0_4arch9wavefront6targetE0EEEvS12_.num_vgpr, 0
	.set _ZN7rocprim17ROCPRIM_400000_NS6detail17trampoline_kernelINS0_13select_configILj256ELj13ELNS0_17block_load_methodE3ELS4_3ELS4_3ELNS0_20block_scan_algorithmE0ELj4294967295EEENS1_25partition_config_selectorILNS1_17partition_subalgoE4EjNS0_10empty_typeEbEEZZNS1_14partition_implILS8_4ELb0ES6_15HIP_vector_typeIjLj2EENS0_17counting_iteratorIjlEEPS9_SG_NS0_5tupleIJPjSI_NS0_16reverse_iteratorISI_EEEEENSH_IJSG_SG_SG_EEES9_SI_JZNS1_25segmented_radix_sort_implINS0_14default_configELb0EPKaPaPKlPlN2at6native12_GLOBAL__N_18offset_tEEE10hipError_tPvRmT1_PNSt15iterator_traitsIS12_E10value_typeET2_T3_PNS13_IS18_E10value_typeET4_jRbjT5_S1E_jjP12ihipStream_tbEUljE_ZNSN_ISO_Lb0ESQ_SR_ST_SU_SY_EESZ_S10_S11_S12_S16_S17_S18_S1B_S1C_jS1D_jS1E_S1E_jjS1G_bEUljE0_EEESZ_S10_S11_S18_S1C_S1E_T6_T7_T9_mT8_S1G_bDpT10_ENKUlT_T0_E_clISt17integral_constantIbLb0EES1T_IbLb1EEEEDaS1P_S1Q_EUlS1P_E_NS1_11comp_targetILNS1_3genE2ELNS1_11target_archE906ELNS1_3gpuE6ELNS1_3repE0EEENS1_30default_config_static_selectorELNS0_4arch9wavefront6targetE0EEEvS12_.num_agpr, 0
	.set _ZN7rocprim17ROCPRIM_400000_NS6detail17trampoline_kernelINS0_13select_configILj256ELj13ELNS0_17block_load_methodE3ELS4_3ELS4_3ELNS0_20block_scan_algorithmE0ELj4294967295EEENS1_25partition_config_selectorILNS1_17partition_subalgoE4EjNS0_10empty_typeEbEEZZNS1_14partition_implILS8_4ELb0ES6_15HIP_vector_typeIjLj2EENS0_17counting_iteratorIjlEEPS9_SG_NS0_5tupleIJPjSI_NS0_16reverse_iteratorISI_EEEEENSH_IJSG_SG_SG_EEES9_SI_JZNS1_25segmented_radix_sort_implINS0_14default_configELb0EPKaPaPKlPlN2at6native12_GLOBAL__N_18offset_tEEE10hipError_tPvRmT1_PNSt15iterator_traitsIS12_E10value_typeET2_T3_PNS13_IS18_E10value_typeET4_jRbjT5_S1E_jjP12ihipStream_tbEUljE_ZNSN_ISO_Lb0ESQ_SR_ST_SU_SY_EESZ_S10_S11_S12_S16_S17_S18_S1B_S1C_jS1D_jS1E_S1E_jjS1G_bEUljE0_EEESZ_S10_S11_S18_S1C_S1E_T6_T7_T9_mT8_S1G_bDpT10_ENKUlT_T0_E_clISt17integral_constantIbLb0EES1T_IbLb1EEEEDaS1P_S1Q_EUlS1P_E_NS1_11comp_targetILNS1_3genE2ELNS1_11target_archE906ELNS1_3gpuE6ELNS1_3repE0EEENS1_30default_config_static_selectorELNS0_4arch9wavefront6targetE0EEEvS12_.numbered_sgpr, 0
	.set _ZN7rocprim17ROCPRIM_400000_NS6detail17trampoline_kernelINS0_13select_configILj256ELj13ELNS0_17block_load_methodE3ELS4_3ELS4_3ELNS0_20block_scan_algorithmE0ELj4294967295EEENS1_25partition_config_selectorILNS1_17partition_subalgoE4EjNS0_10empty_typeEbEEZZNS1_14partition_implILS8_4ELb0ES6_15HIP_vector_typeIjLj2EENS0_17counting_iteratorIjlEEPS9_SG_NS0_5tupleIJPjSI_NS0_16reverse_iteratorISI_EEEEENSH_IJSG_SG_SG_EEES9_SI_JZNS1_25segmented_radix_sort_implINS0_14default_configELb0EPKaPaPKlPlN2at6native12_GLOBAL__N_18offset_tEEE10hipError_tPvRmT1_PNSt15iterator_traitsIS12_E10value_typeET2_T3_PNS13_IS18_E10value_typeET4_jRbjT5_S1E_jjP12ihipStream_tbEUljE_ZNSN_ISO_Lb0ESQ_SR_ST_SU_SY_EESZ_S10_S11_S12_S16_S17_S18_S1B_S1C_jS1D_jS1E_S1E_jjS1G_bEUljE0_EEESZ_S10_S11_S18_S1C_S1E_T6_T7_T9_mT8_S1G_bDpT10_ENKUlT_T0_E_clISt17integral_constantIbLb0EES1T_IbLb1EEEEDaS1P_S1Q_EUlS1P_E_NS1_11comp_targetILNS1_3genE2ELNS1_11target_archE906ELNS1_3gpuE6ELNS1_3repE0EEENS1_30default_config_static_selectorELNS0_4arch9wavefront6targetE0EEEvS12_.num_named_barrier, 0
	.set _ZN7rocprim17ROCPRIM_400000_NS6detail17trampoline_kernelINS0_13select_configILj256ELj13ELNS0_17block_load_methodE3ELS4_3ELS4_3ELNS0_20block_scan_algorithmE0ELj4294967295EEENS1_25partition_config_selectorILNS1_17partition_subalgoE4EjNS0_10empty_typeEbEEZZNS1_14partition_implILS8_4ELb0ES6_15HIP_vector_typeIjLj2EENS0_17counting_iteratorIjlEEPS9_SG_NS0_5tupleIJPjSI_NS0_16reverse_iteratorISI_EEEEENSH_IJSG_SG_SG_EEES9_SI_JZNS1_25segmented_radix_sort_implINS0_14default_configELb0EPKaPaPKlPlN2at6native12_GLOBAL__N_18offset_tEEE10hipError_tPvRmT1_PNSt15iterator_traitsIS12_E10value_typeET2_T3_PNS13_IS18_E10value_typeET4_jRbjT5_S1E_jjP12ihipStream_tbEUljE_ZNSN_ISO_Lb0ESQ_SR_ST_SU_SY_EESZ_S10_S11_S12_S16_S17_S18_S1B_S1C_jS1D_jS1E_S1E_jjS1G_bEUljE0_EEESZ_S10_S11_S18_S1C_S1E_T6_T7_T9_mT8_S1G_bDpT10_ENKUlT_T0_E_clISt17integral_constantIbLb0EES1T_IbLb1EEEEDaS1P_S1Q_EUlS1P_E_NS1_11comp_targetILNS1_3genE2ELNS1_11target_archE906ELNS1_3gpuE6ELNS1_3repE0EEENS1_30default_config_static_selectorELNS0_4arch9wavefront6targetE0EEEvS12_.private_seg_size, 0
	.set _ZN7rocprim17ROCPRIM_400000_NS6detail17trampoline_kernelINS0_13select_configILj256ELj13ELNS0_17block_load_methodE3ELS4_3ELS4_3ELNS0_20block_scan_algorithmE0ELj4294967295EEENS1_25partition_config_selectorILNS1_17partition_subalgoE4EjNS0_10empty_typeEbEEZZNS1_14partition_implILS8_4ELb0ES6_15HIP_vector_typeIjLj2EENS0_17counting_iteratorIjlEEPS9_SG_NS0_5tupleIJPjSI_NS0_16reverse_iteratorISI_EEEEENSH_IJSG_SG_SG_EEES9_SI_JZNS1_25segmented_radix_sort_implINS0_14default_configELb0EPKaPaPKlPlN2at6native12_GLOBAL__N_18offset_tEEE10hipError_tPvRmT1_PNSt15iterator_traitsIS12_E10value_typeET2_T3_PNS13_IS18_E10value_typeET4_jRbjT5_S1E_jjP12ihipStream_tbEUljE_ZNSN_ISO_Lb0ESQ_SR_ST_SU_SY_EESZ_S10_S11_S12_S16_S17_S18_S1B_S1C_jS1D_jS1E_S1E_jjS1G_bEUljE0_EEESZ_S10_S11_S18_S1C_S1E_T6_T7_T9_mT8_S1G_bDpT10_ENKUlT_T0_E_clISt17integral_constantIbLb0EES1T_IbLb1EEEEDaS1P_S1Q_EUlS1P_E_NS1_11comp_targetILNS1_3genE2ELNS1_11target_archE906ELNS1_3gpuE6ELNS1_3repE0EEENS1_30default_config_static_selectorELNS0_4arch9wavefront6targetE0EEEvS12_.uses_vcc, 0
	.set _ZN7rocprim17ROCPRIM_400000_NS6detail17trampoline_kernelINS0_13select_configILj256ELj13ELNS0_17block_load_methodE3ELS4_3ELS4_3ELNS0_20block_scan_algorithmE0ELj4294967295EEENS1_25partition_config_selectorILNS1_17partition_subalgoE4EjNS0_10empty_typeEbEEZZNS1_14partition_implILS8_4ELb0ES6_15HIP_vector_typeIjLj2EENS0_17counting_iteratorIjlEEPS9_SG_NS0_5tupleIJPjSI_NS0_16reverse_iteratorISI_EEEEENSH_IJSG_SG_SG_EEES9_SI_JZNS1_25segmented_radix_sort_implINS0_14default_configELb0EPKaPaPKlPlN2at6native12_GLOBAL__N_18offset_tEEE10hipError_tPvRmT1_PNSt15iterator_traitsIS12_E10value_typeET2_T3_PNS13_IS18_E10value_typeET4_jRbjT5_S1E_jjP12ihipStream_tbEUljE_ZNSN_ISO_Lb0ESQ_SR_ST_SU_SY_EESZ_S10_S11_S12_S16_S17_S18_S1B_S1C_jS1D_jS1E_S1E_jjS1G_bEUljE0_EEESZ_S10_S11_S18_S1C_S1E_T6_T7_T9_mT8_S1G_bDpT10_ENKUlT_T0_E_clISt17integral_constantIbLb0EES1T_IbLb1EEEEDaS1P_S1Q_EUlS1P_E_NS1_11comp_targetILNS1_3genE2ELNS1_11target_archE906ELNS1_3gpuE6ELNS1_3repE0EEENS1_30default_config_static_selectorELNS0_4arch9wavefront6targetE0EEEvS12_.uses_flat_scratch, 0
	.set _ZN7rocprim17ROCPRIM_400000_NS6detail17trampoline_kernelINS0_13select_configILj256ELj13ELNS0_17block_load_methodE3ELS4_3ELS4_3ELNS0_20block_scan_algorithmE0ELj4294967295EEENS1_25partition_config_selectorILNS1_17partition_subalgoE4EjNS0_10empty_typeEbEEZZNS1_14partition_implILS8_4ELb0ES6_15HIP_vector_typeIjLj2EENS0_17counting_iteratorIjlEEPS9_SG_NS0_5tupleIJPjSI_NS0_16reverse_iteratorISI_EEEEENSH_IJSG_SG_SG_EEES9_SI_JZNS1_25segmented_radix_sort_implINS0_14default_configELb0EPKaPaPKlPlN2at6native12_GLOBAL__N_18offset_tEEE10hipError_tPvRmT1_PNSt15iterator_traitsIS12_E10value_typeET2_T3_PNS13_IS18_E10value_typeET4_jRbjT5_S1E_jjP12ihipStream_tbEUljE_ZNSN_ISO_Lb0ESQ_SR_ST_SU_SY_EESZ_S10_S11_S12_S16_S17_S18_S1B_S1C_jS1D_jS1E_S1E_jjS1G_bEUljE0_EEESZ_S10_S11_S18_S1C_S1E_T6_T7_T9_mT8_S1G_bDpT10_ENKUlT_T0_E_clISt17integral_constantIbLb0EES1T_IbLb1EEEEDaS1P_S1Q_EUlS1P_E_NS1_11comp_targetILNS1_3genE2ELNS1_11target_archE906ELNS1_3gpuE6ELNS1_3repE0EEENS1_30default_config_static_selectorELNS0_4arch9wavefront6targetE0EEEvS12_.has_dyn_sized_stack, 0
	.set _ZN7rocprim17ROCPRIM_400000_NS6detail17trampoline_kernelINS0_13select_configILj256ELj13ELNS0_17block_load_methodE3ELS4_3ELS4_3ELNS0_20block_scan_algorithmE0ELj4294967295EEENS1_25partition_config_selectorILNS1_17partition_subalgoE4EjNS0_10empty_typeEbEEZZNS1_14partition_implILS8_4ELb0ES6_15HIP_vector_typeIjLj2EENS0_17counting_iteratorIjlEEPS9_SG_NS0_5tupleIJPjSI_NS0_16reverse_iteratorISI_EEEEENSH_IJSG_SG_SG_EEES9_SI_JZNS1_25segmented_radix_sort_implINS0_14default_configELb0EPKaPaPKlPlN2at6native12_GLOBAL__N_18offset_tEEE10hipError_tPvRmT1_PNSt15iterator_traitsIS12_E10value_typeET2_T3_PNS13_IS18_E10value_typeET4_jRbjT5_S1E_jjP12ihipStream_tbEUljE_ZNSN_ISO_Lb0ESQ_SR_ST_SU_SY_EESZ_S10_S11_S12_S16_S17_S18_S1B_S1C_jS1D_jS1E_S1E_jjS1G_bEUljE0_EEESZ_S10_S11_S18_S1C_S1E_T6_T7_T9_mT8_S1G_bDpT10_ENKUlT_T0_E_clISt17integral_constantIbLb0EES1T_IbLb1EEEEDaS1P_S1Q_EUlS1P_E_NS1_11comp_targetILNS1_3genE2ELNS1_11target_archE906ELNS1_3gpuE6ELNS1_3repE0EEENS1_30default_config_static_selectorELNS0_4arch9wavefront6targetE0EEEvS12_.has_recursion, 0
	.set _ZN7rocprim17ROCPRIM_400000_NS6detail17trampoline_kernelINS0_13select_configILj256ELj13ELNS0_17block_load_methodE3ELS4_3ELS4_3ELNS0_20block_scan_algorithmE0ELj4294967295EEENS1_25partition_config_selectorILNS1_17partition_subalgoE4EjNS0_10empty_typeEbEEZZNS1_14partition_implILS8_4ELb0ES6_15HIP_vector_typeIjLj2EENS0_17counting_iteratorIjlEEPS9_SG_NS0_5tupleIJPjSI_NS0_16reverse_iteratorISI_EEEEENSH_IJSG_SG_SG_EEES9_SI_JZNS1_25segmented_radix_sort_implINS0_14default_configELb0EPKaPaPKlPlN2at6native12_GLOBAL__N_18offset_tEEE10hipError_tPvRmT1_PNSt15iterator_traitsIS12_E10value_typeET2_T3_PNS13_IS18_E10value_typeET4_jRbjT5_S1E_jjP12ihipStream_tbEUljE_ZNSN_ISO_Lb0ESQ_SR_ST_SU_SY_EESZ_S10_S11_S12_S16_S17_S18_S1B_S1C_jS1D_jS1E_S1E_jjS1G_bEUljE0_EEESZ_S10_S11_S18_S1C_S1E_T6_T7_T9_mT8_S1G_bDpT10_ENKUlT_T0_E_clISt17integral_constantIbLb0EES1T_IbLb1EEEEDaS1P_S1Q_EUlS1P_E_NS1_11comp_targetILNS1_3genE2ELNS1_11target_archE906ELNS1_3gpuE6ELNS1_3repE0EEENS1_30default_config_static_selectorELNS0_4arch9wavefront6targetE0EEEvS12_.has_indirect_call, 0
	.section	.AMDGPU.csdata,"",@progbits
; Kernel info:
; codeLenInByte = 0
; TotalNumSgprs: 0
; NumVgprs: 0
; ScratchSize: 0
; MemoryBound: 0
; FloatMode: 240
; IeeeMode: 1
; LDSByteSize: 0 bytes/workgroup (compile time only)
; SGPRBlocks: 0
; VGPRBlocks: 0
; NumSGPRsForWavesPerEU: 1
; NumVGPRsForWavesPerEU: 1
; Occupancy: 16
; WaveLimiterHint : 0
; COMPUTE_PGM_RSRC2:SCRATCH_EN: 0
; COMPUTE_PGM_RSRC2:USER_SGPR: 6
; COMPUTE_PGM_RSRC2:TRAP_HANDLER: 0
; COMPUTE_PGM_RSRC2:TGID_X_EN: 1
; COMPUTE_PGM_RSRC2:TGID_Y_EN: 0
; COMPUTE_PGM_RSRC2:TGID_Z_EN: 0
; COMPUTE_PGM_RSRC2:TIDIG_COMP_CNT: 0
	.section	.text._ZN7rocprim17ROCPRIM_400000_NS6detail17trampoline_kernelINS0_13select_configILj256ELj13ELNS0_17block_load_methodE3ELS4_3ELS4_3ELNS0_20block_scan_algorithmE0ELj4294967295EEENS1_25partition_config_selectorILNS1_17partition_subalgoE4EjNS0_10empty_typeEbEEZZNS1_14partition_implILS8_4ELb0ES6_15HIP_vector_typeIjLj2EENS0_17counting_iteratorIjlEEPS9_SG_NS0_5tupleIJPjSI_NS0_16reverse_iteratorISI_EEEEENSH_IJSG_SG_SG_EEES9_SI_JZNS1_25segmented_radix_sort_implINS0_14default_configELb0EPKaPaPKlPlN2at6native12_GLOBAL__N_18offset_tEEE10hipError_tPvRmT1_PNSt15iterator_traitsIS12_E10value_typeET2_T3_PNS13_IS18_E10value_typeET4_jRbjT5_S1E_jjP12ihipStream_tbEUljE_ZNSN_ISO_Lb0ESQ_SR_ST_SU_SY_EESZ_S10_S11_S12_S16_S17_S18_S1B_S1C_jS1D_jS1E_S1E_jjS1G_bEUljE0_EEESZ_S10_S11_S18_S1C_S1E_T6_T7_T9_mT8_S1G_bDpT10_ENKUlT_T0_E_clISt17integral_constantIbLb0EES1T_IbLb1EEEEDaS1P_S1Q_EUlS1P_E_NS1_11comp_targetILNS1_3genE10ELNS1_11target_archE1200ELNS1_3gpuE4ELNS1_3repE0EEENS1_30default_config_static_selectorELNS0_4arch9wavefront6targetE0EEEvS12_,"axG",@progbits,_ZN7rocprim17ROCPRIM_400000_NS6detail17trampoline_kernelINS0_13select_configILj256ELj13ELNS0_17block_load_methodE3ELS4_3ELS4_3ELNS0_20block_scan_algorithmE0ELj4294967295EEENS1_25partition_config_selectorILNS1_17partition_subalgoE4EjNS0_10empty_typeEbEEZZNS1_14partition_implILS8_4ELb0ES6_15HIP_vector_typeIjLj2EENS0_17counting_iteratorIjlEEPS9_SG_NS0_5tupleIJPjSI_NS0_16reverse_iteratorISI_EEEEENSH_IJSG_SG_SG_EEES9_SI_JZNS1_25segmented_radix_sort_implINS0_14default_configELb0EPKaPaPKlPlN2at6native12_GLOBAL__N_18offset_tEEE10hipError_tPvRmT1_PNSt15iterator_traitsIS12_E10value_typeET2_T3_PNS13_IS18_E10value_typeET4_jRbjT5_S1E_jjP12ihipStream_tbEUljE_ZNSN_ISO_Lb0ESQ_SR_ST_SU_SY_EESZ_S10_S11_S12_S16_S17_S18_S1B_S1C_jS1D_jS1E_S1E_jjS1G_bEUljE0_EEESZ_S10_S11_S18_S1C_S1E_T6_T7_T9_mT8_S1G_bDpT10_ENKUlT_T0_E_clISt17integral_constantIbLb0EES1T_IbLb1EEEEDaS1P_S1Q_EUlS1P_E_NS1_11comp_targetILNS1_3genE10ELNS1_11target_archE1200ELNS1_3gpuE4ELNS1_3repE0EEENS1_30default_config_static_selectorELNS0_4arch9wavefront6targetE0EEEvS12_,comdat
	.globl	_ZN7rocprim17ROCPRIM_400000_NS6detail17trampoline_kernelINS0_13select_configILj256ELj13ELNS0_17block_load_methodE3ELS4_3ELS4_3ELNS0_20block_scan_algorithmE0ELj4294967295EEENS1_25partition_config_selectorILNS1_17partition_subalgoE4EjNS0_10empty_typeEbEEZZNS1_14partition_implILS8_4ELb0ES6_15HIP_vector_typeIjLj2EENS0_17counting_iteratorIjlEEPS9_SG_NS0_5tupleIJPjSI_NS0_16reverse_iteratorISI_EEEEENSH_IJSG_SG_SG_EEES9_SI_JZNS1_25segmented_radix_sort_implINS0_14default_configELb0EPKaPaPKlPlN2at6native12_GLOBAL__N_18offset_tEEE10hipError_tPvRmT1_PNSt15iterator_traitsIS12_E10value_typeET2_T3_PNS13_IS18_E10value_typeET4_jRbjT5_S1E_jjP12ihipStream_tbEUljE_ZNSN_ISO_Lb0ESQ_SR_ST_SU_SY_EESZ_S10_S11_S12_S16_S17_S18_S1B_S1C_jS1D_jS1E_S1E_jjS1G_bEUljE0_EEESZ_S10_S11_S18_S1C_S1E_T6_T7_T9_mT8_S1G_bDpT10_ENKUlT_T0_E_clISt17integral_constantIbLb0EES1T_IbLb1EEEEDaS1P_S1Q_EUlS1P_E_NS1_11comp_targetILNS1_3genE10ELNS1_11target_archE1200ELNS1_3gpuE4ELNS1_3repE0EEENS1_30default_config_static_selectorELNS0_4arch9wavefront6targetE0EEEvS12_ ; -- Begin function _ZN7rocprim17ROCPRIM_400000_NS6detail17trampoline_kernelINS0_13select_configILj256ELj13ELNS0_17block_load_methodE3ELS4_3ELS4_3ELNS0_20block_scan_algorithmE0ELj4294967295EEENS1_25partition_config_selectorILNS1_17partition_subalgoE4EjNS0_10empty_typeEbEEZZNS1_14partition_implILS8_4ELb0ES6_15HIP_vector_typeIjLj2EENS0_17counting_iteratorIjlEEPS9_SG_NS0_5tupleIJPjSI_NS0_16reverse_iteratorISI_EEEEENSH_IJSG_SG_SG_EEES9_SI_JZNS1_25segmented_radix_sort_implINS0_14default_configELb0EPKaPaPKlPlN2at6native12_GLOBAL__N_18offset_tEEE10hipError_tPvRmT1_PNSt15iterator_traitsIS12_E10value_typeET2_T3_PNS13_IS18_E10value_typeET4_jRbjT5_S1E_jjP12ihipStream_tbEUljE_ZNSN_ISO_Lb0ESQ_SR_ST_SU_SY_EESZ_S10_S11_S12_S16_S17_S18_S1B_S1C_jS1D_jS1E_S1E_jjS1G_bEUljE0_EEESZ_S10_S11_S18_S1C_S1E_T6_T7_T9_mT8_S1G_bDpT10_ENKUlT_T0_E_clISt17integral_constantIbLb0EES1T_IbLb1EEEEDaS1P_S1Q_EUlS1P_E_NS1_11comp_targetILNS1_3genE10ELNS1_11target_archE1200ELNS1_3gpuE4ELNS1_3repE0EEENS1_30default_config_static_selectorELNS0_4arch9wavefront6targetE0EEEvS12_
	.p2align	8
	.type	_ZN7rocprim17ROCPRIM_400000_NS6detail17trampoline_kernelINS0_13select_configILj256ELj13ELNS0_17block_load_methodE3ELS4_3ELS4_3ELNS0_20block_scan_algorithmE0ELj4294967295EEENS1_25partition_config_selectorILNS1_17partition_subalgoE4EjNS0_10empty_typeEbEEZZNS1_14partition_implILS8_4ELb0ES6_15HIP_vector_typeIjLj2EENS0_17counting_iteratorIjlEEPS9_SG_NS0_5tupleIJPjSI_NS0_16reverse_iteratorISI_EEEEENSH_IJSG_SG_SG_EEES9_SI_JZNS1_25segmented_radix_sort_implINS0_14default_configELb0EPKaPaPKlPlN2at6native12_GLOBAL__N_18offset_tEEE10hipError_tPvRmT1_PNSt15iterator_traitsIS12_E10value_typeET2_T3_PNS13_IS18_E10value_typeET4_jRbjT5_S1E_jjP12ihipStream_tbEUljE_ZNSN_ISO_Lb0ESQ_SR_ST_SU_SY_EESZ_S10_S11_S12_S16_S17_S18_S1B_S1C_jS1D_jS1E_S1E_jjS1G_bEUljE0_EEESZ_S10_S11_S18_S1C_S1E_T6_T7_T9_mT8_S1G_bDpT10_ENKUlT_T0_E_clISt17integral_constantIbLb0EES1T_IbLb1EEEEDaS1P_S1Q_EUlS1P_E_NS1_11comp_targetILNS1_3genE10ELNS1_11target_archE1200ELNS1_3gpuE4ELNS1_3repE0EEENS1_30default_config_static_selectorELNS0_4arch9wavefront6targetE0EEEvS12_,@function
_ZN7rocprim17ROCPRIM_400000_NS6detail17trampoline_kernelINS0_13select_configILj256ELj13ELNS0_17block_load_methodE3ELS4_3ELS4_3ELNS0_20block_scan_algorithmE0ELj4294967295EEENS1_25partition_config_selectorILNS1_17partition_subalgoE4EjNS0_10empty_typeEbEEZZNS1_14partition_implILS8_4ELb0ES6_15HIP_vector_typeIjLj2EENS0_17counting_iteratorIjlEEPS9_SG_NS0_5tupleIJPjSI_NS0_16reverse_iteratorISI_EEEEENSH_IJSG_SG_SG_EEES9_SI_JZNS1_25segmented_radix_sort_implINS0_14default_configELb0EPKaPaPKlPlN2at6native12_GLOBAL__N_18offset_tEEE10hipError_tPvRmT1_PNSt15iterator_traitsIS12_E10value_typeET2_T3_PNS13_IS18_E10value_typeET4_jRbjT5_S1E_jjP12ihipStream_tbEUljE_ZNSN_ISO_Lb0ESQ_SR_ST_SU_SY_EESZ_S10_S11_S12_S16_S17_S18_S1B_S1C_jS1D_jS1E_S1E_jjS1G_bEUljE0_EEESZ_S10_S11_S18_S1C_S1E_T6_T7_T9_mT8_S1G_bDpT10_ENKUlT_T0_E_clISt17integral_constantIbLb0EES1T_IbLb1EEEEDaS1P_S1Q_EUlS1P_E_NS1_11comp_targetILNS1_3genE10ELNS1_11target_archE1200ELNS1_3gpuE4ELNS1_3repE0EEENS1_30default_config_static_selectorELNS0_4arch9wavefront6targetE0EEEvS12_: ; @_ZN7rocprim17ROCPRIM_400000_NS6detail17trampoline_kernelINS0_13select_configILj256ELj13ELNS0_17block_load_methodE3ELS4_3ELS4_3ELNS0_20block_scan_algorithmE0ELj4294967295EEENS1_25partition_config_selectorILNS1_17partition_subalgoE4EjNS0_10empty_typeEbEEZZNS1_14partition_implILS8_4ELb0ES6_15HIP_vector_typeIjLj2EENS0_17counting_iteratorIjlEEPS9_SG_NS0_5tupleIJPjSI_NS0_16reverse_iteratorISI_EEEEENSH_IJSG_SG_SG_EEES9_SI_JZNS1_25segmented_radix_sort_implINS0_14default_configELb0EPKaPaPKlPlN2at6native12_GLOBAL__N_18offset_tEEE10hipError_tPvRmT1_PNSt15iterator_traitsIS12_E10value_typeET2_T3_PNS13_IS18_E10value_typeET4_jRbjT5_S1E_jjP12ihipStream_tbEUljE_ZNSN_ISO_Lb0ESQ_SR_ST_SU_SY_EESZ_S10_S11_S12_S16_S17_S18_S1B_S1C_jS1D_jS1E_S1E_jjS1G_bEUljE0_EEESZ_S10_S11_S18_S1C_S1E_T6_T7_T9_mT8_S1G_bDpT10_ENKUlT_T0_E_clISt17integral_constantIbLb0EES1T_IbLb1EEEEDaS1P_S1Q_EUlS1P_E_NS1_11comp_targetILNS1_3genE10ELNS1_11target_archE1200ELNS1_3gpuE4ELNS1_3repE0EEENS1_30default_config_static_selectorELNS0_4arch9wavefront6targetE0EEEvS12_
; %bb.0:
	.section	.rodata,"a",@progbits
	.p2align	6, 0x0
	.amdhsa_kernel _ZN7rocprim17ROCPRIM_400000_NS6detail17trampoline_kernelINS0_13select_configILj256ELj13ELNS0_17block_load_methodE3ELS4_3ELS4_3ELNS0_20block_scan_algorithmE0ELj4294967295EEENS1_25partition_config_selectorILNS1_17partition_subalgoE4EjNS0_10empty_typeEbEEZZNS1_14partition_implILS8_4ELb0ES6_15HIP_vector_typeIjLj2EENS0_17counting_iteratorIjlEEPS9_SG_NS0_5tupleIJPjSI_NS0_16reverse_iteratorISI_EEEEENSH_IJSG_SG_SG_EEES9_SI_JZNS1_25segmented_radix_sort_implINS0_14default_configELb0EPKaPaPKlPlN2at6native12_GLOBAL__N_18offset_tEEE10hipError_tPvRmT1_PNSt15iterator_traitsIS12_E10value_typeET2_T3_PNS13_IS18_E10value_typeET4_jRbjT5_S1E_jjP12ihipStream_tbEUljE_ZNSN_ISO_Lb0ESQ_SR_ST_SU_SY_EESZ_S10_S11_S12_S16_S17_S18_S1B_S1C_jS1D_jS1E_S1E_jjS1G_bEUljE0_EEESZ_S10_S11_S18_S1C_S1E_T6_T7_T9_mT8_S1G_bDpT10_ENKUlT_T0_E_clISt17integral_constantIbLb0EES1T_IbLb1EEEEDaS1P_S1Q_EUlS1P_E_NS1_11comp_targetILNS1_3genE10ELNS1_11target_archE1200ELNS1_3gpuE4ELNS1_3repE0EEENS1_30default_config_static_selectorELNS0_4arch9wavefront6targetE0EEEvS12_
		.amdhsa_group_segment_fixed_size 0
		.amdhsa_private_segment_fixed_size 0
		.amdhsa_kernarg_size 184
		.amdhsa_user_sgpr_count 6
		.amdhsa_user_sgpr_private_segment_buffer 1
		.amdhsa_user_sgpr_dispatch_ptr 0
		.amdhsa_user_sgpr_queue_ptr 0
		.amdhsa_user_sgpr_kernarg_segment_ptr 1
		.amdhsa_user_sgpr_dispatch_id 0
		.amdhsa_user_sgpr_flat_scratch_init 0
		.amdhsa_user_sgpr_private_segment_size 0
		.amdhsa_wavefront_size32 1
		.amdhsa_uses_dynamic_stack 0
		.amdhsa_system_sgpr_private_segment_wavefront_offset 0
		.amdhsa_system_sgpr_workgroup_id_x 1
		.amdhsa_system_sgpr_workgroup_id_y 0
		.amdhsa_system_sgpr_workgroup_id_z 0
		.amdhsa_system_sgpr_workgroup_info 0
		.amdhsa_system_vgpr_workitem_id 0
		.amdhsa_next_free_vgpr 1
		.amdhsa_next_free_sgpr 1
		.amdhsa_reserve_vcc 0
		.amdhsa_reserve_flat_scratch 0
		.amdhsa_float_round_mode_32 0
		.amdhsa_float_round_mode_16_64 0
		.amdhsa_float_denorm_mode_32 3
		.amdhsa_float_denorm_mode_16_64 3
		.amdhsa_dx10_clamp 1
		.amdhsa_ieee_mode 1
		.amdhsa_fp16_overflow 0
		.amdhsa_workgroup_processor_mode 1
		.amdhsa_memory_ordered 1
		.amdhsa_forward_progress 1
		.amdhsa_shared_vgpr_count 0
		.amdhsa_exception_fp_ieee_invalid_op 0
		.amdhsa_exception_fp_denorm_src 0
		.amdhsa_exception_fp_ieee_div_zero 0
		.amdhsa_exception_fp_ieee_overflow 0
		.amdhsa_exception_fp_ieee_underflow 0
		.amdhsa_exception_fp_ieee_inexact 0
		.amdhsa_exception_int_div_zero 0
	.end_amdhsa_kernel
	.section	.text._ZN7rocprim17ROCPRIM_400000_NS6detail17trampoline_kernelINS0_13select_configILj256ELj13ELNS0_17block_load_methodE3ELS4_3ELS4_3ELNS0_20block_scan_algorithmE0ELj4294967295EEENS1_25partition_config_selectorILNS1_17partition_subalgoE4EjNS0_10empty_typeEbEEZZNS1_14partition_implILS8_4ELb0ES6_15HIP_vector_typeIjLj2EENS0_17counting_iteratorIjlEEPS9_SG_NS0_5tupleIJPjSI_NS0_16reverse_iteratorISI_EEEEENSH_IJSG_SG_SG_EEES9_SI_JZNS1_25segmented_radix_sort_implINS0_14default_configELb0EPKaPaPKlPlN2at6native12_GLOBAL__N_18offset_tEEE10hipError_tPvRmT1_PNSt15iterator_traitsIS12_E10value_typeET2_T3_PNS13_IS18_E10value_typeET4_jRbjT5_S1E_jjP12ihipStream_tbEUljE_ZNSN_ISO_Lb0ESQ_SR_ST_SU_SY_EESZ_S10_S11_S12_S16_S17_S18_S1B_S1C_jS1D_jS1E_S1E_jjS1G_bEUljE0_EEESZ_S10_S11_S18_S1C_S1E_T6_T7_T9_mT8_S1G_bDpT10_ENKUlT_T0_E_clISt17integral_constantIbLb0EES1T_IbLb1EEEEDaS1P_S1Q_EUlS1P_E_NS1_11comp_targetILNS1_3genE10ELNS1_11target_archE1200ELNS1_3gpuE4ELNS1_3repE0EEENS1_30default_config_static_selectorELNS0_4arch9wavefront6targetE0EEEvS12_,"axG",@progbits,_ZN7rocprim17ROCPRIM_400000_NS6detail17trampoline_kernelINS0_13select_configILj256ELj13ELNS0_17block_load_methodE3ELS4_3ELS4_3ELNS0_20block_scan_algorithmE0ELj4294967295EEENS1_25partition_config_selectorILNS1_17partition_subalgoE4EjNS0_10empty_typeEbEEZZNS1_14partition_implILS8_4ELb0ES6_15HIP_vector_typeIjLj2EENS0_17counting_iteratorIjlEEPS9_SG_NS0_5tupleIJPjSI_NS0_16reverse_iteratorISI_EEEEENSH_IJSG_SG_SG_EEES9_SI_JZNS1_25segmented_radix_sort_implINS0_14default_configELb0EPKaPaPKlPlN2at6native12_GLOBAL__N_18offset_tEEE10hipError_tPvRmT1_PNSt15iterator_traitsIS12_E10value_typeET2_T3_PNS13_IS18_E10value_typeET4_jRbjT5_S1E_jjP12ihipStream_tbEUljE_ZNSN_ISO_Lb0ESQ_SR_ST_SU_SY_EESZ_S10_S11_S12_S16_S17_S18_S1B_S1C_jS1D_jS1E_S1E_jjS1G_bEUljE0_EEESZ_S10_S11_S18_S1C_S1E_T6_T7_T9_mT8_S1G_bDpT10_ENKUlT_T0_E_clISt17integral_constantIbLb0EES1T_IbLb1EEEEDaS1P_S1Q_EUlS1P_E_NS1_11comp_targetILNS1_3genE10ELNS1_11target_archE1200ELNS1_3gpuE4ELNS1_3repE0EEENS1_30default_config_static_selectorELNS0_4arch9wavefront6targetE0EEEvS12_,comdat
.Lfunc_end355:
	.size	_ZN7rocprim17ROCPRIM_400000_NS6detail17trampoline_kernelINS0_13select_configILj256ELj13ELNS0_17block_load_methodE3ELS4_3ELS4_3ELNS0_20block_scan_algorithmE0ELj4294967295EEENS1_25partition_config_selectorILNS1_17partition_subalgoE4EjNS0_10empty_typeEbEEZZNS1_14partition_implILS8_4ELb0ES6_15HIP_vector_typeIjLj2EENS0_17counting_iteratorIjlEEPS9_SG_NS0_5tupleIJPjSI_NS0_16reverse_iteratorISI_EEEEENSH_IJSG_SG_SG_EEES9_SI_JZNS1_25segmented_radix_sort_implINS0_14default_configELb0EPKaPaPKlPlN2at6native12_GLOBAL__N_18offset_tEEE10hipError_tPvRmT1_PNSt15iterator_traitsIS12_E10value_typeET2_T3_PNS13_IS18_E10value_typeET4_jRbjT5_S1E_jjP12ihipStream_tbEUljE_ZNSN_ISO_Lb0ESQ_SR_ST_SU_SY_EESZ_S10_S11_S12_S16_S17_S18_S1B_S1C_jS1D_jS1E_S1E_jjS1G_bEUljE0_EEESZ_S10_S11_S18_S1C_S1E_T6_T7_T9_mT8_S1G_bDpT10_ENKUlT_T0_E_clISt17integral_constantIbLb0EES1T_IbLb1EEEEDaS1P_S1Q_EUlS1P_E_NS1_11comp_targetILNS1_3genE10ELNS1_11target_archE1200ELNS1_3gpuE4ELNS1_3repE0EEENS1_30default_config_static_selectorELNS0_4arch9wavefront6targetE0EEEvS12_, .Lfunc_end355-_ZN7rocprim17ROCPRIM_400000_NS6detail17trampoline_kernelINS0_13select_configILj256ELj13ELNS0_17block_load_methodE3ELS4_3ELS4_3ELNS0_20block_scan_algorithmE0ELj4294967295EEENS1_25partition_config_selectorILNS1_17partition_subalgoE4EjNS0_10empty_typeEbEEZZNS1_14partition_implILS8_4ELb0ES6_15HIP_vector_typeIjLj2EENS0_17counting_iteratorIjlEEPS9_SG_NS0_5tupleIJPjSI_NS0_16reverse_iteratorISI_EEEEENSH_IJSG_SG_SG_EEES9_SI_JZNS1_25segmented_radix_sort_implINS0_14default_configELb0EPKaPaPKlPlN2at6native12_GLOBAL__N_18offset_tEEE10hipError_tPvRmT1_PNSt15iterator_traitsIS12_E10value_typeET2_T3_PNS13_IS18_E10value_typeET4_jRbjT5_S1E_jjP12ihipStream_tbEUljE_ZNSN_ISO_Lb0ESQ_SR_ST_SU_SY_EESZ_S10_S11_S12_S16_S17_S18_S1B_S1C_jS1D_jS1E_S1E_jjS1G_bEUljE0_EEESZ_S10_S11_S18_S1C_S1E_T6_T7_T9_mT8_S1G_bDpT10_ENKUlT_T0_E_clISt17integral_constantIbLb0EES1T_IbLb1EEEEDaS1P_S1Q_EUlS1P_E_NS1_11comp_targetILNS1_3genE10ELNS1_11target_archE1200ELNS1_3gpuE4ELNS1_3repE0EEENS1_30default_config_static_selectorELNS0_4arch9wavefront6targetE0EEEvS12_
                                        ; -- End function
	.set _ZN7rocprim17ROCPRIM_400000_NS6detail17trampoline_kernelINS0_13select_configILj256ELj13ELNS0_17block_load_methodE3ELS4_3ELS4_3ELNS0_20block_scan_algorithmE0ELj4294967295EEENS1_25partition_config_selectorILNS1_17partition_subalgoE4EjNS0_10empty_typeEbEEZZNS1_14partition_implILS8_4ELb0ES6_15HIP_vector_typeIjLj2EENS0_17counting_iteratorIjlEEPS9_SG_NS0_5tupleIJPjSI_NS0_16reverse_iteratorISI_EEEEENSH_IJSG_SG_SG_EEES9_SI_JZNS1_25segmented_radix_sort_implINS0_14default_configELb0EPKaPaPKlPlN2at6native12_GLOBAL__N_18offset_tEEE10hipError_tPvRmT1_PNSt15iterator_traitsIS12_E10value_typeET2_T3_PNS13_IS18_E10value_typeET4_jRbjT5_S1E_jjP12ihipStream_tbEUljE_ZNSN_ISO_Lb0ESQ_SR_ST_SU_SY_EESZ_S10_S11_S12_S16_S17_S18_S1B_S1C_jS1D_jS1E_S1E_jjS1G_bEUljE0_EEESZ_S10_S11_S18_S1C_S1E_T6_T7_T9_mT8_S1G_bDpT10_ENKUlT_T0_E_clISt17integral_constantIbLb0EES1T_IbLb1EEEEDaS1P_S1Q_EUlS1P_E_NS1_11comp_targetILNS1_3genE10ELNS1_11target_archE1200ELNS1_3gpuE4ELNS1_3repE0EEENS1_30default_config_static_selectorELNS0_4arch9wavefront6targetE0EEEvS12_.num_vgpr, 0
	.set _ZN7rocprim17ROCPRIM_400000_NS6detail17trampoline_kernelINS0_13select_configILj256ELj13ELNS0_17block_load_methodE3ELS4_3ELS4_3ELNS0_20block_scan_algorithmE0ELj4294967295EEENS1_25partition_config_selectorILNS1_17partition_subalgoE4EjNS0_10empty_typeEbEEZZNS1_14partition_implILS8_4ELb0ES6_15HIP_vector_typeIjLj2EENS0_17counting_iteratorIjlEEPS9_SG_NS0_5tupleIJPjSI_NS0_16reverse_iteratorISI_EEEEENSH_IJSG_SG_SG_EEES9_SI_JZNS1_25segmented_radix_sort_implINS0_14default_configELb0EPKaPaPKlPlN2at6native12_GLOBAL__N_18offset_tEEE10hipError_tPvRmT1_PNSt15iterator_traitsIS12_E10value_typeET2_T3_PNS13_IS18_E10value_typeET4_jRbjT5_S1E_jjP12ihipStream_tbEUljE_ZNSN_ISO_Lb0ESQ_SR_ST_SU_SY_EESZ_S10_S11_S12_S16_S17_S18_S1B_S1C_jS1D_jS1E_S1E_jjS1G_bEUljE0_EEESZ_S10_S11_S18_S1C_S1E_T6_T7_T9_mT8_S1G_bDpT10_ENKUlT_T0_E_clISt17integral_constantIbLb0EES1T_IbLb1EEEEDaS1P_S1Q_EUlS1P_E_NS1_11comp_targetILNS1_3genE10ELNS1_11target_archE1200ELNS1_3gpuE4ELNS1_3repE0EEENS1_30default_config_static_selectorELNS0_4arch9wavefront6targetE0EEEvS12_.num_agpr, 0
	.set _ZN7rocprim17ROCPRIM_400000_NS6detail17trampoline_kernelINS0_13select_configILj256ELj13ELNS0_17block_load_methodE3ELS4_3ELS4_3ELNS0_20block_scan_algorithmE0ELj4294967295EEENS1_25partition_config_selectorILNS1_17partition_subalgoE4EjNS0_10empty_typeEbEEZZNS1_14partition_implILS8_4ELb0ES6_15HIP_vector_typeIjLj2EENS0_17counting_iteratorIjlEEPS9_SG_NS0_5tupleIJPjSI_NS0_16reverse_iteratorISI_EEEEENSH_IJSG_SG_SG_EEES9_SI_JZNS1_25segmented_radix_sort_implINS0_14default_configELb0EPKaPaPKlPlN2at6native12_GLOBAL__N_18offset_tEEE10hipError_tPvRmT1_PNSt15iterator_traitsIS12_E10value_typeET2_T3_PNS13_IS18_E10value_typeET4_jRbjT5_S1E_jjP12ihipStream_tbEUljE_ZNSN_ISO_Lb0ESQ_SR_ST_SU_SY_EESZ_S10_S11_S12_S16_S17_S18_S1B_S1C_jS1D_jS1E_S1E_jjS1G_bEUljE0_EEESZ_S10_S11_S18_S1C_S1E_T6_T7_T9_mT8_S1G_bDpT10_ENKUlT_T0_E_clISt17integral_constantIbLb0EES1T_IbLb1EEEEDaS1P_S1Q_EUlS1P_E_NS1_11comp_targetILNS1_3genE10ELNS1_11target_archE1200ELNS1_3gpuE4ELNS1_3repE0EEENS1_30default_config_static_selectorELNS0_4arch9wavefront6targetE0EEEvS12_.numbered_sgpr, 0
	.set _ZN7rocprim17ROCPRIM_400000_NS6detail17trampoline_kernelINS0_13select_configILj256ELj13ELNS0_17block_load_methodE3ELS4_3ELS4_3ELNS0_20block_scan_algorithmE0ELj4294967295EEENS1_25partition_config_selectorILNS1_17partition_subalgoE4EjNS0_10empty_typeEbEEZZNS1_14partition_implILS8_4ELb0ES6_15HIP_vector_typeIjLj2EENS0_17counting_iteratorIjlEEPS9_SG_NS0_5tupleIJPjSI_NS0_16reverse_iteratorISI_EEEEENSH_IJSG_SG_SG_EEES9_SI_JZNS1_25segmented_radix_sort_implINS0_14default_configELb0EPKaPaPKlPlN2at6native12_GLOBAL__N_18offset_tEEE10hipError_tPvRmT1_PNSt15iterator_traitsIS12_E10value_typeET2_T3_PNS13_IS18_E10value_typeET4_jRbjT5_S1E_jjP12ihipStream_tbEUljE_ZNSN_ISO_Lb0ESQ_SR_ST_SU_SY_EESZ_S10_S11_S12_S16_S17_S18_S1B_S1C_jS1D_jS1E_S1E_jjS1G_bEUljE0_EEESZ_S10_S11_S18_S1C_S1E_T6_T7_T9_mT8_S1G_bDpT10_ENKUlT_T0_E_clISt17integral_constantIbLb0EES1T_IbLb1EEEEDaS1P_S1Q_EUlS1P_E_NS1_11comp_targetILNS1_3genE10ELNS1_11target_archE1200ELNS1_3gpuE4ELNS1_3repE0EEENS1_30default_config_static_selectorELNS0_4arch9wavefront6targetE0EEEvS12_.num_named_barrier, 0
	.set _ZN7rocprim17ROCPRIM_400000_NS6detail17trampoline_kernelINS0_13select_configILj256ELj13ELNS0_17block_load_methodE3ELS4_3ELS4_3ELNS0_20block_scan_algorithmE0ELj4294967295EEENS1_25partition_config_selectorILNS1_17partition_subalgoE4EjNS0_10empty_typeEbEEZZNS1_14partition_implILS8_4ELb0ES6_15HIP_vector_typeIjLj2EENS0_17counting_iteratorIjlEEPS9_SG_NS0_5tupleIJPjSI_NS0_16reverse_iteratorISI_EEEEENSH_IJSG_SG_SG_EEES9_SI_JZNS1_25segmented_radix_sort_implINS0_14default_configELb0EPKaPaPKlPlN2at6native12_GLOBAL__N_18offset_tEEE10hipError_tPvRmT1_PNSt15iterator_traitsIS12_E10value_typeET2_T3_PNS13_IS18_E10value_typeET4_jRbjT5_S1E_jjP12ihipStream_tbEUljE_ZNSN_ISO_Lb0ESQ_SR_ST_SU_SY_EESZ_S10_S11_S12_S16_S17_S18_S1B_S1C_jS1D_jS1E_S1E_jjS1G_bEUljE0_EEESZ_S10_S11_S18_S1C_S1E_T6_T7_T9_mT8_S1G_bDpT10_ENKUlT_T0_E_clISt17integral_constantIbLb0EES1T_IbLb1EEEEDaS1P_S1Q_EUlS1P_E_NS1_11comp_targetILNS1_3genE10ELNS1_11target_archE1200ELNS1_3gpuE4ELNS1_3repE0EEENS1_30default_config_static_selectorELNS0_4arch9wavefront6targetE0EEEvS12_.private_seg_size, 0
	.set _ZN7rocprim17ROCPRIM_400000_NS6detail17trampoline_kernelINS0_13select_configILj256ELj13ELNS0_17block_load_methodE3ELS4_3ELS4_3ELNS0_20block_scan_algorithmE0ELj4294967295EEENS1_25partition_config_selectorILNS1_17partition_subalgoE4EjNS0_10empty_typeEbEEZZNS1_14partition_implILS8_4ELb0ES6_15HIP_vector_typeIjLj2EENS0_17counting_iteratorIjlEEPS9_SG_NS0_5tupleIJPjSI_NS0_16reverse_iteratorISI_EEEEENSH_IJSG_SG_SG_EEES9_SI_JZNS1_25segmented_radix_sort_implINS0_14default_configELb0EPKaPaPKlPlN2at6native12_GLOBAL__N_18offset_tEEE10hipError_tPvRmT1_PNSt15iterator_traitsIS12_E10value_typeET2_T3_PNS13_IS18_E10value_typeET4_jRbjT5_S1E_jjP12ihipStream_tbEUljE_ZNSN_ISO_Lb0ESQ_SR_ST_SU_SY_EESZ_S10_S11_S12_S16_S17_S18_S1B_S1C_jS1D_jS1E_S1E_jjS1G_bEUljE0_EEESZ_S10_S11_S18_S1C_S1E_T6_T7_T9_mT8_S1G_bDpT10_ENKUlT_T0_E_clISt17integral_constantIbLb0EES1T_IbLb1EEEEDaS1P_S1Q_EUlS1P_E_NS1_11comp_targetILNS1_3genE10ELNS1_11target_archE1200ELNS1_3gpuE4ELNS1_3repE0EEENS1_30default_config_static_selectorELNS0_4arch9wavefront6targetE0EEEvS12_.uses_vcc, 0
	.set _ZN7rocprim17ROCPRIM_400000_NS6detail17trampoline_kernelINS0_13select_configILj256ELj13ELNS0_17block_load_methodE3ELS4_3ELS4_3ELNS0_20block_scan_algorithmE0ELj4294967295EEENS1_25partition_config_selectorILNS1_17partition_subalgoE4EjNS0_10empty_typeEbEEZZNS1_14partition_implILS8_4ELb0ES6_15HIP_vector_typeIjLj2EENS0_17counting_iteratorIjlEEPS9_SG_NS0_5tupleIJPjSI_NS0_16reverse_iteratorISI_EEEEENSH_IJSG_SG_SG_EEES9_SI_JZNS1_25segmented_radix_sort_implINS0_14default_configELb0EPKaPaPKlPlN2at6native12_GLOBAL__N_18offset_tEEE10hipError_tPvRmT1_PNSt15iterator_traitsIS12_E10value_typeET2_T3_PNS13_IS18_E10value_typeET4_jRbjT5_S1E_jjP12ihipStream_tbEUljE_ZNSN_ISO_Lb0ESQ_SR_ST_SU_SY_EESZ_S10_S11_S12_S16_S17_S18_S1B_S1C_jS1D_jS1E_S1E_jjS1G_bEUljE0_EEESZ_S10_S11_S18_S1C_S1E_T6_T7_T9_mT8_S1G_bDpT10_ENKUlT_T0_E_clISt17integral_constantIbLb0EES1T_IbLb1EEEEDaS1P_S1Q_EUlS1P_E_NS1_11comp_targetILNS1_3genE10ELNS1_11target_archE1200ELNS1_3gpuE4ELNS1_3repE0EEENS1_30default_config_static_selectorELNS0_4arch9wavefront6targetE0EEEvS12_.uses_flat_scratch, 0
	.set _ZN7rocprim17ROCPRIM_400000_NS6detail17trampoline_kernelINS0_13select_configILj256ELj13ELNS0_17block_load_methodE3ELS4_3ELS4_3ELNS0_20block_scan_algorithmE0ELj4294967295EEENS1_25partition_config_selectorILNS1_17partition_subalgoE4EjNS0_10empty_typeEbEEZZNS1_14partition_implILS8_4ELb0ES6_15HIP_vector_typeIjLj2EENS0_17counting_iteratorIjlEEPS9_SG_NS0_5tupleIJPjSI_NS0_16reverse_iteratorISI_EEEEENSH_IJSG_SG_SG_EEES9_SI_JZNS1_25segmented_radix_sort_implINS0_14default_configELb0EPKaPaPKlPlN2at6native12_GLOBAL__N_18offset_tEEE10hipError_tPvRmT1_PNSt15iterator_traitsIS12_E10value_typeET2_T3_PNS13_IS18_E10value_typeET4_jRbjT5_S1E_jjP12ihipStream_tbEUljE_ZNSN_ISO_Lb0ESQ_SR_ST_SU_SY_EESZ_S10_S11_S12_S16_S17_S18_S1B_S1C_jS1D_jS1E_S1E_jjS1G_bEUljE0_EEESZ_S10_S11_S18_S1C_S1E_T6_T7_T9_mT8_S1G_bDpT10_ENKUlT_T0_E_clISt17integral_constantIbLb0EES1T_IbLb1EEEEDaS1P_S1Q_EUlS1P_E_NS1_11comp_targetILNS1_3genE10ELNS1_11target_archE1200ELNS1_3gpuE4ELNS1_3repE0EEENS1_30default_config_static_selectorELNS0_4arch9wavefront6targetE0EEEvS12_.has_dyn_sized_stack, 0
	.set _ZN7rocprim17ROCPRIM_400000_NS6detail17trampoline_kernelINS0_13select_configILj256ELj13ELNS0_17block_load_methodE3ELS4_3ELS4_3ELNS0_20block_scan_algorithmE0ELj4294967295EEENS1_25partition_config_selectorILNS1_17partition_subalgoE4EjNS0_10empty_typeEbEEZZNS1_14partition_implILS8_4ELb0ES6_15HIP_vector_typeIjLj2EENS0_17counting_iteratorIjlEEPS9_SG_NS0_5tupleIJPjSI_NS0_16reverse_iteratorISI_EEEEENSH_IJSG_SG_SG_EEES9_SI_JZNS1_25segmented_radix_sort_implINS0_14default_configELb0EPKaPaPKlPlN2at6native12_GLOBAL__N_18offset_tEEE10hipError_tPvRmT1_PNSt15iterator_traitsIS12_E10value_typeET2_T3_PNS13_IS18_E10value_typeET4_jRbjT5_S1E_jjP12ihipStream_tbEUljE_ZNSN_ISO_Lb0ESQ_SR_ST_SU_SY_EESZ_S10_S11_S12_S16_S17_S18_S1B_S1C_jS1D_jS1E_S1E_jjS1G_bEUljE0_EEESZ_S10_S11_S18_S1C_S1E_T6_T7_T9_mT8_S1G_bDpT10_ENKUlT_T0_E_clISt17integral_constantIbLb0EES1T_IbLb1EEEEDaS1P_S1Q_EUlS1P_E_NS1_11comp_targetILNS1_3genE10ELNS1_11target_archE1200ELNS1_3gpuE4ELNS1_3repE0EEENS1_30default_config_static_selectorELNS0_4arch9wavefront6targetE0EEEvS12_.has_recursion, 0
	.set _ZN7rocprim17ROCPRIM_400000_NS6detail17trampoline_kernelINS0_13select_configILj256ELj13ELNS0_17block_load_methodE3ELS4_3ELS4_3ELNS0_20block_scan_algorithmE0ELj4294967295EEENS1_25partition_config_selectorILNS1_17partition_subalgoE4EjNS0_10empty_typeEbEEZZNS1_14partition_implILS8_4ELb0ES6_15HIP_vector_typeIjLj2EENS0_17counting_iteratorIjlEEPS9_SG_NS0_5tupleIJPjSI_NS0_16reverse_iteratorISI_EEEEENSH_IJSG_SG_SG_EEES9_SI_JZNS1_25segmented_radix_sort_implINS0_14default_configELb0EPKaPaPKlPlN2at6native12_GLOBAL__N_18offset_tEEE10hipError_tPvRmT1_PNSt15iterator_traitsIS12_E10value_typeET2_T3_PNS13_IS18_E10value_typeET4_jRbjT5_S1E_jjP12ihipStream_tbEUljE_ZNSN_ISO_Lb0ESQ_SR_ST_SU_SY_EESZ_S10_S11_S12_S16_S17_S18_S1B_S1C_jS1D_jS1E_S1E_jjS1G_bEUljE0_EEESZ_S10_S11_S18_S1C_S1E_T6_T7_T9_mT8_S1G_bDpT10_ENKUlT_T0_E_clISt17integral_constantIbLb0EES1T_IbLb1EEEEDaS1P_S1Q_EUlS1P_E_NS1_11comp_targetILNS1_3genE10ELNS1_11target_archE1200ELNS1_3gpuE4ELNS1_3repE0EEENS1_30default_config_static_selectorELNS0_4arch9wavefront6targetE0EEEvS12_.has_indirect_call, 0
	.section	.AMDGPU.csdata,"",@progbits
; Kernel info:
; codeLenInByte = 0
; TotalNumSgprs: 0
; NumVgprs: 0
; ScratchSize: 0
; MemoryBound: 0
; FloatMode: 240
; IeeeMode: 1
; LDSByteSize: 0 bytes/workgroup (compile time only)
; SGPRBlocks: 0
; VGPRBlocks: 0
; NumSGPRsForWavesPerEU: 1
; NumVGPRsForWavesPerEU: 1
; Occupancy: 16
; WaveLimiterHint : 0
; COMPUTE_PGM_RSRC2:SCRATCH_EN: 0
; COMPUTE_PGM_RSRC2:USER_SGPR: 6
; COMPUTE_PGM_RSRC2:TRAP_HANDLER: 0
; COMPUTE_PGM_RSRC2:TGID_X_EN: 1
; COMPUTE_PGM_RSRC2:TGID_Y_EN: 0
; COMPUTE_PGM_RSRC2:TGID_Z_EN: 0
; COMPUTE_PGM_RSRC2:TIDIG_COMP_CNT: 0
	.section	.text._ZN7rocprim17ROCPRIM_400000_NS6detail17trampoline_kernelINS0_13select_configILj256ELj13ELNS0_17block_load_methodE3ELS4_3ELS4_3ELNS0_20block_scan_algorithmE0ELj4294967295EEENS1_25partition_config_selectorILNS1_17partition_subalgoE4EjNS0_10empty_typeEbEEZZNS1_14partition_implILS8_4ELb0ES6_15HIP_vector_typeIjLj2EENS0_17counting_iteratorIjlEEPS9_SG_NS0_5tupleIJPjSI_NS0_16reverse_iteratorISI_EEEEENSH_IJSG_SG_SG_EEES9_SI_JZNS1_25segmented_radix_sort_implINS0_14default_configELb0EPKaPaPKlPlN2at6native12_GLOBAL__N_18offset_tEEE10hipError_tPvRmT1_PNSt15iterator_traitsIS12_E10value_typeET2_T3_PNS13_IS18_E10value_typeET4_jRbjT5_S1E_jjP12ihipStream_tbEUljE_ZNSN_ISO_Lb0ESQ_SR_ST_SU_SY_EESZ_S10_S11_S12_S16_S17_S18_S1B_S1C_jS1D_jS1E_S1E_jjS1G_bEUljE0_EEESZ_S10_S11_S18_S1C_S1E_T6_T7_T9_mT8_S1G_bDpT10_ENKUlT_T0_E_clISt17integral_constantIbLb0EES1T_IbLb1EEEEDaS1P_S1Q_EUlS1P_E_NS1_11comp_targetILNS1_3genE9ELNS1_11target_archE1100ELNS1_3gpuE3ELNS1_3repE0EEENS1_30default_config_static_selectorELNS0_4arch9wavefront6targetE0EEEvS12_,"axG",@progbits,_ZN7rocprim17ROCPRIM_400000_NS6detail17trampoline_kernelINS0_13select_configILj256ELj13ELNS0_17block_load_methodE3ELS4_3ELS4_3ELNS0_20block_scan_algorithmE0ELj4294967295EEENS1_25partition_config_selectorILNS1_17partition_subalgoE4EjNS0_10empty_typeEbEEZZNS1_14partition_implILS8_4ELb0ES6_15HIP_vector_typeIjLj2EENS0_17counting_iteratorIjlEEPS9_SG_NS0_5tupleIJPjSI_NS0_16reverse_iteratorISI_EEEEENSH_IJSG_SG_SG_EEES9_SI_JZNS1_25segmented_radix_sort_implINS0_14default_configELb0EPKaPaPKlPlN2at6native12_GLOBAL__N_18offset_tEEE10hipError_tPvRmT1_PNSt15iterator_traitsIS12_E10value_typeET2_T3_PNS13_IS18_E10value_typeET4_jRbjT5_S1E_jjP12ihipStream_tbEUljE_ZNSN_ISO_Lb0ESQ_SR_ST_SU_SY_EESZ_S10_S11_S12_S16_S17_S18_S1B_S1C_jS1D_jS1E_S1E_jjS1G_bEUljE0_EEESZ_S10_S11_S18_S1C_S1E_T6_T7_T9_mT8_S1G_bDpT10_ENKUlT_T0_E_clISt17integral_constantIbLb0EES1T_IbLb1EEEEDaS1P_S1Q_EUlS1P_E_NS1_11comp_targetILNS1_3genE9ELNS1_11target_archE1100ELNS1_3gpuE3ELNS1_3repE0EEENS1_30default_config_static_selectorELNS0_4arch9wavefront6targetE0EEEvS12_,comdat
	.globl	_ZN7rocprim17ROCPRIM_400000_NS6detail17trampoline_kernelINS0_13select_configILj256ELj13ELNS0_17block_load_methodE3ELS4_3ELS4_3ELNS0_20block_scan_algorithmE0ELj4294967295EEENS1_25partition_config_selectorILNS1_17partition_subalgoE4EjNS0_10empty_typeEbEEZZNS1_14partition_implILS8_4ELb0ES6_15HIP_vector_typeIjLj2EENS0_17counting_iteratorIjlEEPS9_SG_NS0_5tupleIJPjSI_NS0_16reverse_iteratorISI_EEEEENSH_IJSG_SG_SG_EEES9_SI_JZNS1_25segmented_radix_sort_implINS0_14default_configELb0EPKaPaPKlPlN2at6native12_GLOBAL__N_18offset_tEEE10hipError_tPvRmT1_PNSt15iterator_traitsIS12_E10value_typeET2_T3_PNS13_IS18_E10value_typeET4_jRbjT5_S1E_jjP12ihipStream_tbEUljE_ZNSN_ISO_Lb0ESQ_SR_ST_SU_SY_EESZ_S10_S11_S12_S16_S17_S18_S1B_S1C_jS1D_jS1E_S1E_jjS1G_bEUljE0_EEESZ_S10_S11_S18_S1C_S1E_T6_T7_T9_mT8_S1G_bDpT10_ENKUlT_T0_E_clISt17integral_constantIbLb0EES1T_IbLb1EEEEDaS1P_S1Q_EUlS1P_E_NS1_11comp_targetILNS1_3genE9ELNS1_11target_archE1100ELNS1_3gpuE3ELNS1_3repE0EEENS1_30default_config_static_selectorELNS0_4arch9wavefront6targetE0EEEvS12_ ; -- Begin function _ZN7rocprim17ROCPRIM_400000_NS6detail17trampoline_kernelINS0_13select_configILj256ELj13ELNS0_17block_load_methodE3ELS4_3ELS4_3ELNS0_20block_scan_algorithmE0ELj4294967295EEENS1_25partition_config_selectorILNS1_17partition_subalgoE4EjNS0_10empty_typeEbEEZZNS1_14partition_implILS8_4ELb0ES6_15HIP_vector_typeIjLj2EENS0_17counting_iteratorIjlEEPS9_SG_NS0_5tupleIJPjSI_NS0_16reverse_iteratorISI_EEEEENSH_IJSG_SG_SG_EEES9_SI_JZNS1_25segmented_radix_sort_implINS0_14default_configELb0EPKaPaPKlPlN2at6native12_GLOBAL__N_18offset_tEEE10hipError_tPvRmT1_PNSt15iterator_traitsIS12_E10value_typeET2_T3_PNS13_IS18_E10value_typeET4_jRbjT5_S1E_jjP12ihipStream_tbEUljE_ZNSN_ISO_Lb0ESQ_SR_ST_SU_SY_EESZ_S10_S11_S12_S16_S17_S18_S1B_S1C_jS1D_jS1E_S1E_jjS1G_bEUljE0_EEESZ_S10_S11_S18_S1C_S1E_T6_T7_T9_mT8_S1G_bDpT10_ENKUlT_T0_E_clISt17integral_constantIbLb0EES1T_IbLb1EEEEDaS1P_S1Q_EUlS1P_E_NS1_11comp_targetILNS1_3genE9ELNS1_11target_archE1100ELNS1_3gpuE3ELNS1_3repE0EEENS1_30default_config_static_selectorELNS0_4arch9wavefront6targetE0EEEvS12_
	.p2align	8
	.type	_ZN7rocprim17ROCPRIM_400000_NS6detail17trampoline_kernelINS0_13select_configILj256ELj13ELNS0_17block_load_methodE3ELS4_3ELS4_3ELNS0_20block_scan_algorithmE0ELj4294967295EEENS1_25partition_config_selectorILNS1_17partition_subalgoE4EjNS0_10empty_typeEbEEZZNS1_14partition_implILS8_4ELb0ES6_15HIP_vector_typeIjLj2EENS0_17counting_iteratorIjlEEPS9_SG_NS0_5tupleIJPjSI_NS0_16reverse_iteratorISI_EEEEENSH_IJSG_SG_SG_EEES9_SI_JZNS1_25segmented_radix_sort_implINS0_14default_configELb0EPKaPaPKlPlN2at6native12_GLOBAL__N_18offset_tEEE10hipError_tPvRmT1_PNSt15iterator_traitsIS12_E10value_typeET2_T3_PNS13_IS18_E10value_typeET4_jRbjT5_S1E_jjP12ihipStream_tbEUljE_ZNSN_ISO_Lb0ESQ_SR_ST_SU_SY_EESZ_S10_S11_S12_S16_S17_S18_S1B_S1C_jS1D_jS1E_S1E_jjS1G_bEUljE0_EEESZ_S10_S11_S18_S1C_S1E_T6_T7_T9_mT8_S1G_bDpT10_ENKUlT_T0_E_clISt17integral_constantIbLb0EES1T_IbLb1EEEEDaS1P_S1Q_EUlS1P_E_NS1_11comp_targetILNS1_3genE9ELNS1_11target_archE1100ELNS1_3gpuE3ELNS1_3repE0EEENS1_30default_config_static_selectorELNS0_4arch9wavefront6targetE0EEEvS12_,@function
_ZN7rocprim17ROCPRIM_400000_NS6detail17trampoline_kernelINS0_13select_configILj256ELj13ELNS0_17block_load_methodE3ELS4_3ELS4_3ELNS0_20block_scan_algorithmE0ELj4294967295EEENS1_25partition_config_selectorILNS1_17partition_subalgoE4EjNS0_10empty_typeEbEEZZNS1_14partition_implILS8_4ELb0ES6_15HIP_vector_typeIjLj2EENS0_17counting_iteratorIjlEEPS9_SG_NS0_5tupleIJPjSI_NS0_16reverse_iteratorISI_EEEEENSH_IJSG_SG_SG_EEES9_SI_JZNS1_25segmented_radix_sort_implINS0_14default_configELb0EPKaPaPKlPlN2at6native12_GLOBAL__N_18offset_tEEE10hipError_tPvRmT1_PNSt15iterator_traitsIS12_E10value_typeET2_T3_PNS13_IS18_E10value_typeET4_jRbjT5_S1E_jjP12ihipStream_tbEUljE_ZNSN_ISO_Lb0ESQ_SR_ST_SU_SY_EESZ_S10_S11_S12_S16_S17_S18_S1B_S1C_jS1D_jS1E_S1E_jjS1G_bEUljE0_EEESZ_S10_S11_S18_S1C_S1E_T6_T7_T9_mT8_S1G_bDpT10_ENKUlT_T0_E_clISt17integral_constantIbLb0EES1T_IbLb1EEEEDaS1P_S1Q_EUlS1P_E_NS1_11comp_targetILNS1_3genE9ELNS1_11target_archE1100ELNS1_3gpuE3ELNS1_3repE0EEENS1_30default_config_static_selectorELNS0_4arch9wavefront6targetE0EEEvS12_: ; @_ZN7rocprim17ROCPRIM_400000_NS6detail17trampoline_kernelINS0_13select_configILj256ELj13ELNS0_17block_load_methodE3ELS4_3ELS4_3ELNS0_20block_scan_algorithmE0ELj4294967295EEENS1_25partition_config_selectorILNS1_17partition_subalgoE4EjNS0_10empty_typeEbEEZZNS1_14partition_implILS8_4ELb0ES6_15HIP_vector_typeIjLj2EENS0_17counting_iteratorIjlEEPS9_SG_NS0_5tupleIJPjSI_NS0_16reverse_iteratorISI_EEEEENSH_IJSG_SG_SG_EEES9_SI_JZNS1_25segmented_radix_sort_implINS0_14default_configELb0EPKaPaPKlPlN2at6native12_GLOBAL__N_18offset_tEEE10hipError_tPvRmT1_PNSt15iterator_traitsIS12_E10value_typeET2_T3_PNS13_IS18_E10value_typeET4_jRbjT5_S1E_jjP12ihipStream_tbEUljE_ZNSN_ISO_Lb0ESQ_SR_ST_SU_SY_EESZ_S10_S11_S12_S16_S17_S18_S1B_S1C_jS1D_jS1E_S1E_jjS1G_bEUljE0_EEESZ_S10_S11_S18_S1C_S1E_T6_T7_T9_mT8_S1G_bDpT10_ENKUlT_T0_E_clISt17integral_constantIbLb0EES1T_IbLb1EEEEDaS1P_S1Q_EUlS1P_E_NS1_11comp_targetILNS1_3genE9ELNS1_11target_archE1100ELNS1_3gpuE3ELNS1_3repE0EEENS1_30default_config_static_selectorELNS0_4arch9wavefront6targetE0EEEvS12_
; %bb.0:
	.section	.rodata,"a",@progbits
	.p2align	6, 0x0
	.amdhsa_kernel _ZN7rocprim17ROCPRIM_400000_NS6detail17trampoline_kernelINS0_13select_configILj256ELj13ELNS0_17block_load_methodE3ELS4_3ELS4_3ELNS0_20block_scan_algorithmE0ELj4294967295EEENS1_25partition_config_selectorILNS1_17partition_subalgoE4EjNS0_10empty_typeEbEEZZNS1_14partition_implILS8_4ELb0ES6_15HIP_vector_typeIjLj2EENS0_17counting_iteratorIjlEEPS9_SG_NS0_5tupleIJPjSI_NS0_16reverse_iteratorISI_EEEEENSH_IJSG_SG_SG_EEES9_SI_JZNS1_25segmented_radix_sort_implINS0_14default_configELb0EPKaPaPKlPlN2at6native12_GLOBAL__N_18offset_tEEE10hipError_tPvRmT1_PNSt15iterator_traitsIS12_E10value_typeET2_T3_PNS13_IS18_E10value_typeET4_jRbjT5_S1E_jjP12ihipStream_tbEUljE_ZNSN_ISO_Lb0ESQ_SR_ST_SU_SY_EESZ_S10_S11_S12_S16_S17_S18_S1B_S1C_jS1D_jS1E_S1E_jjS1G_bEUljE0_EEESZ_S10_S11_S18_S1C_S1E_T6_T7_T9_mT8_S1G_bDpT10_ENKUlT_T0_E_clISt17integral_constantIbLb0EES1T_IbLb1EEEEDaS1P_S1Q_EUlS1P_E_NS1_11comp_targetILNS1_3genE9ELNS1_11target_archE1100ELNS1_3gpuE3ELNS1_3repE0EEENS1_30default_config_static_selectorELNS0_4arch9wavefront6targetE0EEEvS12_
		.amdhsa_group_segment_fixed_size 0
		.amdhsa_private_segment_fixed_size 0
		.amdhsa_kernarg_size 184
		.amdhsa_user_sgpr_count 6
		.amdhsa_user_sgpr_private_segment_buffer 1
		.amdhsa_user_sgpr_dispatch_ptr 0
		.amdhsa_user_sgpr_queue_ptr 0
		.amdhsa_user_sgpr_kernarg_segment_ptr 1
		.amdhsa_user_sgpr_dispatch_id 0
		.amdhsa_user_sgpr_flat_scratch_init 0
		.amdhsa_user_sgpr_private_segment_size 0
		.amdhsa_wavefront_size32 1
		.amdhsa_uses_dynamic_stack 0
		.amdhsa_system_sgpr_private_segment_wavefront_offset 0
		.amdhsa_system_sgpr_workgroup_id_x 1
		.amdhsa_system_sgpr_workgroup_id_y 0
		.amdhsa_system_sgpr_workgroup_id_z 0
		.amdhsa_system_sgpr_workgroup_info 0
		.amdhsa_system_vgpr_workitem_id 0
		.amdhsa_next_free_vgpr 1
		.amdhsa_next_free_sgpr 1
		.amdhsa_reserve_vcc 0
		.amdhsa_reserve_flat_scratch 0
		.amdhsa_float_round_mode_32 0
		.amdhsa_float_round_mode_16_64 0
		.amdhsa_float_denorm_mode_32 3
		.amdhsa_float_denorm_mode_16_64 3
		.amdhsa_dx10_clamp 1
		.amdhsa_ieee_mode 1
		.amdhsa_fp16_overflow 0
		.amdhsa_workgroup_processor_mode 1
		.amdhsa_memory_ordered 1
		.amdhsa_forward_progress 1
		.amdhsa_shared_vgpr_count 0
		.amdhsa_exception_fp_ieee_invalid_op 0
		.amdhsa_exception_fp_denorm_src 0
		.amdhsa_exception_fp_ieee_div_zero 0
		.amdhsa_exception_fp_ieee_overflow 0
		.amdhsa_exception_fp_ieee_underflow 0
		.amdhsa_exception_fp_ieee_inexact 0
		.amdhsa_exception_int_div_zero 0
	.end_amdhsa_kernel
	.section	.text._ZN7rocprim17ROCPRIM_400000_NS6detail17trampoline_kernelINS0_13select_configILj256ELj13ELNS0_17block_load_methodE3ELS4_3ELS4_3ELNS0_20block_scan_algorithmE0ELj4294967295EEENS1_25partition_config_selectorILNS1_17partition_subalgoE4EjNS0_10empty_typeEbEEZZNS1_14partition_implILS8_4ELb0ES6_15HIP_vector_typeIjLj2EENS0_17counting_iteratorIjlEEPS9_SG_NS0_5tupleIJPjSI_NS0_16reverse_iteratorISI_EEEEENSH_IJSG_SG_SG_EEES9_SI_JZNS1_25segmented_radix_sort_implINS0_14default_configELb0EPKaPaPKlPlN2at6native12_GLOBAL__N_18offset_tEEE10hipError_tPvRmT1_PNSt15iterator_traitsIS12_E10value_typeET2_T3_PNS13_IS18_E10value_typeET4_jRbjT5_S1E_jjP12ihipStream_tbEUljE_ZNSN_ISO_Lb0ESQ_SR_ST_SU_SY_EESZ_S10_S11_S12_S16_S17_S18_S1B_S1C_jS1D_jS1E_S1E_jjS1G_bEUljE0_EEESZ_S10_S11_S18_S1C_S1E_T6_T7_T9_mT8_S1G_bDpT10_ENKUlT_T0_E_clISt17integral_constantIbLb0EES1T_IbLb1EEEEDaS1P_S1Q_EUlS1P_E_NS1_11comp_targetILNS1_3genE9ELNS1_11target_archE1100ELNS1_3gpuE3ELNS1_3repE0EEENS1_30default_config_static_selectorELNS0_4arch9wavefront6targetE0EEEvS12_,"axG",@progbits,_ZN7rocprim17ROCPRIM_400000_NS6detail17trampoline_kernelINS0_13select_configILj256ELj13ELNS0_17block_load_methodE3ELS4_3ELS4_3ELNS0_20block_scan_algorithmE0ELj4294967295EEENS1_25partition_config_selectorILNS1_17partition_subalgoE4EjNS0_10empty_typeEbEEZZNS1_14partition_implILS8_4ELb0ES6_15HIP_vector_typeIjLj2EENS0_17counting_iteratorIjlEEPS9_SG_NS0_5tupleIJPjSI_NS0_16reverse_iteratorISI_EEEEENSH_IJSG_SG_SG_EEES9_SI_JZNS1_25segmented_radix_sort_implINS0_14default_configELb0EPKaPaPKlPlN2at6native12_GLOBAL__N_18offset_tEEE10hipError_tPvRmT1_PNSt15iterator_traitsIS12_E10value_typeET2_T3_PNS13_IS18_E10value_typeET4_jRbjT5_S1E_jjP12ihipStream_tbEUljE_ZNSN_ISO_Lb0ESQ_SR_ST_SU_SY_EESZ_S10_S11_S12_S16_S17_S18_S1B_S1C_jS1D_jS1E_S1E_jjS1G_bEUljE0_EEESZ_S10_S11_S18_S1C_S1E_T6_T7_T9_mT8_S1G_bDpT10_ENKUlT_T0_E_clISt17integral_constantIbLb0EES1T_IbLb1EEEEDaS1P_S1Q_EUlS1P_E_NS1_11comp_targetILNS1_3genE9ELNS1_11target_archE1100ELNS1_3gpuE3ELNS1_3repE0EEENS1_30default_config_static_selectorELNS0_4arch9wavefront6targetE0EEEvS12_,comdat
.Lfunc_end356:
	.size	_ZN7rocprim17ROCPRIM_400000_NS6detail17trampoline_kernelINS0_13select_configILj256ELj13ELNS0_17block_load_methodE3ELS4_3ELS4_3ELNS0_20block_scan_algorithmE0ELj4294967295EEENS1_25partition_config_selectorILNS1_17partition_subalgoE4EjNS0_10empty_typeEbEEZZNS1_14partition_implILS8_4ELb0ES6_15HIP_vector_typeIjLj2EENS0_17counting_iteratorIjlEEPS9_SG_NS0_5tupleIJPjSI_NS0_16reverse_iteratorISI_EEEEENSH_IJSG_SG_SG_EEES9_SI_JZNS1_25segmented_radix_sort_implINS0_14default_configELb0EPKaPaPKlPlN2at6native12_GLOBAL__N_18offset_tEEE10hipError_tPvRmT1_PNSt15iterator_traitsIS12_E10value_typeET2_T3_PNS13_IS18_E10value_typeET4_jRbjT5_S1E_jjP12ihipStream_tbEUljE_ZNSN_ISO_Lb0ESQ_SR_ST_SU_SY_EESZ_S10_S11_S12_S16_S17_S18_S1B_S1C_jS1D_jS1E_S1E_jjS1G_bEUljE0_EEESZ_S10_S11_S18_S1C_S1E_T6_T7_T9_mT8_S1G_bDpT10_ENKUlT_T0_E_clISt17integral_constantIbLb0EES1T_IbLb1EEEEDaS1P_S1Q_EUlS1P_E_NS1_11comp_targetILNS1_3genE9ELNS1_11target_archE1100ELNS1_3gpuE3ELNS1_3repE0EEENS1_30default_config_static_selectorELNS0_4arch9wavefront6targetE0EEEvS12_, .Lfunc_end356-_ZN7rocprim17ROCPRIM_400000_NS6detail17trampoline_kernelINS0_13select_configILj256ELj13ELNS0_17block_load_methodE3ELS4_3ELS4_3ELNS0_20block_scan_algorithmE0ELj4294967295EEENS1_25partition_config_selectorILNS1_17partition_subalgoE4EjNS0_10empty_typeEbEEZZNS1_14partition_implILS8_4ELb0ES6_15HIP_vector_typeIjLj2EENS0_17counting_iteratorIjlEEPS9_SG_NS0_5tupleIJPjSI_NS0_16reverse_iteratorISI_EEEEENSH_IJSG_SG_SG_EEES9_SI_JZNS1_25segmented_radix_sort_implINS0_14default_configELb0EPKaPaPKlPlN2at6native12_GLOBAL__N_18offset_tEEE10hipError_tPvRmT1_PNSt15iterator_traitsIS12_E10value_typeET2_T3_PNS13_IS18_E10value_typeET4_jRbjT5_S1E_jjP12ihipStream_tbEUljE_ZNSN_ISO_Lb0ESQ_SR_ST_SU_SY_EESZ_S10_S11_S12_S16_S17_S18_S1B_S1C_jS1D_jS1E_S1E_jjS1G_bEUljE0_EEESZ_S10_S11_S18_S1C_S1E_T6_T7_T9_mT8_S1G_bDpT10_ENKUlT_T0_E_clISt17integral_constantIbLb0EES1T_IbLb1EEEEDaS1P_S1Q_EUlS1P_E_NS1_11comp_targetILNS1_3genE9ELNS1_11target_archE1100ELNS1_3gpuE3ELNS1_3repE0EEENS1_30default_config_static_selectorELNS0_4arch9wavefront6targetE0EEEvS12_
                                        ; -- End function
	.set _ZN7rocprim17ROCPRIM_400000_NS6detail17trampoline_kernelINS0_13select_configILj256ELj13ELNS0_17block_load_methodE3ELS4_3ELS4_3ELNS0_20block_scan_algorithmE0ELj4294967295EEENS1_25partition_config_selectorILNS1_17partition_subalgoE4EjNS0_10empty_typeEbEEZZNS1_14partition_implILS8_4ELb0ES6_15HIP_vector_typeIjLj2EENS0_17counting_iteratorIjlEEPS9_SG_NS0_5tupleIJPjSI_NS0_16reverse_iteratorISI_EEEEENSH_IJSG_SG_SG_EEES9_SI_JZNS1_25segmented_radix_sort_implINS0_14default_configELb0EPKaPaPKlPlN2at6native12_GLOBAL__N_18offset_tEEE10hipError_tPvRmT1_PNSt15iterator_traitsIS12_E10value_typeET2_T3_PNS13_IS18_E10value_typeET4_jRbjT5_S1E_jjP12ihipStream_tbEUljE_ZNSN_ISO_Lb0ESQ_SR_ST_SU_SY_EESZ_S10_S11_S12_S16_S17_S18_S1B_S1C_jS1D_jS1E_S1E_jjS1G_bEUljE0_EEESZ_S10_S11_S18_S1C_S1E_T6_T7_T9_mT8_S1G_bDpT10_ENKUlT_T0_E_clISt17integral_constantIbLb0EES1T_IbLb1EEEEDaS1P_S1Q_EUlS1P_E_NS1_11comp_targetILNS1_3genE9ELNS1_11target_archE1100ELNS1_3gpuE3ELNS1_3repE0EEENS1_30default_config_static_selectorELNS0_4arch9wavefront6targetE0EEEvS12_.num_vgpr, 0
	.set _ZN7rocprim17ROCPRIM_400000_NS6detail17trampoline_kernelINS0_13select_configILj256ELj13ELNS0_17block_load_methodE3ELS4_3ELS4_3ELNS0_20block_scan_algorithmE0ELj4294967295EEENS1_25partition_config_selectorILNS1_17partition_subalgoE4EjNS0_10empty_typeEbEEZZNS1_14partition_implILS8_4ELb0ES6_15HIP_vector_typeIjLj2EENS0_17counting_iteratorIjlEEPS9_SG_NS0_5tupleIJPjSI_NS0_16reverse_iteratorISI_EEEEENSH_IJSG_SG_SG_EEES9_SI_JZNS1_25segmented_radix_sort_implINS0_14default_configELb0EPKaPaPKlPlN2at6native12_GLOBAL__N_18offset_tEEE10hipError_tPvRmT1_PNSt15iterator_traitsIS12_E10value_typeET2_T3_PNS13_IS18_E10value_typeET4_jRbjT5_S1E_jjP12ihipStream_tbEUljE_ZNSN_ISO_Lb0ESQ_SR_ST_SU_SY_EESZ_S10_S11_S12_S16_S17_S18_S1B_S1C_jS1D_jS1E_S1E_jjS1G_bEUljE0_EEESZ_S10_S11_S18_S1C_S1E_T6_T7_T9_mT8_S1G_bDpT10_ENKUlT_T0_E_clISt17integral_constantIbLb0EES1T_IbLb1EEEEDaS1P_S1Q_EUlS1P_E_NS1_11comp_targetILNS1_3genE9ELNS1_11target_archE1100ELNS1_3gpuE3ELNS1_3repE0EEENS1_30default_config_static_selectorELNS0_4arch9wavefront6targetE0EEEvS12_.num_agpr, 0
	.set _ZN7rocprim17ROCPRIM_400000_NS6detail17trampoline_kernelINS0_13select_configILj256ELj13ELNS0_17block_load_methodE3ELS4_3ELS4_3ELNS0_20block_scan_algorithmE0ELj4294967295EEENS1_25partition_config_selectorILNS1_17partition_subalgoE4EjNS0_10empty_typeEbEEZZNS1_14partition_implILS8_4ELb0ES6_15HIP_vector_typeIjLj2EENS0_17counting_iteratorIjlEEPS9_SG_NS0_5tupleIJPjSI_NS0_16reverse_iteratorISI_EEEEENSH_IJSG_SG_SG_EEES9_SI_JZNS1_25segmented_radix_sort_implINS0_14default_configELb0EPKaPaPKlPlN2at6native12_GLOBAL__N_18offset_tEEE10hipError_tPvRmT1_PNSt15iterator_traitsIS12_E10value_typeET2_T3_PNS13_IS18_E10value_typeET4_jRbjT5_S1E_jjP12ihipStream_tbEUljE_ZNSN_ISO_Lb0ESQ_SR_ST_SU_SY_EESZ_S10_S11_S12_S16_S17_S18_S1B_S1C_jS1D_jS1E_S1E_jjS1G_bEUljE0_EEESZ_S10_S11_S18_S1C_S1E_T6_T7_T9_mT8_S1G_bDpT10_ENKUlT_T0_E_clISt17integral_constantIbLb0EES1T_IbLb1EEEEDaS1P_S1Q_EUlS1P_E_NS1_11comp_targetILNS1_3genE9ELNS1_11target_archE1100ELNS1_3gpuE3ELNS1_3repE0EEENS1_30default_config_static_selectorELNS0_4arch9wavefront6targetE0EEEvS12_.numbered_sgpr, 0
	.set _ZN7rocprim17ROCPRIM_400000_NS6detail17trampoline_kernelINS0_13select_configILj256ELj13ELNS0_17block_load_methodE3ELS4_3ELS4_3ELNS0_20block_scan_algorithmE0ELj4294967295EEENS1_25partition_config_selectorILNS1_17partition_subalgoE4EjNS0_10empty_typeEbEEZZNS1_14partition_implILS8_4ELb0ES6_15HIP_vector_typeIjLj2EENS0_17counting_iteratorIjlEEPS9_SG_NS0_5tupleIJPjSI_NS0_16reverse_iteratorISI_EEEEENSH_IJSG_SG_SG_EEES9_SI_JZNS1_25segmented_radix_sort_implINS0_14default_configELb0EPKaPaPKlPlN2at6native12_GLOBAL__N_18offset_tEEE10hipError_tPvRmT1_PNSt15iterator_traitsIS12_E10value_typeET2_T3_PNS13_IS18_E10value_typeET4_jRbjT5_S1E_jjP12ihipStream_tbEUljE_ZNSN_ISO_Lb0ESQ_SR_ST_SU_SY_EESZ_S10_S11_S12_S16_S17_S18_S1B_S1C_jS1D_jS1E_S1E_jjS1G_bEUljE0_EEESZ_S10_S11_S18_S1C_S1E_T6_T7_T9_mT8_S1G_bDpT10_ENKUlT_T0_E_clISt17integral_constantIbLb0EES1T_IbLb1EEEEDaS1P_S1Q_EUlS1P_E_NS1_11comp_targetILNS1_3genE9ELNS1_11target_archE1100ELNS1_3gpuE3ELNS1_3repE0EEENS1_30default_config_static_selectorELNS0_4arch9wavefront6targetE0EEEvS12_.num_named_barrier, 0
	.set _ZN7rocprim17ROCPRIM_400000_NS6detail17trampoline_kernelINS0_13select_configILj256ELj13ELNS0_17block_load_methodE3ELS4_3ELS4_3ELNS0_20block_scan_algorithmE0ELj4294967295EEENS1_25partition_config_selectorILNS1_17partition_subalgoE4EjNS0_10empty_typeEbEEZZNS1_14partition_implILS8_4ELb0ES6_15HIP_vector_typeIjLj2EENS0_17counting_iteratorIjlEEPS9_SG_NS0_5tupleIJPjSI_NS0_16reverse_iteratorISI_EEEEENSH_IJSG_SG_SG_EEES9_SI_JZNS1_25segmented_radix_sort_implINS0_14default_configELb0EPKaPaPKlPlN2at6native12_GLOBAL__N_18offset_tEEE10hipError_tPvRmT1_PNSt15iterator_traitsIS12_E10value_typeET2_T3_PNS13_IS18_E10value_typeET4_jRbjT5_S1E_jjP12ihipStream_tbEUljE_ZNSN_ISO_Lb0ESQ_SR_ST_SU_SY_EESZ_S10_S11_S12_S16_S17_S18_S1B_S1C_jS1D_jS1E_S1E_jjS1G_bEUljE0_EEESZ_S10_S11_S18_S1C_S1E_T6_T7_T9_mT8_S1G_bDpT10_ENKUlT_T0_E_clISt17integral_constantIbLb0EES1T_IbLb1EEEEDaS1P_S1Q_EUlS1P_E_NS1_11comp_targetILNS1_3genE9ELNS1_11target_archE1100ELNS1_3gpuE3ELNS1_3repE0EEENS1_30default_config_static_selectorELNS0_4arch9wavefront6targetE0EEEvS12_.private_seg_size, 0
	.set _ZN7rocprim17ROCPRIM_400000_NS6detail17trampoline_kernelINS0_13select_configILj256ELj13ELNS0_17block_load_methodE3ELS4_3ELS4_3ELNS0_20block_scan_algorithmE0ELj4294967295EEENS1_25partition_config_selectorILNS1_17partition_subalgoE4EjNS0_10empty_typeEbEEZZNS1_14partition_implILS8_4ELb0ES6_15HIP_vector_typeIjLj2EENS0_17counting_iteratorIjlEEPS9_SG_NS0_5tupleIJPjSI_NS0_16reverse_iteratorISI_EEEEENSH_IJSG_SG_SG_EEES9_SI_JZNS1_25segmented_radix_sort_implINS0_14default_configELb0EPKaPaPKlPlN2at6native12_GLOBAL__N_18offset_tEEE10hipError_tPvRmT1_PNSt15iterator_traitsIS12_E10value_typeET2_T3_PNS13_IS18_E10value_typeET4_jRbjT5_S1E_jjP12ihipStream_tbEUljE_ZNSN_ISO_Lb0ESQ_SR_ST_SU_SY_EESZ_S10_S11_S12_S16_S17_S18_S1B_S1C_jS1D_jS1E_S1E_jjS1G_bEUljE0_EEESZ_S10_S11_S18_S1C_S1E_T6_T7_T9_mT8_S1G_bDpT10_ENKUlT_T0_E_clISt17integral_constantIbLb0EES1T_IbLb1EEEEDaS1P_S1Q_EUlS1P_E_NS1_11comp_targetILNS1_3genE9ELNS1_11target_archE1100ELNS1_3gpuE3ELNS1_3repE0EEENS1_30default_config_static_selectorELNS0_4arch9wavefront6targetE0EEEvS12_.uses_vcc, 0
	.set _ZN7rocprim17ROCPRIM_400000_NS6detail17trampoline_kernelINS0_13select_configILj256ELj13ELNS0_17block_load_methodE3ELS4_3ELS4_3ELNS0_20block_scan_algorithmE0ELj4294967295EEENS1_25partition_config_selectorILNS1_17partition_subalgoE4EjNS0_10empty_typeEbEEZZNS1_14partition_implILS8_4ELb0ES6_15HIP_vector_typeIjLj2EENS0_17counting_iteratorIjlEEPS9_SG_NS0_5tupleIJPjSI_NS0_16reverse_iteratorISI_EEEEENSH_IJSG_SG_SG_EEES9_SI_JZNS1_25segmented_radix_sort_implINS0_14default_configELb0EPKaPaPKlPlN2at6native12_GLOBAL__N_18offset_tEEE10hipError_tPvRmT1_PNSt15iterator_traitsIS12_E10value_typeET2_T3_PNS13_IS18_E10value_typeET4_jRbjT5_S1E_jjP12ihipStream_tbEUljE_ZNSN_ISO_Lb0ESQ_SR_ST_SU_SY_EESZ_S10_S11_S12_S16_S17_S18_S1B_S1C_jS1D_jS1E_S1E_jjS1G_bEUljE0_EEESZ_S10_S11_S18_S1C_S1E_T6_T7_T9_mT8_S1G_bDpT10_ENKUlT_T0_E_clISt17integral_constantIbLb0EES1T_IbLb1EEEEDaS1P_S1Q_EUlS1P_E_NS1_11comp_targetILNS1_3genE9ELNS1_11target_archE1100ELNS1_3gpuE3ELNS1_3repE0EEENS1_30default_config_static_selectorELNS0_4arch9wavefront6targetE0EEEvS12_.uses_flat_scratch, 0
	.set _ZN7rocprim17ROCPRIM_400000_NS6detail17trampoline_kernelINS0_13select_configILj256ELj13ELNS0_17block_load_methodE3ELS4_3ELS4_3ELNS0_20block_scan_algorithmE0ELj4294967295EEENS1_25partition_config_selectorILNS1_17partition_subalgoE4EjNS0_10empty_typeEbEEZZNS1_14partition_implILS8_4ELb0ES6_15HIP_vector_typeIjLj2EENS0_17counting_iteratorIjlEEPS9_SG_NS0_5tupleIJPjSI_NS0_16reverse_iteratorISI_EEEEENSH_IJSG_SG_SG_EEES9_SI_JZNS1_25segmented_radix_sort_implINS0_14default_configELb0EPKaPaPKlPlN2at6native12_GLOBAL__N_18offset_tEEE10hipError_tPvRmT1_PNSt15iterator_traitsIS12_E10value_typeET2_T3_PNS13_IS18_E10value_typeET4_jRbjT5_S1E_jjP12ihipStream_tbEUljE_ZNSN_ISO_Lb0ESQ_SR_ST_SU_SY_EESZ_S10_S11_S12_S16_S17_S18_S1B_S1C_jS1D_jS1E_S1E_jjS1G_bEUljE0_EEESZ_S10_S11_S18_S1C_S1E_T6_T7_T9_mT8_S1G_bDpT10_ENKUlT_T0_E_clISt17integral_constantIbLb0EES1T_IbLb1EEEEDaS1P_S1Q_EUlS1P_E_NS1_11comp_targetILNS1_3genE9ELNS1_11target_archE1100ELNS1_3gpuE3ELNS1_3repE0EEENS1_30default_config_static_selectorELNS0_4arch9wavefront6targetE0EEEvS12_.has_dyn_sized_stack, 0
	.set _ZN7rocprim17ROCPRIM_400000_NS6detail17trampoline_kernelINS0_13select_configILj256ELj13ELNS0_17block_load_methodE3ELS4_3ELS4_3ELNS0_20block_scan_algorithmE0ELj4294967295EEENS1_25partition_config_selectorILNS1_17partition_subalgoE4EjNS0_10empty_typeEbEEZZNS1_14partition_implILS8_4ELb0ES6_15HIP_vector_typeIjLj2EENS0_17counting_iteratorIjlEEPS9_SG_NS0_5tupleIJPjSI_NS0_16reverse_iteratorISI_EEEEENSH_IJSG_SG_SG_EEES9_SI_JZNS1_25segmented_radix_sort_implINS0_14default_configELb0EPKaPaPKlPlN2at6native12_GLOBAL__N_18offset_tEEE10hipError_tPvRmT1_PNSt15iterator_traitsIS12_E10value_typeET2_T3_PNS13_IS18_E10value_typeET4_jRbjT5_S1E_jjP12ihipStream_tbEUljE_ZNSN_ISO_Lb0ESQ_SR_ST_SU_SY_EESZ_S10_S11_S12_S16_S17_S18_S1B_S1C_jS1D_jS1E_S1E_jjS1G_bEUljE0_EEESZ_S10_S11_S18_S1C_S1E_T6_T7_T9_mT8_S1G_bDpT10_ENKUlT_T0_E_clISt17integral_constantIbLb0EES1T_IbLb1EEEEDaS1P_S1Q_EUlS1P_E_NS1_11comp_targetILNS1_3genE9ELNS1_11target_archE1100ELNS1_3gpuE3ELNS1_3repE0EEENS1_30default_config_static_selectorELNS0_4arch9wavefront6targetE0EEEvS12_.has_recursion, 0
	.set _ZN7rocprim17ROCPRIM_400000_NS6detail17trampoline_kernelINS0_13select_configILj256ELj13ELNS0_17block_load_methodE3ELS4_3ELS4_3ELNS0_20block_scan_algorithmE0ELj4294967295EEENS1_25partition_config_selectorILNS1_17partition_subalgoE4EjNS0_10empty_typeEbEEZZNS1_14partition_implILS8_4ELb0ES6_15HIP_vector_typeIjLj2EENS0_17counting_iteratorIjlEEPS9_SG_NS0_5tupleIJPjSI_NS0_16reverse_iteratorISI_EEEEENSH_IJSG_SG_SG_EEES9_SI_JZNS1_25segmented_radix_sort_implINS0_14default_configELb0EPKaPaPKlPlN2at6native12_GLOBAL__N_18offset_tEEE10hipError_tPvRmT1_PNSt15iterator_traitsIS12_E10value_typeET2_T3_PNS13_IS18_E10value_typeET4_jRbjT5_S1E_jjP12ihipStream_tbEUljE_ZNSN_ISO_Lb0ESQ_SR_ST_SU_SY_EESZ_S10_S11_S12_S16_S17_S18_S1B_S1C_jS1D_jS1E_S1E_jjS1G_bEUljE0_EEESZ_S10_S11_S18_S1C_S1E_T6_T7_T9_mT8_S1G_bDpT10_ENKUlT_T0_E_clISt17integral_constantIbLb0EES1T_IbLb1EEEEDaS1P_S1Q_EUlS1P_E_NS1_11comp_targetILNS1_3genE9ELNS1_11target_archE1100ELNS1_3gpuE3ELNS1_3repE0EEENS1_30default_config_static_selectorELNS0_4arch9wavefront6targetE0EEEvS12_.has_indirect_call, 0
	.section	.AMDGPU.csdata,"",@progbits
; Kernel info:
; codeLenInByte = 0
; TotalNumSgprs: 0
; NumVgprs: 0
; ScratchSize: 0
; MemoryBound: 0
; FloatMode: 240
; IeeeMode: 1
; LDSByteSize: 0 bytes/workgroup (compile time only)
; SGPRBlocks: 0
; VGPRBlocks: 0
; NumSGPRsForWavesPerEU: 1
; NumVGPRsForWavesPerEU: 1
; Occupancy: 16
; WaveLimiterHint : 0
; COMPUTE_PGM_RSRC2:SCRATCH_EN: 0
; COMPUTE_PGM_RSRC2:USER_SGPR: 6
; COMPUTE_PGM_RSRC2:TRAP_HANDLER: 0
; COMPUTE_PGM_RSRC2:TGID_X_EN: 1
; COMPUTE_PGM_RSRC2:TGID_Y_EN: 0
; COMPUTE_PGM_RSRC2:TGID_Z_EN: 0
; COMPUTE_PGM_RSRC2:TIDIG_COMP_CNT: 0
	.section	.text._ZN7rocprim17ROCPRIM_400000_NS6detail17trampoline_kernelINS0_13select_configILj256ELj13ELNS0_17block_load_methodE3ELS4_3ELS4_3ELNS0_20block_scan_algorithmE0ELj4294967295EEENS1_25partition_config_selectorILNS1_17partition_subalgoE4EjNS0_10empty_typeEbEEZZNS1_14partition_implILS8_4ELb0ES6_15HIP_vector_typeIjLj2EENS0_17counting_iteratorIjlEEPS9_SG_NS0_5tupleIJPjSI_NS0_16reverse_iteratorISI_EEEEENSH_IJSG_SG_SG_EEES9_SI_JZNS1_25segmented_radix_sort_implINS0_14default_configELb0EPKaPaPKlPlN2at6native12_GLOBAL__N_18offset_tEEE10hipError_tPvRmT1_PNSt15iterator_traitsIS12_E10value_typeET2_T3_PNS13_IS18_E10value_typeET4_jRbjT5_S1E_jjP12ihipStream_tbEUljE_ZNSN_ISO_Lb0ESQ_SR_ST_SU_SY_EESZ_S10_S11_S12_S16_S17_S18_S1B_S1C_jS1D_jS1E_S1E_jjS1G_bEUljE0_EEESZ_S10_S11_S18_S1C_S1E_T6_T7_T9_mT8_S1G_bDpT10_ENKUlT_T0_E_clISt17integral_constantIbLb0EES1T_IbLb1EEEEDaS1P_S1Q_EUlS1P_E_NS1_11comp_targetILNS1_3genE8ELNS1_11target_archE1030ELNS1_3gpuE2ELNS1_3repE0EEENS1_30default_config_static_selectorELNS0_4arch9wavefront6targetE0EEEvS12_,"axG",@progbits,_ZN7rocprim17ROCPRIM_400000_NS6detail17trampoline_kernelINS0_13select_configILj256ELj13ELNS0_17block_load_methodE3ELS4_3ELS4_3ELNS0_20block_scan_algorithmE0ELj4294967295EEENS1_25partition_config_selectorILNS1_17partition_subalgoE4EjNS0_10empty_typeEbEEZZNS1_14partition_implILS8_4ELb0ES6_15HIP_vector_typeIjLj2EENS0_17counting_iteratorIjlEEPS9_SG_NS0_5tupleIJPjSI_NS0_16reverse_iteratorISI_EEEEENSH_IJSG_SG_SG_EEES9_SI_JZNS1_25segmented_radix_sort_implINS0_14default_configELb0EPKaPaPKlPlN2at6native12_GLOBAL__N_18offset_tEEE10hipError_tPvRmT1_PNSt15iterator_traitsIS12_E10value_typeET2_T3_PNS13_IS18_E10value_typeET4_jRbjT5_S1E_jjP12ihipStream_tbEUljE_ZNSN_ISO_Lb0ESQ_SR_ST_SU_SY_EESZ_S10_S11_S12_S16_S17_S18_S1B_S1C_jS1D_jS1E_S1E_jjS1G_bEUljE0_EEESZ_S10_S11_S18_S1C_S1E_T6_T7_T9_mT8_S1G_bDpT10_ENKUlT_T0_E_clISt17integral_constantIbLb0EES1T_IbLb1EEEEDaS1P_S1Q_EUlS1P_E_NS1_11comp_targetILNS1_3genE8ELNS1_11target_archE1030ELNS1_3gpuE2ELNS1_3repE0EEENS1_30default_config_static_selectorELNS0_4arch9wavefront6targetE0EEEvS12_,comdat
	.globl	_ZN7rocprim17ROCPRIM_400000_NS6detail17trampoline_kernelINS0_13select_configILj256ELj13ELNS0_17block_load_methodE3ELS4_3ELS4_3ELNS0_20block_scan_algorithmE0ELj4294967295EEENS1_25partition_config_selectorILNS1_17partition_subalgoE4EjNS0_10empty_typeEbEEZZNS1_14partition_implILS8_4ELb0ES6_15HIP_vector_typeIjLj2EENS0_17counting_iteratorIjlEEPS9_SG_NS0_5tupleIJPjSI_NS0_16reverse_iteratorISI_EEEEENSH_IJSG_SG_SG_EEES9_SI_JZNS1_25segmented_radix_sort_implINS0_14default_configELb0EPKaPaPKlPlN2at6native12_GLOBAL__N_18offset_tEEE10hipError_tPvRmT1_PNSt15iterator_traitsIS12_E10value_typeET2_T3_PNS13_IS18_E10value_typeET4_jRbjT5_S1E_jjP12ihipStream_tbEUljE_ZNSN_ISO_Lb0ESQ_SR_ST_SU_SY_EESZ_S10_S11_S12_S16_S17_S18_S1B_S1C_jS1D_jS1E_S1E_jjS1G_bEUljE0_EEESZ_S10_S11_S18_S1C_S1E_T6_T7_T9_mT8_S1G_bDpT10_ENKUlT_T0_E_clISt17integral_constantIbLb0EES1T_IbLb1EEEEDaS1P_S1Q_EUlS1P_E_NS1_11comp_targetILNS1_3genE8ELNS1_11target_archE1030ELNS1_3gpuE2ELNS1_3repE0EEENS1_30default_config_static_selectorELNS0_4arch9wavefront6targetE0EEEvS12_ ; -- Begin function _ZN7rocprim17ROCPRIM_400000_NS6detail17trampoline_kernelINS0_13select_configILj256ELj13ELNS0_17block_load_methodE3ELS4_3ELS4_3ELNS0_20block_scan_algorithmE0ELj4294967295EEENS1_25partition_config_selectorILNS1_17partition_subalgoE4EjNS0_10empty_typeEbEEZZNS1_14partition_implILS8_4ELb0ES6_15HIP_vector_typeIjLj2EENS0_17counting_iteratorIjlEEPS9_SG_NS0_5tupleIJPjSI_NS0_16reverse_iteratorISI_EEEEENSH_IJSG_SG_SG_EEES9_SI_JZNS1_25segmented_radix_sort_implINS0_14default_configELb0EPKaPaPKlPlN2at6native12_GLOBAL__N_18offset_tEEE10hipError_tPvRmT1_PNSt15iterator_traitsIS12_E10value_typeET2_T3_PNS13_IS18_E10value_typeET4_jRbjT5_S1E_jjP12ihipStream_tbEUljE_ZNSN_ISO_Lb0ESQ_SR_ST_SU_SY_EESZ_S10_S11_S12_S16_S17_S18_S1B_S1C_jS1D_jS1E_S1E_jjS1G_bEUljE0_EEESZ_S10_S11_S18_S1C_S1E_T6_T7_T9_mT8_S1G_bDpT10_ENKUlT_T0_E_clISt17integral_constantIbLb0EES1T_IbLb1EEEEDaS1P_S1Q_EUlS1P_E_NS1_11comp_targetILNS1_3genE8ELNS1_11target_archE1030ELNS1_3gpuE2ELNS1_3repE0EEENS1_30default_config_static_selectorELNS0_4arch9wavefront6targetE0EEEvS12_
	.p2align	8
	.type	_ZN7rocprim17ROCPRIM_400000_NS6detail17trampoline_kernelINS0_13select_configILj256ELj13ELNS0_17block_load_methodE3ELS4_3ELS4_3ELNS0_20block_scan_algorithmE0ELj4294967295EEENS1_25partition_config_selectorILNS1_17partition_subalgoE4EjNS0_10empty_typeEbEEZZNS1_14partition_implILS8_4ELb0ES6_15HIP_vector_typeIjLj2EENS0_17counting_iteratorIjlEEPS9_SG_NS0_5tupleIJPjSI_NS0_16reverse_iteratorISI_EEEEENSH_IJSG_SG_SG_EEES9_SI_JZNS1_25segmented_radix_sort_implINS0_14default_configELb0EPKaPaPKlPlN2at6native12_GLOBAL__N_18offset_tEEE10hipError_tPvRmT1_PNSt15iterator_traitsIS12_E10value_typeET2_T3_PNS13_IS18_E10value_typeET4_jRbjT5_S1E_jjP12ihipStream_tbEUljE_ZNSN_ISO_Lb0ESQ_SR_ST_SU_SY_EESZ_S10_S11_S12_S16_S17_S18_S1B_S1C_jS1D_jS1E_S1E_jjS1G_bEUljE0_EEESZ_S10_S11_S18_S1C_S1E_T6_T7_T9_mT8_S1G_bDpT10_ENKUlT_T0_E_clISt17integral_constantIbLb0EES1T_IbLb1EEEEDaS1P_S1Q_EUlS1P_E_NS1_11comp_targetILNS1_3genE8ELNS1_11target_archE1030ELNS1_3gpuE2ELNS1_3repE0EEENS1_30default_config_static_selectorELNS0_4arch9wavefront6targetE0EEEvS12_,@function
_ZN7rocprim17ROCPRIM_400000_NS6detail17trampoline_kernelINS0_13select_configILj256ELj13ELNS0_17block_load_methodE3ELS4_3ELS4_3ELNS0_20block_scan_algorithmE0ELj4294967295EEENS1_25partition_config_selectorILNS1_17partition_subalgoE4EjNS0_10empty_typeEbEEZZNS1_14partition_implILS8_4ELb0ES6_15HIP_vector_typeIjLj2EENS0_17counting_iteratorIjlEEPS9_SG_NS0_5tupleIJPjSI_NS0_16reverse_iteratorISI_EEEEENSH_IJSG_SG_SG_EEES9_SI_JZNS1_25segmented_radix_sort_implINS0_14default_configELb0EPKaPaPKlPlN2at6native12_GLOBAL__N_18offset_tEEE10hipError_tPvRmT1_PNSt15iterator_traitsIS12_E10value_typeET2_T3_PNS13_IS18_E10value_typeET4_jRbjT5_S1E_jjP12ihipStream_tbEUljE_ZNSN_ISO_Lb0ESQ_SR_ST_SU_SY_EESZ_S10_S11_S12_S16_S17_S18_S1B_S1C_jS1D_jS1E_S1E_jjS1G_bEUljE0_EEESZ_S10_S11_S18_S1C_S1E_T6_T7_T9_mT8_S1G_bDpT10_ENKUlT_T0_E_clISt17integral_constantIbLb0EES1T_IbLb1EEEEDaS1P_S1Q_EUlS1P_E_NS1_11comp_targetILNS1_3genE8ELNS1_11target_archE1030ELNS1_3gpuE2ELNS1_3repE0EEENS1_30default_config_static_selectorELNS0_4arch9wavefront6targetE0EEEvS12_: ; @_ZN7rocprim17ROCPRIM_400000_NS6detail17trampoline_kernelINS0_13select_configILj256ELj13ELNS0_17block_load_methodE3ELS4_3ELS4_3ELNS0_20block_scan_algorithmE0ELj4294967295EEENS1_25partition_config_selectorILNS1_17partition_subalgoE4EjNS0_10empty_typeEbEEZZNS1_14partition_implILS8_4ELb0ES6_15HIP_vector_typeIjLj2EENS0_17counting_iteratorIjlEEPS9_SG_NS0_5tupleIJPjSI_NS0_16reverse_iteratorISI_EEEEENSH_IJSG_SG_SG_EEES9_SI_JZNS1_25segmented_radix_sort_implINS0_14default_configELb0EPKaPaPKlPlN2at6native12_GLOBAL__N_18offset_tEEE10hipError_tPvRmT1_PNSt15iterator_traitsIS12_E10value_typeET2_T3_PNS13_IS18_E10value_typeET4_jRbjT5_S1E_jjP12ihipStream_tbEUljE_ZNSN_ISO_Lb0ESQ_SR_ST_SU_SY_EESZ_S10_S11_S12_S16_S17_S18_S1B_S1C_jS1D_jS1E_S1E_jjS1G_bEUljE0_EEESZ_S10_S11_S18_S1C_S1E_T6_T7_T9_mT8_S1G_bDpT10_ENKUlT_T0_E_clISt17integral_constantIbLb0EES1T_IbLb1EEEEDaS1P_S1Q_EUlS1P_E_NS1_11comp_targetILNS1_3genE8ELNS1_11target_archE1030ELNS1_3gpuE2ELNS1_3repE0EEENS1_30default_config_static_selectorELNS0_4arch9wavefront6targetE0EEEvS12_
; %bb.0:
	s_clause 0x7
	s_load_dwordx2 s[34:35], s[4:5], 0x10
	s_load_dwordx4 s[28:31], s[4:5], 0x28
	s_load_dwordx2 s[14:15], s[4:5], 0x38
	s_load_dwordx4 s[24:27], s[4:5], 0x58
	s_load_dwordx2 s[2:3], s[4:5], 0x68
	s_load_dwordx2 s[36:37], s[4:5], 0x78
	;; [unrolled: 1-line block ×3, first 2 shown]
	s_load_dwordx8 s[16:23], s[4:5], 0x90
	v_cmp_eq_u32_e64 s0, 0, v0
	s_and_saveexec_b32 s1, s0
	s_cbranch_execz .LBB357_4
; %bb.1:
	s_mov_b32 s7, exec_lo
	s_mov_b32 s6, exec_lo
	v_mbcnt_lo_u32_b32 v1, s7, 0
                                        ; implicit-def: $vgpr2
	v_cmpx_eq_u32_e32 0, v1
	s_cbranch_execz .LBB357_3
; %bb.2:
	s_load_dwordx2 s[8:9], s[4:5], 0x88
	s_bcnt1_i32_b32 s7, s7
	v_mov_b32_e32 v2, 0
	v_mov_b32_e32 v3, s7
	s_waitcnt lgkmcnt(0)
	global_atomic_add v2, v2, v3, s[8:9] glc
.LBB357_3:
	s_or_b32 exec_lo, exec_lo, s6
	s_waitcnt vmcnt(0)
	v_readfirstlane_b32 s6, v2
	v_mov_b32_e32 v2, 0
	v_add_nc_u32_e32 v1, s6, v1
	ds_write_b32 v2, v1
.LBB357_4:
	s_or_b32 exec_lo, exec_lo, s1
	v_mov_b32_e32 v1, 0
	s_clause 0x1
	s_load_dword s6, s[4:5], 0x8
	s_load_dword s1, s[4:5], 0x80
	s_waitcnt lgkmcnt(0)
	s_barrier
	buffer_gl0_inv
	ds_read_b32 v5, v1
	s_waitcnt lgkmcnt(0)
	s_barrier
	buffer_gl0_inv
	global_load_dwordx4 v[1:4], v1, s[26:27]
	s_add_i32 s5, s6, s34
	s_mul_i32 s4, s1, 0xd00
	s_add_i32 s1, s1, -1
	s_add_u32 s6, s34, s4
	s_addc_u32 s7, s35, 0
	v_mul_lo_u32 v31, 0xd00, v5
	v_readfirstlane_b32 s27, v5
	v_cmp_gt_u64_e64 s3, s[2:3], s[6:7]
	v_cmp_ne_u32_e32 vcc_lo, s1, v5
	s_cmp_eq_u32 s27, s1
	s_cselect_b32 s26, -1, 0
	v_add3_u32 v5, v31, s5, v0
	s_or_b32 s1, s3, vcc_lo
	s_mov_b32 s3, -1
	s_and_b32 vcc_lo, exec_lo, s1
	v_add_nc_u32_e32 v6, 0x100, v5
	v_add_nc_u32_e32 v7, 0x200, v5
	;; [unrolled: 1-line block ×12, first 2 shown]
	s_cbranch_vccz .LBB357_6
; %bb.5:
	v_lshlrev_b32_e32 v18, 2, v0
	s_mov_b32 s3, 0
	ds_write2st64_b32 v18, v5, v6 offset1:4
	ds_write2st64_b32 v18, v7, v8 offset0:8 offset1:12
	ds_write2st64_b32 v18, v9, v10 offset0:16 offset1:20
	;; [unrolled: 1-line block ×5, first 2 shown]
	ds_write_b32 v18, v17 offset:12288
	s_waitcnt vmcnt(0) lgkmcnt(0)
	s_barrier
.LBB357_6:
	s_andn2_b32 vcc_lo, exec_lo, s3
	s_add_i32 s4, s4, s34
	s_cbranch_vccnz .LBB357_8
; %bb.7:
	v_lshlrev_b32_e32 v18, 2, v0
	ds_write2st64_b32 v18, v5, v6 offset1:4
	ds_write2st64_b32 v18, v7, v8 offset0:8 offset1:12
	ds_write2st64_b32 v18, v9, v10 offset0:16 offset1:20
	;; [unrolled: 1-line block ×5, first 2 shown]
	ds_write_b32 v18, v17 offset:12288
	s_waitcnt vmcnt(0) lgkmcnt(0)
	s_barrier
.LBB357_8:
	v_mul_u32_u24_e32 v34, 13, v0
	s_waitcnt vmcnt(0)
	buffer_gl0_inv
	v_cndmask_b32_e64 v32, 0, 1, s1
	s_sub_i32 s33, s2, s4
	s_andn2_b32 vcc_lo, exec_lo, s1
	v_lshlrev_b32_e32 v5, 2, v34
	ds_read_b32 v33, v5 offset:48
	ds_read2_b32 v[13:14], v5 offset0:10 offset1:11
	ds_read2_b32 v[15:16], v5 offset0:8 offset1:9
	;; [unrolled: 1-line block ×4, first 2 shown]
	ds_read2_b32 v[23:24], v5 offset1:1
	ds_read2_b32 v[21:22], v5 offset0:2 offset1:3
	s_waitcnt lgkmcnt(0)
	s_barrier
	buffer_gl0_inv
	s_cbranch_vccnz .LBB357_36
; %bb.9:
	v_add_nc_u32_e32 v5, s17, v23
	v_add_nc_u32_e32 v6, s19, v23
	s_mov_b32 s41, 0
	s_mov_b32 s40, 0
	s_mov_b32 s2, exec_lo
	v_mul_lo_u32 v5, v5, s16
	v_mul_lo_u32 v6, v6, s18
	v_sub_nc_u32_e32 v5, v5, v6
	v_cmp_lt_u32_e32 vcc_lo, s20, v5
	v_cmpx_ge_u32_e64 s20, v5
	s_cbranch_execz .LBB357_11
; %bb.10:
	v_add_nc_u32_e32 v5, s22, v23
	v_add_nc_u32_e32 v6, s38, v23
	v_mul_lo_u32 v5, v5, s21
	v_mul_lo_u32 v6, v6, s23
	v_sub_nc_u32_e32 v5, v5, v6
	v_cmp_lt_u32_e64 s1, s39, v5
	s_and_b32 s40, s1, exec_lo
.LBB357_11:
	s_or_b32 exec_lo, exec_lo, s2
	v_add_nc_u32_e32 v5, s17, v24
	v_add_nc_u32_e32 v6, s19, v24
	s_mov_b32 s3, exec_lo
	v_mul_lo_u32 v5, v5, s16
	v_mul_lo_u32 v6, v6, s18
	v_sub_nc_u32_e32 v5, v5, v6
	v_cmp_lt_u32_e64 s1, s20, v5
	v_cmpx_ge_u32_e64 s20, v5
	s_cbranch_execz .LBB357_13
; %bb.12:
	v_add_nc_u32_e32 v5, s22, v24
	v_add_nc_u32_e32 v6, s38, v24
	v_mul_lo_u32 v5, v5, s21
	v_mul_lo_u32 v6, v6, s23
	v_sub_nc_u32_e32 v5, v5, v6
	v_cmp_lt_u32_e64 s2, s39, v5
	s_and_b32 s41, s2, exec_lo
.LBB357_13:
	s_or_b32 exec_lo, exec_lo, s3
	v_add_nc_u32_e32 v5, s17, v21
	v_add_nc_u32_e32 v6, s19, v21
	s_mov_b32 s43, 0
	s_mov_b32 s42, 0
	s_mov_b32 s4, exec_lo
	v_mul_lo_u32 v5, v5, s16
	v_mul_lo_u32 v6, v6, s18
	v_sub_nc_u32_e32 v5, v5, v6
	v_cmp_lt_u32_e64 s2, s20, v5
	v_cmpx_ge_u32_e64 s20, v5
	s_cbranch_execz .LBB357_15
; %bb.14:
	v_add_nc_u32_e32 v5, s22, v21
	v_add_nc_u32_e32 v6, s38, v21
	v_mul_lo_u32 v5, v5, s21
	v_mul_lo_u32 v6, v6, s23
	v_sub_nc_u32_e32 v5, v5, v6
	v_cmp_lt_u32_e64 s3, s39, v5
	s_and_b32 s42, s3, exec_lo
.LBB357_15:
	s_or_b32 exec_lo, exec_lo, s4
	v_add_nc_u32_e32 v5, s17, v22
	v_add_nc_u32_e32 v6, s19, v22
	s_mov_b32 s5, exec_lo
	v_mul_lo_u32 v5, v5, s16
	v_mul_lo_u32 v6, v6, s18
	v_sub_nc_u32_e32 v5, v5, v6
	v_cmp_lt_u32_e64 s3, s20, v5
	v_cmpx_ge_u32_e64 s20, v5
	s_cbranch_execz .LBB357_17
; %bb.16:
	v_add_nc_u32_e32 v5, s22, v22
	v_add_nc_u32_e32 v6, s38, v22
	v_mul_lo_u32 v5, v5, s21
	v_mul_lo_u32 v6, v6, s23
	v_sub_nc_u32_e32 v5, v5, v6
	v_cmp_lt_u32_e64 s4, s39, v5
	s_and_b32 s43, s4, exec_lo
.LBB357_17:
	s_or_b32 exec_lo, exec_lo, s5
	v_add_nc_u32_e32 v5, s17, v19
	v_add_nc_u32_e32 v6, s19, v19
	s_mov_b32 s45, 0
	s_mov_b32 s44, 0
	s_mov_b32 s6, exec_lo
	v_mul_lo_u32 v5, v5, s16
	v_mul_lo_u32 v6, v6, s18
	v_sub_nc_u32_e32 v5, v5, v6
	v_cmp_lt_u32_e64 s4, s20, v5
	;; [unrolled: 40-line block ×6, first 2 shown]
	v_cmpx_ge_u32_e64 s20, v5
	s_cbranch_execz .LBB357_35
; %bb.34:
	v_add_nc_u32_e32 v5, s22, v33
	v_add_nc_u32_e32 v6, s38, v33
	v_mul_lo_u32 v5, v5, s21
	v_mul_lo_u32 v6, v6, s23
	v_sub_nc_u32_e32 v5, v5, v6
	v_cmp_lt_u32_e64 s13, s39, v5
	s_and_b32 s53, s13, exec_lo
.LBB357_35:
	s_or_b32 exec_lo, exec_lo, s54
	v_cndmask_b32_e64 v6, 0, 1, s1
	v_cndmask_b32_e64 v8, 0, 1, s3
	v_cndmask_b32_e64 v5, 0, 1, vcc_lo
	v_cndmask_b32_e64 v7, 0, 1, s2
	v_cndmask_b32_e64 v10, 0, 1, s5
	v_lshlrev_b16 v6, 8, v6
	v_lshlrev_b16 v8, 8, v8
	v_cndmask_b32_e64 v12, 0, 1, s7
	v_cndmask_b32_e64 v26, 0, 1, s9
	;; [unrolled: 1-line block ×3, first 2 shown]
	v_or_b32_e32 v5, v5, v6
	v_or_b32_sdwa v6, v7, v8 dst_sel:WORD_1 dst_unused:UNUSED_PAD src0_sel:DWORD src1_sel:DWORD
	v_cndmask_b32_e64 v7, 0, 1, s40
	v_cndmask_b32_e64 v9, 0, 1, s4
	;; [unrolled: 1-line block ×11, first 2 shown]
	v_or_b32_sdwa v35, v5, v6 dst_sel:DWORD dst_unused:UNUSED_PAD src0_sel:WORD_0 src1_sel:DWORD
	v_lshlrev_b16 v5, 8, v10
	v_lshlrev_b16 v6, 8, v12
	;; [unrolled: 1-line block ×5, first 2 shown]
	v_cndmask_b32_e64 v30, 0, 1, s49
	v_cndmask_b32_e64 v37, 0, 1, s47
	;; [unrolled: 1-line block ×5, first 2 shown]
	v_or_b32_e32 v5, v9, v5
	v_or_b32_sdwa v6, v11, v6 dst_sel:WORD_1 dst_unused:UNUSED_PAD src0_sel:DWORD src1_sel:DWORD
	v_or_b32_e32 v9, v25, v10
	v_or_b32_sdwa v10, v27, v12 dst_sel:WORD_1 dst_unused:UNUSED_PAD src0_sel:DWORD src1_sel:DWORD
	v_or_b32_e32 v7, v8, v7
	v_lshlrev_b16 v8, 8, v44
	v_lshlrev_b16 v11, 8, v41
	;; [unrolled: 1-line block ×5, first 2 shown]
	v_or_b32_sdwa v8, v45, v8 dst_sel:WORD_1 dst_unused:UNUSED_PAD src0_sel:DWORD src1_sel:DWORD
	v_or_b32_e32 v11, v43, v11
	v_or_b32_sdwa v12, v40, v12 dst_sel:WORD_1 dst_unused:UNUSED_PAD src0_sel:DWORD src1_sel:DWORD
	v_or_b32_e32 v25, v37, v25
	v_or_b32_sdwa v26, v30, v26 dst_sel:WORD_1 dst_unused:UNUSED_PAD src0_sel:DWORD src1_sel:DWORD
	v_cndmask_b32_e64 v39, 0, 1, s51
	v_cndmask_b32_e64 v42, 0, 1, s53
	v_or_b32_sdwa v37, v5, v6 dst_sel:DWORD dst_unused:UNUSED_PAD src0_sel:WORD_0 src1_sel:DWORD
	v_or_b32_sdwa v40, v9, v10 dst_sel:DWORD dst_unused:UNUSED_PAD src0_sel:WORD_0 src1_sel:DWORD
	;; [unrolled: 1-line block ×5, first 2 shown]
	s_and_b32 vcc_lo, exec_lo, s50
	s_add_i32 s5, s33, 0xd00
	s_cbranch_vccnz .LBB357_37
	s_branch .LBB357_114
.LBB357_36:
                                        ; implicit-def: $vgpr42
                                        ; implicit-def: $vgpr39
                                        ; implicit-def: $vgpr38
                                        ; implicit-def: $vgpr36
                                        ; implicit-def: $vgpr41
                                        ; implicit-def: $vgpr40
                                        ; implicit-def: $vgpr37
                                        ; implicit-def: $vgpr35
	s_add_i32 s5, s33, 0xd00
	s_cbranch_execz .LBB357_114
.LBB357_37:
	v_mov_b32_e32 v6, 0
	v_mov_b32_e32 v5, 0
	s_mov_b32 s2, exec_lo
	v_cmpx_gt_u32_e64 s5, v34
	s_cbranch_execz .LBB357_41
; %bb.38:
	v_add_nc_u32_e32 v5, s17, v23
	v_add_nc_u32_e32 v6, s19, v23
	s_mov_b32 s4, 0
	s_mov_b32 s3, exec_lo
	v_mul_lo_u32 v5, v5, s16
	v_mul_lo_u32 v6, v6, s18
	v_sub_nc_u32_e32 v5, v5, v6
	v_cmp_lt_u32_e32 vcc_lo, s20, v5
	v_cmpx_ge_u32_e64 s20, v5
	s_cbranch_execz .LBB357_40
; %bb.39:
	v_add_nc_u32_e32 v5, s22, v23
	v_add_nc_u32_e32 v6, s38, v23
	v_mul_lo_u32 v5, v5, s21
	v_mul_lo_u32 v6, v6, s23
	v_sub_nc_u32_e32 v5, v5, v6
	v_cmp_lt_u32_e64 s1, s39, v5
	s_and_b32 s4, s1, exec_lo
.LBB357_40:
	s_or_b32 exec_lo, exec_lo, s3
	v_cndmask_b32_e64 v6, 0, 1, s4
	v_cndmask_b32_e64 v5, 0, 1, vcc_lo
.LBB357_41:
	s_or_b32 exec_lo, exec_lo, s2
	v_add_nc_u32_e32 v7, 1, v34
	v_lshlrev_b16 v25, 8, v6
	v_and_b32_e32 v10, 0xff, v5
	v_lshlrev_b16 v11, 8, 0
                                        ; implicit-def: $vgpr9
                                        ; implicit-def: $vgpr12
                                        ; implicit-def: $vgpr6
                                        ; implicit-def: $vgpr8
	v_cmp_le_u32_e32 vcc_lo, s5, v7
                                        ; implicit-def: $vgpr7
	s_and_saveexec_b32 s1, vcc_lo
	s_xor_b32 s1, exec_lo, s1
	s_cbranch_execz .LBB357_43
; %bb.42:
	v_mov_b32_e32 v5, 8
	v_mov_b32_e32 v6, 0xff
	v_mov_b32_e32 v9, 0
	v_and_b32_e32 v8, 0xffff, v11
	v_and_b32_e32 v7, 0xffff, v11
	v_lshrrev_b32_sdwa v5, v5, v25 dst_sel:BYTE_1 dst_unused:UNUSED_PAD src0_sel:DWORD src1_sel:WORD_0
	v_and_b32_sdwa v6, v25, v6 dst_sel:DWORD dst_unused:UNUSED_PAD src0_sel:WORD_0 src1_sel:DWORD
                                        ; implicit-def: $vgpr25
	v_or_b32_e32 v5, v6, v5
	v_and_b32_e32 v6, 0xffff, v11
                                        ; implicit-def: $vgpr11
	v_and_b32_e32 v12, 0xffff, v5
                                        ; implicit-def: $vgpr5
.LBB357_43:
	s_andn2_saveexec_b32 s2, s1
	s_cbranch_execz .LBB357_47
; %bb.44:
	v_add_nc_u32_e32 v6, s17, v24
	v_add_nc_u32_e32 v7, s19, v24
	s_mov_b32 s3, 0
	s_mov_b32 s4, exec_lo
	v_mul_lo_u32 v6, v6, s16
	v_mul_lo_u32 v7, v7, s18
	v_sub_nc_u32_e32 v6, v6, v7
	v_cmp_lt_u32_e32 vcc_lo, s20, v6
	v_cmpx_ge_u32_e64 s20, v6
	s_cbranch_execz .LBB357_46
; %bb.45:
	v_add_nc_u32_e32 v6, s22, v24
	v_add_nc_u32_e32 v7, s38, v24
	v_mul_lo_u32 v6, v6, s21
	v_mul_lo_u32 v7, v7, s23
	v_sub_nc_u32_e32 v6, v6, v7
	v_cmp_lt_u32_e64 s1, s39, v6
	s_and_b32 s3, s1, exec_lo
.LBB357_46:
	s_or_b32 exec_lo, exec_lo, s4
	v_mov_b32_e32 v6, 0xff
	v_mov_b32_e32 v7, 8
	v_cndmask_b32_e64 v8, 0, 1, vcc_lo
	v_mov_b32_e32 v9, 0
	v_and_b32_sdwa v6, v25, v6 dst_sel:DWORD dst_unused:UNUSED_PAD src0_sel:WORD_0 src1_sel:DWORD
	v_lshrrev_b32_sdwa v7, v7, v25 dst_sel:BYTE_1 dst_unused:UNUSED_PAD src0_sel:DWORD src1_sel:WORD_0
	v_lshlrev_b16 v8, 8, v8
	v_or_b32_e32 v6, v6, v7
	v_cndmask_b32_e64 v7, 0, 1, s3
	v_or_b32_sdwa v5, v5, v8 dst_sel:DWORD dst_unused:UNUSED_PAD src0_sel:BYTE_0 src1_sel:DWORD
	v_and_b32_e32 v8, 0xffff, v11
	v_and_b32_e32 v12, 0xffff, v6
	v_mov_b32_e32 v6, 0
	v_and_b32_e32 v10, 0xffff, v5
	v_lshl_or_b32 v12, v7, 16, v12
	v_and_b32_e32 v7, 0xffff, v11
.LBB357_47:
	s_or_b32 exec_lo, exec_lo, s2
	v_add_nc_u32_e32 v5, 2, v34
                                        ; implicit-def: $vgpr11
	v_cmp_le_u32_e32 vcc_lo, s5, v5
                                        ; implicit-def: $vgpr5
	s_and_saveexec_b32 s1, vcc_lo
	s_xor_b32 s1, exec_lo, s1
	s_cbranch_execz .LBB357_49
; %bb.48:
	v_lshrrev_b32_e32 v5, 24, v10
	v_mov_b32_e32 v11, 8
	v_and_b32_e32 v25, 0xff0000, v12
	v_perm_b32 v8, v8, v8, 0x3060504
	v_perm_b32 v5, v5, v10, 0x40c0100
	v_lshrrev_b32_sdwa v10, v11, v5 dst_sel:BYTE_1 dst_unused:UNUSED_PAD src0_sel:DWORD src1_sel:DWORD
	v_or_b32_sdwa v10, v5, v10 dst_sel:DWORD dst_unused:UNUSED_PAD src0_sel:BYTE_0 src1_sel:DWORD
	v_and_b32_e32 v10, 0xffff, v10
	v_and_or_b32 v11, 0xff000000, v5, v10
	v_perm_b32 v5, v12, v25, 0x3020504
                                        ; implicit-def: $vgpr10
                                        ; implicit-def: $vgpr12
.LBB357_49:
	s_andn2_saveexec_b32 s2, s1
	s_cbranch_execz .LBB357_53
; %bb.50:
	v_add_nc_u32_e32 v5, s17, v21
	v_add_nc_u32_e32 v11, s19, v21
	s_mov_b32 s3, 0
	s_mov_b32 s4, exec_lo
	v_mul_lo_u32 v5, v5, s16
	v_mul_lo_u32 v11, v11, s18
	v_sub_nc_u32_e32 v5, v5, v11
	v_cmp_lt_u32_e32 vcc_lo, s20, v5
	v_cmpx_ge_u32_e64 s20, v5
	s_cbranch_execz .LBB357_52
; %bb.51:
	v_add_nc_u32_e32 v5, s22, v21
	v_add_nc_u32_e32 v11, s38, v21
	v_mul_lo_u32 v5, v5, s21
	v_mul_lo_u32 v11, v11, s23
	v_sub_nc_u32_e32 v5, v5, v11
	v_cmp_lt_u32_e64 s1, s39, v5
	s_and_b32 s3, s1, exec_lo
.LBB357_52:
	s_or_b32 exec_lo, exec_lo, s4
	v_mov_b32_e32 v5, 8
	v_mov_b32_e32 v11, 24
	v_cndmask_b32_e64 v26, 0, 1, s3
	v_mov_b32_e32 v27, 0xff
	v_cndmask_b32_e64 v25, 0, 1, vcc_lo
	v_lshrrev_b32_sdwa v28, v5, v10 dst_sel:BYTE_1 dst_unused:UNUSED_PAD src0_sel:DWORD src1_sel:DWORD
	v_lshrrev_b32_sdwa v11, v11, v10 dst_sel:BYTE_1 dst_unused:UNUSED_PAD src0_sel:DWORD src1_sel:DWORD
	;; [unrolled: 1-line block ×3, first 2 shown]
	v_lshlrev_b16 v26, 8, v26
	v_and_b32_sdwa v27, v12, v27 dst_sel:DWORD dst_unused:UNUSED_PAD src0_sel:WORD_1 src1_sel:DWORD
	v_or_b32_sdwa v10, v10, v28 dst_sel:DWORD dst_unused:UNUSED_PAD src0_sel:BYTE_0 src1_sel:DWORD
	v_or_b32_sdwa v11, v25, v11 dst_sel:WORD_1 dst_unused:UNUSED_PAD src0_sel:DWORD src1_sel:DWORD
	v_or_b32_sdwa v5, v12, v5 dst_sel:DWORD dst_unused:UNUSED_PAD src0_sel:BYTE_0 src1_sel:DWORD
	v_or_b32_sdwa v12, v27, v26 dst_sel:WORD_1 dst_unused:UNUSED_PAD src0_sel:DWORD src1_sel:DWORD
	v_or_b32_sdwa v11, v10, v11 dst_sel:DWORD dst_unused:UNUSED_PAD src0_sel:WORD_0 src1_sel:DWORD
	v_or_b32_sdwa v5, v5, v12 dst_sel:DWORD dst_unused:UNUSED_PAD src0_sel:WORD_0 src1_sel:DWORD
.LBB357_53:
	s_or_b32 exec_lo, exec_lo, s2
	v_add_nc_u32_e32 v10, 3, v34
                                        ; implicit-def: $vgpr35
	v_cmp_le_u32_e32 vcc_lo, s5, v10
                                        ; implicit-def: $vgpr10
	s_and_saveexec_b32 s1, vcc_lo
	s_xor_b32 s1, exec_lo, s1
	s_cbranch_execz .LBB357_55
; %bb.54:
	v_mov_b32_e32 v10, 24
	v_mov_b32_e32 v12, 0xff
	;; [unrolled: 1-line block ×3, first 2 shown]
	v_and_b32_e32 v26, 0xff0000, v11
	v_perm_b32 v8, v8, v8, 0x3060504
	v_lshrrev_b32_sdwa v10, v10, v9 dst_sel:BYTE_1 dst_unused:UNUSED_PAD src0_sel:DWORD src1_sel:DWORD
	v_and_b32_sdwa v12, v9, v12 dst_sel:DWORD dst_unused:UNUSED_PAD src0_sel:WORD_1 src1_sel:DWORD
	v_lshrrev_b32_sdwa v9, v25, v9 dst_sel:BYTE_1 dst_unused:UNUSED_PAD src0_sel:DWORD src1_sel:DWORD
	v_perm_b32 v35, v11, v26, 0x3020504
	v_perm_b32 v7, v7, v7, 0x3060504
                                        ; implicit-def: $vgpr11
	v_or_b32_sdwa v10, v12, v10 dst_sel:WORD_1 dst_unused:UNUSED_PAD src0_sel:DWORD src1_sel:DWORD
	v_or_b32_sdwa v10, v9, v10 dst_sel:DWORD dst_unused:UNUSED_PAD src0_sel:WORD_0 src1_sel:DWORD
                                        ; implicit-def: $vgpr9
.LBB357_55:
	s_andn2_saveexec_b32 s2, s1
	s_cbranch_execz .LBB357_59
; %bb.56:
	v_add_nc_u32_e32 v10, s17, v22
	v_add_nc_u32_e32 v12, s19, v22
	s_mov_b32 s3, 0
	s_mov_b32 s4, exec_lo
	v_mul_lo_u32 v10, v10, s16
	v_mul_lo_u32 v12, v12, s18
	v_sub_nc_u32_e32 v10, v10, v12
	v_cmp_lt_u32_e32 vcc_lo, s20, v10
	v_cmpx_ge_u32_e64 s20, v10
	s_cbranch_execz .LBB357_58
; %bb.57:
	v_add_nc_u32_e32 v10, s22, v22
	v_add_nc_u32_e32 v12, s38, v22
	v_mul_lo_u32 v10, v10, s21
	v_mul_lo_u32 v12, v12, s23
	v_sub_nc_u32_e32 v10, v10, v12
	v_cmp_lt_u32_e64 s1, s39, v10
	s_and_b32 s3, s1, exec_lo
.LBB357_58:
	s_or_b32 exec_lo, exec_lo, s4
	v_mov_b32_e32 v10, 8
	v_cndmask_b32_e64 v12, 0, 1, vcc_lo
	v_mov_b32_e32 v25, 0xff
	v_mov_b32_e32 v26, 24
	v_cndmask_b32_e64 v27, 0, 1, s3
	v_lshrrev_b32_sdwa v28, v10, v11 dst_sel:BYTE_1 dst_unused:UNUSED_PAD src0_sel:DWORD src1_sel:DWORD
	v_lshlrev_b16 v12, 8, v12
	v_and_b32_sdwa v29, v11, v25 dst_sel:DWORD dst_unused:UNUSED_PAD src0_sel:WORD_1 src1_sel:DWORD
	v_lshrrev_b32_sdwa v26, v26, v9 dst_sel:BYTE_1 dst_unused:UNUSED_PAD src0_sel:DWORD src1_sel:DWORD
	v_and_b32_sdwa v25, v9, v25 dst_sel:DWORD dst_unused:UNUSED_PAD src0_sel:WORD_1 src1_sel:DWORD
	v_lshrrev_b32_sdwa v9, v10, v9 dst_sel:BYTE_1 dst_unused:UNUSED_PAD src0_sel:DWORD src1_sel:DWORD
	v_or_b32_sdwa v10, v11, v28 dst_sel:DWORD dst_unused:UNUSED_PAD src0_sel:BYTE_0 src1_sel:DWORD
	v_or_b32_sdwa v11, v29, v12 dst_sel:WORD_1 dst_unused:UNUSED_PAD src0_sel:DWORD src1_sel:DWORD
	v_or_b32_sdwa v12, v25, v26 dst_sel:WORD_1 dst_unused:UNUSED_PAD src0_sel:DWORD src1_sel:DWORD
	v_or_b32_e32 v9, v27, v9
	v_or_b32_sdwa v35, v10, v11 dst_sel:DWORD dst_unused:UNUSED_PAD src0_sel:WORD_0 src1_sel:DWORD
	v_or_b32_sdwa v10, v9, v12 dst_sel:DWORD dst_unused:UNUSED_PAD src0_sel:WORD_0 src1_sel:DWORD
.LBB357_59:
	s_or_b32 exec_lo, exec_lo, s2
	v_add_nc_u32_e32 v9, 4, v34
                                        ; implicit-def: $vgpr11
	v_cmp_le_u32_e32 vcc_lo, s5, v9
                                        ; implicit-def: $vgpr9
	s_and_saveexec_b32 s1, vcc_lo
	s_xor_b32 s1, exec_lo, s1
	s_cbranch_execz .LBB357_61
; %bb.60:
	v_mov_b32_e32 v9, 24
	v_mov_b32_e32 v11, 0xff
	;; [unrolled: 1-line block ×3, first 2 shown]
	v_perm_b32 v7, v7, v7, 0x3060504
	v_lshrrev_b32_sdwa v25, v9, v8 dst_sel:BYTE_1 dst_unused:UNUSED_PAD src0_sel:DWORD src1_sel:DWORD
	v_and_b32_sdwa v26, v8, v11 dst_sel:DWORD dst_unused:UNUSED_PAD src0_sel:WORD_1 src1_sel:DWORD
	v_lshrrev_b32_sdwa v9, v9, v10 dst_sel:BYTE_1 dst_unused:UNUSED_PAD src0_sel:DWORD src1_sel:DWORD
	v_and_b32_sdwa v11, v10, v11 dst_sel:DWORD dst_unused:UNUSED_PAD src0_sel:WORD_1 src1_sel:DWORD
	v_lshrrev_b32_sdwa v8, v12, v8 dst_sel:BYTE_1 dst_unused:UNUSED_PAD src0_sel:DWORD src1_sel:DWORD
	v_or_b32_sdwa v12, v26, v25 dst_sel:WORD_1 dst_unused:UNUSED_PAD src0_sel:DWORD src1_sel:DWORD
	v_or_b32_e32 v11, v11, v9
	v_or_b32_sdwa v9, v8, v12 dst_sel:DWORD dst_unused:UNUSED_PAD src0_sel:WORD_0 src1_sel:DWORD
                                        ; implicit-def: $vgpr8
	v_perm_b32 v11, v11, v10, 0x5040c00
                                        ; implicit-def: $vgpr10
.LBB357_61:
	s_andn2_saveexec_b32 s2, s1
	s_cbranch_execz .LBB357_65
; %bb.62:
	v_add_nc_u32_e32 v9, s17, v19
	v_add_nc_u32_e32 v11, s19, v19
	s_mov_b32 s3, 0
	s_mov_b32 s4, exec_lo
	v_mul_lo_u32 v9, v9, s16
	v_mul_lo_u32 v11, v11, s18
	v_sub_nc_u32_e32 v9, v9, v11
	v_cmp_lt_u32_e32 vcc_lo, s20, v9
	v_cmpx_ge_u32_e64 s20, v9
	s_cbranch_execz .LBB357_64
; %bb.63:
	v_add_nc_u32_e32 v9, s22, v19
	v_add_nc_u32_e32 v11, s38, v19
	v_mul_lo_u32 v9, v9, s21
	v_mul_lo_u32 v11, v11, s23
	v_sub_nc_u32_e32 v9, v9, v11
	v_cmp_lt_u32_e64 s1, s39, v9
	s_and_b32 s3, s1, exec_lo
.LBB357_64:
	s_or_b32 exec_lo, exec_lo, s4
	v_mov_b32_e32 v9, 24
	v_mov_b32_e32 v11, 0xff
	;; [unrolled: 1-line block ×3, first 2 shown]
	v_cndmask_b32_e64 v25, 0, 1, s3
	v_cndmask_b32_e64 v26, 0, 1, vcc_lo
	v_lshrrev_b32_sdwa v27, v9, v8 dst_sel:BYTE_1 dst_unused:UNUSED_PAD src0_sel:DWORD src1_sel:DWORD
	v_and_b32_sdwa v28, v8, v11 dst_sel:DWORD dst_unused:UNUSED_PAD src0_sel:WORD_1 src1_sel:DWORD
	v_lshrrev_b32_sdwa v8, v12, v8 dst_sel:BYTE_1 dst_unused:UNUSED_PAD src0_sel:DWORD src1_sel:DWORD
	v_lshlrev_b16 v12, 8, v25
	v_lshrrev_b32_sdwa v9, v9, v10 dst_sel:BYTE_1 dst_unused:UNUSED_PAD src0_sel:DWORD src1_sel:DWORD
	v_and_b32_sdwa v11, v10, v11 dst_sel:DWORD dst_unused:UNUSED_PAD src0_sel:WORD_1 src1_sel:DWORD
	v_or_b32_sdwa v25, v28, v27 dst_sel:WORD_1 dst_unused:UNUSED_PAD src0_sel:DWORD src1_sel:DWORD
	v_or_b32_e32 v8, v26, v8
	v_or_b32_sdwa v10, v10, v12 dst_sel:DWORD dst_unused:UNUSED_PAD src0_sel:BYTE_0 src1_sel:DWORD
	v_or_b32_sdwa v11, v11, v9 dst_sel:WORD_1 dst_unused:UNUSED_PAD src0_sel:DWORD src1_sel:DWORD
	v_or_b32_sdwa v9, v8, v25 dst_sel:DWORD dst_unused:UNUSED_PAD src0_sel:WORD_0 src1_sel:DWORD
	v_or_b32_sdwa v11, v10, v11 dst_sel:DWORD dst_unused:UNUSED_PAD src0_sel:WORD_0 src1_sel:DWORD
.LBB357_65:
	s_or_b32 exec_lo, exec_lo, s2
	v_add_nc_u32_e32 v8, 5, v34
                                        ; implicit-def: $vgpr10
	v_cmp_le_u32_e32 vcc_lo, s5, v8
                                        ; implicit-def: $vgpr8
	s_and_saveexec_b32 s1, vcc_lo
	s_xor_b32 s1, exec_lo, s1
	s_cbranch_execz .LBB357_67
; %bb.66:
	v_lshrrev_b32_e32 v8, 24, v11
	v_mov_b32_e32 v10, 8
	v_mov_b32_e32 v12, 0xff
	v_perm_b32 v7, v7, v7, 0x3060504
	v_perm_b32 v8, v8, v11, 0x40c0100
	v_mov_b32_e32 v11, 24
	v_and_b32_sdwa v12, v9, v12 dst_sel:DWORD dst_unused:UNUSED_PAD src0_sel:WORD_1 src1_sel:DWORD
	v_lshrrev_b32_sdwa v10, v10, v8 dst_sel:BYTE_1 dst_unused:UNUSED_PAD src0_sel:DWORD src1_sel:DWORD
	v_lshrrev_b32_sdwa v11, v11, v9 dst_sel:BYTE_1 dst_unused:UNUSED_PAD src0_sel:DWORD src1_sel:DWORD
	v_or_b32_sdwa v10, v8, v10 dst_sel:DWORD dst_unused:UNUSED_PAD src0_sel:BYTE_0 src1_sel:DWORD
	v_or_b32_e32 v11, v12, v11
	v_and_b32_e32 v12, 0xffff, v10
	v_perm_b32 v10, v11, v9, 0x5040c00
                                        ; implicit-def: $vgpr9
                                        ; implicit-def: $vgpr11
	v_and_or_b32 v8, 0xff000000, v8, v12
.LBB357_67:
	s_andn2_saveexec_b32 s2, s1
	s_cbranch_execz .LBB357_71
; %bb.68:
	v_add_nc_u32_e32 v8, s17, v20
	v_add_nc_u32_e32 v10, s19, v20
	s_mov_b32 s3, 0
	s_mov_b32 s4, exec_lo
	v_mul_lo_u32 v8, v8, s16
	v_mul_lo_u32 v10, v10, s18
	v_sub_nc_u32_e32 v8, v8, v10
	v_cmp_lt_u32_e32 vcc_lo, s20, v8
	v_cmpx_ge_u32_e64 s20, v8
	s_cbranch_execz .LBB357_70
; %bb.69:
	v_add_nc_u32_e32 v8, s22, v20
	v_add_nc_u32_e32 v10, s38, v20
	v_mul_lo_u32 v8, v8, s21
	v_mul_lo_u32 v10, v10, s23
	v_sub_nc_u32_e32 v8, v8, v10
	v_cmp_lt_u32_e64 s1, s39, v8
	s_and_b32 s3, s1, exec_lo
.LBB357_70:
	s_or_b32 exec_lo, exec_lo, s4
	v_cndmask_b32_e64 v8, 0, 1, vcc_lo
	v_mov_b32_e32 v10, 24
	v_mov_b32_e32 v12, 0xff
	;; [unrolled: 1-line block ×3, first 2 shown]
	v_cndmask_b32_e64 v26, 0, 1, s3
	v_lshlrev_b16 v8, 8, v8
	v_lshrrev_b32_sdwa v27, v10, v9 dst_sel:BYTE_1 dst_unused:UNUSED_PAD src0_sel:DWORD src1_sel:DWORD
	v_and_b32_sdwa v12, v9, v12 dst_sel:DWORD dst_unused:UNUSED_PAD src0_sel:WORD_1 src1_sel:DWORD
	v_lshrrev_b32_sdwa v25, v25, v11 dst_sel:BYTE_1 dst_unused:UNUSED_PAD src0_sel:DWORD src1_sel:DWORD
	v_lshrrev_b32_sdwa v10, v10, v11 dst_sel:BYTE_1 dst_unused:UNUSED_PAD src0_sel:DWORD src1_sel:DWORD
	v_or_b32_sdwa v8, v9, v8 dst_sel:DWORD dst_unused:UNUSED_PAD src0_sel:BYTE_0 src1_sel:DWORD
	v_or_b32_sdwa v9, v12, v27 dst_sel:WORD_1 dst_unused:UNUSED_PAD src0_sel:DWORD src1_sel:DWORD
	v_or_b32_sdwa v11, v11, v25 dst_sel:DWORD dst_unused:UNUSED_PAD src0_sel:BYTE_0 src1_sel:DWORD
	v_or_b32_sdwa v12, v26, v10 dst_sel:WORD_1 dst_unused:UNUSED_PAD src0_sel:DWORD src1_sel:DWORD
	v_or_b32_sdwa v10, v8, v9 dst_sel:DWORD dst_unused:UNUSED_PAD src0_sel:WORD_0 src1_sel:DWORD
	v_or_b32_sdwa v8, v11, v12 dst_sel:DWORD dst_unused:UNUSED_PAD src0_sel:WORD_0 src1_sel:DWORD
.LBB357_71:
	s_or_b32 exec_lo, exec_lo, s2
	v_add_nc_u32_e32 v9, 6, v34
                                        ; implicit-def: $vgpr36
	v_cmp_le_u32_e32 vcc_lo, s5, v9
                                        ; implicit-def: $vgpr9
	s_and_saveexec_b32 s1, vcc_lo
	s_xor_b32 s1, exec_lo, s1
	s_cbranch_execz .LBB357_73
; %bb.72:
	v_lshrrev_b32_e32 v9, 24, v10
	v_mov_b32_e32 v11, 8
	v_perm_b32 v7, v7, v7, 0x3060504
	v_perm_b32 v9, v9, v10, 0x40c0100
	v_lshrrev_b32_sdwa v10, v11, v9 dst_sel:BYTE_1 dst_unused:UNUSED_PAD src0_sel:DWORD src1_sel:DWORD
	v_and_b32_e32 v11, 0xff0000, v8
	v_or_b32_sdwa v10, v9, v10 dst_sel:DWORD dst_unused:UNUSED_PAD src0_sel:BYTE_0 src1_sel:DWORD
	v_perm_b32 v36, v8, v11, 0x3020504
                                        ; implicit-def: $vgpr8
	v_and_b32_e32 v10, 0xffff, v10
	v_and_or_b32 v9, 0xff000000, v9, v10
                                        ; implicit-def: $vgpr10
.LBB357_73:
	s_andn2_saveexec_b32 s2, s1
	s_cbranch_execz .LBB357_77
; %bb.74:
	v_add_nc_u32_e32 v9, s17, v17
	v_add_nc_u32_e32 v11, s19, v17
	s_mov_b32 s3, 0
	s_mov_b32 s4, exec_lo
	v_mul_lo_u32 v9, v9, s16
	v_mul_lo_u32 v11, v11, s18
	v_sub_nc_u32_e32 v9, v9, v11
	v_cmp_lt_u32_e32 vcc_lo, s20, v9
	v_cmpx_ge_u32_e64 s20, v9
	s_cbranch_execz .LBB357_76
; %bb.75:
	v_add_nc_u32_e32 v9, s22, v17
	v_add_nc_u32_e32 v11, s38, v17
	v_mul_lo_u32 v9, v9, s21
	v_mul_lo_u32 v11, v11, s23
	v_sub_nc_u32_e32 v9, v9, v11
	v_cmp_lt_u32_e64 s1, s39, v9
	s_and_b32 s3, s1, exec_lo
.LBB357_76:
	s_or_b32 exec_lo, exec_lo, s4
	v_mov_b32_e32 v9, 8
	v_mov_b32_e32 v11, 24
	v_cndmask_b32_e64 v25, 0, 1, s3
	v_mov_b32_e32 v26, 0xff
	v_cndmask_b32_e64 v12, 0, 1, vcc_lo
	v_lshrrev_b32_sdwa v27, v9, v10 dst_sel:BYTE_1 dst_unused:UNUSED_PAD src0_sel:DWORD src1_sel:DWORD
	v_lshrrev_b32_sdwa v11, v11, v10 dst_sel:BYTE_1 dst_unused:UNUSED_PAD src0_sel:DWORD src1_sel:DWORD
	v_lshrrev_b32_sdwa v9, v9, v8 dst_sel:BYTE_1 dst_unused:UNUSED_PAD src0_sel:DWORD src1_sel:DWORD
	v_lshlrev_b16 v25, 8, v25
	v_and_b32_sdwa v26, v8, v26 dst_sel:DWORD dst_unused:UNUSED_PAD src0_sel:WORD_1 src1_sel:DWORD
	v_or_b32_sdwa v10, v10, v27 dst_sel:DWORD dst_unused:UNUSED_PAD src0_sel:BYTE_0 src1_sel:DWORD
	v_or_b32_sdwa v11, v12, v11 dst_sel:WORD_1 dst_unused:UNUSED_PAD src0_sel:DWORD src1_sel:DWORD
	v_or_b32_sdwa v8, v8, v9 dst_sel:DWORD dst_unused:UNUSED_PAD src0_sel:BYTE_0 src1_sel:DWORD
	v_or_b32_sdwa v12, v26, v25 dst_sel:WORD_1 dst_unused:UNUSED_PAD src0_sel:DWORD src1_sel:DWORD
	v_or_b32_sdwa v9, v10, v11 dst_sel:DWORD dst_unused:UNUSED_PAD src0_sel:WORD_0 src1_sel:DWORD
	v_or_b32_sdwa v36, v8, v12 dst_sel:DWORD dst_unused:UNUSED_PAD src0_sel:WORD_0 src1_sel:DWORD
.LBB357_77:
	s_or_b32 exec_lo, exec_lo, s2
	v_add_nc_u32_e32 v8, 7, v34
                                        ; implicit-def: $vgpr37
	v_cmp_le_u32_e32 vcc_lo, s5, v8
                                        ; implicit-def: $vgpr8
	s_and_saveexec_b32 s1, vcc_lo
	s_xor_b32 s1, exec_lo, s1
	s_cbranch_execz .LBB357_79
; %bb.78:
	v_mov_b32_e32 v8, 24
	v_mov_b32_e32 v10, 0xff
	;; [unrolled: 1-line block ×3, first 2 shown]
	v_lshrrev_b32_sdwa v8, v8, v7 dst_sel:BYTE_1 dst_unused:UNUSED_PAD src0_sel:DWORD src1_sel:DWORD
	v_and_b32_sdwa v10, v7, v10 dst_sel:DWORD dst_unused:UNUSED_PAD src0_sel:WORD_1 src1_sel:DWORD
	v_lshrrev_b32_sdwa v7, v11, v7 dst_sel:BYTE_1 dst_unused:UNUSED_PAD src0_sel:DWORD src1_sel:DWORD
	v_and_b32_e32 v11, 0xff0000, v9
	v_or_b32_sdwa v8, v10, v8 dst_sel:WORD_1 dst_unused:UNUSED_PAD src0_sel:DWORD src1_sel:DWORD
	v_perm_b32 v37, v9, v11, 0x3020504
                                        ; implicit-def: $vgpr9
	v_or_b32_sdwa v8, v7, v8 dst_sel:DWORD dst_unused:UNUSED_PAD src0_sel:WORD_0 src1_sel:DWORD
                                        ; implicit-def: $vgpr7
.LBB357_79:
	s_andn2_saveexec_b32 s2, s1
	s_cbranch_execz .LBB357_83
; %bb.80:
	v_add_nc_u32_e32 v8, s17, v18
	v_add_nc_u32_e32 v10, s19, v18
	s_mov_b32 s3, 0
	s_mov_b32 s4, exec_lo
	v_mul_lo_u32 v8, v8, s16
	v_mul_lo_u32 v10, v10, s18
	v_sub_nc_u32_e32 v8, v8, v10
	v_cmp_lt_u32_e32 vcc_lo, s20, v8
	v_cmpx_ge_u32_e64 s20, v8
	s_cbranch_execz .LBB357_82
; %bb.81:
	v_add_nc_u32_e32 v8, s22, v18
	v_add_nc_u32_e32 v10, s38, v18
	v_mul_lo_u32 v8, v8, s21
	v_mul_lo_u32 v10, v10, s23
	v_sub_nc_u32_e32 v8, v8, v10
	v_cmp_lt_u32_e64 s1, s39, v8
	s_and_b32 s3, s1, exec_lo
.LBB357_82:
	s_or_b32 exec_lo, exec_lo, s4
	v_mov_b32_e32 v8, 8
	v_cndmask_b32_e64 v10, 0, 1, vcc_lo
	v_mov_b32_e32 v11, 0xff
	v_mov_b32_e32 v12, 24
	v_cndmask_b32_e64 v25, 0, 1, s3
	v_lshrrev_b32_sdwa v26, v8, v9 dst_sel:BYTE_1 dst_unused:UNUSED_PAD src0_sel:DWORD src1_sel:DWORD
	v_lshlrev_b16 v10, 8, v10
	v_and_b32_sdwa v27, v9, v11 dst_sel:DWORD dst_unused:UNUSED_PAD src0_sel:WORD_1 src1_sel:DWORD
	v_lshrrev_b32_sdwa v12, v12, v7 dst_sel:BYTE_1 dst_unused:UNUSED_PAD src0_sel:DWORD src1_sel:DWORD
	v_and_b32_sdwa v11, v7, v11 dst_sel:DWORD dst_unused:UNUSED_PAD src0_sel:WORD_1 src1_sel:DWORD
	v_lshrrev_b32_sdwa v7, v8, v7 dst_sel:BYTE_1 dst_unused:UNUSED_PAD src0_sel:DWORD src1_sel:DWORD
	v_or_b32_sdwa v8, v9, v26 dst_sel:DWORD dst_unused:UNUSED_PAD src0_sel:BYTE_0 src1_sel:DWORD
	v_or_b32_sdwa v9, v27, v10 dst_sel:WORD_1 dst_unused:UNUSED_PAD src0_sel:DWORD src1_sel:DWORD
	v_or_b32_sdwa v10, v11, v12 dst_sel:WORD_1 dst_unused:UNUSED_PAD src0_sel:DWORD src1_sel:DWORD
	v_or_b32_e32 v7, v25, v7
	v_or_b32_sdwa v37, v8, v9 dst_sel:DWORD dst_unused:UNUSED_PAD src0_sel:WORD_0 src1_sel:DWORD
	v_or_b32_sdwa v8, v7, v10 dst_sel:DWORD dst_unused:UNUSED_PAD src0_sel:WORD_0 src1_sel:DWORD
.LBB357_83:
	s_or_b32 exec_lo, exec_lo, s2
	v_add_nc_u32_e32 v7, 8, v34
                                        ; implicit-def: $vgpr9
	v_cmp_le_u32_e32 vcc_lo, s5, v7
                                        ; implicit-def: $vgpr7
	s_and_saveexec_b32 s1, vcc_lo
	s_xor_b32 s1, exec_lo, s1
	s_cbranch_execz .LBB357_85
; %bb.84:
	v_mov_b32_e32 v7, 24
	v_mov_b32_e32 v9, 0xff
	;; [unrolled: 1-line block ×3, first 2 shown]
	v_perm_b32 v5, v5, v5, 0x3060504
	v_lshrrev_b32_sdwa v11, v7, v8 dst_sel:BYTE_1 dst_unused:UNUSED_PAD src0_sel:DWORD src1_sel:DWORD
	v_lshrrev_b32_sdwa v7, v7, v6 dst_sel:BYTE_1 dst_unused:UNUSED_PAD src0_sel:DWORD src1_sel:DWORD
	v_and_b32_sdwa v12, v6, v9 dst_sel:DWORD dst_unused:UNUSED_PAD src0_sel:WORD_1 src1_sel:DWORD
	v_and_b32_sdwa v9, v8, v9 dst_sel:DWORD dst_unused:UNUSED_PAD src0_sel:WORD_1 src1_sel:DWORD
	v_lshrrev_b32_sdwa v6, v10, v6 dst_sel:BYTE_1 dst_unused:UNUSED_PAD src0_sel:DWORD src1_sel:DWORD
	v_or_b32_sdwa v7, v12, v7 dst_sel:WORD_1 dst_unused:UNUSED_PAD src0_sel:DWORD src1_sel:DWORD
	v_or_b32_e32 v9, v9, v11
	v_or_b32_sdwa v7, v6, v7 dst_sel:DWORD dst_unused:UNUSED_PAD src0_sel:WORD_0 src1_sel:DWORD
	v_perm_b32 v9, v9, v8, 0x5040c00
                                        ; implicit-def: $vgpr6
                                        ; implicit-def: $vgpr8
.LBB357_85:
	s_andn2_saveexec_b32 s2, s1
	s_cbranch_execz .LBB357_89
; %bb.86:
	v_add_nc_u32_e32 v7, s17, v15
	v_add_nc_u32_e32 v9, s19, v15
	s_mov_b32 s3, 0
	s_mov_b32 s4, exec_lo
	v_mul_lo_u32 v7, v7, s16
	v_mul_lo_u32 v9, v9, s18
	v_sub_nc_u32_e32 v7, v7, v9
	v_cmp_lt_u32_e32 vcc_lo, s20, v7
	v_cmpx_ge_u32_e64 s20, v7
	s_cbranch_execz .LBB357_88
; %bb.87:
	v_add_nc_u32_e32 v7, s22, v15
	v_add_nc_u32_e32 v9, s38, v15
	v_mul_lo_u32 v7, v7, s21
	v_mul_lo_u32 v9, v9, s23
	v_sub_nc_u32_e32 v7, v7, v9
	v_cmp_lt_u32_e64 s1, s39, v7
	s_and_b32 s3, s1, exec_lo
.LBB357_88:
	s_or_b32 exec_lo, exec_lo, s4
	v_mov_b32_e32 v7, 24
	v_mov_b32_e32 v9, 0xff
	;; [unrolled: 1-line block ×3, first 2 shown]
	v_cndmask_b32_e64 v11, 0, 1, s3
	v_cndmask_b32_e64 v12, 0, 1, vcc_lo
	v_lshrrev_b32_sdwa v25, v7, v6 dst_sel:BYTE_1 dst_unused:UNUSED_PAD src0_sel:DWORD src1_sel:DWORD
	v_and_b32_sdwa v26, v6, v9 dst_sel:DWORD dst_unused:UNUSED_PAD src0_sel:WORD_1 src1_sel:DWORD
	v_lshrrev_b32_sdwa v6, v10, v6 dst_sel:BYTE_1 dst_unused:UNUSED_PAD src0_sel:DWORD src1_sel:DWORD
	v_lshlrev_b16 v10, 8, v11
	v_lshrrev_b32_sdwa v7, v7, v8 dst_sel:BYTE_1 dst_unused:UNUSED_PAD src0_sel:DWORD src1_sel:DWORD
	v_and_b32_sdwa v9, v8, v9 dst_sel:DWORD dst_unused:UNUSED_PAD src0_sel:WORD_1 src1_sel:DWORD
	v_or_b32_sdwa v11, v26, v25 dst_sel:WORD_1 dst_unused:UNUSED_PAD src0_sel:DWORD src1_sel:DWORD
	v_or_b32_e32 v6, v12, v6
	v_or_b32_sdwa v8, v8, v10 dst_sel:DWORD dst_unused:UNUSED_PAD src0_sel:BYTE_0 src1_sel:DWORD
	v_or_b32_sdwa v9, v9, v7 dst_sel:WORD_1 dst_unused:UNUSED_PAD src0_sel:DWORD src1_sel:DWORD
	v_or_b32_sdwa v7, v6, v11 dst_sel:DWORD dst_unused:UNUSED_PAD src0_sel:WORD_0 src1_sel:DWORD
	v_or_b32_sdwa v9, v8, v9 dst_sel:DWORD dst_unused:UNUSED_PAD src0_sel:WORD_0 src1_sel:DWORD
.LBB357_89:
	s_or_b32 exec_lo, exec_lo, s2
	v_add_nc_u32_e32 v6, 9, v34
                                        ; implicit-def: $vgpr8
	v_cmp_le_u32_e32 vcc_lo, s5, v6
                                        ; implicit-def: $vgpr6
	s_and_saveexec_b32 s1, vcc_lo
	s_xor_b32 s1, exec_lo, s1
	s_cbranch_execz .LBB357_91
; %bb.90:
	v_lshrrev_b32_e32 v6, 24, v9
	v_mov_b32_e32 v8, 8
	v_mov_b32_e32 v10, 0xff
	v_perm_b32 v5, v5, v5, 0x3060504
	v_perm_b32 v6, v6, v9, 0x40c0100
	v_mov_b32_e32 v9, 24
	v_and_b32_sdwa v10, v7, v10 dst_sel:DWORD dst_unused:UNUSED_PAD src0_sel:WORD_1 src1_sel:DWORD
	v_lshrrev_b32_sdwa v8, v8, v6 dst_sel:BYTE_1 dst_unused:UNUSED_PAD src0_sel:DWORD src1_sel:DWORD
	v_lshrrev_b32_sdwa v9, v9, v7 dst_sel:BYTE_1 dst_unused:UNUSED_PAD src0_sel:DWORD src1_sel:DWORD
	v_or_b32_sdwa v8, v6, v8 dst_sel:DWORD dst_unused:UNUSED_PAD src0_sel:BYTE_0 src1_sel:DWORD
	v_or_b32_e32 v9, v10, v9
	v_and_b32_e32 v10, 0xffff, v8
	v_perm_b32 v8, v9, v7, 0x5040c00
                                        ; implicit-def: $vgpr7
                                        ; implicit-def: $vgpr9
	v_and_or_b32 v6, 0xff000000, v6, v10
.LBB357_91:
	s_andn2_saveexec_b32 s2, s1
	s_cbranch_execz .LBB357_95
; %bb.92:
	v_add_nc_u32_e32 v6, s17, v16
	v_add_nc_u32_e32 v8, s19, v16
	s_mov_b32 s3, 0
	s_mov_b32 s4, exec_lo
	v_mul_lo_u32 v6, v6, s16
	v_mul_lo_u32 v8, v8, s18
	v_sub_nc_u32_e32 v6, v6, v8
	v_cmp_lt_u32_e32 vcc_lo, s20, v6
	v_cmpx_ge_u32_e64 s20, v6
	s_cbranch_execz .LBB357_94
; %bb.93:
	v_add_nc_u32_e32 v6, s22, v16
	v_add_nc_u32_e32 v8, s38, v16
	v_mul_lo_u32 v6, v6, s21
	v_mul_lo_u32 v8, v8, s23
	v_sub_nc_u32_e32 v6, v6, v8
	v_cmp_lt_u32_e64 s1, s39, v6
	s_and_b32 s3, s1, exec_lo
.LBB357_94:
	s_or_b32 exec_lo, exec_lo, s4
	v_cndmask_b32_e64 v6, 0, 1, vcc_lo
	v_mov_b32_e32 v8, 24
	v_mov_b32_e32 v10, 0xff
	;; [unrolled: 1-line block ×3, first 2 shown]
	v_cndmask_b32_e64 v12, 0, 1, s3
	v_lshlrev_b16 v6, 8, v6
	v_lshrrev_b32_sdwa v25, v8, v7 dst_sel:BYTE_1 dst_unused:UNUSED_PAD src0_sel:DWORD src1_sel:DWORD
	v_and_b32_sdwa v10, v7, v10 dst_sel:DWORD dst_unused:UNUSED_PAD src0_sel:WORD_1 src1_sel:DWORD
	v_lshrrev_b32_sdwa v11, v11, v9 dst_sel:BYTE_1 dst_unused:UNUSED_PAD src0_sel:DWORD src1_sel:DWORD
	v_lshrrev_b32_sdwa v8, v8, v9 dst_sel:BYTE_1 dst_unused:UNUSED_PAD src0_sel:DWORD src1_sel:DWORD
	v_or_b32_sdwa v6, v7, v6 dst_sel:DWORD dst_unused:UNUSED_PAD src0_sel:BYTE_0 src1_sel:DWORD
	v_or_b32_sdwa v7, v10, v25 dst_sel:WORD_1 dst_unused:UNUSED_PAD src0_sel:DWORD src1_sel:DWORD
	v_or_b32_sdwa v9, v9, v11 dst_sel:DWORD dst_unused:UNUSED_PAD src0_sel:BYTE_0 src1_sel:DWORD
	v_or_b32_sdwa v10, v12, v8 dst_sel:WORD_1 dst_unused:UNUSED_PAD src0_sel:DWORD src1_sel:DWORD
	v_or_b32_sdwa v8, v6, v7 dst_sel:DWORD dst_unused:UNUSED_PAD src0_sel:WORD_0 src1_sel:DWORD
	v_or_b32_sdwa v6, v9, v10 dst_sel:DWORD dst_unused:UNUSED_PAD src0_sel:WORD_0 src1_sel:DWORD
.LBB357_95:
	s_or_b32 exec_lo, exec_lo, s2
	v_add_nc_u32_e32 v7, 10, v34
                                        ; implicit-def: $vgpr38
	v_cmp_le_u32_e32 vcc_lo, s5, v7
                                        ; implicit-def: $vgpr7
	s_and_saveexec_b32 s1, vcc_lo
	s_xor_b32 s1, exec_lo, s1
	s_cbranch_execz .LBB357_97
; %bb.96:
	v_lshrrev_b32_e32 v7, 24, v8
	v_mov_b32_e32 v9, 8
	v_perm_b32 v5, v5, v5, 0x3060504
	v_perm_b32 v7, v7, v8, 0x40c0100
	v_lshrrev_b32_sdwa v8, v9, v7 dst_sel:BYTE_1 dst_unused:UNUSED_PAD src0_sel:DWORD src1_sel:DWORD
	v_and_b32_e32 v9, 0xff0000, v6
	v_or_b32_sdwa v8, v7, v8 dst_sel:DWORD dst_unused:UNUSED_PAD src0_sel:BYTE_0 src1_sel:DWORD
	v_perm_b32 v38, v6, v9, 0x3020504
                                        ; implicit-def: $vgpr6
	v_and_b32_e32 v8, 0xffff, v8
	v_and_or_b32 v7, 0xff000000, v7, v8
                                        ; implicit-def: $vgpr8
.LBB357_97:
	s_andn2_saveexec_b32 s2, s1
	s_cbranch_execz .LBB357_101
; %bb.98:
	v_add_nc_u32_e32 v7, s17, v13
	v_add_nc_u32_e32 v9, s19, v13
	s_mov_b32 s3, 0
	s_mov_b32 s4, exec_lo
	v_mul_lo_u32 v7, v7, s16
	v_mul_lo_u32 v9, v9, s18
	v_sub_nc_u32_e32 v7, v7, v9
	v_cmp_lt_u32_e32 vcc_lo, s20, v7
	v_cmpx_ge_u32_e64 s20, v7
	s_cbranch_execz .LBB357_100
; %bb.99:
	v_add_nc_u32_e32 v7, s22, v13
	v_add_nc_u32_e32 v9, s38, v13
	v_mul_lo_u32 v7, v7, s21
	v_mul_lo_u32 v9, v9, s23
	v_sub_nc_u32_e32 v7, v7, v9
	v_cmp_lt_u32_e64 s1, s39, v7
	s_and_b32 s3, s1, exec_lo
.LBB357_100:
	s_or_b32 exec_lo, exec_lo, s4
	v_mov_b32_e32 v7, 8
	v_mov_b32_e32 v9, 24
	v_cndmask_b32_e64 v11, 0, 1, s3
	v_mov_b32_e32 v12, 0xff
	v_cndmask_b32_e64 v10, 0, 1, vcc_lo
	v_lshrrev_b32_sdwa v25, v7, v8 dst_sel:BYTE_1 dst_unused:UNUSED_PAD src0_sel:DWORD src1_sel:DWORD
	v_lshrrev_b32_sdwa v9, v9, v8 dst_sel:BYTE_1 dst_unused:UNUSED_PAD src0_sel:DWORD src1_sel:DWORD
	;; [unrolled: 1-line block ×3, first 2 shown]
	v_lshlrev_b16 v11, 8, v11
	v_and_b32_sdwa v12, v6, v12 dst_sel:DWORD dst_unused:UNUSED_PAD src0_sel:WORD_1 src1_sel:DWORD
	v_or_b32_sdwa v8, v8, v25 dst_sel:DWORD dst_unused:UNUSED_PAD src0_sel:BYTE_0 src1_sel:DWORD
	v_or_b32_sdwa v9, v10, v9 dst_sel:WORD_1 dst_unused:UNUSED_PAD src0_sel:DWORD src1_sel:DWORD
	v_or_b32_sdwa v6, v6, v7 dst_sel:DWORD dst_unused:UNUSED_PAD src0_sel:BYTE_0 src1_sel:DWORD
	v_or_b32_sdwa v10, v12, v11 dst_sel:WORD_1 dst_unused:UNUSED_PAD src0_sel:DWORD src1_sel:DWORD
	v_or_b32_sdwa v7, v8, v9 dst_sel:DWORD dst_unused:UNUSED_PAD src0_sel:WORD_0 src1_sel:DWORD
	v_or_b32_sdwa v38, v6, v10 dst_sel:DWORD dst_unused:UNUSED_PAD src0_sel:WORD_0 src1_sel:DWORD
.LBB357_101:
	s_or_b32 exec_lo, exec_lo, s2
	v_add_nc_u32_e32 v6, 11, v34
	v_mov_b32_e32 v39, 0
	s_mov_b32 s1, exec_lo
                                        ; implicit-def: $vgpr40
	v_cmpx_le_u32_e64 s5, v6
	s_xor_b32 s1, exec_lo, s1
; %bb.102:
	v_and_b32_e32 v6, 0xff0000, v7
	v_perm_b32 v5, v5, v5, 0x3060504
	v_perm_b32 v40, v7, v6, 0x3020504
                                        ; implicit-def: $vgpr7
; %bb.103:
	s_andn2_saveexec_b32 s2, s1
	s_cbranch_execz .LBB357_107
; %bb.104:
	v_add_nc_u32_e32 v6, s17, v14
	v_add_nc_u32_e32 v8, s19, v14
	s_mov_b32 s3, 0
	s_mov_b32 s4, exec_lo
	v_mul_lo_u32 v6, v6, s16
	v_mul_lo_u32 v8, v8, s18
	v_sub_nc_u32_e32 v6, v6, v8
	v_cmp_lt_u32_e32 vcc_lo, s20, v6
	v_cmpx_ge_u32_e64 s20, v6
	s_cbranch_execz .LBB357_106
; %bb.105:
	v_add_nc_u32_e32 v6, s22, v14
	v_add_nc_u32_e32 v8, s38, v14
	v_mul_lo_u32 v6, v6, s21
	v_mul_lo_u32 v8, v8, s23
	v_sub_nc_u32_e32 v6, v6, v8
	v_cmp_lt_u32_e64 s1, s39, v6
	s_and_b32 s3, s1, exec_lo
.LBB357_106:
	s_or_b32 exec_lo, exec_lo, s4
	v_mov_b32_e32 v6, 8
	v_cndmask_b32_e64 v8, 0, 1, vcc_lo
	v_mov_b32_e32 v9, 0xff
	v_cndmask_b32_e64 v39, 0, 1, s3
	v_lshrrev_b32_sdwa v6, v6, v7 dst_sel:BYTE_1 dst_unused:UNUSED_PAD src0_sel:DWORD src1_sel:DWORD
	v_lshlrev_b16 v8, 8, v8
	v_and_b32_sdwa v9, v7, v9 dst_sel:DWORD dst_unused:UNUSED_PAD src0_sel:WORD_1 src1_sel:DWORD
	v_or_b32_sdwa v6, v7, v6 dst_sel:DWORD dst_unused:UNUSED_PAD src0_sel:BYTE_0 src1_sel:DWORD
	v_or_b32_sdwa v7, v9, v8 dst_sel:WORD_1 dst_unused:UNUSED_PAD src0_sel:DWORD src1_sel:DWORD
	v_or_b32_sdwa v40, v6, v7 dst_sel:DWORD dst_unused:UNUSED_PAD src0_sel:WORD_0 src1_sel:DWORD
.LBB357_107:
	s_or_b32 exec_lo, exec_lo, s2
	v_add_nc_u32_e32 v6, 12, v34
	s_mov_b32 s1, exec_lo
                                        ; implicit-def: $vgpr41
	v_cmpx_le_u32_e64 s5, v6
	s_xor_b32 s1, exec_lo, s1
	s_cbranch_execz .LBB357_109
; %bb.108:
	v_mov_b32_e32 v6, 24
	v_mov_b32_e32 v7, 0xff
	;; [unrolled: 1-line block ×3, first 2 shown]
	v_lshrrev_b32_sdwa v6, v6, v5 dst_sel:BYTE_1 dst_unused:UNUSED_PAD src0_sel:DWORD src1_sel:DWORD
	v_and_b32_sdwa v7, v5, v7 dst_sel:DWORD dst_unused:UNUSED_PAD src0_sel:WORD_1 src1_sel:DWORD
	v_lshrrev_b32_sdwa v5, v8, v5 dst_sel:BYTE_1 dst_unused:UNUSED_PAD src0_sel:DWORD src1_sel:DWORD
	v_or_b32_sdwa v6, v7, v6 dst_sel:WORD_1 dst_unused:UNUSED_PAD src0_sel:DWORD src1_sel:DWORD
	v_or_b32_sdwa v41, v5, v6 dst_sel:DWORD dst_unused:UNUSED_PAD src0_sel:WORD_0 src1_sel:DWORD
                                        ; implicit-def: $vgpr5
.LBB357_109:
	s_or_saveexec_b32 s2, s1
	v_mov_b32_e32 v42, 0
	s_xor_b32 exec_lo, exec_lo, s2
	s_cbranch_execz .LBB357_113
; %bb.110:
	v_add_nc_u32_e32 v6, s17, v33
	v_add_nc_u32_e32 v7, s19, v33
	s_mov_b32 s3, 0
	s_mov_b32 s4, exec_lo
	v_mul_lo_u32 v6, v6, s16
	v_mul_lo_u32 v7, v7, s18
	v_sub_nc_u32_e32 v6, v6, v7
	v_cmp_lt_u32_e32 vcc_lo, s20, v6
	v_cmpx_ge_u32_e64 s20, v6
	s_cbranch_execz .LBB357_112
; %bb.111:
	v_add_nc_u32_e32 v6, s22, v33
	v_add_nc_u32_e32 v7, s38, v33
	v_mul_lo_u32 v6, v6, s21
	v_mul_lo_u32 v7, v7, s23
	v_sub_nc_u32_e32 v6, v6, v7
	v_cmp_lt_u32_e64 s1, s39, v6
	s_and_b32 s3, s1, exec_lo
.LBB357_112:
	s_or_b32 exec_lo, exec_lo, s4
	v_mov_b32_e32 v6, 24
	v_mov_b32_e32 v7, 0xff
	;; [unrolled: 1-line block ×3, first 2 shown]
	v_cndmask_b32_e64 v9, 0, 1, vcc_lo
	v_cndmask_b32_e64 v42, 0, 1, s3
	v_lshrrev_b32_sdwa v6, v6, v5 dst_sel:BYTE_1 dst_unused:UNUSED_PAD src0_sel:DWORD src1_sel:DWORD
	v_and_b32_sdwa v7, v5, v7 dst_sel:DWORD dst_unused:UNUSED_PAD src0_sel:WORD_1 src1_sel:DWORD
	v_lshrrev_b32_sdwa v5, v8, v5 dst_sel:BYTE_1 dst_unused:UNUSED_PAD src0_sel:DWORD src1_sel:DWORD
	v_or_b32_sdwa v6, v7, v6 dst_sel:WORD_1 dst_unused:UNUSED_PAD src0_sel:DWORD src1_sel:DWORD
	v_or_b32_e32 v5, v9, v5
	v_or_b32_sdwa v41, v5, v6 dst_sel:DWORD dst_unused:UNUSED_PAD src0_sel:WORD_0 src1_sel:DWORD
.LBB357_113:
	s_or_b32 exec_lo, exec_lo, s2
.LBB357_114:
	v_and_b32_e32 v65, 0xff, v35
	v_bfe_u32 v66, v41, 8, 8
	v_bfe_u32 v62, v35, 8, 8
	v_bfe_u32 v63, v41, 16, 8
	v_bfe_u32 v64, v35, 16, 8
	v_lshrrev_b32_e32 v48, 24, v41
	v_lshrrev_b32_e32 v47, 24, v35
	v_and_b32_e32 v61, 0xff, v36
	v_and_b32_e32 v59, 0xff, v37
	v_bfe_u32 v60, v36, 8, 8
	v_add3_u32 v5, v62, v65, v64
	v_add3_u32 v6, v63, v66, v48
	v_bfe_u32 v57, v37, 8, 8
	v_bfe_u32 v58, v36, 16, 8
	;; [unrolled: 1-line block ×3, first 2 shown]
	v_lshrrev_b32_e32 v46, 24, v36
	v_add3_u32 v5, v5, v47, v59
	v_add3_u32 v6, v6, v61, v60
	v_lshrrev_b32_e32 v45, 24, v37
	v_and_b32_e32 v56, 0xff, v38
	v_and_b32_e32 v54, 0xff, v40
	v_bfe_u32 v55, v38, 8, 8
	v_add3_u32 v5, v5, v57, v52
	v_add3_u32 v6, v6, v58, v46
	v_bfe_u32 v51, v40, 8, 8
	v_bfe_u32 v53, v38, 16, 8
	;; [unrolled: 1-line block ×3, first 2 shown]
	v_lshrrev_b32_e32 v44, 24, v38
	v_add3_u32 v5, v5, v45, v54
	v_add3_u32 v6, v6, v56, v55
	v_mbcnt_lo_u32_b32 v67, -1, 0
	v_lshrrev_b32_e32 v43, 24, v40
	v_and_b32_e32 v50, 0xff, v39
	v_and_b32_e32 v7, 0xff, v41
	;; [unrolled: 1-line block ×3, first 2 shown]
	v_add3_u32 v5, v5, v51, v49
	v_add3_u32 v6, v6, v53, v44
	v_and_b32_e32 v69, 15, v67
	v_and_b32_e32 v71, 16, v67
	v_lshrrev_b32_e32 v68, 5, v0
	v_add3_u32 v72, v5, v43, v7
	v_add3_u32 v73, v6, v50, v8
	v_cmp_eq_u32_e64 s2, 0, v69
	v_cmp_lt_u32_e64 s1, 1, v69
	v_cmp_lt_u32_e64 s3, 3, v69
	v_or_b32_e32 v70, 31, v0
	s_cmp_lg_u32 s27, 0
	s_mov_b32 s4, -1
	v_cmp_lt_u32_e32 vcc_lo, 7, v69
	s_cbranch_scc0 .LBB357_136
; %bb.115:
	v_mov_b32_dpp v5, v73 row_shr:1 row_mask:0xf bank_mask:0xf
	v_mov_b32_dpp v6, v72 row_shr:1 row_mask:0xf bank_mask:0xf
	s_mov_b32 s4, exec_lo
	v_add_nc_u32_e32 v5, v5, v73
	v_add_nc_u32_e32 v6, v6, v72
	v_cndmask_b32_e64 v5, v5, v73, s2
	v_cndmask_b32_e64 v6, v6, v72, s2
	v_mov_b32_dpp v7, v5 row_shr:2 row_mask:0xf bank_mask:0xf
	v_mov_b32_dpp v8, v6 row_shr:2 row_mask:0xf bank_mask:0xf
	v_add_nc_u32_e32 v7, v5, v7
	v_add_nc_u32_e32 v8, v6, v8
	v_cndmask_b32_e64 v5, v5, v7, s1
	v_cndmask_b32_e64 v6, v6, v8, s1
	v_mov_b32_dpp v7, v5 row_shr:4 row_mask:0xf bank_mask:0xf
	v_mov_b32_dpp v8, v6 row_shr:4 row_mask:0xf bank_mask:0xf
	;; [unrolled: 6-line block ×3, first 2 shown]
	v_add_nc_u32_e32 v7, v5, v7
	v_add_nc_u32_e32 v8, v6, v8
	v_cndmask_b32_e32 v5, v5, v7, vcc_lo
	v_cndmask_b32_e32 v6, v6, v8, vcc_lo
	v_cmp_eq_u32_e32 vcc_lo, 0, v71
	ds_swizzle_b32 v7, v5 offset:swizzle(BROADCAST,32,15)
	ds_swizzle_b32 v8, v6 offset:swizzle(BROADCAST,32,15)
	s_waitcnt lgkmcnt(1)
	v_add_nc_u32_e32 v7, v5, v7
	s_waitcnt lgkmcnt(0)
	v_add_nc_u32_e32 v8, v6, v8
	v_cmpx_eq_u32_e64 v0, v70
	s_cbranch_execz .LBB357_117
; %bb.116:
	v_lshlrev_b32_e32 v11, 3, v68
	v_cndmask_b32_e32 v10, v7, v5, vcc_lo
	v_cndmask_b32_e32 v9, v8, v6, vcc_lo
	ds_write_b64 v11, v[9:10]
.LBB357_117:
	s_or_b32 exec_lo, exec_lo, s4
	s_mov_b32 s4, exec_lo
	s_waitcnt lgkmcnt(0)
	s_barrier
	buffer_gl0_inv
	v_cmpx_gt_u32_e32 8, v0
	s_cbranch_execz .LBB357_119
; %bb.118:
	v_lshlrev_b32_e32 v11, 3, v0
	v_and_b32_e32 v26, 7, v67
	ds_read_b64 v[9:10], v11
	v_cmp_eq_u32_e64 s3, 0, v26
	s_waitcnt lgkmcnt(0)
	v_mov_b32_dpp v12, v9 row_shr:1 row_mask:0xf bank_mask:0xf
	v_mov_b32_dpp v25, v10 row_shr:1 row_mask:0xf bank_mask:0xf
	v_add_nc_u32_e32 v12, v12, v9
	v_add_nc_u32_e32 v25, v25, v10
	v_cndmask_b32_e64 v9, v12, v9, s3
	v_cndmask_b32_e64 v10, v25, v10, s3
	v_cmp_lt_u32_e64 s3, 1, v26
	v_mov_b32_dpp v12, v9 row_shr:2 row_mask:0xf bank_mask:0xf
	v_mov_b32_dpp v25, v10 row_shr:2 row_mask:0xf bank_mask:0xf
	v_add_nc_u32_e32 v12, v9, v12
	v_add_nc_u32_e32 v25, v10, v25
	v_cndmask_b32_e64 v9, v9, v12, s3
	v_cndmask_b32_e64 v10, v10, v25, s3
	v_cmp_lt_u32_e64 s3, 3, v26
	v_mov_b32_dpp v12, v9 row_shr:4 row_mask:0xf bank_mask:0xf
	v_mov_b32_dpp v25, v10 row_shr:4 row_mask:0xf bank_mask:0xf
	v_cndmask_b32_e64 v12, 0, v12, s3
	v_cndmask_b32_e64 v25, 0, v25, s3
	v_add_nc_u32_e32 v9, v12, v9
	v_add_nc_u32_e32 v10, v25, v10
	ds_write_b64 v11, v[9:10]
.LBB357_119:
	s_or_b32 exec_lo, exec_lo, s4
	v_cndmask_b32_e32 v5, v7, v5, vcc_lo
	v_cndmask_b32_e32 v6, v8, v6, vcc_lo
	s_mov_b32 s4, exec_lo
	v_cmp_gt_u32_e32 vcc_lo, 32, v0
	s_waitcnt lgkmcnt(0)
	s_barrier
	buffer_gl0_inv
                                        ; implicit-def: $vgpr25
	v_cmpx_lt_u32_e32 31, v0
	s_cbranch_execz .LBB357_121
; %bb.120:
	v_lshl_add_u32 v7, v68, 3, -8
	ds_read_b64 v[25:26], v7
	s_waitcnt lgkmcnt(0)
	v_add_nc_u32_e32 v5, v26, v5
	v_add_nc_u32_e32 v6, v25, v6
.LBB357_121:
	s_or_b32 exec_lo, exec_lo, s4
	v_sub_co_u32 v7, s3, v67, 1
	v_cmp_gt_i32_e64 s4, 0, v7
	v_cndmask_b32_e64 v7, v7, v67, s4
	v_lshlrev_b32_e32 v7, 2, v7
	ds_bpermute_b32 v74, v7, v6
	ds_bpermute_b32 v75, v7, v5
	s_and_saveexec_b32 s4, vcc_lo
	s_cbranch_execz .LBB357_141
; %bb.122:
	v_mov_b32_e32 v8, 0
	ds_read_b64 v[5:6], v8 offset:56
	s_and_saveexec_b32 s6, s3
	s_cbranch_execz .LBB357_124
; %bb.123:
	s_add_i32 s8, s27, 32
	s_mov_b32 s9, 0
	v_mov_b32_e32 v7, 1
	s_lshl_b64 s[8:9], s[8:9], 4
	s_add_u32 s8, s36, s8
	s_addc_u32 s9, s37, s9
	v_mov_b32_e32 v10, s9
	v_mov_b32_e32 v9, s8
	s_waitcnt lgkmcnt(0)
	;;#ASMSTART
	global_store_dwordx4 v[9:10], v[5:8] off	
s_waitcnt vmcnt(0)
	;;#ASMEND
.LBB357_124:
	s_or_b32 exec_lo, exec_lo, s6
	v_xad_u32 v27, v67, -1, s27
	s_mov_b32 s7, 0
	v_add_nc_u32_e32 v7, 32, v27
	v_lshlrev_b64 v[9:10], 4, v[7:8]
	v_add_co_u32 v28, vcc_lo, s36, v9
	v_add_co_ci_u32_e64 v29, null, s37, v10, vcc_lo
	;;#ASMSTART
	global_load_dwordx4 v[9:12], v[28:29] off glc dlc	
s_waitcnt vmcnt(0)
	;;#ASMEND
	v_cmp_eq_u16_sdwa s8, v11, v8 src0_sel:BYTE_0 src1_sel:DWORD
	s_and_saveexec_b32 s6, s8
	s_cbranch_execz .LBB357_128
; %bb.125:
	v_mov_b32_e32 v7, 0
.LBB357_126:                            ; =>This Inner Loop Header: Depth=1
	;;#ASMSTART
	global_load_dwordx4 v[9:12], v[28:29] off glc dlc	
s_waitcnt vmcnt(0)
	;;#ASMEND
	v_cmp_ne_u16_sdwa s8, v11, v7 src0_sel:BYTE_0 src1_sel:DWORD
	s_or_b32 s7, s8, s7
	s_andn2_b32 exec_lo, exec_lo, s7
	s_cbranch_execnz .LBB357_126
; %bb.127:
	s_or_b32 exec_lo, exec_lo, s7
.LBB357_128:
	s_or_b32 exec_lo, exec_lo, s6
	v_cmp_ne_u32_e32 vcc_lo, 31, v67
	v_mov_b32_e32 v77, 2
	v_lshlrev_b32_e64 v78, v67, -1
	v_add_nc_u32_e32 v80, 2, v67
	v_add_nc_u32_e32 v82, 4, v67
	v_add_co_ci_u32_e64 v7, null, 0, v67, vcc_lo
	v_cmp_eq_u16_sdwa s6, v11, v77 src0_sel:BYTE_0 src1_sel:DWORD
	v_cmp_gt_u32_e32 vcc_lo, 30, v67
	v_add_nc_u32_e32 v84, 8, v67
	v_lshlrev_b32_e32 v76, 2, v7
	v_lshl_or_b32 v85, v67, 2, 64
	v_and_b32_e32 v12, s6, v78
	v_cndmask_b32_e64 v28, 0, 2, vcc_lo
	v_add_nc_u32_e32 v86, 16, v67
	ds_bpermute_b32 v7, v76, v10
	ds_bpermute_b32 v8, v76, v9
	v_or_b32_e32 v12, 0x80000000, v12
	v_add_lshl_u32 v79, v28, v67, 2
	v_ffbl_b32_e32 v12, v12
	v_cmp_lt_u32_e32 vcc_lo, v67, v12
	s_waitcnt lgkmcnt(1)
	v_add_nc_u32_e32 v7, v7, v10
	s_waitcnt lgkmcnt(0)
	v_add_nc_u32_e32 v8, v8, v9
	v_cndmask_b32_e32 v7, v10, v7, vcc_lo
	v_cndmask_b32_e32 v8, v9, v8, vcc_lo
	v_cmp_gt_u32_e32 vcc_lo, 28, v67
	ds_bpermute_b32 v9, v79, v7
	ds_bpermute_b32 v10, v79, v8
	v_cndmask_b32_e64 v28, 0, 4, vcc_lo
	v_cmp_gt_u32_e32 vcc_lo, v80, v12
	v_add_lshl_u32 v81, v28, v67, 2
	s_waitcnt lgkmcnt(1)
	v_add_nc_u32_e32 v9, v7, v9
	s_waitcnt lgkmcnt(0)
	v_add_nc_u32_e32 v10, v8, v10
	v_cndmask_b32_e32 v7, v9, v7, vcc_lo
	v_cndmask_b32_e32 v8, v10, v8, vcc_lo
	v_cmp_gt_u32_e32 vcc_lo, 24, v67
	ds_bpermute_b32 v9, v81, v7
	ds_bpermute_b32 v10, v81, v8
	v_cndmask_b32_e64 v28, 0, 8, vcc_lo
	v_cmp_gt_u32_e32 vcc_lo, v82, v12
	v_add_lshl_u32 v83, v28, v67, 2
	v_mov_b32_e32 v28, 0
	s_waitcnt lgkmcnt(1)
	v_add_nc_u32_e32 v9, v7, v9
	s_waitcnt lgkmcnt(0)
	v_add_nc_u32_e32 v10, v8, v10
	v_cndmask_b32_e32 v7, v9, v7, vcc_lo
	v_cndmask_b32_e32 v8, v10, v8, vcc_lo
	v_cmp_gt_u32_e32 vcc_lo, v84, v12
	ds_bpermute_b32 v9, v83, v7
	ds_bpermute_b32 v10, v83, v8
	s_waitcnt lgkmcnt(1)
	v_add_nc_u32_e32 v9, v7, v9
	s_waitcnt lgkmcnt(0)
	v_add_nc_u32_e32 v10, v8, v10
	v_cndmask_b32_e32 v7, v9, v7, vcc_lo
	v_cndmask_b32_e32 v8, v10, v8, vcc_lo
	v_cmp_le_u32_e32 vcc_lo, v86, v12
	ds_bpermute_b32 v10, v85, v7
	ds_bpermute_b32 v9, v85, v8
	s_waitcnt lgkmcnt(1)
	v_cndmask_b32_e32 v10, 0, v10, vcc_lo
	s_waitcnt lgkmcnt(0)
	v_cndmask_b32_e32 v9, 0, v9, vcc_lo
	v_add_nc_u32_e32 v10, v10, v7
	v_add_nc_u32_e32 v9, v9, v8
	s_branch .LBB357_132
.LBB357_129:                            ;   in Loop: Header=BB357_132 Depth=1
	s_or_b32 exec_lo, exec_lo, s7
.LBB357_130:                            ;   in Loop: Header=BB357_132 Depth=1
	s_or_b32 exec_lo, exec_lo, s6
	ds_bpermute_b32 v12, v76, v9
	ds_bpermute_b32 v29, v76, v10
	v_cmp_eq_u16_sdwa s6, v11, v77 src0_sel:BYTE_0 src1_sel:DWORD
	v_subrev_nc_u32_e32 v27, 32, v27
	v_and_or_b32 v30, s6, v78, 0x80000000
	s_mov_b32 s6, 0
	v_ffbl_b32_e32 v30, v30
	v_cmp_lt_u32_e32 vcc_lo, v67, v30
	s_waitcnt lgkmcnt(1)
	v_add_nc_u32_e32 v12, v12, v9
	s_waitcnt lgkmcnt(0)
	v_add_nc_u32_e32 v29, v29, v10
	v_cndmask_b32_e32 v9, v9, v12, vcc_lo
	v_cndmask_b32_e32 v10, v10, v29, vcc_lo
	v_cmp_gt_u32_e32 vcc_lo, v80, v30
	ds_bpermute_b32 v12, v79, v9
	ds_bpermute_b32 v29, v79, v10
	s_waitcnt lgkmcnt(1)
	v_add_nc_u32_e32 v12, v9, v12
	s_waitcnt lgkmcnt(0)
	v_add_nc_u32_e32 v29, v10, v29
	v_cndmask_b32_e32 v9, v12, v9, vcc_lo
	v_cndmask_b32_e32 v10, v29, v10, vcc_lo
	v_cmp_gt_u32_e32 vcc_lo, v82, v30
	ds_bpermute_b32 v12, v81, v9
	ds_bpermute_b32 v29, v81, v10
	;; [unrolled: 9-line block ×3, first 2 shown]
	s_waitcnt lgkmcnt(1)
	v_add_nc_u32_e32 v12, v9, v12
	s_waitcnt lgkmcnt(0)
	v_add_nc_u32_e32 v29, v10, v29
	v_cndmask_b32_e32 v9, v12, v9, vcc_lo
	v_cndmask_b32_e32 v10, v29, v10, vcc_lo
	v_cmp_le_u32_e32 vcc_lo, v86, v30
	ds_bpermute_b32 v12, v85, v9
	ds_bpermute_b32 v29, v85, v10
	s_waitcnt lgkmcnt(1)
	v_cndmask_b32_e32 v12, 0, v12, vcc_lo
	s_waitcnt lgkmcnt(0)
	v_cndmask_b32_e32 v29, 0, v29, vcc_lo
	v_add3_u32 v9, v9, v7, v12
	v_add3_u32 v10, v10, v8, v29
.LBB357_131:                            ;   in Loop: Header=BB357_132 Depth=1
	s_and_b32 vcc_lo, exec_lo, s6
	s_cbranch_vccnz .LBB357_137
.LBB357_132:                            ; =>This Loop Header: Depth=1
                                        ;     Child Loop BB357_135 Depth 2
	v_cmp_ne_u16_sdwa s6, v11, v77 src0_sel:BYTE_0 src1_sel:DWORD
	v_mov_b32_e32 v7, v9
	v_mov_b32_e32 v8, v10
                                        ; implicit-def: $vgpr11
                                        ; implicit-def: $vgpr9_vgpr10
	s_cmp_lg_u32 s6, exec_lo
	s_mov_b32 s6, -1
	s_cbranch_scc1 .LBB357_131
; %bb.133:                              ;   in Loop: Header=BB357_132 Depth=1
	v_lshlrev_b64 v[9:10], 4, v[27:28]
	v_add_co_u32 v29, vcc_lo, s36, v9
	v_add_co_ci_u32_e64 v30, null, s37, v10, vcc_lo
	;;#ASMSTART
	global_load_dwordx4 v[9:12], v[29:30] off glc dlc	
s_waitcnt vmcnt(0)
	;;#ASMEND
	v_cmp_eq_u16_sdwa s7, v11, v28 src0_sel:BYTE_0 src1_sel:DWORD
	s_and_saveexec_b32 s6, s7
	s_cbranch_execz .LBB357_130
; %bb.134:                              ;   in Loop: Header=BB357_132 Depth=1
	s_mov_b32 s7, 0
.LBB357_135:                            ;   Parent Loop BB357_132 Depth=1
                                        ; =>  This Inner Loop Header: Depth=2
	;;#ASMSTART
	global_load_dwordx4 v[9:12], v[29:30] off glc dlc	
s_waitcnt vmcnt(0)
	;;#ASMEND
	v_cmp_ne_u16_sdwa s8, v11, v28 src0_sel:BYTE_0 src1_sel:DWORD
	s_or_b32 s7, s8, s7
	s_andn2_b32 exec_lo, exec_lo, s7
	s_cbranch_execnz .LBB357_135
	s_branch .LBB357_129
.LBB357_136:
                                        ; implicit-def: $vgpr25
                                        ; implicit-def: $vgpr7
                                        ; implicit-def: $vgpr26
	s_and_b32 vcc_lo, exec_lo, s4
	s_cbranch_vccnz .LBB357_142
	s_branch .LBB357_151
.LBB357_137:
	s_and_saveexec_b32 s6, s3
	s_cbranch_execnz .LBB357_379
; %bb.138:
	s_or_b32 exec_lo, exec_lo, s6
	s_and_saveexec_b32 s6, s3
	s_cbranch_execnz .LBB357_380
.LBB357_139:
	s_or_b32 exec_lo, exec_lo, s6
	s_and_b32 exec_lo, exec_lo, s0
.LBB357_140:
	v_mov_b32_e32 v5, 0
	ds_write_b64 v5, v[7:8] offset:56
.LBB357_141:
	s_or_b32 exec_lo, exec_lo, s4
	v_mov_b32_e32 v5, 0
	s_waitcnt lgkmcnt(0)
	s_barrier
	buffer_gl0_inv
	v_cndmask_b32_e64 v11, v75, v26, s3
	ds_read_b64 v[9:10], v5 offset:56
	s_waitcnt lgkmcnt(0)
	s_barrier
	buffer_gl0_inv
	ds_read_b128 v[5:8], v5 offset:13312
	v_cndmask_b32_e64 v12, v74, v25, s3
	v_add_nc_u32_e32 v11, v10, v11
	v_add_nc_u32_e32 v12, v9, v12
	v_cndmask_b32_e64 v25, v11, v10, s0
	v_cndmask_b32_e64 v26, v12, v9, s0
	s_branch .LBB357_151
.LBB357_142:
	s_waitcnt lgkmcnt(0)
	v_mov_b32_dpp v5, v72 row_shr:1 row_mask:0xf bank_mask:0xf
	v_mov_b32_dpp v6, v73 row_shr:1 row_mask:0xf bank_mask:0xf
	v_cmp_lt_u32_e32 vcc_lo, 3, v69
	v_add_nc_u32_e32 v5, v5, v72
	v_add_nc_u32_e32 v6, v6, v73
	v_cndmask_b32_e64 v5, v5, v72, s2
	v_cndmask_b32_e64 v6, v6, v73, s2
	s_mov_b32 s2, exec_lo
	v_mov_b32_dpp v7, v5 row_shr:2 row_mask:0xf bank_mask:0xf
	v_mov_b32_dpp v8, v6 row_shr:2 row_mask:0xf bank_mask:0xf
	v_add_nc_u32_e32 v7, v5, v7
	v_add_nc_u32_e32 v8, v6, v8
	v_cndmask_b32_e64 v5, v5, v7, s1
	v_cndmask_b32_e64 v6, v6, v8, s1
	v_mov_b32_dpp v7, v5 row_shr:4 row_mask:0xf bank_mask:0xf
	v_mov_b32_dpp v8, v6 row_shr:4 row_mask:0xf bank_mask:0xf
	v_add_nc_u32_e32 v7, v5, v7
	v_add_nc_u32_e32 v8, v6, v8
	v_cndmask_b32_e32 v7, v5, v7, vcc_lo
	v_cndmask_b32_e32 v6, v6, v8, vcc_lo
	v_cmp_lt_u32_e32 vcc_lo, 7, v69
	v_mov_b32_dpp v5, v7 row_shr:8 row_mask:0xf bank_mask:0xf
	v_mov_b32_dpp v8, v6 row_shr:8 row_mask:0xf bank_mask:0xf
	v_add_nc_u32_e32 v9, v7, v5
	v_add_nc_u32_e32 v5, v6, v8
	v_cndmask_b32_e32 v5, v6, v5, vcc_lo
	v_cndmask_b32_e32 v6, v7, v9, vcc_lo
	v_cmp_eq_u32_e32 vcc_lo, 0, v71
	ds_swizzle_b32 v7, v5 offset:swizzle(BROADCAST,32,15)
	ds_swizzle_b32 v8, v6 offset:swizzle(BROADCAST,32,15)
	s_waitcnt lgkmcnt(1)
	v_add_nc_u32_e32 v7, v5, v7
	s_waitcnt lgkmcnt(0)
	v_add_nc_u32_e32 v8, v6, v8
	v_cmpx_eq_u32_e64 v0, v70
	s_cbranch_execz .LBB357_144
; %bb.143:
	v_cndmask_b32_e32 v9, v8, v6, vcc_lo
	v_cndmask_b32_e32 v10, v7, v5, vcc_lo
	v_lshlrev_b32_e32 v11, 3, v68
	ds_write_b64 v11, v[9:10]
.LBB357_144:
	s_or_b32 exec_lo, exec_lo, s2
	s_mov_b32 s2, exec_lo
	s_waitcnt lgkmcnt(0)
	s_barrier
	buffer_gl0_inv
	v_cmpx_gt_u32_e32 8, v0
	s_cbranch_execz .LBB357_146
; %bb.145:
	v_lshlrev_b32_e32 v11, 3, v0
	v_and_b32_e32 v26, 7, v67
	ds_read_b64 v[9:10], v11
	v_cmp_eq_u32_e64 s1, 0, v26
	s_waitcnt lgkmcnt(0)
	v_mov_b32_dpp v12, v9 row_shr:1 row_mask:0xf bank_mask:0xf
	v_mov_b32_dpp v25, v10 row_shr:1 row_mask:0xf bank_mask:0xf
	v_add_nc_u32_e32 v12, v12, v9
	v_add_nc_u32_e32 v25, v25, v10
	v_cndmask_b32_e64 v9, v12, v9, s1
	v_cndmask_b32_e64 v10, v25, v10, s1
	v_cmp_lt_u32_e64 s1, 1, v26
	v_mov_b32_dpp v12, v9 row_shr:2 row_mask:0xf bank_mask:0xf
	v_mov_b32_dpp v25, v10 row_shr:2 row_mask:0xf bank_mask:0xf
	v_add_nc_u32_e32 v12, v9, v12
	v_add_nc_u32_e32 v25, v10, v25
	v_cndmask_b32_e64 v9, v9, v12, s1
	v_cndmask_b32_e64 v10, v10, v25, s1
	v_cmp_lt_u32_e64 s1, 3, v26
	v_mov_b32_dpp v12, v9 row_shr:4 row_mask:0xf bank_mask:0xf
	v_mov_b32_dpp v25, v10 row_shr:4 row_mask:0xf bank_mask:0xf
	v_cndmask_b32_e64 v12, 0, v12, s1
	v_cndmask_b32_e64 v25, 0, v25, s1
	v_add_nc_u32_e32 v9, v12, v9
	v_add_nc_u32_e32 v10, v25, v10
	ds_write_b64 v11, v[9:10]
.LBB357_146:
	s_or_b32 exec_lo, exec_lo, s2
	v_mov_b32_e32 v11, 0
	v_mov_b32_e32 v9, 0
	;; [unrolled: 1-line block ×3, first 2 shown]
	s_mov_b32 s2, exec_lo
	s_waitcnt lgkmcnt(0)
	s_barrier
	buffer_gl0_inv
	v_cmpx_lt_u32_e32 31, v0
; %bb.147:
	v_lshl_add_u32 v9, v68, 3, -8
	ds_read_b64 v[9:10], v9
; %bb.148:
	s_or_b32 exec_lo, exec_lo, s2
	v_sub_co_u32 v12, s1, v67, 1
	v_cndmask_b32_e32 v6, v8, v6, vcc_lo
	v_cndmask_b32_e32 v5, v7, v5, vcc_lo
	v_cmp_gt_i32_e64 s2, 0, v12
	s_waitcnt lgkmcnt(0)
	v_add_nc_u32_e32 v6, v9, v6
	v_add_nc_u32_e32 v5, v10, v5
	v_cndmask_b32_e64 v8, v12, v67, s2
	v_lshlrev_b32_e32 v7, 2, v8
	ds_bpermute_b32 v12, v7, v6
	ds_bpermute_b32 v25, v7, v5
	ds_read_b64 v[5:6], v11 offset:56
	s_and_saveexec_b32 s2, s0
	s_cbranch_execz .LBB357_150
; %bb.149:
	s_add_u32 s6, s36, 0x200
	s_addc_u32 s7, s37, 0
	v_mov_b32_e32 v7, 2
	v_mov_b32_e32 v27, s7
	;; [unrolled: 1-line block ×4, first 2 shown]
	s_waitcnt lgkmcnt(0)
	;;#ASMSTART
	global_store_dwordx4 v[26:27], v[5:8] off	
s_waitcnt vmcnt(0)
	;;#ASMEND
.LBB357_150:
	s_or_b32 exec_lo, exec_lo, s2
	s_waitcnt lgkmcnt(1)
	v_cndmask_b32_e64 v7, v25, v10, s1
	v_cndmask_b32_e64 v9, v12, v9, s1
	v_mov_b32_e32 v8, 0
	s_waitcnt lgkmcnt(0)
	s_barrier
	v_cndmask_b32_e64 v25, v7, 0, s0
	v_cndmask_b32_e64 v26, v9, 0, s0
	v_mov_b32_e32 v7, 0
	buffer_gl0_inv
.LBB357_151:
	v_add_nc_u32_e32 v30, v25, v66
	v_add_nc_u32_e32 v29, v26, v65
	s_waitcnt lgkmcnt(0)
	v_sub_nc_u32_e32 v25, v25, v8
	v_lshrrev_b32_e32 v28, 8, v41
	v_lshlrev_b32_e32 v69, 1, v5
	v_add_nc_u32_e32 v63, v30, v63
	v_sub_nc_u32_e32 v30, v30, v8
	v_add_nc_u32_e32 v62, v29, v62
	v_sub_nc_u32_e32 v26, v26, v7
	;; [unrolled: 2-line block ×3, first 2 shown]
	v_add_nc_u32_e32 v30, v30, v5
	v_and_b32_e32 v28, 1, v28
	v_mov_b32_e32 v71, 1
	v_add3_u32 v34, v69, v6, v34
	v_add_nc_u32_e32 v75, v26, v25
	v_add_nc_u32_e32 v76, v30, v29
	v_add_co_u32 v1, vcc_lo, v1, v7
	v_add_co_ci_u32_e64 v2, null, 0, v2, vcc_lo
	v_sub_co_u32 v67, vcc_lo, v3, v5
	v_subrev_co_ci_u32_e64 v68, null, 0, v4, vcc_lo
	v_and_b32_sdwa v74, v71, v41 dst_sel:DWORD dst_unused:UNUSED_PAD src0_sel:DWORD src1_sel:WORD_1
	v_sub_nc_u32_e32 v76, v34, v76
	v_sub_nc_u32_e32 v75, v34, v75
	v_cmp_eq_u32_e32 vcc_lo, 1, v28
	v_lshrrev_b32_e32 v27, 8, v35
	v_add_nc_u32_e32 v65, v63, v48
	v_and_b32_e32 v70, 1, v35
	v_sub_nc_u32_e32 v63, v63, v8
	v_add_nc_u32_e32 v76, 1, v76
	v_cndmask_b32_e32 v25, v75, v25, vcc_lo
	v_cmp_eq_u32_e32 vcc_lo, 1, v74
	v_add_nc_u32_e32 v64, v62, v64
	v_and_b32_e32 v27, 1, v27
	v_sub_nc_u32_e32 v62, v62, v7
	v_add_nc_u32_e32 v63, v63, v5
	v_cndmask_b32_e32 v30, v76, v30, vcc_lo
	v_cmp_eq_u32_e32 vcc_lo, 1, v70
	v_and_b32_e32 v48, 1, v48
	v_add_nc_u32_e32 v61, v65, v61
	v_add_nc_u32_e32 v74, v63, v62
	v_and_b32_sdwa v35, v71, v35 dst_sel:DWORD dst_unused:UNUSED_PAD src0_sel:DWORD src1_sel:WORD_1
	v_cndmask_b32_e32 v70, v25, v26, vcc_lo
	v_cmp_eq_u32_e32 vcc_lo, 1, v27
	v_sub_nc_u32_e32 v65, v65, v8
	v_add_nc_u32_e32 v66, v64, v47
	v_add_nc_u32_e32 v60, v61, v60
	v_sub_nc_u32_e32 v61, v61, v8
	v_cndmask_b32_e32 v27, v30, v29, vcc_lo
	v_sub_nc_u32_e32 v29, v34, v74
	v_add_co_u32 v25, vcc_lo, v67, v8
	v_add_co_ci_u32_e64 v26, null, 0, v68, vcc_lo
	v_add_nc_u32_e32 v29, 2, v29
	v_cmp_eq_u32_e32 vcc_lo, 1, v48
	v_sub_nc_u32_e32 v48, v64, v7
	v_lshlrev_b32_e32 v30, 2, v70
	v_add_nc_u32_e32 v61, v61, v5
	v_lshlrev_b32_e32 v27, 2, v27
	v_cndmask_b32_e32 v29, v29, v63, vcc_lo
	v_add_nc_u32_e32 v63, v65, v5
	v_cmp_eq_u32_e32 vcc_lo, 1, v35
	v_sub_nc_u32_e32 v35, v66, v7
	v_lshrrev_b32_e32 v12, 8, v36
	ds_write_b32 v30, v23
	ds_write_b32 v27, v24
	v_and_b32_e32 v30, 1, v36
	v_cndmask_b32_e32 v29, v29, v62, vcc_lo
	v_add_nc_u32_e32 v62, v48, v63
	v_add_nc_u32_e32 v24, v35, v61
	;; [unrolled: 1-line block ×3, first 2 shown]
	v_and_b32_e32 v12, 1, v12
	v_lshlrev_b32_e32 v23, 2, v29
	v_sub_nc_u32_e32 v27, v34, v62
	v_and_b32_e32 v29, 1, v47
	v_sub_nc_u32_e32 v47, v60, v8
	v_sub_nc_u32_e32 v24, v34, v24
	v_cmp_eq_u32_e32 vcc_lo, 1, v30
	v_add_nc_u32_e32 v27, 3, v27
	v_add_nc_u32_e32 v57, v59, v57
	v_sub_nc_u32_e32 v59, v59, v7
	v_add_nc_u32_e32 v47, v47, v5
	v_add_nc_u32_e32 v24, 4, v24
	v_cndmask_b32_e32 v27, v27, v63, vcc_lo
	v_cmp_eq_u32_e32 vcc_lo, 1, v12
	v_add_nc_u32_e32 v58, v60, v58
	v_and_b32_e32 v30, 1, v37
	v_add_nc_u32_e32 v60, v59, v47
	v_lshrrev_b32_e32 v11, 8, v37
	v_cndmask_b32_e32 v12, v24, v61, vcc_lo
	v_cmp_eq_u32_e32 vcc_lo, 1, v29
	ds_write_b32 v23, v21
	v_and_b32_sdwa v23, v71, v36 dst_sel:DWORD dst_unused:UNUSED_PAD src0_sel:DWORD src1_sel:WORD_1
	v_add_nc_u32_e32 v72, v58, v46
	v_and_b32_e32 v11, 1, v11
	v_cndmask_b32_e32 v24, v27, v48, vcc_lo
	v_sub_nc_u32_e32 v27, v34, v60
	v_cmp_eq_u32_e32 vcc_lo, 1, v30
	v_add_nc_u32_e32 v52, v57, v52
	v_sub_nc_u32_e32 v29, v72, v8
	v_lshlrev_b32_e32 v21, 2, v24
	v_add_nc_u32_e32 v24, 5, v27
	v_cndmask_b32_e32 v12, v12, v35, vcc_lo
	v_sub_nc_u32_e32 v27, v58, v8
	v_cmp_eq_u32_e32 vcc_lo, 1, v23
	v_add_nc_u32_e32 v29, v29, v5
	v_add_nc_u32_e32 v56, v72, v56
	v_lshlrev_b32_e32 v12, 2, v12
	v_add_nc_u32_e32 v27, v27, v5
	v_cndmask_b32_e32 v23, v24, v47, vcc_lo
	v_sub_nc_u32_e32 v24, v57, v7
	v_cmp_eq_u32_e32 vcc_lo, 1, v11
	ds_write_b32 v21, v22
	ds_write_b32 v12, v19
	v_and_b32_e32 v22, 1, v46
	v_and_b32_e32 v35, 1, v38
	v_add_nc_u32_e32 v30, v24, v27
	v_cndmask_b32_e32 v11, v23, v59, vcc_lo
	v_sub_nc_u32_e32 v23, v52, v7
	v_cmp_eq_u32_e32 vcc_lo, 1, v22
	v_add_nc_u32_e32 v73, v52, v45
	v_sub_nc_u32_e32 v19, v34, v30
	v_sub_nc_u32_e32 v30, v56, v8
	v_add_nc_u32_e32 v12, v23, v29
	v_and_b32_sdwa v21, v71, v37 dst_sel:DWORD dst_unused:UNUSED_PAD src0_sel:DWORD src1_sel:WORD_1
	v_sub_nc_u32_e32 v36, v73, v7
	v_add_nc_u32_e32 v19, 6, v19
	v_add_nc_u32_e32 v30, v30, v5
	v_sub_nc_u32_e32 v12, v34, v12
	v_and_b32_e32 v22, 1, v45
	v_lshrrev_b32_e32 v10, 8, v38
	v_cndmask_b32_e32 v19, v19, v27, vcc_lo
	v_cmp_eq_u32_e32 vcc_lo, 1, v35
	v_add_nc_u32_e32 v12, 7, v12
	v_add_nc_u32_e32 v55, v56, v55
	;; [unrolled: 1-line block ×4, first 2 shown]
	v_and_b32_e32 v10, 1, v10
	v_cndmask_b32_e32 v12, v12, v29, vcc_lo
	v_cmp_eq_u32_e32 vcc_lo, 1, v21
	v_sub_nc_u32_e32 v21, v34, v27
	v_add_nc_u32_e32 v53, v55, v53
	v_lshlrev_b32_e32 v11, 2, v11
	v_add_nc_u32_e32 v51, v54, v51
	v_cndmask_b32_e32 v19, v19, v24, vcc_lo
	v_cmp_eq_u32_e32 vcc_lo, 1, v22
	v_sub_nc_u32_e32 v22, v55, v8
	v_add_nc_u32_e32 v21, 8, v21
	v_sub_nc_u32_e32 v24, v54, v7
	v_lshlrev_b32_e32 v19, 2, v19
	v_cndmask_b32_e32 v12, v12, v23, vcc_lo
	v_add_nc_u32_e32 v22, v22, v5
	v_cmp_eq_u32_e32 vcc_lo, 1, v10
	v_add_nc_u32_e32 v77, v53, v44
	v_and_b32_e32 v23, 1, v40
	v_lshlrev_b32_e32 v12, 2, v12
	ds_write_b32 v11, v20
	ds_write_b32 v19, v17
	;; [unrolled: 1-line block ×3, first 2 shown]
	v_cndmask_b32_e32 v10, v21, v30, vcc_lo
	v_add_nc_u32_e32 v21, v24, v22
	v_sub_nc_u32_e32 v12, v53, v8
	v_lshrrev_b32_e32 v9, 8, v40
	v_add_nc_u32_e32 v49, v51, v49
	v_cmp_eq_u32_e32 vcc_lo, 1, v23
	v_sub_nc_u32_e32 v11, v34, v21
	v_and_b32_sdwa v17, v71, v38 dst_sel:DWORD dst_unused:UNUSED_PAD src0_sel:DWORD src1_sel:WORD_1
	v_sub_nc_u32_e32 v18, v51, v7
	v_sub_nc_u32_e32 v19, v77, v8
	v_add_nc_u32_e32 v12, v12, v5
	v_cndmask_b32_e32 v10, v10, v36, vcc_lo
	v_and_b32_e32 v9, 1, v9
	v_add_nc_u32_e32 v11, 9, v11
	v_cmp_eq_u32_e32 vcc_lo, 1, v17
	v_sub_nc_u32_e32 v17, v49, v7
	v_add_nc_u32_e32 v19, v19, v5
	v_add_nc_u32_e32 v20, v18, v12
	;; [unrolled: 1-line block ×3, first 2 shown]
	v_cndmask_b32_e32 v11, v11, v22, vcc_lo
	v_cmp_eq_u32_e32 vcc_lo, 1, v9
	v_add_nc_u32_e32 v21, v17, v19
	v_sub_nc_u32_e32 v20, v34, v20
	v_and_b32_e32 v23, 1, v44
	v_add_nc_u32_e32 v50, v49, v43
	v_cndmask_b32_e32 v9, v11, v24, vcc_lo
	v_sub_nc_u32_e32 v11, v28, v8
	v_sub_nc_u32_e32 v21, v34, v21
	v_add_nc_u32_e32 v20, 10, v20
	v_and_b32_e32 v24, 1, v39
	v_cmp_eq_u32_e32 vcc_lo, 1, v23
	v_and_b32_sdwa v22, v71, v40 dst_sel:DWORD dst_unused:UNUSED_PAD src0_sel:DWORD src1_sel:WORD_1
	v_sub_nc_u32_e32 v7, v50, v7
	v_add_nc_u32_e32 v11, v11, v5
	v_add_nc_u32_e32 v21, 11, v21
	v_cndmask_b32_e32 v12, v20, v12, vcc_lo
	v_cmp_eq_u32_e32 vcc_lo, 1, v24
	v_and_b32_e32 v20, 1, v43
	v_add_nc_u32_e32 v27, v7, v11
	v_lshlrev_b32_e32 v10, 2, v10
	v_lshlrev_b32_e32 v9, 2, v9
	v_cndmask_b32_e32 v19, v21, v19, vcc_lo
	v_cmp_eq_u32_e32 vcc_lo, 1, v22
	v_sub_nc_u32_e32 v23, v34, v27
	v_cndmask_b32_e32 v12, v12, v18, vcc_lo
	v_and_b32_e32 v18, 1, v42
	v_cmp_eq_u32_e32 vcc_lo, 1, v20
	v_add_nc_u32_e32 v21, 12, v23
	v_lshlrev_b32_e32 v12, 2, v12
	v_cndmask_b32_e32 v17, v19, v17, vcc_lo
	v_and_b32_e32 v19, 1, v41
	v_cmp_eq_u32_e32 vcc_lo, 1, v18
	v_lshlrev_b32_e32 v17, 2, v17
	ds_write_b32 v10, v15
	ds_write_b32 v9, v16
	;; [unrolled: 1-line block ×4, first 2 shown]
	v_cndmask_b32_e32 v11, v21, v11, vcc_lo
	v_cmp_eq_u32_e32 vcc_lo, 1, v19
	v_add_co_u32 v9, s1, v6, v69
	v_add_co_ci_u32_e64 v10, null, 0, 0, s1
	v_cndmask_b32_e32 v7, v11, v7, vcc_lo
	v_add_co_u32 v11, s1, s34, v31
	v_add_co_ci_u32_e64 v12, null, s35, 0, s1
	v_lshlrev_b32_e32 v7, 2, v7
	v_add_nc_u32_e32 v14, v5, v6
	ds_write_b32 v7, v33
	v_add_co_u32 v7, vcc_lo, v9, v25
	v_add_co_ci_u32_e64 v9, null, v10, v26, vcc_lo
	s_waitcnt lgkmcnt(0)
	v_add_co_u32 v7, vcc_lo, v7, v1
	v_add_co_ci_u32_e64 v13, null, v9, v2, vcc_lo
	v_lshlrev_b64 v[9:10], 2, v[25:26]
	v_sub_co_u32 v7, vcc_lo, v11, v7
	v_sub_co_ci_u32_e64 v13, null, v12, v13, vcc_lo
	v_lshlrev_b64 v[11:12], 2, v[1:2]
	v_add_co_u32 v9, vcc_lo, s30, v9
	v_add_co_ci_u32_e64 v10, null, s31, v10, vcc_lo
	v_cmp_ne_u32_e32 vcc_lo, 1, v32
	v_add_co_u32 v11, s1, s28, v11
	v_add_co_ci_u32_e64 v12, null, s29, v12, s1
	s_mov_b32 s1, -1
	s_barrier
	buffer_gl0_inv
	s_cbranch_vccz .LBB357_155
; %bb.152:
	s_and_b32 vcc_lo, exec_lo, s1
	s_cbranch_vccnz .LBB357_260
.LBB357_153:
	s_and_b32 s0, s0, s26
	s_and_saveexec_b32 s1, s0
	s_cbranch_execnz .LBB357_378
.LBB357_154:
	s_endpgm
.LBB357_155:
	s_mov_b32 s1, exec_lo
	v_cmpx_ge_u32_e64 v0, v5
	s_xor_b32 s1, exec_lo, s1
	s_cbranch_execz .LBB357_161
; %bb.156:
	s_mov_b32 s2, exec_lo
	v_cmpx_ge_u32_e64 v0, v14
	s_xor_b32 s2, exec_lo, s2
	s_cbranch_execz .LBB357_158
; %bb.157:
	v_lshlrev_b32_e32 v15, 2, v0
	ds_read_b32 v17, v15
	v_add_co_u32 v15, vcc_lo, v7, v0
	v_add_co_ci_u32_e64 v16, null, 0, v13, vcc_lo
	v_lshlrev_b64 v[15:16], 2, v[15:16]
	v_sub_co_u32 v15, vcc_lo, s14, v15
	v_sub_co_ci_u32_e64 v16, null, s15, v16, vcc_lo
	s_waitcnt lgkmcnt(0)
	global_store_dword v[15:16], v17, off offset:-4
.LBB357_158:
	s_andn2_saveexec_b32 s2, s2
	s_cbranch_execz .LBB357_160
; %bb.159:
	v_lshlrev_b32_e32 v15, 2, v0
	v_readfirstlane_b32 s6, v9
	v_readfirstlane_b32 s7, v10
	ds_read_b32 v16, v15
	s_waitcnt lgkmcnt(0)
	global_store_dword v15, v16, s[6:7]
.LBB357_160:
	s_or_b32 exec_lo, exec_lo, s2
.LBB357_161:
	s_andn2_saveexec_b32 s1, s1
	s_cbranch_execz .LBB357_163
; %bb.162:
	v_lshlrev_b32_e32 v15, 2, v0
	v_readfirstlane_b32 s2, v11
	v_readfirstlane_b32 s3, v12
	ds_read_b32 v16, v15
	s_waitcnt lgkmcnt(0)
	global_store_dword v15, v16, s[2:3]
.LBB357_163:
	s_or_b32 exec_lo, exec_lo, s1
	v_or_b32_e32 v15, 0x100, v0
	s_mov_b32 s1, exec_lo
	v_cmpx_ge_u32_e64 v15, v5
	s_xor_b32 s1, exec_lo, s1
	s_cbranch_execz .LBB357_169
; %bb.164:
	s_mov_b32 s2, exec_lo
	v_cmpx_ge_u32_e64 v15, v14
	s_xor_b32 s2, exec_lo, s2
	s_cbranch_execz .LBB357_166
; %bb.165:
	v_lshlrev_b32_e32 v15, 2, v0
	ds_read_b32 v17, v15 offset:1024
	v_add_co_u32 v15, vcc_lo, v7, v0
	v_add_co_ci_u32_e64 v16, null, 0, v13, vcc_lo
	v_lshlrev_b64 v[15:16], 2, v[15:16]
	v_sub_co_u32 v15, vcc_lo, s14, v15
	v_sub_co_ci_u32_e64 v16, null, s15, v16, vcc_lo
	s_waitcnt lgkmcnt(0)
	global_store_dword v[15:16], v17, off offset:-1028
.LBB357_166:
	s_andn2_saveexec_b32 s2, s2
	s_cbranch_execz .LBB357_168
; %bb.167:
	v_lshlrev_b32_e32 v15, 2, v0
	v_readfirstlane_b32 s6, v9
	v_readfirstlane_b32 s7, v10
	ds_read_b32 v16, v15 offset:1024
	s_waitcnt lgkmcnt(0)
	global_store_dword v15, v16, s[6:7] offset:1024
.LBB357_168:
	s_or_b32 exec_lo, exec_lo, s2
.LBB357_169:
	s_andn2_saveexec_b32 s1, s1
	s_cbranch_execz .LBB357_171
; %bb.170:
	v_lshlrev_b32_e32 v15, 2, v0
	v_readfirstlane_b32 s2, v11
	v_readfirstlane_b32 s3, v12
	ds_read_b32 v16, v15 offset:1024
	s_waitcnt lgkmcnt(0)
	global_store_dword v15, v16, s[2:3] offset:1024
.LBB357_171:
	s_or_b32 exec_lo, exec_lo, s1
	v_or_b32_e32 v15, 0x200, v0
	s_mov_b32 s1, exec_lo
	v_cmpx_ge_u32_e64 v15, v5
	s_xor_b32 s1, exec_lo, s1
	s_cbranch_execz .LBB357_177
; %bb.172:
	s_mov_b32 s2, exec_lo
	v_cmpx_ge_u32_e64 v15, v14
	s_xor_b32 s2, exec_lo, s2
	s_cbranch_execz .LBB357_174
; %bb.173:
	v_lshlrev_b32_e32 v17, 2, v0
	v_add_co_u32 v15, vcc_lo, v7, v0
	v_add_co_ci_u32_e64 v16, null, 0, v13, vcc_lo
	ds_read_b32 v17, v17 offset:2048
	v_lshlrev_b64 v[15:16], 2, v[15:16]
	v_sub_co_u32 v15, vcc_lo, s14, v15
	v_sub_co_ci_u32_e64 v16, null, s15, v16, vcc_lo
	v_add_co_u32 v15, vcc_lo, 0xfffff800, v15
	v_add_co_ci_u32_e64 v16, null, -1, v16, vcc_lo
	s_waitcnt lgkmcnt(0)
	global_store_dword v[15:16], v17, off offset:-4
                                        ; implicit-def: $vgpr15
.LBB357_174:
	s_andn2_saveexec_b32 s2, s2
	s_cbranch_execz .LBB357_176
; %bb.175:
	v_lshlrev_b32_e32 v16, 2, v0
	v_lshlrev_b32_e32 v15, 2, v15
	v_readfirstlane_b32 s6, v9
	v_readfirstlane_b32 s7, v10
	ds_read_b32 v16, v16 offset:2048
	s_waitcnt lgkmcnt(0)
	global_store_dword v15, v16, s[6:7]
.LBB357_176:
	s_or_b32 exec_lo, exec_lo, s2
                                        ; implicit-def: $vgpr15
.LBB357_177:
	s_andn2_saveexec_b32 s1, s1
	s_cbranch_execz .LBB357_179
; %bb.178:
	v_lshlrev_b32_e32 v16, 2, v0
	v_lshlrev_b32_e32 v15, 2, v15
	v_readfirstlane_b32 s2, v11
	v_readfirstlane_b32 s3, v12
	ds_read_b32 v16, v16 offset:2048
	s_waitcnt lgkmcnt(0)
	global_store_dword v15, v16, s[2:3]
.LBB357_179:
	s_or_b32 exec_lo, exec_lo, s1
	v_or_b32_e32 v15, 0x300, v0
	s_mov_b32 s1, exec_lo
	v_cmpx_ge_u32_e64 v15, v5
	s_xor_b32 s1, exec_lo, s1
	s_cbranch_execz .LBB357_185
; %bb.180:
	s_mov_b32 s2, exec_lo
	v_cmpx_ge_u32_e64 v15, v14
	s_xor_b32 s2, exec_lo, s2
	s_cbranch_execz .LBB357_182
; %bb.181:
	v_lshlrev_b32_e32 v16, 2, v0
	v_add_co_u32 v15, vcc_lo, v7, v15
	ds_read_b32 v17, v16 offset:3072
	v_add_co_ci_u32_e64 v16, null, 0, v13, vcc_lo
	v_lshlrev_b64 v[15:16], 2, v[15:16]
	v_sub_co_u32 v15, vcc_lo, s14, v15
	v_sub_co_ci_u32_e64 v16, null, s15, v16, vcc_lo
	s_waitcnt lgkmcnt(0)
	global_store_dword v[15:16], v17, off offset:-4
                                        ; implicit-def: $vgpr15
.LBB357_182:
	s_andn2_saveexec_b32 s2, s2
	s_cbranch_execz .LBB357_184
; %bb.183:
	v_lshlrev_b32_e32 v16, 2, v0
	v_lshlrev_b32_e32 v15, 2, v15
	v_readfirstlane_b32 s6, v9
	v_readfirstlane_b32 s7, v10
	ds_read_b32 v16, v16 offset:3072
	s_waitcnt lgkmcnt(0)
	global_store_dword v15, v16, s[6:7]
.LBB357_184:
	s_or_b32 exec_lo, exec_lo, s2
                                        ; implicit-def: $vgpr15
.LBB357_185:
	s_andn2_saveexec_b32 s1, s1
	s_cbranch_execz .LBB357_187
; %bb.186:
	v_lshlrev_b32_e32 v16, 2, v0
	v_lshlrev_b32_e32 v15, 2, v15
	v_readfirstlane_b32 s2, v11
	v_readfirstlane_b32 s3, v12
	ds_read_b32 v16, v16 offset:3072
	s_waitcnt lgkmcnt(0)
	global_store_dword v15, v16, s[2:3]
.LBB357_187:
	s_or_b32 exec_lo, exec_lo, s1
	v_or_b32_e32 v15, 0x400, v0
	s_mov_b32 s1, exec_lo
	v_cmpx_ge_u32_e64 v15, v5
	s_xor_b32 s1, exec_lo, s1
	s_cbranch_execz .LBB357_193
; %bb.188:
	s_mov_b32 s2, exec_lo
	v_cmpx_ge_u32_e64 v15, v14
	s_xor_b32 s2, exec_lo, s2
	s_cbranch_execz .LBB357_190
; %bb.189:
	v_lshlrev_b32_e32 v16, 2, v0
	v_add_co_u32 v15, vcc_lo, v7, v15
	ds_read_b32 v17, v16 offset:4096
	v_add_co_ci_u32_e64 v16, null, 0, v13, vcc_lo
	v_lshlrev_b64 v[15:16], 2, v[15:16]
	v_sub_co_u32 v15, vcc_lo, s14, v15
	v_sub_co_ci_u32_e64 v16, null, s15, v16, vcc_lo
	s_waitcnt lgkmcnt(0)
	global_store_dword v[15:16], v17, off offset:-4
                                        ; implicit-def: $vgpr15
.LBB357_190:
	s_andn2_saveexec_b32 s2, s2
	s_cbranch_execz .LBB357_192
; %bb.191:
	v_lshlrev_b32_e32 v16, 2, v0
	v_lshlrev_b32_e32 v15, 2, v15
	v_readfirstlane_b32 s6, v9
	v_readfirstlane_b32 s7, v10
	ds_read_b32 v16, v16 offset:4096
	s_waitcnt lgkmcnt(0)
	global_store_dword v15, v16, s[6:7]
.LBB357_192:
	s_or_b32 exec_lo, exec_lo, s2
                                        ; implicit-def: $vgpr15
.LBB357_193:
	;; [unrolled: 48-line block ×10, first 2 shown]
	s_andn2_saveexec_b32 s1, s1
	s_cbranch_execz .LBB357_259
; %bb.258:
	v_lshlrev_b32_e32 v16, 2, v0
	v_lshlrev_b32_e32 v15, 2, v15
	v_readfirstlane_b32 s2, v11
	v_readfirstlane_b32 s3, v12
	ds_read_b32 v16, v16 offset:12288
	s_waitcnt lgkmcnt(0)
	global_store_dword v15, v16, s[2:3]
.LBB357_259:
	s_or_b32 exec_lo, exec_lo, s1
	s_branch .LBB357_153
.LBB357_260:
	s_mov_b32 s1, exec_lo
	v_cmpx_gt_u32_e64 s5, v0
	s_cbranch_execz .LBB357_269
; %bb.261:
	s_mov_b32 s2, exec_lo
	v_cmpx_ge_u32_e64 v0, v5
	s_xor_b32 s2, exec_lo, s2
	s_cbranch_execz .LBB357_267
; %bb.262:
	s_mov_b32 s3, exec_lo
	v_cmpx_ge_u32_e64 v0, v14
	s_xor_b32 s3, exec_lo, s3
	s_cbranch_execz .LBB357_264
; %bb.263:
	v_lshlrev_b32_e32 v15, 2, v0
	ds_read_b32 v17, v15
	v_add_co_u32 v15, vcc_lo, v7, v0
	v_add_co_ci_u32_e64 v16, null, 0, v13, vcc_lo
	v_lshlrev_b64 v[15:16], 2, v[15:16]
	v_sub_co_u32 v15, vcc_lo, s14, v15
	v_sub_co_ci_u32_e64 v16, null, s15, v16, vcc_lo
	s_waitcnt lgkmcnt(0)
	global_store_dword v[15:16], v17, off offset:-4
.LBB357_264:
	s_andn2_saveexec_b32 s3, s3
	s_cbranch_execz .LBB357_266
; %bb.265:
	v_lshlrev_b32_e32 v15, 2, v0
	v_readfirstlane_b32 s6, v9
	v_readfirstlane_b32 s7, v10
	ds_read_b32 v16, v15
	s_waitcnt lgkmcnt(0)
	global_store_dword v15, v16, s[6:7]
.LBB357_266:
	s_or_b32 exec_lo, exec_lo, s3
.LBB357_267:
	s_andn2_saveexec_b32 s2, s2
	s_cbranch_execz .LBB357_269
; %bb.268:
	v_lshlrev_b32_e32 v15, 2, v0
	v_readfirstlane_b32 s2, v11
	v_readfirstlane_b32 s3, v12
	ds_read_b32 v16, v15
	s_waitcnt lgkmcnt(0)
	global_store_dword v15, v16, s[2:3]
.LBB357_269:
	s_or_b32 exec_lo, exec_lo, s1
	v_or_b32_e32 v15, 0x100, v0
	s_mov_b32 s1, exec_lo
	v_cmpx_gt_u32_e64 s5, v15
	s_cbranch_execz .LBB357_278
; %bb.270:
	s_mov_b32 s2, exec_lo
	v_cmpx_ge_u32_e64 v15, v5
	s_xor_b32 s2, exec_lo, s2
	s_cbranch_execz .LBB357_276
; %bb.271:
	s_mov_b32 s3, exec_lo
	v_cmpx_ge_u32_e64 v15, v14
	s_xor_b32 s3, exec_lo, s3
	s_cbranch_execz .LBB357_273
; %bb.272:
	v_lshlrev_b32_e32 v15, 2, v0
	ds_read_b32 v17, v15 offset:1024
	v_add_co_u32 v15, vcc_lo, v7, v0
	v_add_co_ci_u32_e64 v16, null, 0, v13, vcc_lo
	v_lshlrev_b64 v[15:16], 2, v[15:16]
	v_sub_co_u32 v15, vcc_lo, s14, v15
	v_sub_co_ci_u32_e64 v16, null, s15, v16, vcc_lo
	s_waitcnt lgkmcnt(0)
	global_store_dword v[15:16], v17, off offset:-1028
.LBB357_273:
	s_andn2_saveexec_b32 s3, s3
	s_cbranch_execz .LBB357_275
; %bb.274:
	v_lshlrev_b32_e32 v15, 2, v0
	v_readfirstlane_b32 s6, v9
	v_readfirstlane_b32 s7, v10
	ds_read_b32 v16, v15 offset:1024
	s_waitcnt lgkmcnt(0)
	global_store_dword v15, v16, s[6:7] offset:1024
.LBB357_275:
	s_or_b32 exec_lo, exec_lo, s3
.LBB357_276:
	s_andn2_saveexec_b32 s2, s2
	s_cbranch_execz .LBB357_278
; %bb.277:
	v_lshlrev_b32_e32 v15, 2, v0
	v_readfirstlane_b32 s2, v11
	v_readfirstlane_b32 s3, v12
	ds_read_b32 v16, v15 offset:1024
	s_waitcnt lgkmcnt(0)
	global_store_dword v15, v16, s[2:3] offset:1024
.LBB357_278:
	s_or_b32 exec_lo, exec_lo, s1
	v_or_b32_e32 v15, 0x200, v0
	s_mov_b32 s1, exec_lo
	v_cmpx_gt_u32_e64 s5, v15
	s_cbranch_execz .LBB357_287
; %bb.279:
	s_mov_b32 s2, exec_lo
	v_cmpx_ge_u32_e64 v15, v5
	s_xor_b32 s2, exec_lo, s2
	s_cbranch_execz .LBB357_285
; %bb.280:
	s_mov_b32 s3, exec_lo
	v_cmpx_ge_u32_e64 v15, v14
	s_xor_b32 s3, exec_lo, s3
	s_cbranch_execz .LBB357_282
; %bb.281:
	v_lshlrev_b32_e32 v17, 2, v0
	v_add_co_u32 v15, vcc_lo, v7, v0
	v_add_co_ci_u32_e64 v16, null, 0, v13, vcc_lo
	ds_read_b32 v17, v17 offset:2048
	v_lshlrev_b64 v[15:16], 2, v[15:16]
	v_sub_co_u32 v15, vcc_lo, s14, v15
	v_sub_co_ci_u32_e64 v16, null, s15, v16, vcc_lo
	v_add_co_u32 v15, vcc_lo, 0xfffff800, v15
	v_add_co_ci_u32_e64 v16, null, -1, v16, vcc_lo
	s_waitcnt lgkmcnt(0)
	global_store_dword v[15:16], v17, off offset:-4
                                        ; implicit-def: $vgpr15
.LBB357_282:
	s_andn2_saveexec_b32 s3, s3
	s_cbranch_execz .LBB357_284
; %bb.283:
	v_lshlrev_b32_e32 v16, 2, v0
	v_lshlrev_b32_e32 v15, 2, v15
	v_readfirstlane_b32 s6, v9
	v_readfirstlane_b32 s7, v10
	ds_read_b32 v16, v16 offset:2048
	s_waitcnt lgkmcnt(0)
	global_store_dword v15, v16, s[6:7]
.LBB357_284:
	s_or_b32 exec_lo, exec_lo, s3
                                        ; implicit-def: $vgpr15
.LBB357_285:
	s_andn2_saveexec_b32 s2, s2
	s_cbranch_execz .LBB357_287
; %bb.286:
	v_lshlrev_b32_e32 v16, 2, v0
	v_lshlrev_b32_e32 v15, 2, v15
	v_readfirstlane_b32 s2, v11
	v_readfirstlane_b32 s3, v12
	ds_read_b32 v16, v16 offset:2048
	s_waitcnt lgkmcnt(0)
	global_store_dword v15, v16, s[2:3]
.LBB357_287:
	s_or_b32 exec_lo, exec_lo, s1
	v_or_b32_e32 v15, 0x300, v0
	s_mov_b32 s1, exec_lo
	v_cmpx_gt_u32_e64 s5, v15
	s_cbranch_execz .LBB357_296
; %bb.288:
	s_mov_b32 s2, exec_lo
	v_cmpx_ge_u32_e64 v15, v5
	s_xor_b32 s2, exec_lo, s2
	s_cbranch_execz .LBB357_294
; %bb.289:
	s_mov_b32 s3, exec_lo
	v_cmpx_ge_u32_e64 v15, v14
	s_xor_b32 s3, exec_lo, s3
	s_cbranch_execz .LBB357_291
; %bb.290:
	v_lshlrev_b32_e32 v16, 2, v0
	v_add_co_u32 v15, vcc_lo, v7, v15
	ds_read_b32 v17, v16 offset:3072
	v_add_co_ci_u32_e64 v16, null, 0, v13, vcc_lo
	v_lshlrev_b64 v[15:16], 2, v[15:16]
	v_sub_co_u32 v15, vcc_lo, s14, v15
	v_sub_co_ci_u32_e64 v16, null, s15, v16, vcc_lo
	s_waitcnt lgkmcnt(0)
	global_store_dword v[15:16], v17, off offset:-4
                                        ; implicit-def: $vgpr15
.LBB357_291:
	s_andn2_saveexec_b32 s3, s3
	s_cbranch_execz .LBB357_293
; %bb.292:
	v_lshlrev_b32_e32 v16, 2, v0
	v_lshlrev_b32_e32 v15, 2, v15
	v_readfirstlane_b32 s6, v9
	v_readfirstlane_b32 s7, v10
	ds_read_b32 v16, v16 offset:3072
	s_waitcnt lgkmcnt(0)
	global_store_dword v15, v16, s[6:7]
.LBB357_293:
	s_or_b32 exec_lo, exec_lo, s3
                                        ; implicit-def: $vgpr15
.LBB357_294:
	s_andn2_saveexec_b32 s2, s2
	s_cbranch_execz .LBB357_296
; %bb.295:
	v_lshlrev_b32_e32 v16, 2, v0
	v_lshlrev_b32_e32 v15, 2, v15
	v_readfirstlane_b32 s2, v11
	v_readfirstlane_b32 s3, v12
	ds_read_b32 v16, v16 offset:3072
	s_waitcnt lgkmcnt(0)
	global_store_dword v15, v16, s[2:3]
.LBB357_296:
	s_or_b32 exec_lo, exec_lo, s1
	v_or_b32_e32 v15, 0x400, v0
	s_mov_b32 s1, exec_lo
	v_cmpx_gt_u32_e64 s5, v15
	s_cbranch_execz .LBB357_305
; %bb.297:
	s_mov_b32 s2, exec_lo
	v_cmpx_ge_u32_e64 v15, v5
	s_xor_b32 s2, exec_lo, s2
	s_cbranch_execz .LBB357_303
; %bb.298:
	s_mov_b32 s3, exec_lo
	v_cmpx_ge_u32_e64 v15, v14
	s_xor_b32 s3, exec_lo, s3
	s_cbranch_execz .LBB357_300
; %bb.299:
	v_lshlrev_b32_e32 v16, 2, v0
	v_add_co_u32 v15, vcc_lo, v7, v15
	ds_read_b32 v17, v16 offset:4096
	v_add_co_ci_u32_e64 v16, null, 0, v13, vcc_lo
	v_lshlrev_b64 v[15:16], 2, v[15:16]
	v_sub_co_u32 v15, vcc_lo, s14, v15
	v_sub_co_ci_u32_e64 v16, null, s15, v16, vcc_lo
	s_waitcnt lgkmcnt(0)
	global_store_dword v[15:16], v17, off offset:-4
                                        ; implicit-def: $vgpr15
.LBB357_300:
	s_andn2_saveexec_b32 s3, s3
	s_cbranch_execz .LBB357_302
; %bb.301:
	v_lshlrev_b32_e32 v16, 2, v0
	v_lshlrev_b32_e32 v15, 2, v15
	v_readfirstlane_b32 s6, v9
	v_readfirstlane_b32 s7, v10
	ds_read_b32 v16, v16 offset:4096
	s_waitcnt lgkmcnt(0)
	global_store_dword v15, v16, s[6:7]
.LBB357_302:
	s_or_b32 exec_lo, exec_lo, s3
                                        ; implicit-def: $vgpr15
.LBB357_303:
	s_andn2_saveexec_b32 s2, s2
	s_cbranch_execz .LBB357_305
; %bb.304:
	v_lshlrev_b32_e32 v16, 2, v0
	v_lshlrev_b32_e32 v15, 2, v15
	v_readfirstlane_b32 s2, v11
	v_readfirstlane_b32 s3, v12
	ds_read_b32 v16, v16 offset:4096
	s_waitcnt lgkmcnt(0)
	global_store_dword v15, v16, s[2:3]
.LBB357_305:
	;; [unrolled: 52-line block ×9, first 2 shown]
	s_or_b32 exec_lo, exec_lo, s1
	v_or_b32_e32 v15, 0xc00, v0
	s_mov_b32 s1, exec_lo
	v_cmpx_gt_u32_e64 s5, v15
	s_cbranch_execz .LBB357_377
; %bb.369:
	s_mov_b32 s2, exec_lo
	v_cmpx_ge_u32_e64 v15, v5
	s_xor_b32 s2, exec_lo, s2
	s_cbranch_execz .LBB357_375
; %bb.370:
	s_mov_b32 s3, exec_lo
	v_cmpx_ge_u32_e64 v15, v14
	s_xor_b32 s3, exec_lo, s3
	s_cbranch_execz .LBB357_372
; %bb.371:
	v_lshlrev_b32_e32 v0, 2, v0
	v_add_co_u32 v9, vcc_lo, v7, v15
	v_add_co_ci_u32_e64 v10, null, 0, v13, vcc_lo
	ds_read_b32 v0, v0 offset:12288
                                        ; implicit-def: $vgpr15
	v_lshlrev_b64 v[9:10], 2, v[9:10]
	v_sub_co_u32 v9, vcc_lo, s14, v9
	v_sub_co_ci_u32_e64 v10, null, s15, v10, vcc_lo
	s_waitcnt lgkmcnt(0)
	global_store_dword v[9:10], v0, off offset:-4
                                        ; implicit-def: $vgpr0
                                        ; implicit-def: $vgpr9_vgpr10
.LBB357_372:
	s_andn2_saveexec_b32 s3, s3
	s_cbranch_execz .LBB357_374
; %bb.373:
	v_lshlrev_b32_e32 v0, 2, v0
	v_lshlrev_b32_e32 v7, 2, v15
	v_readfirstlane_b32 s4, v9
	v_readfirstlane_b32 s5, v10
	ds_read_b32 v0, v0 offset:12288
	s_waitcnt lgkmcnt(0)
	global_store_dword v7, v0, s[4:5]
.LBB357_374:
	s_or_b32 exec_lo, exec_lo, s3
                                        ; implicit-def: $vgpr0
                                        ; implicit-def: $vgpr15
                                        ; implicit-def: $vgpr11_vgpr12
.LBB357_375:
	s_andn2_saveexec_b32 s2, s2
	s_cbranch_execz .LBB357_377
; %bb.376:
	v_lshlrev_b32_e32 v0, 2, v0
	v_lshlrev_b32_e32 v7, 2, v15
	v_readfirstlane_b32 s2, v11
	v_readfirstlane_b32 s3, v12
	ds_read_b32 v0, v0 offset:12288
	s_waitcnt lgkmcnt(0)
	global_store_dword v7, v0, s[2:3]
.LBB357_377:
	s_or_b32 exec_lo, exec_lo, s1
	s_and_b32 s0, s0, s26
	s_and_saveexec_b32 s1, s0
	s_cbranch_execz .LBB357_154
.LBB357_378:
	v_add_co_u32 v0, vcc_lo, v3, v6
	v_add_co_ci_u32_e64 v4, null, 0, v4, vcc_lo
	v_mov_b32_e32 v6, 0
	v_add_co_u32 v3, vcc_lo, v0, v8
	v_add_co_ci_u32_e64 v4, null, 0, v4, vcc_lo
	v_add_co_u32 v1, vcc_lo, v1, v5
	v_add_co_ci_u32_e64 v2, null, 0, v2, vcc_lo
	global_store_dwordx4 v6, v[1:4], s[24:25]
	s_endpgm
.LBB357_379:
	s_add_i32 s8, s27, 32
	s_mov_b32 s9, 0
	v_add_nc_u32_e32 v10, v8, v6
	s_lshl_b64 s[8:9], s[8:9], 4
	v_add_nc_u32_e32 v9, v7, v5
	s_add_u32 s8, s36, s8
	s_addc_u32 s9, s37, s9
	v_mov_b32_e32 v11, 2
	v_mov_b32_e32 v28, s9
	;; [unrolled: 1-line block ×4, first 2 shown]
	;;#ASMSTART
	global_store_dwordx4 v[27:28], v[9:12] off	
s_waitcnt vmcnt(0)
	;;#ASMEND
	s_or_b32 exec_lo, exec_lo, s6
	s_and_saveexec_b32 s6, s3
	s_cbranch_execz .LBB357_139
.LBB357_380:
	v_mov_b32_e32 v9, 0
	ds_write_b128 v9, v[5:8] offset:13312
	s_or_b32 exec_lo, exec_lo, s6
	s_and_b32 exec_lo, exec_lo, s0
	s_cbranch_execnz .LBB357_140
	s_branch .LBB357_141
	.section	.rodata,"a",@progbits
	.p2align	6, 0x0
	.amdhsa_kernel _ZN7rocprim17ROCPRIM_400000_NS6detail17trampoline_kernelINS0_13select_configILj256ELj13ELNS0_17block_load_methodE3ELS4_3ELS4_3ELNS0_20block_scan_algorithmE0ELj4294967295EEENS1_25partition_config_selectorILNS1_17partition_subalgoE4EjNS0_10empty_typeEbEEZZNS1_14partition_implILS8_4ELb0ES6_15HIP_vector_typeIjLj2EENS0_17counting_iteratorIjlEEPS9_SG_NS0_5tupleIJPjSI_NS0_16reverse_iteratorISI_EEEEENSH_IJSG_SG_SG_EEES9_SI_JZNS1_25segmented_radix_sort_implINS0_14default_configELb0EPKaPaPKlPlN2at6native12_GLOBAL__N_18offset_tEEE10hipError_tPvRmT1_PNSt15iterator_traitsIS12_E10value_typeET2_T3_PNS13_IS18_E10value_typeET4_jRbjT5_S1E_jjP12ihipStream_tbEUljE_ZNSN_ISO_Lb0ESQ_SR_ST_SU_SY_EESZ_S10_S11_S12_S16_S17_S18_S1B_S1C_jS1D_jS1E_S1E_jjS1G_bEUljE0_EEESZ_S10_S11_S18_S1C_S1E_T6_T7_T9_mT8_S1G_bDpT10_ENKUlT_T0_E_clISt17integral_constantIbLb0EES1T_IbLb1EEEEDaS1P_S1Q_EUlS1P_E_NS1_11comp_targetILNS1_3genE8ELNS1_11target_archE1030ELNS1_3gpuE2ELNS1_3repE0EEENS1_30default_config_static_selectorELNS0_4arch9wavefront6targetE0EEEvS12_
		.amdhsa_group_segment_fixed_size 13328
		.amdhsa_private_segment_fixed_size 0
		.amdhsa_kernarg_size 184
		.amdhsa_user_sgpr_count 6
		.amdhsa_user_sgpr_private_segment_buffer 1
		.amdhsa_user_sgpr_dispatch_ptr 0
		.amdhsa_user_sgpr_queue_ptr 0
		.amdhsa_user_sgpr_kernarg_segment_ptr 1
		.amdhsa_user_sgpr_dispatch_id 0
		.amdhsa_user_sgpr_flat_scratch_init 0
		.amdhsa_user_sgpr_private_segment_size 0
		.amdhsa_wavefront_size32 1
		.amdhsa_uses_dynamic_stack 0
		.amdhsa_system_sgpr_private_segment_wavefront_offset 0
		.amdhsa_system_sgpr_workgroup_id_x 1
		.amdhsa_system_sgpr_workgroup_id_y 0
		.amdhsa_system_sgpr_workgroup_id_z 0
		.amdhsa_system_sgpr_workgroup_info 0
		.amdhsa_system_vgpr_workitem_id 0
		.amdhsa_next_free_vgpr 87
		.amdhsa_next_free_sgpr 55
		.amdhsa_reserve_vcc 1
		.amdhsa_reserve_flat_scratch 0
		.amdhsa_float_round_mode_32 0
		.amdhsa_float_round_mode_16_64 0
		.amdhsa_float_denorm_mode_32 3
		.amdhsa_float_denorm_mode_16_64 3
		.amdhsa_dx10_clamp 1
		.amdhsa_ieee_mode 1
		.amdhsa_fp16_overflow 0
		.amdhsa_workgroup_processor_mode 1
		.amdhsa_memory_ordered 1
		.amdhsa_forward_progress 1
		.amdhsa_shared_vgpr_count 0
		.amdhsa_exception_fp_ieee_invalid_op 0
		.amdhsa_exception_fp_denorm_src 0
		.amdhsa_exception_fp_ieee_div_zero 0
		.amdhsa_exception_fp_ieee_overflow 0
		.amdhsa_exception_fp_ieee_underflow 0
		.amdhsa_exception_fp_ieee_inexact 0
		.amdhsa_exception_int_div_zero 0
	.end_amdhsa_kernel
	.section	.text._ZN7rocprim17ROCPRIM_400000_NS6detail17trampoline_kernelINS0_13select_configILj256ELj13ELNS0_17block_load_methodE3ELS4_3ELS4_3ELNS0_20block_scan_algorithmE0ELj4294967295EEENS1_25partition_config_selectorILNS1_17partition_subalgoE4EjNS0_10empty_typeEbEEZZNS1_14partition_implILS8_4ELb0ES6_15HIP_vector_typeIjLj2EENS0_17counting_iteratorIjlEEPS9_SG_NS0_5tupleIJPjSI_NS0_16reverse_iteratorISI_EEEEENSH_IJSG_SG_SG_EEES9_SI_JZNS1_25segmented_radix_sort_implINS0_14default_configELb0EPKaPaPKlPlN2at6native12_GLOBAL__N_18offset_tEEE10hipError_tPvRmT1_PNSt15iterator_traitsIS12_E10value_typeET2_T3_PNS13_IS18_E10value_typeET4_jRbjT5_S1E_jjP12ihipStream_tbEUljE_ZNSN_ISO_Lb0ESQ_SR_ST_SU_SY_EESZ_S10_S11_S12_S16_S17_S18_S1B_S1C_jS1D_jS1E_S1E_jjS1G_bEUljE0_EEESZ_S10_S11_S18_S1C_S1E_T6_T7_T9_mT8_S1G_bDpT10_ENKUlT_T0_E_clISt17integral_constantIbLb0EES1T_IbLb1EEEEDaS1P_S1Q_EUlS1P_E_NS1_11comp_targetILNS1_3genE8ELNS1_11target_archE1030ELNS1_3gpuE2ELNS1_3repE0EEENS1_30default_config_static_selectorELNS0_4arch9wavefront6targetE0EEEvS12_,"axG",@progbits,_ZN7rocprim17ROCPRIM_400000_NS6detail17trampoline_kernelINS0_13select_configILj256ELj13ELNS0_17block_load_methodE3ELS4_3ELS4_3ELNS0_20block_scan_algorithmE0ELj4294967295EEENS1_25partition_config_selectorILNS1_17partition_subalgoE4EjNS0_10empty_typeEbEEZZNS1_14partition_implILS8_4ELb0ES6_15HIP_vector_typeIjLj2EENS0_17counting_iteratorIjlEEPS9_SG_NS0_5tupleIJPjSI_NS0_16reverse_iteratorISI_EEEEENSH_IJSG_SG_SG_EEES9_SI_JZNS1_25segmented_radix_sort_implINS0_14default_configELb0EPKaPaPKlPlN2at6native12_GLOBAL__N_18offset_tEEE10hipError_tPvRmT1_PNSt15iterator_traitsIS12_E10value_typeET2_T3_PNS13_IS18_E10value_typeET4_jRbjT5_S1E_jjP12ihipStream_tbEUljE_ZNSN_ISO_Lb0ESQ_SR_ST_SU_SY_EESZ_S10_S11_S12_S16_S17_S18_S1B_S1C_jS1D_jS1E_S1E_jjS1G_bEUljE0_EEESZ_S10_S11_S18_S1C_S1E_T6_T7_T9_mT8_S1G_bDpT10_ENKUlT_T0_E_clISt17integral_constantIbLb0EES1T_IbLb1EEEEDaS1P_S1Q_EUlS1P_E_NS1_11comp_targetILNS1_3genE8ELNS1_11target_archE1030ELNS1_3gpuE2ELNS1_3repE0EEENS1_30default_config_static_selectorELNS0_4arch9wavefront6targetE0EEEvS12_,comdat
.Lfunc_end357:
	.size	_ZN7rocprim17ROCPRIM_400000_NS6detail17trampoline_kernelINS0_13select_configILj256ELj13ELNS0_17block_load_methodE3ELS4_3ELS4_3ELNS0_20block_scan_algorithmE0ELj4294967295EEENS1_25partition_config_selectorILNS1_17partition_subalgoE4EjNS0_10empty_typeEbEEZZNS1_14partition_implILS8_4ELb0ES6_15HIP_vector_typeIjLj2EENS0_17counting_iteratorIjlEEPS9_SG_NS0_5tupleIJPjSI_NS0_16reverse_iteratorISI_EEEEENSH_IJSG_SG_SG_EEES9_SI_JZNS1_25segmented_radix_sort_implINS0_14default_configELb0EPKaPaPKlPlN2at6native12_GLOBAL__N_18offset_tEEE10hipError_tPvRmT1_PNSt15iterator_traitsIS12_E10value_typeET2_T3_PNS13_IS18_E10value_typeET4_jRbjT5_S1E_jjP12ihipStream_tbEUljE_ZNSN_ISO_Lb0ESQ_SR_ST_SU_SY_EESZ_S10_S11_S12_S16_S17_S18_S1B_S1C_jS1D_jS1E_S1E_jjS1G_bEUljE0_EEESZ_S10_S11_S18_S1C_S1E_T6_T7_T9_mT8_S1G_bDpT10_ENKUlT_T0_E_clISt17integral_constantIbLb0EES1T_IbLb1EEEEDaS1P_S1Q_EUlS1P_E_NS1_11comp_targetILNS1_3genE8ELNS1_11target_archE1030ELNS1_3gpuE2ELNS1_3repE0EEENS1_30default_config_static_selectorELNS0_4arch9wavefront6targetE0EEEvS12_, .Lfunc_end357-_ZN7rocprim17ROCPRIM_400000_NS6detail17trampoline_kernelINS0_13select_configILj256ELj13ELNS0_17block_load_methodE3ELS4_3ELS4_3ELNS0_20block_scan_algorithmE0ELj4294967295EEENS1_25partition_config_selectorILNS1_17partition_subalgoE4EjNS0_10empty_typeEbEEZZNS1_14partition_implILS8_4ELb0ES6_15HIP_vector_typeIjLj2EENS0_17counting_iteratorIjlEEPS9_SG_NS0_5tupleIJPjSI_NS0_16reverse_iteratorISI_EEEEENSH_IJSG_SG_SG_EEES9_SI_JZNS1_25segmented_radix_sort_implINS0_14default_configELb0EPKaPaPKlPlN2at6native12_GLOBAL__N_18offset_tEEE10hipError_tPvRmT1_PNSt15iterator_traitsIS12_E10value_typeET2_T3_PNS13_IS18_E10value_typeET4_jRbjT5_S1E_jjP12ihipStream_tbEUljE_ZNSN_ISO_Lb0ESQ_SR_ST_SU_SY_EESZ_S10_S11_S12_S16_S17_S18_S1B_S1C_jS1D_jS1E_S1E_jjS1G_bEUljE0_EEESZ_S10_S11_S18_S1C_S1E_T6_T7_T9_mT8_S1G_bDpT10_ENKUlT_T0_E_clISt17integral_constantIbLb0EES1T_IbLb1EEEEDaS1P_S1Q_EUlS1P_E_NS1_11comp_targetILNS1_3genE8ELNS1_11target_archE1030ELNS1_3gpuE2ELNS1_3repE0EEENS1_30default_config_static_selectorELNS0_4arch9wavefront6targetE0EEEvS12_
                                        ; -- End function
	.set _ZN7rocprim17ROCPRIM_400000_NS6detail17trampoline_kernelINS0_13select_configILj256ELj13ELNS0_17block_load_methodE3ELS4_3ELS4_3ELNS0_20block_scan_algorithmE0ELj4294967295EEENS1_25partition_config_selectorILNS1_17partition_subalgoE4EjNS0_10empty_typeEbEEZZNS1_14partition_implILS8_4ELb0ES6_15HIP_vector_typeIjLj2EENS0_17counting_iteratorIjlEEPS9_SG_NS0_5tupleIJPjSI_NS0_16reverse_iteratorISI_EEEEENSH_IJSG_SG_SG_EEES9_SI_JZNS1_25segmented_radix_sort_implINS0_14default_configELb0EPKaPaPKlPlN2at6native12_GLOBAL__N_18offset_tEEE10hipError_tPvRmT1_PNSt15iterator_traitsIS12_E10value_typeET2_T3_PNS13_IS18_E10value_typeET4_jRbjT5_S1E_jjP12ihipStream_tbEUljE_ZNSN_ISO_Lb0ESQ_SR_ST_SU_SY_EESZ_S10_S11_S12_S16_S17_S18_S1B_S1C_jS1D_jS1E_S1E_jjS1G_bEUljE0_EEESZ_S10_S11_S18_S1C_S1E_T6_T7_T9_mT8_S1G_bDpT10_ENKUlT_T0_E_clISt17integral_constantIbLb0EES1T_IbLb1EEEEDaS1P_S1Q_EUlS1P_E_NS1_11comp_targetILNS1_3genE8ELNS1_11target_archE1030ELNS1_3gpuE2ELNS1_3repE0EEENS1_30default_config_static_selectorELNS0_4arch9wavefront6targetE0EEEvS12_.num_vgpr, 87
	.set _ZN7rocprim17ROCPRIM_400000_NS6detail17trampoline_kernelINS0_13select_configILj256ELj13ELNS0_17block_load_methodE3ELS4_3ELS4_3ELNS0_20block_scan_algorithmE0ELj4294967295EEENS1_25partition_config_selectorILNS1_17partition_subalgoE4EjNS0_10empty_typeEbEEZZNS1_14partition_implILS8_4ELb0ES6_15HIP_vector_typeIjLj2EENS0_17counting_iteratorIjlEEPS9_SG_NS0_5tupleIJPjSI_NS0_16reverse_iteratorISI_EEEEENSH_IJSG_SG_SG_EEES9_SI_JZNS1_25segmented_radix_sort_implINS0_14default_configELb0EPKaPaPKlPlN2at6native12_GLOBAL__N_18offset_tEEE10hipError_tPvRmT1_PNSt15iterator_traitsIS12_E10value_typeET2_T3_PNS13_IS18_E10value_typeET4_jRbjT5_S1E_jjP12ihipStream_tbEUljE_ZNSN_ISO_Lb0ESQ_SR_ST_SU_SY_EESZ_S10_S11_S12_S16_S17_S18_S1B_S1C_jS1D_jS1E_S1E_jjS1G_bEUljE0_EEESZ_S10_S11_S18_S1C_S1E_T6_T7_T9_mT8_S1G_bDpT10_ENKUlT_T0_E_clISt17integral_constantIbLb0EES1T_IbLb1EEEEDaS1P_S1Q_EUlS1P_E_NS1_11comp_targetILNS1_3genE8ELNS1_11target_archE1030ELNS1_3gpuE2ELNS1_3repE0EEENS1_30default_config_static_selectorELNS0_4arch9wavefront6targetE0EEEvS12_.num_agpr, 0
	.set _ZN7rocprim17ROCPRIM_400000_NS6detail17trampoline_kernelINS0_13select_configILj256ELj13ELNS0_17block_load_methodE3ELS4_3ELS4_3ELNS0_20block_scan_algorithmE0ELj4294967295EEENS1_25partition_config_selectorILNS1_17partition_subalgoE4EjNS0_10empty_typeEbEEZZNS1_14partition_implILS8_4ELb0ES6_15HIP_vector_typeIjLj2EENS0_17counting_iteratorIjlEEPS9_SG_NS0_5tupleIJPjSI_NS0_16reverse_iteratorISI_EEEEENSH_IJSG_SG_SG_EEES9_SI_JZNS1_25segmented_radix_sort_implINS0_14default_configELb0EPKaPaPKlPlN2at6native12_GLOBAL__N_18offset_tEEE10hipError_tPvRmT1_PNSt15iterator_traitsIS12_E10value_typeET2_T3_PNS13_IS18_E10value_typeET4_jRbjT5_S1E_jjP12ihipStream_tbEUljE_ZNSN_ISO_Lb0ESQ_SR_ST_SU_SY_EESZ_S10_S11_S12_S16_S17_S18_S1B_S1C_jS1D_jS1E_S1E_jjS1G_bEUljE0_EEESZ_S10_S11_S18_S1C_S1E_T6_T7_T9_mT8_S1G_bDpT10_ENKUlT_T0_E_clISt17integral_constantIbLb0EES1T_IbLb1EEEEDaS1P_S1Q_EUlS1P_E_NS1_11comp_targetILNS1_3genE8ELNS1_11target_archE1030ELNS1_3gpuE2ELNS1_3repE0EEENS1_30default_config_static_selectorELNS0_4arch9wavefront6targetE0EEEvS12_.numbered_sgpr, 55
	.set _ZN7rocprim17ROCPRIM_400000_NS6detail17trampoline_kernelINS0_13select_configILj256ELj13ELNS0_17block_load_methodE3ELS4_3ELS4_3ELNS0_20block_scan_algorithmE0ELj4294967295EEENS1_25partition_config_selectorILNS1_17partition_subalgoE4EjNS0_10empty_typeEbEEZZNS1_14partition_implILS8_4ELb0ES6_15HIP_vector_typeIjLj2EENS0_17counting_iteratorIjlEEPS9_SG_NS0_5tupleIJPjSI_NS0_16reverse_iteratorISI_EEEEENSH_IJSG_SG_SG_EEES9_SI_JZNS1_25segmented_radix_sort_implINS0_14default_configELb0EPKaPaPKlPlN2at6native12_GLOBAL__N_18offset_tEEE10hipError_tPvRmT1_PNSt15iterator_traitsIS12_E10value_typeET2_T3_PNS13_IS18_E10value_typeET4_jRbjT5_S1E_jjP12ihipStream_tbEUljE_ZNSN_ISO_Lb0ESQ_SR_ST_SU_SY_EESZ_S10_S11_S12_S16_S17_S18_S1B_S1C_jS1D_jS1E_S1E_jjS1G_bEUljE0_EEESZ_S10_S11_S18_S1C_S1E_T6_T7_T9_mT8_S1G_bDpT10_ENKUlT_T0_E_clISt17integral_constantIbLb0EES1T_IbLb1EEEEDaS1P_S1Q_EUlS1P_E_NS1_11comp_targetILNS1_3genE8ELNS1_11target_archE1030ELNS1_3gpuE2ELNS1_3repE0EEENS1_30default_config_static_selectorELNS0_4arch9wavefront6targetE0EEEvS12_.num_named_barrier, 0
	.set _ZN7rocprim17ROCPRIM_400000_NS6detail17trampoline_kernelINS0_13select_configILj256ELj13ELNS0_17block_load_methodE3ELS4_3ELS4_3ELNS0_20block_scan_algorithmE0ELj4294967295EEENS1_25partition_config_selectorILNS1_17partition_subalgoE4EjNS0_10empty_typeEbEEZZNS1_14partition_implILS8_4ELb0ES6_15HIP_vector_typeIjLj2EENS0_17counting_iteratorIjlEEPS9_SG_NS0_5tupleIJPjSI_NS0_16reverse_iteratorISI_EEEEENSH_IJSG_SG_SG_EEES9_SI_JZNS1_25segmented_radix_sort_implINS0_14default_configELb0EPKaPaPKlPlN2at6native12_GLOBAL__N_18offset_tEEE10hipError_tPvRmT1_PNSt15iterator_traitsIS12_E10value_typeET2_T3_PNS13_IS18_E10value_typeET4_jRbjT5_S1E_jjP12ihipStream_tbEUljE_ZNSN_ISO_Lb0ESQ_SR_ST_SU_SY_EESZ_S10_S11_S12_S16_S17_S18_S1B_S1C_jS1D_jS1E_S1E_jjS1G_bEUljE0_EEESZ_S10_S11_S18_S1C_S1E_T6_T7_T9_mT8_S1G_bDpT10_ENKUlT_T0_E_clISt17integral_constantIbLb0EES1T_IbLb1EEEEDaS1P_S1Q_EUlS1P_E_NS1_11comp_targetILNS1_3genE8ELNS1_11target_archE1030ELNS1_3gpuE2ELNS1_3repE0EEENS1_30default_config_static_selectorELNS0_4arch9wavefront6targetE0EEEvS12_.private_seg_size, 0
	.set _ZN7rocprim17ROCPRIM_400000_NS6detail17trampoline_kernelINS0_13select_configILj256ELj13ELNS0_17block_load_methodE3ELS4_3ELS4_3ELNS0_20block_scan_algorithmE0ELj4294967295EEENS1_25partition_config_selectorILNS1_17partition_subalgoE4EjNS0_10empty_typeEbEEZZNS1_14partition_implILS8_4ELb0ES6_15HIP_vector_typeIjLj2EENS0_17counting_iteratorIjlEEPS9_SG_NS0_5tupleIJPjSI_NS0_16reverse_iteratorISI_EEEEENSH_IJSG_SG_SG_EEES9_SI_JZNS1_25segmented_radix_sort_implINS0_14default_configELb0EPKaPaPKlPlN2at6native12_GLOBAL__N_18offset_tEEE10hipError_tPvRmT1_PNSt15iterator_traitsIS12_E10value_typeET2_T3_PNS13_IS18_E10value_typeET4_jRbjT5_S1E_jjP12ihipStream_tbEUljE_ZNSN_ISO_Lb0ESQ_SR_ST_SU_SY_EESZ_S10_S11_S12_S16_S17_S18_S1B_S1C_jS1D_jS1E_S1E_jjS1G_bEUljE0_EEESZ_S10_S11_S18_S1C_S1E_T6_T7_T9_mT8_S1G_bDpT10_ENKUlT_T0_E_clISt17integral_constantIbLb0EES1T_IbLb1EEEEDaS1P_S1Q_EUlS1P_E_NS1_11comp_targetILNS1_3genE8ELNS1_11target_archE1030ELNS1_3gpuE2ELNS1_3repE0EEENS1_30default_config_static_selectorELNS0_4arch9wavefront6targetE0EEEvS12_.uses_vcc, 1
	.set _ZN7rocprim17ROCPRIM_400000_NS6detail17trampoline_kernelINS0_13select_configILj256ELj13ELNS0_17block_load_methodE3ELS4_3ELS4_3ELNS0_20block_scan_algorithmE0ELj4294967295EEENS1_25partition_config_selectorILNS1_17partition_subalgoE4EjNS0_10empty_typeEbEEZZNS1_14partition_implILS8_4ELb0ES6_15HIP_vector_typeIjLj2EENS0_17counting_iteratorIjlEEPS9_SG_NS0_5tupleIJPjSI_NS0_16reverse_iteratorISI_EEEEENSH_IJSG_SG_SG_EEES9_SI_JZNS1_25segmented_radix_sort_implINS0_14default_configELb0EPKaPaPKlPlN2at6native12_GLOBAL__N_18offset_tEEE10hipError_tPvRmT1_PNSt15iterator_traitsIS12_E10value_typeET2_T3_PNS13_IS18_E10value_typeET4_jRbjT5_S1E_jjP12ihipStream_tbEUljE_ZNSN_ISO_Lb0ESQ_SR_ST_SU_SY_EESZ_S10_S11_S12_S16_S17_S18_S1B_S1C_jS1D_jS1E_S1E_jjS1G_bEUljE0_EEESZ_S10_S11_S18_S1C_S1E_T6_T7_T9_mT8_S1G_bDpT10_ENKUlT_T0_E_clISt17integral_constantIbLb0EES1T_IbLb1EEEEDaS1P_S1Q_EUlS1P_E_NS1_11comp_targetILNS1_3genE8ELNS1_11target_archE1030ELNS1_3gpuE2ELNS1_3repE0EEENS1_30default_config_static_selectorELNS0_4arch9wavefront6targetE0EEEvS12_.uses_flat_scratch, 0
	.set _ZN7rocprim17ROCPRIM_400000_NS6detail17trampoline_kernelINS0_13select_configILj256ELj13ELNS0_17block_load_methodE3ELS4_3ELS4_3ELNS0_20block_scan_algorithmE0ELj4294967295EEENS1_25partition_config_selectorILNS1_17partition_subalgoE4EjNS0_10empty_typeEbEEZZNS1_14partition_implILS8_4ELb0ES6_15HIP_vector_typeIjLj2EENS0_17counting_iteratorIjlEEPS9_SG_NS0_5tupleIJPjSI_NS0_16reverse_iteratorISI_EEEEENSH_IJSG_SG_SG_EEES9_SI_JZNS1_25segmented_radix_sort_implINS0_14default_configELb0EPKaPaPKlPlN2at6native12_GLOBAL__N_18offset_tEEE10hipError_tPvRmT1_PNSt15iterator_traitsIS12_E10value_typeET2_T3_PNS13_IS18_E10value_typeET4_jRbjT5_S1E_jjP12ihipStream_tbEUljE_ZNSN_ISO_Lb0ESQ_SR_ST_SU_SY_EESZ_S10_S11_S12_S16_S17_S18_S1B_S1C_jS1D_jS1E_S1E_jjS1G_bEUljE0_EEESZ_S10_S11_S18_S1C_S1E_T6_T7_T9_mT8_S1G_bDpT10_ENKUlT_T0_E_clISt17integral_constantIbLb0EES1T_IbLb1EEEEDaS1P_S1Q_EUlS1P_E_NS1_11comp_targetILNS1_3genE8ELNS1_11target_archE1030ELNS1_3gpuE2ELNS1_3repE0EEENS1_30default_config_static_selectorELNS0_4arch9wavefront6targetE0EEEvS12_.has_dyn_sized_stack, 0
	.set _ZN7rocprim17ROCPRIM_400000_NS6detail17trampoline_kernelINS0_13select_configILj256ELj13ELNS0_17block_load_methodE3ELS4_3ELS4_3ELNS0_20block_scan_algorithmE0ELj4294967295EEENS1_25partition_config_selectorILNS1_17partition_subalgoE4EjNS0_10empty_typeEbEEZZNS1_14partition_implILS8_4ELb0ES6_15HIP_vector_typeIjLj2EENS0_17counting_iteratorIjlEEPS9_SG_NS0_5tupleIJPjSI_NS0_16reverse_iteratorISI_EEEEENSH_IJSG_SG_SG_EEES9_SI_JZNS1_25segmented_radix_sort_implINS0_14default_configELb0EPKaPaPKlPlN2at6native12_GLOBAL__N_18offset_tEEE10hipError_tPvRmT1_PNSt15iterator_traitsIS12_E10value_typeET2_T3_PNS13_IS18_E10value_typeET4_jRbjT5_S1E_jjP12ihipStream_tbEUljE_ZNSN_ISO_Lb0ESQ_SR_ST_SU_SY_EESZ_S10_S11_S12_S16_S17_S18_S1B_S1C_jS1D_jS1E_S1E_jjS1G_bEUljE0_EEESZ_S10_S11_S18_S1C_S1E_T6_T7_T9_mT8_S1G_bDpT10_ENKUlT_T0_E_clISt17integral_constantIbLb0EES1T_IbLb1EEEEDaS1P_S1Q_EUlS1P_E_NS1_11comp_targetILNS1_3genE8ELNS1_11target_archE1030ELNS1_3gpuE2ELNS1_3repE0EEENS1_30default_config_static_selectorELNS0_4arch9wavefront6targetE0EEEvS12_.has_recursion, 0
	.set _ZN7rocprim17ROCPRIM_400000_NS6detail17trampoline_kernelINS0_13select_configILj256ELj13ELNS0_17block_load_methodE3ELS4_3ELS4_3ELNS0_20block_scan_algorithmE0ELj4294967295EEENS1_25partition_config_selectorILNS1_17partition_subalgoE4EjNS0_10empty_typeEbEEZZNS1_14partition_implILS8_4ELb0ES6_15HIP_vector_typeIjLj2EENS0_17counting_iteratorIjlEEPS9_SG_NS0_5tupleIJPjSI_NS0_16reverse_iteratorISI_EEEEENSH_IJSG_SG_SG_EEES9_SI_JZNS1_25segmented_radix_sort_implINS0_14default_configELb0EPKaPaPKlPlN2at6native12_GLOBAL__N_18offset_tEEE10hipError_tPvRmT1_PNSt15iterator_traitsIS12_E10value_typeET2_T3_PNS13_IS18_E10value_typeET4_jRbjT5_S1E_jjP12ihipStream_tbEUljE_ZNSN_ISO_Lb0ESQ_SR_ST_SU_SY_EESZ_S10_S11_S12_S16_S17_S18_S1B_S1C_jS1D_jS1E_S1E_jjS1G_bEUljE0_EEESZ_S10_S11_S18_S1C_S1E_T6_T7_T9_mT8_S1G_bDpT10_ENKUlT_T0_E_clISt17integral_constantIbLb0EES1T_IbLb1EEEEDaS1P_S1Q_EUlS1P_E_NS1_11comp_targetILNS1_3genE8ELNS1_11target_archE1030ELNS1_3gpuE2ELNS1_3repE0EEENS1_30default_config_static_selectorELNS0_4arch9wavefront6targetE0EEEvS12_.has_indirect_call, 0
	.section	.AMDGPU.csdata,"",@progbits
; Kernel info:
; codeLenInByte = 16368
; TotalNumSgprs: 57
; NumVgprs: 87
; ScratchSize: 0
; MemoryBound: 0
; FloatMode: 240
; IeeeMode: 1
; LDSByteSize: 13328 bytes/workgroup (compile time only)
; SGPRBlocks: 0
; VGPRBlocks: 10
; NumSGPRsForWavesPerEU: 57
; NumVGPRsForWavesPerEU: 87
; Occupancy: 10
; WaveLimiterHint : 1
; COMPUTE_PGM_RSRC2:SCRATCH_EN: 0
; COMPUTE_PGM_RSRC2:USER_SGPR: 6
; COMPUTE_PGM_RSRC2:TRAP_HANDLER: 0
; COMPUTE_PGM_RSRC2:TGID_X_EN: 1
; COMPUTE_PGM_RSRC2:TGID_Y_EN: 0
; COMPUTE_PGM_RSRC2:TGID_Z_EN: 0
; COMPUTE_PGM_RSRC2:TIDIG_COMP_CNT: 0
	.section	.text._ZN7rocprim17ROCPRIM_400000_NS6detail17trampoline_kernelINS0_13select_configILj256ELj13ELNS0_17block_load_methodE3ELS4_3ELS4_3ELNS0_20block_scan_algorithmE0ELj4294967295EEENS1_25partition_config_selectorILNS1_17partition_subalgoE3EjNS0_10empty_typeEbEEZZNS1_14partition_implILS8_3ELb0ES6_jNS0_17counting_iteratorIjlEEPS9_SE_NS0_5tupleIJPjSE_EEENSF_IJSE_SE_EEES9_SG_JZNS1_25segmented_radix_sort_implINS0_14default_configELb0EPKaPaPKlPlN2at6native12_GLOBAL__N_18offset_tEEE10hipError_tPvRmT1_PNSt15iterator_traitsISY_E10value_typeET2_T3_PNSZ_IS14_E10value_typeET4_jRbjT5_S1A_jjP12ihipStream_tbEUljE_EEESV_SW_SX_S14_S18_S1A_T6_T7_T9_mT8_S1C_bDpT10_ENKUlT_T0_E_clISt17integral_constantIbLb0EES1P_EEDaS1K_S1L_EUlS1K_E_NS1_11comp_targetILNS1_3genE0ELNS1_11target_archE4294967295ELNS1_3gpuE0ELNS1_3repE0EEENS1_30default_config_static_selectorELNS0_4arch9wavefront6targetE0EEEvSY_,"axG",@progbits,_ZN7rocprim17ROCPRIM_400000_NS6detail17trampoline_kernelINS0_13select_configILj256ELj13ELNS0_17block_load_methodE3ELS4_3ELS4_3ELNS0_20block_scan_algorithmE0ELj4294967295EEENS1_25partition_config_selectorILNS1_17partition_subalgoE3EjNS0_10empty_typeEbEEZZNS1_14partition_implILS8_3ELb0ES6_jNS0_17counting_iteratorIjlEEPS9_SE_NS0_5tupleIJPjSE_EEENSF_IJSE_SE_EEES9_SG_JZNS1_25segmented_radix_sort_implINS0_14default_configELb0EPKaPaPKlPlN2at6native12_GLOBAL__N_18offset_tEEE10hipError_tPvRmT1_PNSt15iterator_traitsISY_E10value_typeET2_T3_PNSZ_IS14_E10value_typeET4_jRbjT5_S1A_jjP12ihipStream_tbEUljE_EEESV_SW_SX_S14_S18_S1A_T6_T7_T9_mT8_S1C_bDpT10_ENKUlT_T0_E_clISt17integral_constantIbLb0EES1P_EEDaS1K_S1L_EUlS1K_E_NS1_11comp_targetILNS1_3genE0ELNS1_11target_archE4294967295ELNS1_3gpuE0ELNS1_3repE0EEENS1_30default_config_static_selectorELNS0_4arch9wavefront6targetE0EEEvSY_,comdat
	.globl	_ZN7rocprim17ROCPRIM_400000_NS6detail17trampoline_kernelINS0_13select_configILj256ELj13ELNS0_17block_load_methodE3ELS4_3ELS4_3ELNS0_20block_scan_algorithmE0ELj4294967295EEENS1_25partition_config_selectorILNS1_17partition_subalgoE3EjNS0_10empty_typeEbEEZZNS1_14partition_implILS8_3ELb0ES6_jNS0_17counting_iteratorIjlEEPS9_SE_NS0_5tupleIJPjSE_EEENSF_IJSE_SE_EEES9_SG_JZNS1_25segmented_radix_sort_implINS0_14default_configELb0EPKaPaPKlPlN2at6native12_GLOBAL__N_18offset_tEEE10hipError_tPvRmT1_PNSt15iterator_traitsISY_E10value_typeET2_T3_PNSZ_IS14_E10value_typeET4_jRbjT5_S1A_jjP12ihipStream_tbEUljE_EEESV_SW_SX_S14_S18_S1A_T6_T7_T9_mT8_S1C_bDpT10_ENKUlT_T0_E_clISt17integral_constantIbLb0EES1P_EEDaS1K_S1L_EUlS1K_E_NS1_11comp_targetILNS1_3genE0ELNS1_11target_archE4294967295ELNS1_3gpuE0ELNS1_3repE0EEENS1_30default_config_static_selectorELNS0_4arch9wavefront6targetE0EEEvSY_ ; -- Begin function _ZN7rocprim17ROCPRIM_400000_NS6detail17trampoline_kernelINS0_13select_configILj256ELj13ELNS0_17block_load_methodE3ELS4_3ELS4_3ELNS0_20block_scan_algorithmE0ELj4294967295EEENS1_25partition_config_selectorILNS1_17partition_subalgoE3EjNS0_10empty_typeEbEEZZNS1_14partition_implILS8_3ELb0ES6_jNS0_17counting_iteratorIjlEEPS9_SE_NS0_5tupleIJPjSE_EEENSF_IJSE_SE_EEES9_SG_JZNS1_25segmented_radix_sort_implINS0_14default_configELb0EPKaPaPKlPlN2at6native12_GLOBAL__N_18offset_tEEE10hipError_tPvRmT1_PNSt15iterator_traitsISY_E10value_typeET2_T3_PNSZ_IS14_E10value_typeET4_jRbjT5_S1A_jjP12ihipStream_tbEUljE_EEESV_SW_SX_S14_S18_S1A_T6_T7_T9_mT8_S1C_bDpT10_ENKUlT_T0_E_clISt17integral_constantIbLb0EES1P_EEDaS1K_S1L_EUlS1K_E_NS1_11comp_targetILNS1_3genE0ELNS1_11target_archE4294967295ELNS1_3gpuE0ELNS1_3repE0EEENS1_30default_config_static_selectorELNS0_4arch9wavefront6targetE0EEEvSY_
	.p2align	8
	.type	_ZN7rocprim17ROCPRIM_400000_NS6detail17trampoline_kernelINS0_13select_configILj256ELj13ELNS0_17block_load_methodE3ELS4_3ELS4_3ELNS0_20block_scan_algorithmE0ELj4294967295EEENS1_25partition_config_selectorILNS1_17partition_subalgoE3EjNS0_10empty_typeEbEEZZNS1_14partition_implILS8_3ELb0ES6_jNS0_17counting_iteratorIjlEEPS9_SE_NS0_5tupleIJPjSE_EEENSF_IJSE_SE_EEES9_SG_JZNS1_25segmented_radix_sort_implINS0_14default_configELb0EPKaPaPKlPlN2at6native12_GLOBAL__N_18offset_tEEE10hipError_tPvRmT1_PNSt15iterator_traitsISY_E10value_typeET2_T3_PNSZ_IS14_E10value_typeET4_jRbjT5_S1A_jjP12ihipStream_tbEUljE_EEESV_SW_SX_S14_S18_S1A_T6_T7_T9_mT8_S1C_bDpT10_ENKUlT_T0_E_clISt17integral_constantIbLb0EES1P_EEDaS1K_S1L_EUlS1K_E_NS1_11comp_targetILNS1_3genE0ELNS1_11target_archE4294967295ELNS1_3gpuE0ELNS1_3repE0EEENS1_30default_config_static_selectorELNS0_4arch9wavefront6targetE0EEEvSY_,@function
_ZN7rocprim17ROCPRIM_400000_NS6detail17trampoline_kernelINS0_13select_configILj256ELj13ELNS0_17block_load_methodE3ELS4_3ELS4_3ELNS0_20block_scan_algorithmE0ELj4294967295EEENS1_25partition_config_selectorILNS1_17partition_subalgoE3EjNS0_10empty_typeEbEEZZNS1_14partition_implILS8_3ELb0ES6_jNS0_17counting_iteratorIjlEEPS9_SE_NS0_5tupleIJPjSE_EEENSF_IJSE_SE_EEES9_SG_JZNS1_25segmented_radix_sort_implINS0_14default_configELb0EPKaPaPKlPlN2at6native12_GLOBAL__N_18offset_tEEE10hipError_tPvRmT1_PNSt15iterator_traitsISY_E10value_typeET2_T3_PNSZ_IS14_E10value_typeET4_jRbjT5_S1A_jjP12ihipStream_tbEUljE_EEESV_SW_SX_S14_S18_S1A_T6_T7_T9_mT8_S1C_bDpT10_ENKUlT_T0_E_clISt17integral_constantIbLb0EES1P_EEDaS1K_S1L_EUlS1K_E_NS1_11comp_targetILNS1_3genE0ELNS1_11target_archE4294967295ELNS1_3gpuE0ELNS1_3repE0EEENS1_30default_config_static_selectorELNS0_4arch9wavefront6targetE0EEEvSY_: ; @_ZN7rocprim17ROCPRIM_400000_NS6detail17trampoline_kernelINS0_13select_configILj256ELj13ELNS0_17block_load_methodE3ELS4_3ELS4_3ELNS0_20block_scan_algorithmE0ELj4294967295EEENS1_25partition_config_selectorILNS1_17partition_subalgoE3EjNS0_10empty_typeEbEEZZNS1_14partition_implILS8_3ELb0ES6_jNS0_17counting_iteratorIjlEEPS9_SE_NS0_5tupleIJPjSE_EEENSF_IJSE_SE_EEES9_SG_JZNS1_25segmented_radix_sort_implINS0_14default_configELb0EPKaPaPKlPlN2at6native12_GLOBAL__N_18offset_tEEE10hipError_tPvRmT1_PNSt15iterator_traitsISY_E10value_typeET2_T3_PNSZ_IS14_E10value_typeET4_jRbjT5_S1A_jjP12ihipStream_tbEUljE_EEESV_SW_SX_S14_S18_S1A_T6_T7_T9_mT8_S1C_bDpT10_ENKUlT_T0_E_clISt17integral_constantIbLb0EES1P_EEDaS1K_S1L_EUlS1K_E_NS1_11comp_targetILNS1_3genE0ELNS1_11target_archE4294967295ELNS1_3gpuE0ELNS1_3repE0EEENS1_30default_config_static_selectorELNS0_4arch9wavefront6targetE0EEEvSY_
; %bb.0:
	.section	.rodata,"a",@progbits
	.p2align	6, 0x0
	.amdhsa_kernel _ZN7rocprim17ROCPRIM_400000_NS6detail17trampoline_kernelINS0_13select_configILj256ELj13ELNS0_17block_load_methodE3ELS4_3ELS4_3ELNS0_20block_scan_algorithmE0ELj4294967295EEENS1_25partition_config_selectorILNS1_17partition_subalgoE3EjNS0_10empty_typeEbEEZZNS1_14partition_implILS8_3ELb0ES6_jNS0_17counting_iteratorIjlEEPS9_SE_NS0_5tupleIJPjSE_EEENSF_IJSE_SE_EEES9_SG_JZNS1_25segmented_radix_sort_implINS0_14default_configELb0EPKaPaPKlPlN2at6native12_GLOBAL__N_18offset_tEEE10hipError_tPvRmT1_PNSt15iterator_traitsISY_E10value_typeET2_T3_PNSZ_IS14_E10value_typeET4_jRbjT5_S1A_jjP12ihipStream_tbEUljE_EEESV_SW_SX_S14_S18_S1A_T6_T7_T9_mT8_S1C_bDpT10_ENKUlT_T0_E_clISt17integral_constantIbLb0EES1P_EEDaS1K_S1L_EUlS1K_E_NS1_11comp_targetILNS1_3genE0ELNS1_11target_archE4294967295ELNS1_3gpuE0ELNS1_3repE0EEENS1_30default_config_static_selectorELNS0_4arch9wavefront6targetE0EEEvSY_
		.amdhsa_group_segment_fixed_size 0
		.amdhsa_private_segment_fixed_size 0
		.amdhsa_kernarg_size 144
		.amdhsa_user_sgpr_count 6
		.amdhsa_user_sgpr_private_segment_buffer 1
		.amdhsa_user_sgpr_dispatch_ptr 0
		.amdhsa_user_sgpr_queue_ptr 0
		.amdhsa_user_sgpr_kernarg_segment_ptr 1
		.amdhsa_user_sgpr_dispatch_id 0
		.amdhsa_user_sgpr_flat_scratch_init 0
		.amdhsa_user_sgpr_private_segment_size 0
		.amdhsa_wavefront_size32 1
		.amdhsa_uses_dynamic_stack 0
		.amdhsa_system_sgpr_private_segment_wavefront_offset 0
		.amdhsa_system_sgpr_workgroup_id_x 1
		.amdhsa_system_sgpr_workgroup_id_y 0
		.amdhsa_system_sgpr_workgroup_id_z 0
		.amdhsa_system_sgpr_workgroup_info 0
		.amdhsa_system_vgpr_workitem_id 0
		.amdhsa_next_free_vgpr 1
		.amdhsa_next_free_sgpr 1
		.amdhsa_reserve_vcc 0
		.amdhsa_reserve_flat_scratch 0
		.amdhsa_float_round_mode_32 0
		.amdhsa_float_round_mode_16_64 0
		.amdhsa_float_denorm_mode_32 3
		.amdhsa_float_denorm_mode_16_64 3
		.amdhsa_dx10_clamp 1
		.amdhsa_ieee_mode 1
		.amdhsa_fp16_overflow 0
		.amdhsa_workgroup_processor_mode 1
		.amdhsa_memory_ordered 1
		.amdhsa_forward_progress 1
		.amdhsa_shared_vgpr_count 0
		.amdhsa_exception_fp_ieee_invalid_op 0
		.amdhsa_exception_fp_denorm_src 0
		.amdhsa_exception_fp_ieee_div_zero 0
		.amdhsa_exception_fp_ieee_overflow 0
		.amdhsa_exception_fp_ieee_underflow 0
		.amdhsa_exception_fp_ieee_inexact 0
		.amdhsa_exception_int_div_zero 0
	.end_amdhsa_kernel
	.section	.text._ZN7rocprim17ROCPRIM_400000_NS6detail17trampoline_kernelINS0_13select_configILj256ELj13ELNS0_17block_load_methodE3ELS4_3ELS4_3ELNS0_20block_scan_algorithmE0ELj4294967295EEENS1_25partition_config_selectorILNS1_17partition_subalgoE3EjNS0_10empty_typeEbEEZZNS1_14partition_implILS8_3ELb0ES6_jNS0_17counting_iteratorIjlEEPS9_SE_NS0_5tupleIJPjSE_EEENSF_IJSE_SE_EEES9_SG_JZNS1_25segmented_radix_sort_implINS0_14default_configELb0EPKaPaPKlPlN2at6native12_GLOBAL__N_18offset_tEEE10hipError_tPvRmT1_PNSt15iterator_traitsISY_E10value_typeET2_T3_PNSZ_IS14_E10value_typeET4_jRbjT5_S1A_jjP12ihipStream_tbEUljE_EEESV_SW_SX_S14_S18_S1A_T6_T7_T9_mT8_S1C_bDpT10_ENKUlT_T0_E_clISt17integral_constantIbLb0EES1P_EEDaS1K_S1L_EUlS1K_E_NS1_11comp_targetILNS1_3genE0ELNS1_11target_archE4294967295ELNS1_3gpuE0ELNS1_3repE0EEENS1_30default_config_static_selectorELNS0_4arch9wavefront6targetE0EEEvSY_,"axG",@progbits,_ZN7rocprim17ROCPRIM_400000_NS6detail17trampoline_kernelINS0_13select_configILj256ELj13ELNS0_17block_load_methodE3ELS4_3ELS4_3ELNS0_20block_scan_algorithmE0ELj4294967295EEENS1_25partition_config_selectorILNS1_17partition_subalgoE3EjNS0_10empty_typeEbEEZZNS1_14partition_implILS8_3ELb0ES6_jNS0_17counting_iteratorIjlEEPS9_SE_NS0_5tupleIJPjSE_EEENSF_IJSE_SE_EEES9_SG_JZNS1_25segmented_radix_sort_implINS0_14default_configELb0EPKaPaPKlPlN2at6native12_GLOBAL__N_18offset_tEEE10hipError_tPvRmT1_PNSt15iterator_traitsISY_E10value_typeET2_T3_PNSZ_IS14_E10value_typeET4_jRbjT5_S1A_jjP12ihipStream_tbEUljE_EEESV_SW_SX_S14_S18_S1A_T6_T7_T9_mT8_S1C_bDpT10_ENKUlT_T0_E_clISt17integral_constantIbLb0EES1P_EEDaS1K_S1L_EUlS1K_E_NS1_11comp_targetILNS1_3genE0ELNS1_11target_archE4294967295ELNS1_3gpuE0ELNS1_3repE0EEENS1_30default_config_static_selectorELNS0_4arch9wavefront6targetE0EEEvSY_,comdat
.Lfunc_end358:
	.size	_ZN7rocprim17ROCPRIM_400000_NS6detail17trampoline_kernelINS0_13select_configILj256ELj13ELNS0_17block_load_methodE3ELS4_3ELS4_3ELNS0_20block_scan_algorithmE0ELj4294967295EEENS1_25partition_config_selectorILNS1_17partition_subalgoE3EjNS0_10empty_typeEbEEZZNS1_14partition_implILS8_3ELb0ES6_jNS0_17counting_iteratorIjlEEPS9_SE_NS0_5tupleIJPjSE_EEENSF_IJSE_SE_EEES9_SG_JZNS1_25segmented_radix_sort_implINS0_14default_configELb0EPKaPaPKlPlN2at6native12_GLOBAL__N_18offset_tEEE10hipError_tPvRmT1_PNSt15iterator_traitsISY_E10value_typeET2_T3_PNSZ_IS14_E10value_typeET4_jRbjT5_S1A_jjP12ihipStream_tbEUljE_EEESV_SW_SX_S14_S18_S1A_T6_T7_T9_mT8_S1C_bDpT10_ENKUlT_T0_E_clISt17integral_constantIbLb0EES1P_EEDaS1K_S1L_EUlS1K_E_NS1_11comp_targetILNS1_3genE0ELNS1_11target_archE4294967295ELNS1_3gpuE0ELNS1_3repE0EEENS1_30default_config_static_selectorELNS0_4arch9wavefront6targetE0EEEvSY_, .Lfunc_end358-_ZN7rocprim17ROCPRIM_400000_NS6detail17trampoline_kernelINS0_13select_configILj256ELj13ELNS0_17block_load_methodE3ELS4_3ELS4_3ELNS0_20block_scan_algorithmE0ELj4294967295EEENS1_25partition_config_selectorILNS1_17partition_subalgoE3EjNS0_10empty_typeEbEEZZNS1_14partition_implILS8_3ELb0ES6_jNS0_17counting_iteratorIjlEEPS9_SE_NS0_5tupleIJPjSE_EEENSF_IJSE_SE_EEES9_SG_JZNS1_25segmented_radix_sort_implINS0_14default_configELb0EPKaPaPKlPlN2at6native12_GLOBAL__N_18offset_tEEE10hipError_tPvRmT1_PNSt15iterator_traitsISY_E10value_typeET2_T3_PNSZ_IS14_E10value_typeET4_jRbjT5_S1A_jjP12ihipStream_tbEUljE_EEESV_SW_SX_S14_S18_S1A_T6_T7_T9_mT8_S1C_bDpT10_ENKUlT_T0_E_clISt17integral_constantIbLb0EES1P_EEDaS1K_S1L_EUlS1K_E_NS1_11comp_targetILNS1_3genE0ELNS1_11target_archE4294967295ELNS1_3gpuE0ELNS1_3repE0EEENS1_30default_config_static_selectorELNS0_4arch9wavefront6targetE0EEEvSY_
                                        ; -- End function
	.set _ZN7rocprim17ROCPRIM_400000_NS6detail17trampoline_kernelINS0_13select_configILj256ELj13ELNS0_17block_load_methodE3ELS4_3ELS4_3ELNS0_20block_scan_algorithmE0ELj4294967295EEENS1_25partition_config_selectorILNS1_17partition_subalgoE3EjNS0_10empty_typeEbEEZZNS1_14partition_implILS8_3ELb0ES6_jNS0_17counting_iteratorIjlEEPS9_SE_NS0_5tupleIJPjSE_EEENSF_IJSE_SE_EEES9_SG_JZNS1_25segmented_radix_sort_implINS0_14default_configELb0EPKaPaPKlPlN2at6native12_GLOBAL__N_18offset_tEEE10hipError_tPvRmT1_PNSt15iterator_traitsISY_E10value_typeET2_T3_PNSZ_IS14_E10value_typeET4_jRbjT5_S1A_jjP12ihipStream_tbEUljE_EEESV_SW_SX_S14_S18_S1A_T6_T7_T9_mT8_S1C_bDpT10_ENKUlT_T0_E_clISt17integral_constantIbLb0EES1P_EEDaS1K_S1L_EUlS1K_E_NS1_11comp_targetILNS1_3genE0ELNS1_11target_archE4294967295ELNS1_3gpuE0ELNS1_3repE0EEENS1_30default_config_static_selectorELNS0_4arch9wavefront6targetE0EEEvSY_.num_vgpr, 0
	.set _ZN7rocprim17ROCPRIM_400000_NS6detail17trampoline_kernelINS0_13select_configILj256ELj13ELNS0_17block_load_methodE3ELS4_3ELS4_3ELNS0_20block_scan_algorithmE0ELj4294967295EEENS1_25partition_config_selectorILNS1_17partition_subalgoE3EjNS0_10empty_typeEbEEZZNS1_14partition_implILS8_3ELb0ES6_jNS0_17counting_iteratorIjlEEPS9_SE_NS0_5tupleIJPjSE_EEENSF_IJSE_SE_EEES9_SG_JZNS1_25segmented_radix_sort_implINS0_14default_configELb0EPKaPaPKlPlN2at6native12_GLOBAL__N_18offset_tEEE10hipError_tPvRmT1_PNSt15iterator_traitsISY_E10value_typeET2_T3_PNSZ_IS14_E10value_typeET4_jRbjT5_S1A_jjP12ihipStream_tbEUljE_EEESV_SW_SX_S14_S18_S1A_T6_T7_T9_mT8_S1C_bDpT10_ENKUlT_T0_E_clISt17integral_constantIbLb0EES1P_EEDaS1K_S1L_EUlS1K_E_NS1_11comp_targetILNS1_3genE0ELNS1_11target_archE4294967295ELNS1_3gpuE0ELNS1_3repE0EEENS1_30default_config_static_selectorELNS0_4arch9wavefront6targetE0EEEvSY_.num_agpr, 0
	.set _ZN7rocprim17ROCPRIM_400000_NS6detail17trampoline_kernelINS0_13select_configILj256ELj13ELNS0_17block_load_methodE3ELS4_3ELS4_3ELNS0_20block_scan_algorithmE0ELj4294967295EEENS1_25partition_config_selectorILNS1_17partition_subalgoE3EjNS0_10empty_typeEbEEZZNS1_14partition_implILS8_3ELb0ES6_jNS0_17counting_iteratorIjlEEPS9_SE_NS0_5tupleIJPjSE_EEENSF_IJSE_SE_EEES9_SG_JZNS1_25segmented_radix_sort_implINS0_14default_configELb0EPKaPaPKlPlN2at6native12_GLOBAL__N_18offset_tEEE10hipError_tPvRmT1_PNSt15iterator_traitsISY_E10value_typeET2_T3_PNSZ_IS14_E10value_typeET4_jRbjT5_S1A_jjP12ihipStream_tbEUljE_EEESV_SW_SX_S14_S18_S1A_T6_T7_T9_mT8_S1C_bDpT10_ENKUlT_T0_E_clISt17integral_constantIbLb0EES1P_EEDaS1K_S1L_EUlS1K_E_NS1_11comp_targetILNS1_3genE0ELNS1_11target_archE4294967295ELNS1_3gpuE0ELNS1_3repE0EEENS1_30default_config_static_selectorELNS0_4arch9wavefront6targetE0EEEvSY_.numbered_sgpr, 0
	.set _ZN7rocprim17ROCPRIM_400000_NS6detail17trampoline_kernelINS0_13select_configILj256ELj13ELNS0_17block_load_methodE3ELS4_3ELS4_3ELNS0_20block_scan_algorithmE0ELj4294967295EEENS1_25partition_config_selectorILNS1_17partition_subalgoE3EjNS0_10empty_typeEbEEZZNS1_14partition_implILS8_3ELb0ES6_jNS0_17counting_iteratorIjlEEPS9_SE_NS0_5tupleIJPjSE_EEENSF_IJSE_SE_EEES9_SG_JZNS1_25segmented_radix_sort_implINS0_14default_configELb0EPKaPaPKlPlN2at6native12_GLOBAL__N_18offset_tEEE10hipError_tPvRmT1_PNSt15iterator_traitsISY_E10value_typeET2_T3_PNSZ_IS14_E10value_typeET4_jRbjT5_S1A_jjP12ihipStream_tbEUljE_EEESV_SW_SX_S14_S18_S1A_T6_T7_T9_mT8_S1C_bDpT10_ENKUlT_T0_E_clISt17integral_constantIbLb0EES1P_EEDaS1K_S1L_EUlS1K_E_NS1_11comp_targetILNS1_3genE0ELNS1_11target_archE4294967295ELNS1_3gpuE0ELNS1_3repE0EEENS1_30default_config_static_selectorELNS0_4arch9wavefront6targetE0EEEvSY_.num_named_barrier, 0
	.set _ZN7rocprim17ROCPRIM_400000_NS6detail17trampoline_kernelINS0_13select_configILj256ELj13ELNS0_17block_load_methodE3ELS4_3ELS4_3ELNS0_20block_scan_algorithmE0ELj4294967295EEENS1_25partition_config_selectorILNS1_17partition_subalgoE3EjNS0_10empty_typeEbEEZZNS1_14partition_implILS8_3ELb0ES6_jNS0_17counting_iteratorIjlEEPS9_SE_NS0_5tupleIJPjSE_EEENSF_IJSE_SE_EEES9_SG_JZNS1_25segmented_radix_sort_implINS0_14default_configELb0EPKaPaPKlPlN2at6native12_GLOBAL__N_18offset_tEEE10hipError_tPvRmT1_PNSt15iterator_traitsISY_E10value_typeET2_T3_PNSZ_IS14_E10value_typeET4_jRbjT5_S1A_jjP12ihipStream_tbEUljE_EEESV_SW_SX_S14_S18_S1A_T6_T7_T9_mT8_S1C_bDpT10_ENKUlT_T0_E_clISt17integral_constantIbLb0EES1P_EEDaS1K_S1L_EUlS1K_E_NS1_11comp_targetILNS1_3genE0ELNS1_11target_archE4294967295ELNS1_3gpuE0ELNS1_3repE0EEENS1_30default_config_static_selectorELNS0_4arch9wavefront6targetE0EEEvSY_.private_seg_size, 0
	.set _ZN7rocprim17ROCPRIM_400000_NS6detail17trampoline_kernelINS0_13select_configILj256ELj13ELNS0_17block_load_methodE3ELS4_3ELS4_3ELNS0_20block_scan_algorithmE0ELj4294967295EEENS1_25partition_config_selectorILNS1_17partition_subalgoE3EjNS0_10empty_typeEbEEZZNS1_14partition_implILS8_3ELb0ES6_jNS0_17counting_iteratorIjlEEPS9_SE_NS0_5tupleIJPjSE_EEENSF_IJSE_SE_EEES9_SG_JZNS1_25segmented_radix_sort_implINS0_14default_configELb0EPKaPaPKlPlN2at6native12_GLOBAL__N_18offset_tEEE10hipError_tPvRmT1_PNSt15iterator_traitsISY_E10value_typeET2_T3_PNSZ_IS14_E10value_typeET4_jRbjT5_S1A_jjP12ihipStream_tbEUljE_EEESV_SW_SX_S14_S18_S1A_T6_T7_T9_mT8_S1C_bDpT10_ENKUlT_T0_E_clISt17integral_constantIbLb0EES1P_EEDaS1K_S1L_EUlS1K_E_NS1_11comp_targetILNS1_3genE0ELNS1_11target_archE4294967295ELNS1_3gpuE0ELNS1_3repE0EEENS1_30default_config_static_selectorELNS0_4arch9wavefront6targetE0EEEvSY_.uses_vcc, 0
	.set _ZN7rocprim17ROCPRIM_400000_NS6detail17trampoline_kernelINS0_13select_configILj256ELj13ELNS0_17block_load_methodE3ELS4_3ELS4_3ELNS0_20block_scan_algorithmE0ELj4294967295EEENS1_25partition_config_selectorILNS1_17partition_subalgoE3EjNS0_10empty_typeEbEEZZNS1_14partition_implILS8_3ELb0ES6_jNS0_17counting_iteratorIjlEEPS9_SE_NS0_5tupleIJPjSE_EEENSF_IJSE_SE_EEES9_SG_JZNS1_25segmented_radix_sort_implINS0_14default_configELb0EPKaPaPKlPlN2at6native12_GLOBAL__N_18offset_tEEE10hipError_tPvRmT1_PNSt15iterator_traitsISY_E10value_typeET2_T3_PNSZ_IS14_E10value_typeET4_jRbjT5_S1A_jjP12ihipStream_tbEUljE_EEESV_SW_SX_S14_S18_S1A_T6_T7_T9_mT8_S1C_bDpT10_ENKUlT_T0_E_clISt17integral_constantIbLb0EES1P_EEDaS1K_S1L_EUlS1K_E_NS1_11comp_targetILNS1_3genE0ELNS1_11target_archE4294967295ELNS1_3gpuE0ELNS1_3repE0EEENS1_30default_config_static_selectorELNS0_4arch9wavefront6targetE0EEEvSY_.uses_flat_scratch, 0
	.set _ZN7rocprim17ROCPRIM_400000_NS6detail17trampoline_kernelINS0_13select_configILj256ELj13ELNS0_17block_load_methodE3ELS4_3ELS4_3ELNS0_20block_scan_algorithmE0ELj4294967295EEENS1_25partition_config_selectorILNS1_17partition_subalgoE3EjNS0_10empty_typeEbEEZZNS1_14partition_implILS8_3ELb0ES6_jNS0_17counting_iteratorIjlEEPS9_SE_NS0_5tupleIJPjSE_EEENSF_IJSE_SE_EEES9_SG_JZNS1_25segmented_radix_sort_implINS0_14default_configELb0EPKaPaPKlPlN2at6native12_GLOBAL__N_18offset_tEEE10hipError_tPvRmT1_PNSt15iterator_traitsISY_E10value_typeET2_T3_PNSZ_IS14_E10value_typeET4_jRbjT5_S1A_jjP12ihipStream_tbEUljE_EEESV_SW_SX_S14_S18_S1A_T6_T7_T9_mT8_S1C_bDpT10_ENKUlT_T0_E_clISt17integral_constantIbLb0EES1P_EEDaS1K_S1L_EUlS1K_E_NS1_11comp_targetILNS1_3genE0ELNS1_11target_archE4294967295ELNS1_3gpuE0ELNS1_3repE0EEENS1_30default_config_static_selectorELNS0_4arch9wavefront6targetE0EEEvSY_.has_dyn_sized_stack, 0
	.set _ZN7rocprim17ROCPRIM_400000_NS6detail17trampoline_kernelINS0_13select_configILj256ELj13ELNS0_17block_load_methodE3ELS4_3ELS4_3ELNS0_20block_scan_algorithmE0ELj4294967295EEENS1_25partition_config_selectorILNS1_17partition_subalgoE3EjNS0_10empty_typeEbEEZZNS1_14partition_implILS8_3ELb0ES6_jNS0_17counting_iteratorIjlEEPS9_SE_NS0_5tupleIJPjSE_EEENSF_IJSE_SE_EEES9_SG_JZNS1_25segmented_radix_sort_implINS0_14default_configELb0EPKaPaPKlPlN2at6native12_GLOBAL__N_18offset_tEEE10hipError_tPvRmT1_PNSt15iterator_traitsISY_E10value_typeET2_T3_PNSZ_IS14_E10value_typeET4_jRbjT5_S1A_jjP12ihipStream_tbEUljE_EEESV_SW_SX_S14_S18_S1A_T6_T7_T9_mT8_S1C_bDpT10_ENKUlT_T0_E_clISt17integral_constantIbLb0EES1P_EEDaS1K_S1L_EUlS1K_E_NS1_11comp_targetILNS1_3genE0ELNS1_11target_archE4294967295ELNS1_3gpuE0ELNS1_3repE0EEENS1_30default_config_static_selectorELNS0_4arch9wavefront6targetE0EEEvSY_.has_recursion, 0
	.set _ZN7rocprim17ROCPRIM_400000_NS6detail17trampoline_kernelINS0_13select_configILj256ELj13ELNS0_17block_load_methodE3ELS4_3ELS4_3ELNS0_20block_scan_algorithmE0ELj4294967295EEENS1_25partition_config_selectorILNS1_17partition_subalgoE3EjNS0_10empty_typeEbEEZZNS1_14partition_implILS8_3ELb0ES6_jNS0_17counting_iteratorIjlEEPS9_SE_NS0_5tupleIJPjSE_EEENSF_IJSE_SE_EEES9_SG_JZNS1_25segmented_radix_sort_implINS0_14default_configELb0EPKaPaPKlPlN2at6native12_GLOBAL__N_18offset_tEEE10hipError_tPvRmT1_PNSt15iterator_traitsISY_E10value_typeET2_T3_PNSZ_IS14_E10value_typeET4_jRbjT5_S1A_jjP12ihipStream_tbEUljE_EEESV_SW_SX_S14_S18_S1A_T6_T7_T9_mT8_S1C_bDpT10_ENKUlT_T0_E_clISt17integral_constantIbLb0EES1P_EEDaS1K_S1L_EUlS1K_E_NS1_11comp_targetILNS1_3genE0ELNS1_11target_archE4294967295ELNS1_3gpuE0ELNS1_3repE0EEENS1_30default_config_static_selectorELNS0_4arch9wavefront6targetE0EEEvSY_.has_indirect_call, 0
	.section	.AMDGPU.csdata,"",@progbits
; Kernel info:
; codeLenInByte = 0
; TotalNumSgprs: 0
; NumVgprs: 0
; ScratchSize: 0
; MemoryBound: 0
; FloatMode: 240
; IeeeMode: 1
; LDSByteSize: 0 bytes/workgroup (compile time only)
; SGPRBlocks: 0
; VGPRBlocks: 0
; NumSGPRsForWavesPerEU: 1
; NumVGPRsForWavesPerEU: 1
; Occupancy: 16
; WaveLimiterHint : 0
; COMPUTE_PGM_RSRC2:SCRATCH_EN: 0
; COMPUTE_PGM_RSRC2:USER_SGPR: 6
; COMPUTE_PGM_RSRC2:TRAP_HANDLER: 0
; COMPUTE_PGM_RSRC2:TGID_X_EN: 1
; COMPUTE_PGM_RSRC2:TGID_Y_EN: 0
; COMPUTE_PGM_RSRC2:TGID_Z_EN: 0
; COMPUTE_PGM_RSRC2:TIDIG_COMP_CNT: 0
	.section	.text._ZN7rocprim17ROCPRIM_400000_NS6detail17trampoline_kernelINS0_13select_configILj256ELj13ELNS0_17block_load_methodE3ELS4_3ELS4_3ELNS0_20block_scan_algorithmE0ELj4294967295EEENS1_25partition_config_selectorILNS1_17partition_subalgoE3EjNS0_10empty_typeEbEEZZNS1_14partition_implILS8_3ELb0ES6_jNS0_17counting_iteratorIjlEEPS9_SE_NS0_5tupleIJPjSE_EEENSF_IJSE_SE_EEES9_SG_JZNS1_25segmented_radix_sort_implINS0_14default_configELb0EPKaPaPKlPlN2at6native12_GLOBAL__N_18offset_tEEE10hipError_tPvRmT1_PNSt15iterator_traitsISY_E10value_typeET2_T3_PNSZ_IS14_E10value_typeET4_jRbjT5_S1A_jjP12ihipStream_tbEUljE_EEESV_SW_SX_S14_S18_S1A_T6_T7_T9_mT8_S1C_bDpT10_ENKUlT_T0_E_clISt17integral_constantIbLb0EES1P_EEDaS1K_S1L_EUlS1K_E_NS1_11comp_targetILNS1_3genE5ELNS1_11target_archE942ELNS1_3gpuE9ELNS1_3repE0EEENS1_30default_config_static_selectorELNS0_4arch9wavefront6targetE0EEEvSY_,"axG",@progbits,_ZN7rocprim17ROCPRIM_400000_NS6detail17trampoline_kernelINS0_13select_configILj256ELj13ELNS0_17block_load_methodE3ELS4_3ELS4_3ELNS0_20block_scan_algorithmE0ELj4294967295EEENS1_25partition_config_selectorILNS1_17partition_subalgoE3EjNS0_10empty_typeEbEEZZNS1_14partition_implILS8_3ELb0ES6_jNS0_17counting_iteratorIjlEEPS9_SE_NS0_5tupleIJPjSE_EEENSF_IJSE_SE_EEES9_SG_JZNS1_25segmented_radix_sort_implINS0_14default_configELb0EPKaPaPKlPlN2at6native12_GLOBAL__N_18offset_tEEE10hipError_tPvRmT1_PNSt15iterator_traitsISY_E10value_typeET2_T3_PNSZ_IS14_E10value_typeET4_jRbjT5_S1A_jjP12ihipStream_tbEUljE_EEESV_SW_SX_S14_S18_S1A_T6_T7_T9_mT8_S1C_bDpT10_ENKUlT_T0_E_clISt17integral_constantIbLb0EES1P_EEDaS1K_S1L_EUlS1K_E_NS1_11comp_targetILNS1_3genE5ELNS1_11target_archE942ELNS1_3gpuE9ELNS1_3repE0EEENS1_30default_config_static_selectorELNS0_4arch9wavefront6targetE0EEEvSY_,comdat
	.globl	_ZN7rocprim17ROCPRIM_400000_NS6detail17trampoline_kernelINS0_13select_configILj256ELj13ELNS0_17block_load_methodE3ELS4_3ELS4_3ELNS0_20block_scan_algorithmE0ELj4294967295EEENS1_25partition_config_selectorILNS1_17partition_subalgoE3EjNS0_10empty_typeEbEEZZNS1_14partition_implILS8_3ELb0ES6_jNS0_17counting_iteratorIjlEEPS9_SE_NS0_5tupleIJPjSE_EEENSF_IJSE_SE_EEES9_SG_JZNS1_25segmented_radix_sort_implINS0_14default_configELb0EPKaPaPKlPlN2at6native12_GLOBAL__N_18offset_tEEE10hipError_tPvRmT1_PNSt15iterator_traitsISY_E10value_typeET2_T3_PNSZ_IS14_E10value_typeET4_jRbjT5_S1A_jjP12ihipStream_tbEUljE_EEESV_SW_SX_S14_S18_S1A_T6_T7_T9_mT8_S1C_bDpT10_ENKUlT_T0_E_clISt17integral_constantIbLb0EES1P_EEDaS1K_S1L_EUlS1K_E_NS1_11comp_targetILNS1_3genE5ELNS1_11target_archE942ELNS1_3gpuE9ELNS1_3repE0EEENS1_30default_config_static_selectorELNS0_4arch9wavefront6targetE0EEEvSY_ ; -- Begin function _ZN7rocprim17ROCPRIM_400000_NS6detail17trampoline_kernelINS0_13select_configILj256ELj13ELNS0_17block_load_methodE3ELS4_3ELS4_3ELNS0_20block_scan_algorithmE0ELj4294967295EEENS1_25partition_config_selectorILNS1_17partition_subalgoE3EjNS0_10empty_typeEbEEZZNS1_14partition_implILS8_3ELb0ES6_jNS0_17counting_iteratorIjlEEPS9_SE_NS0_5tupleIJPjSE_EEENSF_IJSE_SE_EEES9_SG_JZNS1_25segmented_radix_sort_implINS0_14default_configELb0EPKaPaPKlPlN2at6native12_GLOBAL__N_18offset_tEEE10hipError_tPvRmT1_PNSt15iterator_traitsISY_E10value_typeET2_T3_PNSZ_IS14_E10value_typeET4_jRbjT5_S1A_jjP12ihipStream_tbEUljE_EEESV_SW_SX_S14_S18_S1A_T6_T7_T9_mT8_S1C_bDpT10_ENKUlT_T0_E_clISt17integral_constantIbLb0EES1P_EEDaS1K_S1L_EUlS1K_E_NS1_11comp_targetILNS1_3genE5ELNS1_11target_archE942ELNS1_3gpuE9ELNS1_3repE0EEENS1_30default_config_static_selectorELNS0_4arch9wavefront6targetE0EEEvSY_
	.p2align	8
	.type	_ZN7rocprim17ROCPRIM_400000_NS6detail17trampoline_kernelINS0_13select_configILj256ELj13ELNS0_17block_load_methodE3ELS4_3ELS4_3ELNS0_20block_scan_algorithmE0ELj4294967295EEENS1_25partition_config_selectorILNS1_17partition_subalgoE3EjNS0_10empty_typeEbEEZZNS1_14partition_implILS8_3ELb0ES6_jNS0_17counting_iteratorIjlEEPS9_SE_NS0_5tupleIJPjSE_EEENSF_IJSE_SE_EEES9_SG_JZNS1_25segmented_radix_sort_implINS0_14default_configELb0EPKaPaPKlPlN2at6native12_GLOBAL__N_18offset_tEEE10hipError_tPvRmT1_PNSt15iterator_traitsISY_E10value_typeET2_T3_PNSZ_IS14_E10value_typeET4_jRbjT5_S1A_jjP12ihipStream_tbEUljE_EEESV_SW_SX_S14_S18_S1A_T6_T7_T9_mT8_S1C_bDpT10_ENKUlT_T0_E_clISt17integral_constantIbLb0EES1P_EEDaS1K_S1L_EUlS1K_E_NS1_11comp_targetILNS1_3genE5ELNS1_11target_archE942ELNS1_3gpuE9ELNS1_3repE0EEENS1_30default_config_static_selectorELNS0_4arch9wavefront6targetE0EEEvSY_,@function
_ZN7rocprim17ROCPRIM_400000_NS6detail17trampoline_kernelINS0_13select_configILj256ELj13ELNS0_17block_load_methodE3ELS4_3ELS4_3ELNS0_20block_scan_algorithmE0ELj4294967295EEENS1_25partition_config_selectorILNS1_17partition_subalgoE3EjNS0_10empty_typeEbEEZZNS1_14partition_implILS8_3ELb0ES6_jNS0_17counting_iteratorIjlEEPS9_SE_NS0_5tupleIJPjSE_EEENSF_IJSE_SE_EEES9_SG_JZNS1_25segmented_radix_sort_implINS0_14default_configELb0EPKaPaPKlPlN2at6native12_GLOBAL__N_18offset_tEEE10hipError_tPvRmT1_PNSt15iterator_traitsISY_E10value_typeET2_T3_PNSZ_IS14_E10value_typeET4_jRbjT5_S1A_jjP12ihipStream_tbEUljE_EEESV_SW_SX_S14_S18_S1A_T6_T7_T9_mT8_S1C_bDpT10_ENKUlT_T0_E_clISt17integral_constantIbLb0EES1P_EEDaS1K_S1L_EUlS1K_E_NS1_11comp_targetILNS1_3genE5ELNS1_11target_archE942ELNS1_3gpuE9ELNS1_3repE0EEENS1_30default_config_static_selectorELNS0_4arch9wavefront6targetE0EEEvSY_: ; @_ZN7rocprim17ROCPRIM_400000_NS6detail17trampoline_kernelINS0_13select_configILj256ELj13ELNS0_17block_load_methodE3ELS4_3ELS4_3ELNS0_20block_scan_algorithmE0ELj4294967295EEENS1_25partition_config_selectorILNS1_17partition_subalgoE3EjNS0_10empty_typeEbEEZZNS1_14partition_implILS8_3ELb0ES6_jNS0_17counting_iteratorIjlEEPS9_SE_NS0_5tupleIJPjSE_EEENSF_IJSE_SE_EEES9_SG_JZNS1_25segmented_radix_sort_implINS0_14default_configELb0EPKaPaPKlPlN2at6native12_GLOBAL__N_18offset_tEEE10hipError_tPvRmT1_PNSt15iterator_traitsISY_E10value_typeET2_T3_PNSZ_IS14_E10value_typeET4_jRbjT5_S1A_jjP12ihipStream_tbEUljE_EEESV_SW_SX_S14_S18_S1A_T6_T7_T9_mT8_S1C_bDpT10_ENKUlT_T0_E_clISt17integral_constantIbLb0EES1P_EEDaS1K_S1L_EUlS1K_E_NS1_11comp_targetILNS1_3genE5ELNS1_11target_archE942ELNS1_3gpuE9ELNS1_3repE0EEENS1_30default_config_static_selectorELNS0_4arch9wavefront6targetE0EEEvSY_
; %bb.0:
	.section	.rodata,"a",@progbits
	.p2align	6, 0x0
	.amdhsa_kernel _ZN7rocprim17ROCPRIM_400000_NS6detail17trampoline_kernelINS0_13select_configILj256ELj13ELNS0_17block_load_methodE3ELS4_3ELS4_3ELNS0_20block_scan_algorithmE0ELj4294967295EEENS1_25partition_config_selectorILNS1_17partition_subalgoE3EjNS0_10empty_typeEbEEZZNS1_14partition_implILS8_3ELb0ES6_jNS0_17counting_iteratorIjlEEPS9_SE_NS0_5tupleIJPjSE_EEENSF_IJSE_SE_EEES9_SG_JZNS1_25segmented_radix_sort_implINS0_14default_configELb0EPKaPaPKlPlN2at6native12_GLOBAL__N_18offset_tEEE10hipError_tPvRmT1_PNSt15iterator_traitsISY_E10value_typeET2_T3_PNSZ_IS14_E10value_typeET4_jRbjT5_S1A_jjP12ihipStream_tbEUljE_EEESV_SW_SX_S14_S18_S1A_T6_T7_T9_mT8_S1C_bDpT10_ENKUlT_T0_E_clISt17integral_constantIbLb0EES1P_EEDaS1K_S1L_EUlS1K_E_NS1_11comp_targetILNS1_3genE5ELNS1_11target_archE942ELNS1_3gpuE9ELNS1_3repE0EEENS1_30default_config_static_selectorELNS0_4arch9wavefront6targetE0EEEvSY_
		.amdhsa_group_segment_fixed_size 0
		.amdhsa_private_segment_fixed_size 0
		.amdhsa_kernarg_size 144
		.amdhsa_user_sgpr_count 6
		.amdhsa_user_sgpr_private_segment_buffer 1
		.amdhsa_user_sgpr_dispatch_ptr 0
		.amdhsa_user_sgpr_queue_ptr 0
		.amdhsa_user_sgpr_kernarg_segment_ptr 1
		.amdhsa_user_sgpr_dispatch_id 0
		.amdhsa_user_sgpr_flat_scratch_init 0
		.amdhsa_user_sgpr_private_segment_size 0
		.amdhsa_wavefront_size32 1
		.amdhsa_uses_dynamic_stack 0
		.amdhsa_system_sgpr_private_segment_wavefront_offset 0
		.amdhsa_system_sgpr_workgroup_id_x 1
		.amdhsa_system_sgpr_workgroup_id_y 0
		.amdhsa_system_sgpr_workgroup_id_z 0
		.amdhsa_system_sgpr_workgroup_info 0
		.amdhsa_system_vgpr_workitem_id 0
		.amdhsa_next_free_vgpr 1
		.amdhsa_next_free_sgpr 1
		.amdhsa_reserve_vcc 0
		.amdhsa_reserve_flat_scratch 0
		.amdhsa_float_round_mode_32 0
		.amdhsa_float_round_mode_16_64 0
		.amdhsa_float_denorm_mode_32 3
		.amdhsa_float_denorm_mode_16_64 3
		.amdhsa_dx10_clamp 1
		.amdhsa_ieee_mode 1
		.amdhsa_fp16_overflow 0
		.amdhsa_workgroup_processor_mode 1
		.amdhsa_memory_ordered 1
		.amdhsa_forward_progress 1
		.amdhsa_shared_vgpr_count 0
		.amdhsa_exception_fp_ieee_invalid_op 0
		.amdhsa_exception_fp_denorm_src 0
		.amdhsa_exception_fp_ieee_div_zero 0
		.amdhsa_exception_fp_ieee_overflow 0
		.amdhsa_exception_fp_ieee_underflow 0
		.amdhsa_exception_fp_ieee_inexact 0
		.amdhsa_exception_int_div_zero 0
	.end_amdhsa_kernel
	.section	.text._ZN7rocprim17ROCPRIM_400000_NS6detail17trampoline_kernelINS0_13select_configILj256ELj13ELNS0_17block_load_methodE3ELS4_3ELS4_3ELNS0_20block_scan_algorithmE0ELj4294967295EEENS1_25partition_config_selectorILNS1_17partition_subalgoE3EjNS0_10empty_typeEbEEZZNS1_14partition_implILS8_3ELb0ES6_jNS0_17counting_iteratorIjlEEPS9_SE_NS0_5tupleIJPjSE_EEENSF_IJSE_SE_EEES9_SG_JZNS1_25segmented_radix_sort_implINS0_14default_configELb0EPKaPaPKlPlN2at6native12_GLOBAL__N_18offset_tEEE10hipError_tPvRmT1_PNSt15iterator_traitsISY_E10value_typeET2_T3_PNSZ_IS14_E10value_typeET4_jRbjT5_S1A_jjP12ihipStream_tbEUljE_EEESV_SW_SX_S14_S18_S1A_T6_T7_T9_mT8_S1C_bDpT10_ENKUlT_T0_E_clISt17integral_constantIbLb0EES1P_EEDaS1K_S1L_EUlS1K_E_NS1_11comp_targetILNS1_3genE5ELNS1_11target_archE942ELNS1_3gpuE9ELNS1_3repE0EEENS1_30default_config_static_selectorELNS0_4arch9wavefront6targetE0EEEvSY_,"axG",@progbits,_ZN7rocprim17ROCPRIM_400000_NS6detail17trampoline_kernelINS0_13select_configILj256ELj13ELNS0_17block_load_methodE3ELS4_3ELS4_3ELNS0_20block_scan_algorithmE0ELj4294967295EEENS1_25partition_config_selectorILNS1_17partition_subalgoE3EjNS0_10empty_typeEbEEZZNS1_14partition_implILS8_3ELb0ES6_jNS0_17counting_iteratorIjlEEPS9_SE_NS0_5tupleIJPjSE_EEENSF_IJSE_SE_EEES9_SG_JZNS1_25segmented_radix_sort_implINS0_14default_configELb0EPKaPaPKlPlN2at6native12_GLOBAL__N_18offset_tEEE10hipError_tPvRmT1_PNSt15iterator_traitsISY_E10value_typeET2_T3_PNSZ_IS14_E10value_typeET4_jRbjT5_S1A_jjP12ihipStream_tbEUljE_EEESV_SW_SX_S14_S18_S1A_T6_T7_T9_mT8_S1C_bDpT10_ENKUlT_T0_E_clISt17integral_constantIbLb0EES1P_EEDaS1K_S1L_EUlS1K_E_NS1_11comp_targetILNS1_3genE5ELNS1_11target_archE942ELNS1_3gpuE9ELNS1_3repE0EEENS1_30default_config_static_selectorELNS0_4arch9wavefront6targetE0EEEvSY_,comdat
.Lfunc_end359:
	.size	_ZN7rocprim17ROCPRIM_400000_NS6detail17trampoline_kernelINS0_13select_configILj256ELj13ELNS0_17block_load_methodE3ELS4_3ELS4_3ELNS0_20block_scan_algorithmE0ELj4294967295EEENS1_25partition_config_selectorILNS1_17partition_subalgoE3EjNS0_10empty_typeEbEEZZNS1_14partition_implILS8_3ELb0ES6_jNS0_17counting_iteratorIjlEEPS9_SE_NS0_5tupleIJPjSE_EEENSF_IJSE_SE_EEES9_SG_JZNS1_25segmented_radix_sort_implINS0_14default_configELb0EPKaPaPKlPlN2at6native12_GLOBAL__N_18offset_tEEE10hipError_tPvRmT1_PNSt15iterator_traitsISY_E10value_typeET2_T3_PNSZ_IS14_E10value_typeET4_jRbjT5_S1A_jjP12ihipStream_tbEUljE_EEESV_SW_SX_S14_S18_S1A_T6_T7_T9_mT8_S1C_bDpT10_ENKUlT_T0_E_clISt17integral_constantIbLb0EES1P_EEDaS1K_S1L_EUlS1K_E_NS1_11comp_targetILNS1_3genE5ELNS1_11target_archE942ELNS1_3gpuE9ELNS1_3repE0EEENS1_30default_config_static_selectorELNS0_4arch9wavefront6targetE0EEEvSY_, .Lfunc_end359-_ZN7rocprim17ROCPRIM_400000_NS6detail17trampoline_kernelINS0_13select_configILj256ELj13ELNS0_17block_load_methodE3ELS4_3ELS4_3ELNS0_20block_scan_algorithmE0ELj4294967295EEENS1_25partition_config_selectorILNS1_17partition_subalgoE3EjNS0_10empty_typeEbEEZZNS1_14partition_implILS8_3ELb0ES6_jNS0_17counting_iteratorIjlEEPS9_SE_NS0_5tupleIJPjSE_EEENSF_IJSE_SE_EEES9_SG_JZNS1_25segmented_radix_sort_implINS0_14default_configELb0EPKaPaPKlPlN2at6native12_GLOBAL__N_18offset_tEEE10hipError_tPvRmT1_PNSt15iterator_traitsISY_E10value_typeET2_T3_PNSZ_IS14_E10value_typeET4_jRbjT5_S1A_jjP12ihipStream_tbEUljE_EEESV_SW_SX_S14_S18_S1A_T6_T7_T9_mT8_S1C_bDpT10_ENKUlT_T0_E_clISt17integral_constantIbLb0EES1P_EEDaS1K_S1L_EUlS1K_E_NS1_11comp_targetILNS1_3genE5ELNS1_11target_archE942ELNS1_3gpuE9ELNS1_3repE0EEENS1_30default_config_static_selectorELNS0_4arch9wavefront6targetE0EEEvSY_
                                        ; -- End function
	.set _ZN7rocprim17ROCPRIM_400000_NS6detail17trampoline_kernelINS0_13select_configILj256ELj13ELNS0_17block_load_methodE3ELS4_3ELS4_3ELNS0_20block_scan_algorithmE0ELj4294967295EEENS1_25partition_config_selectorILNS1_17partition_subalgoE3EjNS0_10empty_typeEbEEZZNS1_14partition_implILS8_3ELb0ES6_jNS0_17counting_iteratorIjlEEPS9_SE_NS0_5tupleIJPjSE_EEENSF_IJSE_SE_EEES9_SG_JZNS1_25segmented_radix_sort_implINS0_14default_configELb0EPKaPaPKlPlN2at6native12_GLOBAL__N_18offset_tEEE10hipError_tPvRmT1_PNSt15iterator_traitsISY_E10value_typeET2_T3_PNSZ_IS14_E10value_typeET4_jRbjT5_S1A_jjP12ihipStream_tbEUljE_EEESV_SW_SX_S14_S18_S1A_T6_T7_T9_mT8_S1C_bDpT10_ENKUlT_T0_E_clISt17integral_constantIbLb0EES1P_EEDaS1K_S1L_EUlS1K_E_NS1_11comp_targetILNS1_3genE5ELNS1_11target_archE942ELNS1_3gpuE9ELNS1_3repE0EEENS1_30default_config_static_selectorELNS0_4arch9wavefront6targetE0EEEvSY_.num_vgpr, 0
	.set _ZN7rocprim17ROCPRIM_400000_NS6detail17trampoline_kernelINS0_13select_configILj256ELj13ELNS0_17block_load_methodE3ELS4_3ELS4_3ELNS0_20block_scan_algorithmE0ELj4294967295EEENS1_25partition_config_selectorILNS1_17partition_subalgoE3EjNS0_10empty_typeEbEEZZNS1_14partition_implILS8_3ELb0ES6_jNS0_17counting_iteratorIjlEEPS9_SE_NS0_5tupleIJPjSE_EEENSF_IJSE_SE_EEES9_SG_JZNS1_25segmented_radix_sort_implINS0_14default_configELb0EPKaPaPKlPlN2at6native12_GLOBAL__N_18offset_tEEE10hipError_tPvRmT1_PNSt15iterator_traitsISY_E10value_typeET2_T3_PNSZ_IS14_E10value_typeET4_jRbjT5_S1A_jjP12ihipStream_tbEUljE_EEESV_SW_SX_S14_S18_S1A_T6_T7_T9_mT8_S1C_bDpT10_ENKUlT_T0_E_clISt17integral_constantIbLb0EES1P_EEDaS1K_S1L_EUlS1K_E_NS1_11comp_targetILNS1_3genE5ELNS1_11target_archE942ELNS1_3gpuE9ELNS1_3repE0EEENS1_30default_config_static_selectorELNS0_4arch9wavefront6targetE0EEEvSY_.num_agpr, 0
	.set _ZN7rocprim17ROCPRIM_400000_NS6detail17trampoline_kernelINS0_13select_configILj256ELj13ELNS0_17block_load_methodE3ELS4_3ELS4_3ELNS0_20block_scan_algorithmE0ELj4294967295EEENS1_25partition_config_selectorILNS1_17partition_subalgoE3EjNS0_10empty_typeEbEEZZNS1_14partition_implILS8_3ELb0ES6_jNS0_17counting_iteratorIjlEEPS9_SE_NS0_5tupleIJPjSE_EEENSF_IJSE_SE_EEES9_SG_JZNS1_25segmented_radix_sort_implINS0_14default_configELb0EPKaPaPKlPlN2at6native12_GLOBAL__N_18offset_tEEE10hipError_tPvRmT1_PNSt15iterator_traitsISY_E10value_typeET2_T3_PNSZ_IS14_E10value_typeET4_jRbjT5_S1A_jjP12ihipStream_tbEUljE_EEESV_SW_SX_S14_S18_S1A_T6_T7_T9_mT8_S1C_bDpT10_ENKUlT_T0_E_clISt17integral_constantIbLb0EES1P_EEDaS1K_S1L_EUlS1K_E_NS1_11comp_targetILNS1_3genE5ELNS1_11target_archE942ELNS1_3gpuE9ELNS1_3repE0EEENS1_30default_config_static_selectorELNS0_4arch9wavefront6targetE0EEEvSY_.numbered_sgpr, 0
	.set _ZN7rocprim17ROCPRIM_400000_NS6detail17trampoline_kernelINS0_13select_configILj256ELj13ELNS0_17block_load_methodE3ELS4_3ELS4_3ELNS0_20block_scan_algorithmE0ELj4294967295EEENS1_25partition_config_selectorILNS1_17partition_subalgoE3EjNS0_10empty_typeEbEEZZNS1_14partition_implILS8_3ELb0ES6_jNS0_17counting_iteratorIjlEEPS9_SE_NS0_5tupleIJPjSE_EEENSF_IJSE_SE_EEES9_SG_JZNS1_25segmented_radix_sort_implINS0_14default_configELb0EPKaPaPKlPlN2at6native12_GLOBAL__N_18offset_tEEE10hipError_tPvRmT1_PNSt15iterator_traitsISY_E10value_typeET2_T3_PNSZ_IS14_E10value_typeET4_jRbjT5_S1A_jjP12ihipStream_tbEUljE_EEESV_SW_SX_S14_S18_S1A_T6_T7_T9_mT8_S1C_bDpT10_ENKUlT_T0_E_clISt17integral_constantIbLb0EES1P_EEDaS1K_S1L_EUlS1K_E_NS1_11comp_targetILNS1_3genE5ELNS1_11target_archE942ELNS1_3gpuE9ELNS1_3repE0EEENS1_30default_config_static_selectorELNS0_4arch9wavefront6targetE0EEEvSY_.num_named_barrier, 0
	.set _ZN7rocprim17ROCPRIM_400000_NS6detail17trampoline_kernelINS0_13select_configILj256ELj13ELNS0_17block_load_methodE3ELS4_3ELS4_3ELNS0_20block_scan_algorithmE0ELj4294967295EEENS1_25partition_config_selectorILNS1_17partition_subalgoE3EjNS0_10empty_typeEbEEZZNS1_14partition_implILS8_3ELb0ES6_jNS0_17counting_iteratorIjlEEPS9_SE_NS0_5tupleIJPjSE_EEENSF_IJSE_SE_EEES9_SG_JZNS1_25segmented_radix_sort_implINS0_14default_configELb0EPKaPaPKlPlN2at6native12_GLOBAL__N_18offset_tEEE10hipError_tPvRmT1_PNSt15iterator_traitsISY_E10value_typeET2_T3_PNSZ_IS14_E10value_typeET4_jRbjT5_S1A_jjP12ihipStream_tbEUljE_EEESV_SW_SX_S14_S18_S1A_T6_T7_T9_mT8_S1C_bDpT10_ENKUlT_T0_E_clISt17integral_constantIbLb0EES1P_EEDaS1K_S1L_EUlS1K_E_NS1_11comp_targetILNS1_3genE5ELNS1_11target_archE942ELNS1_3gpuE9ELNS1_3repE0EEENS1_30default_config_static_selectorELNS0_4arch9wavefront6targetE0EEEvSY_.private_seg_size, 0
	.set _ZN7rocprim17ROCPRIM_400000_NS6detail17trampoline_kernelINS0_13select_configILj256ELj13ELNS0_17block_load_methodE3ELS4_3ELS4_3ELNS0_20block_scan_algorithmE0ELj4294967295EEENS1_25partition_config_selectorILNS1_17partition_subalgoE3EjNS0_10empty_typeEbEEZZNS1_14partition_implILS8_3ELb0ES6_jNS0_17counting_iteratorIjlEEPS9_SE_NS0_5tupleIJPjSE_EEENSF_IJSE_SE_EEES9_SG_JZNS1_25segmented_radix_sort_implINS0_14default_configELb0EPKaPaPKlPlN2at6native12_GLOBAL__N_18offset_tEEE10hipError_tPvRmT1_PNSt15iterator_traitsISY_E10value_typeET2_T3_PNSZ_IS14_E10value_typeET4_jRbjT5_S1A_jjP12ihipStream_tbEUljE_EEESV_SW_SX_S14_S18_S1A_T6_T7_T9_mT8_S1C_bDpT10_ENKUlT_T0_E_clISt17integral_constantIbLb0EES1P_EEDaS1K_S1L_EUlS1K_E_NS1_11comp_targetILNS1_3genE5ELNS1_11target_archE942ELNS1_3gpuE9ELNS1_3repE0EEENS1_30default_config_static_selectorELNS0_4arch9wavefront6targetE0EEEvSY_.uses_vcc, 0
	.set _ZN7rocprim17ROCPRIM_400000_NS6detail17trampoline_kernelINS0_13select_configILj256ELj13ELNS0_17block_load_methodE3ELS4_3ELS4_3ELNS0_20block_scan_algorithmE0ELj4294967295EEENS1_25partition_config_selectorILNS1_17partition_subalgoE3EjNS0_10empty_typeEbEEZZNS1_14partition_implILS8_3ELb0ES6_jNS0_17counting_iteratorIjlEEPS9_SE_NS0_5tupleIJPjSE_EEENSF_IJSE_SE_EEES9_SG_JZNS1_25segmented_radix_sort_implINS0_14default_configELb0EPKaPaPKlPlN2at6native12_GLOBAL__N_18offset_tEEE10hipError_tPvRmT1_PNSt15iterator_traitsISY_E10value_typeET2_T3_PNSZ_IS14_E10value_typeET4_jRbjT5_S1A_jjP12ihipStream_tbEUljE_EEESV_SW_SX_S14_S18_S1A_T6_T7_T9_mT8_S1C_bDpT10_ENKUlT_T0_E_clISt17integral_constantIbLb0EES1P_EEDaS1K_S1L_EUlS1K_E_NS1_11comp_targetILNS1_3genE5ELNS1_11target_archE942ELNS1_3gpuE9ELNS1_3repE0EEENS1_30default_config_static_selectorELNS0_4arch9wavefront6targetE0EEEvSY_.uses_flat_scratch, 0
	.set _ZN7rocprim17ROCPRIM_400000_NS6detail17trampoline_kernelINS0_13select_configILj256ELj13ELNS0_17block_load_methodE3ELS4_3ELS4_3ELNS0_20block_scan_algorithmE0ELj4294967295EEENS1_25partition_config_selectorILNS1_17partition_subalgoE3EjNS0_10empty_typeEbEEZZNS1_14partition_implILS8_3ELb0ES6_jNS0_17counting_iteratorIjlEEPS9_SE_NS0_5tupleIJPjSE_EEENSF_IJSE_SE_EEES9_SG_JZNS1_25segmented_radix_sort_implINS0_14default_configELb0EPKaPaPKlPlN2at6native12_GLOBAL__N_18offset_tEEE10hipError_tPvRmT1_PNSt15iterator_traitsISY_E10value_typeET2_T3_PNSZ_IS14_E10value_typeET4_jRbjT5_S1A_jjP12ihipStream_tbEUljE_EEESV_SW_SX_S14_S18_S1A_T6_T7_T9_mT8_S1C_bDpT10_ENKUlT_T0_E_clISt17integral_constantIbLb0EES1P_EEDaS1K_S1L_EUlS1K_E_NS1_11comp_targetILNS1_3genE5ELNS1_11target_archE942ELNS1_3gpuE9ELNS1_3repE0EEENS1_30default_config_static_selectorELNS0_4arch9wavefront6targetE0EEEvSY_.has_dyn_sized_stack, 0
	.set _ZN7rocprim17ROCPRIM_400000_NS6detail17trampoline_kernelINS0_13select_configILj256ELj13ELNS0_17block_load_methodE3ELS4_3ELS4_3ELNS0_20block_scan_algorithmE0ELj4294967295EEENS1_25partition_config_selectorILNS1_17partition_subalgoE3EjNS0_10empty_typeEbEEZZNS1_14partition_implILS8_3ELb0ES6_jNS0_17counting_iteratorIjlEEPS9_SE_NS0_5tupleIJPjSE_EEENSF_IJSE_SE_EEES9_SG_JZNS1_25segmented_radix_sort_implINS0_14default_configELb0EPKaPaPKlPlN2at6native12_GLOBAL__N_18offset_tEEE10hipError_tPvRmT1_PNSt15iterator_traitsISY_E10value_typeET2_T3_PNSZ_IS14_E10value_typeET4_jRbjT5_S1A_jjP12ihipStream_tbEUljE_EEESV_SW_SX_S14_S18_S1A_T6_T7_T9_mT8_S1C_bDpT10_ENKUlT_T0_E_clISt17integral_constantIbLb0EES1P_EEDaS1K_S1L_EUlS1K_E_NS1_11comp_targetILNS1_3genE5ELNS1_11target_archE942ELNS1_3gpuE9ELNS1_3repE0EEENS1_30default_config_static_selectorELNS0_4arch9wavefront6targetE0EEEvSY_.has_recursion, 0
	.set _ZN7rocprim17ROCPRIM_400000_NS6detail17trampoline_kernelINS0_13select_configILj256ELj13ELNS0_17block_load_methodE3ELS4_3ELS4_3ELNS0_20block_scan_algorithmE0ELj4294967295EEENS1_25partition_config_selectorILNS1_17partition_subalgoE3EjNS0_10empty_typeEbEEZZNS1_14partition_implILS8_3ELb0ES6_jNS0_17counting_iteratorIjlEEPS9_SE_NS0_5tupleIJPjSE_EEENSF_IJSE_SE_EEES9_SG_JZNS1_25segmented_radix_sort_implINS0_14default_configELb0EPKaPaPKlPlN2at6native12_GLOBAL__N_18offset_tEEE10hipError_tPvRmT1_PNSt15iterator_traitsISY_E10value_typeET2_T3_PNSZ_IS14_E10value_typeET4_jRbjT5_S1A_jjP12ihipStream_tbEUljE_EEESV_SW_SX_S14_S18_S1A_T6_T7_T9_mT8_S1C_bDpT10_ENKUlT_T0_E_clISt17integral_constantIbLb0EES1P_EEDaS1K_S1L_EUlS1K_E_NS1_11comp_targetILNS1_3genE5ELNS1_11target_archE942ELNS1_3gpuE9ELNS1_3repE0EEENS1_30default_config_static_selectorELNS0_4arch9wavefront6targetE0EEEvSY_.has_indirect_call, 0
	.section	.AMDGPU.csdata,"",@progbits
; Kernel info:
; codeLenInByte = 0
; TotalNumSgprs: 0
; NumVgprs: 0
; ScratchSize: 0
; MemoryBound: 0
; FloatMode: 240
; IeeeMode: 1
; LDSByteSize: 0 bytes/workgroup (compile time only)
; SGPRBlocks: 0
; VGPRBlocks: 0
; NumSGPRsForWavesPerEU: 1
; NumVGPRsForWavesPerEU: 1
; Occupancy: 16
; WaveLimiterHint : 0
; COMPUTE_PGM_RSRC2:SCRATCH_EN: 0
; COMPUTE_PGM_RSRC2:USER_SGPR: 6
; COMPUTE_PGM_RSRC2:TRAP_HANDLER: 0
; COMPUTE_PGM_RSRC2:TGID_X_EN: 1
; COMPUTE_PGM_RSRC2:TGID_Y_EN: 0
; COMPUTE_PGM_RSRC2:TGID_Z_EN: 0
; COMPUTE_PGM_RSRC2:TIDIG_COMP_CNT: 0
	.section	.text._ZN7rocprim17ROCPRIM_400000_NS6detail17trampoline_kernelINS0_13select_configILj256ELj13ELNS0_17block_load_methodE3ELS4_3ELS4_3ELNS0_20block_scan_algorithmE0ELj4294967295EEENS1_25partition_config_selectorILNS1_17partition_subalgoE3EjNS0_10empty_typeEbEEZZNS1_14partition_implILS8_3ELb0ES6_jNS0_17counting_iteratorIjlEEPS9_SE_NS0_5tupleIJPjSE_EEENSF_IJSE_SE_EEES9_SG_JZNS1_25segmented_radix_sort_implINS0_14default_configELb0EPKaPaPKlPlN2at6native12_GLOBAL__N_18offset_tEEE10hipError_tPvRmT1_PNSt15iterator_traitsISY_E10value_typeET2_T3_PNSZ_IS14_E10value_typeET4_jRbjT5_S1A_jjP12ihipStream_tbEUljE_EEESV_SW_SX_S14_S18_S1A_T6_T7_T9_mT8_S1C_bDpT10_ENKUlT_T0_E_clISt17integral_constantIbLb0EES1P_EEDaS1K_S1L_EUlS1K_E_NS1_11comp_targetILNS1_3genE4ELNS1_11target_archE910ELNS1_3gpuE8ELNS1_3repE0EEENS1_30default_config_static_selectorELNS0_4arch9wavefront6targetE0EEEvSY_,"axG",@progbits,_ZN7rocprim17ROCPRIM_400000_NS6detail17trampoline_kernelINS0_13select_configILj256ELj13ELNS0_17block_load_methodE3ELS4_3ELS4_3ELNS0_20block_scan_algorithmE0ELj4294967295EEENS1_25partition_config_selectorILNS1_17partition_subalgoE3EjNS0_10empty_typeEbEEZZNS1_14partition_implILS8_3ELb0ES6_jNS0_17counting_iteratorIjlEEPS9_SE_NS0_5tupleIJPjSE_EEENSF_IJSE_SE_EEES9_SG_JZNS1_25segmented_radix_sort_implINS0_14default_configELb0EPKaPaPKlPlN2at6native12_GLOBAL__N_18offset_tEEE10hipError_tPvRmT1_PNSt15iterator_traitsISY_E10value_typeET2_T3_PNSZ_IS14_E10value_typeET4_jRbjT5_S1A_jjP12ihipStream_tbEUljE_EEESV_SW_SX_S14_S18_S1A_T6_T7_T9_mT8_S1C_bDpT10_ENKUlT_T0_E_clISt17integral_constantIbLb0EES1P_EEDaS1K_S1L_EUlS1K_E_NS1_11comp_targetILNS1_3genE4ELNS1_11target_archE910ELNS1_3gpuE8ELNS1_3repE0EEENS1_30default_config_static_selectorELNS0_4arch9wavefront6targetE0EEEvSY_,comdat
	.globl	_ZN7rocprim17ROCPRIM_400000_NS6detail17trampoline_kernelINS0_13select_configILj256ELj13ELNS0_17block_load_methodE3ELS4_3ELS4_3ELNS0_20block_scan_algorithmE0ELj4294967295EEENS1_25partition_config_selectorILNS1_17partition_subalgoE3EjNS0_10empty_typeEbEEZZNS1_14partition_implILS8_3ELb0ES6_jNS0_17counting_iteratorIjlEEPS9_SE_NS0_5tupleIJPjSE_EEENSF_IJSE_SE_EEES9_SG_JZNS1_25segmented_radix_sort_implINS0_14default_configELb0EPKaPaPKlPlN2at6native12_GLOBAL__N_18offset_tEEE10hipError_tPvRmT1_PNSt15iterator_traitsISY_E10value_typeET2_T3_PNSZ_IS14_E10value_typeET4_jRbjT5_S1A_jjP12ihipStream_tbEUljE_EEESV_SW_SX_S14_S18_S1A_T6_T7_T9_mT8_S1C_bDpT10_ENKUlT_T0_E_clISt17integral_constantIbLb0EES1P_EEDaS1K_S1L_EUlS1K_E_NS1_11comp_targetILNS1_3genE4ELNS1_11target_archE910ELNS1_3gpuE8ELNS1_3repE0EEENS1_30default_config_static_selectorELNS0_4arch9wavefront6targetE0EEEvSY_ ; -- Begin function _ZN7rocprim17ROCPRIM_400000_NS6detail17trampoline_kernelINS0_13select_configILj256ELj13ELNS0_17block_load_methodE3ELS4_3ELS4_3ELNS0_20block_scan_algorithmE0ELj4294967295EEENS1_25partition_config_selectorILNS1_17partition_subalgoE3EjNS0_10empty_typeEbEEZZNS1_14partition_implILS8_3ELb0ES6_jNS0_17counting_iteratorIjlEEPS9_SE_NS0_5tupleIJPjSE_EEENSF_IJSE_SE_EEES9_SG_JZNS1_25segmented_radix_sort_implINS0_14default_configELb0EPKaPaPKlPlN2at6native12_GLOBAL__N_18offset_tEEE10hipError_tPvRmT1_PNSt15iterator_traitsISY_E10value_typeET2_T3_PNSZ_IS14_E10value_typeET4_jRbjT5_S1A_jjP12ihipStream_tbEUljE_EEESV_SW_SX_S14_S18_S1A_T6_T7_T9_mT8_S1C_bDpT10_ENKUlT_T0_E_clISt17integral_constantIbLb0EES1P_EEDaS1K_S1L_EUlS1K_E_NS1_11comp_targetILNS1_3genE4ELNS1_11target_archE910ELNS1_3gpuE8ELNS1_3repE0EEENS1_30default_config_static_selectorELNS0_4arch9wavefront6targetE0EEEvSY_
	.p2align	8
	.type	_ZN7rocprim17ROCPRIM_400000_NS6detail17trampoline_kernelINS0_13select_configILj256ELj13ELNS0_17block_load_methodE3ELS4_3ELS4_3ELNS0_20block_scan_algorithmE0ELj4294967295EEENS1_25partition_config_selectorILNS1_17partition_subalgoE3EjNS0_10empty_typeEbEEZZNS1_14partition_implILS8_3ELb0ES6_jNS0_17counting_iteratorIjlEEPS9_SE_NS0_5tupleIJPjSE_EEENSF_IJSE_SE_EEES9_SG_JZNS1_25segmented_radix_sort_implINS0_14default_configELb0EPKaPaPKlPlN2at6native12_GLOBAL__N_18offset_tEEE10hipError_tPvRmT1_PNSt15iterator_traitsISY_E10value_typeET2_T3_PNSZ_IS14_E10value_typeET4_jRbjT5_S1A_jjP12ihipStream_tbEUljE_EEESV_SW_SX_S14_S18_S1A_T6_T7_T9_mT8_S1C_bDpT10_ENKUlT_T0_E_clISt17integral_constantIbLb0EES1P_EEDaS1K_S1L_EUlS1K_E_NS1_11comp_targetILNS1_3genE4ELNS1_11target_archE910ELNS1_3gpuE8ELNS1_3repE0EEENS1_30default_config_static_selectorELNS0_4arch9wavefront6targetE0EEEvSY_,@function
_ZN7rocprim17ROCPRIM_400000_NS6detail17trampoline_kernelINS0_13select_configILj256ELj13ELNS0_17block_load_methodE3ELS4_3ELS4_3ELNS0_20block_scan_algorithmE0ELj4294967295EEENS1_25partition_config_selectorILNS1_17partition_subalgoE3EjNS0_10empty_typeEbEEZZNS1_14partition_implILS8_3ELb0ES6_jNS0_17counting_iteratorIjlEEPS9_SE_NS0_5tupleIJPjSE_EEENSF_IJSE_SE_EEES9_SG_JZNS1_25segmented_radix_sort_implINS0_14default_configELb0EPKaPaPKlPlN2at6native12_GLOBAL__N_18offset_tEEE10hipError_tPvRmT1_PNSt15iterator_traitsISY_E10value_typeET2_T3_PNSZ_IS14_E10value_typeET4_jRbjT5_S1A_jjP12ihipStream_tbEUljE_EEESV_SW_SX_S14_S18_S1A_T6_T7_T9_mT8_S1C_bDpT10_ENKUlT_T0_E_clISt17integral_constantIbLb0EES1P_EEDaS1K_S1L_EUlS1K_E_NS1_11comp_targetILNS1_3genE4ELNS1_11target_archE910ELNS1_3gpuE8ELNS1_3repE0EEENS1_30default_config_static_selectorELNS0_4arch9wavefront6targetE0EEEvSY_: ; @_ZN7rocprim17ROCPRIM_400000_NS6detail17trampoline_kernelINS0_13select_configILj256ELj13ELNS0_17block_load_methodE3ELS4_3ELS4_3ELNS0_20block_scan_algorithmE0ELj4294967295EEENS1_25partition_config_selectorILNS1_17partition_subalgoE3EjNS0_10empty_typeEbEEZZNS1_14partition_implILS8_3ELb0ES6_jNS0_17counting_iteratorIjlEEPS9_SE_NS0_5tupleIJPjSE_EEENSF_IJSE_SE_EEES9_SG_JZNS1_25segmented_radix_sort_implINS0_14default_configELb0EPKaPaPKlPlN2at6native12_GLOBAL__N_18offset_tEEE10hipError_tPvRmT1_PNSt15iterator_traitsISY_E10value_typeET2_T3_PNSZ_IS14_E10value_typeET4_jRbjT5_S1A_jjP12ihipStream_tbEUljE_EEESV_SW_SX_S14_S18_S1A_T6_T7_T9_mT8_S1C_bDpT10_ENKUlT_T0_E_clISt17integral_constantIbLb0EES1P_EEDaS1K_S1L_EUlS1K_E_NS1_11comp_targetILNS1_3genE4ELNS1_11target_archE910ELNS1_3gpuE8ELNS1_3repE0EEENS1_30default_config_static_selectorELNS0_4arch9wavefront6targetE0EEEvSY_
; %bb.0:
	.section	.rodata,"a",@progbits
	.p2align	6, 0x0
	.amdhsa_kernel _ZN7rocprim17ROCPRIM_400000_NS6detail17trampoline_kernelINS0_13select_configILj256ELj13ELNS0_17block_load_methodE3ELS4_3ELS4_3ELNS0_20block_scan_algorithmE0ELj4294967295EEENS1_25partition_config_selectorILNS1_17partition_subalgoE3EjNS0_10empty_typeEbEEZZNS1_14partition_implILS8_3ELb0ES6_jNS0_17counting_iteratorIjlEEPS9_SE_NS0_5tupleIJPjSE_EEENSF_IJSE_SE_EEES9_SG_JZNS1_25segmented_radix_sort_implINS0_14default_configELb0EPKaPaPKlPlN2at6native12_GLOBAL__N_18offset_tEEE10hipError_tPvRmT1_PNSt15iterator_traitsISY_E10value_typeET2_T3_PNSZ_IS14_E10value_typeET4_jRbjT5_S1A_jjP12ihipStream_tbEUljE_EEESV_SW_SX_S14_S18_S1A_T6_T7_T9_mT8_S1C_bDpT10_ENKUlT_T0_E_clISt17integral_constantIbLb0EES1P_EEDaS1K_S1L_EUlS1K_E_NS1_11comp_targetILNS1_3genE4ELNS1_11target_archE910ELNS1_3gpuE8ELNS1_3repE0EEENS1_30default_config_static_selectorELNS0_4arch9wavefront6targetE0EEEvSY_
		.amdhsa_group_segment_fixed_size 0
		.amdhsa_private_segment_fixed_size 0
		.amdhsa_kernarg_size 144
		.amdhsa_user_sgpr_count 6
		.amdhsa_user_sgpr_private_segment_buffer 1
		.amdhsa_user_sgpr_dispatch_ptr 0
		.amdhsa_user_sgpr_queue_ptr 0
		.amdhsa_user_sgpr_kernarg_segment_ptr 1
		.amdhsa_user_sgpr_dispatch_id 0
		.amdhsa_user_sgpr_flat_scratch_init 0
		.amdhsa_user_sgpr_private_segment_size 0
		.amdhsa_wavefront_size32 1
		.amdhsa_uses_dynamic_stack 0
		.amdhsa_system_sgpr_private_segment_wavefront_offset 0
		.amdhsa_system_sgpr_workgroup_id_x 1
		.amdhsa_system_sgpr_workgroup_id_y 0
		.amdhsa_system_sgpr_workgroup_id_z 0
		.amdhsa_system_sgpr_workgroup_info 0
		.amdhsa_system_vgpr_workitem_id 0
		.amdhsa_next_free_vgpr 1
		.amdhsa_next_free_sgpr 1
		.amdhsa_reserve_vcc 0
		.amdhsa_reserve_flat_scratch 0
		.amdhsa_float_round_mode_32 0
		.amdhsa_float_round_mode_16_64 0
		.amdhsa_float_denorm_mode_32 3
		.amdhsa_float_denorm_mode_16_64 3
		.amdhsa_dx10_clamp 1
		.amdhsa_ieee_mode 1
		.amdhsa_fp16_overflow 0
		.amdhsa_workgroup_processor_mode 1
		.amdhsa_memory_ordered 1
		.amdhsa_forward_progress 1
		.amdhsa_shared_vgpr_count 0
		.amdhsa_exception_fp_ieee_invalid_op 0
		.amdhsa_exception_fp_denorm_src 0
		.amdhsa_exception_fp_ieee_div_zero 0
		.amdhsa_exception_fp_ieee_overflow 0
		.amdhsa_exception_fp_ieee_underflow 0
		.amdhsa_exception_fp_ieee_inexact 0
		.amdhsa_exception_int_div_zero 0
	.end_amdhsa_kernel
	.section	.text._ZN7rocprim17ROCPRIM_400000_NS6detail17trampoline_kernelINS0_13select_configILj256ELj13ELNS0_17block_load_methodE3ELS4_3ELS4_3ELNS0_20block_scan_algorithmE0ELj4294967295EEENS1_25partition_config_selectorILNS1_17partition_subalgoE3EjNS0_10empty_typeEbEEZZNS1_14partition_implILS8_3ELb0ES6_jNS0_17counting_iteratorIjlEEPS9_SE_NS0_5tupleIJPjSE_EEENSF_IJSE_SE_EEES9_SG_JZNS1_25segmented_radix_sort_implINS0_14default_configELb0EPKaPaPKlPlN2at6native12_GLOBAL__N_18offset_tEEE10hipError_tPvRmT1_PNSt15iterator_traitsISY_E10value_typeET2_T3_PNSZ_IS14_E10value_typeET4_jRbjT5_S1A_jjP12ihipStream_tbEUljE_EEESV_SW_SX_S14_S18_S1A_T6_T7_T9_mT8_S1C_bDpT10_ENKUlT_T0_E_clISt17integral_constantIbLb0EES1P_EEDaS1K_S1L_EUlS1K_E_NS1_11comp_targetILNS1_3genE4ELNS1_11target_archE910ELNS1_3gpuE8ELNS1_3repE0EEENS1_30default_config_static_selectorELNS0_4arch9wavefront6targetE0EEEvSY_,"axG",@progbits,_ZN7rocprim17ROCPRIM_400000_NS6detail17trampoline_kernelINS0_13select_configILj256ELj13ELNS0_17block_load_methodE3ELS4_3ELS4_3ELNS0_20block_scan_algorithmE0ELj4294967295EEENS1_25partition_config_selectorILNS1_17partition_subalgoE3EjNS0_10empty_typeEbEEZZNS1_14partition_implILS8_3ELb0ES6_jNS0_17counting_iteratorIjlEEPS9_SE_NS0_5tupleIJPjSE_EEENSF_IJSE_SE_EEES9_SG_JZNS1_25segmented_radix_sort_implINS0_14default_configELb0EPKaPaPKlPlN2at6native12_GLOBAL__N_18offset_tEEE10hipError_tPvRmT1_PNSt15iterator_traitsISY_E10value_typeET2_T3_PNSZ_IS14_E10value_typeET4_jRbjT5_S1A_jjP12ihipStream_tbEUljE_EEESV_SW_SX_S14_S18_S1A_T6_T7_T9_mT8_S1C_bDpT10_ENKUlT_T0_E_clISt17integral_constantIbLb0EES1P_EEDaS1K_S1L_EUlS1K_E_NS1_11comp_targetILNS1_3genE4ELNS1_11target_archE910ELNS1_3gpuE8ELNS1_3repE0EEENS1_30default_config_static_selectorELNS0_4arch9wavefront6targetE0EEEvSY_,comdat
.Lfunc_end360:
	.size	_ZN7rocprim17ROCPRIM_400000_NS6detail17trampoline_kernelINS0_13select_configILj256ELj13ELNS0_17block_load_methodE3ELS4_3ELS4_3ELNS0_20block_scan_algorithmE0ELj4294967295EEENS1_25partition_config_selectorILNS1_17partition_subalgoE3EjNS0_10empty_typeEbEEZZNS1_14partition_implILS8_3ELb0ES6_jNS0_17counting_iteratorIjlEEPS9_SE_NS0_5tupleIJPjSE_EEENSF_IJSE_SE_EEES9_SG_JZNS1_25segmented_radix_sort_implINS0_14default_configELb0EPKaPaPKlPlN2at6native12_GLOBAL__N_18offset_tEEE10hipError_tPvRmT1_PNSt15iterator_traitsISY_E10value_typeET2_T3_PNSZ_IS14_E10value_typeET4_jRbjT5_S1A_jjP12ihipStream_tbEUljE_EEESV_SW_SX_S14_S18_S1A_T6_T7_T9_mT8_S1C_bDpT10_ENKUlT_T0_E_clISt17integral_constantIbLb0EES1P_EEDaS1K_S1L_EUlS1K_E_NS1_11comp_targetILNS1_3genE4ELNS1_11target_archE910ELNS1_3gpuE8ELNS1_3repE0EEENS1_30default_config_static_selectorELNS0_4arch9wavefront6targetE0EEEvSY_, .Lfunc_end360-_ZN7rocprim17ROCPRIM_400000_NS6detail17trampoline_kernelINS0_13select_configILj256ELj13ELNS0_17block_load_methodE3ELS4_3ELS4_3ELNS0_20block_scan_algorithmE0ELj4294967295EEENS1_25partition_config_selectorILNS1_17partition_subalgoE3EjNS0_10empty_typeEbEEZZNS1_14partition_implILS8_3ELb0ES6_jNS0_17counting_iteratorIjlEEPS9_SE_NS0_5tupleIJPjSE_EEENSF_IJSE_SE_EEES9_SG_JZNS1_25segmented_radix_sort_implINS0_14default_configELb0EPKaPaPKlPlN2at6native12_GLOBAL__N_18offset_tEEE10hipError_tPvRmT1_PNSt15iterator_traitsISY_E10value_typeET2_T3_PNSZ_IS14_E10value_typeET4_jRbjT5_S1A_jjP12ihipStream_tbEUljE_EEESV_SW_SX_S14_S18_S1A_T6_T7_T9_mT8_S1C_bDpT10_ENKUlT_T0_E_clISt17integral_constantIbLb0EES1P_EEDaS1K_S1L_EUlS1K_E_NS1_11comp_targetILNS1_3genE4ELNS1_11target_archE910ELNS1_3gpuE8ELNS1_3repE0EEENS1_30default_config_static_selectorELNS0_4arch9wavefront6targetE0EEEvSY_
                                        ; -- End function
	.set _ZN7rocprim17ROCPRIM_400000_NS6detail17trampoline_kernelINS0_13select_configILj256ELj13ELNS0_17block_load_methodE3ELS4_3ELS4_3ELNS0_20block_scan_algorithmE0ELj4294967295EEENS1_25partition_config_selectorILNS1_17partition_subalgoE3EjNS0_10empty_typeEbEEZZNS1_14partition_implILS8_3ELb0ES6_jNS0_17counting_iteratorIjlEEPS9_SE_NS0_5tupleIJPjSE_EEENSF_IJSE_SE_EEES9_SG_JZNS1_25segmented_radix_sort_implINS0_14default_configELb0EPKaPaPKlPlN2at6native12_GLOBAL__N_18offset_tEEE10hipError_tPvRmT1_PNSt15iterator_traitsISY_E10value_typeET2_T3_PNSZ_IS14_E10value_typeET4_jRbjT5_S1A_jjP12ihipStream_tbEUljE_EEESV_SW_SX_S14_S18_S1A_T6_T7_T9_mT8_S1C_bDpT10_ENKUlT_T0_E_clISt17integral_constantIbLb0EES1P_EEDaS1K_S1L_EUlS1K_E_NS1_11comp_targetILNS1_3genE4ELNS1_11target_archE910ELNS1_3gpuE8ELNS1_3repE0EEENS1_30default_config_static_selectorELNS0_4arch9wavefront6targetE0EEEvSY_.num_vgpr, 0
	.set _ZN7rocprim17ROCPRIM_400000_NS6detail17trampoline_kernelINS0_13select_configILj256ELj13ELNS0_17block_load_methodE3ELS4_3ELS4_3ELNS0_20block_scan_algorithmE0ELj4294967295EEENS1_25partition_config_selectorILNS1_17partition_subalgoE3EjNS0_10empty_typeEbEEZZNS1_14partition_implILS8_3ELb0ES6_jNS0_17counting_iteratorIjlEEPS9_SE_NS0_5tupleIJPjSE_EEENSF_IJSE_SE_EEES9_SG_JZNS1_25segmented_radix_sort_implINS0_14default_configELb0EPKaPaPKlPlN2at6native12_GLOBAL__N_18offset_tEEE10hipError_tPvRmT1_PNSt15iterator_traitsISY_E10value_typeET2_T3_PNSZ_IS14_E10value_typeET4_jRbjT5_S1A_jjP12ihipStream_tbEUljE_EEESV_SW_SX_S14_S18_S1A_T6_T7_T9_mT8_S1C_bDpT10_ENKUlT_T0_E_clISt17integral_constantIbLb0EES1P_EEDaS1K_S1L_EUlS1K_E_NS1_11comp_targetILNS1_3genE4ELNS1_11target_archE910ELNS1_3gpuE8ELNS1_3repE0EEENS1_30default_config_static_selectorELNS0_4arch9wavefront6targetE0EEEvSY_.num_agpr, 0
	.set _ZN7rocprim17ROCPRIM_400000_NS6detail17trampoline_kernelINS0_13select_configILj256ELj13ELNS0_17block_load_methodE3ELS4_3ELS4_3ELNS0_20block_scan_algorithmE0ELj4294967295EEENS1_25partition_config_selectorILNS1_17partition_subalgoE3EjNS0_10empty_typeEbEEZZNS1_14partition_implILS8_3ELb0ES6_jNS0_17counting_iteratorIjlEEPS9_SE_NS0_5tupleIJPjSE_EEENSF_IJSE_SE_EEES9_SG_JZNS1_25segmented_radix_sort_implINS0_14default_configELb0EPKaPaPKlPlN2at6native12_GLOBAL__N_18offset_tEEE10hipError_tPvRmT1_PNSt15iterator_traitsISY_E10value_typeET2_T3_PNSZ_IS14_E10value_typeET4_jRbjT5_S1A_jjP12ihipStream_tbEUljE_EEESV_SW_SX_S14_S18_S1A_T6_T7_T9_mT8_S1C_bDpT10_ENKUlT_T0_E_clISt17integral_constantIbLb0EES1P_EEDaS1K_S1L_EUlS1K_E_NS1_11comp_targetILNS1_3genE4ELNS1_11target_archE910ELNS1_3gpuE8ELNS1_3repE0EEENS1_30default_config_static_selectorELNS0_4arch9wavefront6targetE0EEEvSY_.numbered_sgpr, 0
	.set _ZN7rocprim17ROCPRIM_400000_NS6detail17trampoline_kernelINS0_13select_configILj256ELj13ELNS0_17block_load_methodE3ELS4_3ELS4_3ELNS0_20block_scan_algorithmE0ELj4294967295EEENS1_25partition_config_selectorILNS1_17partition_subalgoE3EjNS0_10empty_typeEbEEZZNS1_14partition_implILS8_3ELb0ES6_jNS0_17counting_iteratorIjlEEPS9_SE_NS0_5tupleIJPjSE_EEENSF_IJSE_SE_EEES9_SG_JZNS1_25segmented_radix_sort_implINS0_14default_configELb0EPKaPaPKlPlN2at6native12_GLOBAL__N_18offset_tEEE10hipError_tPvRmT1_PNSt15iterator_traitsISY_E10value_typeET2_T3_PNSZ_IS14_E10value_typeET4_jRbjT5_S1A_jjP12ihipStream_tbEUljE_EEESV_SW_SX_S14_S18_S1A_T6_T7_T9_mT8_S1C_bDpT10_ENKUlT_T0_E_clISt17integral_constantIbLb0EES1P_EEDaS1K_S1L_EUlS1K_E_NS1_11comp_targetILNS1_3genE4ELNS1_11target_archE910ELNS1_3gpuE8ELNS1_3repE0EEENS1_30default_config_static_selectorELNS0_4arch9wavefront6targetE0EEEvSY_.num_named_barrier, 0
	.set _ZN7rocprim17ROCPRIM_400000_NS6detail17trampoline_kernelINS0_13select_configILj256ELj13ELNS0_17block_load_methodE3ELS4_3ELS4_3ELNS0_20block_scan_algorithmE0ELj4294967295EEENS1_25partition_config_selectorILNS1_17partition_subalgoE3EjNS0_10empty_typeEbEEZZNS1_14partition_implILS8_3ELb0ES6_jNS0_17counting_iteratorIjlEEPS9_SE_NS0_5tupleIJPjSE_EEENSF_IJSE_SE_EEES9_SG_JZNS1_25segmented_radix_sort_implINS0_14default_configELb0EPKaPaPKlPlN2at6native12_GLOBAL__N_18offset_tEEE10hipError_tPvRmT1_PNSt15iterator_traitsISY_E10value_typeET2_T3_PNSZ_IS14_E10value_typeET4_jRbjT5_S1A_jjP12ihipStream_tbEUljE_EEESV_SW_SX_S14_S18_S1A_T6_T7_T9_mT8_S1C_bDpT10_ENKUlT_T0_E_clISt17integral_constantIbLb0EES1P_EEDaS1K_S1L_EUlS1K_E_NS1_11comp_targetILNS1_3genE4ELNS1_11target_archE910ELNS1_3gpuE8ELNS1_3repE0EEENS1_30default_config_static_selectorELNS0_4arch9wavefront6targetE0EEEvSY_.private_seg_size, 0
	.set _ZN7rocprim17ROCPRIM_400000_NS6detail17trampoline_kernelINS0_13select_configILj256ELj13ELNS0_17block_load_methodE3ELS4_3ELS4_3ELNS0_20block_scan_algorithmE0ELj4294967295EEENS1_25partition_config_selectorILNS1_17partition_subalgoE3EjNS0_10empty_typeEbEEZZNS1_14partition_implILS8_3ELb0ES6_jNS0_17counting_iteratorIjlEEPS9_SE_NS0_5tupleIJPjSE_EEENSF_IJSE_SE_EEES9_SG_JZNS1_25segmented_radix_sort_implINS0_14default_configELb0EPKaPaPKlPlN2at6native12_GLOBAL__N_18offset_tEEE10hipError_tPvRmT1_PNSt15iterator_traitsISY_E10value_typeET2_T3_PNSZ_IS14_E10value_typeET4_jRbjT5_S1A_jjP12ihipStream_tbEUljE_EEESV_SW_SX_S14_S18_S1A_T6_T7_T9_mT8_S1C_bDpT10_ENKUlT_T0_E_clISt17integral_constantIbLb0EES1P_EEDaS1K_S1L_EUlS1K_E_NS1_11comp_targetILNS1_3genE4ELNS1_11target_archE910ELNS1_3gpuE8ELNS1_3repE0EEENS1_30default_config_static_selectorELNS0_4arch9wavefront6targetE0EEEvSY_.uses_vcc, 0
	.set _ZN7rocprim17ROCPRIM_400000_NS6detail17trampoline_kernelINS0_13select_configILj256ELj13ELNS0_17block_load_methodE3ELS4_3ELS4_3ELNS0_20block_scan_algorithmE0ELj4294967295EEENS1_25partition_config_selectorILNS1_17partition_subalgoE3EjNS0_10empty_typeEbEEZZNS1_14partition_implILS8_3ELb0ES6_jNS0_17counting_iteratorIjlEEPS9_SE_NS0_5tupleIJPjSE_EEENSF_IJSE_SE_EEES9_SG_JZNS1_25segmented_radix_sort_implINS0_14default_configELb0EPKaPaPKlPlN2at6native12_GLOBAL__N_18offset_tEEE10hipError_tPvRmT1_PNSt15iterator_traitsISY_E10value_typeET2_T3_PNSZ_IS14_E10value_typeET4_jRbjT5_S1A_jjP12ihipStream_tbEUljE_EEESV_SW_SX_S14_S18_S1A_T6_T7_T9_mT8_S1C_bDpT10_ENKUlT_T0_E_clISt17integral_constantIbLb0EES1P_EEDaS1K_S1L_EUlS1K_E_NS1_11comp_targetILNS1_3genE4ELNS1_11target_archE910ELNS1_3gpuE8ELNS1_3repE0EEENS1_30default_config_static_selectorELNS0_4arch9wavefront6targetE0EEEvSY_.uses_flat_scratch, 0
	.set _ZN7rocprim17ROCPRIM_400000_NS6detail17trampoline_kernelINS0_13select_configILj256ELj13ELNS0_17block_load_methodE3ELS4_3ELS4_3ELNS0_20block_scan_algorithmE0ELj4294967295EEENS1_25partition_config_selectorILNS1_17partition_subalgoE3EjNS0_10empty_typeEbEEZZNS1_14partition_implILS8_3ELb0ES6_jNS0_17counting_iteratorIjlEEPS9_SE_NS0_5tupleIJPjSE_EEENSF_IJSE_SE_EEES9_SG_JZNS1_25segmented_radix_sort_implINS0_14default_configELb0EPKaPaPKlPlN2at6native12_GLOBAL__N_18offset_tEEE10hipError_tPvRmT1_PNSt15iterator_traitsISY_E10value_typeET2_T3_PNSZ_IS14_E10value_typeET4_jRbjT5_S1A_jjP12ihipStream_tbEUljE_EEESV_SW_SX_S14_S18_S1A_T6_T7_T9_mT8_S1C_bDpT10_ENKUlT_T0_E_clISt17integral_constantIbLb0EES1P_EEDaS1K_S1L_EUlS1K_E_NS1_11comp_targetILNS1_3genE4ELNS1_11target_archE910ELNS1_3gpuE8ELNS1_3repE0EEENS1_30default_config_static_selectorELNS0_4arch9wavefront6targetE0EEEvSY_.has_dyn_sized_stack, 0
	.set _ZN7rocprim17ROCPRIM_400000_NS6detail17trampoline_kernelINS0_13select_configILj256ELj13ELNS0_17block_load_methodE3ELS4_3ELS4_3ELNS0_20block_scan_algorithmE0ELj4294967295EEENS1_25partition_config_selectorILNS1_17partition_subalgoE3EjNS0_10empty_typeEbEEZZNS1_14partition_implILS8_3ELb0ES6_jNS0_17counting_iteratorIjlEEPS9_SE_NS0_5tupleIJPjSE_EEENSF_IJSE_SE_EEES9_SG_JZNS1_25segmented_radix_sort_implINS0_14default_configELb0EPKaPaPKlPlN2at6native12_GLOBAL__N_18offset_tEEE10hipError_tPvRmT1_PNSt15iterator_traitsISY_E10value_typeET2_T3_PNSZ_IS14_E10value_typeET4_jRbjT5_S1A_jjP12ihipStream_tbEUljE_EEESV_SW_SX_S14_S18_S1A_T6_T7_T9_mT8_S1C_bDpT10_ENKUlT_T0_E_clISt17integral_constantIbLb0EES1P_EEDaS1K_S1L_EUlS1K_E_NS1_11comp_targetILNS1_3genE4ELNS1_11target_archE910ELNS1_3gpuE8ELNS1_3repE0EEENS1_30default_config_static_selectorELNS0_4arch9wavefront6targetE0EEEvSY_.has_recursion, 0
	.set _ZN7rocprim17ROCPRIM_400000_NS6detail17trampoline_kernelINS0_13select_configILj256ELj13ELNS0_17block_load_methodE3ELS4_3ELS4_3ELNS0_20block_scan_algorithmE0ELj4294967295EEENS1_25partition_config_selectorILNS1_17partition_subalgoE3EjNS0_10empty_typeEbEEZZNS1_14partition_implILS8_3ELb0ES6_jNS0_17counting_iteratorIjlEEPS9_SE_NS0_5tupleIJPjSE_EEENSF_IJSE_SE_EEES9_SG_JZNS1_25segmented_radix_sort_implINS0_14default_configELb0EPKaPaPKlPlN2at6native12_GLOBAL__N_18offset_tEEE10hipError_tPvRmT1_PNSt15iterator_traitsISY_E10value_typeET2_T3_PNSZ_IS14_E10value_typeET4_jRbjT5_S1A_jjP12ihipStream_tbEUljE_EEESV_SW_SX_S14_S18_S1A_T6_T7_T9_mT8_S1C_bDpT10_ENKUlT_T0_E_clISt17integral_constantIbLb0EES1P_EEDaS1K_S1L_EUlS1K_E_NS1_11comp_targetILNS1_3genE4ELNS1_11target_archE910ELNS1_3gpuE8ELNS1_3repE0EEENS1_30default_config_static_selectorELNS0_4arch9wavefront6targetE0EEEvSY_.has_indirect_call, 0
	.section	.AMDGPU.csdata,"",@progbits
; Kernel info:
; codeLenInByte = 0
; TotalNumSgprs: 0
; NumVgprs: 0
; ScratchSize: 0
; MemoryBound: 0
; FloatMode: 240
; IeeeMode: 1
; LDSByteSize: 0 bytes/workgroup (compile time only)
; SGPRBlocks: 0
; VGPRBlocks: 0
; NumSGPRsForWavesPerEU: 1
; NumVGPRsForWavesPerEU: 1
; Occupancy: 16
; WaveLimiterHint : 0
; COMPUTE_PGM_RSRC2:SCRATCH_EN: 0
; COMPUTE_PGM_RSRC2:USER_SGPR: 6
; COMPUTE_PGM_RSRC2:TRAP_HANDLER: 0
; COMPUTE_PGM_RSRC2:TGID_X_EN: 1
; COMPUTE_PGM_RSRC2:TGID_Y_EN: 0
; COMPUTE_PGM_RSRC2:TGID_Z_EN: 0
; COMPUTE_PGM_RSRC2:TIDIG_COMP_CNT: 0
	.section	.text._ZN7rocprim17ROCPRIM_400000_NS6detail17trampoline_kernelINS0_13select_configILj256ELj13ELNS0_17block_load_methodE3ELS4_3ELS4_3ELNS0_20block_scan_algorithmE0ELj4294967295EEENS1_25partition_config_selectorILNS1_17partition_subalgoE3EjNS0_10empty_typeEbEEZZNS1_14partition_implILS8_3ELb0ES6_jNS0_17counting_iteratorIjlEEPS9_SE_NS0_5tupleIJPjSE_EEENSF_IJSE_SE_EEES9_SG_JZNS1_25segmented_radix_sort_implINS0_14default_configELb0EPKaPaPKlPlN2at6native12_GLOBAL__N_18offset_tEEE10hipError_tPvRmT1_PNSt15iterator_traitsISY_E10value_typeET2_T3_PNSZ_IS14_E10value_typeET4_jRbjT5_S1A_jjP12ihipStream_tbEUljE_EEESV_SW_SX_S14_S18_S1A_T6_T7_T9_mT8_S1C_bDpT10_ENKUlT_T0_E_clISt17integral_constantIbLb0EES1P_EEDaS1K_S1L_EUlS1K_E_NS1_11comp_targetILNS1_3genE3ELNS1_11target_archE908ELNS1_3gpuE7ELNS1_3repE0EEENS1_30default_config_static_selectorELNS0_4arch9wavefront6targetE0EEEvSY_,"axG",@progbits,_ZN7rocprim17ROCPRIM_400000_NS6detail17trampoline_kernelINS0_13select_configILj256ELj13ELNS0_17block_load_methodE3ELS4_3ELS4_3ELNS0_20block_scan_algorithmE0ELj4294967295EEENS1_25partition_config_selectorILNS1_17partition_subalgoE3EjNS0_10empty_typeEbEEZZNS1_14partition_implILS8_3ELb0ES6_jNS0_17counting_iteratorIjlEEPS9_SE_NS0_5tupleIJPjSE_EEENSF_IJSE_SE_EEES9_SG_JZNS1_25segmented_radix_sort_implINS0_14default_configELb0EPKaPaPKlPlN2at6native12_GLOBAL__N_18offset_tEEE10hipError_tPvRmT1_PNSt15iterator_traitsISY_E10value_typeET2_T3_PNSZ_IS14_E10value_typeET4_jRbjT5_S1A_jjP12ihipStream_tbEUljE_EEESV_SW_SX_S14_S18_S1A_T6_T7_T9_mT8_S1C_bDpT10_ENKUlT_T0_E_clISt17integral_constantIbLb0EES1P_EEDaS1K_S1L_EUlS1K_E_NS1_11comp_targetILNS1_3genE3ELNS1_11target_archE908ELNS1_3gpuE7ELNS1_3repE0EEENS1_30default_config_static_selectorELNS0_4arch9wavefront6targetE0EEEvSY_,comdat
	.globl	_ZN7rocprim17ROCPRIM_400000_NS6detail17trampoline_kernelINS0_13select_configILj256ELj13ELNS0_17block_load_methodE3ELS4_3ELS4_3ELNS0_20block_scan_algorithmE0ELj4294967295EEENS1_25partition_config_selectorILNS1_17partition_subalgoE3EjNS0_10empty_typeEbEEZZNS1_14partition_implILS8_3ELb0ES6_jNS0_17counting_iteratorIjlEEPS9_SE_NS0_5tupleIJPjSE_EEENSF_IJSE_SE_EEES9_SG_JZNS1_25segmented_radix_sort_implINS0_14default_configELb0EPKaPaPKlPlN2at6native12_GLOBAL__N_18offset_tEEE10hipError_tPvRmT1_PNSt15iterator_traitsISY_E10value_typeET2_T3_PNSZ_IS14_E10value_typeET4_jRbjT5_S1A_jjP12ihipStream_tbEUljE_EEESV_SW_SX_S14_S18_S1A_T6_T7_T9_mT8_S1C_bDpT10_ENKUlT_T0_E_clISt17integral_constantIbLb0EES1P_EEDaS1K_S1L_EUlS1K_E_NS1_11comp_targetILNS1_3genE3ELNS1_11target_archE908ELNS1_3gpuE7ELNS1_3repE0EEENS1_30default_config_static_selectorELNS0_4arch9wavefront6targetE0EEEvSY_ ; -- Begin function _ZN7rocprim17ROCPRIM_400000_NS6detail17trampoline_kernelINS0_13select_configILj256ELj13ELNS0_17block_load_methodE3ELS4_3ELS4_3ELNS0_20block_scan_algorithmE0ELj4294967295EEENS1_25partition_config_selectorILNS1_17partition_subalgoE3EjNS0_10empty_typeEbEEZZNS1_14partition_implILS8_3ELb0ES6_jNS0_17counting_iteratorIjlEEPS9_SE_NS0_5tupleIJPjSE_EEENSF_IJSE_SE_EEES9_SG_JZNS1_25segmented_radix_sort_implINS0_14default_configELb0EPKaPaPKlPlN2at6native12_GLOBAL__N_18offset_tEEE10hipError_tPvRmT1_PNSt15iterator_traitsISY_E10value_typeET2_T3_PNSZ_IS14_E10value_typeET4_jRbjT5_S1A_jjP12ihipStream_tbEUljE_EEESV_SW_SX_S14_S18_S1A_T6_T7_T9_mT8_S1C_bDpT10_ENKUlT_T0_E_clISt17integral_constantIbLb0EES1P_EEDaS1K_S1L_EUlS1K_E_NS1_11comp_targetILNS1_3genE3ELNS1_11target_archE908ELNS1_3gpuE7ELNS1_3repE0EEENS1_30default_config_static_selectorELNS0_4arch9wavefront6targetE0EEEvSY_
	.p2align	8
	.type	_ZN7rocprim17ROCPRIM_400000_NS6detail17trampoline_kernelINS0_13select_configILj256ELj13ELNS0_17block_load_methodE3ELS4_3ELS4_3ELNS0_20block_scan_algorithmE0ELj4294967295EEENS1_25partition_config_selectorILNS1_17partition_subalgoE3EjNS0_10empty_typeEbEEZZNS1_14partition_implILS8_3ELb0ES6_jNS0_17counting_iteratorIjlEEPS9_SE_NS0_5tupleIJPjSE_EEENSF_IJSE_SE_EEES9_SG_JZNS1_25segmented_radix_sort_implINS0_14default_configELb0EPKaPaPKlPlN2at6native12_GLOBAL__N_18offset_tEEE10hipError_tPvRmT1_PNSt15iterator_traitsISY_E10value_typeET2_T3_PNSZ_IS14_E10value_typeET4_jRbjT5_S1A_jjP12ihipStream_tbEUljE_EEESV_SW_SX_S14_S18_S1A_T6_T7_T9_mT8_S1C_bDpT10_ENKUlT_T0_E_clISt17integral_constantIbLb0EES1P_EEDaS1K_S1L_EUlS1K_E_NS1_11comp_targetILNS1_3genE3ELNS1_11target_archE908ELNS1_3gpuE7ELNS1_3repE0EEENS1_30default_config_static_selectorELNS0_4arch9wavefront6targetE0EEEvSY_,@function
_ZN7rocprim17ROCPRIM_400000_NS6detail17trampoline_kernelINS0_13select_configILj256ELj13ELNS0_17block_load_methodE3ELS4_3ELS4_3ELNS0_20block_scan_algorithmE0ELj4294967295EEENS1_25partition_config_selectorILNS1_17partition_subalgoE3EjNS0_10empty_typeEbEEZZNS1_14partition_implILS8_3ELb0ES6_jNS0_17counting_iteratorIjlEEPS9_SE_NS0_5tupleIJPjSE_EEENSF_IJSE_SE_EEES9_SG_JZNS1_25segmented_radix_sort_implINS0_14default_configELb0EPKaPaPKlPlN2at6native12_GLOBAL__N_18offset_tEEE10hipError_tPvRmT1_PNSt15iterator_traitsISY_E10value_typeET2_T3_PNSZ_IS14_E10value_typeET4_jRbjT5_S1A_jjP12ihipStream_tbEUljE_EEESV_SW_SX_S14_S18_S1A_T6_T7_T9_mT8_S1C_bDpT10_ENKUlT_T0_E_clISt17integral_constantIbLb0EES1P_EEDaS1K_S1L_EUlS1K_E_NS1_11comp_targetILNS1_3genE3ELNS1_11target_archE908ELNS1_3gpuE7ELNS1_3repE0EEENS1_30default_config_static_selectorELNS0_4arch9wavefront6targetE0EEEvSY_: ; @_ZN7rocprim17ROCPRIM_400000_NS6detail17trampoline_kernelINS0_13select_configILj256ELj13ELNS0_17block_load_methodE3ELS4_3ELS4_3ELNS0_20block_scan_algorithmE0ELj4294967295EEENS1_25partition_config_selectorILNS1_17partition_subalgoE3EjNS0_10empty_typeEbEEZZNS1_14partition_implILS8_3ELb0ES6_jNS0_17counting_iteratorIjlEEPS9_SE_NS0_5tupleIJPjSE_EEENSF_IJSE_SE_EEES9_SG_JZNS1_25segmented_radix_sort_implINS0_14default_configELb0EPKaPaPKlPlN2at6native12_GLOBAL__N_18offset_tEEE10hipError_tPvRmT1_PNSt15iterator_traitsISY_E10value_typeET2_T3_PNSZ_IS14_E10value_typeET4_jRbjT5_S1A_jjP12ihipStream_tbEUljE_EEESV_SW_SX_S14_S18_S1A_T6_T7_T9_mT8_S1C_bDpT10_ENKUlT_T0_E_clISt17integral_constantIbLb0EES1P_EEDaS1K_S1L_EUlS1K_E_NS1_11comp_targetILNS1_3genE3ELNS1_11target_archE908ELNS1_3gpuE7ELNS1_3repE0EEENS1_30default_config_static_selectorELNS0_4arch9wavefront6targetE0EEEvSY_
; %bb.0:
	.section	.rodata,"a",@progbits
	.p2align	6, 0x0
	.amdhsa_kernel _ZN7rocprim17ROCPRIM_400000_NS6detail17trampoline_kernelINS0_13select_configILj256ELj13ELNS0_17block_load_methodE3ELS4_3ELS4_3ELNS0_20block_scan_algorithmE0ELj4294967295EEENS1_25partition_config_selectorILNS1_17partition_subalgoE3EjNS0_10empty_typeEbEEZZNS1_14partition_implILS8_3ELb0ES6_jNS0_17counting_iteratorIjlEEPS9_SE_NS0_5tupleIJPjSE_EEENSF_IJSE_SE_EEES9_SG_JZNS1_25segmented_radix_sort_implINS0_14default_configELb0EPKaPaPKlPlN2at6native12_GLOBAL__N_18offset_tEEE10hipError_tPvRmT1_PNSt15iterator_traitsISY_E10value_typeET2_T3_PNSZ_IS14_E10value_typeET4_jRbjT5_S1A_jjP12ihipStream_tbEUljE_EEESV_SW_SX_S14_S18_S1A_T6_T7_T9_mT8_S1C_bDpT10_ENKUlT_T0_E_clISt17integral_constantIbLb0EES1P_EEDaS1K_S1L_EUlS1K_E_NS1_11comp_targetILNS1_3genE3ELNS1_11target_archE908ELNS1_3gpuE7ELNS1_3repE0EEENS1_30default_config_static_selectorELNS0_4arch9wavefront6targetE0EEEvSY_
		.amdhsa_group_segment_fixed_size 0
		.amdhsa_private_segment_fixed_size 0
		.amdhsa_kernarg_size 144
		.amdhsa_user_sgpr_count 6
		.amdhsa_user_sgpr_private_segment_buffer 1
		.amdhsa_user_sgpr_dispatch_ptr 0
		.amdhsa_user_sgpr_queue_ptr 0
		.amdhsa_user_sgpr_kernarg_segment_ptr 1
		.amdhsa_user_sgpr_dispatch_id 0
		.amdhsa_user_sgpr_flat_scratch_init 0
		.amdhsa_user_sgpr_private_segment_size 0
		.amdhsa_wavefront_size32 1
		.amdhsa_uses_dynamic_stack 0
		.amdhsa_system_sgpr_private_segment_wavefront_offset 0
		.amdhsa_system_sgpr_workgroup_id_x 1
		.amdhsa_system_sgpr_workgroup_id_y 0
		.amdhsa_system_sgpr_workgroup_id_z 0
		.amdhsa_system_sgpr_workgroup_info 0
		.amdhsa_system_vgpr_workitem_id 0
		.amdhsa_next_free_vgpr 1
		.amdhsa_next_free_sgpr 1
		.amdhsa_reserve_vcc 0
		.amdhsa_reserve_flat_scratch 0
		.amdhsa_float_round_mode_32 0
		.amdhsa_float_round_mode_16_64 0
		.amdhsa_float_denorm_mode_32 3
		.amdhsa_float_denorm_mode_16_64 3
		.amdhsa_dx10_clamp 1
		.amdhsa_ieee_mode 1
		.amdhsa_fp16_overflow 0
		.amdhsa_workgroup_processor_mode 1
		.amdhsa_memory_ordered 1
		.amdhsa_forward_progress 1
		.amdhsa_shared_vgpr_count 0
		.amdhsa_exception_fp_ieee_invalid_op 0
		.amdhsa_exception_fp_denorm_src 0
		.amdhsa_exception_fp_ieee_div_zero 0
		.amdhsa_exception_fp_ieee_overflow 0
		.amdhsa_exception_fp_ieee_underflow 0
		.amdhsa_exception_fp_ieee_inexact 0
		.amdhsa_exception_int_div_zero 0
	.end_amdhsa_kernel
	.section	.text._ZN7rocprim17ROCPRIM_400000_NS6detail17trampoline_kernelINS0_13select_configILj256ELj13ELNS0_17block_load_methodE3ELS4_3ELS4_3ELNS0_20block_scan_algorithmE0ELj4294967295EEENS1_25partition_config_selectorILNS1_17partition_subalgoE3EjNS0_10empty_typeEbEEZZNS1_14partition_implILS8_3ELb0ES6_jNS0_17counting_iteratorIjlEEPS9_SE_NS0_5tupleIJPjSE_EEENSF_IJSE_SE_EEES9_SG_JZNS1_25segmented_radix_sort_implINS0_14default_configELb0EPKaPaPKlPlN2at6native12_GLOBAL__N_18offset_tEEE10hipError_tPvRmT1_PNSt15iterator_traitsISY_E10value_typeET2_T3_PNSZ_IS14_E10value_typeET4_jRbjT5_S1A_jjP12ihipStream_tbEUljE_EEESV_SW_SX_S14_S18_S1A_T6_T7_T9_mT8_S1C_bDpT10_ENKUlT_T0_E_clISt17integral_constantIbLb0EES1P_EEDaS1K_S1L_EUlS1K_E_NS1_11comp_targetILNS1_3genE3ELNS1_11target_archE908ELNS1_3gpuE7ELNS1_3repE0EEENS1_30default_config_static_selectorELNS0_4arch9wavefront6targetE0EEEvSY_,"axG",@progbits,_ZN7rocprim17ROCPRIM_400000_NS6detail17trampoline_kernelINS0_13select_configILj256ELj13ELNS0_17block_load_methodE3ELS4_3ELS4_3ELNS0_20block_scan_algorithmE0ELj4294967295EEENS1_25partition_config_selectorILNS1_17partition_subalgoE3EjNS0_10empty_typeEbEEZZNS1_14partition_implILS8_3ELb0ES6_jNS0_17counting_iteratorIjlEEPS9_SE_NS0_5tupleIJPjSE_EEENSF_IJSE_SE_EEES9_SG_JZNS1_25segmented_radix_sort_implINS0_14default_configELb0EPKaPaPKlPlN2at6native12_GLOBAL__N_18offset_tEEE10hipError_tPvRmT1_PNSt15iterator_traitsISY_E10value_typeET2_T3_PNSZ_IS14_E10value_typeET4_jRbjT5_S1A_jjP12ihipStream_tbEUljE_EEESV_SW_SX_S14_S18_S1A_T6_T7_T9_mT8_S1C_bDpT10_ENKUlT_T0_E_clISt17integral_constantIbLb0EES1P_EEDaS1K_S1L_EUlS1K_E_NS1_11comp_targetILNS1_3genE3ELNS1_11target_archE908ELNS1_3gpuE7ELNS1_3repE0EEENS1_30default_config_static_selectorELNS0_4arch9wavefront6targetE0EEEvSY_,comdat
.Lfunc_end361:
	.size	_ZN7rocprim17ROCPRIM_400000_NS6detail17trampoline_kernelINS0_13select_configILj256ELj13ELNS0_17block_load_methodE3ELS4_3ELS4_3ELNS0_20block_scan_algorithmE0ELj4294967295EEENS1_25partition_config_selectorILNS1_17partition_subalgoE3EjNS0_10empty_typeEbEEZZNS1_14partition_implILS8_3ELb0ES6_jNS0_17counting_iteratorIjlEEPS9_SE_NS0_5tupleIJPjSE_EEENSF_IJSE_SE_EEES9_SG_JZNS1_25segmented_radix_sort_implINS0_14default_configELb0EPKaPaPKlPlN2at6native12_GLOBAL__N_18offset_tEEE10hipError_tPvRmT1_PNSt15iterator_traitsISY_E10value_typeET2_T3_PNSZ_IS14_E10value_typeET4_jRbjT5_S1A_jjP12ihipStream_tbEUljE_EEESV_SW_SX_S14_S18_S1A_T6_T7_T9_mT8_S1C_bDpT10_ENKUlT_T0_E_clISt17integral_constantIbLb0EES1P_EEDaS1K_S1L_EUlS1K_E_NS1_11comp_targetILNS1_3genE3ELNS1_11target_archE908ELNS1_3gpuE7ELNS1_3repE0EEENS1_30default_config_static_selectorELNS0_4arch9wavefront6targetE0EEEvSY_, .Lfunc_end361-_ZN7rocprim17ROCPRIM_400000_NS6detail17trampoline_kernelINS0_13select_configILj256ELj13ELNS0_17block_load_methodE3ELS4_3ELS4_3ELNS0_20block_scan_algorithmE0ELj4294967295EEENS1_25partition_config_selectorILNS1_17partition_subalgoE3EjNS0_10empty_typeEbEEZZNS1_14partition_implILS8_3ELb0ES6_jNS0_17counting_iteratorIjlEEPS9_SE_NS0_5tupleIJPjSE_EEENSF_IJSE_SE_EEES9_SG_JZNS1_25segmented_radix_sort_implINS0_14default_configELb0EPKaPaPKlPlN2at6native12_GLOBAL__N_18offset_tEEE10hipError_tPvRmT1_PNSt15iterator_traitsISY_E10value_typeET2_T3_PNSZ_IS14_E10value_typeET4_jRbjT5_S1A_jjP12ihipStream_tbEUljE_EEESV_SW_SX_S14_S18_S1A_T6_T7_T9_mT8_S1C_bDpT10_ENKUlT_T0_E_clISt17integral_constantIbLb0EES1P_EEDaS1K_S1L_EUlS1K_E_NS1_11comp_targetILNS1_3genE3ELNS1_11target_archE908ELNS1_3gpuE7ELNS1_3repE0EEENS1_30default_config_static_selectorELNS0_4arch9wavefront6targetE0EEEvSY_
                                        ; -- End function
	.set _ZN7rocprim17ROCPRIM_400000_NS6detail17trampoline_kernelINS0_13select_configILj256ELj13ELNS0_17block_load_methodE3ELS4_3ELS4_3ELNS0_20block_scan_algorithmE0ELj4294967295EEENS1_25partition_config_selectorILNS1_17partition_subalgoE3EjNS0_10empty_typeEbEEZZNS1_14partition_implILS8_3ELb0ES6_jNS0_17counting_iteratorIjlEEPS9_SE_NS0_5tupleIJPjSE_EEENSF_IJSE_SE_EEES9_SG_JZNS1_25segmented_radix_sort_implINS0_14default_configELb0EPKaPaPKlPlN2at6native12_GLOBAL__N_18offset_tEEE10hipError_tPvRmT1_PNSt15iterator_traitsISY_E10value_typeET2_T3_PNSZ_IS14_E10value_typeET4_jRbjT5_S1A_jjP12ihipStream_tbEUljE_EEESV_SW_SX_S14_S18_S1A_T6_T7_T9_mT8_S1C_bDpT10_ENKUlT_T0_E_clISt17integral_constantIbLb0EES1P_EEDaS1K_S1L_EUlS1K_E_NS1_11comp_targetILNS1_3genE3ELNS1_11target_archE908ELNS1_3gpuE7ELNS1_3repE0EEENS1_30default_config_static_selectorELNS0_4arch9wavefront6targetE0EEEvSY_.num_vgpr, 0
	.set _ZN7rocprim17ROCPRIM_400000_NS6detail17trampoline_kernelINS0_13select_configILj256ELj13ELNS0_17block_load_methodE3ELS4_3ELS4_3ELNS0_20block_scan_algorithmE0ELj4294967295EEENS1_25partition_config_selectorILNS1_17partition_subalgoE3EjNS0_10empty_typeEbEEZZNS1_14partition_implILS8_3ELb0ES6_jNS0_17counting_iteratorIjlEEPS9_SE_NS0_5tupleIJPjSE_EEENSF_IJSE_SE_EEES9_SG_JZNS1_25segmented_radix_sort_implINS0_14default_configELb0EPKaPaPKlPlN2at6native12_GLOBAL__N_18offset_tEEE10hipError_tPvRmT1_PNSt15iterator_traitsISY_E10value_typeET2_T3_PNSZ_IS14_E10value_typeET4_jRbjT5_S1A_jjP12ihipStream_tbEUljE_EEESV_SW_SX_S14_S18_S1A_T6_T7_T9_mT8_S1C_bDpT10_ENKUlT_T0_E_clISt17integral_constantIbLb0EES1P_EEDaS1K_S1L_EUlS1K_E_NS1_11comp_targetILNS1_3genE3ELNS1_11target_archE908ELNS1_3gpuE7ELNS1_3repE0EEENS1_30default_config_static_selectorELNS0_4arch9wavefront6targetE0EEEvSY_.num_agpr, 0
	.set _ZN7rocprim17ROCPRIM_400000_NS6detail17trampoline_kernelINS0_13select_configILj256ELj13ELNS0_17block_load_methodE3ELS4_3ELS4_3ELNS0_20block_scan_algorithmE0ELj4294967295EEENS1_25partition_config_selectorILNS1_17partition_subalgoE3EjNS0_10empty_typeEbEEZZNS1_14partition_implILS8_3ELb0ES6_jNS0_17counting_iteratorIjlEEPS9_SE_NS0_5tupleIJPjSE_EEENSF_IJSE_SE_EEES9_SG_JZNS1_25segmented_radix_sort_implINS0_14default_configELb0EPKaPaPKlPlN2at6native12_GLOBAL__N_18offset_tEEE10hipError_tPvRmT1_PNSt15iterator_traitsISY_E10value_typeET2_T3_PNSZ_IS14_E10value_typeET4_jRbjT5_S1A_jjP12ihipStream_tbEUljE_EEESV_SW_SX_S14_S18_S1A_T6_T7_T9_mT8_S1C_bDpT10_ENKUlT_T0_E_clISt17integral_constantIbLb0EES1P_EEDaS1K_S1L_EUlS1K_E_NS1_11comp_targetILNS1_3genE3ELNS1_11target_archE908ELNS1_3gpuE7ELNS1_3repE0EEENS1_30default_config_static_selectorELNS0_4arch9wavefront6targetE0EEEvSY_.numbered_sgpr, 0
	.set _ZN7rocprim17ROCPRIM_400000_NS6detail17trampoline_kernelINS0_13select_configILj256ELj13ELNS0_17block_load_methodE3ELS4_3ELS4_3ELNS0_20block_scan_algorithmE0ELj4294967295EEENS1_25partition_config_selectorILNS1_17partition_subalgoE3EjNS0_10empty_typeEbEEZZNS1_14partition_implILS8_3ELb0ES6_jNS0_17counting_iteratorIjlEEPS9_SE_NS0_5tupleIJPjSE_EEENSF_IJSE_SE_EEES9_SG_JZNS1_25segmented_radix_sort_implINS0_14default_configELb0EPKaPaPKlPlN2at6native12_GLOBAL__N_18offset_tEEE10hipError_tPvRmT1_PNSt15iterator_traitsISY_E10value_typeET2_T3_PNSZ_IS14_E10value_typeET4_jRbjT5_S1A_jjP12ihipStream_tbEUljE_EEESV_SW_SX_S14_S18_S1A_T6_T7_T9_mT8_S1C_bDpT10_ENKUlT_T0_E_clISt17integral_constantIbLb0EES1P_EEDaS1K_S1L_EUlS1K_E_NS1_11comp_targetILNS1_3genE3ELNS1_11target_archE908ELNS1_3gpuE7ELNS1_3repE0EEENS1_30default_config_static_selectorELNS0_4arch9wavefront6targetE0EEEvSY_.num_named_barrier, 0
	.set _ZN7rocprim17ROCPRIM_400000_NS6detail17trampoline_kernelINS0_13select_configILj256ELj13ELNS0_17block_load_methodE3ELS4_3ELS4_3ELNS0_20block_scan_algorithmE0ELj4294967295EEENS1_25partition_config_selectorILNS1_17partition_subalgoE3EjNS0_10empty_typeEbEEZZNS1_14partition_implILS8_3ELb0ES6_jNS0_17counting_iteratorIjlEEPS9_SE_NS0_5tupleIJPjSE_EEENSF_IJSE_SE_EEES9_SG_JZNS1_25segmented_radix_sort_implINS0_14default_configELb0EPKaPaPKlPlN2at6native12_GLOBAL__N_18offset_tEEE10hipError_tPvRmT1_PNSt15iterator_traitsISY_E10value_typeET2_T3_PNSZ_IS14_E10value_typeET4_jRbjT5_S1A_jjP12ihipStream_tbEUljE_EEESV_SW_SX_S14_S18_S1A_T6_T7_T9_mT8_S1C_bDpT10_ENKUlT_T0_E_clISt17integral_constantIbLb0EES1P_EEDaS1K_S1L_EUlS1K_E_NS1_11comp_targetILNS1_3genE3ELNS1_11target_archE908ELNS1_3gpuE7ELNS1_3repE0EEENS1_30default_config_static_selectorELNS0_4arch9wavefront6targetE0EEEvSY_.private_seg_size, 0
	.set _ZN7rocprim17ROCPRIM_400000_NS6detail17trampoline_kernelINS0_13select_configILj256ELj13ELNS0_17block_load_methodE3ELS4_3ELS4_3ELNS0_20block_scan_algorithmE0ELj4294967295EEENS1_25partition_config_selectorILNS1_17partition_subalgoE3EjNS0_10empty_typeEbEEZZNS1_14partition_implILS8_3ELb0ES6_jNS0_17counting_iteratorIjlEEPS9_SE_NS0_5tupleIJPjSE_EEENSF_IJSE_SE_EEES9_SG_JZNS1_25segmented_radix_sort_implINS0_14default_configELb0EPKaPaPKlPlN2at6native12_GLOBAL__N_18offset_tEEE10hipError_tPvRmT1_PNSt15iterator_traitsISY_E10value_typeET2_T3_PNSZ_IS14_E10value_typeET4_jRbjT5_S1A_jjP12ihipStream_tbEUljE_EEESV_SW_SX_S14_S18_S1A_T6_T7_T9_mT8_S1C_bDpT10_ENKUlT_T0_E_clISt17integral_constantIbLb0EES1P_EEDaS1K_S1L_EUlS1K_E_NS1_11comp_targetILNS1_3genE3ELNS1_11target_archE908ELNS1_3gpuE7ELNS1_3repE0EEENS1_30default_config_static_selectorELNS0_4arch9wavefront6targetE0EEEvSY_.uses_vcc, 0
	.set _ZN7rocprim17ROCPRIM_400000_NS6detail17trampoline_kernelINS0_13select_configILj256ELj13ELNS0_17block_load_methodE3ELS4_3ELS4_3ELNS0_20block_scan_algorithmE0ELj4294967295EEENS1_25partition_config_selectorILNS1_17partition_subalgoE3EjNS0_10empty_typeEbEEZZNS1_14partition_implILS8_3ELb0ES6_jNS0_17counting_iteratorIjlEEPS9_SE_NS0_5tupleIJPjSE_EEENSF_IJSE_SE_EEES9_SG_JZNS1_25segmented_radix_sort_implINS0_14default_configELb0EPKaPaPKlPlN2at6native12_GLOBAL__N_18offset_tEEE10hipError_tPvRmT1_PNSt15iterator_traitsISY_E10value_typeET2_T3_PNSZ_IS14_E10value_typeET4_jRbjT5_S1A_jjP12ihipStream_tbEUljE_EEESV_SW_SX_S14_S18_S1A_T6_T7_T9_mT8_S1C_bDpT10_ENKUlT_T0_E_clISt17integral_constantIbLb0EES1P_EEDaS1K_S1L_EUlS1K_E_NS1_11comp_targetILNS1_3genE3ELNS1_11target_archE908ELNS1_3gpuE7ELNS1_3repE0EEENS1_30default_config_static_selectorELNS0_4arch9wavefront6targetE0EEEvSY_.uses_flat_scratch, 0
	.set _ZN7rocprim17ROCPRIM_400000_NS6detail17trampoline_kernelINS0_13select_configILj256ELj13ELNS0_17block_load_methodE3ELS4_3ELS4_3ELNS0_20block_scan_algorithmE0ELj4294967295EEENS1_25partition_config_selectorILNS1_17partition_subalgoE3EjNS0_10empty_typeEbEEZZNS1_14partition_implILS8_3ELb0ES6_jNS0_17counting_iteratorIjlEEPS9_SE_NS0_5tupleIJPjSE_EEENSF_IJSE_SE_EEES9_SG_JZNS1_25segmented_radix_sort_implINS0_14default_configELb0EPKaPaPKlPlN2at6native12_GLOBAL__N_18offset_tEEE10hipError_tPvRmT1_PNSt15iterator_traitsISY_E10value_typeET2_T3_PNSZ_IS14_E10value_typeET4_jRbjT5_S1A_jjP12ihipStream_tbEUljE_EEESV_SW_SX_S14_S18_S1A_T6_T7_T9_mT8_S1C_bDpT10_ENKUlT_T0_E_clISt17integral_constantIbLb0EES1P_EEDaS1K_S1L_EUlS1K_E_NS1_11comp_targetILNS1_3genE3ELNS1_11target_archE908ELNS1_3gpuE7ELNS1_3repE0EEENS1_30default_config_static_selectorELNS0_4arch9wavefront6targetE0EEEvSY_.has_dyn_sized_stack, 0
	.set _ZN7rocprim17ROCPRIM_400000_NS6detail17trampoline_kernelINS0_13select_configILj256ELj13ELNS0_17block_load_methodE3ELS4_3ELS4_3ELNS0_20block_scan_algorithmE0ELj4294967295EEENS1_25partition_config_selectorILNS1_17partition_subalgoE3EjNS0_10empty_typeEbEEZZNS1_14partition_implILS8_3ELb0ES6_jNS0_17counting_iteratorIjlEEPS9_SE_NS0_5tupleIJPjSE_EEENSF_IJSE_SE_EEES9_SG_JZNS1_25segmented_radix_sort_implINS0_14default_configELb0EPKaPaPKlPlN2at6native12_GLOBAL__N_18offset_tEEE10hipError_tPvRmT1_PNSt15iterator_traitsISY_E10value_typeET2_T3_PNSZ_IS14_E10value_typeET4_jRbjT5_S1A_jjP12ihipStream_tbEUljE_EEESV_SW_SX_S14_S18_S1A_T6_T7_T9_mT8_S1C_bDpT10_ENKUlT_T0_E_clISt17integral_constantIbLb0EES1P_EEDaS1K_S1L_EUlS1K_E_NS1_11comp_targetILNS1_3genE3ELNS1_11target_archE908ELNS1_3gpuE7ELNS1_3repE0EEENS1_30default_config_static_selectorELNS0_4arch9wavefront6targetE0EEEvSY_.has_recursion, 0
	.set _ZN7rocprim17ROCPRIM_400000_NS6detail17trampoline_kernelINS0_13select_configILj256ELj13ELNS0_17block_load_methodE3ELS4_3ELS4_3ELNS0_20block_scan_algorithmE0ELj4294967295EEENS1_25partition_config_selectorILNS1_17partition_subalgoE3EjNS0_10empty_typeEbEEZZNS1_14partition_implILS8_3ELb0ES6_jNS0_17counting_iteratorIjlEEPS9_SE_NS0_5tupleIJPjSE_EEENSF_IJSE_SE_EEES9_SG_JZNS1_25segmented_radix_sort_implINS0_14default_configELb0EPKaPaPKlPlN2at6native12_GLOBAL__N_18offset_tEEE10hipError_tPvRmT1_PNSt15iterator_traitsISY_E10value_typeET2_T3_PNSZ_IS14_E10value_typeET4_jRbjT5_S1A_jjP12ihipStream_tbEUljE_EEESV_SW_SX_S14_S18_S1A_T6_T7_T9_mT8_S1C_bDpT10_ENKUlT_T0_E_clISt17integral_constantIbLb0EES1P_EEDaS1K_S1L_EUlS1K_E_NS1_11comp_targetILNS1_3genE3ELNS1_11target_archE908ELNS1_3gpuE7ELNS1_3repE0EEENS1_30default_config_static_selectorELNS0_4arch9wavefront6targetE0EEEvSY_.has_indirect_call, 0
	.section	.AMDGPU.csdata,"",@progbits
; Kernel info:
; codeLenInByte = 0
; TotalNumSgprs: 0
; NumVgprs: 0
; ScratchSize: 0
; MemoryBound: 0
; FloatMode: 240
; IeeeMode: 1
; LDSByteSize: 0 bytes/workgroup (compile time only)
; SGPRBlocks: 0
; VGPRBlocks: 0
; NumSGPRsForWavesPerEU: 1
; NumVGPRsForWavesPerEU: 1
; Occupancy: 16
; WaveLimiterHint : 0
; COMPUTE_PGM_RSRC2:SCRATCH_EN: 0
; COMPUTE_PGM_RSRC2:USER_SGPR: 6
; COMPUTE_PGM_RSRC2:TRAP_HANDLER: 0
; COMPUTE_PGM_RSRC2:TGID_X_EN: 1
; COMPUTE_PGM_RSRC2:TGID_Y_EN: 0
; COMPUTE_PGM_RSRC2:TGID_Z_EN: 0
; COMPUTE_PGM_RSRC2:TIDIG_COMP_CNT: 0
	.section	.text._ZN7rocprim17ROCPRIM_400000_NS6detail17trampoline_kernelINS0_13select_configILj256ELj13ELNS0_17block_load_methodE3ELS4_3ELS4_3ELNS0_20block_scan_algorithmE0ELj4294967295EEENS1_25partition_config_selectorILNS1_17partition_subalgoE3EjNS0_10empty_typeEbEEZZNS1_14partition_implILS8_3ELb0ES6_jNS0_17counting_iteratorIjlEEPS9_SE_NS0_5tupleIJPjSE_EEENSF_IJSE_SE_EEES9_SG_JZNS1_25segmented_radix_sort_implINS0_14default_configELb0EPKaPaPKlPlN2at6native12_GLOBAL__N_18offset_tEEE10hipError_tPvRmT1_PNSt15iterator_traitsISY_E10value_typeET2_T3_PNSZ_IS14_E10value_typeET4_jRbjT5_S1A_jjP12ihipStream_tbEUljE_EEESV_SW_SX_S14_S18_S1A_T6_T7_T9_mT8_S1C_bDpT10_ENKUlT_T0_E_clISt17integral_constantIbLb0EES1P_EEDaS1K_S1L_EUlS1K_E_NS1_11comp_targetILNS1_3genE2ELNS1_11target_archE906ELNS1_3gpuE6ELNS1_3repE0EEENS1_30default_config_static_selectorELNS0_4arch9wavefront6targetE0EEEvSY_,"axG",@progbits,_ZN7rocprim17ROCPRIM_400000_NS6detail17trampoline_kernelINS0_13select_configILj256ELj13ELNS0_17block_load_methodE3ELS4_3ELS4_3ELNS0_20block_scan_algorithmE0ELj4294967295EEENS1_25partition_config_selectorILNS1_17partition_subalgoE3EjNS0_10empty_typeEbEEZZNS1_14partition_implILS8_3ELb0ES6_jNS0_17counting_iteratorIjlEEPS9_SE_NS0_5tupleIJPjSE_EEENSF_IJSE_SE_EEES9_SG_JZNS1_25segmented_radix_sort_implINS0_14default_configELb0EPKaPaPKlPlN2at6native12_GLOBAL__N_18offset_tEEE10hipError_tPvRmT1_PNSt15iterator_traitsISY_E10value_typeET2_T3_PNSZ_IS14_E10value_typeET4_jRbjT5_S1A_jjP12ihipStream_tbEUljE_EEESV_SW_SX_S14_S18_S1A_T6_T7_T9_mT8_S1C_bDpT10_ENKUlT_T0_E_clISt17integral_constantIbLb0EES1P_EEDaS1K_S1L_EUlS1K_E_NS1_11comp_targetILNS1_3genE2ELNS1_11target_archE906ELNS1_3gpuE6ELNS1_3repE0EEENS1_30default_config_static_selectorELNS0_4arch9wavefront6targetE0EEEvSY_,comdat
	.globl	_ZN7rocprim17ROCPRIM_400000_NS6detail17trampoline_kernelINS0_13select_configILj256ELj13ELNS0_17block_load_methodE3ELS4_3ELS4_3ELNS0_20block_scan_algorithmE0ELj4294967295EEENS1_25partition_config_selectorILNS1_17partition_subalgoE3EjNS0_10empty_typeEbEEZZNS1_14partition_implILS8_3ELb0ES6_jNS0_17counting_iteratorIjlEEPS9_SE_NS0_5tupleIJPjSE_EEENSF_IJSE_SE_EEES9_SG_JZNS1_25segmented_radix_sort_implINS0_14default_configELb0EPKaPaPKlPlN2at6native12_GLOBAL__N_18offset_tEEE10hipError_tPvRmT1_PNSt15iterator_traitsISY_E10value_typeET2_T3_PNSZ_IS14_E10value_typeET4_jRbjT5_S1A_jjP12ihipStream_tbEUljE_EEESV_SW_SX_S14_S18_S1A_T6_T7_T9_mT8_S1C_bDpT10_ENKUlT_T0_E_clISt17integral_constantIbLb0EES1P_EEDaS1K_S1L_EUlS1K_E_NS1_11comp_targetILNS1_3genE2ELNS1_11target_archE906ELNS1_3gpuE6ELNS1_3repE0EEENS1_30default_config_static_selectorELNS0_4arch9wavefront6targetE0EEEvSY_ ; -- Begin function _ZN7rocprim17ROCPRIM_400000_NS6detail17trampoline_kernelINS0_13select_configILj256ELj13ELNS0_17block_load_methodE3ELS4_3ELS4_3ELNS0_20block_scan_algorithmE0ELj4294967295EEENS1_25partition_config_selectorILNS1_17partition_subalgoE3EjNS0_10empty_typeEbEEZZNS1_14partition_implILS8_3ELb0ES6_jNS0_17counting_iteratorIjlEEPS9_SE_NS0_5tupleIJPjSE_EEENSF_IJSE_SE_EEES9_SG_JZNS1_25segmented_radix_sort_implINS0_14default_configELb0EPKaPaPKlPlN2at6native12_GLOBAL__N_18offset_tEEE10hipError_tPvRmT1_PNSt15iterator_traitsISY_E10value_typeET2_T3_PNSZ_IS14_E10value_typeET4_jRbjT5_S1A_jjP12ihipStream_tbEUljE_EEESV_SW_SX_S14_S18_S1A_T6_T7_T9_mT8_S1C_bDpT10_ENKUlT_T0_E_clISt17integral_constantIbLb0EES1P_EEDaS1K_S1L_EUlS1K_E_NS1_11comp_targetILNS1_3genE2ELNS1_11target_archE906ELNS1_3gpuE6ELNS1_3repE0EEENS1_30default_config_static_selectorELNS0_4arch9wavefront6targetE0EEEvSY_
	.p2align	8
	.type	_ZN7rocprim17ROCPRIM_400000_NS6detail17trampoline_kernelINS0_13select_configILj256ELj13ELNS0_17block_load_methodE3ELS4_3ELS4_3ELNS0_20block_scan_algorithmE0ELj4294967295EEENS1_25partition_config_selectorILNS1_17partition_subalgoE3EjNS0_10empty_typeEbEEZZNS1_14partition_implILS8_3ELb0ES6_jNS0_17counting_iteratorIjlEEPS9_SE_NS0_5tupleIJPjSE_EEENSF_IJSE_SE_EEES9_SG_JZNS1_25segmented_radix_sort_implINS0_14default_configELb0EPKaPaPKlPlN2at6native12_GLOBAL__N_18offset_tEEE10hipError_tPvRmT1_PNSt15iterator_traitsISY_E10value_typeET2_T3_PNSZ_IS14_E10value_typeET4_jRbjT5_S1A_jjP12ihipStream_tbEUljE_EEESV_SW_SX_S14_S18_S1A_T6_T7_T9_mT8_S1C_bDpT10_ENKUlT_T0_E_clISt17integral_constantIbLb0EES1P_EEDaS1K_S1L_EUlS1K_E_NS1_11comp_targetILNS1_3genE2ELNS1_11target_archE906ELNS1_3gpuE6ELNS1_3repE0EEENS1_30default_config_static_selectorELNS0_4arch9wavefront6targetE0EEEvSY_,@function
_ZN7rocprim17ROCPRIM_400000_NS6detail17trampoline_kernelINS0_13select_configILj256ELj13ELNS0_17block_load_methodE3ELS4_3ELS4_3ELNS0_20block_scan_algorithmE0ELj4294967295EEENS1_25partition_config_selectorILNS1_17partition_subalgoE3EjNS0_10empty_typeEbEEZZNS1_14partition_implILS8_3ELb0ES6_jNS0_17counting_iteratorIjlEEPS9_SE_NS0_5tupleIJPjSE_EEENSF_IJSE_SE_EEES9_SG_JZNS1_25segmented_radix_sort_implINS0_14default_configELb0EPKaPaPKlPlN2at6native12_GLOBAL__N_18offset_tEEE10hipError_tPvRmT1_PNSt15iterator_traitsISY_E10value_typeET2_T3_PNSZ_IS14_E10value_typeET4_jRbjT5_S1A_jjP12ihipStream_tbEUljE_EEESV_SW_SX_S14_S18_S1A_T6_T7_T9_mT8_S1C_bDpT10_ENKUlT_T0_E_clISt17integral_constantIbLb0EES1P_EEDaS1K_S1L_EUlS1K_E_NS1_11comp_targetILNS1_3genE2ELNS1_11target_archE906ELNS1_3gpuE6ELNS1_3repE0EEENS1_30default_config_static_selectorELNS0_4arch9wavefront6targetE0EEEvSY_: ; @_ZN7rocprim17ROCPRIM_400000_NS6detail17trampoline_kernelINS0_13select_configILj256ELj13ELNS0_17block_load_methodE3ELS4_3ELS4_3ELNS0_20block_scan_algorithmE0ELj4294967295EEENS1_25partition_config_selectorILNS1_17partition_subalgoE3EjNS0_10empty_typeEbEEZZNS1_14partition_implILS8_3ELb0ES6_jNS0_17counting_iteratorIjlEEPS9_SE_NS0_5tupleIJPjSE_EEENSF_IJSE_SE_EEES9_SG_JZNS1_25segmented_radix_sort_implINS0_14default_configELb0EPKaPaPKlPlN2at6native12_GLOBAL__N_18offset_tEEE10hipError_tPvRmT1_PNSt15iterator_traitsISY_E10value_typeET2_T3_PNSZ_IS14_E10value_typeET4_jRbjT5_S1A_jjP12ihipStream_tbEUljE_EEESV_SW_SX_S14_S18_S1A_T6_T7_T9_mT8_S1C_bDpT10_ENKUlT_T0_E_clISt17integral_constantIbLb0EES1P_EEDaS1K_S1L_EUlS1K_E_NS1_11comp_targetILNS1_3genE2ELNS1_11target_archE906ELNS1_3gpuE6ELNS1_3repE0EEENS1_30default_config_static_selectorELNS0_4arch9wavefront6targetE0EEEvSY_
; %bb.0:
	.section	.rodata,"a",@progbits
	.p2align	6, 0x0
	.amdhsa_kernel _ZN7rocprim17ROCPRIM_400000_NS6detail17trampoline_kernelINS0_13select_configILj256ELj13ELNS0_17block_load_methodE3ELS4_3ELS4_3ELNS0_20block_scan_algorithmE0ELj4294967295EEENS1_25partition_config_selectorILNS1_17partition_subalgoE3EjNS0_10empty_typeEbEEZZNS1_14partition_implILS8_3ELb0ES6_jNS0_17counting_iteratorIjlEEPS9_SE_NS0_5tupleIJPjSE_EEENSF_IJSE_SE_EEES9_SG_JZNS1_25segmented_radix_sort_implINS0_14default_configELb0EPKaPaPKlPlN2at6native12_GLOBAL__N_18offset_tEEE10hipError_tPvRmT1_PNSt15iterator_traitsISY_E10value_typeET2_T3_PNSZ_IS14_E10value_typeET4_jRbjT5_S1A_jjP12ihipStream_tbEUljE_EEESV_SW_SX_S14_S18_S1A_T6_T7_T9_mT8_S1C_bDpT10_ENKUlT_T0_E_clISt17integral_constantIbLb0EES1P_EEDaS1K_S1L_EUlS1K_E_NS1_11comp_targetILNS1_3genE2ELNS1_11target_archE906ELNS1_3gpuE6ELNS1_3repE0EEENS1_30default_config_static_selectorELNS0_4arch9wavefront6targetE0EEEvSY_
		.amdhsa_group_segment_fixed_size 0
		.amdhsa_private_segment_fixed_size 0
		.amdhsa_kernarg_size 144
		.amdhsa_user_sgpr_count 6
		.amdhsa_user_sgpr_private_segment_buffer 1
		.amdhsa_user_sgpr_dispatch_ptr 0
		.amdhsa_user_sgpr_queue_ptr 0
		.amdhsa_user_sgpr_kernarg_segment_ptr 1
		.amdhsa_user_sgpr_dispatch_id 0
		.amdhsa_user_sgpr_flat_scratch_init 0
		.amdhsa_user_sgpr_private_segment_size 0
		.amdhsa_wavefront_size32 1
		.amdhsa_uses_dynamic_stack 0
		.amdhsa_system_sgpr_private_segment_wavefront_offset 0
		.amdhsa_system_sgpr_workgroup_id_x 1
		.amdhsa_system_sgpr_workgroup_id_y 0
		.amdhsa_system_sgpr_workgroup_id_z 0
		.amdhsa_system_sgpr_workgroup_info 0
		.amdhsa_system_vgpr_workitem_id 0
		.amdhsa_next_free_vgpr 1
		.amdhsa_next_free_sgpr 1
		.amdhsa_reserve_vcc 0
		.amdhsa_reserve_flat_scratch 0
		.amdhsa_float_round_mode_32 0
		.amdhsa_float_round_mode_16_64 0
		.amdhsa_float_denorm_mode_32 3
		.amdhsa_float_denorm_mode_16_64 3
		.amdhsa_dx10_clamp 1
		.amdhsa_ieee_mode 1
		.amdhsa_fp16_overflow 0
		.amdhsa_workgroup_processor_mode 1
		.amdhsa_memory_ordered 1
		.amdhsa_forward_progress 1
		.amdhsa_shared_vgpr_count 0
		.amdhsa_exception_fp_ieee_invalid_op 0
		.amdhsa_exception_fp_denorm_src 0
		.amdhsa_exception_fp_ieee_div_zero 0
		.amdhsa_exception_fp_ieee_overflow 0
		.amdhsa_exception_fp_ieee_underflow 0
		.amdhsa_exception_fp_ieee_inexact 0
		.amdhsa_exception_int_div_zero 0
	.end_amdhsa_kernel
	.section	.text._ZN7rocprim17ROCPRIM_400000_NS6detail17trampoline_kernelINS0_13select_configILj256ELj13ELNS0_17block_load_methodE3ELS4_3ELS4_3ELNS0_20block_scan_algorithmE0ELj4294967295EEENS1_25partition_config_selectorILNS1_17partition_subalgoE3EjNS0_10empty_typeEbEEZZNS1_14partition_implILS8_3ELb0ES6_jNS0_17counting_iteratorIjlEEPS9_SE_NS0_5tupleIJPjSE_EEENSF_IJSE_SE_EEES9_SG_JZNS1_25segmented_radix_sort_implINS0_14default_configELb0EPKaPaPKlPlN2at6native12_GLOBAL__N_18offset_tEEE10hipError_tPvRmT1_PNSt15iterator_traitsISY_E10value_typeET2_T3_PNSZ_IS14_E10value_typeET4_jRbjT5_S1A_jjP12ihipStream_tbEUljE_EEESV_SW_SX_S14_S18_S1A_T6_T7_T9_mT8_S1C_bDpT10_ENKUlT_T0_E_clISt17integral_constantIbLb0EES1P_EEDaS1K_S1L_EUlS1K_E_NS1_11comp_targetILNS1_3genE2ELNS1_11target_archE906ELNS1_3gpuE6ELNS1_3repE0EEENS1_30default_config_static_selectorELNS0_4arch9wavefront6targetE0EEEvSY_,"axG",@progbits,_ZN7rocprim17ROCPRIM_400000_NS6detail17trampoline_kernelINS0_13select_configILj256ELj13ELNS0_17block_load_methodE3ELS4_3ELS4_3ELNS0_20block_scan_algorithmE0ELj4294967295EEENS1_25partition_config_selectorILNS1_17partition_subalgoE3EjNS0_10empty_typeEbEEZZNS1_14partition_implILS8_3ELb0ES6_jNS0_17counting_iteratorIjlEEPS9_SE_NS0_5tupleIJPjSE_EEENSF_IJSE_SE_EEES9_SG_JZNS1_25segmented_radix_sort_implINS0_14default_configELb0EPKaPaPKlPlN2at6native12_GLOBAL__N_18offset_tEEE10hipError_tPvRmT1_PNSt15iterator_traitsISY_E10value_typeET2_T3_PNSZ_IS14_E10value_typeET4_jRbjT5_S1A_jjP12ihipStream_tbEUljE_EEESV_SW_SX_S14_S18_S1A_T6_T7_T9_mT8_S1C_bDpT10_ENKUlT_T0_E_clISt17integral_constantIbLb0EES1P_EEDaS1K_S1L_EUlS1K_E_NS1_11comp_targetILNS1_3genE2ELNS1_11target_archE906ELNS1_3gpuE6ELNS1_3repE0EEENS1_30default_config_static_selectorELNS0_4arch9wavefront6targetE0EEEvSY_,comdat
.Lfunc_end362:
	.size	_ZN7rocprim17ROCPRIM_400000_NS6detail17trampoline_kernelINS0_13select_configILj256ELj13ELNS0_17block_load_methodE3ELS4_3ELS4_3ELNS0_20block_scan_algorithmE0ELj4294967295EEENS1_25partition_config_selectorILNS1_17partition_subalgoE3EjNS0_10empty_typeEbEEZZNS1_14partition_implILS8_3ELb0ES6_jNS0_17counting_iteratorIjlEEPS9_SE_NS0_5tupleIJPjSE_EEENSF_IJSE_SE_EEES9_SG_JZNS1_25segmented_radix_sort_implINS0_14default_configELb0EPKaPaPKlPlN2at6native12_GLOBAL__N_18offset_tEEE10hipError_tPvRmT1_PNSt15iterator_traitsISY_E10value_typeET2_T3_PNSZ_IS14_E10value_typeET4_jRbjT5_S1A_jjP12ihipStream_tbEUljE_EEESV_SW_SX_S14_S18_S1A_T6_T7_T9_mT8_S1C_bDpT10_ENKUlT_T0_E_clISt17integral_constantIbLb0EES1P_EEDaS1K_S1L_EUlS1K_E_NS1_11comp_targetILNS1_3genE2ELNS1_11target_archE906ELNS1_3gpuE6ELNS1_3repE0EEENS1_30default_config_static_selectorELNS0_4arch9wavefront6targetE0EEEvSY_, .Lfunc_end362-_ZN7rocprim17ROCPRIM_400000_NS6detail17trampoline_kernelINS0_13select_configILj256ELj13ELNS0_17block_load_methodE3ELS4_3ELS4_3ELNS0_20block_scan_algorithmE0ELj4294967295EEENS1_25partition_config_selectorILNS1_17partition_subalgoE3EjNS0_10empty_typeEbEEZZNS1_14partition_implILS8_3ELb0ES6_jNS0_17counting_iteratorIjlEEPS9_SE_NS0_5tupleIJPjSE_EEENSF_IJSE_SE_EEES9_SG_JZNS1_25segmented_radix_sort_implINS0_14default_configELb0EPKaPaPKlPlN2at6native12_GLOBAL__N_18offset_tEEE10hipError_tPvRmT1_PNSt15iterator_traitsISY_E10value_typeET2_T3_PNSZ_IS14_E10value_typeET4_jRbjT5_S1A_jjP12ihipStream_tbEUljE_EEESV_SW_SX_S14_S18_S1A_T6_T7_T9_mT8_S1C_bDpT10_ENKUlT_T0_E_clISt17integral_constantIbLb0EES1P_EEDaS1K_S1L_EUlS1K_E_NS1_11comp_targetILNS1_3genE2ELNS1_11target_archE906ELNS1_3gpuE6ELNS1_3repE0EEENS1_30default_config_static_selectorELNS0_4arch9wavefront6targetE0EEEvSY_
                                        ; -- End function
	.set _ZN7rocprim17ROCPRIM_400000_NS6detail17trampoline_kernelINS0_13select_configILj256ELj13ELNS0_17block_load_methodE3ELS4_3ELS4_3ELNS0_20block_scan_algorithmE0ELj4294967295EEENS1_25partition_config_selectorILNS1_17partition_subalgoE3EjNS0_10empty_typeEbEEZZNS1_14partition_implILS8_3ELb0ES6_jNS0_17counting_iteratorIjlEEPS9_SE_NS0_5tupleIJPjSE_EEENSF_IJSE_SE_EEES9_SG_JZNS1_25segmented_radix_sort_implINS0_14default_configELb0EPKaPaPKlPlN2at6native12_GLOBAL__N_18offset_tEEE10hipError_tPvRmT1_PNSt15iterator_traitsISY_E10value_typeET2_T3_PNSZ_IS14_E10value_typeET4_jRbjT5_S1A_jjP12ihipStream_tbEUljE_EEESV_SW_SX_S14_S18_S1A_T6_T7_T9_mT8_S1C_bDpT10_ENKUlT_T0_E_clISt17integral_constantIbLb0EES1P_EEDaS1K_S1L_EUlS1K_E_NS1_11comp_targetILNS1_3genE2ELNS1_11target_archE906ELNS1_3gpuE6ELNS1_3repE0EEENS1_30default_config_static_selectorELNS0_4arch9wavefront6targetE0EEEvSY_.num_vgpr, 0
	.set _ZN7rocprim17ROCPRIM_400000_NS6detail17trampoline_kernelINS0_13select_configILj256ELj13ELNS0_17block_load_methodE3ELS4_3ELS4_3ELNS0_20block_scan_algorithmE0ELj4294967295EEENS1_25partition_config_selectorILNS1_17partition_subalgoE3EjNS0_10empty_typeEbEEZZNS1_14partition_implILS8_3ELb0ES6_jNS0_17counting_iteratorIjlEEPS9_SE_NS0_5tupleIJPjSE_EEENSF_IJSE_SE_EEES9_SG_JZNS1_25segmented_radix_sort_implINS0_14default_configELb0EPKaPaPKlPlN2at6native12_GLOBAL__N_18offset_tEEE10hipError_tPvRmT1_PNSt15iterator_traitsISY_E10value_typeET2_T3_PNSZ_IS14_E10value_typeET4_jRbjT5_S1A_jjP12ihipStream_tbEUljE_EEESV_SW_SX_S14_S18_S1A_T6_T7_T9_mT8_S1C_bDpT10_ENKUlT_T0_E_clISt17integral_constantIbLb0EES1P_EEDaS1K_S1L_EUlS1K_E_NS1_11comp_targetILNS1_3genE2ELNS1_11target_archE906ELNS1_3gpuE6ELNS1_3repE0EEENS1_30default_config_static_selectorELNS0_4arch9wavefront6targetE0EEEvSY_.num_agpr, 0
	.set _ZN7rocprim17ROCPRIM_400000_NS6detail17trampoline_kernelINS0_13select_configILj256ELj13ELNS0_17block_load_methodE3ELS4_3ELS4_3ELNS0_20block_scan_algorithmE0ELj4294967295EEENS1_25partition_config_selectorILNS1_17partition_subalgoE3EjNS0_10empty_typeEbEEZZNS1_14partition_implILS8_3ELb0ES6_jNS0_17counting_iteratorIjlEEPS9_SE_NS0_5tupleIJPjSE_EEENSF_IJSE_SE_EEES9_SG_JZNS1_25segmented_radix_sort_implINS0_14default_configELb0EPKaPaPKlPlN2at6native12_GLOBAL__N_18offset_tEEE10hipError_tPvRmT1_PNSt15iterator_traitsISY_E10value_typeET2_T3_PNSZ_IS14_E10value_typeET4_jRbjT5_S1A_jjP12ihipStream_tbEUljE_EEESV_SW_SX_S14_S18_S1A_T6_T7_T9_mT8_S1C_bDpT10_ENKUlT_T0_E_clISt17integral_constantIbLb0EES1P_EEDaS1K_S1L_EUlS1K_E_NS1_11comp_targetILNS1_3genE2ELNS1_11target_archE906ELNS1_3gpuE6ELNS1_3repE0EEENS1_30default_config_static_selectorELNS0_4arch9wavefront6targetE0EEEvSY_.numbered_sgpr, 0
	.set _ZN7rocprim17ROCPRIM_400000_NS6detail17trampoline_kernelINS0_13select_configILj256ELj13ELNS0_17block_load_methodE3ELS4_3ELS4_3ELNS0_20block_scan_algorithmE0ELj4294967295EEENS1_25partition_config_selectorILNS1_17partition_subalgoE3EjNS0_10empty_typeEbEEZZNS1_14partition_implILS8_3ELb0ES6_jNS0_17counting_iteratorIjlEEPS9_SE_NS0_5tupleIJPjSE_EEENSF_IJSE_SE_EEES9_SG_JZNS1_25segmented_radix_sort_implINS0_14default_configELb0EPKaPaPKlPlN2at6native12_GLOBAL__N_18offset_tEEE10hipError_tPvRmT1_PNSt15iterator_traitsISY_E10value_typeET2_T3_PNSZ_IS14_E10value_typeET4_jRbjT5_S1A_jjP12ihipStream_tbEUljE_EEESV_SW_SX_S14_S18_S1A_T6_T7_T9_mT8_S1C_bDpT10_ENKUlT_T0_E_clISt17integral_constantIbLb0EES1P_EEDaS1K_S1L_EUlS1K_E_NS1_11comp_targetILNS1_3genE2ELNS1_11target_archE906ELNS1_3gpuE6ELNS1_3repE0EEENS1_30default_config_static_selectorELNS0_4arch9wavefront6targetE0EEEvSY_.num_named_barrier, 0
	.set _ZN7rocprim17ROCPRIM_400000_NS6detail17trampoline_kernelINS0_13select_configILj256ELj13ELNS0_17block_load_methodE3ELS4_3ELS4_3ELNS0_20block_scan_algorithmE0ELj4294967295EEENS1_25partition_config_selectorILNS1_17partition_subalgoE3EjNS0_10empty_typeEbEEZZNS1_14partition_implILS8_3ELb0ES6_jNS0_17counting_iteratorIjlEEPS9_SE_NS0_5tupleIJPjSE_EEENSF_IJSE_SE_EEES9_SG_JZNS1_25segmented_radix_sort_implINS0_14default_configELb0EPKaPaPKlPlN2at6native12_GLOBAL__N_18offset_tEEE10hipError_tPvRmT1_PNSt15iterator_traitsISY_E10value_typeET2_T3_PNSZ_IS14_E10value_typeET4_jRbjT5_S1A_jjP12ihipStream_tbEUljE_EEESV_SW_SX_S14_S18_S1A_T6_T7_T9_mT8_S1C_bDpT10_ENKUlT_T0_E_clISt17integral_constantIbLb0EES1P_EEDaS1K_S1L_EUlS1K_E_NS1_11comp_targetILNS1_3genE2ELNS1_11target_archE906ELNS1_3gpuE6ELNS1_3repE0EEENS1_30default_config_static_selectorELNS0_4arch9wavefront6targetE0EEEvSY_.private_seg_size, 0
	.set _ZN7rocprim17ROCPRIM_400000_NS6detail17trampoline_kernelINS0_13select_configILj256ELj13ELNS0_17block_load_methodE3ELS4_3ELS4_3ELNS0_20block_scan_algorithmE0ELj4294967295EEENS1_25partition_config_selectorILNS1_17partition_subalgoE3EjNS0_10empty_typeEbEEZZNS1_14partition_implILS8_3ELb0ES6_jNS0_17counting_iteratorIjlEEPS9_SE_NS0_5tupleIJPjSE_EEENSF_IJSE_SE_EEES9_SG_JZNS1_25segmented_radix_sort_implINS0_14default_configELb0EPKaPaPKlPlN2at6native12_GLOBAL__N_18offset_tEEE10hipError_tPvRmT1_PNSt15iterator_traitsISY_E10value_typeET2_T3_PNSZ_IS14_E10value_typeET4_jRbjT5_S1A_jjP12ihipStream_tbEUljE_EEESV_SW_SX_S14_S18_S1A_T6_T7_T9_mT8_S1C_bDpT10_ENKUlT_T0_E_clISt17integral_constantIbLb0EES1P_EEDaS1K_S1L_EUlS1K_E_NS1_11comp_targetILNS1_3genE2ELNS1_11target_archE906ELNS1_3gpuE6ELNS1_3repE0EEENS1_30default_config_static_selectorELNS0_4arch9wavefront6targetE0EEEvSY_.uses_vcc, 0
	.set _ZN7rocprim17ROCPRIM_400000_NS6detail17trampoline_kernelINS0_13select_configILj256ELj13ELNS0_17block_load_methodE3ELS4_3ELS4_3ELNS0_20block_scan_algorithmE0ELj4294967295EEENS1_25partition_config_selectorILNS1_17partition_subalgoE3EjNS0_10empty_typeEbEEZZNS1_14partition_implILS8_3ELb0ES6_jNS0_17counting_iteratorIjlEEPS9_SE_NS0_5tupleIJPjSE_EEENSF_IJSE_SE_EEES9_SG_JZNS1_25segmented_radix_sort_implINS0_14default_configELb0EPKaPaPKlPlN2at6native12_GLOBAL__N_18offset_tEEE10hipError_tPvRmT1_PNSt15iterator_traitsISY_E10value_typeET2_T3_PNSZ_IS14_E10value_typeET4_jRbjT5_S1A_jjP12ihipStream_tbEUljE_EEESV_SW_SX_S14_S18_S1A_T6_T7_T9_mT8_S1C_bDpT10_ENKUlT_T0_E_clISt17integral_constantIbLb0EES1P_EEDaS1K_S1L_EUlS1K_E_NS1_11comp_targetILNS1_3genE2ELNS1_11target_archE906ELNS1_3gpuE6ELNS1_3repE0EEENS1_30default_config_static_selectorELNS0_4arch9wavefront6targetE0EEEvSY_.uses_flat_scratch, 0
	.set _ZN7rocprim17ROCPRIM_400000_NS6detail17trampoline_kernelINS0_13select_configILj256ELj13ELNS0_17block_load_methodE3ELS4_3ELS4_3ELNS0_20block_scan_algorithmE0ELj4294967295EEENS1_25partition_config_selectorILNS1_17partition_subalgoE3EjNS0_10empty_typeEbEEZZNS1_14partition_implILS8_3ELb0ES6_jNS0_17counting_iteratorIjlEEPS9_SE_NS0_5tupleIJPjSE_EEENSF_IJSE_SE_EEES9_SG_JZNS1_25segmented_radix_sort_implINS0_14default_configELb0EPKaPaPKlPlN2at6native12_GLOBAL__N_18offset_tEEE10hipError_tPvRmT1_PNSt15iterator_traitsISY_E10value_typeET2_T3_PNSZ_IS14_E10value_typeET4_jRbjT5_S1A_jjP12ihipStream_tbEUljE_EEESV_SW_SX_S14_S18_S1A_T6_T7_T9_mT8_S1C_bDpT10_ENKUlT_T0_E_clISt17integral_constantIbLb0EES1P_EEDaS1K_S1L_EUlS1K_E_NS1_11comp_targetILNS1_3genE2ELNS1_11target_archE906ELNS1_3gpuE6ELNS1_3repE0EEENS1_30default_config_static_selectorELNS0_4arch9wavefront6targetE0EEEvSY_.has_dyn_sized_stack, 0
	.set _ZN7rocprim17ROCPRIM_400000_NS6detail17trampoline_kernelINS0_13select_configILj256ELj13ELNS0_17block_load_methodE3ELS4_3ELS4_3ELNS0_20block_scan_algorithmE0ELj4294967295EEENS1_25partition_config_selectorILNS1_17partition_subalgoE3EjNS0_10empty_typeEbEEZZNS1_14partition_implILS8_3ELb0ES6_jNS0_17counting_iteratorIjlEEPS9_SE_NS0_5tupleIJPjSE_EEENSF_IJSE_SE_EEES9_SG_JZNS1_25segmented_radix_sort_implINS0_14default_configELb0EPKaPaPKlPlN2at6native12_GLOBAL__N_18offset_tEEE10hipError_tPvRmT1_PNSt15iterator_traitsISY_E10value_typeET2_T3_PNSZ_IS14_E10value_typeET4_jRbjT5_S1A_jjP12ihipStream_tbEUljE_EEESV_SW_SX_S14_S18_S1A_T6_T7_T9_mT8_S1C_bDpT10_ENKUlT_T0_E_clISt17integral_constantIbLb0EES1P_EEDaS1K_S1L_EUlS1K_E_NS1_11comp_targetILNS1_3genE2ELNS1_11target_archE906ELNS1_3gpuE6ELNS1_3repE0EEENS1_30default_config_static_selectorELNS0_4arch9wavefront6targetE0EEEvSY_.has_recursion, 0
	.set _ZN7rocprim17ROCPRIM_400000_NS6detail17trampoline_kernelINS0_13select_configILj256ELj13ELNS0_17block_load_methodE3ELS4_3ELS4_3ELNS0_20block_scan_algorithmE0ELj4294967295EEENS1_25partition_config_selectorILNS1_17partition_subalgoE3EjNS0_10empty_typeEbEEZZNS1_14partition_implILS8_3ELb0ES6_jNS0_17counting_iteratorIjlEEPS9_SE_NS0_5tupleIJPjSE_EEENSF_IJSE_SE_EEES9_SG_JZNS1_25segmented_radix_sort_implINS0_14default_configELb0EPKaPaPKlPlN2at6native12_GLOBAL__N_18offset_tEEE10hipError_tPvRmT1_PNSt15iterator_traitsISY_E10value_typeET2_T3_PNSZ_IS14_E10value_typeET4_jRbjT5_S1A_jjP12ihipStream_tbEUljE_EEESV_SW_SX_S14_S18_S1A_T6_T7_T9_mT8_S1C_bDpT10_ENKUlT_T0_E_clISt17integral_constantIbLb0EES1P_EEDaS1K_S1L_EUlS1K_E_NS1_11comp_targetILNS1_3genE2ELNS1_11target_archE906ELNS1_3gpuE6ELNS1_3repE0EEENS1_30default_config_static_selectorELNS0_4arch9wavefront6targetE0EEEvSY_.has_indirect_call, 0
	.section	.AMDGPU.csdata,"",@progbits
; Kernel info:
; codeLenInByte = 0
; TotalNumSgprs: 0
; NumVgprs: 0
; ScratchSize: 0
; MemoryBound: 0
; FloatMode: 240
; IeeeMode: 1
; LDSByteSize: 0 bytes/workgroup (compile time only)
; SGPRBlocks: 0
; VGPRBlocks: 0
; NumSGPRsForWavesPerEU: 1
; NumVGPRsForWavesPerEU: 1
; Occupancy: 16
; WaveLimiterHint : 0
; COMPUTE_PGM_RSRC2:SCRATCH_EN: 0
; COMPUTE_PGM_RSRC2:USER_SGPR: 6
; COMPUTE_PGM_RSRC2:TRAP_HANDLER: 0
; COMPUTE_PGM_RSRC2:TGID_X_EN: 1
; COMPUTE_PGM_RSRC2:TGID_Y_EN: 0
; COMPUTE_PGM_RSRC2:TGID_Z_EN: 0
; COMPUTE_PGM_RSRC2:TIDIG_COMP_CNT: 0
	.section	.text._ZN7rocprim17ROCPRIM_400000_NS6detail17trampoline_kernelINS0_13select_configILj256ELj13ELNS0_17block_load_methodE3ELS4_3ELS4_3ELNS0_20block_scan_algorithmE0ELj4294967295EEENS1_25partition_config_selectorILNS1_17partition_subalgoE3EjNS0_10empty_typeEbEEZZNS1_14partition_implILS8_3ELb0ES6_jNS0_17counting_iteratorIjlEEPS9_SE_NS0_5tupleIJPjSE_EEENSF_IJSE_SE_EEES9_SG_JZNS1_25segmented_radix_sort_implINS0_14default_configELb0EPKaPaPKlPlN2at6native12_GLOBAL__N_18offset_tEEE10hipError_tPvRmT1_PNSt15iterator_traitsISY_E10value_typeET2_T3_PNSZ_IS14_E10value_typeET4_jRbjT5_S1A_jjP12ihipStream_tbEUljE_EEESV_SW_SX_S14_S18_S1A_T6_T7_T9_mT8_S1C_bDpT10_ENKUlT_T0_E_clISt17integral_constantIbLb0EES1P_EEDaS1K_S1L_EUlS1K_E_NS1_11comp_targetILNS1_3genE10ELNS1_11target_archE1200ELNS1_3gpuE4ELNS1_3repE0EEENS1_30default_config_static_selectorELNS0_4arch9wavefront6targetE0EEEvSY_,"axG",@progbits,_ZN7rocprim17ROCPRIM_400000_NS6detail17trampoline_kernelINS0_13select_configILj256ELj13ELNS0_17block_load_methodE3ELS4_3ELS4_3ELNS0_20block_scan_algorithmE0ELj4294967295EEENS1_25partition_config_selectorILNS1_17partition_subalgoE3EjNS0_10empty_typeEbEEZZNS1_14partition_implILS8_3ELb0ES6_jNS0_17counting_iteratorIjlEEPS9_SE_NS0_5tupleIJPjSE_EEENSF_IJSE_SE_EEES9_SG_JZNS1_25segmented_radix_sort_implINS0_14default_configELb0EPKaPaPKlPlN2at6native12_GLOBAL__N_18offset_tEEE10hipError_tPvRmT1_PNSt15iterator_traitsISY_E10value_typeET2_T3_PNSZ_IS14_E10value_typeET4_jRbjT5_S1A_jjP12ihipStream_tbEUljE_EEESV_SW_SX_S14_S18_S1A_T6_T7_T9_mT8_S1C_bDpT10_ENKUlT_T0_E_clISt17integral_constantIbLb0EES1P_EEDaS1K_S1L_EUlS1K_E_NS1_11comp_targetILNS1_3genE10ELNS1_11target_archE1200ELNS1_3gpuE4ELNS1_3repE0EEENS1_30default_config_static_selectorELNS0_4arch9wavefront6targetE0EEEvSY_,comdat
	.globl	_ZN7rocprim17ROCPRIM_400000_NS6detail17trampoline_kernelINS0_13select_configILj256ELj13ELNS0_17block_load_methodE3ELS4_3ELS4_3ELNS0_20block_scan_algorithmE0ELj4294967295EEENS1_25partition_config_selectorILNS1_17partition_subalgoE3EjNS0_10empty_typeEbEEZZNS1_14partition_implILS8_3ELb0ES6_jNS0_17counting_iteratorIjlEEPS9_SE_NS0_5tupleIJPjSE_EEENSF_IJSE_SE_EEES9_SG_JZNS1_25segmented_radix_sort_implINS0_14default_configELb0EPKaPaPKlPlN2at6native12_GLOBAL__N_18offset_tEEE10hipError_tPvRmT1_PNSt15iterator_traitsISY_E10value_typeET2_T3_PNSZ_IS14_E10value_typeET4_jRbjT5_S1A_jjP12ihipStream_tbEUljE_EEESV_SW_SX_S14_S18_S1A_T6_T7_T9_mT8_S1C_bDpT10_ENKUlT_T0_E_clISt17integral_constantIbLb0EES1P_EEDaS1K_S1L_EUlS1K_E_NS1_11comp_targetILNS1_3genE10ELNS1_11target_archE1200ELNS1_3gpuE4ELNS1_3repE0EEENS1_30default_config_static_selectorELNS0_4arch9wavefront6targetE0EEEvSY_ ; -- Begin function _ZN7rocprim17ROCPRIM_400000_NS6detail17trampoline_kernelINS0_13select_configILj256ELj13ELNS0_17block_load_methodE3ELS4_3ELS4_3ELNS0_20block_scan_algorithmE0ELj4294967295EEENS1_25partition_config_selectorILNS1_17partition_subalgoE3EjNS0_10empty_typeEbEEZZNS1_14partition_implILS8_3ELb0ES6_jNS0_17counting_iteratorIjlEEPS9_SE_NS0_5tupleIJPjSE_EEENSF_IJSE_SE_EEES9_SG_JZNS1_25segmented_radix_sort_implINS0_14default_configELb0EPKaPaPKlPlN2at6native12_GLOBAL__N_18offset_tEEE10hipError_tPvRmT1_PNSt15iterator_traitsISY_E10value_typeET2_T3_PNSZ_IS14_E10value_typeET4_jRbjT5_S1A_jjP12ihipStream_tbEUljE_EEESV_SW_SX_S14_S18_S1A_T6_T7_T9_mT8_S1C_bDpT10_ENKUlT_T0_E_clISt17integral_constantIbLb0EES1P_EEDaS1K_S1L_EUlS1K_E_NS1_11comp_targetILNS1_3genE10ELNS1_11target_archE1200ELNS1_3gpuE4ELNS1_3repE0EEENS1_30default_config_static_selectorELNS0_4arch9wavefront6targetE0EEEvSY_
	.p2align	8
	.type	_ZN7rocprim17ROCPRIM_400000_NS6detail17trampoline_kernelINS0_13select_configILj256ELj13ELNS0_17block_load_methodE3ELS4_3ELS4_3ELNS0_20block_scan_algorithmE0ELj4294967295EEENS1_25partition_config_selectorILNS1_17partition_subalgoE3EjNS0_10empty_typeEbEEZZNS1_14partition_implILS8_3ELb0ES6_jNS0_17counting_iteratorIjlEEPS9_SE_NS0_5tupleIJPjSE_EEENSF_IJSE_SE_EEES9_SG_JZNS1_25segmented_radix_sort_implINS0_14default_configELb0EPKaPaPKlPlN2at6native12_GLOBAL__N_18offset_tEEE10hipError_tPvRmT1_PNSt15iterator_traitsISY_E10value_typeET2_T3_PNSZ_IS14_E10value_typeET4_jRbjT5_S1A_jjP12ihipStream_tbEUljE_EEESV_SW_SX_S14_S18_S1A_T6_T7_T9_mT8_S1C_bDpT10_ENKUlT_T0_E_clISt17integral_constantIbLb0EES1P_EEDaS1K_S1L_EUlS1K_E_NS1_11comp_targetILNS1_3genE10ELNS1_11target_archE1200ELNS1_3gpuE4ELNS1_3repE0EEENS1_30default_config_static_selectorELNS0_4arch9wavefront6targetE0EEEvSY_,@function
_ZN7rocprim17ROCPRIM_400000_NS6detail17trampoline_kernelINS0_13select_configILj256ELj13ELNS0_17block_load_methodE3ELS4_3ELS4_3ELNS0_20block_scan_algorithmE0ELj4294967295EEENS1_25partition_config_selectorILNS1_17partition_subalgoE3EjNS0_10empty_typeEbEEZZNS1_14partition_implILS8_3ELb0ES6_jNS0_17counting_iteratorIjlEEPS9_SE_NS0_5tupleIJPjSE_EEENSF_IJSE_SE_EEES9_SG_JZNS1_25segmented_radix_sort_implINS0_14default_configELb0EPKaPaPKlPlN2at6native12_GLOBAL__N_18offset_tEEE10hipError_tPvRmT1_PNSt15iterator_traitsISY_E10value_typeET2_T3_PNSZ_IS14_E10value_typeET4_jRbjT5_S1A_jjP12ihipStream_tbEUljE_EEESV_SW_SX_S14_S18_S1A_T6_T7_T9_mT8_S1C_bDpT10_ENKUlT_T0_E_clISt17integral_constantIbLb0EES1P_EEDaS1K_S1L_EUlS1K_E_NS1_11comp_targetILNS1_3genE10ELNS1_11target_archE1200ELNS1_3gpuE4ELNS1_3repE0EEENS1_30default_config_static_selectorELNS0_4arch9wavefront6targetE0EEEvSY_: ; @_ZN7rocprim17ROCPRIM_400000_NS6detail17trampoline_kernelINS0_13select_configILj256ELj13ELNS0_17block_load_methodE3ELS4_3ELS4_3ELNS0_20block_scan_algorithmE0ELj4294967295EEENS1_25partition_config_selectorILNS1_17partition_subalgoE3EjNS0_10empty_typeEbEEZZNS1_14partition_implILS8_3ELb0ES6_jNS0_17counting_iteratorIjlEEPS9_SE_NS0_5tupleIJPjSE_EEENSF_IJSE_SE_EEES9_SG_JZNS1_25segmented_radix_sort_implINS0_14default_configELb0EPKaPaPKlPlN2at6native12_GLOBAL__N_18offset_tEEE10hipError_tPvRmT1_PNSt15iterator_traitsISY_E10value_typeET2_T3_PNSZ_IS14_E10value_typeET4_jRbjT5_S1A_jjP12ihipStream_tbEUljE_EEESV_SW_SX_S14_S18_S1A_T6_T7_T9_mT8_S1C_bDpT10_ENKUlT_T0_E_clISt17integral_constantIbLb0EES1P_EEDaS1K_S1L_EUlS1K_E_NS1_11comp_targetILNS1_3genE10ELNS1_11target_archE1200ELNS1_3gpuE4ELNS1_3repE0EEENS1_30default_config_static_selectorELNS0_4arch9wavefront6targetE0EEEvSY_
; %bb.0:
	.section	.rodata,"a",@progbits
	.p2align	6, 0x0
	.amdhsa_kernel _ZN7rocprim17ROCPRIM_400000_NS6detail17trampoline_kernelINS0_13select_configILj256ELj13ELNS0_17block_load_methodE3ELS4_3ELS4_3ELNS0_20block_scan_algorithmE0ELj4294967295EEENS1_25partition_config_selectorILNS1_17partition_subalgoE3EjNS0_10empty_typeEbEEZZNS1_14partition_implILS8_3ELb0ES6_jNS0_17counting_iteratorIjlEEPS9_SE_NS0_5tupleIJPjSE_EEENSF_IJSE_SE_EEES9_SG_JZNS1_25segmented_radix_sort_implINS0_14default_configELb0EPKaPaPKlPlN2at6native12_GLOBAL__N_18offset_tEEE10hipError_tPvRmT1_PNSt15iterator_traitsISY_E10value_typeET2_T3_PNSZ_IS14_E10value_typeET4_jRbjT5_S1A_jjP12ihipStream_tbEUljE_EEESV_SW_SX_S14_S18_S1A_T6_T7_T9_mT8_S1C_bDpT10_ENKUlT_T0_E_clISt17integral_constantIbLb0EES1P_EEDaS1K_S1L_EUlS1K_E_NS1_11comp_targetILNS1_3genE10ELNS1_11target_archE1200ELNS1_3gpuE4ELNS1_3repE0EEENS1_30default_config_static_selectorELNS0_4arch9wavefront6targetE0EEEvSY_
		.amdhsa_group_segment_fixed_size 0
		.amdhsa_private_segment_fixed_size 0
		.amdhsa_kernarg_size 144
		.amdhsa_user_sgpr_count 6
		.amdhsa_user_sgpr_private_segment_buffer 1
		.amdhsa_user_sgpr_dispatch_ptr 0
		.amdhsa_user_sgpr_queue_ptr 0
		.amdhsa_user_sgpr_kernarg_segment_ptr 1
		.amdhsa_user_sgpr_dispatch_id 0
		.amdhsa_user_sgpr_flat_scratch_init 0
		.amdhsa_user_sgpr_private_segment_size 0
		.amdhsa_wavefront_size32 1
		.amdhsa_uses_dynamic_stack 0
		.amdhsa_system_sgpr_private_segment_wavefront_offset 0
		.amdhsa_system_sgpr_workgroup_id_x 1
		.amdhsa_system_sgpr_workgroup_id_y 0
		.amdhsa_system_sgpr_workgroup_id_z 0
		.amdhsa_system_sgpr_workgroup_info 0
		.amdhsa_system_vgpr_workitem_id 0
		.amdhsa_next_free_vgpr 1
		.amdhsa_next_free_sgpr 1
		.amdhsa_reserve_vcc 0
		.amdhsa_reserve_flat_scratch 0
		.amdhsa_float_round_mode_32 0
		.amdhsa_float_round_mode_16_64 0
		.amdhsa_float_denorm_mode_32 3
		.amdhsa_float_denorm_mode_16_64 3
		.amdhsa_dx10_clamp 1
		.amdhsa_ieee_mode 1
		.amdhsa_fp16_overflow 0
		.amdhsa_workgroup_processor_mode 1
		.amdhsa_memory_ordered 1
		.amdhsa_forward_progress 1
		.amdhsa_shared_vgpr_count 0
		.amdhsa_exception_fp_ieee_invalid_op 0
		.amdhsa_exception_fp_denorm_src 0
		.amdhsa_exception_fp_ieee_div_zero 0
		.amdhsa_exception_fp_ieee_overflow 0
		.amdhsa_exception_fp_ieee_underflow 0
		.amdhsa_exception_fp_ieee_inexact 0
		.amdhsa_exception_int_div_zero 0
	.end_amdhsa_kernel
	.section	.text._ZN7rocprim17ROCPRIM_400000_NS6detail17trampoline_kernelINS0_13select_configILj256ELj13ELNS0_17block_load_methodE3ELS4_3ELS4_3ELNS0_20block_scan_algorithmE0ELj4294967295EEENS1_25partition_config_selectorILNS1_17partition_subalgoE3EjNS0_10empty_typeEbEEZZNS1_14partition_implILS8_3ELb0ES6_jNS0_17counting_iteratorIjlEEPS9_SE_NS0_5tupleIJPjSE_EEENSF_IJSE_SE_EEES9_SG_JZNS1_25segmented_radix_sort_implINS0_14default_configELb0EPKaPaPKlPlN2at6native12_GLOBAL__N_18offset_tEEE10hipError_tPvRmT1_PNSt15iterator_traitsISY_E10value_typeET2_T3_PNSZ_IS14_E10value_typeET4_jRbjT5_S1A_jjP12ihipStream_tbEUljE_EEESV_SW_SX_S14_S18_S1A_T6_T7_T9_mT8_S1C_bDpT10_ENKUlT_T0_E_clISt17integral_constantIbLb0EES1P_EEDaS1K_S1L_EUlS1K_E_NS1_11comp_targetILNS1_3genE10ELNS1_11target_archE1200ELNS1_3gpuE4ELNS1_3repE0EEENS1_30default_config_static_selectorELNS0_4arch9wavefront6targetE0EEEvSY_,"axG",@progbits,_ZN7rocprim17ROCPRIM_400000_NS6detail17trampoline_kernelINS0_13select_configILj256ELj13ELNS0_17block_load_methodE3ELS4_3ELS4_3ELNS0_20block_scan_algorithmE0ELj4294967295EEENS1_25partition_config_selectorILNS1_17partition_subalgoE3EjNS0_10empty_typeEbEEZZNS1_14partition_implILS8_3ELb0ES6_jNS0_17counting_iteratorIjlEEPS9_SE_NS0_5tupleIJPjSE_EEENSF_IJSE_SE_EEES9_SG_JZNS1_25segmented_radix_sort_implINS0_14default_configELb0EPKaPaPKlPlN2at6native12_GLOBAL__N_18offset_tEEE10hipError_tPvRmT1_PNSt15iterator_traitsISY_E10value_typeET2_T3_PNSZ_IS14_E10value_typeET4_jRbjT5_S1A_jjP12ihipStream_tbEUljE_EEESV_SW_SX_S14_S18_S1A_T6_T7_T9_mT8_S1C_bDpT10_ENKUlT_T0_E_clISt17integral_constantIbLb0EES1P_EEDaS1K_S1L_EUlS1K_E_NS1_11comp_targetILNS1_3genE10ELNS1_11target_archE1200ELNS1_3gpuE4ELNS1_3repE0EEENS1_30default_config_static_selectorELNS0_4arch9wavefront6targetE0EEEvSY_,comdat
.Lfunc_end363:
	.size	_ZN7rocprim17ROCPRIM_400000_NS6detail17trampoline_kernelINS0_13select_configILj256ELj13ELNS0_17block_load_methodE3ELS4_3ELS4_3ELNS0_20block_scan_algorithmE0ELj4294967295EEENS1_25partition_config_selectorILNS1_17partition_subalgoE3EjNS0_10empty_typeEbEEZZNS1_14partition_implILS8_3ELb0ES6_jNS0_17counting_iteratorIjlEEPS9_SE_NS0_5tupleIJPjSE_EEENSF_IJSE_SE_EEES9_SG_JZNS1_25segmented_radix_sort_implINS0_14default_configELb0EPKaPaPKlPlN2at6native12_GLOBAL__N_18offset_tEEE10hipError_tPvRmT1_PNSt15iterator_traitsISY_E10value_typeET2_T3_PNSZ_IS14_E10value_typeET4_jRbjT5_S1A_jjP12ihipStream_tbEUljE_EEESV_SW_SX_S14_S18_S1A_T6_T7_T9_mT8_S1C_bDpT10_ENKUlT_T0_E_clISt17integral_constantIbLb0EES1P_EEDaS1K_S1L_EUlS1K_E_NS1_11comp_targetILNS1_3genE10ELNS1_11target_archE1200ELNS1_3gpuE4ELNS1_3repE0EEENS1_30default_config_static_selectorELNS0_4arch9wavefront6targetE0EEEvSY_, .Lfunc_end363-_ZN7rocprim17ROCPRIM_400000_NS6detail17trampoline_kernelINS0_13select_configILj256ELj13ELNS0_17block_load_methodE3ELS4_3ELS4_3ELNS0_20block_scan_algorithmE0ELj4294967295EEENS1_25partition_config_selectorILNS1_17partition_subalgoE3EjNS0_10empty_typeEbEEZZNS1_14partition_implILS8_3ELb0ES6_jNS0_17counting_iteratorIjlEEPS9_SE_NS0_5tupleIJPjSE_EEENSF_IJSE_SE_EEES9_SG_JZNS1_25segmented_radix_sort_implINS0_14default_configELb0EPKaPaPKlPlN2at6native12_GLOBAL__N_18offset_tEEE10hipError_tPvRmT1_PNSt15iterator_traitsISY_E10value_typeET2_T3_PNSZ_IS14_E10value_typeET4_jRbjT5_S1A_jjP12ihipStream_tbEUljE_EEESV_SW_SX_S14_S18_S1A_T6_T7_T9_mT8_S1C_bDpT10_ENKUlT_T0_E_clISt17integral_constantIbLb0EES1P_EEDaS1K_S1L_EUlS1K_E_NS1_11comp_targetILNS1_3genE10ELNS1_11target_archE1200ELNS1_3gpuE4ELNS1_3repE0EEENS1_30default_config_static_selectorELNS0_4arch9wavefront6targetE0EEEvSY_
                                        ; -- End function
	.set _ZN7rocprim17ROCPRIM_400000_NS6detail17trampoline_kernelINS0_13select_configILj256ELj13ELNS0_17block_load_methodE3ELS4_3ELS4_3ELNS0_20block_scan_algorithmE0ELj4294967295EEENS1_25partition_config_selectorILNS1_17partition_subalgoE3EjNS0_10empty_typeEbEEZZNS1_14partition_implILS8_3ELb0ES6_jNS0_17counting_iteratorIjlEEPS9_SE_NS0_5tupleIJPjSE_EEENSF_IJSE_SE_EEES9_SG_JZNS1_25segmented_radix_sort_implINS0_14default_configELb0EPKaPaPKlPlN2at6native12_GLOBAL__N_18offset_tEEE10hipError_tPvRmT1_PNSt15iterator_traitsISY_E10value_typeET2_T3_PNSZ_IS14_E10value_typeET4_jRbjT5_S1A_jjP12ihipStream_tbEUljE_EEESV_SW_SX_S14_S18_S1A_T6_T7_T9_mT8_S1C_bDpT10_ENKUlT_T0_E_clISt17integral_constantIbLb0EES1P_EEDaS1K_S1L_EUlS1K_E_NS1_11comp_targetILNS1_3genE10ELNS1_11target_archE1200ELNS1_3gpuE4ELNS1_3repE0EEENS1_30default_config_static_selectorELNS0_4arch9wavefront6targetE0EEEvSY_.num_vgpr, 0
	.set _ZN7rocprim17ROCPRIM_400000_NS6detail17trampoline_kernelINS0_13select_configILj256ELj13ELNS0_17block_load_methodE3ELS4_3ELS4_3ELNS0_20block_scan_algorithmE0ELj4294967295EEENS1_25partition_config_selectorILNS1_17partition_subalgoE3EjNS0_10empty_typeEbEEZZNS1_14partition_implILS8_3ELb0ES6_jNS0_17counting_iteratorIjlEEPS9_SE_NS0_5tupleIJPjSE_EEENSF_IJSE_SE_EEES9_SG_JZNS1_25segmented_radix_sort_implINS0_14default_configELb0EPKaPaPKlPlN2at6native12_GLOBAL__N_18offset_tEEE10hipError_tPvRmT1_PNSt15iterator_traitsISY_E10value_typeET2_T3_PNSZ_IS14_E10value_typeET4_jRbjT5_S1A_jjP12ihipStream_tbEUljE_EEESV_SW_SX_S14_S18_S1A_T6_T7_T9_mT8_S1C_bDpT10_ENKUlT_T0_E_clISt17integral_constantIbLb0EES1P_EEDaS1K_S1L_EUlS1K_E_NS1_11comp_targetILNS1_3genE10ELNS1_11target_archE1200ELNS1_3gpuE4ELNS1_3repE0EEENS1_30default_config_static_selectorELNS0_4arch9wavefront6targetE0EEEvSY_.num_agpr, 0
	.set _ZN7rocprim17ROCPRIM_400000_NS6detail17trampoline_kernelINS0_13select_configILj256ELj13ELNS0_17block_load_methodE3ELS4_3ELS4_3ELNS0_20block_scan_algorithmE0ELj4294967295EEENS1_25partition_config_selectorILNS1_17partition_subalgoE3EjNS0_10empty_typeEbEEZZNS1_14partition_implILS8_3ELb0ES6_jNS0_17counting_iteratorIjlEEPS9_SE_NS0_5tupleIJPjSE_EEENSF_IJSE_SE_EEES9_SG_JZNS1_25segmented_radix_sort_implINS0_14default_configELb0EPKaPaPKlPlN2at6native12_GLOBAL__N_18offset_tEEE10hipError_tPvRmT1_PNSt15iterator_traitsISY_E10value_typeET2_T3_PNSZ_IS14_E10value_typeET4_jRbjT5_S1A_jjP12ihipStream_tbEUljE_EEESV_SW_SX_S14_S18_S1A_T6_T7_T9_mT8_S1C_bDpT10_ENKUlT_T0_E_clISt17integral_constantIbLb0EES1P_EEDaS1K_S1L_EUlS1K_E_NS1_11comp_targetILNS1_3genE10ELNS1_11target_archE1200ELNS1_3gpuE4ELNS1_3repE0EEENS1_30default_config_static_selectorELNS0_4arch9wavefront6targetE0EEEvSY_.numbered_sgpr, 0
	.set _ZN7rocprim17ROCPRIM_400000_NS6detail17trampoline_kernelINS0_13select_configILj256ELj13ELNS0_17block_load_methodE3ELS4_3ELS4_3ELNS0_20block_scan_algorithmE0ELj4294967295EEENS1_25partition_config_selectorILNS1_17partition_subalgoE3EjNS0_10empty_typeEbEEZZNS1_14partition_implILS8_3ELb0ES6_jNS0_17counting_iteratorIjlEEPS9_SE_NS0_5tupleIJPjSE_EEENSF_IJSE_SE_EEES9_SG_JZNS1_25segmented_radix_sort_implINS0_14default_configELb0EPKaPaPKlPlN2at6native12_GLOBAL__N_18offset_tEEE10hipError_tPvRmT1_PNSt15iterator_traitsISY_E10value_typeET2_T3_PNSZ_IS14_E10value_typeET4_jRbjT5_S1A_jjP12ihipStream_tbEUljE_EEESV_SW_SX_S14_S18_S1A_T6_T7_T9_mT8_S1C_bDpT10_ENKUlT_T0_E_clISt17integral_constantIbLb0EES1P_EEDaS1K_S1L_EUlS1K_E_NS1_11comp_targetILNS1_3genE10ELNS1_11target_archE1200ELNS1_3gpuE4ELNS1_3repE0EEENS1_30default_config_static_selectorELNS0_4arch9wavefront6targetE0EEEvSY_.num_named_barrier, 0
	.set _ZN7rocprim17ROCPRIM_400000_NS6detail17trampoline_kernelINS0_13select_configILj256ELj13ELNS0_17block_load_methodE3ELS4_3ELS4_3ELNS0_20block_scan_algorithmE0ELj4294967295EEENS1_25partition_config_selectorILNS1_17partition_subalgoE3EjNS0_10empty_typeEbEEZZNS1_14partition_implILS8_3ELb0ES6_jNS0_17counting_iteratorIjlEEPS9_SE_NS0_5tupleIJPjSE_EEENSF_IJSE_SE_EEES9_SG_JZNS1_25segmented_radix_sort_implINS0_14default_configELb0EPKaPaPKlPlN2at6native12_GLOBAL__N_18offset_tEEE10hipError_tPvRmT1_PNSt15iterator_traitsISY_E10value_typeET2_T3_PNSZ_IS14_E10value_typeET4_jRbjT5_S1A_jjP12ihipStream_tbEUljE_EEESV_SW_SX_S14_S18_S1A_T6_T7_T9_mT8_S1C_bDpT10_ENKUlT_T0_E_clISt17integral_constantIbLb0EES1P_EEDaS1K_S1L_EUlS1K_E_NS1_11comp_targetILNS1_3genE10ELNS1_11target_archE1200ELNS1_3gpuE4ELNS1_3repE0EEENS1_30default_config_static_selectorELNS0_4arch9wavefront6targetE0EEEvSY_.private_seg_size, 0
	.set _ZN7rocprim17ROCPRIM_400000_NS6detail17trampoline_kernelINS0_13select_configILj256ELj13ELNS0_17block_load_methodE3ELS4_3ELS4_3ELNS0_20block_scan_algorithmE0ELj4294967295EEENS1_25partition_config_selectorILNS1_17partition_subalgoE3EjNS0_10empty_typeEbEEZZNS1_14partition_implILS8_3ELb0ES6_jNS0_17counting_iteratorIjlEEPS9_SE_NS0_5tupleIJPjSE_EEENSF_IJSE_SE_EEES9_SG_JZNS1_25segmented_radix_sort_implINS0_14default_configELb0EPKaPaPKlPlN2at6native12_GLOBAL__N_18offset_tEEE10hipError_tPvRmT1_PNSt15iterator_traitsISY_E10value_typeET2_T3_PNSZ_IS14_E10value_typeET4_jRbjT5_S1A_jjP12ihipStream_tbEUljE_EEESV_SW_SX_S14_S18_S1A_T6_T7_T9_mT8_S1C_bDpT10_ENKUlT_T0_E_clISt17integral_constantIbLb0EES1P_EEDaS1K_S1L_EUlS1K_E_NS1_11comp_targetILNS1_3genE10ELNS1_11target_archE1200ELNS1_3gpuE4ELNS1_3repE0EEENS1_30default_config_static_selectorELNS0_4arch9wavefront6targetE0EEEvSY_.uses_vcc, 0
	.set _ZN7rocprim17ROCPRIM_400000_NS6detail17trampoline_kernelINS0_13select_configILj256ELj13ELNS0_17block_load_methodE3ELS4_3ELS4_3ELNS0_20block_scan_algorithmE0ELj4294967295EEENS1_25partition_config_selectorILNS1_17partition_subalgoE3EjNS0_10empty_typeEbEEZZNS1_14partition_implILS8_3ELb0ES6_jNS0_17counting_iteratorIjlEEPS9_SE_NS0_5tupleIJPjSE_EEENSF_IJSE_SE_EEES9_SG_JZNS1_25segmented_radix_sort_implINS0_14default_configELb0EPKaPaPKlPlN2at6native12_GLOBAL__N_18offset_tEEE10hipError_tPvRmT1_PNSt15iterator_traitsISY_E10value_typeET2_T3_PNSZ_IS14_E10value_typeET4_jRbjT5_S1A_jjP12ihipStream_tbEUljE_EEESV_SW_SX_S14_S18_S1A_T6_T7_T9_mT8_S1C_bDpT10_ENKUlT_T0_E_clISt17integral_constantIbLb0EES1P_EEDaS1K_S1L_EUlS1K_E_NS1_11comp_targetILNS1_3genE10ELNS1_11target_archE1200ELNS1_3gpuE4ELNS1_3repE0EEENS1_30default_config_static_selectorELNS0_4arch9wavefront6targetE0EEEvSY_.uses_flat_scratch, 0
	.set _ZN7rocprim17ROCPRIM_400000_NS6detail17trampoline_kernelINS0_13select_configILj256ELj13ELNS0_17block_load_methodE3ELS4_3ELS4_3ELNS0_20block_scan_algorithmE0ELj4294967295EEENS1_25partition_config_selectorILNS1_17partition_subalgoE3EjNS0_10empty_typeEbEEZZNS1_14partition_implILS8_3ELb0ES6_jNS0_17counting_iteratorIjlEEPS9_SE_NS0_5tupleIJPjSE_EEENSF_IJSE_SE_EEES9_SG_JZNS1_25segmented_radix_sort_implINS0_14default_configELb0EPKaPaPKlPlN2at6native12_GLOBAL__N_18offset_tEEE10hipError_tPvRmT1_PNSt15iterator_traitsISY_E10value_typeET2_T3_PNSZ_IS14_E10value_typeET4_jRbjT5_S1A_jjP12ihipStream_tbEUljE_EEESV_SW_SX_S14_S18_S1A_T6_T7_T9_mT8_S1C_bDpT10_ENKUlT_T0_E_clISt17integral_constantIbLb0EES1P_EEDaS1K_S1L_EUlS1K_E_NS1_11comp_targetILNS1_3genE10ELNS1_11target_archE1200ELNS1_3gpuE4ELNS1_3repE0EEENS1_30default_config_static_selectorELNS0_4arch9wavefront6targetE0EEEvSY_.has_dyn_sized_stack, 0
	.set _ZN7rocprim17ROCPRIM_400000_NS6detail17trampoline_kernelINS0_13select_configILj256ELj13ELNS0_17block_load_methodE3ELS4_3ELS4_3ELNS0_20block_scan_algorithmE0ELj4294967295EEENS1_25partition_config_selectorILNS1_17partition_subalgoE3EjNS0_10empty_typeEbEEZZNS1_14partition_implILS8_3ELb0ES6_jNS0_17counting_iteratorIjlEEPS9_SE_NS0_5tupleIJPjSE_EEENSF_IJSE_SE_EEES9_SG_JZNS1_25segmented_radix_sort_implINS0_14default_configELb0EPKaPaPKlPlN2at6native12_GLOBAL__N_18offset_tEEE10hipError_tPvRmT1_PNSt15iterator_traitsISY_E10value_typeET2_T3_PNSZ_IS14_E10value_typeET4_jRbjT5_S1A_jjP12ihipStream_tbEUljE_EEESV_SW_SX_S14_S18_S1A_T6_T7_T9_mT8_S1C_bDpT10_ENKUlT_T0_E_clISt17integral_constantIbLb0EES1P_EEDaS1K_S1L_EUlS1K_E_NS1_11comp_targetILNS1_3genE10ELNS1_11target_archE1200ELNS1_3gpuE4ELNS1_3repE0EEENS1_30default_config_static_selectorELNS0_4arch9wavefront6targetE0EEEvSY_.has_recursion, 0
	.set _ZN7rocprim17ROCPRIM_400000_NS6detail17trampoline_kernelINS0_13select_configILj256ELj13ELNS0_17block_load_methodE3ELS4_3ELS4_3ELNS0_20block_scan_algorithmE0ELj4294967295EEENS1_25partition_config_selectorILNS1_17partition_subalgoE3EjNS0_10empty_typeEbEEZZNS1_14partition_implILS8_3ELb0ES6_jNS0_17counting_iteratorIjlEEPS9_SE_NS0_5tupleIJPjSE_EEENSF_IJSE_SE_EEES9_SG_JZNS1_25segmented_radix_sort_implINS0_14default_configELb0EPKaPaPKlPlN2at6native12_GLOBAL__N_18offset_tEEE10hipError_tPvRmT1_PNSt15iterator_traitsISY_E10value_typeET2_T3_PNSZ_IS14_E10value_typeET4_jRbjT5_S1A_jjP12ihipStream_tbEUljE_EEESV_SW_SX_S14_S18_S1A_T6_T7_T9_mT8_S1C_bDpT10_ENKUlT_T0_E_clISt17integral_constantIbLb0EES1P_EEDaS1K_S1L_EUlS1K_E_NS1_11comp_targetILNS1_3genE10ELNS1_11target_archE1200ELNS1_3gpuE4ELNS1_3repE0EEENS1_30default_config_static_selectorELNS0_4arch9wavefront6targetE0EEEvSY_.has_indirect_call, 0
	.section	.AMDGPU.csdata,"",@progbits
; Kernel info:
; codeLenInByte = 0
; TotalNumSgprs: 0
; NumVgprs: 0
; ScratchSize: 0
; MemoryBound: 0
; FloatMode: 240
; IeeeMode: 1
; LDSByteSize: 0 bytes/workgroup (compile time only)
; SGPRBlocks: 0
; VGPRBlocks: 0
; NumSGPRsForWavesPerEU: 1
; NumVGPRsForWavesPerEU: 1
; Occupancy: 16
; WaveLimiterHint : 0
; COMPUTE_PGM_RSRC2:SCRATCH_EN: 0
; COMPUTE_PGM_RSRC2:USER_SGPR: 6
; COMPUTE_PGM_RSRC2:TRAP_HANDLER: 0
; COMPUTE_PGM_RSRC2:TGID_X_EN: 1
; COMPUTE_PGM_RSRC2:TGID_Y_EN: 0
; COMPUTE_PGM_RSRC2:TGID_Z_EN: 0
; COMPUTE_PGM_RSRC2:TIDIG_COMP_CNT: 0
	.section	.text._ZN7rocprim17ROCPRIM_400000_NS6detail17trampoline_kernelINS0_13select_configILj256ELj13ELNS0_17block_load_methodE3ELS4_3ELS4_3ELNS0_20block_scan_algorithmE0ELj4294967295EEENS1_25partition_config_selectorILNS1_17partition_subalgoE3EjNS0_10empty_typeEbEEZZNS1_14partition_implILS8_3ELb0ES6_jNS0_17counting_iteratorIjlEEPS9_SE_NS0_5tupleIJPjSE_EEENSF_IJSE_SE_EEES9_SG_JZNS1_25segmented_radix_sort_implINS0_14default_configELb0EPKaPaPKlPlN2at6native12_GLOBAL__N_18offset_tEEE10hipError_tPvRmT1_PNSt15iterator_traitsISY_E10value_typeET2_T3_PNSZ_IS14_E10value_typeET4_jRbjT5_S1A_jjP12ihipStream_tbEUljE_EEESV_SW_SX_S14_S18_S1A_T6_T7_T9_mT8_S1C_bDpT10_ENKUlT_T0_E_clISt17integral_constantIbLb0EES1P_EEDaS1K_S1L_EUlS1K_E_NS1_11comp_targetILNS1_3genE9ELNS1_11target_archE1100ELNS1_3gpuE3ELNS1_3repE0EEENS1_30default_config_static_selectorELNS0_4arch9wavefront6targetE0EEEvSY_,"axG",@progbits,_ZN7rocprim17ROCPRIM_400000_NS6detail17trampoline_kernelINS0_13select_configILj256ELj13ELNS0_17block_load_methodE3ELS4_3ELS4_3ELNS0_20block_scan_algorithmE0ELj4294967295EEENS1_25partition_config_selectorILNS1_17partition_subalgoE3EjNS0_10empty_typeEbEEZZNS1_14partition_implILS8_3ELb0ES6_jNS0_17counting_iteratorIjlEEPS9_SE_NS0_5tupleIJPjSE_EEENSF_IJSE_SE_EEES9_SG_JZNS1_25segmented_radix_sort_implINS0_14default_configELb0EPKaPaPKlPlN2at6native12_GLOBAL__N_18offset_tEEE10hipError_tPvRmT1_PNSt15iterator_traitsISY_E10value_typeET2_T3_PNSZ_IS14_E10value_typeET4_jRbjT5_S1A_jjP12ihipStream_tbEUljE_EEESV_SW_SX_S14_S18_S1A_T6_T7_T9_mT8_S1C_bDpT10_ENKUlT_T0_E_clISt17integral_constantIbLb0EES1P_EEDaS1K_S1L_EUlS1K_E_NS1_11comp_targetILNS1_3genE9ELNS1_11target_archE1100ELNS1_3gpuE3ELNS1_3repE0EEENS1_30default_config_static_selectorELNS0_4arch9wavefront6targetE0EEEvSY_,comdat
	.globl	_ZN7rocprim17ROCPRIM_400000_NS6detail17trampoline_kernelINS0_13select_configILj256ELj13ELNS0_17block_load_methodE3ELS4_3ELS4_3ELNS0_20block_scan_algorithmE0ELj4294967295EEENS1_25partition_config_selectorILNS1_17partition_subalgoE3EjNS0_10empty_typeEbEEZZNS1_14partition_implILS8_3ELb0ES6_jNS0_17counting_iteratorIjlEEPS9_SE_NS0_5tupleIJPjSE_EEENSF_IJSE_SE_EEES9_SG_JZNS1_25segmented_radix_sort_implINS0_14default_configELb0EPKaPaPKlPlN2at6native12_GLOBAL__N_18offset_tEEE10hipError_tPvRmT1_PNSt15iterator_traitsISY_E10value_typeET2_T3_PNSZ_IS14_E10value_typeET4_jRbjT5_S1A_jjP12ihipStream_tbEUljE_EEESV_SW_SX_S14_S18_S1A_T6_T7_T9_mT8_S1C_bDpT10_ENKUlT_T0_E_clISt17integral_constantIbLb0EES1P_EEDaS1K_S1L_EUlS1K_E_NS1_11comp_targetILNS1_3genE9ELNS1_11target_archE1100ELNS1_3gpuE3ELNS1_3repE0EEENS1_30default_config_static_selectorELNS0_4arch9wavefront6targetE0EEEvSY_ ; -- Begin function _ZN7rocprim17ROCPRIM_400000_NS6detail17trampoline_kernelINS0_13select_configILj256ELj13ELNS0_17block_load_methodE3ELS4_3ELS4_3ELNS0_20block_scan_algorithmE0ELj4294967295EEENS1_25partition_config_selectorILNS1_17partition_subalgoE3EjNS0_10empty_typeEbEEZZNS1_14partition_implILS8_3ELb0ES6_jNS0_17counting_iteratorIjlEEPS9_SE_NS0_5tupleIJPjSE_EEENSF_IJSE_SE_EEES9_SG_JZNS1_25segmented_radix_sort_implINS0_14default_configELb0EPKaPaPKlPlN2at6native12_GLOBAL__N_18offset_tEEE10hipError_tPvRmT1_PNSt15iterator_traitsISY_E10value_typeET2_T3_PNSZ_IS14_E10value_typeET4_jRbjT5_S1A_jjP12ihipStream_tbEUljE_EEESV_SW_SX_S14_S18_S1A_T6_T7_T9_mT8_S1C_bDpT10_ENKUlT_T0_E_clISt17integral_constantIbLb0EES1P_EEDaS1K_S1L_EUlS1K_E_NS1_11comp_targetILNS1_3genE9ELNS1_11target_archE1100ELNS1_3gpuE3ELNS1_3repE0EEENS1_30default_config_static_selectorELNS0_4arch9wavefront6targetE0EEEvSY_
	.p2align	8
	.type	_ZN7rocprim17ROCPRIM_400000_NS6detail17trampoline_kernelINS0_13select_configILj256ELj13ELNS0_17block_load_methodE3ELS4_3ELS4_3ELNS0_20block_scan_algorithmE0ELj4294967295EEENS1_25partition_config_selectorILNS1_17partition_subalgoE3EjNS0_10empty_typeEbEEZZNS1_14partition_implILS8_3ELb0ES6_jNS0_17counting_iteratorIjlEEPS9_SE_NS0_5tupleIJPjSE_EEENSF_IJSE_SE_EEES9_SG_JZNS1_25segmented_radix_sort_implINS0_14default_configELb0EPKaPaPKlPlN2at6native12_GLOBAL__N_18offset_tEEE10hipError_tPvRmT1_PNSt15iterator_traitsISY_E10value_typeET2_T3_PNSZ_IS14_E10value_typeET4_jRbjT5_S1A_jjP12ihipStream_tbEUljE_EEESV_SW_SX_S14_S18_S1A_T6_T7_T9_mT8_S1C_bDpT10_ENKUlT_T0_E_clISt17integral_constantIbLb0EES1P_EEDaS1K_S1L_EUlS1K_E_NS1_11comp_targetILNS1_3genE9ELNS1_11target_archE1100ELNS1_3gpuE3ELNS1_3repE0EEENS1_30default_config_static_selectorELNS0_4arch9wavefront6targetE0EEEvSY_,@function
_ZN7rocprim17ROCPRIM_400000_NS6detail17trampoline_kernelINS0_13select_configILj256ELj13ELNS0_17block_load_methodE3ELS4_3ELS4_3ELNS0_20block_scan_algorithmE0ELj4294967295EEENS1_25partition_config_selectorILNS1_17partition_subalgoE3EjNS0_10empty_typeEbEEZZNS1_14partition_implILS8_3ELb0ES6_jNS0_17counting_iteratorIjlEEPS9_SE_NS0_5tupleIJPjSE_EEENSF_IJSE_SE_EEES9_SG_JZNS1_25segmented_radix_sort_implINS0_14default_configELb0EPKaPaPKlPlN2at6native12_GLOBAL__N_18offset_tEEE10hipError_tPvRmT1_PNSt15iterator_traitsISY_E10value_typeET2_T3_PNSZ_IS14_E10value_typeET4_jRbjT5_S1A_jjP12ihipStream_tbEUljE_EEESV_SW_SX_S14_S18_S1A_T6_T7_T9_mT8_S1C_bDpT10_ENKUlT_T0_E_clISt17integral_constantIbLb0EES1P_EEDaS1K_S1L_EUlS1K_E_NS1_11comp_targetILNS1_3genE9ELNS1_11target_archE1100ELNS1_3gpuE3ELNS1_3repE0EEENS1_30default_config_static_selectorELNS0_4arch9wavefront6targetE0EEEvSY_: ; @_ZN7rocprim17ROCPRIM_400000_NS6detail17trampoline_kernelINS0_13select_configILj256ELj13ELNS0_17block_load_methodE3ELS4_3ELS4_3ELNS0_20block_scan_algorithmE0ELj4294967295EEENS1_25partition_config_selectorILNS1_17partition_subalgoE3EjNS0_10empty_typeEbEEZZNS1_14partition_implILS8_3ELb0ES6_jNS0_17counting_iteratorIjlEEPS9_SE_NS0_5tupleIJPjSE_EEENSF_IJSE_SE_EEES9_SG_JZNS1_25segmented_radix_sort_implINS0_14default_configELb0EPKaPaPKlPlN2at6native12_GLOBAL__N_18offset_tEEE10hipError_tPvRmT1_PNSt15iterator_traitsISY_E10value_typeET2_T3_PNSZ_IS14_E10value_typeET4_jRbjT5_S1A_jjP12ihipStream_tbEUljE_EEESV_SW_SX_S14_S18_S1A_T6_T7_T9_mT8_S1C_bDpT10_ENKUlT_T0_E_clISt17integral_constantIbLb0EES1P_EEDaS1K_S1L_EUlS1K_E_NS1_11comp_targetILNS1_3genE9ELNS1_11target_archE1100ELNS1_3gpuE3ELNS1_3repE0EEENS1_30default_config_static_selectorELNS0_4arch9wavefront6targetE0EEEvSY_
; %bb.0:
	.section	.rodata,"a",@progbits
	.p2align	6, 0x0
	.amdhsa_kernel _ZN7rocprim17ROCPRIM_400000_NS6detail17trampoline_kernelINS0_13select_configILj256ELj13ELNS0_17block_load_methodE3ELS4_3ELS4_3ELNS0_20block_scan_algorithmE0ELj4294967295EEENS1_25partition_config_selectorILNS1_17partition_subalgoE3EjNS0_10empty_typeEbEEZZNS1_14partition_implILS8_3ELb0ES6_jNS0_17counting_iteratorIjlEEPS9_SE_NS0_5tupleIJPjSE_EEENSF_IJSE_SE_EEES9_SG_JZNS1_25segmented_radix_sort_implINS0_14default_configELb0EPKaPaPKlPlN2at6native12_GLOBAL__N_18offset_tEEE10hipError_tPvRmT1_PNSt15iterator_traitsISY_E10value_typeET2_T3_PNSZ_IS14_E10value_typeET4_jRbjT5_S1A_jjP12ihipStream_tbEUljE_EEESV_SW_SX_S14_S18_S1A_T6_T7_T9_mT8_S1C_bDpT10_ENKUlT_T0_E_clISt17integral_constantIbLb0EES1P_EEDaS1K_S1L_EUlS1K_E_NS1_11comp_targetILNS1_3genE9ELNS1_11target_archE1100ELNS1_3gpuE3ELNS1_3repE0EEENS1_30default_config_static_selectorELNS0_4arch9wavefront6targetE0EEEvSY_
		.amdhsa_group_segment_fixed_size 0
		.amdhsa_private_segment_fixed_size 0
		.amdhsa_kernarg_size 144
		.amdhsa_user_sgpr_count 6
		.amdhsa_user_sgpr_private_segment_buffer 1
		.amdhsa_user_sgpr_dispatch_ptr 0
		.amdhsa_user_sgpr_queue_ptr 0
		.amdhsa_user_sgpr_kernarg_segment_ptr 1
		.amdhsa_user_sgpr_dispatch_id 0
		.amdhsa_user_sgpr_flat_scratch_init 0
		.amdhsa_user_sgpr_private_segment_size 0
		.amdhsa_wavefront_size32 1
		.amdhsa_uses_dynamic_stack 0
		.amdhsa_system_sgpr_private_segment_wavefront_offset 0
		.amdhsa_system_sgpr_workgroup_id_x 1
		.amdhsa_system_sgpr_workgroup_id_y 0
		.amdhsa_system_sgpr_workgroup_id_z 0
		.amdhsa_system_sgpr_workgroup_info 0
		.amdhsa_system_vgpr_workitem_id 0
		.amdhsa_next_free_vgpr 1
		.amdhsa_next_free_sgpr 1
		.amdhsa_reserve_vcc 0
		.amdhsa_reserve_flat_scratch 0
		.amdhsa_float_round_mode_32 0
		.amdhsa_float_round_mode_16_64 0
		.amdhsa_float_denorm_mode_32 3
		.amdhsa_float_denorm_mode_16_64 3
		.amdhsa_dx10_clamp 1
		.amdhsa_ieee_mode 1
		.amdhsa_fp16_overflow 0
		.amdhsa_workgroup_processor_mode 1
		.amdhsa_memory_ordered 1
		.amdhsa_forward_progress 1
		.amdhsa_shared_vgpr_count 0
		.amdhsa_exception_fp_ieee_invalid_op 0
		.amdhsa_exception_fp_denorm_src 0
		.amdhsa_exception_fp_ieee_div_zero 0
		.amdhsa_exception_fp_ieee_overflow 0
		.amdhsa_exception_fp_ieee_underflow 0
		.amdhsa_exception_fp_ieee_inexact 0
		.amdhsa_exception_int_div_zero 0
	.end_amdhsa_kernel
	.section	.text._ZN7rocprim17ROCPRIM_400000_NS6detail17trampoline_kernelINS0_13select_configILj256ELj13ELNS0_17block_load_methodE3ELS4_3ELS4_3ELNS0_20block_scan_algorithmE0ELj4294967295EEENS1_25partition_config_selectorILNS1_17partition_subalgoE3EjNS0_10empty_typeEbEEZZNS1_14partition_implILS8_3ELb0ES6_jNS0_17counting_iteratorIjlEEPS9_SE_NS0_5tupleIJPjSE_EEENSF_IJSE_SE_EEES9_SG_JZNS1_25segmented_radix_sort_implINS0_14default_configELb0EPKaPaPKlPlN2at6native12_GLOBAL__N_18offset_tEEE10hipError_tPvRmT1_PNSt15iterator_traitsISY_E10value_typeET2_T3_PNSZ_IS14_E10value_typeET4_jRbjT5_S1A_jjP12ihipStream_tbEUljE_EEESV_SW_SX_S14_S18_S1A_T6_T7_T9_mT8_S1C_bDpT10_ENKUlT_T0_E_clISt17integral_constantIbLb0EES1P_EEDaS1K_S1L_EUlS1K_E_NS1_11comp_targetILNS1_3genE9ELNS1_11target_archE1100ELNS1_3gpuE3ELNS1_3repE0EEENS1_30default_config_static_selectorELNS0_4arch9wavefront6targetE0EEEvSY_,"axG",@progbits,_ZN7rocprim17ROCPRIM_400000_NS6detail17trampoline_kernelINS0_13select_configILj256ELj13ELNS0_17block_load_methodE3ELS4_3ELS4_3ELNS0_20block_scan_algorithmE0ELj4294967295EEENS1_25partition_config_selectorILNS1_17partition_subalgoE3EjNS0_10empty_typeEbEEZZNS1_14partition_implILS8_3ELb0ES6_jNS0_17counting_iteratorIjlEEPS9_SE_NS0_5tupleIJPjSE_EEENSF_IJSE_SE_EEES9_SG_JZNS1_25segmented_radix_sort_implINS0_14default_configELb0EPKaPaPKlPlN2at6native12_GLOBAL__N_18offset_tEEE10hipError_tPvRmT1_PNSt15iterator_traitsISY_E10value_typeET2_T3_PNSZ_IS14_E10value_typeET4_jRbjT5_S1A_jjP12ihipStream_tbEUljE_EEESV_SW_SX_S14_S18_S1A_T6_T7_T9_mT8_S1C_bDpT10_ENKUlT_T0_E_clISt17integral_constantIbLb0EES1P_EEDaS1K_S1L_EUlS1K_E_NS1_11comp_targetILNS1_3genE9ELNS1_11target_archE1100ELNS1_3gpuE3ELNS1_3repE0EEENS1_30default_config_static_selectorELNS0_4arch9wavefront6targetE0EEEvSY_,comdat
.Lfunc_end364:
	.size	_ZN7rocprim17ROCPRIM_400000_NS6detail17trampoline_kernelINS0_13select_configILj256ELj13ELNS0_17block_load_methodE3ELS4_3ELS4_3ELNS0_20block_scan_algorithmE0ELj4294967295EEENS1_25partition_config_selectorILNS1_17partition_subalgoE3EjNS0_10empty_typeEbEEZZNS1_14partition_implILS8_3ELb0ES6_jNS0_17counting_iteratorIjlEEPS9_SE_NS0_5tupleIJPjSE_EEENSF_IJSE_SE_EEES9_SG_JZNS1_25segmented_radix_sort_implINS0_14default_configELb0EPKaPaPKlPlN2at6native12_GLOBAL__N_18offset_tEEE10hipError_tPvRmT1_PNSt15iterator_traitsISY_E10value_typeET2_T3_PNSZ_IS14_E10value_typeET4_jRbjT5_S1A_jjP12ihipStream_tbEUljE_EEESV_SW_SX_S14_S18_S1A_T6_T7_T9_mT8_S1C_bDpT10_ENKUlT_T0_E_clISt17integral_constantIbLb0EES1P_EEDaS1K_S1L_EUlS1K_E_NS1_11comp_targetILNS1_3genE9ELNS1_11target_archE1100ELNS1_3gpuE3ELNS1_3repE0EEENS1_30default_config_static_selectorELNS0_4arch9wavefront6targetE0EEEvSY_, .Lfunc_end364-_ZN7rocprim17ROCPRIM_400000_NS6detail17trampoline_kernelINS0_13select_configILj256ELj13ELNS0_17block_load_methodE3ELS4_3ELS4_3ELNS0_20block_scan_algorithmE0ELj4294967295EEENS1_25partition_config_selectorILNS1_17partition_subalgoE3EjNS0_10empty_typeEbEEZZNS1_14partition_implILS8_3ELb0ES6_jNS0_17counting_iteratorIjlEEPS9_SE_NS0_5tupleIJPjSE_EEENSF_IJSE_SE_EEES9_SG_JZNS1_25segmented_radix_sort_implINS0_14default_configELb0EPKaPaPKlPlN2at6native12_GLOBAL__N_18offset_tEEE10hipError_tPvRmT1_PNSt15iterator_traitsISY_E10value_typeET2_T3_PNSZ_IS14_E10value_typeET4_jRbjT5_S1A_jjP12ihipStream_tbEUljE_EEESV_SW_SX_S14_S18_S1A_T6_T7_T9_mT8_S1C_bDpT10_ENKUlT_T0_E_clISt17integral_constantIbLb0EES1P_EEDaS1K_S1L_EUlS1K_E_NS1_11comp_targetILNS1_3genE9ELNS1_11target_archE1100ELNS1_3gpuE3ELNS1_3repE0EEENS1_30default_config_static_selectorELNS0_4arch9wavefront6targetE0EEEvSY_
                                        ; -- End function
	.set _ZN7rocprim17ROCPRIM_400000_NS6detail17trampoline_kernelINS0_13select_configILj256ELj13ELNS0_17block_load_methodE3ELS4_3ELS4_3ELNS0_20block_scan_algorithmE0ELj4294967295EEENS1_25partition_config_selectorILNS1_17partition_subalgoE3EjNS0_10empty_typeEbEEZZNS1_14partition_implILS8_3ELb0ES6_jNS0_17counting_iteratorIjlEEPS9_SE_NS0_5tupleIJPjSE_EEENSF_IJSE_SE_EEES9_SG_JZNS1_25segmented_radix_sort_implINS0_14default_configELb0EPKaPaPKlPlN2at6native12_GLOBAL__N_18offset_tEEE10hipError_tPvRmT1_PNSt15iterator_traitsISY_E10value_typeET2_T3_PNSZ_IS14_E10value_typeET4_jRbjT5_S1A_jjP12ihipStream_tbEUljE_EEESV_SW_SX_S14_S18_S1A_T6_T7_T9_mT8_S1C_bDpT10_ENKUlT_T0_E_clISt17integral_constantIbLb0EES1P_EEDaS1K_S1L_EUlS1K_E_NS1_11comp_targetILNS1_3genE9ELNS1_11target_archE1100ELNS1_3gpuE3ELNS1_3repE0EEENS1_30default_config_static_selectorELNS0_4arch9wavefront6targetE0EEEvSY_.num_vgpr, 0
	.set _ZN7rocprim17ROCPRIM_400000_NS6detail17trampoline_kernelINS0_13select_configILj256ELj13ELNS0_17block_load_methodE3ELS4_3ELS4_3ELNS0_20block_scan_algorithmE0ELj4294967295EEENS1_25partition_config_selectorILNS1_17partition_subalgoE3EjNS0_10empty_typeEbEEZZNS1_14partition_implILS8_3ELb0ES6_jNS0_17counting_iteratorIjlEEPS9_SE_NS0_5tupleIJPjSE_EEENSF_IJSE_SE_EEES9_SG_JZNS1_25segmented_radix_sort_implINS0_14default_configELb0EPKaPaPKlPlN2at6native12_GLOBAL__N_18offset_tEEE10hipError_tPvRmT1_PNSt15iterator_traitsISY_E10value_typeET2_T3_PNSZ_IS14_E10value_typeET4_jRbjT5_S1A_jjP12ihipStream_tbEUljE_EEESV_SW_SX_S14_S18_S1A_T6_T7_T9_mT8_S1C_bDpT10_ENKUlT_T0_E_clISt17integral_constantIbLb0EES1P_EEDaS1K_S1L_EUlS1K_E_NS1_11comp_targetILNS1_3genE9ELNS1_11target_archE1100ELNS1_3gpuE3ELNS1_3repE0EEENS1_30default_config_static_selectorELNS0_4arch9wavefront6targetE0EEEvSY_.num_agpr, 0
	.set _ZN7rocprim17ROCPRIM_400000_NS6detail17trampoline_kernelINS0_13select_configILj256ELj13ELNS0_17block_load_methodE3ELS4_3ELS4_3ELNS0_20block_scan_algorithmE0ELj4294967295EEENS1_25partition_config_selectorILNS1_17partition_subalgoE3EjNS0_10empty_typeEbEEZZNS1_14partition_implILS8_3ELb0ES6_jNS0_17counting_iteratorIjlEEPS9_SE_NS0_5tupleIJPjSE_EEENSF_IJSE_SE_EEES9_SG_JZNS1_25segmented_radix_sort_implINS0_14default_configELb0EPKaPaPKlPlN2at6native12_GLOBAL__N_18offset_tEEE10hipError_tPvRmT1_PNSt15iterator_traitsISY_E10value_typeET2_T3_PNSZ_IS14_E10value_typeET4_jRbjT5_S1A_jjP12ihipStream_tbEUljE_EEESV_SW_SX_S14_S18_S1A_T6_T7_T9_mT8_S1C_bDpT10_ENKUlT_T0_E_clISt17integral_constantIbLb0EES1P_EEDaS1K_S1L_EUlS1K_E_NS1_11comp_targetILNS1_3genE9ELNS1_11target_archE1100ELNS1_3gpuE3ELNS1_3repE0EEENS1_30default_config_static_selectorELNS0_4arch9wavefront6targetE0EEEvSY_.numbered_sgpr, 0
	.set _ZN7rocprim17ROCPRIM_400000_NS6detail17trampoline_kernelINS0_13select_configILj256ELj13ELNS0_17block_load_methodE3ELS4_3ELS4_3ELNS0_20block_scan_algorithmE0ELj4294967295EEENS1_25partition_config_selectorILNS1_17partition_subalgoE3EjNS0_10empty_typeEbEEZZNS1_14partition_implILS8_3ELb0ES6_jNS0_17counting_iteratorIjlEEPS9_SE_NS0_5tupleIJPjSE_EEENSF_IJSE_SE_EEES9_SG_JZNS1_25segmented_radix_sort_implINS0_14default_configELb0EPKaPaPKlPlN2at6native12_GLOBAL__N_18offset_tEEE10hipError_tPvRmT1_PNSt15iterator_traitsISY_E10value_typeET2_T3_PNSZ_IS14_E10value_typeET4_jRbjT5_S1A_jjP12ihipStream_tbEUljE_EEESV_SW_SX_S14_S18_S1A_T6_T7_T9_mT8_S1C_bDpT10_ENKUlT_T0_E_clISt17integral_constantIbLb0EES1P_EEDaS1K_S1L_EUlS1K_E_NS1_11comp_targetILNS1_3genE9ELNS1_11target_archE1100ELNS1_3gpuE3ELNS1_3repE0EEENS1_30default_config_static_selectorELNS0_4arch9wavefront6targetE0EEEvSY_.num_named_barrier, 0
	.set _ZN7rocprim17ROCPRIM_400000_NS6detail17trampoline_kernelINS0_13select_configILj256ELj13ELNS0_17block_load_methodE3ELS4_3ELS4_3ELNS0_20block_scan_algorithmE0ELj4294967295EEENS1_25partition_config_selectorILNS1_17partition_subalgoE3EjNS0_10empty_typeEbEEZZNS1_14partition_implILS8_3ELb0ES6_jNS0_17counting_iteratorIjlEEPS9_SE_NS0_5tupleIJPjSE_EEENSF_IJSE_SE_EEES9_SG_JZNS1_25segmented_radix_sort_implINS0_14default_configELb0EPKaPaPKlPlN2at6native12_GLOBAL__N_18offset_tEEE10hipError_tPvRmT1_PNSt15iterator_traitsISY_E10value_typeET2_T3_PNSZ_IS14_E10value_typeET4_jRbjT5_S1A_jjP12ihipStream_tbEUljE_EEESV_SW_SX_S14_S18_S1A_T6_T7_T9_mT8_S1C_bDpT10_ENKUlT_T0_E_clISt17integral_constantIbLb0EES1P_EEDaS1K_S1L_EUlS1K_E_NS1_11comp_targetILNS1_3genE9ELNS1_11target_archE1100ELNS1_3gpuE3ELNS1_3repE0EEENS1_30default_config_static_selectorELNS0_4arch9wavefront6targetE0EEEvSY_.private_seg_size, 0
	.set _ZN7rocprim17ROCPRIM_400000_NS6detail17trampoline_kernelINS0_13select_configILj256ELj13ELNS0_17block_load_methodE3ELS4_3ELS4_3ELNS0_20block_scan_algorithmE0ELj4294967295EEENS1_25partition_config_selectorILNS1_17partition_subalgoE3EjNS0_10empty_typeEbEEZZNS1_14partition_implILS8_3ELb0ES6_jNS0_17counting_iteratorIjlEEPS9_SE_NS0_5tupleIJPjSE_EEENSF_IJSE_SE_EEES9_SG_JZNS1_25segmented_radix_sort_implINS0_14default_configELb0EPKaPaPKlPlN2at6native12_GLOBAL__N_18offset_tEEE10hipError_tPvRmT1_PNSt15iterator_traitsISY_E10value_typeET2_T3_PNSZ_IS14_E10value_typeET4_jRbjT5_S1A_jjP12ihipStream_tbEUljE_EEESV_SW_SX_S14_S18_S1A_T6_T7_T9_mT8_S1C_bDpT10_ENKUlT_T0_E_clISt17integral_constantIbLb0EES1P_EEDaS1K_S1L_EUlS1K_E_NS1_11comp_targetILNS1_3genE9ELNS1_11target_archE1100ELNS1_3gpuE3ELNS1_3repE0EEENS1_30default_config_static_selectorELNS0_4arch9wavefront6targetE0EEEvSY_.uses_vcc, 0
	.set _ZN7rocprim17ROCPRIM_400000_NS6detail17trampoline_kernelINS0_13select_configILj256ELj13ELNS0_17block_load_methodE3ELS4_3ELS4_3ELNS0_20block_scan_algorithmE0ELj4294967295EEENS1_25partition_config_selectorILNS1_17partition_subalgoE3EjNS0_10empty_typeEbEEZZNS1_14partition_implILS8_3ELb0ES6_jNS0_17counting_iteratorIjlEEPS9_SE_NS0_5tupleIJPjSE_EEENSF_IJSE_SE_EEES9_SG_JZNS1_25segmented_radix_sort_implINS0_14default_configELb0EPKaPaPKlPlN2at6native12_GLOBAL__N_18offset_tEEE10hipError_tPvRmT1_PNSt15iterator_traitsISY_E10value_typeET2_T3_PNSZ_IS14_E10value_typeET4_jRbjT5_S1A_jjP12ihipStream_tbEUljE_EEESV_SW_SX_S14_S18_S1A_T6_T7_T9_mT8_S1C_bDpT10_ENKUlT_T0_E_clISt17integral_constantIbLb0EES1P_EEDaS1K_S1L_EUlS1K_E_NS1_11comp_targetILNS1_3genE9ELNS1_11target_archE1100ELNS1_3gpuE3ELNS1_3repE0EEENS1_30default_config_static_selectorELNS0_4arch9wavefront6targetE0EEEvSY_.uses_flat_scratch, 0
	.set _ZN7rocprim17ROCPRIM_400000_NS6detail17trampoline_kernelINS0_13select_configILj256ELj13ELNS0_17block_load_methodE3ELS4_3ELS4_3ELNS0_20block_scan_algorithmE0ELj4294967295EEENS1_25partition_config_selectorILNS1_17partition_subalgoE3EjNS0_10empty_typeEbEEZZNS1_14partition_implILS8_3ELb0ES6_jNS0_17counting_iteratorIjlEEPS9_SE_NS0_5tupleIJPjSE_EEENSF_IJSE_SE_EEES9_SG_JZNS1_25segmented_radix_sort_implINS0_14default_configELb0EPKaPaPKlPlN2at6native12_GLOBAL__N_18offset_tEEE10hipError_tPvRmT1_PNSt15iterator_traitsISY_E10value_typeET2_T3_PNSZ_IS14_E10value_typeET4_jRbjT5_S1A_jjP12ihipStream_tbEUljE_EEESV_SW_SX_S14_S18_S1A_T6_T7_T9_mT8_S1C_bDpT10_ENKUlT_T0_E_clISt17integral_constantIbLb0EES1P_EEDaS1K_S1L_EUlS1K_E_NS1_11comp_targetILNS1_3genE9ELNS1_11target_archE1100ELNS1_3gpuE3ELNS1_3repE0EEENS1_30default_config_static_selectorELNS0_4arch9wavefront6targetE0EEEvSY_.has_dyn_sized_stack, 0
	.set _ZN7rocprim17ROCPRIM_400000_NS6detail17trampoline_kernelINS0_13select_configILj256ELj13ELNS0_17block_load_methodE3ELS4_3ELS4_3ELNS0_20block_scan_algorithmE0ELj4294967295EEENS1_25partition_config_selectorILNS1_17partition_subalgoE3EjNS0_10empty_typeEbEEZZNS1_14partition_implILS8_3ELb0ES6_jNS0_17counting_iteratorIjlEEPS9_SE_NS0_5tupleIJPjSE_EEENSF_IJSE_SE_EEES9_SG_JZNS1_25segmented_radix_sort_implINS0_14default_configELb0EPKaPaPKlPlN2at6native12_GLOBAL__N_18offset_tEEE10hipError_tPvRmT1_PNSt15iterator_traitsISY_E10value_typeET2_T3_PNSZ_IS14_E10value_typeET4_jRbjT5_S1A_jjP12ihipStream_tbEUljE_EEESV_SW_SX_S14_S18_S1A_T6_T7_T9_mT8_S1C_bDpT10_ENKUlT_T0_E_clISt17integral_constantIbLb0EES1P_EEDaS1K_S1L_EUlS1K_E_NS1_11comp_targetILNS1_3genE9ELNS1_11target_archE1100ELNS1_3gpuE3ELNS1_3repE0EEENS1_30default_config_static_selectorELNS0_4arch9wavefront6targetE0EEEvSY_.has_recursion, 0
	.set _ZN7rocprim17ROCPRIM_400000_NS6detail17trampoline_kernelINS0_13select_configILj256ELj13ELNS0_17block_load_methodE3ELS4_3ELS4_3ELNS0_20block_scan_algorithmE0ELj4294967295EEENS1_25partition_config_selectorILNS1_17partition_subalgoE3EjNS0_10empty_typeEbEEZZNS1_14partition_implILS8_3ELb0ES6_jNS0_17counting_iteratorIjlEEPS9_SE_NS0_5tupleIJPjSE_EEENSF_IJSE_SE_EEES9_SG_JZNS1_25segmented_radix_sort_implINS0_14default_configELb0EPKaPaPKlPlN2at6native12_GLOBAL__N_18offset_tEEE10hipError_tPvRmT1_PNSt15iterator_traitsISY_E10value_typeET2_T3_PNSZ_IS14_E10value_typeET4_jRbjT5_S1A_jjP12ihipStream_tbEUljE_EEESV_SW_SX_S14_S18_S1A_T6_T7_T9_mT8_S1C_bDpT10_ENKUlT_T0_E_clISt17integral_constantIbLb0EES1P_EEDaS1K_S1L_EUlS1K_E_NS1_11comp_targetILNS1_3genE9ELNS1_11target_archE1100ELNS1_3gpuE3ELNS1_3repE0EEENS1_30default_config_static_selectorELNS0_4arch9wavefront6targetE0EEEvSY_.has_indirect_call, 0
	.section	.AMDGPU.csdata,"",@progbits
; Kernel info:
; codeLenInByte = 0
; TotalNumSgprs: 0
; NumVgprs: 0
; ScratchSize: 0
; MemoryBound: 0
; FloatMode: 240
; IeeeMode: 1
; LDSByteSize: 0 bytes/workgroup (compile time only)
; SGPRBlocks: 0
; VGPRBlocks: 0
; NumSGPRsForWavesPerEU: 1
; NumVGPRsForWavesPerEU: 1
; Occupancy: 16
; WaveLimiterHint : 0
; COMPUTE_PGM_RSRC2:SCRATCH_EN: 0
; COMPUTE_PGM_RSRC2:USER_SGPR: 6
; COMPUTE_PGM_RSRC2:TRAP_HANDLER: 0
; COMPUTE_PGM_RSRC2:TGID_X_EN: 1
; COMPUTE_PGM_RSRC2:TGID_Y_EN: 0
; COMPUTE_PGM_RSRC2:TGID_Z_EN: 0
; COMPUTE_PGM_RSRC2:TIDIG_COMP_CNT: 0
	.section	.text._ZN7rocprim17ROCPRIM_400000_NS6detail17trampoline_kernelINS0_13select_configILj256ELj13ELNS0_17block_load_methodE3ELS4_3ELS4_3ELNS0_20block_scan_algorithmE0ELj4294967295EEENS1_25partition_config_selectorILNS1_17partition_subalgoE3EjNS0_10empty_typeEbEEZZNS1_14partition_implILS8_3ELb0ES6_jNS0_17counting_iteratorIjlEEPS9_SE_NS0_5tupleIJPjSE_EEENSF_IJSE_SE_EEES9_SG_JZNS1_25segmented_radix_sort_implINS0_14default_configELb0EPKaPaPKlPlN2at6native12_GLOBAL__N_18offset_tEEE10hipError_tPvRmT1_PNSt15iterator_traitsISY_E10value_typeET2_T3_PNSZ_IS14_E10value_typeET4_jRbjT5_S1A_jjP12ihipStream_tbEUljE_EEESV_SW_SX_S14_S18_S1A_T6_T7_T9_mT8_S1C_bDpT10_ENKUlT_T0_E_clISt17integral_constantIbLb0EES1P_EEDaS1K_S1L_EUlS1K_E_NS1_11comp_targetILNS1_3genE8ELNS1_11target_archE1030ELNS1_3gpuE2ELNS1_3repE0EEENS1_30default_config_static_selectorELNS0_4arch9wavefront6targetE0EEEvSY_,"axG",@progbits,_ZN7rocprim17ROCPRIM_400000_NS6detail17trampoline_kernelINS0_13select_configILj256ELj13ELNS0_17block_load_methodE3ELS4_3ELS4_3ELNS0_20block_scan_algorithmE0ELj4294967295EEENS1_25partition_config_selectorILNS1_17partition_subalgoE3EjNS0_10empty_typeEbEEZZNS1_14partition_implILS8_3ELb0ES6_jNS0_17counting_iteratorIjlEEPS9_SE_NS0_5tupleIJPjSE_EEENSF_IJSE_SE_EEES9_SG_JZNS1_25segmented_radix_sort_implINS0_14default_configELb0EPKaPaPKlPlN2at6native12_GLOBAL__N_18offset_tEEE10hipError_tPvRmT1_PNSt15iterator_traitsISY_E10value_typeET2_T3_PNSZ_IS14_E10value_typeET4_jRbjT5_S1A_jjP12ihipStream_tbEUljE_EEESV_SW_SX_S14_S18_S1A_T6_T7_T9_mT8_S1C_bDpT10_ENKUlT_T0_E_clISt17integral_constantIbLb0EES1P_EEDaS1K_S1L_EUlS1K_E_NS1_11comp_targetILNS1_3genE8ELNS1_11target_archE1030ELNS1_3gpuE2ELNS1_3repE0EEENS1_30default_config_static_selectorELNS0_4arch9wavefront6targetE0EEEvSY_,comdat
	.globl	_ZN7rocprim17ROCPRIM_400000_NS6detail17trampoline_kernelINS0_13select_configILj256ELj13ELNS0_17block_load_methodE3ELS4_3ELS4_3ELNS0_20block_scan_algorithmE0ELj4294967295EEENS1_25partition_config_selectorILNS1_17partition_subalgoE3EjNS0_10empty_typeEbEEZZNS1_14partition_implILS8_3ELb0ES6_jNS0_17counting_iteratorIjlEEPS9_SE_NS0_5tupleIJPjSE_EEENSF_IJSE_SE_EEES9_SG_JZNS1_25segmented_radix_sort_implINS0_14default_configELb0EPKaPaPKlPlN2at6native12_GLOBAL__N_18offset_tEEE10hipError_tPvRmT1_PNSt15iterator_traitsISY_E10value_typeET2_T3_PNSZ_IS14_E10value_typeET4_jRbjT5_S1A_jjP12ihipStream_tbEUljE_EEESV_SW_SX_S14_S18_S1A_T6_T7_T9_mT8_S1C_bDpT10_ENKUlT_T0_E_clISt17integral_constantIbLb0EES1P_EEDaS1K_S1L_EUlS1K_E_NS1_11comp_targetILNS1_3genE8ELNS1_11target_archE1030ELNS1_3gpuE2ELNS1_3repE0EEENS1_30default_config_static_selectorELNS0_4arch9wavefront6targetE0EEEvSY_ ; -- Begin function _ZN7rocprim17ROCPRIM_400000_NS6detail17trampoline_kernelINS0_13select_configILj256ELj13ELNS0_17block_load_methodE3ELS4_3ELS4_3ELNS0_20block_scan_algorithmE0ELj4294967295EEENS1_25partition_config_selectorILNS1_17partition_subalgoE3EjNS0_10empty_typeEbEEZZNS1_14partition_implILS8_3ELb0ES6_jNS0_17counting_iteratorIjlEEPS9_SE_NS0_5tupleIJPjSE_EEENSF_IJSE_SE_EEES9_SG_JZNS1_25segmented_radix_sort_implINS0_14default_configELb0EPKaPaPKlPlN2at6native12_GLOBAL__N_18offset_tEEE10hipError_tPvRmT1_PNSt15iterator_traitsISY_E10value_typeET2_T3_PNSZ_IS14_E10value_typeET4_jRbjT5_S1A_jjP12ihipStream_tbEUljE_EEESV_SW_SX_S14_S18_S1A_T6_T7_T9_mT8_S1C_bDpT10_ENKUlT_T0_E_clISt17integral_constantIbLb0EES1P_EEDaS1K_S1L_EUlS1K_E_NS1_11comp_targetILNS1_3genE8ELNS1_11target_archE1030ELNS1_3gpuE2ELNS1_3repE0EEENS1_30default_config_static_selectorELNS0_4arch9wavefront6targetE0EEEvSY_
	.p2align	8
	.type	_ZN7rocprim17ROCPRIM_400000_NS6detail17trampoline_kernelINS0_13select_configILj256ELj13ELNS0_17block_load_methodE3ELS4_3ELS4_3ELNS0_20block_scan_algorithmE0ELj4294967295EEENS1_25partition_config_selectorILNS1_17partition_subalgoE3EjNS0_10empty_typeEbEEZZNS1_14partition_implILS8_3ELb0ES6_jNS0_17counting_iteratorIjlEEPS9_SE_NS0_5tupleIJPjSE_EEENSF_IJSE_SE_EEES9_SG_JZNS1_25segmented_radix_sort_implINS0_14default_configELb0EPKaPaPKlPlN2at6native12_GLOBAL__N_18offset_tEEE10hipError_tPvRmT1_PNSt15iterator_traitsISY_E10value_typeET2_T3_PNSZ_IS14_E10value_typeET4_jRbjT5_S1A_jjP12ihipStream_tbEUljE_EEESV_SW_SX_S14_S18_S1A_T6_T7_T9_mT8_S1C_bDpT10_ENKUlT_T0_E_clISt17integral_constantIbLb0EES1P_EEDaS1K_S1L_EUlS1K_E_NS1_11comp_targetILNS1_3genE8ELNS1_11target_archE1030ELNS1_3gpuE2ELNS1_3repE0EEENS1_30default_config_static_selectorELNS0_4arch9wavefront6targetE0EEEvSY_,@function
_ZN7rocprim17ROCPRIM_400000_NS6detail17trampoline_kernelINS0_13select_configILj256ELj13ELNS0_17block_load_methodE3ELS4_3ELS4_3ELNS0_20block_scan_algorithmE0ELj4294967295EEENS1_25partition_config_selectorILNS1_17partition_subalgoE3EjNS0_10empty_typeEbEEZZNS1_14partition_implILS8_3ELb0ES6_jNS0_17counting_iteratorIjlEEPS9_SE_NS0_5tupleIJPjSE_EEENSF_IJSE_SE_EEES9_SG_JZNS1_25segmented_radix_sort_implINS0_14default_configELb0EPKaPaPKlPlN2at6native12_GLOBAL__N_18offset_tEEE10hipError_tPvRmT1_PNSt15iterator_traitsISY_E10value_typeET2_T3_PNSZ_IS14_E10value_typeET4_jRbjT5_S1A_jjP12ihipStream_tbEUljE_EEESV_SW_SX_S14_S18_S1A_T6_T7_T9_mT8_S1C_bDpT10_ENKUlT_T0_E_clISt17integral_constantIbLb0EES1P_EEDaS1K_S1L_EUlS1K_E_NS1_11comp_targetILNS1_3genE8ELNS1_11target_archE1030ELNS1_3gpuE2ELNS1_3repE0EEENS1_30default_config_static_selectorELNS0_4arch9wavefront6targetE0EEEvSY_: ; @_ZN7rocprim17ROCPRIM_400000_NS6detail17trampoline_kernelINS0_13select_configILj256ELj13ELNS0_17block_load_methodE3ELS4_3ELS4_3ELNS0_20block_scan_algorithmE0ELj4294967295EEENS1_25partition_config_selectorILNS1_17partition_subalgoE3EjNS0_10empty_typeEbEEZZNS1_14partition_implILS8_3ELb0ES6_jNS0_17counting_iteratorIjlEEPS9_SE_NS0_5tupleIJPjSE_EEENSF_IJSE_SE_EEES9_SG_JZNS1_25segmented_radix_sort_implINS0_14default_configELb0EPKaPaPKlPlN2at6native12_GLOBAL__N_18offset_tEEE10hipError_tPvRmT1_PNSt15iterator_traitsISY_E10value_typeET2_T3_PNSZ_IS14_E10value_typeET4_jRbjT5_S1A_jjP12ihipStream_tbEUljE_EEESV_SW_SX_S14_S18_S1A_T6_T7_T9_mT8_S1C_bDpT10_ENKUlT_T0_E_clISt17integral_constantIbLb0EES1P_EEDaS1K_S1L_EUlS1K_E_NS1_11comp_targetILNS1_3genE8ELNS1_11target_archE1030ELNS1_3gpuE2ELNS1_3repE0EEENS1_30default_config_static_selectorELNS0_4arch9wavefront6targetE0EEEvSY_
; %bb.0:
	s_clause 0x6
	s_load_dword s0, s[4:5], 0x70
	s_load_dwordx2 s[16:17], s[4:5], 0x10
	s_load_dwordx4 s[12:15], s[4:5], 0x48
	s_load_dwordx2 s[18:19], s[4:5], 0x58
	s_load_dword s7, s[4:5], 0x8
	s_load_dwordx4 s[8:11], s[4:5], 0x78
	s_load_dword s1, s[4:5], 0x88
	s_mul_i32 s26, s6, 0xd00
	v_lshlrev_b32_e32 v42, 2, v0
	s_waitcnt lgkmcnt(0)
	s_mul_i32 s2, s0, 0xd00
	s_add_i32 s0, s0, -1
	s_add_i32 s3, s2, s16
	s_load_dwordx2 s[20:21], s[14:15], 0x0
	s_sub_i32 s25, s18, s3
	s_addk_i32 s25, 0xd00
	s_add_u32 s2, s16, s2
	s_addc_u32 s3, s17, 0
	s_cmp_eq_u32 s6, s0
	v_cmp_gt_u64_e64 s2, s[18:19], s[2:3]
	s_cselect_b32 s24, -1, 0
	s_cmp_lg_u32 s6, s0
	s_cselect_b32 s0, -1, 0
	s_add_i32 s3, s7, s26
	s_or_b32 s2, s0, s2
	s_add_i32 s3, s3, s16
	s_and_b32 vcc_lo, exec_lo, s2
	v_add_nc_u32_e32 v1, s3, v0
	s_mov_b32 s7, -1
	s_cbranch_vccz .LBB365_2
; %bb.1:
	v_add_nc_u32_e32 v2, 0x100, v1
	v_add_nc_u32_e32 v3, 0x200, v1
	;; [unrolled: 1-line block ×12, first 2 shown]
	ds_write2st64_b32 v42, v1, v2 offset1:4
	ds_write2st64_b32 v42, v3, v4 offset0:8 offset1:12
	ds_write2st64_b32 v42, v5, v6 offset0:16 offset1:20
	;; [unrolled: 1-line block ×5, first 2 shown]
	ds_write_b32 v42, v13 offset:12288
	s_waitcnt lgkmcnt(0)
	s_mov_b32 s7, 0
	s_barrier
.LBB365_2:
	v_cmp_gt_u32_e64 s0, s25, v0
	v_or_b32_e32 v41, 0x100, v0
	v_or_b32_e32 v40, 0x200, v0
	;; [unrolled: 1-line block ×12, first 2 shown]
	s_andn2_b32 vcc_lo, exec_lo, s7
	s_cbranch_vccnz .LBB365_4
; %bb.3:
	v_add_nc_u32_e32 v2, s3, v41
	v_cmp_gt_u32_e32 vcc_lo, s25, v41
	v_add_nc_u32_e32 v3, s3, v40
	v_add_nc_u32_e32 v4, s3, v39
	;; [unrolled: 1-line block ×4, first 2 shown]
	v_cndmask_b32_e32 v2, 0, v2, vcc_lo
	v_cmp_gt_u32_e32 vcc_lo, s25, v40
	v_add_nc_u32_e32 v7, s3, v36
	v_add_nc_u32_e32 v8, s3, v35
	;; [unrolled: 1-line block ×4, first 2 shown]
	v_cndmask_b32_e32 v3, 0, v3, vcc_lo
	v_cmp_gt_u32_e32 vcc_lo, s25, v39
	v_add_nc_u32_e32 v11, s3, v32
	v_add_nc_u32_e32 v12, s3, v31
	v_cndmask_b32_e64 v1, 0, v1, s0
	v_add_nc_u32_e32 v13, s3, v30
	v_cndmask_b32_e32 v4, 0, v4, vcc_lo
	v_cmp_gt_u32_e32 vcc_lo, s25, v38
	v_cndmask_b32_e32 v5, 0, v5, vcc_lo
	v_cmp_gt_u32_e32 vcc_lo, s25, v37
	;; [unrolled: 2-line block ×9, first 2 shown]
	v_cndmask_b32_e32 v13, 0, v13, vcc_lo
	ds_write2st64_b32 v42, v1, v2 offset1:4
	ds_write2st64_b32 v42, v3, v4 offset0:8 offset1:12
	ds_write2st64_b32 v42, v5, v6 offset0:16 offset1:20
	;; [unrolled: 1-line block ×5, first 2 shown]
	ds_write_b32 v42, v13 offset:12288
	s_waitcnt lgkmcnt(0)
	s_barrier
.LBB365_4:
	v_mul_u32_u24_e32 v45, 13, v0
	s_waitcnt lgkmcnt(0)
	buffer_gl0_inv
	v_cndmask_b32_e64 v43, 0, 1, s2
	s_andn2_b32 vcc_lo, exec_lo, s2
	v_lshlrev_b32_e32 v1, 2, v45
	ds_read2_b32 v[26:27], v1 offset0:2 offset1:3
	ds_read2_b32 v[22:23], v1 offset0:6 offset1:7
	;; [unrolled: 1-line block ×3, first 2 shown]
	ds_read2_b32 v[28:29], v1 offset1:1
	ds_read2_b32 v[18:19], v1 offset0:10 offset1:11
	ds_read_b32 v44, v1 offset:48
	ds_read2_b32 v[20:21], v1 offset0:8 offset1:9
	s_waitcnt lgkmcnt(0)
	s_barrier
	buffer_gl0_inv
	s_cbranch_vccnz .LBB365_6
; %bb.5:
	v_add_nc_u32_e32 v1, s9, v27
	v_add_nc_u32_e32 v4, s9, v26
	;; [unrolled: 1-line block ×6, first 2 shown]
	v_mul_lo_u32 v4, v4, s8
	v_mul_lo_u32 v1, v1, s8
	;; [unrolled: 1-line block ×4, first 2 shown]
	v_add_nc_u32_e32 v3, s9, v28
	v_add_nc_u32_e32 v7, s11, v28
	v_mul_lo_u32 v2, v2, s8
	v_mul_lo_u32 v6, v6, s10
	v_add_nc_u32_e32 v10, s11, v25
	v_mul_lo_u32 v3, v3, s8
	v_mul_lo_u32 v7, v7, s10
	v_sub_nc_u32_e32 v1, v1, v5
	v_sub_nc_u32_e32 v4, v4, v8
	v_add_nc_u32_e32 v5, s9, v23
	v_add_nc_u32_e32 v8, s11, v23
	v_sub_nc_u32_e32 v2, v2, v6
	v_add_nc_u32_e32 v6, s9, v25
	v_add_nc_u32_e32 v9, s9, v22
	v_mul_lo_u32 v5, v5, s8
	v_mul_lo_u32 v8, v8, s10
	v_sub_nc_u32_e32 v3, v3, v7
	v_add_nc_u32_e32 v7, s9, v24
	v_add_nc_u32_e32 v11, s11, v22
	v_mul_lo_u32 v6, v6, s8
	v_mul_lo_u32 v10, v10, s10
	v_add_nc_u32_e32 v12, s11, v24
	v_mul_lo_u32 v9, v9, s8
	v_mul_lo_u32 v7, v7, s8
	;; [unrolled: 1-line block ×3, first 2 shown]
	v_sub_nc_u32_e32 v5, v5, v8
	v_mul_lo_u32 v8, v12, s10
	v_cmp_lt_u32_e32 vcc_lo, s1, v1
	v_sub_nc_u32_e32 v6, v6, v10
	v_add_nc_u32_e32 v10, s9, v19
	v_add_nc_u32_e32 v14, s11, v19
	;; [unrolled: 1-line block ×3, first 2 shown]
	v_cndmask_b32_e64 v1, 0, 1, vcc_lo
	v_cmp_lt_u32_e32 vcc_lo, s1, v2
	v_sub_nc_u32_e32 v7, v7, v8
	v_sub_nc_u32_e32 v8, v9, v11
	v_add_nc_u32_e32 v11, s9, v21
	v_mul_lo_u32 v10, v10, s8
	v_mul_lo_u32 v14, v14, s10
	v_cndmask_b32_e64 v2, 0, 1, vcc_lo
	v_cmp_lt_u32_e32 vcc_lo, s1, v5
	v_mul_lo_u32 v11, v11, s8
	v_mul_lo_u32 v15, v15, s10
	v_mov_b32_e32 v9, 8
	v_lshlrev_b16 v2, 8, v2
	v_cndmask_b32_e64 v5, 0, 1, vcc_lo
	v_cmp_lt_u32_e32 vcc_lo, s1, v6
	v_sub_nc_u32_e32 v10, v10, v14
	v_add_nc_u32_e32 v12, s9, v20
	v_add_nc_u32_e32 v16, s11, v20
	v_sub_nc_u32_e32 v11, v11, v15
	v_cndmask_b32_e64 v6, 0, 1, vcc_lo
	v_cmp_lt_u32_e32 vcc_lo, s1, v10
	v_lshrrev_b32_sdwa v2, v9, v2 dst_sel:BYTE_1 dst_unused:UNUSED_PAD src0_sel:DWORD src1_sel:DWORD
	v_add_nc_u32_e32 v13, s9, v18
	v_add_nc_u32_e32 v17, s11, v18
	v_mul_lo_u32 v12, v12, s8
	v_cndmask_b32_e64 v10, 0, 1, vcc_lo
	v_cmp_lt_u32_e32 vcc_lo, s1, v11
	v_mul_lo_u32 v16, v16, s10
	v_mul_lo_u32 v13, v13, s8
	;; [unrolled: 1-line block ×3, first 2 shown]
	v_add_nc_u32_e32 v14, s9, v44
	v_cndmask_b32_e64 v11, 0, 1, vcc_lo
	v_cmp_lt_u32_e32 vcc_lo, s1, v3
	v_add_nc_u32_e32 v15, s11, v44
	v_lshlrev_b16 v1, 8, v1
	v_sub_nc_u32_e32 v12, v12, v16
	v_lshlrev_b16 v11, 8, v11
	v_cndmask_b32_e64 v3, 0, 1, vcc_lo
	v_cmp_lt_u32_e32 vcc_lo, s1, v4
	v_sub_nc_u32_e32 v13, v13, v17
	v_mul_lo_u32 v14, v14, s8
	v_mul_lo_u32 v15, v15, s10
	v_or_b32_e32 v2, v3, v2
	v_cndmask_b32_e64 v3, 0, 1, vcc_lo
	v_cmp_lt_u32_e32 vcc_lo, s1, v7
	v_lshlrev_b16 v6, 8, v6
	v_lshlrev_b16 v10, 8, v10
	;; [unrolled: 1-line block ×3, first 2 shown]
	v_lshrrev_b32_sdwa v1, v9, v1 dst_sel:BYTE_1 dst_unused:UNUSED_PAD src0_sel:DWORD src1_sel:DWORD
	v_cndmask_b32_e64 v4, 0, 1, vcc_lo
	v_cmp_lt_u32_e32 vcc_lo, s1, v8
	v_lshrrev_b32_sdwa v8, v9, v11 dst_sel:BYTE_1 dst_unused:UNUSED_PAD src0_sel:DWORD src1_sel:DWORD
	v_lshrrev_b32_sdwa v6, v9, v6 dst_sel:BYTE_1 dst_unused:UNUSED_PAD src0_sel:DWORD src1_sel:DWORD
	v_sub_nc_u32_e32 v14, v14, v15
	v_lshrrev_b32_sdwa v9, v9, v10 dst_sel:BYTE_1 dst_unused:UNUSED_PAD src0_sel:DWORD src1_sel:DWORD
	v_cndmask_b32_e64 v7, 0, 1, vcc_lo
	v_cmp_lt_u32_e32 vcc_lo, s1, v12
	v_or_b32_sdwa v1, v3, v1 dst_sel:WORD_1 dst_unused:UNUSED_PAD src0_sel:DWORD src1_sel:DWORD
	v_or_b32_e32 v3, v4, v6
	v_or_b32_sdwa v4, v7, v5 dst_sel:WORD_1 dst_unused:UNUSED_PAD src0_sel:DWORD src1_sel:DWORD
	v_cndmask_b32_e64 v11, 0, 1, vcc_lo
	v_cmp_lt_u32_e32 vcc_lo, s1, v13
	v_or_b32_sdwa v50, v2, v1 dst_sel:DWORD dst_unused:UNUSED_PAD src0_sel:WORD_0 src1_sel:DWORD
	v_or_b32_sdwa v48, v3, v4 dst_sel:DWORD dst_unused:UNUSED_PAD src0_sel:WORD_0 src1_sel:DWORD
	v_or_b32_e32 v5, v11, v8
	v_cndmask_b32_e64 v10, 0, 1, vcc_lo
	v_cmp_lt_u32_e32 vcc_lo, s1, v14
	v_or_b32_sdwa v6, v10, v9 dst_sel:WORD_1 dst_unused:UNUSED_PAD src0_sel:DWORD src1_sel:DWORD
	v_cndmask_b32_e64 v46, 0, 1, vcc_lo
	v_or_b32_sdwa v47, v5, v6 dst_sel:DWORD dst_unused:UNUSED_PAD src0_sel:WORD_0 src1_sel:DWORD
	s_clause 0x1
	s_load_dwordx2 s[14:15], s[4:5], 0x28
	s_load_dwordx2 s[22:23], s[4:5], 0x68
	s_cbranch_execz .LBB365_7
	s_branch .LBB365_34
.LBB365_6:
                                        ; implicit-def: $vgpr46
                                        ; implicit-def: $vgpr47
                                        ; implicit-def: $vgpr48
                                        ; implicit-def: $vgpr50
	s_clause 0x1
	s_load_dwordx2 s[14:15], s[4:5], 0x28
	s_load_dwordx2 s[22:23], s[4:5], 0x68
.LBB365_7:
	v_mov_b32_e32 v2, 0
	v_mov_b32_e32 v1, 0
	s_mov_b32 s0, exec_lo
	v_cmpx_gt_u32_e64 s25, v45
	s_cbranch_execz .LBB365_9
; %bb.8:
	v_add_nc_u32_e32 v1, s9, v28
	v_add_nc_u32_e32 v3, s11, v28
	v_mul_lo_u32 v1, v1, s8
	v_mul_lo_u32 v3, v3, s10
	v_sub_nc_u32_e32 v1, v1, v3
	v_cmp_lt_u32_e32 vcc_lo, s1, v1
	v_cndmask_b32_e64 v1, 0, 1, vcc_lo
.LBB365_9:
	s_or_b32 exec_lo, exec_lo, s0
	v_add_nc_u32_e32 v3, 1, v45
	s_mov_b32 s0, exec_lo
	v_cmpx_gt_u32_e64 s25, v3
	s_cbranch_execz .LBB365_11
; %bb.10:
	v_add_nc_u32_e32 v2, s9, v29
	v_add_nc_u32_e32 v3, s11, v29
	v_mul_lo_u32 v2, v2, s8
	v_mul_lo_u32 v3, v3, s10
	v_sub_nc_u32_e32 v2, v2, v3
	v_cmp_lt_u32_e32 vcc_lo, s1, v2
	v_cndmask_b32_e64 v2, 0, 1, vcc_lo
.LBB365_11:
	s_or_b32 exec_lo, exec_lo, s0
	v_add_nc_u32_e32 v3, 2, v45
	v_mov_b32_e32 v4, 0
	v_cmp_gt_u32_e32 vcc_lo, s25, v3
	v_mov_b32_e32 v3, 0
	s_and_saveexec_b32 s0, vcc_lo
	s_cbranch_execz .LBB365_13
; %bb.12:
	v_add_nc_u32_e32 v3, s9, v26
	v_add_nc_u32_e32 v5, s11, v26
	v_mul_lo_u32 v3, v3, s8
	v_mul_lo_u32 v5, v5, s10
	v_sub_nc_u32_e32 v3, v3, v5
	v_cmp_lt_u32_e32 vcc_lo, s1, v3
	v_cndmask_b32_e64 v3, 0, 1, vcc_lo
.LBB365_13:
	s_or_b32 exec_lo, exec_lo, s0
	v_add_nc_u32_e32 v5, 3, v45
	s_mov_b32 s0, exec_lo
	v_cmpx_gt_u32_e64 s25, v5
	s_cbranch_execz .LBB365_15
; %bb.14:
	v_add_nc_u32_e32 v4, s9, v27
	v_add_nc_u32_e32 v5, s11, v27
	v_mul_lo_u32 v4, v4, s8
	v_mul_lo_u32 v5, v5, s10
	v_sub_nc_u32_e32 v4, v4, v5
	v_cmp_lt_u32_e32 vcc_lo, s1, v4
	v_cndmask_b32_e64 v4, 0, 1, vcc_lo
.LBB365_15:
	s_or_b32 exec_lo, exec_lo, s0
	v_add_nc_u32_e32 v5, 4, v45
	v_mov_b32_e32 v6, 0
	v_cmp_gt_u32_e32 vcc_lo, s25, v5
	v_mov_b32_e32 v5, 0
	s_and_saveexec_b32 s0, vcc_lo
	;; [unrolled: 30-line block ×5, first 2 shown]
	s_cbranch_execz .LBB365_29
; %bb.28:
	v_add_nc_u32_e32 v11, s9, v18
	v_add_nc_u32_e32 v13, s11, v18
	v_mul_lo_u32 v11, v11, s8
	v_mul_lo_u32 v13, v13, s10
	v_sub_nc_u32_e32 v11, v11, v13
	v_cmp_lt_u32_e32 vcc_lo, s1, v11
	v_cndmask_b32_e64 v11, 0, 1, vcc_lo
.LBB365_29:
	s_or_b32 exec_lo, exec_lo, s0
	v_add_nc_u32_e32 v13, 11, v45
	s_mov_b32 s0, exec_lo
	v_cmpx_gt_u32_e64 s25, v13
	s_cbranch_execz .LBB365_31
; %bb.30:
	v_add_nc_u32_e32 v12, s9, v19
	v_add_nc_u32_e32 v13, s11, v19
	v_mul_lo_u32 v12, v12, s8
	v_mul_lo_u32 v13, v13, s10
	v_sub_nc_u32_e32 v12, v12, v13
	v_cmp_lt_u32_e32 vcc_lo, s1, v12
	v_cndmask_b32_e64 v12, 0, 1, vcc_lo
.LBB365_31:
	s_or_b32 exec_lo, exec_lo, s0
	v_add_nc_u32_e32 v13, 12, v45
	v_mov_b32_e32 v46, 0
	s_mov_b32 s0, exec_lo
	v_cmpx_gt_u32_e64 s25, v13
	s_cbranch_execz .LBB365_33
; %bb.32:
	v_add_nc_u32_e32 v13, s9, v44
	v_add_nc_u32_e32 v14, s11, v44
	v_mul_lo_u32 v13, v13, s8
	v_mul_lo_u32 v14, v14, s10
	v_sub_nc_u32_e32 v13, v13, v14
	v_cmp_lt_u32_e32 vcc_lo, s1, v13
	v_cndmask_b32_e64 v46, 0, 1, vcc_lo
.LBB365_33:
	s_or_b32 exec_lo, exec_lo, s0
	v_lshlrev_b16 v2, 8, v2
	v_lshlrev_b16 v4, 8, v4
	;; [unrolled: 1-line block ×5, first 2 shown]
	v_or_b32_e32 v1, v1, v2
	v_lshlrev_b16 v2, 8, v12
	v_or_b32_sdwa v3, v3, v4 dst_sel:WORD_1 dst_unused:UNUSED_PAD src0_sel:DWORD src1_sel:DWORD
	v_or_b32_e32 v4, v5, v6
	v_or_b32_sdwa v5, v7, v8 dst_sel:WORD_1 dst_unused:UNUSED_PAD src0_sel:DWORD src1_sel:DWORD
	v_or_b32_e32 v6, v9, v10
	v_or_b32_sdwa v2, v11, v2 dst_sel:WORD_1 dst_unused:UNUSED_PAD src0_sel:DWORD src1_sel:DWORD
	v_or_b32_sdwa v50, v1, v3 dst_sel:DWORD dst_unused:UNUSED_PAD src0_sel:WORD_0 src1_sel:DWORD
	v_or_b32_sdwa v48, v4, v5 dst_sel:DWORD dst_unused:UNUSED_PAD src0_sel:WORD_0 src1_sel:DWORD
	;; [unrolled: 1-line block ×3, first 2 shown]
.LBB365_34:
	v_and_b32_e32 v53, 0xff, v50
	v_bfe_u32 v54, v50, 8, 8
	v_bfe_u32 v55, v50, 16, 8
	v_lshrrev_b32_e32 v52, 24, v50
	v_and_b32_e32 v56, 0xff, v48
	v_bfe_u32 v57, v48, 8, 8
	v_bfe_u32 v58, v48, 16, 8
	v_add3_u32 v1, v54, v53, v55
	v_lshrrev_b32_e32 v51, 24, v48
	v_and_b32_e32 v59, 0xff, v47
	v_bfe_u32 v60, v47, 8, 8
	v_mbcnt_lo_u32_b32 v62, -1, 0
	v_add3_u32 v1, v1, v52, v56
	v_bfe_u32 v61, v47, 16, 8
	v_lshrrev_b32_e32 v49, 24, v47
	v_and_b32_e32 v2, 0xff, v46
	v_and_b32_e32 v3, 15, v62
	v_add3_u32 v1, v1, v57, v58
	v_or_b32_e32 v4, 31, v0
	v_and_b32_e32 v5, 16, v62
	v_lshrrev_b32_e32 v63, 5, v0
	v_cmp_eq_u32_e64 s5, 0, v3
	v_add3_u32 v1, v1, v51, v59
	v_cmp_lt_u32_e64 s4, 1, v3
	v_cmp_lt_u32_e64 s3, 3, v3
	;; [unrolled: 1-line block ×3, first 2 shown]
	v_cmp_eq_u32_e64 s1, 0, v5
	v_add3_u32 v1, v1, v60, v61
	v_cmp_eq_u32_e64 s0, v0, v4
	s_cmp_lg_u32 s6, 0
	s_mov_b32 s7, -1
	v_add3_u32 v64, v1, v49, v2
	s_cbranch_scc0 .LBB365_56
; %bb.35:
	v_mov_b32_dpp v1, v64 row_shr:1 row_mask:0xf bank_mask:0xf
	v_cndmask_b32_e64 v1, v1, 0, s5
	v_add_nc_u32_e32 v1, v1, v64
	v_mov_b32_dpp v2, v1 row_shr:2 row_mask:0xf bank_mask:0xf
	v_cndmask_b32_e64 v2, 0, v2, s4
	v_add_nc_u32_e32 v1, v1, v2
	;; [unrolled: 3-line block ×4, first 2 shown]
	ds_swizzle_b32 v2, v1 offset:swizzle(BROADCAST,32,15)
	s_waitcnt lgkmcnt(0)
	v_cndmask_b32_e64 v2, v2, 0, s1
	v_add_nc_u32_e32 v1, v1, v2
	s_and_saveexec_b32 s7, s0
; %bb.36:
	v_lshlrev_b32_e32 v2, 2, v63
	ds_write_b32 v2, v1
; %bb.37:
	s_or_b32 exec_lo, exec_lo, s7
	s_mov_b32 s7, exec_lo
	s_waitcnt lgkmcnt(0)
	s_barrier
	buffer_gl0_inv
	v_cmpx_gt_u32_e32 8, v0
	s_cbranch_execz .LBB365_39
; %bb.38:
	ds_read_b32 v2, v42
	v_and_b32_e32 v3, 7, v62
	v_cmp_ne_u32_e32 vcc_lo, 0, v3
	s_waitcnt lgkmcnt(0)
	v_mov_b32_dpp v4, v2 row_shr:1 row_mask:0xf bank_mask:0xf
	v_cndmask_b32_e32 v4, 0, v4, vcc_lo
	v_cmp_lt_u32_e32 vcc_lo, 1, v3
	v_add_nc_u32_e32 v2, v4, v2
	v_mov_b32_dpp v4, v2 row_shr:2 row_mask:0xf bank_mask:0xf
	v_cndmask_b32_e32 v4, 0, v4, vcc_lo
	v_cmp_lt_u32_e32 vcc_lo, 3, v3
	v_add_nc_u32_e32 v2, v2, v4
	v_mov_b32_dpp v4, v2 row_shr:4 row_mask:0xf bank_mask:0xf
	v_cndmask_b32_e32 v3, 0, v4, vcc_lo
	v_add_nc_u32_e32 v2, v2, v3
	ds_write_b32 v42, v2
.LBB365_39:
	s_or_b32 exec_lo, exec_lo, s7
	s_mov_b32 s8, exec_lo
	v_cmp_gt_u32_e32 vcc_lo, 32, v0
	s_waitcnt lgkmcnt(0)
	s_barrier
	buffer_gl0_inv
                                        ; implicit-def: $vgpr10
	v_cmpx_lt_u32_e32 31, v0
	s_cbranch_execz .LBB365_41
; %bb.40:
	v_lshl_add_u32 v2, v63, 2, -4
	ds_read_b32 v10, v2
	s_waitcnt lgkmcnt(0)
	v_add_nc_u32_e32 v1, v10, v1
.LBB365_41:
	s_or_b32 exec_lo, exec_lo, s8
	v_sub_co_u32 v2, s7, v62, 1
	v_cmp_gt_i32_e64 s8, 0, v2
	v_cndmask_b32_e64 v2, v2, v62, s8
	v_lshlrev_b32_e32 v2, 2, v2
	ds_bpermute_b32 v11, v2, v1
	s_and_saveexec_b32 s8, vcc_lo
	s_cbranch_execz .LBB365_61
; %bb.42:
	v_mov_b32_e32 v7, 0
	ds_read_b32 v1, v7 offset:28
	s_and_saveexec_b32 s9, s7
	s_cbranch_execz .LBB365_44
; %bb.43:
	s_add_i32 s10, s6, 32
	s_mov_b32 s11, 0
	v_mov_b32_e32 v2, 1
	s_lshl_b64 s[10:11], s[10:11], 3
	s_add_u32 s10, s22, s10
	s_addc_u32 s11, s23, s11
	s_waitcnt lgkmcnt(0)
	global_store_dwordx2 v7, v[1:2], s[10:11]
.LBB365_44:
	s_or_b32 exec_lo, exec_lo, s9
	v_xad_u32 v3, v62, -1, s6
	s_mov_b32 s10, 0
	v_add_nc_u32_e32 v6, 32, v3
	v_lshlrev_b64 v[4:5], 3, v[6:7]
	v_add_co_u32 v8, vcc_lo, s22, v4
	v_add_co_ci_u32_e64 v9, null, s23, v5, vcc_lo
	global_load_dwordx2 v[5:6], v[8:9], off glc dlc
	s_waitcnt vmcnt(0)
	v_cmp_eq_u16_sdwa s11, v6, v7 src0_sel:BYTE_0 src1_sel:DWORD
	s_and_saveexec_b32 s9, s11
	s_cbranch_execz .LBB365_48
; %bb.45:
	v_mov_b32_e32 v2, 0
.LBB365_46:                             ; =>This Inner Loop Header: Depth=1
	global_load_dwordx2 v[5:6], v[8:9], off glc dlc
	s_waitcnt vmcnt(0)
	v_cmp_ne_u16_sdwa s11, v6, v2 src0_sel:BYTE_0 src1_sel:DWORD
	s_or_b32 s10, s11, s10
	s_andn2_b32 exec_lo, exec_lo, s10
	s_cbranch_execnz .LBB365_46
; %bb.47:
	s_or_b32 exec_lo, exec_lo, s10
.LBB365_48:
	s_or_b32 exec_lo, exec_lo, s9
	v_cmp_ne_u32_e32 vcc_lo, 31, v62
	v_mov_b32_e32 v12, 2
	v_lshlrev_b32_e64 v13, v62, -1
	v_add_nc_u32_e32 v15, 2, v62
	v_add_nc_u32_e32 v17, 4, v62
	v_add_co_ci_u32_e64 v2, null, 0, v62, vcc_lo
	v_cmp_eq_u16_sdwa s9, v6, v12 src0_sel:BYTE_0 src1_sel:DWORD
	v_cmp_gt_u32_e32 vcc_lo, 30, v62
	v_add_nc_u32_e32 v66, 8, v62
	v_lshlrev_b32_e32 v9, 2, v2
	v_lshl_or_b32 v67, v62, 2, 64
	v_and_or_b32 v4, s9, v13, 0x80000000
	v_cndmask_b32_e64 v7, 0, 2, vcc_lo
	v_add_nc_u32_e32 v68, 16, v62
	ds_bpermute_b32 v2, v9, v5
	v_ffbl_b32_e32 v4, v4
	v_add_lshl_u32 v14, v7, v62, 2
	v_cmp_lt_u32_e32 vcc_lo, v62, v4
	s_waitcnt lgkmcnt(0)
	v_cndmask_b32_e32 v2, 0, v2, vcc_lo
	v_cmp_gt_u32_e32 vcc_lo, 28, v62
	v_add_nc_u32_e32 v2, v2, v5
	v_cndmask_b32_e64 v7, 0, 4, vcc_lo
	v_cmp_le_u32_e32 vcc_lo, v15, v4
	ds_bpermute_b32 v5, v14, v2
	v_add_lshl_u32 v16, v7, v62, 2
	s_waitcnt lgkmcnt(0)
	v_cndmask_b32_e32 v5, 0, v5, vcc_lo
	v_cmp_gt_u32_e32 vcc_lo, 24, v62
	v_add_nc_u32_e32 v2, v2, v5
	v_cndmask_b32_e64 v7, 0, 8, vcc_lo
	v_cmp_le_u32_e32 vcc_lo, v17, v4
	ds_bpermute_b32 v5, v16, v2
	v_add_lshl_u32 v65, v7, v62, 2
	s_waitcnt lgkmcnt(0)
	v_cndmask_b32_e32 v5, 0, v5, vcc_lo
	v_cmp_le_u32_e32 vcc_lo, v66, v4
	v_add_nc_u32_e32 v2, v2, v5
	ds_bpermute_b32 v5, v65, v2
	s_waitcnt lgkmcnt(0)
	v_cndmask_b32_e32 v5, 0, v5, vcc_lo
	v_cmp_le_u32_e32 vcc_lo, v68, v4
	v_add_nc_u32_e32 v2, v2, v5
	ds_bpermute_b32 v5, v67, v2
	s_waitcnt lgkmcnt(0)
	v_cndmask_b32_e32 v4, 0, v5, vcc_lo
	v_add_nc_u32_e32 v5, v2, v4
	v_mov_b32_e32 v4, 0
	s_branch .LBB365_52
.LBB365_49:                             ;   in Loop: Header=BB365_52 Depth=1
	s_or_b32 exec_lo, exec_lo, s10
.LBB365_50:                             ;   in Loop: Header=BB365_52 Depth=1
	s_or_b32 exec_lo, exec_lo, s9
	ds_bpermute_b32 v7, v9, v5
	v_cmp_eq_u16_sdwa s9, v6, v12 src0_sel:BYTE_0 src1_sel:DWORD
	v_subrev_nc_u32_e32 v3, 32, v3
	v_and_or_b32 v8, s9, v13, 0x80000000
	s_mov_b32 s9, 0
	v_ffbl_b32_e32 v8, v8
	v_cmp_lt_u32_e32 vcc_lo, v62, v8
	s_waitcnt lgkmcnt(0)
	v_cndmask_b32_e32 v7, 0, v7, vcc_lo
	v_cmp_le_u32_e32 vcc_lo, v15, v8
	v_add_nc_u32_e32 v5, v7, v5
	ds_bpermute_b32 v7, v14, v5
	s_waitcnt lgkmcnt(0)
	v_cndmask_b32_e32 v7, 0, v7, vcc_lo
	v_cmp_le_u32_e32 vcc_lo, v17, v8
	v_add_nc_u32_e32 v5, v5, v7
	ds_bpermute_b32 v7, v16, v5
	;; [unrolled: 5-line block ×4, first 2 shown]
	s_waitcnt lgkmcnt(0)
	v_cndmask_b32_e32 v7, 0, v7, vcc_lo
	v_add3_u32 v5, v7, v2, v5
.LBB365_51:                             ;   in Loop: Header=BB365_52 Depth=1
	s_and_b32 vcc_lo, exec_lo, s9
	s_cbranch_vccnz .LBB365_57
.LBB365_52:                             ; =>This Loop Header: Depth=1
                                        ;     Child Loop BB365_55 Depth 2
	v_cmp_ne_u16_sdwa s9, v6, v12 src0_sel:BYTE_0 src1_sel:DWORD
	v_mov_b32_e32 v2, v5
                                        ; implicit-def: $vgpr5
                                        ; implicit-def: $vgpr6
	s_cmp_lg_u32 s9, exec_lo
	s_mov_b32 s9, -1
	s_cbranch_scc1 .LBB365_51
; %bb.53:                               ;   in Loop: Header=BB365_52 Depth=1
	v_lshlrev_b64 v[5:6], 3, v[3:4]
	v_add_co_u32 v7, vcc_lo, s22, v5
	v_add_co_ci_u32_e64 v8, null, s23, v6, vcc_lo
	global_load_dwordx2 v[5:6], v[7:8], off glc dlc
	s_waitcnt vmcnt(0)
	v_cmp_eq_u16_sdwa s10, v6, v4 src0_sel:BYTE_0 src1_sel:DWORD
	s_and_saveexec_b32 s9, s10
	s_cbranch_execz .LBB365_50
; %bb.54:                               ;   in Loop: Header=BB365_52 Depth=1
	s_mov_b32 s10, 0
.LBB365_55:                             ;   Parent Loop BB365_52 Depth=1
                                        ; =>  This Inner Loop Header: Depth=2
	global_load_dwordx2 v[5:6], v[7:8], off glc dlc
	s_waitcnt vmcnt(0)
	v_cmp_ne_u16_sdwa s11, v6, v4 src0_sel:BYTE_0 src1_sel:DWORD
	s_or_b32 s10, s11, s10
	s_andn2_b32 exec_lo, exec_lo, s10
	s_cbranch_execnz .LBB365_55
	s_branch .LBB365_49
.LBB365_56:
                                        ; implicit-def: $vgpr17
                                        ; implicit-def: $vgpr1_vgpr2_vgpr3_vgpr4_vgpr5_vgpr6_vgpr7_vgpr8_vgpr9_vgpr10_vgpr11_vgpr12_vgpr13_vgpr14_vgpr15_vgpr16
	s_and_b32 vcc_lo, exec_lo, s7
	s_cbranch_vccnz .LBB365_62
	s_branch .LBB365_71
.LBB365_57:
	s_and_saveexec_b32 s9, s7
	s_cbranch_execz .LBB365_59
; %bb.58:
	s_add_i32 s10, s6, 32
	s_mov_b32 s11, 0
	v_add_nc_u32_e32 v3, v2, v1
	v_mov_b32_e32 v4, 2
	s_lshl_b64 s[10:11], s[10:11], 3
	v_mov_b32_e32 v5, 0
	s_add_u32 s10, s22, s10
	s_addc_u32 s11, s23, s11
	global_store_dwordx2 v5, v[3:4], s[10:11]
	ds_write_b64 v5, v[1:2] offset:13312
.LBB365_59:
	s_or_b32 exec_lo, exec_lo, s9
	v_cmp_eq_u32_e32 vcc_lo, 0, v0
	s_and_b32 exec_lo, exec_lo, vcc_lo
; %bb.60:
	v_mov_b32_e32 v1, 0
	ds_write_b32 v1, v2 offset:28
.LBB365_61:
	s_or_b32 exec_lo, exec_lo, s8
	v_mov_b32_e32 v12, 0
	s_waitcnt lgkmcnt(0)
	s_waitcnt_vscnt null, 0x0
	s_barrier
	buffer_gl0_inv
	v_cndmask_b32_e64 v2, v11, v10, s7
	ds_read_b32 v1, v12 offset:28
	v_cmp_ne_u32_e32 vcc_lo, 0, v0
	s_waitcnt lgkmcnt(0)
	s_barrier
	buffer_gl0_inv
	ds_read_b64 v[16:17], v12 offset:13312
	v_cndmask_b32_e32 v2, 0, v2, vcc_lo
	v_add_nc_u32_e32 v1, v1, v2
	v_add_nc_u32_e32 v2, v1, v53
	;; [unrolled: 1-line block ×13, first 2 shown]
	s_branch .LBB365_71
.LBB365_62:
	v_mov_b32_dpp v1, v64 row_shr:1 row_mask:0xf bank_mask:0xf
	v_cndmask_b32_e64 v1, v1, 0, s5
	v_add_nc_u32_e32 v1, v1, v64
	v_mov_b32_dpp v2, v1 row_shr:2 row_mask:0xf bank_mask:0xf
	v_cndmask_b32_e64 v2, 0, v2, s4
	v_add_nc_u32_e32 v1, v1, v2
	;; [unrolled: 3-line block ×4, first 2 shown]
	ds_swizzle_b32 v2, v1 offset:swizzle(BROADCAST,32,15)
	s_waitcnt lgkmcnt(0)
	v_cndmask_b32_e64 v2, v2, 0, s1
	v_add_nc_u32_e32 v1, v1, v2
	s_and_saveexec_b32 s1, s0
; %bb.63:
	v_lshlrev_b32_e32 v2, 2, v63
	ds_write_b32 v2, v1
; %bb.64:
	s_or_b32 exec_lo, exec_lo, s1
	s_mov_b32 s0, exec_lo
	s_waitcnt lgkmcnt(0)
	s_barrier
	buffer_gl0_inv
	v_cmpx_gt_u32_e32 8, v0
	s_cbranch_execz .LBB365_66
; %bb.65:
	ds_read_b32 v2, v42
	v_and_b32_e32 v3, 7, v62
	v_cmp_ne_u32_e32 vcc_lo, 0, v3
	s_waitcnt lgkmcnt(0)
	v_mov_b32_dpp v4, v2 row_shr:1 row_mask:0xf bank_mask:0xf
	v_cndmask_b32_e32 v4, 0, v4, vcc_lo
	v_cmp_lt_u32_e32 vcc_lo, 1, v3
	v_add_nc_u32_e32 v2, v4, v2
	v_mov_b32_dpp v4, v2 row_shr:2 row_mask:0xf bank_mask:0xf
	v_cndmask_b32_e32 v4, 0, v4, vcc_lo
	v_cmp_lt_u32_e32 vcc_lo, 3, v3
	v_add_nc_u32_e32 v2, v2, v4
	v_mov_b32_dpp v4, v2 row_shr:4 row_mask:0xf bank_mask:0xf
	v_cndmask_b32_e32 v3, 0, v4, vcc_lo
	v_add_nc_u32_e32 v2, v2, v3
	ds_write_b32 v42, v2
.LBB365_66:
	s_or_b32 exec_lo, exec_lo, s0
	v_mov_b32_e32 v3, 0
	v_mov_b32_e32 v2, 0
	s_mov_b32 s0, exec_lo
	s_waitcnt lgkmcnt(0)
	s_barrier
	buffer_gl0_inv
	v_cmpx_lt_u32_e32 31, v0
; %bb.67:
	v_lshl_add_u32 v2, v63, 2, -4
	ds_read_b32 v2, v2
; %bb.68:
	s_or_b32 exec_lo, exec_lo, s0
	v_sub_co_u32 v4, vcc_lo, v62, 1
	s_waitcnt lgkmcnt(0)
	v_add_nc_u32_e32 v1, v2, v1
	ds_read_b32 v16, v3 offset:28
	v_cmp_gt_i32_e64 s0, 0, v4
	v_cndmask_b32_e64 v4, v4, v62, s0
	v_cmp_eq_u32_e64 s0, 0, v0
	v_lshlrev_b32_e32 v4, 2, v4
	ds_bpermute_b32 v1, v4, v1
	s_and_saveexec_b32 s1, s0
	s_cbranch_execz .LBB365_70
; %bb.69:
	v_mov_b32_e32 v3, 0
	v_mov_b32_e32 v17, 2
	s_waitcnt lgkmcnt(1)
	global_store_dwordx2 v3, v[16:17], s[22:23] offset:256
.LBB365_70:
	s_or_b32 exec_lo, exec_lo, s1
	s_waitcnt lgkmcnt(0)
	v_cndmask_b32_e32 v1, v1, v2, vcc_lo
	v_mov_b32_e32 v17, 0
	s_waitcnt_vscnt null, 0x0
	s_barrier
	buffer_gl0_inv
	v_cndmask_b32_e64 v1, v1, 0, s0
	v_add_nc_u32_e32 v2, v1, v53
	v_add_nc_u32_e32 v3, v2, v54
	;; [unrolled: 1-line block ×12, first 2 shown]
.LBB365_71:
	s_waitcnt lgkmcnt(0)
	v_add_nc_u32_e32 v45, v16, v45
	v_sub_nc_u32_e32 v1, v1, v17
	v_and_b32_e32 v54, 1, v50
	v_lshrrev_b32_e32 v53, 8, v50
	v_sub_nc_u32_e32 v2, v2, v17
	v_sub_nc_u32_e32 v3, v3, v17
	;; [unrolled: 1-line block ×3, first 2 shown]
	v_cmp_eq_u32_e32 vcc_lo, 1, v54
	v_and_b32_e32 v53, 1, v53
	v_mov_b32_e32 v56, 1
	v_sub_nc_u32_e32 v54, v45, v2
	v_sub_nc_u32_e32 v4, v4, v17
	v_cndmask_b32_e32 v1, v55, v1, vcc_lo
	v_sub_nc_u32_e32 v55, v45, v3
	v_and_b32_sdwa v50, v56, v50 dst_sel:DWORD dst_unused:UNUSED_PAD src0_sel:DWORD src1_sel:WORD_1
	v_add_nc_u32_e32 v54, 1, v54
	v_cmp_eq_u32_e32 vcc_lo, 1, v53
	v_lshlrev_b32_e32 v1, 2, v1
	v_and_b32_e32 v52, 1, v52
	v_sub_nc_u32_e32 v57, v45, v4
	v_add_nc_u32_e32 v55, 2, v55
	v_lshrrev_b32_e32 v15, 8, v48
	ds_write_b32 v1, v28
	v_cndmask_b32_e32 v1, v54, v2, vcc_lo
	v_cmp_eq_u32_e32 vcc_lo, 1, v50
	v_add_nc_u32_e32 v57, 3, v57
	v_lshrrev_b32_e32 v14, 8, v47
	v_lshlrev_b32_e32 v1, 2, v1
	v_cndmask_b32_e32 v2, v55, v3, vcc_lo
	v_cmp_eq_u32_e32 vcc_lo, 1, v52
	ds_write_b32 v1, v29
	v_lshlrev_b32_e32 v2, 2, v2
	v_cndmask_b32_e32 v3, v57, v4, vcc_lo
	v_sub_nc_u32_e32 v4, v5, v17
	v_sub_nc_u32_e32 v5, v6, v17
	v_lshlrev_b32_e32 v3, 2, v3
	v_sub_nc_u32_e32 v1, v45, v4
	v_sub_nc_u32_e32 v6, v45, v5
	ds_write_b32 v2, v26
	ds_write_b32 v3, v27
	v_and_b32_e32 v2, 1, v48
	v_add_nc_u32_e32 v1, 4, v1
	v_add_nc_u32_e32 v3, 5, v6
	v_sub_nc_u32_e32 v6, v7, v17
	v_and_b32_e32 v7, 1, v15
	v_cmp_eq_u32_e32 vcc_lo, 1, v2
	v_sub_nc_u32_e32 v2, v8, v17
	v_and_b32_e32 v8, 1, v51
	v_add_co_u32 v15, s0, s20, v17
	v_cndmask_b32_e32 v1, v1, v4, vcc_lo
	v_sub_nc_u32_e32 v4, v45, v6
	v_cmp_eq_u32_e32 vcc_lo, 1, v7
	v_and_b32_sdwa v7, v56, v48 dst_sel:DWORD dst_unused:UNUSED_PAD src0_sel:DWORD src1_sel:WORD_1
	v_lshlrev_b32_e32 v1, 2, v1
	v_add_nc_u32_e32 v4, 6, v4
	v_cndmask_b32_e32 v3, v3, v5, vcc_lo
	v_sub_nc_u32_e32 v5, v45, v2
	v_cmp_eq_u32_e32 vcc_lo, 1, v7
	v_sub_nc_u32_e32 v7, v13, v17
	v_lshlrev_b32_e32 v3, 2, v3
	v_add_nc_u32_e32 v5, 7, v5
	v_cndmask_b32_e32 v4, v4, v6, vcc_lo
	v_cmp_eq_u32_e32 vcc_lo, 1, v8
	v_sub_nc_u32_e32 v6, v9, v17
	ds_write_b32 v1, v24
	ds_write_b32 v3, v25
	v_lshlrev_b32_e32 v3, 2, v4
	v_cndmask_b32_e32 v2, v5, v2, vcc_lo
	v_sub_nc_u32_e32 v1, v45, v6
	v_and_b32_e32 v5, 1, v47
	v_sub_nc_u32_e32 v4, v10, v17
	v_and_b32_e32 v10, 1, v49
	v_lshlrev_b32_e32 v2, 2, v2
	v_add_nc_u32_e32 v1, 8, v1
	ds_write_b32 v3, v22
	ds_write_b32 v2, v23
	v_cmp_eq_u32_e32 vcc_lo, 1, v5
	v_sub_nc_u32_e32 v3, v11, v17
	v_sub_nc_u32_e32 v2, v45, v4
	;; [unrolled: 1-line block ×3, first 2 shown]
	v_and_b32_e32 v11, 1, v46
	v_cndmask_b32_e32 v1, v1, v6, vcc_lo
	v_and_b32_e32 v6, 1, v14
	v_sub_nc_u32_e32 v8, v45, v3
	v_add_nc_u32_e32 v2, 9, v2
	v_sub_nc_u32_e32 v9, v45, v5
	v_lshlrev_b32_e32 v1, 2, v1
	v_cmp_eq_u32_e32 vcc_lo, 1, v6
	v_add_nc_u32_e32 v6, 10, v8
	v_and_b32_sdwa v8, v56, v47 dst_sel:DWORD dst_unused:UNUSED_PAD src0_sel:DWORD src1_sel:WORD_1
	v_add_nc_u32_e32 v9, 11, v9
	v_add_co_ci_u32_e64 v17, null, s21, 0, s0
	v_cndmask_b32_e32 v2, v2, v4, vcc_lo
	v_cmp_eq_u32_e32 vcc_lo, 1, v8
	v_sub_nc_u32_e32 v4, v45, v7
	v_lshlrev_b32_e32 v2, 2, v2
	v_cndmask_b32_e32 v3, v6, v3, vcc_lo
	v_cmp_eq_u32_e32 vcc_lo, 1, v10
	v_add_nc_u32_e32 v4, 12, v4
	v_lshlrev_b32_e32 v3, 2, v3
	v_cndmask_b32_e32 v5, v9, v5, vcc_lo
	v_cmp_eq_u32_e32 vcc_lo, 1, v11
	v_lshlrev_b32_e32 v5, 2, v5
	v_cndmask_b32_e32 v4, v4, v7, vcc_lo
	v_cmp_ne_u32_e32 vcc_lo, 1, v43
	v_lshlrev_b32_e32 v4, 2, v4
	ds_write_b32 v1, v20
	ds_write_b32 v2, v21
	;; [unrolled: 1-line block ×5, first 2 shown]
	s_waitcnt lgkmcnt(0)
	s_barrier
	buffer_gl0_inv
	ds_read2st64_b32 v[11:12], v42 offset1:4
	ds_read2st64_b32 v[9:10], v42 offset0:8 offset1:12
	ds_read2st64_b32 v[7:8], v42 offset0:16 offset1:20
	;; [unrolled: 1-line block ×5, first 2 shown]
	ds_read_b32 v18, v42 offset:12288
	s_cbranch_vccnz .LBB365_125
; %bb.72:
	s_sub_u32 s0, s18, s26
	v_sub_co_u32 v13, vcc_lo, v15, s16
	s_subb_u32 s1, s19, 0
	v_add_co_u32 v19, s0, s0, v16
	v_subrev_co_ci_u32_e64 v14, null, s17, v17, vcc_lo
	v_add_co_ci_u32_e64 v20, null, s1, 0, s0
	v_add_co_u32 v19, vcc_lo, v19, v13
	s_mov_b32 s0, exec_lo
	v_add_co_ci_u32_e64 v20, null, v20, v14, vcc_lo
                                        ; implicit-def: $vgpr13_vgpr14
	v_cmpx_ge_u32_e64 v0, v16
	s_xor_b32 s0, exec_lo, s0
; %bb.73:
	v_not_b32_e32 v13, v0
	v_ashrrev_i32_e32 v14, 31, v13
	v_add_co_u32 v13, vcc_lo, v19, v13
	v_add_co_ci_u32_e64 v14, null, v20, v14, vcc_lo
; %bb.74:
	s_andn2_saveexec_b32 s0, s0
; %bb.75:
	v_add_co_u32 v13, vcc_lo, v15, v0
	v_add_co_ci_u32_e64 v14, null, 0, v17, vcc_lo
; %bb.76:
	s_or_b32 exec_lo, exec_lo, s0
	v_lshlrev_b64 v[13:14], 2, v[13:14]
	s_mov_b32 s0, exec_lo
	v_add_co_u32 v13, vcc_lo, s14, v13
	v_add_co_ci_u32_e64 v14, null, s15, v14, vcc_lo
	s_waitcnt lgkmcnt(6)
	global_store_dword v[13:14], v11, off
                                        ; implicit-def: $vgpr13_vgpr14
	v_cmpx_ge_u32_e64 v41, v16
	s_xor_b32 s0, exec_lo, s0
; %bb.77:
	v_xor_b32_e32 v13, 0xfffffeff, v0
	v_ashrrev_i32_e32 v14, 31, v13
	v_add_co_u32 v13, vcc_lo, v19, v13
	v_add_co_ci_u32_e64 v14, null, v20, v14, vcc_lo
; %bb.78:
	s_andn2_saveexec_b32 s0, s0
; %bb.79:
	v_add_co_u32 v13, vcc_lo, v15, v41
	v_add_co_ci_u32_e64 v14, null, 0, v17, vcc_lo
; %bb.80:
	s_or_b32 exec_lo, exec_lo, s0
	v_lshlrev_b64 v[13:14], 2, v[13:14]
	s_mov_b32 s0, exec_lo
	v_add_co_u32 v13, vcc_lo, s14, v13
	v_add_co_ci_u32_e64 v14, null, s15, v14, vcc_lo
	global_store_dword v[13:14], v12, off
                                        ; implicit-def: $vgpr13_vgpr14
	v_cmpx_ge_u32_e64 v40, v16
	s_xor_b32 s0, exec_lo, s0
; %bb.81:
	v_xor_b32_e32 v13, 0xfffffdff, v0
	v_ashrrev_i32_e32 v14, 31, v13
	v_add_co_u32 v13, vcc_lo, v19, v13
	v_add_co_ci_u32_e64 v14, null, v20, v14, vcc_lo
; %bb.82:
	s_andn2_saveexec_b32 s0, s0
; %bb.83:
	v_add_co_u32 v13, vcc_lo, v15, v40
	v_add_co_ci_u32_e64 v14, null, 0, v17, vcc_lo
; %bb.84:
	s_or_b32 exec_lo, exec_lo, s0
	v_lshlrev_b64 v[13:14], 2, v[13:14]
	s_mov_b32 s0, exec_lo
	v_add_co_u32 v13, vcc_lo, s14, v13
	v_add_co_ci_u32_e64 v14, null, s15, v14, vcc_lo
	s_waitcnt lgkmcnt(5)
	global_store_dword v[13:14], v9, off
                                        ; implicit-def: $vgpr13_vgpr14
	v_cmpx_ge_u32_e64 v39, v16
	s_xor_b32 s0, exec_lo, s0
; %bb.85:
	v_xor_b32_e32 v13, 0xfffffcff, v0
	v_ashrrev_i32_e32 v14, 31, v13
	v_add_co_u32 v13, vcc_lo, v19, v13
	v_add_co_ci_u32_e64 v14, null, v20, v14, vcc_lo
; %bb.86:
	s_andn2_saveexec_b32 s0, s0
; %bb.87:
	v_add_co_u32 v13, vcc_lo, v15, v39
	v_add_co_ci_u32_e64 v14, null, 0, v17, vcc_lo
; %bb.88:
	s_or_b32 exec_lo, exec_lo, s0
	v_lshlrev_b64 v[13:14], 2, v[13:14]
	s_mov_b32 s0, exec_lo
	v_add_co_u32 v13, vcc_lo, s14, v13
	v_add_co_ci_u32_e64 v14, null, s15, v14, vcc_lo
	global_store_dword v[13:14], v10, off
                                        ; implicit-def: $vgpr13_vgpr14
	v_cmpx_ge_u32_e64 v38, v16
	s_xor_b32 s0, exec_lo, s0
; %bb.89:
	v_xor_b32_e32 v13, 0xfffffbff, v0
	;; [unrolled: 41-line block ×6, first 2 shown]
	v_ashrrev_i32_e32 v14, 31, v13
	v_add_co_u32 v13, vcc_lo, v19, v13
	v_add_co_ci_u32_e64 v14, null, v20, v14, vcc_lo
; %bb.122:
	s_andn2_saveexec_b32 s0, s0
; %bb.123:
	v_add_co_u32 v13, vcc_lo, v15, v30
	v_add_co_ci_u32_e64 v14, null, 0, v17, vcc_lo
; %bb.124:
	s_or_b32 exec_lo, exec_lo, s0
	s_mov_b32 s0, -1
	s_branch .LBB365_205
.LBB365_125:
	s_mov_b32 s0, 0
                                        ; implicit-def: $vgpr13_vgpr14
	s_cbranch_execz .LBB365_205
; %bb.126:
	s_add_u32 s1, s16, s26
	s_addc_u32 s2, s17, 0
	s_sub_u32 s1, s18, s1
	s_subb_u32 s2, s19, s2
	v_add_co_u32 v13, s1, s1, v16
	v_add_co_ci_u32_e64 v14, null, s2, 0, s1
	s_mov_b32 s1, exec_lo
	v_add_co_u32 v19, vcc_lo, v13, v15
	v_add_co_ci_u32_e64 v20, null, v14, v17, vcc_lo
	v_cmpx_gt_u32_e64 s25, v0
	s_cbranch_execz .LBB365_162
; %bb.127:
	s_mov_b32 s2, exec_lo
                                        ; implicit-def: $vgpr13_vgpr14
	v_cmpx_ge_u32_e64 v0, v16
	s_xor_b32 s2, exec_lo, s2
; %bb.128:
	v_not_b32_e32 v13, v0
	v_ashrrev_i32_e32 v14, 31, v13
	v_add_co_u32 v13, vcc_lo, v19, v13
	v_add_co_ci_u32_e64 v14, null, v20, v14, vcc_lo
; %bb.129:
	s_andn2_saveexec_b32 s2, s2
; %bb.130:
	v_add_co_u32 v13, vcc_lo, v15, v0
	v_add_co_ci_u32_e64 v14, null, 0, v17, vcc_lo
; %bb.131:
	s_or_b32 exec_lo, exec_lo, s2
	v_lshlrev_b64 v[13:14], 2, v[13:14]
	v_add_co_u32 v13, vcc_lo, s14, v13
	v_add_co_ci_u32_e64 v14, null, s15, v14, vcc_lo
	s_waitcnt lgkmcnt(6)
	global_store_dword v[13:14], v11, off
	s_or_b32 exec_lo, exec_lo, s1
	s_mov_b32 s1, exec_lo
	v_cmpx_gt_u32_e64 s25, v41
	s_cbranch_execnz .LBB365_163
.LBB365_132:
	s_or_b32 exec_lo, exec_lo, s1
	s_mov_b32 s1, exec_lo
	v_cmpx_gt_u32_e64 s25, v40
	s_cbranch_execz .LBB365_168
.LBB365_133:
	s_mov_b32 s2, exec_lo
                                        ; implicit-def: $vgpr11_vgpr12
	v_cmpx_ge_u32_e64 v40, v16
	s_xor_b32 s2, exec_lo, s2
	s_cbranch_execz .LBB365_135
; %bb.134:
	s_waitcnt lgkmcnt(6)
	v_xor_b32_e32 v11, 0xfffffdff, v0
                                        ; implicit-def: $vgpr40
	v_ashrrev_i32_e32 v12, 31, v11
	v_add_co_u32 v11, vcc_lo, v19, v11
	v_add_co_ci_u32_e64 v12, null, v20, v12, vcc_lo
.LBB365_135:
	s_andn2_saveexec_b32 s2, s2
	s_cbranch_execz .LBB365_137
; %bb.136:
	s_waitcnt lgkmcnt(6)
	v_add_co_u32 v11, vcc_lo, v15, v40
	v_add_co_ci_u32_e64 v12, null, 0, v17, vcc_lo
.LBB365_137:
	s_or_b32 exec_lo, exec_lo, s2
	s_waitcnt lgkmcnt(6)
	v_lshlrev_b64 v[11:12], 2, v[11:12]
	v_add_co_u32 v11, vcc_lo, s14, v11
	v_add_co_ci_u32_e64 v12, null, s15, v12, vcc_lo
	s_waitcnt lgkmcnt(5)
	global_store_dword v[11:12], v9, off
	s_or_b32 exec_lo, exec_lo, s1
	s_mov_b32 s1, exec_lo
	v_cmpx_gt_u32_e64 s25, v39
	s_cbranch_execnz .LBB365_169
.LBB365_138:
	s_or_b32 exec_lo, exec_lo, s1
	s_mov_b32 s1, exec_lo
	v_cmpx_gt_u32_e64 s25, v38
	s_cbranch_execz .LBB365_174
.LBB365_139:
	s_mov_b32 s2, exec_lo
                                        ; implicit-def: $vgpr9_vgpr10
	v_cmpx_ge_u32_e64 v38, v16
	s_xor_b32 s2, exec_lo, s2
	s_cbranch_execz .LBB365_141
; %bb.140:
	s_waitcnt lgkmcnt(5)
	v_xor_b32_e32 v9, 0xfffffbff, v0
                                        ; implicit-def: $vgpr38
	v_ashrrev_i32_e32 v10, 31, v9
	v_add_co_u32 v9, vcc_lo, v19, v9
	v_add_co_ci_u32_e64 v10, null, v20, v10, vcc_lo
.LBB365_141:
	s_andn2_saveexec_b32 s2, s2
	s_cbranch_execz .LBB365_143
; %bb.142:
	s_waitcnt lgkmcnt(5)
	v_add_co_u32 v9, vcc_lo, v15, v38
	v_add_co_ci_u32_e64 v10, null, 0, v17, vcc_lo
.LBB365_143:
	s_or_b32 exec_lo, exec_lo, s2
	s_waitcnt lgkmcnt(5)
	v_lshlrev_b64 v[9:10], 2, v[9:10]
	v_add_co_u32 v9, vcc_lo, s14, v9
	v_add_co_ci_u32_e64 v10, null, s15, v10, vcc_lo
	s_waitcnt lgkmcnt(4)
	global_store_dword v[9:10], v7, off
	s_or_b32 exec_lo, exec_lo, s1
	s_mov_b32 s1, exec_lo
	v_cmpx_gt_u32_e64 s25, v37
	s_cbranch_execnz .LBB365_175
.LBB365_144:
	s_or_b32 exec_lo, exec_lo, s1
	s_mov_b32 s1, exec_lo
	v_cmpx_gt_u32_e64 s25, v36
	s_cbranch_execz .LBB365_180
.LBB365_145:
	s_mov_b32 s2, exec_lo
                                        ; implicit-def: $vgpr7_vgpr8
	v_cmpx_ge_u32_e64 v36, v16
	s_xor_b32 s2, exec_lo, s2
	s_cbranch_execz .LBB365_147
; %bb.146:
	s_waitcnt lgkmcnt(4)
	v_xor_b32_e32 v7, 0xfffff9ff, v0
                                        ; implicit-def: $vgpr36
	v_ashrrev_i32_e32 v8, 31, v7
	v_add_co_u32 v7, vcc_lo, v19, v7
	v_add_co_ci_u32_e64 v8, null, v20, v8, vcc_lo
.LBB365_147:
	s_andn2_saveexec_b32 s2, s2
	s_cbranch_execz .LBB365_149
; %bb.148:
	s_waitcnt lgkmcnt(4)
	v_add_co_u32 v7, vcc_lo, v15, v36
	v_add_co_ci_u32_e64 v8, null, 0, v17, vcc_lo
.LBB365_149:
	s_or_b32 exec_lo, exec_lo, s2
	s_waitcnt lgkmcnt(4)
	v_lshlrev_b64 v[7:8], 2, v[7:8]
	v_add_co_u32 v7, vcc_lo, s14, v7
	v_add_co_ci_u32_e64 v8, null, s15, v8, vcc_lo
	s_waitcnt lgkmcnt(3)
	global_store_dword v[7:8], v5, off
	s_or_b32 exec_lo, exec_lo, s1
	s_mov_b32 s1, exec_lo
	v_cmpx_gt_u32_e64 s25, v35
	s_cbranch_execnz .LBB365_181
.LBB365_150:
	s_or_b32 exec_lo, exec_lo, s1
	s_mov_b32 s1, exec_lo
	v_cmpx_gt_u32_e64 s25, v34
	s_cbranch_execz .LBB365_186
.LBB365_151:
	s_mov_b32 s2, exec_lo
                                        ; implicit-def: $vgpr5_vgpr6
	v_cmpx_ge_u32_e64 v34, v16
	s_xor_b32 s2, exec_lo, s2
	s_cbranch_execz .LBB365_153
; %bb.152:
	s_waitcnt lgkmcnt(3)
	v_xor_b32_e32 v5, 0xfffff7ff, v0
                                        ; implicit-def: $vgpr34
	v_ashrrev_i32_e32 v6, 31, v5
	v_add_co_u32 v5, vcc_lo, v19, v5
	v_add_co_ci_u32_e64 v6, null, v20, v6, vcc_lo
.LBB365_153:
	s_andn2_saveexec_b32 s2, s2
	s_cbranch_execz .LBB365_155
; %bb.154:
	s_waitcnt lgkmcnt(3)
	v_add_co_u32 v5, vcc_lo, v15, v34
	v_add_co_ci_u32_e64 v6, null, 0, v17, vcc_lo
.LBB365_155:
	s_or_b32 exec_lo, exec_lo, s2
	s_waitcnt lgkmcnt(3)
	v_lshlrev_b64 v[5:6], 2, v[5:6]
	v_add_co_u32 v5, vcc_lo, s14, v5
	v_add_co_ci_u32_e64 v6, null, s15, v6, vcc_lo
	s_waitcnt lgkmcnt(2)
	global_store_dword v[5:6], v3, off
	s_or_b32 exec_lo, exec_lo, s1
	s_mov_b32 s1, exec_lo
	v_cmpx_gt_u32_e64 s25, v33
	s_cbranch_execnz .LBB365_187
.LBB365_156:
	s_or_b32 exec_lo, exec_lo, s1
	s_mov_b32 s1, exec_lo
	v_cmpx_gt_u32_e64 s25, v32
	s_cbranch_execz .LBB365_192
.LBB365_157:
	s_mov_b32 s2, exec_lo
                                        ; implicit-def: $vgpr3_vgpr4
	v_cmpx_ge_u32_e64 v32, v16
	s_xor_b32 s2, exec_lo, s2
	s_cbranch_execz .LBB365_159
; %bb.158:
	s_waitcnt lgkmcnt(2)
	v_xor_b32_e32 v3, 0xfffff5ff, v0
                                        ; implicit-def: $vgpr32
	v_ashrrev_i32_e32 v4, 31, v3
	v_add_co_u32 v3, vcc_lo, v19, v3
	v_add_co_ci_u32_e64 v4, null, v20, v4, vcc_lo
.LBB365_159:
	s_andn2_saveexec_b32 s2, s2
	s_cbranch_execz .LBB365_161
; %bb.160:
	s_waitcnt lgkmcnt(2)
	v_add_co_u32 v3, vcc_lo, v15, v32
	v_add_co_ci_u32_e64 v4, null, 0, v17, vcc_lo
.LBB365_161:
	s_or_b32 exec_lo, exec_lo, s2
	s_waitcnt lgkmcnt(2)
	v_lshlrev_b64 v[3:4], 2, v[3:4]
	v_add_co_u32 v3, vcc_lo, s14, v3
	v_add_co_ci_u32_e64 v4, null, s15, v4, vcc_lo
	s_waitcnt lgkmcnt(1)
	global_store_dword v[3:4], v1, off
	s_or_b32 exec_lo, exec_lo, s1
	s_mov_b32 s1, exec_lo
	v_cmpx_gt_u32_e64 s25, v31
	s_cbranch_execz .LBB365_198
	s_branch .LBB365_193
.LBB365_162:
	s_or_b32 exec_lo, exec_lo, s1
	s_mov_b32 s1, exec_lo
	v_cmpx_gt_u32_e64 s25, v41
	s_cbranch_execz .LBB365_132
.LBB365_163:
	s_mov_b32 s2, exec_lo
                                        ; implicit-def: $vgpr13_vgpr14
	v_cmpx_ge_u32_e64 v41, v16
	s_xor_b32 s2, exec_lo, s2
	s_cbranch_execz .LBB365_165
; %bb.164:
	s_waitcnt lgkmcnt(6)
	v_xor_b32_e32 v11, 0xfffffeff, v0
                                        ; implicit-def: $vgpr41
	v_ashrrev_i32_e32 v14, 31, v11
	v_add_co_u32 v13, vcc_lo, v19, v11
	v_add_co_ci_u32_e64 v14, null, v20, v14, vcc_lo
.LBB365_165:
	s_andn2_saveexec_b32 s2, s2
; %bb.166:
	v_add_co_u32 v13, vcc_lo, v15, v41
	v_add_co_ci_u32_e64 v14, null, 0, v17, vcc_lo
; %bb.167:
	s_or_b32 exec_lo, exec_lo, s2
	v_lshlrev_b64 v[13:14], 2, v[13:14]
	v_add_co_u32 v13, vcc_lo, s14, v13
	v_add_co_ci_u32_e64 v14, null, s15, v14, vcc_lo
	s_waitcnt lgkmcnt(6)
	global_store_dword v[13:14], v12, off
	s_or_b32 exec_lo, exec_lo, s1
	s_mov_b32 s1, exec_lo
	v_cmpx_gt_u32_e64 s25, v40
	s_cbranch_execnz .LBB365_133
.LBB365_168:
	s_or_b32 exec_lo, exec_lo, s1
	s_mov_b32 s1, exec_lo
	v_cmpx_gt_u32_e64 s25, v39
	s_cbranch_execz .LBB365_138
.LBB365_169:
	s_mov_b32 s2, exec_lo
                                        ; implicit-def: $vgpr11_vgpr12
	v_cmpx_ge_u32_e64 v39, v16
	s_xor_b32 s2, exec_lo, s2
	s_cbranch_execz .LBB365_171
; %bb.170:
	s_waitcnt lgkmcnt(5)
	v_xor_b32_e32 v9, 0xfffffcff, v0
                                        ; implicit-def: $vgpr39
	v_ashrrev_i32_e32 v12, 31, v9
	v_add_co_u32 v11, vcc_lo, v19, v9
	v_add_co_ci_u32_e64 v12, null, v20, v12, vcc_lo
.LBB365_171:
	s_andn2_saveexec_b32 s2, s2
	s_cbranch_execz .LBB365_173
; %bb.172:
	s_waitcnt lgkmcnt(6)
	v_add_co_u32 v11, vcc_lo, v15, v39
	v_add_co_ci_u32_e64 v12, null, 0, v17, vcc_lo
.LBB365_173:
	s_or_b32 exec_lo, exec_lo, s2
	s_waitcnt lgkmcnt(6)
	v_lshlrev_b64 v[11:12], 2, v[11:12]
	v_add_co_u32 v11, vcc_lo, s14, v11
	v_add_co_ci_u32_e64 v12, null, s15, v12, vcc_lo
	s_waitcnt lgkmcnt(5)
	global_store_dword v[11:12], v10, off
	s_or_b32 exec_lo, exec_lo, s1
	s_mov_b32 s1, exec_lo
	v_cmpx_gt_u32_e64 s25, v38
	s_cbranch_execnz .LBB365_139
.LBB365_174:
	s_or_b32 exec_lo, exec_lo, s1
	s_mov_b32 s1, exec_lo
	v_cmpx_gt_u32_e64 s25, v37
	s_cbranch_execz .LBB365_144
.LBB365_175:
	s_mov_b32 s2, exec_lo
                                        ; implicit-def: $vgpr9_vgpr10
	v_cmpx_ge_u32_e64 v37, v16
	s_xor_b32 s2, exec_lo, s2
	s_cbranch_execz .LBB365_177
; %bb.176:
	s_waitcnt lgkmcnt(4)
	v_xor_b32_e32 v7, 0xfffffaff, v0
                                        ; implicit-def: $vgpr37
	v_ashrrev_i32_e32 v10, 31, v7
	v_add_co_u32 v9, vcc_lo, v19, v7
	v_add_co_ci_u32_e64 v10, null, v20, v10, vcc_lo
.LBB365_177:
	s_andn2_saveexec_b32 s2, s2
	s_cbranch_execz .LBB365_179
; %bb.178:
	s_waitcnt lgkmcnt(5)
	v_add_co_u32 v9, vcc_lo, v15, v37
	v_add_co_ci_u32_e64 v10, null, 0, v17, vcc_lo
.LBB365_179:
	s_or_b32 exec_lo, exec_lo, s2
	s_waitcnt lgkmcnt(5)
	v_lshlrev_b64 v[9:10], 2, v[9:10]
	v_add_co_u32 v9, vcc_lo, s14, v9
	v_add_co_ci_u32_e64 v10, null, s15, v10, vcc_lo
	s_waitcnt lgkmcnt(4)
	global_store_dword v[9:10], v8, off
	s_or_b32 exec_lo, exec_lo, s1
	s_mov_b32 s1, exec_lo
	v_cmpx_gt_u32_e64 s25, v36
	s_cbranch_execnz .LBB365_145
.LBB365_180:
	s_or_b32 exec_lo, exec_lo, s1
	s_mov_b32 s1, exec_lo
	v_cmpx_gt_u32_e64 s25, v35
	s_cbranch_execz .LBB365_150
.LBB365_181:
	s_mov_b32 s2, exec_lo
                                        ; implicit-def: $vgpr7_vgpr8
	v_cmpx_ge_u32_e64 v35, v16
	s_xor_b32 s2, exec_lo, s2
	s_cbranch_execz .LBB365_183
; %bb.182:
	s_waitcnt lgkmcnt(3)
	v_xor_b32_e32 v5, 0xfffff8ff, v0
                                        ; implicit-def: $vgpr35
	v_ashrrev_i32_e32 v8, 31, v5
	v_add_co_u32 v7, vcc_lo, v19, v5
	v_add_co_ci_u32_e64 v8, null, v20, v8, vcc_lo
.LBB365_183:
	s_andn2_saveexec_b32 s2, s2
	s_cbranch_execz .LBB365_185
; %bb.184:
	s_waitcnt lgkmcnt(4)
	v_add_co_u32 v7, vcc_lo, v15, v35
	v_add_co_ci_u32_e64 v8, null, 0, v17, vcc_lo
.LBB365_185:
	s_or_b32 exec_lo, exec_lo, s2
	s_waitcnt lgkmcnt(4)
	v_lshlrev_b64 v[7:8], 2, v[7:8]
	v_add_co_u32 v7, vcc_lo, s14, v7
	v_add_co_ci_u32_e64 v8, null, s15, v8, vcc_lo
	s_waitcnt lgkmcnt(3)
	global_store_dword v[7:8], v6, off
	s_or_b32 exec_lo, exec_lo, s1
	s_mov_b32 s1, exec_lo
	v_cmpx_gt_u32_e64 s25, v34
	s_cbranch_execnz .LBB365_151
.LBB365_186:
	s_or_b32 exec_lo, exec_lo, s1
	s_mov_b32 s1, exec_lo
	v_cmpx_gt_u32_e64 s25, v33
	s_cbranch_execz .LBB365_156
.LBB365_187:
	s_mov_b32 s2, exec_lo
                                        ; implicit-def: $vgpr5_vgpr6
	v_cmpx_ge_u32_e64 v33, v16
	s_xor_b32 s2, exec_lo, s2
	s_cbranch_execz .LBB365_189
; %bb.188:
	s_waitcnt lgkmcnt(2)
	v_xor_b32_e32 v3, 0xfffff6ff, v0
                                        ; implicit-def: $vgpr33
	v_ashrrev_i32_e32 v6, 31, v3
	v_add_co_u32 v5, vcc_lo, v19, v3
	v_add_co_ci_u32_e64 v6, null, v20, v6, vcc_lo
.LBB365_189:
	s_andn2_saveexec_b32 s2, s2
	s_cbranch_execz .LBB365_191
; %bb.190:
	s_waitcnt lgkmcnt(3)
	v_add_co_u32 v5, vcc_lo, v15, v33
	v_add_co_ci_u32_e64 v6, null, 0, v17, vcc_lo
.LBB365_191:
	s_or_b32 exec_lo, exec_lo, s2
	s_waitcnt lgkmcnt(3)
	v_lshlrev_b64 v[5:6], 2, v[5:6]
	v_add_co_u32 v5, vcc_lo, s14, v5
	v_add_co_ci_u32_e64 v6, null, s15, v6, vcc_lo
	s_waitcnt lgkmcnt(2)
	global_store_dword v[5:6], v4, off
	s_or_b32 exec_lo, exec_lo, s1
	s_mov_b32 s1, exec_lo
	v_cmpx_gt_u32_e64 s25, v32
	s_cbranch_execnz .LBB365_157
.LBB365_192:
	s_or_b32 exec_lo, exec_lo, s1
	s_mov_b32 s1, exec_lo
	v_cmpx_gt_u32_e64 s25, v31
	s_cbranch_execz .LBB365_198
.LBB365_193:
	s_mov_b32 s2, exec_lo
                                        ; implicit-def: $vgpr3_vgpr4
	v_cmpx_ge_u32_e64 v31, v16
	s_xor_b32 s2, exec_lo, s2
	s_cbranch_execz .LBB365_195
; %bb.194:
	s_waitcnt lgkmcnt(1)
	v_xor_b32_e32 v1, 0xfffff4ff, v0
                                        ; implicit-def: $vgpr31
	v_ashrrev_i32_e32 v4, 31, v1
	v_add_co_u32 v3, vcc_lo, v19, v1
	v_add_co_ci_u32_e64 v4, null, v20, v4, vcc_lo
.LBB365_195:
	s_andn2_saveexec_b32 s2, s2
	s_cbranch_execz .LBB365_197
; %bb.196:
	s_waitcnt lgkmcnt(2)
	v_add_co_u32 v3, vcc_lo, v15, v31
	v_add_co_ci_u32_e64 v4, null, 0, v17, vcc_lo
.LBB365_197:
	s_or_b32 exec_lo, exec_lo, s2
	s_waitcnt lgkmcnt(2)
	v_lshlrev_b64 v[3:4], 2, v[3:4]
	v_add_co_u32 v3, vcc_lo, s14, v3
	v_add_co_ci_u32_e64 v4, null, s15, v4, vcc_lo
	s_waitcnt lgkmcnt(1)
	global_store_dword v[3:4], v2, off
.LBB365_198:
	s_or_b32 exec_lo, exec_lo, s1
	s_mov_b32 s1, exec_lo
                                        ; implicit-def: $vgpr13_vgpr14
	v_cmpx_gt_u32_e64 s25, v30
	s_cbranch_execz .LBB365_204
; %bb.199:
	s_mov_b32 s2, exec_lo
                                        ; implicit-def: $vgpr13_vgpr14
	v_cmpx_ge_u32_e64 v30, v16
	s_xor_b32 s2, exec_lo, s2
	s_cbranch_execz .LBB365_201
; %bb.200:
	s_waitcnt lgkmcnt(1)
	v_xor_b32_e32 v1, 0xfffff3ff, v0
                                        ; implicit-def: $vgpr30
	v_ashrrev_i32_e32 v2, 31, v1
	v_add_co_u32 v13, vcc_lo, v19, v1
	v_add_co_ci_u32_e64 v14, null, v20, v2, vcc_lo
.LBB365_201:
	s_andn2_saveexec_b32 s2, s2
; %bb.202:
	v_add_co_u32 v13, vcc_lo, v15, v30
	v_add_co_ci_u32_e64 v14, null, 0, v17, vcc_lo
; %bb.203:
	s_or_b32 exec_lo, exec_lo, s2
	s_or_b32 s0, s0, exec_lo
.LBB365_204:
	s_or_b32 exec_lo, exec_lo, s1
.LBB365_205:
	s_and_saveexec_b32 s1, s0
	s_cbranch_execz .LBB365_207
; %bb.206:
	s_waitcnt lgkmcnt(1)
	v_lshlrev_b64 v[1:2], 2, v[13:14]
	v_add_co_u32 v1, vcc_lo, s14, v1
	v_add_co_ci_u32_e64 v2, null, s15, v2, vcc_lo
	s_waitcnt lgkmcnt(0)
	global_store_dword v[1:2], v18, off
.LBB365_207:
	s_or_b32 exec_lo, exec_lo, s1
	v_cmp_eq_u32_e32 vcc_lo, 0, v0
	s_and_b32 s0, vcc_lo, s24
	s_and_saveexec_b32 s1, s0
	s_cbranch_execz .LBB365_209
; %bb.208:
	v_add_co_u32 v0, vcc_lo, v15, v16
	s_waitcnt lgkmcnt(1)
	v_mov_b32_e32 v2, 0
	v_add_co_ci_u32_e64 v1, null, 0, v17, vcc_lo
	global_store_dwordx2 v2, v[0:1], s[12:13]
.LBB365_209:
	s_endpgm
	.section	.rodata,"a",@progbits
	.p2align	6, 0x0
	.amdhsa_kernel _ZN7rocprim17ROCPRIM_400000_NS6detail17trampoline_kernelINS0_13select_configILj256ELj13ELNS0_17block_load_methodE3ELS4_3ELS4_3ELNS0_20block_scan_algorithmE0ELj4294967295EEENS1_25partition_config_selectorILNS1_17partition_subalgoE3EjNS0_10empty_typeEbEEZZNS1_14partition_implILS8_3ELb0ES6_jNS0_17counting_iteratorIjlEEPS9_SE_NS0_5tupleIJPjSE_EEENSF_IJSE_SE_EEES9_SG_JZNS1_25segmented_radix_sort_implINS0_14default_configELb0EPKaPaPKlPlN2at6native12_GLOBAL__N_18offset_tEEE10hipError_tPvRmT1_PNSt15iterator_traitsISY_E10value_typeET2_T3_PNSZ_IS14_E10value_typeET4_jRbjT5_S1A_jjP12ihipStream_tbEUljE_EEESV_SW_SX_S14_S18_S1A_T6_T7_T9_mT8_S1C_bDpT10_ENKUlT_T0_E_clISt17integral_constantIbLb0EES1P_EEDaS1K_S1L_EUlS1K_E_NS1_11comp_targetILNS1_3genE8ELNS1_11target_archE1030ELNS1_3gpuE2ELNS1_3repE0EEENS1_30default_config_static_selectorELNS0_4arch9wavefront6targetE0EEEvSY_
		.amdhsa_group_segment_fixed_size 13320
		.amdhsa_private_segment_fixed_size 0
		.amdhsa_kernarg_size 144
		.amdhsa_user_sgpr_count 6
		.amdhsa_user_sgpr_private_segment_buffer 1
		.amdhsa_user_sgpr_dispatch_ptr 0
		.amdhsa_user_sgpr_queue_ptr 0
		.amdhsa_user_sgpr_kernarg_segment_ptr 1
		.amdhsa_user_sgpr_dispatch_id 0
		.amdhsa_user_sgpr_flat_scratch_init 0
		.amdhsa_user_sgpr_private_segment_size 0
		.amdhsa_wavefront_size32 1
		.amdhsa_uses_dynamic_stack 0
		.amdhsa_system_sgpr_private_segment_wavefront_offset 0
		.amdhsa_system_sgpr_workgroup_id_x 1
		.amdhsa_system_sgpr_workgroup_id_y 0
		.amdhsa_system_sgpr_workgroup_id_z 0
		.amdhsa_system_sgpr_workgroup_info 0
		.amdhsa_system_vgpr_workitem_id 0
		.amdhsa_next_free_vgpr 69
		.amdhsa_next_free_sgpr 27
		.amdhsa_reserve_vcc 1
		.amdhsa_reserve_flat_scratch 0
		.amdhsa_float_round_mode_32 0
		.amdhsa_float_round_mode_16_64 0
		.amdhsa_float_denorm_mode_32 3
		.amdhsa_float_denorm_mode_16_64 3
		.amdhsa_dx10_clamp 1
		.amdhsa_ieee_mode 1
		.amdhsa_fp16_overflow 0
		.amdhsa_workgroup_processor_mode 1
		.amdhsa_memory_ordered 1
		.amdhsa_forward_progress 1
		.amdhsa_shared_vgpr_count 0
		.amdhsa_exception_fp_ieee_invalid_op 0
		.amdhsa_exception_fp_denorm_src 0
		.amdhsa_exception_fp_ieee_div_zero 0
		.amdhsa_exception_fp_ieee_overflow 0
		.amdhsa_exception_fp_ieee_underflow 0
		.amdhsa_exception_fp_ieee_inexact 0
		.amdhsa_exception_int_div_zero 0
	.end_amdhsa_kernel
	.section	.text._ZN7rocprim17ROCPRIM_400000_NS6detail17trampoline_kernelINS0_13select_configILj256ELj13ELNS0_17block_load_methodE3ELS4_3ELS4_3ELNS0_20block_scan_algorithmE0ELj4294967295EEENS1_25partition_config_selectorILNS1_17partition_subalgoE3EjNS0_10empty_typeEbEEZZNS1_14partition_implILS8_3ELb0ES6_jNS0_17counting_iteratorIjlEEPS9_SE_NS0_5tupleIJPjSE_EEENSF_IJSE_SE_EEES9_SG_JZNS1_25segmented_radix_sort_implINS0_14default_configELb0EPKaPaPKlPlN2at6native12_GLOBAL__N_18offset_tEEE10hipError_tPvRmT1_PNSt15iterator_traitsISY_E10value_typeET2_T3_PNSZ_IS14_E10value_typeET4_jRbjT5_S1A_jjP12ihipStream_tbEUljE_EEESV_SW_SX_S14_S18_S1A_T6_T7_T9_mT8_S1C_bDpT10_ENKUlT_T0_E_clISt17integral_constantIbLb0EES1P_EEDaS1K_S1L_EUlS1K_E_NS1_11comp_targetILNS1_3genE8ELNS1_11target_archE1030ELNS1_3gpuE2ELNS1_3repE0EEENS1_30default_config_static_selectorELNS0_4arch9wavefront6targetE0EEEvSY_,"axG",@progbits,_ZN7rocprim17ROCPRIM_400000_NS6detail17trampoline_kernelINS0_13select_configILj256ELj13ELNS0_17block_load_methodE3ELS4_3ELS4_3ELNS0_20block_scan_algorithmE0ELj4294967295EEENS1_25partition_config_selectorILNS1_17partition_subalgoE3EjNS0_10empty_typeEbEEZZNS1_14partition_implILS8_3ELb0ES6_jNS0_17counting_iteratorIjlEEPS9_SE_NS0_5tupleIJPjSE_EEENSF_IJSE_SE_EEES9_SG_JZNS1_25segmented_radix_sort_implINS0_14default_configELb0EPKaPaPKlPlN2at6native12_GLOBAL__N_18offset_tEEE10hipError_tPvRmT1_PNSt15iterator_traitsISY_E10value_typeET2_T3_PNSZ_IS14_E10value_typeET4_jRbjT5_S1A_jjP12ihipStream_tbEUljE_EEESV_SW_SX_S14_S18_S1A_T6_T7_T9_mT8_S1C_bDpT10_ENKUlT_T0_E_clISt17integral_constantIbLb0EES1P_EEDaS1K_S1L_EUlS1K_E_NS1_11comp_targetILNS1_3genE8ELNS1_11target_archE1030ELNS1_3gpuE2ELNS1_3repE0EEENS1_30default_config_static_selectorELNS0_4arch9wavefront6targetE0EEEvSY_,comdat
.Lfunc_end365:
	.size	_ZN7rocprim17ROCPRIM_400000_NS6detail17trampoline_kernelINS0_13select_configILj256ELj13ELNS0_17block_load_methodE3ELS4_3ELS4_3ELNS0_20block_scan_algorithmE0ELj4294967295EEENS1_25partition_config_selectorILNS1_17partition_subalgoE3EjNS0_10empty_typeEbEEZZNS1_14partition_implILS8_3ELb0ES6_jNS0_17counting_iteratorIjlEEPS9_SE_NS0_5tupleIJPjSE_EEENSF_IJSE_SE_EEES9_SG_JZNS1_25segmented_radix_sort_implINS0_14default_configELb0EPKaPaPKlPlN2at6native12_GLOBAL__N_18offset_tEEE10hipError_tPvRmT1_PNSt15iterator_traitsISY_E10value_typeET2_T3_PNSZ_IS14_E10value_typeET4_jRbjT5_S1A_jjP12ihipStream_tbEUljE_EEESV_SW_SX_S14_S18_S1A_T6_T7_T9_mT8_S1C_bDpT10_ENKUlT_T0_E_clISt17integral_constantIbLb0EES1P_EEDaS1K_S1L_EUlS1K_E_NS1_11comp_targetILNS1_3genE8ELNS1_11target_archE1030ELNS1_3gpuE2ELNS1_3repE0EEENS1_30default_config_static_selectorELNS0_4arch9wavefront6targetE0EEEvSY_, .Lfunc_end365-_ZN7rocprim17ROCPRIM_400000_NS6detail17trampoline_kernelINS0_13select_configILj256ELj13ELNS0_17block_load_methodE3ELS4_3ELS4_3ELNS0_20block_scan_algorithmE0ELj4294967295EEENS1_25partition_config_selectorILNS1_17partition_subalgoE3EjNS0_10empty_typeEbEEZZNS1_14partition_implILS8_3ELb0ES6_jNS0_17counting_iteratorIjlEEPS9_SE_NS0_5tupleIJPjSE_EEENSF_IJSE_SE_EEES9_SG_JZNS1_25segmented_radix_sort_implINS0_14default_configELb0EPKaPaPKlPlN2at6native12_GLOBAL__N_18offset_tEEE10hipError_tPvRmT1_PNSt15iterator_traitsISY_E10value_typeET2_T3_PNSZ_IS14_E10value_typeET4_jRbjT5_S1A_jjP12ihipStream_tbEUljE_EEESV_SW_SX_S14_S18_S1A_T6_T7_T9_mT8_S1C_bDpT10_ENKUlT_T0_E_clISt17integral_constantIbLb0EES1P_EEDaS1K_S1L_EUlS1K_E_NS1_11comp_targetILNS1_3genE8ELNS1_11target_archE1030ELNS1_3gpuE2ELNS1_3repE0EEENS1_30default_config_static_selectorELNS0_4arch9wavefront6targetE0EEEvSY_
                                        ; -- End function
	.set _ZN7rocprim17ROCPRIM_400000_NS6detail17trampoline_kernelINS0_13select_configILj256ELj13ELNS0_17block_load_methodE3ELS4_3ELS4_3ELNS0_20block_scan_algorithmE0ELj4294967295EEENS1_25partition_config_selectorILNS1_17partition_subalgoE3EjNS0_10empty_typeEbEEZZNS1_14partition_implILS8_3ELb0ES6_jNS0_17counting_iteratorIjlEEPS9_SE_NS0_5tupleIJPjSE_EEENSF_IJSE_SE_EEES9_SG_JZNS1_25segmented_radix_sort_implINS0_14default_configELb0EPKaPaPKlPlN2at6native12_GLOBAL__N_18offset_tEEE10hipError_tPvRmT1_PNSt15iterator_traitsISY_E10value_typeET2_T3_PNSZ_IS14_E10value_typeET4_jRbjT5_S1A_jjP12ihipStream_tbEUljE_EEESV_SW_SX_S14_S18_S1A_T6_T7_T9_mT8_S1C_bDpT10_ENKUlT_T0_E_clISt17integral_constantIbLb0EES1P_EEDaS1K_S1L_EUlS1K_E_NS1_11comp_targetILNS1_3genE8ELNS1_11target_archE1030ELNS1_3gpuE2ELNS1_3repE0EEENS1_30default_config_static_selectorELNS0_4arch9wavefront6targetE0EEEvSY_.num_vgpr, 69
	.set _ZN7rocprim17ROCPRIM_400000_NS6detail17trampoline_kernelINS0_13select_configILj256ELj13ELNS0_17block_load_methodE3ELS4_3ELS4_3ELNS0_20block_scan_algorithmE0ELj4294967295EEENS1_25partition_config_selectorILNS1_17partition_subalgoE3EjNS0_10empty_typeEbEEZZNS1_14partition_implILS8_3ELb0ES6_jNS0_17counting_iteratorIjlEEPS9_SE_NS0_5tupleIJPjSE_EEENSF_IJSE_SE_EEES9_SG_JZNS1_25segmented_radix_sort_implINS0_14default_configELb0EPKaPaPKlPlN2at6native12_GLOBAL__N_18offset_tEEE10hipError_tPvRmT1_PNSt15iterator_traitsISY_E10value_typeET2_T3_PNSZ_IS14_E10value_typeET4_jRbjT5_S1A_jjP12ihipStream_tbEUljE_EEESV_SW_SX_S14_S18_S1A_T6_T7_T9_mT8_S1C_bDpT10_ENKUlT_T0_E_clISt17integral_constantIbLb0EES1P_EEDaS1K_S1L_EUlS1K_E_NS1_11comp_targetILNS1_3genE8ELNS1_11target_archE1030ELNS1_3gpuE2ELNS1_3repE0EEENS1_30default_config_static_selectorELNS0_4arch9wavefront6targetE0EEEvSY_.num_agpr, 0
	.set _ZN7rocprim17ROCPRIM_400000_NS6detail17trampoline_kernelINS0_13select_configILj256ELj13ELNS0_17block_load_methodE3ELS4_3ELS4_3ELNS0_20block_scan_algorithmE0ELj4294967295EEENS1_25partition_config_selectorILNS1_17partition_subalgoE3EjNS0_10empty_typeEbEEZZNS1_14partition_implILS8_3ELb0ES6_jNS0_17counting_iteratorIjlEEPS9_SE_NS0_5tupleIJPjSE_EEENSF_IJSE_SE_EEES9_SG_JZNS1_25segmented_radix_sort_implINS0_14default_configELb0EPKaPaPKlPlN2at6native12_GLOBAL__N_18offset_tEEE10hipError_tPvRmT1_PNSt15iterator_traitsISY_E10value_typeET2_T3_PNSZ_IS14_E10value_typeET4_jRbjT5_S1A_jjP12ihipStream_tbEUljE_EEESV_SW_SX_S14_S18_S1A_T6_T7_T9_mT8_S1C_bDpT10_ENKUlT_T0_E_clISt17integral_constantIbLb0EES1P_EEDaS1K_S1L_EUlS1K_E_NS1_11comp_targetILNS1_3genE8ELNS1_11target_archE1030ELNS1_3gpuE2ELNS1_3repE0EEENS1_30default_config_static_selectorELNS0_4arch9wavefront6targetE0EEEvSY_.numbered_sgpr, 27
	.set _ZN7rocprim17ROCPRIM_400000_NS6detail17trampoline_kernelINS0_13select_configILj256ELj13ELNS0_17block_load_methodE3ELS4_3ELS4_3ELNS0_20block_scan_algorithmE0ELj4294967295EEENS1_25partition_config_selectorILNS1_17partition_subalgoE3EjNS0_10empty_typeEbEEZZNS1_14partition_implILS8_3ELb0ES6_jNS0_17counting_iteratorIjlEEPS9_SE_NS0_5tupleIJPjSE_EEENSF_IJSE_SE_EEES9_SG_JZNS1_25segmented_radix_sort_implINS0_14default_configELb0EPKaPaPKlPlN2at6native12_GLOBAL__N_18offset_tEEE10hipError_tPvRmT1_PNSt15iterator_traitsISY_E10value_typeET2_T3_PNSZ_IS14_E10value_typeET4_jRbjT5_S1A_jjP12ihipStream_tbEUljE_EEESV_SW_SX_S14_S18_S1A_T6_T7_T9_mT8_S1C_bDpT10_ENKUlT_T0_E_clISt17integral_constantIbLb0EES1P_EEDaS1K_S1L_EUlS1K_E_NS1_11comp_targetILNS1_3genE8ELNS1_11target_archE1030ELNS1_3gpuE2ELNS1_3repE0EEENS1_30default_config_static_selectorELNS0_4arch9wavefront6targetE0EEEvSY_.num_named_barrier, 0
	.set _ZN7rocprim17ROCPRIM_400000_NS6detail17trampoline_kernelINS0_13select_configILj256ELj13ELNS0_17block_load_methodE3ELS4_3ELS4_3ELNS0_20block_scan_algorithmE0ELj4294967295EEENS1_25partition_config_selectorILNS1_17partition_subalgoE3EjNS0_10empty_typeEbEEZZNS1_14partition_implILS8_3ELb0ES6_jNS0_17counting_iteratorIjlEEPS9_SE_NS0_5tupleIJPjSE_EEENSF_IJSE_SE_EEES9_SG_JZNS1_25segmented_radix_sort_implINS0_14default_configELb0EPKaPaPKlPlN2at6native12_GLOBAL__N_18offset_tEEE10hipError_tPvRmT1_PNSt15iterator_traitsISY_E10value_typeET2_T3_PNSZ_IS14_E10value_typeET4_jRbjT5_S1A_jjP12ihipStream_tbEUljE_EEESV_SW_SX_S14_S18_S1A_T6_T7_T9_mT8_S1C_bDpT10_ENKUlT_T0_E_clISt17integral_constantIbLb0EES1P_EEDaS1K_S1L_EUlS1K_E_NS1_11comp_targetILNS1_3genE8ELNS1_11target_archE1030ELNS1_3gpuE2ELNS1_3repE0EEENS1_30default_config_static_selectorELNS0_4arch9wavefront6targetE0EEEvSY_.private_seg_size, 0
	.set _ZN7rocprim17ROCPRIM_400000_NS6detail17trampoline_kernelINS0_13select_configILj256ELj13ELNS0_17block_load_methodE3ELS4_3ELS4_3ELNS0_20block_scan_algorithmE0ELj4294967295EEENS1_25partition_config_selectorILNS1_17partition_subalgoE3EjNS0_10empty_typeEbEEZZNS1_14partition_implILS8_3ELb0ES6_jNS0_17counting_iteratorIjlEEPS9_SE_NS0_5tupleIJPjSE_EEENSF_IJSE_SE_EEES9_SG_JZNS1_25segmented_radix_sort_implINS0_14default_configELb0EPKaPaPKlPlN2at6native12_GLOBAL__N_18offset_tEEE10hipError_tPvRmT1_PNSt15iterator_traitsISY_E10value_typeET2_T3_PNSZ_IS14_E10value_typeET4_jRbjT5_S1A_jjP12ihipStream_tbEUljE_EEESV_SW_SX_S14_S18_S1A_T6_T7_T9_mT8_S1C_bDpT10_ENKUlT_T0_E_clISt17integral_constantIbLb0EES1P_EEDaS1K_S1L_EUlS1K_E_NS1_11comp_targetILNS1_3genE8ELNS1_11target_archE1030ELNS1_3gpuE2ELNS1_3repE0EEENS1_30default_config_static_selectorELNS0_4arch9wavefront6targetE0EEEvSY_.uses_vcc, 1
	.set _ZN7rocprim17ROCPRIM_400000_NS6detail17trampoline_kernelINS0_13select_configILj256ELj13ELNS0_17block_load_methodE3ELS4_3ELS4_3ELNS0_20block_scan_algorithmE0ELj4294967295EEENS1_25partition_config_selectorILNS1_17partition_subalgoE3EjNS0_10empty_typeEbEEZZNS1_14partition_implILS8_3ELb0ES6_jNS0_17counting_iteratorIjlEEPS9_SE_NS0_5tupleIJPjSE_EEENSF_IJSE_SE_EEES9_SG_JZNS1_25segmented_radix_sort_implINS0_14default_configELb0EPKaPaPKlPlN2at6native12_GLOBAL__N_18offset_tEEE10hipError_tPvRmT1_PNSt15iterator_traitsISY_E10value_typeET2_T3_PNSZ_IS14_E10value_typeET4_jRbjT5_S1A_jjP12ihipStream_tbEUljE_EEESV_SW_SX_S14_S18_S1A_T6_T7_T9_mT8_S1C_bDpT10_ENKUlT_T0_E_clISt17integral_constantIbLb0EES1P_EEDaS1K_S1L_EUlS1K_E_NS1_11comp_targetILNS1_3genE8ELNS1_11target_archE1030ELNS1_3gpuE2ELNS1_3repE0EEENS1_30default_config_static_selectorELNS0_4arch9wavefront6targetE0EEEvSY_.uses_flat_scratch, 0
	.set _ZN7rocprim17ROCPRIM_400000_NS6detail17trampoline_kernelINS0_13select_configILj256ELj13ELNS0_17block_load_methodE3ELS4_3ELS4_3ELNS0_20block_scan_algorithmE0ELj4294967295EEENS1_25partition_config_selectorILNS1_17partition_subalgoE3EjNS0_10empty_typeEbEEZZNS1_14partition_implILS8_3ELb0ES6_jNS0_17counting_iteratorIjlEEPS9_SE_NS0_5tupleIJPjSE_EEENSF_IJSE_SE_EEES9_SG_JZNS1_25segmented_radix_sort_implINS0_14default_configELb0EPKaPaPKlPlN2at6native12_GLOBAL__N_18offset_tEEE10hipError_tPvRmT1_PNSt15iterator_traitsISY_E10value_typeET2_T3_PNSZ_IS14_E10value_typeET4_jRbjT5_S1A_jjP12ihipStream_tbEUljE_EEESV_SW_SX_S14_S18_S1A_T6_T7_T9_mT8_S1C_bDpT10_ENKUlT_T0_E_clISt17integral_constantIbLb0EES1P_EEDaS1K_S1L_EUlS1K_E_NS1_11comp_targetILNS1_3genE8ELNS1_11target_archE1030ELNS1_3gpuE2ELNS1_3repE0EEENS1_30default_config_static_selectorELNS0_4arch9wavefront6targetE0EEEvSY_.has_dyn_sized_stack, 0
	.set _ZN7rocprim17ROCPRIM_400000_NS6detail17trampoline_kernelINS0_13select_configILj256ELj13ELNS0_17block_load_methodE3ELS4_3ELS4_3ELNS0_20block_scan_algorithmE0ELj4294967295EEENS1_25partition_config_selectorILNS1_17partition_subalgoE3EjNS0_10empty_typeEbEEZZNS1_14partition_implILS8_3ELb0ES6_jNS0_17counting_iteratorIjlEEPS9_SE_NS0_5tupleIJPjSE_EEENSF_IJSE_SE_EEES9_SG_JZNS1_25segmented_radix_sort_implINS0_14default_configELb0EPKaPaPKlPlN2at6native12_GLOBAL__N_18offset_tEEE10hipError_tPvRmT1_PNSt15iterator_traitsISY_E10value_typeET2_T3_PNSZ_IS14_E10value_typeET4_jRbjT5_S1A_jjP12ihipStream_tbEUljE_EEESV_SW_SX_S14_S18_S1A_T6_T7_T9_mT8_S1C_bDpT10_ENKUlT_T0_E_clISt17integral_constantIbLb0EES1P_EEDaS1K_S1L_EUlS1K_E_NS1_11comp_targetILNS1_3genE8ELNS1_11target_archE1030ELNS1_3gpuE2ELNS1_3repE0EEENS1_30default_config_static_selectorELNS0_4arch9wavefront6targetE0EEEvSY_.has_recursion, 0
	.set _ZN7rocprim17ROCPRIM_400000_NS6detail17trampoline_kernelINS0_13select_configILj256ELj13ELNS0_17block_load_methodE3ELS4_3ELS4_3ELNS0_20block_scan_algorithmE0ELj4294967295EEENS1_25partition_config_selectorILNS1_17partition_subalgoE3EjNS0_10empty_typeEbEEZZNS1_14partition_implILS8_3ELb0ES6_jNS0_17counting_iteratorIjlEEPS9_SE_NS0_5tupleIJPjSE_EEENSF_IJSE_SE_EEES9_SG_JZNS1_25segmented_radix_sort_implINS0_14default_configELb0EPKaPaPKlPlN2at6native12_GLOBAL__N_18offset_tEEE10hipError_tPvRmT1_PNSt15iterator_traitsISY_E10value_typeET2_T3_PNSZ_IS14_E10value_typeET4_jRbjT5_S1A_jjP12ihipStream_tbEUljE_EEESV_SW_SX_S14_S18_S1A_T6_T7_T9_mT8_S1C_bDpT10_ENKUlT_T0_E_clISt17integral_constantIbLb0EES1P_EEDaS1K_S1L_EUlS1K_E_NS1_11comp_targetILNS1_3genE8ELNS1_11target_archE1030ELNS1_3gpuE2ELNS1_3repE0EEENS1_30default_config_static_selectorELNS0_4arch9wavefront6targetE0EEEvSY_.has_indirect_call, 0
	.section	.AMDGPU.csdata,"",@progbits
; Kernel info:
; codeLenInByte = 8564
; TotalNumSgprs: 29
; NumVgprs: 69
; ScratchSize: 0
; MemoryBound: 0
; FloatMode: 240
; IeeeMode: 1
; LDSByteSize: 13320 bytes/workgroup (compile time only)
; SGPRBlocks: 0
; VGPRBlocks: 8
; NumSGPRsForWavesPerEU: 29
; NumVGPRsForWavesPerEU: 69
; Occupancy: 12
; WaveLimiterHint : 0
; COMPUTE_PGM_RSRC2:SCRATCH_EN: 0
; COMPUTE_PGM_RSRC2:USER_SGPR: 6
; COMPUTE_PGM_RSRC2:TRAP_HANDLER: 0
; COMPUTE_PGM_RSRC2:TGID_X_EN: 1
; COMPUTE_PGM_RSRC2:TGID_Y_EN: 0
; COMPUTE_PGM_RSRC2:TGID_Z_EN: 0
; COMPUTE_PGM_RSRC2:TIDIG_COMP_CNT: 0
	.section	.text._ZN7rocprim17ROCPRIM_400000_NS6detail17trampoline_kernelINS0_13select_configILj256ELj13ELNS0_17block_load_methodE3ELS4_3ELS4_3ELNS0_20block_scan_algorithmE0ELj4294967295EEENS1_25partition_config_selectorILNS1_17partition_subalgoE3EjNS0_10empty_typeEbEEZZNS1_14partition_implILS8_3ELb0ES6_jNS0_17counting_iteratorIjlEEPS9_SE_NS0_5tupleIJPjSE_EEENSF_IJSE_SE_EEES9_SG_JZNS1_25segmented_radix_sort_implINS0_14default_configELb0EPKaPaPKlPlN2at6native12_GLOBAL__N_18offset_tEEE10hipError_tPvRmT1_PNSt15iterator_traitsISY_E10value_typeET2_T3_PNSZ_IS14_E10value_typeET4_jRbjT5_S1A_jjP12ihipStream_tbEUljE_EEESV_SW_SX_S14_S18_S1A_T6_T7_T9_mT8_S1C_bDpT10_ENKUlT_T0_E_clISt17integral_constantIbLb1EES1P_EEDaS1K_S1L_EUlS1K_E_NS1_11comp_targetILNS1_3genE0ELNS1_11target_archE4294967295ELNS1_3gpuE0ELNS1_3repE0EEENS1_30default_config_static_selectorELNS0_4arch9wavefront6targetE0EEEvSY_,"axG",@progbits,_ZN7rocprim17ROCPRIM_400000_NS6detail17trampoline_kernelINS0_13select_configILj256ELj13ELNS0_17block_load_methodE3ELS4_3ELS4_3ELNS0_20block_scan_algorithmE0ELj4294967295EEENS1_25partition_config_selectorILNS1_17partition_subalgoE3EjNS0_10empty_typeEbEEZZNS1_14partition_implILS8_3ELb0ES6_jNS0_17counting_iteratorIjlEEPS9_SE_NS0_5tupleIJPjSE_EEENSF_IJSE_SE_EEES9_SG_JZNS1_25segmented_radix_sort_implINS0_14default_configELb0EPKaPaPKlPlN2at6native12_GLOBAL__N_18offset_tEEE10hipError_tPvRmT1_PNSt15iterator_traitsISY_E10value_typeET2_T3_PNSZ_IS14_E10value_typeET4_jRbjT5_S1A_jjP12ihipStream_tbEUljE_EEESV_SW_SX_S14_S18_S1A_T6_T7_T9_mT8_S1C_bDpT10_ENKUlT_T0_E_clISt17integral_constantIbLb1EES1P_EEDaS1K_S1L_EUlS1K_E_NS1_11comp_targetILNS1_3genE0ELNS1_11target_archE4294967295ELNS1_3gpuE0ELNS1_3repE0EEENS1_30default_config_static_selectorELNS0_4arch9wavefront6targetE0EEEvSY_,comdat
	.globl	_ZN7rocprim17ROCPRIM_400000_NS6detail17trampoline_kernelINS0_13select_configILj256ELj13ELNS0_17block_load_methodE3ELS4_3ELS4_3ELNS0_20block_scan_algorithmE0ELj4294967295EEENS1_25partition_config_selectorILNS1_17partition_subalgoE3EjNS0_10empty_typeEbEEZZNS1_14partition_implILS8_3ELb0ES6_jNS0_17counting_iteratorIjlEEPS9_SE_NS0_5tupleIJPjSE_EEENSF_IJSE_SE_EEES9_SG_JZNS1_25segmented_radix_sort_implINS0_14default_configELb0EPKaPaPKlPlN2at6native12_GLOBAL__N_18offset_tEEE10hipError_tPvRmT1_PNSt15iterator_traitsISY_E10value_typeET2_T3_PNSZ_IS14_E10value_typeET4_jRbjT5_S1A_jjP12ihipStream_tbEUljE_EEESV_SW_SX_S14_S18_S1A_T6_T7_T9_mT8_S1C_bDpT10_ENKUlT_T0_E_clISt17integral_constantIbLb1EES1P_EEDaS1K_S1L_EUlS1K_E_NS1_11comp_targetILNS1_3genE0ELNS1_11target_archE4294967295ELNS1_3gpuE0ELNS1_3repE0EEENS1_30default_config_static_selectorELNS0_4arch9wavefront6targetE0EEEvSY_ ; -- Begin function _ZN7rocprim17ROCPRIM_400000_NS6detail17trampoline_kernelINS0_13select_configILj256ELj13ELNS0_17block_load_methodE3ELS4_3ELS4_3ELNS0_20block_scan_algorithmE0ELj4294967295EEENS1_25partition_config_selectorILNS1_17partition_subalgoE3EjNS0_10empty_typeEbEEZZNS1_14partition_implILS8_3ELb0ES6_jNS0_17counting_iteratorIjlEEPS9_SE_NS0_5tupleIJPjSE_EEENSF_IJSE_SE_EEES9_SG_JZNS1_25segmented_radix_sort_implINS0_14default_configELb0EPKaPaPKlPlN2at6native12_GLOBAL__N_18offset_tEEE10hipError_tPvRmT1_PNSt15iterator_traitsISY_E10value_typeET2_T3_PNSZ_IS14_E10value_typeET4_jRbjT5_S1A_jjP12ihipStream_tbEUljE_EEESV_SW_SX_S14_S18_S1A_T6_T7_T9_mT8_S1C_bDpT10_ENKUlT_T0_E_clISt17integral_constantIbLb1EES1P_EEDaS1K_S1L_EUlS1K_E_NS1_11comp_targetILNS1_3genE0ELNS1_11target_archE4294967295ELNS1_3gpuE0ELNS1_3repE0EEENS1_30default_config_static_selectorELNS0_4arch9wavefront6targetE0EEEvSY_
	.p2align	8
	.type	_ZN7rocprim17ROCPRIM_400000_NS6detail17trampoline_kernelINS0_13select_configILj256ELj13ELNS0_17block_load_methodE3ELS4_3ELS4_3ELNS0_20block_scan_algorithmE0ELj4294967295EEENS1_25partition_config_selectorILNS1_17partition_subalgoE3EjNS0_10empty_typeEbEEZZNS1_14partition_implILS8_3ELb0ES6_jNS0_17counting_iteratorIjlEEPS9_SE_NS0_5tupleIJPjSE_EEENSF_IJSE_SE_EEES9_SG_JZNS1_25segmented_radix_sort_implINS0_14default_configELb0EPKaPaPKlPlN2at6native12_GLOBAL__N_18offset_tEEE10hipError_tPvRmT1_PNSt15iterator_traitsISY_E10value_typeET2_T3_PNSZ_IS14_E10value_typeET4_jRbjT5_S1A_jjP12ihipStream_tbEUljE_EEESV_SW_SX_S14_S18_S1A_T6_T7_T9_mT8_S1C_bDpT10_ENKUlT_T0_E_clISt17integral_constantIbLb1EES1P_EEDaS1K_S1L_EUlS1K_E_NS1_11comp_targetILNS1_3genE0ELNS1_11target_archE4294967295ELNS1_3gpuE0ELNS1_3repE0EEENS1_30default_config_static_selectorELNS0_4arch9wavefront6targetE0EEEvSY_,@function
_ZN7rocprim17ROCPRIM_400000_NS6detail17trampoline_kernelINS0_13select_configILj256ELj13ELNS0_17block_load_methodE3ELS4_3ELS4_3ELNS0_20block_scan_algorithmE0ELj4294967295EEENS1_25partition_config_selectorILNS1_17partition_subalgoE3EjNS0_10empty_typeEbEEZZNS1_14partition_implILS8_3ELb0ES6_jNS0_17counting_iteratorIjlEEPS9_SE_NS0_5tupleIJPjSE_EEENSF_IJSE_SE_EEES9_SG_JZNS1_25segmented_radix_sort_implINS0_14default_configELb0EPKaPaPKlPlN2at6native12_GLOBAL__N_18offset_tEEE10hipError_tPvRmT1_PNSt15iterator_traitsISY_E10value_typeET2_T3_PNSZ_IS14_E10value_typeET4_jRbjT5_S1A_jjP12ihipStream_tbEUljE_EEESV_SW_SX_S14_S18_S1A_T6_T7_T9_mT8_S1C_bDpT10_ENKUlT_T0_E_clISt17integral_constantIbLb1EES1P_EEDaS1K_S1L_EUlS1K_E_NS1_11comp_targetILNS1_3genE0ELNS1_11target_archE4294967295ELNS1_3gpuE0ELNS1_3repE0EEENS1_30default_config_static_selectorELNS0_4arch9wavefront6targetE0EEEvSY_: ; @_ZN7rocprim17ROCPRIM_400000_NS6detail17trampoline_kernelINS0_13select_configILj256ELj13ELNS0_17block_load_methodE3ELS4_3ELS4_3ELNS0_20block_scan_algorithmE0ELj4294967295EEENS1_25partition_config_selectorILNS1_17partition_subalgoE3EjNS0_10empty_typeEbEEZZNS1_14partition_implILS8_3ELb0ES6_jNS0_17counting_iteratorIjlEEPS9_SE_NS0_5tupleIJPjSE_EEENSF_IJSE_SE_EEES9_SG_JZNS1_25segmented_radix_sort_implINS0_14default_configELb0EPKaPaPKlPlN2at6native12_GLOBAL__N_18offset_tEEE10hipError_tPvRmT1_PNSt15iterator_traitsISY_E10value_typeET2_T3_PNSZ_IS14_E10value_typeET4_jRbjT5_S1A_jjP12ihipStream_tbEUljE_EEESV_SW_SX_S14_S18_S1A_T6_T7_T9_mT8_S1C_bDpT10_ENKUlT_T0_E_clISt17integral_constantIbLb1EES1P_EEDaS1K_S1L_EUlS1K_E_NS1_11comp_targetILNS1_3genE0ELNS1_11target_archE4294967295ELNS1_3gpuE0ELNS1_3repE0EEENS1_30default_config_static_selectorELNS0_4arch9wavefront6targetE0EEEvSY_
; %bb.0:
	.section	.rodata,"a",@progbits
	.p2align	6, 0x0
	.amdhsa_kernel _ZN7rocprim17ROCPRIM_400000_NS6detail17trampoline_kernelINS0_13select_configILj256ELj13ELNS0_17block_load_methodE3ELS4_3ELS4_3ELNS0_20block_scan_algorithmE0ELj4294967295EEENS1_25partition_config_selectorILNS1_17partition_subalgoE3EjNS0_10empty_typeEbEEZZNS1_14partition_implILS8_3ELb0ES6_jNS0_17counting_iteratorIjlEEPS9_SE_NS0_5tupleIJPjSE_EEENSF_IJSE_SE_EEES9_SG_JZNS1_25segmented_radix_sort_implINS0_14default_configELb0EPKaPaPKlPlN2at6native12_GLOBAL__N_18offset_tEEE10hipError_tPvRmT1_PNSt15iterator_traitsISY_E10value_typeET2_T3_PNSZ_IS14_E10value_typeET4_jRbjT5_S1A_jjP12ihipStream_tbEUljE_EEESV_SW_SX_S14_S18_S1A_T6_T7_T9_mT8_S1C_bDpT10_ENKUlT_T0_E_clISt17integral_constantIbLb1EES1P_EEDaS1K_S1L_EUlS1K_E_NS1_11comp_targetILNS1_3genE0ELNS1_11target_archE4294967295ELNS1_3gpuE0ELNS1_3repE0EEENS1_30default_config_static_selectorELNS0_4arch9wavefront6targetE0EEEvSY_
		.amdhsa_group_segment_fixed_size 0
		.amdhsa_private_segment_fixed_size 0
		.amdhsa_kernarg_size 152
		.amdhsa_user_sgpr_count 6
		.amdhsa_user_sgpr_private_segment_buffer 1
		.amdhsa_user_sgpr_dispatch_ptr 0
		.amdhsa_user_sgpr_queue_ptr 0
		.amdhsa_user_sgpr_kernarg_segment_ptr 1
		.amdhsa_user_sgpr_dispatch_id 0
		.amdhsa_user_sgpr_flat_scratch_init 0
		.amdhsa_user_sgpr_private_segment_size 0
		.amdhsa_wavefront_size32 1
		.amdhsa_uses_dynamic_stack 0
		.amdhsa_system_sgpr_private_segment_wavefront_offset 0
		.amdhsa_system_sgpr_workgroup_id_x 1
		.amdhsa_system_sgpr_workgroup_id_y 0
		.amdhsa_system_sgpr_workgroup_id_z 0
		.amdhsa_system_sgpr_workgroup_info 0
		.amdhsa_system_vgpr_workitem_id 0
		.amdhsa_next_free_vgpr 1
		.amdhsa_next_free_sgpr 1
		.amdhsa_reserve_vcc 0
		.amdhsa_reserve_flat_scratch 0
		.amdhsa_float_round_mode_32 0
		.amdhsa_float_round_mode_16_64 0
		.amdhsa_float_denorm_mode_32 3
		.amdhsa_float_denorm_mode_16_64 3
		.amdhsa_dx10_clamp 1
		.amdhsa_ieee_mode 1
		.amdhsa_fp16_overflow 0
		.amdhsa_workgroup_processor_mode 1
		.amdhsa_memory_ordered 1
		.amdhsa_forward_progress 1
		.amdhsa_shared_vgpr_count 0
		.amdhsa_exception_fp_ieee_invalid_op 0
		.amdhsa_exception_fp_denorm_src 0
		.amdhsa_exception_fp_ieee_div_zero 0
		.amdhsa_exception_fp_ieee_overflow 0
		.amdhsa_exception_fp_ieee_underflow 0
		.amdhsa_exception_fp_ieee_inexact 0
		.amdhsa_exception_int_div_zero 0
	.end_amdhsa_kernel
	.section	.text._ZN7rocprim17ROCPRIM_400000_NS6detail17trampoline_kernelINS0_13select_configILj256ELj13ELNS0_17block_load_methodE3ELS4_3ELS4_3ELNS0_20block_scan_algorithmE0ELj4294967295EEENS1_25partition_config_selectorILNS1_17partition_subalgoE3EjNS0_10empty_typeEbEEZZNS1_14partition_implILS8_3ELb0ES6_jNS0_17counting_iteratorIjlEEPS9_SE_NS0_5tupleIJPjSE_EEENSF_IJSE_SE_EEES9_SG_JZNS1_25segmented_radix_sort_implINS0_14default_configELb0EPKaPaPKlPlN2at6native12_GLOBAL__N_18offset_tEEE10hipError_tPvRmT1_PNSt15iterator_traitsISY_E10value_typeET2_T3_PNSZ_IS14_E10value_typeET4_jRbjT5_S1A_jjP12ihipStream_tbEUljE_EEESV_SW_SX_S14_S18_S1A_T6_T7_T9_mT8_S1C_bDpT10_ENKUlT_T0_E_clISt17integral_constantIbLb1EES1P_EEDaS1K_S1L_EUlS1K_E_NS1_11comp_targetILNS1_3genE0ELNS1_11target_archE4294967295ELNS1_3gpuE0ELNS1_3repE0EEENS1_30default_config_static_selectorELNS0_4arch9wavefront6targetE0EEEvSY_,"axG",@progbits,_ZN7rocprim17ROCPRIM_400000_NS6detail17trampoline_kernelINS0_13select_configILj256ELj13ELNS0_17block_load_methodE3ELS4_3ELS4_3ELNS0_20block_scan_algorithmE0ELj4294967295EEENS1_25partition_config_selectorILNS1_17partition_subalgoE3EjNS0_10empty_typeEbEEZZNS1_14partition_implILS8_3ELb0ES6_jNS0_17counting_iteratorIjlEEPS9_SE_NS0_5tupleIJPjSE_EEENSF_IJSE_SE_EEES9_SG_JZNS1_25segmented_radix_sort_implINS0_14default_configELb0EPKaPaPKlPlN2at6native12_GLOBAL__N_18offset_tEEE10hipError_tPvRmT1_PNSt15iterator_traitsISY_E10value_typeET2_T3_PNSZ_IS14_E10value_typeET4_jRbjT5_S1A_jjP12ihipStream_tbEUljE_EEESV_SW_SX_S14_S18_S1A_T6_T7_T9_mT8_S1C_bDpT10_ENKUlT_T0_E_clISt17integral_constantIbLb1EES1P_EEDaS1K_S1L_EUlS1K_E_NS1_11comp_targetILNS1_3genE0ELNS1_11target_archE4294967295ELNS1_3gpuE0ELNS1_3repE0EEENS1_30default_config_static_selectorELNS0_4arch9wavefront6targetE0EEEvSY_,comdat
.Lfunc_end366:
	.size	_ZN7rocprim17ROCPRIM_400000_NS6detail17trampoline_kernelINS0_13select_configILj256ELj13ELNS0_17block_load_methodE3ELS4_3ELS4_3ELNS0_20block_scan_algorithmE0ELj4294967295EEENS1_25partition_config_selectorILNS1_17partition_subalgoE3EjNS0_10empty_typeEbEEZZNS1_14partition_implILS8_3ELb0ES6_jNS0_17counting_iteratorIjlEEPS9_SE_NS0_5tupleIJPjSE_EEENSF_IJSE_SE_EEES9_SG_JZNS1_25segmented_radix_sort_implINS0_14default_configELb0EPKaPaPKlPlN2at6native12_GLOBAL__N_18offset_tEEE10hipError_tPvRmT1_PNSt15iterator_traitsISY_E10value_typeET2_T3_PNSZ_IS14_E10value_typeET4_jRbjT5_S1A_jjP12ihipStream_tbEUljE_EEESV_SW_SX_S14_S18_S1A_T6_T7_T9_mT8_S1C_bDpT10_ENKUlT_T0_E_clISt17integral_constantIbLb1EES1P_EEDaS1K_S1L_EUlS1K_E_NS1_11comp_targetILNS1_3genE0ELNS1_11target_archE4294967295ELNS1_3gpuE0ELNS1_3repE0EEENS1_30default_config_static_selectorELNS0_4arch9wavefront6targetE0EEEvSY_, .Lfunc_end366-_ZN7rocprim17ROCPRIM_400000_NS6detail17trampoline_kernelINS0_13select_configILj256ELj13ELNS0_17block_load_methodE3ELS4_3ELS4_3ELNS0_20block_scan_algorithmE0ELj4294967295EEENS1_25partition_config_selectorILNS1_17partition_subalgoE3EjNS0_10empty_typeEbEEZZNS1_14partition_implILS8_3ELb0ES6_jNS0_17counting_iteratorIjlEEPS9_SE_NS0_5tupleIJPjSE_EEENSF_IJSE_SE_EEES9_SG_JZNS1_25segmented_radix_sort_implINS0_14default_configELb0EPKaPaPKlPlN2at6native12_GLOBAL__N_18offset_tEEE10hipError_tPvRmT1_PNSt15iterator_traitsISY_E10value_typeET2_T3_PNSZ_IS14_E10value_typeET4_jRbjT5_S1A_jjP12ihipStream_tbEUljE_EEESV_SW_SX_S14_S18_S1A_T6_T7_T9_mT8_S1C_bDpT10_ENKUlT_T0_E_clISt17integral_constantIbLb1EES1P_EEDaS1K_S1L_EUlS1K_E_NS1_11comp_targetILNS1_3genE0ELNS1_11target_archE4294967295ELNS1_3gpuE0ELNS1_3repE0EEENS1_30default_config_static_selectorELNS0_4arch9wavefront6targetE0EEEvSY_
                                        ; -- End function
	.set _ZN7rocprim17ROCPRIM_400000_NS6detail17trampoline_kernelINS0_13select_configILj256ELj13ELNS0_17block_load_methodE3ELS4_3ELS4_3ELNS0_20block_scan_algorithmE0ELj4294967295EEENS1_25partition_config_selectorILNS1_17partition_subalgoE3EjNS0_10empty_typeEbEEZZNS1_14partition_implILS8_3ELb0ES6_jNS0_17counting_iteratorIjlEEPS9_SE_NS0_5tupleIJPjSE_EEENSF_IJSE_SE_EEES9_SG_JZNS1_25segmented_radix_sort_implINS0_14default_configELb0EPKaPaPKlPlN2at6native12_GLOBAL__N_18offset_tEEE10hipError_tPvRmT1_PNSt15iterator_traitsISY_E10value_typeET2_T3_PNSZ_IS14_E10value_typeET4_jRbjT5_S1A_jjP12ihipStream_tbEUljE_EEESV_SW_SX_S14_S18_S1A_T6_T7_T9_mT8_S1C_bDpT10_ENKUlT_T0_E_clISt17integral_constantIbLb1EES1P_EEDaS1K_S1L_EUlS1K_E_NS1_11comp_targetILNS1_3genE0ELNS1_11target_archE4294967295ELNS1_3gpuE0ELNS1_3repE0EEENS1_30default_config_static_selectorELNS0_4arch9wavefront6targetE0EEEvSY_.num_vgpr, 0
	.set _ZN7rocprim17ROCPRIM_400000_NS6detail17trampoline_kernelINS0_13select_configILj256ELj13ELNS0_17block_load_methodE3ELS4_3ELS4_3ELNS0_20block_scan_algorithmE0ELj4294967295EEENS1_25partition_config_selectorILNS1_17partition_subalgoE3EjNS0_10empty_typeEbEEZZNS1_14partition_implILS8_3ELb0ES6_jNS0_17counting_iteratorIjlEEPS9_SE_NS0_5tupleIJPjSE_EEENSF_IJSE_SE_EEES9_SG_JZNS1_25segmented_radix_sort_implINS0_14default_configELb0EPKaPaPKlPlN2at6native12_GLOBAL__N_18offset_tEEE10hipError_tPvRmT1_PNSt15iterator_traitsISY_E10value_typeET2_T3_PNSZ_IS14_E10value_typeET4_jRbjT5_S1A_jjP12ihipStream_tbEUljE_EEESV_SW_SX_S14_S18_S1A_T6_T7_T9_mT8_S1C_bDpT10_ENKUlT_T0_E_clISt17integral_constantIbLb1EES1P_EEDaS1K_S1L_EUlS1K_E_NS1_11comp_targetILNS1_3genE0ELNS1_11target_archE4294967295ELNS1_3gpuE0ELNS1_3repE0EEENS1_30default_config_static_selectorELNS0_4arch9wavefront6targetE0EEEvSY_.num_agpr, 0
	.set _ZN7rocprim17ROCPRIM_400000_NS6detail17trampoline_kernelINS0_13select_configILj256ELj13ELNS0_17block_load_methodE3ELS4_3ELS4_3ELNS0_20block_scan_algorithmE0ELj4294967295EEENS1_25partition_config_selectorILNS1_17partition_subalgoE3EjNS0_10empty_typeEbEEZZNS1_14partition_implILS8_3ELb0ES6_jNS0_17counting_iteratorIjlEEPS9_SE_NS0_5tupleIJPjSE_EEENSF_IJSE_SE_EEES9_SG_JZNS1_25segmented_radix_sort_implINS0_14default_configELb0EPKaPaPKlPlN2at6native12_GLOBAL__N_18offset_tEEE10hipError_tPvRmT1_PNSt15iterator_traitsISY_E10value_typeET2_T3_PNSZ_IS14_E10value_typeET4_jRbjT5_S1A_jjP12ihipStream_tbEUljE_EEESV_SW_SX_S14_S18_S1A_T6_T7_T9_mT8_S1C_bDpT10_ENKUlT_T0_E_clISt17integral_constantIbLb1EES1P_EEDaS1K_S1L_EUlS1K_E_NS1_11comp_targetILNS1_3genE0ELNS1_11target_archE4294967295ELNS1_3gpuE0ELNS1_3repE0EEENS1_30default_config_static_selectorELNS0_4arch9wavefront6targetE0EEEvSY_.numbered_sgpr, 0
	.set _ZN7rocprim17ROCPRIM_400000_NS6detail17trampoline_kernelINS0_13select_configILj256ELj13ELNS0_17block_load_methodE3ELS4_3ELS4_3ELNS0_20block_scan_algorithmE0ELj4294967295EEENS1_25partition_config_selectorILNS1_17partition_subalgoE3EjNS0_10empty_typeEbEEZZNS1_14partition_implILS8_3ELb0ES6_jNS0_17counting_iteratorIjlEEPS9_SE_NS0_5tupleIJPjSE_EEENSF_IJSE_SE_EEES9_SG_JZNS1_25segmented_radix_sort_implINS0_14default_configELb0EPKaPaPKlPlN2at6native12_GLOBAL__N_18offset_tEEE10hipError_tPvRmT1_PNSt15iterator_traitsISY_E10value_typeET2_T3_PNSZ_IS14_E10value_typeET4_jRbjT5_S1A_jjP12ihipStream_tbEUljE_EEESV_SW_SX_S14_S18_S1A_T6_T7_T9_mT8_S1C_bDpT10_ENKUlT_T0_E_clISt17integral_constantIbLb1EES1P_EEDaS1K_S1L_EUlS1K_E_NS1_11comp_targetILNS1_3genE0ELNS1_11target_archE4294967295ELNS1_3gpuE0ELNS1_3repE0EEENS1_30default_config_static_selectorELNS0_4arch9wavefront6targetE0EEEvSY_.num_named_barrier, 0
	.set _ZN7rocprim17ROCPRIM_400000_NS6detail17trampoline_kernelINS0_13select_configILj256ELj13ELNS0_17block_load_methodE3ELS4_3ELS4_3ELNS0_20block_scan_algorithmE0ELj4294967295EEENS1_25partition_config_selectorILNS1_17partition_subalgoE3EjNS0_10empty_typeEbEEZZNS1_14partition_implILS8_3ELb0ES6_jNS0_17counting_iteratorIjlEEPS9_SE_NS0_5tupleIJPjSE_EEENSF_IJSE_SE_EEES9_SG_JZNS1_25segmented_radix_sort_implINS0_14default_configELb0EPKaPaPKlPlN2at6native12_GLOBAL__N_18offset_tEEE10hipError_tPvRmT1_PNSt15iterator_traitsISY_E10value_typeET2_T3_PNSZ_IS14_E10value_typeET4_jRbjT5_S1A_jjP12ihipStream_tbEUljE_EEESV_SW_SX_S14_S18_S1A_T6_T7_T9_mT8_S1C_bDpT10_ENKUlT_T0_E_clISt17integral_constantIbLb1EES1P_EEDaS1K_S1L_EUlS1K_E_NS1_11comp_targetILNS1_3genE0ELNS1_11target_archE4294967295ELNS1_3gpuE0ELNS1_3repE0EEENS1_30default_config_static_selectorELNS0_4arch9wavefront6targetE0EEEvSY_.private_seg_size, 0
	.set _ZN7rocprim17ROCPRIM_400000_NS6detail17trampoline_kernelINS0_13select_configILj256ELj13ELNS0_17block_load_methodE3ELS4_3ELS4_3ELNS0_20block_scan_algorithmE0ELj4294967295EEENS1_25partition_config_selectorILNS1_17partition_subalgoE3EjNS0_10empty_typeEbEEZZNS1_14partition_implILS8_3ELb0ES6_jNS0_17counting_iteratorIjlEEPS9_SE_NS0_5tupleIJPjSE_EEENSF_IJSE_SE_EEES9_SG_JZNS1_25segmented_radix_sort_implINS0_14default_configELb0EPKaPaPKlPlN2at6native12_GLOBAL__N_18offset_tEEE10hipError_tPvRmT1_PNSt15iterator_traitsISY_E10value_typeET2_T3_PNSZ_IS14_E10value_typeET4_jRbjT5_S1A_jjP12ihipStream_tbEUljE_EEESV_SW_SX_S14_S18_S1A_T6_T7_T9_mT8_S1C_bDpT10_ENKUlT_T0_E_clISt17integral_constantIbLb1EES1P_EEDaS1K_S1L_EUlS1K_E_NS1_11comp_targetILNS1_3genE0ELNS1_11target_archE4294967295ELNS1_3gpuE0ELNS1_3repE0EEENS1_30default_config_static_selectorELNS0_4arch9wavefront6targetE0EEEvSY_.uses_vcc, 0
	.set _ZN7rocprim17ROCPRIM_400000_NS6detail17trampoline_kernelINS0_13select_configILj256ELj13ELNS0_17block_load_methodE3ELS4_3ELS4_3ELNS0_20block_scan_algorithmE0ELj4294967295EEENS1_25partition_config_selectorILNS1_17partition_subalgoE3EjNS0_10empty_typeEbEEZZNS1_14partition_implILS8_3ELb0ES6_jNS0_17counting_iteratorIjlEEPS9_SE_NS0_5tupleIJPjSE_EEENSF_IJSE_SE_EEES9_SG_JZNS1_25segmented_radix_sort_implINS0_14default_configELb0EPKaPaPKlPlN2at6native12_GLOBAL__N_18offset_tEEE10hipError_tPvRmT1_PNSt15iterator_traitsISY_E10value_typeET2_T3_PNSZ_IS14_E10value_typeET4_jRbjT5_S1A_jjP12ihipStream_tbEUljE_EEESV_SW_SX_S14_S18_S1A_T6_T7_T9_mT8_S1C_bDpT10_ENKUlT_T0_E_clISt17integral_constantIbLb1EES1P_EEDaS1K_S1L_EUlS1K_E_NS1_11comp_targetILNS1_3genE0ELNS1_11target_archE4294967295ELNS1_3gpuE0ELNS1_3repE0EEENS1_30default_config_static_selectorELNS0_4arch9wavefront6targetE0EEEvSY_.uses_flat_scratch, 0
	.set _ZN7rocprim17ROCPRIM_400000_NS6detail17trampoline_kernelINS0_13select_configILj256ELj13ELNS0_17block_load_methodE3ELS4_3ELS4_3ELNS0_20block_scan_algorithmE0ELj4294967295EEENS1_25partition_config_selectorILNS1_17partition_subalgoE3EjNS0_10empty_typeEbEEZZNS1_14partition_implILS8_3ELb0ES6_jNS0_17counting_iteratorIjlEEPS9_SE_NS0_5tupleIJPjSE_EEENSF_IJSE_SE_EEES9_SG_JZNS1_25segmented_radix_sort_implINS0_14default_configELb0EPKaPaPKlPlN2at6native12_GLOBAL__N_18offset_tEEE10hipError_tPvRmT1_PNSt15iterator_traitsISY_E10value_typeET2_T3_PNSZ_IS14_E10value_typeET4_jRbjT5_S1A_jjP12ihipStream_tbEUljE_EEESV_SW_SX_S14_S18_S1A_T6_T7_T9_mT8_S1C_bDpT10_ENKUlT_T0_E_clISt17integral_constantIbLb1EES1P_EEDaS1K_S1L_EUlS1K_E_NS1_11comp_targetILNS1_3genE0ELNS1_11target_archE4294967295ELNS1_3gpuE0ELNS1_3repE0EEENS1_30default_config_static_selectorELNS0_4arch9wavefront6targetE0EEEvSY_.has_dyn_sized_stack, 0
	.set _ZN7rocprim17ROCPRIM_400000_NS6detail17trampoline_kernelINS0_13select_configILj256ELj13ELNS0_17block_load_methodE3ELS4_3ELS4_3ELNS0_20block_scan_algorithmE0ELj4294967295EEENS1_25partition_config_selectorILNS1_17partition_subalgoE3EjNS0_10empty_typeEbEEZZNS1_14partition_implILS8_3ELb0ES6_jNS0_17counting_iteratorIjlEEPS9_SE_NS0_5tupleIJPjSE_EEENSF_IJSE_SE_EEES9_SG_JZNS1_25segmented_radix_sort_implINS0_14default_configELb0EPKaPaPKlPlN2at6native12_GLOBAL__N_18offset_tEEE10hipError_tPvRmT1_PNSt15iterator_traitsISY_E10value_typeET2_T3_PNSZ_IS14_E10value_typeET4_jRbjT5_S1A_jjP12ihipStream_tbEUljE_EEESV_SW_SX_S14_S18_S1A_T6_T7_T9_mT8_S1C_bDpT10_ENKUlT_T0_E_clISt17integral_constantIbLb1EES1P_EEDaS1K_S1L_EUlS1K_E_NS1_11comp_targetILNS1_3genE0ELNS1_11target_archE4294967295ELNS1_3gpuE0ELNS1_3repE0EEENS1_30default_config_static_selectorELNS0_4arch9wavefront6targetE0EEEvSY_.has_recursion, 0
	.set _ZN7rocprim17ROCPRIM_400000_NS6detail17trampoline_kernelINS0_13select_configILj256ELj13ELNS0_17block_load_methodE3ELS4_3ELS4_3ELNS0_20block_scan_algorithmE0ELj4294967295EEENS1_25partition_config_selectorILNS1_17partition_subalgoE3EjNS0_10empty_typeEbEEZZNS1_14partition_implILS8_3ELb0ES6_jNS0_17counting_iteratorIjlEEPS9_SE_NS0_5tupleIJPjSE_EEENSF_IJSE_SE_EEES9_SG_JZNS1_25segmented_radix_sort_implINS0_14default_configELb0EPKaPaPKlPlN2at6native12_GLOBAL__N_18offset_tEEE10hipError_tPvRmT1_PNSt15iterator_traitsISY_E10value_typeET2_T3_PNSZ_IS14_E10value_typeET4_jRbjT5_S1A_jjP12ihipStream_tbEUljE_EEESV_SW_SX_S14_S18_S1A_T6_T7_T9_mT8_S1C_bDpT10_ENKUlT_T0_E_clISt17integral_constantIbLb1EES1P_EEDaS1K_S1L_EUlS1K_E_NS1_11comp_targetILNS1_3genE0ELNS1_11target_archE4294967295ELNS1_3gpuE0ELNS1_3repE0EEENS1_30default_config_static_selectorELNS0_4arch9wavefront6targetE0EEEvSY_.has_indirect_call, 0
	.section	.AMDGPU.csdata,"",@progbits
; Kernel info:
; codeLenInByte = 0
; TotalNumSgprs: 0
; NumVgprs: 0
; ScratchSize: 0
; MemoryBound: 0
; FloatMode: 240
; IeeeMode: 1
; LDSByteSize: 0 bytes/workgroup (compile time only)
; SGPRBlocks: 0
; VGPRBlocks: 0
; NumSGPRsForWavesPerEU: 1
; NumVGPRsForWavesPerEU: 1
; Occupancy: 16
; WaveLimiterHint : 0
; COMPUTE_PGM_RSRC2:SCRATCH_EN: 0
; COMPUTE_PGM_RSRC2:USER_SGPR: 6
; COMPUTE_PGM_RSRC2:TRAP_HANDLER: 0
; COMPUTE_PGM_RSRC2:TGID_X_EN: 1
; COMPUTE_PGM_RSRC2:TGID_Y_EN: 0
; COMPUTE_PGM_RSRC2:TGID_Z_EN: 0
; COMPUTE_PGM_RSRC2:TIDIG_COMP_CNT: 0
	.section	.text._ZN7rocprim17ROCPRIM_400000_NS6detail17trampoline_kernelINS0_13select_configILj256ELj13ELNS0_17block_load_methodE3ELS4_3ELS4_3ELNS0_20block_scan_algorithmE0ELj4294967295EEENS1_25partition_config_selectorILNS1_17partition_subalgoE3EjNS0_10empty_typeEbEEZZNS1_14partition_implILS8_3ELb0ES6_jNS0_17counting_iteratorIjlEEPS9_SE_NS0_5tupleIJPjSE_EEENSF_IJSE_SE_EEES9_SG_JZNS1_25segmented_radix_sort_implINS0_14default_configELb0EPKaPaPKlPlN2at6native12_GLOBAL__N_18offset_tEEE10hipError_tPvRmT1_PNSt15iterator_traitsISY_E10value_typeET2_T3_PNSZ_IS14_E10value_typeET4_jRbjT5_S1A_jjP12ihipStream_tbEUljE_EEESV_SW_SX_S14_S18_S1A_T6_T7_T9_mT8_S1C_bDpT10_ENKUlT_T0_E_clISt17integral_constantIbLb1EES1P_EEDaS1K_S1L_EUlS1K_E_NS1_11comp_targetILNS1_3genE5ELNS1_11target_archE942ELNS1_3gpuE9ELNS1_3repE0EEENS1_30default_config_static_selectorELNS0_4arch9wavefront6targetE0EEEvSY_,"axG",@progbits,_ZN7rocprim17ROCPRIM_400000_NS6detail17trampoline_kernelINS0_13select_configILj256ELj13ELNS0_17block_load_methodE3ELS4_3ELS4_3ELNS0_20block_scan_algorithmE0ELj4294967295EEENS1_25partition_config_selectorILNS1_17partition_subalgoE3EjNS0_10empty_typeEbEEZZNS1_14partition_implILS8_3ELb0ES6_jNS0_17counting_iteratorIjlEEPS9_SE_NS0_5tupleIJPjSE_EEENSF_IJSE_SE_EEES9_SG_JZNS1_25segmented_radix_sort_implINS0_14default_configELb0EPKaPaPKlPlN2at6native12_GLOBAL__N_18offset_tEEE10hipError_tPvRmT1_PNSt15iterator_traitsISY_E10value_typeET2_T3_PNSZ_IS14_E10value_typeET4_jRbjT5_S1A_jjP12ihipStream_tbEUljE_EEESV_SW_SX_S14_S18_S1A_T6_T7_T9_mT8_S1C_bDpT10_ENKUlT_T0_E_clISt17integral_constantIbLb1EES1P_EEDaS1K_S1L_EUlS1K_E_NS1_11comp_targetILNS1_3genE5ELNS1_11target_archE942ELNS1_3gpuE9ELNS1_3repE0EEENS1_30default_config_static_selectorELNS0_4arch9wavefront6targetE0EEEvSY_,comdat
	.globl	_ZN7rocprim17ROCPRIM_400000_NS6detail17trampoline_kernelINS0_13select_configILj256ELj13ELNS0_17block_load_methodE3ELS4_3ELS4_3ELNS0_20block_scan_algorithmE0ELj4294967295EEENS1_25partition_config_selectorILNS1_17partition_subalgoE3EjNS0_10empty_typeEbEEZZNS1_14partition_implILS8_3ELb0ES6_jNS0_17counting_iteratorIjlEEPS9_SE_NS0_5tupleIJPjSE_EEENSF_IJSE_SE_EEES9_SG_JZNS1_25segmented_radix_sort_implINS0_14default_configELb0EPKaPaPKlPlN2at6native12_GLOBAL__N_18offset_tEEE10hipError_tPvRmT1_PNSt15iterator_traitsISY_E10value_typeET2_T3_PNSZ_IS14_E10value_typeET4_jRbjT5_S1A_jjP12ihipStream_tbEUljE_EEESV_SW_SX_S14_S18_S1A_T6_T7_T9_mT8_S1C_bDpT10_ENKUlT_T0_E_clISt17integral_constantIbLb1EES1P_EEDaS1K_S1L_EUlS1K_E_NS1_11comp_targetILNS1_3genE5ELNS1_11target_archE942ELNS1_3gpuE9ELNS1_3repE0EEENS1_30default_config_static_selectorELNS0_4arch9wavefront6targetE0EEEvSY_ ; -- Begin function _ZN7rocprim17ROCPRIM_400000_NS6detail17trampoline_kernelINS0_13select_configILj256ELj13ELNS0_17block_load_methodE3ELS4_3ELS4_3ELNS0_20block_scan_algorithmE0ELj4294967295EEENS1_25partition_config_selectorILNS1_17partition_subalgoE3EjNS0_10empty_typeEbEEZZNS1_14partition_implILS8_3ELb0ES6_jNS0_17counting_iteratorIjlEEPS9_SE_NS0_5tupleIJPjSE_EEENSF_IJSE_SE_EEES9_SG_JZNS1_25segmented_radix_sort_implINS0_14default_configELb0EPKaPaPKlPlN2at6native12_GLOBAL__N_18offset_tEEE10hipError_tPvRmT1_PNSt15iterator_traitsISY_E10value_typeET2_T3_PNSZ_IS14_E10value_typeET4_jRbjT5_S1A_jjP12ihipStream_tbEUljE_EEESV_SW_SX_S14_S18_S1A_T6_T7_T9_mT8_S1C_bDpT10_ENKUlT_T0_E_clISt17integral_constantIbLb1EES1P_EEDaS1K_S1L_EUlS1K_E_NS1_11comp_targetILNS1_3genE5ELNS1_11target_archE942ELNS1_3gpuE9ELNS1_3repE0EEENS1_30default_config_static_selectorELNS0_4arch9wavefront6targetE0EEEvSY_
	.p2align	8
	.type	_ZN7rocprim17ROCPRIM_400000_NS6detail17trampoline_kernelINS0_13select_configILj256ELj13ELNS0_17block_load_methodE3ELS4_3ELS4_3ELNS0_20block_scan_algorithmE0ELj4294967295EEENS1_25partition_config_selectorILNS1_17partition_subalgoE3EjNS0_10empty_typeEbEEZZNS1_14partition_implILS8_3ELb0ES6_jNS0_17counting_iteratorIjlEEPS9_SE_NS0_5tupleIJPjSE_EEENSF_IJSE_SE_EEES9_SG_JZNS1_25segmented_radix_sort_implINS0_14default_configELb0EPKaPaPKlPlN2at6native12_GLOBAL__N_18offset_tEEE10hipError_tPvRmT1_PNSt15iterator_traitsISY_E10value_typeET2_T3_PNSZ_IS14_E10value_typeET4_jRbjT5_S1A_jjP12ihipStream_tbEUljE_EEESV_SW_SX_S14_S18_S1A_T6_T7_T9_mT8_S1C_bDpT10_ENKUlT_T0_E_clISt17integral_constantIbLb1EES1P_EEDaS1K_S1L_EUlS1K_E_NS1_11comp_targetILNS1_3genE5ELNS1_11target_archE942ELNS1_3gpuE9ELNS1_3repE0EEENS1_30default_config_static_selectorELNS0_4arch9wavefront6targetE0EEEvSY_,@function
_ZN7rocprim17ROCPRIM_400000_NS6detail17trampoline_kernelINS0_13select_configILj256ELj13ELNS0_17block_load_methodE3ELS4_3ELS4_3ELNS0_20block_scan_algorithmE0ELj4294967295EEENS1_25partition_config_selectorILNS1_17partition_subalgoE3EjNS0_10empty_typeEbEEZZNS1_14partition_implILS8_3ELb0ES6_jNS0_17counting_iteratorIjlEEPS9_SE_NS0_5tupleIJPjSE_EEENSF_IJSE_SE_EEES9_SG_JZNS1_25segmented_radix_sort_implINS0_14default_configELb0EPKaPaPKlPlN2at6native12_GLOBAL__N_18offset_tEEE10hipError_tPvRmT1_PNSt15iterator_traitsISY_E10value_typeET2_T3_PNSZ_IS14_E10value_typeET4_jRbjT5_S1A_jjP12ihipStream_tbEUljE_EEESV_SW_SX_S14_S18_S1A_T6_T7_T9_mT8_S1C_bDpT10_ENKUlT_T0_E_clISt17integral_constantIbLb1EES1P_EEDaS1K_S1L_EUlS1K_E_NS1_11comp_targetILNS1_3genE5ELNS1_11target_archE942ELNS1_3gpuE9ELNS1_3repE0EEENS1_30default_config_static_selectorELNS0_4arch9wavefront6targetE0EEEvSY_: ; @_ZN7rocprim17ROCPRIM_400000_NS6detail17trampoline_kernelINS0_13select_configILj256ELj13ELNS0_17block_load_methodE3ELS4_3ELS4_3ELNS0_20block_scan_algorithmE0ELj4294967295EEENS1_25partition_config_selectorILNS1_17partition_subalgoE3EjNS0_10empty_typeEbEEZZNS1_14partition_implILS8_3ELb0ES6_jNS0_17counting_iteratorIjlEEPS9_SE_NS0_5tupleIJPjSE_EEENSF_IJSE_SE_EEES9_SG_JZNS1_25segmented_radix_sort_implINS0_14default_configELb0EPKaPaPKlPlN2at6native12_GLOBAL__N_18offset_tEEE10hipError_tPvRmT1_PNSt15iterator_traitsISY_E10value_typeET2_T3_PNSZ_IS14_E10value_typeET4_jRbjT5_S1A_jjP12ihipStream_tbEUljE_EEESV_SW_SX_S14_S18_S1A_T6_T7_T9_mT8_S1C_bDpT10_ENKUlT_T0_E_clISt17integral_constantIbLb1EES1P_EEDaS1K_S1L_EUlS1K_E_NS1_11comp_targetILNS1_3genE5ELNS1_11target_archE942ELNS1_3gpuE9ELNS1_3repE0EEENS1_30default_config_static_selectorELNS0_4arch9wavefront6targetE0EEEvSY_
; %bb.0:
	.section	.rodata,"a",@progbits
	.p2align	6, 0x0
	.amdhsa_kernel _ZN7rocprim17ROCPRIM_400000_NS6detail17trampoline_kernelINS0_13select_configILj256ELj13ELNS0_17block_load_methodE3ELS4_3ELS4_3ELNS0_20block_scan_algorithmE0ELj4294967295EEENS1_25partition_config_selectorILNS1_17partition_subalgoE3EjNS0_10empty_typeEbEEZZNS1_14partition_implILS8_3ELb0ES6_jNS0_17counting_iteratorIjlEEPS9_SE_NS0_5tupleIJPjSE_EEENSF_IJSE_SE_EEES9_SG_JZNS1_25segmented_radix_sort_implINS0_14default_configELb0EPKaPaPKlPlN2at6native12_GLOBAL__N_18offset_tEEE10hipError_tPvRmT1_PNSt15iterator_traitsISY_E10value_typeET2_T3_PNSZ_IS14_E10value_typeET4_jRbjT5_S1A_jjP12ihipStream_tbEUljE_EEESV_SW_SX_S14_S18_S1A_T6_T7_T9_mT8_S1C_bDpT10_ENKUlT_T0_E_clISt17integral_constantIbLb1EES1P_EEDaS1K_S1L_EUlS1K_E_NS1_11comp_targetILNS1_3genE5ELNS1_11target_archE942ELNS1_3gpuE9ELNS1_3repE0EEENS1_30default_config_static_selectorELNS0_4arch9wavefront6targetE0EEEvSY_
		.amdhsa_group_segment_fixed_size 0
		.amdhsa_private_segment_fixed_size 0
		.amdhsa_kernarg_size 152
		.amdhsa_user_sgpr_count 6
		.amdhsa_user_sgpr_private_segment_buffer 1
		.amdhsa_user_sgpr_dispatch_ptr 0
		.amdhsa_user_sgpr_queue_ptr 0
		.amdhsa_user_sgpr_kernarg_segment_ptr 1
		.amdhsa_user_sgpr_dispatch_id 0
		.amdhsa_user_sgpr_flat_scratch_init 0
		.amdhsa_user_sgpr_private_segment_size 0
		.amdhsa_wavefront_size32 1
		.amdhsa_uses_dynamic_stack 0
		.amdhsa_system_sgpr_private_segment_wavefront_offset 0
		.amdhsa_system_sgpr_workgroup_id_x 1
		.amdhsa_system_sgpr_workgroup_id_y 0
		.amdhsa_system_sgpr_workgroup_id_z 0
		.amdhsa_system_sgpr_workgroup_info 0
		.amdhsa_system_vgpr_workitem_id 0
		.amdhsa_next_free_vgpr 1
		.amdhsa_next_free_sgpr 1
		.amdhsa_reserve_vcc 0
		.amdhsa_reserve_flat_scratch 0
		.amdhsa_float_round_mode_32 0
		.amdhsa_float_round_mode_16_64 0
		.amdhsa_float_denorm_mode_32 3
		.amdhsa_float_denorm_mode_16_64 3
		.amdhsa_dx10_clamp 1
		.amdhsa_ieee_mode 1
		.amdhsa_fp16_overflow 0
		.amdhsa_workgroup_processor_mode 1
		.amdhsa_memory_ordered 1
		.amdhsa_forward_progress 1
		.amdhsa_shared_vgpr_count 0
		.amdhsa_exception_fp_ieee_invalid_op 0
		.amdhsa_exception_fp_denorm_src 0
		.amdhsa_exception_fp_ieee_div_zero 0
		.amdhsa_exception_fp_ieee_overflow 0
		.amdhsa_exception_fp_ieee_underflow 0
		.amdhsa_exception_fp_ieee_inexact 0
		.amdhsa_exception_int_div_zero 0
	.end_amdhsa_kernel
	.section	.text._ZN7rocprim17ROCPRIM_400000_NS6detail17trampoline_kernelINS0_13select_configILj256ELj13ELNS0_17block_load_methodE3ELS4_3ELS4_3ELNS0_20block_scan_algorithmE0ELj4294967295EEENS1_25partition_config_selectorILNS1_17partition_subalgoE3EjNS0_10empty_typeEbEEZZNS1_14partition_implILS8_3ELb0ES6_jNS0_17counting_iteratorIjlEEPS9_SE_NS0_5tupleIJPjSE_EEENSF_IJSE_SE_EEES9_SG_JZNS1_25segmented_radix_sort_implINS0_14default_configELb0EPKaPaPKlPlN2at6native12_GLOBAL__N_18offset_tEEE10hipError_tPvRmT1_PNSt15iterator_traitsISY_E10value_typeET2_T3_PNSZ_IS14_E10value_typeET4_jRbjT5_S1A_jjP12ihipStream_tbEUljE_EEESV_SW_SX_S14_S18_S1A_T6_T7_T9_mT8_S1C_bDpT10_ENKUlT_T0_E_clISt17integral_constantIbLb1EES1P_EEDaS1K_S1L_EUlS1K_E_NS1_11comp_targetILNS1_3genE5ELNS1_11target_archE942ELNS1_3gpuE9ELNS1_3repE0EEENS1_30default_config_static_selectorELNS0_4arch9wavefront6targetE0EEEvSY_,"axG",@progbits,_ZN7rocprim17ROCPRIM_400000_NS6detail17trampoline_kernelINS0_13select_configILj256ELj13ELNS0_17block_load_methodE3ELS4_3ELS4_3ELNS0_20block_scan_algorithmE0ELj4294967295EEENS1_25partition_config_selectorILNS1_17partition_subalgoE3EjNS0_10empty_typeEbEEZZNS1_14partition_implILS8_3ELb0ES6_jNS0_17counting_iteratorIjlEEPS9_SE_NS0_5tupleIJPjSE_EEENSF_IJSE_SE_EEES9_SG_JZNS1_25segmented_radix_sort_implINS0_14default_configELb0EPKaPaPKlPlN2at6native12_GLOBAL__N_18offset_tEEE10hipError_tPvRmT1_PNSt15iterator_traitsISY_E10value_typeET2_T3_PNSZ_IS14_E10value_typeET4_jRbjT5_S1A_jjP12ihipStream_tbEUljE_EEESV_SW_SX_S14_S18_S1A_T6_T7_T9_mT8_S1C_bDpT10_ENKUlT_T0_E_clISt17integral_constantIbLb1EES1P_EEDaS1K_S1L_EUlS1K_E_NS1_11comp_targetILNS1_3genE5ELNS1_11target_archE942ELNS1_3gpuE9ELNS1_3repE0EEENS1_30default_config_static_selectorELNS0_4arch9wavefront6targetE0EEEvSY_,comdat
.Lfunc_end367:
	.size	_ZN7rocprim17ROCPRIM_400000_NS6detail17trampoline_kernelINS0_13select_configILj256ELj13ELNS0_17block_load_methodE3ELS4_3ELS4_3ELNS0_20block_scan_algorithmE0ELj4294967295EEENS1_25partition_config_selectorILNS1_17partition_subalgoE3EjNS0_10empty_typeEbEEZZNS1_14partition_implILS8_3ELb0ES6_jNS0_17counting_iteratorIjlEEPS9_SE_NS0_5tupleIJPjSE_EEENSF_IJSE_SE_EEES9_SG_JZNS1_25segmented_radix_sort_implINS0_14default_configELb0EPKaPaPKlPlN2at6native12_GLOBAL__N_18offset_tEEE10hipError_tPvRmT1_PNSt15iterator_traitsISY_E10value_typeET2_T3_PNSZ_IS14_E10value_typeET4_jRbjT5_S1A_jjP12ihipStream_tbEUljE_EEESV_SW_SX_S14_S18_S1A_T6_T7_T9_mT8_S1C_bDpT10_ENKUlT_T0_E_clISt17integral_constantIbLb1EES1P_EEDaS1K_S1L_EUlS1K_E_NS1_11comp_targetILNS1_3genE5ELNS1_11target_archE942ELNS1_3gpuE9ELNS1_3repE0EEENS1_30default_config_static_selectorELNS0_4arch9wavefront6targetE0EEEvSY_, .Lfunc_end367-_ZN7rocprim17ROCPRIM_400000_NS6detail17trampoline_kernelINS0_13select_configILj256ELj13ELNS0_17block_load_methodE3ELS4_3ELS4_3ELNS0_20block_scan_algorithmE0ELj4294967295EEENS1_25partition_config_selectorILNS1_17partition_subalgoE3EjNS0_10empty_typeEbEEZZNS1_14partition_implILS8_3ELb0ES6_jNS0_17counting_iteratorIjlEEPS9_SE_NS0_5tupleIJPjSE_EEENSF_IJSE_SE_EEES9_SG_JZNS1_25segmented_radix_sort_implINS0_14default_configELb0EPKaPaPKlPlN2at6native12_GLOBAL__N_18offset_tEEE10hipError_tPvRmT1_PNSt15iterator_traitsISY_E10value_typeET2_T3_PNSZ_IS14_E10value_typeET4_jRbjT5_S1A_jjP12ihipStream_tbEUljE_EEESV_SW_SX_S14_S18_S1A_T6_T7_T9_mT8_S1C_bDpT10_ENKUlT_T0_E_clISt17integral_constantIbLb1EES1P_EEDaS1K_S1L_EUlS1K_E_NS1_11comp_targetILNS1_3genE5ELNS1_11target_archE942ELNS1_3gpuE9ELNS1_3repE0EEENS1_30default_config_static_selectorELNS0_4arch9wavefront6targetE0EEEvSY_
                                        ; -- End function
	.set _ZN7rocprim17ROCPRIM_400000_NS6detail17trampoline_kernelINS0_13select_configILj256ELj13ELNS0_17block_load_methodE3ELS4_3ELS4_3ELNS0_20block_scan_algorithmE0ELj4294967295EEENS1_25partition_config_selectorILNS1_17partition_subalgoE3EjNS0_10empty_typeEbEEZZNS1_14partition_implILS8_3ELb0ES6_jNS0_17counting_iteratorIjlEEPS9_SE_NS0_5tupleIJPjSE_EEENSF_IJSE_SE_EEES9_SG_JZNS1_25segmented_radix_sort_implINS0_14default_configELb0EPKaPaPKlPlN2at6native12_GLOBAL__N_18offset_tEEE10hipError_tPvRmT1_PNSt15iterator_traitsISY_E10value_typeET2_T3_PNSZ_IS14_E10value_typeET4_jRbjT5_S1A_jjP12ihipStream_tbEUljE_EEESV_SW_SX_S14_S18_S1A_T6_T7_T9_mT8_S1C_bDpT10_ENKUlT_T0_E_clISt17integral_constantIbLb1EES1P_EEDaS1K_S1L_EUlS1K_E_NS1_11comp_targetILNS1_3genE5ELNS1_11target_archE942ELNS1_3gpuE9ELNS1_3repE0EEENS1_30default_config_static_selectorELNS0_4arch9wavefront6targetE0EEEvSY_.num_vgpr, 0
	.set _ZN7rocprim17ROCPRIM_400000_NS6detail17trampoline_kernelINS0_13select_configILj256ELj13ELNS0_17block_load_methodE3ELS4_3ELS4_3ELNS0_20block_scan_algorithmE0ELj4294967295EEENS1_25partition_config_selectorILNS1_17partition_subalgoE3EjNS0_10empty_typeEbEEZZNS1_14partition_implILS8_3ELb0ES6_jNS0_17counting_iteratorIjlEEPS9_SE_NS0_5tupleIJPjSE_EEENSF_IJSE_SE_EEES9_SG_JZNS1_25segmented_radix_sort_implINS0_14default_configELb0EPKaPaPKlPlN2at6native12_GLOBAL__N_18offset_tEEE10hipError_tPvRmT1_PNSt15iterator_traitsISY_E10value_typeET2_T3_PNSZ_IS14_E10value_typeET4_jRbjT5_S1A_jjP12ihipStream_tbEUljE_EEESV_SW_SX_S14_S18_S1A_T6_T7_T9_mT8_S1C_bDpT10_ENKUlT_T0_E_clISt17integral_constantIbLb1EES1P_EEDaS1K_S1L_EUlS1K_E_NS1_11comp_targetILNS1_3genE5ELNS1_11target_archE942ELNS1_3gpuE9ELNS1_3repE0EEENS1_30default_config_static_selectorELNS0_4arch9wavefront6targetE0EEEvSY_.num_agpr, 0
	.set _ZN7rocprim17ROCPRIM_400000_NS6detail17trampoline_kernelINS0_13select_configILj256ELj13ELNS0_17block_load_methodE3ELS4_3ELS4_3ELNS0_20block_scan_algorithmE0ELj4294967295EEENS1_25partition_config_selectorILNS1_17partition_subalgoE3EjNS0_10empty_typeEbEEZZNS1_14partition_implILS8_3ELb0ES6_jNS0_17counting_iteratorIjlEEPS9_SE_NS0_5tupleIJPjSE_EEENSF_IJSE_SE_EEES9_SG_JZNS1_25segmented_radix_sort_implINS0_14default_configELb0EPKaPaPKlPlN2at6native12_GLOBAL__N_18offset_tEEE10hipError_tPvRmT1_PNSt15iterator_traitsISY_E10value_typeET2_T3_PNSZ_IS14_E10value_typeET4_jRbjT5_S1A_jjP12ihipStream_tbEUljE_EEESV_SW_SX_S14_S18_S1A_T6_T7_T9_mT8_S1C_bDpT10_ENKUlT_T0_E_clISt17integral_constantIbLb1EES1P_EEDaS1K_S1L_EUlS1K_E_NS1_11comp_targetILNS1_3genE5ELNS1_11target_archE942ELNS1_3gpuE9ELNS1_3repE0EEENS1_30default_config_static_selectorELNS0_4arch9wavefront6targetE0EEEvSY_.numbered_sgpr, 0
	.set _ZN7rocprim17ROCPRIM_400000_NS6detail17trampoline_kernelINS0_13select_configILj256ELj13ELNS0_17block_load_methodE3ELS4_3ELS4_3ELNS0_20block_scan_algorithmE0ELj4294967295EEENS1_25partition_config_selectorILNS1_17partition_subalgoE3EjNS0_10empty_typeEbEEZZNS1_14partition_implILS8_3ELb0ES6_jNS0_17counting_iteratorIjlEEPS9_SE_NS0_5tupleIJPjSE_EEENSF_IJSE_SE_EEES9_SG_JZNS1_25segmented_radix_sort_implINS0_14default_configELb0EPKaPaPKlPlN2at6native12_GLOBAL__N_18offset_tEEE10hipError_tPvRmT1_PNSt15iterator_traitsISY_E10value_typeET2_T3_PNSZ_IS14_E10value_typeET4_jRbjT5_S1A_jjP12ihipStream_tbEUljE_EEESV_SW_SX_S14_S18_S1A_T6_T7_T9_mT8_S1C_bDpT10_ENKUlT_T0_E_clISt17integral_constantIbLb1EES1P_EEDaS1K_S1L_EUlS1K_E_NS1_11comp_targetILNS1_3genE5ELNS1_11target_archE942ELNS1_3gpuE9ELNS1_3repE0EEENS1_30default_config_static_selectorELNS0_4arch9wavefront6targetE0EEEvSY_.num_named_barrier, 0
	.set _ZN7rocprim17ROCPRIM_400000_NS6detail17trampoline_kernelINS0_13select_configILj256ELj13ELNS0_17block_load_methodE3ELS4_3ELS4_3ELNS0_20block_scan_algorithmE0ELj4294967295EEENS1_25partition_config_selectorILNS1_17partition_subalgoE3EjNS0_10empty_typeEbEEZZNS1_14partition_implILS8_3ELb0ES6_jNS0_17counting_iteratorIjlEEPS9_SE_NS0_5tupleIJPjSE_EEENSF_IJSE_SE_EEES9_SG_JZNS1_25segmented_radix_sort_implINS0_14default_configELb0EPKaPaPKlPlN2at6native12_GLOBAL__N_18offset_tEEE10hipError_tPvRmT1_PNSt15iterator_traitsISY_E10value_typeET2_T3_PNSZ_IS14_E10value_typeET4_jRbjT5_S1A_jjP12ihipStream_tbEUljE_EEESV_SW_SX_S14_S18_S1A_T6_T7_T9_mT8_S1C_bDpT10_ENKUlT_T0_E_clISt17integral_constantIbLb1EES1P_EEDaS1K_S1L_EUlS1K_E_NS1_11comp_targetILNS1_3genE5ELNS1_11target_archE942ELNS1_3gpuE9ELNS1_3repE0EEENS1_30default_config_static_selectorELNS0_4arch9wavefront6targetE0EEEvSY_.private_seg_size, 0
	.set _ZN7rocprim17ROCPRIM_400000_NS6detail17trampoline_kernelINS0_13select_configILj256ELj13ELNS0_17block_load_methodE3ELS4_3ELS4_3ELNS0_20block_scan_algorithmE0ELj4294967295EEENS1_25partition_config_selectorILNS1_17partition_subalgoE3EjNS0_10empty_typeEbEEZZNS1_14partition_implILS8_3ELb0ES6_jNS0_17counting_iteratorIjlEEPS9_SE_NS0_5tupleIJPjSE_EEENSF_IJSE_SE_EEES9_SG_JZNS1_25segmented_radix_sort_implINS0_14default_configELb0EPKaPaPKlPlN2at6native12_GLOBAL__N_18offset_tEEE10hipError_tPvRmT1_PNSt15iterator_traitsISY_E10value_typeET2_T3_PNSZ_IS14_E10value_typeET4_jRbjT5_S1A_jjP12ihipStream_tbEUljE_EEESV_SW_SX_S14_S18_S1A_T6_T7_T9_mT8_S1C_bDpT10_ENKUlT_T0_E_clISt17integral_constantIbLb1EES1P_EEDaS1K_S1L_EUlS1K_E_NS1_11comp_targetILNS1_3genE5ELNS1_11target_archE942ELNS1_3gpuE9ELNS1_3repE0EEENS1_30default_config_static_selectorELNS0_4arch9wavefront6targetE0EEEvSY_.uses_vcc, 0
	.set _ZN7rocprim17ROCPRIM_400000_NS6detail17trampoline_kernelINS0_13select_configILj256ELj13ELNS0_17block_load_methodE3ELS4_3ELS4_3ELNS0_20block_scan_algorithmE0ELj4294967295EEENS1_25partition_config_selectorILNS1_17partition_subalgoE3EjNS0_10empty_typeEbEEZZNS1_14partition_implILS8_3ELb0ES6_jNS0_17counting_iteratorIjlEEPS9_SE_NS0_5tupleIJPjSE_EEENSF_IJSE_SE_EEES9_SG_JZNS1_25segmented_radix_sort_implINS0_14default_configELb0EPKaPaPKlPlN2at6native12_GLOBAL__N_18offset_tEEE10hipError_tPvRmT1_PNSt15iterator_traitsISY_E10value_typeET2_T3_PNSZ_IS14_E10value_typeET4_jRbjT5_S1A_jjP12ihipStream_tbEUljE_EEESV_SW_SX_S14_S18_S1A_T6_T7_T9_mT8_S1C_bDpT10_ENKUlT_T0_E_clISt17integral_constantIbLb1EES1P_EEDaS1K_S1L_EUlS1K_E_NS1_11comp_targetILNS1_3genE5ELNS1_11target_archE942ELNS1_3gpuE9ELNS1_3repE0EEENS1_30default_config_static_selectorELNS0_4arch9wavefront6targetE0EEEvSY_.uses_flat_scratch, 0
	.set _ZN7rocprim17ROCPRIM_400000_NS6detail17trampoline_kernelINS0_13select_configILj256ELj13ELNS0_17block_load_methodE3ELS4_3ELS4_3ELNS0_20block_scan_algorithmE0ELj4294967295EEENS1_25partition_config_selectorILNS1_17partition_subalgoE3EjNS0_10empty_typeEbEEZZNS1_14partition_implILS8_3ELb0ES6_jNS0_17counting_iteratorIjlEEPS9_SE_NS0_5tupleIJPjSE_EEENSF_IJSE_SE_EEES9_SG_JZNS1_25segmented_radix_sort_implINS0_14default_configELb0EPKaPaPKlPlN2at6native12_GLOBAL__N_18offset_tEEE10hipError_tPvRmT1_PNSt15iterator_traitsISY_E10value_typeET2_T3_PNSZ_IS14_E10value_typeET4_jRbjT5_S1A_jjP12ihipStream_tbEUljE_EEESV_SW_SX_S14_S18_S1A_T6_T7_T9_mT8_S1C_bDpT10_ENKUlT_T0_E_clISt17integral_constantIbLb1EES1P_EEDaS1K_S1L_EUlS1K_E_NS1_11comp_targetILNS1_3genE5ELNS1_11target_archE942ELNS1_3gpuE9ELNS1_3repE0EEENS1_30default_config_static_selectorELNS0_4arch9wavefront6targetE0EEEvSY_.has_dyn_sized_stack, 0
	.set _ZN7rocprim17ROCPRIM_400000_NS6detail17trampoline_kernelINS0_13select_configILj256ELj13ELNS0_17block_load_methodE3ELS4_3ELS4_3ELNS0_20block_scan_algorithmE0ELj4294967295EEENS1_25partition_config_selectorILNS1_17partition_subalgoE3EjNS0_10empty_typeEbEEZZNS1_14partition_implILS8_3ELb0ES6_jNS0_17counting_iteratorIjlEEPS9_SE_NS0_5tupleIJPjSE_EEENSF_IJSE_SE_EEES9_SG_JZNS1_25segmented_radix_sort_implINS0_14default_configELb0EPKaPaPKlPlN2at6native12_GLOBAL__N_18offset_tEEE10hipError_tPvRmT1_PNSt15iterator_traitsISY_E10value_typeET2_T3_PNSZ_IS14_E10value_typeET4_jRbjT5_S1A_jjP12ihipStream_tbEUljE_EEESV_SW_SX_S14_S18_S1A_T6_T7_T9_mT8_S1C_bDpT10_ENKUlT_T0_E_clISt17integral_constantIbLb1EES1P_EEDaS1K_S1L_EUlS1K_E_NS1_11comp_targetILNS1_3genE5ELNS1_11target_archE942ELNS1_3gpuE9ELNS1_3repE0EEENS1_30default_config_static_selectorELNS0_4arch9wavefront6targetE0EEEvSY_.has_recursion, 0
	.set _ZN7rocprim17ROCPRIM_400000_NS6detail17trampoline_kernelINS0_13select_configILj256ELj13ELNS0_17block_load_methodE3ELS4_3ELS4_3ELNS0_20block_scan_algorithmE0ELj4294967295EEENS1_25partition_config_selectorILNS1_17partition_subalgoE3EjNS0_10empty_typeEbEEZZNS1_14partition_implILS8_3ELb0ES6_jNS0_17counting_iteratorIjlEEPS9_SE_NS0_5tupleIJPjSE_EEENSF_IJSE_SE_EEES9_SG_JZNS1_25segmented_radix_sort_implINS0_14default_configELb0EPKaPaPKlPlN2at6native12_GLOBAL__N_18offset_tEEE10hipError_tPvRmT1_PNSt15iterator_traitsISY_E10value_typeET2_T3_PNSZ_IS14_E10value_typeET4_jRbjT5_S1A_jjP12ihipStream_tbEUljE_EEESV_SW_SX_S14_S18_S1A_T6_T7_T9_mT8_S1C_bDpT10_ENKUlT_T0_E_clISt17integral_constantIbLb1EES1P_EEDaS1K_S1L_EUlS1K_E_NS1_11comp_targetILNS1_3genE5ELNS1_11target_archE942ELNS1_3gpuE9ELNS1_3repE0EEENS1_30default_config_static_selectorELNS0_4arch9wavefront6targetE0EEEvSY_.has_indirect_call, 0
	.section	.AMDGPU.csdata,"",@progbits
; Kernel info:
; codeLenInByte = 0
; TotalNumSgprs: 0
; NumVgprs: 0
; ScratchSize: 0
; MemoryBound: 0
; FloatMode: 240
; IeeeMode: 1
; LDSByteSize: 0 bytes/workgroup (compile time only)
; SGPRBlocks: 0
; VGPRBlocks: 0
; NumSGPRsForWavesPerEU: 1
; NumVGPRsForWavesPerEU: 1
; Occupancy: 16
; WaveLimiterHint : 0
; COMPUTE_PGM_RSRC2:SCRATCH_EN: 0
; COMPUTE_PGM_RSRC2:USER_SGPR: 6
; COMPUTE_PGM_RSRC2:TRAP_HANDLER: 0
; COMPUTE_PGM_RSRC2:TGID_X_EN: 1
; COMPUTE_PGM_RSRC2:TGID_Y_EN: 0
; COMPUTE_PGM_RSRC2:TGID_Z_EN: 0
; COMPUTE_PGM_RSRC2:TIDIG_COMP_CNT: 0
	.section	.text._ZN7rocprim17ROCPRIM_400000_NS6detail17trampoline_kernelINS0_13select_configILj256ELj13ELNS0_17block_load_methodE3ELS4_3ELS4_3ELNS0_20block_scan_algorithmE0ELj4294967295EEENS1_25partition_config_selectorILNS1_17partition_subalgoE3EjNS0_10empty_typeEbEEZZNS1_14partition_implILS8_3ELb0ES6_jNS0_17counting_iteratorIjlEEPS9_SE_NS0_5tupleIJPjSE_EEENSF_IJSE_SE_EEES9_SG_JZNS1_25segmented_radix_sort_implINS0_14default_configELb0EPKaPaPKlPlN2at6native12_GLOBAL__N_18offset_tEEE10hipError_tPvRmT1_PNSt15iterator_traitsISY_E10value_typeET2_T3_PNSZ_IS14_E10value_typeET4_jRbjT5_S1A_jjP12ihipStream_tbEUljE_EEESV_SW_SX_S14_S18_S1A_T6_T7_T9_mT8_S1C_bDpT10_ENKUlT_T0_E_clISt17integral_constantIbLb1EES1P_EEDaS1K_S1L_EUlS1K_E_NS1_11comp_targetILNS1_3genE4ELNS1_11target_archE910ELNS1_3gpuE8ELNS1_3repE0EEENS1_30default_config_static_selectorELNS0_4arch9wavefront6targetE0EEEvSY_,"axG",@progbits,_ZN7rocprim17ROCPRIM_400000_NS6detail17trampoline_kernelINS0_13select_configILj256ELj13ELNS0_17block_load_methodE3ELS4_3ELS4_3ELNS0_20block_scan_algorithmE0ELj4294967295EEENS1_25partition_config_selectorILNS1_17partition_subalgoE3EjNS0_10empty_typeEbEEZZNS1_14partition_implILS8_3ELb0ES6_jNS0_17counting_iteratorIjlEEPS9_SE_NS0_5tupleIJPjSE_EEENSF_IJSE_SE_EEES9_SG_JZNS1_25segmented_radix_sort_implINS0_14default_configELb0EPKaPaPKlPlN2at6native12_GLOBAL__N_18offset_tEEE10hipError_tPvRmT1_PNSt15iterator_traitsISY_E10value_typeET2_T3_PNSZ_IS14_E10value_typeET4_jRbjT5_S1A_jjP12ihipStream_tbEUljE_EEESV_SW_SX_S14_S18_S1A_T6_T7_T9_mT8_S1C_bDpT10_ENKUlT_T0_E_clISt17integral_constantIbLb1EES1P_EEDaS1K_S1L_EUlS1K_E_NS1_11comp_targetILNS1_3genE4ELNS1_11target_archE910ELNS1_3gpuE8ELNS1_3repE0EEENS1_30default_config_static_selectorELNS0_4arch9wavefront6targetE0EEEvSY_,comdat
	.globl	_ZN7rocprim17ROCPRIM_400000_NS6detail17trampoline_kernelINS0_13select_configILj256ELj13ELNS0_17block_load_methodE3ELS4_3ELS4_3ELNS0_20block_scan_algorithmE0ELj4294967295EEENS1_25partition_config_selectorILNS1_17partition_subalgoE3EjNS0_10empty_typeEbEEZZNS1_14partition_implILS8_3ELb0ES6_jNS0_17counting_iteratorIjlEEPS9_SE_NS0_5tupleIJPjSE_EEENSF_IJSE_SE_EEES9_SG_JZNS1_25segmented_radix_sort_implINS0_14default_configELb0EPKaPaPKlPlN2at6native12_GLOBAL__N_18offset_tEEE10hipError_tPvRmT1_PNSt15iterator_traitsISY_E10value_typeET2_T3_PNSZ_IS14_E10value_typeET4_jRbjT5_S1A_jjP12ihipStream_tbEUljE_EEESV_SW_SX_S14_S18_S1A_T6_T7_T9_mT8_S1C_bDpT10_ENKUlT_T0_E_clISt17integral_constantIbLb1EES1P_EEDaS1K_S1L_EUlS1K_E_NS1_11comp_targetILNS1_3genE4ELNS1_11target_archE910ELNS1_3gpuE8ELNS1_3repE0EEENS1_30default_config_static_selectorELNS0_4arch9wavefront6targetE0EEEvSY_ ; -- Begin function _ZN7rocprim17ROCPRIM_400000_NS6detail17trampoline_kernelINS0_13select_configILj256ELj13ELNS0_17block_load_methodE3ELS4_3ELS4_3ELNS0_20block_scan_algorithmE0ELj4294967295EEENS1_25partition_config_selectorILNS1_17partition_subalgoE3EjNS0_10empty_typeEbEEZZNS1_14partition_implILS8_3ELb0ES6_jNS0_17counting_iteratorIjlEEPS9_SE_NS0_5tupleIJPjSE_EEENSF_IJSE_SE_EEES9_SG_JZNS1_25segmented_radix_sort_implINS0_14default_configELb0EPKaPaPKlPlN2at6native12_GLOBAL__N_18offset_tEEE10hipError_tPvRmT1_PNSt15iterator_traitsISY_E10value_typeET2_T3_PNSZ_IS14_E10value_typeET4_jRbjT5_S1A_jjP12ihipStream_tbEUljE_EEESV_SW_SX_S14_S18_S1A_T6_T7_T9_mT8_S1C_bDpT10_ENKUlT_T0_E_clISt17integral_constantIbLb1EES1P_EEDaS1K_S1L_EUlS1K_E_NS1_11comp_targetILNS1_3genE4ELNS1_11target_archE910ELNS1_3gpuE8ELNS1_3repE0EEENS1_30default_config_static_selectorELNS0_4arch9wavefront6targetE0EEEvSY_
	.p2align	8
	.type	_ZN7rocprim17ROCPRIM_400000_NS6detail17trampoline_kernelINS0_13select_configILj256ELj13ELNS0_17block_load_methodE3ELS4_3ELS4_3ELNS0_20block_scan_algorithmE0ELj4294967295EEENS1_25partition_config_selectorILNS1_17partition_subalgoE3EjNS0_10empty_typeEbEEZZNS1_14partition_implILS8_3ELb0ES6_jNS0_17counting_iteratorIjlEEPS9_SE_NS0_5tupleIJPjSE_EEENSF_IJSE_SE_EEES9_SG_JZNS1_25segmented_radix_sort_implINS0_14default_configELb0EPKaPaPKlPlN2at6native12_GLOBAL__N_18offset_tEEE10hipError_tPvRmT1_PNSt15iterator_traitsISY_E10value_typeET2_T3_PNSZ_IS14_E10value_typeET4_jRbjT5_S1A_jjP12ihipStream_tbEUljE_EEESV_SW_SX_S14_S18_S1A_T6_T7_T9_mT8_S1C_bDpT10_ENKUlT_T0_E_clISt17integral_constantIbLb1EES1P_EEDaS1K_S1L_EUlS1K_E_NS1_11comp_targetILNS1_3genE4ELNS1_11target_archE910ELNS1_3gpuE8ELNS1_3repE0EEENS1_30default_config_static_selectorELNS0_4arch9wavefront6targetE0EEEvSY_,@function
_ZN7rocprim17ROCPRIM_400000_NS6detail17trampoline_kernelINS0_13select_configILj256ELj13ELNS0_17block_load_methodE3ELS4_3ELS4_3ELNS0_20block_scan_algorithmE0ELj4294967295EEENS1_25partition_config_selectorILNS1_17partition_subalgoE3EjNS0_10empty_typeEbEEZZNS1_14partition_implILS8_3ELb0ES6_jNS0_17counting_iteratorIjlEEPS9_SE_NS0_5tupleIJPjSE_EEENSF_IJSE_SE_EEES9_SG_JZNS1_25segmented_radix_sort_implINS0_14default_configELb0EPKaPaPKlPlN2at6native12_GLOBAL__N_18offset_tEEE10hipError_tPvRmT1_PNSt15iterator_traitsISY_E10value_typeET2_T3_PNSZ_IS14_E10value_typeET4_jRbjT5_S1A_jjP12ihipStream_tbEUljE_EEESV_SW_SX_S14_S18_S1A_T6_T7_T9_mT8_S1C_bDpT10_ENKUlT_T0_E_clISt17integral_constantIbLb1EES1P_EEDaS1K_S1L_EUlS1K_E_NS1_11comp_targetILNS1_3genE4ELNS1_11target_archE910ELNS1_3gpuE8ELNS1_3repE0EEENS1_30default_config_static_selectorELNS0_4arch9wavefront6targetE0EEEvSY_: ; @_ZN7rocprim17ROCPRIM_400000_NS6detail17trampoline_kernelINS0_13select_configILj256ELj13ELNS0_17block_load_methodE3ELS4_3ELS4_3ELNS0_20block_scan_algorithmE0ELj4294967295EEENS1_25partition_config_selectorILNS1_17partition_subalgoE3EjNS0_10empty_typeEbEEZZNS1_14partition_implILS8_3ELb0ES6_jNS0_17counting_iteratorIjlEEPS9_SE_NS0_5tupleIJPjSE_EEENSF_IJSE_SE_EEES9_SG_JZNS1_25segmented_radix_sort_implINS0_14default_configELb0EPKaPaPKlPlN2at6native12_GLOBAL__N_18offset_tEEE10hipError_tPvRmT1_PNSt15iterator_traitsISY_E10value_typeET2_T3_PNSZ_IS14_E10value_typeET4_jRbjT5_S1A_jjP12ihipStream_tbEUljE_EEESV_SW_SX_S14_S18_S1A_T6_T7_T9_mT8_S1C_bDpT10_ENKUlT_T0_E_clISt17integral_constantIbLb1EES1P_EEDaS1K_S1L_EUlS1K_E_NS1_11comp_targetILNS1_3genE4ELNS1_11target_archE910ELNS1_3gpuE8ELNS1_3repE0EEENS1_30default_config_static_selectorELNS0_4arch9wavefront6targetE0EEEvSY_
; %bb.0:
	.section	.rodata,"a",@progbits
	.p2align	6, 0x0
	.amdhsa_kernel _ZN7rocprim17ROCPRIM_400000_NS6detail17trampoline_kernelINS0_13select_configILj256ELj13ELNS0_17block_load_methodE3ELS4_3ELS4_3ELNS0_20block_scan_algorithmE0ELj4294967295EEENS1_25partition_config_selectorILNS1_17partition_subalgoE3EjNS0_10empty_typeEbEEZZNS1_14partition_implILS8_3ELb0ES6_jNS0_17counting_iteratorIjlEEPS9_SE_NS0_5tupleIJPjSE_EEENSF_IJSE_SE_EEES9_SG_JZNS1_25segmented_radix_sort_implINS0_14default_configELb0EPKaPaPKlPlN2at6native12_GLOBAL__N_18offset_tEEE10hipError_tPvRmT1_PNSt15iterator_traitsISY_E10value_typeET2_T3_PNSZ_IS14_E10value_typeET4_jRbjT5_S1A_jjP12ihipStream_tbEUljE_EEESV_SW_SX_S14_S18_S1A_T6_T7_T9_mT8_S1C_bDpT10_ENKUlT_T0_E_clISt17integral_constantIbLb1EES1P_EEDaS1K_S1L_EUlS1K_E_NS1_11comp_targetILNS1_3genE4ELNS1_11target_archE910ELNS1_3gpuE8ELNS1_3repE0EEENS1_30default_config_static_selectorELNS0_4arch9wavefront6targetE0EEEvSY_
		.amdhsa_group_segment_fixed_size 0
		.amdhsa_private_segment_fixed_size 0
		.amdhsa_kernarg_size 152
		.amdhsa_user_sgpr_count 6
		.amdhsa_user_sgpr_private_segment_buffer 1
		.amdhsa_user_sgpr_dispatch_ptr 0
		.amdhsa_user_sgpr_queue_ptr 0
		.amdhsa_user_sgpr_kernarg_segment_ptr 1
		.amdhsa_user_sgpr_dispatch_id 0
		.amdhsa_user_sgpr_flat_scratch_init 0
		.amdhsa_user_sgpr_private_segment_size 0
		.amdhsa_wavefront_size32 1
		.amdhsa_uses_dynamic_stack 0
		.amdhsa_system_sgpr_private_segment_wavefront_offset 0
		.amdhsa_system_sgpr_workgroup_id_x 1
		.amdhsa_system_sgpr_workgroup_id_y 0
		.amdhsa_system_sgpr_workgroup_id_z 0
		.amdhsa_system_sgpr_workgroup_info 0
		.amdhsa_system_vgpr_workitem_id 0
		.amdhsa_next_free_vgpr 1
		.amdhsa_next_free_sgpr 1
		.amdhsa_reserve_vcc 0
		.amdhsa_reserve_flat_scratch 0
		.amdhsa_float_round_mode_32 0
		.amdhsa_float_round_mode_16_64 0
		.amdhsa_float_denorm_mode_32 3
		.amdhsa_float_denorm_mode_16_64 3
		.amdhsa_dx10_clamp 1
		.amdhsa_ieee_mode 1
		.amdhsa_fp16_overflow 0
		.amdhsa_workgroup_processor_mode 1
		.amdhsa_memory_ordered 1
		.amdhsa_forward_progress 1
		.amdhsa_shared_vgpr_count 0
		.amdhsa_exception_fp_ieee_invalid_op 0
		.amdhsa_exception_fp_denorm_src 0
		.amdhsa_exception_fp_ieee_div_zero 0
		.amdhsa_exception_fp_ieee_overflow 0
		.amdhsa_exception_fp_ieee_underflow 0
		.amdhsa_exception_fp_ieee_inexact 0
		.amdhsa_exception_int_div_zero 0
	.end_amdhsa_kernel
	.section	.text._ZN7rocprim17ROCPRIM_400000_NS6detail17trampoline_kernelINS0_13select_configILj256ELj13ELNS0_17block_load_methodE3ELS4_3ELS4_3ELNS0_20block_scan_algorithmE0ELj4294967295EEENS1_25partition_config_selectorILNS1_17partition_subalgoE3EjNS0_10empty_typeEbEEZZNS1_14partition_implILS8_3ELb0ES6_jNS0_17counting_iteratorIjlEEPS9_SE_NS0_5tupleIJPjSE_EEENSF_IJSE_SE_EEES9_SG_JZNS1_25segmented_radix_sort_implINS0_14default_configELb0EPKaPaPKlPlN2at6native12_GLOBAL__N_18offset_tEEE10hipError_tPvRmT1_PNSt15iterator_traitsISY_E10value_typeET2_T3_PNSZ_IS14_E10value_typeET4_jRbjT5_S1A_jjP12ihipStream_tbEUljE_EEESV_SW_SX_S14_S18_S1A_T6_T7_T9_mT8_S1C_bDpT10_ENKUlT_T0_E_clISt17integral_constantIbLb1EES1P_EEDaS1K_S1L_EUlS1K_E_NS1_11comp_targetILNS1_3genE4ELNS1_11target_archE910ELNS1_3gpuE8ELNS1_3repE0EEENS1_30default_config_static_selectorELNS0_4arch9wavefront6targetE0EEEvSY_,"axG",@progbits,_ZN7rocprim17ROCPRIM_400000_NS6detail17trampoline_kernelINS0_13select_configILj256ELj13ELNS0_17block_load_methodE3ELS4_3ELS4_3ELNS0_20block_scan_algorithmE0ELj4294967295EEENS1_25partition_config_selectorILNS1_17partition_subalgoE3EjNS0_10empty_typeEbEEZZNS1_14partition_implILS8_3ELb0ES6_jNS0_17counting_iteratorIjlEEPS9_SE_NS0_5tupleIJPjSE_EEENSF_IJSE_SE_EEES9_SG_JZNS1_25segmented_radix_sort_implINS0_14default_configELb0EPKaPaPKlPlN2at6native12_GLOBAL__N_18offset_tEEE10hipError_tPvRmT1_PNSt15iterator_traitsISY_E10value_typeET2_T3_PNSZ_IS14_E10value_typeET4_jRbjT5_S1A_jjP12ihipStream_tbEUljE_EEESV_SW_SX_S14_S18_S1A_T6_T7_T9_mT8_S1C_bDpT10_ENKUlT_T0_E_clISt17integral_constantIbLb1EES1P_EEDaS1K_S1L_EUlS1K_E_NS1_11comp_targetILNS1_3genE4ELNS1_11target_archE910ELNS1_3gpuE8ELNS1_3repE0EEENS1_30default_config_static_selectorELNS0_4arch9wavefront6targetE0EEEvSY_,comdat
.Lfunc_end368:
	.size	_ZN7rocprim17ROCPRIM_400000_NS6detail17trampoline_kernelINS0_13select_configILj256ELj13ELNS0_17block_load_methodE3ELS4_3ELS4_3ELNS0_20block_scan_algorithmE0ELj4294967295EEENS1_25partition_config_selectorILNS1_17partition_subalgoE3EjNS0_10empty_typeEbEEZZNS1_14partition_implILS8_3ELb0ES6_jNS0_17counting_iteratorIjlEEPS9_SE_NS0_5tupleIJPjSE_EEENSF_IJSE_SE_EEES9_SG_JZNS1_25segmented_radix_sort_implINS0_14default_configELb0EPKaPaPKlPlN2at6native12_GLOBAL__N_18offset_tEEE10hipError_tPvRmT1_PNSt15iterator_traitsISY_E10value_typeET2_T3_PNSZ_IS14_E10value_typeET4_jRbjT5_S1A_jjP12ihipStream_tbEUljE_EEESV_SW_SX_S14_S18_S1A_T6_T7_T9_mT8_S1C_bDpT10_ENKUlT_T0_E_clISt17integral_constantIbLb1EES1P_EEDaS1K_S1L_EUlS1K_E_NS1_11comp_targetILNS1_3genE4ELNS1_11target_archE910ELNS1_3gpuE8ELNS1_3repE0EEENS1_30default_config_static_selectorELNS0_4arch9wavefront6targetE0EEEvSY_, .Lfunc_end368-_ZN7rocprim17ROCPRIM_400000_NS6detail17trampoline_kernelINS0_13select_configILj256ELj13ELNS0_17block_load_methodE3ELS4_3ELS4_3ELNS0_20block_scan_algorithmE0ELj4294967295EEENS1_25partition_config_selectorILNS1_17partition_subalgoE3EjNS0_10empty_typeEbEEZZNS1_14partition_implILS8_3ELb0ES6_jNS0_17counting_iteratorIjlEEPS9_SE_NS0_5tupleIJPjSE_EEENSF_IJSE_SE_EEES9_SG_JZNS1_25segmented_radix_sort_implINS0_14default_configELb0EPKaPaPKlPlN2at6native12_GLOBAL__N_18offset_tEEE10hipError_tPvRmT1_PNSt15iterator_traitsISY_E10value_typeET2_T3_PNSZ_IS14_E10value_typeET4_jRbjT5_S1A_jjP12ihipStream_tbEUljE_EEESV_SW_SX_S14_S18_S1A_T6_T7_T9_mT8_S1C_bDpT10_ENKUlT_T0_E_clISt17integral_constantIbLb1EES1P_EEDaS1K_S1L_EUlS1K_E_NS1_11comp_targetILNS1_3genE4ELNS1_11target_archE910ELNS1_3gpuE8ELNS1_3repE0EEENS1_30default_config_static_selectorELNS0_4arch9wavefront6targetE0EEEvSY_
                                        ; -- End function
	.set _ZN7rocprim17ROCPRIM_400000_NS6detail17trampoline_kernelINS0_13select_configILj256ELj13ELNS0_17block_load_methodE3ELS4_3ELS4_3ELNS0_20block_scan_algorithmE0ELj4294967295EEENS1_25partition_config_selectorILNS1_17partition_subalgoE3EjNS0_10empty_typeEbEEZZNS1_14partition_implILS8_3ELb0ES6_jNS0_17counting_iteratorIjlEEPS9_SE_NS0_5tupleIJPjSE_EEENSF_IJSE_SE_EEES9_SG_JZNS1_25segmented_radix_sort_implINS0_14default_configELb0EPKaPaPKlPlN2at6native12_GLOBAL__N_18offset_tEEE10hipError_tPvRmT1_PNSt15iterator_traitsISY_E10value_typeET2_T3_PNSZ_IS14_E10value_typeET4_jRbjT5_S1A_jjP12ihipStream_tbEUljE_EEESV_SW_SX_S14_S18_S1A_T6_T7_T9_mT8_S1C_bDpT10_ENKUlT_T0_E_clISt17integral_constantIbLb1EES1P_EEDaS1K_S1L_EUlS1K_E_NS1_11comp_targetILNS1_3genE4ELNS1_11target_archE910ELNS1_3gpuE8ELNS1_3repE0EEENS1_30default_config_static_selectorELNS0_4arch9wavefront6targetE0EEEvSY_.num_vgpr, 0
	.set _ZN7rocprim17ROCPRIM_400000_NS6detail17trampoline_kernelINS0_13select_configILj256ELj13ELNS0_17block_load_methodE3ELS4_3ELS4_3ELNS0_20block_scan_algorithmE0ELj4294967295EEENS1_25partition_config_selectorILNS1_17partition_subalgoE3EjNS0_10empty_typeEbEEZZNS1_14partition_implILS8_3ELb0ES6_jNS0_17counting_iteratorIjlEEPS9_SE_NS0_5tupleIJPjSE_EEENSF_IJSE_SE_EEES9_SG_JZNS1_25segmented_radix_sort_implINS0_14default_configELb0EPKaPaPKlPlN2at6native12_GLOBAL__N_18offset_tEEE10hipError_tPvRmT1_PNSt15iterator_traitsISY_E10value_typeET2_T3_PNSZ_IS14_E10value_typeET4_jRbjT5_S1A_jjP12ihipStream_tbEUljE_EEESV_SW_SX_S14_S18_S1A_T6_T7_T9_mT8_S1C_bDpT10_ENKUlT_T0_E_clISt17integral_constantIbLb1EES1P_EEDaS1K_S1L_EUlS1K_E_NS1_11comp_targetILNS1_3genE4ELNS1_11target_archE910ELNS1_3gpuE8ELNS1_3repE0EEENS1_30default_config_static_selectorELNS0_4arch9wavefront6targetE0EEEvSY_.num_agpr, 0
	.set _ZN7rocprim17ROCPRIM_400000_NS6detail17trampoline_kernelINS0_13select_configILj256ELj13ELNS0_17block_load_methodE3ELS4_3ELS4_3ELNS0_20block_scan_algorithmE0ELj4294967295EEENS1_25partition_config_selectorILNS1_17partition_subalgoE3EjNS0_10empty_typeEbEEZZNS1_14partition_implILS8_3ELb0ES6_jNS0_17counting_iteratorIjlEEPS9_SE_NS0_5tupleIJPjSE_EEENSF_IJSE_SE_EEES9_SG_JZNS1_25segmented_radix_sort_implINS0_14default_configELb0EPKaPaPKlPlN2at6native12_GLOBAL__N_18offset_tEEE10hipError_tPvRmT1_PNSt15iterator_traitsISY_E10value_typeET2_T3_PNSZ_IS14_E10value_typeET4_jRbjT5_S1A_jjP12ihipStream_tbEUljE_EEESV_SW_SX_S14_S18_S1A_T6_T7_T9_mT8_S1C_bDpT10_ENKUlT_T0_E_clISt17integral_constantIbLb1EES1P_EEDaS1K_S1L_EUlS1K_E_NS1_11comp_targetILNS1_3genE4ELNS1_11target_archE910ELNS1_3gpuE8ELNS1_3repE0EEENS1_30default_config_static_selectorELNS0_4arch9wavefront6targetE0EEEvSY_.numbered_sgpr, 0
	.set _ZN7rocprim17ROCPRIM_400000_NS6detail17trampoline_kernelINS0_13select_configILj256ELj13ELNS0_17block_load_methodE3ELS4_3ELS4_3ELNS0_20block_scan_algorithmE0ELj4294967295EEENS1_25partition_config_selectorILNS1_17partition_subalgoE3EjNS0_10empty_typeEbEEZZNS1_14partition_implILS8_3ELb0ES6_jNS0_17counting_iteratorIjlEEPS9_SE_NS0_5tupleIJPjSE_EEENSF_IJSE_SE_EEES9_SG_JZNS1_25segmented_radix_sort_implINS0_14default_configELb0EPKaPaPKlPlN2at6native12_GLOBAL__N_18offset_tEEE10hipError_tPvRmT1_PNSt15iterator_traitsISY_E10value_typeET2_T3_PNSZ_IS14_E10value_typeET4_jRbjT5_S1A_jjP12ihipStream_tbEUljE_EEESV_SW_SX_S14_S18_S1A_T6_T7_T9_mT8_S1C_bDpT10_ENKUlT_T0_E_clISt17integral_constantIbLb1EES1P_EEDaS1K_S1L_EUlS1K_E_NS1_11comp_targetILNS1_3genE4ELNS1_11target_archE910ELNS1_3gpuE8ELNS1_3repE0EEENS1_30default_config_static_selectorELNS0_4arch9wavefront6targetE0EEEvSY_.num_named_barrier, 0
	.set _ZN7rocprim17ROCPRIM_400000_NS6detail17trampoline_kernelINS0_13select_configILj256ELj13ELNS0_17block_load_methodE3ELS4_3ELS4_3ELNS0_20block_scan_algorithmE0ELj4294967295EEENS1_25partition_config_selectorILNS1_17partition_subalgoE3EjNS0_10empty_typeEbEEZZNS1_14partition_implILS8_3ELb0ES6_jNS0_17counting_iteratorIjlEEPS9_SE_NS0_5tupleIJPjSE_EEENSF_IJSE_SE_EEES9_SG_JZNS1_25segmented_radix_sort_implINS0_14default_configELb0EPKaPaPKlPlN2at6native12_GLOBAL__N_18offset_tEEE10hipError_tPvRmT1_PNSt15iterator_traitsISY_E10value_typeET2_T3_PNSZ_IS14_E10value_typeET4_jRbjT5_S1A_jjP12ihipStream_tbEUljE_EEESV_SW_SX_S14_S18_S1A_T6_T7_T9_mT8_S1C_bDpT10_ENKUlT_T0_E_clISt17integral_constantIbLb1EES1P_EEDaS1K_S1L_EUlS1K_E_NS1_11comp_targetILNS1_3genE4ELNS1_11target_archE910ELNS1_3gpuE8ELNS1_3repE0EEENS1_30default_config_static_selectorELNS0_4arch9wavefront6targetE0EEEvSY_.private_seg_size, 0
	.set _ZN7rocprim17ROCPRIM_400000_NS6detail17trampoline_kernelINS0_13select_configILj256ELj13ELNS0_17block_load_methodE3ELS4_3ELS4_3ELNS0_20block_scan_algorithmE0ELj4294967295EEENS1_25partition_config_selectorILNS1_17partition_subalgoE3EjNS0_10empty_typeEbEEZZNS1_14partition_implILS8_3ELb0ES6_jNS0_17counting_iteratorIjlEEPS9_SE_NS0_5tupleIJPjSE_EEENSF_IJSE_SE_EEES9_SG_JZNS1_25segmented_radix_sort_implINS0_14default_configELb0EPKaPaPKlPlN2at6native12_GLOBAL__N_18offset_tEEE10hipError_tPvRmT1_PNSt15iterator_traitsISY_E10value_typeET2_T3_PNSZ_IS14_E10value_typeET4_jRbjT5_S1A_jjP12ihipStream_tbEUljE_EEESV_SW_SX_S14_S18_S1A_T6_T7_T9_mT8_S1C_bDpT10_ENKUlT_T0_E_clISt17integral_constantIbLb1EES1P_EEDaS1K_S1L_EUlS1K_E_NS1_11comp_targetILNS1_3genE4ELNS1_11target_archE910ELNS1_3gpuE8ELNS1_3repE0EEENS1_30default_config_static_selectorELNS0_4arch9wavefront6targetE0EEEvSY_.uses_vcc, 0
	.set _ZN7rocprim17ROCPRIM_400000_NS6detail17trampoline_kernelINS0_13select_configILj256ELj13ELNS0_17block_load_methodE3ELS4_3ELS4_3ELNS0_20block_scan_algorithmE0ELj4294967295EEENS1_25partition_config_selectorILNS1_17partition_subalgoE3EjNS0_10empty_typeEbEEZZNS1_14partition_implILS8_3ELb0ES6_jNS0_17counting_iteratorIjlEEPS9_SE_NS0_5tupleIJPjSE_EEENSF_IJSE_SE_EEES9_SG_JZNS1_25segmented_radix_sort_implINS0_14default_configELb0EPKaPaPKlPlN2at6native12_GLOBAL__N_18offset_tEEE10hipError_tPvRmT1_PNSt15iterator_traitsISY_E10value_typeET2_T3_PNSZ_IS14_E10value_typeET4_jRbjT5_S1A_jjP12ihipStream_tbEUljE_EEESV_SW_SX_S14_S18_S1A_T6_T7_T9_mT8_S1C_bDpT10_ENKUlT_T0_E_clISt17integral_constantIbLb1EES1P_EEDaS1K_S1L_EUlS1K_E_NS1_11comp_targetILNS1_3genE4ELNS1_11target_archE910ELNS1_3gpuE8ELNS1_3repE0EEENS1_30default_config_static_selectorELNS0_4arch9wavefront6targetE0EEEvSY_.uses_flat_scratch, 0
	.set _ZN7rocprim17ROCPRIM_400000_NS6detail17trampoline_kernelINS0_13select_configILj256ELj13ELNS0_17block_load_methodE3ELS4_3ELS4_3ELNS0_20block_scan_algorithmE0ELj4294967295EEENS1_25partition_config_selectorILNS1_17partition_subalgoE3EjNS0_10empty_typeEbEEZZNS1_14partition_implILS8_3ELb0ES6_jNS0_17counting_iteratorIjlEEPS9_SE_NS0_5tupleIJPjSE_EEENSF_IJSE_SE_EEES9_SG_JZNS1_25segmented_radix_sort_implINS0_14default_configELb0EPKaPaPKlPlN2at6native12_GLOBAL__N_18offset_tEEE10hipError_tPvRmT1_PNSt15iterator_traitsISY_E10value_typeET2_T3_PNSZ_IS14_E10value_typeET4_jRbjT5_S1A_jjP12ihipStream_tbEUljE_EEESV_SW_SX_S14_S18_S1A_T6_T7_T9_mT8_S1C_bDpT10_ENKUlT_T0_E_clISt17integral_constantIbLb1EES1P_EEDaS1K_S1L_EUlS1K_E_NS1_11comp_targetILNS1_3genE4ELNS1_11target_archE910ELNS1_3gpuE8ELNS1_3repE0EEENS1_30default_config_static_selectorELNS0_4arch9wavefront6targetE0EEEvSY_.has_dyn_sized_stack, 0
	.set _ZN7rocprim17ROCPRIM_400000_NS6detail17trampoline_kernelINS0_13select_configILj256ELj13ELNS0_17block_load_methodE3ELS4_3ELS4_3ELNS0_20block_scan_algorithmE0ELj4294967295EEENS1_25partition_config_selectorILNS1_17partition_subalgoE3EjNS0_10empty_typeEbEEZZNS1_14partition_implILS8_3ELb0ES6_jNS0_17counting_iteratorIjlEEPS9_SE_NS0_5tupleIJPjSE_EEENSF_IJSE_SE_EEES9_SG_JZNS1_25segmented_radix_sort_implINS0_14default_configELb0EPKaPaPKlPlN2at6native12_GLOBAL__N_18offset_tEEE10hipError_tPvRmT1_PNSt15iterator_traitsISY_E10value_typeET2_T3_PNSZ_IS14_E10value_typeET4_jRbjT5_S1A_jjP12ihipStream_tbEUljE_EEESV_SW_SX_S14_S18_S1A_T6_T7_T9_mT8_S1C_bDpT10_ENKUlT_T0_E_clISt17integral_constantIbLb1EES1P_EEDaS1K_S1L_EUlS1K_E_NS1_11comp_targetILNS1_3genE4ELNS1_11target_archE910ELNS1_3gpuE8ELNS1_3repE0EEENS1_30default_config_static_selectorELNS0_4arch9wavefront6targetE0EEEvSY_.has_recursion, 0
	.set _ZN7rocprim17ROCPRIM_400000_NS6detail17trampoline_kernelINS0_13select_configILj256ELj13ELNS0_17block_load_methodE3ELS4_3ELS4_3ELNS0_20block_scan_algorithmE0ELj4294967295EEENS1_25partition_config_selectorILNS1_17partition_subalgoE3EjNS0_10empty_typeEbEEZZNS1_14partition_implILS8_3ELb0ES6_jNS0_17counting_iteratorIjlEEPS9_SE_NS0_5tupleIJPjSE_EEENSF_IJSE_SE_EEES9_SG_JZNS1_25segmented_radix_sort_implINS0_14default_configELb0EPKaPaPKlPlN2at6native12_GLOBAL__N_18offset_tEEE10hipError_tPvRmT1_PNSt15iterator_traitsISY_E10value_typeET2_T3_PNSZ_IS14_E10value_typeET4_jRbjT5_S1A_jjP12ihipStream_tbEUljE_EEESV_SW_SX_S14_S18_S1A_T6_T7_T9_mT8_S1C_bDpT10_ENKUlT_T0_E_clISt17integral_constantIbLb1EES1P_EEDaS1K_S1L_EUlS1K_E_NS1_11comp_targetILNS1_3genE4ELNS1_11target_archE910ELNS1_3gpuE8ELNS1_3repE0EEENS1_30default_config_static_selectorELNS0_4arch9wavefront6targetE0EEEvSY_.has_indirect_call, 0
	.section	.AMDGPU.csdata,"",@progbits
; Kernel info:
; codeLenInByte = 0
; TotalNumSgprs: 0
; NumVgprs: 0
; ScratchSize: 0
; MemoryBound: 0
; FloatMode: 240
; IeeeMode: 1
; LDSByteSize: 0 bytes/workgroup (compile time only)
; SGPRBlocks: 0
; VGPRBlocks: 0
; NumSGPRsForWavesPerEU: 1
; NumVGPRsForWavesPerEU: 1
; Occupancy: 16
; WaveLimiterHint : 0
; COMPUTE_PGM_RSRC2:SCRATCH_EN: 0
; COMPUTE_PGM_RSRC2:USER_SGPR: 6
; COMPUTE_PGM_RSRC2:TRAP_HANDLER: 0
; COMPUTE_PGM_RSRC2:TGID_X_EN: 1
; COMPUTE_PGM_RSRC2:TGID_Y_EN: 0
; COMPUTE_PGM_RSRC2:TGID_Z_EN: 0
; COMPUTE_PGM_RSRC2:TIDIG_COMP_CNT: 0
	.section	.text._ZN7rocprim17ROCPRIM_400000_NS6detail17trampoline_kernelINS0_13select_configILj256ELj13ELNS0_17block_load_methodE3ELS4_3ELS4_3ELNS0_20block_scan_algorithmE0ELj4294967295EEENS1_25partition_config_selectorILNS1_17partition_subalgoE3EjNS0_10empty_typeEbEEZZNS1_14partition_implILS8_3ELb0ES6_jNS0_17counting_iteratorIjlEEPS9_SE_NS0_5tupleIJPjSE_EEENSF_IJSE_SE_EEES9_SG_JZNS1_25segmented_radix_sort_implINS0_14default_configELb0EPKaPaPKlPlN2at6native12_GLOBAL__N_18offset_tEEE10hipError_tPvRmT1_PNSt15iterator_traitsISY_E10value_typeET2_T3_PNSZ_IS14_E10value_typeET4_jRbjT5_S1A_jjP12ihipStream_tbEUljE_EEESV_SW_SX_S14_S18_S1A_T6_T7_T9_mT8_S1C_bDpT10_ENKUlT_T0_E_clISt17integral_constantIbLb1EES1P_EEDaS1K_S1L_EUlS1K_E_NS1_11comp_targetILNS1_3genE3ELNS1_11target_archE908ELNS1_3gpuE7ELNS1_3repE0EEENS1_30default_config_static_selectorELNS0_4arch9wavefront6targetE0EEEvSY_,"axG",@progbits,_ZN7rocprim17ROCPRIM_400000_NS6detail17trampoline_kernelINS0_13select_configILj256ELj13ELNS0_17block_load_methodE3ELS4_3ELS4_3ELNS0_20block_scan_algorithmE0ELj4294967295EEENS1_25partition_config_selectorILNS1_17partition_subalgoE3EjNS0_10empty_typeEbEEZZNS1_14partition_implILS8_3ELb0ES6_jNS0_17counting_iteratorIjlEEPS9_SE_NS0_5tupleIJPjSE_EEENSF_IJSE_SE_EEES9_SG_JZNS1_25segmented_radix_sort_implINS0_14default_configELb0EPKaPaPKlPlN2at6native12_GLOBAL__N_18offset_tEEE10hipError_tPvRmT1_PNSt15iterator_traitsISY_E10value_typeET2_T3_PNSZ_IS14_E10value_typeET4_jRbjT5_S1A_jjP12ihipStream_tbEUljE_EEESV_SW_SX_S14_S18_S1A_T6_T7_T9_mT8_S1C_bDpT10_ENKUlT_T0_E_clISt17integral_constantIbLb1EES1P_EEDaS1K_S1L_EUlS1K_E_NS1_11comp_targetILNS1_3genE3ELNS1_11target_archE908ELNS1_3gpuE7ELNS1_3repE0EEENS1_30default_config_static_selectorELNS0_4arch9wavefront6targetE0EEEvSY_,comdat
	.globl	_ZN7rocprim17ROCPRIM_400000_NS6detail17trampoline_kernelINS0_13select_configILj256ELj13ELNS0_17block_load_methodE3ELS4_3ELS4_3ELNS0_20block_scan_algorithmE0ELj4294967295EEENS1_25partition_config_selectorILNS1_17partition_subalgoE3EjNS0_10empty_typeEbEEZZNS1_14partition_implILS8_3ELb0ES6_jNS0_17counting_iteratorIjlEEPS9_SE_NS0_5tupleIJPjSE_EEENSF_IJSE_SE_EEES9_SG_JZNS1_25segmented_radix_sort_implINS0_14default_configELb0EPKaPaPKlPlN2at6native12_GLOBAL__N_18offset_tEEE10hipError_tPvRmT1_PNSt15iterator_traitsISY_E10value_typeET2_T3_PNSZ_IS14_E10value_typeET4_jRbjT5_S1A_jjP12ihipStream_tbEUljE_EEESV_SW_SX_S14_S18_S1A_T6_T7_T9_mT8_S1C_bDpT10_ENKUlT_T0_E_clISt17integral_constantIbLb1EES1P_EEDaS1K_S1L_EUlS1K_E_NS1_11comp_targetILNS1_3genE3ELNS1_11target_archE908ELNS1_3gpuE7ELNS1_3repE0EEENS1_30default_config_static_selectorELNS0_4arch9wavefront6targetE0EEEvSY_ ; -- Begin function _ZN7rocprim17ROCPRIM_400000_NS6detail17trampoline_kernelINS0_13select_configILj256ELj13ELNS0_17block_load_methodE3ELS4_3ELS4_3ELNS0_20block_scan_algorithmE0ELj4294967295EEENS1_25partition_config_selectorILNS1_17partition_subalgoE3EjNS0_10empty_typeEbEEZZNS1_14partition_implILS8_3ELb0ES6_jNS0_17counting_iteratorIjlEEPS9_SE_NS0_5tupleIJPjSE_EEENSF_IJSE_SE_EEES9_SG_JZNS1_25segmented_radix_sort_implINS0_14default_configELb0EPKaPaPKlPlN2at6native12_GLOBAL__N_18offset_tEEE10hipError_tPvRmT1_PNSt15iterator_traitsISY_E10value_typeET2_T3_PNSZ_IS14_E10value_typeET4_jRbjT5_S1A_jjP12ihipStream_tbEUljE_EEESV_SW_SX_S14_S18_S1A_T6_T7_T9_mT8_S1C_bDpT10_ENKUlT_T0_E_clISt17integral_constantIbLb1EES1P_EEDaS1K_S1L_EUlS1K_E_NS1_11comp_targetILNS1_3genE3ELNS1_11target_archE908ELNS1_3gpuE7ELNS1_3repE0EEENS1_30default_config_static_selectorELNS0_4arch9wavefront6targetE0EEEvSY_
	.p2align	8
	.type	_ZN7rocprim17ROCPRIM_400000_NS6detail17trampoline_kernelINS0_13select_configILj256ELj13ELNS0_17block_load_methodE3ELS4_3ELS4_3ELNS0_20block_scan_algorithmE0ELj4294967295EEENS1_25partition_config_selectorILNS1_17partition_subalgoE3EjNS0_10empty_typeEbEEZZNS1_14partition_implILS8_3ELb0ES6_jNS0_17counting_iteratorIjlEEPS9_SE_NS0_5tupleIJPjSE_EEENSF_IJSE_SE_EEES9_SG_JZNS1_25segmented_radix_sort_implINS0_14default_configELb0EPKaPaPKlPlN2at6native12_GLOBAL__N_18offset_tEEE10hipError_tPvRmT1_PNSt15iterator_traitsISY_E10value_typeET2_T3_PNSZ_IS14_E10value_typeET4_jRbjT5_S1A_jjP12ihipStream_tbEUljE_EEESV_SW_SX_S14_S18_S1A_T6_T7_T9_mT8_S1C_bDpT10_ENKUlT_T0_E_clISt17integral_constantIbLb1EES1P_EEDaS1K_S1L_EUlS1K_E_NS1_11comp_targetILNS1_3genE3ELNS1_11target_archE908ELNS1_3gpuE7ELNS1_3repE0EEENS1_30default_config_static_selectorELNS0_4arch9wavefront6targetE0EEEvSY_,@function
_ZN7rocprim17ROCPRIM_400000_NS6detail17trampoline_kernelINS0_13select_configILj256ELj13ELNS0_17block_load_methodE3ELS4_3ELS4_3ELNS0_20block_scan_algorithmE0ELj4294967295EEENS1_25partition_config_selectorILNS1_17partition_subalgoE3EjNS0_10empty_typeEbEEZZNS1_14partition_implILS8_3ELb0ES6_jNS0_17counting_iteratorIjlEEPS9_SE_NS0_5tupleIJPjSE_EEENSF_IJSE_SE_EEES9_SG_JZNS1_25segmented_radix_sort_implINS0_14default_configELb0EPKaPaPKlPlN2at6native12_GLOBAL__N_18offset_tEEE10hipError_tPvRmT1_PNSt15iterator_traitsISY_E10value_typeET2_T3_PNSZ_IS14_E10value_typeET4_jRbjT5_S1A_jjP12ihipStream_tbEUljE_EEESV_SW_SX_S14_S18_S1A_T6_T7_T9_mT8_S1C_bDpT10_ENKUlT_T0_E_clISt17integral_constantIbLb1EES1P_EEDaS1K_S1L_EUlS1K_E_NS1_11comp_targetILNS1_3genE3ELNS1_11target_archE908ELNS1_3gpuE7ELNS1_3repE0EEENS1_30default_config_static_selectorELNS0_4arch9wavefront6targetE0EEEvSY_: ; @_ZN7rocprim17ROCPRIM_400000_NS6detail17trampoline_kernelINS0_13select_configILj256ELj13ELNS0_17block_load_methodE3ELS4_3ELS4_3ELNS0_20block_scan_algorithmE0ELj4294967295EEENS1_25partition_config_selectorILNS1_17partition_subalgoE3EjNS0_10empty_typeEbEEZZNS1_14partition_implILS8_3ELb0ES6_jNS0_17counting_iteratorIjlEEPS9_SE_NS0_5tupleIJPjSE_EEENSF_IJSE_SE_EEES9_SG_JZNS1_25segmented_radix_sort_implINS0_14default_configELb0EPKaPaPKlPlN2at6native12_GLOBAL__N_18offset_tEEE10hipError_tPvRmT1_PNSt15iterator_traitsISY_E10value_typeET2_T3_PNSZ_IS14_E10value_typeET4_jRbjT5_S1A_jjP12ihipStream_tbEUljE_EEESV_SW_SX_S14_S18_S1A_T6_T7_T9_mT8_S1C_bDpT10_ENKUlT_T0_E_clISt17integral_constantIbLb1EES1P_EEDaS1K_S1L_EUlS1K_E_NS1_11comp_targetILNS1_3genE3ELNS1_11target_archE908ELNS1_3gpuE7ELNS1_3repE0EEENS1_30default_config_static_selectorELNS0_4arch9wavefront6targetE0EEEvSY_
; %bb.0:
	.section	.rodata,"a",@progbits
	.p2align	6, 0x0
	.amdhsa_kernel _ZN7rocprim17ROCPRIM_400000_NS6detail17trampoline_kernelINS0_13select_configILj256ELj13ELNS0_17block_load_methodE3ELS4_3ELS4_3ELNS0_20block_scan_algorithmE0ELj4294967295EEENS1_25partition_config_selectorILNS1_17partition_subalgoE3EjNS0_10empty_typeEbEEZZNS1_14partition_implILS8_3ELb0ES6_jNS0_17counting_iteratorIjlEEPS9_SE_NS0_5tupleIJPjSE_EEENSF_IJSE_SE_EEES9_SG_JZNS1_25segmented_radix_sort_implINS0_14default_configELb0EPKaPaPKlPlN2at6native12_GLOBAL__N_18offset_tEEE10hipError_tPvRmT1_PNSt15iterator_traitsISY_E10value_typeET2_T3_PNSZ_IS14_E10value_typeET4_jRbjT5_S1A_jjP12ihipStream_tbEUljE_EEESV_SW_SX_S14_S18_S1A_T6_T7_T9_mT8_S1C_bDpT10_ENKUlT_T0_E_clISt17integral_constantIbLb1EES1P_EEDaS1K_S1L_EUlS1K_E_NS1_11comp_targetILNS1_3genE3ELNS1_11target_archE908ELNS1_3gpuE7ELNS1_3repE0EEENS1_30default_config_static_selectorELNS0_4arch9wavefront6targetE0EEEvSY_
		.amdhsa_group_segment_fixed_size 0
		.amdhsa_private_segment_fixed_size 0
		.amdhsa_kernarg_size 152
		.amdhsa_user_sgpr_count 6
		.amdhsa_user_sgpr_private_segment_buffer 1
		.amdhsa_user_sgpr_dispatch_ptr 0
		.amdhsa_user_sgpr_queue_ptr 0
		.amdhsa_user_sgpr_kernarg_segment_ptr 1
		.amdhsa_user_sgpr_dispatch_id 0
		.amdhsa_user_sgpr_flat_scratch_init 0
		.amdhsa_user_sgpr_private_segment_size 0
		.amdhsa_wavefront_size32 1
		.amdhsa_uses_dynamic_stack 0
		.amdhsa_system_sgpr_private_segment_wavefront_offset 0
		.amdhsa_system_sgpr_workgroup_id_x 1
		.amdhsa_system_sgpr_workgroup_id_y 0
		.amdhsa_system_sgpr_workgroup_id_z 0
		.amdhsa_system_sgpr_workgroup_info 0
		.amdhsa_system_vgpr_workitem_id 0
		.amdhsa_next_free_vgpr 1
		.amdhsa_next_free_sgpr 1
		.amdhsa_reserve_vcc 0
		.amdhsa_reserve_flat_scratch 0
		.amdhsa_float_round_mode_32 0
		.amdhsa_float_round_mode_16_64 0
		.amdhsa_float_denorm_mode_32 3
		.amdhsa_float_denorm_mode_16_64 3
		.amdhsa_dx10_clamp 1
		.amdhsa_ieee_mode 1
		.amdhsa_fp16_overflow 0
		.amdhsa_workgroup_processor_mode 1
		.amdhsa_memory_ordered 1
		.amdhsa_forward_progress 1
		.amdhsa_shared_vgpr_count 0
		.amdhsa_exception_fp_ieee_invalid_op 0
		.amdhsa_exception_fp_denorm_src 0
		.amdhsa_exception_fp_ieee_div_zero 0
		.amdhsa_exception_fp_ieee_overflow 0
		.amdhsa_exception_fp_ieee_underflow 0
		.amdhsa_exception_fp_ieee_inexact 0
		.amdhsa_exception_int_div_zero 0
	.end_amdhsa_kernel
	.section	.text._ZN7rocprim17ROCPRIM_400000_NS6detail17trampoline_kernelINS0_13select_configILj256ELj13ELNS0_17block_load_methodE3ELS4_3ELS4_3ELNS0_20block_scan_algorithmE0ELj4294967295EEENS1_25partition_config_selectorILNS1_17partition_subalgoE3EjNS0_10empty_typeEbEEZZNS1_14partition_implILS8_3ELb0ES6_jNS0_17counting_iteratorIjlEEPS9_SE_NS0_5tupleIJPjSE_EEENSF_IJSE_SE_EEES9_SG_JZNS1_25segmented_radix_sort_implINS0_14default_configELb0EPKaPaPKlPlN2at6native12_GLOBAL__N_18offset_tEEE10hipError_tPvRmT1_PNSt15iterator_traitsISY_E10value_typeET2_T3_PNSZ_IS14_E10value_typeET4_jRbjT5_S1A_jjP12ihipStream_tbEUljE_EEESV_SW_SX_S14_S18_S1A_T6_T7_T9_mT8_S1C_bDpT10_ENKUlT_T0_E_clISt17integral_constantIbLb1EES1P_EEDaS1K_S1L_EUlS1K_E_NS1_11comp_targetILNS1_3genE3ELNS1_11target_archE908ELNS1_3gpuE7ELNS1_3repE0EEENS1_30default_config_static_selectorELNS0_4arch9wavefront6targetE0EEEvSY_,"axG",@progbits,_ZN7rocprim17ROCPRIM_400000_NS6detail17trampoline_kernelINS0_13select_configILj256ELj13ELNS0_17block_load_methodE3ELS4_3ELS4_3ELNS0_20block_scan_algorithmE0ELj4294967295EEENS1_25partition_config_selectorILNS1_17partition_subalgoE3EjNS0_10empty_typeEbEEZZNS1_14partition_implILS8_3ELb0ES6_jNS0_17counting_iteratorIjlEEPS9_SE_NS0_5tupleIJPjSE_EEENSF_IJSE_SE_EEES9_SG_JZNS1_25segmented_radix_sort_implINS0_14default_configELb0EPKaPaPKlPlN2at6native12_GLOBAL__N_18offset_tEEE10hipError_tPvRmT1_PNSt15iterator_traitsISY_E10value_typeET2_T3_PNSZ_IS14_E10value_typeET4_jRbjT5_S1A_jjP12ihipStream_tbEUljE_EEESV_SW_SX_S14_S18_S1A_T6_T7_T9_mT8_S1C_bDpT10_ENKUlT_T0_E_clISt17integral_constantIbLb1EES1P_EEDaS1K_S1L_EUlS1K_E_NS1_11comp_targetILNS1_3genE3ELNS1_11target_archE908ELNS1_3gpuE7ELNS1_3repE0EEENS1_30default_config_static_selectorELNS0_4arch9wavefront6targetE0EEEvSY_,comdat
.Lfunc_end369:
	.size	_ZN7rocprim17ROCPRIM_400000_NS6detail17trampoline_kernelINS0_13select_configILj256ELj13ELNS0_17block_load_methodE3ELS4_3ELS4_3ELNS0_20block_scan_algorithmE0ELj4294967295EEENS1_25partition_config_selectorILNS1_17partition_subalgoE3EjNS0_10empty_typeEbEEZZNS1_14partition_implILS8_3ELb0ES6_jNS0_17counting_iteratorIjlEEPS9_SE_NS0_5tupleIJPjSE_EEENSF_IJSE_SE_EEES9_SG_JZNS1_25segmented_radix_sort_implINS0_14default_configELb0EPKaPaPKlPlN2at6native12_GLOBAL__N_18offset_tEEE10hipError_tPvRmT1_PNSt15iterator_traitsISY_E10value_typeET2_T3_PNSZ_IS14_E10value_typeET4_jRbjT5_S1A_jjP12ihipStream_tbEUljE_EEESV_SW_SX_S14_S18_S1A_T6_T7_T9_mT8_S1C_bDpT10_ENKUlT_T0_E_clISt17integral_constantIbLb1EES1P_EEDaS1K_S1L_EUlS1K_E_NS1_11comp_targetILNS1_3genE3ELNS1_11target_archE908ELNS1_3gpuE7ELNS1_3repE0EEENS1_30default_config_static_selectorELNS0_4arch9wavefront6targetE0EEEvSY_, .Lfunc_end369-_ZN7rocprim17ROCPRIM_400000_NS6detail17trampoline_kernelINS0_13select_configILj256ELj13ELNS0_17block_load_methodE3ELS4_3ELS4_3ELNS0_20block_scan_algorithmE0ELj4294967295EEENS1_25partition_config_selectorILNS1_17partition_subalgoE3EjNS0_10empty_typeEbEEZZNS1_14partition_implILS8_3ELb0ES6_jNS0_17counting_iteratorIjlEEPS9_SE_NS0_5tupleIJPjSE_EEENSF_IJSE_SE_EEES9_SG_JZNS1_25segmented_radix_sort_implINS0_14default_configELb0EPKaPaPKlPlN2at6native12_GLOBAL__N_18offset_tEEE10hipError_tPvRmT1_PNSt15iterator_traitsISY_E10value_typeET2_T3_PNSZ_IS14_E10value_typeET4_jRbjT5_S1A_jjP12ihipStream_tbEUljE_EEESV_SW_SX_S14_S18_S1A_T6_T7_T9_mT8_S1C_bDpT10_ENKUlT_T0_E_clISt17integral_constantIbLb1EES1P_EEDaS1K_S1L_EUlS1K_E_NS1_11comp_targetILNS1_3genE3ELNS1_11target_archE908ELNS1_3gpuE7ELNS1_3repE0EEENS1_30default_config_static_selectorELNS0_4arch9wavefront6targetE0EEEvSY_
                                        ; -- End function
	.set _ZN7rocprim17ROCPRIM_400000_NS6detail17trampoline_kernelINS0_13select_configILj256ELj13ELNS0_17block_load_methodE3ELS4_3ELS4_3ELNS0_20block_scan_algorithmE0ELj4294967295EEENS1_25partition_config_selectorILNS1_17partition_subalgoE3EjNS0_10empty_typeEbEEZZNS1_14partition_implILS8_3ELb0ES6_jNS0_17counting_iteratorIjlEEPS9_SE_NS0_5tupleIJPjSE_EEENSF_IJSE_SE_EEES9_SG_JZNS1_25segmented_radix_sort_implINS0_14default_configELb0EPKaPaPKlPlN2at6native12_GLOBAL__N_18offset_tEEE10hipError_tPvRmT1_PNSt15iterator_traitsISY_E10value_typeET2_T3_PNSZ_IS14_E10value_typeET4_jRbjT5_S1A_jjP12ihipStream_tbEUljE_EEESV_SW_SX_S14_S18_S1A_T6_T7_T9_mT8_S1C_bDpT10_ENKUlT_T0_E_clISt17integral_constantIbLb1EES1P_EEDaS1K_S1L_EUlS1K_E_NS1_11comp_targetILNS1_3genE3ELNS1_11target_archE908ELNS1_3gpuE7ELNS1_3repE0EEENS1_30default_config_static_selectorELNS0_4arch9wavefront6targetE0EEEvSY_.num_vgpr, 0
	.set _ZN7rocprim17ROCPRIM_400000_NS6detail17trampoline_kernelINS0_13select_configILj256ELj13ELNS0_17block_load_methodE3ELS4_3ELS4_3ELNS0_20block_scan_algorithmE0ELj4294967295EEENS1_25partition_config_selectorILNS1_17partition_subalgoE3EjNS0_10empty_typeEbEEZZNS1_14partition_implILS8_3ELb0ES6_jNS0_17counting_iteratorIjlEEPS9_SE_NS0_5tupleIJPjSE_EEENSF_IJSE_SE_EEES9_SG_JZNS1_25segmented_radix_sort_implINS0_14default_configELb0EPKaPaPKlPlN2at6native12_GLOBAL__N_18offset_tEEE10hipError_tPvRmT1_PNSt15iterator_traitsISY_E10value_typeET2_T3_PNSZ_IS14_E10value_typeET4_jRbjT5_S1A_jjP12ihipStream_tbEUljE_EEESV_SW_SX_S14_S18_S1A_T6_T7_T9_mT8_S1C_bDpT10_ENKUlT_T0_E_clISt17integral_constantIbLb1EES1P_EEDaS1K_S1L_EUlS1K_E_NS1_11comp_targetILNS1_3genE3ELNS1_11target_archE908ELNS1_3gpuE7ELNS1_3repE0EEENS1_30default_config_static_selectorELNS0_4arch9wavefront6targetE0EEEvSY_.num_agpr, 0
	.set _ZN7rocprim17ROCPRIM_400000_NS6detail17trampoline_kernelINS0_13select_configILj256ELj13ELNS0_17block_load_methodE3ELS4_3ELS4_3ELNS0_20block_scan_algorithmE0ELj4294967295EEENS1_25partition_config_selectorILNS1_17partition_subalgoE3EjNS0_10empty_typeEbEEZZNS1_14partition_implILS8_3ELb0ES6_jNS0_17counting_iteratorIjlEEPS9_SE_NS0_5tupleIJPjSE_EEENSF_IJSE_SE_EEES9_SG_JZNS1_25segmented_radix_sort_implINS0_14default_configELb0EPKaPaPKlPlN2at6native12_GLOBAL__N_18offset_tEEE10hipError_tPvRmT1_PNSt15iterator_traitsISY_E10value_typeET2_T3_PNSZ_IS14_E10value_typeET4_jRbjT5_S1A_jjP12ihipStream_tbEUljE_EEESV_SW_SX_S14_S18_S1A_T6_T7_T9_mT8_S1C_bDpT10_ENKUlT_T0_E_clISt17integral_constantIbLb1EES1P_EEDaS1K_S1L_EUlS1K_E_NS1_11comp_targetILNS1_3genE3ELNS1_11target_archE908ELNS1_3gpuE7ELNS1_3repE0EEENS1_30default_config_static_selectorELNS0_4arch9wavefront6targetE0EEEvSY_.numbered_sgpr, 0
	.set _ZN7rocprim17ROCPRIM_400000_NS6detail17trampoline_kernelINS0_13select_configILj256ELj13ELNS0_17block_load_methodE3ELS4_3ELS4_3ELNS0_20block_scan_algorithmE0ELj4294967295EEENS1_25partition_config_selectorILNS1_17partition_subalgoE3EjNS0_10empty_typeEbEEZZNS1_14partition_implILS8_3ELb0ES6_jNS0_17counting_iteratorIjlEEPS9_SE_NS0_5tupleIJPjSE_EEENSF_IJSE_SE_EEES9_SG_JZNS1_25segmented_radix_sort_implINS0_14default_configELb0EPKaPaPKlPlN2at6native12_GLOBAL__N_18offset_tEEE10hipError_tPvRmT1_PNSt15iterator_traitsISY_E10value_typeET2_T3_PNSZ_IS14_E10value_typeET4_jRbjT5_S1A_jjP12ihipStream_tbEUljE_EEESV_SW_SX_S14_S18_S1A_T6_T7_T9_mT8_S1C_bDpT10_ENKUlT_T0_E_clISt17integral_constantIbLb1EES1P_EEDaS1K_S1L_EUlS1K_E_NS1_11comp_targetILNS1_3genE3ELNS1_11target_archE908ELNS1_3gpuE7ELNS1_3repE0EEENS1_30default_config_static_selectorELNS0_4arch9wavefront6targetE0EEEvSY_.num_named_barrier, 0
	.set _ZN7rocprim17ROCPRIM_400000_NS6detail17trampoline_kernelINS0_13select_configILj256ELj13ELNS0_17block_load_methodE3ELS4_3ELS4_3ELNS0_20block_scan_algorithmE0ELj4294967295EEENS1_25partition_config_selectorILNS1_17partition_subalgoE3EjNS0_10empty_typeEbEEZZNS1_14partition_implILS8_3ELb0ES6_jNS0_17counting_iteratorIjlEEPS9_SE_NS0_5tupleIJPjSE_EEENSF_IJSE_SE_EEES9_SG_JZNS1_25segmented_radix_sort_implINS0_14default_configELb0EPKaPaPKlPlN2at6native12_GLOBAL__N_18offset_tEEE10hipError_tPvRmT1_PNSt15iterator_traitsISY_E10value_typeET2_T3_PNSZ_IS14_E10value_typeET4_jRbjT5_S1A_jjP12ihipStream_tbEUljE_EEESV_SW_SX_S14_S18_S1A_T6_T7_T9_mT8_S1C_bDpT10_ENKUlT_T0_E_clISt17integral_constantIbLb1EES1P_EEDaS1K_S1L_EUlS1K_E_NS1_11comp_targetILNS1_3genE3ELNS1_11target_archE908ELNS1_3gpuE7ELNS1_3repE0EEENS1_30default_config_static_selectorELNS0_4arch9wavefront6targetE0EEEvSY_.private_seg_size, 0
	.set _ZN7rocprim17ROCPRIM_400000_NS6detail17trampoline_kernelINS0_13select_configILj256ELj13ELNS0_17block_load_methodE3ELS4_3ELS4_3ELNS0_20block_scan_algorithmE0ELj4294967295EEENS1_25partition_config_selectorILNS1_17partition_subalgoE3EjNS0_10empty_typeEbEEZZNS1_14partition_implILS8_3ELb0ES6_jNS0_17counting_iteratorIjlEEPS9_SE_NS0_5tupleIJPjSE_EEENSF_IJSE_SE_EEES9_SG_JZNS1_25segmented_radix_sort_implINS0_14default_configELb0EPKaPaPKlPlN2at6native12_GLOBAL__N_18offset_tEEE10hipError_tPvRmT1_PNSt15iterator_traitsISY_E10value_typeET2_T3_PNSZ_IS14_E10value_typeET4_jRbjT5_S1A_jjP12ihipStream_tbEUljE_EEESV_SW_SX_S14_S18_S1A_T6_T7_T9_mT8_S1C_bDpT10_ENKUlT_T0_E_clISt17integral_constantIbLb1EES1P_EEDaS1K_S1L_EUlS1K_E_NS1_11comp_targetILNS1_3genE3ELNS1_11target_archE908ELNS1_3gpuE7ELNS1_3repE0EEENS1_30default_config_static_selectorELNS0_4arch9wavefront6targetE0EEEvSY_.uses_vcc, 0
	.set _ZN7rocprim17ROCPRIM_400000_NS6detail17trampoline_kernelINS0_13select_configILj256ELj13ELNS0_17block_load_methodE3ELS4_3ELS4_3ELNS0_20block_scan_algorithmE0ELj4294967295EEENS1_25partition_config_selectorILNS1_17partition_subalgoE3EjNS0_10empty_typeEbEEZZNS1_14partition_implILS8_3ELb0ES6_jNS0_17counting_iteratorIjlEEPS9_SE_NS0_5tupleIJPjSE_EEENSF_IJSE_SE_EEES9_SG_JZNS1_25segmented_radix_sort_implINS0_14default_configELb0EPKaPaPKlPlN2at6native12_GLOBAL__N_18offset_tEEE10hipError_tPvRmT1_PNSt15iterator_traitsISY_E10value_typeET2_T3_PNSZ_IS14_E10value_typeET4_jRbjT5_S1A_jjP12ihipStream_tbEUljE_EEESV_SW_SX_S14_S18_S1A_T6_T7_T9_mT8_S1C_bDpT10_ENKUlT_T0_E_clISt17integral_constantIbLb1EES1P_EEDaS1K_S1L_EUlS1K_E_NS1_11comp_targetILNS1_3genE3ELNS1_11target_archE908ELNS1_3gpuE7ELNS1_3repE0EEENS1_30default_config_static_selectorELNS0_4arch9wavefront6targetE0EEEvSY_.uses_flat_scratch, 0
	.set _ZN7rocprim17ROCPRIM_400000_NS6detail17trampoline_kernelINS0_13select_configILj256ELj13ELNS0_17block_load_methodE3ELS4_3ELS4_3ELNS0_20block_scan_algorithmE0ELj4294967295EEENS1_25partition_config_selectorILNS1_17partition_subalgoE3EjNS0_10empty_typeEbEEZZNS1_14partition_implILS8_3ELb0ES6_jNS0_17counting_iteratorIjlEEPS9_SE_NS0_5tupleIJPjSE_EEENSF_IJSE_SE_EEES9_SG_JZNS1_25segmented_radix_sort_implINS0_14default_configELb0EPKaPaPKlPlN2at6native12_GLOBAL__N_18offset_tEEE10hipError_tPvRmT1_PNSt15iterator_traitsISY_E10value_typeET2_T3_PNSZ_IS14_E10value_typeET4_jRbjT5_S1A_jjP12ihipStream_tbEUljE_EEESV_SW_SX_S14_S18_S1A_T6_T7_T9_mT8_S1C_bDpT10_ENKUlT_T0_E_clISt17integral_constantIbLb1EES1P_EEDaS1K_S1L_EUlS1K_E_NS1_11comp_targetILNS1_3genE3ELNS1_11target_archE908ELNS1_3gpuE7ELNS1_3repE0EEENS1_30default_config_static_selectorELNS0_4arch9wavefront6targetE0EEEvSY_.has_dyn_sized_stack, 0
	.set _ZN7rocprim17ROCPRIM_400000_NS6detail17trampoline_kernelINS0_13select_configILj256ELj13ELNS0_17block_load_methodE3ELS4_3ELS4_3ELNS0_20block_scan_algorithmE0ELj4294967295EEENS1_25partition_config_selectorILNS1_17partition_subalgoE3EjNS0_10empty_typeEbEEZZNS1_14partition_implILS8_3ELb0ES6_jNS0_17counting_iteratorIjlEEPS9_SE_NS0_5tupleIJPjSE_EEENSF_IJSE_SE_EEES9_SG_JZNS1_25segmented_radix_sort_implINS0_14default_configELb0EPKaPaPKlPlN2at6native12_GLOBAL__N_18offset_tEEE10hipError_tPvRmT1_PNSt15iterator_traitsISY_E10value_typeET2_T3_PNSZ_IS14_E10value_typeET4_jRbjT5_S1A_jjP12ihipStream_tbEUljE_EEESV_SW_SX_S14_S18_S1A_T6_T7_T9_mT8_S1C_bDpT10_ENKUlT_T0_E_clISt17integral_constantIbLb1EES1P_EEDaS1K_S1L_EUlS1K_E_NS1_11comp_targetILNS1_3genE3ELNS1_11target_archE908ELNS1_3gpuE7ELNS1_3repE0EEENS1_30default_config_static_selectorELNS0_4arch9wavefront6targetE0EEEvSY_.has_recursion, 0
	.set _ZN7rocprim17ROCPRIM_400000_NS6detail17trampoline_kernelINS0_13select_configILj256ELj13ELNS0_17block_load_methodE3ELS4_3ELS4_3ELNS0_20block_scan_algorithmE0ELj4294967295EEENS1_25partition_config_selectorILNS1_17partition_subalgoE3EjNS0_10empty_typeEbEEZZNS1_14partition_implILS8_3ELb0ES6_jNS0_17counting_iteratorIjlEEPS9_SE_NS0_5tupleIJPjSE_EEENSF_IJSE_SE_EEES9_SG_JZNS1_25segmented_radix_sort_implINS0_14default_configELb0EPKaPaPKlPlN2at6native12_GLOBAL__N_18offset_tEEE10hipError_tPvRmT1_PNSt15iterator_traitsISY_E10value_typeET2_T3_PNSZ_IS14_E10value_typeET4_jRbjT5_S1A_jjP12ihipStream_tbEUljE_EEESV_SW_SX_S14_S18_S1A_T6_T7_T9_mT8_S1C_bDpT10_ENKUlT_T0_E_clISt17integral_constantIbLb1EES1P_EEDaS1K_S1L_EUlS1K_E_NS1_11comp_targetILNS1_3genE3ELNS1_11target_archE908ELNS1_3gpuE7ELNS1_3repE0EEENS1_30default_config_static_selectorELNS0_4arch9wavefront6targetE0EEEvSY_.has_indirect_call, 0
	.section	.AMDGPU.csdata,"",@progbits
; Kernel info:
; codeLenInByte = 0
; TotalNumSgprs: 0
; NumVgprs: 0
; ScratchSize: 0
; MemoryBound: 0
; FloatMode: 240
; IeeeMode: 1
; LDSByteSize: 0 bytes/workgroup (compile time only)
; SGPRBlocks: 0
; VGPRBlocks: 0
; NumSGPRsForWavesPerEU: 1
; NumVGPRsForWavesPerEU: 1
; Occupancy: 16
; WaveLimiterHint : 0
; COMPUTE_PGM_RSRC2:SCRATCH_EN: 0
; COMPUTE_PGM_RSRC2:USER_SGPR: 6
; COMPUTE_PGM_RSRC2:TRAP_HANDLER: 0
; COMPUTE_PGM_RSRC2:TGID_X_EN: 1
; COMPUTE_PGM_RSRC2:TGID_Y_EN: 0
; COMPUTE_PGM_RSRC2:TGID_Z_EN: 0
; COMPUTE_PGM_RSRC2:TIDIG_COMP_CNT: 0
	.section	.text._ZN7rocprim17ROCPRIM_400000_NS6detail17trampoline_kernelINS0_13select_configILj256ELj13ELNS0_17block_load_methodE3ELS4_3ELS4_3ELNS0_20block_scan_algorithmE0ELj4294967295EEENS1_25partition_config_selectorILNS1_17partition_subalgoE3EjNS0_10empty_typeEbEEZZNS1_14partition_implILS8_3ELb0ES6_jNS0_17counting_iteratorIjlEEPS9_SE_NS0_5tupleIJPjSE_EEENSF_IJSE_SE_EEES9_SG_JZNS1_25segmented_radix_sort_implINS0_14default_configELb0EPKaPaPKlPlN2at6native12_GLOBAL__N_18offset_tEEE10hipError_tPvRmT1_PNSt15iterator_traitsISY_E10value_typeET2_T3_PNSZ_IS14_E10value_typeET4_jRbjT5_S1A_jjP12ihipStream_tbEUljE_EEESV_SW_SX_S14_S18_S1A_T6_T7_T9_mT8_S1C_bDpT10_ENKUlT_T0_E_clISt17integral_constantIbLb1EES1P_EEDaS1K_S1L_EUlS1K_E_NS1_11comp_targetILNS1_3genE2ELNS1_11target_archE906ELNS1_3gpuE6ELNS1_3repE0EEENS1_30default_config_static_selectorELNS0_4arch9wavefront6targetE0EEEvSY_,"axG",@progbits,_ZN7rocprim17ROCPRIM_400000_NS6detail17trampoline_kernelINS0_13select_configILj256ELj13ELNS0_17block_load_methodE3ELS4_3ELS4_3ELNS0_20block_scan_algorithmE0ELj4294967295EEENS1_25partition_config_selectorILNS1_17partition_subalgoE3EjNS0_10empty_typeEbEEZZNS1_14partition_implILS8_3ELb0ES6_jNS0_17counting_iteratorIjlEEPS9_SE_NS0_5tupleIJPjSE_EEENSF_IJSE_SE_EEES9_SG_JZNS1_25segmented_radix_sort_implINS0_14default_configELb0EPKaPaPKlPlN2at6native12_GLOBAL__N_18offset_tEEE10hipError_tPvRmT1_PNSt15iterator_traitsISY_E10value_typeET2_T3_PNSZ_IS14_E10value_typeET4_jRbjT5_S1A_jjP12ihipStream_tbEUljE_EEESV_SW_SX_S14_S18_S1A_T6_T7_T9_mT8_S1C_bDpT10_ENKUlT_T0_E_clISt17integral_constantIbLb1EES1P_EEDaS1K_S1L_EUlS1K_E_NS1_11comp_targetILNS1_3genE2ELNS1_11target_archE906ELNS1_3gpuE6ELNS1_3repE0EEENS1_30default_config_static_selectorELNS0_4arch9wavefront6targetE0EEEvSY_,comdat
	.globl	_ZN7rocprim17ROCPRIM_400000_NS6detail17trampoline_kernelINS0_13select_configILj256ELj13ELNS0_17block_load_methodE3ELS4_3ELS4_3ELNS0_20block_scan_algorithmE0ELj4294967295EEENS1_25partition_config_selectorILNS1_17partition_subalgoE3EjNS0_10empty_typeEbEEZZNS1_14partition_implILS8_3ELb0ES6_jNS0_17counting_iteratorIjlEEPS9_SE_NS0_5tupleIJPjSE_EEENSF_IJSE_SE_EEES9_SG_JZNS1_25segmented_radix_sort_implINS0_14default_configELb0EPKaPaPKlPlN2at6native12_GLOBAL__N_18offset_tEEE10hipError_tPvRmT1_PNSt15iterator_traitsISY_E10value_typeET2_T3_PNSZ_IS14_E10value_typeET4_jRbjT5_S1A_jjP12ihipStream_tbEUljE_EEESV_SW_SX_S14_S18_S1A_T6_T7_T9_mT8_S1C_bDpT10_ENKUlT_T0_E_clISt17integral_constantIbLb1EES1P_EEDaS1K_S1L_EUlS1K_E_NS1_11comp_targetILNS1_3genE2ELNS1_11target_archE906ELNS1_3gpuE6ELNS1_3repE0EEENS1_30default_config_static_selectorELNS0_4arch9wavefront6targetE0EEEvSY_ ; -- Begin function _ZN7rocprim17ROCPRIM_400000_NS6detail17trampoline_kernelINS0_13select_configILj256ELj13ELNS0_17block_load_methodE3ELS4_3ELS4_3ELNS0_20block_scan_algorithmE0ELj4294967295EEENS1_25partition_config_selectorILNS1_17partition_subalgoE3EjNS0_10empty_typeEbEEZZNS1_14partition_implILS8_3ELb0ES6_jNS0_17counting_iteratorIjlEEPS9_SE_NS0_5tupleIJPjSE_EEENSF_IJSE_SE_EEES9_SG_JZNS1_25segmented_radix_sort_implINS0_14default_configELb0EPKaPaPKlPlN2at6native12_GLOBAL__N_18offset_tEEE10hipError_tPvRmT1_PNSt15iterator_traitsISY_E10value_typeET2_T3_PNSZ_IS14_E10value_typeET4_jRbjT5_S1A_jjP12ihipStream_tbEUljE_EEESV_SW_SX_S14_S18_S1A_T6_T7_T9_mT8_S1C_bDpT10_ENKUlT_T0_E_clISt17integral_constantIbLb1EES1P_EEDaS1K_S1L_EUlS1K_E_NS1_11comp_targetILNS1_3genE2ELNS1_11target_archE906ELNS1_3gpuE6ELNS1_3repE0EEENS1_30default_config_static_selectorELNS0_4arch9wavefront6targetE0EEEvSY_
	.p2align	8
	.type	_ZN7rocprim17ROCPRIM_400000_NS6detail17trampoline_kernelINS0_13select_configILj256ELj13ELNS0_17block_load_methodE3ELS4_3ELS4_3ELNS0_20block_scan_algorithmE0ELj4294967295EEENS1_25partition_config_selectorILNS1_17partition_subalgoE3EjNS0_10empty_typeEbEEZZNS1_14partition_implILS8_3ELb0ES6_jNS0_17counting_iteratorIjlEEPS9_SE_NS0_5tupleIJPjSE_EEENSF_IJSE_SE_EEES9_SG_JZNS1_25segmented_radix_sort_implINS0_14default_configELb0EPKaPaPKlPlN2at6native12_GLOBAL__N_18offset_tEEE10hipError_tPvRmT1_PNSt15iterator_traitsISY_E10value_typeET2_T3_PNSZ_IS14_E10value_typeET4_jRbjT5_S1A_jjP12ihipStream_tbEUljE_EEESV_SW_SX_S14_S18_S1A_T6_T7_T9_mT8_S1C_bDpT10_ENKUlT_T0_E_clISt17integral_constantIbLb1EES1P_EEDaS1K_S1L_EUlS1K_E_NS1_11comp_targetILNS1_3genE2ELNS1_11target_archE906ELNS1_3gpuE6ELNS1_3repE0EEENS1_30default_config_static_selectorELNS0_4arch9wavefront6targetE0EEEvSY_,@function
_ZN7rocprim17ROCPRIM_400000_NS6detail17trampoline_kernelINS0_13select_configILj256ELj13ELNS0_17block_load_methodE3ELS4_3ELS4_3ELNS0_20block_scan_algorithmE0ELj4294967295EEENS1_25partition_config_selectorILNS1_17partition_subalgoE3EjNS0_10empty_typeEbEEZZNS1_14partition_implILS8_3ELb0ES6_jNS0_17counting_iteratorIjlEEPS9_SE_NS0_5tupleIJPjSE_EEENSF_IJSE_SE_EEES9_SG_JZNS1_25segmented_radix_sort_implINS0_14default_configELb0EPKaPaPKlPlN2at6native12_GLOBAL__N_18offset_tEEE10hipError_tPvRmT1_PNSt15iterator_traitsISY_E10value_typeET2_T3_PNSZ_IS14_E10value_typeET4_jRbjT5_S1A_jjP12ihipStream_tbEUljE_EEESV_SW_SX_S14_S18_S1A_T6_T7_T9_mT8_S1C_bDpT10_ENKUlT_T0_E_clISt17integral_constantIbLb1EES1P_EEDaS1K_S1L_EUlS1K_E_NS1_11comp_targetILNS1_3genE2ELNS1_11target_archE906ELNS1_3gpuE6ELNS1_3repE0EEENS1_30default_config_static_selectorELNS0_4arch9wavefront6targetE0EEEvSY_: ; @_ZN7rocprim17ROCPRIM_400000_NS6detail17trampoline_kernelINS0_13select_configILj256ELj13ELNS0_17block_load_methodE3ELS4_3ELS4_3ELNS0_20block_scan_algorithmE0ELj4294967295EEENS1_25partition_config_selectorILNS1_17partition_subalgoE3EjNS0_10empty_typeEbEEZZNS1_14partition_implILS8_3ELb0ES6_jNS0_17counting_iteratorIjlEEPS9_SE_NS0_5tupleIJPjSE_EEENSF_IJSE_SE_EEES9_SG_JZNS1_25segmented_radix_sort_implINS0_14default_configELb0EPKaPaPKlPlN2at6native12_GLOBAL__N_18offset_tEEE10hipError_tPvRmT1_PNSt15iterator_traitsISY_E10value_typeET2_T3_PNSZ_IS14_E10value_typeET4_jRbjT5_S1A_jjP12ihipStream_tbEUljE_EEESV_SW_SX_S14_S18_S1A_T6_T7_T9_mT8_S1C_bDpT10_ENKUlT_T0_E_clISt17integral_constantIbLb1EES1P_EEDaS1K_S1L_EUlS1K_E_NS1_11comp_targetILNS1_3genE2ELNS1_11target_archE906ELNS1_3gpuE6ELNS1_3repE0EEENS1_30default_config_static_selectorELNS0_4arch9wavefront6targetE0EEEvSY_
; %bb.0:
	.section	.rodata,"a",@progbits
	.p2align	6, 0x0
	.amdhsa_kernel _ZN7rocprim17ROCPRIM_400000_NS6detail17trampoline_kernelINS0_13select_configILj256ELj13ELNS0_17block_load_methodE3ELS4_3ELS4_3ELNS0_20block_scan_algorithmE0ELj4294967295EEENS1_25partition_config_selectorILNS1_17partition_subalgoE3EjNS0_10empty_typeEbEEZZNS1_14partition_implILS8_3ELb0ES6_jNS0_17counting_iteratorIjlEEPS9_SE_NS0_5tupleIJPjSE_EEENSF_IJSE_SE_EEES9_SG_JZNS1_25segmented_radix_sort_implINS0_14default_configELb0EPKaPaPKlPlN2at6native12_GLOBAL__N_18offset_tEEE10hipError_tPvRmT1_PNSt15iterator_traitsISY_E10value_typeET2_T3_PNSZ_IS14_E10value_typeET4_jRbjT5_S1A_jjP12ihipStream_tbEUljE_EEESV_SW_SX_S14_S18_S1A_T6_T7_T9_mT8_S1C_bDpT10_ENKUlT_T0_E_clISt17integral_constantIbLb1EES1P_EEDaS1K_S1L_EUlS1K_E_NS1_11comp_targetILNS1_3genE2ELNS1_11target_archE906ELNS1_3gpuE6ELNS1_3repE0EEENS1_30default_config_static_selectorELNS0_4arch9wavefront6targetE0EEEvSY_
		.amdhsa_group_segment_fixed_size 0
		.amdhsa_private_segment_fixed_size 0
		.amdhsa_kernarg_size 152
		.amdhsa_user_sgpr_count 6
		.amdhsa_user_sgpr_private_segment_buffer 1
		.amdhsa_user_sgpr_dispatch_ptr 0
		.amdhsa_user_sgpr_queue_ptr 0
		.amdhsa_user_sgpr_kernarg_segment_ptr 1
		.amdhsa_user_sgpr_dispatch_id 0
		.amdhsa_user_sgpr_flat_scratch_init 0
		.amdhsa_user_sgpr_private_segment_size 0
		.amdhsa_wavefront_size32 1
		.amdhsa_uses_dynamic_stack 0
		.amdhsa_system_sgpr_private_segment_wavefront_offset 0
		.amdhsa_system_sgpr_workgroup_id_x 1
		.amdhsa_system_sgpr_workgroup_id_y 0
		.amdhsa_system_sgpr_workgroup_id_z 0
		.amdhsa_system_sgpr_workgroup_info 0
		.amdhsa_system_vgpr_workitem_id 0
		.amdhsa_next_free_vgpr 1
		.amdhsa_next_free_sgpr 1
		.amdhsa_reserve_vcc 0
		.amdhsa_reserve_flat_scratch 0
		.amdhsa_float_round_mode_32 0
		.amdhsa_float_round_mode_16_64 0
		.amdhsa_float_denorm_mode_32 3
		.amdhsa_float_denorm_mode_16_64 3
		.amdhsa_dx10_clamp 1
		.amdhsa_ieee_mode 1
		.amdhsa_fp16_overflow 0
		.amdhsa_workgroup_processor_mode 1
		.amdhsa_memory_ordered 1
		.amdhsa_forward_progress 1
		.amdhsa_shared_vgpr_count 0
		.amdhsa_exception_fp_ieee_invalid_op 0
		.amdhsa_exception_fp_denorm_src 0
		.amdhsa_exception_fp_ieee_div_zero 0
		.amdhsa_exception_fp_ieee_overflow 0
		.amdhsa_exception_fp_ieee_underflow 0
		.amdhsa_exception_fp_ieee_inexact 0
		.amdhsa_exception_int_div_zero 0
	.end_amdhsa_kernel
	.section	.text._ZN7rocprim17ROCPRIM_400000_NS6detail17trampoline_kernelINS0_13select_configILj256ELj13ELNS0_17block_load_methodE3ELS4_3ELS4_3ELNS0_20block_scan_algorithmE0ELj4294967295EEENS1_25partition_config_selectorILNS1_17partition_subalgoE3EjNS0_10empty_typeEbEEZZNS1_14partition_implILS8_3ELb0ES6_jNS0_17counting_iteratorIjlEEPS9_SE_NS0_5tupleIJPjSE_EEENSF_IJSE_SE_EEES9_SG_JZNS1_25segmented_radix_sort_implINS0_14default_configELb0EPKaPaPKlPlN2at6native12_GLOBAL__N_18offset_tEEE10hipError_tPvRmT1_PNSt15iterator_traitsISY_E10value_typeET2_T3_PNSZ_IS14_E10value_typeET4_jRbjT5_S1A_jjP12ihipStream_tbEUljE_EEESV_SW_SX_S14_S18_S1A_T6_T7_T9_mT8_S1C_bDpT10_ENKUlT_T0_E_clISt17integral_constantIbLb1EES1P_EEDaS1K_S1L_EUlS1K_E_NS1_11comp_targetILNS1_3genE2ELNS1_11target_archE906ELNS1_3gpuE6ELNS1_3repE0EEENS1_30default_config_static_selectorELNS0_4arch9wavefront6targetE0EEEvSY_,"axG",@progbits,_ZN7rocprim17ROCPRIM_400000_NS6detail17trampoline_kernelINS0_13select_configILj256ELj13ELNS0_17block_load_methodE3ELS4_3ELS4_3ELNS0_20block_scan_algorithmE0ELj4294967295EEENS1_25partition_config_selectorILNS1_17partition_subalgoE3EjNS0_10empty_typeEbEEZZNS1_14partition_implILS8_3ELb0ES6_jNS0_17counting_iteratorIjlEEPS9_SE_NS0_5tupleIJPjSE_EEENSF_IJSE_SE_EEES9_SG_JZNS1_25segmented_radix_sort_implINS0_14default_configELb0EPKaPaPKlPlN2at6native12_GLOBAL__N_18offset_tEEE10hipError_tPvRmT1_PNSt15iterator_traitsISY_E10value_typeET2_T3_PNSZ_IS14_E10value_typeET4_jRbjT5_S1A_jjP12ihipStream_tbEUljE_EEESV_SW_SX_S14_S18_S1A_T6_T7_T9_mT8_S1C_bDpT10_ENKUlT_T0_E_clISt17integral_constantIbLb1EES1P_EEDaS1K_S1L_EUlS1K_E_NS1_11comp_targetILNS1_3genE2ELNS1_11target_archE906ELNS1_3gpuE6ELNS1_3repE0EEENS1_30default_config_static_selectorELNS0_4arch9wavefront6targetE0EEEvSY_,comdat
.Lfunc_end370:
	.size	_ZN7rocprim17ROCPRIM_400000_NS6detail17trampoline_kernelINS0_13select_configILj256ELj13ELNS0_17block_load_methodE3ELS4_3ELS4_3ELNS0_20block_scan_algorithmE0ELj4294967295EEENS1_25partition_config_selectorILNS1_17partition_subalgoE3EjNS0_10empty_typeEbEEZZNS1_14partition_implILS8_3ELb0ES6_jNS0_17counting_iteratorIjlEEPS9_SE_NS0_5tupleIJPjSE_EEENSF_IJSE_SE_EEES9_SG_JZNS1_25segmented_radix_sort_implINS0_14default_configELb0EPKaPaPKlPlN2at6native12_GLOBAL__N_18offset_tEEE10hipError_tPvRmT1_PNSt15iterator_traitsISY_E10value_typeET2_T3_PNSZ_IS14_E10value_typeET4_jRbjT5_S1A_jjP12ihipStream_tbEUljE_EEESV_SW_SX_S14_S18_S1A_T6_T7_T9_mT8_S1C_bDpT10_ENKUlT_T0_E_clISt17integral_constantIbLb1EES1P_EEDaS1K_S1L_EUlS1K_E_NS1_11comp_targetILNS1_3genE2ELNS1_11target_archE906ELNS1_3gpuE6ELNS1_3repE0EEENS1_30default_config_static_selectorELNS0_4arch9wavefront6targetE0EEEvSY_, .Lfunc_end370-_ZN7rocprim17ROCPRIM_400000_NS6detail17trampoline_kernelINS0_13select_configILj256ELj13ELNS0_17block_load_methodE3ELS4_3ELS4_3ELNS0_20block_scan_algorithmE0ELj4294967295EEENS1_25partition_config_selectorILNS1_17partition_subalgoE3EjNS0_10empty_typeEbEEZZNS1_14partition_implILS8_3ELb0ES6_jNS0_17counting_iteratorIjlEEPS9_SE_NS0_5tupleIJPjSE_EEENSF_IJSE_SE_EEES9_SG_JZNS1_25segmented_radix_sort_implINS0_14default_configELb0EPKaPaPKlPlN2at6native12_GLOBAL__N_18offset_tEEE10hipError_tPvRmT1_PNSt15iterator_traitsISY_E10value_typeET2_T3_PNSZ_IS14_E10value_typeET4_jRbjT5_S1A_jjP12ihipStream_tbEUljE_EEESV_SW_SX_S14_S18_S1A_T6_T7_T9_mT8_S1C_bDpT10_ENKUlT_T0_E_clISt17integral_constantIbLb1EES1P_EEDaS1K_S1L_EUlS1K_E_NS1_11comp_targetILNS1_3genE2ELNS1_11target_archE906ELNS1_3gpuE6ELNS1_3repE0EEENS1_30default_config_static_selectorELNS0_4arch9wavefront6targetE0EEEvSY_
                                        ; -- End function
	.set _ZN7rocprim17ROCPRIM_400000_NS6detail17trampoline_kernelINS0_13select_configILj256ELj13ELNS0_17block_load_methodE3ELS4_3ELS4_3ELNS0_20block_scan_algorithmE0ELj4294967295EEENS1_25partition_config_selectorILNS1_17partition_subalgoE3EjNS0_10empty_typeEbEEZZNS1_14partition_implILS8_3ELb0ES6_jNS0_17counting_iteratorIjlEEPS9_SE_NS0_5tupleIJPjSE_EEENSF_IJSE_SE_EEES9_SG_JZNS1_25segmented_radix_sort_implINS0_14default_configELb0EPKaPaPKlPlN2at6native12_GLOBAL__N_18offset_tEEE10hipError_tPvRmT1_PNSt15iterator_traitsISY_E10value_typeET2_T3_PNSZ_IS14_E10value_typeET4_jRbjT5_S1A_jjP12ihipStream_tbEUljE_EEESV_SW_SX_S14_S18_S1A_T6_T7_T9_mT8_S1C_bDpT10_ENKUlT_T0_E_clISt17integral_constantIbLb1EES1P_EEDaS1K_S1L_EUlS1K_E_NS1_11comp_targetILNS1_3genE2ELNS1_11target_archE906ELNS1_3gpuE6ELNS1_3repE0EEENS1_30default_config_static_selectorELNS0_4arch9wavefront6targetE0EEEvSY_.num_vgpr, 0
	.set _ZN7rocprim17ROCPRIM_400000_NS6detail17trampoline_kernelINS0_13select_configILj256ELj13ELNS0_17block_load_methodE3ELS4_3ELS4_3ELNS0_20block_scan_algorithmE0ELj4294967295EEENS1_25partition_config_selectorILNS1_17partition_subalgoE3EjNS0_10empty_typeEbEEZZNS1_14partition_implILS8_3ELb0ES6_jNS0_17counting_iteratorIjlEEPS9_SE_NS0_5tupleIJPjSE_EEENSF_IJSE_SE_EEES9_SG_JZNS1_25segmented_radix_sort_implINS0_14default_configELb0EPKaPaPKlPlN2at6native12_GLOBAL__N_18offset_tEEE10hipError_tPvRmT1_PNSt15iterator_traitsISY_E10value_typeET2_T3_PNSZ_IS14_E10value_typeET4_jRbjT5_S1A_jjP12ihipStream_tbEUljE_EEESV_SW_SX_S14_S18_S1A_T6_T7_T9_mT8_S1C_bDpT10_ENKUlT_T0_E_clISt17integral_constantIbLb1EES1P_EEDaS1K_S1L_EUlS1K_E_NS1_11comp_targetILNS1_3genE2ELNS1_11target_archE906ELNS1_3gpuE6ELNS1_3repE0EEENS1_30default_config_static_selectorELNS0_4arch9wavefront6targetE0EEEvSY_.num_agpr, 0
	.set _ZN7rocprim17ROCPRIM_400000_NS6detail17trampoline_kernelINS0_13select_configILj256ELj13ELNS0_17block_load_methodE3ELS4_3ELS4_3ELNS0_20block_scan_algorithmE0ELj4294967295EEENS1_25partition_config_selectorILNS1_17partition_subalgoE3EjNS0_10empty_typeEbEEZZNS1_14partition_implILS8_3ELb0ES6_jNS0_17counting_iteratorIjlEEPS9_SE_NS0_5tupleIJPjSE_EEENSF_IJSE_SE_EEES9_SG_JZNS1_25segmented_radix_sort_implINS0_14default_configELb0EPKaPaPKlPlN2at6native12_GLOBAL__N_18offset_tEEE10hipError_tPvRmT1_PNSt15iterator_traitsISY_E10value_typeET2_T3_PNSZ_IS14_E10value_typeET4_jRbjT5_S1A_jjP12ihipStream_tbEUljE_EEESV_SW_SX_S14_S18_S1A_T6_T7_T9_mT8_S1C_bDpT10_ENKUlT_T0_E_clISt17integral_constantIbLb1EES1P_EEDaS1K_S1L_EUlS1K_E_NS1_11comp_targetILNS1_3genE2ELNS1_11target_archE906ELNS1_3gpuE6ELNS1_3repE0EEENS1_30default_config_static_selectorELNS0_4arch9wavefront6targetE0EEEvSY_.numbered_sgpr, 0
	.set _ZN7rocprim17ROCPRIM_400000_NS6detail17trampoline_kernelINS0_13select_configILj256ELj13ELNS0_17block_load_methodE3ELS4_3ELS4_3ELNS0_20block_scan_algorithmE0ELj4294967295EEENS1_25partition_config_selectorILNS1_17partition_subalgoE3EjNS0_10empty_typeEbEEZZNS1_14partition_implILS8_3ELb0ES6_jNS0_17counting_iteratorIjlEEPS9_SE_NS0_5tupleIJPjSE_EEENSF_IJSE_SE_EEES9_SG_JZNS1_25segmented_radix_sort_implINS0_14default_configELb0EPKaPaPKlPlN2at6native12_GLOBAL__N_18offset_tEEE10hipError_tPvRmT1_PNSt15iterator_traitsISY_E10value_typeET2_T3_PNSZ_IS14_E10value_typeET4_jRbjT5_S1A_jjP12ihipStream_tbEUljE_EEESV_SW_SX_S14_S18_S1A_T6_T7_T9_mT8_S1C_bDpT10_ENKUlT_T0_E_clISt17integral_constantIbLb1EES1P_EEDaS1K_S1L_EUlS1K_E_NS1_11comp_targetILNS1_3genE2ELNS1_11target_archE906ELNS1_3gpuE6ELNS1_3repE0EEENS1_30default_config_static_selectorELNS0_4arch9wavefront6targetE0EEEvSY_.num_named_barrier, 0
	.set _ZN7rocprim17ROCPRIM_400000_NS6detail17trampoline_kernelINS0_13select_configILj256ELj13ELNS0_17block_load_methodE3ELS4_3ELS4_3ELNS0_20block_scan_algorithmE0ELj4294967295EEENS1_25partition_config_selectorILNS1_17partition_subalgoE3EjNS0_10empty_typeEbEEZZNS1_14partition_implILS8_3ELb0ES6_jNS0_17counting_iteratorIjlEEPS9_SE_NS0_5tupleIJPjSE_EEENSF_IJSE_SE_EEES9_SG_JZNS1_25segmented_radix_sort_implINS0_14default_configELb0EPKaPaPKlPlN2at6native12_GLOBAL__N_18offset_tEEE10hipError_tPvRmT1_PNSt15iterator_traitsISY_E10value_typeET2_T3_PNSZ_IS14_E10value_typeET4_jRbjT5_S1A_jjP12ihipStream_tbEUljE_EEESV_SW_SX_S14_S18_S1A_T6_T7_T9_mT8_S1C_bDpT10_ENKUlT_T0_E_clISt17integral_constantIbLb1EES1P_EEDaS1K_S1L_EUlS1K_E_NS1_11comp_targetILNS1_3genE2ELNS1_11target_archE906ELNS1_3gpuE6ELNS1_3repE0EEENS1_30default_config_static_selectorELNS0_4arch9wavefront6targetE0EEEvSY_.private_seg_size, 0
	.set _ZN7rocprim17ROCPRIM_400000_NS6detail17trampoline_kernelINS0_13select_configILj256ELj13ELNS0_17block_load_methodE3ELS4_3ELS4_3ELNS0_20block_scan_algorithmE0ELj4294967295EEENS1_25partition_config_selectorILNS1_17partition_subalgoE3EjNS0_10empty_typeEbEEZZNS1_14partition_implILS8_3ELb0ES6_jNS0_17counting_iteratorIjlEEPS9_SE_NS0_5tupleIJPjSE_EEENSF_IJSE_SE_EEES9_SG_JZNS1_25segmented_radix_sort_implINS0_14default_configELb0EPKaPaPKlPlN2at6native12_GLOBAL__N_18offset_tEEE10hipError_tPvRmT1_PNSt15iterator_traitsISY_E10value_typeET2_T3_PNSZ_IS14_E10value_typeET4_jRbjT5_S1A_jjP12ihipStream_tbEUljE_EEESV_SW_SX_S14_S18_S1A_T6_T7_T9_mT8_S1C_bDpT10_ENKUlT_T0_E_clISt17integral_constantIbLb1EES1P_EEDaS1K_S1L_EUlS1K_E_NS1_11comp_targetILNS1_3genE2ELNS1_11target_archE906ELNS1_3gpuE6ELNS1_3repE0EEENS1_30default_config_static_selectorELNS0_4arch9wavefront6targetE0EEEvSY_.uses_vcc, 0
	.set _ZN7rocprim17ROCPRIM_400000_NS6detail17trampoline_kernelINS0_13select_configILj256ELj13ELNS0_17block_load_methodE3ELS4_3ELS4_3ELNS0_20block_scan_algorithmE0ELj4294967295EEENS1_25partition_config_selectorILNS1_17partition_subalgoE3EjNS0_10empty_typeEbEEZZNS1_14partition_implILS8_3ELb0ES6_jNS0_17counting_iteratorIjlEEPS9_SE_NS0_5tupleIJPjSE_EEENSF_IJSE_SE_EEES9_SG_JZNS1_25segmented_radix_sort_implINS0_14default_configELb0EPKaPaPKlPlN2at6native12_GLOBAL__N_18offset_tEEE10hipError_tPvRmT1_PNSt15iterator_traitsISY_E10value_typeET2_T3_PNSZ_IS14_E10value_typeET4_jRbjT5_S1A_jjP12ihipStream_tbEUljE_EEESV_SW_SX_S14_S18_S1A_T6_T7_T9_mT8_S1C_bDpT10_ENKUlT_T0_E_clISt17integral_constantIbLb1EES1P_EEDaS1K_S1L_EUlS1K_E_NS1_11comp_targetILNS1_3genE2ELNS1_11target_archE906ELNS1_3gpuE6ELNS1_3repE0EEENS1_30default_config_static_selectorELNS0_4arch9wavefront6targetE0EEEvSY_.uses_flat_scratch, 0
	.set _ZN7rocprim17ROCPRIM_400000_NS6detail17trampoline_kernelINS0_13select_configILj256ELj13ELNS0_17block_load_methodE3ELS4_3ELS4_3ELNS0_20block_scan_algorithmE0ELj4294967295EEENS1_25partition_config_selectorILNS1_17partition_subalgoE3EjNS0_10empty_typeEbEEZZNS1_14partition_implILS8_3ELb0ES6_jNS0_17counting_iteratorIjlEEPS9_SE_NS0_5tupleIJPjSE_EEENSF_IJSE_SE_EEES9_SG_JZNS1_25segmented_radix_sort_implINS0_14default_configELb0EPKaPaPKlPlN2at6native12_GLOBAL__N_18offset_tEEE10hipError_tPvRmT1_PNSt15iterator_traitsISY_E10value_typeET2_T3_PNSZ_IS14_E10value_typeET4_jRbjT5_S1A_jjP12ihipStream_tbEUljE_EEESV_SW_SX_S14_S18_S1A_T6_T7_T9_mT8_S1C_bDpT10_ENKUlT_T0_E_clISt17integral_constantIbLb1EES1P_EEDaS1K_S1L_EUlS1K_E_NS1_11comp_targetILNS1_3genE2ELNS1_11target_archE906ELNS1_3gpuE6ELNS1_3repE0EEENS1_30default_config_static_selectorELNS0_4arch9wavefront6targetE0EEEvSY_.has_dyn_sized_stack, 0
	.set _ZN7rocprim17ROCPRIM_400000_NS6detail17trampoline_kernelINS0_13select_configILj256ELj13ELNS0_17block_load_methodE3ELS4_3ELS4_3ELNS0_20block_scan_algorithmE0ELj4294967295EEENS1_25partition_config_selectorILNS1_17partition_subalgoE3EjNS0_10empty_typeEbEEZZNS1_14partition_implILS8_3ELb0ES6_jNS0_17counting_iteratorIjlEEPS9_SE_NS0_5tupleIJPjSE_EEENSF_IJSE_SE_EEES9_SG_JZNS1_25segmented_radix_sort_implINS0_14default_configELb0EPKaPaPKlPlN2at6native12_GLOBAL__N_18offset_tEEE10hipError_tPvRmT1_PNSt15iterator_traitsISY_E10value_typeET2_T3_PNSZ_IS14_E10value_typeET4_jRbjT5_S1A_jjP12ihipStream_tbEUljE_EEESV_SW_SX_S14_S18_S1A_T6_T7_T9_mT8_S1C_bDpT10_ENKUlT_T0_E_clISt17integral_constantIbLb1EES1P_EEDaS1K_S1L_EUlS1K_E_NS1_11comp_targetILNS1_3genE2ELNS1_11target_archE906ELNS1_3gpuE6ELNS1_3repE0EEENS1_30default_config_static_selectorELNS0_4arch9wavefront6targetE0EEEvSY_.has_recursion, 0
	.set _ZN7rocprim17ROCPRIM_400000_NS6detail17trampoline_kernelINS0_13select_configILj256ELj13ELNS0_17block_load_methodE3ELS4_3ELS4_3ELNS0_20block_scan_algorithmE0ELj4294967295EEENS1_25partition_config_selectorILNS1_17partition_subalgoE3EjNS0_10empty_typeEbEEZZNS1_14partition_implILS8_3ELb0ES6_jNS0_17counting_iteratorIjlEEPS9_SE_NS0_5tupleIJPjSE_EEENSF_IJSE_SE_EEES9_SG_JZNS1_25segmented_radix_sort_implINS0_14default_configELb0EPKaPaPKlPlN2at6native12_GLOBAL__N_18offset_tEEE10hipError_tPvRmT1_PNSt15iterator_traitsISY_E10value_typeET2_T3_PNSZ_IS14_E10value_typeET4_jRbjT5_S1A_jjP12ihipStream_tbEUljE_EEESV_SW_SX_S14_S18_S1A_T6_T7_T9_mT8_S1C_bDpT10_ENKUlT_T0_E_clISt17integral_constantIbLb1EES1P_EEDaS1K_S1L_EUlS1K_E_NS1_11comp_targetILNS1_3genE2ELNS1_11target_archE906ELNS1_3gpuE6ELNS1_3repE0EEENS1_30default_config_static_selectorELNS0_4arch9wavefront6targetE0EEEvSY_.has_indirect_call, 0
	.section	.AMDGPU.csdata,"",@progbits
; Kernel info:
; codeLenInByte = 0
; TotalNumSgprs: 0
; NumVgprs: 0
; ScratchSize: 0
; MemoryBound: 0
; FloatMode: 240
; IeeeMode: 1
; LDSByteSize: 0 bytes/workgroup (compile time only)
; SGPRBlocks: 0
; VGPRBlocks: 0
; NumSGPRsForWavesPerEU: 1
; NumVGPRsForWavesPerEU: 1
; Occupancy: 16
; WaveLimiterHint : 0
; COMPUTE_PGM_RSRC2:SCRATCH_EN: 0
; COMPUTE_PGM_RSRC2:USER_SGPR: 6
; COMPUTE_PGM_RSRC2:TRAP_HANDLER: 0
; COMPUTE_PGM_RSRC2:TGID_X_EN: 1
; COMPUTE_PGM_RSRC2:TGID_Y_EN: 0
; COMPUTE_PGM_RSRC2:TGID_Z_EN: 0
; COMPUTE_PGM_RSRC2:TIDIG_COMP_CNT: 0
	.section	.text._ZN7rocprim17ROCPRIM_400000_NS6detail17trampoline_kernelINS0_13select_configILj256ELj13ELNS0_17block_load_methodE3ELS4_3ELS4_3ELNS0_20block_scan_algorithmE0ELj4294967295EEENS1_25partition_config_selectorILNS1_17partition_subalgoE3EjNS0_10empty_typeEbEEZZNS1_14partition_implILS8_3ELb0ES6_jNS0_17counting_iteratorIjlEEPS9_SE_NS0_5tupleIJPjSE_EEENSF_IJSE_SE_EEES9_SG_JZNS1_25segmented_radix_sort_implINS0_14default_configELb0EPKaPaPKlPlN2at6native12_GLOBAL__N_18offset_tEEE10hipError_tPvRmT1_PNSt15iterator_traitsISY_E10value_typeET2_T3_PNSZ_IS14_E10value_typeET4_jRbjT5_S1A_jjP12ihipStream_tbEUljE_EEESV_SW_SX_S14_S18_S1A_T6_T7_T9_mT8_S1C_bDpT10_ENKUlT_T0_E_clISt17integral_constantIbLb1EES1P_EEDaS1K_S1L_EUlS1K_E_NS1_11comp_targetILNS1_3genE10ELNS1_11target_archE1200ELNS1_3gpuE4ELNS1_3repE0EEENS1_30default_config_static_selectorELNS0_4arch9wavefront6targetE0EEEvSY_,"axG",@progbits,_ZN7rocprim17ROCPRIM_400000_NS6detail17trampoline_kernelINS0_13select_configILj256ELj13ELNS0_17block_load_methodE3ELS4_3ELS4_3ELNS0_20block_scan_algorithmE0ELj4294967295EEENS1_25partition_config_selectorILNS1_17partition_subalgoE3EjNS0_10empty_typeEbEEZZNS1_14partition_implILS8_3ELb0ES6_jNS0_17counting_iteratorIjlEEPS9_SE_NS0_5tupleIJPjSE_EEENSF_IJSE_SE_EEES9_SG_JZNS1_25segmented_radix_sort_implINS0_14default_configELb0EPKaPaPKlPlN2at6native12_GLOBAL__N_18offset_tEEE10hipError_tPvRmT1_PNSt15iterator_traitsISY_E10value_typeET2_T3_PNSZ_IS14_E10value_typeET4_jRbjT5_S1A_jjP12ihipStream_tbEUljE_EEESV_SW_SX_S14_S18_S1A_T6_T7_T9_mT8_S1C_bDpT10_ENKUlT_T0_E_clISt17integral_constantIbLb1EES1P_EEDaS1K_S1L_EUlS1K_E_NS1_11comp_targetILNS1_3genE10ELNS1_11target_archE1200ELNS1_3gpuE4ELNS1_3repE0EEENS1_30default_config_static_selectorELNS0_4arch9wavefront6targetE0EEEvSY_,comdat
	.globl	_ZN7rocprim17ROCPRIM_400000_NS6detail17trampoline_kernelINS0_13select_configILj256ELj13ELNS0_17block_load_methodE3ELS4_3ELS4_3ELNS0_20block_scan_algorithmE0ELj4294967295EEENS1_25partition_config_selectorILNS1_17partition_subalgoE3EjNS0_10empty_typeEbEEZZNS1_14partition_implILS8_3ELb0ES6_jNS0_17counting_iteratorIjlEEPS9_SE_NS0_5tupleIJPjSE_EEENSF_IJSE_SE_EEES9_SG_JZNS1_25segmented_radix_sort_implINS0_14default_configELb0EPKaPaPKlPlN2at6native12_GLOBAL__N_18offset_tEEE10hipError_tPvRmT1_PNSt15iterator_traitsISY_E10value_typeET2_T3_PNSZ_IS14_E10value_typeET4_jRbjT5_S1A_jjP12ihipStream_tbEUljE_EEESV_SW_SX_S14_S18_S1A_T6_T7_T9_mT8_S1C_bDpT10_ENKUlT_T0_E_clISt17integral_constantIbLb1EES1P_EEDaS1K_S1L_EUlS1K_E_NS1_11comp_targetILNS1_3genE10ELNS1_11target_archE1200ELNS1_3gpuE4ELNS1_3repE0EEENS1_30default_config_static_selectorELNS0_4arch9wavefront6targetE0EEEvSY_ ; -- Begin function _ZN7rocprim17ROCPRIM_400000_NS6detail17trampoline_kernelINS0_13select_configILj256ELj13ELNS0_17block_load_methodE3ELS4_3ELS4_3ELNS0_20block_scan_algorithmE0ELj4294967295EEENS1_25partition_config_selectorILNS1_17partition_subalgoE3EjNS0_10empty_typeEbEEZZNS1_14partition_implILS8_3ELb0ES6_jNS0_17counting_iteratorIjlEEPS9_SE_NS0_5tupleIJPjSE_EEENSF_IJSE_SE_EEES9_SG_JZNS1_25segmented_radix_sort_implINS0_14default_configELb0EPKaPaPKlPlN2at6native12_GLOBAL__N_18offset_tEEE10hipError_tPvRmT1_PNSt15iterator_traitsISY_E10value_typeET2_T3_PNSZ_IS14_E10value_typeET4_jRbjT5_S1A_jjP12ihipStream_tbEUljE_EEESV_SW_SX_S14_S18_S1A_T6_T7_T9_mT8_S1C_bDpT10_ENKUlT_T0_E_clISt17integral_constantIbLb1EES1P_EEDaS1K_S1L_EUlS1K_E_NS1_11comp_targetILNS1_3genE10ELNS1_11target_archE1200ELNS1_3gpuE4ELNS1_3repE0EEENS1_30default_config_static_selectorELNS0_4arch9wavefront6targetE0EEEvSY_
	.p2align	8
	.type	_ZN7rocprim17ROCPRIM_400000_NS6detail17trampoline_kernelINS0_13select_configILj256ELj13ELNS0_17block_load_methodE3ELS4_3ELS4_3ELNS0_20block_scan_algorithmE0ELj4294967295EEENS1_25partition_config_selectorILNS1_17partition_subalgoE3EjNS0_10empty_typeEbEEZZNS1_14partition_implILS8_3ELb0ES6_jNS0_17counting_iteratorIjlEEPS9_SE_NS0_5tupleIJPjSE_EEENSF_IJSE_SE_EEES9_SG_JZNS1_25segmented_radix_sort_implINS0_14default_configELb0EPKaPaPKlPlN2at6native12_GLOBAL__N_18offset_tEEE10hipError_tPvRmT1_PNSt15iterator_traitsISY_E10value_typeET2_T3_PNSZ_IS14_E10value_typeET4_jRbjT5_S1A_jjP12ihipStream_tbEUljE_EEESV_SW_SX_S14_S18_S1A_T6_T7_T9_mT8_S1C_bDpT10_ENKUlT_T0_E_clISt17integral_constantIbLb1EES1P_EEDaS1K_S1L_EUlS1K_E_NS1_11comp_targetILNS1_3genE10ELNS1_11target_archE1200ELNS1_3gpuE4ELNS1_3repE0EEENS1_30default_config_static_selectorELNS0_4arch9wavefront6targetE0EEEvSY_,@function
_ZN7rocprim17ROCPRIM_400000_NS6detail17trampoline_kernelINS0_13select_configILj256ELj13ELNS0_17block_load_methodE3ELS4_3ELS4_3ELNS0_20block_scan_algorithmE0ELj4294967295EEENS1_25partition_config_selectorILNS1_17partition_subalgoE3EjNS0_10empty_typeEbEEZZNS1_14partition_implILS8_3ELb0ES6_jNS0_17counting_iteratorIjlEEPS9_SE_NS0_5tupleIJPjSE_EEENSF_IJSE_SE_EEES9_SG_JZNS1_25segmented_radix_sort_implINS0_14default_configELb0EPKaPaPKlPlN2at6native12_GLOBAL__N_18offset_tEEE10hipError_tPvRmT1_PNSt15iterator_traitsISY_E10value_typeET2_T3_PNSZ_IS14_E10value_typeET4_jRbjT5_S1A_jjP12ihipStream_tbEUljE_EEESV_SW_SX_S14_S18_S1A_T6_T7_T9_mT8_S1C_bDpT10_ENKUlT_T0_E_clISt17integral_constantIbLb1EES1P_EEDaS1K_S1L_EUlS1K_E_NS1_11comp_targetILNS1_3genE10ELNS1_11target_archE1200ELNS1_3gpuE4ELNS1_3repE0EEENS1_30default_config_static_selectorELNS0_4arch9wavefront6targetE0EEEvSY_: ; @_ZN7rocprim17ROCPRIM_400000_NS6detail17trampoline_kernelINS0_13select_configILj256ELj13ELNS0_17block_load_methodE3ELS4_3ELS4_3ELNS0_20block_scan_algorithmE0ELj4294967295EEENS1_25partition_config_selectorILNS1_17partition_subalgoE3EjNS0_10empty_typeEbEEZZNS1_14partition_implILS8_3ELb0ES6_jNS0_17counting_iteratorIjlEEPS9_SE_NS0_5tupleIJPjSE_EEENSF_IJSE_SE_EEES9_SG_JZNS1_25segmented_radix_sort_implINS0_14default_configELb0EPKaPaPKlPlN2at6native12_GLOBAL__N_18offset_tEEE10hipError_tPvRmT1_PNSt15iterator_traitsISY_E10value_typeET2_T3_PNSZ_IS14_E10value_typeET4_jRbjT5_S1A_jjP12ihipStream_tbEUljE_EEESV_SW_SX_S14_S18_S1A_T6_T7_T9_mT8_S1C_bDpT10_ENKUlT_T0_E_clISt17integral_constantIbLb1EES1P_EEDaS1K_S1L_EUlS1K_E_NS1_11comp_targetILNS1_3genE10ELNS1_11target_archE1200ELNS1_3gpuE4ELNS1_3repE0EEENS1_30default_config_static_selectorELNS0_4arch9wavefront6targetE0EEEvSY_
; %bb.0:
	.section	.rodata,"a",@progbits
	.p2align	6, 0x0
	.amdhsa_kernel _ZN7rocprim17ROCPRIM_400000_NS6detail17trampoline_kernelINS0_13select_configILj256ELj13ELNS0_17block_load_methodE3ELS4_3ELS4_3ELNS0_20block_scan_algorithmE0ELj4294967295EEENS1_25partition_config_selectorILNS1_17partition_subalgoE3EjNS0_10empty_typeEbEEZZNS1_14partition_implILS8_3ELb0ES6_jNS0_17counting_iteratorIjlEEPS9_SE_NS0_5tupleIJPjSE_EEENSF_IJSE_SE_EEES9_SG_JZNS1_25segmented_radix_sort_implINS0_14default_configELb0EPKaPaPKlPlN2at6native12_GLOBAL__N_18offset_tEEE10hipError_tPvRmT1_PNSt15iterator_traitsISY_E10value_typeET2_T3_PNSZ_IS14_E10value_typeET4_jRbjT5_S1A_jjP12ihipStream_tbEUljE_EEESV_SW_SX_S14_S18_S1A_T6_T7_T9_mT8_S1C_bDpT10_ENKUlT_T0_E_clISt17integral_constantIbLb1EES1P_EEDaS1K_S1L_EUlS1K_E_NS1_11comp_targetILNS1_3genE10ELNS1_11target_archE1200ELNS1_3gpuE4ELNS1_3repE0EEENS1_30default_config_static_selectorELNS0_4arch9wavefront6targetE0EEEvSY_
		.amdhsa_group_segment_fixed_size 0
		.amdhsa_private_segment_fixed_size 0
		.amdhsa_kernarg_size 152
		.amdhsa_user_sgpr_count 6
		.amdhsa_user_sgpr_private_segment_buffer 1
		.amdhsa_user_sgpr_dispatch_ptr 0
		.amdhsa_user_sgpr_queue_ptr 0
		.amdhsa_user_sgpr_kernarg_segment_ptr 1
		.amdhsa_user_sgpr_dispatch_id 0
		.amdhsa_user_sgpr_flat_scratch_init 0
		.amdhsa_user_sgpr_private_segment_size 0
		.amdhsa_wavefront_size32 1
		.amdhsa_uses_dynamic_stack 0
		.amdhsa_system_sgpr_private_segment_wavefront_offset 0
		.amdhsa_system_sgpr_workgroup_id_x 1
		.amdhsa_system_sgpr_workgroup_id_y 0
		.amdhsa_system_sgpr_workgroup_id_z 0
		.amdhsa_system_sgpr_workgroup_info 0
		.amdhsa_system_vgpr_workitem_id 0
		.amdhsa_next_free_vgpr 1
		.amdhsa_next_free_sgpr 1
		.amdhsa_reserve_vcc 0
		.amdhsa_reserve_flat_scratch 0
		.amdhsa_float_round_mode_32 0
		.amdhsa_float_round_mode_16_64 0
		.amdhsa_float_denorm_mode_32 3
		.amdhsa_float_denorm_mode_16_64 3
		.amdhsa_dx10_clamp 1
		.amdhsa_ieee_mode 1
		.amdhsa_fp16_overflow 0
		.amdhsa_workgroup_processor_mode 1
		.amdhsa_memory_ordered 1
		.amdhsa_forward_progress 1
		.amdhsa_shared_vgpr_count 0
		.amdhsa_exception_fp_ieee_invalid_op 0
		.amdhsa_exception_fp_denorm_src 0
		.amdhsa_exception_fp_ieee_div_zero 0
		.amdhsa_exception_fp_ieee_overflow 0
		.amdhsa_exception_fp_ieee_underflow 0
		.amdhsa_exception_fp_ieee_inexact 0
		.amdhsa_exception_int_div_zero 0
	.end_amdhsa_kernel
	.section	.text._ZN7rocprim17ROCPRIM_400000_NS6detail17trampoline_kernelINS0_13select_configILj256ELj13ELNS0_17block_load_methodE3ELS4_3ELS4_3ELNS0_20block_scan_algorithmE0ELj4294967295EEENS1_25partition_config_selectorILNS1_17partition_subalgoE3EjNS0_10empty_typeEbEEZZNS1_14partition_implILS8_3ELb0ES6_jNS0_17counting_iteratorIjlEEPS9_SE_NS0_5tupleIJPjSE_EEENSF_IJSE_SE_EEES9_SG_JZNS1_25segmented_radix_sort_implINS0_14default_configELb0EPKaPaPKlPlN2at6native12_GLOBAL__N_18offset_tEEE10hipError_tPvRmT1_PNSt15iterator_traitsISY_E10value_typeET2_T3_PNSZ_IS14_E10value_typeET4_jRbjT5_S1A_jjP12ihipStream_tbEUljE_EEESV_SW_SX_S14_S18_S1A_T6_T7_T9_mT8_S1C_bDpT10_ENKUlT_T0_E_clISt17integral_constantIbLb1EES1P_EEDaS1K_S1L_EUlS1K_E_NS1_11comp_targetILNS1_3genE10ELNS1_11target_archE1200ELNS1_3gpuE4ELNS1_3repE0EEENS1_30default_config_static_selectorELNS0_4arch9wavefront6targetE0EEEvSY_,"axG",@progbits,_ZN7rocprim17ROCPRIM_400000_NS6detail17trampoline_kernelINS0_13select_configILj256ELj13ELNS0_17block_load_methodE3ELS4_3ELS4_3ELNS0_20block_scan_algorithmE0ELj4294967295EEENS1_25partition_config_selectorILNS1_17partition_subalgoE3EjNS0_10empty_typeEbEEZZNS1_14partition_implILS8_3ELb0ES6_jNS0_17counting_iteratorIjlEEPS9_SE_NS0_5tupleIJPjSE_EEENSF_IJSE_SE_EEES9_SG_JZNS1_25segmented_radix_sort_implINS0_14default_configELb0EPKaPaPKlPlN2at6native12_GLOBAL__N_18offset_tEEE10hipError_tPvRmT1_PNSt15iterator_traitsISY_E10value_typeET2_T3_PNSZ_IS14_E10value_typeET4_jRbjT5_S1A_jjP12ihipStream_tbEUljE_EEESV_SW_SX_S14_S18_S1A_T6_T7_T9_mT8_S1C_bDpT10_ENKUlT_T0_E_clISt17integral_constantIbLb1EES1P_EEDaS1K_S1L_EUlS1K_E_NS1_11comp_targetILNS1_3genE10ELNS1_11target_archE1200ELNS1_3gpuE4ELNS1_3repE0EEENS1_30default_config_static_selectorELNS0_4arch9wavefront6targetE0EEEvSY_,comdat
.Lfunc_end371:
	.size	_ZN7rocprim17ROCPRIM_400000_NS6detail17trampoline_kernelINS0_13select_configILj256ELj13ELNS0_17block_load_methodE3ELS4_3ELS4_3ELNS0_20block_scan_algorithmE0ELj4294967295EEENS1_25partition_config_selectorILNS1_17partition_subalgoE3EjNS0_10empty_typeEbEEZZNS1_14partition_implILS8_3ELb0ES6_jNS0_17counting_iteratorIjlEEPS9_SE_NS0_5tupleIJPjSE_EEENSF_IJSE_SE_EEES9_SG_JZNS1_25segmented_radix_sort_implINS0_14default_configELb0EPKaPaPKlPlN2at6native12_GLOBAL__N_18offset_tEEE10hipError_tPvRmT1_PNSt15iterator_traitsISY_E10value_typeET2_T3_PNSZ_IS14_E10value_typeET4_jRbjT5_S1A_jjP12ihipStream_tbEUljE_EEESV_SW_SX_S14_S18_S1A_T6_T7_T9_mT8_S1C_bDpT10_ENKUlT_T0_E_clISt17integral_constantIbLb1EES1P_EEDaS1K_S1L_EUlS1K_E_NS1_11comp_targetILNS1_3genE10ELNS1_11target_archE1200ELNS1_3gpuE4ELNS1_3repE0EEENS1_30default_config_static_selectorELNS0_4arch9wavefront6targetE0EEEvSY_, .Lfunc_end371-_ZN7rocprim17ROCPRIM_400000_NS6detail17trampoline_kernelINS0_13select_configILj256ELj13ELNS0_17block_load_methodE3ELS4_3ELS4_3ELNS0_20block_scan_algorithmE0ELj4294967295EEENS1_25partition_config_selectorILNS1_17partition_subalgoE3EjNS0_10empty_typeEbEEZZNS1_14partition_implILS8_3ELb0ES6_jNS0_17counting_iteratorIjlEEPS9_SE_NS0_5tupleIJPjSE_EEENSF_IJSE_SE_EEES9_SG_JZNS1_25segmented_radix_sort_implINS0_14default_configELb0EPKaPaPKlPlN2at6native12_GLOBAL__N_18offset_tEEE10hipError_tPvRmT1_PNSt15iterator_traitsISY_E10value_typeET2_T3_PNSZ_IS14_E10value_typeET4_jRbjT5_S1A_jjP12ihipStream_tbEUljE_EEESV_SW_SX_S14_S18_S1A_T6_T7_T9_mT8_S1C_bDpT10_ENKUlT_T0_E_clISt17integral_constantIbLb1EES1P_EEDaS1K_S1L_EUlS1K_E_NS1_11comp_targetILNS1_3genE10ELNS1_11target_archE1200ELNS1_3gpuE4ELNS1_3repE0EEENS1_30default_config_static_selectorELNS0_4arch9wavefront6targetE0EEEvSY_
                                        ; -- End function
	.set _ZN7rocprim17ROCPRIM_400000_NS6detail17trampoline_kernelINS0_13select_configILj256ELj13ELNS0_17block_load_methodE3ELS4_3ELS4_3ELNS0_20block_scan_algorithmE0ELj4294967295EEENS1_25partition_config_selectorILNS1_17partition_subalgoE3EjNS0_10empty_typeEbEEZZNS1_14partition_implILS8_3ELb0ES6_jNS0_17counting_iteratorIjlEEPS9_SE_NS0_5tupleIJPjSE_EEENSF_IJSE_SE_EEES9_SG_JZNS1_25segmented_radix_sort_implINS0_14default_configELb0EPKaPaPKlPlN2at6native12_GLOBAL__N_18offset_tEEE10hipError_tPvRmT1_PNSt15iterator_traitsISY_E10value_typeET2_T3_PNSZ_IS14_E10value_typeET4_jRbjT5_S1A_jjP12ihipStream_tbEUljE_EEESV_SW_SX_S14_S18_S1A_T6_T7_T9_mT8_S1C_bDpT10_ENKUlT_T0_E_clISt17integral_constantIbLb1EES1P_EEDaS1K_S1L_EUlS1K_E_NS1_11comp_targetILNS1_3genE10ELNS1_11target_archE1200ELNS1_3gpuE4ELNS1_3repE0EEENS1_30default_config_static_selectorELNS0_4arch9wavefront6targetE0EEEvSY_.num_vgpr, 0
	.set _ZN7rocprim17ROCPRIM_400000_NS6detail17trampoline_kernelINS0_13select_configILj256ELj13ELNS0_17block_load_methodE3ELS4_3ELS4_3ELNS0_20block_scan_algorithmE0ELj4294967295EEENS1_25partition_config_selectorILNS1_17partition_subalgoE3EjNS0_10empty_typeEbEEZZNS1_14partition_implILS8_3ELb0ES6_jNS0_17counting_iteratorIjlEEPS9_SE_NS0_5tupleIJPjSE_EEENSF_IJSE_SE_EEES9_SG_JZNS1_25segmented_radix_sort_implINS0_14default_configELb0EPKaPaPKlPlN2at6native12_GLOBAL__N_18offset_tEEE10hipError_tPvRmT1_PNSt15iterator_traitsISY_E10value_typeET2_T3_PNSZ_IS14_E10value_typeET4_jRbjT5_S1A_jjP12ihipStream_tbEUljE_EEESV_SW_SX_S14_S18_S1A_T6_T7_T9_mT8_S1C_bDpT10_ENKUlT_T0_E_clISt17integral_constantIbLb1EES1P_EEDaS1K_S1L_EUlS1K_E_NS1_11comp_targetILNS1_3genE10ELNS1_11target_archE1200ELNS1_3gpuE4ELNS1_3repE0EEENS1_30default_config_static_selectorELNS0_4arch9wavefront6targetE0EEEvSY_.num_agpr, 0
	.set _ZN7rocprim17ROCPRIM_400000_NS6detail17trampoline_kernelINS0_13select_configILj256ELj13ELNS0_17block_load_methodE3ELS4_3ELS4_3ELNS0_20block_scan_algorithmE0ELj4294967295EEENS1_25partition_config_selectorILNS1_17partition_subalgoE3EjNS0_10empty_typeEbEEZZNS1_14partition_implILS8_3ELb0ES6_jNS0_17counting_iteratorIjlEEPS9_SE_NS0_5tupleIJPjSE_EEENSF_IJSE_SE_EEES9_SG_JZNS1_25segmented_radix_sort_implINS0_14default_configELb0EPKaPaPKlPlN2at6native12_GLOBAL__N_18offset_tEEE10hipError_tPvRmT1_PNSt15iterator_traitsISY_E10value_typeET2_T3_PNSZ_IS14_E10value_typeET4_jRbjT5_S1A_jjP12ihipStream_tbEUljE_EEESV_SW_SX_S14_S18_S1A_T6_T7_T9_mT8_S1C_bDpT10_ENKUlT_T0_E_clISt17integral_constantIbLb1EES1P_EEDaS1K_S1L_EUlS1K_E_NS1_11comp_targetILNS1_3genE10ELNS1_11target_archE1200ELNS1_3gpuE4ELNS1_3repE0EEENS1_30default_config_static_selectorELNS0_4arch9wavefront6targetE0EEEvSY_.numbered_sgpr, 0
	.set _ZN7rocprim17ROCPRIM_400000_NS6detail17trampoline_kernelINS0_13select_configILj256ELj13ELNS0_17block_load_methodE3ELS4_3ELS4_3ELNS0_20block_scan_algorithmE0ELj4294967295EEENS1_25partition_config_selectorILNS1_17partition_subalgoE3EjNS0_10empty_typeEbEEZZNS1_14partition_implILS8_3ELb0ES6_jNS0_17counting_iteratorIjlEEPS9_SE_NS0_5tupleIJPjSE_EEENSF_IJSE_SE_EEES9_SG_JZNS1_25segmented_radix_sort_implINS0_14default_configELb0EPKaPaPKlPlN2at6native12_GLOBAL__N_18offset_tEEE10hipError_tPvRmT1_PNSt15iterator_traitsISY_E10value_typeET2_T3_PNSZ_IS14_E10value_typeET4_jRbjT5_S1A_jjP12ihipStream_tbEUljE_EEESV_SW_SX_S14_S18_S1A_T6_T7_T9_mT8_S1C_bDpT10_ENKUlT_T0_E_clISt17integral_constantIbLb1EES1P_EEDaS1K_S1L_EUlS1K_E_NS1_11comp_targetILNS1_3genE10ELNS1_11target_archE1200ELNS1_3gpuE4ELNS1_3repE0EEENS1_30default_config_static_selectorELNS0_4arch9wavefront6targetE0EEEvSY_.num_named_barrier, 0
	.set _ZN7rocprim17ROCPRIM_400000_NS6detail17trampoline_kernelINS0_13select_configILj256ELj13ELNS0_17block_load_methodE3ELS4_3ELS4_3ELNS0_20block_scan_algorithmE0ELj4294967295EEENS1_25partition_config_selectorILNS1_17partition_subalgoE3EjNS0_10empty_typeEbEEZZNS1_14partition_implILS8_3ELb0ES6_jNS0_17counting_iteratorIjlEEPS9_SE_NS0_5tupleIJPjSE_EEENSF_IJSE_SE_EEES9_SG_JZNS1_25segmented_radix_sort_implINS0_14default_configELb0EPKaPaPKlPlN2at6native12_GLOBAL__N_18offset_tEEE10hipError_tPvRmT1_PNSt15iterator_traitsISY_E10value_typeET2_T3_PNSZ_IS14_E10value_typeET4_jRbjT5_S1A_jjP12ihipStream_tbEUljE_EEESV_SW_SX_S14_S18_S1A_T6_T7_T9_mT8_S1C_bDpT10_ENKUlT_T0_E_clISt17integral_constantIbLb1EES1P_EEDaS1K_S1L_EUlS1K_E_NS1_11comp_targetILNS1_3genE10ELNS1_11target_archE1200ELNS1_3gpuE4ELNS1_3repE0EEENS1_30default_config_static_selectorELNS0_4arch9wavefront6targetE0EEEvSY_.private_seg_size, 0
	.set _ZN7rocprim17ROCPRIM_400000_NS6detail17trampoline_kernelINS0_13select_configILj256ELj13ELNS0_17block_load_methodE3ELS4_3ELS4_3ELNS0_20block_scan_algorithmE0ELj4294967295EEENS1_25partition_config_selectorILNS1_17partition_subalgoE3EjNS0_10empty_typeEbEEZZNS1_14partition_implILS8_3ELb0ES6_jNS0_17counting_iteratorIjlEEPS9_SE_NS0_5tupleIJPjSE_EEENSF_IJSE_SE_EEES9_SG_JZNS1_25segmented_radix_sort_implINS0_14default_configELb0EPKaPaPKlPlN2at6native12_GLOBAL__N_18offset_tEEE10hipError_tPvRmT1_PNSt15iterator_traitsISY_E10value_typeET2_T3_PNSZ_IS14_E10value_typeET4_jRbjT5_S1A_jjP12ihipStream_tbEUljE_EEESV_SW_SX_S14_S18_S1A_T6_T7_T9_mT8_S1C_bDpT10_ENKUlT_T0_E_clISt17integral_constantIbLb1EES1P_EEDaS1K_S1L_EUlS1K_E_NS1_11comp_targetILNS1_3genE10ELNS1_11target_archE1200ELNS1_3gpuE4ELNS1_3repE0EEENS1_30default_config_static_selectorELNS0_4arch9wavefront6targetE0EEEvSY_.uses_vcc, 0
	.set _ZN7rocprim17ROCPRIM_400000_NS6detail17trampoline_kernelINS0_13select_configILj256ELj13ELNS0_17block_load_methodE3ELS4_3ELS4_3ELNS0_20block_scan_algorithmE0ELj4294967295EEENS1_25partition_config_selectorILNS1_17partition_subalgoE3EjNS0_10empty_typeEbEEZZNS1_14partition_implILS8_3ELb0ES6_jNS0_17counting_iteratorIjlEEPS9_SE_NS0_5tupleIJPjSE_EEENSF_IJSE_SE_EEES9_SG_JZNS1_25segmented_radix_sort_implINS0_14default_configELb0EPKaPaPKlPlN2at6native12_GLOBAL__N_18offset_tEEE10hipError_tPvRmT1_PNSt15iterator_traitsISY_E10value_typeET2_T3_PNSZ_IS14_E10value_typeET4_jRbjT5_S1A_jjP12ihipStream_tbEUljE_EEESV_SW_SX_S14_S18_S1A_T6_T7_T9_mT8_S1C_bDpT10_ENKUlT_T0_E_clISt17integral_constantIbLb1EES1P_EEDaS1K_S1L_EUlS1K_E_NS1_11comp_targetILNS1_3genE10ELNS1_11target_archE1200ELNS1_3gpuE4ELNS1_3repE0EEENS1_30default_config_static_selectorELNS0_4arch9wavefront6targetE0EEEvSY_.uses_flat_scratch, 0
	.set _ZN7rocprim17ROCPRIM_400000_NS6detail17trampoline_kernelINS0_13select_configILj256ELj13ELNS0_17block_load_methodE3ELS4_3ELS4_3ELNS0_20block_scan_algorithmE0ELj4294967295EEENS1_25partition_config_selectorILNS1_17partition_subalgoE3EjNS0_10empty_typeEbEEZZNS1_14partition_implILS8_3ELb0ES6_jNS0_17counting_iteratorIjlEEPS9_SE_NS0_5tupleIJPjSE_EEENSF_IJSE_SE_EEES9_SG_JZNS1_25segmented_radix_sort_implINS0_14default_configELb0EPKaPaPKlPlN2at6native12_GLOBAL__N_18offset_tEEE10hipError_tPvRmT1_PNSt15iterator_traitsISY_E10value_typeET2_T3_PNSZ_IS14_E10value_typeET4_jRbjT5_S1A_jjP12ihipStream_tbEUljE_EEESV_SW_SX_S14_S18_S1A_T6_T7_T9_mT8_S1C_bDpT10_ENKUlT_T0_E_clISt17integral_constantIbLb1EES1P_EEDaS1K_S1L_EUlS1K_E_NS1_11comp_targetILNS1_3genE10ELNS1_11target_archE1200ELNS1_3gpuE4ELNS1_3repE0EEENS1_30default_config_static_selectorELNS0_4arch9wavefront6targetE0EEEvSY_.has_dyn_sized_stack, 0
	.set _ZN7rocprim17ROCPRIM_400000_NS6detail17trampoline_kernelINS0_13select_configILj256ELj13ELNS0_17block_load_methodE3ELS4_3ELS4_3ELNS0_20block_scan_algorithmE0ELj4294967295EEENS1_25partition_config_selectorILNS1_17partition_subalgoE3EjNS0_10empty_typeEbEEZZNS1_14partition_implILS8_3ELb0ES6_jNS0_17counting_iteratorIjlEEPS9_SE_NS0_5tupleIJPjSE_EEENSF_IJSE_SE_EEES9_SG_JZNS1_25segmented_radix_sort_implINS0_14default_configELb0EPKaPaPKlPlN2at6native12_GLOBAL__N_18offset_tEEE10hipError_tPvRmT1_PNSt15iterator_traitsISY_E10value_typeET2_T3_PNSZ_IS14_E10value_typeET4_jRbjT5_S1A_jjP12ihipStream_tbEUljE_EEESV_SW_SX_S14_S18_S1A_T6_T7_T9_mT8_S1C_bDpT10_ENKUlT_T0_E_clISt17integral_constantIbLb1EES1P_EEDaS1K_S1L_EUlS1K_E_NS1_11comp_targetILNS1_3genE10ELNS1_11target_archE1200ELNS1_3gpuE4ELNS1_3repE0EEENS1_30default_config_static_selectorELNS0_4arch9wavefront6targetE0EEEvSY_.has_recursion, 0
	.set _ZN7rocprim17ROCPRIM_400000_NS6detail17trampoline_kernelINS0_13select_configILj256ELj13ELNS0_17block_load_methodE3ELS4_3ELS4_3ELNS0_20block_scan_algorithmE0ELj4294967295EEENS1_25partition_config_selectorILNS1_17partition_subalgoE3EjNS0_10empty_typeEbEEZZNS1_14partition_implILS8_3ELb0ES6_jNS0_17counting_iteratorIjlEEPS9_SE_NS0_5tupleIJPjSE_EEENSF_IJSE_SE_EEES9_SG_JZNS1_25segmented_radix_sort_implINS0_14default_configELb0EPKaPaPKlPlN2at6native12_GLOBAL__N_18offset_tEEE10hipError_tPvRmT1_PNSt15iterator_traitsISY_E10value_typeET2_T3_PNSZ_IS14_E10value_typeET4_jRbjT5_S1A_jjP12ihipStream_tbEUljE_EEESV_SW_SX_S14_S18_S1A_T6_T7_T9_mT8_S1C_bDpT10_ENKUlT_T0_E_clISt17integral_constantIbLb1EES1P_EEDaS1K_S1L_EUlS1K_E_NS1_11comp_targetILNS1_3genE10ELNS1_11target_archE1200ELNS1_3gpuE4ELNS1_3repE0EEENS1_30default_config_static_selectorELNS0_4arch9wavefront6targetE0EEEvSY_.has_indirect_call, 0
	.section	.AMDGPU.csdata,"",@progbits
; Kernel info:
; codeLenInByte = 0
; TotalNumSgprs: 0
; NumVgprs: 0
; ScratchSize: 0
; MemoryBound: 0
; FloatMode: 240
; IeeeMode: 1
; LDSByteSize: 0 bytes/workgroup (compile time only)
; SGPRBlocks: 0
; VGPRBlocks: 0
; NumSGPRsForWavesPerEU: 1
; NumVGPRsForWavesPerEU: 1
; Occupancy: 16
; WaveLimiterHint : 0
; COMPUTE_PGM_RSRC2:SCRATCH_EN: 0
; COMPUTE_PGM_RSRC2:USER_SGPR: 6
; COMPUTE_PGM_RSRC2:TRAP_HANDLER: 0
; COMPUTE_PGM_RSRC2:TGID_X_EN: 1
; COMPUTE_PGM_RSRC2:TGID_Y_EN: 0
; COMPUTE_PGM_RSRC2:TGID_Z_EN: 0
; COMPUTE_PGM_RSRC2:TIDIG_COMP_CNT: 0
	.section	.text._ZN7rocprim17ROCPRIM_400000_NS6detail17trampoline_kernelINS0_13select_configILj256ELj13ELNS0_17block_load_methodE3ELS4_3ELS4_3ELNS0_20block_scan_algorithmE0ELj4294967295EEENS1_25partition_config_selectorILNS1_17partition_subalgoE3EjNS0_10empty_typeEbEEZZNS1_14partition_implILS8_3ELb0ES6_jNS0_17counting_iteratorIjlEEPS9_SE_NS0_5tupleIJPjSE_EEENSF_IJSE_SE_EEES9_SG_JZNS1_25segmented_radix_sort_implINS0_14default_configELb0EPKaPaPKlPlN2at6native12_GLOBAL__N_18offset_tEEE10hipError_tPvRmT1_PNSt15iterator_traitsISY_E10value_typeET2_T3_PNSZ_IS14_E10value_typeET4_jRbjT5_S1A_jjP12ihipStream_tbEUljE_EEESV_SW_SX_S14_S18_S1A_T6_T7_T9_mT8_S1C_bDpT10_ENKUlT_T0_E_clISt17integral_constantIbLb1EES1P_EEDaS1K_S1L_EUlS1K_E_NS1_11comp_targetILNS1_3genE9ELNS1_11target_archE1100ELNS1_3gpuE3ELNS1_3repE0EEENS1_30default_config_static_selectorELNS0_4arch9wavefront6targetE0EEEvSY_,"axG",@progbits,_ZN7rocprim17ROCPRIM_400000_NS6detail17trampoline_kernelINS0_13select_configILj256ELj13ELNS0_17block_load_methodE3ELS4_3ELS4_3ELNS0_20block_scan_algorithmE0ELj4294967295EEENS1_25partition_config_selectorILNS1_17partition_subalgoE3EjNS0_10empty_typeEbEEZZNS1_14partition_implILS8_3ELb0ES6_jNS0_17counting_iteratorIjlEEPS9_SE_NS0_5tupleIJPjSE_EEENSF_IJSE_SE_EEES9_SG_JZNS1_25segmented_radix_sort_implINS0_14default_configELb0EPKaPaPKlPlN2at6native12_GLOBAL__N_18offset_tEEE10hipError_tPvRmT1_PNSt15iterator_traitsISY_E10value_typeET2_T3_PNSZ_IS14_E10value_typeET4_jRbjT5_S1A_jjP12ihipStream_tbEUljE_EEESV_SW_SX_S14_S18_S1A_T6_T7_T9_mT8_S1C_bDpT10_ENKUlT_T0_E_clISt17integral_constantIbLb1EES1P_EEDaS1K_S1L_EUlS1K_E_NS1_11comp_targetILNS1_3genE9ELNS1_11target_archE1100ELNS1_3gpuE3ELNS1_3repE0EEENS1_30default_config_static_selectorELNS0_4arch9wavefront6targetE0EEEvSY_,comdat
	.globl	_ZN7rocprim17ROCPRIM_400000_NS6detail17trampoline_kernelINS0_13select_configILj256ELj13ELNS0_17block_load_methodE3ELS4_3ELS4_3ELNS0_20block_scan_algorithmE0ELj4294967295EEENS1_25partition_config_selectorILNS1_17partition_subalgoE3EjNS0_10empty_typeEbEEZZNS1_14partition_implILS8_3ELb0ES6_jNS0_17counting_iteratorIjlEEPS9_SE_NS0_5tupleIJPjSE_EEENSF_IJSE_SE_EEES9_SG_JZNS1_25segmented_radix_sort_implINS0_14default_configELb0EPKaPaPKlPlN2at6native12_GLOBAL__N_18offset_tEEE10hipError_tPvRmT1_PNSt15iterator_traitsISY_E10value_typeET2_T3_PNSZ_IS14_E10value_typeET4_jRbjT5_S1A_jjP12ihipStream_tbEUljE_EEESV_SW_SX_S14_S18_S1A_T6_T7_T9_mT8_S1C_bDpT10_ENKUlT_T0_E_clISt17integral_constantIbLb1EES1P_EEDaS1K_S1L_EUlS1K_E_NS1_11comp_targetILNS1_3genE9ELNS1_11target_archE1100ELNS1_3gpuE3ELNS1_3repE0EEENS1_30default_config_static_selectorELNS0_4arch9wavefront6targetE0EEEvSY_ ; -- Begin function _ZN7rocprim17ROCPRIM_400000_NS6detail17trampoline_kernelINS0_13select_configILj256ELj13ELNS0_17block_load_methodE3ELS4_3ELS4_3ELNS0_20block_scan_algorithmE0ELj4294967295EEENS1_25partition_config_selectorILNS1_17partition_subalgoE3EjNS0_10empty_typeEbEEZZNS1_14partition_implILS8_3ELb0ES6_jNS0_17counting_iteratorIjlEEPS9_SE_NS0_5tupleIJPjSE_EEENSF_IJSE_SE_EEES9_SG_JZNS1_25segmented_radix_sort_implINS0_14default_configELb0EPKaPaPKlPlN2at6native12_GLOBAL__N_18offset_tEEE10hipError_tPvRmT1_PNSt15iterator_traitsISY_E10value_typeET2_T3_PNSZ_IS14_E10value_typeET4_jRbjT5_S1A_jjP12ihipStream_tbEUljE_EEESV_SW_SX_S14_S18_S1A_T6_T7_T9_mT8_S1C_bDpT10_ENKUlT_T0_E_clISt17integral_constantIbLb1EES1P_EEDaS1K_S1L_EUlS1K_E_NS1_11comp_targetILNS1_3genE9ELNS1_11target_archE1100ELNS1_3gpuE3ELNS1_3repE0EEENS1_30default_config_static_selectorELNS0_4arch9wavefront6targetE0EEEvSY_
	.p2align	8
	.type	_ZN7rocprim17ROCPRIM_400000_NS6detail17trampoline_kernelINS0_13select_configILj256ELj13ELNS0_17block_load_methodE3ELS4_3ELS4_3ELNS0_20block_scan_algorithmE0ELj4294967295EEENS1_25partition_config_selectorILNS1_17partition_subalgoE3EjNS0_10empty_typeEbEEZZNS1_14partition_implILS8_3ELb0ES6_jNS0_17counting_iteratorIjlEEPS9_SE_NS0_5tupleIJPjSE_EEENSF_IJSE_SE_EEES9_SG_JZNS1_25segmented_radix_sort_implINS0_14default_configELb0EPKaPaPKlPlN2at6native12_GLOBAL__N_18offset_tEEE10hipError_tPvRmT1_PNSt15iterator_traitsISY_E10value_typeET2_T3_PNSZ_IS14_E10value_typeET4_jRbjT5_S1A_jjP12ihipStream_tbEUljE_EEESV_SW_SX_S14_S18_S1A_T6_T7_T9_mT8_S1C_bDpT10_ENKUlT_T0_E_clISt17integral_constantIbLb1EES1P_EEDaS1K_S1L_EUlS1K_E_NS1_11comp_targetILNS1_3genE9ELNS1_11target_archE1100ELNS1_3gpuE3ELNS1_3repE0EEENS1_30default_config_static_selectorELNS0_4arch9wavefront6targetE0EEEvSY_,@function
_ZN7rocprim17ROCPRIM_400000_NS6detail17trampoline_kernelINS0_13select_configILj256ELj13ELNS0_17block_load_methodE3ELS4_3ELS4_3ELNS0_20block_scan_algorithmE0ELj4294967295EEENS1_25partition_config_selectorILNS1_17partition_subalgoE3EjNS0_10empty_typeEbEEZZNS1_14partition_implILS8_3ELb0ES6_jNS0_17counting_iteratorIjlEEPS9_SE_NS0_5tupleIJPjSE_EEENSF_IJSE_SE_EEES9_SG_JZNS1_25segmented_radix_sort_implINS0_14default_configELb0EPKaPaPKlPlN2at6native12_GLOBAL__N_18offset_tEEE10hipError_tPvRmT1_PNSt15iterator_traitsISY_E10value_typeET2_T3_PNSZ_IS14_E10value_typeET4_jRbjT5_S1A_jjP12ihipStream_tbEUljE_EEESV_SW_SX_S14_S18_S1A_T6_T7_T9_mT8_S1C_bDpT10_ENKUlT_T0_E_clISt17integral_constantIbLb1EES1P_EEDaS1K_S1L_EUlS1K_E_NS1_11comp_targetILNS1_3genE9ELNS1_11target_archE1100ELNS1_3gpuE3ELNS1_3repE0EEENS1_30default_config_static_selectorELNS0_4arch9wavefront6targetE0EEEvSY_: ; @_ZN7rocprim17ROCPRIM_400000_NS6detail17trampoline_kernelINS0_13select_configILj256ELj13ELNS0_17block_load_methodE3ELS4_3ELS4_3ELNS0_20block_scan_algorithmE0ELj4294967295EEENS1_25partition_config_selectorILNS1_17partition_subalgoE3EjNS0_10empty_typeEbEEZZNS1_14partition_implILS8_3ELb0ES6_jNS0_17counting_iteratorIjlEEPS9_SE_NS0_5tupleIJPjSE_EEENSF_IJSE_SE_EEES9_SG_JZNS1_25segmented_radix_sort_implINS0_14default_configELb0EPKaPaPKlPlN2at6native12_GLOBAL__N_18offset_tEEE10hipError_tPvRmT1_PNSt15iterator_traitsISY_E10value_typeET2_T3_PNSZ_IS14_E10value_typeET4_jRbjT5_S1A_jjP12ihipStream_tbEUljE_EEESV_SW_SX_S14_S18_S1A_T6_T7_T9_mT8_S1C_bDpT10_ENKUlT_T0_E_clISt17integral_constantIbLb1EES1P_EEDaS1K_S1L_EUlS1K_E_NS1_11comp_targetILNS1_3genE9ELNS1_11target_archE1100ELNS1_3gpuE3ELNS1_3repE0EEENS1_30default_config_static_selectorELNS0_4arch9wavefront6targetE0EEEvSY_
; %bb.0:
	.section	.rodata,"a",@progbits
	.p2align	6, 0x0
	.amdhsa_kernel _ZN7rocprim17ROCPRIM_400000_NS6detail17trampoline_kernelINS0_13select_configILj256ELj13ELNS0_17block_load_methodE3ELS4_3ELS4_3ELNS0_20block_scan_algorithmE0ELj4294967295EEENS1_25partition_config_selectorILNS1_17partition_subalgoE3EjNS0_10empty_typeEbEEZZNS1_14partition_implILS8_3ELb0ES6_jNS0_17counting_iteratorIjlEEPS9_SE_NS0_5tupleIJPjSE_EEENSF_IJSE_SE_EEES9_SG_JZNS1_25segmented_radix_sort_implINS0_14default_configELb0EPKaPaPKlPlN2at6native12_GLOBAL__N_18offset_tEEE10hipError_tPvRmT1_PNSt15iterator_traitsISY_E10value_typeET2_T3_PNSZ_IS14_E10value_typeET4_jRbjT5_S1A_jjP12ihipStream_tbEUljE_EEESV_SW_SX_S14_S18_S1A_T6_T7_T9_mT8_S1C_bDpT10_ENKUlT_T0_E_clISt17integral_constantIbLb1EES1P_EEDaS1K_S1L_EUlS1K_E_NS1_11comp_targetILNS1_3genE9ELNS1_11target_archE1100ELNS1_3gpuE3ELNS1_3repE0EEENS1_30default_config_static_selectorELNS0_4arch9wavefront6targetE0EEEvSY_
		.amdhsa_group_segment_fixed_size 0
		.amdhsa_private_segment_fixed_size 0
		.amdhsa_kernarg_size 152
		.amdhsa_user_sgpr_count 6
		.amdhsa_user_sgpr_private_segment_buffer 1
		.amdhsa_user_sgpr_dispatch_ptr 0
		.amdhsa_user_sgpr_queue_ptr 0
		.amdhsa_user_sgpr_kernarg_segment_ptr 1
		.amdhsa_user_sgpr_dispatch_id 0
		.amdhsa_user_sgpr_flat_scratch_init 0
		.amdhsa_user_sgpr_private_segment_size 0
		.amdhsa_wavefront_size32 1
		.amdhsa_uses_dynamic_stack 0
		.amdhsa_system_sgpr_private_segment_wavefront_offset 0
		.amdhsa_system_sgpr_workgroup_id_x 1
		.amdhsa_system_sgpr_workgroup_id_y 0
		.amdhsa_system_sgpr_workgroup_id_z 0
		.amdhsa_system_sgpr_workgroup_info 0
		.amdhsa_system_vgpr_workitem_id 0
		.amdhsa_next_free_vgpr 1
		.amdhsa_next_free_sgpr 1
		.amdhsa_reserve_vcc 0
		.amdhsa_reserve_flat_scratch 0
		.amdhsa_float_round_mode_32 0
		.amdhsa_float_round_mode_16_64 0
		.amdhsa_float_denorm_mode_32 3
		.amdhsa_float_denorm_mode_16_64 3
		.amdhsa_dx10_clamp 1
		.amdhsa_ieee_mode 1
		.amdhsa_fp16_overflow 0
		.amdhsa_workgroup_processor_mode 1
		.amdhsa_memory_ordered 1
		.amdhsa_forward_progress 1
		.amdhsa_shared_vgpr_count 0
		.amdhsa_exception_fp_ieee_invalid_op 0
		.amdhsa_exception_fp_denorm_src 0
		.amdhsa_exception_fp_ieee_div_zero 0
		.amdhsa_exception_fp_ieee_overflow 0
		.amdhsa_exception_fp_ieee_underflow 0
		.amdhsa_exception_fp_ieee_inexact 0
		.amdhsa_exception_int_div_zero 0
	.end_amdhsa_kernel
	.section	.text._ZN7rocprim17ROCPRIM_400000_NS6detail17trampoline_kernelINS0_13select_configILj256ELj13ELNS0_17block_load_methodE3ELS4_3ELS4_3ELNS0_20block_scan_algorithmE0ELj4294967295EEENS1_25partition_config_selectorILNS1_17partition_subalgoE3EjNS0_10empty_typeEbEEZZNS1_14partition_implILS8_3ELb0ES6_jNS0_17counting_iteratorIjlEEPS9_SE_NS0_5tupleIJPjSE_EEENSF_IJSE_SE_EEES9_SG_JZNS1_25segmented_radix_sort_implINS0_14default_configELb0EPKaPaPKlPlN2at6native12_GLOBAL__N_18offset_tEEE10hipError_tPvRmT1_PNSt15iterator_traitsISY_E10value_typeET2_T3_PNSZ_IS14_E10value_typeET4_jRbjT5_S1A_jjP12ihipStream_tbEUljE_EEESV_SW_SX_S14_S18_S1A_T6_T7_T9_mT8_S1C_bDpT10_ENKUlT_T0_E_clISt17integral_constantIbLb1EES1P_EEDaS1K_S1L_EUlS1K_E_NS1_11comp_targetILNS1_3genE9ELNS1_11target_archE1100ELNS1_3gpuE3ELNS1_3repE0EEENS1_30default_config_static_selectorELNS0_4arch9wavefront6targetE0EEEvSY_,"axG",@progbits,_ZN7rocprim17ROCPRIM_400000_NS6detail17trampoline_kernelINS0_13select_configILj256ELj13ELNS0_17block_load_methodE3ELS4_3ELS4_3ELNS0_20block_scan_algorithmE0ELj4294967295EEENS1_25partition_config_selectorILNS1_17partition_subalgoE3EjNS0_10empty_typeEbEEZZNS1_14partition_implILS8_3ELb0ES6_jNS0_17counting_iteratorIjlEEPS9_SE_NS0_5tupleIJPjSE_EEENSF_IJSE_SE_EEES9_SG_JZNS1_25segmented_radix_sort_implINS0_14default_configELb0EPKaPaPKlPlN2at6native12_GLOBAL__N_18offset_tEEE10hipError_tPvRmT1_PNSt15iterator_traitsISY_E10value_typeET2_T3_PNSZ_IS14_E10value_typeET4_jRbjT5_S1A_jjP12ihipStream_tbEUljE_EEESV_SW_SX_S14_S18_S1A_T6_T7_T9_mT8_S1C_bDpT10_ENKUlT_T0_E_clISt17integral_constantIbLb1EES1P_EEDaS1K_S1L_EUlS1K_E_NS1_11comp_targetILNS1_3genE9ELNS1_11target_archE1100ELNS1_3gpuE3ELNS1_3repE0EEENS1_30default_config_static_selectorELNS0_4arch9wavefront6targetE0EEEvSY_,comdat
.Lfunc_end372:
	.size	_ZN7rocprim17ROCPRIM_400000_NS6detail17trampoline_kernelINS0_13select_configILj256ELj13ELNS0_17block_load_methodE3ELS4_3ELS4_3ELNS0_20block_scan_algorithmE0ELj4294967295EEENS1_25partition_config_selectorILNS1_17partition_subalgoE3EjNS0_10empty_typeEbEEZZNS1_14partition_implILS8_3ELb0ES6_jNS0_17counting_iteratorIjlEEPS9_SE_NS0_5tupleIJPjSE_EEENSF_IJSE_SE_EEES9_SG_JZNS1_25segmented_radix_sort_implINS0_14default_configELb0EPKaPaPKlPlN2at6native12_GLOBAL__N_18offset_tEEE10hipError_tPvRmT1_PNSt15iterator_traitsISY_E10value_typeET2_T3_PNSZ_IS14_E10value_typeET4_jRbjT5_S1A_jjP12ihipStream_tbEUljE_EEESV_SW_SX_S14_S18_S1A_T6_T7_T9_mT8_S1C_bDpT10_ENKUlT_T0_E_clISt17integral_constantIbLb1EES1P_EEDaS1K_S1L_EUlS1K_E_NS1_11comp_targetILNS1_3genE9ELNS1_11target_archE1100ELNS1_3gpuE3ELNS1_3repE0EEENS1_30default_config_static_selectorELNS0_4arch9wavefront6targetE0EEEvSY_, .Lfunc_end372-_ZN7rocprim17ROCPRIM_400000_NS6detail17trampoline_kernelINS0_13select_configILj256ELj13ELNS0_17block_load_methodE3ELS4_3ELS4_3ELNS0_20block_scan_algorithmE0ELj4294967295EEENS1_25partition_config_selectorILNS1_17partition_subalgoE3EjNS0_10empty_typeEbEEZZNS1_14partition_implILS8_3ELb0ES6_jNS0_17counting_iteratorIjlEEPS9_SE_NS0_5tupleIJPjSE_EEENSF_IJSE_SE_EEES9_SG_JZNS1_25segmented_radix_sort_implINS0_14default_configELb0EPKaPaPKlPlN2at6native12_GLOBAL__N_18offset_tEEE10hipError_tPvRmT1_PNSt15iterator_traitsISY_E10value_typeET2_T3_PNSZ_IS14_E10value_typeET4_jRbjT5_S1A_jjP12ihipStream_tbEUljE_EEESV_SW_SX_S14_S18_S1A_T6_T7_T9_mT8_S1C_bDpT10_ENKUlT_T0_E_clISt17integral_constantIbLb1EES1P_EEDaS1K_S1L_EUlS1K_E_NS1_11comp_targetILNS1_3genE9ELNS1_11target_archE1100ELNS1_3gpuE3ELNS1_3repE0EEENS1_30default_config_static_selectorELNS0_4arch9wavefront6targetE0EEEvSY_
                                        ; -- End function
	.set _ZN7rocprim17ROCPRIM_400000_NS6detail17trampoline_kernelINS0_13select_configILj256ELj13ELNS0_17block_load_methodE3ELS4_3ELS4_3ELNS0_20block_scan_algorithmE0ELj4294967295EEENS1_25partition_config_selectorILNS1_17partition_subalgoE3EjNS0_10empty_typeEbEEZZNS1_14partition_implILS8_3ELb0ES6_jNS0_17counting_iteratorIjlEEPS9_SE_NS0_5tupleIJPjSE_EEENSF_IJSE_SE_EEES9_SG_JZNS1_25segmented_radix_sort_implINS0_14default_configELb0EPKaPaPKlPlN2at6native12_GLOBAL__N_18offset_tEEE10hipError_tPvRmT1_PNSt15iterator_traitsISY_E10value_typeET2_T3_PNSZ_IS14_E10value_typeET4_jRbjT5_S1A_jjP12ihipStream_tbEUljE_EEESV_SW_SX_S14_S18_S1A_T6_T7_T9_mT8_S1C_bDpT10_ENKUlT_T0_E_clISt17integral_constantIbLb1EES1P_EEDaS1K_S1L_EUlS1K_E_NS1_11comp_targetILNS1_3genE9ELNS1_11target_archE1100ELNS1_3gpuE3ELNS1_3repE0EEENS1_30default_config_static_selectorELNS0_4arch9wavefront6targetE0EEEvSY_.num_vgpr, 0
	.set _ZN7rocprim17ROCPRIM_400000_NS6detail17trampoline_kernelINS0_13select_configILj256ELj13ELNS0_17block_load_methodE3ELS4_3ELS4_3ELNS0_20block_scan_algorithmE0ELj4294967295EEENS1_25partition_config_selectorILNS1_17partition_subalgoE3EjNS0_10empty_typeEbEEZZNS1_14partition_implILS8_3ELb0ES6_jNS0_17counting_iteratorIjlEEPS9_SE_NS0_5tupleIJPjSE_EEENSF_IJSE_SE_EEES9_SG_JZNS1_25segmented_radix_sort_implINS0_14default_configELb0EPKaPaPKlPlN2at6native12_GLOBAL__N_18offset_tEEE10hipError_tPvRmT1_PNSt15iterator_traitsISY_E10value_typeET2_T3_PNSZ_IS14_E10value_typeET4_jRbjT5_S1A_jjP12ihipStream_tbEUljE_EEESV_SW_SX_S14_S18_S1A_T6_T7_T9_mT8_S1C_bDpT10_ENKUlT_T0_E_clISt17integral_constantIbLb1EES1P_EEDaS1K_S1L_EUlS1K_E_NS1_11comp_targetILNS1_3genE9ELNS1_11target_archE1100ELNS1_3gpuE3ELNS1_3repE0EEENS1_30default_config_static_selectorELNS0_4arch9wavefront6targetE0EEEvSY_.num_agpr, 0
	.set _ZN7rocprim17ROCPRIM_400000_NS6detail17trampoline_kernelINS0_13select_configILj256ELj13ELNS0_17block_load_methodE3ELS4_3ELS4_3ELNS0_20block_scan_algorithmE0ELj4294967295EEENS1_25partition_config_selectorILNS1_17partition_subalgoE3EjNS0_10empty_typeEbEEZZNS1_14partition_implILS8_3ELb0ES6_jNS0_17counting_iteratorIjlEEPS9_SE_NS0_5tupleIJPjSE_EEENSF_IJSE_SE_EEES9_SG_JZNS1_25segmented_radix_sort_implINS0_14default_configELb0EPKaPaPKlPlN2at6native12_GLOBAL__N_18offset_tEEE10hipError_tPvRmT1_PNSt15iterator_traitsISY_E10value_typeET2_T3_PNSZ_IS14_E10value_typeET4_jRbjT5_S1A_jjP12ihipStream_tbEUljE_EEESV_SW_SX_S14_S18_S1A_T6_T7_T9_mT8_S1C_bDpT10_ENKUlT_T0_E_clISt17integral_constantIbLb1EES1P_EEDaS1K_S1L_EUlS1K_E_NS1_11comp_targetILNS1_3genE9ELNS1_11target_archE1100ELNS1_3gpuE3ELNS1_3repE0EEENS1_30default_config_static_selectorELNS0_4arch9wavefront6targetE0EEEvSY_.numbered_sgpr, 0
	.set _ZN7rocprim17ROCPRIM_400000_NS6detail17trampoline_kernelINS0_13select_configILj256ELj13ELNS0_17block_load_methodE3ELS4_3ELS4_3ELNS0_20block_scan_algorithmE0ELj4294967295EEENS1_25partition_config_selectorILNS1_17partition_subalgoE3EjNS0_10empty_typeEbEEZZNS1_14partition_implILS8_3ELb0ES6_jNS0_17counting_iteratorIjlEEPS9_SE_NS0_5tupleIJPjSE_EEENSF_IJSE_SE_EEES9_SG_JZNS1_25segmented_radix_sort_implINS0_14default_configELb0EPKaPaPKlPlN2at6native12_GLOBAL__N_18offset_tEEE10hipError_tPvRmT1_PNSt15iterator_traitsISY_E10value_typeET2_T3_PNSZ_IS14_E10value_typeET4_jRbjT5_S1A_jjP12ihipStream_tbEUljE_EEESV_SW_SX_S14_S18_S1A_T6_T7_T9_mT8_S1C_bDpT10_ENKUlT_T0_E_clISt17integral_constantIbLb1EES1P_EEDaS1K_S1L_EUlS1K_E_NS1_11comp_targetILNS1_3genE9ELNS1_11target_archE1100ELNS1_3gpuE3ELNS1_3repE0EEENS1_30default_config_static_selectorELNS0_4arch9wavefront6targetE0EEEvSY_.num_named_barrier, 0
	.set _ZN7rocprim17ROCPRIM_400000_NS6detail17trampoline_kernelINS0_13select_configILj256ELj13ELNS0_17block_load_methodE3ELS4_3ELS4_3ELNS0_20block_scan_algorithmE0ELj4294967295EEENS1_25partition_config_selectorILNS1_17partition_subalgoE3EjNS0_10empty_typeEbEEZZNS1_14partition_implILS8_3ELb0ES6_jNS0_17counting_iteratorIjlEEPS9_SE_NS0_5tupleIJPjSE_EEENSF_IJSE_SE_EEES9_SG_JZNS1_25segmented_radix_sort_implINS0_14default_configELb0EPKaPaPKlPlN2at6native12_GLOBAL__N_18offset_tEEE10hipError_tPvRmT1_PNSt15iterator_traitsISY_E10value_typeET2_T3_PNSZ_IS14_E10value_typeET4_jRbjT5_S1A_jjP12ihipStream_tbEUljE_EEESV_SW_SX_S14_S18_S1A_T6_T7_T9_mT8_S1C_bDpT10_ENKUlT_T0_E_clISt17integral_constantIbLb1EES1P_EEDaS1K_S1L_EUlS1K_E_NS1_11comp_targetILNS1_3genE9ELNS1_11target_archE1100ELNS1_3gpuE3ELNS1_3repE0EEENS1_30default_config_static_selectorELNS0_4arch9wavefront6targetE0EEEvSY_.private_seg_size, 0
	.set _ZN7rocprim17ROCPRIM_400000_NS6detail17trampoline_kernelINS0_13select_configILj256ELj13ELNS0_17block_load_methodE3ELS4_3ELS4_3ELNS0_20block_scan_algorithmE0ELj4294967295EEENS1_25partition_config_selectorILNS1_17partition_subalgoE3EjNS0_10empty_typeEbEEZZNS1_14partition_implILS8_3ELb0ES6_jNS0_17counting_iteratorIjlEEPS9_SE_NS0_5tupleIJPjSE_EEENSF_IJSE_SE_EEES9_SG_JZNS1_25segmented_radix_sort_implINS0_14default_configELb0EPKaPaPKlPlN2at6native12_GLOBAL__N_18offset_tEEE10hipError_tPvRmT1_PNSt15iterator_traitsISY_E10value_typeET2_T3_PNSZ_IS14_E10value_typeET4_jRbjT5_S1A_jjP12ihipStream_tbEUljE_EEESV_SW_SX_S14_S18_S1A_T6_T7_T9_mT8_S1C_bDpT10_ENKUlT_T0_E_clISt17integral_constantIbLb1EES1P_EEDaS1K_S1L_EUlS1K_E_NS1_11comp_targetILNS1_3genE9ELNS1_11target_archE1100ELNS1_3gpuE3ELNS1_3repE0EEENS1_30default_config_static_selectorELNS0_4arch9wavefront6targetE0EEEvSY_.uses_vcc, 0
	.set _ZN7rocprim17ROCPRIM_400000_NS6detail17trampoline_kernelINS0_13select_configILj256ELj13ELNS0_17block_load_methodE3ELS4_3ELS4_3ELNS0_20block_scan_algorithmE0ELj4294967295EEENS1_25partition_config_selectorILNS1_17partition_subalgoE3EjNS0_10empty_typeEbEEZZNS1_14partition_implILS8_3ELb0ES6_jNS0_17counting_iteratorIjlEEPS9_SE_NS0_5tupleIJPjSE_EEENSF_IJSE_SE_EEES9_SG_JZNS1_25segmented_radix_sort_implINS0_14default_configELb0EPKaPaPKlPlN2at6native12_GLOBAL__N_18offset_tEEE10hipError_tPvRmT1_PNSt15iterator_traitsISY_E10value_typeET2_T3_PNSZ_IS14_E10value_typeET4_jRbjT5_S1A_jjP12ihipStream_tbEUljE_EEESV_SW_SX_S14_S18_S1A_T6_T7_T9_mT8_S1C_bDpT10_ENKUlT_T0_E_clISt17integral_constantIbLb1EES1P_EEDaS1K_S1L_EUlS1K_E_NS1_11comp_targetILNS1_3genE9ELNS1_11target_archE1100ELNS1_3gpuE3ELNS1_3repE0EEENS1_30default_config_static_selectorELNS0_4arch9wavefront6targetE0EEEvSY_.uses_flat_scratch, 0
	.set _ZN7rocprim17ROCPRIM_400000_NS6detail17trampoline_kernelINS0_13select_configILj256ELj13ELNS0_17block_load_methodE3ELS4_3ELS4_3ELNS0_20block_scan_algorithmE0ELj4294967295EEENS1_25partition_config_selectorILNS1_17partition_subalgoE3EjNS0_10empty_typeEbEEZZNS1_14partition_implILS8_3ELb0ES6_jNS0_17counting_iteratorIjlEEPS9_SE_NS0_5tupleIJPjSE_EEENSF_IJSE_SE_EEES9_SG_JZNS1_25segmented_radix_sort_implINS0_14default_configELb0EPKaPaPKlPlN2at6native12_GLOBAL__N_18offset_tEEE10hipError_tPvRmT1_PNSt15iterator_traitsISY_E10value_typeET2_T3_PNSZ_IS14_E10value_typeET4_jRbjT5_S1A_jjP12ihipStream_tbEUljE_EEESV_SW_SX_S14_S18_S1A_T6_T7_T9_mT8_S1C_bDpT10_ENKUlT_T0_E_clISt17integral_constantIbLb1EES1P_EEDaS1K_S1L_EUlS1K_E_NS1_11comp_targetILNS1_3genE9ELNS1_11target_archE1100ELNS1_3gpuE3ELNS1_3repE0EEENS1_30default_config_static_selectorELNS0_4arch9wavefront6targetE0EEEvSY_.has_dyn_sized_stack, 0
	.set _ZN7rocprim17ROCPRIM_400000_NS6detail17trampoline_kernelINS0_13select_configILj256ELj13ELNS0_17block_load_methodE3ELS4_3ELS4_3ELNS0_20block_scan_algorithmE0ELj4294967295EEENS1_25partition_config_selectorILNS1_17partition_subalgoE3EjNS0_10empty_typeEbEEZZNS1_14partition_implILS8_3ELb0ES6_jNS0_17counting_iteratorIjlEEPS9_SE_NS0_5tupleIJPjSE_EEENSF_IJSE_SE_EEES9_SG_JZNS1_25segmented_radix_sort_implINS0_14default_configELb0EPKaPaPKlPlN2at6native12_GLOBAL__N_18offset_tEEE10hipError_tPvRmT1_PNSt15iterator_traitsISY_E10value_typeET2_T3_PNSZ_IS14_E10value_typeET4_jRbjT5_S1A_jjP12ihipStream_tbEUljE_EEESV_SW_SX_S14_S18_S1A_T6_T7_T9_mT8_S1C_bDpT10_ENKUlT_T0_E_clISt17integral_constantIbLb1EES1P_EEDaS1K_S1L_EUlS1K_E_NS1_11comp_targetILNS1_3genE9ELNS1_11target_archE1100ELNS1_3gpuE3ELNS1_3repE0EEENS1_30default_config_static_selectorELNS0_4arch9wavefront6targetE0EEEvSY_.has_recursion, 0
	.set _ZN7rocprim17ROCPRIM_400000_NS6detail17trampoline_kernelINS0_13select_configILj256ELj13ELNS0_17block_load_methodE3ELS4_3ELS4_3ELNS0_20block_scan_algorithmE0ELj4294967295EEENS1_25partition_config_selectorILNS1_17partition_subalgoE3EjNS0_10empty_typeEbEEZZNS1_14partition_implILS8_3ELb0ES6_jNS0_17counting_iteratorIjlEEPS9_SE_NS0_5tupleIJPjSE_EEENSF_IJSE_SE_EEES9_SG_JZNS1_25segmented_radix_sort_implINS0_14default_configELb0EPKaPaPKlPlN2at6native12_GLOBAL__N_18offset_tEEE10hipError_tPvRmT1_PNSt15iterator_traitsISY_E10value_typeET2_T3_PNSZ_IS14_E10value_typeET4_jRbjT5_S1A_jjP12ihipStream_tbEUljE_EEESV_SW_SX_S14_S18_S1A_T6_T7_T9_mT8_S1C_bDpT10_ENKUlT_T0_E_clISt17integral_constantIbLb1EES1P_EEDaS1K_S1L_EUlS1K_E_NS1_11comp_targetILNS1_3genE9ELNS1_11target_archE1100ELNS1_3gpuE3ELNS1_3repE0EEENS1_30default_config_static_selectorELNS0_4arch9wavefront6targetE0EEEvSY_.has_indirect_call, 0
	.section	.AMDGPU.csdata,"",@progbits
; Kernel info:
; codeLenInByte = 0
; TotalNumSgprs: 0
; NumVgprs: 0
; ScratchSize: 0
; MemoryBound: 0
; FloatMode: 240
; IeeeMode: 1
; LDSByteSize: 0 bytes/workgroup (compile time only)
; SGPRBlocks: 0
; VGPRBlocks: 0
; NumSGPRsForWavesPerEU: 1
; NumVGPRsForWavesPerEU: 1
; Occupancy: 16
; WaveLimiterHint : 0
; COMPUTE_PGM_RSRC2:SCRATCH_EN: 0
; COMPUTE_PGM_RSRC2:USER_SGPR: 6
; COMPUTE_PGM_RSRC2:TRAP_HANDLER: 0
; COMPUTE_PGM_RSRC2:TGID_X_EN: 1
; COMPUTE_PGM_RSRC2:TGID_Y_EN: 0
; COMPUTE_PGM_RSRC2:TGID_Z_EN: 0
; COMPUTE_PGM_RSRC2:TIDIG_COMP_CNT: 0
	.section	.text._ZN7rocprim17ROCPRIM_400000_NS6detail17trampoline_kernelINS0_13select_configILj256ELj13ELNS0_17block_load_methodE3ELS4_3ELS4_3ELNS0_20block_scan_algorithmE0ELj4294967295EEENS1_25partition_config_selectorILNS1_17partition_subalgoE3EjNS0_10empty_typeEbEEZZNS1_14partition_implILS8_3ELb0ES6_jNS0_17counting_iteratorIjlEEPS9_SE_NS0_5tupleIJPjSE_EEENSF_IJSE_SE_EEES9_SG_JZNS1_25segmented_radix_sort_implINS0_14default_configELb0EPKaPaPKlPlN2at6native12_GLOBAL__N_18offset_tEEE10hipError_tPvRmT1_PNSt15iterator_traitsISY_E10value_typeET2_T3_PNSZ_IS14_E10value_typeET4_jRbjT5_S1A_jjP12ihipStream_tbEUljE_EEESV_SW_SX_S14_S18_S1A_T6_T7_T9_mT8_S1C_bDpT10_ENKUlT_T0_E_clISt17integral_constantIbLb1EES1P_EEDaS1K_S1L_EUlS1K_E_NS1_11comp_targetILNS1_3genE8ELNS1_11target_archE1030ELNS1_3gpuE2ELNS1_3repE0EEENS1_30default_config_static_selectorELNS0_4arch9wavefront6targetE0EEEvSY_,"axG",@progbits,_ZN7rocprim17ROCPRIM_400000_NS6detail17trampoline_kernelINS0_13select_configILj256ELj13ELNS0_17block_load_methodE3ELS4_3ELS4_3ELNS0_20block_scan_algorithmE0ELj4294967295EEENS1_25partition_config_selectorILNS1_17partition_subalgoE3EjNS0_10empty_typeEbEEZZNS1_14partition_implILS8_3ELb0ES6_jNS0_17counting_iteratorIjlEEPS9_SE_NS0_5tupleIJPjSE_EEENSF_IJSE_SE_EEES9_SG_JZNS1_25segmented_radix_sort_implINS0_14default_configELb0EPKaPaPKlPlN2at6native12_GLOBAL__N_18offset_tEEE10hipError_tPvRmT1_PNSt15iterator_traitsISY_E10value_typeET2_T3_PNSZ_IS14_E10value_typeET4_jRbjT5_S1A_jjP12ihipStream_tbEUljE_EEESV_SW_SX_S14_S18_S1A_T6_T7_T9_mT8_S1C_bDpT10_ENKUlT_T0_E_clISt17integral_constantIbLb1EES1P_EEDaS1K_S1L_EUlS1K_E_NS1_11comp_targetILNS1_3genE8ELNS1_11target_archE1030ELNS1_3gpuE2ELNS1_3repE0EEENS1_30default_config_static_selectorELNS0_4arch9wavefront6targetE0EEEvSY_,comdat
	.globl	_ZN7rocprim17ROCPRIM_400000_NS6detail17trampoline_kernelINS0_13select_configILj256ELj13ELNS0_17block_load_methodE3ELS4_3ELS4_3ELNS0_20block_scan_algorithmE0ELj4294967295EEENS1_25partition_config_selectorILNS1_17partition_subalgoE3EjNS0_10empty_typeEbEEZZNS1_14partition_implILS8_3ELb0ES6_jNS0_17counting_iteratorIjlEEPS9_SE_NS0_5tupleIJPjSE_EEENSF_IJSE_SE_EEES9_SG_JZNS1_25segmented_radix_sort_implINS0_14default_configELb0EPKaPaPKlPlN2at6native12_GLOBAL__N_18offset_tEEE10hipError_tPvRmT1_PNSt15iterator_traitsISY_E10value_typeET2_T3_PNSZ_IS14_E10value_typeET4_jRbjT5_S1A_jjP12ihipStream_tbEUljE_EEESV_SW_SX_S14_S18_S1A_T6_T7_T9_mT8_S1C_bDpT10_ENKUlT_T0_E_clISt17integral_constantIbLb1EES1P_EEDaS1K_S1L_EUlS1K_E_NS1_11comp_targetILNS1_3genE8ELNS1_11target_archE1030ELNS1_3gpuE2ELNS1_3repE0EEENS1_30default_config_static_selectorELNS0_4arch9wavefront6targetE0EEEvSY_ ; -- Begin function _ZN7rocprim17ROCPRIM_400000_NS6detail17trampoline_kernelINS0_13select_configILj256ELj13ELNS0_17block_load_methodE3ELS4_3ELS4_3ELNS0_20block_scan_algorithmE0ELj4294967295EEENS1_25partition_config_selectorILNS1_17partition_subalgoE3EjNS0_10empty_typeEbEEZZNS1_14partition_implILS8_3ELb0ES6_jNS0_17counting_iteratorIjlEEPS9_SE_NS0_5tupleIJPjSE_EEENSF_IJSE_SE_EEES9_SG_JZNS1_25segmented_radix_sort_implINS0_14default_configELb0EPKaPaPKlPlN2at6native12_GLOBAL__N_18offset_tEEE10hipError_tPvRmT1_PNSt15iterator_traitsISY_E10value_typeET2_T3_PNSZ_IS14_E10value_typeET4_jRbjT5_S1A_jjP12ihipStream_tbEUljE_EEESV_SW_SX_S14_S18_S1A_T6_T7_T9_mT8_S1C_bDpT10_ENKUlT_T0_E_clISt17integral_constantIbLb1EES1P_EEDaS1K_S1L_EUlS1K_E_NS1_11comp_targetILNS1_3genE8ELNS1_11target_archE1030ELNS1_3gpuE2ELNS1_3repE0EEENS1_30default_config_static_selectorELNS0_4arch9wavefront6targetE0EEEvSY_
	.p2align	8
	.type	_ZN7rocprim17ROCPRIM_400000_NS6detail17trampoline_kernelINS0_13select_configILj256ELj13ELNS0_17block_load_methodE3ELS4_3ELS4_3ELNS0_20block_scan_algorithmE0ELj4294967295EEENS1_25partition_config_selectorILNS1_17partition_subalgoE3EjNS0_10empty_typeEbEEZZNS1_14partition_implILS8_3ELb0ES6_jNS0_17counting_iteratorIjlEEPS9_SE_NS0_5tupleIJPjSE_EEENSF_IJSE_SE_EEES9_SG_JZNS1_25segmented_radix_sort_implINS0_14default_configELb0EPKaPaPKlPlN2at6native12_GLOBAL__N_18offset_tEEE10hipError_tPvRmT1_PNSt15iterator_traitsISY_E10value_typeET2_T3_PNSZ_IS14_E10value_typeET4_jRbjT5_S1A_jjP12ihipStream_tbEUljE_EEESV_SW_SX_S14_S18_S1A_T6_T7_T9_mT8_S1C_bDpT10_ENKUlT_T0_E_clISt17integral_constantIbLb1EES1P_EEDaS1K_S1L_EUlS1K_E_NS1_11comp_targetILNS1_3genE8ELNS1_11target_archE1030ELNS1_3gpuE2ELNS1_3repE0EEENS1_30default_config_static_selectorELNS0_4arch9wavefront6targetE0EEEvSY_,@function
_ZN7rocprim17ROCPRIM_400000_NS6detail17trampoline_kernelINS0_13select_configILj256ELj13ELNS0_17block_load_methodE3ELS4_3ELS4_3ELNS0_20block_scan_algorithmE0ELj4294967295EEENS1_25partition_config_selectorILNS1_17partition_subalgoE3EjNS0_10empty_typeEbEEZZNS1_14partition_implILS8_3ELb0ES6_jNS0_17counting_iteratorIjlEEPS9_SE_NS0_5tupleIJPjSE_EEENSF_IJSE_SE_EEES9_SG_JZNS1_25segmented_radix_sort_implINS0_14default_configELb0EPKaPaPKlPlN2at6native12_GLOBAL__N_18offset_tEEE10hipError_tPvRmT1_PNSt15iterator_traitsISY_E10value_typeET2_T3_PNSZ_IS14_E10value_typeET4_jRbjT5_S1A_jjP12ihipStream_tbEUljE_EEESV_SW_SX_S14_S18_S1A_T6_T7_T9_mT8_S1C_bDpT10_ENKUlT_T0_E_clISt17integral_constantIbLb1EES1P_EEDaS1K_S1L_EUlS1K_E_NS1_11comp_targetILNS1_3genE8ELNS1_11target_archE1030ELNS1_3gpuE2ELNS1_3repE0EEENS1_30default_config_static_selectorELNS0_4arch9wavefront6targetE0EEEvSY_: ; @_ZN7rocprim17ROCPRIM_400000_NS6detail17trampoline_kernelINS0_13select_configILj256ELj13ELNS0_17block_load_methodE3ELS4_3ELS4_3ELNS0_20block_scan_algorithmE0ELj4294967295EEENS1_25partition_config_selectorILNS1_17partition_subalgoE3EjNS0_10empty_typeEbEEZZNS1_14partition_implILS8_3ELb0ES6_jNS0_17counting_iteratorIjlEEPS9_SE_NS0_5tupleIJPjSE_EEENSF_IJSE_SE_EEES9_SG_JZNS1_25segmented_radix_sort_implINS0_14default_configELb0EPKaPaPKlPlN2at6native12_GLOBAL__N_18offset_tEEE10hipError_tPvRmT1_PNSt15iterator_traitsISY_E10value_typeET2_T3_PNSZ_IS14_E10value_typeET4_jRbjT5_S1A_jjP12ihipStream_tbEUljE_EEESV_SW_SX_S14_S18_S1A_T6_T7_T9_mT8_S1C_bDpT10_ENKUlT_T0_E_clISt17integral_constantIbLb1EES1P_EEDaS1K_S1L_EUlS1K_E_NS1_11comp_targetILNS1_3genE8ELNS1_11target_archE1030ELNS1_3gpuE2ELNS1_3repE0EEENS1_30default_config_static_selectorELNS0_4arch9wavefront6targetE0EEEvSY_
; %bb.0:
	s_endpgm
	.section	.rodata,"a",@progbits
	.p2align	6, 0x0
	.amdhsa_kernel _ZN7rocprim17ROCPRIM_400000_NS6detail17trampoline_kernelINS0_13select_configILj256ELj13ELNS0_17block_load_methodE3ELS4_3ELS4_3ELNS0_20block_scan_algorithmE0ELj4294967295EEENS1_25partition_config_selectorILNS1_17partition_subalgoE3EjNS0_10empty_typeEbEEZZNS1_14partition_implILS8_3ELb0ES6_jNS0_17counting_iteratorIjlEEPS9_SE_NS0_5tupleIJPjSE_EEENSF_IJSE_SE_EEES9_SG_JZNS1_25segmented_radix_sort_implINS0_14default_configELb0EPKaPaPKlPlN2at6native12_GLOBAL__N_18offset_tEEE10hipError_tPvRmT1_PNSt15iterator_traitsISY_E10value_typeET2_T3_PNSZ_IS14_E10value_typeET4_jRbjT5_S1A_jjP12ihipStream_tbEUljE_EEESV_SW_SX_S14_S18_S1A_T6_T7_T9_mT8_S1C_bDpT10_ENKUlT_T0_E_clISt17integral_constantIbLb1EES1P_EEDaS1K_S1L_EUlS1K_E_NS1_11comp_targetILNS1_3genE8ELNS1_11target_archE1030ELNS1_3gpuE2ELNS1_3repE0EEENS1_30default_config_static_selectorELNS0_4arch9wavefront6targetE0EEEvSY_
		.amdhsa_group_segment_fixed_size 0
		.amdhsa_private_segment_fixed_size 0
		.amdhsa_kernarg_size 152
		.amdhsa_user_sgpr_count 6
		.amdhsa_user_sgpr_private_segment_buffer 1
		.amdhsa_user_sgpr_dispatch_ptr 0
		.amdhsa_user_sgpr_queue_ptr 0
		.amdhsa_user_sgpr_kernarg_segment_ptr 1
		.amdhsa_user_sgpr_dispatch_id 0
		.amdhsa_user_sgpr_flat_scratch_init 0
		.amdhsa_user_sgpr_private_segment_size 0
		.amdhsa_wavefront_size32 1
		.amdhsa_uses_dynamic_stack 0
		.amdhsa_system_sgpr_private_segment_wavefront_offset 0
		.amdhsa_system_sgpr_workgroup_id_x 1
		.amdhsa_system_sgpr_workgroup_id_y 0
		.amdhsa_system_sgpr_workgroup_id_z 0
		.amdhsa_system_sgpr_workgroup_info 0
		.amdhsa_system_vgpr_workitem_id 0
		.amdhsa_next_free_vgpr 1
		.amdhsa_next_free_sgpr 1
		.amdhsa_reserve_vcc 0
		.amdhsa_reserve_flat_scratch 0
		.amdhsa_float_round_mode_32 0
		.amdhsa_float_round_mode_16_64 0
		.amdhsa_float_denorm_mode_32 3
		.amdhsa_float_denorm_mode_16_64 3
		.amdhsa_dx10_clamp 1
		.amdhsa_ieee_mode 1
		.amdhsa_fp16_overflow 0
		.amdhsa_workgroup_processor_mode 1
		.amdhsa_memory_ordered 1
		.amdhsa_forward_progress 1
		.amdhsa_shared_vgpr_count 0
		.amdhsa_exception_fp_ieee_invalid_op 0
		.amdhsa_exception_fp_denorm_src 0
		.amdhsa_exception_fp_ieee_div_zero 0
		.amdhsa_exception_fp_ieee_overflow 0
		.amdhsa_exception_fp_ieee_underflow 0
		.amdhsa_exception_fp_ieee_inexact 0
		.amdhsa_exception_int_div_zero 0
	.end_amdhsa_kernel
	.section	.text._ZN7rocprim17ROCPRIM_400000_NS6detail17trampoline_kernelINS0_13select_configILj256ELj13ELNS0_17block_load_methodE3ELS4_3ELS4_3ELNS0_20block_scan_algorithmE0ELj4294967295EEENS1_25partition_config_selectorILNS1_17partition_subalgoE3EjNS0_10empty_typeEbEEZZNS1_14partition_implILS8_3ELb0ES6_jNS0_17counting_iteratorIjlEEPS9_SE_NS0_5tupleIJPjSE_EEENSF_IJSE_SE_EEES9_SG_JZNS1_25segmented_radix_sort_implINS0_14default_configELb0EPKaPaPKlPlN2at6native12_GLOBAL__N_18offset_tEEE10hipError_tPvRmT1_PNSt15iterator_traitsISY_E10value_typeET2_T3_PNSZ_IS14_E10value_typeET4_jRbjT5_S1A_jjP12ihipStream_tbEUljE_EEESV_SW_SX_S14_S18_S1A_T6_T7_T9_mT8_S1C_bDpT10_ENKUlT_T0_E_clISt17integral_constantIbLb1EES1P_EEDaS1K_S1L_EUlS1K_E_NS1_11comp_targetILNS1_3genE8ELNS1_11target_archE1030ELNS1_3gpuE2ELNS1_3repE0EEENS1_30default_config_static_selectorELNS0_4arch9wavefront6targetE0EEEvSY_,"axG",@progbits,_ZN7rocprim17ROCPRIM_400000_NS6detail17trampoline_kernelINS0_13select_configILj256ELj13ELNS0_17block_load_methodE3ELS4_3ELS4_3ELNS0_20block_scan_algorithmE0ELj4294967295EEENS1_25partition_config_selectorILNS1_17partition_subalgoE3EjNS0_10empty_typeEbEEZZNS1_14partition_implILS8_3ELb0ES6_jNS0_17counting_iteratorIjlEEPS9_SE_NS0_5tupleIJPjSE_EEENSF_IJSE_SE_EEES9_SG_JZNS1_25segmented_radix_sort_implINS0_14default_configELb0EPKaPaPKlPlN2at6native12_GLOBAL__N_18offset_tEEE10hipError_tPvRmT1_PNSt15iterator_traitsISY_E10value_typeET2_T3_PNSZ_IS14_E10value_typeET4_jRbjT5_S1A_jjP12ihipStream_tbEUljE_EEESV_SW_SX_S14_S18_S1A_T6_T7_T9_mT8_S1C_bDpT10_ENKUlT_T0_E_clISt17integral_constantIbLb1EES1P_EEDaS1K_S1L_EUlS1K_E_NS1_11comp_targetILNS1_3genE8ELNS1_11target_archE1030ELNS1_3gpuE2ELNS1_3repE0EEENS1_30default_config_static_selectorELNS0_4arch9wavefront6targetE0EEEvSY_,comdat
.Lfunc_end373:
	.size	_ZN7rocprim17ROCPRIM_400000_NS6detail17trampoline_kernelINS0_13select_configILj256ELj13ELNS0_17block_load_methodE3ELS4_3ELS4_3ELNS0_20block_scan_algorithmE0ELj4294967295EEENS1_25partition_config_selectorILNS1_17partition_subalgoE3EjNS0_10empty_typeEbEEZZNS1_14partition_implILS8_3ELb0ES6_jNS0_17counting_iteratorIjlEEPS9_SE_NS0_5tupleIJPjSE_EEENSF_IJSE_SE_EEES9_SG_JZNS1_25segmented_radix_sort_implINS0_14default_configELb0EPKaPaPKlPlN2at6native12_GLOBAL__N_18offset_tEEE10hipError_tPvRmT1_PNSt15iterator_traitsISY_E10value_typeET2_T3_PNSZ_IS14_E10value_typeET4_jRbjT5_S1A_jjP12ihipStream_tbEUljE_EEESV_SW_SX_S14_S18_S1A_T6_T7_T9_mT8_S1C_bDpT10_ENKUlT_T0_E_clISt17integral_constantIbLb1EES1P_EEDaS1K_S1L_EUlS1K_E_NS1_11comp_targetILNS1_3genE8ELNS1_11target_archE1030ELNS1_3gpuE2ELNS1_3repE0EEENS1_30default_config_static_selectorELNS0_4arch9wavefront6targetE0EEEvSY_, .Lfunc_end373-_ZN7rocprim17ROCPRIM_400000_NS6detail17trampoline_kernelINS0_13select_configILj256ELj13ELNS0_17block_load_methodE3ELS4_3ELS4_3ELNS0_20block_scan_algorithmE0ELj4294967295EEENS1_25partition_config_selectorILNS1_17partition_subalgoE3EjNS0_10empty_typeEbEEZZNS1_14partition_implILS8_3ELb0ES6_jNS0_17counting_iteratorIjlEEPS9_SE_NS0_5tupleIJPjSE_EEENSF_IJSE_SE_EEES9_SG_JZNS1_25segmented_radix_sort_implINS0_14default_configELb0EPKaPaPKlPlN2at6native12_GLOBAL__N_18offset_tEEE10hipError_tPvRmT1_PNSt15iterator_traitsISY_E10value_typeET2_T3_PNSZ_IS14_E10value_typeET4_jRbjT5_S1A_jjP12ihipStream_tbEUljE_EEESV_SW_SX_S14_S18_S1A_T6_T7_T9_mT8_S1C_bDpT10_ENKUlT_T0_E_clISt17integral_constantIbLb1EES1P_EEDaS1K_S1L_EUlS1K_E_NS1_11comp_targetILNS1_3genE8ELNS1_11target_archE1030ELNS1_3gpuE2ELNS1_3repE0EEENS1_30default_config_static_selectorELNS0_4arch9wavefront6targetE0EEEvSY_
                                        ; -- End function
	.set _ZN7rocprim17ROCPRIM_400000_NS6detail17trampoline_kernelINS0_13select_configILj256ELj13ELNS0_17block_load_methodE3ELS4_3ELS4_3ELNS0_20block_scan_algorithmE0ELj4294967295EEENS1_25partition_config_selectorILNS1_17partition_subalgoE3EjNS0_10empty_typeEbEEZZNS1_14partition_implILS8_3ELb0ES6_jNS0_17counting_iteratorIjlEEPS9_SE_NS0_5tupleIJPjSE_EEENSF_IJSE_SE_EEES9_SG_JZNS1_25segmented_radix_sort_implINS0_14default_configELb0EPKaPaPKlPlN2at6native12_GLOBAL__N_18offset_tEEE10hipError_tPvRmT1_PNSt15iterator_traitsISY_E10value_typeET2_T3_PNSZ_IS14_E10value_typeET4_jRbjT5_S1A_jjP12ihipStream_tbEUljE_EEESV_SW_SX_S14_S18_S1A_T6_T7_T9_mT8_S1C_bDpT10_ENKUlT_T0_E_clISt17integral_constantIbLb1EES1P_EEDaS1K_S1L_EUlS1K_E_NS1_11comp_targetILNS1_3genE8ELNS1_11target_archE1030ELNS1_3gpuE2ELNS1_3repE0EEENS1_30default_config_static_selectorELNS0_4arch9wavefront6targetE0EEEvSY_.num_vgpr, 0
	.set _ZN7rocprim17ROCPRIM_400000_NS6detail17trampoline_kernelINS0_13select_configILj256ELj13ELNS0_17block_load_methodE3ELS4_3ELS4_3ELNS0_20block_scan_algorithmE0ELj4294967295EEENS1_25partition_config_selectorILNS1_17partition_subalgoE3EjNS0_10empty_typeEbEEZZNS1_14partition_implILS8_3ELb0ES6_jNS0_17counting_iteratorIjlEEPS9_SE_NS0_5tupleIJPjSE_EEENSF_IJSE_SE_EEES9_SG_JZNS1_25segmented_radix_sort_implINS0_14default_configELb0EPKaPaPKlPlN2at6native12_GLOBAL__N_18offset_tEEE10hipError_tPvRmT1_PNSt15iterator_traitsISY_E10value_typeET2_T3_PNSZ_IS14_E10value_typeET4_jRbjT5_S1A_jjP12ihipStream_tbEUljE_EEESV_SW_SX_S14_S18_S1A_T6_T7_T9_mT8_S1C_bDpT10_ENKUlT_T0_E_clISt17integral_constantIbLb1EES1P_EEDaS1K_S1L_EUlS1K_E_NS1_11comp_targetILNS1_3genE8ELNS1_11target_archE1030ELNS1_3gpuE2ELNS1_3repE0EEENS1_30default_config_static_selectorELNS0_4arch9wavefront6targetE0EEEvSY_.num_agpr, 0
	.set _ZN7rocprim17ROCPRIM_400000_NS6detail17trampoline_kernelINS0_13select_configILj256ELj13ELNS0_17block_load_methodE3ELS4_3ELS4_3ELNS0_20block_scan_algorithmE0ELj4294967295EEENS1_25partition_config_selectorILNS1_17partition_subalgoE3EjNS0_10empty_typeEbEEZZNS1_14partition_implILS8_3ELb0ES6_jNS0_17counting_iteratorIjlEEPS9_SE_NS0_5tupleIJPjSE_EEENSF_IJSE_SE_EEES9_SG_JZNS1_25segmented_radix_sort_implINS0_14default_configELb0EPKaPaPKlPlN2at6native12_GLOBAL__N_18offset_tEEE10hipError_tPvRmT1_PNSt15iterator_traitsISY_E10value_typeET2_T3_PNSZ_IS14_E10value_typeET4_jRbjT5_S1A_jjP12ihipStream_tbEUljE_EEESV_SW_SX_S14_S18_S1A_T6_T7_T9_mT8_S1C_bDpT10_ENKUlT_T0_E_clISt17integral_constantIbLb1EES1P_EEDaS1K_S1L_EUlS1K_E_NS1_11comp_targetILNS1_3genE8ELNS1_11target_archE1030ELNS1_3gpuE2ELNS1_3repE0EEENS1_30default_config_static_selectorELNS0_4arch9wavefront6targetE0EEEvSY_.numbered_sgpr, 0
	.set _ZN7rocprim17ROCPRIM_400000_NS6detail17trampoline_kernelINS0_13select_configILj256ELj13ELNS0_17block_load_methodE3ELS4_3ELS4_3ELNS0_20block_scan_algorithmE0ELj4294967295EEENS1_25partition_config_selectorILNS1_17partition_subalgoE3EjNS0_10empty_typeEbEEZZNS1_14partition_implILS8_3ELb0ES6_jNS0_17counting_iteratorIjlEEPS9_SE_NS0_5tupleIJPjSE_EEENSF_IJSE_SE_EEES9_SG_JZNS1_25segmented_radix_sort_implINS0_14default_configELb0EPKaPaPKlPlN2at6native12_GLOBAL__N_18offset_tEEE10hipError_tPvRmT1_PNSt15iterator_traitsISY_E10value_typeET2_T3_PNSZ_IS14_E10value_typeET4_jRbjT5_S1A_jjP12ihipStream_tbEUljE_EEESV_SW_SX_S14_S18_S1A_T6_T7_T9_mT8_S1C_bDpT10_ENKUlT_T0_E_clISt17integral_constantIbLb1EES1P_EEDaS1K_S1L_EUlS1K_E_NS1_11comp_targetILNS1_3genE8ELNS1_11target_archE1030ELNS1_3gpuE2ELNS1_3repE0EEENS1_30default_config_static_selectorELNS0_4arch9wavefront6targetE0EEEvSY_.num_named_barrier, 0
	.set _ZN7rocprim17ROCPRIM_400000_NS6detail17trampoline_kernelINS0_13select_configILj256ELj13ELNS0_17block_load_methodE3ELS4_3ELS4_3ELNS0_20block_scan_algorithmE0ELj4294967295EEENS1_25partition_config_selectorILNS1_17partition_subalgoE3EjNS0_10empty_typeEbEEZZNS1_14partition_implILS8_3ELb0ES6_jNS0_17counting_iteratorIjlEEPS9_SE_NS0_5tupleIJPjSE_EEENSF_IJSE_SE_EEES9_SG_JZNS1_25segmented_radix_sort_implINS0_14default_configELb0EPKaPaPKlPlN2at6native12_GLOBAL__N_18offset_tEEE10hipError_tPvRmT1_PNSt15iterator_traitsISY_E10value_typeET2_T3_PNSZ_IS14_E10value_typeET4_jRbjT5_S1A_jjP12ihipStream_tbEUljE_EEESV_SW_SX_S14_S18_S1A_T6_T7_T9_mT8_S1C_bDpT10_ENKUlT_T0_E_clISt17integral_constantIbLb1EES1P_EEDaS1K_S1L_EUlS1K_E_NS1_11comp_targetILNS1_3genE8ELNS1_11target_archE1030ELNS1_3gpuE2ELNS1_3repE0EEENS1_30default_config_static_selectorELNS0_4arch9wavefront6targetE0EEEvSY_.private_seg_size, 0
	.set _ZN7rocprim17ROCPRIM_400000_NS6detail17trampoline_kernelINS0_13select_configILj256ELj13ELNS0_17block_load_methodE3ELS4_3ELS4_3ELNS0_20block_scan_algorithmE0ELj4294967295EEENS1_25partition_config_selectorILNS1_17partition_subalgoE3EjNS0_10empty_typeEbEEZZNS1_14partition_implILS8_3ELb0ES6_jNS0_17counting_iteratorIjlEEPS9_SE_NS0_5tupleIJPjSE_EEENSF_IJSE_SE_EEES9_SG_JZNS1_25segmented_radix_sort_implINS0_14default_configELb0EPKaPaPKlPlN2at6native12_GLOBAL__N_18offset_tEEE10hipError_tPvRmT1_PNSt15iterator_traitsISY_E10value_typeET2_T3_PNSZ_IS14_E10value_typeET4_jRbjT5_S1A_jjP12ihipStream_tbEUljE_EEESV_SW_SX_S14_S18_S1A_T6_T7_T9_mT8_S1C_bDpT10_ENKUlT_T0_E_clISt17integral_constantIbLb1EES1P_EEDaS1K_S1L_EUlS1K_E_NS1_11comp_targetILNS1_3genE8ELNS1_11target_archE1030ELNS1_3gpuE2ELNS1_3repE0EEENS1_30default_config_static_selectorELNS0_4arch9wavefront6targetE0EEEvSY_.uses_vcc, 0
	.set _ZN7rocprim17ROCPRIM_400000_NS6detail17trampoline_kernelINS0_13select_configILj256ELj13ELNS0_17block_load_methodE3ELS4_3ELS4_3ELNS0_20block_scan_algorithmE0ELj4294967295EEENS1_25partition_config_selectorILNS1_17partition_subalgoE3EjNS0_10empty_typeEbEEZZNS1_14partition_implILS8_3ELb0ES6_jNS0_17counting_iteratorIjlEEPS9_SE_NS0_5tupleIJPjSE_EEENSF_IJSE_SE_EEES9_SG_JZNS1_25segmented_radix_sort_implINS0_14default_configELb0EPKaPaPKlPlN2at6native12_GLOBAL__N_18offset_tEEE10hipError_tPvRmT1_PNSt15iterator_traitsISY_E10value_typeET2_T3_PNSZ_IS14_E10value_typeET4_jRbjT5_S1A_jjP12ihipStream_tbEUljE_EEESV_SW_SX_S14_S18_S1A_T6_T7_T9_mT8_S1C_bDpT10_ENKUlT_T0_E_clISt17integral_constantIbLb1EES1P_EEDaS1K_S1L_EUlS1K_E_NS1_11comp_targetILNS1_3genE8ELNS1_11target_archE1030ELNS1_3gpuE2ELNS1_3repE0EEENS1_30default_config_static_selectorELNS0_4arch9wavefront6targetE0EEEvSY_.uses_flat_scratch, 0
	.set _ZN7rocprim17ROCPRIM_400000_NS6detail17trampoline_kernelINS0_13select_configILj256ELj13ELNS0_17block_load_methodE3ELS4_3ELS4_3ELNS0_20block_scan_algorithmE0ELj4294967295EEENS1_25partition_config_selectorILNS1_17partition_subalgoE3EjNS0_10empty_typeEbEEZZNS1_14partition_implILS8_3ELb0ES6_jNS0_17counting_iteratorIjlEEPS9_SE_NS0_5tupleIJPjSE_EEENSF_IJSE_SE_EEES9_SG_JZNS1_25segmented_radix_sort_implINS0_14default_configELb0EPKaPaPKlPlN2at6native12_GLOBAL__N_18offset_tEEE10hipError_tPvRmT1_PNSt15iterator_traitsISY_E10value_typeET2_T3_PNSZ_IS14_E10value_typeET4_jRbjT5_S1A_jjP12ihipStream_tbEUljE_EEESV_SW_SX_S14_S18_S1A_T6_T7_T9_mT8_S1C_bDpT10_ENKUlT_T0_E_clISt17integral_constantIbLb1EES1P_EEDaS1K_S1L_EUlS1K_E_NS1_11comp_targetILNS1_3genE8ELNS1_11target_archE1030ELNS1_3gpuE2ELNS1_3repE0EEENS1_30default_config_static_selectorELNS0_4arch9wavefront6targetE0EEEvSY_.has_dyn_sized_stack, 0
	.set _ZN7rocprim17ROCPRIM_400000_NS6detail17trampoline_kernelINS0_13select_configILj256ELj13ELNS0_17block_load_methodE3ELS4_3ELS4_3ELNS0_20block_scan_algorithmE0ELj4294967295EEENS1_25partition_config_selectorILNS1_17partition_subalgoE3EjNS0_10empty_typeEbEEZZNS1_14partition_implILS8_3ELb0ES6_jNS0_17counting_iteratorIjlEEPS9_SE_NS0_5tupleIJPjSE_EEENSF_IJSE_SE_EEES9_SG_JZNS1_25segmented_radix_sort_implINS0_14default_configELb0EPKaPaPKlPlN2at6native12_GLOBAL__N_18offset_tEEE10hipError_tPvRmT1_PNSt15iterator_traitsISY_E10value_typeET2_T3_PNSZ_IS14_E10value_typeET4_jRbjT5_S1A_jjP12ihipStream_tbEUljE_EEESV_SW_SX_S14_S18_S1A_T6_T7_T9_mT8_S1C_bDpT10_ENKUlT_T0_E_clISt17integral_constantIbLb1EES1P_EEDaS1K_S1L_EUlS1K_E_NS1_11comp_targetILNS1_3genE8ELNS1_11target_archE1030ELNS1_3gpuE2ELNS1_3repE0EEENS1_30default_config_static_selectorELNS0_4arch9wavefront6targetE0EEEvSY_.has_recursion, 0
	.set _ZN7rocprim17ROCPRIM_400000_NS6detail17trampoline_kernelINS0_13select_configILj256ELj13ELNS0_17block_load_methodE3ELS4_3ELS4_3ELNS0_20block_scan_algorithmE0ELj4294967295EEENS1_25partition_config_selectorILNS1_17partition_subalgoE3EjNS0_10empty_typeEbEEZZNS1_14partition_implILS8_3ELb0ES6_jNS0_17counting_iteratorIjlEEPS9_SE_NS0_5tupleIJPjSE_EEENSF_IJSE_SE_EEES9_SG_JZNS1_25segmented_radix_sort_implINS0_14default_configELb0EPKaPaPKlPlN2at6native12_GLOBAL__N_18offset_tEEE10hipError_tPvRmT1_PNSt15iterator_traitsISY_E10value_typeET2_T3_PNSZ_IS14_E10value_typeET4_jRbjT5_S1A_jjP12ihipStream_tbEUljE_EEESV_SW_SX_S14_S18_S1A_T6_T7_T9_mT8_S1C_bDpT10_ENKUlT_T0_E_clISt17integral_constantIbLb1EES1P_EEDaS1K_S1L_EUlS1K_E_NS1_11comp_targetILNS1_3genE8ELNS1_11target_archE1030ELNS1_3gpuE2ELNS1_3repE0EEENS1_30default_config_static_selectorELNS0_4arch9wavefront6targetE0EEEvSY_.has_indirect_call, 0
	.section	.AMDGPU.csdata,"",@progbits
; Kernel info:
; codeLenInByte = 4
; TotalNumSgprs: 0
; NumVgprs: 0
; ScratchSize: 0
; MemoryBound: 0
; FloatMode: 240
; IeeeMode: 1
; LDSByteSize: 0 bytes/workgroup (compile time only)
; SGPRBlocks: 0
; VGPRBlocks: 0
; NumSGPRsForWavesPerEU: 1
; NumVGPRsForWavesPerEU: 1
; Occupancy: 16
; WaveLimiterHint : 0
; COMPUTE_PGM_RSRC2:SCRATCH_EN: 0
; COMPUTE_PGM_RSRC2:USER_SGPR: 6
; COMPUTE_PGM_RSRC2:TRAP_HANDLER: 0
; COMPUTE_PGM_RSRC2:TGID_X_EN: 1
; COMPUTE_PGM_RSRC2:TGID_Y_EN: 0
; COMPUTE_PGM_RSRC2:TGID_Z_EN: 0
; COMPUTE_PGM_RSRC2:TIDIG_COMP_CNT: 0
	.section	.text._ZN7rocprim17ROCPRIM_400000_NS6detail17trampoline_kernelINS0_13select_configILj256ELj13ELNS0_17block_load_methodE3ELS4_3ELS4_3ELNS0_20block_scan_algorithmE0ELj4294967295EEENS1_25partition_config_selectorILNS1_17partition_subalgoE3EjNS0_10empty_typeEbEEZZNS1_14partition_implILS8_3ELb0ES6_jNS0_17counting_iteratorIjlEEPS9_SE_NS0_5tupleIJPjSE_EEENSF_IJSE_SE_EEES9_SG_JZNS1_25segmented_radix_sort_implINS0_14default_configELb0EPKaPaPKlPlN2at6native12_GLOBAL__N_18offset_tEEE10hipError_tPvRmT1_PNSt15iterator_traitsISY_E10value_typeET2_T3_PNSZ_IS14_E10value_typeET4_jRbjT5_S1A_jjP12ihipStream_tbEUljE_EEESV_SW_SX_S14_S18_S1A_T6_T7_T9_mT8_S1C_bDpT10_ENKUlT_T0_E_clISt17integral_constantIbLb1EES1O_IbLb0EEEEDaS1K_S1L_EUlS1K_E_NS1_11comp_targetILNS1_3genE0ELNS1_11target_archE4294967295ELNS1_3gpuE0ELNS1_3repE0EEENS1_30default_config_static_selectorELNS0_4arch9wavefront6targetE0EEEvSY_,"axG",@progbits,_ZN7rocprim17ROCPRIM_400000_NS6detail17trampoline_kernelINS0_13select_configILj256ELj13ELNS0_17block_load_methodE3ELS4_3ELS4_3ELNS0_20block_scan_algorithmE0ELj4294967295EEENS1_25partition_config_selectorILNS1_17partition_subalgoE3EjNS0_10empty_typeEbEEZZNS1_14partition_implILS8_3ELb0ES6_jNS0_17counting_iteratorIjlEEPS9_SE_NS0_5tupleIJPjSE_EEENSF_IJSE_SE_EEES9_SG_JZNS1_25segmented_radix_sort_implINS0_14default_configELb0EPKaPaPKlPlN2at6native12_GLOBAL__N_18offset_tEEE10hipError_tPvRmT1_PNSt15iterator_traitsISY_E10value_typeET2_T3_PNSZ_IS14_E10value_typeET4_jRbjT5_S1A_jjP12ihipStream_tbEUljE_EEESV_SW_SX_S14_S18_S1A_T6_T7_T9_mT8_S1C_bDpT10_ENKUlT_T0_E_clISt17integral_constantIbLb1EES1O_IbLb0EEEEDaS1K_S1L_EUlS1K_E_NS1_11comp_targetILNS1_3genE0ELNS1_11target_archE4294967295ELNS1_3gpuE0ELNS1_3repE0EEENS1_30default_config_static_selectorELNS0_4arch9wavefront6targetE0EEEvSY_,comdat
	.globl	_ZN7rocprim17ROCPRIM_400000_NS6detail17trampoline_kernelINS0_13select_configILj256ELj13ELNS0_17block_load_methodE3ELS4_3ELS4_3ELNS0_20block_scan_algorithmE0ELj4294967295EEENS1_25partition_config_selectorILNS1_17partition_subalgoE3EjNS0_10empty_typeEbEEZZNS1_14partition_implILS8_3ELb0ES6_jNS0_17counting_iteratorIjlEEPS9_SE_NS0_5tupleIJPjSE_EEENSF_IJSE_SE_EEES9_SG_JZNS1_25segmented_radix_sort_implINS0_14default_configELb0EPKaPaPKlPlN2at6native12_GLOBAL__N_18offset_tEEE10hipError_tPvRmT1_PNSt15iterator_traitsISY_E10value_typeET2_T3_PNSZ_IS14_E10value_typeET4_jRbjT5_S1A_jjP12ihipStream_tbEUljE_EEESV_SW_SX_S14_S18_S1A_T6_T7_T9_mT8_S1C_bDpT10_ENKUlT_T0_E_clISt17integral_constantIbLb1EES1O_IbLb0EEEEDaS1K_S1L_EUlS1K_E_NS1_11comp_targetILNS1_3genE0ELNS1_11target_archE4294967295ELNS1_3gpuE0ELNS1_3repE0EEENS1_30default_config_static_selectorELNS0_4arch9wavefront6targetE0EEEvSY_ ; -- Begin function _ZN7rocprim17ROCPRIM_400000_NS6detail17trampoline_kernelINS0_13select_configILj256ELj13ELNS0_17block_load_methodE3ELS4_3ELS4_3ELNS0_20block_scan_algorithmE0ELj4294967295EEENS1_25partition_config_selectorILNS1_17partition_subalgoE3EjNS0_10empty_typeEbEEZZNS1_14partition_implILS8_3ELb0ES6_jNS0_17counting_iteratorIjlEEPS9_SE_NS0_5tupleIJPjSE_EEENSF_IJSE_SE_EEES9_SG_JZNS1_25segmented_radix_sort_implINS0_14default_configELb0EPKaPaPKlPlN2at6native12_GLOBAL__N_18offset_tEEE10hipError_tPvRmT1_PNSt15iterator_traitsISY_E10value_typeET2_T3_PNSZ_IS14_E10value_typeET4_jRbjT5_S1A_jjP12ihipStream_tbEUljE_EEESV_SW_SX_S14_S18_S1A_T6_T7_T9_mT8_S1C_bDpT10_ENKUlT_T0_E_clISt17integral_constantIbLb1EES1O_IbLb0EEEEDaS1K_S1L_EUlS1K_E_NS1_11comp_targetILNS1_3genE0ELNS1_11target_archE4294967295ELNS1_3gpuE0ELNS1_3repE0EEENS1_30default_config_static_selectorELNS0_4arch9wavefront6targetE0EEEvSY_
	.p2align	8
	.type	_ZN7rocprim17ROCPRIM_400000_NS6detail17trampoline_kernelINS0_13select_configILj256ELj13ELNS0_17block_load_methodE3ELS4_3ELS4_3ELNS0_20block_scan_algorithmE0ELj4294967295EEENS1_25partition_config_selectorILNS1_17partition_subalgoE3EjNS0_10empty_typeEbEEZZNS1_14partition_implILS8_3ELb0ES6_jNS0_17counting_iteratorIjlEEPS9_SE_NS0_5tupleIJPjSE_EEENSF_IJSE_SE_EEES9_SG_JZNS1_25segmented_radix_sort_implINS0_14default_configELb0EPKaPaPKlPlN2at6native12_GLOBAL__N_18offset_tEEE10hipError_tPvRmT1_PNSt15iterator_traitsISY_E10value_typeET2_T3_PNSZ_IS14_E10value_typeET4_jRbjT5_S1A_jjP12ihipStream_tbEUljE_EEESV_SW_SX_S14_S18_S1A_T6_T7_T9_mT8_S1C_bDpT10_ENKUlT_T0_E_clISt17integral_constantIbLb1EES1O_IbLb0EEEEDaS1K_S1L_EUlS1K_E_NS1_11comp_targetILNS1_3genE0ELNS1_11target_archE4294967295ELNS1_3gpuE0ELNS1_3repE0EEENS1_30default_config_static_selectorELNS0_4arch9wavefront6targetE0EEEvSY_,@function
_ZN7rocprim17ROCPRIM_400000_NS6detail17trampoline_kernelINS0_13select_configILj256ELj13ELNS0_17block_load_methodE3ELS4_3ELS4_3ELNS0_20block_scan_algorithmE0ELj4294967295EEENS1_25partition_config_selectorILNS1_17partition_subalgoE3EjNS0_10empty_typeEbEEZZNS1_14partition_implILS8_3ELb0ES6_jNS0_17counting_iteratorIjlEEPS9_SE_NS0_5tupleIJPjSE_EEENSF_IJSE_SE_EEES9_SG_JZNS1_25segmented_radix_sort_implINS0_14default_configELb0EPKaPaPKlPlN2at6native12_GLOBAL__N_18offset_tEEE10hipError_tPvRmT1_PNSt15iterator_traitsISY_E10value_typeET2_T3_PNSZ_IS14_E10value_typeET4_jRbjT5_S1A_jjP12ihipStream_tbEUljE_EEESV_SW_SX_S14_S18_S1A_T6_T7_T9_mT8_S1C_bDpT10_ENKUlT_T0_E_clISt17integral_constantIbLb1EES1O_IbLb0EEEEDaS1K_S1L_EUlS1K_E_NS1_11comp_targetILNS1_3genE0ELNS1_11target_archE4294967295ELNS1_3gpuE0ELNS1_3repE0EEENS1_30default_config_static_selectorELNS0_4arch9wavefront6targetE0EEEvSY_: ; @_ZN7rocprim17ROCPRIM_400000_NS6detail17trampoline_kernelINS0_13select_configILj256ELj13ELNS0_17block_load_methodE3ELS4_3ELS4_3ELNS0_20block_scan_algorithmE0ELj4294967295EEENS1_25partition_config_selectorILNS1_17partition_subalgoE3EjNS0_10empty_typeEbEEZZNS1_14partition_implILS8_3ELb0ES6_jNS0_17counting_iteratorIjlEEPS9_SE_NS0_5tupleIJPjSE_EEENSF_IJSE_SE_EEES9_SG_JZNS1_25segmented_radix_sort_implINS0_14default_configELb0EPKaPaPKlPlN2at6native12_GLOBAL__N_18offset_tEEE10hipError_tPvRmT1_PNSt15iterator_traitsISY_E10value_typeET2_T3_PNSZ_IS14_E10value_typeET4_jRbjT5_S1A_jjP12ihipStream_tbEUljE_EEESV_SW_SX_S14_S18_S1A_T6_T7_T9_mT8_S1C_bDpT10_ENKUlT_T0_E_clISt17integral_constantIbLb1EES1O_IbLb0EEEEDaS1K_S1L_EUlS1K_E_NS1_11comp_targetILNS1_3genE0ELNS1_11target_archE4294967295ELNS1_3gpuE0ELNS1_3repE0EEENS1_30default_config_static_selectorELNS0_4arch9wavefront6targetE0EEEvSY_
; %bb.0:
	.section	.rodata,"a",@progbits
	.p2align	6, 0x0
	.amdhsa_kernel _ZN7rocprim17ROCPRIM_400000_NS6detail17trampoline_kernelINS0_13select_configILj256ELj13ELNS0_17block_load_methodE3ELS4_3ELS4_3ELNS0_20block_scan_algorithmE0ELj4294967295EEENS1_25partition_config_selectorILNS1_17partition_subalgoE3EjNS0_10empty_typeEbEEZZNS1_14partition_implILS8_3ELb0ES6_jNS0_17counting_iteratorIjlEEPS9_SE_NS0_5tupleIJPjSE_EEENSF_IJSE_SE_EEES9_SG_JZNS1_25segmented_radix_sort_implINS0_14default_configELb0EPKaPaPKlPlN2at6native12_GLOBAL__N_18offset_tEEE10hipError_tPvRmT1_PNSt15iterator_traitsISY_E10value_typeET2_T3_PNSZ_IS14_E10value_typeET4_jRbjT5_S1A_jjP12ihipStream_tbEUljE_EEESV_SW_SX_S14_S18_S1A_T6_T7_T9_mT8_S1C_bDpT10_ENKUlT_T0_E_clISt17integral_constantIbLb1EES1O_IbLb0EEEEDaS1K_S1L_EUlS1K_E_NS1_11comp_targetILNS1_3genE0ELNS1_11target_archE4294967295ELNS1_3gpuE0ELNS1_3repE0EEENS1_30default_config_static_selectorELNS0_4arch9wavefront6targetE0EEEvSY_
		.amdhsa_group_segment_fixed_size 0
		.amdhsa_private_segment_fixed_size 0
		.amdhsa_kernarg_size 144
		.amdhsa_user_sgpr_count 6
		.amdhsa_user_sgpr_private_segment_buffer 1
		.amdhsa_user_sgpr_dispatch_ptr 0
		.amdhsa_user_sgpr_queue_ptr 0
		.amdhsa_user_sgpr_kernarg_segment_ptr 1
		.amdhsa_user_sgpr_dispatch_id 0
		.amdhsa_user_sgpr_flat_scratch_init 0
		.amdhsa_user_sgpr_private_segment_size 0
		.amdhsa_wavefront_size32 1
		.amdhsa_uses_dynamic_stack 0
		.amdhsa_system_sgpr_private_segment_wavefront_offset 0
		.amdhsa_system_sgpr_workgroup_id_x 1
		.amdhsa_system_sgpr_workgroup_id_y 0
		.amdhsa_system_sgpr_workgroup_id_z 0
		.amdhsa_system_sgpr_workgroup_info 0
		.amdhsa_system_vgpr_workitem_id 0
		.amdhsa_next_free_vgpr 1
		.amdhsa_next_free_sgpr 1
		.amdhsa_reserve_vcc 0
		.amdhsa_reserve_flat_scratch 0
		.amdhsa_float_round_mode_32 0
		.amdhsa_float_round_mode_16_64 0
		.amdhsa_float_denorm_mode_32 3
		.amdhsa_float_denorm_mode_16_64 3
		.amdhsa_dx10_clamp 1
		.amdhsa_ieee_mode 1
		.amdhsa_fp16_overflow 0
		.amdhsa_workgroup_processor_mode 1
		.amdhsa_memory_ordered 1
		.amdhsa_forward_progress 1
		.amdhsa_shared_vgpr_count 0
		.amdhsa_exception_fp_ieee_invalid_op 0
		.amdhsa_exception_fp_denorm_src 0
		.amdhsa_exception_fp_ieee_div_zero 0
		.amdhsa_exception_fp_ieee_overflow 0
		.amdhsa_exception_fp_ieee_underflow 0
		.amdhsa_exception_fp_ieee_inexact 0
		.amdhsa_exception_int_div_zero 0
	.end_amdhsa_kernel
	.section	.text._ZN7rocprim17ROCPRIM_400000_NS6detail17trampoline_kernelINS0_13select_configILj256ELj13ELNS0_17block_load_methodE3ELS4_3ELS4_3ELNS0_20block_scan_algorithmE0ELj4294967295EEENS1_25partition_config_selectorILNS1_17partition_subalgoE3EjNS0_10empty_typeEbEEZZNS1_14partition_implILS8_3ELb0ES6_jNS0_17counting_iteratorIjlEEPS9_SE_NS0_5tupleIJPjSE_EEENSF_IJSE_SE_EEES9_SG_JZNS1_25segmented_radix_sort_implINS0_14default_configELb0EPKaPaPKlPlN2at6native12_GLOBAL__N_18offset_tEEE10hipError_tPvRmT1_PNSt15iterator_traitsISY_E10value_typeET2_T3_PNSZ_IS14_E10value_typeET4_jRbjT5_S1A_jjP12ihipStream_tbEUljE_EEESV_SW_SX_S14_S18_S1A_T6_T7_T9_mT8_S1C_bDpT10_ENKUlT_T0_E_clISt17integral_constantIbLb1EES1O_IbLb0EEEEDaS1K_S1L_EUlS1K_E_NS1_11comp_targetILNS1_3genE0ELNS1_11target_archE4294967295ELNS1_3gpuE0ELNS1_3repE0EEENS1_30default_config_static_selectorELNS0_4arch9wavefront6targetE0EEEvSY_,"axG",@progbits,_ZN7rocprim17ROCPRIM_400000_NS6detail17trampoline_kernelINS0_13select_configILj256ELj13ELNS0_17block_load_methodE3ELS4_3ELS4_3ELNS0_20block_scan_algorithmE0ELj4294967295EEENS1_25partition_config_selectorILNS1_17partition_subalgoE3EjNS0_10empty_typeEbEEZZNS1_14partition_implILS8_3ELb0ES6_jNS0_17counting_iteratorIjlEEPS9_SE_NS0_5tupleIJPjSE_EEENSF_IJSE_SE_EEES9_SG_JZNS1_25segmented_radix_sort_implINS0_14default_configELb0EPKaPaPKlPlN2at6native12_GLOBAL__N_18offset_tEEE10hipError_tPvRmT1_PNSt15iterator_traitsISY_E10value_typeET2_T3_PNSZ_IS14_E10value_typeET4_jRbjT5_S1A_jjP12ihipStream_tbEUljE_EEESV_SW_SX_S14_S18_S1A_T6_T7_T9_mT8_S1C_bDpT10_ENKUlT_T0_E_clISt17integral_constantIbLb1EES1O_IbLb0EEEEDaS1K_S1L_EUlS1K_E_NS1_11comp_targetILNS1_3genE0ELNS1_11target_archE4294967295ELNS1_3gpuE0ELNS1_3repE0EEENS1_30default_config_static_selectorELNS0_4arch9wavefront6targetE0EEEvSY_,comdat
.Lfunc_end374:
	.size	_ZN7rocprim17ROCPRIM_400000_NS6detail17trampoline_kernelINS0_13select_configILj256ELj13ELNS0_17block_load_methodE3ELS4_3ELS4_3ELNS0_20block_scan_algorithmE0ELj4294967295EEENS1_25partition_config_selectorILNS1_17partition_subalgoE3EjNS0_10empty_typeEbEEZZNS1_14partition_implILS8_3ELb0ES6_jNS0_17counting_iteratorIjlEEPS9_SE_NS0_5tupleIJPjSE_EEENSF_IJSE_SE_EEES9_SG_JZNS1_25segmented_radix_sort_implINS0_14default_configELb0EPKaPaPKlPlN2at6native12_GLOBAL__N_18offset_tEEE10hipError_tPvRmT1_PNSt15iterator_traitsISY_E10value_typeET2_T3_PNSZ_IS14_E10value_typeET4_jRbjT5_S1A_jjP12ihipStream_tbEUljE_EEESV_SW_SX_S14_S18_S1A_T6_T7_T9_mT8_S1C_bDpT10_ENKUlT_T0_E_clISt17integral_constantIbLb1EES1O_IbLb0EEEEDaS1K_S1L_EUlS1K_E_NS1_11comp_targetILNS1_3genE0ELNS1_11target_archE4294967295ELNS1_3gpuE0ELNS1_3repE0EEENS1_30default_config_static_selectorELNS0_4arch9wavefront6targetE0EEEvSY_, .Lfunc_end374-_ZN7rocprim17ROCPRIM_400000_NS6detail17trampoline_kernelINS0_13select_configILj256ELj13ELNS0_17block_load_methodE3ELS4_3ELS4_3ELNS0_20block_scan_algorithmE0ELj4294967295EEENS1_25partition_config_selectorILNS1_17partition_subalgoE3EjNS0_10empty_typeEbEEZZNS1_14partition_implILS8_3ELb0ES6_jNS0_17counting_iteratorIjlEEPS9_SE_NS0_5tupleIJPjSE_EEENSF_IJSE_SE_EEES9_SG_JZNS1_25segmented_radix_sort_implINS0_14default_configELb0EPKaPaPKlPlN2at6native12_GLOBAL__N_18offset_tEEE10hipError_tPvRmT1_PNSt15iterator_traitsISY_E10value_typeET2_T3_PNSZ_IS14_E10value_typeET4_jRbjT5_S1A_jjP12ihipStream_tbEUljE_EEESV_SW_SX_S14_S18_S1A_T6_T7_T9_mT8_S1C_bDpT10_ENKUlT_T0_E_clISt17integral_constantIbLb1EES1O_IbLb0EEEEDaS1K_S1L_EUlS1K_E_NS1_11comp_targetILNS1_3genE0ELNS1_11target_archE4294967295ELNS1_3gpuE0ELNS1_3repE0EEENS1_30default_config_static_selectorELNS0_4arch9wavefront6targetE0EEEvSY_
                                        ; -- End function
	.set _ZN7rocprim17ROCPRIM_400000_NS6detail17trampoline_kernelINS0_13select_configILj256ELj13ELNS0_17block_load_methodE3ELS4_3ELS4_3ELNS0_20block_scan_algorithmE0ELj4294967295EEENS1_25partition_config_selectorILNS1_17partition_subalgoE3EjNS0_10empty_typeEbEEZZNS1_14partition_implILS8_3ELb0ES6_jNS0_17counting_iteratorIjlEEPS9_SE_NS0_5tupleIJPjSE_EEENSF_IJSE_SE_EEES9_SG_JZNS1_25segmented_radix_sort_implINS0_14default_configELb0EPKaPaPKlPlN2at6native12_GLOBAL__N_18offset_tEEE10hipError_tPvRmT1_PNSt15iterator_traitsISY_E10value_typeET2_T3_PNSZ_IS14_E10value_typeET4_jRbjT5_S1A_jjP12ihipStream_tbEUljE_EEESV_SW_SX_S14_S18_S1A_T6_T7_T9_mT8_S1C_bDpT10_ENKUlT_T0_E_clISt17integral_constantIbLb1EES1O_IbLb0EEEEDaS1K_S1L_EUlS1K_E_NS1_11comp_targetILNS1_3genE0ELNS1_11target_archE4294967295ELNS1_3gpuE0ELNS1_3repE0EEENS1_30default_config_static_selectorELNS0_4arch9wavefront6targetE0EEEvSY_.num_vgpr, 0
	.set _ZN7rocprim17ROCPRIM_400000_NS6detail17trampoline_kernelINS0_13select_configILj256ELj13ELNS0_17block_load_methodE3ELS4_3ELS4_3ELNS0_20block_scan_algorithmE0ELj4294967295EEENS1_25partition_config_selectorILNS1_17partition_subalgoE3EjNS0_10empty_typeEbEEZZNS1_14partition_implILS8_3ELb0ES6_jNS0_17counting_iteratorIjlEEPS9_SE_NS0_5tupleIJPjSE_EEENSF_IJSE_SE_EEES9_SG_JZNS1_25segmented_radix_sort_implINS0_14default_configELb0EPKaPaPKlPlN2at6native12_GLOBAL__N_18offset_tEEE10hipError_tPvRmT1_PNSt15iterator_traitsISY_E10value_typeET2_T3_PNSZ_IS14_E10value_typeET4_jRbjT5_S1A_jjP12ihipStream_tbEUljE_EEESV_SW_SX_S14_S18_S1A_T6_T7_T9_mT8_S1C_bDpT10_ENKUlT_T0_E_clISt17integral_constantIbLb1EES1O_IbLb0EEEEDaS1K_S1L_EUlS1K_E_NS1_11comp_targetILNS1_3genE0ELNS1_11target_archE4294967295ELNS1_3gpuE0ELNS1_3repE0EEENS1_30default_config_static_selectorELNS0_4arch9wavefront6targetE0EEEvSY_.num_agpr, 0
	.set _ZN7rocprim17ROCPRIM_400000_NS6detail17trampoline_kernelINS0_13select_configILj256ELj13ELNS0_17block_load_methodE3ELS4_3ELS4_3ELNS0_20block_scan_algorithmE0ELj4294967295EEENS1_25partition_config_selectorILNS1_17partition_subalgoE3EjNS0_10empty_typeEbEEZZNS1_14partition_implILS8_3ELb0ES6_jNS0_17counting_iteratorIjlEEPS9_SE_NS0_5tupleIJPjSE_EEENSF_IJSE_SE_EEES9_SG_JZNS1_25segmented_radix_sort_implINS0_14default_configELb0EPKaPaPKlPlN2at6native12_GLOBAL__N_18offset_tEEE10hipError_tPvRmT1_PNSt15iterator_traitsISY_E10value_typeET2_T3_PNSZ_IS14_E10value_typeET4_jRbjT5_S1A_jjP12ihipStream_tbEUljE_EEESV_SW_SX_S14_S18_S1A_T6_T7_T9_mT8_S1C_bDpT10_ENKUlT_T0_E_clISt17integral_constantIbLb1EES1O_IbLb0EEEEDaS1K_S1L_EUlS1K_E_NS1_11comp_targetILNS1_3genE0ELNS1_11target_archE4294967295ELNS1_3gpuE0ELNS1_3repE0EEENS1_30default_config_static_selectorELNS0_4arch9wavefront6targetE0EEEvSY_.numbered_sgpr, 0
	.set _ZN7rocprim17ROCPRIM_400000_NS6detail17trampoline_kernelINS0_13select_configILj256ELj13ELNS0_17block_load_methodE3ELS4_3ELS4_3ELNS0_20block_scan_algorithmE0ELj4294967295EEENS1_25partition_config_selectorILNS1_17partition_subalgoE3EjNS0_10empty_typeEbEEZZNS1_14partition_implILS8_3ELb0ES6_jNS0_17counting_iteratorIjlEEPS9_SE_NS0_5tupleIJPjSE_EEENSF_IJSE_SE_EEES9_SG_JZNS1_25segmented_radix_sort_implINS0_14default_configELb0EPKaPaPKlPlN2at6native12_GLOBAL__N_18offset_tEEE10hipError_tPvRmT1_PNSt15iterator_traitsISY_E10value_typeET2_T3_PNSZ_IS14_E10value_typeET4_jRbjT5_S1A_jjP12ihipStream_tbEUljE_EEESV_SW_SX_S14_S18_S1A_T6_T7_T9_mT8_S1C_bDpT10_ENKUlT_T0_E_clISt17integral_constantIbLb1EES1O_IbLb0EEEEDaS1K_S1L_EUlS1K_E_NS1_11comp_targetILNS1_3genE0ELNS1_11target_archE4294967295ELNS1_3gpuE0ELNS1_3repE0EEENS1_30default_config_static_selectorELNS0_4arch9wavefront6targetE0EEEvSY_.num_named_barrier, 0
	.set _ZN7rocprim17ROCPRIM_400000_NS6detail17trampoline_kernelINS0_13select_configILj256ELj13ELNS0_17block_load_methodE3ELS4_3ELS4_3ELNS0_20block_scan_algorithmE0ELj4294967295EEENS1_25partition_config_selectorILNS1_17partition_subalgoE3EjNS0_10empty_typeEbEEZZNS1_14partition_implILS8_3ELb0ES6_jNS0_17counting_iteratorIjlEEPS9_SE_NS0_5tupleIJPjSE_EEENSF_IJSE_SE_EEES9_SG_JZNS1_25segmented_radix_sort_implINS0_14default_configELb0EPKaPaPKlPlN2at6native12_GLOBAL__N_18offset_tEEE10hipError_tPvRmT1_PNSt15iterator_traitsISY_E10value_typeET2_T3_PNSZ_IS14_E10value_typeET4_jRbjT5_S1A_jjP12ihipStream_tbEUljE_EEESV_SW_SX_S14_S18_S1A_T6_T7_T9_mT8_S1C_bDpT10_ENKUlT_T0_E_clISt17integral_constantIbLb1EES1O_IbLb0EEEEDaS1K_S1L_EUlS1K_E_NS1_11comp_targetILNS1_3genE0ELNS1_11target_archE4294967295ELNS1_3gpuE0ELNS1_3repE0EEENS1_30default_config_static_selectorELNS0_4arch9wavefront6targetE0EEEvSY_.private_seg_size, 0
	.set _ZN7rocprim17ROCPRIM_400000_NS6detail17trampoline_kernelINS0_13select_configILj256ELj13ELNS0_17block_load_methodE3ELS4_3ELS4_3ELNS0_20block_scan_algorithmE0ELj4294967295EEENS1_25partition_config_selectorILNS1_17partition_subalgoE3EjNS0_10empty_typeEbEEZZNS1_14partition_implILS8_3ELb0ES6_jNS0_17counting_iteratorIjlEEPS9_SE_NS0_5tupleIJPjSE_EEENSF_IJSE_SE_EEES9_SG_JZNS1_25segmented_radix_sort_implINS0_14default_configELb0EPKaPaPKlPlN2at6native12_GLOBAL__N_18offset_tEEE10hipError_tPvRmT1_PNSt15iterator_traitsISY_E10value_typeET2_T3_PNSZ_IS14_E10value_typeET4_jRbjT5_S1A_jjP12ihipStream_tbEUljE_EEESV_SW_SX_S14_S18_S1A_T6_T7_T9_mT8_S1C_bDpT10_ENKUlT_T0_E_clISt17integral_constantIbLb1EES1O_IbLb0EEEEDaS1K_S1L_EUlS1K_E_NS1_11comp_targetILNS1_3genE0ELNS1_11target_archE4294967295ELNS1_3gpuE0ELNS1_3repE0EEENS1_30default_config_static_selectorELNS0_4arch9wavefront6targetE0EEEvSY_.uses_vcc, 0
	.set _ZN7rocprim17ROCPRIM_400000_NS6detail17trampoline_kernelINS0_13select_configILj256ELj13ELNS0_17block_load_methodE3ELS4_3ELS4_3ELNS0_20block_scan_algorithmE0ELj4294967295EEENS1_25partition_config_selectorILNS1_17partition_subalgoE3EjNS0_10empty_typeEbEEZZNS1_14partition_implILS8_3ELb0ES6_jNS0_17counting_iteratorIjlEEPS9_SE_NS0_5tupleIJPjSE_EEENSF_IJSE_SE_EEES9_SG_JZNS1_25segmented_radix_sort_implINS0_14default_configELb0EPKaPaPKlPlN2at6native12_GLOBAL__N_18offset_tEEE10hipError_tPvRmT1_PNSt15iterator_traitsISY_E10value_typeET2_T3_PNSZ_IS14_E10value_typeET4_jRbjT5_S1A_jjP12ihipStream_tbEUljE_EEESV_SW_SX_S14_S18_S1A_T6_T7_T9_mT8_S1C_bDpT10_ENKUlT_T0_E_clISt17integral_constantIbLb1EES1O_IbLb0EEEEDaS1K_S1L_EUlS1K_E_NS1_11comp_targetILNS1_3genE0ELNS1_11target_archE4294967295ELNS1_3gpuE0ELNS1_3repE0EEENS1_30default_config_static_selectorELNS0_4arch9wavefront6targetE0EEEvSY_.uses_flat_scratch, 0
	.set _ZN7rocprim17ROCPRIM_400000_NS6detail17trampoline_kernelINS0_13select_configILj256ELj13ELNS0_17block_load_methodE3ELS4_3ELS4_3ELNS0_20block_scan_algorithmE0ELj4294967295EEENS1_25partition_config_selectorILNS1_17partition_subalgoE3EjNS0_10empty_typeEbEEZZNS1_14partition_implILS8_3ELb0ES6_jNS0_17counting_iteratorIjlEEPS9_SE_NS0_5tupleIJPjSE_EEENSF_IJSE_SE_EEES9_SG_JZNS1_25segmented_radix_sort_implINS0_14default_configELb0EPKaPaPKlPlN2at6native12_GLOBAL__N_18offset_tEEE10hipError_tPvRmT1_PNSt15iterator_traitsISY_E10value_typeET2_T3_PNSZ_IS14_E10value_typeET4_jRbjT5_S1A_jjP12ihipStream_tbEUljE_EEESV_SW_SX_S14_S18_S1A_T6_T7_T9_mT8_S1C_bDpT10_ENKUlT_T0_E_clISt17integral_constantIbLb1EES1O_IbLb0EEEEDaS1K_S1L_EUlS1K_E_NS1_11comp_targetILNS1_3genE0ELNS1_11target_archE4294967295ELNS1_3gpuE0ELNS1_3repE0EEENS1_30default_config_static_selectorELNS0_4arch9wavefront6targetE0EEEvSY_.has_dyn_sized_stack, 0
	.set _ZN7rocprim17ROCPRIM_400000_NS6detail17trampoline_kernelINS0_13select_configILj256ELj13ELNS0_17block_load_methodE3ELS4_3ELS4_3ELNS0_20block_scan_algorithmE0ELj4294967295EEENS1_25partition_config_selectorILNS1_17partition_subalgoE3EjNS0_10empty_typeEbEEZZNS1_14partition_implILS8_3ELb0ES6_jNS0_17counting_iteratorIjlEEPS9_SE_NS0_5tupleIJPjSE_EEENSF_IJSE_SE_EEES9_SG_JZNS1_25segmented_radix_sort_implINS0_14default_configELb0EPKaPaPKlPlN2at6native12_GLOBAL__N_18offset_tEEE10hipError_tPvRmT1_PNSt15iterator_traitsISY_E10value_typeET2_T3_PNSZ_IS14_E10value_typeET4_jRbjT5_S1A_jjP12ihipStream_tbEUljE_EEESV_SW_SX_S14_S18_S1A_T6_T7_T9_mT8_S1C_bDpT10_ENKUlT_T0_E_clISt17integral_constantIbLb1EES1O_IbLb0EEEEDaS1K_S1L_EUlS1K_E_NS1_11comp_targetILNS1_3genE0ELNS1_11target_archE4294967295ELNS1_3gpuE0ELNS1_3repE0EEENS1_30default_config_static_selectorELNS0_4arch9wavefront6targetE0EEEvSY_.has_recursion, 0
	.set _ZN7rocprim17ROCPRIM_400000_NS6detail17trampoline_kernelINS0_13select_configILj256ELj13ELNS0_17block_load_methodE3ELS4_3ELS4_3ELNS0_20block_scan_algorithmE0ELj4294967295EEENS1_25partition_config_selectorILNS1_17partition_subalgoE3EjNS0_10empty_typeEbEEZZNS1_14partition_implILS8_3ELb0ES6_jNS0_17counting_iteratorIjlEEPS9_SE_NS0_5tupleIJPjSE_EEENSF_IJSE_SE_EEES9_SG_JZNS1_25segmented_radix_sort_implINS0_14default_configELb0EPKaPaPKlPlN2at6native12_GLOBAL__N_18offset_tEEE10hipError_tPvRmT1_PNSt15iterator_traitsISY_E10value_typeET2_T3_PNSZ_IS14_E10value_typeET4_jRbjT5_S1A_jjP12ihipStream_tbEUljE_EEESV_SW_SX_S14_S18_S1A_T6_T7_T9_mT8_S1C_bDpT10_ENKUlT_T0_E_clISt17integral_constantIbLb1EES1O_IbLb0EEEEDaS1K_S1L_EUlS1K_E_NS1_11comp_targetILNS1_3genE0ELNS1_11target_archE4294967295ELNS1_3gpuE0ELNS1_3repE0EEENS1_30default_config_static_selectorELNS0_4arch9wavefront6targetE0EEEvSY_.has_indirect_call, 0
	.section	.AMDGPU.csdata,"",@progbits
; Kernel info:
; codeLenInByte = 0
; TotalNumSgprs: 0
; NumVgprs: 0
; ScratchSize: 0
; MemoryBound: 0
; FloatMode: 240
; IeeeMode: 1
; LDSByteSize: 0 bytes/workgroup (compile time only)
; SGPRBlocks: 0
; VGPRBlocks: 0
; NumSGPRsForWavesPerEU: 1
; NumVGPRsForWavesPerEU: 1
; Occupancy: 16
; WaveLimiterHint : 0
; COMPUTE_PGM_RSRC2:SCRATCH_EN: 0
; COMPUTE_PGM_RSRC2:USER_SGPR: 6
; COMPUTE_PGM_RSRC2:TRAP_HANDLER: 0
; COMPUTE_PGM_RSRC2:TGID_X_EN: 1
; COMPUTE_PGM_RSRC2:TGID_Y_EN: 0
; COMPUTE_PGM_RSRC2:TGID_Z_EN: 0
; COMPUTE_PGM_RSRC2:TIDIG_COMP_CNT: 0
	.section	.text._ZN7rocprim17ROCPRIM_400000_NS6detail17trampoline_kernelINS0_13select_configILj256ELj13ELNS0_17block_load_methodE3ELS4_3ELS4_3ELNS0_20block_scan_algorithmE0ELj4294967295EEENS1_25partition_config_selectorILNS1_17partition_subalgoE3EjNS0_10empty_typeEbEEZZNS1_14partition_implILS8_3ELb0ES6_jNS0_17counting_iteratorIjlEEPS9_SE_NS0_5tupleIJPjSE_EEENSF_IJSE_SE_EEES9_SG_JZNS1_25segmented_radix_sort_implINS0_14default_configELb0EPKaPaPKlPlN2at6native12_GLOBAL__N_18offset_tEEE10hipError_tPvRmT1_PNSt15iterator_traitsISY_E10value_typeET2_T3_PNSZ_IS14_E10value_typeET4_jRbjT5_S1A_jjP12ihipStream_tbEUljE_EEESV_SW_SX_S14_S18_S1A_T6_T7_T9_mT8_S1C_bDpT10_ENKUlT_T0_E_clISt17integral_constantIbLb1EES1O_IbLb0EEEEDaS1K_S1L_EUlS1K_E_NS1_11comp_targetILNS1_3genE5ELNS1_11target_archE942ELNS1_3gpuE9ELNS1_3repE0EEENS1_30default_config_static_selectorELNS0_4arch9wavefront6targetE0EEEvSY_,"axG",@progbits,_ZN7rocprim17ROCPRIM_400000_NS6detail17trampoline_kernelINS0_13select_configILj256ELj13ELNS0_17block_load_methodE3ELS4_3ELS4_3ELNS0_20block_scan_algorithmE0ELj4294967295EEENS1_25partition_config_selectorILNS1_17partition_subalgoE3EjNS0_10empty_typeEbEEZZNS1_14partition_implILS8_3ELb0ES6_jNS0_17counting_iteratorIjlEEPS9_SE_NS0_5tupleIJPjSE_EEENSF_IJSE_SE_EEES9_SG_JZNS1_25segmented_radix_sort_implINS0_14default_configELb0EPKaPaPKlPlN2at6native12_GLOBAL__N_18offset_tEEE10hipError_tPvRmT1_PNSt15iterator_traitsISY_E10value_typeET2_T3_PNSZ_IS14_E10value_typeET4_jRbjT5_S1A_jjP12ihipStream_tbEUljE_EEESV_SW_SX_S14_S18_S1A_T6_T7_T9_mT8_S1C_bDpT10_ENKUlT_T0_E_clISt17integral_constantIbLb1EES1O_IbLb0EEEEDaS1K_S1L_EUlS1K_E_NS1_11comp_targetILNS1_3genE5ELNS1_11target_archE942ELNS1_3gpuE9ELNS1_3repE0EEENS1_30default_config_static_selectorELNS0_4arch9wavefront6targetE0EEEvSY_,comdat
	.globl	_ZN7rocprim17ROCPRIM_400000_NS6detail17trampoline_kernelINS0_13select_configILj256ELj13ELNS0_17block_load_methodE3ELS4_3ELS4_3ELNS0_20block_scan_algorithmE0ELj4294967295EEENS1_25partition_config_selectorILNS1_17partition_subalgoE3EjNS0_10empty_typeEbEEZZNS1_14partition_implILS8_3ELb0ES6_jNS0_17counting_iteratorIjlEEPS9_SE_NS0_5tupleIJPjSE_EEENSF_IJSE_SE_EEES9_SG_JZNS1_25segmented_radix_sort_implINS0_14default_configELb0EPKaPaPKlPlN2at6native12_GLOBAL__N_18offset_tEEE10hipError_tPvRmT1_PNSt15iterator_traitsISY_E10value_typeET2_T3_PNSZ_IS14_E10value_typeET4_jRbjT5_S1A_jjP12ihipStream_tbEUljE_EEESV_SW_SX_S14_S18_S1A_T6_T7_T9_mT8_S1C_bDpT10_ENKUlT_T0_E_clISt17integral_constantIbLb1EES1O_IbLb0EEEEDaS1K_S1L_EUlS1K_E_NS1_11comp_targetILNS1_3genE5ELNS1_11target_archE942ELNS1_3gpuE9ELNS1_3repE0EEENS1_30default_config_static_selectorELNS0_4arch9wavefront6targetE0EEEvSY_ ; -- Begin function _ZN7rocprim17ROCPRIM_400000_NS6detail17trampoline_kernelINS0_13select_configILj256ELj13ELNS0_17block_load_methodE3ELS4_3ELS4_3ELNS0_20block_scan_algorithmE0ELj4294967295EEENS1_25partition_config_selectorILNS1_17partition_subalgoE3EjNS0_10empty_typeEbEEZZNS1_14partition_implILS8_3ELb0ES6_jNS0_17counting_iteratorIjlEEPS9_SE_NS0_5tupleIJPjSE_EEENSF_IJSE_SE_EEES9_SG_JZNS1_25segmented_radix_sort_implINS0_14default_configELb0EPKaPaPKlPlN2at6native12_GLOBAL__N_18offset_tEEE10hipError_tPvRmT1_PNSt15iterator_traitsISY_E10value_typeET2_T3_PNSZ_IS14_E10value_typeET4_jRbjT5_S1A_jjP12ihipStream_tbEUljE_EEESV_SW_SX_S14_S18_S1A_T6_T7_T9_mT8_S1C_bDpT10_ENKUlT_T0_E_clISt17integral_constantIbLb1EES1O_IbLb0EEEEDaS1K_S1L_EUlS1K_E_NS1_11comp_targetILNS1_3genE5ELNS1_11target_archE942ELNS1_3gpuE9ELNS1_3repE0EEENS1_30default_config_static_selectorELNS0_4arch9wavefront6targetE0EEEvSY_
	.p2align	8
	.type	_ZN7rocprim17ROCPRIM_400000_NS6detail17trampoline_kernelINS0_13select_configILj256ELj13ELNS0_17block_load_methodE3ELS4_3ELS4_3ELNS0_20block_scan_algorithmE0ELj4294967295EEENS1_25partition_config_selectorILNS1_17partition_subalgoE3EjNS0_10empty_typeEbEEZZNS1_14partition_implILS8_3ELb0ES6_jNS0_17counting_iteratorIjlEEPS9_SE_NS0_5tupleIJPjSE_EEENSF_IJSE_SE_EEES9_SG_JZNS1_25segmented_radix_sort_implINS0_14default_configELb0EPKaPaPKlPlN2at6native12_GLOBAL__N_18offset_tEEE10hipError_tPvRmT1_PNSt15iterator_traitsISY_E10value_typeET2_T3_PNSZ_IS14_E10value_typeET4_jRbjT5_S1A_jjP12ihipStream_tbEUljE_EEESV_SW_SX_S14_S18_S1A_T6_T7_T9_mT8_S1C_bDpT10_ENKUlT_T0_E_clISt17integral_constantIbLb1EES1O_IbLb0EEEEDaS1K_S1L_EUlS1K_E_NS1_11comp_targetILNS1_3genE5ELNS1_11target_archE942ELNS1_3gpuE9ELNS1_3repE0EEENS1_30default_config_static_selectorELNS0_4arch9wavefront6targetE0EEEvSY_,@function
_ZN7rocprim17ROCPRIM_400000_NS6detail17trampoline_kernelINS0_13select_configILj256ELj13ELNS0_17block_load_methodE3ELS4_3ELS4_3ELNS0_20block_scan_algorithmE0ELj4294967295EEENS1_25partition_config_selectorILNS1_17partition_subalgoE3EjNS0_10empty_typeEbEEZZNS1_14partition_implILS8_3ELb0ES6_jNS0_17counting_iteratorIjlEEPS9_SE_NS0_5tupleIJPjSE_EEENSF_IJSE_SE_EEES9_SG_JZNS1_25segmented_radix_sort_implINS0_14default_configELb0EPKaPaPKlPlN2at6native12_GLOBAL__N_18offset_tEEE10hipError_tPvRmT1_PNSt15iterator_traitsISY_E10value_typeET2_T3_PNSZ_IS14_E10value_typeET4_jRbjT5_S1A_jjP12ihipStream_tbEUljE_EEESV_SW_SX_S14_S18_S1A_T6_T7_T9_mT8_S1C_bDpT10_ENKUlT_T0_E_clISt17integral_constantIbLb1EES1O_IbLb0EEEEDaS1K_S1L_EUlS1K_E_NS1_11comp_targetILNS1_3genE5ELNS1_11target_archE942ELNS1_3gpuE9ELNS1_3repE0EEENS1_30default_config_static_selectorELNS0_4arch9wavefront6targetE0EEEvSY_: ; @_ZN7rocprim17ROCPRIM_400000_NS6detail17trampoline_kernelINS0_13select_configILj256ELj13ELNS0_17block_load_methodE3ELS4_3ELS4_3ELNS0_20block_scan_algorithmE0ELj4294967295EEENS1_25partition_config_selectorILNS1_17partition_subalgoE3EjNS0_10empty_typeEbEEZZNS1_14partition_implILS8_3ELb0ES6_jNS0_17counting_iteratorIjlEEPS9_SE_NS0_5tupleIJPjSE_EEENSF_IJSE_SE_EEES9_SG_JZNS1_25segmented_radix_sort_implINS0_14default_configELb0EPKaPaPKlPlN2at6native12_GLOBAL__N_18offset_tEEE10hipError_tPvRmT1_PNSt15iterator_traitsISY_E10value_typeET2_T3_PNSZ_IS14_E10value_typeET4_jRbjT5_S1A_jjP12ihipStream_tbEUljE_EEESV_SW_SX_S14_S18_S1A_T6_T7_T9_mT8_S1C_bDpT10_ENKUlT_T0_E_clISt17integral_constantIbLb1EES1O_IbLb0EEEEDaS1K_S1L_EUlS1K_E_NS1_11comp_targetILNS1_3genE5ELNS1_11target_archE942ELNS1_3gpuE9ELNS1_3repE0EEENS1_30default_config_static_selectorELNS0_4arch9wavefront6targetE0EEEvSY_
; %bb.0:
	.section	.rodata,"a",@progbits
	.p2align	6, 0x0
	.amdhsa_kernel _ZN7rocprim17ROCPRIM_400000_NS6detail17trampoline_kernelINS0_13select_configILj256ELj13ELNS0_17block_load_methodE3ELS4_3ELS4_3ELNS0_20block_scan_algorithmE0ELj4294967295EEENS1_25partition_config_selectorILNS1_17partition_subalgoE3EjNS0_10empty_typeEbEEZZNS1_14partition_implILS8_3ELb0ES6_jNS0_17counting_iteratorIjlEEPS9_SE_NS0_5tupleIJPjSE_EEENSF_IJSE_SE_EEES9_SG_JZNS1_25segmented_radix_sort_implINS0_14default_configELb0EPKaPaPKlPlN2at6native12_GLOBAL__N_18offset_tEEE10hipError_tPvRmT1_PNSt15iterator_traitsISY_E10value_typeET2_T3_PNSZ_IS14_E10value_typeET4_jRbjT5_S1A_jjP12ihipStream_tbEUljE_EEESV_SW_SX_S14_S18_S1A_T6_T7_T9_mT8_S1C_bDpT10_ENKUlT_T0_E_clISt17integral_constantIbLb1EES1O_IbLb0EEEEDaS1K_S1L_EUlS1K_E_NS1_11comp_targetILNS1_3genE5ELNS1_11target_archE942ELNS1_3gpuE9ELNS1_3repE0EEENS1_30default_config_static_selectorELNS0_4arch9wavefront6targetE0EEEvSY_
		.amdhsa_group_segment_fixed_size 0
		.amdhsa_private_segment_fixed_size 0
		.amdhsa_kernarg_size 144
		.amdhsa_user_sgpr_count 6
		.amdhsa_user_sgpr_private_segment_buffer 1
		.amdhsa_user_sgpr_dispatch_ptr 0
		.amdhsa_user_sgpr_queue_ptr 0
		.amdhsa_user_sgpr_kernarg_segment_ptr 1
		.amdhsa_user_sgpr_dispatch_id 0
		.amdhsa_user_sgpr_flat_scratch_init 0
		.amdhsa_user_sgpr_private_segment_size 0
		.amdhsa_wavefront_size32 1
		.amdhsa_uses_dynamic_stack 0
		.amdhsa_system_sgpr_private_segment_wavefront_offset 0
		.amdhsa_system_sgpr_workgroup_id_x 1
		.amdhsa_system_sgpr_workgroup_id_y 0
		.amdhsa_system_sgpr_workgroup_id_z 0
		.amdhsa_system_sgpr_workgroup_info 0
		.amdhsa_system_vgpr_workitem_id 0
		.amdhsa_next_free_vgpr 1
		.amdhsa_next_free_sgpr 1
		.amdhsa_reserve_vcc 0
		.amdhsa_reserve_flat_scratch 0
		.amdhsa_float_round_mode_32 0
		.amdhsa_float_round_mode_16_64 0
		.amdhsa_float_denorm_mode_32 3
		.amdhsa_float_denorm_mode_16_64 3
		.amdhsa_dx10_clamp 1
		.amdhsa_ieee_mode 1
		.amdhsa_fp16_overflow 0
		.amdhsa_workgroup_processor_mode 1
		.amdhsa_memory_ordered 1
		.amdhsa_forward_progress 1
		.amdhsa_shared_vgpr_count 0
		.amdhsa_exception_fp_ieee_invalid_op 0
		.amdhsa_exception_fp_denorm_src 0
		.amdhsa_exception_fp_ieee_div_zero 0
		.amdhsa_exception_fp_ieee_overflow 0
		.amdhsa_exception_fp_ieee_underflow 0
		.amdhsa_exception_fp_ieee_inexact 0
		.amdhsa_exception_int_div_zero 0
	.end_amdhsa_kernel
	.section	.text._ZN7rocprim17ROCPRIM_400000_NS6detail17trampoline_kernelINS0_13select_configILj256ELj13ELNS0_17block_load_methodE3ELS4_3ELS4_3ELNS0_20block_scan_algorithmE0ELj4294967295EEENS1_25partition_config_selectorILNS1_17partition_subalgoE3EjNS0_10empty_typeEbEEZZNS1_14partition_implILS8_3ELb0ES6_jNS0_17counting_iteratorIjlEEPS9_SE_NS0_5tupleIJPjSE_EEENSF_IJSE_SE_EEES9_SG_JZNS1_25segmented_radix_sort_implINS0_14default_configELb0EPKaPaPKlPlN2at6native12_GLOBAL__N_18offset_tEEE10hipError_tPvRmT1_PNSt15iterator_traitsISY_E10value_typeET2_T3_PNSZ_IS14_E10value_typeET4_jRbjT5_S1A_jjP12ihipStream_tbEUljE_EEESV_SW_SX_S14_S18_S1A_T6_T7_T9_mT8_S1C_bDpT10_ENKUlT_T0_E_clISt17integral_constantIbLb1EES1O_IbLb0EEEEDaS1K_S1L_EUlS1K_E_NS1_11comp_targetILNS1_3genE5ELNS1_11target_archE942ELNS1_3gpuE9ELNS1_3repE0EEENS1_30default_config_static_selectorELNS0_4arch9wavefront6targetE0EEEvSY_,"axG",@progbits,_ZN7rocprim17ROCPRIM_400000_NS6detail17trampoline_kernelINS0_13select_configILj256ELj13ELNS0_17block_load_methodE3ELS4_3ELS4_3ELNS0_20block_scan_algorithmE0ELj4294967295EEENS1_25partition_config_selectorILNS1_17partition_subalgoE3EjNS0_10empty_typeEbEEZZNS1_14partition_implILS8_3ELb0ES6_jNS0_17counting_iteratorIjlEEPS9_SE_NS0_5tupleIJPjSE_EEENSF_IJSE_SE_EEES9_SG_JZNS1_25segmented_radix_sort_implINS0_14default_configELb0EPKaPaPKlPlN2at6native12_GLOBAL__N_18offset_tEEE10hipError_tPvRmT1_PNSt15iterator_traitsISY_E10value_typeET2_T3_PNSZ_IS14_E10value_typeET4_jRbjT5_S1A_jjP12ihipStream_tbEUljE_EEESV_SW_SX_S14_S18_S1A_T6_T7_T9_mT8_S1C_bDpT10_ENKUlT_T0_E_clISt17integral_constantIbLb1EES1O_IbLb0EEEEDaS1K_S1L_EUlS1K_E_NS1_11comp_targetILNS1_3genE5ELNS1_11target_archE942ELNS1_3gpuE9ELNS1_3repE0EEENS1_30default_config_static_selectorELNS0_4arch9wavefront6targetE0EEEvSY_,comdat
.Lfunc_end375:
	.size	_ZN7rocprim17ROCPRIM_400000_NS6detail17trampoline_kernelINS0_13select_configILj256ELj13ELNS0_17block_load_methodE3ELS4_3ELS4_3ELNS0_20block_scan_algorithmE0ELj4294967295EEENS1_25partition_config_selectorILNS1_17partition_subalgoE3EjNS0_10empty_typeEbEEZZNS1_14partition_implILS8_3ELb0ES6_jNS0_17counting_iteratorIjlEEPS9_SE_NS0_5tupleIJPjSE_EEENSF_IJSE_SE_EEES9_SG_JZNS1_25segmented_radix_sort_implINS0_14default_configELb0EPKaPaPKlPlN2at6native12_GLOBAL__N_18offset_tEEE10hipError_tPvRmT1_PNSt15iterator_traitsISY_E10value_typeET2_T3_PNSZ_IS14_E10value_typeET4_jRbjT5_S1A_jjP12ihipStream_tbEUljE_EEESV_SW_SX_S14_S18_S1A_T6_T7_T9_mT8_S1C_bDpT10_ENKUlT_T0_E_clISt17integral_constantIbLb1EES1O_IbLb0EEEEDaS1K_S1L_EUlS1K_E_NS1_11comp_targetILNS1_3genE5ELNS1_11target_archE942ELNS1_3gpuE9ELNS1_3repE0EEENS1_30default_config_static_selectorELNS0_4arch9wavefront6targetE0EEEvSY_, .Lfunc_end375-_ZN7rocprim17ROCPRIM_400000_NS6detail17trampoline_kernelINS0_13select_configILj256ELj13ELNS0_17block_load_methodE3ELS4_3ELS4_3ELNS0_20block_scan_algorithmE0ELj4294967295EEENS1_25partition_config_selectorILNS1_17partition_subalgoE3EjNS0_10empty_typeEbEEZZNS1_14partition_implILS8_3ELb0ES6_jNS0_17counting_iteratorIjlEEPS9_SE_NS0_5tupleIJPjSE_EEENSF_IJSE_SE_EEES9_SG_JZNS1_25segmented_radix_sort_implINS0_14default_configELb0EPKaPaPKlPlN2at6native12_GLOBAL__N_18offset_tEEE10hipError_tPvRmT1_PNSt15iterator_traitsISY_E10value_typeET2_T3_PNSZ_IS14_E10value_typeET4_jRbjT5_S1A_jjP12ihipStream_tbEUljE_EEESV_SW_SX_S14_S18_S1A_T6_T7_T9_mT8_S1C_bDpT10_ENKUlT_T0_E_clISt17integral_constantIbLb1EES1O_IbLb0EEEEDaS1K_S1L_EUlS1K_E_NS1_11comp_targetILNS1_3genE5ELNS1_11target_archE942ELNS1_3gpuE9ELNS1_3repE0EEENS1_30default_config_static_selectorELNS0_4arch9wavefront6targetE0EEEvSY_
                                        ; -- End function
	.set _ZN7rocprim17ROCPRIM_400000_NS6detail17trampoline_kernelINS0_13select_configILj256ELj13ELNS0_17block_load_methodE3ELS4_3ELS4_3ELNS0_20block_scan_algorithmE0ELj4294967295EEENS1_25partition_config_selectorILNS1_17partition_subalgoE3EjNS0_10empty_typeEbEEZZNS1_14partition_implILS8_3ELb0ES6_jNS0_17counting_iteratorIjlEEPS9_SE_NS0_5tupleIJPjSE_EEENSF_IJSE_SE_EEES9_SG_JZNS1_25segmented_radix_sort_implINS0_14default_configELb0EPKaPaPKlPlN2at6native12_GLOBAL__N_18offset_tEEE10hipError_tPvRmT1_PNSt15iterator_traitsISY_E10value_typeET2_T3_PNSZ_IS14_E10value_typeET4_jRbjT5_S1A_jjP12ihipStream_tbEUljE_EEESV_SW_SX_S14_S18_S1A_T6_T7_T9_mT8_S1C_bDpT10_ENKUlT_T0_E_clISt17integral_constantIbLb1EES1O_IbLb0EEEEDaS1K_S1L_EUlS1K_E_NS1_11comp_targetILNS1_3genE5ELNS1_11target_archE942ELNS1_3gpuE9ELNS1_3repE0EEENS1_30default_config_static_selectorELNS0_4arch9wavefront6targetE0EEEvSY_.num_vgpr, 0
	.set _ZN7rocprim17ROCPRIM_400000_NS6detail17trampoline_kernelINS0_13select_configILj256ELj13ELNS0_17block_load_methodE3ELS4_3ELS4_3ELNS0_20block_scan_algorithmE0ELj4294967295EEENS1_25partition_config_selectorILNS1_17partition_subalgoE3EjNS0_10empty_typeEbEEZZNS1_14partition_implILS8_3ELb0ES6_jNS0_17counting_iteratorIjlEEPS9_SE_NS0_5tupleIJPjSE_EEENSF_IJSE_SE_EEES9_SG_JZNS1_25segmented_radix_sort_implINS0_14default_configELb0EPKaPaPKlPlN2at6native12_GLOBAL__N_18offset_tEEE10hipError_tPvRmT1_PNSt15iterator_traitsISY_E10value_typeET2_T3_PNSZ_IS14_E10value_typeET4_jRbjT5_S1A_jjP12ihipStream_tbEUljE_EEESV_SW_SX_S14_S18_S1A_T6_T7_T9_mT8_S1C_bDpT10_ENKUlT_T0_E_clISt17integral_constantIbLb1EES1O_IbLb0EEEEDaS1K_S1L_EUlS1K_E_NS1_11comp_targetILNS1_3genE5ELNS1_11target_archE942ELNS1_3gpuE9ELNS1_3repE0EEENS1_30default_config_static_selectorELNS0_4arch9wavefront6targetE0EEEvSY_.num_agpr, 0
	.set _ZN7rocprim17ROCPRIM_400000_NS6detail17trampoline_kernelINS0_13select_configILj256ELj13ELNS0_17block_load_methodE3ELS4_3ELS4_3ELNS0_20block_scan_algorithmE0ELj4294967295EEENS1_25partition_config_selectorILNS1_17partition_subalgoE3EjNS0_10empty_typeEbEEZZNS1_14partition_implILS8_3ELb0ES6_jNS0_17counting_iteratorIjlEEPS9_SE_NS0_5tupleIJPjSE_EEENSF_IJSE_SE_EEES9_SG_JZNS1_25segmented_radix_sort_implINS0_14default_configELb0EPKaPaPKlPlN2at6native12_GLOBAL__N_18offset_tEEE10hipError_tPvRmT1_PNSt15iterator_traitsISY_E10value_typeET2_T3_PNSZ_IS14_E10value_typeET4_jRbjT5_S1A_jjP12ihipStream_tbEUljE_EEESV_SW_SX_S14_S18_S1A_T6_T7_T9_mT8_S1C_bDpT10_ENKUlT_T0_E_clISt17integral_constantIbLb1EES1O_IbLb0EEEEDaS1K_S1L_EUlS1K_E_NS1_11comp_targetILNS1_3genE5ELNS1_11target_archE942ELNS1_3gpuE9ELNS1_3repE0EEENS1_30default_config_static_selectorELNS0_4arch9wavefront6targetE0EEEvSY_.numbered_sgpr, 0
	.set _ZN7rocprim17ROCPRIM_400000_NS6detail17trampoline_kernelINS0_13select_configILj256ELj13ELNS0_17block_load_methodE3ELS4_3ELS4_3ELNS0_20block_scan_algorithmE0ELj4294967295EEENS1_25partition_config_selectorILNS1_17partition_subalgoE3EjNS0_10empty_typeEbEEZZNS1_14partition_implILS8_3ELb0ES6_jNS0_17counting_iteratorIjlEEPS9_SE_NS0_5tupleIJPjSE_EEENSF_IJSE_SE_EEES9_SG_JZNS1_25segmented_radix_sort_implINS0_14default_configELb0EPKaPaPKlPlN2at6native12_GLOBAL__N_18offset_tEEE10hipError_tPvRmT1_PNSt15iterator_traitsISY_E10value_typeET2_T3_PNSZ_IS14_E10value_typeET4_jRbjT5_S1A_jjP12ihipStream_tbEUljE_EEESV_SW_SX_S14_S18_S1A_T6_T7_T9_mT8_S1C_bDpT10_ENKUlT_T0_E_clISt17integral_constantIbLb1EES1O_IbLb0EEEEDaS1K_S1L_EUlS1K_E_NS1_11comp_targetILNS1_3genE5ELNS1_11target_archE942ELNS1_3gpuE9ELNS1_3repE0EEENS1_30default_config_static_selectorELNS0_4arch9wavefront6targetE0EEEvSY_.num_named_barrier, 0
	.set _ZN7rocprim17ROCPRIM_400000_NS6detail17trampoline_kernelINS0_13select_configILj256ELj13ELNS0_17block_load_methodE3ELS4_3ELS4_3ELNS0_20block_scan_algorithmE0ELj4294967295EEENS1_25partition_config_selectorILNS1_17partition_subalgoE3EjNS0_10empty_typeEbEEZZNS1_14partition_implILS8_3ELb0ES6_jNS0_17counting_iteratorIjlEEPS9_SE_NS0_5tupleIJPjSE_EEENSF_IJSE_SE_EEES9_SG_JZNS1_25segmented_radix_sort_implINS0_14default_configELb0EPKaPaPKlPlN2at6native12_GLOBAL__N_18offset_tEEE10hipError_tPvRmT1_PNSt15iterator_traitsISY_E10value_typeET2_T3_PNSZ_IS14_E10value_typeET4_jRbjT5_S1A_jjP12ihipStream_tbEUljE_EEESV_SW_SX_S14_S18_S1A_T6_T7_T9_mT8_S1C_bDpT10_ENKUlT_T0_E_clISt17integral_constantIbLb1EES1O_IbLb0EEEEDaS1K_S1L_EUlS1K_E_NS1_11comp_targetILNS1_3genE5ELNS1_11target_archE942ELNS1_3gpuE9ELNS1_3repE0EEENS1_30default_config_static_selectorELNS0_4arch9wavefront6targetE0EEEvSY_.private_seg_size, 0
	.set _ZN7rocprim17ROCPRIM_400000_NS6detail17trampoline_kernelINS0_13select_configILj256ELj13ELNS0_17block_load_methodE3ELS4_3ELS4_3ELNS0_20block_scan_algorithmE0ELj4294967295EEENS1_25partition_config_selectorILNS1_17partition_subalgoE3EjNS0_10empty_typeEbEEZZNS1_14partition_implILS8_3ELb0ES6_jNS0_17counting_iteratorIjlEEPS9_SE_NS0_5tupleIJPjSE_EEENSF_IJSE_SE_EEES9_SG_JZNS1_25segmented_radix_sort_implINS0_14default_configELb0EPKaPaPKlPlN2at6native12_GLOBAL__N_18offset_tEEE10hipError_tPvRmT1_PNSt15iterator_traitsISY_E10value_typeET2_T3_PNSZ_IS14_E10value_typeET4_jRbjT5_S1A_jjP12ihipStream_tbEUljE_EEESV_SW_SX_S14_S18_S1A_T6_T7_T9_mT8_S1C_bDpT10_ENKUlT_T0_E_clISt17integral_constantIbLb1EES1O_IbLb0EEEEDaS1K_S1L_EUlS1K_E_NS1_11comp_targetILNS1_3genE5ELNS1_11target_archE942ELNS1_3gpuE9ELNS1_3repE0EEENS1_30default_config_static_selectorELNS0_4arch9wavefront6targetE0EEEvSY_.uses_vcc, 0
	.set _ZN7rocprim17ROCPRIM_400000_NS6detail17trampoline_kernelINS0_13select_configILj256ELj13ELNS0_17block_load_methodE3ELS4_3ELS4_3ELNS0_20block_scan_algorithmE0ELj4294967295EEENS1_25partition_config_selectorILNS1_17partition_subalgoE3EjNS0_10empty_typeEbEEZZNS1_14partition_implILS8_3ELb0ES6_jNS0_17counting_iteratorIjlEEPS9_SE_NS0_5tupleIJPjSE_EEENSF_IJSE_SE_EEES9_SG_JZNS1_25segmented_radix_sort_implINS0_14default_configELb0EPKaPaPKlPlN2at6native12_GLOBAL__N_18offset_tEEE10hipError_tPvRmT1_PNSt15iterator_traitsISY_E10value_typeET2_T3_PNSZ_IS14_E10value_typeET4_jRbjT5_S1A_jjP12ihipStream_tbEUljE_EEESV_SW_SX_S14_S18_S1A_T6_T7_T9_mT8_S1C_bDpT10_ENKUlT_T0_E_clISt17integral_constantIbLb1EES1O_IbLb0EEEEDaS1K_S1L_EUlS1K_E_NS1_11comp_targetILNS1_3genE5ELNS1_11target_archE942ELNS1_3gpuE9ELNS1_3repE0EEENS1_30default_config_static_selectorELNS0_4arch9wavefront6targetE0EEEvSY_.uses_flat_scratch, 0
	.set _ZN7rocprim17ROCPRIM_400000_NS6detail17trampoline_kernelINS0_13select_configILj256ELj13ELNS0_17block_load_methodE3ELS4_3ELS4_3ELNS0_20block_scan_algorithmE0ELj4294967295EEENS1_25partition_config_selectorILNS1_17partition_subalgoE3EjNS0_10empty_typeEbEEZZNS1_14partition_implILS8_3ELb0ES6_jNS0_17counting_iteratorIjlEEPS9_SE_NS0_5tupleIJPjSE_EEENSF_IJSE_SE_EEES9_SG_JZNS1_25segmented_radix_sort_implINS0_14default_configELb0EPKaPaPKlPlN2at6native12_GLOBAL__N_18offset_tEEE10hipError_tPvRmT1_PNSt15iterator_traitsISY_E10value_typeET2_T3_PNSZ_IS14_E10value_typeET4_jRbjT5_S1A_jjP12ihipStream_tbEUljE_EEESV_SW_SX_S14_S18_S1A_T6_T7_T9_mT8_S1C_bDpT10_ENKUlT_T0_E_clISt17integral_constantIbLb1EES1O_IbLb0EEEEDaS1K_S1L_EUlS1K_E_NS1_11comp_targetILNS1_3genE5ELNS1_11target_archE942ELNS1_3gpuE9ELNS1_3repE0EEENS1_30default_config_static_selectorELNS0_4arch9wavefront6targetE0EEEvSY_.has_dyn_sized_stack, 0
	.set _ZN7rocprim17ROCPRIM_400000_NS6detail17trampoline_kernelINS0_13select_configILj256ELj13ELNS0_17block_load_methodE3ELS4_3ELS4_3ELNS0_20block_scan_algorithmE0ELj4294967295EEENS1_25partition_config_selectorILNS1_17partition_subalgoE3EjNS0_10empty_typeEbEEZZNS1_14partition_implILS8_3ELb0ES6_jNS0_17counting_iteratorIjlEEPS9_SE_NS0_5tupleIJPjSE_EEENSF_IJSE_SE_EEES9_SG_JZNS1_25segmented_radix_sort_implINS0_14default_configELb0EPKaPaPKlPlN2at6native12_GLOBAL__N_18offset_tEEE10hipError_tPvRmT1_PNSt15iterator_traitsISY_E10value_typeET2_T3_PNSZ_IS14_E10value_typeET4_jRbjT5_S1A_jjP12ihipStream_tbEUljE_EEESV_SW_SX_S14_S18_S1A_T6_T7_T9_mT8_S1C_bDpT10_ENKUlT_T0_E_clISt17integral_constantIbLb1EES1O_IbLb0EEEEDaS1K_S1L_EUlS1K_E_NS1_11comp_targetILNS1_3genE5ELNS1_11target_archE942ELNS1_3gpuE9ELNS1_3repE0EEENS1_30default_config_static_selectorELNS0_4arch9wavefront6targetE0EEEvSY_.has_recursion, 0
	.set _ZN7rocprim17ROCPRIM_400000_NS6detail17trampoline_kernelINS0_13select_configILj256ELj13ELNS0_17block_load_methodE3ELS4_3ELS4_3ELNS0_20block_scan_algorithmE0ELj4294967295EEENS1_25partition_config_selectorILNS1_17partition_subalgoE3EjNS0_10empty_typeEbEEZZNS1_14partition_implILS8_3ELb0ES6_jNS0_17counting_iteratorIjlEEPS9_SE_NS0_5tupleIJPjSE_EEENSF_IJSE_SE_EEES9_SG_JZNS1_25segmented_radix_sort_implINS0_14default_configELb0EPKaPaPKlPlN2at6native12_GLOBAL__N_18offset_tEEE10hipError_tPvRmT1_PNSt15iterator_traitsISY_E10value_typeET2_T3_PNSZ_IS14_E10value_typeET4_jRbjT5_S1A_jjP12ihipStream_tbEUljE_EEESV_SW_SX_S14_S18_S1A_T6_T7_T9_mT8_S1C_bDpT10_ENKUlT_T0_E_clISt17integral_constantIbLb1EES1O_IbLb0EEEEDaS1K_S1L_EUlS1K_E_NS1_11comp_targetILNS1_3genE5ELNS1_11target_archE942ELNS1_3gpuE9ELNS1_3repE0EEENS1_30default_config_static_selectorELNS0_4arch9wavefront6targetE0EEEvSY_.has_indirect_call, 0
	.section	.AMDGPU.csdata,"",@progbits
; Kernel info:
; codeLenInByte = 0
; TotalNumSgprs: 0
; NumVgprs: 0
; ScratchSize: 0
; MemoryBound: 0
; FloatMode: 240
; IeeeMode: 1
; LDSByteSize: 0 bytes/workgroup (compile time only)
; SGPRBlocks: 0
; VGPRBlocks: 0
; NumSGPRsForWavesPerEU: 1
; NumVGPRsForWavesPerEU: 1
; Occupancy: 16
; WaveLimiterHint : 0
; COMPUTE_PGM_RSRC2:SCRATCH_EN: 0
; COMPUTE_PGM_RSRC2:USER_SGPR: 6
; COMPUTE_PGM_RSRC2:TRAP_HANDLER: 0
; COMPUTE_PGM_RSRC2:TGID_X_EN: 1
; COMPUTE_PGM_RSRC2:TGID_Y_EN: 0
; COMPUTE_PGM_RSRC2:TGID_Z_EN: 0
; COMPUTE_PGM_RSRC2:TIDIG_COMP_CNT: 0
	.section	.text._ZN7rocprim17ROCPRIM_400000_NS6detail17trampoline_kernelINS0_13select_configILj256ELj13ELNS0_17block_load_methodE3ELS4_3ELS4_3ELNS0_20block_scan_algorithmE0ELj4294967295EEENS1_25partition_config_selectorILNS1_17partition_subalgoE3EjNS0_10empty_typeEbEEZZNS1_14partition_implILS8_3ELb0ES6_jNS0_17counting_iteratorIjlEEPS9_SE_NS0_5tupleIJPjSE_EEENSF_IJSE_SE_EEES9_SG_JZNS1_25segmented_radix_sort_implINS0_14default_configELb0EPKaPaPKlPlN2at6native12_GLOBAL__N_18offset_tEEE10hipError_tPvRmT1_PNSt15iterator_traitsISY_E10value_typeET2_T3_PNSZ_IS14_E10value_typeET4_jRbjT5_S1A_jjP12ihipStream_tbEUljE_EEESV_SW_SX_S14_S18_S1A_T6_T7_T9_mT8_S1C_bDpT10_ENKUlT_T0_E_clISt17integral_constantIbLb1EES1O_IbLb0EEEEDaS1K_S1L_EUlS1K_E_NS1_11comp_targetILNS1_3genE4ELNS1_11target_archE910ELNS1_3gpuE8ELNS1_3repE0EEENS1_30default_config_static_selectorELNS0_4arch9wavefront6targetE0EEEvSY_,"axG",@progbits,_ZN7rocprim17ROCPRIM_400000_NS6detail17trampoline_kernelINS0_13select_configILj256ELj13ELNS0_17block_load_methodE3ELS4_3ELS4_3ELNS0_20block_scan_algorithmE0ELj4294967295EEENS1_25partition_config_selectorILNS1_17partition_subalgoE3EjNS0_10empty_typeEbEEZZNS1_14partition_implILS8_3ELb0ES6_jNS0_17counting_iteratorIjlEEPS9_SE_NS0_5tupleIJPjSE_EEENSF_IJSE_SE_EEES9_SG_JZNS1_25segmented_radix_sort_implINS0_14default_configELb0EPKaPaPKlPlN2at6native12_GLOBAL__N_18offset_tEEE10hipError_tPvRmT1_PNSt15iterator_traitsISY_E10value_typeET2_T3_PNSZ_IS14_E10value_typeET4_jRbjT5_S1A_jjP12ihipStream_tbEUljE_EEESV_SW_SX_S14_S18_S1A_T6_T7_T9_mT8_S1C_bDpT10_ENKUlT_T0_E_clISt17integral_constantIbLb1EES1O_IbLb0EEEEDaS1K_S1L_EUlS1K_E_NS1_11comp_targetILNS1_3genE4ELNS1_11target_archE910ELNS1_3gpuE8ELNS1_3repE0EEENS1_30default_config_static_selectorELNS0_4arch9wavefront6targetE0EEEvSY_,comdat
	.globl	_ZN7rocprim17ROCPRIM_400000_NS6detail17trampoline_kernelINS0_13select_configILj256ELj13ELNS0_17block_load_methodE3ELS4_3ELS4_3ELNS0_20block_scan_algorithmE0ELj4294967295EEENS1_25partition_config_selectorILNS1_17partition_subalgoE3EjNS0_10empty_typeEbEEZZNS1_14partition_implILS8_3ELb0ES6_jNS0_17counting_iteratorIjlEEPS9_SE_NS0_5tupleIJPjSE_EEENSF_IJSE_SE_EEES9_SG_JZNS1_25segmented_radix_sort_implINS0_14default_configELb0EPKaPaPKlPlN2at6native12_GLOBAL__N_18offset_tEEE10hipError_tPvRmT1_PNSt15iterator_traitsISY_E10value_typeET2_T3_PNSZ_IS14_E10value_typeET4_jRbjT5_S1A_jjP12ihipStream_tbEUljE_EEESV_SW_SX_S14_S18_S1A_T6_T7_T9_mT8_S1C_bDpT10_ENKUlT_T0_E_clISt17integral_constantIbLb1EES1O_IbLb0EEEEDaS1K_S1L_EUlS1K_E_NS1_11comp_targetILNS1_3genE4ELNS1_11target_archE910ELNS1_3gpuE8ELNS1_3repE0EEENS1_30default_config_static_selectorELNS0_4arch9wavefront6targetE0EEEvSY_ ; -- Begin function _ZN7rocprim17ROCPRIM_400000_NS6detail17trampoline_kernelINS0_13select_configILj256ELj13ELNS0_17block_load_methodE3ELS4_3ELS4_3ELNS0_20block_scan_algorithmE0ELj4294967295EEENS1_25partition_config_selectorILNS1_17partition_subalgoE3EjNS0_10empty_typeEbEEZZNS1_14partition_implILS8_3ELb0ES6_jNS0_17counting_iteratorIjlEEPS9_SE_NS0_5tupleIJPjSE_EEENSF_IJSE_SE_EEES9_SG_JZNS1_25segmented_radix_sort_implINS0_14default_configELb0EPKaPaPKlPlN2at6native12_GLOBAL__N_18offset_tEEE10hipError_tPvRmT1_PNSt15iterator_traitsISY_E10value_typeET2_T3_PNSZ_IS14_E10value_typeET4_jRbjT5_S1A_jjP12ihipStream_tbEUljE_EEESV_SW_SX_S14_S18_S1A_T6_T7_T9_mT8_S1C_bDpT10_ENKUlT_T0_E_clISt17integral_constantIbLb1EES1O_IbLb0EEEEDaS1K_S1L_EUlS1K_E_NS1_11comp_targetILNS1_3genE4ELNS1_11target_archE910ELNS1_3gpuE8ELNS1_3repE0EEENS1_30default_config_static_selectorELNS0_4arch9wavefront6targetE0EEEvSY_
	.p2align	8
	.type	_ZN7rocprim17ROCPRIM_400000_NS6detail17trampoline_kernelINS0_13select_configILj256ELj13ELNS0_17block_load_methodE3ELS4_3ELS4_3ELNS0_20block_scan_algorithmE0ELj4294967295EEENS1_25partition_config_selectorILNS1_17partition_subalgoE3EjNS0_10empty_typeEbEEZZNS1_14partition_implILS8_3ELb0ES6_jNS0_17counting_iteratorIjlEEPS9_SE_NS0_5tupleIJPjSE_EEENSF_IJSE_SE_EEES9_SG_JZNS1_25segmented_radix_sort_implINS0_14default_configELb0EPKaPaPKlPlN2at6native12_GLOBAL__N_18offset_tEEE10hipError_tPvRmT1_PNSt15iterator_traitsISY_E10value_typeET2_T3_PNSZ_IS14_E10value_typeET4_jRbjT5_S1A_jjP12ihipStream_tbEUljE_EEESV_SW_SX_S14_S18_S1A_T6_T7_T9_mT8_S1C_bDpT10_ENKUlT_T0_E_clISt17integral_constantIbLb1EES1O_IbLb0EEEEDaS1K_S1L_EUlS1K_E_NS1_11comp_targetILNS1_3genE4ELNS1_11target_archE910ELNS1_3gpuE8ELNS1_3repE0EEENS1_30default_config_static_selectorELNS0_4arch9wavefront6targetE0EEEvSY_,@function
_ZN7rocprim17ROCPRIM_400000_NS6detail17trampoline_kernelINS0_13select_configILj256ELj13ELNS0_17block_load_methodE3ELS4_3ELS4_3ELNS0_20block_scan_algorithmE0ELj4294967295EEENS1_25partition_config_selectorILNS1_17partition_subalgoE3EjNS0_10empty_typeEbEEZZNS1_14partition_implILS8_3ELb0ES6_jNS0_17counting_iteratorIjlEEPS9_SE_NS0_5tupleIJPjSE_EEENSF_IJSE_SE_EEES9_SG_JZNS1_25segmented_radix_sort_implINS0_14default_configELb0EPKaPaPKlPlN2at6native12_GLOBAL__N_18offset_tEEE10hipError_tPvRmT1_PNSt15iterator_traitsISY_E10value_typeET2_T3_PNSZ_IS14_E10value_typeET4_jRbjT5_S1A_jjP12ihipStream_tbEUljE_EEESV_SW_SX_S14_S18_S1A_T6_T7_T9_mT8_S1C_bDpT10_ENKUlT_T0_E_clISt17integral_constantIbLb1EES1O_IbLb0EEEEDaS1K_S1L_EUlS1K_E_NS1_11comp_targetILNS1_3genE4ELNS1_11target_archE910ELNS1_3gpuE8ELNS1_3repE0EEENS1_30default_config_static_selectorELNS0_4arch9wavefront6targetE0EEEvSY_: ; @_ZN7rocprim17ROCPRIM_400000_NS6detail17trampoline_kernelINS0_13select_configILj256ELj13ELNS0_17block_load_methodE3ELS4_3ELS4_3ELNS0_20block_scan_algorithmE0ELj4294967295EEENS1_25partition_config_selectorILNS1_17partition_subalgoE3EjNS0_10empty_typeEbEEZZNS1_14partition_implILS8_3ELb0ES6_jNS0_17counting_iteratorIjlEEPS9_SE_NS0_5tupleIJPjSE_EEENSF_IJSE_SE_EEES9_SG_JZNS1_25segmented_radix_sort_implINS0_14default_configELb0EPKaPaPKlPlN2at6native12_GLOBAL__N_18offset_tEEE10hipError_tPvRmT1_PNSt15iterator_traitsISY_E10value_typeET2_T3_PNSZ_IS14_E10value_typeET4_jRbjT5_S1A_jjP12ihipStream_tbEUljE_EEESV_SW_SX_S14_S18_S1A_T6_T7_T9_mT8_S1C_bDpT10_ENKUlT_T0_E_clISt17integral_constantIbLb1EES1O_IbLb0EEEEDaS1K_S1L_EUlS1K_E_NS1_11comp_targetILNS1_3genE4ELNS1_11target_archE910ELNS1_3gpuE8ELNS1_3repE0EEENS1_30default_config_static_selectorELNS0_4arch9wavefront6targetE0EEEvSY_
; %bb.0:
	.section	.rodata,"a",@progbits
	.p2align	6, 0x0
	.amdhsa_kernel _ZN7rocprim17ROCPRIM_400000_NS6detail17trampoline_kernelINS0_13select_configILj256ELj13ELNS0_17block_load_methodE3ELS4_3ELS4_3ELNS0_20block_scan_algorithmE0ELj4294967295EEENS1_25partition_config_selectorILNS1_17partition_subalgoE3EjNS0_10empty_typeEbEEZZNS1_14partition_implILS8_3ELb0ES6_jNS0_17counting_iteratorIjlEEPS9_SE_NS0_5tupleIJPjSE_EEENSF_IJSE_SE_EEES9_SG_JZNS1_25segmented_radix_sort_implINS0_14default_configELb0EPKaPaPKlPlN2at6native12_GLOBAL__N_18offset_tEEE10hipError_tPvRmT1_PNSt15iterator_traitsISY_E10value_typeET2_T3_PNSZ_IS14_E10value_typeET4_jRbjT5_S1A_jjP12ihipStream_tbEUljE_EEESV_SW_SX_S14_S18_S1A_T6_T7_T9_mT8_S1C_bDpT10_ENKUlT_T0_E_clISt17integral_constantIbLb1EES1O_IbLb0EEEEDaS1K_S1L_EUlS1K_E_NS1_11comp_targetILNS1_3genE4ELNS1_11target_archE910ELNS1_3gpuE8ELNS1_3repE0EEENS1_30default_config_static_selectorELNS0_4arch9wavefront6targetE0EEEvSY_
		.amdhsa_group_segment_fixed_size 0
		.amdhsa_private_segment_fixed_size 0
		.amdhsa_kernarg_size 144
		.amdhsa_user_sgpr_count 6
		.amdhsa_user_sgpr_private_segment_buffer 1
		.amdhsa_user_sgpr_dispatch_ptr 0
		.amdhsa_user_sgpr_queue_ptr 0
		.amdhsa_user_sgpr_kernarg_segment_ptr 1
		.amdhsa_user_sgpr_dispatch_id 0
		.amdhsa_user_sgpr_flat_scratch_init 0
		.amdhsa_user_sgpr_private_segment_size 0
		.amdhsa_wavefront_size32 1
		.amdhsa_uses_dynamic_stack 0
		.amdhsa_system_sgpr_private_segment_wavefront_offset 0
		.amdhsa_system_sgpr_workgroup_id_x 1
		.amdhsa_system_sgpr_workgroup_id_y 0
		.amdhsa_system_sgpr_workgroup_id_z 0
		.amdhsa_system_sgpr_workgroup_info 0
		.amdhsa_system_vgpr_workitem_id 0
		.amdhsa_next_free_vgpr 1
		.amdhsa_next_free_sgpr 1
		.amdhsa_reserve_vcc 0
		.amdhsa_reserve_flat_scratch 0
		.amdhsa_float_round_mode_32 0
		.amdhsa_float_round_mode_16_64 0
		.amdhsa_float_denorm_mode_32 3
		.amdhsa_float_denorm_mode_16_64 3
		.amdhsa_dx10_clamp 1
		.amdhsa_ieee_mode 1
		.amdhsa_fp16_overflow 0
		.amdhsa_workgroup_processor_mode 1
		.amdhsa_memory_ordered 1
		.amdhsa_forward_progress 1
		.amdhsa_shared_vgpr_count 0
		.amdhsa_exception_fp_ieee_invalid_op 0
		.amdhsa_exception_fp_denorm_src 0
		.amdhsa_exception_fp_ieee_div_zero 0
		.amdhsa_exception_fp_ieee_overflow 0
		.amdhsa_exception_fp_ieee_underflow 0
		.amdhsa_exception_fp_ieee_inexact 0
		.amdhsa_exception_int_div_zero 0
	.end_amdhsa_kernel
	.section	.text._ZN7rocprim17ROCPRIM_400000_NS6detail17trampoline_kernelINS0_13select_configILj256ELj13ELNS0_17block_load_methodE3ELS4_3ELS4_3ELNS0_20block_scan_algorithmE0ELj4294967295EEENS1_25partition_config_selectorILNS1_17partition_subalgoE3EjNS0_10empty_typeEbEEZZNS1_14partition_implILS8_3ELb0ES6_jNS0_17counting_iteratorIjlEEPS9_SE_NS0_5tupleIJPjSE_EEENSF_IJSE_SE_EEES9_SG_JZNS1_25segmented_radix_sort_implINS0_14default_configELb0EPKaPaPKlPlN2at6native12_GLOBAL__N_18offset_tEEE10hipError_tPvRmT1_PNSt15iterator_traitsISY_E10value_typeET2_T3_PNSZ_IS14_E10value_typeET4_jRbjT5_S1A_jjP12ihipStream_tbEUljE_EEESV_SW_SX_S14_S18_S1A_T6_T7_T9_mT8_S1C_bDpT10_ENKUlT_T0_E_clISt17integral_constantIbLb1EES1O_IbLb0EEEEDaS1K_S1L_EUlS1K_E_NS1_11comp_targetILNS1_3genE4ELNS1_11target_archE910ELNS1_3gpuE8ELNS1_3repE0EEENS1_30default_config_static_selectorELNS0_4arch9wavefront6targetE0EEEvSY_,"axG",@progbits,_ZN7rocprim17ROCPRIM_400000_NS6detail17trampoline_kernelINS0_13select_configILj256ELj13ELNS0_17block_load_methodE3ELS4_3ELS4_3ELNS0_20block_scan_algorithmE0ELj4294967295EEENS1_25partition_config_selectorILNS1_17partition_subalgoE3EjNS0_10empty_typeEbEEZZNS1_14partition_implILS8_3ELb0ES6_jNS0_17counting_iteratorIjlEEPS9_SE_NS0_5tupleIJPjSE_EEENSF_IJSE_SE_EEES9_SG_JZNS1_25segmented_radix_sort_implINS0_14default_configELb0EPKaPaPKlPlN2at6native12_GLOBAL__N_18offset_tEEE10hipError_tPvRmT1_PNSt15iterator_traitsISY_E10value_typeET2_T3_PNSZ_IS14_E10value_typeET4_jRbjT5_S1A_jjP12ihipStream_tbEUljE_EEESV_SW_SX_S14_S18_S1A_T6_T7_T9_mT8_S1C_bDpT10_ENKUlT_T0_E_clISt17integral_constantIbLb1EES1O_IbLb0EEEEDaS1K_S1L_EUlS1K_E_NS1_11comp_targetILNS1_3genE4ELNS1_11target_archE910ELNS1_3gpuE8ELNS1_3repE0EEENS1_30default_config_static_selectorELNS0_4arch9wavefront6targetE0EEEvSY_,comdat
.Lfunc_end376:
	.size	_ZN7rocprim17ROCPRIM_400000_NS6detail17trampoline_kernelINS0_13select_configILj256ELj13ELNS0_17block_load_methodE3ELS4_3ELS4_3ELNS0_20block_scan_algorithmE0ELj4294967295EEENS1_25partition_config_selectorILNS1_17partition_subalgoE3EjNS0_10empty_typeEbEEZZNS1_14partition_implILS8_3ELb0ES6_jNS0_17counting_iteratorIjlEEPS9_SE_NS0_5tupleIJPjSE_EEENSF_IJSE_SE_EEES9_SG_JZNS1_25segmented_radix_sort_implINS0_14default_configELb0EPKaPaPKlPlN2at6native12_GLOBAL__N_18offset_tEEE10hipError_tPvRmT1_PNSt15iterator_traitsISY_E10value_typeET2_T3_PNSZ_IS14_E10value_typeET4_jRbjT5_S1A_jjP12ihipStream_tbEUljE_EEESV_SW_SX_S14_S18_S1A_T6_T7_T9_mT8_S1C_bDpT10_ENKUlT_T0_E_clISt17integral_constantIbLb1EES1O_IbLb0EEEEDaS1K_S1L_EUlS1K_E_NS1_11comp_targetILNS1_3genE4ELNS1_11target_archE910ELNS1_3gpuE8ELNS1_3repE0EEENS1_30default_config_static_selectorELNS0_4arch9wavefront6targetE0EEEvSY_, .Lfunc_end376-_ZN7rocprim17ROCPRIM_400000_NS6detail17trampoline_kernelINS0_13select_configILj256ELj13ELNS0_17block_load_methodE3ELS4_3ELS4_3ELNS0_20block_scan_algorithmE0ELj4294967295EEENS1_25partition_config_selectorILNS1_17partition_subalgoE3EjNS0_10empty_typeEbEEZZNS1_14partition_implILS8_3ELb0ES6_jNS0_17counting_iteratorIjlEEPS9_SE_NS0_5tupleIJPjSE_EEENSF_IJSE_SE_EEES9_SG_JZNS1_25segmented_radix_sort_implINS0_14default_configELb0EPKaPaPKlPlN2at6native12_GLOBAL__N_18offset_tEEE10hipError_tPvRmT1_PNSt15iterator_traitsISY_E10value_typeET2_T3_PNSZ_IS14_E10value_typeET4_jRbjT5_S1A_jjP12ihipStream_tbEUljE_EEESV_SW_SX_S14_S18_S1A_T6_T7_T9_mT8_S1C_bDpT10_ENKUlT_T0_E_clISt17integral_constantIbLb1EES1O_IbLb0EEEEDaS1K_S1L_EUlS1K_E_NS1_11comp_targetILNS1_3genE4ELNS1_11target_archE910ELNS1_3gpuE8ELNS1_3repE0EEENS1_30default_config_static_selectorELNS0_4arch9wavefront6targetE0EEEvSY_
                                        ; -- End function
	.set _ZN7rocprim17ROCPRIM_400000_NS6detail17trampoline_kernelINS0_13select_configILj256ELj13ELNS0_17block_load_methodE3ELS4_3ELS4_3ELNS0_20block_scan_algorithmE0ELj4294967295EEENS1_25partition_config_selectorILNS1_17partition_subalgoE3EjNS0_10empty_typeEbEEZZNS1_14partition_implILS8_3ELb0ES6_jNS0_17counting_iteratorIjlEEPS9_SE_NS0_5tupleIJPjSE_EEENSF_IJSE_SE_EEES9_SG_JZNS1_25segmented_radix_sort_implINS0_14default_configELb0EPKaPaPKlPlN2at6native12_GLOBAL__N_18offset_tEEE10hipError_tPvRmT1_PNSt15iterator_traitsISY_E10value_typeET2_T3_PNSZ_IS14_E10value_typeET4_jRbjT5_S1A_jjP12ihipStream_tbEUljE_EEESV_SW_SX_S14_S18_S1A_T6_T7_T9_mT8_S1C_bDpT10_ENKUlT_T0_E_clISt17integral_constantIbLb1EES1O_IbLb0EEEEDaS1K_S1L_EUlS1K_E_NS1_11comp_targetILNS1_3genE4ELNS1_11target_archE910ELNS1_3gpuE8ELNS1_3repE0EEENS1_30default_config_static_selectorELNS0_4arch9wavefront6targetE0EEEvSY_.num_vgpr, 0
	.set _ZN7rocprim17ROCPRIM_400000_NS6detail17trampoline_kernelINS0_13select_configILj256ELj13ELNS0_17block_load_methodE3ELS4_3ELS4_3ELNS0_20block_scan_algorithmE0ELj4294967295EEENS1_25partition_config_selectorILNS1_17partition_subalgoE3EjNS0_10empty_typeEbEEZZNS1_14partition_implILS8_3ELb0ES6_jNS0_17counting_iteratorIjlEEPS9_SE_NS0_5tupleIJPjSE_EEENSF_IJSE_SE_EEES9_SG_JZNS1_25segmented_radix_sort_implINS0_14default_configELb0EPKaPaPKlPlN2at6native12_GLOBAL__N_18offset_tEEE10hipError_tPvRmT1_PNSt15iterator_traitsISY_E10value_typeET2_T3_PNSZ_IS14_E10value_typeET4_jRbjT5_S1A_jjP12ihipStream_tbEUljE_EEESV_SW_SX_S14_S18_S1A_T6_T7_T9_mT8_S1C_bDpT10_ENKUlT_T0_E_clISt17integral_constantIbLb1EES1O_IbLb0EEEEDaS1K_S1L_EUlS1K_E_NS1_11comp_targetILNS1_3genE4ELNS1_11target_archE910ELNS1_3gpuE8ELNS1_3repE0EEENS1_30default_config_static_selectorELNS0_4arch9wavefront6targetE0EEEvSY_.num_agpr, 0
	.set _ZN7rocprim17ROCPRIM_400000_NS6detail17trampoline_kernelINS0_13select_configILj256ELj13ELNS0_17block_load_methodE3ELS4_3ELS4_3ELNS0_20block_scan_algorithmE0ELj4294967295EEENS1_25partition_config_selectorILNS1_17partition_subalgoE3EjNS0_10empty_typeEbEEZZNS1_14partition_implILS8_3ELb0ES6_jNS0_17counting_iteratorIjlEEPS9_SE_NS0_5tupleIJPjSE_EEENSF_IJSE_SE_EEES9_SG_JZNS1_25segmented_radix_sort_implINS0_14default_configELb0EPKaPaPKlPlN2at6native12_GLOBAL__N_18offset_tEEE10hipError_tPvRmT1_PNSt15iterator_traitsISY_E10value_typeET2_T3_PNSZ_IS14_E10value_typeET4_jRbjT5_S1A_jjP12ihipStream_tbEUljE_EEESV_SW_SX_S14_S18_S1A_T6_T7_T9_mT8_S1C_bDpT10_ENKUlT_T0_E_clISt17integral_constantIbLb1EES1O_IbLb0EEEEDaS1K_S1L_EUlS1K_E_NS1_11comp_targetILNS1_3genE4ELNS1_11target_archE910ELNS1_3gpuE8ELNS1_3repE0EEENS1_30default_config_static_selectorELNS0_4arch9wavefront6targetE0EEEvSY_.numbered_sgpr, 0
	.set _ZN7rocprim17ROCPRIM_400000_NS6detail17trampoline_kernelINS0_13select_configILj256ELj13ELNS0_17block_load_methodE3ELS4_3ELS4_3ELNS0_20block_scan_algorithmE0ELj4294967295EEENS1_25partition_config_selectorILNS1_17partition_subalgoE3EjNS0_10empty_typeEbEEZZNS1_14partition_implILS8_3ELb0ES6_jNS0_17counting_iteratorIjlEEPS9_SE_NS0_5tupleIJPjSE_EEENSF_IJSE_SE_EEES9_SG_JZNS1_25segmented_radix_sort_implINS0_14default_configELb0EPKaPaPKlPlN2at6native12_GLOBAL__N_18offset_tEEE10hipError_tPvRmT1_PNSt15iterator_traitsISY_E10value_typeET2_T3_PNSZ_IS14_E10value_typeET4_jRbjT5_S1A_jjP12ihipStream_tbEUljE_EEESV_SW_SX_S14_S18_S1A_T6_T7_T9_mT8_S1C_bDpT10_ENKUlT_T0_E_clISt17integral_constantIbLb1EES1O_IbLb0EEEEDaS1K_S1L_EUlS1K_E_NS1_11comp_targetILNS1_3genE4ELNS1_11target_archE910ELNS1_3gpuE8ELNS1_3repE0EEENS1_30default_config_static_selectorELNS0_4arch9wavefront6targetE0EEEvSY_.num_named_barrier, 0
	.set _ZN7rocprim17ROCPRIM_400000_NS6detail17trampoline_kernelINS0_13select_configILj256ELj13ELNS0_17block_load_methodE3ELS4_3ELS4_3ELNS0_20block_scan_algorithmE0ELj4294967295EEENS1_25partition_config_selectorILNS1_17partition_subalgoE3EjNS0_10empty_typeEbEEZZNS1_14partition_implILS8_3ELb0ES6_jNS0_17counting_iteratorIjlEEPS9_SE_NS0_5tupleIJPjSE_EEENSF_IJSE_SE_EEES9_SG_JZNS1_25segmented_radix_sort_implINS0_14default_configELb0EPKaPaPKlPlN2at6native12_GLOBAL__N_18offset_tEEE10hipError_tPvRmT1_PNSt15iterator_traitsISY_E10value_typeET2_T3_PNSZ_IS14_E10value_typeET4_jRbjT5_S1A_jjP12ihipStream_tbEUljE_EEESV_SW_SX_S14_S18_S1A_T6_T7_T9_mT8_S1C_bDpT10_ENKUlT_T0_E_clISt17integral_constantIbLb1EES1O_IbLb0EEEEDaS1K_S1L_EUlS1K_E_NS1_11comp_targetILNS1_3genE4ELNS1_11target_archE910ELNS1_3gpuE8ELNS1_3repE0EEENS1_30default_config_static_selectorELNS0_4arch9wavefront6targetE0EEEvSY_.private_seg_size, 0
	.set _ZN7rocprim17ROCPRIM_400000_NS6detail17trampoline_kernelINS0_13select_configILj256ELj13ELNS0_17block_load_methodE3ELS4_3ELS4_3ELNS0_20block_scan_algorithmE0ELj4294967295EEENS1_25partition_config_selectorILNS1_17partition_subalgoE3EjNS0_10empty_typeEbEEZZNS1_14partition_implILS8_3ELb0ES6_jNS0_17counting_iteratorIjlEEPS9_SE_NS0_5tupleIJPjSE_EEENSF_IJSE_SE_EEES9_SG_JZNS1_25segmented_radix_sort_implINS0_14default_configELb0EPKaPaPKlPlN2at6native12_GLOBAL__N_18offset_tEEE10hipError_tPvRmT1_PNSt15iterator_traitsISY_E10value_typeET2_T3_PNSZ_IS14_E10value_typeET4_jRbjT5_S1A_jjP12ihipStream_tbEUljE_EEESV_SW_SX_S14_S18_S1A_T6_T7_T9_mT8_S1C_bDpT10_ENKUlT_T0_E_clISt17integral_constantIbLb1EES1O_IbLb0EEEEDaS1K_S1L_EUlS1K_E_NS1_11comp_targetILNS1_3genE4ELNS1_11target_archE910ELNS1_3gpuE8ELNS1_3repE0EEENS1_30default_config_static_selectorELNS0_4arch9wavefront6targetE0EEEvSY_.uses_vcc, 0
	.set _ZN7rocprim17ROCPRIM_400000_NS6detail17trampoline_kernelINS0_13select_configILj256ELj13ELNS0_17block_load_methodE3ELS4_3ELS4_3ELNS0_20block_scan_algorithmE0ELj4294967295EEENS1_25partition_config_selectorILNS1_17partition_subalgoE3EjNS0_10empty_typeEbEEZZNS1_14partition_implILS8_3ELb0ES6_jNS0_17counting_iteratorIjlEEPS9_SE_NS0_5tupleIJPjSE_EEENSF_IJSE_SE_EEES9_SG_JZNS1_25segmented_radix_sort_implINS0_14default_configELb0EPKaPaPKlPlN2at6native12_GLOBAL__N_18offset_tEEE10hipError_tPvRmT1_PNSt15iterator_traitsISY_E10value_typeET2_T3_PNSZ_IS14_E10value_typeET4_jRbjT5_S1A_jjP12ihipStream_tbEUljE_EEESV_SW_SX_S14_S18_S1A_T6_T7_T9_mT8_S1C_bDpT10_ENKUlT_T0_E_clISt17integral_constantIbLb1EES1O_IbLb0EEEEDaS1K_S1L_EUlS1K_E_NS1_11comp_targetILNS1_3genE4ELNS1_11target_archE910ELNS1_3gpuE8ELNS1_3repE0EEENS1_30default_config_static_selectorELNS0_4arch9wavefront6targetE0EEEvSY_.uses_flat_scratch, 0
	.set _ZN7rocprim17ROCPRIM_400000_NS6detail17trampoline_kernelINS0_13select_configILj256ELj13ELNS0_17block_load_methodE3ELS4_3ELS4_3ELNS0_20block_scan_algorithmE0ELj4294967295EEENS1_25partition_config_selectorILNS1_17partition_subalgoE3EjNS0_10empty_typeEbEEZZNS1_14partition_implILS8_3ELb0ES6_jNS0_17counting_iteratorIjlEEPS9_SE_NS0_5tupleIJPjSE_EEENSF_IJSE_SE_EEES9_SG_JZNS1_25segmented_radix_sort_implINS0_14default_configELb0EPKaPaPKlPlN2at6native12_GLOBAL__N_18offset_tEEE10hipError_tPvRmT1_PNSt15iterator_traitsISY_E10value_typeET2_T3_PNSZ_IS14_E10value_typeET4_jRbjT5_S1A_jjP12ihipStream_tbEUljE_EEESV_SW_SX_S14_S18_S1A_T6_T7_T9_mT8_S1C_bDpT10_ENKUlT_T0_E_clISt17integral_constantIbLb1EES1O_IbLb0EEEEDaS1K_S1L_EUlS1K_E_NS1_11comp_targetILNS1_3genE4ELNS1_11target_archE910ELNS1_3gpuE8ELNS1_3repE0EEENS1_30default_config_static_selectorELNS0_4arch9wavefront6targetE0EEEvSY_.has_dyn_sized_stack, 0
	.set _ZN7rocprim17ROCPRIM_400000_NS6detail17trampoline_kernelINS0_13select_configILj256ELj13ELNS0_17block_load_methodE3ELS4_3ELS4_3ELNS0_20block_scan_algorithmE0ELj4294967295EEENS1_25partition_config_selectorILNS1_17partition_subalgoE3EjNS0_10empty_typeEbEEZZNS1_14partition_implILS8_3ELb0ES6_jNS0_17counting_iteratorIjlEEPS9_SE_NS0_5tupleIJPjSE_EEENSF_IJSE_SE_EEES9_SG_JZNS1_25segmented_radix_sort_implINS0_14default_configELb0EPKaPaPKlPlN2at6native12_GLOBAL__N_18offset_tEEE10hipError_tPvRmT1_PNSt15iterator_traitsISY_E10value_typeET2_T3_PNSZ_IS14_E10value_typeET4_jRbjT5_S1A_jjP12ihipStream_tbEUljE_EEESV_SW_SX_S14_S18_S1A_T6_T7_T9_mT8_S1C_bDpT10_ENKUlT_T0_E_clISt17integral_constantIbLb1EES1O_IbLb0EEEEDaS1K_S1L_EUlS1K_E_NS1_11comp_targetILNS1_3genE4ELNS1_11target_archE910ELNS1_3gpuE8ELNS1_3repE0EEENS1_30default_config_static_selectorELNS0_4arch9wavefront6targetE0EEEvSY_.has_recursion, 0
	.set _ZN7rocprim17ROCPRIM_400000_NS6detail17trampoline_kernelINS0_13select_configILj256ELj13ELNS0_17block_load_methodE3ELS4_3ELS4_3ELNS0_20block_scan_algorithmE0ELj4294967295EEENS1_25partition_config_selectorILNS1_17partition_subalgoE3EjNS0_10empty_typeEbEEZZNS1_14partition_implILS8_3ELb0ES6_jNS0_17counting_iteratorIjlEEPS9_SE_NS0_5tupleIJPjSE_EEENSF_IJSE_SE_EEES9_SG_JZNS1_25segmented_radix_sort_implINS0_14default_configELb0EPKaPaPKlPlN2at6native12_GLOBAL__N_18offset_tEEE10hipError_tPvRmT1_PNSt15iterator_traitsISY_E10value_typeET2_T3_PNSZ_IS14_E10value_typeET4_jRbjT5_S1A_jjP12ihipStream_tbEUljE_EEESV_SW_SX_S14_S18_S1A_T6_T7_T9_mT8_S1C_bDpT10_ENKUlT_T0_E_clISt17integral_constantIbLb1EES1O_IbLb0EEEEDaS1K_S1L_EUlS1K_E_NS1_11comp_targetILNS1_3genE4ELNS1_11target_archE910ELNS1_3gpuE8ELNS1_3repE0EEENS1_30default_config_static_selectorELNS0_4arch9wavefront6targetE0EEEvSY_.has_indirect_call, 0
	.section	.AMDGPU.csdata,"",@progbits
; Kernel info:
; codeLenInByte = 0
; TotalNumSgprs: 0
; NumVgprs: 0
; ScratchSize: 0
; MemoryBound: 0
; FloatMode: 240
; IeeeMode: 1
; LDSByteSize: 0 bytes/workgroup (compile time only)
; SGPRBlocks: 0
; VGPRBlocks: 0
; NumSGPRsForWavesPerEU: 1
; NumVGPRsForWavesPerEU: 1
; Occupancy: 16
; WaveLimiterHint : 0
; COMPUTE_PGM_RSRC2:SCRATCH_EN: 0
; COMPUTE_PGM_RSRC2:USER_SGPR: 6
; COMPUTE_PGM_RSRC2:TRAP_HANDLER: 0
; COMPUTE_PGM_RSRC2:TGID_X_EN: 1
; COMPUTE_PGM_RSRC2:TGID_Y_EN: 0
; COMPUTE_PGM_RSRC2:TGID_Z_EN: 0
; COMPUTE_PGM_RSRC2:TIDIG_COMP_CNT: 0
	.section	.text._ZN7rocprim17ROCPRIM_400000_NS6detail17trampoline_kernelINS0_13select_configILj256ELj13ELNS0_17block_load_methodE3ELS4_3ELS4_3ELNS0_20block_scan_algorithmE0ELj4294967295EEENS1_25partition_config_selectorILNS1_17partition_subalgoE3EjNS0_10empty_typeEbEEZZNS1_14partition_implILS8_3ELb0ES6_jNS0_17counting_iteratorIjlEEPS9_SE_NS0_5tupleIJPjSE_EEENSF_IJSE_SE_EEES9_SG_JZNS1_25segmented_radix_sort_implINS0_14default_configELb0EPKaPaPKlPlN2at6native12_GLOBAL__N_18offset_tEEE10hipError_tPvRmT1_PNSt15iterator_traitsISY_E10value_typeET2_T3_PNSZ_IS14_E10value_typeET4_jRbjT5_S1A_jjP12ihipStream_tbEUljE_EEESV_SW_SX_S14_S18_S1A_T6_T7_T9_mT8_S1C_bDpT10_ENKUlT_T0_E_clISt17integral_constantIbLb1EES1O_IbLb0EEEEDaS1K_S1L_EUlS1K_E_NS1_11comp_targetILNS1_3genE3ELNS1_11target_archE908ELNS1_3gpuE7ELNS1_3repE0EEENS1_30default_config_static_selectorELNS0_4arch9wavefront6targetE0EEEvSY_,"axG",@progbits,_ZN7rocprim17ROCPRIM_400000_NS6detail17trampoline_kernelINS0_13select_configILj256ELj13ELNS0_17block_load_methodE3ELS4_3ELS4_3ELNS0_20block_scan_algorithmE0ELj4294967295EEENS1_25partition_config_selectorILNS1_17partition_subalgoE3EjNS0_10empty_typeEbEEZZNS1_14partition_implILS8_3ELb0ES6_jNS0_17counting_iteratorIjlEEPS9_SE_NS0_5tupleIJPjSE_EEENSF_IJSE_SE_EEES9_SG_JZNS1_25segmented_radix_sort_implINS0_14default_configELb0EPKaPaPKlPlN2at6native12_GLOBAL__N_18offset_tEEE10hipError_tPvRmT1_PNSt15iterator_traitsISY_E10value_typeET2_T3_PNSZ_IS14_E10value_typeET4_jRbjT5_S1A_jjP12ihipStream_tbEUljE_EEESV_SW_SX_S14_S18_S1A_T6_T7_T9_mT8_S1C_bDpT10_ENKUlT_T0_E_clISt17integral_constantIbLb1EES1O_IbLb0EEEEDaS1K_S1L_EUlS1K_E_NS1_11comp_targetILNS1_3genE3ELNS1_11target_archE908ELNS1_3gpuE7ELNS1_3repE0EEENS1_30default_config_static_selectorELNS0_4arch9wavefront6targetE0EEEvSY_,comdat
	.globl	_ZN7rocprim17ROCPRIM_400000_NS6detail17trampoline_kernelINS0_13select_configILj256ELj13ELNS0_17block_load_methodE3ELS4_3ELS4_3ELNS0_20block_scan_algorithmE0ELj4294967295EEENS1_25partition_config_selectorILNS1_17partition_subalgoE3EjNS0_10empty_typeEbEEZZNS1_14partition_implILS8_3ELb0ES6_jNS0_17counting_iteratorIjlEEPS9_SE_NS0_5tupleIJPjSE_EEENSF_IJSE_SE_EEES9_SG_JZNS1_25segmented_radix_sort_implINS0_14default_configELb0EPKaPaPKlPlN2at6native12_GLOBAL__N_18offset_tEEE10hipError_tPvRmT1_PNSt15iterator_traitsISY_E10value_typeET2_T3_PNSZ_IS14_E10value_typeET4_jRbjT5_S1A_jjP12ihipStream_tbEUljE_EEESV_SW_SX_S14_S18_S1A_T6_T7_T9_mT8_S1C_bDpT10_ENKUlT_T0_E_clISt17integral_constantIbLb1EES1O_IbLb0EEEEDaS1K_S1L_EUlS1K_E_NS1_11comp_targetILNS1_3genE3ELNS1_11target_archE908ELNS1_3gpuE7ELNS1_3repE0EEENS1_30default_config_static_selectorELNS0_4arch9wavefront6targetE0EEEvSY_ ; -- Begin function _ZN7rocprim17ROCPRIM_400000_NS6detail17trampoline_kernelINS0_13select_configILj256ELj13ELNS0_17block_load_methodE3ELS4_3ELS4_3ELNS0_20block_scan_algorithmE0ELj4294967295EEENS1_25partition_config_selectorILNS1_17partition_subalgoE3EjNS0_10empty_typeEbEEZZNS1_14partition_implILS8_3ELb0ES6_jNS0_17counting_iteratorIjlEEPS9_SE_NS0_5tupleIJPjSE_EEENSF_IJSE_SE_EEES9_SG_JZNS1_25segmented_radix_sort_implINS0_14default_configELb0EPKaPaPKlPlN2at6native12_GLOBAL__N_18offset_tEEE10hipError_tPvRmT1_PNSt15iterator_traitsISY_E10value_typeET2_T3_PNSZ_IS14_E10value_typeET4_jRbjT5_S1A_jjP12ihipStream_tbEUljE_EEESV_SW_SX_S14_S18_S1A_T6_T7_T9_mT8_S1C_bDpT10_ENKUlT_T0_E_clISt17integral_constantIbLb1EES1O_IbLb0EEEEDaS1K_S1L_EUlS1K_E_NS1_11comp_targetILNS1_3genE3ELNS1_11target_archE908ELNS1_3gpuE7ELNS1_3repE0EEENS1_30default_config_static_selectorELNS0_4arch9wavefront6targetE0EEEvSY_
	.p2align	8
	.type	_ZN7rocprim17ROCPRIM_400000_NS6detail17trampoline_kernelINS0_13select_configILj256ELj13ELNS0_17block_load_methodE3ELS4_3ELS4_3ELNS0_20block_scan_algorithmE0ELj4294967295EEENS1_25partition_config_selectorILNS1_17partition_subalgoE3EjNS0_10empty_typeEbEEZZNS1_14partition_implILS8_3ELb0ES6_jNS0_17counting_iteratorIjlEEPS9_SE_NS0_5tupleIJPjSE_EEENSF_IJSE_SE_EEES9_SG_JZNS1_25segmented_radix_sort_implINS0_14default_configELb0EPKaPaPKlPlN2at6native12_GLOBAL__N_18offset_tEEE10hipError_tPvRmT1_PNSt15iterator_traitsISY_E10value_typeET2_T3_PNSZ_IS14_E10value_typeET4_jRbjT5_S1A_jjP12ihipStream_tbEUljE_EEESV_SW_SX_S14_S18_S1A_T6_T7_T9_mT8_S1C_bDpT10_ENKUlT_T0_E_clISt17integral_constantIbLb1EES1O_IbLb0EEEEDaS1K_S1L_EUlS1K_E_NS1_11comp_targetILNS1_3genE3ELNS1_11target_archE908ELNS1_3gpuE7ELNS1_3repE0EEENS1_30default_config_static_selectorELNS0_4arch9wavefront6targetE0EEEvSY_,@function
_ZN7rocprim17ROCPRIM_400000_NS6detail17trampoline_kernelINS0_13select_configILj256ELj13ELNS0_17block_load_methodE3ELS4_3ELS4_3ELNS0_20block_scan_algorithmE0ELj4294967295EEENS1_25partition_config_selectorILNS1_17partition_subalgoE3EjNS0_10empty_typeEbEEZZNS1_14partition_implILS8_3ELb0ES6_jNS0_17counting_iteratorIjlEEPS9_SE_NS0_5tupleIJPjSE_EEENSF_IJSE_SE_EEES9_SG_JZNS1_25segmented_radix_sort_implINS0_14default_configELb0EPKaPaPKlPlN2at6native12_GLOBAL__N_18offset_tEEE10hipError_tPvRmT1_PNSt15iterator_traitsISY_E10value_typeET2_T3_PNSZ_IS14_E10value_typeET4_jRbjT5_S1A_jjP12ihipStream_tbEUljE_EEESV_SW_SX_S14_S18_S1A_T6_T7_T9_mT8_S1C_bDpT10_ENKUlT_T0_E_clISt17integral_constantIbLb1EES1O_IbLb0EEEEDaS1K_S1L_EUlS1K_E_NS1_11comp_targetILNS1_3genE3ELNS1_11target_archE908ELNS1_3gpuE7ELNS1_3repE0EEENS1_30default_config_static_selectorELNS0_4arch9wavefront6targetE0EEEvSY_: ; @_ZN7rocprim17ROCPRIM_400000_NS6detail17trampoline_kernelINS0_13select_configILj256ELj13ELNS0_17block_load_methodE3ELS4_3ELS4_3ELNS0_20block_scan_algorithmE0ELj4294967295EEENS1_25partition_config_selectorILNS1_17partition_subalgoE3EjNS0_10empty_typeEbEEZZNS1_14partition_implILS8_3ELb0ES6_jNS0_17counting_iteratorIjlEEPS9_SE_NS0_5tupleIJPjSE_EEENSF_IJSE_SE_EEES9_SG_JZNS1_25segmented_radix_sort_implINS0_14default_configELb0EPKaPaPKlPlN2at6native12_GLOBAL__N_18offset_tEEE10hipError_tPvRmT1_PNSt15iterator_traitsISY_E10value_typeET2_T3_PNSZ_IS14_E10value_typeET4_jRbjT5_S1A_jjP12ihipStream_tbEUljE_EEESV_SW_SX_S14_S18_S1A_T6_T7_T9_mT8_S1C_bDpT10_ENKUlT_T0_E_clISt17integral_constantIbLb1EES1O_IbLb0EEEEDaS1K_S1L_EUlS1K_E_NS1_11comp_targetILNS1_3genE3ELNS1_11target_archE908ELNS1_3gpuE7ELNS1_3repE0EEENS1_30default_config_static_selectorELNS0_4arch9wavefront6targetE0EEEvSY_
; %bb.0:
	.section	.rodata,"a",@progbits
	.p2align	6, 0x0
	.amdhsa_kernel _ZN7rocprim17ROCPRIM_400000_NS6detail17trampoline_kernelINS0_13select_configILj256ELj13ELNS0_17block_load_methodE3ELS4_3ELS4_3ELNS0_20block_scan_algorithmE0ELj4294967295EEENS1_25partition_config_selectorILNS1_17partition_subalgoE3EjNS0_10empty_typeEbEEZZNS1_14partition_implILS8_3ELb0ES6_jNS0_17counting_iteratorIjlEEPS9_SE_NS0_5tupleIJPjSE_EEENSF_IJSE_SE_EEES9_SG_JZNS1_25segmented_radix_sort_implINS0_14default_configELb0EPKaPaPKlPlN2at6native12_GLOBAL__N_18offset_tEEE10hipError_tPvRmT1_PNSt15iterator_traitsISY_E10value_typeET2_T3_PNSZ_IS14_E10value_typeET4_jRbjT5_S1A_jjP12ihipStream_tbEUljE_EEESV_SW_SX_S14_S18_S1A_T6_T7_T9_mT8_S1C_bDpT10_ENKUlT_T0_E_clISt17integral_constantIbLb1EES1O_IbLb0EEEEDaS1K_S1L_EUlS1K_E_NS1_11comp_targetILNS1_3genE3ELNS1_11target_archE908ELNS1_3gpuE7ELNS1_3repE0EEENS1_30default_config_static_selectorELNS0_4arch9wavefront6targetE0EEEvSY_
		.amdhsa_group_segment_fixed_size 0
		.amdhsa_private_segment_fixed_size 0
		.amdhsa_kernarg_size 144
		.amdhsa_user_sgpr_count 6
		.amdhsa_user_sgpr_private_segment_buffer 1
		.amdhsa_user_sgpr_dispatch_ptr 0
		.amdhsa_user_sgpr_queue_ptr 0
		.amdhsa_user_sgpr_kernarg_segment_ptr 1
		.amdhsa_user_sgpr_dispatch_id 0
		.amdhsa_user_sgpr_flat_scratch_init 0
		.amdhsa_user_sgpr_private_segment_size 0
		.amdhsa_wavefront_size32 1
		.amdhsa_uses_dynamic_stack 0
		.amdhsa_system_sgpr_private_segment_wavefront_offset 0
		.amdhsa_system_sgpr_workgroup_id_x 1
		.amdhsa_system_sgpr_workgroup_id_y 0
		.amdhsa_system_sgpr_workgroup_id_z 0
		.amdhsa_system_sgpr_workgroup_info 0
		.amdhsa_system_vgpr_workitem_id 0
		.amdhsa_next_free_vgpr 1
		.amdhsa_next_free_sgpr 1
		.amdhsa_reserve_vcc 0
		.amdhsa_reserve_flat_scratch 0
		.amdhsa_float_round_mode_32 0
		.amdhsa_float_round_mode_16_64 0
		.amdhsa_float_denorm_mode_32 3
		.amdhsa_float_denorm_mode_16_64 3
		.amdhsa_dx10_clamp 1
		.amdhsa_ieee_mode 1
		.amdhsa_fp16_overflow 0
		.amdhsa_workgroup_processor_mode 1
		.amdhsa_memory_ordered 1
		.amdhsa_forward_progress 1
		.amdhsa_shared_vgpr_count 0
		.amdhsa_exception_fp_ieee_invalid_op 0
		.amdhsa_exception_fp_denorm_src 0
		.amdhsa_exception_fp_ieee_div_zero 0
		.amdhsa_exception_fp_ieee_overflow 0
		.amdhsa_exception_fp_ieee_underflow 0
		.amdhsa_exception_fp_ieee_inexact 0
		.amdhsa_exception_int_div_zero 0
	.end_amdhsa_kernel
	.section	.text._ZN7rocprim17ROCPRIM_400000_NS6detail17trampoline_kernelINS0_13select_configILj256ELj13ELNS0_17block_load_methodE3ELS4_3ELS4_3ELNS0_20block_scan_algorithmE0ELj4294967295EEENS1_25partition_config_selectorILNS1_17partition_subalgoE3EjNS0_10empty_typeEbEEZZNS1_14partition_implILS8_3ELb0ES6_jNS0_17counting_iteratorIjlEEPS9_SE_NS0_5tupleIJPjSE_EEENSF_IJSE_SE_EEES9_SG_JZNS1_25segmented_radix_sort_implINS0_14default_configELb0EPKaPaPKlPlN2at6native12_GLOBAL__N_18offset_tEEE10hipError_tPvRmT1_PNSt15iterator_traitsISY_E10value_typeET2_T3_PNSZ_IS14_E10value_typeET4_jRbjT5_S1A_jjP12ihipStream_tbEUljE_EEESV_SW_SX_S14_S18_S1A_T6_T7_T9_mT8_S1C_bDpT10_ENKUlT_T0_E_clISt17integral_constantIbLb1EES1O_IbLb0EEEEDaS1K_S1L_EUlS1K_E_NS1_11comp_targetILNS1_3genE3ELNS1_11target_archE908ELNS1_3gpuE7ELNS1_3repE0EEENS1_30default_config_static_selectorELNS0_4arch9wavefront6targetE0EEEvSY_,"axG",@progbits,_ZN7rocprim17ROCPRIM_400000_NS6detail17trampoline_kernelINS0_13select_configILj256ELj13ELNS0_17block_load_methodE3ELS4_3ELS4_3ELNS0_20block_scan_algorithmE0ELj4294967295EEENS1_25partition_config_selectorILNS1_17partition_subalgoE3EjNS0_10empty_typeEbEEZZNS1_14partition_implILS8_3ELb0ES6_jNS0_17counting_iteratorIjlEEPS9_SE_NS0_5tupleIJPjSE_EEENSF_IJSE_SE_EEES9_SG_JZNS1_25segmented_radix_sort_implINS0_14default_configELb0EPKaPaPKlPlN2at6native12_GLOBAL__N_18offset_tEEE10hipError_tPvRmT1_PNSt15iterator_traitsISY_E10value_typeET2_T3_PNSZ_IS14_E10value_typeET4_jRbjT5_S1A_jjP12ihipStream_tbEUljE_EEESV_SW_SX_S14_S18_S1A_T6_T7_T9_mT8_S1C_bDpT10_ENKUlT_T0_E_clISt17integral_constantIbLb1EES1O_IbLb0EEEEDaS1K_S1L_EUlS1K_E_NS1_11comp_targetILNS1_3genE3ELNS1_11target_archE908ELNS1_3gpuE7ELNS1_3repE0EEENS1_30default_config_static_selectorELNS0_4arch9wavefront6targetE0EEEvSY_,comdat
.Lfunc_end377:
	.size	_ZN7rocprim17ROCPRIM_400000_NS6detail17trampoline_kernelINS0_13select_configILj256ELj13ELNS0_17block_load_methodE3ELS4_3ELS4_3ELNS0_20block_scan_algorithmE0ELj4294967295EEENS1_25partition_config_selectorILNS1_17partition_subalgoE3EjNS0_10empty_typeEbEEZZNS1_14partition_implILS8_3ELb0ES6_jNS0_17counting_iteratorIjlEEPS9_SE_NS0_5tupleIJPjSE_EEENSF_IJSE_SE_EEES9_SG_JZNS1_25segmented_radix_sort_implINS0_14default_configELb0EPKaPaPKlPlN2at6native12_GLOBAL__N_18offset_tEEE10hipError_tPvRmT1_PNSt15iterator_traitsISY_E10value_typeET2_T3_PNSZ_IS14_E10value_typeET4_jRbjT5_S1A_jjP12ihipStream_tbEUljE_EEESV_SW_SX_S14_S18_S1A_T6_T7_T9_mT8_S1C_bDpT10_ENKUlT_T0_E_clISt17integral_constantIbLb1EES1O_IbLb0EEEEDaS1K_S1L_EUlS1K_E_NS1_11comp_targetILNS1_3genE3ELNS1_11target_archE908ELNS1_3gpuE7ELNS1_3repE0EEENS1_30default_config_static_selectorELNS0_4arch9wavefront6targetE0EEEvSY_, .Lfunc_end377-_ZN7rocprim17ROCPRIM_400000_NS6detail17trampoline_kernelINS0_13select_configILj256ELj13ELNS0_17block_load_methodE3ELS4_3ELS4_3ELNS0_20block_scan_algorithmE0ELj4294967295EEENS1_25partition_config_selectorILNS1_17partition_subalgoE3EjNS0_10empty_typeEbEEZZNS1_14partition_implILS8_3ELb0ES6_jNS0_17counting_iteratorIjlEEPS9_SE_NS0_5tupleIJPjSE_EEENSF_IJSE_SE_EEES9_SG_JZNS1_25segmented_radix_sort_implINS0_14default_configELb0EPKaPaPKlPlN2at6native12_GLOBAL__N_18offset_tEEE10hipError_tPvRmT1_PNSt15iterator_traitsISY_E10value_typeET2_T3_PNSZ_IS14_E10value_typeET4_jRbjT5_S1A_jjP12ihipStream_tbEUljE_EEESV_SW_SX_S14_S18_S1A_T6_T7_T9_mT8_S1C_bDpT10_ENKUlT_T0_E_clISt17integral_constantIbLb1EES1O_IbLb0EEEEDaS1K_S1L_EUlS1K_E_NS1_11comp_targetILNS1_3genE3ELNS1_11target_archE908ELNS1_3gpuE7ELNS1_3repE0EEENS1_30default_config_static_selectorELNS0_4arch9wavefront6targetE0EEEvSY_
                                        ; -- End function
	.set _ZN7rocprim17ROCPRIM_400000_NS6detail17trampoline_kernelINS0_13select_configILj256ELj13ELNS0_17block_load_methodE3ELS4_3ELS4_3ELNS0_20block_scan_algorithmE0ELj4294967295EEENS1_25partition_config_selectorILNS1_17partition_subalgoE3EjNS0_10empty_typeEbEEZZNS1_14partition_implILS8_3ELb0ES6_jNS0_17counting_iteratorIjlEEPS9_SE_NS0_5tupleIJPjSE_EEENSF_IJSE_SE_EEES9_SG_JZNS1_25segmented_radix_sort_implINS0_14default_configELb0EPKaPaPKlPlN2at6native12_GLOBAL__N_18offset_tEEE10hipError_tPvRmT1_PNSt15iterator_traitsISY_E10value_typeET2_T3_PNSZ_IS14_E10value_typeET4_jRbjT5_S1A_jjP12ihipStream_tbEUljE_EEESV_SW_SX_S14_S18_S1A_T6_T7_T9_mT8_S1C_bDpT10_ENKUlT_T0_E_clISt17integral_constantIbLb1EES1O_IbLb0EEEEDaS1K_S1L_EUlS1K_E_NS1_11comp_targetILNS1_3genE3ELNS1_11target_archE908ELNS1_3gpuE7ELNS1_3repE0EEENS1_30default_config_static_selectorELNS0_4arch9wavefront6targetE0EEEvSY_.num_vgpr, 0
	.set _ZN7rocprim17ROCPRIM_400000_NS6detail17trampoline_kernelINS0_13select_configILj256ELj13ELNS0_17block_load_methodE3ELS4_3ELS4_3ELNS0_20block_scan_algorithmE0ELj4294967295EEENS1_25partition_config_selectorILNS1_17partition_subalgoE3EjNS0_10empty_typeEbEEZZNS1_14partition_implILS8_3ELb0ES6_jNS0_17counting_iteratorIjlEEPS9_SE_NS0_5tupleIJPjSE_EEENSF_IJSE_SE_EEES9_SG_JZNS1_25segmented_radix_sort_implINS0_14default_configELb0EPKaPaPKlPlN2at6native12_GLOBAL__N_18offset_tEEE10hipError_tPvRmT1_PNSt15iterator_traitsISY_E10value_typeET2_T3_PNSZ_IS14_E10value_typeET4_jRbjT5_S1A_jjP12ihipStream_tbEUljE_EEESV_SW_SX_S14_S18_S1A_T6_T7_T9_mT8_S1C_bDpT10_ENKUlT_T0_E_clISt17integral_constantIbLb1EES1O_IbLb0EEEEDaS1K_S1L_EUlS1K_E_NS1_11comp_targetILNS1_3genE3ELNS1_11target_archE908ELNS1_3gpuE7ELNS1_3repE0EEENS1_30default_config_static_selectorELNS0_4arch9wavefront6targetE0EEEvSY_.num_agpr, 0
	.set _ZN7rocprim17ROCPRIM_400000_NS6detail17trampoline_kernelINS0_13select_configILj256ELj13ELNS0_17block_load_methodE3ELS4_3ELS4_3ELNS0_20block_scan_algorithmE0ELj4294967295EEENS1_25partition_config_selectorILNS1_17partition_subalgoE3EjNS0_10empty_typeEbEEZZNS1_14partition_implILS8_3ELb0ES6_jNS0_17counting_iteratorIjlEEPS9_SE_NS0_5tupleIJPjSE_EEENSF_IJSE_SE_EEES9_SG_JZNS1_25segmented_radix_sort_implINS0_14default_configELb0EPKaPaPKlPlN2at6native12_GLOBAL__N_18offset_tEEE10hipError_tPvRmT1_PNSt15iterator_traitsISY_E10value_typeET2_T3_PNSZ_IS14_E10value_typeET4_jRbjT5_S1A_jjP12ihipStream_tbEUljE_EEESV_SW_SX_S14_S18_S1A_T6_T7_T9_mT8_S1C_bDpT10_ENKUlT_T0_E_clISt17integral_constantIbLb1EES1O_IbLb0EEEEDaS1K_S1L_EUlS1K_E_NS1_11comp_targetILNS1_3genE3ELNS1_11target_archE908ELNS1_3gpuE7ELNS1_3repE0EEENS1_30default_config_static_selectorELNS0_4arch9wavefront6targetE0EEEvSY_.numbered_sgpr, 0
	.set _ZN7rocprim17ROCPRIM_400000_NS6detail17trampoline_kernelINS0_13select_configILj256ELj13ELNS0_17block_load_methodE3ELS4_3ELS4_3ELNS0_20block_scan_algorithmE0ELj4294967295EEENS1_25partition_config_selectorILNS1_17partition_subalgoE3EjNS0_10empty_typeEbEEZZNS1_14partition_implILS8_3ELb0ES6_jNS0_17counting_iteratorIjlEEPS9_SE_NS0_5tupleIJPjSE_EEENSF_IJSE_SE_EEES9_SG_JZNS1_25segmented_radix_sort_implINS0_14default_configELb0EPKaPaPKlPlN2at6native12_GLOBAL__N_18offset_tEEE10hipError_tPvRmT1_PNSt15iterator_traitsISY_E10value_typeET2_T3_PNSZ_IS14_E10value_typeET4_jRbjT5_S1A_jjP12ihipStream_tbEUljE_EEESV_SW_SX_S14_S18_S1A_T6_T7_T9_mT8_S1C_bDpT10_ENKUlT_T0_E_clISt17integral_constantIbLb1EES1O_IbLb0EEEEDaS1K_S1L_EUlS1K_E_NS1_11comp_targetILNS1_3genE3ELNS1_11target_archE908ELNS1_3gpuE7ELNS1_3repE0EEENS1_30default_config_static_selectorELNS0_4arch9wavefront6targetE0EEEvSY_.num_named_barrier, 0
	.set _ZN7rocprim17ROCPRIM_400000_NS6detail17trampoline_kernelINS0_13select_configILj256ELj13ELNS0_17block_load_methodE3ELS4_3ELS4_3ELNS0_20block_scan_algorithmE0ELj4294967295EEENS1_25partition_config_selectorILNS1_17partition_subalgoE3EjNS0_10empty_typeEbEEZZNS1_14partition_implILS8_3ELb0ES6_jNS0_17counting_iteratorIjlEEPS9_SE_NS0_5tupleIJPjSE_EEENSF_IJSE_SE_EEES9_SG_JZNS1_25segmented_radix_sort_implINS0_14default_configELb0EPKaPaPKlPlN2at6native12_GLOBAL__N_18offset_tEEE10hipError_tPvRmT1_PNSt15iterator_traitsISY_E10value_typeET2_T3_PNSZ_IS14_E10value_typeET4_jRbjT5_S1A_jjP12ihipStream_tbEUljE_EEESV_SW_SX_S14_S18_S1A_T6_T7_T9_mT8_S1C_bDpT10_ENKUlT_T0_E_clISt17integral_constantIbLb1EES1O_IbLb0EEEEDaS1K_S1L_EUlS1K_E_NS1_11comp_targetILNS1_3genE3ELNS1_11target_archE908ELNS1_3gpuE7ELNS1_3repE0EEENS1_30default_config_static_selectorELNS0_4arch9wavefront6targetE0EEEvSY_.private_seg_size, 0
	.set _ZN7rocprim17ROCPRIM_400000_NS6detail17trampoline_kernelINS0_13select_configILj256ELj13ELNS0_17block_load_methodE3ELS4_3ELS4_3ELNS0_20block_scan_algorithmE0ELj4294967295EEENS1_25partition_config_selectorILNS1_17partition_subalgoE3EjNS0_10empty_typeEbEEZZNS1_14partition_implILS8_3ELb0ES6_jNS0_17counting_iteratorIjlEEPS9_SE_NS0_5tupleIJPjSE_EEENSF_IJSE_SE_EEES9_SG_JZNS1_25segmented_radix_sort_implINS0_14default_configELb0EPKaPaPKlPlN2at6native12_GLOBAL__N_18offset_tEEE10hipError_tPvRmT1_PNSt15iterator_traitsISY_E10value_typeET2_T3_PNSZ_IS14_E10value_typeET4_jRbjT5_S1A_jjP12ihipStream_tbEUljE_EEESV_SW_SX_S14_S18_S1A_T6_T7_T9_mT8_S1C_bDpT10_ENKUlT_T0_E_clISt17integral_constantIbLb1EES1O_IbLb0EEEEDaS1K_S1L_EUlS1K_E_NS1_11comp_targetILNS1_3genE3ELNS1_11target_archE908ELNS1_3gpuE7ELNS1_3repE0EEENS1_30default_config_static_selectorELNS0_4arch9wavefront6targetE0EEEvSY_.uses_vcc, 0
	.set _ZN7rocprim17ROCPRIM_400000_NS6detail17trampoline_kernelINS0_13select_configILj256ELj13ELNS0_17block_load_methodE3ELS4_3ELS4_3ELNS0_20block_scan_algorithmE0ELj4294967295EEENS1_25partition_config_selectorILNS1_17partition_subalgoE3EjNS0_10empty_typeEbEEZZNS1_14partition_implILS8_3ELb0ES6_jNS0_17counting_iteratorIjlEEPS9_SE_NS0_5tupleIJPjSE_EEENSF_IJSE_SE_EEES9_SG_JZNS1_25segmented_radix_sort_implINS0_14default_configELb0EPKaPaPKlPlN2at6native12_GLOBAL__N_18offset_tEEE10hipError_tPvRmT1_PNSt15iterator_traitsISY_E10value_typeET2_T3_PNSZ_IS14_E10value_typeET4_jRbjT5_S1A_jjP12ihipStream_tbEUljE_EEESV_SW_SX_S14_S18_S1A_T6_T7_T9_mT8_S1C_bDpT10_ENKUlT_T0_E_clISt17integral_constantIbLb1EES1O_IbLb0EEEEDaS1K_S1L_EUlS1K_E_NS1_11comp_targetILNS1_3genE3ELNS1_11target_archE908ELNS1_3gpuE7ELNS1_3repE0EEENS1_30default_config_static_selectorELNS0_4arch9wavefront6targetE0EEEvSY_.uses_flat_scratch, 0
	.set _ZN7rocprim17ROCPRIM_400000_NS6detail17trampoline_kernelINS0_13select_configILj256ELj13ELNS0_17block_load_methodE3ELS4_3ELS4_3ELNS0_20block_scan_algorithmE0ELj4294967295EEENS1_25partition_config_selectorILNS1_17partition_subalgoE3EjNS0_10empty_typeEbEEZZNS1_14partition_implILS8_3ELb0ES6_jNS0_17counting_iteratorIjlEEPS9_SE_NS0_5tupleIJPjSE_EEENSF_IJSE_SE_EEES9_SG_JZNS1_25segmented_radix_sort_implINS0_14default_configELb0EPKaPaPKlPlN2at6native12_GLOBAL__N_18offset_tEEE10hipError_tPvRmT1_PNSt15iterator_traitsISY_E10value_typeET2_T3_PNSZ_IS14_E10value_typeET4_jRbjT5_S1A_jjP12ihipStream_tbEUljE_EEESV_SW_SX_S14_S18_S1A_T6_T7_T9_mT8_S1C_bDpT10_ENKUlT_T0_E_clISt17integral_constantIbLb1EES1O_IbLb0EEEEDaS1K_S1L_EUlS1K_E_NS1_11comp_targetILNS1_3genE3ELNS1_11target_archE908ELNS1_3gpuE7ELNS1_3repE0EEENS1_30default_config_static_selectorELNS0_4arch9wavefront6targetE0EEEvSY_.has_dyn_sized_stack, 0
	.set _ZN7rocprim17ROCPRIM_400000_NS6detail17trampoline_kernelINS0_13select_configILj256ELj13ELNS0_17block_load_methodE3ELS4_3ELS4_3ELNS0_20block_scan_algorithmE0ELj4294967295EEENS1_25partition_config_selectorILNS1_17partition_subalgoE3EjNS0_10empty_typeEbEEZZNS1_14partition_implILS8_3ELb0ES6_jNS0_17counting_iteratorIjlEEPS9_SE_NS0_5tupleIJPjSE_EEENSF_IJSE_SE_EEES9_SG_JZNS1_25segmented_radix_sort_implINS0_14default_configELb0EPKaPaPKlPlN2at6native12_GLOBAL__N_18offset_tEEE10hipError_tPvRmT1_PNSt15iterator_traitsISY_E10value_typeET2_T3_PNSZ_IS14_E10value_typeET4_jRbjT5_S1A_jjP12ihipStream_tbEUljE_EEESV_SW_SX_S14_S18_S1A_T6_T7_T9_mT8_S1C_bDpT10_ENKUlT_T0_E_clISt17integral_constantIbLb1EES1O_IbLb0EEEEDaS1K_S1L_EUlS1K_E_NS1_11comp_targetILNS1_3genE3ELNS1_11target_archE908ELNS1_3gpuE7ELNS1_3repE0EEENS1_30default_config_static_selectorELNS0_4arch9wavefront6targetE0EEEvSY_.has_recursion, 0
	.set _ZN7rocprim17ROCPRIM_400000_NS6detail17trampoline_kernelINS0_13select_configILj256ELj13ELNS0_17block_load_methodE3ELS4_3ELS4_3ELNS0_20block_scan_algorithmE0ELj4294967295EEENS1_25partition_config_selectorILNS1_17partition_subalgoE3EjNS0_10empty_typeEbEEZZNS1_14partition_implILS8_3ELb0ES6_jNS0_17counting_iteratorIjlEEPS9_SE_NS0_5tupleIJPjSE_EEENSF_IJSE_SE_EEES9_SG_JZNS1_25segmented_radix_sort_implINS0_14default_configELb0EPKaPaPKlPlN2at6native12_GLOBAL__N_18offset_tEEE10hipError_tPvRmT1_PNSt15iterator_traitsISY_E10value_typeET2_T3_PNSZ_IS14_E10value_typeET4_jRbjT5_S1A_jjP12ihipStream_tbEUljE_EEESV_SW_SX_S14_S18_S1A_T6_T7_T9_mT8_S1C_bDpT10_ENKUlT_T0_E_clISt17integral_constantIbLb1EES1O_IbLb0EEEEDaS1K_S1L_EUlS1K_E_NS1_11comp_targetILNS1_3genE3ELNS1_11target_archE908ELNS1_3gpuE7ELNS1_3repE0EEENS1_30default_config_static_selectorELNS0_4arch9wavefront6targetE0EEEvSY_.has_indirect_call, 0
	.section	.AMDGPU.csdata,"",@progbits
; Kernel info:
; codeLenInByte = 0
; TotalNumSgprs: 0
; NumVgprs: 0
; ScratchSize: 0
; MemoryBound: 0
; FloatMode: 240
; IeeeMode: 1
; LDSByteSize: 0 bytes/workgroup (compile time only)
; SGPRBlocks: 0
; VGPRBlocks: 0
; NumSGPRsForWavesPerEU: 1
; NumVGPRsForWavesPerEU: 1
; Occupancy: 16
; WaveLimiterHint : 0
; COMPUTE_PGM_RSRC2:SCRATCH_EN: 0
; COMPUTE_PGM_RSRC2:USER_SGPR: 6
; COMPUTE_PGM_RSRC2:TRAP_HANDLER: 0
; COMPUTE_PGM_RSRC2:TGID_X_EN: 1
; COMPUTE_PGM_RSRC2:TGID_Y_EN: 0
; COMPUTE_PGM_RSRC2:TGID_Z_EN: 0
; COMPUTE_PGM_RSRC2:TIDIG_COMP_CNT: 0
	.section	.text._ZN7rocprim17ROCPRIM_400000_NS6detail17trampoline_kernelINS0_13select_configILj256ELj13ELNS0_17block_load_methodE3ELS4_3ELS4_3ELNS0_20block_scan_algorithmE0ELj4294967295EEENS1_25partition_config_selectorILNS1_17partition_subalgoE3EjNS0_10empty_typeEbEEZZNS1_14partition_implILS8_3ELb0ES6_jNS0_17counting_iteratorIjlEEPS9_SE_NS0_5tupleIJPjSE_EEENSF_IJSE_SE_EEES9_SG_JZNS1_25segmented_radix_sort_implINS0_14default_configELb0EPKaPaPKlPlN2at6native12_GLOBAL__N_18offset_tEEE10hipError_tPvRmT1_PNSt15iterator_traitsISY_E10value_typeET2_T3_PNSZ_IS14_E10value_typeET4_jRbjT5_S1A_jjP12ihipStream_tbEUljE_EEESV_SW_SX_S14_S18_S1A_T6_T7_T9_mT8_S1C_bDpT10_ENKUlT_T0_E_clISt17integral_constantIbLb1EES1O_IbLb0EEEEDaS1K_S1L_EUlS1K_E_NS1_11comp_targetILNS1_3genE2ELNS1_11target_archE906ELNS1_3gpuE6ELNS1_3repE0EEENS1_30default_config_static_selectorELNS0_4arch9wavefront6targetE0EEEvSY_,"axG",@progbits,_ZN7rocprim17ROCPRIM_400000_NS6detail17trampoline_kernelINS0_13select_configILj256ELj13ELNS0_17block_load_methodE3ELS4_3ELS4_3ELNS0_20block_scan_algorithmE0ELj4294967295EEENS1_25partition_config_selectorILNS1_17partition_subalgoE3EjNS0_10empty_typeEbEEZZNS1_14partition_implILS8_3ELb0ES6_jNS0_17counting_iteratorIjlEEPS9_SE_NS0_5tupleIJPjSE_EEENSF_IJSE_SE_EEES9_SG_JZNS1_25segmented_radix_sort_implINS0_14default_configELb0EPKaPaPKlPlN2at6native12_GLOBAL__N_18offset_tEEE10hipError_tPvRmT1_PNSt15iterator_traitsISY_E10value_typeET2_T3_PNSZ_IS14_E10value_typeET4_jRbjT5_S1A_jjP12ihipStream_tbEUljE_EEESV_SW_SX_S14_S18_S1A_T6_T7_T9_mT8_S1C_bDpT10_ENKUlT_T0_E_clISt17integral_constantIbLb1EES1O_IbLb0EEEEDaS1K_S1L_EUlS1K_E_NS1_11comp_targetILNS1_3genE2ELNS1_11target_archE906ELNS1_3gpuE6ELNS1_3repE0EEENS1_30default_config_static_selectorELNS0_4arch9wavefront6targetE0EEEvSY_,comdat
	.globl	_ZN7rocprim17ROCPRIM_400000_NS6detail17trampoline_kernelINS0_13select_configILj256ELj13ELNS0_17block_load_methodE3ELS4_3ELS4_3ELNS0_20block_scan_algorithmE0ELj4294967295EEENS1_25partition_config_selectorILNS1_17partition_subalgoE3EjNS0_10empty_typeEbEEZZNS1_14partition_implILS8_3ELb0ES6_jNS0_17counting_iteratorIjlEEPS9_SE_NS0_5tupleIJPjSE_EEENSF_IJSE_SE_EEES9_SG_JZNS1_25segmented_radix_sort_implINS0_14default_configELb0EPKaPaPKlPlN2at6native12_GLOBAL__N_18offset_tEEE10hipError_tPvRmT1_PNSt15iterator_traitsISY_E10value_typeET2_T3_PNSZ_IS14_E10value_typeET4_jRbjT5_S1A_jjP12ihipStream_tbEUljE_EEESV_SW_SX_S14_S18_S1A_T6_T7_T9_mT8_S1C_bDpT10_ENKUlT_T0_E_clISt17integral_constantIbLb1EES1O_IbLb0EEEEDaS1K_S1L_EUlS1K_E_NS1_11comp_targetILNS1_3genE2ELNS1_11target_archE906ELNS1_3gpuE6ELNS1_3repE0EEENS1_30default_config_static_selectorELNS0_4arch9wavefront6targetE0EEEvSY_ ; -- Begin function _ZN7rocprim17ROCPRIM_400000_NS6detail17trampoline_kernelINS0_13select_configILj256ELj13ELNS0_17block_load_methodE3ELS4_3ELS4_3ELNS0_20block_scan_algorithmE0ELj4294967295EEENS1_25partition_config_selectorILNS1_17partition_subalgoE3EjNS0_10empty_typeEbEEZZNS1_14partition_implILS8_3ELb0ES6_jNS0_17counting_iteratorIjlEEPS9_SE_NS0_5tupleIJPjSE_EEENSF_IJSE_SE_EEES9_SG_JZNS1_25segmented_radix_sort_implINS0_14default_configELb0EPKaPaPKlPlN2at6native12_GLOBAL__N_18offset_tEEE10hipError_tPvRmT1_PNSt15iterator_traitsISY_E10value_typeET2_T3_PNSZ_IS14_E10value_typeET4_jRbjT5_S1A_jjP12ihipStream_tbEUljE_EEESV_SW_SX_S14_S18_S1A_T6_T7_T9_mT8_S1C_bDpT10_ENKUlT_T0_E_clISt17integral_constantIbLb1EES1O_IbLb0EEEEDaS1K_S1L_EUlS1K_E_NS1_11comp_targetILNS1_3genE2ELNS1_11target_archE906ELNS1_3gpuE6ELNS1_3repE0EEENS1_30default_config_static_selectorELNS0_4arch9wavefront6targetE0EEEvSY_
	.p2align	8
	.type	_ZN7rocprim17ROCPRIM_400000_NS6detail17trampoline_kernelINS0_13select_configILj256ELj13ELNS0_17block_load_methodE3ELS4_3ELS4_3ELNS0_20block_scan_algorithmE0ELj4294967295EEENS1_25partition_config_selectorILNS1_17partition_subalgoE3EjNS0_10empty_typeEbEEZZNS1_14partition_implILS8_3ELb0ES6_jNS0_17counting_iteratorIjlEEPS9_SE_NS0_5tupleIJPjSE_EEENSF_IJSE_SE_EEES9_SG_JZNS1_25segmented_radix_sort_implINS0_14default_configELb0EPKaPaPKlPlN2at6native12_GLOBAL__N_18offset_tEEE10hipError_tPvRmT1_PNSt15iterator_traitsISY_E10value_typeET2_T3_PNSZ_IS14_E10value_typeET4_jRbjT5_S1A_jjP12ihipStream_tbEUljE_EEESV_SW_SX_S14_S18_S1A_T6_T7_T9_mT8_S1C_bDpT10_ENKUlT_T0_E_clISt17integral_constantIbLb1EES1O_IbLb0EEEEDaS1K_S1L_EUlS1K_E_NS1_11comp_targetILNS1_3genE2ELNS1_11target_archE906ELNS1_3gpuE6ELNS1_3repE0EEENS1_30default_config_static_selectorELNS0_4arch9wavefront6targetE0EEEvSY_,@function
_ZN7rocprim17ROCPRIM_400000_NS6detail17trampoline_kernelINS0_13select_configILj256ELj13ELNS0_17block_load_methodE3ELS4_3ELS4_3ELNS0_20block_scan_algorithmE0ELj4294967295EEENS1_25partition_config_selectorILNS1_17partition_subalgoE3EjNS0_10empty_typeEbEEZZNS1_14partition_implILS8_3ELb0ES6_jNS0_17counting_iteratorIjlEEPS9_SE_NS0_5tupleIJPjSE_EEENSF_IJSE_SE_EEES9_SG_JZNS1_25segmented_radix_sort_implINS0_14default_configELb0EPKaPaPKlPlN2at6native12_GLOBAL__N_18offset_tEEE10hipError_tPvRmT1_PNSt15iterator_traitsISY_E10value_typeET2_T3_PNSZ_IS14_E10value_typeET4_jRbjT5_S1A_jjP12ihipStream_tbEUljE_EEESV_SW_SX_S14_S18_S1A_T6_T7_T9_mT8_S1C_bDpT10_ENKUlT_T0_E_clISt17integral_constantIbLb1EES1O_IbLb0EEEEDaS1K_S1L_EUlS1K_E_NS1_11comp_targetILNS1_3genE2ELNS1_11target_archE906ELNS1_3gpuE6ELNS1_3repE0EEENS1_30default_config_static_selectorELNS0_4arch9wavefront6targetE0EEEvSY_: ; @_ZN7rocprim17ROCPRIM_400000_NS6detail17trampoline_kernelINS0_13select_configILj256ELj13ELNS0_17block_load_methodE3ELS4_3ELS4_3ELNS0_20block_scan_algorithmE0ELj4294967295EEENS1_25partition_config_selectorILNS1_17partition_subalgoE3EjNS0_10empty_typeEbEEZZNS1_14partition_implILS8_3ELb0ES6_jNS0_17counting_iteratorIjlEEPS9_SE_NS0_5tupleIJPjSE_EEENSF_IJSE_SE_EEES9_SG_JZNS1_25segmented_radix_sort_implINS0_14default_configELb0EPKaPaPKlPlN2at6native12_GLOBAL__N_18offset_tEEE10hipError_tPvRmT1_PNSt15iterator_traitsISY_E10value_typeET2_T3_PNSZ_IS14_E10value_typeET4_jRbjT5_S1A_jjP12ihipStream_tbEUljE_EEESV_SW_SX_S14_S18_S1A_T6_T7_T9_mT8_S1C_bDpT10_ENKUlT_T0_E_clISt17integral_constantIbLb1EES1O_IbLb0EEEEDaS1K_S1L_EUlS1K_E_NS1_11comp_targetILNS1_3genE2ELNS1_11target_archE906ELNS1_3gpuE6ELNS1_3repE0EEENS1_30default_config_static_selectorELNS0_4arch9wavefront6targetE0EEEvSY_
; %bb.0:
	.section	.rodata,"a",@progbits
	.p2align	6, 0x0
	.amdhsa_kernel _ZN7rocprim17ROCPRIM_400000_NS6detail17trampoline_kernelINS0_13select_configILj256ELj13ELNS0_17block_load_methodE3ELS4_3ELS4_3ELNS0_20block_scan_algorithmE0ELj4294967295EEENS1_25partition_config_selectorILNS1_17partition_subalgoE3EjNS0_10empty_typeEbEEZZNS1_14partition_implILS8_3ELb0ES6_jNS0_17counting_iteratorIjlEEPS9_SE_NS0_5tupleIJPjSE_EEENSF_IJSE_SE_EEES9_SG_JZNS1_25segmented_radix_sort_implINS0_14default_configELb0EPKaPaPKlPlN2at6native12_GLOBAL__N_18offset_tEEE10hipError_tPvRmT1_PNSt15iterator_traitsISY_E10value_typeET2_T3_PNSZ_IS14_E10value_typeET4_jRbjT5_S1A_jjP12ihipStream_tbEUljE_EEESV_SW_SX_S14_S18_S1A_T6_T7_T9_mT8_S1C_bDpT10_ENKUlT_T0_E_clISt17integral_constantIbLb1EES1O_IbLb0EEEEDaS1K_S1L_EUlS1K_E_NS1_11comp_targetILNS1_3genE2ELNS1_11target_archE906ELNS1_3gpuE6ELNS1_3repE0EEENS1_30default_config_static_selectorELNS0_4arch9wavefront6targetE0EEEvSY_
		.amdhsa_group_segment_fixed_size 0
		.amdhsa_private_segment_fixed_size 0
		.amdhsa_kernarg_size 144
		.amdhsa_user_sgpr_count 6
		.amdhsa_user_sgpr_private_segment_buffer 1
		.amdhsa_user_sgpr_dispatch_ptr 0
		.amdhsa_user_sgpr_queue_ptr 0
		.amdhsa_user_sgpr_kernarg_segment_ptr 1
		.amdhsa_user_sgpr_dispatch_id 0
		.amdhsa_user_sgpr_flat_scratch_init 0
		.amdhsa_user_sgpr_private_segment_size 0
		.amdhsa_wavefront_size32 1
		.amdhsa_uses_dynamic_stack 0
		.amdhsa_system_sgpr_private_segment_wavefront_offset 0
		.amdhsa_system_sgpr_workgroup_id_x 1
		.amdhsa_system_sgpr_workgroup_id_y 0
		.amdhsa_system_sgpr_workgroup_id_z 0
		.amdhsa_system_sgpr_workgroup_info 0
		.amdhsa_system_vgpr_workitem_id 0
		.amdhsa_next_free_vgpr 1
		.amdhsa_next_free_sgpr 1
		.amdhsa_reserve_vcc 0
		.amdhsa_reserve_flat_scratch 0
		.amdhsa_float_round_mode_32 0
		.amdhsa_float_round_mode_16_64 0
		.amdhsa_float_denorm_mode_32 3
		.amdhsa_float_denorm_mode_16_64 3
		.amdhsa_dx10_clamp 1
		.amdhsa_ieee_mode 1
		.amdhsa_fp16_overflow 0
		.amdhsa_workgroup_processor_mode 1
		.amdhsa_memory_ordered 1
		.amdhsa_forward_progress 1
		.amdhsa_shared_vgpr_count 0
		.amdhsa_exception_fp_ieee_invalid_op 0
		.amdhsa_exception_fp_denorm_src 0
		.amdhsa_exception_fp_ieee_div_zero 0
		.amdhsa_exception_fp_ieee_overflow 0
		.amdhsa_exception_fp_ieee_underflow 0
		.amdhsa_exception_fp_ieee_inexact 0
		.amdhsa_exception_int_div_zero 0
	.end_amdhsa_kernel
	.section	.text._ZN7rocprim17ROCPRIM_400000_NS6detail17trampoline_kernelINS0_13select_configILj256ELj13ELNS0_17block_load_methodE3ELS4_3ELS4_3ELNS0_20block_scan_algorithmE0ELj4294967295EEENS1_25partition_config_selectorILNS1_17partition_subalgoE3EjNS0_10empty_typeEbEEZZNS1_14partition_implILS8_3ELb0ES6_jNS0_17counting_iteratorIjlEEPS9_SE_NS0_5tupleIJPjSE_EEENSF_IJSE_SE_EEES9_SG_JZNS1_25segmented_radix_sort_implINS0_14default_configELb0EPKaPaPKlPlN2at6native12_GLOBAL__N_18offset_tEEE10hipError_tPvRmT1_PNSt15iterator_traitsISY_E10value_typeET2_T3_PNSZ_IS14_E10value_typeET4_jRbjT5_S1A_jjP12ihipStream_tbEUljE_EEESV_SW_SX_S14_S18_S1A_T6_T7_T9_mT8_S1C_bDpT10_ENKUlT_T0_E_clISt17integral_constantIbLb1EES1O_IbLb0EEEEDaS1K_S1L_EUlS1K_E_NS1_11comp_targetILNS1_3genE2ELNS1_11target_archE906ELNS1_3gpuE6ELNS1_3repE0EEENS1_30default_config_static_selectorELNS0_4arch9wavefront6targetE0EEEvSY_,"axG",@progbits,_ZN7rocprim17ROCPRIM_400000_NS6detail17trampoline_kernelINS0_13select_configILj256ELj13ELNS0_17block_load_methodE3ELS4_3ELS4_3ELNS0_20block_scan_algorithmE0ELj4294967295EEENS1_25partition_config_selectorILNS1_17partition_subalgoE3EjNS0_10empty_typeEbEEZZNS1_14partition_implILS8_3ELb0ES6_jNS0_17counting_iteratorIjlEEPS9_SE_NS0_5tupleIJPjSE_EEENSF_IJSE_SE_EEES9_SG_JZNS1_25segmented_radix_sort_implINS0_14default_configELb0EPKaPaPKlPlN2at6native12_GLOBAL__N_18offset_tEEE10hipError_tPvRmT1_PNSt15iterator_traitsISY_E10value_typeET2_T3_PNSZ_IS14_E10value_typeET4_jRbjT5_S1A_jjP12ihipStream_tbEUljE_EEESV_SW_SX_S14_S18_S1A_T6_T7_T9_mT8_S1C_bDpT10_ENKUlT_T0_E_clISt17integral_constantIbLb1EES1O_IbLb0EEEEDaS1K_S1L_EUlS1K_E_NS1_11comp_targetILNS1_3genE2ELNS1_11target_archE906ELNS1_3gpuE6ELNS1_3repE0EEENS1_30default_config_static_selectorELNS0_4arch9wavefront6targetE0EEEvSY_,comdat
.Lfunc_end378:
	.size	_ZN7rocprim17ROCPRIM_400000_NS6detail17trampoline_kernelINS0_13select_configILj256ELj13ELNS0_17block_load_methodE3ELS4_3ELS4_3ELNS0_20block_scan_algorithmE0ELj4294967295EEENS1_25partition_config_selectorILNS1_17partition_subalgoE3EjNS0_10empty_typeEbEEZZNS1_14partition_implILS8_3ELb0ES6_jNS0_17counting_iteratorIjlEEPS9_SE_NS0_5tupleIJPjSE_EEENSF_IJSE_SE_EEES9_SG_JZNS1_25segmented_radix_sort_implINS0_14default_configELb0EPKaPaPKlPlN2at6native12_GLOBAL__N_18offset_tEEE10hipError_tPvRmT1_PNSt15iterator_traitsISY_E10value_typeET2_T3_PNSZ_IS14_E10value_typeET4_jRbjT5_S1A_jjP12ihipStream_tbEUljE_EEESV_SW_SX_S14_S18_S1A_T6_T7_T9_mT8_S1C_bDpT10_ENKUlT_T0_E_clISt17integral_constantIbLb1EES1O_IbLb0EEEEDaS1K_S1L_EUlS1K_E_NS1_11comp_targetILNS1_3genE2ELNS1_11target_archE906ELNS1_3gpuE6ELNS1_3repE0EEENS1_30default_config_static_selectorELNS0_4arch9wavefront6targetE0EEEvSY_, .Lfunc_end378-_ZN7rocprim17ROCPRIM_400000_NS6detail17trampoline_kernelINS0_13select_configILj256ELj13ELNS0_17block_load_methodE3ELS4_3ELS4_3ELNS0_20block_scan_algorithmE0ELj4294967295EEENS1_25partition_config_selectorILNS1_17partition_subalgoE3EjNS0_10empty_typeEbEEZZNS1_14partition_implILS8_3ELb0ES6_jNS0_17counting_iteratorIjlEEPS9_SE_NS0_5tupleIJPjSE_EEENSF_IJSE_SE_EEES9_SG_JZNS1_25segmented_radix_sort_implINS0_14default_configELb0EPKaPaPKlPlN2at6native12_GLOBAL__N_18offset_tEEE10hipError_tPvRmT1_PNSt15iterator_traitsISY_E10value_typeET2_T3_PNSZ_IS14_E10value_typeET4_jRbjT5_S1A_jjP12ihipStream_tbEUljE_EEESV_SW_SX_S14_S18_S1A_T6_T7_T9_mT8_S1C_bDpT10_ENKUlT_T0_E_clISt17integral_constantIbLb1EES1O_IbLb0EEEEDaS1K_S1L_EUlS1K_E_NS1_11comp_targetILNS1_3genE2ELNS1_11target_archE906ELNS1_3gpuE6ELNS1_3repE0EEENS1_30default_config_static_selectorELNS0_4arch9wavefront6targetE0EEEvSY_
                                        ; -- End function
	.set _ZN7rocprim17ROCPRIM_400000_NS6detail17trampoline_kernelINS0_13select_configILj256ELj13ELNS0_17block_load_methodE3ELS4_3ELS4_3ELNS0_20block_scan_algorithmE0ELj4294967295EEENS1_25partition_config_selectorILNS1_17partition_subalgoE3EjNS0_10empty_typeEbEEZZNS1_14partition_implILS8_3ELb0ES6_jNS0_17counting_iteratorIjlEEPS9_SE_NS0_5tupleIJPjSE_EEENSF_IJSE_SE_EEES9_SG_JZNS1_25segmented_radix_sort_implINS0_14default_configELb0EPKaPaPKlPlN2at6native12_GLOBAL__N_18offset_tEEE10hipError_tPvRmT1_PNSt15iterator_traitsISY_E10value_typeET2_T3_PNSZ_IS14_E10value_typeET4_jRbjT5_S1A_jjP12ihipStream_tbEUljE_EEESV_SW_SX_S14_S18_S1A_T6_T7_T9_mT8_S1C_bDpT10_ENKUlT_T0_E_clISt17integral_constantIbLb1EES1O_IbLb0EEEEDaS1K_S1L_EUlS1K_E_NS1_11comp_targetILNS1_3genE2ELNS1_11target_archE906ELNS1_3gpuE6ELNS1_3repE0EEENS1_30default_config_static_selectorELNS0_4arch9wavefront6targetE0EEEvSY_.num_vgpr, 0
	.set _ZN7rocprim17ROCPRIM_400000_NS6detail17trampoline_kernelINS0_13select_configILj256ELj13ELNS0_17block_load_methodE3ELS4_3ELS4_3ELNS0_20block_scan_algorithmE0ELj4294967295EEENS1_25partition_config_selectorILNS1_17partition_subalgoE3EjNS0_10empty_typeEbEEZZNS1_14partition_implILS8_3ELb0ES6_jNS0_17counting_iteratorIjlEEPS9_SE_NS0_5tupleIJPjSE_EEENSF_IJSE_SE_EEES9_SG_JZNS1_25segmented_radix_sort_implINS0_14default_configELb0EPKaPaPKlPlN2at6native12_GLOBAL__N_18offset_tEEE10hipError_tPvRmT1_PNSt15iterator_traitsISY_E10value_typeET2_T3_PNSZ_IS14_E10value_typeET4_jRbjT5_S1A_jjP12ihipStream_tbEUljE_EEESV_SW_SX_S14_S18_S1A_T6_T7_T9_mT8_S1C_bDpT10_ENKUlT_T0_E_clISt17integral_constantIbLb1EES1O_IbLb0EEEEDaS1K_S1L_EUlS1K_E_NS1_11comp_targetILNS1_3genE2ELNS1_11target_archE906ELNS1_3gpuE6ELNS1_3repE0EEENS1_30default_config_static_selectorELNS0_4arch9wavefront6targetE0EEEvSY_.num_agpr, 0
	.set _ZN7rocprim17ROCPRIM_400000_NS6detail17trampoline_kernelINS0_13select_configILj256ELj13ELNS0_17block_load_methodE3ELS4_3ELS4_3ELNS0_20block_scan_algorithmE0ELj4294967295EEENS1_25partition_config_selectorILNS1_17partition_subalgoE3EjNS0_10empty_typeEbEEZZNS1_14partition_implILS8_3ELb0ES6_jNS0_17counting_iteratorIjlEEPS9_SE_NS0_5tupleIJPjSE_EEENSF_IJSE_SE_EEES9_SG_JZNS1_25segmented_radix_sort_implINS0_14default_configELb0EPKaPaPKlPlN2at6native12_GLOBAL__N_18offset_tEEE10hipError_tPvRmT1_PNSt15iterator_traitsISY_E10value_typeET2_T3_PNSZ_IS14_E10value_typeET4_jRbjT5_S1A_jjP12ihipStream_tbEUljE_EEESV_SW_SX_S14_S18_S1A_T6_T7_T9_mT8_S1C_bDpT10_ENKUlT_T0_E_clISt17integral_constantIbLb1EES1O_IbLb0EEEEDaS1K_S1L_EUlS1K_E_NS1_11comp_targetILNS1_3genE2ELNS1_11target_archE906ELNS1_3gpuE6ELNS1_3repE0EEENS1_30default_config_static_selectorELNS0_4arch9wavefront6targetE0EEEvSY_.numbered_sgpr, 0
	.set _ZN7rocprim17ROCPRIM_400000_NS6detail17trampoline_kernelINS0_13select_configILj256ELj13ELNS0_17block_load_methodE3ELS4_3ELS4_3ELNS0_20block_scan_algorithmE0ELj4294967295EEENS1_25partition_config_selectorILNS1_17partition_subalgoE3EjNS0_10empty_typeEbEEZZNS1_14partition_implILS8_3ELb0ES6_jNS0_17counting_iteratorIjlEEPS9_SE_NS0_5tupleIJPjSE_EEENSF_IJSE_SE_EEES9_SG_JZNS1_25segmented_radix_sort_implINS0_14default_configELb0EPKaPaPKlPlN2at6native12_GLOBAL__N_18offset_tEEE10hipError_tPvRmT1_PNSt15iterator_traitsISY_E10value_typeET2_T3_PNSZ_IS14_E10value_typeET4_jRbjT5_S1A_jjP12ihipStream_tbEUljE_EEESV_SW_SX_S14_S18_S1A_T6_T7_T9_mT8_S1C_bDpT10_ENKUlT_T0_E_clISt17integral_constantIbLb1EES1O_IbLb0EEEEDaS1K_S1L_EUlS1K_E_NS1_11comp_targetILNS1_3genE2ELNS1_11target_archE906ELNS1_3gpuE6ELNS1_3repE0EEENS1_30default_config_static_selectorELNS0_4arch9wavefront6targetE0EEEvSY_.num_named_barrier, 0
	.set _ZN7rocprim17ROCPRIM_400000_NS6detail17trampoline_kernelINS0_13select_configILj256ELj13ELNS0_17block_load_methodE3ELS4_3ELS4_3ELNS0_20block_scan_algorithmE0ELj4294967295EEENS1_25partition_config_selectorILNS1_17partition_subalgoE3EjNS0_10empty_typeEbEEZZNS1_14partition_implILS8_3ELb0ES6_jNS0_17counting_iteratorIjlEEPS9_SE_NS0_5tupleIJPjSE_EEENSF_IJSE_SE_EEES9_SG_JZNS1_25segmented_radix_sort_implINS0_14default_configELb0EPKaPaPKlPlN2at6native12_GLOBAL__N_18offset_tEEE10hipError_tPvRmT1_PNSt15iterator_traitsISY_E10value_typeET2_T3_PNSZ_IS14_E10value_typeET4_jRbjT5_S1A_jjP12ihipStream_tbEUljE_EEESV_SW_SX_S14_S18_S1A_T6_T7_T9_mT8_S1C_bDpT10_ENKUlT_T0_E_clISt17integral_constantIbLb1EES1O_IbLb0EEEEDaS1K_S1L_EUlS1K_E_NS1_11comp_targetILNS1_3genE2ELNS1_11target_archE906ELNS1_3gpuE6ELNS1_3repE0EEENS1_30default_config_static_selectorELNS0_4arch9wavefront6targetE0EEEvSY_.private_seg_size, 0
	.set _ZN7rocprim17ROCPRIM_400000_NS6detail17trampoline_kernelINS0_13select_configILj256ELj13ELNS0_17block_load_methodE3ELS4_3ELS4_3ELNS0_20block_scan_algorithmE0ELj4294967295EEENS1_25partition_config_selectorILNS1_17partition_subalgoE3EjNS0_10empty_typeEbEEZZNS1_14partition_implILS8_3ELb0ES6_jNS0_17counting_iteratorIjlEEPS9_SE_NS0_5tupleIJPjSE_EEENSF_IJSE_SE_EEES9_SG_JZNS1_25segmented_radix_sort_implINS0_14default_configELb0EPKaPaPKlPlN2at6native12_GLOBAL__N_18offset_tEEE10hipError_tPvRmT1_PNSt15iterator_traitsISY_E10value_typeET2_T3_PNSZ_IS14_E10value_typeET4_jRbjT5_S1A_jjP12ihipStream_tbEUljE_EEESV_SW_SX_S14_S18_S1A_T6_T7_T9_mT8_S1C_bDpT10_ENKUlT_T0_E_clISt17integral_constantIbLb1EES1O_IbLb0EEEEDaS1K_S1L_EUlS1K_E_NS1_11comp_targetILNS1_3genE2ELNS1_11target_archE906ELNS1_3gpuE6ELNS1_3repE0EEENS1_30default_config_static_selectorELNS0_4arch9wavefront6targetE0EEEvSY_.uses_vcc, 0
	.set _ZN7rocprim17ROCPRIM_400000_NS6detail17trampoline_kernelINS0_13select_configILj256ELj13ELNS0_17block_load_methodE3ELS4_3ELS4_3ELNS0_20block_scan_algorithmE0ELj4294967295EEENS1_25partition_config_selectorILNS1_17partition_subalgoE3EjNS0_10empty_typeEbEEZZNS1_14partition_implILS8_3ELb0ES6_jNS0_17counting_iteratorIjlEEPS9_SE_NS0_5tupleIJPjSE_EEENSF_IJSE_SE_EEES9_SG_JZNS1_25segmented_radix_sort_implINS0_14default_configELb0EPKaPaPKlPlN2at6native12_GLOBAL__N_18offset_tEEE10hipError_tPvRmT1_PNSt15iterator_traitsISY_E10value_typeET2_T3_PNSZ_IS14_E10value_typeET4_jRbjT5_S1A_jjP12ihipStream_tbEUljE_EEESV_SW_SX_S14_S18_S1A_T6_T7_T9_mT8_S1C_bDpT10_ENKUlT_T0_E_clISt17integral_constantIbLb1EES1O_IbLb0EEEEDaS1K_S1L_EUlS1K_E_NS1_11comp_targetILNS1_3genE2ELNS1_11target_archE906ELNS1_3gpuE6ELNS1_3repE0EEENS1_30default_config_static_selectorELNS0_4arch9wavefront6targetE0EEEvSY_.uses_flat_scratch, 0
	.set _ZN7rocprim17ROCPRIM_400000_NS6detail17trampoline_kernelINS0_13select_configILj256ELj13ELNS0_17block_load_methodE3ELS4_3ELS4_3ELNS0_20block_scan_algorithmE0ELj4294967295EEENS1_25partition_config_selectorILNS1_17partition_subalgoE3EjNS0_10empty_typeEbEEZZNS1_14partition_implILS8_3ELb0ES6_jNS0_17counting_iteratorIjlEEPS9_SE_NS0_5tupleIJPjSE_EEENSF_IJSE_SE_EEES9_SG_JZNS1_25segmented_radix_sort_implINS0_14default_configELb0EPKaPaPKlPlN2at6native12_GLOBAL__N_18offset_tEEE10hipError_tPvRmT1_PNSt15iterator_traitsISY_E10value_typeET2_T3_PNSZ_IS14_E10value_typeET4_jRbjT5_S1A_jjP12ihipStream_tbEUljE_EEESV_SW_SX_S14_S18_S1A_T6_T7_T9_mT8_S1C_bDpT10_ENKUlT_T0_E_clISt17integral_constantIbLb1EES1O_IbLb0EEEEDaS1K_S1L_EUlS1K_E_NS1_11comp_targetILNS1_3genE2ELNS1_11target_archE906ELNS1_3gpuE6ELNS1_3repE0EEENS1_30default_config_static_selectorELNS0_4arch9wavefront6targetE0EEEvSY_.has_dyn_sized_stack, 0
	.set _ZN7rocprim17ROCPRIM_400000_NS6detail17trampoline_kernelINS0_13select_configILj256ELj13ELNS0_17block_load_methodE3ELS4_3ELS4_3ELNS0_20block_scan_algorithmE0ELj4294967295EEENS1_25partition_config_selectorILNS1_17partition_subalgoE3EjNS0_10empty_typeEbEEZZNS1_14partition_implILS8_3ELb0ES6_jNS0_17counting_iteratorIjlEEPS9_SE_NS0_5tupleIJPjSE_EEENSF_IJSE_SE_EEES9_SG_JZNS1_25segmented_radix_sort_implINS0_14default_configELb0EPKaPaPKlPlN2at6native12_GLOBAL__N_18offset_tEEE10hipError_tPvRmT1_PNSt15iterator_traitsISY_E10value_typeET2_T3_PNSZ_IS14_E10value_typeET4_jRbjT5_S1A_jjP12ihipStream_tbEUljE_EEESV_SW_SX_S14_S18_S1A_T6_T7_T9_mT8_S1C_bDpT10_ENKUlT_T0_E_clISt17integral_constantIbLb1EES1O_IbLb0EEEEDaS1K_S1L_EUlS1K_E_NS1_11comp_targetILNS1_3genE2ELNS1_11target_archE906ELNS1_3gpuE6ELNS1_3repE0EEENS1_30default_config_static_selectorELNS0_4arch9wavefront6targetE0EEEvSY_.has_recursion, 0
	.set _ZN7rocprim17ROCPRIM_400000_NS6detail17trampoline_kernelINS0_13select_configILj256ELj13ELNS0_17block_load_methodE3ELS4_3ELS4_3ELNS0_20block_scan_algorithmE0ELj4294967295EEENS1_25partition_config_selectorILNS1_17partition_subalgoE3EjNS0_10empty_typeEbEEZZNS1_14partition_implILS8_3ELb0ES6_jNS0_17counting_iteratorIjlEEPS9_SE_NS0_5tupleIJPjSE_EEENSF_IJSE_SE_EEES9_SG_JZNS1_25segmented_radix_sort_implINS0_14default_configELb0EPKaPaPKlPlN2at6native12_GLOBAL__N_18offset_tEEE10hipError_tPvRmT1_PNSt15iterator_traitsISY_E10value_typeET2_T3_PNSZ_IS14_E10value_typeET4_jRbjT5_S1A_jjP12ihipStream_tbEUljE_EEESV_SW_SX_S14_S18_S1A_T6_T7_T9_mT8_S1C_bDpT10_ENKUlT_T0_E_clISt17integral_constantIbLb1EES1O_IbLb0EEEEDaS1K_S1L_EUlS1K_E_NS1_11comp_targetILNS1_3genE2ELNS1_11target_archE906ELNS1_3gpuE6ELNS1_3repE0EEENS1_30default_config_static_selectorELNS0_4arch9wavefront6targetE0EEEvSY_.has_indirect_call, 0
	.section	.AMDGPU.csdata,"",@progbits
; Kernel info:
; codeLenInByte = 0
; TotalNumSgprs: 0
; NumVgprs: 0
; ScratchSize: 0
; MemoryBound: 0
; FloatMode: 240
; IeeeMode: 1
; LDSByteSize: 0 bytes/workgroup (compile time only)
; SGPRBlocks: 0
; VGPRBlocks: 0
; NumSGPRsForWavesPerEU: 1
; NumVGPRsForWavesPerEU: 1
; Occupancy: 16
; WaveLimiterHint : 0
; COMPUTE_PGM_RSRC2:SCRATCH_EN: 0
; COMPUTE_PGM_RSRC2:USER_SGPR: 6
; COMPUTE_PGM_RSRC2:TRAP_HANDLER: 0
; COMPUTE_PGM_RSRC2:TGID_X_EN: 1
; COMPUTE_PGM_RSRC2:TGID_Y_EN: 0
; COMPUTE_PGM_RSRC2:TGID_Z_EN: 0
; COMPUTE_PGM_RSRC2:TIDIG_COMP_CNT: 0
	.section	.text._ZN7rocprim17ROCPRIM_400000_NS6detail17trampoline_kernelINS0_13select_configILj256ELj13ELNS0_17block_load_methodE3ELS4_3ELS4_3ELNS0_20block_scan_algorithmE0ELj4294967295EEENS1_25partition_config_selectorILNS1_17partition_subalgoE3EjNS0_10empty_typeEbEEZZNS1_14partition_implILS8_3ELb0ES6_jNS0_17counting_iteratorIjlEEPS9_SE_NS0_5tupleIJPjSE_EEENSF_IJSE_SE_EEES9_SG_JZNS1_25segmented_radix_sort_implINS0_14default_configELb0EPKaPaPKlPlN2at6native12_GLOBAL__N_18offset_tEEE10hipError_tPvRmT1_PNSt15iterator_traitsISY_E10value_typeET2_T3_PNSZ_IS14_E10value_typeET4_jRbjT5_S1A_jjP12ihipStream_tbEUljE_EEESV_SW_SX_S14_S18_S1A_T6_T7_T9_mT8_S1C_bDpT10_ENKUlT_T0_E_clISt17integral_constantIbLb1EES1O_IbLb0EEEEDaS1K_S1L_EUlS1K_E_NS1_11comp_targetILNS1_3genE10ELNS1_11target_archE1200ELNS1_3gpuE4ELNS1_3repE0EEENS1_30default_config_static_selectorELNS0_4arch9wavefront6targetE0EEEvSY_,"axG",@progbits,_ZN7rocprim17ROCPRIM_400000_NS6detail17trampoline_kernelINS0_13select_configILj256ELj13ELNS0_17block_load_methodE3ELS4_3ELS4_3ELNS0_20block_scan_algorithmE0ELj4294967295EEENS1_25partition_config_selectorILNS1_17partition_subalgoE3EjNS0_10empty_typeEbEEZZNS1_14partition_implILS8_3ELb0ES6_jNS0_17counting_iteratorIjlEEPS9_SE_NS0_5tupleIJPjSE_EEENSF_IJSE_SE_EEES9_SG_JZNS1_25segmented_radix_sort_implINS0_14default_configELb0EPKaPaPKlPlN2at6native12_GLOBAL__N_18offset_tEEE10hipError_tPvRmT1_PNSt15iterator_traitsISY_E10value_typeET2_T3_PNSZ_IS14_E10value_typeET4_jRbjT5_S1A_jjP12ihipStream_tbEUljE_EEESV_SW_SX_S14_S18_S1A_T6_T7_T9_mT8_S1C_bDpT10_ENKUlT_T0_E_clISt17integral_constantIbLb1EES1O_IbLb0EEEEDaS1K_S1L_EUlS1K_E_NS1_11comp_targetILNS1_3genE10ELNS1_11target_archE1200ELNS1_3gpuE4ELNS1_3repE0EEENS1_30default_config_static_selectorELNS0_4arch9wavefront6targetE0EEEvSY_,comdat
	.globl	_ZN7rocprim17ROCPRIM_400000_NS6detail17trampoline_kernelINS0_13select_configILj256ELj13ELNS0_17block_load_methodE3ELS4_3ELS4_3ELNS0_20block_scan_algorithmE0ELj4294967295EEENS1_25partition_config_selectorILNS1_17partition_subalgoE3EjNS0_10empty_typeEbEEZZNS1_14partition_implILS8_3ELb0ES6_jNS0_17counting_iteratorIjlEEPS9_SE_NS0_5tupleIJPjSE_EEENSF_IJSE_SE_EEES9_SG_JZNS1_25segmented_radix_sort_implINS0_14default_configELb0EPKaPaPKlPlN2at6native12_GLOBAL__N_18offset_tEEE10hipError_tPvRmT1_PNSt15iterator_traitsISY_E10value_typeET2_T3_PNSZ_IS14_E10value_typeET4_jRbjT5_S1A_jjP12ihipStream_tbEUljE_EEESV_SW_SX_S14_S18_S1A_T6_T7_T9_mT8_S1C_bDpT10_ENKUlT_T0_E_clISt17integral_constantIbLb1EES1O_IbLb0EEEEDaS1K_S1L_EUlS1K_E_NS1_11comp_targetILNS1_3genE10ELNS1_11target_archE1200ELNS1_3gpuE4ELNS1_3repE0EEENS1_30default_config_static_selectorELNS0_4arch9wavefront6targetE0EEEvSY_ ; -- Begin function _ZN7rocprim17ROCPRIM_400000_NS6detail17trampoline_kernelINS0_13select_configILj256ELj13ELNS0_17block_load_methodE3ELS4_3ELS4_3ELNS0_20block_scan_algorithmE0ELj4294967295EEENS1_25partition_config_selectorILNS1_17partition_subalgoE3EjNS0_10empty_typeEbEEZZNS1_14partition_implILS8_3ELb0ES6_jNS0_17counting_iteratorIjlEEPS9_SE_NS0_5tupleIJPjSE_EEENSF_IJSE_SE_EEES9_SG_JZNS1_25segmented_radix_sort_implINS0_14default_configELb0EPKaPaPKlPlN2at6native12_GLOBAL__N_18offset_tEEE10hipError_tPvRmT1_PNSt15iterator_traitsISY_E10value_typeET2_T3_PNSZ_IS14_E10value_typeET4_jRbjT5_S1A_jjP12ihipStream_tbEUljE_EEESV_SW_SX_S14_S18_S1A_T6_T7_T9_mT8_S1C_bDpT10_ENKUlT_T0_E_clISt17integral_constantIbLb1EES1O_IbLb0EEEEDaS1K_S1L_EUlS1K_E_NS1_11comp_targetILNS1_3genE10ELNS1_11target_archE1200ELNS1_3gpuE4ELNS1_3repE0EEENS1_30default_config_static_selectorELNS0_4arch9wavefront6targetE0EEEvSY_
	.p2align	8
	.type	_ZN7rocprim17ROCPRIM_400000_NS6detail17trampoline_kernelINS0_13select_configILj256ELj13ELNS0_17block_load_methodE3ELS4_3ELS4_3ELNS0_20block_scan_algorithmE0ELj4294967295EEENS1_25partition_config_selectorILNS1_17partition_subalgoE3EjNS0_10empty_typeEbEEZZNS1_14partition_implILS8_3ELb0ES6_jNS0_17counting_iteratorIjlEEPS9_SE_NS0_5tupleIJPjSE_EEENSF_IJSE_SE_EEES9_SG_JZNS1_25segmented_radix_sort_implINS0_14default_configELb0EPKaPaPKlPlN2at6native12_GLOBAL__N_18offset_tEEE10hipError_tPvRmT1_PNSt15iterator_traitsISY_E10value_typeET2_T3_PNSZ_IS14_E10value_typeET4_jRbjT5_S1A_jjP12ihipStream_tbEUljE_EEESV_SW_SX_S14_S18_S1A_T6_T7_T9_mT8_S1C_bDpT10_ENKUlT_T0_E_clISt17integral_constantIbLb1EES1O_IbLb0EEEEDaS1K_S1L_EUlS1K_E_NS1_11comp_targetILNS1_3genE10ELNS1_11target_archE1200ELNS1_3gpuE4ELNS1_3repE0EEENS1_30default_config_static_selectorELNS0_4arch9wavefront6targetE0EEEvSY_,@function
_ZN7rocprim17ROCPRIM_400000_NS6detail17trampoline_kernelINS0_13select_configILj256ELj13ELNS0_17block_load_methodE3ELS4_3ELS4_3ELNS0_20block_scan_algorithmE0ELj4294967295EEENS1_25partition_config_selectorILNS1_17partition_subalgoE3EjNS0_10empty_typeEbEEZZNS1_14partition_implILS8_3ELb0ES6_jNS0_17counting_iteratorIjlEEPS9_SE_NS0_5tupleIJPjSE_EEENSF_IJSE_SE_EEES9_SG_JZNS1_25segmented_radix_sort_implINS0_14default_configELb0EPKaPaPKlPlN2at6native12_GLOBAL__N_18offset_tEEE10hipError_tPvRmT1_PNSt15iterator_traitsISY_E10value_typeET2_T3_PNSZ_IS14_E10value_typeET4_jRbjT5_S1A_jjP12ihipStream_tbEUljE_EEESV_SW_SX_S14_S18_S1A_T6_T7_T9_mT8_S1C_bDpT10_ENKUlT_T0_E_clISt17integral_constantIbLb1EES1O_IbLb0EEEEDaS1K_S1L_EUlS1K_E_NS1_11comp_targetILNS1_3genE10ELNS1_11target_archE1200ELNS1_3gpuE4ELNS1_3repE0EEENS1_30default_config_static_selectorELNS0_4arch9wavefront6targetE0EEEvSY_: ; @_ZN7rocprim17ROCPRIM_400000_NS6detail17trampoline_kernelINS0_13select_configILj256ELj13ELNS0_17block_load_methodE3ELS4_3ELS4_3ELNS0_20block_scan_algorithmE0ELj4294967295EEENS1_25partition_config_selectorILNS1_17partition_subalgoE3EjNS0_10empty_typeEbEEZZNS1_14partition_implILS8_3ELb0ES6_jNS0_17counting_iteratorIjlEEPS9_SE_NS0_5tupleIJPjSE_EEENSF_IJSE_SE_EEES9_SG_JZNS1_25segmented_radix_sort_implINS0_14default_configELb0EPKaPaPKlPlN2at6native12_GLOBAL__N_18offset_tEEE10hipError_tPvRmT1_PNSt15iterator_traitsISY_E10value_typeET2_T3_PNSZ_IS14_E10value_typeET4_jRbjT5_S1A_jjP12ihipStream_tbEUljE_EEESV_SW_SX_S14_S18_S1A_T6_T7_T9_mT8_S1C_bDpT10_ENKUlT_T0_E_clISt17integral_constantIbLb1EES1O_IbLb0EEEEDaS1K_S1L_EUlS1K_E_NS1_11comp_targetILNS1_3genE10ELNS1_11target_archE1200ELNS1_3gpuE4ELNS1_3repE0EEENS1_30default_config_static_selectorELNS0_4arch9wavefront6targetE0EEEvSY_
; %bb.0:
	.section	.rodata,"a",@progbits
	.p2align	6, 0x0
	.amdhsa_kernel _ZN7rocprim17ROCPRIM_400000_NS6detail17trampoline_kernelINS0_13select_configILj256ELj13ELNS0_17block_load_methodE3ELS4_3ELS4_3ELNS0_20block_scan_algorithmE0ELj4294967295EEENS1_25partition_config_selectorILNS1_17partition_subalgoE3EjNS0_10empty_typeEbEEZZNS1_14partition_implILS8_3ELb0ES6_jNS0_17counting_iteratorIjlEEPS9_SE_NS0_5tupleIJPjSE_EEENSF_IJSE_SE_EEES9_SG_JZNS1_25segmented_radix_sort_implINS0_14default_configELb0EPKaPaPKlPlN2at6native12_GLOBAL__N_18offset_tEEE10hipError_tPvRmT1_PNSt15iterator_traitsISY_E10value_typeET2_T3_PNSZ_IS14_E10value_typeET4_jRbjT5_S1A_jjP12ihipStream_tbEUljE_EEESV_SW_SX_S14_S18_S1A_T6_T7_T9_mT8_S1C_bDpT10_ENKUlT_T0_E_clISt17integral_constantIbLb1EES1O_IbLb0EEEEDaS1K_S1L_EUlS1K_E_NS1_11comp_targetILNS1_3genE10ELNS1_11target_archE1200ELNS1_3gpuE4ELNS1_3repE0EEENS1_30default_config_static_selectorELNS0_4arch9wavefront6targetE0EEEvSY_
		.amdhsa_group_segment_fixed_size 0
		.amdhsa_private_segment_fixed_size 0
		.amdhsa_kernarg_size 144
		.amdhsa_user_sgpr_count 6
		.amdhsa_user_sgpr_private_segment_buffer 1
		.amdhsa_user_sgpr_dispatch_ptr 0
		.amdhsa_user_sgpr_queue_ptr 0
		.amdhsa_user_sgpr_kernarg_segment_ptr 1
		.amdhsa_user_sgpr_dispatch_id 0
		.amdhsa_user_sgpr_flat_scratch_init 0
		.amdhsa_user_sgpr_private_segment_size 0
		.amdhsa_wavefront_size32 1
		.amdhsa_uses_dynamic_stack 0
		.amdhsa_system_sgpr_private_segment_wavefront_offset 0
		.amdhsa_system_sgpr_workgroup_id_x 1
		.amdhsa_system_sgpr_workgroup_id_y 0
		.amdhsa_system_sgpr_workgroup_id_z 0
		.amdhsa_system_sgpr_workgroup_info 0
		.amdhsa_system_vgpr_workitem_id 0
		.amdhsa_next_free_vgpr 1
		.amdhsa_next_free_sgpr 1
		.amdhsa_reserve_vcc 0
		.amdhsa_reserve_flat_scratch 0
		.amdhsa_float_round_mode_32 0
		.amdhsa_float_round_mode_16_64 0
		.amdhsa_float_denorm_mode_32 3
		.amdhsa_float_denorm_mode_16_64 3
		.amdhsa_dx10_clamp 1
		.amdhsa_ieee_mode 1
		.amdhsa_fp16_overflow 0
		.amdhsa_workgroup_processor_mode 1
		.amdhsa_memory_ordered 1
		.amdhsa_forward_progress 1
		.amdhsa_shared_vgpr_count 0
		.amdhsa_exception_fp_ieee_invalid_op 0
		.amdhsa_exception_fp_denorm_src 0
		.amdhsa_exception_fp_ieee_div_zero 0
		.amdhsa_exception_fp_ieee_overflow 0
		.amdhsa_exception_fp_ieee_underflow 0
		.amdhsa_exception_fp_ieee_inexact 0
		.amdhsa_exception_int_div_zero 0
	.end_amdhsa_kernel
	.section	.text._ZN7rocprim17ROCPRIM_400000_NS6detail17trampoline_kernelINS0_13select_configILj256ELj13ELNS0_17block_load_methodE3ELS4_3ELS4_3ELNS0_20block_scan_algorithmE0ELj4294967295EEENS1_25partition_config_selectorILNS1_17partition_subalgoE3EjNS0_10empty_typeEbEEZZNS1_14partition_implILS8_3ELb0ES6_jNS0_17counting_iteratorIjlEEPS9_SE_NS0_5tupleIJPjSE_EEENSF_IJSE_SE_EEES9_SG_JZNS1_25segmented_radix_sort_implINS0_14default_configELb0EPKaPaPKlPlN2at6native12_GLOBAL__N_18offset_tEEE10hipError_tPvRmT1_PNSt15iterator_traitsISY_E10value_typeET2_T3_PNSZ_IS14_E10value_typeET4_jRbjT5_S1A_jjP12ihipStream_tbEUljE_EEESV_SW_SX_S14_S18_S1A_T6_T7_T9_mT8_S1C_bDpT10_ENKUlT_T0_E_clISt17integral_constantIbLb1EES1O_IbLb0EEEEDaS1K_S1L_EUlS1K_E_NS1_11comp_targetILNS1_3genE10ELNS1_11target_archE1200ELNS1_3gpuE4ELNS1_3repE0EEENS1_30default_config_static_selectorELNS0_4arch9wavefront6targetE0EEEvSY_,"axG",@progbits,_ZN7rocprim17ROCPRIM_400000_NS6detail17trampoline_kernelINS0_13select_configILj256ELj13ELNS0_17block_load_methodE3ELS4_3ELS4_3ELNS0_20block_scan_algorithmE0ELj4294967295EEENS1_25partition_config_selectorILNS1_17partition_subalgoE3EjNS0_10empty_typeEbEEZZNS1_14partition_implILS8_3ELb0ES6_jNS0_17counting_iteratorIjlEEPS9_SE_NS0_5tupleIJPjSE_EEENSF_IJSE_SE_EEES9_SG_JZNS1_25segmented_radix_sort_implINS0_14default_configELb0EPKaPaPKlPlN2at6native12_GLOBAL__N_18offset_tEEE10hipError_tPvRmT1_PNSt15iterator_traitsISY_E10value_typeET2_T3_PNSZ_IS14_E10value_typeET4_jRbjT5_S1A_jjP12ihipStream_tbEUljE_EEESV_SW_SX_S14_S18_S1A_T6_T7_T9_mT8_S1C_bDpT10_ENKUlT_T0_E_clISt17integral_constantIbLb1EES1O_IbLb0EEEEDaS1K_S1L_EUlS1K_E_NS1_11comp_targetILNS1_3genE10ELNS1_11target_archE1200ELNS1_3gpuE4ELNS1_3repE0EEENS1_30default_config_static_selectorELNS0_4arch9wavefront6targetE0EEEvSY_,comdat
.Lfunc_end379:
	.size	_ZN7rocprim17ROCPRIM_400000_NS6detail17trampoline_kernelINS0_13select_configILj256ELj13ELNS0_17block_load_methodE3ELS4_3ELS4_3ELNS0_20block_scan_algorithmE0ELj4294967295EEENS1_25partition_config_selectorILNS1_17partition_subalgoE3EjNS0_10empty_typeEbEEZZNS1_14partition_implILS8_3ELb0ES6_jNS0_17counting_iteratorIjlEEPS9_SE_NS0_5tupleIJPjSE_EEENSF_IJSE_SE_EEES9_SG_JZNS1_25segmented_radix_sort_implINS0_14default_configELb0EPKaPaPKlPlN2at6native12_GLOBAL__N_18offset_tEEE10hipError_tPvRmT1_PNSt15iterator_traitsISY_E10value_typeET2_T3_PNSZ_IS14_E10value_typeET4_jRbjT5_S1A_jjP12ihipStream_tbEUljE_EEESV_SW_SX_S14_S18_S1A_T6_T7_T9_mT8_S1C_bDpT10_ENKUlT_T0_E_clISt17integral_constantIbLb1EES1O_IbLb0EEEEDaS1K_S1L_EUlS1K_E_NS1_11comp_targetILNS1_3genE10ELNS1_11target_archE1200ELNS1_3gpuE4ELNS1_3repE0EEENS1_30default_config_static_selectorELNS0_4arch9wavefront6targetE0EEEvSY_, .Lfunc_end379-_ZN7rocprim17ROCPRIM_400000_NS6detail17trampoline_kernelINS0_13select_configILj256ELj13ELNS0_17block_load_methodE3ELS4_3ELS4_3ELNS0_20block_scan_algorithmE0ELj4294967295EEENS1_25partition_config_selectorILNS1_17partition_subalgoE3EjNS0_10empty_typeEbEEZZNS1_14partition_implILS8_3ELb0ES6_jNS0_17counting_iteratorIjlEEPS9_SE_NS0_5tupleIJPjSE_EEENSF_IJSE_SE_EEES9_SG_JZNS1_25segmented_radix_sort_implINS0_14default_configELb0EPKaPaPKlPlN2at6native12_GLOBAL__N_18offset_tEEE10hipError_tPvRmT1_PNSt15iterator_traitsISY_E10value_typeET2_T3_PNSZ_IS14_E10value_typeET4_jRbjT5_S1A_jjP12ihipStream_tbEUljE_EEESV_SW_SX_S14_S18_S1A_T6_T7_T9_mT8_S1C_bDpT10_ENKUlT_T0_E_clISt17integral_constantIbLb1EES1O_IbLb0EEEEDaS1K_S1L_EUlS1K_E_NS1_11comp_targetILNS1_3genE10ELNS1_11target_archE1200ELNS1_3gpuE4ELNS1_3repE0EEENS1_30default_config_static_selectorELNS0_4arch9wavefront6targetE0EEEvSY_
                                        ; -- End function
	.set _ZN7rocprim17ROCPRIM_400000_NS6detail17trampoline_kernelINS0_13select_configILj256ELj13ELNS0_17block_load_methodE3ELS4_3ELS4_3ELNS0_20block_scan_algorithmE0ELj4294967295EEENS1_25partition_config_selectorILNS1_17partition_subalgoE3EjNS0_10empty_typeEbEEZZNS1_14partition_implILS8_3ELb0ES6_jNS0_17counting_iteratorIjlEEPS9_SE_NS0_5tupleIJPjSE_EEENSF_IJSE_SE_EEES9_SG_JZNS1_25segmented_radix_sort_implINS0_14default_configELb0EPKaPaPKlPlN2at6native12_GLOBAL__N_18offset_tEEE10hipError_tPvRmT1_PNSt15iterator_traitsISY_E10value_typeET2_T3_PNSZ_IS14_E10value_typeET4_jRbjT5_S1A_jjP12ihipStream_tbEUljE_EEESV_SW_SX_S14_S18_S1A_T6_T7_T9_mT8_S1C_bDpT10_ENKUlT_T0_E_clISt17integral_constantIbLb1EES1O_IbLb0EEEEDaS1K_S1L_EUlS1K_E_NS1_11comp_targetILNS1_3genE10ELNS1_11target_archE1200ELNS1_3gpuE4ELNS1_3repE0EEENS1_30default_config_static_selectorELNS0_4arch9wavefront6targetE0EEEvSY_.num_vgpr, 0
	.set _ZN7rocprim17ROCPRIM_400000_NS6detail17trampoline_kernelINS0_13select_configILj256ELj13ELNS0_17block_load_methodE3ELS4_3ELS4_3ELNS0_20block_scan_algorithmE0ELj4294967295EEENS1_25partition_config_selectorILNS1_17partition_subalgoE3EjNS0_10empty_typeEbEEZZNS1_14partition_implILS8_3ELb0ES6_jNS0_17counting_iteratorIjlEEPS9_SE_NS0_5tupleIJPjSE_EEENSF_IJSE_SE_EEES9_SG_JZNS1_25segmented_radix_sort_implINS0_14default_configELb0EPKaPaPKlPlN2at6native12_GLOBAL__N_18offset_tEEE10hipError_tPvRmT1_PNSt15iterator_traitsISY_E10value_typeET2_T3_PNSZ_IS14_E10value_typeET4_jRbjT5_S1A_jjP12ihipStream_tbEUljE_EEESV_SW_SX_S14_S18_S1A_T6_T7_T9_mT8_S1C_bDpT10_ENKUlT_T0_E_clISt17integral_constantIbLb1EES1O_IbLb0EEEEDaS1K_S1L_EUlS1K_E_NS1_11comp_targetILNS1_3genE10ELNS1_11target_archE1200ELNS1_3gpuE4ELNS1_3repE0EEENS1_30default_config_static_selectorELNS0_4arch9wavefront6targetE0EEEvSY_.num_agpr, 0
	.set _ZN7rocprim17ROCPRIM_400000_NS6detail17trampoline_kernelINS0_13select_configILj256ELj13ELNS0_17block_load_methodE3ELS4_3ELS4_3ELNS0_20block_scan_algorithmE0ELj4294967295EEENS1_25partition_config_selectorILNS1_17partition_subalgoE3EjNS0_10empty_typeEbEEZZNS1_14partition_implILS8_3ELb0ES6_jNS0_17counting_iteratorIjlEEPS9_SE_NS0_5tupleIJPjSE_EEENSF_IJSE_SE_EEES9_SG_JZNS1_25segmented_radix_sort_implINS0_14default_configELb0EPKaPaPKlPlN2at6native12_GLOBAL__N_18offset_tEEE10hipError_tPvRmT1_PNSt15iterator_traitsISY_E10value_typeET2_T3_PNSZ_IS14_E10value_typeET4_jRbjT5_S1A_jjP12ihipStream_tbEUljE_EEESV_SW_SX_S14_S18_S1A_T6_T7_T9_mT8_S1C_bDpT10_ENKUlT_T0_E_clISt17integral_constantIbLb1EES1O_IbLb0EEEEDaS1K_S1L_EUlS1K_E_NS1_11comp_targetILNS1_3genE10ELNS1_11target_archE1200ELNS1_3gpuE4ELNS1_3repE0EEENS1_30default_config_static_selectorELNS0_4arch9wavefront6targetE0EEEvSY_.numbered_sgpr, 0
	.set _ZN7rocprim17ROCPRIM_400000_NS6detail17trampoline_kernelINS0_13select_configILj256ELj13ELNS0_17block_load_methodE3ELS4_3ELS4_3ELNS0_20block_scan_algorithmE0ELj4294967295EEENS1_25partition_config_selectorILNS1_17partition_subalgoE3EjNS0_10empty_typeEbEEZZNS1_14partition_implILS8_3ELb0ES6_jNS0_17counting_iteratorIjlEEPS9_SE_NS0_5tupleIJPjSE_EEENSF_IJSE_SE_EEES9_SG_JZNS1_25segmented_radix_sort_implINS0_14default_configELb0EPKaPaPKlPlN2at6native12_GLOBAL__N_18offset_tEEE10hipError_tPvRmT1_PNSt15iterator_traitsISY_E10value_typeET2_T3_PNSZ_IS14_E10value_typeET4_jRbjT5_S1A_jjP12ihipStream_tbEUljE_EEESV_SW_SX_S14_S18_S1A_T6_T7_T9_mT8_S1C_bDpT10_ENKUlT_T0_E_clISt17integral_constantIbLb1EES1O_IbLb0EEEEDaS1K_S1L_EUlS1K_E_NS1_11comp_targetILNS1_3genE10ELNS1_11target_archE1200ELNS1_3gpuE4ELNS1_3repE0EEENS1_30default_config_static_selectorELNS0_4arch9wavefront6targetE0EEEvSY_.num_named_barrier, 0
	.set _ZN7rocprim17ROCPRIM_400000_NS6detail17trampoline_kernelINS0_13select_configILj256ELj13ELNS0_17block_load_methodE3ELS4_3ELS4_3ELNS0_20block_scan_algorithmE0ELj4294967295EEENS1_25partition_config_selectorILNS1_17partition_subalgoE3EjNS0_10empty_typeEbEEZZNS1_14partition_implILS8_3ELb0ES6_jNS0_17counting_iteratorIjlEEPS9_SE_NS0_5tupleIJPjSE_EEENSF_IJSE_SE_EEES9_SG_JZNS1_25segmented_radix_sort_implINS0_14default_configELb0EPKaPaPKlPlN2at6native12_GLOBAL__N_18offset_tEEE10hipError_tPvRmT1_PNSt15iterator_traitsISY_E10value_typeET2_T3_PNSZ_IS14_E10value_typeET4_jRbjT5_S1A_jjP12ihipStream_tbEUljE_EEESV_SW_SX_S14_S18_S1A_T6_T7_T9_mT8_S1C_bDpT10_ENKUlT_T0_E_clISt17integral_constantIbLb1EES1O_IbLb0EEEEDaS1K_S1L_EUlS1K_E_NS1_11comp_targetILNS1_3genE10ELNS1_11target_archE1200ELNS1_3gpuE4ELNS1_3repE0EEENS1_30default_config_static_selectorELNS0_4arch9wavefront6targetE0EEEvSY_.private_seg_size, 0
	.set _ZN7rocprim17ROCPRIM_400000_NS6detail17trampoline_kernelINS0_13select_configILj256ELj13ELNS0_17block_load_methodE3ELS4_3ELS4_3ELNS0_20block_scan_algorithmE0ELj4294967295EEENS1_25partition_config_selectorILNS1_17partition_subalgoE3EjNS0_10empty_typeEbEEZZNS1_14partition_implILS8_3ELb0ES6_jNS0_17counting_iteratorIjlEEPS9_SE_NS0_5tupleIJPjSE_EEENSF_IJSE_SE_EEES9_SG_JZNS1_25segmented_radix_sort_implINS0_14default_configELb0EPKaPaPKlPlN2at6native12_GLOBAL__N_18offset_tEEE10hipError_tPvRmT1_PNSt15iterator_traitsISY_E10value_typeET2_T3_PNSZ_IS14_E10value_typeET4_jRbjT5_S1A_jjP12ihipStream_tbEUljE_EEESV_SW_SX_S14_S18_S1A_T6_T7_T9_mT8_S1C_bDpT10_ENKUlT_T0_E_clISt17integral_constantIbLb1EES1O_IbLb0EEEEDaS1K_S1L_EUlS1K_E_NS1_11comp_targetILNS1_3genE10ELNS1_11target_archE1200ELNS1_3gpuE4ELNS1_3repE0EEENS1_30default_config_static_selectorELNS0_4arch9wavefront6targetE0EEEvSY_.uses_vcc, 0
	.set _ZN7rocprim17ROCPRIM_400000_NS6detail17trampoline_kernelINS0_13select_configILj256ELj13ELNS0_17block_load_methodE3ELS4_3ELS4_3ELNS0_20block_scan_algorithmE0ELj4294967295EEENS1_25partition_config_selectorILNS1_17partition_subalgoE3EjNS0_10empty_typeEbEEZZNS1_14partition_implILS8_3ELb0ES6_jNS0_17counting_iteratorIjlEEPS9_SE_NS0_5tupleIJPjSE_EEENSF_IJSE_SE_EEES9_SG_JZNS1_25segmented_radix_sort_implINS0_14default_configELb0EPKaPaPKlPlN2at6native12_GLOBAL__N_18offset_tEEE10hipError_tPvRmT1_PNSt15iterator_traitsISY_E10value_typeET2_T3_PNSZ_IS14_E10value_typeET4_jRbjT5_S1A_jjP12ihipStream_tbEUljE_EEESV_SW_SX_S14_S18_S1A_T6_T7_T9_mT8_S1C_bDpT10_ENKUlT_T0_E_clISt17integral_constantIbLb1EES1O_IbLb0EEEEDaS1K_S1L_EUlS1K_E_NS1_11comp_targetILNS1_3genE10ELNS1_11target_archE1200ELNS1_3gpuE4ELNS1_3repE0EEENS1_30default_config_static_selectorELNS0_4arch9wavefront6targetE0EEEvSY_.uses_flat_scratch, 0
	.set _ZN7rocprim17ROCPRIM_400000_NS6detail17trampoline_kernelINS0_13select_configILj256ELj13ELNS0_17block_load_methodE3ELS4_3ELS4_3ELNS0_20block_scan_algorithmE0ELj4294967295EEENS1_25partition_config_selectorILNS1_17partition_subalgoE3EjNS0_10empty_typeEbEEZZNS1_14partition_implILS8_3ELb0ES6_jNS0_17counting_iteratorIjlEEPS9_SE_NS0_5tupleIJPjSE_EEENSF_IJSE_SE_EEES9_SG_JZNS1_25segmented_radix_sort_implINS0_14default_configELb0EPKaPaPKlPlN2at6native12_GLOBAL__N_18offset_tEEE10hipError_tPvRmT1_PNSt15iterator_traitsISY_E10value_typeET2_T3_PNSZ_IS14_E10value_typeET4_jRbjT5_S1A_jjP12ihipStream_tbEUljE_EEESV_SW_SX_S14_S18_S1A_T6_T7_T9_mT8_S1C_bDpT10_ENKUlT_T0_E_clISt17integral_constantIbLb1EES1O_IbLb0EEEEDaS1K_S1L_EUlS1K_E_NS1_11comp_targetILNS1_3genE10ELNS1_11target_archE1200ELNS1_3gpuE4ELNS1_3repE0EEENS1_30default_config_static_selectorELNS0_4arch9wavefront6targetE0EEEvSY_.has_dyn_sized_stack, 0
	.set _ZN7rocprim17ROCPRIM_400000_NS6detail17trampoline_kernelINS0_13select_configILj256ELj13ELNS0_17block_load_methodE3ELS4_3ELS4_3ELNS0_20block_scan_algorithmE0ELj4294967295EEENS1_25partition_config_selectorILNS1_17partition_subalgoE3EjNS0_10empty_typeEbEEZZNS1_14partition_implILS8_3ELb0ES6_jNS0_17counting_iteratorIjlEEPS9_SE_NS0_5tupleIJPjSE_EEENSF_IJSE_SE_EEES9_SG_JZNS1_25segmented_radix_sort_implINS0_14default_configELb0EPKaPaPKlPlN2at6native12_GLOBAL__N_18offset_tEEE10hipError_tPvRmT1_PNSt15iterator_traitsISY_E10value_typeET2_T3_PNSZ_IS14_E10value_typeET4_jRbjT5_S1A_jjP12ihipStream_tbEUljE_EEESV_SW_SX_S14_S18_S1A_T6_T7_T9_mT8_S1C_bDpT10_ENKUlT_T0_E_clISt17integral_constantIbLb1EES1O_IbLb0EEEEDaS1K_S1L_EUlS1K_E_NS1_11comp_targetILNS1_3genE10ELNS1_11target_archE1200ELNS1_3gpuE4ELNS1_3repE0EEENS1_30default_config_static_selectorELNS0_4arch9wavefront6targetE0EEEvSY_.has_recursion, 0
	.set _ZN7rocprim17ROCPRIM_400000_NS6detail17trampoline_kernelINS0_13select_configILj256ELj13ELNS0_17block_load_methodE3ELS4_3ELS4_3ELNS0_20block_scan_algorithmE0ELj4294967295EEENS1_25partition_config_selectorILNS1_17partition_subalgoE3EjNS0_10empty_typeEbEEZZNS1_14partition_implILS8_3ELb0ES6_jNS0_17counting_iteratorIjlEEPS9_SE_NS0_5tupleIJPjSE_EEENSF_IJSE_SE_EEES9_SG_JZNS1_25segmented_radix_sort_implINS0_14default_configELb0EPKaPaPKlPlN2at6native12_GLOBAL__N_18offset_tEEE10hipError_tPvRmT1_PNSt15iterator_traitsISY_E10value_typeET2_T3_PNSZ_IS14_E10value_typeET4_jRbjT5_S1A_jjP12ihipStream_tbEUljE_EEESV_SW_SX_S14_S18_S1A_T6_T7_T9_mT8_S1C_bDpT10_ENKUlT_T0_E_clISt17integral_constantIbLb1EES1O_IbLb0EEEEDaS1K_S1L_EUlS1K_E_NS1_11comp_targetILNS1_3genE10ELNS1_11target_archE1200ELNS1_3gpuE4ELNS1_3repE0EEENS1_30default_config_static_selectorELNS0_4arch9wavefront6targetE0EEEvSY_.has_indirect_call, 0
	.section	.AMDGPU.csdata,"",@progbits
; Kernel info:
; codeLenInByte = 0
; TotalNumSgprs: 0
; NumVgprs: 0
; ScratchSize: 0
; MemoryBound: 0
; FloatMode: 240
; IeeeMode: 1
; LDSByteSize: 0 bytes/workgroup (compile time only)
; SGPRBlocks: 0
; VGPRBlocks: 0
; NumSGPRsForWavesPerEU: 1
; NumVGPRsForWavesPerEU: 1
; Occupancy: 16
; WaveLimiterHint : 0
; COMPUTE_PGM_RSRC2:SCRATCH_EN: 0
; COMPUTE_PGM_RSRC2:USER_SGPR: 6
; COMPUTE_PGM_RSRC2:TRAP_HANDLER: 0
; COMPUTE_PGM_RSRC2:TGID_X_EN: 1
; COMPUTE_PGM_RSRC2:TGID_Y_EN: 0
; COMPUTE_PGM_RSRC2:TGID_Z_EN: 0
; COMPUTE_PGM_RSRC2:TIDIG_COMP_CNT: 0
	.section	.text._ZN7rocprim17ROCPRIM_400000_NS6detail17trampoline_kernelINS0_13select_configILj256ELj13ELNS0_17block_load_methodE3ELS4_3ELS4_3ELNS0_20block_scan_algorithmE0ELj4294967295EEENS1_25partition_config_selectorILNS1_17partition_subalgoE3EjNS0_10empty_typeEbEEZZNS1_14partition_implILS8_3ELb0ES6_jNS0_17counting_iteratorIjlEEPS9_SE_NS0_5tupleIJPjSE_EEENSF_IJSE_SE_EEES9_SG_JZNS1_25segmented_radix_sort_implINS0_14default_configELb0EPKaPaPKlPlN2at6native12_GLOBAL__N_18offset_tEEE10hipError_tPvRmT1_PNSt15iterator_traitsISY_E10value_typeET2_T3_PNSZ_IS14_E10value_typeET4_jRbjT5_S1A_jjP12ihipStream_tbEUljE_EEESV_SW_SX_S14_S18_S1A_T6_T7_T9_mT8_S1C_bDpT10_ENKUlT_T0_E_clISt17integral_constantIbLb1EES1O_IbLb0EEEEDaS1K_S1L_EUlS1K_E_NS1_11comp_targetILNS1_3genE9ELNS1_11target_archE1100ELNS1_3gpuE3ELNS1_3repE0EEENS1_30default_config_static_selectorELNS0_4arch9wavefront6targetE0EEEvSY_,"axG",@progbits,_ZN7rocprim17ROCPRIM_400000_NS6detail17trampoline_kernelINS0_13select_configILj256ELj13ELNS0_17block_load_methodE3ELS4_3ELS4_3ELNS0_20block_scan_algorithmE0ELj4294967295EEENS1_25partition_config_selectorILNS1_17partition_subalgoE3EjNS0_10empty_typeEbEEZZNS1_14partition_implILS8_3ELb0ES6_jNS0_17counting_iteratorIjlEEPS9_SE_NS0_5tupleIJPjSE_EEENSF_IJSE_SE_EEES9_SG_JZNS1_25segmented_radix_sort_implINS0_14default_configELb0EPKaPaPKlPlN2at6native12_GLOBAL__N_18offset_tEEE10hipError_tPvRmT1_PNSt15iterator_traitsISY_E10value_typeET2_T3_PNSZ_IS14_E10value_typeET4_jRbjT5_S1A_jjP12ihipStream_tbEUljE_EEESV_SW_SX_S14_S18_S1A_T6_T7_T9_mT8_S1C_bDpT10_ENKUlT_T0_E_clISt17integral_constantIbLb1EES1O_IbLb0EEEEDaS1K_S1L_EUlS1K_E_NS1_11comp_targetILNS1_3genE9ELNS1_11target_archE1100ELNS1_3gpuE3ELNS1_3repE0EEENS1_30default_config_static_selectorELNS0_4arch9wavefront6targetE0EEEvSY_,comdat
	.globl	_ZN7rocprim17ROCPRIM_400000_NS6detail17trampoline_kernelINS0_13select_configILj256ELj13ELNS0_17block_load_methodE3ELS4_3ELS4_3ELNS0_20block_scan_algorithmE0ELj4294967295EEENS1_25partition_config_selectorILNS1_17partition_subalgoE3EjNS0_10empty_typeEbEEZZNS1_14partition_implILS8_3ELb0ES6_jNS0_17counting_iteratorIjlEEPS9_SE_NS0_5tupleIJPjSE_EEENSF_IJSE_SE_EEES9_SG_JZNS1_25segmented_radix_sort_implINS0_14default_configELb0EPKaPaPKlPlN2at6native12_GLOBAL__N_18offset_tEEE10hipError_tPvRmT1_PNSt15iterator_traitsISY_E10value_typeET2_T3_PNSZ_IS14_E10value_typeET4_jRbjT5_S1A_jjP12ihipStream_tbEUljE_EEESV_SW_SX_S14_S18_S1A_T6_T7_T9_mT8_S1C_bDpT10_ENKUlT_T0_E_clISt17integral_constantIbLb1EES1O_IbLb0EEEEDaS1K_S1L_EUlS1K_E_NS1_11comp_targetILNS1_3genE9ELNS1_11target_archE1100ELNS1_3gpuE3ELNS1_3repE0EEENS1_30default_config_static_selectorELNS0_4arch9wavefront6targetE0EEEvSY_ ; -- Begin function _ZN7rocprim17ROCPRIM_400000_NS6detail17trampoline_kernelINS0_13select_configILj256ELj13ELNS0_17block_load_methodE3ELS4_3ELS4_3ELNS0_20block_scan_algorithmE0ELj4294967295EEENS1_25partition_config_selectorILNS1_17partition_subalgoE3EjNS0_10empty_typeEbEEZZNS1_14partition_implILS8_3ELb0ES6_jNS0_17counting_iteratorIjlEEPS9_SE_NS0_5tupleIJPjSE_EEENSF_IJSE_SE_EEES9_SG_JZNS1_25segmented_radix_sort_implINS0_14default_configELb0EPKaPaPKlPlN2at6native12_GLOBAL__N_18offset_tEEE10hipError_tPvRmT1_PNSt15iterator_traitsISY_E10value_typeET2_T3_PNSZ_IS14_E10value_typeET4_jRbjT5_S1A_jjP12ihipStream_tbEUljE_EEESV_SW_SX_S14_S18_S1A_T6_T7_T9_mT8_S1C_bDpT10_ENKUlT_T0_E_clISt17integral_constantIbLb1EES1O_IbLb0EEEEDaS1K_S1L_EUlS1K_E_NS1_11comp_targetILNS1_3genE9ELNS1_11target_archE1100ELNS1_3gpuE3ELNS1_3repE0EEENS1_30default_config_static_selectorELNS0_4arch9wavefront6targetE0EEEvSY_
	.p2align	8
	.type	_ZN7rocprim17ROCPRIM_400000_NS6detail17trampoline_kernelINS0_13select_configILj256ELj13ELNS0_17block_load_methodE3ELS4_3ELS4_3ELNS0_20block_scan_algorithmE0ELj4294967295EEENS1_25partition_config_selectorILNS1_17partition_subalgoE3EjNS0_10empty_typeEbEEZZNS1_14partition_implILS8_3ELb0ES6_jNS0_17counting_iteratorIjlEEPS9_SE_NS0_5tupleIJPjSE_EEENSF_IJSE_SE_EEES9_SG_JZNS1_25segmented_radix_sort_implINS0_14default_configELb0EPKaPaPKlPlN2at6native12_GLOBAL__N_18offset_tEEE10hipError_tPvRmT1_PNSt15iterator_traitsISY_E10value_typeET2_T3_PNSZ_IS14_E10value_typeET4_jRbjT5_S1A_jjP12ihipStream_tbEUljE_EEESV_SW_SX_S14_S18_S1A_T6_T7_T9_mT8_S1C_bDpT10_ENKUlT_T0_E_clISt17integral_constantIbLb1EES1O_IbLb0EEEEDaS1K_S1L_EUlS1K_E_NS1_11comp_targetILNS1_3genE9ELNS1_11target_archE1100ELNS1_3gpuE3ELNS1_3repE0EEENS1_30default_config_static_selectorELNS0_4arch9wavefront6targetE0EEEvSY_,@function
_ZN7rocprim17ROCPRIM_400000_NS6detail17trampoline_kernelINS0_13select_configILj256ELj13ELNS0_17block_load_methodE3ELS4_3ELS4_3ELNS0_20block_scan_algorithmE0ELj4294967295EEENS1_25partition_config_selectorILNS1_17partition_subalgoE3EjNS0_10empty_typeEbEEZZNS1_14partition_implILS8_3ELb0ES6_jNS0_17counting_iteratorIjlEEPS9_SE_NS0_5tupleIJPjSE_EEENSF_IJSE_SE_EEES9_SG_JZNS1_25segmented_radix_sort_implINS0_14default_configELb0EPKaPaPKlPlN2at6native12_GLOBAL__N_18offset_tEEE10hipError_tPvRmT1_PNSt15iterator_traitsISY_E10value_typeET2_T3_PNSZ_IS14_E10value_typeET4_jRbjT5_S1A_jjP12ihipStream_tbEUljE_EEESV_SW_SX_S14_S18_S1A_T6_T7_T9_mT8_S1C_bDpT10_ENKUlT_T0_E_clISt17integral_constantIbLb1EES1O_IbLb0EEEEDaS1K_S1L_EUlS1K_E_NS1_11comp_targetILNS1_3genE9ELNS1_11target_archE1100ELNS1_3gpuE3ELNS1_3repE0EEENS1_30default_config_static_selectorELNS0_4arch9wavefront6targetE0EEEvSY_: ; @_ZN7rocprim17ROCPRIM_400000_NS6detail17trampoline_kernelINS0_13select_configILj256ELj13ELNS0_17block_load_methodE3ELS4_3ELS4_3ELNS0_20block_scan_algorithmE0ELj4294967295EEENS1_25partition_config_selectorILNS1_17partition_subalgoE3EjNS0_10empty_typeEbEEZZNS1_14partition_implILS8_3ELb0ES6_jNS0_17counting_iteratorIjlEEPS9_SE_NS0_5tupleIJPjSE_EEENSF_IJSE_SE_EEES9_SG_JZNS1_25segmented_radix_sort_implINS0_14default_configELb0EPKaPaPKlPlN2at6native12_GLOBAL__N_18offset_tEEE10hipError_tPvRmT1_PNSt15iterator_traitsISY_E10value_typeET2_T3_PNSZ_IS14_E10value_typeET4_jRbjT5_S1A_jjP12ihipStream_tbEUljE_EEESV_SW_SX_S14_S18_S1A_T6_T7_T9_mT8_S1C_bDpT10_ENKUlT_T0_E_clISt17integral_constantIbLb1EES1O_IbLb0EEEEDaS1K_S1L_EUlS1K_E_NS1_11comp_targetILNS1_3genE9ELNS1_11target_archE1100ELNS1_3gpuE3ELNS1_3repE0EEENS1_30default_config_static_selectorELNS0_4arch9wavefront6targetE0EEEvSY_
; %bb.0:
	.section	.rodata,"a",@progbits
	.p2align	6, 0x0
	.amdhsa_kernel _ZN7rocprim17ROCPRIM_400000_NS6detail17trampoline_kernelINS0_13select_configILj256ELj13ELNS0_17block_load_methodE3ELS4_3ELS4_3ELNS0_20block_scan_algorithmE0ELj4294967295EEENS1_25partition_config_selectorILNS1_17partition_subalgoE3EjNS0_10empty_typeEbEEZZNS1_14partition_implILS8_3ELb0ES6_jNS0_17counting_iteratorIjlEEPS9_SE_NS0_5tupleIJPjSE_EEENSF_IJSE_SE_EEES9_SG_JZNS1_25segmented_radix_sort_implINS0_14default_configELb0EPKaPaPKlPlN2at6native12_GLOBAL__N_18offset_tEEE10hipError_tPvRmT1_PNSt15iterator_traitsISY_E10value_typeET2_T3_PNSZ_IS14_E10value_typeET4_jRbjT5_S1A_jjP12ihipStream_tbEUljE_EEESV_SW_SX_S14_S18_S1A_T6_T7_T9_mT8_S1C_bDpT10_ENKUlT_T0_E_clISt17integral_constantIbLb1EES1O_IbLb0EEEEDaS1K_S1L_EUlS1K_E_NS1_11comp_targetILNS1_3genE9ELNS1_11target_archE1100ELNS1_3gpuE3ELNS1_3repE0EEENS1_30default_config_static_selectorELNS0_4arch9wavefront6targetE0EEEvSY_
		.amdhsa_group_segment_fixed_size 0
		.amdhsa_private_segment_fixed_size 0
		.amdhsa_kernarg_size 144
		.amdhsa_user_sgpr_count 6
		.amdhsa_user_sgpr_private_segment_buffer 1
		.amdhsa_user_sgpr_dispatch_ptr 0
		.amdhsa_user_sgpr_queue_ptr 0
		.amdhsa_user_sgpr_kernarg_segment_ptr 1
		.amdhsa_user_sgpr_dispatch_id 0
		.amdhsa_user_sgpr_flat_scratch_init 0
		.amdhsa_user_sgpr_private_segment_size 0
		.amdhsa_wavefront_size32 1
		.amdhsa_uses_dynamic_stack 0
		.amdhsa_system_sgpr_private_segment_wavefront_offset 0
		.amdhsa_system_sgpr_workgroup_id_x 1
		.amdhsa_system_sgpr_workgroup_id_y 0
		.amdhsa_system_sgpr_workgroup_id_z 0
		.amdhsa_system_sgpr_workgroup_info 0
		.amdhsa_system_vgpr_workitem_id 0
		.amdhsa_next_free_vgpr 1
		.amdhsa_next_free_sgpr 1
		.amdhsa_reserve_vcc 0
		.amdhsa_reserve_flat_scratch 0
		.amdhsa_float_round_mode_32 0
		.amdhsa_float_round_mode_16_64 0
		.amdhsa_float_denorm_mode_32 3
		.amdhsa_float_denorm_mode_16_64 3
		.amdhsa_dx10_clamp 1
		.amdhsa_ieee_mode 1
		.amdhsa_fp16_overflow 0
		.amdhsa_workgroup_processor_mode 1
		.amdhsa_memory_ordered 1
		.amdhsa_forward_progress 1
		.amdhsa_shared_vgpr_count 0
		.amdhsa_exception_fp_ieee_invalid_op 0
		.amdhsa_exception_fp_denorm_src 0
		.amdhsa_exception_fp_ieee_div_zero 0
		.amdhsa_exception_fp_ieee_overflow 0
		.amdhsa_exception_fp_ieee_underflow 0
		.amdhsa_exception_fp_ieee_inexact 0
		.amdhsa_exception_int_div_zero 0
	.end_amdhsa_kernel
	.section	.text._ZN7rocprim17ROCPRIM_400000_NS6detail17trampoline_kernelINS0_13select_configILj256ELj13ELNS0_17block_load_methodE3ELS4_3ELS4_3ELNS0_20block_scan_algorithmE0ELj4294967295EEENS1_25partition_config_selectorILNS1_17partition_subalgoE3EjNS0_10empty_typeEbEEZZNS1_14partition_implILS8_3ELb0ES6_jNS0_17counting_iteratorIjlEEPS9_SE_NS0_5tupleIJPjSE_EEENSF_IJSE_SE_EEES9_SG_JZNS1_25segmented_radix_sort_implINS0_14default_configELb0EPKaPaPKlPlN2at6native12_GLOBAL__N_18offset_tEEE10hipError_tPvRmT1_PNSt15iterator_traitsISY_E10value_typeET2_T3_PNSZ_IS14_E10value_typeET4_jRbjT5_S1A_jjP12ihipStream_tbEUljE_EEESV_SW_SX_S14_S18_S1A_T6_T7_T9_mT8_S1C_bDpT10_ENKUlT_T0_E_clISt17integral_constantIbLb1EES1O_IbLb0EEEEDaS1K_S1L_EUlS1K_E_NS1_11comp_targetILNS1_3genE9ELNS1_11target_archE1100ELNS1_3gpuE3ELNS1_3repE0EEENS1_30default_config_static_selectorELNS0_4arch9wavefront6targetE0EEEvSY_,"axG",@progbits,_ZN7rocprim17ROCPRIM_400000_NS6detail17trampoline_kernelINS0_13select_configILj256ELj13ELNS0_17block_load_methodE3ELS4_3ELS4_3ELNS0_20block_scan_algorithmE0ELj4294967295EEENS1_25partition_config_selectorILNS1_17partition_subalgoE3EjNS0_10empty_typeEbEEZZNS1_14partition_implILS8_3ELb0ES6_jNS0_17counting_iteratorIjlEEPS9_SE_NS0_5tupleIJPjSE_EEENSF_IJSE_SE_EEES9_SG_JZNS1_25segmented_radix_sort_implINS0_14default_configELb0EPKaPaPKlPlN2at6native12_GLOBAL__N_18offset_tEEE10hipError_tPvRmT1_PNSt15iterator_traitsISY_E10value_typeET2_T3_PNSZ_IS14_E10value_typeET4_jRbjT5_S1A_jjP12ihipStream_tbEUljE_EEESV_SW_SX_S14_S18_S1A_T6_T7_T9_mT8_S1C_bDpT10_ENKUlT_T0_E_clISt17integral_constantIbLb1EES1O_IbLb0EEEEDaS1K_S1L_EUlS1K_E_NS1_11comp_targetILNS1_3genE9ELNS1_11target_archE1100ELNS1_3gpuE3ELNS1_3repE0EEENS1_30default_config_static_selectorELNS0_4arch9wavefront6targetE0EEEvSY_,comdat
.Lfunc_end380:
	.size	_ZN7rocprim17ROCPRIM_400000_NS6detail17trampoline_kernelINS0_13select_configILj256ELj13ELNS0_17block_load_methodE3ELS4_3ELS4_3ELNS0_20block_scan_algorithmE0ELj4294967295EEENS1_25partition_config_selectorILNS1_17partition_subalgoE3EjNS0_10empty_typeEbEEZZNS1_14partition_implILS8_3ELb0ES6_jNS0_17counting_iteratorIjlEEPS9_SE_NS0_5tupleIJPjSE_EEENSF_IJSE_SE_EEES9_SG_JZNS1_25segmented_radix_sort_implINS0_14default_configELb0EPKaPaPKlPlN2at6native12_GLOBAL__N_18offset_tEEE10hipError_tPvRmT1_PNSt15iterator_traitsISY_E10value_typeET2_T3_PNSZ_IS14_E10value_typeET4_jRbjT5_S1A_jjP12ihipStream_tbEUljE_EEESV_SW_SX_S14_S18_S1A_T6_T7_T9_mT8_S1C_bDpT10_ENKUlT_T0_E_clISt17integral_constantIbLb1EES1O_IbLb0EEEEDaS1K_S1L_EUlS1K_E_NS1_11comp_targetILNS1_3genE9ELNS1_11target_archE1100ELNS1_3gpuE3ELNS1_3repE0EEENS1_30default_config_static_selectorELNS0_4arch9wavefront6targetE0EEEvSY_, .Lfunc_end380-_ZN7rocprim17ROCPRIM_400000_NS6detail17trampoline_kernelINS0_13select_configILj256ELj13ELNS0_17block_load_methodE3ELS4_3ELS4_3ELNS0_20block_scan_algorithmE0ELj4294967295EEENS1_25partition_config_selectorILNS1_17partition_subalgoE3EjNS0_10empty_typeEbEEZZNS1_14partition_implILS8_3ELb0ES6_jNS0_17counting_iteratorIjlEEPS9_SE_NS0_5tupleIJPjSE_EEENSF_IJSE_SE_EEES9_SG_JZNS1_25segmented_radix_sort_implINS0_14default_configELb0EPKaPaPKlPlN2at6native12_GLOBAL__N_18offset_tEEE10hipError_tPvRmT1_PNSt15iterator_traitsISY_E10value_typeET2_T3_PNSZ_IS14_E10value_typeET4_jRbjT5_S1A_jjP12ihipStream_tbEUljE_EEESV_SW_SX_S14_S18_S1A_T6_T7_T9_mT8_S1C_bDpT10_ENKUlT_T0_E_clISt17integral_constantIbLb1EES1O_IbLb0EEEEDaS1K_S1L_EUlS1K_E_NS1_11comp_targetILNS1_3genE9ELNS1_11target_archE1100ELNS1_3gpuE3ELNS1_3repE0EEENS1_30default_config_static_selectorELNS0_4arch9wavefront6targetE0EEEvSY_
                                        ; -- End function
	.set _ZN7rocprim17ROCPRIM_400000_NS6detail17trampoline_kernelINS0_13select_configILj256ELj13ELNS0_17block_load_methodE3ELS4_3ELS4_3ELNS0_20block_scan_algorithmE0ELj4294967295EEENS1_25partition_config_selectorILNS1_17partition_subalgoE3EjNS0_10empty_typeEbEEZZNS1_14partition_implILS8_3ELb0ES6_jNS0_17counting_iteratorIjlEEPS9_SE_NS0_5tupleIJPjSE_EEENSF_IJSE_SE_EEES9_SG_JZNS1_25segmented_radix_sort_implINS0_14default_configELb0EPKaPaPKlPlN2at6native12_GLOBAL__N_18offset_tEEE10hipError_tPvRmT1_PNSt15iterator_traitsISY_E10value_typeET2_T3_PNSZ_IS14_E10value_typeET4_jRbjT5_S1A_jjP12ihipStream_tbEUljE_EEESV_SW_SX_S14_S18_S1A_T6_T7_T9_mT8_S1C_bDpT10_ENKUlT_T0_E_clISt17integral_constantIbLb1EES1O_IbLb0EEEEDaS1K_S1L_EUlS1K_E_NS1_11comp_targetILNS1_3genE9ELNS1_11target_archE1100ELNS1_3gpuE3ELNS1_3repE0EEENS1_30default_config_static_selectorELNS0_4arch9wavefront6targetE0EEEvSY_.num_vgpr, 0
	.set _ZN7rocprim17ROCPRIM_400000_NS6detail17trampoline_kernelINS0_13select_configILj256ELj13ELNS0_17block_load_methodE3ELS4_3ELS4_3ELNS0_20block_scan_algorithmE0ELj4294967295EEENS1_25partition_config_selectorILNS1_17partition_subalgoE3EjNS0_10empty_typeEbEEZZNS1_14partition_implILS8_3ELb0ES6_jNS0_17counting_iteratorIjlEEPS9_SE_NS0_5tupleIJPjSE_EEENSF_IJSE_SE_EEES9_SG_JZNS1_25segmented_radix_sort_implINS0_14default_configELb0EPKaPaPKlPlN2at6native12_GLOBAL__N_18offset_tEEE10hipError_tPvRmT1_PNSt15iterator_traitsISY_E10value_typeET2_T3_PNSZ_IS14_E10value_typeET4_jRbjT5_S1A_jjP12ihipStream_tbEUljE_EEESV_SW_SX_S14_S18_S1A_T6_T7_T9_mT8_S1C_bDpT10_ENKUlT_T0_E_clISt17integral_constantIbLb1EES1O_IbLb0EEEEDaS1K_S1L_EUlS1K_E_NS1_11comp_targetILNS1_3genE9ELNS1_11target_archE1100ELNS1_3gpuE3ELNS1_3repE0EEENS1_30default_config_static_selectorELNS0_4arch9wavefront6targetE0EEEvSY_.num_agpr, 0
	.set _ZN7rocprim17ROCPRIM_400000_NS6detail17trampoline_kernelINS0_13select_configILj256ELj13ELNS0_17block_load_methodE3ELS4_3ELS4_3ELNS0_20block_scan_algorithmE0ELj4294967295EEENS1_25partition_config_selectorILNS1_17partition_subalgoE3EjNS0_10empty_typeEbEEZZNS1_14partition_implILS8_3ELb0ES6_jNS0_17counting_iteratorIjlEEPS9_SE_NS0_5tupleIJPjSE_EEENSF_IJSE_SE_EEES9_SG_JZNS1_25segmented_radix_sort_implINS0_14default_configELb0EPKaPaPKlPlN2at6native12_GLOBAL__N_18offset_tEEE10hipError_tPvRmT1_PNSt15iterator_traitsISY_E10value_typeET2_T3_PNSZ_IS14_E10value_typeET4_jRbjT5_S1A_jjP12ihipStream_tbEUljE_EEESV_SW_SX_S14_S18_S1A_T6_T7_T9_mT8_S1C_bDpT10_ENKUlT_T0_E_clISt17integral_constantIbLb1EES1O_IbLb0EEEEDaS1K_S1L_EUlS1K_E_NS1_11comp_targetILNS1_3genE9ELNS1_11target_archE1100ELNS1_3gpuE3ELNS1_3repE0EEENS1_30default_config_static_selectorELNS0_4arch9wavefront6targetE0EEEvSY_.numbered_sgpr, 0
	.set _ZN7rocprim17ROCPRIM_400000_NS6detail17trampoline_kernelINS0_13select_configILj256ELj13ELNS0_17block_load_methodE3ELS4_3ELS4_3ELNS0_20block_scan_algorithmE0ELj4294967295EEENS1_25partition_config_selectorILNS1_17partition_subalgoE3EjNS0_10empty_typeEbEEZZNS1_14partition_implILS8_3ELb0ES6_jNS0_17counting_iteratorIjlEEPS9_SE_NS0_5tupleIJPjSE_EEENSF_IJSE_SE_EEES9_SG_JZNS1_25segmented_radix_sort_implINS0_14default_configELb0EPKaPaPKlPlN2at6native12_GLOBAL__N_18offset_tEEE10hipError_tPvRmT1_PNSt15iterator_traitsISY_E10value_typeET2_T3_PNSZ_IS14_E10value_typeET4_jRbjT5_S1A_jjP12ihipStream_tbEUljE_EEESV_SW_SX_S14_S18_S1A_T6_T7_T9_mT8_S1C_bDpT10_ENKUlT_T0_E_clISt17integral_constantIbLb1EES1O_IbLb0EEEEDaS1K_S1L_EUlS1K_E_NS1_11comp_targetILNS1_3genE9ELNS1_11target_archE1100ELNS1_3gpuE3ELNS1_3repE0EEENS1_30default_config_static_selectorELNS0_4arch9wavefront6targetE0EEEvSY_.num_named_barrier, 0
	.set _ZN7rocprim17ROCPRIM_400000_NS6detail17trampoline_kernelINS0_13select_configILj256ELj13ELNS0_17block_load_methodE3ELS4_3ELS4_3ELNS0_20block_scan_algorithmE0ELj4294967295EEENS1_25partition_config_selectorILNS1_17partition_subalgoE3EjNS0_10empty_typeEbEEZZNS1_14partition_implILS8_3ELb0ES6_jNS0_17counting_iteratorIjlEEPS9_SE_NS0_5tupleIJPjSE_EEENSF_IJSE_SE_EEES9_SG_JZNS1_25segmented_radix_sort_implINS0_14default_configELb0EPKaPaPKlPlN2at6native12_GLOBAL__N_18offset_tEEE10hipError_tPvRmT1_PNSt15iterator_traitsISY_E10value_typeET2_T3_PNSZ_IS14_E10value_typeET4_jRbjT5_S1A_jjP12ihipStream_tbEUljE_EEESV_SW_SX_S14_S18_S1A_T6_T7_T9_mT8_S1C_bDpT10_ENKUlT_T0_E_clISt17integral_constantIbLb1EES1O_IbLb0EEEEDaS1K_S1L_EUlS1K_E_NS1_11comp_targetILNS1_3genE9ELNS1_11target_archE1100ELNS1_3gpuE3ELNS1_3repE0EEENS1_30default_config_static_selectorELNS0_4arch9wavefront6targetE0EEEvSY_.private_seg_size, 0
	.set _ZN7rocprim17ROCPRIM_400000_NS6detail17trampoline_kernelINS0_13select_configILj256ELj13ELNS0_17block_load_methodE3ELS4_3ELS4_3ELNS0_20block_scan_algorithmE0ELj4294967295EEENS1_25partition_config_selectorILNS1_17partition_subalgoE3EjNS0_10empty_typeEbEEZZNS1_14partition_implILS8_3ELb0ES6_jNS0_17counting_iteratorIjlEEPS9_SE_NS0_5tupleIJPjSE_EEENSF_IJSE_SE_EEES9_SG_JZNS1_25segmented_radix_sort_implINS0_14default_configELb0EPKaPaPKlPlN2at6native12_GLOBAL__N_18offset_tEEE10hipError_tPvRmT1_PNSt15iterator_traitsISY_E10value_typeET2_T3_PNSZ_IS14_E10value_typeET4_jRbjT5_S1A_jjP12ihipStream_tbEUljE_EEESV_SW_SX_S14_S18_S1A_T6_T7_T9_mT8_S1C_bDpT10_ENKUlT_T0_E_clISt17integral_constantIbLb1EES1O_IbLb0EEEEDaS1K_S1L_EUlS1K_E_NS1_11comp_targetILNS1_3genE9ELNS1_11target_archE1100ELNS1_3gpuE3ELNS1_3repE0EEENS1_30default_config_static_selectorELNS0_4arch9wavefront6targetE0EEEvSY_.uses_vcc, 0
	.set _ZN7rocprim17ROCPRIM_400000_NS6detail17trampoline_kernelINS0_13select_configILj256ELj13ELNS0_17block_load_methodE3ELS4_3ELS4_3ELNS0_20block_scan_algorithmE0ELj4294967295EEENS1_25partition_config_selectorILNS1_17partition_subalgoE3EjNS0_10empty_typeEbEEZZNS1_14partition_implILS8_3ELb0ES6_jNS0_17counting_iteratorIjlEEPS9_SE_NS0_5tupleIJPjSE_EEENSF_IJSE_SE_EEES9_SG_JZNS1_25segmented_radix_sort_implINS0_14default_configELb0EPKaPaPKlPlN2at6native12_GLOBAL__N_18offset_tEEE10hipError_tPvRmT1_PNSt15iterator_traitsISY_E10value_typeET2_T3_PNSZ_IS14_E10value_typeET4_jRbjT5_S1A_jjP12ihipStream_tbEUljE_EEESV_SW_SX_S14_S18_S1A_T6_T7_T9_mT8_S1C_bDpT10_ENKUlT_T0_E_clISt17integral_constantIbLb1EES1O_IbLb0EEEEDaS1K_S1L_EUlS1K_E_NS1_11comp_targetILNS1_3genE9ELNS1_11target_archE1100ELNS1_3gpuE3ELNS1_3repE0EEENS1_30default_config_static_selectorELNS0_4arch9wavefront6targetE0EEEvSY_.uses_flat_scratch, 0
	.set _ZN7rocprim17ROCPRIM_400000_NS6detail17trampoline_kernelINS0_13select_configILj256ELj13ELNS0_17block_load_methodE3ELS4_3ELS4_3ELNS0_20block_scan_algorithmE0ELj4294967295EEENS1_25partition_config_selectorILNS1_17partition_subalgoE3EjNS0_10empty_typeEbEEZZNS1_14partition_implILS8_3ELb0ES6_jNS0_17counting_iteratorIjlEEPS9_SE_NS0_5tupleIJPjSE_EEENSF_IJSE_SE_EEES9_SG_JZNS1_25segmented_radix_sort_implINS0_14default_configELb0EPKaPaPKlPlN2at6native12_GLOBAL__N_18offset_tEEE10hipError_tPvRmT1_PNSt15iterator_traitsISY_E10value_typeET2_T3_PNSZ_IS14_E10value_typeET4_jRbjT5_S1A_jjP12ihipStream_tbEUljE_EEESV_SW_SX_S14_S18_S1A_T6_T7_T9_mT8_S1C_bDpT10_ENKUlT_T0_E_clISt17integral_constantIbLb1EES1O_IbLb0EEEEDaS1K_S1L_EUlS1K_E_NS1_11comp_targetILNS1_3genE9ELNS1_11target_archE1100ELNS1_3gpuE3ELNS1_3repE0EEENS1_30default_config_static_selectorELNS0_4arch9wavefront6targetE0EEEvSY_.has_dyn_sized_stack, 0
	.set _ZN7rocprim17ROCPRIM_400000_NS6detail17trampoline_kernelINS0_13select_configILj256ELj13ELNS0_17block_load_methodE3ELS4_3ELS4_3ELNS0_20block_scan_algorithmE0ELj4294967295EEENS1_25partition_config_selectorILNS1_17partition_subalgoE3EjNS0_10empty_typeEbEEZZNS1_14partition_implILS8_3ELb0ES6_jNS0_17counting_iteratorIjlEEPS9_SE_NS0_5tupleIJPjSE_EEENSF_IJSE_SE_EEES9_SG_JZNS1_25segmented_radix_sort_implINS0_14default_configELb0EPKaPaPKlPlN2at6native12_GLOBAL__N_18offset_tEEE10hipError_tPvRmT1_PNSt15iterator_traitsISY_E10value_typeET2_T3_PNSZ_IS14_E10value_typeET4_jRbjT5_S1A_jjP12ihipStream_tbEUljE_EEESV_SW_SX_S14_S18_S1A_T6_T7_T9_mT8_S1C_bDpT10_ENKUlT_T0_E_clISt17integral_constantIbLb1EES1O_IbLb0EEEEDaS1K_S1L_EUlS1K_E_NS1_11comp_targetILNS1_3genE9ELNS1_11target_archE1100ELNS1_3gpuE3ELNS1_3repE0EEENS1_30default_config_static_selectorELNS0_4arch9wavefront6targetE0EEEvSY_.has_recursion, 0
	.set _ZN7rocprim17ROCPRIM_400000_NS6detail17trampoline_kernelINS0_13select_configILj256ELj13ELNS0_17block_load_methodE3ELS4_3ELS4_3ELNS0_20block_scan_algorithmE0ELj4294967295EEENS1_25partition_config_selectorILNS1_17partition_subalgoE3EjNS0_10empty_typeEbEEZZNS1_14partition_implILS8_3ELb0ES6_jNS0_17counting_iteratorIjlEEPS9_SE_NS0_5tupleIJPjSE_EEENSF_IJSE_SE_EEES9_SG_JZNS1_25segmented_radix_sort_implINS0_14default_configELb0EPKaPaPKlPlN2at6native12_GLOBAL__N_18offset_tEEE10hipError_tPvRmT1_PNSt15iterator_traitsISY_E10value_typeET2_T3_PNSZ_IS14_E10value_typeET4_jRbjT5_S1A_jjP12ihipStream_tbEUljE_EEESV_SW_SX_S14_S18_S1A_T6_T7_T9_mT8_S1C_bDpT10_ENKUlT_T0_E_clISt17integral_constantIbLb1EES1O_IbLb0EEEEDaS1K_S1L_EUlS1K_E_NS1_11comp_targetILNS1_3genE9ELNS1_11target_archE1100ELNS1_3gpuE3ELNS1_3repE0EEENS1_30default_config_static_selectorELNS0_4arch9wavefront6targetE0EEEvSY_.has_indirect_call, 0
	.section	.AMDGPU.csdata,"",@progbits
; Kernel info:
; codeLenInByte = 0
; TotalNumSgprs: 0
; NumVgprs: 0
; ScratchSize: 0
; MemoryBound: 0
; FloatMode: 240
; IeeeMode: 1
; LDSByteSize: 0 bytes/workgroup (compile time only)
; SGPRBlocks: 0
; VGPRBlocks: 0
; NumSGPRsForWavesPerEU: 1
; NumVGPRsForWavesPerEU: 1
; Occupancy: 16
; WaveLimiterHint : 0
; COMPUTE_PGM_RSRC2:SCRATCH_EN: 0
; COMPUTE_PGM_RSRC2:USER_SGPR: 6
; COMPUTE_PGM_RSRC2:TRAP_HANDLER: 0
; COMPUTE_PGM_RSRC2:TGID_X_EN: 1
; COMPUTE_PGM_RSRC2:TGID_Y_EN: 0
; COMPUTE_PGM_RSRC2:TGID_Z_EN: 0
; COMPUTE_PGM_RSRC2:TIDIG_COMP_CNT: 0
	.section	.text._ZN7rocprim17ROCPRIM_400000_NS6detail17trampoline_kernelINS0_13select_configILj256ELj13ELNS0_17block_load_methodE3ELS4_3ELS4_3ELNS0_20block_scan_algorithmE0ELj4294967295EEENS1_25partition_config_selectorILNS1_17partition_subalgoE3EjNS0_10empty_typeEbEEZZNS1_14partition_implILS8_3ELb0ES6_jNS0_17counting_iteratorIjlEEPS9_SE_NS0_5tupleIJPjSE_EEENSF_IJSE_SE_EEES9_SG_JZNS1_25segmented_radix_sort_implINS0_14default_configELb0EPKaPaPKlPlN2at6native12_GLOBAL__N_18offset_tEEE10hipError_tPvRmT1_PNSt15iterator_traitsISY_E10value_typeET2_T3_PNSZ_IS14_E10value_typeET4_jRbjT5_S1A_jjP12ihipStream_tbEUljE_EEESV_SW_SX_S14_S18_S1A_T6_T7_T9_mT8_S1C_bDpT10_ENKUlT_T0_E_clISt17integral_constantIbLb1EES1O_IbLb0EEEEDaS1K_S1L_EUlS1K_E_NS1_11comp_targetILNS1_3genE8ELNS1_11target_archE1030ELNS1_3gpuE2ELNS1_3repE0EEENS1_30default_config_static_selectorELNS0_4arch9wavefront6targetE0EEEvSY_,"axG",@progbits,_ZN7rocprim17ROCPRIM_400000_NS6detail17trampoline_kernelINS0_13select_configILj256ELj13ELNS0_17block_load_methodE3ELS4_3ELS4_3ELNS0_20block_scan_algorithmE0ELj4294967295EEENS1_25partition_config_selectorILNS1_17partition_subalgoE3EjNS0_10empty_typeEbEEZZNS1_14partition_implILS8_3ELb0ES6_jNS0_17counting_iteratorIjlEEPS9_SE_NS0_5tupleIJPjSE_EEENSF_IJSE_SE_EEES9_SG_JZNS1_25segmented_radix_sort_implINS0_14default_configELb0EPKaPaPKlPlN2at6native12_GLOBAL__N_18offset_tEEE10hipError_tPvRmT1_PNSt15iterator_traitsISY_E10value_typeET2_T3_PNSZ_IS14_E10value_typeET4_jRbjT5_S1A_jjP12ihipStream_tbEUljE_EEESV_SW_SX_S14_S18_S1A_T6_T7_T9_mT8_S1C_bDpT10_ENKUlT_T0_E_clISt17integral_constantIbLb1EES1O_IbLb0EEEEDaS1K_S1L_EUlS1K_E_NS1_11comp_targetILNS1_3genE8ELNS1_11target_archE1030ELNS1_3gpuE2ELNS1_3repE0EEENS1_30default_config_static_selectorELNS0_4arch9wavefront6targetE0EEEvSY_,comdat
	.globl	_ZN7rocprim17ROCPRIM_400000_NS6detail17trampoline_kernelINS0_13select_configILj256ELj13ELNS0_17block_load_methodE3ELS4_3ELS4_3ELNS0_20block_scan_algorithmE0ELj4294967295EEENS1_25partition_config_selectorILNS1_17partition_subalgoE3EjNS0_10empty_typeEbEEZZNS1_14partition_implILS8_3ELb0ES6_jNS0_17counting_iteratorIjlEEPS9_SE_NS0_5tupleIJPjSE_EEENSF_IJSE_SE_EEES9_SG_JZNS1_25segmented_radix_sort_implINS0_14default_configELb0EPKaPaPKlPlN2at6native12_GLOBAL__N_18offset_tEEE10hipError_tPvRmT1_PNSt15iterator_traitsISY_E10value_typeET2_T3_PNSZ_IS14_E10value_typeET4_jRbjT5_S1A_jjP12ihipStream_tbEUljE_EEESV_SW_SX_S14_S18_S1A_T6_T7_T9_mT8_S1C_bDpT10_ENKUlT_T0_E_clISt17integral_constantIbLb1EES1O_IbLb0EEEEDaS1K_S1L_EUlS1K_E_NS1_11comp_targetILNS1_3genE8ELNS1_11target_archE1030ELNS1_3gpuE2ELNS1_3repE0EEENS1_30default_config_static_selectorELNS0_4arch9wavefront6targetE0EEEvSY_ ; -- Begin function _ZN7rocprim17ROCPRIM_400000_NS6detail17trampoline_kernelINS0_13select_configILj256ELj13ELNS0_17block_load_methodE3ELS4_3ELS4_3ELNS0_20block_scan_algorithmE0ELj4294967295EEENS1_25partition_config_selectorILNS1_17partition_subalgoE3EjNS0_10empty_typeEbEEZZNS1_14partition_implILS8_3ELb0ES6_jNS0_17counting_iteratorIjlEEPS9_SE_NS0_5tupleIJPjSE_EEENSF_IJSE_SE_EEES9_SG_JZNS1_25segmented_radix_sort_implINS0_14default_configELb0EPKaPaPKlPlN2at6native12_GLOBAL__N_18offset_tEEE10hipError_tPvRmT1_PNSt15iterator_traitsISY_E10value_typeET2_T3_PNSZ_IS14_E10value_typeET4_jRbjT5_S1A_jjP12ihipStream_tbEUljE_EEESV_SW_SX_S14_S18_S1A_T6_T7_T9_mT8_S1C_bDpT10_ENKUlT_T0_E_clISt17integral_constantIbLb1EES1O_IbLb0EEEEDaS1K_S1L_EUlS1K_E_NS1_11comp_targetILNS1_3genE8ELNS1_11target_archE1030ELNS1_3gpuE2ELNS1_3repE0EEENS1_30default_config_static_selectorELNS0_4arch9wavefront6targetE0EEEvSY_
	.p2align	8
	.type	_ZN7rocprim17ROCPRIM_400000_NS6detail17trampoline_kernelINS0_13select_configILj256ELj13ELNS0_17block_load_methodE3ELS4_3ELS4_3ELNS0_20block_scan_algorithmE0ELj4294967295EEENS1_25partition_config_selectorILNS1_17partition_subalgoE3EjNS0_10empty_typeEbEEZZNS1_14partition_implILS8_3ELb0ES6_jNS0_17counting_iteratorIjlEEPS9_SE_NS0_5tupleIJPjSE_EEENSF_IJSE_SE_EEES9_SG_JZNS1_25segmented_radix_sort_implINS0_14default_configELb0EPKaPaPKlPlN2at6native12_GLOBAL__N_18offset_tEEE10hipError_tPvRmT1_PNSt15iterator_traitsISY_E10value_typeET2_T3_PNSZ_IS14_E10value_typeET4_jRbjT5_S1A_jjP12ihipStream_tbEUljE_EEESV_SW_SX_S14_S18_S1A_T6_T7_T9_mT8_S1C_bDpT10_ENKUlT_T0_E_clISt17integral_constantIbLb1EES1O_IbLb0EEEEDaS1K_S1L_EUlS1K_E_NS1_11comp_targetILNS1_3genE8ELNS1_11target_archE1030ELNS1_3gpuE2ELNS1_3repE0EEENS1_30default_config_static_selectorELNS0_4arch9wavefront6targetE0EEEvSY_,@function
_ZN7rocprim17ROCPRIM_400000_NS6detail17trampoline_kernelINS0_13select_configILj256ELj13ELNS0_17block_load_methodE3ELS4_3ELS4_3ELNS0_20block_scan_algorithmE0ELj4294967295EEENS1_25partition_config_selectorILNS1_17partition_subalgoE3EjNS0_10empty_typeEbEEZZNS1_14partition_implILS8_3ELb0ES6_jNS0_17counting_iteratorIjlEEPS9_SE_NS0_5tupleIJPjSE_EEENSF_IJSE_SE_EEES9_SG_JZNS1_25segmented_radix_sort_implINS0_14default_configELb0EPKaPaPKlPlN2at6native12_GLOBAL__N_18offset_tEEE10hipError_tPvRmT1_PNSt15iterator_traitsISY_E10value_typeET2_T3_PNSZ_IS14_E10value_typeET4_jRbjT5_S1A_jjP12ihipStream_tbEUljE_EEESV_SW_SX_S14_S18_S1A_T6_T7_T9_mT8_S1C_bDpT10_ENKUlT_T0_E_clISt17integral_constantIbLb1EES1O_IbLb0EEEEDaS1K_S1L_EUlS1K_E_NS1_11comp_targetILNS1_3genE8ELNS1_11target_archE1030ELNS1_3gpuE2ELNS1_3repE0EEENS1_30default_config_static_selectorELNS0_4arch9wavefront6targetE0EEEvSY_: ; @_ZN7rocprim17ROCPRIM_400000_NS6detail17trampoline_kernelINS0_13select_configILj256ELj13ELNS0_17block_load_methodE3ELS4_3ELS4_3ELNS0_20block_scan_algorithmE0ELj4294967295EEENS1_25partition_config_selectorILNS1_17partition_subalgoE3EjNS0_10empty_typeEbEEZZNS1_14partition_implILS8_3ELb0ES6_jNS0_17counting_iteratorIjlEEPS9_SE_NS0_5tupleIJPjSE_EEENSF_IJSE_SE_EEES9_SG_JZNS1_25segmented_radix_sort_implINS0_14default_configELb0EPKaPaPKlPlN2at6native12_GLOBAL__N_18offset_tEEE10hipError_tPvRmT1_PNSt15iterator_traitsISY_E10value_typeET2_T3_PNSZ_IS14_E10value_typeET4_jRbjT5_S1A_jjP12ihipStream_tbEUljE_EEESV_SW_SX_S14_S18_S1A_T6_T7_T9_mT8_S1C_bDpT10_ENKUlT_T0_E_clISt17integral_constantIbLb1EES1O_IbLb0EEEEDaS1K_S1L_EUlS1K_E_NS1_11comp_targetILNS1_3genE8ELNS1_11target_archE1030ELNS1_3gpuE2ELNS1_3repE0EEENS1_30default_config_static_selectorELNS0_4arch9wavefront6targetE0EEEvSY_
; %bb.0:
	s_endpgm
	.section	.rodata,"a",@progbits
	.p2align	6, 0x0
	.amdhsa_kernel _ZN7rocprim17ROCPRIM_400000_NS6detail17trampoline_kernelINS0_13select_configILj256ELj13ELNS0_17block_load_methodE3ELS4_3ELS4_3ELNS0_20block_scan_algorithmE0ELj4294967295EEENS1_25partition_config_selectorILNS1_17partition_subalgoE3EjNS0_10empty_typeEbEEZZNS1_14partition_implILS8_3ELb0ES6_jNS0_17counting_iteratorIjlEEPS9_SE_NS0_5tupleIJPjSE_EEENSF_IJSE_SE_EEES9_SG_JZNS1_25segmented_radix_sort_implINS0_14default_configELb0EPKaPaPKlPlN2at6native12_GLOBAL__N_18offset_tEEE10hipError_tPvRmT1_PNSt15iterator_traitsISY_E10value_typeET2_T3_PNSZ_IS14_E10value_typeET4_jRbjT5_S1A_jjP12ihipStream_tbEUljE_EEESV_SW_SX_S14_S18_S1A_T6_T7_T9_mT8_S1C_bDpT10_ENKUlT_T0_E_clISt17integral_constantIbLb1EES1O_IbLb0EEEEDaS1K_S1L_EUlS1K_E_NS1_11comp_targetILNS1_3genE8ELNS1_11target_archE1030ELNS1_3gpuE2ELNS1_3repE0EEENS1_30default_config_static_selectorELNS0_4arch9wavefront6targetE0EEEvSY_
		.amdhsa_group_segment_fixed_size 0
		.amdhsa_private_segment_fixed_size 0
		.amdhsa_kernarg_size 144
		.amdhsa_user_sgpr_count 6
		.amdhsa_user_sgpr_private_segment_buffer 1
		.amdhsa_user_sgpr_dispatch_ptr 0
		.amdhsa_user_sgpr_queue_ptr 0
		.amdhsa_user_sgpr_kernarg_segment_ptr 1
		.amdhsa_user_sgpr_dispatch_id 0
		.amdhsa_user_sgpr_flat_scratch_init 0
		.amdhsa_user_sgpr_private_segment_size 0
		.amdhsa_wavefront_size32 1
		.amdhsa_uses_dynamic_stack 0
		.amdhsa_system_sgpr_private_segment_wavefront_offset 0
		.amdhsa_system_sgpr_workgroup_id_x 1
		.amdhsa_system_sgpr_workgroup_id_y 0
		.amdhsa_system_sgpr_workgroup_id_z 0
		.amdhsa_system_sgpr_workgroup_info 0
		.amdhsa_system_vgpr_workitem_id 0
		.amdhsa_next_free_vgpr 1
		.amdhsa_next_free_sgpr 1
		.amdhsa_reserve_vcc 0
		.amdhsa_reserve_flat_scratch 0
		.amdhsa_float_round_mode_32 0
		.amdhsa_float_round_mode_16_64 0
		.amdhsa_float_denorm_mode_32 3
		.amdhsa_float_denorm_mode_16_64 3
		.amdhsa_dx10_clamp 1
		.amdhsa_ieee_mode 1
		.amdhsa_fp16_overflow 0
		.amdhsa_workgroup_processor_mode 1
		.amdhsa_memory_ordered 1
		.amdhsa_forward_progress 1
		.amdhsa_shared_vgpr_count 0
		.amdhsa_exception_fp_ieee_invalid_op 0
		.amdhsa_exception_fp_denorm_src 0
		.amdhsa_exception_fp_ieee_div_zero 0
		.amdhsa_exception_fp_ieee_overflow 0
		.amdhsa_exception_fp_ieee_underflow 0
		.amdhsa_exception_fp_ieee_inexact 0
		.amdhsa_exception_int_div_zero 0
	.end_amdhsa_kernel
	.section	.text._ZN7rocprim17ROCPRIM_400000_NS6detail17trampoline_kernelINS0_13select_configILj256ELj13ELNS0_17block_load_methodE3ELS4_3ELS4_3ELNS0_20block_scan_algorithmE0ELj4294967295EEENS1_25partition_config_selectorILNS1_17partition_subalgoE3EjNS0_10empty_typeEbEEZZNS1_14partition_implILS8_3ELb0ES6_jNS0_17counting_iteratorIjlEEPS9_SE_NS0_5tupleIJPjSE_EEENSF_IJSE_SE_EEES9_SG_JZNS1_25segmented_radix_sort_implINS0_14default_configELb0EPKaPaPKlPlN2at6native12_GLOBAL__N_18offset_tEEE10hipError_tPvRmT1_PNSt15iterator_traitsISY_E10value_typeET2_T3_PNSZ_IS14_E10value_typeET4_jRbjT5_S1A_jjP12ihipStream_tbEUljE_EEESV_SW_SX_S14_S18_S1A_T6_T7_T9_mT8_S1C_bDpT10_ENKUlT_T0_E_clISt17integral_constantIbLb1EES1O_IbLb0EEEEDaS1K_S1L_EUlS1K_E_NS1_11comp_targetILNS1_3genE8ELNS1_11target_archE1030ELNS1_3gpuE2ELNS1_3repE0EEENS1_30default_config_static_selectorELNS0_4arch9wavefront6targetE0EEEvSY_,"axG",@progbits,_ZN7rocprim17ROCPRIM_400000_NS6detail17trampoline_kernelINS0_13select_configILj256ELj13ELNS0_17block_load_methodE3ELS4_3ELS4_3ELNS0_20block_scan_algorithmE0ELj4294967295EEENS1_25partition_config_selectorILNS1_17partition_subalgoE3EjNS0_10empty_typeEbEEZZNS1_14partition_implILS8_3ELb0ES6_jNS0_17counting_iteratorIjlEEPS9_SE_NS0_5tupleIJPjSE_EEENSF_IJSE_SE_EEES9_SG_JZNS1_25segmented_radix_sort_implINS0_14default_configELb0EPKaPaPKlPlN2at6native12_GLOBAL__N_18offset_tEEE10hipError_tPvRmT1_PNSt15iterator_traitsISY_E10value_typeET2_T3_PNSZ_IS14_E10value_typeET4_jRbjT5_S1A_jjP12ihipStream_tbEUljE_EEESV_SW_SX_S14_S18_S1A_T6_T7_T9_mT8_S1C_bDpT10_ENKUlT_T0_E_clISt17integral_constantIbLb1EES1O_IbLb0EEEEDaS1K_S1L_EUlS1K_E_NS1_11comp_targetILNS1_3genE8ELNS1_11target_archE1030ELNS1_3gpuE2ELNS1_3repE0EEENS1_30default_config_static_selectorELNS0_4arch9wavefront6targetE0EEEvSY_,comdat
.Lfunc_end381:
	.size	_ZN7rocprim17ROCPRIM_400000_NS6detail17trampoline_kernelINS0_13select_configILj256ELj13ELNS0_17block_load_methodE3ELS4_3ELS4_3ELNS0_20block_scan_algorithmE0ELj4294967295EEENS1_25partition_config_selectorILNS1_17partition_subalgoE3EjNS0_10empty_typeEbEEZZNS1_14partition_implILS8_3ELb0ES6_jNS0_17counting_iteratorIjlEEPS9_SE_NS0_5tupleIJPjSE_EEENSF_IJSE_SE_EEES9_SG_JZNS1_25segmented_radix_sort_implINS0_14default_configELb0EPKaPaPKlPlN2at6native12_GLOBAL__N_18offset_tEEE10hipError_tPvRmT1_PNSt15iterator_traitsISY_E10value_typeET2_T3_PNSZ_IS14_E10value_typeET4_jRbjT5_S1A_jjP12ihipStream_tbEUljE_EEESV_SW_SX_S14_S18_S1A_T6_T7_T9_mT8_S1C_bDpT10_ENKUlT_T0_E_clISt17integral_constantIbLb1EES1O_IbLb0EEEEDaS1K_S1L_EUlS1K_E_NS1_11comp_targetILNS1_3genE8ELNS1_11target_archE1030ELNS1_3gpuE2ELNS1_3repE0EEENS1_30default_config_static_selectorELNS0_4arch9wavefront6targetE0EEEvSY_, .Lfunc_end381-_ZN7rocprim17ROCPRIM_400000_NS6detail17trampoline_kernelINS0_13select_configILj256ELj13ELNS0_17block_load_methodE3ELS4_3ELS4_3ELNS0_20block_scan_algorithmE0ELj4294967295EEENS1_25partition_config_selectorILNS1_17partition_subalgoE3EjNS0_10empty_typeEbEEZZNS1_14partition_implILS8_3ELb0ES6_jNS0_17counting_iteratorIjlEEPS9_SE_NS0_5tupleIJPjSE_EEENSF_IJSE_SE_EEES9_SG_JZNS1_25segmented_radix_sort_implINS0_14default_configELb0EPKaPaPKlPlN2at6native12_GLOBAL__N_18offset_tEEE10hipError_tPvRmT1_PNSt15iterator_traitsISY_E10value_typeET2_T3_PNSZ_IS14_E10value_typeET4_jRbjT5_S1A_jjP12ihipStream_tbEUljE_EEESV_SW_SX_S14_S18_S1A_T6_T7_T9_mT8_S1C_bDpT10_ENKUlT_T0_E_clISt17integral_constantIbLb1EES1O_IbLb0EEEEDaS1K_S1L_EUlS1K_E_NS1_11comp_targetILNS1_3genE8ELNS1_11target_archE1030ELNS1_3gpuE2ELNS1_3repE0EEENS1_30default_config_static_selectorELNS0_4arch9wavefront6targetE0EEEvSY_
                                        ; -- End function
	.set _ZN7rocprim17ROCPRIM_400000_NS6detail17trampoline_kernelINS0_13select_configILj256ELj13ELNS0_17block_load_methodE3ELS4_3ELS4_3ELNS0_20block_scan_algorithmE0ELj4294967295EEENS1_25partition_config_selectorILNS1_17partition_subalgoE3EjNS0_10empty_typeEbEEZZNS1_14partition_implILS8_3ELb0ES6_jNS0_17counting_iteratorIjlEEPS9_SE_NS0_5tupleIJPjSE_EEENSF_IJSE_SE_EEES9_SG_JZNS1_25segmented_radix_sort_implINS0_14default_configELb0EPKaPaPKlPlN2at6native12_GLOBAL__N_18offset_tEEE10hipError_tPvRmT1_PNSt15iterator_traitsISY_E10value_typeET2_T3_PNSZ_IS14_E10value_typeET4_jRbjT5_S1A_jjP12ihipStream_tbEUljE_EEESV_SW_SX_S14_S18_S1A_T6_T7_T9_mT8_S1C_bDpT10_ENKUlT_T0_E_clISt17integral_constantIbLb1EES1O_IbLb0EEEEDaS1K_S1L_EUlS1K_E_NS1_11comp_targetILNS1_3genE8ELNS1_11target_archE1030ELNS1_3gpuE2ELNS1_3repE0EEENS1_30default_config_static_selectorELNS0_4arch9wavefront6targetE0EEEvSY_.num_vgpr, 0
	.set _ZN7rocprim17ROCPRIM_400000_NS6detail17trampoline_kernelINS0_13select_configILj256ELj13ELNS0_17block_load_methodE3ELS4_3ELS4_3ELNS0_20block_scan_algorithmE0ELj4294967295EEENS1_25partition_config_selectorILNS1_17partition_subalgoE3EjNS0_10empty_typeEbEEZZNS1_14partition_implILS8_3ELb0ES6_jNS0_17counting_iteratorIjlEEPS9_SE_NS0_5tupleIJPjSE_EEENSF_IJSE_SE_EEES9_SG_JZNS1_25segmented_radix_sort_implINS0_14default_configELb0EPKaPaPKlPlN2at6native12_GLOBAL__N_18offset_tEEE10hipError_tPvRmT1_PNSt15iterator_traitsISY_E10value_typeET2_T3_PNSZ_IS14_E10value_typeET4_jRbjT5_S1A_jjP12ihipStream_tbEUljE_EEESV_SW_SX_S14_S18_S1A_T6_T7_T9_mT8_S1C_bDpT10_ENKUlT_T0_E_clISt17integral_constantIbLb1EES1O_IbLb0EEEEDaS1K_S1L_EUlS1K_E_NS1_11comp_targetILNS1_3genE8ELNS1_11target_archE1030ELNS1_3gpuE2ELNS1_3repE0EEENS1_30default_config_static_selectorELNS0_4arch9wavefront6targetE0EEEvSY_.num_agpr, 0
	.set _ZN7rocprim17ROCPRIM_400000_NS6detail17trampoline_kernelINS0_13select_configILj256ELj13ELNS0_17block_load_methodE3ELS4_3ELS4_3ELNS0_20block_scan_algorithmE0ELj4294967295EEENS1_25partition_config_selectorILNS1_17partition_subalgoE3EjNS0_10empty_typeEbEEZZNS1_14partition_implILS8_3ELb0ES6_jNS0_17counting_iteratorIjlEEPS9_SE_NS0_5tupleIJPjSE_EEENSF_IJSE_SE_EEES9_SG_JZNS1_25segmented_radix_sort_implINS0_14default_configELb0EPKaPaPKlPlN2at6native12_GLOBAL__N_18offset_tEEE10hipError_tPvRmT1_PNSt15iterator_traitsISY_E10value_typeET2_T3_PNSZ_IS14_E10value_typeET4_jRbjT5_S1A_jjP12ihipStream_tbEUljE_EEESV_SW_SX_S14_S18_S1A_T6_T7_T9_mT8_S1C_bDpT10_ENKUlT_T0_E_clISt17integral_constantIbLb1EES1O_IbLb0EEEEDaS1K_S1L_EUlS1K_E_NS1_11comp_targetILNS1_3genE8ELNS1_11target_archE1030ELNS1_3gpuE2ELNS1_3repE0EEENS1_30default_config_static_selectorELNS0_4arch9wavefront6targetE0EEEvSY_.numbered_sgpr, 0
	.set _ZN7rocprim17ROCPRIM_400000_NS6detail17trampoline_kernelINS0_13select_configILj256ELj13ELNS0_17block_load_methodE3ELS4_3ELS4_3ELNS0_20block_scan_algorithmE0ELj4294967295EEENS1_25partition_config_selectorILNS1_17partition_subalgoE3EjNS0_10empty_typeEbEEZZNS1_14partition_implILS8_3ELb0ES6_jNS0_17counting_iteratorIjlEEPS9_SE_NS0_5tupleIJPjSE_EEENSF_IJSE_SE_EEES9_SG_JZNS1_25segmented_radix_sort_implINS0_14default_configELb0EPKaPaPKlPlN2at6native12_GLOBAL__N_18offset_tEEE10hipError_tPvRmT1_PNSt15iterator_traitsISY_E10value_typeET2_T3_PNSZ_IS14_E10value_typeET4_jRbjT5_S1A_jjP12ihipStream_tbEUljE_EEESV_SW_SX_S14_S18_S1A_T6_T7_T9_mT8_S1C_bDpT10_ENKUlT_T0_E_clISt17integral_constantIbLb1EES1O_IbLb0EEEEDaS1K_S1L_EUlS1K_E_NS1_11comp_targetILNS1_3genE8ELNS1_11target_archE1030ELNS1_3gpuE2ELNS1_3repE0EEENS1_30default_config_static_selectorELNS0_4arch9wavefront6targetE0EEEvSY_.num_named_barrier, 0
	.set _ZN7rocprim17ROCPRIM_400000_NS6detail17trampoline_kernelINS0_13select_configILj256ELj13ELNS0_17block_load_methodE3ELS4_3ELS4_3ELNS0_20block_scan_algorithmE0ELj4294967295EEENS1_25partition_config_selectorILNS1_17partition_subalgoE3EjNS0_10empty_typeEbEEZZNS1_14partition_implILS8_3ELb0ES6_jNS0_17counting_iteratorIjlEEPS9_SE_NS0_5tupleIJPjSE_EEENSF_IJSE_SE_EEES9_SG_JZNS1_25segmented_radix_sort_implINS0_14default_configELb0EPKaPaPKlPlN2at6native12_GLOBAL__N_18offset_tEEE10hipError_tPvRmT1_PNSt15iterator_traitsISY_E10value_typeET2_T3_PNSZ_IS14_E10value_typeET4_jRbjT5_S1A_jjP12ihipStream_tbEUljE_EEESV_SW_SX_S14_S18_S1A_T6_T7_T9_mT8_S1C_bDpT10_ENKUlT_T0_E_clISt17integral_constantIbLb1EES1O_IbLb0EEEEDaS1K_S1L_EUlS1K_E_NS1_11comp_targetILNS1_3genE8ELNS1_11target_archE1030ELNS1_3gpuE2ELNS1_3repE0EEENS1_30default_config_static_selectorELNS0_4arch9wavefront6targetE0EEEvSY_.private_seg_size, 0
	.set _ZN7rocprim17ROCPRIM_400000_NS6detail17trampoline_kernelINS0_13select_configILj256ELj13ELNS0_17block_load_methodE3ELS4_3ELS4_3ELNS0_20block_scan_algorithmE0ELj4294967295EEENS1_25partition_config_selectorILNS1_17partition_subalgoE3EjNS0_10empty_typeEbEEZZNS1_14partition_implILS8_3ELb0ES6_jNS0_17counting_iteratorIjlEEPS9_SE_NS0_5tupleIJPjSE_EEENSF_IJSE_SE_EEES9_SG_JZNS1_25segmented_radix_sort_implINS0_14default_configELb0EPKaPaPKlPlN2at6native12_GLOBAL__N_18offset_tEEE10hipError_tPvRmT1_PNSt15iterator_traitsISY_E10value_typeET2_T3_PNSZ_IS14_E10value_typeET4_jRbjT5_S1A_jjP12ihipStream_tbEUljE_EEESV_SW_SX_S14_S18_S1A_T6_T7_T9_mT8_S1C_bDpT10_ENKUlT_T0_E_clISt17integral_constantIbLb1EES1O_IbLb0EEEEDaS1K_S1L_EUlS1K_E_NS1_11comp_targetILNS1_3genE8ELNS1_11target_archE1030ELNS1_3gpuE2ELNS1_3repE0EEENS1_30default_config_static_selectorELNS0_4arch9wavefront6targetE0EEEvSY_.uses_vcc, 0
	.set _ZN7rocprim17ROCPRIM_400000_NS6detail17trampoline_kernelINS0_13select_configILj256ELj13ELNS0_17block_load_methodE3ELS4_3ELS4_3ELNS0_20block_scan_algorithmE0ELj4294967295EEENS1_25partition_config_selectorILNS1_17partition_subalgoE3EjNS0_10empty_typeEbEEZZNS1_14partition_implILS8_3ELb0ES6_jNS0_17counting_iteratorIjlEEPS9_SE_NS0_5tupleIJPjSE_EEENSF_IJSE_SE_EEES9_SG_JZNS1_25segmented_radix_sort_implINS0_14default_configELb0EPKaPaPKlPlN2at6native12_GLOBAL__N_18offset_tEEE10hipError_tPvRmT1_PNSt15iterator_traitsISY_E10value_typeET2_T3_PNSZ_IS14_E10value_typeET4_jRbjT5_S1A_jjP12ihipStream_tbEUljE_EEESV_SW_SX_S14_S18_S1A_T6_T7_T9_mT8_S1C_bDpT10_ENKUlT_T0_E_clISt17integral_constantIbLb1EES1O_IbLb0EEEEDaS1K_S1L_EUlS1K_E_NS1_11comp_targetILNS1_3genE8ELNS1_11target_archE1030ELNS1_3gpuE2ELNS1_3repE0EEENS1_30default_config_static_selectorELNS0_4arch9wavefront6targetE0EEEvSY_.uses_flat_scratch, 0
	.set _ZN7rocprim17ROCPRIM_400000_NS6detail17trampoline_kernelINS0_13select_configILj256ELj13ELNS0_17block_load_methodE3ELS4_3ELS4_3ELNS0_20block_scan_algorithmE0ELj4294967295EEENS1_25partition_config_selectorILNS1_17partition_subalgoE3EjNS0_10empty_typeEbEEZZNS1_14partition_implILS8_3ELb0ES6_jNS0_17counting_iteratorIjlEEPS9_SE_NS0_5tupleIJPjSE_EEENSF_IJSE_SE_EEES9_SG_JZNS1_25segmented_radix_sort_implINS0_14default_configELb0EPKaPaPKlPlN2at6native12_GLOBAL__N_18offset_tEEE10hipError_tPvRmT1_PNSt15iterator_traitsISY_E10value_typeET2_T3_PNSZ_IS14_E10value_typeET4_jRbjT5_S1A_jjP12ihipStream_tbEUljE_EEESV_SW_SX_S14_S18_S1A_T6_T7_T9_mT8_S1C_bDpT10_ENKUlT_T0_E_clISt17integral_constantIbLb1EES1O_IbLb0EEEEDaS1K_S1L_EUlS1K_E_NS1_11comp_targetILNS1_3genE8ELNS1_11target_archE1030ELNS1_3gpuE2ELNS1_3repE0EEENS1_30default_config_static_selectorELNS0_4arch9wavefront6targetE0EEEvSY_.has_dyn_sized_stack, 0
	.set _ZN7rocprim17ROCPRIM_400000_NS6detail17trampoline_kernelINS0_13select_configILj256ELj13ELNS0_17block_load_methodE3ELS4_3ELS4_3ELNS0_20block_scan_algorithmE0ELj4294967295EEENS1_25partition_config_selectorILNS1_17partition_subalgoE3EjNS0_10empty_typeEbEEZZNS1_14partition_implILS8_3ELb0ES6_jNS0_17counting_iteratorIjlEEPS9_SE_NS0_5tupleIJPjSE_EEENSF_IJSE_SE_EEES9_SG_JZNS1_25segmented_radix_sort_implINS0_14default_configELb0EPKaPaPKlPlN2at6native12_GLOBAL__N_18offset_tEEE10hipError_tPvRmT1_PNSt15iterator_traitsISY_E10value_typeET2_T3_PNSZ_IS14_E10value_typeET4_jRbjT5_S1A_jjP12ihipStream_tbEUljE_EEESV_SW_SX_S14_S18_S1A_T6_T7_T9_mT8_S1C_bDpT10_ENKUlT_T0_E_clISt17integral_constantIbLb1EES1O_IbLb0EEEEDaS1K_S1L_EUlS1K_E_NS1_11comp_targetILNS1_3genE8ELNS1_11target_archE1030ELNS1_3gpuE2ELNS1_3repE0EEENS1_30default_config_static_selectorELNS0_4arch9wavefront6targetE0EEEvSY_.has_recursion, 0
	.set _ZN7rocprim17ROCPRIM_400000_NS6detail17trampoline_kernelINS0_13select_configILj256ELj13ELNS0_17block_load_methodE3ELS4_3ELS4_3ELNS0_20block_scan_algorithmE0ELj4294967295EEENS1_25partition_config_selectorILNS1_17partition_subalgoE3EjNS0_10empty_typeEbEEZZNS1_14partition_implILS8_3ELb0ES6_jNS0_17counting_iteratorIjlEEPS9_SE_NS0_5tupleIJPjSE_EEENSF_IJSE_SE_EEES9_SG_JZNS1_25segmented_radix_sort_implINS0_14default_configELb0EPKaPaPKlPlN2at6native12_GLOBAL__N_18offset_tEEE10hipError_tPvRmT1_PNSt15iterator_traitsISY_E10value_typeET2_T3_PNSZ_IS14_E10value_typeET4_jRbjT5_S1A_jjP12ihipStream_tbEUljE_EEESV_SW_SX_S14_S18_S1A_T6_T7_T9_mT8_S1C_bDpT10_ENKUlT_T0_E_clISt17integral_constantIbLb1EES1O_IbLb0EEEEDaS1K_S1L_EUlS1K_E_NS1_11comp_targetILNS1_3genE8ELNS1_11target_archE1030ELNS1_3gpuE2ELNS1_3repE0EEENS1_30default_config_static_selectorELNS0_4arch9wavefront6targetE0EEEvSY_.has_indirect_call, 0
	.section	.AMDGPU.csdata,"",@progbits
; Kernel info:
; codeLenInByte = 4
; TotalNumSgprs: 0
; NumVgprs: 0
; ScratchSize: 0
; MemoryBound: 0
; FloatMode: 240
; IeeeMode: 1
; LDSByteSize: 0 bytes/workgroup (compile time only)
; SGPRBlocks: 0
; VGPRBlocks: 0
; NumSGPRsForWavesPerEU: 1
; NumVGPRsForWavesPerEU: 1
; Occupancy: 16
; WaveLimiterHint : 0
; COMPUTE_PGM_RSRC2:SCRATCH_EN: 0
; COMPUTE_PGM_RSRC2:USER_SGPR: 6
; COMPUTE_PGM_RSRC2:TRAP_HANDLER: 0
; COMPUTE_PGM_RSRC2:TGID_X_EN: 1
; COMPUTE_PGM_RSRC2:TGID_Y_EN: 0
; COMPUTE_PGM_RSRC2:TGID_Z_EN: 0
; COMPUTE_PGM_RSRC2:TIDIG_COMP_CNT: 0
	.section	.text._ZN7rocprim17ROCPRIM_400000_NS6detail17trampoline_kernelINS0_13select_configILj256ELj13ELNS0_17block_load_methodE3ELS4_3ELS4_3ELNS0_20block_scan_algorithmE0ELj4294967295EEENS1_25partition_config_selectorILNS1_17partition_subalgoE3EjNS0_10empty_typeEbEEZZNS1_14partition_implILS8_3ELb0ES6_jNS0_17counting_iteratorIjlEEPS9_SE_NS0_5tupleIJPjSE_EEENSF_IJSE_SE_EEES9_SG_JZNS1_25segmented_radix_sort_implINS0_14default_configELb0EPKaPaPKlPlN2at6native12_GLOBAL__N_18offset_tEEE10hipError_tPvRmT1_PNSt15iterator_traitsISY_E10value_typeET2_T3_PNSZ_IS14_E10value_typeET4_jRbjT5_S1A_jjP12ihipStream_tbEUljE_EEESV_SW_SX_S14_S18_S1A_T6_T7_T9_mT8_S1C_bDpT10_ENKUlT_T0_E_clISt17integral_constantIbLb0EES1O_IbLb1EEEEDaS1K_S1L_EUlS1K_E_NS1_11comp_targetILNS1_3genE0ELNS1_11target_archE4294967295ELNS1_3gpuE0ELNS1_3repE0EEENS1_30default_config_static_selectorELNS0_4arch9wavefront6targetE0EEEvSY_,"axG",@progbits,_ZN7rocprim17ROCPRIM_400000_NS6detail17trampoline_kernelINS0_13select_configILj256ELj13ELNS0_17block_load_methodE3ELS4_3ELS4_3ELNS0_20block_scan_algorithmE0ELj4294967295EEENS1_25partition_config_selectorILNS1_17partition_subalgoE3EjNS0_10empty_typeEbEEZZNS1_14partition_implILS8_3ELb0ES6_jNS0_17counting_iteratorIjlEEPS9_SE_NS0_5tupleIJPjSE_EEENSF_IJSE_SE_EEES9_SG_JZNS1_25segmented_radix_sort_implINS0_14default_configELb0EPKaPaPKlPlN2at6native12_GLOBAL__N_18offset_tEEE10hipError_tPvRmT1_PNSt15iterator_traitsISY_E10value_typeET2_T3_PNSZ_IS14_E10value_typeET4_jRbjT5_S1A_jjP12ihipStream_tbEUljE_EEESV_SW_SX_S14_S18_S1A_T6_T7_T9_mT8_S1C_bDpT10_ENKUlT_T0_E_clISt17integral_constantIbLb0EES1O_IbLb1EEEEDaS1K_S1L_EUlS1K_E_NS1_11comp_targetILNS1_3genE0ELNS1_11target_archE4294967295ELNS1_3gpuE0ELNS1_3repE0EEENS1_30default_config_static_selectorELNS0_4arch9wavefront6targetE0EEEvSY_,comdat
	.globl	_ZN7rocprim17ROCPRIM_400000_NS6detail17trampoline_kernelINS0_13select_configILj256ELj13ELNS0_17block_load_methodE3ELS4_3ELS4_3ELNS0_20block_scan_algorithmE0ELj4294967295EEENS1_25partition_config_selectorILNS1_17partition_subalgoE3EjNS0_10empty_typeEbEEZZNS1_14partition_implILS8_3ELb0ES6_jNS0_17counting_iteratorIjlEEPS9_SE_NS0_5tupleIJPjSE_EEENSF_IJSE_SE_EEES9_SG_JZNS1_25segmented_radix_sort_implINS0_14default_configELb0EPKaPaPKlPlN2at6native12_GLOBAL__N_18offset_tEEE10hipError_tPvRmT1_PNSt15iterator_traitsISY_E10value_typeET2_T3_PNSZ_IS14_E10value_typeET4_jRbjT5_S1A_jjP12ihipStream_tbEUljE_EEESV_SW_SX_S14_S18_S1A_T6_T7_T9_mT8_S1C_bDpT10_ENKUlT_T0_E_clISt17integral_constantIbLb0EES1O_IbLb1EEEEDaS1K_S1L_EUlS1K_E_NS1_11comp_targetILNS1_3genE0ELNS1_11target_archE4294967295ELNS1_3gpuE0ELNS1_3repE0EEENS1_30default_config_static_selectorELNS0_4arch9wavefront6targetE0EEEvSY_ ; -- Begin function _ZN7rocprim17ROCPRIM_400000_NS6detail17trampoline_kernelINS0_13select_configILj256ELj13ELNS0_17block_load_methodE3ELS4_3ELS4_3ELNS0_20block_scan_algorithmE0ELj4294967295EEENS1_25partition_config_selectorILNS1_17partition_subalgoE3EjNS0_10empty_typeEbEEZZNS1_14partition_implILS8_3ELb0ES6_jNS0_17counting_iteratorIjlEEPS9_SE_NS0_5tupleIJPjSE_EEENSF_IJSE_SE_EEES9_SG_JZNS1_25segmented_radix_sort_implINS0_14default_configELb0EPKaPaPKlPlN2at6native12_GLOBAL__N_18offset_tEEE10hipError_tPvRmT1_PNSt15iterator_traitsISY_E10value_typeET2_T3_PNSZ_IS14_E10value_typeET4_jRbjT5_S1A_jjP12ihipStream_tbEUljE_EEESV_SW_SX_S14_S18_S1A_T6_T7_T9_mT8_S1C_bDpT10_ENKUlT_T0_E_clISt17integral_constantIbLb0EES1O_IbLb1EEEEDaS1K_S1L_EUlS1K_E_NS1_11comp_targetILNS1_3genE0ELNS1_11target_archE4294967295ELNS1_3gpuE0ELNS1_3repE0EEENS1_30default_config_static_selectorELNS0_4arch9wavefront6targetE0EEEvSY_
	.p2align	8
	.type	_ZN7rocprim17ROCPRIM_400000_NS6detail17trampoline_kernelINS0_13select_configILj256ELj13ELNS0_17block_load_methodE3ELS4_3ELS4_3ELNS0_20block_scan_algorithmE0ELj4294967295EEENS1_25partition_config_selectorILNS1_17partition_subalgoE3EjNS0_10empty_typeEbEEZZNS1_14partition_implILS8_3ELb0ES6_jNS0_17counting_iteratorIjlEEPS9_SE_NS0_5tupleIJPjSE_EEENSF_IJSE_SE_EEES9_SG_JZNS1_25segmented_radix_sort_implINS0_14default_configELb0EPKaPaPKlPlN2at6native12_GLOBAL__N_18offset_tEEE10hipError_tPvRmT1_PNSt15iterator_traitsISY_E10value_typeET2_T3_PNSZ_IS14_E10value_typeET4_jRbjT5_S1A_jjP12ihipStream_tbEUljE_EEESV_SW_SX_S14_S18_S1A_T6_T7_T9_mT8_S1C_bDpT10_ENKUlT_T0_E_clISt17integral_constantIbLb0EES1O_IbLb1EEEEDaS1K_S1L_EUlS1K_E_NS1_11comp_targetILNS1_3genE0ELNS1_11target_archE4294967295ELNS1_3gpuE0ELNS1_3repE0EEENS1_30default_config_static_selectorELNS0_4arch9wavefront6targetE0EEEvSY_,@function
_ZN7rocprim17ROCPRIM_400000_NS6detail17trampoline_kernelINS0_13select_configILj256ELj13ELNS0_17block_load_methodE3ELS4_3ELS4_3ELNS0_20block_scan_algorithmE0ELj4294967295EEENS1_25partition_config_selectorILNS1_17partition_subalgoE3EjNS0_10empty_typeEbEEZZNS1_14partition_implILS8_3ELb0ES6_jNS0_17counting_iteratorIjlEEPS9_SE_NS0_5tupleIJPjSE_EEENSF_IJSE_SE_EEES9_SG_JZNS1_25segmented_radix_sort_implINS0_14default_configELb0EPKaPaPKlPlN2at6native12_GLOBAL__N_18offset_tEEE10hipError_tPvRmT1_PNSt15iterator_traitsISY_E10value_typeET2_T3_PNSZ_IS14_E10value_typeET4_jRbjT5_S1A_jjP12ihipStream_tbEUljE_EEESV_SW_SX_S14_S18_S1A_T6_T7_T9_mT8_S1C_bDpT10_ENKUlT_T0_E_clISt17integral_constantIbLb0EES1O_IbLb1EEEEDaS1K_S1L_EUlS1K_E_NS1_11comp_targetILNS1_3genE0ELNS1_11target_archE4294967295ELNS1_3gpuE0ELNS1_3repE0EEENS1_30default_config_static_selectorELNS0_4arch9wavefront6targetE0EEEvSY_: ; @_ZN7rocprim17ROCPRIM_400000_NS6detail17trampoline_kernelINS0_13select_configILj256ELj13ELNS0_17block_load_methodE3ELS4_3ELS4_3ELNS0_20block_scan_algorithmE0ELj4294967295EEENS1_25partition_config_selectorILNS1_17partition_subalgoE3EjNS0_10empty_typeEbEEZZNS1_14partition_implILS8_3ELb0ES6_jNS0_17counting_iteratorIjlEEPS9_SE_NS0_5tupleIJPjSE_EEENSF_IJSE_SE_EEES9_SG_JZNS1_25segmented_radix_sort_implINS0_14default_configELb0EPKaPaPKlPlN2at6native12_GLOBAL__N_18offset_tEEE10hipError_tPvRmT1_PNSt15iterator_traitsISY_E10value_typeET2_T3_PNSZ_IS14_E10value_typeET4_jRbjT5_S1A_jjP12ihipStream_tbEUljE_EEESV_SW_SX_S14_S18_S1A_T6_T7_T9_mT8_S1C_bDpT10_ENKUlT_T0_E_clISt17integral_constantIbLb0EES1O_IbLb1EEEEDaS1K_S1L_EUlS1K_E_NS1_11comp_targetILNS1_3genE0ELNS1_11target_archE4294967295ELNS1_3gpuE0ELNS1_3repE0EEENS1_30default_config_static_selectorELNS0_4arch9wavefront6targetE0EEEvSY_
; %bb.0:
	.section	.rodata,"a",@progbits
	.p2align	6, 0x0
	.amdhsa_kernel _ZN7rocprim17ROCPRIM_400000_NS6detail17trampoline_kernelINS0_13select_configILj256ELj13ELNS0_17block_load_methodE3ELS4_3ELS4_3ELNS0_20block_scan_algorithmE0ELj4294967295EEENS1_25partition_config_selectorILNS1_17partition_subalgoE3EjNS0_10empty_typeEbEEZZNS1_14partition_implILS8_3ELb0ES6_jNS0_17counting_iteratorIjlEEPS9_SE_NS0_5tupleIJPjSE_EEENSF_IJSE_SE_EEES9_SG_JZNS1_25segmented_radix_sort_implINS0_14default_configELb0EPKaPaPKlPlN2at6native12_GLOBAL__N_18offset_tEEE10hipError_tPvRmT1_PNSt15iterator_traitsISY_E10value_typeET2_T3_PNSZ_IS14_E10value_typeET4_jRbjT5_S1A_jjP12ihipStream_tbEUljE_EEESV_SW_SX_S14_S18_S1A_T6_T7_T9_mT8_S1C_bDpT10_ENKUlT_T0_E_clISt17integral_constantIbLb0EES1O_IbLb1EEEEDaS1K_S1L_EUlS1K_E_NS1_11comp_targetILNS1_3genE0ELNS1_11target_archE4294967295ELNS1_3gpuE0ELNS1_3repE0EEENS1_30default_config_static_selectorELNS0_4arch9wavefront6targetE0EEEvSY_
		.amdhsa_group_segment_fixed_size 0
		.amdhsa_private_segment_fixed_size 0
		.amdhsa_kernarg_size 152
		.amdhsa_user_sgpr_count 6
		.amdhsa_user_sgpr_private_segment_buffer 1
		.amdhsa_user_sgpr_dispatch_ptr 0
		.amdhsa_user_sgpr_queue_ptr 0
		.amdhsa_user_sgpr_kernarg_segment_ptr 1
		.amdhsa_user_sgpr_dispatch_id 0
		.amdhsa_user_sgpr_flat_scratch_init 0
		.amdhsa_user_sgpr_private_segment_size 0
		.amdhsa_wavefront_size32 1
		.amdhsa_uses_dynamic_stack 0
		.amdhsa_system_sgpr_private_segment_wavefront_offset 0
		.amdhsa_system_sgpr_workgroup_id_x 1
		.amdhsa_system_sgpr_workgroup_id_y 0
		.amdhsa_system_sgpr_workgroup_id_z 0
		.amdhsa_system_sgpr_workgroup_info 0
		.amdhsa_system_vgpr_workitem_id 0
		.amdhsa_next_free_vgpr 1
		.amdhsa_next_free_sgpr 1
		.amdhsa_reserve_vcc 0
		.amdhsa_reserve_flat_scratch 0
		.amdhsa_float_round_mode_32 0
		.amdhsa_float_round_mode_16_64 0
		.amdhsa_float_denorm_mode_32 3
		.amdhsa_float_denorm_mode_16_64 3
		.amdhsa_dx10_clamp 1
		.amdhsa_ieee_mode 1
		.amdhsa_fp16_overflow 0
		.amdhsa_workgroup_processor_mode 1
		.amdhsa_memory_ordered 1
		.amdhsa_forward_progress 1
		.amdhsa_shared_vgpr_count 0
		.amdhsa_exception_fp_ieee_invalid_op 0
		.amdhsa_exception_fp_denorm_src 0
		.amdhsa_exception_fp_ieee_div_zero 0
		.amdhsa_exception_fp_ieee_overflow 0
		.amdhsa_exception_fp_ieee_underflow 0
		.amdhsa_exception_fp_ieee_inexact 0
		.amdhsa_exception_int_div_zero 0
	.end_amdhsa_kernel
	.section	.text._ZN7rocprim17ROCPRIM_400000_NS6detail17trampoline_kernelINS0_13select_configILj256ELj13ELNS0_17block_load_methodE3ELS4_3ELS4_3ELNS0_20block_scan_algorithmE0ELj4294967295EEENS1_25partition_config_selectorILNS1_17partition_subalgoE3EjNS0_10empty_typeEbEEZZNS1_14partition_implILS8_3ELb0ES6_jNS0_17counting_iteratorIjlEEPS9_SE_NS0_5tupleIJPjSE_EEENSF_IJSE_SE_EEES9_SG_JZNS1_25segmented_radix_sort_implINS0_14default_configELb0EPKaPaPKlPlN2at6native12_GLOBAL__N_18offset_tEEE10hipError_tPvRmT1_PNSt15iterator_traitsISY_E10value_typeET2_T3_PNSZ_IS14_E10value_typeET4_jRbjT5_S1A_jjP12ihipStream_tbEUljE_EEESV_SW_SX_S14_S18_S1A_T6_T7_T9_mT8_S1C_bDpT10_ENKUlT_T0_E_clISt17integral_constantIbLb0EES1O_IbLb1EEEEDaS1K_S1L_EUlS1K_E_NS1_11comp_targetILNS1_3genE0ELNS1_11target_archE4294967295ELNS1_3gpuE0ELNS1_3repE0EEENS1_30default_config_static_selectorELNS0_4arch9wavefront6targetE0EEEvSY_,"axG",@progbits,_ZN7rocprim17ROCPRIM_400000_NS6detail17trampoline_kernelINS0_13select_configILj256ELj13ELNS0_17block_load_methodE3ELS4_3ELS4_3ELNS0_20block_scan_algorithmE0ELj4294967295EEENS1_25partition_config_selectorILNS1_17partition_subalgoE3EjNS0_10empty_typeEbEEZZNS1_14partition_implILS8_3ELb0ES6_jNS0_17counting_iteratorIjlEEPS9_SE_NS0_5tupleIJPjSE_EEENSF_IJSE_SE_EEES9_SG_JZNS1_25segmented_radix_sort_implINS0_14default_configELb0EPKaPaPKlPlN2at6native12_GLOBAL__N_18offset_tEEE10hipError_tPvRmT1_PNSt15iterator_traitsISY_E10value_typeET2_T3_PNSZ_IS14_E10value_typeET4_jRbjT5_S1A_jjP12ihipStream_tbEUljE_EEESV_SW_SX_S14_S18_S1A_T6_T7_T9_mT8_S1C_bDpT10_ENKUlT_T0_E_clISt17integral_constantIbLb0EES1O_IbLb1EEEEDaS1K_S1L_EUlS1K_E_NS1_11comp_targetILNS1_3genE0ELNS1_11target_archE4294967295ELNS1_3gpuE0ELNS1_3repE0EEENS1_30default_config_static_selectorELNS0_4arch9wavefront6targetE0EEEvSY_,comdat
.Lfunc_end382:
	.size	_ZN7rocprim17ROCPRIM_400000_NS6detail17trampoline_kernelINS0_13select_configILj256ELj13ELNS0_17block_load_methodE3ELS4_3ELS4_3ELNS0_20block_scan_algorithmE0ELj4294967295EEENS1_25partition_config_selectorILNS1_17partition_subalgoE3EjNS0_10empty_typeEbEEZZNS1_14partition_implILS8_3ELb0ES6_jNS0_17counting_iteratorIjlEEPS9_SE_NS0_5tupleIJPjSE_EEENSF_IJSE_SE_EEES9_SG_JZNS1_25segmented_radix_sort_implINS0_14default_configELb0EPKaPaPKlPlN2at6native12_GLOBAL__N_18offset_tEEE10hipError_tPvRmT1_PNSt15iterator_traitsISY_E10value_typeET2_T3_PNSZ_IS14_E10value_typeET4_jRbjT5_S1A_jjP12ihipStream_tbEUljE_EEESV_SW_SX_S14_S18_S1A_T6_T7_T9_mT8_S1C_bDpT10_ENKUlT_T0_E_clISt17integral_constantIbLb0EES1O_IbLb1EEEEDaS1K_S1L_EUlS1K_E_NS1_11comp_targetILNS1_3genE0ELNS1_11target_archE4294967295ELNS1_3gpuE0ELNS1_3repE0EEENS1_30default_config_static_selectorELNS0_4arch9wavefront6targetE0EEEvSY_, .Lfunc_end382-_ZN7rocprim17ROCPRIM_400000_NS6detail17trampoline_kernelINS0_13select_configILj256ELj13ELNS0_17block_load_methodE3ELS4_3ELS4_3ELNS0_20block_scan_algorithmE0ELj4294967295EEENS1_25partition_config_selectorILNS1_17partition_subalgoE3EjNS0_10empty_typeEbEEZZNS1_14partition_implILS8_3ELb0ES6_jNS0_17counting_iteratorIjlEEPS9_SE_NS0_5tupleIJPjSE_EEENSF_IJSE_SE_EEES9_SG_JZNS1_25segmented_radix_sort_implINS0_14default_configELb0EPKaPaPKlPlN2at6native12_GLOBAL__N_18offset_tEEE10hipError_tPvRmT1_PNSt15iterator_traitsISY_E10value_typeET2_T3_PNSZ_IS14_E10value_typeET4_jRbjT5_S1A_jjP12ihipStream_tbEUljE_EEESV_SW_SX_S14_S18_S1A_T6_T7_T9_mT8_S1C_bDpT10_ENKUlT_T0_E_clISt17integral_constantIbLb0EES1O_IbLb1EEEEDaS1K_S1L_EUlS1K_E_NS1_11comp_targetILNS1_3genE0ELNS1_11target_archE4294967295ELNS1_3gpuE0ELNS1_3repE0EEENS1_30default_config_static_selectorELNS0_4arch9wavefront6targetE0EEEvSY_
                                        ; -- End function
	.set _ZN7rocprim17ROCPRIM_400000_NS6detail17trampoline_kernelINS0_13select_configILj256ELj13ELNS0_17block_load_methodE3ELS4_3ELS4_3ELNS0_20block_scan_algorithmE0ELj4294967295EEENS1_25partition_config_selectorILNS1_17partition_subalgoE3EjNS0_10empty_typeEbEEZZNS1_14partition_implILS8_3ELb0ES6_jNS0_17counting_iteratorIjlEEPS9_SE_NS0_5tupleIJPjSE_EEENSF_IJSE_SE_EEES9_SG_JZNS1_25segmented_radix_sort_implINS0_14default_configELb0EPKaPaPKlPlN2at6native12_GLOBAL__N_18offset_tEEE10hipError_tPvRmT1_PNSt15iterator_traitsISY_E10value_typeET2_T3_PNSZ_IS14_E10value_typeET4_jRbjT5_S1A_jjP12ihipStream_tbEUljE_EEESV_SW_SX_S14_S18_S1A_T6_T7_T9_mT8_S1C_bDpT10_ENKUlT_T0_E_clISt17integral_constantIbLb0EES1O_IbLb1EEEEDaS1K_S1L_EUlS1K_E_NS1_11comp_targetILNS1_3genE0ELNS1_11target_archE4294967295ELNS1_3gpuE0ELNS1_3repE0EEENS1_30default_config_static_selectorELNS0_4arch9wavefront6targetE0EEEvSY_.num_vgpr, 0
	.set _ZN7rocprim17ROCPRIM_400000_NS6detail17trampoline_kernelINS0_13select_configILj256ELj13ELNS0_17block_load_methodE3ELS4_3ELS4_3ELNS0_20block_scan_algorithmE0ELj4294967295EEENS1_25partition_config_selectorILNS1_17partition_subalgoE3EjNS0_10empty_typeEbEEZZNS1_14partition_implILS8_3ELb0ES6_jNS0_17counting_iteratorIjlEEPS9_SE_NS0_5tupleIJPjSE_EEENSF_IJSE_SE_EEES9_SG_JZNS1_25segmented_radix_sort_implINS0_14default_configELb0EPKaPaPKlPlN2at6native12_GLOBAL__N_18offset_tEEE10hipError_tPvRmT1_PNSt15iterator_traitsISY_E10value_typeET2_T3_PNSZ_IS14_E10value_typeET4_jRbjT5_S1A_jjP12ihipStream_tbEUljE_EEESV_SW_SX_S14_S18_S1A_T6_T7_T9_mT8_S1C_bDpT10_ENKUlT_T0_E_clISt17integral_constantIbLb0EES1O_IbLb1EEEEDaS1K_S1L_EUlS1K_E_NS1_11comp_targetILNS1_3genE0ELNS1_11target_archE4294967295ELNS1_3gpuE0ELNS1_3repE0EEENS1_30default_config_static_selectorELNS0_4arch9wavefront6targetE0EEEvSY_.num_agpr, 0
	.set _ZN7rocprim17ROCPRIM_400000_NS6detail17trampoline_kernelINS0_13select_configILj256ELj13ELNS0_17block_load_methodE3ELS4_3ELS4_3ELNS0_20block_scan_algorithmE0ELj4294967295EEENS1_25partition_config_selectorILNS1_17partition_subalgoE3EjNS0_10empty_typeEbEEZZNS1_14partition_implILS8_3ELb0ES6_jNS0_17counting_iteratorIjlEEPS9_SE_NS0_5tupleIJPjSE_EEENSF_IJSE_SE_EEES9_SG_JZNS1_25segmented_radix_sort_implINS0_14default_configELb0EPKaPaPKlPlN2at6native12_GLOBAL__N_18offset_tEEE10hipError_tPvRmT1_PNSt15iterator_traitsISY_E10value_typeET2_T3_PNSZ_IS14_E10value_typeET4_jRbjT5_S1A_jjP12ihipStream_tbEUljE_EEESV_SW_SX_S14_S18_S1A_T6_T7_T9_mT8_S1C_bDpT10_ENKUlT_T0_E_clISt17integral_constantIbLb0EES1O_IbLb1EEEEDaS1K_S1L_EUlS1K_E_NS1_11comp_targetILNS1_3genE0ELNS1_11target_archE4294967295ELNS1_3gpuE0ELNS1_3repE0EEENS1_30default_config_static_selectorELNS0_4arch9wavefront6targetE0EEEvSY_.numbered_sgpr, 0
	.set _ZN7rocprim17ROCPRIM_400000_NS6detail17trampoline_kernelINS0_13select_configILj256ELj13ELNS0_17block_load_methodE3ELS4_3ELS4_3ELNS0_20block_scan_algorithmE0ELj4294967295EEENS1_25partition_config_selectorILNS1_17partition_subalgoE3EjNS0_10empty_typeEbEEZZNS1_14partition_implILS8_3ELb0ES6_jNS0_17counting_iteratorIjlEEPS9_SE_NS0_5tupleIJPjSE_EEENSF_IJSE_SE_EEES9_SG_JZNS1_25segmented_radix_sort_implINS0_14default_configELb0EPKaPaPKlPlN2at6native12_GLOBAL__N_18offset_tEEE10hipError_tPvRmT1_PNSt15iterator_traitsISY_E10value_typeET2_T3_PNSZ_IS14_E10value_typeET4_jRbjT5_S1A_jjP12ihipStream_tbEUljE_EEESV_SW_SX_S14_S18_S1A_T6_T7_T9_mT8_S1C_bDpT10_ENKUlT_T0_E_clISt17integral_constantIbLb0EES1O_IbLb1EEEEDaS1K_S1L_EUlS1K_E_NS1_11comp_targetILNS1_3genE0ELNS1_11target_archE4294967295ELNS1_3gpuE0ELNS1_3repE0EEENS1_30default_config_static_selectorELNS0_4arch9wavefront6targetE0EEEvSY_.num_named_barrier, 0
	.set _ZN7rocprim17ROCPRIM_400000_NS6detail17trampoline_kernelINS0_13select_configILj256ELj13ELNS0_17block_load_methodE3ELS4_3ELS4_3ELNS0_20block_scan_algorithmE0ELj4294967295EEENS1_25partition_config_selectorILNS1_17partition_subalgoE3EjNS0_10empty_typeEbEEZZNS1_14partition_implILS8_3ELb0ES6_jNS0_17counting_iteratorIjlEEPS9_SE_NS0_5tupleIJPjSE_EEENSF_IJSE_SE_EEES9_SG_JZNS1_25segmented_radix_sort_implINS0_14default_configELb0EPKaPaPKlPlN2at6native12_GLOBAL__N_18offset_tEEE10hipError_tPvRmT1_PNSt15iterator_traitsISY_E10value_typeET2_T3_PNSZ_IS14_E10value_typeET4_jRbjT5_S1A_jjP12ihipStream_tbEUljE_EEESV_SW_SX_S14_S18_S1A_T6_T7_T9_mT8_S1C_bDpT10_ENKUlT_T0_E_clISt17integral_constantIbLb0EES1O_IbLb1EEEEDaS1K_S1L_EUlS1K_E_NS1_11comp_targetILNS1_3genE0ELNS1_11target_archE4294967295ELNS1_3gpuE0ELNS1_3repE0EEENS1_30default_config_static_selectorELNS0_4arch9wavefront6targetE0EEEvSY_.private_seg_size, 0
	.set _ZN7rocprim17ROCPRIM_400000_NS6detail17trampoline_kernelINS0_13select_configILj256ELj13ELNS0_17block_load_methodE3ELS4_3ELS4_3ELNS0_20block_scan_algorithmE0ELj4294967295EEENS1_25partition_config_selectorILNS1_17partition_subalgoE3EjNS0_10empty_typeEbEEZZNS1_14partition_implILS8_3ELb0ES6_jNS0_17counting_iteratorIjlEEPS9_SE_NS0_5tupleIJPjSE_EEENSF_IJSE_SE_EEES9_SG_JZNS1_25segmented_radix_sort_implINS0_14default_configELb0EPKaPaPKlPlN2at6native12_GLOBAL__N_18offset_tEEE10hipError_tPvRmT1_PNSt15iterator_traitsISY_E10value_typeET2_T3_PNSZ_IS14_E10value_typeET4_jRbjT5_S1A_jjP12ihipStream_tbEUljE_EEESV_SW_SX_S14_S18_S1A_T6_T7_T9_mT8_S1C_bDpT10_ENKUlT_T0_E_clISt17integral_constantIbLb0EES1O_IbLb1EEEEDaS1K_S1L_EUlS1K_E_NS1_11comp_targetILNS1_3genE0ELNS1_11target_archE4294967295ELNS1_3gpuE0ELNS1_3repE0EEENS1_30default_config_static_selectorELNS0_4arch9wavefront6targetE0EEEvSY_.uses_vcc, 0
	.set _ZN7rocprim17ROCPRIM_400000_NS6detail17trampoline_kernelINS0_13select_configILj256ELj13ELNS0_17block_load_methodE3ELS4_3ELS4_3ELNS0_20block_scan_algorithmE0ELj4294967295EEENS1_25partition_config_selectorILNS1_17partition_subalgoE3EjNS0_10empty_typeEbEEZZNS1_14partition_implILS8_3ELb0ES6_jNS0_17counting_iteratorIjlEEPS9_SE_NS0_5tupleIJPjSE_EEENSF_IJSE_SE_EEES9_SG_JZNS1_25segmented_radix_sort_implINS0_14default_configELb0EPKaPaPKlPlN2at6native12_GLOBAL__N_18offset_tEEE10hipError_tPvRmT1_PNSt15iterator_traitsISY_E10value_typeET2_T3_PNSZ_IS14_E10value_typeET4_jRbjT5_S1A_jjP12ihipStream_tbEUljE_EEESV_SW_SX_S14_S18_S1A_T6_T7_T9_mT8_S1C_bDpT10_ENKUlT_T0_E_clISt17integral_constantIbLb0EES1O_IbLb1EEEEDaS1K_S1L_EUlS1K_E_NS1_11comp_targetILNS1_3genE0ELNS1_11target_archE4294967295ELNS1_3gpuE0ELNS1_3repE0EEENS1_30default_config_static_selectorELNS0_4arch9wavefront6targetE0EEEvSY_.uses_flat_scratch, 0
	.set _ZN7rocprim17ROCPRIM_400000_NS6detail17trampoline_kernelINS0_13select_configILj256ELj13ELNS0_17block_load_methodE3ELS4_3ELS4_3ELNS0_20block_scan_algorithmE0ELj4294967295EEENS1_25partition_config_selectorILNS1_17partition_subalgoE3EjNS0_10empty_typeEbEEZZNS1_14partition_implILS8_3ELb0ES6_jNS0_17counting_iteratorIjlEEPS9_SE_NS0_5tupleIJPjSE_EEENSF_IJSE_SE_EEES9_SG_JZNS1_25segmented_radix_sort_implINS0_14default_configELb0EPKaPaPKlPlN2at6native12_GLOBAL__N_18offset_tEEE10hipError_tPvRmT1_PNSt15iterator_traitsISY_E10value_typeET2_T3_PNSZ_IS14_E10value_typeET4_jRbjT5_S1A_jjP12ihipStream_tbEUljE_EEESV_SW_SX_S14_S18_S1A_T6_T7_T9_mT8_S1C_bDpT10_ENKUlT_T0_E_clISt17integral_constantIbLb0EES1O_IbLb1EEEEDaS1K_S1L_EUlS1K_E_NS1_11comp_targetILNS1_3genE0ELNS1_11target_archE4294967295ELNS1_3gpuE0ELNS1_3repE0EEENS1_30default_config_static_selectorELNS0_4arch9wavefront6targetE0EEEvSY_.has_dyn_sized_stack, 0
	.set _ZN7rocprim17ROCPRIM_400000_NS6detail17trampoline_kernelINS0_13select_configILj256ELj13ELNS0_17block_load_methodE3ELS4_3ELS4_3ELNS0_20block_scan_algorithmE0ELj4294967295EEENS1_25partition_config_selectorILNS1_17partition_subalgoE3EjNS0_10empty_typeEbEEZZNS1_14partition_implILS8_3ELb0ES6_jNS0_17counting_iteratorIjlEEPS9_SE_NS0_5tupleIJPjSE_EEENSF_IJSE_SE_EEES9_SG_JZNS1_25segmented_radix_sort_implINS0_14default_configELb0EPKaPaPKlPlN2at6native12_GLOBAL__N_18offset_tEEE10hipError_tPvRmT1_PNSt15iterator_traitsISY_E10value_typeET2_T3_PNSZ_IS14_E10value_typeET4_jRbjT5_S1A_jjP12ihipStream_tbEUljE_EEESV_SW_SX_S14_S18_S1A_T6_T7_T9_mT8_S1C_bDpT10_ENKUlT_T0_E_clISt17integral_constantIbLb0EES1O_IbLb1EEEEDaS1K_S1L_EUlS1K_E_NS1_11comp_targetILNS1_3genE0ELNS1_11target_archE4294967295ELNS1_3gpuE0ELNS1_3repE0EEENS1_30default_config_static_selectorELNS0_4arch9wavefront6targetE0EEEvSY_.has_recursion, 0
	.set _ZN7rocprim17ROCPRIM_400000_NS6detail17trampoline_kernelINS0_13select_configILj256ELj13ELNS0_17block_load_methodE3ELS4_3ELS4_3ELNS0_20block_scan_algorithmE0ELj4294967295EEENS1_25partition_config_selectorILNS1_17partition_subalgoE3EjNS0_10empty_typeEbEEZZNS1_14partition_implILS8_3ELb0ES6_jNS0_17counting_iteratorIjlEEPS9_SE_NS0_5tupleIJPjSE_EEENSF_IJSE_SE_EEES9_SG_JZNS1_25segmented_radix_sort_implINS0_14default_configELb0EPKaPaPKlPlN2at6native12_GLOBAL__N_18offset_tEEE10hipError_tPvRmT1_PNSt15iterator_traitsISY_E10value_typeET2_T3_PNSZ_IS14_E10value_typeET4_jRbjT5_S1A_jjP12ihipStream_tbEUljE_EEESV_SW_SX_S14_S18_S1A_T6_T7_T9_mT8_S1C_bDpT10_ENKUlT_T0_E_clISt17integral_constantIbLb0EES1O_IbLb1EEEEDaS1K_S1L_EUlS1K_E_NS1_11comp_targetILNS1_3genE0ELNS1_11target_archE4294967295ELNS1_3gpuE0ELNS1_3repE0EEENS1_30default_config_static_selectorELNS0_4arch9wavefront6targetE0EEEvSY_.has_indirect_call, 0
	.section	.AMDGPU.csdata,"",@progbits
; Kernel info:
; codeLenInByte = 0
; TotalNumSgprs: 0
; NumVgprs: 0
; ScratchSize: 0
; MemoryBound: 0
; FloatMode: 240
; IeeeMode: 1
; LDSByteSize: 0 bytes/workgroup (compile time only)
; SGPRBlocks: 0
; VGPRBlocks: 0
; NumSGPRsForWavesPerEU: 1
; NumVGPRsForWavesPerEU: 1
; Occupancy: 16
; WaveLimiterHint : 0
; COMPUTE_PGM_RSRC2:SCRATCH_EN: 0
; COMPUTE_PGM_RSRC2:USER_SGPR: 6
; COMPUTE_PGM_RSRC2:TRAP_HANDLER: 0
; COMPUTE_PGM_RSRC2:TGID_X_EN: 1
; COMPUTE_PGM_RSRC2:TGID_Y_EN: 0
; COMPUTE_PGM_RSRC2:TGID_Z_EN: 0
; COMPUTE_PGM_RSRC2:TIDIG_COMP_CNT: 0
	.section	.text._ZN7rocprim17ROCPRIM_400000_NS6detail17trampoline_kernelINS0_13select_configILj256ELj13ELNS0_17block_load_methodE3ELS4_3ELS4_3ELNS0_20block_scan_algorithmE0ELj4294967295EEENS1_25partition_config_selectorILNS1_17partition_subalgoE3EjNS0_10empty_typeEbEEZZNS1_14partition_implILS8_3ELb0ES6_jNS0_17counting_iteratorIjlEEPS9_SE_NS0_5tupleIJPjSE_EEENSF_IJSE_SE_EEES9_SG_JZNS1_25segmented_radix_sort_implINS0_14default_configELb0EPKaPaPKlPlN2at6native12_GLOBAL__N_18offset_tEEE10hipError_tPvRmT1_PNSt15iterator_traitsISY_E10value_typeET2_T3_PNSZ_IS14_E10value_typeET4_jRbjT5_S1A_jjP12ihipStream_tbEUljE_EEESV_SW_SX_S14_S18_S1A_T6_T7_T9_mT8_S1C_bDpT10_ENKUlT_T0_E_clISt17integral_constantIbLb0EES1O_IbLb1EEEEDaS1K_S1L_EUlS1K_E_NS1_11comp_targetILNS1_3genE5ELNS1_11target_archE942ELNS1_3gpuE9ELNS1_3repE0EEENS1_30default_config_static_selectorELNS0_4arch9wavefront6targetE0EEEvSY_,"axG",@progbits,_ZN7rocprim17ROCPRIM_400000_NS6detail17trampoline_kernelINS0_13select_configILj256ELj13ELNS0_17block_load_methodE3ELS4_3ELS4_3ELNS0_20block_scan_algorithmE0ELj4294967295EEENS1_25partition_config_selectorILNS1_17partition_subalgoE3EjNS0_10empty_typeEbEEZZNS1_14partition_implILS8_3ELb0ES6_jNS0_17counting_iteratorIjlEEPS9_SE_NS0_5tupleIJPjSE_EEENSF_IJSE_SE_EEES9_SG_JZNS1_25segmented_radix_sort_implINS0_14default_configELb0EPKaPaPKlPlN2at6native12_GLOBAL__N_18offset_tEEE10hipError_tPvRmT1_PNSt15iterator_traitsISY_E10value_typeET2_T3_PNSZ_IS14_E10value_typeET4_jRbjT5_S1A_jjP12ihipStream_tbEUljE_EEESV_SW_SX_S14_S18_S1A_T6_T7_T9_mT8_S1C_bDpT10_ENKUlT_T0_E_clISt17integral_constantIbLb0EES1O_IbLb1EEEEDaS1K_S1L_EUlS1K_E_NS1_11comp_targetILNS1_3genE5ELNS1_11target_archE942ELNS1_3gpuE9ELNS1_3repE0EEENS1_30default_config_static_selectorELNS0_4arch9wavefront6targetE0EEEvSY_,comdat
	.globl	_ZN7rocprim17ROCPRIM_400000_NS6detail17trampoline_kernelINS0_13select_configILj256ELj13ELNS0_17block_load_methodE3ELS4_3ELS4_3ELNS0_20block_scan_algorithmE0ELj4294967295EEENS1_25partition_config_selectorILNS1_17partition_subalgoE3EjNS0_10empty_typeEbEEZZNS1_14partition_implILS8_3ELb0ES6_jNS0_17counting_iteratorIjlEEPS9_SE_NS0_5tupleIJPjSE_EEENSF_IJSE_SE_EEES9_SG_JZNS1_25segmented_radix_sort_implINS0_14default_configELb0EPKaPaPKlPlN2at6native12_GLOBAL__N_18offset_tEEE10hipError_tPvRmT1_PNSt15iterator_traitsISY_E10value_typeET2_T3_PNSZ_IS14_E10value_typeET4_jRbjT5_S1A_jjP12ihipStream_tbEUljE_EEESV_SW_SX_S14_S18_S1A_T6_T7_T9_mT8_S1C_bDpT10_ENKUlT_T0_E_clISt17integral_constantIbLb0EES1O_IbLb1EEEEDaS1K_S1L_EUlS1K_E_NS1_11comp_targetILNS1_3genE5ELNS1_11target_archE942ELNS1_3gpuE9ELNS1_3repE0EEENS1_30default_config_static_selectorELNS0_4arch9wavefront6targetE0EEEvSY_ ; -- Begin function _ZN7rocprim17ROCPRIM_400000_NS6detail17trampoline_kernelINS0_13select_configILj256ELj13ELNS0_17block_load_methodE3ELS4_3ELS4_3ELNS0_20block_scan_algorithmE0ELj4294967295EEENS1_25partition_config_selectorILNS1_17partition_subalgoE3EjNS0_10empty_typeEbEEZZNS1_14partition_implILS8_3ELb0ES6_jNS0_17counting_iteratorIjlEEPS9_SE_NS0_5tupleIJPjSE_EEENSF_IJSE_SE_EEES9_SG_JZNS1_25segmented_radix_sort_implINS0_14default_configELb0EPKaPaPKlPlN2at6native12_GLOBAL__N_18offset_tEEE10hipError_tPvRmT1_PNSt15iterator_traitsISY_E10value_typeET2_T3_PNSZ_IS14_E10value_typeET4_jRbjT5_S1A_jjP12ihipStream_tbEUljE_EEESV_SW_SX_S14_S18_S1A_T6_T7_T9_mT8_S1C_bDpT10_ENKUlT_T0_E_clISt17integral_constantIbLb0EES1O_IbLb1EEEEDaS1K_S1L_EUlS1K_E_NS1_11comp_targetILNS1_3genE5ELNS1_11target_archE942ELNS1_3gpuE9ELNS1_3repE0EEENS1_30default_config_static_selectorELNS0_4arch9wavefront6targetE0EEEvSY_
	.p2align	8
	.type	_ZN7rocprim17ROCPRIM_400000_NS6detail17trampoline_kernelINS0_13select_configILj256ELj13ELNS0_17block_load_methodE3ELS4_3ELS4_3ELNS0_20block_scan_algorithmE0ELj4294967295EEENS1_25partition_config_selectorILNS1_17partition_subalgoE3EjNS0_10empty_typeEbEEZZNS1_14partition_implILS8_3ELb0ES6_jNS0_17counting_iteratorIjlEEPS9_SE_NS0_5tupleIJPjSE_EEENSF_IJSE_SE_EEES9_SG_JZNS1_25segmented_radix_sort_implINS0_14default_configELb0EPKaPaPKlPlN2at6native12_GLOBAL__N_18offset_tEEE10hipError_tPvRmT1_PNSt15iterator_traitsISY_E10value_typeET2_T3_PNSZ_IS14_E10value_typeET4_jRbjT5_S1A_jjP12ihipStream_tbEUljE_EEESV_SW_SX_S14_S18_S1A_T6_T7_T9_mT8_S1C_bDpT10_ENKUlT_T0_E_clISt17integral_constantIbLb0EES1O_IbLb1EEEEDaS1K_S1L_EUlS1K_E_NS1_11comp_targetILNS1_3genE5ELNS1_11target_archE942ELNS1_3gpuE9ELNS1_3repE0EEENS1_30default_config_static_selectorELNS0_4arch9wavefront6targetE0EEEvSY_,@function
_ZN7rocprim17ROCPRIM_400000_NS6detail17trampoline_kernelINS0_13select_configILj256ELj13ELNS0_17block_load_methodE3ELS4_3ELS4_3ELNS0_20block_scan_algorithmE0ELj4294967295EEENS1_25partition_config_selectorILNS1_17partition_subalgoE3EjNS0_10empty_typeEbEEZZNS1_14partition_implILS8_3ELb0ES6_jNS0_17counting_iteratorIjlEEPS9_SE_NS0_5tupleIJPjSE_EEENSF_IJSE_SE_EEES9_SG_JZNS1_25segmented_radix_sort_implINS0_14default_configELb0EPKaPaPKlPlN2at6native12_GLOBAL__N_18offset_tEEE10hipError_tPvRmT1_PNSt15iterator_traitsISY_E10value_typeET2_T3_PNSZ_IS14_E10value_typeET4_jRbjT5_S1A_jjP12ihipStream_tbEUljE_EEESV_SW_SX_S14_S18_S1A_T6_T7_T9_mT8_S1C_bDpT10_ENKUlT_T0_E_clISt17integral_constantIbLb0EES1O_IbLb1EEEEDaS1K_S1L_EUlS1K_E_NS1_11comp_targetILNS1_3genE5ELNS1_11target_archE942ELNS1_3gpuE9ELNS1_3repE0EEENS1_30default_config_static_selectorELNS0_4arch9wavefront6targetE0EEEvSY_: ; @_ZN7rocprim17ROCPRIM_400000_NS6detail17trampoline_kernelINS0_13select_configILj256ELj13ELNS0_17block_load_methodE3ELS4_3ELS4_3ELNS0_20block_scan_algorithmE0ELj4294967295EEENS1_25partition_config_selectorILNS1_17partition_subalgoE3EjNS0_10empty_typeEbEEZZNS1_14partition_implILS8_3ELb0ES6_jNS0_17counting_iteratorIjlEEPS9_SE_NS0_5tupleIJPjSE_EEENSF_IJSE_SE_EEES9_SG_JZNS1_25segmented_radix_sort_implINS0_14default_configELb0EPKaPaPKlPlN2at6native12_GLOBAL__N_18offset_tEEE10hipError_tPvRmT1_PNSt15iterator_traitsISY_E10value_typeET2_T3_PNSZ_IS14_E10value_typeET4_jRbjT5_S1A_jjP12ihipStream_tbEUljE_EEESV_SW_SX_S14_S18_S1A_T6_T7_T9_mT8_S1C_bDpT10_ENKUlT_T0_E_clISt17integral_constantIbLb0EES1O_IbLb1EEEEDaS1K_S1L_EUlS1K_E_NS1_11comp_targetILNS1_3genE5ELNS1_11target_archE942ELNS1_3gpuE9ELNS1_3repE0EEENS1_30default_config_static_selectorELNS0_4arch9wavefront6targetE0EEEvSY_
; %bb.0:
	.section	.rodata,"a",@progbits
	.p2align	6, 0x0
	.amdhsa_kernel _ZN7rocprim17ROCPRIM_400000_NS6detail17trampoline_kernelINS0_13select_configILj256ELj13ELNS0_17block_load_methodE3ELS4_3ELS4_3ELNS0_20block_scan_algorithmE0ELj4294967295EEENS1_25partition_config_selectorILNS1_17partition_subalgoE3EjNS0_10empty_typeEbEEZZNS1_14partition_implILS8_3ELb0ES6_jNS0_17counting_iteratorIjlEEPS9_SE_NS0_5tupleIJPjSE_EEENSF_IJSE_SE_EEES9_SG_JZNS1_25segmented_radix_sort_implINS0_14default_configELb0EPKaPaPKlPlN2at6native12_GLOBAL__N_18offset_tEEE10hipError_tPvRmT1_PNSt15iterator_traitsISY_E10value_typeET2_T3_PNSZ_IS14_E10value_typeET4_jRbjT5_S1A_jjP12ihipStream_tbEUljE_EEESV_SW_SX_S14_S18_S1A_T6_T7_T9_mT8_S1C_bDpT10_ENKUlT_T0_E_clISt17integral_constantIbLb0EES1O_IbLb1EEEEDaS1K_S1L_EUlS1K_E_NS1_11comp_targetILNS1_3genE5ELNS1_11target_archE942ELNS1_3gpuE9ELNS1_3repE0EEENS1_30default_config_static_selectorELNS0_4arch9wavefront6targetE0EEEvSY_
		.amdhsa_group_segment_fixed_size 0
		.amdhsa_private_segment_fixed_size 0
		.amdhsa_kernarg_size 152
		.amdhsa_user_sgpr_count 6
		.amdhsa_user_sgpr_private_segment_buffer 1
		.amdhsa_user_sgpr_dispatch_ptr 0
		.amdhsa_user_sgpr_queue_ptr 0
		.amdhsa_user_sgpr_kernarg_segment_ptr 1
		.amdhsa_user_sgpr_dispatch_id 0
		.amdhsa_user_sgpr_flat_scratch_init 0
		.amdhsa_user_sgpr_private_segment_size 0
		.amdhsa_wavefront_size32 1
		.amdhsa_uses_dynamic_stack 0
		.amdhsa_system_sgpr_private_segment_wavefront_offset 0
		.amdhsa_system_sgpr_workgroup_id_x 1
		.amdhsa_system_sgpr_workgroup_id_y 0
		.amdhsa_system_sgpr_workgroup_id_z 0
		.amdhsa_system_sgpr_workgroup_info 0
		.amdhsa_system_vgpr_workitem_id 0
		.amdhsa_next_free_vgpr 1
		.amdhsa_next_free_sgpr 1
		.amdhsa_reserve_vcc 0
		.amdhsa_reserve_flat_scratch 0
		.amdhsa_float_round_mode_32 0
		.amdhsa_float_round_mode_16_64 0
		.amdhsa_float_denorm_mode_32 3
		.amdhsa_float_denorm_mode_16_64 3
		.amdhsa_dx10_clamp 1
		.amdhsa_ieee_mode 1
		.amdhsa_fp16_overflow 0
		.amdhsa_workgroup_processor_mode 1
		.amdhsa_memory_ordered 1
		.amdhsa_forward_progress 1
		.amdhsa_shared_vgpr_count 0
		.amdhsa_exception_fp_ieee_invalid_op 0
		.amdhsa_exception_fp_denorm_src 0
		.amdhsa_exception_fp_ieee_div_zero 0
		.amdhsa_exception_fp_ieee_overflow 0
		.amdhsa_exception_fp_ieee_underflow 0
		.amdhsa_exception_fp_ieee_inexact 0
		.amdhsa_exception_int_div_zero 0
	.end_amdhsa_kernel
	.section	.text._ZN7rocprim17ROCPRIM_400000_NS6detail17trampoline_kernelINS0_13select_configILj256ELj13ELNS0_17block_load_methodE3ELS4_3ELS4_3ELNS0_20block_scan_algorithmE0ELj4294967295EEENS1_25partition_config_selectorILNS1_17partition_subalgoE3EjNS0_10empty_typeEbEEZZNS1_14partition_implILS8_3ELb0ES6_jNS0_17counting_iteratorIjlEEPS9_SE_NS0_5tupleIJPjSE_EEENSF_IJSE_SE_EEES9_SG_JZNS1_25segmented_radix_sort_implINS0_14default_configELb0EPKaPaPKlPlN2at6native12_GLOBAL__N_18offset_tEEE10hipError_tPvRmT1_PNSt15iterator_traitsISY_E10value_typeET2_T3_PNSZ_IS14_E10value_typeET4_jRbjT5_S1A_jjP12ihipStream_tbEUljE_EEESV_SW_SX_S14_S18_S1A_T6_T7_T9_mT8_S1C_bDpT10_ENKUlT_T0_E_clISt17integral_constantIbLb0EES1O_IbLb1EEEEDaS1K_S1L_EUlS1K_E_NS1_11comp_targetILNS1_3genE5ELNS1_11target_archE942ELNS1_3gpuE9ELNS1_3repE0EEENS1_30default_config_static_selectorELNS0_4arch9wavefront6targetE0EEEvSY_,"axG",@progbits,_ZN7rocprim17ROCPRIM_400000_NS6detail17trampoline_kernelINS0_13select_configILj256ELj13ELNS0_17block_load_methodE3ELS4_3ELS4_3ELNS0_20block_scan_algorithmE0ELj4294967295EEENS1_25partition_config_selectorILNS1_17partition_subalgoE3EjNS0_10empty_typeEbEEZZNS1_14partition_implILS8_3ELb0ES6_jNS0_17counting_iteratorIjlEEPS9_SE_NS0_5tupleIJPjSE_EEENSF_IJSE_SE_EEES9_SG_JZNS1_25segmented_radix_sort_implINS0_14default_configELb0EPKaPaPKlPlN2at6native12_GLOBAL__N_18offset_tEEE10hipError_tPvRmT1_PNSt15iterator_traitsISY_E10value_typeET2_T3_PNSZ_IS14_E10value_typeET4_jRbjT5_S1A_jjP12ihipStream_tbEUljE_EEESV_SW_SX_S14_S18_S1A_T6_T7_T9_mT8_S1C_bDpT10_ENKUlT_T0_E_clISt17integral_constantIbLb0EES1O_IbLb1EEEEDaS1K_S1L_EUlS1K_E_NS1_11comp_targetILNS1_3genE5ELNS1_11target_archE942ELNS1_3gpuE9ELNS1_3repE0EEENS1_30default_config_static_selectorELNS0_4arch9wavefront6targetE0EEEvSY_,comdat
.Lfunc_end383:
	.size	_ZN7rocprim17ROCPRIM_400000_NS6detail17trampoline_kernelINS0_13select_configILj256ELj13ELNS0_17block_load_methodE3ELS4_3ELS4_3ELNS0_20block_scan_algorithmE0ELj4294967295EEENS1_25partition_config_selectorILNS1_17partition_subalgoE3EjNS0_10empty_typeEbEEZZNS1_14partition_implILS8_3ELb0ES6_jNS0_17counting_iteratorIjlEEPS9_SE_NS0_5tupleIJPjSE_EEENSF_IJSE_SE_EEES9_SG_JZNS1_25segmented_radix_sort_implINS0_14default_configELb0EPKaPaPKlPlN2at6native12_GLOBAL__N_18offset_tEEE10hipError_tPvRmT1_PNSt15iterator_traitsISY_E10value_typeET2_T3_PNSZ_IS14_E10value_typeET4_jRbjT5_S1A_jjP12ihipStream_tbEUljE_EEESV_SW_SX_S14_S18_S1A_T6_T7_T9_mT8_S1C_bDpT10_ENKUlT_T0_E_clISt17integral_constantIbLb0EES1O_IbLb1EEEEDaS1K_S1L_EUlS1K_E_NS1_11comp_targetILNS1_3genE5ELNS1_11target_archE942ELNS1_3gpuE9ELNS1_3repE0EEENS1_30default_config_static_selectorELNS0_4arch9wavefront6targetE0EEEvSY_, .Lfunc_end383-_ZN7rocprim17ROCPRIM_400000_NS6detail17trampoline_kernelINS0_13select_configILj256ELj13ELNS0_17block_load_methodE3ELS4_3ELS4_3ELNS0_20block_scan_algorithmE0ELj4294967295EEENS1_25partition_config_selectorILNS1_17partition_subalgoE3EjNS0_10empty_typeEbEEZZNS1_14partition_implILS8_3ELb0ES6_jNS0_17counting_iteratorIjlEEPS9_SE_NS0_5tupleIJPjSE_EEENSF_IJSE_SE_EEES9_SG_JZNS1_25segmented_radix_sort_implINS0_14default_configELb0EPKaPaPKlPlN2at6native12_GLOBAL__N_18offset_tEEE10hipError_tPvRmT1_PNSt15iterator_traitsISY_E10value_typeET2_T3_PNSZ_IS14_E10value_typeET4_jRbjT5_S1A_jjP12ihipStream_tbEUljE_EEESV_SW_SX_S14_S18_S1A_T6_T7_T9_mT8_S1C_bDpT10_ENKUlT_T0_E_clISt17integral_constantIbLb0EES1O_IbLb1EEEEDaS1K_S1L_EUlS1K_E_NS1_11comp_targetILNS1_3genE5ELNS1_11target_archE942ELNS1_3gpuE9ELNS1_3repE0EEENS1_30default_config_static_selectorELNS0_4arch9wavefront6targetE0EEEvSY_
                                        ; -- End function
	.set _ZN7rocprim17ROCPRIM_400000_NS6detail17trampoline_kernelINS0_13select_configILj256ELj13ELNS0_17block_load_methodE3ELS4_3ELS4_3ELNS0_20block_scan_algorithmE0ELj4294967295EEENS1_25partition_config_selectorILNS1_17partition_subalgoE3EjNS0_10empty_typeEbEEZZNS1_14partition_implILS8_3ELb0ES6_jNS0_17counting_iteratorIjlEEPS9_SE_NS0_5tupleIJPjSE_EEENSF_IJSE_SE_EEES9_SG_JZNS1_25segmented_radix_sort_implINS0_14default_configELb0EPKaPaPKlPlN2at6native12_GLOBAL__N_18offset_tEEE10hipError_tPvRmT1_PNSt15iterator_traitsISY_E10value_typeET2_T3_PNSZ_IS14_E10value_typeET4_jRbjT5_S1A_jjP12ihipStream_tbEUljE_EEESV_SW_SX_S14_S18_S1A_T6_T7_T9_mT8_S1C_bDpT10_ENKUlT_T0_E_clISt17integral_constantIbLb0EES1O_IbLb1EEEEDaS1K_S1L_EUlS1K_E_NS1_11comp_targetILNS1_3genE5ELNS1_11target_archE942ELNS1_3gpuE9ELNS1_3repE0EEENS1_30default_config_static_selectorELNS0_4arch9wavefront6targetE0EEEvSY_.num_vgpr, 0
	.set _ZN7rocprim17ROCPRIM_400000_NS6detail17trampoline_kernelINS0_13select_configILj256ELj13ELNS0_17block_load_methodE3ELS4_3ELS4_3ELNS0_20block_scan_algorithmE0ELj4294967295EEENS1_25partition_config_selectorILNS1_17partition_subalgoE3EjNS0_10empty_typeEbEEZZNS1_14partition_implILS8_3ELb0ES6_jNS0_17counting_iteratorIjlEEPS9_SE_NS0_5tupleIJPjSE_EEENSF_IJSE_SE_EEES9_SG_JZNS1_25segmented_radix_sort_implINS0_14default_configELb0EPKaPaPKlPlN2at6native12_GLOBAL__N_18offset_tEEE10hipError_tPvRmT1_PNSt15iterator_traitsISY_E10value_typeET2_T3_PNSZ_IS14_E10value_typeET4_jRbjT5_S1A_jjP12ihipStream_tbEUljE_EEESV_SW_SX_S14_S18_S1A_T6_T7_T9_mT8_S1C_bDpT10_ENKUlT_T0_E_clISt17integral_constantIbLb0EES1O_IbLb1EEEEDaS1K_S1L_EUlS1K_E_NS1_11comp_targetILNS1_3genE5ELNS1_11target_archE942ELNS1_3gpuE9ELNS1_3repE0EEENS1_30default_config_static_selectorELNS0_4arch9wavefront6targetE0EEEvSY_.num_agpr, 0
	.set _ZN7rocprim17ROCPRIM_400000_NS6detail17trampoline_kernelINS0_13select_configILj256ELj13ELNS0_17block_load_methodE3ELS4_3ELS4_3ELNS0_20block_scan_algorithmE0ELj4294967295EEENS1_25partition_config_selectorILNS1_17partition_subalgoE3EjNS0_10empty_typeEbEEZZNS1_14partition_implILS8_3ELb0ES6_jNS0_17counting_iteratorIjlEEPS9_SE_NS0_5tupleIJPjSE_EEENSF_IJSE_SE_EEES9_SG_JZNS1_25segmented_radix_sort_implINS0_14default_configELb0EPKaPaPKlPlN2at6native12_GLOBAL__N_18offset_tEEE10hipError_tPvRmT1_PNSt15iterator_traitsISY_E10value_typeET2_T3_PNSZ_IS14_E10value_typeET4_jRbjT5_S1A_jjP12ihipStream_tbEUljE_EEESV_SW_SX_S14_S18_S1A_T6_T7_T9_mT8_S1C_bDpT10_ENKUlT_T0_E_clISt17integral_constantIbLb0EES1O_IbLb1EEEEDaS1K_S1L_EUlS1K_E_NS1_11comp_targetILNS1_3genE5ELNS1_11target_archE942ELNS1_3gpuE9ELNS1_3repE0EEENS1_30default_config_static_selectorELNS0_4arch9wavefront6targetE0EEEvSY_.numbered_sgpr, 0
	.set _ZN7rocprim17ROCPRIM_400000_NS6detail17trampoline_kernelINS0_13select_configILj256ELj13ELNS0_17block_load_methodE3ELS4_3ELS4_3ELNS0_20block_scan_algorithmE0ELj4294967295EEENS1_25partition_config_selectorILNS1_17partition_subalgoE3EjNS0_10empty_typeEbEEZZNS1_14partition_implILS8_3ELb0ES6_jNS0_17counting_iteratorIjlEEPS9_SE_NS0_5tupleIJPjSE_EEENSF_IJSE_SE_EEES9_SG_JZNS1_25segmented_radix_sort_implINS0_14default_configELb0EPKaPaPKlPlN2at6native12_GLOBAL__N_18offset_tEEE10hipError_tPvRmT1_PNSt15iterator_traitsISY_E10value_typeET2_T3_PNSZ_IS14_E10value_typeET4_jRbjT5_S1A_jjP12ihipStream_tbEUljE_EEESV_SW_SX_S14_S18_S1A_T6_T7_T9_mT8_S1C_bDpT10_ENKUlT_T0_E_clISt17integral_constantIbLb0EES1O_IbLb1EEEEDaS1K_S1L_EUlS1K_E_NS1_11comp_targetILNS1_3genE5ELNS1_11target_archE942ELNS1_3gpuE9ELNS1_3repE0EEENS1_30default_config_static_selectorELNS0_4arch9wavefront6targetE0EEEvSY_.num_named_barrier, 0
	.set _ZN7rocprim17ROCPRIM_400000_NS6detail17trampoline_kernelINS0_13select_configILj256ELj13ELNS0_17block_load_methodE3ELS4_3ELS4_3ELNS0_20block_scan_algorithmE0ELj4294967295EEENS1_25partition_config_selectorILNS1_17partition_subalgoE3EjNS0_10empty_typeEbEEZZNS1_14partition_implILS8_3ELb0ES6_jNS0_17counting_iteratorIjlEEPS9_SE_NS0_5tupleIJPjSE_EEENSF_IJSE_SE_EEES9_SG_JZNS1_25segmented_radix_sort_implINS0_14default_configELb0EPKaPaPKlPlN2at6native12_GLOBAL__N_18offset_tEEE10hipError_tPvRmT1_PNSt15iterator_traitsISY_E10value_typeET2_T3_PNSZ_IS14_E10value_typeET4_jRbjT5_S1A_jjP12ihipStream_tbEUljE_EEESV_SW_SX_S14_S18_S1A_T6_T7_T9_mT8_S1C_bDpT10_ENKUlT_T0_E_clISt17integral_constantIbLb0EES1O_IbLb1EEEEDaS1K_S1L_EUlS1K_E_NS1_11comp_targetILNS1_3genE5ELNS1_11target_archE942ELNS1_3gpuE9ELNS1_3repE0EEENS1_30default_config_static_selectorELNS0_4arch9wavefront6targetE0EEEvSY_.private_seg_size, 0
	.set _ZN7rocprim17ROCPRIM_400000_NS6detail17trampoline_kernelINS0_13select_configILj256ELj13ELNS0_17block_load_methodE3ELS4_3ELS4_3ELNS0_20block_scan_algorithmE0ELj4294967295EEENS1_25partition_config_selectorILNS1_17partition_subalgoE3EjNS0_10empty_typeEbEEZZNS1_14partition_implILS8_3ELb0ES6_jNS0_17counting_iteratorIjlEEPS9_SE_NS0_5tupleIJPjSE_EEENSF_IJSE_SE_EEES9_SG_JZNS1_25segmented_radix_sort_implINS0_14default_configELb0EPKaPaPKlPlN2at6native12_GLOBAL__N_18offset_tEEE10hipError_tPvRmT1_PNSt15iterator_traitsISY_E10value_typeET2_T3_PNSZ_IS14_E10value_typeET4_jRbjT5_S1A_jjP12ihipStream_tbEUljE_EEESV_SW_SX_S14_S18_S1A_T6_T7_T9_mT8_S1C_bDpT10_ENKUlT_T0_E_clISt17integral_constantIbLb0EES1O_IbLb1EEEEDaS1K_S1L_EUlS1K_E_NS1_11comp_targetILNS1_3genE5ELNS1_11target_archE942ELNS1_3gpuE9ELNS1_3repE0EEENS1_30default_config_static_selectorELNS0_4arch9wavefront6targetE0EEEvSY_.uses_vcc, 0
	.set _ZN7rocprim17ROCPRIM_400000_NS6detail17trampoline_kernelINS0_13select_configILj256ELj13ELNS0_17block_load_methodE3ELS4_3ELS4_3ELNS0_20block_scan_algorithmE0ELj4294967295EEENS1_25partition_config_selectorILNS1_17partition_subalgoE3EjNS0_10empty_typeEbEEZZNS1_14partition_implILS8_3ELb0ES6_jNS0_17counting_iteratorIjlEEPS9_SE_NS0_5tupleIJPjSE_EEENSF_IJSE_SE_EEES9_SG_JZNS1_25segmented_radix_sort_implINS0_14default_configELb0EPKaPaPKlPlN2at6native12_GLOBAL__N_18offset_tEEE10hipError_tPvRmT1_PNSt15iterator_traitsISY_E10value_typeET2_T3_PNSZ_IS14_E10value_typeET4_jRbjT5_S1A_jjP12ihipStream_tbEUljE_EEESV_SW_SX_S14_S18_S1A_T6_T7_T9_mT8_S1C_bDpT10_ENKUlT_T0_E_clISt17integral_constantIbLb0EES1O_IbLb1EEEEDaS1K_S1L_EUlS1K_E_NS1_11comp_targetILNS1_3genE5ELNS1_11target_archE942ELNS1_3gpuE9ELNS1_3repE0EEENS1_30default_config_static_selectorELNS0_4arch9wavefront6targetE0EEEvSY_.uses_flat_scratch, 0
	.set _ZN7rocprim17ROCPRIM_400000_NS6detail17trampoline_kernelINS0_13select_configILj256ELj13ELNS0_17block_load_methodE3ELS4_3ELS4_3ELNS0_20block_scan_algorithmE0ELj4294967295EEENS1_25partition_config_selectorILNS1_17partition_subalgoE3EjNS0_10empty_typeEbEEZZNS1_14partition_implILS8_3ELb0ES6_jNS0_17counting_iteratorIjlEEPS9_SE_NS0_5tupleIJPjSE_EEENSF_IJSE_SE_EEES9_SG_JZNS1_25segmented_radix_sort_implINS0_14default_configELb0EPKaPaPKlPlN2at6native12_GLOBAL__N_18offset_tEEE10hipError_tPvRmT1_PNSt15iterator_traitsISY_E10value_typeET2_T3_PNSZ_IS14_E10value_typeET4_jRbjT5_S1A_jjP12ihipStream_tbEUljE_EEESV_SW_SX_S14_S18_S1A_T6_T7_T9_mT8_S1C_bDpT10_ENKUlT_T0_E_clISt17integral_constantIbLb0EES1O_IbLb1EEEEDaS1K_S1L_EUlS1K_E_NS1_11comp_targetILNS1_3genE5ELNS1_11target_archE942ELNS1_3gpuE9ELNS1_3repE0EEENS1_30default_config_static_selectorELNS0_4arch9wavefront6targetE0EEEvSY_.has_dyn_sized_stack, 0
	.set _ZN7rocprim17ROCPRIM_400000_NS6detail17trampoline_kernelINS0_13select_configILj256ELj13ELNS0_17block_load_methodE3ELS4_3ELS4_3ELNS0_20block_scan_algorithmE0ELj4294967295EEENS1_25partition_config_selectorILNS1_17partition_subalgoE3EjNS0_10empty_typeEbEEZZNS1_14partition_implILS8_3ELb0ES6_jNS0_17counting_iteratorIjlEEPS9_SE_NS0_5tupleIJPjSE_EEENSF_IJSE_SE_EEES9_SG_JZNS1_25segmented_radix_sort_implINS0_14default_configELb0EPKaPaPKlPlN2at6native12_GLOBAL__N_18offset_tEEE10hipError_tPvRmT1_PNSt15iterator_traitsISY_E10value_typeET2_T3_PNSZ_IS14_E10value_typeET4_jRbjT5_S1A_jjP12ihipStream_tbEUljE_EEESV_SW_SX_S14_S18_S1A_T6_T7_T9_mT8_S1C_bDpT10_ENKUlT_T0_E_clISt17integral_constantIbLb0EES1O_IbLb1EEEEDaS1K_S1L_EUlS1K_E_NS1_11comp_targetILNS1_3genE5ELNS1_11target_archE942ELNS1_3gpuE9ELNS1_3repE0EEENS1_30default_config_static_selectorELNS0_4arch9wavefront6targetE0EEEvSY_.has_recursion, 0
	.set _ZN7rocprim17ROCPRIM_400000_NS6detail17trampoline_kernelINS0_13select_configILj256ELj13ELNS0_17block_load_methodE3ELS4_3ELS4_3ELNS0_20block_scan_algorithmE0ELj4294967295EEENS1_25partition_config_selectorILNS1_17partition_subalgoE3EjNS0_10empty_typeEbEEZZNS1_14partition_implILS8_3ELb0ES6_jNS0_17counting_iteratorIjlEEPS9_SE_NS0_5tupleIJPjSE_EEENSF_IJSE_SE_EEES9_SG_JZNS1_25segmented_radix_sort_implINS0_14default_configELb0EPKaPaPKlPlN2at6native12_GLOBAL__N_18offset_tEEE10hipError_tPvRmT1_PNSt15iterator_traitsISY_E10value_typeET2_T3_PNSZ_IS14_E10value_typeET4_jRbjT5_S1A_jjP12ihipStream_tbEUljE_EEESV_SW_SX_S14_S18_S1A_T6_T7_T9_mT8_S1C_bDpT10_ENKUlT_T0_E_clISt17integral_constantIbLb0EES1O_IbLb1EEEEDaS1K_S1L_EUlS1K_E_NS1_11comp_targetILNS1_3genE5ELNS1_11target_archE942ELNS1_3gpuE9ELNS1_3repE0EEENS1_30default_config_static_selectorELNS0_4arch9wavefront6targetE0EEEvSY_.has_indirect_call, 0
	.section	.AMDGPU.csdata,"",@progbits
; Kernel info:
; codeLenInByte = 0
; TotalNumSgprs: 0
; NumVgprs: 0
; ScratchSize: 0
; MemoryBound: 0
; FloatMode: 240
; IeeeMode: 1
; LDSByteSize: 0 bytes/workgroup (compile time only)
; SGPRBlocks: 0
; VGPRBlocks: 0
; NumSGPRsForWavesPerEU: 1
; NumVGPRsForWavesPerEU: 1
; Occupancy: 16
; WaveLimiterHint : 0
; COMPUTE_PGM_RSRC2:SCRATCH_EN: 0
; COMPUTE_PGM_RSRC2:USER_SGPR: 6
; COMPUTE_PGM_RSRC2:TRAP_HANDLER: 0
; COMPUTE_PGM_RSRC2:TGID_X_EN: 1
; COMPUTE_PGM_RSRC2:TGID_Y_EN: 0
; COMPUTE_PGM_RSRC2:TGID_Z_EN: 0
; COMPUTE_PGM_RSRC2:TIDIG_COMP_CNT: 0
	.section	.text._ZN7rocprim17ROCPRIM_400000_NS6detail17trampoline_kernelINS0_13select_configILj256ELj13ELNS0_17block_load_methodE3ELS4_3ELS4_3ELNS0_20block_scan_algorithmE0ELj4294967295EEENS1_25partition_config_selectorILNS1_17partition_subalgoE3EjNS0_10empty_typeEbEEZZNS1_14partition_implILS8_3ELb0ES6_jNS0_17counting_iteratorIjlEEPS9_SE_NS0_5tupleIJPjSE_EEENSF_IJSE_SE_EEES9_SG_JZNS1_25segmented_radix_sort_implINS0_14default_configELb0EPKaPaPKlPlN2at6native12_GLOBAL__N_18offset_tEEE10hipError_tPvRmT1_PNSt15iterator_traitsISY_E10value_typeET2_T3_PNSZ_IS14_E10value_typeET4_jRbjT5_S1A_jjP12ihipStream_tbEUljE_EEESV_SW_SX_S14_S18_S1A_T6_T7_T9_mT8_S1C_bDpT10_ENKUlT_T0_E_clISt17integral_constantIbLb0EES1O_IbLb1EEEEDaS1K_S1L_EUlS1K_E_NS1_11comp_targetILNS1_3genE4ELNS1_11target_archE910ELNS1_3gpuE8ELNS1_3repE0EEENS1_30default_config_static_selectorELNS0_4arch9wavefront6targetE0EEEvSY_,"axG",@progbits,_ZN7rocprim17ROCPRIM_400000_NS6detail17trampoline_kernelINS0_13select_configILj256ELj13ELNS0_17block_load_methodE3ELS4_3ELS4_3ELNS0_20block_scan_algorithmE0ELj4294967295EEENS1_25partition_config_selectorILNS1_17partition_subalgoE3EjNS0_10empty_typeEbEEZZNS1_14partition_implILS8_3ELb0ES6_jNS0_17counting_iteratorIjlEEPS9_SE_NS0_5tupleIJPjSE_EEENSF_IJSE_SE_EEES9_SG_JZNS1_25segmented_radix_sort_implINS0_14default_configELb0EPKaPaPKlPlN2at6native12_GLOBAL__N_18offset_tEEE10hipError_tPvRmT1_PNSt15iterator_traitsISY_E10value_typeET2_T3_PNSZ_IS14_E10value_typeET4_jRbjT5_S1A_jjP12ihipStream_tbEUljE_EEESV_SW_SX_S14_S18_S1A_T6_T7_T9_mT8_S1C_bDpT10_ENKUlT_T0_E_clISt17integral_constantIbLb0EES1O_IbLb1EEEEDaS1K_S1L_EUlS1K_E_NS1_11comp_targetILNS1_3genE4ELNS1_11target_archE910ELNS1_3gpuE8ELNS1_3repE0EEENS1_30default_config_static_selectorELNS0_4arch9wavefront6targetE0EEEvSY_,comdat
	.globl	_ZN7rocprim17ROCPRIM_400000_NS6detail17trampoline_kernelINS0_13select_configILj256ELj13ELNS0_17block_load_methodE3ELS4_3ELS4_3ELNS0_20block_scan_algorithmE0ELj4294967295EEENS1_25partition_config_selectorILNS1_17partition_subalgoE3EjNS0_10empty_typeEbEEZZNS1_14partition_implILS8_3ELb0ES6_jNS0_17counting_iteratorIjlEEPS9_SE_NS0_5tupleIJPjSE_EEENSF_IJSE_SE_EEES9_SG_JZNS1_25segmented_radix_sort_implINS0_14default_configELb0EPKaPaPKlPlN2at6native12_GLOBAL__N_18offset_tEEE10hipError_tPvRmT1_PNSt15iterator_traitsISY_E10value_typeET2_T3_PNSZ_IS14_E10value_typeET4_jRbjT5_S1A_jjP12ihipStream_tbEUljE_EEESV_SW_SX_S14_S18_S1A_T6_T7_T9_mT8_S1C_bDpT10_ENKUlT_T0_E_clISt17integral_constantIbLb0EES1O_IbLb1EEEEDaS1K_S1L_EUlS1K_E_NS1_11comp_targetILNS1_3genE4ELNS1_11target_archE910ELNS1_3gpuE8ELNS1_3repE0EEENS1_30default_config_static_selectorELNS0_4arch9wavefront6targetE0EEEvSY_ ; -- Begin function _ZN7rocprim17ROCPRIM_400000_NS6detail17trampoline_kernelINS0_13select_configILj256ELj13ELNS0_17block_load_methodE3ELS4_3ELS4_3ELNS0_20block_scan_algorithmE0ELj4294967295EEENS1_25partition_config_selectorILNS1_17partition_subalgoE3EjNS0_10empty_typeEbEEZZNS1_14partition_implILS8_3ELb0ES6_jNS0_17counting_iteratorIjlEEPS9_SE_NS0_5tupleIJPjSE_EEENSF_IJSE_SE_EEES9_SG_JZNS1_25segmented_radix_sort_implINS0_14default_configELb0EPKaPaPKlPlN2at6native12_GLOBAL__N_18offset_tEEE10hipError_tPvRmT1_PNSt15iterator_traitsISY_E10value_typeET2_T3_PNSZ_IS14_E10value_typeET4_jRbjT5_S1A_jjP12ihipStream_tbEUljE_EEESV_SW_SX_S14_S18_S1A_T6_T7_T9_mT8_S1C_bDpT10_ENKUlT_T0_E_clISt17integral_constantIbLb0EES1O_IbLb1EEEEDaS1K_S1L_EUlS1K_E_NS1_11comp_targetILNS1_3genE4ELNS1_11target_archE910ELNS1_3gpuE8ELNS1_3repE0EEENS1_30default_config_static_selectorELNS0_4arch9wavefront6targetE0EEEvSY_
	.p2align	8
	.type	_ZN7rocprim17ROCPRIM_400000_NS6detail17trampoline_kernelINS0_13select_configILj256ELj13ELNS0_17block_load_methodE3ELS4_3ELS4_3ELNS0_20block_scan_algorithmE0ELj4294967295EEENS1_25partition_config_selectorILNS1_17partition_subalgoE3EjNS0_10empty_typeEbEEZZNS1_14partition_implILS8_3ELb0ES6_jNS0_17counting_iteratorIjlEEPS9_SE_NS0_5tupleIJPjSE_EEENSF_IJSE_SE_EEES9_SG_JZNS1_25segmented_radix_sort_implINS0_14default_configELb0EPKaPaPKlPlN2at6native12_GLOBAL__N_18offset_tEEE10hipError_tPvRmT1_PNSt15iterator_traitsISY_E10value_typeET2_T3_PNSZ_IS14_E10value_typeET4_jRbjT5_S1A_jjP12ihipStream_tbEUljE_EEESV_SW_SX_S14_S18_S1A_T6_T7_T9_mT8_S1C_bDpT10_ENKUlT_T0_E_clISt17integral_constantIbLb0EES1O_IbLb1EEEEDaS1K_S1L_EUlS1K_E_NS1_11comp_targetILNS1_3genE4ELNS1_11target_archE910ELNS1_3gpuE8ELNS1_3repE0EEENS1_30default_config_static_selectorELNS0_4arch9wavefront6targetE0EEEvSY_,@function
_ZN7rocprim17ROCPRIM_400000_NS6detail17trampoline_kernelINS0_13select_configILj256ELj13ELNS0_17block_load_methodE3ELS4_3ELS4_3ELNS0_20block_scan_algorithmE0ELj4294967295EEENS1_25partition_config_selectorILNS1_17partition_subalgoE3EjNS0_10empty_typeEbEEZZNS1_14partition_implILS8_3ELb0ES6_jNS0_17counting_iteratorIjlEEPS9_SE_NS0_5tupleIJPjSE_EEENSF_IJSE_SE_EEES9_SG_JZNS1_25segmented_radix_sort_implINS0_14default_configELb0EPKaPaPKlPlN2at6native12_GLOBAL__N_18offset_tEEE10hipError_tPvRmT1_PNSt15iterator_traitsISY_E10value_typeET2_T3_PNSZ_IS14_E10value_typeET4_jRbjT5_S1A_jjP12ihipStream_tbEUljE_EEESV_SW_SX_S14_S18_S1A_T6_T7_T9_mT8_S1C_bDpT10_ENKUlT_T0_E_clISt17integral_constantIbLb0EES1O_IbLb1EEEEDaS1K_S1L_EUlS1K_E_NS1_11comp_targetILNS1_3genE4ELNS1_11target_archE910ELNS1_3gpuE8ELNS1_3repE0EEENS1_30default_config_static_selectorELNS0_4arch9wavefront6targetE0EEEvSY_: ; @_ZN7rocprim17ROCPRIM_400000_NS6detail17trampoline_kernelINS0_13select_configILj256ELj13ELNS0_17block_load_methodE3ELS4_3ELS4_3ELNS0_20block_scan_algorithmE0ELj4294967295EEENS1_25partition_config_selectorILNS1_17partition_subalgoE3EjNS0_10empty_typeEbEEZZNS1_14partition_implILS8_3ELb0ES6_jNS0_17counting_iteratorIjlEEPS9_SE_NS0_5tupleIJPjSE_EEENSF_IJSE_SE_EEES9_SG_JZNS1_25segmented_radix_sort_implINS0_14default_configELb0EPKaPaPKlPlN2at6native12_GLOBAL__N_18offset_tEEE10hipError_tPvRmT1_PNSt15iterator_traitsISY_E10value_typeET2_T3_PNSZ_IS14_E10value_typeET4_jRbjT5_S1A_jjP12ihipStream_tbEUljE_EEESV_SW_SX_S14_S18_S1A_T6_T7_T9_mT8_S1C_bDpT10_ENKUlT_T0_E_clISt17integral_constantIbLb0EES1O_IbLb1EEEEDaS1K_S1L_EUlS1K_E_NS1_11comp_targetILNS1_3genE4ELNS1_11target_archE910ELNS1_3gpuE8ELNS1_3repE0EEENS1_30default_config_static_selectorELNS0_4arch9wavefront6targetE0EEEvSY_
; %bb.0:
	.section	.rodata,"a",@progbits
	.p2align	6, 0x0
	.amdhsa_kernel _ZN7rocprim17ROCPRIM_400000_NS6detail17trampoline_kernelINS0_13select_configILj256ELj13ELNS0_17block_load_methodE3ELS4_3ELS4_3ELNS0_20block_scan_algorithmE0ELj4294967295EEENS1_25partition_config_selectorILNS1_17partition_subalgoE3EjNS0_10empty_typeEbEEZZNS1_14partition_implILS8_3ELb0ES6_jNS0_17counting_iteratorIjlEEPS9_SE_NS0_5tupleIJPjSE_EEENSF_IJSE_SE_EEES9_SG_JZNS1_25segmented_radix_sort_implINS0_14default_configELb0EPKaPaPKlPlN2at6native12_GLOBAL__N_18offset_tEEE10hipError_tPvRmT1_PNSt15iterator_traitsISY_E10value_typeET2_T3_PNSZ_IS14_E10value_typeET4_jRbjT5_S1A_jjP12ihipStream_tbEUljE_EEESV_SW_SX_S14_S18_S1A_T6_T7_T9_mT8_S1C_bDpT10_ENKUlT_T0_E_clISt17integral_constantIbLb0EES1O_IbLb1EEEEDaS1K_S1L_EUlS1K_E_NS1_11comp_targetILNS1_3genE4ELNS1_11target_archE910ELNS1_3gpuE8ELNS1_3repE0EEENS1_30default_config_static_selectorELNS0_4arch9wavefront6targetE0EEEvSY_
		.amdhsa_group_segment_fixed_size 0
		.amdhsa_private_segment_fixed_size 0
		.amdhsa_kernarg_size 152
		.amdhsa_user_sgpr_count 6
		.amdhsa_user_sgpr_private_segment_buffer 1
		.amdhsa_user_sgpr_dispatch_ptr 0
		.amdhsa_user_sgpr_queue_ptr 0
		.amdhsa_user_sgpr_kernarg_segment_ptr 1
		.amdhsa_user_sgpr_dispatch_id 0
		.amdhsa_user_sgpr_flat_scratch_init 0
		.amdhsa_user_sgpr_private_segment_size 0
		.amdhsa_wavefront_size32 1
		.amdhsa_uses_dynamic_stack 0
		.amdhsa_system_sgpr_private_segment_wavefront_offset 0
		.amdhsa_system_sgpr_workgroup_id_x 1
		.amdhsa_system_sgpr_workgroup_id_y 0
		.amdhsa_system_sgpr_workgroup_id_z 0
		.amdhsa_system_sgpr_workgroup_info 0
		.amdhsa_system_vgpr_workitem_id 0
		.amdhsa_next_free_vgpr 1
		.amdhsa_next_free_sgpr 1
		.amdhsa_reserve_vcc 0
		.amdhsa_reserve_flat_scratch 0
		.amdhsa_float_round_mode_32 0
		.amdhsa_float_round_mode_16_64 0
		.amdhsa_float_denorm_mode_32 3
		.amdhsa_float_denorm_mode_16_64 3
		.amdhsa_dx10_clamp 1
		.amdhsa_ieee_mode 1
		.amdhsa_fp16_overflow 0
		.amdhsa_workgroup_processor_mode 1
		.amdhsa_memory_ordered 1
		.amdhsa_forward_progress 1
		.amdhsa_shared_vgpr_count 0
		.amdhsa_exception_fp_ieee_invalid_op 0
		.amdhsa_exception_fp_denorm_src 0
		.amdhsa_exception_fp_ieee_div_zero 0
		.amdhsa_exception_fp_ieee_overflow 0
		.amdhsa_exception_fp_ieee_underflow 0
		.amdhsa_exception_fp_ieee_inexact 0
		.amdhsa_exception_int_div_zero 0
	.end_amdhsa_kernel
	.section	.text._ZN7rocprim17ROCPRIM_400000_NS6detail17trampoline_kernelINS0_13select_configILj256ELj13ELNS0_17block_load_methodE3ELS4_3ELS4_3ELNS0_20block_scan_algorithmE0ELj4294967295EEENS1_25partition_config_selectorILNS1_17partition_subalgoE3EjNS0_10empty_typeEbEEZZNS1_14partition_implILS8_3ELb0ES6_jNS0_17counting_iteratorIjlEEPS9_SE_NS0_5tupleIJPjSE_EEENSF_IJSE_SE_EEES9_SG_JZNS1_25segmented_radix_sort_implINS0_14default_configELb0EPKaPaPKlPlN2at6native12_GLOBAL__N_18offset_tEEE10hipError_tPvRmT1_PNSt15iterator_traitsISY_E10value_typeET2_T3_PNSZ_IS14_E10value_typeET4_jRbjT5_S1A_jjP12ihipStream_tbEUljE_EEESV_SW_SX_S14_S18_S1A_T6_T7_T9_mT8_S1C_bDpT10_ENKUlT_T0_E_clISt17integral_constantIbLb0EES1O_IbLb1EEEEDaS1K_S1L_EUlS1K_E_NS1_11comp_targetILNS1_3genE4ELNS1_11target_archE910ELNS1_3gpuE8ELNS1_3repE0EEENS1_30default_config_static_selectorELNS0_4arch9wavefront6targetE0EEEvSY_,"axG",@progbits,_ZN7rocprim17ROCPRIM_400000_NS6detail17trampoline_kernelINS0_13select_configILj256ELj13ELNS0_17block_load_methodE3ELS4_3ELS4_3ELNS0_20block_scan_algorithmE0ELj4294967295EEENS1_25partition_config_selectorILNS1_17partition_subalgoE3EjNS0_10empty_typeEbEEZZNS1_14partition_implILS8_3ELb0ES6_jNS0_17counting_iteratorIjlEEPS9_SE_NS0_5tupleIJPjSE_EEENSF_IJSE_SE_EEES9_SG_JZNS1_25segmented_radix_sort_implINS0_14default_configELb0EPKaPaPKlPlN2at6native12_GLOBAL__N_18offset_tEEE10hipError_tPvRmT1_PNSt15iterator_traitsISY_E10value_typeET2_T3_PNSZ_IS14_E10value_typeET4_jRbjT5_S1A_jjP12ihipStream_tbEUljE_EEESV_SW_SX_S14_S18_S1A_T6_T7_T9_mT8_S1C_bDpT10_ENKUlT_T0_E_clISt17integral_constantIbLb0EES1O_IbLb1EEEEDaS1K_S1L_EUlS1K_E_NS1_11comp_targetILNS1_3genE4ELNS1_11target_archE910ELNS1_3gpuE8ELNS1_3repE0EEENS1_30default_config_static_selectorELNS0_4arch9wavefront6targetE0EEEvSY_,comdat
.Lfunc_end384:
	.size	_ZN7rocprim17ROCPRIM_400000_NS6detail17trampoline_kernelINS0_13select_configILj256ELj13ELNS0_17block_load_methodE3ELS4_3ELS4_3ELNS0_20block_scan_algorithmE0ELj4294967295EEENS1_25partition_config_selectorILNS1_17partition_subalgoE3EjNS0_10empty_typeEbEEZZNS1_14partition_implILS8_3ELb0ES6_jNS0_17counting_iteratorIjlEEPS9_SE_NS0_5tupleIJPjSE_EEENSF_IJSE_SE_EEES9_SG_JZNS1_25segmented_radix_sort_implINS0_14default_configELb0EPKaPaPKlPlN2at6native12_GLOBAL__N_18offset_tEEE10hipError_tPvRmT1_PNSt15iterator_traitsISY_E10value_typeET2_T3_PNSZ_IS14_E10value_typeET4_jRbjT5_S1A_jjP12ihipStream_tbEUljE_EEESV_SW_SX_S14_S18_S1A_T6_T7_T9_mT8_S1C_bDpT10_ENKUlT_T0_E_clISt17integral_constantIbLb0EES1O_IbLb1EEEEDaS1K_S1L_EUlS1K_E_NS1_11comp_targetILNS1_3genE4ELNS1_11target_archE910ELNS1_3gpuE8ELNS1_3repE0EEENS1_30default_config_static_selectorELNS0_4arch9wavefront6targetE0EEEvSY_, .Lfunc_end384-_ZN7rocprim17ROCPRIM_400000_NS6detail17trampoline_kernelINS0_13select_configILj256ELj13ELNS0_17block_load_methodE3ELS4_3ELS4_3ELNS0_20block_scan_algorithmE0ELj4294967295EEENS1_25partition_config_selectorILNS1_17partition_subalgoE3EjNS0_10empty_typeEbEEZZNS1_14partition_implILS8_3ELb0ES6_jNS0_17counting_iteratorIjlEEPS9_SE_NS0_5tupleIJPjSE_EEENSF_IJSE_SE_EEES9_SG_JZNS1_25segmented_radix_sort_implINS0_14default_configELb0EPKaPaPKlPlN2at6native12_GLOBAL__N_18offset_tEEE10hipError_tPvRmT1_PNSt15iterator_traitsISY_E10value_typeET2_T3_PNSZ_IS14_E10value_typeET4_jRbjT5_S1A_jjP12ihipStream_tbEUljE_EEESV_SW_SX_S14_S18_S1A_T6_T7_T9_mT8_S1C_bDpT10_ENKUlT_T0_E_clISt17integral_constantIbLb0EES1O_IbLb1EEEEDaS1K_S1L_EUlS1K_E_NS1_11comp_targetILNS1_3genE4ELNS1_11target_archE910ELNS1_3gpuE8ELNS1_3repE0EEENS1_30default_config_static_selectorELNS0_4arch9wavefront6targetE0EEEvSY_
                                        ; -- End function
	.set _ZN7rocprim17ROCPRIM_400000_NS6detail17trampoline_kernelINS0_13select_configILj256ELj13ELNS0_17block_load_methodE3ELS4_3ELS4_3ELNS0_20block_scan_algorithmE0ELj4294967295EEENS1_25partition_config_selectorILNS1_17partition_subalgoE3EjNS0_10empty_typeEbEEZZNS1_14partition_implILS8_3ELb0ES6_jNS0_17counting_iteratorIjlEEPS9_SE_NS0_5tupleIJPjSE_EEENSF_IJSE_SE_EEES9_SG_JZNS1_25segmented_radix_sort_implINS0_14default_configELb0EPKaPaPKlPlN2at6native12_GLOBAL__N_18offset_tEEE10hipError_tPvRmT1_PNSt15iterator_traitsISY_E10value_typeET2_T3_PNSZ_IS14_E10value_typeET4_jRbjT5_S1A_jjP12ihipStream_tbEUljE_EEESV_SW_SX_S14_S18_S1A_T6_T7_T9_mT8_S1C_bDpT10_ENKUlT_T0_E_clISt17integral_constantIbLb0EES1O_IbLb1EEEEDaS1K_S1L_EUlS1K_E_NS1_11comp_targetILNS1_3genE4ELNS1_11target_archE910ELNS1_3gpuE8ELNS1_3repE0EEENS1_30default_config_static_selectorELNS0_4arch9wavefront6targetE0EEEvSY_.num_vgpr, 0
	.set _ZN7rocprim17ROCPRIM_400000_NS6detail17trampoline_kernelINS0_13select_configILj256ELj13ELNS0_17block_load_methodE3ELS4_3ELS4_3ELNS0_20block_scan_algorithmE0ELj4294967295EEENS1_25partition_config_selectorILNS1_17partition_subalgoE3EjNS0_10empty_typeEbEEZZNS1_14partition_implILS8_3ELb0ES6_jNS0_17counting_iteratorIjlEEPS9_SE_NS0_5tupleIJPjSE_EEENSF_IJSE_SE_EEES9_SG_JZNS1_25segmented_radix_sort_implINS0_14default_configELb0EPKaPaPKlPlN2at6native12_GLOBAL__N_18offset_tEEE10hipError_tPvRmT1_PNSt15iterator_traitsISY_E10value_typeET2_T3_PNSZ_IS14_E10value_typeET4_jRbjT5_S1A_jjP12ihipStream_tbEUljE_EEESV_SW_SX_S14_S18_S1A_T6_T7_T9_mT8_S1C_bDpT10_ENKUlT_T0_E_clISt17integral_constantIbLb0EES1O_IbLb1EEEEDaS1K_S1L_EUlS1K_E_NS1_11comp_targetILNS1_3genE4ELNS1_11target_archE910ELNS1_3gpuE8ELNS1_3repE0EEENS1_30default_config_static_selectorELNS0_4arch9wavefront6targetE0EEEvSY_.num_agpr, 0
	.set _ZN7rocprim17ROCPRIM_400000_NS6detail17trampoline_kernelINS0_13select_configILj256ELj13ELNS0_17block_load_methodE3ELS4_3ELS4_3ELNS0_20block_scan_algorithmE0ELj4294967295EEENS1_25partition_config_selectorILNS1_17partition_subalgoE3EjNS0_10empty_typeEbEEZZNS1_14partition_implILS8_3ELb0ES6_jNS0_17counting_iteratorIjlEEPS9_SE_NS0_5tupleIJPjSE_EEENSF_IJSE_SE_EEES9_SG_JZNS1_25segmented_radix_sort_implINS0_14default_configELb0EPKaPaPKlPlN2at6native12_GLOBAL__N_18offset_tEEE10hipError_tPvRmT1_PNSt15iterator_traitsISY_E10value_typeET2_T3_PNSZ_IS14_E10value_typeET4_jRbjT5_S1A_jjP12ihipStream_tbEUljE_EEESV_SW_SX_S14_S18_S1A_T6_T7_T9_mT8_S1C_bDpT10_ENKUlT_T0_E_clISt17integral_constantIbLb0EES1O_IbLb1EEEEDaS1K_S1L_EUlS1K_E_NS1_11comp_targetILNS1_3genE4ELNS1_11target_archE910ELNS1_3gpuE8ELNS1_3repE0EEENS1_30default_config_static_selectorELNS0_4arch9wavefront6targetE0EEEvSY_.numbered_sgpr, 0
	.set _ZN7rocprim17ROCPRIM_400000_NS6detail17trampoline_kernelINS0_13select_configILj256ELj13ELNS0_17block_load_methodE3ELS4_3ELS4_3ELNS0_20block_scan_algorithmE0ELj4294967295EEENS1_25partition_config_selectorILNS1_17partition_subalgoE3EjNS0_10empty_typeEbEEZZNS1_14partition_implILS8_3ELb0ES6_jNS0_17counting_iteratorIjlEEPS9_SE_NS0_5tupleIJPjSE_EEENSF_IJSE_SE_EEES9_SG_JZNS1_25segmented_radix_sort_implINS0_14default_configELb0EPKaPaPKlPlN2at6native12_GLOBAL__N_18offset_tEEE10hipError_tPvRmT1_PNSt15iterator_traitsISY_E10value_typeET2_T3_PNSZ_IS14_E10value_typeET4_jRbjT5_S1A_jjP12ihipStream_tbEUljE_EEESV_SW_SX_S14_S18_S1A_T6_T7_T9_mT8_S1C_bDpT10_ENKUlT_T0_E_clISt17integral_constantIbLb0EES1O_IbLb1EEEEDaS1K_S1L_EUlS1K_E_NS1_11comp_targetILNS1_3genE4ELNS1_11target_archE910ELNS1_3gpuE8ELNS1_3repE0EEENS1_30default_config_static_selectorELNS0_4arch9wavefront6targetE0EEEvSY_.num_named_barrier, 0
	.set _ZN7rocprim17ROCPRIM_400000_NS6detail17trampoline_kernelINS0_13select_configILj256ELj13ELNS0_17block_load_methodE3ELS4_3ELS4_3ELNS0_20block_scan_algorithmE0ELj4294967295EEENS1_25partition_config_selectorILNS1_17partition_subalgoE3EjNS0_10empty_typeEbEEZZNS1_14partition_implILS8_3ELb0ES6_jNS0_17counting_iteratorIjlEEPS9_SE_NS0_5tupleIJPjSE_EEENSF_IJSE_SE_EEES9_SG_JZNS1_25segmented_radix_sort_implINS0_14default_configELb0EPKaPaPKlPlN2at6native12_GLOBAL__N_18offset_tEEE10hipError_tPvRmT1_PNSt15iterator_traitsISY_E10value_typeET2_T3_PNSZ_IS14_E10value_typeET4_jRbjT5_S1A_jjP12ihipStream_tbEUljE_EEESV_SW_SX_S14_S18_S1A_T6_T7_T9_mT8_S1C_bDpT10_ENKUlT_T0_E_clISt17integral_constantIbLb0EES1O_IbLb1EEEEDaS1K_S1L_EUlS1K_E_NS1_11comp_targetILNS1_3genE4ELNS1_11target_archE910ELNS1_3gpuE8ELNS1_3repE0EEENS1_30default_config_static_selectorELNS0_4arch9wavefront6targetE0EEEvSY_.private_seg_size, 0
	.set _ZN7rocprim17ROCPRIM_400000_NS6detail17trampoline_kernelINS0_13select_configILj256ELj13ELNS0_17block_load_methodE3ELS4_3ELS4_3ELNS0_20block_scan_algorithmE0ELj4294967295EEENS1_25partition_config_selectorILNS1_17partition_subalgoE3EjNS0_10empty_typeEbEEZZNS1_14partition_implILS8_3ELb0ES6_jNS0_17counting_iteratorIjlEEPS9_SE_NS0_5tupleIJPjSE_EEENSF_IJSE_SE_EEES9_SG_JZNS1_25segmented_radix_sort_implINS0_14default_configELb0EPKaPaPKlPlN2at6native12_GLOBAL__N_18offset_tEEE10hipError_tPvRmT1_PNSt15iterator_traitsISY_E10value_typeET2_T3_PNSZ_IS14_E10value_typeET4_jRbjT5_S1A_jjP12ihipStream_tbEUljE_EEESV_SW_SX_S14_S18_S1A_T6_T7_T9_mT8_S1C_bDpT10_ENKUlT_T0_E_clISt17integral_constantIbLb0EES1O_IbLb1EEEEDaS1K_S1L_EUlS1K_E_NS1_11comp_targetILNS1_3genE4ELNS1_11target_archE910ELNS1_3gpuE8ELNS1_3repE0EEENS1_30default_config_static_selectorELNS0_4arch9wavefront6targetE0EEEvSY_.uses_vcc, 0
	.set _ZN7rocprim17ROCPRIM_400000_NS6detail17trampoline_kernelINS0_13select_configILj256ELj13ELNS0_17block_load_methodE3ELS4_3ELS4_3ELNS0_20block_scan_algorithmE0ELj4294967295EEENS1_25partition_config_selectorILNS1_17partition_subalgoE3EjNS0_10empty_typeEbEEZZNS1_14partition_implILS8_3ELb0ES6_jNS0_17counting_iteratorIjlEEPS9_SE_NS0_5tupleIJPjSE_EEENSF_IJSE_SE_EEES9_SG_JZNS1_25segmented_radix_sort_implINS0_14default_configELb0EPKaPaPKlPlN2at6native12_GLOBAL__N_18offset_tEEE10hipError_tPvRmT1_PNSt15iterator_traitsISY_E10value_typeET2_T3_PNSZ_IS14_E10value_typeET4_jRbjT5_S1A_jjP12ihipStream_tbEUljE_EEESV_SW_SX_S14_S18_S1A_T6_T7_T9_mT8_S1C_bDpT10_ENKUlT_T0_E_clISt17integral_constantIbLb0EES1O_IbLb1EEEEDaS1K_S1L_EUlS1K_E_NS1_11comp_targetILNS1_3genE4ELNS1_11target_archE910ELNS1_3gpuE8ELNS1_3repE0EEENS1_30default_config_static_selectorELNS0_4arch9wavefront6targetE0EEEvSY_.uses_flat_scratch, 0
	.set _ZN7rocprim17ROCPRIM_400000_NS6detail17trampoline_kernelINS0_13select_configILj256ELj13ELNS0_17block_load_methodE3ELS4_3ELS4_3ELNS0_20block_scan_algorithmE0ELj4294967295EEENS1_25partition_config_selectorILNS1_17partition_subalgoE3EjNS0_10empty_typeEbEEZZNS1_14partition_implILS8_3ELb0ES6_jNS0_17counting_iteratorIjlEEPS9_SE_NS0_5tupleIJPjSE_EEENSF_IJSE_SE_EEES9_SG_JZNS1_25segmented_radix_sort_implINS0_14default_configELb0EPKaPaPKlPlN2at6native12_GLOBAL__N_18offset_tEEE10hipError_tPvRmT1_PNSt15iterator_traitsISY_E10value_typeET2_T3_PNSZ_IS14_E10value_typeET4_jRbjT5_S1A_jjP12ihipStream_tbEUljE_EEESV_SW_SX_S14_S18_S1A_T6_T7_T9_mT8_S1C_bDpT10_ENKUlT_T0_E_clISt17integral_constantIbLb0EES1O_IbLb1EEEEDaS1K_S1L_EUlS1K_E_NS1_11comp_targetILNS1_3genE4ELNS1_11target_archE910ELNS1_3gpuE8ELNS1_3repE0EEENS1_30default_config_static_selectorELNS0_4arch9wavefront6targetE0EEEvSY_.has_dyn_sized_stack, 0
	.set _ZN7rocprim17ROCPRIM_400000_NS6detail17trampoline_kernelINS0_13select_configILj256ELj13ELNS0_17block_load_methodE3ELS4_3ELS4_3ELNS0_20block_scan_algorithmE0ELj4294967295EEENS1_25partition_config_selectorILNS1_17partition_subalgoE3EjNS0_10empty_typeEbEEZZNS1_14partition_implILS8_3ELb0ES6_jNS0_17counting_iteratorIjlEEPS9_SE_NS0_5tupleIJPjSE_EEENSF_IJSE_SE_EEES9_SG_JZNS1_25segmented_radix_sort_implINS0_14default_configELb0EPKaPaPKlPlN2at6native12_GLOBAL__N_18offset_tEEE10hipError_tPvRmT1_PNSt15iterator_traitsISY_E10value_typeET2_T3_PNSZ_IS14_E10value_typeET4_jRbjT5_S1A_jjP12ihipStream_tbEUljE_EEESV_SW_SX_S14_S18_S1A_T6_T7_T9_mT8_S1C_bDpT10_ENKUlT_T0_E_clISt17integral_constantIbLb0EES1O_IbLb1EEEEDaS1K_S1L_EUlS1K_E_NS1_11comp_targetILNS1_3genE4ELNS1_11target_archE910ELNS1_3gpuE8ELNS1_3repE0EEENS1_30default_config_static_selectorELNS0_4arch9wavefront6targetE0EEEvSY_.has_recursion, 0
	.set _ZN7rocprim17ROCPRIM_400000_NS6detail17trampoline_kernelINS0_13select_configILj256ELj13ELNS0_17block_load_methodE3ELS4_3ELS4_3ELNS0_20block_scan_algorithmE0ELj4294967295EEENS1_25partition_config_selectorILNS1_17partition_subalgoE3EjNS0_10empty_typeEbEEZZNS1_14partition_implILS8_3ELb0ES6_jNS0_17counting_iteratorIjlEEPS9_SE_NS0_5tupleIJPjSE_EEENSF_IJSE_SE_EEES9_SG_JZNS1_25segmented_radix_sort_implINS0_14default_configELb0EPKaPaPKlPlN2at6native12_GLOBAL__N_18offset_tEEE10hipError_tPvRmT1_PNSt15iterator_traitsISY_E10value_typeET2_T3_PNSZ_IS14_E10value_typeET4_jRbjT5_S1A_jjP12ihipStream_tbEUljE_EEESV_SW_SX_S14_S18_S1A_T6_T7_T9_mT8_S1C_bDpT10_ENKUlT_T0_E_clISt17integral_constantIbLb0EES1O_IbLb1EEEEDaS1K_S1L_EUlS1K_E_NS1_11comp_targetILNS1_3genE4ELNS1_11target_archE910ELNS1_3gpuE8ELNS1_3repE0EEENS1_30default_config_static_selectorELNS0_4arch9wavefront6targetE0EEEvSY_.has_indirect_call, 0
	.section	.AMDGPU.csdata,"",@progbits
; Kernel info:
; codeLenInByte = 0
; TotalNumSgprs: 0
; NumVgprs: 0
; ScratchSize: 0
; MemoryBound: 0
; FloatMode: 240
; IeeeMode: 1
; LDSByteSize: 0 bytes/workgroup (compile time only)
; SGPRBlocks: 0
; VGPRBlocks: 0
; NumSGPRsForWavesPerEU: 1
; NumVGPRsForWavesPerEU: 1
; Occupancy: 16
; WaveLimiterHint : 0
; COMPUTE_PGM_RSRC2:SCRATCH_EN: 0
; COMPUTE_PGM_RSRC2:USER_SGPR: 6
; COMPUTE_PGM_RSRC2:TRAP_HANDLER: 0
; COMPUTE_PGM_RSRC2:TGID_X_EN: 1
; COMPUTE_PGM_RSRC2:TGID_Y_EN: 0
; COMPUTE_PGM_RSRC2:TGID_Z_EN: 0
; COMPUTE_PGM_RSRC2:TIDIG_COMP_CNT: 0
	.section	.text._ZN7rocprim17ROCPRIM_400000_NS6detail17trampoline_kernelINS0_13select_configILj256ELj13ELNS0_17block_load_methodE3ELS4_3ELS4_3ELNS0_20block_scan_algorithmE0ELj4294967295EEENS1_25partition_config_selectorILNS1_17partition_subalgoE3EjNS0_10empty_typeEbEEZZNS1_14partition_implILS8_3ELb0ES6_jNS0_17counting_iteratorIjlEEPS9_SE_NS0_5tupleIJPjSE_EEENSF_IJSE_SE_EEES9_SG_JZNS1_25segmented_radix_sort_implINS0_14default_configELb0EPKaPaPKlPlN2at6native12_GLOBAL__N_18offset_tEEE10hipError_tPvRmT1_PNSt15iterator_traitsISY_E10value_typeET2_T3_PNSZ_IS14_E10value_typeET4_jRbjT5_S1A_jjP12ihipStream_tbEUljE_EEESV_SW_SX_S14_S18_S1A_T6_T7_T9_mT8_S1C_bDpT10_ENKUlT_T0_E_clISt17integral_constantIbLb0EES1O_IbLb1EEEEDaS1K_S1L_EUlS1K_E_NS1_11comp_targetILNS1_3genE3ELNS1_11target_archE908ELNS1_3gpuE7ELNS1_3repE0EEENS1_30default_config_static_selectorELNS0_4arch9wavefront6targetE0EEEvSY_,"axG",@progbits,_ZN7rocprim17ROCPRIM_400000_NS6detail17trampoline_kernelINS0_13select_configILj256ELj13ELNS0_17block_load_methodE3ELS4_3ELS4_3ELNS0_20block_scan_algorithmE0ELj4294967295EEENS1_25partition_config_selectorILNS1_17partition_subalgoE3EjNS0_10empty_typeEbEEZZNS1_14partition_implILS8_3ELb0ES6_jNS0_17counting_iteratorIjlEEPS9_SE_NS0_5tupleIJPjSE_EEENSF_IJSE_SE_EEES9_SG_JZNS1_25segmented_radix_sort_implINS0_14default_configELb0EPKaPaPKlPlN2at6native12_GLOBAL__N_18offset_tEEE10hipError_tPvRmT1_PNSt15iterator_traitsISY_E10value_typeET2_T3_PNSZ_IS14_E10value_typeET4_jRbjT5_S1A_jjP12ihipStream_tbEUljE_EEESV_SW_SX_S14_S18_S1A_T6_T7_T9_mT8_S1C_bDpT10_ENKUlT_T0_E_clISt17integral_constantIbLb0EES1O_IbLb1EEEEDaS1K_S1L_EUlS1K_E_NS1_11comp_targetILNS1_3genE3ELNS1_11target_archE908ELNS1_3gpuE7ELNS1_3repE0EEENS1_30default_config_static_selectorELNS0_4arch9wavefront6targetE0EEEvSY_,comdat
	.globl	_ZN7rocprim17ROCPRIM_400000_NS6detail17trampoline_kernelINS0_13select_configILj256ELj13ELNS0_17block_load_methodE3ELS4_3ELS4_3ELNS0_20block_scan_algorithmE0ELj4294967295EEENS1_25partition_config_selectorILNS1_17partition_subalgoE3EjNS0_10empty_typeEbEEZZNS1_14partition_implILS8_3ELb0ES6_jNS0_17counting_iteratorIjlEEPS9_SE_NS0_5tupleIJPjSE_EEENSF_IJSE_SE_EEES9_SG_JZNS1_25segmented_radix_sort_implINS0_14default_configELb0EPKaPaPKlPlN2at6native12_GLOBAL__N_18offset_tEEE10hipError_tPvRmT1_PNSt15iterator_traitsISY_E10value_typeET2_T3_PNSZ_IS14_E10value_typeET4_jRbjT5_S1A_jjP12ihipStream_tbEUljE_EEESV_SW_SX_S14_S18_S1A_T6_T7_T9_mT8_S1C_bDpT10_ENKUlT_T0_E_clISt17integral_constantIbLb0EES1O_IbLb1EEEEDaS1K_S1L_EUlS1K_E_NS1_11comp_targetILNS1_3genE3ELNS1_11target_archE908ELNS1_3gpuE7ELNS1_3repE0EEENS1_30default_config_static_selectorELNS0_4arch9wavefront6targetE0EEEvSY_ ; -- Begin function _ZN7rocprim17ROCPRIM_400000_NS6detail17trampoline_kernelINS0_13select_configILj256ELj13ELNS0_17block_load_methodE3ELS4_3ELS4_3ELNS0_20block_scan_algorithmE0ELj4294967295EEENS1_25partition_config_selectorILNS1_17partition_subalgoE3EjNS0_10empty_typeEbEEZZNS1_14partition_implILS8_3ELb0ES6_jNS0_17counting_iteratorIjlEEPS9_SE_NS0_5tupleIJPjSE_EEENSF_IJSE_SE_EEES9_SG_JZNS1_25segmented_radix_sort_implINS0_14default_configELb0EPKaPaPKlPlN2at6native12_GLOBAL__N_18offset_tEEE10hipError_tPvRmT1_PNSt15iterator_traitsISY_E10value_typeET2_T3_PNSZ_IS14_E10value_typeET4_jRbjT5_S1A_jjP12ihipStream_tbEUljE_EEESV_SW_SX_S14_S18_S1A_T6_T7_T9_mT8_S1C_bDpT10_ENKUlT_T0_E_clISt17integral_constantIbLb0EES1O_IbLb1EEEEDaS1K_S1L_EUlS1K_E_NS1_11comp_targetILNS1_3genE3ELNS1_11target_archE908ELNS1_3gpuE7ELNS1_3repE0EEENS1_30default_config_static_selectorELNS0_4arch9wavefront6targetE0EEEvSY_
	.p2align	8
	.type	_ZN7rocprim17ROCPRIM_400000_NS6detail17trampoline_kernelINS0_13select_configILj256ELj13ELNS0_17block_load_methodE3ELS4_3ELS4_3ELNS0_20block_scan_algorithmE0ELj4294967295EEENS1_25partition_config_selectorILNS1_17partition_subalgoE3EjNS0_10empty_typeEbEEZZNS1_14partition_implILS8_3ELb0ES6_jNS0_17counting_iteratorIjlEEPS9_SE_NS0_5tupleIJPjSE_EEENSF_IJSE_SE_EEES9_SG_JZNS1_25segmented_radix_sort_implINS0_14default_configELb0EPKaPaPKlPlN2at6native12_GLOBAL__N_18offset_tEEE10hipError_tPvRmT1_PNSt15iterator_traitsISY_E10value_typeET2_T3_PNSZ_IS14_E10value_typeET4_jRbjT5_S1A_jjP12ihipStream_tbEUljE_EEESV_SW_SX_S14_S18_S1A_T6_T7_T9_mT8_S1C_bDpT10_ENKUlT_T0_E_clISt17integral_constantIbLb0EES1O_IbLb1EEEEDaS1K_S1L_EUlS1K_E_NS1_11comp_targetILNS1_3genE3ELNS1_11target_archE908ELNS1_3gpuE7ELNS1_3repE0EEENS1_30default_config_static_selectorELNS0_4arch9wavefront6targetE0EEEvSY_,@function
_ZN7rocprim17ROCPRIM_400000_NS6detail17trampoline_kernelINS0_13select_configILj256ELj13ELNS0_17block_load_methodE3ELS4_3ELS4_3ELNS0_20block_scan_algorithmE0ELj4294967295EEENS1_25partition_config_selectorILNS1_17partition_subalgoE3EjNS0_10empty_typeEbEEZZNS1_14partition_implILS8_3ELb0ES6_jNS0_17counting_iteratorIjlEEPS9_SE_NS0_5tupleIJPjSE_EEENSF_IJSE_SE_EEES9_SG_JZNS1_25segmented_radix_sort_implINS0_14default_configELb0EPKaPaPKlPlN2at6native12_GLOBAL__N_18offset_tEEE10hipError_tPvRmT1_PNSt15iterator_traitsISY_E10value_typeET2_T3_PNSZ_IS14_E10value_typeET4_jRbjT5_S1A_jjP12ihipStream_tbEUljE_EEESV_SW_SX_S14_S18_S1A_T6_T7_T9_mT8_S1C_bDpT10_ENKUlT_T0_E_clISt17integral_constantIbLb0EES1O_IbLb1EEEEDaS1K_S1L_EUlS1K_E_NS1_11comp_targetILNS1_3genE3ELNS1_11target_archE908ELNS1_3gpuE7ELNS1_3repE0EEENS1_30default_config_static_selectorELNS0_4arch9wavefront6targetE0EEEvSY_: ; @_ZN7rocprim17ROCPRIM_400000_NS6detail17trampoline_kernelINS0_13select_configILj256ELj13ELNS0_17block_load_methodE3ELS4_3ELS4_3ELNS0_20block_scan_algorithmE0ELj4294967295EEENS1_25partition_config_selectorILNS1_17partition_subalgoE3EjNS0_10empty_typeEbEEZZNS1_14partition_implILS8_3ELb0ES6_jNS0_17counting_iteratorIjlEEPS9_SE_NS0_5tupleIJPjSE_EEENSF_IJSE_SE_EEES9_SG_JZNS1_25segmented_radix_sort_implINS0_14default_configELb0EPKaPaPKlPlN2at6native12_GLOBAL__N_18offset_tEEE10hipError_tPvRmT1_PNSt15iterator_traitsISY_E10value_typeET2_T3_PNSZ_IS14_E10value_typeET4_jRbjT5_S1A_jjP12ihipStream_tbEUljE_EEESV_SW_SX_S14_S18_S1A_T6_T7_T9_mT8_S1C_bDpT10_ENKUlT_T0_E_clISt17integral_constantIbLb0EES1O_IbLb1EEEEDaS1K_S1L_EUlS1K_E_NS1_11comp_targetILNS1_3genE3ELNS1_11target_archE908ELNS1_3gpuE7ELNS1_3repE0EEENS1_30default_config_static_selectorELNS0_4arch9wavefront6targetE0EEEvSY_
; %bb.0:
	.section	.rodata,"a",@progbits
	.p2align	6, 0x0
	.amdhsa_kernel _ZN7rocprim17ROCPRIM_400000_NS6detail17trampoline_kernelINS0_13select_configILj256ELj13ELNS0_17block_load_methodE3ELS4_3ELS4_3ELNS0_20block_scan_algorithmE0ELj4294967295EEENS1_25partition_config_selectorILNS1_17partition_subalgoE3EjNS0_10empty_typeEbEEZZNS1_14partition_implILS8_3ELb0ES6_jNS0_17counting_iteratorIjlEEPS9_SE_NS0_5tupleIJPjSE_EEENSF_IJSE_SE_EEES9_SG_JZNS1_25segmented_radix_sort_implINS0_14default_configELb0EPKaPaPKlPlN2at6native12_GLOBAL__N_18offset_tEEE10hipError_tPvRmT1_PNSt15iterator_traitsISY_E10value_typeET2_T3_PNSZ_IS14_E10value_typeET4_jRbjT5_S1A_jjP12ihipStream_tbEUljE_EEESV_SW_SX_S14_S18_S1A_T6_T7_T9_mT8_S1C_bDpT10_ENKUlT_T0_E_clISt17integral_constantIbLb0EES1O_IbLb1EEEEDaS1K_S1L_EUlS1K_E_NS1_11comp_targetILNS1_3genE3ELNS1_11target_archE908ELNS1_3gpuE7ELNS1_3repE0EEENS1_30default_config_static_selectorELNS0_4arch9wavefront6targetE0EEEvSY_
		.amdhsa_group_segment_fixed_size 0
		.amdhsa_private_segment_fixed_size 0
		.amdhsa_kernarg_size 152
		.amdhsa_user_sgpr_count 6
		.amdhsa_user_sgpr_private_segment_buffer 1
		.amdhsa_user_sgpr_dispatch_ptr 0
		.amdhsa_user_sgpr_queue_ptr 0
		.amdhsa_user_sgpr_kernarg_segment_ptr 1
		.amdhsa_user_sgpr_dispatch_id 0
		.amdhsa_user_sgpr_flat_scratch_init 0
		.amdhsa_user_sgpr_private_segment_size 0
		.amdhsa_wavefront_size32 1
		.amdhsa_uses_dynamic_stack 0
		.amdhsa_system_sgpr_private_segment_wavefront_offset 0
		.amdhsa_system_sgpr_workgroup_id_x 1
		.amdhsa_system_sgpr_workgroup_id_y 0
		.amdhsa_system_sgpr_workgroup_id_z 0
		.amdhsa_system_sgpr_workgroup_info 0
		.amdhsa_system_vgpr_workitem_id 0
		.amdhsa_next_free_vgpr 1
		.amdhsa_next_free_sgpr 1
		.amdhsa_reserve_vcc 0
		.amdhsa_reserve_flat_scratch 0
		.amdhsa_float_round_mode_32 0
		.amdhsa_float_round_mode_16_64 0
		.amdhsa_float_denorm_mode_32 3
		.amdhsa_float_denorm_mode_16_64 3
		.amdhsa_dx10_clamp 1
		.amdhsa_ieee_mode 1
		.amdhsa_fp16_overflow 0
		.amdhsa_workgroup_processor_mode 1
		.amdhsa_memory_ordered 1
		.amdhsa_forward_progress 1
		.amdhsa_shared_vgpr_count 0
		.amdhsa_exception_fp_ieee_invalid_op 0
		.amdhsa_exception_fp_denorm_src 0
		.amdhsa_exception_fp_ieee_div_zero 0
		.amdhsa_exception_fp_ieee_overflow 0
		.amdhsa_exception_fp_ieee_underflow 0
		.amdhsa_exception_fp_ieee_inexact 0
		.amdhsa_exception_int_div_zero 0
	.end_amdhsa_kernel
	.section	.text._ZN7rocprim17ROCPRIM_400000_NS6detail17trampoline_kernelINS0_13select_configILj256ELj13ELNS0_17block_load_methodE3ELS4_3ELS4_3ELNS0_20block_scan_algorithmE0ELj4294967295EEENS1_25partition_config_selectorILNS1_17partition_subalgoE3EjNS0_10empty_typeEbEEZZNS1_14partition_implILS8_3ELb0ES6_jNS0_17counting_iteratorIjlEEPS9_SE_NS0_5tupleIJPjSE_EEENSF_IJSE_SE_EEES9_SG_JZNS1_25segmented_radix_sort_implINS0_14default_configELb0EPKaPaPKlPlN2at6native12_GLOBAL__N_18offset_tEEE10hipError_tPvRmT1_PNSt15iterator_traitsISY_E10value_typeET2_T3_PNSZ_IS14_E10value_typeET4_jRbjT5_S1A_jjP12ihipStream_tbEUljE_EEESV_SW_SX_S14_S18_S1A_T6_T7_T9_mT8_S1C_bDpT10_ENKUlT_T0_E_clISt17integral_constantIbLb0EES1O_IbLb1EEEEDaS1K_S1L_EUlS1K_E_NS1_11comp_targetILNS1_3genE3ELNS1_11target_archE908ELNS1_3gpuE7ELNS1_3repE0EEENS1_30default_config_static_selectorELNS0_4arch9wavefront6targetE0EEEvSY_,"axG",@progbits,_ZN7rocprim17ROCPRIM_400000_NS6detail17trampoline_kernelINS0_13select_configILj256ELj13ELNS0_17block_load_methodE3ELS4_3ELS4_3ELNS0_20block_scan_algorithmE0ELj4294967295EEENS1_25partition_config_selectorILNS1_17partition_subalgoE3EjNS0_10empty_typeEbEEZZNS1_14partition_implILS8_3ELb0ES6_jNS0_17counting_iteratorIjlEEPS9_SE_NS0_5tupleIJPjSE_EEENSF_IJSE_SE_EEES9_SG_JZNS1_25segmented_radix_sort_implINS0_14default_configELb0EPKaPaPKlPlN2at6native12_GLOBAL__N_18offset_tEEE10hipError_tPvRmT1_PNSt15iterator_traitsISY_E10value_typeET2_T3_PNSZ_IS14_E10value_typeET4_jRbjT5_S1A_jjP12ihipStream_tbEUljE_EEESV_SW_SX_S14_S18_S1A_T6_T7_T9_mT8_S1C_bDpT10_ENKUlT_T0_E_clISt17integral_constantIbLb0EES1O_IbLb1EEEEDaS1K_S1L_EUlS1K_E_NS1_11comp_targetILNS1_3genE3ELNS1_11target_archE908ELNS1_3gpuE7ELNS1_3repE0EEENS1_30default_config_static_selectorELNS0_4arch9wavefront6targetE0EEEvSY_,comdat
.Lfunc_end385:
	.size	_ZN7rocprim17ROCPRIM_400000_NS6detail17trampoline_kernelINS0_13select_configILj256ELj13ELNS0_17block_load_methodE3ELS4_3ELS4_3ELNS0_20block_scan_algorithmE0ELj4294967295EEENS1_25partition_config_selectorILNS1_17partition_subalgoE3EjNS0_10empty_typeEbEEZZNS1_14partition_implILS8_3ELb0ES6_jNS0_17counting_iteratorIjlEEPS9_SE_NS0_5tupleIJPjSE_EEENSF_IJSE_SE_EEES9_SG_JZNS1_25segmented_radix_sort_implINS0_14default_configELb0EPKaPaPKlPlN2at6native12_GLOBAL__N_18offset_tEEE10hipError_tPvRmT1_PNSt15iterator_traitsISY_E10value_typeET2_T3_PNSZ_IS14_E10value_typeET4_jRbjT5_S1A_jjP12ihipStream_tbEUljE_EEESV_SW_SX_S14_S18_S1A_T6_T7_T9_mT8_S1C_bDpT10_ENKUlT_T0_E_clISt17integral_constantIbLb0EES1O_IbLb1EEEEDaS1K_S1L_EUlS1K_E_NS1_11comp_targetILNS1_3genE3ELNS1_11target_archE908ELNS1_3gpuE7ELNS1_3repE0EEENS1_30default_config_static_selectorELNS0_4arch9wavefront6targetE0EEEvSY_, .Lfunc_end385-_ZN7rocprim17ROCPRIM_400000_NS6detail17trampoline_kernelINS0_13select_configILj256ELj13ELNS0_17block_load_methodE3ELS4_3ELS4_3ELNS0_20block_scan_algorithmE0ELj4294967295EEENS1_25partition_config_selectorILNS1_17partition_subalgoE3EjNS0_10empty_typeEbEEZZNS1_14partition_implILS8_3ELb0ES6_jNS0_17counting_iteratorIjlEEPS9_SE_NS0_5tupleIJPjSE_EEENSF_IJSE_SE_EEES9_SG_JZNS1_25segmented_radix_sort_implINS0_14default_configELb0EPKaPaPKlPlN2at6native12_GLOBAL__N_18offset_tEEE10hipError_tPvRmT1_PNSt15iterator_traitsISY_E10value_typeET2_T3_PNSZ_IS14_E10value_typeET4_jRbjT5_S1A_jjP12ihipStream_tbEUljE_EEESV_SW_SX_S14_S18_S1A_T6_T7_T9_mT8_S1C_bDpT10_ENKUlT_T0_E_clISt17integral_constantIbLb0EES1O_IbLb1EEEEDaS1K_S1L_EUlS1K_E_NS1_11comp_targetILNS1_3genE3ELNS1_11target_archE908ELNS1_3gpuE7ELNS1_3repE0EEENS1_30default_config_static_selectorELNS0_4arch9wavefront6targetE0EEEvSY_
                                        ; -- End function
	.set _ZN7rocprim17ROCPRIM_400000_NS6detail17trampoline_kernelINS0_13select_configILj256ELj13ELNS0_17block_load_methodE3ELS4_3ELS4_3ELNS0_20block_scan_algorithmE0ELj4294967295EEENS1_25partition_config_selectorILNS1_17partition_subalgoE3EjNS0_10empty_typeEbEEZZNS1_14partition_implILS8_3ELb0ES6_jNS0_17counting_iteratorIjlEEPS9_SE_NS0_5tupleIJPjSE_EEENSF_IJSE_SE_EEES9_SG_JZNS1_25segmented_radix_sort_implINS0_14default_configELb0EPKaPaPKlPlN2at6native12_GLOBAL__N_18offset_tEEE10hipError_tPvRmT1_PNSt15iterator_traitsISY_E10value_typeET2_T3_PNSZ_IS14_E10value_typeET4_jRbjT5_S1A_jjP12ihipStream_tbEUljE_EEESV_SW_SX_S14_S18_S1A_T6_T7_T9_mT8_S1C_bDpT10_ENKUlT_T0_E_clISt17integral_constantIbLb0EES1O_IbLb1EEEEDaS1K_S1L_EUlS1K_E_NS1_11comp_targetILNS1_3genE3ELNS1_11target_archE908ELNS1_3gpuE7ELNS1_3repE0EEENS1_30default_config_static_selectorELNS0_4arch9wavefront6targetE0EEEvSY_.num_vgpr, 0
	.set _ZN7rocprim17ROCPRIM_400000_NS6detail17trampoline_kernelINS0_13select_configILj256ELj13ELNS0_17block_load_methodE3ELS4_3ELS4_3ELNS0_20block_scan_algorithmE0ELj4294967295EEENS1_25partition_config_selectorILNS1_17partition_subalgoE3EjNS0_10empty_typeEbEEZZNS1_14partition_implILS8_3ELb0ES6_jNS0_17counting_iteratorIjlEEPS9_SE_NS0_5tupleIJPjSE_EEENSF_IJSE_SE_EEES9_SG_JZNS1_25segmented_radix_sort_implINS0_14default_configELb0EPKaPaPKlPlN2at6native12_GLOBAL__N_18offset_tEEE10hipError_tPvRmT1_PNSt15iterator_traitsISY_E10value_typeET2_T3_PNSZ_IS14_E10value_typeET4_jRbjT5_S1A_jjP12ihipStream_tbEUljE_EEESV_SW_SX_S14_S18_S1A_T6_T7_T9_mT8_S1C_bDpT10_ENKUlT_T0_E_clISt17integral_constantIbLb0EES1O_IbLb1EEEEDaS1K_S1L_EUlS1K_E_NS1_11comp_targetILNS1_3genE3ELNS1_11target_archE908ELNS1_3gpuE7ELNS1_3repE0EEENS1_30default_config_static_selectorELNS0_4arch9wavefront6targetE0EEEvSY_.num_agpr, 0
	.set _ZN7rocprim17ROCPRIM_400000_NS6detail17trampoline_kernelINS0_13select_configILj256ELj13ELNS0_17block_load_methodE3ELS4_3ELS4_3ELNS0_20block_scan_algorithmE0ELj4294967295EEENS1_25partition_config_selectorILNS1_17partition_subalgoE3EjNS0_10empty_typeEbEEZZNS1_14partition_implILS8_3ELb0ES6_jNS0_17counting_iteratorIjlEEPS9_SE_NS0_5tupleIJPjSE_EEENSF_IJSE_SE_EEES9_SG_JZNS1_25segmented_radix_sort_implINS0_14default_configELb0EPKaPaPKlPlN2at6native12_GLOBAL__N_18offset_tEEE10hipError_tPvRmT1_PNSt15iterator_traitsISY_E10value_typeET2_T3_PNSZ_IS14_E10value_typeET4_jRbjT5_S1A_jjP12ihipStream_tbEUljE_EEESV_SW_SX_S14_S18_S1A_T6_T7_T9_mT8_S1C_bDpT10_ENKUlT_T0_E_clISt17integral_constantIbLb0EES1O_IbLb1EEEEDaS1K_S1L_EUlS1K_E_NS1_11comp_targetILNS1_3genE3ELNS1_11target_archE908ELNS1_3gpuE7ELNS1_3repE0EEENS1_30default_config_static_selectorELNS0_4arch9wavefront6targetE0EEEvSY_.numbered_sgpr, 0
	.set _ZN7rocprim17ROCPRIM_400000_NS6detail17trampoline_kernelINS0_13select_configILj256ELj13ELNS0_17block_load_methodE3ELS4_3ELS4_3ELNS0_20block_scan_algorithmE0ELj4294967295EEENS1_25partition_config_selectorILNS1_17partition_subalgoE3EjNS0_10empty_typeEbEEZZNS1_14partition_implILS8_3ELb0ES6_jNS0_17counting_iteratorIjlEEPS9_SE_NS0_5tupleIJPjSE_EEENSF_IJSE_SE_EEES9_SG_JZNS1_25segmented_radix_sort_implINS0_14default_configELb0EPKaPaPKlPlN2at6native12_GLOBAL__N_18offset_tEEE10hipError_tPvRmT1_PNSt15iterator_traitsISY_E10value_typeET2_T3_PNSZ_IS14_E10value_typeET4_jRbjT5_S1A_jjP12ihipStream_tbEUljE_EEESV_SW_SX_S14_S18_S1A_T6_T7_T9_mT8_S1C_bDpT10_ENKUlT_T0_E_clISt17integral_constantIbLb0EES1O_IbLb1EEEEDaS1K_S1L_EUlS1K_E_NS1_11comp_targetILNS1_3genE3ELNS1_11target_archE908ELNS1_3gpuE7ELNS1_3repE0EEENS1_30default_config_static_selectorELNS0_4arch9wavefront6targetE0EEEvSY_.num_named_barrier, 0
	.set _ZN7rocprim17ROCPRIM_400000_NS6detail17trampoline_kernelINS0_13select_configILj256ELj13ELNS0_17block_load_methodE3ELS4_3ELS4_3ELNS0_20block_scan_algorithmE0ELj4294967295EEENS1_25partition_config_selectorILNS1_17partition_subalgoE3EjNS0_10empty_typeEbEEZZNS1_14partition_implILS8_3ELb0ES6_jNS0_17counting_iteratorIjlEEPS9_SE_NS0_5tupleIJPjSE_EEENSF_IJSE_SE_EEES9_SG_JZNS1_25segmented_radix_sort_implINS0_14default_configELb0EPKaPaPKlPlN2at6native12_GLOBAL__N_18offset_tEEE10hipError_tPvRmT1_PNSt15iterator_traitsISY_E10value_typeET2_T3_PNSZ_IS14_E10value_typeET4_jRbjT5_S1A_jjP12ihipStream_tbEUljE_EEESV_SW_SX_S14_S18_S1A_T6_T7_T9_mT8_S1C_bDpT10_ENKUlT_T0_E_clISt17integral_constantIbLb0EES1O_IbLb1EEEEDaS1K_S1L_EUlS1K_E_NS1_11comp_targetILNS1_3genE3ELNS1_11target_archE908ELNS1_3gpuE7ELNS1_3repE0EEENS1_30default_config_static_selectorELNS0_4arch9wavefront6targetE0EEEvSY_.private_seg_size, 0
	.set _ZN7rocprim17ROCPRIM_400000_NS6detail17trampoline_kernelINS0_13select_configILj256ELj13ELNS0_17block_load_methodE3ELS4_3ELS4_3ELNS0_20block_scan_algorithmE0ELj4294967295EEENS1_25partition_config_selectorILNS1_17partition_subalgoE3EjNS0_10empty_typeEbEEZZNS1_14partition_implILS8_3ELb0ES6_jNS0_17counting_iteratorIjlEEPS9_SE_NS0_5tupleIJPjSE_EEENSF_IJSE_SE_EEES9_SG_JZNS1_25segmented_radix_sort_implINS0_14default_configELb0EPKaPaPKlPlN2at6native12_GLOBAL__N_18offset_tEEE10hipError_tPvRmT1_PNSt15iterator_traitsISY_E10value_typeET2_T3_PNSZ_IS14_E10value_typeET4_jRbjT5_S1A_jjP12ihipStream_tbEUljE_EEESV_SW_SX_S14_S18_S1A_T6_T7_T9_mT8_S1C_bDpT10_ENKUlT_T0_E_clISt17integral_constantIbLb0EES1O_IbLb1EEEEDaS1K_S1L_EUlS1K_E_NS1_11comp_targetILNS1_3genE3ELNS1_11target_archE908ELNS1_3gpuE7ELNS1_3repE0EEENS1_30default_config_static_selectorELNS0_4arch9wavefront6targetE0EEEvSY_.uses_vcc, 0
	.set _ZN7rocprim17ROCPRIM_400000_NS6detail17trampoline_kernelINS0_13select_configILj256ELj13ELNS0_17block_load_methodE3ELS4_3ELS4_3ELNS0_20block_scan_algorithmE0ELj4294967295EEENS1_25partition_config_selectorILNS1_17partition_subalgoE3EjNS0_10empty_typeEbEEZZNS1_14partition_implILS8_3ELb0ES6_jNS0_17counting_iteratorIjlEEPS9_SE_NS0_5tupleIJPjSE_EEENSF_IJSE_SE_EEES9_SG_JZNS1_25segmented_radix_sort_implINS0_14default_configELb0EPKaPaPKlPlN2at6native12_GLOBAL__N_18offset_tEEE10hipError_tPvRmT1_PNSt15iterator_traitsISY_E10value_typeET2_T3_PNSZ_IS14_E10value_typeET4_jRbjT5_S1A_jjP12ihipStream_tbEUljE_EEESV_SW_SX_S14_S18_S1A_T6_T7_T9_mT8_S1C_bDpT10_ENKUlT_T0_E_clISt17integral_constantIbLb0EES1O_IbLb1EEEEDaS1K_S1L_EUlS1K_E_NS1_11comp_targetILNS1_3genE3ELNS1_11target_archE908ELNS1_3gpuE7ELNS1_3repE0EEENS1_30default_config_static_selectorELNS0_4arch9wavefront6targetE0EEEvSY_.uses_flat_scratch, 0
	.set _ZN7rocprim17ROCPRIM_400000_NS6detail17trampoline_kernelINS0_13select_configILj256ELj13ELNS0_17block_load_methodE3ELS4_3ELS4_3ELNS0_20block_scan_algorithmE0ELj4294967295EEENS1_25partition_config_selectorILNS1_17partition_subalgoE3EjNS0_10empty_typeEbEEZZNS1_14partition_implILS8_3ELb0ES6_jNS0_17counting_iteratorIjlEEPS9_SE_NS0_5tupleIJPjSE_EEENSF_IJSE_SE_EEES9_SG_JZNS1_25segmented_radix_sort_implINS0_14default_configELb0EPKaPaPKlPlN2at6native12_GLOBAL__N_18offset_tEEE10hipError_tPvRmT1_PNSt15iterator_traitsISY_E10value_typeET2_T3_PNSZ_IS14_E10value_typeET4_jRbjT5_S1A_jjP12ihipStream_tbEUljE_EEESV_SW_SX_S14_S18_S1A_T6_T7_T9_mT8_S1C_bDpT10_ENKUlT_T0_E_clISt17integral_constantIbLb0EES1O_IbLb1EEEEDaS1K_S1L_EUlS1K_E_NS1_11comp_targetILNS1_3genE3ELNS1_11target_archE908ELNS1_3gpuE7ELNS1_3repE0EEENS1_30default_config_static_selectorELNS0_4arch9wavefront6targetE0EEEvSY_.has_dyn_sized_stack, 0
	.set _ZN7rocprim17ROCPRIM_400000_NS6detail17trampoline_kernelINS0_13select_configILj256ELj13ELNS0_17block_load_methodE3ELS4_3ELS4_3ELNS0_20block_scan_algorithmE0ELj4294967295EEENS1_25partition_config_selectorILNS1_17partition_subalgoE3EjNS0_10empty_typeEbEEZZNS1_14partition_implILS8_3ELb0ES6_jNS0_17counting_iteratorIjlEEPS9_SE_NS0_5tupleIJPjSE_EEENSF_IJSE_SE_EEES9_SG_JZNS1_25segmented_radix_sort_implINS0_14default_configELb0EPKaPaPKlPlN2at6native12_GLOBAL__N_18offset_tEEE10hipError_tPvRmT1_PNSt15iterator_traitsISY_E10value_typeET2_T3_PNSZ_IS14_E10value_typeET4_jRbjT5_S1A_jjP12ihipStream_tbEUljE_EEESV_SW_SX_S14_S18_S1A_T6_T7_T9_mT8_S1C_bDpT10_ENKUlT_T0_E_clISt17integral_constantIbLb0EES1O_IbLb1EEEEDaS1K_S1L_EUlS1K_E_NS1_11comp_targetILNS1_3genE3ELNS1_11target_archE908ELNS1_3gpuE7ELNS1_3repE0EEENS1_30default_config_static_selectorELNS0_4arch9wavefront6targetE0EEEvSY_.has_recursion, 0
	.set _ZN7rocprim17ROCPRIM_400000_NS6detail17trampoline_kernelINS0_13select_configILj256ELj13ELNS0_17block_load_methodE3ELS4_3ELS4_3ELNS0_20block_scan_algorithmE0ELj4294967295EEENS1_25partition_config_selectorILNS1_17partition_subalgoE3EjNS0_10empty_typeEbEEZZNS1_14partition_implILS8_3ELb0ES6_jNS0_17counting_iteratorIjlEEPS9_SE_NS0_5tupleIJPjSE_EEENSF_IJSE_SE_EEES9_SG_JZNS1_25segmented_radix_sort_implINS0_14default_configELb0EPKaPaPKlPlN2at6native12_GLOBAL__N_18offset_tEEE10hipError_tPvRmT1_PNSt15iterator_traitsISY_E10value_typeET2_T3_PNSZ_IS14_E10value_typeET4_jRbjT5_S1A_jjP12ihipStream_tbEUljE_EEESV_SW_SX_S14_S18_S1A_T6_T7_T9_mT8_S1C_bDpT10_ENKUlT_T0_E_clISt17integral_constantIbLb0EES1O_IbLb1EEEEDaS1K_S1L_EUlS1K_E_NS1_11comp_targetILNS1_3genE3ELNS1_11target_archE908ELNS1_3gpuE7ELNS1_3repE0EEENS1_30default_config_static_selectorELNS0_4arch9wavefront6targetE0EEEvSY_.has_indirect_call, 0
	.section	.AMDGPU.csdata,"",@progbits
; Kernel info:
; codeLenInByte = 0
; TotalNumSgprs: 0
; NumVgprs: 0
; ScratchSize: 0
; MemoryBound: 0
; FloatMode: 240
; IeeeMode: 1
; LDSByteSize: 0 bytes/workgroup (compile time only)
; SGPRBlocks: 0
; VGPRBlocks: 0
; NumSGPRsForWavesPerEU: 1
; NumVGPRsForWavesPerEU: 1
; Occupancy: 16
; WaveLimiterHint : 0
; COMPUTE_PGM_RSRC2:SCRATCH_EN: 0
; COMPUTE_PGM_RSRC2:USER_SGPR: 6
; COMPUTE_PGM_RSRC2:TRAP_HANDLER: 0
; COMPUTE_PGM_RSRC2:TGID_X_EN: 1
; COMPUTE_PGM_RSRC2:TGID_Y_EN: 0
; COMPUTE_PGM_RSRC2:TGID_Z_EN: 0
; COMPUTE_PGM_RSRC2:TIDIG_COMP_CNT: 0
	.section	.text._ZN7rocprim17ROCPRIM_400000_NS6detail17trampoline_kernelINS0_13select_configILj256ELj13ELNS0_17block_load_methodE3ELS4_3ELS4_3ELNS0_20block_scan_algorithmE0ELj4294967295EEENS1_25partition_config_selectorILNS1_17partition_subalgoE3EjNS0_10empty_typeEbEEZZNS1_14partition_implILS8_3ELb0ES6_jNS0_17counting_iteratorIjlEEPS9_SE_NS0_5tupleIJPjSE_EEENSF_IJSE_SE_EEES9_SG_JZNS1_25segmented_radix_sort_implINS0_14default_configELb0EPKaPaPKlPlN2at6native12_GLOBAL__N_18offset_tEEE10hipError_tPvRmT1_PNSt15iterator_traitsISY_E10value_typeET2_T3_PNSZ_IS14_E10value_typeET4_jRbjT5_S1A_jjP12ihipStream_tbEUljE_EEESV_SW_SX_S14_S18_S1A_T6_T7_T9_mT8_S1C_bDpT10_ENKUlT_T0_E_clISt17integral_constantIbLb0EES1O_IbLb1EEEEDaS1K_S1L_EUlS1K_E_NS1_11comp_targetILNS1_3genE2ELNS1_11target_archE906ELNS1_3gpuE6ELNS1_3repE0EEENS1_30default_config_static_selectorELNS0_4arch9wavefront6targetE0EEEvSY_,"axG",@progbits,_ZN7rocprim17ROCPRIM_400000_NS6detail17trampoline_kernelINS0_13select_configILj256ELj13ELNS0_17block_load_methodE3ELS4_3ELS4_3ELNS0_20block_scan_algorithmE0ELj4294967295EEENS1_25partition_config_selectorILNS1_17partition_subalgoE3EjNS0_10empty_typeEbEEZZNS1_14partition_implILS8_3ELb0ES6_jNS0_17counting_iteratorIjlEEPS9_SE_NS0_5tupleIJPjSE_EEENSF_IJSE_SE_EEES9_SG_JZNS1_25segmented_radix_sort_implINS0_14default_configELb0EPKaPaPKlPlN2at6native12_GLOBAL__N_18offset_tEEE10hipError_tPvRmT1_PNSt15iterator_traitsISY_E10value_typeET2_T3_PNSZ_IS14_E10value_typeET4_jRbjT5_S1A_jjP12ihipStream_tbEUljE_EEESV_SW_SX_S14_S18_S1A_T6_T7_T9_mT8_S1C_bDpT10_ENKUlT_T0_E_clISt17integral_constantIbLb0EES1O_IbLb1EEEEDaS1K_S1L_EUlS1K_E_NS1_11comp_targetILNS1_3genE2ELNS1_11target_archE906ELNS1_3gpuE6ELNS1_3repE0EEENS1_30default_config_static_selectorELNS0_4arch9wavefront6targetE0EEEvSY_,comdat
	.globl	_ZN7rocprim17ROCPRIM_400000_NS6detail17trampoline_kernelINS0_13select_configILj256ELj13ELNS0_17block_load_methodE3ELS4_3ELS4_3ELNS0_20block_scan_algorithmE0ELj4294967295EEENS1_25partition_config_selectorILNS1_17partition_subalgoE3EjNS0_10empty_typeEbEEZZNS1_14partition_implILS8_3ELb0ES6_jNS0_17counting_iteratorIjlEEPS9_SE_NS0_5tupleIJPjSE_EEENSF_IJSE_SE_EEES9_SG_JZNS1_25segmented_radix_sort_implINS0_14default_configELb0EPKaPaPKlPlN2at6native12_GLOBAL__N_18offset_tEEE10hipError_tPvRmT1_PNSt15iterator_traitsISY_E10value_typeET2_T3_PNSZ_IS14_E10value_typeET4_jRbjT5_S1A_jjP12ihipStream_tbEUljE_EEESV_SW_SX_S14_S18_S1A_T6_T7_T9_mT8_S1C_bDpT10_ENKUlT_T0_E_clISt17integral_constantIbLb0EES1O_IbLb1EEEEDaS1K_S1L_EUlS1K_E_NS1_11comp_targetILNS1_3genE2ELNS1_11target_archE906ELNS1_3gpuE6ELNS1_3repE0EEENS1_30default_config_static_selectorELNS0_4arch9wavefront6targetE0EEEvSY_ ; -- Begin function _ZN7rocprim17ROCPRIM_400000_NS6detail17trampoline_kernelINS0_13select_configILj256ELj13ELNS0_17block_load_methodE3ELS4_3ELS4_3ELNS0_20block_scan_algorithmE0ELj4294967295EEENS1_25partition_config_selectorILNS1_17partition_subalgoE3EjNS0_10empty_typeEbEEZZNS1_14partition_implILS8_3ELb0ES6_jNS0_17counting_iteratorIjlEEPS9_SE_NS0_5tupleIJPjSE_EEENSF_IJSE_SE_EEES9_SG_JZNS1_25segmented_radix_sort_implINS0_14default_configELb0EPKaPaPKlPlN2at6native12_GLOBAL__N_18offset_tEEE10hipError_tPvRmT1_PNSt15iterator_traitsISY_E10value_typeET2_T3_PNSZ_IS14_E10value_typeET4_jRbjT5_S1A_jjP12ihipStream_tbEUljE_EEESV_SW_SX_S14_S18_S1A_T6_T7_T9_mT8_S1C_bDpT10_ENKUlT_T0_E_clISt17integral_constantIbLb0EES1O_IbLb1EEEEDaS1K_S1L_EUlS1K_E_NS1_11comp_targetILNS1_3genE2ELNS1_11target_archE906ELNS1_3gpuE6ELNS1_3repE0EEENS1_30default_config_static_selectorELNS0_4arch9wavefront6targetE0EEEvSY_
	.p2align	8
	.type	_ZN7rocprim17ROCPRIM_400000_NS6detail17trampoline_kernelINS0_13select_configILj256ELj13ELNS0_17block_load_methodE3ELS4_3ELS4_3ELNS0_20block_scan_algorithmE0ELj4294967295EEENS1_25partition_config_selectorILNS1_17partition_subalgoE3EjNS0_10empty_typeEbEEZZNS1_14partition_implILS8_3ELb0ES6_jNS0_17counting_iteratorIjlEEPS9_SE_NS0_5tupleIJPjSE_EEENSF_IJSE_SE_EEES9_SG_JZNS1_25segmented_radix_sort_implINS0_14default_configELb0EPKaPaPKlPlN2at6native12_GLOBAL__N_18offset_tEEE10hipError_tPvRmT1_PNSt15iterator_traitsISY_E10value_typeET2_T3_PNSZ_IS14_E10value_typeET4_jRbjT5_S1A_jjP12ihipStream_tbEUljE_EEESV_SW_SX_S14_S18_S1A_T6_T7_T9_mT8_S1C_bDpT10_ENKUlT_T0_E_clISt17integral_constantIbLb0EES1O_IbLb1EEEEDaS1K_S1L_EUlS1K_E_NS1_11comp_targetILNS1_3genE2ELNS1_11target_archE906ELNS1_3gpuE6ELNS1_3repE0EEENS1_30default_config_static_selectorELNS0_4arch9wavefront6targetE0EEEvSY_,@function
_ZN7rocprim17ROCPRIM_400000_NS6detail17trampoline_kernelINS0_13select_configILj256ELj13ELNS0_17block_load_methodE3ELS4_3ELS4_3ELNS0_20block_scan_algorithmE0ELj4294967295EEENS1_25partition_config_selectorILNS1_17partition_subalgoE3EjNS0_10empty_typeEbEEZZNS1_14partition_implILS8_3ELb0ES6_jNS0_17counting_iteratorIjlEEPS9_SE_NS0_5tupleIJPjSE_EEENSF_IJSE_SE_EEES9_SG_JZNS1_25segmented_radix_sort_implINS0_14default_configELb0EPKaPaPKlPlN2at6native12_GLOBAL__N_18offset_tEEE10hipError_tPvRmT1_PNSt15iterator_traitsISY_E10value_typeET2_T3_PNSZ_IS14_E10value_typeET4_jRbjT5_S1A_jjP12ihipStream_tbEUljE_EEESV_SW_SX_S14_S18_S1A_T6_T7_T9_mT8_S1C_bDpT10_ENKUlT_T0_E_clISt17integral_constantIbLb0EES1O_IbLb1EEEEDaS1K_S1L_EUlS1K_E_NS1_11comp_targetILNS1_3genE2ELNS1_11target_archE906ELNS1_3gpuE6ELNS1_3repE0EEENS1_30default_config_static_selectorELNS0_4arch9wavefront6targetE0EEEvSY_: ; @_ZN7rocprim17ROCPRIM_400000_NS6detail17trampoline_kernelINS0_13select_configILj256ELj13ELNS0_17block_load_methodE3ELS4_3ELS4_3ELNS0_20block_scan_algorithmE0ELj4294967295EEENS1_25partition_config_selectorILNS1_17partition_subalgoE3EjNS0_10empty_typeEbEEZZNS1_14partition_implILS8_3ELb0ES6_jNS0_17counting_iteratorIjlEEPS9_SE_NS0_5tupleIJPjSE_EEENSF_IJSE_SE_EEES9_SG_JZNS1_25segmented_radix_sort_implINS0_14default_configELb0EPKaPaPKlPlN2at6native12_GLOBAL__N_18offset_tEEE10hipError_tPvRmT1_PNSt15iterator_traitsISY_E10value_typeET2_T3_PNSZ_IS14_E10value_typeET4_jRbjT5_S1A_jjP12ihipStream_tbEUljE_EEESV_SW_SX_S14_S18_S1A_T6_T7_T9_mT8_S1C_bDpT10_ENKUlT_T0_E_clISt17integral_constantIbLb0EES1O_IbLb1EEEEDaS1K_S1L_EUlS1K_E_NS1_11comp_targetILNS1_3genE2ELNS1_11target_archE906ELNS1_3gpuE6ELNS1_3repE0EEENS1_30default_config_static_selectorELNS0_4arch9wavefront6targetE0EEEvSY_
; %bb.0:
	.section	.rodata,"a",@progbits
	.p2align	6, 0x0
	.amdhsa_kernel _ZN7rocprim17ROCPRIM_400000_NS6detail17trampoline_kernelINS0_13select_configILj256ELj13ELNS0_17block_load_methodE3ELS4_3ELS4_3ELNS0_20block_scan_algorithmE0ELj4294967295EEENS1_25partition_config_selectorILNS1_17partition_subalgoE3EjNS0_10empty_typeEbEEZZNS1_14partition_implILS8_3ELb0ES6_jNS0_17counting_iteratorIjlEEPS9_SE_NS0_5tupleIJPjSE_EEENSF_IJSE_SE_EEES9_SG_JZNS1_25segmented_radix_sort_implINS0_14default_configELb0EPKaPaPKlPlN2at6native12_GLOBAL__N_18offset_tEEE10hipError_tPvRmT1_PNSt15iterator_traitsISY_E10value_typeET2_T3_PNSZ_IS14_E10value_typeET4_jRbjT5_S1A_jjP12ihipStream_tbEUljE_EEESV_SW_SX_S14_S18_S1A_T6_T7_T9_mT8_S1C_bDpT10_ENKUlT_T0_E_clISt17integral_constantIbLb0EES1O_IbLb1EEEEDaS1K_S1L_EUlS1K_E_NS1_11comp_targetILNS1_3genE2ELNS1_11target_archE906ELNS1_3gpuE6ELNS1_3repE0EEENS1_30default_config_static_selectorELNS0_4arch9wavefront6targetE0EEEvSY_
		.amdhsa_group_segment_fixed_size 0
		.amdhsa_private_segment_fixed_size 0
		.amdhsa_kernarg_size 152
		.amdhsa_user_sgpr_count 6
		.amdhsa_user_sgpr_private_segment_buffer 1
		.amdhsa_user_sgpr_dispatch_ptr 0
		.amdhsa_user_sgpr_queue_ptr 0
		.amdhsa_user_sgpr_kernarg_segment_ptr 1
		.amdhsa_user_sgpr_dispatch_id 0
		.amdhsa_user_sgpr_flat_scratch_init 0
		.amdhsa_user_sgpr_private_segment_size 0
		.amdhsa_wavefront_size32 1
		.amdhsa_uses_dynamic_stack 0
		.amdhsa_system_sgpr_private_segment_wavefront_offset 0
		.amdhsa_system_sgpr_workgroup_id_x 1
		.amdhsa_system_sgpr_workgroup_id_y 0
		.amdhsa_system_sgpr_workgroup_id_z 0
		.amdhsa_system_sgpr_workgroup_info 0
		.amdhsa_system_vgpr_workitem_id 0
		.amdhsa_next_free_vgpr 1
		.amdhsa_next_free_sgpr 1
		.amdhsa_reserve_vcc 0
		.amdhsa_reserve_flat_scratch 0
		.amdhsa_float_round_mode_32 0
		.amdhsa_float_round_mode_16_64 0
		.amdhsa_float_denorm_mode_32 3
		.amdhsa_float_denorm_mode_16_64 3
		.amdhsa_dx10_clamp 1
		.amdhsa_ieee_mode 1
		.amdhsa_fp16_overflow 0
		.amdhsa_workgroup_processor_mode 1
		.amdhsa_memory_ordered 1
		.amdhsa_forward_progress 1
		.amdhsa_shared_vgpr_count 0
		.amdhsa_exception_fp_ieee_invalid_op 0
		.amdhsa_exception_fp_denorm_src 0
		.amdhsa_exception_fp_ieee_div_zero 0
		.amdhsa_exception_fp_ieee_overflow 0
		.amdhsa_exception_fp_ieee_underflow 0
		.amdhsa_exception_fp_ieee_inexact 0
		.amdhsa_exception_int_div_zero 0
	.end_amdhsa_kernel
	.section	.text._ZN7rocprim17ROCPRIM_400000_NS6detail17trampoline_kernelINS0_13select_configILj256ELj13ELNS0_17block_load_methodE3ELS4_3ELS4_3ELNS0_20block_scan_algorithmE0ELj4294967295EEENS1_25partition_config_selectorILNS1_17partition_subalgoE3EjNS0_10empty_typeEbEEZZNS1_14partition_implILS8_3ELb0ES6_jNS0_17counting_iteratorIjlEEPS9_SE_NS0_5tupleIJPjSE_EEENSF_IJSE_SE_EEES9_SG_JZNS1_25segmented_radix_sort_implINS0_14default_configELb0EPKaPaPKlPlN2at6native12_GLOBAL__N_18offset_tEEE10hipError_tPvRmT1_PNSt15iterator_traitsISY_E10value_typeET2_T3_PNSZ_IS14_E10value_typeET4_jRbjT5_S1A_jjP12ihipStream_tbEUljE_EEESV_SW_SX_S14_S18_S1A_T6_T7_T9_mT8_S1C_bDpT10_ENKUlT_T0_E_clISt17integral_constantIbLb0EES1O_IbLb1EEEEDaS1K_S1L_EUlS1K_E_NS1_11comp_targetILNS1_3genE2ELNS1_11target_archE906ELNS1_3gpuE6ELNS1_3repE0EEENS1_30default_config_static_selectorELNS0_4arch9wavefront6targetE0EEEvSY_,"axG",@progbits,_ZN7rocprim17ROCPRIM_400000_NS6detail17trampoline_kernelINS0_13select_configILj256ELj13ELNS0_17block_load_methodE3ELS4_3ELS4_3ELNS0_20block_scan_algorithmE0ELj4294967295EEENS1_25partition_config_selectorILNS1_17partition_subalgoE3EjNS0_10empty_typeEbEEZZNS1_14partition_implILS8_3ELb0ES6_jNS0_17counting_iteratorIjlEEPS9_SE_NS0_5tupleIJPjSE_EEENSF_IJSE_SE_EEES9_SG_JZNS1_25segmented_radix_sort_implINS0_14default_configELb0EPKaPaPKlPlN2at6native12_GLOBAL__N_18offset_tEEE10hipError_tPvRmT1_PNSt15iterator_traitsISY_E10value_typeET2_T3_PNSZ_IS14_E10value_typeET4_jRbjT5_S1A_jjP12ihipStream_tbEUljE_EEESV_SW_SX_S14_S18_S1A_T6_T7_T9_mT8_S1C_bDpT10_ENKUlT_T0_E_clISt17integral_constantIbLb0EES1O_IbLb1EEEEDaS1K_S1L_EUlS1K_E_NS1_11comp_targetILNS1_3genE2ELNS1_11target_archE906ELNS1_3gpuE6ELNS1_3repE0EEENS1_30default_config_static_selectorELNS0_4arch9wavefront6targetE0EEEvSY_,comdat
.Lfunc_end386:
	.size	_ZN7rocprim17ROCPRIM_400000_NS6detail17trampoline_kernelINS0_13select_configILj256ELj13ELNS0_17block_load_methodE3ELS4_3ELS4_3ELNS0_20block_scan_algorithmE0ELj4294967295EEENS1_25partition_config_selectorILNS1_17partition_subalgoE3EjNS0_10empty_typeEbEEZZNS1_14partition_implILS8_3ELb0ES6_jNS0_17counting_iteratorIjlEEPS9_SE_NS0_5tupleIJPjSE_EEENSF_IJSE_SE_EEES9_SG_JZNS1_25segmented_radix_sort_implINS0_14default_configELb0EPKaPaPKlPlN2at6native12_GLOBAL__N_18offset_tEEE10hipError_tPvRmT1_PNSt15iterator_traitsISY_E10value_typeET2_T3_PNSZ_IS14_E10value_typeET4_jRbjT5_S1A_jjP12ihipStream_tbEUljE_EEESV_SW_SX_S14_S18_S1A_T6_T7_T9_mT8_S1C_bDpT10_ENKUlT_T0_E_clISt17integral_constantIbLb0EES1O_IbLb1EEEEDaS1K_S1L_EUlS1K_E_NS1_11comp_targetILNS1_3genE2ELNS1_11target_archE906ELNS1_3gpuE6ELNS1_3repE0EEENS1_30default_config_static_selectorELNS0_4arch9wavefront6targetE0EEEvSY_, .Lfunc_end386-_ZN7rocprim17ROCPRIM_400000_NS6detail17trampoline_kernelINS0_13select_configILj256ELj13ELNS0_17block_load_methodE3ELS4_3ELS4_3ELNS0_20block_scan_algorithmE0ELj4294967295EEENS1_25partition_config_selectorILNS1_17partition_subalgoE3EjNS0_10empty_typeEbEEZZNS1_14partition_implILS8_3ELb0ES6_jNS0_17counting_iteratorIjlEEPS9_SE_NS0_5tupleIJPjSE_EEENSF_IJSE_SE_EEES9_SG_JZNS1_25segmented_radix_sort_implINS0_14default_configELb0EPKaPaPKlPlN2at6native12_GLOBAL__N_18offset_tEEE10hipError_tPvRmT1_PNSt15iterator_traitsISY_E10value_typeET2_T3_PNSZ_IS14_E10value_typeET4_jRbjT5_S1A_jjP12ihipStream_tbEUljE_EEESV_SW_SX_S14_S18_S1A_T6_T7_T9_mT8_S1C_bDpT10_ENKUlT_T0_E_clISt17integral_constantIbLb0EES1O_IbLb1EEEEDaS1K_S1L_EUlS1K_E_NS1_11comp_targetILNS1_3genE2ELNS1_11target_archE906ELNS1_3gpuE6ELNS1_3repE0EEENS1_30default_config_static_selectorELNS0_4arch9wavefront6targetE0EEEvSY_
                                        ; -- End function
	.set _ZN7rocprim17ROCPRIM_400000_NS6detail17trampoline_kernelINS0_13select_configILj256ELj13ELNS0_17block_load_methodE3ELS4_3ELS4_3ELNS0_20block_scan_algorithmE0ELj4294967295EEENS1_25partition_config_selectorILNS1_17partition_subalgoE3EjNS0_10empty_typeEbEEZZNS1_14partition_implILS8_3ELb0ES6_jNS0_17counting_iteratorIjlEEPS9_SE_NS0_5tupleIJPjSE_EEENSF_IJSE_SE_EEES9_SG_JZNS1_25segmented_radix_sort_implINS0_14default_configELb0EPKaPaPKlPlN2at6native12_GLOBAL__N_18offset_tEEE10hipError_tPvRmT1_PNSt15iterator_traitsISY_E10value_typeET2_T3_PNSZ_IS14_E10value_typeET4_jRbjT5_S1A_jjP12ihipStream_tbEUljE_EEESV_SW_SX_S14_S18_S1A_T6_T7_T9_mT8_S1C_bDpT10_ENKUlT_T0_E_clISt17integral_constantIbLb0EES1O_IbLb1EEEEDaS1K_S1L_EUlS1K_E_NS1_11comp_targetILNS1_3genE2ELNS1_11target_archE906ELNS1_3gpuE6ELNS1_3repE0EEENS1_30default_config_static_selectorELNS0_4arch9wavefront6targetE0EEEvSY_.num_vgpr, 0
	.set _ZN7rocprim17ROCPRIM_400000_NS6detail17trampoline_kernelINS0_13select_configILj256ELj13ELNS0_17block_load_methodE3ELS4_3ELS4_3ELNS0_20block_scan_algorithmE0ELj4294967295EEENS1_25partition_config_selectorILNS1_17partition_subalgoE3EjNS0_10empty_typeEbEEZZNS1_14partition_implILS8_3ELb0ES6_jNS0_17counting_iteratorIjlEEPS9_SE_NS0_5tupleIJPjSE_EEENSF_IJSE_SE_EEES9_SG_JZNS1_25segmented_radix_sort_implINS0_14default_configELb0EPKaPaPKlPlN2at6native12_GLOBAL__N_18offset_tEEE10hipError_tPvRmT1_PNSt15iterator_traitsISY_E10value_typeET2_T3_PNSZ_IS14_E10value_typeET4_jRbjT5_S1A_jjP12ihipStream_tbEUljE_EEESV_SW_SX_S14_S18_S1A_T6_T7_T9_mT8_S1C_bDpT10_ENKUlT_T0_E_clISt17integral_constantIbLb0EES1O_IbLb1EEEEDaS1K_S1L_EUlS1K_E_NS1_11comp_targetILNS1_3genE2ELNS1_11target_archE906ELNS1_3gpuE6ELNS1_3repE0EEENS1_30default_config_static_selectorELNS0_4arch9wavefront6targetE0EEEvSY_.num_agpr, 0
	.set _ZN7rocprim17ROCPRIM_400000_NS6detail17trampoline_kernelINS0_13select_configILj256ELj13ELNS0_17block_load_methodE3ELS4_3ELS4_3ELNS0_20block_scan_algorithmE0ELj4294967295EEENS1_25partition_config_selectorILNS1_17partition_subalgoE3EjNS0_10empty_typeEbEEZZNS1_14partition_implILS8_3ELb0ES6_jNS0_17counting_iteratorIjlEEPS9_SE_NS0_5tupleIJPjSE_EEENSF_IJSE_SE_EEES9_SG_JZNS1_25segmented_radix_sort_implINS0_14default_configELb0EPKaPaPKlPlN2at6native12_GLOBAL__N_18offset_tEEE10hipError_tPvRmT1_PNSt15iterator_traitsISY_E10value_typeET2_T3_PNSZ_IS14_E10value_typeET4_jRbjT5_S1A_jjP12ihipStream_tbEUljE_EEESV_SW_SX_S14_S18_S1A_T6_T7_T9_mT8_S1C_bDpT10_ENKUlT_T0_E_clISt17integral_constantIbLb0EES1O_IbLb1EEEEDaS1K_S1L_EUlS1K_E_NS1_11comp_targetILNS1_3genE2ELNS1_11target_archE906ELNS1_3gpuE6ELNS1_3repE0EEENS1_30default_config_static_selectorELNS0_4arch9wavefront6targetE0EEEvSY_.numbered_sgpr, 0
	.set _ZN7rocprim17ROCPRIM_400000_NS6detail17trampoline_kernelINS0_13select_configILj256ELj13ELNS0_17block_load_methodE3ELS4_3ELS4_3ELNS0_20block_scan_algorithmE0ELj4294967295EEENS1_25partition_config_selectorILNS1_17partition_subalgoE3EjNS0_10empty_typeEbEEZZNS1_14partition_implILS8_3ELb0ES6_jNS0_17counting_iteratorIjlEEPS9_SE_NS0_5tupleIJPjSE_EEENSF_IJSE_SE_EEES9_SG_JZNS1_25segmented_radix_sort_implINS0_14default_configELb0EPKaPaPKlPlN2at6native12_GLOBAL__N_18offset_tEEE10hipError_tPvRmT1_PNSt15iterator_traitsISY_E10value_typeET2_T3_PNSZ_IS14_E10value_typeET4_jRbjT5_S1A_jjP12ihipStream_tbEUljE_EEESV_SW_SX_S14_S18_S1A_T6_T7_T9_mT8_S1C_bDpT10_ENKUlT_T0_E_clISt17integral_constantIbLb0EES1O_IbLb1EEEEDaS1K_S1L_EUlS1K_E_NS1_11comp_targetILNS1_3genE2ELNS1_11target_archE906ELNS1_3gpuE6ELNS1_3repE0EEENS1_30default_config_static_selectorELNS0_4arch9wavefront6targetE0EEEvSY_.num_named_barrier, 0
	.set _ZN7rocprim17ROCPRIM_400000_NS6detail17trampoline_kernelINS0_13select_configILj256ELj13ELNS0_17block_load_methodE3ELS4_3ELS4_3ELNS0_20block_scan_algorithmE0ELj4294967295EEENS1_25partition_config_selectorILNS1_17partition_subalgoE3EjNS0_10empty_typeEbEEZZNS1_14partition_implILS8_3ELb0ES6_jNS0_17counting_iteratorIjlEEPS9_SE_NS0_5tupleIJPjSE_EEENSF_IJSE_SE_EEES9_SG_JZNS1_25segmented_radix_sort_implINS0_14default_configELb0EPKaPaPKlPlN2at6native12_GLOBAL__N_18offset_tEEE10hipError_tPvRmT1_PNSt15iterator_traitsISY_E10value_typeET2_T3_PNSZ_IS14_E10value_typeET4_jRbjT5_S1A_jjP12ihipStream_tbEUljE_EEESV_SW_SX_S14_S18_S1A_T6_T7_T9_mT8_S1C_bDpT10_ENKUlT_T0_E_clISt17integral_constantIbLb0EES1O_IbLb1EEEEDaS1K_S1L_EUlS1K_E_NS1_11comp_targetILNS1_3genE2ELNS1_11target_archE906ELNS1_3gpuE6ELNS1_3repE0EEENS1_30default_config_static_selectorELNS0_4arch9wavefront6targetE0EEEvSY_.private_seg_size, 0
	.set _ZN7rocprim17ROCPRIM_400000_NS6detail17trampoline_kernelINS0_13select_configILj256ELj13ELNS0_17block_load_methodE3ELS4_3ELS4_3ELNS0_20block_scan_algorithmE0ELj4294967295EEENS1_25partition_config_selectorILNS1_17partition_subalgoE3EjNS0_10empty_typeEbEEZZNS1_14partition_implILS8_3ELb0ES6_jNS0_17counting_iteratorIjlEEPS9_SE_NS0_5tupleIJPjSE_EEENSF_IJSE_SE_EEES9_SG_JZNS1_25segmented_radix_sort_implINS0_14default_configELb0EPKaPaPKlPlN2at6native12_GLOBAL__N_18offset_tEEE10hipError_tPvRmT1_PNSt15iterator_traitsISY_E10value_typeET2_T3_PNSZ_IS14_E10value_typeET4_jRbjT5_S1A_jjP12ihipStream_tbEUljE_EEESV_SW_SX_S14_S18_S1A_T6_T7_T9_mT8_S1C_bDpT10_ENKUlT_T0_E_clISt17integral_constantIbLb0EES1O_IbLb1EEEEDaS1K_S1L_EUlS1K_E_NS1_11comp_targetILNS1_3genE2ELNS1_11target_archE906ELNS1_3gpuE6ELNS1_3repE0EEENS1_30default_config_static_selectorELNS0_4arch9wavefront6targetE0EEEvSY_.uses_vcc, 0
	.set _ZN7rocprim17ROCPRIM_400000_NS6detail17trampoline_kernelINS0_13select_configILj256ELj13ELNS0_17block_load_methodE3ELS4_3ELS4_3ELNS0_20block_scan_algorithmE0ELj4294967295EEENS1_25partition_config_selectorILNS1_17partition_subalgoE3EjNS0_10empty_typeEbEEZZNS1_14partition_implILS8_3ELb0ES6_jNS0_17counting_iteratorIjlEEPS9_SE_NS0_5tupleIJPjSE_EEENSF_IJSE_SE_EEES9_SG_JZNS1_25segmented_radix_sort_implINS0_14default_configELb0EPKaPaPKlPlN2at6native12_GLOBAL__N_18offset_tEEE10hipError_tPvRmT1_PNSt15iterator_traitsISY_E10value_typeET2_T3_PNSZ_IS14_E10value_typeET4_jRbjT5_S1A_jjP12ihipStream_tbEUljE_EEESV_SW_SX_S14_S18_S1A_T6_T7_T9_mT8_S1C_bDpT10_ENKUlT_T0_E_clISt17integral_constantIbLb0EES1O_IbLb1EEEEDaS1K_S1L_EUlS1K_E_NS1_11comp_targetILNS1_3genE2ELNS1_11target_archE906ELNS1_3gpuE6ELNS1_3repE0EEENS1_30default_config_static_selectorELNS0_4arch9wavefront6targetE0EEEvSY_.uses_flat_scratch, 0
	.set _ZN7rocprim17ROCPRIM_400000_NS6detail17trampoline_kernelINS0_13select_configILj256ELj13ELNS0_17block_load_methodE3ELS4_3ELS4_3ELNS0_20block_scan_algorithmE0ELj4294967295EEENS1_25partition_config_selectorILNS1_17partition_subalgoE3EjNS0_10empty_typeEbEEZZNS1_14partition_implILS8_3ELb0ES6_jNS0_17counting_iteratorIjlEEPS9_SE_NS0_5tupleIJPjSE_EEENSF_IJSE_SE_EEES9_SG_JZNS1_25segmented_radix_sort_implINS0_14default_configELb0EPKaPaPKlPlN2at6native12_GLOBAL__N_18offset_tEEE10hipError_tPvRmT1_PNSt15iterator_traitsISY_E10value_typeET2_T3_PNSZ_IS14_E10value_typeET4_jRbjT5_S1A_jjP12ihipStream_tbEUljE_EEESV_SW_SX_S14_S18_S1A_T6_T7_T9_mT8_S1C_bDpT10_ENKUlT_T0_E_clISt17integral_constantIbLb0EES1O_IbLb1EEEEDaS1K_S1L_EUlS1K_E_NS1_11comp_targetILNS1_3genE2ELNS1_11target_archE906ELNS1_3gpuE6ELNS1_3repE0EEENS1_30default_config_static_selectorELNS0_4arch9wavefront6targetE0EEEvSY_.has_dyn_sized_stack, 0
	.set _ZN7rocprim17ROCPRIM_400000_NS6detail17trampoline_kernelINS0_13select_configILj256ELj13ELNS0_17block_load_methodE3ELS4_3ELS4_3ELNS0_20block_scan_algorithmE0ELj4294967295EEENS1_25partition_config_selectorILNS1_17partition_subalgoE3EjNS0_10empty_typeEbEEZZNS1_14partition_implILS8_3ELb0ES6_jNS0_17counting_iteratorIjlEEPS9_SE_NS0_5tupleIJPjSE_EEENSF_IJSE_SE_EEES9_SG_JZNS1_25segmented_radix_sort_implINS0_14default_configELb0EPKaPaPKlPlN2at6native12_GLOBAL__N_18offset_tEEE10hipError_tPvRmT1_PNSt15iterator_traitsISY_E10value_typeET2_T3_PNSZ_IS14_E10value_typeET4_jRbjT5_S1A_jjP12ihipStream_tbEUljE_EEESV_SW_SX_S14_S18_S1A_T6_T7_T9_mT8_S1C_bDpT10_ENKUlT_T0_E_clISt17integral_constantIbLb0EES1O_IbLb1EEEEDaS1K_S1L_EUlS1K_E_NS1_11comp_targetILNS1_3genE2ELNS1_11target_archE906ELNS1_3gpuE6ELNS1_3repE0EEENS1_30default_config_static_selectorELNS0_4arch9wavefront6targetE0EEEvSY_.has_recursion, 0
	.set _ZN7rocprim17ROCPRIM_400000_NS6detail17trampoline_kernelINS0_13select_configILj256ELj13ELNS0_17block_load_methodE3ELS4_3ELS4_3ELNS0_20block_scan_algorithmE0ELj4294967295EEENS1_25partition_config_selectorILNS1_17partition_subalgoE3EjNS0_10empty_typeEbEEZZNS1_14partition_implILS8_3ELb0ES6_jNS0_17counting_iteratorIjlEEPS9_SE_NS0_5tupleIJPjSE_EEENSF_IJSE_SE_EEES9_SG_JZNS1_25segmented_radix_sort_implINS0_14default_configELb0EPKaPaPKlPlN2at6native12_GLOBAL__N_18offset_tEEE10hipError_tPvRmT1_PNSt15iterator_traitsISY_E10value_typeET2_T3_PNSZ_IS14_E10value_typeET4_jRbjT5_S1A_jjP12ihipStream_tbEUljE_EEESV_SW_SX_S14_S18_S1A_T6_T7_T9_mT8_S1C_bDpT10_ENKUlT_T0_E_clISt17integral_constantIbLb0EES1O_IbLb1EEEEDaS1K_S1L_EUlS1K_E_NS1_11comp_targetILNS1_3genE2ELNS1_11target_archE906ELNS1_3gpuE6ELNS1_3repE0EEENS1_30default_config_static_selectorELNS0_4arch9wavefront6targetE0EEEvSY_.has_indirect_call, 0
	.section	.AMDGPU.csdata,"",@progbits
; Kernel info:
; codeLenInByte = 0
; TotalNumSgprs: 0
; NumVgprs: 0
; ScratchSize: 0
; MemoryBound: 0
; FloatMode: 240
; IeeeMode: 1
; LDSByteSize: 0 bytes/workgroup (compile time only)
; SGPRBlocks: 0
; VGPRBlocks: 0
; NumSGPRsForWavesPerEU: 1
; NumVGPRsForWavesPerEU: 1
; Occupancy: 16
; WaveLimiterHint : 0
; COMPUTE_PGM_RSRC2:SCRATCH_EN: 0
; COMPUTE_PGM_RSRC2:USER_SGPR: 6
; COMPUTE_PGM_RSRC2:TRAP_HANDLER: 0
; COMPUTE_PGM_RSRC2:TGID_X_EN: 1
; COMPUTE_PGM_RSRC2:TGID_Y_EN: 0
; COMPUTE_PGM_RSRC2:TGID_Z_EN: 0
; COMPUTE_PGM_RSRC2:TIDIG_COMP_CNT: 0
	.section	.text._ZN7rocprim17ROCPRIM_400000_NS6detail17trampoline_kernelINS0_13select_configILj256ELj13ELNS0_17block_load_methodE3ELS4_3ELS4_3ELNS0_20block_scan_algorithmE0ELj4294967295EEENS1_25partition_config_selectorILNS1_17partition_subalgoE3EjNS0_10empty_typeEbEEZZNS1_14partition_implILS8_3ELb0ES6_jNS0_17counting_iteratorIjlEEPS9_SE_NS0_5tupleIJPjSE_EEENSF_IJSE_SE_EEES9_SG_JZNS1_25segmented_radix_sort_implINS0_14default_configELb0EPKaPaPKlPlN2at6native12_GLOBAL__N_18offset_tEEE10hipError_tPvRmT1_PNSt15iterator_traitsISY_E10value_typeET2_T3_PNSZ_IS14_E10value_typeET4_jRbjT5_S1A_jjP12ihipStream_tbEUljE_EEESV_SW_SX_S14_S18_S1A_T6_T7_T9_mT8_S1C_bDpT10_ENKUlT_T0_E_clISt17integral_constantIbLb0EES1O_IbLb1EEEEDaS1K_S1L_EUlS1K_E_NS1_11comp_targetILNS1_3genE10ELNS1_11target_archE1200ELNS1_3gpuE4ELNS1_3repE0EEENS1_30default_config_static_selectorELNS0_4arch9wavefront6targetE0EEEvSY_,"axG",@progbits,_ZN7rocprim17ROCPRIM_400000_NS6detail17trampoline_kernelINS0_13select_configILj256ELj13ELNS0_17block_load_methodE3ELS4_3ELS4_3ELNS0_20block_scan_algorithmE0ELj4294967295EEENS1_25partition_config_selectorILNS1_17partition_subalgoE3EjNS0_10empty_typeEbEEZZNS1_14partition_implILS8_3ELb0ES6_jNS0_17counting_iteratorIjlEEPS9_SE_NS0_5tupleIJPjSE_EEENSF_IJSE_SE_EEES9_SG_JZNS1_25segmented_radix_sort_implINS0_14default_configELb0EPKaPaPKlPlN2at6native12_GLOBAL__N_18offset_tEEE10hipError_tPvRmT1_PNSt15iterator_traitsISY_E10value_typeET2_T3_PNSZ_IS14_E10value_typeET4_jRbjT5_S1A_jjP12ihipStream_tbEUljE_EEESV_SW_SX_S14_S18_S1A_T6_T7_T9_mT8_S1C_bDpT10_ENKUlT_T0_E_clISt17integral_constantIbLb0EES1O_IbLb1EEEEDaS1K_S1L_EUlS1K_E_NS1_11comp_targetILNS1_3genE10ELNS1_11target_archE1200ELNS1_3gpuE4ELNS1_3repE0EEENS1_30default_config_static_selectorELNS0_4arch9wavefront6targetE0EEEvSY_,comdat
	.globl	_ZN7rocprim17ROCPRIM_400000_NS6detail17trampoline_kernelINS0_13select_configILj256ELj13ELNS0_17block_load_methodE3ELS4_3ELS4_3ELNS0_20block_scan_algorithmE0ELj4294967295EEENS1_25partition_config_selectorILNS1_17partition_subalgoE3EjNS0_10empty_typeEbEEZZNS1_14partition_implILS8_3ELb0ES6_jNS0_17counting_iteratorIjlEEPS9_SE_NS0_5tupleIJPjSE_EEENSF_IJSE_SE_EEES9_SG_JZNS1_25segmented_radix_sort_implINS0_14default_configELb0EPKaPaPKlPlN2at6native12_GLOBAL__N_18offset_tEEE10hipError_tPvRmT1_PNSt15iterator_traitsISY_E10value_typeET2_T3_PNSZ_IS14_E10value_typeET4_jRbjT5_S1A_jjP12ihipStream_tbEUljE_EEESV_SW_SX_S14_S18_S1A_T6_T7_T9_mT8_S1C_bDpT10_ENKUlT_T0_E_clISt17integral_constantIbLb0EES1O_IbLb1EEEEDaS1K_S1L_EUlS1K_E_NS1_11comp_targetILNS1_3genE10ELNS1_11target_archE1200ELNS1_3gpuE4ELNS1_3repE0EEENS1_30default_config_static_selectorELNS0_4arch9wavefront6targetE0EEEvSY_ ; -- Begin function _ZN7rocprim17ROCPRIM_400000_NS6detail17trampoline_kernelINS0_13select_configILj256ELj13ELNS0_17block_load_methodE3ELS4_3ELS4_3ELNS0_20block_scan_algorithmE0ELj4294967295EEENS1_25partition_config_selectorILNS1_17partition_subalgoE3EjNS0_10empty_typeEbEEZZNS1_14partition_implILS8_3ELb0ES6_jNS0_17counting_iteratorIjlEEPS9_SE_NS0_5tupleIJPjSE_EEENSF_IJSE_SE_EEES9_SG_JZNS1_25segmented_radix_sort_implINS0_14default_configELb0EPKaPaPKlPlN2at6native12_GLOBAL__N_18offset_tEEE10hipError_tPvRmT1_PNSt15iterator_traitsISY_E10value_typeET2_T3_PNSZ_IS14_E10value_typeET4_jRbjT5_S1A_jjP12ihipStream_tbEUljE_EEESV_SW_SX_S14_S18_S1A_T6_T7_T9_mT8_S1C_bDpT10_ENKUlT_T0_E_clISt17integral_constantIbLb0EES1O_IbLb1EEEEDaS1K_S1L_EUlS1K_E_NS1_11comp_targetILNS1_3genE10ELNS1_11target_archE1200ELNS1_3gpuE4ELNS1_3repE0EEENS1_30default_config_static_selectorELNS0_4arch9wavefront6targetE0EEEvSY_
	.p2align	8
	.type	_ZN7rocprim17ROCPRIM_400000_NS6detail17trampoline_kernelINS0_13select_configILj256ELj13ELNS0_17block_load_methodE3ELS4_3ELS4_3ELNS0_20block_scan_algorithmE0ELj4294967295EEENS1_25partition_config_selectorILNS1_17partition_subalgoE3EjNS0_10empty_typeEbEEZZNS1_14partition_implILS8_3ELb0ES6_jNS0_17counting_iteratorIjlEEPS9_SE_NS0_5tupleIJPjSE_EEENSF_IJSE_SE_EEES9_SG_JZNS1_25segmented_radix_sort_implINS0_14default_configELb0EPKaPaPKlPlN2at6native12_GLOBAL__N_18offset_tEEE10hipError_tPvRmT1_PNSt15iterator_traitsISY_E10value_typeET2_T3_PNSZ_IS14_E10value_typeET4_jRbjT5_S1A_jjP12ihipStream_tbEUljE_EEESV_SW_SX_S14_S18_S1A_T6_T7_T9_mT8_S1C_bDpT10_ENKUlT_T0_E_clISt17integral_constantIbLb0EES1O_IbLb1EEEEDaS1K_S1L_EUlS1K_E_NS1_11comp_targetILNS1_3genE10ELNS1_11target_archE1200ELNS1_3gpuE4ELNS1_3repE0EEENS1_30default_config_static_selectorELNS0_4arch9wavefront6targetE0EEEvSY_,@function
_ZN7rocprim17ROCPRIM_400000_NS6detail17trampoline_kernelINS0_13select_configILj256ELj13ELNS0_17block_load_methodE3ELS4_3ELS4_3ELNS0_20block_scan_algorithmE0ELj4294967295EEENS1_25partition_config_selectorILNS1_17partition_subalgoE3EjNS0_10empty_typeEbEEZZNS1_14partition_implILS8_3ELb0ES6_jNS0_17counting_iteratorIjlEEPS9_SE_NS0_5tupleIJPjSE_EEENSF_IJSE_SE_EEES9_SG_JZNS1_25segmented_radix_sort_implINS0_14default_configELb0EPKaPaPKlPlN2at6native12_GLOBAL__N_18offset_tEEE10hipError_tPvRmT1_PNSt15iterator_traitsISY_E10value_typeET2_T3_PNSZ_IS14_E10value_typeET4_jRbjT5_S1A_jjP12ihipStream_tbEUljE_EEESV_SW_SX_S14_S18_S1A_T6_T7_T9_mT8_S1C_bDpT10_ENKUlT_T0_E_clISt17integral_constantIbLb0EES1O_IbLb1EEEEDaS1K_S1L_EUlS1K_E_NS1_11comp_targetILNS1_3genE10ELNS1_11target_archE1200ELNS1_3gpuE4ELNS1_3repE0EEENS1_30default_config_static_selectorELNS0_4arch9wavefront6targetE0EEEvSY_: ; @_ZN7rocprim17ROCPRIM_400000_NS6detail17trampoline_kernelINS0_13select_configILj256ELj13ELNS0_17block_load_methodE3ELS4_3ELS4_3ELNS0_20block_scan_algorithmE0ELj4294967295EEENS1_25partition_config_selectorILNS1_17partition_subalgoE3EjNS0_10empty_typeEbEEZZNS1_14partition_implILS8_3ELb0ES6_jNS0_17counting_iteratorIjlEEPS9_SE_NS0_5tupleIJPjSE_EEENSF_IJSE_SE_EEES9_SG_JZNS1_25segmented_radix_sort_implINS0_14default_configELb0EPKaPaPKlPlN2at6native12_GLOBAL__N_18offset_tEEE10hipError_tPvRmT1_PNSt15iterator_traitsISY_E10value_typeET2_T3_PNSZ_IS14_E10value_typeET4_jRbjT5_S1A_jjP12ihipStream_tbEUljE_EEESV_SW_SX_S14_S18_S1A_T6_T7_T9_mT8_S1C_bDpT10_ENKUlT_T0_E_clISt17integral_constantIbLb0EES1O_IbLb1EEEEDaS1K_S1L_EUlS1K_E_NS1_11comp_targetILNS1_3genE10ELNS1_11target_archE1200ELNS1_3gpuE4ELNS1_3repE0EEENS1_30default_config_static_selectorELNS0_4arch9wavefront6targetE0EEEvSY_
; %bb.0:
	.section	.rodata,"a",@progbits
	.p2align	6, 0x0
	.amdhsa_kernel _ZN7rocprim17ROCPRIM_400000_NS6detail17trampoline_kernelINS0_13select_configILj256ELj13ELNS0_17block_load_methodE3ELS4_3ELS4_3ELNS0_20block_scan_algorithmE0ELj4294967295EEENS1_25partition_config_selectorILNS1_17partition_subalgoE3EjNS0_10empty_typeEbEEZZNS1_14partition_implILS8_3ELb0ES6_jNS0_17counting_iteratorIjlEEPS9_SE_NS0_5tupleIJPjSE_EEENSF_IJSE_SE_EEES9_SG_JZNS1_25segmented_radix_sort_implINS0_14default_configELb0EPKaPaPKlPlN2at6native12_GLOBAL__N_18offset_tEEE10hipError_tPvRmT1_PNSt15iterator_traitsISY_E10value_typeET2_T3_PNSZ_IS14_E10value_typeET4_jRbjT5_S1A_jjP12ihipStream_tbEUljE_EEESV_SW_SX_S14_S18_S1A_T6_T7_T9_mT8_S1C_bDpT10_ENKUlT_T0_E_clISt17integral_constantIbLb0EES1O_IbLb1EEEEDaS1K_S1L_EUlS1K_E_NS1_11comp_targetILNS1_3genE10ELNS1_11target_archE1200ELNS1_3gpuE4ELNS1_3repE0EEENS1_30default_config_static_selectorELNS0_4arch9wavefront6targetE0EEEvSY_
		.amdhsa_group_segment_fixed_size 0
		.amdhsa_private_segment_fixed_size 0
		.amdhsa_kernarg_size 152
		.amdhsa_user_sgpr_count 6
		.amdhsa_user_sgpr_private_segment_buffer 1
		.amdhsa_user_sgpr_dispatch_ptr 0
		.amdhsa_user_sgpr_queue_ptr 0
		.amdhsa_user_sgpr_kernarg_segment_ptr 1
		.amdhsa_user_sgpr_dispatch_id 0
		.amdhsa_user_sgpr_flat_scratch_init 0
		.amdhsa_user_sgpr_private_segment_size 0
		.amdhsa_wavefront_size32 1
		.amdhsa_uses_dynamic_stack 0
		.amdhsa_system_sgpr_private_segment_wavefront_offset 0
		.amdhsa_system_sgpr_workgroup_id_x 1
		.amdhsa_system_sgpr_workgroup_id_y 0
		.amdhsa_system_sgpr_workgroup_id_z 0
		.amdhsa_system_sgpr_workgroup_info 0
		.amdhsa_system_vgpr_workitem_id 0
		.amdhsa_next_free_vgpr 1
		.amdhsa_next_free_sgpr 1
		.amdhsa_reserve_vcc 0
		.amdhsa_reserve_flat_scratch 0
		.amdhsa_float_round_mode_32 0
		.amdhsa_float_round_mode_16_64 0
		.amdhsa_float_denorm_mode_32 3
		.amdhsa_float_denorm_mode_16_64 3
		.amdhsa_dx10_clamp 1
		.amdhsa_ieee_mode 1
		.amdhsa_fp16_overflow 0
		.amdhsa_workgroup_processor_mode 1
		.amdhsa_memory_ordered 1
		.amdhsa_forward_progress 1
		.amdhsa_shared_vgpr_count 0
		.amdhsa_exception_fp_ieee_invalid_op 0
		.amdhsa_exception_fp_denorm_src 0
		.amdhsa_exception_fp_ieee_div_zero 0
		.amdhsa_exception_fp_ieee_overflow 0
		.amdhsa_exception_fp_ieee_underflow 0
		.amdhsa_exception_fp_ieee_inexact 0
		.amdhsa_exception_int_div_zero 0
	.end_amdhsa_kernel
	.section	.text._ZN7rocprim17ROCPRIM_400000_NS6detail17trampoline_kernelINS0_13select_configILj256ELj13ELNS0_17block_load_methodE3ELS4_3ELS4_3ELNS0_20block_scan_algorithmE0ELj4294967295EEENS1_25partition_config_selectorILNS1_17partition_subalgoE3EjNS0_10empty_typeEbEEZZNS1_14partition_implILS8_3ELb0ES6_jNS0_17counting_iteratorIjlEEPS9_SE_NS0_5tupleIJPjSE_EEENSF_IJSE_SE_EEES9_SG_JZNS1_25segmented_radix_sort_implINS0_14default_configELb0EPKaPaPKlPlN2at6native12_GLOBAL__N_18offset_tEEE10hipError_tPvRmT1_PNSt15iterator_traitsISY_E10value_typeET2_T3_PNSZ_IS14_E10value_typeET4_jRbjT5_S1A_jjP12ihipStream_tbEUljE_EEESV_SW_SX_S14_S18_S1A_T6_T7_T9_mT8_S1C_bDpT10_ENKUlT_T0_E_clISt17integral_constantIbLb0EES1O_IbLb1EEEEDaS1K_S1L_EUlS1K_E_NS1_11comp_targetILNS1_3genE10ELNS1_11target_archE1200ELNS1_3gpuE4ELNS1_3repE0EEENS1_30default_config_static_selectorELNS0_4arch9wavefront6targetE0EEEvSY_,"axG",@progbits,_ZN7rocprim17ROCPRIM_400000_NS6detail17trampoline_kernelINS0_13select_configILj256ELj13ELNS0_17block_load_methodE3ELS4_3ELS4_3ELNS0_20block_scan_algorithmE0ELj4294967295EEENS1_25partition_config_selectorILNS1_17partition_subalgoE3EjNS0_10empty_typeEbEEZZNS1_14partition_implILS8_3ELb0ES6_jNS0_17counting_iteratorIjlEEPS9_SE_NS0_5tupleIJPjSE_EEENSF_IJSE_SE_EEES9_SG_JZNS1_25segmented_radix_sort_implINS0_14default_configELb0EPKaPaPKlPlN2at6native12_GLOBAL__N_18offset_tEEE10hipError_tPvRmT1_PNSt15iterator_traitsISY_E10value_typeET2_T3_PNSZ_IS14_E10value_typeET4_jRbjT5_S1A_jjP12ihipStream_tbEUljE_EEESV_SW_SX_S14_S18_S1A_T6_T7_T9_mT8_S1C_bDpT10_ENKUlT_T0_E_clISt17integral_constantIbLb0EES1O_IbLb1EEEEDaS1K_S1L_EUlS1K_E_NS1_11comp_targetILNS1_3genE10ELNS1_11target_archE1200ELNS1_3gpuE4ELNS1_3repE0EEENS1_30default_config_static_selectorELNS0_4arch9wavefront6targetE0EEEvSY_,comdat
.Lfunc_end387:
	.size	_ZN7rocprim17ROCPRIM_400000_NS6detail17trampoline_kernelINS0_13select_configILj256ELj13ELNS0_17block_load_methodE3ELS4_3ELS4_3ELNS0_20block_scan_algorithmE0ELj4294967295EEENS1_25partition_config_selectorILNS1_17partition_subalgoE3EjNS0_10empty_typeEbEEZZNS1_14partition_implILS8_3ELb0ES6_jNS0_17counting_iteratorIjlEEPS9_SE_NS0_5tupleIJPjSE_EEENSF_IJSE_SE_EEES9_SG_JZNS1_25segmented_radix_sort_implINS0_14default_configELb0EPKaPaPKlPlN2at6native12_GLOBAL__N_18offset_tEEE10hipError_tPvRmT1_PNSt15iterator_traitsISY_E10value_typeET2_T3_PNSZ_IS14_E10value_typeET4_jRbjT5_S1A_jjP12ihipStream_tbEUljE_EEESV_SW_SX_S14_S18_S1A_T6_T7_T9_mT8_S1C_bDpT10_ENKUlT_T0_E_clISt17integral_constantIbLb0EES1O_IbLb1EEEEDaS1K_S1L_EUlS1K_E_NS1_11comp_targetILNS1_3genE10ELNS1_11target_archE1200ELNS1_3gpuE4ELNS1_3repE0EEENS1_30default_config_static_selectorELNS0_4arch9wavefront6targetE0EEEvSY_, .Lfunc_end387-_ZN7rocprim17ROCPRIM_400000_NS6detail17trampoline_kernelINS0_13select_configILj256ELj13ELNS0_17block_load_methodE3ELS4_3ELS4_3ELNS0_20block_scan_algorithmE0ELj4294967295EEENS1_25partition_config_selectorILNS1_17partition_subalgoE3EjNS0_10empty_typeEbEEZZNS1_14partition_implILS8_3ELb0ES6_jNS0_17counting_iteratorIjlEEPS9_SE_NS0_5tupleIJPjSE_EEENSF_IJSE_SE_EEES9_SG_JZNS1_25segmented_radix_sort_implINS0_14default_configELb0EPKaPaPKlPlN2at6native12_GLOBAL__N_18offset_tEEE10hipError_tPvRmT1_PNSt15iterator_traitsISY_E10value_typeET2_T3_PNSZ_IS14_E10value_typeET4_jRbjT5_S1A_jjP12ihipStream_tbEUljE_EEESV_SW_SX_S14_S18_S1A_T6_T7_T9_mT8_S1C_bDpT10_ENKUlT_T0_E_clISt17integral_constantIbLb0EES1O_IbLb1EEEEDaS1K_S1L_EUlS1K_E_NS1_11comp_targetILNS1_3genE10ELNS1_11target_archE1200ELNS1_3gpuE4ELNS1_3repE0EEENS1_30default_config_static_selectorELNS0_4arch9wavefront6targetE0EEEvSY_
                                        ; -- End function
	.set _ZN7rocprim17ROCPRIM_400000_NS6detail17trampoline_kernelINS0_13select_configILj256ELj13ELNS0_17block_load_methodE3ELS4_3ELS4_3ELNS0_20block_scan_algorithmE0ELj4294967295EEENS1_25partition_config_selectorILNS1_17partition_subalgoE3EjNS0_10empty_typeEbEEZZNS1_14partition_implILS8_3ELb0ES6_jNS0_17counting_iteratorIjlEEPS9_SE_NS0_5tupleIJPjSE_EEENSF_IJSE_SE_EEES9_SG_JZNS1_25segmented_radix_sort_implINS0_14default_configELb0EPKaPaPKlPlN2at6native12_GLOBAL__N_18offset_tEEE10hipError_tPvRmT1_PNSt15iterator_traitsISY_E10value_typeET2_T3_PNSZ_IS14_E10value_typeET4_jRbjT5_S1A_jjP12ihipStream_tbEUljE_EEESV_SW_SX_S14_S18_S1A_T6_T7_T9_mT8_S1C_bDpT10_ENKUlT_T0_E_clISt17integral_constantIbLb0EES1O_IbLb1EEEEDaS1K_S1L_EUlS1K_E_NS1_11comp_targetILNS1_3genE10ELNS1_11target_archE1200ELNS1_3gpuE4ELNS1_3repE0EEENS1_30default_config_static_selectorELNS0_4arch9wavefront6targetE0EEEvSY_.num_vgpr, 0
	.set _ZN7rocprim17ROCPRIM_400000_NS6detail17trampoline_kernelINS0_13select_configILj256ELj13ELNS0_17block_load_methodE3ELS4_3ELS4_3ELNS0_20block_scan_algorithmE0ELj4294967295EEENS1_25partition_config_selectorILNS1_17partition_subalgoE3EjNS0_10empty_typeEbEEZZNS1_14partition_implILS8_3ELb0ES6_jNS0_17counting_iteratorIjlEEPS9_SE_NS0_5tupleIJPjSE_EEENSF_IJSE_SE_EEES9_SG_JZNS1_25segmented_radix_sort_implINS0_14default_configELb0EPKaPaPKlPlN2at6native12_GLOBAL__N_18offset_tEEE10hipError_tPvRmT1_PNSt15iterator_traitsISY_E10value_typeET2_T3_PNSZ_IS14_E10value_typeET4_jRbjT5_S1A_jjP12ihipStream_tbEUljE_EEESV_SW_SX_S14_S18_S1A_T6_T7_T9_mT8_S1C_bDpT10_ENKUlT_T0_E_clISt17integral_constantIbLb0EES1O_IbLb1EEEEDaS1K_S1L_EUlS1K_E_NS1_11comp_targetILNS1_3genE10ELNS1_11target_archE1200ELNS1_3gpuE4ELNS1_3repE0EEENS1_30default_config_static_selectorELNS0_4arch9wavefront6targetE0EEEvSY_.num_agpr, 0
	.set _ZN7rocprim17ROCPRIM_400000_NS6detail17trampoline_kernelINS0_13select_configILj256ELj13ELNS0_17block_load_methodE3ELS4_3ELS4_3ELNS0_20block_scan_algorithmE0ELj4294967295EEENS1_25partition_config_selectorILNS1_17partition_subalgoE3EjNS0_10empty_typeEbEEZZNS1_14partition_implILS8_3ELb0ES6_jNS0_17counting_iteratorIjlEEPS9_SE_NS0_5tupleIJPjSE_EEENSF_IJSE_SE_EEES9_SG_JZNS1_25segmented_radix_sort_implINS0_14default_configELb0EPKaPaPKlPlN2at6native12_GLOBAL__N_18offset_tEEE10hipError_tPvRmT1_PNSt15iterator_traitsISY_E10value_typeET2_T3_PNSZ_IS14_E10value_typeET4_jRbjT5_S1A_jjP12ihipStream_tbEUljE_EEESV_SW_SX_S14_S18_S1A_T6_T7_T9_mT8_S1C_bDpT10_ENKUlT_T0_E_clISt17integral_constantIbLb0EES1O_IbLb1EEEEDaS1K_S1L_EUlS1K_E_NS1_11comp_targetILNS1_3genE10ELNS1_11target_archE1200ELNS1_3gpuE4ELNS1_3repE0EEENS1_30default_config_static_selectorELNS0_4arch9wavefront6targetE0EEEvSY_.numbered_sgpr, 0
	.set _ZN7rocprim17ROCPRIM_400000_NS6detail17trampoline_kernelINS0_13select_configILj256ELj13ELNS0_17block_load_methodE3ELS4_3ELS4_3ELNS0_20block_scan_algorithmE0ELj4294967295EEENS1_25partition_config_selectorILNS1_17partition_subalgoE3EjNS0_10empty_typeEbEEZZNS1_14partition_implILS8_3ELb0ES6_jNS0_17counting_iteratorIjlEEPS9_SE_NS0_5tupleIJPjSE_EEENSF_IJSE_SE_EEES9_SG_JZNS1_25segmented_radix_sort_implINS0_14default_configELb0EPKaPaPKlPlN2at6native12_GLOBAL__N_18offset_tEEE10hipError_tPvRmT1_PNSt15iterator_traitsISY_E10value_typeET2_T3_PNSZ_IS14_E10value_typeET4_jRbjT5_S1A_jjP12ihipStream_tbEUljE_EEESV_SW_SX_S14_S18_S1A_T6_T7_T9_mT8_S1C_bDpT10_ENKUlT_T0_E_clISt17integral_constantIbLb0EES1O_IbLb1EEEEDaS1K_S1L_EUlS1K_E_NS1_11comp_targetILNS1_3genE10ELNS1_11target_archE1200ELNS1_3gpuE4ELNS1_3repE0EEENS1_30default_config_static_selectorELNS0_4arch9wavefront6targetE0EEEvSY_.num_named_barrier, 0
	.set _ZN7rocprim17ROCPRIM_400000_NS6detail17trampoline_kernelINS0_13select_configILj256ELj13ELNS0_17block_load_methodE3ELS4_3ELS4_3ELNS0_20block_scan_algorithmE0ELj4294967295EEENS1_25partition_config_selectorILNS1_17partition_subalgoE3EjNS0_10empty_typeEbEEZZNS1_14partition_implILS8_3ELb0ES6_jNS0_17counting_iteratorIjlEEPS9_SE_NS0_5tupleIJPjSE_EEENSF_IJSE_SE_EEES9_SG_JZNS1_25segmented_radix_sort_implINS0_14default_configELb0EPKaPaPKlPlN2at6native12_GLOBAL__N_18offset_tEEE10hipError_tPvRmT1_PNSt15iterator_traitsISY_E10value_typeET2_T3_PNSZ_IS14_E10value_typeET4_jRbjT5_S1A_jjP12ihipStream_tbEUljE_EEESV_SW_SX_S14_S18_S1A_T6_T7_T9_mT8_S1C_bDpT10_ENKUlT_T0_E_clISt17integral_constantIbLb0EES1O_IbLb1EEEEDaS1K_S1L_EUlS1K_E_NS1_11comp_targetILNS1_3genE10ELNS1_11target_archE1200ELNS1_3gpuE4ELNS1_3repE0EEENS1_30default_config_static_selectorELNS0_4arch9wavefront6targetE0EEEvSY_.private_seg_size, 0
	.set _ZN7rocprim17ROCPRIM_400000_NS6detail17trampoline_kernelINS0_13select_configILj256ELj13ELNS0_17block_load_methodE3ELS4_3ELS4_3ELNS0_20block_scan_algorithmE0ELj4294967295EEENS1_25partition_config_selectorILNS1_17partition_subalgoE3EjNS0_10empty_typeEbEEZZNS1_14partition_implILS8_3ELb0ES6_jNS0_17counting_iteratorIjlEEPS9_SE_NS0_5tupleIJPjSE_EEENSF_IJSE_SE_EEES9_SG_JZNS1_25segmented_radix_sort_implINS0_14default_configELb0EPKaPaPKlPlN2at6native12_GLOBAL__N_18offset_tEEE10hipError_tPvRmT1_PNSt15iterator_traitsISY_E10value_typeET2_T3_PNSZ_IS14_E10value_typeET4_jRbjT5_S1A_jjP12ihipStream_tbEUljE_EEESV_SW_SX_S14_S18_S1A_T6_T7_T9_mT8_S1C_bDpT10_ENKUlT_T0_E_clISt17integral_constantIbLb0EES1O_IbLb1EEEEDaS1K_S1L_EUlS1K_E_NS1_11comp_targetILNS1_3genE10ELNS1_11target_archE1200ELNS1_3gpuE4ELNS1_3repE0EEENS1_30default_config_static_selectorELNS0_4arch9wavefront6targetE0EEEvSY_.uses_vcc, 0
	.set _ZN7rocprim17ROCPRIM_400000_NS6detail17trampoline_kernelINS0_13select_configILj256ELj13ELNS0_17block_load_methodE3ELS4_3ELS4_3ELNS0_20block_scan_algorithmE0ELj4294967295EEENS1_25partition_config_selectorILNS1_17partition_subalgoE3EjNS0_10empty_typeEbEEZZNS1_14partition_implILS8_3ELb0ES6_jNS0_17counting_iteratorIjlEEPS9_SE_NS0_5tupleIJPjSE_EEENSF_IJSE_SE_EEES9_SG_JZNS1_25segmented_radix_sort_implINS0_14default_configELb0EPKaPaPKlPlN2at6native12_GLOBAL__N_18offset_tEEE10hipError_tPvRmT1_PNSt15iterator_traitsISY_E10value_typeET2_T3_PNSZ_IS14_E10value_typeET4_jRbjT5_S1A_jjP12ihipStream_tbEUljE_EEESV_SW_SX_S14_S18_S1A_T6_T7_T9_mT8_S1C_bDpT10_ENKUlT_T0_E_clISt17integral_constantIbLb0EES1O_IbLb1EEEEDaS1K_S1L_EUlS1K_E_NS1_11comp_targetILNS1_3genE10ELNS1_11target_archE1200ELNS1_3gpuE4ELNS1_3repE0EEENS1_30default_config_static_selectorELNS0_4arch9wavefront6targetE0EEEvSY_.uses_flat_scratch, 0
	.set _ZN7rocprim17ROCPRIM_400000_NS6detail17trampoline_kernelINS0_13select_configILj256ELj13ELNS0_17block_load_methodE3ELS4_3ELS4_3ELNS0_20block_scan_algorithmE0ELj4294967295EEENS1_25partition_config_selectorILNS1_17partition_subalgoE3EjNS0_10empty_typeEbEEZZNS1_14partition_implILS8_3ELb0ES6_jNS0_17counting_iteratorIjlEEPS9_SE_NS0_5tupleIJPjSE_EEENSF_IJSE_SE_EEES9_SG_JZNS1_25segmented_radix_sort_implINS0_14default_configELb0EPKaPaPKlPlN2at6native12_GLOBAL__N_18offset_tEEE10hipError_tPvRmT1_PNSt15iterator_traitsISY_E10value_typeET2_T3_PNSZ_IS14_E10value_typeET4_jRbjT5_S1A_jjP12ihipStream_tbEUljE_EEESV_SW_SX_S14_S18_S1A_T6_T7_T9_mT8_S1C_bDpT10_ENKUlT_T0_E_clISt17integral_constantIbLb0EES1O_IbLb1EEEEDaS1K_S1L_EUlS1K_E_NS1_11comp_targetILNS1_3genE10ELNS1_11target_archE1200ELNS1_3gpuE4ELNS1_3repE0EEENS1_30default_config_static_selectorELNS0_4arch9wavefront6targetE0EEEvSY_.has_dyn_sized_stack, 0
	.set _ZN7rocprim17ROCPRIM_400000_NS6detail17trampoline_kernelINS0_13select_configILj256ELj13ELNS0_17block_load_methodE3ELS4_3ELS4_3ELNS0_20block_scan_algorithmE0ELj4294967295EEENS1_25partition_config_selectorILNS1_17partition_subalgoE3EjNS0_10empty_typeEbEEZZNS1_14partition_implILS8_3ELb0ES6_jNS0_17counting_iteratorIjlEEPS9_SE_NS0_5tupleIJPjSE_EEENSF_IJSE_SE_EEES9_SG_JZNS1_25segmented_radix_sort_implINS0_14default_configELb0EPKaPaPKlPlN2at6native12_GLOBAL__N_18offset_tEEE10hipError_tPvRmT1_PNSt15iterator_traitsISY_E10value_typeET2_T3_PNSZ_IS14_E10value_typeET4_jRbjT5_S1A_jjP12ihipStream_tbEUljE_EEESV_SW_SX_S14_S18_S1A_T6_T7_T9_mT8_S1C_bDpT10_ENKUlT_T0_E_clISt17integral_constantIbLb0EES1O_IbLb1EEEEDaS1K_S1L_EUlS1K_E_NS1_11comp_targetILNS1_3genE10ELNS1_11target_archE1200ELNS1_3gpuE4ELNS1_3repE0EEENS1_30default_config_static_selectorELNS0_4arch9wavefront6targetE0EEEvSY_.has_recursion, 0
	.set _ZN7rocprim17ROCPRIM_400000_NS6detail17trampoline_kernelINS0_13select_configILj256ELj13ELNS0_17block_load_methodE3ELS4_3ELS4_3ELNS0_20block_scan_algorithmE0ELj4294967295EEENS1_25partition_config_selectorILNS1_17partition_subalgoE3EjNS0_10empty_typeEbEEZZNS1_14partition_implILS8_3ELb0ES6_jNS0_17counting_iteratorIjlEEPS9_SE_NS0_5tupleIJPjSE_EEENSF_IJSE_SE_EEES9_SG_JZNS1_25segmented_radix_sort_implINS0_14default_configELb0EPKaPaPKlPlN2at6native12_GLOBAL__N_18offset_tEEE10hipError_tPvRmT1_PNSt15iterator_traitsISY_E10value_typeET2_T3_PNSZ_IS14_E10value_typeET4_jRbjT5_S1A_jjP12ihipStream_tbEUljE_EEESV_SW_SX_S14_S18_S1A_T6_T7_T9_mT8_S1C_bDpT10_ENKUlT_T0_E_clISt17integral_constantIbLb0EES1O_IbLb1EEEEDaS1K_S1L_EUlS1K_E_NS1_11comp_targetILNS1_3genE10ELNS1_11target_archE1200ELNS1_3gpuE4ELNS1_3repE0EEENS1_30default_config_static_selectorELNS0_4arch9wavefront6targetE0EEEvSY_.has_indirect_call, 0
	.section	.AMDGPU.csdata,"",@progbits
; Kernel info:
; codeLenInByte = 0
; TotalNumSgprs: 0
; NumVgprs: 0
; ScratchSize: 0
; MemoryBound: 0
; FloatMode: 240
; IeeeMode: 1
; LDSByteSize: 0 bytes/workgroup (compile time only)
; SGPRBlocks: 0
; VGPRBlocks: 0
; NumSGPRsForWavesPerEU: 1
; NumVGPRsForWavesPerEU: 1
; Occupancy: 16
; WaveLimiterHint : 0
; COMPUTE_PGM_RSRC2:SCRATCH_EN: 0
; COMPUTE_PGM_RSRC2:USER_SGPR: 6
; COMPUTE_PGM_RSRC2:TRAP_HANDLER: 0
; COMPUTE_PGM_RSRC2:TGID_X_EN: 1
; COMPUTE_PGM_RSRC2:TGID_Y_EN: 0
; COMPUTE_PGM_RSRC2:TGID_Z_EN: 0
; COMPUTE_PGM_RSRC2:TIDIG_COMP_CNT: 0
	.section	.text._ZN7rocprim17ROCPRIM_400000_NS6detail17trampoline_kernelINS0_13select_configILj256ELj13ELNS0_17block_load_methodE3ELS4_3ELS4_3ELNS0_20block_scan_algorithmE0ELj4294967295EEENS1_25partition_config_selectorILNS1_17partition_subalgoE3EjNS0_10empty_typeEbEEZZNS1_14partition_implILS8_3ELb0ES6_jNS0_17counting_iteratorIjlEEPS9_SE_NS0_5tupleIJPjSE_EEENSF_IJSE_SE_EEES9_SG_JZNS1_25segmented_radix_sort_implINS0_14default_configELb0EPKaPaPKlPlN2at6native12_GLOBAL__N_18offset_tEEE10hipError_tPvRmT1_PNSt15iterator_traitsISY_E10value_typeET2_T3_PNSZ_IS14_E10value_typeET4_jRbjT5_S1A_jjP12ihipStream_tbEUljE_EEESV_SW_SX_S14_S18_S1A_T6_T7_T9_mT8_S1C_bDpT10_ENKUlT_T0_E_clISt17integral_constantIbLb0EES1O_IbLb1EEEEDaS1K_S1L_EUlS1K_E_NS1_11comp_targetILNS1_3genE9ELNS1_11target_archE1100ELNS1_3gpuE3ELNS1_3repE0EEENS1_30default_config_static_selectorELNS0_4arch9wavefront6targetE0EEEvSY_,"axG",@progbits,_ZN7rocprim17ROCPRIM_400000_NS6detail17trampoline_kernelINS0_13select_configILj256ELj13ELNS0_17block_load_methodE3ELS4_3ELS4_3ELNS0_20block_scan_algorithmE0ELj4294967295EEENS1_25partition_config_selectorILNS1_17partition_subalgoE3EjNS0_10empty_typeEbEEZZNS1_14partition_implILS8_3ELb0ES6_jNS0_17counting_iteratorIjlEEPS9_SE_NS0_5tupleIJPjSE_EEENSF_IJSE_SE_EEES9_SG_JZNS1_25segmented_radix_sort_implINS0_14default_configELb0EPKaPaPKlPlN2at6native12_GLOBAL__N_18offset_tEEE10hipError_tPvRmT1_PNSt15iterator_traitsISY_E10value_typeET2_T3_PNSZ_IS14_E10value_typeET4_jRbjT5_S1A_jjP12ihipStream_tbEUljE_EEESV_SW_SX_S14_S18_S1A_T6_T7_T9_mT8_S1C_bDpT10_ENKUlT_T0_E_clISt17integral_constantIbLb0EES1O_IbLb1EEEEDaS1K_S1L_EUlS1K_E_NS1_11comp_targetILNS1_3genE9ELNS1_11target_archE1100ELNS1_3gpuE3ELNS1_3repE0EEENS1_30default_config_static_selectorELNS0_4arch9wavefront6targetE0EEEvSY_,comdat
	.globl	_ZN7rocprim17ROCPRIM_400000_NS6detail17trampoline_kernelINS0_13select_configILj256ELj13ELNS0_17block_load_methodE3ELS4_3ELS4_3ELNS0_20block_scan_algorithmE0ELj4294967295EEENS1_25partition_config_selectorILNS1_17partition_subalgoE3EjNS0_10empty_typeEbEEZZNS1_14partition_implILS8_3ELb0ES6_jNS0_17counting_iteratorIjlEEPS9_SE_NS0_5tupleIJPjSE_EEENSF_IJSE_SE_EEES9_SG_JZNS1_25segmented_radix_sort_implINS0_14default_configELb0EPKaPaPKlPlN2at6native12_GLOBAL__N_18offset_tEEE10hipError_tPvRmT1_PNSt15iterator_traitsISY_E10value_typeET2_T3_PNSZ_IS14_E10value_typeET4_jRbjT5_S1A_jjP12ihipStream_tbEUljE_EEESV_SW_SX_S14_S18_S1A_T6_T7_T9_mT8_S1C_bDpT10_ENKUlT_T0_E_clISt17integral_constantIbLb0EES1O_IbLb1EEEEDaS1K_S1L_EUlS1K_E_NS1_11comp_targetILNS1_3genE9ELNS1_11target_archE1100ELNS1_3gpuE3ELNS1_3repE0EEENS1_30default_config_static_selectorELNS0_4arch9wavefront6targetE0EEEvSY_ ; -- Begin function _ZN7rocprim17ROCPRIM_400000_NS6detail17trampoline_kernelINS0_13select_configILj256ELj13ELNS0_17block_load_methodE3ELS4_3ELS4_3ELNS0_20block_scan_algorithmE0ELj4294967295EEENS1_25partition_config_selectorILNS1_17partition_subalgoE3EjNS0_10empty_typeEbEEZZNS1_14partition_implILS8_3ELb0ES6_jNS0_17counting_iteratorIjlEEPS9_SE_NS0_5tupleIJPjSE_EEENSF_IJSE_SE_EEES9_SG_JZNS1_25segmented_radix_sort_implINS0_14default_configELb0EPKaPaPKlPlN2at6native12_GLOBAL__N_18offset_tEEE10hipError_tPvRmT1_PNSt15iterator_traitsISY_E10value_typeET2_T3_PNSZ_IS14_E10value_typeET4_jRbjT5_S1A_jjP12ihipStream_tbEUljE_EEESV_SW_SX_S14_S18_S1A_T6_T7_T9_mT8_S1C_bDpT10_ENKUlT_T0_E_clISt17integral_constantIbLb0EES1O_IbLb1EEEEDaS1K_S1L_EUlS1K_E_NS1_11comp_targetILNS1_3genE9ELNS1_11target_archE1100ELNS1_3gpuE3ELNS1_3repE0EEENS1_30default_config_static_selectorELNS0_4arch9wavefront6targetE0EEEvSY_
	.p2align	8
	.type	_ZN7rocprim17ROCPRIM_400000_NS6detail17trampoline_kernelINS0_13select_configILj256ELj13ELNS0_17block_load_methodE3ELS4_3ELS4_3ELNS0_20block_scan_algorithmE0ELj4294967295EEENS1_25partition_config_selectorILNS1_17partition_subalgoE3EjNS0_10empty_typeEbEEZZNS1_14partition_implILS8_3ELb0ES6_jNS0_17counting_iteratorIjlEEPS9_SE_NS0_5tupleIJPjSE_EEENSF_IJSE_SE_EEES9_SG_JZNS1_25segmented_radix_sort_implINS0_14default_configELb0EPKaPaPKlPlN2at6native12_GLOBAL__N_18offset_tEEE10hipError_tPvRmT1_PNSt15iterator_traitsISY_E10value_typeET2_T3_PNSZ_IS14_E10value_typeET4_jRbjT5_S1A_jjP12ihipStream_tbEUljE_EEESV_SW_SX_S14_S18_S1A_T6_T7_T9_mT8_S1C_bDpT10_ENKUlT_T0_E_clISt17integral_constantIbLb0EES1O_IbLb1EEEEDaS1K_S1L_EUlS1K_E_NS1_11comp_targetILNS1_3genE9ELNS1_11target_archE1100ELNS1_3gpuE3ELNS1_3repE0EEENS1_30default_config_static_selectorELNS0_4arch9wavefront6targetE0EEEvSY_,@function
_ZN7rocprim17ROCPRIM_400000_NS6detail17trampoline_kernelINS0_13select_configILj256ELj13ELNS0_17block_load_methodE3ELS4_3ELS4_3ELNS0_20block_scan_algorithmE0ELj4294967295EEENS1_25partition_config_selectorILNS1_17partition_subalgoE3EjNS0_10empty_typeEbEEZZNS1_14partition_implILS8_3ELb0ES6_jNS0_17counting_iteratorIjlEEPS9_SE_NS0_5tupleIJPjSE_EEENSF_IJSE_SE_EEES9_SG_JZNS1_25segmented_radix_sort_implINS0_14default_configELb0EPKaPaPKlPlN2at6native12_GLOBAL__N_18offset_tEEE10hipError_tPvRmT1_PNSt15iterator_traitsISY_E10value_typeET2_T3_PNSZ_IS14_E10value_typeET4_jRbjT5_S1A_jjP12ihipStream_tbEUljE_EEESV_SW_SX_S14_S18_S1A_T6_T7_T9_mT8_S1C_bDpT10_ENKUlT_T0_E_clISt17integral_constantIbLb0EES1O_IbLb1EEEEDaS1K_S1L_EUlS1K_E_NS1_11comp_targetILNS1_3genE9ELNS1_11target_archE1100ELNS1_3gpuE3ELNS1_3repE0EEENS1_30default_config_static_selectorELNS0_4arch9wavefront6targetE0EEEvSY_: ; @_ZN7rocprim17ROCPRIM_400000_NS6detail17trampoline_kernelINS0_13select_configILj256ELj13ELNS0_17block_load_methodE3ELS4_3ELS4_3ELNS0_20block_scan_algorithmE0ELj4294967295EEENS1_25partition_config_selectorILNS1_17partition_subalgoE3EjNS0_10empty_typeEbEEZZNS1_14partition_implILS8_3ELb0ES6_jNS0_17counting_iteratorIjlEEPS9_SE_NS0_5tupleIJPjSE_EEENSF_IJSE_SE_EEES9_SG_JZNS1_25segmented_radix_sort_implINS0_14default_configELb0EPKaPaPKlPlN2at6native12_GLOBAL__N_18offset_tEEE10hipError_tPvRmT1_PNSt15iterator_traitsISY_E10value_typeET2_T3_PNSZ_IS14_E10value_typeET4_jRbjT5_S1A_jjP12ihipStream_tbEUljE_EEESV_SW_SX_S14_S18_S1A_T6_T7_T9_mT8_S1C_bDpT10_ENKUlT_T0_E_clISt17integral_constantIbLb0EES1O_IbLb1EEEEDaS1K_S1L_EUlS1K_E_NS1_11comp_targetILNS1_3genE9ELNS1_11target_archE1100ELNS1_3gpuE3ELNS1_3repE0EEENS1_30default_config_static_selectorELNS0_4arch9wavefront6targetE0EEEvSY_
; %bb.0:
	.section	.rodata,"a",@progbits
	.p2align	6, 0x0
	.amdhsa_kernel _ZN7rocprim17ROCPRIM_400000_NS6detail17trampoline_kernelINS0_13select_configILj256ELj13ELNS0_17block_load_methodE3ELS4_3ELS4_3ELNS0_20block_scan_algorithmE0ELj4294967295EEENS1_25partition_config_selectorILNS1_17partition_subalgoE3EjNS0_10empty_typeEbEEZZNS1_14partition_implILS8_3ELb0ES6_jNS0_17counting_iteratorIjlEEPS9_SE_NS0_5tupleIJPjSE_EEENSF_IJSE_SE_EEES9_SG_JZNS1_25segmented_radix_sort_implINS0_14default_configELb0EPKaPaPKlPlN2at6native12_GLOBAL__N_18offset_tEEE10hipError_tPvRmT1_PNSt15iterator_traitsISY_E10value_typeET2_T3_PNSZ_IS14_E10value_typeET4_jRbjT5_S1A_jjP12ihipStream_tbEUljE_EEESV_SW_SX_S14_S18_S1A_T6_T7_T9_mT8_S1C_bDpT10_ENKUlT_T0_E_clISt17integral_constantIbLb0EES1O_IbLb1EEEEDaS1K_S1L_EUlS1K_E_NS1_11comp_targetILNS1_3genE9ELNS1_11target_archE1100ELNS1_3gpuE3ELNS1_3repE0EEENS1_30default_config_static_selectorELNS0_4arch9wavefront6targetE0EEEvSY_
		.amdhsa_group_segment_fixed_size 0
		.amdhsa_private_segment_fixed_size 0
		.amdhsa_kernarg_size 152
		.amdhsa_user_sgpr_count 6
		.amdhsa_user_sgpr_private_segment_buffer 1
		.amdhsa_user_sgpr_dispatch_ptr 0
		.amdhsa_user_sgpr_queue_ptr 0
		.amdhsa_user_sgpr_kernarg_segment_ptr 1
		.amdhsa_user_sgpr_dispatch_id 0
		.amdhsa_user_sgpr_flat_scratch_init 0
		.amdhsa_user_sgpr_private_segment_size 0
		.amdhsa_wavefront_size32 1
		.amdhsa_uses_dynamic_stack 0
		.amdhsa_system_sgpr_private_segment_wavefront_offset 0
		.amdhsa_system_sgpr_workgroup_id_x 1
		.amdhsa_system_sgpr_workgroup_id_y 0
		.amdhsa_system_sgpr_workgroup_id_z 0
		.amdhsa_system_sgpr_workgroup_info 0
		.amdhsa_system_vgpr_workitem_id 0
		.amdhsa_next_free_vgpr 1
		.amdhsa_next_free_sgpr 1
		.amdhsa_reserve_vcc 0
		.amdhsa_reserve_flat_scratch 0
		.amdhsa_float_round_mode_32 0
		.amdhsa_float_round_mode_16_64 0
		.amdhsa_float_denorm_mode_32 3
		.amdhsa_float_denorm_mode_16_64 3
		.amdhsa_dx10_clamp 1
		.amdhsa_ieee_mode 1
		.amdhsa_fp16_overflow 0
		.amdhsa_workgroup_processor_mode 1
		.amdhsa_memory_ordered 1
		.amdhsa_forward_progress 1
		.amdhsa_shared_vgpr_count 0
		.amdhsa_exception_fp_ieee_invalid_op 0
		.amdhsa_exception_fp_denorm_src 0
		.amdhsa_exception_fp_ieee_div_zero 0
		.amdhsa_exception_fp_ieee_overflow 0
		.amdhsa_exception_fp_ieee_underflow 0
		.amdhsa_exception_fp_ieee_inexact 0
		.amdhsa_exception_int_div_zero 0
	.end_amdhsa_kernel
	.section	.text._ZN7rocprim17ROCPRIM_400000_NS6detail17trampoline_kernelINS0_13select_configILj256ELj13ELNS0_17block_load_methodE3ELS4_3ELS4_3ELNS0_20block_scan_algorithmE0ELj4294967295EEENS1_25partition_config_selectorILNS1_17partition_subalgoE3EjNS0_10empty_typeEbEEZZNS1_14partition_implILS8_3ELb0ES6_jNS0_17counting_iteratorIjlEEPS9_SE_NS0_5tupleIJPjSE_EEENSF_IJSE_SE_EEES9_SG_JZNS1_25segmented_radix_sort_implINS0_14default_configELb0EPKaPaPKlPlN2at6native12_GLOBAL__N_18offset_tEEE10hipError_tPvRmT1_PNSt15iterator_traitsISY_E10value_typeET2_T3_PNSZ_IS14_E10value_typeET4_jRbjT5_S1A_jjP12ihipStream_tbEUljE_EEESV_SW_SX_S14_S18_S1A_T6_T7_T9_mT8_S1C_bDpT10_ENKUlT_T0_E_clISt17integral_constantIbLb0EES1O_IbLb1EEEEDaS1K_S1L_EUlS1K_E_NS1_11comp_targetILNS1_3genE9ELNS1_11target_archE1100ELNS1_3gpuE3ELNS1_3repE0EEENS1_30default_config_static_selectorELNS0_4arch9wavefront6targetE0EEEvSY_,"axG",@progbits,_ZN7rocprim17ROCPRIM_400000_NS6detail17trampoline_kernelINS0_13select_configILj256ELj13ELNS0_17block_load_methodE3ELS4_3ELS4_3ELNS0_20block_scan_algorithmE0ELj4294967295EEENS1_25partition_config_selectorILNS1_17partition_subalgoE3EjNS0_10empty_typeEbEEZZNS1_14partition_implILS8_3ELb0ES6_jNS0_17counting_iteratorIjlEEPS9_SE_NS0_5tupleIJPjSE_EEENSF_IJSE_SE_EEES9_SG_JZNS1_25segmented_radix_sort_implINS0_14default_configELb0EPKaPaPKlPlN2at6native12_GLOBAL__N_18offset_tEEE10hipError_tPvRmT1_PNSt15iterator_traitsISY_E10value_typeET2_T3_PNSZ_IS14_E10value_typeET4_jRbjT5_S1A_jjP12ihipStream_tbEUljE_EEESV_SW_SX_S14_S18_S1A_T6_T7_T9_mT8_S1C_bDpT10_ENKUlT_T0_E_clISt17integral_constantIbLb0EES1O_IbLb1EEEEDaS1K_S1L_EUlS1K_E_NS1_11comp_targetILNS1_3genE9ELNS1_11target_archE1100ELNS1_3gpuE3ELNS1_3repE0EEENS1_30default_config_static_selectorELNS0_4arch9wavefront6targetE0EEEvSY_,comdat
.Lfunc_end388:
	.size	_ZN7rocprim17ROCPRIM_400000_NS6detail17trampoline_kernelINS0_13select_configILj256ELj13ELNS0_17block_load_methodE3ELS4_3ELS4_3ELNS0_20block_scan_algorithmE0ELj4294967295EEENS1_25partition_config_selectorILNS1_17partition_subalgoE3EjNS0_10empty_typeEbEEZZNS1_14partition_implILS8_3ELb0ES6_jNS0_17counting_iteratorIjlEEPS9_SE_NS0_5tupleIJPjSE_EEENSF_IJSE_SE_EEES9_SG_JZNS1_25segmented_radix_sort_implINS0_14default_configELb0EPKaPaPKlPlN2at6native12_GLOBAL__N_18offset_tEEE10hipError_tPvRmT1_PNSt15iterator_traitsISY_E10value_typeET2_T3_PNSZ_IS14_E10value_typeET4_jRbjT5_S1A_jjP12ihipStream_tbEUljE_EEESV_SW_SX_S14_S18_S1A_T6_T7_T9_mT8_S1C_bDpT10_ENKUlT_T0_E_clISt17integral_constantIbLb0EES1O_IbLb1EEEEDaS1K_S1L_EUlS1K_E_NS1_11comp_targetILNS1_3genE9ELNS1_11target_archE1100ELNS1_3gpuE3ELNS1_3repE0EEENS1_30default_config_static_selectorELNS0_4arch9wavefront6targetE0EEEvSY_, .Lfunc_end388-_ZN7rocprim17ROCPRIM_400000_NS6detail17trampoline_kernelINS0_13select_configILj256ELj13ELNS0_17block_load_methodE3ELS4_3ELS4_3ELNS0_20block_scan_algorithmE0ELj4294967295EEENS1_25partition_config_selectorILNS1_17partition_subalgoE3EjNS0_10empty_typeEbEEZZNS1_14partition_implILS8_3ELb0ES6_jNS0_17counting_iteratorIjlEEPS9_SE_NS0_5tupleIJPjSE_EEENSF_IJSE_SE_EEES9_SG_JZNS1_25segmented_radix_sort_implINS0_14default_configELb0EPKaPaPKlPlN2at6native12_GLOBAL__N_18offset_tEEE10hipError_tPvRmT1_PNSt15iterator_traitsISY_E10value_typeET2_T3_PNSZ_IS14_E10value_typeET4_jRbjT5_S1A_jjP12ihipStream_tbEUljE_EEESV_SW_SX_S14_S18_S1A_T6_T7_T9_mT8_S1C_bDpT10_ENKUlT_T0_E_clISt17integral_constantIbLb0EES1O_IbLb1EEEEDaS1K_S1L_EUlS1K_E_NS1_11comp_targetILNS1_3genE9ELNS1_11target_archE1100ELNS1_3gpuE3ELNS1_3repE0EEENS1_30default_config_static_selectorELNS0_4arch9wavefront6targetE0EEEvSY_
                                        ; -- End function
	.set _ZN7rocprim17ROCPRIM_400000_NS6detail17trampoline_kernelINS0_13select_configILj256ELj13ELNS0_17block_load_methodE3ELS4_3ELS4_3ELNS0_20block_scan_algorithmE0ELj4294967295EEENS1_25partition_config_selectorILNS1_17partition_subalgoE3EjNS0_10empty_typeEbEEZZNS1_14partition_implILS8_3ELb0ES6_jNS0_17counting_iteratorIjlEEPS9_SE_NS0_5tupleIJPjSE_EEENSF_IJSE_SE_EEES9_SG_JZNS1_25segmented_radix_sort_implINS0_14default_configELb0EPKaPaPKlPlN2at6native12_GLOBAL__N_18offset_tEEE10hipError_tPvRmT1_PNSt15iterator_traitsISY_E10value_typeET2_T3_PNSZ_IS14_E10value_typeET4_jRbjT5_S1A_jjP12ihipStream_tbEUljE_EEESV_SW_SX_S14_S18_S1A_T6_T7_T9_mT8_S1C_bDpT10_ENKUlT_T0_E_clISt17integral_constantIbLb0EES1O_IbLb1EEEEDaS1K_S1L_EUlS1K_E_NS1_11comp_targetILNS1_3genE9ELNS1_11target_archE1100ELNS1_3gpuE3ELNS1_3repE0EEENS1_30default_config_static_selectorELNS0_4arch9wavefront6targetE0EEEvSY_.num_vgpr, 0
	.set _ZN7rocprim17ROCPRIM_400000_NS6detail17trampoline_kernelINS0_13select_configILj256ELj13ELNS0_17block_load_methodE3ELS4_3ELS4_3ELNS0_20block_scan_algorithmE0ELj4294967295EEENS1_25partition_config_selectorILNS1_17partition_subalgoE3EjNS0_10empty_typeEbEEZZNS1_14partition_implILS8_3ELb0ES6_jNS0_17counting_iteratorIjlEEPS9_SE_NS0_5tupleIJPjSE_EEENSF_IJSE_SE_EEES9_SG_JZNS1_25segmented_radix_sort_implINS0_14default_configELb0EPKaPaPKlPlN2at6native12_GLOBAL__N_18offset_tEEE10hipError_tPvRmT1_PNSt15iterator_traitsISY_E10value_typeET2_T3_PNSZ_IS14_E10value_typeET4_jRbjT5_S1A_jjP12ihipStream_tbEUljE_EEESV_SW_SX_S14_S18_S1A_T6_T7_T9_mT8_S1C_bDpT10_ENKUlT_T0_E_clISt17integral_constantIbLb0EES1O_IbLb1EEEEDaS1K_S1L_EUlS1K_E_NS1_11comp_targetILNS1_3genE9ELNS1_11target_archE1100ELNS1_3gpuE3ELNS1_3repE0EEENS1_30default_config_static_selectorELNS0_4arch9wavefront6targetE0EEEvSY_.num_agpr, 0
	.set _ZN7rocprim17ROCPRIM_400000_NS6detail17trampoline_kernelINS0_13select_configILj256ELj13ELNS0_17block_load_methodE3ELS4_3ELS4_3ELNS0_20block_scan_algorithmE0ELj4294967295EEENS1_25partition_config_selectorILNS1_17partition_subalgoE3EjNS0_10empty_typeEbEEZZNS1_14partition_implILS8_3ELb0ES6_jNS0_17counting_iteratorIjlEEPS9_SE_NS0_5tupleIJPjSE_EEENSF_IJSE_SE_EEES9_SG_JZNS1_25segmented_radix_sort_implINS0_14default_configELb0EPKaPaPKlPlN2at6native12_GLOBAL__N_18offset_tEEE10hipError_tPvRmT1_PNSt15iterator_traitsISY_E10value_typeET2_T3_PNSZ_IS14_E10value_typeET4_jRbjT5_S1A_jjP12ihipStream_tbEUljE_EEESV_SW_SX_S14_S18_S1A_T6_T7_T9_mT8_S1C_bDpT10_ENKUlT_T0_E_clISt17integral_constantIbLb0EES1O_IbLb1EEEEDaS1K_S1L_EUlS1K_E_NS1_11comp_targetILNS1_3genE9ELNS1_11target_archE1100ELNS1_3gpuE3ELNS1_3repE0EEENS1_30default_config_static_selectorELNS0_4arch9wavefront6targetE0EEEvSY_.numbered_sgpr, 0
	.set _ZN7rocprim17ROCPRIM_400000_NS6detail17trampoline_kernelINS0_13select_configILj256ELj13ELNS0_17block_load_methodE3ELS4_3ELS4_3ELNS0_20block_scan_algorithmE0ELj4294967295EEENS1_25partition_config_selectorILNS1_17partition_subalgoE3EjNS0_10empty_typeEbEEZZNS1_14partition_implILS8_3ELb0ES6_jNS0_17counting_iteratorIjlEEPS9_SE_NS0_5tupleIJPjSE_EEENSF_IJSE_SE_EEES9_SG_JZNS1_25segmented_radix_sort_implINS0_14default_configELb0EPKaPaPKlPlN2at6native12_GLOBAL__N_18offset_tEEE10hipError_tPvRmT1_PNSt15iterator_traitsISY_E10value_typeET2_T3_PNSZ_IS14_E10value_typeET4_jRbjT5_S1A_jjP12ihipStream_tbEUljE_EEESV_SW_SX_S14_S18_S1A_T6_T7_T9_mT8_S1C_bDpT10_ENKUlT_T0_E_clISt17integral_constantIbLb0EES1O_IbLb1EEEEDaS1K_S1L_EUlS1K_E_NS1_11comp_targetILNS1_3genE9ELNS1_11target_archE1100ELNS1_3gpuE3ELNS1_3repE0EEENS1_30default_config_static_selectorELNS0_4arch9wavefront6targetE0EEEvSY_.num_named_barrier, 0
	.set _ZN7rocprim17ROCPRIM_400000_NS6detail17trampoline_kernelINS0_13select_configILj256ELj13ELNS0_17block_load_methodE3ELS4_3ELS4_3ELNS0_20block_scan_algorithmE0ELj4294967295EEENS1_25partition_config_selectorILNS1_17partition_subalgoE3EjNS0_10empty_typeEbEEZZNS1_14partition_implILS8_3ELb0ES6_jNS0_17counting_iteratorIjlEEPS9_SE_NS0_5tupleIJPjSE_EEENSF_IJSE_SE_EEES9_SG_JZNS1_25segmented_radix_sort_implINS0_14default_configELb0EPKaPaPKlPlN2at6native12_GLOBAL__N_18offset_tEEE10hipError_tPvRmT1_PNSt15iterator_traitsISY_E10value_typeET2_T3_PNSZ_IS14_E10value_typeET4_jRbjT5_S1A_jjP12ihipStream_tbEUljE_EEESV_SW_SX_S14_S18_S1A_T6_T7_T9_mT8_S1C_bDpT10_ENKUlT_T0_E_clISt17integral_constantIbLb0EES1O_IbLb1EEEEDaS1K_S1L_EUlS1K_E_NS1_11comp_targetILNS1_3genE9ELNS1_11target_archE1100ELNS1_3gpuE3ELNS1_3repE0EEENS1_30default_config_static_selectorELNS0_4arch9wavefront6targetE0EEEvSY_.private_seg_size, 0
	.set _ZN7rocprim17ROCPRIM_400000_NS6detail17trampoline_kernelINS0_13select_configILj256ELj13ELNS0_17block_load_methodE3ELS4_3ELS4_3ELNS0_20block_scan_algorithmE0ELj4294967295EEENS1_25partition_config_selectorILNS1_17partition_subalgoE3EjNS0_10empty_typeEbEEZZNS1_14partition_implILS8_3ELb0ES6_jNS0_17counting_iteratorIjlEEPS9_SE_NS0_5tupleIJPjSE_EEENSF_IJSE_SE_EEES9_SG_JZNS1_25segmented_radix_sort_implINS0_14default_configELb0EPKaPaPKlPlN2at6native12_GLOBAL__N_18offset_tEEE10hipError_tPvRmT1_PNSt15iterator_traitsISY_E10value_typeET2_T3_PNSZ_IS14_E10value_typeET4_jRbjT5_S1A_jjP12ihipStream_tbEUljE_EEESV_SW_SX_S14_S18_S1A_T6_T7_T9_mT8_S1C_bDpT10_ENKUlT_T0_E_clISt17integral_constantIbLb0EES1O_IbLb1EEEEDaS1K_S1L_EUlS1K_E_NS1_11comp_targetILNS1_3genE9ELNS1_11target_archE1100ELNS1_3gpuE3ELNS1_3repE0EEENS1_30default_config_static_selectorELNS0_4arch9wavefront6targetE0EEEvSY_.uses_vcc, 0
	.set _ZN7rocprim17ROCPRIM_400000_NS6detail17trampoline_kernelINS0_13select_configILj256ELj13ELNS0_17block_load_methodE3ELS4_3ELS4_3ELNS0_20block_scan_algorithmE0ELj4294967295EEENS1_25partition_config_selectorILNS1_17partition_subalgoE3EjNS0_10empty_typeEbEEZZNS1_14partition_implILS8_3ELb0ES6_jNS0_17counting_iteratorIjlEEPS9_SE_NS0_5tupleIJPjSE_EEENSF_IJSE_SE_EEES9_SG_JZNS1_25segmented_radix_sort_implINS0_14default_configELb0EPKaPaPKlPlN2at6native12_GLOBAL__N_18offset_tEEE10hipError_tPvRmT1_PNSt15iterator_traitsISY_E10value_typeET2_T3_PNSZ_IS14_E10value_typeET4_jRbjT5_S1A_jjP12ihipStream_tbEUljE_EEESV_SW_SX_S14_S18_S1A_T6_T7_T9_mT8_S1C_bDpT10_ENKUlT_T0_E_clISt17integral_constantIbLb0EES1O_IbLb1EEEEDaS1K_S1L_EUlS1K_E_NS1_11comp_targetILNS1_3genE9ELNS1_11target_archE1100ELNS1_3gpuE3ELNS1_3repE0EEENS1_30default_config_static_selectorELNS0_4arch9wavefront6targetE0EEEvSY_.uses_flat_scratch, 0
	.set _ZN7rocprim17ROCPRIM_400000_NS6detail17trampoline_kernelINS0_13select_configILj256ELj13ELNS0_17block_load_methodE3ELS4_3ELS4_3ELNS0_20block_scan_algorithmE0ELj4294967295EEENS1_25partition_config_selectorILNS1_17partition_subalgoE3EjNS0_10empty_typeEbEEZZNS1_14partition_implILS8_3ELb0ES6_jNS0_17counting_iteratorIjlEEPS9_SE_NS0_5tupleIJPjSE_EEENSF_IJSE_SE_EEES9_SG_JZNS1_25segmented_radix_sort_implINS0_14default_configELb0EPKaPaPKlPlN2at6native12_GLOBAL__N_18offset_tEEE10hipError_tPvRmT1_PNSt15iterator_traitsISY_E10value_typeET2_T3_PNSZ_IS14_E10value_typeET4_jRbjT5_S1A_jjP12ihipStream_tbEUljE_EEESV_SW_SX_S14_S18_S1A_T6_T7_T9_mT8_S1C_bDpT10_ENKUlT_T0_E_clISt17integral_constantIbLb0EES1O_IbLb1EEEEDaS1K_S1L_EUlS1K_E_NS1_11comp_targetILNS1_3genE9ELNS1_11target_archE1100ELNS1_3gpuE3ELNS1_3repE0EEENS1_30default_config_static_selectorELNS0_4arch9wavefront6targetE0EEEvSY_.has_dyn_sized_stack, 0
	.set _ZN7rocprim17ROCPRIM_400000_NS6detail17trampoline_kernelINS0_13select_configILj256ELj13ELNS0_17block_load_methodE3ELS4_3ELS4_3ELNS0_20block_scan_algorithmE0ELj4294967295EEENS1_25partition_config_selectorILNS1_17partition_subalgoE3EjNS0_10empty_typeEbEEZZNS1_14partition_implILS8_3ELb0ES6_jNS0_17counting_iteratorIjlEEPS9_SE_NS0_5tupleIJPjSE_EEENSF_IJSE_SE_EEES9_SG_JZNS1_25segmented_radix_sort_implINS0_14default_configELb0EPKaPaPKlPlN2at6native12_GLOBAL__N_18offset_tEEE10hipError_tPvRmT1_PNSt15iterator_traitsISY_E10value_typeET2_T3_PNSZ_IS14_E10value_typeET4_jRbjT5_S1A_jjP12ihipStream_tbEUljE_EEESV_SW_SX_S14_S18_S1A_T6_T7_T9_mT8_S1C_bDpT10_ENKUlT_T0_E_clISt17integral_constantIbLb0EES1O_IbLb1EEEEDaS1K_S1L_EUlS1K_E_NS1_11comp_targetILNS1_3genE9ELNS1_11target_archE1100ELNS1_3gpuE3ELNS1_3repE0EEENS1_30default_config_static_selectorELNS0_4arch9wavefront6targetE0EEEvSY_.has_recursion, 0
	.set _ZN7rocprim17ROCPRIM_400000_NS6detail17trampoline_kernelINS0_13select_configILj256ELj13ELNS0_17block_load_methodE3ELS4_3ELS4_3ELNS0_20block_scan_algorithmE0ELj4294967295EEENS1_25partition_config_selectorILNS1_17partition_subalgoE3EjNS0_10empty_typeEbEEZZNS1_14partition_implILS8_3ELb0ES6_jNS0_17counting_iteratorIjlEEPS9_SE_NS0_5tupleIJPjSE_EEENSF_IJSE_SE_EEES9_SG_JZNS1_25segmented_radix_sort_implINS0_14default_configELb0EPKaPaPKlPlN2at6native12_GLOBAL__N_18offset_tEEE10hipError_tPvRmT1_PNSt15iterator_traitsISY_E10value_typeET2_T3_PNSZ_IS14_E10value_typeET4_jRbjT5_S1A_jjP12ihipStream_tbEUljE_EEESV_SW_SX_S14_S18_S1A_T6_T7_T9_mT8_S1C_bDpT10_ENKUlT_T0_E_clISt17integral_constantIbLb0EES1O_IbLb1EEEEDaS1K_S1L_EUlS1K_E_NS1_11comp_targetILNS1_3genE9ELNS1_11target_archE1100ELNS1_3gpuE3ELNS1_3repE0EEENS1_30default_config_static_selectorELNS0_4arch9wavefront6targetE0EEEvSY_.has_indirect_call, 0
	.section	.AMDGPU.csdata,"",@progbits
; Kernel info:
; codeLenInByte = 0
; TotalNumSgprs: 0
; NumVgprs: 0
; ScratchSize: 0
; MemoryBound: 0
; FloatMode: 240
; IeeeMode: 1
; LDSByteSize: 0 bytes/workgroup (compile time only)
; SGPRBlocks: 0
; VGPRBlocks: 0
; NumSGPRsForWavesPerEU: 1
; NumVGPRsForWavesPerEU: 1
; Occupancy: 16
; WaveLimiterHint : 0
; COMPUTE_PGM_RSRC2:SCRATCH_EN: 0
; COMPUTE_PGM_RSRC2:USER_SGPR: 6
; COMPUTE_PGM_RSRC2:TRAP_HANDLER: 0
; COMPUTE_PGM_RSRC2:TGID_X_EN: 1
; COMPUTE_PGM_RSRC2:TGID_Y_EN: 0
; COMPUTE_PGM_RSRC2:TGID_Z_EN: 0
; COMPUTE_PGM_RSRC2:TIDIG_COMP_CNT: 0
	.section	.text._ZN7rocprim17ROCPRIM_400000_NS6detail17trampoline_kernelINS0_13select_configILj256ELj13ELNS0_17block_load_methodE3ELS4_3ELS4_3ELNS0_20block_scan_algorithmE0ELj4294967295EEENS1_25partition_config_selectorILNS1_17partition_subalgoE3EjNS0_10empty_typeEbEEZZNS1_14partition_implILS8_3ELb0ES6_jNS0_17counting_iteratorIjlEEPS9_SE_NS0_5tupleIJPjSE_EEENSF_IJSE_SE_EEES9_SG_JZNS1_25segmented_radix_sort_implINS0_14default_configELb0EPKaPaPKlPlN2at6native12_GLOBAL__N_18offset_tEEE10hipError_tPvRmT1_PNSt15iterator_traitsISY_E10value_typeET2_T3_PNSZ_IS14_E10value_typeET4_jRbjT5_S1A_jjP12ihipStream_tbEUljE_EEESV_SW_SX_S14_S18_S1A_T6_T7_T9_mT8_S1C_bDpT10_ENKUlT_T0_E_clISt17integral_constantIbLb0EES1O_IbLb1EEEEDaS1K_S1L_EUlS1K_E_NS1_11comp_targetILNS1_3genE8ELNS1_11target_archE1030ELNS1_3gpuE2ELNS1_3repE0EEENS1_30default_config_static_selectorELNS0_4arch9wavefront6targetE0EEEvSY_,"axG",@progbits,_ZN7rocprim17ROCPRIM_400000_NS6detail17trampoline_kernelINS0_13select_configILj256ELj13ELNS0_17block_load_methodE3ELS4_3ELS4_3ELNS0_20block_scan_algorithmE0ELj4294967295EEENS1_25partition_config_selectorILNS1_17partition_subalgoE3EjNS0_10empty_typeEbEEZZNS1_14partition_implILS8_3ELb0ES6_jNS0_17counting_iteratorIjlEEPS9_SE_NS0_5tupleIJPjSE_EEENSF_IJSE_SE_EEES9_SG_JZNS1_25segmented_radix_sort_implINS0_14default_configELb0EPKaPaPKlPlN2at6native12_GLOBAL__N_18offset_tEEE10hipError_tPvRmT1_PNSt15iterator_traitsISY_E10value_typeET2_T3_PNSZ_IS14_E10value_typeET4_jRbjT5_S1A_jjP12ihipStream_tbEUljE_EEESV_SW_SX_S14_S18_S1A_T6_T7_T9_mT8_S1C_bDpT10_ENKUlT_T0_E_clISt17integral_constantIbLb0EES1O_IbLb1EEEEDaS1K_S1L_EUlS1K_E_NS1_11comp_targetILNS1_3genE8ELNS1_11target_archE1030ELNS1_3gpuE2ELNS1_3repE0EEENS1_30default_config_static_selectorELNS0_4arch9wavefront6targetE0EEEvSY_,comdat
	.globl	_ZN7rocprim17ROCPRIM_400000_NS6detail17trampoline_kernelINS0_13select_configILj256ELj13ELNS0_17block_load_methodE3ELS4_3ELS4_3ELNS0_20block_scan_algorithmE0ELj4294967295EEENS1_25partition_config_selectorILNS1_17partition_subalgoE3EjNS0_10empty_typeEbEEZZNS1_14partition_implILS8_3ELb0ES6_jNS0_17counting_iteratorIjlEEPS9_SE_NS0_5tupleIJPjSE_EEENSF_IJSE_SE_EEES9_SG_JZNS1_25segmented_radix_sort_implINS0_14default_configELb0EPKaPaPKlPlN2at6native12_GLOBAL__N_18offset_tEEE10hipError_tPvRmT1_PNSt15iterator_traitsISY_E10value_typeET2_T3_PNSZ_IS14_E10value_typeET4_jRbjT5_S1A_jjP12ihipStream_tbEUljE_EEESV_SW_SX_S14_S18_S1A_T6_T7_T9_mT8_S1C_bDpT10_ENKUlT_T0_E_clISt17integral_constantIbLb0EES1O_IbLb1EEEEDaS1K_S1L_EUlS1K_E_NS1_11comp_targetILNS1_3genE8ELNS1_11target_archE1030ELNS1_3gpuE2ELNS1_3repE0EEENS1_30default_config_static_selectorELNS0_4arch9wavefront6targetE0EEEvSY_ ; -- Begin function _ZN7rocprim17ROCPRIM_400000_NS6detail17trampoline_kernelINS0_13select_configILj256ELj13ELNS0_17block_load_methodE3ELS4_3ELS4_3ELNS0_20block_scan_algorithmE0ELj4294967295EEENS1_25partition_config_selectorILNS1_17partition_subalgoE3EjNS0_10empty_typeEbEEZZNS1_14partition_implILS8_3ELb0ES6_jNS0_17counting_iteratorIjlEEPS9_SE_NS0_5tupleIJPjSE_EEENSF_IJSE_SE_EEES9_SG_JZNS1_25segmented_radix_sort_implINS0_14default_configELb0EPKaPaPKlPlN2at6native12_GLOBAL__N_18offset_tEEE10hipError_tPvRmT1_PNSt15iterator_traitsISY_E10value_typeET2_T3_PNSZ_IS14_E10value_typeET4_jRbjT5_S1A_jjP12ihipStream_tbEUljE_EEESV_SW_SX_S14_S18_S1A_T6_T7_T9_mT8_S1C_bDpT10_ENKUlT_T0_E_clISt17integral_constantIbLb0EES1O_IbLb1EEEEDaS1K_S1L_EUlS1K_E_NS1_11comp_targetILNS1_3genE8ELNS1_11target_archE1030ELNS1_3gpuE2ELNS1_3repE0EEENS1_30default_config_static_selectorELNS0_4arch9wavefront6targetE0EEEvSY_
	.p2align	8
	.type	_ZN7rocprim17ROCPRIM_400000_NS6detail17trampoline_kernelINS0_13select_configILj256ELj13ELNS0_17block_load_methodE3ELS4_3ELS4_3ELNS0_20block_scan_algorithmE0ELj4294967295EEENS1_25partition_config_selectorILNS1_17partition_subalgoE3EjNS0_10empty_typeEbEEZZNS1_14partition_implILS8_3ELb0ES6_jNS0_17counting_iteratorIjlEEPS9_SE_NS0_5tupleIJPjSE_EEENSF_IJSE_SE_EEES9_SG_JZNS1_25segmented_radix_sort_implINS0_14default_configELb0EPKaPaPKlPlN2at6native12_GLOBAL__N_18offset_tEEE10hipError_tPvRmT1_PNSt15iterator_traitsISY_E10value_typeET2_T3_PNSZ_IS14_E10value_typeET4_jRbjT5_S1A_jjP12ihipStream_tbEUljE_EEESV_SW_SX_S14_S18_S1A_T6_T7_T9_mT8_S1C_bDpT10_ENKUlT_T0_E_clISt17integral_constantIbLb0EES1O_IbLb1EEEEDaS1K_S1L_EUlS1K_E_NS1_11comp_targetILNS1_3genE8ELNS1_11target_archE1030ELNS1_3gpuE2ELNS1_3repE0EEENS1_30default_config_static_selectorELNS0_4arch9wavefront6targetE0EEEvSY_,@function
_ZN7rocprim17ROCPRIM_400000_NS6detail17trampoline_kernelINS0_13select_configILj256ELj13ELNS0_17block_load_methodE3ELS4_3ELS4_3ELNS0_20block_scan_algorithmE0ELj4294967295EEENS1_25partition_config_selectorILNS1_17partition_subalgoE3EjNS0_10empty_typeEbEEZZNS1_14partition_implILS8_3ELb0ES6_jNS0_17counting_iteratorIjlEEPS9_SE_NS0_5tupleIJPjSE_EEENSF_IJSE_SE_EEES9_SG_JZNS1_25segmented_radix_sort_implINS0_14default_configELb0EPKaPaPKlPlN2at6native12_GLOBAL__N_18offset_tEEE10hipError_tPvRmT1_PNSt15iterator_traitsISY_E10value_typeET2_T3_PNSZ_IS14_E10value_typeET4_jRbjT5_S1A_jjP12ihipStream_tbEUljE_EEESV_SW_SX_S14_S18_S1A_T6_T7_T9_mT8_S1C_bDpT10_ENKUlT_T0_E_clISt17integral_constantIbLb0EES1O_IbLb1EEEEDaS1K_S1L_EUlS1K_E_NS1_11comp_targetILNS1_3genE8ELNS1_11target_archE1030ELNS1_3gpuE2ELNS1_3repE0EEENS1_30default_config_static_selectorELNS0_4arch9wavefront6targetE0EEEvSY_: ; @_ZN7rocprim17ROCPRIM_400000_NS6detail17trampoline_kernelINS0_13select_configILj256ELj13ELNS0_17block_load_methodE3ELS4_3ELS4_3ELNS0_20block_scan_algorithmE0ELj4294967295EEENS1_25partition_config_selectorILNS1_17partition_subalgoE3EjNS0_10empty_typeEbEEZZNS1_14partition_implILS8_3ELb0ES6_jNS0_17counting_iteratorIjlEEPS9_SE_NS0_5tupleIJPjSE_EEENSF_IJSE_SE_EEES9_SG_JZNS1_25segmented_radix_sort_implINS0_14default_configELb0EPKaPaPKlPlN2at6native12_GLOBAL__N_18offset_tEEE10hipError_tPvRmT1_PNSt15iterator_traitsISY_E10value_typeET2_T3_PNSZ_IS14_E10value_typeET4_jRbjT5_S1A_jjP12ihipStream_tbEUljE_EEESV_SW_SX_S14_S18_S1A_T6_T7_T9_mT8_S1C_bDpT10_ENKUlT_T0_E_clISt17integral_constantIbLb0EES1O_IbLb1EEEEDaS1K_S1L_EUlS1K_E_NS1_11comp_targetILNS1_3genE8ELNS1_11target_archE1030ELNS1_3gpuE2ELNS1_3repE0EEENS1_30default_config_static_selectorELNS0_4arch9wavefront6targetE0EEEvSY_
; %bb.0:
	s_clause 0x6
	s_load_dwordx2 s[18:19], s[4:5], 0x10
	s_load_dwordx2 s[16:17], s[4:5], 0x28
	s_load_dwordx2 s[20:21], s[4:5], 0x58
	s_load_dwordx4 s[12:15], s[4:5], 0x48
	s_load_dword s2, s[4:5], 0x90
	s_load_dwordx2 s[22:23], s[4:5], 0x68
	s_load_dwordx4 s[8:11], s[4:5], 0x80
	v_cmp_eq_u32_e64 s0, 0, v0
	s_and_saveexec_b32 s1, s0
	s_cbranch_execz .LBB389_4
; %bb.1:
	s_mov_b32 s6, exec_lo
	s_mov_b32 s3, exec_lo
	v_mbcnt_lo_u32_b32 v1, s6, 0
                                        ; implicit-def: $vgpr2
	v_cmpx_eq_u32_e32 0, v1
	s_cbranch_execz .LBB389_3
; %bb.2:
	s_load_dwordx2 s[24:25], s[4:5], 0x78
	s_bcnt1_i32_b32 s6, s6
	v_mov_b32_e32 v2, 0
	v_mov_b32_e32 v3, s6
	s_waitcnt lgkmcnt(0)
	global_atomic_add v2, v2, v3, s[24:25] glc
.LBB389_3:
	s_or_b32 exec_lo, exec_lo, s3
	s_waitcnt vmcnt(0)
	v_readfirstlane_b32 s3, v2
	v_mov_b32_e32 v2, 0
	v_add_nc_u32_e32 v1, s3, v1
	ds_write_b32 v2, v1
.LBB389_4:
	s_or_b32 exec_lo, exec_lo, s1
	v_mov_b32_e32 v1, 0
	s_clause 0x1
	s_load_dword s3, s[4:5], 0x8
	s_load_dword s1, s[4:5], 0x70
	s_waitcnt lgkmcnt(0)
	s_barrier
	buffer_gl0_inv
	ds_read_b32 v2, v1
	s_waitcnt lgkmcnt(0)
	s_barrier
	buffer_gl0_inv
	global_load_dwordx2 v[18:19], v1, s[14:15]
	v_lshlrev_b32_e32 v44, 2, v0
	s_add_i32 s4, s3, s18
	s_mul_i32 s5, s1, 0xd00
	s_add_i32 s1, s1, -1
	s_add_i32 s3, s5, s18
	s_sub_i32 s15, s20, s3
	v_readfirstlane_b32 s25, v2
	s_addk_i32 s15, 0xd00
	s_add_u32 s6, s18, s5
	s_addc_u32 s7, s19, 0
	v_cmp_ne_u32_e32 vcc_lo, s1, v2
	v_cmp_gt_u64_e64 s3, s[20:21], s[6:7]
	s_cmp_eq_u32 s25, s1
	s_mul_i32 s24, s25, 0xd00
	s_cselect_b32 s14, -1, 0
	s_mov_b32 s5, -1
	s_or_b32 s3, s3, vcc_lo
	s_and_b32 vcc_lo, exec_lo, s3
	s_cbranch_vccz .LBB389_6
; %bb.5:
	v_add3_u32 v1, s24, s4, v0
	s_mov_b32 s5, 0
	v_add_nc_u32_e32 v2, 0x100, v1
	v_add_nc_u32_e32 v3, 0x200, v1
	;; [unrolled: 1-line block ×12, first 2 shown]
	ds_write2st64_b32 v44, v1, v2 offset1:4
	ds_write2st64_b32 v44, v3, v4 offset0:8 offset1:12
	ds_write2st64_b32 v44, v5, v6 offset0:16 offset1:20
	;; [unrolled: 1-line block ×5, first 2 shown]
	ds_write_b32 v44, v13 offset:12288
	s_waitcnt vmcnt(0) lgkmcnt(0)
	s_barrier
.LBB389_6:
	v_cmp_gt_u32_e64 s1, s15, v0
	v_or_b32_e32 v43, 0x100, v0
	v_or_b32_e32 v42, 0x200, v0
	v_or_b32_e32 v41, 0x300, v0
	v_or_b32_e32 v40, 0x400, v0
	v_or_b32_e32 v39, 0x500, v0
	v_or_b32_e32 v38, 0x600, v0
	v_or_b32_e32 v37, 0x700, v0
	v_or_b32_e32 v36, 0x800, v0
	v_or_b32_e32 v35, 0x900, v0
	v_or_b32_e32 v34, 0xa00, v0
	v_or_b32_e32 v33, 0xb00, v0
	v_or_b32_e32 v32, 0xc00, v0
	s_andn2_b32 vcc_lo, exec_lo, s5
	s_cbranch_vccnz .LBB389_8
; %bb.7:
	s_add_i32 s4, s24, s4
	v_cmp_gt_u32_e32 vcc_lo, s15, v43
	v_add_nc_u32_e32 v2, s4, v43
	v_add_nc_u32_e32 v3, s4, v42
	;; [unrolled: 1-line block ×5, first 2 shown]
	v_cndmask_b32_e32 v2, 0, v2, vcc_lo
	v_cmp_gt_u32_e32 vcc_lo, s15, v42
	v_add_nc_u32_e32 v7, s4, v38
	v_add_nc_u32_e32 v8, s4, v37
	;; [unrolled: 1-line block ×4, first 2 shown]
	v_cndmask_b32_e32 v3, 0, v3, vcc_lo
	v_cmp_gt_u32_e32 vcc_lo, s15, v41
	v_add_nc_u32_e32 v11, s4, v34
	v_add_nc_u32_e32 v1, s4, v0
	;; [unrolled: 1-line block ×4, first 2 shown]
	v_cndmask_b32_e32 v4, 0, v4, vcc_lo
	v_cmp_gt_u32_e32 vcc_lo, s15, v40
	v_cndmask_b32_e64 v1, 0, v1, s1
	v_cndmask_b32_e32 v5, 0, v5, vcc_lo
	v_cmp_gt_u32_e32 vcc_lo, s15, v39
	v_cndmask_b32_e32 v6, 0, v6, vcc_lo
	v_cmp_gt_u32_e32 vcc_lo, s15, v38
	;; [unrolled: 2-line block ×8, first 2 shown]
	v_cndmask_b32_e32 v13, 0, v13, vcc_lo
	ds_write2st64_b32 v44, v1, v2 offset1:4
	ds_write2st64_b32 v44, v3, v4 offset0:8 offset1:12
	ds_write2st64_b32 v44, v5, v6 offset0:16 offset1:20
	;; [unrolled: 1-line block ×5, first 2 shown]
	ds_write_b32 v44, v13 offset:12288
	s_waitcnt vmcnt(0) lgkmcnt(0)
	s_barrier
.LBB389_8:
	v_mul_u32_u24_e32 v47, 13, v0
	s_waitcnt vmcnt(0)
	buffer_gl0_inv
	v_cndmask_b32_e64 v45, 0, 1, s3
	s_andn2_b32 vcc_lo, exec_lo, s3
	v_lshlrev_b32_e32 v1, 2, v47
	ds_read2_b32 v[28:29], v1 offset0:2 offset1:3
	ds_read2_b32 v[24:25], v1 offset0:6 offset1:7
	;; [unrolled: 1-line block ×3, first 2 shown]
	ds_read2_b32 v[30:31], v1 offset1:1
	ds_read2_b32 v[20:21], v1 offset0:10 offset1:11
	ds_read_b32 v46, v1 offset:48
	ds_read2_b32 v[22:23], v1 offset0:8 offset1:9
	s_waitcnt lgkmcnt(0)
	s_barrier
	buffer_gl0_inv
	s_cbranch_vccnz .LBB389_10
; %bb.9:
	v_add_nc_u32_e32 v1, s9, v29
	v_add_nc_u32_e32 v4, s9, v28
	;; [unrolled: 1-line block ×6, first 2 shown]
	v_mul_lo_u32 v4, v4, s8
	v_mul_lo_u32 v1, v1, s8
	;; [unrolled: 1-line block ×4, first 2 shown]
	v_add_nc_u32_e32 v3, s9, v30
	v_add_nc_u32_e32 v7, s11, v30
	v_mul_lo_u32 v2, v2, s8
	v_mul_lo_u32 v6, v6, s10
	v_add_nc_u32_e32 v10, s11, v27
	v_mul_lo_u32 v3, v3, s8
	v_mul_lo_u32 v7, v7, s10
	v_sub_nc_u32_e32 v1, v1, v5
	v_sub_nc_u32_e32 v4, v4, v8
	v_add_nc_u32_e32 v5, s9, v25
	v_add_nc_u32_e32 v8, s11, v25
	v_sub_nc_u32_e32 v2, v2, v6
	v_add_nc_u32_e32 v6, s9, v27
	v_add_nc_u32_e32 v9, s9, v24
	v_mul_lo_u32 v5, v5, s8
	v_mul_lo_u32 v8, v8, s10
	v_sub_nc_u32_e32 v3, v3, v7
	v_add_nc_u32_e32 v7, s9, v26
	v_add_nc_u32_e32 v11, s11, v24
	v_mul_lo_u32 v6, v6, s8
	v_mul_lo_u32 v10, v10, s10
	v_add_nc_u32_e32 v12, s11, v26
	v_mul_lo_u32 v9, v9, s8
	v_mul_lo_u32 v7, v7, s8
	;; [unrolled: 1-line block ×3, first 2 shown]
	v_sub_nc_u32_e32 v5, v5, v8
	v_mul_lo_u32 v8, v12, s10
	v_cmp_lt_u32_e32 vcc_lo, s2, v1
	v_sub_nc_u32_e32 v6, v6, v10
	v_add_nc_u32_e32 v10, s9, v21
	v_add_nc_u32_e32 v14, s11, v21
	;; [unrolled: 1-line block ×3, first 2 shown]
	v_cndmask_b32_e64 v1, 0, 1, vcc_lo
	v_cmp_lt_u32_e32 vcc_lo, s2, v2
	v_sub_nc_u32_e32 v7, v7, v8
	v_sub_nc_u32_e32 v8, v9, v11
	v_add_nc_u32_e32 v11, s9, v23
	v_mul_lo_u32 v10, v10, s8
	v_mul_lo_u32 v14, v14, s10
	v_cndmask_b32_e64 v2, 0, 1, vcc_lo
	v_cmp_lt_u32_e32 vcc_lo, s2, v5
	v_mul_lo_u32 v11, v11, s8
	v_mul_lo_u32 v15, v15, s10
	v_mov_b32_e32 v9, 8
	v_lshlrev_b16 v2, 8, v2
	v_cndmask_b32_e64 v5, 0, 1, vcc_lo
	v_cmp_lt_u32_e32 vcc_lo, s2, v6
	v_sub_nc_u32_e32 v10, v10, v14
	v_add_nc_u32_e32 v12, s9, v22
	v_add_nc_u32_e32 v16, s11, v22
	v_sub_nc_u32_e32 v11, v11, v15
	v_cndmask_b32_e64 v6, 0, 1, vcc_lo
	v_cmp_lt_u32_e32 vcc_lo, s2, v10
	v_lshrrev_b32_sdwa v2, v9, v2 dst_sel:BYTE_1 dst_unused:UNUSED_PAD src0_sel:DWORD src1_sel:DWORD
	v_add_nc_u32_e32 v13, s9, v20
	v_add_nc_u32_e32 v17, s11, v20
	v_mul_lo_u32 v12, v12, s8
	v_cndmask_b32_e64 v10, 0, 1, vcc_lo
	v_cmp_lt_u32_e32 vcc_lo, s2, v11
	v_mul_lo_u32 v16, v16, s10
	v_mul_lo_u32 v13, v13, s8
	;; [unrolled: 1-line block ×3, first 2 shown]
	v_add_nc_u32_e32 v14, s9, v46
	v_cndmask_b32_e64 v11, 0, 1, vcc_lo
	v_cmp_lt_u32_e32 vcc_lo, s2, v3
	v_add_nc_u32_e32 v15, s11, v46
	v_lshlrev_b16 v1, 8, v1
	v_sub_nc_u32_e32 v12, v12, v16
	v_lshlrev_b16 v11, 8, v11
	v_cndmask_b32_e64 v3, 0, 1, vcc_lo
	v_cmp_lt_u32_e32 vcc_lo, s2, v4
	v_sub_nc_u32_e32 v13, v13, v17
	v_mul_lo_u32 v14, v14, s8
	v_mul_lo_u32 v15, v15, s10
	v_or_b32_e32 v2, v3, v2
	v_cndmask_b32_e64 v3, 0, 1, vcc_lo
	v_cmp_lt_u32_e32 vcc_lo, s2, v7
	v_lshlrev_b16 v6, 8, v6
	v_lshlrev_b16 v10, 8, v10
	v_lshlrev_b16 v5, 8, v5
	v_lshrrev_b32_sdwa v1, v9, v1 dst_sel:BYTE_1 dst_unused:UNUSED_PAD src0_sel:DWORD src1_sel:DWORD
	v_cndmask_b32_e64 v4, 0, 1, vcc_lo
	v_cmp_lt_u32_e32 vcc_lo, s2, v8
	v_lshrrev_b32_sdwa v8, v9, v11 dst_sel:BYTE_1 dst_unused:UNUSED_PAD src0_sel:DWORD src1_sel:DWORD
	v_lshrrev_b32_sdwa v6, v9, v6 dst_sel:BYTE_1 dst_unused:UNUSED_PAD src0_sel:DWORD src1_sel:DWORD
	v_sub_nc_u32_e32 v14, v14, v15
	v_lshrrev_b32_sdwa v9, v9, v10 dst_sel:BYTE_1 dst_unused:UNUSED_PAD src0_sel:DWORD src1_sel:DWORD
	v_cndmask_b32_e64 v7, 0, 1, vcc_lo
	v_cmp_lt_u32_e32 vcc_lo, s2, v12
	v_or_b32_sdwa v1, v3, v1 dst_sel:WORD_1 dst_unused:UNUSED_PAD src0_sel:DWORD src1_sel:DWORD
	v_or_b32_e32 v3, v4, v6
	v_or_b32_sdwa v4, v7, v5 dst_sel:WORD_1 dst_unused:UNUSED_PAD src0_sel:DWORD src1_sel:DWORD
	v_cndmask_b32_e64 v11, 0, 1, vcc_lo
	v_cmp_lt_u32_e32 vcc_lo, s2, v13
	v_or_b32_sdwa v52, v2, v1 dst_sel:DWORD dst_unused:UNUSED_PAD src0_sel:WORD_0 src1_sel:DWORD
	v_or_b32_sdwa v50, v3, v4 dst_sel:DWORD dst_unused:UNUSED_PAD src0_sel:WORD_0 src1_sel:DWORD
	v_or_b32_e32 v5, v11, v8
	v_cndmask_b32_e64 v10, 0, 1, vcc_lo
	v_cmp_lt_u32_e32 vcc_lo, s2, v14
	v_or_b32_sdwa v6, v10, v9 dst_sel:WORD_1 dst_unused:UNUSED_PAD src0_sel:DWORD src1_sel:DWORD
	v_cndmask_b32_e64 v48, 0, 1, vcc_lo
	v_or_b32_sdwa v49, v5, v6 dst_sel:DWORD dst_unused:UNUSED_PAD src0_sel:WORD_0 src1_sel:DWORD
	s_cbranch_execz .LBB389_11
	s_branch .LBB389_38
.LBB389_10:
                                        ; implicit-def: $vgpr48
                                        ; implicit-def: $vgpr49
                                        ; implicit-def: $vgpr50
                                        ; implicit-def: $vgpr52
.LBB389_11:
	v_mov_b32_e32 v2, 0
	v_mov_b32_e32 v1, 0
	s_mov_b32 s1, exec_lo
	v_cmpx_gt_u32_e64 s15, v47
	s_cbranch_execz .LBB389_13
; %bb.12:
	v_add_nc_u32_e32 v1, s9, v30
	v_add_nc_u32_e32 v3, s11, v30
	v_mul_lo_u32 v1, v1, s8
	v_mul_lo_u32 v3, v3, s10
	v_sub_nc_u32_e32 v1, v1, v3
	v_cmp_lt_u32_e32 vcc_lo, s2, v1
	v_cndmask_b32_e64 v1, 0, 1, vcc_lo
.LBB389_13:
	s_or_b32 exec_lo, exec_lo, s1
	v_add_nc_u32_e32 v3, 1, v47
	s_mov_b32 s1, exec_lo
	v_cmpx_gt_u32_e64 s15, v3
	s_cbranch_execz .LBB389_15
; %bb.14:
	v_add_nc_u32_e32 v2, s9, v31
	v_add_nc_u32_e32 v3, s11, v31
	v_mul_lo_u32 v2, v2, s8
	v_mul_lo_u32 v3, v3, s10
	v_sub_nc_u32_e32 v2, v2, v3
	v_cmp_lt_u32_e32 vcc_lo, s2, v2
	v_cndmask_b32_e64 v2, 0, 1, vcc_lo
.LBB389_15:
	s_or_b32 exec_lo, exec_lo, s1
	v_add_nc_u32_e32 v3, 2, v47
	v_mov_b32_e32 v4, 0
	v_cmp_gt_u32_e32 vcc_lo, s15, v3
	v_mov_b32_e32 v3, 0
	s_and_saveexec_b32 s1, vcc_lo
	s_cbranch_execz .LBB389_17
; %bb.16:
	v_add_nc_u32_e32 v3, s9, v28
	v_add_nc_u32_e32 v5, s11, v28
	v_mul_lo_u32 v3, v3, s8
	v_mul_lo_u32 v5, v5, s10
	v_sub_nc_u32_e32 v3, v3, v5
	v_cmp_lt_u32_e32 vcc_lo, s2, v3
	v_cndmask_b32_e64 v3, 0, 1, vcc_lo
.LBB389_17:
	s_or_b32 exec_lo, exec_lo, s1
	v_add_nc_u32_e32 v5, 3, v47
	s_mov_b32 s1, exec_lo
	v_cmpx_gt_u32_e64 s15, v5
	s_cbranch_execz .LBB389_19
; %bb.18:
	v_add_nc_u32_e32 v4, s9, v29
	v_add_nc_u32_e32 v5, s11, v29
	v_mul_lo_u32 v4, v4, s8
	v_mul_lo_u32 v5, v5, s10
	v_sub_nc_u32_e32 v4, v4, v5
	v_cmp_lt_u32_e32 vcc_lo, s2, v4
	v_cndmask_b32_e64 v4, 0, 1, vcc_lo
.LBB389_19:
	s_or_b32 exec_lo, exec_lo, s1
	v_add_nc_u32_e32 v5, 4, v47
	v_mov_b32_e32 v6, 0
	v_cmp_gt_u32_e32 vcc_lo, s15, v5
	v_mov_b32_e32 v5, 0
	s_and_saveexec_b32 s1, vcc_lo
	s_cbranch_execz .LBB389_21
; %bb.20:
	v_add_nc_u32_e32 v5, s9, v26
	v_add_nc_u32_e32 v7, s11, v26
	v_mul_lo_u32 v5, v5, s8
	v_mul_lo_u32 v7, v7, s10
	v_sub_nc_u32_e32 v5, v5, v7
	v_cmp_lt_u32_e32 vcc_lo, s2, v5
	v_cndmask_b32_e64 v5, 0, 1, vcc_lo
.LBB389_21:
	s_or_b32 exec_lo, exec_lo, s1
	v_add_nc_u32_e32 v7, 5, v47
	s_mov_b32 s1, exec_lo
	v_cmpx_gt_u32_e64 s15, v7
	s_cbranch_execz .LBB389_23
; %bb.22:
	v_add_nc_u32_e32 v6, s9, v27
	v_add_nc_u32_e32 v7, s11, v27
	v_mul_lo_u32 v6, v6, s8
	v_mul_lo_u32 v7, v7, s10
	v_sub_nc_u32_e32 v6, v6, v7
	v_cmp_lt_u32_e32 vcc_lo, s2, v6
	v_cndmask_b32_e64 v6, 0, 1, vcc_lo
.LBB389_23:
	s_or_b32 exec_lo, exec_lo, s1
	v_add_nc_u32_e32 v7, 6, v47
	v_mov_b32_e32 v8, 0
	v_cmp_gt_u32_e32 vcc_lo, s15, v7
	v_mov_b32_e32 v7, 0
	s_and_saveexec_b32 s1, vcc_lo
	s_cbranch_execz .LBB389_25
; %bb.24:
	v_add_nc_u32_e32 v7, s9, v24
	v_add_nc_u32_e32 v9, s11, v24
	v_mul_lo_u32 v7, v7, s8
	v_mul_lo_u32 v9, v9, s10
	v_sub_nc_u32_e32 v7, v7, v9
	v_cmp_lt_u32_e32 vcc_lo, s2, v7
	v_cndmask_b32_e64 v7, 0, 1, vcc_lo
.LBB389_25:
	s_or_b32 exec_lo, exec_lo, s1
	v_add_nc_u32_e32 v9, 7, v47
	s_mov_b32 s1, exec_lo
	v_cmpx_gt_u32_e64 s15, v9
	s_cbranch_execz .LBB389_27
; %bb.26:
	v_add_nc_u32_e32 v8, s9, v25
	v_add_nc_u32_e32 v9, s11, v25
	v_mul_lo_u32 v8, v8, s8
	v_mul_lo_u32 v9, v9, s10
	v_sub_nc_u32_e32 v8, v8, v9
	v_cmp_lt_u32_e32 vcc_lo, s2, v8
	v_cndmask_b32_e64 v8, 0, 1, vcc_lo
.LBB389_27:
	s_or_b32 exec_lo, exec_lo, s1
	v_add_nc_u32_e32 v9, 8, v47
	v_mov_b32_e32 v10, 0
	v_cmp_gt_u32_e32 vcc_lo, s15, v9
	v_mov_b32_e32 v9, 0
	s_and_saveexec_b32 s1, vcc_lo
	s_cbranch_execz .LBB389_29
; %bb.28:
	v_add_nc_u32_e32 v9, s9, v22
	v_add_nc_u32_e32 v11, s11, v22
	v_mul_lo_u32 v9, v9, s8
	v_mul_lo_u32 v11, v11, s10
	v_sub_nc_u32_e32 v9, v9, v11
	v_cmp_lt_u32_e32 vcc_lo, s2, v9
	v_cndmask_b32_e64 v9, 0, 1, vcc_lo
.LBB389_29:
	s_or_b32 exec_lo, exec_lo, s1
	v_add_nc_u32_e32 v11, 9, v47
	s_mov_b32 s1, exec_lo
	v_cmpx_gt_u32_e64 s15, v11
	s_cbranch_execz .LBB389_31
; %bb.30:
	v_add_nc_u32_e32 v10, s9, v23
	v_add_nc_u32_e32 v11, s11, v23
	v_mul_lo_u32 v10, v10, s8
	v_mul_lo_u32 v11, v11, s10
	v_sub_nc_u32_e32 v10, v10, v11
	v_cmp_lt_u32_e32 vcc_lo, s2, v10
	v_cndmask_b32_e64 v10, 0, 1, vcc_lo
.LBB389_31:
	s_or_b32 exec_lo, exec_lo, s1
	v_add_nc_u32_e32 v11, 10, v47
	v_mov_b32_e32 v12, 0
	v_cmp_gt_u32_e32 vcc_lo, s15, v11
	v_mov_b32_e32 v11, 0
	s_and_saveexec_b32 s1, vcc_lo
	s_cbranch_execz .LBB389_33
; %bb.32:
	v_add_nc_u32_e32 v11, s9, v20
	v_add_nc_u32_e32 v13, s11, v20
	v_mul_lo_u32 v11, v11, s8
	v_mul_lo_u32 v13, v13, s10
	v_sub_nc_u32_e32 v11, v11, v13
	v_cmp_lt_u32_e32 vcc_lo, s2, v11
	v_cndmask_b32_e64 v11, 0, 1, vcc_lo
.LBB389_33:
	s_or_b32 exec_lo, exec_lo, s1
	v_add_nc_u32_e32 v13, 11, v47
	s_mov_b32 s1, exec_lo
	v_cmpx_gt_u32_e64 s15, v13
	s_cbranch_execz .LBB389_35
; %bb.34:
	v_add_nc_u32_e32 v12, s9, v21
	v_add_nc_u32_e32 v13, s11, v21
	v_mul_lo_u32 v12, v12, s8
	v_mul_lo_u32 v13, v13, s10
	v_sub_nc_u32_e32 v12, v12, v13
	v_cmp_lt_u32_e32 vcc_lo, s2, v12
	v_cndmask_b32_e64 v12, 0, 1, vcc_lo
.LBB389_35:
	s_or_b32 exec_lo, exec_lo, s1
	v_add_nc_u32_e32 v13, 12, v47
	v_mov_b32_e32 v48, 0
	s_mov_b32 s1, exec_lo
	v_cmpx_gt_u32_e64 s15, v13
	s_cbranch_execz .LBB389_37
; %bb.36:
	v_add_nc_u32_e32 v13, s9, v46
	v_add_nc_u32_e32 v14, s11, v46
	v_mul_lo_u32 v13, v13, s8
	v_mul_lo_u32 v14, v14, s10
	v_sub_nc_u32_e32 v13, v13, v14
	v_cmp_lt_u32_e32 vcc_lo, s2, v13
	v_cndmask_b32_e64 v48, 0, 1, vcc_lo
.LBB389_37:
	s_or_b32 exec_lo, exec_lo, s1
	v_lshlrev_b16 v2, 8, v2
	v_lshlrev_b16 v4, 8, v4
	;; [unrolled: 1-line block ×5, first 2 shown]
	v_or_b32_e32 v1, v1, v2
	v_lshlrev_b16 v2, 8, v12
	v_or_b32_sdwa v3, v3, v4 dst_sel:WORD_1 dst_unused:UNUSED_PAD src0_sel:DWORD src1_sel:DWORD
	v_or_b32_e32 v4, v5, v6
	v_or_b32_sdwa v5, v7, v8 dst_sel:WORD_1 dst_unused:UNUSED_PAD src0_sel:DWORD src1_sel:DWORD
	v_or_b32_e32 v6, v9, v10
	v_or_b32_sdwa v2, v11, v2 dst_sel:WORD_1 dst_unused:UNUSED_PAD src0_sel:DWORD src1_sel:DWORD
	v_or_b32_sdwa v52, v1, v3 dst_sel:DWORD dst_unused:UNUSED_PAD src0_sel:WORD_0 src1_sel:DWORD
	v_or_b32_sdwa v50, v4, v5 dst_sel:DWORD dst_unused:UNUSED_PAD src0_sel:WORD_0 src1_sel:DWORD
	;; [unrolled: 1-line block ×3, first 2 shown]
.LBB389_38:
	v_and_b32_e32 v55, 0xff, v52
	v_bfe_u32 v56, v52, 8, 8
	v_bfe_u32 v57, v52, 16, 8
	v_lshrrev_b32_e32 v54, 24, v52
	v_and_b32_e32 v58, 0xff, v50
	v_bfe_u32 v59, v50, 8, 8
	v_bfe_u32 v60, v50, 16, 8
	v_add3_u32 v1, v56, v55, v57
	v_lshrrev_b32_e32 v53, 24, v50
	v_and_b32_e32 v61, 0xff, v49
	v_bfe_u32 v62, v49, 8, 8
	v_mbcnt_lo_u32_b32 v64, -1, 0
	v_add3_u32 v1, v1, v54, v58
	v_bfe_u32 v63, v49, 16, 8
	v_lshrrev_b32_e32 v51, 24, v49
	v_and_b32_e32 v2, 0xff, v48
	v_and_b32_e32 v3, 15, v64
	v_add3_u32 v1, v1, v59, v60
	v_or_b32_e32 v4, 31, v0
	v_and_b32_e32 v5, 16, v64
	v_lshrrev_b32_e32 v65, 5, v0
	v_cmp_eq_u32_e64 s6, 0, v3
	v_add3_u32 v1, v1, v53, v61
	v_cmp_lt_u32_e64 s5, 1, v3
	v_cmp_lt_u32_e64 s4, 3, v3
	;; [unrolled: 1-line block ×3, first 2 shown]
	v_cmp_eq_u32_e64 s2, 0, v5
	v_add3_u32 v1, v1, v62, v63
	v_cmp_eq_u32_e64 s1, v0, v4
	s_cmp_lg_u32 s25, 0
	s_mov_b32 s7, -1
	v_add3_u32 v66, v1, v51, v2
	s_cbranch_scc0 .LBB389_60
; %bb.39:
	v_mov_b32_dpp v1, v66 row_shr:1 row_mask:0xf bank_mask:0xf
	v_cndmask_b32_e64 v1, v1, 0, s6
	v_add_nc_u32_e32 v1, v1, v66
	v_mov_b32_dpp v2, v1 row_shr:2 row_mask:0xf bank_mask:0xf
	v_cndmask_b32_e64 v2, 0, v2, s5
	v_add_nc_u32_e32 v1, v1, v2
	;; [unrolled: 3-line block ×4, first 2 shown]
	ds_swizzle_b32 v2, v1 offset:swizzle(BROADCAST,32,15)
	s_waitcnt lgkmcnt(0)
	v_cndmask_b32_e64 v2, v2, 0, s2
	v_add_nc_u32_e32 v1, v1, v2
	s_and_saveexec_b32 s7, s1
; %bb.40:
	v_lshlrev_b32_e32 v2, 2, v65
	ds_write_b32 v2, v1
; %bb.41:
	s_or_b32 exec_lo, exec_lo, s7
	s_mov_b32 s7, exec_lo
	s_waitcnt lgkmcnt(0)
	s_barrier
	buffer_gl0_inv
	v_cmpx_gt_u32_e32 8, v0
	s_cbranch_execz .LBB389_43
; %bb.42:
	ds_read_b32 v2, v44
	v_and_b32_e32 v3, 7, v64
	v_cmp_ne_u32_e32 vcc_lo, 0, v3
	s_waitcnt lgkmcnt(0)
	v_mov_b32_dpp v4, v2 row_shr:1 row_mask:0xf bank_mask:0xf
	v_cndmask_b32_e32 v4, 0, v4, vcc_lo
	v_cmp_lt_u32_e32 vcc_lo, 1, v3
	v_add_nc_u32_e32 v2, v4, v2
	v_mov_b32_dpp v4, v2 row_shr:2 row_mask:0xf bank_mask:0xf
	v_cndmask_b32_e32 v4, 0, v4, vcc_lo
	v_cmp_lt_u32_e32 vcc_lo, 3, v3
	v_add_nc_u32_e32 v2, v2, v4
	v_mov_b32_dpp v4, v2 row_shr:4 row_mask:0xf bank_mask:0xf
	v_cndmask_b32_e32 v3, 0, v4, vcc_lo
	v_add_nc_u32_e32 v2, v2, v3
	ds_write_b32 v44, v2
.LBB389_43:
	s_or_b32 exec_lo, exec_lo, s7
	s_mov_b32 s8, exec_lo
	v_cmp_gt_u32_e32 vcc_lo, 32, v0
	s_waitcnt lgkmcnt(0)
	s_barrier
	buffer_gl0_inv
                                        ; implicit-def: $vgpr10
	v_cmpx_lt_u32_e32 31, v0
	s_cbranch_execz .LBB389_45
; %bb.44:
	v_lshl_add_u32 v2, v65, 2, -4
	ds_read_b32 v10, v2
	s_waitcnt lgkmcnt(0)
	v_add_nc_u32_e32 v1, v10, v1
.LBB389_45:
	s_or_b32 exec_lo, exec_lo, s8
	v_sub_co_u32 v2, s7, v64, 1
	v_cmp_gt_i32_e64 s8, 0, v2
	v_cndmask_b32_e64 v2, v2, v64, s8
	v_lshlrev_b32_e32 v2, 2, v2
	ds_bpermute_b32 v11, v2, v1
	s_and_saveexec_b32 s8, vcc_lo
	s_cbranch_execz .LBB389_65
; %bb.46:
	v_mov_b32_e32 v7, 0
	ds_read_b32 v1, v7 offset:28
	s_and_saveexec_b32 s9, s7
	s_cbranch_execz .LBB389_48
; %bb.47:
	s_add_i32 s10, s25, 32
	s_mov_b32 s11, 0
	v_mov_b32_e32 v2, 1
	s_lshl_b64 s[10:11], s[10:11], 3
	s_add_u32 s10, s22, s10
	s_addc_u32 s11, s23, s11
	s_waitcnt lgkmcnt(0)
	global_store_dwordx2 v7, v[1:2], s[10:11]
.LBB389_48:
	s_or_b32 exec_lo, exec_lo, s9
	v_xad_u32 v3, v64, -1, s25
	s_mov_b32 s10, 0
	v_add_nc_u32_e32 v6, 32, v3
	v_lshlrev_b64 v[4:5], 3, v[6:7]
	v_add_co_u32 v8, vcc_lo, s22, v4
	v_add_co_ci_u32_e64 v9, null, s23, v5, vcc_lo
	global_load_dwordx2 v[5:6], v[8:9], off glc dlc
	s_waitcnt vmcnt(0)
	v_cmp_eq_u16_sdwa s11, v6, v7 src0_sel:BYTE_0 src1_sel:DWORD
	s_and_saveexec_b32 s9, s11
	s_cbranch_execz .LBB389_52
; %bb.49:
	v_mov_b32_e32 v2, 0
.LBB389_50:                             ; =>This Inner Loop Header: Depth=1
	global_load_dwordx2 v[5:6], v[8:9], off glc dlc
	s_waitcnt vmcnt(0)
	v_cmp_ne_u16_sdwa s11, v6, v2 src0_sel:BYTE_0 src1_sel:DWORD
	s_or_b32 s10, s11, s10
	s_andn2_b32 exec_lo, exec_lo, s10
	s_cbranch_execnz .LBB389_50
; %bb.51:
	s_or_b32 exec_lo, exec_lo, s10
.LBB389_52:
	s_or_b32 exec_lo, exec_lo, s9
	v_cmp_ne_u32_e32 vcc_lo, 31, v64
	v_mov_b32_e32 v12, 2
	v_lshlrev_b32_e64 v13, v64, -1
	v_add_nc_u32_e32 v15, 2, v64
	v_add_nc_u32_e32 v17, 4, v64
	v_add_co_ci_u32_e64 v2, null, 0, v64, vcc_lo
	v_cmp_eq_u16_sdwa s9, v6, v12 src0_sel:BYTE_0 src1_sel:DWORD
	v_cmp_gt_u32_e32 vcc_lo, 30, v64
	v_add_nc_u32_e32 v68, 8, v64
	v_lshlrev_b32_e32 v9, 2, v2
	v_lshl_or_b32 v69, v64, 2, 64
	v_and_or_b32 v4, s9, v13, 0x80000000
	v_cndmask_b32_e64 v7, 0, 2, vcc_lo
	v_add_nc_u32_e32 v70, 16, v64
	ds_bpermute_b32 v2, v9, v5
	v_ffbl_b32_e32 v4, v4
	v_add_lshl_u32 v14, v7, v64, 2
	v_cmp_lt_u32_e32 vcc_lo, v64, v4
	s_waitcnt lgkmcnt(0)
	v_cndmask_b32_e32 v2, 0, v2, vcc_lo
	v_cmp_gt_u32_e32 vcc_lo, 28, v64
	v_add_nc_u32_e32 v2, v2, v5
	v_cndmask_b32_e64 v7, 0, 4, vcc_lo
	v_cmp_le_u32_e32 vcc_lo, v15, v4
	ds_bpermute_b32 v5, v14, v2
	v_add_lshl_u32 v16, v7, v64, 2
	s_waitcnt lgkmcnt(0)
	v_cndmask_b32_e32 v5, 0, v5, vcc_lo
	v_cmp_gt_u32_e32 vcc_lo, 24, v64
	v_add_nc_u32_e32 v2, v2, v5
	v_cndmask_b32_e64 v7, 0, 8, vcc_lo
	v_cmp_le_u32_e32 vcc_lo, v17, v4
	ds_bpermute_b32 v5, v16, v2
	v_add_lshl_u32 v67, v7, v64, 2
	s_waitcnt lgkmcnt(0)
	v_cndmask_b32_e32 v5, 0, v5, vcc_lo
	v_cmp_le_u32_e32 vcc_lo, v68, v4
	v_add_nc_u32_e32 v2, v2, v5
	ds_bpermute_b32 v5, v67, v2
	s_waitcnt lgkmcnt(0)
	v_cndmask_b32_e32 v5, 0, v5, vcc_lo
	v_cmp_le_u32_e32 vcc_lo, v70, v4
	v_add_nc_u32_e32 v2, v2, v5
	ds_bpermute_b32 v5, v69, v2
	s_waitcnt lgkmcnt(0)
	v_cndmask_b32_e32 v4, 0, v5, vcc_lo
	v_add_nc_u32_e32 v5, v2, v4
	v_mov_b32_e32 v4, 0
	s_branch .LBB389_56
.LBB389_53:                             ;   in Loop: Header=BB389_56 Depth=1
	s_or_b32 exec_lo, exec_lo, s10
.LBB389_54:                             ;   in Loop: Header=BB389_56 Depth=1
	s_or_b32 exec_lo, exec_lo, s9
	ds_bpermute_b32 v7, v9, v5
	v_cmp_eq_u16_sdwa s9, v6, v12 src0_sel:BYTE_0 src1_sel:DWORD
	v_subrev_nc_u32_e32 v3, 32, v3
	v_and_or_b32 v8, s9, v13, 0x80000000
	s_mov_b32 s9, 0
	v_ffbl_b32_e32 v8, v8
	v_cmp_lt_u32_e32 vcc_lo, v64, v8
	s_waitcnt lgkmcnt(0)
	v_cndmask_b32_e32 v7, 0, v7, vcc_lo
	v_cmp_le_u32_e32 vcc_lo, v15, v8
	v_add_nc_u32_e32 v5, v7, v5
	ds_bpermute_b32 v7, v14, v5
	s_waitcnt lgkmcnt(0)
	v_cndmask_b32_e32 v7, 0, v7, vcc_lo
	v_cmp_le_u32_e32 vcc_lo, v17, v8
	v_add_nc_u32_e32 v5, v5, v7
	ds_bpermute_b32 v7, v16, v5
	;; [unrolled: 5-line block ×4, first 2 shown]
	s_waitcnt lgkmcnt(0)
	v_cndmask_b32_e32 v7, 0, v7, vcc_lo
	v_add3_u32 v5, v7, v2, v5
.LBB389_55:                             ;   in Loop: Header=BB389_56 Depth=1
	s_and_b32 vcc_lo, exec_lo, s9
	s_cbranch_vccnz .LBB389_61
.LBB389_56:                             ; =>This Loop Header: Depth=1
                                        ;     Child Loop BB389_59 Depth 2
	v_cmp_ne_u16_sdwa s9, v6, v12 src0_sel:BYTE_0 src1_sel:DWORD
	v_mov_b32_e32 v2, v5
                                        ; implicit-def: $vgpr5
                                        ; implicit-def: $vgpr6
	s_cmp_lg_u32 s9, exec_lo
	s_mov_b32 s9, -1
	s_cbranch_scc1 .LBB389_55
; %bb.57:                               ;   in Loop: Header=BB389_56 Depth=1
	v_lshlrev_b64 v[5:6], 3, v[3:4]
	v_add_co_u32 v7, vcc_lo, s22, v5
	v_add_co_ci_u32_e64 v8, null, s23, v6, vcc_lo
	global_load_dwordx2 v[5:6], v[7:8], off glc dlc
	s_waitcnt vmcnt(0)
	v_cmp_eq_u16_sdwa s10, v6, v4 src0_sel:BYTE_0 src1_sel:DWORD
	s_and_saveexec_b32 s9, s10
	s_cbranch_execz .LBB389_54
; %bb.58:                               ;   in Loop: Header=BB389_56 Depth=1
	s_mov_b32 s10, 0
.LBB389_59:                             ;   Parent Loop BB389_56 Depth=1
                                        ; =>  This Inner Loop Header: Depth=2
	global_load_dwordx2 v[5:6], v[7:8], off glc dlc
	s_waitcnt vmcnt(0)
	v_cmp_ne_u16_sdwa s11, v6, v4 src0_sel:BYTE_0 src1_sel:DWORD
	s_or_b32 s10, s11, s10
	s_andn2_b32 exec_lo, exec_lo, s10
	s_cbranch_execnz .LBB389_59
	s_branch .LBB389_53
.LBB389_60:
                                        ; implicit-def: $vgpr17
                                        ; implicit-def: $vgpr1_vgpr2_vgpr3_vgpr4_vgpr5_vgpr6_vgpr7_vgpr8_vgpr9_vgpr10_vgpr11_vgpr12_vgpr13_vgpr14_vgpr15_vgpr16
	s_and_b32 vcc_lo, exec_lo, s7
	s_cbranch_vccnz .LBB389_66
	s_branch .LBB389_75
.LBB389_61:
	s_and_saveexec_b32 s9, s7
	s_cbranch_execz .LBB389_63
; %bb.62:
	s_add_i32 s10, s25, 32
	s_mov_b32 s11, 0
	v_add_nc_u32_e32 v3, v2, v1
	v_mov_b32_e32 v4, 2
	s_lshl_b64 s[10:11], s[10:11], 3
	v_mov_b32_e32 v5, 0
	s_add_u32 s10, s22, s10
	s_addc_u32 s11, s23, s11
	global_store_dwordx2 v5, v[3:4], s[10:11]
	ds_write_b64 v5, v[1:2] offset:13312
.LBB389_63:
	s_or_b32 exec_lo, exec_lo, s9
	s_and_b32 exec_lo, exec_lo, s0
; %bb.64:
	v_mov_b32_e32 v1, 0
	ds_write_b32 v1, v2 offset:28
.LBB389_65:
	s_or_b32 exec_lo, exec_lo, s8
	v_mov_b32_e32 v12, 0
	s_waitcnt lgkmcnt(0)
	s_waitcnt_vscnt null, 0x0
	s_barrier
	buffer_gl0_inv
	v_cndmask_b32_e64 v2, v11, v10, s7
	ds_read_b32 v1, v12 offset:28
	s_waitcnt lgkmcnt(0)
	s_barrier
	buffer_gl0_inv
	v_cndmask_b32_e64 v2, v2, 0, s0
	ds_read_b64 v[16:17], v12 offset:13312
	v_add_nc_u32_e32 v1, v1, v2
	v_add_nc_u32_e32 v2, v1, v55
	;; [unrolled: 1-line block ×13, first 2 shown]
	s_branch .LBB389_75
.LBB389_66:
	v_mov_b32_dpp v1, v66 row_shr:1 row_mask:0xf bank_mask:0xf
	v_cndmask_b32_e64 v1, v1, 0, s6
	v_add_nc_u32_e32 v1, v1, v66
	v_mov_b32_dpp v2, v1 row_shr:2 row_mask:0xf bank_mask:0xf
	v_cndmask_b32_e64 v2, 0, v2, s5
	v_add_nc_u32_e32 v1, v1, v2
	;; [unrolled: 3-line block ×4, first 2 shown]
	ds_swizzle_b32 v2, v1 offset:swizzle(BROADCAST,32,15)
	s_waitcnt lgkmcnt(0)
	v_cndmask_b32_e64 v2, v2, 0, s2
	v_add_nc_u32_e32 v1, v1, v2
	s_and_saveexec_b32 s2, s1
; %bb.67:
	v_lshlrev_b32_e32 v2, 2, v65
	ds_write_b32 v2, v1
; %bb.68:
	s_or_b32 exec_lo, exec_lo, s2
	s_mov_b32 s1, exec_lo
	s_waitcnt lgkmcnt(0)
	s_barrier
	buffer_gl0_inv
	v_cmpx_gt_u32_e32 8, v0
	s_cbranch_execz .LBB389_70
; %bb.69:
	ds_read_b32 v2, v44
	v_and_b32_e32 v3, 7, v64
	v_cmp_ne_u32_e32 vcc_lo, 0, v3
	s_waitcnt lgkmcnt(0)
	v_mov_b32_dpp v4, v2 row_shr:1 row_mask:0xf bank_mask:0xf
	v_cndmask_b32_e32 v4, 0, v4, vcc_lo
	v_cmp_lt_u32_e32 vcc_lo, 1, v3
	v_add_nc_u32_e32 v2, v4, v2
	v_mov_b32_dpp v4, v2 row_shr:2 row_mask:0xf bank_mask:0xf
	v_cndmask_b32_e32 v4, 0, v4, vcc_lo
	v_cmp_lt_u32_e32 vcc_lo, 3, v3
	v_add_nc_u32_e32 v2, v2, v4
	v_mov_b32_dpp v4, v2 row_shr:4 row_mask:0xf bank_mask:0xf
	v_cndmask_b32_e32 v3, 0, v4, vcc_lo
	v_add_nc_u32_e32 v2, v2, v3
	ds_write_b32 v44, v2
.LBB389_70:
	s_or_b32 exec_lo, exec_lo, s1
	v_mov_b32_e32 v3, 0
	v_mov_b32_e32 v2, 0
	s_mov_b32 s1, exec_lo
	s_waitcnt lgkmcnt(0)
	s_barrier
	buffer_gl0_inv
	v_cmpx_lt_u32_e32 31, v0
; %bb.71:
	v_lshl_add_u32 v2, v65, 2, -4
	ds_read_b32 v2, v2
; %bb.72:
	s_or_b32 exec_lo, exec_lo, s1
	v_sub_co_u32 v4, vcc_lo, v64, 1
	s_waitcnt lgkmcnt(0)
	v_add_nc_u32_e32 v1, v2, v1
	ds_read_b32 v16, v3 offset:28
	v_cmp_gt_i32_e64 s1, 0, v4
	v_cndmask_b32_e64 v4, v4, v64, s1
	v_lshlrev_b32_e32 v4, 2, v4
	ds_bpermute_b32 v1, v4, v1
	s_and_saveexec_b32 s1, s0
	s_cbranch_execz .LBB389_74
; %bb.73:
	v_mov_b32_e32 v3, 0
	v_mov_b32_e32 v17, 2
	s_waitcnt lgkmcnt(1)
	global_store_dwordx2 v3, v[16:17], s[22:23] offset:256
.LBB389_74:
	s_or_b32 exec_lo, exec_lo, s1
	s_waitcnt lgkmcnt(0)
	v_cndmask_b32_e32 v1, v1, v2, vcc_lo
	v_mov_b32_e32 v17, 0
	s_waitcnt_vscnt null, 0x0
	s_barrier
	buffer_gl0_inv
	v_cndmask_b32_e64 v1, v1, 0, s0
	v_add_nc_u32_e32 v2, v1, v55
	v_add_nc_u32_e32 v3, v2, v56
	;; [unrolled: 1-line block ×12, first 2 shown]
.LBB389_75:
	s_waitcnt lgkmcnt(0)
	v_add_nc_u32_e32 v47, v16, v47
	v_sub_nc_u32_e32 v1, v1, v17
	v_and_b32_e32 v56, 1, v52
	v_lshrrev_b32_e32 v55, 8, v52
	v_sub_nc_u32_e32 v2, v2, v17
	v_sub_nc_u32_e32 v3, v3, v17
	;; [unrolled: 1-line block ×3, first 2 shown]
	v_cmp_eq_u32_e32 vcc_lo, 1, v56
	v_and_b32_e32 v55, 1, v55
	v_mov_b32_e32 v58, 1
	v_sub_nc_u32_e32 v56, v47, v2
	v_sub_nc_u32_e32 v4, v4, v17
	v_cndmask_b32_e32 v1, v57, v1, vcc_lo
	v_sub_nc_u32_e32 v57, v47, v3
	v_and_b32_sdwa v52, v58, v52 dst_sel:DWORD dst_unused:UNUSED_PAD src0_sel:DWORD src1_sel:WORD_1
	v_add_nc_u32_e32 v56, 1, v56
	v_cmp_eq_u32_e32 vcc_lo, 1, v55
	v_lshlrev_b32_e32 v1, 2, v1
	v_and_b32_e32 v54, 1, v54
	v_sub_nc_u32_e32 v59, v47, v4
	v_add_nc_u32_e32 v57, 2, v57
	v_lshrrev_b32_e32 v15, 8, v50
	ds_write_b32 v1, v30
	v_cndmask_b32_e32 v1, v56, v2, vcc_lo
	v_cmp_eq_u32_e32 vcc_lo, 1, v52
	v_add_nc_u32_e32 v59, 3, v59
	v_lshrrev_b32_e32 v14, 8, v49
	v_lshlrev_b32_e32 v1, 2, v1
	v_cndmask_b32_e32 v2, v57, v3, vcc_lo
	v_cmp_eq_u32_e32 vcc_lo, 1, v54
	ds_write_b32 v1, v31
	v_lshlrev_b32_e32 v2, 2, v2
	v_cndmask_b32_e32 v3, v59, v4, vcc_lo
	v_sub_nc_u32_e32 v4, v5, v17
	v_sub_nc_u32_e32 v5, v6, v17
	v_lshlrev_b32_e32 v3, 2, v3
	v_sub_nc_u32_e32 v1, v47, v4
	v_sub_nc_u32_e32 v6, v47, v5
	ds_write_b32 v2, v28
	ds_write_b32 v3, v29
	v_and_b32_e32 v2, 1, v50
	v_add_nc_u32_e32 v1, 4, v1
	v_add_nc_u32_e32 v3, 5, v6
	v_sub_nc_u32_e32 v6, v7, v17
	v_and_b32_e32 v7, 1, v15
	v_cmp_eq_u32_e32 vcc_lo, 1, v2
	v_sub_nc_u32_e32 v2, v8, v17
	v_and_b32_e32 v8, 1, v53
	v_add_co_u32 v15, s1, v18, v17
	v_cndmask_b32_e32 v1, v1, v4, vcc_lo
	v_sub_nc_u32_e32 v4, v47, v6
	v_cmp_eq_u32_e32 vcc_lo, 1, v7
	v_and_b32_sdwa v7, v58, v50 dst_sel:DWORD dst_unused:UNUSED_PAD src0_sel:DWORD src1_sel:WORD_1
	v_lshlrev_b32_e32 v1, 2, v1
	v_add_nc_u32_e32 v4, 6, v4
	v_cndmask_b32_e32 v3, v3, v5, vcc_lo
	v_sub_nc_u32_e32 v5, v47, v2
	v_cmp_eq_u32_e32 vcc_lo, 1, v7
	v_sub_nc_u32_e32 v7, v13, v17
	v_lshlrev_b32_e32 v3, 2, v3
	v_add_nc_u32_e32 v5, 7, v5
	v_cndmask_b32_e32 v4, v4, v6, vcc_lo
	v_cmp_eq_u32_e32 vcc_lo, 1, v8
	v_sub_nc_u32_e32 v6, v9, v17
	ds_write_b32 v1, v26
	ds_write_b32 v3, v27
	v_lshlrev_b32_e32 v3, 2, v4
	v_cndmask_b32_e32 v2, v5, v2, vcc_lo
	v_sub_nc_u32_e32 v1, v47, v6
	v_and_b32_e32 v5, 1, v49
	v_sub_nc_u32_e32 v4, v10, v17
	v_and_b32_e32 v10, 1, v51
	v_lshlrev_b32_e32 v2, 2, v2
	v_add_nc_u32_e32 v1, 8, v1
	ds_write_b32 v3, v24
	ds_write_b32 v2, v25
	v_cmp_eq_u32_e32 vcc_lo, 1, v5
	v_sub_nc_u32_e32 v3, v11, v17
	v_sub_nc_u32_e32 v2, v47, v4
	v_sub_nc_u32_e32 v5, v12, v17
	v_and_b32_e32 v11, 1, v48
	v_cndmask_b32_e32 v1, v1, v6, vcc_lo
	v_and_b32_e32 v6, 1, v14
	v_sub_nc_u32_e32 v8, v47, v3
	v_add_nc_u32_e32 v2, 9, v2
	v_sub_nc_u32_e32 v9, v47, v5
	v_lshlrev_b32_e32 v1, 2, v1
	v_cmp_eq_u32_e32 vcc_lo, 1, v6
	v_add_nc_u32_e32 v6, 10, v8
	v_and_b32_sdwa v8, v58, v49 dst_sel:DWORD dst_unused:UNUSED_PAD src0_sel:DWORD src1_sel:WORD_1
	v_add_nc_u32_e32 v9, 11, v9
	v_add_co_ci_u32_e64 v17, null, 0, v19, s1
	v_cndmask_b32_e32 v2, v2, v4, vcc_lo
	v_cmp_eq_u32_e32 vcc_lo, 1, v8
	v_sub_nc_u32_e32 v4, v47, v7
	v_lshlrev_b32_e32 v2, 2, v2
	v_cndmask_b32_e32 v3, v6, v3, vcc_lo
	v_cmp_eq_u32_e32 vcc_lo, 1, v10
	v_add_nc_u32_e32 v4, 12, v4
	v_lshlrev_b32_e32 v3, 2, v3
	v_cndmask_b32_e32 v5, v9, v5, vcc_lo
	v_cmp_eq_u32_e32 vcc_lo, 1, v11
	v_lshlrev_b32_e32 v5, 2, v5
	v_cndmask_b32_e32 v4, v4, v7, vcc_lo
	v_cmp_ne_u32_e32 vcc_lo, 1, v45
	v_lshlrev_b32_e32 v4, 2, v4
	ds_write_b32 v1, v22
	ds_write_b32 v2, v23
	;; [unrolled: 1-line block ×5, first 2 shown]
	s_waitcnt lgkmcnt(0)
	s_barrier
	buffer_gl0_inv
	ds_read2st64_b32 v[11:12], v44 offset1:4
	ds_read2st64_b32 v[9:10], v44 offset0:8 offset1:12
	ds_read2st64_b32 v[7:8], v44 offset0:16 offset1:20
	;; [unrolled: 1-line block ×5, first 2 shown]
	ds_read_b32 v20, v44 offset:12288
	s_cbranch_vccnz .LBB389_132
; %bb.76:
	s_sub_u32 s1, s20, s24
	v_sub_co_u32 v13, vcc_lo, v15, s18
	s_subb_u32 s2, s21, 0
	v_add_co_u32 v18, s1, s1, v16
	v_subrev_co_ci_u32_e64 v14, null, s19, v17, vcc_lo
	v_add_co_ci_u32_e64 v19, null, s2, 0, s1
	v_add_co_u32 v18, vcc_lo, v18, v13
	s_mov_b32 s1, exec_lo
	v_add_co_ci_u32_e64 v19, null, v19, v14, vcc_lo
                                        ; implicit-def: $vgpr13_vgpr14
	v_cmpx_ge_u32_e64 v0, v16
	s_xor_b32 s1, exec_lo, s1
; %bb.77:
	v_not_b32_e32 v13, v0
	v_ashrrev_i32_e32 v14, 31, v13
	v_add_co_u32 v13, vcc_lo, v18, v13
	v_add_co_ci_u32_e64 v14, null, v19, v14, vcc_lo
; %bb.78:
	s_andn2_saveexec_b32 s1, s1
; %bb.79:
	v_add_co_u32 v13, vcc_lo, v15, v0
	v_add_co_ci_u32_e64 v14, null, 0, v17, vcc_lo
; %bb.80:
	s_or_b32 exec_lo, exec_lo, s1
	v_lshlrev_b64 v[13:14], 2, v[13:14]
	s_mov_b32 s1, exec_lo
	v_add_co_u32 v13, vcc_lo, s16, v13
	v_add_co_ci_u32_e64 v14, null, s17, v14, vcc_lo
	s_waitcnt lgkmcnt(6)
	global_store_dword v[13:14], v11, off
                                        ; implicit-def: $vgpr13_vgpr14
	v_cmpx_ge_u32_e64 v43, v16
	s_xor_b32 s1, exec_lo, s1
; %bb.81:
	v_xor_b32_e32 v13, 0xfffffeff, v0
	v_ashrrev_i32_e32 v14, 31, v13
	v_add_co_u32 v13, vcc_lo, v18, v13
	v_add_co_ci_u32_e64 v14, null, v19, v14, vcc_lo
; %bb.82:
	s_andn2_saveexec_b32 s1, s1
; %bb.83:
	v_add_co_u32 v13, vcc_lo, v15, v43
	v_add_co_ci_u32_e64 v14, null, 0, v17, vcc_lo
; %bb.84:
	s_or_b32 exec_lo, exec_lo, s1
	v_lshlrev_b64 v[13:14], 2, v[13:14]
	s_mov_b32 s1, exec_lo
	v_add_co_u32 v13, vcc_lo, s16, v13
	v_add_co_ci_u32_e64 v14, null, s17, v14, vcc_lo
	global_store_dword v[13:14], v12, off
                                        ; implicit-def: $vgpr13_vgpr14
	v_cmpx_ge_u32_e64 v42, v16
	s_xor_b32 s1, exec_lo, s1
; %bb.85:
	v_xor_b32_e32 v13, 0xfffffdff, v0
	v_ashrrev_i32_e32 v14, 31, v13
	v_add_co_u32 v13, vcc_lo, v18, v13
	v_add_co_ci_u32_e64 v14, null, v19, v14, vcc_lo
; %bb.86:
	s_andn2_saveexec_b32 s1, s1
; %bb.87:
	v_add_co_u32 v13, vcc_lo, v15, v42
	v_add_co_ci_u32_e64 v14, null, 0, v17, vcc_lo
; %bb.88:
	s_or_b32 exec_lo, exec_lo, s1
	v_lshlrev_b64 v[13:14], 2, v[13:14]
	s_mov_b32 s1, exec_lo
	v_add_co_u32 v13, vcc_lo, s16, v13
	v_add_co_ci_u32_e64 v14, null, s17, v14, vcc_lo
	s_waitcnt lgkmcnt(5)
	global_store_dword v[13:14], v9, off
                                        ; implicit-def: $vgpr13_vgpr14
	v_cmpx_ge_u32_e64 v41, v16
	s_xor_b32 s1, exec_lo, s1
; %bb.89:
	v_xor_b32_e32 v13, 0xfffffcff, v0
	v_ashrrev_i32_e32 v14, 31, v13
	v_add_co_u32 v13, vcc_lo, v18, v13
	v_add_co_ci_u32_e64 v14, null, v19, v14, vcc_lo
; %bb.90:
	s_andn2_saveexec_b32 s1, s1
; %bb.91:
	v_add_co_u32 v13, vcc_lo, v15, v41
	v_add_co_ci_u32_e64 v14, null, 0, v17, vcc_lo
; %bb.92:
	s_or_b32 exec_lo, exec_lo, s1
	v_lshlrev_b64 v[13:14], 2, v[13:14]
	s_mov_b32 s1, exec_lo
	v_add_co_u32 v13, vcc_lo, s16, v13
	v_add_co_ci_u32_e64 v14, null, s17, v14, vcc_lo
	global_store_dword v[13:14], v10, off
                                        ; implicit-def: $vgpr13_vgpr14
	v_cmpx_ge_u32_e64 v40, v16
	s_xor_b32 s1, exec_lo, s1
; %bb.93:
	v_xor_b32_e32 v13, 0xfffffbff, v0
	;; [unrolled: 41-line block ×6, first 2 shown]
	v_ashrrev_i32_e32 v14, 31, v13
	v_add_co_u32 v13, vcc_lo, v18, v13
	v_add_co_ci_u32_e64 v14, null, v19, v14, vcc_lo
; %bb.126:
	s_andn2_saveexec_b32 s1, s1
; %bb.127:
	v_add_co_u32 v13, vcc_lo, v15, v32
	v_add_co_ci_u32_e64 v14, null, 0, v17, vcc_lo
; %bb.128:
	s_or_b32 exec_lo, exec_lo, s1
	s_mov_b32 s1, -1
.LBB389_129:
	s_and_saveexec_b32 s2, s1
	s_cbranch_execz .LBB389_212
.LBB389_130:
	s_waitcnt lgkmcnt(1)
	v_lshlrev_b64 v[0:1], 2, v[13:14]
	v_add_co_u32 v0, vcc_lo, s16, v0
	v_add_co_ci_u32_e64 v1, null, s17, v1, vcc_lo
	s_waitcnt lgkmcnt(0)
	global_store_dword v[0:1], v20, off
	s_or_b32 exec_lo, exec_lo, s2
	s_and_b32 s0, s0, s14
	s_and_saveexec_b32 s1, s0
	s_cbranch_execnz .LBB389_213
.LBB389_131:
	s_endpgm
.LBB389_132:
	s_mov_b32 s1, 0
                                        ; implicit-def: $vgpr13_vgpr14
	s_cbranch_execz .LBB389_129
; %bb.133:
	s_add_u32 s2, s18, s24
	s_addc_u32 s3, s19, 0
	s_sub_u32 s2, s20, s2
	s_subb_u32 s3, s21, s3
	v_add_co_u32 v13, s2, s2, v16
	v_add_co_ci_u32_e64 v14, null, s3, 0, s2
	s_mov_b32 s2, exec_lo
	v_add_co_u32 v18, vcc_lo, v13, v15
	v_add_co_ci_u32_e64 v19, null, v14, v17, vcc_lo
	v_cmpx_gt_u32_e64 s15, v0
	s_cbranch_execz .LBB389_169
; %bb.134:
	s_mov_b32 s3, exec_lo
                                        ; implicit-def: $vgpr13_vgpr14
	v_cmpx_ge_u32_e64 v0, v16
	s_xor_b32 s3, exec_lo, s3
; %bb.135:
	v_not_b32_e32 v13, v0
	v_ashrrev_i32_e32 v14, 31, v13
	v_add_co_u32 v13, vcc_lo, v18, v13
	v_add_co_ci_u32_e64 v14, null, v19, v14, vcc_lo
; %bb.136:
	s_andn2_saveexec_b32 s3, s3
; %bb.137:
	v_add_co_u32 v13, vcc_lo, v15, v0
	v_add_co_ci_u32_e64 v14, null, 0, v17, vcc_lo
; %bb.138:
	s_or_b32 exec_lo, exec_lo, s3
	v_lshlrev_b64 v[13:14], 2, v[13:14]
	v_add_co_u32 v13, vcc_lo, s16, v13
	v_add_co_ci_u32_e64 v14, null, s17, v14, vcc_lo
	s_waitcnt lgkmcnt(6)
	global_store_dword v[13:14], v11, off
	s_or_b32 exec_lo, exec_lo, s2
	s_mov_b32 s2, exec_lo
	v_cmpx_gt_u32_e64 s15, v43
	s_cbranch_execnz .LBB389_170
.LBB389_139:
	s_or_b32 exec_lo, exec_lo, s2
	s_mov_b32 s2, exec_lo
	v_cmpx_gt_u32_e64 s15, v42
	s_cbranch_execz .LBB389_175
.LBB389_140:
	s_mov_b32 s3, exec_lo
                                        ; implicit-def: $vgpr11_vgpr12
	v_cmpx_ge_u32_e64 v42, v16
	s_xor_b32 s3, exec_lo, s3
	s_cbranch_execz .LBB389_142
; %bb.141:
	s_waitcnt lgkmcnt(6)
	v_xor_b32_e32 v11, 0xfffffdff, v0
                                        ; implicit-def: $vgpr42
	v_ashrrev_i32_e32 v12, 31, v11
	v_add_co_u32 v11, vcc_lo, v18, v11
	v_add_co_ci_u32_e64 v12, null, v19, v12, vcc_lo
.LBB389_142:
	s_andn2_saveexec_b32 s3, s3
	s_cbranch_execz .LBB389_144
; %bb.143:
	s_waitcnt lgkmcnt(6)
	v_add_co_u32 v11, vcc_lo, v15, v42
	v_add_co_ci_u32_e64 v12, null, 0, v17, vcc_lo
.LBB389_144:
	s_or_b32 exec_lo, exec_lo, s3
	s_waitcnt lgkmcnt(6)
	v_lshlrev_b64 v[11:12], 2, v[11:12]
	v_add_co_u32 v11, vcc_lo, s16, v11
	v_add_co_ci_u32_e64 v12, null, s17, v12, vcc_lo
	s_waitcnt lgkmcnt(5)
	global_store_dword v[11:12], v9, off
	s_or_b32 exec_lo, exec_lo, s2
	s_mov_b32 s2, exec_lo
	v_cmpx_gt_u32_e64 s15, v41
	s_cbranch_execnz .LBB389_176
.LBB389_145:
	s_or_b32 exec_lo, exec_lo, s2
	s_mov_b32 s2, exec_lo
	v_cmpx_gt_u32_e64 s15, v40
	s_cbranch_execz .LBB389_181
.LBB389_146:
	s_mov_b32 s3, exec_lo
                                        ; implicit-def: $vgpr9_vgpr10
	v_cmpx_ge_u32_e64 v40, v16
	s_xor_b32 s3, exec_lo, s3
	s_cbranch_execz .LBB389_148
; %bb.147:
	s_waitcnt lgkmcnt(5)
	v_xor_b32_e32 v9, 0xfffffbff, v0
                                        ; implicit-def: $vgpr40
	v_ashrrev_i32_e32 v10, 31, v9
	v_add_co_u32 v9, vcc_lo, v18, v9
	v_add_co_ci_u32_e64 v10, null, v19, v10, vcc_lo
.LBB389_148:
	s_andn2_saveexec_b32 s3, s3
	s_cbranch_execz .LBB389_150
; %bb.149:
	s_waitcnt lgkmcnt(5)
	v_add_co_u32 v9, vcc_lo, v15, v40
	v_add_co_ci_u32_e64 v10, null, 0, v17, vcc_lo
.LBB389_150:
	s_or_b32 exec_lo, exec_lo, s3
	s_waitcnt lgkmcnt(5)
	v_lshlrev_b64 v[9:10], 2, v[9:10]
	v_add_co_u32 v9, vcc_lo, s16, v9
	v_add_co_ci_u32_e64 v10, null, s17, v10, vcc_lo
	s_waitcnt lgkmcnt(4)
	global_store_dword v[9:10], v7, off
	s_or_b32 exec_lo, exec_lo, s2
	s_mov_b32 s2, exec_lo
	v_cmpx_gt_u32_e64 s15, v39
	s_cbranch_execnz .LBB389_182
.LBB389_151:
	s_or_b32 exec_lo, exec_lo, s2
	s_mov_b32 s2, exec_lo
	v_cmpx_gt_u32_e64 s15, v38
	s_cbranch_execz .LBB389_187
.LBB389_152:
	s_mov_b32 s3, exec_lo
                                        ; implicit-def: $vgpr7_vgpr8
	v_cmpx_ge_u32_e64 v38, v16
	s_xor_b32 s3, exec_lo, s3
	s_cbranch_execz .LBB389_154
; %bb.153:
	s_waitcnt lgkmcnt(4)
	v_xor_b32_e32 v7, 0xfffff9ff, v0
                                        ; implicit-def: $vgpr38
	v_ashrrev_i32_e32 v8, 31, v7
	v_add_co_u32 v7, vcc_lo, v18, v7
	v_add_co_ci_u32_e64 v8, null, v19, v8, vcc_lo
.LBB389_154:
	s_andn2_saveexec_b32 s3, s3
	s_cbranch_execz .LBB389_156
; %bb.155:
	s_waitcnt lgkmcnt(4)
	v_add_co_u32 v7, vcc_lo, v15, v38
	v_add_co_ci_u32_e64 v8, null, 0, v17, vcc_lo
.LBB389_156:
	s_or_b32 exec_lo, exec_lo, s3
	s_waitcnt lgkmcnt(4)
	v_lshlrev_b64 v[7:8], 2, v[7:8]
	v_add_co_u32 v7, vcc_lo, s16, v7
	v_add_co_ci_u32_e64 v8, null, s17, v8, vcc_lo
	s_waitcnt lgkmcnt(3)
	global_store_dword v[7:8], v5, off
	s_or_b32 exec_lo, exec_lo, s2
	s_mov_b32 s2, exec_lo
	v_cmpx_gt_u32_e64 s15, v37
	s_cbranch_execnz .LBB389_188
.LBB389_157:
	s_or_b32 exec_lo, exec_lo, s2
	s_mov_b32 s2, exec_lo
	v_cmpx_gt_u32_e64 s15, v36
	s_cbranch_execz .LBB389_193
.LBB389_158:
	s_mov_b32 s3, exec_lo
                                        ; implicit-def: $vgpr5_vgpr6
	v_cmpx_ge_u32_e64 v36, v16
	s_xor_b32 s3, exec_lo, s3
	s_cbranch_execz .LBB389_160
; %bb.159:
	s_waitcnt lgkmcnt(3)
	v_xor_b32_e32 v5, 0xfffff7ff, v0
                                        ; implicit-def: $vgpr36
	v_ashrrev_i32_e32 v6, 31, v5
	v_add_co_u32 v5, vcc_lo, v18, v5
	v_add_co_ci_u32_e64 v6, null, v19, v6, vcc_lo
.LBB389_160:
	s_andn2_saveexec_b32 s3, s3
	s_cbranch_execz .LBB389_162
; %bb.161:
	s_waitcnt lgkmcnt(3)
	v_add_co_u32 v5, vcc_lo, v15, v36
	v_add_co_ci_u32_e64 v6, null, 0, v17, vcc_lo
.LBB389_162:
	s_or_b32 exec_lo, exec_lo, s3
	s_waitcnt lgkmcnt(3)
	v_lshlrev_b64 v[5:6], 2, v[5:6]
	v_add_co_u32 v5, vcc_lo, s16, v5
	v_add_co_ci_u32_e64 v6, null, s17, v6, vcc_lo
	s_waitcnt lgkmcnt(2)
	global_store_dword v[5:6], v3, off
	s_or_b32 exec_lo, exec_lo, s2
	s_mov_b32 s2, exec_lo
	v_cmpx_gt_u32_e64 s15, v35
	s_cbranch_execnz .LBB389_194
.LBB389_163:
	s_or_b32 exec_lo, exec_lo, s2
	s_mov_b32 s2, exec_lo
	v_cmpx_gt_u32_e64 s15, v34
	s_cbranch_execz .LBB389_199
.LBB389_164:
	s_mov_b32 s3, exec_lo
                                        ; implicit-def: $vgpr3_vgpr4
	v_cmpx_ge_u32_e64 v34, v16
	s_xor_b32 s3, exec_lo, s3
	s_cbranch_execz .LBB389_166
; %bb.165:
	s_waitcnt lgkmcnt(2)
	v_xor_b32_e32 v3, 0xfffff5ff, v0
                                        ; implicit-def: $vgpr34
	v_ashrrev_i32_e32 v4, 31, v3
	v_add_co_u32 v3, vcc_lo, v18, v3
	v_add_co_ci_u32_e64 v4, null, v19, v4, vcc_lo
.LBB389_166:
	s_andn2_saveexec_b32 s3, s3
	s_cbranch_execz .LBB389_168
; %bb.167:
	s_waitcnt lgkmcnt(2)
	v_add_co_u32 v3, vcc_lo, v15, v34
	v_add_co_ci_u32_e64 v4, null, 0, v17, vcc_lo
.LBB389_168:
	s_or_b32 exec_lo, exec_lo, s3
	s_waitcnt lgkmcnt(2)
	v_lshlrev_b64 v[3:4], 2, v[3:4]
	v_add_co_u32 v3, vcc_lo, s16, v3
	v_add_co_ci_u32_e64 v4, null, s17, v4, vcc_lo
	s_waitcnt lgkmcnt(1)
	global_store_dword v[3:4], v1, off
	s_or_b32 exec_lo, exec_lo, s2
	s_mov_b32 s2, exec_lo
	v_cmpx_gt_u32_e64 s15, v33
	s_cbranch_execz .LBB389_205
	s_branch .LBB389_200
.LBB389_169:
	s_or_b32 exec_lo, exec_lo, s2
	s_mov_b32 s2, exec_lo
	v_cmpx_gt_u32_e64 s15, v43
	s_cbranch_execz .LBB389_139
.LBB389_170:
	s_mov_b32 s3, exec_lo
                                        ; implicit-def: $vgpr13_vgpr14
	v_cmpx_ge_u32_e64 v43, v16
	s_xor_b32 s3, exec_lo, s3
	s_cbranch_execz .LBB389_172
; %bb.171:
	s_waitcnt lgkmcnt(6)
	v_xor_b32_e32 v11, 0xfffffeff, v0
                                        ; implicit-def: $vgpr43
	v_ashrrev_i32_e32 v14, 31, v11
	v_add_co_u32 v13, vcc_lo, v18, v11
	v_add_co_ci_u32_e64 v14, null, v19, v14, vcc_lo
.LBB389_172:
	s_andn2_saveexec_b32 s3, s3
; %bb.173:
	v_add_co_u32 v13, vcc_lo, v15, v43
	v_add_co_ci_u32_e64 v14, null, 0, v17, vcc_lo
; %bb.174:
	s_or_b32 exec_lo, exec_lo, s3
	v_lshlrev_b64 v[13:14], 2, v[13:14]
	v_add_co_u32 v13, vcc_lo, s16, v13
	v_add_co_ci_u32_e64 v14, null, s17, v14, vcc_lo
	s_waitcnt lgkmcnt(6)
	global_store_dword v[13:14], v12, off
	s_or_b32 exec_lo, exec_lo, s2
	s_mov_b32 s2, exec_lo
	v_cmpx_gt_u32_e64 s15, v42
	s_cbranch_execnz .LBB389_140
.LBB389_175:
	s_or_b32 exec_lo, exec_lo, s2
	s_mov_b32 s2, exec_lo
	v_cmpx_gt_u32_e64 s15, v41
	s_cbranch_execz .LBB389_145
.LBB389_176:
	s_mov_b32 s3, exec_lo
                                        ; implicit-def: $vgpr11_vgpr12
	v_cmpx_ge_u32_e64 v41, v16
	s_xor_b32 s3, exec_lo, s3
	s_cbranch_execz .LBB389_178
; %bb.177:
	s_waitcnt lgkmcnt(5)
	v_xor_b32_e32 v9, 0xfffffcff, v0
                                        ; implicit-def: $vgpr41
	v_ashrrev_i32_e32 v12, 31, v9
	v_add_co_u32 v11, vcc_lo, v18, v9
	v_add_co_ci_u32_e64 v12, null, v19, v12, vcc_lo
.LBB389_178:
	s_andn2_saveexec_b32 s3, s3
	s_cbranch_execz .LBB389_180
; %bb.179:
	s_waitcnt lgkmcnt(6)
	v_add_co_u32 v11, vcc_lo, v15, v41
	v_add_co_ci_u32_e64 v12, null, 0, v17, vcc_lo
.LBB389_180:
	s_or_b32 exec_lo, exec_lo, s3
	s_waitcnt lgkmcnt(6)
	v_lshlrev_b64 v[11:12], 2, v[11:12]
	v_add_co_u32 v11, vcc_lo, s16, v11
	v_add_co_ci_u32_e64 v12, null, s17, v12, vcc_lo
	s_waitcnt lgkmcnt(5)
	global_store_dword v[11:12], v10, off
	s_or_b32 exec_lo, exec_lo, s2
	s_mov_b32 s2, exec_lo
	v_cmpx_gt_u32_e64 s15, v40
	s_cbranch_execnz .LBB389_146
.LBB389_181:
	s_or_b32 exec_lo, exec_lo, s2
	s_mov_b32 s2, exec_lo
	v_cmpx_gt_u32_e64 s15, v39
	s_cbranch_execz .LBB389_151
.LBB389_182:
	s_mov_b32 s3, exec_lo
                                        ; implicit-def: $vgpr9_vgpr10
	v_cmpx_ge_u32_e64 v39, v16
	s_xor_b32 s3, exec_lo, s3
	s_cbranch_execz .LBB389_184
; %bb.183:
	s_waitcnt lgkmcnt(4)
	v_xor_b32_e32 v7, 0xfffffaff, v0
                                        ; implicit-def: $vgpr39
	v_ashrrev_i32_e32 v10, 31, v7
	v_add_co_u32 v9, vcc_lo, v18, v7
	v_add_co_ci_u32_e64 v10, null, v19, v10, vcc_lo
.LBB389_184:
	s_andn2_saveexec_b32 s3, s3
	s_cbranch_execz .LBB389_186
; %bb.185:
	s_waitcnt lgkmcnt(5)
	v_add_co_u32 v9, vcc_lo, v15, v39
	v_add_co_ci_u32_e64 v10, null, 0, v17, vcc_lo
.LBB389_186:
	s_or_b32 exec_lo, exec_lo, s3
	s_waitcnt lgkmcnt(5)
	v_lshlrev_b64 v[9:10], 2, v[9:10]
	v_add_co_u32 v9, vcc_lo, s16, v9
	v_add_co_ci_u32_e64 v10, null, s17, v10, vcc_lo
	s_waitcnt lgkmcnt(4)
	global_store_dword v[9:10], v8, off
	s_or_b32 exec_lo, exec_lo, s2
	s_mov_b32 s2, exec_lo
	v_cmpx_gt_u32_e64 s15, v38
	s_cbranch_execnz .LBB389_152
.LBB389_187:
	s_or_b32 exec_lo, exec_lo, s2
	s_mov_b32 s2, exec_lo
	v_cmpx_gt_u32_e64 s15, v37
	s_cbranch_execz .LBB389_157
.LBB389_188:
	s_mov_b32 s3, exec_lo
                                        ; implicit-def: $vgpr7_vgpr8
	v_cmpx_ge_u32_e64 v37, v16
	s_xor_b32 s3, exec_lo, s3
	s_cbranch_execz .LBB389_190
; %bb.189:
	s_waitcnt lgkmcnt(3)
	v_xor_b32_e32 v5, 0xfffff8ff, v0
                                        ; implicit-def: $vgpr37
	v_ashrrev_i32_e32 v8, 31, v5
	v_add_co_u32 v7, vcc_lo, v18, v5
	v_add_co_ci_u32_e64 v8, null, v19, v8, vcc_lo
.LBB389_190:
	s_andn2_saveexec_b32 s3, s3
	s_cbranch_execz .LBB389_192
; %bb.191:
	s_waitcnt lgkmcnt(4)
	v_add_co_u32 v7, vcc_lo, v15, v37
	v_add_co_ci_u32_e64 v8, null, 0, v17, vcc_lo
.LBB389_192:
	s_or_b32 exec_lo, exec_lo, s3
	s_waitcnt lgkmcnt(4)
	v_lshlrev_b64 v[7:8], 2, v[7:8]
	v_add_co_u32 v7, vcc_lo, s16, v7
	v_add_co_ci_u32_e64 v8, null, s17, v8, vcc_lo
	s_waitcnt lgkmcnt(3)
	global_store_dword v[7:8], v6, off
	s_or_b32 exec_lo, exec_lo, s2
	s_mov_b32 s2, exec_lo
	v_cmpx_gt_u32_e64 s15, v36
	s_cbranch_execnz .LBB389_158
.LBB389_193:
	s_or_b32 exec_lo, exec_lo, s2
	s_mov_b32 s2, exec_lo
	v_cmpx_gt_u32_e64 s15, v35
	s_cbranch_execz .LBB389_163
.LBB389_194:
	s_mov_b32 s3, exec_lo
                                        ; implicit-def: $vgpr5_vgpr6
	v_cmpx_ge_u32_e64 v35, v16
	s_xor_b32 s3, exec_lo, s3
	s_cbranch_execz .LBB389_196
; %bb.195:
	s_waitcnt lgkmcnt(2)
	v_xor_b32_e32 v3, 0xfffff6ff, v0
                                        ; implicit-def: $vgpr35
	v_ashrrev_i32_e32 v6, 31, v3
	v_add_co_u32 v5, vcc_lo, v18, v3
	v_add_co_ci_u32_e64 v6, null, v19, v6, vcc_lo
.LBB389_196:
	s_andn2_saveexec_b32 s3, s3
	s_cbranch_execz .LBB389_198
; %bb.197:
	s_waitcnt lgkmcnt(3)
	v_add_co_u32 v5, vcc_lo, v15, v35
	v_add_co_ci_u32_e64 v6, null, 0, v17, vcc_lo
.LBB389_198:
	s_or_b32 exec_lo, exec_lo, s3
	s_waitcnt lgkmcnt(3)
	v_lshlrev_b64 v[5:6], 2, v[5:6]
	v_add_co_u32 v5, vcc_lo, s16, v5
	v_add_co_ci_u32_e64 v6, null, s17, v6, vcc_lo
	s_waitcnt lgkmcnt(2)
	global_store_dword v[5:6], v4, off
	s_or_b32 exec_lo, exec_lo, s2
	s_mov_b32 s2, exec_lo
	v_cmpx_gt_u32_e64 s15, v34
	s_cbranch_execnz .LBB389_164
.LBB389_199:
	s_or_b32 exec_lo, exec_lo, s2
	s_mov_b32 s2, exec_lo
	v_cmpx_gt_u32_e64 s15, v33
	s_cbranch_execz .LBB389_205
.LBB389_200:
	s_mov_b32 s3, exec_lo
                                        ; implicit-def: $vgpr3_vgpr4
	v_cmpx_ge_u32_e64 v33, v16
	s_xor_b32 s3, exec_lo, s3
	s_cbranch_execz .LBB389_202
; %bb.201:
	s_waitcnt lgkmcnt(1)
	v_xor_b32_e32 v1, 0xfffff4ff, v0
                                        ; implicit-def: $vgpr33
	v_ashrrev_i32_e32 v4, 31, v1
	v_add_co_u32 v3, vcc_lo, v18, v1
	v_add_co_ci_u32_e64 v4, null, v19, v4, vcc_lo
.LBB389_202:
	s_andn2_saveexec_b32 s3, s3
	s_cbranch_execz .LBB389_204
; %bb.203:
	s_waitcnt lgkmcnt(2)
	v_add_co_u32 v3, vcc_lo, v15, v33
	v_add_co_ci_u32_e64 v4, null, 0, v17, vcc_lo
.LBB389_204:
	s_or_b32 exec_lo, exec_lo, s3
	s_waitcnt lgkmcnt(2)
	v_lshlrev_b64 v[3:4], 2, v[3:4]
	v_add_co_u32 v3, vcc_lo, s16, v3
	v_add_co_ci_u32_e64 v4, null, s17, v4, vcc_lo
	s_waitcnt lgkmcnt(1)
	global_store_dword v[3:4], v2, off
.LBB389_205:
	s_or_b32 exec_lo, exec_lo, s2
	s_mov_b32 s2, exec_lo
                                        ; implicit-def: $vgpr13_vgpr14
	v_cmpx_gt_u32_e64 s15, v32
	s_cbranch_execz .LBB389_211
; %bb.206:
	s_mov_b32 s3, exec_lo
                                        ; implicit-def: $vgpr13_vgpr14
	v_cmpx_ge_u32_e64 v32, v16
	s_xor_b32 s3, exec_lo, s3
	s_cbranch_execz .LBB389_208
; %bb.207:
	v_xor_b32_e32 v0, 0xfffff3ff, v0
                                        ; implicit-def: $vgpr32
	s_waitcnt lgkmcnt(1)
	v_ashrrev_i32_e32 v1, 31, v0
	v_add_co_u32 v13, vcc_lo, v18, v0
	v_add_co_ci_u32_e64 v14, null, v19, v1, vcc_lo
.LBB389_208:
	s_andn2_saveexec_b32 s3, s3
; %bb.209:
	v_add_co_u32 v13, vcc_lo, v15, v32
	v_add_co_ci_u32_e64 v14, null, 0, v17, vcc_lo
; %bb.210:
	s_or_b32 exec_lo, exec_lo, s3
	s_or_b32 s1, s1, exec_lo
.LBB389_211:
	s_or_b32 exec_lo, exec_lo, s2
	s_and_saveexec_b32 s2, s1
	s_cbranch_execnz .LBB389_130
.LBB389_212:
	s_or_b32 exec_lo, exec_lo, s2
	s_and_b32 s0, s0, s14
	s_and_saveexec_b32 s1, s0
	s_cbranch_execz .LBB389_131
.LBB389_213:
	v_add_co_u32 v0, vcc_lo, v15, v16
	s_waitcnt lgkmcnt(1)
	v_mov_b32_e32 v2, 0
	v_add_co_ci_u32_e64 v1, null, 0, v17, vcc_lo
	global_store_dwordx2 v2, v[0:1], s[12:13]
	s_endpgm
	.section	.rodata,"a",@progbits
	.p2align	6, 0x0
	.amdhsa_kernel _ZN7rocprim17ROCPRIM_400000_NS6detail17trampoline_kernelINS0_13select_configILj256ELj13ELNS0_17block_load_methodE3ELS4_3ELS4_3ELNS0_20block_scan_algorithmE0ELj4294967295EEENS1_25partition_config_selectorILNS1_17partition_subalgoE3EjNS0_10empty_typeEbEEZZNS1_14partition_implILS8_3ELb0ES6_jNS0_17counting_iteratorIjlEEPS9_SE_NS0_5tupleIJPjSE_EEENSF_IJSE_SE_EEES9_SG_JZNS1_25segmented_radix_sort_implINS0_14default_configELb0EPKaPaPKlPlN2at6native12_GLOBAL__N_18offset_tEEE10hipError_tPvRmT1_PNSt15iterator_traitsISY_E10value_typeET2_T3_PNSZ_IS14_E10value_typeET4_jRbjT5_S1A_jjP12ihipStream_tbEUljE_EEESV_SW_SX_S14_S18_S1A_T6_T7_T9_mT8_S1C_bDpT10_ENKUlT_T0_E_clISt17integral_constantIbLb0EES1O_IbLb1EEEEDaS1K_S1L_EUlS1K_E_NS1_11comp_targetILNS1_3genE8ELNS1_11target_archE1030ELNS1_3gpuE2ELNS1_3repE0EEENS1_30default_config_static_selectorELNS0_4arch9wavefront6targetE0EEEvSY_
		.amdhsa_group_segment_fixed_size 13320
		.amdhsa_private_segment_fixed_size 0
		.amdhsa_kernarg_size 152
		.amdhsa_user_sgpr_count 6
		.amdhsa_user_sgpr_private_segment_buffer 1
		.amdhsa_user_sgpr_dispatch_ptr 0
		.amdhsa_user_sgpr_queue_ptr 0
		.amdhsa_user_sgpr_kernarg_segment_ptr 1
		.amdhsa_user_sgpr_dispatch_id 0
		.amdhsa_user_sgpr_flat_scratch_init 0
		.amdhsa_user_sgpr_private_segment_size 0
		.amdhsa_wavefront_size32 1
		.amdhsa_uses_dynamic_stack 0
		.amdhsa_system_sgpr_private_segment_wavefront_offset 0
		.amdhsa_system_sgpr_workgroup_id_x 1
		.amdhsa_system_sgpr_workgroup_id_y 0
		.amdhsa_system_sgpr_workgroup_id_z 0
		.amdhsa_system_sgpr_workgroup_info 0
		.amdhsa_system_vgpr_workitem_id 0
		.amdhsa_next_free_vgpr 71
		.amdhsa_next_free_sgpr 26
		.amdhsa_reserve_vcc 1
		.amdhsa_reserve_flat_scratch 0
		.amdhsa_float_round_mode_32 0
		.amdhsa_float_round_mode_16_64 0
		.amdhsa_float_denorm_mode_32 3
		.amdhsa_float_denorm_mode_16_64 3
		.amdhsa_dx10_clamp 1
		.amdhsa_ieee_mode 1
		.amdhsa_fp16_overflow 0
		.amdhsa_workgroup_processor_mode 1
		.amdhsa_memory_ordered 1
		.amdhsa_forward_progress 1
		.amdhsa_shared_vgpr_count 0
		.amdhsa_exception_fp_ieee_invalid_op 0
		.amdhsa_exception_fp_denorm_src 0
		.amdhsa_exception_fp_ieee_div_zero 0
		.amdhsa_exception_fp_ieee_overflow 0
		.amdhsa_exception_fp_ieee_underflow 0
		.amdhsa_exception_fp_ieee_inexact 0
		.amdhsa_exception_int_div_zero 0
	.end_amdhsa_kernel
	.section	.text._ZN7rocprim17ROCPRIM_400000_NS6detail17trampoline_kernelINS0_13select_configILj256ELj13ELNS0_17block_load_methodE3ELS4_3ELS4_3ELNS0_20block_scan_algorithmE0ELj4294967295EEENS1_25partition_config_selectorILNS1_17partition_subalgoE3EjNS0_10empty_typeEbEEZZNS1_14partition_implILS8_3ELb0ES6_jNS0_17counting_iteratorIjlEEPS9_SE_NS0_5tupleIJPjSE_EEENSF_IJSE_SE_EEES9_SG_JZNS1_25segmented_radix_sort_implINS0_14default_configELb0EPKaPaPKlPlN2at6native12_GLOBAL__N_18offset_tEEE10hipError_tPvRmT1_PNSt15iterator_traitsISY_E10value_typeET2_T3_PNSZ_IS14_E10value_typeET4_jRbjT5_S1A_jjP12ihipStream_tbEUljE_EEESV_SW_SX_S14_S18_S1A_T6_T7_T9_mT8_S1C_bDpT10_ENKUlT_T0_E_clISt17integral_constantIbLb0EES1O_IbLb1EEEEDaS1K_S1L_EUlS1K_E_NS1_11comp_targetILNS1_3genE8ELNS1_11target_archE1030ELNS1_3gpuE2ELNS1_3repE0EEENS1_30default_config_static_selectorELNS0_4arch9wavefront6targetE0EEEvSY_,"axG",@progbits,_ZN7rocprim17ROCPRIM_400000_NS6detail17trampoline_kernelINS0_13select_configILj256ELj13ELNS0_17block_load_methodE3ELS4_3ELS4_3ELNS0_20block_scan_algorithmE0ELj4294967295EEENS1_25partition_config_selectorILNS1_17partition_subalgoE3EjNS0_10empty_typeEbEEZZNS1_14partition_implILS8_3ELb0ES6_jNS0_17counting_iteratorIjlEEPS9_SE_NS0_5tupleIJPjSE_EEENSF_IJSE_SE_EEES9_SG_JZNS1_25segmented_radix_sort_implINS0_14default_configELb0EPKaPaPKlPlN2at6native12_GLOBAL__N_18offset_tEEE10hipError_tPvRmT1_PNSt15iterator_traitsISY_E10value_typeET2_T3_PNSZ_IS14_E10value_typeET4_jRbjT5_S1A_jjP12ihipStream_tbEUljE_EEESV_SW_SX_S14_S18_S1A_T6_T7_T9_mT8_S1C_bDpT10_ENKUlT_T0_E_clISt17integral_constantIbLb0EES1O_IbLb1EEEEDaS1K_S1L_EUlS1K_E_NS1_11comp_targetILNS1_3genE8ELNS1_11target_archE1030ELNS1_3gpuE2ELNS1_3repE0EEENS1_30default_config_static_selectorELNS0_4arch9wavefront6targetE0EEEvSY_,comdat
.Lfunc_end389:
	.size	_ZN7rocprim17ROCPRIM_400000_NS6detail17trampoline_kernelINS0_13select_configILj256ELj13ELNS0_17block_load_methodE3ELS4_3ELS4_3ELNS0_20block_scan_algorithmE0ELj4294967295EEENS1_25partition_config_selectorILNS1_17partition_subalgoE3EjNS0_10empty_typeEbEEZZNS1_14partition_implILS8_3ELb0ES6_jNS0_17counting_iteratorIjlEEPS9_SE_NS0_5tupleIJPjSE_EEENSF_IJSE_SE_EEES9_SG_JZNS1_25segmented_radix_sort_implINS0_14default_configELb0EPKaPaPKlPlN2at6native12_GLOBAL__N_18offset_tEEE10hipError_tPvRmT1_PNSt15iterator_traitsISY_E10value_typeET2_T3_PNSZ_IS14_E10value_typeET4_jRbjT5_S1A_jjP12ihipStream_tbEUljE_EEESV_SW_SX_S14_S18_S1A_T6_T7_T9_mT8_S1C_bDpT10_ENKUlT_T0_E_clISt17integral_constantIbLb0EES1O_IbLb1EEEEDaS1K_S1L_EUlS1K_E_NS1_11comp_targetILNS1_3genE8ELNS1_11target_archE1030ELNS1_3gpuE2ELNS1_3repE0EEENS1_30default_config_static_selectorELNS0_4arch9wavefront6targetE0EEEvSY_, .Lfunc_end389-_ZN7rocprim17ROCPRIM_400000_NS6detail17trampoline_kernelINS0_13select_configILj256ELj13ELNS0_17block_load_methodE3ELS4_3ELS4_3ELNS0_20block_scan_algorithmE0ELj4294967295EEENS1_25partition_config_selectorILNS1_17partition_subalgoE3EjNS0_10empty_typeEbEEZZNS1_14partition_implILS8_3ELb0ES6_jNS0_17counting_iteratorIjlEEPS9_SE_NS0_5tupleIJPjSE_EEENSF_IJSE_SE_EEES9_SG_JZNS1_25segmented_radix_sort_implINS0_14default_configELb0EPKaPaPKlPlN2at6native12_GLOBAL__N_18offset_tEEE10hipError_tPvRmT1_PNSt15iterator_traitsISY_E10value_typeET2_T3_PNSZ_IS14_E10value_typeET4_jRbjT5_S1A_jjP12ihipStream_tbEUljE_EEESV_SW_SX_S14_S18_S1A_T6_T7_T9_mT8_S1C_bDpT10_ENKUlT_T0_E_clISt17integral_constantIbLb0EES1O_IbLb1EEEEDaS1K_S1L_EUlS1K_E_NS1_11comp_targetILNS1_3genE8ELNS1_11target_archE1030ELNS1_3gpuE2ELNS1_3repE0EEENS1_30default_config_static_selectorELNS0_4arch9wavefront6targetE0EEEvSY_
                                        ; -- End function
	.set _ZN7rocprim17ROCPRIM_400000_NS6detail17trampoline_kernelINS0_13select_configILj256ELj13ELNS0_17block_load_methodE3ELS4_3ELS4_3ELNS0_20block_scan_algorithmE0ELj4294967295EEENS1_25partition_config_selectorILNS1_17partition_subalgoE3EjNS0_10empty_typeEbEEZZNS1_14partition_implILS8_3ELb0ES6_jNS0_17counting_iteratorIjlEEPS9_SE_NS0_5tupleIJPjSE_EEENSF_IJSE_SE_EEES9_SG_JZNS1_25segmented_radix_sort_implINS0_14default_configELb0EPKaPaPKlPlN2at6native12_GLOBAL__N_18offset_tEEE10hipError_tPvRmT1_PNSt15iterator_traitsISY_E10value_typeET2_T3_PNSZ_IS14_E10value_typeET4_jRbjT5_S1A_jjP12ihipStream_tbEUljE_EEESV_SW_SX_S14_S18_S1A_T6_T7_T9_mT8_S1C_bDpT10_ENKUlT_T0_E_clISt17integral_constantIbLb0EES1O_IbLb1EEEEDaS1K_S1L_EUlS1K_E_NS1_11comp_targetILNS1_3genE8ELNS1_11target_archE1030ELNS1_3gpuE2ELNS1_3repE0EEENS1_30default_config_static_selectorELNS0_4arch9wavefront6targetE0EEEvSY_.num_vgpr, 71
	.set _ZN7rocprim17ROCPRIM_400000_NS6detail17trampoline_kernelINS0_13select_configILj256ELj13ELNS0_17block_load_methodE3ELS4_3ELS4_3ELNS0_20block_scan_algorithmE0ELj4294967295EEENS1_25partition_config_selectorILNS1_17partition_subalgoE3EjNS0_10empty_typeEbEEZZNS1_14partition_implILS8_3ELb0ES6_jNS0_17counting_iteratorIjlEEPS9_SE_NS0_5tupleIJPjSE_EEENSF_IJSE_SE_EEES9_SG_JZNS1_25segmented_radix_sort_implINS0_14default_configELb0EPKaPaPKlPlN2at6native12_GLOBAL__N_18offset_tEEE10hipError_tPvRmT1_PNSt15iterator_traitsISY_E10value_typeET2_T3_PNSZ_IS14_E10value_typeET4_jRbjT5_S1A_jjP12ihipStream_tbEUljE_EEESV_SW_SX_S14_S18_S1A_T6_T7_T9_mT8_S1C_bDpT10_ENKUlT_T0_E_clISt17integral_constantIbLb0EES1O_IbLb1EEEEDaS1K_S1L_EUlS1K_E_NS1_11comp_targetILNS1_3genE8ELNS1_11target_archE1030ELNS1_3gpuE2ELNS1_3repE0EEENS1_30default_config_static_selectorELNS0_4arch9wavefront6targetE0EEEvSY_.num_agpr, 0
	.set _ZN7rocprim17ROCPRIM_400000_NS6detail17trampoline_kernelINS0_13select_configILj256ELj13ELNS0_17block_load_methodE3ELS4_3ELS4_3ELNS0_20block_scan_algorithmE0ELj4294967295EEENS1_25partition_config_selectorILNS1_17partition_subalgoE3EjNS0_10empty_typeEbEEZZNS1_14partition_implILS8_3ELb0ES6_jNS0_17counting_iteratorIjlEEPS9_SE_NS0_5tupleIJPjSE_EEENSF_IJSE_SE_EEES9_SG_JZNS1_25segmented_radix_sort_implINS0_14default_configELb0EPKaPaPKlPlN2at6native12_GLOBAL__N_18offset_tEEE10hipError_tPvRmT1_PNSt15iterator_traitsISY_E10value_typeET2_T3_PNSZ_IS14_E10value_typeET4_jRbjT5_S1A_jjP12ihipStream_tbEUljE_EEESV_SW_SX_S14_S18_S1A_T6_T7_T9_mT8_S1C_bDpT10_ENKUlT_T0_E_clISt17integral_constantIbLb0EES1O_IbLb1EEEEDaS1K_S1L_EUlS1K_E_NS1_11comp_targetILNS1_3genE8ELNS1_11target_archE1030ELNS1_3gpuE2ELNS1_3repE0EEENS1_30default_config_static_selectorELNS0_4arch9wavefront6targetE0EEEvSY_.numbered_sgpr, 26
	.set _ZN7rocprim17ROCPRIM_400000_NS6detail17trampoline_kernelINS0_13select_configILj256ELj13ELNS0_17block_load_methodE3ELS4_3ELS4_3ELNS0_20block_scan_algorithmE0ELj4294967295EEENS1_25partition_config_selectorILNS1_17partition_subalgoE3EjNS0_10empty_typeEbEEZZNS1_14partition_implILS8_3ELb0ES6_jNS0_17counting_iteratorIjlEEPS9_SE_NS0_5tupleIJPjSE_EEENSF_IJSE_SE_EEES9_SG_JZNS1_25segmented_radix_sort_implINS0_14default_configELb0EPKaPaPKlPlN2at6native12_GLOBAL__N_18offset_tEEE10hipError_tPvRmT1_PNSt15iterator_traitsISY_E10value_typeET2_T3_PNSZ_IS14_E10value_typeET4_jRbjT5_S1A_jjP12ihipStream_tbEUljE_EEESV_SW_SX_S14_S18_S1A_T6_T7_T9_mT8_S1C_bDpT10_ENKUlT_T0_E_clISt17integral_constantIbLb0EES1O_IbLb1EEEEDaS1K_S1L_EUlS1K_E_NS1_11comp_targetILNS1_3genE8ELNS1_11target_archE1030ELNS1_3gpuE2ELNS1_3repE0EEENS1_30default_config_static_selectorELNS0_4arch9wavefront6targetE0EEEvSY_.num_named_barrier, 0
	.set _ZN7rocprim17ROCPRIM_400000_NS6detail17trampoline_kernelINS0_13select_configILj256ELj13ELNS0_17block_load_methodE3ELS4_3ELS4_3ELNS0_20block_scan_algorithmE0ELj4294967295EEENS1_25partition_config_selectorILNS1_17partition_subalgoE3EjNS0_10empty_typeEbEEZZNS1_14partition_implILS8_3ELb0ES6_jNS0_17counting_iteratorIjlEEPS9_SE_NS0_5tupleIJPjSE_EEENSF_IJSE_SE_EEES9_SG_JZNS1_25segmented_radix_sort_implINS0_14default_configELb0EPKaPaPKlPlN2at6native12_GLOBAL__N_18offset_tEEE10hipError_tPvRmT1_PNSt15iterator_traitsISY_E10value_typeET2_T3_PNSZ_IS14_E10value_typeET4_jRbjT5_S1A_jjP12ihipStream_tbEUljE_EEESV_SW_SX_S14_S18_S1A_T6_T7_T9_mT8_S1C_bDpT10_ENKUlT_T0_E_clISt17integral_constantIbLb0EES1O_IbLb1EEEEDaS1K_S1L_EUlS1K_E_NS1_11comp_targetILNS1_3genE8ELNS1_11target_archE1030ELNS1_3gpuE2ELNS1_3repE0EEENS1_30default_config_static_selectorELNS0_4arch9wavefront6targetE0EEEvSY_.private_seg_size, 0
	.set _ZN7rocprim17ROCPRIM_400000_NS6detail17trampoline_kernelINS0_13select_configILj256ELj13ELNS0_17block_load_methodE3ELS4_3ELS4_3ELNS0_20block_scan_algorithmE0ELj4294967295EEENS1_25partition_config_selectorILNS1_17partition_subalgoE3EjNS0_10empty_typeEbEEZZNS1_14partition_implILS8_3ELb0ES6_jNS0_17counting_iteratorIjlEEPS9_SE_NS0_5tupleIJPjSE_EEENSF_IJSE_SE_EEES9_SG_JZNS1_25segmented_radix_sort_implINS0_14default_configELb0EPKaPaPKlPlN2at6native12_GLOBAL__N_18offset_tEEE10hipError_tPvRmT1_PNSt15iterator_traitsISY_E10value_typeET2_T3_PNSZ_IS14_E10value_typeET4_jRbjT5_S1A_jjP12ihipStream_tbEUljE_EEESV_SW_SX_S14_S18_S1A_T6_T7_T9_mT8_S1C_bDpT10_ENKUlT_T0_E_clISt17integral_constantIbLb0EES1O_IbLb1EEEEDaS1K_S1L_EUlS1K_E_NS1_11comp_targetILNS1_3genE8ELNS1_11target_archE1030ELNS1_3gpuE2ELNS1_3repE0EEENS1_30default_config_static_selectorELNS0_4arch9wavefront6targetE0EEEvSY_.uses_vcc, 1
	.set _ZN7rocprim17ROCPRIM_400000_NS6detail17trampoline_kernelINS0_13select_configILj256ELj13ELNS0_17block_load_methodE3ELS4_3ELS4_3ELNS0_20block_scan_algorithmE0ELj4294967295EEENS1_25partition_config_selectorILNS1_17partition_subalgoE3EjNS0_10empty_typeEbEEZZNS1_14partition_implILS8_3ELb0ES6_jNS0_17counting_iteratorIjlEEPS9_SE_NS0_5tupleIJPjSE_EEENSF_IJSE_SE_EEES9_SG_JZNS1_25segmented_radix_sort_implINS0_14default_configELb0EPKaPaPKlPlN2at6native12_GLOBAL__N_18offset_tEEE10hipError_tPvRmT1_PNSt15iterator_traitsISY_E10value_typeET2_T3_PNSZ_IS14_E10value_typeET4_jRbjT5_S1A_jjP12ihipStream_tbEUljE_EEESV_SW_SX_S14_S18_S1A_T6_T7_T9_mT8_S1C_bDpT10_ENKUlT_T0_E_clISt17integral_constantIbLb0EES1O_IbLb1EEEEDaS1K_S1L_EUlS1K_E_NS1_11comp_targetILNS1_3genE8ELNS1_11target_archE1030ELNS1_3gpuE2ELNS1_3repE0EEENS1_30default_config_static_selectorELNS0_4arch9wavefront6targetE0EEEvSY_.uses_flat_scratch, 0
	.set _ZN7rocprim17ROCPRIM_400000_NS6detail17trampoline_kernelINS0_13select_configILj256ELj13ELNS0_17block_load_methodE3ELS4_3ELS4_3ELNS0_20block_scan_algorithmE0ELj4294967295EEENS1_25partition_config_selectorILNS1_17partition_subalgoE3EjNS0_10empty_typeEbEEZZNS1_14partition_implILS8_3ELb0ES6_jNS0_17counting_iteratorIjlEEPS9_SE_NS0_5tupleIJPjSE_EEENSF_IJSE_SE_EEES9_SG_JZNS1_25segmented_radix_sort_implINS0_14default_configELb0EPKaPaPKlPlN2at6native12_GLOBAL__N_18offset_tEEE10hipError_tPvRmT1_PNSt15iterator_traitsISY_E10value_typeET2_T3_PNSZ_IS14_E10value_typeET4_jRbjT5_S1A_jjP12ihipStream_tbEUljE_EEESV_SW_SX_S14_S18_S1A_T6_T7_T9_mT8_S1C_bDpT10_ENKUlT_T0_E_clISt17integral_constantIbLb0EES1O_IbLb1EEEEDaS1K_S1L_EUlS1K_E_NS1_11comp_targetILNS1_3genE8ELNS1_11target_archE1030ELNS1_3gpuE2ELNS1_3repE0EEENS1_30default_config_static_selectorELNS0_4arch9wavefront6targetE0EEEvSY_.has_dyn_sized_stack, 0
	.set _ZN7rocprim17ROCPRIM_400000_NS6detail17trampoline_kernelINS0_13select_configILj256ELj13ELNS0_17block_load_methodE3ELS4_3ELS4_3ELNS0_20block_scan_algorithmE0ELj4294967295EEENS1_25partition_config_selectorILNS1_17partition_subalgoE3EjNS0_10empty_typeEbEEZZNS1_14partition_implILS8_3ELb0ES6_jNS0_17counting_iteratorIjlEEPS9_SE_NS0_5tupleIJPjSE_EEENSF_IJSE_SE_EEES9_SG_JZNS1_25segmented_radix_sort_implINS0_14default_configELb0EPKaPaPKlPlN2at6native12_GLOBAL__N_18offset_tEEE10hipError_tPvRmT1_PNSt15iterator_traitsISY_E10value_typeET2_T3_PNSZ_IS14_E10value_typeET4_jRbjT5_S1A_jjP12ihipStream_tbEUljE_EEESV_SW_SX_S14_S18_S1A_T6_T7_T9_mT8_S1C_bDpT10_ENKUlT_T0_E_clISt17integral_constantIbLb0EES1O_IbLb1EEEEDaS1K_S1L_EUlS1K_E_NS1_11comp_targetILNS1_3genE8ELNS1_11target_archE1030ELNS1_3gpuE2ELNS1_3repE0EEENS1_30default_config_static_selectorELNS0_4arch9wavefront6targetE0EEEvSY_.has_recursion, 0
	.set _ZN7rocprim17ROCPRIM_400000_NS6detail17trampoline_kernelINS0_13select_configILj256ELj13ELNS0_17block_load_methodE3ELS4_3ELS4_3ELNS0_20block_scan_algorithmE0ELj4294967295EEENS1_25partition_config_selectorILNS1_17partition_subalgoE3EjNS0_10empty_typeEbEEZZNS1_14partition_implILS8_3ELb0ES6_jNS0_17counting_iteratorIjlEEPS9_SE_NS0_5tupleIJPjSE_EEENSF_IJSE_SE_EEES9_SG_JZNS1_25segmented_radix_sort_implINS0_14default_configELb0EPKaPaPKlPlN2at6native12_GLOBAL__N_18offset_tEEE10hipError_tPvRmT1_PNSt15iterator_traitsISY_E10value_typeET2_T3_PNSZ_IS14_E10value_typeET4_jRbjT5_S1A_jjP12ihipStream_tbEUljE_EEESV_SW_SX_S14_S18_S1A_T6_T7_T9_mT8_S1C_bDpT10_ENKUlT_T0_E_clISt17integral_constantIbLb0EES1O_IbLb1EEEEDaS1K_S1L_EUlS1K_E_NS1_11comp_targetILNS1_3genE8ELNS1_11target_archE1030ELNS1_3gpuE2ELNS1_3repE0EEENS1_30default_config_static_selectorELNS0_4arch9wavefront6targetE0EEEvSY_.has_indirect_call, 0
	.section	.AMDGPU.csdata,"",@progbits
; Kernel info:
; codeLenInByte = 8704
; TotalNumSgprs: 28
; NumVgprs: 71
; ScratchSize: 0
; MemoryBound: 0
; FloatMode: 240
; IeeeMode: 1
; LDSByteSize: 13320 bytes/workgroup (compile time only)
; SGPRBlocks: 0
; VGPRBlocks: 8
; NumSGPRsForWavesPerEU: 28
; NumVGPRsForWavesPerEU: 71
; Occupancy: 12
; WaveLimiterHint : 0
; COMPUTE_PGM_RSRC2:SCRATCH_EN: 0
; COMPUTE_PGM_RSRC2:USER_SGPR: 6
; COMPUTE_PGM_RSRC2:TRAP_HANDLER: 0
; COMPUTE_PGM_RSRC2:TGID_X_EN: 1
; COMPUTE_PGM_RSRC2:TGID_Y_EN: 0
; COMPUTE_PGM_RSRC2:TGID_Z_EN: 0
; COMPUTE_PGM_RSRC2:TIDIG_COMP_CNT: 0
	.section	.text._ZN7rocprim17ROCPRIM_400000_NS6detail17trampoline_kernelINS0_14default_configENS1_36segmented_radix_sort_config_selectorIalEEZNS1_25segmented_radix_sort_implIS3_Lb0EPKaPaPKlPlN2at6native12_GLOBAL__N_18offset_tEEE10hipError_tPvRmT1_PNSt15iterator_traitsISK_E10value_typeET2_T3_PNSL_ISQ_E10value_typeET4_jRbjT5_SW_jjP12ihipStream_tbEUlT_E_NS1_11comp_targetILNS1_3genE0ELNS1_11target_archE4294967295ELNS1_3gpuE0ELNS1_3repE0EEENS1_30default_config_static_selectorELNS0_4arch9wavefront6targetE0EEEvSK_,"axG",@progbits,_ZN7rocprim17ROCPRIM_400000_NS6detail17trampoline_kernelINS0_14default_configENS1_36segmented_radix_sort_config_selectorIalEEZNS1_25segmented_radix_sort_implIS3_Lb0EPKaPaPKlPlN2at6native12_GLOBAL__N_18offset_tEEE10hipError_tPvRmT1_PNSt15iterator_traitsISK_E10value_typeET2_T3_PNSL_ISQ_E10value_typeET4_jRbjT5_SW_jjP12ihipStream_tbEUlT_E_NS1_11comp_targetILNS1_3genE0ELNS1_11target_archE4294967295ELNS1_3gpuE0ELNS1_3repE0EEENS1_30default_config_static_selectorELNS0_4arch9wavefront6targetE0EEEvSK_,comdat
	.globl	_ZN7rocprim17ROCPRIM_400000_NS6detail17trampoline_kernelINS0_14default_configENS1_36segmented_radix_sort_config_selectorIalEEZNS1_25segmented_radix_sort_implIS3_Lb0EPKaPaPKlPlN2at6native12_GLOBAL__N_18offset_tEEE10hipError_tPvRmT1_PNSt15iterator_traitsISK_E10value_typeET2_T3_PNSL_ISQ_E10value_typeET4_jRbjT5_SW_jjP12ihipStream_tbEUlT_E_NS1_11comp_targetILNS1_3genE0ELNS1_11target_archE4294967295ELNS1_3gpuE0ELNS1_3repE0EEENS1_30default_config_static_selectorELNS0_4arch9wavefront6targetE0EEEvSK_ ; -- Begin function _ZN7rocprim17ROCPRIM_400000_NS6detail17trampoline_kernelINS0_14default_configENS1_36segmented_radix_sort_config_selectorIalEEZNS1_25segmented_radix_sort_implIS3_Lb0EPKaPaPKlPlN2at6native12_GLOBAL__N_18offset_tEEE10hipError_tPvRmT1_PNSt15iterator_traitsISK_E10value_typeET2_T3_PNSL_ISQ_E10value_typeET4_jRbjT5_SW_jjP12ihipStream_tbEUlT_E_NS1_11comp_targetILNS1_3genE0ELNS1_11target_archE4294967295ELNS1_3gpuE0ELNS1_3repE0EEENS1_30default_config_static_selectorELNS0_4arch9wavefront6targetE0EEEvSK_
	.p2align	8
	.type	_ZN7rocprim17ROCPRIM_400000_NS6detail17trampoline_kernelINS0_14default_configENS1_36segmented_radix_sort_config_selectorIalEEZNS1_25segmented_radix_sort_implIS3_Lb0EPKaPaPKlPlN2at6native12_GLOBAL__N_18offset_tEEE10hipError_tPvRmT1_PNSt15iterator_traitsISK_E10value_typeET2_T3_PNSL_ISQ_E10value_typeET4_jRbjT5_SW_jjP12ihipStream_tbEUlT_E_NS1_11comp_targetILNS1_3genE0ELNS1_11target_archE4294967295ELNS1_3gpuE0ELNS1_3repE0EEENS1_30default_config_static_selectorELNS0_4arch9wavefront6targetE0EEEvSK_,@function
_ZN7rocprim17ROCPRIM_400000_NS6detail17trampoline_kernelINS0_14default_configENS1_36segmented_radix_sort_config_selectorIalEEZNS1_25segmented_radix_sort_implIS3_Lb0EPKaPaPKlPlN2at6native12_GLOBAL__N_18offset_tEEE10hipError_tPvRmT1_PNSt15iterator_traitsISK_E10value_typeET2_T3_PNSL_ISQ_E10value_typeET4_jRbjT5_SW_jjP12ihipStream_tbEUlT_E_NS1_11comp_targetILNS1_3genE0ELNS1_11target_archE4294967295ELNS1_3gpuE0ELNS1_3repE0EEENS1_30default_config_static_selectorELNS0_4arch9wavefront6targetE0EEEvSK_: ; @_ZN7rocprim17ROCPRIM_400000_NS6detail17trampoline_kernelINS0_14default_configENS1_36segmented_radix_sort_config_selectorIalEEZNS1_25segmented_radix_sort_implIS3_Lb0EPKaPaPKlPlN2at6native12_GLOBAL__N_18offset_tEEE10hipError_tPvRmT1_PNSt15iterator_traitsISK_E10value_typeET2_T3_PNSL_ISQ_E10value_typeET4_jRbjT5_SW_jjP12ihipStream_tbEUlT_E_NS1_11comp_targetILNS1_3genE0ELNS1_11target_archE4294967295ELNS1_3gpuE0ELNS1_3repE0EEENS1_30default_config_static_selectorELNS0_4arch9wavefront6targetE0EEEvSK_
; %bb.0:
	.section	.rodata,"a",@progbits
	.p2align	6, 0x0
	.amdhsa_kernel _ZN7rocprim17ROCPRIM_400000_NS6detail17trampoline_kernelINS0_14default_configENS1_36segmented_radix_sort_config_selectorIalEEZNS1_25segmented_radix_sort_implIS3_Lb0EPKaPaPKlPlN2at6native12_GLOBAL__N_18offset_tEEE10hipError_tPvRmT1_PNSt15iterator_traitsISK_E10value_typeET2_T3_PNSL_ISQ_E10value_typeET4_jRbjT5_SW_jjP12ihipStream_tbEUlT_E_NS1_11comp_targetILNS1_3genE0ELNS1_11target_archE4294967295ELNS1_3gpuE0ELNS1_3repE0EEENS1_30default_config_static_selectorELNS0_4arch9wavefront6targetE0EEEvSK_
		.amdhsa_group_segment_fixed_size 0
		.amdhsa_private_segment_fixed_size 0
		.amdhsa_kernarg_size 96
		.amdhsa_user_sgpr_count 6
		.amdhsa_user_sgpr_private_segment_buffer 1
		.amdhsa_user_sgpr_dispatch_ptr 0
		.amdhsa_user_sgpr_queue_ptr 0
		.amdhsa_user_sgpr_kernarg_segment_ptr 1
		.amdhsa_user_sgpr_dispatch_id 0
		.amdhsa_user_sgpr_flat_scratch_init 0
		.amdhsa_user_sgpr_private_segment_size 0
		.amdhsa_wavefront_size32 1
		.amdhsa_uses_dynamic_stack 0
		.amdhsa_system_sgpr_private_segment_wavefront_offset 0
		.amdhsa_system_sgpr_workgroup_id_x 1
		.amdhsa_system_sgpr_workgroup_id_y 0
		.amdhsa_system_sgpr_workgroup_id_z 0
		.amdhsa_system_sgpr_workgroup_info 0
		.amdhsa_system_vgpr_workitem_id 0
		.amdhsa_next_free_vgpr 1
		.amdhsa_next_free_sgpr 1
		.amdhsa_reserve_vcc 0
		.amdhsa_reserve_flat_scratch 0
		.amdhsa_float_round_mode_32 0
		.amdhsa_float_round_mode_16_64 0
		.amdhsa_float_denorm_mode_32 3
		.amdhsa_float_denorm_mode_16_64 3
		.amdhsa_dx10_clamp 1
		.amdhsa_ieee_mode 1
		.amdhsa_fp16_overflow 0
		.amdhsa_workgroup_processor_mode 1
		.amdhsa_memory_ordered 1
		.amdhsa_forward_progress 1
		.amdhsa_shared_vgpr_count 0
		.amdhsa_exception_fp_ieee_invalid_op 0
		.amdhsa_exception_fp_denorm_src 0
		.amdhsa_exception_fp_ieee_div_zero 0
		.amdhsa_exception_fp_ieee_overflow 0
		.amdhsa_exception_fp_ieee_underflow 0
		.amdhsa_exception_fp_ieee_inexact 0
		.amdhsa_exception_int_div_zero 0
	.end_amdhsa_kernel
	.section	.text._ZN7rocprim17ROCPRIM_400000_NS6detail17trampoline_kernelINS0_14default_configENS1_36segmented_radix_sort_config_selectorIalEEZNS1_25segmented_radix_sort_implIS3_Lb0EPKaPaPKlPlN2at6native12_GLOBAL__N_18offset_tEEE10hipError_tPvRmT1_PNSt15iterator_traitsISK_E10value_typeET2_T3_PNSL_ISQ_E10value_typeET4_jRbjT5_SW_jjP12ihipStream_tbEUlT_E_NS1_11comp_targetILNS1_3genE0ELNS1_11target_archE4294967295ELNS1_3gpuE0ELNS1_3repE0EEENS1_30default_config_static_selectorELNS0_4arch9wavefront6targetE0EEEvSK_,"axG",@progbits,_ZN7rocprim17ROCPRIM_400000_NS6detail17trampoline_kernelINS0_14default_configENS1_36segmented_radix_sort_config_selectorIalEEZNS1_25segmented_radix_sort_implIS3_Lb0EPKaPaPKlPlN2at6native12_GLOBAL__N_18offset_tEEE10hipError_tPvRmT1_PNSt15iterator_traitsISK_E10value_typeET2_T3_PNSL_ISQ_E10value_typeET4_jRbjT5_SW_jjP12ihipStream_tbEUlT_E_NS1_11comp_targetILNS1_3genE0ELNS1_11target_archE4294967295ELNS1_3gpuE0ELNS1_3repE0EEENS1_30default_config_static_selectorELNS0_4arch9wavefront6targetE0EEEvSK_,comdat
.Lfunc_end390:
	.size	_ZN7rocprim17ROCPRIM_400000_NS6detail17trampoline_kernelINS0_14default_configENS1_36segmented_radix_sort_config_selectorIalEEZNS1_25segmented_radix_sort_implIS3_Lb0EPKaPaPKlPlN2at6native12_GLOBAL__N_18offset_tEEE10hipError_tPvRmT1_PNSt15iterator_traitsISK_E10value_typeET2_T3_PNSL_ISQ_E10value_typeET4_jRbjT5_SW_jjP12ihipStream_tbEUlT_E_NS1_11comp_targetILNS1_3genE0ELNS1_11target_archE4294967295ELNS1_3gpuE0ELNS1_3repE0EEENS1_30default_config_static_selectorELNS0_4arch9wavefront6targetE0EEEvSK_, .Lfunc_end390-_ZN7rocprim17ROCPRIM_400000_NS6detail17trampoline_kernelINS0_14default_configENS1_36segmented_radix_sort_config_selectorIalEEZNS1_25segmented_radix_sort_implIS3_Lb0EPKaPaPKlPlN2at6native12_GLOBAL__N_18offset_tEEE10hipError_tPvRmT1_PNSt15iterator_traitsISK_E10value_typeET2_T3_PNSL_ISQ_E10value_typeET4_jRbjT5_SW_jjP12ihipStream_tbEUlT_E_NS1_11comp_targetILNS1_3genE0ELNS1_11target_archE4294967295ELNS1_3gpuE0ELNS1_3repE0EEENS1_30default_config_static_selectorELNS0_4arch9wavefront6targetE0EEEvSK_
                                        ; -- End function
	.set _ZN7rocprim17ROCPRIM_400000_NS6detail17trampoline_kernelINS0_14default_configENS1_36segmented_radix_sort_config_selectorIalEEZNS1_25segmented_radix_sort_implIS3_Lb0EPKaPaPKlPlN2at6native12_GLOBAL__N_18offset_tEEE10hipError_tPvRmT1_PNSt15iterator_traitsISK_E10value_typeET2_T3_PNSL_ISQ_E10value_typeET4_jRbjT5_SW_jjP12ihipStream_tbEUlT_E_NS1_11comp_targetILNS1_3genE0ELNS1_11target_archE4294967295ELNS1_3gpuE0ELNS1_3repE0EEENS1_30default_config_static_selectorELNS0_4arch9wavefront6targetE0EEEvSK_.num_vgpr, 0
	.set _ZN7rocprim17ROCPRIM_400000_NS6detail17trampoline_kernelINS0_14default_configENS1_36segmented_radix_sort_config_selectorIalEEZNS1_25segmented_radix_sort_implIS3_Lb0EPKaPaPKlPlN2at6native12_GLOBAL__N_18offset_tEEE10hipError_tPvRmT1_PNSt15iterator_traitsISK_E10value_typeET2_T3_PNSL_ISQ_E10value_typeET4_jRbjT5_SW_jjP12ihipStream_tbEUlT_E_NS1_11comp_targetILNS1_3genE0ELNS1_11target_archE4294967295ELNS1_3gpuE0ELNS1_3repE0EEENS1_30default_config_static_selectorELNS0_4arch9wavefront6targetE0EEEvSK_.num_agpr, 0
	.set _ZN7rocprim17ROCPRIM_400000_NS6detail17trampoline_kernelINS0_14default_configENS1_36segmented_radix_sort_config_selectorIalEEZNS1_25segmented_radix_sort_implIS3_Lb0EPKaPaPKlPlN2at6native12_GLOBAL__N_18offset_tEEE10hipError_tPvRmT1_PNSt15iterator_traitsISK_E10value_typeET2_T3_PNSL_ISQ_E10value_typeET4_jRbjT5_SW_jjP12ihipStream_tbEUlT_E_NS1_11comp_targetILNS1_3genE0ELNS1_11target_archE4294967295ELNS1_3gpuE0ELNS1_3repE0EEENS1_30default_config_static_selectorELNS0_4arch9wavefront6targetE0EEEvSK_.numbered_sgpr, 0
	.set _ZN7rocprim17ROCPRIM_400000_NS6detail17trampoline_kernelINS0_14default_configENS1_36segmented_radix_sort_config_selectorIalEEZNS1_25segmented_radix_sort_implIS3_Lb0EPKaPaPKlPlN2at6native12_GLOBAL__N_18offset_tEEE10hipError_tPvRmT1_PNSt15iterator_traitsISK_E10value_typeET2_T3_PNSL_ISQ_E10value_typeET4_jRbjT5_SW_jjP12ihipStream_tbEUlT_E_NS1_11comp_targetILNS1_3genE0ELNS1_11target_archE4294967295ELNS1_3gpuE0ELNS1_3repE0EEENS1_30default_config_static_selectorELNS0_4arch9wavefront6targetE0EEEvSK_.num_named_barrier, 0
	.set _ZN7rocprim17ROCPRIM_400000_NS6detail17trampoline_kernelINS0_14default_configENS1_36segmented_radix_sort_config_selectorIalEEZNS1_25segmented_radix_sort_implIS3_Lb0EPKaPaPKlPlN2at6native12_GLOBAL__N_18offset_tEEE10hipError_tPvRmT1_PNSt15iterator_traitsISK_E10value_typeET2_T3_PNSL_ISQ_E10value_typeET4_jRbjT5_SW_jjP12ihipStream_tbEUlT_E_NS1_11comp_targetILNS1_3genE0ELNS1_11target_archE4294967295ELNS1_3gpuE0ELNS1_3repE0EEENS1_30default_config_static_selectorELNS0_4arch9wavefront6targetE0EEEvSK_.private_seg_size, 0
	.set _ZN7rocprim17ROCPRIM_400000_NS6detail17trampoline_kernelINS0_14default_configENS1_36segmented_radix_sort_config_selectorIalEEZNS1_25segmented_radix_sort_implIS3_Lb0EPKaPaPKlPlN2at6native12_GLOBAL__N_18offset_tEEE10hipError_tPvRmT1_PNSt15iterator_traitsISK_E10value_typeET2_T3_PNSL_ISQ_E10value_typeET4_jRbjT5_SW_jjP12ihipStream_tbEUlT_E_NS1_11comp_targetILNS1_3genE0ELNS1_11target_archE4294967295ELNS1_3gpuE0ELNS1_3repE0EEENS1_30default_config_static_selectorELNS0_4arch9wavefront6targetE0EEEvSK_.uses_vcc, 0
	.set _ZN7rocprim17ROCPRIM_400000_NS6detail17trampoline_kernelINS0_14default_configENS1_36segmented_radix_sort_config_selectorIalEEZNS1_25segmented_radix_sort_implIS3_Lb0EPKaPaPKlPlN2at6native12_GLOBAL__N_18offset_tEEE10hipError_tPvRmT1_PNSt15iterator_traitsISK_E10value_typeET2_T3_PNSL_ISQ_E10value_typeET4_jRbjT5_SW_jjP12ihipStream_tbEUlT_E_NS1_11comp_targetILNS1_3genE0ELNS1_11target_archE4294967295ELNS1_3gpuE0ELNS1_3repE0EEENS1_30default_config_static_selectorELNS0_4arch9wavefront6targetE0EEEvSK_.uses_flat_scratch, 0
	.set _ZN7rocprim17ROCPRIM_400000_NS6detail17trampoline_kernelINS0_14default_configENS1_36segmented_radix_sort_config_selectorIalEEZNS1_25segmented_radix_sort_implIS3_Lb0EPKaPaPKlPlN2at6native12_GLOBAL__N_18offset_tEEE10hipError_tPvRmT1_PNSt15iterator_traitsISK_E10value_typeET2_T3_PNSL_ISQ_E10value_typeET4_jRbjT5_SW_jjP12ihipStream_tbEUlT_E_NS1_11comp_targetILNS1_3genE0ELNS1_11target_archE4294967295ELNS1_3gpuE0ELNS1_3repE0EEENS1_30default_config_static_selectorELNS0_4arch9wavefront6targetE0EEEvSK_.has_dyn_sized_stack, 0
	.set _ZN7rocprim17ROCPRIM_400000_NS6detail17trampoline_kernelINS0_14default_configENS1_36segmented_radix_sort_config_selectorIalEEZNS1_25segmented_radix_sort_implIS3_Lb0EPKaPaPKlPlN2at6native12_GLOBAL__N_18offset_tEEE10hipError_tPvRmT1_PNSt15iterator_traitsISK_E10value_typeET2_T3_PNSL_ISQ_E10value_typeET4_jRbjT5_SW_jjP12ihipStream_tbEUlT_E_NS1_11comp_targetILNS1_3genE0ELNS1_11target_archE4294967295ELNS1_3gpuE0ELNS1_3repE0EEENS1_30default_config_static_selectorELNS0_4arch9wavefront6targetE0EEEvSK_.has_recursion, 0
	.set _ZN7rocprim17ROCPRIM_400000_NS6detail17trampoline_kernelINS0_14default_configENS1_36segmented_radix_sort_config_selectorIalEEZNS1_25segmented_radix_sort_implIS3_Lb0EPKaPaPKlPlN2at6native12_GLOBAL__N_18offset_tEEE10hipError_tPvRmT1_PNSt15iterator_traitsISK_E10value_typeET2_T3_PNSL_ISQ_E10value_typeET4_jRbjT5_SW_jjP12ihipStream_tbEUlT_E_NS1_11comp_targetILNS1_3genE0ELNS1_11target_archE4294967295ELNS1_3gpuE0ELNS1_3repE0EEENS1_30default_config_static_selectorELNS0_4arch9wavefront6targetE0EEEvSK_.has_indirect_call, 0
	.section	.AMDGPU.csdata,"",@progbits
; Kernel info:
; codeLenInByte = 0
; TotalNumSgprs: 0
; NumVgprs: 0
; ScratchSize: 0
; MemoryBound: 0
; FloatMode: 240
; IeeeMode: 1
; LDSByteSize: 0 bytes/workgroup (compile time only)
; SGPRBlocks: 0
; VGPRBlocks: 0
; NumSGPRsForWavesPerEU: 1
; NumVGPRsForWavesPerEU: 1
; Occupancy: 16
; WaveLimiterHint : 0
; COMPUTE_PGM_RSRC2:SCRATCH_EN: 0
; COMPUTE_PGM_RSRC2:USER_SGPR: 6
; COMPUTE_PGM_RSRC2:TRAP_HANDLER: 0
; COMPUTE_PGM_RSRC2:TGID_X_EN: 1
; COMPUTE_PGM_RSRC2:TGID_Y_EN: 0
; COMPUTE_PGM_RSRC2:TGID_Z_EN: 0
; COMPUTE_PGM_RSRC2:TIDIG_COMP_CNT: 0
	.section	.text._ZN7rocprim17ROCPRIM_400000_NS6detail17trampoline_kernelINS0_14default_configENS1_36segmented_radix_sort_config_selectorIalEEZNS1_25segmented_radix_sort_implIS3_Lb0EPKaPaPKlPlN2at6native12_GLOBAL__N_18offset_tEEE10hipError_tPvRmT1_PNSt15iterator_traitsISK_E10value_typeET2_T3_PNSL_ISQ_E10value_typeET4_jRbjT5_SW_jjP12ihipStream_tbEUlT_E_NS1_11comp_targetILNS1_3genE5ELNS1_11target_archE942ELNS1_3gpuE9ELNS1_3repE0EEENS1_30default_config_static_selectorELNS0_4arch9wavefront6targetE0EEEvSK_,"axG",@progbits,_ZN7rocprim17ROCPRIM_400000_NS6detail17trampoline_kernelINS0_14default_configENS1_36segmented_radix_sort_config_selectorIalEEZNS1_25segmented_radix_sort_implIS3_Lb0EPKaPaPKlPlN2at6native12_GLOBAL__N_18offset_tEEE10hipError_tPvRmT1_PNSt15iterator_traitsISK_E10value_typeET2_T3_PNSL_ISQ_E10value_typeET4_jRbjT5_SW_jjP12ihipStream_tbEUlT_E_NS1_11comp_targetILNS1_3genE5ELNS1_11target_archE942ELNS1_3gpuE9ELNS1_3repE0EEENS1_30default_config_static_selectorELNS0_4arch9wavefront6targetE0EEEvSK_,comdat
	.globl	_ZN7rocprim17ROCPRIM_400000_NS6detail17trampoline_kernelINS0_14default_configENS1_36segmented_radix_sort_config_selectorIalEEZNS1_25segmented_radix_sort_implIS3_Lb0EPKaPaPKlPlN2at6native12_GLOBAL__N_18offset_tEEE10hipError_tPvRmT1_PNSt15iterator_traitsISK_E10value_typeET2_T3_PNSL_ISQ_E10value_typeET4_jRbjT5_SW_jjP12ihipStream_tbEUlT_E_NS1_11comp_targetILNS1_3genE5ELNS1_11target_archE942ELNS1_3gpuE9ELNS1_3repE0EEENS1_30default_config_static_selectorELNS0_4arch9wavefront6targetE0EEEvSK_ ; -- Begin function _ZN7rocprim17ROCPRIM_400000_NS6detail17trampoline_kernelINS0_14default_configENS1_36segmented_radix_sort_config_selectorIalEEZNS1_25segmented_radix_sort_implIS3_Lb0EPKaPaPKlPlN2at6native12_GLOBAL__N_18offset_tEEE10hipError_tPvRmT1_PNSt15iterator_traitsISK_E10value_typeET2_T3_PNSL_ISQ_E10value_typeET4_jRbjT5_SW_jjP12ihipStream_tbEUlT_E_NS1_11comp_targetILNS1_3genE5ELNS1_11target_archE942ELNS1_3gpuE9ELNS1_3repE0EEENS1_30default_config_static_selectorELNS0_4arch9wavefront6targetE0EEEvSK_
	.p2align	8
	.type	_ZN7rocprim17ROCPRIM_400000_NS6detail17trampoline_kernelINS0_14default_configENS1_36segmented_radix_sort_config_selectorIalEEZNS1_25segmented_radix_sort_implIS3_Lb0EPKaPaPKlPlN2at6native12_GLOBAL__N_18offset_tEEE10hipError_tPvRmT1_PNSt15iterator_traitsISK_E10value_typeET2_T3_PNSL_ISQ_E10value_typeET4_jRbjT5_SW_jjP12ihipStream_tbEUlT_E_NS1_11comp_targetILNS1_3genE5ELNS1_11target_archE942ELNS1_3gpuE9ELNS1_3repE0EEENS1_30default_config_static_selectorELNS0_4arch9wavefront6targetE0EEEvSK_,@function
_ZN7rocprim17ROCPRIM_400000_NS6detail17trampoline_kernelINS0_14default_configENS1_36segmented_radix_sort_config_selectorIalEEZNS1_25segmented_radix_sort_implIS3_Lb0EPKaPaPKlPlN2at6native12_GLOBAL__N_18offset_tEEE10hipError_tPvRmT1_PNSt15iterator_traitsISK_E10value_typeET2_T3_PNSL_ISQ_E10value_typeET4_jRbjT5_SW_jjP12ihipStream_tbEUlT_E_NS1_11comp_targetILNS1_3genE5ELNS1_11target_archE942ELNS1_3gpuE9ELNS1_3repE0EEENS1_30default_config_static_selectorELNS0_4arch9wavefront6targetE0EEEvSK_: ; @_ZN7rocprim17ROCPRIM_400000_NS6detail17trampoline_kernelINS0_14default_configENS1_36segmented_radix_sort_config_selectorIalEEZNS1_25segmented_radix_sort_implIS3_Lb0EPKaPaPKlPlN2at6native12_GLOBAL__N_18offset_tEEE10hipError_tPvRmT1_PNSt15iterator_traitsISK_E10value_typeET2_T3_PNSL_ISQ_E10value_typeET4_jRbjT5_SW_jjP12ihipStream_tbEUlT_E_NS1_11comp_targetILNS1_3genE5ELNS1_11target_archE942ELNS1_3gpuE9ELNS1_3repE0EEENS1_30default_config_static_selectorELNS0_4arch9wavefront6targetE0EEEvSK_
; %bb.0:
	.section	.rodata,"a",@progbits
	.p2align	6, 0x0
	.amdhsa_kernel _ZN7rocprim17ROCPRIM_400000_NS6detail17trampoline_kernelINS0_14default_configENS1_36segmented_radix_sort_config_selectorIalEEZNS1_25segmented_radix_sort_implIS3_Lb0EPKaPaPKlPlN2at6native12_GLOBAL__N_18offset_tEEE10hipError_tPvRmT1_PNSt15iterator_traitsISK_E10value_typeET2_T3_PNSL_ISQ_E10value_typeET4_jRbjT5_SW_jjP12ihipStream_tbEUlT_E_NS1_11comp_targetILNS1_3genE5ELNS1_11target_archE942ELNS1_3gpuE9ELNS1_3repE0EEENS1_30default_config_static_selectorELNS0_4arch9wavefront6targetE0EEEvSK_
		.amdhsa_group_segment_fixed_size 0
		.amdhsa_private_segment_fixed_size 0
		.amdhsa_kernarg_size 96
		.amdhsa_user_sgpr_count 6
		.amdhsa_user_sgpr_private_segment_buffer 1
		.amdhsa_user_sgpr_dispatch_ptr 0
		.amdhsa_user_sgpr_queue_ptr 0
		.amdhsa_user_sgpr_kernarg_segment_ptr 1
		.amdhsa_user_sgpr_dispatch_id 0
		.amdhsa_user_sgpr_flat_scratch_init 0
		.amdhsa_user_sgpr_private_segment_size 0
		.amdhsa_wavefront_size32 1
		.amdhsa_uses_dynamic_stack 0
		.amdhsa_system_sgpr_private_segment_wavefront_offset 0
		.amdhsa_system_sgpr_workgroup_id_x 1
		.amdhsa_system_sgpr_workgroup_id_y 0
		.amdhsa_system_sgpr_workgroup_id_z 0
		.amdhsa_system_sgpr_workgroup_info 0
		.amdhsa_system_vgpr_workitem_id 0
		.amdhsa_next_free_vgpr 1
		.amdhsa_next_free_sgpr 1
		.amdhsa_reserve_vcc 0
		.amdhsa_reserve_flat_scratch 0
		.amdhsa_float_round_mode_32 0
		.amdhsa_float_round_mode_16_64 0
		.amdhsa_float_denorm_mode_32 3
		.amdhsa_float_denorm_mode_16_64 3
		.amdhsa_dx10_clamp 1
		.amdhsa_ieee_mode 1
		.amdhsa_fp16_overflow 0
		.amdhsa_workgroup_processor_mode 1
		.amdhsa_memory_ordered 1
		.amdhsa_forward_progress 1
		.amdhsa_shared_vgpr_count 0
		.amdhsa_exception_fp_ieee_invalid_op 0
		.amdhsa_exception_fp_denorm_src 0
		.amdhsa_exception_fp_ieee_div_zero 0
		.amdhsa_exception_fp_ieee_overflow 0
		.amdhsa_exception_fp_ieee_underflow 0
		.amdhsa_exception_fp_ieee_inexact 0
		.amdhsa_exception_int_div_zero 0
	.end_amdhsa_kernel
	.section	.text._ZN7rocprim17ROCPRIM_400000_NS6detail17trampoline_kernelINS0_14default_configENS1_36segmented_radix_sort_config_selectorIalEEZNS1_25segmented_radix_sort_implIS3_Lb0EPKaPaPKlPlN2at6native12_GLOBAL__N_18offset_tEEE10hipError_tPvRmT1_PNSt15iterator_traitsISK_E10value_typeET2_T3_PNSL_ISQ_E10value_typeET4_jRbjT5_SW_jjP12ihipStream_tbEUlT_E_NS1_11comp_targetILNS1_3genE5ELNS1_11target_archE942ELNS1_3gpuE9ELNS1_3repE0EEENS1_30default_config_static_selectorELNS0_4arch9wavefront6targetE0EEEvSK_,"axG",@progbits,_ZN7rocprim17ROCPRIM_400000_NS6detail17trampoline_kernelINS0_14default_configENS1_36segmented_radix_sort_config_selectorIalEEZNS1_25segmented_radix_sort_implIS3_Lb0EPKaPaPKlPlN2at6native12_GLOBAL__N_18offset_tEEE10hipError_tPvRmT1_PNSt15iterator_traitsISK_E10value_typeET2_T3_PNSL_ISQ_E10value_typeET4_jRbjT5_SW_jjP12ihipStream_tbEUlT_E_NS1_11comp_targetILNS1_3genE5ELNS1_11target_archE942ELNS1_3gpuE9ELNS1_3repE0EEENS1_30default_config_static_selectorELNS0_4arch9wavefront6targetE0EEEvSK_,comdat
.Lfunc_end391:
	.size	_ZN7rocprim17ROCPRIM_400000_NS6detail17trampoline_kernelINS0_14default_configENS1_36segmented_radix_sort_config_selectorIalEEZNS1_25segmented_radix_sort_implIS3_Lb0EPKaPaPKlPlN2at6native12_GLOBAL__N_18offset_tEEE10hipError_tPvRmT1_PNSt15iterator_traitsISK_E10value_typeET2_T3_PNSL_ISQ_E10value_typeET4_jRbjT5_SW_jjP12ihipStream_tbEUlT_E_NS1_11comp_targetILNS1_3genE5ELNS1_11target_archE942ELNS1_3gpuE9ELNS1_3repE0EEENS1_30default_config_static_selectorELNS0_4arch9wavefront6targetE0EEEvSK_, .Lfunc_end391-_ZN7rocprim17ROCPRIM_400000_NS6detail17trampoline_kernelINS0_14default_configENS1_36segmented_radix_sort_config_selectorIalEEZNS1_25segmented_radix_sort_implIS3_Lb0EPKaPaPKlPlN2at6native12_GLOBAL__N_18offset_tEEE10hipError_tPvRmT1_PNSt15iterator_traitsISK_E10value_typeET2_T3_PNSL_ISQ_E10value_typeET4_jRbjT5_SW_jjP12ihipStream_tbEUlT_E_NS1_11comp_targetILNS1_3genE5ELNS1_11target_archE942ELNS1_3gpuE9ELNS1_3repE0EEENS1_30default_config_static_selectorELNS0_4arch9wavefront6targetE0EEEvSK_
                                        ; -- End function
	.set _ZN7rocprim17ROCPRIM_400000_NS6detail17trampoline_kernelINS0_14default_configENS1_36segmented_radix_sort_config_selectorIalEEZNS1_25segmented_radix_sort_implIS3_Lb0EPKaPaPKlPlN2at6native12_GLOBAL__N_18offset_tEEE10hipError_tPvRmT1_PNSt15iterator_traitsISK_E10value_typeET2_T3_PNSL_ISQ_E10value_typeET4_jRbjT5_SW_jjP12ihipStream_tbEUlT_E_NS1_11comp_targetILNS1_3genE5ELNS1_11target_archE942ELNS1_3gpuE9ELNS1_3repE0EEENS1_30default_config_static_selectorELNS0_4arch9wavefront6targetE0EEEvSK_.num_vgpr, 0
	.set _ZN7rocprim17ROCPRIM_400000_NS6detail17trampoline_kernelINS0_14default_configENS1_36segmented_radix_sort_config_selectorIalEEZNS1_25segmented_radix_sort_implIS3_Lb0EPKaPaPKlPlN2at6native12_GLOBAL__N_18offset_tEEE10hipError_tPvRmT1_PNSt15iterator_traitsISK_E10value_typeET2_T3_PNSL_ISQ_E10value_typeET4_jRbjT5_SW_jjP12ihipStream_tbEUlT_E_NS1_11comp_targetILNS1_3genE5ELNS1_11target_archE942ELNS1_3gpuE9ELNS1_3repE0EEENS1_30default_config_static_selectorELNS0_4arch9wavefront6targetE0EEEvSK_.num_agpr, 0
	.set _ZN7rocprim17ROCPRIM_400000_NS6detail17trampoline_kernelINS0_14default_configENS1_36segmented_radix_sort_config_selectorIalEEZNS1_25segmented_radix_sort_implIS3_Lb0EPKaPaPKlPlN2at6native12_GLOBAL__N_18offset_tEEE10hipError_tPvRmT1_PNSt15iterator_traitsISK_E10value_typeET2_T3_PNSL_ISQ_E10value_typeET4_jRbjT5_SW_jjP12ihipStream_tbEUlT_E_NS1_11comp_targetILNS1_3genE5ELNS1_11target_archE942ELNS1_3gpuE9ELNS1_3repE0EEENS1_30default_config_static_selectorELNS0_4arch9wavefront6targetE0EEEvSK_.numbered_sgpr, 0
	.set _ZN7rocprim17ROCPRIM_400000_NS6detail17trampoline_kernelINS0_14default_configENS1_36segmented_radix_sort_config_selectorIalEEZNS1_25segmented_radix_sort_implIS3_Lb0EPKaPaPKlPlN2at6native12_GLOBAL__N_18offset_tEEE10hipError_tPvRmT1_PNSt15iterator_traitsISK_E10value_typeET2_T3_PNSL_ISQ_E10value_typeET4_jRbjT5_SW_jjP12ihipStream_tbEUlT_E_NS1_11comp_targetILNS1_3genE5ELNS1_11target_archE942ELNS1_3gpuE9ELNS1_3repE0EEENS1_30default_config_static_selectorELNS0_4arch9wavefront6targetE0EEEvSK_.num_named_barrier, 0
	.set _ZN7rocprim17ROCPRIM_400000_NS6detail17trampoline_kernelINS0_14default_configENS1_36segmented_radix_sort_config_selectorIalEEZNS1_25segmented_radix_sort_implIS3_Lb0EPKaPaPKlPlN2at6native12_GLOBAL__N_18offset_tEEE10hipError_tPvRmT1_PNSt15iterator_traitsISK_E10value_typeET2_T3_PNSL_ISQ_E10value_typeET4_jRbjT5_SW_jjP12ihipStream_tbEUlT_E_NS1_11comp_targetILNS1_3genE5ELNS1_11target_archE942ELNS1_3gpuE9ELNS1_3repE0EEENS1_30default_config_static_selectorELNS0_4arch9wavefront6targetE0EEEvSK_.private_seg_size, 0
	.set _ZN7rocprim17ROCPRIM_400000_NS6detail17trampoline_kernelINS0_14default_configENS1_36segmented_radix_sort_config_selectorIalEEZNS1_25segmented_radix_sort_implIS3_Lb0EPKaPaPKlPlN2at6native12_GLOBAL__N_18offset_tEEE10hipError_tPvRmT1_PNSt15iterator_traitsISK_E10value_typeET2_T3_PNSL_ISQ_E10value_typeET4_jRbjT5_SW_jjP12ihipStream_tbEUlT_E_NS1_11comp_targetILNS1_3genE5ELNS1_11target_archE942ELNS1_3gpuE9ELNS1_3repE0EEENS1_30default_config_static_selectorELNS0_4arch9wavefront6targetE0EEEvSK_.uses_vcc, 0
	.set _ZN7rocprim17ROCPRIM_400000_NS6detail17trampoline_kernelINS0_14default_configENS1_36segmented_radix_sort_config_selectorIalEEZNS1_25segmented_radix_sort_implIS3_Lb0EPKaPaPKlPlN2at6native12_GLOBAL__N_18offset_tEEE10hipError_tPvRmT1_PNSt15iterator_traitsISK_E10value_typeET2_T3_PNSL_ISQ_E10value_typeET4_jRbjT5_SW_jjP12ihipStream_tbEUlT_E_NS1_11comp_targetILNS1_3genE5ELNS1_11target_archE942ELNS1_3gpuE9ELNS1_3repE0EEENS1_30default_config_static_selectorELNS0_4arch9wavefront6targetE0EEEvSK_.uses_flat_scratch, 0
	.set _ZN7rocprim17ROCPRIM_400000_NS6detail17trampoline_kernelINS0_14default_configENS1_36segmented_radix_sort_config_selectorIalEEZNS1_25segmented_radix_sort_implIS3_Lb0EPKaPaPKlPlN2at6native12_GLOBAL__N_18offset_tEEE10hipError_tPvRmT1_PNSt15iterator_traitsISK_E10value_typeET2_T3_PNSL_ISQ_E10value_typeET4_jRbjT5_SW_jjP12ihipStream_tbEUlT_E_NS1_11comp_targetILNS1_3genE5ELNS1_11target_archE942ELNS1_3gpuE9ELNS1_3repE0EEENS1_30default_config_static_selectorELNS0_4arch9wavefront6targetE0EEEvSK_.has_dyn_sized_stack, 0
	.set _ZN7rocprim17ROCPRIM_400000_NS6detail17trampoline_kernelINS0_14default_configENS1_36segmented_radix_sort_config_selectorIalEEZNS1_25segmented_radix_sort_implIS3_Lb0EPKaPaPKlPlN2at6native12_GLOBAL__N_18offset_tEEE10hipError_tPvRmT1_PNSt15iterator_traitsISK_E10value_typeET2_T3_PNSL_ISQ_E10value_typeET4_jRbjT5_SW_jjP12ihipStream_tbEUlT_E_NS1_11comp_targetILNS1_3genE5ELNS1_11target_archE942ELNS1_3gpuE9ELNS1_3repE0EEENS1_30default_config_static_selectorELNS0_4arch9wavefront6targetE0EEEvSK_.has_recursion, 0
	.set _ZN7rocprim17ROCPRIM_400000_NS6detail17trampoline_kernelINS0_14default_configENS1_36segmented_radix_sort_config_selectorIalEEZNS1_25segmented_radix_sort_implIS3_Lb0EPKaPaPKlPlN2at6native12_GLOBAL__N_18offset_tEEE10hipError_tPvRmT1_PNSt15iterator_traitsISK_E10value_typeET2_T3_PNSL_ISQ_E10value_typeET4_jRbjT5_SW_jjP12ihipStream_tbEUlT_E_NS1_11comp_targetILNS1_3genE5ELNS1_11target_archE942ELNS1_3gpuE9ELNS1_3repE0EEENS1_30default_config_static_selectorELNS0_4arch9wavefront6targetE0EEEvSK_.has_indirect_call, 0
	.section	.AMDGPU.csdata,"",@progbits
; Kernel info:
; codeLenInByte = 0
; TotalNumSgprs: 0
; NumVgprs: 0
; ScratchSize: 0
; MemoryBound: 0
; FloatMode: 240
; IeeeMode: 1
; LDSByteSize: 0 bytes/workgroup (compile time only)
; SGPRBlocks: 0
; VGPRBlocks: 0
; NumSGPRsForWavesPerEU: 1
; NumVGPRsForWavesPerEU: 1
; Occupancy: 16
; WaveLimiterHint : 0
; COMPUTE_PGM_RSRC2:SCRATCH_EN: 0
; COMPUTE_PGM_RSRC2:USER_SGPR: 6
; COMPUTE_PGM_RSRC2:TRAP_HANDLER: 0
; COMPUTE_PGM_RSRC2:TGID_X_EN: 1
; COMPUTE_PGM_RSRC2:TGID_Y_EN: 0
; COMPUTE_PGM_RSRC2:TGID_Z_EN: 0
; COMPUTE_PGM_RSRC2:TIDIG_COMP_CNT: 0
	.section	.text._ZN7rocprim17ROCPRIM_400000_NS6detail17trampoline_kernelINS0_14default_configENS1_36segmented_radix_sort_config_selectorIalEEZNS1_25segmented_radix_sort_implIS3_Lb0EPKaPaPKlPlN2at6native12_GLOBAL__N_18offset_tEEE10hipError_tPvRmT1_PNSt15iterator_traitsISK_E10value_typeET2_T3_PNSL_ISQ_E10value_typeET4_jRbjT5_SW_jjP12ihipStream_tbEUlT_E_NS1_11comp_targetILNS1_3genE4ELNS1_11target_archE910ELNS1_3gpuE8ELNS1_3repE0EEENS1_30default_config_static_selectorELNS0_4arch9wavefront6targetE0EEEvSK_,"axG",@progbits,_ZN7rocprim17ROCPRIM_400000_NS6detail17trampoline_kernelINS0_14default_configENS1_36segmented_radix_sort_config_selectorIalEEZNS1_25segmented_radix_sort_implIS3_Lb0EPKaPaPKlPlN2at6native12_GLOBAL__N_18offset_tEEE10hipError_tPvRmT1_PNSt15iterator_traitsISK_E10value_typeET2_T3_PNSL_ISQ_E10value_typeET4_jRbjT5_SW_jjP12ihipStream_tbEUlT_E_NS1_11comp_targetILNS1_3genE4ELNS1_11target_archE910ELNS1_3gpuE8ELNS1_3repE0EEENS1_30default_config_static_selectorELNS0_4arch9wavefront6targetE0EEEvSK_,comdat
	.globl	_ZN7rocprim17ROCPRIM_400000_NS6detail17trampoline_kernelINS0_14default_configENS1_36segmented_radix_sort_config_selectorIalEEZNS1_25segmented_radix_sort_implIS3_Lb0EPKaPaPKlPlN2at6native12_GLOBAL__N_18offset_tEEE10hipError_tPvRmT1_PNSt15iterator_traitsISK_E10value_typeET2_T3_PNSL_ISQ_E10value_typeET4_jRbjT5_SW_jjP12ihipStream_tbEUlT_E_NS1_11comp_targetILNS1_3genE4ELNS1_11target_archE910ELNS1_3gpuE8ELNS1_3repE0EEENS1_30default_config_static_selectorELNS0_4arch9wavefront6targetE0EEEvSK_ ; -- Begin function _ZN7rocprim17ROCPRIM_400000_NS6detail17trampoline_kernelINS0_14default_configENS1_36segmented_radix_sort_config_selectorIalEEZNS1_25segmented_radix_sort_implIS3_Lb0EPKaPaPKlPlN2at6native12_GLOBAL__N_18offset_tEEE10hipError_tPvRmT1_PNSt15iterator_traitsISK_E10value_typeET2_T3_PNSL_ISQ_E10value_typeET4_jRbjT5_SW_jjP12ihipStream_tbEUlT_E_NS1_11comp_targetILNS1_3genE4ELNS1_11target_archE910ELNS1_3gpuE8ELNS1_3repE0EEENS1_30default_config_static_selectorELNS0_4arch9wavefront6targetE0EEEvSK_
	.p2align	8
	.type	_ZN7rocprim17ROCPRIM_400000_NS6detail17trampoline_kernelINS0_14default_configENS1_36segmented_radix_sort_config_selectorIalEEZNS1_25segmented_radix_sort_implIS3_Lb0EPKaPaPKlPlN2at6native12_GLOBAL__N_18offset_tEEE10hipError_tPvRmT1_PNSt15iterator_traitsISK_E10value_typeET2_T3_PNSL_ISQ_E10value_typeET4_jRbjT5_SW_jjP12ihipStream_tbEUlT_E_NS1_11comp_targetILNS1_3genE4ELNS1_11target_archE910ELNS1_3gpuE8ELNS1_3repE0EEENS1_30default_config_static_selectorELNS0_4arch9wavefront6targetE0EEEvSK_,@function
_ZN7rocprim17ROCPRIM_400000_NS6detail17trampoline_kernelINS0_14default_configENS1_36segmented_radix_sort_config_selectorIalEEZNS1_25segmented_radix_sort_implIS3_Lb0EPKaPaPKlPlN2at6native12_GLOBAL__N_18offset_tEEE10hipError_tPvRmT1_PNSt15iterator_traitsISK_E10value_typeET2_T3_PNSL_ISQ_E10value_typeET4_jRbjT5_SW_jjP12ihipStream_tbEUlT_E_NS1_11comp_targetILNS1_3genE4ELNS1_11target_archE910ELNS1_3gpuE8ELNS1_3repE0EEENS1_30default_config_static_selectorELNS0_4arch9wavefront6targetE0EEEvSK_: ; @_ZN7rocprim17ROCPRIM_400000_NS6detail17trampoline_kernelINS0_14default_configENS1_36segmented_radix_sort_config_selectorIalEEZNS1_25segmented_radix_sort_implIS3_Lb0EPKaPaPKlPlN2at6native12_GLOBAL__N_18offset_tEEE10hipError_tPvRmT1_PNSt15iterator_traitsISK_E10value_typeET2_T3_PNSL_ISQ_E10value_typeET4_jRbjT5_SW_jjP12ihipStream_tbEUlT_E_NS1_11comp_targetILNS1_3genE4ELNS1_11target_archE910ELNS1_3gpuE8ELNS1_3repE0EEENS1_30default_config_static_selectorELNS0_4arch9wavefront6targetE0EEEvSK_
; %bb.0:
	.section	.rodata,"a",@progbits
	.p2align	6, 0x0
	.amdhsa_kernel _ZN7rocprim17ROCPRIM_400000_NS6detail17trampoline_kernelINS0_14default_configENS1_36segmented_radix_sort_config_selectorIalEEZNS1_25segmented_radix_sort_implIS3_Lb0EPKaPaPKlPlN2at6native12_GLOBAL__N_18offset_tEEE10hipError_tPvRmT1_PNSt15iterator_traitsISK_E10value_typeET2_T3_PNSL_ISQ_E10value_typeET4_jRbjT5_SW_jjP12ihipStream_tbEUlT_E_NS1_11comp_targetILNS1_3genE4ELNS1_11target_archE910ELNS1_3gpuE8ELNS1_3repE0EEENS1_30default_config_static_selectorELNS0_4arch9wavefront6targetE0EEEvSK_
		.amdhsa_group_segment_fixed_size 0
		.amdhsa_private_segment_fixed_size 0
		.amdhsa_kernarg_size 96
		.amdhsa_user_sgpr_count 6
		.amdhsa_user_sgpr_private_segment_buffer 1
		.amdhsa_user_sgpr_dispatch_ptr 0
		.amdhsa_user_sgpr_queue_ptr 0
		.amdhsa_user_sgpr_kernarg_segment_ptr 1
		.amdhsa_user_sgpr_dispatch_id 0
		.amdhsa_user_sgpr_flat_scratch_init 0
		.amdhsa_user_sgpr_private_segment_size 0
		.amdhsa_wavefront_size32 1
		.amdhsa_uses_dynamic_stack 0
		.amdhsa_system_sgpr_private_segment_wavefront_offset 0
		.amdhsa_system_sgpr_workgroup_id_x 1
		.amdhsa_system_sgpr_workgroup_id_y 0
		.amdhsa_system_sgpr_workgroup_id_z 0
		.amdhsa_system_sgpr_workgroup_info 0
		.amdhsa_system_vgpr_workitem_id 0
		.amdhsa_next_free_vgpr 1
		.amdhsa_next_free_sgpr 1
		.amdhsa_reserve_vcc 0
		.amdhsa_reserve_flat_scratch 0
		.amdhsa_float_round_mode_32 0
		.amdhsa_float_round_mode_16_64 0
		.amdhsa_float_denorm_mode_32 3
		.amdhsa_float_denorm_mode_16_64 3
		.amdhsa_dx10_clamp 1
		.amdhsa_ieee_mode 1
		.amdhsa_fp16_overflow 0
		.amdhsa_workgroup_processor_mode 1
		.amdhsa_memory_ordered 1
		.amdhsa_forward_progress 1
		.amdhsa_shared_vgpr_count 0
		.amdhsa_exception_fp_ieee_invalid_op 0
		.amdhsa_exception_fp_denorm_src 0
		.amdhsa_exception_fp_ieee_div_zero 0
		.amdhsa_exception_fp_ieee_overflow 0
		.amdhsa_exception_fp_ieee_underflow 0
		.amdhsa_exception_fp_ieee_inexact 0
		.amdhsa_exception_int_div_zero 0
	.end_amdhsa_kernel
	.section	.text._ZN7rocprim17ROCPRIM_400000_NS6detail17trampoline_kernelINS0_14default_configENS1_36segmented_radix_sort_config_selectorIalEEZNS1_25segmented_radix_sort_implIS3_Lb0EPKaPaPKlPlN2at6native12_GLOBAL__N_18offset_tEEE10hipError_tPvRmT1_PNSt15iterator_traitsISK_E10value_typeET2_T3_PNSL_ISQ_E10value_typeET4_jRbjT5_SW_jjP12ihipStream_tbEUlT_E_NS1_11comp_targetILNS1_3genE4ELNS1_11target_archE910ELNS1_3gpuE8ELNS1_3repE0EEENS1_30default_config_static_selectorELNS0_4arch9wavefront6targetE0EEEvSK_,"axG",@progbits,_ZN7rocprim17ROCPRIM_400000_NS6detail17trampoline_kernelINS0_14default_configENS1_36segmented_radix_sort_config_selectorIalEEZNS1_25segmented_radix_sort_implIS3_Lb0EPKaPaPKlPlN2at6native12_GLOBAL__N_18offset_tEEE10hipError_tPvRmT1_PNSt15iterator_traitsISK_E10value_typeET2_T3_PNSL_ISQ_E10value_typeET4_jRbjT5_SW_jjP12ihipStream_tbEUlT_E_NS1_11comp_targetILNS1_3genE4ELNS1_11target_archE910ELNS1_3gpuE8ELNS1_3repE0EEENS1_30default_config_static_selectorELNS0_4arch9wavefront6targetE0EEEvSK_,comdat
.Lfunc_end392:
	.size	_ZN7rocprim17ROCPRIM_400000_NS6detail17trampoline_kernelINS0_14default_configENS1_36segmented_radix_sort_config_selectorIalEEZNS1_25segmented_radix_sort_implIS3_Lb0EPKaPaPKlPlN2at6native12_GLOBAL__N_18offset_tEEE10hipError_tPvRmT1_PNSt15iterator_traitsISK_E10value_typeET2_T3_PNSL_ISQ_E10value_typeET4_jRbjT5_SW_jjP12ihipStream_tbEUlT_E_NS1_11comp_targetILNS1_3genE4ELNS1_11target_archE910ELNS1_3gpuE8ELNS1_3repE0EEENS1_30default_config_static_selectorELNS0_4arch9wavefront6targetE0EEEvSK_, .Lfunc_end392-_ZN7rocprim17ROCPRIM_400000_NS6detail17trampoline_kernelINS0_14default_configENS1_36segmented_radix_sort_config_selectorIalEEZNS1_25segmented_radix_sort_implIS3_Lb0EPKaPaPKlPlN2at6native12_GLOBAL__N_18offset_tEEE10hipError_tPvRmT1_PNSt15iterator_traitsISK_E10value_typeET2_T3_PNSL_ISQ_E10value_typeET4_jRbjT5_SW_jjP12ihipStream_tbEUlT_E_NS1_11comp_targetILNS1_3genE4ELNS1_11target_archE910ELNS1_3gpuE8ELNS1_3repE0EEENS1_30default_config_static_selectorELNS0_4arch9wavefront6targetE0EEEvSK_
                                        ; -- End function
	.set _ZN7rocprim17ROCPRIM_400000_NS6detail17trampoline_kernelINS0_14default_configENS1_36segmented_radix_sort_config_selectorIalEEZNS1_25segmented_radix_sort_implIS3_Lb0EPKaPaPKlPlN2at6native12_GLOBAL__N_18offset_tEEE10hipError_tPvRmT1_PNSt15iterator_traitsISK_E10value_typeET2_T3_PNSL_ISQ_E10value_typeET4_jRbjT5_SW_jjP12ihipStream_tbEUlT_E_NS1_11comp_targetILNS1_3genE4ELNS1_11target_archE910ELNS1_3gpuE8ELNS1_3repE0EEENS1_30default_config_static_selectorELNS0_4arch9wavefront6targetE0EEEvSK_.num_vgpr, 0
	.set _ZN7rocprim17ROCPRIM_400000_NS6detail17trampoline_kernelINS0_14default_configENS1_36segmented_radix_sort_config_selectorIalEEZNS1_25segmented_radix_sort_implIS3_Lb0EPKaPaPKlPlN2at6native12_GLOBAL__N_18offset_tEEE10hipError_tPvRmT1_PNSt15iterator_traitsISK_E10value_typeET2_T3_PNSL_ISQ_E10value_typeET4_jRbjT5_SW_jjP12ihipStream_tbEUlT_E_NS1_11comp_targetILNS1_3genE4ELNS1_11target_archE910ELNS1_3gpuE8ELNS1_3repE0EEENS1_30default_config_static_selectorELNS0_4arch9wavefront6targetE0EEEvSK_.num_agpr, 0
	.set _ZN7rocprim17ROCPRIM_400000_NS6detail17trampoline_kernelINS0_14default_configENS1_36segmented_radix_sort_config_selectorIalEEZNS1_25segmented_radix_sort_implIS3_Lb0EPKaPaPKlPlN2at6native12_GLOBAL__N_18offset_tEEE10hipError_tPvRmT1_PNSt15iterator_traitsISK_E10value_typeET2_T3_PNSL_ISQ_E10value_typeET4_jRbjT5_SW_jjP12ihipStream_tbEUlT_E_NS1_11comp_targetILNS1_3genE4ELNS1_11target_archE910ELNS1_3gpuE8ELNS1_3repE0EEENS1_30default_config_static_selectorELNS0_4arch9wavefront6targetE0EEEvSK_.numbered_sgpr, 0
	.set _ZN7rocprim17ROCPRIM_400000_NS6detail17trampoline_kernelINS0_14default_configENS1_36segmented_radix_sort_config_selectorIalEEZNS1_25segmented_radix_sort_implIS3_Lb0EPKaPaPKlPlN2at6native12_GLOBAL__N_18offset_tEEE10hipError_tPvRmT1_PNSt15iterator_traitsISK_E10value_typeET2_T3_PNSL_ISQ_E10value_typeET4_jRbjT5_SW_jjP12ihipStream_tbEUlT_E_NS1_11comp_targetILNS1_3genE4ELNS1_11target_archE910ELNS1_3gpuE8ELNS1_3repE0EEENS1_30default_config_static_selectorELNS0_4arch9wavefront6targetE0EEEvSK_.num_named_barrier, 0
	.set _ZN7rocprim17ROCPRIM_400000_NS6detail17trampoline_kernelINS0_14default_configENS1_36segmented_radix_sort_config_selectorIalEEZNS1_25segmented_radix_sort_implIS3_Lb0EPKaPaPKlPlN2at6native12_GLOBAL__N_18offset_tEEE10hipError_tPvRmT1_PNSt15iterator_traitsISK_E10value_typeET2_T3_PNSL_ISQ_E10value_typeET4_jRbjT5_SW_jjP12ihipStream_tbEUlT_E_NS1_11comp_targetILNS1_3genE4ELNS1_11target_archE910ELNS1_3gpuE8ELNS1_3repE0EEENS1_30default_config_static_selectorELNS0_4arch9wavefront6targetE0EEEvSK_.private_seg_size, 0
	.set _ZN7rocprim17ROCPRIM_400000_NS6detail17trampoline_kernelINS0_14default_configENS1_36segmented_radix_sort_config_selectorIalEEZNS1_25segmented_radix_sort_implIS3_Lb0EPKaPaPKlPlN2at6native12_GLOBAL__N_18offset_tEEE10hipError_tPvRmT1_PNSt15iterator_traitsISK_E10value_typeET2_T3_PNSL_ISQ_E10value_typeET4_jRbjT5_SW_jjP12ihipStream_tbEUlT_E_NS1_11comp_targetILNS1_3genE4ELNS1_11target_archE910ELNS1_3gpuE8ELNS1_3repE0EEENS1_30default_config_static_selectorELNS0_4arch9wavefront6targetE0EEEvSK_.uses_vcc, 0
	.set _ZN7rocprim17ROCPRIM_400000_NS6detail17trampoline_kernelINS0_14default_configENS1_36segmented_radix_sort_config_selectorIalEEZNS1_25segmented_radix_sort_implIS3_Lb0EPKaPaPKlPlN2at6native12_GLOBAL__N_18offset_tEEE10hipError_tPvRmT1_PNSt15iterator_traitsISK_E10value_typeET2_T3_PNSL_ISQ_E10value_typeET4_jRbjT5_SW_jjP12ihipStream_tbEUlT_E_NS1_11comp_targetILNS1_3genE4ELNS1_11target_archE910ELNS1_3gpuE8ELNS1_3repE0EEENS1_30default_config_static_selectorELNS0_4arch9wavefront6targetE0EEEvSK_.uses_flat_scratch, 0
	.set _ZN7rocprim17ROCPRIM_400000_NS6detail17trampoline_kernelINS0_14default_configENS1_36segmented_radix_sort_config_selectorIalEEZNS1_25segmented_radix_sort_implIS3_Lb0EPKaPaPKlPlN2at6native12_GLOBAL__N_18offset_tEEE10hipError_tPvRmT1_PNSt15iterator_traitsISK_E10value_typeET2_T3_PNSL_ISQ_E10value_typeET4_jRbjT5_SW_jjP12ihipStream_tbEUlT_E_NS1_11comp_targetILNS1_3genE4ELNS1_11target_archE910ELNS1_3gpuE8ELNS1_3repE0EEENS1_30default_config_static_selectorELNS0_4arch9wavefront6targetE0EEEvSK_.has_dyn_sized_stack, 0
	.set _ZN7rocprim17ROCPRIM_400000_NS6detail17trampoline_kernelINS0_14default_configENS1_36segmented_radix_sort_config_selectorIalEEZNS1_25segmented_radix_sort_implIS3_Lb0EPKaPaPKlPlN2at6native12_GLOBAL__N_18offset_tEEE10hipError_tPvRmT1_PNSt15iterator_traitsISK_E10value_typeET2_T3_PNSL_ISQ_E10value_typeET4_jRbjT5_SW_jjP12ihipStream_tbEUlT_E_NS1_11comp_targetILNS1_3genE4ELNS1_11target_archE910ELNS1_3gpuE8ELNS1_3repE0EEENS1_30default_config_static_selectorELNS0_4arch9wavefront6targetE0EEEvSK_.has_recursion, 0
	.set _ZN7rocprim17ROCPRIM_400000_NS6detail17trampoline_kernelINS0_14default_configENS1_36segmented_radix_sort_config_selectorIalEEZNS1_25segmented_radix_sort_implIS3_Lb0EPKaPaPKlPlN2at6native12_GLOBAL__N_18offset_tEEE10hipError_tPvRmT1_PNSt15iterator_traitsISK_E10value_typeET2_T3_PNSL_ISQ_E10value_typeET4_jRbjT5_SW_jjP12ihipStream_tbEUlT_E_NS1_11comp_targetILNS1_3genE4ELNS1_11target_archE910ELNS1_3gpuE8ELNS1_3repE0EEENS1_30default_config_static_selectorELNS0_4arch9wavefront6targetE0EEEvSK_.has_indirect_call, 0
	.section	.AMDGPU.csdata,"",@progbits
; Kernel info:
; codeLenInByte = 0
; TotalNumSgprs: 0
; NumVgprs: 0
; ScratchSize: 0
; MemoryBound: 0
; FloatMode: 240
; IeeeMode: 1
; LDSByteSize: 0 bytes/workgroup (compile time only)
; SGPRBlocks: 0
; VGPRBlocks: 0
; NumSGPRsForWavesPerEU: 1
; NumVGPRsForWavesPerEU: 1
; Occupancy: 16
; WaveLimiterHint : 0
; COMPUTE_PGM_RSRC2:SCRATCH_EN: 0
; COMPUTE_PGM_RSRC2:USER_SGPR: 6
; COMPUTE_PGM_RSRC2:TRAP_HANDLER: 0
; COMPUTE_PGM_RSRC2:TGID_X_EN: 1
; COMPUTE_PGM_RSRC2:TGID_Y_EN: 0
; COMPUTE_PGM_RSRC2:TGID_Z_EN: 0
; COMPUTE_PGM_RSRC2:TIDIG_COMP_CNT: 0
	.section	.text._ZN7rocprim17ROCPRIM_400000_NS6detail17trampoline_kernelINS0_14default_configENS1_36segmented_radix_sort_config_selectorIalEEZNS1_25segmented_radix_sort_implIS3_Lb0EPKaPaPKlPlN2at6native12_GLOBAL__N_18offset_tEEE10hipError_tPvRmT1_PNSt15iterator_traitsISK_E10value_typeET2_T3_PNSL_ISQ_E10value_typeET4_jRbjT5_SW_jjP12ihipStream_tbEUlT_E_NS1_11comp_targetILNS1_3genE3ELNS1_11target_archE908ELNS1_3gpuE7ELNS1_3repE0EEENS1_30default_config_static_selectorELNS0_4arch9wavefront6targetE0EEEvSK_,"axG",@progbits,_ZN7rocprim17ROCPRIM_400000_NS6detail17trampoline_kernelINS0_14default_configENS1_36segmented_radix_sort_config_selectorIalEEZNS1_25segmented_radix_sort_implIS3_Lb0EPKaPaPKlPlN2at6native12_GLOBAL__N_18offset_tEEE10hipError_tPvRmT1_PNSt15iterator_traitsISK_E10value_typeET2_T3_PNSL_ISQ_E10value_typeET4_jRbjT5_SW_jjP12ihipStream_tbEUlT_E_NS1_11comp_targetILNS1_3genE3ELNS1_11target_archE908ELNS1_3gpuE7ELNS1_3repE0EEENS1_30default_config_static_selectorELNS0_4arch9wavefront6targetE0EEEvSK_,comdat
	.globl	_ZN7rocprim17ROCPRIM_400000_NS6detail17trampoline_kernelINS0_14default_configENS1_36segmented_radix_sort_config_selectorIalEEZNS1_25segmented_radix_sort_implIS3_Lb0EPKaPaPKlPlN2at6native12_GLOBAL__N_18offset_tEEE10hipError_tPvRmT1_PNSt15iterator_traitsISK_E10value_typeET2_T3_PNSL_ISQ_E10value_typeET4_jRbjT5_SW_jjP12ihipStream_tbEUlT_E_NS1_11comp_targetILNS1_3genE3ELNS1_11target_archE908ELNS1_3gpuE7ELNS1_3repE0EEENS1_30default_config_static_selectorELNS0_4arch9wavefront6targetE0EEEvSK_ ; -- Begin function _ZN7rocprim17ROCPRIM_400000_NS6detail17trampoline_kernelINS0_14default_configENS1_36segmented_radix_sort_config_selectorIalEEZNS1_25segmented_radix_sort_implIS3_Lb0EPKaPaPKlPlN2at6native12_GLOBAL__N_18offset_tEEE10hipError_tPvRmT1_PNSt15iterator_traitsISK_E10value_typeET2_T3_PNSL_ISQ_E10value_typeET4_jRbjT5_SW_jjP12ihipStream_tbEUlT_E_NS1_11comp_targetILNS1_3genE3ELNS1_11target_archE908ELNS1_3gpuE7ELNS1_3repE0EEENS1_30default_config_static_selectorELNS0_4arch9wavefront6targetE0EEEvSK_
	.p2align	8
	.type	_ZN7rocprim17ROCPRIM_400000_NS6detail17trampoline_kernelINS0_14default_configENS1_36segmented_radix_sort_config_selectorIalEEZNS1_25segmented_radix_sort_implIS3_Lb0EPKaPaPKlPlN2at6native12_GLOBAL__N_18offset_tEEE10hipError_tPvRmT1_PNSt15iterator_traitsISK_E10value_typeET2_T3_PNSL_ISQ_E10value_typeET4_jRbjT5_SW_jjP12ihipStream_tbEUlT_E_NS1_11comp_targetILNS1_3genE3ELNS1_11target_archE908ELNS1_3gpuE7ELNS1_3repE0EEENS1_30default_config_static_selectorELNS0_4arch9wavefront6targetE0EEEvSK_,@function
_ZN7rocprim17ROCPRIM_400000_NS6detail17trampoline_kernelINS0_14default_configENS1_36segmented_radix_sort_config_selectorIalEEZNS1_25segmented_radix_sort_implIS3_Lb0EPKaPaPKlPlN2at6native12_GLOBAL__N_18offset_tEEE10hipError_tPvRmT1_PNSt15iterator_traitsISK_E10value_typeET2_T3_PNSL_ISQ_E10value_typeET4_jRbjT5_SW_jjP12ihipStream_tbEUlT_E_NS1_11comp_targetILNS1_3genE3ELNS1_11target_archE908ELNS1_3gpuE7ELNS1_3repE0EEENS1_30default_config_static_selectorELNS0_4arch9wavefront6targetE0EEEvSK_: ; @_ZN7rocprim17ROCPRIM_400000_NS6detail17trampoline_kernelINS0_14default_configENS1_36segmented_radix_sort_config_selectorIalEEZNS1_25segmented_radix_sort_implIS3_Lb0EPKaPaPKlPlN2at6native12_GLOBAL__N_18offset_tEEE10hipError_tPvRmT1_PNSt15iterator_traitsISK_E10value_typeET2_T3_PNSL_ISQ_E10value_typeET4_jRbjT5_SW_jjP12ihipStream_tbEUlT_E_NS1_11comp_targetILNS1_3genE3ELNS1_11target_archE908ELNS1_3gpuE7ELNS1_3repE0EEENS1_30default_config_static_selectorELNS0_4arch9wavefront6targetE0EEEvSK_
; %bb.0:
	.section	.rodata,"a",@progbits
	.p2align	6, 0x0
	.amdhsa_kernel _ZN7rocprim17ROCPRIM_400000_NS6detail17trampoline_kernelINS0_14default_configENS1_36segmented_radix_sort_config_selectorIalEEZNS1_25segmented_radix_sort_implIS3_Lb0EPKaPaPKlPlN2at6native12_GLOBAL__N_18offset_tEEE10hipError_tPvRmT1_PNSt15iterator_traitsISK_E10value_typeET2_T3_PNSL_ISQ_E10value_typeET4_jRbjT5_SW_jjP12ihipStream_tbEUlT_E_NS1_11comp_targetILNS1_3genE3ELNS1_11target_archE908ELNS1_3gpuE7ELNS1_3repE0EEENS1_30default_config_static_selectorELNS0_4arch9wavefront6targetE0EEEvSK_
		.amdhsa_group_segment_fixed_size 0
		.amdhsa_private_segment_fixed_size 0
		.amdhsa_kernarg_size 96
		.amdhsa_user_sgpr_count 6
		.amdhsa_user_sgpr_private_segment_buffer 1
		.amdhsa_user_sgpr_dispatch_ptr 0
		.amdhsa_user_sgpr_queue_ptr 0
		.amdhsa_user_sgpr_kernarg_segment_ptr 1
		.amdhsa_user_sgpr_dispatch_id 0
		.amdhsa_user_sgpr_flat_scratch_init 0
		.amdhsa_user_sgpr_private_segment_size 0
		.amdhsa_wavefront_size32 1
		.amdhsa_uses_dynamic_stack 0
		.amdhsa_system_sgpr_private_segment_wavefront_offset 0
		.amdhsa_system_sgpr_workgroup_id_x 1
		.amdhsa_system_sgpr_workgroup_id_y 0
		.amdhsa_system_sgpr_workgroup_id_z 0
		.amdhsa_system_sgpr_workgroup_info 0
		.amdhsa_system_vgpr_workitem_id 0
		.amdhsa_next_free_vgpr 1
		.amdhsa_next_free_sgpr 1
		.amdhsa_reserve_vcc 0
		.amdhsa_reserve_flat_scratch 0
		.amdhsa_float_round_mode_32 0
		.amdhsa_float_round_mode_16_64 0
		.amdhsa_float_denorm_mode_32 3
		.amdhsa_float_denorm_mode_16_64 3
		.amdhsa_dx10_clamp 1
		.amdhsa_ieee_mode 1
		.amdhsa_fp16_overflow 0
		.amdhsa_workgroup_processor_mode 1
		.amdhsa_memory_ordered 1
		.amdhsa_forward_progress 1
		.amdhsa_shared_vgpr_count 0
		.amdhsa_exception_fp_ieee_invalid_op 0
		.amdhsa_exception_fp_denorm_src 0
		.amdhsa_exception_fp_ieee_div_zero 0
		.amdhsa_exception_fp_ieee_overflow 0
		.amdhsa_exception_fp_ieee_underflow 0
		.amdhsa_exception_fp_ieee_inexact 0
		.amdhsa_exception_int_div_zero 0
	.end_amdhsa_kernel
	.section	.text._ZN7rocprim17ROCPRIM_400000_NS6detail17trampoline_kernelINS0_14default_configENS1_36segmented_radix_sort_config_selectorIalEEZNS1_25segmented_radix_sort_implIS3_Lb0EPKaPaPKlPlN2at6native12_GLOBAL__N_18offset_tEEE10hipError_tPvRmT1_PNSt15iterator_traitsISK_E10value_typeET2_T3_PNSL_ISQ_E10value_typeET4_jRbjT5_SW_jjP12ihipStream_tbEUlT_E_NS1_11comp_targetILNS1_3genE3ELNS1_11target_archE908ELNS1_3gpuE7ELNS1_3repE0EEENS1_30default_config_static_selectorELNS0_4arch9wavefront6targetE0EEEvSK_,"axG",@progbits,_ZN7rocprim17ROCPRIM_400000_NS6detail17trampoline_kernelINS0_14default_configENS1_36segmented_radix_sort_config_selectorIalEEZNS1_25segmented_radix_sort_implIS3_Lb0EPKaPaPKlPlN2at6native12_GLOBAL__N_18offset_tEEE10hipError_tPvRmT1_PNSt15iterator_traitsISK_E10value_typeET2_T3_PNSL_ISQ_E10value_typeET4_jRbjT5_SW_jjP12ihipStream_tbEUlT_E_NS1_11comp_targetILNS1_3genE3ELNS1_11target_archE908ELNS1_3gpuE7ELNS1_3repE0EEENS1_30default_config_static_selectorELNS0_4arch9wavefront6targetE0EEEvSK_,comdat
.Lfunc_end393:
	.size	_ZN7rocprim17ROCPRIM_400000_NS6detail17trampoline_kernelINS0_14default_configENS1_36segmented_radix_sort_config_selectorIalEEZNS1_25segmented_radix_sort_implIS3_Lb0EPKaPaPKlPlN2at6native12_GLOBAL__N_18offset_tEEE10hipError_tPvRmT1_PNSt15iterator_traitsISK_E10value_typeET2_T3_PNSL_ISQ_E10value_typeET4_jRbjT5_SW_jjP12ihipStream_tbEUlT_E_NS1_11comp_targetILNS1_3genE3ELNS1_11target_archE908ELNS1_3gpuE7ELNS1_3repE0EEENS1_30default_config_static_selectorELNS0_4arch9wavefront6targetE0EEEvSK_, .Lfunc_end393-_ZN7rocprim17ROCPRIM_400000_NS6detail17trampoline_kernelINS0_14default_configENS1_36segmented_radix_sort_config_selectorIalEEZNS1_25segmented_radix_sort_implIS3_Lb0EPKaPaPKlPlN2at6native12_GLOBAL__N_18offset_tEEE10hipError_tPvRmT1_PNSt15iterator_traitsISK_E10value_typeET2_T3_PNSL_ISQ_E10value_typeET4_jRbjT5_SW_jjP12ihipStream_tbEUlT_E_NS1_11comp_targetILNS1_3genE3ELNS1_11target_archE908ELNS1_3gpuE7ELNS1_3repE0EEENS1_30default_config_static_selectorELNS0_4arch9wavefront6targetE0EEEvSK_
                                        ; -- End function
	.set _ZN7rocprim17ROCPRIM_400000_NS6detail17trampoline_kernelINS0_14default_configENS1_36segmented_radix_sort_config_selectorIalEEZNS1_25segmented_radix_sort_implIS3_Lb0EPKaPaPKlPlN2at6native12_GLOBAL__N_18offset_tEEE10hipError_tPvRmT1_PNSt15iterator_traitsISK_E10value_typeET2_T3_PNSL_ISQ_E10value_typeET4_jRbjT5_SW_jjP12ihipStream_tbEUlT_E_NS1_11comp_targetILNS1_3genE3ELNS1_11target_archE908ELNS1_3gpuE7ELNS1_3repE0EEENS1_30default_config_static_selectorELNS0_4arch9wavefront6targetE0EEEvSK_.num_vgpr, 0
	.set _ZN7rocprim17ROCPRIM_400000_NS6detail17trampoline_kernelINS0_14default_configENS1_36segmented_radix_sort_config_selectorIalEEZNS1_25segmented_radix_sort_implIS3_Lb0EPKaPaPKlPlN2at6native12_GLOBAL__N_18offset_tEEE10hipError_tPvRmT1_PNSt15iterator_traitsISK_E10value_typeET2_T3_PNSL_ISQ_E10value_typeET4_jRbjT5_SW_jjP12ihipStream_tbEUlT_E_NS1_11comp_targetILNS1_3genE3ELNS1_11target_archE908ELNS1_3gpuE7ELNS1_3repE0EEENS1_30default_config_static_selectorELNS0_4arch9wavefront6targetE0EEEvSK_.num_agpr, 0
	.set _ZN7rocprim17ROCPRIM_400000_NS6detail17trampoline_kernelINS0_14default_configENS1_36segmented_radix_sort_config_selectorIalEEZNS1_25segmented_radix_sort_implIS3_Lb0EPKaPaPKlPlN2at6native12_GLOBAL__N_18offset_tEEE10hipError_tPvRmT1_PNSt15iterator_traitsISK_E10value_typeET2_T3_PNSL_ISQ_E10value_typeET4_jRbjT5_SW_jjP12ihipStream_tbEUlT_E_NS1_11comp_targetILNS1_3genE3ELNS1_11target_archE908ELNS1_3gpuE7ELNS1_3repE0EEENS1_30default_config_static_selectorELNS0_4arch9wavefront6targetE0EEEvSK_.numbered_sgpr, 0
	.set _ZN7rocprim17ROCPRIM_400000_NS6detail17trampoline_kernelINS0_14default_configENS1_36segmented_radix_sort_config_selectorIalEEZNS1_25segmented_radix_sort_implIS3_Lb0EPKaPaPKlPlN2at6native12_GLOBAL__N_18offset_tEEE10hipError_tPvRmT1_PNSt15iterator_traitsISK_E10value_typeET2_T3_PNSL_ISQ_E10value_typeET4_jRbjT5_SW_jjP12ihipStream_tbEUlT_E_NS1_11comp_targetILNS1_3genE3ELNS1_11target_archE908ELNS1_3gpuE7ELNS1_3repE0EEENS1_30default_config_static_selectorELNS0_4arch9wavefront6targetE0EEEvSK_.num_named_barrier, 0
	.set _ZN7rocprim17ROCPRIM_400000_NS6detail17trampoline_kernelINS0_14default_configENS1_36segmented_radix_sort_config_selectorIalEEZNS1_25segmented_radix_sort_implIS3_Lb0EPKaPaPKlPlN2at6native12_GLOBAL__N_18offset_tEEE10hipError_tPvRmT1_PNSt15iterator_traitsISK_E10value_typeET2_T3_PNSL_ISQ_E10value_typeET4_jRbjT5_SW_jjP12ihipStream_tbEUlT_E_NS1_11comp_targetILNS1_3genE3ELNS1_11target_archE908ELNS1_3gpuE7ELNS1_3repE0EEENS1_30default_config_static_selectorELNS0_4arch9wavefront6targetE0EEEvSK_.private_seg_size, 0
	.set _ZN7rocprim17ROCPRIM_400000_NS6detail17trampoline_kernelINS0_14default_configENS1_36segmented_radix_sort_config_selectorIalEEZNS1_25segmented_radix_sort_implIS3_Lb0EPKaPaPKlPlN2at6native12_GLOBAL__N_18offset_tEEE10hipError_tPvRmT1_PNSt15iterator_traitsISK_E10value_typeET2_T3_PNSL_ISQ_E10value_typeET4_jRbjT5_SW_jjP12ihipStream_tbEUlT_E_NS1_11comp_targetILNS1_3genE3ELNS1_11target_archE908ELNS1_3gpuE7ELNS1_3repE0EEENS1_30default_config_static_selectorELNS0_4arch9wavefront6targetE0EEEvSK_.uses_vcc, 0
	.set _ZN7rocprim17ROCPRIM_400000_NS6detail17trampoline_kernelINS0_14default_configENS1_36segmented_radix_sort_config_selectorIalEEZNS1_25segmented_radix_sort_implIS3_Lb0EPKaPaPKlPlN2at6native12_GLOBAL__N_18offset_tEEE10hipError_tPvRmT1_PNSt15iterator_traitsISK_E10value_typeET2_T3_PNSL_ISQ_E10value_typeET4_jRbjT5_SW_jjP12ihipStream_tbEUlT_E_NS1_11comp_targetILNS1_3genE3ELNS1_11target_archE908ELNS1_3gpuE7ELNS1_3repE0EEENS1_30default_config_static_selectorELNS0_4arch9wavefront6targetE0EEEvSK_.uses_flat_scratch, 0
	.set _ZN7rocprim17ROCPRIM_400000_NS6detail17trampoline_kernelINS0_14default_configENS1_36segmented_radix_sort_config_selectorIalEEZNS1_25segmented_radix_sort_implIS3_Lb0EPKaPaPKlPlN2at6native12_GLOBAL__N_18offset_tEEE10hipError_tPvRmT1_PNSt15iterator_traitsISK_E10value_typeET2_T3_PNSL_ISQ_E10value_typeET4_jRbjT5_SW_jjP12ihipStream_tbEUlT_E_NS1_11comp_targetILNS1_3genE3ELNS1_11target_archE908ELNS1_3gpuE7ELNS1_3repE0EEENS1_30default_config_static_selectorELNS0_4arch9wavefront6targetE0EEEvSK_.has_dyn_sized_stack, 0
	.set _ZN7rocprim17ROCPRIM_400000_NS6detail17trampoline_kernelINS0_14default_configENS1_36segmented_radix_sort_config_selectorIalEEZNS1_25segmented_radix_sort_implIS3_Lb0EPKaPaPKlPlN2at6native12_GLOBAL__N_18offset_tEEE10hipError_tPvRmT1_PNSt15iterator_traitsISK_E10value_typeET2_T3_PNSL_ISQ_E10value_typeET4_jRbjT5_SW_jjP12ihipStream_tbEUlT_E_NS1_11comp_targetILNS1_3genE3ELNS1_11target_archE908ELNS1_3gpuE7ELNS1_3repE0EEENS1_30default_config_static_selectorELNS0_4arch9wavefront6targetE0EEEvSK_.has_recursion, 0
	.set _ZN7rocprim17ROCPRIM_400000_NS6detail17trampoline_kernelINS0_14default_configENS1_36segmented_radix_sort_config_selectorIalEEZNS1_25segmented_radix_sort_implIS3_Lb0EPKaPaPKlPlN2at6native12_GLOBAL__N_18offset_tEEE10hipError_tPvRmT1_PNSt15iterator_traitsISK_E10value_typeET2_T3_PNSL_ISQ_E10value_typeET4_jRbjT5_SW_jjP12ihipStream_tbEUlT_E_NS1_11comp_targetILNS1_3genE3ELNS1_11target_archE908ELNS1_3gpuE7ELNS1_3repE0EEENS1_30default_config_static_selectorELNS0_4arch9wavefront6targetE0EEEvSK_.has_indirect_call, 0
	.section	.AMDGPU.csdata,"",@progbits
; Kernel info:
; codeLenInByte = 0
; TotalNumSgprs: 0
; NumVgprs: 0
; ScratchSize: 0
; MemoryBound: 0
; FloatMode: 240
; IeeeMode: 1
; LDSByteSize: 0 bytes/workgroup (compile time only)
; SGPRBlocks: 0
; VGPRBlocks: 0
; NumSGPRsForWavesPerEU: 1
; NumVGPRsForWavesPerEU: 1
; Occupancy: 16
; WaveLimiterHint : 0
; COMPUTE_PGM_RSRC2:SCRATCH_EN: 0
; COMPUTE_PGM_RSRC2:USER_SGPR: 6
; COMPUTE_PGM_RSRC2:TRAP_HANDLER: 0
; COMPUTE_PGM_RSRC2:TGID_X_EN: 1
; COMPUTE_PGM_RSRC2:TGID_Y_EN: 0
; COMPUTE_PGM_RSRC2:TGID_Z_EN: 0
; COMPUTE_PGM_RSRC2:TIDIG_COMP_CNT: 0
	.section	.text._ZN7rocprim17ROCPRIM_400000_NS6detail17trampoline_kernelINS0_14default_configENS1_36segmented_radix_sort_config_selectorIalEEZNS1_25segmented_radix_sort_implIS3_Lb0EPKaPaPKlPlN2at6native12_GLOBAL__N_18offset_tEEE10hipError_tPvRmT1_PNSt15iterator_traitsISK_E10value_typeET2_T3_PNSL_ISQ_E10value_typeET4_jRbjT5_SW_jjP12ihipStream_tbEUlT_E_NS1_11comp_targetILNS1_3genE2ELNS1_11target_archE906ELNS1_3gpuE6ELNS1_3repE0EEENS1_30default_config_static_selectorELNS0_4arch9wavefront6targetE0EEEvSK_,"axG",@progbits,_ZN7rocprim17ROCPRIM_400000_NS6detail17trampoline_kernelINS0_14default_configENS1_36segmented_radix_sort_config_selectorIalEEZNS1_25segmented_radix_sort_implIS3_Lb0EPKaPaPKlPlN2at6native12_GLOBAL__N_18offset_tEEE10hipError_tPvRmT1_PNSt15iterator_traitsISK_E10value_typeET2_T3_PNSL_ISQ_E10value_typeET4_jRbjT5_SW_jjP12ihipStream_tbEUlT_E_NS1_11comp_targetILNS1_3genE2ELNS1_11target_archE906ELNS1_3gpuE6ELNS1_3repE0EEENS1_30default_config_static_selectorELNS0_4arch9wavefront6targetE0EEEvSK_,comdat
	.globl	_ZN7rocprim17ROCPRIM_400000_NS6detail17trampoline_kernelINS0_14default_configENS1_36segmented_radix_sort_config_selectorIalEEZNS1_25segmented_radix_sort_implIS3_Lb0EPKaPaPKlPlN2at6native12_GLOBAL__N_18offset_tEEE10hipError_tPvRmT1_PNSt15iterator_traitsISK_E10value_typeET2_T3_PNSL_ISQ_E10value_typeET4_jRbjT5_SW_jjP12ihipStream_tbEUlT_E_NS1_11comp_targetILNS1_3genE2ELNS1_11target_archE906ELNS1_3gpuE6ELNS1_3repE0EEENS1_30default_config_static_selectorELNS0_4arch9wavefront6targetE0EEEvSK_ ; -- Begin function _ZN7rocprim17ROCPRIM_400000_NS6detail17trampoline_kernelINS0_14default_configENS1_36segmented_radix_sort_config_selectorIalEEZNS1_25segmented_radix_sort_implIS3_Lb0EPKaPaPKlPlN2at6native12_GLOBAL__N_18offset_tEEE10hipError_tPvRmT1_PNSt15iterator_traitsISK_E10value_typeET2_T3_PNSL_ISQ_E10value_typeET4_jRbjT5_SW_jjP12ihipStream_tbEUlT_E_NS1_11comp_targetILNS1_3genE2ELNS1_11target_archE906ELNS1_3gpuE6ELNS1_3repE0EEENS1_30default_config_static_selectorELNS0_4arch9wavefront6targetE0EEEvSK_
	.p2align	8
	.type	_ZN7rocprim17ROCPRIM_400000_NS6detail17trampoline_kernelINS0_14default_configENS1_36segmented_radix_sort_config_selectorIalEEZNS1_25segmented_radix_sort_implIS3_Lb0EPKaPaPKlPlN2at6native12_GLOBAL__N_18offset_tEEE10hipError_tPvRmT1_PNSt15iterator_traitsISK_E10value_typeET2_T3_PNSL_ISQ_E10value_typeET4_jRbjT5_SW_jjP12ihipStream_tbEUlT_E_NS1_11comp_targetILNS1_3genE2ELNS1_11target_archE906ELNS1_3gpuE6ELNS1_3repE0EEENS1_30default_config_static_selectorELNS0_4arch9wavefront6targetE0EEEvSK_,@function
_ZN7rocprim17ROCPRIM_400000_NS6detail17trampoline_kernelINS0_14default_configENS1_36segmented_radix_sort_config_selectorIalEEZNS1_25segmented_radix_sort_implIS3_Lb0EPKaPaPKlPlN2at6native12_GLOBAL__N_18offset_tEEE10hipError_tPvRmT1_PNSt15iterator_traitsISK_E10value_typeET2_T3_PNSL_ISQ_E10value_typeET4_jRbjT5_SW_jjP12ihipStream_tbEUlT_E_NS1_11comp_targetILNS1_3genE2ELNS1_11target_archE906ELNS1_3gpuE6ELNS1_3repE0EEENS1_30default_config_static_selectorELNS0_4arch9wavefront6targetE0EEEvSK_: ; @_ZN7rocprim17ROCPRIM_400000_NS6detail17trampoline_kernelINS0_14default_configENS1_36segmented_radix_sort_config_selectorIalEEZNS1_25segmented_radix_sort_implIS3_Lb0EPKaPaPKlPlN2at6native12_GLOBAL__N_18offset_tEEE10hipError_tPvRmT1_PNSt15iterator_traitsISK_E10value_typeET2_T3_PNSL_ISQ_E10value_typeET4_jRbjT5_SW_jjP12ihipStream_tbEUlT_E_NS1_11comp_targetILNS1_3genE2ELNS1_11target_archE906ELNS1_3gpuE6ELNS1_3repE0EEENS1_30default_config_static_selectorELNS0_4arch9wavefront6targetE0EEEvSK_
; %bb.0:
	.section	.rodata,"a",@progbits
	.p2align	6, 0x0
	.amdhsa_kernel _ZN7rocprim17ROCPRIM_400000_NS6detail17trampoline_kernelINS0_14default_configENS1_36segmented_radix_sort_config_selectorIalEEZNS1_25segmented_radix_sort_implIS3_Lb0EPKaPaPKlPlN2at6native12_GLOBAL__N_18offset_tEEE10hipError_tPvRmT1_PNSt15iterator_traitsISK_E10value_typeET2_T3_PNSL_ISQ_E10value_typeET4_jRbjT5_SW_jjP12ihipStream_tbEUlT_E_NS1_11comp_targetILNS1_3genE2ELNS1_11target_archE906ELNS1_3gpuE6ELNS1_3repE0EEENS1_30default_config_static_selectorELNS0_4arch9wavefront6targetE0EEEvSK_
		.amdhsa_group_segment_fixed_size 0
		.amdhsa_private_segment_fixed_size 0
		.amdhsa_kernarg_size 96
		.amdhsa_user_sgpr_count 6
		.amdhsa_user_sgpr_private_segment_buffer 1
		.amdhsa_user_sgpr_dispatch_ptr 0
		.amdhsa_user_sgpr_queue_ptr 0
		.amdhsa_user_sgpr_kernarg_segment_ptr 1
		.amdhsa_user_sgpr_dispatch_id 0
		.amdhsa_user_sgpr_flat_scratch_init 0
		.amdhsa_user_sgpr_private_segment_size 0
		.amdhsa_wavefront_size32 1
		.amdhsa_uses_dynamic_stack 0
		.amdhsa_system_sgpr_private_segment_wavefront_offset 0
		.amdhsa_system_sgpr_workgroup_id_x 1
		.amdhsa_system_sgpr_workgroup_id_y 0
		.amdhsa_system_sgpr_workgroup_id_z 0
		.amdhsa_system_sgpr_workgroup_info 0
		.amdhsa_system_vgpr_workitem_id 0
		.amdhsa_next_free_vgpr 1
		.amdhsa_next_free_sgpr 1
		.amdhsa_reserve_vcc 0
		.amdhsa_reserve_flat_scratch 0
		.amdhsa_float_round_mode_32 0
		.amdhsa_float_round_mode_16_64 0
		.amdhsa_float_denorm_mode_32 3
		.amdhsa_float_denorm_mode_16_64 3
		.amdhsa_dx10_clamp 1
		.amdhsa_ieee_mode 1
		.amdhsa_fp16_overflow 0
		.amdhsa_workgroup_processor_mode 1
		.amdhsa_memory_ordered 1
		.amdhsa_forward_progress 1
		.amdhsa_shared_vgpr_count 0
		.amdhsa_exception_fp_ieee_invalid_op 0
		.amdhsa_exception_fp_denorm_src 0
		.amdhsa_exception_fp_ieee_div_zero 0
		.amdhsa_exception_fp_ieee_overflow 0
		.amdhsa_exception_fp_ieee_underflow 0
		.amdhsa_exception_fp_ieee_inexact 0
		.amdhsa_exception_int_div_zero 0
	.end_amdhsa_kernel
	.section	.text._ZN7rocprim17ROCPRIM_400000_NS6detail17trampoline_kernelINS0_14default_configENS1_36segmented_radix_sort_config_selectorIalEEZNS1_25segmented_radix_sort_implIS3_Lb0EPKaPaPKlPlN2at6native12_GLOBAL__N_18offset_tEEE10hipError_tPvRmT1_PNSt15iterator_traitsISK_E10value_typeET2_T3_PNSL_ISQ_E10value_typeET4_jRbjT5_SW_jjP12ihipStream_tbEUlT_E_NS1_11comp_targetILNS1_3genE2ELNS1_11target_archE906ELNS1_3gpuE6ELNS1_3repE0EEENS1_30default_config_static_selectorELNS0_4arch9wavefront6targetE0EEEvSK_,"axG",@progbits,_ZN7rocprim17ROCPRIM_400000_NS6detail17trampoline_kernelINS0_14default_configENS1_36segmented_radix_sort_config_selectorIalEEZNS1_25segmented_radix_sort_implIS3_Lb0EPKaPaPKlPlN2at6native12_GLOBAL__N_18offset_tEEE10hipError_tPvRmT1_PNSt15iterator_traitsISK_E10value_typeET2_T3_PNSL_ISQ_E10value_typeET4_jRbjT5_SW_jjP12ihipStream_tbEUlT_E_NS1_11comp_targetILNS1_3genE2ELNS1_11target_archE906ELNS1_3gpuE6ELNS1_3repE0EEENS1_30default_config_static_selectorELNS0_4arch9wavefront6targetE0EEEvSK_,comdat
.Lfunc_end394:
	.size	_ZN7rocprim17ROCPRIM_400000_NS6detail17trampoline_kernelINS0_14default_configENS1_36segmented_radix_sort_config_selectorIalEEZNS1_25segmented_radix_sort_implIS3_Lb0EPKaPaPKlPlN2at6native12_GLOBAL__N_18offset_tEEE10hipError_tPvRmT1_PNSt15iterator_traitsISK_E10value_typeET2_T3_PNSL_ISQ_E10value_typeET4_jRbjT5_SW_jjP12ihipStream_tbEUlT_E_NS1_11comp_targetILNS1_3genE2ELNS1_11target_archE906ELNS1_3gpuE6ELNS1_3repE0EEENS1_30default_config_static_selectorELNS0_4arch9wavefront6targetE0EEEvSK_, .Lfunc_end394-_ZN7rocprim17ROCPRIM_400000_NS6detail17trampoline_kernelINS0_14default_configENS1_36segmented_radix_sort_config_selectorIalEEZNS1_25segmented_radix_sort_implIS3_Lb0EPKaPaPKlPlN2at6native12_GLOBAL__N_18offset_tEEE10hipError_tPvRmT1_PNSt15iterator_traitsISK_E10value_typeET2_T3_PNSL_ISQ_E10value_typeET4_jRbjT5_SW_jjP12ihipStream_tbEUlT_E_NS1_11comp_targetILNS1_3genE2ELNS1_11target_archE906ELNS1_3gpuE6ELNS1_3repE0EEENS1_30default_config_static_selectorELNS0_4arch9wavefront6targetE0EEEvSK_
                                        ; -- End function
	.set _ZN7rocprim17ROCPRIM_400000_NS6detail17trampoline_kernelINS0_14default_configENS1_36segmented_radix_sort_config_selectorIalEEZNS1_25segmented_radix_sort_implIS3_Lb0EPKaPaPKlPlN2at6native12_GLOBAL__N_18offset_tEEE10hipError_tPvRmT1_PNSt15iterator_traitsISK_E10value_typeET2_T3_PNSL_ISQ_E10value_typeET4_jRbjT5_SW_jjP12ihipStream_tbEUlT_E_NS1_11comp_targetILNS1_3genE2ELNS1_11target_archE906ELNS1_3gpuE6ELNS1_3repE0EEENS1_30default_config_static_selectorELNS0_4arch9wavefront6targetE0EEEvSK_.num_vgpr, 0
	.set _ZN7rocprim17ROCPRIM_400000_NS6detail17trampoline_kernelINS0_14default_configENS1_36segmented_radix_sort_config_selectorIalEEZNS1_25segmented_radix_sort_implIS3_Lb0EPKaPaPKlPlN2at6native12_GLOBAL__N_18offset_tEEE10hipError_tPvRmT1_PNSt15iterator_traitsISK_E10value_typeET2_T3_PNSL_ISQ_E10value_typeET4_jRbjT5_SW_jjP12ihipStream_tbEUlT_E_NS1_11comp_targetILNS1_3genE2ELNS1_11target_archE906ELNS1_3gpuE6ELNS1_3repE0EEENS1_30default_config_static_selectorELNS0_4arch9wavefront6targetE0EEEvSK_.num_agpr, 0
	.set _ZN7rocprim17ROCPRIM_400000_NS6detail17trampoline_kernelINS0_14default_configENS1_36segmented_radix_sort_config_selectorIalEEZNS1_25segmented_radix_sort_implIS3_Lb0EPKaPaPKlPlN2at6native12_GLOBAL__N_18offset_tEEE10hipError_tPvRmT1_PNSt15iterator_traitsISK_E10value_typeET2_T3_PNSL_ISQ_E10value_typeET4_jRbjT5_SW_jjP12ihipStream_tbEUlT_E_NS1_11comp_targetILNS1_3genE2ELNS1_11target_archE906ELNS1_3gpuE6ELNS1_3repE0EEENS1_30default_config_static_selectorELNS0_4arch9wavefront6targetE0EEEvSK_.numbered_sgpr, 0
	.set _ZN7rocprim17ROCPRIM_400000_NS6detail17trampoline_kernelINS0_14default_configENS1_36segmented_radix_sort_config_selectorIalEEZNS1_25segmented_radix_sort_implIS3_Lb0EPKaPaPKlPlN2at6native12_GLOBAL__N_18offset_tEEE10hipError_tPvRmT1_PNSt15iterator_traitsISK_E10value_typeET2_T3_PNSL_ISQ_E10value_typeET4_jRbjT5_SW_jjP12ihipStream_tbEUlT_E_NS1_11comp_targetILNS1_3genE2ELNS1_11target_archE906ELNS1_3gpuE6ELNS1_3repE0EEENS1_30default_config_static_selectorELNS0_4arch9wavefront6targetE0EEEvSK_.num_named_barrier, 0
	.set _ZN7rocprim17ROCPRIM_400000_NS6detail17trampoline_kernelINS0_14default_configENS1_36segmented_radix_sort_config_selectorIalEEZNS1_25segmented_radix_sort_implIS3_Lb0EPKaPaPKlPlN2at6native12_GLOBAL__N_18offset_tEEE10hipError_tPvRmT1_PNSt15iterator_traitsISK_E10value_typeET2_T3_PNSL_ISQ_E10value_typeET4_jRbjT5_SW_jjP12ihipStream_tbEUlT_E_NS1_11comp_targetILNS1_3genE2ELNS1_11target_archE906ELNS1_3gpuE6ELNS1_3repE0EEENS1_30default_config_static_selectorELNS0_4arch9wavefront6targetE0EEEvSK_.private_seg_size, 0
	.set _ZN7rocprim17ROCPRIM_400000_NS6detail17trampoline_kernelINS0_14default_configENS1_36segmented_radix_sort_config_selectorIalEEZNS1_25segmented_radix_sort_implIS3_Lb0EPKaPaPKlPlN2at6native12_GLOBAL__N_18offset_tEEE10hipError_tPvRmT1_PNSt15iterator_traitsISK_E10value_typeET2_T3_PNSL_ISQ_E10value_typeET4_jRbjT5_SW_jjP12ihipStream_tbEUlT_E_NS1_11comp_targetILNS1_3genE2ELNS1_11target_archE906ELNS1_3gpuE6ELNS1_3repE0EEENS1_30default_config_static_selectorELNS0_4arch9wavefront6targetE0EEEvSK_.uses_vcc, 0
	.set _ZN7rocprim17ROCPRIM_400000_NS6detail17trampoline_kernelINS0_14default_configENS1_36segmented_radix_sort_config_selectorIalEEZNS1_25segmented_radix_sort_implIS3_Lb0EPKaPaPKlPlN2at6native12_GLOBAL__N_18offset_tEEE10hipError_tPvRmT1_PNSt15iterator_traitsISK_E10value_typeET2_T3_PNSL_ISQ_E10value_typeET4_jRbjT5_SW_jjP12ihipStream_tbEUlT_E_NS1_11comp_targetILNS1_3genE2ELNS1_11target_archE906ELNS1_3gpuE6ELNS1_3repE0EEENS1_30default_config_static_selectorELNS0_4arch9wavefront6targetE0EEEvSK_.uses_flat_scratch, 0
	.set _ZN7rocprim17ROCPRIM_400000_NS6detail17trampoline_kernelINS0_14default_configENS1_36segmented_radix_sort_config_selectorIalEEZNS1_25segmented_radix_sort_implIS3_Lb0EPKaPaPKlPlN2at6native12_GLOBAL__N_18offset_tEEE10hipError_tPvRmT1_PNSt15iterator_traitsISK_E10value_typeET2_T3_PNSL_ISQ_E10value_typeET4_jRbjT5_SW_jjP12ihipStream_tbEUlT_E_NS1_11comp_targetILNS1_3genE2ELNS1_11target_archE906ELNS1_3gpuE6ELNS1_3repE0EEENS1_30default_config_static_selectorELNS0_4arch9wavefront6targetE0EEEvSK_.has_dyn_sized_stack, 0
	.set _ZN7rocprim17ROCPRIM_400000_NS6detail17trampoline_kernelINS0_14default_configENS1_36segmented_radix_sort_config_selectorIalEEZNS1_25segmented_radix_sort_implIS3_Lb0EPKaPaPKlPlN2at6native12_GLOBAL__N_18offset_tEEE10hipError_tPvRmT1_PNSt15iterator_traitsISK_E10value_typeET2_T3_PNSL_ISQ_E10value_typeET4_jRbjT5_SW_jjP12ihipStream_tbEUlT_E_NS1_11comp_targetILNS1_3genE2ELNS1_11target_archE906ELNS1_3gpuE6ELNS1_3repE0EEENS1_30default_config_static_selectorELNS0_4arch9wavefront6targetE0EEEvSK_.has_recursion, 0
	.set _ZN7rocprim17ROCPRIM_400000_NS6detail17trampoline_kernelINS0_14default_configENS1_36segmented_radix_sort_config_selectorIalEEZNS1_25segmented_radix_sort_implIS3_Lb0EPKaPaPKlPlN2at6native12_GLOBAL__N_18offset_tEEE10hipError_tPvRmT1_PNSt15iterator_traitsISK_E10value_typeET2_T3_PNSL_ISQ_E10value_typeET4_jRbjT5_SW_jjP12ihipStream_tbEUlT_E_NS1_11comp_targetILNS1_3genE2ELNS1_11target_archE906ELNS1_3gpuE6ELNS1_3repE0EEENS1_30default_config_static_selectorELNS0_4arch9wavefront6targetE0EEEvSK_.has_indirect_call, 0
	.section	.AMDGPU.csdata,"",@progbits
; Kernel info:
; codeLenInByte = 0
; TotalNumSgprs: 0
; NumVgprs: 0
; ScratchSize: 0
; MemoryBound: 0
; FloatMode: 240
; IeeeMode: 1
; LDSByteSize: 0 bytes/workgroup (compile time only)
; SGPRBlocks: 0
; VGPRBlocks: 0
; NumSGPRsForWavesPerEU: 1
; NumVGPRsForWavesPerEU: 1
; Occupancy: 16
; WaveLimiterHint : 0
; COMPUTE_PGM_RSRC2:SCRATCH_EN: 0
; COMPUTE_PGM_RSRC2:USER_SGPR: 6
; COMPUTE_PGM_RSRC2:TRAP_HANDLER: 0
; COMPUTE_PGM_RSRC2:TGID_X_EN: 1
; COMPUTE_PGM_RSRC2:TGID_Y_EN: 0
; COMPUTE_PGM_RSRC2:TGID_Z_EN: 0
; COMPUTE_PGM_RSRC2:TIDIG_COMP_CNT: 0
	.section	.text._ZN7rocprim17ROCPRIM_400000_NS6detail17trampoline_kernelINS0_14default_configENS1_36segmented_radix_sort_config_selectorIalEEZNS1_25segmented_radix_sort_implIS3_Lb0EPKaPaPKlPlN2at6native12_GLOBAL__N_18offset_tEEE10hipError_tPvRmT1_PNSt15iterator_traitsISK_E10value_typeET2_T3_PNSL_ISQ_E10value_typeET4_jRbjT5_SW_jjP12ihipStream_tbEUlT_E_NS1_11comp_targetILNS1_3genE10ELNS1_11target_archE1201ELNS1_3gpuE5ELNS1_3repE0EEENS1_30default_config_static_selectorELNS0_4arch9wavefront6targetE0EEEvSK_,"axG",@progbits,_ZN7rocprim17ROCPRIM_400000_NS6detail17trampoline_kernelINS0_14default_configENS1_36segmented_radix_sort_config_selectorIalEEZNS1_25segmented_radix_sort_implIS3_Lb0EPKaPaPKlPlN2at6native12_GLOBAL__N_18offset_tEEE10hipError_tPvRmT1_PNSt15iterator_traitsISK_E10value_typeET2_T3_PNSL_ISQ_E10value_typeET4_jRbjT5_SW_jjP12ihipStream_tbEUlT_E_NS1_11comp_targetILNS1_3genE10ELNS1_11target_archE1201ELNS1_3gpuE5ELNS1_3repE0EEENS1_30default_config_static_selectorELNS0_4arch9wavefront6targetE0EEEvSK_,comdat
	.globl	_ZN7rocprim17ROCPRIM_400000_NS6detail17trampoline_kernelINS0_14default_configENS1_36segmented_radix_sort_config_selectorIalEEZNS1_25segmented_radix_sort_implIS3_Lb0EPKaPaPKlPlN2at6native12_GLOBAL__N_18offset_tEEE10hipError_tPvRmT1_PNSt15iterator_traitsISK_E10value_typeET2_T3_PNSL_ISQ_E10value_typeET4_jRbjT5_SW_jjP12ihipStream_tbEUlT_E_NS1_11comp_targetILNS1_3genE10ELNS1_11target_archE1201ELNS1_3gpuE5ELNS1_3repE0EEENS1_30default_config_static_selectorELNS0_4arch9wavefront6targetE0EEEvSK_ ; -- Begin function _ZN7rocprim17ROCPRIM_400000_NS6detail17trampoline_kernelINS0_14default_configENS1_36segmented_radix_sort_config_selectorIalEEZNS1_25segmented_radix_sort_implIS3_Lb0EPKaPaPKlPlN2at6native12_GLOBAL__N_18offset_tEEE10hipError_tPvRmT1_PNSt15iterator_traitsISK_E10value_typeET2_T3_PNSL_ISQ_E10value_typeET4_jRbjT5_SW_jjP12ihipStream_tbEUlT_E_NS1_11comp_targetILNS1_3genE10ELNS1_11target_archE1201ELNS1_3gpuE5ELNS1_3repE0EEENS1_30default_config_static_selectorELNS0_4arch9wavefront6targetE0EEEvSK_
	.p2align	8
	.type	_ZN7rocprim17ROCPRIM_400000_NS6detail17trampoline_kernelINS0_14default_configENS1_36segmented_radix_sort_config_selectorIalEEZNS1_25segmented_radix_sort_implIS3_Lb0EPKaPaPKlPlN2at6native12_GLOBAL__N_18offset_tEEE10hipError_tPvRmT1_PNSt15iterator_traitsISK_E10value_typeET2_T3_PNSL_ISQ_E10value_typeET4_jRbjT5_SW_jjP12ihipStream_tbEUlT_E_NS1_11comp_targetILNS1_3genE10ELNS1_11target_archE1201ELNS1_3gpuE5ELNS1_3repE0EEENS1_30default_config_static_selectorELNS0_4arch9wavefront6targetE0EEEvSK_,@function
_ZN7rocprim17ROCPRIM_400000_NS6detail17trampoline_kernelINS0_14default_configENS1_36segmented_radix_sort_config_selectorIalEEZNS1_25segmented_radix_sort_implIS3_Lb0EPKaPaPKlPlN2at6native12_GLOBAL__N_18offset_tEEE10hipError_tPvRmT1_PNSt15iterator_traitsISK_E10value_typeET2_T3_PNSL_ISQ_E10value_typeET4_jRbjT5_SW_jjP12ihipStream_tbEUlT_E_NS1_11comp_targetILNS1_3genE10ELNS1_11target_archE1201ELNS1_3gpuE5ELNS1_3repE0EEENS1_30default_config_static_selectorELNS0_4arch9wavefront6targetE0EEEvSK_: ; @_ZN7rocprim17ROCPRIM_400000_NS6detail17trampoline_kernelINS0_14default_configENS1_36segmented_radix_sort_config_selectorIalEEZNS1_25segmented_radix_sort_implIS3_Lb0EPKaPaPKlPlN2at6native12_GLOBAL__N_18offset_tEEE10hipError_tPvRmT1_PNSt15iterator_traitsISK_E10value_typeET2_T3_PNSL_ISQ_E10value_typeET4_jRbjT5_SW_jjP12ihipStream_tbEUlT_E_NS1_11comp_targetILNS1_3genE10ELNS1_11target_archE1201ELNS1_3gpuE5ELNS1_3repE0EEENS1_30default_config_static_selectorELNS0_4arch9wavefront6targetE0EEEvSK_
; %bb.0:
	.section	.rodata,"a",@progbits
	.p2align	6, 0x0
	.amdhsa_kernel _ZN7rocprim17ROCPRIM_400000_NS6detail17trampoline_kernelINS0_14default_configENS1_36segmented_radix_sort_config_selectorIalEEZNS1_25segmented_radix_sort_implIS3_Lb0EPKaPaPKlPlN2at6native12_GLOBAL__N_18offset_tEEE10hipError_tPvRmT1_PNSt15iterator_traitsISK_E10value_typeET2_T3_PNSL_ISQ_E10value_typeET4_jRbjT5_SW_jjP12ihipStream_tbEUlT_E_NS1_11comp_targetILNS1_3genE10ELNS1_11target_archE1201ELNS1_3gpuE5ELNS1_3repE0EEENS1_30default_config_static_selectorELNS0_4arch9wavefront6targetE0EEEvSK_
		.amdhsa_group_segment_fixed_size 0
		.amdhsa_private_segment_fixed_size 0
		.amdhsa_kernarg_size 96
		.amdhsa_user_sgpr_count 6
		.amdhsa_user_sgpr_private_segment_buffer 1
		.amdhsa_user_sgpr_dispatch_ptr 0
		.amdhsa_user_sgpr_queue_ptr 0
		.amdhsa_user_sgpr_kernarg_segment_ptr 1
		.amdhsa_user_sgpr_dispatch_id 0
		.amdhsa_user_sgpr_flat_scratch_init 0
		.amdhsa_user_sgpr_private_segment_size 0
		.amdhsa_wavefront_size32 1
		.amdhsa_uses_dynamic_stack 0
		.amdhsa_system_sgpr_private_segment_wavefront_offset 0
		.amdhsa_system_sgpr_workgroup_id_x 1
		.amdhsa_system_sgpr_workgroup_id_y 0
		.amdhsa_system_sgpr_workgroup_id_z 0
		.amdhsa_system_sgpr_workgroup_info 0
		.amdhsa_system_vgpr_workitem_id 0
		.amdhsa_next_free_vgpr 1
		.amdhsa_next_free_sgpr 1
		.amdhsa_reserve_vcc 0
		.amdhsa_reserve_flat_scratch 0
		.amdhsa_float_round_mode_32 0
		.amdhsa_float_round_mode_16_64 0
		.amdhsa_float_denorm_mode_32 3
		.amdhsa_float_denorm_mode_16_64 3
		.amdhsa_dx10_clamp 1
		.amdhsa_ieee_mode 1
		.amdhsa_fp16_overflow 0
		.amdhsa_workgroup_processor_mode 1
		.amdhsa_memory_ordered 1
		.amdhsa_forward_progress 1
		.amdhsa_shared_vgpr_count 0
		.amdhsa_exception_fp_ieee_invalid_op 0
		.amdhsa_exception_fp_denorm_src 0
		.amdhsa_exception_fp_ieee_div_zero 0
		.amdhsa_exception_fp_ieee_overflow 0
		.amdhsa_exception_fp_ieee_underflow 0
		.amdhsa_exception_fp_ieee_inexact 0
		.amdhsa_exception_int_div_zero 0
	.end_amdhsa_kernel
	.section	.text._ZN7rocprim17ROCPRIM_400000_NS6detail17trampoline_kernelINS0_14default_configENS1_36segmented_radix_sort_config_selectorIalEEZNS1_25segmented_radix_sort_implIS3_Lb0EPKaPaPKlPlN2at6native12_GLOBAL__N_18offset_tEEE10hipError_tPvRmT1_PNSt15iterator_traitsISK_E10value_typeET2_T3_PNSL_ISQ_E10value_typeET4_jRbjT5_SW_jjP12ihipStream_tbEUlT_E_NS1_11comp_targetILNS1_3genE10ELNS1_11target_archE1201ELNS1_3gpuE5ELNS1_3repE0EEENS1_30default_config_static_selectorELNS0_4arch9wavefront6targetE0EEEvSK_,"axG",@progbits,_ZN7rocprim17ROCPRIM_400000_NS6detail17trampoline_kernelINS0_14default_configENS1_36segmented_radix_sort_config_selectorIalEEZNS1_25segmented_radix_sort_implIS3_Lb0EPKaPaPKlPlN2at6native12_GLOBAL__N_18offset_tEEE10hipError_tPvRmT1_PNSt15iterator_traitsISK_E10value_typeET2_T3_PNSL_ISQ_E10value_typeET4_jRbjT5_SW_jjP12ihipStream_tbEUlT_E_NS1_11comp_targetILNS1_3genE10ELNS1_11target_archE1201ELNS1_3gpuE5ELNS1_3repE0EEENS1_30default_config_static_selectorELNS0_4arch9wavefront6targetE0EEEvSK_,comdat
.Lfunc_end395:
	.size	_ZN7rocprim17ROCPRIM_400000_NS6detail17trampoline_kernelINS0_14default_configENS1_36segmented_radix_sort_config_selectorIalEEZNS1_25segmented_radix_sort_implIS3_Lb0EPKaPaPKlPlN2at6native12_GLOBAL__N_18offset_tEEE10hipError_tPvRmT1_PNSt15iterator_traitsISK_E10value_typeET2_T3_PNSL_ISQ_E10value_typeET4_jRbjT5_SW_jjP12ihipStream_tbEUlT_E_NS1_11comp_targetILNS1_3genE10ELNS1_11target_archE1201ELNS1_3gpuE5ELNS1_3repE0EEENS1_30default_config_static_selectorELNS0_4arch9wavefront6targetE0EEEvSK_, .Lfunc_end395-_ZN7rocprim17ROCPRIM_400000_NS6detail17trampoline_kernelINS0_14default_configENS1_36segmented_radix_sort_config_selectorIalEEZNS1_25segmented_radix_sort_implIS3_Lb0EPKaPaPKlPlN2at6native12_GLOBAL__N_18offset_tEEE10hipError_tPvRmT1_PNSt15iterator_traitsISK_E10value_typeET2_T3_PNSL_ISQ_E10value_typeET4_jRbjT5_SW_jjP12ihipStream_tbEUlT_E_NS1_11comp_targetILNS1_3genE10ELNS1_11target_archE1201ELNS1_3gpuE5ELNS1_3repE0EEENS1_30default_config_static_selectorELNS0_4arch9wavefront6targetE0EEEvSK_
                                        ; -- End function
	.set _ZN7rocprim17ROCPRIM_400000_NS6detail17trampoline_kernelINS0_14default_configENS1_36segmented_radix_sort_config_selectorIalEEZNS1_25segmented_radix_sort_implIS3_Lb0EPKaPaPKlPlN2at6native12_GLOBAL__N_18offset_tEEE10hipError_tPvRmT1_PNSt15iterator_traitsISK_E10value_typeET2_T3_PNSL_ISQ_E10value_typeET4_jRbjT5_SW_jjP12ihipStream_tbEUlT_E_NS1_11comp_targetILNS1_3genE10ELNS1_11target_archE1201ELNS1_3gpuE5ELNS1_3repE0EEENS1_30default_config_static_selectorELNS0_4arch9wavefront6targetE0EEEvSK_.num_vgpr, 0
	.set _ZN7rocprim17ROCPRIM_400000_NS6detail17trampoline_kernelINS0_14default_configENS1_36segmented_radix_sort_config_selectorIalEEZNS1_25segmented_radix_sort_implIS3_Lb0EPKaPaPKlPlN2at6native12_GLOBAL__N_18offset_tEEE10hipError_tPvRmT1_PNSt15iterator_traitsISK_E10value_typeET2_T3_PNSL_ISQ_E10value_typeET4_jRbjT5_SW_jjP12ihipStream_tbEUlT_E_NS1_11comp_targetILNS1_3genE10ELNS1_11target_archE1201ELNS1_3gpuE5ELNS1_3repE0EEENS1_30default_config_static_selectorELNS0_4arch9wavefront6targetE0EEEvSK_.num_agpr, 0
	.set _ZN7rocprim17ROCPRIM_400000_NS6detail17trampoline_kernelINS0_14default_configENS1_36segmented_radix_sort_config_selectorIalEEZNS1_25segmented_radix_sort_implIS3_Lb0EPKaPaPKlPlN2at6native12_GLOBAL__N_18offset_tEEE10hipError_tPvRmT1_PNSt15iterator_traitsISK_E10value_typeET2_T3_PNSL_ISQ_E10value_typeET4_jRbjT5_SW_jjP12ihipStream_tbEUlT_E_NS1_11comp_targetILNS1_3genE10ELNS1_11target_archE1201ELNS1_3gpuE5ELNS1_3repE0EEENS1_30default_config_static_selectorELNS0_4arch9wavefront6targetE0EEEvSK_.numbered_sgpr, 0
	.set _ZN7rocprim17ROCPRIM_400000_NS6detail17trampoline_kernelINS0_14default_configENS1_36segmented_radix_sort_config_selectorIalEEZNS1_25segmented_radix_sort_implIS3_Lb0EPKaPaPKlPlN2at6native12_GLOBAL__N_18offset_tEEE10hipError_tPvRmT1_PNSt15iterator_traitsISK_E10value_typeET2_T3_PNSL_ISQ_E10value_typeET4_jRbjT5_SW_jjP12ihipStream_tbEUlT_E_NS1_11comp_targetILNS1_3genE10ELNS1_11target_archE1201ELNS1_3gpuE5ELNS1_3repE0EEENS1_30default_config_static_selectorELNS0_4arch9wavefront6targetE0EEEvSK_.num_named_barrier, 0
	.set _ZN7rocprim17ROCPRIM_400000_NS6detail17trampoline_kernelINS0_14default_configENS1_36segmented_radix_sort_config_selectorIalEEZNS1_25segmented_radix_sort_implIS3_Lb0EPKaPaPKlPlN2at6native12_GLOBAL__N_18offset_tEEE10hipError_tPvRmT1_PNSt15iterator_traitsISK_E10value_typeET2_T3_PNSL_ISQ_E10value_typeET4_jRbjT5_SW_jjP12ihipStream_tbEUlT_E_NS1_11comp_targetILNS1_3genE10ELNS1_11target_archE1201ELNS1_3gpuE5ELNS1_3repE0EEENS1_30default_config_static_selectorELNS0_4arch9wavefront6targetE0EEEvSK_.private_seg_size, 0
	.set _ZN7rocprim17ROCPRIM_400000_NS6detail17trampoline_kernelINS0_14default_configENS1_36segmented_radix_sort_config_selectorIalEEZNS1_25segmented_radix_sort_implIS3_Lb0EPKaPaPKlPlN2at6native12_GLOBAL__N_18offset_tEEE10hipError_tPvRmT1_PNSt15iterator_traitsISK_E10value_typeET2_T3_PNSL_ISQ_E10value_typeET4_jRbjT5_SW_jjP12ihipStream_tbEUlT_E_NS1_11comp_targetILNS1_3genE10ELNS1_11target_archE1201ELNS1_3gpuE5ELNS1_3repE0EEENS1_30default_config_static_selectorELNS0_4arch9wavefront6targetE0EEEvSK_.uses_vcc, 0
	.set _ZN7rocprim17ROCPRIM_400000_NS6detail17trampoline_kernelINS0_14default_configENS1_36segmented_radix_sort_config_selectorIalEEZNS1_25segmented_radix_sort_implIS3_Lb0EPKaPaPKlPlN2at6native12_GLOBAL__N_18offset_tEEE10hipError_tPvRmT1_PNSt15iterator_traitsISK_E10value_typeET2_T3_PNSL_ISQ_E10value_typeET4_jRbjT5_SW_jjP12ihipStream_tbEUlT_E_NS1_11comp_targetILNS1_3genE10ELNS1_11target_archE1201ELNS1_3gpuE5ELNS1_3repE0EEENS1_30default_config_static_selectorELNS0_4arch9wavefront6targetE0EEEvSK_.uses_flat_scratch, 0
	.set _ZN7rocprim17ROCPRIM_400000_NS6detail17trampoline_kernelINS0_14default_configENS1_36segmented_radix_sort_config_selectorIalEEZNS1_25segmented_radix_sort_implIS3_Lb0EPKaPaPKlPlN2at6native12_GLOBAL__N_18offset_tEEE10hipError_tPvRmT1_PNSt15iterator_traitsISK_E10value_typeET2_T3_PNSL_ISQ_E10value_typeET4_jRbjT5_SW_jjP12ihipStream_tbEUlT_E_NS1_11comp_targetILNS1_3genE10ELNS1_11target_archE1201ELNS1_3gpuE5ELNS1_3repE0EEENS1_30default_config_static_selectorELNS0_4arch9wavefront6targetE0EEEvSK_.has_dyn_sized_stack, 0
	.set _ZN7rocprim17ROCPRIM_400000_NS6detail17trampoline_kernelINS0_14default_configENS1_36segmented_radix_sort_config_selectorIalEEZNS1_25segmented_radix_sort_implIS3_Lb0EPKaPaPKlPlN2at6native12_GLOBAL__N_18offset_tEEE10hipError_tPvRmT1_PNSt15iterator_traitsISK_E10value_typeET2_T3_PNSL_ISQ_E10value_typeET4_jRbjT5_SW_jjP12ihipStream_tbEUlT_E_NS1_11comp_targetILNS1_3genE10ELNS1_11target_archE1201ELNS1_3gpuE5ELNS1_3repE0EEENS1_30default_config_static_selectorELNS0_4arch9wavefront6targetE0EEEvSK_.has_recursion, 0
	.set _ZN7rocprim17ROCPRIM_400000_NS6detail17trampoline_kernelINS0_14default_configENS1_36segmented_radix_sort_config_selectorIalEEZNS1_25segmented_radix_sort_implIS3_Lb0EPKaPaPKlPlN2at6native12_GLOBAL__N_18offset_tEEE10hipError_tPvRmT1_PNSt15iterator_traitsISK_E10value_typeET2_T3_PNSL_ISQ_E10value_typeET4_jRbjT5_SW_jjP12ihipStream_tbEUlT_E_NS1_11comp_targetILNS1_3genE10ELNS1_11target_archE1201ELNS1_3gpuE5ELNS1_3repE0EEENS1_30default_config_static_selectorELNS0_4arch9wavefront6targetE0EEEvSK_.has_indirect_call, 0
	.section	.AMDGPU.csdata,"",@progbits
; Kernel info:
; codeLenInByte = 0
; TotalNumSgprs: 0
; NumVgprs: 0
; ScratchSize: 0
; MemoryBound: 0
; FloatMode: 240
; IeeeMode: 1
; LDSByteSize: 0 bytes/workgroup (compile time only)
; SGPRBlocks: 0
; VGPRBlocks: 0
; NumSGPRsForWavesPerEU: 1
; NumVGPRsForWavesPerEU: 1
; Occupancy: 16
; WaveLimiterHint : 0
; COMPUTE_PGM_RSRC2:SCRATCH_EN: 0
; COMPUTE_PGM_RSRC2:USER_SGPR: 6
; COMPUTE_PGM_RSRC2:TRAP_HANDLER: 0
; COMPUTE_PGM_RSRC2:TGID_X_EN: 1
; COMPUTE_PGM_RSRC2:TGID_Y_EN: 0
; COMPUTE_PGM_RSRC2:TGID_Z_EN: 0
; COMPUTE_PGM_RSRC2:TIDIG_COMP_CNT: 0
	.section	.text._ZN7rocprim17ROCPRIM_400000_NS6detail17trampoline_kernelINS0_14default_configENS1_36segmented_radix_sort_config_selectorIalEEZNS1_25segmented_radix_sort_implIS3_Lb0EPKaPaPKlPlN2at6native12_GLOBAL__N_18offset_tEEE10hipError_tPvRmT1_PNSt15iterator_traitsISK_E10value_typeET2_T3_PNSL_ISQ_E10value_typeET4_jRbjT5_SW_jjP12ihipStream_tbEUlT_E_NS1_11comp_targetILNS1_3genE10ELNS1_11target_archE1200ELNS1_3gpuE4ELNS1_3repE0EEENS1_30default_config_static_selectorELNS0_4arch9wavefront6targetE0EEEvSK_,"axG",@progbits,_ZN7rocprim17ROCPRIM_400000_NS6detail17trampoline_kernelINS0_14default_configENS1_36segmented_radix_sort_config_selectorIalEEZNS1_25segmented_radix_sort_implIS3_Lb0EPKaPaPKlPlN2at6native12_GLOBAL__N_18offset_tEEE10hipError_tPvRmT1_PNSt15iterator_traitsISK_E10value_typeET2_T3_PNSL_ISQ_E10value_typeET4_jRbjT5_SW_jjP12ihipStream_tbEUlT_E_NS1_11comp_targetILNS1_3genE10ELNS1_11target_archE1200ELNS1_3gpuE4ELNS1_3repE0EEENS1_30default_config_static_selectorELNS0_4arch9wavefront6targetE0EEEvSK_,comdat
	.globl	_ZN7rocprim17ROCPRIM_400000_NS6detail17trampoline_kernelINS0_14default_configENS1_36segmented_radix_sort_config_selectorIalEEZNS1_25segmented_radix_sort_implIS3_Lb0EPKaPaPKlPlN2at6native12_GLOBAL__N_18offset_tEEE10hipError_tPvRmT1_PNSt15iterator_traitsISK_E10value_typeET2_T3_PNSL_ISQ_E10value_typeET4_jRbjT5_SW_jjP12ihipStream_tbEUlT_E_NS1_11comp_targetILNS1_3genE10ELNS1_11target_archE1200ELNS1_3gpuE4ELNS1_3repE0EEENS1_30default_config_static_selectorELNS0_4arch9wavefront6targetE0EEEvSK_ ; -- Begin function _ZN7rocprim17ROCPRIM_400000_NS6detail17trampoline_kernelINS0_14default_configENS1_36segmented_radix_sort_config_selectorIalEEZNS1_25segmented_radix_sort_implIS3_Lb0EPKaPaPKlPlN2at6native12_GLOBAL__N_18offset_tEEE10hipError_tPvRmT1_PNSt15iterator_traitsISK_E10value_typeET2_T3_PNSL_ISQ_E10value_typeET4_jRbjT5_SW_jjP12ihipStream_tbEUlT_E_NS1_11comp_targetILNS1_3genE10ELNS1_11target_archE1200ELNS1_3gpuE4ELNS1_3repE0EEENS1_30default_config_static_selectorELNS0_4arch9wavefront6targetE0EEEvSK_
	.p2align	8
	.type	_ZN7rocprim17ROCPRIM_400000_NS6detail17trampoline_kernelINS0_14default_configENS1_36segmented_radix_sort_config_selectorIalEEZNS1_25segmented_radix_sort_implIS3_Lb0EPKaPaPKlPlN2at6native12_GLOBAL__N_18offset_tEEE10hipError_tPvRmT1_PNSt15iterator_traitsISK_E10value_typeET2_T3_PNSL_ISQ_E10value_typeET4_jRbjT5_SW_jjP12ihipStream_tbEUlT_E_NS1_11comp_targetILNS1_3genE10ELNS1_11target_archE1200ELNS1_3gpuE4ELNS1_3repE0EEENS1_30default_config_static_selectorELNS0_4arch9wavefront6targetE0EEEvSK_,@function
_ZN7rocprim17ROCPRIM_400000_NS6detail17trampoline_kernelINS0_14default_configENS1_36segmented_radix_sort_config_selectorIalEEZNS1_25segmented_radix_sort_implIS3_Lb0EPKaPaPKlPlN2at6native12_GLOBAL__N_18offset_tEEE10hipError_tPvRmT1_PNSt15iterator_traitsISK_E10value_typeET2_T3_PNSL_ISQ_E10value_typeET4_jRbjT5_SW_jjP12ihipStream_tbEUlT_E_NS1_11comp_targetILNS1_3genE10ELNS1_11target_archE1200ELNS1_3gpuE4ELNS1_3repE0EEENS1_30default_config_static_selectorELNS0_4arch9wavefront6targetE0EEEvSK_: ; @_ZN7rocprim17ROCPRIM_400000_NS6detail17trampoline_kernelINS0_14default_configENS1_36segmented_radix_sort_config_selectorIalEEZNS1_25segmented_radix_sort_implIS3_Lb0EPKaPaPKlPlN2at6native12_GLOBAL__N_18offset_tEEE10hipError_tPvRmT1_PNSt15iterator_traitsISK_E10value_typeET2_T3_PNSL_ISQ_E10value_typeET4_jRbjT5_SW_jjP12ihipStream_tbEUlT_E_NS1_11comp_targetILNS1_3genE10ELNS1_11target_archE1200ELNS1_3gpuE4ELNS1_3repE0EEENS1_30default_config_static_selectorELNS0_4arch9wavefront6targetE0EEEvSK_
; %bb.0:
	.section	.rodata,"a",@progbits
	.p2align	6, 0x0
	.amdhsa_kernel _ZN7rocprim17ROCPRIM_400000_NS6detail17trampoline_kernelINS0_14default_configENS1_36segmented_radix_sort_config_selectorIalEEZNS1_25segmented_radix_sort_implIS3_Lb0EPKaPaPKlPlN2at6native12_GLOBAL__N_18offset_tEEE10hipError_tPvRmT1_PNSt15iterator_traitsISK_E10value_typeET2_T3_PNSL_ISQ_E10value_typeET4_jRbjT5_SW_jjP12ihipStream_tbEUlT_E_NS1_11comp_targetILNS1_3genE10ELNS1_11target_archE1200ELNS1_3gpuE4ELNS1_3repE0EEENS1_30default_config_static_selectorELNS0_4arch9wavefront6targetE0EEEvSK_
		.amdhsa_group_segment_fixed_size 0
		.amdhsa_private_segment_fixed_size 0
		.amdhsa_kernarg_size 96
		.amdhsa_user_sgpr_count 6
		.amdhsa_user_sgpr_private_segment_buffer 1
		.amdhsa_user_sgpr_dispatch_ptr 0
		.amdhsa_user_sgpr_queue_ptr 0
		.amdhsa_user_sgpr_kernarg_segment_ptr 1
		.amdhsa_user_sgpr_dispatch_id 0
		.amdhsa_user_sgpr_flat_scratch_init 0
		.amdhsa_user_sgpr_private_segment_size 0
		.amdhsa_wavefront_size32 1
		.amdhsa_uses_dynamic_stack 0
		.amdhsa_system_sgpr_private_segment_wavefront_offset 0
		.amdhsa_system_sgpr_workgroup_id_x 1
		.amdhsa_system_sgpr_workgroup_id_y 0
		.amdhsa_system_sgpr_workgroup_id_z 0
		.amdhsa_system_sgpr_workgroup_info 0
		.amdhsa_system_vgpr_workitem_id 0
		.amdhsa_next_free_vgpr 1
		.amdhsa_next_free_sgpr 1
		.amdhsa_reserve_vcc 0
		.amdhsa_reserve_flat_scratch 0
		.amdhsa_float_round_mode_32 0
		.amdhsa_float_round_mode_16_64 0
		.amdhsa_float_denorm_mode_32 3
		.amdhsa_float_denorm_mode_16_64 3
		.amdhsa_dx10_clamp 1
		.amdhsa_ieee_mode 1
		.amdhsa_fp16_overflow 0
		.amdhsa_workgroup_processor_mode 1
		.amdhsa_memory_ordered 1
		.amdhsa_forward_progress 1
		.amdhsa_shared_vgpr_count 0
		.amdhsa_exception_fp_ieee_invalid_op 0
		.amdhsa_exception_fp_denorm_src 0
		.amdhsa_exception_fp_ieee_div_zero 0
		.amdhsa_exception_fp_ieee_overflow 0
		.amdhsa_exception_fp_ieee_underflow 0
		.amdhsa_exception_fp_ieee_inexact 0
		.amdhsa_exception_int_div_zero 0
	.end_amdhsa_kernel
	.section	.text._ZN7rocprim17ROCPRIM_400000_NS6detail17trampoline_kernelINS0_14default_configENS1_36segmented_radix_sort_config_selectorIalEEZNS1_25segmented_radix_sort_implIS3_Lb0EPKaPaPKlPlN2at6native12_GLOBAL__N_18offset_tEEE10hipError_tPvRmT1_PNSt15iterator_traitsISK_E10value_typeET2_T3_PNSL_ISQ_E10value_typeET4_jRbjT5_SW_jjP12ihipStream_tbEUlT_E_NS1_11comp_targetILNS1_3genE10ELNS1_11target_archE1200ELNS1_3gpuE4ELNS1_3repE0EEENS1_30default_config_static_selectorELNS0_4arch9wavefront6targetE0EEEvSK_,"axG",@progbits,_ZN7rocprim17ROCPRIM_400000_NS6detail17trampoline_kernelINS0_14default_configENS1_36segmented_radix_sort_config_selectorIalEEZNS1_25segmented_radix_sort_implIS3_Lb0EPKaPaPKlPlN2at6native12_GLOBAL__N_18offset_tEEE10hipError_tPvRmT1_PNSt15iterator_traitsISK_E10value_typeET2_T3_PNSL_ISQ_E10value_typeET4_jRbjT5_SW_jjP12ihipStream_tbEUlT_E_NS1_11comp_targetILNS1_3genE10ELNS1_11target_archE1200ELNS1_3gpuE4ELNS1_3repE0EEENS1_30default_config_static_selectorELNS0_4arch9wavefront6targetE0EEEvSK_,comdat
.Lfunc_end396:
	.size	_ZN7rocprim17ROCPRIM_400000_NS6detail17trampoline_kernelINS0_14default_configENS1_36segmented_radix_sort_config_selectorIalEEZNS1_25segmented_radix_sort_implIS3_Lb0EPKaPaPKlPlN2at6native12_GLOBAL__N_18offset_tEEE10hipError_tPvRmT1_PNSt15iterator_traitsISK_E10value_typeET2_T3_PNSL_ISQ_E10value_typeET4_jRbjT5_SW_jjP12ihipStream_tbEUlT_E_NS1_11comp_targetILNS1_3genE10ELNS1_11target_archE1200ELNS1_3gpuE4ELNS1_3repE0EEENS1_30default_config_static_selectorELNS0_4arch9wavefront6targetE0EEEvSK_, .Lfunc_end396-_ZN7rocprim17ROCPRIM_400000_NS6detail17trampoline_kernelINS0_14default_configENS1_36segmented_radix_sort_config_selectorIalEEZNS1_25segmented_radix_sort_implIS3_Lb0EPKaPaPKlPlN2at6native12_GLOBAL__N_18offset_tEEE10hipError_tPvRmT1_PNSt15iterator_traitsISK_E10value_typeET2_T3_PNSL_ISQ_E10value_typeET4_jRbjT5_SW_jjP12ihipStream_tbEUlT_E_NS1_11comp_targetILNS1_3genE10ELNS1_11target_archE1200ELNS1_3gpuE4ELNS1_3repE0EEENS1_30default_config_static_selectorELNS0_4arch9wavefront6targetE0EEEvSK_
                                        ; -- End function
	.set _ZN7rocprim17ROCPRIM_400000_NS6detail17trampoline_kernelINS0_14default_configENS1_36segmented_radix_sort_config_selectorIalEEZNS1_25segmented_radix_sort_implIS3_Lb0EPKaPaPKlPlN2at6native12_GLOBAL__N_18offset_tEEE10hipError_tPvRmT1_PNSt15iterator_traitsISK_E10value_typeET2_T3_PNSL_ISQ_E10value_typeET4_jRbjT5_SW_jjP12ihipStream_tbEUlT_E_NS1_11comp_targetILNS1_3genE10ELNS1_11target_archE1200ELNS1_3gpuE4ELNS1_3repE0EEENS1_30default_config_static_selectorELNS0_4arch9wavefront6targetE0EEEvSK_.num_vgpr, 0
	.set _ZN7rocprim17ROCPRIM_400000_NS6detail17trampoline_kernelINS0_14default_configENS1_36segmented_radix_sort_config_selectorIalEEZNS1_25segmented_radix_sort_implIS3_Lb0EPKaPaPKlPlN2at6native12_GLOBAL__N_18offset_tEEE10hipError_tPvRmT1_PNSt15iterator_traitsISK_E10value_typeET2_T3_PNSL_ISQ_E10value_typeET4_jRbjT5_SW_jjP12ihipStream_tbEUlT_E_NS1_11comp_targetILNS1_3genE10ELNS1_11target_archE1200ELNS1_3gpuE4ELNS1_3repE0EEENS1_30default_config_static_selectorELNS0_4arch9wavefront6targetE0EEEvSK_.num_agpr, 0
	.set _ZN7rocprim17ROCPRIM_400000_NS6detail17trampoline_kernelINS0_14default_configENS1_36segmented_radix_sort_config_selectorIalEEZNS1_25segmented_radix_sort_implIS3_Lb0EPKaPaPKlPlN2at6native12_GLOBAL__N_18offset_tEEE10hipError_tPvRmT1_PNSt15iterator_traitsISK_E10value_typeET2_T3_PNSL_ISQ_E10value_typeET4_jRbjT5_SW_jjP12ihipStream_tbEUlT_E_NS1_11comp_targetILNS1_3genE10ELNS1_11target_archE1200ELNS1_3gpuE4ELNS1_3repE0EEENS1_30default_config_static_selectorELNS0_4arch9wavefront6targetE0EEEvSK_.numbered_sgpr, 0
	.set _ZN7rocprim17ROCPRIM_400000_NS6detail17trampoline_kernelINS0_14default_configENS1_36segmented_radix_sort_config_selectorIalEEZNS1_25segmented_radix_sort_implIS3_Lb0EPKaPaPKlPlN2at6native12_GLOBAL__N_18offset_tEEE10hipError_tPvRmT1_PNSt15iterator_traitsISK_E10value_typeET2_T3_PNSL_ISQ_E10value_typeET4_jRbjT5_SW_jjP12ihipStream_tbEUlT_E_NS1_11comp_targetILNS1_3genE10ELNS1_11target_archE1200ELNS1_3gpuE4ELNS1_3repE0EEENS1_30default_config_static_selectorELNS0_4arch9wavefront6targetE0EEEvSK_.num_named_barrier, 0
	.set _ZN7rocprim17ROCPRIM_400000_NS6detail17trampoline_kernelINS0_14default_configENS1_36segmented_radix_sort_config_selectorIalEEZNS1_25segmented_radix_sort_implIS3_Lb0EPKaPaPKlPlN2at6native12_GLOBAL__N_18offset_tEEE10hipError_tPvRmT1_PNSt15iterator_traitsISK_E10value_typeET2_T3_PNSL_ISQ_E10value_typeET4_jRbjT5_SW_jjP12ihipStream_tbEUlT_E_NS1_11comp_targetILNS1_3genE10ELNS1_11target_archE1200ELNS1_3gpuE4ELNS1_3repE0EEENS1_30default_config_static_selectorELNS0_4arch9wavefront6targetE0EEEvSK_.private_seg_size, 0
	.set _ZN7rocprim17ROCPRIM_400000_NS6detail17trampoline_kernelINS0_14default_configENS1_36segmented_radix_sort_config_selectorIalEEZNS1_25segmented_radix_sort_implIS3_Lb0EPKaPaPKlPlN2at6native12_GLOBAL__N_18offset_tEEE10hipError_tPvRmT1_PNSt15iterator_traitsISK_E10value_typeET2_T3_PNSL_ISQ_E10value_typeET4_jRbjT5_SW_jjP12ihipStream_tbEUlT_E_NS1_11comp_targetILNS1_3genE10ELNS1_11target_archE1200ELNS1_3gpuE4ELNS1_3repE0EEENS1_30default_config_static_selectorELNS0_4arch9wavefront6targetE0EEEvSK_.uses_vcc, 0
	.set _ZN7rocprim17ROCPRIM_400000_NS6detail17trampoline_kernelINS0_14default_configENS1_36segmented_radix_sort_config_selectorIalEEZNS1_25segmented_radix_sort_implIS3_Lb0EPKaPaPKlPlN2at6native12_GLOBAL__N_18offset_tEEE10hipError_tPvRmT1_PNSt15iterator_traitsISK_E10value_typeET2_T3_PNSL_ISQ_E10value_typeET4_jRbjT5_SW_jjP12ihipStream_tbEUlT_E_NS1_11comp_targetILNS1_3genE10ELNS1_11target_archE1200ELNS1_3gpuE4ELNS1_3repE0EEENS1_30default_config_static_selectorELNS0_4arch9wavefront6targetE0EEEvSK_.uses_flat_scratch, 0
	.set _ZN7rocprim17ROCPRIM_400000_NS6detail17trampoline_kernelINS0_14default_configENS1_36segmented_radix_sort_config_selectorIalEEZNS1_25segmented_radix_sort_implIS3_Lb0EPKaPaPKlPlN2at6native12_GLOBAL__N_18offset_tEEE10hipError_tPvRmT1_PNSt15iterator_traitsISK_E10value_typeET2_T3_PNSL_ISQ_E10value_typeET4_jRbjT5_SW_jjP12ihipStream_tbEUlT_E_NS1_11comp_targetILNS1_3genE10ELNS1_11target_archE1200ELNS1_3gpuE4ELNS1_3repE0EEENS1_30default_config_static_selectorELNS0_4arch9wavefront6targetE0EEEvSK_.has_dyn_sized_stack, 0
	.set _ZN7rocprim17ROCPRIM_400000_NS6detail17trampoline_kernelINS0_14default_configENS1_36segmented_radix_sort_config_selectorIalEEZNS1_25segmented_radix_sort_implIS3_Lb0EPKaPaPKlPlN2at6native12_GLOBAL__N_18offset_tEEE10hipError_tPvRmT1_PNSt15iterator_traitsISK_E10value_typeET2_T3_PNSL_ISQ_E10value_typeET4_jRbjT5_SW_jjP12ihipStream_tbEUlT_E_NS1_11comp_targetILNS1_3genE10ELNS1_11target_archE1200ELNS1_3gpuE4ELNS1_3repE0EEENS1_30default_config_static_selectorELNS0_4arch9wavefront6targetE0EEEvSK_.has_recursion, 0
	.set _ZN7rocprim17ROCPRIM_400000_NS6detail17trampoline_kernelINS0_14default_configENS1_36segmented_radix_sort_config_selectorIalEEZNS1_25segmented_radix_sort_implIS3_Lb0EPKaPaPKlPlN2at6native12_GLOBAL__N_18offset_tEEE10hipError_tPvRmT1_PNSt15iterator_traitsISK_E10value_typeET2_T3_PNSL_ISQ_E10value_typeET4_jRbjT5_SW_jjP12ihipStream_tbEUlT_E_NS1_11comp_targetILNS1_3genE10ELNS1_11target_archE1200ELNS1_3gpuE4ELNS1_3repE0EEENS1_30default_config_static_selectorELNS0_4arch9wavefront6targetE0EEEvSK_.has_indirect_call, 0
	.section	.AMDGPU.csdata,"",@progbits
; Kernel info:
; codeLenInByte = 0
; TotalNumSgprs: 0
; NumVgprs: 0
; ScratchSize: 0
; MemoryBound: 0
; FloatMode: 240
; IeeeMode: 1
; LDSByteSize: 0 bytes/workgroup (compile time only)
; SGPRBlocks: 0
; VGPRBlocks: 0
; NumSGPRsForWavesPerEU: 1
; NumVGPRsForWavesPerEU: 1
; Occupancy: 16
; WaveLimiterHint : 0
; COMPUTE_PGM_RSRC2:SCRATCH_EN: 0
; COMPUTE_PGM_RSRC2:USER_SGPR: 6
; COMPUTE_PGM_RSRC2:TRAP_HANDLER: 0
; COMPUTE_PGM_RSRC2:TGID_X_EN: 1
; COMPUTE_PGM_RSRC2:TGID_Y_EN: 0
; COMPUTE_PGM_RSRC2:TGID_Z_EN: 0
; COMPUTE_PGM_RSRC2:TIDIG_COMP_CNT: 0
	.section	.text._ZN7rocprim17ROCPRIM_400000_NS6detail17trampoline_kernelINS0_14default_configENS1_36segmented_radix_sort_config_selectorIalEEZNS1_25segmented_radix_sort_implIS3_Lb0EPKaPaPKlPlN2at6native12_GLOBAL__N_18offset_tEEE10hipError_tPvRmT1_PNSt15iterator_traitsISK_E10value_typeET2_T3_PNSL_ISQ_E10value_typeET4_jRbjT5_SW_jjP12ihipStream_tbEUlT_E_NS1_11comp_targetILNS1_3genE9ELNS1_11target_archE1100ELNS1_3gpuE3ELNS1_3repE0EEENS1_30default_config_static_selectorELNS0_4arch9wavefront6targetE0EEEvSK_,"axG",@progbits,_ZN7rocprim17ROCPRIM_400000_NS6detail17trampoline_kernelINS0_14default_configENS1_36segmented_radix_sort_config_selectorIalEEZNS1_25segmented_radix_sort_implIS3_Lb0EPKaPaPKlPlN2at6native12_GLOBAL__N_18offset_tEEE10hipError_tPvRmT1_PNSt15iterator_traitsISK_E10value_typeET2_T3_PNSL_ISQ_E10value_typeET4_jRbjT5_SW_jjP12ihipStream_tbEUlT_E_NS1_11comp_targetILNS1_3genE9ELNS1_11target_archE1100ELNS1_3gpuE3ELNS1_3repE0EEENS1_30default_config_static_selectorELNS0_4arch9wavefront6targetE0EEEvSK_,comdat
	.globl	_ZN7rocprim17ROCPRIM_400000_NS6detail17trampoline_kernelINS0_14default_configENS1_36segmented_radix_sort_config_selectorIalEEZNS1_25segmented_radix_sort_implIS3_Lb0EPKaPaPKlPlN2at6native12_GLOBAL__N_18offset_tEEE10hipError_tPvRmT1_PNSt15iterator_traitsISK_E10value_typeET2_T3_PNSL_ISQ_E10value_typeET4_jRbjT5_SW_jjP12ihipStream_tbEUlT_E_NS1_11comp_targetILNS1_3genE9ELNS1_11target_archE1100ELNS1_3gpuE3ELNS1_3repE0EEENS1_30default_config_static_selectorELNS0_4arch9wavefront6targetE0EEEvSK_ ; -- Begin function _ZN7rocprim17ROCPRIM_400000_NS6detail17trampoline_kernelINS0_14default_configENS1_36segmented_radix_sort_config_selectorIalEEZNS1_25segmented_radix_sort_implIS3_Lb0EPKaPaPKlPlN2at6native12_GLOBAL__N_18offset_tEEE10hipError_tPvRmT1_PNSt15iterator_traitsISK_E10value_typeET2_T3_PNSL_ISQ_E10value_typeET4_jRbjT5_SW_jjP12ihipStream_tbEUlT_E_NS1_11comp_targetILNS1_3genE9ELNS1_11target_archE1100ELNS1_3gpuE3ELNS1_3repE0EEENS1_30default_config_static_selectorELNS0_4arch9wavefront6targetE0EEEvSK_
	.p2align	8
	.type	_ZN7rocprim17ROCPRIM_400000_NS6detail17trampoline_kernelINS0_14default_configENS1_36segmented_radix_sort_config_selectorIalEEZNS1_25segmented_radix_sort_implIS3_Lb0EPKaPaPKlPlN2at6native12_GLOBAL__N_18offset_tEEE10hipError_tPvRmT1_PNSt15iterator_traitsISK_E10value_typeET2_T3_PNSL_ISQ_E10value_typeET4_jRbjT5_SW_jjP12ihipStream_tbEUlT_E_NS1_11comp_targetILNS1_3genE9ELNS1_11target_archE1100ELNS1_3gpuE3ELNS1_3repE0EEENS1_30default_config_static_selectorELNS0_4arch9wavefront6targetE0EEEvSK_,@function
_ZN7rocprim17ROCPRIM_400000_NS6detail17trampoline_kernelINS0_14default_configENS1_36segmented_radix_sort_config_selectorIalEEZNS1_25segmented_radix_sort_implIS3_Lb0EPKaPaPKlPlN2at6native12_GLOBAL__N_18offset_tEEE10hipError_tPvRmT1_PNSt15iterator_traitsISK_E10value_typeET2_T3_PNSL_ISQ_E10value_typeET4_jRbjT5_SW_jjP12ihipStream_tbEUlT_E_NS1_11comp_targetILNS1_3genE9ELNS1_11target_archE1100ELNS1_3gpuE3ELNS1_3repE0EEENS1_30default_config_static_selectorELNS0_4arch9wavefront6targetE0EEEvSK_: ; @_ZN7rocprim17ROCPRIM_400000_NS6detail17trampoline_kernelINS0_14default_configENS1_36segmented_radix_sort_config_selectorIalEEZNS1_25segmented_radix_sort_implIS3_Lb0EPKaPaPKlPlN2at6native12_GLOBAL__N_18offset_tEEE10hipError_tPvRmT1_PNSt15iterator_traitsISK_E10value_typeET2_T3_PNSL_ISQ_E10value_typeET4_jRbjT5_SW_jjP12ihipStream_tbEUlT_E_NS1_11comp_targetILNS1_3genE9ELNS1_11target_archE1100ELNS1_3gpuE3ELNS1_3repE0EEENS1_30default_config_static_selectorELNS0_4arch9wavefront6targetE0EEEvSK_
; %bb.0:
	.section	.rodata,"a",@progbits
	.p2align	6, 0x0
	.amdhsa_kernel _ZN7rocprim17ROCPRIM_400000_NS6detail17trampoline_kernelINS0_14default_configENS1_36segmented_radix_sort_config_selectorIalEEZNS1_25segmented_radix_sort_implIS3_Lb0EPKaPaPKlPlN2at6native12_GLOBAL__N_18offset_tEEE10hipError_tPvRmT1_PNSt15iterator_traitsISK_E10value_typeET2_T3_PNSL_ISQ_E10value_typeET4_jRbjT5_SW_jjP12ihipStream_tbEUlT_E_NS1_11comp_targetILNS1_3genE9ELNS1_11target_archE1100ELNS1_3gpuE3ELNS1_3repE0EEENS1_30default_config_static_selectorELNS0_4arch9wavefront6targetE0EEEvSK_
		.amdhsa_group_segment_fixed_size 0
		.amdhsa_private_segment_fixed_size 0
		.amdhsa_kernarg_size 96
		.amdhsa_user_sgpr_count 6
		.amdhsa_user_sgpr_private_segment_buffer 1
		.amdhsa_user_sgpr_dispatch_ptr 0
		.amdhsa_user_sgpr_queue_ptr 0
		.amdhsa_user_sgpr_kernarg_segment_ptr 1
		.amdhsa_user_sgpr_dispatch_id 0
		.amdhsa_user_sgpr_flat_scratch_init 0
		.amdhsa_user_sgpr_private_segment_size 0
		.amdhsa_wavefront_size32 1
		.amdhsa_uses_dynamic_stack 0
		.amdhsa_system_sgpr_private_segment_wavefront_offset 0
		.amdhsa_system_sgpr_workgroup_id_x 1
		.amdhsa_system_sgpr_workgroup_id_y 0
		.amdhsa_system_sgpr_workgroup_id_z 0
		.amdhsa_system_sgpr_workgroup_info 0
		.amdhsa_system_vgpr_workitem_id 0
		.amdhsa_next_free_vgpr 1
		.amdhsa_next_free_sgpr 1
		.amdhsa_reserve_vcc 0
		.amdhsa_reserve_flat_scratch 0
		.amdhsa_float_round_mode_32 0
		.amdhsa_float_round_mode_16_64 0
		.amdhsa_float_denorm_mode_32 3
		.amdhsa_float_denorm_mode_16_64 3
		.amdhsa_dx10_clamp 1
		.amdhsa_ieee_mode 1
		.amdhsa_fp16_overflow 0
		.amdhsa_workgroup_processor_mode 1
		.amdhsa_memory_ordered 1
		.amdhsa_forward_progress 1
		.amdhsa_shared_vgpr_count 0
		.amdhsa_exception_fp_ieee_invalid_op 0
		.amdhsa_exception_fp_denorm_src 0
		.amdhsa_exception_fp_ieee_div_zero 0
		.amdhsa_exception_fp_ieee_overflow 0
		.amdhsa_exception_fp_ieee_underflow 0
		.amdhsa_exception_fp_ieee_inexact 0
		.amdhsa_exception_int_div_zero 0
	.end_amdhsa_kernel
	.section	.text._ZN7rocprim17ROCPRIM_400000_NS6detail17trampoline_kernelINS0_14default_configENS1_36segmented_radix_sort_config_selectorIalEEZNS1_25segmented_radix_sort_implIS3_Lb0EPKaPaPKlPlN2at6native12_GLOBAL__N_18offset_tEEE10hipError_tPvRmT1_PNSt15iterator_traitsISK_E10value_typeET2_T3_PNSL_ISQ_E10value_typeET4_jRbjT5_SW_jjP12ihipStream_tbEUlT_E_NS1_11comp_targetILNS1_3genE9ELNS1_11target_archE1100ELNS1_3gpuE3ELNS1_3repE0EEENS1_30default_config_static_selectorELNS0_4arch9wavefront6targetE0EEEvSK_,"axG",@progbits,_ZN7rocprim17ROCPRIM_400000_NS6detail17trampoline_kernelINS0_14default_configENS1_36segmented_radix_sort_config_selectorIalEEZNS1_25segmented_radix_sort_implIS3_Lb0EPKaPaPKlPlN2at6native12_GLOBAL__N_18offset_tEEE10hipError_tPvRmT1_PNSt15iterator_traitsISK_E10value_typeET2_T3_PNSL_ISQ_E10value_typeET4_jRbjT5_SW_jjP12ihipStream_tbEUlT_E_NS1_11comp_targetILNS1_3genE9ELNS1_11target_archE1100ELNS1_3gpuE3ELNS1_3repE0EEENS1_30default_config_static_selectorELNS0_4arch9wavefront6targetE0EEEvSK_,comdat
.Lfunc_end397:
	.size	_ZN7rocprim17ROCPRIM_400000_NS6detail17trampoline_kernelINS0_14default_configENS1_36segmented_radix_sort_config_selectorIalEEZNS1_25segmented_radix_sort_implIS3_Lb0EPKaPaPKlPlN2at6native12_GLOBAL__N_18offset_tEEE10hipError_tPvRmT1_PNSt15iterator_traitsISK_E10value_typeET2_T3_PNSL_ISQ_E10value_typeET4_jRbjT5_SW_jjP12ihipStream_tbEUlT_E_NS1_11comp_targetILNS1_3genE9ELNS1_11target_archE1100ELNS1_3gpuE3ELNS1_3repE0EEENS1_30default_config_static_selectorELNS0_4arch9wavefront6targetE0EEEvSK_, .Lfunc_end397-_ZN7rocprim17ROCPRIM_400000_NS6detail17trampoline_kernelINS0_14default_configENS1_36segmented_radix_sort_config_selectorIalEEZNS1_25segmented_radix_sort_implIS3_Lb0EPKaPaPKlPlN2at6native12_GLOBAL__N_18offset_tEEE10hipError_tPvRmT1_PNSt15iterator_traitsISK_E10value_typeET2_T3_PNSL_ISQ_E10value_typeET4_jRbjT5_SW_jjP12ihipStream_tbEUlT_E_NS1_11comp_targetILNS1_3genE9ELNS1_11target_archE1100ELNS1_3gpuE3ELNS1_3repE0EEENS1_30default_config_static_selectorELNS0_4arch9wavefront6targetE0EEEvSK_
                                        ; -- End function
	.set _ZN7rocprim17ROCPRIM_400000_NS6detail17trampoline_kernelINS0_14default_configENS1_36segmented_radix_sort_config_selectorIalEEZNS1_25segmented_radix_sort_implIS3_Lb0EPKaPaPKlPlN2at6native12_GLOBAL__N_18offset_tEEE10hipError_tPvRmT1_PNSt15iterator_traitsISK_E10value_typeET2_T3_PNSL_ISQ_E10value_typeET4_jRbjT5_SW_jjP12ihipStream_tbEUlT_E_NS1_11comp_targetILNS1_3genE9ELNS1_11target_archE1100ELNS1_3gpuE3ELNS1_3repE0EEENS1_30default_config_static_selectorELNS0_4arch9wavefront6targetE0EEEvSK_.num_vgpr, 0
	.set _ZN7rocprim17ROCPRIM_400000_NS6detail17trampoline_kernelINS0_14default_configENS1_36segmented_radix_sort_config_selectorIalEEZNS1_25segmented_radix_sort_implIS3_Lb0EPKaPaPKlPlN2at6native12_GLOBAL__N_18offset_tEEE10hipError_tPvRmT1_PNSt15iterator_traitsISK_E10value_typeET2_T3_PNSL_ISQ_E10value_typeET4_jRbjT5_SW_jjP12ihipStream_tbEUlT_E_NS1_11comp_targetILNS1_3genE9ELNS1_11target_archE1100ELNS1_3gpuE3ELNS1_3repE0EEENS1_30default_config_static_selectorELNS0_4arch9wavefront6targetE0EEEvSK_.num_agpr, 0
	.set _ZN7rocprim17ROCPRIM_400000_NS6detail17trampoline_kernelINS0_14default_configENS1_36segmented_radix_sort_config_selectorIalEEZNS1_25segmented_radix_sort_implIS3_Lb0EPKaPaPKlPlN2at6native12_GLOBAL__N_18offset_tEEE10hipError_tPvRmT1_PNSt15iterator_traitsISK_E10value_typeET2_T3_PNSL_ISQ_E10value_typeET4_jRbjT5_SW_jjP12ihipStream_tbEUlT_E_NS1_11comp_targetILNS1_3genE9ELNS1_11target_archE1100ELNS1_3gpuE3ELNS1_3repE0EEENS1_30default_config_static_selectorELNS0_4arch9wavefront6targetE0EEEvSK_.numbered_sgpr, 0
	.set _ZN7rocprim17ROCPRIM_400000_NS6detail17trampoline_kernelINS0_14default_configENS1_36segmented_radix_sort_config_selectorIalEEZNS1_25segmented_radix_sort_implIS3_Lb0EPKaPaPKlPlN2at6native12_GLOBAL__N_18offset_tEEE10hipError_tPvRmT1_PNSt15iterator_traitsISK_E10value_typeET2_T3_PNSL_ISQ_E10value_typeET4_jRbjT5_SW_jjP12ihipStream_tbEUlT_E_NS1_11comp_targetILNS1_3genE9ELNS1_11target_archE1100ELNS1_3gpuE3ELNS1_3repE0EEENS1_30default_config_static_selectorELNS0_4arch9wavefront6targetE0EEEvSK_.num_named_barrier, 0
	.set _ZN7rocprim17ROCPRIM_400000_NS6detail17trampoline_kernelINS0_14default_configENS1_36segmented_radix_sort_config_selectorIalEEZNS1_25segmented_radix_sort_implIS3_Lb0EPKaPaPKlPlN2at6native12_GLOBAL__N_18offset_tEEE10hipError_tPvRmT1_PNSt15iterator_traitsISK_E10value_typeET2_T3_PNSL_ISQ_E10value_typeET4_jRbjT5_SW_jjP12ihipStream_tbEUlT_E_NS1_11comp_targetILNS1_3genE9ELNS1_11target_archE1100ELNS1_3gpuE3ELNS1_3repE0EEENS1_30default_config_static_selectorELNS0_4arch9wavefront6targetE0EEEvSK_.private_seg_size, 0
	.set _ZN7rocprim17ROCPRIM_400000_NS6detail17trampoline_kernelINS0_14default_configENS1_36segmented_radix_sort_config_selectorIalEEZNS1_25segmented_radix_sort_implIS3_Lb0EPKaPaPKlPlN2at6native12_GLOBAL__N_18offset_tEEE10hipError_tPvRmT1_PNSt15iterator_traitsISK_E10value_typeET2_T3_PNSL_ISQ_E10value_typeET4_jRbjT5_SW_jjP12ihipStream_tbEUlT_E_NS1_11comp_targetILNS1_3genE9ELNS1_11target_archE1100ELNS1_3gpuE3ELNS1_3repE0EEENS1_30default_config_static_selectorELNS0_4arch9wavefront6targetE0EEEvSK_.uses_vcc, 0
	.set _ZN7rocprim17ROCPRIM_400000_NS6detail17trampoline_kernelINS0_14default_configENS1_36segmented_radix_sort_config_selectorIalEEZNS1_25segmented_radix_sort_implIS3_Lb0EPKaPaPKlPlN2at6native12_GLOBAL__N_18offset_tEEE10hipError_tPvRmT1_PNSt15iterator_traitsISK_E10value_typeET2_T3_PNSL_ISQ_E10value_typeET4_jRbjT5_SW_jjP12ihipStream_tbEUlT_E_NS1_11comp_targetILNS1_3genE9ELNS1_11target_archE1100ELNS1_3gpuE3ELNS1_3repE0EEENS1_30default_config_static_selectorELNS0_4arch9wavefront6targetE0EEEvSK_.uses_flat_scratch, 0
	.set _ZN7rocprim17ROCPRIM_400000_NS6detail17trampoline_kernelINS0_14default_configENS1_36segmented_radix_sort_config_selectorIalEEZNS1_25segmented_radix_sort_implIS3_Lb0EPKaPaPKlPlN2at6native12_GLOBAL__N_18offset_tEEE10hipError_tPvRmT1_PNSt15iterator_traitsISK_E10value_typeET2_T3_PNSL_ISQ_E10value_typeET4_jRbjT5_SW_jjP12ihipStream_tbEUlT_E_NS1_11comp_targetILNS1_3genE9ELNS1_11target_archE1100ELNS1_3gpuE3ELNS1_3repE0EEENS1_30default_config_static_selectorELNS0_4arch9wavefront6targetE0EEEvSK_.has_dyn_sized_stack, 0
	.set _ZN7rocprim17ROCPRIM_400000_NS6detail17trampoline_kernelINS0_14default_configENS1_36segmented_radix_sort_config_selectorIalEEZNS1_25segmented_radix_sort_implIS3_Lb0EPKaPaPKlPlN2at6native12_GLOBAL__N_18offset_tEEE10hipError_tPvRmT1_PNSt15iterator_traitsISK_E10value_typeET2_T3_PNSL_ISQ_E10value_typeET4_jRbjT5_SW_jjP12ihipStream_tbEUlT_E_NS1_11comp_targetILNS1_3genE9ELNS1_11target_archE1100ELNS1_3gpuE3ELNS1_3repE0EEENS1_30default_config_static_selectorELNS0_4arch9wavefront6targetE0EEEvSK_.has_recursion, 0
	.set _ZN7rocprim17ROCPRIM_400000_NS6detail17trampoline_kernelINS0_14default_configENS1_36segmented_radix_sort_config_selectorIalEEZNS1_25segmented_radix_sort_implIS3_Lb0EPKaPaPKlPlN2at6native12_GLOBAL__N_18offset_tEEE10hipError_tPvRmT1_PNSt15iterator_traitsISK_E10value_typeET2_T3_PNSL_ISQ_E10value_typeET4_jRbjT5_SW_jjP12ihipStream_tbEUlT_E_NS1_11comp_targetILNS1_3genE9ELNS1_11target_archE1100ELNS1_3gpuE3ELNS1_3repE0EEENS1_30default_config_static_selectorELNS0_4arch9wavefront6targetE0EEEvSK_.has_indirect_call, 0
	.section	.AMDGPU.csdata,"",@progbits
; Kernel info:
; codeLenInByte = 0
; TotalNumSgprs: 0
; NumVgprs: 0
; ScratchSize: 0
; MemoryBound: 0
; FloatMode: 240
; IeeeMode: 1
; LDSByteSize: 0 bytes/workgroup (compile time only)
; SGPRBlocks: 0
; VGPRBlocks: 0
; NumSGPRsForWavesPerEU: 1
; NumVGPRsForWavesPerEU: 1
; Occupancy: 16
; WaveLimiterHint : 0
; COMPUTE_PGM_RSRC2:SCRATCH_EN: 0
; COMPUTE_PGM_RSRC2:USER_SGPR: 6
; COMPUTE_PGM_RSRC2:TRAP_HANDLER: 0
; COMPUTE_PGM_RSRC2:TGID_X_EN: 1
; COMPUTE_PGM_RSRC2:TGID_Y_EN: 0
; COMPUTE_PGM_RSRC2:TGID_Z_EN: 0
; COMPUTE_PGM_RSRC2:TIDIG_COMP_CNT: 0
	.text
	.p2align	2                               ; -- Begin function _ZN7rocprim17ROCPRIM_400000_NS6detail40segmented_radix_sort_single_block_helperIalLj256ELj17ELb0EE4sortIPKaPaPKlPlEEbT_T0_T1_T2_jjjjRNS3_12storage_typeE
	.type	_ZN7rocprim17ROCPRIM_400000_NS6detail40segmented_radix_sort_single_block_helperIalLj256ELj17ELb0EE4sortIPKaPaPKlPlEEbT_T0_T1_T2_jjjjRNS3_12storage_typeE,@function
_ZN7rocprim17ROCPRIM_400000_NS6detail40segmented_radix_sort_single_block_helperIalLj256ELj17ELb0EE4sortIPKaPaPKlPlEEbT_T0_T1_T2_jjjjRNS3_12storage_typeE: ; @_ZN7rocprim17ROCPRIM_400000_NS6detail40segmented_radix_sort_single_block_helperIalLj256ELj17ELb0EE4sortIPKaPaPKlPlEEbT_T0_T1_T2_jjjjRNS3_12storage_typeE
; %bb.0:
	s_waitcnt vmcnt(0) expcnt(0) lgkmcnt(0)
	buffer_store_dword v40, off, s[0:3], s32 offset:232 ; 4-byte Folded Spill
	buffer_store_dword v41, off, s[0:3], s32 offset:228 ; 4-byte Folded Spill
	;; [unrolled: 1-line block ×58, first 2 shown]
	buffer_store_dword v154, off, s[0:3], s32 ; 4-byte Folded Spill
	v_sub_nc_u32_e32 v226, v9, v8
	s_mov_b32 s25, exec_lo
	v_cmpx_gt_u32_e32 0x1101, v226
	s_cbranch_execz .LBB398_382
; %bb.1:
	v_bfe_u32 v15, v31, 10, 10
	v_bfe_u32 v16, v31, 20, 10
	v_and_b32_e32 v14, 0x3ff, v31
	v_mbcnt_lo_u32_b32 v30, -1, 0
	s_mov_b32 s4, exec_lo
	v_cmpx_lt_u32_e32 0x800, v226
	s_xor_b32 s26, exec_lo, s4
	s_cbranch_execz .LBB398_151
; %bb.2:
	s_load_dwordx2 s[4:5], s[8:9], 0x0
	v_mov_b32_e32 v9, 0
	v_add_co_u32 v35, vcc_lo, v0, v8
	v_add_co_ci_u32_e64 v36, null, 0, v1, vcc_lo
	v_mov_b32_e32 v19, 0x7f
	v_mov_b32_e32 v21, 0x7f
	;; [unrolled: 1-line block ×14, first 2 shown]
	s_waitcnt lgkmcnt(0)
	s_cmp_lt_u32 s13, s5
	v_mov_b32_e32 v33, 0x7f
	s_cselect_b32 s5, 14, 20
	s_add_u32 s6, s8, s5
	s_addc_u32 s7, s9, 0
	s_cmp_lt_u32 s12, s4
	global_load_ushort v17, v9, s[6:7]
	s_cselect_b32 s4, 12, 18
	s_add_u32 s4, s8, s4
	s_addc_u32 s5, s9, 0
	global_load_ushort v18, v9, s[4:5]
	s_waitcnt vmcnt(1)
	v_mad_u32_u24 v0, v16, v17, v15
	v_add_co_u32 v17, vcc_lo, v35, v30
	v_mov_b32_e32 v16, v9
	v_mov_b32_e32 v35, 0x7f
	s_waitcnt vmcnt(0)
	v_mad_u64_u32 v[0:1], null, v0, v18, v[14:15]
	v_add_co_ci_u32_e64 v18, null, 0, v36, vcc_lo
	v_mov_b32_e32 v1, 0x7f
	v_and_b32_e32 v15, 0xffffffe0, v0
	v_lshl_add_u32 v15, v15, 4, v15
	v_or_b32_e32 v36, v15, v30
	v_add_co_u32 v17, vcc_lo, v17, v15
	v_add_co_ci_u32_e64 v18, null, 0, v18, vcc_lo
	v_cmp_lt_u32_e32 vcc_lo, v36, v226
	s_and_saveexec_b32 s4, vcc_lo
	s_cbranch_execz .LBB398_4
; %bb.3:
	flat_load_ubyte v21, v[17:18]
	v_mov_b32_e32 v19, 0x7f
	v_mov_b32_e32 v20, 0x7f
	;; [unrolled: 1-line block ×16, first 2 shown]
.LBB398_4:
	s_or_b32 exec_lo, exec_lo, s4
	v_add_nc_u32_e32 v37, 32, v36
	v_cmp_lt_u32_e64 s4, v37, v226
	s_and_saveexec_b32 s5, s4
	s_cbranch_execz .LBB398_6
; %bb.5:
	flat_load_ubyte v20, v[17:18] offset:32
.LBB398_6:
	s_or_b32 exec_lo, exec_lo, s5
	v_add_nc_u32_e32 v37, 64, v36
	v_cmp_lt_u32_e64 s5, v37, v226
	s_and_saveexec_b32 s6, s5
	s_cbranch_execz .LBB398_8
; %bb.7:
	flat_load_ubyte v24, v[17:18] offset:64
.LBB398_8:
	;; [unrolled: 8-line block ×16, first 2 shown]
	s_or_b32 exec_lo, exec_lo, s24
	v_lshlrev_b64 v[37:38], 3, v[8:9]
	v_lshlrev_b32_e32 v9, 3, v30
                                        ; implicit-def: $vgpr82_vgpr83
	v_add_co_u32 v17, s24, v4, v37
	v_add_co_ci_u32_e64 v18, null, v5, v38, s24
	v_lshlrev_b64 v[4:5], 3, v[15:16]
	v_add_co_u32 v9, s24, v17, v9
	v_add_co_ci_u32_e64 v15, null, 0, v18, s24
	v_add_co_u32 v4, s24, v9, v4
	v_add_co_ci_u32_e64 v5, null, v15, v5, s24
	s_and_saveexec_b32 s24, vcc_lo
	s_cbranch_execnz .LBB398_204
; %bb.37:
	s_or_b32 exec_lo, exec_lo, s24
                                        ; implicit-def: $vgpr84_vgpr85
	s_and_saveexec_b32 s24, s4
	s_cbranch_execnz .LBB398_205
.LBB398_38:
	s_or_b32 exec_lo, exec_lo, s24
                                        ; implicit-def: $vgpr86_vgpr87
	s_and_saveexec_b32 s4, s5
	s_cbranch_execnz .LBB398_206
.LBB398_39:
	s_or_b32 exec_lo, exec_lo, s4
                                        ; implicit-def: $vgpr96_vgpr97
	s_and_saveexec_b32 s4, s6
	s_cbranch_execnz .LBB398_207
.LBB398_40:
	s_or_b32 exec_lo, exec_lo, s4
                                        ; implicit-def: $vgpr98_vgpr99
	s_and_saveexec_b32 s4, s7
	s_cbranch_execnz .LBB398_208
.LBB398_41:
	s_or_b32 exec_lo, exec_lo, s4
                                        ; implicit-def: $vgpr100_vgpr101
	s_and_saveexec_b32 s4, s10
	s_cbranch_execnz .LBB398_209
.LBB398_42:
	s_or_b32 exec_lo, exec_lo, s4
                                        ; implicit-def: $vgpr102_vgpr103
	s_and_saveexec_b32 s4, s11
	s_cbranch_execnz .LBB398_210
.LBB398_43:
	s_or_b32 exec_lo, exec_lo, s4
                                        ; implicit-def: $vgpr112_vgpr113
	s_and_saveexec_b32 s4, s14
	s_cbranch_execnz .LBB398_211
.LBB398_44:
	s_or_b32 exec_lo, exec_lo, s4
                                        ; implicit-def: $vgpr114_vgpr115
	s_and_saveexec_b32 s4, s15
	s_cbranch_execnz .LBB398_212
.LBB398_45:
	s_or_b32 exec_lo, exec_lo, s4
                                        ; implicit-def: $vgpr116_vgpr117
	s_and_saveexec_b32 s4, s16
	s_cbranch_execnz .LBB398_213
.LBB398_46:
	s_or_b32 exec_lo, exec_lo, s4
                                        ; implicit-def: $vgpr130_vgpr131
	s_and_saveexec_b32 s4, s17
	s_cbranch_execnz .LBB398_214
.LBB398_47:
	s_or_b32 exec_lo, exec_lo, s4
                                        ; implicit-def: $vgpr134_vgpr135
	s_and_saveexec_b32 s4, s18
	s_cbranch_execnz .LBB398_215
.LBB398_48:
	s_or_b32 exec_lo, exec_lo, s4
                                        ; implicit-def: $vgpr146_vgpr147
	s_and_saveexec_b32 s4, s19
	s_cbranch_execnz .LBB398_216
.LBB398_49:
	s_or_b32 exec_lo, exec_lo, s4
                                        ; implicit-def: $vgpr118_vgpr119
	s_and_saveexec_b32 s4, s20
	s_cbranch_execnz .LBB398_217
.LBB398_50:
	s_or_b32 exec_lo, exec_lo, s4
                                        ; implicit-def: $vgpr128_vgpr129
	s_and_saveexec_b32 s4, s21
	s_cbranch_execnz .LBB398_218
.LBB398_51:
	s_or_b32 exec_lo, exec_lo, s4
                                        ; implicit-def: $vgpr132_vgpr133
	s_and_saveexec_b32 s4, s22
	s_cbranch_execnz .LBB398_219
.LBB398_52:
	s_or_b32 exec_lo, exec_lo, s4
                                        ; implicit-def: $vgpr144_vgpr145
	s_and_saveexec_b32 s4, s23
	s_cbranch_execz .LBB398_54
.LBB398_53:
	v_add_co_u32 v4, vcc_lo, 0x1000, v4
	v_add_co_ci_u32_e64 v5, null, 0, v5, vcc_lo
	flat_load_dwordx2 v[144:145], v[4:5]
.LBB398_54:
	s_or_b32 exec_lo, exec_lo, s4
	v_mov_b32_e32 v4, 0x80
	s_waitcnt vmcnt(0) lgkmcnt(0)
	v_xor_b32_e32 v18, 0x80, v24
	v_mov_b32_e32 v24, 8
	v_xor_b32_e32 v17, 0x80, v21
	v_lshlrev_b16 v21, 8, v34
	v_xor_b32_sdwa v5, v27, v4 dst_sel:BYTE_1 dst_unused:UNUSED_PAD src0_sel:DWORD src1_sel:DWORD
	v_xor_b32_e32 v27, 0x80, v29
	v_xor_b32_sdwa v20, v20, v4 dst_sel:BYTE_1 dst_unused:UNUSED_PAD src0_sel:DWORD src1_sel:DWORD
	v_xor_b32_sdwa v22, v22, v4 dst_sel:BYTE_1 dst_unused:UNUSED_PAD src0_sel:DWORD src1_sel:DWORD
	;; [unrolled: 1-line block ×3, first 2 shown]
	v_lshrrev_b32_sdwa v29, v24, v5 dst_sel:BYTE_1 dst_unused:UNUSED_PAD src0_sel:DWORD src1_sel:DWORD
	v_lshl_add_u32 v5, v14, 5, v12
	v_xor_b32_sdwa v31, v31, v4 dst_sel:BYTE_1 dst_unused:UNUSED_PAD src0_sel:DWORD src1_sel:DWORD
	v_xor_b32_sdwa v4, v32, v4 dst_sel:BYTE_1 dst_unused:UNUSED_PAD src0_sel:DWORD src1_sel:DWORD
	v_lshlrev_b16 v32, 8, v35
	v_xor_b32_e32 v35, 0x80, v1
	v_add_nc_u32_e32 v1, 32, v5
	v_add_nc_u32_e32 v9, 36, v5
	v_add_nc_u32_e32 v36, 40, v5
	v_add_nc_u32_e32 v39, 44, v5
	v_add_nc_u32_e32 v227, 48, v5
	v_add_nc_u32_e32 v228, 52, v5
	v_add_nc_u32_e32 v229, 56, v5
	v_add_nc_u32_e32 v230, 60, v5
	v_and_b32_e32 v5, 0x3e0, v14
	v_lshrrev_b32_sdwa v34, v24, v4 dst_sel:BYTE_1 dst_unused:UNUSED_PAD src0_sel:DWORD src1_sel:DWORD
	v_xor_b32_e32 v90, 0xffffff80, v19
	v_and_b32_e32 v4, 15, v30
	v_sub_co_u32 v19, s6, v30, 1
	v_min_u32_e32 v15, 0xe0, v5
	s_getpc_b64 s[4:5]
	s_add_u32 s4, s4, _ZN7rocprim17ROCPRIM_400000_NS16block_radix_sortIaLj256ELj17ElLj1ELj1ELj8ELNS0_26block_radix_rank_algorithmE2ELNS0_18block_padding_hintE2ELNS0_4arch9wavefront6targetE0EE19radix_bits_per_passE@rel32@lo+4
	s_addc_u32 s5, s5, _ZN7rocprim17ROCPRIM_400000_NS16block_radix_sortIaLj256ELj17ElLj1ELj1ELj8ELNS0_26block_radix_rank_algorithmE2ELNS0_18block_padding_hintE2ELNS0_4arch9wavefront6targetE0EE19radix_bits_per_passE@rel32@hi+12
	v_cmp_eq_u32_e32 vcc_lo, 0, v4
	s_load_dword s22, s[4:5], 0x0
	v_cmp_lt_u32_e64 s4, 1, v4
	v_cmp_lt_u32_e64 s5, 3, v4
	v_and_b32_e32 v16, 16, v30
	v_cmp_lt_u32_e64 s7, 7, v4
	v_or_b32_e32 v4, 31, v15
	v_cmp_gt_i32_e64 s11, 0, v19
	v_lshrrev_b32_e32 v15, 3, v14
	v_cmp_eq_u32_e64 s10, 0, v16
	v_xor_b32_e32 v33, 0x80, v33
	v_xor_b32_e32 v25, 0x80, v25
	v_cndmask_b32_e64 v16, v19, v30, s11
	v_cmp_eq_u32_e64 s11, v14, v4
	v_mul_u32_u24_e32 v4, 17, v5
	v_and_b32_e32 v5, 0x7c, v15
	v_and_b32_e32 v19, 7, v30
	v_lshlrev_b32_e32 v240, 2, v16
	v_xor_b32_e32 v23, 0x80, v23
	v_or_b32_e32 v15, v30, v4
	v_add_nc_u32_e32 v241, v12, v5
	v_cmp_lt_u32_e64 s18, 1, v19
	v_cmp_lt_u32_e64 s19, 3, v19
	v_xor_b32_e32 v26, 0x80, v26
	v_add_co_u32 v4, s17, v12, v15
	v_add_co_ci_u32_e64 v5, null, 0, v13, s17
	v_cmp_eq_u32_e64 s17, 0, v19
	v_or_b32_sdwa v19, v27, v21 dst_sel:DWORD dst_unused:UNUSED_PAD src0_sel:BYTE_0 src1_sel:DWORD
	v_perm_b32 v18, v18, v22, 0xc0c0104
	v_mad_u64_u32 v[15:16], null, v15, 7, v[4:5]
	v_lshrrev_b32_sdwa v16, v24, v20 dst_sel:BYTE_1 dst_unused:UNUSED_PAD src0_sel:DWORD src1_sel:DWORD
	v_or_b32_sdwa v20, v33, v32 dst_sel:DWORD dst_unused:UNUSED_PAD src0_sel:BYTE_0 src1_sel:DWORD
	v_add_nc_u16 v19, 0x8000, v19
	v_or_b32_sdwa v21, v23, v29 dst_sel:DWORD dst_unused:UNUSED_PAD src0_sel:BYTE_0 src1_sel:DWORD
	v_perm_b32 v22, v26, v31, 0xc0c0104
	v_or_b32_sdwa v16, v17, v16 dst_sel:DWORD dst_unused:UNUSED_PAD src0_sel:BYTE_0 src1_sel:DWORD
	v_lshrrev_b32_sdwa v17, v24, v28 dst_sel:BYTE_1 dst_unused:UNUSED_PAD src0_sel:DWORD src1_sel:DWORD
	v_add_nc_u16 v20, 0x8000, v20
	v_lshlrev_b32_e32 v19, 16, v19
	v_or_b32_sdwa v23, v35, v34 dst_sel:DWORD dst_unused:UNUSED_PAD src0_sel:BYTE_0 src1_sel:DWORD
	v_and_b32_e32 v16, 0xffff, v16
	v_or_b32_sdwa v17, v25, v17 dst_sel:DWORD dst_unused:UNUSED_PAD src0_sel:BYTE_0 src1_sel:DWORD
	v_lshlrev_b32_e32 v20, 16, v20
	v_lshrrev_b32_e32 v231, 5, v0
	v_cmp_gt_u32_e64 s14, 8, v14
	v_cmp_lt_u32_e64 s15, 31, v14
	v_and_b32_e32 v17, 0xffff, v17
	v_cmp_eq_u32_e64 s16, 0, v14
	v_mov_b32_e32 v242, 0
	v_lshl_add_u32 v243, v14, 2, v12
	v_add_nc_u32_e32 v5, 0x180, v4
	v_add_nc_u32_e32 v244, 0x1a0, v4
	;; [unrolled: 1-line block ×21, first 2 shown]
	v_lshl_or_b32 v16, v18, 16, v16
	v_or_b32_sdwa v125, v21, v19 dst_sel:DWORD dst_unused:UNUSED_PAD src0_sel:WORD_0 src1_sel:DWORD
	v_lshl_or_b32 v126, v22, 16, v17
	v_or_b32_sdwa v127, v23, v20 dst_sel:DWORD dst_unused:UNUSED_PAD src0_sel:WORD_0 src1_sel:DWORD
	v_sub_nc_u32_e32 v72, v11, v10
	s_mov_b32 s23, 0
	s_waitcnt lgkmcnt(0)
	s_waitcnt_vscnt null, 0x0
	s_barrier
	buffer_gl0_inv
	s_branch .LBB398_56
.LBB398_55:                             ;   in Loop: Header=BB398_56 Depth=1
	s_or_b32 exec_lo, exec_lo, s21
	s_and_b32 s20, exec_lo, s24
	s_or_b32 s23, s20, s23
	s_andn2_b32 exec_lo, exec_lo, s23
	s_cbranch_execz .LBB398_98
.LBB398_56:                             ; =>This Inner Loop Header: Depth=1
	v_min_u32_e32 v17, s22, v72
	v_lshrrev_b32_sdwa v19, v10, v16 dst_sel:DWORD dst_unused:UNUSED_PAD src0_sel:DWORD src1_sel:BYTE_0
	v_mov_b32_e32 v52, v82
	v_mov_b32_e32 v53, v83
	;; [unrolled: 1-line block ×3, first 2 shown]
	v_lshlrev_b32_e64 v18, v17, -1
	v_mov_b32_e32 v51, v85
	v_mov_b32_e32 v54, v86
	;; [unrolled: 1-line block ×4, first 2 shown]
	v_not_b32_e32 v148, v18
	v_mov_b32_e32 v26, v100
	v_mov_b32_e32 v34, v102
	;; [unrolled: 1-line block ×4, first 2 shown]
	v_and_b32_e32 v82, v19, v148
	v_mov_b32_e32 v18, v116
	v_mov_b32_e32 v24, v130
	v_mov_b32_e32 v22, v134
	v_mov_b32_e32 v73, v90
	v_and_b32_e32 v48, 1, v82
	v_lshlrev_b32_e32 v66, 30, v82
	v_lshlrev_b32_e32 v69, 29, v82
	;; [unrolled: 1-line block ×4, first 2 shown]
	v_add_co_u32 v67, s20, v48, -1
	v_cndmask_b32_e64 v68, 0, 1, s20
	v_not_b32_e32 v71, v66
	v_cmp_gt_i32_e64 s21, 0, v66
	v_not_b32_e32 v66, v69
	v_not_b32_e32 v85, v81
	v_cmp_ne_u32_e64 s20, 0, v68
	v_ashrrev_i32_e32 v71, 31, v71
	v_lshlrev_b32_e32 v68, 27, v82
	v_ashrrev_i32_e32 v66, 31, v66
	v_ashrrev_i32_e32 v85, 31, v85
	v_xor_b32_e32 v67, s20, v67
	v_cmp_gt_i32_e64 s20, 0, v69
	v_not_b32_e32 v69, v70
	v_xor_b32_e32 v71, s21, v71
	v_cmp_gt_i32_e64 s21, 0, v70
	v_and_b32_e32 v67, exec_lo, v67
	v_not_b32_e32 v70, v68
	v_ashrrev_i32_e32 v69, 31, v69
	v_xor_b32_e32 v66, s20, v66
	v_cmp_gt_i32_e64 s20, 0, v68
	v_and_b32_e32 v67, v67, v71
	v_lshlrev_b32_e32 v71, 26, v82
	v_ashrrev_i32_e32 v68, 31, v70
	v_xor_b32_e32 v69, s21, v69
	v_lshlrev_b32_e32 v70, 25, v82
	v_and_b32_e32 v66, v67, v66
	v_not_b32_e32 v67, v71
	v_cmp_gt_i32_e64 s21, 0, v71
	v_xor_b32_e32 v68, s20, v68
	v_not_b32_e32 v80, v70
	v_and_b32_e32 v69, v66, v69
	v_ashrrev_i32_e32 v71, 31, v67
	v_cmp_gt_i32_e64 s20, 0, v70
	v_lshlrev_b32_e32 v82, 3, v82
	v_ashrrev_i32_e32 v80, 31, v80
	v_and_b32_e32 v83, v69, v68
	v_xor_b32_e32 v84, s21, v71
	v_mov_b32_e32 v48, v146
	v_mov_b32_e32 v66, v118
	;; [unrolled: 1-line block ×4, first 2 shown]
	v_and_b32_e32 v83, v83, v84
	v_xor_b32_e32 v84, s20, v80
	v_cmp_gt_i32_e64 s20, 0, v81
	v_mov_b32_e32 v80, v144
	v_mov_b32_e32 v65, v127
	;; [unrolled: 1-line block ×3, first 2 shown]
	v_and_b32_e32 v83, v83, v84
	v_xor_b32_e32 v84, s20, v85
	v_mov_b32_e32 v17, v125
	v_mov_b32_e32 v55, v87
	;; [unrolled: 1-line block ×4, first 2 shown]
	v_and_b32_e32 v84, v83, v84
	v_add_lshl_u32 v83, v82, v231, 2
	v_mov_b32_e32 v27, v101
	v_mov_b32_e32 v35, v103
	;; [unrolled: 1-line block ×3, first 2 shown]
	v_mbcnt_lo_u32_b32 v82, v84, 0
	v_add_co_u32 v83, null, v12, v83
	v_cmp_ne_u32_e64 s21, 0, v84
	v_mov_b32_e32 v21, v115
	v_cmp_eq_u32_e64 s20, 0, v82
	v_mov_b32_e32 v19, v117
	v_mov_b32_e32 v25, v131
	;; [unrolled: 1-line block ×8, first 2 shown]
	v_add_co_u32 v83, null, v83, 32
	s_and_b32 s21, s21, s20
	ds_write_b32 v1, v242
	ds_write_b32 v9, v242
	;; [unrolled: 1-line block ×8, first 2 shown]
	s_waitcnt lgkmcnt(0)
	s_barrier
	buffer_gl0_inv
	; wave barrier
	s_and_saveexec_b32 s20, s21
; %bb.57:                               ;   in Loop: Header=BB398_56 Depth=1
	v_bcnt_u32_b32 v84, v84, 0
	ds_write_b32 v83, v84
; %bb.58:                               ;   in Loop: Header=BB398_56 Depth=1
	s_or_b32 exec_lo, exec_lo, s20
	v_lshrrev_b32_sdwa v84, v10, v16 dst_sel:DWORD dst_unused:UNUSED_PAD src0_sel:DWORD src1_sel:BYTE_1
	; wave barrier
	v_and_b32_e32 v84, v84, v148
	v_and_b32_e32 v85, 1, v84
	v_lshlrev_b32_e32 v86, 30, v84
	v_lshlrev_b32_e32 v87, 29, v84
	;; [unrolled: 1-line block ×4, first 2 shown]
	v_add_co_u32 v85, s20, v85, -1
	v_cndmask_b32_e64 v97, 0, 1, s20
	v_not_b32_e32 v101, v86
	v_cmp_gt_i32_e64 s21, 0, v86
	v_not_b32_e32 v86, v87
	v_lshlrev_b32_e32 v99, 26, v84
	v_cmp_ne_u32_e64 s20, 0, v97
	v_ashrrev_i32_e32 v101, 31, v101
	v_lshlrev_b32_e32 v100, 25, v84
	v_ashrrev_i32_e32 v86, 31, v86
	v_lshlrev_b32_e32 v97, 24, v84
	v_xor_b32_e32 v85, s20, v85
	v_cmp_gt_i32_e64 s20, 0, v87
	v_not_b32_e32 v87, v96
	v_xor_b32_e32 v101, s21, v101
	v_cmp_gt_i32_e64 s21, 0, v96
	v_and_b32_e32 v85, exec_lo, v85
	v_not_b32_e32 v96, v98
	v_ashrrev_i32_e32 v87, 31, v87
	v_xor_b32_e32 v86, s20, v86
	v_cmp_gt_i32_e64 s20, 0, v98
	v_and_b32_e32 v85, v85, v101
	v_not_b32_e32 v98, v99
	v_ashrrev_i32_e32 v96, 31, v96
	v_xor_b32_e32 v87, s21, v87
	v_cmp_gt_i32_e64 s21, 0, v99
	v_and_b32_e32 v85, v85, v86
	;; [unrolled: 5-line block ×3, first 2 shown]
	v_not_b32_e32 v87, v97
	v_ashrrev_i32_e32 v86, 31, v86
	v_xor_b32_e32 v98, s21, v98
	v_lshl_add_u32 v84, v84, 3, v231
	v_and_b32_e32 v85, v85, v96
	v_cmp_gt_i32_e64 s21, 0, v97
	v_ashrrev_i32_e32 v87, 31, v87
	v_xor_b32_e32 v86, s20, v86
	v_lshl_add_u32 v96, v84, 2, v12
	v_and_b32_e32 v85, v85, v98
	v_xor_b32_e32 v87, s21, v87
	ds_read_b32 v84, v96 offset:32
	v_and_b32_e32 v85, v85, v86
	v_add_nc_u32_e32 v86, 32, v96
	; wave barrier
	v_and_b32_e32 v87, v85, v87
	v_mbcnt_lo_u32_b32 v85, v87, 0
	v_cmp_ne_u32_e64 s21, 0, v87
	v_cmp_eq_u32_e64 s20, 0, v85
	s_and_b32 s21, s21, s20
	s_and_saveexec_b32 s20, s21
	s_cbranch_execz .LBB398_60
; %bb.59:                               ;   in Loop: Header=BB398_56 Depth=1
	s_waitcnt lgkmcnt(0)
	v_bcnt_u32_b32 v87, v87, v84
	ds_write_b32 v86, v87
.LBB398_60:                             ;   in Loop: Header=BB398_56 Depth=1
	s_or_b32 exec_lo, exec_lo, s20
	v_lshrrev_b32_sdwa v87, v10, v16 dst_sel:DWORD dst_unused:UNUSED_PAD src0_sel:DWORD src1_sel:BYTE_2
	; wave barrier
	v_and_b32_e32 v87, v87, v148
	v_and_b32_e32 v96, 1, v87
	v_lshlrev_b32_e32 v97, 30, v87
	v_lshlrev_b32_e32 v98, 29, v87
	;; [unrolled: 1-line block ×4, first 2 shown]
	v_add_co_u32 v96, s20, v96, -1
	v_cndmask_b32_e64 v100, 0, 1, s20
	v_not_b32_e32 v112, v97
	v_cmp_gt_i32_e64 s21, 0, v97
	v_not_b32_e32 v97, v98
	v_lshlrev_b32_e32 v102, 26, v87
	v_cmp_ne_u32_e64 s20, 0, v100
	v_ashrrev_i32_e32 v112, 31, v112
	v_lshlrev_b32_e32 v103, 25, v87
	v_ashrrev_i32_e32 v97, 31, v97
	v_lshlrev_b32_e32 v100, 24, v87
	v_xor_b32_e32 v96, s20, v96
	v_cmp_gt_i32_e64 s20, 0, v98
	v_not_b32_e32 v98, v99
	v_xor_b32_e32 v112, s21, v112
	v_cmp_gt_i32_e64 s21, 0, v99
	v_and_b32_e32 v96, exec_lo, v96
	v_not_b32_e32 v99, v101
	v_ashrrev_i32_e32 v98, 31, v98
	v_xor_b32_e32 v97, s20, v97
	v_cmp_gt_i32_e64 s20, 0, v101
	v_and_b32_e32 v96, v96, v112
	v_not_b32_e32 v101, v102
	v_ashrrev_i32_e32 v99, 31, v99
	v_xor_b32_e32 v98, s21, v98
	v_cmp_gt_i32_e64 s21, 0, v102
	v_and_b32_e32 v96, v96, v97
	;; [unrolled: 5-line block ×3, first 2 shown]
	v_not_b32_e32 v98, v100
	v_ashrrev_i32_e32 v97, 31, v97
	v_xor_b32_e32 v101, s21, v101
	v_lshl_add_u32 v87, v87, 3, v231
	v_and_b32_e32 v96, v96, v99
	v_cmp_gt_i32_e64 s21, 0, v100
	v_ashrrev_i32_e32 v98, 31, v98
	v_xor_b32_e32 v97, s20, v97
	v_lshl_add_u32 v99, v87, 2, v12
	v_and_b32_e32 v96, v96, v101
	v_xor_b32_e32 v98, s21, v98
	ds_read_b32 v87, v99 offset:32
	v_and_b32_e32 v96, v96, v97
	v_add_nc_u32_e32 v97, 32, v99
	; wave barrier
	v_and_b32_e32 v98, v96, v98
	v_mbcnt_lo_u32_b32 v96, v98, 0
	v_cmp_ne_u32_e64 s21, 0, v98
	v_cmp_eq_u32_e64 s20, 0, v96
	s_and_b32 s21, s21, s20
	s_and_saveexec_b32 s20, s21
	s_cbranch_execz .LBB398_62
; %bb.61:                               ;   in Loop: Header=BB398_56 Depth=1
	s_waitcnt lgkmcnt(0)
	v_bcnt_u32_b32 v98, v98, v87
	ds_write_b32 v97, v98
.LBB398_62:                             ;   in Loop: Header=BB398_56 Depth=1
	s_or_b32 exec_lo, exec_lo, s20
	v_alignbit_b32 v98, v17, v16, 24
	; wave barrier
	v_lshrrev_b32_sdwa v98, v10, v98 dst_sel:DWORD dst_unused:UNUSED_PAD src0_sel:DWORD src1_sel:BYTE_0
	v_and_b32_e32 v98, v98, v148
	v_and_b32_e32 v99, 1, v98
	v_lshlrev_b32_e32 v100, 30, v98
	v_lshlrev_b32_e32 v101, 29, v98
	;; [unrolled: 1-line block ×4, first 2 shown]
	v_add_co_u32 v99, s20, v99, -1
	v_cndmask_b32_e64 v103, 0, 1, s20
	v_not_b32_e32 v115, v100
	v_cmp_gt_i32_e64 s21, 0, v100
	v_not_b32_e32 v100, v101
	v_lshlrev_b32_e32 v113, 26, v98
	v_cmp_ne_u32_e64 s20, 0, v103
	v_ashrrev_i32_e32 v115, 31, v115
	v_lshlrev_b32_e32 v114, 25, v98
	v_ashrrev_i32_e32 v100, 31, v100
	v_lshlrev_b32_e32 v103, 24, v98
	v_xor_b32_e32 v99, s20, v99
	v_cmp_gt_i32_e64 s20, 0, v101
	v_not_b32_e32 v101, v102
	v_xor_b32_e32 v115, s21, v115
	v_cmp_gt_i32_e64 s21, 0, v102
	v_and_b32_e32 v99, exec_lo, v99
	v_not_b32_e32 v102, v112
	v_ashrrev_i32_e32 v101, 31, v101
	v_xor_b32_e32 v100, s20, v100
	v_cmp_gt_i32_e64 s20, 0, v112
	v_and_b32_e32 v99, v99, v115
	v_not_b32_e32 v112, v113
	v_ashrrev_i32_e32 v102, 31, v102
	v_xor_b32_e32 v101, s21, v101
	v_cmp_gt_i32_e64 s21, 0, v113
	v_and_b32_e32 v99, v99, v100
	;; [unrolled: 5-line block ×3, first 2 shown]
	v_not_b32_e32 v101, v103
	v_ashrrev_i32_e32 v100, 31, v100
	v_xor_b32_e32 v112, s21, v112
	v_lshl_add_u32 v98, v98, 3, v231
	v_and_b32_e32 v99, v99, v102
	v_cmp_gt_i32_e64 s21, 0, v103
	v_ashrrev_i32_e32 v101, 31, v101
	v_xor_b32_e32 v100, s20, v100
	v_lshl_add_u32 v102, v98, 2, v12
	v_and_b32_e32 v99, v99, v112
	v_xor_b32_e32 v101, s21, v101
	ds_read_b32 v98, v102 offset:32
	v_and_b32_e32 v99, v99, v100
	v_add_nc_u32_e32 v100, 32, v102
	; wave barrier
	v_and_b32_e32 v101, v99, v101
	v_mbcnt_lo_u32_b32 v99, v101, 0
	v_cmp_ne_u32_e64 s21, 0, v101
	v_cmp_eq_u32_e64 s20, 0, v99
	s_and_b32 s21, s21, s20
	s_and_saveexec_b32 s20, s21
	s_cbranch_execz .LBB398_64
; %bb.63:                               ;   in Loop: Header=BB398_56 Depth=1
	s_waitcnt lgkmcnt(0)
	v_bcnt_u32_b32 v101, v101, v98
	ds_write_b32 v100, v101
.LBB398_64:                             ;   in Loop: Header=BB398_56 Depth=1
	s_or_b32 exec_lo, exec_lo, s20
	v_lshrrev_b32_sdwa v101, v10, v17 dst_sel:DWORD dst_unused:UNUSED_PAD src0_sel:DWORD src1_sel:BYTE_0
	; wave barrier
	v_and_b32_e32 v101, v101, v148
	v_and_b32_e32 v102, 1, v101
	v_lshlrev_b32_e32 v103, 30, v101
	v_lshlrev_b32_e32 v112, 29, v101
	;; [unrolled: 1-line block ×4, first 2 shown]
	v_add_co_u32 v102, s20, v102, -1
	v_cndmask_b32_e64 v114, 0, 1, s20
	v_not_b32_e32 v118, v103
	v_cmp_gt_i32_e64 s21, 0, v103
	v_not_b32_e32 v103, v112
	v_lshlrev_b32_e32 v116, 26, v101
	v_cmp_ne_u32_e64 s20, 0, v114
	v_ashrrev_i32_e32 v118, 31, v118
	v_lshlrev_b32_e32 v117, 25, v101
	v_ashrrev_i32_e32 v103, 31, v103
	v_lshlrev_b32_e32 v114, 24, v101
	v_xor_b32_e32 v102, s20, v102
	v_cmp_gt_i32_e64 s20, 0, v112
	v_not_b32_e32 v112, v113
	v_xor_b32_e32 v118, s21, v118
	v_cmp_gt_i32_e64 s21, 0, v113
	v_and_b32_e32 v102, exec_lo, v102
	v_not_b32_e32 v113, v115
	v_ashrrev_i32_e32 v112, 31, v112
	v_xor_b32_e32 v103, s20, v103
	v_cmp_gt_i32_e64 s20, 0, v115
	v_and_b32_e32 v102, v102, v118
	v_not_b32_e32 v115, v116
	v_ashrrev_i32_e32 v113, 31, v113
	v_xor_b32_e32 v112, s21, v112
	v_cmp_gt_i32_e64 s21, 0, v116
	v_and_b32_e32 v102, v102, v103
	;; [unrolled: 5-line block ×3, first 2 shown]
	v_not_b32_e32 v112, v114
	v_ashrrev_i32_e32 v103, 31, v103
	v_xor_b32_e32 v115, s21, v115
	v_lshl_add_u32 v101, v101, 3, v231
	v_and_b32_e32 v102, v102, v113
	v_cmp_gt_i32_e64 s21, 0, v114
	v_ashrrev_i32_e32 v112, 31, v112
	v_xor_b32_e32 v103, s20, v103
	v_lshl_add_u32 v113, v101, 2, v12
	v_and_b32_e32 v102, v102, v115
	v_xor_b32_e32 v112, s21, v112
	ds_read_b32 v101, v113 offset:32
	v_and_b32_e32 v102, v102, v103
	v_add_nc_u32_e32 v103, 32, v113
	; wave barrier
	v_and_b32_e32 v112, v102, v112
	v_mbcnt_lo_u32_b32 v102, v112, 0
	v_cmp_ne_u32_e64 s21, 0, v112
	v_cmp_eq_u32_e64 s20, 0, v102
	s_and_b32 s21, s21, s20
	s_and_saveexec_b32 s20, s21
	s_cbranch_execz .LBB398_66
; %bb.65:                               ;   in Loop: Header=BB398_56 Depth=1
	s_waitcnt lgkmcnt(0)
	v_bcnt_u32_b32 v112, v112, v101
	ds_write_b32 v103, v112
.LBB398_66:                             ;   in Loop: Header=BB398_56 Depth=1
	s_or_b32 exec_lo, exec_lo, s20
	v_lshrrev_b32_sdwa v112, v10, v17 dst_sel:DWORD dst_unused:UNUSED_PAD src0_sel:DWORD src1_sel:BYTE_1
	; wave barrier
	v_and_b32_e32 v112, v112, v148
	v_and_b32_e32 v113, 1, v112
	v_lshlrev_b32_e32 v114, 30, v112
	v_lshlrev_b32_e32 v115, 29, v112
	;; [unrolled: 1-line block ×4, first 2 shown]
	v_add_co_u32 v113, s20, v113, -1
	v_cndmask_b32_e64 v117, 0, 1, s20
	v_not_b32_e32 v129, v114
	v_cmp_gt_i32_e64 s21, 0, v114
	v_not_b32_e32 v114, v115
	v_lshlrev_b32_e32 v119, 26, v112
	v_cmp_ne_u32_e64 s20, 0, v117
	v_ashrrev_i32_e32 v129, 31, v129
	v_lshlrev_b32_e32 v128, 25, v112
	v_ashrrev_i32_e32 v114, 31, v114
	v_lshlrev_b32_e32 v117, 24, v112
	v_xor_b32_e32 v113, s20, v113
	v_cmp_gt_i32_e64 s20, 0, v115
	v_not_b32_e32 v115, v116
	v_xor_b32_e32 v129, s21, v129
	v_cmp_gt_i32_e64 s21, 0, v116
	v_and_b32_e32 v113, exec_lo, v113
	v_not_b32_e32 v116, v118
	v_ashrrev_i32_e32 v115, 31, v115
	v_xor_b32_e32 v114, s20, v114
	v_cmp_gt_i32_e64 s20, 0, v118
	v_and_b32_e32 v113, v113, v129
	v_not_b32_e32 v118, v119
	v_ashrrev_i32_e32 v116, 31, v116
	v_xor_b32_e32 v115, s21, v115
	v_cmp_gt_i32_e64 s21, 0, v119
	v_and_b32_e32 v113, v113, v114
	;; [unrolled: 5-line block ×3, first 2 shown]
	v_not_b32_e32 v115, v117
	v_ashrrev_i32_e32 v114, 31, v114
	v_xor_b32_e32 v118, s21, v118
	v_lshl_add_u32 v112, v112, 3, v231
	v_and_b32_e32 v113, v113, v116
	v_cmp_gt_i32_e64 s21, 0, v117
	v_ashrrev_i32_e32 v115, 31, v115
	v_xor_b32_e32 v114, s20, v114
	v_lshl_add_u32 v116, v112, 2, v12
	v_and_b32_e32 v113, v113, v118
	v_xor_b32_e32 v115, s21, v115
	ds_read_b32 v112, v116 offset:32
	v_and_b32_e32 v113, v113, v114
	v_add_nc_u32_e32 v114, 32, v116
	; wave barrier
	v_and_b32_e32 v115, v113, v115
	v_mbcnt_lo_u32_b32 v113, v115, 0
	v_cmp_ne_u32_e64 s21, 0, v115
	v_cmp_eq_u32_e64 s20, 0, v113
	s_and_b32 s21, s21, s20
	s_and_saveexec_b32 s20, s21
	s_cbranch_execz .LBB398_68
; %bb.67:                               ;   in Loop: Header=BB398_56 Depth=1
	s_waitcnt lgkmcnt(0)
	v_bcnt_u32_b32 v115, v115, v112
	ds_write_b32 v114, v115
.LBB398_68:                             ;   in Loop: Header=BB398_56 Depth=1
	s_or_b32 exec_lo, exec_lo, s20
	v_lshrrev_b32_sdwa v115, v10, v17 dst_sel:DWORD dst_unused:UNUSED_PAD src0_sel:DWORD src1_sel:BYTE_2
	; wave barrier
	v_and_b32_e32 v115, v115, v148
	v_and_b32_e32 v116, 1, v115
	v_lshlrev_b32_e32 v117, 30, v115
	v_lshlrev_b32_e32 v118, 29, v115
	;; [unrolled: 1-line block ×4, first 2 shown]
	v_add_co_u32 v116, s20, v116, -1
	v_cndmask_b32_e64 v128, 0, 1, s20
	v_not_b32_e32 v132, v117
	v_cmp_gt_i32_e64 s21, 0, v117
	v_not_b32_e32 v117, v118
	v_lshlrev_b32_e32 v130, 26, v115
	v_cmp_ne_u32_e64 s20, 0, v128
	v_ashrrev_i32_e32 v132, 31, v132
	v_lshlrev_b32_e32 v131, 25, v115
	v_ashrrev_i32_e32 v117, 31, v117
	v_lshlrev_b32_e32 v128, 24, v115
	v_xor_b32_e32 v116, s20, v116
	v_cmp_gt_i32_e64 s20, 0, v118
	v_not_b32_e32 v118, v119
	v_xor_b32_e32 v132, s21, v132
	v_cmp_gt_i32_e64 s21, 0, v119
	v_and_b32_e32 v116, exec_lo, v116
	v_not_b32_e32 v119, v129
	v_ashrrev_i32_e32 v118, 31, v118
	v_xor_b32_e32 v117, s20, v117
	v_cmp_gt_i32_e64 s20, 0, v129
	v_and_b32_e32 v116, v116, v132
	v_not_b32_e32 v129, v130
	v_ashrrev_i32_e32 v119, 31, v119
	v_xor_b32_e32 v118, s21, v118
	v_cmp_gt_i32_e64 s21, 0, v130
	v_and_b32_e32 v116, v116, v117
	;; [unrolled: 5-line block ×3, first 2 shown]
	v_not_b32_e32 v118, v128
	v_ashrrev_i32_e32 v117, 31, v117
	v_xor_b32_e32 v129, s21, v129
	v_lshl_add_u32 v115, v115, 3, v231
	v_and_b32_e32 v116, v116, v119
	v_cmp_gt_i32_e64 s21, 0, v128
	v_ashrrev_i32_e32 v118, 31, v118
	v_xor_b32_e32 v117, s20, v117
	v_lshl_add_u32 v119, v115, 2, v12
	v_and_b32_e32 v116, v116, v129
	v_xor_b32_e32 v118, s21, v118
	ds_read_b32 v115, v119 offset:32
	v_and_b32_e32 v116, v116, v117
	v_add_nc_u32_e32 v117, 32, v119
	; wave barrier
	v_and_b32_e32 v118, v116, v118
	v_mbcnt_lo_u32_b32 v116, v118, 0
	v_cmp_ne_u32_e64 s21, 0, v118
	v_cmp_eq_u32_e64 s20, 0, v116
	s_and_b32 s21, s21, s20
	s_and_saveexec_b32 s20, s21
	s_cbranch_execz .LBB398_70
; %bb.69:                               ;   in Loop: Header=BB398_56 Depth=1
	s_waitcnt lgkmcnt(0)
	v_bcnt_u32_b32 v118, v118, v115
	ds_write_b32 v117, v118
.LBB398_70:                             ;   in Loop: Header=BB398_56 Depth=1
	s_or_b32 exec_lo, exec_lo, s20
	v_lshrrev_b32_e32 v74, 24, v17
	; wave barrier
	v_lshrrev_b32_e32 v118, v10, v74
	v_and_b32_e32 v118, v118, v148
	v_and_b32_e32 v119, 1, v118
	v_lshlrev_b32_e32 v128, 30, v118
	v_lshlrev_b32_e32 v129, 29, v118
	v_lshlrev_b32_e32 v130, 28, v118
	v_lshlrev_b32_e32 v132, 27, v118
	v_add_co_u32 v119, s20, v119, -1
	v_cndmask_b32_e64 v131, 0, 1, s20
	v_not_b32_e32 v135, v128
	v_cmp_gt_i32_e64 s21, 0, v128
	v_not_b32_e32 v128, v129
	v_lshlrev_b32_e32 v133, 26, v118
	v_cmp_ne_u32_e64 s20, 0, v131
	v_ashrrev_i32_e32 v135, 31, v135
	v_lshlrev_b32_e32 v134, 25, v118
	v_ashrrev_i32_e32 v128, 31, v128
	v_lshlrev_b32_e32 v131, 24, v118
	v_xor_b32_e32 v119, s20, v119
	v_cmp_gt_i32_e64 s20, 0, v129
	v_not_b32_e32 v129, v130
	v_xor_b32_e32 v135, s21, v135
	v_cmp_gt_i32_e64 s21, 0, v130
	v_and_b32_e32 v119, exec_lo, v119
	v_not_b32_e32 v130, v132
	v_ashrrev_i32_e32 v129, 31, v129
	v_xor_b32_e32 v128, s20, v128
	v_cmp_gt_i32_e64 s20, 0, v132
	v_and_b32_e32 v119, v119, v135
	v_not_b32_e32 v132, v133
	v_ashrrev_i32_e32 v130, 31, v130
	v_xor_b32_e32 v129, s21, v129
	v_cmp_gt_i32_e64 s21, 0, v133
	v_and_b32_e32 v119, v119, v128
	;; [unrolled: 5-line block ×3, first 2 shown]
	v_not_b32_e32 v129, v131
	v_ashrrev_i32_e32 v128, 31, v128
	v_xor_b32_e32 v132, s21, v132
	v_lshl_add_u32 v118, v118, 3, v231
	v_and_b32_e32 v119, v119, v130
	v_cmp_gt_i32_e64 s21, 0, v131
	v_ashrrev_i32_e32 v129, 31, v129
	v_xor_b32_e32 v128, s20, v128
	v_lshl_add_u32 v130, v118, 2, v12
	v_and_b32_e32 v119, v119, v132
	v_xor_b32_e32 v129, s21, v129
	ds_read_b32 v118, v130 offset:32
	v_and_b32_e32 v119, v119, v128
	v_add_nc_u32_e32 v128, 32, v130
	; wave barrier
	v_and_b32_e32 v129, v119, v129
	v_mbcnt_lo_u32_b32 v119, v129, 0
	v_cmp_ne_u32_e64 s21, 0, v129
	v_cmp_eq_u32_e64 s20, 0, v119
	s_and_b32 s21, s21, s20
	s_and_saveexec_b32 s20, s21
	s_cbranch_execz .LBB398_72
; %bb.71:                               ;   in Loop: Header=BB398_56 Depth=1
	s_waitcnt lgkmcnt(0)
	v_bcnt_u32_b32 v129, v129, v118
	ds_write_b32 v128, v129
.LBB398_72:                             ;   in Loop: Header=BB398_56 Depth=1
	s_or_b32 exec_lo, exec_lo, s20
	v_lshrrev_b32_sdwa v129, v10, v64 dst_sel:DWORD dst_unused:UNUSED_PAD src0_sel:DWORD src1_sel:BYTE_0
	; wave barrier
	v_and_b32_e32 v129, v129, v148
	v_and_b32_e32 v130, 1, v129
	v_lshlrev_b32_e32 v131, 30, v129
	v_lshlrev_b32_e32 v132, 29, v129
	;; [unrolled: 1-line block ×4, first 2 shown]
	v_add_co_u32 v130, s20, v130, -1
	v_cndmask_b32_e64 v134, 0, 1, s20
	v_not_b32_e32 v146, v131
	v_cmp_gt_i32_e64 s21, 0, v131
	v_not_b32_e32 v131, v132
	v_lshlrev_b32_e32 v144, 26, v129
	v_cmp_ne_u32_e64 s20, 0, v134
	v_ashrrev_i32_e32 v146, 31, v146
	v_lshlrev_b32_e32 v145, 25, v129
	v_ashrrev_i32_e32 v131, 31, v131
	v_lshlrev_b32_e32 v134, 24, v129
	v_xor_b32_e32 v130, s20, v130
	v_cmp_gt_i32_e64 s20, 0, v132
	v_not_b32_e32 v132, v133
	v_xor_b32_e32 v146, s21, v146
	v_cmp_gt_i32_e64 s21, 0, v133
	v_and_b32_e32 v130, exec_lo, v130
	v_not_b32_e32 v133, v135
	v_ashrrev_i32_e32 v132, 31, v132
	v_xor_b32_e32 v131, s20, v131
	v_cmp_gt_i32_e64 s20, 0, v135
	v_and_b32_e32 v130, v130, v146
	v_not_b32_e32 v135, v144
	v_ashrrev_i32_e32 v133, 31, v133
	v_xor_b32_e32 v132, s21, v132
	v_cmp_gt_i32_e64 s21, 0, v144
	v_and_b32_e32 v130, v130, v131
	v_not_b32_e32 v131, v145
	v_ashrrev_i32_e32 v135, 31, v135
	v_xor_b32_e32 v133, s20, v133
	v_cmp_gt_i32_e64 s20, 0, v145
	v_and_b32_e32 v130, v130, v132
	v_not_b32_e32 v132, v134
	v_ashrrev_i32_e32 v131, 31, v131
	v_xor_b32_e32 v135, s21, v135
	v_lshl_add_u32 v129, v129, 3, v231
	v_and_b32_e32 v130, v130, v133
	v_cmp_gt_i32_e64 s21, 0, v134
	v_ashrrev_i32_e32 v132, 31, v132
	v_xor_b32_e32 v131, s20, v131
	v_lshl_add_u32 v133, v129, 2, v12
	v_and_b32_e32 v130, v130, v135
	v_xor_b32_e32 v132, s21, v132
	ds_read_b32 v129, v133 offset:32
	v_and_b32_e32 v130, v130, v131
	v_add_nc_u32_e32 v131, 32, v133
	; wave barrier
	v_and_b32_e32 v132, v130, v132
	v_mbcnt_lo_u32_b32 v130, v132, 0
	v_cmp_ne_u32_e64 s21, 0, v132
	v_cmp_eq_u32_e64 s20, 0, v130
	s_and_b32 s21, s21, s20
	s_and_saveexec_b32 s20, s21
	s_cbranch_execz .LBB398_74
; %bb.73:                               ;   in Loop: Header=BB398_56 Depth=1
	s_waitcnt lgkmcnt(0)
	v_bcnt_u32_b32 v132, v132, v129
	ds_write_b32 v131, v132
.LBB398_74:                             ;   in Loop: Header=BB398_56 Depth=1
	s_or_b32 exec_lo, exec_lo, s20
	v_lshrrev_b32_sdwa v132, v10, v64 dst_sel:DWORD dst_unused:UNUSED_PAD src0_sel:DWORD src1_sel:BYTE_1
	; wave barrier
	v_and_b32_e32 v132, v132, v148
	v_and_b32_e32 v133, 1, v132
	v_lshlrev_b32_e32 v134, 30, v132
	v_lshlrev_b32_e32 v135, 29, v132
	;; [unrolled: 1-line block ×4, first 2 shown]
	v_add_co_u32 v133, s20, v133, -1
	v_cndmask_b32_e64 v145, 0, 1, s20
	v_not_b32_e32 v150, v134
	v_cmp_gt_i32_e64 s21, 0, v134
	v_not_b32_e32 v134, v135
	v_lshlrev_b32_e32 v147, 26, v132
	v_cmp_ne_u32_e64 s20, 0, v145
	v_ashrrev_i32_e32 v150, 31, v150
	v_lshlrev_b32_e32 v149, 25, v132
	v_ashrrev_i32_e32 v134, 31, v134
	v_lshlrev_b32_e32 v145, 24, v132
	v_xor_b32_e32 v133, s20, v133
	v_cmp_gt_i32_e64 s20, 0, v135
	v_not_b32_e32 v135, v144
	v_xor_b32_e32 v150, s21, v150
	v_cmp_gt_i32_e64 s21, 0, v144
	v_and_b32_e32 v133, exec_lo, v133
	v_not_b32_e32 v144, v146
	v_ashrrev_i32_e32 v135, 31, v135
	v_xor_b32_e32 v134, s20, v134
	v_cmp_gt_i32_e64 s20, 0, v146
	v_and_b32_e32 v133, v133, v150
	v_not_b32_e32 v146, v147
	v_ashrrev_i32_e32 v144, 31, v144
	v_xor_b32_e32 v135, s21, v135
	v_cmp_gt_i32_e64 s21, 0, v147
	v_and_b32_e32 v133, v133, v134
	;; [unrolled: 5-line block ×3, first 2 shown]
	v_not_b32_e32 v135, v145
	v_ashrrev_i32_e32 v134, 31, v134
	v_xor_b32_e32 v146, s21, v146
	v_lshl_add_u32 v132, v132, 3, v231
	v_and_b32_e32 v133, v133, v144
	v_cmp_gt_i32_e64 s21, 0, v145
	v_ashrrev_i32_e32 v135, 31, v135
	v_xor_b32_e32 v134, s20, v134
	v_lshl_add_u32 v144, v132, 2, v12
	v_and_b32_e32 v133, v133, v146
	v_xor_b32_e32 v135, s21, v135
	ds_read_b32 v132, v144 offset:32
	v_and_b32_e32 v133, v133, v134
	v_add_nc_u32_e32 v134, 32, v144
	; wave barrier
	v_and_b32_e32 v135, v133, v135
	v_mbcnt_lo_u32_b32 v133, v135, 0
	v_cmp_ne_u32_e64 s21, 0, v135
	v_cmp_eq_u32_e64 s20, 0, v133
	s_and_b32 s21, s21, s20
	s_and_saveexec_b32 s20, s21
	s_cbranch_execz .LBB398_76
; %bb.75:                               ;   in Loop: Header=BB398_56 Depth=1
	s_waitcnt lgkmcnt(0)
	v_bcnt_u32_b32 v135, v135, v132
	ds_write_b32 v134, v135
.LBB398_76:                             ;   in Loop: Header=BB398_56 Depth=1
	s_or_b32 exec_lo, exec_lo, s20
	v_lshrrev_b32_sdwa v135, v10, v64 dst_sel:DWORD dst_unused:UNUSED_PAD src0_sel:DWORD src1_sel:BYTE_2
	; wave barrier
	v_and_b32_e32 v135, v135, v148
	v_and_b32_e32 v144, 1, v135
	v_lshlrev_b32_e32 v145, 30, v135
	v_lshlrev_b32_e32 v146, 29, v135
	;; [unrolled: 1-line block ×4, first 2 shown]
	v_add_co_u32 v144, s20, v144, -1
	v_cndmask_b32_e64 v149, 0, 1, s20
	v_not_b32_e32 v161, v145
	v_cmp_gt_i32_e64 s21, 0, v145
	v_not_b32_e32 v145, v146
	v_lshlrev_b32_e32 v151, 26, v135
	v_cmp_ne_u32_e64 s20, 0, v149
	v_ashrrev_i32_e32 v161, 31, v161
	v_lshlrev_b32_e32 v160, 25, v135
	v_ashrrev_i32_e32 v145, 31, v145
	v_lshlrev_b32_e32 v149, 24, v135
	v_xor_b32_e32 v144, s20, v144
	v_cmp_gt_i32_e64 s20, 0, v146
	v_not_b32_e32 v146, v147
	v_xor_b32_e32 v161, s21, v161
	v_cmp_gt_i32_e64 s21, 0, v147
	v_and_b32_e32 v144, exec_lo, v144
	v_not_b32_e32 v147, v150
	v_ashrrev_i32_e32 v146, 31, v146
	v_xor_b32_e32 v145, s20, v145
	v_cmp_gt_i32_e64 s20, 0, v150
	v_and_b32_e32 v144, v144, v161
	v_not_b32_e32 v150, v151
	v_ashrrev_i32_e32 v147, 31, v147
	v_xor_b32_e32 v146, s21, v146
	v_cmp_gt_i32_e64 s21, 0, v151
	v_and_b32_e32 v144, v144, v145
	;; [unrolled: 5-line block ×3, first 2 shown]
	v_not_b32_e32 v146, v149
	v_ashrrev_i32_e32 v145, 31, v145
	v_xor_b32_e32 v150, s21, v150
	v_lshl_add_u32 v135, v135, 3, v231
	v_and_b32_e32 v144, v144, v147
	v_cmp_gt_i32_e64 s21, 0, v149
	v_ashrrev_i32_e32 v146, 31, v146
	v_xor_b32_e32 v145, s20, v145
	v_lshl_add_u32 v147, v135, 2, v12
	v_and_b32_e32 v144, v144, v150
	v_xor_b32_e32 v146, s21, v146
	ds_read_b32 v135, v147 offset:32
	v_and_b32_e32 v144, v144, v145
	v_add_nc_u32_e32 v145, 32, v147
	; wave barrier
	v_and_b32_e32 v146, v144, v146
	v_mbcnt_lo_u32_b32 v144, v146, 0
	v_cmp_ne_u32_e64 s21, 0, v146
	v_cmp_eq_u32_e64 s20, 0, v144
	s_and_b32 s21, s21, s20
	s_and_saveexec_b32 s20, s21
	s_cbranch_execz .LBB398_78
; %bb.77:                               ;   in Loop: Header=BB398_56 Depth=1
	s_waitcnt lgkmcnt(0)
	v_bcnt_u32_b32 v146, v146, v135
	ds_write_b32 v145, v146
.LBB398_78:                             ;   in Loop: Header=BB398_56 Depth=1
	s_or_b32 exec_lo, exec_lo, s20
	v_alignbit_b32 v146, v65, v64, 24
	; wave barrier
	v_lshrrev_b32_sdwa v146, v10, v146 dst_sel:DWORD dst_unused:UNUSED_PAD src0_sel:DWORD src1_sel:BYTE_0
	v_and_b32_e32 v146, v146, v148
	v_and_b32_e32 v147, 1, v146
	v_lshlrev_b32_e32 v149, 30, v146
	v_lshlrev_b32_e32 v150, 29, v146
	v_lshlrev_b32_e32 v151, 28, v146
	v_lshlrev_b32_e32 v161, 27, v146
	v_add_co_u32 v147, s20, v147, -1
	v_cndmask_b32_e64 v160, 0, 1, s20
	v_not_b32_e32 v164, v149
	v_cmp_gt_i32_e64 s21, 0, v149
	v_not_b32_e32 v149, v150
	v_lshlrev_b32_e32 v162, 26, v146
	v_cmp_ne_u32_e64 s20, 0, v160
	v_ashrrev_i32_e32 v164, 31, v164
	v_lshlrev_b32_e32 v163, 25, v146
	v_ashrrev_i32_e32 v149, 31, v149
	v_lshlrev_b32_e32 v160, 24, v146
	v_xor_b32_e32 v147, s20, v147
	v_cmp_gt_i32_e64 s20, 0, v150
	v_not_b32_e32 v150, v151
	v_xor_b32_e32 v164, s21, v164
	v_cmp_gt_i32_e64 s21, 0, v151
	v_and_b32_e32 v147, exec_lo, v147
	v_not_b32_e32 v151, v161
	v_ashrrev_i32_e32 v150, 31, v150
	v_xor_b32_e32 v149, s20, v149
	v_cmp_gt_i32_e64 s20, 0, v161
	v_and_b32_e32 v147, v147, v164
	v_not_b32_e32 v161, v162
	v_ashrrev_i32_e32 v151, 31, v151
	v_xor_b32_e32 v150, s21, v150
	v_cmp_gt_i32_e64 s21, 0, v162
	v_and_b32_e32 v147, v147, v149
	v_not_b32_e32 v149, v163
	v_ashrrev_i32_e32 v161, 31, v161
	v_xor_b32_e32 v151, s20, v151
	v_cmp_gt_i32_e64 s20, 0, v163
	v_and_b32_e32 v147, v147, v150
	v_not_b32_e32 v150, v160
	v_ashrrev_i32_e32 v149, 31, v149
	v_xor_b32_e32 v161, s21, v161
	v_lshl_add_u32 v146, v146, 3, v231
	v_and_b32_e32 v147, v147, v151
	v_cmp_gt_i32_e64 s21, 0, v160
	v_ashrrev_i32_e32 v150, 31, v150
	v_xor_b32_e32 v149, s20, v149
	v_lshl_add_u32 v151, v146, 2, v12
	v_and_b32_e32 v147, v147, v161
	v_xor_b32_e32 v150, s21, v150
	ds_read_b32 v146, v151 offset:32
	v_and_b32_e32 v147, v147, v149
	v_add_nc_u32_e32 v160, 32, v151
	; wave barrier
	v_and_b32_e32 v149, v147, v150
	v_mbcnt_lo_u32_b32 v147, v149, 0
	v_cmp_ne_u32_e64 s21, 0, v149
	v_cmp_eq_u32_e64 s20, 0, v147
	s_and_b32 s21, s21, s20
	s_and_saveexec_b32 s20, s21
	s_cbranch_execz .LBB398_80
; %bb.79:                               ;   in Loop: Header=BB398_56 Depth=1
	s_waitcnt lgkmcnt(0)
	v_bcnt_u32_b32 v149, v149, v146
	ds_write_b32 v160, v149
.LBB398_80:                             ;   in Loop: Header=BB398_56 Depth=1
	s_or_b32 exec_lo, exec_lo, s20
	v_lshrrev_b32_sdwa v149, v10, v65 dst_sel:DWORD dst_unused:UNUSED_PAD src0_sel:DWORD src1_sel:BYTE_0
	; wave barrier
	v_and_b32_e32 v149, v149, v148
	v_and_b32_e32 v150, 1, v149
	v_lshlrev_b32_e32 v151, 30, v149
	v_lshlrev_b32_e32 v161, 29, v149
	;; [unrolled: 1-line block ×4, first 2 shown]
	v_add_co_u32 v150, s20, v150, -1
	v_cndmask_b32_e64 v163, 0, 1, s20
	v_not_b32_e32 v167, v151
	v_cmp_gt_i32_e64 s21, 0, v151
	v_not_b32_e32 v151, v161
	v_lshlrev_b32_e32 v165, 26, v149
	v_cmp_ne_u32_e64 s20, 0, v163
	v_ashrrev_i32_e32 v167, 31, v167
	v_lshlrev_b32_e32 v166, 25, v149
	v_ashrrev_i32_e32 v151, 31, v151
	v_lshlrev_b32_e32 v163, 24, v149
	v_xor_b32_e32 v150, s20, v150
	v_cmp_gt_i32_e64 s20, 0, v161
	v_not_b32_e32 v161, v162
	v_xor_b32_e32 v167, s21, v167
	v_cmp_gt_i32_e64 s21, 0, v162
	v_and_b32_e32 v150, exec_lo, v150
	v_not_b32_e32 v162, v164
	v_ashrrev_i32_e32 v161, 31, v161
	v_xor_b32_e32 v151, s20, v151
	v_cmp_gt_i32_e64 s20, 0, v164
	v_and_b32_e32 v150, v150, v167
	v_not_b32_e32 v164, v165
	v_ashrrev_i32_e32 v162, 31, v162
	v_xor_b32_e32 v161, s21, v161
	v_cmp_gt_i32_e64 s21, 0, v165
	v_and_b32_e32 v150, v150, v151
	v_not_b32_e32 v151, v166
	v_ashrrev_i32_e32 v164, 31, v164
	v_xor_b32_e32 v162, s20, v162
	v_cmp_gt_i32_e64 s20, 0, v166
	v_and_b32_e32 v150, v150, v161
	v_not_b32_e32 v161, v163
	v_ashrrev_i32_e32 v151, 31, v151
	v_xor_b32_e32 v164, s21, v164
	v_lshl_add_u32 v149, v149, 3, v231
	v_and_b32_e32 v150, v150, v162
	v_cmp_gt_i32_e64 s21, 0, v163
	v_ashrrev_i32_e32 v161, 31, v161
	v_xor_b32_e32 v151, s20, v151
	v_lshl_add_u32 v163, v149, 2, v12
	v_and_b32_e32 v150, v150, v164
	v_xor_b32_e32 v149, s21, v161
	ds_read_b32 v161, v163 offset:32
	v_and_b32_e32 v150, v150, v151
	v_add_nc_u32_e32 v163, 32, v163
	; wave barrier
	v_and_b32_e32 v149, v150, v149
	v_mbcnt_lo_u32_b32 v162, v149, 0
	v_cmp_ne_u32_e64 s21, 0, v149
	v_cmp_eq_u32_e64 s20, 0, v162
	s_and_b32 s21, s21, s20
	s_and_saveexec_b32 s20, s21
	s_cbranch_execz .LBB398_82
; %bb.81:                               ;   in Loop: Header=BB398_56 Depth=1
	s_waitcnt lgkmcnt(0)
	v_bcnt_u32_b32 v149, v149, v161
	ds_write_b32 v163, v149
.LBB398_82:                             ;   in Loop: Header=BB398_56 Depth=1
	s_or_b32 exec_lo, exec_lo, s20
	v_lshrrev_b32_sdwa v149, v10, v65 dst_sel:DWORD dst_unused:UNUSED_PAD src0_sel:DWORD src1_sel:BYTE_1
	; wave barrier
	v_and_b32_e32 v149, v149, v148
	v_and_b32_e32 v150, 1, v149
	v_lshlrev_b32_e32 v151, 30, v149
	v_lshlrev_b32_e32 v164, 29, v149
	;; [unrolled: 1-line block ×4, first 2 shown]
	v_add_co_u32 v150, s20, v150, -1
	v_cndmask_b32_e64 v166, 0, 1, s20
	v_not_b32_e32 v178, v151
	v_cmp_gt_i32_e64 s21, 0, v151
	v_not_b32_e32 v151, v164
	v_lshlrev_b32_e32 v176, 26, v149
	v_cmp_ne_u32_e64 s20, 0, v166
	v_ashrrev_i32_e32 v178, 31, v178
	v_lshlrev_b32_e32 v177, 25, v149
	v_ashrrev_i32_e32 v151, 31, v151
	v_lshlrev_b32_e32 v166, 24, v149
	v_xor_b32_e32 v150, s20, v150
	v_cmp_gt_i32_e64 s20, 0, v164
	v_not_b32_e32 v164, v165
	v_xor_b32_e32 v178, s21, v178
	v_cmp_gt_i32_e64 s21, 0, v165
	v_and_b32_e32 v150, exec_lo, v150
	v_not_b32_e32 v165, v167
	v_ashrrev_i32_e32 v164, 31, v164
	v_xor_b32_e32 v151, s20, v151
	v_cmp_gt_i32_e64 s20, 0, v167
	v_and_b32_e32 v150, v150, v178
	v_not_b32_e32 v167, v176
	v_ashrrev_i32_e32 v165, 31, v165
	v_xor_b32_e32 v164, s21, v164
	v_cmp_gt_i32_e64 s21, 0, v176
	v_and_b32_e32 v150, v150, v151
	;; [unrolled: 5-line block ×3, first 2 shown]
	v_not_b32_e32 v164, v166
	v_ashrrev_i32_e32 v151, 31, v151
	v_xor_b32_e32 v167, s21, v167
	v_lshl_add_u32 v149, v149, 3, v231
	v_and_b32_e32 v150, v150, v165
	v_cmp_gt_i32_e64 s21, 0, v166
	v_ashrrev_i32_e32 v164, 31, v164
	v_xor_b32_e32 v151, s20, v151
	v_lshl_add_u32 v166, v149, 2, v12
	v_and_b32_e32 v150, v150, v167
	v_xor_b32_e32 v149, s21, v164
	ds_read_b32 v164, v166 offset:32
	v_and_b32_e32 v150, v150, v151
	v_add_nc_u32_e32 v166, 32, v166
	; wave barrier
	v_and_b32_e32 v149, v150, v149
	v_mbcnt_lo_u32_b32 v165, v149, 0
	v_cmp_ne_u32_e64 s21, 0, v149
	v_cmp_eq_u32_e64 s20, 0, v165
	s_and_b32 s21, s21, s20
	s_and_saveexec_b32 s20, s21
	s_cbranch_execz .LBB398_84
; %bb.83:                               ;   in Loop: Header=BB398_56 Depth=1
	s_waitcnt lgkmcnt(0)
	v_bcnt_u32_b32 v149, v149, v164
	ds_write_b32 v166, v149
.LBB398_84:                             ;   in Loop: Header=BB398_56 Depth=1
	s_or_b32 exec_lo, exec_lo, s20
	v_lshrrev_b32_sdwa v149, v10, v65 dst_sel:DWORD dst_unused:UNUSED_PAD src0_sel:DWORD src1_sel:BYTE_2
	; wave barrier
	v_and_b32_e32 v149, v149, v148
	v_and_b32_e32 v150, 1, v149
	v_lshlrev_b32_e32 v151, 30, v149
	v_lshlrev_b32_e32 v167, 29, v149
	;; [unrolled: 1-line block ×4, first 2 shown]
	v_add_co_u32 v150, s20, v150, -1
	v_cndmask_b32_e64 v177, 0, 1, s20
	v_not_b32_e32 v181, v151
	v_cmp_gt_i32_e64 s21, 0, v151
	v_not_b32_e32 v151, v167
	v_lshlrev_b32_e32 v179, 26, v149
	v_cmp_ne_u32_e64 s20, 0, v177
	v_ashrrev_i32_e32 v181, 31, v181
	v_lshlrev_b32_e32 v180, 25, v149
	v_ashrrev_i32_e32 v151, 31, v151
	v_lshlrev_b32_e32 v177, 24, v149
	v_xor_b32_e32 v150, s20, v150
	v_cmp_gt_i32_e64 s20, 0, v167
	v_not_b32_e32 v167, v176
	v_xor_b32_e32 v181, s21, v181
	v_cmp_gt_i32_e64 s21, 0, v176
	v_and_b32_e32 v150, exec_lo, v150
	v_not_b32_e32 v176, v178
	v_ashrrev_i32_e32 v167, 31, v167
	v_xor_b32_e32 v151, s20, v151
	v_cmp_gt_i32_e64 s20, 0, v178
	v_and_b32_e32 v150, v150, v181
	v_not_b32_e32 v178, v179
	v_ashrrev_i32_e32 v176, 31, v176
	v_xor_b32_e32 v167, s21, v167
	v_cmp_gt_i32_e64 s21, 0, v179
	v_and_b32_e32 v150, v150, v151
	;; [unrolled: 5-line block ×3, first 2 shown]
	v_not_b32_e32 v167, v177
	v_ashrrev_i32_e32 v151, 31, v151
	v_xor_b32_e32 v178, s21, v178
	v_lshl_add_u32 v149, v149, 3, v231
	v_and_b32_e32 v150, v150, v176
	v_cmp_gt_i32_e64 s21, 0, v177
	v_ashrrev_i32_e32 v167, 31, v167
	v_xor_b32_e32 v151, s20, v151
	v_lshl_add_u32 v177, v149, 2, v12
	v_and_b32_e32 v150, v150, v178
	v_xor_b32_e32 v149, s21, v167
	ds_read_b32 v167, v177 offset:32
	v_and_b32_e32 v150, v150, v151
	v_add_nc_u32_e32 v177, 32, v177
	; wave barrier
	v_and_b32_e32 v149, v150, v149
	v_mbcnt_lo_u32_b32 v176, v149, 0
	v_cmp_ne_u32_e64 s21, 0, v149
	v_cmp_eq_u32_e64 s20, 0, v176
	s_and_b32 s21, s21, s20
	s_and_saveexec_b32 s20, s21
	s_cbranch_execz .LBB398_86
; %bb.85:                               ;   in Loop: Header=BB398_56 Depth=1
	s_waitcnt lgkmcnt(0)
	v_bcnt_u32_b32 v149, v149, v167
	ds_write_b32 v177, v149
.LBB398_86:                             ;   in Loop: Header=BB398_56 Depth=1
	s_or_b32 exec_lo, exec_lo, s20
	v_lshrrev_b32_e32 v75, 24, v65
	; wave barrier
	v_lshrrev_b32_e32 v149, v10, v75
	v_and_b32_e32 v149, v149, v148
	v_and_b32_e32 v150, 1, v149
	v_lshlrev_b32_e32 v151, 30, v149
	v_lshlrev_b32_e32 v178, 29, v149
	;; [unrolled: 1-line block ×4, first 2 shown]
	v_add_co_u32 v150, s20, v150, -1
	v_cndmask_b32_e64 v180, 0, 1, s20
	v_not_b32_e32 v192, v151
	v_cmp_gt_i32_e64 s21, 0, v151
	v_not_b32_e32 v151, v178
	v_lshlrev_b32_e32 v182, 26, v149
	v_cmp_ne_u32_e64 s20, 0, v180
	v_ashrrev_i32_e32 v192, 31, v192
	v_lshlrev_b32_e32 v183, 25, v149
	v_ashrrev_i32_e32 v151, 31, v151
	v_lshlrev_b32_e32 v180, 24, v149
	v_xor_b32_e32 v150, s20, v150
	v_cmp_gt_i32_e64 s20, 0, v178
	v_not_b32_e32 v178, v179
	v_xor_b32_e32 v192, s21, v192
	v_cmp_gt_i32_e64 s21, 0, v179
	v_and_b32_e32 v150, exec_lo, v150
	v_not_b32_e32 v179, v181
	v_ashrrev_i32_e32 v178, 31, v178
	v_xor_b32_e32 v151, s20, v151
	v_cmp_gt_i32_e64 s20, 0, v181
	v_and_b32_e32 v150, v150, v192
	v_not_b32_e32 v181, v182
	v_ashrrev_i32_e32 v179, 31, v179
	v_xor_b32_e32 v178, s21, v178
	v_cmp_gt_i32_e64 s21, 0, v182
	v_and_b32_e32 v150, v150, v151
	;; [unrolled: 5-line block ×3, first 2 shown]
	v_not_b32_e32 v178, v180
	v_ashrrev_i32_e32 v151, 31, v151
	v_xor_b32_e32 v181, s21, v181
	v_lshl_add_u32 v149, v149, 3, v231
	v_and_b32_e32 v150, v150, v179
	v_cmp_gt_i32_e64 s21, 0, v180
	v_ashrrev_i32_e32 v178, 31, v178
	v_xor_b32_e32 v151, s20, v151
	v_lshl_add_u32 v180, v149, 2, v12
	v_and_b32_e32 v150, v150, v181
	v_xor_b32_e32 v149, s21, v178
	ds_read_b32 v178, v180 offset:32
	v_and_b32_e32 v150, v150, v151
	v_add_nc_u32_e32 v180, 32, v180
	; wave barrier
	v_and_b32_e32 v149, v150, v149
	v_mbcnt_lo_u32_b32 v179, v149, 0
	v_cmp_ne_u32_e64 s21, 0, v149
	v_cmp_eq_u32_e64 s20, 0, v179
	s_and_b32 s21, s21, s20
	s_and_saveexec_b32 s20, s21
	s_cbranch_execz .LBB398_88
; %bb.87:                               ;   in Loop: Header=BB398_56 Depth=1
	s_waitcnt lgkmcnt(0)
	v_bcnt_u32_b32 v149, v149, v178
	ds_write_b32 v180, v149
.LBB398_88:                             ;   in Loop: Header=BB398_56 Depth=1
	s_or_b32 exec_lo, exec_lo, s20
	v_lshrrev_b32_sdwa v149, v10, v73 dst_sel:DWORD dst_unused:UNUSED_PAD src0_sel:DWORD src1_sel:BYTE_0
	; wave barrier
	v_and_b32_e32 v148, v149, v148
	v_and_b32_e32 v149, 1, v148
	v_lshlrev_b32_e32 v150, 30, v148
	v_lshlrev_b32_e32 v151, 29, v148
	;; [unrolled: 1-line block ×4, first 2 shown]
	v_add_co_u32 v149, s20, v149, -1
	v_cndmask_b32_e64 v182, 0, 1, s20
	v_not_b32_e32 v194, v150
	v_cmp_gt_i32_e64 s21, 0, v150
	v_not_b32_e32 v150, v151
	v_lshlrev_b32_e32 v192, 26, v148
	v_cmp_ne_u32_e64 s20, 0, v182
	v_ashrrev_i32_e32 v194, 31, v194
	v_lshlrev_b32_e32 v193, 25, v148
	v_ashrrev_i32_e32 v150, 31, v150
	v_lshlrev_b32_e32 v182, 24, v148
	v_xor_b32_e32 v149, s20, v149
	v_cmp_gt_i32_e64 s20, 0, v151
	v_not_b32_e32 v151, v181
	v_xor_b32_e32 v194, s21, v194
	v_cmp_gt_i32_e64 s21, 0, v181
	v_and_b32_e32 v149, exec_lo, v149
	v_not_b32_e32 v181, v183
	v_ashrrev_i32_e32 v151, 31, v151
	v_xor_b32_e32 v150, s20, v150
	v_cmp_gt_i32_e64 s20, 0, v183
	v_and_b32_e32 v149, v149, v194
	v_not_b32_e32 v183, v192
	v_ashrrev_i32_e32 v181, 31, v181
	v_xor_b32_e32 v151, s21, v151
	v_cmp_gt_i32_e64 s21, 0, v192
	v_and_b32_e32 v149, v149, v150
	;; [unrolled: 5-line block ×3, first 2 shown]
	v_not_b32_e32 v151, v182
	v_ashrrev_i32_e32 v150, 31, v150
	v_xor_b32_e32 v183, s21, v183
	v_lshl_add_u32 v148, v148, 3, v231
	v_and_b32_e32 v149, v149, v181
	v_cmp_gt_i32_e64 s21, 0, v182
	v_ashrrev_i32_e32 v151, 31, v151
	v_xor_b32_e32 v150, s20, v150
	v_and_b32_e32 v149, v149, v183
	v_lshl_add_u32 v183, v148, 2, v12
	v_xor_b32_e32 v148, s21, v151
	v_and_b32_e32 v149, v149, v150
	ds_read_b32 v181, v183 offset:32
	v_add_nc_u32_e32 v183, 32, v183
	; wave barrier
	v_and_b32_e32 v148, v149, v148
	v_mbcnt_lo_u32_b32 v182, v148, 0
	v_cmp_ne_u32_e64 s21, 0, v148
	v_cmp_eq_u32_e64 s20, 0, v182
	s_and_b32 s21, s21, s20
	s_and_saveexec_b32 s20, s21
	s_cbranch_execz .LBB398_90
; %bb.89:                               ;   in Loop: Header=BB398_56 Depth=1
	s_waitcnt lgkmcnt(0)
	v_bcnt_u32_b32 v148, v148, v181
	ds_write_b32 v183, v148
.LBB398_90:                             ;   in Loop: Header=BB398_56 Depth=1
	s_or_b32 exec_lo, exec_lo, s20
	; wave barrier
	s_waitcnt lgkmcnt(0)
	s_barrier
	buffer_gl0_inv
	ds_read_b32 v150, v1
	ds_read_b32 v151, v9
	;; [unrolled: 1-line block ×8, first 2 shown]
	s_waitcnt lgkmcnt(6)
	v_add_nc_u32_e32 v196, v151, v150
	s_waitcnt lgkmcnt(4)
	v_add3_u32 v196, v196, v194, v149
	s_waitcnt lgkmcnt(2)
	v_add3_u32 v196, v196, v148, v193
	;; [unrolled: 2-line block ×3, first 2 shown]
	v_mov_b32_dpp v196, v195 row_shr:1 row_mask:0xf bank_mask:0xf
	v_cndmask_b32_e64 v196, v196, 0, vcc_lo
	v_add_nc_u32_e32 v195, v196, v195
	v_mov_b32_dpp v196, v195 row_shr:2 row_mask:0xf bank_mask:0xf
	v_cndmask_b32_e64 v196, 0, v196, s4
	v_add_nc_u32_e32 v195, v195, v196
	v_mov_b32_dpp v196, v195 row_shr:4 row_mask:0xf bank_mask:0xf
	v_cndmask_b32_e64 v196, 0, v196, s5
	;; [unrolled: 3-line block ×3, first 2 shown]
	v_add_nc_u32_e32 v195, v195, v196
	ds_swizzle_b32 v196, v195 offset:swizzle(BROADCAST,32,15)
	s_waitcnt lgkmcnt(0)
	v_cndmask_b32_e64 v196, v196, 0, s10
	v_add_nc_u32_e32 v195, v195, v196
	s_and_saveexec_b32 s20, s11
; %bb.91:                               ;   in Loop: Header=BB398_56 Depth=1
	ds_write_b32 v241, v195
; %bb.92:                               ;   in Loop: Header=BB398_56 Depth=1
	s_or_b32 exec_lo, exec_lo, s20
	s_waitcnt lgkmcnt(0)
	s_barrier
	buffer_gl0_inv
	s_and_saveexec_b32 s20, s14
	s_cbranch_execz .LBB398_94
; %bb.93:                               ;   in Loop: Header=BB398_56 Depth=1
	ds_read_b32 v196, v243
	s_waitcnt lgkmcnt(0)
	v_mov_b32_dpp v197, v196 row_shr:1 row_mask:0xf bank_mask:0xf
	v_cndmask_b32_e64 v197, v197, 0, s17
	v_add_nc_u32_e32 v196, v197, v196
	v_mov_b32_dpp v197, v196 row_shr:2 row_mask:0xf bank_mask:0xf
	v_cndmask_b32_e64 v197, 0, v197, s18
	v_add_nc_u32_e32 v196, v196, v197
	;; [unrolled: 3-line block ×3, first 2 shown]
	ds_write_b32 v243, v196
.LBB398_94:                             ;   in Loop: Header=BB398_56 Depth=1
	s_or_b32 exec_lo, exec_lo, s20
	v_mov_b32_e32 v196, 0
	s_waitcnt lgkmcnt(0)
	s_barrier
	buffer_gl0_inv
	s_and_saveexec_b32 s20, s15
; %bb.95:                               ;   in Loop: Header=BB398_56 Depth=1
	v_add_nc_u32_e32 v196, -4, v241
	ds_read_b32 v196, v196
; %bb.96:                               ;   in Loop: Header=BB398_56 Depth=1
	s_or_b32 exec_lo, exec_lo, s20
	s_waitcnt lgkmcnt(0)
	v_add_nc_u32_e32 v195, v196, v195
	v_add_nc_u32_e32 v10, 8, v10
	v_mov_b32_e32 v77, v16
	v_lshrrev_b32_e32 v79, 8, v16
	v_lshrrev_b32_e32 v88, 16, v16
	ds_bpermute_b32 v195, v240, v195
	v_lshrrev_b32_e32 v78, 8, v17
	v_lshrrev_b32_e32 v89, 16, v17
	;; [unrolled: 1-line block ×5, first 2 shown]
	v_cmp_lt_u32_e64 s20, v10, v11
	s_mov_b32 s24, -1
                                        ; implicit-def: $vgpr90
                                        ; implicit-def: $vgpr127
                                        ; implicit-def: $vgpr126
                                        ; implicit-def: $vgpr125
	s_waitcnt lgkmcnt(0)
	v_cndmask_b32_e64 v195, v195, v196, s6
	v_cndmask_b32_e64 v195, v195, 0, s16
	v_add_nc_u32_e32 v196, v195, v150
	v_add_nc_u32_e32 v197, v196, v151
	v_lshrrev_b64 v[150:151], 24, v[16:17]
	v_lshrrev_b32_e32 v151, 8, v64
	ds_write_b32 v1, v195
	ds_write_b32 v9, v196
	;; [unrolled: 1-line block ×3, first 2 shown]
	v_add_nc_u32_e32 v194, v197, v194
	v_add_nc_u32_e32 v198, v194, v149
	;; [unrolled: 1-line block ×3, first 2 shown]
	v_lshrrev_b64 v[148:149], 24, v[64:65]
	v_add_nc_u32_e32 v149, v199, v193
	v_add_nc_u32_e32 v192, v149, v192
	ds_write_b32 v39, v194
	ds_write_b32 v227, v198
	;; [unrolled: 1-line block ×5, first 2 shown]
	s_waitcnt lgkmcnt(0)
	s_barrier
	buffer_gl0_inv
	ds_read_b32 v83, v83
	ds_read_b32 v86, v86
	;; [unrolled: 1-line block ×17, first 2 shown]
	s_waitcnt lgkmcnt(0)
	v_add_nc_u32_e32 v122, v83, v82
	v_add3_u32 v121, v85, v84, v86
	v_add3_u32 v120, v96, v87, v97
	;; [unrolled: 1-line block ×12, first 2 shown]
	v_add_co_u32 v160, s21, v12, v122
	v_add_co_ci_u32_e64 v161, null, 0, v13, s21
	v_add_co_u32 v162, s21, v12, v121
	v_add3_u32 v93, v165, v164, v163
	v_add_co_ci_u32_e64 v163, null, 0, v13, s21
	v_add_co_u32 v164, s21, v12, v120
	v_add3_u32 v92, v176, v167, v166
	v_add_co_ci_u32_e64 v165, null, 0, v13, s21
	v_add_co_u32 v166, s21, v12, v111
	v_add_co_ci_u32_e64 v167, null, 0, v13, s21
	v_add_co_u32 v176, s21, v12, v110
	v_add3_u32 v91, v179, v178, v177
	v_add_co_ci_u32_e64 v177, null, 0, v13, s21
	v_add_co_u32 v178, s21, v12, v109
	v_add3_u32 v149, v182, v181, v180
	v_add_co_ci_u32_e64 v179, null, 0, v13, s21
	v_add_co_u32 v180, s21, v12, v108
	v_add_co_ci_u32_e64 v181, null, 0, v13, s21
	v_add_co_u32 v182, s21, v12, v107
	;; [unrolled: 2-line block ×11, first 2 shown]
	v_add_co_ci_u32_e64 v215, null, 0, v13, s21
                                        ; implicit-def: $vgpr82_vgpr83
                                        ; implicit-def: $vgpr84_vgpr85
                                        ; implicit-def: $vgpr86_vgpr87
                                        ; implicit-def: $vgpr96_vgpr97
                                        ; implicit-def: $vgpr98_vgpr99
                                        ; implicit-def: $vgpr100_vgpr101
                                        ; implicit-def: $vgpr102_vgpr103
                                        ; implicit-def: $vgpr112_vgpr113
                                        ; implicit-def: $vgpr114_vgpr115
                                        ; implicit-def: $vgpr116_vgpr117
                                        ; implicit-def: $vgpr130_vgpr131
                                        ; implicit-def: $vgpr134_vgpr135
                                        ; implicit-def: $vgpr146_vgpr147
                                        ; implicit-def: $vgpr118_vgpr119
                                        ; implicit-def: $vgpr128_vgpr129
                                        ; implicit-def: $vgpr132_vgpr133
                                        ; implicit-def: $vgpr144_vgpr145
	s_and_saveexec_b32 s21, s20
	s_cbranch_execz .LBB398_55
; %bb.97:                               ;   in Loop: Header=BB398_56 Depth=1
	v_add_nc_u32_e32 v82, 64, v4
	s_barrier
	buffer_gl0_inv
	ds_write_b8 v160, v16
	ds_write_b8 v162, v79
	;; [unrolled: 1-line block ×17, first 2 shown]
	v_add_nc_u32_e32 v16, 0x60, v4
	v_add_nc_u32_e32 v83, 32, v4
	s_waitcnt lgkmcnt(0)
	s_barrier
	buffer_gl0_inv
	ds_read_u8 v90, v247
	ds_read_u8 v16, v16
	;; [unrolled: 1-line block ×3, first 2 shown]
	v_add_nc_u32_e32 v82, 0xe0, v4
	v_add_nc_u32_e32 v84, 0xc0, v4
	;; [unrolled: 1-line block ×3, first 2 shown]
	ds_read_u8 v126, v83
	ds_read_u8 v127, v4
	;; [unrolled: 1-line block ×5, first 2 shown]
	v_add_nc_u32_e32 v82, 0x80, v4
	v_add_nc_u32_e32 v83, 0x160, v4
	v_add_nc_u32_e32 v84, 0x140, v4
	v_add_nc_u32_e32 v85, 0x120, v4
	v_add_nc_u32_e32 v86, 0x100, v4
	ds_read_u8 v139, v82
	ds_read_u8 v140, v83
	;; [unrolled: 1-line block ×5, first 2 shown]
	v_mad_u64_u32 v[82:83], null, v122, 7, v[160:161]
	ds_read_u8 v161, v246
	ds_read_u8 v152, v245
	ds_read_u8 v153, v244
	ds_read_u8 v154, v5
	s_waitcnt lgkmcnt(0)
	s_barrier
	buffer_gl0_inv
	v_mad_u64_u32 v[96:97], null, v108, 7, v[180:181]
	ds_write_b64 v82, v[52:53]
	v_mad_u64_u32 v[82:83], null, v121, 7, v[162:163]
	v_mad_u64_u32 v[83:84], null, v120, 7, v[164:165]
	;; [unrolled: 1-line block ×7, first 2 shown]
	ds_write_b64 v82, v[50:51]
	ds_write_b64 v83, v[54:55]
	;; [unrolled: 1-line block ×8, first 2 shown]
	v_mad_u64_u32 v[82:83], null, v105, 7, v[194:195]
	v_mad_u64_u32 v[83:84], null, v104, 7, v[196:197]
	;; [unrolled: 1-line block ×8, first 2 shown]
	ds_write_b64 v82, v[18:19]
	ds_write_b64 v83, v[24:25]
	;; [unrolled: 1-line block ×8, first 2 shown]
	s_waitcnt lgkmcnt(0)
	s_barrier
	buffer_gl0_inv
	ds_read_b64 v[82:83], v15
	ds_read_b64 v[84:85], v40
	;; [unrolled: 1-line block ×17, first 2 shown]
	v_perm_b32 v163, v127, v126, 0xc0c0004
	v_perm_b32 v16, v125, v16, 0xc0c0004
	;; [unrolled: 1-line block ×8, first 2 shown]
	v_lshl_or_b32 v16, v16, 16, v163
	v_lshl_or_b32 v125, v167, 16, v165
	;; [unrolled: 1-line block ×3, first 2 shown]
	v_add_nc_u32_e32 v72, -8, v72
	v_lshl_or_b32 v127, v161, 16, v181
	s_xor_b32 s24, exec_lo, -1
	s_waitcnt lgkmcnt(0)
	s_barrier
	buffer_gl0_inv
	s_branch .LBB398_55
.LBB398_98:
	s_or_b32 exec_lo, exec_lo, s23
	v_add_nc_u32_e32 v1, v12, v14
	v_lshl_add_u32 v4, v122, 3, v12
	v_lshl_add_u32 v5, v121, 3, v12
	;; [unrolled: 1-line block ×3, first 2 shown]
	s_barrier
	buffer_gl0_inv
	ds_write_b8 v160, v77
	ds_write_b8 v162, v79
	ds_write_b8 v164, v88
	ds_write_b8 v166, v150
	ds_write_b8 v176, v17
	ds_write_b8 v178, v78
	ds_write_b8 v180, v89
	ds_write_b8 v182, v74
	ds_write_b8 v192, v64
	ds_write_b8 v194, v151
	ds_write_b8 v196, v76
	ds_write_b8 v198, v148
	ds_write_b8 v208, v65
	ds_write_b8 v210, v123
	ds_write_b8 v212, v124
	ds_write_b8 v224, v75
	ds_write_b8 v214, v73
	s_waitcnt lgkmcnt(0)
	s_barrier
	buffer_gl0_inv
	ds_read_u8 v103, v1
	ds_read_u8 v102, v1 offset:256
	ds_read_u8 v101, v1 offset:512
	ds_read_u8 v100, v1 offset:768
	ds_read_u8 v99, v1 offset:1024
	ds_read_u8 v98, v1 offset:1280
	ds_read_u8 v97, v1 offset:1536
	ds_read_u8 v96, v1 offset:1792
	ds_read_u8 v87, v1 offset:2048
	ds_read_u8 v86, v1 offset:2304
	ds_read_u8 v85, v1 offset:2560
	ds_read_u8 v84, v1 offset:2816
	ds_read_u8 v83, v1 offset:3072
	ds_read_u8 v82, v1 offset:3328
	ds_read_u8 v65, v1 offset:3584
	ds_read_u8 v64, v1 offset:3840
	ds_read_u8 v39, v1 offset:4096
	s_waitcnt lgkmcnt(0)
	s_barrier
	buffer_gl0_inv
	ds_write_b64 v4, v[52:53]
	ds_write_b64 v5, v[50:51]
	;; [unrolled: 1-line block ×3, first 2 shown]
	v_lshl_add_u32 v4, v111, 3, v12
	v_lshl_add_u32 v5, v110, 3, v12
	;; [unrolled: 1-line block ×5, first 2 shown]
	ds_write_b64 v4, v[30:31]
	ds_write_b64 v5, v[28:29]
	;; [unrolled: 1-line block ×5, first 2 shown]
	v_lshl_add_u32 v4, v106, 3, v12
	v_lshl_add_u32 v5, v105, 3, v12
	;; [unrolled: 1-line block ×5, first 2 shown]
	ds_write_b64 v4, v[20:21]
	ds_write_b64 v5, v[18:19]
	;; [unrolled: 1-line block ×5, first 2 shown]
	v_mul_u32_u24_e32 v10, 7, v14
	v_lshl_add_u32 v4, v93, 3, v12
	v_lshl_add_u32 v11, v149, 3, v12
	;; [unrolled: 1-line block ×4, first 2 shown]
	v_add_nc_u32_e32 v1, v1, v10
	ds_write_b64 v4, v[66:67]
	ds_write_b64 v5, v[68:69]
	;; [unrolled: 1-line block ×4, first 2 shown]
	s_waitcnt lgkmcnt(0)
	s_barrier
	buffer_gl0_inv
	ds_read2st64_b64 v[48:51], v1 offset1:4
	ds_read2st64_b64 v[33:36], v1 offset0:8 offset1:12
	ds_read2st64_b64 v[29:32], v1 offset0:16 offset1:20
	;; [unrolled: 1-line block ×7, first 2 shown]
	ds_read_b64 v[4:5], v1 offset:32768
	v_add_co_u32 v2, vcc_lo, v2, v8
	v_add_co_ci_u32_e64 v3, null, 0, v3, vcc_lo
	v_mov_b32_e32 v1, 0
	v_add_co_u32 v2, vcc_lo, v2, v0
	v_add_co_ci_u32_e64 v3, null, 0, v3, vcc_lo
	v_cmp_lt_u32_e64 s4, v0, v226
	s_waitcnt lgkmcnt(0)
	s_barrier
	buffer_gl0_inv
	s_and_saveexec_b32 s5, s4
	s_cbranch_execz .LBB398_100
; %bb.99:
	v_xor_b32_e32 v8, 0x80, v103
	flat_store_byte v[2:3], v8
.LBB398_100:
	s_or_b32 exec_lo, exec_lo, s5
	v_add_nc_u32_e32 v8, 0x100, v0
	v_cmp_lt_u32_e64 s17, v8, v226
	s_and_saveexec_b32 s5, s17
	s_cbranch_execz .LBB398_102
; %bb.101:
	v_xor_b32_e32 v8, 0x80, v102
	flat_store_byte v[2:3], v8 offset:256
.LBB398_102:
	s_or_b32 exec_lo, exec_lo, s5
	v_add_nc_u32_e32 v8, 0x200, v0
	v_cmp_lt_u32_e64 s15, v8, v226
	s_and_saveexec_b32 s5, s15
	s_cbranch_execz .LBB398_104
; %bb.103:
	v_xor_b32_e32 v8, 0x80, v101
	flat_store_byte v[2:3], v8 offset:512
.LBB398_104:
	;; [unrolled: 9-line block ×7, first 2 shown]
	s_or_b32 exec_lo, exec_lo, s10
	v_add_nc_u32_e32 v8, 0x800, v0
	v_cmp_lt_u32_e32 vcc_lo, v8, v226
	s_and_saveexec_b32 s16, vcc_lo
	s_cbranch_execz .LBB398_116
; %bb.115:
	v_add_co_u32 v52, s10, 0x800, v2
	v_xor_b32_e32 v8, 0x80, v87
	v_add_co_ci_u32_e64 v53, null, 0, v3, s10
	flat_store_byte v[52:53], v8
.LBB398_116:
	s_or_b32 exec_lo, exec_lo, s16
	v_add_nc_u32_e32 v8, 0x900, v0
	v_cmp_lt_u32_e64 s10, v8, v226
	s_and_saveexec_b32 s18, s10
	s_cbranch_execz .LBB398_118
; %bb.117:
	v_add_co_u32 v52, s16, 0x800, v2
	v_xor_b32_e32 v8, 0x80, v86
	v_add_co_ci_u32_e64 v53, null, 0, v3, s16
	flat_store_byte v[52:53], v8 offset:256
.LBB398_118:
	s_or_b32 exec_lo, exec_lo, s18
	v_add_nc_u32_e32 v8, 0xa00, v0
	v_cmp_lt_u32_e64 s16, v8, v226
	s_and_saveexec_b32 s19, s16
	s_cbranch_execz .LBB398_120
; %bb.119:
	v_add_co_u32 v52, s18, 0x800, v2
	v_xor_b32_e32 v8, 0x80, v85
	v_add_co_ci_u32_e64 v53, null, 0, v3, s18
	flat_store_byte v[52:53], v8 offset:512
.LBB398_120:
	;; [unrolled: 11-line block ×7, first 2 shown]
	s_or_b32 exec_lo, exec_lo, s24
	v_add_nc_u32_e32 v8, 0x1000, v0
	v_cmp_lt_u32_e64 s23, v8, v226
	s_and_saveexec_b32 s27, s23
	s_cbranch_execz .LBB398_132
; %bb.131:
	v_add_co_u32 v2, s24, 0x1000, v2
	v_xor_b32_e32 v8, 0x80, v39
	v_add_co_ci_u32_e64 v3, null, 0, v3, s24
	flat_store_byte v[2:3], v8
.LBB398_132:
	s_or_b32 exec_lo, exec_lo, s27
	v_lshlrev_b64 v[0:1], 3, v[0:1]
	v_add_co_u32 v2, s24, v6, v37
	v_add_co_ci_u32_e64 v3, null, v7, v38, s24
	v_add_co_u32 v0, s24, v2, v0
	v_add_co_ci_u32_e64 v1, null, v3, v1, s24
	s_and_saveexec_b32 s24, s4
	s_cbranch_execnz .LBB398_220
; %bb.133:
	s_or_b32 exec_lo, exec_lo, s24
	s_and_saveexec_b32 s24, s17
	s_cbranch_execnz .LBB398_221
.LBB398_134:
	s_or_b32 exec_lo, exec_lo, s24
	s_and_saveexec_b32 s17, s15
	s_cbranch_execnz .LBB398_222
.LBB398_135:
	s_or_b32 exec_lo, exec_lo, s17
	s_and_saveexec_b32 s15, s14
	s_cbranch_execnz .LBB398_223
.LBB398_136:
	s_or_b32 exec_lo, exec_lo, s15
	s_and_saveexec_b32 s14, s11
	s_cbranch_execnz .LBB398_224
.LBB398_137:
	s_or_b32 exec_lo, exec_lo, s14
	s_and_saveexec_b32 s11, s7
	s_cbranch_execnz .LBB398_225
.LBB398_138:
	s_or_b32 exec_lo, exec_lo, s11
	s_and_saveexec_b32 s7, s6
	s_cbranch_execnz .LBB398_226
.LBB398_139:
	s_or_b32 exec_lo, exec_lo, s7
	s_and_saveexec_b32 s6, s5
	s_cbranch_execnz .LBB398_227
.LBB398_140:
	s_or_b32 exec_lo, exec_lo, s6
	s_and_saveexec_b32 s4, vcc_lo
	s_cbranch_execnz .LBB398_228
.LBB398_141:
	s_or_b32 exec_lo, exec_lo, s4
	s_and_saveexec_b32 s4, s10
	s_cbranch_execnz .LBB398_229
.LBB398_142:
	s_or_b32 exec_lo, exec_lo, s4
	s_and_saveexec_b32 s4, s16
	s_cbranch_execnz .LBB398_230
.LBB398_143:
	s_or_b32 exec_lo, exec_lo, s4
	s_and_saveexec_b32 s4, s18
	s_cbranch_execnz .LBB398_231
.LBB398_144:
	s_or_b32 exec_lo, exec_lo, s4
	s_and_saveexec_b32 s4, s19
	s_cbranch_execnz .LBB398_232
.LBB398_145:
	s_or_b32 exec_lo, exec_lo, s4
	s_and_saveexec_b32 s4, s20
	s_cbranch_execnz .LBB398_233
.LBB398_146:
	s_or_b32 exec_lo, exec_lo, s4
	s_and_saveexec_b32 s4, s21
	s_cbranch_execnz .LBB398_234
.LBB398_147:
	s_or_b32 exec_lo, exec_lo, s4
	s_and_saveexec_b32 s4, s22
	s_cbranch_execnz .LBB398_235
.LBB398_148:
	s_or_b32 exec_lo, exec_lo, s4
	s_and_saveexec_b32 s4, s23
	s_cbranch_execz .LBB398_150
.LBB398_149:
	v_add_co_u32 v0, vcc_lo, 0x8000, v0
	v_add_co_ci_u32_e64 v1, null, 0, v1, vcc_lo
	flat_store_dwordx2 v[0:1], v[4:5]
.LBB398_150:
	s_or_b32 exec_lo, exec_lo, s4
                                        ; implicit-def: $vgpr226
                                        ; implicit-def: $vgpr0
                                        ; implicit-def: $vgpr1
                                        ; implicit-def: $vgpr2
                                        ; implicit-def: $vgpr3
                                        ; implicit-def: $vgpr4
                                        ; implicit-def: $vgpr5
                                        ; implicit-def: $vgpr6
                                        ; implicit-def: $vgpr7
                                        ; implicit-def: $vgpr8
                                        ; implicit-def: $vgpr10
                                        ; implicit-def: $vgpr11
                                        ; implicit-def: $vgpr12
                                        ; implicit-def: $vgpr13
                                        ; implicit-def: $vgpr15
                                        ; implicit-def: $vgpr16
                                        ; implicit-def: $vgpr14
                                        ; implicit-def: $vgpr30
.LBB398_151:
	s_andn2_saveexec_b32 s4, s26
	s_cbranch_execz .LBB398_382
; %bb.152:
	s_mov_b32 s4, exec_lo
	v_cmpx_lt_u32_e32 0x400, v226
	s_xor_b32 s22, exec_lo, s4
	s_cbranch_execz .LBB398_262
; %bb.153:
	s_load_dwordx2 s[4:5], s[8:9], 0x0
	v_mov_b32_e32 v9, 0
	v_add_co_u32 v0, vcc_lo, v0, v8
	v_add_co_ci_u32_e64 v1, null, 0, v1, vcc_lo
	v_mov_b32_e32 v21, 0x7f
	v_add_co_u32 v0, vcc_lo, v0, v30
	v_add_co_ci_u32_e64 v1, null, 0, v1, vcc_lo
	v_mov_b32_e32 v19, 0x7f
	v_mov_b32_e32 v20, 0x7f
	;; [unrolled: 1-line block ×5, first 2 shown]
	s_waitcnt lgkmcnt(0)
	s_cmp_lt_u32 s13, s5
	s_cselect_b32 s5, 14, 20
	s_add_u32 s6, s8, s5
	s_addc_u32 s7, s9, 0
	s_cmp_lt_u32 s12, s4
	global_load_ushort v17, v9, s[6:7]
	s_cselect_b32 s4, 12, 18
	s_add_u32 s4, s8, s4
	s_addc_u32 s5, s9, 0
	global_load_ushort v18, v9, s[4:5]
	s_waitcnt vmcnt(1)
	v_mad_u32_u24 v15, v16, v17, v15
	v_mov_b32_e32 v17, 0x7f
	v_mov_b32_e32 v16, v9
	s_waitcnt vmcnt(0)
	v_mad_u64_u32 v[25:26], null, v15, v18, v[14:15]
	v_mov_b32_e32 v18, 0x7f
	v_lshlrev_b32_e32 v15, 3, v25
	v_and_b32_e32 v15, 0xffffff00, v15
	v_or_b32_e32 v26, v15, v30
	v_add_co_u32 v0, vcc_lo, v0, v15
	v_add_co_ci_u32_e64 v1, null, 0, v1, vcc_lo
	v_cmp_lt_u32_e32 vcc_lo, v26, v226
	s_and_saveexec_b32 s4, vcc_lo
	s_cbranch_execz .LBB398_155
; %bb.154:
	flat_load_ubyte v18, v[0:1]
	v_mov_b32_e32 v21, 0x7f
	v_mov_b32_e32 v19, 0x7f
	v_mov_b32_e32 v17, 0x7f
	v_mov_b32_e32 v20, 0x7f
	v_mov_b32_e32 v23, 0x7f
	v_mov_b32_e32 v22, 0x7f
	v_mov_b32_e32 v24, 0x7f
.LBB398_155:
	s_or_b32 exec_lo, exec_lo, s4
	v_or_b32_e32 v27, 32, v26
	v_cmp_lt_u32_e64 s4, v27, v226
	s_and_saveexec_b32 s5, s4
	s_cbranch_execz .LBB398_157
; %bb.156:
	flat_load_ubyte v19, v[0:1] offset:32
.LBB398_157:
	s_or_b32 exec_lo, exec_lo, s5
	v_or_b32_e32 v27, 64, v26
	v_cmp_lt_u32_e64 s5, v27, v226
	s_and_saveexec_b32 s6, s5
	s_cbranch_execz .LBB398_159
; %bb.158:
	flat_load_ubyte v17, v[0:1] offset:64
.LBB398_159:
	;; [unrolled: 8-line block ×7, first 2 shown]
	s_or_b32 exec_lo, exec_lo, s15
	v_lshlrev_b64 v[0:1], 3, v[8:9]
	v_lshlrev_b32_e32 v9, 3, v30
                                        ; implicit-def: $vgpr34_vgpr35
	v_add_co_u32 v26, s15, v4, v0
	v_add_co_ci_u32_e64 v27, null, v5, v1, s15
	v_lshlrev_b64 v[4:5], 3, v[15:16]
	v_add_co_u32 v9, s15, v26, v9
	v_add_co_ci_u32_e64 v15, null, 0, v27, s15
	v_add_co_u32 v4, s15, v9, v4
	v_add_co_ci_u32_e64 v5, null, v15, v5, s15
	s_and_saveexec_b32 s15, vcc_lo
	s_cbranch_execnz .LBB398_295
; %bb.170:
	s_or_b32 exec_lo, exec_lo, s15
                                        ; implicit-def: $vgpr38_vgpr39
	s_and_saveexec_b32 s15, s4
	s_cbranch_execnz .LBB398_296
.LBB398_171:
	s_or_b32 exec_lo, exec_lo, s15
                                        ; implicit-def: $vgpr48_vgpr49
	s_and_saveexec_b32 s4, s5
	s_cbranch_execnz .LBB398_297
.LBB398_172:
	s_or_b32 exec_lo, exec_lo, s4
                                        ; implicit-def: $vgpr50_vgpr51
	s_and_saveexec_b32 s4, s6
	s_cbranch_execnz .LBB398_298
.LBB398_173:
	s_or_b32 exec_lo, exec_lo, s4
                                        ; implicit-def: $vgpr52_vgpr53
	s_and_saveexec_b32 s4, s7
	s_cbranch_execnz .LBB398_299
.LBB398_174:
	s_or_b32 exec_lo, exec_lo, s4
                                        ; implicit-def: $vgpr54_vgpr55
	s_and_saveexec_b32 s4, s10
	s_cbranch_execnz .LBB398_300
.LBB398_175:
	s_or_b32 exec_lo, exec_lo, s4
                                        ; implicit-def: $vgpr32_vgpr33
	s_and_saveexec_b32 s4, s11
	s_cbranch_execnz .LBB398_301
.LBB398_176:
	s_or_b32 exec_lo, exec_lo, s4
                                        ; implicit-def: $vgpr36_vgpr37
	s_and_saveexec_b32 s4, s14
	s_cbranch_execz .LBB398_178
.LBB398_177:
	flat_load_dwordx2 v[36:37], v[4:5] offset:1792
.LBB398_178:
	s_or_b32 exec_lo, exec_lo, s4
	v_mov_b32_e32 v4, 0x80
	v_mov_b32_e32 v5, 8
	s_waitcnt vmcnt(0) lgkmcnt(0)
	v_xor_b32_e32 v16, 0x80, v23
	v_lshl_add_u32 v23, v14, 5, v12
	v_xor_b32_e32 v15, 0x80, v24
	v_xor_b32_sdwa v9, v21, v4 dst_sel:BYTE_1 dst_unused:UNUSED_PAD src0_sel:DWORD src1_sel:DWORD
	v_xor_b32_sdwa v21, v22, v4 dst_sel:BYTE_1 dst_unused:UNUSED_PAD src0_sel:DWORD src1_sel:DWORD
	;; [unrolled: 1-line block ×3, first 2 shown]
	v_add_nc_u32_e32 v98, 36, v23
	v_add_nc_u32_e32 v99, 40, v23
	v_lshrrev_b32_sdwa v22, v5, v9 dst_sel:BYTE_1 dst_unused:UNUSED_PAD src0_sel:DWORD src1_sel:DWORD
	v_add_nc_u32_e32 v9, 32, v23
	v_add_nc_u32_e32 v100, 44, v23
	v_add_nc_u32_e32 v101, 48, v23
	v_add_nc_u32_e32 v102, 52, v23
	v_add_nc_u32_e32 v103, 56, v23
	v_add_nc_u32_e32 v112, 60, v23
	v_and_b32_e32 v23, 0x3e0, v14
	v_xor_b32_sdwa v4, v20, v4 dst_sel:BYTE_1 dst_unused:UNUSED_PAD src0_sel:DWORD src1_sel:DWORD
	v_lshlrev_b32_e32 v20, 3, v14
	v_and_b32_e32 v24, 15, v30
	v_sub_co_u32 v27, s6, v30, 1
	v_min_u32_e32 v23, 0xe0, v23
	s_getpc_b64 s[4:5]
	s_add_u32 s4, s4, _ZN7rocprim17ROCPRIM_400000_NS16block_radix_sortIaLj256ELj8ElLj1ELj1ELj8ELNS0_26block_radix_rank_algorithmE2ELNS0_18block_padding_hintE2ELNS0_4arch9wavefront6targetE0EE19radix_bits_per_passE@rel32@lo+4
	s_addc_u32 s5, s5, _ZN7rocprim17ROCPRIM_400000_NS16block_radix_sortIaLj256ELj8ElLj1ELj1ELj8ELNS0_26block_radix_rank_algorithmE2ELNS0_18block_padding_hintE2ELNS0_4arch9wavefront6targetE0EE19radix_bits_per_passE@rel32@hi+12
	v_xor_b32_e32 v18, 0x80, v18
	v_lshrrev_b32_sdwa v21, v5, v21 dst_sel:BYTE_1 dst_unused:UNUSED_PAD src0_sel:DWORD src1_sel:DWORD
	s_load_dword s23, s[4:5], 0x0
	v_cmp_eq_u32_e32 vcc_lo, 0, v24
	v_cmp_lt_u32_e64 s4, 1, v24
	v_cmp_lt_u32_e64 s5, 3, v24
	v_and_b32_e32 v26, 16, v30
	v_cmp_lt_u32_e64 s7, 7, v24
	v_or_b32_e32 v23, 31, v23
	v_lshrrev_b32_e32 v24, 3, v14
	v_cmp_gt_i32_e64 s11, 0, v27
	v_and_or_b32 v20, 0x1f00, v20, v30
	v_lshrrev_b32_sdwa v5, v5, v19 dst_sel:BYTE_1 dst_unused:UNUSED_PAD src0_sel:DWORD src1_sel:DWORD
	v_xor_b32_e32 v17, 0x80, v17
	v_cmp_eq_u32_e64 s10, 0, v26
	v_cndmask_b32_e64 v26, v27, v30, s11
	v_cmp_eq_u32_e64 s11, v14, v23
	v_and_b32_e32 v23, 0x7c, v24
	v_add_nc_u32_e32 v118, v12, v20
	v_mul_u32_u24_e32 v20, 7, v20
	v_or_b32_sdwa v5, v18, v5 dst_sel:DWORD dst_unused:UNUSED_PAD src0_sel:BYTE_0 src1_sel:DWORD
	v_and_b32_e32 v24, 7, v30
	v_add_nc_u32_e32 v115, v12, v23
	v_perm_b32 v4, v17, v4, 0xc0c0104
	v_add_nc_u32_e32 v132, v118, v20
	v_and_b32_e32 v5, 0xffff, v5
	v_or_b32_sdwa v16, v16, v21 dst_sel:DWORD dst_unused:UNUSED_PAD src0_sel:BYTE_0 src1_sel:DWORD
	v_or_b32_sdwa v15, v15, v22 dst_sel:WORD_1 dst_unused:UNUSED_PAD src0_sel:BYTE_0 src1_sel:DWORD
	v_lshrrev_b32_e32 v113, 5, v25
	v_cmp_gt_u32_e64 s14, 8, v14
	v_cmp_lt_u32_e64 s15, 31, v14
	v_lshlrev_b32_e32 v114, 2, v26
	v_cmp_eq_u32_e64 s16, 0, v14
	v_mov_b32_e32 v116, 0
	v_lshl_add_u32 v117, v14, 2, v12
	v_cmp_eq_u32_e64 s17, 0, v24
	v_cmp_lt_u32_e64 s18, 1, v24
	v_cmp_lt_u32_e64 s19, 3, v24
	v_add_nc_u32_e32 v119, -4, v115
	v_add_nc_u32_e32 v128, 32, v118
	v_add_nc_u32_e32 v129, 64, v118
	;; [unrolled: 1-line block ×14, first 2 shown]
	v_lshl_or_b32 v4, v4, 16, v5
	v_or_b32_sdwa v87, v16, v15 dst_sel:DWORD dst_unused:UNUSED_PAD src0_sel:WORD_0 src1_sel:DWORD
	v_sub_nc_u32_e32 v151, v11, v10
	s_mov_b32 s24, 0
	s_waitcnt lgkmcnt(0)
	s_waitcnt_vscnt null, 0x0
	s_barrier
	buffer_gl0_inv
	s_branch .LBB398_180
.LBB398_179:                            ;   in Loop: Header=BB398_180 Depth=1
	s_or_b32 exec_lo, exec_lo, s21
	s_and_b32 s20, exec_lo, s26
	s_or_b32 s24, s20, s24
	s_andn2_b32 exec_lo, exec_lo, s24
	s_cbranch_execz .LBB398_236
.LBB398_180:                            ; =>This Inner Loop Header: Depth=1
	v_min_u32_e32 v5, s23, v151
	v_lshrrev_b32_sdwa v15, v10, v4 dst_sel:DWORD dst_unused:UNUSED_PAD src0_sel:DWORD src1_sel:BYTE_0
	v_mov_b32_e32 v26, v34
	v_mov_b32_e32 v27, v35
	v_mov_b32_e32 v21, v48
	v_lshlrev_b32_e64 v5, v5, -1
	v_mov_b32_e32 v22, v49
	v_mov_b32_e32 v23, v38
	;; [unrolled: 1-line block ×4, first 2 shown]
	v_not_b32_e32 v64, v5
	v_mov_b32_e32 v17, v52
	v_mov_b32_e32 v20, v51
	;; [unrolled: 1-line block ×3, first 2 shown]
	ds_write_b32 v9, v116
	ds_write_b32 v98, v116
	v_and_b32_e32 v5, v15, v64
	v_mov_b32_e32 v15, v54
	v_mov_b32_e32 v16, v55
	ds_write_b32 v99, v116
	ds_write_b32 v100, v116
	ds_write_b32 v101, v116
	v_and_b32_e32 v28, 1, v5
	v_lshlrev_b32_e32 v29, 30, v5
	v_lshlrev_b32_e32 v30, 29, v5
	;; [unrolled: 1-line block ×4, first 2 shown]
	v_add_co_u32 v28, s20, v28, -1
	v_cndmask_b32_e64 v34, 0, 1, s20
	v_not_b32_e32 v48, v29
	v_cmp_gt_i32_e64 s21, 0, v29
	v_not_b32_e32 v29, v30
	v_lshlrev_b32_e32 v38, 26, v5
	v_cmp_ne_u32_e64 s20, 0, v34
	v_ashrrev_i32_e32 v48, 31, v48
	v_lshlrev_b32_e32 v39, 25, v5
	v_ashrrev_i32_e32 v29, 31, v29
	v_lshlrev_b32_e32 v34, 24, v5
	v_xor_b32_e32 v28, s20, v28
	v_cmp_gt_i32_e64 s20, 0, v30
	v_not_b32_e32 v30, v31
	v_xor_b32_e32 v48, s21, v48
	v_cmp_gt_i32_e64 s21, 0, v31
	v_and_b32_e32 v28, exec_lo, v28
	v_not_b32_e32 v31, v35
	v_ashrrev_i32_e32 v30, 31, v30
	v_xor_b32_e32 v29, s20, v29
	v_cmp_gt_i32_e64 s20, 0, v35
	v_and_b32_e32 v28, v28, v48
	v_not_b32_e32 v35, v38
	v_ashrrev_i32_e32 v31, 31, v31
	v_xor_b32_e32 v30, s21, v30
	v_cmp_gt_i32_e64 s21, 0, v38
	v_and_b32_e32 v28, v28, v29
	;; [unrolled: 5-line block ×4, first 2 shown]
	v_mov_b32_e32 v28, v32
	v_mov_b32_e32 v29, v33
	v_ashrrev_i32_e32 v32, 31, v30
	v_xor_b32_e32 v33, s20, v38
	v_and_b32_e32 v34, v31, v35
	v_mov_b32_e32 v30, v36
	v_mov_b32_e32 v31, v37
	v_xor_b32_e32 v32, s21, v32
	ds_write_b32 v102, v116
	ds_write_b32 v103, v116
	v_and_b32_e32 v33, v34, v33
	v_lshlrev_b32_e32 v34, 3, v5
	ds_write_b32 v112, v116
	s_waitcnt lgkmcnt(0)
	s_barrier
	v_and_b32_e32 v5, v33, v32
	v_add_lshl_u32 v33, v34, v113, 2
	buffer_gl0_inv
	; wave barrier
	v_mbcnt_lo_u32_b32 v32, v5, 0
	v_add_co_u32 v33, null, v12, v33
	v_cmp_ne_u32_e64 s21, 0, v5
	v_cmp_eq_u32_e64 s20, 0, v32
	v_add_co_u32 v33, null, v33, 32
	s_and_b32 s21, s21, s20
	s_and_saveexec_b32 s20, s21
; %bb.181:                              ;   in Loop: Header=BB398_180 Depth=1
	v_bcnt_u32_b32 v5, v5, 0
	ds_write_b32 v33, v5
; %bb.182:                              ;   in Loop: Header=BB398_180 Depth=1
	s_or_b32 exec_lo, exec_lo, s20
	v_lshrrev_b32_sdwa v5, v10, v4 dst_sel:DWORD dst_unused:UNUSED_PAD src0_sel:DWORD src1_sel:BYTE_1
	; wave barrier
	v_and_b32_e32 v5, v5, v64
	v_and_b32_e32 v34, 1, v5
	v_lshlrev_b32_e32 v35, 30, v5
	v_lshlrev_b32_e32 v36, 29, v5
	;; [unrolled: 1-line block ×4, first 2 shown]
	v_add_co_u32 v34, s20, v34, -1
	v_cndmask_b32_e64 v38, 0, 1, s20
	v_not_b32_e32 v50, v35
	v_cmp_gt_i32_e64 s21, 0, v35
	v_not_b32_e32 v35, v36
	v_lshlrev_b32_e32 v48, 26, v5
	v_cmp_ne_u32_e64 s20, 0, v38
	v_ashrrev_i32_e32 v50, 31, v50
	v_lshlrev_b32_e32 v49, 25, v5
	v_ashrrev_i32_e32 v35, 31, v35
	v_lshlrev_b32_e32 v38, 24, v5
	v_xor_b32_e32 v34, s20, v34
	v_cmp_gt_i32_e64 s20, 0, v36
	v_not_b32_e32 v36, v37
	v_xor_b32_e32 v50, s21, v50
	v_cmp_gt_i32_e64 s21, 0, v37
	v_and_b32_e32 v34, exec_lo, v34
	v_not_b32_e32 v37, v39
	v_ashrrev_i32_e32 v36, 31, v36
	v_xor_b32_e32 v35, s20, v35
	v_cmp_gt_i32_e64 s20, 0, v39
	v_and_b32_e32 v34, v34, v50
	v_not_b32_e32 v39, v48
	v_ashrrev_i32_e32 v37, 31, v37
	v_xor_b32_e32 v36, s21, v36
	v_cmp_gt_i32_e64 s21, 0, v48
	v_and_b32_e32 v34, v34, v35
	;; [unrolled: 5-line block ×3, first 2 shown]
	v_not_b32_e32 v36, v38
	v_ashrrev_i32_e32 v35, 31, v35
	v_xor_b32_e32 v39, s21, v39
	v_lshl_add_u32 v5, v5, 3, v113
	v_and_b32_e32 v34, v34, v37
	v_cmp_gt_i32_e64 s21, 0, v38
	v_ashrrev_i32_e32 v36, 31, v36
	v_xor_b32_e32 v35, s20, v35
	v_lshl_add_u32 v38, v5, 2, v12
	v_and_b32_e32 v34, v34, v39
	v_xor_b32_e32 v5, s21, v36
	v_add_nc_u32_e32 v36, 32, v38
	v_and_b32_e32 v35, v34, v35
	ds_read_b32 v34, v38 offset:32
	; wave barrier
	v_and_b32_e32 v37, v35, v5
	v_mov_b32_e32 v5, v87
	v_mbcnt_lo_u32_b32 v35, v37, 0
	v_cmp_ne_u32_e64 s21, 0, v37
	v_cmp_eq_u32_e64 s20, 0, v35
	s_and_b32 s21, s21, s20
	s_and_saveexec_b32 s20, s21
	s_cbranch_execz .LBB398_184
; %bb.183:                              ;   in Loop: Header=BB398_180 Depth=1
	s_waitcnt lgkmcnt(0)
	v_bcnt_u32_b32 v37, v37, v34
	ds_write_b32 v36, v37
.LBB398_184:                            ;   in Loop: Header=BB398_180 Depth=1
	s_or_b32 exec_lo, exec_lo, s20
	v_lshrrev_b32_sdwa v37, v10, v4 dst_sel:DWORD dst_unused:UNUSED_PAD src0_sel:DWORD src1_sel:BYTE_2
	; wave barrier
	v_and_b32_e32 v37, v37, v64
	v_and_b32_e32 v38, 1, v37
	v_lshlrev_b32_e32 v39, 30, v37
	v_lshlrev_b32_e32 v48, 29, v37
	;; [unrolled: 1-line block ×4, first 2 shown]
	v_add_co_u32 v38, s20, v38, -1
	v_cndmask_b32_e64 v50, 0, 1, s20
	v_not_b32_e32 v54, v39
	v_cmp_gt_i32_e64 s21, 0, v39
	v_not_b32_e32 v39, v48
	v_lshlrev_b32_e32 v52, 26, v37
	v_cmp_ne_u32_e64 s20, 0, v50
	v_ashrrev_i32_e32 v54, 31, v54
	v_lshlrev_b32_e32 v53, 25, v37
	v_ashrrev_i32_e32 v39, 31, v39
	v_lshlrev_b32_e32 v50, 24, v37
	v_xor_b32_e32 v38, s20, v38
	v_cmp_gt_i32_e64 s20, 0, v48
	v_not_b32_e32 v48, v49
	v_xor_b32_e32 v54, s21, v54
	v_cmp_gt_i32_e64 s21, 0, v49
	v_and_b32_e32 v38, exec_lo, v38
	v_not_b32_e32 v49, v51
	v_ashrrev_i32_e32 v48, 31, v48
	v_xor_b32_e32 v39, s20, v39
	v_cmp_gt_i32_e64 s20, 0, v51
	v_and_b32_e32 v38, v38, v54
	v_not_b32_e32 v51, v52
	v_ashrrev_i32_e32 v49, 31, v49
	v_xor_b32_e32 v48, s21, v48
	v_cmp_gt_i32_e64 s21, 0, v52
	v_and_b32_e32 v38, v38, v39
	;; [unrolled: 5-line block ×3, first 2 shown]
	v_not_b32_e32 v48, v50
	v_ashrrev_i32_e32 v39, 31, v39
	v_xor_b32_e32 v51, s21, v51
	v_lshl_add_u32 v37, v37, 3, v113
	v_and_b32_e32 v38, v38, v49
	v_cmp_gt_i32_e64 s21, 0, v50
	v_ashrrev_i32_e32 v48, 31, v48
	v_xor_b32_e32 v39, s20, v39
	v_lshl_add_u32 v49, v37, 2, v12
	v_and_b32_e32 v38, v38, v51
	v_xor_b32_e32 v48, s21, v48
	ds_read_b32 v37, v49 offset:32
	v_and_b32_e32 v38, v38, v39
	v_add_nc_u32_e32 v39, 32, v49
	; wave barrier
	v_and_b32_e32 v48, v38, v48
	v_mbcnt_lo_u32_b32 v38, v48, 0
	v_cmp_ne_u32_e64 s21, 0, v48
	v_cmp_eq_u32_e64 s20, 0, v38
	s_and_b32 s21, s21, s20
	s_and_saveexec_b32 s20, s21
	s_cbranch_execz .LBB398_186
; %bb.185:                              ;   in Loop: Header=BB398_180 Depth=1
	s_waitcnt lgkmcnt(0)
	v_bcnt_u32_b32 v48, v48, v37
	ds_write_b32 v39, v48
.LBB398_186:                            ;   in Loop: Header=BB398_180 Depth=1
	s_or_b32 exec_lo, exec_lo, s20
	v_alignbit_b32 v48, v5, v4, 24
	; wave barrier
	v_lshrrev_b32_sdwa v48, v10, v48 dst_sel:DWORD dst_unused:UNUSED_PAD src0_sel:DWORD src1_sel:BYTE_0
	v_and_b32_e32 v48, v48, v64
	v_and_b32_e32 v49, 1, v48
	v_lshlrev_b32_e32 v50, 30, v48
	v_lshlrev_b32_e32 v51, 29, v48
	;; [unrolled: 1-line block ×4, first 2 shown]
	v_add_co_u32 v49, s20, v49, -1
	v_cndmask_b32_e64 v53, 0, 1, s20
	v_not_b32_e32 v66, v50
	v_cmp_gt_i32_e64 s21, 0, v50
	v_not_b32_e32 v50, v51
	v_lshlrev_b32_e32 v55, 26, v48
	v_cmp_ne_u32_e64 s20, 0, v53
	v_ashrrev_i32_e32 v66, 31, v66
	v_lshlrev_b32_e32 v65, 25, v48
	v_ashrrev_i32_e32 v50, 31, v50
	v_lshlrev_b32_e32 v53, 24, v48
	v_xor_b32_e32 v49, s20, v49
	v_cmp_gt_i32_e64 s20, 0, v51
	v_not_b32_e32 v51, v52
	v_xor_b32_e32 v66, s21, v66
	v_cmp_gt_i32_e64 s21, 0, v52
	v_and_b32_e32 v49, exec_lo, v49
	v_not_b32_e32 v52, v54
	v_ashrrev_i32_e32 v51, 31, v51
	v_xor_b32_e32 v50, s20, v50
	v_cmp_gt_i32_e64 s20, 0, v54
	v_and_b32_e32 v49, v49, v66
	v_not_b32_e32 v54, v55
	v_ashrrev_i32_e32 v52, 31, v52
	v_xor_b32_e32 v51, s21, v51
	v_cmp_gt_i32_e64 s21, 0, v55
	v_and_b32_e32 v49, v49, v50
	;; [unrolled: 5-line block ×3, first 2 shown]
	v_not_b32_e32 v51, v53
	v_ashrrev_i32_e32 v50, 31, v50
	v_xor_b32_e32 v54, s21, v54
	v_lshl_add_u32 v48, v48, 3, v113
	v_and_b32_e32 v49, v49, v52
	v_cmp_gt_i32_e64 s21, 0, v53
	v_ashrrev_i32_e32 v51, 31, v51
	v_xor_b32_e32 v50, s20, v50
	v_lshl_add_u32 v52, v48, 2, v12
	v_and_b32_e32 v49, v49, v54
	v_xor_b32_e32 v51, s21, v51
	ds_read_b32 v48, v52 offset:32
	v_and_b32_e32 v49, v49, v50
	v_add_nc_u32_e32 v50, 32, v52
	; wave barrier
	v_and_b32_e32 v51, v49, v51
	v_mbcnt_lo_u32_b32 v49, v51, 0
	v_cmp_ne_u32_e64 s21, 0, v51
	v_cmp_eq_u32_e64 s20, 0, v49
	s_and_b32 s21, s21, s20
	s_and_saveexec_b32 s20, s21
	s_cbranch_execz .LBB398_188
; %bb.187:                              ;   in Loop: Header=BB398_180 Depth=1
	s_waitcnt lgkmcnt(0)
	v_bcnt_u32_b32 v51, v51, v48
	ds_write_b32 v50, v51
.LBB398_188:                            ;   in Loop: Header=BB398_180 Depth=1
	s_or_b32 exec_lo, exec_lo, s20
	v_lshrrev_b32_sdwa v51, v10, v5 dst_sel:DWORD dst_unused:UNUSED_PAD src0_sel:DWORD src1_sel:BYTE_0
	; wave barrier
	v_and_b32_e32 v51, v51, v64
	v_and_b32_e32 v52, 1, v51
	v_lshlrev_b32_e32 v53, 30, v51
	v_lshlrev_b32_e32 v54, 29, v51
	v_lshlrev_b32_e32 v55, 28, v51
	v_lshlrev_b32_e32 v66, 27, v51
	v_add_co_u32 v52, s20, v52, -1
	v_cndmask_b32_e64 v65, 0, 1, s20
	v_not_b32_e32 v69, v53
	v_cmp_gt_i32_e64 s21, 0, v53
	v_not_b32_e32 v53, v54
	v_lshlrev_b32_e32 v67, 26, v51
	v_cmp_ne_u32_e64 s20, 0, v65
	v_ashrrev_i32_e32 v69, 31, v69
	v_lshlrev_b32_e32 v68, 25, v51
	v_ashrrev_i32_e32 v53, 31, v53
	v_lshlrev_b32_e32 v65, 24, v51
	v_xor_b32_e32 v52, s20, v52
	v_cmp_gt_i32_e64 s20, 0, v54
	v_not_b32_e32 v54, v55
	v_xor_b32_e32 v69, s21, v69
	v_cmp_gt_i32_e64 s21, 0, v55
	v_and_b32_e32 v52, exec_lo, v52
	v_not_b32_e32 v55, v66
	v_ashrrev_i32_e32 v54, 31, v54
	v_xor_b32_e32 v53, s20, v53
	v_cmp_gt_i32_e64 s20, 0, v66
	v_and_b32_e32 v52, v52, v69
	v_not_b32_e32 v66, v67
	v_ashrrev_i32_e32 v55, 31, v55
	v_xor_b32_e32 v54, s21, v54
	v_cmp_gt_i32_e64 s21, 0, v67
	v_and_b32_e32 v52, v52, v53
	;; [unrolled: 5-line block ×3, first 2 shown]
	v_not_b32_e32 v54, v65
	v_ashrrev_i32_e32 v53, 31, v53
	v_xor_b32_e32 v66, s21, v66
	v_lshl_add_u32 v51, v51, 3, v113
	v_and_b32_e32 v52, v52, v55
	v_cmp_gt_i32_e64 s21, 0, v65
	v_ashrrev_i32_e32 v54, 31, v54
	v_xor_b32_e32 v53, s20, v53
	v_lshl_add_u32 v55, v51, 2, v12
	v_and_b32_e32 v52, v52, v66
	v_xor_b32_e32 v54, s21, v54
	ds_read_b32 v51, v55 offset:32
	v_and_b32_e32 v52, v52, v53
	v_add_nc_u32_e32 v53, 32, v55
	; wave barrier
	v_and_b32_e32 v54, v52, v54
	v_mbcnt_lo_u32_b32 v52, v54, 0
	v_cmp_ne_u32_e64 s21, 0, v54
	v_cmp_eq_u32_e64 s20, 0, v52
	s_and_b32 s21, s21, s20
	s_and_saveexec_b32 s20, s21
	s_cbranch_execz .LBB398_190
; %bb.189:                              ;   in Loop: Header=BB398_180 Depth=1
	s_waitcnt lgkmcnt(0)
	v_bcnt_u32_b32 v54, v54, v51
	ds_write_b32 v53, v54
.LBB398_190:                            ;   in Loop: Header=BB398_180 Depth=1
	s_or_b32 exec_lo, exec_lo, s20
	v_lshrrev_b32_sdwa v54, v10, v5 dst_sel:DWORD dst_unused:UNUSED_PAD src0_sel:DWORD src1_sel:BYTE_1
	; wave barrier
	v_and_b32_e32 v54, v54, v64
	v_and_b32_e32 v55, 1, v54
	v_lshlrev_b32_e32 v65, 30, v54
	v_lshlrev_b32_e32 v66, 29, v54
	;; [unrolled: 1-line block ×4, first 2 shown]
	v_add_co_u32 v55, s20, v55, -1
	v_cndmask_b32_e64 v68, 0, 1, s20
	v_not_b32_e32 v80, v65
	v_cmp_gt_i32_e64 s21, 0, v65
	v_not_b32_e32 v65, v66
	v_lshlrev_b32_e32 v70, 26, v54
	v_cmp_ne_u32_e64 s20, 0, v68
	v_ashrrev_i32_e32 v80, 31, v80
	v_lshlrev_b32_e32 v71, 25, v54
	v_ashrrev_i32_e32 v65, 31, v65
	v_lshlrev_b32_e32 v68, 24, v54
	v_xor_b32_e32 v55, s20, v55
	v_cmp_gt_i32_e64 s20, 0, v66
	v_not_b32_e32 v66, v67
	v_xor_b32_e32 v80, s21, v80
	v_cmp_gt_i32_e64 s21, 0, v67
	v_and_b32_e32 v55, exec_lo, v55
	v_not_b32_e32 v67, v69
	v_ashrrev_i32_e32 v66, 31, v66
	v_xor_b32_e32 v65, s20, v65
	v_cmp_gt_i32_e64 s20, 0, v69
	v_and_b32_e32 v55, v55, v80
	v_not_b32_e32 v69, v70
	v_ashrrev_i32_e32 v67, 31, v67
	v_xor_b32_e32 v66, s21, v66
	v_cmp_gt_i32_e64 s21, 0, v70
	v_and_b32_e32 v55, v55, v65
	;; [unrolled: 5-line block ×3, first 2 shown]
	v_not_b32_e32 v66, v68
	v_ashrrev_i32_e32 v65, 31, v65
	v_xor_b32_e32 v69, s21, v69
	v_lshl_add_u32 v54, v54, 3, v113
	v_and_b32_e32 v55, v55, v67
	v_cmp_gt_i32_e64 s21, 0, v68
	v_ashrrev_i32_e32 v66, 31, v66
	v_xor_b32_e32 v65, s20, v65
	v_lshl_add_u32 v67, v54, 2, v12
	v_and_b32_e32 v55, v55, v69
	v_xor_b32_e32 v66, s21, v66
	ds_read_b32 v54, v67 offset:32
	v_and_b32_e32 v55, v55, v65
	v_add_nc_u32_e32 v65, 32, v67
	; wave barrier
	v_and_b32_e32 v66, v55, v66
	v_mbcnt_lo_u32_b32 v55, v66, 0
	v_cmp_ne_u32_e64 s21, 0, v66
	v_cmp_eq_u32_e64 s20, 0, v55
	s_and_b32 s21, s21, s20
	s_and_saveexec_b32 s20, s21
	s_cbranch_execz .LBB398_192
; %bb.191:                              ;   in Loop: Header=BB398_180 Depth=1
	s_waitcnt lgkmcnt(0)
	v_bcnt_u32_b32 v66, v66, v54
	ds_write_b32 v65, v66
.LBB398_192:                            ;   in Loop: Header=BB398_180 Depth=1
	s_or_b32 exec_lo, exec_lo, s20
	v_lshrrev_b32_sdwa v66, v10, v5 dst_sel:DWORD dst_unused:UNUSED_PAD src0_sel:DWORD src1_sel:BYTE_2
	; wave barrier
	v_and_b32_e32 v66, v66, v64
	v_and_b32_e32 v67, 1, v66
	v_lshlrev_b32_e32 v68, 30, v66
	v_lshlrev_b32_e32 v69, 29, v66
	;; [unrolled: 1-line block ×4, first 2 shown]
	v_add_co_u32 v67, s20, v67, -1
	v_cndmask_b32_e64 v71, 0, 1, s20
	v_not_b32_e32 v83, v68
	v_cmp_gt_i32_e64 s21, 0, v68
	v_not_b32_e32 v68, v69
	v_lshlrev_b32_e32 v81, 26, v66
	v_cmp_ne_u32_e64 s20, 0, v71
	v_ashrrev_i32_e32 v83, 31, v83
	v_lshlrev_b32_e32 v82, 25, v66
	v_ashrrev_i32_e32 v68, 31, v68
	v_lshlrev_b32_e32 v71, 24, v66
	v_xor_b32_e32 v67, s20, v67
	v_cmp_gt_i32_e64 s20, 0, v69
	v_not_b32_e32 v69, v70
	v_xor_b32_e32 v83, s21, v83
	v_cmp_gt_i32_e64 s21, 0, v70
	v_and_b32_e32 v67, exec_lo, v67
	v_not_b32_e32 v70, v80
	v_ashrrev_i32_e32 v69, 31, v69
	v_xor_b32_e32 v68, s20, v68
	v_cmp_gt_i32_e64 s20, 0, v80
	v_and_b32_e32 v67, v67, v83
	v_not_b32_e32 v80, v81
	v_ashrrev_i32_e32 v70, 31, v70
	v_xor_b32_e32 v69, s21, v69
	v_cmp_gt_i32_e64 s21, 0, v81
	v_and_b32_e32 v67, v67, v68
	;; [unrolled: 5-line block ×3, first 2 shown]
	v_not_b32_e32 v69, v71
	v_ashrrev_i32_e32 v68, 31, v68
	v_xor_b32_e32 v80, s21, v80
	v_lshl_add_u32 v66, v66, 3, v113
	v_and_b32_e32 v67, v67, v70
	v_cmp_gt_i32_e64 s21, 0, v71
	v_ashrrev_i32_e32 v69, 31, v69
	v_xor_b32_e32 v68, s20, v68
	v_lshl_add_u32 v70, v66, 2, v12
	v_and_b32_e32 v67, v67, v80
	v_xor_b32_e32 v69, s21, v69
	ds_read_b32 v66, v70 offset:32
	v_and_b32_e32 v67, v67, v68
	v_add_nc_u32_e32 v68, 32, v70
	; wave barrier
	v_and_b32_e32 v69, v67, v69
	v_mbcnt_lo_u32_b32 v67, v69, 0
	v_cmp_ne_u32_e64 s21, 0, v69
	v_cmp_eq_u32_e64 s20, 0, v67
	s_and_b32 s21, s21, s20
	s_and_saveexec_b32 s20, s21
	s_cbranch_execz .LBB398_194
; %bb.193:                              ;   in Loop: Header=BB398_180 Depth=1
	s_waitcnt lgkmcnt(0)
	v_bcnt_u32_b32 v69, v69, v66
	ds_write_b32 v68, v69
.LBB398_194:                            ;   in Loop: Header=BB398_180 Depth=1
	s_or_b32 exec_lo, exec_lo, s20
	v_lshrrev_b32_e32 v160, 24, v5
	; wave barrier
	v_lshrrev_b32_e32 v69, v10, v160
	v_and_b32_e32 v64, v69, v64
	v_and_b32_e32 v69, 1, v64
	v_lshlrev_b32_e32 v70, 30, v64
	v_lshlrev_b32_e32 v71, 29, v64
	;; [unrolled: 1-line block ×4, first 2 shown]
	v_add_co_u32 v69, s20, v69, -1
	v_cndmask_b32_e64 v81, 0, 1, s20
	v_not_b32_e32 v85, v70
	v_cmp_gt_i32_e64 s21, 0, v70
	v_not_b32_e32 v70, v71
	v_lshlrev_b32_e32 v83, 26, v64
	v_cmp_ne_u32_e64 s20, 0, v81
	v_ashrrev_i32_e32 v85, 31, v85
	v_lshlrev_b32_e32 v84, 25, v64
	v_ashrrev_i32_e32 v70, 31, v70
	v_lshlrev_b32_e32 v81, 24, v64
	v_xor_b32_e32 v69, s20, v69
	v_cmp_gt_i32_e64 s20, 0, v71
	v_not_b32_e32 v71, v80
	v_xor_b32_e32 v85, s21, v85
	v_cmp_gt_i32_e64 s21, 0, v80
	v_and_b32_e32 v69, exec_lo, v69
	v_not_b32_e32 v80, v82
	v_ashrrev_i32_e32 v71, 31, v71
	v_xor_b32_e32 v70, s20, v70
	v_cmp_gt_i32_e64 s20, 0, v82
	v_and_b32_e32 v69, v69, v85
	v_not_b32_e32 v82, v83
	v_ashrrev_i32_e32 v80, 31, v80
	v_xor_b32_e32 v71, s21, v71
	v_cmp_gt_i32_e64 s21, 0, v83
	v_and_b32_e32 v69, v69, v70
	;; [unrolled: 5-line block ×3, first 2 shown]
	v_not_b32_e32 v71, v81
	v_ashrrev_i32_e32 v70, 31, v70
	v_xor_b32_e32 v82, s21, v82
	v_lshl_add_u32 v64, v64, 3, v113
	v_and_b32_e32 v69, v69, v80
	v_cmp_gt_i32_e64 s21, 0, v81
	v_ashrrev_i32_e32 v71, 31, v71
	v_xor_b32_e32 v70, s20, v70
	v_lshl_add_u32 v80, v64, 2, v12
	v_and_b32_e32 v69, v69, v82
	v_xor_b32_e32 v71, s21, v71
	ds_read_b32 v64, v80 offset:32
	v_and_b32_e32 v69, v69, v70
	v_add_nc_u32_e32 v70, 32, v80
	; wave barrier
	v_and_b32_e32 v71, v69, v71
	v_mbcnt_lo_u32_b32 v69, v71, 0
	v_cmp_ne_u32_e64 s21, 0, v71
	v_cmp_eq_u32_e64 s20, 0, v69
	s_and_b32 s21, s21, s20
	s_and_saveexec_b32 s20, s21
	s_cbranch_execz .LBB398_196
; %bb.195:                              ;   in Loop: Header=BB398_180 Depth=1
	s_waitcnt lgkmcnt(0)
	v_bcnt_u32_b32 v71, v71, v64
	ds_write_b32 v70, v71
.LBB398_196:                            ;   in Loop: Header=BB398_180 Depth=1
	s_or_b32 exec_lo, exec_lo, s20
	; wave barrier
	s_waitcnt lgkmcnt(0)
	s_barrier
	buffer_gl0_inv
	ds_read_b32 v80, v9
	ds_read_b32 v81, v98
	;; [unrolled: 1-line block ×8, first 2 shown]
	s_waitcnt lgkmcnt(6)
	v_add_nc_u32_e32 v87, v81, v80
	s_waitcnt lgkmcnt(4)
	v_add3_u32 v87, v87, v82, v83
	s_waitcnt lgkmcnt(2)
	v_add3_u32 v87, v87, v84, v85
	;; [unrolled: 2-line block ×3, first 2 shown]
	v_mov_b32_dpp v87, v86 row_shr:1 row_mask:0xf bank_mask:0xf
	v_cndmask_b32_e64 v87, v87, 0, vcc_lo
	v_add_nc_u32_e32 v86, v87, v86
	v_mov_b32_dpp v87, v86 row_shr:2 row_mask:0xf bank_mask:0xf
	v_cndmask_b32_e64 v87, 0, v87, s4
	v_add_nc_u32_e32 v86, v86, v87
	v_mov_b32_dpp v87, v86 row_shr:4 row_mask:0xf bank_mask:0xf
	v_cndmask_b32_e64 v87, 0, v87, s5
	;; [unrolled: 3-line block ×3, first 2 shown]
	v_add_nc_u32_e32 v86, v86, v87
	ds_swizzle_b32 v87, v86 offset:swizzle(BROADCAST,32,15)
	s_waitcnt lgkmcnt(0)
	v_cndmask_b32_e64 v87, v87, 0, s10
	v_add_nc_u32_e32 v86, v86, v87
	s_and_saveexec_b32 s20, s11
; %bb.197:                              ;   in Loop: Header=BB398_180 Depth=1
	ds_write_b32 v115, v86
; %bb.198:                              ;   in Loop: Header=BB398_180 Depth=1
	s_or_b32 exec_lo, exec_lo, s20
	s_waitcnt lgkmcnt(0)
	s_barrier
	buffer_gl0_inv
	s_and_saveexec_b32 s20, s14
	s_cbranch_execz .LBB398_200
; %bb.199:                              ;   in Loop: Header=BB398_180 Depth=1
	ds_read_b32 v87, v117
	s_waitcnt lgkmcnt(0)
	v_mov_b32_dpp v96, v87 row_shr:1 row_mask:0xf bank_mask:0xf
	v_cndmask_b32_e64 v96, v96, 0, s17
	v_add_nc_u32_e32 v87, v96, v87
	v_mov_b32_dpp v96, v87 row_shr:2 row_mask:0xf bank_mask:0xf
	v_cndmask_b32_e64 v96, 0, v96, s18
	v_add_nc_u32_e32 v87, v87, v96
	;; [unrolled: 3-line block ×3, first 2 shown]
	ds_write_b32 v117, v87
.LBB398_200:                            ;   in Loop: Header=BB398_180 Depth=1
	s_or_b32 exec_lo, exec_lo, s20
	v_mov_b32_e32 v87, 0
	s_waitcnt lgkmcnt(0)
	s_barrier
	buffer_gl0_inv
	s_and_saveexec_b32 s20, s15
; %bb.201:                              ;   in Loop: Header=BB398_180 Depth=1
	ds_read_b32 v87, v119
; %bb.202:                              ;   in Loop: Header=BB398_180 Depth=1
	s_or_b32 exec_lo, exec_lo, s20
	s_waitcnt lgkmcnt(0)
	v_add_nc_u32_e32 v86, v87, v86
	v_add_nc_u32_e32 v10, 8, v10
	v_mov_b32_e32 v177, v4
	v_lshrrev_b32_e32 v178, 8, v4
	v_lshrrev_b32_e32 v181, 16, v4
	ds_bpermute_b32 v86, v114, v86
	v_lshrrev_b32_e32 v179, 8, v5
	v_lshrrev_b32_e32 v180, 16, v5
	v_cmp_lt_u32_e64 s20, v10, v11
	s_mov_b32 s26, -1
	s_waitcnt lgkmcnt(0)
	v_cndmask_b32_e64 v86, v86, v87, s6
	v_cndmask_b32_e64 v86, v86, 0, s16
	v_add_nc_u32_e32 v80, v86, v80
	v_add_nc_u32_e32 v81, v80, v81
	ds_write_b32 v9, v86
	ds_write_b32 v98, v80
	;; [unrolled: 1-line block ×3, first 2 shown]
	v_lshrrev_b64 v[86:87], 24, v[4:5]
	v_add_nc_u32_e32 v82, v81, v82
                                        ; implicit-def: $vgpr87
	v_add_nc_u32_e32 v83, v82, v83
	v_add_nc_u32_e32 v84, v83, v84
	;; [unrolled: 1-line block ×4, first 2 shown]
	ds_write_b32 v100, v82
	ds_write_b32 v101, v83
	;; [unrolled: 1-line block ×5, first 2 shown]
	s_waitcnt lgkmcnt(0)
	s_barrier
	buffer_gl0_inv
	ds_read_b32 v33, v33
	ds_read_b32 v36, v36
	;; [unrolled: 1-line block ×8, first 2 shown]
	s_waitcnt lgkmcnt(0)
	v_add_nc_u32_e32 v176, v33, v32
	v_add3_u32 v167, v35, v34, v36
	v_add3_u32 v166, v38, v37, v39
	;; [unrolled: 1-line block ×6, first 2 shown]
	v_add_co_u32 v68, s21, v12, v176
	v_add3_u32 v161, v69, v64, v70
	v_add_co_ci_u32_e64 v69, null, 0, v13, s21
	v_add_co_u32 v80, s21, v12, v167
	v_add_co_ci_u32_e64 v81, null, 0, v13, s21
	v_add_co_u32 v64, s21, v12, v166
	;; [unrolled: 2-line block ×7, first 2 shown]
	v_add_co_ci_u32_e64 v97, null, 0, v13, s21
                                        ; implicit-def: $vgpr34_vgpr35
                                        ; implicit-def: $vgpr38_vgpr39
                                        ; implicit-def: $vgpr48_vgpr49
                                        ; implicit-def: $vgpr50_vgpr51
                                        ; implicit-def: $vgpr52_vgpr53
                                        ; implicit-def: $vgpr54_vgpr55
                                        ; implicit-def: $vgpr32_vgpr33
                                        ; implicit-def: $vgpr36_vgpr37
	s_and_saveexec_b32 s21, s20
	s_cbranch_execz .LBB398_179
; %bb.203:                              ;   in Loop: Header=BB398_180 Depth=1
	v_mad_u64_u32 v[32:33], null, v176, 7, v[68:69]
	v_mad_u64_u32 v[33:34], null, v167, 7, v[80:81]
	;; [unrolled: 1-line block ×4, first 2 shown]
	s_barrier
	buffer_gl0_inv
	ds_write_b8 v68, v4
	ds_write_b8 v80, v178
	;; [unrolled: 1-line block ×8, first 2 shown]
	s_waitcnt lgkmcnt(0)
	s_barrier
	buffer_gl0_inv
	ds_read_u8 v4, v130
	ds_read_u8 v87, v129
	;; [unrolled: 1-line block ×8, first 2 shown]
	v_mad_u64_u32 v[36:37], null, v164, 7, v[70:71]
	v_mad_u64_u32 v[37:38], null, v163, 7, v[82:83]
	v_mad_u64_u32 v[38:39], null, v162, 7, v[84:85]
	v_mad_u64_u32 v[48:49], null, v161, 7, v[96:97]
	s_waitcnt lgkmcnt(0)
	s_barrier
	buffer_gl0_inv
	ds_write_b64 v32, v[26:27]
	ds_write_b64 v33, v[23:24]
	;; [unrolled: 1-line block ×8, first 2 shown]
	s_waitcnt lgkmcnt(0)
	s_barrier
	buffer_gl0_inv
	ds_read_b64 v[34:35], v132
	ds_read_b64 v[38:39], v144
	;; [unrolled: 1-line block ×8, first 2 shown]
	v_perm_b32 v182, v183, v182, 0xc0c0004
	v_perm_b32 v4, v87, v4, 0xc0c0004
	;; [unrolled: 1-line block ×4, first 2 shown]
	v_add_nc_u32_e32 v151, -8, v151
	s_xor_b32 s26, exec_lo, -1
	v_lshl_or_b32 v4, v4, 16, v182
	s_waitcnt lgkmcnt(0)
	v_lshl_or_b32 v87, v183, 16, v87
	s_barrier
	buffer_gl0_inv
	s_branch .LBB398_179
.LBB398_204:
	flat_load_dwordx2 v[82:83], v[4:5]
	s_or_b32 exec_lo, exec_lo, s24
                                        ; implicit-def: $vgpr84_vgpr85
	s_and_saveexec_b32 s24, s4
	s_cbranch_execz .LBB398_38
.LBB398_205:
	flat_load_dwordx2 v[84:85], v[4:5] offset:256
	s_or_b32 exec_lo, exec_lo, s24
                                        ; implicit-def: $vgpr86_vgpr87
	s_and_saveexec_b32 s4, s5
	s_cbranch_execz .LBB398_39
.LBB398_206:
	flat_load_dwordx2 v[86:87], v[4:5] offset:512
	s_or_b32 exec_lo, exec_lo, s4
                                        ; implicit-def: $vgpr96_vgpr97
	s_and_saveexec_b32 s4, s6
	s_cbranch_execz .LBB398_40
.LBB398_207:
	flat_load_dwordx2 v[96:97], v[4:5] offset:768
	s_or_b32 exec_lo, exec_lo, s4
                                        ; implicit-def: $vgpr98_vgpr99
	s_and_saveexec_b32 s4, s7
	s_cbranch_execz .LBB398_41
.LBB398_208:
	flat_load_dwordx2 v[98:99], v[4:5] offset:1024
	s_or_b32 exec_lo, exec_lo, s4
                                        ; implicit-def: $vgpr100_vgpr101
	s_and_saveexec_b32 s4, s10
	s_cbranch_execz .LBB398_42
.LBB398_209:
	flat_load_dwordx2 v[100:101], v[4:5] offset:1280
	s_or_b32 exec_lo, exec_lo, s4
                                        ; implicit-def: $vgpr102_vgpr103
	s_and_saveexec_b32 s4, s11
	s_cbranch_execz .LBB398_43
.LBB398_210:
	flat_load_dwordx2 v[102:103], v[4:5] offset:1536
	s_or_b32 exec_lo, exec_lo, s4
                                        ; implicit-def: $vgpr112_vgpr113
	s_and_saveexec_b32 s4, s14
	s_cbranch_execz .LBB398_44
.LBB398_211:
	flat_load_dwordx2 v[112:113], v[4:5] offset:1792
	s_or_b32 exec_lo, exec_lo, s4
                                        ; implicit-def: $vgpr114_vgpr115
	s_and_saveexec_b32 s4, s15
	s_cbranch_execz .LBB398_45
.LBB398_212:
	v_add_co_u32 v15, vcc_lo, 0x800, v4
	v_add_co_ci_u32_e64 v16, null, 0, v5, vcc_lo
	flat_load_dwordx2 v[114:115], v[15:16]
	s_or_b32 exec_lo, exec_lo, s4
                                        ; implicit-def: $vgpr116_vgpr117
	s_and_saveexec_b32 s4, s16
	s_cbranch_execz .LBB398_46
.LBB398_213:
	v_add_co_u32 v15, vcc_lo, 0x800, v4
	v_add_co_ci_u32_e64 v16, null, 0, v5, vcc_lo
	flat_load_dwordx2 v[116:117], v[15:16] offset:256
	s_or_b32 exec_lo, exec_lo, s4
                                        ; implicit-def: $vgpr130_vgpr131
	s_and_saveexec_b32 s4, s17
	s_cbranch_execz .LBB398_47
.LBB398_214:
	v_add_co_u32 v15, vcc_lo, 0x800, v4
	v_add_co_ci_u32_e64 v16, null, 0, v5, vcc_lo
	flat_load_dwordx2 v[130:131], v[15:16] offset:512
	s_or_b32 exec_lo, exec_lo, s4
                                        ; implicit-def: $vgpr134_vgpr135
	s_and_saveexec_b32 s4, s18
	s_cbranch_execz .LBB398_48
.LBB398_215:
	v_add_co_u32 v15, vcc_lo, 0x800, v4
	v_add_co_ci_u32_e64 v16, null, 0, v5, vcc_lo
	flat_load_dwordx2 v[134:135], v[15:16] offset:768
	s_or_b32 exec_lo, exec_lo, s4
                                        ; implicit-def: $vgpr146_vgpr147
	s_and_saveexec_b32 s4, s19
	s_cbranch_execz .LBB398_49
.LBB398_216:
	v_add_co_u32 v15, vcc_lo, 0x800, v4
	v_add_co_ci_u32_e64 v16, null, 0, v5, vcc_lo
	flat_load_dwordx2 v[146:147], v[15:16] offset:1024
	s_or_b32 exec_lo, exec_lo, s4
                                        ; implicit-def: $vgpr118_vgpr119
	s_and_saveexec_b32 s4, s20
	s_cbranch_execz .LBB398_50
.LBB398_217:
	v_add_co_u32 v15, vcc_lo, 0x800, v4
	v_add_co_ci_u32_e64 v16, null, 0, v5, vcc_lo
	flat_load_dwordx2 v[118:119], v[15:16] offset:1280
	s_or_b32 exec_lo, exec_lo, s4
                                        ; implicit-def: $vgpr128_vgpr129
	s_and_saveexec_b32 s4, s21
	s_cbranch_execz .LBB398_51
.LBB398_218:
	v_add_co_u32 v15, vcc_lo, 0x800, v4
	v_add_co_ci_u32_e64 v16, null, 0, v5, vcc_lo
	flat_load_dwordx2 v[128:129], v[15:16] offset:1536
	s_or_b32 exec_lo, exec_lo, s4
                                        ; implicit-def: $vgpr132_vgpr133
	s_and_saveexec_b32 s4, s22
	s_cbranch_execz .LBB398_52
.LBB398_219:
	v_add_co_u32 v15, vcc_lo, 0x800, v4
	v_add_co_ci_u32_e64 v16, null, 0, v5, vcc_lo
	flat_load_dwordx2 v[132:133], v[15:16] offset:1792
	s_or_b32 exec_lo, exec_lo, s4
                                        ; implicit-def: $vgpr144_vgpr145
	s_and_saveexec_b32 s4, s23
	s_cbranch_execnz .LBB398_53
	s_branch .LBB398_54
.LBB398_220:
	flat_store_dwordx2 v[0:1], v[48:49]
	s_or_b32 exec_lo, exec_lo, s24
	s_and_saveexec_b32 s24, s17
	s_cbranch_execz .LBB398_134
.LBB398_221:
	v_add_co_u32 v2, s4, 0x800, v0
	v_add_co_ci_u32_e64 v3, null, 0, v1, s4
	flat_store_dwordx2 v[2:3], v[50:51]
	s_or_b32 exec_lo, exec_lo, s24
	s_and_saveexec_b32 s17, s15
	s_cbranch_execz .LBB398_135
.LBB398_222:
	v_add_co_u32 v2, s4, 0x1000, v0
	v_add_co_ci_u32_e64 v3, null, 0, v1, s4
	flat_store_dwordx2 v[2:3], v[33:34]
	s_or_b32 exec_lo, exec_lo, s17
	s_and_saveexec_b32 s15, s14
	s_cbranch_execz .LBB398_136
.LBB398_223:
	v_add_co_u32 v2, s4, 0x1800, v0
	v_add_co_ci_u32_e64 v3, null, 0, v1, s4
	flat_store_dwordx2 v[2:3], v[35:36]
	s_or_b32 exec_lo, exec_lo, s15
	s_and_saveexec_b32 s14, s11
	s_cbranch_execz .LBB398_137
.LBB398_224:
	v_add_co_u32 v2, s4, 0x2000, v0
	v_add_co_ci_u32_e64 v3, null, 0, v1, s4
	flat_store_dwordx2 v[2:3], v[29:30]
	s_or_b32 exec_lo, exec_lo, s14
	s_and_saveexec_b32 s11, s7
	s_cbranch_execz .LBB398_138
.LBB398_225:
	v_add_co_u32 v2, s4, 0x2800, v0
	v_add_co_ci_u32_e64 v3, null, 0, v1, s4
	flat_store_dwordx2 v[2:3], v[31:32]
	s_or_b32 exec_lo, exec_lo, s11
	s_and_saveexec_b32 s7, s6
	s_cbranch_execz .LBB398_139
.LBB398_226:
	v_add_co_u32 v2, s4, 0x3000, v0
	v_add_co_ci_u32_e64 v3, null, 0, v1, s4
	flat_store_dwordx2 v[2:3], v[25:26]
	s_or_b32 exec_lo, exec_lo, s7
	s_and_saveexec_b32 s6, s5
	s_cbranch_execz .LBB398_140
.LBB398_227:
	v_add_co_u32 v2, s4, 0x3800, v0
	v_add_co_ci_u32_e64 v3, null, 0, v1, s4
	flat_store_dwordx2 v[2:3], v[27:28]
	s_or_b32 exec_lo, exec_lo, s6
	s_and_saveexec_b32 s4, vcc_lo
	s_cbranch_execz .LBB398_141
.LBB398_228:
	v_add_co_u32 v2, vcc_lo, 0x4000, v0
	v_add_co_ci_u32_e64 v3, null, 0, v1, vcc_lo
	flat_store_dwordx2 v[2:3], v[21:22]
	s_or_b32 exec_lo, exec_lo, s4
	s_and_saveexec_b32 s4, s10
	s_cbranch_execz .LBB398_142
.LBB398_229:
	v_add_co_u32 v2, vcc_lo, 0x4800, v0
	v_add_co_ci_u32_e64 v3, null, 0, v1, vcc_lo
	flat_store_dwordx2 v[2:3], v[23:24]
	s_or_b32 exec_lo, exec_lo, s4
	s_and_saveexec_b32 s4, s16
	s_cbranch_execz .LBB398_143
.LBB398_230:
	v_add_co_u32 v2, vcc_lo, 0x5000, v0
	v_add_co_ci_u32_e64 v3, null, 0, v1, vcc_lo
	flat_store_dwordx2 v[2:3], v[17:18]
	s_or_b32 exec_lo, exec_lo, s4
	s_and_saveexec_b32 s4, s18
	s_cbranch_execz .LBB398_144
.LBB398_231:
	v_add_co_u32 v2, vcc_lo, 0x5800, v0
	v_add_co_ci_u32_e64 v3, null, 0, v1, vcc_lo
	flat_store_dwordx2 v[2:3], v[19:20]
	s_or_b32 exec_lo, exec_lo, s4
	s_and_saveexec_b32 s4, s19
	s_cbranch_execz .LBB398_145
.LBB398_232:
	v_add_co_u32 v2, vcc_lo, 0x6000, v0
	v_add_co_ci_u32_e64 v3, null, 0, v1, vcc_lo
	flat_store_dwordx2 v[2:3], v[13:14]
	s_or_b32 exec_lo, exec_lo, s4
	s_and_saveexec_b32 s4, s20
	s_cbranch_execz .LBB398_146
.LBB398_233:
	v_add_co_u32 v2, vcc_lo, 0x6800, v0
	v_add_co_ci_u32_e64 v3, null, 0, v1, vcc_lo
	flat_store_dwordx2 v[2:3], v[15:16]
	s_or_b32 exec_lo, exec_lo, s4
	s_and_saveexec_b32 s4, s21
	s_cbranch_execz .LBB398_147
.LBB398_234:
	v_add_co_u32 v2, vcc_lo, 0x7000, v0
	v_add_co_ci_u32_e64 v3, null, 0, v1, vcc_lo
	flat_store_dwordx2 v[2:3], v[9:10]
	s_or_b32 exec_lo, exec_lo, s4
	s_and_saveexec_b32 s4, s22
	s_cbranch_execz .LBB398_148
.LBB398_235:
	v_add_co_u32 v2, vcc_lo, 0x7800, v0
	v_add_co_ci_u32_e64 v3, null, 0, v1, vcc_lo
	flat_store_dwordx2 v[2:3], v[11:12]
	s_or_b32 exec_lo, exec_lo, s4
	s_and_saveexec_b32 s4, s23
	s_cbranch_execnz .LBB398_149
	s_branch .LBB398_150
.LBB398_236:
	s_or_b32 exec_lo, exec_lo, s24
	v_mad_u64_u32 v[9:10], null, v176, 7, v[68:69]
	v_mad_u64_u32 v[10:11], null, v167, 7, v[80:81]
	v_add_nc_u32_e32 v38, v12, v14
	s_barrier
	buffer_gl0_inv
	ds_write_b8 v68, v177
	ds_write_b8 v80, v178
	;; [unrolled: 1-line block ×8, first 2 shown]
	s_waitcnt lgkmcnt(0)
	s_barrier
	buffer_gl0_inv
	ds_read_u8 v37, v38
	ds_read_u8 v36, v38 offset:256
	ds_read_u8 v35, v38 offset:512
	;; [unrolled: 1-line block ×7, first 2 shown]
	s_waitcnt lgkmcnt(0)
	s_barrier
	buffer_gl0_inv
	ds_write_b64 v9, v[26:27]
	ds_write_b64 v10, v[23:24]
	v_mad_u64_u32 v[9:10], null, v166, 7, v[64:65]
	v_mad_u64_u32 v[10:11], null, v165, 7, v[66:67]
	v_mad_u64_u32 v[26:27], null, v161, 7, v[96:97]
	v_mad_u64_u32 v[11:12], null, v164, 7, v[70:71]
	ds_write_b64 v9, v[21:22]
	v_mul_u32_u24_e32 v9, 7, v14
	v_mad_u64_u32 v[12:13], null, v163, 7, v[82:83]
	v_mad_u64_u32 v[23:24], null, v162, 7, v[84:85]
	v_add_nc_u32_e32 v9, v38, v9
	ds_write_b64 v10, v[19:20]
	ds_write_b64 v11, v[17:18]
	;; [unrolled: 1-line block ×5, first 2 shown]
	s_waitcnt lgkmcnt(0)
	s_barrier
	buffer_gl0_inv
	ds_read2st64_b64 v[21:24], v9 offset1:4
	ds_read2st64_b64 v[17:20], v9 offset0:8 offset1:12
	ds_read2st64_b64 v[13:16], v9 offset0:16 offset1:20
	;; [unrolled: 1-line block ×3, first 2 shown]
	v_add_co_u32 v2, vcc_lo, v2, v8
	v_add_co_ci_u32_e64 v3, null, 0, v3, vcc_lo
	v_mov_b32_e32 v26, 0
	v_add_co_u32 v2, vcc_lo, v2, v25
	v_add_co_ci_u32_e64 v3, null, 0, v3, vcc_lo
	v_cmp_lt_u32_e32 vcc_lo, v25, v226
	s_waitcnt lgkmcnt(0)
	s_barrier
	buffer_gl0_inv
	s_and_saveexec_b32 s4, vcc_lo
	s_cbranch_execz .LBB398_238
; %bb.237:
	v_xor_b32_e32 v8, 0x80, v37
	flat_store_byte v[2:3], v8
.LBB398_238:
	s_or_b32 exec_lo, exec_lo, s4
	v_add_nc_u32_e32 v8, 0x100, v25
	v_cmp_lt_u32_e64 s14, v8, v226
	s_and_saveexec_b32 s4, s14
	s_cbranch_execz .LBB398_240
; %bb.239:
	v_xor_b32_e32 v8, 0x80, v36
	flat_store_byte v[2:3], v8 offset:256
.LBB398_240:
	s_or_b32 exec_lo, exec_lo, s4
	v_add_nc_u32_e32 v8, 0x200, v25
	v_cmp_lt_u32_e64 s11, v8, v226
	s_and_saveexec_b32 s4, s11
	s_cbranch_execz .LBB398_242
; %bb.241:
	v_xor_b32_e32 v8, 0x80, v35
	flat_store_byte v[2:3], v8 offset:512
.LBB398_242:
	;; [unrolled: 9-line block ×7, first 2 shown]
	s_or_b32 exec_lo, exec_lo, s15
	v_lshlrev_b64 v[2:3], 3, v[25:26]
	v_add_co_u32 v0, s15, v6, v0
	v_add_co_ci_u32_e64 v1, null, v7, v1, s15
	v_add_co_u32 v0, s15, v0, v2
	v_add_co_ci_u32_e64 v1, null, v1, v3, s15
	s_and_saveexec_b32 s15, vcc_lo
	s_cbranch_execnz .LBB398_302
; %bb.253:
	s_or_b32 exec_lo, exec_lo, s15
	s_and_saveexec_b32 s15, s14
	s_cbranch_execnz .LBB398_303
.LBB398_254:
	s_or_b32 exec_lo, exec_lo, s15
	s_and_saveexec_b32 s14, s11
	s_cbranch_execnz .LBB398_304
.LBB398_255:
	s_or_b32 exec_lo, exec_lo, s14
	s_and_saveexec_b32 s11, s10
	s_cbranch_execnz .LBB398_305
.LBB398_256:
	s_or_b32 exec_lo, exec_lo, s11
	s_and_saveexec_b32 s10, s7
	s_cbranch_execnz .LBB398_306
.LBB398_257:
	s_or_b32 exec_lo, exec_lo, s10
	s_and_saveexec_b32 s7, s6
	s_cbranch_execnz .LBB398_307
.LBB398_258:
	s_or_b32 exec_lo, exec_lo, s7
	s_and_saveexec_b32 s6, s5
	s_cbranch_execnz .LBB398_308
.LBB398_259:
	s_or_b32 exec_lo, exec_lo, s6
	s_and_saveexec_b32 s5, s4
	s_cbranch_execz .LBB398_261
.LBB398_260:
	v_add_co_u32 v0, vcc_lo, 0x3800, v0
	v_add_co_ci_u32_e64 v1, null, 0, v1, vcc_lo
	flat_store_dwordx2 v[0:1], v[11:12]
.LBB398_261:
	s_or_b32 exec_lo, exec_lo, s5
                                        ; implicit-def: $vgpr226
                                        ; implicit-def: $vgpr0
                                        ; implicit-def: $vgpr1
                                        ; implicit-def: $vgpr2
                                        ; implicit-def: $vgpr3
                                        ; implicit-def: $vgpr4
                                        ; implicit-def: $vgpr5
                                        ; implicit-def: $vgpr6
                                        ; implicit-def: $vgpr7
                                        ; implicit-def: $vgpr8
                                        ; implicit-def: $vgpr10
                                        ; implicit-def: $vgpr11
                                        ; implicit-def: $vgpr12
                                        ; implicit-def: $vgpr13
                                        ; implicit-def: $vgpr15
                                        ; implicit-def: $vgpr16
                                        ; implicit-def: $vgpr14
                                        ; implicit-def: $vgpr30
.LBB398_262:
	s_andn2_saveexec_b32 s4, s22
	s_cbranch_execz .LBB398_382
; %bb.263:
	s_mov_b32 s4, exec_lo
	v_cmpx_lt_u32_e32 0x200, v226
	s_xor_b32 s22, exec_lo, s4
	s_cbranch_execz .LBB398_323
; %bb.264:
	s_load_dwordx2 s[4:5], s[8:9], 0x0
	v_mov_b32_e32 v9, 0
	v_add_co_u32 v0, vcc_lo, v0, v8
	v_add_co_ci_u32_e64 v1, null, 0, v1, vcc_lo
	v_mov_b32_e32 v20, 0x7f
	v_add_co_u32 v0, vcc_lo, v0, v30
	v_add_co_ci_u32_e64 v1, null, 0, v1, vcc_lo
	v_mov_b32_e32 v19, 0x7f
	v_mov_b32_e32 v21, 0x7f
	s_waitcnt lgkmcnt(0)
	s_cmp_lt_u32 s13, s5
	s_cselect_b32 s5, 14, 20
	s_add_u32 s6, s8, s5
	s_addc_u32 s7, s9, 0
	s_cmp_lt_u32 s12, s4
	global_load_ushort v17, v9, s[6:7]
	s_cselect_b32 s4, 12, 18
	s_add_u32 s4, s8, s4
	s_addc_u32 s5, s9, 0
	global_load_ushort v18, v9, s[4:5]
	s_waitcnt vmcnt(1)
	v_mad_u32_u24 v15, v16, v17, v15
	v_mov_b32_e32 v16, v9
	s_waitcnt vmcnt(0)
	v_mad_u64_u32 v[17:18], null, v15, v18, v[14:15]
	v_mov_b32_e32 v18, 0x7f
	v_lshlrev_b32_e32 v15, 2, v17
	v_and_b32_e32 v15, 0xffffff80, v15
	v_or_b32_e32 v22, v15, v30
	v_add_co_u32 v0, vcc_lo, v0, v15
	v_add_co_ci_u32_e64 v1, null, 0, v1, vcc_lo
	v_cmp_lt_u32_e32 vcc_lo, v22, v226
	s_and_saveexec_b32 s4, vcc_lo
	s_cbranch_execz .LBB398_266
; %bb.265:
	flat_load_ubyte v20, v[0:1]
	v_mov_b32_e32 v18, 0x7f
	v_mov_b32_e32 v19, 0x7f
	;; [unrolled: 1-line block ×3, first 2 shown]
.LBB398_266:
	s_or_b32 exec_lo, exec_lo, s4
	v_or_b32_e32 v23, 32, v22
	v_cmp_lt_u32_e64 s4, v23, v226
	s_and_saveexec_b32 s5, s4
	s_cbranch_execz .LBB398_268
; %bb.267:
	flat_load_ubyte v19, v[0:1] offset:32
.LBB398_268:
	s_or_b32 exec_lo, exec_lo, s5
	v_or_b32_e32 v23, 64, v22
	v_cmp_lt_u32_e64 s5, v23, v226
	s_and_saveexec_b32 s6, s5
	s_cbranch_execz .LBB398_270
; %bb.269:
	flat_load_ubyte v21, v[0:1] offset:64
.LBB398_270:
	;; [unrolled: 8-line block ×3, first 2 shown]
	s_or_b32 exec_lo, exec_lo, s7
	v_lshlrev_b64 v[0:1], 3, v[8:9]
	v_lshlrev_b32_e32 v9, 3, v30
                                        ; implicit-def: $vgpr26_vgpr27
	v_add_co_u32 v22, s7, v4, v0
	v_add_co_ci_u32_e64 v23, null, v5, v1, s7
	v_lshlrev_b64 v[4:5], 3, v[15:16]
	v_add_co_u32 v9, s7, v22, v9
	v_add_co_ci_u32_e64 v15, null, 0, v23, s7
	v_add_co_u32 v4, s7, v9, v4
	v_add_co_ci_u32_e64 v5, null, v15, v5, s7
	s_and_saveexec_b32 s7, vcc_lo
	s_cbranch_execnz .LBB398_347
; %bb.273:
	s_or_b32 exec_lo, exec_lo, s7
                                        ; implicit-def: $vgpr28_vgpr29
	s_and_saveexec_b32 s7, s4
	s_cbranch_execnz .LBB398_348
.LBB398_274:
	s_or_b32 exec_lo, exec_lo, s7
                                        ; implicit-def: $vgpr22_vgpr23
	s_and_saveexec_b32 s4, s5
	s_cbranch_execnz .LBB398_349
.LBB398_275:
	s_or_b32 exec_lo, exec_lo, s4
                                        ; implicit-def: $vgpr24_vgpr25
	s_and_saveexec_b32 s4, s6
	s_cbranch_execz .LBB398_277
.LBB398_276:
	flat_load_dwordx2 v[24:25], v[4:5] offset:768
.LBB398_277:
	s_or_b32 exec_lo, exec_lo, s4
	v_mov_b32_e32 v4, 0x80
	s_waitcnt vmcnt(0) lgkmcnt(0)
	v_xor_b32_e32 v5, 0x80, v20
	v_xor_b32_e32 v15, 0x80, v21
	v_lshl_add_u32 v16, v14, 5, v12
	s_getpc_b64 s[4:5]
	s_add_u32 s4, s4, _ZN7rocprim17ROCPRIM_400000_NS16block_radix_sortIaLj256ELj4ElLj1ELj1ELj8ELNS0_26block_radix_rank_algorithmE2ELNS0_18block_padding_hintE2ELNS0_4arch9wavefront6targetE0EE19radix_bits_per_passE@rel32@lo+4
	s_addc_u32 s5, s5, _ZN7rocprim17ROCPRIM_400000_NS16block_radix_sortIaLj256ELj4ElLj1ELj1ELj8ELNS0_26block_radix_rank_algorithmE2ELNS0_18block_padding_hintE2ELNS0_4arch9wavefront6targetE0EE19radix_bits_per_passE@rel32@hi+12
	v_xor_b32_sdwa v19, v19, v4 dst_sel:BYTE_1 dst_unused:UNUSED_PAD src0_sel:DWORD src1_sel:DWORD
	v_xor_b32_sdwa v4, v18, v4 dst_sel:BYTE_1 dst_unused:UNUSED_PAD src0_sel:DWORD src1_sel:DWORD
	s_load_dword s23, s[4:5], 0x0
	v_add_nc_u32_e32 v9, 32, v16
	v_add_nc_u32_e32 v48, 36, v16
	v_or_b32_sdwa v5, v5, v19 dst_sel:DWORD dst_unused:UNUSED_PAD src0_sel:BYTE_0 src1_sel:DWORD
	v_or_b32_sdwa v4, v15, v4 dst_sel:WORD_1 dst_unused:UNUSED_PAD src0_sel:BYTE_0 src1_sel:DWORD
	v_add_nc_u32_e32 v49, 40, v16
	v_add_nc_u32_e32 v50, 44, v16
	;; [unrolled: 1-line block ×4, first 2 shown]
	v_or_b32_sdwa v64, v5, v4 dst_sel:DWORD dst_unused:UNUSED_PAD src0_sel:WORD_0 src1_sel:DWORD
	v_and_b32_e32 v4, 0x3e0, v14
	v_add_nc_u32_e32 v53, 56, v16
	v_add_nc_u32_e32 v54, 60, v16
	v_sub_co_u32 v16, s6, v30, 1
	v_and_b32_e32 v5, 15, v30
	v_min_u32_e32 v4, 0xe0, v4
	v_and_b32_e32 v15, 16, v30
	v_cmp_gt_i32_e64 s14, 0, v16
	v_lshrrev_b32_e32 v55, 5, v17
	v_cmp_eq_u32_e32 vcc_lo, 0, v5
	v_cmp_lt_u32_e64 s4, 1, v5
	v_cmp_lt_u32_e64 s5, 3, v5
	v_or_b32_e32 v4, 31, v4
	v_cmp_lt_u32_e64 s7, 7, v5
	v_cmp_eq_u32_e64 s10, 0, v15
	v_cndmask_b32_e64 v5, v16, v30, s14
	v_lshlrev_b32_e32 v15, 2, v14
	v_cmp_eq_u32_e64 s11, v14, v4
	v_lshrrev_b32_e32 v4, 3, v14
	v_cmp_gt_u32_e64 s14, 8, v14
	v_lshlrev_b32_e32 v65, 2, v5
	v_and_or_b32 v5, 0xf80, v15, v30
	v_cmp_lt_u32_e64 s15, 31, v14
	v_and_b32_e32 v4, 0x7c, v4
	v_cmp_eq_u32_e64 s16, 0, v14
	v_mov_b32_e32 v67, 0
	v_add_nc_u32_e32 v68, v12, v5
	v_mul_u32_u24_e32 v5, 7, v5
	v_add_nc_u32_e32 v66, v12, v4
	v_and_b32_e32 v4, 7, v30
	v_add_nc_u32_e32 v69, v12, v15
	v_add_nc_u32_e32 v80, 32, v68
	;; [unrolled: 1-line block ×3, first 2 shown]
	v_add_nc_u32_e32 v71, -4, v66
	v_cmp_eq_u32_e64 s17, 0, v4
	v_cmp_lt_u32_e64 s18, 1, v4
	v_cmp_lt_u32_e64 s19, 3, v4
	v_add_nc_u32_e32 v81, 64, v68
	v_add_nc_u32_e32 v82, 0x60, v68
	;; [unrolled: 1-line block ×5, first 2 shown]
	v_sub_nc_u32_e32 v86, v11, v10
	s_mov_b32 s24, 0
	s_waitcnt lgkmcnt(0)
	s_waitcnt_vscnt null, 0x0
	s_barrier
	buffer_gl0_inv
	s_branch .LBB398_279
.LBB398_278:                            ;   in Loop: Header=BB398_279 Depth=1
	s_or_b32 exec_lo, exec_lo, s21
	s_and_b32 s20, exec_lo, s26
	s_or_b32 s24, s20, s24
	s_andn2_b32 exec_lo, exec_lo, s24
	s_cbranch_execz .LBB398_309
.LBB398_279:                            ; =>This Inner Loop Header: Depth=1
	v_min_u32_e32 v4, s23, v86
	v_lshrrev_b32_sdwa v5, v10, v64 dst_sel:DWORD dst_unused:UNUSED_PAD src0_sel:DWORD src1_sel:BYTE_0
	v_mov_b32_e32 v15, v26
	v_mov_b32_e32 v16, v27
	ds_write_b32 v9, v67
	ds_write_b32 v48, v67
	v_lshlrev_b32_e64 v4, v4, -1
	ds_write_b32 v49, v67
	ds_write_b32 v50, v67
	;; [unrolled: 1-line block ×6, first 2 shown]
	v_not_b32_e32 v30, v4
	s_waitcnt lgkmcnt(0)
	s_barrier
	buffer_gl0_inv
	v_and_b32_e32 v31, v5, v30
	v_mov_b32_e32 v4, v28
	v_mov_b32_e32 v5, v29
	; wave barrier
	v_and_b32_e32 v18, 1, v31
	v_lshlrev_b32_e32 v19, 30, v31
	v_lshlrev_b32_e32 v20, 29, v31
	;; [unrolled: 1-line block ×4, first 2 shown]
	v_add_co_u32 v18, s20, v18, -1
	v_cndmask_b32_e64 v26, 0, 1, s20
	v_not_b32_e32 v32, v19
	v_cmp_gt_i32_e64 s21, 0, v19
	v_not_b32_e32 v19, v20
	v_lshlrev_b32_e32 v28, 26, v31
	v_cmp_ne_u32_e64 s20, 0, v26
	v_ashrrev_i32_e32 v32, 31, v32
	v_lshlrev_b32_e32 v29, 25, v31
	v_ashrrev_i32_e32 v19, 31, v19
	v_lshlrev_b32_e32 v26, 24, v31
	v_xor_b32_e32 v18, s20, v18
	v_cmp_gt_i32_e64 s20, 0, v20
	v_not_b32_e32 v20, v21
	v_xor_b32_e32 v32, s21, v32
	v_cmp_gt_i32_e64 s21, 0, v21
	v_and_b32_e32 v18, exec_lo, v18
	v_not_b32_e32 v21, v27
	v_ashrrev_i32_e32 v20, 31, v20
	v_xor_b32_e32 v19, s20, v19
	v_cmp_gt_i32_e64 s20, 0, v27
	v_and_b32_e32 v18, v18, v32
	v_not_b32_e32 v27, v28
	v_ashrrev_i32_e32 v21, 31, v21
	v_xor_b32_e32 v20, s21, v20
	v_cmp_gt_i32_e64 s21, 0, v28
	v_and_b32_e32 v18, v18, v19
	v_not_b32_e32 v19, v29
	v_ashrrev_i32_e32 v27, 31, v27
	v_xor_b32_e32 v21, s20, v21
	v_cmp_gt_i32_e64 s20, 0, v29
	v_and_b32_e32 v18, v18, v20
	v_not_b32_e32 v20, v26
	v_ashrrev_i32_e32 v28, 31, v19
	v_xor_b32_e32 v27, s21, v27
	v_cmp_gt_i32_e64 s21, 0, v26
	v_and_b32_e32 v21, v18, v21
	v_mov_b32_e32 v18, v22
	v_mov_b32_e32 v19, v23
	v_ashrrev_i32_e32 v22, 31, v20
	v_xor_b32_e32 v23, s20, v28
	v_and_b32_e32 v26, v21, v27
	v_mov_b32_e32 v20, v24
	v_mov_b32_e32 v21, v25
	v_xor_b32_e32 v22, s21, v22
	v_lshlrev_b32_e32 v25, 3, v31
	v_and_b32_e32 v23, v26, v23
	v_and_b32_e32 v24, v23, v22
	v_add_lshl_u32 v23, v25, v55, 2
	v_mbcnt_lo_u32_b32 v22, v24, 0
	v_add_co_u32 v23, null, v12, v23
	v_cmp_ne_u32_e64 s21, 0, v24
	v_cmp_eq_u32_e64 s20, 0, v22
	v_add_co_u32 v23, null, v23, 32
	s_and_b32 s21, s21, s20
	s_and_saveexec_b32 s20, s21
; %bb.280:                              ;   in Loop: Header=BB398_279 Depth=1
	v_bcnt_u32_b32 v24, v24, 0
	ds_write_b32 v23, v24
; %bb.281:                              ;   in Loop: Header=BB398_279 Depth=1
	s_or_b32 exec_lo, exec_lo, s20
	v_lshrrev_b32_sdwa v24, v10, v64 dst_sel:DWORD dst_unused:UNUSED_PAD src0_sel:DWORD src1_sel:BYTE_1
	; wave barrier
	v_and_b32_e32 v24, v24, v30
	v_and_b32_e32 v25, 1, v24
	v_lshlrev_b32_e32 v26, 30, v24
	v_lshlrev_b32_e32 v27, 29, v24
	;; [unrolled: 1-line block ×4, first 2 shown]
	v_add_co_u32 v25, s20, v25, -1
	v_cndmask_b32_e64 v29, 0, 1, s20
	v_not_b32_e32 v34, v26
	v_cmp_gt_i32_e64 s21, 0, v26
	v_not_b32_e32 v26, v27
	v_lshlrev_b32_e32 v32, 26, v24
	v_cmp_ne_u32_e64 s20, 0, v29
	v_ashrrev_i32_e32 v34, 31, v34
	v_lshlrev_b32_e32 v33, 25, v24
	v_ashrrev_i32_e32 v26, 31, v26
	v_lshlrev_b32_e32 v29, 24, v24
	v_xor_b32_e32 v25, s20, v25
	v_cmp_gt_i32_e64 s20, 0, v27
	v_not_b32_e32 v27, v28
	v_xor_b32_e32 v34, s21, v34
	v_cmp_gt_i32_e64 s21, 0, v28
	v_and_b32_e32 v25, exec_lo, v25
	v_not_b32_e32 v28, v31
	v_ashrrev_i32_e32 v27, 31, v27
	v_xor_b32_e32 v26, s20, v26
	v_cmp_gt_i32_e64 s20, 0, v31
	v_and_b32_e32 v25, v25, v34
	v_not_b32_e32 v31, v32
	v_ashrrev_i32_e32 v28, 31, v28
	v_xor_b32_e32 v27, s21, v27
	v_cmp_gt_i32_e64 s21, 0, v32
	v_and_b32_e32 v25, v25, v26
	v_not_b32_e32 v26, v33
	v_ashrrev_i32_e32 v31, 31, v31
	v_xor_b32_e32 v28, s20, v28
	v_cmp_gt_i32_e64 s20, 0, v33
	v_and_b32_e32 v25, v25, v27
	v_not_b32_e32 v27, v29
	v_ashrrev_i32_e32 v26, 31, v26
	v_xor_b32_e32 v31, s21, v31
	v_lshl_add_u32 v24, v24, 3, v55
	v_and_b32_e32 v25, v25, v28
	v_cmp_gt_i32_e64 s21, 0, v29
	v_ashrrev_i32_e32 v27, 31, v27
	v_xor_b32_e32 v26, s20, v26
	v_lshl_add_u32 v28, v24, 2, v12
	v_and_b32_e32 v25, v25, v31
	v_xor_b32_e32 v27, s21, v27
	ds_read_b32 v24, v28 offset:32
	v_and_b32_e32 v25, v25, v26
	v_add_nc_u32_e32 v26, 32, v28
	; wave barrier
	v_and_b32_e32 v27, v25, v27
	v_mbcnt_lo_u32_b32 v25, v27, 0
	v_cmp_ne_u32_e64 s21, 0, v27
	v_cmp_eq_u32_e64 s20, 0, v25
	s_and_b32 s21, s21, s20
	s_and_saveexec_b32 s20, s21
	s_cbranch_execz .LBB398_283
; %bb.282:                              ;   in Loop: Header=BB398_279 Depth=1
	s_waitcnt lgkmcnt(0)
	v_bcnt_u32_b32 v27, v27, v24
	ds_write_b32 v26, v27
.LBB398_283:                            ;   in Loop: Header=BB398_279 Depth=1
	s_or_b32 exec_lo, exec_lo, s20
	v_lshrrev_b32_sdwa v27, v10, v64 dst_sel:DWORD dst_unused:UNUSED_PAD src0_sel:DWORD src1_sel:BYTE_2
	; wave barrier
	v_and_b32_e32 v27, v27, v30
	v_and_b32_e32 v28, 1, v27
	v_lshlrev_b32_e32 v29, 30, v27
	v_lshlrev_b32_e32 v31, 29, v27
	;; [unrolled: 1-line block ×4, first 2 shown]
	v_add_co_u32 v28, s20, v28, -1
	v_cndmask_b32_e64 v33, 0, 1, s20
	v_not_b32_e32 v37, v29
	v_cmp_gt_i32_e64 s21, 0, v29
	v_not_b32_e32 v29, v31
	v_lshlrev_b32_e32 v35, 26, v27
	v_cmp_ne_u32_e64 s20, 0, v33
	v_ashrrev_i32_e32 v37, 31, v37
	v_lshlrev_b32_e32 v36, 25, v27
	v_ashrrev_i32_e32 v29, 31, v29
	v_lshlrev_b32_e32 v33, 24, v27
	v_xor_b32_e32 v28, s20, v28
	v_cmp_gt_i32_e64 s20, 0, v31
	v_not_b32_e32 v31, v32
	v_xor_b32_e32 v37, s21, v37
	v_cmp_gt_i32_e64 s21, 0, v32
	v_and_b32_e32 v28, exec_lo, v28
	v_not_b32_e32 v32, v34
	v_ashrrev_i32_e32 v31, 31, v31
	v_xor_b32_e32 v29, s20, v29
	v_cmp_gt_i32_e64 s20, 0, v34
	v_and_b32_e32 v28, v28, v37
	v_not_b32_e32 v34, v35
	v_ashrrev_i32_e32 v32, 31, v32
	v_xor_b32_e32 v31, s21, v31
	v_cmp_gt_i32_e64 s21, 0, v35
	v_and_b32_e32 v28, v28, v29
	;; [unrolled: 5-line block ×3, first 2 shown]
	v_not_b32_e32 v31, v33
	v_ashrrev_i32_e32 v29, 31, v29
	v_xor_b32_e32 v34, s21, v34
	v_lshl_add_u32 v27, v27, 3, v55
	v_and_b32_e32 v28, v28, v32
	v_cmp_gt_i32_e64 s21, 0, v33
	v_ashrrev_i32_e32 v31, 31, v31
	v_xor_b32_e32 v29, s20, v29
	v_lshl_add_u32 v32, v27, 2, v12
	v_and_b32_e32 v28, v28, v34
	v_xor_b32_e32 v31, s21, v31
	ds_read_b32 v27, v32 offset:32
	v_and_b32_e32 v28, v28, v29
	v_add_nc_u32_e32 v29, 32, v32
	; wave barrier
	v_and_b32_e32 v31, v28, v31
	v_mbcnt_lo_u32_b32 v28, v31, 0
	v_cmp_ne_u32_e64 s21, 0, v31
	v_cmp_eq_u32_e64 s20, 0, v28
	s_and_b32 s21, s21, s20
	s_and_saveexec_b32 s20, s21
	s_cbranch_execz .LBB398_285
; %bb.284:                              ;   in Loop: Header=BB398_279 Depth=1
	s_waitcnt lgkmcnt(0)
	v_bcnt_u32_b32 v31, v31, v27
	ds_write_b32 v29, v31
.LBB398_285:                            ;   in Loop: Header=BB398_279 Depth=1
	s_or_b32 exec_lo, exec_lo, s20
	v_lshrrev_b32_e32 v87, 24, v64
	; wave barrier
	v_lshrrev_b32_e32 v31, v10, v87
	v_and_b32_e32 v30, v31, v30
	v_and_b32_e32 v31, 1, v30
	v_lshlrev_b32_e32 v32, 30, v30
	v_lshlrev_b32_e32 v33, 29, v30
	;; [unrolled: 1-line block ×4, first 2 shown]
	v_add_co_u32 v31, s20, v31, -1
	v_cndmask_b32_e64 v35, 0, 1, s20
	v_not_b32_e32 v39, v32
	v_cmp_gt_i32_e64 s21, 0, v32
	v_not_b32_e32 v32, v33
	v_lshlrev_b32_e32 v37, 26, v30
	v_cmp_ne_u32_e64 s20, 0, v35
	v_ashrrev_i32_e32 v39, 31, v39
	v_lshlrev_b32_e32 v38, 25, v30
	v_ashrrev_i32_e32 v32, 31, v32
	v_lshlrev_b32_e32 v35, 24, v30
	v_xor_b32_e32 v31, s20, v31
	v_cmp_gt_i32_e64 s20, 0, v33
	v_not_b32_e32 v33, v34
	v_xor_b32_e32 v39, s21, v39
	v_cmp_gt_i32_e64 s21, 0, v34
	v_and_b32_e32 v31, exec_lo, v31
	v_not_b32_e32 v34, v36
	v_ashrrev_i32_e32 v33, 31, v33
	v_xor_b32_e32 v32, s20, v32
	v_cmp_gt_i32_e64 s20, 0, v36
	v_and_b32_e32 v31, v31, v39
	v_not_b32_e32 v36, v37
	v_ashrrev_i32_e32 v34, 31, v34
	v_xor_b32_e32 v33, s21, v33
	v_cmp_gt_i32_e64 s21, 0, v37
	v_and_b32_e32 v31, v31, v32
	;; [unrolled: 5-line block ×3, first 2 shown]
	v_not_b32_e32 v33, v35
	v_ashrrev_i32_e32 v32, 31, v32
	v_xor_b32_e32 v36, s21, v36
	v_lshl_add_u32 v30, v30, 3, v55
	v_and_b32_e32 v31, v31, v34
	v_cmp_gt_i32_e64 s21, 0, v35
	v_ashrrev_i32_e32 v33, 31, v33
	v_xor_b32_e32 v32, s20, v32
	v_lshl_add_u32 v34, v30, 2, v12
	v_and_b32_e32 v31, v31, v36
	v_xor_b32_e32 v33, s21, v33
	ds_read_b32 v30, v34 offset:32
	v_and_b32_e32 v31, v31, v32
	v_add_nc_u32_e32 v32, 32, v34
	; wave barrier
	v_and_b32_e32 v33, v31, v33
	v_mbcnt_lo_u32_b32 v31, v33, 0
	v_cmp_ne_u32_e64 s21, 0, v33
	v_cmp_eq_u32_e64 s20, 0, v31
	s_and_b32 s21, s21, s20
	s_and_saveexec_b32 s20, s21
	s_cbranch_execz .LBB398_287
; %bb.286:                              ;   in Loop: Header=BB398_279 Depth=1
	s_waitcnt lgkmcnt(0)
	v_bcnt_u32_b32 v33, v33, v30
	ds_write_b32 v32, v33
.LBB398_287:                            ;   in Loop: Header=BB398_279 Depth=1
	s_or_b32 exec_lo, exec_lo, s20
	; wave barrier
	s_waitcnt lgkmcnt(0)
	s_barrier
	buffer_gl0_inv
	ds_read_b32 v34, v9
	ds_read_b32 v35, v48
	;; [unrolled: 1-line block ×8, first 2 shown]
	s_waitcnt lgkmcnt(6)
	v_add_nc_u32_e32 v97, v35, v34
	s_waitcnt lgkmcnt(4)
	v_add3_u32 v97, v97, v36, v37
	s_waitcnt lgkmcnt(2)
	v_add3_u32 v97, v97, v38, v39
	;; [unrolled: 2-line block ×3, first 2 shown]
	v_mov_b32_dpp v97, v96 row_shr:1 row_mask:0xf bank_mask:0xf
	v_cndmask_b32_e64 v97, v97, 0, vcc_lo
	v_add_nc_u32_e32 v96, v97, v96
	v_mov_b32_dpp v97, v96 row_shr:2 row_mask:0xf bank_mask:0xf
	v_cndmask_b32_e64 v97, 0, v97, s4
	v_add_nc_u32_e32 v96, v96, v97
	v_mov_b32_dpp v97, v96 row_shr:4 row_mask:0xf bank_mask:0xf
	v_cndmask_b32_e64 v97, 0, v97, s5
	;; [unrolled: 3-line block ×3, first 2 shown]
	v_add_nc_u32_e32 v96, v96, v97
	ds_swizzle_b32 v97, v96 offset:swizzle(BROADCAST,32,15)
	s_waitcnt lgkmcnt(0)
	v_cndmask_b32_e64 v97, v97, 0, s10
	v_add_nc_u32_e32 v96, v96, v97
	s_and_saveexec_b32 s20, s11
; %bb.288:                              ;   in Loop: Header=BB398_279 Depth=1
	ds_write_b32 v66, v96
; %bb.289:                              ;   in Loop: Header=BB398_279 Depth=1
	s_or_b32 exec_lo, exec_lo, s20
	s_waitcnt lgkmcnt(0)
	s_barrier
	buffer_gl0_inv
	s_and_saveexec_b32 s20, s14
	s_cbranch_execz .LBB398_291
; %bb.290:                              ;   in Loop: Header=BB398_279 Depth=1
	ds_read_b32 v97, v69
	s_waitcnt lgkmcnt(0)
	v_mov_b32_dpp v98, v97 row_shr:1 row_mask:0xf bank_mask:0xf
	v_cndmask_b32_e64 v98, v98, 0, s17
	v_add_nc_u32_e32 v97, v98, v97
	v_mov_b32_dpp v98, v97 row_shr:2 row_mask:0xf bank_mask:0xf
	v_cndmask_b32_e64 v98, 0, v98, s18
	v_add_nc_u32_e32 v97, v97, v98
	v_mov_b32_dpp v98, v97 row_shr:4 row_mask:0xf bank_mask:0xf
	v_cndmask_b32_e64 v98, 0, v98, s19
	v_add_nc_u32_e32 v97, v97, v98
	ds_write_b32 v69, v97
.LBB398_291:                            ;   in Loop: Header=BB398_279 Depth=1
	s_or_b32 exec_lo, exec_lo, s20
	v_mov_b32_e32 v97, 0
	s_waitcnt lgkmcnt(0)
	s_barrier
	buffer_gl0_inv
	s_and_saveexec_b32 s20, s15
; %bb.292:                              ;   in Loop: Header=BB398_279 Depth=1
	ds_read_b32 v97, v71
; %bb.293:                              ;   in Loop: Header=BB398_279 Depth=1
	s_or_b32 exec_lo, exec_lo, s20
	s_waitcnt lgkmcnt(0)
	v_add_nc_u32_e32 v96, v97, v96
	v_add_nc_u32_e32 v10, 8, v10
	v_mov_b32_e32 v99, v64
	v_lshrrev_b32_e32 v100, 8, v64
	v_lshrrev_b32_e32 v101, 16, v64
	ds_bpermute_b32 v96, v65, v96
	s_mov_b32 s26, -1
	s_waitcnt lgkmcnt(0)
	v_cndmask_b32_e64 v96, v96, v97, s6
	v_cndmask_b32_e64 v96, v96, 0, s16
	v_add_nc_u32_e32 v34, v96, v34
	v_add_nc_u32_e32 v35, v34, v35
	ds_write_b32 v9, v96
	ds_write_b32 v48, v34
	;; [unrolled: 1-line block ×3, first 2 shown]
	v_add_nc_u32_e32 v36, v35, v36
	v_add_nc_u32_e32 v37, v36, v37
	;; [unrolled: 1-line block ×5, first 2 shown]
	ds_write_b32 v50, v36
	ds_write_b32 v51, v37
	;; [unrolled: 1-line block ×5, first 2 shown]
	s_waitcnt lgkmcnt(0)
	s_barrier
	buffer_gl0_inv
	ds_read_b32 v23, v23
	ds_read_b32 v26, v26
	;; [unrolled: 1-line block ×4, first 2 shown]
	s_waitcnt lgkmcnt(0)
	v_add_nc_u32_e32 v22, v23, v22
	v_add3_u32 v98, v25, v24, v26
	v_add3_u32 v97, v28, v27, v29
	;; [unrolled: 1-line block ×3, first 2 shown]
                                        ; implicit-def: $vgpr26_vgpr27
                                        ; implicit-def: $vgpr28_vgpr29
                                        ; implicit-def: $vgpr24_vgpr25
	v_add_co_u32 v38, s21, v12, v22
	v_add_co_ci_u32_e64 v39, null, 0, v13, s21
	v_add_co_u32 v30, s21, v12, v98
	v_add_co_ci_u32_e64 v31, null, 0, v13, s21
	v_add_co_u32 v34, s21, v12, v97
	v_mad_u64_u32 v[32:33], null, v22, 7, v[38:39]
	v_add_co_ci_u32_e64 v35, null, 0, v13, s21
	v_add_co_u32 v36, s21, v12, v96
	v_add_co_ci_u32_e64 v37, null, 0, v13, s21
	s_mov_b32 s21, exec_lo
                                        ; implicit-def: $vgpr22_vgpr23
	v_cmpx_lt_u32_e64 v10, v11
	s_cbranch_execz .LBB398_278
; %bb.294:                              ;   in Loop: Header=BB398_279 Depth=1
	s_barrier
	buffer_gl0_inv
	ds_write_b8 v38, v64
	ds_write_b8 v30, v100
	;; [unrolled: 1-line block ×4, first 2 shown]
	s_waitcnt lgkmcnt(0)
	s_barrier
	buffer_gl0_inv
	ds_read_u8 v33, v80
	ds_read_u8 v39, v68
	;; [unrolled: 1-line block ×4, first 2 shown]
	v_mad_u64_u32 v[22:23], null, v98, 7, v[30:31]
	v_mad_u64_u32 v[23:24], null, v97, 7, v[34:35]
	;; [unrolled: 1-line block ×3, first 2 shown]
	s_waitcnt lgkmcnt(0)
	s_barrier
	buffer_gl0_inv
	ds_write_b64 v32, v[15:16]
	ds_write_b64 v22, v[4:5]
	;; [unrolled: 1-line block ×4, first 2 shown]
	s_waitcnt lgkmcnt(0)
	s_barrier
	buffer_gl0_inv
	ds_read_b64 v[26:27], v70
	ds_read_b64 v[28:29], v83
	;; [unrolled: 1-line block ×4, first 2 shown]
	v_add_nc_u32_e32 v86, -8, v86
	s_xor_b32 s26, exec_lo, -1
	s_waitcnt lgkmcnt(0)
	v_perm_b32 v33, v39, v33, 0xc0c0004
	s_barrier
	v_perm_b32 v39, v102, v64, 0xc0c0004
	buffer_gl0_inv
	v_lshl_or_b32 v64, v39, 16, v33
	s_branch .LBB398_278
.LBB398_295:
	flat_load_dwordx2 v[34:35], v[4:5]
	s_or_b32 exec_lo, exec_lo, s15
                                        ; implicit-def: $vgpr38_vgpr39
	s_and_saveexec_b32 s15, s4
	s_cbranch_execz .LBB398_171
.LBB398_296:
	flat_load_dwordx2 v[38:39], v[4:5] offset:256
	s_or_b32 exec_lo, exec_lo, s15
                                        ; implicit-def: $vgpr48_vgpr49
	s_and_saveexec_b32 s4, s5
	s_cbranch_execz .LBB398_172
.LBB398_297:
	flat_load_dwordx2 v[48:49], v[4:5] offset:512
	s_or_b32 exec_lo, exec_lo, s4
                                        ; implicit-def: $vgpr50_vgpr51
	s_and_saveexec_b32 s4, s6
	s_cbranch_execz .LBB398_173
.LBB398_298:
	flat_load_dwordx2 v[50:51], v[4:5] offset:768
	s_or_b32 exec_lo, exec_lo, s4
                                        ; implicit-def: $vgpr52_vgpr53
	s_and_saveexec_b32 s4, s7
	s_cbranch_execz .LBB398_174
.LBB398_299:
	flat_load_dwordx2 v[52:53], v[4:5] offset:1024
	s_or_b32 exec_lo, exec_lo, s4
                                        ; implicit-def: $vgpr54_vgpr55
	s_and_saveexec_b32 s4, s10
	s_cbranch_execz .LBB398_175
.LBB398_300:
	flat_load_dwordx2 v[54:55], v[4:5] offset:1280
	s_or_b32 exec_lo, exec_lo, s4
                                        ; implicit-def: $vgpr32_vgpr33
	s_and_saveexec_b32 s4, s11
	s_cbranch_execz .LBB398_176
.LBB398_301:
	flat_load_dwordx2 v[32:33], v[4:5] offset:1536
	s_or_b32 exec_lo, exec_lo, s4
                                        ; implicit-def: $vgpr36_vgpr37
	s_and_saveexec_b32 s4, s14
	s_cbranch_execnz .LBB398_177
	s_branch .LBB398_178
.LBB398_302:
	flat_store_dwordx2 v[0:1], v[21:22]
	s_or_b32 exec_lo, exec_lo, s15
	s_and_saveexec_b32 s15, s14
	s_cbranch_execz .LBB398_254
.LBB398_303:
	v_add_co_u32 v2, vcc_lo, 0x800, v0
	v_add_co_ci_u32_e64 v3, null, 0, v1, vcc_lo
	flat_store_dwordx2 v[2:3], v[23:24]
	s_or_b32 exec_lo, exec_lo, s15
	s_and_saveexec_b32 s14, s11
	s_cbranch_execz .LBB398_255
.LBB398_304:
	v_add_co_u32 v2, vcc_lo, 0x1000, v0
	v_add_co_ci_u32_e64 v3, null, 0, v1, vcc_lo
	flat_store_dwordx2 v[2:3], v[17:18]
	s_or_b32 exec_lo, exec_lo, s14
	s_and_saveexec_b32 s11, s10
	s_cbranch_execz .LBB398_256
.LBB398_305:
	v_add_co_u32 v2, vcc_lo, 0x1800, v0
	v_add_co_ci_u32_e64 v3, null, 0, v1, vcc_lo
	flat_store_dwordx2 v[2:3], v[19:20]
	s_or_b32 exec_lo, exec_lo, s11
	s_and_saveexec_b32 s10, s7
	s_cbranch_execz .LBB398_257
.LBB398_306:
	v_add_co_u32 v2, vcc_lo, 0x2000, v0
	v_add_co_ci_u32_e64 v3, null, 0, v1, vcc_lo
	flat_store_dwordx2 v[2:3], v[13:14]
	s_or_b32 exec_lo, exec_lo, s10
	s_and_saveexec_b32 s7, s6
	s_cbranch_execz .LBB398_258
.LBB398_307:
	v_add_co_u32 v2, vcc_lo, 0x2800, v0
	v_add_co_ci_u32_e64 v3, null, 0, v1, vcc_lo
	flat_store_dwordx2 v[2:3], v[15:16]
	s_or_b32 exec_lo, exec_lo, s7
	s_and_saveexec_b32 s6, s5
	s_cbranch_execz .LBB398_259
.LBB398_308:
	v_add_co_u32 v2, vcc_lo, 0x3000, v0
	v_add_co_ci_u32_e64 v3, null, 0, v1, vcc_lo
	flat_store_dwordx2 v[2:3], v[9:10]
	s_or_b32 exec_lo, exec_lo, s6
	s_and_saveexec_b32 s5, s4
	s_cbranch_execnz .LBB398_260
	s_branch .LBB398_261
.LBB398_309:
	s_or_b32 exec_lo, exec_lo, s24
	v_mad_u64_u32 v[9:10], null, v98, 7, v[30:31]
	v_mad_u64_u32 v[10:11], null, v97, 7, v[34:35]
	v_add_nc_u32_e32 v13, v12, v14
	v_mad_u64_u32 v[11:12], null, v96, 7, v[36:37]
	v_mul_u32_u24_e32 v12, 7, v14
	s_barrier
	buffer_gl0_inv
	ds_write_b8 v38, v99
	ds_write_b8 v30, v100
	;; [unrolled: 1-line block ×4, first 2 shown]
	s_waitcnt lgkmcnt(0)
	s_barrier
	buffer_gl0_inv
	ds_read_u8 v25, v13
	ds_read_u8 v24, v13 offset:256
	ds_read_u8 v23, v13 offset:512
	;; [unrolled: 1-line block ×3, first 2 shown]
	s_waitcnt lgkmcnt(0)
	s_barrier
	buffer_gl0_inv
	ds_write_b64 v32, v[15:16]
	ds_write_b64 v9, v[4:5]
	;; [unrolled: 1-line block ×3, first 2 shown]
	v_add_nc_u32_e32 v4, v13, v12
	ds_write_b64 v11, v[20:21]
	s_waitcnt lgkmcnt(0)
	s_barrier
	buffer_gl0_inv
	ds_read2st64_b64 v[13:16], v4 offset1:4
	ds_read2st64_b64 v[9:12], v4 offset0:8 offset1:12
	v_add_co_u32 v2, vcc_lo, v2, v8
	v_add_co_ci_u32_e64 v3, null, 0, v3, vcc_lo
	v_mov_b32_e32 v18, 0
	v_add_co_u32 v2, vcc_lo, v2, v17
	v_add_co_ci_u32_e64 v3, null, 0, v3, vcc_lo
	v_cmp_lt_u32_e32 vcc_lo, v17, v226
	s_waitcnt lgkmcnt(0)
	s_barrier
	buffer_gl0_inv
	s_and_saveexec_b32 s4, vcc_lo
	s_cbranch_execz .LBB398_311
; %bb.310:
	v_xor_b32_e32 v4, 0x80, v25
	flat_store_byte v[2:3], v4
.LBB398_311:
	s_or_b32 exec_lo, exec_lo, s4
	v_add_nc_u32_e32 v4, 0x100, v17
	v_cmp_lt_u32_e64 s6, v4, v226
	s_and_saveexec_b32 s4, s6
	s_cbranch_execz .LBB398_313
; %bb.312:
	v_xor_b32_e32 v4, 0x80, v24
	flat_store_byte v[2:3], v4 offset:256
.LBB398_313:
	s_or_b32 exec_lo, exec_lo, s4
	v_add_nc_u32_e32 v4, 0x200, v17
	v_cmp_lt_u32_e64 s5, v4, v226
	s_and_saveexec_b32 s4, s5
	s_cbranch_execz .LBB398_315
; %bb.314:
	v_xor_b32_e32 v4, 0x80, v23
	flat_store_byte v[2:3], v4 offset:512
.LBB398_315:
	;; [unrolled: 9-line block ×3, first 2 shown]
	s_or_b32 exec_lo, exec_lo, s7
	v_lshlrev_b64 v[2:3], 3, v[17:18]
	v_add_co_u32 v0, s7, v6, v0
	v_add_co_ci_u32_e64 v1, null, v7, v1, s7
	v_add_co_u32 v0, s7, v0, v2
	v_add_co_ci_u32_e64 v1, null, v1, v3, s7
	s_and_saveexec_b32 s7, vcc_lo
	s_cbranch_execnz .LBB398_350
; %bb.318:
	s_or_b32 exec_lo, exec_lo, s7
	s_and_saveexec_b32 s7, s6
	s_cbranch_execnz .LBB398_351
.LBB398_319:
	s_or_b32 exec_lo, exec_lo, s7
	s_and_saveexec_b32 s6, s5
	s_cbranch_execnz .LBB398_352
.LBB398_320:
	s_or_b32 exec_lo, exec_lo, s6
	s_and_saveexec_b32 s5, s4
	s_cbranch_execz .LBB398_322
.LBB398_321:
	v_add_co_u32 v0, vcc_lo, 0x1800, v0
	v_add_co_ci_u32_e64 v1, null, 0, v1, vcc_lo
	flat_store_dwordx2 v[0:1], v[11:12]
.LBB398_322:
	s_or_b32 exec_lo, exec_lo, s5
                                        ; implicit-def: $vgpr226
                                        ; implicit-def: $vgpr0
                                        ; implicit-def: $vgpr1
                                        ; implicit-def: $vgpr2
                                        ; implicit-def: $vgpr3
                                        ; implicit-def: $vgpr4
                                        ; implicit-def: $vgpr5
                                        ; implicit-def: $vgpr6
                                        ; implicit-def: $vgpr7
                                        ; implicit-def: $vgpr8
                                        ; implicit-def: $vgpr10
                                        ; implicit-def: $vgpr11
                                        ; implicit-def: $vgpr12
                                        ; implicit-def: $vgpr13
                                        ; implicit-def: $vgpr15
                                        ; implicit-def: $vgpr16
                                        ; implicit-def: $vgpr14
                                        ; implicit-def: $vgpr30
.LBB398_323:
	s_andn2_saveexec_b32 s4, s22
	s_cbranch_execz .LBB398_382
; %bb.324:
	s_load_dwordx2 s[4:5], s[8:9], 0x0
	v_mov_b32_e32 v9, 0
	s_waitcnt lgkmcnt(0)
	s_cmp_lt_u32 s13, s5
	s_cselect_b32 s5, 14, 20
	s_add_u32 s6, s8, s5
	s_addc_u32 s7, s9, 0
	s_cmp_lt_u32 s12, s4
	global_load_ushort v17, v9, s[6:7]
	s_cselect_b32 s4, 12, 18
	s_add_u32 s4, s8, s4
	s_addc_u32 s5, s9, 0
	global_load_ushort v18, v9, s[4:5]
	s_mov_b32 s4, exec_lo
	s_waitcnt vmcnt(1)
	v_mad_u32_u24 v15, v16, v17, v15
	s_waitcnt vmcnt(0)
	v_mad_u64_u32 v[15:16], null, v15, v18, v[14:15]
	v_cmpx_lt_u32_e32 0x100, v226
	s_xor_b32 s18, exec_lo, s4
	s_cbranch_execz .LBB398_362
; %bb.325:
	v_lshlrev_b32_e32 v16, 1, v15
	v_add_co_u32 v0, vcc_lo, v0, v8
	v_add_co_ci_u32_e64 v1, null, 0, v1, vcc_lo
	v_and_b32_e32 v16, 0xffffffc0, v16
	v_add_co_u32 v0, vcc_lo, v0, v30
	v_add_co_ci_u32_e64 v1, null, 0, v1, vcc_lo
	v_or_b32_e32 v18, v30, v16
	v_add_co_u32 v0, vcc_lo, v0, v16
	v_mov_b32_e32 v17, v9
	v_add_co_ci_u32_e64 v1, null, 0, v1, vcc_lo
	v_cmp_lt_u32_e32 vcc_lo, v18, v226
	v_mov_b32_e32 v22, 0x7f
	v_mov_b32_e32 v23, 0x7f
	s_and_saveexec_b32 s4, vcc_lo
	s_cbranch_execz .LBB398_327
; %bb.326:
	flat_load_ubyte v23, v[0:1]
.LBB398_327:
	s_or_b32 exec_lo, exec_lo, s4
	v_or_b32_e32 v18, 32, v18
	v_cmp_lt_u32_e64 s4, v18, v226
	s_and_saveexec_b32 s5, s4
	s_cbranch_execz .LBB398_329
; %bb.328:
	flat_load_ubyte v22, v[0:1] offset:32
.LBB398_329:
	s_or_b32 exec_lo, exec_lo, s5
	v_lshlrev_b64 v[0:1], 3, v[8:9]
	v_lshlrev_b32_e32 v9, 3, v30
	v_lshlrev_b64 v[16:17], 3, v[16:17]
	v_mov_b32_e32 v20, 0
	v_mov_b32_e32 v18, 0
	;; [unrolled: 1-line block ×3, first 2 shown]
	v_add_co_u32 v4, s5, v4, v0
	v_add_co_ci_u32_e64 v5, null, v5, v1, s5
	v_mov_b32_e32 v19, 0
	v_add_co_u32 v4, s5, v4, v9
	v_add_co_ci_u32_e64 v5, null, 0, v5, s5
	v_add_co_u32 v4, s5, v4, v16
	v_add_co_ci_u32_e64 v5, null, v5, v17, s5
	s_and_saveexec_b32 s5, vcc_lo
	s_cbranch_execz .LBB398_331
; %bb.330:
	flat_load_dwordx2 v[18:19], v[4:5]
.LBB398_331:
	s_or_b32 exec_lo, exec_lo, s5
	s_and_saveexec_b32 s5, s4
	s_cbranch_execz .LBB398_333
; %bb.332:
	flat_load_dwordx2 v[20:21], v[4:5] offset:256
.LBB398_333:
	s_or_b32 exec_lo, exec_lo, s5
	v_mov_b32_e32 v4, 0x80
	s_waitcnt vmcnt(0) lgkmcnt(0)
	v_xor_b32_e32 v5, 0x80, v23
	v_lshl_add_u32 v16, v14, 5, v12
	s_getpc_b64 s[4:5]
	s_add_u32 s4, s4, _ZN7rocprim17ROCPRIM_400000_NS16block_radix_sortIaLj256ELj2ElLj1ELj1ELj8ELNS0_26block_radix_rank_algorithmE2ELNS0_18block_padding_hintE2ELNS0_4arch9wavefront6targetE0EE19radix_bits_per_passE@rel32@lo+4
	s_addc_u32 s5, s5, _ZN7rocprim17ROCPRIM_400000_NS16block_radix_sortIaLj256ELj2ElLj1ELj1ELj8ELNS0_26block_radix_rank_algorithmE2ELNS0_18block_padding_hintE2ELNS0_4arch9wavefront6targetE0EE19radix_bits_per_passE@rel32@hi+12
	v_and_b32_e32 v17, 15, v30
	v_xor_b32_sdwa v4, v22, v4 dst_sel:BYTE_1 dst_unused:UNUSED_PAD src0_sel:DWORD src1_sel:DWORD
	v_and_b32_e32 v22, 0x3e0, v14
	v_add_nc_u32_e32 v9, 32, v16
	v_add_nc_u32_e32 v31, 36, v16
	;; [unrolled: 1-line block ×3, first 2 shown]
	v_or_b32_sdwa v4, v5, v4 dst_sel:DWORD dst_unused:UNUSED_PAD src0_sel:BYTE_0 src1_sel:DWORD
	v_add_nc_u32_e32 v33, 44, v16
	v_add_nc_u32_e32 v34, 48, v16
	;; [unrolled: 1-line block ×4, first 2 shown]
	v_and_b32_e32 v39, 0xffff, v4
	v_min_u32_e32 v4, 0xe0, v22
	v_add_nc_u32_e32 v37, 60, v16
	v_sub_co_u32 v16, s6, v30, 1
	v_and_b32_e32 v5, 16, v30
	v_or_b32_e32 v4, 31, v4
	s_load_dword s19, s[4:5], 0x0
	v_cmp_gt_i32_e64 s10, 0, v16
	v_lshrrev_b32_e32 v38, 5, v15
	v_cmp_eq_u32_e64 s8, 0, v5
	v_cmp_eq_u32_e64 s9, v14, v4
	v_lshlrev_b32_e32 v4, 1, v14
	v_cndmask_b32_e64 v5, v16, v30, s10
	v_lshrrev_b32_e32 v16, 3, v14
	v_cmp_lt_u32_e64 s4, 1, v17
	v_cmp_lt_u32_e64 s5, 3, v17
	v_and_or_b32 v4, 0x7c0, v4, v30
	v_lshlrev_b32_e32 v48, 2, v5
	v_and_b32_e32 v5, 0x7c, v16
	v_and_b32_e32 v16, 7, v30
	v_cmp_lt_u32_e64 s7, 7, v17
	v_add_nc_u32_e32 v30, v12, v4
	v_mul_u32_u24_e32 v4, 7, v4
	v_add_nc_u32_e32 v49, v12, v5
	v_cmp_gt_u32_e64 s10, 8, v14
	v_cmp_lt_u32_e64 s11, 31, v14
	v_cmp_eq_u32_e64 s12, 0, v14
	v_add_nc_u32_e32 v52, v30, v4
	v_mov_b32_e32 v50, 0
	v_lshl_add_u32 v51, v14, 2, v12
	v_cmp_eq_u32_e64 s13, 0, v16
	v_cmp_lt_u32_e64 s14, 1, v16
	v_cmp_lt_u32_e64 s15, 3, v16
	v_add_nc_u32_e32 v53, -4, v49
	v_add_nc_u32_e32 v54, 32, v30
	v_add_nc_u32_e32 v55, 0x100, v52
	v_sub_nc_u32_e32 v64, v11, v10
	s_mov_b32 s20, 0
	v_cmp_eq_u32_e32 vcc_lo, 0, v17
	s_waitcnt lgkmcnt(0)
	s_waitcnt_vscnt null, 0x0
	s_barrier
	buffer_gl0_inv
	s_branch .LBB398_335
.LBB398_334:                            ;   in Loop: Header=BB398_335 Depth=1
	s_or_b32 exec_lo, exec_lo, s17
	s_and_b32 s16, exec_lo, s21
	s_or_b32 s20, s16, s20
	s_andn2_b32 exec_lo, exec_lo, s20
	s_cbranch_execz .LBB398_353
.LBB398_335:                            ; =>This Inner Loop Header: Depth=1
	v_min_u32_e32 v4, s19, v64
	v_lshrrev_b32_sdwa v5, v10, v39 dst_sel:DWORD dst_unused:UNUSED_PAD src0_sel:DWORD src1_sel:BYTE_0
	ds_write_b32 v9, v50
	ds_write_b32 v31, v50
	;; [unrolled: 1-line block ×5, first 2 shown]
	v_lshlrev_b32_e64 v4, v4, -1
	ds_write_b32 v35, v50
	ds_write_b32 v36, v50
	;; [unrolled: 1-line block ×3, first 2 shown]
	s_waitcnt lgkmcnt(0)
	s_barrier
	v_not_b32_e32 v22, v4
	buffer_gl0_inv
	; wave barrier
	v_and_b32_e32 v23, v5, v22
	v_and_b32_e32 v4, 1, v23
	v_lshlrev_b32_e32 v5, 30, v23
	v_lshlrev_b32_e32 v16, 29, v23
	;; [unrolled: 1-line block ×4, first 2 shown]
	v_add_co_u32 v4, s16, v4, -1
	v_cndmask_b32_e64 v24, 0, 1, s16
	v_not_b32_e32 v28, v5
	v_cmp_gt_i32_e64 s17, 0, v5
	v_not_b32_e32 v5, v16
	v_lshlrev_b32_e32 v26, 26, v23
	v_cmp_ne_u32_e64 s16, 0, v24
	v_ashrrev_i32_e32 v28, 31, v28
	v_lshlrev_b32_e32 v27, 25, v23
	v_ashrrev_i32_e32 v5, 31, v5
	v_lshlrev_b32_e32 v24, 24, v23
	v_xor_b32_e32 v4, s16, v4
	v_cmp_gt_i32_e64 s16, 0, v16
	v_not_b32_e32 v16, v17
	v_xor_b32_e32 v28, s17, v28
	v_cmp_gt_i32_e64 s17, 0, v17
	v_and_b32_e32 v4, exec_lo, v4
	v_not_b32_e32 v17, v25
	v_ashrrev_i32_e32 v16, 31, v16
	v_xor_b32_e32 v5, s16, v5
	v_cmp_gt_i32_e64 s16, 0, v25
	v_and_b32_e32 v4, v4, v28
	v_not_b32_e32 v25, v26
	v_ashrrev_i32_e32 v17, 31, v17
	v_xor_b32_e32 v16, s17, v16
	v_cmp_gt_i32_e64 s17, 0, v26
	v_and_b32_e32 v4, v4, v5
	;; [unrolled: 5-line block ×4, first 2 shown]
	v_mov_b32_e32 v4, v20
	v_mov_b32_e32 v5, v21
	v_ashrrev_i32_e32 v20, 31, v16
	v_xor_b32_e32 v21, s16, v26
	v_and_b32_e32 v24, v17, v25
	v_mov_b32_e32 v16, v18
	v_mov_b32_e32 v17, v19
	v_xor_b32_e32 v18, s17, v20
	v_and_b32_e32 v19, v24, v21
	v_lshlrev_b32_e32 v21, 3, v23
	v_and_b32_e32 v20, v19, v18
	v_add_lshl_u32 v19, v21, v38, 2
	v_mbcnt_lo_u32_b32 v18, v20, 0
	v_add_co_u32 v19, null, v12, v19
	v_cmp_ne_u32_e64 s17, 0, v20
	v_cmp_eq_u32_e64 s16, 0, v18
	v_add_co_u32 v19, null, v19, 32
	s_and_b32 s17, s17, s16
	s_and_saveexec_b32 s16, s17
; %bb.336:                              ;   in Loop: Header=BB398_335 Depth=1
	v_bcnt_u32_b32 v20, v20, 0
	ds_write_b32 v19, v20
; %bb.337:                              ;   in Loop: Header=BB398_335 Depth=1
	s_or_b32 exec_lo, exec_lo, s16
	v_lshrrev_b16 v65, 8, v39
	; wave barrier
	v_lshrrev_b32_sdwa v20, v10, v65 dst_sel:DWORD dst_unused:UNUSED_PAD src0_sel:DWORD src1_sel:WORD_0
	v_and_b32_e32 v20, v20, v22
	v_and_b32_e32 v21, 1, v20
	v_lshlrev_b32_e32 v22, 30, v20
	v_lshlrev_b32_e32 v23, 29, v20
	;; [unrolled: 1-line block ×4, first 2 shown]
	v_add_co_u32 v21, s16, v21, -1
	v_cndmask_b32_e64 v25, 0, 1, s16
	v_not_b32_e32 v29, v22
	v_cmp_gt_i32_e64 s17, 0, v22
	v_not_b32_e32 v22, v23
	v_lshlrev_b32_e32 v27, 26, v20
	v_cmp_ne_u32_e64 s16, 0, v25
	v_ashrrev_i32_e32 v29, 31, v29
	v_lshlrev_b32_e32 v28, 25, v20
	v_ashrrev_i32_e32 v22, 31, v22
	v_lshlrev_b32_e32 v25, 24, v20
	v_xor_b32_e32 v21, s16, v21
	v_cmp_gt_i32_e64 s16, 0, v23
	v_not_b32_e32 v23, v24
	v_xor_b32_e32 v29, s17, v29
	v_cmp_gt_i32_e64 s17, 0, v24
	v_and_b32_e32 v21, exec_lo, v21
	v_not_b32_e32 v24, v26
	v_ashrrev_i32_e32 v23, 31, v23
	v_xor_b32_e32 v22, s16, v22
	v_cmp_gt_i32_e64 s16, 0, v26
	v_and_b32_e32 v21, v21, v29
	v_not_b32_e32 v26, v27
	v_ashrrev_i32_e32 v24, 31, v24
	v_xor_b32_e32 v23, s17, v23
	v_cmp_gt_i32_e64 s17, 0, v27
	v_and_b32_e32 v21, v21, v22
	v_not_b32_e32 v22, v28
	v_ashrrev_i32_e32 v26, 31, v26
	v_xor_b32_e32 v24, s16, v24
	v_cmp_gt_i32_e64 s16, 0, v28
	v_and_b32_e32 v21, v21, v23
	v_not_b32_e32 v23, v25
	v_ashrrev_i32_e32 v22, 31, v22
	v_xor_b32_e32 v26, s17, v26
	v_lshl_add_u32 v20, v20, 3, v38
	v_and_b32_e32 v21, v21, v24
	v_cmp_gt_i32_e64 s17, 0, v25
	v_ashrrev_i32_e32 v23, 31, v23
	v_xor_b32_e32 v22, s16, v22
	v_lshl_add_u32 v24, v20, 2, v12
	v_and_b32_e32 v21, v21, v26
	v_xor_b32_e32 v23, s17, v23
	ds_read_b32 v20, v24 offset:32
	v_and_b32_e32 v21, v21, v22
	v_add_nc_u32_e32 v22, 32, v24
	; wave barrier
	v_and_b32_e32 v23, v21, v23
	v_mbcnt_lo_u32_b32 v21, v23, 0
	v_cmp_ne_u32_e64 s17, 0, v23
	v_cmp_eq_u32_e64 s16, 0, v21
	s_and_b32 s17, s17, s16
	s_and_saveexec_b32 s16, s17
	s_cbranch_execz .LBB398_339
; %bb.338:                              ;   in Loop: Header=BB398_335 Depth=1
	s_waitcnt lgkmcnt(0)
	v_bcnt_u32_b32 v23, v23, v20
	ds_write_b32 v22, v23
.LBB398_339:                            ;   in Loop: Header=BB398_335 Depth=1
	s_or_b32 exec_lo, exec_lo, s16
	; wave barrier
	s_waitcnt lgkmcnt(0)
	s_barrier
	buffer_gl0_inv
	ds_read_b32 v24, v9
	ds_read_b32 v25, v31
	;; [unrolled: 1-line block ×8, first 2 shown]
	s_waitcnt lgkmcnt(6)
	v_add_nc_u32_e32 v67, v25, v24
	s_waitcnt lgkmcnt(4)
	v_add3_u32 v67, v67, v26, v27
	s_waitcnt lgkmcnt(2)
	v_add3_u32 v67, v67, v28, v29
	;; [unrolled: 2-line block ×3, first 2 shown]
	v_mov_b32_dpp v67, v66 row_shr:1 row_mask:0xf bank_mask:0xf
	v_cndmask_b32_e64 v67, v67, 0, vcc_lo
	v_add_nc_u32_e32 v66, v67, v66
	v_mov_b32_dpp v67, v66 row_shr:2 row_mask:0xf bank_mask:0xf
	v_cndmask_b32_e64 v67, 0, v67, s4
	v_add_nc_u32_e32 v66, v66, v67
	v_mov_b32_dpp v67, v66 row_shr:4 row_mask:0xf bank_mask:0xf
	v_cndmask_b32_e64 v67, 0, v67, s5
	;; [unrolled: 3-line block ×3, first 2 shown]
	v_add_nc_u32_e32 v66, v66, v67
	ds_swizzle_b32 v67, v66 offset:swizzle(BROADCAST,32,15)
	s_waitcnt lgkmcnt(0)
	v_cndmask_b32_e64 v67, v67, 0, s8
	v_add_nc_u32_e32 v66, v66, v67
	s_and_saveexec_b32 s16, s9
; %bb.340:                              ;   in Loop: Header=BB398_335 Depth=1
	ds_write_b32 v49, v66
; %bb.341:                              ;   in Loop: Header=BB398_335 Depth=1
	s_or_b32 exec_lo, exec_lo, s16
	s_waitcnt lgkmcnt(0)
	s_barrier
	buffer_gl0_inv
	s_and_saveexec_b32 s16, s10
	s_cbranch_execz .LBB398_343
; %bb.342:                              ;   in Loop: Header=BB398_335 Depth=1
	ds_read_b32 v67, v51
	s_waitcnt lgkmcnt(0)
	v_mov_b32_dpp v68, v67 row_shr:1 row_mask:0xf bank_mask:0xf
	v_cndmask_b32_e64 v68, v68, 0, s13
	v_add_nc_u32_e32 v67, v68, v67
	v_mov_b32_dpp v68, v67 row_shr:2 row_mask:0xf bank_mask:0xf
	v_cndmask_b32_e64 v68, 0, v68, s14
	v_add_nc_u32_e32 v67, v67, v68
	;; [unrolled: 3-line block ×3, first 2 shown]
	ds_write_b32 v51, v67
.LBB398_343:                            ;   in Loop: Header=BB398_335 Depth=1
	s_or_b32 exec_lo, exec_lo, s16
	v_mov_b32_e32 v67, 0
	s_waitcnt lgkmcnt(0)
	s_barrier
	buffer_gl0_inv
	s_and_saveexec_b32 s16, s11
; %bb.344:                              ;   in Loop: Header=BB398_335 Depth=1
	ds_read_b32 v67, v53
; %bb.345:                              ;   in Loop: Header=BB398_335 Depth=1
	s_or_b32 exec_lo, exec_lo, s16
	s_waitcnt lgkmcnt(0)
	v_add_nc_u32_e32 v66, v67, v66
	v_add_nc_u32_e32 v10, 8, v10
	s_mov_b32 s21, -1
	s_mov_b32 s17, exec_lo
	ds_bpermute_b32 v66, v48, v66
	s_waitcnt lgkmcnt(0)
	v_cndmask_b32_e64 v66, v66, v67, s6
	v_cndmask_b32_e64 v66, v66, 0, s12
	v_add_nc_u32_e32 v24, v66, v24
	v_add_nc_u32_e32 v25, v24, v25
	ds_write_b32 v9, v66
	ds_write_b32 v31, v24
	ds_write_b32 v32, v25
	v_add_nc_u32_e32 v26, v25, v26
	v_add_nc_u32_e32 v27, v26, v27
	;; [unrolled: 1-line block ×5, first 2 shown]
	ds_write_b32 v33, v26
	ds_write_b32 v34, v27
	;; [unrolled: 1-line block ×5, first 2 shown]
	s_waitcnt lgkmcnt(0)
	s_barrier
	buffer_gl0_inv
	ds_read_b32 v19, v19
	ds_read_b32 v22, v22
	s_waitcnt lgkmcnt(0)
	v_add_nc_u32_e32 v18, v19, v18
	v_add3_u32 v19, v21, v20, v22
                                        ; implicit-def: $vgpr20_vgpr21
	v_add_co_u32 v28, s16, v12, v18
	v_add_co_ci_u32_e64 v29, null, 0, v13, s16
	v_add_co_u32 v26, s16, v12, v19
	v_add_co_ci_u32_e64 v27, null, 0, v13, s16
	v_mad_u64_u32 v[24:25], null, v18, 7, v[28:29]
	v_mad_u64_u32 v[22:23], null, v19, 7, v[26:27]
	v_mov_b32_e32 v23, v39
                                        ; implicit-def: $vgpr18_vgpr19
	v_cmpx_lt_u32_e64 v10, v11
	s_cbranch_execz .LBB398_334
; %bb.346:                              ;   in Loop: Header=BB398_335 Depth=1
	s_barrier
	buffer_gl0_inv
	ds_write_b8 v28, v39
	ds_write_b8 v26, v65
	s_waitcnt lgkmcnt(0)
	s_barrier
	buffer_gl0_inv
	ds_read_u8 v25, v54
	ds_read_u8 v27, v30
	s_waitcnt lgkmcnt(0)
	s_barrier
	buffer_gl0_inv
	ds_write_b64 v24, v[16:17]
	ds_write_b64 v22, v[4:5]
	s_waitcnt lgkmcnt(0)
	s_barrier
	buffer_gl0_inv
	ds_read_b64 v[18:19], v52
	ds_read_b64 v[20:21], v55
	v_add_nc_u32_e32 v64, -8, v64
	s_xor_b32 s21, exec_lo, -1
	s_waitcnt lgkmcnt(0)
	s_barrier
	buffer_gl0_inv
	v_perm_b32 v39, v27, v25, 0xc0c0004
	s_branch .LBB398_334
.LBB398_347:
	flat_load_dwordx2 v[26:27], v[4:5]
	s_or_b32 exec_lo, exec_lo, s7
                                        ; implicit-def: $vgpr28_vgpr29
	s_and_saveexec_b32 s7, s4
	s_cbranch_execz .LBB398_274
.LBB398_348:
	flat_load_dwordx2 v[28:29], v[4:5] offset:256
	s_or_b32 exec_lo, exec_lo, s7
                                        ; implicit-def: $vgpr22_vgpr23
	s_and_saveexec_b32 s4, s5
	s_cbranch_execz .LBB398_275
.LBB398_349:
	flat_load_dwordx2 v[22:23], v[4:5] offset:512
	s_or_b32 exec_lo, exec_lo, s4
                                        ; implicit-def: $vgpr24_vgpr25
	s_and_saveexec_b32 s4, s6
	s_cbranch_execnz .LBB398_276
	s_branch .LBB398_277
.LBB398_350:
	flat_store_dwordx2 v[0:1], v[13:14]
	s_or_b32 exec_lo, exec_lo, s7
	s_and_saveexec_b32 s7, s6
	s_cbranch_execz .LBB398_319
.LBB398_351:
	v_add_co_u32 v2, vcc_lo, 0x800, v0
	v_add_co_ci_u32_e64 v3, null, 0, v1, vcc_lo
	flat_store_dwordx2 v[2:3], v[15:16]
	s_or_b32 exec_lo, exec_lo, s7
	s_and_saveexec_b32 s6, s5
	s_cbranch_execz .LBB398_320
.LBB398_352:
	v_add_co_u32 v2, vcc_lo, 0x1000, v0
	v_add_co_ci_u32_e64 v3, null, 0, v1, vcc_lo
	flat_store_dwordx2 v[2:3], v[9:10]
	s_or_b32 exec_lo, exec_lo, s6
	s_and_saveexec_b32 s5, s4
	s_cbranch_execnz .LBB398_321
	s_branch .LBB398_322
.LBB398_353:
	s_or_b32 exec_lo, exec_lo, s20
	v_add_nc_u32_e32 v9, v12, v14
	v_mul_u32_u24_e32 v10, 7, v14
	s_barrier
	buffer_gl0_inv
	ds_write_b8 v28, v23
	ds_write_b8 v26, v65
	s_waitcnt lgkmcnt(0)
	s_barrier
	buffer_gl0_inv
	ds_read_u8 v18, v9
	ds_read_u8 v13, v9 offset:256
	v_add_nc_u32_e32 v9, v9, v10
	s_waitcnt lgkmcnt(0)
	s_barrier
	buffer_gl0_inv
	ds_write_b64 v24, v[16:17]
	ds_write_b64 v22, v[4:5]
	s_waitcnt lgkmcnt(0)
	s_barrier
	buffer_gl0_inv
	ds_read2st64_b64 v[9:12], v9 offset1:4
	v_add_co_u32 v2, vcc_lo, v2, v8
	v_add_co_ci_u32_e64 v3, null, 0, v3, vcc_lo
	v_mov_b32_e32 v16, 0
	v_add_co_u32 v2, vcc_lo, v2, v15
	v_add_co_ci_u32_e64 v3, null, 0, v3, vcc_lo
	v_cmp_lt_u32_e32 vcc_lo, v15, v226
	s_waitcnt lgkmcnt(0)
	s_barrier
	buffer_gl0_inv
	s_and_saveexec_b32 s4, vcc_lo
	s_cbranch_execz .LBB398_355
; %bb.354:
	v_xor_b32_e32 v4, 0x80, v18
	flat_store_byte v[2:3], v4
.LBB398_355:
	s_or_b32 exec_lo, exec_lo, s4
	v_add_nc_u32_e32 v4, 0x100, v15
	v_cmp_lt_u32_e64 s4, v4, v226
	s_and_saveexec_b32 s5, s4
	s_cbranch_execz .LBB398_357
; %bb.356:
	v_xor_b32_e32 v4, 0x80, v13
	flat_store_byte v[2:3], v4 offset:256
.LBB398_357:
	s_or_b32 exec_lo, exec_lo, s5
	v_lshlrev_b64 v[2:3], 3, v[15:16]
	v_add_co_u32 v0, s5, v6, v0
	v_add_co_ci_u32_e64 v1, null, v7, v1, s5
	v_add_co_u32 v0, s5, v0, v2
	v_add_co_ci_u32_e64 v1, null, v1, v3, s5
	s_and_saveexec_b32 s5, vcc_lo
	s_cbranch_execz .LBB398_359
; %bb.358:
	flat_store_dwordx2 v[0:1], v[9:10]
.LBB398_359:
	s_or_b32 exec_lo, exec_lo, s5
	s_and_saveexec_b32 s5, s4
	s_cbranch_execz .LBB398_361
; %bb.360:
	v_add_co_u32 v0, vcc_lo, 0x800, v0
	v_add_co_ci_u32_e64 v1, null, 0, v1, vcc_lo
	flat_store_dwordx2 v[0:1], v[11:12]
.LBB398_361:
	s_or_b32 exec_lo, exec_lo, s5
                                        ; implicit-def: $vgpr15_vgpr16
                                        ; implicit-def: $vgpr8_vgpr9
                                        ; implicit-def: $vgpr226
                                        ; implicit-def: $vgpr0
                                        ; implicit-def: $vgpr1
                                        ; implicit-def: $vgpr2
                                        ; implicit-def: $vgpr3
                                        ; implicit-def: $vgpr4
                                        ; implicit-def: $vgpr5
                                        ; implicit-def: $vgpr6
                                        ; implicit-def: $vgpr7
                                        ; implicit-def: $vgpr10
                                        ; implicit-def: $vgpr11
                                        ; implicit-def: $vgpr12
                                        ; implicit-def: $vgpr13
                                        ; implicit-def: $vgpr14
                                        ; implicit-def: $vgpr30
.LBB398_362:
	s_andn2_saveexec_b32 s4, s18
	s_cbranch_execz .LBB398_382
; %bb.363:
	v_and_b32_e32 v18, 0xffffffe0, v15
	v_mov_b32_e32 v37, 0xff
	v_or_b32_e32 v16, v30, v18
	v_cmp_lt_u32_e32 vcc_lo, v16, v226
	s_and_saveexec_b32 s5, vcc_lo
	s_cbranch_execz .LBB398_365
; %bb.364:
	v_add_co_u32 v0, s4, v0, v8
	v_add_co_ci_u32_e64 v1, null, 0, v1, s4
	v_add_co_u32 v0, s4, v0, v30
	v_add_co_ci_u32_e64 v1, null, 0, v1, s4
	;; [unrolled: 2-line block ×3, first 2 shown]
	flat_load_ubyte v0, v[0:1]
	s_waitcnt vmcnt(0) lgkmcnt(0)
	v_xor_b32_e32 v37, 0xffffff80, v0
.LBB398_365:
	s_or_b32 exec_lo, exec_lo, s5
	v_lshlrev_b64 v[0:1], 3, v[8:9]
                                        ; implicit-def: $vgpr16_vgpr17
	s_and_saveexec_b32 s4, vcc_lo
	s_cbranch_execz .LBB398_367
; %bb.366:
	v_mov_b32_e32 v19, 0
	v_lshlrev_b32_e32 v9, 3, v30
	v_add_co_u32 v16, vcc_lo, v4, v0
	v_add_co_ci_u32_e64 v17, null, v5, v1, vcc_lo
	v_lshlrev_b64 v[4:5], 3, v[18:19]
	v_add_co_u32 v9, vcc_lo, v16, v9
	v_add_co_ci_u32_e64 v16, null, 0, v17, vcc_lo
	v_add_co_u32 v4, vcc_lo, v9, v4
	v_add_co_ci_u32_e64 v5, null, v16, v5, vcc_lo
	flat_load_dwordx2 v[16:17], v[4:5]
.LBB398_367:
	s_or_b32 exec_lo, exec_lo, s4
	v_lshl_add_u32 v4, v14, 5, v12
	v_and_b32_e32 v5, 15, v30
	v_sub_co_u32 v28, s6, v30, 1
	s_getpc_b64 s[4:5]
	s_add_u32 s4, s4, _ZN7rocprim17ROCPRIM_400000_NS16block_radix_sortIaLj256ELj1ElLj1ELj1ELj8ELNS0_26block_radix_rank_algorithmE2ELNS0_18block_padding_hintE2ELNS0_4arch9wavefront6targetE0EE19radix_bits_per_passE@rel32@lo+4
	s_addc_u32 s5, s5, _ZN7rocprim17ROCPRIM_400000_NS16block_radix_sortIaLj256ELj1ElLj1ELj1ELj8ELNS0_26block_radix_rank_algorithmE2ELNS0_18block_padding_hintE2ELNS0_4arch9wavefront6targetE0EE19radix_bits_per_passE@rel32@hi+12
	v_add_nc_u32_e32 v9, 32, v4
	v_add_nc_u32_e32 v20, 36, v4
	;; [unrolled: 1-line block ×8, first 2 shown]
	v_and_b32_e32 v4, 0x3e0, v14
	s_load_dword s18, s[4:5], 0x0
	v_cmp_eq_u32_e32 vcc_lo, 0, v5
	v_cmp_lt_u32_e64 s4, 1, v5
	v_cmp_lt_u32_e64 s5, 3, v5
	v_min_u32_e32 v18, 0xe0, v4
	v_and_b32_e32 v19, 16, v30
	v_cmp_lt_u32_e64 s7, 7, v5
	v_cmp_gt_i32_e64 s9, 0, v28
	v_or_b32_e32 v4, v30, v4
	v_or_b32_e32 v5, 31, v18
	v_lshrrev_b32_e32 v18, 3, v14
	v_cmp_eq_u32_e64 s8, 0, v19
	v_cndmask_b32_e64 v19, v28, v30, s9
	v_add_nc_u32_e32 v32, v12, v4
	v_cmp_eq_u32_e64 s9, v14, v5
	v_and_b32_e32 v5, 0x7c, v18
	v_mul_u32_u24_e32 v4, 7, v4
	v_lshrrev_b32_e32 v27, 5, v15
	v_cmp_gt_u32_e64 s10, 8, v14
	v_cmp_lt_u32_e64 s11, 31, v14
	v_add_nc_u32_e32 v29, v12, v5
	v_and_b32_e32 v5, 7, v30
	v_lshlrev_b32_e32 v28, 2, v19
	v_cmp_eq_u32_e64 s12, 0, v14
	v_mov_b32_e32 v30, 0
	v_lshl_add_u32 v31, v14, 2, v12
	v_cmp_eq_u32_e64 s13, 0, v5
	v_cmp_lt_u32_e64 s14, 1, v5
	v_cmp_lt_u32_e64 s15, 3, v5
	v_add_nc_u32_e32 v33, -4, v29
	v_add_nc_u32_e32 v34, v32, v4
	v_sub_nc_u32_e32 v35, v11, v10
	s_mov_b32 s19, 0
	s_waitcnt vmcnt(0) lgkmcnt(0)
	s_waitcnt_vscnt null, 0x0
	s_barrier
	buffer_gl0_inv
	s_branch .LBB398_369
.LBB398_368:                            ;   in Loop: Header=BB398_369 Depth=1
	s_or_b32 exec_lo, exec_lo, s17
	s_and_b32 s16, exec_lo, s20
	s_or_b32 s19, s16, s19
	s_andn2_b32 exec_lo, exec_lo, s19
	s_cbranch_execz .LBB398_379
.LBB398_369:                            ; =>This Inner Loop Header: Depth=1
	v_mov_b32_e32 v36, v37
	v_min_u32_e32 v4, s18, v35
	ds_write_b32 v9, v30
	ds_write_b32 v20, v30
	;; [unrolled: 1-line block ×5, first 2 shown]
	v_lshrrev_b32_sdwa v5, v10, v36 dst_sel:DWORD dst_unused:UNUSED_PAD src0_sel:DWORD src1_sel:BYTE_0
	ds_write_b32 v24, v30
	ds_write_b32 v25, v30
	;; [unrolled: 1-line block ×3, first 2 shown]
	s_waitcnt lgkmcnt(0)
	s_barrier
	v_bfe_u32 v18, v5, 0, v4
	buffer_gl0_inv
	; wave barrier
	v_and_b32_e32 v4, 1, v18
	v_lshlrev_b32_e32 v5, 30, v18
	v_lshlrev_b32_e32 v19, 29, v18
	;; [unrolled: 1-line block ×4, first 2 shown]
	v_add_co_u32 v4, s16, v4, -1
	v_cndmask_b32_e64 v38, 0, 1, s16
	v_not_b32_e32 v50, v5
	v_cmp_gt_i32_e64 s17, 0, v5
	v_not_b32_e32 v5, v19
	v_lshlrev_b32_e32 v48, 26, v18
	v_cmp_ne_u32_e64 s16, 0, v38
	v_ashrrev_i32_e32 v50, 31, v50
	v_lshlrev_b32_e32 v49, 25, v18
	v_ashrrev_i32_e32 v5, 31, v5
	v_lshlrev_b32_e32 v38, 24, v18
	v_xor_b32_e32 v4, s16, v4
	v_cmp_gt_i32_e64 s16, 0, v19
	v_not_b32_e32 v19, v37
	v_xor_b32_e32 v50, s17, v50
	v_cmp_gt_i32_e64 s17, 0, v37
	v_and_b32_e32 v4, exec_lo, v4
	v_not_b32_e32 v37, v39
	v_ashrrev_i32_e32 v19, 31, v19
	v_xor_b32_e32 v5, s16, v5
	v_cmp_gt_i32_e64 s16, 0, v39
	v_and_b32_e32 v4, v4, v50
	v_not_b32_e32 v39, v48
	v_ashrrev_i32_e32 v37, 31, v37
	v_xor_b32_e32 v19, s17, v19
	v_cmp_gt_i32_e64 s17, 0, v48
	v_and_b32_e32 v4, v4, v5
	;; [unrolled: 5-line block ×4, first 2 shown]
	v_ashrrev_i32_e32 v19, 31, v19
	v_xor_b32_e32 v37, s16, v5
	v_and_b32_e32 v38, v4, v39
	v_mov_b32_e32 v4, v16
	v_mov_b32_e32 v5, v17
	v_xor_b32_e32 v16, s17, v19
	v_lshlrev_b32_e32 v19, 3, v18
	v_and_b32_e32 v17, v38, v37
	v_and_b32_e32 v18, v17, v16
	v_add_lshl_u32 v17, v19, v27, 2
	v_mbcnt_lo_u32_b32 v16, v18, 0
	v_add_co_u32 v17, null, v12, v17
	v_cmp_ne_u32_e64 s17, 0, v18
	v_cmp_eq_u32_e64 s16, 0, v16
	v_add_co_u32 v17, null, v17, 32
	s_and_b32 s17, s17, s16
	s_and_saveexec_b32 s16, s17
; %bb.370:                              ;   in Loop: Header=BB398_369 Depth=1
	v_bcnt_u32_b32 v18, v18, 0
	ds_write_b32 v17, v18
; %bb.371:                              ;   in Loop: Header=BB398_369 Depth=1
	s_or_b32 exec_lo, exec_lo, s16
	; wave barrier
	s_waitcnt lgkmcnt(0)
	s_barrier
	buffer_gl0_inv
	ds_read_b32 v19, v9
	ds_read_b32 v37, v20
	;; [unrolled: 1-line block ×8, first 2 shown]
	s_waitcnt lgkmcnt(6)
	v_add_nc_u32_e32 v51, v37, v19
	s_waitcnt lgkmcnt(4)
	v_add3_u32 v51, v51, v38, v39
	s_waitcnt lgkmcnt(2)
	v_add3_u32 v51, v51, v48, v49
	;; [unrolled: 2-line block ×3, first 2 shown]
	v_mov_b32_dpp v51, v50 row_shr:1 row_mask:0xf bank_mask:0xf
	v_cndmask_b32_e64 v51, v51, 0, vcc_lo
	v_add_nc_u32_e32 v50, v51, v50
	v_mov_b32_dpp v51, v50 row_shr:2 row_mask:0xf bank_mask:0xf
	v_cndmask_b32_e64 v51, 0, v51, s4
	v_add_nc_u32_e32 v50, v50, v51
	v_mov_b32_dpp v51, v50 row_shr:4 row_mask:0xf bank_mask:0xf
	v_cndmask_b32_e64 v51, 0, v51, s5
	;; [unrolled: 3-line block ×3, first 2 shown]
	v_add_nc_u32_e32 v50, v50, v51
	ds_swizzle_b32 v51, v50 offset:swizzle(BROADCAST,32,15)
	s_waitcnt lgkmcnt(0)
	v_cndmask_b32_e64 v51, v51, 0, s8
	v_add_nc_u32_e32 v50, v50, v51
	s_and_saveexec_b32 s16, s9
; %bb.372:                              ;   in Loop: Header=BB398_369 Depth=1
	ds_write_b32 v29, v50
; %bb.373:                              ;   in Loop: Header=BB398_369 Depth=1
	s_or_b32 exec_lo, exec_lo, s16
	s_waitcnt lgkmcnt(0)
	s_barrier
	buffer_gl0_inv
	s_and_saveexec_b32 s16, s10
	s_cbranch_execz .LBB398_375
; %bb.374:                              ;   in Loop: Header=BB398_369 Depth=1
	ds_read_b32 v51, v31
	s_waitcnt lgkmcnt(0)
	v_mov_b32_dpp v52, v51 row_shr:1 row_mask:0xf bank_mask:0xf
	v_cndmask_b32_e64 v52, v52, 0, s13
	v_add_nc_u32_e32 v51, v52, v51
	v_mov_b32_dpp v52, v51 row_shr:2 row_mask:0xf bank_mask:0xf
	v_cndmask_b32_e64 v52, 0, v52, s14
	v_add_nc_u32_e32 v51, v51, v52
	;; [unrolled: 3-line block ×3, first 2 shown]
	ds_write_b32 v31, v51
.LBB398_375:                            ;   in Loop: Header=BB398_369 Depth=1
	s_or_b32 exec_lo, exec_lo, s16
	v_mov_b32_e32 v51, 0
	s_waitcnt lgkmcnt(0)
	s_barrier
	buffer_gl0_inv
	s_and_saveexec_b32 s16, s11
; %bb.376:                              ;   in Loop: Header=BB398_369 Depth=1
	ds_read_b32 v51, v33
; %bb.377:                              ;   in Loop: Header=BB398_369 Depth=1
	s_or_b32 exec_lo, exec_lo, s16
	s_waitcnt lgkmcnt(0)
	v_add_nc_u32_e32 v50, v51, v50
	v_add_nc_u32_e32 v10, 8, v10
	s_mov_b32 s20, -1
	ds_bpermute_b32 v50, v28, v50
	s_waitcnt lgkmcnt(0)
	v_cndmask_b32_e64 v50, v50, v51, s6
	v_cndmask_b32_e64 v50, v50, 0, s12
	v_add_nc_u32_e32 v19, v50, v19
	v_add_nc_u32_e32 v37, v19, v37
	ds_write_b32 v9, v50
	ds_write_b32 v20, v19
	;; [unrolled: 1-line block ×3, first 2 shown]
	v_add_nc_u32_e32 v38, v37, v38
                                        ; implicit-def: $vgpr37
	v_add_nc_u32_e32 v39, v38, v39
	v_add_nc_u32_e32 v48, v39, v48
	;; [unrolled: 1-line block ×4, first 2 shown]
	ds_write_b32 v22, v38
	ds_write_b32 v23, v39
	;; [unrolled: 1-line block ×5, first 2 shown]
	s_waitcnt lgkmcnt(0)
	s_barrier
	buffer_gl0_inv
	ds_read_b32 v17, v17
	s_waitcnt lgkmcnt(0)
	v_add_nc_u32_e32 v38, v17, v16
                                        ; implicit-def: $vgpr16_vgpr17
	v_add_co_u32 v18, s17, v12, v38
	v_add_co_ci_u32_e64 v19, null, 0, v13, s17
	s_mov_b32 s17, exec_lo
	v_cmpx_lt_u32_e64 v10, v11
	s_cbranch_execz .LBB398_368
; %bb.378:                              ;   in Loop: Header=BB398_369 Depth=1
	v_mad_u64_u32 v[16:17], null, v38, 7, v[18:19]
	s_barrier
	buffer_gl0_inv
	ds_write_b8 v18, v36
	s_waitcnt lgkmcnt(0)
	s_barrier
	buffer_gl0_inv
	ds_read_u8 v37, v32
	s_waitcnt lgkmcnt(0)
	s_barrier
	buffer_gl0_inv
	ds_write_b64 v16, v[4:5]
	s_waitcnt lgkmcnt(0)
	s_barrier
	buffer_gl0_inv
	ds_read_b64 v[16:17], v34
	v_add_nc_u32_e32 v35, -8, v35
	s_xor_b32 s20, exec_lo, -1
	s_waitcnt lgkmcnt(0)
	s_barrier
	buffer_gl0_inv
	s_branch .LBB398_368
.LBB398_379:
	s_or_b32 exec_lo, exec_lo, s19
	v_mad_u64_u32 v[10:11], null, v38, 7, v[18:19]
	v_add_nc_u32_e32 v12, v12, v14
	v_mul_u32_u24_e32 v11, 7, v14
	s_barrier
	buffer_gl0_inv
	ds_write_b8 v18, v36
	s_waitcnt lgkmcnt(0)
	v_add_nc_u32_e32 v11, v12, v11
	s_barrier
	buffer_gl0_inv
	ds_read_u8 v9, v12
	s_waitcnt lgkmcnt(0)
	s_barrier
	buffer_gl0_inv
	ds_write_b64 v10, v[4:5]
	s_waitcnt lgkmcnt(0)
	s_barrier
	buffer_gl0_inv
	ds_read_b64 v[4:5], v11
	s_mov_b32 s4, exec_lo
	s_waitcnt lgkmcnt(0)
	s_barrier
	buffer_gl0_inv
	v_cmpx_lt_u32_e64 v15, v226
	s_cbranch_execz .LBB398_381
; %bb.380:
	v_add_co_u32 v2, vcc_lo, v2, v8
	v_mov_b32_e32 v16, 0
	v_add_co_ci_u32_e64 v3, null, 0, v3, vcc_lo
	v_add_co_u32 v2, vcc_lo, v2, v15
	v_lshlrev_b64 v[10:11], 3, v[15:16]
	v_add_co_ci_u32_e64 v3, null, 0, v3, vcc_lo
	v_add_co_u32 v0, vcc_lo, v6, v0
	v_add_co_ci_u32_e64 v1, null, v7, v1, vcc_lo
	v_xor_b32_e32 v6, 0x80, v9
	v_add_co_u32 v0, vcc_lo, v0, v10
	v_add_co_ci_u32_e64 v1, null, v1, v11, vcc_lo
	flat_store_byte v[2:3], v6
	flat_store_dwordx2 v[0:1], v[4:5]
.LBB398_381:
	s_or_b32 exec_lo, exec_lo, s4
.LBB398_382:
	s_or_b32 exec_lo, exec_lo, s25
	s_clause 0x3a
	buffer_load_dword v154, off, s[0:3], s32
	buffer_load_dword v153, off, s[0:3], s32 offset:4
	buffer_load_dword v152, off, s[0:3], s32 offset:8
	;; [unrolled: 1-line block ×58, first 2 shown]
	s_waitcnt vmcnt(0) lgkmcnt(0)
	s_setpc_b64 s[30:31]
.Lfunc_end398:
	.size	_ZN7rocprim17ROCPRIM_400000_NS6detail40segmented_radix_sort_single_block_helperIalLj256ELj17ELb0EE4sortIPKaPaPKlPlEEbT_T0_T1_T2_jjjjRNS3_12storage_typeE, .Lfunc_end398-_ZN7rocprim17ROCPRIM_400000_NS6detail40segmented_radix_sort_single_block_helperIalLj256ELj17ELb0EE4sortIPKaPaPKlPlEEbT_T0_T1_T2_jjjjRNS3_12storage_typeE
                                        ; -- End function
	.set .L_ZN7rocprim17ROCPRIM_400000_NS6detail40segmented_radix_sort_single_block_helperIalLj256ELj17ELb0EE4sortIPKaPaPKlPlEEbT_T0_T1_T2_jjjjRNS3_12storage_typeE.num_vgpr, 248
	.set .L_ZN7rocprim17ROCPRIM_400000_NS6detail40segmented_radix_sort_single_block_helperIalLj256ELj17ELb0EE4sortIPKaPaPKlPlEEbT_T0_T1_T2_jjjjRNS3_12storage_typeE.num_agpr, 0
	.set .L_ZN7rocprim17ROCPRIM_400000_NS6detail40segmented_radix_sort_single_block_helperIalLj256ELj17ELb0EE4sortIPKaPaPKlPlEEbT_T0_T1_T2_jjjjRNS3_12storage_typeE.numbered_sgpr, 33
	.set .L_ZN7rocprim17ROCPRIM_400000_NS6detail40segmented_radix_sort_single_block_helperIalLj256ELj17ELb0EE4sortIPKaPaPKlPlEEbT_T0_T1_T2_jjjjRNS3_12storage_typeE.num_named_barrier, 0
	.set .L_ZN7rocprim17ROCPRIM_400000_NS6detail40segmented_radix_sort_single_block_helperIalLj256ELj17ELb0EE4sortIPKaPaPKlPlEEbT_T0_T1_T2_jjjjRNS3_12storage_typeE.private_seg_size, 240
	.set .L_ZN7rocprim17ROCPRIM_400000_NS6detail40segmented_radix_sort_single_block_helperIalLj256ELj17ELb0EE4sortIPKaPaPKlPlEEbT_T0_T1_T2_jjjjRNS3_12storage_typeE.uses_vcc, 1
	.set .L_ZN7rocprim17ROCPRIM_400000_NS6detail40segmented_radix_sort_single_block_helperIalLj256ELj17ELb0EE4sortIPKaPaPKlPlEEbT_T0_T1_T2_jjjjRNS3_12storage_typeE.uses_flat_scratch, 0
	.set .L_ZN7rocprim17ROCPRIM_400000_NS6detail40segmented_radix_sort_single_block_helperIalLj256ELj17ELb0EE4sortIPKaPaPKlPlEEbT_T0_T1_T2_jjjjRNS3_12storage_typeE.has_dyn_sized_stack, 0
	.set .L_ZN7rocprim17ROCPRIM_400000_NS6detail40segmented_radix_sort_single_block_helperIalLj256ELj17ELb0EE4sortIPKaPaPKlPlEEbT_T0_T1_T2_jjjjRNS3_12storage_typeE.has_recursion, 0
	.set .L_ZN7rocprim17ROCPRIM_400000_NS6detail40segmented_radix_sort_single_block_helperIalLj256ELj17ELb0EE4sortIPKaPaPKlPlEEbT_T0_T1_T2_jjjjRNS3_12storage_typeE.has_indirect_call, 0
	.section	.AMDGPU.csdata,"",@progbits
; Function info:
; codeLenInByte = 29768
; TotalNumSgprs: 35
; NumVgprs: 248
; ScratchSize: 240
; MemoryBound: 1
	.section	.text._ZN7rocprim17ROCPRIM_400000_NS6detail17trampoline_kernelINS0_14default_configENS1_36segmented_radix_sort_config_selectorIalEEZNS1_25segmented_radix_sort_implIS3_Lb0EPKaPaPKlPlN2at6native12_GLOBAL__N_18offset_tEEE10hipError_tPvRmT1_PNSt15iterator_traitsISK_E10value_typeET2_T3_PNSL_ISQ_E10value_typeET4_jRbjT5_SW_jjP12ihipStream_tbEUlT_E_NS1_11comp_targetILNS1_3genE8ELNS1_11target_archE1030ELNS1_3gpuE2ELNS1_3repE0EEENS1_30default_config_static_selectorELNS0_4arch9wavefront6targetE0EEEvSK_,"axG",@progbits,_ZN7rocprim17ROCPRIM_400000_NS6detail17trampoline_kernelINS0_14default_configENS1_36segmented_radix_sort_config_selectorIalEEZNS1_25segmented_radix_sort_implIS3_Lb0EPKaPaPKlPlN2at6native12_GLOBAL__N_18offset_tEEE10hipError_tPvRmT1_PNSt15iterator_traitsISK_E10value_typeET2_T3_PNSL_ISQ_E10value_typeET4_jRbjT5_SW_jjP12ihipStream_tbEUlT_E_NS1_11comp_targetILNS1_3genE8ELNS1_11target_archE1030ELNS1_3gpuE2ELNS1_3repE0EEENS1_30default_config_static_selectorELNS0_4arch9wavefront6targetE0EEEvSK_,comdat
	.globl	_ZN7rocprim17ROCPRIM_400000_NS6detail17trampoline_kernelINS0_14default_configENS1_36segmented_radix_sort_config_selectorIalEEZNS1_25segmented_radix_sort_implIS3_Lb0EPKaPaPKlPlN2at6native12_GLOBAL__N_18offset_tEEE10hipError_tPvRmT1_PNSt15iterator_traitsISK_E10value_typeET2_T3_PNSL_ISQ_E10value_typeET4_jRbjT5_SW_jjP12ihipStream_tbEUlT_E_NS1_11comp_targetILNS1_3genE8ELNS1_11target_archE1030ELNS1_3gpuE2ELNS1_3repE0EEENS1_30default_config_static_selectorELNS0_4arch9wavefront6targetE0EEEvSK_ ; -- Begin function _ZN7rocprim17ROCPRIM_400000_NS6detail17trampoline_kernelINS0_14default_configENS1_36segmented_radix_sort_config_selectorIalEEZNS1_25segmented_radix_sort_implIS3_Lb0EPKaPaPKlPlN2at6native12_GLOBAL__N_18offset_tEEE10hipError_tPvRmT1_PNSt15iterator_traitsISK_E10value_typeET2_T3_PNSL_ISQ_E10value_typeET4_jRbjT5_SW_jjP12ihipStream_tbEUlT_E_NS1_11comp_targetILNS1_3genE8ELNS1_11target_archE1030ELNS1_3gpuE2ELNS1_3repE0EEENS1_30default_config_static_selectorELNS0_4arch9wavefront6targetE0EEEvSK_
	.p2align	8
	.type	_ZN7rocprim17ROCPRIM_400000_NS6detail17trampoline_kernelINS0_14default_configENS1_36segmented_radix_sort_config_selectorIalEEZNS1_25segmented_radix_sort_implIS3_Lb0EPKaPaPKlPlN2at6native12_GLOBAL__N_18offset_tEEE10hipError_tPvRmT1_PNSt15iterator_traitsISK_E10value_typeET2_T3_PNSL_ISQ_E10value_typeET4_jRbjT5_SW_jjP12ihipStream_tbEUlT_E_NS1_11comp_targetILNS1_3genE8ELNS1_11target_archE1030ELNS1_3gpuE2ELNS1_3repE0EEENS1_30default_config_static_selectorELNS0_4arch9wavefront6targetE0EEEvSK_,@function
_ZN7rocprim17ROCPRIM_400000_NS6detail17trampoline_kernelINS0_14default_configENS1_36segmented_radix_sort_config_selectorIalEEZNS1_25segmented_radix_sort_implIS3_Lb0EPKaPaPKlPlN2at6native12_GLOBAL__N_18offset_tEEE10hipError_tPvRmT1_PNSt15iterator_traitsISK_E10value_typeET2_T3_PNSL_ISQ_E10value_typeET4_jRbjT5_SW_jjP12ihipStream_tbEUlT_E_NS1_11comp_targetILNS1_3genE8ELNS1_11target_archE1030ELNS1_3gpuE2ELNS1_3repE0EEENS1_30default_config_static_selectorELNS0_4arch9wavefront6targetE0EEEvSK_: ; @_ZN7rocprim17ROCPRIM_400000_NS6detail17trampoline_kernelINS0_14default_configENS1_36segmented_radix_sort_config_selectorIalEEZNS1_25segmented_radix_sort_implIS3_Lb0EPKaPaPKlPlN2at6native12_GLOBAL__N_18offset_tEEE10hipError_tPvRmT1_PNSt15iterator_traitsISK_E10value_typeET2_T3_PNSL_ISQ_E10value_typeET4_jRbjT5_SW_jjP12ihipStream_tbEUlT_E_NS1_11comp_targetILNS1_3genE8ELNS1_11target_archE1030ELNS1_3gpuE2ELNS1_3repE0EEENS1_30default_config_static_selectorELNS0_4arch9wavefront6targetE0EEEvSK_
; %bb.0:
	s_load_dwordx2 s[12:13], s[4:5], 0x38
	s_mov_b32 s28, s7
	s_mov_b32 s7, 0
	s_add_u32 s0, s0, s8
	s_addc_u32 s1, s1, 0
	s_lshl_b64 s[14:15], s[6:7], 2
	s_load_dwordx4 s[8:11], s[4:5], 0x40
	s_mov_b32 s32, 0
	s_waitcnt lgkmcnt(0)
	s_add_u32 s12, s12, s14
	s_addc_u32 s13, s13, s15
	s_load_dword s7, s[12:13], 0x0
	s_waitcnt lgkmcnt(0)
	s_add_i32 s58, s7, s9
	s_add_i32 s59, s7, s11
	s_mul_i32 s58, s58, s8
	s_mul_i32 s59, s59, s10
	s_cmp_le_u32 s59, s58
	s_cbranch_scc1 .LBB399_1254
; %bb.1:
	s_clause 0x3
	s_load_dword s7, s[4:5], 0x30
	s_load_dwordx4 s[52:55], s[4:5], 0x20
	s_load_dwordx4 s[40:43], s[4:5], 0x50
	s_load_dwordx8 s[44:51], s[4:5], 0x0
	s_waitcnt lgkmcnt(0)
	s_bitcmp1_b32 s7, 0
	s_mov_b32 s7, -1
	s_cselect_b32 s43, -1, 0
	s_sub_i32 s60, s59, s58
	s_cmpk_lt_u32 s60, 0x1101
	s_cbranch_scc0 .LBB399_7
; %bb.2:
	v_cndmask_b32_e64 v3, 0, 1, s43
	s_and_b32 s7, s40, 1
	v_lshlrev_b32_e32 v41, 20, v2
	v_lshlrev_b32_e32 v42, 10, v1
	v_cmp_ne_u32_e32 vcc_lo, s7, v3
	s_mov_b32 s7, -1
	s_cbranch_vccnz .LBB399_4
; %bb.3:
	s_mov_b64 s[10:11], src_shared_base
	v_or3_b32 v31, v0, v42, v41
	v_mov_b32_e32 v40, v0
	v_mov_b32_e32 v0, s44
	;; [unrolled: 1-line block ×17, first 2 shown]
	s_add_u32 s8, s4, 0x60
	s_addc_u32 s9, s5, 0
	s_getpc_b64 s[14:15]
	s_add_u32 s14, s14, _ZN7rocprim17ROCPRIM_400000_NS6detail40segmented_radix_sort_single_block_helperIalLj256ELj17ELb0EE4sortIPKaPaPKlPlEEbT_T0_T1_T2_jjjjRNS3_12storage_typeE@rel32@lo+4
	s_addc_u32 s15, s15, _ZN7rocprim17ROCPRIM_400000_NS6detail40segmented_radix_sort_single_block_helperIalLj256ELj17ELb0EE4sortIPKaPaPKlPlEEbT_T0_T1_T2_jjjjRNS3_12storage_typeE@rel32@hi+12
	s_mov_b32 s12, s6
	s_mov_b32 s13, s28
	;; [unrolled: 1-line block ×3, first 2 shown]
	s_mov_b64 s[36:37], s[4:5]
	s_swappc_b64 s[30:31], s[14:15]
	v_mov_b32_e32 v1, v43
	v_mov_b32_e32 v2, v44
	;; [unrolled: 1-line block ×3, first 2 shown]
	s_mov_b64 s[4:5], s[36:37]
	s_mov_b32 s6, s34
	s_mov_b32 s7, 0
.LBB399_4:
	s_andn2_b32 vcc_lo, exec_lo, s7
	s_cbranch_vccnz .LBB399_6
; %bb.5:
	s_mov_b64 s[10:11], src_shared_base
	v_or3_b32 v31, v0, v42, v41
	v_mov_b32_e32 v40, v0
	v_mov_b32_e32 v0, s44
	v_mov_b32_e32 v41, v1
	v_mov_b32_e32 v1, s45
	v_mov_b32_e32 v42, v2
	v_mov_b32_e32 v2, s46
	v_mov_b32_e32 v3, s47
	v_mov_b32_e32 v4, s50
	v_mov_b32_e32 v5, s51
	v_mov_b32_e32 v6, s52
	v_mov_b32_e32 v7, s53
	v_mov_b32_e32 v8, s58
	v_mov_b32_e32 v9, s59
	v_mov_b32_e32 v10, s41
	v_mov_b32_e32 v11, s42
	v_mov_b32_e32 v12, 0
	v_mov_b32_e32 v13, s11
	s_add_u32 s8, s4, 0x60
	s_addc_u32 s9, s5, 0
	s_getpc_b64 s[14:15]
	s_add_u32 s14, s14, _ZN7rocprim17ROCPRIM_400000_NS6detail40segmented_radix_sort_single_block_helperIalLj256ELj17ELb0EE4sortIPKaPaPKlPlEEbT_T0_T1_T2_jjjjRNS3_12storage_typeE@rel32@lo+4
	s_addc_u32 s15, s15, _ZN7rocprim17ROCPRIM_400000_NS6detail40segmented_radix_sort_single_block_helperIalLj256ELj17ELb0EE4sortIPKaPaPKlPlEEbT_T0_T1_T2_jjjjRNS3_12storage_typeE@rel32@hi+12
	s_mov_b32 s12, s6
	s_mov_b32 s13, s28
	;; [unrolled: 1-line block ×3, first 2 shown]
	s_mov_b64 s[36:37], s[4:5]
	s_swappc_b64 s[30:31], s[14:15]
	v_mov_b32_e32 v1, v41
	v_mov_b32_e32 v2, v42
	;; [unrolled: 1-line block ×3, first 2 shown]
	s_mov_b64 s[4:5], s[36:37]
	s_mov_b32 s6, s34
.LBB399_6:
	s_mov_b32 s7, 0
.LBB399_7:
	s_andn2_b32 vcc_lo, exec_lo, s7
	s_cbranch_vccnz .LBB399_1254
; %bb.8:
	s_cmp_ge_u32 s41, s42
	s_cbranch_scc1 .LBB399_1254
; %bb.9:
	v_lshlrev_b32_e32 v43, 2, v0
	v_and_b32_e32 v3, 3, v0
	v_and_b32_e32 v5, 0xe0, v0
	s_add_u32 s56, s4, 0x60
	v_lshrrev_b32_e32 v7, 3, v0
	v_mad_u32_u24 v64, v0, 12, v43
	v_lshlrev_b32_e32 v63, 2, v3
	v_min_u32_e32 v6, 0x60, v5
	v_or_b32_e32 v3, 31, v5
	v_mul_u32_u24_e32 v68, 17, v5
	v_add_nc_u32_e32 v69, v64, v43
	v_lshlrev_b32_e32 v5, 4, v0
	v_or_b32_e32 v6, 31, v6
	v_cmp_eq_u32_e64 s4, v0, v3
	v_add_nc_u32_e32 v3, 1, v0
	v_mbcnt_lo_u32_b32 v86, -1, 0
	v_sub_nc_u32_e32 v70, v69, v5
	v_lshlrev_b32_e32 v5, 3, v68
	v_cmp_eq_u32_e64 s8, v0, v6
	v_mul_u32_u24_e32 v71, 36, v3
	v_cmp_ne_u32_e64 s13, 0x80, v3
	v_and_b32_e32 v62, 28, v7
	v_add_co_u32 v73, s14, s54, v5
	v_add_co_ci_u32_e64 v74, null, s55, 0, s14
	v_add_co_u32 v3, s14, s48, v68
	v_add_co_ci_u32_e64 v6, null, s49, 0, s14
	;; [unrolled: 2-line block ×6, first 2 shown]
	v_add_co_u32 v84, s14, s50, v5
	v_add_co_u32 v45, s7, s48, v0
	v_add_co_ci_u32_e64 v85, null, s51, 0, s14
	v_add_co_u32 v87, s14, s44, v68
	v_add_co_u32 v90, vcc_lo, v3, v86
	v_mov_b32_e32 v4, 0
	v_or_b32_e32 v44, 0x100, v0
	v_add_co_ci_u32_e64 v46, null, s49, 0, s7
	v_or_b32_e32 v47, 0x200, v0
	v_or_b32_e32 v48, 0x300, v0
	;; [unrolled: 1-line block ×15, first 2 shown]
	v_cmp_gt_u32_e64 s7, 0x80, v0
	v_or_b32_e32 v65, 0x8a00, v62
	v_cmp_gt_u32_e64 s9, 4, v0
	v_add_nc_u32_e32 v66, 0x8a00, v43
	v_cmp_lt_u32_e64 s10, 31, v0
	v_add_nc_u32_e32 v67, 0x89fc, v62
	v_cmp_gt_u32_e64 s11, 8, v0
	v_cmp_eq_u32_e64 s12, 0, v0
	v_lshlrev_b32_e32 v72, 5, v0
	v_mul_u32_u24_e32 v75, 7, v0
	v_add_co_ci_u32_e64 v88, null, s45, 0, s14
	v_mov_b32_e32 v89, 1
	v_add_co_ci_u32_e64 v91, null, 0, v6, vcc_lo
	v_mov_b32_e32 v92, 0xffff
	v_mov_b32_e32 v93, 0x80
	s_addc_u32 s57, s5, 0
	s_mov_b32 s51, 0
	s_mov_b32 s61, s41
	s_branch .LBB399_12
.LBB399_10:                             ;   in Loop: Header=BB399_12 Depth=1
	s_waitcnt lgkmcnt(0)
	s_barrier
.LBB399_11:                             ;   in Loop: Header=BB399_12 Depth=1
	s_add_i32 s61, s61, 7
	buffer_gl0_inv
	s_cmp_ge_u32 s61, s42
	s_cbranch_scc1 .LBB399_1254
.LBB399_12:                             ; =>This Loop Header: Depth=1
                                        ;     Child Loop BB399_16 Depth 2
                                        ;     Child Loop BB399_100 Depth 2
	;; [unrolled: 1-line block ×8, first 2 shown]
	s_sub_i32 s5, s42, s61
	s_xor_b32 s43, s43, -1
	s_min_u32 s5, s5, 7
	ds_write2st64_b32 v43, v4, v4 offset1:4
	s_lshl_b32 s5, -1, s5
	s_waitcnt lgkmcnt(0)
	s_waitcnt_vscnt null, 0x0
	s_not_b32 s62, s5
	s_cmp_lg_u32 s61, s41
	s_mov_b32 s5, -1
	s_cbranch_scc0 .LBB399_634
; %bb.13:                               ;   in Loop: Header=BB399_12 Depth=1
	s_and_b32 vcc_lo, exec_lo, s43
	s_cbranch_vccz .LBB399_323
; %bb.14:                               ;   in Loop: Header=BB399_12 Depth=1
	v_mov_b32_e32 v17, 0
	v_mov_b32_e32 v20, 0
	;; [unrolled: 1-line block ×17, first 2 shown]
	s_mov_b32 s5, s60
	s_mov_b32 s16, s58
	s_barrier
	buffer_gl0_inv
	s_branch .LBB399_16
.LBB399_15:                             ;   in Loop: Header=BB399_16 Depth=2
	s_or_b32 exec_lo, exec_lo, s15
	s_addk_i32 s5, 0xef00
	s_cmp_ge_u32 s14, s59
	s_mov_b32 s16, s14
	s_cbranch_scc1 .LBB399_88
.LBB399_16:                             ;   Parent Loop BB399_12 Depth=1
                                        ; =>  This Inner Loop Header: Depth=2
	s_add_i32 s14, s16, 0x1100
	s_mov_b32 s15, -1
	s_cmp_gt_u32 s14, s59
                                        ; implicit-def: $vgpr21
                                        ; implicit-def: $vgpr22
                                        ; implicit-def: $vgpr23
                                        ; implicit-def: $vgpr24
                                        ; implicit-def: $vgpr25
                                        ; implicit-def: $vgpr26
                                        ; implicit-def: $vgpr27
                                        ; implicit-def: $vgpr28
                                        ; implicit-def: $vgpr29
                                        ; implicit-def: $vgpr30
                                        ; implicit-def: $vgpr31
                                        ; implicit-def: $vgpr32
                                        ; implicit-def: $vgpr33
                                        ; implicit-def: $vgpr34
                                        ; implicit-def: $vgpr35
                                        ; implicit-def: $vgpr36
                                        ; implicit-def: $vgpr37
	s_cbranch_scc1 .LBB399_18
; %bb.17:                               ;   in Loop: Header=BB399_16 Depth=2
	v_add_co_u32 v38, vcc_lo, v45, s16
	v_add_co_ci_u32_e64 v39, null, 0, v46, vcc_lo
	s_mov_b32 s15, 0
	v_add_co_u32 v21, vcc_lo, 0x800, v38
	v_add_co_ci_u32_e64 v22, null, 0, v39, vcc_lo
	v_add_co_u32 v23, vcc_lo, 0x1000, v38
	v_add_co_ci_u32_e64 v24, null, 0, v39, vcc_lo
	s_clause 0x10
	global_load_ubyte v36, v[21:22], off offset:1792
	global_load_ubyte v37, v[23:24], off
	global_load_ubyte v35, v[21:22], off offset:1536
	global_load_ubyte v34, v[21:22], off offset:1280
	;; [unrolled: 1-line block ×6, first 2 shown]
	global_load_ubyte v29, v[21:22], off
	global_load_ubyte v28, v[38:39], off offset:1792
	global_load_ubyte v27, v[38:39], off offset:1536
	;; [unrolled: 1-line block ×7, first 2 shown]
	global_load_ubyte v21, v[38:39], off
.LBB399_18:                             ;   in Loop: Header=BB399_16 Depth=2
	s_andn2_b32 vcc_lo, exec_lo, s15
	s_movk_i32 s15, 0x1100
	s_cbranch_vccnz .LBB399_38
; %bb.19:                               ;   in Loop: Header=BB399_16 Depth=2
	s_add_u32 s15, s48, s16
	s_addc_u32 s16, s49, 0
	s_mov_b32 s17, exec_lo
	v_cmpx_gt_u32_e64 s5, v0
	s_cbranch_execnz .LBB399_72
; %bb.20:                               ;   in Loop: Header=BB399_16 Depth=2
	s_or_b32 exec_lo, exec_lo, s17
	s_mov_b32 s17, exec_lo
	v_cmpx_gt_u32_e64 s5, v44
	s_cbranch_execnz .LBB399_73
.LBB399_21:                             ;   in Loop: Header=BB399_16 Depth=2
	s_or_b32 exec_lo, exec_lo, s17
	s_mov_b32 s17, exec_lo
	v_cmpx_gt_u32_e64 s5, v47
	s_cbranch_execnz .LBB399_74
.LBB399_22:                             ;   in Loop: Header=BB399_16 Depth=2
	s_or_b32 exec_lo, exec_lo, s17
	s_mov_b32 s17, exec_lo
	v_cmpx_gt_u32_e64 s5, v48
	s_cbranch_execnz .LBB399_75
.LBB399_23:                             ;   in Loop: Header=BB399_16 Depth=2
	s_or_b32 exec_lo, exec_lo, s17
	s_mov_b32 s17, exec_lo
	v_cmpx_gt_u32_e64 s5, v49
	s_cbranch_execnz .LBB399_76
.LBB399_24:                             ;   in Loop: Header=BB399_16 Depth=2
	s_or_b32 exec_lo, exec_lo, s17
	s_mov_b32 s17, exec_lo
	v_cmpx_gt_u32_e64 s5, v50
	s_cbranch_execnz .LBB399_77
.LBB399_25:                             ;   in Loop: Header=BB399_16 Depth=2
	s_or_b32 exec_lo, exec_lo, s17
	s_mov_b32 s17, exec_lo
	v_cmpx_gt_u32_e64 s5, v51
	s_cbranch_execnz .LBB399_78
.LBB399_26:                             ;   in Loop: Header=BB399_16 Depth=2
	s_or_b32 exec_lo, exec_lo, s17
	s_mov_b32 s17, exec_lo
	v_cmpx_gt_u32_e64 s5, v52
	s_cbranch_execnz .LBB399_79
.LBB399_27:                             ;   in Loop: Header=BB399_16 Depth=2
	s_or_b32 exec_lo, exec_lo, s17
	s_mov_b32 s17, exec_lo
	v_cmpx_gt_u32_e64 s5, v53
	s_cbranch_execnz .LBB399_80
.LBB399_28:                             ;   in Loop: Header=BB399_16 Depth=2
	s_or_b32 exec_lo, exec_lo, s17
	s_mov_b32 s17, exec_lo
	v_cmpx_gt_u32_e64 s5, v54
	s_cbranch_execnz .LBB399_81
.LBB399_29:                             ;   in Loop: Header=BB399_16 Depth=2
	s_or_b32 exec_lo, exec_lo, s17
	s_mov_b32 s17, exec_lo
	v_cmpx_gt_u32_e64 s5, v55
	s_cbranch_execnz .LBB399_82
.LBB399_30:                             ;   in Loop: Header=BB399_16 Depth=2
	s_or_b32 exec_lo, exec_lo, s17
	s_mov_b32 s17, exec_lo
	v_cmpx_gt_u32_e64 s5, v56
	s_cbranch_execnz .LBB399_83
.LBB399_31:                             ;   in Loop: Header=BB399_16 Depth=2
	s_or_b32 exec_lo, exec_lo, s17
	s_mov_b32 s17, exec_lo
	v_cmpx_gt_u32_e64 s5, v57
	s_cbranch_execnz .LBB399_84
.LBB399_32:                             ;   in Loop: Header=BB399_16 Depth=2
	s_or_b32 exec_lo, exec_lo, s17
	s_mov_b32 s17, exec_lo
	v_cmpx_gt_u32_e64 s5, v58
	s_cbranch_execnz .LBB399_85
.LBB399_33:                             ;   in Loop: Header=BB399_16 Depth=2
	s_or_b32 exec_lo, exec_lo, s17
	s_mov_b32 s17, exec_lo
	v_cmpx_gt_u32_e64 s5, v59
	s_cbranch_execnz .LBB399_86
.LBB399_34:                             ;   in Loop: Header=BB399_16 Depth=2
	s_or_b32 exec_lo, exec_lo, s17
	s_mov_b32 s17, exec_lo
	v_cmpx_gt_u32_e64 s5, v60
	s_cbranch_execnz .LBB399_87
.LBB399_35:                             ;   in Loop: Header=BB399_16 Depth=2
	s_or_b32 exec_lo, exec_lo, s17
	s_mov_b32 s17, exec_lo
	v_cmpx_gt_u32_e64 s5, v61
	s_cbranch_execz .LBB399_37
.LBB399_36:                             ;   in Loop: Header=BB399_16 Depth=2
	s_waitcnt vmcnt(0)
	v_add_co_u32 v21, s15, s15, v61
	v_add_co_ci_u32_e64 v22, null, s16, 0, s15
	global_load_ubyte v3, v[21:22], off
.LBB399_37:                             ;   in Loop: Header=BB399_16 Depth=2
	s_or_b32 exec_lo, exec_lo, s17
	s_waitcnt vmcnt(0)
	v_mov_b32_e32 v21, v17
	v_mov_b32_e32 v22, v20
	;; [unrolled: 1-line block ×17, first 2 shown]
	s_mov_b32 s15, s5
.LBB399_38:                             ;   in Loop: Header=BB399_16 Depth=2
	s_waitcnt vmcnt(15)
	v_mov_b32_e32 v3, v37
	v_mov_b32_e32 v5, v36
	s_waitcnt vmcnt(14)
	v_mov_b32_e32 v6, v35
	s_waitcnt vmcnt(13)
	;; [unrolled: 2-line block ×15, first 2 shown]
	v_mov_b32_e32 v17, v21
	s_mov_b32 s16, exec_lo
	v_cmpx_gt_u32_e64 s15, v0
	s_cbranch_execnz .LBB399_55
; %bb.39:                               ;   in Loop: Header=BB399_16 Depth=2
	s_or_b32 exec_lo, exec_lo, s16
	s_mov_b32 s16, exec_lo
	v_cmpx_gt_u32_e64 s15, v44
	s_cbranch_execnz .LBB399_56
.LBB399_40:                             ;   in Loop: Header=BB399_16 Depth=2
	s_or_b32 exec_lo, exec_lo, s16
	s_mov_b32 s16, exec_lo
	v_cmpx_gt_u32_e64 s15, v47
	s_cbranch_execnz .LBB399_57
.LBB399_41:                             ;   in Loop: Header=BB399_16 Depth=2
	s_or_b32 exec_lo, exec_lo, s16
	s_mov_b32 s16, exec_lo
	v_cmpx_gt_u32_e64 s15, v48
	s_cbranch_execnz .LBB399_58
.LBB399_42:                             ;   in Loop: Header=BB399_16 Depth=2
	s_or_b32 exec_lo, exec_lo, s16
	s_mov_b32 s16, exec_lo
	v_cmpx_gt_u32_e64 s15, v49
	s_cbranch_execnz .LBB399_59
.LBB399_43:                             ;   in Loop: Header=BB399_16 Depth=2
	s_or_b32 exec_lo, exec_lo, s16
	s_mov_b32 s16, exec_lo
	v_cmpx_gt_u32_e64 s15, v50
	s_cbranch_execnz .LBB399_60
.LBB399_44:                             ;   in Loop: Header=BB399_16 Depth=2
	s_or_b32 exec_lo, exec_lo, s16
	s_mov_b32 s16, exec_lo
	v_cmpx_gt_u32_e64 s15, v51
	s_cbranch_execnz .LBB399_61
.LBB399_45:                             ;   in Loop: Header=BB399_16 Depth=2
	s_or_b32 exec_lo, exec_lo, s16
	s_mov_b32 s16, exec_lo
	v_cmpx_gt_u32_e64 s15, v52
	s_cbranch_execnz .LBB399_62
.LBB399_46:                             ;   in Loop: Header=BB399_16 Depth=2
	s_or_b32 exec_lo, exec_lo, s16
	s_mov_b32 s16, exec_lo
	v_cmpx_gt_u32_e64 s15, v53
	s_cbranch_execnz .LBB399_63
.LBB399_47:                             ;   in Loop: Header=BB399_16 Depth=2
	s_or_b32 exec_lo, exec_lo, s16
	s_mov_b32 s16, exec_lo
	v_cmpx_gt_u32_e64 s15, v54
	s_cbranch_execnz .LBB399_64
.LBB399_48:                             ;   in Loop: Header=BB399_16 Depth=2
	s_or_b32 exec_lo, exec_lo, s16
	s_mov_b32 s16, exec_lo
	v_cmpx_gt_u32_e64 s15, v55
	s_cbranch_execnz .LBB399_65
.LBB399_49:                             ;   in Loop: Header=BB399_16 Depth=2
	s_or_b32 exec_lo, exec_lo, s16
	s_mov_b32 s16, exec_lo
	v_cmpx_gt_u32_e64 s15, v56
	s_cbranch_execnz .LBB399_66
.LBB399_50:                             ;   in Loop: Header=BB399_16 Depth=2
	s_or_b32 exec_lo, exec_lo, s16
	s_mov_b32 s16, exec_lo
	v_cmpx_gt_u32_e64 s15, v57
	s_cbranch_execnz .LBB399_67
.LBB399_51:                             ;   in Loop: Header=BB399_16 Depth=2
	s_or_b32 exec_lo, exec_lo, s16
	s_mov_b32 s16, exec_lo
	v_cmpx_gt_u32_e64 s15, v58
	s_cbranch_execnz .LBB399_68
.LBB399_52:                             ;   in Loop: Header=BB399_16 Depth=2
	s_or_b32 exec_lo, exec_lo, s16
	s_mov_b32 s16, exec_lo
	v_cmpx_gt_u32_e64 s15, v59
	s_cbranch_execnz .LBB399_69
.LBB399_53:                             ;   in Loop: Header=BB399_16 Depth=2
	s_or_b32 exec_lo, exec_lo, s16
	s_mov_b32 s16, exec_lo
	v_cmpx_gt_u32_e64 s15, v60
	s_cbranch_execnz .LBB399_70
.LBB399_54:                             ;   in Loop: Header=BB399_16 Depth=2
	s_or_b32 exec_lo, exec_lo, s16
	v_cmp_gt_u32_e32 vcc_lo, s15, v61
	s_and_saveexec_b32 s15, vcc_lo
	s_cbranch_execz .LBB399_15
	s_branch .LBB399_71
.LBB399_55:                             ;   in Loop: Header=BB399_16 Depth=2
	v_xor_b32_e32 v21, 0x80, v17
	v_lshrrev_b32_sdwa v21, s61, v21 dst_sel:DWORD dst_unused:UNUSED_PAD src0_sel:DWORD src1_sel:BYTE_0
	v_and_b32_e32 v21, s62, v21
	v_lshl_or_b32 v21, v21, 4, v63
	ds_add_u32 v21, v89
	s_or_b32 exec_lo, exec_lo, s16
	s_mov_b32 s16, exec_lo
	v_cmpx_gt_u32_e64 s15, v44
	s_cbranch_execz .LBB399_40
.LBB399_56:                             ;   in Loop: Header=BB399_16 Depth=2
	v_xor_b32_e32 v21, 0x80, v20
	v_lshrrev_b32_sdwa v21, s61, v21 dst_sel:DWORD dst_unused:UNUSED_PAD src0_sel:DWORD src1_sel:BYTE_0
	v_and_b32_e32 v21, s62, v21
	v_lshl_or_b32 v21, v21, 4, v63
	ds_add_u32 v21, v89
	s_or_b32 exec_lo, exec_lo, s16
	s_mov_b32 s16, exec_lo
	v_cmpx_gt_u32_e64 s15, v47
	s_cbranch_execz .LBB399_41
.LBB399_57:                             ;   in Loop: Header=BB399_16 Depth=2
	v_xor_b32_e32 v21, 0x80, v19
	v_lshrrev_b32_sdwa v21, s61, v21 dst_sel:DWORD dst_unused:UNUSED_PAD src0_sel:DWORD src1_sel:BYTE_0
	v_and_b32_e32 v21, s62, v21
	v_lshl_or_b32 v21, v21, 4, v63
	ds_add_u32 v21, v89
	s_or_b32 exec_lo, exec_lo, s16
	s_mov_b32 s16, exec_lo
	v_cmpx_gt_u32_e64 s15, v48
	s_cbranch_execz .LBB399_42
.LBB399_58:                             ;   in Loop: Header=BB399_16 Depth=2
	v_xor_b32_e32 v21, 0x80, v18
	v_lshrrev_b32_sdwa v21, s61, v21 dst_sel:DWORD dst_unused:UNUSED_PAD src0_sel:DWORD src1_sel:BYTE_0
	v_and_b32_e32 v21, s62, v21
	v_lshl_or_b32 v21, v21, 4, v63
	ds_add_u32 v21, v89
	s_or_b32 exec_lo, exec_lo, s16
	s_mov_b32 s16, exec_lo
	v_cmpx_gt_u32_e64 s15, v49
	s_cbranch_execz .LBB399_43
.LBB399_59:                             ;   in Loop: Header=BB399_16 Depth=2
	v_xor_b32_e32 v21, 0x80, v16
	v_lshrrev_b32_sdwa v21, s61, v21 dst_sel:DWORD dst_unused:UNUSED_PAD src0_sel:DWORD src1_sel:BYTE_0
	v_and_b32_e32 v21, s62, v21
	v_lshl_or_b32 v21, v21, 4, v63
	ds_add_u32 v21, v89
	s_or_b32 exec_lo, exec_lo, s16
	s_mov_b32 s16, exec_lo
	v_cmpx_gt_u32_e64 s15, v50
	s_cbranch_execz .LBB399_44
.LBB399_60:                             ;   in Loop: Header=BB399_16 Depth=2
	v_xor_b32_e32 v21, 0x80, v15
	v_lshrrev_b32_sdwa v21, s61, v21 dst_sel:DWORD dst_unused:UNUSED_PAD src0_sel:DWORD src1_sel:BYTE_0
	v_and_b32_e32 v21, s62, v21
	v_lshl_or_b32 v21, v21, 4, v63
	ds_add_u32 v21, v89
	s_or_b32 exec_lo, exec_lo, s16
	s_mov_b32 s16, exec_lo
	v_cmpx_gt_u32_e64 s15, v51
	s_cbranch_execz .LBB399_45
.LBB399_61:                             ;   in Loop: Header=BB399_16 Depth=2
	v_xor_b32_e32 v21, 0x80, v14
	v_lshrrev_b32_sdwa v21, s61, v21 dst_sel:DWORD dst_unused:UNUSED_PAD src0_sel:DWORD src1_sel:BYTE_0
	v_and_b32_e32 v21, s62, v21
	v_lshl_or_b32 v21, v21, 4, v63
	ds_add_u32 v21, v89
	s_or_b32 exec_lo, exec_lo, s16
	s_mov_b32 s16, exec_lo
	v_cmpx_gt_u32_e64 s15, v52
	s_cbranch_execz .LBB399_46
.LBB399_62:                             ;   in Loop: Header=BB399_16 Depth=2
	v_xor_b32_e32 v21, 0x80, v13
	v_lshrrev_b32_sdwa v21, s61, v21 dst_sel:DWORD dst_unused:UNUSED_PAD src0_sel:DWORD src1_sel:BYTE_0
	v_and_b32_e32 v21, s62, v21
	v_lshl_or_b32 v21, v21, 4, v63
	ds_add_u32 v21, v89
	s_or_b32 exec_lo, exec_lo, s16
	s_mov_b32 s16, exec_lo
	v_cmpx_gt_u32_e64 s15, v53
	s_cbranch_execz .LBB399_47
.LBB399_63:                             ;   in Loop: Header=BB399_16 Depth=2
	v_xor_b32_e32 v21, 0x80, v12
	v_lshrrev_b32_sdwa v21, s61, v21 dst_sel:DWORD dst_unused:UNUSED_PAD src0_sel:DWORD src1_sel:BYTE_0
	v_and_b32_e32 v21, s62, v21
	v_lshl_or_b32 v21, v21, 4, v63
	ds_add_u32 v21, v89
	s_or_b32 exec_lo, exec_lo, s16
	s_mov_b32 s16, exec_lo
	v_cmpx_gt_u32_e64 s15, v54
	s_cbranch_execz .LBB399_48
.LBB399_64:                             ;   in Loop: Header=BB399_16 Depth=2
	v_xor_b32_e32 v21, 0x80, v11
	v_lshrrev_b32_sdwa v21, s61, v21 dst_sel:DWORD dst_unused:UNUSED_PAD src0_sel:DWORD src1_sel:BYTE_0
	v_and_b32_e32 v21, s62, v21
	v_lshl_or_b32 v21, v21, 4, v63
	ds_add_u32 v21, v89
	s_or_b32 exec_lo, exec_lo, s16
	s_mov_b32 s16, exec_lo
	v_cmpx_gt_u32_e64 s15, v55
	s_cbranch_execz .LBB399_49
.LBB399_65:                             ;   in Loop: Header=BB399_16 Depth=2
	v_xor_b32_e32 v21, 0x80, v10
	v_lshrrev_b32_sdwa v21, s61, v21 dst_sel:DWORD dst_unused:UNUSED_PAD src0_sel:DWORD src1_sel:BYTE_0
	v_and_b32_e32 v21, s62, v21
	v_lshl_or_b32 v21, v21, 4, v63
	ds_add_u32 v21, v89
	s_or_b32 exec_lo, exec_lo, s16
	s_mov_b32 s16, exec_lo
	v_cmpx_gt_u32_e64 s15, v56
	s_cbranch_execz .LBB399_50
.LBB399_66:                             ;   in Loop: Header=BB399_16 Depth=2
	v_xor_b32_e32 v21, 0x80, v9
	v_lshrrev_b32_sdwa v21, s61, v21 dst_sel:DWORD dst_unused:UNUSED_PAD src0_sel:DWORD src1_sel:BYTE_0
	v_and_b32_e32 v21, s62, v21
	v_lshl_or_b32 v21, v21, 4, v63
	ds_add_u32 v21, v89
	s_or_b32 exec_lo, exec_lo, s16
	s_mov_b32 s16, exec_lo
	v_cmpx_gt_u32_e64 s15, v57
	s_cbranch_execz .LBB399_51
.LBB399_67:                             ;   in Loop: Header=BB399_16 Depth=2
	v_xor_b32_e32 v21, 0x80, v8
	v_lshrrev_b32_sdwa v21, s61, v21 dst_sel:DWORD dst_unused:UNUSED_PAD src0_sel:DWORD src1_sel:BYTE_0
	v_and_b32_e32 v21, s62, v21
	v_lshl_or_b32 v21, v21, 4, v63
	ds_add_u32 v21, v89
	s_or_b32 exec_lo, exec_lo, s16
	s_mov_b32 s16, exec_lo
	v_cmpx_gt_u32_e64 s15, v58
	s_cbranch_execz .LBB399_52
.LBB399_68:                             ;   in Loop: Header=BB399_16 Depth=2
	v_xor_b32_e32 v21, 0x80, v7
	v_lshrrev_b32_sdwa v21, s61, v21 dst_sel:DWORD dst_unused:UNUSED_PAD src0_sel:DWORD src1_sel:BYTE_0
	v_and_b32_e32 v21, s62, v21
	v_lshl_or_b32 v21, v21, 4, v63
	ds_add_u32 v21, v89
	s_or_b32 exec_lo, exec_lo, s16
	s_mov_b32 s16, exec_lo
	v_cmpx_gt_u32_e64 s15, v59
	s_cbranch_execz .LBB399_53
.LBB399_69:                             ;   in Loop: Header=BB399_16 Depth=2
	v_xor_b32_e32 v21, 0x80, v6
	v_lshrrev_b32_sdwa v21, s61, v21 dst_sel:DWORD dst_unused:UNUSED_PAD src0_sel:DWORD src1_sel:BYTE_0
	v_and_b32_e32 v21, s62, v21
	v_lshl_or_b32 v21, v21, 4, v63
	ds_add_u32 v21, v89
	s_or_b32 exec_lo, exec_lo, s16
	s_mov_b32 s16, exec_lo
	v_cmpx_gt_u32_e64 s15, v60
	s_cbranch_execz .LBB399_54
.LBB399_70:                             ;   in Loop: Header=BB399_16 Depth=2
	v_xor_b32_e32 v21, 0x80, v5
	v_lshrrev_b32_sdwa v21, s61, v21 dst_sel:DWORD dst_unused:UNUSED_PAD src0_sel:DWORD src1_sel:BYTE_0
	v_and_b32_e32 v21, s62, v21
	v_lshl_or_b32 v21, v21, 4, v63
	ds_add_u32 v21, v89
	s_or_b32 exec_lo, exec_lo, s16
	v_cmp_gt_u32_e32 vcc_lo, s15, v61
	s_and_saveexec_b32 s15, vcc_lo
	s_cbranch_execz .LBB399_15
.LBB399_71:                             ;   in Loop: Header=BB399_16 Depth=2
	v_xor_b32_e32 v21, 0x80, v3
	v_lshrrev_b32_sdwa v21, s61, v21 dst_sel:DWORD dst_unused:UNUSED_PAD src0_sel:DWORD src1_sel:BYTE_0
	v_and_b32_e32 v21, s62, v21
	v_lshl_or_b32 v21, v21, 4, v63
	ds_add_u32 v21, v89
	s_branch .LBB399_15
.LBB399_72:                             ;   in Loop: Header=BB399_16 Depth=2
	s_waitcnt vmcnt(0)
	v_add_co_u32 v21, s18, s15, v0
	v_add_co_ci_u32_e64 v22, null, s16, 0, s18
	global_load_ubyte v17, v[21:22], off
	s_or_b32 exec_lo, exec_lo, s17
	s_mov_b32 s17, exec_lo
	v_cmpx_gt_u32_e64 s5, v44
	s_cbranch_execz .LBB399_21
.LBB399_73:                             ;   in Loop: Header=BB399_16 Depth=2
	v_add_co_u32 v20, s18, s15, v0
	s_waitcnt vmcnt(0)
	v_add_co_ci_u32_e64 v21, null, s16, 0, s18
	global_load_ubyte v20, v[20:21], off offset:256
	s_or_b32 exec_lo, exec_lo, s17
	s_mov_b32 s17, exec_lo
	v_cmpx_gt_u32_e64 s5, v47
	s_cbranch_execz .LBB399_22
.LBB399_74:                             ;   in Loop: Header=BB399_16 Depth=2
	s_waitcnt vmcnt(0)
	v_add_co_u32 v21, s18, s15, v0
	v_add_co_ci_u32_e64 v22, null, s16, 0, s18
	global_load_ubyte v19, v[21:22], off offset:512
	s_or_b32 exec_lo, exec_lo, s17
	s_mov_b32 s17, exec_lo
	v_cmpx_gt_u32_e64 s5, v48
	s_cbranch_execz .LBB399_23
.LBB399_75:                             ;   in Loop: Header=BB399_16 Depth=2
	s_waitcnt vmcnt(0)
	v_add_co_u32 v21, s18, s15, v0
	v_add_co_ci_u32_e64 v22, null, s16, 0, s18
	global_load_ubyte v18, v[21:22], off offset:768
	s_or_b32 exec_lo, exec_lo, s17
	s_mov_b32 s17, exec_lo
	v_cmpx_gt_u32_e64 s5, v49
	s_cbranch_execz .LBB399_24
.LBB399_76:                             ;   in Loop: Header=BB399_16 Depth=2
	s_waitcnt vmcnt(0)
	v_add_co_u32 v21, s18, s15, v0
	v_add_co_ci_u32_e64 v22, null, s16, 0, s18
	global_load_ubyte v16, v[21:22], off offset:1024
	s_or_b32 exec_lo, exec_lo, s17
	s_mov_b32 s17, exec_lo
	v_cmpx_gt_u32_e64 s5, v50
	s_cbranch_execz .LBB399_25
.LBB399_77:                             ;   in Loop: Header=BB399_16 Depth=2
	s_waitcnt vmcnt(0)
	v_add_co_u32 v21, s18, s15, v0
	v_add_co_ci_u32_e64 v22, null, s16, 0, s18
	global_load_ubyte v15, v[21:22], off offset:1280
	s_or_b32 exec_lo, exec_lo, s17
	s_mov_b32 s17, exec_lo
	v_cmpx_gt_u32_e64 s5, v51
	s_cbranch_execz .LBB399_26
.LBB399_78:                             ;   in Loop: Header=BB399_16 Depth=2
	s_waitcnt vmcnt(0)
	v_add_co_u32 v21, s18, s15, v0
	v_add_co_ci_u32_e64 v22, null, s16, 0, s18
	global_load_ubyte v14, v[21:22], off offset:1536
	s_or_b32 exec_lo, exec_lo, s17
	s_mov_b32 s17, exec_lo
	v_cmpx_gt_u32_e64 s5, v52
	s_cbranch_execz .LBB399_27
.LBB399_79:                             ;   in Loop: Header=BB399_16 Depth=2
	s_waitcnt vmcnt(0)
	v_add_co_u32 v21, s18, s15, v0
	v_add_co_ci_u32_e64 v22, null, s16, 0, s18
	global_load_ubyte v13, v[21:22], off offset:1792
	s_or_b32 exec_lo, exec_lo, s17
	s_mov_b32 s17, exec_lo
	v_cmpx_gt_u32_e64 s5, v53
	s_cbranch_execz .LBB399_28
.LBB399_80:                             ;   in Loop: Header=BB399_16 Depth=2
	s_waitcnt vmcnt(0)
	v_add_co_u32 v21, s18, s15, v53
	v_add_co_ci_u32_e64 v22, null, s16, 0, s18
	global_load_ubyte v12, v[21:22], off
	s_or_b32 exec_lo, exec_lo, s17
	s_mov_b32 s17, exec_lo
	v_cmpx_gt_u32_e64 s5, v54
	s_cbranch_execz .LBB399_29
.LBB399_81:                             ;   in Loop: Header=BB399_16 Depth=2
	s_waitcnt vmcnt(0)
	v_add_co_u32 v21, s18, s15, v54
	v_add_co_ci_u32_e64 v22, null, s16, 0, s18
	global_load_ubyte v11, v[21:22], off
	s_or_b32 exec_lo, exec_lo, s17
	s_mov_b32 s17, exec_lo
	v_cmpx_gt_u32_e64 s5, v55
	s_cbranch_execz .LBB399_30
.LBB399_82:                             ;   in Loop: Header=BB399_16 Depth=2
	s_waitcnt vmcnt(0)
	v_add_co_u32 v21, s18, s15, v55
	v_add_co_ci_u32_e64 v22, null, s16, 0, s18
	global_load_ubyte v10, v[21:22], off
	s_or_b32 exec_lo, exec_lo, s17
	s_mov_b32 s17, exec_lo
	v_cmpx_gt_u32_e64 s5, v56
	s_cbranch_execz .LBB399_31
.LBB399_83:                             ;   in Loop: Header=BB399_16 Depth=2
	s_waitcnt vmcnt(0)
	v_add_co_u32 v21, s18, s15, v56
	v_add_co_ci_u32_e64 v22, null, s16, 0, s18
	global_load_ubyte v9, v[21:22], off
	s_or_b32 exec_lo, exec_lo, s17
	s_mov_b32 s17, exec_lo
	v_cmpx_gt_u32_e64 s5, v57
	s_cbranch_execz .LBB399_32
.LBB399_84:                             ;   in Loop: Header=BB399_16 Depth=2
	s_waitcnt vmcnt(0)
	v_add_co_u32 v21, s18, s15, v57
	v_add_co_ci_u32_e64 v22, null, s16, 0, s18
	global_load_ubyte v8, v[21:22], off
	s_or_b32 exec_lo, exec_lo, s17
	s_mov_b32 s17, exec_lo
	v_cmpx_gt_u32_e64 s5, v58
	s_cbranch_execz .LBB399_33
.LBB399_85:                             ;   in Loop: Header=BB399_16 Depth=2
	s_waitcnt vmcnt(0)
	v_add_co_u32 v21, s18, s15, v58
	v_add_co_ci_u32_e64 v22, null, s16, 0, s18
	global_load_ubyte v7, v[21:22], off
	s_or_b32 exec_lo, exec_lo, s17
	s_mov_b32 s17, exec_lo
	v_cmpx_gt_u32_e64 s5, v59
	s_cbranch_execz .LBB399_34
.LBB399_86:                             ;   in Loop: Header=BB399_16 Depth=2
	s_waitcnt vmcnt(0)
	v_add_co_u32 v21, s18, s15, v59
	v_add_co_ci_u32_e64 v22, null, s16, 0, s18
	global_load_ubyte v6, v[21:22], off
	s_or_b32 exec_lo, exec_lo, s17
	s_mov_b32 s17, exec_lo
	v_cmpx_gt_u32_e64 s5, v60
	s_cbranch_execz .LBB399_35
.LBB399_87:                             ;   in Loop: Header=BB399_16 Depth=2
	s_waitcnt vmcnt(0)
	v_add_co_u32 v21, s18, s15, v60
	v_add_co_ci_u32_e64 v22, null, s16, 0, s18
	global_load_ubyte v5, v[21:22], off
	s_or_b32 exec_lo, exec_lo, s17
	s_mov_b32 s17, exec_lo
	v_cmpx_gt_u32_e64 s5, v61
	s_cbranch_execnz .LBB399_36
	s_branch .LBB399_37
.LBB399_88:                             ;   in Loop: Header=BB399_12 Depth=1
	v_mov_b32_e32 v3, 0
	s_waitcnt lgkmcnt(0)
	s_barrier
	buffer_gl0_inv
	s_and_saveexec_b32 s5, s7
	s_cbranch_execz .LBB399_90
; %bb.89:                               ;   in Loop: Header=BB399_12 Depth=1
	ds_read2_b64 v[5:8], v64 offset1:1
	s_waitcnt lgkmcnt(0)
	v_add_nc_u32_e32 v3, v6, v5
	v_add3_u32 v3, v3, v7, v8
.LBB399_90:                             ;   in Loop: Header=BB399_12 Depth=1
	s_or_b32 exec_lo, exec_lo, s5
	v_and_b32_e32 v5, 15, v86
	v_mov_b32_dpp v6, v3 row_shr:1 row_mask:0xf bank_mask:0xf
	v_and_b32_e32 v7, 16, v86
	v_cmp_eq_u32_e64 s5, 0, v5
	v_cmp_lt_u32_e64 s14, 1, v5
	v_cmp_lt_u32_e64 s15, 3, v5
	v_cmp_lt_u32_e64 s16, 7, v5
	v_cmp_eq_u32_e64 s17, 0, v7
	v_cndmask_b32_e64 v6, v6, 0, s5
	v_add_nc_u32_e32 v3, v6, v3
	v_mov_b32_dpp v6, v3 row_shr:2 row_mask:0xf bank_mask:0xf
	v_cndmask_b32_e64 v6, 0, v6, s14
	v_add_nc_u32_e32 v3, v3, v6
	v_mov_b32_dpp v6, v3 row_shr:4 row_mask:0xf bank_mask:0xf
	;; [unrolled: 3-line block ×3, first 2 shown]
	v_cndmask_b32_e64 v5, 0, v6, s16
	v_bfe_i32 v6, v86, 4, 1
	v_add_nc_u32_e32 v3, v3, v5
	ds_swizzle_b32 v5, v3 offset:swizzle(BROADCAST,32,15)
	s_waitcnt lgkmcnt(0)
	v_and_b32_e32 v5, v6, v5
	v_add_nc_u32_e32 v3, v3, v5
	s_and_saveexec_b32 s18, s8
; %bb.91:                               ;   in Loop: Header=BB399_12 Depth=1
	ds_write_b32 v65, v3
; %bb.92:                               ;   in Loop: Header=BB399_12 Depth=1
	s_or_b32 exec_lo, exec_lo, s18
	s_waitcnt lgkmcnt(0)
	s_barrier
	buffer_gl0_inv
	s_and_saveexec_b32 s18, s9
	s_cbranch_execz .LBB399_94
; %bb.93:                               ;   in Loop: Header=BB399_12 Depth=1
	ds_read_b32 v5, v66
	v_and_b32_e32 v6, 3, v86
	v_cmp_ne_u32_e32 vcc_lo, 0, v6
	s_waitcnt lgkmcnt(0)
	v_mov_b32_dpp v7, v5 row_shr:1 row_mask:0xf bank_mask:0xf
	v_cndmask_b32_e32 v7, 0, v7, vcc_lo
	v_cmp_lt_u32_e32 vcc_lo, 1, v6
	v_add_nc_u32_e32 v5, v7, v5
	v_mov_b32_dpp v7, v5 row_shr:2 row_mask:0xf bank_mask:0xf
	v_cndmask_b32_e32 v6, 0, v7, vcc_lo
	v_add_nc_u32_e32 v5, v5, v6
	ds_write_b32 v66, v5
.LBB399_94:                             ;   in Loop: Header=BB399_12 Depth=1
	s_or_b32 exec_lo, exec_lo, s18
	v_mov_b32_e32 v5, 0
	s_waitcnt lgkmcnt(0)
	s_barrier
	buffer_gl0_inv
	s_and_saveexec_b32 s18, s10
; %bb.95:                               ;   in Loop: Header=BB399_12 Depth=1
	ds_read_b32 v5, v67
; %bb.96:                               ;   in Loop: Header=BB399_12 Depth=1
	s_or_b32 exec_lo, exec_lo, s18
	v_sub_co_u32 v6, s18, v86, 1
	s_waitcnt lgkmcnt(0)
	v_add_nc_u32_e32 v3, v5, v3
	s_barrier
	v_cmp_gt_i32_e32 vcc_lo, 0, v6
	buffer_gl0_inv
	v_cndmask_b32_e32 v6, v6, v86, vcc_lo
	v_lshlrev_b32_e32 v94, 2, v6
	ds_bpermute_b32 v3, v94, v3
	s_and_saveexec_b32 s19, s7
	s_cbranch_execz .LBB399_98
; %bb.97:                               ;   in Loop: Header=BB399_12 Depth=1
	s_waitcnt lgkmcnt(0)
	v_cndmask_b32_e64 v3, v3, v5, s18
	v_add_nc_u32_e32 v3, s58, v3
	ds_write_b32 v43, v3
.LBB399_98:                             ;   in Loop: Header=BB399_12 Depth=1
	s_or_b32 exec_lo, exec_lo, s19
	s_clause 0x1
	s_load_dword s19, s[56:57], 0x4
	s_load_dword s22, s[56:57], 0xc
	v_and_b32_e32 v5, 7, v86
	v_lshlrev_b32_e32 v6, 3, v86
	v_or_b32_e32 v95, v86, v68
	v_mov_b32_e32 v115, 0
	s_mov_b32 s63, s60
	s_mov_b32 s50, s58
	v_add_co_u32 v96, vcc_lo, v73, v6
	v_add_co_ci_u32_e64 v97, null, 0, v74, vcc_lo
	v_add_nc_u32_e32 v98, 32, v95
	v_add_nc_u32_e32 v99, 64, v95
	;; [unrolled: 1-line block ×8, first 2 shown]
	s_waitcnt lgkmcnt(0)
	s_cmp_lt_u32 s28, s19
	v_add_nc_u32_e32 v106, 0x120, v95
	s_cselect_b32 s19, 14, 20
	v_add_nc_u32_e32 v107, 0x140, v95
	s_add_u32 s20, s56, s19
	s_addc_u32 s21, s57, 0
	s_and_b32 s22, s22, 0xffff
	global_load_ushort v3, v4, s[20:21]
	v_cmp_eq_u32_e64 s19, 0, v5
	v_cmp_lt_u32_e64 s20, 1, v5
	v_cmp_lt_u32_e64 s21, 3, v5
	v_add_nc_u32_e32 v108, 0x160, v95
	v_add_nc_u32_e32 v109, 0x180, v95
	;; [unrolled: 1-line block ×6, first 2 shown]
                                        ; implicit-def: $vgpr7_vgpr8
                                        ; implicit-def: $vgpr9_vgpr10
                                        ; implicit-def: $vgpr11_vgpr12
                                        ; implicit-def: $vgpr13_vgpr14
                                        ; implicit-def: $vgpr15_vgpr16
                                        ; implicit-def: $vgpr19_vgpr20
                                        ; implicit-def: $vgpr23_vgpr24
                                        ; implicit-def: $vgpr27_vgpr28
                                        ; implicit-def: $vgpr17_vgpr18
                                        ; implicit-def: $vgpr21_vgpr22
                                        ; implicit-def: $vgpr25_vgpr26
                                        ; implicit-def: $vgpr29_vgpr30
                                        ; implicit-def: $vgpr31_vgpr32
                                        ; implicit-def: $vgpr33_vgpr34
                                        ; implicit-def: $vgpr35_vgpr36
                                        ; implicit-def: $vgpr37_vgpr38
                                        ; implicit-def: $vgpr116
                                        ; implicit-def: $vgpr117
                                        ; implicit-def: $vgpr118
                                        ; implicit-def: $vgpr119
                                        ; implicit-def: $vgpr120
                                        ; implicit-def: $vgpr121
                                        ; implicit-def: $vgpr122
                                        ; implicit-def: $vgpr123
                                        ; implicit-def: $vgpr124
                                        ; implicit-def: $vgpr125
                                        ; implicit-def: $vgpr126
                                        ; implicit-def: $vgpr127
                                        ; implicit-def: $vgpr128
                                        ; implicit-def: $vgpr129
                                        ; implicit-def: $vgpr130
                                        ; implicit-def: $vgpr131
                                        ; implicit-def: $vgpr132
                                        ; implicit-def: $vgpr133
                                        ; implicit-def: $vgpr134
	s_waitcnt vmcnt(0)
	v_mad_u32_u24 v3, v2, v3, v1
	v_mad_u64_u32 v[5:6], null, v3, s22, v[0:1]
	v_lshrrev_b32_e32 v3, 3, v5
                                        ; implicit-def: $vgpr5_vgpr6
	v_and_b32_e32 v114, 0x1ffffffc, v3
	s_branch .LBB399_100
.LBB399_99:                             ;   in Loop: Header=BB399_100 Depth=2
	s_or_b32 exec_lo, exec_lo, s22
	s_addk_i32 s63, 0xef00
	s_cmp_lt_u32 s64, s59
	s_mov_b32 s50, s64
	s_cbranch_scc0 .LBB399_322
.LBB399_100:                            ;   Parent Loop BB399_12 Depth=1
                                        ; =>  This Inner Loop Header: Depth=2
	s_add_i32 s64, s50, 0x1100
	s_cmp_gt_u32 s64, s59
	s_cbranch_scc1 .LBB399_102
; %bb.101:                              ;   in Loop: Header=BB399_100 Depth=2
	v_add_co_u32 v39, vcc_lo, v90, s50
	v_add_co_ci_u32_e64 v40, null, 0, v91, vcc_lo
	s_mov_b32 s22, -1
	s_clause 0xf
	global_load_ubyte v42, v[39:40], off offset:480
	global_load_ubyte v41, v[39:40], off offset:448
	;; [unrolled: 1-line block ×15, first 2 shown]
	global_load_ubyte v144, v[39:40], off
	s_movk_i32 s23, 0x1100
	s_cbranch_execz .LBB399_103
	s_branch .LBB399_121
.LBB399_102:                            ;   in Loop: Header=BB399_100 Depth=2
	s_mov_b32 s22, 0
                                        ; implicit-def: $vgpr144
                                        ; implicit-def: $vgpr145
                                        ; implicit-def: $vgpr146
                                        ; implicit-def: $vgpr149
                                        ; implicit-def: $vgpr148
                                        ; implicit-def: $vgpr141
                                        ; implicit-def: $vgpr142
                                        ; implicit-def: $vgpr143
                                        ; implicit-def: $vgpr140
                                        ; implicit-def: $vgpr137
                                        ; implicit-def: $vgpr138
                                        ; implicit-def: $vgpr139
                                        ; implicit-def: $vgpr135
                                        ; implicit-def: $vgpr3
                                        ; implicit-def: $vgpr41
                                        ; implicit-def: $vgpr42
                                        ; implicit-def: $vgpr115
	s_movk_i32 s23, 0x1100
.LBB399_103:                            ;   in Loop: Header=BB399_100 Depth=2
	v_add_co_u32 v39, vcc_lo, v90, s50
	v_add_co_ci_u32_e64 v40, null, 0, v91, vcc_lo
	v_mov_b32_e32 v115, 0x7f
	s_waitcnt vmcnt(0)
	v_mov_b32_e32 v144, 0x7f
	v_mov_b32_e32 v145, 0x7f
	;; [unrolled: 1-line block ×16, first 2 shown]
	s_mov_b32 s22, exec_lo
	v_cmpx_gt_u32_e64 s63, v95
	s_cbranch_execnz .LBB399_307
; %bb.104:                              ;   in Loop: Header=BB399_100 Depth=2
	s_or_b32 exec_lo, exec_lo, s22
	s_mov_b32 s22, exec_lo
	v_cmpx_gt_u32_e64 s63, v98
	s_cbranch_execnz .LBB399_308
.LBB399_105:                            ;   in Loop: Header=BB399_100 Depth=2
	s_or_b32 exec_lo, exec_lo, s22
	s_mov_b32 s22, exec_lo
	v_cmpx_gt_u32_e64 s63, v99
	s_cbranch_execnz .LBB399_309
.LBB399_106:                            ;   in Loop: Header=BB399_100 Depth=2
	s_or_b32 exec_lo, exec_lo, s22
	s_mov_b32 s22, exec_lo
	v_cmpx_gt_u32_e64 s63, v100
	s_cbranch_execnz .LBB399_310
.LBB399_107:                            ;   in Loop: Header=BB399_100 Depth=2
	s_or_b32 exec_lo, exec_lo, s22
	s_mov_b32 s22, exec_lo
	v_cmpx_gt_u32_e64 s63, v101
	s_cbranch_execnz .LBB399_311
.LBB399_108:                            ;   in Loop: Header=BB399_100 Depth=2
	s_or_b32 exec_lo, exec_lo, s22
	s_mov_b32 s22, exec_lo
	v_cmpx_gt_u32_e64 s63, v102
	s_cbranch_execnz .LBB399_312
.LBB399_109:                            ;   in Loop: Header=BB399_100 Depth=2
	s_or_b32 exec_lo, exec_lo, s22
	s_mov_b32 s22, exec_lo
	v_cmpx_gt_u32_e64 s63, v103
	s_cbranch_execnz .LBB399_313
.LBB399_110:                            ;   in Loop: Header=BB399_100 Depth=2
	s_or_b32 exec_lo, exec_lo, s22
	s_mov_b32 s22, exec_lo
	v_cmpx_gt_u32_e64 s63, v104
	s_cbranch_execnz .LBB399_314
.LBB399_111:                            ;   in Loop: Header=BB399_100 Depth=2
	s_or_b32 exec_lo, exec_lo, s22
	s_mov_b32 s22, exec_lo
	v_cmpx_gt_u32_e64 s63, v105
	s_cbranch_execnz .LBB399_315
.LBB399_112:                            ;   in Loop: Header=BB399_100 Depth=2
	s_or_b32 exec_lo, exec_lo, s22
	s_mov_b32 s22, exec_lo
	v_cmpx_gt_u32_e64 s63, v106
	s_cbranch_execnz .LBB399_316
.LBB399_113:                            ;   in Loop: Header=BB399_100 Depth=2
	s_or_b32 exec_lo, exec_lo, s22
	s_mov_b32 s22, exec_lo
	v_cmpx_gt_u32_e64 s63, v107
	s_cbranch_execnz .LBB399_317
.LBB399_114:                            ;   in Loop: Header=BB399_100 Depth=2
	s_or_b32 exec_lo, exec_lo, s22
	s_mov_b32 s22, exec_lo
	v_cmpx_gt_u32_e64 s63, v108
	s_cbranch_execnz .LBB399_318
.LBB399_115:                            ;   in Loop: Header=BB399_100 Depth=2
	s_or_b32 exec_lo, exec_lo, s22
	s_mov_b32 s22, exec_lo
	v_cmpx_gt_u32_e64 s63, v109
	s_cbranch_execnz .LBB399_319
.LBB399_116:                            ;   in Loop: Header=BB399_100 Depth=2
	s_or_b32 exec_lo, exec_lo, s22
	s_mov_b32 s22, exec_lo
	v_cmpx_gt_u32_e64 s63, v110
	s_cbranch_execnz .LBB399_320
.LBB399_117:                            ;   in Loop: Header=BB399_100 Depth=2
	s_or_b32 exec_lo, exec_lo, s22
	s_mov_b32 s22, exec_lo
	v_cmpx_gt_u32_e64 s63, v111
	s_cbranch_execnz .LBB399_321
.LBB399_118:                            ;   in Loop: Header=BB399_100 Depth=2
	s_or_b32 exec_lo, exec_lo, s22
	s_mov_b32 s22, exec_lo
	v_cmpx_gt_u32_e64 s63, v112
	s_cbranch_execz .LBB399_120
.LBB399_119:                            ;   in Loop: Header=BB399_100 Depth=2
	global_load_ubyte v42, v[39:40], off offset:480
.LBB399_120:                            ;   in Loop: Header=BB399_100 Depth=2
	s_or_b32 exec_lo, exec_lo, s22
	v_cmp_gt_u32_e64 s22, s63, v113
	s_sub_i32 s23, s59, s50
.LBB399_121:                            ;   in Loop: Header=BB399_100 Depth=2
	v_mov_b32_e32 v136, s63
	s_and_saveexec_b32 s24, s22
	s_cbranch_execz .LBB399_123
; %bb.122:                              ;   in Loop: Header=BB399_100 Depth=2
	v_add_co_u32 v39, vcc_lo, v90, s50
	v_add_co_ci_u32_e64 v40, null, s51, v91, vcc_lo
	v_mov_b32_e32 v136, s23
	global_load_ubyte v115, v[39:40], off offset:512
.LBB399_123:                            ;   in Loop: Header=BB399_100 Depth=2
	s_or_b32 exec_lo, exec_lo, s24
	s_waitcnt vmcnt(0)
	v_xor_b32_e32 v39, 0x80, v144
	ds_write2_b32 v69, v4, v4 offset0:136 offset1:137
	ds_write2_b32 v69, v4, v4 offset0:138 offset1:139
	ds_write_b32 v69, v4 offset:560
	s_waitcnt lgkmcnt(0)
	s_barrier
	v_and_b32_sdwa v40, v92, v39 dst_sel:DWORD dst_unused:UNUSED_PAD src0_sel:DWORD src1_sel:BYTE_0
	buffer_gl0_inv
	; wave barrier
	v_lshrrev_b32_e32 v40, s61, v40
	v_and_b32_e32 v147, s62, v40
	v_and_b32_e32 v40, 1, v147
	v_lshlrev_b32_e32 v144, 30, v147
	v_lshlrev_b32_e32 v150, 29, v147
	;; [unrolled: 1-line block ×4, first 2 shown]
	v_add_co_u32 v40, s22, v40, -1
	v_cndmask_b32_e64 v151, 0, 1, s22
	v_not_b32_e32 v155, v144
	v_cmp_gt_i32_e64 s22, 0, v144
	v_not_b32_e32 v144, v150
	v_lshlrev_b32_e32 v154, 26, v147
	v_cmp_ne_u32_e32 vcc_lo, 0, v151
	v_ashrrev_i32_e32 v155, 31, v155
	v_lshlrev_b32_e32 v151, 25, v147
	v_ashrrev_i32_e32 v144, 31, v144
	v_mul_u32_u24_e32 v147, 36, v147
	v_xor_b32_e32 v40, vcc_lo, v40
	v_cmp_gt_i32_e32 vcc_lo, 0, v150
	v_not_b32_e32 v150, v152
	v_xor_b32_e32 v155, s22, v155
	v_cmp_gt_i32_e64 s22, 0, v152
	v_and_b32_e32 v40, exec_lo, v40
	v_not_b32_e32 v152, v153
	v_ashrrev_i32_e32 v150, 31, v150
	v_xor_b32_e32 v144, vcc_lo, v144
	v_cmp_gt_i32_e32 vcc_lo, 0, v153
	v_and_b32_e32 v40, v40, v155
	v_not_b32_e32 v153, v154
	v_ashrrev_i32_e32 v152, 31, v152
	v_xor_b32_e32 v150, s22, v150
	v_cmp_gt_i32_e64 s22, 0, v154
	v_and_b32_e32 v40, v40, v144
	v_not_b32_e32 v144, v151
	v_ashrrev_i32_e32 v153, 31, v153
	v_xor_b32_e32 v152, vcc_lo, v152
	v_cmp_gt_i32_e32 vcc_lo, 0, v151
	v_and_b32_e32 v40, v40, v150
	v_ashrrev_i32_e32 v144, 31, v144
	v_xor_b32_e32 v150, s22, v153
	v_add_nc_u32_e32 v147, v114, v147
	v_and_b32_e32 v40, v40, v152
	v_xor_b32_e32 v144, vcc_lo, v144
	v_and_b32_e32 v40, v40, v150
	v_and_b32_e32 v40, v40, v144
	v_mbcnt_lo_u32_b32 v144, v40, 0
	v_cmp_ne_u32_e64 s22, 0, v40
	v_cmp_eq_u32_e32 vcc_lo, 0, v144
	s_and_b32 s23, s22, vcc_lo
	s_and_saveexec_b32 s22, s23
; %bb.124:                              ;   in Loop: Header=BB399_100 Depth=2
	v_bcnt_u32_b32 v40, v40, 0
	ds_write_b32 v147, v40 offset:544
; %bb.125:                              ;   in Loop: Header=BB399_100 Depth=2
	s_or_b32 exec_lo, exec_lo, s22
	v_xor_b32_sdwa v40, v145, v93 dst_sel:BYTE_1 dst_unused:UNUSED_PAD src0_sel:DWORD src1_sel:DWORD
	v_xor_b32_e32 v146, 0x80, v146
	v_xor_b32_sdwa v149, v149, v93 dst_sel:BYTE_1 dst_unused:UNUSED_PAD src0_sel:DWORD src1_sel:DWORD
	; wave barrier
	v_or_b32_sdwa v145, v39, v40 dst_sel:DWORD dst_unused:UNUSED_PAD src0_sel:BYTE_0 src1_sel:DWORD
	v_or_b32_sdwa v39, v146, v149 dst_sel:WORD_1 dst_unused:UNUSED_PAD src0_sel:BYTE_0 src1_sel:DWORD
	v_or_b32_sdwa v146, v145, v39 dst_sel:DWORD dst_unused:UNUSED_PAD src0_sel:WORD_0 src1_sel:DWORD
	v_lshrrev_b32_sdwa v39, s61, v146 dst_sel:DWORD dst_unused:UNUSED_PAD src0_sel:DWORD src1_sel:BYTE_1
	v_and_b32_e32 v40, s62, v39
	v_and_b32_e32 v39, 1, v40
	v_lshlrev_b32_e32 v149, 30, v40
	v_lshlrev_b32_e32 v150, 29, v40
	;; [unrolled: 1-line block ×4, first 2 shown]
	v_add_co_u32 v39, s22, v39, -1
	v_cndmask_b32_e64 v151, 0, 1, s22
	v_not_b32_e32 v155, v149
	v_cmp_gt_i32_e64 s22, 0, v149
	v_not_b32_e32 v149, v150
	v_lshlrev_b32_e32 v154, 26, v40
	v_cmp_ne_u32_e32 vcc_lo, 0, v151
	v_ashrrev_i32_e32 v155, 31, v155
	v_lshlrev_b32_e32 v151, 25, v40
	v_ashrrev_i32_e32 v149, 31, v149
	v_xor_b32_e32 v39, vcc_lo, v39
	v_cmp_gt_i32_e32 vcc_lo, 0, v150
	v_not_b32_e32 v150, v152
	v_xor_b32_e32 v155, s22, v155
	v_cmp_gt_i32_e64 s22, 0, v152
	v_and_b32_e32 v39, exec_lo, v39
	v_not_b32_e32 v152, v153
	v_ashrrev_i32_e32 v150, 31, v150
	v_xor_b32_e32 v149, vcc_lo, v149
	v_cmp_gt_i32_e32 vcc_lo, 0, v153
	v_and_b32_e32 v39, v39, v155
	v_not_b32_e32 v153, v154
	v_ashrrev_i32_e32 v152, 31, v152
	v_xor_b32_e32 v150, s22, v150
	v_cmp_gt_i32_e64 s22, 0, v154
	v_and_b32_e32 v39, v39, v149
	v_not_b32_e32 v149, v151
	v_ashrrev_i32_e32 v153, 31, v153
	v_xor_b32_e32 v152, vcc_lo, v152
	v_cmp_gt_i32_e32 vcc_lo, 0, v151
	v_and_b32_e32 v39, v39, v150
	v_ashrrev_i32_e32 v149, 31, v149
	v_xor_b32_e32 v150, s22, v153
	v_mad_u32_u24 v151, v40, 36, v114
	v_mul_u32_u24_e32 v40, 36, v40
	v_and_b32_e32 v39, v39, v152
	v_xor_b32_e32 v152, vcc_lo, v149
	ds_read_b32 v149, v151 offset:544
	v_add_nc_u32_e32 v151, v114, v40
	v_and_b32_e32 v39, v39, v150
	; wave barrier
	v_and_b32_e32 v39, v39, v152
	v_mbcnt_lo_u32_b32 v150, v39, 0
	v_cmp_ne_u32_e64 s22, 0, v39
	v_cmp_eq_u32_e32 vcc_lo, 0, v150
	s_and_b32 s23, s22, vcc_lo
	s_and_saveexec_b32 s22, s23
	s_cbranch_execz .LBB399_127
; %bb.126:                              ;   in Loop: Header=BB399_100 Depth=2
	s_waitcnt lgkmcnt(0)
	v_bcnt_u32_b32 v39, v39, v149
	ds_write_b32 v151, v39 offset:544
.LBB399_127:                            ;   in Loop: Header=BB399_100 Depth=2
	s_or_b32 exec_lo, exec_lo, s22
	v_lshrrev_b32_sdwa v39, s61, v146 dst_sel:DWORD dst_unused:UNUSED_PAD src0_sel:DWORD src1_sel:BYTE_2
	; wave barrier
	v_and_b32_e32 v40, s62, v39
	v_and_b32_e32 v39, 1, v40
	v_lshlrev_b32_e32 v152, 30, v40
	v_lshlrev_b32_e32 v153, 29, v40
	;; [unrolled: 1-line block ×4, first 2 shown]
	v_add_co_u32 v39, s22, v39, -1
	v_cndmask_b32_e64 v154, 0, 1, s22
	v_not_b32_e32 v158, v152
	v_cmp_gt_i32_e64 s22, 0, v152
	v_not_b32_e32 v152, v153
	v_lshlrev_b32_e32 v157, 26, v40
	v_cmp_ne_u32_e32 vcc_lo, 0, v154
	v_ashrrev_i32_e32 v158, 31, v158
	v_lshlrev_b32_e32 v154, 25, v40
	v_ashrrev_i32_e32 v152, 31, v152
	v_xor_b32_e32 v39, vcc_lo, v39
	v_cmp_gt_i32_e32 vcc_lo, 0, v153
	v_not_b32_e32 v153, v155
	v_xor_b32_e32 v158, s22, v158
	v_cmp_gt_i32_e64 s22, 0, v155
	v_and_b32_e32 v39, exec_lo, v39
	v_not_b32_e32 v155, v156
	v_ashrrev_i32_e32 v153, 31, v153
	v_xor_b32_e32 v152, vcc_lo, v152
	v_cmp_gt_i32_e32 vcc_lo, 0, v156
	v_and_b32_e32 v39, v39, v158
	v_not_b32_e32 v156, v157
	v_ashrrev_i32_e32 v155, 31, v155
	v_xor_b32_e32 v153, s22, v153
	v_cmp_gt_i32_e64 s22, 0, v157
	v_and_b32_e32 v39, v39, v152
	v_not_b32_e32 v152, v154
	v_ashrrev_i32_e32 v156, 31, v156
	v_xor_b32_e32 v155, vcc_lo, v155
	v_cmp_gt_i32_e32 vcc_lo, 0, v154
	v_and_b32_e32 v39, v39, v153
	v_ashrrev_i32_e32 v152, 31, v152
	v_xor_b32_e32 v153, s22, v156
	v_mad_u32_u24 v154, v40, 36, v114
	v_mul_u32_u24_e32 v40, 36, v40
	v_and_b32_e32 v39, v39, v155
	v_xor_b32_e32 v155, vcc_lo, v152
	ds_read_b32 v152, v154 offset:544
	v_and_b32_e32 v39, v39, v153
	; wave barrier
	v_and_b32_e32 v39, v39, v155
	v_add_nc_u32_e32 v155, v114, v40
	v_mbcnt_lo_u32_b32 v153, v39, 0
	v_cmp_ne_u32_e64 s22, 0, v39
	v_cmp_eq_u32_e32 vcc_lo, 0, v153
	s_and_b32 s23, s22, vcc_lo
	s_and_saveexec_b32 s22, s23
	s_cbranch_execz .LBB399_129
; %bb.128:                              ;   in Loop: Header=BB399_100 Depth=2
	s_waitcnt lgkmcnt(0)
	v_bcnt_u32_b32 v39, v39, v152
	ds_write_b32 v155, v39 offset:544
.LBB399_129:                            ;   in Loop: Header=BB399_100 Depth=2
	s_or_b32 exec_lo, exec_lo, s22
	v_lshrrev_b32_e32 v154, 24, v146
	; wave barrier
	v_lshrrev_b32_e32 v39, s61, v154
	v_and_b32_e32 v40, s62, v39
	v_and_b32_e32 v39, 1, v40
	v_lshlrev_b32_e32 v156, 30, v40
	v_lshlrev_b32_e32 v157, 29, v40
	;; [unrolled: 1-line block ×4, first 2 shown]
	v_add_co_u32 v39, s22, v39, -1
	v_cndmask_b32_e64 v158, 0, 1, s22
	v_not_b32_e32 v162, v156
	v_cmp_gt_i32_e64 s22, 0, v156
	v_not_b32_e32 v156, v157
	v_lshlrev_b32_e32 v161, 26, v40
	v_cmp_ne_u32_e32 vcc_lo, 0, v158
	v_ashrrev_i32_e32 v162, 31, v162
	v_lshlrev_b32_e32 v158, 25, v40
	v_ashrrev_i32_e32 v156, 31, v156
	v_xor_b32_e32 v39, vcc_lo, v39
	v_cmp_gt_i32_e32 vcc_lo, 0, v157
	v_not_b32_e32 v157, v159
	v_xor_b32_e32 v162, s22, v162
	v_cmp_gt_i32_e64 s22, 0, v159
	v_and_b32_e32 v39, exec_lo, v39
	v_not_b32_e32 v159, v160
	v_ashrrev_i32_e32 v157, 31, v157
	v_xor_b32_e32 v156, vcc_lo, v156
	v_cmp_gt_i32_e32 vcc_lo, 0, v160
	v_and_b32_e32 v39, v39, v162
	v_not_b32_e32 v160, v161
	v_ashrrev_i32_e32 v159, 31, v159
	v_xor_b32_e32 v157, s22, v157
	v_cmp_gt_i32_e64 s22, 0, v161
	v_and_b32_e32 v39, v39, v156
	v_not_b32_e32 v156, v158
	v_ashrrev_i32_e32 v160, 31, v160
	v_xor_b32_e32 v159, vcc_lo, v159
	v_cmp_gt_i32_e32 vcc_lo, 0, v158
	v_and_b32_e32 v39, v39, v157
	v_ashrrev_i32_e32 v156, 31, v156
	v_xor_b32_e32 v157, s22, v160
	v_mad_u32_u24 v158, v40, 36, v114
	v_mul_u32_u24_e32 v40, 36, v40
	v_and_b32_e32 v39, v39, v159
	v_xor_b32_e32 v159, vcc_lo, v156
	ds_read_b32 v156, v158 offset:544
	v_add_nc_u32_e32 v158, v114, v40
	v_and_b32_e32 v39, v39, v157
	; wave barrier
	v_and_b32_e32 v39, v39, v159
	v_mbcnt_lo_u32_b32 v157, v39, 0
	v_cmp_ne_u32_e64 s22, 0, v39
	v_cmp_eq_u32_e32 vcc_lo, 0, v157
	s_and_b32 s23, s22, vcc_lo
	s_and_saveexec_b32 s22, s23
	s_cbranch_execz .LBB399_131
; %bb.130:                              ;   in Loop: Header=BB399_100 Depth=2
	s_waitcnt lgkmcnt(0)
	v_bcnt_u32_b32 v39, v39, v156
	ds_write_b32 v158, v39 offset:544
.LBB399_131:                            ;   in Loop: Header=BB399_100 Depth=2
	s_or_b32 exec_lo, exec_lo, s22
	v_xor_b32_e32 v39, 0x80, v148
	; wave barrier
	v_and_b32_sdwa v40, v92, v39 dst_sel:DWORD dst_unused:UNUSED_PAD src0_sel:DWORD src1_sel:BYTE_0
	v_lshrrev_b32_e32 v40, s61, v40
	v_and_b32_e32 v160, s62, v40
	v_and_b32_e32 v40, 1, v160
	v_lshlrev_b32_e32 v148, 30, v160
	v_lshlrev_b32_e32 v159, 29, v160
	;; [unrolled: 1-line block ×4, first 2 shown]
	v_add_co_u32 v40, s22, v40, -1
	v_cndmask_b32_e64 v161, 0, 1, s22
	v_not_b32_e32 v165, v148
	v_cmp_gt_i32_e64 s22, 0, v148
	v_not_b32_e32 v148, v159
	v_lshlrev_b32_e32 v164, 26, v160
	v_cmp_ne_u32_e32 vcc_lo, 0, v161
	v_ashrrev_i32_e32 v165, 31, v165
	v_lshlrev_b32_e32 v161, 25, v160
	v_ashrrev_i32_e32 v148, 31, v148
	v_xor_b32_e32 v40, vcc_lo, v40
	v_cmp_gt_i32_e32 vcc_lo, 0, v159
	v_not_b32_e32 v159, v162
	v_xor_b32_e32 v165, s22, v165
	v_cmp_gt_i32_e64 s22, 0, v162
	v_and_b32_e32 v40, exec_lo, v40
	v_not_b32_e32 v162, v163
	v_ashrrev_i32_e32 v159, 31, v159
	v_xor_b32_e32 v148, vcc_lo, v148
	v_cmp_gt_i32_e32 vcc_lo, 0, v163
	v_and_b32_e32 v40, v40, v165
	v_not_b32_e32 v163, v164
	v_ashrrev_i32_e32 v162, 31, v162
	v_xor_b32_e32 v159, s22, v159
	v_cmp_gt_i32_e64 s22, 0, v164
	v_and_b32_e32 v40, v40, v148
	v_not_b32_e32 v148, v161
	v_ashrrev_i32_e32 v163, 31, v163
	v_xor_b32_e32 v162, vcc_lo, v162
	v_cmp_gt_i32_e32 vcc_lo, 0, v161
	v_and_b32_e32 v40, v40, v159
	v_ashrrev_i32_e32 v148, 31, v148
	v_xor_b32_e32 v159, s22, v163
	v_mad_u32_u24 v161, v160, 36, v114
	v_mul_u32_u24_e32 v160, 36, v160
	v_and_b32_e32 v40, v40, v162
	v_xor_b32_e32 v162, vcc_lo, v148
	ds_read_b32 v148, v161 offset:544
	v_add_nc_u32_e32 v160, v114, v160
	v_and_b32_e32 v40, v40, v159
	; wave barrier
	v_and_b32_e32 v40, v40, v162
	v_mbcnt_lo_u32_b32 v159, v40, 0
	v_cmp_ne_u32_e64 s22, 0, v40
	v_cmp_eq_u32_e32 vcc_lo, 0, v159
	s_and_b32 s23, s22, vcc_lo
	s_and_saveexec_b32 s22, s23
	s_cbranch_execz .LBB399_133
; %bb.132:                              ;   in Loop: Header=BB399_100 Depth=2
	s_waitcnt lgkmcnt(0)
	v_bcnt_u32_b32 v40, v40, v148
	ds_write_b32 v160, v40 offset:544
.LBB399_133:                            ;   in Loop: Header=BB399_100 Depth=2
	s_or_b32 exec_lo, exec_lo, s22
	v_xor_b32_sdwa v40, v141, v93 dst_sel:BYTE_1 dst_unused:UNUSED_PAD src0_sel:DWORD src1_sel:DWORD
	v_xor_b32_e32 v142, 0x80, v142
	v_xor_b32_sdwa v143, v143, v93 dst_sel:BYTE_1 dst_unused:UNUSED_PAD src0_sel:DWORD src1_sel:DWORD
	; wave barrier
	v_or_b32_sdwa v141, v39, v40 dst_sel:DWORD dst_unused:UNUSED_PAD src0_sel:BYTE_0 src1_sel:DWORD
	v_or_b32_sdwa v39, v142, v143 dst_sel:WORD_1 dst_unused:UNUSED_PAD src0_sel:BYTE_0 src1_sel:DWORD
	v_or_b32_sdwa v142, v141, v39 dst_sel:DWORD dst_unused:UNUSED_PAD src0_sel:WORD_0 src1_sel:DWORD
	v_lshrrev_b32_sdwa v39, s61, v142 dst_sel:DWORD dst_unused:UNUSED_PAD src0_sel:DWORD src1_sel:BYTE_1
	v_and_b32_e32 v40, s62, v39
	v_and_b32_e32 v39, 1, v40
	v_lshlrev_b32_e32 v143, 30, v40
	v_lshlrev_b32_e32 v161, 29, v40
	;; [unrolled: 1-line block ×4, first 2 shown]
	v_add_co_u32 v39, s22, v39, -1
	v_cndmask_b32_e64 v162, 0, 1, s22
	v_not_b32_e32 v166, v143
	v_cmp_gt_i32_e64 s22, 0, v143
	v_not_b32_e32 v143, v161
	v_lshlrev_b32_e32 v165, 26, v40
	v_cmp_ne_u32_e32 vcc_lo, 0, v162
	v_ashrrev_i32_e32 v166, 31, v166
	v_lshlrev_b32_e32 v162, 25, v40
	v_ashrrev_i32_e32 v143, 31, v143
	v_xor_b32_e32 v39, vcc_lo, v39
	v_cmp_gt_i32_e32 vcc_lo, 0, v161
	v_not_b32_e32 v161, v163
	v_xor_b32_e32 v166, s22, v166
	v_cmp_gt_i32_e64 s22, 0, v163
	v_and_b32_e32 v39, exec_lo, v39
	v_not_b32_e32 v163, v164
	v_ashrrev_i32_e32 v161, 31, v161
	v_xor_b32_e32 v143, vcc_lo, v143
	v_cmp_gt_i32_e32 vcc_lo, 0, v164
	v_and_b32_e32 v39, v39, v166
	v_not_b32_e32 v164, v165
	v_ashrrev_i32_e32 v163, 31, v163
	v_xor_b32_e32 v161, s22, v161
	v_cmp_gt_i32_e64 s22, 0, v165
	v_and_b32_e32 v39, v39, v143
	v_not_b32_e32 v143, v162
	v_ashrrev_i32_e32 v164, 31, v164
	v_xor_b32_e32 v163, vcc_lo, v163
	v_cmp_gt_i32_e32 vcc_lo, 0, v162
	v_and_b32_e32 v39, v39, v161
	v_ashrrev_i32_e32 v143, 31, v143
	v_xor_b32_e32 v161, s22, v164
	v_mad_u32_u24 v162, v40, 36, v114
	v_mul_u32_u24_e32 v40, 36, v40
	v_and_b32_e32 v39, v39, v163
	v_xor_b32_e32 v163, vcc_lo, v143
	ds_read_b32 v143, v162 offset:544
	v_add_nc_u32_e32 v162, v114, v40
	v_and_b32_e32 v39, v39, v161
	; wave barrier
	v_and_b32_e32 v39, v39, v163
	v_mbcnt_lo_u32_b32 v161, v39, 0
	v_cmp_ne_u32_e64 s22, 0, v39
	v_cmp_eq_u32_e32 vcc_lo, 0, v161
	s_and_b32 s23, s22, vcc_lo
	s_and_saveexec_b32 s22, s23
	s_cbranch_execz .LBB399_135
; %bb.134:                              ;   in Loop: Header=BB399_100 Depth=2
	s_waitcnt lgkmcnt(0)
	v_bcnt_u32_b32 v39, v39, v143
	ds_write_b32 v162, v39 offset:544
.LBB399_135:                            ;   in Loop: Header=BB399_100 Depth=2
	s_or_b32 exec_lo, exec_lo, s22
	v_lshrrev_b32_sdwa v39, s61, v142 dst_sel:DWORD dst_unused:UNUSED_PAD src0_sel:DWORD src1_sel:BYTE_2
	; wave barrier
	v_and_b32_e32 v40, s62, v39
	v_and_b32_e32 v39, 1, v40
	v_lshlrev_b32_e32 v163, 30, v40
	v_lshlrev_b32_e32 v164, 29, v40
	;; [unrolled: 1-line block ×4, first 2 shown]
	v_add_co_u32 v39, s22, v39, -1
	v_cndmask_b32_e64 v165, 0, 1, s22
	v_not_b32_e32 v169, v163
	v_cmp_gt_i32_e64 s22, 0, v163
	v_not_b32_e32 v163, v164
	v_lshlrev_b32_e32 v168, 26, v40
	v_cmp_ne_u32_e32 vcc_lo, 0, v165
	v_ashrrev_i32_e32 v169, 31, v169
	v_lshlrev_b32_e32 v165, 25, v40
	v_ashrrev_i32_e32 v163, 31, v163
	v_xor_b32_e32 v39, vcc_lo, v39
	v_cmp_gt_i32_e32 vcc_lo, 0, v164
	v_not_b32_e32 v164, v166
	v_xor_b32_e32 v169, s22, v169
	v_cmp_gt_i32_e64 s22, 0, v166
	v_and_b32_e32 v39, exec_lo, v39
	v_not_b32_e32 v166, v167
	v_ashrrev_i32_e32 v164, 31, v164
	v_xor_b32_e32 v163, vcc_lo, v163
	v_cmp_gt_i32_e32 vcc_lo, 0, v167
	v_and_b32_e32 v39, v39, v169
	v_not_b32_e32 v167, v168
	v_ashrrev_i32_e32 v166, 31, v166
	v_xor_b32_e32 v164, s22, v164
	v_cmp_gt_i32_e64 s22, 0, v168
	v_and_b32_e32 v39, v39, v163
	v_not_b32_e32 v163, v165
	v_ashrrev_i32_e32 v167, 31, v167
	v_xor_b32_e32 v166, vcc_lo, v166
	v_cmp_gt_i32_e32 vcc_lo, 0, v165
	v_and_b32_e32 v39, v39, v164
	v_ashrrev_i32_e32 v163, 31, v163
	v_xor_b32_e32 v164, s22, v167
	v_mad_u32_u24 v165, v40, 36, v114
	v_mul_u32_u24_e32 v40, 36, v40
	v_and_b32_e32 v39, v39, v166
	v_xor_b32_e32 v166, vcc_lo, v163
	ds_read_b32 v163, v165 offset:544
	v_and_b32_e32 v39, v39, v164
	; wave barrier
	v_and_b32_e32 v39, v39, v166
	v_add_nc_u32_e32 v166, v114, v40
	v_mbcnt_lo_u32_b32 v164, v39, 0
	v_cmp_ne_u32_e64 s22, 0, v39
	v_cmp_eq_u32_e32 vcc_lo, 0, v164
	s_and_b32 s23, s22, vcc_lo
	s_and_saveexec_b32 s22, s23
	s_cbranch_execz .LBB399_137
; %bb.136:                              ;   in Loop: Header=BB399_100 Depth=2
	s_waitcnt lgkmcnt(0)
	v_bcnt_u32_b32 v39, v39, v163
	ds_write_b32 v166, v39 offset:544
.LBB399_137:                            ;   in Loop: Header=BB399_100 Depth=2
	s_or_b32 exec_lo, exec_lo, s22
	v_lshrrev_b32_e32 v165, 24, v142
	; wave barrier
	v_lshrrev_b32_e32 v39, s61, v165
	v_and_b32_e32 v40, s62, v39
	v_and_b32_e32 v39, 1, v40
	v_lshlrev_b32_e32 v167, 30, v40
	v_lshlrev_b32_e32 v168, 29, v40
	;; [unrolled: 1-line block ×4, first 2 shown]
	v_add_co_u32 v39, s22, v39, -1
	v_cndmask_b32_e64 v169, 0, 1, s22
	v_not_b32_e32 v173, v167
	v_cmp_gt_i32_e64 s22, 0, v167
	v_not_b32_e32 v167, v168
	v_lshlrev_b32_e32 v172, 26, v40
	v_cmp_ne_u32_e32 vcc_lo, 0, v169
	v_ashrrev_i32_e32 v173, 31, v173
	v_lshlrev_b32_e32 v169, 25, v40
	v_ashrrev_i32_e32 v167, 31, v167
	v_xor_b32_e32 v39, vcc_lo, v39
	v_cmp_gt_i32_e32 vcc_lo, 0, v168
	v_not_b32_e32 v168, v170
	v_xor_b32_e32 v173, s22, v173
	v_cmp_gt_i32_e64 s22, 0, v170
	v_and_b32_e32 v39, exec_lo, v39
	v_not_b32_e32 v170, v171
	v_ashrrev_i32_e32 v168, 31, v168
	v_xor_b32_e32 v167, vcc_lo, v167
	v_cmp_gt_i32_e32 vcc_lo, 0, v171
	v_and_b32_e32 v39, v39, v173
	v_not_b32_e32 v171, v172
	v_ashrrev_i32_e32 v170, 31, v170
	v_xor_b32_e32 v168, s22, v168
	v_cmp_gt_i32_e64 s22, 0, v172
	v_and_b32_e32 v39, v39, v167
	v_not_b32_e32 v167, v169
	v_ashrrev_i32_e32 v171, 31, v171
	v_xor_b32_e32 v170, vcc_lo, v170
	v_cmp_gt_i32_e32 vcc_lo, 0, v169
	v_and_b32_e32 v39, v39, v168
	v_ashrrev_i32_e32 v167, 31, v167
	v_xor_b32_e32 v168, s22, v171
	v_mad_u32_u24 v169, v40, 36, v114
	v_mul_u32_u24_e32 v40, 36, v40
	v_and_b32_e32 v39, v39, v170
	v_xor_b32_e32 v170, vcc_lo, v167
	ds_read_b32 v167, v169 offset:544
	v_add_nc_u32_e32 v169, v114, v40
	v_and_b32_e32 v39, v39, v168
	; wave barrier
	v_and_b32_e32 v39, v39, v170
	v_mbcnt_lo_u32_b32 v168, v39, 0
	v_cmp_ne_u32_e64 s22, 0, v39
	v_cmp_eq_u32_e32 vcc_lo, 0, v168
	s_and_b32 s23, s22, vcc_lo
	s_and_saveexec_b32 s22, s23
	s_cbranch_execz .LBB399_139
; %bb.138:                              ;   in Loop: Header=BB399_100 Depth=2
	s_waitcnt lgkmcnt(0)
	v_bcnt_u32_b32 v39, v39, v167
	ds_write_b32 v169, v39 offset:544
.LBB399_139:                            ;   in Loop: Header=BB399_100 Depth=2
	s_or_b32 exec_lo, exec_lo, s22
	v_xor_b32_e32 v39, 0x80, v140
	; wave barrier
	v_and_b32_sdwa v40, v92, v39 dst_sel:DWORD dst_unused:UNUSED_PAD src0_sel:DWORD src1_sel:BYTE_0
	v_lshrrev_b32_e32 v40, s61, v40
	v_and_b32_e32 v171, s62, v40
	v_and_b32_e32 v40, 1, v171
	v_lshlrev_b32_e32 v140, 30, v171
	v_lshlrev_b32_e32 v170, 29, v171
	;; [unrolled: 1-line block ×4, first 2 shown]
	v_add_co_u32 v40, s22, v40, -1
	v_cndmask_b32_e64 v172, 0, 1, s22
	v_not_b32_e32 v176, v140
	v_cmp_gt_i32_e64 s22, 0, v140
	v_not_b32_e32 v140, v170
	v_lshlrev_b32_e32 v175, 26, v171
	v_cmp_ne_u32_e32 vcc_lo, 0, v172
	v_ashrrev_i32_e32 v176, 31, v176
	v_lshlrev_b32_e32 v172, 25, v171
	v_ashrrev_i32_e32 v140, 31, v140
	v_xor_b32_e32 v40, vcc_lo, v40
	v_cmp_gt_i32_e32 vcc_lo, 0, v170
	v_not_b32_e32 v170, v173
	v_xor_b32_e32 v176, s22, v176
	v_cmp_gt_i32_e64 s22, 0, v173
	v_and_b32_e32 v40, exec_lo, v40
	v_not_b32_e32 v173, v174
	v_ashrrev_i32_e32 v170, 31, v170
	v_xor_b32_e32 v140, vcc_lo, v140
	v_cmp_gt_i32_e32 vcc_lo, 0, v174
	v_and_b32_e32 v40, v40, v176
	v_not_b32_e32 v174, v175
	v_ashrrev_i32_e32 v173, 31, v173
	v_xor_b32_e32 v170, s22, v170
	v_cmp_gt_i32_e64 s22, 0, v175
	v_and_b32_e32 v40, v40, v140
	v_not_b32_e32 v140, v172
	v_ashrrev_i32_e32 v174, 31, v174
	v_xor_b32_e32 v173, vcc_lo, v173
	v_cmp_gt_i32_e32 vcc_lo, 0, v172
	v_and_b32_e32 v40, v40, v170
	v_ashrrev_i32_e32 v140, 31, v140
	v_xor_b32_e32 v170, s22, v174
	v_mad_u32_u24 v172, v171, 36, v114
	v_mul_u32_u24_e32 v171, 36, v171
	v_and_b32_e32 v40, v40, v173
	v_xor_b32_e32 v173, vcc_lo, v140
	ds_read_b32 v140, v172 offset:544
	v_add_nc_u32_e32 v171, v114, v171
	v_and_b32_e32 v40, v40, v170
	; wave barrier
	v_and_b32_e32 v40, v40, v173
	v_mbcnt_lo_u32_b32 v170, v40, 0
	v_cmp_ne_u32_e64 s22, 0, v40
	v_cmp_eq_u32_e32 vcc_lo, 0, v170
	s_and_b32 s23, s22, vcc_lo
	s_and_saveexec_b32 s22, s23
	s_cbranch_execz .LBB399_141
; %bb.140:                              ;   in Loop: Header=BB399_100 Depth=2
	s_waitcnt lgkmcnt(0)
	v_bcnt_u32_b32 v40, v40, v140
	ds_write_b32 v171, v40 offset:544
.LBB399_141:                            ;   in Loop: Header=BB399_100 Depth=2
	s_or_b32 exec_lo, exec_lo, s22
	v_xor_b32_sdwa v40, v137, v93 dst_sel:BYTE_1 dst_unused:UNUSED_PAD src0_sel:DWORD src1_sel:DWORD
	v_xor_b32_e32 v138, 0x80, v138
	v_xor_b32_sdwa v139, v139, v93 dst_sel:BYTE_1 dst_unused:UNUSED_PAD src0_sel:DWORD src1_sel:DWORD
	; wave barrier
	v_or_b32_sdwa v137, v39, v40 dst_sel:DWORD dst_unused:UNUSED_PAD src0_sel:BYTE_0 src1_sel:DWORD
	v_or_b32_sdwa v39, v138, v139 dst_sel:WORD_1 dst_unused:UNUSED_PAD src0_sel:BYTE_0 src1_sel:DWORD
	v_or_b32_sdwa v138, v137, v39 dst_sel:DWORD dst_unused:UNUSED_PAD src0_sel:WORD_0 src1_sel:DWORD
	v_lshrrev_b32_sdwa v39, s61, v138 dst_sel:DWORD dst_unused:UNUSED_PAD src0_sel:DWORD src1_sel:BYTE_1
	v_and_b32_e32 v40, s62, v39
	v_and_b32_e32 v39, 1, v40
	v_lshlrev_b32_e32 v139, 30, v40
	v_lshlrev_b32_e32 v172, 29, v40
	;; [unrolled: 1-line block ×4, first 2 shown]
	v_add_co_u32 v39, s22, v39, -1
	v_cndmask_b32_e64 v173, 0, 1, s22
	v_not_b32_e32 v177, v139
	v_cmp_gt_i32_e64 s22, 0, v139
	v_not_b32_e32 v139, v172
	v_lshlrev_b32_e32 v176, 26, v40
	v_cmp_ne_u32_e32 vcc_lo, 0, v173
	v_ashrrev_i32_e32 v177, 31, v177
	v_lshlrev_b32_e32 v173, 25, v40
	v_ashrrev_i32_e32 v139, 31, v139
	v_xor_b32_e32 v39, vcc_lo, v39
	v_cmp_gt_i32_e32 vcc_lo, 0, v172
	v_not_b32_e32 v172, v174
	v_xor_b32_e32 v177, s22, v177
	v_cmp_gt_i32_e64 s22, 0, v174
	v_and_b32_e32 v39, exec_lo, v39
	v_not_b32_e32 v174, v175
	v_ashrrev_i32_e32 v172, 31, v172
	v_xor_b32_e32 v139, vcc_lo, v139
	v_cmp_gt_i32_e32 vcc_lo, 0, v175
	v_and_b32_e32 v39, v39, v177
	v_not_b32_e32 v175, v176
	v_ashrrev_i32_e32 v174, 31, v174
	v_xor_b32_e32 v172, s22, v172
	v_cmp_gt_i32_e64 s22, 0, v176
	v_and_b32_e32 v39, v39, v139
	v_not_b32_e32 v139, v173
	v_ashrrev_i32_e32 v175, 31, v175
	v_xor_b32_e32 v174, vcc_lo, v174
	v_cmp_gt_i32_e32 vcc_lo, 0, v173
	v_and_b32_e32 v39, v39, v172
	v_ashrrev_i32_e32 v139, 31, v139
	v_xor_b32_e32 v172, s22, v175
	v_mad_u32_u24 v173, v40, 36, v114
	v_mul_u32_u24_e32 v40, 36, v40
	v_and_b32_e32 v39, v39, v174
	v_xor_b32_e32 v174, vcc_lo, v139
	ds_read_b32 v139, v173 offset:544
	v_add_nc_u32_e32 v173, v114, v40
	v_and_b32_e32 v39, v39, v172
	; wave barrier
	v_and_b32_e32 v39, v39, v174
	v_mbcnt_lo_u32_b32 v172, v39, 0
	v_cmp_ne_u32_e64 s22, 0, v39
	v_cmp_eq_u32_e32 vcc_lo, 0, v172
	s_and_b32 s23, s22, vcc_lo
	s_and_saveexec_b32 s22, s23
	s_cbranch_execz .LBB399_143
; %bb.142:                              ;   in Loop: Header=BB399_100 Depth=2
	s_waitcnt lgkmcnt(0)
	v_bcnt_u32_b32 v39, v39, v139
	ds_write_b32 v173, v39 offset:544
.LBB399_143:                            ;   in Loop: Header=BB399_100 Depth=2
	s_or_b32 exec_lo, exec_lo, s22
	v_lshrrev_b32_sdwa v39, s61, v138 dst_sel:DWORD dst_unused:UNUSED_PAD src0_sel:DWORD src1_sel:BYTE_2
	; wave barrier
	v_and_b32_e32 v40, s62, v39
	v_and_b32_e32 v39, 1, v40
	v_lshlrev_b32_e32 v174, 30, v40
	v_lshlrev_b32_e32 v175, 29, v40
	;; [unrolled: 1-line block ×4, first 2 shown]
	v_add_co_u32 v39, s22, v39, -1
	v_cndmask_b32_e64 v176, 0, 1, s22
	v_not_b32_e32 v180, v174
	v_cmp_gt_i32_e64 s22, 0, v174
	v_not_b32_e32 v174, v175
	v_lshlrev_b32_e32 v179, 26, v40
	v_cmp_ne_u32_e32 vcc_lo, 0, v176
	v_ashrrev_i32_e32 v180, 31, v180
	v_lshlrev_b32_e32 v176, 25, v40
	v_ashrrev_i32_e32 v174, 31, v174
	v_xor_b32_e32 v39, vcc_lo, v39
	v_cmp_gt_i32_e32 vcc_lo, 0, v175
	v_not_b32_e32 v175, v177
	v_xor_b32_e32 v180, s22, v180
	v_cmp_gt_i32_e64 s22, 0, v177
	v_and_b32_e32 v39, exec_lo, v39
	v_not_b32_e32 v177, v178
	v_ashrrev_i32_e32 v175, 31, v175
	v_xor_b32_e32 v174, vcc_lo, v174
	v_cmp_gt_i32_e32 vcc_lo, 0, v178
	v_and_b32_e32 v39, v39, v180
	v_not_b32_e32 v178, v179
	v_ashrrev_i32_e32 v177, 31, v177
	v_xor_b32_e32 v175, s22, v175
	v_cmp_gt_i32_e64 s22, 0, v179
	v_and_b32_e32 v39, v39, v174
	v_not_b32_e32 v174, v176
	v_ashrrev_i32_e32 v178, 31, v178
	v_xor_b32_e32 v177, vcc_lo, v177
	v_cmp_gt_i32_e32 vcc_lo, 0, v176
	v_and_b32_e32 v39, v39, v175
	v_ashrrev_i32_e32 v174, 31, v174
	v_xor_b32_e32 v175, s22, v178
	v_mad_u32_u24 v176, v40, 36, v114
	v_mul_u32_u24_e32 v40, 36, v40
	v_and_b32_e32 v39, v39, v177
	v_xor_b32_e32 v177, vcc_lo, v174
	ds_read_b32 v174, v176 offset:544
	v_and_b32_e32 v39, v39, v175
	; wave barrier
	v_and_b32_e32 v39, v39, v177
	v_add_nc_u32_e32 v177, v114, v40
	v_mbcnt_lo_u32_b32 v175, v39, 0
	v_cmp_ne_u32_e64 s22, 0, v39
	v_cmp_eq_u32_e32 vcc_lo, 0, v175
	s_and_b32 s23, s22, vcc_lo
	s_and_saveexec_b32 s22, s23
	s_cbranch_execz .LBB399_145
; %bb.144:                              ;   in Loop: Header=BB399_100 Depth=2
	s_waitcnt lgkmcnt(0)
	v_bcnt_u32_b32 v39, v39, v174
	ds_write_b32 v177, v39 offset:544
.LBB399_145:                            ;   in Loop: Header=BB399_100 Depth=2
	s_or_b32 exec_lo, exec_lo, s22
	v_lshrrev_b32_e32 v176, 24, v138
	; wave barrier
	v_lshrrev_b32_e32 v39, s61, v176
	v_and_b32_e32 v40, s62, v39
	v_and_b32_e32 v39, 1, v40
	v_lshlrev_b32_e32 v178, 30, v40
	v_lshlrev_b32_e32 v179, 29, v40
	;; [unrolled: 1-line block ×4, first 2 shown]
	v_add_co_u32 v39, s22, v39, -1
	v_cndmask_b32_e64 v180, 0, 1, s22
	v_not_b32_e32 v184, v178
	v_cmp_gt_i32_e64 s22, 0, v178
	v_not_b32_e32 v178, v179
	v_lshlrev_b32_e32 v183, 26, v40
	v_cmp_ne_u32_e32 vcc_lo, 0, v180
	v_ashrrev_i32_e32 v184, 31, v184
	v_lshlrev_b32_e32 v180, 25, v40
	v_ashrrev_i32_e32 v178, 31, v178
	v_xor_b32_e32 v39, vcc_lo, v39
	v_cmp_gt_i32_e32 vcc_lo, 0, v179
	v_not_b32_e32 v179, v181
	v_xor_b32_e32 v184, s22, v184
	v_cmp_gt_i32_e64 s22, 0, v181
	v_and_b32_e32 v39, exec_lo, v39
	v_not_b32_e32 v181, v182
	v_ashrrev_i32_e32 v179, 31, v179
	v_xor_b32_e32 v178, vcc_lo, v178
	v_cmp_gt_i32_e32 vcc_lo, 0, v182
	v_and_b32_e32 v39, v39, v184
	v_not_b32_e32 v182, v183
	v_ashrrev_i32_e32 v181, 31, v181
	v_xor_b32_e32 v179, s22, v179
	v_cmp_gt_i32_e64 s22, 0, v183
	v_and_b32_e32 v39, v39, v178
	v_not_b32_e32 v178, v180
	v_ashrrev_i32_e32 v182, 31, v182
	v_xor_b32_e32 v181, vcc_lo, v181
	v_cmp_gt_i32_e32 vcc_lo, 0, v180
	v_and_b32_e32 v39, v39, v179
	v_ashrrev_i32_e32 v178, 31, v178
	v_xor_b32_e32 v179, s22, v182
	v_mad_u32_u24 v180, v40, 36, v114
	v_mul_u32_u24_e32 v40, 36, v40
	v_and_b32_e32 v39, v39, v181
	v_xor_b32_e32 v181, vcc_lo, v178
	ds_read_b32 v178, v180 offset:544
	v_add_nc_u32_e32 v180, v114, v40
	v_and_b32_e32 v39, v39, v179
	; wave barrier
	v_and_b32_e32 v39, v39, v181
	v_mbcnt_lo_u32_b32 v179, v39, 0
	v_cmp_ne_u32_e64 s22, 0, v39
	v_cmp_eq_u32_e32 vcc_lo, 0, v179
	s_and_b32 s23, s22, vcc_lo
	s_and_saveexec_b32 s22, s23
	s_cbranch_execz .LBB399_147
; %bb.146:                              ;   in Loop: Header=BB399_100 Depth=2
	s_waitcnt lgkmcnt(0)
	v_bcnt_u32_b32 v39, v39, v178
	ds_write_b32 v180, v39 offset:544
.LBB399_147:                            ;   in Loop: Header=BB399_100 Depth=2
	s_or_b32 exec_lo, exec_lo, s22
	v_xor_b32_e32 v39, 0x80, v135
	; wave barrier
	v_and_b32_sdwa v40, v92, v39 dst_sel:DWORD dst_unused:UNUSED_PAD src0_sel:DWORD src1_sel:BYTE_0
	v_lshrrev_b32_e32 v40, s61, v40
	v_and_b32_e32 v182, s62, v40
	v_and_b32_e32 v40, 1, v182
	v_lshlrev_b32_e32 v135, 30, v182
	v_lshlrev_b32_e32 v181, 29, v182
	;; [unrolled: 1-line block ×4, first 2 shown]
	v_add_co_u32 v40, s22, v40, -1
	v_cndmask_b32_e64 v183, 0, 1, s22
	v_not_b32_e32 v187, v135
	v_cmp_gt_i32_e64 s22, 0, v135
	v_not_b32_e32 v135, v181
	v_lshlrev_b32_e32 v186, 26, v182
	v_cmp_ne_u32_e32 vcc_lo, 0, v183
	v_ashrrev_i32_e32 v187, 31, v187
	v_lshlrev_b32_e32 v183, 25, v182
	v_ashrrev_i32_e32 v135, 31, v135
	v_xor_b32_e32 v40, vcc_lo, v40
	v_cmp_gt_i32_e32 vcc_lo, 0, v181
	v_not_b32_e32 v181, v184
	v_xor_b32_e32 v187, s22, v187
	v_cmp_gt_i32_e64 s22, 0, v184
	v_and_b32_e32 v40, exec_lo, v40
	v_not_b32_e32 v184, v185
	v_ashrrev_i32_e32 v181, 31, v181
	v_xor_b32_e32 v135, vcc_lo, v135
	v_cmp_gt_i32_e32 vcc_lo, 0, v185
	v_and_b32_e32 v40, v40, v187
	v_not_b32_e32 v185, v186
	v_ashrrev_i32_e32 v184, 31, v184
	v_xor_b32_e32 v181, s22, v181
	v_cmp_gt_i32_e64 s22, 0, v186
	v_and_b32_e32 v40, v40, v135
	v_not_b32_e32 v135, v183
	v_ashrrev_i32_e32 v185, 31, v185
	v_xor_b32_e32 v184, vcc_lo, v184
	v_cmp_gt_i32_e32 vcc_lo, 0, v183
	v_and_b32_e32 v40, v40, v181
	v_ashrrev_i32_e32 v135, 31, v135
	v_xor_b32_e32 v181, s22, v185
	v_mad_u32_u24 v183, v182, 36, v114
	v_mul_u32_u24_e32 v182, 36, v182
	v_and_b32_e32 v40, v40, v184
	v_xor_b32_e32 v184, vcc_lo, v135
	ds_read_b32 v135, v183 offset:544
	v_add_nc_u32_e32 v183, v114, v182
	v_and_b32_e32 v40, v40, v181
	; wave barrier
	v_and_b32_e32 v40, v40, v184
	v_mbcnt_lo_u32_b32 v181, v40, 0
	v_cmp_ne_u32_e64 s22, 0, v40
	v_cmp_eq_u32_e32 vcc_lo, 0, v181
	s_and_b32 s23, s22, vcc_lo
	s_and_saveexec_b32 s22, s23
	s_cbranch_execz .LBB399_149
; %bb.148:                              ;   in Loop: Header=BB399_100 Depth=2
	s_waitcnt lgkmcnt(0)
	v_bcnt_u32_b32 v40, v40, v135
	ds_write_b32 v183, v40 offset:544
.LBB399_149:                            ;   in Loop: Header=BB399_100 Depth=2
	s_or_b32 exec_lo, exec_lo, s22
	v_xor_b32_sdwa v3, v3, v93 dst_sel:BYTE_1 dst_unused:UNUSED_PAD src0_sel:DWORD src1_sel:DWORD
	v_xor_b32_e32 v40, 0x80, v41
	v_xor_b32_sdwa v41, v42, v93 dst_sel:BYTE_1 dst_unused:UNUSED_PAD src0_sel:DWORD src1_sel:DWORD
	; wave barrier
	v_or_b32_sdwa v182, v39, v3 dst_sel:DWORD dst_unused:UNUSED_PAD src0_sel:BYTE_0 src1_sel:DWORD
	v_or_b32_sdwa v3, v40, v41 dst_sel:WORD_1 dst_unused:UNUSED_PAD src0_sel:BYTE_0 src1_sel:DWORD
	v_or_b32_sdwa v3, v182, v3 dst_sel:DWORD dst_unused:UNUSED_PAD src0_sel:WORD_0 src1_sel:DWORD
	v_lshrrev_b32_sdwa v39, s61, v3 dst_sel:DWORD dst_unused:UNUSED_PAD src0_sel:DWORD src1_sel:BYTE_1
	v_and_b32_e32 v40, s62, v39
	v_and_b32_e32 v39, 1, v40
	v_lshlrev_b32_e32 v41, 30, v40
	v_lshlrev_b32_e32 v42, 29, v40
	v_lshlrev_b32_e32 v185, 28, v40
	v_lshlrev_b32_e32 v186, 27, v40
	v_add_co_u32 v39, s22, v39, -1
	v_cndmask_b32_e64 v184, 0, 1, s22
	v_not_b32_e32 v188, v41
	v_cmp_gt_i32_e64 s22, 0, v41
	v_not_b32_e32 v41, v42
	v_lshlrev_b32_e32 v187, 26, v40
	v_cmp_ne_u32_e32 vcc_lo, 0, v184
	v_ashrrev_i32_e32 v188, 31, v188
	v_lshlrev_b32_e32 v184, 25, v40
	v_ashrrev_i32_e32 v41, 31, v41
	v_xor_b32_e32 v39, vcc_lo, v39
	v_cmp_gt_i32_e32 vcc_lo, 0, v42
	v_not_b32_e32 v42, v185
	v_xor_b32_e32 v188, s22, v188
	v_cmp_gt_i32_e64 s22, 0, v185
	v_and_b32_e32 v39, exec_lo, v39
	v_not_b32_e32 v185, v186
	v_ashrrev_i32_e32 v42, 31, v42
	v_xor_b32_e32 v41, vcc_lo, v41
	v_cmp_gt_i32_e32 vcc_lo, 0, v186
	v_and_b32_e32 v39, v39, v188
	v_not_b32_e32 v186, v187
	v_ashrrev_i32_e32 v185, 31, v185
	v_xor_b32_e32 v42, s22, v42
	v_cmp_gt_i32_e64 s22, 0, v187
	v_and_b32_e32 v39, v39, v41
	v_not_b32_e32 v41, v184
	v_ashrrev_i32_e32 v186, 31, v186
	v_xor_b32_e32 v185, vcc_lo, v185
	v_cmp_gt_i32_e32 vcc_lo, 0, v184
	v_and_b32_e32 v39, v39, v42
	v_ashrrev_i32_e32 v41, 31, v41
	v_xor_b32_e32 v42, s22, v186
	v_mad_u32_u24 v184, v40, 36, v114
	v_mul_u32_u24_e32 v40, 36, v40
	v_and_b32_e32 v39, v39, v185
	v_xor_b32_e32 v41, vcc_lo, v41
	ds_read_b32 v184, v184 offset:544
	v_add_nc_u32_e32 v186, v114, v40
	v_and_b32_e32 v39, v39, v42
	; wave barrier
	v_and_b32_e32 v39, v39, v41
	v_mbcnt_lo_u32_b32 v185, v39, 0
	v_cmp_ne_u32_e64 s22, 0, v39
	v_cmp_eq_u32_e32 vcc_lo, 0, v185
	s_and_b32 s23, s22, vcc_lo
	s_and_saveexec_b32 s22, s23
	s_cbranch_execz .LBB399_151
; %bb.150:                              ;   in Loop: Header=BB399_100 Depth=2
	s_waitcnt lgkmcnt(0)
	v_bcnt_u32_b32 v39, v39, v184
	ds_write_b32 v186, v39 offset:544
.LBB399_151:                            ;   in Loop: Header=BB399_100 Depth=2
	s_or_b32 exec_lo, exec_lo, s22
	v_lshrrev_b32_sdwa v39, s61, v3 dst_sel:DWORD dst_unused:UNUSED_PAD src0_sel:DWORD src1_sel:BYTE_2
	; wave barrier
	v_and_b32_e32 v40, s62, v39
	v_and_b32_e32 v39, 1, v40
	v_lshlrev_b32_e32 v41, 30, v40
	v_lshlrev_b32_e32 v42, 29, v40
	;; [unrolled: 1-line block ×4, first 2 shown]
	v_add_co_u32 v39, s22, v39, -1
	v_cndmask_b32_e64 v187, 0, 1, s22
	v_not_b32_e32 v191, v41
	v_cmp_gt_i32_e64 s22, 0, v41
	v_not_b32_e32 v41, v42
	v_lshlrev_b32_e32 v190, 26, v40
	v_cmp_ne_u32_e32 vcc_lo, 0, v187
	v_ashrrev_i32_e32 v191, 31, v191
	v_lshlrev_b32_e32 v187, 25, v40
	v_ashrrev_i32_e32 v41, 31, v41
	v_xor_b32_e32 v39, vcc_lo, v39
	v_cmp_gt_i32_e32 vcc_lo, 0, v42
	v_not_b32_e32 v42, v188
	v_xor_b32_e32 v191, s22, v191
	v_cmp_gt_i32_e64 s22, 0, v188
	v_and_b32_e32 v39, exec_lo, v39
	v_not_b32_e32 v188, v189
	v_ashrrev_i32_e32 v42, 31, v42
	v_xor_b32_e32 v41, vcc_lo, v41
	v_cmp_gt_i32_e32 vcc_lo, 0, v189
	v_and_b32_e32 v39, v39, v191
	v_not_b32_e32 v189, v190
	v_ashrrev_i32_e32 v188, 31, v188
	v_xor_b32_e32 v42, s22, v42
	v_cmp_gt_i32_e64 s22, 0, v190
	v_and_b32_e32 v39, v39, v41
	v_not_b32_e32 v41, v187
	v_ashrrev_i32_e32 v189, 31, v189
	v_xor_b32_e32 v188, vcc_lo, v188
	v_cmp_gt_i32_e32 vcc_lo, 0, v187
	v_and_b32_e32 v39, v39, v42
	v_ashrrev_i32_e32 v41, 31, v41
	v_xor_b32_e32 v42, s22, v189
	v_mad_u32_u24 v187, v40, 36, v114
	v_mul_u32_u24_e32 v40, 36, v40
	v_and_b32_e32 v39, v39, v188
	v_xor_b32_e32 v41, vcc_lo, v41
	ds_read_b32 v187, v187 offset:544
	v_add_nc_u32_e32 v190, v114, v40
	v_and_b32_e32 v39, v39, v42
	; wave barrier
	v_and_b32_e32 v39, v39, v41
	v_mbcnt_lo_u32_b32 v188, v39, 0
	v_cmp_ne_u32_e64 s22, 0, v39
	v_cmp_eq_u32_e32 vcc_lo, 0, v188
	s_and_b32 s23, s22, vcc_lo
	s_and_saveexec_b32 s22, s23
	s_cbranch_execz .LBB399_153
; %bb.152:                              ;   in Loop: Header=BB399_100 Depth=2
	s_waitcnt lgkmcnt(0)
	v_bcnt_u32_b32 v39, v39, v187
	ds_write_b32 v190, v39 offset:544
.LBB399_153:                            ;   in Loop: Header=BB399_100 Depth=2
	s_or_b32 exec_lo, exec_lo, s22
	v_lshrrev_b32_e32 v189, 24, v3
	; wave barrier
	v_lshrrev_b32_e32 v39, s61, v189
	v_and_b32_e32 v40, s62, v39
	v_and_b32_e32 v39, 1, v40
	v_lshlrev_b32_e32 v41, 30, v40
	v_lshlrev_b32_e32 v42, 29, v40
	v_lshlrev_b32_e32 v192, 28, v40
	v_lshlrev_b32_e32 v193, 27, v40
	v_add_co_u32 v39, s22, v39, -1
	v_cndmask_b32_e64 v191, 0, 1, s22
	v_not_b32_e32 v195, v41
	v_cmp_gt_i32_e64 s22, 0, v41
	v_not_b32_e32 v41, v42
	v_lshlrev_b32_e32 v194, 26, v40
	v_cmp_ne_u32_e32 vcc_lo, 0, v191
	v_ashrrev_i32_e32 v195, 31, v195
	v_lshlrev_b32_e32 v191, 25, v40
	v_ashrrev_i32_e32 v41, 31, v41
	v_xor_b32_e32 v39, vcc_lo, v39
	v_cmp_gt_i32_e32 vcc_lo, 0, v42
	v_not_b32_e32 v42, v192
	v_xor_b32_e32 v195, s22, v195
	v_cmp_gt_i32_e64 s22, 0, v192
	v_and_b32_e32 v39, exec_lo, v39
	v_not_b32_e32 v192, v193
	v_ashrrev_i32_e32 v42, 31, v42
	v_xor_b32_e32 v41, vcc_lo, v41
	v_cmp_gt_i32_e32 vcc_lo, 0, v193
	v_and_b32_e32 v39, v39, v195
	v_not_b32_e32 v193, v194
	v_ashrrev_i32_e32 v192, 31, v192
	v_xor_b32_e32 v42, s22, v42
	v_cmp_gt_i32_e64 s22, 0, v194
	v_and_b32_e32 v39, v39, v41
	v_not_b32_e32 v41, v191
	v_ashrrev_i32_e32 v193, 31, v193
	v_xor_b32_e32 v192, vcc_lo, v192
	v_cmp_gt_i32_e32 vcc_lo, 0, v191
	v_and_b32_e32 v39, v39, v42
	v_ashrrev_i32_e32 v41, 31, v41
	v_xor_b32_e32 v42, s22, v193
	v_mad_u32_u24 v191, v40, 36, v114
	v_mul_u32_u24_e32 v40, 36, v40
	v_and_b32_e32 v39, v39, v192
	v_xor_b32_e32 v41, vcc_lo, v41
	ds_read_b32 v191, v191 offset:544
	v_add_nc_u32_e32 v193, v114, v40
	v_and_b32_e32 v39, v39, v42
	; wave barrier
	v_and_b32_e32 v39, v39, v41
	v_mbcnt_lo_u32_b32 v192, v39, 0
	v_cmp_ne_u32_e64 s22, 0, v39
	v_cmp_eq_u32_e32 vcc_lo, 0, v192
	s_and_b32 s23, s22, vcc_lo
	s_and_saveexec_b32 s22, s23
	s_cbranch_execz .LBB399_155
; %bb.154:                              ;   in Loop: Header=BB399_100 Depth=2
	s_waitcnt lgkmcnt(0)
	v_bcnt_u32_b32 v39, v39, v191
	ds_write_b32 v193, v39 offset:544
.LBB399_155:                            ;   in Loop: Header=BB399_100 Depth=2
	s_or_b32 exec_lo, exec_lo, s22
	v_xor_b32_e32 v115, 0xffffff80, v115
	; wave barrier
	v_lshrrev_b32_sdwa v39, s61, v115 dst_sel:DWORD dst_unused:UNUSED_PAD src0_sel:DWORD src1_sel:BYTE_0
	v_and_b32_e32 v40, s62, v39
	v_and_b32_e32 v39, 1, v40
	v_lshlrev_b32_e32 v41, 30, v40
	v_lshlrev_b32_e32 v42, 29, v40
	v_lshlrev_b32_e32 v195, 28, v40
	v_lshlrev_b32_e32 v196, 27, v40
	v_add_co_u32 v39, s22, v39, -1
	v_cndmask_b32_e64 v194, 0, 1, s22
	v_not_b32_e32 v198, v41
	v_cmp_gt_i32_e64 s22, 0, v41
	v_not_b32_e32 v41, v42
	v_lshlrev_b32_e32 v197, 26, v40
	v_cmp_ne_u32_e32 vcc_lo, 0, v194
	v_ashrrev_i32_e32 v198, 31, v198
	v_lshlrev_b32_e32 v194, 25, v40
	v_ashrrev_i32_e32 v41, 31, v41
	v_xor_b32_e32 v39, vcc_lo, v39
	v_cmp_gt_i32_e32 vcc_lo, 0, v42
	v_not_b32_e32 v42, v195
	v_xor_b32_e32 v198, s22, v198
	v_cmp_gt_i32_e64 s22, 0, v195
	v_and_b32_e32 v39, exec_lo, v39
	v_not_b32_e32 v195, v196
	v_ashrrev_i32_e32 v42, 31, v42
	v_xor_b32_e32 v41, vcc_lo, v41
	v_cmp_gt_i32_e32 vcc_lo, 0, v196
	v_and_b32_e32 v39, v39, v198
	v_not_b32_e32 v196, v197
	v_ashrrev_i32_e32 v195, 31, v195
	v_xor_b32_e32 v42, s22, v42
	v_cmp_gt_i32_e64 s22, 0, v197
	v_and_b32_e32 v39, v39, v41
	v_not_b32_e32 v41, v194
	v_ashrrev_i32_e32 v196, 31, v196
	v_xor_b32_e32 v195, vcc_lo, v195
	v_cmp_gt_i32_e32 vcc_lo, 0, v194
	v_and_b32_e32 v39, v39, v42
	v_ashrrev_i32_e32 v41, 31, v41
	v_xor_b32_e32 v42, s22, v196
	v_mad_u32_u24 v194, v40, 36, v114
	v_mul_u32_u24_e32 v40, 36, v40
	v_and_b32_e32 v39, v39, v195
	v_xor_b32_e32 v41, vcc_lo, v41
	ds_read_b32 v194, v194 offset:544
	v_add_nc_u32_e32 v196, v114, v40
	v_and_b32_e32 v39, v39, v42
	; wave barrier
	v_and_b32_e32 v39, v39, v41
	v_mbcnt_lo_u32_b32 v195, v39, 0
	v_cmp_ne_u32_e64 s22, 0, v39
	v_cmp_eq_u32_e32 vcc_lo, 0, v195
	s_and_b32 s23, s22, vcc_lo
	s_and_saveexec_b32 s22, s23
	s_cbranch_execz .LBB399_157
; %bb.156:                              ;   in Loop: Header=BB399_100 Depth=2
	s_waitcnt lgkmcnt(0)
	v_bcnt_u32_b32 v39, v39, v194
	ds_write_b32 v196, v39 offset:544
.LBB399_157:                            ;   in Loop: Header=BB399_100 Depth=2
	s_or_b32 exec_lo, exec_lo, s22
	; wave barrier
	s_waitcnt lgkmcnt(0)
	s_barrier
	buffer_gl0_inv
	ds_read2_b32 v[41:42], v69 offset0:136 offset1:137
	ds_read2_b32 v[39:40], v69 offset0:138 offset1:139
	ds_read_b32 v197, v69 offset:560
	s_waitcnt lgkmcnt(1)
	v_add3_u32 v198, v42, v41, v39
	s_waitcnt lgkmcnt(0)
	v_add3_u32 v197, v198, v40, v197
	v_mov_b32_dpp v198, v197 row_shr:1 row_mask:0xf bank_mask:0xf
	v_cndmask_b32_e64 v198, v198, 0, s5
	v_add_nc_u32_e32 v197, v198, v197
	v_mov_b32_dpp v198, v197 row_shr:2 row_mask:0xf bank_mask:0xf
	v_cndmask_b32_e64 v198, 0, v198, s14
	v_add_nc_u32_e32 v197, v197, v198
	;; [unrolled: 3-line block ×4, first 2 shown]
	ds_swizzle_b32 v198, v197 offset:swizzle(BROADCAST,32,15)
	s_waitcnt lgkmcnt(0)
	v_cndmask_b32_e64 v198, v198, 0, s17
	v_add_nc_u32_e32 v197, v197, v198
	s_and_saveexec_b32 s22, s4
; %bb.158:                              ;   in Loop: Header=BB399_100 Depth=2
	ds_write_b32 v62, v197 offset:512
; %bb.159:                              ;   in Loop: Header=BB399_100 Depth=2
	s_or_b32 exec_lo, exec_lo, s22
	s_waitcnt lgkmcnt(0)
	s_barrier
	buffer_gl0_inv
	s_and_saveexec_b32 s22, s11
	s_cbranch_execz .LBB399_161
; %bb.160:                              ;   in Loop: Header=BB399_100 Depth=2
	ds_read_b32 v198, v70 offset:512
	s_waitcnt lgkmcnt(0)
	v_mov_b32_dpp v199, v198 row_shr:1 row_mask:0xf bank_mask:0xf
	v_cndmask_b32_e64 v199, v199, 0, s19
	v_add_nc_u32_e32 v198, v199, v198
	v_mov_b32_dpp v199, v198 row_shr:2 row_mask:0xf bank_mask:0xf
	v_cndmask_b32_e64 v199, 0, v199, s20
	v_add_nc_u32_e32 v198, v198, v199
	;; [unrolled: 3-line block ×3, first 2 shown]
	ds_write_b32 v70, v198 offset:512
.LBB399_161:                            ;   in Loop: Header=BB399_100 Depth=2
	s_or_b32 exec_lo, exec_lo, s22
	v_mov_b32_e32 v198, 0
	s_waitcnt lgkmcnt(0)
	s_barrier
	buffer_gl0_inv
	s_and_saveexec_b32 s22, s10
; %bb.162:                              ;   in Loop: Header=BB399_100 Depth=2
	ds_read_b32 v198, v62 offset:508
; %bb.163:                              ;   in Loop: Header=BB399_100 Depth=2
	s_or_b32 exec_lo, exec_lo, s22
	s_waitcnt lgkmcnt(0)
	v_add_nc_u32_e32 v197, v198, v197
	ds_bpermute_b32 v197, v94, v197
	s_waitcnt lgkmcnt(0)
	v_cndmask_b32_e64 v197, v197, v198, s18
	v_cndmask_b32_e64 v197, v197, 0, s12
	v_add_nc_u32_e32 v41, v197, v41
	v_add_nc_u32_e32 v42, v41, v42
	;; [unrolled: 1-line block ×4, first 2 shown]
	ds_write2_b32 v69, v197, v41 offset0:136 offset1:137
	ds_write2_b32 v69, v42, v39 offset0:138 offset1:139
	ds_write_b32 v69, v40 offset:560
	s_waitcnt lgkmcnt(0)
	s_barrier
	buffer_gl0_inv
	ds_read_b32 v39, v147 offset:544
	ds_read_b32 v40, v151 offset:544
	;; [unrolled: 1-line block ×17, first 2 shown]
	s_and_saveexec_b32 s22, s7
	s_cbranch_execz .LBB399_167
; %bb.164:                              ;   in Loop: Header=BB399_100 Depth=2
	v_add_nc_u32_e32 v133, v70, v72
	v_mov_b32_e32 v134, 0x1100
	ds_read_b32 v133, v133 offset:544
	s_and_saveexec_b32 s23, s13
; %bb.165:                              ;   in Loop: Header=BB399_100 Depth=2
	ds_read_b32 v134, v71 offset:544
; %bb.166:                              ;   in Loop: Header=BB399_100 Depth=2
	s_or_b32 exec_lo, exec_lo, s23
	s_waitcnt lgkmcnt(0)
	v_sub_nc_u32_e32 v134, v134, v133
.LBB399_167:                            ;   in Loop: Header=BB399_100 Depth=2
	s_or_b32 exec_lo, exec_lo, s22
	v_lshrrev_b32_e32 v201, 8, v146
	v_lshrrev_b32_e32 v202, 16, v146
	;; [unrolled: 1-line block ×8, first 2 shown]
	s_waitcnt lgkmcnt(0)
	s_barrier
	buffer_gl0_inv
	s_and_saveexec_b32 s22, s7
	s_cbranch_execz .LBB399_169
; %bb.168:                              ;   in Loop: Header=BB399_100 Depth=2
	ds_read_b32 v3, v43
	s_waitcnt lgkmcnt(0)
	v_sub_nc_u32_e32 v3, v3, v133
	ds_write_b32 v43, v3
.LBB399_169:                            ;   in Loop: Header=BB399_100 Depth=2
	s_or_b32 exec_lo, exec_lo, s22
	v_add_nc_u32_e32 v155, v39, v144
	v_add3_u32 v151, v150, v149, v40
	v_add3_u32 v150, v153, v152, v41
	;; [unrolled: 1-line block ×16, first 2 shown]
	v_cmp_lt_u32_e64 s39, v0, v136
	ds_write_b8 v155, v145 offset:512
	ds_write_b8 v151, v201 offset:512
	;; [unrolled: 1-line block ×17, first 2 shown]
	s_waitcnt lgkmcnt(0)
	s_barrier
	buffer_gl0_inv
	s_and_saveexec_b32 s22, s39
	s_cbranch_execnz .LBB399_242
; %bb.170:                              ;   in Loop: Header=BB399_100 Depth=2
	s_or_b32 exec_lo, exec_lo, s22
	v_cmp_lt_u32_e64 s38, v44, v136
	s_and_saveexec_b32 s22, s38
	s_cbranch_execnz .LBB399_243
.LBB399_171:                            ;   in Loop: Header=BB399_100 Depth=2
	s_or_b32 exec_lo, exec_lo, s22
	v_cmp_lt_u32_e64 s37, v47, v136
	s_and_saveexec_b32 s22, s37
	s_cbranch_execnz .LBB399_244
.LBB399_172:                            ;   in Loop: Header=BB399_100 Depth=2
	s_or_b32 exec_lo, exec_lo, s22
	v_cmp_lt_u32_e64 s36, v48, v136
	s_and_saveexec_b32 s22, s36
	s_cbranch_execnz .LBB399_245
.LBB399_173:                            ;   in Loop: Header=BB399_100 Depth=2
	s_or_b32 exec_lo, exec_lo, s22
	v_cmp_lt_u32_e64 s35, v49, v136
	s_and_saveexec_b32 s22, s35
	s_cbranch_execnz .LBB399_246
.LBB399_174:                            ;   in Loop: Header=BB399_100 Depth=2
	s_or_b32 exec_lo, exec_lo, s22
	v_cmp_lt_u32_e64 s34, v50, v136
	s_and_saveexec_b32 s22, s34
	s_cbranch_execnz .LBB399_247
.LBB399_175:                            ;   in Loop: Header=BB399_100 Depth=2
	s_or_b32 exec_lo, exec_lo, s22
	v_cmp_lt_u32_e64 s33, v51, v136
	s_and_saveexec_b32 s22, s33
	s_cbranch_execnz .LBB399_248
.LBB399_176:                            ;   in Loop: Header=BB399_100 Depth=2
	s_or_b32 exec_lo, exec_lo, s22
	v_cmp_lt_u32_e64 s31, v52, v136
	s_and_saveexec_b32 s22, s31
	s_cbranch_execnz .LBB399_249
.LBB399_177:                            ;   in Loop: Header=BB399_100 Depth=2
	s_or_b32 exec_lo, exec_lo, s22
	v_cmp_lt_u32_e64 s30, v53, v136
	s_and_saveexec_b32 s22, s30
	s_cbranch_execnz .LBB399_250
.LBB399_178:                            ;   in Loop: Header=BB399_100 Depth=2
	s_or_b32 exec_lo, exec_lo, s22
	v_cmp_lt_u32_e64 s29, v54, v136
	s_and_saveexec_b32 s22, s29
	s_cbranch_execnz .LBB399_251
.LBB399_179:                            ;   in Loop: Header=BB399_100 Depth=2
	s_or_b32 exec_lo, exec_lo, s22
	v_cmp_lt_u32_e64 s27, v55, v136
	s_and_saveexec_b32 s22, s27
	s_cbranch_execnz .LBB399_252
.LBB399_180:                            ;   in Loop: Header=BB399_100 Depth=2
	s_or_b32 exec_lo, exec_lo, s22
	v_cmp_lt_u32_e64 s26, v56, v136
	s_and_saveexec_b32 s22, s26
	s_cbranch_execnz .LBB399_253
.LBB399_181:                            ;   in Loop: Header=BB399_100 Depth=2
	s_or_b32 exec_lo, exec_lo, s22
	v_cmp_lt_u32_e64 s25, v57, v136
	s_and_saveexec_b32 s22, s25
	s_cbranch_execnz .LBB399_254
.LBB399_182:                            ;   in Loop: Header=BB399_100 Depth=2
	s_or_b32 exec_lo, exec_lo, s22
	v_cmp_lt_u32_e64 s24, v58, v136
	s_and_saveexec_b32 s22, s24
	s_cbranch_execnz .LBB399_255
.LBB399_183:                            ;   in Loop: Header=BB399_100 Depth=2
	s_or_b32 exec_lo, exec_lo, s22
	v_cmp_lt_u32_e64 s23, v59, v136
	s_and_saveexec_b32 s22, s23
	s_cbranch_execnz .LBB399_256
.LBB399_184:                            ;   in Loop: Header=BB399_100 Depth=2
	s_or_b32 exec_lo, exec_lo, s22
	v_cmp_lt_u32_e64 s22, v60, v136
	s_and_saveexec_b32 s40, s22
	s_cbranch_execnz .LBB399_257
.LBB399_185:                            ;   in Loop: Header=BB399_100 Depth=2
	s_or_b32 exec_lo, exec_lo, s40
	v_cmp_lt_u32_e32 vcc_lo, v61, v136
	s_and_saveexec_b32 s40, vcc_lo
	s_cbranch_execz .LBB399_187
.LBB399_186:                            ;   in Loop: Header=BB399_100 Depth=2
	ds_read_u8 v39, v0 offset:4608
	s_waitcnt lgkmcnt(0)
	v_lshrrev_b32_sdwa v40, s61, v39 dst_sel:DWORD dst_unused:UNUSED_PAD src0_sel:DWORD src1_sel:BYTE_0
	v_xor_b32_e32 v39, 0x80, v39
	v_and_b32_e32 v40, s62, v40
	v_lshlrev_b32_e32 v40, 2, v40
	ds_read_b32 v40, v40
	s_waitcnt lgkmcnt(0)
	v_add_nc_u32_e32 v40, v40, v61
	global_store_byte v40, v39, s[46:47]
.LBB399_187:                            ;   in Loop: Header=BB399_100 Depth=2
	s_or_b32 exec_lo, exec_lo, s40
	s_lshl_b64 s[66:67], s[50:51], 3
	v_add_co_u32 v39, s40, v96, s66
	v_add_co_ci_u32_e64 v40, null, s67, v97, s40
	v_cmp_lt_u32_e64 s40, v95, v136
	s_and_saveexec_b32 s50, s40
	s_xor_b32 s40, exec_lo, s50
	s_cbranch_execnz .LBB399_258
; %bb.188:                              ;   in Loop: Header=BB399_100 Depth=2
	s_or_b32 exec_lo, exec_lo, s40
	s_mov_b32 s50, exec_lo
	v_cmpx_lt_u32_e64 v98, v136
	s_cbranch_execnz .LBB399_259
.LBB399_189:                            ;   in Loop: Header=BB399_100 Depth=2
	s_or_b32 exec_lo, exec_lo, s50
	s_mov_b32 s50, exec_lo
	v_cmpx_lt_u32_e64 v99, v136
	s_cbranch_execnz .LBB399_260
.LBB399_190:                            ;   in Loop: Header=BB399_100 Depth=2
	s_or_b32 exec_lo, exec_lo, s50
	s_mov_b32 s50, exec_lo
	v_cmpx_lt_u32_e64 v100, v136
	s_cbranch_execnz .LBB399_261
.LBB399_191:                            ;   in Loop: Header=BB399_100 Depth=2
	s_or_b32 exec_lo, exec_lo, s50
	s_mov_b32 s50, exec_lo
	v_cmpx_lt_u32_e64 v101, v136
	s_cbranch_execnz .LBB399_262
.LBB399_192:                            ;   in Loop: Header=BB399_100 Depth=2
	s_or_b32 exec_lo, exec_lo, s50
	s_mov_b32 s50, exec_lo
	v_cmpx_lt_u32_e64 v102, v136
	s_cbranch_execnz .LBB399_263
.LBB399_193:                            ;   in Loop: Header=BB399_100 Depth=2
	s_or_b32 exec_lo, exec_lo, s50
	s_mov_b32 s50, exec_lo
	v_cmpx_lt_u32_e64 v103, v136
	s_cbranch_execnz .LBB399_264
.LBB399_194:                            ;   in Loop: Header=BB399_100 Depth=2
	s_or_b32 exec_lo, exec_lo, s50
	s_mov_b32 s50, exec_lo
	v_cmpx_lt_u32_e64 v104, v136
	s_cbranch_execnz .LBB399_265
.LBB399_195:                            ;   in Loop: Header=BB399_100 Depth=2
	s_or_b32 exec_lo, exec_lo, s50
	s_mov_b32 s50, exec_lo
	v_cmpx_lt_u32_e64 v105, v136
	s_cbranch_execnz .LBB399_266
.LBB399_196:                            ;   in Loop: Header=BB399_100 Depth=2
	s_or_b32 exec_lo, exec_lo, s50
	s_mov_b32 s50, exec_lo
	v_cmpx_lt_u32_e64 v106, v136
	s_cbranch_execnz .LBB399_267
.LBB399_197:                            ;   in Loop: Header=BB399_100 Depth=2
	s_or_b32 exec_lo, exec_lo, s50
	s_mov_b32 s50, exec_lo
	v_cmpx_lt_u32_e64 v107, v136
	s_cbranch_execnz .LBB399_268
.LBB399_198:                            ;   in Loop: Header=BB399_100 Depth=2
	s_or_b32 exec_lo, exec_lo, s50
	s_mov_b32 s50, exec_lo
	v_cmpx_lt_u32_e64 v108, v136
	s_cbranch_execnz .LBB399_269
.LBB399_199:                            ;   in Loop: Header=BB399_100 Depth=2
	s_or_b32 exec_lo, exec_lo, s50
	s_mov_b32 s50, exec_lo
	v_cmpx_lt_u32_e64 v109, v136
	s_cbranch_execnz .LBB399_270
.LBB399_200:                            ;   in Loop: Header=BB399_100 Depth=2
	s_or_b32 exec_lo, exec_lo, s50
	s_mov_b32 s50, exec_lo
	v_cmpx_lt_u32_e64 v110, v136
	s_cbranch_execnz .LBB399_271
.LBB399_201:                            ;   in Loop: Header=BB399_100 Depth=2
	s_or_b32 exec_lo, exec_lo, s50
	s_mov_b32 s50, exec_lo
	v_cmpx_lt_u32_e64 v111, v136
	s_cbranch_execnz .LBB399_272
.LBB399_202:                            ;   in Loop: Header=BB399_100 Depth=2
	s_or_b32 exec_lo, exec_lo, s50
	s_mov_b32 s50, exec_lo
	v_cmpx_lt_u32_e64 v112, v136
	s_cbranch_execnz .LBB399_273
.LBB399_203:                            ;   in Loop: Header=BB399_100 Depth=2
	s_or_b32 exec_lo, exec_lo, s50
	s_mov_b32 s50, exec_lo
	v_cmpx_lt_u32_e64 v113, v136
	s_cbranch_execnz .LBB399_274
.LBB399_204:                            ;   in Loop: Header=BB399_100 Depth=2
	s_or_b32 exec_lo, exec_lo, s50
	s_and_saveexec_b32 s40, s39
	s_cbranch_execnz .LBB399_275
.LBB399_205:                            ;   in Loop: Header=BB399_100 Depth=2
	s_or_b32 exec_lo, exec_lo, s40
	s_and_saveexec_b32 s40, s38
	s_cbranch_execnz .LBB399_276
.LBB399_206:                            ;   in Loop: Header=BB399_100 Depth=2
	s_or_b32 exec_lo, exec_lo, s40
	s_and_saveexec_b32 s40, s37
	s_cbranch_execnz .LBB399_277
.LBB399_207:                            ;   in Loop: Header=BB399_100 Depth=2
	s_or_b32 exec_lo, exec_lo, s40
	s_and_saveexec_b32 s40, s36
	s_cbranch_execnz .LBB399_278
.LBB399_208:                            ;   in Loop: Header=BB399_100 Depth=2
	s_or_b32 exec_lo, exec_lo, s40
	s_and_saveexec_b32 s40, s35
	s_cbranch_execnz .LBB399_279
.LBB399_209:                            ;   in Loop: Header=BB399_100 Depth=2
	s_or_b32 exec_lo, exec_lo, s40
	s_and_saveexec_b32 s40, s34
	s_cbranch_execnz .LBB399_280
.LBB399_210:                            ;   in Loop: Header=BB399_100 Depth=2
	s_or_b32 exec_lo, exec_lo, s40
	s_and_saveexec_b32 s40, s33
	s_cbranch_execnz .LBB399_281
.LBB399_211:                            ;   in Loop: Header=BB399_100 Depth=2
	s_or_b32 exec_lo, exec_lo, s40
	s_and_saveexec_b32 s40, s31
	s_cbranch_execnz .LBB399_282
.LBB399_212:                            ;   in Loop: Header=BB399_100 Depth=2
	s_or_b32 exec_lo, exec_lo, s40
	s_and_saveexec_b32 s40, s30
	s_cbranch_execnz .LBB399_283
.LBB399_213:                            ;   in Loop: Header=BB399_100 Depth=2
	s_or_b32 exec_lo, exec_lo, s40
	s_and_saveexec_b32 s40, s29
	s_cbranch_execnz .LBB399_284
.LBB399_214:                            ;   in Loop: Header=BB399_100 Depth=2
	s_or_b32 exec_lo, exec_lo, s40
	s_and_saveexec_b32 s40, s27
	s_cbranch_execnz .LBB399_285
.LBB399_215:                            ;   in Loop: Header=BB399_100 Depth=2
	s_or_b32 exec_lo, exec_lo, s40
	s_and_saveexec_b32 s40, s26
	s_cbranch_execnz .LBB399_286
.LBB399_216:                            ;   in Loop: Header=BB399_100 Depth=2
	s_or_b32 exec_lo, exec_lo, s40
	s_and_saveexec_b32 s40, s25
	s_cbranch_execnz .LBB399_287
.LBB399_217:                            ;   in Loop: Header=BB399_100 Depth=2
	s_or_b32 exec_lo, exec_lo, s40
	s_and_saveexec_b32 s40, s24
	s_cbranch_execnz .LBB399_288
.LBB399_218:                            ;   in Loop: Header=BB399_100 Depth=2
	s_or_b32 exec_lo, exec_lo, s40
	s_and_saveexec_b32 s40, s23
	s_cbranch_execnz .LBB399_289
.LBB399_219:                            ;   in Loop: Header=BB399_100 Depth=2
	s_or_b32 exec_lo, exec_lo, s40
	s_and_saveexec_b32 s40, s22
	s_cbranch_execnz .LBB399_290
.LBB399_220:                            ;   in Loop: Header=BB399_100 Depth=2
	s_or_b32 exec_lo, exec_lo, s40
	s_and_saveexec_b32 s40, vcc_lo
	s_cbranch_execz .LBB399_222
.LBB399_221:                            ;   in Loop: Header=BB399_100 Depth=2
	ds_read_u8 v39, v0 offset:4608
	s_waitcnt lgkmcnt(0)
	v_lshrrev_b32_e32 v39, s61, v39
	v_and_b32_e32 v116, s62, v39
.LBB399_222:                            ;   in Loop: Header=BB399_100 Depth=2
	s_or_b32 exec_lo, exec_lo, s40
	v_lshlrev_b32_e32 v39, 3, v155
	v_lshlrev_b32_e32 v40, 3, v151
	s_waitcnt vmcnt(0)
	s_waitcnt_vscnt null, 0x0
	s_barrier
	buffer_gl0_inv
	ds_write_b64 v39, v[37:38] offset:512
	ds_write_b64 v40, v[35:36] offset:512
	v_lshlrev_b32_e32 v39, 3, v150
	v_lshlrev_b32_e32 v40, 3, v149
	v_lshlrev_b32_e32 v136, 3, v148
	v_lshlrev_b32_e32 v137, 3, v147
	v_lshlrev_b32_e32 v141, 3, v146
	ds_write_b64 v39, v[33:34] offset:512
	ds_write_b64 v40, v[31:32] offset:512
	ds_write_b64 v136, v[29:30] offset:512
	ds_write_b64 v137, v[25:26] offset:512
	ds_write_b64 v141, v[21:22] offset:512
	v_lshlrev_b32_e32 v39, 3, v144
	v_lshlrev_b32_e32 v40, 3, v143
	v_lshlrev_b32_e32 v136, 3, v142
	v_lshlrev_b32_e32 v137, 3, v140
	v_lshlrev_b32_e32 v139, 3, v139
	ds_write_b64 v39, v[17:18] offset:512
	ds_write_b64 v40, v[27:28] offset:512
	ds_write_b64 v136, v[23:24] offset:512
	;; [unrolled: 10-line block ×3, first 2 shown]
	ds_write_b64 v41, v[7:8] offset:512
	ds_write_b64 v3, v[5:6] offset:512
	s_waitcnt lgkmcnt(0)
	s_barrier
	buffer_gl0_inv
	s_and_saveexec_b32 s40, s39
	s_cbranch_execnz .LBB399_291
; %bb.223:                              ;   in Loop: Header=BB399_100 Depth=2
	s_or_b32 exec_lo, exec_lo, s40
	s_and_saveexec_b32 s39, s38
	s_cbranch_execnz .LBB399_292
.LBB399_224:                            ;   in Loop: Header=BB399_100 Depth=2
	s_or_b32 exec_lo, exec_lo, s39
	s_and_saveexec_b32 s38, s37
	s_cbranch_execnz .LBB399_293
.LBB399_225:                            ;   in Loop: Header=BB399_100 Depth=2
	s_or_b32 exec_lo, exec_lo, s38
	s_and_saveexec_b32 s37, s36
	s_cbranch_execnz .LBB399_294
.LBB399_226:                            ;   in Loop: Header=BB399_100 Depth=2
	s_or_b32 exec_lo, exec_lo, s37
	s_and_saveexec_b32 s36, s35
	s_cbranch_execnz .LBB399_295
.LBB399_227:                            ;   in Loop: Header=BB399_100 Depth=2
	s_or_b32 exec_lo, exec_lo, s36
	s_and_saveexec_b32 s35, s34
	s_cbranch_execnz .LBB399_296
.LBB399_228:                            ;   in Loop: Header=BB399_100 Depth=2
	s_or_b32 exec_lo, exec_lo, s35
	s_and_saveexec_b32 s34, s33
	s_cbranch_execnz .LBB399_297
.LBB399_229:                            ;   in Loop: Header=BB399_100 Depth=2
	s_or_b32 exec_lo, exec_lo, s34
	s_and_saveexec_b32 s33, s31
	s_cbranch_execnz .LBB399_298
.LBB399_230:                            ;   in Loop: Header=BB399_100 Depth=2
	s_or_b32 exec_lo, exec_lo, s33
	s_and_saveexec_b32 s31, s30
	s_cbranch_execnz .LBB399_299
.LBB399_231:                            ;   in Loop: Header=BB399_100 Depth=2
	s_or_b32 exec_lo, exec_lo, s31
	s_and_saveexec_b32 s30, s29
	s_cbranch_execnz .LBB399_300
.LBB399_232:                            ;   in Loop: Header=BB399_100 Depth=2
	s_or_b32 exec_lo, exec_lo, s30
	s_and_saveexec_b32 s29, s27
	s_cbranch_execnz .LBB399_301
.LBB399_233:                            ;   in Loop: Header=BB399_100 Depth=2
	s_or_b32 exec_lo, exec_lo, s29
	s_and_saveexec_b32 s27, s26
	s_cbranch_execnz .LBB399_302
.LBB399_234:                            ;   in Loop: Header=BB399_100 Depth=2
	s_or_b32 exec_lo, exec_lo, s27
	s_and_saveexec_b32 s26, s25
	s_cbranch_execnz .LBB399_303
.LBB399_235:                            ;   in Loop: Header=BB399_100 Depth=2
	s_or_b32 exec_lo, exec_lo, s26
	s_and_saveexec_b32 s25, s24
	s_cbranch_execnz .LBB399_304
.LBB399_236:                            ;   in Loop: Header=BB399_100 Depth=2
	s_or_b32 exec_lo, exec_lo, s25
	s_and_saveexec_b32 s24, s23
	s_cbranch_execnz .LBB399_305
.LBB399_237:                            ;   in Loop: Header=BB399_100 Depth=2
	s_or_b32 exec_lo, exec_lo, s24
	s_and_saveexec_b32 s23, s22
	s_cbranch_execnz .LBB399_306
.LBB399_238:                            ;   in Loop: Header=BB399_100 Depth=2
	s_or_b32 exec_lo, exec_lo, s23
	s_and_saveexec_b32 s22, vcc_lo
	s_cbranch_execz .LBB399_240
.LBB399_239:                            ;   in Loop: Header=BB399_100 Depth=2
	v_lshlrev_b32_e32 v3, 2, v116
	v_add_nc_u32_e32 v39, v0, v75
	ds_read_b32 v3, v3
	ds_read_b64 v[39:40], v39 offset:33280
	s_waitcnt lgkmcnt(1)
	v_add_nc_u32_e32 v3, v3, v61
	v_lshlrev_b64 v[41:42], 3, v[3:4]
	v_add_co_u32 v41, vcc_lo, s52, v41
	v_add_co_ci_u32_e64 v42, null, s53, v42, vcc_lo
	s_waitcnt lgkmcnt(0)
	global_store_dwordx2 v[41:42], v[39:40], off
.LBB399_240:                            ;   in Loop: Header=BB399_100 Depth=2
	s_or_b32 exec_lo, exec_lo, s22
	s_waitcnt_vscnt null, 0x0
	s_barrier
	buffer_gl0_inv
	s_and_saveexec_b32 s22, s7
	s_cbranch_execz .LBB399_99
; %bb.241:                              ;   in Loop: Header=BB399_100 Depth=2
	ds_read_b32 v3, v43
	s_waitcnt lgkmcnt(0)
	v_add3_u32 v3, v133, v134, v3
	ds_write_b32 v43, v3
	s_branch .LBB399_99
.LBB399_242:                            ;   in Loop: Header=BB399_100 Depth=2
	ds_read_u8 v39, v0 offset:512
	s_waitcnt lgkmcnt(0)
	v_lshrrev_b32_sdwa v40, s61, v39 dst_sel:DWORD dst_unused:UNUSED_PAD src0_sel:DWORD src1_sel:BYTE_0
	v_xor_b32_e32 v39, 0x80, v39
	v_and_b32_e32 v40, s62, v40
	v_lshlrev_b32_e32 v40, 2, v40
	ds_read_b32 v40, v40
	s_waitcnt lgkmcnt(0)
	v_add_nc_u32_e32 v40, v40, v0
	global_store_byte v40, v39, s[46:47]
	s_or_b32 exec_lo, exec_lo, s22
	v_cmp_lt_u32_e64 s38, v44, v136
	s_and_saveexec_b32 s22, s38
	s_cbranch_execz .LBB399_171
.LBB399_243:                            ;   in Loop: Header=BB399_100 Depth=2
	ds_read_u8 v39, v0 offset:768
	s_waitcnt lgkmcnt(0)
	v_lshrrev_b32_sdwa v40, s61, v39 dst_sel:DWORD dst_unused:UNUSED_PAD src0_sel:DWORD src1_sel:BYTE_0
	v_xor_b32_e32 v39, 0x80, v39
	v_and_b32_e32 v40, s62, v40
	v_lshlrev_b32_e32 v40, 2, v40
	ds_read_b32 v40, v40
	s_waitcnt lgkmcnt(0)
	v_add_nc_u32_e32 v40, v40, v44
	global_store_byte v40, v39, s[46:47]
	s_or_b32 exec_lo, exec_lo, s22
	v_cmp_lt_u32_e64 s37, v47, v136
	s_and_saveexec_b32 s22, s37
	s_cbranch_execz .LBB399_172
.LBB399_244:                            ;   in Loop: Header=BB399_100 Depth=2
	ds_read_u8 v39, v0 offset:1024
	s_waitcnt lgkmcnt(0)
	v_lshrrev_b32_sdwa v40, s61, v39 dst_sel:DWORD dst_unused:UNUSED_PAD src0_sel:DWORD src1_sel:BYTE_0
	v_xor_b32_e32 v39, 0x80, v39
	v_and_b32_e32 v40, s62, v40
	v_lshlrev_b32_e32 v40, 2, v40
	ds_read_b32 v40, v40
	s_waitcnt lgkmcnt(0)
	v_add_nc_u32_e32 v40, v40, v47
	global_store_byte v40, v39, s[46:47]
	s_or_b32 exec_lo, exec_lo, s22
	v_cmp_lt_u32_e64 s36, v48, v136
	s_and_saveexec_b32 s22, s36
	s_cbranch_execz .LBB399_173
.LBB399_245:                            ;   in Loop: Header=BB399_100 Depth=2
	ds_read_u8 v39, v0 offset:1280
	s_waitcnt lgkmcnt(0)
	v_lshrrev_b32_sdwa v40, s61, v39 dst_sel:DWORD dst_unused:UNUSED_PAD src0_sel:DWORD src1_sel:BYTE_0
	v_xor_b32_e32 v39, 0x80, v39
	v_and_b32_e32 v40, s62, v40
	v_lshlrev_b32_e32 v40, 2, v40
	ds_read_b32 v40, v40
	s_waitcnt lgkmcnt(0)
	v_add_nc_u32_e32 v40, v40, v48
	global_store_byte v40, v39, s[46:47]
	s_or_b32 exec_lo, exec_lo, s22
	v_cmp_lt_u32_e64 s35, v49, v136
	s_and_saveexec_b32 s22, s35
	s_cbranch_execz .LBB399_174
.LBB399_246:                            ;   in Loop: Header=BB399_100 Depth=2
	ds_read_u8 v39, v0 offset:1536
	s_waitcnt lgkmcnt(0)
	v_lshrrev_b32_sdwa v40, s61, v39 dst_sel:DWORD dst_unused:UNUSED_PAD src0_sel:DWORD src1_sel:BYTE_0
	v_xor_b32_e32 v39, 0x80, v39
	v_and_b32_e32 v40, s62, v40
	v_lshlrev_b32_e32 v40, 2, v40
	ds_read_b32 v40, v40
	s_waitcnt lgkmcnt(0)
	v_add_nc_u32_e32 v40, v40, v49
	global_store_byte v40, v39, s[46:47]
	s_or_b32 exec_lo, exec_lo, s22
	v_cmp_lt_u32_e64 s34, v50, v136
	s_and_saveexec_b32 s22, s34
	s_cbranch_execz .LBB399_175
.LBB399_247:                            ;   in Loop: Header=BB399_100 Depth=2
	ds_read_u8 v39, v0 offset:1792
	s_waitcnt lgkmcnt(0)
	v_lshrrev_b32_sdwa v40, s61, v39 dst_sel:DWORD dst_unused:UNUSED_PAD src0_sel:DWORD src1_sel:BYTE_0
	v_xor_b32_e32 v39, 0x80, v39
	v_and_b32_e32 v40, s62, v40
	v_lshlrev_b32_e32 v40, 2, v40
	ds_read_b32 v40, v40
	s_waitcnt lgkmcnt(0)
	v_add_nc_u32_e32 v40, v40, v50
	global_store_byte v40, v39, s[46:47]
	s_or_b32 exec_lo, exec_lo, s22
	v_cmp_lt_u32_e64 s33, v51, v136
	s_and_saveexec_b32 s22, s33
	s_cbranch_execz .LBB399_176
.LBB399_248:                            ;   in Loop: Header=BB399_100 Depth=2
	ds_read_u8 v39, v0 offset:2048
	s_waitcnt lgkmcnt(0)
	v_lshrrev_b32_sdwa v40, s61, v39 dst_sel:DWORD dst_unused:UNUSED_PAD src0_sel:DWORD src1_sel:BYTE_0
	v_xor_b32_e32 v39, 0x80, v39
	v_and_b32_e32 v40, s62, v40
	v_lshlrev_b32_e32 v40, 2, v40
	ds_read_b32 v40, v40
	s_waitcnt lgkmcnt(0)
	v_add_nc_u32_e32 v40, v40, v51
	global_store_byte v40, v39, s[46:47]
	s_or_b32 exec_lo, exec_lo, s22
	v_cmp_lt_u32_e64 s31, v52, v136
	s_and_saveexec_b32 s22, s31
	s_cbranch_execz .LBB399_177
.LBB399_249:                            ;   in Loop: Header=BB399_100 Depth=2
	ds_read_u8 v39, v0 offset:2304
	s_waitcnt lgkmcnt(0)
	v_lshrrev_b32_sdwa v40, s61, v39 dst_sel:DWORD dst_unused:UNUSED_PAD src0_sel:DWORD src1_sel:BYTE_0
	v_xor_b32_e32 v39, 0x80, v39
	v_and_b32_e32 v40, s62, v40
	v_lshlrev_b32_e32 v40, 2, v40
	ds_read_b32 v40, v40
	s_waitcnt lgkmcnt(0)
	v_add_nc_u32_e32 v40, v40, v52
	global_store_byte v40, v39, s[46:47]
	s_or_b32 exec_lo, exec_lo, s22
	v_cmp_lt_u32_e64 s30, v53, v136
	s_and_saveexec_b32 s22, s30
	s_cbranch_execz .LBB399_178
.LBB399_250:                            ;   in Loop: Header=BB399_100 Depth=2
	ds_read_u8 v39, v0 offset:2560
	s_waitcnt lgkmcnt(0)
	v_lshrrev_b32_sdwa v40, s61, v39 dst_sel:DWORD dst_unused:UNUSED_PAD src0_sel:DWORD src1_sel:BYTE_0
	v_xor_b32_e32 v39, 0x80, v39
	v_and_b32_e32 v40, s62, v40
	v_lshlrev_b32_e32 v40, 2, v40
	ds_read_b32 v40, v40
	s_waitcnt lgkmcnt(0)
	v_add_nc_u32_e32 v40, v40, v53
	global_store_byte v40, v39, s[46:47]
	s_or_b32 exec_lo, exec_lo, s22
	v_cmp_lt_u32_e64 s29, v54, v136
	s_and_saveexec_b32 s22, s29
	s_cbranch_execz .LBB399_179
.LBB399_251:                            ;   in Loop: Header=BB399_100 Depth=2
	ds_read_u8 v39, v0 offset:2816
	s_waitcnt lgkmcnt(0)
	v_lshrrev_b32_sdwa v40, s61, v39 dst_sel:DWORD dst_unused:UNUSED_PAD src0_sel:DWORD src1_sel:BYTE_0
	v_xor_b32_e32 v39, 0x80, v39
	v_and_b32_e32 v40, s62, v40
	v_lshlrev_b32_e32 v40, 2, v40
	ds_read_b32 v40, v40
	s_waitcnt lgkmcnt(0)
	v_add_nc_u32_e32 v40, v40, v54
	global_store_byte v40, v39, s[46:47]
	s_or_b32 exec_lo, exec_lo, s22
	v_cmp_lt_u32_e64 s27, v55, v136
	s_and_saveexec_b32 s22, s27
	s_cbranch_execz .LBB399_180
.LBB399_252:                            ;   in Loop: Header=BB399_100 Depth=2
	ds_read_u8 v39, v0 offset:3072
	s_waitcnt lgkmcnt(0)
	v_lshrrev_b32_sdwa v40, s61, v39 dst_sel:DWORD dst_unused:UNUSED_PAD src0_sel:DWORD src1_sel:BYTE_0
	v_xor_b32_e32 v39, 0x80, v39
	v_and_b32_e32 v40, s62, v40
	v_lshlrev_b32_e32 v40, 2, v40
	ds_read_b32 v40, v40
	s_waitcnt lgkmcnt(0)
	v_add_nc_u32_e32 v40, v40, v55
	global_store_byte v40, v39, s[46:47]
	s_or_b32 exec_lo, exec_lo, s22
	v_cmp_lt_u32_e64 s26, v56, v136
	s_and_saveexec_b32 s22, s26
	s_cbranch_execz .LBB399_181
.LBB399_253:                            ;   in Loop: Header=BB399_100 Depth=2
	ds_read_u8 v39, v0 offset:3328
	s_waitcnt lgkmcnt(0)
	v_lshrrev_b32_sdwa v40, s61, v39 dst_sel:DWORD dst_unused:UNUSED_PAD src0_sel:DWORD src1_sel:BYTE_0
	v_xor_b32_e32 v39, 0x80, v39
	v_and_b32_e32 v40, s62, v40
	v_lshlrev_b32_e32 v40, 2, v40
	ds_read_b32 v40, v40
	s_waitcnt lgkmcnt(0)
	v_add_nc_u32_e32 v40, v40, v56
	global_store_byte v40, v39, s[46:47]
	s_or_b32 exec_lo, exec_lo, s22
	v_cmp_lt_u32_e64 s25, v57, v136
	s_and_saveexec_b32 s22, s25
	s_cbranch_execz .LBB399_182
.LBB399_254:                            ;   in Loop: Header=BB399_100 Depth=2
	ds_read_u8 v39, v0 offset:3584
	s_waitcnt lgkmcnt(0)
	v_lshrrev_b32_sdwa v40, s61, v39 dst_sel:DWORD dst_unused:UNUSED_PAD src0_sel:DWORD src1_sel:BYTE_0
	v_xor_b32_e32 v39, 0x80, v39
	v_and_b32_e32 v40, s62, v40
	v_lshlrev_b32_e32 v40, 2, v40
	ds_read_b32 v40, v40
	s_waitcnt lgkmcnt(0)
	v_add_nc_u32_e32 v40, v40, v57
	global_store_byte v40, v39, s[46:47]
	s_or_b32 exec_lo, exec_lo, s22
	v_cmp_lt_u32_e64 s24, v58, v136
	s_and_saveexec_b32 s22, s24
	s_cbranch_execz .LBB399_183
.LBB399_255:                            ;   in Loop: Header=BB399_100 Depth=2
	ds_read_u8 v39, v0 offset:3840
	s_waitcnt lgkmcnt(0)
	v_lshrrev_b32_sdwa v40, s61, v39 dst_sel:DWORD dst_unused:UNUSED_PAD src0_sel:DWORD src1_sel:BYTE_0
	v_xor_b32_e32 v39, 0x80, v39
	v_and_b32_e32 v40, s62, v40
	v_lshlrev_b32_e32 v40, 2, v40
	ds_read_b32 v40, v40
	s_waitcnt lgkmcnt(0)
	v_add_nc_u32_e32 v40, v40, v58
	global_store_byte v40, v39, s[46:47]
	s_or_b32 exec_lo, exec_lo, s22
	v_cmp_lt_u32_e64 s23, v59, v136
	s_and_saveexec_b32 s22, s23
	s_cbranch_execz .LBB399_184
.LBB399_256:                            ;   in Loop: Header=BB399_100 Depth=2
	ds_read_u8 v39, v0 offset:4096
	s_waitcnt lgkmcnt(0)
	v_lshrrev_b32_sdwa v40, s61, v39 dst_sel:DWORD dst_unused:UNUSED_PAD src0_sel:DWORD src1_sel:BYTE_0
	v_xor_b32_e32 v39, 0x80, v39
	v_and_b32_e32 v40, s62, v40
	v_lshlrev_b32_e32 v40, 2, v40
	ds_read_b32 v40, v40
	s_waitcnt lgkmcnt(0)
	v_add_nc_u32_e32 v40, v40, v59
	global_store_byte v40, v39, s[46:47]
	s_or_b32 exec_lo, exec_lo, s22
	v_cmp_lt_u32_e64 s22, v60, v136
	s_and_saveexec_b32 s40, s22
	s_cbranch_execz .LBB399_185
.LBB399_257:                            ;   in Loop: Header=BB399_100 Depth=2
	ds_read_u8 v39, v0 offset:4352
	s_waitcnt lgkmcnt(0)
	v_lshrrev_b32_sdwa v40, s61, v39 dst_sel:DWORD dst_unused:UNUSED_PAD src0_sel:DWORD src1_sel:BYTE_0
	v_xor_b32_e32 v39, 0x80, v39
	v_and_b32_e32 v40, s62, v40
	v_lshlrev_b32_e32 v40, 2, v40
	ds_read_b32 v40, v40
	s_waitcnt lgkmcnt(0)
	v_add_nc_u32_e32 v40, v40, v60
	global_store_byte v40, v39, s[46:47]
	s_or_b32 exec_lo, exec_lo, s40
	v_cmp_lt_u32_e32 vcc_lo, v61, v136
	s_and_saveexec_b32 s40, vcc_lo
	s_cbranch_execnz .LBB399_186
	s_branch .LBB399_187
.LBB399_258:                            ;   in Loop: Header=BB399_100 Depth=2
	global_load_dwordx2 v[37:38], v[39:40], off
	s_or_b32 exec_lo, exec_lo, s40
	s_mov_b32 s50, exec_lo
	v_cmpx_lt_u32_e64 v98, v136
	s_cbranch_execz .LBB399_189
.LBB399_259:                            ;   in Loop: Header=BB399_100 Depth=2
	global_load_dwordx2 v[35:36], v[39:40], off offset:256
	s_or_b32 exec_lo, exec_lo, s50
	s_mov_b32 s50, exec_lo
	v_cmpx_lt_u32_e64 v99, v136
	s_cbranch_execz .LBB399_190
.LBB399_260:                            ;   in Loop: Header=BB399_100 Depth=2
	global_load_dwordx2 v[33:34], v[39:40], off offset:512
	s_or_b32 exec_lo, exec_lo, s50
	s_mov_b32 s50, exec_lo
	v_cmpx_lt_u32_e64 v100, v136
	s_cbranch_execz .LBB399_191
.LBB399_261:                            ;   in Loop: Header=BB399_100 Depth=2
	global_load_dwordx2 v[31:32], v[39:40], off offset:768
	s_or_b32 exec_lo, exec_lo, s50
	s_mov_b32 s50, exec_lo
	v_cmpx_lt_u32_e64 v101, v136
	s_cbranch_execz .LBB399_192
.LBB399_262:                            ;   in Loop: Header=BB399_100 Depth=2
	global_load_dwordx2 v[29:30], v[39:40], off offset:1024
	s_or_b32 exec_lo, exec_lo, s50
	s_mov_b32 s50, exec_lo
	v_cmpx_lt_u32_e64 v102, v136
	s_cbranch_execz .LBB399_193
.LBB399_263:                            ;   in Loop: Header=BB399_100 Depth=2
	global_load_dwordx2 v[25:26], v[39:40], off offset:1280
	s_or_b32 exec_lo, exec_lo, s50
	s_mov_b32 s50, exec_lo
	v_cmpx_lt_u32_e64 v103, v136
	s_cbranch_execz .LBB399_194
.LBB399_264:                            ;   in Loop: Header=BB399_100 Depth=2
	global_load_dwordx2 v[21:22], v[39:40], off offset:1536
	s_or_b32 exec_lo, exec_lo, s50
	s_mov_b32 s50, exec_lo
	v_cmpx_lt_u32_e64 v104, v136
	s_cbranch_execz .LBB399_195
.LBB399_265:                            ;   in Loop: Header=BB399_100 Depth=2
	global_load_dwordx2 v[17:18], v[39:40], off offset:1792
	s_or_b32 exec_lo, exec_lo, s50
	s_mov_b32 s50, exec_lo
	v_cmpx_lt_u32_e64 v105, v136
	s_cbranch_execz .LBB399_196
.LBB399_266:                            ;   in Loop: Header=BB399_100 Depth=2
	v_add_co_u32 v27, s40, 0x800, v39
	v_add_co_ci_u32_e64 v28, null, 0, v40, s40
	global_load_dwordx2 v[27:28], v[27:28], off
	s_or_b32 exec_lo, exec_lo, s50
	s_mov_b32 s50, exec_lo
	v_cmpx_lt_u32_e64 v106, v136
	s_cbranch_execz .LBB399_197
.LBB399_267:                            ;   in Loop: Header=BB399_100 Depth=2
	v_add_co_u32 v23, s40, 0x800, v39
	v_add_co_ci_u32_e64 v24, null, 0, v40, s40
	global_load_dwordx2 v[23:24], v[23:24], off offset:256
	s_or_b32 exec_lo, exec_lo, s50
	s_mov_b32 s50, exec_lo
	v_cmpx_lt_u32_e64 v107, v136
	s_cbranch_execz .LBB399_198
.LBB399_268:                            ;   in Loop: Header=BB399_100 Depth=2
	v_add_co_u32 v19, s40, 0x800, v39
	v_add_co_ci_u32_e64 v20, null, 0, v40, s40
	global_load_dwordx2 v[19:20], v[19:20], off offset:512
	s_or_b32 exec_lo, exec_lo, s50
	s_mov_b32 s50, exec_lo
	v_cmpx_lt_u32_e64 v108, v136
	s_cbranch_execz .LBB399_199
.LBB399_269:                            ;   in Loop: Header=BB399_100 Depth=2
	v_add_co_u32 v15, s40, 0x800, v39
	v_add_co_ci_u32_e64 v16, null, 0, v40, s40
	global_load_dwordx2 v[15:16], v[15:16], off offset:768
	s_or_b32 exec_lo, exec_lo, s50
	s_mov_b32 s50, exec_lo
	v_cmpx_lt_u32_e64 v109, v136
	s_cbranch_execz .LBB399_200
.LBB399_270:                            ;   in Loop: Header=BB399_100 Depth=2
	v_add_co_u32 v13, s40, 0x800, v39
	v_add_co_ci_u32_e64 v14, null, 0, v40, s40
	global_load_dwordx2 v[13:14], v[13:14], off offset:1024
	s_or_b32 exec_lo, exec_lo, s50
	s_mov_b32 s50, exec_lo
	v_cmpx_lt_u32_e64 v110, v136
	s_cbranch_execz .LBB399_201
.LBB399_271:                            ;   in Loop: Header=BB399_100 Depth=2
	v_add_co_u32 v11, s40, 0x800, v39
	v_add_co_ci_u32_e64 v12, null, 0, v40, s40
	global_load_dwordx2 v[11:12], v[11:12], off offset:1280
	s_or_b32 exec_lo, exec_lo, s50
	s_mov_b32 s50, exec_lo
	v_cmpx_lt_u32_e64 v111, v136
	s_cbranch_execz .LBB399_202
.LBB399_272:                            ;   in Loop: Header=BB399_100 Depth=2
	v_add_co_u32 v9, s40, 0x800, v39
	v_add_co_ci_u32_e64 v10, null, 0, v40, s40
	global_load_dwordx2 v[9:10], v[9:10], off offset:1536
	s_or_b32 exec_lo, exec_lo, s50
	s_mov_b32 s50, exec_lo
	v_cmpx_lt_u32_e64 v112, v136
	s_cbranch_execz .LBB399_203
.LBB399_273:                            ;   in Loop: Header=BB399_100 Depth=2
	v_add_co_u32 v7, s40, 0x800, v39
	v_add_co_ci_u32_e64 v8, null, 0, v40, s40
	global_load_dwordx2 v[7:8], v[7:8], off offset:1792
	s_or_b32 exec_lo, exec_lo, s50
	s_mov_b32 s50, exec_lo
	v_cmpx_lt_u32_e64 v113, v136
	s_cbranch_execz .LBB399_204
.LBB399_274:                            ;   in Loop: Header=BB399_100 Depth=2
	v_add_co_u32 v5, s40, 0x1000, v39
	v_add_co_ci_u32_e64 v6, null, 0, v40, s40
	global_load_dwordx2 v[5:6], v[5:6], off
	s_or_b32 exec_lo, exec_lo, s50
	s_and_saveexec_b32 s40, s39
	s_cbranch_execz .LBB399_205
.LBB399_275:                            ;   in Loop: Header=BB399_100 Depth=2
	ds_read_u8 v39, v0 offset:512
	s_waitcnt lgkmcnt(0)
	v_lshrrev_b32_e32 v39, s61, v39
	v_and_b32_e32 v132, s62, v39
	s_or_b32 exec_lo, exec_lo, s40
	s_and_saveexec_b32 s40, s38
	s_cbranch_execz .LBB399_206
.LBB399_276:                            ;   in Loop: Header=BB399_100 Depth=2
	ds_read_u8 v39, v0 offset:768
	s_waitcnt lgkmcnt(0)
	v_lshrrev_b32_e32 v39, s61, v39
	v_and_b32_e32 v131, s62, v39
	s_or_b32 exec_lo, exec_lo, s40
	s_and_saveexec_b32 s40, s37
	s_cbranch_execz .LBB399_207
.LBB399_277:                            ;   in Loop: Header=BB399_100 Depth=2
	ds_read_u8 v39, v0 offset:1024
	s_waitcnt lgkmcnt(0)
	v_lshrrev_b32_e32 v39, s61, v39
	v_and_b32_e32 v130, s62, v39
	s_or_b32 exec_lo, exec_lo, s40
	s_and_saveexec_b32 s40, s36
	s_cbranch_execz .LBB399_208
.LBB399_278:                            ;   in Loop: Header=BB399_100 Depth=2
	ds_read_u8 v39, v0 offset:1280
	s_waitcnt lgkmcnt(0)
	v_lshrrev_b32_e32 v39, s61, v39
	v_and_b32_e32 v129, s62, v39
	s_or_b32 exec_lo, exec_lo, s40
	s_and_saveexec_b32 s40, s35
	s_cbranch_execz .LBB399_209
.LBB399_279:                            ;   in Loop: Header=BB399_100 Depth=2
	ds_read_u8 v39, v0 offset:1536
	s_waitcnt lgkmcnt(0)
	v_lshrrev_b32_e32 v39, s61, v39
	v_and_b32_e32 v128, s62, v39
	s_or_b32 exec_lo, exec_lo, s40
	s_and_saveexec_b32 s40, s34
	s_cbranch_execz .LBB399_210
.LBB399_280:                            ;   in Loop: Header=BB399_100 Depth=2
	ds_read_u8 v39, v0 offset:1792
	s_waitcnt lgkmcnt(0)
	v_lshrrev_b32_e32 v39, s61, v39
	v_and_b32_e32 v127, s62, v39
	s_or_b32 exec_lo, exec_lo, s40
	s_and_saveexec_b32 s40, s33
	s_cbranch_execz .LBB399_211
.LBB399_281:                            ;   in Loop: Header=BB399_100 Depth=2
	ds_read_u8 v39, v0 offset:2048
	s_waitcnt lgkmcnt(0)
	v_lshrrev_b32_e32 v39, s61, v39
	v_and_b32_e32 v126, s62, v39
	s_or_b32 exec_lo, exec_lo, s40
	s_and_saveexec_b32 s40, s31
	s_cbranch_execz .LBB399_212
.LBB399_282:                            ;   in Loop: Header=BB399_100 Depth=2
	ds_read_u8 v39, v0 offset:2304
	s_waitcnt lgkmcnt(0)
	v_lshrrev_b32_e32 v39, s61, v39
	v_and_b32_e32 v125, s62, v39
	s_or_b32 exec_lo, exec_lo, s40
	s_and_saveexec_b32 s40, s30
	s_cbranch_execz .LBB399_213
.LBB399_283:                            ;   in Loop: Header=BB399_100 Depth=2
	ds_read_u8 v39, v0 offset:2560
	s_waitcnt lgkmcnt(0)
	v_lshrrev_b32_e32 v39, s61, v39
	v_and_b32_e32 v124, s62, v39
	s_or_b32 exec_lo, exec_lo, s40
	s_and_saveexec_b32 s40, s29
	s_cbranch_execz .LBB399_214
.LBB399_284:                            ;   in Loop: Header=BB399_100 Depth=2
	ds_read_u8 v39, v0 offset:2816
	s_waitcnt lgkmcnt(0)
	v_lshrrev_b32_e32 v39, s61, v39
	v_and_b32_e32 v123, s62, v39
	s_or_b32 exec_lo, exec_lo, s40
	s_and_saveexec_b32 s40, s27
	s_cbranch_execz .LBB399_215
.LBB399_285:                            ;   in Loop: Header=BB399_100 Depth=2
	ds_read_u8 v39, v0 offset:3072
	s_waitcnt lgkmcnt(0)
	v_lshrrev_b32_e32 v39, s61, v39
	v_and_b32_e32 v122, s62, v39
	s_or_b32 exec_lo, exec_lo, s40
	s_and_saveexec_b32 s40, s26
	s_cbranch_execz .LBB399_216
.LBB399_286:                            ;   in Loop: Header=BB399_100 Depth=2
	ds_read_u8 v39, v0 offset:3328
	s_waitcnt lgkmcnt(0)
	v_lshrrev_b32_e32 v39, s61, v39
	v_and_b32_e32 v121, s62, v39
	s_or_b32 exec_lo, exec_lo, s40
	s_and_saveexec_b32 s40, s25
	s_cbranch_execz .LBB399_217
.LBB399_287:                            ;   in Loop: Header=BB399_100 Depth=2
	ds_read_u8 v39, v0 offset:3584
	s_waitcnt lgkmcnt(0)
	v_lshrrev_b32_e32 v39, s61, v39
	v_and_b32_e32 v120, s62, v39
	s_or_b32 exec_lo, exec_lo, s40
	s_and_saveexec_b32 s40, s24
	s_cbranch_execz .LBB399_218
.LBB399_288:                            ;   in Loop: Header=BB399_100 Depth=2
	ds_read_u8 v39, v0 offset:3840
	s_waitcnt lgkmcnt(0)
	v_lshrrev_b32_e32 v39, s61, v39
	v_and_b32_e32 v119, s62, v39
	s_or_b32 exec_lo, exec_lo, s40
	s_and_saveexec_b32 s40, s23
	s_cbranch_execz .LBB399_219
.LBB399_289:                            ;   in Loop: Header=BB399_100 Depth=2
	ds_read_u8 v39, v0 offset:4096
	s_waitcnt lgkmcnt(0)
	v_lshrrev_b32_e32 v39, s61, v39
	v_and_b32_e32 v118, s62, v39
	s_or_b32 exec_lo, exec_lo, s40
	s_and_saveexec_b32 s40, s22
	s_cbranch_execz .LBB399_220
.LBB399_290:                            ;   in Loop: Header=BB399_100 Depth=2
	ds_read_u8 v39, v0 offset:4352
	s_waitcnt lgkmcnt(0)
	v_lshrrev_b32_e32 v39, s61, v39
	v_and_b32_e32 v117, s62, v39
	s_or_b32 exec_lo, exec_lo, s40
	s_and_saveexec_b32 s40, vcc_lo
	s_cbranch_execnz .LBB399_221
	s_branch .LBB399_222
.LBB399_291:                            ;   in Loop: Header=BB399_100 Depth=2
	v_lshlrev_b32_e32 v3, 2, v132
	v_add_nc_u32_e32 v39, v0, v75
	ds_read_b32 v3, v3
	ds_read_b64 v[39:40], v39 offset:512
	s_waitcnt lgkmcnt(1)
	v_add_nc_u32_e32 v3, v3, v0
	v_lshlrev_b64 v[41:42], 3, v[3:4]
	v_add_co_u32 v41, s39, s52, v41
	v_add_co_ci_u32_e64 v42, null, s53, v42, s39
	s_waitcnt lgkmcnt(0)
	global_store_dwordx2 v[41:42], v[39:40], off
	s_or_b32 exec_lo, exec_lo, s40
	s_and_saveexec_b32 s39, s38
	s_cbranch_execz .LBB399_224
.LBB399_292:                            ;   in Loop: Header=BB399_100 Depth=2
	v_lshlrev_b32_e32 v3, 2, v131
	v_add_nc_u32_e32 v39, v0, v75
	ds_read_b32 v3, v3
	ds_read_b64 v[39:40], v39 offset:2560
	s_waitcnt lgkmcnt(1)
	v_add_nc_u32_e32 v3, v3, v44
	v_lshlrev_b64 v[41:42], 3, v[3:4]
	v_add_co_u32 v41, s38, s52, v41
	v_add_co_ci_u32_e64 v42, null, s53, v42, s38
	s_waitcnt lgkmcnt(0)
	global_store_dwordx2 v[41:42], v[39:40], off
	s_or_b32 exec_lo, exec_lo, s39
	s_and_saveexec_b32 s38, s37
	s_cbranch_execz .LBB399_225
.LBB399_293:                            ;   in Loop: Header=BB399_100 Depth=2
	v_lshlrev_b32_e32 v3, 2, v130
	v_add_nc_u32_e32 v39, v0, v75
	ds_read_b32 v3, v3
	ds_read_b64 v[39:40], v39 offset:4608
	s_waitcnt lgkmcnt(1)
	v_add_nc_u32_e32 v3, v3, v47
	v_lshlrev_b64 v[41:42], 3, v[3:4]
	v_add_co_u32 v41, s37, s52, v41
	v_add_co_ci_u32_e64 v42, null, s53, v42, s37
	s_waitcnt lgkmcnt(0)
	global_store_dwordx2 v[41:42], v[39:40], off
	s_or_b32 exec_lo, exec_lo, s38
	s_and_saveexec_b32 s37, s36
	s_cbranch_execz .LBB399_226
.LBB399_294:                            ;   in Loop: Header=BB399_100 Depth=2
	v_lshlrev_b32_e32 v3, 2, v129
	v_add_nc_u32_e32 v39, v0, v75
	ds_read_b32 v3, v3
	ds_read_b64 v[39:40], v39 offset:6656
	s_waitcnt lgkmcnt(1)
	v_add_nc_u32_e32 v3, v3, v48
	v_lshlrev_b64 v[41:42], 3, v[3:4]
	v_add_co_u32 v41, s36, s52, v41
	v_add_co_ci_u32_e64 v42, null, s53, v42, s36
	s_waitcnt lgkmcnt(0)
	global_store_dwordx2 v[41:42], v[39:40], off
	s_or_b32 exec_lo, exec_lo, s37
	s_and_saveexec_b32 s36, s35
	s_cbranch_execz .LBB399_227
.LBB399_295:                            ;   in Loop: Header=BB399_100 Depth=2
	v_lshlrev_b32_e32 v3, 2, v128
	v_add_nc_u32_e32 v39, v0, v75
	ds_read_b32 v3, v3
	ds_read_b64 v[39:40], v39 offset:8704
	s_waitcnt lgkmcnt(1)
	v_add_nc_u32_e32 v3, v3, v49
	v_lshlrev_b64 v[41:42], 3, v[3:4]
	v_add_co_u32 v41, s35, s52, v41
	v_add_co_ci_u32_e64 v42, null, s53, v42, s35
	s_waitcnt lgkmcnt(0)
	global_store_dwordx2 v[41:42], v[39:40], off
	s_or_b32 exec_lo, exec_lo, s36
	s_and_saveexec_b32 s35, s34
	s_cbranch_execz .LBB399_228
.LBB399_296:                            ;   in Loop: Header=BB399_100 Depth=2
	v_lshlrev_b32_e32 v3, 2, v127
	v_add_nc_u32_e32 v39, v0, v75
	ds_read_b32 v3, v3
	ds_read_b64 v[39:40], v39 offset:10752
	s_waitcnt lgkmcnt(1)
	v_add_nc_u32_e32 v3, v3, v50
	v_lshlrev_b64 v[41:42], 3, v[3:4]
	v_add_co_u32 v41, s34, s52, v41
	v_add_co_ci_u32_e64 v42, null, s53, v42, s34
	s_waitcnt lgkmcnt(0)
	global_store_dwordx2 v[41:42], v[39:40], off
	s_or_b32 exec_lo, exec_lo, s35
	s_and_saveexec_b32 s34, s33
	s_cbranch_execz .LBB399_229
.LBB399_297:                            ;   in Loop: Header=BB399_100 Depth=2
	v_lshlrev_b32_e32 v3, 2, v126
	v_add_nc_u32_e32 v39, v0, v75
	ds_read_b32 v3, v3
	ds_read_b64 v[39:40], v39 offset:12800
	s_waitcnt lgkmcnt(1)
	v_add_nc_u32_e32 v3, v3, v51
	v_lshlrev_b64 v[41:42], 3, v[3:4]
	v_add_co_u32 v41, s33, s52, v41
	v_add_co_ci_u32_e64 v42, null, s53, v42, s33
	s_waitcnt lgkmcnt(0)
	global_store_dwordx2 v[41:42], v[39:40], off
	s_or_b32 exec_lo, exec_lo, s34
	s_and_saveexec_b32 s33, s31
	s_cbranch_execz .LBB399_230
.LBB399_298:                            ;   in Loop: Header=BB399_100 Depth=2
	v_lshlrev_b32_e32 v3, 2, v125
	v_add_nc_u32_e32 v39, v0, v75
	ds_read_b32 v3, v3
	ds_read_b64 v[39:40], v39 offset:14848
	s_waitcnt lgkmcnt(1)
	v_add_nc_u32_e32 v3, v3, v52
	v_lshlrev_b64 v[41:42], 3, v[3:4]
	v_add_co_u32 v41, s31, s52, v41
	v_add_co_ci_u32_e64 v42, null, s53, v42, s31
	s_waitcnt lgkmcnt(0)
	global_store_dwordx2 v[41:42], v[39:40], off
	s_or_b32 exec_lo, exec_lo, s33
	s_and_saveexec_b32 s31, s30
	s_cbranch_execz .LBB399_231
.LBB399_299:                            ;   in Loop: Header=BB399_100 Depth=2
	v_lshlrev_b32_e32 v3, 2, v124
	v_add_nc_u32_e32 v39, v0, v75
	ds_read_b32 v3, v3
	ds_read_b64 v[39:40], v39 offset:16896
	s_waitcnt lgkmcnt(1)
	v_add_nc_u32_e32 v3, v3, v53
	v_lshlrev_b64 v[41:42], 3, v[3:4]
	v_add_co_u32 v41, s30, s52, v41
	v_add_co_ci_u32_e64 v42, null, s53, v42, s30
	s_waitcnt lgkmcnt(0)
	global_store_dwordx2 v[41:42], v[39:40], off
	s_or_b32 exec_lo, exec_lo, s31
	s_and_saveexec_b32 s30, s29
	s_cbranch_execz .LBB399_232
.LBB399_300:                            ;   in Loop: Header=BB399_100 Depth=2
	v_lshlrev_b32_e32 v3, 2, v123
	v_add_nc_u32_e32 v39, v0, v75
	ds_read_b32 v3, v3
	ds_read_b64 v[39:40], v39 offset:18944
	s_waitcnt lgkmcnt(1)
	v_add_nc_u32_e32 v3, v3, v54
	v_lshlrev_b64 v[41:42], 3, v[3:4]
	v_add_co_u32 v41, s29, s52, v41
	v_add_co_ci_u32_e64 v42, null, s53, v42, s29
	s_waitcnt lgkmcnt(0)
	global_store_dwordx2 v[41:42], v[39:40], off
	s_or_b32 exec_lo, exec_lo, s30
	s_and_saveexec_b32 s29, s27
	s_cbranch_execz .LBB399_233
.LBB399_301:                            ;   in Loop: Header=BB399_100 Depth=2
	v_lshlrev_b32_e32 v3, 2, v122
	v_add_nc_u32_e32 v39, v0, v75
	ds_read_b32 v3, v3
	ds_read_b64 v[39:40], v39 offset:20992
	s_waitcnt lgkmcnt(1)
	v_add_nc_u32_e32 v3, v3, v55
	v_lshlrev_b64 v[41:42], 3, v[3:4]
	v_add_co_u32 v41, s27, s52, v41
	v_add_co_ci_u32_e64 v42, null, s53, v42, s27
	s_waitcnt lgkmcnt(0)
	global_store_dwordx2 v[41:42], v[39:40], off
	s_or_b32 exec_lo, exec_lo, s29
	s_and_saveexec_b32 s27, s26
	s_cbranch_execz .LBB399_234
.LBB399_302:                            ;   in Loop: Header=BB399_100 Depth=2
	v_lshlrev_b32_e32 v3, 2, v121
	v_add_nc_u32_e32 v39, v0, v75
	ds_read_b32 v3, v3
	ds_read_b64 v[39:40], v39 offset:23040
	s_waitcnt lgkmcnt(1)
	v_add_nc_u32_e32 v3, v3, v56
	v_lshlrev_b64 v[41:42], 3, v[3:4]
	v_add_co_u32 v41, s26, s52, v41
	v_add_co_ci_u32_e64 v42, null, s53, v42, s26
	s_waitcnt lgkmcnt(0)
	global_store_dwordx2 v[41:42], v[39:40], off
	s_or_b32 exec_lo, exec_lo, s27
	s_and_saveexec_b32 s26, s25
	s_cbranch_execz .LBB399_235
.LBB399_303:                            ;   in Loop: Header=BB399_100 Depth=2
	v_lshlrev_b32_e32 v3, 2, v120
	v_add_nc_u32_e32 v39, v0, v75
	ds_read_b32 v3, v3
	ds_read_b64 v[39:40], v39 offset:25088
	s_waitcnt lgkmcnt(1)
	v_add_nc_u32_e32 v3, v3, v57
	v_lshlrev_b64 v[41:42], 3, v[3:4]
	v_add_co_u32 v41, s25, s52, v41
	v_add_co_ci_u32_e64 v42, null, s53, v42, s25
	s_waitcnt lgkmcnt(0)
	global_store_dwordx2 v[41:42], v[39:40], off
	s_or_b32 exec_lo, exec_lo, s26
	s_and_saveexec_b32 s25, s24
	s_cbranch_execz .LBB399_236
.LBB399_304:                            ;   in Loop: Header=BB399_100 Depth=2
	v_lshlrev_b32_e32 v3, 2, v119
	v_add_nc_u32_e32 v39, v0, v75
	ds_read_b32 v3, v3
	ds_read_b64 v[39:40], v39 offset:27136
	s_waitcnt lgkmcnt(1)
	v_add_nc_u32_e32 v3, v3, v58
	v_lshlrev_b64 v[41:42], 3, v[3:4]
	v_add_co_u32 v41, s24, s52, v41
	v_add_co_ci_u32_e64 v42, null, s53, v42, s24
	s_waitcnt lgkmcnt(0)
	global_store_dwordx2 v[41:42], v[39:40], off
	s_or_b32 exec_lo, exec_lo, s25
	s_and_saveexec_b32 s24, s23
	s_cbranch_execz .LBB399_237
.LBB399_305:                            ;   in Loop: Header=BB399_100 Depth=2
	v_lshlrev_b32_e32 v3, 2, v118
	v_add_nc_u32_e32 v39, v0, v75
	ds_read_b32 v3, v3
	ds_read_b64 v[39:40], v39 offset:29184
	s_waitcnt lgkmcnt(1)
	v_add_nc_u32_e32 v3, v3, v59
	v_lshlrev_b64 v[41:42], 3, v[3:4]
	v_add_co_u32 v41, s23, s52, v41
	v_add_co_ci_u32_e64 v42, null, s53, v42, s23
	s_waitcnt lgkmcnt(0)
	global_store_dwordx2 v[41:42], v[39:40], off
	s_or_b32 exec_lo, exec_lo, s24
	s_and_saveexec_b32 s23, s22
	s_cbranch_execz .LBB399_238
.LBB399_306:                            ;   in Loop: Header=BB399_100 Depth=2
	v_lshlrev_b32_e32 v3, 2, v117
	v_add_nc_u32_e32 v39, v0, v75
	ds_read_b32 v3, v3
	ds_read_b64 v[39:40], v39 offset:31232
	s_waitcnt lgkmcnt(1)
	v_add_nc_u32_e32 v3, v3, v60
	v_lshlrev_b64 v[41:42], 3, v[3:4]
	v_add_co_u32 v41, s22, s52, v41
	v_add_co_ci_u32_e64 v42, null, s53, v42, s22
	s_waitcnt lgkmcnt(0)
	global_store_dwordx2 v[41:42], v[39:40], off
	s_or_b32 exec_lo, exec_lo, s23
	s_and_saveexec_b32 s22, vcc_lo
	s_cbranch_execnz .LBB399_239
	s_branch .LBB399_240
.LBB399_307:                            ;   in Loop: Header=BB399_100 Depth=2
	global_load_ubyte v144, v[39:40], off
	v_mov_b32_e32 v115, 0x7f
	v_mov_b32_e32 v145, 0x7f
	;; [unrolled: 1-line block ×16, first 2 shown]
	s_or_b32 exec_lo, exec_lo, s22
	s_mov_b32 s22, exec_lo
	v_cmpx_gt_u32_e64 s63, v98
	s_cbranch_execz .LBB399_105
.LBB399_308:                            ;   in Loop: Header=BB399_100 Depth=2
	global_load_ubyte v145, v[39:40], off offset:32
	s_or_b32 exec_lo, exec_lo, s22
	s_mov_b32 s22, exec_lo
	v_cmpx_gt_u32_e64 s63, v99
	s_cbranch_execz .LBB399_106
.LBB399_309:                            ;   in Loop: Header=BB399_100 Depth=2
	global_load_ubyte v146, v[39:40], off offset:64
	s_or_b32 exec_lo, exec_lo, s22
	s_mov_b32 s22, exec_lo
	v_cmpx_gt_u32_e64 s63, v100
	s_cbranch_execz .LBB399_107
.LBB399_310:                            ;   in Loop: Header=BB399_100 Depth=2
	global_load_ubyte v149, v[39:40], off offset:96
	s_or_b32 exec_lo, exec_lo, s22
	s_mov_b32 s22, exec_lo
	v_cmpx_gt_u32_e64 s63, v101
	s_cbranch_execz .LBB399_108
.LBB399_311:                            ;   in Loop: Header=BB399_100 Depth=2
	global_load_ubyte v148, v[39:40], off offset:128
	s_or_b32 exec_lo, exec_lo, s22
	s_mov_b32 s22, exec_lo
	v_cmpx_gt_u32_e64 s63, v102
	s_cbranch_execz .LBB399_109
.LBB399_312:                            ;   in Loop: Header=BB399_100 Depth=2
	global_load_ubyte v141, v[39:40], off offset:160
	s_or_b32 exec_lo, exec_lo, s22
	s_mov_b32 s22, exec_lo
	v_cmpx_gt_u32_e64 s63, v103
	s_cbranch_execz .LBB399_110
.LBB399_313:                            ;   in Loop: Header=BB399_100 Depth=2
	global_load_ubyte v142, v[39:40], off offset:192
	s_or_b32 exec_lo, exec_lo, s22
	s_mov_b32 s22, exec_lo
	v_cmpx_gt_u32_e64 s63, v104
	s_cbranch_execz .LBB399_111
.LBB399_314:                            ;   in Loop: Header=BB399_100 Depth=2
	global_load_ubyte v143, v[39:40], off offset:224
	s_or_b32 exec_lo, exec_lo, s22
	s_mov_b32 s22, exec_lo
	v_cmpx_gt_u32_e64 s63, v105
	s_cbranch_execz .LBB399_112
.LBB399_315:                            ;   in Loop: Header=BB399_100 Depth=2
	global_load_ubyte v140, v[39:40], off offset:256
	s_or_b32 exec_lo, exec_lo, s22
	s_mov_b32 s22, exec_lo
	v_cmpx_gt_u32_e64 s63, v106
	s_cbranch_execz .LBB399_113
.LBB399_316:                            ;   in Loop: Header=BB399_100 Depth=2
	global_load_ubyte v137, v[39:40], off offset:288
	s_or_b32 exec_lo, exec_lo, s22
	s_mov_b32 s22, exec_lo
	v_cmpx_gt_u32_e64 s63, v107
	s_cbranch_execz .LBB399_114
.LBB399_317:                            ;   in Loop: Header=BB399_100 Depth=2
	global_load_ubyte v138, v[39:40], off offset:320
	s_or_b32 exec_lo, exec_lo, s22
	s_mov_b32 s22, exec_lo
	v_cmpx_gt_u32_e64 s63, v108
	s_cbranch_execz .LBB399_115
.LBB399_318:                            ;   in Loop: Header=BB399_100 Depth=2
	global_load_ubyte v139, v[39:40], off offset:352
	s_or_b32 exec_lo, exec_lo, s22
	s_mov_b32 s22, exec_lo
	v_cmpx_gt_u32_e64 s63, v109
	s_cbranch_execz .LBB399_116
.LBB399_319:                            ;   in Loop: Header=BB399_100 Depth=2
	global_load_ubyte v135, v[39:40], off offset:384
	s_or_b32 exec_lo, exec_lo, s22
	s_mov_b32 s22, exec_lo
	v_cmpx_gt_u32_e64 s63, v110
	s_cbranch_execz .LBB399_117
.LBB399_320:                            ;   in Loop: Header=BB399_100 Depth=2
	global_load_ubyte v3, v[39:40], off offset:416
	s_or_b32 exec_lo, exec_lo, s22
	s_mov_b32 s22, exec_lo
	v_cmpx_gt_u32_e64 s63, v111
	s_cbranch_execz .LBB399_118
.LBB399_321:                            ;   in Loop: Header=BB399_100 Depth=2
	global_load_ubyte v41, v[39:40], off offset:448
	s_or_b32 exec_lo, exec_lo, s22
	s_mov_b32 s22, exec_lo
	v_cmpx_gt_u32_e64 s63, v112
	s_cbranch_execnz .LBB399_119
	s_branch .LBB399_120
.LBB399_322:                            ;   in Loop: Header=BB399_12 Depth=1
	s_waitcnt lgkmcnt(0)
	s_mov_b32 s5, 0
	s_barrier
.LBB399_323:                            ;   in Loop: Header=BB399_12 Depth=1
	s_and_b32 vcc_lo, exec_lo, s5
	s_cbranch_vccz .LBB399_633
; %bb.324:                              ;   in Loop: Header=BB399_12 Depth=1
	v_mov_b32_e32 v17, 0
	v_mov_b32_e32 v20, 0
	;; [unrolled: 1-line block ×17, first 2 shown]
	s_mov_b32 s5, s60
	s_mov_b32 s16, s58
	s_barrier
	buffer_gl0_inv
	s_branch .LBB399_326
.LBB399_325:                            ;   in Loop: Header=BB399_326 Depth=2
	s_or_b32 exec_lo, exec_lo, s15
	s_addk_i32 s5, 0xef00
	s_cmp_ge_u32 s14, s59
	s_mov_b32 s16, s14
	s_cbranch_scc1 .LBB399_398
.LBB399_326:                            ;   Parent Loop BB399_12 Depth=1
                                        ; =>  This Inner Loop Header: Depth=2
	s_add_i32 s14, s16, 0x1100
	s_mov_b32 s15, -1
	s_cmp_gt_u32 s14, s59
                                        ; implicit-def: $vgpr21
                                        ; implicit-def: $vgpr22
                                        ; implicit-def: $vgpr23
                                        ; implicit-def: $vgpr24
                                        ; implicit-def: $vgpr25
                                        ; implicit-def: $vgpr26
                                        ; implicit-def: $vgpr27
                                        ; implicit-def: $vgpr28
                                        ; implicit-def: $vgpr29
                                        ; implicit-def: $vgpr30
                                        ; implicit-def: $vgpr31
                                        ; implicit-def: $vgpr32
                                        ; implicit-def: $vgpr33
                                        ; implicit-def: $vgpr34
                                        ; implicit-def: $vgpr35
                                        ; implicit-def: $vgpr36
                                        ; implicit-def: $vgpr37
	s_cbranch_scc1 .LBB399_328
; %bb.327:                              ;   in Loop: Header=BB399_326 Depth=2
	v_add_co_u32 v38, vcc_lo, v76, s16
	v_add_co_ci_u32_e64 v39, null, 0, v77, vcc_lo
	s_mov_b32 s15, 0
	v_add_co_u32 v21, vcc_lo, 0x800, v38
	v_add_co_ci_u32_e64 v22, null, 0, v39, vcc_lo
	v_add_co_u32 v23, vcc_lo, 0x1000, v38
	v_add_co_ci_u32_e64 v24, null, 0, v39, vcc_lo
	s_clause 0x10
	global_load_ubyte v36, v[21:22], off offset:1792
	global_load_ubyte v37, v[23:24], off
	global_load_ubyte v35, v[21:22], off offset:1536
	global_load_ubyte v34, v[21:22], off offset:1280
	;; [unrolled: 1-line block ×6, first 2 shown]
	global_load_ubyte v29, v[21:22], off
	global_load_ubyte v28, v[38:39], off offset:1792
	global_load_ubyte v27, v[38:39], off offset:1536
	;; [unrolled: 1-line block ×7, first 2 shown]
	global_load_ubyte v21, v[38:39], off
.LBB399_328:                            ;   in Loop: Header=BB399_326 Depth=2
	s_andn2_b32 vcc_lo, exec_lo, s15
	s_movk_i32 s15, 0x1100
	s_cbranch_vccnz .LBB399_348
; %bb.329:                              ;   in Loop: Header=BB399_326 Depth=2
	s_add_u32 s15, s46, s16
	s_addc_u32 s16, s47, 0
	s_mov_b32 s17, exec_lo
	v_cmpx_gt_u32_e64 s5, v0
	s_cbranch_execnz .LBB399_382
; %bb.330:                              ;   in Loop: Header=BB399_326 Depth=2
	s_or_b32 exec_lo, exec_lo, s17
	s_mov_b32 s17, exec_lo
	v_cmpx_gt_u32_e64 s5, v44
	s_cbranch_execnz .LBB399_383
.LBB399_331:                            ;   in Loop: Header=BB399_326 Depth=2
	s_or_b32 exec_lo, exec_lo, s17
	s_mov_b32 s17, exec_lo
	v_cmpx_gt_u32_e64 s5, v47
	s_cbranch_execnz .LBB399_384
.LBB399_332:                            ;   in Loop: Header=BB399_326 Depth=2
	s_or_b32 exec_lo, exec_lo, s17
	s_mov_b32 s17, exec_lo
	v_cmpx_gt_u32_e64 s5, v48
	s_cbranch_execnz .LBB399_385
.LBB399_333:                            ;   in Loop: Header=BB399_326 Depth=2
	s_or_b32 exec_lo, exec_lo, s17
	s_mov_b32 s17, exec_lo
	v_cmpx_gt_u32_e64 s5, v49
	s_cbranch_execnz .LBB399_386
.LBB399_334:                            ;   in Loop: Header=BB399_326 Depth=2
	s_or_b32 exec_lo, exec_lo, s17
	s_mov_b32 s17, exec_lo
	v_cmpx_gt_u32_e64 s5, v50
	s_cbranch_execnz .LBB399_387
.LBB399_335:                            ;   in Loop: Header=BB399_326 Depth=2
	s_or_b32 exec_lo, exec_lo, s17
	s_mov_b32 s17, exec_lo
	v_cmpx_gt_u32_e64 s5, v51
	s_cbranch_execnz .LBB399_388
.LBB399_336:                            ;   in Loop: Header=BB399_326 Depth=2
	s_or_b32 exec_lo, exec_lo, s17
	s_mov_b32 s17, exec_lo
	v_cmpx_gt_u32_e64 s5, v52
	s_cbranch_execnz .LBB399_389
.LBB399_337:                            ;   in Loop: Header=BB399_326 Depth=2
	s_or_b32 exec_lo, exec_lo, s17
	s_mov_b32 s17, exec_lo
	v_cmpx_gt_u32_e64 s5, v53
	s_cbranch_execnz .LBB399_390
.LBB399_338:                            ;   in Loop: Header=BB399_326 Depth=2
	s_or_b32 exec_lo, exec_lo, s17
	s_mov_b32 s17, exec_lo
	v_cmpx_gt_u32_e64 s5, v54
	s_cbranch_execnz .LBB399_391
.LBB399_339:                            ;   in Loop: Header=BB399_326 Depth=2
	s_or_b32 exec_lo, exec_lo, s17
	s_mov_b32 s17, exec_lo
	v_cmpx_gt_u32_e64 s5, v55
	s_cbranch_execnz .LBB399_392
.LBB399_340:                            ;   in Loop: Header=BB399_326 Depth=2
	s_or_b32 exec_lo, exec_lo, s17
	s_mov_b32 s17, exec_lo
	v_cmpx_gt_u32_e64 s5, v56
	s_cbranch_execnz .LBB399_393
.LBB399_341:                            ;   in Loop: Header=BB399_326 Depth=2
	s_or_b32 exec_lo, exec_lo, s17
	s_mov_b32 s17, exec_lo
	v_cmpx_gt_u32_e64 s5, v57
	s_cbranch_execnz .LBB399_394
.LBB399_342:                            ;   in Loop: Header=BB399_326 Depth=2
	s_or_b32 exec_lo, exec_lo, s17
	s_mov_b32 s17, exec_lo
	v_cmpx_gt_u32_e64 s5, v58
	s_cbranch_execnz .LBB399_395
.LBB399_343:                            ;   in Loop: Header=BB399_326 Depth=2
	s_or_b32 exec_lo, exec_lo, s17
	s_mov_b32 s17, exec_lo
	v_cmpx_gt_u32_e64 s5, v59
	s_cbranch_execnz .LBB399_396
.LBB399_344:                            ;   in Loop: Header=BB399_326 Depth=2
	s_or_b32 exec_lo, exec_lo, s17
	s_mov_b32 s17, exec_lo
	v_cmpx_gt_u32_e64 s5, v60
	s_cbranch_execnz .LBB399_397
.LBB399_345:                            ;   in Loop: Header=BB399_326 Depth=2
	s_or_b32 exec_lo, exec_lo, s17
	s_mov_b32 s17, exec_lo
	v_cmpx_gt_u32_e64 s5, v61
	s_cbranch_execz .LBB399_347
.LBB399_346:                            ;   in Loop: Header=BB399_326 Depth=2
	s_waitcnt vmcnt(0)
	v_add_co_u32 v21, s15, s15, v61
	v_add_co_ci_u32_e64 v22, null, s16, 0, s15
	global_load_ubyte v3, v[21:22], off
.LBB399_347:                            ;   in Loop: Header=BB399_326 Depth=2
	s_or_b32 exec_lo, exec_lo, s17
	s_waitcnt vmcnt(0)
	v_mov_b32_e32 v21, v17
	v_mov_b32_e32 v22, v20
	;; [unrolled: 1-line block ×17, first 2 shown]
	s_mov_b32 s15, s5
.LBB399_348:                            ;   in Loop: Header=BB399_326 Depth=2
	s_waitcnt vmcnt(15)
	v_mov_b32_e32 v3, v37
	v_mov_b32_e32 v5, v36
	s_waitcnt vmcnt(14)
	v_mov_b32_e32 v6, v35
	s_waitcnt vmcnt(13)
	;; [unrolled: 2-line block ×15, first 2 shown]
	v_mov_b32_e32 v17, v21
	s_mov_b32 s16, exec_lo
	v_cmpx_gt_u32_e64 s15, v0
	s_cbranch_execnz .LBB399_365
; %bb.349:                              ;   in Loop: Header=BB399_326 Depth=2
	s_or_b32 exec_lo, exec_lo, s16
	s_mov_b32 s16, exec_lo
	v_cmpx_gt_u32_e64 s15, v44
	s_cbranch_execnz .LBB399_366
.LBB399_350:                            ;   in Loop: Header=BB399_326 Depth=2
	s_or_b32 exec_lo, exec_lo, s16
	s_mov_b32 s16, exec_lo
	v_cmpx_gt_u32_e64 s15, v47
	s_cbranch_execnz .LBB399_367
.LBB399_351:                            ;   in Loop: Header=BB399_326 Depth=2
	s_or_b32 exec_lo, exec_lo, s16
	s_mov_b32 s16, exec_lo
	v_cmpx_gt_u32_e64 s15, v48
	s_cbranch_execnz .LBB399_368
.LBB399_352:                            ;   in Loop: Header=BB399_326 Depth=2
	s_or_b32 exec_lo, exec_lo, s16
	s_mov_b32 s16, exec_lo
	v_cmpx_gt_u32_e64 s15, v49
	s_cbranch_execnz .LBB399_369
.LBB399_353:                            ;   in Loop: Header=BB399_326 Depth=2
	s_or_b32 exec_lo, exec_lo, s16
	s_mov_b32 s16, exec_lo
	v_cmpx_gt_u32_e64 s15, v50
	s_cbranch_execnz .LBB399_370
.LBB399_354:                            ;   in Loop: Header=BB399_326 Depth=2
	s_or_b32 exec_lo, exec_lo, s16
	s_mov_b32 s16, exec_lo
	v_cmpx_gt_u32_e64 s15, v51
	s_cbranch_execnz .LBB399_371
.LBB399_355:                            ;   in Loop: Header=BB399_326 Depth=2
	s_or_b32 exec_lo, exec_lo, s16
	s_mov_b32 s16, exec_lo
	v_cmpx_gt_u32_e64 s15, v52
	s_cbranch_execnz .LBB399_372
.LBB399_356:                            ;   in Loop: Header=BB399_326 Depth=2
	s_or_b32 exec_lo, exec_lo, s16
	s_mov_b32 s16, exec_lo
	v_cmpx_gt_u32_e64 s15, v53
	s_cbranch_execnz .LBB399_373
.LBB399_357:                            ;   in Loop: Header=BB399_326 Depth=2
	s_or_b32 exec_lo, exec_lo, s16
	s_mov_b32 s16, exec_lo
	v_cmpx_gt_u32_e64 s15, v54
	s_cbranch_execnz .LBB399_374
.LBB399_358:                            ;   in Loop: Header=BB399_326 Depth=2
	s_or_b32 exec_lo, exec_lo, s16
	s_mov_b32 s16, exec_lo
	v_cmpx_gt_u32_e64 s15, v55
	s_cbranch_execnz .LBB399_375
.LBB399_359:                            ;   in Loop: Header=BB399_326 Depth=2
	s_or_b32 exec_lo, exec_lo, s16
	s_mov_b32 s16, exec_lo
	v_cmpx_gt_u32_e64 s15, v56
	s_cbranch_execnz .LBB399_376
.LBB399_360:                            ;   in Loop: Header=BB399_326 Depth=2
	s_or_b32 exec_lo, exec_lo, s16
	s_mov_b32 s16, exec_lo
	v_cmpx_gt_u32_e64 s15, v57
	s_cbranch_execnz .LBB399_377
.LBB399_361:                            ;   in Loop: Header=BB399_326 Depth=2
	s_or_b32 exec_lo, exec_lo, s16
	s_mov_b32 s16, exec_lo
	v_cmpx_gt_u32_e64 s15, v58
	s_cbranch_execnz .LBB399_378
.LBB399_362:                            ;   in Loop: Header=BB399_326 Depth=2
	s_or_b32 exec_lo, exec_lo, s16
	s_mov_b32 s16, exec_lo
	v_cmpx_gt_u32_e64 s15, v59
	s_cbranch_execnz .LBB399_379
.LBB399_363:                            ;   in Loop: Header=BB399_326 Depth=2
	s_or_b32 exec_lo, exec_lo, s16
	s_mov_b32 s16, exec_lo
	v_cmpx_gt_u32_e64 s15, v60
	s_cbranch_execnz .LBB399_380
.LBB399_364:                            ;   in Loop: Header=BB399_326 Depth=2
	s_or_b32 exec_lo, exec_lo, s16
	v_cmp_gt_u32_e32 vcc_lo, s15, v61
	s_and_saveexec_b32 s15, vcc_lo
	s_cbranch_execz .LBB399_325
	s_branch .LBB399_381
.LBB399_365:                            ;   in Loop: Header=BB399_326 Depth=2
	v_xor_b32_e32 v21, 0x80, v17
	v_lshrrev_b32_sdwa v21, s61, v21 dst_sel:DWORD dst_unused:UNUSED_PAD src0_sel:DWORD src1_sel:BYTE_0
	v_and_b32_e32 v21, s62, v21
	v_lshl_or_b32 v21, v21, 4, v63
	ds_add_u32 v21, v89
	s_or_b32 exec_lo, exec_lo, s16
	s_mov_b32 s16, exec_lo
	v_cmpx_gt_u32_e64 s15, v44
	s_cbranch_execz .LBB399_350
.LBB399_366:                            ;   in Loop: Header=BB399_326 Depth=2
	v_xor_b32_e32 v21, 0x80, v20
	v_lshrrev_b32_sdwa v21, s61, v21 dst_sel:DWORD dst_unused:UNUSED_PAD src0_sel:DWORD src1_sel:BYTE_0
	v_and_b32_e32 v21, s62, v21
	v_lshl_or_b32 v21, v21, 4, v63
	ds_add_u32 v21, v89
	s_or_b32 exec_lo, exec_lo, s16
	s_mov_b32 s16, exec_lo
	v_cmpx_gt_u32_e64 s15, v47
	s_cbranch_execz .LBB399_351
.LBB399_367:                            ;   in Loop: Header=BB399_326 Depth=2
	v_xor_b32_e32 v21, 0x80, v19
	v_lshrrev_b32_sdwa v21, s61, v21 dst_sel:DWORD dst_unused:UNUSED_PAD src0_sel:DWORD src1_sel:BYTE_0
	v_and_b32_e32 v21, s62, v21
	v_lshl_or_b32 v21, v21, 4, v63
	ds_add_u32 v21, v89
	s_or_b32 exec_lo, exec_lo, s16
	s_mov_b32 s16, exec_lo
	v_cmpx_gt_u32_e64 s15, v48
	s_cbranch_execz .LBB399_352
.LBB399_368:                            ;   in Loop: Header=BB399_326 Depth=2
	v_xor_b32_e32 v21, 0x80, v18
	v_lshrrev_b32_sdwa v21, s61, v21 dst_sel:DWORD dst_unused:UNUSED_PAD src0_sel:DWORD src1_sel:BYTE_0
	v_and_b32_e32 v21, s62, v21
	v_lshl_or_b32 v21, v21, 4, v63
	ds_add_u32 v21, v89
	s_or_b32 exec_lo, exec_lo, s16
	s_mov_b32 s16, exec_lo
	v_cmpx_gt_u32_e64 s15, v49
	s_cbranch_execz .LBB399_353
.LBB399_369:                            ;   in Loop: Header=BB399_326 Depth=2
	v_xor_b32_e32 v21, 0x80, v16
	v_lshrrev_b32_sdwa v21, s61, v21 dst_sel:DWORD dst_unused:UNUSED_PAD src0_sel:DWORD src1_sel:BYTE_0
	v_and_b32_e32 v21, s62, v21
	v_lshl_or_b32 v21, v21, 4, v63
	ds_add_u32 v21, v89
	s_or_b32 exec_lo, exec_lo, s16
	s_mov_b32 s16, exec_lo
	v_cmpx_gt_u32_e64 s15, v50
	s_cbranch_execz .LBB399_354
.LBB399_370:                            ;   in Loop: Header=BB399_326 Depth=2
	v_xor_b32_e32 v21, 0x80, v15
	v_lshrrev_b32_sdwa v21, s61, v21 dst_sel:DWORD dst_unused:UNUSED_PAD src0_sel:DWORD src1_sel:BYTE_0
	v_and_b32_e32 v21, s62, v21
	v_lshl_or_b32 v21, v21, 4, v63
	ds_add_u32 v21, v89
	s_or_b32 exec_lo, exec_lo, s16
	s_mov_b32 s16, exec_lo
	v_cmpx_gt_u32_e64 s15, v51
	s_cbranch_execz .LBB399_355
.LBB399_371:                            ;   in Loop: Header=BB399_326 Depth=2
	v_xor_b32_e32 v21, 0x80, v14
	v_lshrrev_b32_sdwa v21, s61, v21 dst_sel:DWORD dst_unused:UNUSED_PAD src0_sel:DWORD src1_sel:BYTE_0
	v_and_b32_e32 v21, s62, v21
	v_lshl_or_b32 v21, v21, 4, v63
	ds_add_u32 v21, v89
	s_or_b32 exec_lo, exec_lo, s16
	s_mov_b32 s16, exec_lo
	v_cmpx_gt_u32_e64 s15, v52
	s_cbranch_execz .LBB399_356
.LBB399_372:                            ;   in Loop: Header=BB399_326 Depth=2
	v_xor_b32_e32 v21, 0x80, v13
	v_lshrrev_b32_sdwa v21, s61, v21 dst_sel:DWORD dst_unused:UNUSED_PAD src0_sel:DWORD src1_sel:BYTE_0
	v_and_b32_e32 v21, s62, v21
	v_lshl_or_b32 v21, v21, 4, v63
	ds_add_u32 v21, v89
	s_or_b32 exec_lo, exec_lo, s16
	s_mov_b32 s16, exec_lo
	v_cmpx_gt_u32_e64 s15, v53
	s_cbranch_execz .LBB399_357
.LBB399_373:                            ;   in Loop: Header=BB399_326 Depth=2
	v_xor_b32_e32 v21, 0x80, v12
	v_lshrrev_b32_sdwa v21, s61, v21 dst_sel:DWORD dst_unused:UNUSED_PAD src0_sel:DWORD src1_sel:BYTE_0
	v_and_b32_e32 v21, s62, v21
	v_lshl_or_b32 v21, v21, 4, v63
	ds_add_u32 v21, v89
	s_or_b32 exec_lo, exec_lo, s16
	s_mov_b32 s16, exec_lo
	v_cmpx_gt_u32_e64 s15, v54
	s_cbranch_execz .LBB399_358
.LBB399_374:                            ;   in Loop: Header=BB399_326 Depth=2
	v_xor_b32_e32 v21, 0x80, v11
	v_lshrrev_b32_sdwa v21, s61, v21 dst_sel:DWORD dst_unused:UNUSED_PAD src0_sel:DWORD src1_sel:BYTE_0
	v_and_b32_e32 v21, s62, v21
	v_lshl_or_b32 v21, v21, 4, v63
	ds_add_u32 v21, v89
	s_or_b32 exec_lo, exec_lo, s16
	s_mov_b32 s16, exec_lo
	v_cmpx_gt_u32_e64 s15, v55
	s_cbranch_execz .LBB399_359
.LBB399_375:                            ;   in Loop: Header=BB399_326 Depth=2
	v_xor_b32_e32 v21, 0x80, v10
	v_lshrrev_b32_sdwa v21, s61, v21 dst_sel:DWORD dst_unused:UNUSED_PAD src0_sel:DWORD src1_sel:BYTE_0
	v_and_b32_e32 v21, s62, v21
	v_lshl_or_b32 v21, v21, 4, v63
	ds_add_u32 v21, v89
	s_or_b32 exec_lo, exec_lo, s16
	s_mov_b32 s16, exec_lo
	v_cmpx_gt_u32_e64 s15, v56
	s_cbranch_execz .LBB399_360
.LBB399_376:                            ;   in Loop: Header=BB399_326 Depth=2
	v_xor_b32_e32 v21, 0x80, v9
	v_lshrrev_b32_sdwa v21, s61, v21 dst_sel:DWORD dst_unused:UNUSED_PAD src0_sel:DWORD src1_sel:BYTE_0
	v_and_b32_e32 v21, s62, v21
	v_lshl_or_b32 v21, v21, 4, v63
	ds_add_u32 v21, v89
	s_or_b32 exec_lo, exec_lo, s16
	s_mov_b32 s16, exec_lo
	v_cmpx_gt_u32_e64 s15, v57
	s_cbranch_execz .LBB399_361
.LBB399_377:                            ;   in Loop: Header=BB399_326 Depth=2
	v_xor_b32_e32 v21, 0x80, v8
	v_lshrrev_b32_sdwa v21, s61, v21 dst_sel:DWORD dst_unused:UNUSED_PAD src0_sel:DWORD src1_sel:BYTE_0
	v_and_b32_e32 v21, s62, v21
	v_lshl_or_b32 v21, v21, 4, v63
	ds_add_u32 v21, v89
	s_or_b32 exec_lo, exec_lo, s16
	s_mov_b32 s16, exec_lo
	v_cmpx_gt_u32_e64 s15, v58
	s_cbranch_execz .LBB399_362
.LBB399_378:                            ;   in Loop: Header=BB399_326 Depth=2
	v_xor_b32_e32 v21, 0x80, v7
	v_lshrrev_b32_sdwa v21, s61, v21 dst_sel:DWORD dst_unused:UNUSED_PAD src0_sel:DWORD src1_sel:BYTE_0
	v_and_b32_e32 v21, s62, v21
	v_lshl_or_b32 v21, v21, 4, v63
	ds_add_u32 v21, v89
	s_or_b32 exec_lo, exec_lo, s16
	s_mov_b32 s16, exec_lo
	v_cmpx_gt_u32_e64 s15, v59
	s_cbranch_execz .LBB399_363
.LBB399_379:                            ;   in Loop: Header=BB399_326 Depth=2
	v_xor_b32_e32 v21, 0x80, v6
	v_lshrrev_b32_sdwa v21, s61, v21 dst_sel:DWORD dst_unused:UNUSED_PAD src0_sel:DWORD src1_sel:BYTE_0
	v_and_b32_e32 v21, s62, v21
	v_lshl_or_b32 v21, v21, 4, v63
	ds_add_u32 v21, v89
	s_or_b32 exec_lo, exec_lo, s16
	s_mov_b32 s16, exec_lo
	v_cmpx_gt_u32_e64 s15, v60
	s_cbranch_execz .LBB399_364
.LBB399_380:                            ;   in Loop: Header=BB399_326 Depth=2
	v_xor_b32_e32 v21, 0x80, v5
	v_lshrrev_b32_sdwa v21, s61, v21 dst_sel:DWORD dst_unused:UNUSED_PAD src0_sel:DWORD src1_sel:BYTE_0
	v_and_b32_e32 v21, s62, v21
	v_lshl_or_b32 v21, v21, 4, v63
	ds_add_u32 v21, v89
	s_or_b32 exec_lo, exec_lo, s16
	v_cmp_gt_u32_e32 vcc_lo, s15, v61
	s_and_saveexec_b32 s15, vcc_lo
	s_cbranch_execz .LBB399_325
.LBB399_381:                            ;   in Loop: Header=BB399_326 Depth=2
	v_xor_b32_e32 v21, 0x80, v3
	v_lshrrev_b32_sdwa v21, s61, v21 dst_sel:DWORD dst_unused:UNUSED_PAD src0_sel:DWORD src1_sel:BYTE_0
	v_and_b32_e32 v21, s62, v21
	v_lshl_or_b32 v21, v21, 4, v63
	ds_add_u32 v21, v89
	s_branch .LBB399_325
.LBB399_382:                            ;   in Loop: Header=BB399_326 Depth=2
	s_waitcnt vmcnt(0)
	v_add_co_u32 v21, s18, s15, v0
	v_add_co_ci_u32_e64 v22, null, s16, 0, s18
	global_load_ubyte v17, v[21:22], off
	s_or_b32 exec_lo, exec_lo, s17
	s_mov_b32 s17, exec_lo
	v_cmpx_gt_u32_e64 s5, v44
	s_cbranch_execz .LBB399_331
.LBB399_383:                            ;   in Loop: Header=BB399_326 Depth=2
	v_add_co_u32 v20, s18, s15, v0
	s_waitcnt vmcnt(0)
	v_add_co_ci_u32_e64 v21, null, s16, 0, s18
	global_load_ubyte v20, v[20:21], off offset:256
	s_or_b32 exec_lo, exec_lo, s17
	s_mov_b32 s17, exec_lo
	v_cmpx_gt_u32_e64 s5, v47
	s_cbranch_execz .LBB399_332
.LBB399_384:                            ;   in Loop: Header=BB399_326 Depth=2
	s_waitcnt vmcnt(0)
	v_add_co_u32 v21, s18, s15, v0
	v_add_co_ci_u32_e64 v22, null, s16, 0, s18
	global_load_ubyte v19, v[21:22], off offset:512
	s_or_b32 exec_lo, exec_lo, s17
	s_mov_b32 s17, exec_lo
	v_cmpx_gt_u32_e64 s5, v48
	s_cbranch_execz .LBB399_333
.LBB399_385:                            ;   in Loop: Header=BB399_326 Depth=2
	s_waitcnt vmcnt(0)
	v_add_co_u32 v21, s18, s15, v0
	v_add_co_ci_u32_e64 v22, null, s16, 0, s18
	global_load_ubyte v18, v[21:22], off offset:768
	s_or_b32 exec_lo, exec_lo, s17
	s_mov_b32 s17, exec_lo
	v_cmpx_gt_u32_e64 s5, v49
	s_cbranch_execz .LBB399_334
.LBB399_386:                            ;   in Loop: Header=BB399_326 Depth=2
	s_waitcnt vmcnt(0)
	v_add_co_u32 v21, s18, s15, v0
	v_add_co_ci_u32_e64 v22, null, s16, 0, s18
	global_load_ubyte v16, v[21:22], off offset:1024
	s_or_b32 exec_lo, exec_lo, s17
	s_mov_b32 s17, exec_lo
	v_cmpx_gt_u32_e64 s5, v50
	s_cbranch_execz .LBB399_335
.LBB399_387:                            ;   in Loop: Header=BB399_326 Depth=2
	s_waitcnt vmcnt(0)
	v_add_co_u32 v21, s18, s15, v0
	v_add_co_ci_u32_e64 v22, null, s16, 0, s18
	global_load_ubyte v15, v[21:22], off offset:1280
	s_or_b32 exec_lo, exec_lo, s17
	s_mov_b32 s17, exec_lo
	v_cmpx_gt_u32_e64 s5, v51
	s_cbranch_execz .LBB399_336
.LBB399_388:                            ;   in Loop: Header=BB399_326 Depth=2
	s_waitcnt vmcnt(0)
	v_add_co_u32 v21, s18, s15, v0
	v_add_co_ci_u32_e64 v22, null, s16, 0, s18
	global_load_ubyte v14, v[21:22], off offset:1536
	s_or_b32 exec_lo, exec_lo, s17
	s_mov_b32 s17, exec_lo
	v_cmpx_gt_u32_e64 s5, v52
	s_cbranch_execz .LBB399_337
.LBB399_389:                            ;   in Loop: Header=BB399_326 Depth=2
	s_waitcnt vmcnt(0)
	v_add_co_u32 v21, s18, s15, v0
	v_add_co_ci_u32_e64 v22, null, s16, 0, s18
	global_load_ubyte v13, v[21:22], off offset:1792
	s_or_b32 exec_lo, exec_lo, s17
	s_mov_b32 s17, exec_lo
	v_cmpx_gt_u32_e64 s5, v53
	s_cbranch_execz .LBB399_338
.LBB399_390:                            ;   in Loop: Header=BB399_326 Depth=2
	s_waitcnt vmcnt(0)
	v_add_co_u32 v21, s18, s15, v53
	v_add_co_ci_u32_e64 v22, null, s16, 0, s18
	global_load_ubyte v12, v[21:22], off
	s_or_b32 exec_lo, exec_lo, s17
	s_mov_b32 s17, exec_lo
	v_cmpx_gt_u32_e64 s5, v54
	s_cbranch_execz .LBB399_339
.LBB399_391:                            ;   in Loop: Header=BB399_326 Depth=2
	s_waitcnt vmcnt(0)
	v_add_co_u32 v21, s18, s15, v54
	v_add_co_ci_u32_e64 v22, null, s16, 0, s18
	global_load_ubyte v11, v[21:22], off
	s_or_b32 exec_lo, exec_lo, s17
	s_mov_b32 s17, exec_lo
	v_cmpx_gt_u32_e64 s5, v55
	s_cbranch_execz .LBB399_340
.LBB399_392:                            ;   in Loop: Header=BB399_326 Depth=2
	s_waitcnt vmcnt(0)
	v_add_co_u32 v21, s18, s15, v55
	v_add_co_ci_u32_e64 v22, null, s16, 0, s18
	global_load_ubyte v10, v[21:22], off
	s_or_b32 exec_lo, exec_lo, s17
	s_mov_b32 s17, exec_lo
	v_cmpx_gt_u32_e64 s5, v56
	s_cbranch_execz .LBB399_341
.LBB399_393:                            ;   in Loop: Header=BB399_326 Depth=2
	s_waitcnt vmcnt(0)
	v_add_co_u32 v21, s18, s15, v56
	v_add_co_ci_u32_e64 v22, null, s16, 0, s18
	global_load_ubyte v9, v[21:22], off
	s_or_b32 exec_lo, exec_lo, s17
	s_mov_b32 s17, exec_lo
	v_cmpx_gt_u32_e64 s5, v57
	s_cbranch_execz .LBB399_342
.LBB399_394:                            ;   in Loop: Header=BB399_326 Depth=2
	s_waitcnt vmcnt(0)
	v_add_co_u32 v21, s18, s15, v57
	v_add_co_ci_u32_e64 v22, null, s16, 0, s18
	global_load_ubyte v8, v[21:22], off
	s_or_b32 exec_lo, exec_lo, s17
	s_mov_b32 s17, exec_lo
	v_cmpx_gt_u32_e64 s5, v58
	s_cbranch_execz .LBB399_343
.LBB399_395:                            ;   in Loop: Header=BB399_326 Depth=2
	s_waitcnt vmcnt(0)
	v_add_co_u32 v21, s18, s15, v58
	v_add_co_ci_u32_e64 v22, null, s16, 0, s18
	global_load_ubyte v7, v[21:22], off
	s_or_b32 exec_lo, exec_lo, s17
	s_mov_b32 s17, exec_lo
	v_cmpx_gt_u32_e64 s5, v59
	s_cbranch_execz .LBB399_344
.LBB399_396:                            ;   in Loop: Header=BB399_326 Depth=2
	s_waitcnt vmcnt(0)
	v_add_co_u32 v21, s18, s15, v59
	v_add_co_ci_u32_e64 v22, null, s16, 0, s18
	global_load_ubyte v6, v[21:22], off
	s_or_b32 exec_lo, exec_lo, s17
	s_mov_b32 s17, exec_lo
	v_cmpx_gt_u32_e64 s5, v60
	s_cbranch_execz .LBB399_345
.LBB399_397:                            ;   in Loop: Header=BB399_326 Depth=2
	s_waitcnt vmcnt(0)
	v_add_co_u32 v21, s18, s15, v60
	v_add_co_ci_u32_e64 v22, null, s16, 0, s18
	global_load_ubyte v5, v[21:22], off
	s_or_b32 exec_lo, exec_lo, s17
	s_mov_b32 s17, exec_lo
	v_cmpx_gt_u32_e64 s5, v61
	s_cbranch_execnz .LBB399_346
	s_branch .LBB399_347
.LBB399_398:                            ;   in Loop: Header=BB399_12 Depth=1
	v_mov_b32_e32 v3, 0
	s_waitcnt lgkmcnt(0)
	s_barrier
	buffer_gl0_inv
	s_and_saveexec_b32 s5, s7
	s_cbranch_execz .LBB399_400
; %bb.399:                              ;   in Loop: Header=BB399_12 Depth=1
	ds_read2_b64 v[5:8], v64 offset1:1
	s_waitcnt lgkmcnt(0)
	v_add_nc_u32_e32 v3, v6, v5
	v_add3_u32 v3, v3, v7, v8
.LBB399_400:                            ;   in Loop: Header=BB399_12 Depth=1
	s_or_b32 exec_lo, exec_lo, s5
	v_and_b32_e32 v5, 15, v86
	v_mov_b32_dpp v6, v3 row_shr:1 row_mask:0xf bank_mask:0xf
	v_and_b32_e32 v7, 16, v86
	v_cmp_eq_u32_e64 s5, 0, v5
	v_cmp_lt_u32_e64 s14, 1, v5
	v_cmp_lt_u32_e64 s15, 3, v5
	;; [unrolled: 1-line block ×3, first 2 shown]
	v_cmp_eq_u32_e64 s17, 0, v7
	v_cndmask_b32_e64 v6, v6, 0, s5
	v_add_nc_u32_e32 v3, v6, v3
	v_mov_b32_dpp v6, v3 row_shr:2 row_mask:0xf bank_mask:0xf
	v_cndmask_b32_e64 v6, 0, v6, s14
	v_add_nc_u32_e32 v3, v3, v6
	v_mov_b32_dpp v6, v3 row_shr:4 row_mask:0xf bank_mask:0xf
	;; [unrolled: 3-line block ×3, first 2 shown]
	v_cndmask_b32_e64 v5, 0, v6, s16
	v_bfe_i32 v6, v86, 4, 1
	v_add_nc_u32_e32 v3, v3, v5
	ds_swizzle_b32 v5, v3 offset:swizzle(BROADCAST,32,15)
	s_waitcnt lgkmcnt(0)
	v_and_b32_e32 v5, v6, v5
	v_add_nc_u32_e32 v3, v3, v5
	s_and_saveexec_b32 s18, s8
; %bb.401:                              ;   in Loop: Header=BB399_12 Depth=1
	ds_write_b32 v65, v3
; %bb.402:                              ;   in Loop: Header=BB399_12 Depth=1
	s_or_b32 exec_lo, exec_lo, s18
	s_waitcnt lgkmcnt(0)
	s_barrier
	buffer_gl0_inv
	s_and_saveexec_b32 s18, s9
	s_cbranch_execz .LBB399_404
; %bb.403:                              ;   in Loop: Header=BB399_12 Depth=1
	ds_read_b32 v5, v66
	v_and_b32_e32 v6, 3, v86
	v_cmp_ne_u32_e32 vcc_lo, 0, v6
	s_waitcnt lgkmcnt(0)
	v_mov_b32_dpp v7, v5 row_shr:1 row_mask:0xf bank_mask:0xf
	v_cndmask_b32_e32 v7, 0, v7, vcc_lo
	v_cmp_lt_u32_e32 vcc_lo, 1, v6
	v_add_nc_u32_e32 v5, v7, v5
	v_mov_b32_dpp v7, v5 row_shr:2 row_mask:0xf bank_mask:0xf
	v_cndmask_b32_e32 v6, 0, v7, vcc_lo
	v_add_nc_u32_e32 v5, v5, v6
	ds_write_b32 v66, v5
.LBB399_404:                            ;   in Loop: Header=BB399_12 Depth=1
	s_or_b32 exec_lo, exec_lo, s18
	v_mov_b32_e32 v5, 0
	s_waitcnt lgkmcnt(0)
	s_barrier
	buffer_gl0_inv
	s_and_saveexec_b32 s18, s10
; %bb.405:                              ;   in Loop: Header=BB399_12 Depth=1
	ds_read_b32 v5, v67
; %bb.406:                              ;   in Loop: Header=BB399_12 Depth=1
	s_or_b32 exec_lo, exec_lo, s18
	v_sub_co_u32 v6, s18, v86, 1
	s_waitcnt lgkmcnt(0)
	v_add_nc_u32_e32 v3, v5, v3
	s_barrier
	v_cmp_gt_i32_e32 vcc_lo, 0, v6
	buffer_gl0_inv
	v_cndmask_b32_e32 v6, v6, v86, vcc_lo
	v_lshlrev_b32_e32 v94, 2, v6
	ds_bpermute_b32 v3, v94, v3
	s_and_saveexec_b32 s19, s7
	s_cbranch_execz .LBB399_408
; %bb.407:                              ;   in Loop: Header=BB399_12 Depth=1
	s_waitcnt lgkmcnt(0)
	v_cndmask_b32_e64 v3, v3, v5, s18
	v_add_nc_u32_e32 v3, s58, v3
	ds_write_b32 v43, v3
.LBB399_408:                            ;   in Loop: Header=BB399_12 Depth=1
	s_or_b32 exec_lo, exec_lo, s19
	s_load_dwordx2 s[20:21], s[56:57], 0x0
	v_and_b32_e32 v6, 7, v86
	v_lshlrev_b32_e32 v7, 3, v86
	v_or_b32_e32 v95, v86, v68
	v_add_co_u32 v96, vcc_lo, v80, v86
	v_add_co_ci_u32_e64 v97, null, 0, v81, vcc_lo
	v_add_co_u32 v98, vcc_lo, v78, v7
	v_add_co_ci_u32_e64 v99, null, 0, v79, vcc_lo
	v_add_nc_u32_e32 v100, 32, v95
	v_add_nc_u32_e32 v101, 64, v95
	;; [unrolled: 1-line block ×8, first 2 shown]
	s_waitcnt lgkmcnt(0)
	s_cmp_lt_u32 s28, s21
	v_add_nc_u32_e32 v108, 0x120, v95
	s_cselect_b32 s19, 14, 20
	v_add_nc_u32_e32 v109, 0x140, v95
	s_add_u32 s22, s56, s19
	s_addc_u32 s23, s57, 0
	s_cmp_lt_u32 s6, s20
	global_load_ushort v3, v4, s[22:23]
	s_cselect_b32 s19, 12, 18
	v_add_nc_u32_e32 v110, 0x160, v95
	s_add_u32 s20, s56, s19
	s_addc_u32 s21, s57, 0
	v_cmp_eq_u32_e64 s19, 0, v6
	global_load_ushort v5, v4, s[20:21]
	v_cmp_lt_u32_e64 s20, 1, v6
	v_cmp_lt_u32_e64 s21, 3, v6
	v_add_nc_u32_e32 v111, 0x180, v95
	v_add_nc_u32_e32 v112, 0x1a0, v95
	;; [unrolled: 1-line block ×5, first 2 shown]
	v_mov_b32_e32 v117, 0
	s_mov_b32 s63, s60
	s_mov_b32 s50, s58
                                        ; implicit-def: $vgpr7_vgpr8
                                        ; implicit-def: $vgpr9_vgpr10
                                        ; implicit-def: $vgpr11_vgpr12
                                        ; implicit-def: $vgpr13_vgpr14
                                        ; implicit-def: $vgpr15_vgpr16
                                        ; implicit-def: $vgpr19_vgpr20
                                        ; implicit-def: $vgpr23_vgpr24
                                        ; implicit-def: $vgpr27_vgpr28
                                        ; implicit-def: $vgpr17_vgpr18
                                        ; implicit-def: $vgpr21_vgpr22
                                        ; implicit-def: $vgpr25_vgpr26
                                        ; implicit-def: $vgpr29_vgpr30
                                        ; implicit-def: $vgpr31_vgpr32
                                        ; implicit-def: $vgpr33_vgpr34
                                        ; implicit-def: $vgpr35_vgpr36
                                        ; implicit-def: $vgpr37_vgpr38
                                        ; implicit-def: $vgpr118
                                        ; implicit-def: $vgpr119
                                        ; implicit-def: $vgpr120
                                        ; implicit-def: $vgpr121
                                        ; implicit-def: $vgpr122
                                        ; implicit-def: $vgpr123
                                        ; implicit-def: $vgpr124
                                        ; implicit-def: $vgpr125
                                        ; implicit-def: $vgpr126
                                        ; implicit-def: $vgpr127
                                        ; implicit-def: $vgpr128
                                        ; implicit-def: $vgpr129
                                        ; implicit-def: $vgpr130
                                        ; implicit-def: $vgpr131
                                        ; implicit-def: $vgpr132
                                        ; implicit-def: $vgpr133
                                        ; implicit-def: $vgpr134
                                        ; implicit-def: $vgpr135
                                        ; implicit-def: $vgpr136
	s_waitcnt vmcnt(1)
	v_mad_u32_u24 v3, v2, v3, v1
	s_waitcnt vmcnt(0)
	v_mad_u64_u32 v[5:6], null, v3, v5, v[0:1]
	v_lshrrev_b32_e32 v3, 3, v5
                                        ; implicit-def: $vgpr5_vgpr6
	v_and_b32_e32 v116, 0x1ffffffc, v3
	s_branch .LBB399_410
.LBB399_409:                            ;   in Loop: Header=BB399_410 Depth=2
	s_or_b32 exec_lo, exec_lo, s22
	s_addk_i32 s63, 0xef00
	s_cmp_lt_u32 s64, s59
	s_mov_b32 s50, s64
	s_cbranch_scc0 .LBB399_632
.LBB399_410:                            ;   Parent Loop BB399_12 Depth=1
                                        ; =>  This Inner Loop Header: Depth=2
	s_add_i32 s64, s50, 0x1100
	s_cmp_gt_u32 s64, s59
	s_cbranch_scc1 .LBB399_412
; %bb.411:                              ;   in Loop: Header=BB399_410 Depth=2
	v_add_co_u32 v39, vcc_lo, v96, s50
	v_add_co_ci_u32_e64 v40, null, 0, v97, vcc_lo
	s_mov_b32 s22, -1
	s_clause 0xf
	global_load_ubyte v42, v[39:40], off offset:480
	global_load_ubyte v41, v[39:40], off offset:448
	global_load_ubyte v3, v[39:40], off offset:416
	global_load_ubyte v137, v[39:40], off offset:384
	global_load_ubyte v141, v[39:40], off offset:352
	global_load_ubyte v140, v[39:40], off offset:320
	global_load_ubyte v139, v[39:40], off offset:288
	global_load_ubyte v142, v[39:40], off offset:256
	global_load_ubyte v145, v[39:40], off offset:224
	global_load_ubyte v144, v[39:40], off offset:192
	global_load_ubyte v143, v[39:40], off offset:160
	global_load_ubyte v150, v[39:40], off offset:128
	global_load_ubyte v151, v[39:40], off offset:96
	global_load_ubyte v148, v[39:40], off offset:64
	global_load_ubyte v147, v[39:40], off offset:32
	global_load_ubyte v146, v[39:40], off
	s_movk_i32 s23, 0x1100
	s_cbranch_execz .LBB399_413
	s_branch .LBB399_431
.LBB399_412:                            ;   in Loop: Header=BB399_410 Depth=2
	s_mov_b32 s22, 0
                                        ; implicit-def: $vgpr146
                                        ; implicit-def: $vgpr147
                                        ; implicit-def: $vgpr148
                                        ; implicit-def: $vgpr151
                                        ; implicit-def: $vgpr150
                                        ; implicit-def: $vgpr143
                                        ; implicit-def: $vgpr144
                                        ; implicit-def: $vgpr145
                                        ; implicit-def: $vgpr142
                                        ; implicit-def: $vgpr139
                                        ; implicit-def: $vgpr140
                                        ; implicit-def: $vgpr141
                                        ; implicit-def: $vgpr137
                                        ; implicit-def: $vgpr3
                                        ; implicit-def: $vgpr41
                                        ; implicit-def: $vgpr42
                                        ; implicit-def: $vgpr117
	s_movk_i32 s23, 0x1100
.LBB399_413:                            ;   in Loop: Header=BB399_410 Depth=2
	v_add_co_u32 v39, vcc_lo, v96, s50
	v_add_co_ci_u32_e64 v40, null, 0, v97, vcc_lo
	v_mov_b32_e32 v117, 0x7f
	s_waitcnt vmcnt(0)
	v_mov_b32_e32 v146, 0x7f
	v_mov_b32_e32 v147, 0x7f
	;; [unrolled: 1-line block ×16, first 2 shown]
	s_mov_b32 s22, exec_lo
	v_cmpx_gt_u32_e64 s63, v95
	s_cbranch_execnz .LBB399_617
; %bb.414:                              ;   in Loop: Header=BB399_410 Depth=2
	s_or_b32 exec_lo, exec_lo, s22
	s_mov_b32 s22, exec_lo
	v_cmpx_gt_u32_e64 s63, v100
	s_cbranch_execnz .LBB399_618
.LBB399_415:                            ;   in Loop: Header=BB399_410 Depth=2
	s_or_b32 exec_lo, exec_lo, s22
	s_mov_b32 s22, exec_lo
	v_cmpx_gt_u32_e64 s63, v101
	s_cbranch_execnz .LBB399_619
.LBB399_416:                            ;   in Loop: Header=BB399_410 Depth=2
	s_or_b32 exec_lo, exec_lo, s22
	s_mov_b32 s22, exec_lo
	v_cmpx_gt_u32_e64 s63, v102
	s_cbranch_execnz .LBB399_620
.LBB399_417:                            ;   in Loop: Header=BB399_410 Depth=2
	s_or_b32 exec_lo, exec_lo, s22
	s_mov_b32 s22, exec_lo
	v_cmpx_gt_u32_e64 s63, v103
	s_cbranch_execnz .LBB399_621
.LBB399_418:                            ;   in Loop: Header=BB399_410 Depth=2
	s_or_b32 exec_lo, exec_lo, s22
	s_mov_b32 s22, exec_lo
	v_cmpx_gt_u32_e64 s63, v104
	s_cbranch_execnz .LBB399_622
.LBB399_419:                            ;   in Loop: Header=BB399_410 Depth=2
	s_or_b32 exec_lo, exec_lo, s22
	s_mov_b32 s22, exec_lo
	v_cmpx_gt_u32_e64 s63, v105
	s_cbranch_execnz .LBB399_623
.LBB399_420:                            ;   in Loop: Header=BB399_410 Depth=2
	s_or_b32 exec_lo, exec_lo, s22
	s_mov_b32 s22, exec_lo
	v_cmpx_gt_u32_e64 s63, v106
	s_cbranch_execnz .LBB399_624
.LBB399_421:                            ;   in Loop: Header=BB399_410 Depth=2
	s_or_b32 exec_lo, exec_lo, s22
	s_mov_b32 s22, exec_lo
	v_cmpx_gt_u32_e64 s63, v107
	s_cbranch_execnz .LBB399_625
.LBB399_422:                            ;   in Loop: Header=BB399_410 Depth=2
	s_or_b32 exec_lo, exec_lo, s22
	s_mov_b32 s22, exec_lo
	v_cmpx_gt_u32_e64 s63, v108
	s_cbranch_execnz .LBB399_626
.LBB399_423:                            ;   in Loop: Header=BB399_410 Depth=2
	s_or_b32 exec_lo, exec_lo, s22
	s_mov_b32 s22, exec_lo
	v_cmpx_gt_u32_e64 s63, v109
	s_cbranch_execnz .LBB399_627
.LBB399_424:                            ;   in Loop: Header=BB399_410 Depth=2
	s_or_b32 exec_lo, exec_lo, s22
	s_mov_b32 s22, exec_lo
	v_cmpx_gt_u32_e64 s63, v110
	s_cbranch_execnz .LBB399_628
.LBB399_425:                            ;   in Loop: Header=BB399_410 Depth=2
	s_or_b32 exec_lo, exec_lo, s22
	s_mov_b32 s22, exec_lo
	v_cmpx_gt_u32_e64 s63, v111
	s_cbranch_execnz .LBB399_629
.LBB399_426:                            ;   in Loop: Header=BB399_410 Depth=2
	s_or_b32 exec_lo, exec_lo, s22
	s_mov_b32 s22, exec_lo
	v_cmpx_gt_u32_e64 s63, v112
	s_cbranch_execnz .LBB399_630
.LBB399_427:                            ;   in Loop: Header=BB399_410 Depth=2
	s_or_b32 exec_lo, exec_lo, s22
	s_mov_b32 s22, exec_lo
	v_cmpx_gt_u32_e64 s63, v113
	s_cbranch_execnz .LBB399_631
.LBB399_428:                            ;   in Loop: Header=BB399_410 Depth=2
	s_or_b32 exec_lo, exec_lo, s22
	s_mov_b32 s22, exec_lo
	v_cmpx_gt_u32_e64 s63, v114
	s_cbranch_execz .LBB399_430
.LBB399_429:                            ;   in Loop: Header=BB399_410 Depth=2
	global_load_ubyte v42, v[39:40], off offset:480
.LBB399_430:                            ;   in Loop: Header=BB399_410 Depth=2
	s_or_b32 exec_lo, exec_lo, s22
	v_cmp_gt_u32_e64 s22, s63, v115
	s_sub_i32 s23, s59, s50
.LBB399_431:                            ;   in Loop: Header=BB399_410 Depth=2
	v_mov_b32_e32 v138, s63
	s_and_saveexec_b32 s24, s22
	s_cbranch_execz .LBB399_433
; %bb.432:                              ;   in Loop: Header=BB399_410 Depth=2
	v_add_co_u32 v39, vcc_lo, v96, s50
	v_add_co_ci_u32_e64 v40, null, s51, v97, vcc_lo
	v_mov_b32_e32 v138, s23
	global_load_ubyte v117, v[39:40], off offset:512
.LBB399_433:                            ;   in Loop: Header=BB399_410 Depth=2
	s_or_b32 exec_lo, exec_lo, s24
	s_waitcnt vmcnt(0)
	v_xor_b32_e32 v39, 0x80, v146
	ds_write2_b32 v69, v4, v4 offset0:136 offset1:137
	ds_write2_b32 v69, v4, v4 offset0:138 offset1:139
	ds_write_b32 v69, v4 offset:560
	s_waitcnt lgkmcnt(0)
	s_barrier
	v_and_b32_sdwa v40, v92, v39 dst_sel:DWORD dst_unused:UNUSED_PAD src0_sel:DWORD src1_sel:BYTE_0
	buffer_gl0_inv
	; wave barrier
	v_lshrrev_b32_e32 v40, s61, v40
	v_and_b32_e32 v149, s62, v40
	v_and_b32_e32 v40, 1, v149
	v_lshlrev_b32_e32 v146, 30, v149
	v_lshlrev_b32_e32 v152, 29, v149
	;; [unrolled: 1-line block ×4, first 2 shown]
	v_add_co_u32 v40, s22, v40, -1
	v_cndmask_b32_e64 v153, 0, 1, s22
	v_not_b32_e32 v157, v146
	v_cmp_gt_i32_e64 s22, 0, v146
	v_not_b32_e32 v146, v152
	v_lshlrev_b32_e32 v156, 26, v149
	v_cmp_ne_u32_e32 vcc_lo, 0, v153
	v_ashrrev_i32_e32 v157, 31, v157
	v_lshlrev_b32_e32 v153, 25, v149
	v_ashrrev_i32_e32 v146, 31, v146
	v_mul_u32_u24_e32 v149, 36, v149
	v_xor_b32_e32 v40, vcc_lo, v40
	v_cmp_gt_i32_e32 vcc_lo, 0, v152
	v_not_b32_e32 v152, v154
	v_xor_b32_e32 v157, s22, v157
	v_cmp_gt_i32_e64 s22, 0, v154
	v_and_b32_e32 v40, exec_lo, v40
	v_not_b32_e32 v154, v155
	v_ashrrev_i32_e32 v152, 31, v152
	v_xor_b32_e32 v146, vcc_lo, v146
	v_cmp_gt_i32_e32 vcc_lo, 0, v155
	v_and_b32_e32 v40, v40, v157
	v_not_b32_e32 v155, v156
	v_ashrrev_i32_e32 v154, 31, v154
	v_xor_b32_e32 v152, s22, v152
	v_cmp_gt_i32_e64 s22, 0, v156
	v_and_b32_e32 v40, v40, v146
	v_not_b32_e32 v146, v153
	v_ashrrev_i32_e32 v155, 31, v155
	v_xor_b32_e32 v154, vcc_lo, v154
	v_cmp_gt_i32_e32 vcc_lo, 0, v153
	v_and_b32_e32 v40, v40, v152
	v_ashrrev_i32_e32 v146, 31, v146
	v_xor_b32_e32 v152, s22, v155
	v_add_nc_u32_e32 v149, v116, v149
	v_and_b32_e32 v40, v40, v154
	v_xor_b32_e32 v146, vcc_lo, v146
	v_and_b32_e32 v40, v40, v152
	v_and_b32_e32 v40, v40, v146
	v_mbcnt_lo_u32_b32 v146, v40, 0
	v_cmp_ne_u32_e64 s22, 0, v40
	v_cmp_eq_u32_e32 vcc_lo, 0, v146
	s_and_b32 s23, s22, vcc_lo
	s_and_saveexec_b32 s22, s23
; %bb.434:                              ;   in Loop: Header=BB399_410 Depth=2
	v_bcnt_u32_b32 v40, v40, 0
	ds_write_b32 v149, v40 offset:544
; %bb.435:                              ;   in Loop: Header=BB399_410 Depth=2
	s_or_b32 exec_lo, exec_lo, s22
	v_xor_b32_sdwa v40, v147, v93 dst_sel:BYTE_1 dst_unused:UNUSED_PAD src0_sel:DWORD src1_sel:DWORD
	v_xor_b32_e32 v148, 0x80, v148
	v_xor_b32_sdwa v151, v151, v93 dst_sel:BYTE_1 dst_unused:UNUSED_PAD src0_sel:DWORD src1_sel:DWORD
	; wave barrier
	v_or_b32_sdwa v147, v39, v40 dst_sel:DWORD dst_unused:UNUSED_PAD src0_sel:BYTE_0 src1_sel:DWORD
	v_or_b32_sdwa v39, v148, v151 dst_sel:WORD_1 dst_unused:UNUSED_PAD src0_sel:BYTE_0 src1_sel:DWORD
	v_or_b32_sdwa v148, v147, v39 dst_sel:DWORD dst_unused:UNUSED_PAD src0_sel:WORD_0 src1_sel:DWORD
	v_lshrrev_b32_sdwa v39, s61, v148 dst_sel:DWORD dst_unused:UNUSED_PAD src0_sel:DWORD src1_sel:BYTE_1
	v_and_b32_e32 v40, s62, v39
	v_and_b32_e32 v39, 1, v40
	v_lshlrev_b32_e32 v151, 30, v40
	v_lshlrev_b32_e32 v152, 29, v40
	;; [unrolled: 1-line block ×4, first 2 shown]
	v_add_co_u32 v39, s22, v39, -1
	v_cndmask_b32_e64 v153, 0, 1, s22
	v_not_b32_e32 v157, v151
	v_cmp_gt_i32_e64 s22, 0, v151
	v_not_b32_e32 v151, v152
	v_lshlrev_b32_e32 v156, 26, v40
	v_cmp_ne_u32_e32 vcc_lo, 0, v153
	v_ashrrev_i32_e32 v157, 31, v157
	v_lshlrev_b32_e32 v153, 25, v40
	v_ashrrev_i32_e32 v151, 31, v151
	v_xor_b32_e32 v39, vcc_lo, v39
	v_cmp_gt_i32_e32 vcc_lo, 0, v152
	v_not_b32_e32 v152, v154
	v_xor_b32_e32 v157, s22, v157
	v_cmp_gt_i32_e64 s22, 0, v154
	v_and_b32_e32 v39, exec_lo, v39
	v_not_b32_e32 v154, v155
	v_ashrrev_i32_e32 v152, 31, v152
	v_xor_b32_e32 v151, vcc_lo, v151
	v_cmp_gt_i32_e32 vcc_lo, 0, v155
	v_and_b32_e32 v39, v39, v157
	v_not_b32_e32 v155, v156
	v_ashrrev_i32_e32 v154, 31, v154
	v_xor_b32_e32 v152, s22, v152
	v_cmp_gt_i32_e64 s22, 0, v156
	v_and_b32_e32 v39, v39, v151
	v_not_b32_e32 v151, v153
	v_ashrrev_i32_e32 v155, 31, v155
	v_xor_b32_e32 v154, vcc_lo, v154
	v_cmp_gt_i32_e32 vcc_lo, 0, v153
	v_and_b32_e32 v39, v39, v152
	v_ashrrev_i32_e32 v151, 31, v151
	v_xor_b32_e32 v152, s22, v155
	v_mad_u32_u24 v153, v40, 36, v116
	v_mul_u32_u24_e32 v40, 36, v40
	v_and_b32_e32 v39, v39, v154
	v_xor_b32_e32 v154, vcc_lo, v151
	ds_read_b32 v151, v153 offset:544
	v_add_nc_u32_e32 v153, v116, v40
	v_and_b32_e32 v39, v39, v152
	; wave barrier
	v_and_b32_e32 v39, v39, v154
	v_mbcnt_lo_u32_b32 v152, v39, 0
	v_cmp_ne_u32_e64 s22, 0, v39
	v_cmp_eq_u32_e32 vcc_lo, 0, v152
	s_and_b32 s23, s22, vcc_lo
	s_and_saveexec_b32 s22, s23
	s_cbranch_execz .LBB399_437
; %bb.436:                              ;   in Loop: Header=BB399_410 Depth=2
	s_waitcnt lgkmcnt(0)
	v_bcnt_u32_b32 v39, v39, v151
	ds_write_b32 v153, v39 offset:544
.LBB399_437:                            ;   in Loop: Header=BB399_410 Depth=2
	s_or_b32 exec_lo, exec_lo, s22
	v_lshrrev_b32_sdwa v39, s61, v148 dst_sel:DWORD dst_unused:UNUSED_PAD src0_sel:DWORD src1_sel:BYTE_2
	; wave barrier
	v_and_b32_e32 v40, s62, v39
	v_and_b32_e32 v39, 1, v40
	v_lshlrev_b32_e32 v154, 30, v40
	v_lshlrev_b32_e32 v155, 29, v40
	v_lshlrev_b32_e32 v157, 28, v40
	v_lshlrev_b32_e32 v158, 27, v40
	v_add_co_u32 v39, s22, v39, -1
	v_cndmask_b32_e64 v156, 0, 1, s22
	v_not_b32_e32 v160, v154
	v_cmp_gt_i32_e64 s22, 0, v154
	v_not_b32_e32 v154, v155
	v_lshlrev_b32_e32 v159, 26, v40
	v_cmp_ne_u32_e32 vcc_lo, 0, v156
	v_ashrrev_i32_e32 v160, 31, v160
	v_lshlrev_b32_e32 v156, 25, v40
	v_ashrrev_i32_e32 v154, 31, v154
	v_xor_b32_e32 v39, vcc_lo, v39
	v_cmp_gt_i32_e32 vcc_lo, 0, v155
	v_not_b32_e32 v155, v157
	v_xor_b32_e32 v160, s22, v160
	v_cmp_gt_i32_e64 s22, 0, v157
	v_and_b32_e32 v39, exec_lo, v39
	v_not_b32_e32 v157, v158
	v_ashrrev_i32_e32 v155, 31, v155
	v_xor_b32_e32 v154, vcc_lo, v154
	v_cmp_gt_i32_e32 vcc_lo, 0, v158
	v_and_b32_e32 v39, v39, v160
	v_not_b32_e32 v158, v159
	v_ashrrev_i32_e32 v157, 31, v157
	v_xor_b32_e32 v155, s22, v155
	v_cmp_gt_i32_e64 s22, 0, v159
	v_and_b32_e32 v39, v39, v154
	v_not_b32_e32 v154, v156
	v_ashrrev_i32_e32 v158, 31, v158
	v_xor_b32_e32 v157, vcc_lo, v157
	v_cmp_gt_i32_e32 vcc_lo, 0, v156
	v_and_b32_e32 v39, v39, v155
	v_ashrrev_i32_e32 v154, 31, v154
	v_xor_b32_e32 v155, s22, v158
	v_mad_u32_u24 v156, v40, 36, v116
	v_mul_u32_u24_e32 v40, 36, v40
	v_and_b32_e32 v39, v39, v157
	v_xor_b32_e32 v157, vcc_lo, v154
	ds_read_b32 v154, v156 offset:544
	v_and_b32_e32 v39, v39, v155
	; wave barrier
	v_and_b32_e32 v39, v39, v157
	v_add_nc_u32_e32 v157, v116, v40
	v_mbcnt_lo_u32_b32 v155, v39, 0
	v_cmp_ne_u32_e64 s22, 0, v39
	v_cmp_eq_u32_e32 vcc_lo, 0, v155
	s_and_b32 s23, s22, vcc_lo
	s_and_saveexec_b32 s22, s23
	s_cbranch_execz .LBB399_439
; %bb.438:                              ;   in Loop: Header=BB399_410 Depth=2
	s_waitcnt lgkmcnt(0)
	v_bcnt_u32_b32 v39, v39, v154
	ds_write_b32 v157, v39 offset:544
.LBB399_439:                            ;   in Loop: Header=BB399_410 Depth=2
	s_or_b32 exec_lo, exec_lo, s22
	v_lshrrev_b32_e32 v156, 24, v148
	; wave barrier
	v_lshrrev_b32_e32 v39, s61, v156
	v_and_b32_e32 v40, s62, v39
	v_and_b32_e32 v39, 1, v40
	v_lshlrev_b32_e32 v158, 30, v40
	v_lshlrev_b32_e32 v159, 29, v40
	;; [unrolled: 1-line block ×4, first 2 shown]
	v_add_co_u32 v39, s22, v39, -1
	v_cndmask_b32_e64 v160, 0, 1, s22
	v_not_b32_e32 v164, v158
	v_cmp_gt_i32_e64 s22, 0, v158
	v_not_b32_e32 v158, v159
	v_lshlrev_b32_e32 v163, 26, v40
	v_cmp_ne_u32_e32 vcc_lo, 0, v160
	v_ashrrev_i32_e32 v164, 31, v164
	v_lshlrev_b32_e32 v160, 25, v40
	v_ashrrev_i32_e32 v158, 31, v158
	v_xor_b32_e32 v39, vcc_lo, v39
	v_cmp_gt_i32_e32 vcc_lo, 0, v159
	v_not_b32_e32 v159, v161
	v_xor_b32_e32 v164, s22, v164
	v_cmp_gt_i32_e64 s22, 0, v161
	v_and_b32_e32 v39, exec_lo, v39
	v_not_b32_e32 v161, v162
	v_ashrrev_i32_e32 v159, 31, v159
	v_xor_b32_e32 v158, vcc_lo, v158
	v_cmp_gt_i32_e32 vcc_lo, 0, v162
	v_and_b32_e32 v39, v39, v164
	v_not_b32_e32 v162, v163
	v_ashrrev_i32_e32 v161, 31, v161
	v_xor_b32_e32 v159, s22, v159
	v_cmp_gt_i32_e64 s22, 0, v163
	v_and_b32_e32 v39, v39, v158
	v_not_b32_e32 v158, v160
	v_ashrrev_i32_e32 v162, 31, v162
	v_xor_b32_e32 v161, vcc_lo, v161
	v_cmp_gt_i32_e32 vcc_lo, 0, v160
	v_and_b32_e32 v39, v39, v159
	v_ashrrev_i32_e32 v158, 31, v158
	v_xor_b32_e32 v159, s22, v162
	v_mad_u32_u24 v160, v40, 36, v116
	v_mul_u32_u24_e32 v40, 36, v40
	v_and_b32_e32 v39, v39, v161
	v_xor_b32_e32 v161, vcc_lo, v158
	ds_read_b32 v158, v160 offset:544
	v_add_nc_u32_e32 v160, v116, v40
	v_and_b32_e32 v39, v39, v159
	; wave barrier
	v_and_b32_e32 v39, v39, v161
	v_mbcnt_lo_u32_b32 v159, v39, 0
	v_cmp_ne_u32_e64 s22, 0, v39
	v_cmp_eq_u32_e32 vcc_lo, 0, v159
	s_and_b32 s23, s22, vcc_lo
	s_and_saveexec_b32 s22, s23
	s_cbranch_execz .LBB399_441
; %bb.440:                              ;   in Loop: Header=BB399_410 Depth=2
	s_waitcnt lgkmcnt(0)
	v_bcnt_u32_b32 v39, v39, v158
	ds_write_b32 v160, v39 offset:544
.LBB399_441:                            ;   in Loop: Header=BB399_410 Depth=2
	s_or_b32 exec_lo, exec_lo, s22
	v_xor_b32_e32 v39, 0x80, v150
	; wave barrier
	v_and_b32_sdwa v40, v92, v39 dst_sel:DWORD dst_unused:UNUSED_PAD src0_sel:DWORD src1_sel:BYTE_0
	v_lshrrev_b32_e32 v40, s61, v40
	v_and_b32_e32 v162, s62, v40
	v_and_b32_e32 v40, 1, v162
	v_lshlrev_b32_e32 v150, 30, v162
	v_lshlrev_b32_e32 v161, 29, v162
	;; [unrolled: 1-line block ×4, first 2 shown]
	v_add_co_u32 v40, s22, v40, -1
	v_cndmask_b32_e64 v163, 0, 1, s22
	v_not_b32_e32 v167, v150
	v_cmp_gt_i32_e64 s22, 0, v150
	v_not_b32_e32 v150, v161
	v_lshlrev_b32_e32 v166, 26, v162
	v_cmp_ne_u32_e32 vcc_lo, 0, v163
	v_ashrrev_i32_e32 v167, 31, v167
	v_lshlrev_b32_e32 v163, 25, v162
	v_ashrrev_i32_e32 v150, 31, v150
	v_xor_b32_e32 v40, vcc_lo, v40
	v_cmp_gt_i32_e32 vcc_lo, 0, v161
	v_not_b32_e32 v161, v164
	v_xor_b32_e32 v167, s22, v167
	v_cmp_gt_i32_e64 s22, 0, v164
	v_and_b32_e32 v40, exec_lo, v40
	v_not_b32_e32 v164, v165
	v_ashrrev_i32_e32 v161, 31, v161
	v_xor_b32_e32 v150, vcc_lo, v150
	v_cmp_gt_i32_e32 vcc_lo, 0, v165
	v_and_b32_e32 v40, v40, v167
	v_not_b32_e32 v165, v166
	v_ashrrev_i32_e32 v164, 31, v164
	v_xor_b32_e32 v161, s22, v161
	v_cmp_gt_i32_e64 s22, 0, v166
	v_and_b32_e32 v40, v40, v150
	v_not_b32_e32 v150, v163
	v_ashrrev_i32_e32 v165, 31, v165
	v_xor_b32_e32 v164, vcc_lo, v164
	v_cmp_gt_i32_e32 vcc_lo, 0, v163
	v_and_b32_e32 v40, v40, v161
	v_ashrrev_i32_e32 v150, 31, v150
	v_xor_b32_e32 v161, s22, v165
	v_mad_u32_u24 v163, v162, 36, v116
	v_mul_u32_u24_e32 v162, 36, v162
	v_and_b32_e32 v40, v40, v164
	v_xor_b32_e32 v164, vcc_lo, v150
	ds_read_b32 v150, v163 offset:544
	v_add_nc_u32_e32 v162, v116, v162
	v_and_b32_e32 v40, v40, v161
	; wave barrier
	v_and_b32_e32 v40, v40, v164
	v_mbcnt_lo_u32_b32 v161, v40, 0
	v_cmp_ne_u32_e64 s22, 0, v40
	v_cmp_eq_u32_e32 vcc_lo, 0, v161
	s_and_b32 s23, s22, vcc_lo
	s_and_saveexec_b32 s22, s23
	s_cbranch_execz .LBB399_443
; %bb.442:                              ;   in Loop: Header=BB399_410 Depth=2
	s_waitcnt lgkmcnt(0)
	v_bcnt_u32_b32 v40, v40, v150
	ds_write_b32 v162, v40 offset:544
.LBB399_443:                            ;   in Loop: Header=BB399_410 Depth=2
	s_or_b32 exec_lo, exec_lo, s22
	v_xor_b32_sdwa v40, v143, v93 dst_sel:BYTE_1 dst_unused:UNUSED_PAD src0_sel:DWORD src1_sel:DWORD
	v_xor_b32_e32 v144, 0x80, v144
	v_xor_b32_sdwa v145, v145, v93 dst_sel:BYTE_1 dst_unused:UNUSED_PAD src0_sel:DWORD src1_sel:DWORD
	; wave barrier
	v_or_b32_sdwa v143, v39, v40 dst_sel:DWORD dst_unused:UNUSED_PAD src0_sel:BYTE_0 src1_sel:DWORD
	v_or_b32_sdwa v39, v144, v145 dst_sel:WORD_1 dst_unused:UNUSED_PAD src0_sel:BYTE_0 src1_sel:DWORD
	v_or_b32_sdwa v144, v143, v39 dst_sel:DWORD dst_unused:UNUSED_PAD src0_sel:WORD_0 src1_sel:DWORD
	v_lshrrev_b32_sdwa v39, s61, v144 dst_sel:DWORD dst_unused:UNUSED_PAD src0_sel:DWORD src1_sel:BYTE_1
	v_and_b32_e32 v40, s62, v39
	v_and_b32_e32 v39, 1, v40
	v_lshlrev_b32_e32 v145, 30, v40
	v_lshlrev_b32_e32 v163, 29, v40
	;; [unrolled: 1-line block ×4, first 2 shown]
	v_add_co_u32 v39, s22, v39, -1
	v_cndmask_b32_e64 v164, 0, 1, s22
	v_not_b32_e32 v168, v145
	v_cmp_gt_i32_e64 s22, 0, v145
	v_not_b32_e32 v145, v163
	v_lshlrev_b32_e32 v167, 26, v40
	v_cmp_ne_u32_e32 vcc_lo, 0, v164
	v_ashrrev_i32_e32 v168, 31, v168
	v_lshlrev_b32_e32 v164, 25, v40
	v_ashrrev_i32_e32 v145, 31, v145
	v_xor_b32_e32 v39, vcc_lo, v39
	v_cmp_gt_i32_e32 vcc_lo, 0, v163
	v_not_b32_e32 v163, v165
	v_xor_b32_e32 v168, s22, v168
	v_cmp_gt_i32_e64 s22, 0, v165
	v_and_b32_e32 v39, exec_lo, v39
	v_not_b32_e32 v165, v166
	v_ashrrev_i32_e32 v163, 31, v163
	v_xor_b32_e32 v145, vcc_lo, v145
	v_cmp_gt_i32_e32 vcc_lo, 0, v166
	v_and_b32_e32 v39, v39, v168
	v_not_b32_e32 v166, v167
	v_ashrrev_i32_e32 v165, 31, v165
	v_xor_b32_e32 v163, s22, v163
	v_cmp_gt_i32_e64 s22, 0, v167
	v_and_b32_e32 v39, v39, v145
	v_not_b32_e32 v145, v164
	v_ashrrev_i32_e32 v166, 31, v166
	v_xor_b32_e32 v165, vcc_lo, v165
	v_cmp_gt_i32_e32 vcc_lo, 0, v164
	v_and_b32_e32 v39, v39, v163
	v_ashrrev_i32_e32 v145, 31, v145
	v_xor_b32_e32 v163, s22, v166
	v_mad_u32_u24 v164, v40, 36, v116
	v_mul_u32_u24_e32 v40, 36, v40
	v_and_b32_e32 v39, v39, v165
	v_xor_b32_e32 v165, vcc_lo, v145
	ds_read_b32 v145, v164 offset:544
	v_add_nc_u32_e32 v164, v116, v40
	v_and_b32_e32 v39, v39, v163
	; wave barrier
	v_and_b32_e32 v39, v39, v165
	v_mbcnt_lo_u32_b32 v163, v39, 0
	v_cmp_ne_u32_e64 s22, 0, v39
	v_cmp_eq_u32_e32 vcc_lo, 0, v163
	s_and_b32 s23, s22, vcc_lo
	s_and_saveexec_b32 s22, s23
	s_cbranch_execz .LBB399_445
; %bb.444:                              ;   in Loop: Header=BB399_410 Depth=2
	s_waitcnt lgkmcnt(0)
	v_bcnt_u32_b32 v39, v39, v145
	ds_write_b32 v164, v39 offset:544
.LBB399_445:                            ;   in Loop: Header=BB399_410 Depth=2
	s_or_b32 exec_lo, exec_lo, s22
	v_lshrrev_b32_sdwa v39, s61, v144 dst_sel:DWORD dst_unused:UNUSED_PAD src0_sel:DWORD src1_sel:BYTE_2
	; wave barrier
	v_and_b32_e32 v40, s62, v39
	v_and_b32_e32 v39, 1, v40
	v_lshlrev_b32_e32 v165, 30, v40
	v_lshlrev_b32_e32 v166, 29, v40
	v_lshlrev_b32_e32 v168, 28, v40
	v_lshlrev_b32_e32 v169, 27, v40
	v_add_co_u32 v39, s22, v39, -1
	v_cndmask_b32_e64 v167, 0, 1, s22
	v_not_b32_e32 v171, v165
	v_cmp_gt_i32_e64 s22, 0, v165
	v_not_b32_e32 v165, v166
	v_lshlrev_b32_e32 v170, 26, v40
	v_cmp_ne_u32_e32 vcc_lo, 0, v167
	v_ashrrev_i32_e32 v171, 31, v171
	v_lshlrev_b32_e32 v167, 25, v40
	v_ashrrev_i32_e32 v165, 31, v165
	v_xor_b32_e32 v39, vcc_lo, v39
	v_cmp_gt_i32_e32 vcc_lo, 0, v166
	v_not_b32_e32 v166, v168
	v_xor_b32_e32 v171, s22, v171
	v_cmp_gt_i32_e64 s22, 0, v168
	v_and_b32_e32 v39, exec_lo, v39
	v_not_b32_e32 v168, v169
	v_ashrrev_i32_e32 v166, 31, v166
	v_xor_b32_e32 v165, vcc_lo, v165
	v_cmp_gt_i32_e32 vcc_lo, 0, v169
	v_and_b32_e32 v39, v39, v171
	v_not_b32_e32 v169, v170
	v_ashrrev_i32_e32 v168, 31, v168
	v_xor_b32_e32 v166, s22, v166
	v_cmp_gt_i32_e64 s22, 0, v170
	v_and_b32_e32 v39, v39, v165
	v_not_b32_e32 v165, v167
	v_ashrrev_i32_e32 v169, 31, v169
	v_xor_b32_e32 v168, vcc_lo, v168
	v_cmp_gt_i32_e32 vcc_lo, 0, v167
	v_and_b32_e32 v39, v39, v166
	v_ashrrev_i32_e32 v165, 31, v165
	v_xor_b32_e32 v166, s22, v169
	v_mad_u32_u24 v167, v40, 36, v116
	v_mul_u32_u24_e32 v40, 36, v40
	v_and_b32_e32 v39, v39, v168
	v_xor_b32_e32 v168, vcc_lo, v165
	ds_read_b32 v165, v167 offset:544
	v_and_b32_e32 v39, v39, v166
	; wave barrier
	v_and_b32_e32 v39, v39, v168
	v_add_nc_u32_e32 v168, v116, v40
	v_mbcnt_lo_u32_b32 v166, v39, 0
	v_cmp_ne_u32_e64 s22, 0, v39
	v_cmp_eq_u32_e32 vcc_lo, 0, v166
	s_and_b32 s23, s22, vcc_lo
	s_and_saveexec_b32 s22, s23
	s_cbranch_execz .LBB399_447
; %bb.446:                              ;   in Loop: Header=BB399_410 Depth=2
	s_waitcnt lgkmcnt(0)
	v_bcnt_u32_b32 v39, v39, v165
	ds_write_b32 v168, v39 offset:544
.LBB399_447:                            ;   in Loop: Header=BB399_410 Depth=2
	s_or_b32 exec_lo, exec_lo, s22
	v_lshrrev_b32_e32 v167, 24, v144
	; wave barrier
	v_lshrrev_b32_e32 v39, s61, v167
	v_and_b32_e32 v40, s62, v39
	v_and_b32_e32 v39, 1, v40
	v_lshlrev_b32_e32 v169, 30, v40
	v_lshlrev_b32_e32 v170, 29, v40
	;; [unrolled: 1-line block ×4, first 2 shown]
	v_add_co_u32 v39, s22, v39, -1
	v_cndmask_b32_e64 v171, 0, 1, s22
	v_not_b32_e32 v175, v169
	v_cmp_gt_i32_e64 s22, 0, v169
	v_not_b32_e32 v169, v170
	v_lshlrev_b32_e32 v174, 26, v40
	v_cmp_ne_u32_e32 vcc_lo, 0, v171
	v_ashrrev_i32_e32 v175, 31, v175
	v_lshlrev_b32_e32 v171, 25, v40
	v_ashrrev_i32_e32 v169, 31, v169
	v_xor_b32_e32 v39, vcc_lo, v39
	v_cmp_gt_i32_e32 vcc_lo, 0, v170
	v_not_b32_e32 v170, v172
	v_xor_b32_e32 v175, s22, v175
	v_cmp_gt_i32_e64 s22, 0, v172
	v_and_b32_e32 v39, exec_lo, v39
	v_not_b32_e32 v172, v173
	v_ashrrev_i32_e32 v170, 31, v170
	v_xor_b32_e32 v169, vcc_lo, v169
	v_cmp_gt_i32_e32 vcc_lo, 0, v173
	v_and_b32_e32 v39, v39, v175
	v_not_b32_e32 v173, v174
	v_ashrrev_i32_e32 v172, 31, v172
	v_xor_b32_e32 v170, s22, v170
	v_cmp_gt_i32_e64 s22, 0, v174
	v_and_b32_e32 v39, v39, v169
	v_not_b32_e32 v169, v171
	v_ashrrev_i32_e32 v173, 31, v173
	v_xor_b32_e32 v172, vcc_lo, v172
	v_cmp_gt_i32_e32 vcc_lo, 0, v171
	v_and_b32_e32 v39, v39, v170
	v_ashrrev_i32_e32 v169, 31, v169
	v_xor_b32_e32 v170, s22, v173
	v_mad_u32_u24 v171, v40, 36, v116
	v_mul_u32_u24_e32 v40, 36, v40
	v_and_b32_e32 v39, v39, v172
	v_xor_b32_e32 v172, vcc_lo, v169
	ds_read_b32 v169, v171 offset:544
	v_add_nc_u32_e32 v171, v116, v40
	v_and_b32_e32 v39, v39, v170
	; wave barrier
	v_and_b32_e32 v39, v39, v172
	v_mbcnt_lo_u32_b32 v170, v39, 0
	v_cmp_ne_u32_e64 s22, 0, v39
	v_cmp_eq_u32_e32 vcc_lo, 0, v170
	s_and_b32 s23, s22, vcc_lo
	s_and_saveexec_b32 s22, s23
	s_cbranch_execz .LBB399_449
; %bb.448:                              ;   in Loop: Header=BB399_410 Depth=2
	s_waitcnt lgkmcnt(0)
	v_bcnt_u32_b32 v39, v39, v169
	ds_write_b32 v171, v39 offset:544
.LBB399_449:                            ;   in Loop: Header=BB399_410 Depth=2
	s_or_b32 exec_lo, exec_lo, s22
	v_xor_b32_e32 v39, 0x80, v142
	; wave barrier
	v_and_b32_sdwa v40, v92, v39 dst_sel:DWORD dst_unused:UNUSED_PAD src0_sel:DWORD src1_sel:BYTE_0
	v_lshrrev_b32_e32 v40, s61, v40
	v_and_b32_e32 v173, s62, v40
	v_and_b32_e32 v40, 1, v173
	v_lshlrev_b32_e32 v142, 30, v173
	v_lshlrev_b32_e32 v172, 29, v173
	v_lshlrev_b32_e32 v175, 28, v173
	v_lshlrev_b32_e32 v176, 27, v173
	v_add_co_u32 v40, s22, v40, -1
	v_cndmask_b32_e64 v174, 0, 1, s22
	v_not_b32_e32 v178, v142
	v_cmp_gt_i32_e64 s22, 0, v142
	v_not_b32_e32 v142, v172
	v_lshlrev_b32_e32 v177, 26, v173
	v_cmp_ne_u32_e32 vcc_lo, 0, v174
	v_ashrrev_i32_e32 v178, 31, v178
	v_lshlrev_b32_e32 v174, 25, v173
	v_ashrrev_i32_e32 v142, 31, v142
	v_xor_b32_e32 v40, vcc_lo, v40
	v_cmp_gt_i32_e32 vcc_lo, 0, v172
	v_not_b32_e32 v172, v175
	v_xor_b32_e32 v178, s22, v178
	v_cmp_gt_i32_e64 s22, 0, v175
	v_and_b32_e32 v40, exec_lo, v40
	v_not_b32_e32 v175, v176
	v_ashrrev_i32_e32 v172, 31, v172
	v_xor_b32_e32 v142, vcc_lo, v142
	v_cmp_gt_i32_e32 vcc_lo, 0, v176
	v_and_b32_e32 v40, v40, v178
	v_not_b32_e32 v176, v177
	v_ashrrev_i32_e32 v175, 31, v175
	v_xor_b32_e32 v172, s22, v172
	v_cmp_gt_i32_e64 s22, 0, v177
	v_and_b32_e32 v40, v40, v142
	v_not_b32_e32 v142, v174
	v_ashrrev_i32_e32 v176, 31, v176
	v_xor_b32_e32 v175, vcc_lo, v175
	v_cmp_gt_i32_e32 vcc_lo, 0, v174
	v_and_b32_e32 v40, v40, v172
	v_ashrrev_i32_e32 v142, 31, v142
	v_xor_b32_e32 v172, s22, v176
	v_mad_u32_u24 v174, v173, 36, v116
	v_mul_u32_u24_e32 v173, 36, v173
	v_and_b32_e32 v40, v40, v175
	v_xor_b32_e32 v175, vcc_lo, v142
	ds_read_b32 v142, v174 offset:544
	v_add_nc_u32_e32 v173, v116, v173
	v_and_b32_e32 v40, v40, v172
	; wave barrier
	v_and_b32_e32 v40, v40, v175
	v_mbcnt_lo_u32_b32 v172, v40, 0
	v_cmp_ne_u32_e64 s22, 0, v40
	v_cmp_eq_u32_e32 vcc_lo, 0, v172
	s_and_b32 s23, s22, vcc_lo
	s_and_saveexec_b32 s22, s23
	s_cbranch_execz .LBB399_451
; %bb.450:                              ;   in Loop: Header=BB399_410 Depth=2
	s_waitcnt lgkmcnt(0)
	v_bcnt_u32_b32 v40, v40, v142
	ds_write_b32 v173, v40 offset:544
.LBB399_451:                            ;   in Loop: Header=BB399_410 Depth=2
	s_or_b32 exec_lo, exec_lo, s22
	v_xor_b32_sdwa v40, v139, v93 dst_sel:BYTE_1 dst_unused:UNUSED_PAD src0_sel:DWORD src1_sel:DWORD
	v_xor_b32_e32 v140, 0x80, v140
	v_xor_b32_sdwa v141, v141, v93 dst_sel:BYTE_1 dst_unused:UNUSED_PAD src0_sel:DWORD src1_sel:DWORD
	; wave barrier
	v_or_b32_sdwa v139, v39, v40 dst_sel:DWORD dst_unused:UNUSED_PAD src0_sel:BYTE_0 src1_sel:DWORD
	v_or_b32_sdwa v39, v140, v141 dst_sel:WORD_1 dst_unused:UNUSED_PAD src0_sel:BYTE_0 src1_sel:DWORD
	v_or_b32_sdwa v140, v139, v39 dst_sel:DWORD dst_unused:UNUSED_PAD src0_sel:WORD_0 src1_sel:DWORD
	v_lshrrev_b32_sdwa v39, s61, v140 dst_sel:DWORD dst_unused:UNUSED_PAD src0_sel:DWORD src1_sel:BYTE_1
	v_and_b32_e32 v40, s62, v39
	v_and_b32_e32 v39, 1, v40
	v_lshlrev_b32_e32 v141, 30, v40
	v_lshlrev_b32_e32 v174, 29, v40
	;; [unrolled: 1-line block ×4, first 2 shown]
	v_add_co_u32 v39, s22, v39, -1
	v_cndmask_b32_e64 v175, 0, 1, s22
	v_not_b32_e32 v179, v141
	v_cmp_gt_i32_e64 s22, 0, v141
	v_not_b32_e32 v141, v174
	v_lshlrev_b32_e32 v178, 26, v40
	v_cmp_ne_u32_e32 vcc_lo, 0, v175
	v_ashrrev_i32_e32 v179, 31, v179
	v_lshlrev_b32_e32 v175, 25, v40
	v_ashrrev_i32_e32 v141, 31, v141
	v_xor_b32_e32 v39, vcc_lo, v39
	v_cmp_gt_i32_e32 vcc_lo, 0, v174
	v_not_b32_e32 v174, v176
	v_xor_b32_e32 v179, s22, v179
	v_cmp_gt_i32_e64 s22, 0, v176
	v_and_b32_e32 v39, exec_lo, v39
	v_not_b32_e32 v176, v177
	v_ashrrev_i32_e32 v174, 31, v174
	v_xor_b32_e32 v141, vcc_lo, v141
	v_cmp_gt_i32_e32 vcc_lo, 0, v177
	v_and_b32_e32 v39, v39, v179
	v_not_b32_e32 v177, v178
	v_ashrrev_i32_e32 v176, 31, v176
	v_xor_b32_e32 v174, s22, v174
	v_cmp_gt_i32_e64 s22, 0, v178
	v_and_b32_e32 v39, v39, v141
	v_not_b32_e32 v141, v175
	v_ashrrev_i32_e32 v177, 31, v177
	v_xor_b32_e32 v176, vcc_lo, v176
	v_cmp_gt_i32_e32 vcc_lo, 0, v175
	v_and_b32_e32 v39, v39, v174
	v_ashrrev_i32_e32 v141, 31, v141
	v_xor_b32_e32 v174, s22, v177
	v_mad_u32_u24 v175, v40, 36, v116
	v_mul_u32_u24_e32 v40, 36, v40
	v_and_b32_e32 v39, v39, v176
	v_xor_b32_e32 v176, vcc_lo, v141
	ds_read_b32 v141, v175 offset:544
	v_add_nc_u32_e32 v175, v116, v40
	v_and_b32_e32 v39, v39, v174
	; wave barrier
	v_and_b32_e32 v39, v39, v176
	v_mbcnt_lo_u32_b32 v174, v39, 0
	v_cmp_ne_u32_e64 s22, 0, v39
	v_cmp_eq_u32_e32 vcc_lo, 0, v174
	s_and_b32 s23, s22, vcc_lo
	s_and_saveexec_b32 s22, s23
	s_cbranch_execz .LBB399_453
; %bb.452:                              ;   in Loop: Header=BB399_410 Depth=2
	s_waitcnt lgkmcnt(0)
	v_bcnt_u32_b32 v39, v39, v141
	ds_write_b32 v175, v39 offset:544
.LBB399_453:                            ;   in Loop: Header=BB399_410 Depth=2
	s_or_b32 exec_lo, exec_lo, s22
	v_lshrrev_b32_sdwa v39, s61, v140 dst_sel:DWORD dst_unused:UNUSED_PAD src0_sel:DWORD src1_sel:BYTE_2
	; wave barrier
	v_and_b32_e32 v40, s62, v39
	v_and_b32_e32 v39, 1, v40
	v_lshlrev_b32_e32 v176, 30, v40
	v_lshlrev_b32_e32 v177, 29, v40
	;; [unrolled: 1-line block ×4, first 2 shown]
	v_add_co_u32 v39, s22, v39, -1
	v_cndmask_b32_e64 v178, 0, 1, s22
	v_not_b32_e32 v182, v176
	v_cmp_gt_i32_e64 s22, 0, v176
	v_not_b32_e32 v176, v177
	v_lshlrev_b32_e32 v181, 26, v40
	v_cmp_ne_u32_e32 vcc_lo, 0, v178
	v_ashrrev_i32_e32 v182, 31, v182
	v_lshlrev_b32_e32 v178, 25, v40
	v_ashrrev_i32_e32 v176, 31, v176
	v_xor_b32_e32 v39, vcc_lo, v39
	v_cmp_gt_i32_e32 vcc_lo, 0, v177
	v_not_b32_e32 v177, v179
	v_xor_b32_e32 v182, s22, v182
	v_cmp_gt_i32_e64 s22, 0, v179
	v_and_b32_e32 v39, exec_lo, v39
	v_not_b32_e32 v179, v180
	v_ashrrev_i32_e32 v177, 31, v177
	v_xor_b32_e32 v176, vcc_lo, v176
	v_cmp_gt_i32_e32 vcc_lo, 0, v180
	v_and_b32_e32 v39, v39, v182
	v_not_b32_e32 v180, v181
	v_ashrrev_i32_e32 v179, 31, v179
	v_xor_b32_e32 v177, s22, v177
	v_cmp_gt_i32_e64 s22, 0, v181
	v_and_b32_e32 v39, v39, v176
	v_not_b32_e32 v176, v178
	v_ashrrev_i32_e32 v180, 31, v180
	v_xor_b32_e32 v179, vcc_lo, v179
	v_cmp_gt_i32_e32 vcc_lo, 0, v178
	v_and_b32_e32 v39, v39, v177
	v_ashrrev_i32_e32 v176, 31, v176
	v_xor_b32_e32 v177, s22, v180
	v_mad_u32_u24 v178, v40, 36, v116
	v_mul_u32_u24_e32 v40, 36, v40
	v_and_b32_e32 v39, v39, v179
	v_xor_b32_e32 v179, vcc_lo, v176
	ds_read_b32 v176, v178 offset:544
	v_and_b32_e32 v39, v39, v177
	; wave barrier
	v_and_b32_e32 v39, v39, v179
	v_add_nc_u32_e32 v179, v116, v40
	v_mbcnt_lo_u32_b32 v177, v39, 0
	v_cmp_ne_u32_e64 s22, 0, v39
	v_cmp_eq_u32_e32 vcc_lo, 0, v177
	s_and_b32 s23, s22, vcc_lo
	s_and_saveexec_b32 s22, s23
	s_cbranch_execz .LBB399_455
; %bb.454:                              ;   in Loop: Header=BB399_410 Depth=2
	s_waitcnt lgkmcnt(0)
	v_bcnt_u32_b32 v39, v39, v176
	ds_write_b32 v179, v39 offset:544
.LBB399_455:                            ;   in Loop: Header=BB399_410 Depth=2
	s_or_b32 exec_lo, exec_lo, s22
	v_lshrrev_b32_e32 v178, 24, v140
	; wave barrier
	v_lshrrev_b32_e32 v39, s61, v178
	v_and_b32_e32 v40, s62, v39
	v_and_b32_e32 v39, 1, v40
	v_lshlrev_b32_e32 v180, 30, v40
	v_lshlrev_b32_e32 v181, 29, v40
	;; [unrolled: 1-line block ×4, first 2 shown]
	v_add_co_u32 v39, s22, v39, -1
	v_cndmask_b32_e64 v182, 0, 1, s22
	v_not_b32_e32 v186, v180
	v_cmp_gt_i32_e64 s22, 0, v180
	v_not_b32_e32 v180, v181
	v_lshlrev_b32_e32 v185, 26, v40
	v_cmp_ne_u32_e32 vcc_lo, 0, v182
	v_ashrrev_i32_e32 v186, 31, v186
	v_lshlrev_b32_e32 v182, 25, v40
	v_ashrrev_i32_e32 v180, 31, v180
	v_xor_b32_e32 v39, vcc_lo, v39
	v_cmp_gt_i32_e32 vcc_lo, 0, v181
	v_not_b32_e32 v181, v183
	v_xor_b32_e32 v186, s22, v186
	v_cmp_gt_i32_e64 s22, 0, v183
	v_and_b32_e32 v39, exec_lo, v39
	v_not_b32_e32 v183, v184
	v_ashrrev_i32_e32 v181, 31, v181
	v_xor_b32_e32 v180, vcc_lo, v180
	v_cmp_gt_i32_e32 vcc_lo, 0, v184
	v_and_b32_e32 v39, v39, v186
	v_not_b32_e32 v184, v185
	v_ashrrev_i32_e32 v183, 31, v183
	v_xor_b32_e32 v181, s22, v181
	v_cmp_gt_i32_e64 s22, 0, v185
	v_and_b32_e32 v39, v39, v180
	v_not_b32_e32 v180, v182
	v_ashrrev_i32_e32 v184, 31, v184
	v_xor_b32_e32 v183, vcc_lo, v183
	v_cmp_gt_i32_e32 vcc_lo, 0, v182
	v_and_b32_e32 v39, v39, v181
	v_ashrrev_i32_e32 v180, 31, v180
	v_xor_b32_e32 v181, s22, v184
	v_mad_u32_u24 v182, v40, 36, v116
	v_mul_u32_u24_e32 v40, 36, v40
	v_and_b32_e32 v39, v39, v183
	v_xor_b32_e32 v183, vcc_lo, v180
	ds_read_b32 v180, v182 offset:544
	v_add_nc_u32_e32 v182, v116, v40
	v_and_b32_e32 v39, v39, v181
	; wave barrier
	v_and_b32_e32 v39, v39, v183
	v_mbcnt_lo_u32_b32 v181, v39, 0
	v_cmp_ne_u32_e64 s22, 0, v39
	v_cmp_eq_u32_e32 vcc_lo, 0, v181
	s_and_b32 s23, s22, vcc_lo
	s_and_saveexec_b32 s22, s23
	s_cbranch_execz .LBB399_457
; %bb.456:                              ;   in Loop: Header=BB399_410 Depth=2
	s_waitcnt lgkmcnt(0)
	v_bcnt_u32_b32 v39, v39, v180
	ds_write_b32 v182, v39 offset:544
.LBB399_457:                            ;   in Loop: Header=BB399_410 Depth=2
	s_or_b32 exec_lo, exec_lo, s22
	v_xor_b32_e32 v39, 0x80, v137
	; wave barrier
	v_and_b32_sdwa v40, v92, v39 dst_sel:DWORD dst_unused:UNUSED_PAD src0_sel:DWORD src1_sel:BYTE_0
	v_lshrrev_b32_e32 v40, s61, v40
	v_and_b32_e32 v184, s62, v40
	v_and_b32_e32 v40, 1, v184
	v_lshlrev_b32_e32 v137, 30, v184
	v_lshlrev_b32_e32 v183, 29, v184
	v_lshlrev_b32_e32 v186, 28, v184
	v_lshlrev_b32_e32 v187, 27, v184
	v_add_co_u32 v40, s22, v40, -1
	v_cndmask_b32_e64 v185, 0, 1, s22
	v_not_b32_e32 v189, v137
	v_cmp_gt_i32_e64 s22, 0, v137
	v_not_b32_e32 v137, v183
	v_lshlrev_b32_e32 v188, 26, v184
	v_cmp_ne_u32_e32 vcc_lo, 0, v185
	v_ashrrev_i32_e32 v189, 31, v189
	v_lshlrev_b32_e32 v185, 25, v184
	v_ashrrev_i32_e32 v137, 31, v137
	v_xor_b32_e32 v40, vcc_lo, v40
	v_cmp_gt_i32_e32 vcc_lo, 0, v183
	v_not_b32_e32 v183, v186
	v_xor_b32_e32 v189, s22, v189
	v_cmp_gt_i32_e64 s22, 0, v186
	v_and_b32_e32 v40, exec_lo, v40
	v_not_b32_e32 v186, v187
	v_ashrrev_i32_e32 v183, 31, v183
	v_xor_b32_e32 v137, vcc_lo, v137
	v_cmp_gt_i32_e32 vcc_lo, 0, v187
	v_and_b32_e32 v40, v40, v189
	v_not_b32_e32 v187, v188
	v_ashrrev_i32_e32 v186, 31, v186
	v_xor_b32_e32 v183, s22, v183
	v_cmp_gt_i32_e64 s22, 0, v188
	v_and_b32_e32 v40, v40, v137
	v_not_b32_e32 v137, v185
	v_ashrrev_i32_e32 v187, 31, v187
	v_xor_b32_e32 v186, vcc_lo, v186
	v_cmp_gt_i32_e32 vcc_lo, 0, v185
	v_and_b32_e32 v40, v40, v183
	v_ashrrev_i32_e32 v137, 31, v137
	v_xor_b32_e32 v183, s22, v187
	v_mad_u32_u24 v185, v184, 36, v116
	v_mul_u32_u24_e32 v184, 36, v184
	v_and_b32_e32 v40, v40, v186
	v_xor_b32_e32 v186, vcc_lo, v137
	ds_read_b32 v137, v185 offset:544
	v_add_nc_u32_e32 v185, v116, v184
	v_and_b32_e32 v40, v40, v183
	; wave barrier
	v_and_b32_e32 v40, v40, v186
	v_mbcnt_lo_u32_b32 v183, v40, 0
	v_cmp_ne_u32_e64 s22, 0, v40
	v_cmp_eq_u32_e32 vcc_lo, 0, v183
	s_and_b32 s23, s22, vcc_lo
	s_and_saveexec_b32 s22, s23
	s_cbranch_execz .LBB399_459
; %bb.458:                              ;   in Loop: Header=BB399_410 Depth=2
	s_waitcnt lgkmcnt(0)
	v_bcnt_u32_b32 v40, v40, v137
	ds_write_b32 v185, v40 offset:544
.LBB399_459:                            ;   in Loop: Header=BB399_410 Depth=2
	s_or_b32 exec_lo, exec_lo, s22
	v_xor_b32_sdwa v3, v3, v93 dst_sel:BYTE_1 dst_unused:UNUSED_PAD src0_sel:DWORD src1_sel:DWORD
	v_xor_b32_e32 v40, 0x80, v41
	v_xor_b32_sdwa v41, v42, v93 dst_sel:BYTE_1 dst_unused:UNUSED_PAD src0_sel:DWORD src1_sel:DWORD
	; wave barrier
	v_or_b32_sdwa v184, v39, v3 dst_sel:DWORD dst_unused:UNUSED_PAD src0_sel:BYTE_0 src1_sel:DWORD
	v_or_b32_sdwa v3, v40, v41 dst_sel:WORD_1 dst_unused:UNUSED_PAD src0_sel:BYTE_0 src1_sel:DWORD
	v_or_b32_sdwa v3, v184, v3 dst_sel:DWORD dst_unused:UNUSED_PAD src0_sel:WORD_0 src1_sel:DWORD
	v_lshrrev_b32_sdwa v39, s61, v3 dst_sel:DWORD dst_unused:UNUSED_PAD src0_sel:DWORD src1_sel:BYTE_1
	v_and_b32_e32 v40, s62, v39
	v_and_b32_e32 v39, 1, v40
	v_lshlrev_b32_e32 v41, 30, v40
	v_lshlrev_b32_e32 v42, 29, v40
	;; [unrolled: 1-line block ×4, first 2 shown]
	v_add_co_u32 v39, s22, v39, -1
	v_cndmask_b32_e64 v186, 0, 1, s22
	v_not_b32_e32 v190, v41
	v_cmp_gt_i32_e64 s22, 0, v41
	v_not_b32_e32 v41, v42
	v_lshlrev_b32_e32 v189, 26, v40
	v_cmp_ne_u32_e32 vcc_lo, 0, v186
	v_ashrrev_i32_e32 v190, 31, v190
	v_lshlrev_b32_e32 v186, 25, v40
	v_ashrrev_i32_e32 v41, 31, v41
	v_xor_b32_e32 v39, vcc_lo, v39
	v_cmp_gt_i32_e32 vcc_lo, 0, v42
	v_not_b32_e32 v42, v187
	v_xor_b32_e32 v190, s22, v190
	v_cmp_gt_i32_e64 s22, 0, v187
	v_and_b32_e32 v39, exec_lo, v39
	v_not_b32_e32 v187, v188
	v_ashrrev_i32_e32 v42, 31, v42
	v_xor_b32_e32 v41, vcc_lo, v41
	v_cmp_gt_i32_e32 vcc_lo, 0, v188
	v_and_b32_e32 v39, v39, v190
	v_not_b32_e32 v188, v189
	v_ashrrev_i32_e32 v187, 31, v187
	v_xor_b32_e32 v42, s22, v42
	v_cmp_gt_i32_e64 s22, 0, v189
	v_and_b32_e32 v39, v39, v41
	v_not_b32_e32 v41, v186
	v_ashrrev_i32_e32 v188, 31, v188
	v_xor_b32_e32 v187, vcc_lo, v187
	v_cmp_gt_i32_e32 vcc_lo, 0, v186
	v_and_b32_e32 v39, v39, v42
	v_ashrrev_i32_e32 v41, 31, v41
	v_xor_b32_e32 v42, s22, v188
	v_mad_u32_u24 v186, v40, 36, v116
	v_mul_u32_u24_e32 v40, 36, v40
	v_and_b32_e32 v39, v39, v187
	v_xor_b32_e32 v41, vcc_lo, v41
	ds_read_b32 v186, v186 offset:544
	v_add_nc_u32_e32 v188, v116, v40
	v_and_b32_e32 v39, v39, v42
	; wave barrier
	v_and_b32_e32 v39, v39, v41
	v_mbcnt_lo_u32_b32 v187, v39, 0
	v_cmp_ne_u32_e64 s22, 0, v39
	v_cmp_eq_u32_e32 vcc_lo, 0, v187
	s_and_b32 s23, s22, vcc_lo
	s_and_saveexec_b32 s22, s23
	s_cbranch_execz .LBB399_461
; %bb.460:                              ;   in Loop: Header=BB399_410 Depth=2
	s_waitcnt lgkmcnt(0)
	v_bcnt_u32_b32 v39, v39, v186
	ds_write_b32 v188, v39 offset:544
.LBB399_461:                            ;   in Loop: Header=BB399_410 Depth=2
	s_or_b32 exec_lo, exec_lo, s22
	v_lshrrev_b32_sdwa v39, s61, v3 dst_sel:DWORD dst_unused:UNUSED_PAD src0_sel:DWORD src1_sel:BYTE_2
	; wave barrier
	v_and_b32_e32 v40, s62, v39
	v_and_b32_e32 v39, 1, v40
	v_lshlrev_b32_e32 v41, 30, v40
	v_lshlrev_b32_e32 v42, 29, v40
	;; [unrolled: 1-line block ×4, first 2 shown]
	v_add_co_u32 v39, s22, v39, -1
	v_cndmask_b32_e64 v189, 0, 1, s22
	v_not_b32_e32 v193, v41
	v_cmp_gt_i32_e64 s22, 0, v41
	v_not_b32_e32 v41, v42
	v_lshlrev_b32_e32 v192, 26, v40
	v_cmp_ne_u32_e32 vcc_lo, 0, v189
	v_ashrrev_i32_e32 v193, 31, v193
	v_lshlrev_b32_e32 v189, 25, v40
	v_ashrrev_i32_e32 v41, 31, v41
	v_xor_b32_e32 v39, vcc_lo, v39
	v_cmp_gt_i32_e32 vcc_lo, 0, v42
	v_not_b32_e32 v42, v190
	v_xor_b32_e32 v193, s22, v193
	v_cmp_gt_i32_e64 s22, 0, v190
	v_and_b32_e32 v39, exec_lo, v39
	v_not_b32_e32 v190, v191
	v_ashrrev_i32_e32 v42, 31, v42
	v_xor_b32_e32 v41, vcc_lo, v41
	v_cmp_gt_i32_e32 vcc_lo, 0, v191
	v_and_b32_e32 v39, v39, v193
	v_not_b32_e32 v191, v192
	v_ashrrev_i32_e32 v190, 31, v190
	v_xor_b32_e32 v42, s22, v42
	v_cmp_gt_i32_e64 s22, 0, v192
	v_and_b32_e32 v39, v39, v41
	v_not_b32_e32 v41, v189
	v_ashrrev_i32_e32 v191, 31, v191
	v_xor_b32_e32 v190, vcc_lo, v190
	v_cmp_gt_i32_e32 vcc_lo, 0, v189
	v_and_b32_e32 v39, v39, v42
	v_ashrrev_i32_e32 v41, 31, v41
	v_xor_b32_e32 v42, s22, v191
	v_mad_u32_u24 v189, v40, 36, v116
	v_mul_u32_u24_e32 v40, 36, v40
	v_and_b32_e32 v39, v39, v190
	v_xor_b32_e32 v41, vcc_lo, v41
	ds_read_b32 v189, v189 offset:544
	v_add_nc_u32_e32 v192, v116, v40
	v_and_b32_e32 v39, v39, v42
	; wave barrier
	v_and_b32_e32 v39, v39, v41
	v_mbcnt_lo_u32_b32 v190, v39, 0
	v_cmp_ne_u32_e64 s22, 0, v39
	v_cmp_eq_u32_e32 vcc_lo, 0, v190
	s_and_b32 s23, s22, vcc_lo
	s_and_saveexec_b32 s22, s23
	s_cbranch_execz .LBB399_463
; %bb.462:                              ;   in Loop: Header=BB399_410 Depth=2
	s_waitcnt lgkmcnt(0)
	v_bcnt_u32_b32 v39, v39, v189
	ds_write_b32 v192, v39 offset:544
.LBB399_463:                            ;   in Loop: Header=BB399_410 Depth=2
	s_or_b32 exec_lo, exec_lo, s22
	v_lshrrev_b32_e32 v191, 24, v3
	; wave barrier
	v_lshrrev_b32_e32 v39, s61, v191
	v_and_b32_e32 v40, s62, v39
	v_and_b32_e32 v39, 1, v40
	v_lshlrev_b32_e32 v41, 30, v40
	v_lshlrev_b32_e32 v42, 29, v40
	;; [unrolled: 1-line block ×4, first 2 shown]
	v_add_co_u32 v39, s22, v39, -1
	v_cndmask_b32_e64 v193, 0, 1, s22
	v_not_b32_e32 v197, v41
	v_cmp_gt_i32_e64 s22, 0, v41
	v_not_b32_e32 v41, v42
	v_lshlrev_b32_e32 v196, 26, v40
	v_cmp_ne_u32_e32 vcc_lo, 0, v193
	v_ashrrev_i32_e32 v197, 31, v197
	v_lshlrev_b32_e32 v193, 25, v40
	v_ashrrev_i32_e32 v41, 31, v41
	v_xor_b32_e32 v39, vcc_lo, v39
	v_cmp_gt_i32_e32 vcc_lo, 0, v42
	v_not_b32_e32 v42, v194
	v_xor_b32_e32 v197, s22, v197
	v_cmp_gt_i32_e64 s22, 0, v194
	v_and_b32_e32 v39, exec_lo, v39
	v_not_b32_e32 v194, v195
	v_ashrrev_i32_e32 v42, 31, v42
	v_xor_b32_e32 v41, vcc_lo, v41
	v_cmp_gt_i32_e32 vcc_lo, 0, v195
	v_and_b32_e32 v39, v39, v197
	v_not_b32_e32 v195, v196
	v_ashrrev_i32_e32 v194, 31, v194
	v_xor_b32_e32 v42, s22, v42
	v_cmp_gt_i32_e64 s22, 0, v196
	v_and_b32_e32 v39, v39, v41
	v_not_b32_e32 v41, v193
	v_ashrrev_i32_e32 v195, 31, v195
	v_xor_b32_e32 v194, vcc_lo, v194
	v_cmp_gt_i32_e32 vcc_lo, 0, v193
	v_and_b32_e32 v39, v39, v42
	v_ashrrev_i32_e32 v41, 31, v41
	v_xor_b32_e32 v42, s22, v195
	v_mad_u32_u24 v193, v40, 36, v116
	v_mul_u32_u24_e32 v40, 36, v40
	v_and_b32_e32 v39, v39, v194
	v_xor_b32_e32 v41, vcc_lo, v41
	ds_read_b32 v193, v193 offset:544
	v_add_nc_u32_e32 v195, v116, v40
	v_and_b32_e32 v39, v39, v42
	; wave barrier
	v_and_b32_e32 v39, v39, v41
	v_mbcnt_lo_u32_b32 v194, v39, 0
	v_cmp_ne_u32_e64 s22, 0, v39
	v_cmp_eq_u32_e32 vcc_lo, 0, v194
	s_and_b32 s23, s22, vcc_lo
	s_and_saveexec_b32 s22, s23
	s_cbranch_execz .LBB399_465
; %bb.464:                              ;   in Loop: Header=BB399_410 Depth=2
	s_waitcnt lgkmcnt(0)
	v_bcnt_u32_b32 v39, v39, v193
	ds_write_b32 v195, v39 offset:544
.LBB399_465:                            ;   in Loop: Header=BB399_410 Depth=2
	s_or_b32 exec_lo, exec_lo, s22
	v_xor_b32_e32 v117, 0xffffff80, v117
	; wave barrier
	v_lshrrev_b32_sdwa v39, s61, v117 dst_sel:DWORD dst_unused:UNUSED_PAD src0_sel:DWORD src1_sel:BYTE_0
	v_and_b32_e32 v40, s62, v39
	v_and_b32_e32 v39, 1, v40
	v_lshlrev_b32_e32 v41, 30, v40
	v_lshlrev_b32_e32 v42, 29, v40
	v_lshlrev_b32_e32 v197, 28, v40
	v_lshlrev_b32_e32 v198, 27, v40
	v_add_co_u32 v39, s22, v39, -1
	v_cndmask_b32_e64 v196, 0, 1, s22
	v_not_b32_e32 v200, v41
	v_cmp_gt_i32_e64 s22, 0, v41
	v_not_b32_e32 v41, v42
	v_lshlrev_b32_e32 v199, 26, v40
	v_cmp_ne_u32_e32 vcc_lo, 0, v196
	v_ashrrev_i32_e32 v200, 31, v200
	v_lshlrev_b32_e32 v196, 25, v40
	v_ashrrev_i32_e32 v41, 31, v41
	v_xor_b32_e32 v39, vcc_lo, v39
	v_cmp_gt_i32_e32 vcc_lo, 0, v42
	v_not_b32_e32 v42, v197
	v_xor_b32_e32 v200, s22, v200
	v_cmp_gt_i32_e64 s22, 0, v197
	v_and_b32_e32 v39, exec_lo, v39
	v_not_b32_e32 v197, v198
	v_ashrrev_i32_e32 v42, 31, v42
	v_xor_b32_e32 v41, vcc_lo, v41
	v_cmp_gt_i32_e32 vcc_lo, 0, v198
	v_and_b32_e32 v39, v39, v200
	v_not_b32_e32 v198, v199
	v_ashrrev_i32_e32 v197, 31, v197
	v_xor_b32_e32 v42, s22, v42
	v_cmp_gt_i32_e64 s22, 0, v199
	v_and_b32_e32 v39, v39, v41
	v_not_b32_e32 v41, v196
	v_ashrrev_i32_e32 v198, 31, v198
	v_xor_b32_e32 v197, vcc_lo, v197
	v_cmp_gt_i32_e32 vcc_lo, 0, v196
	v_and_b32_e32 v39, v39, v42
	v_ashrrev_i32_e32 v41, 31, v41
	v_xor_b32_e32 v42, s22, v198
	v_mad_u32_u24 v196, v40, 36, v116
	v_mul_u32_u24_e32 v40, 36, v40
	v_and_b32_e32 v39, v39, v197
	v_xor_b32_e32 v41, vcc_lo, v41
	ds_read_b32 v196, v196 offset:544
	v_add_nc_u32_e32 v198, v116, v40
	v_and_b32_e32 v39, v39, v42
	; wave barrier
	v_and_b32_e32 v39, v39, v41
	v_mbcnt_lo_u32_b32 v197, v39, 0
	v_cmp_ne_u32_e64 s22, 0, v39
	v_cmp_eq_u32_e32 vcc_lo, 0, v197
	s_and_b32 s23, s22, vcc_lo
	s_and_saveexec_b32 s22, s23
	s_cbranch_execz .LBB399_467
; %bb.466:                              ;   in Loop: Header=BB399_410 Depth=2
	s_waitcnt lgkmcnt(0)
	v_bcnt_u32_b32 v39, v39, v196
	ds_write_b32 v198, v39 offset:544
.LBB399_467:                            ;   in Loop: Header=BB399_410 Depth=2
	s_or_b32 exec_lo, exec_lo, s22
	; wave barrier
	s_waitcnt lgkmcnt(0)
	s_barrier
	buffer_gl0_inv
	ds_read2_b32 v[41:42], v69 offset0:136 offset1:137
	ds_read2_b32 v[39:40], v69 offset0:138 offset1:139
	ds_read_b32 v199, v69 offset:560
	s_waitcnt lgkmcnt(1)
	v_add3_u32 v200, v42, v41, v39
	s_waitcnt lgkmcnt(0)
	v_add3_u32 v199, v200, v40, v199
	v_mov_b32_dpp v200, v199 row_shr:1 row_mask:0xf bank_mask:0xf
	v_cndmask_b32_e64 v200, v200, 0, s5
	v_add_nc_u32_e32 v199, v200, v199
	v_mov_b32_dpp v200, v199 row_shr:2 row_mask:0xf bank_mask:0xf
	v_cndmask_b32_e64 v200, 0, v200, s14
	v_add_nc_u32_e32 v199, v199, v200
	v_mov_b32_dpp v200, v199 row_shr:4 row_mask:0xf bank_mask:0xf
	v_cndmask_b32_e64 v200, 0, v200, s15
	v_add_nc_u32_e32 v199, v199, v200
	v_mov_b32_dpp v200, v199 row_shr:8 row_mask:0xf bank_mask:0xf
	v_cndmask_b32_e64 v200, 0, v200, s16
	v_add_nc_u32_e32 v199, v199, v200
	ds_swizzle_b32 v200, v199 offset:swizzle(BROADCAST,32,15)
	s_waitcnt lgkmcnt(0)
	v_cndmask_b32_e64 v200, v200, 0, s17
	v_add_nc_u32_e32 v199, v199, v200
	s_and_saveexec_b32 s22, s4
; %bb.468:                              ;   in Loop: Header=BB399_410 Depth=2
	ds_write_b32 v62, v199 offset:512
; %bb.469:                              ;   in Loop: Header=BB399_410 Depth=2
	s_or_b32 exec_lo, exec_lo, s22
	s_waitcnt lgkmcnt(0)
	s_barrier
	buffer_gl0_inv
	s_and_saveexec_b32 s22, s11
	s_cbranch_execz .LBB399_471
; %bb.470:                              ;   in Loop: Header=BB399_410 Depth=2
	ds_read_b32 v200, v70 offset:512
	s_waitcnt lgkmcnt(0)
	v_mov_b32_dpp v201, v200 row_shr:1 row_mask:0xf bank_mask:0xf
	v_cndmask_b32_e64 v201, v201, 0, s19
	v_add_nc_u32_e32 v200, v201, v200
	v_mov_b32_dpp v201, v200 row_shr:2 row_mask:0xf bank_mask:0xf
	v_cndmask_b32_e64 v201, 0, v201, s20
	v_add_nc_u32_e32 v200, v200, v201
	v_mov_b32_dpp v201, v200 row_shr:4 row_mask:0xf bank_mask:0xf
	v_cndmask_b32_e64 v201, 0, v201, s21
	v_add_nc_u32_e32 v200, v200, v201
	ds_write_b32 v70, v200 offset:512
.LBB399_471:                            ;   in Loop: Header=BB399_410 Depth=2
	s_or_b32 exec_lo, exec_lo, s22
	v_mov_b32_e32 v200, 0
	s_waitcnt lgkmcnt(0)
	s_barrier
	buffer_gl0_inv
	s_and_saveexec_b32 s22, s10
; %bb.472:                              ;   in Loop: Header=BB399_410 Depth=2
	ds_read_b32 v200, v62 offset:508
; %bb.473:                              ;   in Loop: Header=BB399_410 Depth=2
	s_or_b32 exec_lo, exec_lo, s22
	s_waitcnt lgkmcnt(0)
	v_add_nc_u32_e32 v199, v200, v199
	ds_bpermute_b32 v199, v94, v199
	s_waitcnt lgkmcnt(0)
	v_cndmask_b32_e64 v199, v199, v200, s18
	v_cndmask_b32_e64 v199, v199, 0, s12
	v_add_nc_u32_e32 v41, v199, v41
	v_add_nc_u32_e32 v42, v41, v42
	v_add_nc_u32_e32 v39, v42, v39
	v_add_nc_u32_e32 v40, v39, v40
	ds_write2_b32 v69, v199, v41 offset0:136 offset1:137
	ds_write2_b32 v69, v42, v39 offset0:138 offset1:139
	ds_write_b32 v69, v40 offset:560
	s_waitcnt lgkmcnt(0)
	s_barrier
	buffer_gl0_inv
	ds_read_b32 v39, v149 offset:544
	ds_read_b32 v40, v153 offset:544
	ds_read_b32 v41, v157 offset:544
	ds_read_b32 v42, v160 offset:544
	ds_read_b32 v149, v162 offset:544
	ds_read_b32 v160, v164 offset:544
	ds_read_b32 v162, v168 offset:544
	ds_read_b32 v164, v171 offset:544
	ds_read_b32 v168, v173 offset:544
	ds_read_b32 v171, v175 offset:544
	ds_read_b32 v173, v179 offset:544
	ds_read_b32 v175, v182 offset:544
	ds_read_b32 v179, v185 offset:544
	ds_read_b32 v182, v188 offset:544
	ds_read_b32 v185, v192 offset:544
	ds_read_b32 v188, v195 offset:544
	ds_read_b32 v192, v198 offset:544
	s_and_saveexec_b32 s22, s7
	s_cbranch_execz .LBB399_477
; %bb.474:                              ;   in Loop: Header=BB399_410 Depth=2
	v_add_nc_u32_e32 v135, v70, v72
	v_mov_b32_e32 v136, 0x1100
	ds_read_b32 v135, v135 offset:544
	s_and_saveexec_b32 s23, s13
; %bb.475:                              ;   in Loop: Header=BB399_410 Depth=2
	ds_read_b32 v136, v71 offset:544
; %bb.476:                              ;   in Loop: Header=BB399_410 Depth=2
	s_or_b32 exec_lo, exec_lo, s23
	s_waitcnt lgkmcnt(0)
	v_sub_nc_u32_e32 v136, v136, v135
.LBB399_477:                            ;   in Loop: Header=BB399_410 Depth=2
	s_or_b32 exec_lo, exec_lo, s22
	v_lshrrev_b32_e32 v203, 8, v148
	v_lshrrev_b32_e32 v204, 16, v148
	;; [unrolled: 1-line block ×8, first 2 shown]
	s_waitcnt lgkmcnt(0)
	s_barrier
	buffer_gl0_inv
	s_and_saveexec_b32 s22, s7
	s_cbranch_execz .LBB399_479
; %bb.478:                              ;   in Loop: Header=BB399_410 Depth=2
	ds_read_b32 v3, v43
	s_waitcnt lgkmcnt(0)
	v_sub_nc_u32_e32 v3, v3, v135
	ds_write_b32 v43, v3
.LBB399_479:                            ;   in Loop: Header=BB399_410 Depth=2
	s_or_b32 exec_lo, exec_lo, s22
	v_add_nc_u32_e32 v157, v39, v146
	v_add3_u32 v153, v152, v151, v40
	v_add3_u32 v152, v155, v154, v41
	;; [unrolled: 1-line block ×16, first 2 shown]
	v_cmp_lt_u32_e64 s39, v0, v138
	ds_write_b8 v157, v147 offset:512
	ds_write_b8 v153, v203 offset:512
	;; [unrolled: 1-line block ×17, first 2 shown]
	s_waitcnt lgkmcnt(0)
	s_barrier
	buffer_gl0_inv
	s_and_saveexec_b32 s22, s39
	s_cbranch_execnz .LBB399_552
; %bb.480:                              ;   in Loop: Header=BB399_410 Depth=2
	s_or_b32 exec_lo, exec_lo, s22
	v_cmp_lt_u32_e64 s38, v44, v138
	s_and_saveexec_b32 s22, s38
	s_cbranch_execnz .LBB399_553
.LBB399_481:                            ;   in Loop: Header=BB399_410 Depth=2
	s_or_b32 exec_lo, exec_lo, s22
	v_cmp_lt_u32_e64 s37, v47, v138
	s_and_saveexec_b32 s22, s37
	s_cbranch_execnz .LBB399_554
.LBB399_482:                            ;   in Loop: Header=BB399_410 Depth=2
	s_or_b32 exec_lo, exec_lo, s22
	v_cmp_lt_u32_e64 s36, v48, v138
	s_and_saveexec_b32 s22, s36
	s_cbranch_execnz .LBB399_555
.LBB399_483:                            ;   in Loop: Header=BB399_410 Depth=2
	s_or_b32 exec_lo, exec_lo, s22
	v_cmp_lt_u32_e64 s35, v49, v138
	s_and_saveexec_b32 s22, s35
	s_cbranch_execnz .LBB399_556
.LBB399_484:                            ;   in Loop: Header=BB399_410 Depth=2
	s_or_b32 exec_lo, exec_lo, s22
	v_cmp_lt_u32_e64 s34, v50, v138
	s_and_saveexec_b32 s22, s34
	s_cbranch_execnz .LBB399_557
.LBB399_485:                            ;   in Loop: Header=BB399_410 Depth=2
	s_or_b32 exec_lo, exec_lo, s22
	v_cmp_lt_u32_e64 s33, v51, v138
	s_and_saveexec_b32 s22, s33
	s_cbranch_execnz .LBB399_558
.LBB399_486:                            ;   in Loop: Header=BB399_410 Depth=2
	s_or_b32 exec_lo, exec_lo, s22
	v_cmp_lt_u32_e64 s31, v52, v138
	s_and_saveexec_b32 s22, s31
	s_cbranch_execnz .LBB399_559
.LBB399_487:                            ;   in Loop: Header=BB399_410 Depth=2
	s_or_b32 exec_lo, exec_lo, s22
	v_cmp_lt_u32_e64 s30, v53, v138
	s_and_saveexec_b32 s22, s30
	s_cbranch_execnz .LBB399_560
.LBB399_488:                            ;   in Loop: Header=BB399_410 Depth=2
	s_or_b32 exec_lo, exec_lo, s22
	v_cmp_lt_u32_e64 s29, v54, v138
	s_and_saveexec_b32 s22, s29
	s_cbranch_execnz .LBB399_561
.LBB399_489:                            ;   in Loop: Header=BB399_410 Depth=2
	s_or_b32 exec_lo, exec_lo, s22
	v_cmp_lt_u32_e64 s27, v55, v138
	s_and_saveexec_b32 s22, s27
	s_cbranch_execnz .LBB399_562
.LBB399_490:                            ;   in Loop: Header=BB399_410 Depth=2
	s_or_b32 exec_lo, exec_lo, s22
	v_cmp_lt_u32_e64 s26, v56, v138
	s_and_saveexec_b32 s22, s26
	s_cbranch_execnz .LBB399_563
.LBB399_491:                            ;   in Loop: Header=BB399_410 Depth=2
	s_or_b32 exec_lo, exec_lo, s22
	v_cmp_lt_u32_e64 s25, v57, v138
	s_and_saveexec_b32 s22, s25
	s_cbranch_execnz .LBB399_564
.LBB399_492:                            ;   in Loop: Header=BB399_410 Depth=2
	s_or_b32 exec_lo, exec_lo, s22
	v_cmp_lt_u32_e64 s24, v58, v138
	s_and_saveexec_b32 s22, s24
	s_cbranch_execnz .LBB399_565
.LBB399_493:                            ;   in Loop: Header=BB399_410 Depth=2
	s_or_b32 exec_lo, exec_lo, s22
	v_cmp_lt_u32_e64 s23, v59, v138
	s_and_saveexec_b32 s22, s23
	s_cbranch_execnz .LBB399_566
.LBB399_494:                            ;   in Loop: Header=BB399_410 Depth=2
	s_or_b32 exec_lo, exec_lo, s22
	v_cmp_lt_u32_e64 s22, v60, v138
	s_and_saveexec_b32 s40, s22
	s_cbranch_execnz .LBB399_567
.LBB399_495:                            ;   in Loop: Header=BB399_410 Depth=2
	s_or_b32 exec_lo, exec_lo, s40
	v_cmp_lt_u32_e32 vcc_lo, v61, v138
	s_and_saveexec_b32 s40, vcc_lo
	s_cbranch_execz .LBB399_497
.LBB399_496:                            ;   in Loop: Header=BB399_410 Depth=2
	ds_read_u8 v39, v0 offset:4608
	s_waitcnt lgkmcnt(0)
	v_lshrrev_b32_sdwa v40, s61, v39 dst_sel:DWORD dst_unused:UNUSED_PAD src0_sel:DWORD src1_sel:BYTE_0
	v_xor_b32_e32 v39, 0x80, v39
	v_and_b32_e32 v40, s62, v40
	v_lshlrev_b32_e32 v40, 2, v40
	ds_read_b32 v40, v40
	s_waitcnt lgkmcnt(0)
	v_add_nc_u32_e32 v40, v40, v61
	global_store_byte v40, v39, s[48:49]
.LBB399_497:                            ;   in Loop: Header=BB399_410 Depth=2
	s_or_b32 exec_lo, exec_lo, s40
	s_lshl_b64 s[66:67], s[50:51], 3
	v_add_co_u32 v39, s40, v98, s66
	v_add_co_ci_u32_e64 v40, null, s67, v99, s40
	v_cmp_lt_u32_e64 s40, v95, v138
	s_and_saveexec_b32 s50, s40
	s_xor_b32 s40, exec_lo, s50
	s_cbranch_execnz .LBB399_568
; %bb.498:                              ;   in Loop: Header=BB399_410 Depth=2
	s_or_b32 exec_lo, exec_lo, s40
	s_mov_b32 s50, exec_lo
	v_cmpx_lt_u32_e64 v100, v138
	s_cbranch_execnz .LBB399_569
.LBB399_499:                            ;   in Loop: Header=BB399_410 Depth=2
	s_or_b32 exec_lo, exec_lo, s50
	s_mov_b32 s50, exec_lo
	v_cmpx_lt_u32_e64 v101, v138
	s_cbranch_execnz .LBB399_570
.LBB399_500:                            ;   in Loop: Header=BB399_410 Depth=2
	s_or_b32 exec_lo, exec_lo, s50
	s_mov_b32 s50, exec_lo
	v_cmpx_lt_u32_e64 v102, v138
	s_cbranch_execnz .LBB399_571
.LBB399_501:                            ;   in Loop: Header=BB399_410 Depth=2
	s_or_b32 exec_lo, exec_lo, s50
	s_mov_b32 s50, exec_lo
	v_cmpx_lt_u32_e64 v103, v138
	s_cbranch_execnz .LBB399_572
.LBB399_502:                            ;   in Loop: Header=BB399_410 Depth=2
	s_or_b32 exec_lo, exec_lo, s50
	s_mov_b32 s50, exec_lo
	v_cmpx_lt_u32_e64 v104, v138
	s_cbranch_execnz .LBB399_573
.LBB399_503:                            ;   in Loop: Header=BB399_410 Depth=2
	s_or_b32 exec_lo, exec_lo, s50
	s_mov_b32 s50, exec_lo
	v_cmpx_lt_u32_e64 v105, v138
	s_cbranch_execnz .LBB399_574
.LBB399_504:                            ;   in Loop: Header=BB399_410 Depth=2
	s_or_b32 exec_lo, exec_lo, s50
	s_mov_b32 s50, exec_lo
	v_cmpx_lt_u32_e64 v106, v138
	s_cbranch_execnz .LBB399_575
.LBB399_505:                            ;   in Loop: Header=BB399_410 Depth=2
	s_or_b32 exec_lo, exec_lo, s50
	s_mov_b32 s50, exec_lo
	v_cmpx_lt_u32_e64 v107, v138
	s_cbranch_execnz .LBB399_576
.LBB399_506:                            ;   in Loop: Header=BB399_410 Depth=2
	s_or_b32 exec_lo, exec_lo, s50
	s_mov_b32 s50, exec_lo
	v_cmpx_lt_u32_e64 v108, v138
	s_cbranch_execnz .LBB399_577
.LBB399_507:                            ;   in Loop: Header=BB399_410 Depth=2
	s_or_b32 exec_lo, exec_lo, s50
	s_mov_b32 s50, exec_lo
	v_cmpx_lt_u32_e64 v109, v138
	s_cbranch_execnz .LBB399_578
.LBB399_508:                            ;   in Loop: Header=BB399_410 Depth=2
	s_or_b32 exec_lo, exec_lo, s50
	s_mov_b32 s50, exec_lo
	v_cmpx_lt_u32_e64 v110, v138
	s_cbranch_execnz .LBB399_579
.LBB399_509:                            ;   in Loop: Header=BB399_410 Depth=2
	s_or_b32 exec_lo, exec_lo, s50
	s_mov_b32 s50, exec_lo
	v_cmpx_lt_u32_e64 v111, v138
	s_cbranch_execnz .LBB399_580
.LBB399_510:                            ;   in Loop: Header=BB399_410 Depth=2
	s_or_b32 exec_lo, exec_lo, s50
	s_mov_b32 s50, exec_lo
	v_cmpx_lt_u32_e64 v112, v138
	s_cbranch_execnz .LBB399_581
.LBB399_511:                            ;   in Loop: Header=BB399_410 Depth=2
	s_or_b32 exec_lo, exec_lo, s50
	s_mov_b32 s50, exec_lo
	v_cmpx_lt_u32_e64 v113, v138
	s_cbranch_execnz .LBB399_582
.LBB399_512:                            ;   in Loop: Header=BB399_410 Depth=2
	s_or_b32 exec_lo, exec_lo, s50
	s_mov_b32 s50, exec_lo
	v_cmpx_lt_u32_e64 v114, v138
	s_cbranch_execnz .LBB399_583
.LBB399_513:                            ;   in Loop: Header=BB399_410 Depth=2
	s_or_b32 exec_lo, exec_lo, s50
	s_mov_b32 s50, exec_lo
	v_cmpx_lt_u32_e64 v115, v138
	s_cbranch_execnz .LBB399_584
.LBB399_514:                            ;   in Loop: Header=BB399_410 Depth=2
	s_or_b32 exec_lo, exec_lo, s50
	s_and_saveexec_b32 s40, s39
	s_cbranch_execnz .LBB399_585
.LBB399_515:                            ;   in Loop: Header=BB399_410 Depth=2
	s_or_b32 exec_lo, exec_lo, s40
	s_and_saveexec_b32 s40, s38
	s_cbranch_execnz .LBB399_586
.LBB399_516:                            ;   in Loop: Header=BB399_410 Depth=2
	s_or_b32 exec_lo, exec_lo, s40
	s_and_saveexec_b32 s40, s37
	s_cbranch_execnz .LBB399_587
.LBB399_517:                            ;   in Loop: Header=BB399_410 Depth=2
	s_or_b32 exec_lo, exec_lo, s40
	s_and_saveexec_b32 s40, s36
	s_cbranch_execnz .LBB399_588
.LBB399_518:                            ;   in Loop: Header=BB399_410 Depth=2
	s_or_b32 exec_lo, exec_lo, s40
	s_and_saveexec_b32 s40, s35
	s_cbranch_execnz .LBB399_589
.LBB399_519:                            ;   in Loop: Header=BB399_410 Depth=2
	s_or_b32 exec_lo, exec_lo, s40
	s_and_saveexec_b32 s40, s34
	s_cbranch_execnz .LBB399_590
.LBB399_520:                            ;   in Loop: Header=BB399_410 Depth=2
	s_or_b32 exec_lo, exec_lo, s40
	s_and_saveexec_b32 s40, s33
	s_cbranch_execnz .LBB399_591
.LBB399_521:                            ;   in Loop: Header=BB399_410 Depth=2
	s_or_b32 exec_lo, exec_lo, s40
	s_and_saveexec_b32 s40, s31
	s_cbranch_execnz .LBB399_592
.LBB399_522:                            ;   in Loop: Header=BB399_410 Depth=2
	s_or_b32 exec_lo, exec_lo, s40
	s_and_saveexec_b32 s40, s30
	s_cbranch_execnz .LBB399_593
.LBB399_523:                            ;   in Loop: Header=BB399_410 Depth=2
	s_or_b32 exec_lo, exec_lo, s40
	s_and_saveexec_b32 s40, s29
	s_cbranch_execnz .LBB399_594
.LBB399_524:                            ;   in Loop: Header=BB399_410 Depth=2
	s_or_b32 exec_lo, exec_lo, s40
	s_and_saveexec_b32 s40, s27
	s_cbranch_execnz .LBB399_595
.LBB399_525:                            ;   in Loop: Header=BB399_410 Depth=2
	s_or_b32 exec_lo, exec_lo, s40
	s_and_saveexec_b32 s40, s26
	s_cbranch_execnz .LBB399_596
.LBB399_526:                            ;   in Loop: Header=BB399_410 Depth=2
	s_or_b32 exec_lo, exec_lo, s40
	s_and_saveexec_b32 s40, s25
	s_cbranch_execnz .LBB399_597
.LBB399_527:                            ;   in Loop: Header=BB399_410 Depth=2
	s_or_b32 exec_lo, exec_lo, s40
	s_and_saveexec_b32 s40, s24
	s_cbranch_execnz .LBB399_598
.LBB399_528:                            ;   in Loop: Header=BB399_410 Depth=2
	s_or_b32 exec_lo, exec_lo, s40
	s_and_saveexec_b32 s40, s23
	s_cbranch_execnz .LBB399_599
.LBB399_529:                            ;   in Loop: Header=BB399_410 Depth=2
	s_or_b32 exec_lo, exec_lo, s40
	s_and_saveexec_b32 s40, s22
	s_cbranch_execnz .LBB399_600
.LBB399_530:                            ;   in Loop: Header=BB399_410 Depth=2
	s_or_b32 exec_lo, exec_lo, s40
	s_and_saveexec_b32 s40, vcc_lo
	s_cbranch_execz .LBB399_532
.LBB399_531:                            ;   in Loop: Header=BB399_410 Depth=2
	ds_read_u8 v39, v0 offset:4608
	s_waitcnt lgkmcnt(0)
	v_lshrrev_b32_e32 v39, s61, v39
	v_and_b32_e32 v118, s62, v39
.LBB399_532:                            ;   in Loop: Header=BB399_410 Depth=2
	s_or_b32 exec_lo, exec_lo, s40
	v_lshlrev_b32_e32 v39, 3, v157
	v_lshlrev_b32_e32 v40, 3, v153
	s_waitcnt vmcnt(0)
	s_waitcnt_vscnt null, 0x0
	s_barrier
	buffer_gl0_inv
	ds_write_b64 v39, v[37:38] offset:512
	ds_write_b64 v40, v[35:36] offset:512
	v_lshlrev_b32_e32 v39, 3, v152
	v_lshlrev_b32_e32 v40, 3, v151
	v_lshlrev_b32_e32 v138, 3, v150
	v_lshlrev_b32_e32 v139, 3, v149
	v_lshlrev_b32_e32 v143, 3, v148
	ds_write_b64 v39, v[33:34] offset:512
	ds_write_b64 v40, v[31:32] offset:512
	ds_write_b64 v138, v[29:30] offset:512
	ds_write_b64 v139, v[25:26] offset:512
	ds_write_b64 v143, v[21:22] offset:512
	v_lshlrev_b32_e32 v39, 3, v146
	v_lshlrev_b32_e32 v40, 3, v145
	v_lshlrev_b32_e32 v138, 3, v144
	v_lshlrev_b32_e32 v139, 3, v142
	v_lshlrev_b32_e32 v141, 3, v141
	ds_write_b64 v39, v[17:18] offset:512
	ds_write_b64 v40, v[27:28] offset:512
	ds_write_b64 v138, v[23:24] offset:512
	;; [unrolled: 10-line block ×3, first 2 shown]
	ds_write_b64 v41, v[7:8] offset:512
	ds_write_b64 v3, v[5:6] offset:512
	s_waitcnt lgkmcnt(0)
	s_barrier
	buffer_gl0_inv
	s_and_saveexec_b32 s40, s39
	s_cbranch_execnz .LBB399_601
; %bb.533:                              ;   in Loop: Header=BB399_410 Depth=2
	s_or_b32 exec_lo, exec_lo, s40
	s_and_saveexec_b32 s39, s38
	s_cbranch_execnz .LBB399_602
.LBB399_534:                            ;   in Loop: Header=BB399_410 Depth=2
	s_or_b32 exec_lo, exec_lo, s39
	s_and_saveexec_b32 s38, s37
	s_cbranch_execnz .LBB399_603
.LBB399_535:                            ;   in Loop: Header=BB399_410 Depth=2
	s_or_b32 exec_lo, exec_lo, s38
	s_and_saveexec_b32 s37, s36
	s_cbranch_execnz .LBB399_604
.LBB399_536:                            ;   in Loop: Header=BB399_410 Depth=2
	s_or_b32 exec_lo, exec_lo, s37
	s_and_saveexec_b32 s36, s35
	s_cbranch_execnz .LBB399_605
.LBB399_537:                            ;   in Loop: Header=BB399_410 Depth=2
	s_or_b32 exec_lo, exec_lo, s36
	s_and_saveexec_b32 s35, s34
	s_cbranch_execnz .LBB399_606
.LBB399_538:                            ;   in Loop: Header=BB399_410 Depth=2
	s_or_b32 exec_lo, exec_lo, s35
	s_and_saveexec_b32 s34, s33
	s_cbranch_execnz .LBB399_607
.LBB399_539:                            ;   in Loop: Header=BB399_410 Depth=2
	s_or_b32 exec_lo, exec_lo, s34
	s_and_saveexec_b32 s33, s31
	s_cbranch_execnz .LBB399_608
.LBB399_540:                            ;   in Loop: Header=BB399_410 Depth=2
	s_or_b32 exec_lo, exec_lo, s33
	s_and_saveexec_b32 s31, s30
	s_cbranch_execnz .LBB399_609
.LBB399_541:                            ;   in Loop: Header=BB399_410 Depth=2
	s_or_b32 exec_lo, exec_lo, s31
	s_and_saveexec_b32 s30, s29
	s_cbranch_execnz .LBB399_610
.LBB399_542:                            ;   in Loop: Header=BB399_410 Depth=2
	s_or_b32 exec_lo, exec_lo, s30
	s_and_saveexec_b32 s29, s27
	s_cbranch_execnz .LBB399_611
.LBB399_543:                            ;   in Loop: Header=BB399_410 Depth=2
	s_or_b32 exec_lo, exec_lo, s29
	s_and_saveexec_b32 s27, s26
	s_cbranch_execnz .LBB399_612
.LBB399_544:                            ;   in Loop: Header=BB399_410 Depth=2
	s_or_b32 exec_lo, exec_lo, s27
	s_and_saveexec_b32 s26, s25
	s_cbranch_execnz .LBB399_613
.LBB399_545:                            ;   in Loop: Header=BB399_410 Depth=2
	s_or_b32 exec_lo, exec_lo, s26
	s_and_saveexec_b32 s25, s24
	s_cbranch_execnz .LBB399_614
.LBB399_546:                            ;   in Loop: Header=BB399_410 Depth=2
	s_or_b32 exec_lo, exec_lo, s25
	s_and_saveexec_b32 s24, s23
	s_cbranch_execnz .LBB399_615
.LBB399_547:                            ;   in Loop: Header=BB399_410 Depth=2
	s_or_b32 exec_lo, exec_lo, s24
	s_and_saveexec_b32 s23, s22
	s_cbranch_execnz .LBB399_616
.LBB399_548:                            ;   in Loop: Header=BB399_410 Depth=2
	s_or_b32 exec_lo, exec_lo, s23
	s_and_saveexec_b32 s22, vcc_lo
	s_cbranch_execz .LBB399_550
.LBB399_549:                            ;   in Loop: Header=BB399_410 Depth=2
	v_lshlrev_b32_e32 v3, 2, v118
	v_add_nc_u32_e32 v39, v0, v75
	ds_read_b32 v3, v3
	ds_read_b64 v[39:40], v39 offset:33280
	s_waitcnt lgkmcnt(1)
	v_add_nc_u32_e32 v3, v3, v61
	v_lshlrev_b64 v[41:42], 3, v[3:4]
	v_add_co_u32 v41, vcc_lo, s54, v41
	v_add_co_ci_u32_e64 v42, null, s55, v42, vcc_lo
	s_waitcnt lgkmcnt(0)
	global_store_dwordx2 v[41:42], v[39:40], off
.LBB399_550:                            ;   in Loop: Header=BB399_410 Depth=2
	s_or_b32 exec_lo, exec_lo, s22
	s_waitcnt_vscnt null, 0x0
	s_barrier
	buffer_gl0_inv
	s_and_saveexec_b32 s22, s7
	s_cbranch_execz .LBB399_409
; %bb.551:                              ;   in Loop: Header=BB399_410 Depth=2
	ds_read_b32 v3, v43
	s_waitcnt lgkmcnt(0)
	v_add3_u32 v3, v135, v136, v3
	ds_write_b32 v43, v3
	s_branch .LBB399_409
.LBB399_552:                            ;   in Loop: Header=BB399_410 Depth=2
	ds_read_u8 v39, v0 offset:512
	s_waitcnt lgkmcnt(0)
	v_lshrrev_b32_sdwa v40, s61, v39 dst_sel:DWORD dst_unused:UNUSED_PAD src0_sel:DWORD src1_sel:BYTE_0
	v_xor_b32_e32 v39, 0x80, v39
	v_and_b32_e32 v40, s62, v40
	v_lshlrev_b32_e32 v40, 2, v40
	ds_read_b32 v40, v40
	s_waitcnt lgkmcnt(0)
	v_add_nc_u32_e32 v40, v40, v0
	global_store_byte v40, v39, s[48:49]
	s_or_b32 exec_lo, exec_lo, s22
	v_cmp_lt_u32_e64 s38, v44, v138
	s_and_saveexec_b32 s22, s38
	s_cbranch_execz .LBB399_481
.LBB399_553:                            ;   in Loop: Header=BB399_410 Depth=2
	ds_read_u8 v39, v0 offset:768
	s_waitcnt lgkmcnt(0)
	v_lshrrev_b32_sdwa v40, s61, v39 dst_sel:DWORD dst_unused:UNUSED_PAD src0_sel:DWORD src1_sel:BYTE_0
	v_xor_b32_e32 v39, 0x80, v39
	v_and_b32_e32 v40, s62, v40
	v_lshlrev_b32_e32 v40, 2, v40
	ds_read_b32 v40, v40
	s_waitcnt lgkmcnt(0)
	v_add_nc_u32_e32 v40, v40, v44
	global_store_byte v40, v39, s[48:49]
	s_or_b32 exec_lo, exec_lo, s22
	v_cmp_lt_u32_e64 s37, v47, v138
	s_and_saveexec_b32 s22, s37
	s_cbranch_execz .LBB399_482
.LBB399_554:                            ;   in Loop: Header=BB399_410 Depth=2
	ds_read_u8 v39, v0 offset:1024
	s_waitcnt lgkmcnt(0)
	v_lshrrev_b32_sdwa v40, s61, v39 dst_sel:DWORD dst_unused:UNUSED_PAD src0_sel:DWORD src1_sel:BYTE_0
	v_xor_b32_e32 v39, 0x80, v39
	v_and_b32_e32 v40, s62, v40
	v_lshlrev_b32_e32 v40, 2, v40
	ds_read_b32 v40, v40
	s_waitcnt lgkmcnt(0)
	v_add_nc_u32_e32 v40, v40, v47
	global_store_byte v40, v39, s[48:49]
	s_or_b32 exec_lo, exec_lo, s22
	v_cmp_lt_u32_e64 s36, v48, v138
	s_and_saveexec_b32 s22, s36
	s_cbranch_execz .LBB399_483
.LBB399_555:                            ;   in Loop: Header=BB399_410 Depth=2
	ds_read_u8 v39, v0 offset:1280
	s_waitcnt lgkmcnt(0)
	v_lshrrev_b32_sdwa v40, s61, v39 dst_sel:DWORD dst_unused:UNUSED_PAD src0_sel:DWORD src1_sel:BYTE_0
	v_xor_b32_e32 v39, 0x80, v39
	v_and_b32_e32 v40, s62, v40
	v_lshlrev_b32_e32 v40, 2, v40
	ds_read_b32 v40, v40
	s_waitcnt lgkmcnt(0)
	v_add_nc_u32_e32 v40, v40, v48
	global_store_byte v40, v39, s[48:49]
	s_or_b32 exec_lo, exec_lo, s22
	v_cmp_lt_u32_e64 s35, v49, v138
	s_and_saveexec_b32 s22, s35
	s_cbranch_execz .LBB399_484
.LBB399_556:                            ;   in Loop: Header=BB399_410 Depth=2
	ds_read_u8 v39, v0 offset:1536
	s_waitcnt lgkmcnt(0)
	v_lshrrev_b32_sdwa v40, s61, v39 dst_sel:DWORD dst_unused:UNUSED_PAD src0_sel:DWORD src1_sel:BYTE_0
	v_xor_b32_e32 v39, 0x80, v39
	v_and_b32_e32 v40, s62, v40
	v_lshlrev_b32_e32 v40, 2, v40
	ds_read_b32 v40, v40
	s_waitcnt lgkmcnt(0)
	v_add_nc_u32_e32 v40, v40, v49
	global_store_byte v40, v39, s[48:49]
	s_or_b32 exec_lo, exec_lo, s22
	v_cmp_lt_u32_e64 s34, v50, v138
	s_and_saveexec_b32 s22, s34
	s_cbranch_execz .LBB399_485
.LBB399_557:                            ;   in Loop: Header=BB399_410 Depth=2
	ds_read_u8 v39, v0 offset:1792
	s_waitcnt lgkmcnt(0)
	v_lshrrev_b32_sdwa v40, s61, v39 dst_sel:DWORD dst_unused:UNUSED_PAD src0_sel:DWORD src1_sel:BYTE_0
	v_xor_b32_e32 v39, 0x80, v39
	v_and_b32_e32 v40, s62, v40
	v_lshlrev_b32_e32 v40, 2, v40
	ds_read_b32 v40, v40
	s_waitcnt lgkmcnt(0)
	v_add_nc_u32_e32 v40, v40, v50
	global_store_byte v40, v39, s[48:49]
	s_or_b32 exec_lo, exec_lo, s22
	v_cmp_lt_u32_e64 s33, v51, v138
	s_and_saveexec_b32 s22, s33
	s_cbranch_execz .LBB399_486
.LBB399_558:                            ;   in Loop: Header=BB399_410 Depth=2
	ds_read_u8 v39, v0 offset:2048
	s_waitcnt lgkmcnt(0)
	v_lshrrev_b32_sdwa v40, s61, v39 dst_sel:DWORD dst_unused:UNUSED_PAD src0_sel:DWORD src1_sel:BYTE_0
	v_xor_b32_e32 v39, 0x80, v39
	v_and_b32_e32 v40, s62, v40
	v_lshlrev_b32_e32 v40, 2, v40
	ds_read_b32 v40, v40
	s_waitcnt lgkmcnt(0)
	v_add_nc_u32_e32 v40, v40, v51
	global_store_byte v40, v39, s[48:49]
	s_or_b32 exec_lo, exec_lo, s22
	v_cmp_lt_u32_e64 s31, v52, v138
	s_and_saveexec_b32 s22, s31
	s_cbranch_execz .LBB399_487
.LBB399_559:                            ;   in Loop: Header=BB399_410 Depth=2
	ds_read_u8 v39, v0 offset:2304
	s_waitcnt lgkmcnt(0)
	v_lshrrev_b32_sdwa v40, s61, v39 dst_sel:DWORD dst_unused:UNUSED_PAD src0_sel:DWORD src1_sel:BYTE_0
	v_xor_b32_e32 v39, 0x80, v39
	v_and_b32_e32 v40, s62, v40
	v_lshlrev_b32_e32 v40, 2, v40
	ds_read_b32 v40, v40
	s_waitcnt lgkmcnt(0)
	v_add_nc_u32_e32 v40, v40, v52
	global_store_byte v40, v39, s[48:49]
	s_or_b32 exec_lo, exec_lo, s22
	v_cmp_lt_u32_e64 s30, v53, v138
	s_and_saveexec_b32 s22, s30
	s_cbranch_execz .LBB399_488
.LBB399_560:                            ;   in Loop: Header=BB399_410 Depth=2
	ds_read_u8 v39, v0 offset:2560
	s_waitcnt lgkmcnt(0)
	v_lshrrev_b32_sdwa v40, s61, v39 dst_sel:DWORD dst_unused:UNUSED_PAD src0_sel:DWORD src1_sel:BYTE_0
	v_xor_b32_e32 v39, 0x80, v39
	v_and_b32_e32 v40, s62, v40
	v_lshlrev_b32_e32 v40, 2, v40
	ds_read_b32 v40, v40
	s_waitcnt lgkmcnt(0)
	v_add_nc_u32_e32 v40, v40, v53
	global_store_byte v40, v39, s[48:49]
	s_or_b32 exec_lo, exec_lo, s22
	v_cmp_lt_u32_e64 s29, v54, v138
	s_and_saveexec_b32 s22, s29
	s_cbranch_execz .LBB399_489
.LBB399_561:                            ;   in Loop: Header=BB399_410 Depth=2
	ds_read_u8 v39, v0 offset:2816
	s_waitcnt lgkmcnt(0)
	v_lshrrev_b32_sdwa v40, s61, v39 dst_sel:DWORD dst_unused:UNUSED_PAD src0_sel:DWORD src1_sel:BYTE_0
	v_xor_b32_e32 v39, 0x80, v39
	v_and_b32_e32 v40, s62, v40
	v_lshlrev_b32_e32 v40, 2, v40
	ds_read_b32 v40, v40
	s_waitcnt lgkmcnt(0)
	v_add_nc_u32_e32 v40, v40, v54
	global_store_byte v40, v39, s[48:49]
	s_or_b32 exec_lo, exec_lo, s22
	v_cmp_lt_u32_e64 s27, v55, v138
	s_and_saveexec_b32 s22, s27
	s_cbranch_execz .LBB399_490
.LBB399_562:                            ;   in Loop: Header=BB399_410 Depth=2
	ds_read_u8 v39, v0 offset:3072
	s_waitcnt lgkmcnt(0)
	v_lshrrev_b32_sdwa v40, s61, v39 dst_sel:DWORD dst_unused:UNUSED_PAD src0_sel:DWORD src1_sel:BYTE_0
	v_xor_b32_e32 v39, 0x80, v39
	v_and_b32_e32 v40, s62, v40
	v_lshlrev_b32_e32 v40, 2, v40
	ds_read_b32 v40, v40
	s_waitcnt lgkmcnt(0)
	v_add_nc_u32_e32 v40, v40, v55
	global_store_byte v40, v39, s[48:49]
	s_or_b32 exec_lo, exec_lo, s22
	v_cmp_lt_u32_e64 s26, v56, v138
	s_and_saveexec_b32 s22, s26
	s_cbranch_execz .LBB399_491
.LBB399_563:                            ;   in Loop: Header=BB399_410 Depth=2
	ds_read_u8 v39, v0 offset:3328
	s_waitcnt lgkmcnt(0)
	v_lshrrev_b32_sdwa v40, s61, v39 dst_sel:DWORD dst_unused:UNUSED_PAD src0_sel:DWORD src1_sel:BYTE_0
	v_xor_b32_e32 v39, 0x80, v39
	v_and_b32_e32 v40, s62, v40
	v_lshlrev_b32_e32 v40, 2, v40
	ds_read_b32 v40, v40
	s_waitcnt lgkmcnt(0)
	v_add_nc_u32_e32 v40, v40, v56
	global_store_byte v40, v39, s[48:49]
	s_or_b32 exec_lo, exec_lo, s22
	v_cmp_lt_u32_e64 s25, v57, v138
	s_and_saveexec_b32 s22, s25
	s_cbranch_execz .LBB399_492
.LBB399_564:                            ;   in Loop: Header=BB399_410 Depth=2
	ds_read_u8 v39, v0 offset:3584
	s_waitcnt lgkmcnt(0)
	v_lshrrev_b32_sdwa v40, s61, v39 dst_sel:DWORD dst_unused:UNUSED_PAD src0_sel:DWORD src1_sel:BYTE_0
	v_xor_b32_e32 v39, 0x80, v39
	v_and_b32_e32 v40, s62, v40
	v_lshlrev_b32_e32 v40, 2, v40
	ds_read_b32 v40, v40
	s_waitcnt lgkmcnt(0)
	v_add_nc_u32_e32 v40, v40, v57
	global_store_byte v40, v39, s[48:49]
	s_or_b32 exec_lo, exec_lo, s22
	v_cmp_lt_u32_e64 s24, v58, v138
	s_and_saveexec_b32 s22, s24
	s_cbranch_execz .LBB399_493
.LBB399_565:                            ;   in Loop: Header=BB399_410 Depth=2
	ds_read_u8 v39, v0 offset:3840
	s_waitcnt lgkmcnt(0)
	v_lshrrev_b32_sdwa v40, s61, v39 dst_sel:DWORD dst_unused:UNUSED_PAD src0_sel:DWORD src1_sel:BYTE_0
	v_xor_b32_e32 v39, 0x80, v39
	v_and_b32_e32 v40, s62, v40
	v_lshlrev_b32_e32 v40, 2, v40
	ds_read_b32 v40, v40
	s_waitcnt lgkmcnt(0)
	v_add_nc_u32_e32 v40, v40, v58
	global_store_byte v40, v39, s[48:49]
	s_or_b32 exec_lo, exec_lo, s22
	v_cmp_lt_u32_e64 s23, v59, v138
	s_and_saveexec_b32 s22, s23
	s_cbranch_execz .LBB399_494
.LBB399_566:                            ;   in Loop: Header=BB399_410 Depth=2
	ds_read_u8 v39, v0 offset:4096
	s_waitcnt lgkmcnt(0)
	v_lshrrev_b32_sdwa v40, s61, v39 dst_sel:DWORD dst_unused:UNUSED_PAD src0_sel:DWORD src1_sel:BYTE_0
	v_xor_b32_e32 v39, 0x80, v39
	v_and_b32_e32 v40, s62, v40
	v_lshlrev_b32_e32 v40, 2, v40
	ds_read_b32 v40, v40
	s_waitcnt lgkmcnt(0)
	v_add_nc_u32_e32 v40, v40, v59
	global_store_byte v40, v39, s[48:49]
	s_or_b32 exec_lo, exec_lo, s22
	v_cmp_lt_u32_e64 s22, v60, v138
	s_and_saveexec_b32 s40, s22
	s_cbranch_execz .LBB399_495
.LBB399_567:                            ;   in Loop: Header=BB399_410 Depth=2
	ds_read_u8 v39, v0 offset:4352
	s_waitcnt lgkmcnt(0)
	v_lshrrev_b32_sdwa v40, s61, v39 dst_sel:DWORD dst_unused:UNUSED_PAD src0_sel:DWORD src1_sel:BYTE_0
	v_xor_b32_e32 v39, 0x80, v39
	v_and_b32_e32 v40, s62, v40
	v_lshlrev_b32_e32 v40, 2, v40
	ds_read_b32 v40, v40
	s_waitcnt lgkmcnt(0)
	v_add_nc_u32_e32 v40, v40, v60
	global_store_byte v40, v39, s[48:49]
	s_or_b32 exec_lo, exec_lo, s40
	v_cmp_lt_u32_e32 vcc_lo, v61, v138
	s_and_saveexec_b32 s40, vcc_lo
	s_cbranch_execnz .LBB399_496
	s_branch .LBB399_497
.LBB399_568:                            ;   in Loop: Header=BB399_410 Depth=2
	global_load_dwordx2 v[37:38], v[39:40], off
	s_or_b32 exec_lo, exec_lo, s40
	s_mov_b32 s50, exec_lo
	v_cmpx_lt_u32_e64 v100, v138
	s_cbranch_execz .LBB399_499
.LBB399_569:                            ;   in Loop: Header=BB399_410 Depth=2
	global_load_dwordx2 v[35:36], v[39:40], off offset:256
	s_or_b32 exec_lo, exec_lo, s50
	s_mov_b32 s50, exec_lo
	v_cmpx_lt_u32_e64 v101, v138
	s_cbranch_execz .LBB399_500
.LBB399_570:                            ;   in Loop: Header=BB399_410 Depth=2
	global_load_dwordx2 v[33:34], v[39:40], off offset:512
	s_or_b32 exec_lo, exec_lo, s50
	s_mov_b32 s50, exec_lo
	v_cmpx_lt_u32_e64 v102, v138
	s_cbranch_execz .LBB399_501
.LBB399_571:                            ;   in Loop: Header=BB399_410 Depth=2
	global_load_dwordx2 v[31:32], v[39:40], off offset:768
	s_or_b32 exec_lo, exec_lo, s50
	s_mov_b32 s50, exec_lo
	v_cmpx_lt_u32_e64 v103, v138
	s_cbranch_execz .LBB399_502
.LBB399_572:                            ;   in Loop: Header=BB399_410 Depth=2
	global_load_dwordx2 v[29:30], v[39:40], off offset:1024
	s_or_b32 exec_lo, exec_lo, s50
	s_mov_b32 s50, exec_lo
	v_cmpx_lt_u32_e64 v104, v138
	s_cbranch_execz .LBB399_503
.LBB399_573:                            ;   in Loop: Header=BB399_410 Depth=2
	global_load_dwordx2 v[25:26], v[39:40], off offset:1280
	s_or_b32 exec_lo, exec_lo, s50
	s_mov_b32 s50, exec_lo
	v_cmpx_lt_u32_e64 v105, v138
	s_cbranch_execz .LBB399_504
.LBB399_574:                            ;   in Loop: Header=BB399_410 Depth=2
	global_load_dwordx2 v[21:22], v[39:40], off offset:1536
	s_or_b32 exec_lo, exec_lo, s50
	s_mov_b32 s50, exec_lo
	v_cmpx_lt_u32_e64 v106, v138
	s_cbranch_execz .LBB399_505
.LBB399_575:                            ;   in Loop: Header=BB399_410 Depth=2
	global_load_dwordx2 v[17:18], v[39:40], off offset:1792
	s_or_b32 exec_lo, exec_lo, s50
	s_mov_b32 s50, exec_lo
	v_cmpx_lt_u32_e64 v107, v138
	s_cbranch_execz .LBB399_506
.LBB399_576:                            ;   in Loop: Header=BB399_410 Depth=2
	v_add_co_u32 v27, s40, 0x800, v39
	v_add_co_ci_u32_e64 v28, null, 0, v40, s40
	global_load_dwordx2 v[27:28], v[27:28], off
	s_or_b32 exec_lo, exec_lo, s50
	s_mov_b32 s50, exec_lo
	v_cmpx_lt_u32_e64 v108, v138
	s_cbranch_execz .LBB399_507
.LBB399_577:                            ;   in Loop: Header=BB399_410 Depth=2
	v_add_co_u32 v23, s40, 0x800, v39
	v_add_co_ci_u32_e64 v24, null, 0, v40, s40
	global_load_dwordx2 v[23:24], v[23:24], off offset:256
	s_or_b32 exec_lo, exec_lo, s50
	s_mov_b32 s50, exec_lo
	v_cmpx_lt_u32_e64 v109, v138
	s_cbranch_execz .LBB399_508
.LBB399_578:                            ;   in Loop: Header=BB399_410 Depth=2
	v_add_co_u32 v19, s40, 0x800, v39
	v_add_co_ci_u32_e64 v20, null, 0, v40, s40
	global_load_dwordx2 v[19:20], v[19:20], off offset:512
	s_or_b32 exec_lo, exec_lo, s50
	s_mov_b32 s50, exec_lo
	v_cmpx_lt_u32_e64 v110, v138
	s_cbranch_execz .LBB399_509
.LBB399_579:                            ;   in Loop: Header=BB399_410 Depth=2
	v_add_co_u32 v15, s40, 0x800, v39
	v_add_co_ci_u32_e64 v16, null, 0, v40, s40
	global_load_dwordx2 v[15:16], v[15:16], off offset:768
	s_or_b32 exec_lo, exec_lo, s50
	s_mov_b32 s50, exec_lo
	v_cmpx_lt_u32_e64 v111, v138
	s_cbranch_execz .LBB399_510
.LBB399_580:                            ;   in Loop: Header=BB399_410 Depth=2
	v_add_co_u32 v13, s40, 0x800, v39
	v_add_co_ci_u32_e64 v14, null, 0, v40, s40
	global_load_dwordx2 v[13:14], v[13:14], off offset:1024
	s_or_b32 exec_lo, exec_lo, s50
	s_mov_b32 s50, exec_lo
	v_cmpx_lt_u32_e64 v112, v138
	s_cbranch_execz .LBB399_511
.LBB399_581:                            ;   in Loop: Header=BB399_410 Depth=2
	v_add_co_u32 v11, s40, 0x800, v39
	v_add_co_ci_u32_e64 v12, null, 0, v40, s40
	global_load_dwordx2 v[11:12], v[11:12], off offset:1280
	s_or_b32 exec_lo, exec_lo, s50
	s_mov_b32 s50, exec_lo
	v_cmpx_lt_u32_e64 v113, v138
	s_cbranch_execz .LBB399_512
.LBB399_582:                            ;   in Loop: Header=BB399_410 Depth=2
	v_add_co_u32 v9, s40, 0x800, v39
	v_add_co_ci_u32_e64 v10, null, 0, v40, s40
	global_load_dwordx2 v[9:10], v[9:10], off offset:1536
	s_or_b32 exec_lo, exec_lo, s50
	s_mov_b32 s50, exec_lo
	v_cmpx_lt_u32_e64 v114, v138
	s_cbranch_execz .LBB399_513
.LBB399_583:                            ;   in Loop: Header=BB399_410 Depth=2
	v_add_co_u32 v7, s40, 0x800, v39
	v_add_co_ci_u32_e64 v8, null, 0, v40, s40
	global_load_dwordx2 v[7:8], v[7:8], off offset:1792
	s_or_b32 exec_lo, exec_lo, s50
	s_mov_b32 s50, exec_lo
	v_cmpx_lt_u32_e64 v115, v138
	s_cbranch_execz .LBB399_514
.LBB399_584:                            ;   in Loop: Header=BB399_410 Depth=2
	v_add_co_u32 v5, s40, 0x1000, v39
	v_add_co_ci_u32_e64 v6, null, 0, v40, s40
	global_load_dwordx2 v[5:6], v[5:6], off
	s_or_b32 exec_lo, exec_lo, s50
	s_and_saveexec_b32 s40, s39
	s_cbranch_execz .LBB399_515
.LBB399_585:                            ;   in Loop: Header=BB399_410 Depth=2
	ds_read_u8 v39, v0 offset:512
	s_waitcnt lgkmcnt(0)
	v_lshrrev_b32_e32 v39, s61, v39
	v_and_b32_e32 v134, s62, v39
	s_or_b32 exec_lo, exec_lo, s40
	s_and_saveexec_b32 s40, s38
	s_cbranch_execz .LBB399_516
.LBB399_586:                            ;   in Loop: Header=BB399_410 Depth=2
	ds_read_u8 v39, v0 offset:768
	s_waitcnt lgkmcnt(0)
	v_lshrrev_b32_e32 v39, s61, v39
	v_and_b32_e32 v133, s62, v39
	s_or_b32 exec_lo, exec_lo, s40
	s_and_saveexec_b32 s40, s37
	s_cbranch_execz .LBB399_517
.LBB399_587:                            ;   in Loop: Header=BB399_410 Depth=2
	ds_read_u8 v39, v0 offset:1024
	s_waitcnt lgkmcnt(0)
	v_lshrrev_b32_e32 v39, s61, v39
	v_and_b32_e32 v132, s62, v39
	s_or_b32 exec_lo, exec_lo, s40
	s_and_saveexec_b32 s40, s36
	s_cbranch_execz .LBB399_518
.LBB399_588:                            ;   in Loop: Header=BB399_410 Depth=2
	ds_read_u8 v39, v0 offset:1280
	s_waitcnt lgkmcnt(0)
	v_lshrrev_b32_e32 v39, s61, v39
	v_and_b32_e32 v131, s62, v39
	s_or_b32 exec_lo, exec_lo, s40
	s_and_saveexec_b32 s40, s35
	s_cbranch_execz .LBB399_519
.LBB399_589:                            ;   in Loop: Header=BB399_410 Depth=2
	ds_read_u8 v39, v0 offset:1536
	s_waitcnt lgkmcnt(0)
	v_lshrrev_b32_e32 v39, s61, v39
	v_and_b32_e32 v130, s62, v39
	s_or_b32 exec_lo, exec_lo, s40
	s_and_saveexec_b32 s40, s34
	s_cbranch_execz .LBB399_520
.LBB399_590:                            ;   in Loop: Header=BB399_410 Depth=2
	ds_read_u8 v39, v0 offset:1792
	s_waitcnt lgkmcnt(0)
	v_lshrrev_b32_e32 v39, s61, v39
	v_and_b32_e32 v129, s62, v39
	s_or_b32 exec_lo, exec_lo, s40
	s_and_saveexec_b32 s40, s33
	s_cbranch_execz .LBB399_521
.LBB399_591:                            ;   in Loop: Header=BB399_410 Depth=2
	ds_read_u8 v39, v0 offset:2048
	s_waitcnt lgkmcnt(0)
	v_lshrrev_b32_e32 v39, s61, v39
	v_and_b32_e32 v128, s62, v39
	s_or_b32 exec_lo, exec_lo, s40
	s_and_saveexec_b32 s40, s31
	s_cbranch_execz .LBB399_522
.LBB399_592:                            ;   in Loop: Header=BB399_410 Depth=2
	ds_read_u8 v39, v0 offset:2304
	s_waitcnt lgkmcnt(0)
	v_lshrrev_b32_e32 v39, s61, v39
	v_and_b32_e32 v127, s62, v39
	s_or_b32 exec_lo, exec_lo, s40
	s_and_saveexec_b32 s40, s30
	s_cbranch_execz .LBB399_523
.LBB399_593:                            ;   in Loop: Header=BB399_410 Depth=2
	ds_read_u8 v39, v0 offset:2560
	s_waitcnt lgkmcnt(0)
	v_lshrrev_b32_e32 v39, s61, v39
	v_and_b32_e32 v126, s62, v39
	s_or_b32 exec_lo, exec_lo, s40
	s_and_saveexec_b32 s40, s29
	s_cbranch_execz .LBB399_524
.LBB399_594:                            ;   in Loop: Header=BB399_410 Depth=2
	ds_read_u8 v39, v0 offset:2816
	s_waitcnt lgkmcnt(0)
	v_lshrrev_b32_e32 v39, s61, v39
	v_and_b32_e32 v125, s62, v39
	s_or_b32 exec_lo, exec_lo, s40
	s_and_saveexec_b32 s40, s27
	s_cbranch_execz .LBB399_525
.LBB399_595:                            ;   in Loop: Header=BB399_410 Depth=2
	ds_read_u8 v39, v0 offset:3072
	s_waitcnt lgkmcnt(0)
	v_lshrrev_b32_e32 v39, s61, v39
	v_and_b32_e32 v124, s62, v39
	s_or_b32 exec_lo, exec_lo, s40
	s_and_saveexec_b32 s40, s26
	s_cbranch_execz .LBB399_526
.LBB399_596:                            ;   in Loop: Header=BB399_410 Depth=2
	ds_read_u8 v39, v0 offset:3328
	s_waitcnt lgkmcnt(0)
	v_lshrrev_b32_e32 v39, s61, v39
	v_and_b32_e32 v123, s62, v39
	s_or_b32 exec_lo, exec_lo, s40
	s_and_saveexec_b32 s40, s25
	s_cbranch_execz .LBB399_527
.LBB399_597:                            ;   in Loop: Header=BB399_410 Depth=2
	ds_read_u8 v39, v0 offset:3584
	s_waitcnt lgkmcnt(0)
	v_lshrrev_b32_e32 v39, s61, v39
	v_and_b32_e32 v122, s62, v39
	s_or_b32 exec_lo, exec_lo, s40
	s_and_saveexec_b32 s40, s24
	s_cbranch_execz .LBB399_528
.LBB399_598:                            ;   in Loop: Header=BB399_410 Depth=2
	ds_read_u8 v39, v0 offset:3840
	s_waitcnt lgkmcnt(0)
	v_lshrrev_b32_e32 v39, s61, v39
	v_and_b32_e32 v121, s62, v39
	s_or_b32 exec_lo, exec_lo, s40
	s_and_saveexec_b32 s40, s23
	s_cbranch_execz .LBB399_529
.LBB399_599:                            ;   in Loop: Header=BB399_410 Depth=2
	ds_read_u8 v39, v0 offset:4096
	s_waitcnt lgkmcnt(0)
	v_lshrrev_b32_e32 v39, s61, v39
	v_and_b32_e32 v120, s62, v39
	s_or_b32 exec_lo, exec_lo, s40
	s_and_saveexec_b32 s40, s22
	s_cbranch_execz .LBB399_530
.LBB399_600:                            ;   in Loop: Header=BB399_410 Depth=2
	ds_read_u8 v39, v0 offset:4352
	s_waitcnt lgkmcnt(0)
	v_lshrrev_b32_e32 v39, s61, v39
	v_and_b32_e32 v119, s62, v39
	s_or_b32 exec_lo, exec_lo, s40
	s_and_saveexec_b32 s40, vcc_lo
	s_cbranch_execnz .LBB399_531
	s_branch .LBB399_532
.LBB399_601:                            ;   in Loop: Header=BB399_410 Depth=2
	v_lshlrev_b32_e32 v3, 2, v134
	v_add_nc_u32_e32 v39, v0, v75
	ds_read_b32 v3, v3
	ds_read_b64 v[39:40], v39 offset:512
	s_waitcnt lgkmcnt(1)
	v_add_nc_u32_e32 v3, v3, v0
	v_lshlrev_b64 v[41:42], 3, v[3:4]
	v_add_co_u32 v41, s39, s54, v41
	v_add_co_ci_u32_e64 v42, null, s55, v42, s39
	s_waitcnt lgkmcnt(0)
	global_store_dwordx2 v[41:42], v[39:40], off
	s_or_b32 exec_lo, exec_lo, s40
	s_and_saveexec_b32 s39, s38
	s_cbranch_execz .LBB399_534
.LBB399_602:                            ;   in Loop: Header=BB399_410 Depth=2
	v_lshlrev_b32_e32 v3, 2, v133
	v_add_nc_u32_e32 v39, v0, v75
	ds_read_b32 v3, v3
	ds_read_b64 v[39:40], v39 offset:2560
	s_waitcnt lgkmcnt(1)
	v_add_nc_u32_e32 v3, v3, v44
	v_lshlrev_b64 v[41:42], 3, v[3:4]
	v_add_co_u32 v41, s38, s54, v41
	v_add_co_ci_u32_e64 v42, null, s55, v42, s38
	s_waitcnt lgkmcnt(0)
	global_store_dwordx2 v[41:42], v[39:40], off
	s_or_b32 exec_lo, exec_lo, s39
	s_and_saveexec_b32 s38, s37
	s_cbranch_execz .LBB399_535
.LBB399_603:                            ;   in Loop: Header=BB399_410 Depth=2
	v_lshlrev_b32_e32 v3, 2, v132
	v_add_nc_u32_e32 v39, v0, v75
	ds_read_b32 v3, v3
	ds_read_b64 v[39:40], v39 offset:4608
	s_waitcnt lgkmcnt(1)
	v_add_nc_u32_e32 v3, v3, v47
	v_lshlrev_b64 v[41:42], 3, v[3:4]
	v_add_co_u32 v41, s37, s54, v41
	v_add_co_ci_u32_e64 v42, null, s55, v42, s37
	s_waitcnt lgkmcnt(0)
	global_store_dwordx2 v[41:42], v[39:40], off
	s_or_b32 exec_lo, exec_lo, s38
	s_and_saveexec_b32 s37, s36
	s_cbranch_execz .LBB399_536
.LBB399_604:                            ;   in Loop: Header=BB399_410 Depth=2
	v_lshlrev_b32_e32 v3, 2, v131
	v_add_nc_u32_e32 v39, v0, v75
	ds_read_b32 v3, v3
	ds_read_b64 v[39:40], v39 offset:6656
	s_waitcnt lgkmcnt(1)
	v_add_nc_u32_e32 v3, v3, v48
	v_lshlrev_b64 v[41:42], 3, v[3:4]
	v_add_co_u32 v41, s36, s54, v41
	v_add_co_ci_u32_e64 v42, null, s55, v42, s36
	s_waitcnt lgkmcnt(0)
	global_store_dwordx2 v[41:42], v[39:40], off
	s_or_b32 exec_lo, exec_lo, s37
	s_and_saveexec_b32 s36, s35
	s_cbranch_execz .LBB399_537
.LBB399_605:                            ;   in Loop: Header=BB399_410 Depth=2
	v_lshlrev_b32_e32 v3, 2, v130
	v_add_nc_u32_e32 v39, v0, v75
	ds_read_b32 v3, v3
	ds_read_b64 v[39:40], v39 offset:8704
	s_waitcnt lgkmcnt(1)
	v_add_nc_u32_e32 v3, v3, v49
	v_lshlrev_b64 v[41:42], 3, v[3:4]
	v_add_co_u32 v41, s35, s54, v41
	v_add_co_ci_u32_e64 v42, null, s55, v42, s35
	s_waitcnt lgkmcnt(0)
	global_store_dwordx2 v[41:42], v[39:40], off
	s_or_b32 exec_lo, exec_lo, s36
	s_and_saveexec_b32 s35, s34
	s_cbranch_execz .LBB399_538
.LBB399_606:                            ;   in Loop: Header=BB399_410 Depth=2
	v_lshlrev_b32_e32 v3, 2, v129
	v_add_nc_u32_e32 v39, v0, v75
	ds_read_b32 v3, v3
	ds_read_b64 v[39:40], v39 offset:10752
	s_waitcnt lgkmcnt(1)
	v_add_nc_u32_e32 v3, v3, v50
	v_lshlrev_b64 v[41:42], 3, v[3:4]
	v_add_co_u32 v41, s34, s54, v41
	v_add_co_ci_u32_e64 v42, null, s55, v42, s34
	s_waitcnt lgkmcnt(0)
	global_store_dwordx2 v[41:42], v[39:40], off
	s_or_b32 exec_lo, exec_lo, s35
	s_and_saveexec_b32 s34, s33
	s_cbranch_execz .LBB399_539
.LBB399_607:                            ;   in Loop: Header=BB399_410 Depth=2
	v_lshlrev_b32_e32 v3, 2, v128
	v_add_nc_u32_e32 v39, v0, v75
	ds_read_b32 v3, v3
	ds_read_b64 v[39:40], v39 offset:12800
	s_waitcnt lgkmcnt(1)
	v_add_nc_u32_e32 v3, v3, v51
	v_lshlrev_b64 v[41:42], 3, v[3:4]
	v_add_co_u32 v41, s33, s54, v41
	v_add_co_ci_u32_e64 v42, null, s55, v42, s33
	s_waitcnt lgkmcnt(0)
	global_store_dwordx2 v[41:42], v[39:40], off
	s_or_b32 exec_lo, exec_lo, s34
	s_and_saveexec_b32 s33, s31
	s_cbranch_execz .LBB399_540
.LBB399_608:                            ;   in Loop: Header=BB399_410 Depth=2
	v_lshlrev_b32_e32 v3, 2, v127
	v_add_nc_u32_e32 v39, v0, v75
	ds_read_b32 v3, v3
	ds_read_b64 v[39:40], v39 offset:14848
	s_waitcnt lgkmcnt(1)
	v_add_nc_u32_e32 v3, v3, v52
	v_lshlrev_b64 v[41:42], 3, v[3:4]
	v_add_co_u32 v41, s31, s54, v41
	v_add_co_ci_u32_e64 v42, null, s55, v42, s31
	s_waitcnt lgkmcnt(0)
	global_store_dwordx2 v[41:42], v[39:40], off
	s_or_b32 exec_lo, exec_lo, s33
	s_and_saveexec_b32 s31, s30
	s_cbranch_execz .LBB399_541
.LBB399_609:                            ;   in Loop: Header=BB399_410 Depth=2
	v_lshlrev_b32_e32 v3, 2, v126
	v_add_nc_u32_e32 v39, v0, v75
	ds_read_b32 v3, v3
	ds_read_b64 v[39:40], v39 offset:16896
	s_waitcnt lgkmcnt(1)
	v_add_nc_u32_e32 v3, v3, v53
	v_lshlrev_b64 v[41:42], 3, v[3:4]
	v_add_co_u32 v41, s30, s54, v41
	v_add_co_ci_u32_e64 v42, null, s55, v42, s30
	s_waitcnt lgkmcnt(0)
	global_store_dwordx2 v[41:42], v[39:40], off
	s_or_b32 exec_lo, exec_lo, s31
	s_and_saveexec_b32 s30, s29
	s_cbranch_execz .LBB399_542
.LBB399_610:                            ;   in Loop: Header=BB399_410 Depth=2
	v_lshlrev_b32_e32 v3, 2, v125
	v_add_nc_u32_e32 v39, v0, v75
	ds_read_b32 v3, v3
	ds_read_b64 v[39:40], v39 offset:18944
	s_waitcnt lgkmcnt(1)
	v_add_nc_u32_e32 v3, v3, v54
	v_lshlrev_b64 v[41:42], 3, v[3:4]
	v_add_co_u32 v41, s29, s54, v41
	v_add_co_ci_u32_e64 v42, null, s55, v42, s29
	s_waitcnt lgkmcnt(0)
	global_store_dwordx2 v[41:42], v[39:40], off
	s_or_b32 exec_lo, exec_lo, s30
	s_and_saveexec_b32 s29, s27
	s_cbranch_execz .LBB399_543
.LBB399_611:                            ;   in Loop: Header=BB399_410 Depth=2
	v_lshlrev_b32_e32 v3, 2, v124
	v_add_nc_u32_e32 v39, v0, v75
	ds_read_b32 v3, v3
	ds_read_b64 v[39:40], v39 offset:20992
	s_waitcnt lgkmcnt(1)
	v_add_nc_u32_e32 v3, v3, v55
	v_lshlrev_b64 v[41:42], 3, v[3:4]
	v_add_co_u32 v41, s27, s54, v41
	v_add_co_ci_u32_e64 v42, null, s55, v42, s27
	s_waitcnt lgkmcnt(0)
	global_store_dwordx2 v[41:42], v[39:40], off
	s_or_b32 exec_lo, exec_lo, s29
	s_and_saveexec_b32 s27, s26
	s_cbranch_execz .LBB399_544
.LBB399_612:                            ;   in Loop: Header=BB399_410 Depth=2
	v_lshlrev_b32_e32 v3, 2, v123
	v_add_nc_u32_e32 v39, v0, v75
	ds_read_b32 v3, v3
	ds_read_b64 v[39:40], v39 offset:23040
	s_waitcnt lgkmcnt(1)
	v_add_nc_u32_e32 v3, v3, v56
	v_lshlrev_b64 v[41:42], 3, v[3:4]
	v_add_co_u32 v41, s26, s54, v41
	v_add_co_ci_u32_e64 v42, null, s55, v42, s26
	s_waitcnt lgkmcnt(0)
	global_store_dwordx2 v[41:42], v[39:40], off
	s_or_b32 exec_lo, exec_lo, s27
	s_and_saveexec_b32 s26, s25
	s_cbranch_execz .LBB399_545
.LBB399_613:                            ;   in Loop: Header=BB399_410 Depth=2
	v_lshlrev_b32_e32 v3, 2, v122
	v_add_nc_u32_e32 v39, v0, v75
	ds_read_b32 v3, v3
	ds_read_b64 v[39:40], v39 offset:25088
	s_waitcnt lgkmcnt(1)
	v_add_nc_u32_e32 v3, v3, v57
	v_lshlrev_b64 v[41:42], 3, v[3:4]
	v_add_co_u32 v41, s25, s54, v41
	v_add_co_ci_u32_e64 v42, null, s55, v42, s25
	s_waitcnt lgkmcnt(0)
	global_store_dwordx2 v[41:42], v[39:40], off
	s_or_b32 exec_lo, exec_lo, s26
	s_and_saveexec_b32 s25, s24
	s_cbranch_execz .LBB399_546
.LBB399_614:                            ;   in Loop: Header=BB399_410 Depth=2
	v_lshlrev_b32_e32 v3, 2, v121
	v_add_nc_u32_e32 v39, v0, v75
	ds_read_b32 v3, v3
	ds_read_b64 v[39:40], v39 offset:27136
	s_waitcnt lgkmcnt(1)
	v_add_nc_u32_e32 v3, v3, v58
	v_lshlrev_b64 v[41:42], 3, v[3:4]
	v_add_co_u32 v41, s24, s54, v41
	v_add_co_ci_u32_e64 v42, null, s55, v42, s24
	s_waitcnt lgkmcnt(0)
	global_store_dwordx2 v[41:42], v[39:40], off
	s_or_b32 exec_lo, exec_lo, s25
	s_and_saveexec_b32 s24, s23
	s_cbranch_execz .LBB399_547
.LBB399_615:                            ;   in Loop: Header=BB399_410 Depth=2
	v_lshlrev_b32_e32 v3, 2, v120
	v_add_nc_u32_e32 v39, v0, v75
	ds_read_b32 v3, v3
	ds_read_b64 v[39:40], v39 offset:29184
	s_waitcnt lgkmcnt(1)
	v_add_nc_u32_e32 v3, v3, v59
	v_lshlrev_b64 v[41:42], 3, v[3:4]
	v_add_co_u32 v41, s23, s54, v41
	v_add_co_ci_u32_e64 v42, null, s55, v42, s23
	s_waitcnt lgkmcnt(0)
	global_store_dwordx2 v[41:42], v[39:40], off
	s_or_b32 exec_lo, exec_lo, s24
	s_and_saveexec_b32 s23, s22
	s_cbranch_execz .LBB399_548
.LBB399_616:                            ;   in Loop: Header=BB399_410 Depth=2
	v_lshlrev_b32_e32 v3, 2, v119
	v_add_nc_u32_e32 v39, v0, v75
	ds_read_b32 v3, v3
	ds_read_b64 v[39:40], v39 offset:31232
	s_waitcnt lgkmcnt(1)
	v_add_nc_u32_e32 v3, v3, v60
	v_lshlrev_b64 v[41:42], 3, v[3:4]
	v_add_co_u32 v41, s22, s54, v41
	v_add_co_ci_u32_e64 v42, null, s55, v42, s22
	s_waitcnt lgkmcnt(0)
	global_store_dwordx2 v[41:42], v[39:40], off
	s_or_b32 exec_lo, exec_lo, s23
	s_and_saveexec_b32 s22, vcc_lo
	s_cbranch_execnz .LBB399_549
	s_branch .LBB399_550
.LBB399_617:                            ;   in Loop: Header=BB399_410 Depth=2
	global_load_ubyte v146, v[39:40], off
	v_mov_b32_e32 v117, 0x7f
	v_mov_b32_e32 v147, 0x7f
	;; [unrolled: 1-line block ×16, first 2 shown]
	s_or_b32 exec_lo, exec_lo, s22
	s_mov_b32 s22, exec_lo
	v_cmpx_gt_u32_e64 s63, v100
	s_cbranch_execz .LBB399_415
.LBB399_618:                            ;   in Loop: Header=BB399_410 Depth=2
	global_load_ubyte v147, v[39:40], off offset:32
	s_or_b32 exec_lo, exec_lo, s22
	s_mov_b32 s22, exec_lo
	v_cmpx_gt_u32_e64 s63, v101
	s_cbranch_execz .LBB399_416
.LBB399_619:                            ;   in Loop: Header=BB399_410 Depth=2
	global_load_ubyte v148, v[39:40], off offset:64
	s_or_b32 exec_lo, exec_lo, s22
	s_mov_b32 s22, exec_lo
	v_cmpx_gt_u32_e64 s63, v102
	s_cbranch_execz .LBB399_417
.LBB399_620:                            ;   in Loop: Header=BB399_410 Depth=2
	global_load_ubyte v151, v[39:40], off offset:96
	s_or_b32 exec_lo, exec_lo, s22
	s_mov_b32 s22, exec_lo
	v_cmpx_gt_u32_e64 s63, v103
	s_cbranch_execz .LBB399_418
.LBB399_621:                            ;   in Loop: Header=BB399_410 Depth=2
	global_load_ubyte v150, v[39:40], off offset:128
	s_or_b32 exec_lo, exec_lo, s22
	s_mov_b32 s22, exec_lo
	v_cmpx_gt_u32_e64 s63, v104
	s_cbranch_execz .LBB399_419
.LBB399_622:                            ;   in Loop: Header=BB399_410 Depth=2
	global_load_ubyte v143, v[39:40], off offset:160
	s_or_b32 exec_lo, exec_lo, s22
	s_mov_b32 s22, exec_lo
	v_cmpx_gt_u32_e64 s63, v105
	s_cbranch_execz .LBB399_420
.LBB399_623:                            ;   in Loop: Header=BB399_410 Depth=2
	global_load_ubyte v144, v[39:40], off offset:192
	s_or_b32 exec_lo, exec_lo, s22
	s_mov_b32 s22, exec_lo
	v_cmpx_gt_u32_e64 s63, v106
	s_cbranch_execz .LBB399_421
.LBB399_624:                            ;   in Loop: Header=BB399_410 Depth=2
	global_load_ubyte v145, v[39:40], off offset:224
	s_or_b32 exec_lo, exec_lo, s22
	s_mov_b32 s22, exec_lo
	v_cmpx_gt_u32_e64 s63, v107
	s_cbranch_execz .LBB399_422
.LBB399_625:                            ;   in Loop: Header=BB399_410 Depth=2
	global_load_ubyte v142, v[39:40], off offset:256
	s_or_b32 exec_lo, exec_lo, s22
	s_mov_b32 s22, exec_lo
	v_cmpx_gt_u32_e64 s63, v108
	s_cbranch_execz .LBB399_423
.LBB399_626:                            ;   in Loop: Header=BB399_410 Depth=2
	global_load_ubyte v139, v[39:40], off offset:288
	s_or_b32 exec_lo, exec_lo, s22
	s_mov_b32 s22, exec_lo
	v_cmpx_gt_u32_e64 s63, v109
	s_cbranch_execz .LBB399_424
.LBB399_627:                            ;   in Loop: Header=BB399_410 Depth=2
	global_load_ubyte v140, v[39:40], off offset:320
	s_or_b32 exec_lo, exec_lo, s22
	s_mov_b32 s22, exec_lo
	v_cmpx_gt_u32_e64 s63, v110
	s_cbranch_execz .LBB399_425
.LBB399_628:                            ;   in Loop: Header=BB399_410 Depth=2
	global_load_ubyte v141, v[39:40], off offset:352
	s_or_b32 exec_lo, exec_lo, s22
	s_mov_b32 s22, exec_lo
	v_cmpx_gt_u32_e64 s63, v111
	s_cbranch_execz .LBB399_426
.LBB399_629:                            ;   in Loop: Header=BB399_410 Depth=2
	global_load_ubyte v137, v[39:40], off offset:384
	s_or_b32 exec_lo, exec_lo, s22
	s_mov_b32 s22, exec_lo
	v_cmpx_gt_u32_e64 s63, v112
	s_cbranch_execz .LBB399_427
.LBB399_630:                            ;   in Loop: Header=BB399_410 Depth=2
	global_load_ubyte v3, v[39:40], off offset:416
	s_or_b32 exec_lo, exec_lo, s22
	s_mov_b32 s22, exec_lo
	v_cmpx_gt_u32_e64 s63, v113
	s_cbranch_execz .LBB399_428
.LBB399_631:                            ;   in Loop: Header=BB399_410 Depth=2
	global_load_ubyte v41, v[39:40], off offset:448
	s_or_b32 exec_lo, exec_lo, s22
	s_mov_b32 s22, exec_lo
	v_cmpx_gt_u32_e64 s63, v114
	s_cbranch_execnz .LBB399_429
	s_branch .LBB399_430
.LBB399_632:                            ;   in Loop: Header=BB399_12 Depth=1
	s_waitcnt lgkmcnt(0)
	s_barrier
.LBB399_633:                            ;   in Loop: Header=BB399_12 Depth=1
	s_mov_b32 s5, 0
.LBB399_634:                            ;   in Loop: Header=BB399_12 Depth=1
	s_andn2_b32 vcc_lo, exec_lo, s5
	s_cbranch_vccnz .LBB399_11
; %bb.635:                              ;   in Loop: Header=BB399_12 Depth=1
	s_and_b32 vcc_lo, exec_lo, s43
	s_mov_b32 s5, -1
	s_cbranch_vccz .LBB399_945
; %bb.636:                              ;   in Loop: Header=BB399_12 Depth=1
	v_mov_b32_e32 v17, 0
	v_mov_b32_e32 v20, 0
	;; [unrolled: 1-line block ×17, first 2 shown]
	s_mov_b32 s5, s60
	s_mov_b32 s16, s58
	s_barrier
	buffer_gl0_inv
	s_branch .LBB399_638
.LBB399_637:                            ;   in Loop: Header=BB399_638 Depth=2
	s_or_b32 exec_lo, exec_lo, s15
	s_addk_i32 s5, 0xef00
	s_cmp_ge_u32 s14, s59
	s_mov_b32 s16, s14
	s_cbranch_scc1 .LBB399_710
.LBB399_638:                            ;   Parent Loop BB399_12 Depth=1
                                        ; =>  This Inner Loop Header: Depth=2
	s_add_i32 s14, s16, 0x1100
	s_mov_b32 s15, -1
	s_cmp_gt_u32 s14, s59
                                        ; implicit-def: $vgpr21
                                        ; implicit-def: $vgpr22
                                        ; implicit-def: $vgpr23
                                        ; implicit-def: $vgpr24
                                        ; implicit-def: $vgpr25
                                        ; implicit-def: $vgpr26
                                        ; implicit-def: $vgpr27
                                        ; implicit-def: $vgpr28
                                        ; implicit-def: $vgpr29
                                        ; implicit-def: $vgpr30
                                        ; implicit-def: $vgpr31
                                        ; implicit-def: $vgpr32
                                        ; implicit-def: $vgpr33
                                        ; implicit-def: $vgpr34
                                        ; implicit-def: $vgpr35
                                        ; implicit-def: $vgpr36
                                        ; implicit-def: $vgpr37
	s_cbranch_scc1 .LBB399_640
; %bb.639:                              ;   in Loop: Header=BB399_638 Depth=2
	v_add_co_u32 v38, vcc_lo, v82, s16
	v_add_co_ci_u32_e64 v39, null, 0, v83, vcc_lo
	s_mov_b32 s15, 0
	v_add_co_u32 v21, vcc_lo, 0x800, v38
	v_add_co_ci_u32_e64 v22, null, 0, v39, vcc_lo
	v_add_co_u32 v23, vcc_lo, 0x1000, v38
	v_add_co_ci_u32_e64 v24, null, 0, v39, vcc_lo
	s_clause 0x10
	global_load_ubyte v36, v[21:22], off offset:1792
	global_load_ubyte v37, v[23:24], off
	global_load_ubyte v35, v[21:22], off offset:1536
	global_load_ubyte v34, v[21:22], off offset:1280
	global_load_ubyte v33, v[21:22], off offset:1024
	global_load_ubyte v32, v[21:22], off offset:768
	global_load_ubyte v31, v[21:22], off offset:512
	global_load_ubyte v30, v[21:22], off offset:256
	global_load_ubyte v29, v[21:22], off
	global_load_ubyte v28, v[38:39], off offset:1792
	global_load_ubyte v27, v[38:39], off offset:1536
	;; [unrolled: 1-line block ×7, first 2 shown]
	global_load_ubyte v21, v[38:39], off
.LBB399_640:                            ;   in Loop: Header=BB399_638 Depth=2
	s_andn2_b32 vcc_lo, exec_lo, s15
	s_movk_i32 s15, 0x1100
	s_cbranch_vccnz .LBB399_660
; %bb.641:                              ;   in Loop: Header=BB399_638 Depth=2
	s_add_u32 s15, s44, s16
	s_addc_u32 s16, s45, 0
	s_mov_b32 s17, exec_lo
	v_cmpx_gt_u32_e64 s5, v0
	s_cbranch_execnz .LBB399_694
; %bb.642:                              ;   in Loop: Header=BB399_638 Depth=2
	s_or_b32 exec_lo, exec_lo, s17
	s_mov_b32 s17, exec_lo
	v_cmpx_gt_u32_e64 s5, v44
	s_cbranch_execnz .LBB399_695
.LBB399_643:                            ;   in Loop: Header=BB399_638 Depth=2
	s_or_b32 exec_lo, exec_lo, s17
	s_mov_b32 s17, exec_lo
	v_cmpx_gt_u32_e64 s5, v47
	s_cbranch_execnz .LBB399_696
.LBB399_644:                            ;   in Loop: Header=BB399_638 Depth=2
	s_or_b32 exec_lo, exec_lo, s17
	s_mov_b32 s17, exec_lo
	v_cmpx_gt_u32_e64 s5, v48
	s_cbranch_execnz .LBB399_697
.LBB399_645:                            ;   in Loop: Header=BB399_638 Depth=2
	s_or_b32 exec_lo, exec_lo, s17
	s_mov_b32 s17, exec_lo
	v_cmpx_gt_u32_e64 s5, v49
	s_cbranch_execnz .LBB399_698
.LBB399_646:                            ;   in Loop: Header=BB399_638 Depth=2
	s_or_b32 exec_lo, exec_lo, s17
	s_mov_b32 s17, exec_lo
	v_cmpx_gt_u32_e64 s5, v50
	s_cbranch_execnz .LBB399_699
.LBB399_647:                            ;   in Loop: Header=BB399_638 Depth=2
	s_or_b32 exec_lo, exec_lo, s17
	s_mov_b32 s17, exec_lo
	v_cmpx_gt_u32_e64 s5, v51
	s_cbranch_execnz .LBB399_700
.LBB399_648:                            ;   in Loop: Header=BB399_638 Depth=2
	s_or_b32 exec_lo, exec_lo, s17
	s_mov_b32 s17, exec_lo
	v_cmpx_gt_u32_e64 s5, v52
	s_cbranch_execnz .LBB399_701
.LBB399_649:                            ;   in Loop: Header=BB399_638 Depth=2
	s_or_b32 exec_lo, exec_lo, s17
	s_mov_b32 s17, exec_lo
	v_cmpx_gt_u32_e64 s5, v53
	s_cbranch_execnz .LBB399_702
.LBB399_650:                            ;   in Loop: Header=BB399_638 Depth=2
	s_or_b32 exec_lo, exec_lo, s17
	s_mov_b32 s17, exec_lo
	v_cmpx_gt_u32_e64 s5, v54
	s_cbranch_execnz .LBB399_703
.LBB399_651:                            ;   in Loop: Header=BB399_638 Depth=2
	s_or_b32 exec_lo, exec_lo, s17
	s_mov_b32 s17, exec_lo
	v_cmpx_gt_u32_e64 s5, v55
	s_cbranch_execnz .LBB399_704
.LBB399_652:                            ;   in Loop: Header=BB399_638 Depth=2
	s_or_b32 exec_lo, exec_lo, s17
	s_mov_b32 s17, exec_lo
	v_cmpx_gt_u32_e64 s5, v56
	s_cbranch_execnz .LBB399_705
.LBB399_653:                            ;   in Loop: Header=BB399_638 Depth=2
	s_or_b32 exec_lo, exec_lo, s17
	s_mov_b32 s17, exec_lo
	v_cmpx_gt_u32_e64 s5, v57
	s_cbranch_execnz .LBB399_706
.LBB399_654:                            ;   in Loop: Header=BB399_638 Depth=2
	s_or_b32 exec_lo, exec_lo, s17
	s_mov_b32 s17, exec_lo
	v_cmpx_gt_u32_e64 s5, v58
	s_cbranch_execnz .LBB399_707
.LBB399_655:                            ;   in Loop: Header=BB399_638 Depth=2
	s_or_b32 exec_lo, exec_lo, s17
	s_mov_b32 s17, exec_lo
	v_cmpx_gt_u32_e64 s5, v59
	s_cbranch_execnz .LBB399_708
.LBB399_656:                            ;   in Loop: Header=BB399_638 Depth=2
	s_or_b32 exec_lo, exec_lo, s17
	s_mov_b32 s17, exec_lo
	v_cmpx_gt_u32_e64 s5, v60
	s_cbranch_execnz .LBB399_709
.LBB399_657:                            ;   in Loop: Header=BB399_638 Depth=2
	s_or_b32 exec_lo, exec_lo, s17
	s_mov_b32 s17, exec_lo
	v_cmpx_gt_u32_e64 s5, v61
	s_cbranch_execz .LBB399_659
.LBB399_658:                            ;   in Loop: Header=BB399_638 Depth=2
	s_waitcnt vmcnt(0)
	v_add_co_u32 v21, s15, s15, v61
	v_add_co_ci_u32_e64 v22, null, s16, 0, s15
	global_load_ubyte v3, v[21:22], off
.LBB399_659:                            ;   in Loop: Header=BB399_638 Depth=2
	s_or_b32 exec_lo, exec_lo, s17
	s_waitcnt vmcnt(0)
	v_mov_b32_e32 v21, v17
	v_mov_b32_e32 v22, v20
	;; [unrolled: 1-line block ×17, first 2 shown]
	s_mov_b32 s15, s5
.LBB399_660:                            ;   in Loop: Header=BB399_638 Depth=2
	s_waitcnt vmcnt(15)
	v_mov_b32_e32 v3, v37
	v_mov_b32_e32 v5, v36
	s_waitcnt vmcnt(14)
	v_mov_b32_e32 v6, v35
	s_waitcnt vmcnt(13)
	;; [unrolled: 2-line block ×15, first 2 shown]
	v_mov_b32_e32 v17, v21
	s_mov_b32 s16, exec_lo
	v_cmpx_gt_u32_e64 s15, v0
	s_cbranch_execnz .LBB399_677
; %bb.661:                              ;   in Loop: Header=BB399_638 Depth=2
	s_or_b32 exec_lo, exec_lo, s16
	s_mov_b32 s16, exec_lo
	v_cmpx_gt_u32_e64 s15, v44
	s_cbranch_execnz .LBB399_678
.LBB399_662:                            ;   in Loop: Header=BB399_638 Depth=2
	s_or_b32 exec_lo, exec_lo, s16
	s_mov_b32 s16, exec_lo
	v_cmpx_gt_u32_e64 s15, v47
	s_cbranch_execnz .LBB399_679
.LBB399_663:                            ;   in Loop: Header=BB399_638 Depth=2
	s_or_b32 exec_lo, exec_lo, s16
	s_mov_b32 s16, exec_lo
	v_cmpx_gt_u32_e64 s15, v48
	s_cbranch_execnz .LBB399_680
.LBB399_664:                            ;   in Loop: Header=BB399_638 Depth=2
	s_or_b32 exec_lo, exec_lo, s16
	s_mov_b32 s16, exec_lo
	v_cmpx_gt_u32_e64 s15, v49
	s_cbranch_execnz .LBB399_681
.LBB399_665:                            ;   in Loop: Header=BB399_638 Depth=2
	s_or_b32 exec_lo, exec_lo, s16
	s_mov_b32 s16, exec_lo
	v_cmpx_gt_u32_e64 s15, v50
	s_cbranch_execnz .LBB399_682
.LBB399_666:                            ;   in Loop: Header=BB399_638 Depth=2
	s_or_b32 exec_lo, exec_lo, s16
	s_mov_b32 s16, exec_lo
	v_cmpx_gt_u32_e64 s15, v51
	s_cbranch_execnz .LBB399_683
.LBB399_667:                            ;   in Loop: Header=BB399_638 Depth=2
	s_or_b32 exec_lo, exec_lo, s16
	s_mov_b32 s16, exec_lo
	v_cmpx_gt_u32_e64 s15, v52
	s_cbranch_execnz .LBB399_684
.LBB399_668:                            ;   in Loop: Header=BB399_638 Depth=2
	s_or_b32 exec_lo, exec_lo, s16
	s_mov_b32 s16, exec_lo
	v_cmpx_gt_u32_e64 s15, v53
	s_cbranch_execnz .LBB399_685
.LBB399_669:                            ;   in Loop: Header=BB399_638 Depth=2
	s_or_b32 exec_lo, exec_lo, s16
	s_mov_b32 s16, exec_lo
	v_cmpx_gt_u32_e64 s15, v54
	s_cbranch_execnz .LBB399_686
.LBB399_670:                            ;   in Loop: Header=BB399_638 Depth=2
	s_or_b32 exec_lo, exec_lo, s16
	s_mov_b32 s16, exec_lo
	v_cmpx_gt_u32_e64 s15, v55
	s_cbranch_execnz .LBB399_687
.LBB399_671:                            ;   in Loop: Header=BB399_638 Depth=2
	s_or_b32 exec_lo, exec_lo, s16
	s_mov_b32 s16, exec_lo
	v_cmpx_gt_u32_e64 s15, v56
	s_cbranch_execnz .LBB399_688
.LBB399_672:                            ;   in Loop: Header=BB399_638 Depth=2
	s_or_b32 exec_lo, exec_lo, s16
	s_mov_b32 s16, exec_lo
	v_cmpx_gt_u32_e64 s15, v57
	s_cbranch_execnz .LBB399_689
.LBB399_673:                            ;   in Loop: Header=BB399_638 Depth=2
	s_or_b32 exec_lo, exec_lo, s16
	s_mov_b32 s16, exec_lo
	v_cmpx_gt_u32_e64 s15, v58
	s_cbranch_execnz .LBB399_690
.LBB399_674:                            ;   in Loop: Header=BB399_638 Depth=2
	s_or_b32 exec_lo, exec_lo, s16
	s_mov_b32 s16, exec_lo
	v_cmpx_gt_u32_e64 s15, v59
	s_cbranch_execnz .LBB399_691
.LBB399_675:                            ;   in Loop: Header=BB399_638 Depth=2
	s_or_b32 exec_lo, exec_lo, s16
	s_mov_b32 s16, exec_lo
	v_cmpx_gt_u32_e64 s15, v60
	s_cbranch_execnz .LBB399_692
.LBB399_676:                            ;   in Loop: Header=BB399_638 Depth=2
	s_or_b32 exec_lo, exec_lo, s16
	v_cmp_gt_u32_e32 vcc_lo, s15, v61
	s_and_saveexec_b32 s15, vcc_lo
	s_cbranch_execz .LBB399_637
	s_branch .LBB399_693
.LBB399_677:                            ;   in Loop: Header=BB399_638 Depth=2
	v_xor_b32_e32 v21, 0x80, v17
	v_lshrrev_b32_sdwa v21, s41, v21 dst_sel:DWORD dst_unused:UNUSED_PAD src0_sel:DWORD src1_sel:BYTE_0
	v_and_b32_e32 v21, s62, v21
	v_lshl_or_b32 v21, v21, 4, v63
	ds_add_u32 v21, v89
	s_or_b32 exec_lo, exec_lo, s16
	s_mov_b32 s16, exec_lo
	v_cmpx_gt_u32_e64 s15, v44
	s_cbranch_execz .LBB399_662
.LBB399_678:                            ;   in Loop: Header=BB399_638 Depth=2
	v_xor_b32_e32 v21, 0x80, v20
	v_lshrrev_b32_sdwa v21, s41, v21 dst_sel:DWORD dst_unused:UNUSED_PAD src0_sel:DWORD src1_sel:BYTE_0
	v_and_b32_e32 v21, s62, v21
	v_lshl_or_b32 v21, v21, 4, v63
	ds_add_u32 v21, v89
	s_or_b32 exec_lo, exec_lo, s16
	s_mov_b32 s16, exec_lo
	v_cmpx_gt_u32_e64 s15, v47
	s_cbranch_execz .LBB399_663
.LBB399_679:                            ;   in Loop: Header=BB399_638 Depth=2
	v_xor_b32_e32 v21, 0x80, v19
	v_lshrrev_b32_sdwa v21, s41, v21 dst_sel:DWORD dst_unused:UNUSED_PAD src0_sel:DWORD src1_sel:BYTE_0
	v_and_b32_e32 v21, s62, v21
	v_lshl_or_b32 v21, v21, 4, v63
	ds_add_u32 v21, v89
	s_or_b32 exec_lo, exec_lo, s16
	s_mov_b32 s16, exec_lo
	v_cmpx_gt_u32_e64 s15, v48
	s_cbranch_execz .LBB399_664
.LBB399_680:                            ;   in Loop: Header=BB399_638 Depth=2
	v_xor_b32_e32 v21, 0x80, v18
	v_lshrrev_b32_sdwa v21, s41, v21 dst_sel:DWORD dst_unused:UNUSED_PAD src0_sel:DWORD src1_sel:BYTE_0
	v_and_b32_e32 v21, s62, v21
	v_lshl_or_b32 v21, v21, 4, v63
	ds_add_u32 v21, v89
	s_or_b32 exec_lo, exec_lo, s16
	s_mov_b32 s16, exec_lo
	v_cmpx_gt_u32_e64 s15, v49
	s_cbranch_execz .LBB399_665
.LBB399_681:                            ;   in Loop: Header=BB399_638 Depth=2
	v_xor_b32_e32 v21, 0x80, v16
	v_lshrrev_b32_sdwa v21, s41, v21 dst_sel:DWORD dst_unused:UNUSED_PAD src0_sel:DWORD src1_sel:BYTE_0
	v_and_b32_e32 v21, s62, v21
	v_lshl_or_b32 v21, v21, 4, v63
	ds_add_u32 v21, v89
	s_or_b32 exec_lo, exec_lo, s16
	s_mov_b32 s16, exec_lo
	v_cmpx_gt_u32_e64 s15, v50
	s_cbranch_execz .LBB399_666
.LBB399_682:                            ;   in Loop: Header=BB399_638 Depth=2
	v_xor_b32_e32 v21, 0x80, v15
	v_lshrrev_b32_sdwa v21, s41, v21 dst_sel:DWORD dst_unused:UNUSED_PAD src0_sel:DWORD src1_sel:BYTE_0
	v_and_b32_e32 v21, s62, v21
	v_lshl_or_b32 v21, v21, 4, v63
	ds_add_u32 v21, v89
	s_or_b32 exec_lo, exec_lo, s16
	s_mov_b32 s16, exec_lo
	v_cmpx_gt_u32_e64 s15, v51
	s_cbranch_execz .LBB399_667
.LBB399_683:                            ;   in Loop: Header=BB399_638 Depth=2
	v_xor_b32_e32 v21, 0x80, v14
	v_lshrrev_b32_sdwa v21, s41, v21 dst_sel:DWORD dst_unused:UNUSED_PAD src0_sel:DWORD src1_sel:BYTE_0
	v_and_b32_e32 v21, s62, v21
	v_lshl_or_b32 v21, v21, 4, v63
	ds_add_u32 v21, v89
	s_or_b32 exec_lo, exec_lo, s16
	s_mov_b32 s16, exec_lo
	v_cmpx_gt_u32_e64 s15, v52
	s_cbranch_execz .LBB399_668
.LBB399_684:                            ;   in Loop: Header=BB399_638 Depth=2
	v_xor_b32_e32 v21, 0x80, v13
	v_lshrrev_b32_sdwa v21, s41, v21 dst_sel:DWORD dst_unused:UNUSED_PAD src0_sel:DWORD src1_sel:BYTE_0
	v_and_b32_e32 v21, s62, v21
	v_lshl_or_b32 v21, v21, 4, v63
	ds_add_u32 v21, v89
	s_or_b32 exec_lo, exec_lo, s16
	s_mov_b32 s16, exec_lo
	v_cmpx_gt_u32_e64 s15, v53
	s_cbranch_execz .LBB399_669
.LBB399_685:                            ;   in Loop: Header=BB399_638 Depth=2
	v_xor_b32_e32 v21, 0x80, v12
	v_lshrrev_b32_sdwa v21, s41, v21 dst_sel:DWORD dst_unused:UNUSED_PAD src0_sel:DWORD src1_sel:BYTE_0
	v_and_b32_e32 v21, s62, v21
	v_lshl_or_b32 v21, v21, 4, v63
	ds_add_u32 v21, v89
	s_or_b32 exec_lo, exec_lo, s16
	s_mov_b32 s16, exec_lo
	v_cmpx_gt_u32_e64 s15, v54
	s_cbranch_execz .LBB399_670
.LBB399_686:                            ;   in Loop: Header=BB399_638 Depth=2
	v_xor_b32_e32 v21, 0x80, v11
	v_lshrrev_b32_sdwa v21, s41, v21 dst_sel:DWORD dst_unused:UNUSED_PAD src0_sel:DWORD src1_sel:BYTE_0
	v_and_b32_e32 v21, s62, v21
	v_lshl_or_b32 v21, v21, 4, v63
	ds_add_u32 v21, v89
	s_or_b32 exec_lo, exec_lo, s16
	s_mov_b32 s16, exec_lo
	v_cmpx_gt_u32_e64 s15, v55
	s_cbranch_execz .LBB399_671
.LBB399_687:                            ;   in Loop: Header=BB399_638 Depth=2
	v_xor_b32_e32 v21, 0x80, v10
	v_lshrrev_b32_sdwa v21, s41, v21 dst_sel:DWORD dst_unused:UNUSED_PAD src0_sel:DWORD src1_sel:BYTE_0
	v_and_b32_e32 v21, s62, v21
	v_lshl_or_b32 v21, v21, 4, v63
	ds_add_u32 v21, v89
	s_or_b32 exec_lo, exec_lo, s16
	s_mov_b32 s16, exec_lo
	v_cmpx_gt_u32_e64 s15, v56
	s_cbranch_execz .LBB399_672
.LBB399_688:                            ;   in Loop: Header=BB399_638 Depth=2
	v_xor_b32_e32 v21, 0x80, v9
	v_lshrrev_b32_sdwa v21, s41, v21 dst_sel:DWORD dst_unused:UNUSED_PAD src0_sel:DWORD src1_sel:BYTE_0
	v_and_b32_e32 v21, s62, v21
	v_lshl_or_b32 v21, v21, 4, v63
	ds_add_u32 v21, v89
	s_or_b32 exec_lo, exec_lo, s16
	s_mov_b32 s16, exec_lo
	v_cmpx_gt_u32_e64 s15, v57
	s_cbranch_execz .LBB399_673
.LBB399_689:                            ;   in Loop: Header=BB399_638 Depth=2
	v_xor_b32_e32 v21, 0x80, v8
	v_lshrrev_b32_sdwa v21, s41, v21 dst_sel:DWORD dst_unused:UNUSED_PAD src0_sel:DWORD src1_sel:BYTE_0
	v_and_b32_e32 v21, s62, v21
	v_lshl_or_b32 v21, v21, 4, v63
	ds_add_u32 v21, v89
	s_or_b32 exec_lo, exec_lo, s16
	s_mov_b32 s16, exec_lo
	v_cmpx_gt_u32_e64 s15, v58
	s_cbranch_execz .LBB399_674
.LBB399_690:                            ;   in Loop: Header=BB399_638 Depth=2
	v_xor_b32_e32 v21, 0x80, v7
	v_lshrrev_b32_sdwa v21, s41, v21 dst_sel:DWORD dst_unused:UNUSED_PAD src0_sel:DWORD src1_sel:BYTE_0
	v_and_b32_e32 v21, s62, v21
	v_lshl_or_b32 v21, v21, 4, v63
	ds_add_u32 v21, v89
	s_or_b32 exec_lo, exec_lo, s16
	s_mov_b32 s16, exec_lo
	v_cmpx_gt_u32_e64 s15, v59
	s_cbranch_execz .LBB399_675
.LBB399_691:                            ;   in Loop: Header=BB399_638 Depth=2
	v_xor_b32_e32 v21, 0x80, v6
	v_lshrrev_b32_sdwa v21, s41, v21 dst_sel:DWORD dst_unused:UNUSED_PAD src0_sel:DWORD src1_sel:BYTE_0
	v_and_b32_e32 v21, s62, v21
	v_lshl_or_b32 v21, v21, 4, v63
	ds_add_u32 v21, v89
	s_or_b32 exec_lo, exec_lo, s16
	s_mov_b32 s16, exec_lo
	v_cmpx_gt_u32_e64 s15, v60
	s_cbranch_execz .LBB399_676
.LBB399_692:                            ;   in Loop: Header=BB399_638 Depth=2
	v_xor_b32_e32 v21, 0x80, v5
	v_lshrrev_b32_sdwa v21, s41, v21 dst_sel:DWORD dst_unused:UNUSED_PAD src0_sel:DWORD src1_sel:BYTE_0
	v_and_b32_e32 v21, s62, v21
	v_lshl_or_b32 v21, v21, 4, v63
	ds_add_u32 v21, v89
	s_or_b32 exec_lo, exec_lo, s16
	v_cmp_gt_u32_e32 vcc_lo, s15, v61
	s_and_saveexec_b32 s15, vcc_lo
	s_cbranch_execz .LBB399_637
.LBB399_693:                            ;   in Loop: Header=BB399_638 Depth=2
	v_xor_b32_e32 v21, 0x80, v3
	v_lshrrev_b32_sdwa v21, s41, v21 dst_sel:DWORD dst_unused:UNUSED_PAD src0_sel:DWORD src1_sel:BYTE_0
	v_and_b32_e32 v21, s62, v21
	v_lshl_or_b32 v21, v21, 4, v63
	ds_add_u32 v21, v89
	s_branch .LBB399_637
.LBB399_694:                            ;   in Loop: Header=BB399_638 Depth=2
	s_waitcnt vmcnt(0)
	v_add_co_u32 v21, s18, s15, v0
	v_add_co_ci_u32_e64 v22, null, s16, 0, s18
	global_load_ubyte v17, v[21:22], off
	s_or_b32 exec_lo, exec_lo, s17
	s_mov_b32 s17, exec_lo
	v_cmpx_gt_u32_e64 s5, v44
	s_cbranch_execz .LBB399_643
.LBB399_695:                            ;   in Loop: Header=BB399_638 Depth=2
	v_add_co_u32 v20, s18, s15, v0
	s_waitcnt vmcnt(0)
	v_add_co_ci_u32_e64 v21, null, s16, 0, s18
	global_load_ubyte v20, v[20:21], off offset:256
	s_or_b32 exec_lo, exec_lo, s17
	s_mov_b32 s17, exec_lo
	v_cmpx_gt_u32_e64 s5, v47
	s_cbranch_execz .LBB399_644
.LBB399_696:                            ;   in Loop: Header=BB399_638 Depth=2
	s_waitcnt vmcnt(0)
	v_add_co_u32 v21, s18, s15, v0
	v_add_co_ci_u32_e64 v22, null, s16, 0, s18
	global_load_ubyte v19, v[21:22], off offset:512
	s_or_b32 exec_lo, exec_lo, s17
	s_mov_b32 s17, exec_lo
	v_cmpx_gt_u32_e64 s5, v48
	s_cbranch_execz .LBB399_645
.LBB399_697:                            ;   in Loop: Header=BB399_638 Depth=2
	s_waitcnt vmcnt(0)
	v_add_co_u32 v21, s18, s15, v0
	v_add_co_ci_u32_e64 v22, null, s16, 0, s18
	global_load_ubyte v18, v[21:22], off offset:768
	s_or_b32 exec_lo, exec_lo, s17
	s_mov_b32 s17, exec_lo
	v_cmpx_gt_u32_e64 s5, v49
	s_cbranch_execz .LBB399_646
.LBB399_698:                            ;   in Loop: Header=BB399_638 Depth=2
	s_waitcnt vmcnt(0)
	v_add_co_u32 v21, s18, s15, v0
	v_add_co_ci_u32_e64 v22, null, s16, 0, s18
	global_load_ubyte v16, v[21:22], off offset:1024
	s_or_b32 exec_lo, exec_lo, s17
	s_mov_b32 s17, exec_lo
	v_cmpx_gt_u32_e64 s5, v50
	s_cbranch_execz .LBB399_647
.LBB399_699:                            ;   in Loop: Header=BB399_638 Depth=2
	s_waitcnt vmcnt(0)
	v_add_co_u32 v21, s18, s15, v0
	v_add_co_ci_u32_e64 v22, null, s16, 0, s18
	global_load_ubyte v15, v[21:22], off offset:1280
	s_or_b32 exec_lo, exec_lo, s17
	s_mov_b32 s17, exec_lo
	v_cmpx_gt_u32_e64 s5, v51
	s_cbranch_execz .LBB399_648
.LBB399_700:                            ;   in Loop: Header=BB399_638 Depth=2
	s_waitcnt vmcnt(0)
	v_add_co_u32 v21, s18, s15, v0
	v_add_co_ci_u32_e64 v22, null, s16, 0, s18
	global_load_ubyte v14, v[21:22], off offset:1536
	s_or_b32 exec_lo, exec_lo, s17
	s_mov_b32 s17, exec_lo
	v_cmpx_gt_u32_e64 s5, v52
	s_cbranch_execz .LBB399_649
.LBB399_701:                            ;   in Loop: Header=BB399_638 Depth=2
	s_waitcnt vmcnt(0)
	v_add_co_u32 v21, s18, s15, v0
	v_add_co_ci_u32_e64 v22, null, s16, 0, s18
	global_load_ubyte v13, v[21:22], off offset:1792
	s_or_b32 exec_lo, exec_lo, s17
	s_mov_b32 s17, exec_lo
	v_cmpx_gt_u32_e64 s5, v53
	s_cbranch_execz .LBB399_650
.LBB399_702:                            ;   in Loop: Header=BB399_638 Depth=2
	s_waitcnt vmcnt(0)
	v_add_co_u32 v21, s18, s15, v53
	v_add_co_ci_u32_e64 v22, null, s16, 0, s18
	global_load_ubyte v12, v[21:22], off
	s_or_b32 exec_lo, exec_lo, s17
	s_mov_b32 s17, exec_lo
	v_cmpx_gt_u32_e64 s5, v54
	s_cbranch_execz .LBB399_651
.LBB399_703:                            ;   in Loop: Header=BB399_638 Depth=2
	s_waitcnt vmcnt(0)
	v_add_co_u32 v21, s18, s15, v54
	v_add_co_ci_u32_e64 v22, null, s16, 0, s18
	global_load_ubyte v11, v[21:22], off
	s_or_b32 exec_lo, exec_lo, s17
	s_mov_b32 s17, exec_lo
	v_cmpx_gt_u32_e64 s5, v55
	s_cbranch_execz .LBB399_652
.LBB399_704:                            ;   in Loop: Header=BB399_638 Depth=2
	s_waitcnt vmcnt(0)
	v_add_co_u32 v21, s18, s15, v55
	v_add_co_ci_u32_e64 v22, null, s16, 0, s18
	global_load_ubyte v10, v[21:22], off
	s_or_b32 exec_lo, exec_lo, s17
	s_mov_b32 s17, exec_lo
	v_cmpx_gt_u32_e64 s5, v56
	s_cbranch_execz .LBB399_653
.LBB399_705:                            ;   in Loop: Header=BB399_638 Depth=2
	s_waitcnt vmcnt(0)
	v_add_co_u32 v21, s18, s15, v56
	v_add_co_ci_u32_e64 v22, null, s16, 0, s18
	global_load_ubyte v9, v[21:22], off
	s_or_b32 exec_lo, exec_lo, s17
	s_mov_b32 s17, exec_lo
	v_cmpx_gt_u32_e64 s5, v57
	s_cbranch_execz .LBB399_654
.LBB399_706:                            ;   in Loop: Header=BB399_638 Depth=2
	s_waitcnt vmcnt(0)
	v_add_co_u32 v21, s18, s15, v57
	v_add_co_ci_u32_e64 v22, null, s16, 0, s18
	global_load_ubyte v8, v[21:22], off
	s_or_b32 exec_lo, exec_lo, s17
	s_mov_b32 s17, exec_lo
	v_cmpx_gt_u32_e64 s5, v58
	s_cbranch_execz .LBB399_655
.LBB399_707:                            ;   in Loop: Header=BB399_638 Depth=2
	s_waitcnt vmcnt(0)
	v_add_co_u32 v21, s18, s15, v58
	v_add_co_ci_u32_e64 v22, null, s16, 0, s18
	global_load_ubyte v7, v[21:22], off
	s_or_b32 exec_lo, exec_lo, s17
	s_mov_b32 s17, exec_lo
	v_cmpx_gt_u32_e64 s5, v59
	s_cbranch_execz .LBB399_656
.LBB399_708:                            ;   in Loop: Header=BB399_638 Depth=2
	s_waitcnt vmcnt(0)
	v_add_co_u32 v21, s18, s15, v59
	v_add_co_ci_u32_e64 v22, null, s16, 0, s18
	global_load_ubyte v6, v[21:22], off
	s_or_b32 exec_lo, exec_lo, s17
	s_mov_b32 s17, exec_lo
	v_cmpx_gt_u32_e64 s5, v60
	s_cbranch_execz .LBB399_657
.LBB399_709:                            ;   in Loop: Header=BB399_638 Depth=2
	s_waitcnt vmcnt(0)
	v_add_co_u32 v21, s18, s15, v60
	v_add_co_ci_u32_e64 v22, null, s16, 0, s18
	global_load_ubyte v5, v[21:22], off
	s_or_b32 exec_lo, exec_lo, s17
	s_mov_b32 s17, exec_lo
	v_cmpx_gt_u32_e64 s5, v61
	s_cbranch_execnz .LBB399_658
	s_branch .LBB399_659
.LBB399_710:                            ;   in Loop: Header=BB399_12 Depth=1
	v_mov_b32_e32 v3, 0
	s_waitcnt lgkmcnt(0)
	s_barrier
	buffer_gl0_inv
	s_and_saveexec_b32 s5, s7
	s_cbranch_execz .LBB399_712
; %bb.711:                              ;   in Loop: Header=BB399_12 Depth=1
	ds_read2_b64 v[5:8], v64 offset1:1
	s_waitcnt lgkmcnt(0)
	v_add_nc_u32_e32 v3, v6, v5
	v_add3_u32 v3, v3, v7, v8
.LBB399_712:                            ;   in Loop: Header=BB399_12 Depth=1
	s_or_b32 exec_lo, exec_lo, s5
	v_and_b32_e32 v5, 15, v86
	v_mov_b32_dpp v6, v3 row_shr:1 row_mask:0xf bank_mask:0xf
	v_and_b32_e32 v7, 16, v86
	v_cmp_eq_u32_e64 s5, 0, v5
	v_cmp_lt_u32_e64 s14, 1, v5
	v_cmp_lt_u32_e64 s15, 3, v5
	;; [unrolled: 1-line block ×3, first 2 shown]
	v_cmp_eq_u32_e64 s17, 0, v7
	v_cndmask_b32_e64 v6, v6, 0, s5
	v_add_nc_u32_e32 v3, v6, v3
	v_mov_b32_dpp v6, v3 row_shr:2 row_mask:0xf bank_mask:0xf
	v_cndmask_b32_e64 v6, 0, v6, s14
	v_add_nc_u32_e32 v3, v3, v6
	v_mov_b32_dpp v6, v3 row_shr:4 row_mask:0xf bank_mask:0xf
	;; [unrolled: 3-line block ×3, first 2 shown]
	v_cndmask_b32_e64 v5, 0, v6, s16
	v_bfe_i32 v6, v86, 4, 1
	v_add_nc_u32_e32 v3, v3, v5
	ds_swizzle_b32 v5, v3 offset:swizzle(BROADCAST,32,15)
	s_waitcnt lgkmcnt(0)
	v_and_b32_e32 v5, v6, v5
	v_add_nc_u32_e32 v3, v3, v5
	s_and_saveexec_b32 s18, s8
; %bb.713:                              ;   in Loop: Header=BB399_12 Depth=1
	ds_write_b32 v65, v3
; %bb.714:                              ;   in Loop: Header=BB399_12 Depth=1
	s_or_b32 exec_lo, exec_lo, s18
	s_waitcnt lgkmcnt(0)
	s_barrier
	buffer_gl0_inv
	s_and_saveexec_b32 s18, s9
	s_cbranch_execz .LBB399_716
; %bb.715:                              ;   in Loop: Header=BB399_12 Depth=1
	ds_read_b32 v5, v66
	v_and_b32_e32 v6, 3, v86
	v_cmp_ne_u32_e32 vcc_lo, 0, v6
	s_waitcnt lgkmcnt(0)
	v_mov_b32_dpp v7, v5 row_shr:1 row_mask:0xf bank_mask:0xf
	v_cndmask_b32_e32 v7, 0, v7, vcc_lo
	v_cmp_lt_u32_e32 vcc_lo, 1, v6
	v_add_nc_u32_e32 v5, v7, v5
	v_mov_b32_dpp v7, v5 row_shr:2 row_mask:0xf bank_mask:0xf
	v_cndmask_b32_e32 v6, 0, v7, vcc_lo
	v_add_nc_u32_e32 v5, v5, v6
	ds_write_b32 v66, v5
.LBB399_716:                            ;   in Loop: Header=BB399_12 Depth=1
	s_or_b32 exec_lo, exec_lo, s18
	v_mov_b32_e32 v5, 0
	s_waitcnt lgkmcnt(0)
	s_barrier
	buffer_gl0_inv
	s_and_saveexec_b32 s18, s10
; %bb.717:                              ;   in Loop: Header=BB399_12 Depth=1
	ds_read_b32 v5, v67
; %bb.718:                              ;   in Loop: Header=BB399_12 Depth=1
	s_or_b32 exec_lo, exec_lo, s18
	v_sub_co_u32 v6, s18, v86, 1
	s_waitcnt lgkmcnt(0)
	v_add_nc_u32_e32 v3, v5, v3
	s_barrier
	v_cmp_gt_i32_e32 vcc_lo, 0, v6
	buffer_gl0_inv
	v_cndmask_b32_e32 v6, v6, v86, vcc_lo
	v_lshlrev_b32_e32 v94, 2, v6
	ds_bpermute_b32 v3, v94, v3
	s_and_saveexec_b32 s19, s7
	s_cbranch_execz .LBB399_720
; %bb.719:                              ;   in Loop: Header=BB399_12 Depth=1
	s_waitcnt lgkmcnt(0)
	v_cndmask_b32_e64 v3, v3, v5, s18
	v_add_nc_u32_e32 v3, s58, v3
	ds_write_b32 v43, v3
.LBB399_720:                            ;   in Loop: Header=BB399_12 Depth=1
	s_or_b32 exec_lo, exec_lo, s19
	s_load_dwordx2 s[20:21], s[56:57], 0x0
	v_and_b32_e32 v6, 7, v86
	v_lshlrev_b32_e32 v7, 3, v86
	v_or_b32_e32 v95, v86, v68
	v_add_co_u32 v96, vcc_lo, v87, v86
	v_add_co_ci_u32_e64 v97, null, 0, v88, vcc_lo
	v_add_co_u32 v98, vcc_lo, v84, v7
	v_add_co_ci_u32_e64 v99, null, 0, v85, vcc_lo
	v_add_nc_u32_e32 v100, 32, v95
	v_add_nc_u32_e32 v101, 64, v95
	v_add_nc_u32_e32 v102, 0x60, v95
	v_add_nc_u32_e32 v103, 0x80, v95
	v_add_nc_u32_e32 v104, 0xa0, v95
	v_add_nc_u32_e32 v105, 0xc0, v95
	v_add_nc_u32_e32 v106, 0xe0, v95
	v_add_nc_u32_e32 v107, 0x100, v95
	s_waitcnt lgkmcnt(0)
	s_cmp_lt_u32 s28, s21
	v_add_nc_u32_e32 v108, 0x120, v95
	s_cselect_b32 s19, 14, 20
	v_add_nc_u32_e32 v109, 0x140, v95
	s_add_u32 s22, s56, s19
	s_addc_u32 s23, s57, 0
	s_cmp_lt_u32 s6, s20
	global_load_ushort v3, v4, s[22:23]
	s_cselect_b32 s19, 12, 18
	v_add_nc_u32_e32 v110, 0x160, v95
	s_add_u32 s20, s56, s19
	s_addc_u32 s21, s57, 0
	v_cmp_eq_u32_e64 s19, 0, v6
	global_load_ushort v5, v4, s[20:21]
	v_cmp_lt_u32_e64 s20, 1, v6
	v_cmp_lt_u32_e64 s21, 3, v6
	v_add_nc_u32_e32 v111, 0x180, v95
	v_add_nc_u32_e32 v112, 0x1a0, v95
	;; [unrolled: 1-line block ×5, first 2 shown]
	v_mov_b32_e32 v117, 0
	s_mov_b32 s63, s60
	s_mov_b32 s50, s58
                                        ; implicit-def: $vgpr7_vgpr8
                                        ; implicit-def: $vgpr9_vgpr10
                                        ; implicit-def: $vgpr11_vgpr12
                                        ; implicit-def: $vgpr13_vgpr14
                                        ; implicit-def: $vgpr15_vgpr16
                                        ; implicit-def: $vgpr19_vgpr20
                                        ; implicit-def: $vgpr23_vgpr24
                                        ; implicit-def: $vgpr27_vgpr28
                                        ; implicit-def: $vgpr17_vgpr18
                                        ; implicit-def: $vgpr21_vgpr22
                                        ; implicit-def: $vgpr25_vgpr26
                                        ; implicit-def: $vgpr29_vgpr30
                                        ; implicit-def: $vgpr31_vgpr32
                                        ; implicit-def: $vgpr33_vgpr34
                                        ; implicit-def: $vgpr35_vgpr36
                                        ; implicit-def: $vgpr37_vgpr38
                                        ; implicit-def: $vgpr118
                                        ; implicit-def: $vgpr119
                                        ; implicit-def: $vgpr120
                                        ; implicit-def: $vgpr121
                                        ; implicit-def: $vgpr122
                                        ; implicit-def: $vgpr123
                                        ; implicit-def: $vgpr124
                                        ; implicit-def: $vgpr125
                                        ; implicit-def: $vgpr126
                                        ; implicit-def: $vgpr127
                                        ; implicit-def: $vgpr128
                                        ; implicit-def: $vgpr129
                                        ; implicit-def: $vgpr130
                                        ; implicit-def: $vgpr131
                                        ; implicit-def: $vgpr132
                                        ; implicit-def: $vgpr133
                                        ; implicit-def: $vgpr134
                                        ; implicit-def: $vgpr135
                                        ; implicit-def: $vgpr136
	s_waitcnt vmcnt(1)
	v_mad_u32_u24 v3, v2, v3, v1
	s_waitcnt vmcnt(0)
	v_mad_u64_u32 v[5:6], null, v3, v5, v[0:1]
	v_lshrrev_b32_e32 v3, 3, v5
                                        ; implicit-def: $vgpr5_vgpr6
	v_and_b32_e32 v116, 0x1ffffffc, v3
	s_branch .LBB399_722
.LBB399_721:                            ;   in Loop: Header=BB399_722 Depth=2
	s_or_b32 exec_lo, exec_lo, s22
	s_addk_i32 s63, 0xef00
	s_cmp_lt_u32 s64, s59
	s_mov_b32 s50, s64
	s_cbranch_scc0 .LBB399_944
.LBB399_722:                            ;   Parent Loop BB399_12 Depth=1
                                        ; =>  This Inner Loop Header: Depth=2
	s_add_i32 s64, s50, 0x1100
	s_cmp_gt_u32 s64, s59
	s_cbranch_scc1 .LBB399_724
; %bb.723:                              ;   in Loop: Header=BB399_722 Depth=2
	v_add_co_u32 v39, vcc_lo, v96, s50
	v_add_co_ci_u32_e64 v40, null, 0, v97, vcc_lo
	s_mov_b32 s22, -1
	s_clause 0xf
	global_load_ubyte v42, v[39:40], off offset:480
	global_load_ubyte v41, v[39:40], off offset:448
	global_load_ubyte v3, v[39:40], off offset:416
	global_load_ubyte v137, v[39:40], off offset:384
	global_load_ubyte v141, v[39:40], off offset:352
	global_load_ubyte v140, v[39:40], off offset:320
	global_load_ubyte v139, v[39:40], off offset:288
	global_load_ubyte v142, v[39:40], off offset:256
	global_load_ubyte v145, v[39:40], off offset:224
	global_load_ubyte v144, v[39:40], off offset:192
	global_load_ubyte v143, v[39:40], off offset:160
	global_load_ubyte v150, v[39:40], off offset:128
	global_load_ubyte v151, v[39:40], off offset:96
	global_load_ubyte v148, v[39:40], off offset:64
	global_load_ubyte v147, v[39:40], off offset:32
	global_load_ubyte v146, v[39:40], off
	s_movk_i32 s23, 0x1100
	s_cbranch_execz .LBB399_725
	s_branch .LBB399_743
.LBB399_724:                            ;   in Loop: Header=BB399_722 Depth=2
	s_mov_b32 s22, 0
                                        ; implicit-def: $vgpr146
                                        ; implicit-def: $vgpr147
                                        ; implicit-def: $vgpr148
                                        ; implicit-def: $vgpr151
                                        ; implicit-def: $vgpr150
                                        ; implicit-def: $vgpr143
                                        ; implicit-def: $vgpr144
                                        ; implicit-def: $vgpr145
                                        ; implicit-def: $vgpr142
                                        ; implicit-def: $vgpr139
                                        ; implicit-def: $vgpr140
                                        ; implicit-def: $vgpr141
                                        ; implicit-def: $vgpr137
                                        ; implicit-def: $vgpr3
                                        ; implicit-def: $vgpr41
                                        ; implicit-def: $vgpr42
                                        ; implicit-def: $vgpr117
	s_movk_i32 s23, 0x1100
.LBB399_725:                            ;   in Loop: Header=BB399_722 Depth=2
	v_add_co_u32 v39, vcc_lo, v96, s50
	v_add_co_ci_u32_e64 v40, null, 0, v97, vcc_lo
	v_mov_b32_e32 v117, 0x7f
	s_waitcnt vmcnt(0)
	v_mov_b32_e32 v146, 0x7f
	v_mov_b32_e32 v147, 0x7f
	;; [unrolled: 1-line block ×16, first 2 shown]
	s_mov_b32 s22, exec_lo
	v_cmpx_gt_u32_e64 s63, v95
	s_cbranch_execnz .LBB399_929
; %bb.726:                              ;   in Loop: Header=BB399_722 Depth=2
	s_or_b32 exec_lo, exec_lo, s22
	s_mov_b32 s22, exec_lo
	v_cmpx_gt_u32_e64 s63, v100
	s_cbranch_execnz .LBB399_930
.LBB399_727:                            ;   in Loop: Header=BB399_722 Depth=2
	s_or_b32 exec_lo, exec_lo, s22
	s_mov_b32 s22, exec_lo
	v_cmpx_gt_u32_e64 s63, v101
	s_cbranch_execnz .LBB399_931
.LBB399_728:                            ;   in Loop: Header=BB399_722 Depth=2
	s_or_b32 exec_lo, exec_lo, s22
	s_mov_b32 s22, exec_lo
	v_cmpx_gt_u32_e64 s63, v102
	s_cbranch_execnz .LBB399_932
.LBB399_729:                            ;   in Loop: Header=BB399_722 Depth=2
	s_or_b32 exec_lo, exec_lo, s22
	s_mov_b32 s22, exec_lo
	v_cmpx_gt_u32_e64 s63, v103
	s_cbranch_execnz .LBB399_933
.LBB399_730:                            ;   in Loop: Header=BB399_722 Depth=2
	s_or_b32 exec_lo, exec_lo, s22
	s_mov_b32 s22, exec_lo
	v_cmpx_gt_u32_e64 s63, v104
	s_cbranch_execnz .LBB399_934
.LBB399_731:                            ;   in Loop: Header=BB399_722 Depth=2
	s_or_b32 exec_lo, exec_lo, s22
	s_mov_b32 s22, exec_lo
	v_cmpx_gt_u32_e64 s63, v105
	s_cbranch_execnz .LBB399_935
.LBB399_732:                            ;   in Loop: Header=BB399_722 Depth=2
	s_or_b32 exec_lo, exec_lo, s22
	s_mov_b32 s22, exec_lo
	v_cmpx_gt_u32_e64 s63, v106
	s_cbranch_execnz .LBB399_936
.LBB399_733:                            ;   in Loop: Header=BB399_722 Depth=2
	s_or_b32 exec_lo, exec_lo, s22
	s_mov_b32 s22, exec_lo
	v_cmpx_gt_u32_e64 s63, v107
	s_cbranch_execnz .LBB399_937
.LBB399_734:                            ;   in Loop: Header=BB399_722 Depth=2
	s_or_b32 exec_lo, exec_lo, s22
	s_mov_b32 s22, exec_lo
	v_cmpx_gt_u32_e64 s63, v108
	s_cbranch_execnz .LBB399_938
.LBB399_735:                            ;   in Loop: Header=BB399_722 Depth=2
	s_or_b32 exec_lo, exec_lo, s22
	s_mov_b32 s22, exec_lo
	v_cmpx_gt_u32_e64 s63, v109
	s_cbranch_execnz .LBB399_939
.LBB399_736:                            ;   in Loop: Header=BB399_722 Depth=2
	s_or_b32 exec_lo, exec_lo, s22
	s_mov_b32 s22, exec_lo
	v_cmpx_gt_u32_e64 s63, v110
	s_cbranch_execnz .LBB399_940
.LBB399_737:                            ;   in Loop: Header=BB399_722 Depth=2
	s_or_b32 exec_lo, exec_lo, s22
	s_mov_b32 s22, exec_lo
	v_cmpx_gt_u32_e64 s63, v111
	s_cbranch_execnz .LBB399_941
.LBB399_738:                            ;   in Loop: Header=BB399_722 Depth=2
	s_or_b32 exec_lo, exec_lo, s22
	s_mov_b32 s22, exec_lo
	v_cmpx_gt_u32_e64 s63, v112
	s_cbranch_execnz .LBB399_942
.LBB399_739:                            ;   in Loop: Header=BB399_722 Depth=2
	s_or_b32 exec_lo, exec_lo, s22
	s_mov_b32 s22, exec_lo
	v_cmpx_gt_u32_e64 s63, v113
	s_cbranch_execnz .LBB399_943
.LBB399_740:                            ;   in Loop: Header=BB399_722 Depth=2
	s_or_b32 exec_lo, exec_lo, s22
	s_mov_b32 s22, exec_lo
	v_cmpx_gt_u32_e64 s63, v114
	s_cbranch_execz .LBB399_742
.LBB399_741:                            ;   in Loop: Header=BB399_722 Depth=2
	global_load_ubyte v42, v[39:40], off offset:480
.LBB399_742:                            ;   in Loop: Header=BB399_722 Depth=2
	s_or_b32 exec_lo, exec_lo, s22
	v_cmp_gt_u32_e64 s22, s63, v115
	s_sub_i32 s23, s59, s50
.LBB399_743:                            ;   in Loop: Header=BB399_722 Depth=2
	v_mov_b32_e32 v138, s63
	s_and_saveexec_b32 s24, s22
	s_cbranch_execz .LBB399_745
; %bb.744:                              ;   in Loop: Header=BB399_722 Depth=2
	v_add_co_u32 v39, vcc_lo, v96, s50
	v_add_co_ci_u32_e64 v40, null, s51, v97, vcc_lo
	v_mov_b32_e32 v138, s23
	global_load_ubyte v117, v[39:40], off offset:512
.LBB399_745:                            ;   in Loop: Header=BB399_722 Depth=2
	s_or_b32 exec_lo, exec_lo, s24
	s_waitcnt vmcnt(0)
	v_xor_b32_e32 v39, 0x80, v146
	ds_write2_b32 v69, v4, v4 offset0:136 offset1:137
	ds_write2_b32 v69, v4, v4 offset0:138 offset1:139
	ds_write_b32 v69, v4 offset:560
	s_waitcnt lgkmcnt(0)
	s_barrier
	v_and_b32_sdwa v40, v92, v39 dst_sel:DWORD dst_unused:UNUSED_PAD src0_sel:DWORD src1_sel:BYTE_0
	buffer_gl0_inv
	; wave barrier
	v_lshrrev_b32_e32 v40, s41, v40
	v_and_b32_e32 v149, s62, v40
	v_and_b32_e32 v40, 1, v149
	v_lshlrev_b32_e32 v146, 30, v149
	v_lshlrev_b32_e32 v152, 29, v149
	;; [unrolled: 1-line block ×4, first 2 shown]
	v_add_co_u32 v40, s22, v40, -1
	v_cndmask_b32_e64 v153, 0, 1, s22
	v_not_b32_e32 v157, v146
	v_cmp_gt_i32_e64 s22, 0, v146
	v_not_b32_e32 v146, v152
	v_lshlrev_b32_e32 v156, 26, v149
	v_cmp_ne_u32_e32 vcc_lo, 0, v153
	v_ashrrev_i32_e32 v157, 31, v157
	v_lshlrev_b32_e32 v153, 25, v149
	v_ashrrev_i32_e32 v146, 31, v146
	v_mul_u32_u24_e32 v149, 36, v149
	v_xor_b32_e32 v40, vcc_lo, v40
	v_cmp_gt_i32_e32 vcc_lo, 0, v152
	v_not_b32_e32 v152, v154
	v_xor_b32_e32 v157, s22, v157
	v_cmp_gt_i32_e64 s22, 0, v154
	v_and_b32_e32 v40, exec_lo, v40
	v_not_b32_e32 v154, v155
	v_ashrrev_i32_e32 v152, 31, v152
	v_xor_b32_e32 v146, vcc_lo, v146
	v_cmp_gt_i32_e32 vcc_lo, 0, v155
	v_and_b32_e32 v40, v40, v157
	v_not_b32_e32 v155, v156
	v_ashrrev_i32_e32 v154, 31, v154
	v_xor_b32_e32 v152, s22, v152
	v_cmp_gt_i32_e64 s22, 0, v156
	v_and_b32_e32 v40, v40, v146
	v_not_b32_e32 v146, v153
	v_ashrrev_i32_e32 v155, 31, v155
	v_xor_b32_e32 v154, vcc_lo, v154
	v_cmp_gt_i32_e32 vcc_lo, 0, v153
	v_and_b32_e32 v40, v40, v152
	v_ashrrev_i32_e32 v146, 31, v146
	v_xor_b32_e32 v152, s22, v155
	v_add_nc_u32_e32 v149, v116, v149
	v_and_b32_e32 v40, v40, v154
	v_xor_b32_e32 v146, vcc_lo, v146
	v_and_b32_e32 v40, v40, v152
	v_and_b32_e32 v40, v40, v146
	v_mbcnt_lo_u32_b32 v146, v40, 0
	v_cmp_ne_u32_e64 s22, 0, v40
	v_cmp_eq_u32_e32 vcc_lo, 0, v146
	s_and_b32 s23, s22, vcc_lo
	s_and_saveexec_b32 s22, s23
; %bb.746:                              ;   in Loop: Header=BB399_722 Depth=2
	v_bcnt_u32_b32 v40, v40, 0
	ds_write_b32 v149, v40 offset:544
; %bb.747:                              ;   in Loop: Header=BB399_722 Depth=2
	s_or_b32 exec_lo, exec_lo, s22
	v_xor_b32_sdwa v40, v147, v93 dst_sel:BYTE_1 dst_unused:UNUSED_PAD src0_sel:DWORD src1_sel:DWORD
	v_xor_b32_e32 v148, 0x80, v148
	v_xor_b32_sdwa v151, v151, v93 dst_sel:BYTE_1 dst_unused:UNUSED_PAD src0_sel:DWORD src1_sel:DWORD
	; wave barrier
	v_or_b32_sdwa v147, v39, v40 dst_sel:DWORD dst_unused:UNUSED_PAD src0_sel:BYTE_0 src1_sel:DWORD
	v_or_b32_sdwa v39, v148, v151 dst_sel:WORD_1 dst_unused:UNUSED_PAD src0_sel:BYTE_0 src1_sel:DWORD
	v_or_b32_sdwa v148, v147, v39 dst_sel:DWORD dst_unused:UNUSED_PAD src0_sel:WORD_0 src1_sel:DWORD
	v_lshrrev_b32_sdwa v39, s41, v148 dst_sel:DWORD dst_unused:UNUSED_PAD src0_sel:DWORD src1_sel:BYTE_1
	v_and_b32_e32 v40, s62, v39
	v_and_b32_e32 v39, 1, v40
	v_lshlrev_b32_e32 v151, 30, v40
	v_lshlrev_b32_e32 v152, 29, v40
	;; [unrolled: 1-line block ×4, first 2 shown]
	v_add_co_u32 v39, s22, v39, -1
	v_cndmask_b32_e64 v153, 0, 1, s22
	v_not_b32_e32 v157, v151
	v_cmp_gt_i32_e64 s22, 0, v151
	v_not_b32_e32 v151, v152
	v_lshlrev_b32_e32 v156, 26, v40
	v_cmp_ne_u32_e32 vcc_lo, 0, v153
	v_ashrrev_i32_e32 v157, 31, v157
	v_lshlrev_b32_e32 v153, 25, v40
	v_ashrrev_i32_e32 v151, 31, v151
	v_xor_b32_e32 v39, vcc_lo, v39
	v_cmp_gt_i32_e32 vcc_lo, 0, v152
	v_not_b32_e32 v152, v154
	v_xor_b32_e32 v157, s22, v157
	v_cmp_gt_i32_e64 s22, 0, v154
	v_and_b32_e32 v39, exec_lo, v39
	v_not_b32_e32 v154, v155
	v_ashrrev_i32_e32 v152, 31, v152
	v_xor_b32_e32 v151, vcc_lo, v151
	v_cmp_gt_i32_e32 vcc_lo, 0, v155
	v_and_b32_e32 v39, v39, v157
	v_not_b32_e32 v155, v156
	v_ashrrev_i32_e32 v154, 31, v154
	v_xor_b32_e32 v152, s22, v152
	v_cmp_gt_i32_e64 s22, 0, v156
	v_and_b32_e32 v39, v39, v151
	v_not_b32_e32 v151, v153
	v_ashrrev_i32_e32 v155, 31, v155
	v_xor_b32_e32 v154, vcc_lo, v154
	v_cmp_gt_i32_e32 vcc_lo, 0, v153
	v_and_b32_e32 v39, v39, v152
	v_ashrrev_i32_e32 v151, 31, v151
	v_xor_b32_e32 v152, s22, v155
	v_mad_u32_u24 v153, v40, 36, v116
	v_mul_u32_u24_e32 v40, 36, v40
	v_and_b32_e32 v39, v39, v154
	v_xor_b32_e32 v154, vcc_lo, v151
	ds_read_b32 v151, v153 offset:544
	v_add_nc_u32_e32 v153, v116, v40
	v_and_b32_e32 v39, v39, v152
	; wave barrier
	v_and_b32_e32 v39, v39, v154
	v_mbcnt_lo_u32_b32 v152, v39, 0
	v_cmp_ne_u32_e64 s22, 0, v39
	v_cmp_eq_u32_e32 vcc_lo, 0, v152
	s_and_b32 s23, s22, vcc_lo
	s_and_saveexec_b32 s22, s23
	s_cbranch_execz .LBB399_749
; %bb.748:                              ;   in Loop: Header=BB399_722 Depth=2
	s_waitcnt lgkmcnt(0)
	v_bcnt_u32_b32 v39, v39, v151
	ds_write_b32 v153, v39 offset:544
.LBB399_749:                            ;   in Loop: Header=BB399_722 Depth=2
	s_or_b32 exec_lo, exec_lo, s22
	v_lshrrev_b32_sdwa v39, s41, v148 dst_sel:DWORD dst_unused:UNUSED_PAD src0_sel:DWORD src1_sel:BYTE_2
	; wave barrier
	v_and_b32_e32 v40, s62, v39
	v_and_b32_e32 v39, 1, v40
	v_lshlrev_b32_e32 v154, 30, v40
	v_lshlrev_b32_e32 v155, 29, v40
	v_lshlrev_b32_e32 v157, 28, v40
	v_lshlrev_b32_e32 v158, 27, v40
	v_add_co_u32 v39, s22, v39, -1
	v_cndmask_b32_e64 v156, 0, 1, s22
	v_not_b32_e32 v160, v154
	v_cmp_gt_i32_e64 s22, 0, v154
	v_not_b32_e32 v154, v155
	v_lshlrev_b32_e32 v159, 26, v40
	v_cmp_ne_u32_e32 vcc_lo, 0, v156
	v_ashrrev_i32_e32 v160, 31, v160
	v_lshlrev_b32_e32 v156, 25, v40
	v_ashrrev_i32_e32 v154, 31, v154
	v_xor_b32_e32 v39, vcc_lo, v39
	v_cmp_gt_i32_e32 vcc_lo, 0, v155
	v_not_b32_e32 v155, v157
	v_xor_b32_e32 v160, s22, v160
	v_cmp_gt_i32_e64 s22, 0, v157
	v_and_b32_e32 v39, exec_lo, v39
	v_not_b32_e32 v157, v158
	v_ashrrev_i32_e32 v155, 31, v155
	v_xor_b32_e32 v154, vcc_lo, v154
	v_cmp_gt_i32_e32 vcc_lo, 0, v158
	v_and_b32_e32 v39, v39, v160
	v_not_b32_e32 v158, v159
	v_ashrrev_i32_e32 v157, 31, v157
	v_xor_b32_e32 v155, s22, v155
	v_cmp_gt_i32_e64 s22, 0, v159
	v_and_b32_e32 v39, v39, v154
	v_not_b32_e32 v154, v156
	v_ashrrev_i32_e32 v158, 31, v158
	v_xor_b32_e32 v157, vcc_lo, v157
	v_cmp_gt_i32_e32 vcc_lo, 0, v156
	v_and_b32_e32 v39, v39, v155
	v_ashrrev_i32_e32 v154, 31, v154
	v_xor_b32_e32 v155, s22, v158
	v_mad_u32_u24 v156, v40, 36, v116
	v_mul_u32_u24_e32 v40, 36, v40
	v_and_b32_e32 v39, v39, v157
	v_xor_b32_e32 v157, vcc_lo, v154
	ds_read_b32 v154, v156 offset:544
	v_and_b32_e32 v39, v39, v155
	; wave barrier
	v_and_b32_e32 v39, v39, v157
	v_add_nc_u32_e32 v157, v116, v40
	v_mbcnt_lo_u32_b32 v155, v39, 0
	v_cmp_ne_u32_e64 s22, 0, v39
	v_cmp_eq_u32_e32 vcc_lo, 0, v155
	s_and_b32 s23, s22, vcc_lo
	s_and_saveexec_b32 s22, s23
	s_cbranch_execz .LBB399_751
; %bb.750:                              ;   in Loop: Header=BB399_722 Depth=2
	s_waitcnt lgkmcnt(0)
	v_bcnt_u32_b32 v39, v39, v154
	ds_write_b32 v157, v39 offset:544
.LBB399_751:                            ;   in Loop: Header=BB399_722 Depth=2
	s_or_b32 exec_lo, exec_lo, s22
	v_lshrrev_b32_e32 v156, 24, v148
	; wave barrier
	v_lshrrev_b32_e32 v39, s41, v156
	v_and_b32_e32 v40, s62, v39
	v_and_b32_e32 v39, 1, v40
	v_lshlrev_b32_e32 v158, 30, v40
	v_lshlrev_b32_e32 v159, 29, v40
	;; [unrolled: 1-line block ×4, first 2 shown]
	v_add_co_u32 v39, s22, v39, -1
	v_cndmask_b32_e64 v160, 0, 1, s22
	v_not_b32_e32 v164, v158
	v_cmp_gt_i32_e64 s22, 0, v158
	v_not_b32_e32 v158, v159
	v_lshlrev_b32_e32 v163, 26, v40
	v_cmp_ne_u32_e32 vcc_lo, 0, v160
	v_ashrrev_i32_e32 v164, 31, v164
	v_lshlrev_b32_e32 v160, 25, v40
	v_ashrrev_i32_e32 v158, 31, v158
	v_xor_b32_e32 v39, vcc_lo, v39
	v_cmp_gt_i32_e32 vcc_lo, 0, v159
	v_not_b32_e32 v159, v161
	v_xor_b32_e32 v164, s22, v164
	v_cmp_gt_i32_e64 s22, 0, v161
	v_and_b32_e32 v39, exec_lo, v39
	v_not_b32_e32 v161, v162
	v_ashrrev_i32_e32 v159, 31, v159
	v_xor_b32_e32 v158, vcc_lo, v158
	v_cmp_gt_i32_e32 vcc_lo, 0, v162
	v_and_b32_e32 v39, v39, v164
	v_not_b32_e32 v162, v163
	v_ashrrev_i32_e32 v161, 31, v161
	v_xor_b32_e32 v159, s22, v159
	v_cmp_gt_i32_e64 s22, 0, v163
	v_and_b32_e32 v39, v39, v158
	v_not_b32_e32 v158, v160
	v_ashrrev_i32_e32 v162, 31, v162
	v_xor_b32_e32 v161, vcc_lo, v161
	v_cmp_gt_i32_e32 vcc_lo, 0, v160
	v_and_b32_e32 v39, v39, v159
	v_ashrrev_i32_e32 v158, 31, v158
	v_xor_b32_e32 v159, s22, v162
	v_mad_u32_u24 v160, v40, 36, v116
	v_mul_u32_u24_e32 v40, 36, v40
	v_and_b32_e32 v39, v39, v161
	v_xor_b32_e32 v161, vcc_lo, v158
	ds_read_b32 v158, v160 offset:544
	v_add_nc_u32_e32 v160, v116, v40
	v_and_b32_e32 v39, v39, v159
	; wave barrier
	v_and_b32_e32 v39, v39, v161
	v_mbcnt_lo_u32_b32 v159, v39, 0
	v_cmp_ne_u32_e64 s22, 0, v39
	v_cmp_eq_u32_e32 vcc_lo, 0, v159
	s_and_b32 s23, s22, vcc_lo
	s_and_saveexec_b32 s22, s23
	s_cbranch_execz .LBB399_753
; %bb.752:                              ;   in Loop: Header=BB399_722 Depth=2
	s_waitcnt lgkmcnt(0)
	v_bcnt_u32_b32 v39, v39, v158
	ds_write_b32 v160, v39 offset:544
.LBB399_753:                            ;   in Loop: Header=BB399_722 Depth=2
	s_or_b32 exec_lo, exec_lo, s22
	v_xor_b32_e32 v39, 0x80, v150
	; wave barrier
	v_and_b32_sdwa v40, v92, v39 dst_sel:DWORD dst_unused:UNUSED_PAD src0_sel:DWORD src1_sel:BYTE_0
	v_lshrrev_b32_e32 v40, s41, v40
	v_and_b32_e32 v162, s62, v40
	v_and_b32_e32 v40, 1, v162
	v_lshlrev_b32_e32 v150, 30, v162
	v_lshlrev_b32_e32 v161, 29, v162
	;; [unrolled: 1-line block ×4, first 2 shown]
	v_add_co_u32 v40, s22, v40, -1
	v_cndmask_b32_e64 v163, 0, 1, s22
	v_not_b32_e32 v167, v150
	v_cmp_gt_i32_e64 s22, 0, v150
	v_not_b32_e32 v150, v161
	v_lshlrev_b32_e32 v166, 26, v162
	v_cmp_ne_u32_e32 vcc_lo, 0, v163
	v_ashrrev_i32_e32 v167, 31, v167
	v_lshlrev_b32_e32 v163, 25, v162
	v_ashrrev_i32_e32 v150, 31, v150
	v_xor_b32_e32 v40, vcc_lo, v40
	v_cmp_gt_i32_e32 vcc_lo, 0, v161
	v_not_b32_e32 v161, v164
	v_xor_b32_e32 v167, s22, v167
	v_cmp_gt_i32_e64 s22, 0, v164
	v_and_b32_e32 v40, exec_lo, v40
	v_not_b32_e32 v164, v165
	v_ashrrev_i32_e32 v161, 31, v161
	v_xor_b32_e32 v150, vcc_lo, v150
	v_cmp_gt_i32_e32 vcc_lo, 0, v165
	v_and_b32_e32 v40, v40, v167
	v_not_b32_e32 v165, v166
	v_ashrrev_i32_e32 v164, 31, v164
	v_xor_b32_e32 v161, s22, v161
	v_cmp_gt_i32_e64 s22, 0, v166
	v_and_b32_e32 v40, v40, v150
	v_not_b32_e32 v150, v163
	v_ashrrev_i32_e32 v165, 31, v165
	v_xor_b32_e32 v164, vcc_lo, v164
	v_cmp_gt_i32_e32 vcc_lo, 0, v163
	v_and_b32_e32 v40, v40, v161
	v_ashrrev_i32_e32 v150, 31, v150
	v_xor_b32_e32 v161, s22, v165
	v_mad_u32_u24 v163, v162, 36, v116
	v_mul_u32_u24_e32 v162, 36, v162
	v_and_b32_e32 v40, v40, v164
	v_xor_b32_e32 v164, vcc_lo, v150
	ds_read_b32 v150, v163 offset:544
	v_add_nc_u32_e32 v162, v116, v162
	v_and_b32_e32 v40, v40, v161
	; wave barrier
	v_and_b32_e32 v40, v40, v164
	v_mbcnt_lo_u32_b32 v161, v40, 0
	v_cmp_ne_u32_e64 s22, 0, v40
	v_cmp_eq_u32_e32 vcc_lo, 0, v161
	s_and_b32 s23, s22, vcc_lo
	s_and_saveexec_b32 s22, s23
	s_cbranch_execz .LBB399_755
; %bb.754:                              ;   in Loop: Header=BB399_722 Depth=2
	s_waitcnt lgkmcnt(0)
	v_bcnt_u32_b32 v40, v40, v150
	ds_write_b32 v162, v40 offset:544
.LBB399_755:                            ;   in Loop: Header=BB399_722 Depth=2
	s_or_b32 exec_lo, exec_lo, s22
	v_xor_b32_sdwa v40, v143, v93 dst_sel:BYTE_1 dst_unused:UNUSED_PAD src0_sel:DWORD src1_sel:DWORD
	v_xor_b32_e32 v144, 0x80, v144
	v_xor_b32_sdwa v145, v145, v93 dst_sel:BYTE_1 dst_unused:UNUSED_PAD src0_sel:DWORD src1_sel:DWORD
	; wave barrier
	v_or_b32_sdwa v143, v39, v40 dst_sel:DWORD dst_unused:UNUSED_PAD src0_sel:BYTE_0 src1_sel:DWORD
	v_or_b32_sdwa v39, v144, v145 dst_sel:WORD_1 dst_unused:UNUSED_PAD src0_sel:BYTE_0 src1_sel:DWORD
	v_or_b32_sdwa v144, v143, v39 dst_sel:DWORD dst_unused:UNUSED_PAD src0_sel:WORD_0 src1_sel:DWORD
	v_lshrrev_b32_sdwa v39, s41, v144 dst_sel:DWORD dst_unused:UNUSED_PAD src0_sel:DWORD src1_sel:BYTE_1
	v_and_b32_e32 v40, s62, v39
	v_and_b32_e32 v39, 1, v40
	v_lshlrev_b32_e32 v145, 30, v40
	v_lshlrev_b32_e32 v163, 29, v40
	;; [unrolled: 1-line block ×4, first 2 shown]
	v_add_co_u32 v39, s22, v39, -1
	v_cndmask_b32_e64 v164, 0, 1, s22
	v_not_b32_e32 v168, v145
	v_cmp_gt_i32_e64 s22, 0, v145
	v_not_b32_e32 v145, v163
	v_lshlrev_b32_e32 v167, 26, v40
	v_cmp_ne_u32_e32 vcc_lo, 0, v164
	v_ashrrev_i32_e32 v168, 31, v168
	v_lshlrev_b32_e32 v164, 25, v40
	v_ashrrev_i32_e32 v145, 31, v145
	v_xor_b32_e32 v39, vcc_lo, v39
	v_cmp_gt_i32_e32 vcc_lo, 0, v163
	v_not_b32_e32 v163, v165
	v_xor_b32_e32 v168, s22, v168
	v_cmp_gt_i32_e64 s22, 0, v165
	v_and_b32_e32 v39, exec_lo, v39
	v_not_b32_e32 v165, v166
	v_ashrrev_i32_e32 v163, 31, v163
	v_xor_b32_e32 v145, vcc_lo, v145
	v_cmp_gt_i32_e32 vcc_lo, 0, v166
	v_and_b32_e32 v39, v39, v168
	v_not_b32_e32 v166, v167
	v_ashrrev_i32_e32 v165, 31, v165
	v_xor_b32_e32 v163, s22, v163
	v_cmp_gt_i32_e64 s22, 0, v167
	v_and_b32_e32 v39, v39, v145
	v_not_b32_e32 v145, v164
	v_ashrrev_i32_e32 v166, 31, v166
	v_xor_b32_e32 v165, vcc_lo, v165
	v_cmp_gt_i32_e32 vcc_lo, 0, v164
	v_and_b32_e32 v39, v39, v163
	v_ashrrev_i32_e32 v145, 31, v145
	v_xor_b32_e32 v163, s22, v166
	v_mad_u32_u24 v164, v40, 36, v116
	v_mul_u32_u24_e32 v40, 36, v40
	v_and_b32_e32 v39, v39, v165
	v_xor_b32_e32 v165, vcc_lo, v145
	ds_read_b32 v145, v164 offset:544
	v_add_nc_u32_e32 v164, v116, v40
	v_and_b32_e32 v39, v39, v163
	; wave barrier
	v_and_b32_e32 v39, v39, v165
	v_mbcnt_lo_u32_b32 v163, v39, 0
	v_cmp_ne_u32_e64 s22, 0, v39
	v_cmp_eq_u32_e32 vcc_lo, 0, v163
	s_and_b32 s23, s22, vcc_lo
	s_and_saveexec_b32 s22, s23
	s_cbranch_execz .LBB399_757
; %bb.756:                              ;   in Loop: Header=BB399_722 Depth=2
	s_waitcnt lgkmcnt(0)
	v_bcnt_u32_b32 v39, v39, v145
	ds_write_b32 v164, v39 offset:544
.LBB399_757:                            ;   in Loop: Header=BB399_722 Depth=2
	s_or_b32 exec_lo, exec_lo, s22
	v_lshrrev_b32_sdwa v39, s41, v144 dst_sel:DWORD dst_unused:UNUSED_PAD src0_sel:DWORD src1_sel:BYTE_2
	; wave barrier
	v_and_b32_e32 v40, s62, v39
	v_and_b32_e32 v39, 1, v40
	v_lshlrev_b32_e32 v165, 30, v40
	v_lshlrev_b32_e32 v166, 29, v40
	v_lshlrev_b32_e32 v168, 28, v40
	v_lshlrev_b32_e32 v169, 27, v40
	v_add_co_u32 v39, s22, v39, -1
	v_cndmask_b32_e64 v167, 0, 1, s22
	v_not_b32_e32 v171, v165
	v_cmp_gt_i32_e64 s22, 0, v165
	v_not_b32_e32 v165, v166
	v_lshlrev_b32_e32 v170, 26, v40
	v_cmp_ne_u32_e32 vcc_lo, 0, v167
	v_ashrrev_i32_e32 v171, 31, v171
	v_lshlrev_b32_e32 v167, 25, v40
	v_ashrrev_i32_e32 v165, 31, v165
	v_xor_b32_e32 v39, vcc_lo, v39
	v_cmp_gt_i32_e32 vcc_lo, 0, v166
	v_not_b32_e32 v166, v168
	v_xor_b32_e32 v171, s22, v171
	v_cmp_gt_i32_e64 s22, 0, v168
	v_and_b32_e32 v39, exec_lo, v39
	v_not_b32_e32 v168, v169
	v_ashrrev_i32_e32 v166, 31, v166
	v_xor_b32_e32 v165, vcc_lo, v165
	v_cmp_gt_i32_e32 vcc_lo, 0, v169
	v_and_b32_e32 v39, v39, v171
	v_not_b32_e32 v169, v170
	v_ashrrev_i32_e32 v168, 31, v168
	v_xor_b32_e32 v166, s22, v166
	v_cmp_gt_i32_e64 s22, 0, v170
	v_and_b32_e32 v39, v39, v165
	v_not_b32_e32 v165, v167
	v_ashrrev_i32_e32 v169, 31, v169
	v_xor_b32_e32 v168, vcc_lo, v168
	v_cmp_gt_i32_e32 vcc_lo, 0, v167
	v_and_b32_e32 v39, v39, v166
	v_ashrrev_i32_e32 v165, 31, v165
	v_xor_b32_e32 v166, s22, v169
	v_mad_u32_u24 v167, v40, 36, v116
	v_mul_u32_u24_e32 v40, 36, v40
	v_and_b32_e32 v39, v39, v168
	v_xor_b32_e32 v168, vcc_lo, v165
	ds_read_b32 v165, v167 offset:544
	v_and_b32_e32 v39, v39, v166
	; wave barrier
	v_and_b32_e32 v39, v39, v168
	v_add_nc_u32_e32 v168, v116, v40
	v_mbcnt_lo_u32_b32 v166, v39, 0
	v_cmp_ne_u32_e64 s22, 0, v39
	v_cmp_eq_u32_e32 vcc_lo, 0, v166
	s_and_b32 s23, s22, vcc_lo
	s_and_saveexec_b32 s22, s23
	s_cbranch_execz .LBB399_759
; %bb.758:                              ;   in Loop: Header=BB399_722 Depth=2
	s_waitcnt lgkmcnt(0)
	v_bcnt_u32_b32 v39, v39, v165
	ds_write_b32 v168, v39 offset:544
.LBB399_759:                            ;   in Loop: Header=BB399_722 Depth=2
	s_or_b32 exec_lo, exec_lo, s22
	v_lshrrev_b32_e32 v167, 24, v144
	; wave barrier
	v_lshrrev_b32_e32 v39, s41, v167
	v_and_b32_e32 v40, s62, v39
	v_and_b32_e32 v39, 1, v40
	v_lshlrev_b32_e32 v169, 30, v40
	v_lshlrev_b32_e32 v170, 29, v40
	;; [unrolled: 1-line block ×4, first 2 shown]
	v_add_co_u32 v39, s22, v39, -1
	v_cndmask_b32_e64 v171, 0, 1, s22
	v_not_b32_e32 v175, v169
	v_cmp_gt_i32_e64 s22, 0, v169
	v_not_b32_e32 v169, v170
	v_lshlrev_b32_e32 v174, 26, v40
	v_cmp_ne_u32_e32 vcc_lo, 0, v171
	v_ashrrev_i32_e32 v175, 31, v175
	v_lshlrev_b32_e32 v171, 25, v40
	v_ashrrev_i32_e32 v169, 31, v169
	v_xor_b32_e32 v39, vcc_lo, v39
	v_cmp_gt_i32_e32 vcc_lo, 0, v170
	v_not_b32_e32 v170, v172
	v_xor_b32_e32 v175, s22, v175
	v_cmp_gt_i32_e64 s22, 0, v172
	v_and_b32_e32 v39, exec_lo, v39
	v_not_b32_e32 v172, v173
	v_ashrrev_i32_e32 v170, 31, v170
	v_xor_b32_e32 v169, vcc_lo, v169
	v_cmp_gt_i32_e32 vcc_lo, 0, v173
	v_and_b32_e32 v39, v39, v175
	v_not_b32_e32 v173, v174
	v_ashrrev_i32_e32 v172, 31, v172
	v_xor_b32_e32 v170, s22, v170
	v_cmp_gt_i32_e64 s22, 0, v174
	v_and_b32_e32 v39, v39, v169
	v_not_b32_e32 v169, v171
	v_ashrrev_i32_e32 v173, 31, v173
	v_xor_b32_e32 v172, vcc_lo, v172
	v_cmp_gt_i32_e32 vcc_lo, 0, v171
	v_and_b32_e32 v39, v39, v170
	v_ashrrev_i32_e32 v169, 31, v169
	v_xor_b32_e32 v170, s22, v173
	v_mad_u32_u24 v171, v40, 36, v116
	v_mul_u32_u24_e32 v40, 36, v40
	v_and_b32_e32 v39, v39, v172
	v_xor_b32_e32 v172, vcc_lo, v169
	ds_read_b32 v169, v171 offset:544
	v_add_nc_u32_e32 v171, v116, v40
	v_and_b32_e32 v39, v39, v170
	; wave barrier
	v_and_b32_e32 v39, v39, v172
	v_mbcnt_lo_u32_b32 v170, v39, 0
	v_cmp_ne_u32_e64 s22, 0, v39
	v_cmp_eq_u32_e32 vcc_lo, 0, v170
	s_and_b32 s23, s22, vcc_lo
	s_and_saveexec_b32 s22, s23
	s_cbranch_execz .LBB399_761
; %bb.760:                              ;   in Loop: Header=BB399_722 Depth=2
	s_waitcnt lgkmcnt(0)
	v_bcnt_u32_b32 v39, v39, v169
	ds_write_b32 v171, v39 offset:544
.LBB399_761:                            ;   in Loop: Header=BB399_722 Depth=2
	s_or_b32 exec_lo, exec_lo, s22
	v_xor_b32_e32 v39, 0x80, v142
	; wave barrier
	v_and_b32_sdwa v40, v92, v39 dst_sel:DWORD dst_unused:UNUSED_PAD src0_sel:DWORD src1_sel:BYTE_0
	v_lshrrev_b32_e32 v40, s41, v40
	v_and_b32_e32 v173, s62, v40
	v_and_b32_e32 v40, 1, v173
	v_lshlrev_b32_e32 v142, 30, v173
	v_lshlrev_b32_e32 v172, 29, v173
	;; [unrolled: 1-line block ×4, first 2 shown]
	v_add_co_u32 v40, s22, v40, -1
	v_cndmask_b32_e64 v174, 0, 1, s22
	v_not_b32_e32 v178, v142
	v_cmp_gt_i32_e64 s22, 0, v142
	v_not_b32_e32 v142, v172
	v_lshlrev_b32_e32 v177, 26, v173
	v_cmp_ne_u32_e32 vcc_lo, 0, v174
	v_ashrrev_i32_e32 v178, 31, v178
	v_lshlrev_b32_e32 v174, 25, v173
	v_ashrrev_i32_e32 v142, 31, v142
	v_xor_b32_e32 v40, vcc_lo, v40
	v_cmp_gt_i32_e32 vcc_lo, 0, v172
	v_not_b32_e32 v172, v175
	v_xor_b32_e32 v178, s22, v178
	v_cmp_gt_i32_e64 s22, 0, v175
	v_and_b32_e32 v40, exec_lo, v40
	v_not_b32_e32 v175, v176
	v_ashrrev_i32_e32 v172, 31, v172
	v_xor_b32_e32 v142, vcc_lo, v142
	v_cmp_gt_i32_e32 vcc_lo, 0, v176
	v_and_b32_e32 v40, v40, v178
	v_not_b32_e32 v176, v177
	v_ashrrev_i32_e32 v175, 31, v175
	v_xor_b32_e32 v172, s22, v172
	v_cmp_gt_i32_e64 s22, 0, v177
	v_and_b32_e32 v40, v40, v142
	v_not_b32_e32 v142, v174
	v_ashrrev_i32_e32 v176, 31, v176
	v_xor_b32_e32 v175, vcc_lo, v175
	v_cmp_gt_i32_e32 vcc_lo, 0, v174
	v_and_b32_e32 v40, v40, v172
	v_ashrrev_i32_e32 v142, 31, v142
	v_xor_b32_e32 v172, s22, v176
	v_mad_u32_u24 v174, v173, 36, v116
	v_mul_u32_u24_e32 v173, 36, v173
	v_and_b32_e32 v40, v40, v175
	v_xor_b32_e32 v175, vcc_lo, v142
	ds_read_b32 v142, v174 offset:544
	v_add_nc_u32_e32 v173, v116, v173
	v_and_b32_e32 v40, v40, v172
	; wave barrier
	v_and_b32_e32 v40, v40, v175
	v_mbcnt_lo_u32_b32 v172, v40, 0
	v_cmp_ne_u32_e64 s22, 0, v40
	v_cmp_eq_u32_e32 vcc_lo, 0, v172
	s_and_b32 s23, s22, vcc_lo
	s_and_saveexec_b32 s22, s23
	s_cbranch_execz .LBB399_763
; %bb.762:                              ;   in Loop: Header=BB399_722 Depth=2
	s_waitcnt lgkmcnt(0)
	v_bcnt_u32_b32 v40, v40, v142
	ds_write_b32 v173, v40 offset:544
.LBB399_763:                            ;   in Loop: Header=BB399_722 Depth=2
	s_or_b32 exec_lo, exec_lo, s22
	v_xor_b32_sdwa v40, v139, v93 dst_sel:BYTE_1 dst_unused:UNUSED_PAD src0_sel:DWORD src1_sel:DWORD
	v_xor_b32_e32 v140, 0x80, v140
	v_xor_b32_sdwa v141, v141, v93 dst_sel:BYTE_1 dst_unused:UNUSED_PAD src0_sel:DWORD src1_sel:DWORD
	; wave barrier
	v_or_b32_sdwa v139, v39, v40 dst_sel:DWORD dst_unused:UNUSED_PAD src0_sel:BYTE_0 src1_sel:DWORD
	v_or_b32_sdwa v39, v140, v141 dst_sel:WORD_1 dst_unused:UNUSED_PAD src0_sel:BYTE_0 src1_sel:DWORD
	v_or_b32_sdwa v140, v139, v39 dst_sel:DWORD dst_unused:UNUSED_PAD src0_sel:WORD_0 src1_sel:DWORD
	v_lshrrev_b32_sdwa v39, s41, v140 dst_sel:DWORD dst_unused:UNUSED_PAD src0_sel:DWORD src1_sel:BYTE_1
	v_and_b32_e32 v40, s62, v39
	v_and_b32_e32 v39, 1, v40
	v_lshlrev_b32_e32 v141, 30, v40
	v_lshlrev_b32_e32 v174, 29, v40
	v_lshlrev_b32_e32 v176, 28, v40
	v_lshlrev_b32_e32 v177, 27, v40
	v_add_co_u32 v39, s22, v39, -1
	v_cndmask_b32_e64 v175, 0, 1, s22
	v_not_b32_e32 v179, v141
	v_cmp_gt_i32_e64 s22, 0, v141
	v_not_b32_e32 v141, v174
	v_lshlrev_b32_e32 v178, 26, v40
	v_cmp_ne_u32_e32 vcc_lo, 0, v175
	v_ashrrev_i32_e32 v179, 31, v179
	v_lshlrev_b32_e32 v175, 25, v40
	v_ashrrev_i32_e32 v141, 31, v141
	v_xor_b32_e32 v39, vcc_lo, v39
	v_cmp_gt_i32_e32 vcc_lo, 0, v174
	v_not_b32_e32 v174, v176
	v_xor_b32_e32 v179, s22, v179
	v_cmp_gt_i32_e64 s22, 0, v176
	v_and_b32_e32 v39, exec_lo, v39
	v_not_b32_e32 v176, v177
	v_ashrrev_i32_e32 v174, 31, v174
	v_xor_b32_e32 v141, vcc_lo, v141
	v_cmp_gt_i32_e32 vcc_lo, 0, v177
	v_and_b32_e32 v39, v39, v179
	v_not_b32_e32 v177, v178
	v_ashrrev_i32_e32 v176, 31, v176
	v_xor_b32_e32 v174, s22, v174
	v_cmp_gt_i32_e64 s22, 0, v178
	v_and_b32_e32 v39, v39, v141
	v_not_b32_e32 v141, v175
	v_ashrrev_i32_e32 v177, 31, v177
	v_xor_b32_e32 v176, vcc_lo, v176
	v_cmp_gt_i32_e32 vcc_lo, 0, v175
	v_and_b32_e32 v39, v39, v174
	v_ashrrev_i32_e32 v141, 31, v141
	v_xor_b32_e32 v174, s22, v177
	v_mad_u32_u24 v175, v40, 36, v116
	v_mul_u32_u24_e32 v40, 36, v40
	v_and_b32_e32 v39, v39, v176
	v_xor_b32_e32 v176, vcc_lo, v141
	ds_read_b32 v141, v175 offset:544
	v_add_nc_u32_e32 v175, v116, v40
	v_and_b32_e32 v39, v39, v174
	; wave barrier
	v_and_b32_e32 v39, v39, v176
	v_mbcnt_lo_u32_b32 v174, v39, 0
	v_cmp_ne_u32_e64 s22, 0, v39
	v_cmp_eq_u32_e32 vcc_lo, 0, v174
	s_and_b32 s23, s22, vcc_lo
	s_and_saveexec_b32 s22, s23
	s_cbranch_execz .LBB399_765
; %bb.764:                              ;   in Loop: Header=BB399_722 Depth=2
	s_waitcnt lgkmcnt(0)
	v_bcnt_u32_b32 v39, v39, v141
	ds_write_b32 v175, v39 offset:544
.LBB399_765:                            ;   in Loop: Header=BB399_722 Depth=2
	s_or_b32 exec_lo, exec_lo, s22
	v_lshrrev_b32_sdwa v39, s41, v140 dst_sel:DWORD dst_unused:UNUSED_PAD src0_sel:DWORD src1_sel:BYTE_2
	; wave barrier
	v_and_b32_e32 v40, s62, v39
	v_and_b32_e32 v39, 1, v40
	v_lshlrev_b32_e32 v176, 30, v40
	v_lshlrev_b32_e32 v177, 29, v40
	;; [unrolled: 1-line block ×4, first 2 shown]
	v_add_co_u32 v39, s22, v39, -1
	v_cndmask_b32_e64 v178, 0, 1, s22
	v_not_b32_e32 v182, v176
	v_cmp_gt_i32_e64 s22, 0, v176
	v_not_b32_e32 v176, v177
	v_lshlrev_b32_e32 v181, 26, v40
	v_cmp_ne_u32_e32 vcc_lo, 0, v178
	v_ashrrev_i32_e32 v182, 31, v182
	v_lshlrev_b32_e32 v178, 25, v40
	v_ashrrev_i32_e32 v176, 31, v176
	v_xor_b32_e32 v39, vcc_lo, v39
	v_cmp_gt_i32_e32 vcc_lo, 0, v177
	v_not_b32_e32 v177, v179
	v_xor_b32_e32 v182, s22, v182
	v_cmp_gt_i32_e64 s22, 0, v179
	v_and_b32_e32 v39, exec_lo, v39
	v_not_b32_e32 v179, v180
	v_ashrrev_i32_e32 v177, 31, v177
	v_xor_b32_e32 v176, vcc_lo, v176
	v_cmp_gt_i32_e32 vcc_lo, 0, v180
	v_and_b32_e32 v39, v39, v182
	v_not_b32_e32 v180, v181
	v_ashrrev_i32_e32 v179, 31, v179
	v_xor_b32_e32 v177, s22, v177
	v_cmp_gt_i32_e64 s22, 0, v181
	v_and_b32_e32 v39, v39, v176
	v_not_b32_e32 v176, v178
	v_ashrrev_i32_e32 v180, 31, v180
	v_xor_b32_e32 v179, vcc_lo, v179
	v_cmp_gt_i32_e32 vcc_lo, 0, v178
	v_and_b32_e32 v39, v39, v177
	v_ashrrev_i32_e32 v176, 31, v176
	v_xor_b32_e32 v177, s22, v180
	v_mad_u32_u24 v178, v40, 36, v116
	v_mul_u32_u24_e32 v40, 36, v40
	v_and_b32_e32 v39, v39, v179
	v_xor_b32_e32 v179, vcc_lo, v176
	ds_read_b32 v176, v178 offset:544
	v_and_b32_e32 v39, v39, v177
	; wave barrier
	v_and_b32_e32 v39, v39, v179
	v_add_nc_u32_e32 v179, v116, v40
	v_mbcnt_lo_u32_b32 v177, v39, 0
	v_cmp_ne_u32_e64 s22, 0, v39
	v_cmp_eq_u32_e32 vcc_lo, 0, v177
	s_and_b32 s23, s22, vcc_lo
	s_and_saveexec_b32 s22, s23
	s_cbranch_execz .LBB399_767
; %bb.766:                              ;   in Loop: Header=BB399_722 Depth=2
	s_waitcnt lgkmcnt(0)
	v_bcnt_u32_b32 v39, v39, v176
	ds_write_b32 v179, v39 offset:544
.LBB399_767:                            ;   in Loop: Header=BB399_722 Depth=2
	s_or_b32 exec_lo, exec_lo, s22
	v_lshrrev_b32_e32 v178, 24, v140
	; wave barrier
	v_lshrrev_b32_e32 v39, s41, v178
	v_and_b32_e32 v40, s62, v39
	v_and_b32_e32 v39, 1, v40
	v_lshlrev_b32_e32 v180, 30, v40
	v_lshlrev_b32_e32 v181, 29, v40
	;; [unrolled: 1-line block ×4, first 2 shown]
	v_add_co_u32 v39, s22, v39, -1
	v_cndmask_b32_e64 v182, 0, 1, s22
	v_not_b32_e32 v186, v180
	v_cmp_gt_i32_e64 s22, 0, v180
	v_not_b32_e32 v180, v181
	v_lshlrev_b32_e32 v185, 26, v40
	v_cmp_ne_u32_e32 vcc_lo, 0, v182
	v_ashrrev_i32_e32 v186, 31, v186
	v_lshlrev_b32_e32 v182, 25, v40
	v_ashrrev_i32_e32 v180, 31, v180
	v_xor_b32_e32 v39, vcc_lo, v39
	v_cmp_gt_i32_e32 vcc_lo, 0, v181
	v_not_b32_e32 v181, v183
	v_xor_b32_e32 v186, s22, v186
	v_cmp_gt_i32_e64 s22, 0, v183
	v_and_b32_e32 v39, exec_lo, v39
	v_not_b32_e32 v183, v184
	v_ashrrev_i32_e32 v181, 31, v181
	v_xor_b32_e32 v180, vcc_lo, v180
	v_cmp_gt_i32_e32 vcc_lo, 0, v184
	v_and_b32_e32 v39, v39, v186
	v_not_b32_e32 v184, v185
	v_ashrrev_i32_e32 v183, 31, v183
	v_xor_b32_e32 v181, s22, v181
	v_cmp_gt_i32_e64 s22, 0, v185
	v_and_b32_e32 v39, v39, v180
	v_not_b32_e32 v180, v182
	v_ashrrev_i32_e32 v184, 31, v184
	v_xor_b32_e32 v183, vcc_lo, v183
	v_cmp_gt_i32_e32 vcc_lo, 0, v182
	v_and_b32_e32 v39, v39, v181
	v_ashrrev_i32_e32 v180, 31, v180
	v_xor_b32_e32 v181, s22, v184
	v_mad_u32_u24 v182, v40, 36, v116
	v_mul_u32_u24_e32 v40, 36, v40
	v_and_b32_e32 v39, v39, v183
	v_xor_b32_e32 v183, vcc_lo, v180
	ds_read_b32 v180, v182 offset:544
	v_add_nc_u32_e32 v182, v116, v40
	v_and_b32_e32 v39, v39, v181
	; wave barrier
	v_and_b32_e32 v39, v39, v183
	v_mbcnt_lo_u32_b32 v181, v39, 0
	v_cmp_ne_u32_e64 s22, 0, v39
	v_cmp_eq_u32_e32 vcc_lo, 0, v181
	s_and_b32 s23, s22, vcc_lo
	s_and_saveexec_b32 s22, s23
	s_cbranch_execz .LBB399_769
; %bb.768:                              ;   in Loop: Header=BB399_722 Depth=2
	s_waitcnt lgkmcnt(0)
	v_bcnt_u32_b32 v39, v39, v180
	ds_write_b32 v182, v39 offset:544
.LBB399_769:                            ;   in Loop: Header=BB399_722 Depth=2
	s_or_b32 exec_lo, exec_lo, s22
	v_xor_b32_e32 v39, 0x80, v137
	; wave barrier
	v_and_b32_sdwa v40, v92, v39 dst_sel:DWORD dst_unused:UNUSED_PAD src0_sel:DWORD src1_sel:BYTE_0
	v_lshrrev_b32_e32 v40, s41, v40
	v_and_b32_e32 v184, s62, v40
	v_and_b32_e32 v40, 1, v184
	v_lshlrev_b32_e32 v137, 30, v184
	v_lshlrev_b32_e32 v183, 29, v184
	;; [unrolled: 1-line block ×4, first 2 shown]
	v_add_co_u32 v40, s22, v40, -1
	v_cndmask_b32_e64 v185, 0, 1, s22
	v_not_b32_e32 v189, v137
	v_cmp_gt_i32_e64 s22, 0, v137
	v_not_b32_e32 v137, v183
	v_lshlrev_b32_e32 v188, 26, v184
	v_cmp_ne_u32_e32 vcc_lo, 0, v185
	v_ashrrev_i32_e32 v189, 31, v189
	v_lshlrev_b32_e32 v185, 25, v184
	v_ashrrev_i32_e32 v137, 31, v137
	v_xor_b32_e32 v40, vcc_lo, v40
	v_cmp_gt_i32_e32 vcc_lo, 0, v183
	v_not_b32_e32 v183, v186
	v_xor_b32_e32 v189, s22, v189
	v_cmp_gt_i32_e64 s22, 0, v186
	v_and_b32_e32 v40, exec_lo, v40
	v_not_b32_e32 v186, v187
	v_ashrrev_i32_e32 v183, 31, v183
	v_xor_b32_e32 v137, vcc_lo, v137
	v_cmp_gt_i32_e32 vcc_lo, 0, v187
	v_and_b32_e32 v40, v40, v189
	v_not_b32_e32 v187, v188
	v_ashrrev_i32_e32 v186, 31, v186
	v_xor_b32_e32 v183, s22, v183
	v_cmp_gt_i32_e64 s22, 0, v188
	v_and_b32_e32 v40, v40, v137
	v_not_b32_e32 v137, v185
	v_ashrrev_i32_e32 v187, 31, v187
	v_xor_b32_e32 v186, vcc_lo, v186
	v_cmp_gt_i32_e32 vcc_lo, 0, v185
	v_and_b32_e32 v40, v40, v183
	v_ashrrev_i32_e32 v137, 31, v137
	v_xor_b32_e32 v183, s22, v187
	v_mad_u32_u24 v185, v184, 36, v116
	v_mul_u32_u24_e32 v184, 36, v184
	v_and_b32_e32 v40, v40, v186
	v_xor_b32_e32 v186, vcc_lo, v137
	ds_read_b32 v137, v185 offset:544
	v_add_nc_u32_e32 v185, v116, v184
	v_and_b32_e32 v40, v40, v183
	; wave barrier
	v_and_b32_e32 v40, v40, v186
	v_mbcnt_lo_u32_b32 v183, v40, 0
	v_cmp_ne_u32_e64 s22, 0, v40
	v_cmp_eq_u32_e32 vcc_lo, 0, v183
	s_and_b32 s23, s22, vcc_lo
	s_and_saveexec_b32 s22, s23
	s_cbranch_execz .LBB399_771
; %bb.770:                              ;   in Loop: Header=BB399_722 Depth=2
	s_waitcnt lgkmcnt(0)
	v_bcnt_u32_b32 v40, v40, v137
	ds_write_b32 v185, v40 offset:544
.LBB399_771:                            ;   in Loop: Header=BB399_722 Depth=2
	s_or_b32 exec_lo, exec_lo, s22
	v_xor_b32_sdwa v3, v3, v93 dst_sel:BYTE_1 dst_unused:UNUSED_PAD src0_sel:DWORD src1_sel:DWORD
	v_xor_b32_e32 v40, 0x80, v41
	v_xor_b32_sdwa v41, v42, v93 dst_sel:BYTE_1 dst_unused:UNUSED_PAD src0_sel:DWORD src1_sel:DWORD
	; wave barrier
	v_or_b32_sdwa v184, v39, v3 dst_sel:DWORD dst_unused:UNUSED_PAD src0_sel:BYTE_0 src1_sel:DWORD
	v_or_b32_sdwa v3, v40, v41 dst_sel:WORD_1 dst_unused:UNUSED_PAD src0_sel:BYTE_0 src1_sel:DWORD
	v_or_b32_sdwa v3, v184, v3 dst_sel:DWORD dst_unused:UNUSED_PAD src0_sel:WORD_0 src1_sel:DWORD
	v_lshrrev_b32_sdwa v39, s41, v3 dst_sel:DWORD dst_unused:UNUSED_PAD src0_sel:DWORD src1_sel:BYTE_1
	v_and_b32_e32 v40, s62, v39
	v_and_b32_e32 v39, 1, v40
	v_lshlrev_b32_e32 v41, 30, v40
	v_lshlrev_b32_e32 v42, 29, v40
	;; [unrolled: 1-line block ×4, first 2 shown]
	v_add_co_u32 v39, s22, v39, -1
	v_cndmask_b32_e64 v186, 0, 1, s22
	v_not_b32_e32 v190, v41
	v_cmp_gt_i32_e64 s22, 0, v41
	v_not_b32_e32 v41, v42
	v_lshlrev_b32_e32 v189, 26, v40
	v_cmp_ne_u32_e32 vcc_lo, 0, v186
	v_ashrrev_i32_e32 v190, 31, v190
	v_lshlrev_b32_e32 v186, 25, v40
	v_ashrrev_i32_e32 v41, 31, v41
	v_xor_b32_e32 v39, vcc_lo, v39
	v_cmp_gt_i32_e32 vcc_lo, 0, v42
	v_not_b32_e32 v42, v187
	v_xor_b32_e32 v190, s22, v190
	v_cmp_gt_i32_e64 s22, 0, v187
	v_and_b32_e32 v39, exec_lo, v39
	v_not_b32_e32 v187, v188
	v_ashrrev_i32_e32 v42, 31, v42
	v_xor_b32_e32 v41, vcc_lo, v41
	v_cmp_gt_i32_e32 vcc_lo, 0, v188
	v_and_b32_e32 v39, v39, v190
	v_not_b32_e32 v188, v189
	v_ashrrev_i32_e32 v187, 31, v187
	v_xor_b32_e32 v42, s22, v42
	v_cmp_gt_i32_e64 s22, 0, v189
	v_and_b32_e32 v39, v39, v41
	v_not_b32_e32 v41, v186
	v_ashrrev_i32_e32 v188, 31, v188
	v_xor_b32_e32 v187, vcc_lo, v187
	v_cmp_gt_i32_e32 vcc_lo, 0, v186
	v_and_b32_e32 v39, v39, v42
	v_ashrrev_i32_e32 v41, 31, v41
	v_xor_b32_e32 v42, s22, v188
	v_mad_u32_u24 v186, v40, 36, v116
	v_mul_u32_u24_e32 v40, 36, v40
	v_and_b32_e32 v39, v39, v187
	v_xor_b32_e32 v41, vcc_lo, v41
	ds_read_b32 v186, v186 offset:544
	v_add_nc_u32_e32 v188, v116, v40
	v_and_b32_e32 v39, v39, v42
	; wave barrier
	v_and_b32_e32 v39, v39, v41
	v_mbcnt_lo_u32_b32 v187, v39, 0
	v_cmp_ne_u32_e64 s22, 0, v39
	v_cmp_eq_u32_e32 vcc_lo, 0, v187
	s_and_b32 s23, s22, vcc_lo
	s_and_saveexec_b32 s22, s23
	s_cbranch_execz .LBB399_773
; %bb.772:                              ;   in Loop: Header=BB399_722 Depth=2
	s_waitcnt lgkmcnt(0)
	v_bcnt_u32_b32 v39, v39, v186
	ds_write_b32 v188, v39 offset:544
.LBB399_773:                            ;   in Loop: Header=BB399_722 Depth=2
	s_or_b32 exec_lo, exec_lo, s22
	v_lshrrev_b32_sdwa v39, s41, v3 dst_sel:DWORD dst_unused:UNUSED_PAD src0_sel:DWORD src1_sel:BYTE_2
	; wave barrier
	v_and_b32_e32 v40, s62, v39
	v_and_b32_e32 v39, 1, v40
	v_lshlrev_b32_e32 v41, 30, v40
	v_lshlrev_b32_e32 v42, 29, v40
	;; [unrolled: 1-line block ×4, first 2 shown]
	v_add_co_u32 v39, s22, v39, -1
	v_cndmask_b32_e64 v189, 0, 1, s22
	v_not_b32_e32 v193, v41
	v_cmp_gt_i32_e64 s22, 0, v41
	v_not_b32_e32 v41, v42
	v_lshlrev_b32_e32 v192, 26, v40
	v_cmp_ne_u32_e32 vcc_lo, 0, v189
	v_ashrrev_i32_e32 v193, 31, v193
	v_lshlrev_b32_e32 v189, 25, v40
	v_ashrrev_i32_e32 v41, 31, v41
	v_xor_b32_e32 v39, vcc_lo, v39
	v_cmp_gt_i32_e32 vcc_lo, 0, v42
	v_not_b32_e32 v42, v190
	v_xor_b32_e32 v193, s22, v193
	v_cmp_gt_i32_e64 s22, 0, v190
	v_and_b32_e32 v39, exec_lo, v39
	v_not_b32_e32 v190, v191
	v_ashrrev_i32_e32 v42, 31, v42
	v_xor_b32_e32 v41, vcc_lo, v41
	v_cmp_gt_i32_e32 vcc_lo, 0, v191
	v_and_b32_e32 v39, v39, v193
	v_not_b32_e32 v191, v192
	v_ashrrev_i32_e32 v190, 31, v190
	v_xor_b32_e32 v42, s22, v42
	v_cmp_gt_i32_e64 s22, 0, v192
	v_and_b32_e32 v39, v39, v41
	v_not_b32_e32 v41, v189
	v_ashrrev_i32_e32 v191, 31, v191
	v_xor_b32_e32 v190, vcc_lo, v190
	v_cmp_gt_i32_e32 vcc_lo, 0, v189
	v_and_b32_e32 v39, v39, v42
	v_ashrrev_i32_e32 v41, 31, v41
	v_xor_b32_e32 v42, s22, v191
	v_mad_u32_u24 v189, v40, 36, v116
	v_mul_u32_u24_e32 v40, 36, v40
	v_and_b32_e32 v39, v39, v190
	v_xor_b32_e32 v41, vcc_lo, v41
	ds_read_b32 v189, v189 offset:544
	v_add_nc_u32_e32 v192, v116, v40
	v_and_b32_e32 v39, v39, v42
	; wave barrier
	v_and_b32_e32 v39, v39, v41
	v_mbcnt_lo_u32_b32 v190, v39, 0
	v_cmp_ne_u32_e64 s22, 0, v39
	v_cmp_eq_u32_e32 vcc_lo, 0, v190
	s_and_b32 s23, s22, vcc_lo
	s_and_saveexec_b32 s22, s23
	s_cbranch_execz .LBB399_775
; %bb.774:                              ;   in Loop: Header=BB399_722 Depth=2
	s_waitcnt lgkmcnt(0)
	v_bcnt_u32_b32 v39, v39, v189
	ds_write_b32 v192, v39 offset:544
.LBB399_775:                            ;   in Loop: Header=BB399_722 Depth=2
	s_or_b32 exec_lo, exec_lo, s22
	v_lshrrev_b32_e32 v191, 24, v3
	; wave barrier
	v_lshrrev_b32_e32 v39, s41, v191
	v_and_b32_e32 v40, s62, v39
	v_and_b32_e32 v39, 1, v40
	v_lshlrev_b32_e32 v41, 30, v40
	v_lshlrev_b32_e32 v42, 29, v40
	;; [unrolled: 1-line block ×4, first 2 shown]
	v_add_co_u32 v39, s22, v39, -1
	v_cndmask_b32_e64 v193, 0, 1, s22
	v_not_b32_e32 v197, v41
	v_cmp_gt_i32_e64 s22, 0, v41
	v_not_b32_e32 v41, v42
	v_lshlrev_b32_e32 v196, 26, v40
	v_cmp_ne_u32_e32 vcc_lo, 0, v193
	v_ashrrev_i32_e32 v197, 31, v197
	v_lshlrev_b32_e32 v193, 25, v40
	v_ashrrev_i32_e32 v41, 31, v41
	v_xor_b32_e32 v39, vcc_lo, v39
	v_cmp_gt_i32_e32 vcc_lo, 0, v42
	v_not_b32_e32 v42, v194
	v_xor_b32_e32 v197, s22, v197
	v_cmp_gt_i32_e64 s22, 0, v194
	v_and_b32_e32 v39, exec_lo, v39
	v_not_b32_e32 v194, v195
	v_ashrrev_i32_e32 v42, 31, v42
	v_xor_b32_e32 v41, vcc_lo, v41
	v_cmp_gt_i32_e32 vcc_lo, 0, v195
	v_and_b32_e32 v39, v39, v197
	v_not_b32_e32 v195, v196
	v_ashrrev_i32_e32 v194, 31, v194
	v_xor_b32_e32 v42, s22, v42
	v_cmp_gt_i32_e64 s22, 0, v196
	v_and_b32_e32 v39, v39, v41
	v_not_b32_e32 v41, v193
	v_ashrrev_i32_e32 v195, 31, v195
	v_xor_b32_e32 v194, vcc_lo, v194
	v_cmp_gt_i32_e32 vcc_lo, 0, v193
	v_and_b32_e32 v39, v39, v42
	v_ashrrev_i32_e32 v41, 31, v41
	v_xor_b32_e32 v42, s22, v195
	v_mad_u32_u24 v193, v40, 36, v116
	v_mul_u32_u24_e32 v40, 36, v40
	v_and_b32_e32 v39, v39, v194
	v_xor_b32_e32 v41, vcc_lo, v41
	ds_read_b32 v193, v193 offset:544
	v_add_nc_u32_e32 v195, v116, v40
	v_and_b32_e32 v39, v39, v42
	; wave barrier
	v_and_b32_e32 v39, v39, v41
	v_mbcnt_lo_u32_b32 v194, v39, 0
	v_cmp_ne_u32_e64 s22, 0, v39
	v_cmp_eq_u32_e32 vcc_lo, 0, v194
	s_and_b32 s23, s22, vcc_lo
	s_and_saveexec_b32 s22, s23
	s_cbranch_execz .LBB399_777
; %bb.776:                              ;   in Loop: Header=BB399_722 Depth=2
	s_waitcnt lgkmcnt(0)
	v_bcnt_u32_b32 v39, v39, v193
	ds_write_b32 v195, v39 offset:544
.LBB399_777:                            ;   in Loop: Header=BB399_722 Depth=2
	s_or_b32 exec_lo, exec_lo, s22
	v_xor_b32_e32 v117, 0xffffff80, v117
	; wave barrier
	v_lshrrev_b32_sdwa v39, s41, v117 dst_sel:DWORD dst_unused:UNUSED_PAD src0_sel:DWORD src1_sel:BYTE_0
	v_and_b32_e32 v40, s62, v39
	v_and_b32_e32 v39, 1, v40
	v_lshlrev_b32_e32 v41, 30, v40
	v_lshlrev_b32_e32 v42, 29, v40
	;; [unrolled: 1-line block ×4, first 2 shown]
	v_add_co_u32 v39, s22, v39, -1
	v_cndmask_b32_e64 v196, 0, 1, s22
	v_not_b32_e32 v200, v41
	v_cmp_gt_i32_e64 s22, 0, v41
	v_not_b32_e32 v41, v42
	v_lshlrev_b32_e32 v199, 26, v40
	v_cmp_ne_u32_e32 vcc_lo, 0, v196
	v_ashrrev_i32_e32 v200, 31, v200
	v_lshlrev_b32_e32 v196, 25, v40
	v_ashrrev_i32_e32 v41, 31, v41
	v_xor_b32_e32 v39, vcc_lo, v39
	v_cmp_gt_i32_e32 vcc_lo, 0, v42
	v_not_b32_e32 v42, v197
	v_xor_b32_e32 v200, s22, v200
	v_cmp_gt_i32_e64 s22, 0, v197
	v_and_b32_e32 v39, exec_lo, v39
	v_not_b32_e32 v197, v198
	v_ashrrev_i32_e32 v42, 31, v42
	v_xor_b32_e32 v41, vcc_lo, v41
	v_cmp_gt_i32_e32 vcc_lo, 0, v198
	v_and_b32_e32 v39, v39, v200
	v_not_b32_e32 v198, v199
	v_ashrrev_i32_e32 v197, 31, v197
	v_xor_b32_e32 v42, s22, v42
	v_cmp_gt_i32_e64 s22, 0, v199
	v_and_b32_e32 v39, v39, v41
	v_not_b32_e32 v41, v196
	v_ashrrev_i32_e32 v198, 31, v198
	v_xor_b32_e32 v197, vcc_lo, v197
	v_cmp_gt_i32_e32 vcc_lo, 0, v196
	v_and_b32_e32 v39, v39, v42
	v_ashrrev_i32_e32 v41, 31, v41
	v_xor_b32_e32 v42, s22, v198
	v_mad_u32_u24 v196, v40, 36, v116
	v_mul_u32_u24_e32 v40, 36, v40
	v_and_b32_e32 v39, v39, v197
	v_xor_b32_e32 v41, vcc_lo, v41
	ds_read_b32 v196, v196 offset:544
	v_add_nc_u32_e32 v198, v116, v40
	v_and_b32_e32 v39, v39, v42
	; wave barrier
	v_and_b32_e32 v39, v39, v41
	v_mbcnt_lo_u32_b32 v197, v39, 0
	v_cmp_ne_u32_e64 s22, 0, v39
	v_cmp_eq_u32_e32 vcc_lo, 0, v197
	s_and_b32 s23, s22, vcc_lo
	s_and_saveexec_b32 s22, s23
	s_cbranch_execz .LBB399_779
; %bb.778:                              ;   in Loop: Header=BB399_722 Depth=2
	s_waitcnt lgkmcnt(0)
	v_bcnt_u32_b32 v39, v39, v196
	ds_write_b32 v198, v39 offset:544
.LBB399_779:                            ;   in Loop: Header=BB399_722 Depth=2
	s_or_b32 exec_lo, exec_lo, s22
	; wave barrier
	s_waitcnt lgkmcnt(0)
	s_barrier
	buffer_gl0_inv
	ds_read2_b32 v[41:42], v69 offset0:136 offset1:137
	ds_read2_b32 v[39:40], v69 offset0:138 offset1:139
	ds_read_b32 v199, v69 offset:560
	s_waitcnt lgkmcnt(1)
	v_add3_u32 v200, v42, v41, v39
	s_waitcnt lgkmcnt(0)
	v_add3_u32 v199, v200, v40, v199
	v_mov_b32_dpp v200, v199 row_shr:1 row_mask:0xf bank_mask:0xf
	v_cndmask_b32_e64 v200, v200, 0, s5
	v_add_nc_u32_e32 v199, v200, v199
	v_mov_b32_dpp v200, v199 row_shr:2 row_mask:0xf bank_mask:0xf
	v_cndmask_b32_e64 v200, 0, v200, s14
	v_add_nc_u32_e32 v199, v199, v200
	;; [unrolled: 3-line block ×4, first 2 shown]
	ds_swizzle_b32 v200, v199 offset:swizzle(BROADCAST,32,15)
	s_waitcnt lgkmcnt(0)
	v_cndmask_b32_e64 v200, v200, 0, s17
	v_add_nc_u32_e32 v199, v199, v200
	s_and_saveexec_b32 s22, s4
; %bb.780:                              ;   in Loop: Header=BB399_722 Depth=2
	ds_write_b32 v62, v199 offset:512
; %bb.781:                              ;   in Loop: Header=BB399_722 Depth=2
	s_or_b32 exec_lo, exec_lo, s22
	s_waitcnt lgkmcnt(0)
	s_barrier
	buffer_gl0_inv
	s_and_saveexec_b32 s22, s11
	s_cbranch_execz .LBB399_783
; %bb.782:                              ;   in Loop: Header=BB399_722 Depth=2
	ds_read_b32 v200, v70 offset:512
	s_waitcnt lgkmcnt(0)
	v_mov_b32_dpp v201, v200 row_shr:1 row_mask:0xf bank_mask:0xf
	v_cndmask_b32_e64 v201, v201, 0, s19
	v_add_nc_u32_e32 v200, v201, v200
	v_mov_b32_dpp v201, v200 row_shr:2 row_mask:0xf bank_mask:0xf
	v_cndmask_b32_e64 v201, 0, v201, s20
	v_add_nc_u32_e32 v200, v200, v201
	;; [unrolled: 3-line block ×3, first 2 shown]
	ds_write_b32 v70, v200 offset:512
.LBB399_783:                            ;   in Loop: Header=BB399_722 Depth=2
	s_or_b32 exec_lo, exec_lo, s22
	v_mov_b32_e32 v200, 0
	s_waitcnt lgkmcnt(0)
	s_barrier
	buffer_gl0_inv
	s_and_saveexec_b32 s22, s10
; %bb.784:                              ;   in Loop: Header=BB399_722 Depth=2
	ds_read_b32 v200, v62 offset:508
; %bb.785:                              ;   in Loop: Header=BB399_722 Depth=2
	s_or_b32 exec_lo, exec_lo, s22
	s_waitcnt lgkmcnt(0)
	v_add_nc_u32_e32 v199, v200, v199
	ds_bpermute_b32 v199, v94, v199
	s_waitcnt lgkmcnt(0)
	v_cndmask_b32_e64 v199, v199, v200, s18
	v_cndmask_b32_e64 v199, v199, 0, s12
	v_add_nc_u32_e32 v41, v199, v41
	v_add_nc_u32_e32 v42, v41, v42
	;; [unrolled: 1-line block ×4, first 2 shown]
	ds_write2_b32 v69, v199, v41 offset0:136 offset1:137
	ds_write2_b32 v69, v42, v39 offset0:138 offset1:139
	ds_write_b32 v69, v40 offset:560
	s_waitcnt lgkmcnt(0)
	s_barrier
	buffer_gl0_inv
	ds_read_b32 v39, v149 offset:544
	ds_read_b32 v40, v153 offset:544
	ds_read_b32 v41, v157 offset:544
	ds_read_b32 v42, v160 offset:544
	ds_read_b32 v149, v162 offset:544
	ds_read_b32 v160, v164 offset:544
	ds_read_b32 v162, v168 offset:544
	ds_read_b32 v164, v171 offset:544
	ds_read_b32 v168, v173 offset:544
	ds_read_b32 v171, v175 offset:544
	ds_read_b32 v173, v179 offset:544
	ds_read_b32 v175, v182 offset:544
	ds_read_b32 v179, v185 offset:544
	ds_read_b32 v182, v188 offset:544
	ds_read_b32 v185, v192 offset:544
	ds_read_b32 v188, v195 offset:544
	ds_read_b32 v192, v198 offset:544
	s_and_saveexec_b32 s22, s7
	s_cbranch_execz .LBB399_789
; %bb.786:                              ;   in Loop: Header=BB399_722 Depth=2
	v_add_nc_u32_e32 v135, v70, v72
	v_mov_b32_e32 v136, 0x1100
	ds_read_b32 v135, v135 offset:544
	s_and_saveexec_b32 s23, s13
; %bb.787:                              ;   in Loop: Header=BB399_722 Depth=2
	ds_read_b32 v136, v71 offset:544
; %bb.788:                              ;   in Loop: Header=BB399_722 Depth=2
	s_or_b32 exec_lo, exec_lo, s23
	s_waitcnt lgkmcnt(0)
	v_sub_nc_u32_e32 v136, v136, v135
.LBB399_789:                            ;   in Loop: Header=BB399_722 Depth=2
	s_or_b32 exec_lo, exec_lo, s22
	v_lshrrev_b32_e32 v203, 8, v148
	v_lshrrev_b32_e32 v204, 16, v148
	;; [unrolled: 1-line block ×8, first 2 shown]
	s_waitcnt lgkmcnt(0)
	s_barrier
	buffer_gl0_inv
	s_and_saveexec_b32 s22, s7
	s_cbranch_execz .LBB399_791
; %bb.790:                              ;   in Loop: Header=BB399_722 Depth=2
	ds_read_b32 v3, v43
	s_waitcnt lgkmcnt(0)
	v_sub_nc_u32_e32 v3, v3, v135
	ds_write_b32 v43, v3
.LBB399_791:                            ;   in Loop: Header=BB399_722 Depth=2
	s_or_b32 exec_lo, exec_lo, s22
	v_add_nc_u32_e32 v157, v39, v146
	v_add3_u32 v153, v152, v151, v40
	v_add3_u32 v152, v155, v154, v41
	;; [unrolled: 1-line block ×16, first 2 shown]
	v_cmp_lt_u32_e64 s39, v0, v138
	ds_write_b8 v157, v147 offset:512
	ds_write_b8 v153, v203 offset:512
	;; [unrolled: 1-line block ×17, first 2 shown]
	s_waitcnt lgkmcnt(0)
	s_barrier
	buffer_gl0_inv
	s_and_saveexec_b32 s22, s39
	s_cbranch_execnz .LBB399_864
; %bb.792:                              ;   in Loop: Header=BB399_722 Depth=2
	s_or_b32 exec_lo, exec_lo, s22
	v_cmp_lt_u32_e64 s38, v44, v138
	s_and_saveexec_b32 s22, s38
	s_cbranch_execnz .LBB399_865
.LBB399_793:                            ;   in Loop: Header=BB399_722 Depth=2
	s_or_b32 exec_lo, exec_lo, s22
	v_cmp_lt_u32_e64 s37, v47, v138
	s_and_saveexec_b32 s22, s37
	s_cbranch_execnz .LBB399_866
.LBB399_794:                            ;   in Loop: Header=BB399_722 Depth=2
	s_or_b32 exec_lo, exec_lo, s22
	v_cmp_lt_u32_e64 s36, v48, v138
	s_and_saveexec_b32 s22, s36
	s_cbranch_execnz .LBB399_867
.LBB399_795:                            ;   in Loop: Header=BB399_722 Depth=2
	s_or_b32 exec_lo, exec_lo, s22
	v_cmp_lt_u32_e64 s35, v49, v138
	s_and_saveexec_b32 s22, s35
	s_cbranch_execnz .LBB399_868
.LBB399_796:                            ;   in Loop: Header=BB399_722 Depth=2
	s_or_b32 exec_lo, exec_lo, s22
	v_cmp_lt_u32_e64 s34, v50, v138
	s_and_saveexec_b32 s22, s34
	s_cbranch_execnz .LBB399_869
.LBB399_797:                            ;   in Loop: Header=BB399_722 Depth=2
	s_or_b32 exec_lo, exec_lo, s22
	v_cmp_lt_u32_e64 s33, v51, v138
	s_and_saveexec_b32 s22, s33
	s_cbranch_execnz .LBB399_870
.LBB399_798:                            ;   in Loop: Header=BB399_722 Depth=2
	s_or_b32 exec_lo, exec_lo, s22
	v_cmp_lt_u32_e64 s31, v52, v138
	s_and_saveexec_b32 s22, s31
	s_cbranch_execnz .LBB399_871
.LBB399_799:                            ;   in Loop: Header=BB399_722 Depth=2
	s_or_b32 exec_lo, exec_lo, s22
	v_cmp_lt_u32_e64 s30, v53, v138
	s_and_saveexec_b32 s22, s30
	s_cbranch_execnz .LBB399_872
.LBB399_800:                            ;   in Loop: Header=BB399_722 Depth=2
	s_or_b32 exec_lo, exec_lo, s22
	v_cmp_lt_u32_e64 s29, v54, v138
	s_and_saveexec_b32 s22, s29
	s_cbranch_execnz .LBB399_873
.LBB399_801:                            ;   in Loop: Header=BB399_722 Depth=2
	s_or_b32 exec_lo, exec_lo, s22
	v_cmp_lt_u32_e64 s27, v55, v138
	s_and_saveexec_b32 s22, s27
	s_cbranch_execnz .LBB399_874
.LBB399_802:                            ;   in Loop: Header=BB399_722 Depth=2
	s_or_b32 exec_lo, exec_lo, s22
	v_cmp_lt_u32_e64 s26, v56, v138
	s_and_saveexec_b32 s22, s26
	s_cbranch_execnz .LBB399_875
.LBB399_803:                            ;   in Loop: Header=BB399_722 Depth=2
	s_or_b32 exec_lo, exec_lo, s22
	v_cmp_lt_u32_e64 s25, v57, v138
	s_and_saveexec_b32 s22, s25
	s_cbranch_execnz .LBB399_876
.LBB399_804:                            ;   in Loop: Header=BB399_722 Depth=2
	s_or_b32 exec_lo, exec_lo, s22
	v_cmp_lt_u32_e64 s24, v58, v138
	s_and_saveexec_b32 s22, s24
	s_cbranch_execnz .LBB399_877
.LBB399_805:                            ;   in Loop: Header=BB399_722 Depth=2
	s_or_b32 exec_lo, exec_lo, s22
	v_cmp_lt_u32_e64 s23, v59, v138
	s_and_saveexec_b32 s22, s23
	s_cbranch_execnz .LBB399_878
.LBB399_806:                            ;   in Loop: Header=BB399_722 Depth=2
	s_or_b32 exec_lo, exec_lo, s22
	v_cmp_lt_u32_e64 s22, v60, v138
	s_and_saveexec_b32 s40, s22
	s_cbranch_execnz .LBB399_879
.LBB399_807:                            ;   in Loop: Header=BB399_722 Depth=2
	s_or_b32 exec_lo, exec_lo, s40
	v_cmp_lt_u32_e32 vcc_lo, v61, v138
	s_and_saveexec_b32 s40, vcc_lo
	s_cbranch_execz .LBB399_809
.LBB399_808:                            ;   in Loop: Header=BB399_722 Depth=2
	ds_read_u8 v39, v0 offset:4608
	s_waitcnt lgkmcnt(0)
	v_lshrrev_b32_sdwa v40, s41, v39 dst_sel:DWORD dst_unused:UNUSED_PAD src0_sel:DWORD src1_sel:BYTE_0
	v_xor_b32_e32 v39, 0x80, v39
	v_and_b32_e32 v40, s62, v40
	v_lshlrev_b32_e32 v40, 2, v40
	ds_read_b32 v40, v40
	s_waitcnt lgkmcnt(0)
	v_add_nc_u32_e32 v40, v40, v61
	global_store_byte v40, v39, s[46:47]
.LBB399_809:                            ;   in Loop: Header=BB399_722 Depth=2
	s_or_b32 exec_lo, exec_lo, s40
	s_lshl_b64 s[66:67], s[50:51], 3
	v_add_co_u32 v39, s40, v98, s66
	v_add_co_ci_u32_e64 v40, null, s67, v99, s40
	v_cmp_lt_u32_e64 s40, v95, v138
	s_and_saveexec_b32 s50, s40
	s_xor_b32 s40, exec_lo, s50
	s_cbranch_execnz .LBB399_880
; %bb.810:                              ;   in Loop: Header=BB399_722 Depth=2
	s_or_b32 exec_lo, exec_lo, s40
	s_mov_b32 s50, exec_lo
	v_cmpx_lt_u32_e64 v100, v138
	s_cbranch_execnz .LBB399_881
.LBB399_811:                            ;   in Loop: Header=BB399_722 Depth=2
	s_or_b32 exec_lo, exec_lo, s50
	s_mov_b32 s50, exec_lo
	v_cmpx_lt_u32_e64 v101, v138
	s_cbranch_execnz .LBB399_882
.LBB399_812:                            ;   in Loop: Header=BB399_722 Depth=2
	s_or_b32 exec_lo, exec_lo, s50
	s_mov_b32 s50, exec_lo
	v_cmpx_lt_u32_e64 v102, v138
	s_cbranch_execnz .LBB399_883
.LBB399_813:                            ;   in Loop: Header=BB399_722 Depth=2
	s_or_b32 exec_lo, exec_lo, s50
	s_mov_b32 s50, exec_lo
	v_cmpx_lt_u32_e64 v103, v138
	s_cbranch_execnz .LBB399_884
.LBB399_814:                            ;   in Loop: Header=BB399_722 Depth=2
	s_or_b32 exec_lo, exec_lo, s50
	s_mov_b32 s50, exec_lo
	v_cmpx_lt_u32_e64 v104, v138
	s_cbranch_execnz .LBB399_885
.LBB399_815:                            ;   in Loop: Header=BB399_722 Depth=2
	s_or_b32 exec_lo, exec_lo, s50
	s_mov_b32 s50, exec_lo
	v_cmpx_lt_u32_e64 v105, v138
	s_cbranch_execnz .LBB399_886
.LBB399_816:                            ;   in Loop: Header=BB399_722 Depth=2
	s_or_b32 exec_lo, exec_lo, s50
	s_mov_b32 s50, exec_lo
	v_cmpx_lt_u32_e64 v106, v138
	s_cbranch_execnz .LBB399_887
.LBB399_817:                            ;   in Loop: Header=BB399_722 Depth=2
	s_or_b32 exec_lo, exec_lo, s50
	s_mov_b32 s50, exec_lo
	v_cmpx_lt_u32_e64 v107, v138
	s_cbranch_execnz .LBB399_888
.LBB399_818:                            ;   in Loop: Header=BB399_722 Depth=2
	s_or_b32 exec_lo, exec_lo, s50
	s_mov_b32 s50, exec_lo
	v_cmpx_lt_u32_e64 v108, v138
	s_cbranch_execnz .LBB399_889
.LBB399_819:                            ;   in Loop: Header=BB399_722 Depth=2
	s_or_b32 exec_lo, exec_lo, s50
	s_mov_b32 s50, exec_lo
	v_cmpx_lt_u32_e64 v109, v138
	s_cbranch_execnz .LBB399_890
.LBB399_820:                            ;   in Loop: Header=BB399_722 Depth=2
	s_or_b32 exec_lo, exec_lo, s50
	s_mov_b32 s50, exec_lo
	v_cmpx_lt_u32_e64 v110, v138
	s_cbranch_execnz .LBB399_891
.LBB399_821:                            ;   in Loop: Header=BB399_722 Depth=2
	s_or_b32 exec_lo, exec_lo, s50
	s_mov_b32 s50, exec_lo
	v_cmpx_lt_u32_e64 v111, v138
	s_cbranch_execnz .LBB399_892
.LBB399_822:                            ;   in Loop: Header=BB399_722 Depth=2
	s_or_b32 exec_lo, exec_lo, s50
	s_mov_b32 s50, exec_lo
	v_cmpx_lt_u32_e64 v112, v138
	s_cbranch_execnz .LBB399_893
.LBB399_823:                            ;   in Loop: Header=BB399_722 Depth=2
	s_or_b32 exec_lo, exec_lo, s50
	s_mov_b32 s50, exec_lo
	v_cmpx_lt_u32_e64 v113, v138
	s_cbranch_execnz .LBB399_894
.LBB399_824:                            ;   in Loop: Header=BB399_722 Depth=2
	s_or_b32 exec_lo, exec_lo, s50
	s_mov_b32 s50, exec_lo
	v_cmpx_lt_u32_e64 v114, v138
	s_cbranch_execnz .LBB399_895
.LBB399_825:                            ;   in Loop: Header=BB399_722 Depth=2
	s_or_b32 exec_lo, exec_lo, s50
	s_mov_b32 s50, exec_lo
	v_cmpx_lt_u32_e64 v115, v138
	s_cbranch_execnz .LBB399_896
.LBB399_826:                            ;   in Loop: Header=BB399_722 Depth=2
	s_or_b32 exec_lo, exec_lo, s50
	s_and_saveexec_b32 s40, s39
	s_cbranch_execnz .LBB399_897
.LBB399_827:                            ;   in Loop: Header=BB399_722 Depth=2
	s_or_b32 exec_lo, exec_lo, s40
	s_and_saveexec_b32 s40, s38
	s_cbranch_execnz .LBB399_898
.LBB399_828:                            ;   in Loop: Header=BB399_722 Depth=2
	s_or_b32 exec_lo, exec_lo, s40
	s_and_saveexec_b32 s40, s37
	s_cbranch_execnz .LBB399_899
.LBB399_829:                            ;   in Loop: Header=BB399_722 Depth=2
	s_or_b32 exec_lo, exec_lo, s40
	s_and_saveexec_b32 s40, s36
	s_cbranch_execnz .LBB399_900
.LBB399_830:                            ;   in Loop: Header=BB399_722 Depth=2
	s_or_b32 exec_lo, exec_lo, s40
	s_and_saveexec_b32 s40, s35
	s_cbranch_execnz .LBB399_901
.LBB399_831:                            ;   in Loop: Header=BB399_722 Depth=2
	s_or_b32 exec_lo, exec_lo, s40
	s_and_saveexec_b32 s40, s34
	s_cbranch_execnz .LBB399_902
.LBB399_832:                            ;   in Loop: Header=BB399_722 Depth=2
	s_or_b32 exec_lo, exec_lo, s40
	s_and_saveexec_b32 s40, s33
	s_cbranch_execnz .LBB399_903
.LBB399_833:                            ;   in Loop: Header=BB399_722 Depth=2
	s_or_b32 exec_lo, exec_lo, s40
	s_and_saveexec_b32 s40, s31
	s_cbranch_execnz .LBB399_904
.LBB399_834:                            ;   in Loop: Header=BB399_722 Depth=2
	s_or_b32 exec_lo, exec_lo, s40
	s_and_saveexec_b32 s40, s30
	s_cbranch_execnz .LBB399_905
.LBB399_835:                            ;   in Loop: Header=BB399_722 Depth=2
	s_or_b32 exec_lo, exec_lo, s40
	s_and_saveexec_b32 s40, s29
	s_cbranch_execnz .LBB399_906
.LBB399_836:                            ;   in Loop: Header=BB399_722 Depth=2
	s_or_b32 exec_lo, exec_lo, s40
	s_and_saveexec_b32 s40, s27
	s_cbranch_execnz .LBB399_907
.LBB399_837:                            ;   in Loop: Header=BB399_722 Depth=2
	s_or_b32 exec_lo, exec_lo, s40
	s_and_saveexec_b32 s40, s26
	s_cbranch_execnz .LBB399_908
.LBB399_838:                            ;   in Loop: Header=BB399_722 Depth=2
	s_or_b32 exec_lo, exec_lo, s40
	s_and_saveexec_b32 s40, s25
	s_cbranch_execnz .LBB399_909
.LBB399_839:                            ;   in Loop: Header=BB399_722 Depth=2
	s_or_b32 exec_lo, exec_lo, s40
	s_and_saveexec_b32 s40, s24
	s_cbranch_execnz .LBB399_910
.LBB399_840:                            ;   in Loop: Header=BB399_722 Depth=2
	s_or_b32 exec_lo, exec_lo, s40
	s_and_saveexec_b32 s40, s23
	s_cbranch_execnz .LBB399_911
.LBB399_841:                            ;   in Loop: Header=BB399_722 Depth=2
	s_or_b32 exec_lo, exec_lo, s40
	s_and_saveexec_b32 s40, s22
	s_cbranch_execnz .LBB399_912
.LBB399_842:                            ;   in Loop: Header=BB399_722 Depth=2
	s_or_b32 exec_lo, exec_lo, s40
	s_and_saveexec_b32 s40, vcc_lo
	s_cbranch_execz .LBB399_844
.LBB399_843:                            ;   in Loop: Header=BB399_722 Depth=2
	ds_read_u8 v39, v0 offset:4608
	s_waitcnt lgkmcnt(0)
	v_lshrrev_b32_e32 v39, s41, v39
	v_and_b32_e32 v118, s62, v39
.LBB399_844:                            ;   in Loop: Header=BB399_722 Depth=2
	s_or_b32 exec_lo, exec_lo, s40
	v_lshlrev_b32_e32 v39, 3, v157
	v_lshlrev_b32_e32 v40, 3, v153
	s_waitcnt vmcnt(0)
	s_waitcnt_vscnt null, 0x0
	s_barrier
	buffer_gl0_inv
	ds_write_b64 v39, v[37:38] offset:512
	ds_write_b64 v40, v[35:36] offset:512
	v_lshlrev_b32_e32 v39, 3, v152
	v_lshlrev_b32_e32 v40, 3, v151
	v_lshlrev_b32_e32 v138, 3, v150
	v_lshlrev_b32_e32 v139, 3, v149
	v_lshlrev_b32_e32 v143, 3, v148
	ds_write_b64 v39, v[33:34] offset:512
	ds_write_b64 v40, v[31:32] offset:512
	ds_write_b64 v138, v[29:30] offset:512
	ds_write_b64 v139, v[25:26] offset:512
	ds_write_b64 v143, v[21:22] offset:512
	v_lshlrev_b32_e32 v39, 3, v146
	v_lshlrev_b32_e32 v40, 3, v145
	v_lshlrev_b32_e32 v138, 3, v144
	v_lshlrev_b32_e32 v139, 3, v142
	v_lshlrev_b32_e32 v141, 3, v141
	ds_write_b64 v39, v[17:18] offset:512
	ds_write_b64 v40, v[27:28] offset:512
	ds_write_b64 v138, v[23:24] offset:512
	;; [unrolled: 10-line block ×3, first 2 shown]
	ds_write_b64 v41, v[7:8] offset:512
	ds_write_b64 v3, v[5:6] offset:512
	s_waitcnt lgkmcnt(0)
	s_barrier
	buffer_gl0_inv
	s_and_saveexec_b32 s40, s39
	s_cbranch_execnz .LBB399_913
; %bb.845:                              ;   in Loop: Header=BB399_722 Depth=2
	s_or_b32 exec_lo, exec_lo, s40
	s_and_saveexec_b32 s39, s38
	s_cbranch_execnz .LBB399_914
.LBB399_846:                            ;   in Loop: Header=BB399_722 Depth=2
	s_or_b32 exec_lo, exec_lo, s39
	s_and_saveexec_b32 s38, s37
	s_cbranch_execnz .LBB399_915
.LBB399_847:                            ;   in Loop: Header=BB399_722 Depth=2
	s_or_b32 exec_lo, exec_lo, s38
	s_and_saveexec_b32 s37, s36
	s_cbranch_execnz .LBB399_916
.LBB399_848:                            ;   in Loop: Header=BB399_722 Depth=2
	s_or_b32 exec_lo, exec_lo, s37
	s_and_saveexec_b32 s36, s35
	s_cbranch_execnz .LBB399_917
.LBB399_849:                            ;   in Loop: Header=BB399_722 Depth=2
	s_or_b32 exec_lo, exec_lo, s36
	s_and_saveexec_b32 s35, s34
	s_cbranch_execnz .LBB399_918
.LBB399_850:                            ;   in Loop: Header=BB399_722 Depth=2
	s_or_b32 exec_lo, exec_lo, s35
	s_and_saveexec_b32 s34, s33
	s_cbranch_execnz .LBB399_919
.LBB399_851:                            ;   in Loop: Header=BB399_722 Depth=2
	s_or_b32 exec_lo, exec_lo, s34
	s_and_saveexec_b32 s33, s31
	s_cbranch_execnz .LBB399_920
.LBB399_852:                            ;   in Loop: Header=BB399_722 Depth=2
	s_or_b32 exec_lo, exec_lo, s33
	s_and_saveexec_b32 s31, s30
	s_cbranch_execnz .LBB399_921
.LBB399_853:                            ;   in Loop: Header=BB399_722 Depth=2
	s_or_b32 exec_lo, exec_lo, s31
	s_and_saveexec_b32 s30, s29
	s_cbranch_execnz .LBB399_922
.LBB399_854:                            ;   in Loop: Header=BB399_722 Depth=2
	s_or_b32 exec_lo, exec_lo, s30
	s_and_saveexec_b32 s29, s27
	s_cbranch_execnz .LBB399_923
.LBB399_855:                            ;   in Loop: Header=BB399_722 Depth=2
	s_or_b32 exec_lo, exec_lo, s29
	s_and_saveexec_b32 s27, s26
	s_cbranch_execnz .LBB399_924
.LBB399_856:                            ;   in Loop: Header=BB399_722 Depth=2
	s_or_b32 exec_lo, exec_lo, s27
	s_and_saveexec_b32 s26, s25
	s_cbranch_execnz .LBB399_925
.LBB399_857:                            ;   in Loop: Header=BB399_722 Depth=2
	s_or_b32 exec_lo, exec_lo, s26
	s_and_saveexec_b32 s25, s24
	s_cbranch_execnz .LBB399_926
.LBB399_858:                            ;   in Loop: Header=BB399_722 Depth=2
	s_or_b32 exec_lo, exec_lo, s25
	s_and_saveexec_b32 s24, s23
	s_cbranch_execnz .LBB399_927
.LBB399_859:                            ;   in Loop: Header=BB399_722 Depth=2
	s_or_b32 exec_lo, exec_lo, s24
	s_and_saveexec_b32 s23, s22
	s_cbranch_execnz .LBB399_928
.LBB399_860:                            ;   in Loop: Header=BB399_722 Depth=2
	s_or_b32 exec_lo, exec_lo, s23
	s_and_saveexec_b32 s22, vcc_lo
	s_cbranch_execz .LBB399_862
.LBB399_861:                            ;   in Loop: Header=BB399_722 Depth=2
	v_lshlrev_b32_e32 v3, 2, v118
	v_add_nc_u32_e32 v39, v0, v75
	ds_read_b32 v3, v3
	ds_read_b64 v[39:40], v39 offset:33280
	s_waitcnt lgkmcnt(1)
	v_add_nc_u32_e32 v3, v3, v61
	v_lshlrev_b64 v[41:42], 3, v[3:4]
	v_add_co_u32 v41, vcc_lo, s52, v41
	v_add_co_ci_u32_e64 v42, null, s53, v42, vcc_lo
	s_waitcnt lgkmcnt(0)
	global_store_dwordx2 v[41:42], v[39:40], off
.LBB399_862:                            ;   in Loop: Header=BB399_722 Depth=2
	s_or_b32 exec_lo, exec_lo, s22
	s_waitcnt_vscnt null, 0x0
	s_barrier
	buffer_gl0_inv
	s_and_saveexec_b32 s22, s7
	s_cbranch_execz .LBB399_721
; %bb.863:                              ;   in Loop: Header=BB399_722 Depth=2
	ds_read_b32 v3, v43
	s_waitcnt lgkmcnt(0)
	v_add3_u32 v3, v135, v136, v3
	ds_write_b32 v43, v3
	s_branch .LBB399_721
.LBB399_864:                            ;   in Loop: Header=BB399_722 Depth=2
	ds_read_u8 v39, v0 offset:512
	s_waitcnt lgkmcnt(0)
	v_lshrrev_b32_sdwa v40, s41, v39 dst_sel:DWORD dst_unused:UNUSED_PAD src0_sel:DWORD src1_sel:BYTE_0
	v_xor_b32_e32 v39, 0x80, v39
	v_and_b32_e32 v40, s62, v40
	v_lshlrev_b32_e32 v40, 2, v40
	ds_read_b32 v40, v40
	s_waitcnt lgkmcnt(0)
	v_add_nc_u32_e32 v40, v40, v0
	global_store_byte v40, v39, s[46:47]
	s_or_b32 exec_lo, exec_lo, s22
	v_cmp_lt_u32_e64 s38, v44, v138
	s_and_saveexec_b32 s22, s38
	s_cbranch_execz .LBB399_793
.LBB399_865:                            ;   in Loop: Header=BB399_722 Depth=2
	ds_read_u8 v39, v0 offset:768
	s_waitcnt lgkmcnt(0)
	v_lshrrev_b32_sdwa v40, s41, v39 dst_sel:DWORD dst_unused:UNUSED_PAD src0_sel:DWORD src1_sel:BYTE_0
	v_xor_b32_e32 v39, 0x80, v39
	v_and_b32_e32 v40, s62, v40
	v_lshlrev_b32_e32 v40, 2, v40
	ds_read_b32 v40, v40
	s_waitcnt lgkmcnt(0)
	v_add_nc_u32_e32 v40, v40, v44
	global_store_byte v40, v39, s[46:47]
	s_or_b32 exec_lo, exec_lo, s22
	v_cmp_lt_u32_e64 s37, v47, v138
	s_and_saveexec_b32 s22, s37
	s_cbranch_execz .LBB399_794
.LBB399_866:                            ;   in Loop: Header=BB399_722 Depth=2
	ds_read_u8 v39, v0 offset:1024
	s_waitcnt lgkmcnt(0)
	v_lshrrev_b32_sdwa v40, s41, v39 dst_sel:DWORD dst_unused:UNUSED_PAD src0_sel:DWORD src1_sel:BYTE_0
	v_xor_b32_e32 v39, 0x80, v39
	v_and_b32_e32 v40, s62, v40
	v_lshlrev_b32_e32 v40, 2, v40
	ds_read_b32 v40, v40
	s_waitcnt lgkmcnt(0)
	v_add_nc_u32_e32 v40, v40, v47
	global_store_byte v40, v39, s[46:47]
	s_or_b32 exec_lo, exec_lo, s22
	v_cmp_lt_u32_e64 s36, v48, v138
	s_and_saveexec_b32 s22, s36
	s_cbranch_execz .LBB399_795
.LBB399_867:                            ;   in Loop: Header=BB399_722 Depth=2
	ds_read_u8 v39, v0 offset:1280
	s_waitcnt lgkmcnt(0)
	v_lshrrev_b32_sdwa v40, s41, v39 dst_sel:DWORD dst_unused:UNUSED_PAD src0_sel:DWORD src1_sel:BYTE_0
	v_xor_b32_e32 v39, 0x80, v39
	v_and_b32_e32 v40, s62, v40
	v_lshlrev_b32_e32 v40, 2, v40
	ds_read_b32 v40, v40
	s_waitcnt lgkmcnt(0)
	v_add_nc_u32_e32 v40, v40, v48
	global_store_byte v40, v39, s[46:47]
	s_or_b32 exec_lo, exec_lo, s22
	v_cmp_lt_u32_e64 s35, v49, v138
	s_and_saveexec_b32 s22, s35
	s_cbranch_execz .LBB399_796
.LBB399_868:                            ;   in Loop: Header=BB399_722 Depth=2
	ds_read_u8 v39, v0 offset:1536
	s_waitcnt lgkmcnt(0)
	v_lshrrev_b32_sdwa v40, s41, v39 dst_sel:DWORD dst_unused:UNUSED_PAD src0_sel:DWORD src1_sel:BYTE_0
	v_xor_b32_e32 v39, 0x80, v39
	v_and_b32_e32 v40, s62, v40
	v_lshlrev_b32_e32 v40, 2, v40
	ds_read_b32 v40, v40
	s_waitcnt lgkmcnt(0)
	v_add_nc_u32_e32 v40, v40, v49
	global_store_byte v40, v39, s[46:47]
	s_or_b32 exec_lo, exec_lo, s22
	v_cmp_lt_u32_e64 s34, v50, v138
	s_and_saveexec_b32 s22, s34
	s_cbranch_execz .LBB399_797
.LBB399_869:                            ;   in Loop: Header=BB399_722 Depth=2
	ds_read_u8 v39, v0 offset:1792
	s_waitcnt lgkmcnt(0)
	v_lshrrev_b32_sdwa v40, s41, v39 dst_sel:DWORD dst_unused:UNUSED_PAD src0_sel:DWORD src1_sel:BYTE_0
	v_xor_b32_e32 v39, 0x80, v39
	v_and_b32_e32 v40, s62, v40
	v_lshlrev_b32_e32 v40, 2, v40
	ds_read_b32 v40, v40
	s_waitcnt lgkmcnt(0)
	v_add_nc_u32_e32 v40, v40, v50
	global_store_byte v40, v39, s[46:47]
	s_or_b32 exec_lo, exec_lo, s22
	v_cmp_lt_u32_e64 s33, v51, v138
	s_and_saveexec_b32 s22, s33
	s_cbranch_execz .LBB399_798
.LBB399_870:                            ;   in Loop: Header=BB399_722 Depth=2
	ds_read_u8 v39, v0 offset:2048
	s_waitcnt lgkmcnt(0)
	v_lshrrev_b32_sdwa v40, s41, v39 dst_sel:DWORD dst_unused:UNUSED_PAD src0_sel:DWORD src1_sel:BYTE_0
	v_xor_b32_e32 v39, 0x80, v39
	v_and_b32_e32 v40, s62, v40
	v_lshlrev_b32_e32 v40, 2, v40
	ds_read_b32 v40, v40
	s_waitcnt lgkmcnt(0)
	v_add_nc_u32_e32 v40, v40, v51
	global_store_byte v40, v39, s[46:47]
	s_or_b32 exec_lo, exec_lo, s22
	v_cmp_lt_u32_e64 s31, v52, v138
	s_and_saveexec_b32 s22, s31
	s_cbranch_execz .LBB399_799
.LBB399_871:                            ;   in Loop: Header=BB399_722 Depth=2
	ds_read_u8 v39, v0 offset:2304
	s_waitcnt lgkmcnt(0)
	v_lshrrev_b32_sdwa v40, s41, v39 dst_sel:DWORD dst_unused:UNUSED_PAD src0_sel:DWORD src1_sel:BYTE_0
	v_xor_b32_e32 v39, 0x80, v39
	v_and_b32_e32 v40, s62, v40
	v_lshlrev_b32_e32 v40, 2, v40
	ds_read_b32 v40, v40
	s_waitcnt lgkmcnt(0)
	v_add_nc_u32_e32 v40, v40, v52
	global_store_byte v40, v39, s[46:47]
	s_or_b32 exec_lo, exec_lo, s22
	v_cmp_lt_u32_e64 s30, v53, v138
	s_and_saveexec_b32 s22, s30
	s_cbranch_execz .LBB399_800
.LBB399_872:                            ;   in Loop: Header=BB399_722 Depth=2
	ds_read_u8 v39, v0 offset:2560
	s_waitcnt lgkmcnt(0)
	v_lshrrev_b32_sdwa v40, s41, v39 dst_sel:DWORD dst_unused:UNUSED_PAD src0_sel:DWORD src1_sel:BYTE_0
	v_xor_b32_e32 v39, 0x80, v39
	v_and_b32_e32 v40, s62, v40
	v_lshlrev_b32_e32 v40, 2, v40
	ds_read_b32 v40, v40
	s_waitcnt lgkmcnt(0)
	v_add_nc_u32_e32 v40, v40, v53
	global_store_byte v40, v39, s[46:47]
	s_or_b32 exec_lo, exec_lo, s22
	v_cmp_lt_u32_e64 s29, v54, v138
	s_and_saveexec_b32 s22, s29
	s_cbranch_execz .LBB399_801
.LBB399_873:                            ;   in Loop: Header=BB399_722 Depth=2
	ds_read_u8 v39, v0 offset:2816
	s_waitcnt lgkmcnt(0)
	v_lshrrev_b32_sdwa v40, s41, v39 dst_sel:DWORD dst_unused:UNUSED_PAD src0_sel:DWORD src1_sel:BYTE_0
	v_xor_b32_e32 v39, 0x80, v39
	v_and_b32_e32 v40, s62, v40
	v_lshlrev_b32_e32 v40, 2, v40
	ds_read_b32 v40, v40
	s_waitcnt lgkmcnt(0)
	v_add_nc_u32_e32 v40, v40, v54
	global_store_byte v40, v39, s[46:47]
	s_or_b32 exec_lo, exec_lo, s22
	v_cmp_lt_u32_e64 s27, v55, v138
	s_and_saveexec_b32 s22, s27
	s_cbranch_execz .LBB399_802
.LBB399_874:                            ;   in Loop: Header=BB399_722 Depth=2
	ds_read_u8 v39, v0 offset:3072
	s_waitcnt lgkmcnt(0)
	v_lshrrev_b32_sdwa v40, s41, v39 dst_sel:DWORD dst_unused:UNUSED_PAD src0_sel:DWORD src1_sel:BYTE_0
	v_xor_b32_e32 v39, 0x80, v39
	v_and_b32_e32 v40, s62, v40
	v_lshlrev_b32_e32 v40, 2, v40
	ds_read_b32 v40, v40
	s_waitcnt lgkmcnt(0)
	v_add_nc_u32_e32 v40, v40, v55
	global_store_byte v40, v39, s[46:47]
	s_or_b32 exec_lo, exec_lo, s22
	v_cmp_lt_u32_e64 s26, v56, v138
	s_and_saveexec_b32 s22, s26
	s_cbranch_execz .LBB399_803
.LBB399_875:                            ;   in Loop: Header=BB399_722 Depth=2
	ds_read_u8 v39, v0 offset:3328
	s_waitcnt lgkmcnt(0)
	v_lshrrev_b32_sdwa v40, s41, v39 dst_sel:DWORD dst_unused:UNUSED_PAD src0_sel:DWORD src1_sel:BYTE_0
	v_xor_b32_e32 v39, 0x80, v39
	v_and_b32_e32 v40, s62, v40
	v_lshlrev_b32_e32 v40, 2, v40
	ds_read_b32 v40, v40
	s_waitcnt lgkmcnt(0)
	v_add_nc_u32_e32 v40, v40, v56
	global_store_byte v40, v39, s[46:47]
	s_or_b32 exec_lo, exec_lo, s22
	v_cmp_lt_u32_e64 s25, v57, v138
	s_and_saveexec_b32 s22, s25
	s_cbranch_execz .LBB399_804
.LBB399_876:                            ;   in Loop: Header=BB399_722 Depth=2
	ds_read_u8 v39, v0 offset:3584
	s_waitcnt lgkmcnt(0)
	v_lshrrev_b32_sdwa v40, s41, v39 dst_sel:DWORD dst_unused:UNUSED_PAD src0_sel:DWORD src1_sel:BYTE_0
	v_xor_b32_e32 v39, 0x80, v39
	v_and_b32_e32 v40, s62, v40
	v_lshlrev_b32_e32 v40, 2, v40
	ds_read_b32 v40, v40
	s_waitcnt lgkmcnt(0)
	v_add_nc_u32_e32 v40, v40, v57
	global_store_byte v40, v39, s[46:47]
	s_or_b32 exec_lo, exec_lo, s22
	v_cmp_lt_u32_e64 s24, v58, v138
	s_and_saveexec_b32 s22, s24
	s_cbranch_execz .LBB399_805
.LBB399_877:                            ;   in Loop: Header=BB399_722 Depth=2
	ds_read_u8 v39, v0 offset:3840
	s_waitcnt lgkmcnt(0)
	v_lshrrev_b32_sdwa v40, s41, v39 dst_sel:DWORD dst_unused:UNUSED_PAD src0_sel:DWORD src1_sel:BYTE_0
	v_xor_b32_e32 v39, 0x80, v39
	v_and_b32_e32 v40, s62, v40
	v_lshlrev_b32_e32 v40, 2, v40
	ds_read_b32 v40, v40
	s_waitcnt lgkmcnt(0)
	v_add_nc_u32_e32 v40, v40, v58
	global_store_byte v40, v39, s[46:47]
	s_or_b32 exec_lo, exec_lo, s22
	v_cmp_lt_u32_e64 s23, v59, v138
	s_and_saveexec_b32 s22, s23
	s_cbranch_execz .LBB399_806
.LBB399_878:                            ;   in Loop: Header=BB399_722 Depth=2
	ds_read_u8 v39, v0 offset:4096
	s_waitcnt lgkmcnt(0)
	v_lshrrev_b32_sdwa v40, s41, v39 dst_sel:DWORD dst_unused:UNUSED_PAD src0_sel:DWORD src1_sel:BYTE_0
	v_xor_b32_e32 v39, 0x80, v39
	v_and_b32_e32 v40, s62, v40
	v_lshlrev_b32_e32 v40, 2, v40
	ds_read_b32 v40, v40
	s_waitcnt lgkmcnt(0)
	v_add_nc_u32_e32 v40, v40, v59
	global_store_byte v40, v39, s[46:47]
	s_or_b32 exec_lo, exec_lo, s22
	v_cmp_lt_u32_e64 s22, v60, v138
	s_and_saveexec_b32 s40, s22
	s_cbranch_execz .LBB399_807
.LBB399_879:                            ;   in Loop: Header=BB399_722 Depth=2
	ds_read_u8 v39, v0 offset:4352
	s_waitcnt lgkmcnt(0)
	v_lshrrev_b32_sdwa v40, s41, v39 dst_sel:DWORD dst_unused:UNUSED_PAD src0_sel:DWORD src1_sel:BYTE_0
	v_xor_b32_e32 v39, 0x80, v39
	v_and_b32_e32 v40, s62, v40
	v_lshlrev_b32_e32 v40, 2, v40
	ds_read_b32 v40, v40
	s_waitcnt lgkmcnt(0)
	v_add_nc_u32_e32 v40, v40, v60
	global_store_byte v40, v39, s[46:47]
	s_or_b32 exec_lo, exec_lo, s40
	v_cmp_lt_u32_e32 vcc_lo, v61, v138
	s_and_saveexec_b32 s40, vcc_lo
	s_cbranch_execnz .LBB399_808
	s_branch .LBB399_809
.LBB399_880:                            ;   in Loop: Header=BB399_722 Depth=2
	global_load_dwordx2 v[37:38], v[39:40], off
	s_or_b32 exec_lo, exec_lo, s40
	s_mov_b32 s50, exec_lo
	v_cmpx_lt_u32_e64 v100, v138
	s_cbranch_execz .LBB399_811
.LBB399_881:                            ;   in Loop: Header=BB399_722 Depth=2
	global_load_dwordx2 v[35:36], v[39:40], off offset:256
	s_or_b32 exec_lo, exec_lo, s50
	s_mov_b32 s50, exec_lo
	v_cmpx_lt_u32_e64 v101, v138
	s_cbranch_execz .LBB399_812
.LBB399_882:                            ;   in Loop: Header=BB399_722 Depth=2
	global_load_dwordx2 v[33:34], v[39:40], off offset:512
	s_or_b32 exec_lo, exec_lo, s50
	s_mov_b32 s50, exec_lo
	v_cmpx_lt_u32_e64 v102, v138
	s_cbranch_execz .LBB399_813
.LBB399_883:                            ;   in Loop: Header=BB399_722 Depth=2
	global_load_dwordx2 v[31:32], v[39:40], off offset:768
	s_or_b32 exec_lo, exec_lo, s50
	s_mov_b32 s50, exec_lo
	v_cmpx_lt_u32_e64 v103, v138
	s_cbranch_execz .LBB399_814
.LBB399_884:                            ;   in Loop: Header=BB399_722 Depth=2
	global_load_dwordx2 v[29:30], v[39:40], off offset:1024
	s_or_b32 exec_lo, exec_lo, s50
	s_mov_b32 s50, exec_lo
	v_cmpx_lt_u32_e64 v104, v138
	s_cbranch_execz .LBB399_815
.LBB399_885:                            ;   in Loop: Header=BB399_722 Depth=2
	global_load_dwordx2 v[25:26], v[39:40], off offset:1280
	s_or_b32 exec_lo, exec_lo, s50
	s_mov_b32 s50, exec_lo
	v_cmpx_lt_u32_e64 v105, v138
	s_cbranch_execz .LBB399_816
.LBB399_886:                            ;   in Loop: Header=BB399_722 Depth=2
	global_load_dwordx2 v[21:22], v[39:40], off offset:1536
	s_or_b32 exec_lo, exec_lo, s50
	s_mov_b32 s50, exec_lo
	v_cmpx_lt_u32_e64 v106, v138
	s_cbranch_execz .LBB399_817
.LBB399_887:                            ;   in Loop: Header=BB399_722 Depth=2
	global_load_dwordx2 v[17:18], v[39:40], off offset:1792
	s_or_b32 exec_lo, exec_lo, s50
	s_mov_b32 s50, exec_lo
	v_cmpx_lt_u32_e64 v107, v138
	s_cbranch_execz .LBB399_818
.LBB399_888:                            ;   in Loop: Header=BB399_722 Depth=2
	v_add_co_u32 v27, s40, 0x800, v39
	v_add_co_ci_u32_e64 v28, null, 0, v40, s40
	global_load_dwordx2 v[27:28], v[27:28], off
	s_or_b32 exec_lo, exec_lo, s50
	s_mov_b32 s50, exec_lo
	v_cmpx_lt_u32_e64 v108, v138
	s_cbranch_execz .LBB399_819
.LBB399_889:                            ;   in Loop: Header=BB399_722 Depth=2
	v_add_co_u32 v23, s40, 0x800, v39
	v_add_co_ci_u32_e64 v24, null, 0, v40, s40
	global_load_dwordx2 v[23:24], v[23:24], off offset:256
	s_or_b32 exec_lo, exec_lo, s50
	s_mov_b32 s50, exec_lo
	v_cmpx_lt_u32_e64 v109, v138
	s_cbranch_execz .LBB399_820
.LBB399_890:                            ;   in Loop: Header=BB399_722 Depth=2
	v_add_co_u32 v19, s40, 0x800, v39
	v_add_co_ci_u32_e64 v20, null, 0, v40, s40
	global_load_dwordx2 v[19:20], v[19:20], off offset:512
	s_or_b32 exec_lo, exec_lo, s50
	s_mov_b32 s50, exec_lo
	v_cmpx_lt_u32_e64 v110, v138
	s_cbranch_execz .LBB399_821
.LBB399_891:                            ;   in Loop: Header=BB399_722 Depth=2
	v_add_co_u32 v15, s40, 0x800, v39
	v_add_co_ci_u32_e64 v16, null, 0, v40, s40
	global_load_dwordx2 v[15:16], v[15:16], off offset:768
	s_or_b32 exec_lo, exec_lo, s50
	s_mov_b32 s50, exec_lo
	v_cmpx_lt_u32_e64 v111, v138
	s_cbranch_execz .LBB399_822
.LBB399_892:                            ;   in Loop: Header=BB399_722 Depth=2
	v_add_co_u32 v13, s40, 0x800, v39
	v_add_co_ci_u32_e64 v14, null, 0, v40, s40
	global_load_dwordx2 v[13:14], v[13:14], off offset:1024
	s_or_b32 exec_lo, exec_lo, s50
	s_mov_b32 s50, exec_lo
	v_cmpx_lt_u32_e64 v112, v138
	s_cbranch_execz .LBB399_823
.LBB399_893:                            ;   in Loop: Header=BB399_722 Depth=2
	v_add_co_u32 v11, s40, 0x800, v39
	v_add_co_ci_u32_e64 v12, null, 0, v40, s40
	global_load_dwordx2 v[11:12], v[11:12], off offset:1280
	s_or_b32 exec_lo, exec_lo, s50
	s_mov_b32 s50, exec_lo
	v_cmpx_lt_u32_e64 v113, v138
	s_cbranch_execz .LBB399_824
.LBB399_894:                            ;   in Loop: Header=BB399_722 Depth=2
	v_add_co_u32 v9, s40, 0x800, v39
	v_add_co_ci_u32_e64 v10, null, 0, v40, s40
	global_load_dwordx2 v[9:10], v[9:10], off offset:1536
	s_or_b32 exec_lo, exec_lo, s50
	s_mov_b32 s50, exec_lo
	v_cmpx_lt_u32_e64 v114, v138
	s_cbranch_execz .LBB399_825
.LBB399_895:                            ;   in Loop: Header=BB399_722 Depth=2
	v_add_co_u32 v7, s40, 0x800, v39
	v_add_co_ci_u32_e64 v8, null, 0, v40, s40
	global_load_dwordx2 v[7:8], v[7:8], off offset:1792
	s_or_b32 exec_lo, exec_lo, s50
	s_mov_b32 s50, exec_lo
	v_cmpx_lt_u32_e64 v115, v138
	s_cbranch_execz .LBB399_826
.LBB399_896:                            ;   in Loop: Header=BB399_722 Depth=2
	v_add_co_u32 v5, s40, 0x1000, v39
	v_add_co_ci_u32_e64 v6, null, 0, v40, s40
	global_load_dwordx2 v[5:6], v[5:6], off
	s_or_b32 exec_lo, exec_lo, s50
	s_and_saveexec_b32 s40, s39
	s_cbranch_execz .LBB399_827
.LBB399_897:                            ;   in Loop: Header=BB399_722 Depth=2
	ds_read_u8 v39, v0 offset:512
	s_waitcnt lgkmcnt(0)
	v_lshrrev_b32_e32 v39, s41, v39
	v_and_b32_e32 v134, s62, v39
	s_or_b32 exec_lo, exec_lo, s40
	s_and_saveexec_b32 s40, s38
	s_cbranch_execz .LBB399_828
.LBB399_898:                            ;   in Loop: Header=BB399_722 Depth=2
	ds_read_u8 v39, v0 offset:768
	s_waitcnt lgkmcnt(0)
	v_lshrrev_b32_e32 v39, s41, v39
	v_and_b32_e32 v133, s62, v39
	s_or_b32 exec_lo, exec_lo, s40
	s_and_saveexec_b32 s40, s37
	s_cbranch_execz .LBB399_829
.LBB399_899:                            ;   in Loop: Header=BB399_722 Depth=2
	ds_read_u8 v39, v0 offset:1024
	s_waitcnt lgkmcnt(0)
	v_lshrrev_b32_e32 v39, s41, v39
	v_and_b32_e32 v132, s62, v39
	s_or_b32 exec_lo, exec_lo, s40
	s_and_saveexec_b32 s40, s36
	s_cbranch_execz .LBB399_830
.LBB399_900:                            ;   in Loop: Header=BB399_722 Depth=2
	ds_read_u8 v39, v0 offset:1280
	s_waitcnt lgkmcnt(0)
	v_lshrrev_b32_e32 v39, s41, v39
	v_and_b32_e32 v131, s62, v39
	s_or_b32 exec_lo, exec_lo, s40
	s_and_saveexec_b32 s40, s35
	s_cbranch_execz .LBB399_831
.LBB399_901:                            ;   in Loop: Header=BB399_722 Depth=2
	ds_read_u8 v39, v0 offset:1536
	s_waitcnt lgkmcnt(0)
	v_lshrrev_b32_e32 v39, s41, v39
	v_and_b32_e32 v130, s62, v39
	s_or_b32 exec_lo, exec_lo, s40
	s_and_saveexec_b32 s40, s34
	s_cbranch_execz .LBB399_832
.LBB399_902:                            ;   in Loop: Header=BB399_722 Depth=2
	ds_read_u8 v39, v0 offset:1792
	s_waitcnt lgkmcnt(0)
	v_lshrrev_b32_e32 v39, s41, v39
	v_and_b32_e32 v129, s62, v39
	s_or_b32 exec_lo, exec_lo, s40
	s_and_saveexec_b32 s40, s33
	s_cbranch_execz .LBB399_833
.LBB399_903:                            ;   in Loop: Header=BB399_722 Depth=2
	ds_read_u8 v39, v0 offset:2048
	s_waitcnt lgkmcnt(0)
	v_lshrrev_b32_e32 v39, s41, v39
	v_and_b32_e32 v128, s62, v39
	s_or_b32 exec_lo, exec_lo, s40
	s_and_saveexec_b32 s40, s31
	s_cbranch_execz .LBB399_834
.LBB399_904:                            ;   in Loop: Header=BB399_722 Depth=2
	ds_read_u8 v39, v0 offset:2304
	s_waitcnt lgkmcnt(0)
	v_lshrrev_b32_e32 v39, s41, v39
	v_and_b32_e32 v127, s62, v39
	s_or_b32 exec_lo, exec_lo, s40
	s_and_saveexec_b32 s40, s30
	s_cbranch_execz .LBB399_835
.LBB399_905:                            ;   in Loop: Header=BB399_722 Depth=2
	ds_read_u8 v39, v0 offset:2560
	s_waitcnt lgkmcnt(0)
	v_lshrrev_b32_e32 v39, s41, v39
	v_and_b32_e32 v126, s62, v39
	s_or_b32 exec_lo, exec_lo, s40
	s_and_saveexec_b32 s40, s29
	s_cbranch_execz .LBB399_836
.LBB399_906:                            ;   in Loop: Header=BB399_722 Depth=2
	ds_read_u8 v39, v0 offset:2816
	s_waitcnt lgkmcnt(0)
	v_lshrrev_b32_e32 v39, s41, v39
	v_and_b32_e32 v125, s62, v39
	s_or_b32 exec_lo, exec_lo, s40
	s_and_saveexec_b32 s40, s27
	s_cbranch_execz .LBB399_837
.LBB399_907:                            ;   in Loop: Header=BB399_722 Depth=2
	ds_read_u8 v39, v0 offset:3072
	s_waitcnt lgkmcnt(0)
	v_lshrrev_b32_e32 v39, s41, v39
	v_and_b32_e32 v124, s62, v39
	s_or_b32 exec_lo, exec_lo, s40
	s_and_saveexec_b32 s40, s26
	s_cbranch_execz .LBB399_838
.LBB399_908:                            ;   in Loop: Header=BB399_722 Depth=2
	ds_read_u8 v39, v0 offset:3328
	s_waitcnt lgkmcnt(0)
	v_lshrrev_b32_e32 v39, s41, v39
	v_and_b32_e32 v123, s62, v39
	s_or_b32 exec_lo, exec_lo, s40
	s_and_saveexec_b32 s40, s25
	s_cbranch_execz .LBB399_839
.LBB399_909:                            ;   in Loop: Header=BB399_722 Depth=2
	ds_read_u8 v39, v0 offset:3584
	s_waitcnt lgkmcnt(0)
	v_lshrrev_b32_e32 v39, s41, v39
	v_and_b32_e32 v122, s62, v39
	s_or_b32 exec_lo, exec_lo, s40
	s_and_saveexec_b32 s40, s24
	s_cbranch_execz .LBB399_840
.LBB399_910:                            ;   in Loop: Header=BB399_722 Depth=2
	ds_read_u8 v39, v0 offset:3840
	s_waitcnt lgkmcnt(0)
	v_lshrrev_b32_e32 v39, s41, v39
	v_and_b32_e32 v121, s62, v39
	s_or_b32 exec_lo, exec_lo, s40
	s_and_saveexec_b32 s40, s23
	s_cbranch_execz .LBB399_841
.LBB399_911:                            ;   in Loop: Header=BB399_722 Depth=2
	ds_read_u8 v39, v0 offset:4096
	s_waitcnt lgkmcnt(0)
	v_lshrrev_b32_e32 v39, s41, v39
	v_and_b32_e32 v120, s62, v39
	s_or_b32 exec_lo, exec_lo, s40
	s_and_saveexec_b32 s40, s22
	s_cbranch_execz .LBB399_842
.LBB399_912:                            ;   in Loop: Header=BB399_722 Depth=2
	ds_read_u8 v39, v0 offset:4352
	s_waitcnt lgkmcnt(0)
	v_lshrrev_b32_e32 v39, s41, v39
	v_and_b32_e32 v119, s62, v39
	s_or_b32 exec_lo, exec_lo, s40
	s_and_saveexec_b32 s40, vcc_lo
	s_cbranch_execnz .LBB399_843
	s_branch .LBB399_844
.LBB399_913:                            ;   in Loop: Header=BB399_722 Depth=2
	v_lshlrev_b32_e32 v3, 2, v134
	v_add_nc_u32_e32 v39, v0, v75
	ds_read_b32 v3, v3
	ds_read_b64 v[39:40], v39 offset:512
	s_waitcnt lgkmcnt(1)
	v_add_nc_u32_e32 v3, v3, v0
	v_lshlrev_b64 v[41:42], 3, v[3:4]
	v_add_co_u32 v41, s39, s52, v41
	v_add_co_ci_u32_e64 v42, null, s53, v42, s39
	s_waitcnt lgkmcnt(0)
	global_store_dwordx2 v[41:42], v[39:40], off
	s_or_b32 exec_lo, exec_lo, s40
	s_and_saveexec_b32 s39, s38
	s_cbranch_execz .LBB399_846
.LBB399_914:                            ;   in Loop: Header=BB399_722 Depth=2
	v_lshlrev_b32_e32 v3, 2, v133
	v_add_nc_u32_e32 v39, v0, v75
	ds_read_b32 v3, v3
	ds_read_b64 v[39:40], v39 offset:2560
	s_waitcnt lgkmcnt(1)
	v_add_nc_u32_e32 v3, v3, v44
	v_lshlrev_b64 v[41:42], 3, v[3:4]
	v_add_co_u32 v41, s38, s52, v41
	v_add_co_ci_u32_e64 v42, null, s53, v42, s38
	s_waitcnt lgkmcnt(0)
	global_store_dwordx2 v[41:42], v[39:40], off
	s_or_b32 exec_lo, exec_lo, s39
	s_and_saveexec_b32 s38, s37
	s_cbranch_execz .LBB399_847
.LBB399_915:                            ;   in Loop: Header=BB399_722 Depth=2
	v_lshlrev_b32_e32 v3, 2, v132
	v_add_nc_u32_e32 v39, v0, v75
	ds_read_b32 v3, v3
	ds_read_b64 v[39:40], v39 offset:4608
	s_waitcnt lgkmcnt(1)
	v_add_nc_u32_e32 v3, v3, v47
	v_lshlrev_b64 v[41:42], 3, v[3:4]
	v_add_co_u32 v41, s37, s52, v41
	v_add_co_ci_u32_e64 v42, null, s53, v42, s37
	s_waitcnt lgkmcnt(0)
	global_store_dwordx2 v[41:42], v[39:40], off
	s_or_b32 exec_lo, exec_lo, s38
	s_and_saveexec_b32 s37, s36
	s_cbranch_execz .LBB399_848
.LBB399_916:                            ;   in Loop: Header=BB399_722 Depth=2
	v_lshlrev_b32_e32 v3, 2, v131
	v_add_nc_u32_e32 v39, v0, v75
	ds_read_b32 v3, v3
	ds_read_b64 v[39:40], v39 offset:6656
	s_waitcnt lgkmcnt(1)
	v_add_nc_u32_e32 v3, v3, v48
	v_lshlrev_b64 v[41:42], 3, v[3:4]
	v_add_co_u32 v41, s36, s52, v41
	v_add_co_ci_u32_e64 v42, null, s53, v42, s36
	s_waitcnt lgkmcnt(0)
	global_store_dwordx2 v[41:42], v[39:40], off
	s_or_b32 exec_lo, exec_lo, s37
	s_and_saveexec_b32 s36, s35
	s_cbranch_execz .LBB399_849
.LBB399_917:                            ;   in Loop: Header=BB399_722 Depth=2
	v_lshlrev_b32_e32 v3, 2, v130
	v_add_nc_u32_e32 v39, v0, v75
	ds_read_b32 v3, v3
	ds_read_b64 v[39:40], v39 offset:8704
	s_waitcnt lgkmcnt(1)
	v_add_nc_u32_e32 v3, v3, v49
	v_lshlrev_b64 v[41:42], 3, v[3:4]
	v_add_co_u32 v41, s35, s52, v41
	v_add_co_ci_u32_e64 v42, null, s53, v42, s35
	s_waitcnt lgkmcnt(0)
	global_store_dwordx2 v[41:42], v[39:40], off
	s_or_b32 exec_lo, exec_lo, s36
	s_and_saveexec_b32 s35, s34
	s_cbranch_execz .LBB399_850
.LBB399_918:                            ;   in Loop: Header=BB399_722 Depth=2
	v_lshlrev_b32_e32 v3, 2, v129
	v_add_nc_u32_e32 v39, v0, v75
	ds_read_b32 v3, v3
	ds_read_b64 v[39:40], v39 offset:10752
	s_waitcnt lgkmcnt(1)
	v_add_nc_u32_e32 v3, v3, v50
	v_lshlrev_b64 v[41:42], 3, v[3:4]
	v_add_co_u32 v41, s34, s52, v41
	v_add_co_ci_u32_e64 v42, null, s53, v42, s34
	s_waitcnt lgkmcnt(0)
	global_store_dwordx2 v[41:42], v[39:40], off
	s_or_b32 exec_lo, exec_lo, s35
	s_and_saveexec_b32 s34, s33
	s_cbranch_execz .LBB399_851
.LBB399_919:                            ;   in Loop: Header=BB399_722 Depth=2
	v_lshlrev_b32_e32 v3, 2, v128
	v_add_nc_u32_e32 v39, v0, v75
	ds_read_b32 v3, v3
	ds_read_b64 v[39:40], v39 offset:12800
	s_waitcnt lgkmcnt(1)
	v_add_nc_u32_e32 v3, v3, v51
	v_lshlrev_b64 v[41:42], 3, v[3:4]
	v_add_co_u32 v41, s33, s52, v41
	v_add_co_ci_u32_e64 v42, null, s53, v42, s33
	s_waitcnt lgkmcnt(0)
	global_store_dwordx2 v[41:42], v[39:40], off
	s_or_b32 exec_lo, exec_lo, s34
	s_and_saveexec_b32 s33, s31
	s_cbranch_execz .LBB399_852
.LBB399_920:                            ;   in Loop: Header=BB399_722 Depth=2
	v_lshlrev_b32_e32 v3, 2, v127
	v_add_nc_u32_e32 v39, v0, v75
	ds_read_b32 v3, v3
	ds_read_b64 v[39:40], v39 offset:14848
	s_waitcnt lgkmcnt(1)
	v_add_nc_u32_e32 v3, v3, v52
	v_lshlrev_b64 v[41:42], 3, v[3:4]
	v_add_co_u32 v41, s31, s52, v41
	v_add_co_ci_u32_e64 v42, null, s53, v42, s31
	s_waitcnt lgkmcnt(0)
	global_store_dwordx2 v[41:42], v[39:40], off
	s_or_b32 exec_lo, exec_lo, s33
	s_and_saveexec_b32 s31, s30
	s_cbranch_execz .LBB399_853
.LBB399_921:                            ;   in Loop: Header=BB399_722 Depth=2
	v_lshlrev_b32_e32 v3, 2, v126
	v_add_nc_u32_e32 v39, v0, v75
	ds_read_b32 v3, v3
	ds_read_b64 v[39:40], v39 offset:16896
	s_waitcnt lgkmcnt(1)
	v_add_nc_u32_e32 v3, v3, v53
	v_lshlrev_b64 v[41:42], 3, v[3:4]
	v_add_co_u32 v41, s30, s52, v41
	v_add_co_ci_u32_e64 v42, null, s53, v42, s30
	s_waitcnt lgkmcnt(0)
	global_store_dwordx2 v[41:42], v[39:40], off
	s_or_b32 exec_lo, exec_lo, s31
	s_and_saveexec_b32 s30, s29
	s_cbranch_execz .LBB399_854
.LBB399_922:                            ;   in Loop: Header=BB399_722 Depth=2
	v_lshlrev_b32_e32 v3, 2, v125
	v_add_nc_u32_e32 v39, v0, v75
	ds_read_b32 v3, v3
	ds_read_b64 v[39:40], v39 offset:18944
	s_waitcnt lgkmcnt(1)
	v_add_nc_u32_e32 v3, v3, v54
	v_lshlrev_b64 v[41:42], 3, v[3:4]
	v_add_co_u32 v41, s29, s52, v41
	v_add_co_ci_u32_e64 v42, null, s53, v42, s29
	s_waitcnt lgkmcnt(0)
	global_store_dwordx2 v[41:42], v[39:40], off
	s_or_b32 exec_lo, exec_lo, s30
	s_and_saveexec_b32 s29, s27
	s_cbranch_execz .LBB399_855
.LBB399_923:                            ;   in Loop: Header=BB399_722 Depth=2
	v_lshlrev_b32_e32 v3, 2, v124
	v_add_nc_u32_e32 v39, v0, v75
	ds_read_b32 v3, v3
	ds_read_b64 v[39:40], v39 offset:20992
	s_waitcnt lgkmcnt(1)
	v_add_nc_u32_e32 v3, v3, v55
	v_lshlrev_b64 v[41:42], 3, v[3:4]
	v_add_co_u32 v41, s27, s52, v41
	v_add_co_ci_u32_e64 v42, null, s53, v42, s27
	s_waitcnt lgkmcnt(0)
	global_store_dwordx2 v[41:42], v[39:40], off
	s_or_b32 exec_lo, exec_lo, s29
	s_and_saveexec_b32 s27, s26
	s_cbranch_execz .LBB399_856
.LBB399_924:                            ;   in Loop: Header=BB399_722 Depth=2
	v_lshlrev_b32_e32 v3, 2, v123
	v_add_nc_u32_e32 v39, v0, v75
	ds_read_b32 v3, v3
	ds_read_b64 v[39:40], v39 offset:23040
	s_waitcnt lgkmcnt(1)
	v_add_nc_u32_e32 v3, v3, v56
	v_lshlrev_b64 v[41:42], 3, v[3:4]
	v_add_co_u32 v41, s26, s52, v41
	v_add_co_ci_u32_e64 v42, null, s53, v42, s26
	s_waitcnt lgkmcnt(0)
	global_store_dwordx2 v[41:42], v[39:40], off
	s_or_b32 exec_lo, exec_lo, s27
	s_and_saveexec_b32 s26, s25
	s_cbranch_execz .LBB399_857
.LBB399_925:                            ;   in Loop: Header=BB399_722 Depth=2
	v_lshlrev_b32_e32 v3, 2, v122
	v_add_nc_u32_e32 v39, v0, v75
	ds_read_b32 v3, v3
	ds_read_b64 v[39:40], v39 offset:25088
	s_waitcnt lgkmcnt(1)
	v_add_nc_u32_e32 v3, v3, v57
	v_lshlrev_b64 v[41:42], 3, v[3:4]
	v_add_co_u32 v41, s25, s52, v41
	v_add_co_ci_u32_e64 v42, null, s53, v42, s25
	s_waitcnt lgkmcnt(0)
	global_store_dwordx2 v[41:42], v[39:40], off
	s_or_b32 exec_lo, exec_lo, s26
	s_and_saveexec_b32 s25, s24
	s_cbranch_execz .LBB399_858
.LBB399_926:                            ;   in Loop: Header=BB399_722 Depth=2
	v_lshlrev_b32_e32 v3, 2, v121
	v_add_nc_u32_e32 v39, v0, v75
	ds_read_b32 v3, v3
	ds_read_b64 v[39:40], v39 offset:27136
	s_waitcnt lgkmcnt(1)
	v_add_nc_u32_e32 v3, v3, v58
	v_lshlrev_b64 v[41:42], 3, v[3:4]
	v_add_co_u32 v41, s24, s52, v41
	v_add_co_ci_u32_e64 v42, null, s53, v42, s24
	s_waitcnt lgkmcnt(0)
	global_store_dwordx2 v[41:42], v[39:40], off
	s_or_b32 exec_lo, exec_lo, s25
	s_and_saveexec_b32 s24, s23
	s_cbranch_execz .LBB399_859
.LBB399_927:                            ;   in Loop: Header=BB399_722 Depth=2
	v_lshlrev_b32_e32 v3, 2, v120
	v_add_nc_u32_e32 v39, v0, v75
	ds_read_b32 v3, v3
	ds_read_b64 v[39:40], v39 offset:29184
	s_waitcnt lgkmcnt(1)
	v_add_nc_u32_e32 v3, v3, v59
	v_lshlrev_b64 v[41:42], 3, v[3:4]
	v_add_co_u32 v41, s23, s52, v41
	v_add_co_ci_u32_e64 v42, null, s53, v42, s23
	s_waitcnt lgkmcnt(0)
	global_store_dwordx2 v[41:42], v[39:40], off
	s_or_b32 exec_lo, exec_lo, s24
	s_and_saveexec_b32 s23, s22
	s_cbranch_execz .LBB399_860
.LBB399_928:                            ;   in Loop: Header=BB399_722 Depth=2
	v_lshlrev_b32_e32 v3, 2, v119
	v_add_nc_u32_e32 v39, v0, v75
	ds_read_b32 v3, v3
	ds_read_b64 v[39:40], v39 offset:31232
	s_waitcnt lgkmcnt(1)
	v_add_nc_u32_e32 v3, v3, v60
	v_lshlrev_b64 v[41:42], 3, v[3:4]
	v_add_co_u32 v41, s22, s52, v41
	v_add_co_ci_u32_e64 v42, null, s53, v42, s22
	s_waitcnt lgkmcnt(0)
	global_store_dwordx2 v[41:42], v[39:40], off
	s_or_b32 exec_lo, exec_lo, s23
	s_and_saveexec_b32 s22, vcc_lo
	s_cbranch_execnz .LBB399_861
	s_branch .LBB399_862
.LBB399_929:                            ;   in Loop: Header=BB399_722 Depth=2
	global_load_ubyte v146, v[39:40], off
	v_mov_b32_e32 v117, 0x7f
	v_mov_b32_e32 v147, 0x7f
	;; [unrolled: 1-line block ×16, first 2 shown]
	s_or_b32 exec_lo, exec_lo, s22
	s_mov_b32 s22, exec_lo
	v_cmpx_gt_u32_e64 s63, v100
	s_cbranch_execz .LBB399_727
.LBB399_930:                            ;   in Loop: Header=BB399_722 Depth=2
	global_load_ubyte v147, v[39:40], off offset:32
	s_or_b32 exec_lo, exec_lo, s22
	s_mov_b32 s22, exec_lo
	v_cmpx_gt_u32_e64 s63, v101
	s_cbranch_execz .LBB399_728
.LBB399_931:                            ;   in Loop: Header=BB399_722 Depth=2
	global_load_ubyte v148, v[39:40], off offset:64
	s_or_b32 exec_lo, exec_lo, s22
	s_mov_b32 s22, exec_lo
	v_cmpx_gt_u32_e64 s63, v102
	s_cbranch_execz .LBB399_729
.LBB399_932:                            ;   in Loop: Header=BB399_722 Depth=2
	global_load_ubyte v151, v[39:40], off offset:96
	s_or_b32 exec_lo, exec_lo, s22
	s_mov_b32 s22, exec_lo
	v_cmpx_gt_u32_e64 s63, v103
	s_cbranch_execz .LBB399_730
.LBB399_933:                            ;   in Loop: Header=BB399_722 Depth=2
	global_load_ubyte v150, v[39:40], off offset:128
	s_or_b32 exec_lo, exec_lo, s22
	s_mov_b32 s22, exec_lo
	v_cmpx_gt_u32_e64 s63, v104
	s_cbranch_execz .LBB399_731
.LBB399_934:                            ;   in Loop: Header=BB399_722 Depth=2
	global_load_ubyte v143, v[39:40], off offset:160
	s_or_b32 exec_lo, exec_lo, s22
	s_mov_b32 s22, exec_lo
	v_cmpx_gt_u32_e64 s63, v105
	s_cbranch_execz .LBB399_732
.LBB399_935:                            ;   in Loop: Header=BB399_722 Depth=2
	global_load_ubyte v144, v[39:40], off offset:192
	s_or_b32 exec_lo, exec_lo, s22
	s_mov_b32 s22, exec_lo
	v_cmpx_gt_u32_e64 s63, v106
	s_cbranch_execz .LBB399_733
.LBB399_936:                            ;   in Loop: Header=BB399_722 Depth=2
	global_load_ubyte v145, v[39:40], off offset:224
	s_or_b32 exec_lo, exec_lo, s22
	s_mov_b32 s22, exec_lo
	v_cmpx_gt_u32_e64 s63, v107
	s_cbranch_execz .LBB399_734
.LBB399_937:                            ;   in Loop: Header=BB399_722 Depth=2
	global_load_ubyte v142, v[39:40], off offset:256
	s_or_b32 exec_lo, exec_lo, s22
	s_mov_b32 s22, exec_lo
	v_cmpx_gt_u32_e64 s63, v108
	s_cbranch_execz .LBB399_735
.LBB399_938:                            ;   in Loop: Header=BB399_722 Depth=2
	global_load_ubyte v139, v[39:40], off offset:288
	s_or_b32 exec_lo, exec_lo, s22
	s_mov_b32 s22, exec_lo
	v_cmpx_gt_u32_e64 s63, v109
	s_cbranch_execz .LBB399_736
.LBB399_939:                            ;   in Loop: Header=BB399_722 Depth=2
	global_load_ubyte v140, v[39:40], off offset:320
	s_or_b32 exec_lo, exec_lo, s22
	s_mov_b32 s22, exec_lo
	v_cmpx_gt_u32_e64 s63, v110
	s_cbranch_execz .LBB399_737
.LBB399_940:                            ;   in Loop: Header=BB399_722 Depth=2
	global_load_ubyte v141, v[39:40], off offset:352
	s_or_b32 exec_lo, exec_lo, s22
	s_mov_b32 s22, exec_lo
	v_cmpx_gt_u32_e64 s63, v111
	s_cbranch_execz .LBB399_738
.LBB399_941:                            ;   in Loop: Header=BB399_722 Depth=2
	global_load_ubyte v137, v[39:40], off offset:384
	s_or_b32 exec_lo, exec_lo, s22
	s_mov_b32 s22, exec_lo
	v_cmpx_gt_u32_e64 s63, v112
	s_cbranch_execz .LBB399_739
.LBB399_942:                            ;   in Loop: Header=BB399_722 Depth=2
	global_load_ubyte v3, v[39:40], off offset:416
	s_or_b32 exec_lo, exec_lo, s22
	s_mov_b32 s22, exec_lo
	v_cmpx_gt_u32_e64 s63, v113
	s_cbranch_execz .LBB399_740
.LBB399_943:                            ;   in Loop: Header=BB399_722 Depth=2
	global_load_ubyte v41, v[39:40], off offset:448
	s_or_b32 exec_lo, exec_lo, s22
	s_mov_b32 s22, exec_lo
	v_cmpx_gt_u32_e64 s63, v114
	s_cbranch_execnz .LBB399_741
	s_branch .LBB399_742
.LBB399_944:                            ;   in Loop: Header=BB399_12 Depth=1
	s_waitcnt lgkmcnt(0)
	s_mov_b32 s5, 0
	s_barrier
.LBB399_945:                            ;   in Loop: Header=BB399_12 Depth=1
	s_and_b32 vcc_lo, exec_lo, s5
	s_cbranch_vccz .LBB399_11
; %bb.946:                              ;   in Loop: Header=BB399_12 Depth=1
	v_mov_b32_e32 v17, 0
	v_mov_b32_e32 v20, 0
	;; [unrolled: 1-line block ×17, first 2 shown]
	s_mov_b32 s5, s60
	s_mov_b32 s16, s58
	s_barrier
	buffer_gl0_inv
	s_branch .LBB399_948
.LBB399_947:                            ;   in Loop: Header=BB399_948 Depth=2
	s_or_b32 exec_lo, exec_lo, s15
	s_addk_i32 s5, 0xef00
	s_cmp_ge_u32 s14, s59
	s_mov_b32 s16, s14
	s_cbranch_scc1 .LBB399_1020
.LBB399_948:                            ;   Parent Loop BB399_12 Depth=1
                                        ; =>  This Inner Loop Header: Depth=2
	s_add_i32 s14, s16, 0x1100
	s_mov_b32 s15, -1
	s_cmp_gt_u32 s14, s59
                                        ; implicit-def: $vgpr21
                                        ; implicit-def: $vgpr22
                                        ; implicit-def: $vgpr23
                                        ; implicit-def: $vgpr24
                                        ; implicit-def: $vgpr25
                                        ; implicit-def: $vgpr26
                                        ; implicit-def: $vgpr27
                                        ; implicit-def: $vgpr28
                                        ; implicit-def: $vgpr29
                                        ; implicit-def: $vgpr30
                                        ; implicit-def: $vgpr31
                                        ; implicit-def: $vgpr32
                                        ; implicit-def: $vgpr33
                                        ; implicit-def: $vgpr34
                                        ; implicit-def: $vgpr35
                                        ; implicit-def: $vgpr36
                                        ; implicit-def: $vgpr37
	s_cbranch_scc1 .LBB399_950
; %bb.949:                              ;   in Loop: Header=BB399_948 Depth=2
	v_add_co_u32 v38, vcc_lo, v82, s16
	v_add_co_ci_u32_e64 v39, null, 0, v83, vcc_lo
	s_mov_b32 s15, 0
	v_add_co_u32 v21, vcc_lo, 0x800, v38
	v_add_co_ci_u32_e64 v22, null, 0, v39, vcc_lo
	v_add_co_u32 v23, vcc_lo, 0x1000, v38
	v_add_co_ci_u32_e64 v24, null, 0, v39, vcc_lo
	s_clause 0x10
	global_load_ubyte v36, v[21:22], off offset:1792
	global_load_ubyte v37, v[23:24], off
	global_load_ubyte v35, v[21:22], off offset:1536
	global_load_ubyte v34, v[21:22], off offset:1280
	;; [unrolled: 1-line block ×6, first 2 shown]
	global_load_ubyte v29, v[21:22], off
	global_load_ubyte v28, v[38:39], off offset:1792
	global_load_ubyte v27, v[38:39], off offset:1536
	;; [unrolled: 1-line block ×7, first 2 shown]
	global_load_ubyte v21, v[38:39], off
.LBB399_950:                            ;   in Loop: Header=BB399_948 Depth=2
	s_andn2_b32 vcc_lo, exec_lo, s15
	s_movk_i32 s15, 0x1100
	s_cbranch_vccnz .LBB399_970
; %bb.951:                              ;   in Loop: Header=BB399_948 Depth=2
	s_add_u32 s15, s44, s16
	s_addc_u32 s16, s45, 0
	s_mov_b32 s17, exec_lo
	v_cmpx_gt_u32_e64 s5, v0
	s_cbranch_execnz .LBB399_1004
; %bb.952:                              ;   in Loop: Header=BB399_948 Depth=2
	s_or_b32 exec_lo, exec_lo, s17
	s_mov_b32 s17, exec_lo
	v_cmpx_gt_u32_e64 s5, v44
	s_cbranch_execnz .LBB399_1005
.LBB399_953:                            ;   in Loop: Header=BB399_948 Depth=2
	s_or_b32 exec_lo, exec_lo, s17
	s_mov_b32 s17, exec_lo
	v_cmpx_gt_u32_e64 s5, v47
	s_cbranch_execnz .LBB399_1006
.LBB399_954:                            ;   in Loop: Header=BB399_948 Depth=2
	s_or_b32 exec_lo, exec_lo, s17
	s_mov_b32 s17, exec_lo
	v_cmpx_gt_u32_e64 s5, v48
	s_cbranch_execnz .LBB399_1007
.LBB399_955:                            ;   in Loop: Header=BB399_948 Depth=2
	s_or_b32 exec_lo, exec_lo, s17
	s_mov_b32 s17, exec_lo
	v_cmpx_gt_u32_e64 s5, v49
	s_cbranch_execnz .LBB399_1008
.LBB399_956:                            ;   in Loop: Header=BB399_948 Depth=2
	s_or_b32 exec_lo, exec_lo, s17
	s_mov_b32 s17, exec_lo
	v_cmpx_gt_u32_e64 s5, v50
	s_cbranch_execnz .LBB399_1009
.LBB399_957:                            ;   in Loop: Header=BB399_948 Depth=2
	s_or_b32 exec_lo, exec_lo, s17
	s_mov_b32 s17, exec_lo
	v_cmpx_gt_u32_e64 s5, v51
	s_cbranch_execnz .LBB399_1010
.LBB399_958:                            ;   in Loop: Header=BB399_948 Depth=2
	s_or_b32 exec_lo, exec_lo, s17
	s_mov_b32 s17, exec_lo
	v_cmpx_gt_u32_e64 s5, v52
	s_cbranch_execnz .LBB399_1011
.LBB399_959:                            ;   in Loop: Header=BB399_948 Depth=2
	s_or_b32 exec_lo, exec_lo, s17
	s_mov_b32 s17, exec_lo
	v_cmpx_gt_u32_e64 s5, v53
	s_cbranch_execnz .LBB399_1012
.LBB399_960:                            ;   in Loop: Header=BB399_948 Depth=2
	s_or_b32 exec_lo, exec_lo, s17
	s_mov_b32 s17, exec_lo
	v_cmpx_gt_u32_e64 s5, v54
	s_cbranch_execnz .LBB399_1013
.LBB399_961:                            ;   in Loop: Header=BB399_948 Depth=2
	s_or_b32 exec_lo, exec_lo, s17
	s_mov_b32 s17, exec_lo
	v_cmpx_gt_u32_e64 s5, v55
	s_cbranch_execnz .LBB399_1014
.LBB399_962:                            ;   in Loop: Header=BB399_948 Depth=2
	s_or_b32 exec_lo, exec_lo, s17
	s_mov_b32 s17, exec_lo
	v_cmpx_gt_u32_e64 s5, v56
	s_cbranch_execnz .LBB399_1015
.LBB399_963:                            ;   in Loop: Header=BB399_948 Depth=2
	s_or_b32 exec_lo, exec_lo, s17
	s_mov_b32 s17, exec_lo
	v_cmpx_gt_u32_e64 s5, v57
	s_cbranch_execnz .LBB399_1016
.LBB399_964:                            ;   in Loop: Header=BB399_948 Depth=2
	s_or_b32 exec_lo, exec_lo, s17
	s_mov_b32 s17, exec_lo
	v_cmpx_gt_u32_e64 s5, v58
	s_cbranch_execnz .LBB399_1017
.LBB399_965:                            ;   in Loop: Header=BB399_948 Depth=2
	s_or_b32 exec_lo, exec_lo, s17
	s_mov_b32 s17, exec_lo
	v_cmpx_gt_u32_e64 s5, v59
	s_cbranch_execnz .LBB399_1018
.LBB399_966:                            ;   in Loop: Header=BB399_948 Depth=2
	s_or_b32 exec_lo, exec_lo, s17
	s_mov_b32 s17, exec_lo
	v_cmpx_gt_u32_e64 s5, v60
	s_cbranch_execnz .LBB399_1019
.LBB399_967:                            ;   in Loop: Header=BB399_948 Depth=2
	s_or_b32 exec_lo, exec_lo, s17
	s_mov_b32 s17, exec_lo
	v_cmpx_gt_u32_e64 s5, v61
	s_cbranch_execz .LBB399_969
.LBB399_968:                            ;   in Loop: Header=BB399_948 Depth=2
	s_waitcnt vmcnt(0)
	v_add_co_u32 v21, s15, s15, v61
	v_add_co_ci_u32_e64 v22, null, s16, 0, s15
	global_load_ubyte v3, v[21:22], off
.LBB399_969:                            ;   in Loop: Header=BB399_948 Depth=2
	s_or_b32 exec_lo, exec_lo, s17
	s_waitcnt vmcnt(0)
	v_mov_b32_e32 v21, v17
	v_mov_b32_e32 v22, v20
	;; [unrolled: 1-line block ×17, first 2 shown]
	s_mov_b32 s15, s5
.LBB399_970:                            ;   in Loop: Header=BB399_948 Depth=2
	s_waitcnt vmcnt(15)
	v_mov_b32_e32 v3, v37
	v_mov_b32_e32 v5, v36
	s_waitcnt vmcnt(14)
	v_mov_b32_e32 v6, v35
	s_waitcnt vmcnt(13)
	;; [unrolled: 2-line block ×15, first 2 shown]
	v_mov_b32_e32 v17, v21
	s_mov_b32 s16, exec_lo
	v_cmpx_gt_u32_e64 s15, v0
	s_cbranch_execnz .LBB399_987
; %bb.971:                              ;   in Loop: Header=BB399_948 Depth=2
	s_or_b32 exec_lo, exec_lo, s16
	s_mov_b32 s16, exec_lo
	v_cmpx_gt_u32_e64 s15, v44
	s_cbranch_execnz .LBB399_988
.LBB399_972:                            ;   in Loop: Header=BB399_948 Depth=2
	s_or_b32 exec_lo, exec_lo, s16
	s_mov_b32 s16, exec_lo
	v_cmpx_gt_u32_e64 s15, v47
	s_cbranch_execnz .LBB399_989
.LBB399_973:                            ;   in Loop: Header=BB399_948 Depth=2
	s_or_b32 exec_lo, exec_lo, s16
	s_mov_b32 s16, exec_lo
	v_cmpx_gt_u32_e64 s15, v48
	s_cbranch_execnz .LBB399_990
.LBB399_974:                            ;   in Loop: Header=BB399_948 Depth=2
	s_or_b32 exec_lo, exec_lo, s16
	s_mov_b32 s16, exec_lo
	v_cmpx_gt_u32_e64 s15, v49
	s_cbranch_execnz .LBB399_991
.LBB399_975:                            ;   in Loop: Header=BB399_948 Depth=2
	s_or_b32 exec_lo, exec_lo, s16
	s_mov_b32 s16, exec_lo
	v_cmpx_gt_u32_e64 s15, v50
	s_cbranch_execnz .LBB399_992
.LBB399_976:                            ;   in Loop: Header=BB399_948 Depth=2
	s_or_b32 exec_lo, exec_lo, s16
	s_mov_b32 s16, exec_lo
	v_cmpx_gt_u32_e64 s15, v51
	s_cbranch_execnz .LBB399_993
.LBB399_977:                            ;   in Loop: Header=BB399_948 Depth=2
	s_or_b32 exec_lo, exec_lo, s16
	s_mov_b32 s16, exec_lo
	v_cmpx_gt_u32_e64 s15, v52
	s_cbranch_execnz .LBB399_994
.LBB399_978:                            ;   in Loop: Header=BB399_948 Depth=2
	s_or_b32 exec_lo, exec_lo, s16
	s_mov_b32 s16, exec_lo
	v_cmpx_gt_u32_e64 s15, v53
	s_cbranch_execnz .LBB399_995
.LBB399_979:                            ;   in Loop: Header=BB399_948 Depth=2
	s_or_b32 exec_lo, exec_lo, s16
	s_mov_b32 s16, exec_lo
	v_cmpx_gt_u32_e64 s15, v54
	s_cbranch_execnz .LBB399_996
.LBB399_980:                            ;   in Loop: Header=BB399_948 Depth=2
	s_or_b32 exec_lo, exec_lo, s16
	s_mov_b32 s16, exec_lo
	v_cmpx_gt_u32_e64 s15, v55
	s_cbranch_execnz .LBB399_997
.LBB399_981:                            ;   in Loop: Header=BB399_948 Depth=2
	s_or_b32 exec_lo, exec_lo, s16
	s_mov_b32 s16, exec_lo
	v_cmpx_gt_u32_e64 s15, v56
	s_cbranch_execnz .LBB399_998
.LBB399_982:                            ;   in Loop: Header=BB399_948 Depth=2
	s_or_b32 exec_lo, exec_lo, s16
	s_mov_b32 s16, exec_lo
	v_cmpx_gt_u32_e64 s15, v57
	s_cbranch_execnz .LBB399_999
.LBB399_983:                            ;   in Loop: Header=BB399_948 Depth=2
	s_or_b32 exec_lo, exec_lo, s16
	s_mov_b32 s16, exec_lo
	v_cmpx_gt_u32_e64 s15, v58
	s_cbranch_execnz .LBB399_1000
.LBB399_984:                            ;   in Loop: Header=BB399_948 Depth=2
	s_or_b32 exec_lo, exec_lo, s16
	s_mov_b32 s16, exec_lo
	v_cmpx_gt_u32_e64 s15, v59
	s_cbranch_execnz .LBB399_1001
.LBB399_985:                            ;   in Loop: Header=BB399_948 Depth=2
	s_or_b32 exec_lo, exec_lo, s16
	s_mov_b32 s16, exec_lo
	v_cmpx_gt_u32_e64 s15, v60
	s_cbranch_execnz .LBB399_1002
.LBB399_986:                            ;   in Loop: Header=BB399_948 Depth=2
	s_or_b32 exec_lo, exec_lo, s16
	v_cmp_gt_u32_e32 vcc_lo, s15, v61
	s_and_saveexec_b32 s15, vcc_lo
	s_cbranch_execz .LBB399_947
	s_branch .LBB399_1003
.LBB399_987:                            ;   in Loop: Header=BB399_948 Depth=2
	v_xor_b32_e32 v21, 0x80, v17
	v_lshrrev_b32_sdwa v21, s41, v21 dst_sel:DWORD dst_unused:UNUSED_PAD src0_sel:DWORD src1_sel:BYTE_0
	v_and_b32_e32 v21, s62, v21
	v_lshl_or_b32 v21, v21, 4, v63
	ds_add_u32 v21, v89
	s_or_b32 exec_lo, exec_lo, s16
	s_mov_b32 s16, exec_lo
	v_cmpx_gt_u32_e64 s15, v44
	s_cbranch_execz .LBB399_972
.LBB399_988:                            ;   in Loop: Header=BB399_948 Depth=2
	v_xor_b32_e32 v21, 0x80, v20
	v_lshrrev_b32_sdwa v21, s41, v21 dst_sel:DWORD dst_unused:UNUSED_PAD src0_sel:DWORD src1_sel:BYTE_0
	v_and_b32_e32 v21, s62, v21
	v_lshl_or_b32 v21, v21, 4, v63
	ds_add_u32 v21, v89
	s_or_b32 exec_lo, exec_lo, s16
	s_mov_b32 s16, exec_lo
	v_cmpx_gt_u32_e64 s15, v47
	s_cbranch_execz .LBB399_973
.LBB399_989:                            ;   in Loop: Header=BB399_948 Depth=2
	v_xor_b32_e32 v21, 0x80, v19
	v_lshrrev_b32_sdwa v21, s41, v21 dst_sel:DWORD dst_unused:UNUSED_PAD src0_sel:DWORD src1_sel:BYTE_0
	v_and_b32_e32 v21, s62, v21
	v_lshl_or_b32 v21, v21, 4, v63
	ds_add_u32 v21, v89
	s_or_b32 exec_lo, exec_lo, s16
	s_mov_b32 s16, exec_lo
	v_cmpx_gt_u32_e64 s15, v48
	s_cbranch_execz .LBB399_974
.LBB399_990:                            ;   in Loop: Header=BB399_948 Depth=2
	v_xor_b32_e32 v21, 0x80, v18
	v_lshrrev_b32_sdwa v21, s41, v21 dst_sel:DWORD dst_unused:UNUSED_PAD src0_sel:DWORD src1_sel:BYTE_0
	v_and_b32_e32 v21, s62, v21
	v_lshl_or_b32 v21, v21, 4, v63
	ds_add_u32 v21, v89
	s_or_b32 exec_lo, exec_lo, s16
	s_mov_b32 s16, exec_lo
	v_cmpx_gt_u32_e64 s15, v49
	s_cbranch_execz .LBB399_975
.LBB399_991:                            ;   in Loop: Header=BB399_948 Depth=2
	v_xor_b32_e32 v21, 0x80, v16
	v_lshrrev_b32_sdwa v21, s41, v21 dst_sel:DWORD dst_unused:UNUSED_PAD src0_sel:DWORD src1_sel:BYTE_0
	v_and_b32_e32 v21, s62, v21
	v_lshl_or_b32 v21, v21, 4, v63
	ds_add_u32 v21, v89
	s_or_b32 exec_lo, exec_lo, s16
	s_mov_b32 s16, exec_lo
	v_cmpx_gt_u32_e64 s15, v50
	s_cbranch_execz .LBB399_976
.LBB399_992:                            ;   in Loop: Header=BB399_948 Depth=2
	v_xor_b32_e32 v21, 0x80, v15
	v_lshrrev_b32_sdwa v21, s41, v21 dst_sel:DWORD dst_unused:UNUSED_PAD src0_sel:DWORD src1_sel:BYTE_0
	v_and_b32_e32 v21, s62, v21
	v_lshl_or_b32 v21, v21, 4, v63
	ds_add_u32 v21, v89
	s_or_b32 exec_lo, exec_lo, s16
	s_mov_b32 s16, exec_lo
	v_cmpx_gt_u32_e64 s15, v51
	s_cbranch_execz .LBB399_977
.LBB399_993:                            ;   in Loop: Header=BB399_948 Depth=2
	v_xor_b32_e32 v21, 0x80, v14
	v_lshrrev_b32_sdwa v21, s41, v21 dst_sel:DWORD dst_unused:UNUSED_PAD src0_sel:DWORD src1_sel:BYTE_0
	v_and_b32_e32 v21, s62, v21
	v_lshl_or_b32 v21, v21, 4, v63
	ds_add_u32 v21, v89
	s_or_b32 exec_lo, exec_lo, s16
	s_mov_b32 s16, exec_lo
	v_cmpx_gt_u32_e64 s15, v52
	s_cbranch_execz .LBB399_978
.LBB399_994:                            ;   in Loop: Header=BB399_948 Depth=2
	v_xor_b32_e32 v21, 0x80, v13
	v_lshrrev_b32_sdwa v21, s41, v21 dst_sel:DWORD dst_unused:UNUSED_PAD src0_sel:DWORD src1_sel:BYTE_0
	v_and_b32_e32 v21, s62, v21
	v_lshl_or_b32 v21, v21, 4, v63
	ds_add_u32 v21, v89
	s_or_b32 exec_lo, exec_lo, s16
	s_mov_b32 s16, exec_lo
	v_cmpx_gt_u32_e64 s15, v53
	s_cbranch_execz .LBB399_979
.LBB399_995:                            ;   in Loop: Header=BB399_948 Depth=2
	v_xor_b32_e32 v21, 0x80, v12
	v_lshrrev_b32_sdwa v21, s41, v21 dst_sel:DWORD dst_unused:UNUSED_PAD src0_sel:DWORD src1_sel:BYTE_0
	v_and_b32_e32 v21, s62, v21
	v_lshl_or_b32 v21, v21, 4, v63
	ds_add_u32 v21, v89
	s_or_b32 exec_lo, exec_lo, s16
	s_mov_b32 s16, exec_lo
	v_cmpx_gt_u32_e64 s15, v54
	s_cbranch_execz .LBB399_980
.LBB399_996:                            ;   in Loop: Header=BB399_948 Depth=2
	v_xor_b32_e32 v21, 0x80, v11
	v_lshrrev_b32_sdwa v21, s41, v21 dst_sel:DWORD dst_unused:UNUSED_PAD src0_sel:DWORD src1_sel:BYTE_0
	v_and_b32_e32 v21, s62, v21
	v_lshl_or_b32 v21, v21, 4, v63
	ds_add_u32 v21, v89
	s_or_b32 exec_lo, exec_lo, s16
	s_mov_b32 s16, exec_lo
	v_cmpx_gt_u32_e64 s15, v55
	s_cbranch_execz .LBB399_981
.LBB399_997:                            ;   in Loop: Header=BB399_948 Depth=2
	v_xor_b32_e32 v21, 0x80, v10
	v_lshrrev_b32_sdwa v21, s41, v21 dst_sel:DWORD dst_unused:UNUSED_PAD src0_sel:DWORD src1_sel:BYTE_0
	v_and_b32_e32 v21, s62, v21
	v_lshl_or_b32 v21, v21, 4, v63
	ds_add_u32 v21, v89
	s_or_b32 exec_lo, exec_lo, s16
	s_mov_b32 s16, exec_lo
	v_cmpx_gt_u32_e64 s15, v56
	s_cbranch_execz .LBB399_982
.LBB399_998:                            ;   in Loop: Header=BB399_948 Depth=2
	v_xor_b32_e32 v21, 0x80, v9
	v_lshrrev_b32_sdwa v21, s41, v21 dst_sel:DWORD dst_unused:UNUSED_PAD src0_sel:DWORD src1_sel:BYTE_0
	v_and_b32_e32 v21, s62, v21
	v_lshl_or_b32 v21, v21, 4, v63
	ds_add_u32 v21, v89
	s_or_b32 exec_lo, exec_lo, s16
	s_mov_b32 s16, exec_lo
	v_cmpx_gt_u32_e64 s15, v57
	s_cbranch_execz .LBB399_983
.LBB399_999:                            ;   in Loop: Header=BB399_948 Depth=2
	v_xor_b32_e32 v21, 0x80, v8
	v_lshrrev_b32_sdwa v21, s41, v21 dst_sel:DWORD dst_unused:UNUSED_PAD src0_sel:DWORD src1_sel:BYTE_0
	v_and_b32_e32 v21, s62, v21
	v_lshl_or_b32 v21, v21, 4, v63
	ds_add_u32 v21, v89
	s_or_b32 exec_lo, exec_lo, s16
	s_mov_b32 s16, exec_lo
	v_cmpx_gt_u32_e64 s15, v58
	s_cbranch_execz .LBB399_984
.LBB399_1000:                           ;   in Loop: Header=BB399_948 Depth=2
	v_xor_b32_e32 v21, 0x80, v7
	v_lshrrev_b32_sdwa v21, s41, v21 dst_sel:DWORD dst_unused:UNUSED_PAD src0_sel:DWORD src1_sel:BYTE_0
	v_and_b32_e32 v21, s62, v21
	v_lshl_or_b32 v21, v21, 4, v63
	ds_add_u32 v21, v89
	s_or_b32 exec_lo, exec_lo, s16
	s_mov_b32 s16, exec_lo
	v_cmpx_gt_u32_e64 s15, v59
	s_cbranch_execz .LBB399_985
.LBB399_1001:                           ;   in Loop: Header=BB399_948 Depth=2
	v_xor_b32_e32 v21, 0x80, v6
	v_lshrrev_b32_sdwa v21, s41, v21 dst_sel:DWORD dst_unused:UNUSED_PAD src0_sel:DWORD src1_sel:BYTE_0
	v_and_b32_e32 v21, s62, v21
	v_lshl_or_b32 v21, v21, 4, v63
	ds_add_u32 v21, v89
	s_or_b32 exec_lo, exec_lo, s16
	s_mov_b32 s16, exec_lo
	v_cmpx_gt_u32_e64 s15, v60
	s_cbranch_execz .LBB399_986
.LBB399_1002:                           ;   in Loop: Header=BB399_948 Depth=2
	v_xor_b32_e32 v21, 0x80, v5
	v_lshrrev_b32_sdwa v21, s41, v21 dst_sel:DWORD dst_unused:UNUSED_PAD src0_sel:DWORD src1_sel:BYTE_0
	v_and_b32_e32 v21, s62, v21
	v_lshl_or_b32 v21, v21, 4, v63
	ds_add_u32 v21, v89
	s_or_b32 exec_lo, exec_lo, s16
	v_cmp_gt_u32_e32 vcc_lo, s15, v61
	s_and_saveexec_b32 s15, vcc_lo
	s_cbranch_execz .LBB399_947
.LBB399_1003:                           ;   in Loop: Header=BB399_948 Depth=2
	v_xor_b32_e32 v21, 0x80, v3
	v_lshrrev_b32_sdwa v21, s41, v21 dst_sel:DWORD dst_unused:UNUSED_PAD src0_sel:DWORD src1_sel:BYTE_0
	v_and_b32_e32 v21, s62, v21
	v_lshl_or_b32 v21, v21, 4, v63
	ds_add_u32 v21, v89
	s_branch .LBB399_947
.LBB399_1004:                           ;   in Loop: Header=BB399_948 Depth=2
	s_waitcnt vmcnt(0)
	v_add_co_u32 v21, s18, s15, v0
	v_add_co_ci_u32_e64 v22, null, s16, 0, s18
	global_load_ubyte v17, v[21:22], off
	s_or_b32 exec_lo, exec_lo, s17
	s_mov_b32 s17, exec_lo
	v_cmpx_gt_u32_e64 s5, v44
	s_cbranch_execz .LBB399_953
.LBB399_1005:                           ;   in Loop: Header=BB399_948 Depth=2
	v_add_co_u32 v20, s18, s15, v0
	s_waitcnt vmcnt(0)
	v_add_co_ci_u32_e64 v21, null, s16, 0, s18
	global_load_ubyte v20, v[20:21], off offset:256
	s_or_b32 exec_lo, exec_lo, s17
	s_mov_b32 s17, exec_lo
	v_cmpx_gt_u32_e64 s5, v47
	s_cbranch_execz .LBB399_954
.LBB399_1006:                           ;   in Loop: Header=BB399_948 Depth=2
	s_waitcnt vmcnt(0)
	v_add_co_u32 v21, s18, s15, v0
	v_add_co_ci_u32_e64 v22, null, s16, 0, s18
	global_load_ubyte v19, v[21:22], off offset:512
	s_or_b32 exec_lo, exec_lo, s17
	s_mov_b32 s17, exec_lo
	v_cmpx_gt_u32_e64 s5, v48
	s_cbranch_execz .LBB399_955
.LBB399_1007:                           ;   in Loop: Header=BB399_948 Depth=2
	s_waitcnt vmcnt(0)
	v_add_co_u32 v21, s18, s15, v0
	v_add_co_ci_u32_e64 v22, null, s16, 0, s18
	global_load_ubyte v18, v[21:22], off offset:768
	s_or_b32 exec_lo, exec_lo, s17
	s_mov_b32 s17, exec_lo
	v_cmpx_gt_u32_e64 s5, v49
	s_cbranch_execz .LBB399_956
.LBB399_1008:                           ;   in Loop: Header=BB399_948 Depth=2
	s_waitcnt vmcnt(0)
	v_add_co_u32 v21, s18, s15, v0
	v_add_co_ci_u32_e64 v22, null, s16, 0, s18
	global_load_ubyte v16, v[21:22], off offset:1024
	s_or_b32 exec_lo, exec_lo, s17
	s_mov_b32 s17, exec_lo
	v_cmpx_gt_u32_e64 s5, v50
	s_cbranch_execz .LBB399_957
.LBB399_1009:                           ;   in Loop: Header=BB399_948 Depth=2
	s_waitcnt vmcnt(0)
	v_add_co_u32 v21, s18, s15, v0
	v_add_co_ci_u32_e64 v22, null, s16, 0, s18
	global_load_ubyte v15, v[21:22], off offset:1280
	s_or_b32 exec_lo, exec_lo, s17
	s_mov_b32 s17, exec_lo
	v_cmpx_gt_u32_e64 s5, v51
	s_cbranch_execz .LBB399_958
.LBB399_1010:                           ;   in Loop: Header=BB399_948 Depth=2
	s_waitcnt vmcnt(0)
	v_add_co_u32 v21, s18, s15, v0
	v_add_co_ci_u32_e64 v22, null, s16, 0, s18
	global_load_ubyte v14, v[21:22], off offset:1536
	s_or_b32 exec_lo, exec_lo, s17
	s_mov_b32 s17, exec_lo
	v_cmpx_gt_u32_e64 s5, v52
	s_cbranch_execz .LBB399_959
.LBB399_1011:                           ;   in Loop: Header=BB399_948 Depth=2
	s_waitcnt vmcnt(0)
	v_add_co_u32 v21, s18, s15, v0
	v_add_co_ci_u32_e64 v22, null, s16, 0, s18
	global_load_ubyte v13, v[21:22], off offset:1792
	s_or_b32 exec_lo, exec_lo, s17
	s_mov_b32 s17, exec_lo
	v_cmpx_gt_u32_e64 s5, v53
	s_cbranch_execz .LBB399_960
.LBB399_1012:                           ;   in Loop: Header=BB399_948 Depth=2
	s_waitcnt vmcnt(0)
	v_add_co_u32 v21, s18, s15, v53
	v_add_co_ci_u32_e64 v22, null, s16, 0, s18
	global_load_ubyte v12, v[21:22], off
	s_or_b32 exec_lo, exec_lo, s17
	s_mov_b32 s17, exec_lo
	v_cmpx_gt_u32_e64 s5, v54
	s_cbranch_execz .LBB399_961
.LBB399_1013:                           ;   in Loop: Header=BB399_948 Depth=2
	s_waitcnt vmcnt(0)
	v_add_co_u32 v21, s18, s15, v54
	v_add_co_ci_u32_e64 v22, null, s16, 0, s18
	global_load_ubyte v11, v[21:22], off
	s_or_b32 exec_lo, exec_lo, s17
	s_mov_b32 s17, exec_lo
	v_cmpx_gt_u32_e64 s5, v55
	s_cbranch_execz .LBB399_962
.LBB399_1014:                           ;   in Loop: Header=BB399_948 Depth=2
	s_waitcnt vmcnt(0)
	v_add_co_u32 v21, s18, s15, v55
	v_add_co_ci_u32_e64 v22, null, s16, 0, s18
	global_load_ubyte v10, v[21:22], off
	s_or_b32 exec_lo, exec_lo, s17
	s_mov_b32 s17, exec_lo
	v_cmpx_gt_u32_e64 s5, v56
	s_cbranch_execz .LBB399_963
.LBB399_1015:                           ;   in Loop: Header=BB399_948 Depth=2
	s_waitcnt vmcnt(0)
	v_add_co_u32 v21, s18, s15, v56
	v_add_co_ci_u32_e64 v22, null, s16, 0, s18
	global_load_ubyte v9, v[21:22], off
	s_or_b32 exec_lo, exec_lo, s17
	s_mov_b32 s17, exec_lo
	v_cmpx_gt_u32_e64 s5, v57
	s_cbranch_execz .LBB399_964
.LBB399_1016:                           ;   in Loop: Header=BB399_948 Depth=2
	s_waitcnt vmcnt(0)
	v_add_co_u32 v21, s18, s15, v57
	v_add_co_ci_u32_e64 v22, null, s16, 0, s18
	global_load_ubyte v8, v[21:22], off
	s_or_b32 exec_lo, exec_lo, s17
	s_mov_b32 s17, exec_lo
	v_cmpx_gt_u32_e64 s5, v58
	s_cbranch_execz .LBB399_965
.LBB399_1017:                           ;   in Loop: Header=BB399_948 Depth=2
	s_waitcnt vmcnt(0)
	v_add_co_u32 v21, s18, s15, v58
	v_add_co_ci_u32_e64 v22, null, s16, 0, s18
	global_load_ubyte v7, v[21:22], off
	s_or_b32 exec_lo, exec_lo, s17
	s_mov_b32 s17, exec_lo
	v_cmpx_gt_u32_e64 s5, v59
	s_cbranch_execz .LBB399_966
.LBB399_1018:                           ;   in Loop: Header=BB399_948 Depth=2
	s_waitcnt vmcnt(0)
	v_add_co_u32 v21, s18, s15, v59
	v_add_co_ci_u32_e64 v22, null, s16, 0, s18
	global_load_ubyte v6, v[21:22], off
	s_or_b32 exec_lo, exec_lo, s17
	s_mov_b32 s17, exec_lo
	v_cmpx_gt_u32_e64 s5, v60
	s_cbranch_execz .LBB399_967
.LBB399_1019:                           ;   in Loop: Header=BB399_948 Depth=2
	s_waitcnt vmcnt(0)
	v_add_co_u32 v21, s18, s15, v60
	v_add_co_ci_u32_e64 v22, null, s16, 0, s18
	global_load_ubyte v5, v[21:22], off
	s_or_b32 exec_lo, exec_lo, s17
	s_mov_b32 s17, exec_lo
	v_cmpx_gt_u32_e64 s5, v61
	s_cbranch_execnz .LBB399_968
	s_branch .LBB399_969
.LBB399_1020:                           ;   in Loop: Header=BB399_12 Depth=1
	v_mov_b32_e32 v3, 0
	s_waitcnt lgkmcnt(0)
	s_barrier
	buffer_gl0_inv
	s_and_saveexec_b32 s5, s7
	s_cbranch_execz .LBB399_1022
; %bb.1021:                             ;   in Loop: Header=BB399_12 Depth=1
	ds_read2_b64 v[5:8], v64 offset1:1
	s_waitcnt lgkmcnt(0)
	v_add_nc_u32_e32 v3, v6, v5
	v_add3_u32 v3, v3, v7, v8
.LBB399_1022:                           ;   in Loop: Header=BB399_12 Depth=1
	s_or_b32 exec_lo, exec_lo, s5
	v_and_b32_e32 v5, 15, v86
	v_mov_b32_dpp v6, v3 row_shr:1 row_mask:0xf bank_mask:0xf
	v_and_b32_e32 v7, 16, v86
	v_cmp_eq_u32_e64 s5, 0, v5
	v_cmp_lt_u32_e64 s14, 1, v5
	v_cmp_lt_u32_e64 s15, 3, v5
	;; [unrolled: 1-line block ×3, first 2 shown]
	v_cmp_eq_u32_e64 s17, 0, v7
	v_cndmask_b32_e64 v6, v6, 0, s5
	v_add_nc_u32_e32 v3, v6, v3
	v_mov_b32_dpp v6, v3 row_shr:2 row_mask:0xf bank_mask:0xf
	v_cndmask_b32_e64 v6, 0, v6, s14
	v_add_nc_u32_e32 v3, v3, v6
	v_mov_b32_dpp v6, v3 row_shr:4 row_mask:0xf bank_mask:0xf
	;; [unrolled: 3-line block ×3, first 2 shown]
	v_cndmask_b32_e64 v5, 0, v6, s16
	v_bfe_i32 v6, v86, 4, 1
	v_add_nc_u32_e32 v3, v3, v5
	ds_swizzle_b32 v5, v3 offset:swizzle(BROADCAST,32,15)
	s_waitcnt lgkmcnt(0)
	v_and_b32_e32 v5, v6, v5
	v_add_nc_u32_e32 v3, v3, v5
	s_and_saveexec_b32 s18, s8
; %bb.1023:                             ;   in Loop: Header=BB399_12 Depth=1
	ds_write_b32 v65, v3
; %bb.1024:                             ;   in Loop: Header=BB399_12 Depth=1
	s_or_b32 exec_lo, exec_lo, s18
	s_waitcnt lgkmcnt(0)
	s_barrier
	buffer_gl0_inv
	s_and_saveexec_b32 s18, s9
	s_cbranch_execz .LBB399_1026
; %bb.1025:                             ;   in Loop: Header=BB399_12 Depth=1
	ds_read_b32 v5, v66
	v_and_b32_e32 v6, 3, v86
	v_cmp_ne_u32_e32 vcc_lo, 0, v6
	s_waitcnt lgkmcnt(0)
	v_mov_b32_dpp v7, v5 row_shr:1 row_mask:0xf bank_mask:0xf
	v_cndmask_b32_e32 v7, 0, v7, vcc_lo
	v_cmp_lt_u32_e32 vcc_lo, 1, v6
	v_add_nc_u32_e32 v5, v7, v5
	v_mov_b32_dpp v7, v5 row_shr:2 row_mask:0xf bank_mask:0xf
	v_cndmask_b32_e32 v6, 0, v7, vcc_lo
	v_add_nc_u32_e32 v5, v5, v6
	ds_write_b32 v66, v5
.LBB399_1026:                           ;   in Loop: Header=BB399_12 Depth=1
	s_or_b32 exec_lo, exec_lo, s18
	v_mov_b32_e32 v5, 0
	s_waitcnt lgkmcnt(0)
	s_barrier
	buffer_gl0_inv
	s_and_saveexec_b32 s18, s10
; %bb.1027:                             ;   in Loop: Header=BB399_12 Depth=1
	ds_read_b32 v5, v67
; %bb.1028:                             ;   in Loop: Header=BB399_12 Depth=1
	s_or_b32 exec_lo, exec_lo, s18
	v_sub_co_u32 v6, s18, v86, 1
	s_waitcnt lgkmcnt(0)
	v_add_nc_u32_e32 v3, v5, v3
	s_barrier
	v_cmp_gt_i32_e32 vcc_lo, 0, v6
	buffer_gl0_inv
	v_cndmask_b32_e32 v6, v6, v86, vcc_lo
	v_lshlrev_b32_e32 v94, 2, v6
	ds_bpermute_b32 v3, v94, v3
	s_and_saveexec_b32 s19, s7
	s_cbranch_execz .LBB399_1030
; %bb.1029:                             ;   in Loop: Header=BB399_12 Depth=1
	s_waitcnt lgkmcnt(0)
	v_cndmask_b32_e64 v3, v3, v5, s18
	v_add_nc_u32_e32 v3, s58, v3
	ds_write_b32 v43, v3
.LBB399_1030:                           ;   in Loop: Header=BB399_12 Depth=1
	s_or_b32 exec_lo, exec_lo, s19
	s_load_dwordx2 s[20:21], s[56:57], 0x0
	v_and_b32_e32 v6, 7, v86
	v_lshlrev_b32_e32 v7, 3, v86
	v_or_b32_e32 v95, v86, v68
	v_add_co_u32 v96, vcc_lo, v87, v86
	v_add_co_ci_u32_e64 v97, null, 0, v88, vcc_lo
	v_add_co_u32 v98, vcc_lo, v84, v7
	v_add_co_ci_u32_e64 v99, null, 0, v85, vcc_lo
	v_add_nc_u32_e32 v100, 32, v95
	v_add_nc_u32_e32 v101, 64, v95
	v_add_nc_u32_e32 v102, 0x60, v95
	v_add_nc_u32_e32 v103, 0x80, v95
	v_add_nc_u32_e32 v104, 0xa0, v95
	v_add_nc_u32_e32 v105, 0xc0, v95
	v_add_nc_u32_e32 v106, 0xe0, v95
	v_add_nc_u32_e32 v107, 0x100, v95
	s_waitcnt lgkmcnt(0)
	s_cmp_lt_u32 s28, s21
	v_add_nc_u32_e32 v108, 0x120, v95
	s_cselect_b32 s19, 14, 20
	v_add_nc_u32_e32 v109, 0x140, v95
	s_add_u32 s22, s56, s19
	s_addc_u32 s23, s57, 0
	s_cmp_lt_u32 s6, s20
	global_load_ushort v3, v4, s[22:23]
	s_cselect_b32 s19, 12, 18
	v_add_nc_u32_e32 v110, 0x160, v95
	s_add_u32 s20, s56, s19
	s_addc_u32 s21, s57, 0
	v_cmp_eq_u32_e64 s19, 0, v6
	global_load_ushort v5, v4, s[20:21]
	v_cmp_lt_u32_e64 s20, 1, v6
	v_cmp_lt_u32_e64 s21, 3, v6
	v_add_nc_u32_e32 v111, 0x180, v95
	v_add_nc_u32_e32 v112, 0x1a0, v95
	;; [unrolled: 1-line block ×5, first 2 shown]
	v_mov_b32_e32 v117, 0
	s_mov_b32 s63, s60
	s_mov_b32 s50, s58
                                        ; implicit-def: $vgpr7_vgpr8
                                        ; implicit-def: $vgpr9_vgpr10
                                        ; implicit-def: $vgpr11_vgpr12
                                        ; implicit-def: $vgpr13_vgpr14
                                        ; implicit-def: $vgpr15_vgpr16
                                        ; implicit-def: $vgpr19_vgpr20
                                        ; implicit-def: $vgpr23_vgpr24
                                        ; implicit-def: $vgpr27_vgpr28
                                        ; implicit-def: $vgpr17_vgpr18
                                        ; implicit-def: $vgpr21_vgpr22
                                        ; implicit-def: $vgpr25_vgpr26
                                        ; implicit-def: $vgpr29_vgpr30
                                        ; implicit-def: $vgpr31_vgpr32
                                        ; implicit-def: $vgpr33_vgpr34
                                        ; implicit-def: $vgpr35_vgpr36
                                        ; implicit-def: $vgpr37_vgpr38
                                        ; implicit-def: $vgpr118
                                        ; implicit-def: $vgpr119
                                        ; implicit-def: $vgpr120
                                        ; implicit-def: $vgpr121
                                        ; implicit-def: $vgpr122
                                        ; implicit-def: $vgpr123
                                        ; implicit-def: $vgpr124
                                        ; implicit-def: $vgpr125
                                        ; implicit-def: $vgpr126
                                        ; implicit-def: $vgpr127
                                        ; implicit-def: $vgpr128
                                        ; implicit-def: $vgpr129
                                        ; implicit-def: $vgpr130
                                        ; implicit-def: $vgpr131
                                        ; implicit-def: $vgpr132
                                        ; implicit-def: $vgpr133
                                        ; implicit-def: $vgpr134
                                        ; implicit-def: $vgpr135
                                        ; implicit-def: $vgpr136
	s_waitcnt vmcnt(1)
	v_mad_u32_u24 v3, v2, v3, v1
	s_waitcnt vmcnt(0)
	v_mad_u64_u32 v[5:6], null, v3, v5, v[0:1]
	v_lshrrev_b32_e32 v3, 3, v5
                                        ; implicit-def: $vgpr5_vgpr6
	v_and_b32_e32 v116, 0x1ffffffc, v3
	s_branch .LBB399_1032
.LBB399_1031:                           ;   in Loop: Header=BB399_1032 Depth=2
	s_or_b32 exec_lo, exec_lo, s22
	s_addk_i32 s63, 0xef00
	s_cmp_lt_u32 s64, s59
	s_mov_b32 s50, s64
	s_cbranch_scc0 .LBB399_10
.LBB399_1032:                           ;   Parent Loop BB399_12 Depth=1
                                        ; =>  This Inner Loop Header: Depth=2
	s_add_i32 s64, s50, 0x1100
	s_cmp_gt_u32 s64, s59
	s_cbranch_scc1 .LBB399_1034
; %bb.1033:                             ;   in Loop: Header=BB399_1032 Depth=2
	v_add_co_u32 v39, vcc_lo, v96, s50
	v_add_co_ci_u32_e64 v40, null, 0, v97, vcc_lo
	s_mov_b32 s22, -1
	s_clause 0xf
	global_load_ubyte v42, v[39:40], off offset:480
	global_load_ubyte v41, v[39:40], off offset:448
	;; [unrolled: 1-line block ×15, first 2 shown]
	global_load_ubyte v146, v[39:40], off
	s_movk_i32 s23, 0x1100
	s_cbranch_execz .LBB399_1035
	s_branch .LBB399_1053
.LBB399_1034:                           ;   in Loop: Header=BB399_1032 Depth=2
	s_mov_b32 s22, 0
                                        ; implicit-def: $vgpr146
                                        ; implicit-def: $vgpr147
                                        ; implicit-def: $vgpr148
                                        ; implicit-def: $vgpr151
                                        ; implicit-def: $vgpr150
                                        ; implicit-def: $vgpr143
                                        ; implicit-def: $vgpr144
                                        ; implicit-def: $vgpr145
                                        ; implicit-def: $vgpr142
                                        ; implicit-def: $vgpr139
                                        ; implicit-def: $vgpr140
                                        ; implicit-def: $vgpr141
                                        ; implicit-def: $vgpr137
                                        ; implicit-def: $vgpr3
                                        ; implicit-def: $vgpr41
                                        ; implicit-def: $vgpr42
                                        ; implicit-def: $vgpr117
	s_movk_i32 s23, 0x1100
.LBB399_1035:                           ;   in Loop: Header=BB399_1032 Depth=2
	v_add_co_u32 v39, vcc_lo, v96, s50
	v_add_co_ci_u32_e64 v40, null, 0, v97, vcc_lo
	v_mov_b32_e32 v117, 0x7f
	s_waitcnt vmcnt(0)
	v_mov_b32_e32 v146, 0x7f
	v_mov_b32_e32 v147, 0x7f
	;; [unrolled: 1-line block ×16, first 2 shown]
	s_mov_b32 s22, exec_lo
	v_cmpx_gt_u32_e64 s63, v95
	s_cbranch_execnz .LBB399_1239
; %bb.1036:                             ;   in Loop: Header=BB399_1032 Depth=2
	s_or_b32 exec_lo, exec_lo, s22
	s_mov_b32 s22, exec_lo
	v_cmpx_gt_u32_e64 s63, v100
	s_cbranch_execnz .LBB399_1240
.LBB399_1037:                           ;   in Loop: Header=BB399_1032 Depth=2
	s_or_b32 exec_lo, exec_lo, s22
	s_mov_b32 s22, exec_lo
	v_cmpx_gt_u32_e64 s63, v101
	s_cbranch_execnz .LBB399_1241
.LBB399_1038:                           ;   in Loop: Header=BB399_1032 Depth=2
	s_or_b32 exec_lo, exec_lo, s22
	s_mov_b32 s22, exec_lo
	v_cmpx_gt_u32_e64 s63, v102
	s_cbranch_execnz .LBB399_1242
.LBB399_1039:                           ;   in Loop: Header=BB399_1032 Depth=2
	s_or_b32 exec_lo, exec_lo, s22
	s_mov_b32 s22, exec_lo
	v_cmpx_gt_u32_e64 s63, v103
	s_cbranch_execnz .LBB399_1243
.LBB399_1040:                           ;   in Loop: Header=BB399_1032 Depth=2
	s_or_b32 exec_lo, exec_lo, s22
	s_mov_b32 s22, exec_lo
	v_cmpx_gt_u32_e64 s63, v104
	s_cbranch_execnz .LBB399_1244
.LBB399_1041:                           ;   in Loop: Header=BB399_1032 Depth=2
	s_or_b32 exec_lo, exec_lo, s22
	s_mov_b32 s22, exec_lo
	v_cmpx_gt_u32_e64 s63, v105
	s_cbranch_execnz .LBB399_1245
.LBB399_1042:                           ;   in Loop: Header=BB399_1032 Depth=2
	s_or_b32 exec_lo, exec_lo, s22
	s_mov_b32 s22, exec_lo
	v_cmpx_gt_u32_e64 s63, v106
	s_cbranch_execnz .LBB399_1246
.LBB399_1043:                           ;   in Loop: Header=BB399_1032 Depth=2
	s_or_b32 exec_lo, exec_lo, s22
	s_mov_b32 s22, exec_lo
	v_cmpx_gt_u32_e64 s63, v107
	s_cbranch_execnz .LBB399_1247
.LBB399_1044:                           ;   in Loop: Header=BB399_1032 Depth=2
	s_or_b32 exec_lo, exec_lo, s22
	s_mov_b32 s22, exec_lo
	v_cmpx_gt_u32_e64 s63, v108
	s_cbranch_execnz .LBB399_1248
.LBB399_1045:                           ;   in Loop: Header=BB399_1032 Depth=2
	s_or_b32 exec_lo, exec_lo, s22
	s_mov_b32 s22, exec_lo
	v_cmpx_gt_u32_e64 s63, v109
	s_cbranch_execnz .LBB399_1249
.LBB399_1046:                           ;   in Loop: Header=BB399_1032 Depth=2
	s_or_b32 exec_lo, exec_lo, s22
	s_mov_b32 s22, exec_lo
	v_cmpx_gt_u32_e64 s63, v110
	s_cbranch_execnz .LBB399_1250
.LBB399_1047:                           ;   in Loop: Header=BB399_1032 Depth=2
	s_or_b32 exec_lo, exec_lo, s22
	s_mov_b32 s22, exec_lo
	v_cmpx_gt_u32_e64 s63, v111
	s_cbranch_execnz .LBB399_1251
.LBB399_1048:                           ;   in Loop: Header=BB399_1032 Depth=2
	s_or_b32 exec_lo, exec_lo, s22
	s_mov_b32 s22, exec_lo
	v_cmpx_gt_u32_e64 s63, v112
	s_cbranch_execnz .LBB399_1252
.LBB399_1049:                           ;   in Loop: Header=BB399_1032 Depth=2
	s_or_b32 exec_lo, exec_lo, s22
	s_mov_b32 s22, exec_lo
	v_cmpx_gt_u32_e64 s63, v113
	s_cbranch_execnz .LBB399_1253
.LBB399_1050:                           ;   in Loop: Header=BB399_1032 Depth=2
	s_or_b32 exec_lo, exec_lo, s22
	s_mov_b32 s22, exec_lo
	v_cmpx_gt_u32_e64 s63, v114
	s_cbranch_execz .LBB399_1052
.LBB399_1051:                           ;   in Loop: Header=BB399_1032 Depth=2
	global_load_ubyte v42, v[39:40], off offset:480
.LBB399_1052:                           ;   in Loop: Header=BB399_1032 Depth=2
	s_or_b32 exec_lo, exec_lo, s22
	v_cmp_gt_u32_e64 s22, s63, v115
	s_sub_i32 s23, s59, s50
.LBB399_1053:                           ;   in Loop: Header=BB399_1032 Depth=2
	v_mov_b32_e32 v138, s63
	s_and_saveexec_b32 s24, s22
	s_cbranch_execz .LBB399_1055
; %bb.1054:                             ;   in Loop: Header=BB399_1032 Depth=2
	v_add_co_u32 v39, vcc_lo, v96, s50
	v_add_co_ci_u32_e64 v40, null, s51, v97, vcc_lo
	v_mov_b32_e32 v138, s23
	global_load_ubyte v117, v[39:40], off offset:512
.LBB399_1055:                           ;   in Loop: Header=BB399_1032 Depth=2
	s_or_b32 exec_lo, exec_lo, s24
	s_waitcnt vmcnt(0)
	v_xor_b32_e32 v39, 0x80, v146
	ds_write2_b32 v69, v4, v4 offset0:136 offset1:137
	ds_write2_b32 v69, v4, v4 offset0:138 offset1:139
	ds_write_b32 v69, v4 offset:560
	s_waitcnt lgkmcnt(0)
	s_barrier
	v_and_b32_sdwa v40, v92, v39 dst_sel:DWORD dst_unused:UNUSED_PAD src0_sel:DWORD src1_sel:BYTE_0
	buffer_gl0_inv
	; wave barrier
	v_lshrrev_b32_e32 v40, s41, v40
	v_and_b32_e32 v149, s62, v40
	v_and_b32_e32 v40, 1, v149
	v_lshlrev_b32_e32 v146, 30, v149
	v_lshlrev_b32_e32 v152, 29, v149
	;; [unrolled: 1-line block ×4, first 2 shown]
	v_add_co_u32 v40, s22, v40, -1
	v_cndmask_b32_e64 v153, 0, 1, s22
	v_not_b32_e32 v157, v146
	v_cmp_gt_i32_e64 s22, 0, v146
	v_not_b32_e32 v146, v152
	v_lshlrev_b32_e32 v156, 26, v149
	v_cmp_ne_u32_e32 vcc_lo, 0, v153
	v_ashrrev_i32_e32 v157, 31, v157
	v_lshlrev_b32_e32 v153, 25, v149
	v_ashrrev_i32_e32 v146, 31, v146
	v_mul_u32_u24_e32 v149, 36, v149
	v_xor_b32_e32 v40, vcc_lo, v40
	v_cmp_gt_i32_e32 vcc_lo, 0, v152
	v_not_b32_e32 v152, v154
	v_xor_b32_e32 v157, s22, v157
	v_cmp_gt_i32_e64 s22, 0, v154
	v_and_b32_e32 v40, exec_lo, v40
	v_not_b32_e32 v154, v155
	v_ashrrev_i32_e32 v152, 31, v152
	v_xor_b32_e32 v146, vcc_lo, v146
	v_cmp_gt_i32_e32 vcc_lo, 0, v155
	v_and_b32_e32 v40, v40, v157
	v_not_b32_e32 v155, v156
	v_ashrrev_i32_e32 v154, 31, v154
	v_xor_b32_e32 v152, s22, v152
	v_cmp_gt_i32_e64 s22, 0, v156
	v_and_b32_e32 v40, v40, v146
	v_not_b32_e32 v146, v153
	v_ashrrev_i32_e32 v155, 31, v155
	v_xor_b32_e32 v154, vcc_lo, v154
	v_cmp_gt_i32_e32 vcc_lo, 0, v153
	v_and_b32_e32 v40, v40, v152
	v_ashrrev_i32_e32 v146, 31, v146
	v_xor_b32_e32 v152, s22, v155
	v_add_nc_u32_e32 v149, v116, v149
	v_and_b32_e32 v40, v40, v154
	v_xor_b32_e32 v146, vcc_lo, v146
	v_and_b32_e32 v40, v40, v152
	v_and_b32_e32 v40, v40, v146
	v_mbcnt_lo_u32_b32 v146, v40, 0
	v_cmp_ne_u32_e64 s22, 0, v40
	v_cmp_eq_u32_e32 vcc_lo, 0, v146
	s_and_b32 s23, s22, vcc_lo
	s_and_saveexec_b32 s22, s23
; %bb.1056:                             ;   in Loop: Header=BB399_1032 Depth=2
	v_bcnt_u32_b32 v40, v40, 0
	ds_write_b32 v149, v40 offset:544
; %bb.1057:                             ;   in Loop: Header=BB399_1032 Depth=2
	s_or_b32 exec_lo, exec_lo, s22
	v_xor_b32_sdwa v40, v147, v93 dst_sel:BYTE_1 dst_unused:UNUSED_PAD src0_sel:DWORD src1_sel:DWORD
	v_xor_b32_e32 v148, 0x80, v148
	v_xor_b32_sdwa v151, v151, v93 dst_sel:BYTE_1 dst_unused:UNUSED_PAD src0_sel:DWORD src1_sel:DWORD
	; wave barrier
	v_or_b32_sdwa v147, v39, v40 dst_sel:DWORD dst_unused:UNUSED_PAD src0_sel:BYTE_0 src1_sel:DWORD
	v_or_b32_sdwa v39, v148, v151 dst_sel:WORD_1 dst_unused:UNUSED_PAD src0_sel:BYTE_0 src1_sel:DWORD
	v_or_b32_sdwa v148, v147, v39 dst_sel:DWORD dst_unused:UNUSED_PAD src0_sel:WORD_0 src1_sel:DWORD
	v_lshrrev_b32_sdwa v39, s41, v148 dst_sel:DWORD dst_unused:UNUSED_PAD src0_sel:DWORD src1_sel:BYTE_1
	v_and_b32_e32 v40, s62, v39
	v_and_b32_e32 v39, 1, v40
	v_lshlrev_b32_e32 v151, 30, v40
	v_lshlrev_b32_e32 v152, 29, v40
	;; [unrolled: 1-line block ×4, first 2 shown]
	v_add_co_u32 v39, s22, v39, -1
	v_cndmask_b32_e64 v153, 0, 1, s22
	v_not_b32_e32 v157, v151
	v_cmp_gt_i32_e64 s22, 0, v151
	v_not_b32_e32 v151, v152
	v_lshlrev_b32_e32 v156, 26, v40
	v_cmp_ne_u32_e32 vcc_lo, 0, v153
	v_ashrrev_i32_e32 v157, 31, v157
	v_lshlrev_b32_e32 v153, 25, v40
	v_ashrrev_i32_e32 v151, 31, v151
	v_xor_b32_e32 v39, vcc_lo, v39
	v_cmp_gt_i32_e32 vcc_lo, 0, v152
	v_not_b32_e32 v152, v154
	v_xor_b32_e32 v157, s22, v157
	v_cmp_gt_i32_e64 s22, 0, v154
	v_and_b32_e32 v39, exec_lo, v39
	v_not_b32_e32 v154, v155
	v_ashrrev_i32_e32 v152, 31, v152
	v_xor_b32_e32 v151, vcc_lo, v151
	v_cmp_gt_i32_e32 vcc_lo, 0, v155
	v_and_b32_e32 v39, v39, v157
	v_not_b32_e32 v155, v156
	v_ashrrev_i32_e32 v154, 31, v154
	v_xor_b32_e32 v152, s22, v152
	v_cmp_gt_i32_e64 s22, 0, v156
	v_and_b32_e32 v39, v39, v151
	v_not_b32_e32 v151, v153
	v_ashrrev_i32_e32 v155, 31, v155
	v_xor_b32_e32 v154, vcc_lo, v154
	v_cmp_gt_i32_e32 vcc_lo, 0, v153
	v_and_b32_e32 v39, v39, v152
	v_ashrrev_i32_e32 v151, 31, v151
	v_xor_b32_e32 v152, s22, v155
	v_mad_u32_u24 v153, v40, 36, v116
	v_mul_u32_u24_e32 v40, 36, v40
	v_and_b32_e32 v39, v39, v154
	v_xor_b32_e32 v154, vcc_lo, v151
	ds_read_b32 v151, v153 offset:544
	v_add_nc_u32_e32 v153, v116, v40
	v_and_b32_e32 v39, v39, v152
	; wave barrier
	v_and_b32_e32 v39, v39, v154
	v_mbcnt_lo_u32_b32 v152, v39, 0
	v_cmp_ne_u32_e64 s22, 0, v39
	v_cmp_eq_u32_e32 vcc_lo, 0, v152
	s_and_b32 s23, s22, vcc_lo
	s_and_saveexec_b32 s22, s23
	s_cbranch_execz .LBB399_1059
; %bb.1058:                             ;   in Loop: Header=BB399_1032 Depth=2
	s_waitcnt lgkmcnt(0)
	v_bcnt_u32_b32 v39, v39, v151
	ds_write_b32 v153, v39 offset:544
.LBB399_1059:                           ;   in Loop: Header=BB399_1032 Depth=2
	s_or_b32 exec_lo, exec_lo, s22
	v_lshrrev_b32_sdwa v39, s41, v148 dst_sel:DWORD dst_unused:UNUSED_PAD src0_sel:DWORD src1_sel:BYTE_2
	; wave barrier
	v_and_b32_e32 v40, s62, v39
	v_and_b32_e32 v39, 1, v40
	v_lshlrev_b32_e32 v154, 30, v40
	v_lshlrev_b32_e32 v155, 29, v40
	;; [unrolled: 1-line block ×4, first 2 shown]
	v_add_co_u32 v39, s22, v39, -1
	v_cndmask_b32_e64 v156, 0, 1, s22
	v_not_b32_e32 v160, v154
	v_cmp_gt_i32_e64 s22, 0, v154
	v_not_b32_e32 v154, v155
	v_lshlrev_b32_e32 v159, 26, v40
	v_cmp_ne_u32_e32 vcc_lo, 0, v156
	v_ashrrev_i32_e32 v160, 31, v160
	v_lshlrev_b32_e32 v156, 25, v40
	v_ashrrev_i32_e32 v154, 31, v154
	v_xor_b32_e32 v39, vcc_lo, v39
	v_cmp_gt_i32_e32 vcc_lo, 0, v155
	v_not_b32_e32 v155, v157
	v_xor_b32_e32 v160, s22, v160
	v_cmp_gt_i32_e64 s22, 0, v157
	v_and_b32_e32 v39, exec_lo, v39
	v_not_b32_e32 v157, v158
	v_ashrrev_i32_e32 v155, 31, v155
	v_xor_b32_e32 v154, vcc_lo, v154
	v_cmp_gt_i32_e32 vcc_lo, 0, v158
	v_and_b32_e32 v39, v39, v160
	v_not_b32_e32 v158, v159
	v_ashrrev_i32_e32 v157, 31, v157
	v_xor_b32_e32 v155, s22, v155
	v_cmp_gt_i32_e64 s22, 0, v159
	v_and_b32_e32 v39, v39, v154
	v_not_b32_e32 v154, v156
	v_ashrrev_i32_e32 v158, 31, v158
	v_xor_b32_e32 v157, vcc_lo, v157
	v_cmp_gt_i32_e32 vcc_lo, 0, v156
	v_and_b32_e32 v39, v39, v155
	v_ashrrev_i32_e32 v154, 31, v154
	v_xor_b32_e32 v155, s22, v158
	v_mad_u32_u24 v156, v40, 36, v116
	v_mul_u32_u24_e32 v40, 36, v40
	v_and_b32_e32 v39, v39, v157
	v_xor_b32_e32 v157, vcc_lo, v154
	ds_read_b32 v154, v156 offset:544
	v_and_b32_e32 v39, v39, v155
	; wave barrier
	v_and_b32_e32 v39, v39, v157
	v_add_nc_u32_e32 v157, v116, v40
	v_mbcnt_lo_u32_b32 v155, v39, 0
	v_cmp_ne_u32_e64 s22, 0, v39
	v_cmp_eq_u32_e32 vcc_lo, 0, v155
	s_and_b32 s23, s22, vcc_lo
	s_and_saveexec_b32 s22, s23
	s_cbranch_execz .LBB399_1061
; %bb.1060:                             ;   in Loop: Header=BB399_1032 Depth=2
	s_waitcnt lgkmcnt(0)
	v_bcnt_u32_b32 v39, v39, v154
	ds_write_b32 v157, v39 offset:544
.LBB399_1061:                           ;   in Loop: Header=BB399_1032 Depth=2
	s_or_b32 exec_lo, exec_lo, s22
	v_lshrrev_b32_e32 v156, 24, v148
	; wave barrier
	v_lshrrev_b32_e32 v39, s41, v156
	v_and_b32_e32 v40, s62, v39
	v_and_b32_e32 v39, 1, v40
	v_lshlrev_b32_e32 v158, 30, v40
	v_lshlrev_b32_e32 v159, 29, v40
	;; [unrolled: 1-line block ×4, first 2 shown]
	v_add_co_u32 v39, s22, v39, -1
	v_cndmask_b32_e64 v160, 0, 1, s22
	v_not_b32_e32 v164, v158
	v_cmp_gt_i32_e64 s22, 0, v158
	v_not_b32_e32 v158, v159
	v_lshlrev_b32_e32 v163, 26, v40
	v_cmp_ne_u32_e32 vcc_lo, 0, v160
	v_ashrrev_i32_e32 v164, 31, v164
	v_lshlrev_b32_e32 v160, 25, v40
	v_ashrrev_i32_e32 v158, 31, v158
	v_xor_b32_e32 v39, vcc_lo, v39
	v_cmp_gt_i32_e32 vcc_lo, 0, v159
	v_not_b32_e32 v159, v161
	v_xor_b32_e32 v164, s22, v164
	v_cmp_gt_i32_e64 s22, 0, v161
	v_and_b32_e32 v39, exec_lo, v39
	v_not_b32_e32 v161, v162
	v_ashrrev_i32_e32 v159, 31, v159
	v_xor_b32_e32 v158, vcc_lo, v158
	v_cmp_gt_i32_e32 vcc_lo, 0, v162
	v_and_b32_e32 v39, v39, v164
	v_not_b32_e32 v162, v163
	v_ashrrev_i32_e32 v161, 31, v161
	v_xor_b32_e32 v159, s22, v159
	v_cmp_gt_i32_e64 s22, 0, v163
	v_and_b32_e32 v39, v39, v158
	v_not_b32_e32 v158, v160
	v_ashrrev_i32_e32 v162, 31, v162
	v_xor_b32_e32 v161, vcc_lo, v161
	v_cmp_gt_i32_e32 vcc_lo, 0, v160
	v_and_b32_e32 v39, v39, v159
	v_ashrrev_i32_e32 v158, 31, v158
	v_xor_b32_e32 v159, s22, v162
	v_mad_u32_u24 v160, v40, 36, v116
	v_mul_u32_u24_e32 v40, 36, v40
	v_and_b32_e32 v39, v39, v161
	v_xor_b32_e32 v161, vcc_lo, v158
	ds_read_b32 v158, v160 offset:544
	v_add_nc_u32_e32 v160, v116, v40
	v_and_b32_e32 v39, v39, v159
	; wave barrier
	v_and_b32_e32 v39, v39, v161
	v_mbcnt_lo_u32_b32 v159, v39, 0
	v_cmp_ne_u32_e64 s22, 0, v39
	v_cmp_eq_u32_e32 vcc_lo, 0, v159
	s_and_b32 s23, s22, vcc_lo
	s_and_saveexec_b32 s22, s23
	s_cbranch_execz .LBB399_1063
; %bb.1062:                             ;   in Loop: Header=BB399_1032 Depth=2
	s_waitcnt lgkmcnt(0)
	v_bcnt_u32_b32 v39, v39, v158
	ds_write_b32 v160, v39 offset:544
.LBB399_1063:                           ;   in Loop: Header=BB399_1032 Depth=2
	s_or_b32 exec_lo, exec_lo, s22
	v_xor_b32_e32 v39, 0x80, v150
	; wave barrier
	v_and_b32_sdwa v40, v92, v39 dst_sel:DWORD dst_unused:UNUSED_PAD src0_sel:DWORD src1_sel:BYTE_0
	v_lshrrev_b32_e32 v40, s41, v40
	v_and_b32_e32 v162, s62, v40
	v_and_b32_e32 v40, 1, v162
	v_lshlrev_b32_e32 v150, 30, v162
	v_lshlrev_b32_e32 v161, 29, v162
	;; [unrolled: 1-line block ×4, first 2 shown]
	v_add_co_u32 v40, s22, v40, -1
	v_cndmask_b32_e64 v163, 0, 1, s22
	v_not_b32_e32 v167, v150
	v_cmp_gt_i32_e64 s22, 0, v150
	v_not_b32_e32 v150, v161
	v_lshlrev_b32_e32 v166, 26, v162
	v_cmp_ne_u32_e32 vcc_lo, 0, v163
	v_ashrrev_i32_e32 v167, 31, v167
	v_lshlrev_b32_e32 v163, 25, v162
	v_ashrrev_i32_e32 v150, 31, v150
	v_xor_b32_e32 v40, vcc_lo, v40
	v_cmp_gt_i32_e32 vcc_lo, 0, v161
	v_not_b32_e32 v161, v164
	v_xor_b32_e32 v167, s22, v167
	v_cmp_gt_i32_e64 s22, 0, v164
	v_and_b32_e32 v40, exec_lo, v40
	v_not_b32_e32 v164, v165
	v_ashrrev_i32_e32 v161, 31, v161
	v_xor_b32_e32 v150, vcc_lo, v150
	v_cmp_gt_i32_e32 vcc_lo, 0, v165
	v_and_b32_e32 v40, v40, v167
	v_not_b32_e32 v165, v166
	v_ashrrev_i32_e32 v164, 31, v164
	v_xor_b32_e32 v161, s22, v161
	v_cmp_gt_i32_e64 s22, 0, v166
	v_and_b32_e32 v40, v40, v150
	v_not_b32_e32 v150, v163
	v_ashrrev_i32_e32 v165, 31, v165
	v_xor_b32_e32 v164, vcc_lo, v164
	v_cmp_gt_i32_e32 vcc_lo, 0, v163
	v_and_b32_e32 v40, v40, v161
	v_ashrrev_i32_e32 v150, 31, v150
	v_xor_b32_e32 v161, s22, v165
	v_mad_u32_u24 v163, v162, 36, v116
	v_mul_u32_u24_e32 v162, 36, v162
	v_and_b32_e32 v40, v40, v164
	v_xor_b32_e32 v164, vcc_lo, v150
	ds_read_b32 v150, v163 offset:544
	v_add_nc_u32_e32 v162, v116, v162
	v_and_b32_e32 v40, v40, v161
	; wave barrier
	v_and_b32_e32 v40, v40, v164
	v_mbcnt_lo_u32_b32 v161, v40, 0
	v_cmp_ne_u32_e64 s22, 0, v40
	v_cmp_eq_u32_e32 vcc_lo, 0, v161
	s_and_b32 s23, s22, vcc_lo
	s_and_saveexec_b32 s22, s23
	s_cbranch_execz .LBB399_1065
; %bb.1064:                             ;   in Loop: Header=BB399_1032 Depth=2
	s_waitcnt lgkmcnt(0)
	v_bcnt_u32_b32 v40, v40, v150
	ds_write_b32 v162, v40 offset:544
.LBB399_1065:                           ;   in Loop: Header=BB399_1032 Depth=2
	s_or_b32 exec_lo, exec_lo, s22
	v_xor_b32_sdwa v40, v143, v93 dst_sel:BYTE_1 dst_unused:UNUSED_PAD src0_sel:DWORD src1_sel:DWORD
	v_xor_b32_e32 v144, 0x80, v144
	v_xor_b32_sdwa v145, v145, v93 dst_sel:BYTE_1 dst_unused:UNUSED_PAD src0_sel:DWORD src1_sel:DWORD
	; wave barrier
	v_or_b32_sdwa v143, v39, v40 dst_sel:DWORD dst_unused:UNUSED_PAD src0_sel:BYTE_0 src1_sel:DWORD
	v_or_b32_sdwa v39, v144, v145 dst_sel:WORD_1 dst_unused:UNUSED_PAD src0_sel:BYTE_0 src1_sel:DWORD
	v_or_b32_sdwa v144, v143, v39 dst_sel:DWORD dst_unused:UNUSED_PAD src0_sel:WORD_0 src1_sel:DWORD
	v_lshrrev_b32_sdwa v39, s41, v144 dst_sel:DWORD dst_unused:UNUSED_PAD src0_sel:DWORD src1_sel:BYTE_1
	v_and_b32_e32 v40, s62, v39
	v_and_b32_e32 v39, 1, v40
	v_lshlrev_b32_e32 v145, 30, v40
	v_lshlrev_b32_e32 v163, 29, v40
	;; [unrolled: 1-line block ×4, first 2 shown]
	v_add_co_u32 v39, s22, v39, -1
	v_cndmask_b32_e64 v164, 0, 1, s22
	v_not_b32_e32 v168, v145
	v_cmp_gt_i32_e64 s22, 0, v145
	v_not_b32_e32 v145, v163
	v_lshlrev_b32_e32 v167, 26, v40
	v_cmp_ne_u32_e32 vcc_lo, 0, v164
	v_ashrrev_i32_e32 v168, 31, v168
	v_lshlrev_b32_e32 v164, 25, v40
	v_ashrrev_i32_e32 v145, 31, v145
	v_xor_b32_e32 v39, vcc_lo, v39
	v_cmp_gt_i32_e32 vcc_lo, 0, v163
	v_not_b32_e32 v163, v165
	v_xor_b32_e32 v168, s22, v168
	v_cmp_gt_i32_e64 s22, 0, v165
	v_and_b32_e32 v39, exec_lo, v39
	v_not_b32_e32 v165, v166
	v_ashrrev_i32_e32 v163, 31, v163
	v_xor_b32_e32 v145, vcc_lo, v145
	v_cmp_gt_i32_e32 vcc_lo, 0, v166
	v_and_b32_e32 v39, v39, v168
	v_not_b32_e32 v166, v167
	v_ashrrev_i32_e32 v165, 31, v165
	v_xor_b32_e32 v163, s22, v163
	v_cmp_gt_i32_e64 s22, 0, v167
	v_and_b32_e32 v39, v39, v145
	v_not_b32_e32 v145, v164
	v_ashrrev_i32_e32 v166, 31, v166
	v_xor_b32_e32 v165, vcc_lo, v165
	v_cmp_gt_i32_e32 vcc_lo, 0, v164
	v_and_b32_e32 v39, v39, v163
	v_ashrrev_i32_e32 v145, 31, v145
	v_xor_b32_e32 v163, s22, v166
	v_mad_u32_u24 v164, v40, 36, v116
	v_mul_u32_u24_e32 v40, 36, v40
	v_and_b32_e32 v39, v39, v165
	v_xor_b32_e32 v165, vcc_lo, v145
	ds_read_b32 v145, v164 offset:544
	v_add_nc_u32_e32 v164, v116, v40
	v_and_b32_e32 v39, v39, v163
	; wave barrier
	v_and_b32_e32 v39, v39, v165
	v_mbcnt_lo_u32_b32 v163, v39, 0
	v_cmp_ne_u32_e64 s22, 0, v39
	v_cmp_eq_u32_e32 vcc_lo, 0, v163
	s_and_b32 s23, s22, vcc_lo
	s_and_saveexec_b32 s22, s23
	s_cbranch_execz .LBB399_1067
; %bb.1066:                             ;   in Loop: Header=BB399_1032 Depth=2
	s_waitcnt lgkmcnt(0)
	v_bcnt_u32_b32 v39, v39, v145
	ds_write_b32 v164, v39 offset:544
.LBB399_1067:                           ;   in Loop: Header=BB399_1032 Depth=2
	s_or_b32 exec_lo, exec_lo, s22
	v_lshrrev_b32_sdwa v39, s41, v144 dst_sel:DWORD dst_unused:UNUSED_PAD src0_sel:DWORD src1_sel:BYTE_2
	; wave barrier
	v_and_b32_e32 v40, s62, v39
	v_and_b32_e32 v39, 1, v40
	v_lshlrev_b32_e32 v165, 30, v40
	v_lshlrev_b32_e32 v166, 29, v40
	;; [unrolled: 1-line block ×4, first 2 shown]
	v_add_co_u32 v39, s22, v39, -1
	v_cndmask_b32_e64 v167, 0, 1, s22
	v_not_b32_e32 v171, v165
	v_cmp_gt_i32_e64 s22, 0, v165
	v_not_b32_e32 v165, v166
	v_lshlrev_b32_e32 v170, 26, v40
	v_cmp_ne_u32_e32 vcc_lo, 0, v167
	v_ashrrev_i32_e32 v171, 31, v171
	v_lshlrev_b32_e32 v167, 25, v40
	v_ashrrev_i32_e32 v165, 31, v165
	v_xor_b32_e32 v39, vcc_lo, v39
	v_cmp_gt_i32_e32 vcc_lo, 0, v166
	v_not_b32_e32 v166, v168
	v_xor_b32_e32 v171, s22, v171
	v_cmp_gt_i32_e64 s22, 0, v168
	v_and_b32_e32 v39, exec_lo, v39
	v_not_b32_e32 v168, v169
	v_ashrrev_i32_e32 v166, 31, v166
	v_xor_b32_e32 v165, vcc_lo, v165
	v_cmp_gt_i32_e32 vcc_lo, 0, v169
	v_and_b32_e32 v39, v39, v171
	v_not_b32_e32 v169, v170
	v_ashrrev_i32_e32 v168, 31, v168
	v_xor_b32_e32 v166, s22, v166
	v_cmp_gt_i32_e64 s22, 0, v170
	v_and_b32_e32 v39, v39, v165
	v_not_b32_e32 v165, v167
	v_ashrrev_i32_e32 v169, 31, v169
	v_xor_b32_e32 v168, vcc_lo, v168
	v_cmp_gt_i32_e32 vcc_lo, 0, v167
	v_and_b32_e32 v39, v39, v166
	v_ashrrev_i32_e32 v165, 31, v165
	v_xor_b32_e32 v166, s22, v169
	v_mad_u32_u24 v167, v40, 36, v116
	v_mul_u32_u24_e32 v40, 36, v40
	v_and_b32_e32 v39, v39, v168
	v_xor_b32_e32 v168, vcc_lo, v165
	ds_read_b32 v165, v167 offset:544
	v_and_b32_e32 v39, v39, v166
	; wave barrier
	v_and_b32_e32 v39, v39, v168
	v_add_nc_u32_e32 v168, v116, v40
	v_mbcnt_lo_u32_b32 v166, v39, 0
	v_cmp_ne_u32_e64 s22, 0, v39
	v_cmp_eq_u32_e32 vcc_lo, 0, v166
	s_and_b32 s23, s22, vcc_lo
	s_and_saveexec_b32 s22, s23
	s_cbranch_execz .LBB399_1069
; %bb.1068:                             ;   in Loop: Header=BB399_1032 Depth=2
	s_waitcnt lgkmcnt(0)
	v_bcnt_u32_b32 v39, v39, v165
	ds_write_b32 v168, v39 offset:544
.LBB399_1069:                           ;   in Loop: Header=BB399_1032 Depth=2
	s_or_b32 exec_lo, exec_lo, s22
	v_lshrrev_b32_e32 v167, 24, v144
	; wave barrier
	v_lshrrev_b32_e32 v39, s41, v167
	v_and_b32_e32 v40, s62, v39
	v_and_b32_e32 v39, 1, v40
	v_lshlrev_b32_e32 v169, 30, v40
	v_lshlrev_b32_e32 v170, 29, v40
	;; [unrolled: 1-line block ×4, first 2 shown]
	v_add_co_u32 v39, s22, v39, -1
	v_cndmask_b32_e64 v171, 0, 1, s22
	v_not_b32_e32 v175, v169
	v_cmp_gt_i32_e64 s22, 0, v169
	v_not_b32_e32 v169, v170
	v_lshlrev_b32_e32 v174, 26, v40
	v_cmp_ne_u32_e32 vcc_lo, 0, v171
	v_ashrrev_i32_e32 v175, 31, v175
	v_lshlrev_b32_e32 v171, 25, v40
	v_ashrrev_i32_e32 v169, 31, v169
	v_xor_b32_e32 v39, vcc_lo, v39
	v_cmp_gt_i32_e32 vcc_lo, 0, v170
	v_not_b32_e32 v170, v172
	v_xor_b32_e32 v175, s22, v175
	v_cmp_gt_i32_e64 s22, 0, v172
	v_and_b32_e32 v39, exec_lo, v39
	v_not_b32_e32 v172, v173
	v_ashrrev_i32_e32 v170, 31, v170
	v_xor_b32_e32 v169, vcc_lo, v169
	v_cmp_gt_i32_e32 vcc_lo, 0, v173
	v_and_b32_e32 v39, v39, v175
	v_not_b32_e32 v173, v174
	v_ashrrev_i32_e32 v172, 31, v172
	v_xor_b32_e32 v170, s22, v170
	v_cmp_gt_i32_e64 s22, 0, v174
	v_and_b32_e32 v39, v39, v169
	v_not_b32_e32 v169, v171
	v_ashrrev_i32_e32 v173, 31, v173
	v_xor_b32_e32 v172, vcc_lo, v172
	v_cmp_gt_i32_e32 vcc_lo, 0, v171
	v_and_b32_e32 v39, v39, v170
	v_ashrrev_i32_e32 v169, 31, v169
	v_xor_b32_e32 v170, s22, v173
	v_mad_u32_u24 v171, v40, 36, v116
	v_mul_u32_u24_e32 v40, 36, v40
	v_and_b32_e32 v39, v39, v172
	v_xor_b32_e32 v172, vcc_lo, v169
	ds_read_b32 v169, v171 offset:544
	v_add_nc_u32_e32 v171, v116, v40
	v_and_b32_e32 v39, v39, v170
	; wave barrier
	v_and_b32_e32 v39, v39, v172
	v_mbcnt_lo_u32_b32 v170, v39, 0
	v_cmp_ne_u32_e64 s22, 0, v39
	v_cmp_eq_u32_e32 vcc_lo, 0, v170
	s_and_b32 s23, s22, vcc_lo
	s_and_saveexec_b32 s22, s23
	s_cbranch_execz .LBB399_1071
; %bb.1070:                             ;   in Loop: Header=BB399_1032 Depth=2
	s_waitcnt lgkmcnt(0)
	v_bcnt_u32_b32 v39, v39, v169
	ds_write_b32 v171, v39 offset:544
.LBB399_1071:                           ;   in Loop: Header=BB399_1032 Depth=2
	s_or_b32 exec_lo, exec_lo, s22
	v_xor_b32_e32 v39, 0x80, v142
	; wave barrier
	v_and_b32_sdwa v40, v92, v39 dst_sel:DWORD dst_unused:UNUSED_PAD src0_sel:DWORD src1_sel:BYTE_0
	v_lshrrev_b32_e32 v40, s41, v40
	v_and_b32_e32 v173, s62, v40
	v_and_b32_e32 v40, 1, v173
	v_lshlrev_b32_e32 v142, 30, v173
	v_lshlrev_b32_e32 v172, 29, v173
	;; [unrolled: 1-line block ×4, first 2 shown]
	v_add_co_u32 v40, s22, v40, -1
	v_cndmask_b32_e64 v174, 0, 1, s22
	v_not_b32_e32 v178, v142
	v_cmp_gt_i32_e64 s22, 0, v142
	v_not_b32_e32 v142, v172
	v_lshlrev_b32_e32 v177, 26, v173
	v_cmp_ne_u32_e32 vcc_lo, 0, v174
	v_ashrrev_i32_e32 v178, 31, v178
	v_lshlrev_b32_e32 v174, 25, v173
	v_ashrrev_i32_e32 v142, 31, v142
	v_xor_b32_e32 v40, vcc_lo, v40
	v_cmp_gt_i32_e32 vcc_lo, 0, v172
	v_not_b32_e32 v172, v175
	v_xor_b32_e32 v178, s22, v178
	v_cmp_gt_i32_e64 s22, 0, v175
	v_and_b32_e32 v40, exec_lo, v40
	v_not_b32_e32 v175, v176
	v_ashrrev_i32_e32 v172, 31, v172
	v_xor_b32_e32 v142, vcc_lo, v142
	v_cmp_gt_i32_e32 vcc_lo, 0, v176
	v_and_b32_e32 v40, v40, v178
	v_not_b32_e32 v176, v177
	v_ashrrev_i32_e32 v175, 31, v175
	v_xor_b32_e32 v172, s22, v172
	v_cmp_gt_i32_e64 s22, 0, v177
	v_and_b32_e32 v40, v40, v142
	v_not_b32_e32 v142, v174
	v_ashrrev_i32_e32 v176, 31, v176
	v_xor_b32_e32 v175, vcc_lo, v175
	v_cmp_gt_i32_e32 vcc_lo, 0, v174
	v_and_b32_e32 v40, v40, v172
	v_ashrrev_i32_e32 v142, 31, v142
	v_xor_b32_e32 v172, s22, v176
	v_mad_u32_u24 v174, v173, 36, v116
	v_mul_u32_u24_e32 v173, 36, v173
	v_and_b32_e32 v40, v40, v175
	v_xor_b32_e32 v175, vcc_lo, v142
	ds_read_b32 v142, v174 offset:544
	v_add_nc_u32_e32 v173, v116, v173
	v_and_b32_e32 v40, v40, v172
	; wave barrier
	v_and_b32_e32 v40, v40, v175
	v_mbcnt_lo_u32_b32 v172, v40, 0
	v_cmp_ne_u32_e64 s22, 0, v40
	v_cmp_eq_u32_e32 vcc_lo, 0, v172
	s_and_b32 s23, s22, vcc_lo
	s_and_saveexec_b32 s22, s23
	s_cbranch_execz .LBB399_1073
; %bb.1072:                             ;   in Loop: Header=BB399_1032 Depth=2
	s_waitcnt lgkmcnt(0)
	v_bcnt_u32_b32 v40, v40, v142
	ds_write_b32 v173, v40 offset:544
.LBB399_1073:                           ;   in Loop: Header=BB399_1032 Depth=2
	s_or_b32 exec_lo, exec_lo, s22
	v_xor_b32_sdwa v40, v139, v93 dst_sel:BYTE_1 dst_unused:UNUSED_PAD src0_sel:DWORD src1_sel:DWORD
	v_xor_b32_e32 v140, 0x80, v140
	v_xor_b32_sdwa v141, v141, v93 dst_sel:BYTE_1 dst_unused:UNUSED_PAD src0_sel:DWORD src1_sel:DWORD
	; wave barrier
	v_or_b32_sdwa v139, v39, v40 dst_sel:DWORD dst_unused:UNUSED_PAD src0_sel:BYTE_0 src1_sel:DWORD
	v_or_b32_sdwa v39, v140, v141 dst_sel:WORD_1 dst_unused:UNUSED_PAD src0_sel:BYTE_0 src1_sel:DWORD
	v_or_b32_sdwa v140, v139, v39 dst_sel:DWORD dst_unused:UNUSED_PAD src0_sel:WORD_0 src1_sel:DWORD
	v_lshrrev_b32_sdwa v39, s41, v140 dst_sel:DWORD dst_unused:UNUSED_PAD src0_sel:DWORD src1_sel:BYTE_1
	v_and_b32_e32 v40, s62, v39
	v_and_b32_e32 v39, 1, v40
	v_lshlrev_b32_e32 v141, 30, v40
	v_lshlrev_b32_e32 v174, 29, v40
	;; [unrolled: 1-line block ×4, first 2 shown]
	v_add_co_u32 v39, s22, v39, -1
	v_cndmask_b32_e64 v175, 0, 1, s22
	v_not_b32_e32 v179, v141
	v_cmp_gt_i32_e64 s22, 0, v141
	v_not_b32_e32 v141, v174
	v_lshlrev_b32_e32 v178, 26, v40
	v_cmp_ne_u32_e32 vcc_lo, 0, v175
	v_ashrrev_i32_e32 v179, 31, v179
	v_lshlrev_b32_e32 v175, 25, v40
	v_ashrrev_i32_e32 v141, 31, v141
	v_xor_b32_e32 v39, vcc_lo, v39
	v_cmp_gt_i32_e32 vcc_lo, 0, v174
	v_not_b32_e32 v174, v176
	v_xor_b32_e32 v179, s22, v179
	v_cmp_gt_i32_e64 s22, 0, v176
	v_and_b32_e32 v39, exec_lo, v39
	v_not_b32_e32 v176, v177
	v_ashrrev_i32_e32 v174, 31, v174
	v_xor_b32_e32 v141, vcc_lo, v141
	v_cmp_gt_i32_e32 vcc_lo, 0, v177
	v_and_b32_e32 v39, v39, v179
	v_not_b32_e32 v177, v178
	v_ashrrev_i32_e32 v176, 31, v176
	v_xor_b32_e32 v174, s22, v174
	v_cmp_gt_i32_e64 s22, 0, v178
	v_and_b32_e32 v39, v39, v141
	v_not_b32_e32 v141, v175
	v_ashrrev_i32_e32 v177, 31, v177
	v_xor_b32_e32 v176, vcc_lo, v176
	v_cmp_gt_i32_e32 vcc_lo, 0, v175
	v_and_b32_e32 v39, v39, v174
	v_ashrrev_i32_e32 v141, 31, v141
	v_xor_b32_e32 v174, s22, v177
	v_mad_u32_u24 v175, v40, 36, v116
	v_mul_u32_u24_e32 v40, 36, v40
	v_and_b32_e32 v39, v39, v176
	v_xor_b32_e32 v176, vcc_lo, v141
	ds_read_b32 v141, v175 offset:544
	v_add_nc_u32_e32 v175, v116, v40
	v_and_b32_e32 v39, v39, v174
	; wave barrier
	v_and_b32_e32 v39, v39, v176
	v_mbcnt_lo_u32_b32 v174, v39, 0
	v_cmp_ne_u32_e64 s22, 0, v39
	v_cmp_eq_u32_e32 vcc_lo, 0, v174
	s_and_b32 s23, s22, vcc_lo
	s_and_saveexec_b32 s22, s23
	s_cbranch_execz .LBB399_1075
; %bb.1074:                             ;   in Loop: Header=BB399_1032 Depth=2
	s_waitcnt lgkmcnt(0)
	v_bcnt_u32_b32 v39, v39, v141
	ds_write_b32 v175, v39 offset:544
.LBB399_1075:                           ;   in Loop: Header=BB399_1032 Depth=2
	s_or_b32 exec_lo, exec_lo, s22
	v_lshrrev_b32_sdwa v39, s41, v140 dst_sel:DWORD dst_unused:UNUSED_PAD src0_sel:DWORD src1_sel:BYTE_2
	; wave barrier
	v_and_b32_e32 v40, s62, v39
	v_and_b32_e32 v39, 1, v40
	v_lshlrev_b32_e32 v176, 30, v40
	v_lshlrev_b32_e32 v177, 29, v40
	;; [unrolled: 1-line block ×4, first 2 shown]
	v_add_co_u32 v39, s22, v39, -1
	v_cndmask_b32_e64 v178, 0, 1, s22
	v_not_b32_e32 v182, v176
	v_cmp_gt_i32_e64 s22, 0, v176
	v_not_b32_e32 v176, v177
	v_lshlrev_b32_e32 v181, 26, v40
	v_cmp_ne_u32_e32 vcc_lo, 0, v178
	v_ashrrev_i32_e32 v182, 31, v182
	v_lshlrev_b32_e32 v178, 25, v40
	v_ashrrev_i32_e32 v176, 31, v176
	v_xor_b32_e32 v39, vcc_lo, v39
	v_cmp_gt_i32_e32 vcc_lo, 0, v177
	v_not_b32_e32 v177, v179
	v_xor_b32_e32 v182, s22, v182
	v_cmp_gt_i32_e64 s22, 0, v179
	v_and_b32_e32 v39, exec_lo, v39
	v_not_b32_e32 v179, v180
	v_ashrrev_i32_e32 v177, 31, v177
	v_xor_b32_e32 v176, vcc_lo, v176
	v_cmp_gt_i32_e32 vcc_lo, 0, v180
	v_and_b32_e32 v39, v39, v182
	v_not_b32_e32 v180, v181
	v_ashrrev_i32_e32 v179, 31, v179
	v_xor_b32_e32 v177, s22, v177
	v_cmp_gt_i32_e64 s22, 0, v181
	v_and_b32_e32 v39, v39, v176
	v_not_b32_e32 v176, v178
	v_ashrrev_i32_e32 v180, 31, v180
	v_xor_b32_e32 v179, vcc_lo, v179
	v_cmp_gt_i32_e32 vcc_lo, 0, v178
	v_and_b32_e32 v39, v39, v177
	v_ashrrev_i32_e32 v176, 31, v176
	v_xor_b32_e32 v177, s22, v180
	v_mad_u32_u24 v178, v40, 36, v116
	v_mul_u32_u24_e32 v40, 36, v40
	v_and_b32_e32 v39, v39, v179
	v_xor_b32_e32 v179, vcc_lo, v176
	ds_read_b32 v176, v178 offset:544
	v_and_b32_e32 v39, v39, v177
	; wave barrier
	v_and_b32_e32 v39, v39, v179
	v_add_nc_u32_e32 v179, v116, v40
	v_mbcnt_lo_u32_b32 v177, v39, 0
	v_cmp_ne_u32_e64 s22, 0, v39
	v_cmp_eq_u32_e32 vcc_lo, 0, v177
	s_and_b32 s23, s22, vcc_lo
	s_and_saveexec_b32 s22, s23
	s_cbranch_execz .LBB399_1077
; %bb.1076:                             ;   in Loop: Header=BB399_1032 Depth=2
	s_waitcnt lgkmcnt(0)
	v_bcnt_u32_b32 v39, v39, v176
	ds_write_b32 v179, v39 offset:544
.LBB399_1077:                           ;   in Loop: Header=BB399_1032 Depth=2
	s_or_b32 exec_lo, exec_lo, s22
	v_lshrrev_b32_e32 v178, 24, v140
	; wave barrier
	v_lshrrev_b32_e32 v39, s41, v178
	v_and_b32_e32 v40, s62, v39
	v_and_b32_e32 v39, 1, v40
	v_lshlrev_b32_e32 v180, 30, v40
	v_lshlrev_b32_e32 v181, 29, v40
	;; [unrolled: 1-line block ×4, first 2 shown]
	v_add_co_u32 v39, s22, v39, -1
	v_cndmask_b32_e64 v182, 0, 1, s22
	v_not_b32_e32 v186, v180
	v_cmp_gt_i32_e64 s22, 0, v180
	v_not_b32_e32 v180, v181
	v_lshlrev_b32_e32 v185, 26, v40
	v_cmp_ne_u32_e32 vcc_lo, 0, v182
	v_ashrrev_i32_e32 v186, 31, v186
	v_lshlrev_b32_e32 v182, 25, v40
	v_ashrrev_i32_e32 v180, 31, v180
	v_xor_b32_e32 v39, vcc_lo, v39
	v_cmp_gt_i32_e32 vcc_lo, 0, v181
	v_not_b32_e32 v181, v183
	v_xor_b32_e32 v186, s22, v186
	v_cmp_gt_i32_e64 s22, 0, v183
	v_and_b32_e32 v39, exec_lo, v39
	v_not_b32_e32 v183, v184
	v_ashrrev_i32_e32 v181, 31, v181
	v_xor_b32_e32 v180, vcc_lo, v180
	v_cmp_gt_i32_e32 vcc_lo, 0, v184
	v_and_b32_e32 v39, v39, v186
	v_not_b32_e32 v184, v185
	v_ashrrev_i32_e32 v183, 31, v183
	v_xor_b32_e32 v181, s22, v181
	v_cmp_gt_i32_e64 s22, 0, v185
	v_and_b32_e32 v39, v39, v180
	v_not_b32_e32 v180, v182
	v_ashrrev_i32_e32 v184, 31, v184
	v_xor_b32_e32 v183, vcc_lo, v183
	v_cmp_gt_i32_e32 vcc_lo, 0, v182
	v_and_b32_e32 v39, v39, v181
	v_ashrrev_i32_e32 v180, 31, v180
	v_xor_b32_e32 v181, s22, v184
	v_mad_u32_u24 v182, v40, 36, v116
	v_mul_u32_u24_e32 v40, 36, v40
	v_and_b32_e32 v39, v39, v183
	v_xor_b32_e32 v183, vcc_lo, v180
	ds_read_b32 v180, v182 offset:544
	v_add_nc_u32_e32 v182, v116, v40
	v_and_b32_e32 v39, v39, v181
	; wave barrier
	v_and_b32_e32 v39, v39, v183
	v_mbcnt_lo_u32_b32 v181, v39, 0
	v_cmp_ne_u32_e64 s22, 0, v39
	v_cmp_eq_u32_e32 vcc_lo, 0, v181
	s_and_b32 s23, s22, vcc_lo
	s_and_saveexec_b32 s22, s23
	s_cbranch_execz .LBB399_1079
; %bb.1078:                             ;   in Loop: Header=BB399_1032 Depth=2
	s_waitcnt lgkmcnt(0)
	v_bcnt_u32_b32 v39, v39, v180
	ds_write_b32 v182, v39 offset:544
.LBB399_1079:                           ;   in Loop: Header=BB399_1032 Depth=2
	s_or_b32 exec_lo, exec_lo, s22
	v_xor_b32_e32 v39, 0x80, v137
	; wave barrier
	v_and_b32_sdwa v40, v92, v39 dst_sel:DWORD dst_unused:UNUSED_PAD src0_sel:DWORD src1_sel:BYTE_0
	v_lshrrev_b32_e32 v40, s41, v40
	v_and_b32_e32 v184, s62, v40
	v_and_b32_e32 v40, 1, v184
	v_lshlrev_b32_e32 v137, 30, v184
	v_lshlrev_b32_e32 v183, 29, v184
	;; [unrolled: 1-line block ×4, first 2 shown]
	v_add_co_u32 v40, s22, v40, -1
	v_cndmask_b32_e64 v185, 0, 1, s22
	v_not_b32_e32 v189, v137
	v_cmp_gt_i32_e64 s22, 0, v137
	v_not_b32_e32 v137, v183
	v_lshlrev_b32_e32 v188, 26, v184
	v_cmp_ne_u32_e32 vcc_lo, 0, v185
	v_ashrrev_i32_e32 v189, 31, v189
	v_lshlrev_b32_e32 v185, 25, v184
	v_ashrrev_i32_e32 v137, 31, v137
	v_xor_b32_e32 v40, vcc_lo, v40
	v_cmp_gt_i32_e32 vcc_lo, 0, v183
	v_not_b32_e32 v183, v186
	v_xor_b32_e32 v189, s22, v189
	v_cmp_gt_i32_e64 s22, 0, v186
	v_and_b32_e32 v40, exec_lo, v40
	v_not_b32_e32 v186, v187
	v_ashrrev_i32_e32 v183, 31, v183
	v_xor_b32_e32 v137, vcc_lo, v137
	v_cmp_gt_i32_e32 vcc_lo, 0, v187
	v_and_b32_e32 v40, v40, v189
	v_not_b32_e32 v187, v188
	v_ashrrev_i32_e32 v186, 31, v186
	v_xor_b32_e32 v183, s22, v183
	v_cmp_gt_i32_e64 s22, 0, v188
	v_and_b32_e32 v40, v40, v137
	v_not_b32_e32 v137, v185
	v_ashrrev_i32_e32 v187, 31, v187
	v_xor_b32_e32 v186, vcc_lo, v186
	v_cmp_gt_i32_e32 vcc_lo, 0, v185
	v_and_b32_e32 v40, v40, v183
	v_ashrrev_i32_e32 v137, 31, v137
	v_xor_b32_e32 v183, s22, v187
	v_mad_u32_u24 v185, v184, 36, v116
	v_mul_u32_u24_e32 v184, 36, v184
	v_and_b32_e32 v40, v40, v186
	v_xor_b32_e32 v186, vcc_lo, v137
	ds_read_b32 v137, v185 offset:544
	v_add_nc_u32_e32 v185, v116, v184
	v_and_b32_e32 v40, v40, v183
	; wave barrier
	v_and_b32_e32 v40, v40, v186
	v_mbcnt_lo_u32_b32 v183, v40, 0
	v_cmp_ne_u32_e64 s22, 0, v40
	v_cmp_eq_u32_e32 vcc_lo, 0, v183
	s_and_b32 s23, s22, vcc_lo
	s_and_saveexec_b32 s22, s23
	s_cbranch_execz .LBB399_1081
; %bb.1080:                             ;   in Loop: Header=BB399_1032 Depth=2
	s_waitcnt lgkmcnt(0)
	v_bcnt_u32_b32 v40, v40, v137
	ds_write_b32 v185, v40 offset:544
.LBB399_1081:                           ;   in Loop: Header=BB399_1032 Depth=2
	s_or_b32 exec_lo, exec_lo, s22
	v_xor_b32_sdwa v3, v3, v93 dst_sel:BYTE_1 dst_unused:UNUSED_PAD src0_sel:DWORD src1_sel:DWORD
	v_xor_b32_e32 v40, 0x80, v41
	v_xor_b32_sdwa v41, v42, v93 dst_sel:BYTE_1 dst_unused:UNUSED_PAD src0_sel:DWORD src1_sel:DWORD
	; wave barrier
	v_or_b32_sdwa v184, v39, v3 dst_sel:DWORD dst_unused:UNUSED_PAD src0_sel:BYTE_0 src1_sel:DWORD
	v_or_b32_sdwa v3, v40, v41 dst_sel:WORD_1 dst_unused:UNUSED_PAD src0_sel:BYTE_0 src1_sel:DWORD
	v_or_b32_sdwa v3, v184, v3 dst_sel:DWORD dst_unused:UNUSED_PAD src0_sel:WORD_0 src1_sel:DWORD
	v_lshrrev_b32_sdwa v39, s41, v3 dst_sel:DWORD dst_unused:UNUSED_PAD src0_sel:DWORD src1_sel:BYTE_1
	v_and_b32_e32 v40, s62, v39
	v_and_b32_e32 v39, 1, v40
	v_lshlrev_b32_e32 v41, 30, v40
	v_lshlrev_b32_e32 v42, 29, v40
	;; [unrolled: 1-line block ×4, first 2 shown]
	v_add_co_u32 v39, s22, v39, -1
	v_cndmask_b32_e64 v186, 0, 1, s22
	v_not_b32_e32 v190, v41
	v_cmp_gt_i32_e64 s22, 0, v41
	v_not_b32_e32 v41, v42
	v_lshlrev_b32_e32 v189, 26, v40
	v_cmp_ne_u32_e32 vcc_lo, 0, v186
	v_ashrrev_i32_e32 v190, 31, v190
	v_lshlrev_b32_e32 v186, 25, v40
	v_ashrrev_i32_e32 v41, 31, v41
	v_xor_b32_e32 v39, vcc_lo, v39
	v_cmp_gt_i32_e32 vcc_lo, 0, v42
	v_not_b32_e32 v42, v187
	v_xor_b32_e32 v190, s22, v190
	v_cmp_gt_i32_e64 s22, 0, v187
	v_and_b32_e32 v39, exec_lo, v39
	v_not_b32_e32 v187, v188
	v_ashrrev_i32_e32 v42, 31, v42
	v_xor_b32_e32 v41, vcc_lo, v41
	v_cmp_gt_i32_e32 vcc_lo, 0, v188
	v_and_b32_e32 v39, v39, v190
	v_not_b32_e32 v188, v189
	v_ashrrev_i32_e32 v187, 31, v187
	v_xor_b32_e32 v42, s22, v42
	v_cmp_gt_i32_e64 s22, 0, v189
	v_and_b32_e32 v39, v39, v41
	v_not_b32_e32 v41, v186
	v_ashrrev_i32_e32 v188, 31, v188
	v_xor_b32_e32 v187, vcc_lo, v187
	v_cmp_gt_i32_e32 vcc_lo, 0, v186
	v_and_b32_e32 v39, v39, v42
	v_ashrrev_i32_e32 v41, 31, v41
	v_xor_b32_e32 v42, s22, v188
	v_mad_u32_u24 v186, v40, 36, v116
	v_mul_u32_u24_e32 v40, 36, v40
	v_and_b32_e32 v39, v39, v187
	v_xor_b32_e32 v41, vcc_lo, v41
	ds_read_b32 v186, v186 offset:544
	v_add_nc_u32_e32 v188, v116, v40
	v_and_b32_e32 v39, v39, v42
	; wave barrier
	v_and_b32_e32 v39, v39, v41
	v_mbcnt_lo_u32_b32 v187, v39, 0
	v_cmp_ne_u32_e64 s22, 0, v39
	v_cmp_eq_u32_e32 vcc_lo, 0, v187
	s_and_b32 s23, s22, vcc_lo
	s_and_saveexec_b32 s22, s23
	s_cbranch_execz .LBB399_1083
; %bb.1082:                             ;   in Loop: Header=BB399_1032 Depth=2
	s_waitcnt lgkmcnt(0)
	v_bcnt_u32_b32 v39, v39, v186
	ds_write_b32 v188, v39 offset:544
.LBB399_1083:                           ;   in Loop: Header=BB399_1032 Depth=2
	s_or_b32 exec_lo, exec_lo, s22
	v_lshrrev_b32_sdwa v39, s41, v3 dst_sel:DWORD dst_unused:UNUSED_PAD src0_sel:DWORD src1_sel:BYTE_2
	; wave barrier
	v_and_b32_e32 v40, s62, v39
	v_and_b32_e32 v39, 1, v40
	v_lshlrev_b32_e32 v41, 30, v40
	v_lshlrev_b32_e32 v42, 29, v40
	;; [unrolled: 1-line block ×4, first 2 shown]
	v_add_co_u32 v39, s22, v39, -1
	v_cndmask_b32_e64 v189, 0, 1, s22
	v_not_b32_e32 v193, v41
	v_cmp_gt_i32_e64 s22, 0, v41
	v_not_b32_e32 v41, v42
	v_lshlrev_b32_e32 v192, 26, v40
	v_cmp_ne_u32_e32 vcc_lo, 0, v189
	v_ashrrev_i32_e32 v193, 31, v193
	v_lshlrev_b32_e32 v189, 25, v40
	v_ashrrev_i32_e32 v41, 31, v41
	v_xor_b32_e32 v39, vcc_lo, v39
	v_cmp_gt_i32_e32 vcc_lo, 0, v42
	v_not_b32_e32 v42, v190
	v_xor_b32_e32 v193, s22, v193
	v_cmp_gt_i32_e64 s22, 0, v190
	v_and_b32_e32 v39, exec_lo, v39
	v_not_b32_e32 v190, v191
	v_ashrrev_i32_e32 v42, 31, v42
	v_xor_b32_e32 v41, vcc_lo, v41
	v_cmp_gt_i32_e32 vcc_lo, 0, v191
	v_and_b32_e32 v39, v39, v193
	v_not_b32_e32 v191, v192
	v_ashrrev_i32_e32 v190, 31, v190
	v_xor_b32_e32 v42, s22, v42
	v_cmp_gt_i32_e64 s22, 0, v192
	v_and_b32_e32 v39, v39, v41
	v_not_b32_e32 v41, v189
	v_ashrrev_i32_e32 v191, 31, v191
	v_xor_b32_e32 v190, vcc_lo, v190
	v_cmp_gt_i32_e32 vcc_lo, 0, v189
	v_and_b32_e32 v39, v39, v42
	v_ashrrev_i32_e32 v41, 31, v41
	v_xor_b32_e32 v42, s22, v191
	v_mad_u32_u24 v189, v40, 36, v116
	v_mul_u32_u24_e32 v40, 36, v40
	v_and_b32_e32 v39, v39, v190
	v_xor_b32_e32 v41, vcc_lo, v41
	ds_read_b32 v189, v189 offset:544
	v_add_nc_u32_e32 v192, v116, v40
	v_and_b32_e32 v39, v39, v42
	; wave barrier
	v_and_b32_e32 v39, v39, v41
	v_mbcnt_lo_u32_b32 v190, v39, 0
	v_cmp_ne_u32_e64 s22, 0, v39
	v_cmp_eq_u32_e32 vcc_lo, 0, v190
	s_and_b32 s23, s22, vcc_lo
	s_and_saveexec_b32 s22, s23
	s_cbranch_execz .LBB399_1085
; %bb.1084:                             ;   in Loop: Header=BB399_1032 Depth=2
	s_waitcnt lgkmcnt(0)
	v_bcnt_u32_b32 v39, v39, v189
	ds_write_b32 v192, v39 offset:544
.LBB399_1085:                           ;   in Loop: Header=BB399_1032 Depth=2
	s_or_b32 exec_lo, exec_lo, s22
	v_lshrrev_b32_e32 v191, 24, v3
	; wave barrier
	v_lshrrev_b32_e32 v39, s41, v191
	v_and_b32_e32 v40, s62, v39
	v_and_b32_e32 v39, 1, v40
	v_lshlrev_b32_e32 v41, 30, v40
	v_lshlrev_b32_e32 v42, 29, v40
	v_lshlrev_b32_e32 v194, 28, v40
	v_lshlrev_b32_e32 v195, 27, v40
	v_add_co_u32 v39, s22, v39, -1
	v_cndmask_b32_e64 v193, 0, 1, s22
	v_not_b32_e32 v197, v41
	v_cmp_gt_i32_e64 s22, 0, v41
	v_not_b32_e32 v41, v42
	v_lshlrev_b32_e32 v196, 26, v40
	v_cmp_ne_u32_e32 vcc_lo, 0, v193
	v_ashrrev_i32_e32 v197, 31, v197
	v_lshlrev_b32_e32 v193, 25, v40
	v_ashrrev_i32_e32 v41, 31, v41
	v_xor_b32_e32 v39, vcc_lo, v39
	v_cmp_gt_i32_e32 vcc_lo, 0, v42
	v_not_b32_e32 v42, v194
	v_xor_b32_e32 v197, s22, v197
	v_cmp_gt_i32_e64 s22, 0, v194
	v_and_b32_e32 v39, exec_lo, v39
	v_not_b32_e32 v194, v195
	v_ashrrev_i32_e32 v42, 31, v42
	v_xor_b32_e32 v41, vcc_lo, v41
	v_cmp_gt_i32_e32 vcc_lo, 0, v195
	v_and_b32_e32 v39, v39, v197
	v_not_b32_e32 v195, v196
	v_ashrrev_i32_e32 v194, 31, v194
	v_xor_b32_e32 v42, s22, v42
	v_cmp_gt_i32_e64 s22, 0, v196
	v_and_b32_e32 v39, v39, v41
	v_not_b32_e32 v41, v193
	v_ashrrev_i32_e32 v195, 31, v195
	v_xor_b32_e32 v194, vcc_lo, v194
	v_cmp_gt_i32_e32 vcc_lo, 0, v193
	v_and_b32_e32 v39, v39, v42
	v_ashrrev_i32_e32 v41, 31, v41
	v_xor_b32_e32 v42, s22, v195
	v_mad_u32_u24 v193, v40, 36, v116
	v_mul_u32_u24_e32 v40, 36, v40
	v_and_b32_e32 v39, v39, v194
	v_xor_b32_e32 v41, vcc_lo, v41
	ds_read_b32 v193, v193 offset:544
	v_add_nc_u32_e32 v195, v116, v40
	v_and_b32_e32 v39, v39, v42
	; wave barrier
	v_and_b32_e32 v39, v39, v41
	v_mbcnt_lo_u32_b32 v194, v39, 0
	v_cmp_ne_u32_e64 s22, 0, v39
	v_cmp_eq_u32_e32 vcc_lo, 0, v194
	s_and_b32 s23, s22, vcc_lo
	s_and_saveexec_b32 s22, s23
	s_cbranch_execz .LBB399_1087
; %bb.1086:                             ;   in Loop: Header=BB399_1032 Depth=2
	s_waitcnt lgkmcnt(0)
	v_bcnt_u32_b32 v39, v39, v193
	ds_write_b32 v195, v39 offset:544
.LBB399_1087:                           ;   in Loop: Header=BB399_1032 Depth=2
	s_or_b32 exec_lo, exec_lo, s22
	v_xor_b32_e32 v117, 0xffffff80, v117
	; wave barrier
	v_lshrrev_b32_sdwa v39, s41, v117 dst_sel:DWORD dst_unused:UNUSED_PAD src0_sel:DWORD src1_sel:BYTE_0
	v_and_b32_e32 v40, s62, v39
	v_and_b32_e32 v39, 1, v40
	v_lshlrev_b32_e32 v41, 30, v40
	v_lshlrev_b32_e32 v42, 29, v40
	;; [unrolled: 1-line block ×4, first 2 shown]
	v_add_co_u32 v39, s22, v39, -1
	v_cndmask_b32_e64 v196, 0, 1, s22
	v_not_b32_e32 v200, v41
	v_cmp_gt_i32_e64 s22, 0, v41
	v_not_b32_e32 v41, v42
	v_lshlrev_b32_e32 v199, 26, v40
	v_cmp_ne_u32_e32 vcc_lo, 0, v196
	v_ashrrev_i32_e32 v200, 31, v200
	v_lshlrev_b32_e32 v196, 25, v40
	v_ashrrev_i32_e32 v41, 31, v41
	v_xor_b32_e32 v39, vcc_lo, v39
	v_cmp_gt_i32_e32 vcc_lo, 0, v42
	v_not_b32_e32 v42, v197
	v_xor_b32_e32 v200, s22, v200
	v_cmp_gt_i32_e64 s22, 0, v197
	v_and_b32_e32 v39, exec_lo, v39
	v_not_b32_e32 v197, v198
	v_ashrrev_i32_e32 v42, 31, v42
	v_xor_b32_e32 v41, vcc_lo, v41
	v_cmp_gt_i32_e32 vcc_lo, 0, v198
	v_and_b32_e32 v39, v39, v200
	v_not_b32_e32 v198, v199
	v_ashrrev_i32_e32 v197, 31, v197
	v_xor_b32_e32 v42, s22, v42
	v_cmp_gt_i32_e64 s22, 0, v199
	v_and_b32_e32 v39, v39, v41
	v_not_b32_e32 v41, v196
	v_ashrrev_i32_e32 v198, 31, v198
	v_xor_b32_e32 v197, vcc_lo, v197
	v_cmp_gt_i32_e32 vcc_lo, 0, v196
	v_and_b32_e32 v39, v39, v42
	v_ashrrev_i32_e32 v41, 31, v41
	v_xor_b32_e32 v42, s22, v198
	v_mad_u32_u24 v196, v40, 36, v116
	v_mul_u32_u24_e32 v40, 36, v40
	v_and_b32_e32 v39, v39, v197
	v_xor_b32_e32 v41, vcc_lo, v41
	ds_read_b32 v196, v196 offset:544
	v_add_nc_u32_e32 v198, v116, v40
	v_and_b32_e32 v39, v39, v42
	; wave barrier
	v_and_b32_e32 v39, v39, v41
	v_mbcnt_lo_u32_b32 v197, v39, 0
	v_cmp_ne_u32_e64 s22, 0, v39
	v_cmp_eq_u32_e32 vcc_lo, 0, v197
	s_and_b32 s23, s22, vcc_lo
	s_and_saveexec_b32 s22, s23
	s_cbranch_execz .LBB399_1089
; %bb.1088:                             ;   in Loop: Header=BB399_1032 Depth=2
	s_waitcnt lgkmcnt(0)
	v_bcnt_u32_b32 v39, v39, v196
	ds_write_b32 v198, v39 offset:544
.LBB399_1089:                           ;   in Loop: Header=BB399_1032 Depth=2
	s_or_b32 exec_lo, exec_lo, s22
	; wave barrier
	s_waitcnt lgkmcnt(0)
	s_barrier
	buffer_gl0_inv
	ds_read2_b32 v[41:42], v69 offset0:136 offset1:137
	ds_read2_b32 v[39:40], v69 offset0:138 offset1:139
	ds_read_b32 v199, v69 offset:560
	s_waitcnt lgkmcnt(1)
	v_add3_u32 v200, v42, v41, v39
	s_waitcnt lgkmcnt(0)
	v_add3_u32 v199, v200, v40, v199
	v_mov_b32_dpp v200, v199 row_shr:1 row_mask:0xf bank_mask:0xf
	v_cndmask_b32_e64 v200, v200, 0, s5
	v_add_nc_u32_e32 v199, v200, v199
	v_mov_b32_dpp v200, v199 row_shr:2 row_mask:0xf bank_mask:0xf
	v_cndmask_b32_e64 v200, 0, v200, s14
	v_add_nc_u32_e32 v199, v199, v200
	;; [unrolled: 3-line block ×4, first 2 shown]
	ds_swizzle_b32 v200, v199 offset:swizzle(BROADCAST,32,15)
	s_waitcnt lgkmcnt(0)
	v_cndmask_b32_e64 v200, v200, 0, s17
	v_add_nc_u32_e32 v199, v199, v200
	s_and_saveexec_b32 s22, s4
; %bb.1090:                             ;   in Loop: Header=BB399_1032 Depth=2
	ds_write_b32 v62, v199 offset:512
; %bb.1091:                             ;   in Loop: Header=BB399_1032 Depth=2
	s_or_b32 exec_lo, exec_lo, s22
	s_waitcnt lgkmcnt(0)
	s_barrier
	buffer_gl0_inv
	s_and_saveexec_b32 s22, s11
	s_cbranch_execz .LBB399_1093
; %bb.1092:                             ;   in Loop: Header=BB399_1032 Depth=2
	ds_read_b32 v200, v70 offset:512
	s_waitcnt lgkmcnt(0)
	v_mov_b32_dpp v201, v200 row_shr:1 row_mask:0xf bank_mask:0xf
	v_cndmask_b32_e64 v201, v201, 0, s19
	v_add_nc_u32_e32 v200, v201, v200
	v_mov_b32_dpp v201, v200 row_shr:2 row_mask:0xf bank_mask:0xf
	v_cndmask_b32_e64 v201, 0, v201, s20
	v_add_nc_u32_e32 v200, v200, v201
	;; [unrolled: 3-line block ×3, first 2 shown]
	ds_write_b32 v70, v200 offset:512
.LBB399_1093:                           ;   in Loop: Header=BB399_1032 Depth=2
	s_or_b32 exec_lo, exec_lo, s22
	v_mov_b32_e32 v200, 0
	s_waitcnt lgkmcnt(0)
	s_barrier
	buffer_gl0_inv
	s_and_saveexec_b32 s22, s10
; %bb.1094:                             ;   in Loop: Header=BB399_1032 Depth=2
	ds_read_b32 v200, v62 offset:508
; %bb.1095:                             ;   in Loop: Header=BB399_1032 Depth=2
	s_or_b32 exec_lo, exec_lo, s22
	s_waitcnt lgkmcnt(0)
	v_add_nc_u32_e32 v199, v200, v199
	ds_bpermute_b32 v199, v94, v199
	s_waitcnt lgkmcnt(0)
	v_cndmask_b32_e64 v199, v199, v200, s18
	v_cndmask_b32_e64 v199, v199, 0, s12
	v_add_nc_u32_e32 v41, v199, v41
	v_add_nc_u32_e32 v42, v41, v42
	;; [unrolled: 1-line block ×4, first 2 shown]
	ds_write2_b32 v69, v199, v41 offset0:136 offset1:137
	ds_write2_b32 v69, v42, v39 offset0:138 offset1:139
	ds_write_b32 v69, v40 offset:560
	s_waitcnt lgkmcnt(0)
	s_barrier
	buffer_gl0_inv
	ds_read_b32 v39, v149 offset:544
	ds_read_b32 v40, v153 offset:544
	;; [unrolled: 1-line block ×17, first 2 shown]
	s_and_saveexec_b32 s22, s7
	s_cbranch_execz .LBB399_1099
; %bb.1096:                             ;   in Loop: Header=BB399_1032 Depth=2
	v_add_nc_u32_e32 v135, v70, v72
	v_mov_b32_e32 v136, 0x1100
	ds_read_b32 v135, v135 offset:544
	s_and_saveexec_b32 s23, s13
; %bb.1097:                             ;   in Loop: Header=BB399_1032 Depth=2
	ds_read_b32 v136, v71 offset:544
; %bb.1098:                             ;   in Loop: Header=BB399_1032 Depth=2
	s_or_b32 exec_lo, exec_lo, s23
	s_waitcnt lgkmcnt(0)
	v_sub_nc_u32_e32 v136, v136, v135
.LBB399_1099:                           ;   in Loop: Header=BB399_1032 Depth=2
	s_or_b32 exec_lo, exec_lo, s22
	v_lshrrev_b32_e32 v203, 8, v148
	v_lshrrev_b32_e32 v204, 16, v148
	;; [unrolled: 1-line block ×8, first 2 shown]
	s_waitcnt lgkmcnt(0)
	s_barrier
	buffer_gl0_inv
	s_and_saveexec_b32 s22, s7
	s_cbranch_execz .LBB399_1101
; %bb.1100:                             ;   in Loop: Header=BB399_1032 Depth=2
	ds_read_b32 v3, v43
	s_waitcnt lgkmcnt(0)
	v_sub_nc_u32_e32 v3, v3, v135
	ds_write_b32 v43, v3
.LBB399_1101:                           ;   in Loop: Header=BB399_1032 Depth=2
	s_or_b32 exec_lo, exec_lo, s22
	v_add_nc_u32_e32 v157, v39, v146
	v_add3_u32 v153, v152, v151, v40
	v_add3_u32 v152, v155, v154, v41
	;; [unrolled: 1-line block ×16, first 2 shown]
	v_cmp_lt_u32_e64 s38, v0, v138
	ds_write_b8 v157, v147 offset:512
	ds_write_b8 v153, v203 offset:512
	ds_write_b8 v152, v204 offset:512
	ds_write_b8 v151, v156 offset:512
	ds_write_b8 v150, v143 offset:512
	ds_write_b8 v149, v201 offset:512
	ds_write_b8 v148, v202 offset:512
	ds_write_b8 v146, v167 offset:512
	ds_write_b8 v145, v139 offset:512
	ds_write_b8 v144, v199 offset:512
	ds_write_b8 v142, v200 offset:512
	ds_write_b8 v141, v178 offset:512
	ds_write_b8 v140, v184 offset:512
	ds_write_b8 v137, v195 offset:512
	ds_write_b8 v42, v198 offset:512
	ds_write_b8 v41, v191 offset:512
	ds_write_b8 v3, v117 offset:512
	s_waitcnt lgkmcnt(0)
	s_barrier
	buffer_gl0_inv
	s_and_saveexec_b32 s22, s38
	s_cbranch_execnz .LBB399_1174
; %bb.1102:                             ;   in Loop: Header=BB399_1032 Depth=2
	s_or_b32 exec_lo, exec_lo, s22
	v_cmp_lt_u32_e64 s39, v44, v138
	s_and_saveexec_b32 s22, s39
	s_cbranch_execnz .LBB399_1175
.LBB399_1103:                           ;   in Loop: Header=BB399_1032 Depth=2
	s_or_b32 exec_lo, exec_lo, s22
	v_cmp_lt_u32_e64 s37, v47, v138
	s_and_saveexec_b32 s22, s37
	s_cbranch_execnz .LBB399_1176
.LBB399_1104:                           ;   in Loop: Header=BB399_1032 Depth=2
	s_or_b32 exec_lo, exec_lo, s22
	v_cmp_lt_u32_e64 s36, v48, v138
	s_and_saveexec_b32 s22, s36
	s_cbranch_execnz .LBB399_1177
.LBB399_1105:                           ;   in Loop: Header=BB399_1032 Depth=2
	s_or_b32 exec_lo, exec_lo, s22
	v_cmp_lt_u32_e64 s35, v49, v138
	s_and_saveexec_b32 s22, s35
	s_cbranch_execnz .LBB399_1178
.LBB399_1106:                           ;   in Loop: Header=BB399_1032 Depth=2
	s_or_b32 exec_lo, exec_lo, s22
	v_cmp_lt_u32_e64 s34, v50, v138
	s_and_saveexec_b32 s22, s34
	s_cbranch_execnz .LBB399_1179
.LBB399_1107:                           ;   in Loop: Header=BB399_1032 Depth=2
	s_or_b32 exec_lo, exec_lo, s22
	v_cmp_lt_u32_e64 s33, v51, v138
	s_and_saveexec_b32 s22, s33
	s_cbranch_execnz .LBB399_1180
.LBB399_1108:                           ;   in Loop: Header=BB399_1032 Depth=2
	s_or_b32 exec_lo, exec_lo, s22
	v_cmp_lt_u32_e64 s31, v52, v138
	s_and_saveexec_b32 s22, s31
	s_cbranch_execnz .LBB399_1181
.LBB399_1109:                           ;   in Loop: Header=BB399_1032 Depth=2
	s_or_b32 exec_lo, exec_lo, s22
	v_cmp_lt_u32_e64 s30, v53, v138
	s_and_saveexec_b32 s22, s30
	s_cbranch_execnz .LBB399_1182
.LBB399_1110:                           ;   in Loop: Header=BB399_1032 Depth=2
	s_or_b32 exec_lo, exec_lo, s22
	v_cmp_lt_u32_e64 s29, v54, v138
	s_and_saveexec_b32 s22, s29
	s_cbranch_execnz .LBB399_1183
.LBB399_1111:                           ;   in Loop: Header=BB399_1032 Depth=2
	s_or_b32 exec_lo, exec_lo, s22
	v_cmp_lt_u32_e64 s27, v55, v138
	s_and_saveexec_b32 s22, s27
	s_cbranch_execnz .LBB399_1184
.LBB399_1112:                           ;   in Loop: Header=BB399_1032 Depth=2
	s_or_b32 exec_lo, exec_lo, s22
	v_cmp_lt_u32_e64 s26, v56, v138
	s_and_saveexec_b32 s22, s26
	s_cbranch_execnz .LBB399_1185
.LBB399_1113:                           ;   in Loop: Header=BB399_1032 Depth=2
	s_or_b32 exec_lo, exec_lo, s22
	v_cmp_lt_u32_e64 s25, v57, v138
	s_and_saveexec_b32 s22, s25
	s_cbranch_execnz .LBB399_1186
.LBB399_1114:                           ;   in Loop: Header=BB399_1032 Depth=2
	s_or_b32 exec_lo, exec_lo, s22
	v_cmp_lt_u32_e64 s24, v58, v138
	s_and_saveexec_b32 s22, s24
	s_cbranch_execnz .LBB399_1187
.LBB399_1115:                           ;   in Loop: Header=BB399_1032 Depth=2
	s_or_b32 exec_lo, exec_lo, s22
	v_cmp_lt_u32_e64 s23, v59, v138
	s_and_saveexec_b32 s22, s23
	s_cbranch_execnz .LBB399_1188
.LBB399_1116:                           ;   in Loop: Header=BB399_1032 Depth=2
	s_or_b32 exec_lo, exec_lo, s22
	v_cmp_lt_u32_e64 s22, v60, v138
	s_and_saveexec_b32 s40, s22
	s_cbranch_execnz .LBB399_1189
.LBB399_1117:                           ;   in Loop: Header=BB399_1032 Depth=2
	s_or_b32 exec_lo, exec_lo, s40
	v_cmp_lt_u32_e32 vcc_lo, v61, v138
	s_and_saveexec_b32 s40, vcc_lo
	s_cbranch_execz .LBB399_1119
.LBB399_1118:                           ;   in Loop: Header=BB399_1032 Depth=2
	ds_read_u8 v39, v0 offset:4608
	s_waitcnt lgkmcnt(0)
	v_lshrrev_b32_sdwa v40, s41, v39 dst_sel:DWORD dst_unused:UNUSED_PAD src0_sel:DWORD src1_sel:BYTE_0
	v_xor_b32_e32 v39, 0x80, v39
	v_and_b32_e32 v40, s62, v40
	v_lshlrev_b32_e32 v40, 2, v40
	ds_read_b32 v40, v40
	s_waitcnt lgkmcnt(0)
	v_add_nc_u32_e32 v40, v40, v61
	global_store_byte v40, v39, s[48:49]
.LBB399_1119:                           ;   in Loop: Header=BB399_1032 Depth=2
	s_or_b32 exec_lo, exec_lo, s40
	s_lshl_b64 s[66:67], s[50:51], 3
	v_add_co_u32 v39, s40, v98, s66
	v_add_co_ci_u32_e64 v40, null, s67, v99, s40
	v_cmp_lt_u32_e64 s40, v95, v138
	s_and_saveexec_b32 s50, s40
	s_xor_b32 s40, exec_lo, s50
	s_cbranch_execnz .LBB399_1190
; %bb.1120:                             ;   in Loop: Header=BB399_1032 Depth=2
	s_or_b32 exec_lo, exec_lo, s40
	s_mov_b32 s50, exec_lo
	v_cmpx_lt_u32_e64 v100, v138
	s_cbranch_execnz .LBB399_1191
.LBB399_1121:                           ;   in Loop: Header=BB399_1032 Depth=2
	s_or_b32 exec_lo, exec_lo, s50
	s_mov_b32 s50, exec_lo
	v_cmpx_lt_u32_e64 v101, v138
	s_cbranch_execnz .LBB399_1192
.LBB399_1122:                           ;   in Loop: Header=BB399_1032 Depth=2
	s_or_b32 exec_lo, exec_lo, s50
	s_mov_b32 s50, exec_lo
	v_cmpx_lt_u32_e64 v102, v138
	s_cbranch_execnz .LBB399_1193
.LBB399_1123:                           ;   in Loop: Header=BB399_1032 Depth=2
	s_or_b32 exec_lo, exec_lo, s50
	s_mov_b32 s50, exec_lo
	v_cmpx_lt_u32_e64 v103, v138
	s_cbranch_execnz .LBB399_1194
.LBB399_1124:                           ;   in Loop: Header=BB399_1032 Depth=2
	s_or_b32 exec_lo, exec_lo, s50
	s_mov_b32 s50, exec_lo
	v_cmpx_lt_u32_e64 v104, v138
	s_cbranch_execnz .LBB399_1195
.LBB399_1125:                           ;   in Loop: Header=BB399_1032 Depth=2
	s_or_b32 exec_lo, exec_lo, s50
	s_mov_b32 s50, exec_lo
	v_cmpx_lt_u32_e64 v105, v138
	s_cbranch_execnz .LBB399_1196
.LBB399_1126:                           ;   in Loop: Header=BB399_1032 Depth=2
	s_or_b32 exec_lo, exec_lo, s50
	s_mov_b32 s50, exec_lo
	v_cmpx_lt_u32_e64 v106, v138
	s_cbranch_execnz .LBB399_1197
.LBB399_1127:                           ;   in Loop: Header=BB399_1032 Depth=2
	s_or_b32 exec_lo, exec_lo, s50
	s_mov_b32 s50, exec_lo
	v_cmpx_lt_u32_e64 v107, v138
	s_cbranch_execnz .LBB399_1198
.LBB399_1128:                           ;   in Loop: Header=BB399_1032 Depth=2
	s_or_b32 exec_lo, exec_lo, s50
	s_mov_b32 s50, exec_lo
	v_cmpx_lt_u32_e64 v108, v138
	s_cbranch_execnz .LBB399_1199
.LBB399_1129:                           ;   in Loop: Header=BB399_1032 Depth=2
	s_or_b32 exec_lo, exec_lo, s50
	s_mov_b32 s50, exec_lo
	v_cmpx_lt_u32_e64 v109, v138
	s_cbranch_execnz .LBB399_1200
.LBB399_1130:                           ;   in Loop: Header=BB399_1032 Depth=2
	s_or_b32 exec_lo, exec_lo, s50
	s_mov_b32 s50, exec_lo
	v_cmpx_lt_u32_e64 v110, v138
	s_cbranch_execnz .LBB399_1201
.LBB399_1131:                           ;   in Loop: Header=BB399_1032 Depth=2
	s_or_b32 exec_lo, exec_lo, s50
	s_mov_b32 s50, exec_lo
	v_cmpx_lt_u32_e64 v111, v138
	s_cbranch_execnz .LBB399_1202
.LBB399_1132:                           ;   in Loop: Header=BB399_1032 Depth=2
	s_or_b32 exec_lo, exec_lo, s50
	s_mov_b32 s50, exec_lo
	v_cmpx_lt_u32_e64 v112, v138
	s_cbranch_execnz .LBB399_1203
.LBB399_1133:                           ;   in Loop: Header=BB399_1032 Depth=2
	s_or_b32 exec_lo, exec_lo, s50
	s_mov_b32 s50, exec_lo
	v_cmpx_lt_u32_e64 v113, v138
	s_cbranch_execnz .LBB399_1204
.LBB399_1134:                           ;   in Loop: Header=BB399_1032 Depth=2
	s_or_b32 exec_lo, exec_lo, s50
	s_mov_b32 s50, exec_lo
	v_cmpx_lt_u32_e64 v114, v138
	s_cbranch_execnz .LBB399_1205
.LBB399_1135:                           ;   in Loop: Header=BB399_1032 Depth=2
	s_or_b32 exec_lo, exec_lo, s50
	s_mov_b32 s50, exec_lo
	v_cmpx_lt_u32_e64 v115, v138
	s_cbranch_execnz .LBB399_1206
.LBB399_1136:                           ;   in Loop: Header=BB399_1032 Depth=2
	s_or_b32 exec_lo, exec_lo, s50
	s_and_saveexec_b32 s40, s38
	s_cbranch_execnz .LBB399_1207
.LBB399_1137:                           ;   in Loop: Header=BB399_1032 Depth=2
	s_or_b32 exec_lo, exec_lo, s40
	s_and_saveexec_b32 s40, s39
	s_cbranch_execnz .LBB399_1208
.LBB399_1138:                           ;   in Loop: Header=BB399_1032 Depth=2
	s_or_b32 exec_lo, exec_lo, s40
	s_and_saveexec_b32 s40, s37
	s_cbranch_execnz .LBB399_1209
.LBB399_1139:                           ;   in Loop: Header=BB399_1032 Depth=2
	s_or_b32 exec_lo, exec_lo, s40
	s_and_saveexec_b32 s40, s36
	s_cbranch_execnz .LBB399_1210
.LBB399_1140:                           ;   in Loop: Header=BB399_1032 Depth=2
	s_or_b32 exec_lo, exec_lo, s40
	s_and_saveexec_b32 s40, s35
	s_cbranch_execnz .LBB399_1211
.LBB399_1141:                           ;   in Loop: Header=BB399_1032 Depth=2
	s_or_b32 exec_lo, exec_lo, s40
	s_and_saveexec_b32 s40, s34
	s_cbranch_execnz .LBB399_1212
.LBB399_1142:                           ;   in Loop: Header=BB399_1032 Depth=2
	s_or_b32 exec_lo, exec_lo, s40
	s_and_saveexec_b32 s40, s33
	s_cbranch_execnz .LBB399_1213
.LBB399_1143:                           ;   in Loop: Header=BB399_1032 Depth=2
	s_or_b32 exec_lo, exec_lo, s40
	s_and_saveexec_b32 s40, s31
	s_cbranch_execnz .LBB399_1214
.LBB399_1144:                           ;   in Loop: Header=BB399_1032 Depth=2
	s_or_b32 exec_lo, exec_lo, s40
	s_and_saveexec_b32 s40, s30
	s_cbranch_execnz .LBB399_1215
.LBB399_1145:                           ;   in Loop: Header=BB399_1032 Depth=2
	s_or_b32 exec_lo, exec_lo, s40
	s_and_saveexec_b32 s40, s29
	s_cbranch_execnz .LBB399_1216
.LBB399_1146:                           ;   in Loop: Header=BB399_1032 Depth=2
	s_or_b32 exec_lo, exec_lo, s40
	s_and_saveexec_b32 s40, s27
	s_cbranch_execnz .LBB399_1217
.LBB399_1147:                           ;   in Loop: Header=BB399_1032 Depth=2
	s_or_b32 exec_lo, exec_lo, s40
	s_and_saveexec_b32 s40, s26
	s_cbranch_execnz .LBB399_1218
.LBB399_1148:                           ;   in Loop: Header=BB399_1032 Depth=2
	s_or_b32 exec_lo, exec_lo, s40
	s_and_saveexec_b32 s40, s25
	s_cbranch_execnz .LBB399_1219
.LBB399_1149:                           ;   in Loop: Header=BB399_1032 Depth=2
	s_or_b32 exec_lo, exec_lo, s40
	s_and_saveexec_b32 s40, s24
	s_cbranch_execnz .LBB399_1220
.LBB399_1150:                           ;   in Loop: Header=BB399_1032 Depth=2
	s_or_b32 exec_lo, exec_lo, s40
	s_and_saveexec_b32 s40, s23
	s_cbranch_execnz .LBB399_1221
.LBB399_1151:                           ;   in Loop: Header=BB399_1032 Depth=2
	s_or_b32 exec_lo, exec_lo, s40
	s_and_saveexec_b32 s40, s22
	s_cbranch_execnz .LBB399_1222
.LBB399_1152:                           ;   in Loop: Header=BB399_1032 Depth=2
	s_or_b32 exec_lo, exec_lo, s40
	s_and_saveexec_b32 s40, vcc_lo
	s_cbranch_execz .LBB399_1154
.LBB399_1153:                           ;   in Loop: Header=BB399_1032 Depth=2
	ds_read_u8 v39, v0 offset:4608
	s_waitcnt lgkmcnt(0)
	v_lshrrev_b32_e32 v39, s41, v39
	v_and_b32_e32 v118, s62, v39
.LBB399_1154:                           ;   in Loop: Header=BB399_1032 Depth=2
	s_or_b32 exec_lo, exec_lo, s40
	v_lshlrev_b32_e32 v39, 3, v157
	s_waitcnt vmcnt(0)
	s_waitcnt_vscnt null, 0x0
	v_lshlrev_b32_e32 v40, 3, v153
	s_barrier
	buffer_gl0_inv
	ds_write_b64 v39, v[37:38] offset:512
	v_lshlrev_b32_e32 v39, 3, v152
	ds_write_b64 v40, v[35:36] offset:512
	v_lshlrev_b32_e32 v40, 3, v151
	v_lshlrev_b32_e32 v138, 3, v150
	;; [unrolled: 1-line block ×3, first 2 shown]
	ds_write_b64 v39, v[33:34] offset:512
	v_lshlrev_b32_e32 v39, 3, v148
	ds_write_b64 v40, v[31:32] offset:512
	ds_write_b64 v138, v[29:30] offset:512
	ds_write_b64 v139, v[25:26] offset:512
	v_lshlrev_b32_e32 v40, 3, v146
	v_lshlrev_b32_e32 v138, 3, v144
	;; [unrolled: 1-line block ×3, first 2 shown]
	ds_write_b64 v39, v[21:22] offset:512
	v_lshlrev_b32_e32 v39, 3, v145
	ds_write_b64 v40, v[17:18] offset:512
	v_lshlrev_b32_e32 v40, 3, v141
	ds_write_b64 v39, v[27:28] offset:512
	ds_write_b64 v138, v[23:24] offset:512
	;; [unrolled: 1-line block ×3, first 2 shown]
	v_lshlrev_b32_e32 v39, 3, v140
	ds_write_b64 v40, v[15:16] offset:512
	v_lshlrev_b32_e32 v40, 3, v137
	v_lshlrev_b32_e32 v3, 3, v3
	;; [unrolled: 1-line block ×3, first 2 shown]
	ds_write_b64 v39, v[13:14] offset:512
	v_add_nc_u32_e32 v39, v0, v75
	v_lshlrev_b32_e32 v41, 3, v41
	ds_write_b64 v40, v[11:12] offset:512
	ds_write_b64 v42, v[9:10] offset:512
	;; [unrolled: 1-line block ×4, first 2 shown]
	s_waitcnt lgkmcnt(0)
	s_barrier
	buffer_gl0_inv
	s_and_saveexec_b32 s40, s38
	s_cbranch_execnz .LBB399_1223
; %bb.1155:                             ;   in Loop: Header=BB399_1032 Depth=2
	s_or_b32 exec_lo, exec_lo, s40
	s_and_saveexec_b32 s40, s39
	s_cbranch_execnz .LBB399_1224
.LBB399_1156:                           ;   in Loop: Header=BB399_1032 Depth=2
	s_or_b32 exec_lo, exec_lo, s40
	s_and_saveexec_b32 s38, s37
	s_cbranch_execnz .LBB399_1225
.LBB399_1157:                           ;   in Loop: Header=BB399_1032 Depth=2
	s_or_b32 exec_lo, exec_lo, s38
	s_and_saveexec_b32 s37, s36
	s_cbranch_execnz .LBB399_1226
.LBB399_1158:                           ;   in Loop: Header=BB399_1032 Depth=2
	s_or_b32 exec_lo, exec_lo, s37
	s_and_saveexec_b32 s36, s35
	s_cbranch_execnz .LBB399_1227
.LBB399_1159:                           ;   in Loop: Header=BB399_1032 Depth=2
	s_or_b32 exec_lo, exec_lo, s36
	s_and_saveexec_b32 s35, s34
	s_cbranch_execnz .LBB399_1228
.LBB399_1160:                           ;   in Loop: Header=BB399_1032 Depth=2
	s_or_b32 exec_lo, exec_lo, s35
	s_and_saveexec_b32 s34, s33
	s_cbranch_execnz .LBB399_1229
.LBB399_1161:                           ;   in Loop: Header=BB399_1032 Depth=2
	s_or_b32 exec_lo, exec_lo, s34
	s_and_saveexec_b32 s33, s31
	s_cbranch_execnz .LBB399_1230
.LBB399_1162:                           ;   in Loop: Header=BB399_1032 Depth=2
	s_or_b32 exec_lo, exec_lo, s33
	s_and_saveexec_b32 s31, s30
	s_cbranch_execnz .LBB399_1231
.LBB399_1163:                           ;   in Loop: Header=BB399_1032 Depth=2
	s_or_b32 exec_lo, exec_lo, s31
	s_and_saveexec_b32 s30, s29
	s_cbranch_execnz .LBB399_1232
.LBB399_1164:                           ;   in Loop: Header=BB399_1032 Depth=2
	s_or_b32 exec_lo, exec_lo, s30
	s_and_saveexec_b32 s29, s27
	s_cbranch_execnz .LBB399_1233
.LBB399_1165:                           ;   in Loop: Header=BB399_1032 Depth=2
	s_or_b32 exec_lo, exec_lo, s29
	s_and_saveexec_b32 s27, s26
	s_cbranch_execnz .LBB399_1234
.LBB399_1166:                           ;   in Loop: Header=BB399_1032 Depth=2
	s_or_b32 exec_lo, exec_lo, s27
	s_and_saveexec_b32 s26, s25
	s_cbranch_execnz .LBB399_1235
.LBB399_1167:                           ;   in Loop: Header=BB399_1032 Depth=2
	s_or_b32 exec_lo, exec_lo, s26
	s_and_saveexec_b32 s25, s24
	s_cbranch_execnz .LBB399_1236
.LBB399_1168:                           ;   in Loop: Header=BB399_1032 Depth=2
	s_or_b32 exec_lo, exec_lo, s25
	s_and_saveexec_b32 s24, s23
	s_cbranch_execnz .LBB399_1237
.LBB399_1169:                           ;   in Loop: Header=BB399_1032 Depth=2
	s_or_b32 exec_lo, exec_lo, s24
	s_and_saveexec_b32 s23, s22
	s_cbranch_execnz .LBB399_1238
.LBB399_1170:                           ;   in Loop: Header=BB399_1032 Depth=2
	s_or_b32 exec_lo, exec_lo, s23
	s_and_saveexec_b32 s22, vcc_lo
	s_cbranch_execz .LBB399_1172
.LBB399_1171:                           ;   in Loop: Header=BB399_1032 Depth=2
	v_lshlrev_b32_e32 v3, 2, v118
	ds_read_b32 v3, v3
	ds_read_b64 v[39:40], v39 offset:33280
	s_waitcnt lgkmcnt(1)
	v_add_nc_u32_e32 v3, v3, v61
	v_lshlrev_b64 v[41:42], 3, v[3:4]
	v_add_co_u32 v41, vcc_lo, s54, v41
	v_add_co_ci_u32_e64 v42, null, s55, v42, vcc_lo
	s_waitcnt lgkmcnt(0)
	global_store_dwordx2 v[41:42], v[39:40], off
.LBB399_1172:                           ;   in Loop: Header=BB399_1032 Depth=2
	s_or_b32 exec_lo, exec_lo, s22
	s_waitcnt_vscnt null, 0x0
	s_barrier
	buffer_gl0_inv
	s_and_saveexec_b32 s22, s7
	s_cbranch_execz .LBB399_1031
; %bb.1173:                             ;   in Loop: Header=BB399_1032 Depth=2
	ds_read_b32 v3, v43
	s_waitcnt lgkmcnt(0)
	v_add3_u32 v3, v135, v136, v3
	ds_write_b32 v43, v3
	s_branch .LBB399_1031
.LBB399_1174:                           ;   in Loop: Header=BB399_1032 Depth=2
	ds_read_u8 v39, v0 offset:512
	s_waitcnt lgkmcnt(0)
	v_lshrrev_b32_sdwa v40, s41, v39 dst_sel:DWORD dst_unused:UNUSED_PAD src0_sel:DWORD src1_sel:BYTE_0
	v_xor_b32_e32 v39, 0x80, v39
	v_and_b32_e32 v40, s62, v40
	v_lshlrev_b32_e32 v40, 2, v40
	ds_read_b32 v40, v40
	s_waitcnt lgkmcnt(0)
	v_add_nc_u32_e32 v40, v40, v0
	global_store_byte v40, v39, s[48:49]
	s_or_b32 exec_lo, exec_lo, s22
	v_cmp_lt_u32_e64 s39, v44, v138
	s_and_saveexec_b32 s22, s39
	s_cbranch_execz .LBB399_1103
.LBB399_1175:                           ;   in Loop: Header=BB399_1032 Depth=2
	ds_read_u8 v39, v0 offset:768
	s_waitcnt lgkmcnt(0)
	v_lshrrev_b32_sdwa v40, s41, v39 dst_sel:DWORD dst_unused:UNUSED_PAD src0_sel:DWORD src1_sel:BYTE_0
	v_xor_b32_e32 v39, 0x80, v39
	v_and_b32_e32 v40, s62, v40
	v_lshlrev_b32_e32 v40, 2, v40
	ds_read_b32 v40, v40
	s_waitcnt lgkmcnt(0)
	v_add_nc_u32_e32 v40, v40, v44
	global_store_byte v40, v39, s[48:49]
	s_or_b32 exec_lo, exec_lo, s22
	v_cmp_lt_u32_e64 s37, v47, v138
	s_and_saveexec_b32 s22, s37
	s_cbranch_execz .LBB399_1104
.LBB399_1176:                           ;   in Loop: Header=BB399_1032 Depth=2
	ds_read_u8 v39, v0 offset:1024
	s_waitcnt lgkmcnt(0)
	v_lshrrev_b32_sdwa v40, s41, v39 dst_sel:DWORD dst_unused:UNUSED_PAD src0_sel:DWORD src1_sel:BYTE_0
	v_xor_b32_e32 v39, 0x80, v39
	v_and_b32_e32 v40, s62, v40
	v_lshlrev_b32_e32 v40, 2, v40
	ds_read_b32 v40, v40
	s_waitcnt lgkmcnt(0)
	v_add_nc_u32_e32 v40, v40, v47
	global_store_byte v40, v39, s[48:49]
	s_or_b32 exec_lo, exec_lo, s22
	v_cmp_lt_u32_e64 s36, v48, v138
	s_and_saveexec_b32 s22, s36
	s_cbranch_execz .LBB399_1105
.LBB399_1177:                           ;   in Loop: Header=BB399_1032 Depth=2
	ds_read_u8 v39, v0 offset:1280
	s_waitcnt lgkmcnt(0)
	v_lshrrev_b32_sdwa v40, s41, v39 dst_sel:DWORD dst_unused:UNUSED_PAD src0_sel:DWORD src1_sel:BYTE_0
	v_xor_b32_e32 v39, 0x80, v39
	v_and_b32_e32 v40, s62, v40
	v_lshlrev_b32_e32 v40, 2, v40
	ds_read_b32 v40, v40
	s_waitcnt lgkmcnt(0)
	v_add_nc_u32_e32 v40, v40, v48
	global_store_byte v40, v39, s[48:49]
	s_or_b32 exec_lo, exec_lo, s22
	v_cmp_lt_u32_e64 s35, v49, v138
	s_and_saveexec_b32 s22, s35
	s_cbranch_execz .LBB399_1106
.LBB399_1178:                           ;   in Loop: Header=BB399_1032 Depth=2
	ds_read_u8 v39, v0 offset:1536
	s_waitcnt lgkmcnt(0)
	v_lshrrev_b32_sdwa v40, s41, v39 dst_sel:DWORD dst_unused:UNUSED_PAD src0_sel:DWORD src1_sel:BYTE_0
	v_xor_b32_e32 v39, 0x80, v39
	v_and_b32_e32 v40, s62, v40
	v_lshlrev_b32_e32 v40, 2, v40
	ds_read_b32 v40, v40
	s_waitcnt lgkmcnt(0)
	v_add_nc_u32_e32 v40, v40, v49
	global_store_byte v40, v39, s[48:49]
	s_or_b32 exec_lo, exec_lo, s22
	v_cmp_lt_u32_e64 s34, v50, v138
	s_and_saveexec_b32 s22, s34
	s_cbranch_execz .LBB399_1107
.LBB399_1179:                           ;   in Loop: Header=BB399_1032 Depth=2
	ds_read_u8 v39, v0 offset:1792
	s_waitcnt lgkmcnt(0)
	v_lshrrev_b32_sdwa v40, s41, v39 dst_sel:DWORD dst_unused:UNUSED_PAD src0_sel:DWORD src1_sel:BYTE_0
	v_xor_b32_e32 v39, 0x80, v39
	v_and_b32_e32 v40, s62, v40
	v_lshlrev_b32_e32 v40, 2, v40
	ds_read_b32 v40, v40
	s_waitcnt lgkmcnt(0)
	v_add_nc_u32_e32 v40, v40, v50
	global_store_byte v40, v39, s[48:49]
	s_or_b32 exec_lo, exec_lo, s22
	v_cmp_lt_u32_e64 s33, v51, v138
	s_and_saveexec_b32 s22, s33
	s_cbranch_execz .LBB399_1108
.LBB399_1180:                           ;   in Loop: Header=BB399_1032 Depth=2
	ds_read_u8 v39, v0 offset:2048
	s_waitcnt lgkmcnt(0)
	v_lshrrev_b32_sdwa v40, s41, v39 dst_sel:DWORD dst_unused:UNUSED_PAD src0_sel:DWORD src1_sel:BYTE_0
	v_xor_b32_e32 v39, 0x80, v39
	v_and_b32_e32 v40, s62, v40
	v_lshlrev_b32_e32 v40, 2, v40
	ds_read_b32 v40, v40
	s_waitcnt lgkmcnt(0)
	v_add_nc_u32_e32 v40, v40, v51
	global_store_byte v40, v39, s[48:49]
	s_or_b32 exec_lo, exec_lo, s22
	v_cmp_lt_u32_e64 s31, v52, v138
	s_and_saveexec_b32 s22, s31
	s_cbranch_execz .LBB399_1109
.LBB399_1181:                           ;   in Loop: Header=BB399_1032 Depth=2
	ds_read_u8 v39, v0 offset:2304
	s_waitcnt lgkmcnt(0)
	v_lshrrev_b32_sdwa v40, s41, v39 dst_sel:DWORD dst_unused:UNUSED_PAD src0_sel:DWORD src1_sel:BYTE_0
	v_xor_b32_e32 v39, 0x80, v39
	v_and_b32_e32 v40, s62, v40
	v_lshlrev_b32_e32 v40, 2, v40
	ds_read_b32 v40, v40
	s_waitcnt lgkmcnt(0)
	v_add_nc_u32_e32 v40, v40, v52
	global_store_byte v40, v39, s[48:49]
	s_or_b32 exec_lo, exec_lo, s22
	v_cmp_lt_u32_e64 s30, v53, v138
	s_and_saveexec_b32 s22, s30
	s_cbranch_execz .LBB399_1110
.LBB399_1182:                           ;   in Loop: Header=BB399_1032 Depth=2
	ds_read_u8 v39, v0 offset:2560
	s_waitcnt lgkmcnt(0)
	v_lshrrev_b32_sdwa v40, s41, v39 dst_sel:DWORD dst_unused:UNUSED_PAD src0_sel:DWORD src1_sel:BYTE_0
	v_xor_b32_e32 v39, 0x80, v39
	v_and_b32_e32 v40, s62, v40
	v_lshlrev_b32_e32 v40, 2, v40
	ds_read_b32 v40, v40
	s_waitcnt lgkmcnt(0)
	v_add_nc_u32_e32 v40, v40, v53
	global_store_byte v40, v39, s[48:49]
	s_or_b32 exec_lo, exec_lo, s22
	v_cmp_lt_u32_e64 s29, v54, v138
	s_and_saveexec_b32 s22, s29
	s_cbranch_execz .LBB399_1111
.LBB399_1183:                           ;   in Loop: Header=BB399_1032 Depth=2
	ds_read_u8 v39, v0 offset:2816
	s_waitcnt lgkmcnt(0)
	v_lshrrev_b32_sdwa v40, s41, v39 dst_sel:DWORD dst_unused:UNUSED_PAD src0_sel:DWORD src1_sel:BYTE_0
	v_xor_b32_e32 v39, 0x80, v39
	v_and_b32_e32 v40, s62, v40
	v_lshlrev_b32_e32 v40, 2, v40
	ds_read_b32 v40, v40
	s_waitcnt lgkmcnt(0)
	v_add_nc_u32_e32 v40, v40, v54
	global_store_byte v40, v39, s[48:49]
	s_or_b32 exec_lo, exec_lo, s22
	v_cmp_lt_u32_e64 s27, v55, v138
	s_and_saveexec_b32 s22, s27
	s_cbranch_execz .LBB399_1112
.LBB399_1184:                           ;   in Loop: Header=BB399_1032 Depth=2
	ds_read_u8 v39, v0 offset:3072
	s_waitcnt lgkmcnt(0)
	v_lshrrev_b32_sdwa v40, s41, v39 dst_sel:DWORD dst_unused:UNUSED_PAD src0_sel:DWORD src1_sel:BYTE_0
	v_xor_b32_e32 v39, 0x80, v39
	v_and_b32_e32 v40, s62, v40
	v_lshlrev_b32_e32 v40, 2, v40
	ds_read_b32 v40, v40
	s_waitcnt lgkmcnt(0)
	v_add_nc_u32_e32 v40, v40, v55
	global_store_byte v40, v39, s[48:49]
	s_or_b32 exec_lo, exec_lo, s22
	v_cmp_lt_u32_e64 s26, v56, v138
	s_and_saveexec_b32 s22, s26
	s_cbranch_execz .LBB399_1113
.LBB399_1185:                           ;   in Loop: Header=BB399_1032 Depth=2
	ds_read_u8 v39, v0 offset:3328
	s_waitcnt lgkmcnt(0)
	v_lshrrev_b32_sdwa v40, s41, v39 dst_sel:DWORD dst_unused:UNUSED_PAD src0_sel:DWORD src1_sel:BYTE_0
	v_xor_b32_e32 v39, 0x80, v39
	v_and_b32_e32 v40, s62, v40
	v_lshlrev_b32_e32 v40, 2, v40
	ds_read_b32 v40, v40
	s_waitcnt lgkmcnt(0)
	v_add_nc_u32_e32 v40, v40, v56
	global_store_byte v40, v39, s[48:49]
	s_or_b32 exec_lo, exec_lo, s22
	v_cmp_lt_u32_e64 s25, v57, v138
	s_and_saveexec_b32 s22, s25
	s_cbranch_execz .LBB399_1114
.LBB399_1186:                           ;   in Loop: Header=BB399_1032 Depth=2
	ds_read_u8 v39, v0 offset:3584
	s_waitcnt lgkmcnt(0)
	v_lshrrev_b32_sdwa v40, s41, v39 dst_sel:DWORD dst_unused:UNUSED_PAD src0_sel:DWORD src1_sel:BYTE_0
	v_xor_b32_e32 v39, 0x80, v39
	v_and_b32_e32 v40, s62, v40
	v_lshlrev_b32_e32 v40, 2, v40
	ds_read_b32 v40, v40
	s_waitcnt lgkmcnt(0)
	v_add_nc_u32_e32 v40, v40, v57
	global_store_byte v40, v39, s[48:49]
	s_or_b32 exec_lo, exec_lo, s22
	v_cmp_lt_u32_e64 s24, v58, v138
	s_and_saveexec_b32 s22, s24
	s_cbranch_execz .LBB399_1115
.LBB399_1187:                           ;   in Loop: Header=BB399_1032 Depth=2
	ds_read_u8 v39, v0 offset:3840
	s_waitcnt lgkmcnt(0)
	v_lshrrev_b32_sdwa v40, s41, v39 dst_sel:DWORD dst_unused:UNUSED_PAD src0_sel:DWORD src1_sel:BYTE_0
	v_xor_b32_e32 v39, 0x80, v39
	v_and_b32_e32 v40, s62, v40
	v_lshlrev_b32_e32 v40, 2, v40
	ds_read_b32 v40, v40
	s_waitcnt lgkmcnt(0)
	v_add_nc_u32_e32 v40, v40, v58
	global_store_byte v40, v39, s[48:49]
	s_or_b32 exec_lo, exec_lo, s22
	v_cmp_lt_u32_e64 s23, v59, v138
	s_and_saveexec_b32 s22, s23
	s_cbranch_execz .LBB399_1116
.LBB399_1188:                           ;   in Loop: Header=BB399_1032 Depth=2
	ds_read_u8 v39, v0 offset:4096
	s_waitcnt lgkmcnt(0)
	v_lshrrev_b32_sdwa v40, s41, v39 dst_sel:DWORD dst_unused:UNUSED_PAD src0_sel:DWORD src1_sel:BYTE_0
	v_xor_b32_e32 v39, 0x80, v39
	v_and_b32_e32 v40, s62, v40
	v_lshlrev_b32_e32 v40, 2, v40
	ds_read_b32 v40, v40
	s_waitcnt lgkmcnt(0)
	v_add_nc_u32_e32 v40, v40, v59
	global_store_byte v40, v39, s[48:49]
	s_or_b32 exec_lo, exec_lo, s22
	v_cmp_lt_u32_e64 s22, v60, v138
	s_and_saveexec_b32 s40, s22
	s_cbranch_execz .LBB399_1117
.LBB399_1189:                           ;   in Loop: Header=BB399_1032 Depth=2
	ds_read_u8 v39, v0 offset:4352
	s_waitcnt lgkmcnt(0)
	v_lshrrev_b32_sdwa v40, s41, v39 dst_sel:DWORD dst_unused:UNUSED_PAD src0_sel:DWORD src1_sel:BYTE_0
	v_xor_b32_e32 v39, 0x80, v39
	v_and_b32_e32 v40, s62, v40
	v_lshlrev_b32_e32 v40, 2, v40
	ds_read_b32 v40, v40
	s_waitcnt lgkmcnt(0)
	v_add_nc_u32_e32 v40, v40, v60
	global_store_byte v40, v39, s[48:49]
	s_or_b32 exec_lo, exec_lo, s40
	v_cmp_lt_u32_e32 vcc_lo, v61, v138
	s_and_saveexec_b32 s40, vcc_lo
	s_cbranch_execnz .LBB399_1118
	s_branch .LBB399_1119
.LBB399_1190:                           ;   in Loop: Header=BB399_1032 Depth=2
	global_load_dwordx2 v[37:38], v[39:40], off
	s_or_b32 exec_lo, exec_lo, s40
	s_mov_b32 s50, exec_lo
	v_cmpx_lt_u32_e64 v100, v138
	s_cbranch_execz .LBB399_1121
.LBB399_1191:                           ;   in Loop: Header=BB399_1032 Depth=2
	global_load_dwordx2 v[35:36], v[39:40], off offset:256
	s_or_b32 exec_lo, exec_lo, s50
	s_mov_b32 s50, exec_lo
	v_cmpx_lt_u32_e64 v101, v138
	s_cbranch_execz .LBB399_1122
.LBB399_1192:                           ;   in Loop: Header=BB399_1032 Depth=2
	global_load_dwordx2 v[33:34], v[39:40], off offset:512
	s_or_b32 exec_lo, exec_lo, s50
	s_mov_b32 s50, exec_lo
	v_cmpx_lt_u32_e64 v102, v138
	s_cbranch_execz .LBB399_1123
.LBB399_1193:                           ;   in Loop: Header=BB399_1032 Depth=2
	global_load_dwordx2 v[31:32], v[39:40], off offset:768
	s_or_b32 exec_lo, exec_lo, s50
	s_mov_b32 s50, exec_lo
	v_cmpx_lt_u32_e64 v103, v138
	s_cbranch_execz .LBB399_1124
.LBB399_1194:                           ;   in Loop: Header=BB399_1032 Depth=2
	global_load_dwordx2 v[29:30], v[39:40], off offset:1024
	s_or_b32 exec_lo, exec_lo, s50
	s_mov_b32 s50, exec_lo
	v_cmpx_lt_u32_e64 v104, v138
	s_cbranch_execz .LBB399_1125
.LBB399_1195:                           ;   in Loop: Header=BB399_1032 Depth=2
	global_load_dwordx2 v[25:26], v[39:40], off offset:1280
	s_or_b32 exec_lo, exec_lo, s50
	s_mov_b32 s50, exec_lo
	v_cmpx_lt_u32_e64 v105, v138
	s_cbranch_execz .LBB399_1126
.LBB399_1196:                           ;   in Loop: Header=BB399_1032 Depth=2
	global_load_dwordx2 v[21:22], v[39:40], off offset:1536
	s_or_b32 exec_lo, exec_lo, s50
	s_mov_b32 s50, exec_lo
	v_cmpx_lt_u32_e64 v106, v138
	s_cbranch_execz .LBB399_1127
.LBB399_1197:                           ;   in Loop: Header=BB399_1032 Depth=2
	global_load_dwordx2 v[17:18], v[39:40], off offset:1792
	s_or_b32 exec_lo, exec_lo, s50
	s_mov_b32 s50, exec_lo
	v_cmpx_lt_u32_e64 v107, v138
	s_cbranch_execz .LBB399_1128
.LBB399_1198:                           ;   in Loop: Header=BB399_1032 Depth=2
	v_add_co_u32 v27, s40, 0x800, v39
	v_add_co_ci_u32_e64 v28, null, 0, v40, s40
	global_load_dwordx2 v[27:28], v[27:28], off
	s_or_b32 exec_lo, exec_lo, s50
	s_mov_b32 s50, exec_lo
	v_cmpx_lt_u32_e64 v108, v138
	s_cbranch_execz .LBB399_1129
.LBB399_1199:                           ;   in Loop: Header=BB399_1032 Depth=2
	v_add_co_u32 v23, s40, 0x800, v39
	v_add_co_ci_u32_e64 v24, null, 0, v40, s40
	global_load_dwordx2 v[23:24], v[23:24], off offset:256
	s_or_b32 exec_lo, exec_lo, s50
	s_mov_b32 s50, exec_lo
	v_cmpx_lt_u32_e64 v109, v138
	s_cbranch_execz .LBB399_1130
.LBB399_1200:                           ;   in Loop: Header=BB399_1032 Depth=2
	v_add_co_u32 v19, s40, 0x800, v39
	v_add_co_ci_u32_e64 v20, null, 0, v40, s40
	global_load_dwordx2 v[19:20], v[19:20], off offset:512
	s_or_b32 exec_lo, exec_lo, s50
	s_mov_b32 s50, exec_lo
	v_cmpx_lt_u32_e64 v110, v138
	s_cbranch_execz .LBB399_1131
.LBB399_1201:                           ;   in Loop: Header=BB399_1032 Depth=2
	v_add_co_u32 v15, s40, 0x800, v39
	v_add_co_ci_u32_e64 v16, null, 0, v40, s40
	global_load_dwordx2 v[15:16], v[15:16], off offset:768
	s_or_b32 exec_lo, exec_lo, s50
	s_mov_b32 s50, exec_lo
	v_cmpx_lt_u32_e64 v111, v138
	s_cbranch_execz .LBB399_1132
.LBB399_1202:                           ;   in Loop: Header=BB399_1032 Depth=2
	v_add_co_u32 v13, s40, 0x800, v39
	v_add_co_ci_u32_e64 v14, null, 0, v40, s40
	global_load_dwordx2 v[13:14], v[13:14], off offset:1024
	s_or_b32 exec_lo, exec_lo, s50
	s_mov_b32 s50, exec_lo
	v_cmpx_lt_u32_e64 v112, v138
	s_cbranch_execz .LBB399_1133
.LBB399_1203:                           ;   in Loop: Header=BB399_1032 Depth=2
	v_add_co_u32 v11, s40, 0x800, v39
	v_add_co_ci_u32_e64 v12, null, 0, v40, s40
	global_load_dwordx2 v[11:12], v[11:12], off offset:1280
	s_or_b32 exec_lo, exec_lo, s50
	s_mov_b32 s50, exec_lo
	v_cmpx_lt_u32_e64 v113, v138
	s_cbranch_execz .LBB399_1134
.LBB399_1204:                           ;   in Loop: Header=BB399_1032 Depth=2
	v_add_co_u32 v9, s40, 0x800, v39
	v_add_co_ci_u32_e64 v10, null, 0, v40, s40
	global_load_dwordx2 v[9:10], v[9:10], off offset:1536
	s_or_b32 exec_lo, exec_lo, s50
	s_mov_b32 s50, exec_lo
	v_cmpx_lt_u32_e64 v114, v138
	s_cbranch_execz .LBB399_1135
.LBB399_1205:                           ;   in Loop: Header=BB399_1032 Depth=2
	v_add_co_u32 v7, s40, 0x800, v39
	v_add_co_ci_u32_e64 v8, null, 0, v40, s40
	global_load_dwordx2 v[7:8], v[7:8], off offset:1792
	s_or_b32 exec_lo, exec_lo, s50
	s_mov_b32 s50, exec_lo
	v_cmpx_lt_u32_e64 v115, v138
	s_cbranch_execz .LBB399_1136
.LBB399_1206:                           ;   in Loop: Header=BB399_1032 Depth=2
	v_add_co_u32 v5, s40, 0x1000, v39
	v_add_co_ci_u32_e64 v6, null, 0, v40, s40
	global_load_dwordx2 v[5:6], v[5:6], off
	s_or_b32 exec_lo, exec_lo, s50
	s_and_saveexec_b32 s40, s38
	s_cbranch_execz .LBB399_1137
.LBB399_1207:                           ;   in Loop: Header=BB399_1032 Depth=2
	ds_read_u8 v39, v0 offset:512
	s_waitcnt lgkmcnt(0)
	v_lshrrev_b32_e32 v39, s41, v39
	v_and_b32_e32 v134, s62, v39
	s_or_b32 exec_lo, exec_lo, s40
	s_and_saveexec_b32 s40, s39
	s_cbranch_execz .LBB399_1138
.LBB399_1208:                           ;   in Loop: Header=BB399_1032 Depth=2
	ds_read_u8 v39, v0 offset:768
	s_waitcnt lgkmcnt(0)
	v_lshrrev_b32_e32 v39, s41, v39
	v_and_b32_e32 v133, s62, v39
	s_or_b32 exec_lo, exec_lo, s40
	s_and_saveexec_b32 s40, s37
	s_cbranch_execz .LBB399_1139
.LBB399_1209:                           ;   in Loop: Header=BB399_1032 Depth=2
	ds_read_u8 v39, v0 offset:1024
	s_waitcnt lgkmcnt(0)
	v_lshrrev_b32_e32 v39, s41, v39
	v_and_b32_e32 v132, s62, v39
	s_or_b32 exec_lo, exec_lo, s40
	s_and_saveexec_b32 s40, s36
	s_cbranch_execz .LBB399_1140
.LBB399_1210:                           ;   in Loop: Header=BB399_1032 Depth=2
	ds_read_u8 v39, v0 offset:1280
	s_waitcnt lgkmcnt(0)
	v_lshrrev_b32_e32 v39, s41, v39
	v_and_b32_e32 v131, s62, v39
	s_or_b32 exec_lo, exec_lo, s40
	s_and_saveexec_b32 s40, s35
	s_cbranch_execz .LBB399_1141
.LBB399_1211:                           ;   in Loop: Header=BB399_1032 Depth=2
	ds_read_u8 v39, v0 offset:1536
	s_waitcnt lgkmcnt(0)
	v_lshrrev_b32_e32 v39, s41, v39
	v_and_b32_e32 v130, s62, v39
	s_or_b32 exec_lo, exec_lo, s40
	s_and_saveexec_b32 s40, s34
	s_cbranch_execz .LBB399_1142
.LBB399_1212:                           ;   in Loop: Header=BB399_1032 Depth=2
	ds_read_u8 v39, v0 offset:1792
	s_waitcnt lgkmcnt(0)
	v_lshrrev_b32_e32 v39, s41, v39
	v_and_b32_e32 v129, s62, v39
	s_or_b32 exec_lo, exec_lo, s40
	s_and_saveexec_b32 s40, s33
	s_cbranch_execz .LBB399_1143
.LBB399_1213:                           ;   in Loop: Header=BB399_1032 Depth=2
	ds_read_u8 v39, v0 offset:2048
	s_waitcnt lgkmcnt(0)
	v_lshrrev_b32_e32 v39, s41, v39
	v_and_b32_e32 v128, s62, v39
	s_or_b32 exec_lo, exec_lo, s40
	s_and_saveexec_b32 s40, s31
	s_cbranch_execz .LBB399_1144
.LBB399_1214:                           ;   in Loop: Header=BB399_1032 Depth=2
	ds_read_u8 v39, v0 offset:2304
	s_waitcnt lgkmcnt(0)
	v_lshrrev_b32_e32 v39, s41, v39
	v_and_b32_e32 v127, s62, v39
	s_or_b32 exec_lo, exec_lo, s40
	s_and_saveexec_b32 s40, s30
	s_cbranch_execz .LBB399_1145
.LBB399_1215:                           ;   in Loop: Header=BB399_1032 Depth=2
	ds_read_u8 v39, v0 offset:2560
	s_waitcnt lgkmcnt(0)
	v_lshrrev_b32_e32 v39, s41, v39
	v_and_b32_e32 v126, s62, v39
	s_or_b32 exec_lo, exec_lo, s40
	s_and_saveexec_b32 s40, s29
	s_cbranch_execz .LBB399_1146
.LBB399_1216:                           ;   in Loop: Header=BB399_1032 Depth=2
	ds_read_u8 v39, v0 offset:2816
	s_waitcnt lgkmcnt(0)
	v_lshrrev_b32_e32 v39, s41, v39
	v_and_b32_e32 v125, s62, v39
	s_or_b32 exec_lo, exec_lo, s40
	s_and_saveexec_b32 s40, s27
	s_cbranch_execz .LBB399_1147
.LBB399_1217:                           ;   in Loop: Header=BB399_1032 Depth=2
	ds_read_u8 v39, v0 offset:3072
	s_waitcnt lgkmcnt(0)
	v_lshrrev_b32_e32 v39, s41, v39
	v_and_b32_e32 v124, s62, v39
	s_or_b32 exec_lo, exec_lo, s40
	s_and_saveexec_b32 s40, s26
	s_cbranch_execz .LBB399_1148
.LBB399_1218:                           ;   in Loop: Header=BB399_1032 Depth=2
	ds_read_u8 v39, v0 offset:3328
	s_waitcnt lgkmcnt(0)
	v_lshrrev_b32_e32 v39, s41, v39
	v_and_b32_e32 v123, s62, v39
	s_or_b32 exec_lo, exec_lo, s40
	s_and_saveexec_b32 s40, s25
	s_cbranch_execz .LBB399_1149
.LBB399_1219:                           ;   in Loop: Header=BB399_1032 Depth=2
	ds_read_u8 v39, v0 offset:3584
	s_waitcnt lgkmcnt(0)
	v_lshrrev_b32_e32 v39, s41, v39
	v_and_b32_e32 v122, s62, v39
	s_or_b32 exec_lo, exec_lo, s40
	s_and_saveexec_b32 s40, s24
	s_cbranch_execz .LBB399_1150
.LBB399_1220:                           ;   in Loop: Header=BB399_1032 Depth=2
	ds_read_u8 v39, v0 offset:3840
	s_waitcnt lgkmcnt(0)
	v_lshrrev_b32_e32 v39, s41, v39
	v_and_b32_e32 v121, s62, v39
	s_or_b32 exec_lo, exec_lo, s40
	s_and_saveexec_b32 s40, s23
	s_cbranch_execz .LBB399_1151
.LBB399_1221:                           ;   in Loop: Header=BB399_1032 Depth=2
	ds_read_u8 v39, v0 offset:4096
	s_waitcnt lgkmcnt(0)
	v_lshrrev_b32_e32 v39, s41, v39
	v_and_b32_e32 v120, s62, v39
	s_or_b32 exec_lo, exec_lo, s40
	s_and_saveexec_b32 s40, s22
	s_cbranch_execz .LBB399_1152
.LBB399_1222:                           ;   in Loop: Header=BB399_1032 Depth=2
	ds_read_u8 v39, v0 offset:4352
	s_waitcnt lgkmcnt(0)
	v_lshrrev_b32_e32 v39, s41, v39
	v_and_b32_e32 v119, s62, v39
	s_or_b32 exec_lo, exec_lo, s40
	s_and_saveexec_b32 s40, vcc_lo
	s_cbranch_execnz .LBB399_1153
	s_branch .LBB399_1154
.LBB399_1223:                           ;   in Loop: Header=BB399_1032 Depth=2
	v_lshlrev_b32_e32 v3, 2, v134
	ds_read_b32 v3, v3
	ds_read_b64 v[40:41], v39 offset:512
	s_waitcnt lgkmcnt(1)
	v_add_nc_u32_e32 v3, v3, v0
	v_lshlrev_b64 v[137:138], 3, v[3:4]
	v_add_co_u32 v137, s38, s54, v137
	v_add_co_ci_u32_e64 v138, null, s55, v138, s38
	s_waitcnt lgkmcnt(0)
	global_store_dwordx2 v[137:138], v[40:41], off
	s_or_b32 exec_lo, exec_lo, s40
	s_and_saveexec_b32 s40, s39
	s_cbranch_execz .LBB399_1156
.LBB399_1224:                           ;   in Loop: Header=BB399_1032 Depth=2
	v_lshlrev_b32_e32 v3, 2, v133
	ds_read_b32 v3, v3
	ds_read_b64 v[40:41], v39 offset:2560
	s_waitcnt lgkmcnt(1)
	v_add_nc_u32_e32 v3, v3, v44
	v_lshlrev_b64 v[137:138], 3, v[3:4]
	v_add_co_u32 v137, s38, s54, v137
	v_add_co_ci_u32_e64 v138, null, s55, v138, s38
	s_waitcnt lgkmcnt(0)
	global_store_dwordx2 v[137:138], v[40:41], off
	s_or_b32 exec_lo, exec_lo, s40
	s_and_saveexec_b32 s38, s37
	s_cbranch_execz .LBB399_1157
.LBB399_1225:                           ;   in Loop: Header=BB399_1032 Depth=2
	v_lshlrev_b32_e32 v3, 2, v132
	ds_read_b32 v3, v3
	ds_read_b64 v[40:41], v39 offset:4608
	s_waitcnt lgkmcnt(1)
	v_add_nc_u32_e32 v3, v3, v47
	v_lshlrev_b64 v[137:138], 3, v[3:4]
	v_add_co_u32 v137, s37, s54, v137
	v_add_co_ci_u32_e64 v138, null, s55, v138, s37
	s_waitcnt lgkmcnt(0)
	global_store_dwordx2 v[137:138], v[40:41], off
	s_or_b32 exec_lo, exec_lo, s38
	s_and_saveexec_b32 s37, s36
	s_cbranch_execz .LBB399_1158
.LBB399_1226:                           ;   in Loop: Header=BB399_1032 Depth=2
	v_lshlrev_b32_e32 v3, 2, v131
	ds_read_b32 v3, v3
	ds_read_b64 v[40:41], v39 offset:6656
	s_waitcnt lgkmcnt(1)
	v_add_nc_u32_e32 v3, v3, v48
	v_lshlrev_b64 v[137:138], 3, v[3:4]
	v_add_co_u32 v137, s36, s54, v137
	v_add_co_ci_u32_e64 v138, null, s55, v138, s36
	s_waitcnt lgkmcnt(0)
	global_store_dwordx2 v[137:138], v[40:41], off
	s_or_b32 exec_lo, exec_lo, s37
	s_and_saveexec_b32 s36, s35
	s_cbranch_execz .LBB399_1159
.LBB399_1227:                           ;   in Loop: Header=BB399_1032 Depth=2
	v_lshlrev_b32_e32 v3, 2, v130
	ds_read_b32 v3, v3
	ds_read_b64 v[40:41], v39 offset:8704
	s_waitcnt lgkmcnt(1)
	v_add_nc_u32_e32 v3, v3, v49
	v_lshlrev_b64 v[137:138], 3, v[3:4]
	v_add_co_u32 v137, s35, s54, v137
	v_add_co_ci_u32_e64 v138, null, s55, v138, s35
	s_waitcnt lgkmcnt(0)
	global_store_dwordx2 v[137:138], v[40:41], off
	s_or_b32 exec_lo, exec_lo, s36
	s_and_saveexec_b32 s35, s34
	s_cbranch_execz .LBB399_1160
.LBB399_1228:                           ;   in Loop: Header=BB399_1032 Depth=2
	v_lshlrev_b32_e32 v3, 2, v129
	ds_read_b32 v3, v3
	ds_read_b64 v[40:41], v39 offset:10752
	s_waitcnt lgkmcnt(1)
	v_add_nc_u32_e32 v3, v3, v50
	v_lshlrev_b64 v[137:138], 3, v[3:4]
	v_add_co_u32 v137, s34, s54, v137
	v_add_co_ci_u32_e64 v138, null, s55, v138, s34
	s_waitcnt lgkmcnt(0)
	global_store_dwordx2 v[137:138], v[40:41], off
	s_or_b32 exec_lo, exec_lo, s35
	s_and_saveexec_b32 s34, s33
	s_cbranch_execz .LBB399_1161
.LBB399_1229:                           ;   in Loop: Header=BB399_1032 Depth=2
	v_lshlrev_b32_e32 v3, 2, v128
	ds_read_b32 v3, v3
	ds_read_b64 v[40:41], v39 offset:12800
	s_waitcnt lgkmcnt(1)
	v_add_nc_u32_e32 v3, v3, v51
	v_lshlrev_b64 v[137:138], 3, v[3:4]
	v_add_co_u32 v137, s33, s54, v137
	v_add_co_ci_u32_e64 v138, null, s55, v138, s33
	s_waitcnt lgkmcnt(0)
	global_store_dwordx2 v[137:138], v[40:41], off
	s_or_b32 exec_lo, exec_lo, s34
	s_and_saveexec_b32 s33, s31
	s_cbranch_execz .LBB399_1162
.LBB399_1230:                           ;   in Loop: Header=BB399_1032 Depth=2
	v_lshlrev_b32_e32 v3, 2, v127
	ds_read_b32 v3, v3
	ds_read_b64 v[40:41], v39 offset:14848
	s_waitcnt lgkmcnt(1)
	v_add_nc_u32_e32 v3, v3, v52
	v_lshlrev_b64 v[137:138], 3, v[3:4]
	v_add_co_u32 v137, s31, s54, v137
	v_add_co_ci_u32_e64 v138, null, s55, v138, s31
	s_waitcnt lgkmcnt(0)
	global_store_dwordx2 v[137:138], v[40:41], off
	s_or_b32 exec_lo, exec_lo, s33
	s_and_saveexec_b32 s31, s30
	s_cbranch_execz .LBB399_1163
.LBB399_1231:                           ;   in Loop: Header=BB399_1032 Depth=2
	v_lshlrev_b32_e32 v3, 2, v126
	ds_read_b32 v3, v3
	ds_read_b64 v[40:41], v39 offset:16896
	s_waitcnt lgkmcnt(1)
	v_add_nc_u32_e32 v3, v3, v53
	v_lshlrev_b64 v[137:138], 3, v[3:4]
	v_add_co_u32 v137, s30, s54, v137
	v_add_co_ci_u32_e64 v138, null, s55, v138, s30
	s_waitcnt lgkmcnt(0)
	global_store_dwordx2 v[137:138], v[40:41], off
	s_or_b32 exec_lo, exec_lo, s31
	s_and_saveexec_b32 s30, s29
	s_cbranch_execz .LBB399_1164
.LBB399_1232:                           ;   in Loop: Header=BB399_1032 Depth=2
	v_lshlrev_b32_e32 v3, 2, v125
	ds_read_b32 v3, v3
	ds_read_b64 v[40:41], v39 offset:18944
	s_waitcnt lgkmcnt(1)
	v_add_nc_u32_e32 v3, v3, v54
	v_lshlrev_b64 v[137:138], 3, v[3:4]
	v_add_co_u32 v137, s29, s54, v137
	v_add_co_ci_u32_e64 v138, null, s55, v138, s29
	s_waitcnt lgkmcnt(0)
	global_store_dwordx2 v[137:138], v[40:41], off
	s_or_b32 exec_lo, exec_lo, s30
	s_and_saveexec_b32 s29, s27
	s_cbranch_execz .LBB399_1165
.LBB399_1233:                           ;   in Loop: Header=BB399_1032 Depth=2
	v_lshlrev_b32_e32 v3, 2, v124
	ds_read_b32 v3, v3
	ds_read_b64 v[40:41], v39 offset:20992
	s_waitcnt lgkmcnt(1)
	v_add_nc_u32_e32 v3, v3, v55
	v_lshlrev_b64 v[137:138], 3, v[3:4]
	v_add_co_u32 v137, s27, s54, v137
	v_add_co_ci_u32_e64 v138, null, s55, v138, s27
	s_waitcnt lgkmcnt(0)
	global_store_dwordx2 v[137:138], v[40:41], off
	s_or_b32 exec_lo, exec_lo, s29
	s_and_saveexec_b32 s27, s26
	s_cbranch_execz .LBB399_1166
.LBB399_1234:                           ;   in Loop: Header=BB399_1032 Depth=2
	v_lshlrev_b32_e32 v3, 2, v123
	ds_read_b32 v3, v3
	ds_read_b64 v[40:41], v39 offset:23040
	s_waitcnt lgkmcnt(1)
	v_add_nc_u32_e32 v3, v3, v56
	v_lshlrev_b64 v[137:138], 3, v[3:4]
	v_add_co_u32 v137, s26, s54, v137
	v_add_co_ci_u32_e64 v138, null, s55, v138, s26
	s_waitcnt lgkmcnt(0)
	global_store_dwordx2 v[137:138], v[40:41], off
	s_or_b32 exec_lo, exec_lo, s27
	s_and_saveexec_b32 s26, s25
	s_cbranch_execz .LBB399_1167
.LBB399_1235:                           ;   in Loop: Header=BB399_1032 Depth=2
	v_lshlrev_b32_e32 v3, 2, v122
	ds_read_b32 v3, v3
	ds_read_b64 v[40:41], v39 offset:25088
	s_waitcnt lgkmcnt(1)
	v_add_nc_u32_e32 v3, v3, v57
	v_lshlrev_b64 v[137:138], 3, v[3:4]
	v_add_co_u32 v137, s25, s54, v137
	v_add_co_ci_u32_e64 v138, null, s55, v138, s25
	s_waitcnt lgkmcnt(0)
	global_store_dwordx2 v[137:138], v[40:41], off
	s_or_b32 exec_lo, exec_lo, s26
	s_and_saveexec_b32 s25, s24
	s_cbranch_execz .LBB399_1168
.LBB399_1236:                           ;   in Loop: Header=BB399_1032 Depth=2
	v_lshlrev_b32_e32 v3, 2, v121
	ds_read_b32 v3, v3
	ds_read_b64 v[40:41], v39 offset:27136
	s_waitcnt lgkmcnt(1)
	v_add_nc_u32_e32 v3, v3, v58
	v_lshlrev_b64 v[137:138], 3, v[3:4]
	v_add_co_u32 v137, s24, s54, v137
	v_add_co_ci_u32_e64 v138, null, s55, v138, s24
	s_waitcnt lgkmcnt(0)
	global_store_dwordx2 v[137:138], v[40:41], off
	s_or_b32 exec_lo, exec_lo, s25
	s_and_saveexec_b32 s24, s23
	s_cbranch_execz .LBB399_1169
.LBB399_1237:                           ;   in Loop: Header=BB399_1032 Depth=2
	v_lshlrev_b32_e32 v3, 2, v120
	ds_read_b32 v3, v3
	ds_read_b64 v[40:41], v39 offset:29184
	s_waitcnt lgkmcnt(1)
	v_add_nc_u32_e32 v3, v3, v59
	v_lshlrev_b64 v[137:138], 3, v[3:4]
	v_add_co_u32 v137, s23, s54, v137
	v_add_co_ci_u32_e64 v138, null, s55, v138, s23
	s_waitcnt lgkmcnt(0)
	global_store_dwordx2 v[137:138], v[40:41], off
	s_or_b32 exec_lo, exec_lo, s24
	s_and_saveexec_b32 s23, s22
	s_cbranch_execz .LBB399_1170
.LBB399_1238:                           ;   in Loop: Header=BB399_1032 Depth=2
	v_lshlrev_b32_e32 v3, 2, v119
	ds_read_b32 v3, v3
	ds_read_b64 v[40:41], v39 offset:31232
	s_waitcnt lgkmcnt(1)
	v_add_nc_u32_e32 v3, v3, v60
	v_lshlrev_b64 v[137:138], 3, v[3:4]
	v_add_co_u32 v137, s22, s54, v137
	v_add_co_ci_u32_e64 v138, null, s55, v138, s22
	s_waitcnt lgkmcnt(0)
	global_store_dwordx2 v[137:138], v[40:41], off
	s_or_b32 exec_lo, exec_lo, s23
	s_and_saveexec_b32 s22, vcc_lo
	s_cbranch_execnz .LBB399_1171
	s_branch .LBB399_1172
.LBB399_1239:                           ;   in Loop: Header=BB399_1032 Depth=2
	global_load_ubyte v146, v[39:40], off
	v_mov_b32_e32 v117, 0x7f
	v_mov_b32_e32 v147, 0x7f
	;; [unrolled: 1-line block ×16, first 2 shown]
	s_or_b32 exec_lo, exec_lo, s22
	s_mov_b32 s22, exec_lo
	v_cmpx_gt_u32_e64 s63, v100
	s_cbranch_execz .LBB399_1037
.LBB399_1240:                           ;   in Loop: Header=BB399_1032 Depth=2
	global_load_ubyte v147, v[39:40], off offset:32
	s_or_b32 exec_lo, exec_lo, s22
	s_mov_b32 s22, exec_lo
	v_cmpx_gt_u32_e64 s63, v101
	s_cbranch_execz .LBB399_1038
.LBB399_1241:                           ;   in Loop: Header=BB399_1032 Depth=2
	global_load_ubyte v148, v[39:40], off offset:64
	s_or_b32 exec_lo, exec_lo, s22
	s_mov_b32 s22, exec_lo
	v_cmpx_gt_u32_e64 s63, v102
	s_cbranch_execz .LBB399_1039
.LBB399_1242:                           ;   in Loop: Header=BB399_1032 Depth=2
	global_load_ubyte v151, v[39:40], off offset:96
	s_or_b32 exec_lo, exec_lo, s22
	s_mov_b32 s22, exec_lo
	v_cmpx_gt_u32_e64 s63, v103
	s_cbranch_execz .LBB399_1040
.LBB399_1243:                           ;   in Loop: Header=BB399_1032 Depth=2
	global_load_ubyte v150, v[39:40], off offset:128
	s_or_b32 exec_lo, exec_lo, s22
	s_mov_b32 s22, exec_lo
	v_cmpx_gt_u32_e64 s63, v104
	s_cbranch_execz .LBB399_1041
.LBB399_1244:                           ;   in Loop: Header=BB399_1032 Depth=2
	global_load_ubyte v143, v[39:40], off offset:160
	s_or_b32 exec_lo, exec_lo, s22
	s_mov_b32 s22, exec_lo
	v_cmpx_gt_u32_e64 s63, v105
	s_cbranch_execz .LBB399_1042
.LBB399_1245:                           ;   in Loop: Header=BB399_1032 Depth=2
	global_load_ubyte v144, v[39:40], off offset:192
	s_or_b32 exec_lo, exec_lo, s22
	s_mov_b32 s22, exec_lo
	v_cmpx_gt_u32_e64 s63, v106
	s_cbranch_execz .LBB399_1043
.LBB399_1246:                           ;   in Loop: Header=BB399_1032 Depth=2
	global_load_ubyte v145, v[39:40], off offset:224
	s_or_b32 exec_lo, exec_lo, s22
	s_mov_b32 s22, exec_lo
	v_cmpx_gt_u32_e64 s63, v107
	s_cbranch_execz .LBB399_1044
.LBB399_1247:                           ;   in Loop: Header=BB399_1032 Depth=2
	global_load_ubyte v142, v[39:40], off offset:256
	s_or_b32 exec_lo, exec_lo, s22
	s_mov_b32 s22, exec_lo
	v_cmpx_gt_u32_e64 s63, v108
	s_cbranch_execz .LBB399_1045
.LBB399_1248:                           ;   in Loop: Header=BB399_1032 Depth=2
	global_load_ubyte v139, v[39:40], off offset:288
	s_or_b32 exec_lo, exec_lo, s22
	s_mov_b32 s22, exec_lo
	v_cmpx_gt_u32_e64 s63, v109
	s_cbranch_execz .LBB399_1046
.LBB399_1249:                           ;   in Loop: Header=BB399_1032 Depth=2
	global_load_ubyte v140, v[39:40], off offset:320
	s_or_b32 exec_lo, exec_lo, s22
	s_mov_b32 s22, exec_lo
	v_cmpx_gt_u32_e64 s63, v110
	s_cbranch_execz .LBB399_1047
.LBB399_1250:                           ;   in Loop: Header=BB399_1032 Depth=2
	global_load_ubyte v141, v[39:40], off offset:352
	s_or_b32 exec_lo, exec_lo, s22
	s_mov_b32 s22, exec_lo
	v_cmpx_gt_u32_e64 s63, v111
	s_cbranch_execz .LBB399_1048
.LBB399_1251:                           ;   in Loop: Header=BB399_1032 Depth=2
	global_load_ubyte v137, v[39:40], off offset:384
	s_or_b32 exec_lo, exec_lo, s22
	s_mov_b32 s22, exec_lo
	v_cmpx_gt_u32_e64 s63, v112
	s_cbranch_execz .LBB399_1049
.LBB399_1252:                           ;   in Loop: Header=BB399_1032 Depth=2
	global_load_ubyte v3, v[39:40], off offset:416
	s_or_b32 exec_lo, exec_lo, s22
	s_mov_b32 s22, exec_lo
	v_cmpx_gt_u32_e64 s63, v113
	s_cbranch_execz .LBB399_1050
.LBB399_1253:                           ;   in Loop: Header=BB399_1032 Depth=2
	global_load_ubyte v41, v[39:40], off offset:448
	s_or_b32 exec_lo, exec_lo, s22
	s_mov_b32 s22, exec_lo
	v_cmpx_gt_u32_e64 s63, v114
	s_cbranch_execnz .LBB399_1051
	s_branch .LBB399_1052
.LBB399_1254:
	s_endpgm
	.section	.rodata,"a",@progbits
	.p2align	6, 0x0
	.amdhsa_kernel _ZN7rocprim17ROCPRIM_400000_NS6detail17trampoline_kernelINS0_14default_configENS1_36segmented_radix_sort_config_selectorIalEEZNS1_25segmented_radix_sort_implIS3_Lb0EPKaPaPKlPlN2at6native12_GLOBAL__N_18offset_tEEE10hipError_tPvRmT1_PNSt15iterator_traitsISK_E10value_typeET2_T3_PNSL_ISQ_E10value_typeET4_jRbjT5_SW_jjP12ihipStream_tbEUlT_E_NS1_11comp_targetILNS1_3genE8ELNS1_11target_archE1030ELNS1_3gpuE2ELNS1_3repE0EEENS1_30default_config_static_selectorELNS0_4arch9wavefront6targetE0EEEvSK_
		.amdhsa_group_segment_fixed_size 35344
		.amdhsa_private_segment_fixed_size 240
		.amdhsa_kernarg_size 352
		.amdhsa_user_sgpr_count 6
		.amdhsa_user_sgpr_private_segment_buffer 1
		.amdhsa_user_sgpr_dispatch_ptr 0
		.amdhsa_user_sgpr_queue_ptr 0
		.amdhsa_user_sgpr_kernarg_segment_ptr 1
		.amdhsa_user_sgpr_dispatch_id 0
		.amdhsa_user_sgpr_flat_scratch_init 0
		.amdhsa_user_sgpr_private_segment_size 0
		.amdhsa_wavefront_size32 1
		.amdhsa_uses_dynamic_stack 0
		.amdhsa_system_sgpr_private_segment_wavefront_offset 1
		.amdhsa_system_sgpr_workgroup_id_x 1
		.amdhsa_system_sgpr_workgroup_id_y 1
		.amdhsa_system_sgpr_workgroup_id_z 0
		.amdhsa_system_sgpr_workgroup_info 0
		.amdhsa_system_vgpr_workitem_id 2
		.amdhsa_next_free_vgpr 248
		.amdhsa_next_free_sgpr 68
		.amdhsa_reserve_vcc 1
		.amdhsa_reserve_flat_scratch 0
		.amdhsa_float_round_mode_32 0
		.amdhsa_float_round_mode_16_64 0
		.amdhsa_float_denorm_mode_32 3
		.amdhsa_float_denorm_mode_16_64 3
		.amdhsa_dx10_clamp 1
		.amdhsa_ieee_mode 1
		.amdhsa_fp16_overflow 0
		.amdhsa_workgroup_processor_mode 1
		.amdhsa_memory_ordered 1
		.amdhsa_forward_progress 1
		.amdhsa_shared_vgpr_count 0
		.amdhsa_exception_fp_ieee_invalid_op 0
		.amdhsa_exception_fp_denorm_src 0
		.amdhsa_exception_fp_ieee_div_zero 0
		.amdhsa_exception_fp_ieee_overflow 0
		.amdhsa_exception_fp_ieee_underflow 0
		.amdhsa_exception_fp_ieee_inexact 0
		.amdhsa_exception_int_div_zero 0
	.end_amdhsa_kernel
	.section	.text._ZN7rocprim17ROCPRIM_400000_NS6detail17trampoline_kernelINS0_14default_configENS1_36segmented_radix_sort_config_selectorIalEEZNS1_25segmented_radix_sort_implIS3_Lb0EPKaPaPKlPlN2at6native12_GLOBAL__N_18offset_tEEE10hipError_tPvRmT1_PNSt15iterator_traitsISK_E10value_typeET2_T3_PNSL_ISQ_E10value_typeET4_jRbjT5_SW_jjP12ihipStream_tbEUlT_E_NS1_11comp_targetILNS1_3genE8ELNS1_11target_archE1030ELNS1_3gpuE2ELNS1_3repE0EEENS1_30default_config_static_selectorELNS0_4arch9wavefront6targetE0EEEvSK_,"axG",@progbits,_ZN7rocprim17ROCPRIM_400000_NS6detail17trampoline_kernelINS0_14default_configENS1_36segmented_radix_sort_config_selectorIalEEZNS1_25segmented_radix_sort_implIS3_Lb0EPKaPaPKlPlN2at6native12_GLOBAL__N_18offset_tEEE10hipError_tPvRmT1_PNSt15iterator_traitsISK_E10value_typeET2_T3_PNSL_ISQ_E10value_typeET4_jRbjT5_SW_jjP12ihipStream_tbEUlT_E_NS1_11comp_targetILNS1_3genE8ELNS1_11target_archE1030ELNS1_3gpuE2ELNS1_3repE0EEENS1_30default_config_static_selectorELNS0_4arch9wavefront6targetE0EEEvSK_,comdat
.Lfunc_end399:
	.size	_ZN7rocprim17ROCPRIM_400000_NS6detail17trampoline_kernelINS0_14default_configENS1_36segmented_radix_sort_config_selectorIalEEZNS1_25segmented_radix_sort_implIS3_Lb0EPKaPaPKlPlN2at6native12_GLOBAL__N_18offset_tEEE10hipError_tPvRmT1_PNSt15iterator_traitsISK_E10value_typeET2_T3_PNSL_ISQ_E10value_typeET4_jRbjT5_SW_jjP12ihipStream_tbEUlT_E_NS1_11comp_targetILNS1_3genE8ELNS1_11target_archE1030ELNS1_3gpuE2ELNS1_3repE0EEENS1_30default_config_static_selectorELNS0_4arch9wavefront6targetE0EEEvSK_, .Lfunc_end399-_ZN7rocprim17ROCPRIM_400000_NS6detail17trampoline_kernelINS0_14default_configENS1_36segmented_radix_sort_config_selectorIalEEZNS1_25segmented_radix_sort_implIS3_Lb0EPKaPaPKlPlN2at6native12_GLOBAL__N_18offset_tEEE10hipError_tPvRmT1_PNSt15iterator_traitsISK_E10value_typeET2_T3_PNSL_ISQ_E10value_typeET4_jRbjT5_SW_jjP12ihipStream_tbEUlT_E_NS1_11comp_targetILNS1_3genE8ELNS1_11target_archE1030ELNS1_3gpuE2ELNS1_3repE0EEENS1_30default_config_static_selectorELNS0_4arch9wavefront6targetE0EEEvSK_
                                        ; -- End function
	.set _ZN7rocprim17ROCPRIM_400000_NS6detail17trampoline_kernelINS0_14default_configENS1_36segmented_radix_sort_config_selectorIalEEZNS1_25segmented_radix_sort_implIS3_Lb0EPKaPaPKlPlN2at6native12_GLOBAL__N_18offset_tEEE10hipError_tPvRmT1_PNSt15iterator_traitsISK_E10value_typeET2_T3_PNSL_ISQ_E10value_typeET4_jRbjT5_SW_jjP12ihipStream_tbEUlT_E_NS1_11comp_targetILNS1_3genE8ELNS1_11target_archE1030ELNS1_3gpuE2ELNS1_3repE0EEENS1_30default_config_static_selectorELNS0_4arch9wavefront6targetE0EEEvSK_.num_vgpr, max(205, .L_ZN7rocprim17ROCPRIM_400000_NS6detail40segmented_radix_sort_single_block_helperIalLj256ELj17ELb0EE4sortIPKaPaPKlPlEEbT_T0_T1_T2_jjjjRNS3_12storage_typeE.num_vgpr)
	.set _ZN7rocprim17ROCPRIM_400000_NS6detail17trampoline_kernelINS0_14default_configENS1_36segmented_radix_sort_config_selectorIalEEZNS1_25segmented_radix_sort_implIS3_Lb0EPKaPaPKlPlN2at6native12_GLOBAL__N_18offset_tEEE10hipError_tPvRmT1_PNSt15iterator_traitsISK_E10value_typeET2_T3_PNSL_ISQ_E10value_typeET4_jRbjT5_SW_jjP12ihipStream_tbEUlT_E_NS1_11comp_targetILNS1_3genE8ELNS1_11target_archE1030ELNS1_3gpuE2ELNS1_3repE0EEENS1_30default_config_static_selectorELNS0_4arch9wavefront6targetE0EEEvSK_.num_agpr, max(0, .L_ZN7rocprim17ROCPRIM_400000_NS6detail40segmented_radix_sort_single_block_helperIalLj256ELj17ELb0EE4sortIPKaPaPKlPlEEbT_T0_T1_T2_jjjjRNS3_12storage_typeE.num_agpr)
	.set _ZN7rocprim17ROCPRIM_400000_NS6detail17trampoline_kernelINS0_14default_configENS1_36segmented_radix_sort_config_selectorIalEEZNS1_25segmented_radix_sort_implIS3_Lb0EPKaPaPKlPlN2at6native12_GLOBAL__N_18offset_tEEE10hipError_tPvRmT1_PNSt15iterator_traitsISK_E10value_typeET2_T3_PNSL_ISQ_E10value_typeET4_jRbjT5_SW_jjP12ihipStream_tbEUlT_E_NS1_11comp_targetILNS1_3genE8ELNS1_11target_archE1030ELNS1_3gpuE2ELNS1_3repE0EEENS1_30default_config_static_selectorELNS0_4arch9wavefront6targetE0EEEvSK_.numbered_sgpr, max(68, .L_ZN7rocprim17ROCPRIM_400000_NS6detail40segmented_radix_sort_single_block_helperIalLj256ELj17ELb0EE4sortIPKaPaPKlPlEEbT_T0_T1_T2_jjjjRNS3_12storage_typeE.numbered_sgpr)
	.set _ZN7rocprim17ROCPRIM_400000_NS6detail17trampoline_kernelINS0_14default_configENS1_36segmented_radix_sort_config_selectorIalEEZNS1_25segmented_radix_sort_implIS3_Lb0EPKaPaPKlPlN2at6native12_GLOBAL__N_18offset_tEEE10hipError_tPvRmT1_PNSt15iterator_traitsISK_E10value_typeET2_T3_PNSL_ISQ_E10value_typeET4_jRbjT5_SW_jjP12ihipStream_tbEUlT_E_NS1_11comp_targetILNS1_3genE8ELNS1_11target_archE1030ELNS1_3gpuE2ELNS1_3repE0EEENS1_30default_config_static_selectorELNS0_4arch9wavefront6targetE0EEEvSK_.num_named_barrier, max(0, .L_ZN7rocprim17ROCPRIM_400000_NS6detail40segmented_radix_sort_single_block_helperIalLj256ELj17ELb0EE4sortIPKaPaPKlPlEEbT_T0_T1_T2_jjjjRNS3_12storage_typeE.num_named_barrier)
	.set _ZN7rocprim17ROCPRIM_400000_NS6detail17trampoline_kernelINS0_14default_configENS1_36segmented_radix_sort_config_selectorIalEEZNS1_25segmented_radix_sort_implIS3_Lb0EPKaPaPKlPlN2at6native12_GLOBAL__N_18offset_tEEE10hipError_tPvRmT1_PNSt15iterator_traitsISK_E10value_typeET2_T3_PNSL_ISQ_E10value_typeET4_jRbjT5_SW_jjP12ihipStream_tbEUlT_E_NS1_11comp_targetILNS1_3genE8ELNS1_11target_archE1030ELNS1_3gpuE2ELNS1_3repE0EEENS1_30default_config_static_selectorELNS0_4arch9wavefront6targetE0EEEvSK_.private_seg_size, 0+max(.L_ZN7rocprim17ROCPRIM_400000_NS6detail40segmented_radix_sort_single_block_helperIalLj256ELj17ELb0EE4sortIPKaPaPKlPlEEbT_T0_T1_T2_jjjjRNS3_12storage_typeE.private_seg_size)
	.set _ZN7rocprim17ROCPRIM_400000_NS6detail17trampoline_kernelINS0_14default_configENS1_36segmented_radix_sort_config_selectorIalEEZNS1_25segmented_radix_sort_implIS3_Lb0EPKaPaPKlPlN2at6native12_GLOBAL__N_18offset_tEEE10hipError_tPvRmT1_PNSt15iterator_traitsISK_E10value_typeET2_T3_PNSL_ISQ_E10value_typeET4_jRbjT5_SW_jjP12ihipStream_tbEUlT_E_NS1_11comp_targetILNS1_3genE8ELNS1_11target_archE1030ELNS1_3gpuE2ELNS1_3repE0EEENS1_30default_config_static_selectorELNS0_4arch9wavefront6targetE0EEEvSK_.uses_vcc, or(1, .L_ZN7rocprim17ROCPRIM_400000_NS6detail40segmented_radix_sort_single_block_helperIalLj256ELj17ELb0EE4sortIPKaPaPKlPlEEbT_T0_T1_T2_jjjjRNS3_12storage_typeE.uses_vcc)
	.set _ZN7rocprim17ROCPRIM_400000_NS6detail17trampoline_kernelINS0_14default_configENS1_36segmented_radix_sort_config_selectorIalEEZNS1_25segmented_radix_sort_implIS3_Lb0EPKaPaPKlPlN2at6native12_GLOBAL__N_18offset_tEEE10hipError_tPvRmT1_PNSt15iterator_traitsISK_E10value_typeET2_T3_PNSL_ISQ_E10value_typeET4_jRbjT5_SW_jjP12ihipStream_tbEUlT_E_NS1_11comp_targetILNS1_3genE8ELNS1_11target_archE1030ELNS1_3gpuE2ELNS1_3repE0EEENS1_30default_config_static_selectorELNS0_4arch9wavefront6targetE0EEEvSK_.uses_flat_scratch, or(0, .L_ZN7rocprim17ROCPRIM_400000_NS6detail40segmented_radix_sort_single_block_helperIalLj256ELj17ELb0EE4sortIPKaPaPKlPlEEbT_T0_T1_T2_jjjjRNS3_12storage_typeE.uses_flat_scratch)
	.set _ZN7rocprim17ROCPRIM_400000_NS6detail17trampoline_kernelINS0_14default_configENS1_36segmented_radix_sort_config_selectorIalEEZNS1_25segmented_radix_sort_implIS3_Lb0EPKaPaPKlPlN2at6native12_GLOBAL__N_18offset_tEEE10hipError_tPvRmT1_PNSt15iterator_traitsISK_E10value_typeET2_T3_PNSL_ISQ_E10value_typeET4_jRbjT5_SW_jjP12ihipStream_tbEUlT_E_NS1_11comp_targetILNS1_3genE8ELNS1_11target_archE1030ELNS1_3gpuE2ELNS1_3repE0EEENS1_30default_config_static_selectorELNS0_4arch9wavefront6targetE0EEEvSK_.has_dyn_sized_stack, or(0, .L_ZN7rocprim17ROCPRIM_400000_NS6detail40segmented_radix_sort_single_block_helperIalLj256ELj17ELb0EE4sortIPKaPaPKlPlEEbT_T0_T1_T2_jjjjRNS3_12storage_typeE.has_dyn_sized_stack)
	.set _ZN7rocprim17ROCPRIM_400000_NS6detail17trampoline_kernelINS0_14default_configENS1_36segmented_radix_sort_config_selectorIalEEZNS1_25segmented_radix_sort_implIS3_Lb0EPKaPaPKlPlN2at6native12_GLOBAL__N_18offset_tEEE10hipError_tPvRmT1_PNSt15iterator_traitsISK_E10value_typeET2_T3_PNSL_ISQ_E10value_typeET4_jRbjT5_SW_jjP12ihipStream_tbEUlT_E_NS1_11comp_targetILNS1_3genE8ELNS1_11target_archE1030ELNS1_3gpuE2ELNS1_3repE0EEENS1_30default_config_static_selectorELNS0_4arch9wavefront6targetE0EEEvSK_.has_recursion, or(0, .L_ZN7rocprim17ROCPRIM_400000_NS6detail40segmented_radix_sort_single_block_helperIalLj256ELj17ELb0EE4sortIPKaPaPKlPlEEbT_T0_T1_T2_jjjjRNS3_12storage_typeE.has_recursion)
	.set _ZN7rocprim17ROCPRIM_400000_NS6detail17trampoline_kernelINS0_14default_configENS1_36segmented_radix_sort_config_selectorIalEEZNS1_25segmented_radix_sort_implIS3_Lb0EPKaPaPKlPlN2at6native12_GLOBAL__N_18offset_tEEE10hipError_tPvRmT1_PNSt15iterator_traitsISK_E10value_typeET2_T3_PNSL_ISQ_E10value_typeET4_jRbjT5_SW_jjP12ihipStream_tbEUlT_E_NS1_11comp_targetILNS1_3genE8ELNS1_11target_archE1030ELNS1_3gpuE2ELNS1_3repE0EEENS1_30default_config_static_selectorELNS0_4arch9wavefront6targetE0EEEvSK_.has_indirect_call, or(0, .L_ZN7rocprim17ROCPRIM_400000_NS6detail40segmented_radix_sort_single_block_helperIalLj256ELj17ELb0EE4sortIPKaPaPKlPlEEbT_T0_T1_T2_jjjjRNS3_12storage_typeE.has_indirect_call)
	.section	.AMDGPU.csdata,"",@progbits
; Kernel info:
; codeLenInByte = 66304
; TotalNumSgprs: 70
; NumVgprs: 248
; ScratchSize: 240
; MemoryBound: 0
; FloatMode: 240
; IeeeMode: 1
; LDSByteSize: 35344 bytes/workgroup (compile time only)
; SGPRBlocks: 0
; VGPRBlocks: 30
; NumSGPRsForWavesPerEU: 70
; NumVGPRsForWavesPerEU: 248
; Occupancy: 4
; WaveLimiterHint : 1
; COMPUTE_PGM_RSRC2:SCRATCH_EN: 1
; COMPUTE_PGM_RSRC2:USER_SGPR: 6
; COMPUTE_PGM_RSRC2:TRAP_HANDLER: 0
; COMPUTE_PGM_RSRC2:TGID_X_EN: 1
; COMPUTE_PGM_RSRC2:TGID_Y_EN: 1
; COMPUTE_PGM_RSRC2:TGID_Z_EN: 0
; COMPUTE_PGM_RSRC2:TIDIG_COMP_CNT: 2
	.section	.text._ZN7rocprim17ROCPRIM_400000_NS6detail17trampoline_kernelINS0_14default_configENS1_36segmented_radix_sort_config_selectorIalEEZNS1_25segmented_radix_sort_implIS3_Lb0EPKaPaPKlPlN2at6native12_GLOBAL__N_18offset_tEEE10hipError_tPvRmT1_PNSt15iterator_traitsISK_E10value_typeET2_T3_PNSL_ISQ_E10value_typeET4_jRbjT5_SW_jjP12ihipStream_tbEUlT_E0_NS1_11comp_targetILNS1_3genE0ELNS1_11target_archE4294967295ELNS1_3gpuE0ELNS1_3repE0EEENS1_60segmented_radix_sort_warp_sort_medium_config_static_selectorELNS0_4arch9wavefront6targetE0EEEvSK_,"axG",@progbits,_ZN7rocprim17ROCPRIM_400000_NS6detail17trampoline_kernelINS0_14default_configENS1_36segmented_radix_sort_config_selectorIalEEZNS1_25segmented_radix_sort_implIS3_Lb0EPKaPaPKlPlN2at6native12_GLOBAL__N_18offset_tEEE10hipError_tPvRmT1_PNSt15iterator_traitsISK_E10value_typeET2_T3_PNSL_ISQ_E10value_typeET4_jRbjT5_SW_jjP12ihipStream_tbEUlT_E0_NS1_11comp_targetILNS1_3genE0ELNS1_11target_archE4294967295ELNS1_3gpuE0ELNS1_3repE0EEENS1_60segmented_radix_sort_warp_sort_medium_config_static_selectorELNS0_4arch9wavefront6targetE0EEEvSK_,comdat
	.globl	_ZN7rocprim17ROCPRIM_400000_NS6detail17trampoline_kernelINS0_14default_configENS1_36segmented_radix_sort_config_selectorIalEEZNS1_25segmented_radix_sort_implIS3_Lb0EPKaPaPKlPlN2at6native12_GLOBAL__N_18offset_tEEE10hipError_tPvRmT1_PNSt15iterator_traitsISK_E10value_typeET2_T3_PNSL_ISQ_E10value_typeET4_jRbjT5_SW_jjP12ihipStream_tbEUlT_E0_NS1_11comp_targetILNS1_3genE0ELNS1_11target_archE4294967295ELNS1_3gpuE0ELNS1_3repE0EEENS1_60segmented_radix_sort_warp_sort_medium_config_static_selectorELNS0_4arch9wavefront6targetE0EEEvSK_ ; -- Begin function _ZN7rocprim17ROCPRIM_400000_NS6detail17trampoline_kernelINS0_14default_configENS1_36segmented_radix_sort_config_selectorIalEEZNS1_25segmented_radix_sort_implIS3_Lb0EPKaPaPKlPlN2at6native12_GLOBAL__N_18offset_tEEE10hipError_tPvRmT1_PNSt15iterator_traitsISK_E10value_typeET2_T3_PNSL_ISQ_E10value_typeET4_jRbjT5_SW_jjP12ihipStream_tbEUlT_E0_NS1_11comp_targetILNS1_3genE0ELNS1_11target_archE4294967295ELNS1_3gpuE0ELNS1_3repE0EEENS1_60segmented_radix_sort_warp_sort_medium_config_static_selectorELNS0_4arch9wavefront6targetE0EEEvSK_
	.p2align	8
	.type	_ZN7rocprim17ROCPRIM_400000_NS6detail17trampoline_kernelINS0_14default_configENS1_36segmented_radix_sort_config_selectorIalEEZNS1_25segmented_radix_sort_implIS3_Lb0EPKaPaPKlPlN2at6native12_GLOBAL__N_18offset_tEEE10hipError_tPvRmT1_PNSt15iterator_traitsISK_E10value_typeET2_T3_PNSL_ISQ_E10value_typeET4_jRbjT5_SW_jjP12ihipStream_tbEUlT_E0_NS1_11comp_targetILNS1_3genE0ELNS1_11target_archE4294967295ELNS1_3gpuE0ELNS1_3repE0EEENS1_60segmented_radix_sort_warp_sort_medium_config_static_selectorELNS0_4arch9wavefront6targetE0EEEvSK_,@function
_ZN7rocprim17ROCPRIM_400000_NS6detail17trampoline_kernelINS0_14default_configENS1_36segmented_radix_sort_config_selectorIalEEZNS1_25segmented_radix_sort_implIS3_Lb0EPKaPaPKlPlN2at6native12_GLOBAL__N_18offset_tEEE10hipError_tPvRmT1_PNSt15iterator_traitsISK_E10value_typeET2_T3_PNSL_ISQ_E10value_typeET4_jRbjT5_SW_jjP12ihipStream_tbEUlT_E0_NS1_11comp_targetILNS1_3genE0ELNS1_11target_archE4294967295ELNS1_3gpuE0ELNS1_3repE0EEENS1_60segmented_radix_sort_warp_sort_medium_config_static_selectorELNS0_4arch9wavefront6targetE0EEEvSK_: ; @_ZN7rocprim17ROCPRIM_400000_NS6detail17trampoline_kernelINS0_14default_configENS1_36segmented_radix_sort_config_selectorIalEEZNS1_25segmented_radix_sort_implIS3_Lb0EPKaPaPKlPlN2at6native12_GLOBAL__N_18offset_tEEE10hipError_tPvRmT1_PNSt15iterator_traitsISK_E10value_typeET2_T3_PNSL_ISQ_E10value_typeET4_jRbjT5_SW_jjP12ihipStream_tbEUlT_E0_NS1_11comp_targetILNS1_3genE0ELNS1_11target_archE4294967295ELNS1_3gpuE0ELNS1_3repE0EEENS1_60segmented_radix_sort_warp_sort_medium_config_static_selectorELNS0_4arch9wavefront6targetE0EEEvSK_
; %bb.0:
	.section	.rodata,"a",@progbits
	.p2align	6, 0x0
	.amdhsa_kernel _ZN7rocprim17ROCPRIM_400000_NS6detail17trampoline_kernelINS0_14default_configENS1_36segmented_radix_sort_config_selectorIalEEZNS1_25segmented_radix_sort_implIS3_Lb0EPKaPaPKlPlN2at6native12_GLOBAL__N_18offset_tEEE10hipError_tPvRmT1_PNSt15iterator_traitsISK_E10value_typeET2_T3_PNSL_ISQ_E10value_typeET4_jRbjT5_SW_jjP12ihipStream_tbEUlT_E0_NS1_11comp_targetILNS1_3genE0ELNS1_11target_archE4294967295ELNS1_3gpuE0ELNS1_3repE0EEENS1_60segmented_radix_sort_warp_sort_medium_config_static_selectorELNS0_4arch9wavefront6targetE0EEEvSK_
		.amdhsa_group_segment_fixed_size 0
		.amdhsa_private_segment_fixed_size 0
		.amdhsa_kernarg_size 88
		.amdhsa_user_sgpr_count 6
		.amdhsa_user_sgpr_private_segment_buffer 1
		.amdhsa_user_sgpr_dispatch_ptr 0
		.amdhsa_user_sgpr_queue_ptr 0
		.amdhsa_user_sgpr_kernarg_segment_ptr 1
		.amdhsa_user_sgpr_dispatch_id 0
		.amdhsa_user_sgpr_flat_scratch_init 0
		.amdhsa_user_sgpr_private_segment_size 0
		.amdhsa_wavefront_size32 1
		.amdhsa_uses_dynamic_stack 0
		.amdhsa_system_sgpr_private_segment_wavefront_offset 0
		.amdhsa_system_sgpr_workgroup_id_x 1
		.amdhsa_system_sgpr_workgroup_id_y 0
		.amdhsa_system_sgpr_workgroup_id_z 0
		.amdhsa_system_sgpr_workgroup_info 0
		.amdhsa_system_vgpr_workitem_id 0
		.amdhsa_next_free_vgpr 1
		.amdhsa_next_free_sgpr 1
		.amdhsa_reserve_vcc 0
		.amdhsa_reserve_flat_scratch 0
		.amdhsa_float_round_mode_32 0
		.amdhsa_float_round_mode_16_64 0
		.amdhsa_float_denorm_mode_32 3
		.amdhsa_float_denorm_mode_16_64 3
		.amdhsa_dx10_clamp 1
		.amdhsa_ieee_mode 1
		.amdhsa_fp16_overflow 0
		.amdhsa_workgroup_processor_mode 1
		.amdhsa_memory_ordered 1
		.amdhsa_forward_progress 1
		.amdhsa_shared_vgpr_count 0
		.amdhsa_exception_fp_ieee_invalid_op 0
		.amdhsa_exception_fp_denorm_src 0
		.amdhsa_exception_fp_ieee_div_zero 0
		.amdhsa_exception_fp_ieee_overflow 0
		.amdhsa_exception_fp_ieee_underflow 0
		.amdhsa_exception_fp_ieee_inexact 0
		.amdhsa_exception_int_div_zero 0
	.end_amdhsa_kernel
	.section	.text._ZN7rocprim17ROCPRIM_400000_NS6detail17trampoline_kernelINS0_14default_configENS1_36segmented_radix_sort_config_selectorIalEEZNS1_25segmented_radix_sort_implIS3_Lb0EPKaPaPKlPlN2at6native12_GLOBAL__N_18offset_tEEE10hipError_tPvRmT1_PNSt15iterator_traitsISK_E10value_typeET2_T3_PNSL_ISQ_E10value_typeET4_jRbjT5_SW_jjP12ihipStream_tbEUlT_E0_NS1_11comp_targetILNS1_3genE0ELNS1_11target_archE4294967295ELNS1_3gpuE0ELNS1_3repE0EEENS1_60segmented_radix_sort_warp_sort_medium_config_static_selectorELNS0_4arch9wavefront6targetE0EEEvSK_,"axG",@progbits,_ZN7rocprim17ROCPRIM_400000_NS6detail17trampoline_kernelINS0_14default_configENS1_36segmented_radix_sort_config_selectorIalEEZNS1_25segmented_radix_sort_implIS3_Lb0EPKaPaPKlPlN2at6native12_GLOBAL__N_18offset_tEEE10hipError_tPvRmT1_PNSt15iterator_traitsISK_E10value_typeET2_T3_PNSL_ISQ_E10value_typeET4_jRbjT5_SW_jjP12ihipStream_tbEUlT_E0_NS1_11comp_targetILNS1_3genE0ELNS1_11target_archE4294967295ELNS1_3gpuE0ELNS1_3repE0EEENS1_60segmented_radix_sort_warp_sort_medium_config_static_selectorELNS0_4arch9wavefront6targetE0EEEvSK_,comdat
.Lfunc_end400:
	.size	_ZN7rocprim17ROCPRIM_400000_NS6detail17trampoline_kernelINS0_14default_configENS1_36segmented_radix_sort_config_selectorIalEEZNS1_25segmented_radix_sort_implIS3_Lb0EPKaPaPKlPlN2at6native12_GLOBAL__N_18offset_tEEE10hipError_tPvRmT1_PNSt15iterator_traitsISK_E10value_typeET2_T3_PNSL_ISQ_E10value_typeET4_jRbjT5_SW_jjP12ihipStream_tbEUlT_E0_NS1_11comp_targetILNS1_3genE0ELNS1_11target_archE4294967295ELNS1_3gpuE0ELNS1_3repE0EEENS1_60segmented_radix_sort_warp_sort_medium_config_static_selectorELNS0_4arch9wavefront6targetE0EEEvSK_, .Lfunc_end400-_ZN7rocprim17ROCPRIM_400000_NS6detail17trampoline_kernelINS0_14default_configENS1_36segmented_radix_sort_config_selectorIalEEZNS1_25segmented_radix_sort_implIS3_Lb0EPKaPaPKlPlN2at6native12_GLOBAL__N_18offset_tEEE10hipError_tPvRmT1_PNSt15iterator_traitsISK_E10value_typeET2_T3_PNSL_ISQ_E10value_typeET4_jRbjT5_SW_jjP12ihipStream_tbEUlT_E0_NS1_11comp_targetILNS1_3genE0ELNS1_11target_archE4294967295ELNS1_3gpuE0ELNS1_3repE0EEENS1_60segmented_radix_sort_warp_sort_medium_config_static_selectorELNS0_4arch9wavefront6targetE0EEEvSK_
                                        ; -- End function
	.set _ZN7rocprim17ROCPRIM_400000_NS6detail17trampoline_kernelINS0_14default_configENS1_36segmented_radix_sort_config_selectorIalEEZNS1_25segmented_radix_sort_implIS3_Lb0EPKaPaPKlPlN2at6native12_GLOBAL__N_18offset_tEEE10hipError_tPvRmT1_PNSt15iterator_traitsISK_E10value_typeET2_T3_PNSL_ISQ_E10value_typeET4_jRbjT5_SW_jjP12ihipStream_tbEUlT_E0_NS1_11comp_targetILNS1_3genE0ELNS1_11target_archE4294967295ELNS1_3gpuE0ELNS1_3repE0EEENS1_60segmented_radix_sort_warp_sort_medium_config_static_selectorELNS0_4arch9wavefront6targetE0EEEvSK_.num_vgpr, 0
	.set _ZN7rocprim17ROCPRIM_400000_NS6detail17trampoline_kernelINS0_14default_configENS1_36segmented_radix_sort_config_selectorIalEEZNS1_25segmented_radix_sort_implIS3_Lb0EPKaPaPKlPlN2at6native12_GLOBAL__N_18offset_tEEE10hipError_tPvRmT1_PNSt15iterator_traitsISK_E10value_typeET2_T3_PNSL_ISQ_E10value_typeET4_jRbjT5_SW_jjP12ihipStream_tbEUlT_E0_NS1_11comp_targetILNS1_3genE0ELNS1_11target_archE4294967295ELNS1_3gpuE0ELNS1_3repE0EEENS1_60segmented_radix_sort_warp_sort_medium_config_static_selectorELNS0_4arch9wavefront6targetE0EEEvSK_.num_agpr, 0
	.set _ZN7rocprim17ROCPRIM_400000_NS6detail17trampoline_kernelINS0_14default_configENS1_36segmented_radix_sort_config_selectorIalEEZNS1_25segmented_radix_sort_implIS3_Lb0EPKaPaPKlPlN2at6native12_GLOBAL__N_18offset_tEEE10hipError_tPvRmT1_PNSt15iterator_traitsISK_E10value_typeET2_T3_PNSL_ISQ_E10value_typeET4_jRbjT5_SW_jjP12ihipStream_tbEUlT_E0_NS1_11comp_targetILNS1_3genE0ELNS1_11target_archE4294967295ELNS1_3gpuE0ELNS1_3repE0EEENS1_60segmented_radix_sort_warp_sort_medium_config_static_selectorELNS0_4arch9wavefront6targetE0EEEvSK_.numbered_sgpr, 0
	.set _ZN7rocprim17ROCPRIM_400000_NS6detail17trampoline_kernelINS0_14default_configENS1_36segmented_radix_sort_config_selectorIalEEZNS1_25segmented_radix_sort_implIS3_Lb0EPKaPaPKlPlN2at6native12_GLOBAL__N_18offset_tEEE10hipError_tPvRmT1_PNSt15iterator_traitsISK_E10value_typeET2_T3_PNSL_ISQ_E10value_typeET4_jRbjT5_SW_jjP12ihipStream_tbEUlT_E0_NS1_11comp_targetILNS1_3genE0ELNS1_11target_archE4294967295ELNS1_3gpuE0ELNS1_3repE0EEENS1_60segmented_radix_sort_warp_sort_medium_config_static_selectorELNS0_4arch9wavefront6targetE0EEEvSK_.num_named_barrier, 0
	.set _ZN7rocprim17ROCPRIM_400000_NS6detail17trampoline_kernelINS0_14default_configENS1_36segmented_radix_sort_config_selectorIalEEZNS1_25segmented_radix_sort_implIS3_Lb0EPKaPaPKlPlN2at6native12_GLOBAL__N_18offset_tEEE10hipError_tPvRmT1_PNSt15iterator_traitsISK_E10value_typeET2_T3_PNSL_ISQ_E10value_typeET4_jRbjT5_SW_jjP12ihipStream_tbEUlT_E0_NS1_11comp_targetILNS1_3genE0ELNS1_11target_archE4294967295ELNS1_3gpuE0ELNS1_3repE0EEENS1_60segmented_radix_sort_warp_sort_medium_config_static_selectorELNS0_4arch9wavefront6targetE0EEEvSK_.private_seg_size, 0
	.set _ZN7rocprim17ROCPRIM_400000_NS6detail17trampoline_kernelINS0_14default_configENS1_36segmented_radix_sort_config_selectorIalEEZNS1_25segmented_radix_sort_implIS3_Lb0EPKaPaPKlPlN2at6native12_GLOBAL__N_18offset_tEEE10hipError_tPvRmT1_PNSt15iterator_traitsISK_E10value_typeET2_T3_PNSL_ISQ_E10value_typeET4_jRbjT5_SW_jjP12ihipStream_tbEUlT_E0_NS1_11comp_targetILNS1_3genE0ELNS1_11target_archE4294967295ELNS1_3gpuE0ELNS1_3repE0EEENS1_60segmented_radix_sort_warp_sort_medium_config_static_selectorELNS0_4arch9wavefront6targetE0EEEvSK_.uses_vcc, 0
	.set _ZN7rocprim17ROCPRIM_400000_NS6detail17trampoline_kernelINS0_14default_configENS1_36segmented_radix_sort_config_selectorIalEEZNS1_25segmented_radix_sort_implIS3_Lb0EPKaPaPKlPlN2at6native12_GLOBAL__N_18offset_tEEE10hipError_tPvRmT1_PNSt15iterator_traitsISK_E10value_typeET2_T3_PNSL_ISQ_E10value_typeET4_jRbjT5_SW_jjP12ihipStream_tbEUlT_E0_NS1_11comp_targetILNS1_3genE0ELNS1_11target_archE4294967295ELNS1_3gpuE0ELNS1_3repE0EEENS1_60segmented_radix_sort_warp_sort_medium_config_static_selectorELNS0_4arch9wavefront6targetE0EEEvSK_.uses_flat_scratch, 0
	.set _ZN7rocprim17ROCPRIM_400000_NS6detail17trampoline_kernelINS0_14default_configENS1_36segmented_radix_sort_config_selectorIalEEZNS1_25segmented_radix_sort_implIS3_Lb0EPKaPaPKlPlN2at6native12_GLOBAL__N_18offset_tEEE10hipError_tPvRmT1_PNSt15iterator_traitsISK_E10value_typeET2_T3_PNSL_ISQ_E10value_typeET4_jRbjT5_SW_jjP12ihipStream_tbEUlT_E0_NS1_11comp_targetILNS1_3genE0ELNS1_11target_archE4294967295ELNS1_3gpuE0ELNS1_3repE0EEENS1_60segmented_radix_sort_warp_sort_medium_config_static_selectorELNS0_4arch9wavefront6targetE0EEEvSK_.has_dyn_sized_stack, 0
	.set _ZN7rocprim17ROCPRIM_400000_NS6detail17trampoline_kernelINS0_14default_configENS1_36segmented_radix_sort_config_selectorIalEEZNS1_25segmented_radix_sort_implIS3_Lb0EPKaPaPKlPlN2at6native12_GLOBAL__N_18offset_tEEE10hipError_tPvRmT1_PNSt15iterator_traitsISK_E10value_typeET2_T3_PNSL_ISQ_E10value_typeET4_jRbjT5_SW_jjP12ihipStream_tbEUlT_E0_NS1_11comp_targetILNS1_3genE0ELNS1_11target_archE4294967295ELNS1_3gpuE0ELNS1_3repE0EEENS1_60segmented_radix_sort_warp_sort_medium_config_static_selectorELNS0_4arch9wavefront6targetE0EEEvSK_.has_recursion, 0
	.set _ZN7rocprim17ROCPRIM_400000_NS6detail17trampoline_kernelINS0_14default_configENS1_36segmented_radix_sort_config_selectorIalEEZNS1_25segmented_radix_sort_implIS3_Lb0EPKaPaPKlPlN2at6native12_GLOBAL__N_18offset_tEEE10hipError_tPvRmT1_PNSt15iterator_traitsISK_E10value_typeET2_T3_PNSL_ISQ_E10value_typeET4_jRbjT5_SW_jjP12ihipStream_tbEUlT_E0_NS1_11comp_targetILNS1_3genE0ELNS1_11target_archE4294967295ELNS1_3gpuE0ELNS1_3repE0EEENS1_60segmented_radix_sort_warp_sort_medium_config_static_selectorELNS0_4arch9wavefront6targetE0EEEvSK_.has_indirect_call, 0
	.section	.AMDGPU.csdata,"",@progbits
; Kernel info:
; codeLenInByte = 0
; TotalNumSgprs: 0
; NumVgprs: 0
; ScratchSize: 0
; MemoryBound: 0
; FloatMode: 240
; IeeeMode: 1
; LDSByteSize: 0 bytes/workgroup (compile time only)
; SGPRBlocks: 0
; VGPRBlocks: 0
; NumSGPRsForWavesPerEU: 1
; NumVGPRsForWavesPerEU: 1
; Occupancy: 16
; WaveLimiterHint : 0
; COMPUTE_PGM_RSRC2:SCRATCH_EN: 0
; COMPUTE_PGM_RSRC2:USER_SGPR: 6
; COMPUTE_PGM_RSRC2:TRAP_HANDLER: 0
; COMPUTE_PGM_RSRC2:TGID_X_EN: 1
; COMPUTE_PGM_RSRC2:TGID_Y_EN: 0
; COMPUTE_PGM_RSRC2:TGID_Z_EN: 0
; COMPUTE_PGM_RSRC2:TIDIG_COMP_CNT: 0
	.section	.text._ZN7rocprim17ROCPRIM_400000_NS6detail17trampoline_kernelINS0_14default_configENS1_36segmented_radix_sort_config_selectorIalEEZNS1_25segmented_radix_sort_implIS3_Lb0EPKaPaPKlPlN2at6native12_GLOBAL__N_18offset_tEEE10hipError_tPvRmT1_PNSt15iterator_traitsISK_E10value_typeET2_T3_PNSL_ISQ_E10value_typeET4_jRbjT5_SW_jjP12ihipStream_tbEUlT_E0_NS1_11comp_targetILNS1_3genE5ELNS1_11target_archE942ELNS1_3gpuE9ELNS1_3repE0EEENS1_60segmented_radix_sort_warp_sort_medium_config_static_selectorELNS0_4arch9wavefront6targetE0EEEvSK_,"axG",@progbits,_ZN7rocprim17ROCPRIM_400000_NS6detail17trampoline_kernelINS0_14default_configENS1_36segmented_radix_sort_config_selectorIalEEZNS1_25segmented_radix_sort_implIS3_Lb0EPKaPaPKlPlN2at6native12_GLOBAL__N_18offset_tEEE10hipError_tPvRmT1_PNSt15iterator_traitsISK_E10value_typeET2_T3_PNSL_ISQ_E10value_typeET4_jRbjT5_SW_jjP12ihipStream_tbEUlT_E0_NS1_11comp_targetILNS1_3genE5ELNS1_11target_archE942ELNS1_3gpuE9ELNS1_3repE0EEENS1_60segmented_radix_sort_warp_sort_medium_config_static_selectorELNS0_4arch9wavefront6targetE0EEEvSK_,comdat
	.globl	_ZN7rocprim17ROCPRIM_400000_NS6detail17trampoline_kernelINS0_14default_configENS1_36segmented_radix_sort_config_selectorIalEEZNS1_25segmented_radix_sort_implIS3_Lb0EPKaPaPKlPlN2at6native12_GLOBAL__N_18offset_tEEE10hipError_tPvRmT1_PNSt15iterator_traitsISK_E10value_typeET2_T3_PNSL_ISQ_E10value_typeET4_jRbjT5_SW_jjP12ihipStream_tbEUlT_E0_NS1_11comp_targetILNS1_3genE5ELNS1_11target_archE942ELNS1_3gpuE9ELNS1_3repE0EEENS1_60segmented_radix_sort_warp_sort_medium_config_static_selectorELNS0_4arch9wavefront6targetE0EEEvSK_ ; -- Begin function _ZN7rocprim17ROCPRIM_400000_NS6detail17trampoline_kernelINS0_14default_configENS1_36segmented_radix_sort_config_selectorIalEEZNS1_25segmented_radix_sort_implIS3_Lb0EPKaPaPKlPlN2at6native12_GLOBAL__N_18offset_tEEE10hipError_tPvRmT1_PNSt15iterator_traitsISK_E10value_typeET2_T3_PNSL_ISQ_E10value_typeET4_jRbjT5_SW_jjP12ihipStream_tbEUlT_E0_NS1_11comp_targetILNS1_3genE5ELNS1_11target_archE942ELNS1_3gpuE9ELNS1_3repE0EEENS1_60segmented_radix_sort_warp_sort_medium_config_static_selectorELNS0_4arch9wavefront6targetE0EEEvSK_
	.p2align	8
	.type	_ZN7rocprim17ROCPRIM_400000_NS6detail17trampoline_kernelINS0_14default_configENS1_36segmented_radix_sort_config_selectorIalEEZNS1_25segmented_radix_sort_implIS3_Lb0EPKaPaPKlPlN2at6native12_GLOBAL__N_18offset_tEEE10hipError_tPvRmT1_PNSt15iterator_traitsISK_E10value_typeET2_T3_PNSL_ISQ_E10value_typeET4_jRbjT5_SW_jjP12ihipStream_tbEUlT_E0_NS1_11comp_targetILNS1_3genE5ELNS1_11target_archE942ELNS1_3gpuE9ELNS1_3repE0EEENS1_60segmented_radix_sort_warp_sort_medium_config_static_selectorELNS0_4arch9wavefront6targetE0EEEvSK_,@function
_ZN7rocprim17ROCPRIM_400000_NS6detail17trampoline_kernelINS0_14default_configENS1_36segmented_radix_sort_config_selectorIalEEZNS1_25segmented_radix_sort_implIS3_Lb0EPKaPaPKlPlN2at6native12_GLOBAL__N_18offset_tEEE10hipError_tPvRmT1_PNSt15iterator_traitsISK_E10value_typeET2_T3_PNSL_ISQ_E10value_typeET4_jRbjT5_SW_jjP12ihipStream_tbEUlT_E0_NS1_11comp_targetILNS1_3genE5ELNS1_11target_archE942ELNS1_3gpuE9ELNS1_3repE0EEENS1_60segmented_radix_sort_warp_sort_medium_config_static_selectorELNS0_4arch9wavefront6targetE0EEEvSK_: ; @_ZN7rocprim17ROCPRIM_400000_NS6detail17trampoline_kernelINS0_14default_configENS1_36segmented_radix_sort_config_selectorIalEEZNS1_25segmented_radix_sort_implIS3_Lb0EPKaPaPKlPlN2at6native12_GLOBAL__N_18offset_tEEE10hipError_tPvRmT1_PNSt15iterator_traitsISK_E10value_typeET2_T3_PNSL_ISQ_E10value_typeET4_jRbjT5_SW_jjP12ihipStream_tbEUlT_E0_NS1_11comp_targetILNS1_3genE5ELNS1_11target_archE942ELNS1_3gpuE9ELNS1_3repE0EEENS1_60segmented_radix_sort_warp_sort_medium_config_static_selectorELNS0_4arch9wavefront6targetE0EEEvSK_
; %bb.0:
	.section	.rodata,"a",@progbits
	.p2align	6, 0x0
	.amdhsa_kernel _ZN7rocprim17ROCPRIM_400000_NS6detail17trampoline_kernelINS0_14default_configENS1_36segmented_radix_sort_config_selectorIalEEZNS1_25segmented_radix_sort_implIS3_Lb0EPKaPaPKlPlN2at6native12_GLOBAL__N_18offset_tEEE10hipError_tPvRmT1_PNSt15iterator_traitsISK_E10value_typeET2_T3_PNSL_ISQ_E10value_typeET4_jRbjT5_SW_jjP12ihipStream_tbEUlT_E0_NS1_11comp_targetILNS1_3genE5ELNS1_11target_archE942ELNS1_3gpuE9ELNS1_3repE0EEENS1_60segmented_radix_sort_warp_sort_medium_config_static_selectorELNS0_4arch9wavefront6targetE0EEEvSK_
		.amdhsa_group_segment_fixed_size 0
		.amdhsa_private_segment_fixed_size 0
		.amdhsa_kernarg_size 88
		.amdhsa_user_sgpr_count 6
		.amdhsa_user_sgpr_private_segment_buffer 1
		.amdhsa_user_sgpr_dispatch_ptr 0
		.amdhsa_user_sgpr_queue_ptr 0
		.amdhsa_user_sgpr_kernarg_segment_ptr 1
		.amdhsa_user_sgpr_dispatch_id 0
		.amdhsa_user_sgpr_flat_scratch_init 0
		.amdhsa_user_sgpr_private_segment_size 0
		.amdhsa_wavefront_size32 1
		.amdhsa_uses_dynamic_stack 0
		.amdhsa_system_sgpr_private_segment_wavefront_offset 0
		.amdhsa_system_sgpr_workgroup_id_x 1
		.amdhsa_system_sgpr_workgroup_id_y 0
		.amdhsa_system_sgpr_workgroup_id_z 0
		.amdhsa_system_sgpr_workgroup_info 0
		.amdhsa_system_vgpr_workitem_id 0
		.amdhsa_next_free_vgpr 1
		.amdhsa_next_free_sgpr 1
		.amdhsa_reserve_vcc 0
		.amdhsa_reserve_flat_scratch 0
		.amdhsa_float_round_mode_32 0
		.amdhsa_float_round_mode_16_64 0
		.amdhsa_float_denorm_mode_32 3
		.amdhsa_float_denorm_mode_16_64 3
		.amdhsa_dx10_clamp 1
		.amdhsa_ieee_mode 1
		.amdhsa_fp16_overflow 0
		.amdhsa_workgroup_processor_mode 1
		.amdhsa_memory_ordered 1
		.amdhsa_forward_progress 1
		.amdhsa_shared_vgpr_count 0
		.amdhsa_exception_fp_ieee_invalid_op 0
		.amdhsa_exception_fp_denorm_src 0
		.amdhsa_exception_fp_ieee_div_zero 0
		.amdhsa_exception_fp_ieee_overflow 0
		.amdhsa_exception_fp_ieee_underflow 0
		.amdhsa_exception_fp_ieee_inexact 0
		.amdhsa_exception_int_div_zero 0
	.end_amdhsa_kernel
	.section	.text._ZN7rocprim17ROCPRIM_400000_NS6detail17trampoline_kernelINS0_14default_configENS1_36segmented_radix_sort_config_selectorIalEEZNS1_25segmented_radix_sort_implIS3_Lb0EPKaPaPKlPlN2at6native12_GLOBAL__N_18offset_tEEE10hipError_tPvRmT1_PNSt15iterator_traitsISK_E10value_typeET2_T3_PNSL_ISQ_E10value_typeET4_jRbjT5_SW_jjP12ihipStream_tbEUlT_E0_NS1_11comp_targetILNS1_3genE5ELNS1_11target_archE942ELNS1_3gpuE9ELNS1_3repE0EEENS1_60segmented_radix_sort_warp_sort_medium_config_static_selectorELNS0_4arch9wavefront6targetE0EEEvSK_,"axG",@progbits,_ZN7rocprim17ROCPRIM_400000_NS6detail17trampoline_kernelINS0_14default_configENS1_36segmented_radix_sort_config_selectorIalEEZNS1_25segmented_radix_sort_implIS3_Lb0EPKaPaPKlPlN2at6native12_GLOBAL__N_18offset_tEEE10hipError_tPvRmT1_PNSt15iterator_traitsISK_E10value_typeET2_T3_PNSL_ISQ_E10value_typeET4_jRbjT5_SW_jjP12ihipStream_tbEUlT_E0_NS1_11comp_targetILNS1_3genE5ELNS1_11target_archE942ELNS1_3gpuE9ELNS1_3repE0EEENS1_60segmented_radix_sort_warp_sort_medium_config_static_selectorELNS0_4arch9wavefront6targetE0EEEvSK_,comdat
.Lfunc_end401:
	.size	_ZN7rocprim17ROCPRIM_400000_NS6detail17trampoline_kernelINS0_14default_configENS1_36segmented_radix_sort_config_selectorIalEEZNS1_25segmented_radix_sort_implIS3_Lb0EPKaPaPKlPlN2at6native12_GLOBAL__N_18offset_tEEE10hipError_tPvRmT1_PNSt15iterator_traitsISK_E10value_typeET2_T3_PNSL_ISQ_E10value_typeET4_jRbjT5_SW_jjP12ihipStream_tbEUlT_E0_NS1_11comp_targetILNS1_3genE5ELNS1_11target_archE942ELNS1_3gpuE9ELNS1_3repE0EEENS1_60segmented_radix_sort_warp_sort_medium_config_static_selectorELNS0_4arch9wavefront6targetE0EEEvSK_, .Lfunc_end401-_ZN7rocprim17ROCPRIM_400000_NS6detail17trampoline_kernelINS0_14default_configENS1_36segmented_radix_sort_config_selectorIalEEZNS1_25segmented_radix_sort_implIS3_Lb0EPKaPaPKlPlN2at6native12_GLOBAL__N_18offset_tEEE10hipError_tPvRmT1_PNSt15iterator_traitsISK_E10value_typeET2_T3_PNSL_ISQ_E10value_typeET4_jRbjT5_SW_jjP12ihipStream_tbEUlT_E0_NS1_11comp_targetILNS1_3genE5ELNS1_11target_archE942ELNS1_3gpuE9ELNS1_3repE0EEENS1_60segmented_radix_sort_warp_sort_medium_config_static_selectorELNS0_4arch9wavefront6targetE0EEEvSK_
                                        ; -- End function
	.set _ZN7rocprim17ROCPRIM_400000_NS6detail17trampoline_kernelINS0_14default_configENS1_36segmented_radix_sort_config_selectorIalEEZNS1_25segmented_radix_sort_implIS3_Lb0EPKaPaPKlPlN2at6native12_GLOBAL__N_18offset_tEEE10hipError_tPvRmT1_PNSt15iterator_traitsISK_E10value_typeET2_T3_PNSL_ISQ_E10value_typeET4_jRbjT5_SW_jjP12ihipStream_tbEUlT_E0_NS1_11comp_targetILNS1_3genE5ELNS1_11target_archE942ELNS1_3gpuE9ELNS1_3repE0EEENS1_60segmented_radix_sort_warp_sort_medium_config_static_selectorELNS0_4arch9wavefront6targetE0EEEvSK_.num_vgpr, 0
	.set _ZN7rocprim17ROCPRIM_400000_NS6detail17trampoline_kernelINS0_14default_configENS1_36segmented_radix_sort_config_selectorIalEEZNS1_25segmented_radix_sort_implIS3_Lb0EPKaPaPKlPlN2at6native12_GLOBAL__N_18offset_tEEE10hipError_tPvRmT1_PNSt15iterator_traitsISK_E10value_typeET2_T3_PNSL_ISQ_E10value_typeET4_jRbjT5_SW_jjP12ihipStream_tbEUlT_E0_NS1_11comp_targetILNS1_3genE5ELNS1_11target_archE942ELNS1_3gpuE9ELNS1_3repE0EEENS1_60segmented_radix_sort_warp_sort_medium_config_static_selectorELNS0_4arch9wavefront6targetE0EEEvSK_.num_agpr, 0
	.set _ZN7rocprim17ROCPRIM_400000_NS6detail17trampoline_kernelINS0_14default_configENS1_36segmented_radix_sort_config_selectorIalEEZNS1_25segmented_radix_sort_implIS3_Lb0EPKaPaPKlPlN2at6native12_GLOBAL__N_18offset_tEEE10hipError_tPvRmT1_PNSt15iterator_traitsISK_E10value_typeET2_T3_PNSL_ISQ_E10value_typeET4_jRbjT5_SW_jjP12ihipStream_tbEUlT_E0_NS1_11comp_targetILNS1_3genE5ELNS1_11target_archE942ELNS1_3gpuE9ELNS1_3repE0EEENS1_60segmented_radix_sort_warp_sort_medium_config_static_selectorELNS0_4arch9wavefront6targetE0EEEvSK_.numbered_sgpr, 0
	.set _ZN7rocprim17ROCPRIM_400000_NS6detail17trampoline_kernelINS0_14default_configENS1_36segmented_radix_sort_config_selectorIalEEZNS1_25segmented_radix_sort_implIS3_Lb0EPKaPaPKlPlN2at6native12_GLOBAL__N_18offset_tEEE10hipError_tPvRmT1_PNSt15iterator_traitsISK_E10value_typeET2_T3_PNSL_ISQ_E10value_typeET4_jRbjT5_SW_jjP12ihipStream_tbEUlT_E0_NS1_11comp_targetILNS1_3genE5ELNS1_11target_archE942ELNS1_3gpuE9ELNS1_3repE0EEENS1_60segmented_radix_sort_warp_sort_medium_config_static_selectorELNS0_4arch9wavefront6targetE0EEEvSK_.num_named_barrier, 0
	.set _ZN7rocprim17ROCPRIM_400000_NS6detail17trampoline_kernelINS0_14default_configENS1_36segmented_radix_sort_config_selectorIalEEZNS1_25segmented_radix_sort_implIS3_Lb0EPKaPaPKlPlN2at6native12_GLOBAL__N_18offset_tEEE10hipError_tPvRmT1_PNSt15iterator_traitsISK_E10value_typeET2_T3_PNSL_ISQ_E10value_typeET4_jRbjT5_SW_jjP12ihipStream_tbEUlT_E0_NS1_11comp_targetILNS1_3genE5ELNS1_11target_archE942ELNS1_3gpuE9ELNS1_3repE0EEENS1_60segmented_radix_sort_warp_sort_medium_config_static_selectorELNS0_4arch9wavefront6targetE0EEEvSK_.private_seg_size, 0
	.set _ZN7rocprim17ROCPRIM_400000_NS6detail17trampoline_kernelINS0_14default_configENS1_36segmented_radix_sort_config_selectorIalEEZNS1_25segmented_radix_sort_implIS3_Lb0EPKaPaPKlPlN2at6native12_GLOBAL__N_18offset_tEEE10hipError_tPvRmT1_PNSt15iterator_traitsISK_E10value_typeET2_T3_PNSL_ISQ_E10value_typeET4_jRbjT5_SW_jjP12ihipStream_tbEUlT_E0_NS1_11comp_targetILNS1_3genE5ELNS1_11target_archE942ELNS1_3gpuE9ELNS1_3repE0EEENS1_60segmented_radix_sort_warp_sort_medium_config_static_selectorELNS0_4arch9wavefront6targetE0EEEvSK_.uses_vcc, 0
	.set _ZN7rocprim17ROCPRIM_400000_NS6detail17trampoline_kernelINS0_14default_configENS1_36segmented_radix_sort_config_selectorIalEEZNS1_25segmented_radix_sort_implIS3_Lb0EPKaPaPKlPlN2at6native12_GLOBAL__N_18offset_tEEE10hipError_tPvRmT1_PNSt15iterator_traitsISK_E10value_typeET2_T3_PNSL_ISQ_E10value_typeET4_jRbjT5_SW_jjP12ihipStream_tbEUlT_E0_NS1_11comp_targetILNS1_3genE5ELNS1_11target_archE942ELNS1_3gpuE9ELNS1_3repE0EEENS1_60segmented_radix_sort_warp_sort_medium_config_static_selectorELNS0_4arch9wavefront6targetE0EEEvSK_.uses_flat_scratch, 0
	.set _ZN7rocprim17ROCPRIM_400000_NS6detail17trampoline_kernelINS0_14default_configENS1_36segmented_radix_sort_config_selectorIalEEZNS1_25segmented_radix_sort_implIS3_Lb0EPKaPaPKlPlN2at6native12_GLOBAL__N_18offset_tEEE10hipError_tPvRmT1_PNSt15iterator_traitsISK_E10value_typeET2_T3_PNSL_ISQ_E10value_typeET4_jRbjT5_SW_jjP12ihipStream_tbEUlT_E0_NS1_11comp_targetILNS1_3genE5ELNS1_11target_archE942ELNS1_3gpuE9ELNS1_3repE0EEENS1_60segmented_radix_sort_warp_sort_medium_config_static_selectorELNS0_4arch9wavefront6targetE0EEEvSK_.has_dyn_sized_stack, 0
	.set _ZN7rocprim17ROCPRIM_400000_NS6detail17trampoline_kernelINS0_14default_configENS1_36segmented_radix_sort_config_selectorIalEEZNS1_25segmented_radix_sort_implIS3_Lb0EPKaPaPKlPlN2at6native12_GLOBAL__N_18offset_tEEE10hipError_tPvRmT1_PNSt15iterator_traitsISK_E10value_typeET2_T3_PNSL_ISQ_E10value_typeET4_jRbjT5_SW_jjP12ihipStream_tbEUlT_E0_NS1_11comp_targetILNS1_3genE5ELNS1_11target_archE942ELNS1_3gpuE9ELNS1_3repE0EEENS1_60segmented_radix_sort_warp_sort_medium_config_static_selectorELNS0_4arch9wavefront6targetE0EEEvSK_.has_recursion, 0
	.set _ZN7rocprim17ROCPRIM_400000_NS6detail17trampoline_kernelINS0_14default_configENS1_36segmented_radix_sort_config_selectorIalEEZNS1_25segmented_radix_sort_implIS3_Lb0EPKaPaPKlPlN2at6native12_GLOBAL__N_18offset_tEEE10hipError_tPvRmT1_PNSt15iterator_traitsISK_E10value_typeET2_T3_PNSL_ISQ_E10value_typeET4_jRbjT5_SW_jjP12ihipStream_tbEUlT_E0_NS1_11comp_targetILNS1_3genE5ELNS1_11target_archE942ELNS1_3gpuE9ELNS1_3repE0EEENS1_60segmented_radix_sort_warp_sort_medium_config_static_selectorELNS0_4arch9wavefront6targetE0EEEvSK_.has_indirect_call, 0
	.section	.AMDGPU.csdata,"",@progbits
; Kernel info:
; codeLenInByte = 0
; TotalNumSgprs: 0
; NumVgprs: 0
; ScratchSize: 0
; MemoryBound: 0
; FloatMode: 240
; IeeeMode: 1
; LDSByteSize: 0 bytes/workgroup (compile time only)
; SGPRBlocks: 0
; VGPRBlocks: 0
; NumSGPRsForWavesPerEU: 1
; NumVGPRsForWavesPerEU: 1
; Occupancy: 16
; WaveLimiterHint : 0
; COMPUTE_PGM_RSRC2:SCRATCH_EN: 0
; COMPUTE_PGM_RSRC2:USER_SGPR: 6
; COMPUTE_PGM_RSRC2:TRAP_HANDLER: 0
; COMPUTE_PGM_RSRC2:TGID_X_EN: 1
; COMPUTE_PGM_RSRC2:TGID_Y_EN: 0
; COMPUTE_PGM_RSRC2:TGID_Z_EN: 0
; COMPUTE_PGM_RSRC2:TIDIG_COMP_CNT: 0
	.section	.text._ZN7rocprim17ROCPRIM_400000_NS6detail17trampoline_kernelINS0_14default_configENS1_36segmented_radix_sort_config_selectorIalEEZNS1_25segmented_radix_sort_implIS3_Lb0EPKaPaPKlPlN2at6native12_GLOBAL__N_18offset_tEEE10hipError_tPvRmT1_PNSt15iterator_traitsISK_E10value_typeET2_T3_PNSL_ISQ_E10value_typeET4_jRbjT5_SW_jjP12ihipStream_tbEUlT_E0_NS1_11comp_targetILNS1_3genE4ELNS1_11target_archE910ELNS1_3gpuE8ELNS1_3repE0EEENS1_60segmented_radix_sort_warp_sort_medium_config_static_selectorELNS0_4arch9wavefront6targetE0EEEvSK_,"axG",@progbits,_ZN7rocprim17ROCPRIM_400000_NS6detail17trampoline_kernelINS0_14default_configENS1_36segmented_radix_sort_config_selectorIalEEZNS1_25segmented_radix_sort_implIS3_Lb0EPKaPaPKlPlN2at6native12_GLOBAL__N_18offset_tEEE10hipError_tPvRmT1_PNSt15iterator_traitsISK_E10value_typeET2_T3_PNSL_ISQ_E10value_typeET4_jRbjT5_SW_jjP12ihipStream_tbEUlT_E0_NS1_11comp_targetILNS1_3genE4ELNS1_11target_archE910ELNS1_3gpuE8ELNS1_3repE0EEENS1_60segmented_radix_sort_warp_sort_medium_config_static_selectorELNS0_4arch9wavefront6targetE0EEEvSK_,comdat
	.globl	_ZN7rocprim17ROCPRIM_400000_NS6detail17trampoline_kernelINS0_14default_configENS1_36segmented_radix_sort_config_selectorIalEEZNS1_25segmented_radix_sort_implIS3_Lb0EPKaPaPKlPlN2at6native12_GLOBAL__N_18offset_tEEE10hipError_tPvRmT1_PNSt15iterator_traitsISK_E10value_typeET2_T3_PNSL_ISQ_E10value_typeET4_jRbjT5_SW_jjP12ihipStream_tbEUlT_E0_NS1_11comp_targetILNS1_3genE4ELNS1_11target_archE910ELNS1_3gpuE8ELNS1_3repE0EEENS1_60segmented_radix_sort_warp_sort_medium_config_static_selectorELNS0_4arch9wavefront6targetE0EEEvSK_ ; -- Begin function _ZN7rocprim17ROCPRIM_400000_NS6detail17trampoline_kernelINS0_14default_configENS1_36segmented_radix_sort_config_selectorIalEEZNS1_25segmented_radix_sort_implIS3_Lb0EPKaPaPKlPlN2at6native12_GLOBAL__N_18offset_tEEE10hipError_tPvRmT1_PNSt15iterator_traitsISK_E10value_typeET2_T3_PNSL_ISQ_E10value_typeET4_jRbjT5_SW_jjP12ihipStream_tbEUlT_E0_NS1_11comp_targetILNS1_3genE4ELNS1_11target_archE910ELNS1_3gpuE8ELNS1_3repE0EEENS1_60segmented_radix_sort_warp_sort_medium_config_static_selectorELNS0_4arch9wavefront6targetE0EEEvSK_
	.p2align	8
	.type	_ZN7rocprim17ROCPRIM_400000_NS6detail17trampoline_kernelINS0_14default_configENS1_36segmented_radix_sort_config_selectorIalEEZNS1_25segmented_radix_sort_implIS3_Lb0EPKaPaPKlPlN2at6native12_GLOBAL__N_18offset_tEEE10hipError_tPvRmT1_PNSt15iterator_traitsISK_E10value_typeET2_T3_PNSL_ISQ_E10value_typeET4_jRbjT5_SW_jjP12ihipStream_tbEUlT_E0_NS1_11comp_targetILNS1_3genE4ELNS1_11target_archE910ELNS1_3gpuE8ELNS1_3repE0EEENS1_60segmented_radix_sort_warp_sort_medium_config_static_selectorELNS0_4arch9wavefront6targetE0EEEvSK_,@function
_ZN7rocprim17ROCPRIM_400000_NS6detail17trampoline_kernelINS0_14default_configENS1_36segmented_radix_sort_config_selectorIalEEZNS1_25segmented_radix_sort_implIS3_Lb0EPKaPaPKlPlN2at6native12_GLOBAL__N_18offset_tEEE10hipError_tPvRmT1_PNSt15iterator_traitsISK_E10value_typeET2_T3_PNSL_ISQ_E10value_typeET4_jRbjT5_SW_jjP12ihipStream_tbEUlT_E0_NS1_11comp_targetILNS1_3genE4ELNS1_11target_archE910ELNS1_3gpuE8ELNS1_3repE0EEENS1_60segmented_radix_sort_warp_sort_medium_config_static_selectorELNS0_4arch9wavefront6targetE0EEEvSK_: ; @_ZN7rocprim17ROCPRIM_400000_NS6detail17trampoline_kernelINS0_14default_configENS1_36segmented_radix_sort_config_selectorIalEEZNS1_25segmented_radix_sort_implIS3_Lb0EPKaPaPKlPlN2at6native12_GLOBAL__N_18offset_tEEE10hipError_tPvRmT1_PNSt15iterator_traitsISK_E10value_typeET2_T3_PNSL_ISQ_E10value_typeET4_jRbjT5_SW_jjP12ihipStream_tbEUlT_E0_NS1_11comp_targetILNS1_3genE4ELNS1_11target_archE910ELNS1_3gpuE8ELNS1_3repE0EEENS1_60segmented_radix_sort_warp_sort_medium_config_static_selectorELNS0_4arch9wavefront6targetE0EEEvSK_
; %bb.0:
	.section	.rodata,"a",@progbits
	.p2align	6, 0x0
	.amdhsa_kernel _ZN7rocprim17ROCPRIM_400000_NS6detail17trampoline_kernelINS0_14default_configENS1_36segmented_radix_sort_config_selectorIalEEZNS1_25segmented_radix_sort_implIS3_Lb0EPKaPaPKlPlN2at6native12_GLOBAL__N_18offset_tEEE10hipError_tPvRmT1_PNSt15iterator_traitsISK_E10value_typeET2_T3_PNSL_ISQ_E10value_typeET4_jRbjT5_SW_jjP12ihipStream_tbEUlT_E0_NS1_11comp_targetILNS1_3genE4ELNS1_11target_archE910ELNS1_3gpuE8ELNS1_3repE0EEENS1_60segmented_radix_sort_warp_sort_medium_config_static_selectorELNS0_4arch9wavefront6targetE0EEEvSK_
		.amdhsa_group_segment_fixed_size 0
		.amdhsa_private_segment_fixed_size 0
		.amdhsa_kernarg_size 88
		.amdhsa_user_sgpr_count 6
		.amdhsa_user_sgpr_private_segment_buffer 1
		.amdhsa_user_sgpr_dispatch_ptr 0
		.amdhsa_user_sgpr_queue_ptr 0
		.amdhsa_user_sgpr_kernarg_segment_ptr 1
		.amdhsa_user_sgpr_dispatch_id 0
		.amdhsa_user_sgpr_flat_scratch_init 0
		.amdhsa_user_sgpr_private_segment_size 0
		.amdhsa_wavefront_size32 1
		.amdhsa_uses_dynamic_stack 0
		.amdhsa_system_sgpr_private_segment_wavefront_offset 0
		.amdhsa_system_sgpr_workgroup_id_x 1
		.amdhsa_system_sgpr_workgroup_id_y 0
		.amdhsa_system_sgpr_workgroup_id_z 0
		.amdhsa_system_sgpr_workgroup_info 0
		.amdhsa_system_vgpr_workitem_id 0
		.amdhsa_next_free_vgpr 1
		.amdhsa_next_free_sgpr 1
		.amdhsa_reserve_vcc 0
		.amdhsa_reserve_flat_scratch 0
		.amdhsa_float_round_mode_32 0
		.amdhsa_float_round_mode_16_64 0
		.amdhsa_float_denorm_mode_32 3
		.amdhsa_float_denorm_mode_16_64 3
		.amdhsa_dx10_clamp 1
		.amdhsa_ieee_mode 1
		.amdhsa_fp16_overflow 0
		.amdhsa_workgroup_processor_mode 1
		.amdhsa_memory_ordered 1
		.amdhsa_forward_progress 1
		.amdhsa_shared_vgpr_count 0
		.amdhsa_exception_fp_ieee_invalid_op 0
		.amdhsa_exception_fp_denorm_src 0
		.amdhsa_exception_fp_ieee_div_zero 0
		.amdhsa_exception_fp_ieee_overflow 0
		.amdhsa_exception_fp_ieee_underflow 0
		.amdhsa_exception_fp_ieee_inexact 0
		.amdhsa_exception_int_div_zero 0
	.end_amdhsa_kernel
	.section	.text._ZN7rocprim17ROCPRIM_400000_NS6detail17trampoline_kernelINS0_14default_configENS1_36segmented_radix_sort_config_selectorIalEEZNS1_25segmented_radix_sort_implIS3_Lb0EPKaPaPKlPlN2at6native12_GLOBAL__N_18offset_tEEE10hipError_tPvRmT1_PNSt15iterator_traitsISK_E10value_typeET2_T3_PNSL_ISQ_E10value_typeET4_jRbjT5_SW_jjP12ihipStream_tbEUlT_E0_NS1_11comp_targetILNS1_3genE4ELNS1_11target_archE910ELNS1_3gpuE8ELNS1_3repE0EEENS1_60segmented_radix_sort_warp_sort_medium_config_static_selectorELNS0_4arch9wavefront6targetE0EEEvSK_,"axG",@progbits,_ZN7rocprim17ROCPRIM_400000_NS6detail17trampoline_kernelINS0_14default_configENS1_36segmented_radix_sort_config_selectorIalEEZNS1_25segmented_radix_sort_implIS3_Lb0EPKaPaPKlPlN2at6native12_GLOBAL__N_18offset_tEEE10hipError_tPvRmT1_PNSt15iterator_traitsISK_E10value_typeET2_T3_PNSL_ISQ_E10value_typeET4_jRbjT5_SW_jjP12ihipStream_tbEUlT_E0_NS1_11comp_targetILNS1_3genE4ELNS1_11target_archE910ELNS1_3gpuE8ELNS1_3repE0EEENS1_60segmented_radix_sort_warp_sort_medium_config_static_selectorELNS0_4arch9wavefront6targetE0EEEvSK_,comdat
.Lfunc_end402:
	.size	_ZN7rocprim17ROCPRIM_400000_NS6detail17trampoline_kernelINS0_14default_configENS1_36segmented_radix_sort_config_selectorIalEEZNS1_25segmented_radix_sort_implIS3_Lb0EPKaPaPKlPlN2at6native12_GLOBAL__N_18offset_tEEE10hipError_tPvRmT1_PNSt15iterator_traitsISK_E10value_typeET2_T3_PNSL_ISQ_E10value_typeET4_jRbjT5_SW_jjP12ihipStream_tbEUlT_E0_NS1_11comp_targetILNS1_3genE4ELNS1_11target_archE910ELNS1_3gpuE8ELNS1_3repE0EEENS1_60segmented_radix_sort_warp_sort_medium_config_static_selectorELNS0_4arch9wavefront6targetE0EEEvSK_, .Lfunc_end402-_ZN7rocprim17ROCPRIM_400000_NS6detail17trampoline_kernelINS0_14default_configENS1_36segmented_radix_sort_config_selectorIalEEZNS1_25segmented_radix_sort_implIS3_Lb0EPKaPaPKlPlN2at6native12_GLOBAL__N_18offset_tEEE10hipError_tPvRmT1_PNSt15iterator_traitsISK_E10value_typeET2_T3_PNSL_ISQ_E10value_typeET4_jRbjT5_SW_jjP12ihipStream_tbEUlT_E0_NS1_11comp_targetILNS1_3genE4ELNS1_11target_archE910ELNS1_3gpuE8ELNS1_3repE0EEENS1_60segmented_radix_sort_warp_sort_medium_config_static_selectorELNS0_4arch9wavefront6targetE0EEEvSK_
                                        ; -- End function
	.set _ZN7rocprim17ROCPRIM_400000_NS6detail17trampoline_kernelINS0_14default_configENS1_36segmented_radix_sort_config_selectorIalEEZNS1_25segmented_radix_sort_implIS3_Lb0EPKaPaPKlPlN2at6native12_GLOBAL__N_18offset_tEEE10hipError_tPvRmT1_PNSt15iterator_traitsISK_E10value_typeET2_T3_PNSL_ISQ_E10value_typeET4_jRbjT5_SW_jjP12ihipStream_tbEUlT_E0_NS1_11comp_targetILNS1_3genE4ELNS1_11target_archE910ELNS1_3gpuE8ELNS1_3repE0EEENS1_60segmented_radix_sort_warp_sort_medium_config_static_selectorELNS0_4arch9wavefront6targetE0EEEvSK_.num_vgpr, 0
	.set _ZN7rocprim17ROCPRIM_400000_NS6detail17trampoline_kernelINS0_14default_configENS1_36segmented_radix_sort_config_selectorIalEEZNS1_25segmented_radix_sort_implIS3_Lb0EPKaPaPKlPlN2at6native12_GLOBAL__N_18offset_tEEE10hipError_tPvRmT1_PNSt15iterator_traitsISK_E10value_typeET2_T3_PNSL_ISQ_E10value_typeET4_jRbjT5_SW_jjP12ihipStream_tbEUlT_E0_NS1_11comp_targetILNS1_3genE4ELNS1_11target_archE910ELNS1_3gpuE8ELNS1_3repE0EEENS1_60segmented_radix_sort_warp_sort_medium_config_static_selectorELNS0_4arch9wavefront6targetE0EEEvSK_.num_agpr, 0
	.set _ZN7rocprim17ROCPRIM_400000_NS6detail17trampoline_kernelINS0_14default_configENS1_36segmented_radix_sort_config_selectorIalEEZNS1_25segmented_radix_sort_implIS3_Lb0EPKaPaPKlPlN2at6native12_GLOBAL__N_18offset_tEEE10hipError_tPvRmT1_PNSt15iterator_traitsISK_E10value_typeET2_T3_PNSL_ISQ_E10value_typeET4_jRbjT5_SW_jjP12ihipStream_tbEUlT_E0_NS1_11comp_targetILNS1_3genE4ELNS1_11target_archE910ELNS1_3gpuE8ELNS1_3repE0EEENS1_60segmented_radix_sort_warp_sort_medium_config_static_selectorELNS0_4arch9wavefront6targetE0EEEvSK_.numbered_sgpr, 0
	.set _ZN7rocprim17ROCPRIM_400000_NS6detail17trampoline_kernelINS0_14default_configENS1_36segmented_radix_sort_config_selectorIalEEZNS1_25segmented_radix_sort_implIS3_Lb0EPKaPaPKlPlN2at6native12_GLOBAL__N_18offset_tEEE10hipError_tPvRmT1_PNSt15iterator_traitsISK_E10value_typeET2_T3_PNSL_ISQ_E10value_typeET4_jRbjT5_SW_jjP12ihipStream_tbEUlT_E0_NS1_11comp_targetILNS1_3genE4ELNS1_11target_archE910ELNS1_3gpuE8ELNS1_3repE0EEENS1_60segmented_radix_sort_warp_sort_medium_config_static_selectorELNS0_4arch9wavefront6targetE0EEEvSK_.num_named_barrier, 0
	.set _ZN7rocprim17ROCPRIM_400000_NS6detail17trampoline_kernelINS0_14default_configENS1_36segmented_radix_sort_config_selectorIalEEZNS1_25segmented_radix_sort_implIS3_Lb0EPKaPaPKlPlN2at6native12_GLOBAL__N_18offset_tEEE10hipError_tPvRmT1_PNSt15iterator_traitsISK_E10value_typeET2_T3_PNSL_ISQ_E10value_typeET4_jRbjT5_SW_jjP12ihipStream_tbEUlT_E0_NS1_11comp_targetILNS1_3genE4ELNS1_11target_archE910ELNS1_3gpuE8ELNS1_3repE0EEENS1_60segmented_radix_sort_warp_sort_medium_config_static_selectorELNS0_4arch9wavefront6targetE0EEEvSK_.private_seg_size, 0
	.set _ZN7rocprim17ROCPRIM_400000_NS6detail17trampoline_kernelINS0_14default_configENS1_36segmented_radix_sort_config_selectorIalEEZNS1_25segmented_radix_sort_implIS3_Lb0EPKaPaPKlPlN2at6native12_GLOBAL__N_18offset_tEEE10hipError_tPvRmT1_PNSt15iterator_traitsISK_E10value_typeET2_T3_PNSL_ISQ_E10value_typeET4_jRbjT5_SW_jjP12ihipStream_tbEUlT_E0_NS1_11comp_targetILNS1_3genE4ELNS1_11target_archE910ELNS1_3gpuE8ELNS1_3repE0EEENS1_60segmented_radix_sort_warp_sort_medium_config_static_selectorELNS0_4arch9wavefront6targetE0EEEvSK_.uses_vcc, 0
	.set _ZN7rocprim17ROCPRIM_400000_NS6detail17trampoline_kernelINS0_14default_configENS1_36segmented_radix_sort_config_selectorIalEEZNS1_25segmented_radix_sort_implIS3_Lb0EPKaPaPKlPlN2at6native12_GLOBAL__N_18offset_tEEE10hipError_tPvRmT1_PNSt15iterator_traitsISK_E10value_typeET2_T3_PNSL_ISQ_E10value_typeET4_jRbjT5_SW_jjP12ihipStream_tbEUlT_E0_NS1_11comp_targetILNS1_3genE4ELNS1_11target_archE910ELNS1_3gpuE8ELNS1_3repE0EEENS1_60segmented_radix_sort_warp_sort_medium_config_static_selectorELNS0_4arch9wavefront6targetE0EEEvSK_.uses_flat_scratch, 0
	.set _ZN7rocprim17ROCPRIM_400000_NS6detail17trampoline_kernelINS0_14default_configENS1_36segmented_radix_sort_config_selectorIalEEZNS1_25segmented_radix_sort_implIS3_Lb0EPKaPaPKlPlN2at6native12_GLOBAL__N_18offset_tEEE10hipError_tPvRmT1_PNSt15iterator_traitsISK_E10value_typeET2_T3_PNSL_ISQ_E10value_typeET4_jRbjT5_SW_jjP12ihipStream_tbEUlT_E0_NS1_11comp_targetILNS1_3genE4ELNS1_11target_archE910ELNS1_3gpuE8ELNS1_3repE0EEENS1_60segmented_radix_sort_warp_sort_medium_config_static_selectorELNS0_4arch9wavefront6targetE0EEEvSK_.has_dyn_sized_stack, 0
	.set _ZN7rocprim17ROCPRIM_400000_NS6detail17trampoline_kernelINS0_14default_configENS1_36segmented_radix_sort_config_selectorIalEEZNS1_25segmented_radix_sort_implIS3_Lb0EPKaPaPKlPlN2at6native12_GLOBAL__N_18offset_tEEE10hipError_tPvRmT1_PNSt15iterator_traitsISK_E10value_typeET2_T3_PNSL_ISQ_E10value_typeET4_jRbjT5_SW_jjP12ihipStream_tbEUlT_E0_NS1_11comp_targetILNS1_3genE4ELNS1_11target_archE910ELNS1_3gpuE8ELNS1_3repE0EEENS1_60segmented_radix_sort_warp_sort_medium_config_static_selectorELNS0_4arch9wavefront6targetE0EEEvSK_.has_recursion, 0
	.set _ZN7rocprim17ROCPRIM_400000_NS6detail17trampoline_kernelINS0_14default_configENS1_36segmented_radix_sort_config_selectorIalEEZNS1_25segmented_radix_sort_implIS3_Lb0EPKaPaPKlPlN2at6native12_GLOBAL__N_18offset_tEEE10hipError_tPvRmT1_PNSt15iterator_traitsISK_E10value_typeET2_T3_PNSL_ISQ_E10value_typeET4_jRbjT5_SW_jjP12ihipStream_tbEUlT_E0_NS1_11comp_targetILNS1_3genE4ELNS1_11target_archE910ELNS1_3gpuE8ELNS1_3repE0EEENS1_60segmented_radix_sort_warp_sort_medium_config_static_selectorELNS0_4arch9wavefront6targetE0EEEvSK_.has_indirect_call, 0
	.section	.AMDGPU.csdata,"",@progbits
; Kernel info:
; codeLenInByte = 0
; TotalNumSgprs: 0
; NumVgprs: 0
; ScratchSize: 0
; MemoryBound: 0
; FloatMode: 240
; IeeeMode: 1
; LDSByteSize: 0 bytes/workgroup (compile time only)
; SGPRBlocks: 0
; VGPRBlocks: 0
; NumSGPRsForWavesPerEU: 1
; NumVGPRsForWavesPerEU: 1
; Occupancy: 16
; WaveLimiterHint : 0
; COMPUTE_PGM_RSRC2:SCRATCH_EN: 0
; COMPUTE_PGM_RSRC2:USER_SGPR: 6
; COMPUTE_PGM_RSRC2:TRAP_HANDLER: 0
; COMPUTE_PGM_RSRC2:TGID_X_EN: 1
; COMPUTE_PGM_RSRC2:TGID_Y_EN: 0
; COMPUTE_PGM_RSRC2:TGID_Z_EN: 0
; COMPUTE_PGM_RSRC2:TIDIG_COMP_CNT: 0
	.section	.text._ZN7rocprim17ROCPRIM_400000_NS6detail17trampoline_kernelINS0_14default_configENS1_36segmented_radix_sort_config_selectorIalEEZNS1_25segmented_radix_sort_implIS3_Lb0EPKaPaPKlPlN2at6native12_GLOBAL__N_18offset_tEEE10hipError_tPvRmT1_PNSt15iterator_traitsISK_E10value_typeET2_T3_PNSL_ISQ_E10value_typeET4_jRbjT5_SW_jjP12ihipStream_tbEUlT_E0_NS1_11comp_targetILNS1_3genE3ELNS1_11target_archE908ELNS1_3gpuE7ELNS1_3repE0EEENS1_60segmented_radix_sort_warp_sort_medium_config_static_selectorELNS0_4arch9wavefront6targetE0EEEvSK_,"axG",@progbits,_ZN7rocprim17ROCPRIM_400000_NS6detail17trampoline_kernelINS0_14default_configENS1_36segmented_radix_sort_config_selectorIalEEZNS1_25segmented_radix_sort_implIS3_Lb0EPKaPaPKlPlN2at6native12_GLOBAL__N_18offset_tEEE10hipError_tPvRmT1_PNSt15iterator_traitsISK_E10value_typeET2_T3_PNSL_ISQ_E10value_typeET4_jRbjT5_SW_jjP12ihipStream_tbEUlT_E0_NS1_11comp_targetILNS1_3genE3ELNS1_11target_archE908ELNS1_3gpuE7ELNS1_3repE0EEENS1_60segmented_radix_sort_warp_sort_medium_config_static_selectorELNS0_4arch9wavefront6targetE0EEEvSK_,comdat
	.globl	_ZN7rocprim17ROCPRIM_400000_NS6detail17trampoline_kernelINS0_14default_configENS1_36segmented_radix_sort_config_selectorIalEEZNS1_25segmented_radix_sort_implIS3_Lb0EPKaPaPKlPlN2at6native12_GLOBAL__N_18offset_tEEE10hipError_tPvRmT1_PNSt15iterator_traitsISK_E10value_typeET2_T3_PNSL_ISQ_E10value_typeET4_jRbjT5_SW_jjP12ihipStream_tbEUlT_E0_NS1_11comp_targetILNS1_3genE3ELNS1_11target_archE908ELNS1_3gpuE7ELNS1_3repE0EEENS1_60segmented_radix_sort_warp_sort_medium_config_static_selectorELNS0_4arch9wavefront6targetE0EEEvSK_ ; -- Begin function _ZN7rocprim17ROCPRIM_400000_NS6detail17trampoline_kernelINS0_14default_configENS1_36segmented_radix_sort_config_selectorIalEEZNS1_25segmented_radix_sort_implIS3_Lb0EPKaPaPKlPlN2at6native12_GLOBAL__N_18offset_tEEE10hipError_tPvRmT1_PNSt15iterator_traitsISK_E10value_typeET2_T3_PNSL_ISQ_E10value_typeET4_jRbjT5_SW_jjP12ihipStream_tbEUlT_E0_NS1_11comp_targetILNS1_3genE3ELNS1_11target_archE908ELNS1_3gpuE7ELNS1_3repE0EEENS1_60segmented_radix_sort_warp_sort_medium_config_static_selectorELNS0_4arch9wavefront6targetE0EEEvSK_
	.p2align	8
	.type	_ZN7rocprim17ROCPRIM_400000_NS6detail17trampoline_kernelINS0_14default_configENS1_36segmented_radix_sort_config_selectorIalEEZNS1_25segmented_radix_sort_implIS3_Lb0EPKaPaPKlPlN2at6native12_GLOBAL__N_18offset_tEEE10hipError_tPvRmT1_PNSt15iterator_traitsISK_E10value_typeET2_T3_PNSL_ISQ_E10value_typeET4_jRbjT5_SW_jjP12ihipStream_tbEUlT_E0_NS1_11comp_targetILNS1_3genE3ELNS1_11target_archE908ELNS1_3gpuE7ELNS1_3repE0EEENS1_60segmented_radix_sort_warp_sort_medium_config_static_selectorELNS0_4arch9wavefront6targetE0EEEvSK_,@function
_ZN7rocprim17ROCPRIM_400000_NS6detail17trampoline_kernelINS0_14default_configENS1_36segmented_radix_sort_config_selectorIalEEZNS1_25segmented_radix_sort_implIS3_Lb0EPKaPaPKlPlN2at6native12_GLOBAL__N_18offset_tEEE10hipError_tPvRmT1_PNSt15iterator_traitsISK_E10value_typeET2_T3_PNSL_ISQ_E10value_typeET4_jRbjT5_SW_jjP12ihipStream_tbEUlT_E0_NS1_11comp_targetILNS1_3genE3ELNS1_11target_archE908ELNS1_3gpuE7ELNS1_3repE0EEENS1_60segmented_radix_sort_warp_sort_medium_config_static_selectorELNS0_4arch9wavefront6targetE0EEEvSK_: ; @_ZN7rocprim17ROCPRIM_400000_NS6detail17trampoline_kernelINS0_14default_configENS1_36segmented_radix_sort_config_selectorIalEEZNS1_25segmented_radix_sort_implIS3_Lb0EPKaPaPKlPlN2at6native12_GLOBAL__N_18offset_tEEE10hipError_tPvRmT1_PNSt15iterator_traitsISK_E10value_typeET2_T3_PNSL_ISQ_E10value_typeET4_jRbjT5_SW_jjP12ihipStream_tbEUlT_E0_NS1_11comp_targetILNS1_3genE3ELNS1_11target_archE908ELNS1_3gpuE7ELNS1_3repE0EEENS1_60segmented_radix_sort_warp_sort_medium_config_static_selectorELNS0_4arch9wavefront6targetE0EEEvSK_
; %bb.0:
	.section	.rodata,"a",@progbits
	.p2align	6, 0x0
	.amdhsa_kernel _ZN7rocprim17ROCPRIM_400000_NS6detail17trampoline_kernelINS0_14default_configENS1_36segmented_radix_sort_config_selectorIalEEZNS1_25segmented_radix_sort_implIS3_Lb0EPKaPaPKlPlN2at6native12_GLOBAL__N_18offset_tEEE10hipError_tPvRmT1_PNSt15iterator_traitsISK_E10value_typeET2_T3_PNSL_ISQ_E10value_typeET4_jRbjT5_SW_jjP12ihipStream_tbEUlT_E0_NS1_11comp_targetILNS1_3genE3ELNS1_11target_archE908ELNS1_3gpuE7ELNS1_3repE0EEENS1_60segmented_radix_sort_warp_sort_medium_config_static_selectorELNS0_4arch9wavefront6targetE0EEEvSK_
		.amdhsa_group_segment_fixed_size 0
		.amdhsa_private_segment_fixed_size 0
		.amdhsa_kernarg_size 88
		.amdhsa_user_sgpr_count 6
		.amdhsa_user_sgpr_private_segment_buffer 1
		.amdhsa_user_sgpr_dispatch_ptr 0
		.amdhsa_user_sgpr_queue_ptr 0
		.amdhsa_user_sgpr_kernarg_segment_ptr 1
		.amdhsa_user_sgpr_dispatch_id 0
		.amdhsa_user_sgpr_flat_scratch_init 0
		.amdhsa_user_sgpr_private_segment_size 0
		.amdhsa_wavefront_size32 1
		.amdhsa_uses_dynamic_stack 0
		.amdhsa_system_sgpr_private_segment_wavefront_offset 0
		.amdhsa_system_sgpr_workgroup_id_x 1
		.amdhsa_system_sgpr_workgroup_id_y 0
		.amdhsa_system_sgpr_workgroup_id_z 0
		.amdhsa_system_sgpr_workgroup_info 0
		.amdhsa_system_vgpr_workitem_id 0
		.amdhsa_next_free_vgpr 1
		.amdhsa_next_free_sgpr 1
		.amdhsa_reserve_vcc 0
		.amdhsa_reserve_flat_scratch 0
		.amdhsa_float_round_mode_32 0
		.amdhsa_float_round_mode_16_64 0
		.amdhsa_float_denorm_mode_32 3
		.amdhsa_float_denorm_mode_16_64 3
		.amdhsa_dx10_clamp 1
		.amdhsa_ieee_mode 1
		.amdhsa_fp16_overflow 0
		.amdhsa_workgroup_processor_mode 1
		.amdhsa_memory_ordered 1
		.amdhsa_forward_progress 1
		.amdhsa_shared_vgpr_count 0
		.amdhsa_exception_fp_ieee_invalid_op 0
		.amdhsa_exception_fp_denorm_src 0
		.amdhsa_exception_fp_ieee_div_zero 0
		.amdhsa_exception_fp_ieee_overflow 0
		.amdhsa_exception_fp_ieee_underflow 0
		.amdhsa_exception_fp_ieee_inexact 0
		.amdhsa_exception_int_div_zero 0
	.end_amdhsa_kernel
	.section	.text._ZN7rocprim17ROCPRIM_400000_NS6detail17trampoline_kernelINS0_14default_configENS1_36segmented_radix_sort_config_selectorIalEEZNS1_25segmented_radix_sort_implIS3_Lb0EPKaPaPKlPlN2at6native12_GLOBAL__N_18offset_tEEE10hipError_tPvRmT1_PNSt15iterator_traitsISK_E10value_typeET2_T3_PNSL_ISQ_E10value_typeET4_jRbjT5_SW_jjP12ihipStream_tbEUlT_E0_NS1_11comp_targetILNS1_3genE3ELNS1_11target_archE908ELNS1_3gpuE7ELNS1_3repE0EEENS1_60segmented_radix_sort_warp_sort_medium_config_static_selectorELNS0_4arch9wavefront6targetE0EEEvSK_,"axG",@progbits,_ZN7rocprim17ROCPRIM_400000_NS6detail17trampoline_kernelINS0_14default_configENS1_36segmented_radix_sort_config_selectorIalEEZNS1_25segmented_radix_sort_implIS3_Lb0EPKaPaPKlPlN2at6native12_GLOBAL__N_18offset_tEEE10hipError_tPvRmT1_PNSt15iterator_traitsISK_E10value_typeET2_T3_PNSL_ISQ_E10value_typeET4_jRbjT5_SW_jjP12ihipStream_tbEUlT_E0_NS1_11comp_targetILNS1_3genE3ELNS1_11target_archE908ELNS1_3gpuE7ELNS1_3repE0EEENS1_60segmented_radix_sort_warp_sort_medium_config_static_selectorELNS0_4arch9wavefront6targetE0EEEvSK_,comdat
.Lfunc_end403:
	.size	_ZN7rocprim17ROCPRIM_400000_NS6detail17trampoline_kernelINS0_14default_configENS1_36segmented_radix_sort_config_selectorIalEEZNS1_25segmented_radix_sort_implIS3_Lb0EPKaPaPKlPlN2at6native12_GLOBAL__N_18offset_tEEE10hipError_tPvRmT1_PNSt15iterator_traitsISK_E10value_typeET2_T3_PNSL_ISQ_E10value_typeET4_jRbjT5_SW_jjP12ihipStream_tbEUlT_E0_NS1_11comp_targetILNS1_3genE3ELNS1_11target_archE908ELNS1_3gpuE7ELNS1_3repE0EEENS1_60segmented_radix_sort_warp_sort_medium_config_static_selectorELNS0_4arch9wavefront6targetE0EEEvSK_, .Lfunc_end403-_ZN7rocprim17ROCPRIM_400000_NS6detail17trampoline_kernelINS0_14default_configENS1_36segmented_radix_sort_config_selectorIalEEZNS1_25segmented_radix_sort_implIS3_Lb0EPKaPaPKlPlN2at6native12_GLOBAL__N_18offset_tEEE10hipError_tPvRmT1_PNSt15iterator_traitsISK_E10value_typeET2_T3_PNSL_ISQ_E10value_typeET4_jRbjT5_SW_jjP12ihipStream_tbEUlT_E0_NS1_11comp_targetILNS1_3genE3ELNS1_11target_archE908ELNS1_3gpuE7ELNS1_3repE0EEENS1_60segmented_radix_sort_warp_sort_medium_config_static_selectorELNS0_4arch9wavefront6targetE0EEEvSK_
                                        ; -- End function
	.set _ZN7rocprim17ROCPRIM_400000_NS6detail17trampoline_kernelINS0_14default_configENS1_36segmented_radix_sort_config_selectorIalEEZNS1_25segmented_radix_sort_implIS3_Lb0EPKaPaPKlPlN2at6native12_GLOBAL__N_18offset_tEEE10hipError_tPvRmT1_PNSt15iterator_traitsISK_E10value_typeET2_T3_PNSL_ISQ_E10value_typeET4_jRbjT5_SW_jjP12ihipStream_tbEUlT_E0_NS1_11comp_targetILNS1_3genE3ELNS1_11target_archE908ELNS1_3gpuE7ELNS1_3repE0EEENS1_60segmented_radix_sort_warp_sort_medium_config_static_selectorELNS0_4arch9wavefront6targetE0EEEvSK_.num_vgpr, 0
	.set _ZN7rocprim17ROCPRIM_400000_NS6detail17trampoline_kernelINS0_14default_configENS1_36segmented_radix_sort_config_selectorIalEEZNS1_25segmented_radix_sort_implIS3_Lb0EPKaPaPKlPlN2at6native12_GLOBAL__N_18offset_tEEE10hipError_tPvRmT1_PNSt15iterator_traitsISK_E10value_typeET2_T3_PNSL_ISQ_E10value_typeET4_jRbjT5_SW_jjP12ihipStream_tbEUlT_E0_NS1_11comp_targetILNS1_3genE3ELNS1_11target_archE908ELNS1_3gpuE7ELNS1_3repE0EEENS1_60segmented_radix_sort_warp_sort_medium_config_static_selectorELNS0_4arch9wavefront6targetE0EEEvSK_.num_agpr, 0
	.set _ZN7rocprim17ROCPRIM_400000_NS6detail17trampoline_kernelINS0_14default_configENS1_36segmented_radix_sort_config_selectorIalEEZNS1_25segmented_radix_sort_implIS3_Lb0EPKaPaPKlPlN2at6native12_GLOBAL__N_18offset_tEEE10hipError_tPvRmT1_PNSt15iterator_traitsISK_E10value_typeET2_T3_PNSL_ISQ_E10value_typeET4_jRbjT5_SW_jjP12ihipStream_tbEUlT_E0_NS1_11comp_targetILNS1_3genE3ELNS1_11target_archE908ELNS1_3gpuE7ELNS1_3repE0EEENS1_60segmented_radix_sort_warp_sort_medium_config_static_selectorELNS0_4arch9wavefront6targetE0EEEvSK_.numbered_sgpr, 0
	.set _ZN7rocprim17ROCPRIM_400000_NS6detail17trampoline_kernelINS0_14default_configENS1_36segmented_radix_sort_config_selectorIalEEZNS1_25segmented_radix_sort_implIS3_Lb0EPKaPaPKlPlN2at6native12_GLOBAL__N_18offset_tEEE10hipError_tPvRmT1_PNSt15iterator_traitsISK_E10value_typeET2_T3_PNSL_ISQ_E10value_typeET4_jRbjT5_SW_jjP12ihipStream_tbEUlT_E0_NS1_11comp_targetILNS1_3genE3ELNS1_11target_archE908ELNS1_3gpuE7ELNS1_3repE0EEENS1_60segmented_radix_sort_warp_sort_medium_config_static_selectorELNS0_4arch9wavefront6targetE0EEEvSK_.num_named_barrier, 0
	.set _ZN7rocprim17ROCPRIM_400000_NS6detail17trampoline_kernelINS0_14default_configENS1_36segmented_radix_sort_config_selectorIalEEZNS1_25segmented_radix_sort_implIS3_Lb0EPKaPaPKlPlN2at6native12_GLOBAL__N_18offset_tEEE10hipError_tPvRmT1_PNSt15iterator_traitsISK_E10value_typeET2_T3_PNSL_ISQ_E10value_typeET4_jRbjT5_SW_jjP12ihipStream_tbEUlT_E0_NS1_11comp_targetILNS1_3genE3ELNS1_11target_archE908ELNS1_3gpuE7ELNS1_3repE0EEENS1_60segmented_radix_sort_warp_sort_medium_config_static_selectorELNS0_4arch9wavefront6targetE0EEEvSK_.private_seg_size, 0
	.set _ZN7rocprim17ROCPRIM_400000_NS6detail17trampoline_kernelINS0_14default_configENS1_36segmented_radix_sort_config_selectorIalEEZNS1_25segmented_radix_sort_implIS3_Lb0EPKaPaPKlPlN2at6native12_GLOBAL__N_18offset_tEEE10hipError_tPvRmT1_PNSt15iterator_traitsISK_E10value_typeET2_T3_PNSL_ISQ_E10value_typeET4_jRbjT5_SW_jjP12ihipStream_tbEUlT_E0_NS1_11comp_targetILNS1_3genE3ELNS1_11target_archE908ELNS1_3gpuE7ELNS1_3repE0EEENS1_60segmented_radix_sort_warp_sort_medium_config_static_selectorELNS0_4arch9wavefront6targetE0EEEvSK_.uses_vcc, 0
	.set _ZN7rocprim17ROCPRIM_400000_NS6detail17trampoline_kernelINS0_14default_configENS1_36segmented_radix_sort_config_selectorIalEEZNS1_25segmented_radix_sort_implIS3_Lb0EPKaPaPKlPlN2at6native12_GLOBAL__N_18offset_tEEE10hipError_tPvRmT1_PNSt15iterator_traitsISK_E10value_typeET2_T3_PNSL_ISQ_E10value_typeET4_jRbjT5_SW_jjP12ihipStream_tbEUlT_E0_NS1_11comp_targetILNS1_3genE3ELNS1_11target_archE908ELNS1_3gpuE7ELNS1_3repE0EEENS1_60segmented_radix_sort_warp_sort_medium_config_static_selectorELNS0_4arch9wavefront6targetE0EEEvSK_.uses_flat_scratch, 0
	.set _ZN7rocprim17ROCPRIM_400000_NS6detail17trampoline_kernelINS0_14default_configENS1_36segmented_radix_sort_config_selectorIalEEZNS1_25segmented_radix_sort_implIS3_Lb0EPKaPaPKlPlN2at6native12_GLOBAL__N_18offset_tEEE10hipError_tPvRmT1_PNSt15iterator_traitsISK_E10value_typeET2_T3_PNSL_ISQ_E10value_typeET4_jRbjT5_SW_jjP12ihipStream_tbEUlT_E0_NS1_11comp_targetILNS1_3genE3ELNS1_11target_archE908ELNS1_3gpuE7ELNS1_3repE0EEENS1_60segmented_radix_sort_warp_sort_medium_config_static_selectorELNS0_4arch9wavefront6targetE0EEEvSK_.has_dyn_sized_stack, 0
	.set _ZN7rocprim17ROCPRIM_400000_NS6detail17trampoline_kernelINS0_14default_configENS1_36segmented_radix_sort_config_selectorIalEEZNS1_25segmented_radix_sort_implIS3_Lb0EPKaPaPKlPlN2at6native12_GLOBAL__N_18offset_tEEE10hipError_tPvRmT1_PNSt15iterator_traitsISK_E10value_typeET2_T3_PNSL_ISQ_E10value_typeET4_jRbjT5_SW_jjP12ihipStream_tbEUlT_E0_NS1_11comp_targetILNS1_3genE3ELNS1_11target_archE908ELNS1_3gpuE7ELNS1_3repE0EEENS1_60segmented_radix_sort_warp_sort_medium_config_static_selectorELNS0_4arch9wavefront6targetE0EEEvSK_.has_recursion, 0
	.set _ZN7rocprim17ROCPRIM_400000_NS6detail17trampoline_kernelINS0_14default_configENS1_36segmented_radix_sort_config_selectorIalEEZNS1_25segmented_radix_sort_implIS3_Lb0EPKaPaPKlPlN2at6native12_GLOBAL__N_18offset_tEEE10hipError_tPvRmT1_PNSt15iterator_traitsISK_E10value_typeET2_T3_PNSL_ISQ_E10value_typeET4_jRbjT5_SW_jjP12ihipStream_tbEUlT_E0_NS1_11comp_targetILNS1_3genE3ELNS1_11target_archE908ELNS1_3gpuE7ELNS1_3repE0EEENS1_60segmented_radix_sort_warp_sort_medium_config_static_selectorELNS0_4arch9wavefront6targetE0EEEvSK_.has_indirect_call, 0
	.section	.AMDGPU.csdata,"",@progbits
; Kernel info:
; codeLenInByte = 0
; TotalNumSgprs: 0
; NumVgprs: 0
; ScratchSize: 0
; MemoryBound: 0
; FloatMode: 240
; IeeeMode: 1
; LDSByteSize: 0 bytes/workgroup (compile time only)
; SGPRBlocks: 0
; VGPRBlocks: 0
; NumSGPRsForWavesPerEU: 1
; NumVGPRsForWavesPerEU: 1
; Occupancy: 16
; WaveLimiterHint : 0
; COMPUTE_PGM_RSRC2:SCRATCH_EN: 0
; COMPUTE_PGM_RSRC2:USER_SGPR: 6
; COMPUTE_PGM_RSRC2:TRAP_HANDLER: 0
; COMPUTE_PGM_RSRC2:TGID_X_EN: 1
; COMPUTE_PGM_RSRC2:TGID_Y_EN: 0
; COMPUTE_PGM_RSRC2:TGID_Z_EN: 0
; COMPUTE_PGM_RSRC2:TIDIG_COMP_CNT: 0
	.section	.text._ZN7rocprim17ROCPRIM_400000_NS6detail17trampoline_kernelINS0_14default_configENS1_36segmented_radix_sort_config_selectorIalEEZNS1_25segmented_radix_sort_implIS3_Lb0EPKaPaPKlPlN2at6native12_GLOBAL__N_18offset_tEEE10hipError_tPvRmT1_PNSt15iterator_traitsISK_E10value_typeET2_T3_PNSL_ISQ_E10value_typeET4_jRbjT5_SW_jjP12ihipStream_tbEUlT_E0_NS1_11comp_targetILNS1_3genE2ELNS1_11target_archE906ELNS1_3gpuE6ELNS1_3repE0EEENS1_60segmented_radix_sort_warp_sort_medium_config_static_selectorELNS0_4arch9wavefront6targetE0EEEvSK_,"axG",@progbits,_ZN7rocprim17ROCPRIM_400000_NS6detail17trampoline_kernelINS0_14default_configENS1_36segmented_radix_sort_config_selectorIalEEZNS1_25segmented_radix_sort_implIS3_Lb0EPKaPaPKlPlN2at6native12_GLOBAL__N_18offset_tEEE10hipError_tPvRmT1_PNSt15iterator_traitsISK_E10value_typeET2_T3_PNSL_ISQ_E10value_typeET4_jRbjT5_SW_jjP12ihipStream_tbEUlT_E0_NS1_11comp_targetILNS1_3genE2ELNS1_11target_archE906ELNS1_3gpuE6ELNS1_3repE0EEENS1_60segmented_radix_sort_warp_sort_medium_config_static_selectorELNS0_4arch9wavefront6targetE0EEEvSK_,comdat
	.globl	_ZN7rocprim17ROCPRIM_400000_NS6detail17trampoline_kernelINS0_14default_configENS1_36segmented_radix_sort_config_selectorIalEEZNS1_25segmented_radix_sort_implIS3_Lb0EPKaPaPKlPlN2at6native12_GLOBAL__N_18offset_tEEE10hipError_tPvRmT1_PNSt15iterator_traitsISK_E10value_typeET2_T3_PNSL_ISQ_E10value_typeET4_jRbjT5_SW_jjP12ihipStream_tbEUlT_E0_NS1_11comp_targetILNS1_3genE2ELNS1_11target_archE906ELNS1_3gpuE6ELNS1_3repE0EEENS1_60segmented_radix_sort_warp_sort_medium_config_static_selectorELNS0_4arch9wavefront6targetE0EEEvSK_ ; -- Begin function _ZN7rocprim17ROCPRIM_400000_NS6detail17trampoline_kernelINS0_14default_configENS1_36segmented_radix_sort_config_selectorIalEEZNS1_25segmented_radix_sort_implIS3_Lb0EPKaPaPKlPlN2at6native12_GLOBAL__N_18offset_tEEE10hipError_tPvRmT1_PNSt15iterator_traitsISK_E10value_typeET2_T3_PNSL_ISQ_E10value_typeET4_jRbjT5_SW_jjP12ihipStream_tbEUlT_E0_NS1_11comp_targetILNS1_3genE2ELNS1_11target_archE906ELNS1_3gpuE6ELNS1_3repE0EEENS1_60segmented_radix_sort_warp_sort_medium_config_static_selectorELNS0_4arch9wavefront6targetE0EEEvSK_
	.p2align	8
	.type	_ZN7rocprim17ROCPRIM_400000_NS6detail17trampoline_kernelINS0_14default_configENS1_36segmented_radix_sort_config_selectorIalEEZNS1_25segmented_radix_sort_implIS3_Lb0EPKaPaPKlPlN2at6native12_GLOBAL__N_18offset_tEEE10hipError_tPvRmT1_PNSt15iterator_traitsISK_E10value_typeET2_T3_PNSL_ISQ_E10value_typeET4_jRbjT5_SW_jjP12ihipStream_tbEUlT_E0_NS1_11comp_targetILNS1_3genE2ELNS1_11target_archE906ELNS1_3gpuE6ELNS1_3repE0EEENS1_60segmented_radix_sort_warp_sort_medium_config_static_selectorELNS0_4arch9wavefront6targetE0EEEvSK_,@function
_ZN7rocprim17ROCPRIM_400000_NS6detail17trampoline_kernelINS0_14default_configENS1_36segmented_radix_sort_config_selectorIalEEZNS1_25segmented_radix_sort_implIS3_Lb0EPKaPaPKlPlN2at6native12_GLOBAL__N_18offset_tEEE10hipError_tPvRmT1_PNSt15iterator_traitsISK_E10value_typeET2_T3_PNSL_ISQ_E10value_typeET4_jRbjT5_SW_jjP12ihipStream_tbEUlT_E0_NS1_11comp_targetILNS1_3genE2ELNS1_11target_archE906ELNS1_3gpuE6ELNS1_3repE0EEENS1_60segmented_radix_sort_warp_sort_medium_config_static_selectorELNS0_4arch9wavefront6targetE0EEEvSK_: ; @_ZN7rocprim17ROCPRIM_400000_NS6detail17trampoline_kernelINS0_14default_configENS1_36segmented_radix_sort_config_selectorIalEEZNS1_25segmented_radix_sort_implIS3_Lb0EPKaPaPKlPlN2at6native12_GLOBAL__N_18offset_tEEE10hipError_tPvRmT1_PNSt15iterator_traitsISK_E10value_typeET2_T3_PNSL_ISQ_E10value_typeET4_jRbjT5_SW_jjP12ihipStream_tbEUlT_E0_NS1_11comp_targetILNS1_3genE2ELNS1_11target_archE906ELNS1_3gpuE6ELNS1_3repE0EEENS1_60segmented_radix_sort_warp_sort_medium_config_static_selectorELNS0_4arch9wavefront6targetE0EEEvSK_
; %bb.0:
	.section	.rodata,"a",@progbits
	.p2align	6, 0x0
	.amdhsa_kernel _ZN7rocprim17ROCPRIM_400000_NS6detail17trampoline_kernelINS0_14default_configENS1_36segmented_radix_sort_config_selectorIalEEZNS1_25segmented_radix_sort_implIS3_Lb0EPKaPaPKlPlN2at6native12_GLOBAL__N_18offset_tEEE10hipError_tPvRmT1_PNSt15iterator_traitsISK_E10value_typeET2_T3_PNSL_ISQ_E10value_typeET4_jRbjT5_SW_jjP12ihipStream_tbEUlT_E0_NS1_11comp_targetILNS1_3genE2ELNS1_11target_archE906ELNS1_3gpuE6ELNS1_3repE0EEENS1_60segmented_radix_sort_warp_sort_medium_config_static_selectorELNS0_4arch9wavefront6targetE0EEEvSK_
		.amdhsa_group_segment_fixed_size 0
		.amdhsa_private_segment_fixed_size 0
		.amdhsa_kernarg_size 88
		.amdhsa_user_sgpr_count 6
		.amdhsa_user_sgpr_private_segment_buffer 1
		.amdhsa_user_sgpr_dispatch_ptr 0
		.amdhsa_user_sgpr_queue_ptr 0
		.amdhsa_user_sgpr_kernarg_segment_ptr 1
		.amdhsa_user_sgpr_dispatch_id 0
		.amdhsa_user_sgpr_flat_scratch_init 0
		.amdhsa_user_sgpr_private_segment_size 0
		.amdhsa_wavefront_size32 1
		.amdhsa_uses_dynamic_stack 0
		.amdhsa_system_sgpr_private_segment_wavefront_offset 0
		.amdhsa_system_sgpr_workgroup_id_x 1
		.amdhsa_system_sgpr_workgroup_id_y 0
		.amdhsa_system_sgpr_workgroup_id_z 0
		.amdhsa_system_sgpr_workgroup_info 0
		.amdhsa_system_vgpr_workitem_id 0
		.amdhsa_next_free_vgpr 1
		.amdhsa_next_free_sgpr 1
		.amdhsa_reserve_vcc 0
		.amdhsa_reserve_flat_scratch 0
		.amdhsa_float_round_mode_32 0
		.amdhsa_float_round_mode_16_64 0
		.amdhsa_float_denorm_mode_32 3
		.amdhsa_float_denorm_mode_16_64 3
		.amdhsa_dx10_clamp 1
		.amdhsa_ieee_mode 1
		.amdhsa_fp16_overflow 0
		.amdhsa_workgroup_processor_mode 1
		.amdhsa_memory_ordered 1
		.amdhsa_forward_progress 1
		.amdhsa_shared_vgpr_count 0
		.amdhsa_exception_fp_ieee_invalid_op 0
		.amdhsa_exception_fp_denorm_src 0
		.amdhsa_exception_fp_ieee_div_zero 0
		.amdhsa_exception_fp_ieee_overflow 0
		.amdhsa_exception_fp_ieee_underflow 0
		.amdhsa_exception_fp_ieee_inexact 0
		.amdhsa_exception_int_div_zero 0
	.end_amdhsa_kernel
	.section	.text._ZN7rocprim17ROCPRIM_400000_NS6detail17trampoline_kernelINS0_14default_configENS1_36segmented_radix_sort_config_selectorIalEEZNS1_25segmented_radix_sort_implIS3_Lb0EPKaPaPKlPlN2at6native12_GLOBAL__N_18offset_tEEE10hipError_tPvRmT1_PNSt15iterator_traitsISK_E10value_typeET2_T3_PNSL_ISQ_E10value_typeET4_jRbjT5_SW_jjP12ihipStream_tbEUlT_E0_NS1_11comp_targetILNS1_3genE2ELNS1_11target_archE906ELNS1_3gpuE6ELNS1_3repE0EEENS1_60segmented_radix_sort_warp_sort_medium_config_static_selectorELNS0_4arch9wavefront6targetE0EEEvSK_,"axG",@progbits,_ZN7rocprim17ROCPRIM_400000_NS6detail17trampoline_kernelINS0_14default_configENS1_36segmented_radix_sort_config_selectorIalEEZNS1_25segmented_radix_sort_implIS3_Lb0EPKaPaPKlPlN2at6native12_GLOBAL__N_18offset_tEEE10hipError_tPvRmT1_PNSt15iterator_traitsISK_E10value_typeET2_T3_PNSL_ISQ_E10value_typeET4_jRbjT5_SW_jjP12ihipStream_tbEUlT_E0_NS1_11comp_targetILNS1_3genE2ELNS1_11target_archE906ELNS1_3gpuE6ELNS1_3repE0EEENS1_60segmented_radix_sort_warp_sort_medium_config_static_selectorELNS0_4arch9wavefront6targetE0EEEvSK_,comdat
.Lfunc_end404:
	.size	_ZN7rocprim17ROCPRIM_400000_NS6detail17trampoline_kernelINS0_14default_configENS1_36segmented_radix_sort_config_selectorIalEEZNS1_25segmented_radix_sort_implIS3_Lb0EPKaPaPKlPlN2at6native12_GLOBAL__N_18offset_tEEE10hipError_tPvRmT1_PNSt15iterator_traitsISK_E10value_typeET2_T3_PNSL_ISQ_E10value_typeET4_jRbjT5_SW_jjP12ihipStream_tbEUlT_E0_NS1_11comp_targetILNS1_3genE2ELNS1_11target_archE906ELNS1_3gpuE6ELNS1_3repE0EEENS1_60segmented_radix_sort_warp_sort_medium_config_static_selectorELNS0_4arch9wavefront6targetE0EEEvSK_, .Lfunc_end404-_ZN7rocprim17ROCPRIM_400000_NS6detail17trampoline_kernelINS0_14default_configENS1_36segmented_radix_sort_config_selectorIalEEZNS1_25segmented_radix_sort_implIS3_Lb0EPKaPaPKlPlN2at6native12_GLOBAL__N_18offset_tEEE10hipError_tPvRmT1_PNSt15iterator_traitsISK_E10value_typeET2_T3_PNSL_ISQ_E10value_typeET4_jRbjT5_SW_jjP12ihipStream_tbEUlT_E0_NS1_11comp_targetILNS1_3genE2ELNS1_11target_archE906ELNS1_3gpuE6ELNS1_3repE0EEENS1_60segmented_radix_sort_warp_sort_medium_config_static_selectorELNS0_4arch9wavefront6targetE0EEEvSK_
                                        ; -- End function
	.set _ZN7rocprim17ROCPRIM_400000_NS6detail17trampoline_kernelINS0_14default_configENS1_36segmented_radix_sort_config_selectorIalEEZNS1_25segmented_radix_sort_implIS3_Lb0EPKaPaPKlPlN2at6native12_GLOBAL__N_18offset_tEEE10hipError_tPvRmT1_PNSt15iterator_traitsISK_E10value_typeET2_T3_PNSL_ISQ_E10value_typeET4_jRbjT5_SW_jjP12ihipStream_tbEUlT_E0_NS1_11comp_targetILNS1_3genE2ELNS1_11target_archE906ELNS1_3gpuE6ELNS1_3repE0EEENS1_60segmented_radix_sort_warp_sort_medium_config_static_selectorELNS0_4arch9wavefront6targetE0EEEvSK_.num_vgpr, 0
	.set _ZN7rocprim17ROCPRIM_400000_NS6detail17trampoline_kernelINS0_14default_configENS1_36segmented_radix_sort_config_selectorIalEEZNS1_25segmented_radix_sort_implIS3_Lb0EPKaPaPKlPlN2at6native12_GLOBAL__N_18offset_tEEE10hipError_tPvRmT1_PNSt15iterator_traitsISK_E10value_typeET2_T3_PNSL_ISQ_E10value_typeET4_jRbjT5_SW_jjP12ihipStream_tbEUlT_E0_NS1_11comp_targetILNS1_3genE2ELNS1_11target_archE906ELNS1_3gpuE6ELNS1_3repE0EEENS1_60segmented_radix_sort_warp_sort_medium_config_static_selectorELNS0_4arch9wavefront6targetE0EEEvSK_.num_agpr, 0
	.set _ZN7rocprim17ROCPRIM_400000_NS6detail17trampoline_kernelINS0_14default_configENS1_36segmented_radix_sort_config_selectorIalEEZNS1_25segmented_radix_sort_implIS3_Lb0EPKaPaPKlPlN2at6native12_GLOBAL__N_18offset_tEEE10hipError_tPvRmT1_PNSt15iterator_traitsISK_E10value_typeET2_T3_PNSL_ISQ_E10value_typeET4_jRbjT5_SW_jjP12ihipStream_tbEUlT_E0_NS1_11comp_targetILNS1_3genE2ELNS1_11target_archE906ELNS1_3gpuE6ELNS1_3repE0EEENS1_60segmented_radix_sort_warp_sort_medium_config_static_selectorELNS0_4arch9wavefront6targetE0EEEvSK_.numbered_sgpr, 0
	.set _ZN7rocprim17ROCPRIM_400000_NS6detail17trampoline_kernelINS0_14default_configENS1_36segmented_radix_sort_config_selectorIalEEZNS1_25segmented_radix_sort_implIS3_Lb0EPKaPaPKlPlN2at6native12_GLOBAL__N_18offset_tEEE10hipError_tPvRmT1_PNSt15iterator_traitsISK_E10value_typeET2_T3_PNSL_ISQ_E10value_typeET4_jRbjT5_SW_jjP12ihipStream_tbEUlT_E0_NS1_11comp_targetILNS1_3genE2ELNS1_11target_archE906ELNS1_3gpuE6ELNS1_3repE0EEENS1_60segmented_radix_sort_warp_sort_medium_config_static_selectorELNS0_4arch9wavefront6targetE0EEEvSK_.num_named_barrier, 0
	.set _ZN7rocprim17ROCPRIM_400000_NS6detail17trampoline_kernelINS0_14default_configENS1_36segmented_radix_sort_config_selectorIalEEZNS1_25segmented_radix_sort_implIS3_Lb0EPKaPaPKlPlN2at6native12_GLOBAL__N_18offset_tEEE10hipError_tPvRmT1_PNSt15iterator_traitsISK_E10value_typeET2_T3_PNSL_ISQ_E10value_typeET4_jRbjT5_SW_jjP12ihipStream_tbEUlT_E0_NS1_11comp_targetILNS1_3genE2ELNS1_11target_archE906ELNS1_3gpuE6ELNS1_3repE0EEENS1_60segmented_radix_sort_warp_sort_medium_config_static_selectorELNS0_4arch9wavefront6targetE0EEEvSK_.private_seg_size, 0
	.set _ZN7rocprim17ROCPRIM_400000_NS6detail17trampoline_kernelINS0_14default_configENS1_36segmented_radix_sort_config_selectorIalEEZNS1_25segmented_radix_sort_implIS3_Lb0EPKaPaPKlPlN2at6native12_GLOBAL__N_18offset_tEEE10hipError_tPvRmT1_PNSt15iterator_traitsISK_E10value_typeET2_T3_PNSL_ISQ_E10value_typeET4_jRbjT5_SW_jjP12ihipStream_tbEUlT_E0_NS1_11comp_targetILNS1_3genE2ELNS1_11target_archE906ELNS1_3gpuE6ELNS1_3repE0EEENS1_60segmented_radix_sort_warp_sort_medium_config_static_selectorELNS0_4arch9wavefront6targetE0EEEvSK_.uses_vcc, 0
	.set _ZN7rocprim17ROCPRIM_400000_NS6detail17trampoline_kernelINS0_14default_configENS1_36segmented_radix_sort_config_selectorIalEEZNS1_25segmented_radix_sort_implIS3_Lb0EPKaPaPKlPlN2at6native12_GLOBAL__N_18offset_tEEE10hipError_tPvRmT1_PNSt15iterator_traitsISK_E10value_typeET2_T3_PNSL_ISQ_E10value_typeET4_jRbjT5_SW_jjP12ihipStream_tbEUlT_E0_NS1_11comp_targetILNS1_3genE2ELNS1_11target_archE906ELNS1_3gpuE6ELNS1_3repE0EEENS1_60segmented_radix_sort_warp_sort_medium_config_static_selectorELNS0_4arch9wavefront6targetE0EEEvSK_.uses_flat_scratch, 0
	.set _ZN7rocprim17ROCPRIM_400000_NS6detail17trampoline_kernelINS0_14default_configENS1_36segmented_radix_sort_config_selectorIalEEZNS1_25segmented_radix_sort_implIS3_Lb0EPKaPaPKlPlN2at6native12_GLOBAL__N_18offset_tEEE10hipError_tPvRmT1_PNSt15iterator_traitsISK_E10value_typeET2_T3_PNSL_ISQ_E10value_typeET4_jRbjT5_SW_jjP12ihipStream_tbEUlT_E0_NS1_11comp_targetILNS1_3genE2ELNS1_11target_archE906ELNS1_3gpuE6ELNS1_3repE0EEENS1_60segmented_radix_sort_warp_sort_medium_config_static_selectorELNS0_4arch9wavefront6targetE0EEEvSK_.has_dyn_sized_stack, 0
	.set _ZN7rocprim17ROCPRIM_400000_NS6detail17trampoline_kernelINS0_14default_configENS1_36segmented_radix_sort_config_selectorIalEEZNS1_25segmented_radix_sort_implIS3_Lb0EPKaPaPKlPlN2at6native12_GLOBAL__N_18offset_tEEE10hipError_tPvRmT1_PNSt15iterator_traitsISK_E10value_typeET2_T3_PNSL_ISQ_E10value_typeET4_jRbjT5_SW_jjP12ihipStream_tbEUlT_E0_NS1_11comp_targetILNS1_3genE2ELNS1_11target_archE906ELNS1_3gpuE6ELNS1_3repE0EEENS1_60segmented_radix_sort_warp_sort_medium_config_static_selectorELNS0_4arch9wavefront6targetE0EEEvSK_.has_recursion, 0
	.set _ZN7rocprim17ROCPRIM_400000_NS6detail17trampoline_kernelINS0_14default_configENS1_36segmented_radix_sort_config_selectorIalEEZNS1_25segmented_radix_sort_implIS3_Lb0EPKaPaPKlPlN2at6native12_GLOBAL__N_18offset_tEEE10hipError_tPvRmT1_PNSt15iterator_traitsISK_E10value_typeET2_T3_PNSL_ISQ_E10value_typeET4_jRbjT5_SW_jjP12ihipStream_tbEUlT_E0_NS1_11comp_targetILNS1_3genE2ELNS1_11target_archE906ELNS1_3gpuE6ELNS1_3repE0EEENS1_60segmented_radix_sort_warp_sort_medium_config_static_selectorELNS0_4arch9wavefront6targetE0EEEvSK_.has_indirect_call, 0
	.section	.AMDGPU.csdata,"",@progbits
; Kernel info:
; codeLenInByte = 0
; TotalNumSgprs: 0
; NumVgprs: 0
; ScratchSize: 0
; MemoryBound: 0
; FloatMode: 240
; IeeeMode: 1
; LDSByteSize: 0 bytes/workgroup (compile time only)
; SGPRBlocks: 0
; VGPRBlocks: 0
; NumSGPRsForWavesPerEU: 1
; NumVGPRsForWavesPerEU: 1
; Occupancy: 16
; WaveLimiterHint : 0
; COMPUTE_PGM_RSRC2:SCRATCH_EN: 0
; COMPUTE_PGM_RSRC2:USER_SGPR: 6
; COMPUTE_PGM_RSRC2:TRAP_HANDLER: 0
; COMPUTE_PGM_RSRC2:TGID_X_EN: 1
; COMPUTE_PGM_RSRC2:TGID_Y_EN: 0
; COMPUTE_PGM_RSRC2:TGID_Z_EN: 0
; COMPUTE_PGM_RSRC2:TIDIG_COMP_CNT: 0
	.section	.text._ZN7rocprim17ROCPRIM_400000_NS6detail17trampoline_kernelINS0_14default_configENS1_36segmented_radix_sort_config_selectorIalEEZNS1_25segmented_radix_sort_implIS3_Lb0EPKaPaPKlPlN2at6native12_GLOBAL__N_18offset_tEEE10hipError_tPvRmT1_PNSt15iterator_traitsISK_E10value_typeET2_T3_PNSL_ISQ_E10value_typeET4_jRbjT5_SW_jjP12ihipStream_tbEUlT_E0_NS1_11comp_targetILNS1_3genE10ELNS1_11target_archE1201ELNS1_3gpuE5ELNS1_3repE0EEENS1_60segmented_radix_sort_warp_sort_medium_config_static_selectorELNS0_4arch9wavefront6targetE0EEEvSK_,"axG",@progbits,_ZN7rocprim17ROCPRIM_400000_NS6detail17trampoline_kernelINS0_14default_configENS1_36segmented_radix_sort_config_selectorIalEEZNS1_25segmented_radix_sort_implIS3_Lb0EPKaPaPKlPlN2at6native12_GLOBAL__N_18offset_tEEE10hipError_tPvRmT1_PNSt15iterator_traitsISK_E10value_typeET2_T3_PNSL_ISQ_E10value_typeET4_jRbjT5_SW_jjP12ihipStream_tbEUlT_E0_NS1_11comp_targetILNS1_3genE10ELNS1_11target_archE1201ELNS1_3gpuE5ELNS1_3repE0EEENS1_60segmented_radix_sort_warp_sort_medium_config_static_selectorELNS0_4arch9wavefront6targetE0EEEvSK_,comdat
	.globl	_ZN7rocprim17ROCPRIM_400000_NS6detail17trampoline_kernelINS0_14default_configENS1_36segmented_radix_sort_config_selectorIalEEZNS1_25segmented_radix_sort_implIS3_Lb0EPKaPaPKlPlN2at6native12_GLOBAL__N_18offset_tEEE10hipError_tPvRmT1_PNSt15iterator_traitsISK_E10value_typeET2_T3_PNSL_ISQ_E10value_typeET4_jRbjT5_SW_jjP12ihipStream_tbEUlT_E0_NS1_11comp_targetILNS1_3genE10ELNS1_11target_archE1201ELNS1_3gpuE5ELNS1_3repE0EEENS1_60segmented_radix_sort_warp_sort_medium_config_static_selectorELNS0_4arch9wavefront6targetE0EEEvSK_ ; -- Begin function _ZN7rocprim17ROCPRIM_400000_NS6detail17trampoline_kernelINS0_14default_configENS1_36segmented_radix_sort_config_selectorIalEEZNS1_25segmented_radix_sort_implIS3_Lb0EPKaPaPKlPlN2at6native12_GLOBAL__N_18offset_tEEE10hipError_tPvRmT1_PNSt15iterator_traitsISK_E10value_typeET2_T3_PNSL_ISQ_E10value_typeET4_jRbjT5_SW_jjP12ihipStream_tbEUlT_E0_NS1_11comp_targetILNS1_3genE10ELNS1_11target_archE1201ELNS1_3gpuE5ELNS1_3repE0EEENS1_60segmented_radix_sort_warp_sort_medium_config_static_selectorELNS0_4arch9wavefront6targetE0EEEvSK_
	.p2align	8
	.type	_ZN7rocprim17ROCPRIM_400000_NS6detail17trampoline_kernelINS0_14default_configENS1_36segmented_radix_sort_config_selectorIalEEZNS1_25segmented_radix_sort_implIS3_Lb0EPKaPaPKlPlN2at6native12_GLOBAL__N_18offset_tEEE10hipError_tPvRmT1_PNSt15iterator_traitsISK_E10value_typeET2_T3_PNSL_ISQ_E10value_typeET4_jRbjT5_SW_jjP12ihipStream_tbEUlT_E0_NS1_11comp_targetILNS1_3genE10ELNS1_11target_archE1201ELNS1_3gpuE5ELNS1_3repE0EEENS1_60segmented_radix_sort_warp_sort_medium_config_static_selectorELNS0_4arch9wavefront6targetE0EEEvSK_,@function
_ZN7rocprim17ROCPRIM_400000_NS6detail17trampoline_kernelINS0_14default_configENS1_36segmented_radix_sort_config_selectorIalEEZNS1_25segmented_radix_sort_implIS3_Lb0EPKaPaPKlPlN2at6native12_GLOBAL__N_18offset_tEEE10hipError_tPvRmT1_PNSt15iterator_traitsISK_E10value_typeET2_T3_PNSL_ISQ_E10value_typeET4_jRbjT5_SW_jjP12ihipStream_tbEUlT_E0_NS1_11comp_targetILNS1_3genE10ELNS1_11target_archE1201ELNS1_3gpuE5ELNS1_3repE0EEENS1_60segmented_radix_sort_warp_sort_medium_config_static_selectorELNS0_4arch9wavefront6targetE0EEEvSK_: ; @_ZN7rocprim17ROCPRIM_400000_NS6detail17trampoline_kernelINS0_14default_configENS1_36segmented_radix_sort_config_selectorIalEEZNS1_25segmented_radix_sort_implIS3_Lb0EPKaPaPKlPlN2at6native12_GLOBAL__N_18offset_tEEE10hipError_tPvRmT1_PNSt15iterator_traitsISK_E10value_typeET2_T3_PNSL_ISQ_E10value_typeET4_jRbjT5_SW_jjP12ihipStream_tbEUlT_E0_NS1_11comp_targetILNS1_3genE10ELNS1_11target_archE1201ELNS1_3gpuE5ELNS1_3repE0EEENS1_60segmented_radix_sort_warp_sort_medium_config_static_selectorELNS0_4arch9wavefront6targetE0EEEvSK_
; %bb.0:
	.section	.rodata,"a",@progbits
	.p2align	6, 0x0
	.amdhsa_kernel _ZN7rocprim17ROCPRIM_400000_NS6detail17trampoline_kernelINS0_14default_configENS1_36segmented_radix_sort_config_selectorIalEEZNS1_25segmented_radix_sort_implIS3_Lb0EPKaPaPKlPlN2at6native12_GLOBAL__N_18offset_tEEE10hipError_tPvRmT1_PNSt15iterator_traitsISK_E10value_typeET2_T3_PNSL_ISQ_E10value_typeET4_jRbjT5_SW_jjP12ihipStream_tbEUlT_E0_NS1_11comp_targetILNS1_3genE10ELNS1_11target_archE1201ELNS1_3gpuE5ELNS1_3repE0EEENS1_60segmented_radix_sort_warp_sort_medium_config_static_selectorELNS0_4arch9wavefront6targetE0EEEvSK_
		.amdhsa_group_segment_fixed_size 0
		.amdhsa_private_segment_fixed_size 0
		.amdhsa_kernarg_size 88
		.amdhsa_user_sgpr_count 6
		.amdhsa_user_sgpr_private_segment_buffer 1
		.amdhsa_user_sgpr_dispatch_ptr 0
		.amdhsa_user_sgpr_queue_ptr 0
		.amdhsa_user_sgpr_kernarg_segment_ptr 1
		.amdhsa_user_sgpr_dispatch_id 0
		.amdhsa_user_sgpr_flat_scratch_init 0
		.amdhsa_user_sgpr_private_segment_size 0
		.amdhsa_wavefront_size32 1
		.amdhsa_uses_dynamic_stack 0
		.amdhsa_system_sgpr_private_segment_wavefront_offset 0
		.amdhsa_system_sgpr_workgroup_id_x 1
		.amdhsa_system_sgpr_workgroup_id_y 0
		.amdhsa_system_sgpr_workgroup_id_z 0
		.amdhsa_system_sgpr_workgroup_info 0
		.amdhsa_system_vgpr_workitem_id 0
		.amdhsa_next_free_vgpr 1
		.amdhsa_next_free_sgpr 1
		.amdhsa_reserve_vcc 0
		.amdhsa_reserve_flat_scratch 0
		.amdhsa_float_round_mode_32 0
		.amdhsa_float_round_mode_16_64 0
		.amdhsa_float_denorm_mode_32 3
		.amdhsa_float_denorm_mode_16_64 3
		.amdhsa_dx10_clamp 1
		.amdhsa_ieee_mode 1
		.amdhsa_fp16_overflow 0
		.amdhsa_workgroup_processor_mode 1
		.amdhsa_memory_ordered 1
		.amdhsa_forward_progress 1
		.amdhsa_shared_vgpr_count 0
		.amdhsa_exception_fp_ieee_invalid_op 0
		.amdhsa_exception_fp_denorm_src 0
		.amdhsa_exception_fp_ieee_div_zero 0
		.amdhsa_exception_fp_ieee_overflow 0
		.amdhsa_exception_fp_ieee_underflow 0
		.amdhsa_exception_fp_ieee_inexact 0
		.amdhsa_exception_int_div_zero 0
	.end_amdhsa_kernel
	.section	.text._ZN7rocprim17ROCPRIM_400000_NS6detail17trampoline_kernelINS0_14default_configENS1_36segmented_radix_sort_config_selectorIalEEZNS1_25segmented_radix_sort_implIS3_Lb0EPKaPaPKlPlN2at6native12_GLOBAL__N_18offset_tEEE10hipError_tPvRmT1_PNSt15iterator_traitsISK_E10value_typeET2_T3_PNSL_ISQ_E10value_typeET4_jRbjT5_SW_jjP12ihipStream_tbEUlT_E0_NS1_11comp_targetILNS1_3genE10ELNS1_11target_archE1201ELNS1_3gpuE5ELNS1_3repE0EEENS1_60segmented_radix_sort_warp_sort_medium_config_static_selectorELNS0_4arch9wavefront6targetE0EEEvSK_,"axG",@progbits,_ZN7rocprim17ROCPRIM_400000_NS6detail17trampoline_kernelINS0_14default_configENS1_36segmented_radix_sort_config_selectorIalEEZNS1_25segmented_radix_sort_implIS3_Lb0EPKaPaPKlPlN2at6native12_GLOBAL__N_18offset_tEEE10hipError_tPvRmT1_PNSt15iterator_traitsISK_E10value_typeET2_T3_PNSL_ISQ_E10value_typeET4_jRbjT5_SW_jjP12ihipStream_tbEUlT_E0_NS1_11comp_targetILNS1_3genE10ELNS1_11target_archE1201ELNS1_3gpuE5ELNS1_3repE0EEENS1_60segmented_radix_sort_warp_sort_medium_config_static_selectorELNS0_4arch9wavefront6targetE0EEEvSK_,comdat
.Lfunc_end405:
	.size	_ZN7rocprim17ROCPRIM_400000_NS6detail17trampoline_kernelINS0_14default_configENS1_36segmented_radix_sort_config_selectorIalEEZNS1_25segmented_radix_sort_implIS3_Lb0EPKaPaPKlPlN2at6native12_GLOBAL__N_18offset_tEEE10hipError_tPvRmT1_PNSt15iterator_traitsISK_E10value_typeET2_T3_PNSL_ISQ_E10value_typeET4_jRbjT5_SW_jjP12ihipStream_tbEUlT_E0_NS1_11comp_targetILNS1_3genE10ELNS1_11target_archE1201ELNS1_3gpuE5ELNS1_3repE0EEENS1_60segmented_radix_sort_warp_sort_medium_config_static_selectorELNS0_4arch9wavefront6targetE0EEEvSK_, .Lfunc_end405-_ZN7rocprim17ROCPRIM_400000_NS6detail17trampoline_kernelINS0_14default_configENS1_36segmented_radix_sort_config_selectorIalEEZNS1_25segmented_radix_sort_implIS3_Lb0EPKaPaPKlPlN2at6native12_GLOBAL__N_18offset_tEEE10hipError_tPvRmT1_PNSt15iterator_traitsISK_E10value_typeET2_T3_PNSL_ISQ_E10value_typeET4_jRbjT5_SW_jjP12ihipStream_tbEUlT_E0_NS1_11comp_targetILNS1_3genE10ELNS1_11target_archE1201ELNS1_3gpuE5ELNS1_3repE0EEENS1_60segmented_radix_sort_warp_sort_medium_config_static_selectorELNS0_4arch9wavefront6targetE0EEEvSK_
                                        ; -- End function
	.set _ZN7rocprim17ROCPRIM_400000_NS6detail17trampoline_kernelINS0_14default_configENS1_36segmented_radix_sort_config_selectorIalEEZNS1_25segmented_radix_sort_implIS3_Lb0EPKaPaPKlPlN2at6native12_GLOBAL__N_18offset_tEEE10hipError_tPvRmT1_PNSt15iterator_traitsISK_E10value_typeET2_T3_PNSL_ISQ_E10value_typeET4_jRbjT5_SW_jjP12ihipStream_tbEUlT_E0_NS1_11comp_targetILNS1_3genE10ELNS1_11target_archE1201ELNS1_3gpuE5ELNS1_3repE0EEENS1_60segmented_radix_sort_warp_sort_medium_config_static_selectorELNS0_4arch9wavefront6targetE0EEEvSK_.num_vgpr, 0
	.set _ZN7rocprim17ROCPRIM_400000_NS6detail17trampoline_kernelINS0_14default_configENS1_36segmented_radix_sort_config_selectorIalEEZNS1_25segmented_radix_sort_implIS3_Lb0EPKaPaPKlPlN2at6native12_GLOBAL__N_18offset_tEEE10hipError_tPvRmT1_PNSt15iterator_traitsISK_E10value_typeET2_T3_PNSL_ISQ_E10value_typeET4_jRbjT5_SW_jjP12ihipStream_tbEUlT_E0_NS1_11comp_targetILNS1_3genE10ELNS1_11target_archE1201ELNS1_3gpuE5ELNS1_3repE0EEENS1_60segmented_radix_sort_warp_sort_medium_config_static_selectorELNS0_4arch9wavefront6targetE0EEEvSK_.num_agpr, 0
	.set _ZN7rocprim17ROCPRIM_400000_NS6detail17trampoline_kernelINS0_14default_configENS1_36segmented_radix_sort_config_selectorIalEEZNS1_25segmented_radix_sort_implIS3_Lb0EPKaPaPKlPlN2at6native12_GLOBAL__N_18offset_tEEE10hipError_tPvRmT1_PNSt15iterator_traitsISK_E10value_typeET2_T3_PNSL_ISQ_E10value_typeET4_jRbjT5_SW_jjP12ihipStream_tbEUlT_E0_NS1_11comp_targetILNS1_3genE10ELNS1_11target_archE1201ELNS1_3gpuE5ELNS1_3repE0EEENS1_60segmented_radix_sort_warp_sort_medium_config_static_selectorELNS0_4arch9wavefront6targetE0EEEvSK_.numbered_sgpr, 0
	.set _ZN7rocprim17ROCPRIM_400000_NS6detail17trampoline_kernelINS0_14default_configENS1_36segmented_radix_sort_config_selectorIalEEZNS1_25segmented_radix_sort_implIS3_Lb0EPKaPaPKlPlN2at6native12_GLOBAL__N_18offset_tEEE10hipError_tPvRmT1_PNSt15iterator_traitsISK_E10value_typeET2_T3_PNSL_ISQ_E10value_typeET4_jRbjT5_SW_jjP12ihipStream_tbEUlT_E0_NS1_11comp_targetILNS1_3genE10ELNS1_11target_archE1201ELNS1_3gpuE5ELNS1_3repE0EEENS1_60segmented_radix_sort_warp_sort_medium_config_static_selectorELNS0_4arch9wavefront6targetE0EEEvSK_.num_named_barrier, 0
	.set _ZN7rocprim17ROCPRIM_400000_NS6detail17trampoline_kernelINS0_14default_configENS1_36segmented_radix_sort_config_selectorIalEEZNS1_25segmented_radix_sort_implIS3_Lb0EPKaPaPKlPlN2at6native12_GLOBAL__N_18offset_tEEE10hipError_tPvRmT1_PNSt15iterator_traitsISK_E10value_typeET2_T3_PNSL_ISQ_E10value_typeET4_jRbjT5_SW_jjP12ihipStream_tbEUlT_E0_NS1_11comp_targetILNS1_3genE10ELNS1_11target_archE1201ELNS1_3gpuE5ELNS1_3repE0EEENS1_60segmented_radix_sort_warp_sort_medium_config_static_selectorELNS0_4arch9wavefront6targetE0EEEvSK_.private_seg_size, 0
	.set _ZN7rocprim17ROCPRIM_400000_NS6detail17trampoline_kernelINS0_14default_configENS1_36segmented_radix_sort_config_selectorIalEEZNS1_25segmented_radix_sort_implIS3_Lb0EPKaPaPKlPlN2at6native12_GLOBAL__N_18offset_tEEE10hipError_tPvRmT1_PNSt15iterator_traitsISK_E10value_typeET2_T3_PNSL_ISQ_E10value_typeET4_jRbjT5_SW_jjP12ihipStream_tbEUlT_E0_NS1_11comp_targetILNS1_3genE10ELNS1_11target_archE1201ELNS1_3gpuE5ELNS1_3repE0EEENS1_60segmented_radix_sort_warp_sort_medium_config_static_selectorELNS0_4arch9wavefront6targetE0EEEvSK_.uses_vcc, 0
	.set _ZN7rocprim17ROCPRIM_400000_NS6detail17trampoline_kernelINS0_14default_configENS1_36segmented_radix_sort_config_selectorIalEEZNS1_25segmented_radix_sort_implIS3_Lb0EPKaPaPKlPlN2at6native12_GLOBAL__N_18offset_tEEE10hipError_tPvRmT1_PNSt15iterator_traitsISK_E10value_typeET2_T3_PNSL_ISQ_E10value_typeET4_jRbjT5_SW_jjP12ihipStream_tbEUlT_E0_NS1_11comp_targetILNS1_3genE10ELNS1_11target_archE1201ELNS1_3gpuE5ELNS1_3repE0EEENS1_60segmented_radix_sort_warp_sort_medium_config_static_selectorELNS0_4arch9wavefront6targetE0EEEvSK_.uses_flat_scratch, 0
	.set _ZN7rocprim17ROCPRIM_400000_NS6detail17trampoline_kernelINS0_14default_configENS1_36segmented_radix_sort_config_selectorIalEEZNS1_25segmented_radix_sort_implIS3_Lb0EPKaPaPKlPlN2at6native12_GLOBAL__N_18offset_tEEE10hipError_tPvRmT1_PNSt15iterator_traitsISK_E10value_typeET2_T3_PNSL_ISQ_E10value_typeET4_jRbjT5_SW_jjP12ihipStream_tbEUlT_E0_NS1_11comp_targetILNS1_3genE10ELNS1_11target_archE1201ELNS1_3gpuE5ELNS1_3repE0EEENS1_60segmented_radix_sort_warp_sort_medium_config_static_selectorELNS0_4arch9wavefront6targetE0EEEvSK_.has_dyn_sized_stack, 0
	.set _ZN7rocprim17ROCPRIM_400000_NS6detail17trampoline_kernelINS0_14default_configENS1_36segmented_radix_sort_config_selectorIalEEZNS1_25segmented_radix_sort_implIS3_Lb0EPKaPaPKlPlN2at6native12_GLOBAL__N_18offset_tEEE10hipError_tPvRmT1_PNSt15iterator_traitsISK_E10value_typeET2_T3_PNSL_ISQ_E10value_typeET4_jRbjT5_SW_jjP12ihipStream_tbEUlT_E0_NS1_11comp_targetILNS1_3genE10ELNS1_11target_archE1201ELNS1_3gpuE5ELNS1_3repE0EEENS1_60segmented_radix_sort_warp_sort_medium_config_static_selectorELNS0_4arch9wavefront6targetE0EEEvSK_.has_recursion, 0
	.set _ZN7rocprim17ROCPRIM_400000_NS6detail17trampoline_kernelINS0_14default_configENS1_36segmented_radix_sort_config_selectorIalEEZNS1_25segmented_radix_sort_implIS3_Lb0EPKaPaPKlPlN2at6native12_GLOBAL__N_18offset_tEEE10hipError_tPvRmT1_PNSt15iterator_traitsISK_E10value_typeET2_T3_PNSL_ISQ_E10value_typeET4_jRbjT5_SW_jjP12ihipStream_tbEUlT_E0_NS1_11comp_targetILNS1_3genE10ELNS1_11target_archE1201ELNS1_3gpuE5ELNS1_3repE0EEENS1_60segmented_radix_sort_warp_sort_medium_config_static_selectorELNS0_4arch9wavefront6targetE0EEEvSK_.has_indirect_call, 0
	.section	.AMDGPU.csdata,"",@progbits
; Kernel info:
; codeLenInByte = 0
; TotalNumSgprs: 0
; NumVgprs: 0
; ScratchSize: 0
; MemoryBound: 0
; FloatMode: 240
; IeeeMode: 1
; LDSByteSize: 0 bytes/workgroup (compile time only)
; SGPRBlocks: 0
; VGPRBlocks: 0
; NumSGPRsForWavesPerEU: 1
; NumVGPRsForWavesPerEU: 1
; Occupancy: 16
; WaveLimiterHint : 0
; COMPUTE_PGM_RSRC2:SCRATCH_EN: 0
; COMPUTE_PGM_RSRC2:USER_SGPR: 6
; COMPUTE_PGM_RSRC2:TRAP_HANDLER: 0
; COMPUTE_PGM_RSRC2:TGID_X_EN: 1
; COMPUTE_PGM_RSRC2:TGID_Y_EN: 0
; COMPUTE_PGM_RSRC2:TGID_Z_EN: 0
; COMPUTE_PGM_RSRC2:TIDIG_COMP_CNT: 0
	.section	.text._ZN7rocprim17ROCPRIM_400000_NS6detail17trampoline_kernelINS0_14default_configENS1_36segmented_radix_sort_config_selectorIalEEZNS1_25segmented_radix_sort_implIS3_Lb0EPKaPaPKlPlN2at6native12_GLOBAL__N_18offset_tEEE10hipError_tPvRmT1_PNSt15iterator_traitsISK_E10value_typeET2_T3_PNSL_ISQ_E10value_typeET4_jRbjT5_SW_jjP12ihipStream_tbEUlT_E0_NS1_11comp_targetILNS1_3genE10ELNS1_11target_archE1200ELNS1_3gpuE4ELNS1_3repE0EEENS1_60segmented_radix_sort_warp_sort_medium_config_static_selectorELNS0_4arch9wavefront6targetE0EEEvSK_,"axG",@progbits,_ZN7rocprim17ROCPRIM_400000_NS6detail17trampoline_kernelINS0_14default_configENS1_36segmented_radix_sort_config_selectorIalEEZNS1_25segmented_radix_sort_implIS3_Lb0EPKaPaPKlPlN2at6native12_GLOBAL__N_18offset_tEEE10hipError_tPvRmT1_PNSt15iterator_traitsISK_E10value_typeET2_T3_PNSL_ISQ_E10value_typeET4_jRbjT5_SW_jjP12ihipStream_tbEUlT_E0_NS1_11comp_targetILNS1_3genE10ELNS1_11target_archE1200ELNS1_3gpuE4ELNS1_3repE0EEENS1_60segmented_radix_sort_warp_sort_medium_config_static_selectorELNS0_4arch9wavefront6targetE0EEEvSK_,comdat
	.globl	_ZN7rocprim17ROCPRIM_400000_NS6detail17trampoline_kernelINS0_14default_configENS1_36segmented_radix_sort_config_selectorIalEEZNS1_25segmented_radix_sort_implIS3_Lb0EPKaPaPKlPlN2at6native12_GLOBAL__N_18offset_tEEE10hipError_tPvRmT1_PNSt15iterator_traitsISK_E10value_typeET2_T3_PNSL_ISQ_E10value_typeET4_jRbjT5_SW_jjP12ihipStream_tbEUlT_E0_NS1_11comp_targetILNS1_3genE10ELNS1_11target_archE1200ELNS1_3gpuE4ELNS1_3repE0EEENS1_60segmented_radix_sort_warp_sort_medium_config_static_selectorELNS0_4arch9wavefront6targetE0EEEvSK_ ; -- Begin function _ZN7rocprim17ROCPRIM_400000_NS6detail17trampoline_kernelINS0_14default_configENS1_36segmented_radix_sort_config_selectorIalEEZNS1_25segmented_radix_sort_implIS3_Lb0EPKaPaPKlPlN2at6native12_GLOBAL__N_18offset_tEEE10hipError_tPvRmT1_PNSt15iterator_traitsISK_E10value_typeET2_T3_PNSL_ISQ_E10value_typeET4_jRbjT5_SW_jjP12ihipStream_tbEUlT_E0_NS1_11comp_targetILNS1_3genE10ELNS1_11target_archE1200ELNS1_3gpuE4ELNS1_3repE0EEENS1_60segmented_radix_sort_warp_sort_medium_config_static_selectorELNS0_4arch9wavefront6targetE0EEEvSK_
	.p2align	8
	.type	_ZN7rocprim17ROCPRIM_400000_NS6detail17trampoline_kernelINS0_14default_configENS1_36segmented_radix_sort_config_selectorIalEEZNS1_25segmented_radix_sort_implIS3_Lb0EPKaPaPKlPlN2at6native12_GLOBAL__N_18offset_tEEE10hipError_tPvRmT1_PNSt15iterator_traitsISK_E10value_typeET2_T3_PNSL_ISQ_E10value_typeET4_jRbjT5_SW_jjP12ihipStream_tbEUlT_E0_NS1_11comp_targetILNS1_3genE10ELNS1_11target_archE1200ELNS1_3gpuE4ELNS1_3repE0EEENS1_60segmented_radix_sort_warp_sort_medium_config_static_selectorELNS0_4arch9wavefront6targetE0EEEvSK_,@function
_ZN7rocprim17ROCPRIM_400000_NS6detail17trampoline_kernelINS0_14default_configENS1_36segmented_radix_sort_config_selectorIalEEZNS1_25segmented_radix_sort_implIS3_Lb0EPKaPaPKlPlN2at6native12_GLOBAL__N_18offset_tEEE10hipError_tPvRmT1_PNSt15iterator_traitsISK_E10value_typeET2_T3_PNSL_ISQ_E10value_typeET4_jRbjT5_SW_jjP12ihipStream_tbEUlT_E0_NS1_11comp_targetILNS1_3genE10ELNS1_11target_archE1200ELNS1_3gpuE4ELNS1_3repE0EEENS1_60segmented_radix_sort_warp_sort_medium_config_static_selectorELNS0_4arch9wavefront6targetE0EEEvSK_: ; @_ZN7rocprim17ROCPRIM_400000_NS6detail17trampoline_kernelINS0_14default_configENS1_36segmented_radix_sort_config_selectorIalEEZNS1_25segmented_radix_sort_implIS3_Lb0EPKaPaPKlPlN2at6native12_GLOBAL__N_18offset_tEEE10hipError_tPvRmT1_PNSt15iterator_traitsISK_E10value_typeET2_T3_PNSL_ISQ_E10value_typeET4_jRbjT5_SW_jjP12ihipStream_tbEUlT_E0_NS1_11comp_targetILNS1_3genE10ELNS1_11target_archE1200ELNS1_3gpuE4ELNS1_3repE0EEENS1_60segmented_radix_sort_warp_sort_medium_config_static_selectorELNS0_4arch9wavefront6targetE0EEEvSK_
; %bb.0:
	.section	.rodata,"a",@progbits
	.p2align	6, 0x0
	.amdhsa_kernel _ZN7rocprim17ROCPRIM_400000_NS6detail17trampoline_kernelINS0_14default_configENS1_36segmented_radix_sort_config_selectorIalEEZNS1_25segmented_radix_sort_implIS3_Lb0EPKaPaPKlPlN2at6native12_GLOBAL__N_18offset_tEEE10hipError_tPvRmT1_PNSt15iterator_traitsISK_E10value_typeET2_T3_PNSL_ISQ_E10value_typeET4_jRbjT5_SW_jjP12ihipStream_tbEUlT_E0_NS1_11comp_targetILNS1_3genE10ELNS1_11target_archE1200ELNS1_3gpuE4ELNS1_3repE0EEENS1_60segmented_radix_sort_warp_sort_medium_config_static_selectorELNS0_4arch9wavefront6targetE0EEEvSK_
		.amdhsa_group_segment_fixed_size 0
		.amdhsa_private_segment_fixed_size 0
		.amdhsa_kernarg_size 88
		.amdhsa_user_sgpr_count 6
		.amdhsa_user_sgpr_private_segment_buffer 1
		.amdhsa_user_sgpr_dispatch_ptr 0
		.amdhsa_user_sgpr_queue_ptr 0
		.amdhsa_user_sgpr_kernarg_segment_ptr 1
		.amdhsa_user_sgpr_dispatch_id 0
		.amdhsa_user_sgpr_flat_scratch_init 0
		.amdhsa_user_sgpr_private_segment_size 0
		.amdhsa_wavefront_size32 1
		.amdhsa_uses_dynamic_stack 0
		.amdhsa_system_sgpr_private_segment_wavefront_offset 0
		.amdhsa_system_sgpr_workgroup_id_x 1
		.amdhsa_system_sgpr_workgroup_id_y 0
		.amdhsa_system_sgpr_workgroup_id_z 0
		.amdhsa_system_sgpr_workgroup_info 0
		.amdhsa_system_vgpr_workitem_id 0
		.amdhsa_next_free_vgpr 1
		.amdhsa_next_free_sgpr 1
		.amdhsa_reserve_vcc 0
		.amdhsa_reserve_flat_scratch 0
		.amdhsa_float_round_mode_32 0
		.amdhsa_float_round_mode_16_64 0
		.amdhsa_float_denorm_mode_32 3
		.amdhsa_float_denorm_mode_16_64 3
		.amdhsa_dx10_clamp 1
		.amdhsa_ieee_mode 1
		.amdhsa_fp16_overflow 0
		.amdhsa_workgroup_processor_mode 1
		.amdhsa_memory_ordered 1
		.amdhsa_forward_progress 1
		.amdhsa_shared_vgpr_count 0
		.amdhsa_exception_fp_ieee_invalid_op 0
		.amdhsa_exception_fp_denorm_src 0
		.amdhsa_exception_fp_ieee_div_zero 0
		.amdhsa_exception_fp_ieee_overflow 0
		.amdhsa_exception_fp_ieee_underflow 0
		.amdhsa_exception_fp_ieee_inexact 0
		.amdhsa_exception_int_div_zero 0
	.end_amdhsa_kernel
	.section	.text._ZN7rocprim17ROCPRIM_400000_NS6detail17trampoline_kernelINS0_14default_configENS1_36segmented_radix_sort_config_selectorIalEEZNS1_25segmented_radix_sort_implIS3_Lb0EPKaPaPKlPlN2at6native12_GLOBAL__N_18offset_tEEE10hipError_tPvRmT1_PNSt15iterator_traitsISK_E10value_typeET2_T3_PNSL_ISQ_E10value_typeET4_jRbjT5_SW_jjP12ihipStream_tbEUlT_E0_NS1_11comp_targetILNS1_3genE10ELNS1_11target_archE1200ELNS1_3gpuE4ELNS1_3repE0EEENS1_60segmented_radix_sort_warp_sort_medium_config_static_selectorELNS0_4arch9wavefront6targetE0EEEvSK_,"axG",@progbits,_ZN7rocprim17ROCPRIM_400000_NS6detail17trampoline_kernelINS0_14default_configENS1_36segmented_radix_sort_config_selectorIalEEZNS1_25segmented_radix_sort_implIS3_Lb0EPKaPaPKlPlN2at6native12_GLOBAL__N_18offset_tEEE10hipError_tPvRmT1_PNSt15iterator_traitsISK_E10value_typeET2_T3_PNSL_ISQ_E10value_typeET4_jRbjT5_SW_jjP12ihipStream_tbEUlT_E0_NS1_11comp_targetILNS1_3genE10ELNS1_11target_archE1200ELNS1_3gpuE4ELNS1_3repE0EEENS1_60segmented_radix_sort_warp_sort_medium_config_static_selectorELNS0_4arch9wavefront6targetE0EEEvSK_,comdat
.Lfunc_end406:
	.size	_ZN7rocprim17ROCPRIM_400000_NS6detail17trampoline_kernelINS0_14default_configENS1_36segmented_radix_sort_config_selectorIalEEZNS1_25segmented_radix_sort_implIS3_Lb0EPKaPaPKlPlN2at6native12_GLOBAL__N_18offset_tEEE10hipError_tPvRmT1_PNSt15iterator_traitsISK_E10value_typeET2_T3_PNSL_ISQ_E10value_typeET4_jRbjT5_SW_jjP12ihipStream_tbEUlT_E0_NS1_11comp_targetILNS1_3genE10ELNS1_11target_archE1200ELNS1_3gpuE4ELNS1_3repE0EEENS1_60segmented_radix_sort_warp_sort_medium_config_static_selectorELNS0_4arch9wavefront6targetE0EEEvSK_, .Lfunc_end406-_ZN7rocprim17ROCPRIM_400000_NS6detail17trampoline_kernelINS0_14default_configENS1_36segmented_radix_sort_config_selectorIalEEZNS1_25segmented_radix_sort_implIS3_Lb0EPKaPaPKlPlN2at6native12_GLOBAL__N_18offset_tEEE10hipError_tPvRmT1_PNSt15iterator_traitsISK_E10value_typeET2_T3_PNSL_ISQ_E10value_typeET4_jRbjT5_SW_jjP12ihipStream_tbEUlT_E0_NS1_11comp_targetILNS1_3genE10ELNS1_11target_archE1200ELNS1_3gpuE4ELNS1_3repE0EEENS1_60segmented_radix_sort_warp_sort_medium_config_static_selectorELNS0_4arch9wavefront6targetE0EEEvSK_
                                        ; -- End function
	.set _ZN7rocprim17ROCPRIM_400000_NS6detail17trampoline_kernelINS0_14default_configENS1_36segmented_radix_sort_config_selectorIalEEZNS1_25segmented_radix_sort_implIS3_Lb0EPKaPaPKlPlN2at6native12_GLOBAL__N_18offset_tEEE10hipError_tPvRmT1_PNSt15iterator_traitsISK_E10value_typeET2_T3_PNSL_ISQ_E10value_typeET4_jRbjT5_SW_jjP12ihipStream_tbEUlT_E0_NS1_11comp_targetILNS1_3genE10ELNS1_11target_archE1200ELNS1_3gpuE4ELNS1_3repE0EEENS1_60segmented_radix_sort_warp_sort_medium_config_static_selectorELNS0_4arch9wavefront6targetE0EEEvSK_.num_vgpr, 0
	.set _ZN7rocprim17ROCPRIM_400000_NS6detail17trampoline_kernelINS0_14default_configENS1_36segmented_radix_sort_config_selectorIalEEZNS1_25segmented_radix_sort_implIS3_Lb0EPKaPaPKlPlN2at6native12_GLOBAL__N_18offset_tEEE10hipError_tPvRmT1_PNSt15iterator_traitsISK_E10value_typeET2_T3_PNSL_ISQ_E10value_typeET4_jRbjT5_SW_jjP12ihipStream_tbEUlT_E0_NS1_11comp_targetILNS1_3genE10ELNS1_11target_archE1200ELNS1_3gpuE4ELNS1_3repE0EEENS1_60segmented_radix_sort_warp_sort_medium_config_static_selectorELNS0_4arch9wavefront6targetE0EEEvSK_.num_agpr, 0
	.set _ZN7rocprim17ROCPRIM_400000_NS6detail17trampoline_kernelINS0_14default_configENS1_36segmented_radix_sort_config_selectorIalEEZNS1_25segmented_radix_sort_implIS3_Lb0EPKaPaPKlPlN2at6native12_GLOBAL__N_18offset_tEEE10hipError_tPvRmT1_PNSt15iterator_traitsISK_E10value_typeET2_T3_PNSL_ISQ_E10value_typeET4_jRbjT5_SW_jjP12ihipStream_tbEUlT_E0_NS1_11comp_targetILNS1_3genE10ELNS1_11target_archE1200ELNS1_3gpuE4ELNS1_3repE0EEENS1_60segmented_radix_sort_warp_sort_medium_config_static_selectorELNS0_4arch9wavefront6targetE0EEEvSK_.numbered_sgpr, 0
	.set _ZN7rocprim17ROCPRIM_400000_NS6detail17trampoline_kernelINS0_14default_configENS1_36segmented_radix_sort_config_selectorIalEEZNS1_25segmented_radix_sort_implIS3_Lb0EPKaPaPKlPlN2at6native12_GLOBAL__N_18offset_tEEE10hipError_tPvRmT1_PNSt15iterator_traitsISK_E10value_typeET2_T3_PNSL_ISQ_E10value_typeET4_jRbjT5_SW_jjP12ihipStream_tbEUlT_E0_NS1_11comp_targetILNS1_3genE10ELNS1_11target_archE1200ELNS1_3gpuE4ELNS1_3repE0EEENS1_60segmented_radix_sort_warp_sort_medium_config_static_selectorELNS0_4arch9wavefront6targetE0EEEvSK_.num_named_barrier, 0
	.set _ZN7rocprim17ROCPRIM_400000_NS6detail17trampoline_kernelINS0_14default_configENS1_36segmented_radix_sort_config_selectorIalEEZNS1_25segmented_radix_sort_implIS3_Lb0EPKaPaPKlPlN2at6native12_GLOBAL__N_18offset_tEEE10hipError_tPvRmT1_PNSt15iterator_traitsISK_E10value_typeET2_T3_PNSL_ISQ_E10value_typeET4_jRbjT5_SW_jjP12ihipStream_tbEUlT_E0_NS1_11comp_targetILNS1_3genE10ELNS1_11target_archE1200ELNS1_3gpuE4ELNS1_3repE0EEENS1_60segmented_radix_sort_warp_sort_medium_config_static_selectorELNS0_4arch9wavefront6targetE0EEEvSK_.private_seg_size, 0
	.set _ZN7rocprim17ROCPRIM_400000_NS6detail17trampoline_kernelINS0_14default_configENS1_36segmented_radix_sort_config_selectorIalEEZNS1_25segmented_radix_sort_implIS3_Lb0EPKaPaPKlPlN2at6native12_GLOBAL__N_18offset_tEEE10hipError_tPvRmT1_PNSt15iterator_traitsISK_E10value_typeET2_T3_PNSL_ISQ_E10value_typeET4_jRbjT5_SW_jjP12ihipStream_tbEUlT_E0_NS1_11comp_targetILNS1_3genE10ELNS1_11target_archE1200ELNS1_3gpuE4ELNS1_3repE0EEENS1_60segmented_radix_sort_warp_sort_medium_config_static_selectorELNS0_4arch9wavefront6targetE0EEEvSK_.uses_vcc, 0
	.set _ZN7rocprim17ROCPRIM_400000_NS6detail17trampoline_kernelINS0_14default_configENS1_36segmented_radix_sort_config_selectorIalEEZNS1_25segmented_radix_sort_implIS3_Lb0EPKaPaPKlPlN2at6native12_GLOBAL__N_18offset_tEEE10hipError_tPvRmT1_PNSt15iterator_traitsISK_E10value_typeET2_T3_PNSL_ISQ_E10value_typeET4_jRbjT5_SW_jjP12ihipStream_tbEUlT_E0_NS1_11comp_targetILNS1_3genE10ELNS1_11target_archE1200ELNS1_3gpuE4ELNS1_3repE0EEENS1_60segmented_radix_sort_warp_sort_medium_config_static_selectorELNS0_4arch9wavefront6targetE0EEEvSK_.uses_flat_scratch, 0
	.set _ZN7rocprim17ROCPRIM_400000_NS6detail17trampoline_kernelINS0_14default_configENS1_36segmented_radix_sort_config_selectorIalEEZNS1_25segmented_radix_sort_implIS3_Lb0EPKaPaPKlPlN2at6native12_GLOBAL__N_18offset_tEEE10hipError_tPvRmT1_PNSt15iterator_traitsISK_E10value_typeET2_T3_PNSL_ISQ_E10value_typeET4_jRbjT5_SW_jjP12ihipStream_tbEUlT_E0_NS1_11comp_targetILNS1_3genE10ELNS1_11target_archE1200ELNS1_3gpuE4ELNS1_3repE0EEENS1_60segmented_radix_sort_warp_sort_medium_config_static_selectorELNS0_4arch9wavefront6targetE0EEEvSK_.has_dyn_sized_stack, 0
	.set _ZN7rocprim17ROCPRIM_400000_NS6detail17trampoline_kernelINS0_14default_configENS1_36segmented_radix_sort_config_selectorIalEEZNS1_25segmented_radix_sort_implIS3_Lb0EPKaPaPKlPlN2at6native12_GLOBAL__N_18offset_tEEE10hipError_tPvRmT1_PNSt15iterator_traitsISK_E10value_typeET2_T3_PNSL_ISQ_E10value_typeET4_jRbjT5_SW_jjP12ihipStream_tbEUlT_E0_NS1_11comp_targetILNS1_3genE10ELNS1_11target_archE1200ELNS1_3gpuE4ELNS1_3repE0EEENS1_60segmented_radix_sort_warp_sort_medium_config_static_selectorELNS0_4arch9wavefront6targetE0EEEvSK_.has_recursion, 0
	.set _ZN7rocprim17ROCPRIM_400000_NS6detail17trampoline_kernelINS0_14default_configENS1_36segmented_radix_sort_config_selectorIalEEZNS1_25segmented_radix_sort_implIS3_Lb0EPKaPaPKlPlN2at6native12_GLOBAL__N_18offset_tEEE10hipError_tPvRmT1_PNSt15iterator_traitsISK_E10value_typeET2_T3_PNSL_ISQ_E10value_typeET4_jRbjT5_SW_jjP12ihipStream_tbEUlT_E0_NS1_11comp_targetILNS1_3genE10ELNS1_11target_archE1200ELNS1_3gpuE4ELNS1_3repE0EEENS1_60segmented_radix_sort_warp_sort_medium_config_static_selectorELNS0_4arch9wavefront6targetE0EEEvSK_.has_indirect_call, 0
	.section	.AMDGPU.csdata,"",@progbits
; Kernel info:
; codeLenInByte = 0
; TotalNumSgprs: 0
; NumVgprs: 0
; ScratchSize: 0
; MemoryBound: 0
; FloatMode: 240
; IeeeMode: 1
; LDSByteSize: 0 bytes/workgroup (compile time only)
; SGPRBlocks: 0
; VGPRBlocks: 0
; NumSGPRsForWavesPerEU: 1
; NumVGPRsForWavesPerEU: 1
; Occupancy: 16
; WaveLimiterHint : 0
; COMPUTE_PGM_RSRC2:SCRATCH_EN: 0
; COMPUTE_PGM_RSRC2:USER_SGPR: 6
; COMPUTE_PGM_RSRC2:TRAP_HANDLER: 0
; COMPUTE_PGM_RSRC2:TGID_X_EN: 1
; COMPUTE_PGM_RSRC2:TGID_Y_EN: 0
; COMPUTE_PGM_RSRC2:TGID_Z_EN: 0
; COMPUTE_PGM_RSRC2:TIDIG_COMP_CNT: 0
	.section	.text._ZN7rocprim17ROCPRIM_400000_NS6detail17trampoline_kernelINS0_14default_configENS1_36segmented_radix_sort_config_selectorIalEEZNS1_25segmented_radix_sort_implIS3_Lb0EPKaPaPKlPlN2at6native12_GLOBAL__N_18offset_tEEE10hipError_tPvRmT1_PNSt15iterator_traitsISK_E10value_typeET2_T3_PNSL_ISQ_E10value_typeET4_jRbjT5_SW_jjP12ihipStream_tbEUlT_E0_NS1_11comp_targetILNS1_3genE9ELNS1_11target_archE1100ELNS1_3gpuE3ELNS1_3repE0EEENS1_60segmented_radix_sort_warp_sort_medium_config_static_selectorELNS0_4arch9wavefront6targetE0EEEvSK_,"axG",@progbits,_ZN7rocprim17ROCPRIM_400000_NS6detail17trampoline_kernelINS0_14default_configENS1_36segmented_radix_sort_config_selectorIalEEZNS1_25segmented_radix_sort_implIS3_Lb0EPKaPaPKlPlN2at6native12_GLOBAL__N_18offset_tEEE10hipError_tPvRmT1_PNSt15iterator_traitsISK_E10value_typeET2_T3_PNSL_ISQ_E10value_typeET4_jRbjT5_SW_jjP12ihipStream_tbEUlT_E0_NS1_11comp_targetILNS1_3genE9ELNS1_11target_archE1100ELNS1_3gpuE3ELNS1_3repE0EEENS1_60segmented_radix_sort_warp_sort_medium_config_static_selectorELNS0_4arch9wavefront6targetE0EEEvSK_,comdat
	.globl	_ZN7rocprim17ROCPRIM_400000_NS6detail17trampoline_kernelINS0_14default_configENS1_36segmented_radix_sort_config_selectorIalEEZNS1_25segmented_radix_sort_implIS3_Lb0EPKaPaPKlPlN2at6native12_GLOBAL__N_18offset_tEEE10hipError_tPvRmT1_PNSt15iterator_traitsISK_E10value_typeET2_T3_PNSL_ISQ_E10value_typeET4_jRbjT5_SW_jjP12ihipStream_tbEUlT_E0_NS1_11comp_targetILNS1_3genE9ELNS1_11target_archE1100ELNS1_3gpuE3ELNS1_3repE0EEENS1_60segmented_radix_sort_warp_sort_medium_config_static_selectorELNS0_4arch9wavefront6targetE0EEEvSK_ ; -- Begin function _ZN7rocprim17ROCPRIM_400000_NS6detail17trampoline_kernelINS0_14default_configENS1_36segmented_radix_sort_config_selectorIalEEZNS1_25segmented_radix_sort_implIS3_Lb0EPKaPaPKlPlN2at6native12_GLOBAL__N_18offset_tEEE10hipError_tPvRmT1_PNSt15iterator_traitsISK_E10value_typeET2_T3_PNSL_ISQ_E10value_typeET4_jRbjT5_SW_jjP12ihipStream_tbEUlT_E0_NS1_11comp_targetILNS1_3genE9ELNS1_11target_archE1100ELNS1_3gpuE3ELNS1_3repE0EEENS1_60segmented_radix_sort_warp_sort_medium_config_static_selectorELNS0_4arch9wavefront6targetE0EEEvSK_
	.p2align	8
	.type	_ZN7rocprim17ROCPRIM_400000_NS6detail17trampoline_kernelINS0_14default_configENS1_36segmented_radix_sort_config_selectorIalEEZNS1_25segmented_radix_sort_implIS3_Lb0EPKaPaPKlPlN2at6native12_GLOBAL__N_18offset_tEEE10hipError_tPvRmT1_PNSt15iterator_traitsISK_E10value_typeET2_T3_PNSL_ISQ_E10value_typeET4_jRbjT5_SW_jjP12ihipStream_tbEUlT_E0_NS1_11comp_targetILNS1_3genE9ELNS1_11target_archE1100ELNS1_3gpuE3ELNS1_3repE0EEENS1_60segmented_radix_sort_warp_sort_medium_config_static_selectorELNS0_4arch9wavefront6targetE0EEEvSK_,@function
_ZN7rocprim17ROCPRIM_400000_NS6detail17trampoline_kernelINS0_14default_configENS1_36segmented_radix_sort_config_selectorIalEEZNS1_25segmented_radix_sort_implIS3_Lb0EPKaPaPKlPlN2at6native12_GLOBAL__N_18offset_tEEE10hipError_tPvRmT1_PNSt15iterator_traitsISK_E10value_typeET2_T3_PNSL_ISQ_E10value_typeET4_jRbjT5_SW_jjP12ihipStream_tbEUlT_E0_NS1_11comp_targetILNS1_3genE9ELNS1_11target_archE1100ELNS1_3gpuE3ELNS1_3repE0EEENS1_60segmented_radix_sort_warp_sort_medium_config_static_selectorELNS0_4arch9wavefront6targetE0EEEvSK_: ; @_ZN7rocprim17ROCPRIM_400000_NS6detail17trampoline_kernelINS0_14default_configENS1_36segmented_radix_sort_config_selectorIalEEZNS1_25segmented_radix_sort_implIS3_Lb0EPKaPaPKlPlN2at6native12_GLOBAL__N_18offset_tEEE10hipError_tPvRmT1_PNSt15iterator_traitsISK_E10value_typeET2_T3_PNSL_ISQ_E10value_typeET4_jRbjT5_SW_jjP12ihipStream_tbEUlT_E0_NS1_11comp_targetILNS1_3genE9ELNS1_11target_archE1100ELNS1_3gpuE3ELNS1_3repE0EEENS1_60segmented_radix_sort_warp_sort_medium_config_static_selectorELNS0_4arch9wavefront6targetE0EEEvSK_
; %bb.0:
	.section	.rodata,"a",@progbits
	.p2align	6, 0x0
	.amdhsa_kernel _ZN7rocprim17ROCPRIM_400000_NS6detail17trampoline_kernelINS0_14default_configENS1_36segmented_radix_sort_config_selectorIalEEZNS1_25segmented_radix_sort_implIS3_Lb0EPKaPaPKlPlN2at6native12_GLOBAL__N_18offset_tEEE10hipError_tPvRmT1_PNSt15iterator_traitsISK_E10value_typeET2_T3_PNSL_ISQ_E10value_typeET4_jRbjT5_SW_jjP12ihipStream_tbEUlT_E0_NS1_11comp_targetILNS1_3genE9ELNS1_11target_archE1100ELNS1_3gpuE3ELNS1_3repE0EEENS1_60segmented_radix_sort_warp_sort_medium_config_static_selectorELNS0_4arch9wavefront6targetE0EEEvSK_
		.amdhsa_group_segment_fixed_size 0
		.amdhsa_private_segment_fixed_size 0
		.amdhsa_kernarg_size 88
		.amdhsa_user_sgpr_count 6
		.amdhsa_user_sgpr_private_segment_buffer 1
		.amdhsa_user_sgpr_dispatch_ptr 0
		.amdhsa_user_sgpr_queue_ptr 0
		.amdhsa_user_sgpr_kernarg_segment_ptr 1
		.amdhsa_user_sgpr_dispatch_id 0
		.amdhsa_user_sgpr_flat_scratch_init 0
		.amdhsa_user_sgpr_private_segment_size 0
		.amdhsa_wavefront_size32 1
		.amdhsa_uses_dynamic_stack 0
		.amdhsa_system_sgpr_private_segment_wavefront_offset 0
		.amdhsa_system_sgpr_workgroup_id_x 1
		.amdhsa_system_sgpr_workgroup_id_y 0
		.amdhsa_system_sgpr_workgroup_id_z 0
		.amdhsa_system_sgpr_workgroup_info 0
		.amdhsa_system_vgpr_workitem_id 0
		.amdhsa_next_free_vgpr 1
		.amdhsa_next_free_sgpr 1
		.amdhsa_reserve_vcc 0
		.amdhsa_reserve_flat_scratch 0
		.amdhsa_float_round_mode_32 0
		.amdhsa_float_round_mode_16_64 0
		.amdhsa_float_denorm_mode_32 3
		.amdhsa_float_denorm_mode_16_64 3
		.amdhsa_dx10_clamp 1
		.amdhsa_ieee_mode 1
		.amdhsa_fp16_overflow 0
		.amdhsa_workgroup_processor_mode 1
		.amdhsa_memory_ordered 1
		.amdhsa_forward_progress 1
		.amdhsa_shared_vgpr_count 0
		.amdhsa_exception_fp_ieee_invalid_op 0
		.amdhsa_exception_fp_denorm_src 0
		.amdhsa_exception_fp_ieee_div_zero 0
		.amdhsa_exception_fp_ieee_overflow 0
		.amdhsa_exception_fp_ieee_underflow 0
		.amdhsa_exception_fp_ieee_inexact 0
		.amdhsa_exception_int_div_zero 0
	.end_amdhsa_kernel
	.section	.text._ZN7rocprim17ROCPRIM_400000_NS6detail17trampoline_kernelINS0_14default_configENS1_36segmented_radix_sort_config_selectorIalEEZNS1_25segmented_radix_sort_implIS3_Lb0EPKaPaPKlPlN2at6native12_GLOBAL__N_18offset_tEEE10hipError_tPvRmT1_PNSt15iterator_traitsISK_E10value_typeET2_T3_PNSL_ISQ_E10value_typeET4_jRbjT5_SW_jjP12ihipStream_tbEUlT_E0_NS1_11comp_targetILNS1_3genE9ELNS1_11target_archE1100ELNS1_3gpuE3ELNS1_3repE0EEENS1_60segmented_radix_sort_warp_sort_medium_config_static_selectorELNS0_4arch9wavefront6targetE0EEEvSK_,"axG",@progbits,_ZN7rocprim17ROCPRIM_400000_NS6detail17trampoline_kernelINS0_14default_configENS1_36segmented_radix_sort_config_selectorIalEEZNS1_25segmented_radix_sort_implIS3_Lb0EPKaPaPKlPlN2at6native12_GLOBAL__N_18offset_tEEE10hipError_tPvRmT1_PNSt15iterator_traitsISK_E10value_typeET2_T3_PNSL_ISQ_E10value_typeET4_jRbjT5_SW_jjP12ihipStream_tbEUlT_E0_NS1_11comp_targetILNS1_3genE9ELNS1_11target_archE1100ELNS1_3gpuE3ELNS1_3repE0EEENS1_60segmented_radix_sort_warp_sort_medium_config_static_selectorELNS0_4arch9wavefront6targetE0EEEvSK_,comdat
.Lfunc_end407:
	.size	_ZN7rocprim17ROCPRIM_400000_NS6detail17trampoline_kernelINS0_14default_configENS1_36segmented_radix_sort_config_selectorIalEEZNS1_25segmented_radix_sort_implIS3_Lb0EPKaPaPKlPlN2at6native12_GLOBAL__N_18offset_tEEE10hipError_tPvRmT1_PNSt15iterator_traitsISK_E10value_typeET2_T3_PNSL_ISQ_E10value_typeET4_jRbjT5_SW_jjP12ihipStream_tbEUlT_E0_NS1_11comp_targetILNS1_3genE9ELNS1_11target_archE1100ELNS1_3gpuE3ELNS1_3repE0EEENS1_60segmented_radix_sort_warp_sort_medium_config_static_selectorELNS0_4arch9wavefront6targetE0EEEvSK_, .Lfunc_end407-_ZN7rocprim17ROCPRIM_400000_NS6detail17trampoline_kernelINS0_14default_configENS1_36segmented_radix_sort_config_selectorIalEEZNS1_25segmented_radix_sort_implIS3_Lb0EPKaPaPKlPlN2at6native12_GLOBAL__N_18offset_tEEE10hipError_tPvRmT1_PNSt15iterator_traitsISK_E10value_typeET2_T3_PNSL_ISQ_E10value_typeET4_jRbjT5_SW_jjP12ihipStream_tbEUlT_E0_NS1_11comp_targetILNS1_3genE9ELNS1_11target_archE1100ELNS1_3gpuE3ELNS1_3repE0EEENS1_60segmented_radix_sort_warp_sort_medium_config_static_selectorELNS0_4arch9wavefront6targetE0EEEvSK_
                                        ; -- End function
	.set _ZN7rocprim17ROCPRIM_400000_NS6detail17trampoline_kernelINS0_14default_configENS1_36segmented_radix_sort_config_selectorIalEEZNS1_25segmented_radix_sort_implIS3_Lb0EPKaPaPKlPlN2at6native12_GLOBAL__N_18offset_tEEE10hipError_tPvRmT1_PNSt15iterator_traitsISK_E10value_typeET2_T3_PNSL_ISQ_E10value_typeET4_jRbjT5_SW_jjP12ihipStream_tbEUlT_E0_NS1_11comp_targetILNS1_3genE9ELNS1_11target_archE1100ELNS1_3gpuE3ELNS1_3repE0EEENS1_60segmented_radix_sort_warp_sort_medium_config_static_selectorELNS0_4arch9wavefront6targetE0EEEvSK_.num_vgpr, 0
	.set _ZN7rocprim17ROCPRIM_400000_NS6detail17trampoline_kernelINS0_14default_configENS1_36segmented_radix_sort_config_selectorIalEEZNS1_25segmented_radix_sort_implIS3_Lb0EPKaPaPKlPlN2at6native12_GLOBAL__N_18offset_tEEE10hipError_tPvRmT1_PNSt15iterator_traitsISK_E10value_typeET2_T3_PNSL_ISQ_E10value_typeET4_jRbjT5_SW_jjP12ihipStream_tbEUlT_E0_NS1_11comp_targetILNS1_3genE9ELNS1_11target_archE1100ELNS1_3gpuE3ELNS1_3repE0EEENS1_60segmented_radix_sort_warp_sort_medium_config_static_selectorELNS0_4arch9wavefront6targetE0EEEvSK_.num_agpr, 0
	.set _ZN7rocprim17ROCPRIM_400000_NS6detail17trampoline_kernelINS0_14default_configENS1_36segmented_radix_sort_config_selectorIalEEZNS1_25segmented_radix_sort_implIS3_Lb0EPKaPaPKlPlN2at6native12_GLOBAL__N_18offset_tEEE10hipError_tPvRmT1_PNSt15iterator_traitsISK_E10value_typeET2_T3_PNSL_ISQ_E10value_typeET4_jRbjT5_SW_jjP12ihipStream_tbEUlT_E0_NS1_11comp_targetILNS1_3genE9ELNS1_11target_archE1100ELNS1_3gpuE3ELNS1_3repE0EEENS1_60segmented_radix_sort_warp_sort_medium_config_static_selectorELNS0_4arch9wavefront6targetE0EEEvSK_.numbered_sgpr, 0
	.set _ZN7rocprim17ROCPRIM_400000_NS6detail17trampoline_kernelINS0_14default_configENS1_36segmented_radix_sort_config_selectorIalEEZNS1_25segmented_radix_sort_implIS3_Lb0EPKaPaPKlPlN2at6native12_GLOBAL__N_18offset_tEEE10hipError_tPvRmT1_PNSt15iterator_traitsISK_E10value_typeET2_T3_PNSL_ISQ_E10value_typeET4_jRbjT5_SW_jjP12ihipStream_tbEUlT_E0_NS1_11comp_targetILNS1_3genE9ELNS1_11target_archE1100ELNS1_3gpuE3ELNS1_3repE0EEENS1_60segmented_radix_sort_warp_sort_medium_config_static_selectorELNS0_4arch9wavefront6targetE0EEEvSK_.num_named_barrier, 0
	.set _ZN7rocprim17ROCPRIM_400000_NS6detail17trampoline_kernelINS0_14default_configENS1_36segmented_radix_sort_config_selectorIalEEZNS1_25segmented_radix_sort_implIS3_Lb0EPKaPaPKlPlN2at6native12_GLOBAL__N_18offset_tEEE10hipError_tPvRmT1_PNSt15iterator_traitsISK_E10value_typeET2_T3_PNSL_ISQ_E10value_typeET4_jRbjT5_SW_jjP12ihipStream_tbEUlT_E0_NS1_11comp_targetILNS1_3genE9ELNS1_11target_archE1100ELNS1_3gpuE3ELNS1_3repE0EEENS1_60segmented_radix_sort_warp_sort_medium_config_static_selectorELNS0_4arch9wavefront6targetE0EEEvSK_.private_seg_size, 0
	.set _ZN7rocprim17ROCPRIM_400000_NS6detail17trampoline_kernelINS0_14default_configENS1_36segmented_radix_sort_config_selectorIalEEZNS1_25segmented_radix_sort_implIS3_Lb0EPKaPaPKlPlN2at6native12_GLOBAL__N_18offset_tEEE10hipError_tPvRmT1_PNSt15iterator_traitsISK_E10value_typeET2_T3_PNSL_ISQ_E10value_typeET4_jRbjT5_SW_jjP12ihipStream_tbEUlT_E0_NS1_11comp_targetILNS1_3genE9ELNS1_11target_archE1100ELNS1_3gpuE3ELNS1_3repE0EEENS1_60segmented_radix_sort_warp_sort_medium_config_static_selectorELNS0_4arch9wavefront6targetE0EEEvSK_.uses_vcc, 0
	.set _ZN7rocprim17ROCPRIM_400000_NS6detail17trampoline_kernelINS0_14default_configENS1_36segmented_radix_sort_config_selectorIalEEZNS1_25segmented_radix_sort_implIS3_Lb0EPKaPaPKlPlN2at6native12_GLOBAL__N_18offset_tEEE10hipError_tPvRmT1_PNSt15iterator_traitsISK_E10value_typeET2_T3_PNSL_ISQ_E10value_typeET4_jRbjT5_SW_jjP12ihipStream_tbEUlT_E0_NS1_11comp_targetILNS1_3genE9ELNS1_11target_archE1100ELNS1_3gpuE3ELNS1_3repE0EEENS1_60segmented_radix_sort_warp_sort_medium_config_static_selectorELNS0_4arch9wavefront6targetE0EEEvSK_.uses_flat_scratch, 0
	.set _ZN7rocprim17ROCPRIM_400000_NS6detail17trampoline_kernelINS0_14default_configENS1_36segmented_radix_sort_config_selectorIalEEZNS1_25segmented_radix_sort_implIS3_Lb0EPKaPaPKlPlN2at6native12_GLOBAL__N_18offset_tEEE10hipError_tPvRmT1_PNSt15iterator_traitsISK_E10value_typeET2_T3_PNSL_ISQ_E10value_typeET4_jRbjT5_SW_jjP12ihipStream_tbEUlT_E0_NS1_11comp_targetILNS1_3genE9ELNS1_11target_archE1100ELNS1_3gpuE3ELNS1_3repE0EEENS1_60segmented_radix_sort_warp_sort_medium_config_static_selectorELNS0_4arch9wavefront6targetE0EEEvSK_.has_dyn_sized_stack, 0
	.set _ZN7rocprim17ROCPRIM_400000_NS6detail17trampoline_kernelINS0_14default_configENS1_36segmented_radix_sort_config_selectorIalEEZNS1_25segmented_radix_sort_implIS3_Lb0EPKaPaPKlPlN2at6native12_GLOBAL__N_18offset_tEEE10hipError_tPvRmT1_PNSt15iterator_traitsISK_E10value_typeET2_T3_PNSL_ISQ_E10value_typeET4_jRbjT5_SW_jjP12ihipStream_tbEUlT_E0_NS1_11comp_targetILNS1_3genE9ELNS1_11target_archE1100ELNS1_3gpuE3ELNS1_3repE0EEENS1_60segmented_radix_sort_warp_sort_medium_config_static_selectorELNS0_4arch9wavefront6targetE0EEEvSK_.has_recursion, 0
	.set _ZN7rocprim17ROCPRIM_400000_NS6detail17trampoline_kernelINS0_14default_configENS1_36segmented_radix_sort_config_selectorIalEEZNS1_25segmented_radix_sort_implIS3_Lb0EPKaPaPKlPlN2at6native12_GLOBAL__N_18offset_tEEE10hipError_tPvRmT1_PNSt15iterator_traitsISK_E10value_typeET2_T3_PNSL_ISQ_E10value_typeET4_jRbjT5_SW_jjP12ihipStream_tbEUlT_E0_NS1_11comp_targetILNS1_3genE9ELNS1_11target_archE1100ELNS1_3gpuE3ELNS1_3repE0EEENS1_60segmented_radix_sort_warp_sort_medium_config_static_selectorELNS0_4arch9wavefront6targetE0EEEvSK_.has_indirect_call, 0
	.section	.AMDGPU.csdata,"",@progbits
; Kernel info:
; codeLenInByte = 0
; TotalNumSgprs: 0
; NumVgprs: 0
; ScratchSize: 0
; MemoryBound: 0
; FloatMode: 240
; IeeeMode: 1
; LDSByteSize: 0 bytes/workgroup (compile time only)
; SGPRBlocks: 0
; VGPRBlocks: 0
; NumSGPRsForWavesPerEU: 1
; NumVGPRsForWavesPerEU: 1
; Occupancy: 16
; WaveLimiterHint : 0
; COMPUTE_PGM_RSRC2:SCRATCH_EN: 0
; COMPUTE_PGM_RSRC2:USER_SGPR: 6
; COMPUTE_PGM_RSRC2:TRAP_HANDLER: 0
; COMPUTE_PGM_RSRC2:TGID_X_EN: 1
; COMPUTE_PGM_RSRC2:TGID_Y_EN: 0
; COMPUTE_PGM_RSRC2:TGID_Z_EN: 0
; COMPUTE_PGM_RSRC2:TIDIG_COMP_CNT: 0
	.text
	.p2align	2                               ; -- Begin function _ZN7rocprim17ROCPRIM_400000_NS6detail26segmented_warp_sort_helperINS1_20WarpSortHelperConfigILj32ELj4ELj256EEEalLi256ELb0EvE4sortIPKaPaPKlPlEEvT_T0_T1_T2_jjjjRNS5_12storage_typeE
	.type	_ZN7rocprim17ROCPRIM_400000_NS6detail26segmented_warp_sort_helperINS1_20WarpSortHelperConfigILj32ELj4ELj256EEEalLi256ELb0EvE4sortIPKaPaPKlPlEEvT_T0_T1_T2_jjjjRNS5_12storage_typeE,@function
_ZN7rocprim17ROCPRIM_400000_NS6detail26segmented_warp_sort_helperINS1_20WarpSortHelperConfigILj32ELj4ELj256EEEalLi256ELb0EvE4sortIPKaPaPKlPlEEvT_T0_T1_T2_jjjjRNS5_12storage_typeE: ; @_ZN7rocprim17ROCPRIM_400000_NS6detail26segmented_warp_sort_helperINS1_20WarpSortHelperConfigILj32ELj4ELj256EEEalLi256ELb0EvE4sortIPKaPaPKlPlEEvT_T0_T1_T2_jjjjRNS5_12storage_typeE
; %bb.0:
	s_waitcnt vmcnt(0) expcnt(0) lgkmcnt(0)
	v_mbcnt_lo_u32_b32 v15, -1, 0
	v_add_co_u32 v0, vcc_lo, v0, v8
	v_sub_nc_u32_e32 v14, v9, v8
	v_add_co_ci_u32_e64 v1, null, 0, v1, vcc_lo
	v_lshlrev_b32_e32 v22, 2, v15
	v_mov_b32_e32 v9, 0
	v_mov_b32_e32 v26, 0x7f
	;; [unrolled: 1-line block ×4, first 2 shown]
	v_add_co_u32 v0, vcc_lo, v0, v22
	v_add_co_ci_u32_e64 v1, null, 0, v1, vcc_lo
	v_cmp_lt_u32_e32 vcc_lo, v22, v14
	v_mov_b32_e32 v27, 0x7f
	s_and_saveexec_b32 s4, vcc_lo
	s_cbranch_execz .LBB408_2
; %bb.1:
	flat_load_ubyte v24, v[0:1]
	v_mov_b32_e32 v26, 0x7f
	v_mov_b32_e32 v25, 0x7f
	;; [unrolled: 1-line block ×3, first 2 shown]
.LBB408_2:
	s_or_b32 exec_lo, exec_lo, s4
	v_or_b32_e32 v15, 1, v22
	v_cmp_lt_u32_e64 s4, v15, v14
	s_and_saveexec_b32 s5, s4
	s_cbranch_execz .LBB408_4
; %bb.3:
	flat_load_ubyte v25, v[0:1] offset:1
.LBB408_4:
	s_or_b32 exec_lo, exec_lo, s5
	v_or_b32_e32 v15, 2, v22
	v_cmp_lt_u32_e64 s5, v15, v14
	s_and_saveexec_b32 s6, s5
	s_cbranch_execz .LBB408_6
; %bb.5:
	flat_load_ubyte v27, v[0:1] offset:2
.LBB408_6:
	s_or_b32 exec_lo, exec_lo, s6
	v_or_b32_e32 v15, 3, v22
	v_cmp_lt_u32_e64 s6, v15, v14
	s_and_saveexec_b32 s7, s6
	s_cbranch_execz .LBB408_8
; %bb.7:
	flat_load_ubyte v26, v[0:1] offset:3
.LBB408_8:
	s_or_b32 exec_lo, exec_lo, s7
	v_lshlrev_b64 v[0:1], 3, v[8:9]
	v_lshlrev_b32_e32 v23, 3, v22
	; wave barrier
	v_add_co_u32 v4, s7, v4, v0
	v_add_co_ci_u32_e64 v5, null, v5, v1, s7
	v_add_co_u32 v20, s7, v4, v23
	v_add_co_ci_u32_e64 v21, null, 0, v5, s7
                                        ; implicit-def: $vgpr4_vgpr5
	s_and_saveexec_b32 s7, vcc_lo
	s_cbranch_execnz .LBB408_147
; %bb.9:
	s_or_b32 exec_lo, exec_lo, s7
                                        ; implicit-def: $vgpr14_vgpr15
	s_and_saveexec_b32 s7, s4
	s_cbranch_execnz .LBB408_148
.LBB408_10:
	s_or_b32 exec_lo, exec_lo, s7
                                        ; implicit-def: $vgpr18_vgpr19
	s_and_saveexec_b32 s7, s5
	s_cbranch_execnz .LBB408_149
.LBB408_11:
	s_or_b32 exec_lo, exec_lo, s7
                                        ; implicit-def: $vgpr16_vgpr17
	s_and_saveexec_b32 s7, s6
	s_cbranch_execz .LBB408_13
.LBB408_12:
	flat_load_dwordx2 v[16:17], v[20:21] offset:24
.LBB408_13:
	s_or_b32 exec_lo, exec_lo, s7
	v_cmp_ne_u32_e64 s7, 0, v10
	v_cmp_ne_u32_e64 s10, 8, v11
	v_bfe_u32 v20, v31, 10, 10
	v_bfe_u32 v21, v31, 20, 10
	v_and_b32_e32 v9, 0x3ff, v31
	s_or_b32 s7, s7, s10
	; wave barrier
	s_and_saveexec_b32 s10, s7
	s_xor_b32 s16, exec_lo, s10
	s_cbranch_execz .LBB408_75
; %bb.14:
	s_load_dwordx2 s[10:11], s[8:9], 0x0
	v_mov_b32_e32 v28, 0
	v_lshlrev_b32_e64 v10, v10, -1
	s_waitcnt lgkmcnt(0)
	s_cmp_lt_u32 s13, s11
	s_cselect_b32 s7, 14, 20
	s_add_u32 s14, s8, s7
	s_addc_u32 s15, s9, 0
	s_cmp_lt_u32 s12, s10
	global_load_ushort v29, v28, s[14:15]
	s_cselect_b32 s7, 12, 18
	s_mov_b32 s14, exec_lo
	s_add_u32 s10, s8, s7
	s_addc_u32 s11, s9, 0
	global_load_ushort v28, v28, s[10:11]
	s_waitcnt vmcnt(1)
	v_mad_u32_u24 v20, v21, v29, v20
	v_lshlrev_b32_e64 v21, v11, -1
	s_waitcnt vmcnt(0)
	v_mul_lo_u32 v20, v20, v28
	v_xor_b32_e32 v28, v21, v10
	v_add_lshl_u32 v11, v20, v9, 2
	v_cmpx_gt_u32_e32 0x400, v11
	s_cbranch_execz .LBB408_24
; %bb.15:
	v_perm_b32 v9, v27, v26, 0xc0c0004
	v_perm_b32 v10, v25, v24, 0xc0c0004
	;; [unrolled: 1-line block ×3, first 2 shown]
	v_and_b32_e32 v21, v25, v28
	v_and_b32_e32 v24, v24, v28
	v_lshlrev_b32_e32 v9, 16, v9
	s_mov_b32 s11, exec_lo
	v_cmp_gt_i16_sdwa s7, sext(v24), sext(v21) src0_sel:BYTE_0 src1_sel:BYTE_0
	v_or_b32_e32 v10, v10, v9
	v_or_b32_e32 v9, v20, v9
	v_cndmask_b32_e64 v24, v9, v10, s7
	v_lshrrev_b32_e32 v20, 24, v24
	v_lshrrev_b32_e32 v25, 16, v24
	;; [unrolled: 1-line block ×3, first 2 shown]
	v_and_b32_e32 v9, v20, v28
	v_and_b32_e32 v10, v25, v28
	v_mov_b32_e32 v27, v20
	v_bfe_i32 v21, v9, 0, 8
	v_bfe_i32 v30, v10, 0, 8
	v_mov_b32_e32 v9, v18
	v_mov_b32_e32 v10, v19
	v_cmpx_gt_i16_e64 v30, v21
	s_cbranch_execz .LBB408_17
; %bb.16:
	v_mov_b32_e32 v9, v16
	v_mov_b32_e32 v10, v17
	;; [unrolled: 1-line block ×7, first 2 shown]
.LBB408_17:
	s_or_b32 exec_lo, exec_lo, s11
	v_and_b32_e32 v18, v26, v28
	v_cndmask_b32_e64 v20, v14, v4, s7
	v_cndmask_b32_e64 v21, v15, v5, s7
	v_bfe_i32 v29, v18, 0, 8
	v_mov_b32_e32 v18, v20
	v_mov_b32_e32 v19, v21
	v_cmp_gt_i16_e64 s10, v29, v30
	s_and_saveexec_b32 s11, s10
	s_xor_b32 s10, exec_lo, s11
	s_cbranch_execz .LBB408_19
; %bb.18:
	v_mov_b32_e32 v30, v26
	v_mov_b32_e32 v19, v10
	;; [unrolled: 1-line block ×4, first 2 shown]
	v_and_b32_e32 v29, v25, v28
	v_mov_b32_e32 v10, v21
	v_mov_b32_e32 v26, v25
	;; [unrolled: 1-line block ×3, first 2 shown]
.LBB408_19:
	s_or_b32 exec_lo, exec_lo, s10
	v_perm_b32 v20, v25, v27, 0xc0c0004
	v_perm_b32 v21, v26, v24, 0xc0c0004
	;; [unrolled: 1-line block ×3, first 2 shown]
	v_and_b32_e32 v24, v24, v28
	s_mov_b32 s15, exec_lo
	v_lshlrev_b32_e32 v20, 16, v20
	v_cmp_gt_i16_sdwa s10, sext(v24), sext(v29) src0_sel:BYTE_0 src1_sel:BYTE_0
	v_or_b32_e32 v21, v21, v20
	v_or_b32_e32 v20, v25, v20
	v_cndmask_b32_e64 v24, v20, v21, s10
	v_lshrrev_b32_e32 v30, 24, v24
	v_lshrrev_b32_e32 v27, 16, v24
	;; [unrolled: 1-line block ×3, first 2 shown]
	v_and_b32_e32 v20, v30, v28
	v_and_b32_e32 v21, v27, v28
	v_mov_b32_e32 v26, v30
	v_bfe_i32 v31, v20, 0, 8
	v_bfe_i32 v29, v21, 0, 8
	v_mov_b32_e32 v21, v10
	v_mov_b32_e32 v20, v9
	v_cmpx_gt_i16_e64 v29, v31
	s_cbranch_execz .LBB408_21
; %bb.20:
	v_mov_b32_e32 v21, v17
	v_mov_b32_e32 v20, v16
	;; [unrolled: 1-line block ×7, first 2 shown]
.LBB408_21:
	s_or_b32 exec_lo, exec_lo, s15
	v_cndmask_b32_e64 v9, v5, v15, s7
	v_cndmask_b32_e64 v10, v4, v14, s7
	v_and_b32_e32 v30, v25, v28
	v_cndmask_b32_e64 v5, v9, v19, s10
	v_cndmask_b32_e64 v4, v10, v18, s10
	;; [unrolled: 1-line block ×4, first 2 shown]
	v_mov_b32_e32 v18, v20
	v_cmp_gt_i16_sdwa s10, sext(v30), v29 src0_sel:BYTE_0 src1_sel:DWORD
	v_mov_b32_e32 v19, v21
	s_and_saveexec_b32 s7, s10
; %bb.22:
	v_mov_b32_e32 v19, v15
	v_mov_b32_e32 v9, v25
	v_swap_b32 v25, v27
	v_mov_b32_e32 v18, v14
	v_mov_b32_e32 v14, v20
	;; [unrolled: 1-line block ×3, first 2 shown]
; %bb.23:
	s_or_b32 exec_lo, exec_lo, s7
.LBB408_24:
	s_or_b32 exec_lo, exec_lo, s14
	v_and_b32_e32 v9, 0xffffff80, v11
	v_or_b32_e32 v10, 4, v22
	v_and_b32_e32 v32, 0x78, v22
	v_perm_b32 v21, v24, v25, 0xc0c0004
	v_perm_b32 v29, v27, v26, 0xc0c0004
	v_sub_nc_u32_e64 v20, 0x400, v9 clamp
	v_add_co_u32 v11, s7, v12, v9
	v_add_co_ci_u32_e64 v12, null, 0, v13, s7
	v_min_u32_e32 v30, v20, v10
	v_and_b32_e32 v13, 4, v22
	v_lshl_or_b32 v21, v29, 16, v21
	s_mov_b32 s10, exec_lo
	v_add_nc_u32_e32 v10, 4, v30
	v_min_u32_e32 v33, v20, v13
	v_sub_nc_u32_e32 v35, v30, v32
	v_min_u32_e32 v31, v20, v10
	v_mad_u64_u32 v[9:10], null, v9, 7, v[11:12]
	v_add_co_u32 v10, null, v11, v22
	v_sub_nc_u32_e32 v13, v31, v30
	v_lshl_add_u32 v12, v22, 3, v9
	v_sub_nc_u32_e64 v34, v33, v13 clamp
	v_min_u32_e32 v13, v33, v35
	ds_write2_b64 v12, v[4:5], v[14:15] offset0:128 offset1:129
	ds_write_b64 v12, v[18:19] offset:1040
	ds_write_b32 v10, v21
	ds_write_b64 v12, v[16:17] offset:1048
	; wave barrier
	v_cmpx_lt_u32_e64 v34, v13
	s_cbranch_execz .LBB408_28
; %bb.25:
	v_add_co_u32 v21, null, v11, v32
	v_add_co_u32 v29, null, v11, v30
	s_mov_b32 s11, 0
	.p2align	6
.LBB408_26:                             ; =>This Inner Loop Header: Depth=1
	v_add_nc_u32_e32 v35, v13, v34
	v_lshrrev_b32_e32 v35, 1, v35
	v_not_b32_e32 v36, v35
	v_add_nc_u32_e32 v37, v21, v35
	v_add_nc_u32_e32 v38, 1, v35
	v_add3_u32 v36, v33, v36, v29
	ds_read_u8 v37, v37
	ds_read_u8 v36, v36
	s_waitcnt lgkmcnt(1)
	v_and_b32_e32 v37, v37, v28
	s_waitcnt lgkmcnt(0)
	v_and_b32_e32 v36, v36, v28
	v_cmp_gt_i16_sdwa s7, sext(v37), sext(v36) src0_sel:BYTE_0 src1_sel:BYTE_0
	v_cndmask_b32_e64 v13, v13, v35, s7
	v_cndmask_b32_e64 v34, v38, v34, s7
	v_cmp_ge_u32_e64 s7, v34, v13
	s_or_b32 s11, s7, s11
	s_andn2_b32 exec_lo, exec_lo, s11
	s_cbranch_execnz .LBB408_26
; %bb.27:
	s_or_b32 exec_lo, exec_lo, s11
.LBB408_28:
	s_or_b32 exec_lo, exec_lo, s10
	v_add_nc_u32_e32 v35, v30, v33
	v_add_nc_u32_e32 v33, v34, v32
	;; [unrolled: 1-line block ×5, first 2 shown]
	v_sub_nc_u32_e32 v32, v35, v34
	v_cmp_le_u32_e64 s7, v33, v30
	v_add_nc_u32_e32 v12, 0x418, v12
	v_cmp_le_u32_e64 s10, v32, v31
	s_or_b32 s7, s7, s10
	s_and_saveexec_b32 s17, s7
	s_cbranch_execz .LBB408_34
; %bb.29:
	v_cmp_lt_u32_e64 s7, v33, v30
                                        ; implicit-def: $vgpr24
	s_and_saveexec_b32 s10, s7
; %bb.30:
	v_add_nc_u32_e32 v4, v11, v33
	ds_read_u8 v24, v4
; %bb.31:
	s_or_b32 exec_lo, exec_lo, s10
	v_cmp_ge_u32_e64 s10, v32, v31
	s_mov_b32 s14, exec_lo
                                        ; implicit-def: $vgpr25
	v_cmpx_lt_u32_e64 v32, v31
; %bb.32:
	v_add_nc_u32_e32 v4, v11, v32
	ds_read_u8 v25, v4
; %bb.33:
	s_or_b32 exec_lo, exec_lo, s14
	s_waitcnt lgkmcnt(0)
	v_and_b32_e32 v4, v25, v28
	v_and_b32_e32 v5, v24, v28
	v_cmp_le_i16_sdwa s11, sext(v5), sext(v4) src0_sel:BYTE_0 src1_sel:BYTE_0
	s_and_b32 s7, s7, s11
	s_or_b32 s7, s10, s7
	v_cndmask_b32_e64 v4, v32, v33, s7
	v_cndmask_b32_e64 v5, v31, v30, s7
	v_add_nc_u32_e32 v14, 1, v4
	v_add_nc_u32_e32 v5, -1, v5
	v_lshl_add_u32 v4, v4, 3, v9
	v_min_u32_e32 v5, v14, v5
	v_add_nc_u32_e32 v5, v11, v5
	ds_read_u8 v5, v5
	s_waitcnt lgkmcnt(0)
	v_cndmask_b32_e64 v26, v5, v25, s7
	v_cndmask_b32_e64 v27, v24, v5, s7
	;; [unrolled: 1-line block ×5, first 2 shown]
	v_and_b32_e32 v15, v26, v28
	v_and_b32_e32 v16, v27, v28
	v_cmp_lt_u32_e64 s10, v5, v30
	v_cmp_ge_u32_e64 s11, v14, v31
	v_cmp_le_i16_sdwa s14, sext(v16), sext(v15) src0_sel:BYTE_0 src1_sel:BYTE_0
	s_and_b32 s10, s10, s14
	s_or_b32 s10, s11, s10
	v_cndmask_b32_e64 v15, v14, v5, s10
	v_cndmask_b32_e64 v16, v31, v30, s10
	;; [unrolled: 1-line block ×3, first 2 shown]
	v_add_nc_u32_e32 v17, 1, v15
	v_add_nc_u32_e32 v16, -1, v16
	v_cndmask_b32_e64 v5, v5, v17, s10
	v_min_u32_e32 v16, v17, v16
	v_cndmask_b32_e64 v14, v17, v14, s10
	v_cmp_lt_u32_e64 s11, v5, v30
	v_add_nc_u32_e32 v16, v11, v16
	v_cmp_ge_u32_e64 s14, v14, v31
	ds_read_u8 v16, v16
	s_waitcnt lgkmcnt(0)
	v_cndmask_b32_e64 v32, v16, v26, s10
	v_cndmask_b32_e64 v33, v27, v16, s10
	v_and_b32_e32 v16, v32, v28
	v_and_b32_e32 v18, v33, v28
	v_cmp_le_i16_sdwa s15, sext(v18), sext(v16) src0_sel:BYTE_0 src1_sel:BYTE_0
	s_and_b32 s11, s11, s15
	s_or_b32 s11, s14, s11
	v_cndmask_b32_e64 v16, v14, v5, s11
	v_cndmask_b32_e64 v17, v31, v30, s11
	;; [unrolled: 1-line block ×3, first 2 shown]
	v_add_nc_u32_e32 v18, 1, v16
	v_add_nc_u32_e32 v17, -1, v17
	v_lshl_add_u32 v16, v16, 3, v9
	v_cndmask_b32_e64 v5, v5, v18, s11
	v_min_u32_e32 v17, v18, v17
	v_cndmask_b32_e64 v14, v18, v14, s11
	v_cmp_lt_u32_e64 s14, v5, v30
	v_add_nc_u32_e32 v17, v11, v17
	v_cmp_ge_u32_e64 s15, v14, v31
	ds_read_u8 v17, v17
	s_waitcnt lgkmcnt(0)
	v_cndmask_b32_e64 v34, v17, v32, s11
	v_cndmask_b32_e64 v35, v33, v17, s11
	v_and_b32_e32 v17, v34, v28
	v_and_b32_e32 v19, v35, v28
	v_cmp_le_i16_sdwa s18, sext(v19), sext(v17) src0_sel:BYTE_0 src1_sel:BYTE_0
	s_and_b32 s14, s14, s18
	s_or_b32 s14, s15, s14
	v_cndmask_b32_e64 v5, v14, v5, s14
	v_lshl_add_u32 v14, v15, 3, v9
	v_cndmask_b32_e64 v26, v34, v35, s14
	v_lshl_add_u32 v17, v5, 3, v9
	ds_read_b64 v[4:5], v4 offset:1024
	ds_read_b64 v[14:15], v14 offset:1024
	;; [unrolled: 1-line block ×4, first 2 shown]
.LBB408_34:
	s_or_b32 exec_lo, exec_lo, s17
	v_and_b32_e32 v35, 0x70, v22
	v_and_b32_e32 v31, 12, v22
	s_mov_b32 s10, exec_lo
	; wave barrier
	v_or_b32_e32 v30, 8, v35
	v_min_u32_e32 v36, v20, v31
	ds_write_b8 v10, v24
	s_waitcnt lgkmcnt(4)
	ds_write_b64 v29, v[4:5]
	ds_write_b8 v10, v25 offset:1
	s_waitcnt lgkmcnt(5)
	ds_write_b64 v21, v[14:15]
	ds_write_b8 v10, v27 offset:2
	;; [unrolled: 3-line block ×3, first 2 shown]
	s_waitcnt lgkmcnt(7)
	ds_write_b64 v12, v[16:17]
	v_min_u32_e32 v33, v20, v30
	; wave barrier
	v_add_nc_u32_e32 v30, 8, v33
	v_sub_nc_u32_e32 v31, v33, v35
	v_min_u32_e32 v34, v20, v30
	v_sub_nc_u32_e32 v30, v34, v33
	v_sub_nc_u32_e64 v37, v36, v30 clamp
	v_min_u32_e32 v30, v36, v31
	v_cmpx_lt_u32_e64 v37, v30
	s_cbranch_execz .LBB408_38
; %bb.35:
	v_add_co_u32 v31, null, v11, v35
	v_add_co_u32 v32, null, v11, v33
	s_mov_b32 s11, 0
	.p2align	6
.LBB408_36:                             ; =>This Inner Loop Header: Depth=1
	v_add_nc_u32_e32 v38, v30, v37
	v_lshrrev_b32_e32 v38, 1, v38
	v_not_b32_e32 v39, v38
	v_add_nc_u32_e32 v48, v31, v38
	v_add_nc_u32_e32 v49, 1, v38
	v_add3_u32 v39, v36, v39, v32
	ds_read_u8 v48, v48
	ds_read_u8 v39, v39
	s_waitcnt lgkmcnt(1)
	v_and_b32_e32 v48, v48, v28
	s_waitcnt lgkmcnt(0)
	v_and_b32_e32 v39, v39, v28
	v_cmp_gt_i16_sdwa s7, sext(v48), sext(v39) src0_sel:BYTE_0 src1_sel:BYTE_0
	v_cndmask_b32_e64 v30, v30, v38, s7
	v_cndmask_b32_e64 v37, v49, v37, s7
	v_cmp_ge_u32_e64 s7, v37, v30
	s_or_b32 s11, s7, s11
	s_andn2_b32 exec_lo, exec_lo, s11
	s_cbranch_execnz .LBB408_36
; %bb.37:
	s_or_b32 exec_lo, exec_lo, s11
.LBB408_38:
	s_or_b32 exec_lo, exec_lo, s10
	v_add_nc_u32_e32 v38, v33, v36
	v_add_nc_u32_e32 v36, v37, v35
	;; [unrolled: 1-line block ×5, first 2 shown]
	v_sub_nc_u32_e32 v35, v38, v37
	v_cmp_le_u32_e64 s7, v36, v33
	v_cmp_le_u32_e64 s10, v35, v34
	s_or_b32 s7, s7, s10
	s_and_saveexec_b32 s17, s7
	s_cbranch_execz .LBB408_44
; %bb.39:
	v_cmp_lt_u32_e64 s7, v36, v33
                                        ; implicit-def: $vgpr24
	s_and_saveexec_b32 s10, s7
; %bb.40:
	v_add_nc_u32_e32 v4, v11, v36
	ds_read_u8 v24, v4
; %bb.41:
	s_or_b32 exec_lo, exec_lo, s10
	v_cmp_ge_u32_e64 s10, v35, v34
	s_mov_b32 s14, exec_lo
                                        ; implicit-def: $vgpr25
	v_cmpx_lt_u32_e64 v35, v34
; %bb.42:
	v_add_nc_u32_e32 v4, v11, v35
	ds_read_u8 v25, v4
; %bb.43:
	s_or_b32 exec_lo, exec_lo, s14
	s_waitcnt lgkmcnt(0)
	v_and_b32_e32 v4, v25, v28
	v_and_b32_e32 v5, v24, v28
	v_cmp_le_i16_sdwa s11, sext(v5), sext(v4) src0_sel:BYTE_0 src1_sel:BYTE_0
	s_and_b32 s7, s7, s11
	s_or_b32 s7, s10, s7
	v_cndmask_b32_e64 v4, v35, v36, s7
	v_cndmask_b32_e64 v5, v34, v33, s7
	v_add_nc_u32_e32 v14, 1, v4
	v_add_nc_u32_e32 v5, -1, v5
	v_lshl_add_u32 v4, v4, 3, v9
	v_min_u32_e32 v5, v14, v5
	v_add_nc_u32_e32 v5, v11, v5
	ds_read_u8 v5, v5
	s_waitcnt lgkmcnt(0)
	v_cndmask_b32_e64 v26, v5, v25, s7
	v_cndmask_b32_e64 v27, v24, v5, s7
	;; [unrolled: 1-line block ×5, first 2 shown]
	v_and_b32_e32 v15, v26, v28
	v_and_b32_e32 v16, v27, v28
	v_cmp_lt_u32_e64 s10, v5, v33
	v_cmp_ge_u32_e64 s11, v14, v34
	v_cmp_le_i16_sdwa s14, sext(v16), sext(v15) src0_sel:BYTE_0 src1_sel:BYTE_0
	s_and_b32 s10, s10, s14
	s_or_b32 s10, s11, s10
	v_cndmask_b32_e64 v15, v14, v5, s10
	v_cndmask_b32_e64 v16, v34, v33, s10
	;; [unrolled: 1-line block ×3, first 2 shown]
	v_add_nc_u32_e32 v17, 1, v15
	v_add_nc_u32_e32 v16, -1, v16
	v_cndmask_b32_e64 v5, v5, v17, s10
	v_min_u32_e32 v16, v17, v16
	v_cndmask_b32_e64 v14, v17, v14, s10
	v_cmp_lt_u32_e64 s11, v5, v33
	v_add_nc_u32_e32 v16, v11, v16
	v_cmp_ge_u32_e64 s14, v14, v34
	ds_read_u8 v16, v16
	s_waitcnt lgkmcnt(0)
	v_cndmask_b32_e64 v35, v16, v26, s10
	v_cndmask_b32_e64 v36, v27, v16, s10
	v_and_b32_e32 v16, v35, v28
	v_and_b32_e32 v18, v36, v28
	v_cmp_le_i16_sdwa s15, sext(v18), sext(v16) src0_sel:BYTE_0 src1_sel:BYTE_0
	s_and_b32 s11, s11, s15
	s_or_b32 s11, s14, s11
	v_cndmask_b32_e64 v16, v14, v5, s11
	v_cndmask_b32_e64 v17, v34, v33, s11
	;; [unrolled: 1-line block ×3, first 2 shown]
	v_add_nc_u32_e32 v18, 1, v16
	v_add_nc_u32_e32 v17, -1, v17
	v_lshl_add_u32 v16, v16, 3, v9
	v_cndmask_b32_e64 v5, v5, v18, s11
	v_min_u32_e32 v17, v18, v17
	v_cndmask_b32_e64 v14, v18, v14, s11
	v_cmp_lt_u32_e64 s14, v5, v33
	v_add_nc_u32_e32 v17, v11, v17
	v_cmp_ge_u32_e64 s15, v14, v34
	ds_read_u8 v17, v17
	s_waitcnt lgkmcnt(0)
	v_cndmask_b32_e64 v37, v17, v35, s11
	v_cndmask_b32_e64 v38, v36, v17, s11
	v_and_b32_e32 v17, v37, v28
	v_and_b32_e32 v19, v38, v28
	v_cmp_le_i16_sdwa s18, sext(v19), sext(v17) src0_sel:BYTE_0 src1_sel:BYTE_0
	s_and_b32 s14, s14, s18
	s_or_b32 s14, s15, s14
	v_cndmask_b32_e64 v5, v14, v5, s14
	v_lshl_add_u32 v14, v15, 3, v9
	v_cndmask_b32_e64 v26, v37, v38, s14
	v_lshl_add_u32 v17, v5, 3, v9
	ds_read_b64 v[4:5], v4 offset:1024
	ds_read_b64 v[14:15], v14 offset:1024
	;; [unrolled: 1-line block ×4, first 2 shown]
.LBB408_44:
	s_or_b32 exec_lo, exec_lo, s17
	v_and_b32_e32 v35, 0x60, v22
	v_and_b32_e32 v36, 28, v22
	s_mov_b32 s10, exec_lo
	; wave barrier
	v_or_b32_e32 v33, 16, v35
	v_min_u32_e32 v36, v20, v36
	ds_write_b8 v10, v24
	s_waitcnt lgkmcnt(4)
	ds_write_b64 v29, v[4:5]
	ds_write_b8 v32, v25
	s_waitcnt lgkmcnt(5)
	ds_write_b64 v21, v[14:15]
	;; [unrolled: 3-line block ×4, first 2 shown]
	v_min_u32_e32 v33, v20, v33
	; wave barrier
	v_add_nc_u32_e32 v34, 16, v33
	v_sub_nc_u32_e32 v38, v33, v35
	v_min_u32_e32 v34, v20, v34
	v_min_u32_e32 v38, v36, v38
	v_sub_nc_u32_e32 v37, v34, v33
	v_sub_nc_u32_e64 v37, v36, v37 clamp
	v_cmpx_lt_u32_e64 v37, v38
	s_cbranch_execz .LBB408_48
; %bb.45:
	v_add_co_u32 v39, null, v11, v35
	v_add_co_u32 v48, null, v11, v33
	s_mov_b32 s11, 0
	.p2align	6
.LBB408_46:                             ; =>This Inner Loop Header: Depth=1
	v_add_nc_u32_e32 v49, v38, v37
	v_lshrrev_b32_e32 v49, 1, v49
	v_not_b32_e32 v50, v49
	v_add_nc_u32_e32 v51, v39, v49
	v_add_nc_u32_e32 v52, 1, v49
	v_add3_u32 v50, v36, v50, v48
	ds_read_u8 v51, v51
	ds_read_u8 v50, v50
	s_waitcnt lgkmcnt(1)
	v_and_b32_e32 v51, v51, v28
	s_waitcnt lgkmcnt(0)
	v_and_b32_e32 v50, v50, v28
	v_cmp_gt_i16_sdwa s7, sext(v51), sext(v50) src0_sel:BYTE_0 src1_sel:BYTE_0
	v_cndmask_b32_e64 v38, v38, v49, s7
	v_cndmask_b32_e64 v37, v52, v37, s7
	v_cmp_ge_u32_e64 s7, v37, v38
	s_or_b32 s11, s7, s11
	s_andn2_b32 exec_lo, exec_lo, s11
	s_cbranch_execnz .LBB408_46
; %bb.47:
	s_or_b32 exec_lo, exec_lo, s11
.LBB408_48:
	s_or_b32 exec_lo, exec_lo, s10
	v_add_nc_u32_e32 v38, v33, v36
	v_add_nc_u32_e32 v36, v37, v35
	v_sub_nc_u32_e32 v35, v38, v37
	v_cmp_le_u32_e64 s7, v36, v33
	v_cmp_le_u32_e64 s10, v35, v34
	s_or_b32 s7, s7, s10
	s_and_saveexec_b32 s17, s7
	s_cbranch_execz .LBB408_54
; %bb.49:
	v_cmp_lt_u32_e64 s7, v36, v33
                                        ; implicit-def: $vgpr24
	s_and_saveexec_b32 s10, s7
; %bb.50:
	v_add_nc_u32_e32 v4, v11, v36
	ds_read_u8 v24, v4
; %bb.51:
	s_or_b32 exec_lo, exec_lo, s10
	v_cmp_ge_u32_e64 s10, v35, v34
	s_mov_b32 s14, exec_lo
                                        ; implicit-def: $vgpr25
	v_cmpx_lt_u32_e64 v35, v34
; %bb.52:
	v_add_nc_u32_e32 v4, v11, v35
	ds_read_u8 v25, v4
; %bb.53:
	s_or_b32 exec_lo, exec_lo, s14
	s_waitcnt lgkmcnt(0)
	v_and_b32_e32 v4, v25, v28
	v_and_b32_e32 v5, v24, v28
	v_cmp_le_i16_sdwa s11, sext(v5), sext(v4) src0_sel:BYTE_0 src1_sel:BYTE_0
	s_and_b32 s7, s7, s11
	s_or_b32 s7, s10, s7
	v_cndmask_b32_e64 v4, v35, v36, s7
	v_cndmask_b32_e64 v5, v34, v33, s7
	v_add_nc_u32_e32 v14, 1, v4
	v_add_nc_u32_e32 v5, -1, v5
	v_lshl_add_u32 v4, v4, 3, v9
	v_min_u32_e32 v5, v14, v5
	v_add_nc_u32_e32 v5, v11, v5
	ds_read_u8 v5, v5
	s_waitcnt lgkmcnt(0)
	v_cndmask_b32_e64 v26, v5, v25, s7
	v_cndmask_b32_e64 v27, v24, v5, s7
	;; [unrolled: 1-line block ×5, first 2 shown]
	v_and_b32_e32 v15, v26, v28
	v_and_b32_e32 v16, v27, v28
	v_cmp_lt_u32_e64 s10, v5, v33
	v_cmp_ge_u32_e64 s11, v14, v34
	v_cmp_le_i16_sdwa s14, sext(v16), sext(v15) src0_sel:BYTE_0 src1_sel:BYTE_0
	s_and_b32 s10, s10, s14
	s_or_b32 s10, s11, s10
	v_cndmask_b32_e64 v15, v14, v5, s10
	v_cndmask_b32_e64 v16, v34, v33, s10
	;; [unrolled: 1-line block ×3, first 2 shown]
	v_add_nc_u32_e32 v17, 1, v15
	v_add_nc_u32_e32 v16, -1, v16
	v_cndmask_b32_e64 v5, v5, v17, s10
	v_min_u32_e32 v16, v17, v16
	v_cndmask_b32_e64 v14, v17, v14, s10
	v_cmp_lt_u32_e64 s11, v5, v33
	v_add_nc_u32_e32 v16, v11, v16
	v_cmp_ge_u32_e64 s14, v14, v34
	ds_read_u8 v16, v16
	s_waitcnt lgkmcnt(0)
	v_cndmask_b32_e64 v35, v16, v26, s10
	v_cndmask_b32_e64 v36, v27, v16, s10
	v_and_b32_e32 v16, v35, v28
	v_and_b32_e32 v18, v36, v28
	v_cmp_le_i16_sdwa s15, sext(v18), sext(v16) src0_sel:BYTE_0 src1_sel:BYTE_0
	s_and_b32 s11, s11, s15
	s_or_b32 s11, s14, s11
	v_cndmask_b32_e64 v16, v14, v5, s11
	v_cndmask_b32_e64 v17, v34, v33, s11
	;; [unrolled: 1-line block ×3, first 2 shown]
	v_add_nc_u32_e32 v18, 1, v16
	v_add_nc_u32_e32 v17, -1, v17
	v_lshl_add_u32 v16, v16, 3, v9
	v_cndmask_b32_e64 v5, v5, v18, s11
	v_min_u32_e32 v17, v18, v17
	v_cndmask_b32_e64 v14, v18, v14, s11
	v_cmp_lt_u32_e64 s14, v5, v33
	v_add_nc_u32_e32 v17, v11, v17
	v_cmp_ge_u32_e64 s15, v14, v34
	ds_read_u8 v17, v17
	s_waitcnt lgkmcnt(0)
	v_cndmask_b32_e64 v37, v17, v35, s11
	v_cndmask_b32_e64 v38, v36, v17, s11
	v_and_b32_e32 v17, v37, v28
	v_and_b32_e32 v19, v38, v28
	v_cmp_le_i16_sdwa s18, sext(v19), sext(v17) src0_sel:BYTE_0 src1_sel:BYTE_0
	s_and_b32 s14, s14, s18
	s_or_b32 s14, s15, s14
	v_cndmask_b32_e64 v5, v14, v5, s14
	v_lshl_add_u32 v14, v15, 3, v9
	v_cndmask_b32_e64 v26, v37, v38, s14
	v_lshl_add_u32 v17, v5, 3, v9
	ds_read_b64 v[4:5], v4 offset:1024
	ds_read_b64 v[14:15], v14 offset:1024
	;; [unrolled: 1-line block ×4, first 2 shown]
.LBB408_54:
	s_or_b32 exec_lo, exec_lo, s17
	v_and_b32_e32 v35, 64, v22
	v_and_b32_e32 v36, 60, v22
	s_mov_b32 s10, exec_lo
	; wave barrier
	v_or_b32_e32 v33, 32, v35
	v_min_u32_e32 v36, v20, v36
	ds_write_b8 v10, v24
	s_waitcnt lgkmcnt(4)
	ds_write_b64 v29, v[4:5]
	ds_write_b8 v32, v25
	s_waitcnt lgkmcnt(5)
	ds_write_b64 v21, v[14:15]
	;; [unrolled: 3-line block ×4, first 2 shown]
	v_min_u32_e32 v33, v20, v33
	; wave barrier
	v_add_nc_u32_e32 v34, 32, v33
	v_sub_nc_u32_e32 v38, v33, v35
	v_min_u32_e32 v34, v20, v34
	v_min_u32_e32 v38, v36, v38
	v_sub_nc_u32_e32 v37, v34, v33
	v_sub_nc_u32_e64 v37, v36, v37 clamp
	v_cmpx_lt_u32_e64 v37, v38
	s_cbranch_execz .LBB408_58
; %bb.55:
	v_add_co_u32 v39, null, v11, v35
	v_add_co_u32 v48, null, v11, v33
	s_mov_b32 s11, 0
	.p2align	6
.LBB408_56:                             ; =>This Inner Loop Header: Depth=1
	v_add_nc_u32_e32 v49, v38, v37
	v_lshrrev_b32_e32 v49, 1, v49
	v_not_b32_e32 v50, v49
	v_add_nc_u32_e32 v51, v39, v49
	v_add_nc_u32_e32 v52, 1, v49
	v_add3_u32 v50, v36, v50, v48
	ds_read_u8 v51, v51
	ds_read_u8 v50, v50
	s_waitcnt lgkmcnt(1)
	v_and_b32_e32 v51, v51, v28
	s_waitcnt lgkmcnt(0)
	v_and_b32_e32 v50, v50, v28
	v_cmp_gt_i16_sdwa s7, sext(v51), sext(v50) src0_sel:BYTE_0 src1_sel:BYTE_0
	v_cndmask_b32_e64 v38, v38, v49, s7
	v_cndmask_b32_e64 v37, v52, v37, s7
	v_cmp_ge_u32_e64 s7, v37, v38
	s_or_b32 s11, s7, s11
	s_andn2_b32 exec_lo, exec_lo, s11
	s_cbranch_execnz .LBB408_56
; %bb.57:
	s_or_b32 exec_lo, exec_lo, s11
.LBB408_58:
	s_or_b32 exec_lo, exec_lo, s10
	v_add_nc_u32_e32 v38, v33, v36
	v_add_nc_u32_e32 v36, v37, v35
	v_sub_nc_u32_e32 v35, v38, v37
	v_cmp_le_u32_e64 s7, v36, v33
	v_cmp_le_u32_e64 s10, v35, v34
	s_or_b32 s7, s7, s10
	s_and_saveexec_b32 s17, s7
	s_cbranch_execz .LBB408_64
; %bb.59:
	v_cmp_lt_u32_e64 s7, v36, v33
                                        ; implicit-def: $vgpr24
	s_and_saveexec_b32 s10, s7
; %bb.60:
	v_add_nc_u32_e32 v4, v11, v36
	ds_read_u8 v24, v4
; %bb.61:
	s_or_b32 exec_lo, exec_lo, s10
	v_cmp_ge_u32_e64 s10, v35, v34
	s_mov_b32 s14, exec_lo
                                        ; implicit-def: $vgpr25
	v_cmpx_lt_u32_e64 v35, v34
; %bb.62:
	v_add_nc_u32_e32 v4, v11, v35
	ds_read_u8 v25, v4
; %bb.63:
	s_or_b32 exec_lo, exec_lo, s14
	s_waitcnt lgkmcnt(0)
	v_and_b32_e32 v4, v25, v28
	v_and_b32_e32 v5, v24, v28
	v_cmp_le_i16_sdwa s11, sext(v5), sext(v4) src0_sel:BYTE_0 src1_sel:BYTE_0
	s_and_b32 s7, s7, s11
	s_or_b32 s7, s10, s7
	v_cndmask_b32_e64 v4, v35, v36, s7
	v_cndmask_b32_e64 v5, v34, v33, s7
	v_add_nc_u32_e32 v14, 1, v4
	v_add_nc_u32_e32 v5, -1, v5
	v_lshl_add_u32 v4, v4, 3, v9
	v_min_u32_e32 v5, v14, v5
	v_add_nc_u32_e32 v5, v11, v5
	ds_read_u8 v5, v5
	s_waitcnt lgkmcnt(0)
	v_cndmask_b32_e64 v26, v5, v25, s7
	v_cndmask_b32_e64 v27, v24, v5, s7
	;; [unrolled: 1-line block ×5, first 2 shown]
	v_and_b32_e32 v15, v26, v28
	v_and_b32_e32 v16, v27, v28
	v_cmp_lt_u32_e64 s10, v5, v33
	v_cmp_ge_u32_e64 s11, v14, v34
	v_cmp_le_i16_sdwa s14, sext(v16), sext(v15) src0_sel:BYTE_0 src1_sel:BYTE_0
	s_and_b32 s10, s10, s14
	s_or_b32 s10, s11, s10
	v_cndmask_b32_e64 v15, v14, v5, s10
	v_cndmask_b32_e64 v16, v34, v33, s10
	;; [unrolled: 1-line block ×3, first 2 shown]
	v_add_nc_u32_e32 v17, 1, v15
	v_add_nc_u32_e32 v16, -1, v16
	v_cndmask_b32_e64 v5, v5, v17, s10
	v_min_u32_e32 v16, v17, v16
	v_cndmask_b32_e64 v14, v17, v14, s10
	v_cmp_lt_u32_e64 s11, v5, v33
	v_add_nc_u32_e32 v16, v11, v16
	v_cmp_ge_u32_e64 s14, v14, v34
	ds_read_u8 v16, v16
	s_waitcnt lgkmcnt(0)
	v_cndmask_b32_e64 v35, v16, v26, s10
	v_cndmask_b32_e64 v36, v27, v16, s10
	v_and_b32_e32 v16, v35, v28
	v_and_b32_e32 v18, v36, v28
	v_cmp_le_i16_sdwa s15, sext(v18), sext(v16) src0_sel:BYTE_0 src1_sel:BYTE_0
	s_and_b32 s11, s11, s15
	s_or_b32 s11, s14, s11
	v_cndmask_b32_e64 v16, v14, v5, s11
	v_cndmask_b32_e64 v17, v34, v33, s11
	;; [unrolled: 1-line block ×3, first 2 shown]
	v_add_nc_u32_e32 v18, 1, v16
	v_add_nc_u32_e32 v17, -1, v17
	v_lshl_add_u32 v16, v16, 3, v9
	v_cndmask_b32_e64 v5, v5, v18, s11
	v_min_u32_e32 v17, v18, v17
	v_cndmask_b32_e64 v14, v18, v14, s11
	v_cmp_lt_u32_e64 s14, v5, v33
	v_add_nc_u32_e32 v17, v11, v17
	v_cmp_ge_u32_e64 s15, v14, v34
	ds_read_u8 v17, v17
	s_waitcnt lgkmcnt(0)
	v_cndmask_b32_e64 v37, v17, v35, s11
	v_cndmask_b32_e64 v38, v36, v17, s11
	v_and_b32_e32 v17, v37, v28
	v_and_b32_e32 v19, v38, v28
	v_cmp_le_i16_sdwa s18, sext(v19), sext(v17) src0_sel:BYTE_0 src1_sel:BYTE_0
	s_and_b32 s14, s14, s18
	s_or_b32 s14, s15, s14
	v_cndmask_b32_e64 v5, v14, v5, s14
	v_lshl_add_u32 v14, v15, 3, v9
	v_cndmask_b32_e64 v26, v37, v38, s14
	v_lshl_add_u32 v17, v5, 3, v9
	ds_read_b64 v[4:5], v4 offset:1024
	ds_read_b64 v[14:15], v14 offset:1024
	ds_read_b64 v[18:19], v16 offset:1024
	ds_read_b64 v[16:17], v17 offset:1024
.LBB408_64:
	s_or_b32 exec_lo, exec_lo, s17
	v_min_u32_e32 v33, 64, v20
	; wave barrier
	ds_write_b8 v10, v24
	s_waitcnt lgkmcnt(4)
	ds_write_b64 v29, v[4:5]
	s_mov_b32 s10, exec_lo
	v_add_nc_u32_e32 v34, 64, v33
	ds_write_b8 v32, v25
	s_waitcnt lgkmcnt(5)
	ds_write_b64 v21, v[14:15]
	ds_write_b8 v31, v27
	s_waitcnt lgkmcnt(6)
	ds_write_b64 v13, v[18:19]
	;; [unrolled: 3-line block ×3, first 2 shown]
	; wave barrier
	v_min_u32_e32 v34, v20, v34
	v_min_u32_e32 v20, v20, v22
	v_sub_nc_u32_e32 v35, v34, v33
	v_min_u32_e32 v29, v20, v33
	v_sub_nc_u32_e64 v10, v20, v35 clamp
	v_cmpx_lt_u32_e64 v10, v29
	s_cbranch_execz .LBB408_68
; %bb.65:
	v_add_co_u32 v12, null, v11, v33
	s_mov_b32 s11, 0
	.p2align	6
.LBB408_66:                             ; =>This Inner Loop Header: Depth=1
	v_add_nc_u32_e32 v13, v29, v10
	v_lshrrev_b32_e32 v13, 1, v13
	v_not_b32_e32 v21, v13
	v_add_nc_u32_e32 v30, v11, v13
	v_add_nc_u32_e32 v31, 1, v13
	v_add3_u32 v21, v20, v21, v12
	ds_read_u8 v30, v30
	ds_read_u8 v21, v21
	s_waitcnt lgkmcnt(1)
	v_and_b32_e32 v30, v30, v28
	s_waitcnt lgkmcnt(0)
	v_and_b32_e32 v21, v21, v28
	v_cmp_gt_i16_sdwa s7, sext(v30), sext(v21) src0_sel:BYTE_0 src1_sel:BYTE_0
	v_cndmask_b32_e64 v29, v29, v13, s7
	v_cndmask_b32_e64 v10, v31, v10, s7
	v_cmp_ge_u32_e64 s7, v10, v29
	s_or_b32 s11, s7, s11
	s_andn2_b32 exec_lo, exec_lo, s11
	s_cbranch_execnz .LBB408_66
; %bb.67:
	s_or_b32 exec_lo, exec_lo, s11
.LBB408_68:
	s_or_b32 exec_lo, exec_lo, s10
	v_add_nc_u32_e32 v12, v33, v20
	v_cmp_le_u32_e64 s7, v10, v33
	v_sub_nc_u32_e32 v20, v12, v10
	v_cmp_le_u32_e64 s10, v20, v34
	s_or_b32 s7, s7, s10
	s_and_saveexec_b32 s17, s7
	s_cbranch_execz .LBB408_74
; %bb.69:
	v_cmp_lt_u32_e64 s7, v10, v33
                                        ; implicit-def: $vgpr12
	s_and_saveexec_b32 s10, s7
; %bb.70:
	v_add_nc_u32_e32 v4, v11, v10
	ds_read_u8 v12, v4
; %bb.71:
	s_or_b32 exec_lo, exec_lo, s10
	v_cmp_ge_u32_e64 s10, v20, v34
	s_mov_b32 s14, exec_lo
                                        ; implicit-def: $vgpr13
	v_cmpx_lt_u32_e64 v20, v34
; %bb.72:
	v_add_nc_u32_e32 v4, v11, v20
	ds_read_u8 v13, v4
; %bb.73:
	s_or_b32 exec_lo, exec_lo, s14
	s_waitcnt lgkmcnt(0)
	v_and_b32_e32 v4, v13, v28
	v_and_b32_e32 v5, v12, v28
	v_cmp_le_i16_sdwa s11, sext(v5), sext(v4) src0_sel:BYTE_0 src1_sel:BYTE_0
	s_and_b32 s7, s7, s11
	s_or_b32 s7, s10, s7
	v_cndmask_b32_e64 v4, v20, v10, s7
	v_cndmask_b32_e64 v5, v34, v33, s7
	;; [unrolled: 1-line block ×3, first 2 shown]
	v_add_nc_u32_e32 v14, 1, v4
	v_add_nc_u32_e32 v5, -1, v5
	v_lshl_add_u32 v4, v4, 3, v9
	v_min_u32_e32 v5, v14, v5
	v_add_nc_u32_e32 v5, v11, v5
	ds_read_u8 v5, v5
	s_waitcnt lgkmcnt(0)
	v_cndmask_b32_e64 v21, v5, v13, s7
	v_cndmask_b32_e64 v25, v12, v5, s7
	v_cndmask_b32_e64 v5, v10, v14, s7
	v_cndmask_b32_e64 v14, v14, v20, s7
	v_and_b32_e32 v10, v21, v28
	v_and_b32_e32 v15, v25, v28
	v_cmp_lt_u32_e64 s10, v5, v33
	v_cmp_ge_u32_e64 s11, v14, v34
	v_cmp_le_i16_sdwa s14, sext(v15), sext(v10) src0_sel:BYTE_0 src1_sel:BYTE_0
	s_and_b32 s10, s10, s14
	s_or_b32 s10, s11, s10
	v_cndmask_b32_e64 v10, v14, v5, s10
	v_cndmask_b32_e64 v15, v34, v33, s10
	v_add_nc_u32_e32 v16, 1, v10
	v_add_nc_u32_e32 v15, -1, v15
	v_lshl_add_u32 v10, v10, 3, v9
	v_cndmask_b32_e64 v5, v5, v16, s10
	v_min_u32_e32 v15, v16, v15
	v_cndmask_b32_e64 v14, v16, v14, s10
	v_cmp_lt_u32_e64 s11, v5, v33
	v_add_nc_u32_e32 v15, v11, v15
	v_cmp_ge_u32_e64 s14, v14, v34
	ds_read_u8 v15, v15
	s_waitcnt lgkmcnt(0)
	v_cndmask_b32_e64 v20, v15, v21, s10
	v_cndmask_b32_e64 v26, v25, v15, s10
	;; [unrolled: 1-line block ×3, first 2 shown]
	v_and_b32_e32 v15, v20, v28
	v_and_b32_e32 v17, v26, v28
	v_cmp_le_i16_sdwa s15, sext(v17), sext(v15) src0_sel:BYTE_0 src1_sel:BYTE_0
	s_and_b32 s11, s11, s15
	s_or_b32 s11, s14, s11
	v_cndmask_b32_e64 v15, v14, v5, s11
	v_cndmask_b32_e64 v16, v34, v33, s11
	;; [unrolled: 1-line block ×3, first 2 shown]
	v_add_nc_u32_e32 v17, 1, v15
	v_add_nc_u32_e32 v16, -1, v16
	v_cndmask_b32_e64 v5, v5, v17, s11
	v_min_u32_e32 v16, v17, v16
	v_cndmask_b32_e64 v14, v17, v14, s11
	v_cmp_lt_u32_e64 s14, v5, v33
	v_add_nc_u32_e32 v11, v11, v16
	v_cmp_ge_u32_e64 s15, v14, v34
	ds_read_u8 v11, v11
	s_waitcnt lgkmcnt(0)
	v_cndmask_b32_e64 v29, v11, v20, s11
	v_cndmask_b32_e64 v11, v26, v11, s11
	v_and_b32_e32 v16, v29, v28
	v_and_b32_e32 v18, v11, v28
	v_cmp_le_i16_sdwa s18, sext(v18), sext(v16) src0_sel:BYTE_0 src1_sel:BYTE_0
	v_lshl_add_u32 v16, v15, 3, v9
	s_and_b32 s14, s14, s18
	s_or_b32 s14, s15, s14
	v_cndmask_b32_e64 v5, v14, v5, s14
	v_cndmask_b32_e64 v26, v29, v11, s14
	v_lshl_add_u32 v9, v5, 3, v9
	ds_read_b64 v[4:5], v4 offset:1024
	ds_read_b64 v[14:15], v10 offset:1024
	;; [unrolled: 1-line block ×4, first 2 shown]
.LBB408_74:
	s_or_b32 exec_lo, exec_lo, s17
	; wave barrier
	s_waitcnt lgkmcnt(0)
	s_waitcnt_vscnt null, 0x0
	s_barrier
                                        ; implicit-def: $vgpr12
                                        ; implicit-def: $vgpr13
                                        ; implicit-def: $vgpr20
                                        ; implicit-def: $vgpr21
                                        ; implicit-def: $vgpr9
.LBB408_75:
	s_andn2_saveexec_b32 s14, s16
	s_cbranch_execz .LBB408_137
; %bb.76:
	s_load_dwordx2 s[10:11], s[8:9], 0x0
	v_mov_b32_e32 v10, 0
	s_waitcnt lgkmcnt(0)
	s_cmp_lt_u32 s13, s11
	s_cselect_b32 s7, 14, 20
	s_add_u32 s16, s8, s7
	s_addc_u32 s17, s9, 0
	s_cmp_lt_u32 s12, s10
	global_load_ushort v11, v10, s[16:17]
	s_cselect_b32 s7, 12, 18
	s_mov_b32 s10, exec_lo
	s_add_u32 s8, s8, s7
	s_addc_u32 s9, s9, 0
	global_load_ushort v10, v10, s[8:9]
	s_waitcnt vmcnt(1)
	v_mad_u32_u24 v11, v21, v11, v20
	s_waitcnt vmcnt(0)
	v_mul_lo_u32 v10, v11, v10
	v_add_lshl_u32 v11, v10, v9, 2
	v_cmpx_gt_u32_e32 0x400, v11
	s_cbranch_execz .LBB408_86
; %bb.77:
	v_perm_b32 v9, v27, v26, 0xc0c0004
	v_perm_b32 v10, v25, v24, 0xc0c0004
	;; [unrolled: 1-line block ×3, first 2 shown]
	v_cmp_gt_i16_sdwa s7, sext(v24), sext(v25) src0_sel:BYTE_0 src1_sel:BYTE_0
	s_mov_b32 s9, exec_lo
	v_lshlrev_b32_e32 v9, 16, v9
	v_or_b32_e32 v10, v10, v9
	v_or_b32_e32 v9, v20, v9
	v_cndmask_b32_e64 v24, v9, v10, s7
	v_mov_b32_e32 v9, v18
	v_mov_b32_e32 v10, v19
	v_lshrrev_b32_e32 v25, 24, v24
	v_lshrrev_b32_e32 v27, 16, v24
	;; [unrolled: 1-line block ×3, first 2 shown]
	v_bfe_i32 v20, v25, 0, 8
	v_bfe_i32 v28, v27, 0, 8
	v_cmpx_gt_i16_e64 v28, v20
	s_cbranch_execz .LBB408_79
; %bb.78:
	v_mov_b32_e32 v9, v16
	v_mov_b32_e32 v21, v27
	;; [unrolled: 1-line block ×4, first 2 shown]
	v_swap_b32 v27, v25
	v_mov_b32_e32 v17, v19
	v_mov_b32_e32 v28, v20
.LBB408_79:
	s_or_b32 exec_lo, exec_lo, s9
	v_cndmask_b32_e64 v20, v14, v4, s7
	v_cndmask_b32_e64 v21, v15, v5, s7
	v_bfe_i32 v29, v26, 0, 8
	v_mov_b32_e32 v18, v20
	v_mov_b32_e32 v19, v21
	v_cmp_gt_i16_e64 s8, v29, v28
	s_and_saveexec_b32 s9, s8
	s_xor_b32 s8, exec_lo, s9
	s_cbranch_execz .LBB408_81
; %bb.80:
	v_mov_b32_e32 v19, v10
	v_mov_b32_e32 v18, v9
	;; [unrolled: 1-line block ×7, first 2 shown]
.LBB408_81:
	s_or_b32 exec_lo, exec_lo, s8
	v_perm_b32 v20, v27, v25, 0xc0c0004
	v_perm_b32 v21, v29, v24, 0xc0c0004
	;; [unrolled: 1-line block ×3, first 2 shown]
	v_cmp_gt_i16_sdwa s8, sext(v24), v29 src0_sel:BYTE_0 src1_sel:DWORD
	s_mov_b32 s11, exec_lo
	v_lshlrev_b32_e32 v20, 16, v20
	v_or_b32_e32 v21, v21, v20
	v_or_b32_e32 v20, v25, v20
	v_cndmask_b32_e64 v24, v20, v21, s8
	v_mov_b32_e32 v21, v10
	v_mov_b32_e32 v20, v9
	v_lshrrev_b32_e32 v26, 24, v24
	v_lshrrev_b32_e32 v27, 16, v24
	;; [unrolled: 1-line block ×3, first 2 shown]
	v_bfe_i32 v29, v26, 0, 8
	v_bfe_i32 v28, v27, 0, 8
	v_cmpx_gt_i16_e64 v28, v29
	s_cbranch_execz .LBB408_83
; %bb.82:
	v_mov_b32_e32 v21, v17
	v_mov_b32_e32 v28, v27
	;; [unrolled: 1-line block ×4, first 2 shown]
	v_swap_b32 v27, v26
	v_mov_b32_e32 v16, v9
	v_mov_b32_e32 v28, v29
.LBB408_83:
	s_or_b32 exec_lo, exec_lo, s11
	v_cndmask_b32_e64 v9, v5, v15, s7
	v_cndmask_b32_e64 v10, v4, v14, s7
	;; [unrolled: 1-line block ×6, first 2 shown]
	v_mov_b32_e32 v18, v20
	v_cmp_gt_i16_sdwa s8, sext(v25), v28 src0_sel:BYTE_0 src1_sel:DWORD
	v_mov_b32_e32 v19, v21
	s_and_saveexec_b32 s7, s8
; %bb.84:
	v_mov_b32_e32 v19, v15
	v_mov_b32_e32 v18, v14
	;; [unrolled: 1-line block ×6, first 2 shown]
; %bb.85:
	s_or_b32 exec_lo, exec_lo, s7
.LBB408_86:
	s_or_b32 exec_lo, exec_lo, s10
	v_and_b32_e32 v9, 0xffffff80, v11
	v_or_b32_e32 v10, 4, v22
	v_and_b32_e32 v31, 0x78, v22
	v_perm_b32 v21, v24, v25, 0xc0c0004
	v_perm_b32 v28, v27, v26, 0xc0c0004
	v_sub_nc_u32_e64 v20, 0x400, v9 clamp
	v_add_co_u32 v11, s7, v12, v9
	v_add_co_ci_u32_e64 v12, null, 0, v13, s7
	v_min_u32_e32 v29, v20, v10
	v_and_b32_e32 v13, 4, v22
	v_lshl_or_b32 v21, v28, 16, v21
	s_mov_b32 s8, exec_lo
	v_add_nc_u32_e32 v10, 4, v29
	v_min_u32_e32 v32, v20, v13
	v_sub_nc_u32_e32 v34, v29, v31
	v_min_u32_e32 v30, v20, v10
	v_mad_u64_u32 v[9:10], null, v9, 7, v[11:12]
	v_add_co_u32 v10, null, v11, v22
	v_sub_nc_u32_e32 v13, v30, v29
	v_lshl_add_u32 v12, v22, 3, v9
	v_sub_nc_u32_e64 v33, v32, v13 clamp
	v_min_u32_e32 v13, v32, v34
	ds_write2_b64 v12, v[4:5], v[14:15] offset0:128 offset1:129
	ds_write_b64 v12, v[18:19] offset:1040
	ds_write_b32 v10, v21
	ds_write_b64 v12, v[16:17] offset:1048
	; wave barrier
	v_cmpx_lt_u32_e64 v33, v13
	s_cbranch_execz .LBB408_90
; %bb.87:
	v_add_co_u32 v21, null, v11, v31
	v_add_co_u32 v28, null, v11, v29
	s_mov_b32 s9, 0
	.p2align	6
.LBB408_88:                             ; =>This Inner Loop Header: Depth=1
	v_add_nc_u32_e32 v34, v13, v33
	v_lshrrev_b32_e32 v34, 1, v34
	v_not_b32_e32 v35, v34
	v_add_nc_u32_e32 v36, v21, v34
	v_add_nc_u32_e32 v37, 1, v34
	v_add3_u32 v35, v32, v35, v28
	ds_read_i8 v36, v36
	ds_read_i8 v35, v35
	s_waitcnt lgkmcnt(0)
	v_cmp_gt_i16_e64 s7, v36, v35
	v_cndmask_b32_e64 v13, v13, v34, s7
	v_cndmask_b32_e64 v33, v37, v33, s7
	v_cmp_ge_u32_e64 s7, v33, v13
	s_or_b32 s9, s7, s9
	s_andn2_b32 exec_lo, exec_lo, s9
	s_cbranch_execnz .LBB408_88
; %bb.89:
	s_or_b32 exec_lo, exec_lo, s9
.LBB408_90:
	s_or_b32 exec_lo, exec_lo, s8
	v_add_nc_u32_e32 v34, v29, v32
	v_add_nc_u32_e32 v32, v33, v31
	;; [unrolled: 1-line block ×5, first 2 shown]
	v_sub_nc_u32_e32 v31, v34, v33
	v_cmp_le_u32_e64 s7, v32, v29
	v_add_nc_u32_e32 v12, 0x418, v12
	v_cmp_le_u32_e64 s8, v31, v30
	s_or_b32 s7, s7, s8
	s_and_saveexec_b32 s12, s7
	s_cbranch_execz .LBB408_96
; %bb.91:
	v_cmp_lt_u32_e64 s7, v32, v29
                                        ; implicit-def: $vgpr24
	s_and_saveexec_b32 s8, s7
; %bb.92:
	v_add_nc_u32_e32 v4, v11, v32
	ds_read_u8 v24, v4
; %bb.93:
	s_or_b32 exec_lo, exec_lo, s8
	v_cmp_ge_u32_e64 s8, v31, v30
	s_mov_b32 s10, exec_lo
                                        ; implicit-def: $vgpr25
	v_cmpx_lt_u32_e64 v31, v30
; %bb.94:
	v_add_nc_u32_e32 v4, v11, v31
	ds_read_u8 v25, v4
; %bb.95:
	s_or_b32 exec_lo, exec_lo, s10
	s_waitcnt lgkmcnt(0)
	v_cmp_le_i16_sdwa s9, sext(v24), sext(v25) src0_sel:BYTE_0 src1_sel:BYTE_0
	s_and_b32 s7, s7, s9
	s_or_b32 s7, s8, s7
	v_cndmask_b32_e64 v4, v31, v32, s7
	v_cndmask_b32_e64 v5, v30, v29, s7
	v_add_nc_u32_e32 v14, 1, v4
	v_add_nc_u32_e32 v5, -1, v5
	v_lshl_add_u32 v4, v4, 3, v9
	v_cndmask_b32_e64 v15, v32, v14, s7
	v_min_u32_e32 v5, v14, v5
	v_cmp_lt_u32_e64 s8, v15, v29
	v_add_nc_u32_e32 v5, v11, v5
	ds_read_u8 v5, v5
	s_waitcnt lgkmcnt(0)
	v_cndmask_b32_e64 v26, v5, v25, s7
	v_cndmask_b32_e64 v27, v24, v5, s7
	;; [unrolled: 1-line block ×4, first 2 shown]
	v_cmp_le_i16_sdwa s10, sext(v27), sext(v26) src0_sel:BYTE_0 src1_sel:BYTE_0
	v_cmp_ge_u32_e64 s9, v5, v30
	s_and_b32 s8, s8, s10
	s_or_b32 s8, s9, s8
	v_cndmask_b32_e64 v14, v5, v15, s8
	v_cndmask_b32_e64 v16, v30, v29, s8
	;; [unrolled: 1-line block ×3, first 2 shown]
	v_add_nc_u32_e32 v17, 1, v14
	v_add_nc_u32_e32 v16, -1, v16
	v_lshl_add_u32 v14, v14, 3, v9
	v_cndmask_b32_e64 v15, v15, v17, s8
	v_min_u32_e32 v16, v17, v16
	v_cndmask_b32_e64 v5, v17, v5, s8
	v_cmp_lt_u32_e64 s9, v15, v29
	v_add_nc_u32_e32 v16, v11, v16
	v_cmp_ge_u32_e64 s10, v5, v30
	ds_read_u8 v16, v16
	s_waitcnt lgkmcnt(0)
	v_cndmask_b32_e64 v31, v16, v26, s8
	v_cndmask_b32_e64 v32, v27, v16, s8
	v_cmp_le_i16_sdwa s11, sext(v32), sext(v31) src0_sel:BYTE_0 src1_sel:BYTE_0
	s_and_b32 s9, s9, s11
	s_or_b32 s9, s10, s9
	v_cndmask_b32_e64 v16, v5, v15, s9
	v_cndmask_b32_e64 v17, v30, v29, s9
	;; [unrolled: 1-line block ×3, first 2 shown]
	v_add_nc_u32_e32 v18, 1, v16
	v_add_nc_u32_e32 v17, -1, v17
	v_lshl_add_u32 v16, v16, 3, v9
	v_cndmask_b32_e64 v15, v15, v18, s9
	v_min_u32_e32 v17, v18, v17
	v_cndmask_b32_e64 v5, v18, v5, s9
	v_cmp_lt_u32_e64 s10, v15, v29
	v_add_nc_u32_e32 v17, v11, v17
	v_cmp_ge_u32_e64 s11, v5, v30
	ds_read_u8 v17, v17
	s_waitcnt lgkmcnt(0)
	v_cndmask_b32_e64 v33, v17, v31, s9
	v_cndmask_b32_e64 v34, v32, v17, s9
	v_cmp_le_i16_sdwa s13, sext(v34), sext(v33) src0_sel:BYTE_0 src1_sel:BYTE_0
	s_and_b32 s10, s10, s13
	s_or_b32 s10, s11, s10
	v_cndmask_b32_e64 v5, v5, v15, s10
	v_cndmask_b32_e64 v26, v33, v34, s10
	v_lshl_add_u32 v17, v5, 3, v9
	ds_read_b64 v[4:5], v4 offset:1024
	ds_read_b64 v[14:15], v14 offset:1024
	;; [unrolled: 1-line block ×4, first 2 shown]
.LBB408_96:
	s_or_b32 exec_lo, exec_lo, s12
	v_and_b32_e32 v34, 0x70, v22
	v_and_b32_e32 v30, 12, v22
	s_mov_b32 s8, exec_lo
	; wave barrier
	v_or_b32_e32 v29, 8, v34
	v_min_u32_e32 v35, v20, v30
	ds_write_b8 v10, v24
	s_waitcnt lgkmcnt(4)
	ds_write_b64 v28, v[4:5]
	ds_write_b8 v10, v25 offset:1
	s_waitcnt lgkmcnt(5)
	ds_write_b64 v21, v[14:15]
	ds_write_b8 v10, v27 offset:2
	;; [unrolled: 3-line block ×3, first 2 shown]
	s_waitcnt lgkmcnt(7)
	ds_write_b64 v12, v[16:17]
	v_min_u32_e32 v32, v20, v29
	; wave barrier
	v_add_nc_u32_e32 v29, 8, v32
	v_sub_nc_u32_e32 v30, v32, v34
	v_min_u32_e32 v33, v20, v29
	v_sub_nc_u32_e32 v29, v33, v32
	v_sub_nc_u32_e64 v36, v35, v29 clamp
	v_min_u32_e32 v29, v35, v30
	v_cmpx_lt_u32_e64 v36, v29
	s_cbranch_execz .LBB408_100
; %bb.97:
	v_add_co_u32 v30, null, v11, v34
	v_add_co_u32 v31, null, v11, v32
	s_mov_b32 s9, 0
	.p2align	6
.LBB408_98:                             ; =>This Inner Loop Header: Depth=1
	v_add_nc_u32_e32 v37, v29, v36
	v_lshrrev_b32_e32 v37, 1, v37
	v_not_b32_e32 v38, v37
	v_add_nc_u32_e32 v39, v30, v37
	v_add_nc_u32_e32 v48, 1, v37
	v_add3_u32 v38, v35, v38, v31
	ds_read_i8 v39, v39
	ds_read_i8 v38, v38
	s_waitcnt lgkmcnt(0)
	v_cmp_gt_i16_e64 s7, v39, v38
	v_cndmask_b32_e64 v29, v29, v37, s7
	v_cndmask_b32_e64 v36, v48, v36, s7
	v_cmp_ge_u32_e64 s7, v36, v29
	s_or_b32 s9, s7, s9
	s_andn2_b32 exec_lo, exec_lo, s9
	s_cbranch_execnz .LBB408_98
; %bb.99:
	s_or_b32 exec_lo, exec_lo, s9
.LBB408_100:
	s_or_b32 exec_lo, exec_lo, s8
	v_add_nc_u32_e32 v37, v32, v35
	v_add_nc_u32_e32 v35, v36, v34
	;; [unrolled: 1-line block ×5, first 2 shown]
	v_sub_nc_u32_e32 v34, v37, v36
	v_cmp_le_u32_e64 s7, v35, v32
	v_cmp_le_u32_e64 s8, v34, v33
	s_or_b32 s7, s7, s8
	s_and_saveexec_b32 s12, s7
	s_cbranch_execz .LBB408_106
; %bb.101:
	v_cmp_lt_u32_e64 s7, v35, v32
                                        ; implicit-def: $vgpr24
	s_and_saveexec_b32 s8, s7
; %bb.102:
	v_add_nc_u32_e32 v4, v11, v35
	ds_read_u8 v24, v4
; %bb.103:
	s_or_b32 exec_lo, exec_lo, s8
	v_cmp_ge_u32_e64 s8, v34, v33
	s_mov_b32 s10, exec_lo
                                        ; implicit-def: $vgpr25
	v_cmpx_lt_u32_e64 v34, v33
; %bb.104:
	v_add_nc_u32_e32 v4, v11, v34
	ds_read_u8 v25, v4
; %bb.105:
	s_or_b32 exec_lo, exec_lo, s10
	s_waitcnt lgkmcnt(0)
	v_cmp_le_i16_sdwa s9, sext(v24), sext(v25) src0_sel:BYTE_0 src1_sel:BYTE_0
	s_and_b32 s7, s7, s9
	s_or_b32 s7, s8, s7
	v_cndmask_b32_e64 v4, v34, v35, s7
	v_cndmask_b32_e64 v5, v33, v32, s7
	v_add_nc_u32_e32 v14, 1, v4
	v_add_nc_u32_e32 v5, -1, v5
	v_lshl_add_u32 v4, v4, 3, v9
	v_cndmask_b32_e64 v15, v35, v14, s7
	v_min_u32_e32 v5, v14, v5
	v_cmp_lt_u32_e64 s8, v15, v32
	v_add_nc_u32_e32 v5, v11, v5
	ds_read_u8 v5, v5
	s_waitcnt lgkmcnt(0)
	v_cndmask_b32_e64 v26, v5, v25, s7
	v_cndmask_b32_e64 v27, v24, v5, s7
	;; [unrolled: 1-line block ×4, first 2 shown]
	v_cmp_le_i16_sdwa s10, sext(v27), sext(v26) src0_sel:BYTE_0 src1_sel:BYTE_0
	v_cmp_ge_u32_e64 s9, v5, v33
	s_and_b32 s8, s8, s10
	s_or_b32 s8, s9, s8
	v_cndmask_b32_e64 v14, v5, v15, s8
	v_cndmask_b32_e64 v16, v33, v32, s8
	;; [unrolled: 1-line block ×3, first 2 shown]
	v_add_nc_u32_e32 v17, 1, v14
	v_add_nc_u32_e32 v16, -1, v16
	v_lshl_add_u32 v14, v14, 3, v9
	v_cndmask_b32_e64 v15, v15, v17, s8
	v_min_u32_e32 v16, v17, v16
	v_cndmask_b32_e64 v5, v17, v5, s8
	v_cmp_lt_u32_e64 s9, v15, v32
	v_add_nc_u32_e32 v16, v11, v16
	v_cmp_ge_u32_e64 s10, v5, v33
	ds_read_u8 v16, v16
	s_waitcnt lgkmcnt(0)
	v_cndmask_b32_e64 v34, v16, v26, s8
	v_cndmask_b32_e64 v35, v27, v16, s8
	v_cmp_le_i16_sdwa s11, sext(v35), sext(v34) src0_sel:BYTE_0 src1_sel:BYTE_0
	s_and_b32 s9, s9, s11
	s_or_b32 s9, s10, s9
	v_cndmask_b32_e64 v16, v5, v15, s9
	v_cndmask_b32_e64 v17, v33, v32, s9
	;; [unrolled: 1-line block ×3, first 2 shown]
	v_add_nc_u32_e32 v18, 1, v16
	v_add_nc_u32_e32 v17, -1, v17
	v_lshl_add_u32 v16, v16, 3, v9
	v_cndmask_b32_e64 v15, v15, v18, s9
	v_min_u32_e32 v17, v18, v17
	v_cndmask_b32_e64 v5, v18, v5, s9
	v_cmp_lt_u32_e64 s10, v15, v32
	v_add_nc_u32_e32 v17, v11, v17
	v_cmp_ge_u32_e64 s11, v5, v33
	ds_read_u8 v17, v17
	s_waitcnt lgkmcnt(0)
	v_cndmask_b32_e64 v36, v17, v34, s9
	v_cndmask_b32_e64 v37, v35, v17, s9
	v_cmp_le_i16_sdwa s13, sext(v37), sext(v36) src0_sel:BYTE_0 src1_sel:BYTE_0
	s_and_b32 s10, s10, s13
	s_or_b32 s10, s11, s10
	v_cndmask_b32_e64 v5, v5, v15, s10
	v_cndmask_b32_e64 v26, v36, v37, s10
	v_lshl_add_u32 v17, v5, 3, v9
	ds_read_b64 v[4:5], v4 offset:1024
	ds_read_b64 v[14:15], v14 offset:1024
	;; [unrolled: 1-line block ×4, first 2 shown]
.LBB408_106:
	s_or_b32 exec_lo, exec_lo, s12
	v_and_b32_e32 v34, 0x60, v22
	v_and_b32_e32 v35, 28, v22
	s_mov_b32 s8, exec_lo
	; wave barrier
	v_or_b32_e32 v32, 16, v34
	v_min_u32_e32 v35, v20, v35
	ds_write_b8 v10, v24
	s_waitcnt lgkmcnt(4)
	ds_write_b64 v28, v[4:5]
	ds_write_b8 v31, v25
	s_waitcnt lgkmcnt(5)
	ds_write_b64 v21, v[14:15]
	;; [unrolled: 3-line block ×4, first 2 shown]
	v_min_u32_e32 v32, v20, v32
	; wave barrier
	v_add_nc_u32_e32 v33, 16, v32
	v_sub_nc_u32_e32 v37, v32, v34
	v_min_u32_e32 v33, v20, v33
	v_min_u32_e32 v37, v35, v37
	v_sub_nc_u32_e32 v36, v33, v32
	v_sub_nc_u32_e64 v36, v35, v36 clamp
	v_cmpx_lt_u32_e64 v36, v37
	s_cbranch_execz .LBB408_110
; %bb.107:
	v_add_co_u32 v38, null, v11, v34
	v_add_co_u32 v39, null, v11, v32
	s_mov_b32 s9, 0
	.p2align	6
.LBB408_108:                            ; =>This Inner Loop Header: Depth=1
	v_add_nc_u32_e32 v48, v37, v36
	v_lshrrev_b32_e32 v48, 1, v48
	v_not_b32_e32 v49, v48
	v_add_nc_u32_e32 v50, v38, v48
	v_add_nc_u32_e32 v51, 1, v48
	v_add3_u32 v49, v35, v49, v39
	ds_read_i8 v50, v50
	ds_read_i8 v49, v49
	s_waitcnt lgkmcnt(0)
	v_cmp_gt_i16_e64 s7, v50, v49
	v_cndmask_b32_e64 v37, v37, v48, s7
	v_cndmask_b32_e64 v36, v51, v36, s7
	v_cmp_ge_u32_e64 s7, v36, v37
	s_or_b32 s9, s7, s9
	s_andn2_b32 exec_lo, exec_lo, s9
	s_cbranch_execnz .LBB408_108
; %bb.109:
	s_or_b32 exec_lo, exec_lo, s9
.LBB408_110:
	s_or_b32 exec_lo, exec_lo, s8
	v_add_nc_u32_e32 v37, v32, v35
	v_add_nc_u32_e32 v35, v36, v34
	v_sub_nc_u32_e32 v34, v37, v36
	v_cmp_le_u32_e64 s7, v35, v32
	v_cmp_le_u32_e64 s8, v34, v33
	s_or_b32 s7, s7, s8
	s_and_saveexec_b32 s12, s7
	s_cbranch_execz .LBB408_116
; %bb.111:
	v_cmp_lt_u32_e64 s7, v35, v32
                                        ; implicit-def: $vgpr24
	s_and_saveexec_b32 s8, s7
; %bb.112:
	v_add_nc_u32_e32 v4, v11, v35
	ds_read_u8 v24, v4
; %bb.113:
	s_or_b32 exec_lo, exec_lo, s8
	v_cmp_ge_u32_e64 s8, v34, v33
	s_mov_b32 s10, exec_lo
                                        ; implicit-def: $vgpr25
	v_cmpx_lt_u32_e64 v34, v33
; %bb.114:
	v_add_nc_u32_e32 v4, v11, v34
	ds_read_u8 v25, v4
; %bb.115:
	s_or_b32 exec_lo, exec_lo, s10
	s_waitcnt lgkmcnt(0)
	v_cmp_le_i16_sdwa s9, sext(v24), sext(v25) src0_sel:BYTE_0 src1_sel:BYTE_0
	s_and_b32 s7, s7, s9
	s_or_b32 s7, s8, s7
	v_cndmask_b32_e64 v4, v34, v35, s7
	v_cndmask_b32_e64 v5, v33, v32, s7
	v_add_nc_u32_e32 v14, 1, v4
	v_add_nc_u32_e32 v5, -1, v5
	v_lshl_add_u32 v4, v4, 3, v9
	v_cndmask_b32_e64 v15, v35, v14, s7
	v_min_u32_e32 v5, v14, v5
	v_cmp_lt_u32_e64 s8, v15, v32
	v_add_nc_u32_e32 v5, v11, v5
	ds_read_u8 v5, v5
	s_waitcnt lgkmcnt(0)
	v_cndmask_b32_e64 v26, v5, v25, s7
	v_cndmask_b32_e64 v27, v24, v5, s7
	;; [unrolled: 1-line block ×4, first 2 shown]
	v_cmp_le_i16_sdwa s10, sext(v27), sext(v26) src0_sel:BYTE_0 src1_sel:BYTE_0
	v_cmp_ge_u32_e64 s9, v5, v33
	s_and_b32 s8, s8, s10
	s_or_b32 s8, s9, s8
	v_cndmask_b32_e64 v14, v5, v15, s8
	v_cndmask_b32_e64 v16, v33, v32, s8
	;; [unrolled: 1-line block ×3, first 2 shown]
	v_add_nc_u32_e32 v17, 1, v14
	v_add_nc_u32_e32 v16, -1, v16
	v_lshl_add_u32 v14, v14, 3, v9
	v_cndmask_b32_e64 v15, v15, v17, s8
	v_min_u32_e32 v16, v17, v16
	v_cndmask_b32_e64 v5, v17, v5, s8
	v_cmp_lt_u32_e64 s9, v15, v32
	v_add_nc_u32_e32 v16, v11, v16
	v_cmp_ge_u32_e64 s10, v5, v33
	ds_read_u8 v16, v16
	s_waitcnt lgkmcnt(0)
	v_cndmask_b32_e64 v34, v16, v26, s8
	v_cndmask_b32_e64 v35, v27, v16, s8
	v_cmp_le_i16_sdwa s11, sext(v35), sext(v34) src0_sel:BYTE_0 src1_sel:BYTE_0
	s_and_b32 s9, s9, s11
	s_or_b32 s9, s10, s9
	v_cndmask_b32_e64 v16, v5, v15, s9
	v_cndmask_b32_e64 v17, v33, v32, s9
	v_cndmask_b32_e64 v27, v34, v35, s9
	v_add_nc_u32_e32 v18, 1, v16
	v_add_nc_u32_e32 v17, -1, v17
	v_lshl_add_u32 v16, v16, 3, v9
	v_cndmask_b32_e64 v15, v15, v18, s9
	v_min_u32_e32 v17, v18, v17
	v_cndmask_b32_e64 v5, v18, v5, s9
	v_cmp_lt_u32_e64 s10, v15, v32
	v_add_nc_u32_e32 v17, v11, v17
	v_cmp_ge_u32_e64 s11, v5, v33
	ds_read_u8 v17, v17
	s_waitcnt lgkmcnt(0)
	v_cndmask_b32_e64 v36, v17, v34, s9
	v_cndmask_b32_e64 v37, v35, v17, s9
	v_cmp_le_i16_sdwa s13, sext(v37), sext(v36) src0_sel:BYTE_0 src1_sel:BYTE_0
	s_and_b32 s10, s10, s13
	s_or_b32 s10, s11, s10
	v_cndmask_b32_e64 v5, v5, v15, s10
	v_cndmask_b32_e64 v26, v36, v37, s10
	v_lshl_add_u32 v17, v5, 3, v9
	ds_read_b64 v[4:5], v4 offset:1024
	ds_read_b64 v[14:15], v14 offset:1024
	;; [unrolled: 1-line block ×4, first 2 shown]
.LBB408_116:
	s_or_b32 exec_lo, exec_lo, s12
	v_and_b32_e32 v34, 64, v22
	v_and_b32_e32 v35, 60, v22
	s_mov_b32 s8, exec_lo
	; wave barrier
	v_or_b32_e32 v32, 32, v34
	v_min_u32_e32 v35, v20, v35
	ds_write_b8 v10, v24
	s_waitcnt lgkmcnt(4)
	ds_write_b64 v28, v[4:5]
	ds_write_b8 v31, v25
	s_waitcnt lgkmcnt(5)
	ds_write_b64 v21, v[14:15]
	;; [unrolled: 3-line block ×4, first 2 shown]
	v_min_u32_e32 v32, v20, v32
	; wave barrier
	v_add_nc_u32_e32 v33, 32, v32
	v_sub_nc_u32_e32 v37, v32, v34
	v_min_u32_e32 v33, v20, v33
	v_min_u32_e32 v37, v35, v37
	v_sub_nc_u32_e32 v36, v33, v32
	v_sub_nc_u32_e64 v36, v35, v36 clamp
	v_cmpx_lt_u32_e64 v36, v37
	s_cbranch_execz .LBB408_120
; %bb.117:
	v_add_co_u32 v38, null, v11, v34
	v_add_co_u32 v39, null, v11, v32
	s_mov_b32 s9, 0
	.p2align	6
.LBB408_118:                            ; =>This Inner Loop Header: Depth=1
	v_add_nc_u32_e32 v48, v37, v36
	v_lshrrev_b32_e32 v48, 1, v48
	v_not_b32_e32 v49, v48
	v_add_nc_u32_e32 v50, v38, v48
	v_add_nc_u32_e32 v51, 1, v48
	v_add3_u32 v49, v35, v49, v39
	ds_read_i8 v50, v50
	ds_read_i8 v49, v49
	s_waitcnt lgkmcnt(0)
	v_cmp_gt_i16_e64 s7, v50, v49
	v_cndmask_b32_e64 v37, v37, v48, s7
	v_cndmask_b32_e64 v36, v51, v36, s7
	v_cmp_ge_u32_e64 s7, v36, v37
	s_or_b32 s9, s7, s9
	s_andn2_b32 exec_lo, exec_lo, s9
	s_cbranch_execnz .LBB408_118
; %bb.119:
	s_or_b32 exec_lo, exec_lo, s9
.LBB408_120:
	s_or_b32 exec_lo, exec_lo, s8
	v_add_nc_u32_e32 v37, v32, v35
	v_add_nc_u32_e32 v35, v36, v34
	v_sub_nc_u32_e32 v34, v37, v36
	v_cmp_le_u32_e64 s7, v35, v32
	v_cmp_le_u32_e64 s8, v34, v33
	s_or_b32 s7, s7, s8
	s_and_saveexec_b32 s12, s7
	s_cbranch_execz .LBB408_126
; %bb.121:
	v_cmp_lt_u32_e64 s7, v35, v32
                                        ; implicit-def: $vgpr24
	s_and_saveexec_b32 s8, s7
; %bb.122:
	v_add_nc_u32_e32 v4, v11, v35
	ds_read_u8 v24, v4
; %bb.123:
	s_or_b32 exec_lo, exec_lo, s8
	v_cmp_ge_u32_e64 s8, v34, v33
	s_mov_b32 s10, exec_lo
                                        ; implicit-def: $vgpr25
	v_cmpx_lt_u32_e64 v34, v33
; %bb.124:
	v_add_nc_u32_e32 v4, v11, v34
	ds_read_u8 v25, v4
; %bb.125:
	s_or_b32 exec_lo, exec_lo, s10
	s_waitcnt lgkmcnt(0)
	v_cmp_le_i16_sdwa s9, sext(v24), sext(v25) src0_sel:BYTE_0 src1_sel:BYTE_0
	s_and_b32 s7, s7, s9
	s_or_b32 s7, s8, s7
	v_cndmask_b32_e64 v4, v34, v35, s7
	v_cndmask_b32_e64 v5, v33, v32, s7
	v_add_nc_u32_e32 v14, 1, v4
	v_add_nc_u32_e32 v5, -1, v5
	v_lshl_add_u32 v4, v4, 3, v9
	v_cndmask_b32_e64 v15, v35, v14, s7
	v_min_u32_e32 v5, v14, v5
	v_cmp_lt_u32_e64 s8, v15, v32
	v_add_nc_u32_e32 v5, v11, v5
	ds_read_u8 v5, v5
	s_waitcnt lgkmcnt(0)
	v_cndmask_b32_e64 v26, v5, v25, s7
	v_cndmask_b32_e64 v27, v24, v5, s7
	;; [unrolled: 1-line block ×4, first 2 shown]
	v_cmp_le_i16_sdwa s10, sext(v27), sext(v26) src0_sel:BYTE_0 src1_sel:BYTE_0
	v_cmp_ge_u32_e64 s9, v5, v33
	s_and_b32 s8, s8, s10
	s_or_b32 s8, s9, s8
	v_cndmask_b32_e64 v14, v5, v15, s8
	v_cndmask_b32_e64 v16, v33, v32, s8
	;; [unrolled: 1-line block ×3, first 2 shown]
	v_add_nc_u32_e32 v17, 1, v14
	v_add_nc_u32_e32 v16, -1, v16
	v_lshl_add_u32 v14, v14, 3, v9
	v_cndmask_b32_e64 v15, v15, v17, s8
	v_min_u32_e32 v16, v17, v16
	v_cndmask_b32_e64 v5, v17, v5, s8
	v_cmp_lt_u32_e64 s9, v15, v32
	v_add_nc_u32_e32 v16, v11, v16
	v_cmp_ge_u32_e64 s10, v5, v33
	ds_read_u8 v16, v16
	s_waitcnt lgkmcnt(0)
	v_cndmask_b32_e64 v34, v16, v26, s8
	v_cndmask_b32_e64 v35, v27, v16, s8
	v_cmp_le_i16_sdwa s11, sext(v35), sext(v34) src0_sel:BYTE_0 src1_sel:BYTE_0
	s_and_b32 s9, s9, s11
	s_or_b32 s9, s10, s9
	v_cndmask_b32_e64 v16, v5, v15, s9
	v_cndmask_b32_e64 v17, v33, v32, s9
	;; [unrolled: 1-line block ×3, first 2 shown]
	v_add_nc_u32_e32 v18, 1, v16
	v_add_nc_u32_e32 v17, -1, v17
	v_lshl_add_u32 v16, v16, 3, v9
	v_cndmask_b32_e64 v15, v15, v18, s9
	v_min_u32_e32 v17, v18, v17
	v_cndmask_b32_e64 v5, v18, v5, s9
	v_cmp_lt_u32_e64 s10, v15, v32
	v_add_nc_u32_e32 v17, v11, v17
	v_cmp_ge_u32_e64 s11, v5, v33
	ds_read_u8 v17, v17
	s_waitcnt lgkmcnt(0)
	v_cndmask_b32_e64 v36, v17, v34, s9
	v_cndmask_b32_e64 v37, v35, v17, s9
	v_cmp_le_i16_sdwa s13, sext(v37), sext(v36) src0_sel:BYTE_0 src1_sel:BYTE_0
	s_and_b32 s10, s10, s13
	s_or_b32 s10, s11, s10
	v_cndmask_b32_e64 v5, v5, v15, s10
	v_cndmask_b32_e64 v26, v36, v37, s10
	v_lshl_add_u32 v17, v5, 3, v9
	ds_read_b64 v[4:5], v4 offset:1024
	ds_read_b64 v[14:15], v14 offset:1024
	;; [unrolled: 1-line block ×4, first 2 shown]
.LBB408_126:
	s_or_b32 exec_lo, exec_lo, s12
	v_min_u32_e32 v32, 64, v20
	; wave barrier
	ds_write_b8 v10, v24
	s_waitcnt lgkmcnt(4)
	ds_write_b64 v28, v[4:5]
	s_mov_b32 s8, exec_lo
	v_add_nc_u32_e32 v33, 64, v32
	ds_write_b8 v31, v25
	s_waitcnt lgkmcnt(5)
	ds_write_b64 v21, v[14:15]
	ds_write_b8 v30, v27
	s_waitcnt lgkmcnt(6)
	ds_write_b64 v13, v[18:19]
	;; [unrolled: 3-line block ×3, first 2 shown]
	; wave barrier
	v_min_u32_e32 v33, v20, v33
	v_min_u32_e32 v20, v20, v22
	v_sub_nc_u32_e32 v34, v33, v32
	v_min_u32_e32 v28, v20, v32
	v_sub_nc_u32_e64 v10, v20, v34 clamp
	v_cmpx_lt_u32_e64 v10, v28
	s_cbranch_execz .LBB408_130
; %bb.127:
	v_add_co_u32 v12, null, v11, v32
	s_mov_b32 s9, 0
	.p2align	6
.LBB408_128:                            ; =>This Inner Loop Header: Depth=1
	v_add_nc_u32_e32 v13, v28, v10
	v_lshrrev_b32_e32 v13, 1, v13
	v_not_b32_e32 v21, v13
	v_add_nc_u32_e32 v29, v11, v13
	v_add_nc_u32_e32 v30, 1, v13
	v_add3_u32 v21, v20, v21, v12
	ds_read_i8 v29, v29
	ds_read_i8 v21, v21
	s_waitcnt lgkmcnt(0)
	v_cmp_gt_i16_e64 s7, v29, v21
	v_cndmask_b32_e64 v28, v28, v13, s7
	v_cndmask_b32_e64 v10, v30, v10, s7
	v_cmp_ge_u32_e64 s7, v10, v28
	s_or_b32 s9, s7, s9
	s_andn2_b32 exec_lo, exec_lo, s9
	s_cbranch_execnz .LBB408_128
; %bb.129:
	s_or_b32 exec_lo, exec_lo, s9
.LBB408_130:
	s_or_b32 exec_lo, exec_lo, s8
	v_add_nc_u32_e32 v12, v32, v20
	v_cmp_le_u32_e64 s7, v10, v32
	v_sub_nc_u32_e32 v20, v12, v10
	v_cmp_le_u32_e64 s8, v20, v33
	s_or_b32 s7, s7, s8
	s_and_saveexec_b32 s12, s7
	s_cbranch_execz .LBB408_136
; %bb.131:
	v_cmp_lt_u32_e64 s7, v10, v32
                                        ; implicit-def: $vgpr12
	s_and_saveexec_b32 s8, s7
; %bb.132:
	v_add_nc_u32_e32 v4, v11, v10
	ds_read_u8 v12, v4
; %bb.133:
	s_or_b32 exec_lo, exec_lo, s8
	v_cmp_ge_u32_e64 s8, v20, v33
	s_mov_b32 s10, exec_lo
                                        ; implicit-def: $vgpr13
	v_cmpx_lt_u32_e64 v20, v33
; %bb.134:
	v_add_nc_u32_e32 v4, v11, v20
	ds_read_u8 v13, v4
; %bb.135:
	s_or_b32 exec_lo, exec_lo, s10
	s_waitcnt lgkmcnt(0)
	v_cmp_le_i16_sdwa s9, sext(v12), sext(v13) src0_sel:BYTE_0 src1_sel:BYTE_0
	s_and_b32 s7, s7, s9
	s_or_b32 s7, s8, s7
	v_cndmask_b32_e64 v4, v20, v10, s7
	v_cndmask_b32_e64 v5, v33, v32, s7
	;; [unrolled: 1-line block ×3, first 2 shown]
	v_add_nc_u32_e32 v14, 1, v4
	v_add_nc_u32_e32 v5, -1, v5
	v_lshl_add_u32 v4, v4, 3, v9
	v_cndmask_b32_e64 v10, v10, v14, s7
	v_min_u32_e32 v5, v14, v5
	v_cmp_lt_u32_e64 s8, v10, v32
	v_add_nc_u32_e32 v5, v11, v5
	ds_read_u8 v5, v5
	s_waitcnt lgkmcnt(0)
	v_cndmask_b32_e64 v21, v5, v13, s7
	v_cndmask_b32_e64 v25, v12, v5, s7
	;; [unrolled: 1-line block ×3, first 2 shown]
	v_cmp_le_i16_sdwa s10, sext(v25), sext(v21) src0_sel:BYTE_0 src1_sel:BYTE_0
	v_cmp_ge_u32_e64 s9, v5, v33
	s_and_b32 s8, s8, s10
	s_or_b32 s8, s9, s8
	v_cndmask_b32_e64 v14, v5, v10, s8
	v_cndmask_b32_e64 v15, v33, v32, s8
	v_add_nc_u32_e32 v16, 1, v14
	v_add_nc_u32_e32 v15, -1, v15
	v_cndmask_b32_e64 v10, v10, v16, s8
	v_min_u32_e32 v15, v16, v15
	v_cndmask_b32_e64 v5, v16, v5, s8
	v_cmp_lt_u32_e64 s9, v10, v32
	v_add_nc_u32_e32 v15, v11, v15
	v_cmp_ge_u32_e64 s10, v5, v33
	ds_read_u8 v15, v15
	s_waitcnt lgkmcnt(0)
	v_cndmask_b32_e64 v20, v15, v21, s8
	v_cndmask_b32_e64 v26, v25, v15, s8
	;; [unrolled: 1-line block ×3, first 2 shown]
	v_cmp_le_i16_sdwa s11, sext(v26), sext(v20) src0_sel:BYTE_0 src1_sel:BYTE_0
	s_and_b32 s9, s9, s11
	s_or_b32 s9, s10, s9
	v_cndmask_b32_e64 v15, v5, v10, s9
	v_cndmask_b32_e64 v16, v33, v32, s9
	;; [unrolled: 1-line block ×3, first 2 shown]
	v_add_nc_u32_e32 v17, 1, v15
	v_add_nc_u32_e32 v16, -1, v16
	v_cndmask_b32_e64 v10, v10, v17, s9
	v_min_u32_e32 v16, v17, v16
	v_cndmask_b32_e64 v5, v17, v5, s9
	v_cmp_lt_u32_e64 s10, v10, v32
	v_add_nc_u32_e32 v11, v11, v16
	v_cmp_ge_u32_e64 s11, v5, v33
	v_lshl_add_u32 v16, v15, 3, v9
	ds_read_u8 v11, v11
	s_waitcnt lgkmcnt(0)
	v_cndmask_b32_e64 v28, v11, v20, s9
	v_cndmask_b32_e64 v11, v26, v11, s9
	v_cmp_le_i16_sdwa s13, sext(v11), sext(v28) src0_sel:BYTE_0 src1_sel:BYTE_0
	s_and_b32 s10, s10, s13
	s_or_b32 s10, s11, s10
	v_cndmask_b32_e64 v5, v5, v10, s10
	v_lshl_add_u32 v10, v14, 3, v9
	v_cndmask_b32_e64 v26, v28, v11, s10
	v_lshl_add_u32 v9, v5, 3, v9
	ds_read_b64 v[4:5], v4 offset:1024
	ds_read_b64 v[14:15], v10 offset:1024
	;; [unrolled: 1-line block ×4, first 2 shown]
.LBB408_136:
	s_or_b32 exec_lo, exec_lo, s12
	; wave barrier
	s_waitcnt lgkmcnt(0)
	s_waitcnt_vscnt null, 0x0
	s_barrier
.LBB408_137:
	s_or_b32 exec_lo, exec_lo, s14
	v_add_co_u32 v2, s7, v2, v8
	v_add_co_ci_u32_e64 v3, null, 0, v3, s7
	s_waitcnt vmcnt(0) lgkmcnt(0)
	s_waitcnt_vscnt null, 0x0
	buffer_gl0_inv
	v_add_co_u32 v2, s7, v2, v22
	v_add_co_ci_u32_e64 v3, null, 0, v3, s7
	; wave barrier
	s_and_saveexec_b32 s7, vcc_lo
	s_cbranch_execnz .LBB408_150
; %bb.138:
	s_or_b32 exec_lo, exec_lo, s7
	s_and_saveexec_b32 s7, s4
	s_cbranch_execnz .LBB408_151
.LBB408_139:
	s_or_b32 exec_lo, exec_lo, s7
	s_and_saveexec_b32 s7, s5
	s_cbranch_execnz .LBB408_152
.LBB408_140:
	s_or_b32 exec_lo, exec_lo, s7
	s_and_saveexec_b32 s7, s6
	s_cbranch_execz .LBB408_142
.LBB408_141:
	flat_store_byte v[2:3], v26 offset:3
.LBB408_142:
	s_or_b32 exec_lo, exec_lo, s7
	v_add_co_u32 v0, s7, v6, v0
	v_add_co_ci_u32_e64 v1, null, v7, v1, s7
	v_add_co_u32 v0, s7, v0, v23
	v_add_co_ci_u32_e64 v1, null, 0, v1, s7
	; wave barrier
	s_and_saveexec_b32 s7, vcc_lo
	s_cbranch_execnz .LBB408_153
; %bb.143:
	s_or_b32 exec_lo, exec_lo, s7
	s_and_saveexec_b32 s7, s4
	s_cbranch_execnz .LBB408_154
.LBB408_144:
	s_or_b32 exec_lo, exec_lo, s7
	s_and_saveexec_b32 s4, s5
	s_cbranch_execnz .LBB408_155
.LBB408_145:
	s_or_b32 exec_lo, exec_lo, s4
	s_and_saveexec_b32 s4, s6
	s_cbranch_execnz .LBB408_156
.LBB408_146:
	s_or_b32 exec_lo, exec_lo, s4
	s_waitcnt lgkmcnt(0)
	s_setpc_b64 s[30:31]
.LBB408_147:
	flat_load_dwordx2 v[4:5], v[20:21]
	s_or_b32 exec_lo, exec_lo, s7
                                        ; implicit-def: $vgpr14_vgpr15
	s_and_saveexec_b32 s7, s4
	s_cbranch_execz .LBB408_10
.LBB408_148:
	flat_load_dwordx2 v[14:15], v[20:21] offset:8
	s_or_b32 exec_lo, exec_lo, s7
                                        ; implicit-def: $vgpr18_vgpr19
	s_and_saveexec_b32 s7, s5
	s_cbranch_execz .LBB408_11
.LBB408_149:
	flat_load_dwordx2 v[18:19], v[20:21] offset:16
	s_or_b32 exec_lo, exec_lo, s7
                                        ; implicit-def: $vgpr16_vgpr17
	s_and_saveexec_b32 s7, s6
	s_cbranch_execnz .LBB408_12
	s_branch .LBB408_13
.LBB408_150:
	flat_store_byte v[2:3], v24
	s_or_b32 exec_lo, exec_lo, s7
	s_and_saveexec_b32 s7, s4
	s_cbranch_execz .LBB408_139
.LBB408_151:
	flat_store_byte v[2:3], v25 offset:1
	s_or_b32 exec_lo, exec_lo, s7
	s_and_saveexec_b32 s7, s5
	s_cbranch_execz .LBB408_140
.LBB408_152:
	flat_store_byte v[2:3], v27 offset:2
	s_or_b32 exec_lo, exec_lo, s7
	s_and_saveexec_b32 s7, s6
	s_cbranch_execnz .LBB408_141
	s_branch .LBB408_142
.LBB408_153:
	flat_store_dwordx2 v[0:1], v[4:5]
	s_or_b32 exec_lo, exec_lo, s7
	s_and_saveexec_b32 s7, s4
	s_cbranch_execz .LBB408_144
.LBB408_154:
	flat_store_dwordx2 v[0:1], v[14:15] offset:8
	s_or_b32 exec_lo, exec_lo, s7
	s_and_saveexec_b32 s4, s5
	s_cbranch_execz .LBB408_145
.LBB408_155:
	flat_store_dwordx2 v[0:1], v[18:19] offset:16
	s_or_b32 exec_lo, exec_lo, s4
	s_and_saveexec_b32 s4, s6
	s_cbranch_execz .LBB408_146
.LBB408_156:
	flat_store_dwordx2 v[0:1], v[16:17] offset:24
	s_or_b32 exec_lo, exec_lo, s4
	s_waitcnt lgkmcnt(0)
	s_setpc_b64 s[30:31]
.Lfunc_end408:
	.size	_ZN7rocprim17ROCPRIM_400000_NS6detail26segmented_warp_sort_helperINS1_20WarpSortHelperConfigILj32ELj4ELj256EEEalLi256ELb0EvE4sortIPKaPaPKlPlEEvT_T0_T1_T2_jjjjRNS5_12storage_typeE, .Lfunc_end408-_ZN7rocprim17ROCPRIM_400000_NS6detail26segmented_warp_sort_helperINS1_20WarpSortHelperConfigILj32ELj4ELj256EEEalLi256ELb0EvE4sortIPKaPaPKlPlEEvT_T0_T1_T2_jjjjRNS5_12storage_typeE
                                        ; -- End function
	.set .L_ZN7rocprim17ROCPRIM_400000_NS6detail26segmented_warp_sort_helperINS1_20WarpSortHelperConfigILj32ELj4ELj256EEEalLi256ELb0EvE4sortIPKaPaPKlPlEEvT_T0_T1_T2_jjjjRNS5_12storage_typeE.num_vgpr, 53
	.set .L_ZN7rocprim17ROCPRIM_400000_NS6detail26segmented_warp_sort_helperINS1_20WarpSortHelperConfigILj32ELj4ELj256EEEalLi256ELb0EvE4sortIPKaPaPKlPlEEvT_T0_T1_T2_jjjjRNS5_12storage_typeE.num_agpr, 0
	.set .L_ZN7rocprim17ROCPRIM_400000_NS6detail26segmented_warp_sort_helperINS1_20WarpSortHelperConfigILj32ELj4ELj256EEEalLi256ELb0EvE4sortIPKaPaPKlPlEEvT_T0_T1_T2_jjjjRNS5_12storage_typeE.numbered_sgpr, 32
	.set .L_ZN7rocprim17ROCPRIM_400000_NS6detail26segmented_warp_sort_helperINS1_20WarpSortHelperConfigILj32ELj4ELj256EEEalLi256ELb0EvE4sortIPKaPaPKlPlEEvT_T0_T1_T2_jjjjRNS5_12storage_typeE.num_named_barrier, 0
	.set .L_ZN7rocprim17ROCPRIM_400000_NS6detail26segmented_warp_sort_helperINS1_20WarpSortHelperConfigILj32ELj4ELj256EEEalLi256ELb0EvE4sortIPKaPaPKlPlEEvT_T0_T1_T2_jjjjRNS5_12storage_typeE.private_seg_size, 0
	.set .L_ZN7rocprim17ROCPRIM_400000_NS6detail26segmented_warp_sort_helperINS1_20WarpSortHelperConfigILj32ELj4ELj256EEEalLi256ELb0EvE4sortIPKaPaPKlPlEEvT_T0_T1_T2_jjjjRNS5_12storage_typeE.uses_vcc, 1
	.set .L_ZN7rocprim17ROCPRIM_400000_NS6detail26segmented_warp_sort_helperINS1_20WarpSortHelperConfigILj32ELj4ELj256EEEalLi256ELb0EvE4sortIPKaPaPKlPlEEvT_T0_T1_T2_jjjjRNS5_12storage_typeE.uses_flat_scratch, 0
	.set .L_ZN7rocprim17ROCPRIM_400000_NS6detail26segmented_warp_sort_helperINS1_20WarpSortHelperConfigILj32ELj4ELj256EEEalLi256ELb0EvE4sortIPKaPaPKlPlEEvT_T0_T1_T2_jjjjRNS5_12storage_typeE.has_dyn_sized_stack, 0
	.set .L_ZN7rocprim17ROCPRIM_400000_NS6detail26segmented_warp_sort_helperINS1_20WarpSortHelperConfigILj32ELj4ELj256EEEalLi256ELb0EvE4sortIPKaPaPKlPlEEvT_T0_T1_T2_jjjjRNS5_12storage_typeE.has_recursion, 0
	.set .L_ZN7rocprim17ROCPRIM_400000_NS6detail26segmented_warp_sort_helperINS1_20WarpSortHelperConfigILj32ELj4ELj256EEEalLi256ELb0EvE4sortIPKaPaPKlPlEEvT_T0_T1_T2_jjjjRNS5_12storage_typeE.has_indirect_call, 0
	.section	.AMDGPU.csdata,"",@progbits
; Function info:
; codeLenInByte = 10988
; TotalNumSgprs: 34
; NumVgprs: 53
; ScratchSize: 0
; MemoryBound: 0
	.section	.text._ZN7rocprim17ROCPRIM_400000_NS6detail17trampoline_kernelINS0_14default_configENS1_36segmented_radix_sort_config_selectorIalEEZNS1_25segmented_radix_sort_implIS3_Lb0EPKaPaPKlPlN2at6native12_GLOBAL__N_18offset_tEEE10hipError_tPvRmT1_PNSt15iterator_traitsISK_E10value_typeET2_T3_PNSL_ISQ_E10value_typeET4_jRbjT5_SW_jjP12ihipStream_tbEUlT_E0_NS1_11comp_targetILNS1_3genE8ELNS1_11target_archE1030ELNS1_3gpuE2ELNS1_3repE0EEENS1_60segmented_radix_sort_warp_sort_medium_config_static_selectorELNS0_4arch9wavefront6targetE0EEEvSK_,"axG",@progbits,_ZN7rocprim17ROCPRIM_400000_NS6detail17trampoline_kernelINS0_14default_configENS1_36segmented_radix_sort_config_selectorIalEEZNS1_25segmented_radix_sort_implIS3_Lb0EPKaPaPKlPlN2at6native12_GLOBAL__N_18offset_tEEE10hipError_tPvRmT1_PNSt15iterator_traitsISK_E10value_typeET2_T3_PNSL_ISQ_E10value_typeET4_jRbjT5_SW_jjP12ihipStream_tbEUlT_E0_NS1_11comp_targetILNS1_3genE8ELNS1_11target_archE1030ELNS1_3gpuE2ELNS1_3repE0EEENS1_60segmented_radix_sort_warp_sort_medium_config_static_selectorELNS0_4arch9wavefront6targetE0EEEvSK_,comdat
	.globl	_ZN7rocprim17ROCPRIM_400000_NS6detail17trampoline_kernelINS0_14default_configENS1_36segmented_radix_sort_config_selectorIalEEZNS1_25segmented_radix_sort_implIS3_Lb0EPKaPaPKlPlN2at6native12_GLOBAL__N_18offset_tEEE10hipError_tPvRmT1_PNSt15iterator_traitsISK_E10value_typeET2_T3_PNSL_ISQ_E10value_typeET4_jRbjT5_SW_jjP12ihipStream_tbEUlT_E0_NS1_11comp_targetILNS1_3genE8ELNS1_11target_archE1030ELNS1_3gpuE2ELNS1_3repE0EEENS1_60segmented_radix_sort_warp_sort_medium_config_static_selectorELNS0_4arch9wavefront6targetE0EEEvSK_ ; -- Begin function _ZN7rocprim17ROCPRIM_400000_NS6detail17trampoline_kernelINS0_14default_configENS1_36segmented_radix_sort_config_selectorIalEEZNS1_25segmented_radix_sort_implIS3_Lb0EPKaPaPKlPlN2at6native12_GLOBAL__N_18offset_tEEE10hipError_tPvRmT1_PNSt15iterator_traitsISK_E10value_typeET2_T3_PNSL_ISQ_E10value_typeET4_jRbjT5_SW_jjP12ihipStream_tbEUlT_E0_NS1_11comp_targetILNS1_3genE8ELNS1_11target_archE1030ELNS1_3gpuE2ELNS1_3repE0EEENS1_60segmented_radix_sort_warp_sort_medium_config_static_selectorELNS0_4arch9wavefront6targetE0EEEvSK_
	.p2align	8
	.type	_ZN7rocprim17ROCPRIM_400000_NS6detail17trampoline_kernelINS0_14default_configENS1_36segmented_radix_sort_config_selectorIalEEZNS1_25segmented_radix_sort_implIS3_Lb0EPKaPaPKlPlN2at6native12_GLOBAL__N_18offset_tEEE10hipError_tPvRmT1_PNSt15iterator_traitsISK_E10value_typeET2_T3_PNSL_ISQ_E10value_typeET4_jRbjT5_SW_jjP12ihipStream_tbEUlT_E0_NS1_11comp_targetILNS1_3genE8ELNS1_11target_archE1030ELNS1_3gpuE2ELNS1_3repE0EEENS1_60segmented_radix_sort_warp_sort_medium_config_static_selectorELNS0_4arch9wavefront6targetE0EEEvSK_,@function
_ZN7rocprim17ROCPRIM_400000_NS6detail17trampoline_kernelINS0_14default_configENS1_36segmented_radix_sort_config_selectorIalEEZNS1_25segmented_radix_sort_implIS3_Lb0EPKaPaPKlPlN2at6native12_GLOBAL__N_18offset_tEEE10hipError_tPvRmT1_PNSt15iterator_traitsISK_E10value_typeET2_T3_PNSL_ISQ_E10value_typeET4_jRbjT5_SW_jjP12ihipStream_tbEUlT_E0_NS1_11comp_targetILNS1_3genE8ELNS1_11target_archE1030ELNS1_3gpuE2ELNS1_3repE0EEENS1_60segmented_radix_sort_warp_sort_medium_config_static_selectorELNS0_4arch9wavefront6targetE0EEEvSK_: ; @_ZN7rocprim17ROCPRIM_400000_NS6detail17trampoline_kernelINS0_14default_configENS1_36segmented_radix_sort_config_selectorIalEEZNS1_25segmented_radix_sort_implIS3_Lb0EPKaPaPKlPlN2at6native12_GLOBAL__N_18offset_tEEE10hipError_tPvRmT1_PNSt15iterator_traitsISK_E10value_typeET2_T3_PNSL_ISQ_E10value_typeET4_jRbjT5_SW_jjP12ihipStream_tbEUlT_E0_NS1_11comp_targetILNS1_3genE8ELNS1_11target_archE1030ELNS1_3gpuE2ELNS1_3repE0EEENS1_60segmented_radix_sort_warp_sort_medium_config_static_selectorELNS0_4arch9wavefront6targetE0EEEvSK_
; %bb.0:
	s_add_u32 s0, s0, s8
	s_load_dword s8, s[4:5], 0x64
	s_addc_u32 s1, s1, 0
	s_mov_b32 s32, 0
	s_waitcnt lgkmcnt(0)
	s_lshr_b32 s9, s8, 16
	s_and_b32 s8, s8, 0xffff
	v_mad_u32_u24 v3, v2, s9, v1
	s_load_dword s9, s[4:5], 0x34
	v_mad_u64_u32 v[3:4], null, v3, s8, v[0:1]
	s_mov_b32 s8, exec_lo
	v_lshrrev_b32_e32 v3, 5, v3
	v_lshl_add_u32 v3, s6, 3, v3
	s_waitcnt lgkmcnt(0)
	v_cmpx_gt_u32_e64 s9, v3
	s_cbranch_execz .LBB409_6
; %bb.1:
	s_clause 0x1
	s_load_dwordx2 s[12:13], s[4:5], 0x38
	s_load_dwordx4 s[8:11], s[4:5], 0x40
	v_mov_b32_e32 v4, 0
	v_lshlrev_b64 v[3:4], 2, v[3:4]
	s_waitcnt lgkmcnt(0)
	v_add_co_u32 v3, vcc_lo, s12, v3
	v_add_co_ci_u32_e64 v4, null, s13, v4, vcc_lo
	global_load_dword v3, v[3:4], off
	s_waitcnt vmcnt(0)
	v_add_nc_u32_e32 v4, s9, v3
	v_add_nc_u32_e32 v3, s11, v3
	v_mul_lo_u32 v8, v4, s8
	v_mul_lo_u32 v40, v3, s10
	v_cmp_gt_u32_e32 vcc_lo, v40, v8
	s_and_b32 exec_lo, exec_lo, vcc_lo
	s_cbranch_execz .LBB409_6
; %bb.2:
	s_clause 0x3
	s_load_dword s8, s[4:5], 0x30
	s_load_dwordx4 s[36:39], s[4:5], 0x20
	s_load_dwordx8 s[20:27], s[4:5], 0x0
	s_load_dwordx2 s[28:29], s[4:5], 0x50
	v_lshlrev_b32_e32 v42, 20, v2
	v_lshlrev_b32_e32 v43, 10, v1
	s_waitcnt lgkmcnt(0)
	s_bitcmp0_b32 s8, 0
	s_mov_b32 s8, -1
	s_cbranch_scc0 .LBB409_4
; %bb.3:
	s_mov_b64 s[10:11], src_shared_base
	v_or3_b32 v31, v0, v43, v42
	v_mov_b32_e32 v41, v0
	v_mov_b32_e32 v0, s20
	;; [unrolled: 1-line block ×14, first 2 shown]
	s_add_u32 s8, s4, 0x58
	s_addc_u32 s9, s5, 0
	s_getpc_b64 s[14:15]
	s_add_u32 s14, s14, _ZN7rocprim17ROCPRIM_400000_NS6detail26segmented_warp_sort_helperINS1_20WarpSortHelperConfigILj32ELj4ELj256EEEalLi256ELb0EvE4sortIPKaPaPKlPlEEvT_T0_T1_T2_jjjjRNS5_12storage_typeE@rel32@lo+4
	s_addc_u32 s15, s15, _ZN7rocprim17ROCPRIM_400000_NS6detail26segmented_warp_sort_helperINS1_20WarpSortHelperConfigILj32ELj4ELj256EEEalLi256ELb0EvE4sortIPKaPaPKlPlEEvT_T0_T1_T2_jjjjRNS5_12storage_typeE@rel32@hi+12
	s_mov_b32 s12, s6
	s_mov_b32 s13, s7
	s_mov_b64 s[22:23], s[4:5]
	s_mov_b32 s19, s7
	s_mov_b32 s33, s6
	s_swappc_b64 s[30:31], s[14:15]
	v_mov_b32_e32 v0, v41
	s_mov_b32 s6, s33
	s_mov_b32 s7, s19
	s_mov_b64 s[4:5], s[22:23]
	s_mov_b32 s8, 0
.LBB409_4:
	s_andn2_b32 vcc_lo, exec_lo, s8
	s_cbranch_vccnz .LBB409_6
; %bb.5:
	s_mov_b64 s[10:11], src_shared_base
	v_or3_b32 v31, v0, v43, v42
	v_mov_b32_e32 v0, s20
	v_mov_b32_e32 v1, s21
	;; [unrolled: 1-line block ×13, first 2 shown]
	s_add_u32 s8, s4, 0x58
	s_addc_u32 s9, s5, 0
	s_getpc_b64 s[4:5]
	s_add_u32 s4, s4, _ZN7rocprim17ROCPRIM_400000_NS6detail26segmented_warp_sort_helperINS1_20WarpSortHelperConfigILj32ELj4ELj256EEEalLi256ELb0EvE4sortIPKaPaPKlPlEEvT_T0_T1_T2_jjjjRNS5_12storage_typeE@rel32@lo+4
	s_addc_u32 s5, s5, _ZN7rocprim17ROCPRIM_400000_NS6detail26segmented_warp_sort_helperINS1_20WarpSortHelperConfigILj32ELj4ELj256EEEalLi256ELb0EvE4sortIPKaPaPKlPlEEvT_T0_T1_T2_jjjjRNS5_12storage_typeE@rel32@hi+12
	s_mov_b32 s12, s6
	s_mov_b32 s13, s7
	s_swappc_b64 s[30:31], s[4:5]
.LBB409_6:
	s_endpgm
	.section	.rodata,"a",@progbits
	.p2align	6, 0x0
	.amdhsa_kernel _ZN7rocprim17ROCPRIM_400000_NS6detail17trampoline_kernelINS0_14default_configENS1_36segmented_radix_sort_config_selectorIalEEZNS1_25segmented_radix_sort_implIS3_Lb0EPKaPaPKlPlN2at6native12_GLOBAL__N_18offset_tEEE10hipError_tPvRmT1_PNSt15iterator_traitsISK_E10value_typeET2_T3_PNSL_ISQ_E10value_typeET4_jRbjT5_SW_jjP12ihipStream_tbEUlT_E0_NS1_11comp_targetILNS1_3genE8ELNS1_11target_archE1030ELNS1_3gpuE2ELNS1_3repE0EEENS1_60segmented_radix_sort_warp_sort_medium_config_static_selectorELNS0_4arch9wavefront6targetE0EEEvSK_
		.amdhsa_group_segment_fixed_size 9216
		.amdhsa_private_segment_fixed_size 0
		.amdhsa_kernarg_size 344
		.amdhsa_user_sgpr_count 6
		.amdhsa_user_sgpr_private_segment_buffer 1
		.amdhsa_user_sgpr_dispatch_ptr 0
		.amdhsa_user_sgpr_queue_ptr 0
		.amdhsa_user_sgpr_kernarg_segment_ptr 1
		.amdhsa_user_sgpr_dispatch_id 0
		.amdhsa_user_sgpr_flat_scratch_init 0
		.amdhsa_user_sgpr_private_segment_size 0
		.amdhsa_wavefront_size32 1
		.amdhsa_uses_dynamic_stack 0
		.amdhsa_system_sgpr_private_segment_wavefront_offset 0
		.amdhsa_system_sgpr_workgroup_id_x 1
		.amdhsa_system_sgpr_workgroup_id_y 1
		.amdhsa_system_sgpr_workgroup_id_z 0
		.amdhsa_system_sgpr_workgroup_info 0
		.amdhsa_system_vgpr_workitem_id 2
		.amdhsa_next_free_vgpr 53
		.amdhsa_next_free_sgpr 40
		.amdhsa_reserve_vcc 1
		.amdhsa_reserve_flat_scratch 0
		.amdhsa_float_round_mode_32 0
		.amdhsa_float_round_mode_16_64 0
		.amdhsa_float_denorm_mode_32 3
		.amdhsa_float_denorm_mode_16_64 3
		.amdhsa_dx10_clamp 1
		.amdhsa_ieee_mode 1
		.amdhsa_fp16_overflow 0
		.amdhsa_workgroup_processor_mode 1
		.amdhsa_memory_ordered 1
		.amdhsa_forward_progress 1
		.amdhsa_shared_vgpr_count 0
		.amdhsa_exception_fp_ieee_invalid_op 0
		.amdhsa_exception_fp_denorm_src 0
		.amdhsa_exception_fp_ieee_div_zero 0
		.amdhsa_exception_fp_ieee_overflow 0
		.amdhsa_exception_fp_ieee_underflow 0
		.amdhsa_exception_fp_ieee_inexact 0
		.amdhsa_exception_int_div_zero 0
	.end_amdhsa_kernel
	.section	.text._ZN7rocprim17ROCPRIM_400000_NS6detail17trampoline_kernelINS0_14default_configENS1_36segmented_radix_sort_config_selectorIalEEZNS1_25segmented_radix_sort_implIS3_Lb0EPKaPaPKlPlN2at6native12_GLOBAL__N_18offset_tEEE10hipError_tPvRmT1_PNSt15iterator_traitsISK_E10value_typeET2_T3_PNSL_ISQ_E10value_typeET4_jRbjT5_SW_jjP12ihipStream_tbEUlT_E0_NS1_11comp_targetILNS1_3genE8ELNS1_11target_archE1030ELNS1_3gpuE2ELNS1_3repE0EEENS1_60segmented_radix_sort_warp_sort_medium_config_static_selectorELNS0_4arch9wavefront6targetE0EEEvSK_,"axG",@progbits,_ZN7rocprim17ROCPRIM_400000_NS6detail17trampoline_kernelINS0_14default_configENS1_36segmented_radix_sort_config_selectorIalEEZNS1_25segmented_radix_sort_implIS3_Lb0EPKaPaPKlPlN2at6native12_GLOBAL__N_18offset_tEEE10hipError_tPvRmT1_PNSt15iterator_traitsISK_E10value_typeET2_T3_PNSL_ISQ_E10value_typeET4_jRbjT5_SW_jjP12ihipStream_tbEUlT_E0_NS1_11comp_targetILNS1_3genE8ELNS1_11target_archE1030ELNS1_3gpuE2ELNS1_3repE0EEENS1_60segmented_radix_sort_warp_sort_medium_config_static_selectorELNS0_4arch9wavefront6targetE0EEEvSK_,comdat
.Lfunc_end409:
	.size	_ZN7rocprim17ROCPRIM_400000_NS6detail17trampoline_kernelINS0_14default_configENS1_36segmented_radix_sort_config_selectorIalEEZNS1_25segmented_radix_sort_implIS3_Lb0EPKaPaPKlPlN2at6native12_GLOBAL__N_18offset_tEEE10hipError_tPvRmT1_PNSt15iterator_traitsISK_E10value_typeET2_T3_PNSL_ISQ_E10value_typeET4_jRbjT5_SW_jjP12ihipStream_tbEUlT_E0_NS1_11comp_targetILNS1_3genE8ELNS1_11target_archE1030ELNS1_3gpuE2ELNS1_3repE0EEENS1_60segmented_radix_sort_warp_sort_medium_config_static_selectorELNS0_4arch9wavefront6targetE0EEEvSK_, .Lfunc_end409-_ZN7rocprim17ROCPRIM_400000_NS6detail17trampoline_kernelINS0_14default_configENS1_36segmented_radix_sort_config_selectorIalEEZNS1_25segmented_radix_sort_implIS3_Lb0EPKaPaPKlPlN2at6native12_GLOBAL__N_18offset_tEEE10hipError_tPvRmT1_PNSt15iterator_traitsISK_E10value_typeET2_T3_PNSL_ISQ_E10value_typeET4_jRbjT5_SW_jjP12ihipStream_tbEUlT_E0_NS1_11comp_targetILNS1_3genE8ELNS1_11target_archE1030ELNS1_3gpuE2ELNS1_3repE0EEENS1_60segmented_radix_sort_warp_sort_medium_config_static_selectorELNS0_4arch9wavefront6targetE0EEEvSK_
                                        ; -- End function
	.set _ZN7rocprim17ROCPRIM_400000_NS6detail17trampoline_kernelINS0_14default_configENS1_36segmented_radix_sort_config_selectorIalEEZNS1_25segmented_radix_sort_implIS3_Lb0EPKaPaPKlPlN2at6native12_GLOBAL__N_18offset_tEEE10hipError_tPvRmT1_PNSt15iterator_traitsISK_E10value_typeET2_T3_PNSL_ISQ_E10value_typeET4_jRbjT5_SW_jjP12ihipStream_tbEUlT_E0_NS1_11comp_targetILNS1_3genE8ELNS1_11target_archE1030ELNS1_3gpuE2ELNS1_3repE0EEENS1_60segmented_radix_sort_warp_sort_medium_config_static_selectorELNS0_4arch9wavefront6targetE0EEEvSK_.num_vgpr, max(44, .L_ZN7rocprim17ROCPRIM_400000_NS6detail26segmented_warp_sort_helperINS1_20WarpSortHelperConfigILj32ELj4ELj256EEEalLi256ELb0EvE4sortIPKaPaPKlPlEEvT_T0_T1_T2_jjjjRNS5_12storage_typeE.num_vgpr)
	.set _ZN7rocprim17ROCPRIM_400000_NS6detail17trampoline_kernelINS0_14default_configENS1_36segmented_radix_sort_config_selectorIalEEZNS1_25segmented_radix_sort_implIS3_Lb0EPKaPaPKlPlN2at6native12_GLOBAL__N_18offset_tEEE10hipError_tPvRmT1_PNSt15iterator_traitsISK_E10value_typeET2_T3_PNSL_ISQ_E10value_typeET4_jRbjT5_SW_jjP12ihipStream_tbEUlT_E0_NS1_11comp_targetILNS1_3genE8ELNS1_11target_archE1030ELNS1_3gpuE2ELNS1_3repE0EEENS1_60segmented_radix_sort_warp_sort_medium_config_static_selectorELNS0_4arch9wavefront6targetE0EEEvSK_.num_agpr, max(0, .L_ZN7rocprim17ROCPRIM_400000_NS6detail26segmented_warp_sort_helperINS1_20WarpSortHelperConfigILj32ELj4ELj256EEEalLi256ELb0EvE4sortIPKaPaPKlPlEEvT_T0_T1_T2_jjjjRNS5_12storage_typeE.num_agpr)
	.set _ZN7rocprim17ROCPRIM_400000_NS6detail17trampoline_kernelINS0_14default_configENS1_36segmented_radix_sort_config_selectorIalEEZNS1_25segmented_radix_sort_implIS3_Lb0EPKaPaPKlPlN2at6native12_GLOBAL__N_18offset_tEEE10hipError_tPvRmT1_PNSt15iterator_traitsISK_E10value_typeET2_T3_PNSL_ISQ_E10value_typeET4_jRbjT5_SW_jjP12ihipStream_tbEUlT_E0_NS1_11comp_targetILNS1_3genE8ELNS1_11target_archE1030ELNS1_3gpuE2ELNS1_3repE0EEENS1_60segmented_radix_sort_warp_sort_medium_config_static_selectorELNS0_4arch9wavefront6targetE0EEEvSK_.numbered_sgpr, max(40, .L_ZN7rocprim17ROCPRIM_400000_NS6detail26segmented_warp_sort_helperINS1_20WarpSortHelperConfigILj32ELj4ELj256EEEalLi256ELb0EvE4sortIPKaPaPKlPlEEvT_T0_T1_T2_jjjjRNS5_12storage_typeE.numbered_sgpr)
	.set _ZN7rocprim17ROCPRIM_400000_NS6detail17trampoline_kernelINS0_14default_configENS1_36segmented_radix_sort_config_selectorIalEEZNS1_25segmented_radix_sort_implIS3_Lb0EPKaPaPKlPlN2at6native12_GLOBAL__N_18offset_tEEE10hipError_tPvRmT1_PNSt15iterator_traitsISK_E10value_typeET2_T3_PNSL_ISQ_E10value_typeET4_jRbjT5_SW_jjP12ihipStream_tbEUlT_E0_NS1_11comp_targetILNS1_3genE8ELNS1_11target_archE1030ELNS1_3gpuE2ELNS1_3repE0EEENS1_60segmented_radix_sort_warp_sort_medium_config_static_selectorELNS0_4arch9wavefront6targetE0EEEvSK_.num_named_barrier, max(0, .L_ZN7rocprim17ROCPRIM_400000_NS6detail26segmented_warp_sort_helperINS1_20WarpSortHelperConfigILj32ELj4ELj256EEEalLi256ELb0EvE4sortIPKaPaPKlPlEEvT_T0_T1_T2_jjjjRNS5_12storage_typeE.num_named_barrier)
	.set _ZN7rocprim17ROCPRIM_400000_NS6detail17trampoline_kernelINS0_14default_configENS1_36segmented_radix_sort_config_selectorIalEEZNS1_25segmented_radix_sort_implIS3_Lb0EPKaPaPKlPlN2at6native12_GLOBAL__N_18offset_tEEE10hipError_tPvRmT1_PNSt15iterator_traitsISK_E10value_typeET2_T3_PNSL_ISQ_E10value_typeET4_jRbjT5_SW_jjP12ihipStream_tbEUlT_E0_NS1_11comp_targetILNS1_3genE8ELNS1_11target_archE1030ELNS1_3gpuE2ELNS1_3repE0EEENS1_60segmented_radix_sort_warp_sort_medium_config_static_selectorELNS0_4arch9wavefront6targetE0EEEvSK_.private_seg_size, 0+max(.L_ZN7rocprim17ROCPRIM_400000_NS6detail26segmented_warp_sort_helperINS1_20WarpSortHelperConfigILj32ELj4ELj256EEEalLi256ELb0EvE4sortIPKaPaPKlPlEEvT_T0_T1_T2_jjjjRNS5_12storage_typeE.private_seg_size)
	.set _ZN7rocprim17ROCPRIM_400000_NS6detail17trampoline_kernelINS0_14default_configENS1_36segmented_radix_sort_config_selectorIalEEZNS1_25segmented_radix_sort_implIS3_Lb0EPKaPaPKlPlN2at6native12_GLOBAL__N_18offset_tEEE10hipError_tPvRmT1_PNSt15iterator_traitsISK_E10value_typeET2_T3_PNSL_ISQ_E10value_typeET4_jRbjT5_SW_jjP12ihipStream_tbEUlT_E0_NS1_11comp_targetILNS1_3genE8ELNS1_11target_archE1030ELNS1_3gpuE2ELNS1_3repE0EEENS1_60segmented_radix_sort_warp_sort_medium_config_static_selectorELNS0_4arch9wavefront6targetE0EEEvSK_.uses_vcc, or(1, .L_ZN7rocprim17ROCPRIM_400000_NS6detail26segmented_warp_sort_helperINS1_20WarpSortHelperConfigILj32ELj4ELj256EEEalLi256ELb0EvE4sortIPKaPaPKlPlEEvT_T0_T1_T2_jjjjRNS5_12storage_typeE.uses_vcc)
	.set _ZN7rocprim17ROCPRIM_400000_NS6detail17trampoline_kernelINS0_14default_configENS1_36segmented_radix_sort_config_selectorIalEEZNS1_25segmented_radix_sort_implIS3_Lb0EPKaPaPKlPlN2at6native12_GLOBAL__N_18offset_tEEE10hipError_tPvRmT1_PNSt15iterator_traitsISK_E10value_typeET2_T3_PNSL_ISQ_E10value_typeET4_jRbjT5_SW_jjP12ihipStream_tbEUlT_E0_NS1_11comp_targetILNS1_3genE8ELNS1_11target_archE1030ELNS1_3gpuE2ELNS1_3repE0EEENS1_60segmented_radix_sort_warp_sort_medium_config_static_selectorELNS0_4arch9wavefront6targetE0EEEvSK_.uses_flat_scratch, or(0, .L_ZN7rocprim17ROCPRIM_400000_NS6detail26segmented_warp_sort_helperINS1_20WarpSortHelperConfigILj32ELj4ELj256EEEalLi256ELb0EvE4sortIPKaPaPKlPlEEvT_T0_T1_T2_jjjjRNS5_12storage_typeE.uses_flat_scratch)
	.set _ZN7rocprim17ROCPRIM_400000_NS6detail17trampoline_kernelINS0_14default_configENS1_36segmented_radix_sort_config_selectorIalEEZNS1_25segmented_radix_sort_implIS3_Lb0EPKaPaPKlPlN2at6native12_GLOBAL__N_18offset_tEEE10hipError_tPvRmT1_PNSt15iterator_traitsISK_E10value_typeET2_T3_PNSL_ISQ_E10value_typeET4_jRbjT5_SW_jjP12ihipStream_tbEUlT_E0_NS1_11comp_targetILNS1_3genE8ELNS1_11target_archE1030ELNS1_3gpuE2ELNS1_3repE0EEENS1_60segmented_radix_sort_warp_sort_medium_config_static_selectorELNS0_4arch9wavefront6targetE0EEEvSK_.has_dyn_sized_stack, or(0, .L_ZN7rocprim17ROCPRIM_400000_NS6detail26segmented_warp_sort_helperINS1_20WarpSortHelperConfigILj32ELj4ELj256EEEalLi256ELb0EvE4sortIPKaPaPKlPlEEvT_T0_T1_T2_jjjjRNS5_12storage_typeE.has_dyn_sized_stack)
	.set _ZN7rocprim17ROCPRIM_400000_NS6detail17trampoline_kernelINS0_14default_configENS1_36segmented_radix_sort_config_selectorIalEEZNS1_25segmented_radix_sort_implIS3_Lb0EPKaPaPKlPlN2at6native12_GLOBAL__N_18offset_tEEE10hipError_tPvRmT1_PNSt15iterator_traitsISK_E10value_typeET2_T3_PNSL_ISQ_E10value_typeET4_jRbjT5_SW_jjP12ihipStream_tbEUlT_E0_NS1_11comp_targetILNS1_3genE8ELNS1_11target_archE1030ELNS1_3gpuE2ELNS1_3repE0EEENS1_60segmented_radix_sort_warp_sort_medium_config_static_selectorELNS0_4arch9wavefront6targetE0EEEvSK_.has_recursion, or(0, .L_ZN7rocprim17ROCPRIM_400000_NS6detail26segmented_warp_sort_helperINS1_20WarpSortHelperConfigILj32ELj4ELj256EEEalLi256ELb0EvE4sortIPKaPaPKlPlEEvT_T0_T1_T2_jjjjRNS5_12storage_typeE.has_recursion)
	.set _ZN7rocprim17ROCPRIM_400000_NS6detail17trampoline_kernelINS0_14default_configENS1_36segmented_radix_sort_config_selectorIalEEZNS1_25segmented_radix_sort_implIS3_Lb0EPKaPaPKlPlN2at6native12_GLOBAL__N_18offset_tEEE10hipError_tPvRmT1_PNSt15iterator_traitsISK_E10value_typeET2_T3_PNSL_ISQ_E10value_typeET4_jRbjT5_SW_jjP12ihipStream_tbEUlT_E0_NS1_11comp_targetILNS1_3genE8ELNS1_11target_archE1030ELNS1_3gpuE2ELNS1_3repE0EEENS1_60segmented_radix_sort_warp_sort_medium_config_static_selectorELNS0_4arch9wavefront6targetE0EEEvSK_.has_indirect_call, or(0, .L_ZN7rocprim17ROCPRIM_400000_NS6detail26segmented_warp_sort_helperINS1_20WarpSortHelperConfigILj32ELj4ELj256EEEalLi256ELb0EvE4sortIPKaPaPKlPlEEvT_T0_T1_T2_jjjjRNS5_12storage_typeE.has_indirect_call)
	.section	.AMDGPU.csdata,"",@progbits
; Kernel info:
; codeLenInByte = 516
; TotalNumSgprs: 42
; NumVgprs: 53
; ScratchSize: 0
; MemoryBound: 0
; FloatMode: 240
; IeeeMode: 1
; LDSByteSize: 9216 bytes/workgroup (compile time only)
; SGPRBlocks: 0
; VGPRBlocks: 6
; NumSGPRsForWavesPerEU: 42
; NumVGPRsForWavesPerEU: 53
; Occupancy: 16
; WaveLimiterHint : 0
; COMPUTE_PGM_RSRC2:SCRATCH_EN: 0
; COMPUTE_PGM_RSRC2:USER_SGPR: 6
; COMPUTE_PGM_RSRC2:TRAP_HANDLER: 0
; COMPUTE_PGM_RSRC2:TGID_X_EN: 1
; COMPUTE_PGM_RSRC2:TGID_Y_EN: 1
; COMPUTE_PGM_RSRC2:TGID_Z_EN: 0
; COMPUTE_PGM_RSRC2:TIDIG_COMP_CNT: 2
	.section	.text._ZN7rocprim17ROCPRIM_400000_NS6detail17trampoline_kernelINS0_14default_configENS1_36segmented_radix_sort_config_selectorIalEEZNS1_25segmented_radix_sort_implIS3_Lb0EPKaPaPKlPlN2at6native12_GLOBAL__N_18offset_tEEE10hipError_tPvRmT1_PNSt15iterator_traitsISK_E10value_typeET2_T3_PNSL_ISQ_E10value_typeET4_jRbjT5_SW_jjP12ihipStream_tbEUlT_E1_NS1_11comp_targetILNS1_3genE0ELNS1_11target_archE4294967295ELNS1_3gpuE0ELNS1_3repE0EEENS1_59segmented_radix_sort_warp_sort_small_config_static_selectorELNS0_4arch9wavefront6targetE0EEEvSK_,"axG",@progbits,_ZN7rocprim17ROCPRIM_400000_NS6detail17trampoline_kernelINS0_14default_configENS1_36segmented_radix_sort_config_selectorIalEEZNS1_25segmented_radix_sort_implIS3_Lb0EPKaPaPKlPlN2at6native12_GLOBAL__N_18offset_tEEE10hipError_tPvRmT1_PNSt15iterator_traitsISK_E10value_typeET2_T3_PNSL_ISQ_E10value_typeET4_jRbjT5_SW_jjP12ihipStream_tbEUlT_E1_NS1_11comp_targetILNS1_3genE0ELNS1_11target_archE4294967295ELNS1_3gpuE0ELNS1_3repE0EEENS1_59segmented_radix_sort_warp_sort_small_config_static_selectorELNS0_4arch9wavefront6targetE0EEEvSK_,comdat
	.globl	_ZN7rocprim17ROCPRIM_400000_NS6detail17trampoline_kernelINS0_14default_configENS1_36segmented_radix_sort_config_selectorIalEEZNS1_25segmented_radix_sort_implIS3_Lb0EPKaPaPKlPlN2at6native12_GLOBAL__N_18offset_tEEE10hipError_tPvRmT1_PNSt15iterator_traitsISK_E10value_typeET2_T3_PNSL_ISQ_E10value_typeET4_jRbjT5_SW_jjP12ihipStream_tbEUlT_E1_NS1_11comp_targetILNS1_3genE0ELNS1_11target_archE4294967295ELNS1_3gpuE0ELNS1_3repE0EEENS1_59segmented_radix_sort_warp_sort_small_config_static_selectorELNS0_4arch9wavefront6targetE0EEEvSK_ ; -- Begin function _ZN7rocprim17ROCPRIM_400000_NS6detail17trampoline_kernelINS0_14default_configENS1_36segmented_radix_sort_config_selectorIalEEZNS1_25segmented_radix_sort_implIS3_Lb0EPKaPaPKlPlN2at6native12_GLOBAL__N_18offset_tEEE10hipError_tPvRmT1_PNSt15iterator_traitsISK_E10value_typeET2_T3_PNSL_ISQ_E10value_typeET4_jRbjT5_SW_jjP12ihipStream_tbEUlT_E1_NS1_11comp_targetILNS1_3genE0ELNS1_11target_archE4294967295ELNS1_3gpuE0ELNS1_3repE0EEENS1_59segmented_radix_sort_warp_sort_small_config_static_selectorELNS0_4arch9wavefront6targetE0EEEvSK_
	.p2align	8
	.type	_ZN7rocprim17ROCPRIM_400000_NS6detail17trampoline_kernelINS0_14default_configENS1_36segmented_radix_sort_config_selectorIalEEZNS1_25segmented_radix_sort_implIS3_Lb0EPKaPaPKlPlN2at6native12_GLOBAL__N_18offset_tEEE10hipError_tPvRmT1_PNSt15iterator_traitsISK_E10value_typeET2_T3_PNSL_ISQ_E10value_typeET4_jRbjT5_SW_jjP12ihipStream_tbEUlT_E1_NS1_11comp_targetILNS1_3genE0ELNS1_11target_archE4294967295ELNS1_3gpuE0ELNS1_3repE0EEENS1_59segmented_radix_sort_warp_sort_small_config_static_selectorELNS0_4arch9wavefront6targetE0EEEvSK_,@function
_ZN7rocprim17ROCPRIM_400000_NS6detail17trampoline_kernelINS0_14default_configENS1_36segmented_radix_sort_config_selectorIalEEZNS1_25segmented_radix_sort_implIS3_Lb0EPKaPaPKlPlN2at6native12_GLOBAL__N_18offset_tEEE10hipError_tPvRmT1_PNSt15iterator_traitsISK_E10value_typeET2_T3_PNSL_ISQ_E10value_typeET4_jRbjT5_SW_jjP12ihipStream_tbEUlT_E1_NS1_11comp_targetILNS1_3genE0ELNS1_11target_archE4294967295ELNS1_3gpuE0ELNS1_3repE0EEENS1_59segmented_radix_sort_warp_sort_small_config_static_selectorELNS0_4arch9wavefront6targetE0EEEvSK_: ; @_ZN7rocprim17ROCPRIM_400000_NS6detail17trampoline_kernelINS0_14default_configENS1_36segmented_radix_sort_config_selectorIalEEZNS1_25segmented_radix_sort_implIS3_Lb0EPKaPaPKlPlN2at6native12_GLOBAL__N_18offset_tEEE10hipError_tPvRmT1_PNSt15iterator_traitsISK_E10value_typeET2_T3_PNSL_ISQ_E10value_typeET4_jRbjT5_SW_jjP12ihipStream_tbEUlT_E1_NS1_11comp_targetILNS1_3genE0ELNS1_11target_archE4294967295ELNS1_3gpuE0ELNS1_3repE0EEENS1_59segmented_radix_sort_warp_sort_small_config_static_selectorELNS0_4arch9wavefront6targetE0EEEvSK_
; %bb.0:
	.section	.rodata,"a",@progbits
	.p2align	6, 0x0
	.amdhsa_kernel _ZN7rocprim17ROCPRIM_400000_NS6detail17trampoline_kernelINS0_14default_configENS1_36segmented_radix_sort_config_selectorIalEEZNS1_25segmented_radix_sort_implIS3_Lb0EPKaPaPKlPlN2at6native12_GLOBAL__N_18offset_tEEE10hipError_tPvRmT1_PNSt15iterator_traitsISK_E10value_typeET2_T3_PNSL_ISQ_E10value_typeET4_jRbjT5_SW_jjP12ihipStream_tbEUlT_E1_NS1_11comp_targetILNS1_3genE0ELNS1_11target_archE4294967295ELNS1_3gpuE0ELNS1_3repE0EEENS1_59segmented_radix_sort_warp_sort_small_config_static_selectorELNS0_4arch9wavefront6targetE0EEEvSK_
		.amdhsa_group_segment_fixed_size 0
		.amdhsa_private_segment_fixed_size 0
		.amdhsa_kernarg_size 88
		.amdhsa_user_sgpr_count 6
		.amdhsa_user_sgpr_private_segment_buffer 1
		.amdhsa_user_sgpr_dispatch_ptr 0
		.amdhsa_user_sgpr_queue_ptr 0
		.amdhsa_user_sgpr_kernarg_segment_ptr 1
		.amdhsa_user_sgpr_dispatch_id 0
		.amdhsa_user_sgpr_flat_scratch_init 0
		.amdhsa_user_sgpr_private_segment_size 0
		.amdhsa_wavefront_size32 1
		.amdhsa_uses_dynamic_stack 0
		.amdhsa_system_sgpr_private_segment_wavefront_offset 0
		.amdhsa_system_sgpr_workgroup_id_x 1
		.amdhsa_system_sgpr_workgroup_id_y 0
		.amdhsa_system_sgpr_workgroup_id_z 0
		.amdhsa_system_sgpr_workgroup_info 0
		.amdhsa_system_vgpr_workitem_id 0
		.amdhsa_next_free_vgpr 1
		.amdhsa_next_free_sgpr 1
		.amdhsa_reserve_vcc 0
		.amdhsa_reserve_flat_scratch 0
		.amdhsa_float_round_mode_32 0
		.amdhsa_float_round_mode_16_64 0
		.amdhsa_float_denorm_mode_32 3
		.amdhsa_float_denorm_mode_16_64 3
		.amdhsa_dx10_clamp 1
		.amdhsa_ieee_mode 1
		.amdhsa_fp16_overflow 0
		.amdhsa_workgroup_processor_mode 1
		.amdhsa_memory_ordered 1
		.amdhsa_forward_progress 1
		.amdhsa_shared_vgpr_count 0
		.amdhsa_exception_fp_ieee_invalid_op 0
		.amdhsa_exception_fp_denorm_src 0
		.amdhsa_exception_fp_ieee_div_zero 0
		.amdhsa_exception_fp_ieee_overflow 0
		.amdhsa_exception_fp_ieee_underflow 0
		.amdhsa_exception_fp_ieee_inexact 0
		.amdhsa_exception_int_div_zero 0
	.end_amdhsa_kernel
	.section	.text._ZN7rocprim17ROCPRIM_400000_NS6detail17trampoline_kernelINS0_14default_configENS1_36segmented_radix_sort_config_selectorIalEEZNS1_25segmented_radix_sort_implIS3_Lb0EPKaPaPKlPlN2at6native12_GLOBAL__N_18offset_tEEE10hipError_tPvRmT1_PNSt15iterator_traitsISK_E10value_typeET2_T3_PNSL_ISQ_E10value_typeET4_jRbjT5_SW_jjP12ihipStream_tbEUlT_E1_NS1_11comp_targetILNS1_3genE0ELNS1_11target_archE4294967295ELNS1_3gpuE0ELNS1_3repE0EEENS1_59segmented_radix_sort_warp_sort_small_config_static_selectorELNS0_4arch9wavefront6targetE0EEEvSK_,"axG",@progbits,_ZN7rocprim17ROCPRIM_400000_NS6detail17trampoline_kernelINS0_14default_configENS1_36segmented_radix_sort_config_selectorIalEEZNS1_25segmented_radix_sort_implIS3_Lb0EPKaPaPKlPlN2at6native12_GLOBAL__N_18offset_tEEE10hipError_tPvRmT1_PNSt15iterator_traitsISK_E10value_typeET2_T3_PNSL_ISQ_E10value_typeET4_jRbjT5_SW_jjP12ihipStream_tbEUlT_E1_NS1_11comp_targetILNS1_3genE0ELNS1_11target_archE4294967295ELNS1_3gpuE0ELNS1_3repE0EEENS1_59segmented_radix_sort_warp_sort_small_config_static_selectorELNS0_4arch9wavefront6targetE0EEEvSK_,comdat
.Lfunc_end410:
	.size	_ZN7rocprim17ROCPRIM_400000_NS6detail17trampoline_kernelINS0_14default_configENS1_36segmented_radix_sort_config_selectorIalEEZNS1_25segmented_radix_sort_implIS3_Lb0EPKaPaPKlPlN2at6native12_GLOBAL__N_18offset_tEEE10hipError_tPvRmT1_PNSt15iterator_traitsISK_E10value_typeET2_T3_PNSL_ISQ_E10value_typeET4_jRbjT5_SW_jjP12ihipStream_tbEUlT_E1_NS1_11comp_targetILNS1_3genE0ELNS1_11target_archE4294967295ELNS1_3gpuE0ELNS1_3repE0EEENS1_59segmented_radix_sort_warp_sort_small_config_static_selectorELNS0_4arch9wavefront6targetE0EEEvSK_, .Lfunc_end410-_ZN7rocprim17ROCPRIM_400000_NS6detail17trampoline_kernelINS0_14default_configENS1_36segmented_radix_sort_config_selectorIalEEZNS1_25segmented_radix_sort_implIS3_Lb0EPKaPaPKlPlN2at6native12_GLOBAL__N_18offset_tEEE10hipError_tPvRmT1_PNSt15iterator_traitsISK_E10value_typeET2_T3_PNSL_ISQ_E10value_typeET4_jRbjT5_SW_jjP12ihipStream_tbEUlT_E1_NS1_11comp_targetILNS1_3genE0ELNS1_11target_archE4294967295ELNS1_3gpuE0ELNS1_3repE0EEENS1_59segmented_radix_sort_warp_sort_small_config_static_selectorELNS0_4arch9wavefront6targetE0EEEvSK_
                                        ; -- End function
	.set _ZN7rocprim17ROCPRIM_400000_NS6detail17trampoline_kernelINS0_14default_configENS1_36segmented_radix_sort_config_selectorIalEEZNS1_25segmented_radix_sort_implIS3_Lb0EPKaPaPKlPlN2at6native12_GLOBAL__N_18offset_tEEE10hipError_tPvRmT1_PNSt15iterator_traitsISK_E10value_typeET2_T3_PNSL_ISQ_E10value_typeET4_jRbjT5_SW_jjP12ihipStream_tbEUlT_E1_NS1_11comp_targetILNS1_3genE0ELNS1_11target_archE4294967295ELNS1_3gpuE0ELNS1_3repE0EEENS1_59segmented_radix_sort_warp_sort_small_config_static_selectorELNS0_4arch9wavefront6targetE0EEEvSK_.num_vgpr, 0
	.set _ZN7rocprim17ROCPRIM_400000_NS6detail17trampoline_kernelINS0_14default_configENS1_36segmented_radix_sort_config_selectorIalEEZNS1_25segmented_radix_sort_implIS3_Lb0EPKaPaPKlPlN2at6native12_GLOBAL__N_18offset_tEEE10hipError_tPvRmT1_PNSt15iterator_traitsISK_E10value_typeET2_T3_PNSL_ISQ_E10value_typeET4_jRbjT5_SW_jjP12ihipStream_tbEUlT_E1_NS1_11comp_targetILNS1_3genE0ELNS1_11target_archE4294967295ELNS1_3gpuE0ELNS1_3repE0EEENS1_59segmented_radix_sort_warp_sort_small_config_static_selectorELNS0_4arch9wavefront6targetE0EEEvSK_.num_agpr, 0
	.set _ZN7rocprim17ROCPRIM_400000_NS6detail17trampoline_kernelINS0_14default_configENS1_36segmented_radix_sort_config_selectorIalEEZNS1_25segmented_radix_sort_implIS3_Lb0EPKaPaPKlPlN2at6native12_GLOBAL__N_18offset_tEEE10hipError_tPvRmT1_PNSt15iterator_traitsISK_E10value_typeET2_T3_PNSL_ISQ_E10value_typeET4_jRbjT5_SW_jjP12ihipStream_tbEUlT_E1_NS1_11comp_targetILNS1_3genE0ELNS1_11target_archE4294967295ELNS1_3gpuE0ELNS1_3repE0EEENS1_59segmented_radix_sort_warp_sort_small_config_static_selectorELNS0_4arch9wavefront6targetE0EEEvSK_.numbered_sgpr, 0
	.set _ZN7rocprim17ROCPRIM_400000_NS6detail17trampoline_kernelINS0_14default_configENS1_36segmented_radix_sort_config_selectorIalEEZNS1_25segmented_radix_sort_implIS3_Lb0EPKaPaPKlPlN2at6native12_GLOBAL__N_18offset_tEEE10hipError_tPvRmT1_PNSt15iterator_traitsISK_E10value_typeET2_T3_PNSL_ISQ_E10value_typeET4_jRbjT5_SW_jjP12ihipStream_tbEUlT_E1_NS1_11comp_targetILNS1_3genE0ELNS1_11target_archE4294967295ELNS1_3gpuE0ELNS1_3repE0EEENS1_59segmented_radix_sort_warp_sort_small_config_static_selectorELNS0_4arch9wavefront6targetE0EEEvSK_.num_named_barrier, 0
	.set _ZN7rocprim17ROCPRIM_400000_NS6detail17trampoline_kernelINS0_14default_configENS1_36segmented_radix_sort_config_selectorIalEEZNS1_25segmented_radix_sort_implIS3_Lb0EPKaPaPKlPlN2at6native12_GLOBAL__N_18offset_tEEE10hipError_tPvRmT1_PNSt15iterator_traitsISK_E10value_typeET2_T3_PNSL_ISQ_E10value_typeET4_jRbjT5_SW_jjP12ihipStream_tbEUlT_E1_NS1_11comp_targetILNS1_3genE0ELNS1_11target_archE4294967295ELNS1_3gpuE0ELNS1_3repE0EEENS1_59segmented_radix_sort_warp_sort_small_config_static_selectorELNS0_4arch9wavefront6targetE0EEEvSK_.private_seg_size, 0
	.set _ZN7rocprim17ROCPRIM_400000_NS6detail17trampoline_kernelINS0_14default_configENS1_36segmented_radix_sort_config_selectorIalEEZNS1_25segmented_radix_sort_implIS3_Lb0EPKaPaPKlPlN2at6native12_GLOBAL__N_18offset_tEEE10hipError_tPvRmT1_PNSt15iterator_traitsISK_E10value_typeET2_T3_PNSL_ISQ_E10value_typeET4_jRbjT5_SW_jjP12ihipStream_tbEUlT_E1_NS1_11comp_targetILNS1_3genE0ELNS1_11target_archE4294967295ELNS1_3gpuE0ELNS1_3repE0EEENS1_59segmented_radix_sort_warp_sort_small_config_static_selectorELNS0_4arch9wavefront6targetE0EEEvSK_.uses_vcc, 0
	.set _ZN7rocprim17ROCPRIM_400000_NS6detail17trampoline_kernelINS0_14default_configENS1_36segmented_radix_sort_config_selectorIalEEZNS1_25segmented_radix_sort_implIS3_Lb0EPKaPaPKlPlN2at6native12_GLOBAL__N_18offset_tEEE10hipError_tPvRmT1_PNSt15iterator_traitsISK_E10value_typeET2_T3_PNSL_ISQ_E10value_typeET4_jRbjT5_SW_jjP12ihipStream_tbEUlT_E1_NS1_11comp_targetILNS1_3genE0ELNS1_11target_archE4294967295ELNS1_3gpuE0ELNS1_3repE0EEENS1_59segmented_radix_sort_warp_sort_small_config_static_selectorELNS0_4arch9wavefront6targetE0EEEvSK_.uses_flat_scratch, 0
	.set _ZN7rocprim17ROCPRIM_400000_NS6detail17trampoline_kernelINS0_14default_configENS1_36segmented_radix_sort_config_selectorIalEEZNS1_25segmented_radix_sort_implIS3_Lb0EPKaPaPKlPlN2at6native12_GLOBAL__N_18offset_tEEE10hipError_tPvRmT1_PNSt15iterator_traitsISK_E10value_typeET2_T3_PNSL_ISQ_E10value_typeET4_jRbjT5_SW_jjP12ihipStream_tbEUlT_E1_NS1_11comp_targetILNS1_3genE0ELNS1_11target_archE4294967295ELNS1_3gpuE0ELNS1_3repE0EEENS1_59segmented_radix_sort_warp_sort_small_config_static_selectorELNS0_4arch9wavefront6targetE0EEEvSK_.has_dyn_sized_stack, 0
	.set _ZN7rocprim17ROCPRIM_400000_NS6detail17trampoline_kernelINS0_14default_configENS1_36segmented_radix_sort_config_selectorIalEEZNS1_25segmented_radix_sort_implIS3_Lb0EPKaPaPKlPlN2at6native12_GLOBAL__N_18offset_tEEE10hipError_tPvRmT1_PNSt15iterator_traitsISK_E10value_typeET2_T3_PNSL_ISQ_E10value_typeET4_jRbjT5_SW_jjP12ihipStream_tbEUlT_E1_NS1_11comp_targetILNS1_3genE0ELNS1_11target_archE4294967295ELNS1_3gpuE0ELNS1_3repE0EEENS1_59segmented_radix_sort_warp_sort_small_config_static_selectorELNS0_4arch9wavefront6targetE0EEEvSK_.has_recursion, 0
	.set _ZN7rocprim17ROCPRIM_400000_NS6detail17trampoline_kernelINS0_14default_configENS1_36segmented_radix_sort_config_selectorIalEEZNS1_25segmented_radix_sort_implIS3_Lb0EPKaPaPKlPlN2at6native12_GLOBAL__N_18offset_tEEE10hipError_tPvRmT1_PNSt15iterator_traitsISK_E10value_typeET2_T3_PNSL_ISQ_E10value_typeET4_jRbjT5_SW_jjP12ihipStream_tbEUlT_E1_NS1_11comp_targetILNS1_3genE0ELNS1_11target_archE4294967295ELNS1_3gpuE0ELNS1_3repE0EEENS1_59segmented_radix_sort_warp_sort_small_config_static_selectorELNS0_4arch9wavefront6targetE0EEEvSK_.has_indirect_call, 0
	.section	.AMDGPU.csdata,"",@progbits
; Kernel info:
; codeLenInByte = 0
; TotalNumSgprs: 0
; NumVgprs: 0
; ScratchSize: 0
; MemoryBound: 0
; FloatMode: 240
; IeeeMode: 1
; LDSByteSize: 0 bytes/workgroup (compile time only)
; SGPRBlocks: 0
; VGPRBlocks: 0
; NumSGPRsForWavesPerEU: 1
; NumVGPRsForWavesPerEU: 1
; Occupancy: 16
; WaveLimiterHint : 0
; COMPUTE_PGM_RSRC2:SCRATCH_EN: 0
; COMPUTE_PGM_RSRC2:USER_SGPR: 6
; COMPUTE_PGM_RSRC2:TRAP_HANDLER: 0
; COMPUTE_PGM_RSRC2:TGID_X_EN: 1
; COMPUTE_PGM_RSRC2:TGID_Y_EN: 0
; COMPUTE_PGM_RSRC2:TGID_Z_EN: 0
; COMPUTE_PGM_RSRC2:TIDIG_COMP_CNT: 0
	.section	.text._ZN7rocprim17ROCPRIM_400000_NS6detail17trampoline_kernelINS0_14default_configENS1_36segmented_radix_sort_config_selectorIalEEZNS1_25segmented_radix_sort_implIS3_Lb0EPKaPaPKlPlN2at6native12_GLOBAL__N_18offset_tEEE10hipError_tPvRmT1_PNSt15iterator_traitsISK_E10value_typeET2_T3_PNSL_ISQ_E10value_typeET4_jRbjT5_SW_jjP12ihipStream_tbEUlT_E1_NS1_11comp_targetILNS1_3genE5ELNS1_11target_archE942ELNS1_3gpuE9ELNS1_3repE0EEENS1_59segmented_radix_sort_warp_sort_small_config_static_selectorELNS0_4arch9wavefront6targetE0EEEvSK_,"axG",@progbits,_ZN7rocprim17ROCPRIM_400000_NS6detail17trampoline_kernelINS0_14default_configENS1_36segmented_radix_sort_config_selectorIalEEZNS1_25segmented_radix_sort_implIS3_Lb0EPKaPaPKlPlN2at6native12_GLOBAL__N_18offset_tEEE10hipError_tPvRmT1_PNSt15iterator_traitsISK_E10value_typeET2_T3_PNSL_ISQ_E10value_typeET4_jRbjT5_SW_jjP12ihipStream_tbEUlT_E1_NS1_11comp_targetILNS1_3genE5ELNS1_11target_archE942ELNS1_3gpuE9ELNS1_3repE0EEENS1_59segmented_radix_sort_warp_sort_small_config_static_selectorELNS0_4arch9wavefront6targetE0EEEvSK_,comdat
	.globl	_ZN7rocprim17ROCPRIM_400000_NS6detail17trampoline_kernelINS0_14default_configENS1_36segmented_radix_sort_config_selectorIalEEZNS1_25segmented_radix_sort_implIS3_Lb0EPKaPaPKlPlN2at6native12_GLOBAL__N_18offset_tEEE10hipError_tPvRmT1_PNSt15iterator_traitsISK_E10value_typeET2_T3_PNSL_ISQ_E10value_typeET4_jRbjT5_SW_jjP12ihipStream_tbEUlT_E1_NS1_11comp_targetILNS1_3genE5ELNS1_11target_archE942ELNS1_3gpuE9ELNS1_3repE0EEENS1_59segmented_radix_sort_warp_sort_small_config_static_selectorELNS0_4arch9wavefront6targetE0EEEvSK_ ; -- Begin function _ZN7rocprim17ROCPRIM_400000_NS6detail17trampoline_kernelINS0_14default_configENS1_36segmented_radix_sort_config_selectorIalEEZNS1_25segmented_radix_sort_implIS3_Lb0EPKaPaPKlPlN2at6native12_GLOBAL__N_18offset_tEEE10hipError_tPvRmT1_PNSt15iterator_traitsISK_E10value_typeET2_T3_PNSL_ISQ_E10value_typeET4_jRbjT5_SW_jjP12ihipStream_tbEUlT_E1_NS1_11comp_targetILNS1_3genE5ELNS1_11target_archE942ELNS1_3gpuE9ELNS1_3repE0EEENS1_59segmented_radix_sort_warp_sort_small_config_static_selectorELNS0_4arch9wavefront6targetE0EEEvSK_
	.p2align	8
	.type	_ZN7rocprim17ROCPRIM_400000_NS6detail17trampoline_kernelINS0_14default_configENS1_36segmented_radix_sort_config_selectorIalEEZNS1_25segmented_radix_sort_implIS3_Lb0EPKaPaPKlPlN2at6native12_GLOBAL__N_18offset_tEEE10hipError_tPvRmT1_PNSt15iterator_traitsISK_E10value_typeET2_T3_PNSL_ISQ_E10value_typeET4_jRbjT5_SW_jjP12ihipStream_tbEUlT_E1_NS1_11comp_targetILNS1_3genE5ELNS1_11target_archE942ELNS1_3gpuE9ELNS1_3repE0EEENS1_59segmented_radix_sort_warp_sort_small_config_static_selectorELNS0_4arch9wavefront6targetE0EEEvSK_,@function
_ZN7rocprim17ROCPRIM_400000_NS6detail17trampoline_kernelINS0_14default_configENS1_36segmented_radix_sort_config_selectorIalEEZNS1_25segmented_radix_sort_implIS3_Lb0EPKaPaPKlPlN2at6native12_GLOBAL__N_18offset_tEEE10hipError_tPvRmT1_PNSt15iterator_traitsISK_E10value_typeET2_T3_PNSL_ISQ_E10value_typeET4_jRbjT5_SW_jjP12ihipStream_tbEUlT_E1_NS1_11comp_targetILNS1_3genE5ELNS1_11target_archE942ELNS1_3gpuE9ELNS1_3repE0EEENS1_59segmented_radix_sort_warp_sort_small_config_static_selectorELNS0_4arch9wavefront6targetE0EEEvSK_: ; @_ZN7rocprim17ROCPRIM_400000_NS6detail17trampoline_kernelINS0_14default_configENS1_36segmented_radix_sort_config_selectorIalEEZNS1_25segmented_radix_sort_implIS3_Lb0EPKaPaPKlPlN2at6native12_GLOBAL__N_18offset_tEEE10hipError_tPvRmT1_PNSt15iterator_traitsISK_E10value_typeET2_T3_PNSL_ISQ_E10value_typeET4_jRbjT5_SW_jjP12ihipStream_tbEUlT_E1_NS1_11comp_targetILNS1_3genE5ELNS1_11target_archE942ELNS1_3gpuE9ELNS1_3repE0EEENS1_59segmented_radix_sort_warp_sort_small_config_static_selectorELNS0_4arch9wavefront6targetE0EEEvSK_
; %bb.0:
	.section	.rodata,"a",@progbits
	.p2align	6, 0x0
	.amdhsa_kernel _ZN7rocprim17ROCPRIM_400000_NS6detail17trampoline_kernelINS0_14default_configENS1_36segmented_radix_sort_config_selectorIalEEZNS1_25segmented_radix_sort_implIS3_Lb0EPKaPaPKlPlN2at6native12_GLOBAL__N_18offset_tEEE10hipError_tPvRmT1_PNSt15iterator_traitsISK_E10value_typeET2_T3_PNSL_ISQ_E10value_typeET4_jRbjT5_SW_jjP12ihipStream_tbEUlT_E1_NS1_11comp_targetILNS1_3genE5ELNS1_11target_archE942ELNS1_3gpuE9ELNS1_3repE0EEENS1_59segmented_radix_sort_warp_sort_small_config_static_selectorELNS0_4arch9wavefront6targetE0EEEvSK_
		.amdhsa_group_segment_fixed_size 0
		.amdhsa_private_segment_fixed_size 0
		.amdhsa_kernarg_size 88
		.amdhsa_user_sgpr_count 6
		.amdhsa_user_sgpr_private_segment_buffer 1
		.amdhsa_user_sgpr_dispatch_ptr 0
		.amdhsa_user_sgpr_queue_ptr 0
		.amdhsa_user_sgpr_kernarg_segment_ptr 1
		.amdhsa_user_sgpr_dispatch_id 0
		.amdhsa_user_sgpr_flat_scratch_init 0
		.amdhsa_user_sgpr_private_segment_size 0
		.amdhsa_wavefront_size32 1
		.amdhsa_uses_dynamic_stack 0
		.amdhsa_system_sgpr_private_segment_wavefront_offset 0
		.amdhsa_system_sgpr_workgroup_id_x 1
		.amdhsa_system_sgpr_workgroup_id_y 0
		.amdhsa_system_sgpr_workgroup_id_z 0
		.amdhsa_system_sgpr_workgroup_info 0
		.amdhsa_system_vgpr_workitem_id 0
		.amdhsa_next_free_vgpr 1
		.amdhsa_next_free_sgpr 1
		.amdhsa_reserve_vcc 0
		.amdhsa_reserve_flat_scratch 0
		.amdhsa_float_round_mode_32 0
		.amdhsa_float_round_mode_16_64 0
		.amdhsa_float_denorm_mode_32 3
		.amdhsa_float_denorm_mode_16_64 3
		.amdhsa_dx10_clamp 1
		.amdhsa_ieee_mode 1
		.amdhsa_fp16_overflow 0
		.amdhsa_workgroup_processor_mode 1
		.amdhsa_memory_ordered 1
		.amdhsa_forward_progress 1
		.amdhsa_shared_vgpr_count 0
		.amdhsa_exception_fp_ieee_invalid_op 0
		.amdhsa_exception_fp_denorm_src 0
		.amdhsa_exception_fp_ieee_div_zero 0
		.amdhsa_exception_fp_ieee_overflow 0
		.amdhsa_exception_fp_ieee_underflow 0
		.amdhsa_exception_fp_ieee_inexact 0
		.amdhsa_exception_int_div_zero 0
	.end_amdhsa_kernel
	.section	.text._ZN7rocprim17ROCPRIM_400000_NS6detail17trampoline_kernelINS0_14default_configENS1_36segmented_radix_sort_config_selectorIalEEZNS1_25segmented_radix_sort_implIS3_Lb0EPKaPaPKlPlN2at6native12_GLOBAL__N_18offset_tEEE10hipError_tPvRmT1_PNSt15iterator_traitsISK_E10value_typeET2_T3_PNSL_ISQ_E10value_typeET4_jRbjT5_SW_jjP12ihipStream_tbEUlT_E1_NS1_11comp_targetILNS1_3genE5ELNS1_11target_archE942ELNS1_3gpuE9ELNS1_3repE0EEENS1_59segmented_radix_sort_warp_sort_small_config_static_selectorELNS0_4arch9wavefront6targetE0EEEvSK_,"axG",@progbits,_ZN7rocprim17ROCPRIM_400000_NS6detail17trampoline_kernelINS0_14default_configENS1_36segmented_radix_sort_config_selectorIalEEZNS1_25segmented_radix_sort_implIS3_Lb0EPKaPaPKlPlN2at6native12_GLOBAL__N_18offset_tEEE10hipError_tPvRmT1_PNSt15iterator_traitsISK_E10value_typeET2_T3_PNSL_ISQ_E10value_typeET4_jRbjT5_SW_jjP12ihipStream_tbEUlT_E1_NS1_11comp_targetILNS1_3genE5ELNS1_11target_archE942ELNS1_3gpuE9ELNS1_3repE0EEENS1_59segmented_radix_sort_warp_sort_small_config_static_selectorELNS0_4arch9wavefront6targetE0EEEvSK_,comdat
.Lfunc_end411:
	.size	_ZN7rocprim17ROCPRIM_400000_NS6detail17trampoline_kernelINS0_14default_configENS1_36segmented_radix_sort_config_selectorIalEEZNS1_25segmented_radix_sort_implIS3_Lb0EPKaPaPKlPlN2at6native12_GLOBAL__N_18offset_tEEE10hipError_tPvRmT1_PNSt15iterator_traitsISK_E10value_typeET2_T3_PNSL_ISQ_E10value_typeET4_jRbjT5_SW_jjP12ihipStream_tbEUlT_E1_NS1_11comp_targetILNS1_3genE5ELNS1_11target_archE942ELNS1_3gpuE9ELNS1_3repE0EEENS1_59segmented_radix_sort_warp_sort_small_config_static_selectorELNS0_4arch9wavefront6targetE0EEEvSK_, .Lfunc_end411-_ZN7rocprim17ROCPRIM_400000_NS6detail17trampoline_kernelINS0_14default_configENS1_36segmented_radix_sort_config_selectorIalEEZNS1_25segmented_radix_sort_implIS3_Lb0EPKaPaPKlPlN2at6native12_GLOBAL__N_18offset_tEEE10hipError_tPvRmT1_PNSt15iterator_traitsISK_E10value_typeET2_T3_PNSL_ISQ_E10value_typeET4_jRbjT5_SW_jjP12ihipStream_tbEUlT_E1_NS1_11comp_targetILNS1_3genE5ELNS1_11target_archE942ELNS1_3gpuE9ELNS1_3repE0EEENS1_59segmented_radix_sort_warp_sort_small_config_static_selectorELNS0_4arch9wavefront6targetE0EEEvSK_
                                        ; -- End function
	.set _ZN7rocprim17ROCPRIM_400000_NS6detail17trampoline_kernelINS0_14default_configENS1_36segmented_radix_sort_config_selectorIalEEZNS1_25segmented_radix_sort_implIS3_Lb0EPKaPaPKlPlN2at6native12_GLOBAL__N_18offset_tEEE10hipError_tPvRmT1_PNSt15iterator_traitsISK_E10value_typeET2_T3_PNSL_ISQ_E10value_typeET4_jRbjT5_SW_jjP12ihipStream_tbEUlT_E1_NS1_11comp_targetILNS1_3genE5ELNS1_11target_archE942ELNS1_3gpuE9ELNS1_3repE0EEENS1_59segmented_radix_sort_warp_sort_small_config_static_selectorELNS0_4arch9wavefront6targetE0EEEvSK_.num_vgpr, 0
	.set _ZN7rocprim17ROCPRIM_400000_NS6detail17trampoline_kernelINS0_14default_configENS1_36segmented_radix_sort_config_selectorIalEEZNS1_25segmented_radix_sort_implIS3_Lb0EPKaPaPKlPlN2at6native12_GLOBAL__N_18offset_tEEE10hipError_tPvRmT1_PNSt15iterator_traitsISK_E10value_typeET2_T3_PNSL_ISQ_E10value_typeET4_jRbjT5_SW_jjP12ihipStream_tbEUlT_E1_NS1_11comp_targetILNS1_3genE5ELNS1_11target_archE942ELNS1_3gpuE9ELNS1_3repE0EEENS1_59segmented_radix_sort_warp_sort_small_config_static_selectorELNS0_4arch9wavefront6targetE0EEEvSK_.num_agpr, 0
	.set _ZN7rocprim17ROCPRIM_400000_NS6detail17trampoline_kernelINS0_14default_configENS1_36segmented_radix_sort_config_selectorIalEEZNS1_25segmented_radix_sort_implIS3_Lb0EPKaPaPKlPlN2at6native12_GLOBAL__N_18offset_tEEE10hipError_tPvRmT1_PNSt15iterator_traitsISK_E10value_typeET2_T3_PNSL_ISQ_E10value_typeET4_jRbjT5_SW_jjP12ihipStream_tbEUlT_E1_NS1_11comp_targetILNS1_3genE5ELNS1_11target_archE942ELNS1_3gpuE9ELNS1_3repE0EEENS1_59segmented_radix_sort_warp_sort_small_config_static_selectorELNS0_4arch9wavefront6targetE0EEEvSK_.numbered_sgpr, 0
	.set _ZN7rocprim17ROCPRIM_400000_NS6detail17trampoline_kernelINS0_14default_configENS1_36segmented_radix_sort_config_selectorIalEEZNS1_25segmented_radix_sort_implIS3_Lb0EPKaPaPKlPlN2at6native12_GLOBAL__N_18offset_tEEE10hipError_tPvRmT1_PNSt15iterator_traitsISK_E10value_typeET2_T3_PNSL_ISQ_E10value_typeET4_jRbjT5_SW_jjP12ihipStream_tbEUlT_E1_NS1_11comp_targetILNS1_3genE5ELNS1_11target_archE942ELNS1_3gpuE9ELNS1_3repE0EEENS1_59segmented_radix_sort_warp_sort_small_config_static_selectorELNS0_4arch9wavefront6targetE0EEEvSK_.num_named_barrier, 0
	.set _ZN7rocprim17ROCPRIM_400000_NS6detail17trampoline_kernelINS0_14default_configENS1_36segmented_radix_sort_config_selectorIalEEZNS1_25segmented_radix_sort_implIS3_Lb0EPKaPaPKlPlN2at6native12_GLOBAL__N_18offset_tEEE10hipError_tPvRmT1_PNSt15iterator_traitsISK_E10value_typeET2_T3_PNSL_ISQ_E10value_typeET4_jRbjT5_SW_jjP12ihipStream_tbEUlT_E1_NS1_11comp_targetILNS1_3genE5ELNS1_11target_archE942ELNS1_3gpuE9ELNS1_3repE0EEENS1_59segmented_radix_sort_warp_sort_small_config_static_selectorELNS0_4arch9wavefront6targetE0EEEvSK_.private_seg_size, 0
	.set _ZN7rocprim17ROCPRIM_400000_NS6detail17trampoline_kernelINS0_14default_configENS1_36segmented_radix_sort_config_selectorIalEEZNS1_25segmented_radix_sort_implIS3_Lb0EPKaPaPKlPlN2at6native12_GLOBAL__N_18offset_tEEE10hipError_tPvRmT1_PNSt15iterator_traitsISK_E10value_typeET2_T3_PNSL_ISQ_E10value_typeET4_jRbjT5_SW_jjP12ihipStream_tbEUlT_E1_NS1_11comp_targetILNS1_3genE5ELNS1_11target_archE942ELNS1_3gpuE9ELNS1_3repE0EEENS1_59segmented_radix_sort_warp_sort_small_config_static_selectorELNS0_4arch9wavefront6targetE0EEEvSK_.uses_vcc, 0
	.set _ZN7rocprim17ROCPRIM_400000_NS6detail17trampoline_kernelINS0_14default_configENS1_36segmented_radix_sort_config_selectorIalEEZNS1_25segmented_radix_sort_implIS3_Lb0EPKaPaPKlPlN2at6native12_GLOBAL__N_18offset_tEEE10hipError_tPvRmT1_PNSt15iterator_traitsISK_E10value_typeET2_T3_PNSL_ISQ_E10value_typeET4_jRbjT5_SW_jjP12ihipStream_tbEUlT_E1_NS1_11comp_targetILNS1_3genE5ELNS1_11target_archE942ELNS1_3gpuE9ELNS1_3repE0EEENS1_59segmented_radix_sort_warp_sort_small_config_static_selectorELNS0_4arch9wavefront6targetE0EEEvSK_.uses_flat_scratch, 0
	.set _ZN7rocprim17ROCPRIM_400000_NS6detail17trampoline_kernelINS0_14default_configENS1_36segmented_radix_sort_config_selectorIalEEZNS1_25segmented_radix_sort_implIS3_Lb0EPKaPaPKlPlN2at6native12_GLOBAL__N_18offset_tEEE10hipError_tPvRmT1_PNSt15iterator_traitsISK_E10value_typeET2_T3_PNSL_ISQ_E10value_typeET4_jRbjT5_SW_jjP12ihipStream_tbEUlT_E1_NS1_11comp_targetILNS1_3genE5ELNS1_11target_archE942ELNS1_3gpuE9ELNS1_3repE0EEENS1_59segmented_radix_sort_warp_sort_small_config_static_selectorELNS0_4arch9wavefront6targetE0EEEvSK_.has_dyn_sized_stack, 0
	.set _ZN7rocprim17ROCPRIM_400000_NS6detail17trampoline_kernelINS0_14default_configENS1_36segmented_radix_sort_config_selectorIalEEZNS1_25segmented_radix_sort_implIS3_Lb0EPKaPaPKlPlN2at6native12_GLOBAL__N_18offset_tEEE10hipError_tPvRmT1_PNSt15iterator_traitsISK_E10value_typeET2_T3_PNSL_ISQ_E10value_typeET4_jRbjT5_SW_jjP12ihipStream_tbEUlT_E1_NS1_11comp_targetILNS1_3genE5ELNS1_11target_archE942ELNS1_3gpuE9ELNS1_3repE0EEENS1_59segmented_radix_sort_warp_sort_small_config_static_selectorELNS0_4arch9wavefront6targetE0EEEvSK_.has_recursion, 0
	.set _ZN7rocprim17ROCPRIM_400000_NS6detail17trampoline_kernelINS0_14default_configENS1_36segmented_radix_sort_config_selectorIalEEZNS1_25segmented_radix_sort_implIS3_Lb0EPKaPaPKlPlN2at6native12_GLOBAL__N_18offset_tEEE10hipError_tPvRmT1_PNSt15iterator_traitsISK_E10value_typeET2_T3_PNSL_ISQ_E10value_typeET4_jRbjT5_SW_jjP12ihipStream_tbEUlT_E1_NS1_11comp_targetILNS1_3genE5ELNS1_11target_archE942ELNS1_3gpuE9ELNS1_3repE0EEENS1_59segmented_radix_sort_warp_sort_small_config_static_selectorELNS0_4arch9wavefront6targetE0EEEvSK_.has_indirect_call, 0
	.section	.AMDGPU.csdata,"",@progbits
; Kernel info:
; codeLenInByte = 0
; TotalNumSgprs: 0
; NumVgprs: 0
; ScratchSize: 0
; MemoryBound: 0
; FloatMode: 240
; IeeeMode: 1
; LDSByteSize: 0 bytes/workgroup (compile time only)
; SGPRBlocks: 0
; VGPRBlocks: 0
; NumSGPRsForWavesPerEU: 1
; NumVGPRsForWavesPerEU: 1
; Occupancy: 16
; WaveLimiterHint : 0
; COMPUTE_PGM_RSRC2:SCRATCH_EN: 0
; COMPUTE_PGM_RSRC2:USER_SGPR: 6
; COMPUTE_PGM_RSRC2:TRAP_HANDLER: 0
; COMPUTE_PGM_RSRC2:TGID_X_EN: 1
; COMPUTE_PGM_RSRC2:TGID_Y_EN: 0
; COMPUTE_PGM_RSRC2:TGID_Z_EN: 0
; COMPUTE_PGM_RSRC2:TIDIG_COMP_CNT: 0
	.section	.text._ZN7rocprim17ROCPRIM_400000_NS6detail17trampoline_kernelINS0_14default_configENS1_36segmented_radix_sort_config_selectorIalEEZNS1_25segmented_radix_sort_implIS3_Lb0EPKaPaPKlPlN2at6native12_GLOBAL__N_18offset_tEEE10hipError_tPvRmT1_PNSt15iterator_traitsISK_E10value_typeET2_T3_PNSL_ISQ_E10value_typeET4_jRbjT5_SW_jjP12ihipStream_tbEUlT_E1_NS1_11comp_targetILNS1_3genE4ELNS1_11target_archE910ELNS1_3gpuE8ELNS1_3repE0EEENS1_59segmented_radix_sort_warp_sort_small_config_static_selectorELNS0_4arch9wavefront6targetE0EEEvSK_,"axG",@progbits,_ZN7rocprim17ROCPRIM_400000_NS6detail17trampoline_kernelINS0_14default_configENS1_36segmented_radix_sort_config_selectorIalEEZNS1_25segmented_radix_sort_implIS3_Lb0EPKaPaPKlPlN2at6native12_GLOBAL__N_18offset_tEEE10hipError_tPvRmT1_PNSt15iterator_traitsISK_E10value_typeET2_T3_PNSL_ISQ_E10value_typeET4_jRbjT5_SW_jjP12ihipStream_tbEUlT_E1_NS1_11comp_targetILNS1_3genE4ELNS1_11target_archE910ELNS1_3gpuE8ELNS1_3repE0EEENS1_59segmented_radix_sort_warp_sort_small_config_static_selectorELNS0_4arch9wavefront6targetE0EEEvSK_,comdat
	.globl	_ZN7rocprim17ROCPRIM_400000_NS6detail17trampoline_kernelINS0_14default_configENS1_36segmented_radix_sort_config_selectorIalEEZNS1_25segmented_radix_sort_implIS3_Lb0EPKaPaPKlPlN2at6native12_GLOBAL__N_18offset_tEEE10hipError_tPvRmT1_PNSt15iterator_traitsISK_E10value_typeET2_T3_PNSL_ISQ_E10value_typeET4_jRbjT5_SW_jjP12ihipStream_tbEUlT_E1_NS1_11comp_targetILNS1_3genE4ELNS1_11target_archE910ELNS1_3gpuE8ELNS1_3repE0EEENS1_59segmented_radix_sort_warp_sort_small_config_static_selectorELNS0_4arch9wavefront6targetE0EEEvSK_ ; -- Begin function _ZN7rocprim17ROCPRIM_400000_NS6detail17trampoline_kernelINS0_14default_configENS1_36segmented_radix_sort_config_selectorIalEEZNS1_25segmented_radix_sort_implIS3_Lb0EPKaPaPKlPlN2at6native12_GLOBAL__N_18offset_tEEE10hipError_tPvRmT1_PNSt15iterator_traitsISK_E10value_typeET2_T3_PNSL_ISQ_E10value_typeET4_jRbjT5_SW_jjP12ihipStream_tbEUlT_E1_NS1_11comp_targetILNS1_3genE4ELNS1_11target_archE910ELNS1_3gpuE8ELNS1_3repE0EEENS1_59segmented_radix_sort_warp_sort_small_config_static_selectorELNS0_4arch9wavefront6targetE0EEEvSK_
	.p2align	8
	.type	_ZN7rocprim17ROCPRIM_400000_NS6detail17trampoline_kernelINS0_14default_configENS1_36segmented_radix_sort_config_selectorIalEEZNS1_25segmented_radix_sort_implIS3_Lb0EPKaPaPKlPlN2at6native12_GLOBAL__N_18offset_tEEE10hipError_tPvRmT1_PNSt15iterator_traitsISK_E10value_typeET2_T3_PNSL_ISQ_E10value_typeET4_jRbjT5_SW_jjP12ihipStream_tbEUlT_E1_NS1_11comp_targetILNS1_3genE4ELNS1_11target_archE910ELNS1_3gpuE8ELNS1_3repE0EEENS1_59segmented_radix_sort_warp_sort_small_config_static_selectorELNS0_4arch9wavefront6targetE0EEEvSK_,@function
_ZN7rocprim17ROCPRIM_400000_NS6detail17trampoline_kernelINS0_14default_configENS1_36segmented_radix_sort_config_selectorIalEEZNS1_25segmented_radix_sort_implIS3_Lb0EPKaPaPKlPlN2at6native12_GLOBAL__N_18offset_tEEE10hipError_tPvRmT1_PNSt15iterator_traitsISK_E10value_typeET2_T3_PNSL_ISQ_E10value_typeET4_jRbjT5_SW_jjP12ihipStream_tbEUlT_E1_NS1_11comp_targetILNS1_3genE4ELNS1_11target_archE910ELNS1_3gpuE8ELNS1_3repE0EEENS1_59segmented_radix_sort_warp_sort_small_config_static_selectorELNS0_4arch9wavefront6targetE0EEEvSK_: ; @_ZN7rocprim17ROCPRIM_400000_NS6detail17trampoline_kernelINS0_14default_configENS1_36segmented_radix_sort_config_selectorIalEEZNS1_25segmented_radix_sort_implIS3_Lb0EPKaPaPKlPlN2at6native12_GLOBAL__N_18offset_tEEE10hipError_tPvRmT1_PNSt15iterator_traitsISK_E10value_typeET2_T3_PNSL_ISQ_E10value_typeET4_jRbjT5_SW_jjP12ihipStream_tbEUlT_E1_NS1_11comp_targetILNS1_3genE4ELNS1_11target_archE910ELNS1_3gpuE8ELNS1_3repE0EEENS1_59segmented_radix_sort_warp_sort_small_config_static_selectorELNS0_4arch9wavefront6targetE0EEEvSK_
; %bb.0:
	.section	.rodata,"a",@progbits
	.p2align	6, 0x0
	.amdhsa_kernel _ZN7rocprim17ROCPRIM_400000_NS6detail17trampoline_kernelINS0_14default_configENS1_36segmented_radix_sort_config_selectorIalEEZNS1_25segmented_radix_sort_implIS3_Lb0EPKaPaPKlPlN2at6native12_GLOBAL__N_18offset_tEEE10hipError_tPvRmT1_PNSt15iterator_traitsISK_E10value_typeET2_T3_PNSL_ISQ_E10value_typeET4_jRbjT5_SW_jjP12ihipStream_tbEUlT_E1_NS1_11comp_targetILNS1_3genE4ELNS1_11target_archE910ELNS1_3gpuE8ELNS1_3repE0EEENS1_59segmented_radix_sort_warp_sort_small_config_static_selectorELNS0_4arch9wavefront6targetE0EEEvSK_
		.amdhsa_group_segment_fixed_size 0
		.amdhsa_private_segment_fixed_size 0
		.amdhsa_kernarg_size 88
		.amdhsa_user_sgpr_count 6
		.amdhsa_user_sgpr_private_segment_buffer 1
		.amdhsa_user_sgpr_dispatch_ptr 0
		.amdhsa_user_sgpr_queue_ptr 0
		.amdhsa_user_sgpr_kernarg_segment_ptr 1
		.amdhsa_user_sgpr_dispatch_id 0
		.amdhsa_user_sgpr_flat_scratch_init 0
		.amdhsa_user_sgpr_private_segment_size 0
		.amdhsa_wavefront_size32 1
		.amdhsa_uses_dynamic_stack 0
		.amdhsa_system_sgpr_private_segment_wavefront_offset 0
		.amdhsa_system_sgpr_workgroup_id_x 1
		.amdhsa_system_sgpr_workgroup_id_y 0
		.amdhsa_system_sgpr_workgroup_id_z 0
		.amdhsa_system_sgpr_workgroup_info 0
		.amdhsa_system_vgpr_workitem_id 0
		.amdhsa_next_free_vgpr 1
		.amdhsa_next_free_sgpr 1
		.amdhsa_reserve_vcc 0
		.amdhsa_reserve_flat_scratch 0
		.amdhsa_float_round_mode_32 0
		.amdhsa_float_round_mode_16_64 0
		.amdhsa_float_denorm_mode_32 3
		.amdhsa_float_denorm_mode_16_64 3
		.amdhsa_dx10_clamp 1
		.amdhsa_ieee_mode 1
		.amdhsa_fp16_overflow 0
		.amdhsa_workgroup_processor_mode 1
		.amdhsa_memory_ordered 1
		.amdhsa_forward_progress 1
		.amdhsa_shared_vgpr_count 0
		.amdhsa_exception_fp_ieee_invalid_op 0
		.amdhsa_exception_fp_denorm_src 0
		.amdhsa_exception_fp_ieee_div_zero 0
		.amdhsa_exception_fp_ieee_overflow 0
		.amdhsa_exception_fp_ieee_underflow 0
		.amdhsa_exception_fp_ieee_inexact 0
		.amdhsa_exception_int_div_zero 0
	.end_amdhsa_kernel
	.section	.text._ZN7rocprim17ROCPRIM_400000_NS6detail17trampoline_kernelINS0_14default_configENS1_36segmented_radix_sort_config_selectorIalEEZNS1_25segmented_radix_sort_implIS3_Lb0EPKaPaPKlPlN2at6native12_GLOBAL__N_18offset_tEEE10hipError_tPvRmT1_PNSt15iterator_traitsISK_E10value_typeET2_T3_PNSL_ISQ_E10value_typeET4_jRbjT5_SW_jjP12ihipStream_tbEUlT_E1_NS1_11comp_targetILNS1_3genE4ELNS1_11target_archE910ELNS1_3gpuE8ELNS1_3repE0EEENS1_59segmented_radix_sort_warp_sort_small_config_static_selectorELNS0_4arch9wavefront6targetE0EEEvSK_,"axG",@progbits,_ZN7rocprim17ROCPRIM_400000_NS6detail17trampoline_kernelINS0_14default_configENS1_36segmented_radix_sort_config_selectorIalEEZNS1_25segmented_radix_sort_implIS3_Lb0EPKaPaPKlPlN2at6native12_GLOBAL__N_18offset_tEEE10hipError_tPvRmT1_PNSt15iterator_traitsISK_E10value_typeET2_T3_PNSL_ISQ_E10value_typeET4_jRbjT5_SW_jjP12ihipStream_tbEUlT_E1_NS1_11comp_targetILNS1_3genE4ELNS1_11target_archE910ELNS1_3gpuE8ELNS1_3repE0EEENS1_59segmented_radix_sort_warp_sort_small_config_static_selectorELNS0_4arch9wavefront6targetE0EEEvSK_,comdat
.Lfunc_end412:
	.size	_ZN7rocprim17ROCPRIM_400000_NS6detail17trampoline_kernelINS0_14default_configENS1_36segmented_radix_sort_config_selectorIalEEZNS1_25segmented_radix_sort_implIS3_Lb0EPKaPaPKlPlN2at6native12_GLOBAL__N_18offset_tEEE10hipError_tPvRmT1_PNSt15iterator_traitsISK_E10value_typeET2_T3_PNSL_ISQ_E10value_typeET4_jRbjT5_SW_jjP12ihipStream_tbEUlT_E1_NS1_11comp_targetILNS1_3genE4ELNS1_11target_archE910ELNS1_3gpuE8ELNS1_3repE0EEENS1_59segmented_radix_sort_warp_sort_small_config_static_selectorELNS0_4arch9wavefront6targetE0EEEvSK_, .Lfunc_end412-_ZN7rocprim17ROCPRIM_400000_NS6detail17trampoline_kernelINS0_14default_configENS1_36segmented_radix_sort_config_selectorIalEEZNS1_25segmented_radix_sort_implIS3_Lb0EPKaPaPKlPlN2at6native12_GLOBAL__N_18offset_tEEE10hipError_tPvRmT1_PNSt15iterator_traitsISK_E10value_typeET2_T3_PNSL_ISQ_E10value_typeET4_jRbjT5_SW_jjP12ihipStream_tbEUlT_E1_NS1_11comp_targetILNS1_3genE4ELNS1_11target_archE910ELNS1_3gpuE8ELNS1_3repE0EEENS1_59segmented_radix_sort_warp_sort_small_config_static_selectorELNS0_4arch9wavefront6targetE0EEEvSK_
                                        ; -- End function
	.set _ZN7rocprim17ROCPRIM_400000_NS6detail17trampoline_kernelINS0_14default_configENS1_36segmented_radix_sort_config_selectorIalEEZNS1_25segmented_radix_sort_implIS3_Lb0EPKaPaPKlPlN2at6native12_GLOBAL__N_18offset_tEEE10hipError_tPvRmT1_PNSt15iterator_traitsISK_E10value_typeET2_T3_PNSL_ISQ_E10value_typeET4_jRbjT5_SW_jjP12ihipStream_tbEUlT_E1_NS1_11comp_targetILNS1_3genE4ELNS1_11target_archE910ELNS1_3gpuE8ELNS1_3repE0EEENS1_59segmented_radix_sort_warp_sort_small_config_static_selectorELNS0_4arch9wavefront6targetE0EEEvSK_.num_vgpr, 0
	.set _ZN7rocprim17ROCPRIM_400000_NS6detail17trampoline_kernelINS0_14default_configENS1_36segmented_radix_sort_config_selectorIalEEZNS1_25segmented_radix_sort_implIS3_Lb0EPKaPaPKlPlN2at6native12_GLOBAL__N_18offset_tEEE10hipError_tPvRmT1_PNSt15iterator_traitsISK_E10value_typeET2_T3_PNSL_ISQ_E10value_typeET4_jRbjT5_SW_jjP12ihipStream_tbEUlT_E1_NS1_11comp_targetILNS1_3genE4ELNS1_11target_archE910ELNS1_3gpuE8ELNS1_3repE0EEENS1_59segmented_radix_sort_warp_sort_small_config_static_selectorELNS0_4arch9wavefront6targetE0EEEvSK_.num_agpr, 0
	.set _ZN7rocprim17ROCPRIM_400000_NS6detail17trampoline_kernelINS0_14default_configENS1_36segmented_radix_sort_config_selectorIalEEZNS1_25segmented_radix_sort_implIS3_Lb0EPKaPaPKlPlN2at6native12_GLOBAL__N_18offset_tEEE10hipError_tPvRmT1_PNSt15iterator_traitsISK_E10value_typeET2_T3_PNSL_ISQ_E10value_typeET4_jRbjT5_SW_jjP12ihipStream_tbEUlT_E1_NS1_11comp_targetILNS1_3genE4ELNS1_11target_archE910ELNS1_3gpuE8ELNS1_3repE0EEENS1_59segmented_radix_sort_warp_sort_small_config_static_selectorELNS0_4arch9wavefront6targetE0EEEvSK_.numbered_sgpr, 0
	.set _ZN7rocprim17ROCPRIM_400000_NS6detail17trampoline_kernelINS0_14default_configENS1_36segmented_radix_sort_config_selectorIalEEZNS1_25segmented_radix_sort_implIS3_Lb0EPKaPaPKlPlN2at6native12_GLOBAL__N_18offset_tEEE10hipError_tPvRmT1_PNSt15iterator_traitsISK_E10value_typeET2_T3_PNSL_ISQ_E10value_typeET4_jRbjT5_SW_jjP12ihipStream_tbEUlT_E1_NS1_11comp_targetILNS1_3genE4ELNS1_11target_archE910ELNS1_3gpuE8ELNS1_3repE0EEENS1_59segmented_radix_sort_warp_sort_small_config_static_selectorELNS0_4arch9wavefront6targetE0EEEvSK_.num_named_barrier, 0
	.set _ZN7rocprim17ROCPRIM_400000_NS6detail17trampoline_kernelINS0_14default_configENS1_36segmented_radix_sort_config_selectorIalEEZNS1_25segmented_radix_sort_implIS3_Lb0EPKaPaPKlPlN2at6native12_GLOBAL__N_18offset_tEEE10hipError_tPvRmT1_PNSt15iterator_traitsISK_E10value_typeET2_T3_PNSL_ISQ_E10value_typeET4_jRbjT5_SW_jjP12ihipStream_tbEUlT_E1_NS1_11comp_targetILNS1_3genE4ELNS1_11target_archE910ELNS1_3gpuE8ELNS1_3repE0EEENS1_59segmented_radix_sort_warp_sort_small_config_static_selectorELNS0_4arch9wavefront6targetE0EEEvSK_.private_seg_size, 0
	.set _ZN7rocprim17ROCPRIM_400000_NS6detail17trampoline_kernelINS0_14default_configENS1_36segmented_radix_sort_config_selectorIalEEZNS1_25segmented_radix_sort_implIS3_Lb0EPKaPaPKlPlN2at6native12_GLOBAL__N_18offset_tEEE10hipError_tPvRmT1_PNSt15iterator_traitsISK_E10value_typeET2_T3_PNSL_ISQ_E10value_typeET4_jRbjT5_SW_jjP12ihipStream_tbEUlT_E1_NS1_11comp_targetILNS1_3genE4ELNS1_11target_archE910ELNS1_3gpuE8ELNS1_3repE0EEENS1_59segmented_radix_sort_warp_sort_small_config_static_selectorELNS0_4arch9wavefront6targetE0EEEvSK_.uses_vcc, 0
	.set _ZN7rocprim17ROCPRIM_400000_NS6detail17trampoline_kernelINS0_14default_configENS1_36segmented_radix_sort_config_selectorIalEEZNS1_25segmented_radix_sort_implIS3_Lb0EPKaPaPKlPlN2at6native12_GLOBAL__N_18offset_tEEE10hipError_tPvRmT1_PNSt15iterator_traitsISK_E10value_typeET2_T3_PNSL_ISQ_E10value_typeET4_jRbjT5_SW_jjP12ihipStream_tbEUlT_E1_NS1_11comp_targetILNS1_3genE4ELNS1_11target_archE910ELNS1_3gpuE8ELNS1_3repE0EEENS1_59segmented_radix_sort_warp_sort_small_config_static_selectorELNS0_4arch9wavefront6targetE0EEEvSK_.uses_flat_scratch, 0
	.set _ZN7rocprim17ROCPRIM_400000_NS6detail17trampoline_kernelINS0_14default_configENS1_36segmented_radix_sort_config_selectorIalEEZNS1_25segmented_radix_sort_implIS3_Lb0EPKaPaPKlPlN2at6native12_GLOBAL__N_18offset_tEEE10hipError_tPvRmT1_PNSt15iterator_traitsISK_E10value_typeET2_T3_PNSL_ISQ_E10value_typeET4_jRbjT5_SW_jjP12ihipStream_tbEUlT_E1_NS1_11comp_targetILNS1_3genE4ELNS1_11target_archE910ELNS1_3gpuE8ELNS1_3repE0EEENS1_59segmented_radix_sort_warp_sort_small_config_static_selectorELNS0_4arch9wavefront6targetE0EEEvSK_.has_dyn_sized_stack, 0
	.set _ZN7rocprim17ROCPRIM_400000_NS6detail17trampoline_kernelINS0_14default_configENS1_36segmented_radix_sort_config_selectorIalEEZNS1_25segmented_radix_sort_implIS3_Lb0EPKaPaPKlPlN2at6native12_GLOBAL__N_18offset_tEEE10hipError_tPvRmT1_PNSt15iterator_traitsISK_E10value_typeET2_T3_PNSL_ISQ_E10value_typeET4_jRbjT5_SW_jjP12ihipStream_tbEUlT_E1_NS1_11comp_targetILNS1_3genE4ELNS1_11target_archE910ELNS1_3gpuE8ELNS1_3repE0EEENS1_59segmented_radix_sort_warp_sort_small_config_static_selectorELNS0_4arch9wavefront6targetE0EEEvSK_.has_recursion, 0
	.set _ZN7rocprim17ROCPRIM_400000_NS6detail17trampoline_kernelINS0_14default_configENS1_36segmented_radix_sort_config_selectorIalEEZNS1_25segmented_radix_sort_implIS3_Lb0EPKaPaPKlPlN2at6native12_GLOBAL__N_18offset_tEEE10hipError_tPvRmT1_PNSt15iterator_traitsISK_E10value_typeET2_T3_PNSL_ISQ_E10value_typeET4_jRbjT5_SW_jjP12ihipStream_tbEUlT_E1_NS1_11comp_targetILNS1_3genE4ELNS1_11target_archE910ELNS1_3gpuE8ELNS1_3repE0EEENS1_59segmented_radix_sort_warp_sort_small_config_static_selectorELNS0_4arch9wavefront6targetE0EEEvSK_.has_indirect_call, 0
	.section	.AMDGPU.csdata,"",@progbits
; Kernel info:
; codeLenInByte = 0
; TotalNumSgprs: 0
; NumVgprs: 0
; ScratchSize: 0
; MemoryBound: 0
; FloatMode: 240
; IeeeMode: 1
; LDSByteSize: 0 bytes/workgroup (compile time only)
; SGPRBlocks: 0
; VGPRBlocks: 0
; NumSGPRsForWavesPerEU: 1
; NumVGPRsForWavesPerEU: 1
; Occupancy: 16
; WaveLimiterHint : 0
; COMPUTE_PGM_RSRC2:SCRATCH_EN: 0
; COMPUTE_PGM_RSRC2:USER_SGPR: 6
; COMPUTE_PGM_RSRC2:TRAP_HANDLER: 0
; COMPUTE_PGM_RSRC2:TGID_X_EN: 1
; COMPUTE_PGM_RSRC2:TGID_Y_EN: 0
; COMPUTE_PGM_RSRC2:TGID_Z_EN: 0
; COMPUTE_PGM_RSRC2:TIDIG_COMP_CNT: 0
	.section	.text._ZN7rocprim17ROCPRIM_400000_NS6detail17trampoline_kernelINS0_14default_configENS1_36segmented_radix_sort_config_selectorIalEEZNS1_25segmented_radix_sort_implIS3_Lb0EPKaPaPKlPlN2at6native12_GLOBAL__N_18offset_tEEE10hipError_tPvRmT1_PNSt15iterator_traitsISK_E10value_typeET2_T3_PNSL_ISQ_E10value_typeET4_jRbjT5_SW_jjP12ihipStream_tbEUlT_E1_NS1_11comp_targetILNS1_3genE3ELNS1_11target_archE908ELNS1_3gpuE7ELNS1_3repE0EEENS1_59segmented_radix_sort_warp_sort_small_config_static_selectorELNS0_4arch9wavefront6targetE0EEEvSK_,"axG",@progbits,_ZN7rocprim17ROCPRIM_400000_NS6detail17trampoline_kernelINS0_14default_configENS1_36segmented_radix_sort_config_selectorIalEEZNS1_25segmented_radix_sort_implIS3_Lb0EPKaPaPKlPlN2at6native12_GLOBAL__N_18offset_tEEE10hipError_tPvRmT1_PNSt15iterator_traitsISK_E10value_typeET2_T3_PNSL_ISQ_E10value_typeET4_jRbjT5_SW_jjP12ihipStream_tbEUlT_E1_NS1_11comp_targetILNS1_3genE3ELNS1_11target_archE908ELNS1_3gpuE7ELNS1_3repE0EEENS1_59segmented_radix_sort_warp_sort_small_config_static_selectorELNS0_4arch9wavefront6targetE0EEEvSK_,comdat
	.globl	_ZN7rocprim17ROCPRIM_400000_NS6detail17trampoline_kernelINS0_14default_configENS1_36segmented_radix_sort_config_selectorIalEEZNS1_25segmented_radix_sort_implIS3_Lb0EPKaPaPKlPlN2at6native12_GLOBAL__N_18offset_tEEE10hipError_tPvRmT1_PNSt15iterator_traitsISK_E10value_typeET2_T3_PNSL_ISQ_E10value_typeET4_jRbjT5_SW_jjP12ihipStream_tbEUlT_E1_NS1_11comp_targetILNS1_3genE3ELNS1_11target_archE908ELNS1_3gpuE7ELNS1_3repE0EEENS1_59segmented_radix_sort_warp_sort_small_config_static_selectorELNS0_4arch9wavefront6targetE0EEEvSK_ ; -- Begin function _ZN7rocprim17ROCPRIM_400000_NS6detail17trampoline_kernelINS0_14default_configENS1_36segmented_radix_sort_config_selectorIalEEZNS1_25segmented_radix_sort_implIS3_Lb0EPKaPaPKlPlN2at6native12_GLOBAL__N_18offset_tEEE10hipError_tPvRmT1_PNSt15iterator_traitsISK_E10value_typeET2_T3_PNSL_ISQ_E10value_typeET4_jRbjT5_SW_jjP12ihipStream_tbEUlT_E1_NS1_11comp_targetILNS1_3genE3ELNS1_11target_archE908ELNS1_3gpuE7ELNS1_3repE0EEENS1_59segmented_radix_sort_warp_sort_small_config_static_selectorELNS0_4arch9wavefront6targetE0EEEvSK_
	.p2align	8
	.type	_ZN7rocprim17ROCPRIM_400000_NS6detail17trampoline_kernelINS0_14default_configENS1_36segmented_radix_sort_config_selectorIalEEZNS1_25segmented_radix_sort_implIS3_Lb0EPKaPaPKlPlN2at6native12_GLOBAL__N_18offset_tEEE10hipError_tPvRmT1_PNSt15iterator_traitsISK_E10value_typeET2_T3_PNSL_ISQ_E10value_typeET4_jRbjT5_SW_jjP12ihipStream_tbEUlT_E1_NS1_11comp_targetILNS1_3genE3ELNS1_11target_archE908ELNS1_3gpuE7ELNS1_3repE0EEENS1_59segmented_radix_sort_warp_sort_small_config_static_selectorELNS0_4arch9wavefront6targetE0EEEvSK_,@function
_ZN7rocprim17ROCPRIM_400000_NS6detail17trampoline_kernelINS0_14default_configENS1_36segmented_radix_sort_config_selectorIalEEZNS1_25segmented_radix_sort_implIS3_Lb0EPKaPaPKlPlN2at6native12_GLOBAL__N_18offset_tEEE10hipError_tPvRmT1_PNSt15iterator_traitsISK_E10value_typeET2_T3_PNSL_ISQ_E10value_typeET4_jRbjT5_SW_jjP12ihipStream_tbEUlT_E1_NS1_11comp_targetILNS1_3genE3ELNS1_11target_archE908ELNS1_3gpuE7ELNS1_3repE0EEENS1_59segmented_radix_sort_warp_sort_small_config_static_selectorELNS0_4arch9wavefront6targetE0EEEvSK_: ; @_ZN7rocprim17ROCPRIM_400000_NS6detail17trampoline_kernelINS0_14default_configENS1_36segmented_radix_sort_config_selectorIalEEZNS1_25segmented_radix_sort_implIS3_Lb0EPKaPaPKlPlN2at6native12_GLOBAL__N_18offset_tEEE10hipError_tPvRmT1_PNSt15iterator_traitsISK_E10value_typeET2_T3_PNSL_ISQ_E10value_typeET4_jRbjT5_SW_jjP12ihipStream_tbEUlT_E1_NS1_11comp_targetILNS1_3genE3ELNS1_11target_archE908ELNS1_3gpuE7ELNS1_3repE0EEENS1_59segmented_radix_sort_warp_sort_small_config_static_selectorELNS0_4arch9wavefront6targetE0EEEvSK_
; %bb.0:
	.section	.rodata,"a",@progbits
	.p2align	6, 0x0
	.amdhsa_kernel _ZN7rocprim17ROCPRIM_400000_NS6detail17trampoline_kernelINS0_14default_configENS1_36segmented_radix_sort_config_selectorIalEEZNS1_25segmented_radix_sort_implIS3_Lb0EPKaPaPKlPlN2at6native12_GLOBAL__N_18offset_tEEE10hipError_tPvRmT1_PNSt15iterator_traitsISK_E10value_typeET2_T3_PNSL_ISQ_E10value_typeET4_jRbjT5_SW_jjP12ihipStream_tbEUlT_E1_NS1_11comp_targetILNS1_3genE3ELNS1_11target_archE908ELNS1_3gpuE7ELNS1_3repE0EEENS1_59segmented_radix_sort_warp_sort_small_config_static_selectorELNS0_4arch9wavefront6targetE0EEEvSK_
		.amdhsa_group_segment_fixed_size 0
		.amdhsa_private_segment_fixed_size 0
		.amdhsa_kernarg_size 88
		.amdhsa_user_sgpr_count 6
		.amdhsa_user_sgpr_private_segment_buffer 1
		.amdhsa_user_sgpr_dispatch_ptr 0
		.amdhsa_user_sgpr_queue_ptr 0
		.amdhsa_user_sgpr_kernarg_segment_ptr 1
		.amdhsa_user_sgpr_dispatch_id 0
		.amdhsa_user_sgpr_flat_scratch_init 0
		.amdhsa_user_sgpr_private_segment_size 0
		.amdhsa_wavefront_size32 1
		.amdhsa_uses_dynamic_stack 0
		.amdhsa_system_sgpr_private_segment_wavefront_offset 0
		.amdhsa_system_sgpr_workgroup_id_x 1
		.amdhsa_system_sgpr_workgroup_id_y 0
		.amdhsa_system_sgpr_workgroup_id_z 0
		.amdhsa_system_sgpr_workgroup_info 0
		.amdhsa_system_vgpr_workitem_id 0
		.amdhsa_next_free_vgpr 1
		.amdhsa_next_free_sgpr 1
		.amdhsa_reserve_vcc 0
		.amdhsa_reserve_flat_scratch 0
		.amdhsa_float_round_mode_32 0
		.amdhsa_float_round_mode_16_64 0
		.amdhsa_float_denorm_mode_32 3
		.amdhsa_float_denorm_mode_16_64 3
		.amdhsa_dx10_clamp 1
		.amdhsa_ieee_mode 1
		.amdhsa_fp16_overflow 0
		.amdhsa_workgroup_processor_mode 1
		.amdhsa_memory_ordered 1
		.amdhsa_forward_progress 1
		.amdhsa_shared_vgpr_count 0
		.amdhsa_exception_fp_ieee_invalid_op 0
		.amdhsa_exception_fp_denorm_src 0
		.amdhsa_exception_fp_ieee_div_zero 0
		.amdhsa_exception_fp_ieee_overflow 0
		.amdhsa_exception_fp_ieee_underflow 0
		.amdhsa_exception_fp_ieee_inexact 0
		.amdhsa_exception_int_div_zero 0
	.end_amdhsa_kernel
	.section	.text._ZN7rocprim17ROCPRIM_400000_NS6detail17trampoline_kernelINS0_14default_configENS1_36segmented_radix_sort_config_selectorIalEEZNS1_25segmented_radix_sort_implIS3_Lb0EPKaPaPKlPlN2at6native12_GLOBAL__N_18offset_tEEE10hipError_tPvRmT1_PNSt15iterator_traitsISK_E10value_typeET2_T3_PNSL_ISQ_E10value_typeET4_jRbjT5_SW_jjP12ihipStream_tbEUlT_E1_NS1_11comp_targetILNS1_3genE3ELNS1_11target_archE908ELNS1_3gpuE7ELNS1_3repE0EEENS1_59segmented_radix_sort_warp_sort_small_config_static_selectorELNS0_4arch9wavefront6targetE0EEEvSK_,"axG",@progbits,_ZN7rocprim17ROCPRIM_400000_NS6detail17trampoline_kernelINS0_14default_configENS1_36segmented_radix_sort_config_selectorIalEEZNS1_25segmented_radix_sort_implIS3_Lb0EPKaPaPKlPlN2at6native12_GLOBAL__N_18offset_tEEE10hipError_tPvRmT1_PNSt15iterator_traitsISK_E10value_typeET2_T3_PNSL_ISQ_E10value_typeET4_jRbjT5_SW_jjP12ihipStream_tbEUlT_E1_NS1_11comp_targetILNS1_3genE3ELNS1_11target_archE908ELNS1_3gpuE7ELNS1_3repE0EEENS1_59segmented_radix_sort_warp_sort_small_config_static_selectorELNS0_4arch9wavefront6targetE0EEEvSK_,comdat
.Lfunc_end413:
	.size	_ZN7rocprim17ROCPRIM_400000_NS6detail17trampoline_kernelINS0_14default_configENS1_36segmented_radix_sort_config_selectorIalEEZNS1_25segmented_radix_sort_implIS3_Lb0EPKaPaPKlPlN2at6native12_GLOBAL__N_18offset_tEEE10hipError_tPvRmT1_PNSt15iterator_traitsISK_E10value_typeET2_T3_PNSL_ISQ_E10value_typeET4_jRbjT5_SW_jjP12ihipStream_tbEUlT_E1_NS1_11comp_targetILNS1_3genE3ELNS1_11target_archE908ELNS1_3gpuE7ELNS1_3repE0EEENS1_59segmented_radix_sort_warp_sort_small_config_static_selectorELNS0_4arch9wavefront6targetE0EEEvSK_, .Lfunc_end413-_ZN7rocprim17ROCPRIM_400000_NS6detail17trampoline_kernelINS0_14default_configENS1_36segmented_radix_sort_config_selectorIalEEZNS1_25segmented_radix_sort_implIS3_Lb0EPKaPaPKlPlN2at6native12_GLOBAL__N_18offset_tEEE10hipError_tPvRmT1_PNSt15iterator_traitsISK_E10value_typeET2_T3_PNSL_ISQ_E10value_typeET4_jRbjT5_SW_jjP12ihipStream_tbEUlT_E1_NS1_11comp_targetILNS1_3genE3ELNS1_11target_archE908ELNS1_3gpuE7ELNS1_3repE0EEENS1_59segmented_radix_sort_warp_sort_small_config_static_selectorELNS0_4arch9wavefront6targetE0EEEvSK_
                                        ; -- End function
	.set _ZN7rocprim17ROCPRIM_400000_NS6detail17trampoline_kernelINS0_14default_configENS1_36segmented_radix_sort_config_selectorIalEEZNS1_25segmented_radix_sort_implIS3_Lb0EPKaPaPKlPlN2at6native12_GLOBAL__N_18offset_tEEE10hipError_tPvRmT1_PNSt15iterator_traitsISK_E10value_typeET2_T3_PNSL_ISQ_E10value_typeET4_jRbjT5_SW_jjP12ihipStream_tbEUlT_E1_NS1_11comp_targetILNS1_3genE3ELNS1_11target_archE908ELNS1_3gpuE7ELNS1_3repE0EEENS1_59segmented_radix_sort_warp_sort_small_config_static_selectorELNS0_4arch9wavefront6targetE0EEEvSK_.num_vgpr, 0
	.set _ZN7rocprim17ROCPRIM_400000_NS6detail17trampoline_kernelINS0_14default_configENS1_36segmented_radix_sort_config_selectorIalEEZNS1_25segmented_radix_sort_implIS3_Lb0EPKaPaPKlPlN2at6native12_GLOBAL__N_18offset_tEEE10hipError_tPvRmT1_PNSt15iterator_traitsISK_E10value_typeET2_T3_PNSL_ISQ_E10value_typeET4_jRbjT5_SW_jjP12ihipStream_tbEUlT_E1_NS1_11comp_targetILNS1_3genE3ELNS1_11target_archE908ELNS1_3gpuE7ELNS1_3repE0EEENS1_59segmented_radix_sort_warp_sort_small_config_static_selectorELNS0_4arch9wavefront6targetE0EEEvSK_.num_agpr, 0
	.set _ZN7rocprim17ROCPRIM_400000_NS6detail17trampoline_kernelINS0_14default_configENS1_36segmented_radix_sort_config_selectorIalEEZNS1_25segmented_radix_sort_implIS3_Lb0EPKaPaPKlPlN2at6native12_GLOBAL__N_18offset_tEEE10hipError_tPvRmT1_PNSt15iterator_traitsISK_E10value_typeET2_T3_PNSL_ISQ_E10value_typeET4_jRbjT5_SW_jjP12ihipStream_tbEUlT_E1_NS1_11comp_targetILNS1_3genE3ELNS1_11target_archE908ELNS1_3gpuE7ELNS1_3repE0EEENS1_59segmented_radix_sort_warp_sort_small_config_static_selectorELNS0_4arch9wavefront6targetE0EEEvSK_.numbered_sgpr, 0
	.set _ZN7rocprim17ROCPRIM_400000_NS6detail17trampoline_kernelINS0_14default_configENS1_36segmented_radix_sort_config_selectorIalEEZNS1_25segmented_radix_sort_implIS3_Lb0EPKaPaPKlPlN2at6native12_GLOBAL__N_18offset_tEEE10hipError_tPvRmT1_PNSt15iterator_traitsISK_E10value_typeET2_T3_PNSL_ISQ_E10value_typeET4_jRbjT5_SW_jjP12ihipStream_tbEUlT_E1_NS1_11comp_targetILNS1_3genE3ELNS1_11target_archE908ELNS1_3gpuE7ELNS1_3repE0EEENS1_59segmented_radix_sort_warp_sort_small_config_static_selectorELNS0_4arch9wavefront6targetE0EEEvSK_.num_named_barrier, 0
	.set _ZN7rocprim17ROCPRIM_400000_NS6detail17trampoline_kernelINS0_14default_configENS1_36segmented_radix_sort_config_selectorIalEEZNS1_25segmented_radix_sort_implIS3_Lb0EPKaPaPKlPlN2at6native12_GLOBAL__N_18offset_tEEE10hipError_tPvRmT1_PNSt15iterator_traitsISK_E10value_typeET2_T3_PNSL_ISQ_E10value_typeET4_jRbjT5_SW_jjP12ihipStream_tbEUlT_E1_NS1_11comp_targetILNS1_3genE3ELNS1_11target_archE908ELNS1_3gpuE7ELNS1_3repE0EEENS1_59segmented_radix_sort_warp_sort_small_config_static_selectorELNS0_4arch9wavefront6targetE0EEEvSK_.private_seg_size, 0
	.set _ZN7rocprim17ROCPRIM_400000_NS6detail17trampoline_kernelINS0_14default_configENS1_36segmented_radix_sort_config_selectorIalEEZNS1_25segmented_radix_sort_implIS3_Lb0EPKaPaPKlPlN2at6native12_GLOBAL__N_18offset_tEEE10hipError_tPvRmT1_PNSt15iterator_traitsISK_E10value_typeET2_T3_PNSL_ISQ_E10value_typeET4_jRbjT5_SW_jjP12ihipStream_tbEUlT_E1_NS1_11comp_targetILNS1_3genE3ELNS1_11target_archE908ELNS1_3gpuE7ELNS1_3repE0EEENS1_59segmented_radix_sort_warp_sort_small_config_static_selectorELNS0_4arch9wavefront6targetE0EEEvSK_.uses_vcc, 0
	.set _ZN7rocprim17ROCPRIM_400000_NS6detail17trampoline_kernelINS0_14default_configENS1_36segmented_radix_sort_config_selectorIalEEZNS1_25segmented_radix_sort_implIS3_Lb0EPKaPaPKlPlN2at6native12_GLOBAL__N_18offset_tEEE10hipError_tPvRmT1_PNSt15iterator_traitsISK_E10value_typeET2_T3_PNSL_ISQ_E10value_typeET4_jRbjT5_SW_jjP12ihipStream_tbEUlT_E1_NS1_11comp_targetILNS1_3genE3ELNS1_11target_archE908ELNS1_3gpuE7ELNS1_3repE0EEENS1_59segmented_radix_sort_warp_sort_small_config_static_selectorELNS0_4arch9wavefront6targetE0EEEvSK_.uses_flat_scratch, 0
	.set _ZN7rocprim17ROCPRIM_400000_NS6detail17trampoline_kernelINS0_14default_configENS1_36segmented_radix_sort_config_selectorIalEEZNS1_25segmented_radix_sort_implIS3_Lb0EPKaPaPKlPlN2at6native12_GLOBAL__N_18offset_tEEE10hipError_tPvRmT1_PNSt15iterator_traitsISK_E10value_typeET2_T3_PNSL_ISQ_E10value_typeET4_jRbjT5_SW_jjP12ihipStream_tbEUlT_E1_NS1_11comp_targetILNS1_3genE3ELNS1_11target_archE908ELNS1_3gpuE7ELNS1_3repE0EEENS1_59segmented_radix_sort_warp_sort_small_config_static_selectorELNS0_4arch9wavefront6targetE0EEEvSK_.has_dyn_sized_stack, 0
	.set _ZN7rocprim17ROCPRIM_400000_NS6detail17trampoline_kernelINS0_14default_configENS1_36segmented_radix_sort_config_selectorIalEEZNS1_25segmented_radix_sort_implIS3_Lb0EPKaPaPKlPlN2at6native12_GLOBAL__N_18offset_tEEE10hipError_tPvRmT1_PNSt15iterator_traitsISK_E10value_typeET2_T3_PNSL_ISQ_E10value_typeET4_jRbjT5_SW_jjP12ihipStream_tbEUlT_E1_NS1_11comp_targetILNS1_3genE3ELNS1_11target_archE908ELNS1_3gpuE7ELNS1_3repE0EEENS1_59segmented_radix_sort_warp_sort_small_config_static_selectorELNS0_4arch9wavefront6targetE0EEEvSK_.has_recursion, 0
	.set _ZN7rocprim17ROCPRIM_400000_NS6detail17trampoline_kernelINS0_14default_configENS1_36segmented_radix_sort_config_selectorIalEEZNS1_25segmented_radix_sort_implIS3_Lb0EPKaPaPKlPlN2at6native12_GLOBAL__N_18offset_tEEE10hipError_tPvRmT1_PNSt15iterator_traitsISK_E10value_typeET2_T3_PNSL_ISQ_E10value_typeET4_jRbjT5_SW_jjP12ihipStream_tbEUlT_E1_NS1_11comp_targetILNS1_3genE3ELNS1_11target_archE908ELNS1_3gpuE7ELNS1_3repE0EEENS1_59segmented_radix_sort_warp_sort_small_config_static_selectorELNS0_4arch9wavefront6targetE0EEEvSK_.has_indirect_call, 0
	.section	.AMDGPU.csdata,"",@progbits
; Kernel info:
; codeLenInByte = 0
; TotalNumSgprs: 0
; NumVgprs: 0
; ScratchSize: 0
; MemoryBound: 0
; FloatMode: 240
; IeeeMode: 1
; LDSByteSize: 0 bytes/workgroup (compile time only)
; SGPRBlocks: 0
; VGPRBlocks: 0
; NumSGPRsForWavesPerEU: 1
; NumVGPRsForWavesPerEU: 1
; Occupancy: 16
; WaveLimiterHint : 0
; COMPUTE_PGM_RSRC2:SCRATCH_EN: 0
; COMPUTE_PGM_RSRC2:USER_SGPR: 6
; COMPUTE_PGM_RSRC2:TRAP_HANDLER: 0
; COMPUTE_PGM_RSRC2:TGID_X_EN: 1
; COMPUTE_PGM_RSRC2:TGID_Y_EN: 0
; COMPUTE_PGM_RSRC2:TGID_Z_EN: 0
; COMPUTE_PGM_RSRC2:TIDIG_COMP_CNT: 0
	.section	.text._ZN7rocprim17ROCPRIM_400000_NS6detail17trampoline_kernelINS0_14default_configENS1_36segmented_radix_sort_config_selectorIalEEZNS1_25segmented_radix_sort_implIS3_Lb0EPKaPaPKlPlN2at6native12_GLOBAL__N_18offset_tEEE10hipError_tPvRmT1_PNSt15iterator_traitsISK_E10value_typeET2_T3_PNSL_ISQ_E10value_typeET4_jRbjT5_SW_jjP12ihipStream_tbEUlT_E1_NS1_11comp_targetILNS1_3genE2ELNS1_11target_archE906ELNS1_3gpuE6ELNS1_3repE0EEENS1_59segmented_radix_sort_warp_sort_small_config_static_selectorELNS0_4arch9wavefront6targetE0EEEvSK_,"axG",@progbits,_ZN7rocprim17ROCPRIM_400000_NS6detail17trampoline_kernelINS0_14default_configENS1_36segmented_radix_sort_config_selectorIalEEZNS1_25segmented_radix_sort_implIS3_Lb0EPKaPaPKlPlN2at6native12_GLOBAL__N_18offset_tEEE10hipError_tPvRmT1_PNSt15iterator_traitsISK_E10value_typeET2_T3_PNSL_ISQ_E10value_typeET4_jRbjT5_SW_jjP12ihipStream_tbEUlT_E1_NS1_11comp_targetILNS1_3genE2ELNS1_11target_archE906ELNS1_3gpuE6ELNS1_3repE0EEENS1_59segmented_radix_sort_warp_sort_small_config_static_selectorELNS0_4arch9wavefront6targetE0EEEvSK_,comdat
	.globl	_ZN7rocprim17ROCPRIM_400000_NS6detail17trampoline_kernelINS0_14default_configENS1_36segmented_radix_sort_config_selectorIalEEZNS1_25segmented_radix_sort_implIS3_Lb0EPKaPaPKlPlN2at6native12_GLOBAL__N_18offset_tEEE10hipError_tPvRmT1_PNSt15iterator_traitsISK_E10value_typeET2_T3_PNSL_ISQ_E10value_typeET4_jRbjT5_SW_jjP12ihipStream_tbEUlT_E1_NS1_11comp_targetILNS1_3genE2ELNS1_11target_archE906ELNS1_3gpuE6ELNS1_3repE0EEENS1_59segmented_radix_sort_warp_sort_small_config_static_selectorELNS0_4arch9wavefront6targetE0EEEvSK_ ; -- Begin function _ZN7rocprim17ROCPRIM_400000_NS6detail17trampoline_kernelINS0_14default_configENS1_36segmented_radix_sort_config_selectorIalEEZNS1_25segmented_radix_sort_implIS3_Lb0EPKaPaPKlPlN2at6native12_GLOBAL__N_18offset_tEEE10hipError_tPvRmT1_PNSt15iterator_traitsISK_E10value_typeET2_T3_PNSL_ISQ_E10value_typeET4_jRbjT5_SW_jjP12ihipStream_tbEUlT_E1_NS1_11comp_targetILNS1_3genE2ELNS1_11target_archE906ELNS1_3gpuE6ELNS1_3repE0EEENS1_59segmented_radix_sort_warp_sort_small_config_static_selectorELNS0_4arch9wavefront6targetE0EEEvSK_
	.p2align	8
	.type	_ZN7rocprim17ROCPRIM_400000_NS6detail17trampoline_kernelINS0_14default_configENS1_36segmented_radix_sort_config_selectorIalEEZNS1_25segmented_radix_sort_implIS3_Lb0EPKaPaPKlPlN2at6native12_GLOBAL__N_18offset_tEEE10hipError_tPvRmT1_PNSt15iterator_traitsISK_E10value_typeET2_T3_PNSL_ISQ_E10value_typeET4_jRbjT5_SW_jjP12ihipStream_tbEUlT_E1_NS1_11comp_targetILNS1_3genE2ELNS1_11target_archE906ELNS1_3gpuE6ELNS1_3repE0EEENS1_59segmented_radix_sort_warp_sort_small_config_static_selectorELNS0_4arch9wavefront6targetE0EEEvSK_,@function
_ZN7rocprim17ROCPRIM_400000_NS6detail17trampoline_kernelINS0_14default_configENS1_36segmented_radix_sort_config_selectorIalEEZNS1_25segmented_radix_sort_implIS3_Lb0EPKaPaPKlPlN2at6native12_GLOBAL__N_18offset_tEEE10hipError_tPvRmT1_PNSt15iterator_traitsISK_E10value_typeET2_T3_PNSL_ISQ_E10value_typeET4_jRbjT5_SW_jjP12ihipStream_tbEUlT_E1_NS1_11comp_targetILNS1_3genE2ELNS1_11target_archE906ELNS1_3gpuE6ELNS1_3repE0EEENS1_59segmented_radix_sort_warp_sort_small_config_static_selectorELNS0_4arch9wavefront6targetE0EEEvSK_: ; @_ZN7rocprim17ROCPRIM_400000_NS6detail17trampoline_kernelINS0_14default_configENS1_36segmented_radix_sort_config_selectorIalEEZNS1_25segmented_radix_sort_implIS3_Lb0EPKaPaPKlPlN2at6native12_GLOBAL__N_18offset_tEEE10hipError_tPvRmT1_PNSt15iterator_traitsISK_E10value_typeET2_T3_PNSL_ISQ_E10value_typeET4_jRbjT5_SW_jjP12ihipStream_tbEUlT_E1_NS1_11comp_targetILNS1_3genE2ELNS1_11target_archE906ELNS1_3gpuE6ELNS1_3repE0EEENS1_59segmented_radix_sort_warp_sort_small_config_static_selectorELNS0_4arch9wavefront6targetE0EEEvSK_
; %bb.0:
	.section	.rodata,"a",@progbits
	.p2align	6, 0x0
	.amdhsa_kernel _ZN7rocprim17ROCPRIM_400000_NS6detail17trampoline_kernelINS0_14default_configENS1_36segmented_radix_sort_config_selectorIalEEZNS1_25segmented_radix_sort_implIS3_Lb0EPKaPaPKlPlN2at6native12_GLOBAL__N_18offset_tEEE10hipError_tPvRmT1_PNSt15iterator_traitsISK_E10value_typeET2_T3_PNSL_ISQ_E10value_typeET4_jRbjT5_SW_jjP12ihipStream_tbEUlT_E1_NS1_11comp_targetILNS1_3genE2ELNS1_11target_archE906ELNS1_3gpuE6ELNS1_3repE0EEENS1_59segmented_radix_sort_warp_sort_small_config_static_selectorELNS0_4arch9wavefront6targetE0EEEvSK_
		.amdhsa_group_segment_fixed_size 0
		.amdhsa_private_segment_fixed_size 0
		.amdhsa_kernarg_size 88
		.amdhsa_user_sgpr_count 6
		.amdhsa_user_sgpr_private_segment_buffer 1
		.amdhsa_user_sgpr_dispatch_ptr 0
		.amdhsa_user_sgpr_queue_ptr 0
		.amdhsa_user_sgpr_kernarg_segment_ptr 1
		.amdhsa_user_sgpr_dispatch_id 0
		.amdhsa_user_sgpr_flat_scratch_init 0
		.amdhsa_user_sgpr_private_segment_size 0
		.amdhsa_wavefront_size32 1
		.amdhsa_uses_dynamic_stack 0
		.amdhsa_system_sgpr_private_segment_wavefront_offset 0
		.amdhsa_system_sgpr_workgroup_id_x 1
		.amdhsa_system_sgpr_workgroup_id_y 0
		.amdhsa_system_sgpr_workgroup_id_z 0
		.amdhsa_system_sgpr_workgroup_info 0
		.amdhsa_system_vgpr_workitem_id 0
		.amdhsa_next_free_vgpr 1
		.amdhsa_next_free_sgpr 1
		.amdhsa_reserve_vcc 0
		.amdhsa_reserve_flat_scratch 0
		.amdhsa_float_round_mode_32 0
		.amdhsa_float_round_mode_16_64 0
		.amdhsa_float_denorm_mode_32 3
		.amdhsa_float_denorm_mode_16_64 3
		.amdhsa_dx10_clamp 1
		.amdhsa_ieee_mode 1
		.amdhsa_fp16_overflow 0
		.amdhsa_workgroup_processor_mode 1
		.amdhsa_memory_ordered 1
		.amdhsa_forward_progress 1
		.amdhsa_shared_vgpr_count 0
		.amdhsa_exception_fp_ieee_invalid_op 0
		.amdhsa_exception_fp_denorm_src 0
		.amdhsa_exception_fp_ieee_div_zero 0
		.amdhsa_exception_fp_ieee_overflow 0
		.amdhsa_exception_fp_ieee_underflow 0
		.amdhsa_exception_fp_ieee_inexact 0
		.amdhsa_exception_int_div_zero 0
	.end_amdhsa_kernel
	.section	.text._ZN7rocprim17ROCPRIM_400000_NS6detail17trampoline_kernelINS0_14default_configENS1_36segmented_radix_sort_config_selectorIalEEZNS1_25segmented_radix_sort_implIS3_Lb0EPKaPaPKlPlN2at6native12_GLOBAL__N_18offset_tEEE10hipError_tPvRmT1_PNSt15iterator_traitsISK_E10value_typeET2_T3_PNSL_ISQ_E10value_typeET4_jRbjT5_SW_jjP12ihipStream_tbEUlT_E1_NS1_11comp_targetILNS1_3genE2ELNS1_11target_archE906ELNS1_3gpuE6ELNS1_3repE0EEENS1_59segmented_radix_sort_warp_sort_small_config_static_selectorELNS0_4arch9wavefront6targetE0EEEvSK_,"axG",@progbits,_ZN7rocprim17ROCPRIM_400000_NS6detail17trampoline_kernelINS0_14default_configENS1_36segmented_radix_sort_config_selectorIalEEZNS1_25segmented_radix_sort_implIS3_Lb0EPKaPaPKlPlN2at6native12_GLOBAL__N_18offset_tEEE10hipError_tPvRmT1_PNSt15iterator_traitsISK_E10value_typeET2_T3_PNSL_ISQ_E10value_typeET4_jRbjT5_SW_jjP12ihipStream_tbEUlT_E1_NS1_11comp_targetILNS1_3genE2ELNS1_11target_archE906ELNS1_3gpuE6ELNS1_3repE0EEENS1_59segmented_radix_sort_warp_sort_small_config_static_selectorELNS0_4arch9wavefront6targetE0EEEvSK_,comdat
.Lfunc_end414:
	.size	_ZN7rocprim17ROCPRIM_400000_NS6detail17trampoline_kernelINS0_14default_configENS1_36segmented_radix_sort_config_selectorIalEEZNS1_25segmented_radix_sort_implIS3_Lb0EPKaPaPKlPlN2at6native12_GLOBAL__N_18offset_tEEE10hipError_tPvRmT1_PNSt15iterator_traitsISK_E10value_typeET2_T3_PNSL_ISQ_E10value_typeET4_jRbjT5_SW_jjP12ihipStream_tbEUlT_E1_NS1_11comp_targetILNS1_3genE2ELNS1_11target_archE906ELNS1_3gpuE6ELNS1_3repE0EEENS1_59segmented_radix_sort_warp_sort_small_config_static_selectorELNS0_4arch9wavefront6targetE0EEEvSK_, .Lfunc_end414-_ZN7rocprim17ROCPRIM_400000_NS6detail17trampoline_kernelINS0_14default_configENS1_36segmented_radix_sort_config_selectorIalEEZNS1_25segmented_radix_sort_implIS3_Lb0EPKaPaPKlPlN2at6native12_GLOBAL__N_18offset_tEEE10hipError_tPvRmT1_PNSt15iterator_traitsISK_E10value_typeET2_T3_PNSL_ISQ_E10value_typeET4_jRbjT5_SW_jjP12ihipStream_tbEUlT_E1_NS1_11comp_targetILNS1_3genE2ELNS1_11target_archE906ELNS1_3gpuE6ELNS1_3repE0EEENS1_59segmented_radix_sort_warp_sort_small_config_static_selectorELNS0_4arch9wavefront6targetE0EEEvSK_
                                        ; -- End function
	.set _ZN7rocprim17ROCPRIM_400000_NS6detail17trampoline_kernelINS0_14default_configENS1_36segmented_radix_sort_config_selectorIalEEZNS1_25segmented_radix_sort_implIS3_Lb0EPKaPaPKlPlN2at6native12_GLOBAL__N_18offset_tEEE10hipError_tPvRmT1_PNSt15iterator_traitsISK_E10value_typeET2_T3_PNSL_ISQ_E10value_typeET4_jRbjT5_SW_jjP12ihipStream_tbEUlT_E1_NS1_11comp_targetILNS1_3genE2ELNS1_11target_archE906ELNS1_3gpuE6ELNS1_3repE0EEENS1_59segmented_radix_sort_warp_sort_small_config_static_selectorELNS0_4arch9wavefront6targetE0EEEvSK_.num_vgpr, 0
	.set _ZN7rocprim17ROCPRIM_400000_NS6detail17trampoline_kernelINS0_14default_configENS1_36segmented_radix_sort_config_selectorIalEEZNS1_25segmented_radix_sort_implIS3_Lb0EPKaPaPKlPlN2at6native12_GLOBAL__N_18offset_tEEE10hipError_tPvRmT1_PNSt15iterator_traitsISK_E10value_typeET2_T3_PNSL_ISQ_E10value_typeET4_jRbjT5_SW_jjP12ihipStream_tbEUlT_E1_NS1_11comp_targetILNS1_3genE2ELNS1_11target_archE906ELNS1_3gpuE6ELNS1_3repE0EEENS1_59segmented_radix_sort_warp_sort_small_config_static_selectorELNS0_4arch9wavefront6targetE0EEEvSK_.num_agpr, 0
	.set _ZN7rocprim17ROCPRIM_400000_NS6detail17trampoline_kernelINS0_14default_configENS1_36segmented_radix_sort_config_selectorIalEEZNS1_25segmented_radix_sort_implIS3_Lb0EPKaPaPKlPlN2at6native12_GLOBAL__N_18offset_tEEE10hipError_tPvRmT1_PNSt15iterator_traitsISK_E10value_typeET2_T3_PNSL_ISQ_E10value_typeET4_jRbjT5_SW_jjP12ihipStream_tbEUlT_E1_NS1_11comp_targetILNS1_3genE2ELNS1_11target_archE906ELNS1_3gpuE6ELNS1_3repE0EEENS1_59segmented_radix_sort_warp_sort_small_config_static_selectorELNS0_4arch9wavefront6targetE0EEEvSK_.numbered_sgpr, 0
	.set _ZN7rocprim17ROCPRIM_400000_NS6detail17trampoline_kernelINS0_14default_configENS1_36segmented_radix_sort_config_selectorIalEEZNS1_25segmented_radix_sort_implIS3_Lb0EPKaPaPKlPlN2at6native12_GLOBAL__N_18offset_tEEE10hipError_tPvRmT1_PNSt15iterator_traitsISK_E10value_typeET2_T3_PNSL_ISQ_E10value_typeET4_jRbjT5_SW_jjP12ihipStream_tbEUlT_E1_NS1_11comp_targetILNS1_3genE2ELNS1_11target_archE906ELNS1_3gpuE6ELNS1_3repE0EEENS1_59segmented_radix_sort_warp_sort_small_config_static_selectorELNS0_4arch9wavefront6targetE0EEEvSK_.num_named_barrier, 0
	.set _ZN7rocprim17ROCPRIM_400000_NS6detail17trampoline_kernelINS0_14default_configENS1_36segmented_radix_sort_config_selectorIalEEZNS1_25segmented_radix_sort_implIS3_Lb0EPKaPaPKlPlN2at6native12_GLOBAL__N_18offset_tEEE10hipError_tPvRmT1_PNSt15iterator_traitsISK_E10value_typeET2_T3_PNSL_ISQ_E10value_typeET4_jRbjT5_SW_jjP12ihipStream_tbEUlT_E1_NS1_11comp_targetILNS1_3genE2ELNS1_11target_archE906ELNS1_3gpuE6ELNS1_3repE0EEENS1_59segmented_radix_sort_warp_sort_small_config_static_selectorELNS0_4arch9wavefront6targetE0EEEvSK_.private_seg_size, 0
	.set _ZN7rocprim17ROCPRIM_400000_NS6detail17trampoline_kernelINS0_14default_configENS1_36segmented_radix_sort_config_selectorIalEEZNS1_25segmented_radix_sort_implIS3_Lb0EPKaPaPKlPlN2at6native12_GLOBAL__N_18offset_tEEE10hipError_tPvRmT1_PNSt15iterator_traitsISK_E10value_typeET2_T3_PNSL_ISQ_E10value_typeET4_jRbjT5_SW_jjP12ihipStream_tbEUlT_E1_NS1_11comp_targetILNS1_3genE2ELNS1_11target_archE906ELNS1_3gpuE6ELNS1_3repE0EEENS1_59segmented_radix_sort_warp_sort_small_config_static_selectorELNS0_4arch9wavefront6targetE0EEEvSK_.uses_vcc, 0
	.set _ZN7rocprim17ROCPRIM_400000_NS6detail17trampoline_kernelINS0_14default_configENS1_36segmented_radix_sort_config_selectorIalEEZNS1_25segmented_radix_sort_implIS3_Lb0EPKaPaPKlPlN2at6native12_GLOBAL__N_18offset_tEEE10hipError_tPvRmT1_PNSt15iterator_traitsISK_E10value_typeET2_T3_PNSL_ISQ_E10value_typeET4_jRbjT5_SW_jjP12ihipStream_tbEUlT_E1_NS1_11comp_targetILNS1_3genE2ELNS1_11target_archE906ELNS1_3gpuE6ELNS1_3repE0EEENS1_59segmented_radix_sort_warp_sort_small_config_static_selectorELNS0_4arch9wavefront6targetE0EEEvSK_.uses_flat_scratch, 0
	.set _ZN7rocprim17ROCPRIM_400000_NS6detail17trampoline_kernelINS0_14default_configENS1_36segmented_radix_sort_config_selectorIalEEZNS1_25segmented_radix_sort_implIS3_Lb0EPKaPaPKlPlN2at6native12_GLOBAL__N_18offset_tEEE10hipError_tPvRmT1_PNSt15iterator_traitsISK_E10value_typeET2_T3_PNSL_ISQ_E10value_typeET4_jRbjT5_SW_jjP12ihipStream_tbEUlT_E1_NS1_11comp_targetILNS1_3genE2ELNS1_11target_archE906ELNS1_3gpuE6ELNS1_3repE0EEENS1_59segmented_radix_sort_warp_sort_small_config_static_selectorELNS0_4arch9wavefront6targetE0EEEvSK_.has_dyn_sized_stack, 0
	.set _ZN7rocprim17ROCPRIM_400000_NS6detail17trampoline_kernelINS0_14default_configENS1_36segmented_radix_sort_config_selectorIalEEZNS1_25segmented_radix_sort_implIS3_Lb0EPKaPaPKlPlN2at6native12_GLOBAL__N_18offset_tEEE10hipError_tPvRmT1_PNSt15iterator_traitsISK_E10value_typeET2_T3_PNSL_ISQ_E10value_typeET4_jRbjT5_SW_jjP12ihipStream_tbEUlT_E1_NS1_11comp_targetILNS1_3genE2ELNS1_11target_archE906ELNS1_3gpuE6ELNS1_3repE0EEENS1_59segmented_radix_sort_warp_sort_small_config_static_selectorELNS0_4arch9wavefront6targetE0EEEvSK_.has_recursion, 0
	.set _ZN7rocprim17ROCPRIM_400000_NS6detail17trampoline_kernelINS0_14default_configENS1_36segmented_radix_sort_config_selectorIalEEZNS1_25segmented_radix_sort_implIS3_Lb0EPKaPaPKlPlN2at6native12_GLOBAL__N_18offset_tEEE10hipError_tPvRmT1_PNSt15iterator_traitsISK_E10value_typeET2_T3_PNSL_ISQ_E10value_typeET4_jRbjT5_SW_jjP12ihipStream_tbEUlT_E1_NS1_11comp_targetILNS1_3genE2ELNS1_11target_archE906ELNS1_3gpuE6ELNS1_3repE0EEENS1_59segmented_radix_sort_warp_sort_small_config_static_selectorELNS0_4arch9wavefront6targetE0EEEvSK_.has_indirect_call, 0
	.section	.AMDGPU.csdata,"",@progbits
; Kernel info:
; codeLenInByte = 0
; TotalNumSgprs: 0
; NumVgprs: 0
; ScratchSize: 0
; MemoryBound: 0
; FloatMode: 240
; IeeeMode: 1
; LDSByteSize: 0 bytes/workgroup (compile time only)
; SGPRBlocks: 0
; VGPRBlocks: 0
; NumSGPRsForWavesPerEU: 1
; NumVGPRsForWavesPerEU: 1
; Occupancy: 16
; WaveLimiterHint : 0
; COMPUTE_PGM_RSRC2:SCRATCH_EN: 0
; COMPUTE_PGM_RSRC2:USER_SGPR: 6
; COMPUTE_PGM_RSRC2:TRAP_HANDLER: 0
; COMPUTE_PGM_RSRC2:TGID_X_EN: 1
; COMPUTE_PGM_RSRC2:TGID_Y_EN: 0
; COMPUTE_PGM_RSRC2:TGID_Z_EN: 0
; COMPUTE_PGM_RSRC2:TIDIG_COMP_CNT: 0
	.section	.text._ZN7rocprim17ROCPRIM_400000_NS6detail17trampoline_kernelINS0_14default_configENS1_36segmented_radix_sort_config_selectorIalEEZNS1_25segmented_radix_sort_implIS3_Lb0EPKaPaPKlPlN2at6native12_GLOBAL__N_18offset_tEEE10hipError_tPvRmT1_PNSt15iterator_traitsISK_E10value_typeET2_T3_PNSL_ISQ_E10value_typeET4_jRbjT5_SW_jjP12ihipStream_tbEUlT_E1_NS1_11comp_targetILNS1_3genE10ELNS1_11target_archE1201ELNS1_3gpuE5ELNS1_3repE0EEENS1_59segmented_radix_sort_warp_sort_small_config_static_selectorELNS0_4arch9wavefront6targetE0EEEvSK_,"axG",@progbits,_ZN7rocprim17ROCPRIM_400000_NS6detail17trampoline_kernelINS0_14default_configENS1_36segmented_radix_sort_config_selectorIalEEZNS1_25segmented_radix_sort_implIS3_Lb0EPKaPaPKlPlN2at6native12_GLOBAL__N_18offset_tEEE10hipError_tPvRmT1_PNSt15iterator_traitsISK_E10value_typeET2_T3_PNSL_ISQ_E10value_typeET4_jRbjT5_SW_jjP12ihipStream_tbEUlT_E1_NS1_11comp_targetILNS1_3genE10ELNS1_11target_archE1201ELNS1_3gpuE5ELNS1_3repE0EEENS1_59segmented_radix_sort_warp_sort_small_config_static_selectorELNS0_4arch9wavefront6targetE0EEEvSK_,comdat
	.globl	_ZN7rocprim17ROCPRIM_400000_NS6detail17trampoline_kernelINS0_14default_configENS1_36segmented_radix_sort_config_selectorIalEEZNS1_25segmented_radix_sort_implIS3_Lb0EPKaPaPKlPlN2at6native12_GLOBAL__N_18offset_tEEE10hipError_tPvRmT1_PNSt15iterator_traitsISK_E10value_typeET2_T3_PNSL_ISQ_E10value_typeET4_jRbjT5_SW_jjP12ihipStream_tbEUlT_E1_NS1_11comp_targetILNS1_3genE10ELNS1_11target_archE1201ELNS1_3gpuE5ELNS1_3repE0EEENS1_59segmented_radix_sort_warp_sort_small_config_static_selectorELNS0_4arch9wavefront6targetE0EEEvSK_ ; -- Begin function _ZN7rocprim17ROCPRIM_400000_NS6detail17trampoline_kernelINS0_14default_configENS1_36segmented_radix_sort_config_selectorIalEEZNS1_25segmented_radix_sort_implIS3_Lb0EPKaPaPKlPlN2at6native12_GLOBAL__N_18offset_tEEE10hipError_tPvRmT1_PNSt15iterator_traitsISK_E10value_typeET2_T3_PNSL_ISQ_E10value_typeET4_jRbjT5_SW_jjP12ihipStream_tbEUlT_E1_NS1_11comp_targetILNS1_3genE10ELNS1_11target_archE1201ELNS1_3gpuE5ELNS1_3repE0EEENS1_59segmented_radix_sort_warp_sort_small_config_static_selectorELNS0_4arch9wavefront6targetE0EEEvSK_
	.p2align	8
	.type	_ZN7rocprim17ROCPRIM_400000_NS6detail17trampoline_kernelINS0_14default_configENS1_36segmented_radix_sort_config_selectorIalEEZNS1_25segmented_radix_sort_implIS3_Lb0EPKaPaPKlPlN2at6native12_GLOBAL__N_18offset_tEEE10hipError_tPvRmT1_PNSt15iterator_traitsISK_E10value_typeET2_T3_PNSL_ISQ_E10value_typeET4_jRbjT5_SW_jjP12ihipStream_tbEUlT_E1_NS1_11comp_targetILNS1_3genE10ELNS1_11target_archE1201ELNS1_3gpuE5ELNS1_3repE0EEENS1_59segmented_radix_sort_warp_sort_small_config_static_selectorELNS0_4arch9wavefront6targetE0EEEvSK_,@function
_ZN7rocprim17ROCPRIM_400000_NS6detail17trampoline_kernelINS0_14default_configENS1_36segmented_radix_sort_config_selectorIalEEZNS1_25segmented_radix_sort_implIS3_Lb0EPKaPaPKlPlN2at6native12_GLOBAL__N_18offset_tEEE10hipError_tPvRmT1_PNSt15iterator_traitsISK_E10value_typeET2_T3_PNSL_ISQ_E10value_typeET4_jRbjT5_SW_jjP12ihipStream_tbEUlT_E1_NS1_11comp_targetILNS1_3genE10ELNS1_11target_archE1201ELNS1_3gpuE5ELNS1_3repE0EEENS1_59segmented_radix_sort_warp_sort_small_config_static_selectorELNS0_4arch9wavefront6targetE0EEEvSK_: ; @_ZN7rocprim17ROCPRIM_400000_NS6detail17trampoline_kernelINS0_14default_configENS1_36segmented_radix_sort_config_selectorIalEEZNS1_25segmented_radix_sort_implIS3_Lb0EPKaPaPKlPlN2at6native12_GLOBAL__N_18offset_tEEE10hipError_tPvRmT1_PNSt15iterator_traitsISK_E10value_typeET2_T3_PNSL_ISQ_E10value_typeET4_jRbjT5_SW_jjP12ihipStream_tbEUlT_E1_NS1_11comp_targetILNS1_3genE10ELNS1_11target_archE1201ELNS1_3gpuE5ELNS1_3repE0EEENS1_59segmented_radix_sort_warp_sort_small_config_static_selectorELNS0_4arch9wavefront6targetE0EEEvSK_
; %bb.0:
	.section	.rodata,"a",@progbits
	.p2align	6, 0x0
	.amdhsa_kernel _ZN7rocprim17ROCPRIM_400000_NS6detail17trampoline_kernelINS0_14default_configENS1_36segmented_radix_sort_config_selectorIalEEZNS1_25segmented_radix_sort_implIS3_Lb0EPKaPaPKlPlN2at6native12_GLOBAL__N_18offset_tEEE10hipError_tPvRmT1_PNSt15iterator_traitsISK_E10value_typeET2_T3_PNSL_ISQ_E10value_typeET4_jRbjT5_SW_jjP12ihipStream_tbEUlT_E1_NS1_11comp_targetILNS1_3genE10ELNS1_11target_archE1201ELNS1_3gpuE5ELNS1_3repE0EEENS1_59segmented_radix_sort_warp_sort_small_config_static_selectorELNS0_4arch9wavefront6targetE0EEEvSK_
		.amdhsa_group_segment_fixed_size 0
		.amdhsa_private_segment_fixed_size 0
		.amdhsa_kernarg_size 88
		.amdhsa_user_sgpr_count 6
		.amdhsa_user_sgpr_private_segment_buffer 1
		.amdhsa_user_sgpr_dispatch_ptr 0
		.amdhsa_user_sgpr_queue_ptr 0
		.amdhsa_user_sgpr_kernarg_segment_ptr 1
		.amdhsa_user_sgpr_dispatch_id 0
		.amdhsa_user_sgpr_flat_scratch_init 0
		.amdhsa_user_sgpr_private_segment_size 0
		.amdhsa_wavefront_size32 1
		.amdhsa_uses_dynamic_stack 0
		.amdhsa_system_sgpr_private_segment_wavefront_offset 0
		.amdhsa_system_sgpr_workgroup_id_x 1
		.amdhsa_system_sgpr_workgroup_id_y 0
		.amdhsa_system_sgpr_workgroup_id_z 0
		.amdhsa_system_sgpr_workgroup_info 0
		.amdhsa_system_vgpr_workitem_id 0
		.amdhsa_next_free_vgpr 1
		.amdhsa_next_free_sgpr 1
		.amdhsa_reserve_vcc 0
		.amdhsa_reserve_flat_scratch 0
		.amdhsa_float_round_mode_32 0
		.amdhsa_float_round_mode_16_64 0
		.amdhsa_float_denorm_mode_32 3
		.amdhsa_float_denorm_mode_16_64 3
		.amdhsa_dx10_clamp 1
		.amdhsa_ieee_mode 1
		.amdhsa_fp16_overflow 0
		.amdhsa_workgroup_processor_mode 1
		.amdhsa_memory_ordered 1
		.amdhsa_forward_progress 1
		.amdhsa_shared_vgpr_count 0
		.amdhsa_exception_fp_ieee_invalid_op 0
		.amdhsa_exception_fp_denorm_src 0
		.amdhsa_exception_fp_ieee_div_zero 0
		.amdhsa_exception_fp_ieee_overflow 0
		.amdhsa_exception_fp_ieee_underflow 0
		.amdhsa_exception_fp_ieee_inexact 0
		.amdhsa_exception_int_div_zero 0
	.end_amdhsa_kernel
	.section	.text._ZN7rocprim17ROCPRIM_400000_NS6detail17trampoline_kernelINS0_14default_configENS1_36segmented_radix_sort_config_selectorIalEEZNS1_25segmented_radix_sort_implIS3_Lb0EPKaPaPKlPlN2at6native12_GLOBAL__N_18offset_tEEE10hipError_tPvRmT1_PNSt15iterator_traitsISK_E10value_typeET2_T3_PNSL_ISQ_E10value_typeET4_jRbjT5_SW_jjP12ihipStream_tbEUlT_E1_NS1_11comp_targetILNS1_3genE10ELNS1_11target_archE1201ELNS1_3gpuE5ELNS1_3repE0EEENS1_59segmented_radix_sort_warp_sort_small_config_static_selectorELNS0_4arch9wavefront6targetE0EEEvSK_,"axG",@progbits,_ZN7rocprim17ROCPRIM_400000_NS6detail17trampoline_kernelINS0_14default_configENS1_36segmented_radix_sort_config_selectorIalEEZNS1_25segmented_radix_sort_implIS3_Lb0EPKaPaPKlPlN2at6native12_GLOBAL__N_18offset_tEEE10hipError_tPvRmT1_PNSt15iterator_traitsISK_E10value_typeET2_T3_PNSL_ISQ_E10value_typeET4_jRbjT5_SW_jjP12ihipStream_tbEUlT_E1_NS1_11comp_targetILNS1_3genE10ELNS1_11target_archE1201ELNS1_3gpuE5ELNS1_3repE0EEENS1_59segmented_radix_sort_warp_sort_small_config_static_selectorELNS0_4arch9wavefront6targetE0EEEvSK_,comdat
.Lfunc_end415:
	.size	_ZN7rocprim17ROCPRIM_400000_NS6detail17trampoline_kernelINS0_14default_configENS1_36segmented_radix_sort_config_selectorIalEEZNS1_25segmented_radix_sort_implIS3_Lb0EPKaPaPKlPlN2at6native12_GLOBAL__N_18offset_tEEE10hipError_tPvRmT1_PNSt15iterator_traitsISK_E10value_typeET2_T3_PNSL_ISQ_E10value_typeET4_jRbjT5_SW_jjP12ihipStream_tbEUlT_E1_NS1_11comp_targetILNS1_3genE10ELNS1_11target_archE1201ELNS1_3gpuE5ELNS1_3repE0EEENS1_59segmented_radix_sort_warp_sort_small_config_static_selectorELNS0_4arch9wavefront6targetE0EEEvSK_, .Lfunc_end415-_ZN7rocprim17ROCPRIM_400000_NS6detail17trampoline_kernelINS0_14default_configENS1_36segmented_radix_sort_config_selectorIalEEZNS1_25segmented_radix_sort_implIS3_Lb0EPKaPaPKlPlN2at6native12_GLOBAL__N_18offset_tEEE10hipError_tPvRmT1_PNSt15iterator_traitsISK_E10value_typeET2_T3_PNSL_ISQ_E10value_typeET4_jRbjT5_SW_jjP12ihipStream_tbEUlT_E1_NS1_11comp_targetILNS1_3genE10ELNS1_11target_archE1201ELNS1_3gpuE5ELNS1_3repE0EEENS1_59segmented_radix_sort_warp_sort_small_config_static_selectorELNS0_4arch9wavefront6targetE0EEEvSK_
                                        ; -- End function
	.set _ZN7rocprim17ROCPRIM_400000_NS6detail17trampoline_kernelINS0_14default_configENS1_36segmented_radix_sort_config_selectorIalEEZNS1_25segmented_radix_sort_implIS3_Lb0EPKaPaPKlPlN2at6native12_GLOBAL__N_18offset_tEEE10hipError_tPvRmT1_PNSt15iterator_traitsISK_E10value_typeET2_T3_PNSL_ISQ_E10value_typeET4_jRbjT5_SW_jjP12ihipStream_tbEUlT_E1_NS1_11comp_targetILNS1_3genE10ELNS1_11target_archE1201ELNS1_3gpuE5ELNS1_3repE0EEENS1_59segmented_radix_sort_warp_sort_small_config_static_selectorELNS0_4arch9wavefront6targetE0EEEvSK_.num_vgpr, 0
	.set _ZN7rocprim17ROCPRIM_400000_NS6detail17trampoline_kernelINS0_14default_configENS1_36segmented_radix_sort_config_selectorIalEEZNS1_25segmented_radix_sort_implIS3_Lb0EPKaPaPKlPlN2at6native12_GLOBAL__N_18offset_tEEE10hipError_tPvRmT1_PNSt15iterator_traitsISK_E10value_typeET2_T3_PNSL_ISQ_E10value_typeET4_jRbjT5_SW_jjP12ihipStream_tbEUlT_E1_NS1_11comp_targetILNS1_3genE10ELNS1_11target_archE1201ELNS1_3gpuE5ELNS1_3repE0EEENS1_59segmented_radix_sort_warp_sort_small_config_static_selectorELNS0_4arch9wavefront6targetE0EEEvSK_.num_agpr, 0
	.set _ZN7rocprim17ROCPRIM_400000_NS6detail17trampoline_kernelINS0_14default_configENS1_36segmented_radix_sort_config_selectorIalEEZNS1_25segmented_radix_sort_implIS3_Lb0EPKaPaPKlPlN2at6native12_GLOBAL__N_18offset_tEEE10hipError_tPvRmT1_PNSt15iterator_traitsISK_E10value_typeET2_T3_PNSL_ISQ_E10value_typeET4_jRbjT5_SW_jjP12ihipStream_tbEUlT_E1_NS1_11comp_targetILNS1_3genE10ELNS1_11target_archE1201ELNS1_3gpuE5ELNS1_3repE0EEENS1_59segmented_radix_sort_warp_sort_small_config_static_selectorELNS0_4arch9wavefront6targetE0EEEvSK_.numbered_sgpr, 0
	.set _ZN7rocprim17ROCPRIM_400000_NS6detail17trampoline_kernelINS0_14default_configENS1_36segmented_radix_sort_config_selectorIalEEZNS1_25segmented_radix_sort_implIS3_Lb0EPKaPaPKlPlN2at6native12_GLOBAL__N_18offset_tEEE10hipError_tPvRmT1_PNSt15iterator_traitsISK_E10value_typeET2_T3_PNSL_ISQ_E10value_typeET4_jRbjT5_SW_jjP12ihipStream_tbEUlT_E1_NS1_11comp_targetILNS1_3genE10ELNS1_11target_archE1201ELNS1_3gpuE5ELNS1_3repE0EEENS1_59segmented_radix_sort_warp_sort_small_config_static_selectorELNS0_4arch9wavefront6targetE0EEEvSK_.num_named_barrier, 0
	.set _ZN7rocprim17ROCPRIM_400000_NS6detail17trampoline_kernelINS0_14default_configENS1_36segmented_radix_sort_config_selectorIalEEZNS1_25segmented_radix_sort_implIS3_Lb0EPKaPaPKlPlN2at6native12_GLOBAL__N_18offset_tEEE10hipError_tPvRmT1_PNSt15iterator_traitsISK_E10value_typeET2_T3_PNSL_ISQ_E10value_typeET4_jRbjT5_SW_jjP12ihipStream_tbEUlT_E1_NS1_11comp_targetILNS1_3genE10ELNS1_11target_archE1201ELNS1_3gpuE5ELNS1_3repE0EEENS1_59segmented_radix_sort_warp_sort_small_config_static_selectorELNS0_4arch9wavefront6targetE0EEEvSK_.private_seg_size, 0
	.set _ZN7rocprim17ROCPRIM_400000_NS6detail17trampoline_kernelINS0_14default_configENS1_36segmented_radix_sort_config_selectorIalEEZNS1_25segmented_radix_sort_implIS3_Lb0EPKaPaPKlPlN2at6native12_GLOBAL__N_18offset_tEEE10hipError_tPvRmT1_PNSt15iterator_traitsISK_E10value_typeET2_T3_PNSL_ISQ_E10value_typeET4_jRbjT5_SW_jjP12ihipStream_tbEUlT_E1_NS1_11comp_targetILNS1_3genE10ELNS1_11target_archE1201ELNS1_3gpuE5ELNS1_3repE0EEENS1_59segmented_radix_sort_warp_sort_small_config_static_selectorELNS0_4arch9wavefront6targetE0EEEvSK_.uses_vcc, 0
	.set _ZN7rocprim17ROCPRIM_400000_NS6detail17trampoline_kernelINS0_14default_configENS1_36segmented_radix_sort_config_selectorIalEEZNS1_25segmented_radix_sort_implIS3_Lb0EPKaPaPKlPlN2at6native12_GLOBAL__N_18offset_tEEE10hipError_tPvRmT1_PNSt15iterator_traitsISK_E10value_typeET2_T3_PNSL_ISQ_E10value_typeET4_jRbjT5_SW_jjP12ihipStream_tbEUlT_E1_NS1_11comp_targetILNS1_3genE10ELNS1_11target_archE1201ELNS1_3gpuE5ELNS1_3repE0EEENS1_59segmented_radix_sort_warp_sort_small_config_static_selectorELNS0_4arch9wavefront6targetE0EEEvSK_.uses_flat_scratch, 0
	.set _ZN7rocprim17ROCPRIM_400000_NS6detail17trampoline_kernelINS0_14default_configENS1_36segmented_radix_sort_config_selectorIalEEZNS1_25segmented_radix_sort_implIS3_Lb0EPKaPaPKlPlN2at6native12_GLOBAL__N_18offset_tEEE10hipError_tPvRmT1_PNSt15iterator_traitsISK_E10value_typeET2_T3_PNSL_ISQ_E10value_typeET4_jRbjT5_SW_jjP12ihipStream_tbEUlT_E1_NS1_11comp_targetILNS1_3genE10ELNS1_11target_archE1201ELNS1_3gpuE5ELNS1_3repE0EEENS1_59segmented_radix_sort_warp_sort_small_config_static_selectorELNS0_4arch9wavefront6targetE0EEEvSK_.has_dyn_sized_stack, 0
	.set _ZN7rocprim17ROCPRIM_400000_NS6detail17trampoline_kernelINS0_14default_configENS1_36segmented_radix_sort_config_selectorIalEEZNS1_25segmented_radix_sort_implIS3_Lb0EPKaPaPKlPlN2at6native12_GLOBAL__N_18offset_tEEE10hipError_tPvRmT1_PNSt15iterator_traitsISK_E10value_typeET2_T3_PNSL_ISQ_E10value_typeET4_jRbjT5_SW_jjP12ihipStream_tbEUlT_E1_NS1_11comp_targetILNS1_3genE10ELNS1_11target_archE1201ELNS1_3gpuE5ELNS1_3repE0EEENS1_59segmented_radix_sort_warp_sort_small_config_static_selectorELNS0_4arch9wavefront6targetE0EEEvSK_.has_recursion, 0
	.set _ZN7rocprim17ROCPRIM_400000_NS6detail17trampoline_kernelINS0_14default_configENS1_36segmented_radix_sort_config_selectorIalEEZNS1_25segmented_radix_sort_implIS3_Lb0EPKaPaPKlPlN2at6native12_GLOBAL__N_18offset_tEEE10hipError_tPvRmT1_PNSt15iterator_traitsISK_E10value_typeET2_T3_PNSL_ISQ_E10value_typeET4_jRbjT5_SW_jjP12ihipStream_tbEUlT_E1_NS1_11comp_targetILNS1_3genE10ELNS1_11target_archE1201ELNS1_3gpuE5ELNS1_3repE0EEENS1_59segmented_radix_sort_warp_sort_small_config_static_selectorELNS0_4arch9wavefront6targetE0EEEvSK_.has_indirect_call, 0
	.section	.AMDGPU.csdata,"",@progbits
; Kernel info:
; codeLenInByte = 0
; TotalNumSgprs: 0
; NumVgprs: 0
; ScratchSize: 0
; MemoryBound: 0
; FloatMode: 240
; IeeeMode: 1
; LDSByteSize: 0 bytes/workgroup (compile time only)
; SGPRBlocks: 0
; VGPRBlocks: 0
; NumSGPRsForWavesPerEU: 1
; NumVGPRsForWavesPerEU: 1
; Occupancy: 16
; WaveLimiterHint : 0
; COMPUTE_PGM_RSRC2:SCRATCH_EN: 0
; COMPUTE_PGM_RSRC2:USER_SGPR: 6
; COMPUTE_PGM_RSRC2:TRAP_HANDLER: 0
; COMPUTE_PGM_RSRC2:TGID_X_EN: 1
; COMPUTE_PGM_RSRC2:TGID_Y_EN: 0
; COMPUTE_PGM_RSRC2:TGID_Z_EN: 0
; COMPUTE_PGM_RSRC2:TIDIG_COMP_CNT: 0
	.section	.text._ZN7rocprim17ROCPRIM_400000_NS6detail17trampoline_kernelINS0_14default_configENS1_36segmented_radix_sort_config_selectorIalEEZNS1_25segmented_radix_sort_implIS3_Lb0EPKaPaPKlPlN2at6native12_GLOBAL__N_18offset_tEEE10hipError_tPvRmT1_PNSt15iterator_traitsISK_E10value_typeET2_T3_PNSL_ISQ_E10value_typeET4_jRbjT5_SW_jjP12ihipStream_tbEUlT_E1_NS1_11comp_targetILNS1_3genE10ELNS1_11target_archE1200ELNS1_3gpuE4ELNS1_3repE0EEENS1_59segmented_radix_sort_warp_sort_small_config_static_selectorELNS0_4arch9wavefront6targetE0EEEvSK_,"axG",@progbits,_ZN7rocprim17ROCPRIM_400000_NS6detail17trampoline_kernelINS0_14default_configENS1_36segmented_radix_sort_config_selectorIalEEZNS1_25segmented_radix_sort_implIS3_Lb0EPKaPaPKlPlN2at6native12_GLOBAL__N_18offset_tEEE10hipError_tPvRmT1_PNSt15iterator_traitsISK_E10value_typeET2_T3_PNSL_ISQ_E10value_typeET4_jRbjT5_SW_jjP12ihipStream_tbEUlT_E1_NS1_11comp_targetILNS1_3genE10ELNS1_11target_archE1200ELNS1_3gpuE4ELNS1_3repE0EEENS1_59segmented_radix_sort_warp_sort_small_config_static_selectorELNS0_4arch9wavefront6targetE0EEEvSK_,comdat
	.globl	_ZN7rocprim17ROCPRIM_400000_NS6detail17trampoline_kernelINS0_14default_configENS1_36segmented_radix_sort_config_selectorIalEEZNS1_25segmented_radix_sort_implIS3_Lb0EPKaPaPKlPlN2at6native12_GLOBAL__N_18offset_tEEE10hipError_tPvRmT1_PNSt15iterator_traitsISK_E10value_typeET2_T3_PNSL_ISQ_E10value_typeET4_jRbjT5_SW_jjP12ihipStream_tbEUlT_E1_NS1_11comp_targetILNS1_3genE10ELNS1_11target_archE1200ELNS1_3gpuE4ELNS1_3repE0EEENS1_59segmented_radix_sort_warp_sort_small_config_static_selectorELNS0_4arch9wavefront6targetE0EEEvSK_ ; -- Begin function _ZN7rocprim17ROCPRIM_400000_NS6detail17trampoline_kernelINS0_14default_configENS1_36segmented_radix_sort_config_selectorIalEEZNS1_25segmented_radix_sort_implIS3_Lb0EPKaPaPKlPlN2at6native12_GLOBAL__N_18offset_tEEE10hipError_tPvRmT1_PNSt15iterator_traitsISK_E10value_typeET2_T3_PNSL_ISQ_E10value_typeET4_jRbjT5_SW_jjP12ihipStream_tbEUlT_E1_NS1_11comp_targetILNS1_3genE10ELNS1_11target_archE1200ELNS1_3gpuE4ELNS1_3repE0EEENS1_59segmented_radix_sort_warp_sort_small_config_static_selectorELNS0_4arch9wavefront6targetE0EEEvSK_
	.p2align	8
	.type	_ZN7rocprim17ROCPRIM_400000_NS6detail17trampoline_kernelINS0_14default_configENS1_36segmented_radix_sort_config_selectorIalEEZNS1_25segmented_radix_sort_implIS3_Lb0EPKaPaPKlPlN2at6native12_GLOBAL__N_18offset_tEEE10hipError_tPvRmT1_PNSt15iterator_traitsISK_E10value_typeET2_T3_PNSL_ISQ_E10value_typeET4_jRbjT5_SW_jjP12ihipStream_tbEUlT_E1_NS1_11comp_targetILNS1_3genE10ELNS1_11target_archE1200ELNS1_3gpuE4ELNS1_3repE0EEENS1_59segmented_radix_sort_warp_sort_small_config_static_selectorELNS0_4arch9wavefront6targetE0EEEvSK_,@function
_ZN7rocprim17ROCPRIM_400000_NS6detail17trampoline_kernelINS0_14default_configENS1_36segmented_radix_sort_config_selectorIalEEZNS1_25segmented_radix_sort_implIS3_Lb0EPKaPaPKlPlN2at6native12_GLOBAL__N_18offset_tEEE10hipError_tPvRmT1_PNSt15iterator_traitsISK_E10value_typeET2_T3_PNSL_ISQ_E10value_typeET4_jRbjT5_SW_jjP12ihipStream_tbEUlT_E1_NS1_11comp_targetILNS1_3genE10ELNS1_11target_archE1200ELNS1_3gpuE4ELNS1_3repE0EEENS1_59segmented_radix_sort_warp_sort_small_config_static_selectorELNS0_4arch9wavefront6targetE0EEEvSK_: ; @_ZN7rocprim17ROCPRIM_400000_NS6detail17trampoline_kernelINS0_14default_configENS1_36segmented_radix_sort_config_selectorIalEEZNS1_25segmented_radix_sort_implIS3_Lb0EPKaPaPKlPlN2at6native12_GLOBAL__N_18offset_tEEE10hipError_tPvRmT1_PNSt15iterator_traitsISK_E10value_typeET2_T3_PNSL_ISQ_E10value_typeET4_jRbjT5_SW_jjP12ihipStream_tbEUlT_E1_NS1_11comp_targetILNS1_3genE10ELNS1_11target_archE1200ELNS1_3gpuE4ELNS1_3repE0EEENS1_59segmented_radix_sort_warp_sort_small_config_static_selectorELNS0_4arch9wavefront6targetE0EEEvSK_
; %bb.0:
	.section	.rodata,"a",@progbits
	.p2align	6, 0x0
	.amdhsa_kernel _ZN7rocprim17ROCPRIM_400000_NS6detail17trampoline_kernelINS0_14default_configENS1_36segmented_radix_sort_config_selectorIalEEZNS1_25segmented_radix_sort_implIS3_Lb0EPKaPaPKlPlN2at6native12_GLOBAL__N_18offset_tEEE10hipError_tPvRmT1_PNSt15iterator_traitsISK_E10value_typeET2_T3_PNSL_ISQ_E10value_typeET4_jRbjT5_SW_jjP12ihipStream_tbEUlT_E1_NS1_11comp_targetILNS1_3genE10ELNS1_11target_archE1200ELNS1_3gpuE4ELNS1_3repE0EEENS1_59segmented_radix_sort_warp_sort_small_config_static_selectorELNS0_4arch9wavefront6targetE0EEEvSK_
		.amdhsa_group_segment_fixed_size 0
		.amdhsa_private_segment_fixed_size 0
		.amdhsa_kernarg_size 88
		.amdhsa_user_sgpr_count 6
		.amdhsa_user_sgpr_private_segment_buffer 1
		.amdhsa_user_sgpr_dispatch_ptr 0
		.amdhsa_user_sgpr_queue_ptr 0
		.amdhsa_user_sgpr_kernarg_segment_ptr 1
		.amdhsa_user_sgpr_dispatch_id 0
		.amdhsa_user_sgpr_flat_scratch_init 0
		.amdhsa_user_sgpr_private_segment_size 0
		.amdhsa_wavefront_size32 1
		.amdhsa_uses_dynamic_stack 0
		.amdhsa_system_sgpr_private_segment_wavefront_offset 0
		.amdhsa_system_sgpr_workgroup_id_x 1
		.amdhsa_system_sgpr_workgroup_id_y 0
		.amdhsa_system_sgpr_workgroup_id_z 0
		.amdhsa_system_sgpr_workgroup_info 0
		.amdhsa_system_vgpr_workitem_id 0
		.amdhsa_next_free_vgpr 1
		.amdhsa_next_free_sgpr 1
		.amdhsa_reserve_vcc 0
		.amdhsa_reserve_flat_scratch 0
		.amdhsa_float_round_mode_32 0
		.amdhsa_float_round_mode_16_64 0
		.amdhsa_float_denorm_mode_32 3
		.amdhsa_float_denorm_mode_16_64 3
		.amdhsa_dx10_clamp 1
		.amdhsa_ieee_mode 1
		.amdhsa_fp16_overflow 0
		.amdhsa_workgroup_processor_mode 1
		.amdhsa_memory_ordered 1
		.amdhsa_forward_progress 1
		.amdhsa_shared_vgpr_count 0
		.amdhsa_exception_fp_ieee_invalid_op 0
		.amdhsa_exception_fp_denorm_src 0
		.amdhsa_exception_fp_ieee_div_zero 0
		.amdhsa_exception_fp_ieee_overflow 0
		.amdhsa_exception_fp_ieee_underflow 0
		.amdhsa_exception_fp_ieee_inexact 0
		.amdhsa_exception_int_div_zero 0
	.end_amdhsa_kernel
	.section	.text._ZN7rocprim17ROCPRIM_400000_NS6detail17trampoline_kernelINS0_14default_configENS1_36segmented_radix_sort_config_selectorIalEEZNS1_25segmented_radix_sort_implIS3_Lb0EPKaPaPKlPlN2at6native12_GLOBAL__N_18offset_tEEE10hipError_tPvRmT1_PNSt15iterator_traitsISK_E10value_typeET2_T3_PNSL_ISQ_E10value_typeET4_jRbjT5_SW_jjP12ihipStream_tbEUlT_E1_NS1_11comp_targetILNS1_3genE10ELNS1_11target_archE1200ELNS1_3gpuE4ELNS1_3repE0EEENS1_59segmented_radix_sort_warp_sort_small_config_static_selectorELNS0_4arch9wavefront6targetE0EEEvSK_,"axG",@progbits,_ZN7rocprim17ROCPRIM_400000_NS6detail17trampoline_kernelINS0_14default_configENS1_36segmented_radix_sort_config_selectorIalEEZNS1_25segmented_radix_sort_implIS3_Lb0EPKaPaPKlPlN2at6native12_GLOBAL__N_18offset_tEEE10hipError_tPvRmT1_PNSt15iterator_traitsISK_E10value_typeET2_T3_PNSL_ISQ_E10value_typeET4_jRbjT5_SW_jjP12ihipStream_tbEUlT_E1_NS1_11comp_targetILNS1_3genE10ELNS1_11target_archE1200ELNS1_3gpuE4ELNS1_3repE0EEENS1_59segmented_radix_sort_warp_sort_small_config_static_selectorELNS0_4arch9wavefront6targetE0EEEvSK_,comdat
.Lfunc_end416:
	.size	_ZN7rocprim17ROCPRIM_400000_NS6detail17trampoline_kernelINS0_14default_configENS1_36segmented_radix_sort_config_selectorIalEEZNS1_25segmented_radix_sort_implIS3_Lb0EPKaPaPKlPlN2at6native12_GLOBAL__N_18offset_tEEE10hipError_tPvRmT1_PNSt15iterator_traitsISK_E10value_typeET2_T3_PNSL_ISQ_E10value_typeET4_jRbjT5_SW_jjP12ihipStream_tbEUlT_E1_NS1_11comp_targetILNS1_3genE10ELNS1_11target_archE1200ELNS1_3gpuE4ELNS1_3repE0EEENS1_59segmented_radix_sort_warp_sort_small_config_static_selectorELNS0_4arch9wavefront6targetE0EEEvSK_, .Lfunc_end416-_ZN7rocprim17ROCPRIM_400000_NS6detail17trampoline_kernelINS0_14default_configENS1_36segmented_radix_sort_config_selectorIalEEZNS1_25segmented_radix_sort_implIS3_Lb0EPKaPaPKlPlN2at6native12_GLOBAL__N_18offset_tEEE10hipError_tPvRmT1_PNSt15iterator_traitsISK_E10value_typeET2_T3_PNSL_ISQ_E10value_typeET4_jRbjT5_SW_jjP12ihipStream_tbEUlT_E1_NS1_11comp_targetILNS1_3genE10ELNS1_11target_archE1200ELNS1_3gpuE4ELNS1_3repE0EEENS1_59segmented_radix_sort_warp_sort_small_config_static_selectorELNS0_4arch9wavefront6targetE0EEEvSK_
                                        ; -- End function
	.set _ZN7rocprim17ROCPRIM_400000_NS6detail17trampoline_kernelINS0_14default_configENS1_36segmented_radix_sort_config_selectorIalEEZNS1_25segmented_radix_sort_implIS3_Lb0EPKaPaPKlPlN2at6native12_GLOBAL__N_18offset_tEEE10hipError_tPvRmT1_PNSt15iterator_traitsISK_E10value_typeET2_T3_PNSL_ISQ_E10value_typeET4_jRbjT5_SW_jjP12ihipStream_tbEUlT_E1_NS1_11comp_targetILNS1_3genE10ELNS1_11target_archE1200ELNS1_3gpuE4ELNS1_3repE0EEENS1_59segmented_radix_sort_warp_sort_small_config_static_selectorELNS0_4arch9wavefront6targetE0EEEvSK_.num_vgpr, 0
	.set _ZN7rocprim17ROCPRIM_400000_NS6detail17trampoline_kernelINS0_14default_configENS1_36segmented_radix_sort_config_selectorIalEEZNS1_25segmented_radix_sort_implIS3_Lb0EPKaPaPKlPlN2at6native12_GLOBAL__N_18offset_tEEE10hipError_tPvRmT1_PNSt15iterator_traitsISK_E10value_typeET2_T3_PNSL_ISQ_E10value_typeET4_jRbjT5_SW_jjP12ihipStream_tbEUlT_E1_NS1_11comp_targetILNS1_3genE10ELNS1_11target_archE1200ELNS1_3gpuE4ELNS1_3repE0EEENS1_59segmented_radix_sort_warp_sort_small_config_static_selectorELNS0_4arch9wavefront6targetE0EEEvSK_.num_agpr, 0
	.set _ZN7rocprim17ROCPRIM_400000_NS6detail17trampoline_kernelINS0_14default_configENS1_36segmented_radix_sort_config_selectorIalEEZNS1_25segmented_radix_sort_implIS3_Lb0EPKaPaPKlPlN2at6native12_GLOBAL__N_18offset_tEEE10hipError_tPvRmT1_PNSt15iterator_traitsISK_E10value_typeET2_T3_PNSL_ISQ_E10value_typeET4_jRbjT5_SW_jjP12ihipStream_tbEUlT_E1_NS1_11comp_targetILNS1_3genE10ELNS1_11target_archE1200ELNS1_3gpuE4ELNS1_3repE0EEENS1_59segmented_radix_sort_warp_sort_small_config_static_selectorELNS0_4arch9wavefront6targetE0EEEvSK_.numbered_sgpr, 0
	.set _ZN7rocprim17ROCPRIM_400000_NS6detail17trampoline_kernelINS0_14default_configENS1_36segmented_radix_sort_config_selectorIalEEZNS1_25segmented_radix_sort_implIS3_Lb0EPKaPaPKlPlN2at6native12_GLOBAL__N_18offset_tEEE10hipError_tPvRmT1_PNSt15iterator_traitsISK_E10value_typeET2_T3_PNSL_ISQ_E10value_typeET4_jRbjT5_SW_jjP12ihipStream_tbEUlT_E1_NS1_11comp_targetILNS1_3genE10ELNS1_11target_archE1200ELNS1_3gpuE4ELNS1_3repE0EEENS1_59segmented_radix_sort_warp_sort_small_config_static_selectorELNS0_4arch9wavefront6targetE0EEEvSK_.num_named_barrier, 0
	.set _ZN7rocprim17ROCPRIM_400000_NS6detail17trampoline_kernelINS0_14default_configENS1_36segmented_radix_sort_config_selectorIalEEZNS1_25segmented_radix_sort_implIS3_Lb0EPKaPaPKlPlN2at6native12_GLOBAL__N_18offset_tEEE10hipError_tPvRmT1_PNSt15iterator_traitsISK_E10value_typeET2_T3_PNSL_ISQ_E10value_typeET4_jRbjT5_SW_jjP12ihipStream_tbEUlT_E1_NS1_11comp_targetILNS1_3genE10ELNS1_11target_archE1200ELNS1_3gpuE4ELNS1_3repE0EEENS1_59segmented_radix_sort_warp_sort_small_config_static_selectorELNS0_4arch9wavefront6targetE0EEEvSK_.private_seg_size, 0
	.set _ZN7rocprim17ROCPRIM_400000_NS6detail17trampoline_kernelINS0_14default_configENS1_36segmented_radix_sort_config_selectorIalEEZNS1_25segmented_radix_sort_implIS3_Lb0EPKaPaPKlPlN2at6native12_GLOBAL__N_18offset_tEEE10hipError_tPvRmT1_PNSt15iterator_traitsISK_E10value_typeET2_T3_PNSL_ISQ_E10value_typeET4_jRbjT5_SW_jjP12ihipStream_tbEUlT_E1_NS1_11comp_targetILNS1_3genE10ELNS1_11target_archE1200ELNS1_3gpuE4ELNS1_3repE0EEENS1_59segmented_radix_sort_warp_sort_small_config_static_selectorELNS0_4arch9wavefront6targetE0EEEvSK_.uses_vcc, 0
	.set _ZN7rocprim17ROCPRIM_400000_NS6detail17trampoline_kernelINS0_14default_configENS1_36segmented_radix_sort_config_selectorIalEEZNS1_25segmented_radix_sort_implIS3_Lb0EPKaPaPKlPlN2at6native12_GLOBAL__N_18offset_tEEE10hipError_tPvRmT1_PNSt15iterator_traitsISK_E10value_typeET2_T3_PNSL_ISQ_E10value_typeET4_jRbjT5_SW_jjP12ihipStream_tbEUlT_E1_NS1_11comp_targetILNS1_3genE10ELNS1_11target_archE1200ELNS1_3gpuE4ELNS1_3repE0EEENS1_59segmented_radix_sort_warp_sort_small_config_static_selectorELNS0_4arch9wavefront6targetE0EEEvSK_.uses_flat_scratch, 0
	.set _ZN7rocprim17ROCPRIM_400000_NS6detail17trampoline_kernelINS0_14default_configENS1_36segmented_radix_sort_config_selectorIalEEZNS1_25segmented_radix_sort_implIS3_Lb0EPKaPaPKlPlN2at6native12_GLOBAL__N_18offset_tEEE10hipError_tPvRmT1_PNSt15iterator_traitsISK_E10value_typeET2_T3_PNSL_ISQ_E10value_typeET4_jRbjT5_SW_jjP12ihipStream_tbEUlT_E1_NS1_11comp_targetILNS1_3genE10ELNS1_11target_archE1200ELNS1_3gpuE4ELNS1_3repE0EEENS1_59segmented_radix_sort_warp_sort_small_config_static_selectorELNS0_4arch9wavefront6targetE0EEEvSK_.has_dyn_sized_stack, 0
	.set _ZN7rocprim17ROCPRIM_400000_NS6detail17trampoline_kernelINS0_14default_configENS1_36segmented_radix_sort_config_selectorIalEEZNS1_25segmented_radix_sort_implIS3_Lb0EPKaPaPKlPlN2at6native12_GLOBAL__N_18offset_tEEE10hipError_tPvRmT1_PNSt15iterator_traitsISK_E10value_typeET2_T3_PNSL_ISQ_E10value_typeET4_jRbjT5_SW_jjP12ihipStream_tbEUlT_E1_NS1_11comp_targetILNS1_3genE10ELNS1_11target_archE1200ELNS1_3gpuE4ELNS1_3repE0EEENS1_59segmented_radix_sort_warp_sort_small_config_static_selectorELNS0_4arch9wavefront6targetE0EEEvSK_.has_recursion, 0
	.set _ZN7rocprim17ROCPRIM_400000_NS6detail17trampoline_kernelINS0_14default_configENS1_36segmented_radix_sort_config_selectorIalEEZNS1_25segmented_radix_sort_implIS3_Lb0EPKaPaPKlPlN2at6native12_GLOBAL__N_18offset_tEEE10hipError_tPvRmT1_PNSt15iterator_traitsISK_E10value_typeET2_T3_PNSL_ISQ_E10value_typeET4_jRbjT5_SW_jjP12ihipStream_tbEUlT_E1_NS1_11comp_targetILNS1_3genE10ELNS1_11target_archE1200ELNS1_3gpuE4ELNS1_3repE0EEENS1_59segmented_radix_sort_warp_sort_small_config_static_selectorELNS0_4arch9wavefront6targetE0EEEvSK_.has_indirect_call, 0
	.section	.AMDGPU.csdata,"",@progbits
; Kernel info:
; codeLenInByte = 0
; TotalNumSgprs: 0
; NumVgprs: 0
; ScratchSize: 0
; MemoryBound: 0
; FloatMode: 240
; IeeeMode: 1
; LDSByteSize: 0 bytes/workgroup (compile time only)
; SGPRBlocks: 0
; VGPRBlocks: 0
; NumSGPRsForWavesPerEU: 1
; NumVGPRsForWavesPerEU: 1
; Occupancy: 16
; WaveLimiterHint : 0
; COMPUTE_PGM_RSRC2:SCRATCH_EN: 0
; COMPUTE_PGM_RSRC2:USER_SGPR: 6
; COMPUTE_PGM_RSRC2:TRAP_HANDLER: 0
; COMPUTE_PGM_RSRC2:TGID_X_EN: 1
; COMPUTE_PGM_RSRC2:TGID_Y_EN: 0
; COMPUTE_PGM_RSRC2:TGID_Z_EN: 0
; COMPUTE_PGM_RSRC2:TIDIG_COMP_CNT: 0
	.section	.text._ZN7rocprim17ROCPRIM_400000_NS6detail17trampoline_kernelINS0_14default_configENS1_36segmented_radix_sort_config_selectorIalEEZNS1_25segmented_radix_sort_implIS3_Lb0EPKaPaPKlPlN2at6native12_GLOBAL__N_18offset_tEEE10hipError_tPvRmT1_PNSt15iterator_traitsISK_E10value_typeET2_T3_PNSL_ISQ_E10value_typeET4_jRbjT5_SW_jjP12ihipStream_tbEUlT_E1_NS1_11comp_targetILNS1_3genE9ELNS1_11target_archE1100ELNS1_3gpuE3ELNS1_3repE0EEENS1_59segmented_radix_sort_warp_sort_small_config_static_selectorELNS0_4arch9wavefront6targetE0EEEvSK_,"axG",@progbits,_ZN7rocprim17ROCPRIM_400000_NS6detail17trampoline_kernelINS0_14default_configENS1_36segmented_radix_sort_config_selectorIalEEZNS1_25segmented_radix_sort_implIS3_Lb0EPKaPaPKlPlN2at6native12_GLOBAL__N_18offset_tEEE10hipError_tPvRmT1_PNSt15iterator_traitsISK_E10value_typeET2_T3_PNSL_ISQ_E10value_typeET4_jRbjT5_SW_jjP12ihipStream_tbEUlT_E1_NS1_11comp_targetILNS1_3genE9ELNS1_11target_archE1100ELNS1_3gpuE3ELNS1_3repE0EEENS1_59segmented_radix_sort_warp_sort_small_config_static_selectorELNS0_4arch9wavefront6targetE0EEEvSK_,comdat
	.globl	_ZN7rocprim17ROCPRIM_400000_NS6detail17trampoline_kernelINS0_14default_configENS1_36segmented_radix_sort_config_selectorIalEEZNS1_25segmented_radix_sort_implIS3_Lb0EPKaPaPKlPlN2at6native12_GLOBAL__N_18offset_tEEE10hipError_tPvRmT1_PNSt15iterator_traitsISK_E10value_typeET2_T3_PNSL_ISQ_E10value_typeET4_jRbjT5_SW_jjP12ihipStream_tbEUlT_E1_NS1_11comp_targetILNS1_3genE9ELNS1_11target_archE1100ELNS1_3gpuE3ELNS1_3repE0EEENS1_59segmented_radix_sort_warp_sort_small_config_static_selectorELNS0_4arch9wavefront6targetE0EEEvSK_ ; -- Begin function _ZN7rocprim17ROCPRIM_400000_NS6detail17trampoline_kernelINS0_14default_configENS1_36segmented_radix_sort_config_selectorIalEEZNS1_25segmented_radix_sort_implIS3_Lb0EPKaPaPKlPlN2at6native12_GLOBAL__N_18offset_tEEE10hipError_tPvRmT1_PNSt15iterator_traitsISK_E10value_typeET2_T3_PNSL_ISQ_E10value_typeET4_jRbjT5_SW_jjP12ihipStream_tbEUlT_E1_NS1_11comp_targetILNS1_3genE9ELNS1_11target_archE1100ELNS1_3gpuE3ELNS1_3repE0EEENS1_59segmented_radix_sort_warp_sort_small_config_static_selectorELNS0_4arch9wavefront6targetE0EEEvSK_
	.p2align	8
	.type	_ZN7rocprim17ROCPRIM_400000_NS6detail17trampoline_kernelINS0_14default_configENS1_36segmented_radix_sort_config_selectorIalEEZNS1_25segmented_radix_sort_implIS3_Lb0EPKaPaPKlPlN2at6native12_GLOBAL__N_18offset_tEEE10hipError_tPvRmT1_PNSt15iterator_traitsISK_E10value_typeET2_T3_PNSL_ISQ_E10value_typeET4_jRbjT5_SW_jjP12ihipStream_tbEUlT_E1_NS1_11comp_targetILNS1_3genE9ELNS1_11target_archE1100ELNS1_3gpuE3ELNS1_3repE0EEENS1_59segmented_radix_sort_warp_sort_small_config_static_selectorELNS0_4arch9wavefront6targetE0EEEvSK_,@function
_ZN7rocprim17ROCPRIM_400000_NS6detail17trampoline_kernelINS0_14default_configENS1_36segmented_radix_sort_config_selectorIalEEZNS1_25segmented_radix_sort_implIS3_Lb0EPKaPaPKlPlN2at6native12_GLOBAL__N_18offset_tEEE10hipError_tPvRmT1_PNSt15iterator_traitsISK_E10value_typeET2_T3_PNSL_ISQ_E10value_typeET4_jRbjT5_SW_jjP12ihipStream_tbEUlT_E1_NS1_11comp_targetILNS1_3genE9ELNS1_11target_archE1100ELNS1_3gpuE3ELNS1_3repE0EEENS1_59segmented_radix_sort_warp_sort_small_config_static_selectorELNS0_4arch9wavefront6targetE0EEEvSK_: ; @_ZN7rocprim17ROCPRIM_400000_NS6detail17trampoline_kernelINS0_14default_configENS1_36segmented_radix_sort_config_selectorIalEEZNS1_25segmented_radix_sort_implIS3_Lb0EPKaPaPKlPlN2at6native12_GLOBAL__N_18offset_tEEE10hipError_tPvRmT1_PNSt15iterator_traitsISK_E10value_typeET2_T3_PNSL_ISQ_E10value_typeET4_jRbjT5_SW_jjP12ihipStream_tbEUlT_E1_NS1_11comp_targetILNS1_3genE9ELNS1_11target_archE1100ELNS1_3gpuE3ELNS1_3repE0EEENS1_59segmented_radix_sort_warp_sort_small_config_static_selectorELNS0_4arch9wavefront6targetE0EEEvSK_
; %bb.0:
	.section	.rodata,"a",@progbits
	.p2align	6, 0x0
	.amdhsa_kernel _ZN7rocprim17ROCPRIM_400000_NS6detail17trampoline_kernelINS0_14default_configENS1_36segmented_radix_sort_config_selectorIalEEZNS1_25segmented_radix_sort_implIS3_Lb0EPKaPaPKlPlN2at6native12_GLOBAL__N_18offset_tEEE10hipError_tPvRmT1_PNSt15iterator_traitsISK_E10value_typeET2_T3_PNSL_ISQ_E10value_typeET4_jRbjT5_SW_jjP12ihipStream_tbEUlT_E1_NS1_11comp_targetILNS1_3genE9ELNS1_11target_archE1100ELNS1_3gpuE3ELNS1_3repE0EEENS1_59segmented_radix_sort_warp_sort_small_config_static_selectorELNS0_4arch9wavefront6targetE0EEEvSK_
		.amdhsa_group_segment_fixed_size 0
		.amdhsa_private_segment_fixed_size 0
		.amdhsa_kernarg_size 88
		.amdhsa_user_sgpr_count 6
		.amdhsa_user_sgpr_private_segment_buffer 1
		.amdhsa_user_sgpr_dispatch_ptr 0
		.amdhsa_user_sgpr_queue_ptr 0
		.amdhsa_user_sgpr_kernarg_segment_ptr 1
		.amdhsa_user_sgpr_dispatch_id 0
		.amdhsa_user_sgpr_flat_scratch_init 0
		.amdhsa_user_sgpr_private_segment_size 0
		.amdhsa_wavefront_size32 1
		.amdhsa_uses_dynamic_stack 0
		.amdhsa_system_sgpr_private_segment_wavefront_offset 0
		.amdhsa_system_sgpr_workgroup_id_x 1
		.amdhsa_system_sgpr_workgroup_id_y 0
		.amdhsa_system_sgpr_workgroup_id_z 0
		.amdhsa_system_sgpr_workgroup_info 0
		.amdhsa_system_vgpr_workitem_id 0
		.amdhsa_next_free_vgpr 1
		.amdhsa_next_free_sgpr 1
		.amdhsa_reserve_vcc 0
		.amdhsa_reserve_flat_scratch 0
		.amdhsa_float_round_mode_32 0
		.amdhsa_float_round_mode_16_64 0
		.amdhsa_float_denorm_mode_32 3
		.amdhsa_float_denorm_mode_16_64 3
		.amdhsa_dx10_clamp 1
		.amdhsa_ieee_mode 1
		.amdhsa_fp16_overflow 0
		.amdhsa_workgroup_processor_mode 1
		.amdhsa_memory_ordered 1
		.amdhsa_forward_progress 1
		.amdhsa_shared_vgpr_count 0
		.amdhsa_exception_fp_ieee_invalid_op 0
		.amdhsa_exception_fp_denorm_src 0
		.amdhsa_exception_fp_ieee_div_zero 0
		.amdhsa_exception_fp_ieee_overflow 0
		.amdhsa_exception_fp_ieee_underflow 0
		.amdhsa_exception_fp_ieee_inexact 0
		.amdhsa_exception_int_div_zero 0
	.end_amdhsa_kernel
	.section	.text._ZN7rocprim17ROCPRIM_400000_NS6detail17trampoline_kernelINS0_14default_configENS1_36segmented_radix_sort_config_selectorIalEEZNS1_25segmented_radix_sort_implIS3_Lb0EPKaPaPKlPlN2at6native12_GLOBAL__N_18offset_tEEE10hipError_tPvRmT1_PNSt15iterator_traitsISK_E10value_typeET2_T3_PNSL_ISQ_E10value_typeET4_jRbjT5_SW_jjP12ihipStream_tbEUlT_E1_NS1_11comp_targetILNS1_3genE9ELNS1_11target_archE1100ELNS1_3gpuE3ELNS1_3repE0EEENS1_59segmented_radix_sort_warp_sort_small_config_static_selectorELNS0_4arch9wavefront6targetE0EEEvSK_,"axG",@progbits,_ZN7rocprim17ROCPRIM_400000_NS6detail17trampoline_kernelINS0_14default_configENS1_36segmented_radix_sort_config_selectorIalEEZNS1_25segmented_radix_sort_implIS3_Lb0EPKaPaPKlPlN2at6native12_GLOBAL__N_18offset_tEEE10hipError_tPvRmT1_PNSt15iterator_traitsISK_E10value_typeET2_T3_PNSL_ISQ_E10value_typeET4_jRbjT5_SW_jjP12ihipStream_tbEUlT_E1_NS1_11comp_targetILNS1_3genE9ELNS1_11target_archE1100ELNS1_3gpuE3ELNS1_3repE0EEENS1_59segmented_radix_sort_warp_sort_small_config_static_selectorELNS0_4arch9wavefront6targetE0EEEvSK_,comdat
.Lfunc_end417:
	.size	_ZN7rocprim17ROCPRIM_400000_NS6detail17trampoline_kernelINS0_14default_configENS1_36segmented_radix_sort_config_selectorIalEEZNS1_25segmented_radix_sort_implIS3_Lb0EPKaPaPKlPlN2at6native12_GLOBAL__N_18offset_tEEE10hipError_tPvRmT1_PNSt15iterator_traitsISK_E10value_typeET2_T3_PNSL_ISQ_E10value_typeET4_jRbjT5_SW_jjP12ihipStream_tbEUlT_E1_NS1_11comp_targetILNS1_3genE9ELNS1_11target_archE1100ELNS1_3gpuE3ELNS1_3repE0EEENS1_59segmented_radix_sort_warp_sort_small_config_static_selectorELNS0_4arch9wavefront6targetE0EEEvSK_, .Lfunc_end417-_ZN7rocprim17ROCPRIM_400000_NS6detail17trampoline_kernelINS0_14default_configENS1_36segmented_radix_sort_config_selectorIalEEZNS1_25segmented_radix_sort_implIS3_Lb0EPKaPaPKlPlN2at6native12_GLOBAL__N_18offset_tEEE10hipError_tPvRmT1_PNSt15iterator_traitsISK_E10value_typeET2_T3_PNSL_ISQ_E10value_typeET4_jRbjT5_SW_jjP12ihipStream_tbEUlT_E1_NS1_11comp_targetILNS1_3genE9ELNS1_11target_archE1100ELNS1_3gpuE3ELNS1_3repE0EEENS1_59segmented_radix_sort_warp_sort_small_config_static_selectorELNS0_4arch9wavefront6targetE0EEEvSK_
                                        ; -- End function
	.set _ZN7rocprim17ROCPRIM_400000_NS6detail17trampoline_kernelINS0_14default_configENS1_36segmented_radix_sort_config_selectorIalEEZNS1_25segmented_radix_sort_implIS3_Lb0EPKaPaPKlPlN2at6native12_GLOBAL__N_18offset_tEEE10hipError_tPvRmT1_PNSt15iterator_traitsISK_E10value_typeET2_T3_PNSL_ISQ_E10value_typeET4_jRbjT5_SW_jjP12ihipStream_tbEUlT_E1_NS1_11comp_targetILNS1_3genE9ELNS1_11target_archE1100ELNS1_3gpuE3ELNS1_3repE0EEENS1_59segmented_radix_sort_warp_sort_small_config_static_selectorELNS0_4arch9wavefront6targetE0EEEvSK_.num_vgpr, 0
	.set _ZN7rocprim17ROCPRIM_400000_NS6detail17trampoline_kernelINS0_14default_configENS1_36segmented_radix_sort_config_selectorIalEEZNS1_25segmented_radix_sort_implIS3_Lb0EPKaPaPKlPlN2at6native12_GLOBAL__N_18offset_tEEE10hipError_tPvRmT1_PNSt15iterator_traitsISK_E10value_typeET2_T3_PNSL_ISQ_E10value_typeET4_jRbjT5_SW_jjP12ihipStream_tbEUlT_E1_NS1_11comp_targetILNS1_3genE9ELNS1_11target_archE1100ELNS1_3gpuE3ELNS1_3repE0EEENS1_59segmented_radix_sort_warp_sort_small_config_static_selectorELNS0_4arch9wavefront6targetE0EEEvSK_.num_agpr, 0
	.set _ZN7rocprim17ROCPRIM_400000_NS6detail17trampoline_kernelINS0_14default_configENS1_36segmented_radix_sort_config_selectorIalEEZNS1_25segmented_radix_sort_implIS3_Lb0EPKaPaPKlPlN2at6native12_GLOBAL__N_18offset_tEEE10hipError_tPvRmT1_PNSt15iterator_traitsISK_E10value_typeET2_T3_PNSL_ISQ_E10value_typeET4_jRbjT5_SW_jjP12ihipStream_tbEUlT_E1_NS1_11comp_targetILNS1_3genE9ELNS1_11target_archE1100ELNS1_3gpuE3ELNS1_3repE0EEENS1_59segmented_radix_sort_warp_sort_small_config_static_selectorELNS0_4arch9wavefront6targetE0EEEvSK_.numbered_sgpr, 0
	.set _ZN7rocprim17ROCPRIM_400000_NS6detail17trampoline_kernelINS0_14default_configENS1_36segmented_radix_sort_config_selectorIalEEZNS1_25segmented_radix_sort_implIS3_Lb0EPKaPaPKlPlN2at6native12_GLOBAL__N_18offset_tEEE10hipError_tPvRmT1_PNSt15iterator_traitsISK_E10value_typeET2_T3_PNSL_ISQ_E10value_typeET4_jRbjT5_SW_jjP12ihipStream_tbEUlT_E1_NS1_11comp_targetILNS1_3genE9ELNS1_11target_archE1100ELNS1_3gpuE3ELNS1_3repE0EEENS1_59segmented_radix_sort_warp_sort_small_config_static_selectorELNS0_4arch9wavefront6targetE0EEEvSK_.num_named_barrier, 0
	.set _ZN7rocprim17ROCPRIM_400000_NS6detail17trampoline_kernelINS0_14default_configENS1_36segmented_radix_sort_config_selectorIalEEZNS1_25segmented_radix_sort_implIS3_Lb0EPKaPaPKlPlN2at6native12_GLOBAL__N_18offset_tEEE10hipError_tPvRmT1_PNSt15iterator_traitsISK_E10value_typeET2_T3_PNSL_ISQ_E10value_typeET4_jRbjT5_SW_jjP12ihipStream_tbEUlT_E1_NS1_11comp_targetILNS1_3genE9ELNS1_11target_archE1100ELNS1_3gpuE3ELNS1_3repE0EEENS1_59segmented_radix_sort_warp_sort_small_config_static_selectorELNS0_4arch9wavefront6targetE0EEEvSK_.private_seg_size, 0
	.set _ZN7rocprim17ROCPRIM_400000_NS6detail17trampoline_kernelINS0_14default_configENS1_36segmented_radix_sort_config_selectorIalEEZNS1_25segmented_radix_sort_implIS3_Lb0EPKaPaPKlPlN2at6native12_GLOBAL__N_18offset_tEEE10hipError_tPvRmT1_PNSt15iterator_traitsISK_E10value_typeET2_T3_PNSL_ISQ_E10value_typeET4_jRbjT5_SW_jjP12ihipStream_tbEUlT_E1_NS1_11comp_targetILNS1_3genE9ELNS1_11target_archE1100ELNS1_3gpuE3ELNS1_3repE0EEENS1_59segmented_radix_sort_warp_sort_small_config_static_selectorELNS0_4arch9wavefront6targetE0EEEvSK_.uses_vcc, 0
	.set _ZN7rocprim17ROCPRIM_400000_NS6detail17trampoline_kernelINS0_14default_configENS1_36segmented_radix_sort_config_selectorIalEEZNS1_25segmented_radix_sort_implIS3_Lb0EPKaPaPKlPlN2at6native12_GLOBAL__N_18offset_tEEE10hipError_tPvRmT1_PNSt15iterator_traitsISK_E10value_typeET2_T3_PNSL_ISQ_E10value_typeET4_jRbjT5_SW_jjP12ihipStream_tbEUlT_E1_NS1_11comp_targetILNS1_3genE9ELNS1_11target_archE1100ELNS1_3gpuE3ELNS1_3repE0EEENS1_59segmented_radix_sort_warp_sort_small_config_static_selectorELNS0_4arch9wavefront6targetE0EEEvSK_.uses_flat_scratch, 0
	.set _ZN7rocprim17ROCPRIM_400000_NS6detail17trampoline_kernelINS0_14default_configENS1_36segmented_radix_sort_config_selectorIalEEZNS1_25segmented_radix_sort_implIS3_Lb0EPKaPaPKlPlN2at6native12_GLOBAL__N_18offset_tEEE10hipError_tPvRmT1_PNSt15iterator_traitsISK_E10value_typeET2_T3_PNSL_ISQ_E10value_typeET4_jRbjT5_SW_jjP12ihipStream_tbEUlT_E1_NS1_11comp_targetILNS1_3genE9ELNS1_11target_archE1100ELNS1_3gpuE3ELNS1_3repE0EEENS1_59segmented_radix_sort_warp_sort_small_config_static_selectorELNS0_4arch9wavefront6targetE0EEEvSK_.has_dyn_sized_stack, 0
	.set _ZN7rocprim17ROCPRIM_400000_NS6detail17trampoline_kernelINS0_14default_configENS1_36segmented_radix_sort_config_selectorIalEEZNS1_25segmented_radix_sort_implIS3_Lb0EPKaPaPKlPlN2at6native12_GLOBAL__N_18offset_tEEE10hipError_tPvRmT1_PNSt15iterator_traitsISK_E10value_typeET2_T3_PNSL_ISQ_E10value_typeET4_jRbjT5_SW_jjP12ihipStream_tbEUlT_E1_NS1_11comp_targetILNS1_3genE9ELNS1_11target_archE1100ELNS1_3gpuE3ELNS1_3repE0EEENS1_59segmented_radix_sort_warp_sort_small_config_static_selectorELNS0_4arch9wavefront6targetE0EEEvSK_.has_recursion, 0
	.set _ZN7rocprim17ROCPRIM_400000_NS6detail17trampoline_kernelINS0_14default_configENS1_36segmented_radix_sort_config_selectorIalEEZNS1_25segmented_radix_sort_implIS3_Lb0EPKaPaPKlPlN2at6native12_GLOBAL__N_18offset_tEEE10hipError_tPvRmT1_PNSt15iterator_traitsISK_E10value_typeET2_T3_PNSL_ISQ_E10value_typeET4_jRbjT5_SW_jjP12ihipStream_tbEUlT_E1_NS1_11comp_targetILNS1_3genE9ELNS1_11target_archE1100ELNS1_3gpuE3ELNS1_3repE0EEENS1_59segmented_radix_sort_warp_sort_small_config_static_selectorELNS0_4arch9wavefront6targetE0EEEvSK_.has_indirect_call, 0
	.section	.AMDGPU.csdata,"",@progbits
; Kernel info:
; codeLenInByte = 0
; TotalNumSgprs: 0
; NumVgprs: 0
; ScratchSize: 0
; MemoryBound: 0
; FloatMode: 240
; IeeeMode: 1
; LDSByteSize: 0 bytes/workgroup (compile time only)
; SGPRBlocks: 0
; VGPRBlocks: 0
; NumSGPRsForWavesPerEU: 1
; NumVGPRsForWavesPerEU: 1
; Occupancy: 16
; WaveLimiterHint : 0
; COMPUTE_PGM_RSRC2:SCRATCH_EN: 0
; COMPUTE_PGM_RSRC2:USER_SGPR: 6
; COMPUTE_PGM_RSRC2:TRAP_HANDLER: 0
; COMPUTE_PGM_RSRC2:TGID_X_EN: 1
; COMPUTE_PGM_RSRC2:TGID_Y_EN: 0
; COMPUTE_PGM_RSRC2:TGID_Z_EN: 0
; COMPUTE_PGM_RSRC2:TIDIG_COMP_CNT: 0
	.section	.text._ZN7rocprim17ROCPRIM_400000_NS6detail17trampoline_kernelINS0_14default_configENS1_36segmented_radix_sort_config_selectorIalEEZNS1_25segmented_radix_sort_implIS3_Lb0EPKaPaPKlPlN2at6native12_GLOBAL__N_18offset_tEEE10hipError_tPvRmT1_PNSt15iterator_traitsISK_E10value_typeET2_T3_PNSL_ISQ_E10value_typeET4_jRbjT5_SW_jjP12ihipStream_tbEUlT_E1_NS1_11comp_targetILNS1_3genE8ELNS1_11target_archE1030ELNS1_3gpuE2ELNS1_3repE0EEENS1_59segmented_radix_sort_warp_sort_small_config_static_selectorELNS0_4arch9wavefront6targetE0EEEvSK_,"axG",@progbits,_ZN7rocprim17ROCPRIM_400000_NS6detail17trampoline_kernelINS0_14default_configENS1_36segmented_radix_sort_config_selectorIalEEZNS1_25segmented_radix_sort_implIS3_Lb0EPKaPaPKlPlN2at6native12_GLOBAL__N_18offset_tEEE10hipError_tPvRmT1_PNSt15iterator_traitsISK_E10value_typeET2_T3_PNSL_ISQ_E10value_typeET4_jRbjT5_SW_jjP12ihipStream_tbEUlT_E1_NS1_11comp_targetILNS1_3genE8ELNS1_11target_archE1030ELNS1_3gpuE2ELNS1_3repE0EEENS1_59segmented_radix_sort_warp_sort_small_config_static_selectorELNS0_4arch9wavefront6targetE0EEEvSK_,comdat
	.globl	_ZN7rocprim17ROCPRIM_400000_NS6detail17trampoline_kernelINS0_14default_configENS1_36segmented_radix_sort_config_selectorIalEEZNS1_25segmented_radix_sort_implIS3_Lb0EPKaPaPKlPlN2at6native12_GLOBAL__N_18offset_tEEE10hipError_tPvRmT1_PNSt15iterator_traitsISK_E10value_typeET2_T3_PNSL_ISQ_E10value_typeET4_jRbjT5_SW_jjP12ihipStream_tbEUlT_E1_NS1_11comp_targetILNS1_3genE8ELNS1_11target_archE1030ELNS1_3gpuE2ELNS1_3repE0EEENS1_59segmented_radix_sort_warp_sort_small_config_static_selectorELNS0_4arch9wavefront6targetE0EEEvSK_ ; -- Begin function _ZN7rocprim17ROCPRIM_400000_NS6detail17trampoline_kernelINS0_14default_configENS1_36segmented_radix_sort_config_selectorIalEEZNS1_25segmented_radix_sort_implIS3_Lb0EPKaPaPKlPlN2at6native12_GLOBAL__N_18offset_tEEE10hipError_tPvRmT1_PNSt15iterator_traitsISK_E10value_typeET2_T3_PNSL_ISQ_E10value_typeET4_jRbjT5_SW_jjP12ihipStream_tbEUlT_E1_NS1_11comp_targetILNS1_3genE8ELNS1_11target_archE1030ELNS1_3gpuE2ELNS1_3repE0EEENS1_59segmented_radix_sort_warp_sort_small_config_static_selectorELNS0_4arch9wavefront6targetE0EEEvSK_
	.p2align	8
	.type	_ZN7rocprim17ROCPRIM_400000_NS6detail17trampoline_kernelINS0_14default_configENS1_36segmented_radix_sort_config_selectorIalEEZNS1_25segmented_radix_sort_implIS3_Lb0EPKaPaPKlPlN2at6native12_GLOBAL__N_18offset_tEEE10hipError_tPvRmT1_PNSt15iterator_traitsISK_E10value_typeET2_T3_PNSL_ISQ_E10value_typeET4_jRbjT5_SW_jjP12ihipStream_tbEUlT_E1_NS1_11comp_targetILNS1_3genE8ELNS1_11target_archE1030ELNS1_3gpuE2ELNS1_3repE0EEENS1_59segmented_radix_sort_warp_sort_small_config_static_selectorELNS0_4arch9wavefront6targetE0EEEvSK_,@function
_ZN7rocprim17ROCPRIM_400000_NS6detail17trampoline_kernelINS0_14default_configENS1_36segmented_radix_sort_config_selectorIalEEZNS1_25segmented_radix_sort_implIS3_Lb0EPKaPaPKlPlN2at6native12_GLOBAL__N_18offset_tEEE10hipError_tPvRmT1_PNSt15iterator_traitsISK_E10value_typeET2_T3_PNSL_ISQ_E10value_typeET4_jRbjT5_SW_jjP12ihipStream_tbEUlT_E1_NS1_11comp_targetILNS1_3genE8ELNS1_11target_archE1030ELNS1_3gpuE2ELNS1_3repE0EEENS1_59segmented_radix_sort_warp_sort_small_config_static_selectorELNS0_4arch9wavefront6targetE0EEEvSK_: ; @_ZN7rocprim17ROCPRIM_400000_NS6detail17trampoline_kernelINS0_14default_configENS1_36segmented_radix_sort_config_selectorIalEEZNS1_25segmented_radix_sort_implIS3_Lb0EPKaPaPKlPlN2at6native12_GLOBAL__N_18offset_tEEE10hipError_tPvRmT1_PNSt15iterator_traitsISK_E10value_typeET2_T3_PNSL_ISQ_E10value_typeET4_jRbjT5_SW_jjP12ihipStream_tbEUlT_E1_NS1_11comp_targetILNS1_3genE8ELNS1_11target_archE1030ELNS1_3gpuE2ELNS1_3repE0EEENS1_59segmented_radix_sort_warp_sort_small_config_static_selectorELNS0_4arch9wavefront6targetE0EEEvSK_
; %bb.0:
	s_add_u32 s0, s0, s8
	s_load_dword s8, s[4:5], 0x64
	s_addc_u32 s1, s1, 0
	s_mov_b32 s32, 0
	s_waitcnt lgkmcnt(0)
	s_lshr_b32 s9, s8, 16
	s_and_b32 s8, s8, 0xffff
	v_mad_u32_u24 v3, v2, s9, v1
	s_load_dword s9, s[4:5], 0x34
	v_mad_u64_u32 v[3:4], null, v3, s8, v[0:1]
	s_mov_b32 s8, exec_lo
	v_lshrrev_b32_e32 v3, 5, v3
	v_lshl_add_u32 v3, s6, 3, v3
	s_waitcnt lgkmcnt(0)
	v_cmpx_gt_u32_e64 s9, v3
	s_cbranch_execz .LBB418_6
; %bb.1:
	s_clause 0x1
	s_load_dwordx2 s[12:13], s[4:5], 0x38
	s_load_dwordx4 s[8:11], s[4:5], 0x40
	v_mov_b32_e32 v4, 0
	v_lshlrev_b64 v[3:4], 2, v[3:4]
	s_waitcnt lgkmcnt(0)
	v_sub_co_u32 v3, vcc_lo, s12, v3
	v_sub_co_ci_u32_e64 v4, null, s13, v4, vcc_lo
	global_load_dword v3, v[3:4], off offset:-4
	s_waitcnt vmcnt(0)
	v_add_nc_u32_e32 v4, s9, v3
	v_add_nc_u32_e32 v3, s11, v3
	v_mul_lo_u32 v8, v4, s8
	v_mul_lo_u32 v40, v3, s10
	v_cmp_gt_u32_e32 vcc_lo, v40, v8
	s_and_b32 exec_lo, exec_lo, vcc_lo
	s_cbranch_execz .LBB418_6
; %bb.2:
	s_clause 0x3
	s_load_dword s8, s[4:5], 0x30
	s_load_dwordx4 s[36:39], s[4:5], 0x20
	s_load_dwordx8 s[20:27], s[4:5], 0x0
	s_load_dwordx2 s[28:29], s[4:5], 0x50
	v_lshlrev_b32_e32 v42, 20, v2
	v_lshlrev_b32_e32 v43, 10, v1
	s_waitcnt lgkmcnt(0)
	s_bitcmp0_b32 s8, 0
	s_mov_b32 s8, -1
	s_cbranch_scc0 .LBB418_4
; %bb.3:
	s_mov_b64 s[10:11], src_shared_base
	v_or3_b32 v31, v0, v43, v42
	v_mov_b32_e32 v41, v0
	v_mov_b32_e32 v0, s20
	;; [unrolled: 1-line block ×14, first 2 shown]
	s_add_u32 s8, s4, 0x58
	s_addc_u32 s9, s5, 0
	s_getpc_b64 s[14:15]
	s_add_u32 s14, s14, _ZN7rocprim17ROCPRIM_400000_NS6detail26segmented_warp_sort_helperINS1_20WarpSortHelperConfigILj32ELj4ELj256EEEalLi256ELb0EvE4sortIPKaPaPKlPlEEvT_T0_T1_T2_jjjjRNS5_12storage_typeE@rel32@lo+4
	s_addc_u32 s15, s15, _ZN7rocprim17ROCPRIM_400000_NS6detail26segmented_warp_sort_helperINS1_20WarpSortHelperConfigILj32ELj4ELj256EEEalLi256ELb0EvE4sortIPKaPaPKlPlEEvT_T0_T1_T2_jjjjRNS5_12storage_typeE@rel32@hi+12
	s_mov_b32 s12, s6
	s_mov_b32 s13, s7
	s_mov_b64 s[22:23], s[4:5]
	s_mov_b32 s19, s7
	s_mov_b32 s33, s6
	s_swappc_b64 s[30:31], s[14:15]
	v_mov_b32_e32 v0, v41
	s_mov_b32 s6, s33
	s_mov_b32 s7, s19
	s_mov_b64 s[4:5], s[22:23]
	s_mov_b32 s8, 0
.LBB418_4:
	s_andn2_b32 vcc_lo, exec_lo, s8
	s_cbranch_vccnz .LBB418_6
; %bb.5:
	s_mov_b64 s[10:11], src_shared_base
	v_or3_b32 v31, v0, v43, v42
	v_mov_b32_e32 v0, s20
	v_mov_b32_e32 v1, s21
	;; [unrolled: 1-line block ×13, first 2 shown]
	s_add_u32 s8, s4, 0x58
	s_addc_u32 s9, s5, 0
	s_getpc_b64 s[4:5]
	s_add_u32 s4, s4, _ZN7rocprim17ROCPRIM_400000_NS6detail26segmented_warp_sort_helperINS1_20WarpSortHelperConfigILj32ELj4ELj256EEEalLi256ELb0EvE4sortIPKaPaPKlPlEEvT_T0_T1_T2_jjjjRNS5_12storage_typeE@rel32@lo+4
	s_addc_u32 s5, s5, _ZN7rocprim17ROCPRIM_400000_NS6detail26segmented_warp_sort_helperINS1_20WarpSortHelperConfigILj32ELj4ELj256EEEalLi256ELb0EvE4sortIPKaPaPKlPlEEvT_T0_T1_T2_jjjjRNS5_12storage_typeE@rel32@hi+12
	s_mov_b32 s12, s6
	s_mov_b32 s13, s7
	s_swappc_b64 s[30:31], s[4:5]
.LBB418_6:
	s_endpgm
	.section	.rodata,"a",@progbits
	.p2align	6, 0x0
	.amdhsa_kernel _ZN7rocprim17ROCPRIM_400000_NS6detail17trampoline_kernelINS0_14default_configENS1_36segmented_radix_sort_config_selectorIalEEZNS1_25segmented_radix_sort_implIS3_Lb0EPKaPaPKlPlN2at6native12_GLOBAL__N_18offset_tEEE10hipError_tPvRmT1_PNSt15iterator_traitsISK_E10value_typeET2_T3_PNSL_ISQ_E10value_typeET4_jRbjT5_SW_jjP12ihipStream_tbEUlT_E1_NS1_11comp_targetILNS1_3genE8ELNS1_11target_archE1030ELNS1_3gpuE2ELNS1_3repE0EEENS1_59segmented_radix_sort_warp_sort_small_config_static_selectorELNS0_4arch9wavefront6targetE0EEEvSK_
		.amdhsa_group_segment_fixed_size 9216
		.amdhsa_private_segment_fixed_size 0
		.amdhsa_kernarg_size 344
		.amdhsa_user_sgpr_count 6
		.amdhsa_user_sgpr_private_segment_buffer 1
		.amdhsa_user_sgpr_dispatch_ptr 0
		.amdhsa_user_sgpr_queue_ptr 0
		.amdhsa_user_sgpr_kernarg_segment_ptr 1
		.amdhsa_user_sgpr_dispatch_id 0
		.amdhsa_user_sgpr_flat_scratch_init 0
		.amdhsa_user_sgpr_private_segment_size 0
		.amdhsa_wavefront_size32 1
		.amdhsa_uses_dynamic_stack 0
		.amdhsa_system_sgpr_private_segment_wavefront_offset 0
		.amdhsa_system_sgpr_workgroup_id_x 1
		.amdhsa_system_sgpr_workgroup_id_y 1
		.amdhsa_system_sgpr_workgroup_id_z 0
		.amdhsa_system_sgpr_workgroup_info 0
		.amdhsa_system_vgpr_workitem_id 2
		.amdhsa_next_free_vgpr 53
		.amdhsa_next_free_sgpr 40
		.amdhsa_reserve_vcc 1
		.amdhsa_reserve_flat_scratch 0
		.amdhsa_float_round_mode_32 0
		.amdhsa_float_round_mode_16_64 0
		.amdhsa_float_denorm_mode_32 3
		.amdhsa_float_denorm_mode_16_64 3
		.amdhsa_dx10_clamp 1
		.amdhsa_ieee_mode 1
		.amdhsa_fp16_overflow 0
		.amdhsa_workgroup_processor_mode 1
		.amdhsa_memory_ordered 1
		.amdhsa_forward_progress 1
		.amdhsa_shared_vgpr_count 0
		.amdhsa_exception_fp_ieee_invalid_op 0
		.amdhsa_exception_fp_denorm_src 0
		.amdhsa_exception_fp_ieee_div_zero 0
		.amdhsa_exception_fp_ieee_overflow 0
		.amdhsa_exception_fp_ieee_underflow 0
		.amdhsa_exception_fp_ieee_inexact 0
		.amdhsa_exception_int_div_zero 0
	.end_amdhsa_kernel
	.section	.text._ZN7rocprim17ROCPRIM_400000_NS6detail17trampoline_kernelINS0_14default_configENS1_36segmented_radix_sort_config_selectorIalEEZNS1_25segmented_radix_sort_implIS3_Lb0EPKaPaPKlPlN2at6native12_GLOBAL__N_18offset_tEEE10hipError_tPvRmT1_PNSt15iterator_traitsISK_E10value_typeET2_T3_PNSL_ISQ_E10value_typeET4_jRbjT5_SW_jjP12ihipStream_tbEUlT_E1_NS1_11comp_targetILNS1_3genE8ELNS1_11target_archE1030ELNS1_3gpuE2ELNS1_3repE0EEENS1_59segmented_radix_sort_warp_sort_small_config_static_selectorELNS0_4arch9wavefront6targetE0EEEvSK_,"axG",@progbits,_ZN7rocprim17ROCPRIM_400000_NS6detail17trampoline_kernelINS0_14default_configENS1_36segmented_radix_sort_config_selectorIalEEZNS1_25segmented_radix_sort_implIS3_Lb0EPKaPaPKlPlN2at6native12_GLOBAL__N_18offset_tEEE10hipError_tPvRmT1_PNSt15iterator_traitsISK_E10value_typeET2_T3_PNSL_ISQ_E10value_typeET4_jRbjT5_SW_jjP12ihipStream_tbEUlT_E1_NS1_11comp_targetILNS1_3genE8ELNS1_11target_archE1030ELNS1_3gpuE2ELNS1_3repE0EEENS1_59segmented_radix_sort_warp_sort_small_config_static_selectorELNS0_4arch9wavefront6targetE0EEEvSK_,comdat
.Lfunc_end418:
	.size	_ZN7rocprim17ROCPRIM_400000_NS6detail17trampoline_kernelINS0_14default_configENS1_36segmented_radix_sort_config_selectorIalEEZNS1_25segmented_radix_sort_implIS3_Lb0EPKaPaPKlPlN2at6native12_GLOBAL__N_18offset_tEEE10hipError_tPvRmT1_PNSt15iterator_traitsISK_E10value_typeET2_T3_PNSL_ISQ_E10value_typeET4_jRbjT5_SW_jjP12ihipStream_tbEUlT_E1_NS1_11comp_targetILNS1_3genE8ELNS1_11target_archE1030ELNS1_3gpuE2ELNS1_3repE0EEENS1_59segmented_radix_sort_warp_sort_small_config_static_selectorELNS0_4arch9wavefront6targetE0EEEvSK_, .Lfunc_end418-_ZN7rocprim17ROCPRIM_400000_NS6detail17trampoline_kernelINS0_14default_configENS1_36segmented_radix_sort_config_selectorIalEEZNS1_25segmented_radix_sort_implIS3_Lb0EPKaPaPKlPlN2at6native12_GLOBAL__N_18offset_tEEE10hipError_tPvRmT1_PNSt15iterator_traitsISK_E10value_typeET2_T3_PNSL_ISQ_E10value_typeET4_jRbjT5_SW_jjP12ihipStream_tbEUlT_E1_NS1_11comp_targetILNS1_3genE8ELNS1_11target_archE1030ELNS1_3gpuE2ELNS1_3repE0EEENS1_59segmented_radix_sort_warp_sort_small_config_static_selectorELNS0_4arch9wavefront6targetE0EEEvSK_
                                        ; -- End function
	.set _ZN7rocprim17ROCPRIM_400000_NS6detail17trampoline_kernelINS0_14default_configENS1_36segmented_radix_sort_config_selectorIalEEZNS1_25segmented_radix_sort_implIS3_Lb0EPKaPaPKlPlN2at6native12_GLOBAL__N_18offset_tEEE10hipError_tPvRmT1_PNSt15iterator_traitsISK_E10value_typeET2_T3_PNSL_ISQ_E10value_typeET4_jRbjT5_SW_jjP12ihipStream_tbEUlT_E1_NS1_11comp_targetILNS1_3genE8ELNS1_11target_archE1030ELNS1_3gpuE2ELNS1_3repE0EEENS1_59segmented_radix_sort_warp_sort_small_config_static_selectorELNS0_4arch9wavefront6targetE0EEEvSK_.num_vgpr, max(44, .L_ZN7rocprim17ROCPRIM_400000_NS6detail26segmented_warp_sort_helperINS1_20WarpSortHelperConfigILj32ELj4ELj256EEEalLi256ELb0EvE4sortIPKaPaPKlPlEEvT_T0_T1_T2_jjjjRNS5_12storage_typeE.num_vgpr)
	.set _ZN7rocprim17ROCPRIM_400000_NS6detail17trampoline_kernelINS0_14default_configENS1_36segmented_radix_sort_config_selectorIalEEZNS1_25segmented_radix_sort_implIS3_Lb0EPKaPaPKlPlN2at6native12_GLOBAL__N_18offset_tEEE10hipError_tPvRmT1_PNSt15iterator_traitsISK_E10value_typeET2_T3_PNSL_ISQ_E10value_typeET4_jRbjT5_SW_jjP12ihipStream_tbEUlT_E1_NS1_11comp_targetILNS1_3genE8ELNS1_11target_archE1030ELNS1_3gpuE2ELNS1_3repE0EEENS1_59segmented_radix_sort_warp_sort_small_config_static_selectorELNS0_4arch9wavefront6targetE0EEEvSK_.num_agpr, max(0, .L_ZN7rocprim17ROCPRIM_400000_NS6detail26segmented_warp_sort_helperINS1_20WarpSortHelperConfigILj32ELj4ELj256EEEalLi256ELb0EvE4sortIPKaPaPKlPlEEvT_T0_T1_T2_jjjjRNS5_12storage_typeE.num_agpr)
	.set _ZN7rocprim17ROCPRIM_400000_NS6detail17trampoline_kernelINS0_14default_configENS1_36segmented_radix_sort_config_selectorIalEEZNS1_25segmented_radix_sort_implIS3_Lb0EPKaPaPKlPlN2at6native12_GLOBAL__N_18offset_tEEE10hipError_tPvRmT1_PNSt15iterator_traitsISK_E10value_typeET2_T3_PNSL_ISQ_E10value_typeET4_jRbjT5_SW_jjP12ihipStream_tbEUlT_E1_NS1_11comp_targetILNS1_3genE8ELNS1_11target_archE1030ELNS1_3gpuE2ELNS1_3repE0EEENS1_59segmented_radix_sort_warp_sort_small_config_static_selectorELNS0_4arch9wavefront6targetE0EEEvSK_.numbered_sgpr, max(40, .L_ZN7rocprim17ROCPRIM_400000_NS6detail26segmented_warp_sort_helperINS1_20WarpSortHelperConfigILj32ELj4ELj256EEEalLi256ELb0EvE4sortIPKaPaPKlPlEEvT_T0_T1_T2_jjjjRNS5_12storage_typeE.numbered_sgpr)
	.set _ZN7rocprim17ROCPRIM_400000_NS6detail17trampoline_kernelINS0_14default_configENS1_36segmented_radix_sort_config_selectorIalEEZNS1_25segmented_radix_sort_implIS3_Lb0EPKaPaPKlPlN2at6native12_GLOBAL__N_18offset_tEEE10hipError_tPvRmT1_PNSt15iterator_traitsISK_E10value_typeET2_T3_PNSL_ISQ_E10value_typeET4_jRbjT5_SW_jjP12ihipStream_tbEUlT_E1_NS1_11comp_targetILNS1_3genE8ELNS1_11target_archE1030ELNS1_3gpuE2ELNS1_3repE0EEENS1_59segmented_radix_sort_warp_sort_small_config_static_selectorELNS0_4arch9wavefront6targetE0EEEvSK_.num_named_barrier, max(0, .L_ZN7rocprim17ROCPRIM_400000_NS6detail26segmented_warp_sort_helperINS1_20WarpSortHelperConfigILj32ELj4ELj256EEEalLi256ELb0EvE4sortIPKaPaPKlPlEEvT_T0_T1_T2_jjjjRNS5_12storage_typeE.num_named_barrier)
	.set _ZN7rocprim17ROCPRIM_400000_NS6detail17trampoline_kernelINS0_14default_configENS1_36segmented_radix_sort_config_selectorIalEEZNS1_25segmented_radix_sort_implIS3_Lb0EPKaPaPKlPlN2at6native12_GLOBAL__N_18offset_tEEE10hipError_tPvRmT1_PNSt15iterator_traitsISK_E10value_typeET2_T3_PNSL_ISQ_E10value_typeET4_jRbjT5_SW_jjP12ihipStream_tbEUlT_E1_NS1_11comp_targetILNS1_3genE8ELNS1_11target_archE1030ELNS1_3gpuE2ELNS1_3repE0EEENS1_59segmented_radix_sort_warp_sort_small_config_static_selectorELNS0_4arch9wavefront6targetE0EEEvSK_.private_seg_size, 0+max(.L_ZN7rocprim17ROCPRIM_400000_NS6detail26segmented_warp_sort_helperINS1_20WarpSortHelperConfigILj32ELj4ELj256EEEalLi256ELb0EvE4sortIPKaPaPKlPlEEvT_T0_T1_T2_jjjjRNS5_12storage_typeE.private_seg_size)
	.set _ZN7rocprim17ROCPRIM_400000_NS6detail17trampoline_kernelINS0_14default_configENS1_36segmented_radix_sort_config_selectorIalEEZNS1_25segmented_radix_sort_implIS3_Lb0EPKaPaPKlPlN2at6native12_GLOBAL__N_18offset_tEEE10hipError_tPvRmT1_PNSt15iterator_traitsISK_E10value_typeET2_T3_PNSL_ISQ_E10value_typeET4_jRbjT5_SW_jjP12ihipStream_tbEUlT_E1_NS1_11comp_targetILNS1_3genE8ELNS1_11target_archE1030ELNS1_3gpuE2ELNS1_3repE0EEENS1_59segmented_radix_sort_warp_sort_small_config_static_selectorELNS0_4arch9wavefront6targetE0EEEvSK_.uses_vcc, or(1, .L_ZN7rocprim17ROCPRIM_400000_NS6detail26segmented_warp_sort_helperINS1_20WarpSortHelperConfigILj32ELj4ELj256EEEalLi256ELb0EvE4sortIPKaPaPKlPlEEvT_T0_T1_T2_jjjjRNS5_12storage_typeE.uses_vcc)
	.set _ZN7rocprim17ROCPRIM_400000_NS6detail17trampoline_kernelINS0_14default_configENS1_36segmented_radix_sort_config_selectorIalEEZNS1_25segmented_radix_sort_implIS3_Lb0EPKaPaPKlPlN2at6native12_GLOBAL__N_18offset_tEEE10hipError_tPvRmT1_PNSt15iterator_traitsISK_E10value_typeET2_T3_PNSL_ISQ_E10value_typeET4_jRbjT5_SW_jjP12ihipStream_tbEUlT_E1_NS1_11comp_targetILNS1_3genE8ELNS1_11target_archE1030ELNS1_3gpuE2ELNS1_3repE0EEENS1_59segmented_radix_sort_warp_sort_small_config_static_selectorELNS0_4arch9wavefront6targetE0EEEvSK_.uses_flat_scratch, or(0, .L_ZN7rocprim17ROCPRIM_400000_NS6detail26segmented_warp_sort_helperINS1_20WarpSortHelperConfigILj32ELj4ELj256EEEalLi256ELb0EvE4sortIPKaPaPKlPlEEvT_T0_T1_T2_jjjjRNS5_12storage_typeE.uses_flat_scratch)
	.set _ZN7rocprim17ROCPRIM_400000_NS6detail17trampoline_kernelINS0_14default_configENS1_36segmented_radix_sort_config_selectorIalEEZNS1_25segmented_radix_sort_implIS3_Lb0EPKaPaPKlPlN2at6native12_GLOBAL__N_18offset_tEEE10hipError_tPvRmT1_PNSt15iterator_traitsISK_E10value_typeET2_T3_PNSL_ISQ_E10value_typeET4_jRbjT5_SW_jjP12ihipStream_tbEUlT_E1_NS1_11comp_targetILNS1_3genE8ELNS1_11target_archE1030ELNS1_3gpuE2ELNS1_3repE0EEENS1_59segmented_radix_sort_warp_sort_small_config_static_selectorELNS0_4arch9wavefront6targetE0EEEvSK_.has_dyn_sized_stack, or(0, .L_ZN7rocprim17ROCPRIM_400000_NS6detail26segmented_warp_sort_helperINS1_20WarpSortHelperConfigILj32ELj4ELj256EEEalLi256ELb0EvE4sortIPKaPaPKlPlEEvT_T0_T1_T2_jjjjRNS5_12storage_typeE.has_dyn_sized_stack)
	.set _ZN7rocprim17ROCPRIM_400000_NS6detail17trampoline_kernelINS0_14default_configENS1_36segmented_radix_sort_config_selectorIalEEZNS1_25segmented_radix_sort_implIS3_Lb0EPKaPaPKlPlN2at6native12_GLOBAL__N_18offset_tEEE10hipError_tPvRmT1_PNSt15iterator_traitsISK_E10value_typeET2_T3_PNSL_ISQ_E10value_typeET4_jRbjT5_SW_jjP12ihipStream_tbEUlT_E1_NS1_11comp_targetILNS1_3genE8ELNS1_11target_archE1030ELNS1_3gpuE2ELNS1_3repE0EEENS1_59segmented_radix_sort_warp_sort_small_config_static_selectorELNS0_4arch9wavefront6targetE0EEEvSK_.has_recursion, or(0, .L_ZN7rocprim17ROCPRIM_400000_NS6detail26segmented_warp_sort_helperINS1_20WarpSortHelperConfigILj32ELj4ELj256EEEalLi256ELb0EvE4sortIPKaPaPKlPlEEvT_T0_T1_T2_jjjjRNS5_12storage_typeE.has_recursion)
	.set _ZN7rocprim17ROCPRIM_400000_NS6detail17trampoline_kernelINS0_14default_configENS1_36segmented_radix_sort_config_selectorIalEEZNS1_25segmented_radix_sort_implIS3_Lb0EPKaPaPKlPlN2at6native12_GLOBAL__N_18offset_tEEE10hipError_tPvRmT1_PNSt15iterator_traitsISK_E10value_typeET2_T3_PNSL_ISQ_E10value_typeET4_jRbjT5_SW_jjP12ihipStream_tbEUlT_E1_NS1_11comp_targetILNS1_3genE8ELNS1_11target_archE1030ELNS1_3gpuE2ELNS1_3repE0EEENS1_59segmented_radix_sort_warp_sort_small_config_static_selectorELNS0_4arch9wavefront6targetE0EEEvSK_.has_indirect_call, or(0, .L_ZN7rocprim17ROCPRIM_400000_NS6detail26segmented_warp_sort_helperINS1_20WarpSortHelperConfigILj32ELj4ELj256EEEalLi256ELb0EvE4sortIPKaPaPKlPlEEvT_T0_T1_T2_jjjjRNS5_12storage_typeE.has_indirect_call)
	.section	.AMDGPU.csdata,"",@progbits
; Kernel info:
; codeLenInByte = 516
; TotalNumSgprs: 42
; NumVgprs: 53
; ScratchSize: 0
; MemoryBound: 0
; FloatMode: 240
; IeeeMode: 1
; LDSByteSize: 9216 bytes/workgroup (compile time only)
; SGPRBlocks: 0
; VGPRBlocks: 6
; NumSGPRsForWavesPerEU: 42
; NumVGPRsForWavesPerEU: 53
; Occupancy: 16
; WaveLimiterHint : 0
; COMPUTE_PGM_RSRC2:SCRATCH_EN: 0
; COMPUTE_PGM_RSRC2:USER_SGPR: 6
; COMPUTE_PGM_RSRC2:TRAP_HANDLER: 0
; COMPUTE_PGM_RSRC2:TGID_X_EN: 1
; COMPUTE_PGM_RSRC2:TGID_Y_EN: 1
; COMPUTE_PGM_RSRC2:TGID_Z_EN: 0
; COMPUTE_PGM_RSRC2:TIDIG_COMP_CNT: 2
	.section	.text._ZN7rocprim17ROCPRIM_400000_NS6detail17trampoline_kernelINS0_14default_configENS1_36segmented_radix_sort_config_selectorIalEEZNS1_25segmented_radix_sort_implIS3_Lb0EPKaPaPKlPlN2at6native12_GLOBAL__N_18offset_tEEE10hipError_tPvRmT1_PNSt15iterator_traitsISK_E10value_typeET2_T3_PNSL_ISQ_E10value_typeET4_jRbjT5_SW_jjP12ihipStream_tbEUlT_E2_NS1_11comp_targetILNS1_3genE0ELNS1_11target_archE4294967295ELNS1_3gpuE0ELNS1_3repE0EEENS1_30default_config_static_selectorELNS0_4arch9wavefront6targetE0EEEvSK_,"axG",@progbits,_ZN7rocprim17ROCPRIM_400000_NS6detail17trampoline_kernelINS0_14default_configENS1_36segmented_radix_sort_config_selectorIalEEZNS1_25segmented_radix_sort_implIS3_Lb0EPKaPaPKlPlN2at6native12_GLOBAL__N_18offset_tEEE10hipError_tPvRmT1_PNSt15iterator_traitsISK_E10value_typeET2_T3_PNSL_ISQ_E10value_typeET4_jRbjT5_SW_jjP12ihipStream_tbEUlT_E2_NS1_11comp_targetILNS1_3genE0ELNS1_11target_archE4294967295ELNS1_3gpuE0ELNS1_3repE0EEENS1_30default_config_static_selectorELNS0_4arch9wavefront6targetE0EEEvSK_,comdat
	.globl	_ZN7rocprim17ROCPRIM_400000_NS6detail17trampoline_kernelINS0_14default_configENS1_36segmented_radix_sort_config_selectorIalEEZNS1_25segmented_radix_sort_implIS3_Lb0EPKaPaPKlPlN2at6native12_GLOBAL__N_18offset_tEEE10hipError_tPvRmT1_PNSt15iterator_traitsISK_E10value_typeET2_T3_PNSL_ISQ_E10value_typeET4_jRbjT5_SW_jjP12ihipStream_tbEUlT_E2_NS1_11comp_targetILNS1_3genE0ELNS1_11target_archE4294967295ELNS1_3gpuE0ELNS1_3repE0EEENS1_30default_config_static_selectorELNS0_4arch9wavefront6targetE0EEEvSK_ ; -- Begin function _ZN7rocprim17ROCPRIM_400000_NS6detail17trampoline_kernelINS0_14default_configENS1_36segmented_radix_sort_config_selectorIalEEZNS1_25segmented_radix_sort_implIS3_Lb0EPKaPaPKlPlN2at6native12_GLOBAL__N_18offset_tEEE10hipError_tPvRmT1_PNSt15iterator_traitsISK_E10value_typeET2_T3_PNSL_ISQ_E10value_typeET4_jRbjT5_SW_jjP12ihipStream_tbEUlT_E2_NS1_11comp_targetILNS1_3genE0ELNS1_11target_archE4294967295ELNS1_3gpuE0ELNS1_3repE0EEENS1_30default_config_static_selectorELNS0_4arch9wavefront6targetE0EEEvSK_
	.p2align	8
	.type	_ZN7rocprim17ROCPRIM_400000_NS6detail17trampoline_kernelINS0_14default_configENS1_36segmented_radix_sort_config_selectorIalEEZNS1_25segmented_radix_sort_implIS3_Lb0EPKaPaPKlPlN2at6native12_GLOBAL__N_18offset_tEEE10hipError_tPvRmT1_PNSt15iterator_traitsISK_E10value_typeET2_T3_PNSL_ISQ_E10value_typeET4_jRbjT5_SW_jjP12ihipStream_tbEUlT_E2_NS1_11comp_targetILNS1_3genE0ELNS1_11target_archE4294967295ELNS1_3gpuE0ELNS1_3repE0EEENS1_30default_config_static_selectorELNS0_4arch9wavefront6targetE0EEEvSK_,@function
_ZN7rocprim17ROCPRIM_400000_NS6detail17trampoline_kernelINS0_14default_configENS1_36segmented_radix_sort_config_selectorIalEEZNS1_25segmented_radix_sort_implIS3_Lb0EPKaPaPKlPlN2at6native12_GLOBAL__N_18offset_tEEE10hipError_tPvRmT1_PNSt15iterator_traitsISK_E10value_typeET2_T3_PNSL_ISQ_E10value_typeET4_jRbjT5_SW_jjP12ihipStream_tbEUlT_E2_NS1_11comp_targetILNS1_3genE0ELNS1_11target_archE4294967295ELNS1_3gpuE0ELNS1_3repE0EEENS1_30default_config_static_selectorELNS0_4arch9wavefront6targetE0EEEvSK_: ; @_ZN7rocprim17ROCPRIM_400000_NS6detail17trampoline_kernelINS0_14default_configENS1_36segmented_radix_sort_config_selectorIalEEZNS1_25segmented_radix_sort_implIS3_Lb0EPKaPaPKlPlN2at6native12_GLOBAL__N_18offset_tEEE10hipError_tPvRmT1_PNSt15iterator_traitsISK_E10value_typeET2_T3_PNSL_ISQ_E10value_typeET4_jRbjT5_SW_jjP12ihipStream_tbEUlT_E2_NS1_11comp_targetILNS1_3genE0ELNS1_11target_archE4294967295ELNS1_3gpuE0ELNS1_3repE0EEENS1_30default_config_static_selectorELNS0_4arch9wavefront6targetE0EEEvSK_
; %bb.0:
	.section	.rodata,"a",@progbits
	.p2align	6, 0x0
	.amdhsa_kernel _ZN7rocprim17ROCPRIM_400000_NS6detail17trampoline_kernelINS0_14default_configENS1_36segmented_radix_sort_config_selectorIalEEZNS1_25segmented_radix_sort_implIS3_Lb0EPKaPaPKlPlN2at6native12_GLOBAL__N_18offset_tEEE10hipError_tPvRmT1_PNSt15iterator_traitsISK_E10value_typeET2_T3_PNSL_ISQ_E10value_typeET4_jRbjT5_SW_jjP12ihipStream_tbEUlT_E2_NS1_11comp_targetILNS1_3genE0ELNS1_11target_archE4294967295ELNS1_3gpuE0ELNS1_3repE0EEENS1_30default_config_static_selectorELNS0_4arch9wavefront6targetE0EEEvSK_
		.amdhsa_group_segment_fixed_size 0
		.amdhsa_private_segment_fixed_size 0
		.amdhsa_kernarg_size 80
		.amdhsa_user_sgpr_count 6
		.amdhsa_user_sgpr_private_segment_buffer 1
		.amdhsa_user_sgpr_dispatch_ptr 0
		.amdhsa_user_sgpr_queue_ptr 0
		.amdhsa_user_sgpr_kernarg_segment_ptr 1
		.amdhsa_user_sgpr_dispatch_id 0
		.amdhsa_user_sgpr_flat_scratch_init 0
		.amdhsa_user_sgpr_private_segment_size 0
		.amdhsa_wavefront_size32 1
		.amdhsa_uses_dynamic_stack 0
		.amdhsa_system_sgpr_private_segment_wavefront_offset 0
		.amdhsa_system_sgpr_workgroup_id_x 1
		.amdhsa_system_sgpr_workgroup_id_y 0
		.amdhsa_system_sgpr_workgroup_id_z 0
		.amdhsa_system_sgpr_workgroup_info 0
		.amdhsa_system_vgpr_workitem_id 0
		.amdhsa_next_free_vgpr 1
		.amdhsa_next_free_sgpr 1
		.amdhsa_reserve_vcc 0
		.amdhsa_reserve_flat_scratch 0
		.amdhsa_float_round_mode_32 0
		.amdhsa_float_round_mode_16_64 0
		.amdhsa_float_denorm_mode_32 3
		.amdhsa_float_denorm_mode_16_64 3
		.amdhsa_dx10_clamp 1
		.amdhsa_ieee_mode 1
		.amdhsa_fp16_overflow 0
		.amdhsa_workgroup_processor_mode 1
		.amdhsa_memory_ordered 1
		.amdhsa_forward_progress 1
		.amdhsa_shared_vgpr_count 0
		.amdhsa_exception_fp_ieee_invalid_op 0
		.amdhsa_exception_fp_denorm_src 0
		.amdhsa_exception_fp_ieee_div_zero 0
		.amdhsa_exception_fp_ieee_overflow 0
		.amdhsa_exception_fp_ieee_underflow 0
		.amdhsa_exception_fp_ieee_inexact 0
		.amdhsa_exception_int_div_zero 0
	.end_amdhsa_kernel
	.section	.text._ZN7rocprim17ROCPRIM_400000_NS6detail17trampoline_kernelINS0_14default_configENS1_36segmented_radix_sort_config_selectorIalEEZNS1_25segmented_radix_sort_implIS3_Lb0EPKaPaPKlPlN2at6native12_GLOBAL__N_18offset_tEEE10hipError_tPvRmT1_PNSt15iterator_traitsISK_E10value_typeET2_T3_PNSL_ISQ_E10value_typeET4_jRbjT5_SW_jjP12ihipStream_tbEUlT_E2_NS1_11comp_targetILNS1_3genE0ELNS1_11target_archE4294967295ELNS1_3gpuE0ELNS1_3repE0EEENS1_30default_config_static_selectorELNS0_4arch9wavefront6targetE0EEEvSK_,"axG",@progbits,_ZN7rocprim17ROCPRIM_400000_NS6detail17trampoline_kernelINS0_14default_configENS1_36segmented_radix_sort_config_selectorIalEEZNS1_25segmented_radix_sort_implIS3_Lb0EPKaPaPKlPlN2at6native12_GLOBAL__N_18offset_tEEE10hipError_tPvRmT1_PNSt15iterator_traitsISK_E10value_typeET2_T3_PNSL_ISQ_E10value_typeET4_jRbjT5_SW_jjP12ihipStream_tbEUlT_E2_NS1_11comp_targetILNS1_3genE0ELNS1_11target_archE4294967295ELNS1_3gpuE0ELNS1_3repE0EEENS1_30default_config_static_selectorELNS0_4arch9wavefront6targetE0EEEvSK_,comdat
.Lfunc_end419:
	.size	_ZN7rocprim17ROCPRIM_400000_NS6detail17trampoline_kernelINS0_14default_configENS1_36segmented_radix_sort_config_selectorIalEEZNS1_25segmented_radix_sort_implIS3_Lb0EPKaPaPKlPlN2at6native12_GLOBAL__N_18offset_tEEE10hipError_tPvRmT1_PNSt15iterator_traitsISK_E10value_typeET2_T3_PNSL_ISQ_E10value_typeET4_jRbjT5_SW_jjP12ihipStream_tbEUlT_E2_NS1_11comp_targetILNS1_3genE0ELNS1_11target_archE4294967295ELNS1_3gpuE0ELNS1_3repE0EEENS1_30default_config_static_selectorELNS0_4arch9wavefront6targetE0EEEvSK_, .Lfunc_end419-_ZN7rocprim17ROCPRIM_400000_NS6detail17trampoline_kernelINS0_14default_configENS1_36segmented_radix_sort_config_selectorIalEEZNS1_25segmented_radix_sort_implIS3_Lb0EPKaPaPKlPlN2at6native12_GLOBAL__N_18offset_tEEE10hipError_tPvRmT1_PNSt15iterator_traitsISK_E10value_typeET2_T3_PNSL_ISQ_E10value_typeET4_jRbjT5_SW_jjP12ihipStream_tbEUlT_E2_NS1_11comp_targetILNS1_3genE0ELNS1_11target_archE4294967295ELNS1_3gpuE0ELNS1_3repE0EEENS1_30default_config_static_selectorELNS0_4arch9wavefront6targetE0EEEvSK_
                                        ; -- End function
	.set _ZN7rocprim17ROCPRIM_400000_NS6detail17trampoline_kernelINS0_14default_configENS1_36segmented_radix_sort_config_selectorIalEEZNS1_25segmented_radix_sort_implIS3_Lb0EPKaPaPKlPlN2at6native12_GLOBAL__N_18offset_tEEE10hipError_tPvRmT1_PNSt15iterator_traitsISK_E10value_typeET2_T3_PNSL_ISQ_E10value_typeET4_jRbjT5_SW_jjP12ihipStream_tbEUlT_E2_NS1_11comp_targetILNS1_3genE0ELNS1_11target_archE4294967295ELNS1_3gpuE0ELNS1_3repE0EEENS1_30default_config_static_selectorELNS0_4arch9wavefront6targetE0EEEvSK_.num_vgpr, 0
	.set _ZN7rocprim17ROCPRIM_400000_NS6detail17trampoline_kernelINS0_14default_configENS1_36segmented_radix_sort_config_selectorIalEEZNS1_25segmented_radix_sort_implIS3_Lb0EPKaPaPKlPlN2at6native12_GLOBAL__N_18offset_tEEE10hipError_tPvRmT1_PNSt15iterator_traitsISK_E10value_typeET2_T3_PNSL_ISQ_E10value_typeET4_jRbjT5_SW_jjP12ihipStream_tbEUlT_E2_NS1_11comp_targetILNS1_3genE0ELNS1_11target_archE4294967295ELNS1_3gpuE0ELNS1_3repE0EEENS1_30default_config_static_selectorELNS0_4arch9wavefront6targetE0EEEvSK_.num_agpr, 0
	.set _ZN7rocprim17ROCPRIM_400000_NS6detail17trampoline_kernelINS0_14default_configENS1_36segmented_radix_sort_config_selectorIalEEZNS1_25segmented_radix_sort_implIS3_Lb0EPKaPaPKlPlN2at6native12_GLOBAL__N_18offset_tEEE10hipError_tPvRmT1_PNSt15iterator_traitsISK_E10value_typeET2_T3_PNSL_ISQ_E10value_typeET4_jRbjT5_SW_jjP12ihipStream_tbEUlT_E2_NS1_11comp_targetILNS1_3genE0ELNS1_11target_archE4294967295ELNS1_3gpuE0ELNS1_3repE0EEENS1_30default_config_static_selectorELNS0_4arch9wavefront6targetE0EEEvSK_.numbered_sgpr, 0
	.set _ZN7rocprim17ROCPRIM_400000_NS6detail17trampoline_kernelINS0_14default_configENS1_36segmented_radix_sort_config_selectorIalEEZNS1_25segmented_radix_sort_implIS3_Lb0EPKaPaPKlPlN2at6native12_GLOBAL__N_18offset_tEEE10hipError_tPvRmT1_PNSt15iterator_traitsISK_E10value_typeET2_T3_PNSL_ISQ_E10value_typeET4_jRbjT5_SW_jjP12ihipStream_tbEUlT_E2_NS1_11comp_targetILNS1_3genE0ELNS1_11target_archE4294967295ELNS1_3gpuE0ELNS1_3repE0EEENS1_30default_config_static_selectorELNS0_4arch9wavefront6targetE0EEEvSK_.num_named_barrier, 0
	.set _ZN7rocprim17ROCPRIM_400000_NS6detail17trampoline_kernelINS0_14default_configENS1_36segmented_radix_sort_config_selectorIalEEZNS1_25segmented_radix_sort_implIS3_Lb0EPKaPaPKlPlN2at6native12_GLOBAL__N_18offset_tEEE10hipError_tPvRmT1_PNSt15iterator_traitsISK_E10value_typeET2_T3_PNSL_ISQ_E10value_typeET4_jRbjT5_SW_jjP12ihipStream_tbEUlT_E2_NS1_11comp_targetILNS1_3genE0ELNS1_11target_archE4294967295ELNS1_3gpuE0ELNS1_3repE0EEENS1_30default_config_static_selectorELNS0_4arch9wavefront6targetE0EEEvSK_.private_seg_size, 0
	.set _ZN7rocprim17ROCPRIM_400000_NS6detail17trampoline_kernelINS0_14default_configENS1_36segmented_radix_sort_config_selectorIalEEZNS1_25segmented_radix_sort_implIS3_Lb0EPKaPaPKlPlN2at6native12_GLOBAL__N_18offset_tEEE10hipError_tPvRmT1_PNSt15iterator_traitsISK_E10value_typeET2_T3_PNSL_ISQ_E10value_typeET4_jRbjT5_SW_jjP12ihipStream_tbEUlT_E2_NS1_11comp_targetILNS1_3genE0ELNS1_11target_archE4294967295ELNS1_3gpuE0ELNS1_3repE0EEENS1_30default_config_static_selectorELNS0_4arch9wavefront6targetE0EEEvSK_.uses_vcc, 0
	.set _ZN7rocprim17ROCPRIM_400000_NS6detail17trampoline_kernelINS0_14default_configENS1_36segmented_radix_sort_config_selectorIalEEZNS1_25segmented_radix_sort_implIS3_Lb0EPKaPaPKlPlN2at6native12_GLOBAL__N_18offset_tEEE10hipError_tPvRmT1_PNSt15iterator_traitsISK_E10value_typeET2_T3_PNSL_ISQ_E10value_typeET4_jRbjT5_SW_jjP12ihipStream_tbEUlT_E2_NS1_11comp_targetILNS1_3genE0ELNS1_11target_archE4294967295ELNS1_3gpuE0ELNS1_3repE0EEENS1_30default_config_static_selectorELNS0_4arch9wavefront6targetE0EEEvSK_.uses_flat_scratch, 0
	.set _ZN7rocprim17ROCPRIM_400000_NS6detail17trampoline_kernelINS0_14default_configENS1_36segmented_radix_sort_config_selectorIalEEZNS1_25segmented_radix_sort_implIS3_Lb0EPKaPaPKlPlN2at6native12_GLOBAL__N_18offset_tEEE10hipError_tPvRmT1_PNSt15iterator_traitsISK_E10value_typeET2_T3_PNSL_ISQ_E10value_typeET4_jRbjT5_SW_jjP12ihipStream_tbEUlT_E2_NS1_11comp_targetILNS1_3genE0ELNS1_11target_archE4294967295ELNS1_3gpuE0ELNS1_3repE0EEENS1_30default_config_static_selectorELNS0_4arch9wavefront6targetE0EEEvSK_.has_dyn_sized_stack, 0
	.set _ZN7rocprim17ROCPRIM_400000_NS6detail17trampoline_kernelINS0_14default_configENS1_36segmented_radix_sort_config_selectorIalEEZNS1_25segmented_radix_sort_implIS3_Lb0EPKaPaPKlPlN2at6native12_GLOBAL__N_18offset_tEEE10hipError_tPvRmT1_PNSt15iterator_traitsISK_E10value_typeET2_T3_PNSL_ISQ_E10value_typeET4_jRbjT5_SW_jjP12ihipStream_tbEUlT_E2_NS1_11comp_targetILNS1_3genE0ELNS1_11target_archE4294967295ELNS1_3gpuE0ELNS1_3repE0EEENS1_30default_config_static_selectorELNS0_4arch9wavefront6targetE0EEEvSK_.has_recursion, 0
	.set _ZN7rocprim17ROCPRIM_400000_NS6detail17trampoline_kernelINS0_14default_configENS1_36segmented_radix_sort_config_selectorIalEEZNS1_25segmented_radix_sort_implIS3_Lb0EPKaPaPKlPlN2at6native12_GLOBAL__N_18offset_tEEE10hipError_tPvRmT1_PNSt15iterator_traitsISK_E10value_typeET2_T3_PNSL_ISQ_E10value_typeET4_jRbjT5_SW_jjP12ihipStream_tbEUlT_E2_NS1_11comp_targetILNS1_3genE0ELNS1_11target_archE4294967295ELNS1_3gpuE0ELNS1_3repE0EEENS1_30default_config_static_selectorELNS0_4arch9wavefront6targetE0EEEvSK_.has_indirect_call, 0
	.section	.AMDGPU.csdata,"",@progbits
; Kernel info:
; codeLenInByte = 0
; TotalNumSgprs: 0
; NumVgprs: 0
; ScratchSize: 0
; MemoryBound: 0
; FloatMode: 240
; IeeeMode: 1
; LDSByteSize: 0 bytes/workgroup (compile time only)
; SGPRBlocks: 0
; VGPRBlocks: 0
; NumSGPRsForWavesPerEU: 1
; NumVGPRsForWavesPerEU: 1
; Occupancy: 16
; WaveLimiterHint : 0
; COMPUTE_PGM_RSRC2:SCRATCH_EN: 0
; COMPUTE_PGM_RSRC2:USER_SGPR: 6
; COMPUTE_PGM_RSRC2:TRAP_HANDLER: 0
; COMPUTE_PGM_RSRC2:TGID_X_EN: 1
; COMPUTE_PGM_RSRC2:TGID_Y_EN: 0
; COMPUTE_PGM_RSRC2:TGID_Z_EN: 0
; COMPUTE_PGM_RSRC2:TIDIG_COMP_CNT: 0
	.section	.text._ZN7rocprim17ROCPRIM_400000_NS6detail17trampoline_kernelINS0_14default_configENS1_36segmented_radix_sort_config_selectorIalEEZNS1_25segmented_radix_sort_implIS3_Lb0EPKaPaPKlPlN2at6native12_GLOBAL__N_18offset_tEEE10hipError_tPvRmT1_PNSt15iterator_traitsISK_E10value_typeET2_T3_PNSL_ISQ_E10value_typeET4_jRbjT5_SW_jjP12ihipStream_tbEUlT_E2_NS1_11comp_targetILNS1_3genE5ELNS1_11target_archE942ELNS1_3gpuE9ELNS1_3repE0EEENS1_30default_config_static_selectorELNS0_4arch9wavefront6targetE0EEEvSK_,"axG",@progbits,_ZN7rocprim17ROCPRIM_400000_NS6detail17trampoline_kernelINS0_14default_configENS1_36segmented_radix_sort_config_selectorIalEEZNS1_25segmented_radix_sort_implIS3_Lb0EPKaPaPKlPlN2at6native12_GLOBAL__N_18offset_tEEE10hipError_tPvRmT1_PNSt15iterator_traitsISK_E10value_typeET2_T3_PNSL_ISQ_E10value_typeET4_jRbjT5_SW_jjP12ihipStream_tbEUlT_E2_NS1_11comp_targetILNS1_3genE5ELNS1_11target_archE942ELNS1_3gpuE9ELNS1_3repE0EEENS1_30default_config_static_selectorELNS0_4arch9wavefront6targetE0EEEvSK_,comdat
	.globl	_ZN7rocprim17ROCPRIM_400000_NS6detail17trampoline_kernelINS0_14default_configENS1_36segmented_radix_sort_config_selectorIalEEZNS1_25segmented_radix_sort_implIS3_Lb0EPKaPaPKlPlN2at6native12_GLOBAL__N_18offset_tEEE10hipError_tPvRmT1_PNSt15iterator_traitsISK_E10value_typeET2_T3_PNSL_ISQ_E10value_typeET4_jRbjT5_SW_jjP12ihipStream_tbEUlT_E2_NS1_11comp_targetILNS1_3genE5ELNS1_11target_archE942ELNS1_3gpuE9ELNS1_3repE0EEENS1_30default_config_static_selectorELNS0_4arch9wavefront6targetE0EEEvSK_ ; -- Begin function _ZN7rocprim17ROCPRIM_400000_NS6detail17trampoline_kernelINS0_14default_configENS1_36segmented_radix_sort_config_selectorIalEEZNS1_25segmented_radix_sort_implIS3_Lb0EPKaPaPKlPlN2at6native12_GLOBAL__N_18offset_tEEE10hipError_tPvRmT1_PNSt15iterator_traitsISK_E10value_typeET2_T3_PNSL_ISQ_E10value_typeET4_jRbjT5_SW_jjP12ihipStream_tbEUlT_E2_NS1_11comp_targetILNS1_3genE5ELNS1_11target_archE942ELNS1_3gpuE9ELNS1_3repE0EEENS1_30default_config_static_selectorELNS0_4arch9wavefront6targetE0EEEvSK_
	.p2align	8
	.type	_ZN7rocprim17ROCPRIM_400000_NS6detail17trampoline_kernelINS0_14default_configENS1_36segmented_radix_sort_config_selectorIalEEZNS1_25segmented_radix_sort_implIS3_Lb0EPKaPaPKlPlN2at6native12_GLOBAL__N_18offset_tEEE10hipError_tPvRmT1_PNSt15iterator_traitsISK_E10value_typeET2_T3_PNSL_ISQ_E10value_typeET4_jRbjT5_SW_jjP12ihipStream_tbEUlT_E2_NS1_11comp_targetILNS1_3genE5ELNS1_11target_archE942ELNS1_3gpuE9ELNS1_3repE0EEENS1_30default_config_static_selectorELNS0_4arch9wavefront6targetE0EEEvSK_,@function
_ZN7rocprim17ROCPRIM_400000_NS6detail17trampoline_kernelINS0_14default_configENS1_36segmented_radix_sort_config_selectorIalEEZNS1_25segmented_radix_sort_implIS3_Lb0EPKaPaPKlPlN2at6native12_GLOBAL__N_18offset_tEEE10hipError_tPvRmT1_PNSt15iterator_traitsISK_E10value_typeET2_T3_PNSL_ISQ_E10value_typeET4_jRbjT5_SW_jjP12ihipStream_tbEUlT_E2_NS1_11comp_targetILNS1_3genE5ELNS1_11target_archE942ELNS1_3gpuE9ELNS1_3repE0EEENS1_30default_config_static_selectorELNS0_4arch9wavefront6targetE0EEEvSK_: ; @_ZN7rocprim17ROCPRIM_400000_NS6detail17trampoline_kernelINS0_14default_configENS1_36segmented_radix_sort_config_selectorIalEEZNS1_25segmented_radix_sort_implIS3_Lb0EPKaPaPKlPlN2at6native12_GLOBAL__N_18offset_tEEE10hipError_tPvRmT1_PNSt15iterator_traitsISK_E10value_typeET2_T3_PNSL_ISQ_E10value_typeET4_jRbjT5_SW_jjP12ihipStream_tbEUlT_E2_NS1_11comp_targetILNS1_3genE5ELNS1_11target_archE942ELNS1_3gpuE9ELNS1_3repE0EEENS1_30default_config_static_selectorELNS0_4arch9wavefront6targetE0EEEvSK_
; %bb.0:
	.section	.rodata,"a",@progbits
	.p2align	6, 0x0
	.amdhsa_kernel _ZN7rocprim17ROCPRIM_400000_NS6detail17trampoline_kernelINS0_14default_configENS1_36segmented_radix_sort_config_selectorIalEEZNS1_25segmented_radix_sort_implIS3_Lb0EPKaPaPKlPlN2at6native12_GLOBAL__N_18offset_tEEE10hipError_tPvRmT1_PNSt15iterator_traitsISK_E10value_typeET2_T3_PNSL_ISQ_E10value_typeET4_jRbjT5_SW_jjP12ihipStream_tbEUlT_E2_NS1_11comp_targetILNS1_3genE5ELNS1_11target_archE942ELNS1_3gpuE9ELNS1_3repE0EEENS1_30default_config_static_selectorELNS0_4arch9wavefront6targetE0EEEvSK_
		.amdhsa_group_segment_fixed_size 0
		.amdhsa_private_segment_fixed_size 0
		.amdhsa_kernarg_size 80
		.amdhsa_user_sgpr_count 6
		.amdhsa_user_sgpr_private_segment_buffer 1
		.amdhsa_user_sgpr_dispatch_ptr 0
		.amdhsa_user_sgpr_queue_ptr 0
		.amdhsa_user_sgpr_kernarg_segment_ptr 1
		.amdhsa_user_sgpr_dispatch_id 0
		.amdhsa_user_sgpr_flat_scratch_init 0
		.amdhsa_user_sgpr_private_segment_size 0
		.amdhsa_wavefront_size32 1
		.amdhsa_uses_dynamic_stack 0
		.amdhsa_system_sgpr_private_segment_wavefront_offset 0
		.amdhsa_system_sgpr_workgroup_id_x 1
		.amdhsa_system_sgpr_workgroup_id_y 0
		.amdhsa_system_sgpr_workgroup_id_z 0
		.amdhsa_system_sgpr_workgroup_info 0
		.amdhsa_system_vgpr_workitem_id 0
		.amdhsa_next_free_vgpr 1
		.amdhsa_next_free_sgpr 1
		.amdhsa_reserve_vcc 0
		.amdhsa_reserve_flat_scratch 0
		.amdhsa_float_round_mode_32 0
		.amdhsa_float_round_mode_16_64 0
		.amdhsa_float_denorm_mode_32 3
		.amdhsa_float_denorm_mode_16_64 3
		.amdhsa_dx10_clamp 1
		.amdhsa_ieee_mode 1
		.amdhsa_fp16_overflow 0
		.amdhsa_workgroup_processor_mode 1
		.amdhsa_memory_ordered 1
		.amdhsa_forward_progress 1
		.amdhsa_shared_vgpr_count 0
		.amdhsa_exception_fp_ieee_invalid_op 0
		.amdhsa_exception_fp_denorm_src 0
		.amdhsa_exception_fp_ieee_div_zero 0
		.amdhsa_exception_fp_ieee_overflow 0
		.amdhsa_exception_fp_ieee_underflow 0
		.amdhsa_exception_fp_ieee_inexact 0
		.amdhsa_exception_int_div_zero 0
	.end_amdhsa_kernel
	.section	.text._ZN7rocprim17ROCPRIM_400000_NS6detail17trampoline_kernelINS0_14default_configENS1_36segmented_radix_sort_config_selectorIalEEZNS1_25segmented_radix_sort_implIS3_Lb0EPKaPaPKlPlN2at6native12_GLOBAL__N_18offset_tEEE10hipError_tPvRmT1_PNSt15iterator_traitsISK_E10value_typeET2_T3_PNSL_ISQ_E10value_typeET4_jRbjT5_SW_jjP12ihipStream_tbEUlT_E2_NS1_11comp_targetILNS1_3genE5ELNS1_11target_archE942ELNS1_3gpuE9ELNS1_3repE0EEENS1_30default_config_static_selectorELNS0_4arch9wavefront6targetE0EEEvSK_,"axG",@progbits,_ZN7rocprim17ROCPRIM_400000_NS6detail17trampoline_kernelINS0_14default_configENS1_36segmented_radix_sort_config_selectorIalEEZNS1_25segmented_radix_sort_implIS3_Lb0EPKaPaPKlPlN2at6native12_GLOBAL__N_18offset_tEEE10hipError_tPvRmT1_PNSt15iterator_traitsISK_E10value_typeET2_T3_PNSL_ISQ_E10value_typeET4_jRbjT5_SW_jjP12ihipStream_tbEUlT_E2_NS1_11comp_targetILNS1_3genE5ELNS1_11target_archE942ELNS1_3gpuE9ELNS1_3repE0EEENS1_30default_config_static_selectorELNS0_4arch9wavefront6targetE0EEEvSK_,comdat
.Lfunc_end420:
	.size	_ZN7rocprim17ROCPRIM_400000_NS6detail17trampoline_kernelINS0_14default_configENS1_36segmented_radix_sort_config_selectorIalEEZNS1_25segmented_radix_sort_implIS3_Lb0EPKaPaPKlPlN2at6native12_GLOBAL__N_18offset_tEEE10hipError_tPvRmT1_PNSt15iterator_traitsISK_E10value_typeET2_T3_PNSL_ISQ_E10value_typeET4_jRbjT5_SW_jjP12ihipStream_tbEUlT_E2_NS1_11comp_targetILNS1_3genE5ELNS1_11target_archE942ELNS1_3gpuE9ELNS1_3repE0EEENS1_30default_config_static_selectorELNS0_4arch9wavefront6targetE0EEEvSK_, .Lfunc_end420-_ZN7rocprim17ROCPRIM_400000_NS6detail17trampoline_kernelINS0_14default_configENS1_36segmented_radix_sort_config_selectorIalEEZNS1_25segmented_radix_sort_implIS3_Lb0EPKaPaPKlPlN2at6native12_GLOBAL__N_18offset_tEEE10hipError_tPvRmT1_PNSt15iterator_traitsISK_E10value_typeET2_T3_PNSL_ISQ_E10value_typeET4_jRbjT5_SW_jjP12ihipStream_tbEUlT_E2_NS1_11comp_targetILNS1_3genE5ELNS1_11target_archE942ELNS1_3gpuE9ELNS1_3repE0EEENS1_30default_config_static_selectorELNS0_4arch9wavefront6targetE0EEEvSK_
                                        ; -- End function
	.set _ZN7rocprim17ROCPRIM_400000_NS6detail17trampoline_kernelINS0_14default_configENS1_36segmented_radix_sort_config_selectorIalEEZNS1_25segmented_radix_sort_implIS3_Lb0EPKaPaPKlPlN2at6native12_GLOBAL__N_18offset_tEEE10hipError_tPvRmT1_PNSt15iterator_traitsISK_E10value_typeET2_T3_PNSL_ISQ_E10value_typeET4_jRbjT5_SW_jjP12ihipStream_tbEUlT_E2_NS1_11comp_targetILNS1_3genE5ELNS1_11target_archE942ELNS1_3gpuE9ELNS1_3repE0EEENS1_30default_config_static_selectorELNS0_4arch9wavefront6targetE0EEEvSK_.num_vgpr, 0
	.set _ZN7rocprim17ROCPRIM_400000_NS6detail17trampoline_kernelINS0_14default_configENS1_36segmented_radix_sort_config_selectorIalEEZNS1_25segmented_radix_sort_implIS3_Lb0EPKaPaPKlPlN2at6native12_GLOBAL__N_18offset_tEEE10hipError_tPvRmT1_PNSt15iterator_traitsISK_E10value_typeET2_T3_PNSL_ISQ_E10value_typeET4_jRbjT5_SW_jjP12ihipStream_tbEUlT_E2_NS1_11comp_targetILNS1_3genE5ELNS1_11target_archE942ELNS1_3gpuE9ELNS1_3repE0EEENS1_30default_config_static_selectorELNS0_4arch9wavefront6targetE0EEEvSK_.num_agpr, 0
	.set _ZN7rocprim17ROCPRIM_400000_NS6detail17trampoline_kernelINS0_14default_configENS1_36segmented_radix_sort_config_selectorIalEEZNS1_25segmented_radix_sort_implIS3_Lb0EPKaPaPKlPlN2at6native12_GLOBAL__N_18offset_tEEE10hipError_tPvRmT1_PNSt15iterator_traitsISK_E10value_typeET2_T3_PNSL_ISQ_E10value_typeET4_jRbjT5_SW_jjP12ihipStream_tbEUlT_E2_NS1_11comp_targetILNS1_3genE5ELNS1_11target_archE942ELNS1_3gpuE9ELNS1_3repE0EEENS1_30default_config_static_selectorELNS0_4arch9wavefront6targetE0EEEvSK_.numbered_sgpr, 0
	.set _ZN7rocprim17ROCPRIM_400000_NS6detail17trampoline_kernelINS0_14default_configENS1_36segmented_radix_sort_config_selectorIalEEZNS1_25segmented_radix_sort_implIS3_Lb0EPKaPaPKlPlN2at6native12_GLOBAL__N_18offset_tEEE10hipError_tPvRmT1_PNSt15iterator_traitsISK_E10value_typeET2_T3_PNSL_ISQ_E10value_typeET4_jRbjT5_SW_jjP12ihipStream_tbEUlT_E2_NS1_11comp_targetILNS1_3genE5ELNS1_11target_archE942ELNS1_3gpuE9ELNS1_3repE0EEENS1_30default_config_static_selectorELNS0_4arch9wavefront6targetE0EEEvSK_.num_named_barrier, 0
	.set _ZN7rocprim17ROCPRIM_400000_NS6detail17trampoline_kernelINS0_14default_configENS1_36segmented_radix_sort_config_selectorIalEEZNS1_25segmented_radix_sort_implIS3_Lb0EPKaPaPKlPlN2at6native12_GLOBAL__N_18offset_tEEE10hipError_tPvRmT1_PNSt15iterator_traitsISK_E10value_typeET2_T3_PNSL_ISQ_E10value_typeET4_jRbjT5_SW_jjP12ihipStream_tbEUlT_E2_NS1_11comp_targetILNS1_3genE5ELNS1_11target_archE942ELNS1_3gpuE9ELNS1_3repE0EEENS1_30default_config_static_selectorELNS0_4arch9wavefront6targetE0EEEvSK_.private_seg_size, 0
	.set _ZN7rocprim17ROCPRIM_400000_NS6detail17trampoline_kernelINS0_14default_configENS1_36segmented_radix_sort_config_selectorIalEEZNS1_25segmented_radix_sort_implIS3_Lb0EPKaPaPKlPlN2at6native12_GLOBAL__N_18offset_tEEE10hipError_tPvRmT1_PNSt15iterator_traitsISK_E10value_typeET2_T3_PNSL_ISQ_E10value_typeET4_jRbjT5_SW_jjP12ihipStream_tbEUlT_E2_NS1_11comp_targetILNS1_3genE5ELNS1_11target_archE942ELNS1_3gpuE9ELNS1_3repE0EEENS1_30default_config_static_selectorELNS0_4arch9wavefront6targetE0EEEvSK_.uses_vcc, 0
	.set _ZN7rocprim17ROCPRIM_400000_NS6detail17trampoline_kernelINS0_14default_configENS1_36segmented_radix_sort_config_selectorIalEEZNS1_25segmented_radix_sort_implIS3_Lb0EPKaPaPKlPlN2at6native12_GLOBAL__N_18offset_tEEE10hipError_tPvRmT1_PNSt15iterator_traitsISK_E10value_typeET2_T3_PNSL_ISQ_E10value_typeET4_jRbjT5_SW_jjP12ihipStream_tbEUlT_E2_NS1_11comp_targetILNS1_3genE5ELNS1_11target_archE942ELNS1_3gpuE9ELNS1_3repE0EEENS1_30default_config_static_selectorELNS0_4arch9wavefront6targetE0EEEvSK_.uses_flat_scratch, 0
	.set _ZN7rocprim17ROCPRIM_400000_NS6detail17trampoline_kernelINS0_14default_configENS1_36segmented_radix_sort_config_selectorIalEEZNS1_25segmented_radix_sort_implIS3_Lb0EPKaPaPKlPlN2at6native12_GLOBAL__N_18offset_tEEE10hipError_tPvRmT1_PNSt15iterator_traitsISK_E10value_typeET2_T3_PNSL_ISQ_E10value_typeET4_jRbjT5_SW_jjP12ihipStream_tbEUlT_E2_NS1_11comp_targetILNS1_3genE5ELNS1_11target_archE942ELNS1_3gpuE9ELNS1_3repE0EEENS1_30default_config_static_selectorELNS0_4arch9wavefront6targetE0EEEvSK_.has_dyn_sized_stack, 0
	.set _ZN7rocprim17ROCPRIM_400000_NS6detail17trampoline_kernelINS0_14default_configENS1_36segmented_radix_sort_config_selectorIalEEZNS1_25segmented_radix_sort_implIS3_Lb0EPKaPaPKlPlN2at6native12_GLOBAL__N_18offset_tEEE10hipError_tPvRmT1_PNSt15iterator_traitsISK_E10value_typeET2_T3_PNSL_ISQ_E10value_typeET4_jRbjT5_SW_jjP12ihipStream_tbEUlT_E2_NS1_11comp_targetILNS1_3genE5ELNS1_11target_archE942ELNS1_3gpuE9ELNS1_3repE0EEENS1_30default_config_static_selectorELNS0_4arch9wavefront6targetE0EEEvSK_.has_recursion, 0
	.set _ZN7rocprim17ROCPRIM_400000_NS6detail17trampoline_kernelINS0_14default_configENS1_36segmented_radix_sort_config_selectorIalEEZNS1_25segmented_radix_sort_implIS3_Lb0EPKaPaPKlPlN2at6native12_GLOBAL__N_18offset_tEEE10hipError_tPvRmT1_PNSt15iterator_traitsISK_E10value_typeET2_T3_PNSL_ISQ_E10value_typeET4_jRbjT5_SW_jjP12ihipStream_tbEUlT_E2_NS1_11comp_targetILNS1_3genE5ELNS1_11target_archE942ELNS1_3gpuE9ELNS1_3repE0EEENS1_30default_config_static_selectorELNS0_4arch9wavefront6targetE0EEEvSK_.has_indirect_call, 0
	.section	.AMDGPU.csdata,"",@progbits
; Kernel info:
; codeLenInByte = 0
; TotalNumSgprs: 0
; NumVgprs: 0
; ScratchSize: 0
; MemoryBound: 0
; FloatMode: 240
; IeeeMode: 1
; LDSByteSize: 0 bytes/workgroup (compile time only)
; SGPRBlocks: 0
; VGPRBlocks: 0
; NumSGPRsForWavesPerEU: 1
; NumVGPRsForWavesPerEU: 1
; Occupancy: 16
; WaveLimiterHint : 0
; COMPUTE_PGM_RSRC2:SCRATCH_EN: 0
; COMPUTE_PGM_RSRC2:USER_SGPR: 6
; COMPUTE_PGM_RSRC2:TRAP_HANDLER: 0
; COMPUTE_PGM_RSRC2:TGID_X_EN: 1
; COMPUTE_PGM_RSRC2:TGID_Y_EN: 0
; COMPUTE_PGM_RSRC2:TGID_Z_EN: 0
; COMPUTE_PGM_RSRC2:TIDIG_COMP_CNT: 0
	.section	.text._ZN7rocprim17ROCPRIM_400000_NS6detail17trampoline_kernelINS0_14default_configENS1_36segmented_radix_sort_config_selectorIalEEZNS1_25segmented_radix_sort_implIS3_Lb0EPKaPaPKlPlN2at6native12_GLOBAL__N_18offset_tEEE10hipError_tPvRmT1_PNSt15iterator_traitsISK_E10value_typeET2_T3_PNSL_ISQ_E10value_typeET4_jRbjT5_SW_jjP12ihipStream_tbEUlT_E2_NS1_11comp_targetILNS1_3genE4ELNS1_11target_archE910ELNS1_3gpuE8ELNS1_3repE0EEENS1_30default_config_static_selectorELNS0_4arch9wavefront6targetE0EEEvSK_,"axG",@progbits,_ZN7rocprim17ROCPRIM_400000_NS6detail17trampoline_kernelINS0_14default_configENS1_36segmented_radix_sort_config_selectorIalEEZNS1_25segmented_radix_sort_implIS3_Lb0EPKaPaPKlPlN2at6native12_GLOBAL__N_18offset_tEEE10hipError_tPvRmT1_PNSt15iterator_traitsISK_E10value_typeET2_T3_PNSL_ISQ_E10value_typeET4_jRbjT5_SW_jjP12ihipStream_tbEUlT_E2_NS1_11comp_targetILNS1_3genE4ELNS1_11target_archE910ELNS1_3gpuE8ELNS1_3repE0EEENS1_30default_config_static_selectorELNS0_4arch9wavefront6targetE0EEEvSK_,comdat
	.globl	_ZN7rocprim17ROCPRIM_400000_NS6detail17trampoline_kernelINS0_14default_configENS1_36segmented_radix_sort_config_selectorIalEEZNS1_25segmented_radix_sort_implIS3_Lb0EPKaPaPKlPlN2at6native12_GLOBAL__N_18offset_tEEE10hipError_tPvRmT1_PNSt15iterator_traitsISK_E10value_typeET2_T3_PNSL_ISQ_E10value_typeET4_jRbjT5_SW_jjP12ihipStream_tbEUlT_E2_NS1_11comp_targetILNS1_3genE4ELNS1_11target_archE910ELNS1_3gpuE8ELNS1_3repE0EEENS1_30default_config_static_selectorELNS0_4arch9wavefront6targetE0EEEvSK_ ; -- Begin function _ZN7rocprim17ROCPRIM_400000_NS6detail17trampoline_kernelINS0_14default_configENS1_36segmented_radix_sort_config_selectorIalEEZNS1_25segmented_radix_sort_implIS3_Lb0EPKaPaPKlPlN2at6native12_GLOBAL__N_18offset_tEEE10hipError_tPvRmT1_PNSt15iterator_traitsISK_E10value_typeET2_T3_PNSL_ISQ_E10value_typeET4_jRbjT5_SW_jjP12ihipStream_tbEUlT_E2_NS1_11comp_targetILNS1_3genE4ELNS1_11target_archE910ELNS1_3gpuE8ELNS1_3repE0EEENS1_30default_config_static_selectorELNS0_4arch9wavefront6targetE0EEEvSK_
	.p2align	8
	.type	_ZN7rocprim17ROCPRIM_400000_NS6detail17trampoline_kernelINS0_14default_configENS1_36segmented_radix_sort_config_selectorIalEEZNS1_25segmented_radix_sort_implIS3_Lb0EPKaPaPKlPlN2at6native12_GLOBAL__N_18offset_tEEE10hipError_tPvRmT1_PNSt15iterator_traitsISK_E10value_typeET2_T3_PNSL_ISQ_E10value_typeET4_jRbjT5_SW_jjP12ihipStream_tbEUlT_E2_NS1_11comp_targetILNS1_3genE4ELNS1_11target_archE910ELNS1_3gpuE8ELNS1_3repE0EEENS1_30default_config_static_selectorELNS0_4arch9wavefront6targetE0EEEvSK_,@function
_ZN7rocprim17ROCPRIM_400000_NS6detail17trampoline_kernelINS0_14default_configENS1_36segmented_radix_sort_config_selectorIalEEZNS1_25segmented_radix_sort_implIS3_Lb0EPKaPaPKlPlN2at6native12_GLOBAL__N_18offset_tEEE10hipError_tPvRmT1_PNSt15iterator_traitsISK_E10value_typeET2_T3_PNSL_ISQ_E10value_typeET4_jRbjT5_SW_jjP12ihipStream_tbEUlT_E2_NS1_11comp_targetILNS1_3genE4ELNS1_11target_archE910ELNS1_3gpuE8ELNS1_3repE0EEENS1_30default_config_static_selectorELNS0_4arch9wavefront6targetE0EEEvSK_: ; @_ZN7rocprim17ROCPRIM_400000_NS6detail17trampoline_kernelINS0_14default_configENS1_36segmented_radix_sort_config_selectorIalEEZNS1_25segmented_radix_sort_implIS3_Lb0EPKaPaPKlPlN2at6native12_GLOBAL__N_18offset_tEEE10hipError_tPvRmT1_PNSt15iterator_traitsISK_E10value_typeET2_T3_PNSL_ISQ_E10value_typeET4_jRbjT5_SW_jjP12ihipStream_tbEUlT_E2_NS1_11comp_targetILNS1_3genE4ELNS1_11target_archE910ELNS1_3gpuE8ELNS1_3repE0EEENS1_30default_config_static_selectorELNS0_4arch9wavefront6targetE0EEEvSK_
; %bb.0:
	.section	.rodata,"a",@progbits
	.p2align	6, 0x0
	.amdhsa_kernel _ZN7rocprim17ROCPRIM_400000_NS6detail17trampoline_kernelINS0_14default_configENS1_36segmented_radix_sort_config_selectorIalEEZNS1_25segmented_radix_sort_implIS3_Lb0EPKaPaPKlPlN2at6native12_GLOBAL__N_18offset_tEEE10hipError_tPvRmT1_PNSt15iterator_traitsISK_E10value_typeET2_T3_PNSL_ISQ_E10value_typeET4_jRbjT5_SW_jjP12ihipStream_tbEUlT_E2_NS1_11comp_targetILNS1_3genE4ELNS1_11target_archE910ELNS1_3gpuE8ELNS1_3repE0EEENS1_30default_config_static_selectorELNS0_4arch9wavefront6targetE0EEEvSK_
		.amdhsa_group_segment_fixed_size 0
		.amdhsa_private_segment_fixed_size 0
		.amdhsa_kernarg_size 80
		.amdhsa_user_sgpr_count 6
		.amdhsa_user_sgpr_private_segment_buffer 1
		.amdhsa_user_sgpr_dispatch_ptr 0
		.amdhsa_user_sgpr_queue_ptr 0
		.amdhsa_user_sgpr_kernarg_segment_ptr 1
		.amdhsa_user_sgpr_dispatch_id 0
		.amdhsa_user_sgpr_flat_scratch_init 0
		.amdhsa_user_sgpr_private_segment_size 0
		.amdhsa_wavefront_size32 1
		.amdhsa_uses_dynamic_stack 0
		.amdhsa_system_sgpr_private_segment_wavefront_offset 0
		.amdhsa_system_sgpr_workgroup_id_x 1
		.amdhsa_system_sgpr_workgroup_id_y 0
		.amdhsa_system_sgpr_workgroup_id_z 0
		.amdhsa_system_sgpr_workgroup_info 0
		.amdhsa_system_vgpr_workitem_id 0
		.amdhsa_next_free_vgpr 1
		.amdhsa_next_free_sgpr 1
		.amdhsa_reserve_vcc 0
		.amdhsa_reserve_flat_scratch 0
		.amdhsa_float_round_mode_32 0
		.amdhsa_float_round_mode_16_64 0
		.amdhsa_float_denorm_mode_32 3
		.amdhsa_float_denorm_mode_16_64 3
		.amdhsa_dx10_clamp 1
		.amdhsa_ieee_mode 1
		.amdhsa_fp16_overflow 0
		.amdhsa_workgroup_processor_mode 1
		.amdhsa_memory_ordered 1
		.amdhsa_forward_progress 1
		.amdhsa_shared_vgpr_count 0
		.amdhsa_exception_fp_ieee_invalid_op 0
		.amdhsa_exception_fp_denorm_src 0
		.amdhsa_exception_fp_ieee_div_zero 0
		.amdhsa_exception_fp_ieee_overflow 0
		.amdhsa_exception_fp_ieee_underflow 0
		.amdhsa_exception_fp_ieee_inexact 0
		.amdhsa_exception_int_div_zero 0
	.end_amdhsa_kernel
	.section	.text._ZN7rocprim17ROCPRIM_400000_NS6detail17trampoline_kernelINS0_14default_configENS1_36segmented_radix_sort_config_selectorIalEEZNS1_25segmented_radix_sort_implIS3_Lb0EPKaPaPKlPlN2at6native12_GLOBAL__N_18offset_tEEE10hipError_tPvRmT1_PNSt15iterator_traitsISK_E10value_typeET2_T3_PNSL_ISQ_E10value_typeET4_jRbjT5_SW_jjP12ihipStream_tbEUlT_E2_NS1_11comp_targetILNS1_3genE4ELNS1_11target_archE910ELNS1_3gpuE8ELNS1_3repE0EEENS1_30default_config_static_selectorELNS0_4arch9wavefront6targetE0EEEvSK_,"axG",@progbits,_ZN7rocprim17ROCPRIM_400000_NS6detail17trampoline_kernelINS0_14default_configENS1_36segmented_radix_sort_config_selectorIalEEZNS1_25segmented_radix_sort_implIS3_Lb0EPKaPaPKlPlN2at6native12_GLOBAL__N_18offset_tEEE10hipError_tPvRmT1_PNSt15iterator_traitsISK_E10value_typeET2_T3_PNSL_ISQ_E10value_typeET4_jRbjT5_SW_jjP12ihipStream_tbEUlT_E2_NS1_11comp_targetILNS1_3genE4ELNS1_11target_archE910ELNS1_3gpuE8ELNS1_3repE0EEENS1_30default_config_static_selectorELNS0_4arch9wavefront6targetE0EEEvSK_,comdat
.Lfunc_end421:
	.size	_ZN7rocprim17ROCPRIM_400000_NS6detail17trampoline_kernelINS0_14default_configENS1_36segmented_radix_sort_config_selectorIalEEZNS1_25segmented_radix_sort_implIS3_Lb0EPKaPaPKlPlN2at6native12_GLOBAL__N_18offset_tEEE10hipError_tPvRmT1_PNSt15iterator_traitsISK_E10value_typeET2_T3_PNSL_ISQ_E10value_typeET4_jRbjT5_SW_jjP12ihipStream_tbEUlT_E2_NS1_11comp_targetILNS1_3genE4ELNS1_11target_archE910ELNS1_3gpuE8ELNS1_3repE0EEENS1_30default_config_static_selectorELNS0_4arch9wavefront6targetE0EEEvSK_, .Lfunc_end421-_ZN7rocprim17ROCPRIM_400000_NS6detail17trampoline_kernelINS0_14default_configENS1_36segmented_radix_sort_config_selectorIalEEZNS1_25segmented_radix_sort_implIS3_Lb0EPKaPaPKlPlN2at6native12_GLOBAL__N_18offset_tEEE10hipError_tPvRmT1_PNSt15iterator_traitsISK_E10value_typeET2_T3_PNSL_ISQ_E10value_typeET4_jRbjT5_SW_jjP12ihipStream_tbEUlT_E2_NS1_11comp_targetILNS1_3genE4ELNS1_11target_archE910ELNS1_3gpuE8ELNS1_3repE0EEENS1_30default_config_static_selectorELNS0_4arch9wavefront6targetE0EEEvSK_
                                        ; -- End function
	.set _ZN7rocprim17ROCPRIM_400000_NS6detail17trampoline_kernelINS0_14default_configENS1_36segmented_radix_sort_config_selectorIalEEZNS1_25segmented_radix_sort_implIS3_Lb0EPKaPaPKlPlN2at6native12_GLOBAL__N_18offset_tEEE10hipError_tPvRmT1_PNSt15iterator_traitsISK_E10value_typeET2_T3_PNSL_ISQ_E10value_typeET4_jRbjT5_SW_jjP12ihipStream_tbEUlT_E2_NS1_11comp_targetILNS1_3genE4ELNS1_11target_archE910ELNS1_3gpuE8ELNS1_3repE0EEENS1_30default_config_static_selectorELNS0_4arch9wavefront6targetE0EEEvSK_.num_vgpr, 0
	.set _ZN7rocprim17ROCPRIM_400000_NS6detail17trampoline_kernelINS0_14default_configENS1_36segmented_radix_sort_config_selectorIalEEZNS1_25segmented_radix_sort_implIS3_Lb0EPKaPaPKlPlN2at6native12_GLOBAL__N_18offset_tEEE10hipError_tPvRmT1_PNSt15iterator_traitsISK_E10value_typeET2_T3_PNSL_ISQ_E10value_typeET4_jRbjT5_SW_jjP12ihipStream_tbEUlT_E2_NS1_11comp_targetILNS1_3genE4ELNS1_11target_archE910ELNS1_3gpuE8ELNS1_3repE0EEENS1_30default_config_static_selectorELNS0_4arch9wavefront6targetE0EEEvSK_.num_agpr, 0
	.set _ZN7rocprim17ROCPRIM_400000_NS6detail17trampoline_kernelINS0_14default_configENS1_36segmented_radix_sort_config_selectorIalEEZNS1_25segmented_radix_sort_implIS3_Lb0EPKaPaPKlPlN2at6native12_GLOBAL__N_18offset_tEEE10hipError_tPvRmT1_PNSt15iterator_traitsISK_E10value_typeET2_T3_PNSL_ISQ_E10value_typeET4_jRbjT5_SW_jjP12ihipStream_tbEUlT_E2_NS1_11comp_targetILNS1_3genE4ELNS1_11target_archE910ELNS1_3gpuE8ELNS1_3repE0EEENS1_30default_config_static_selectorELNS0_4arch9wavefront6targetE0EEEvSK_.numbered_sgpr, 0
	.set _ZN7rocprim17ROCPRIM_400000_NS6detail17trampoline_kernelINS0_14default_configENS1_36segmented_radix_sort_config_selectorIalEEZNS1_25segmented_radix_sort_implIS3_Lb0EPKaPaPKlPlN2at6native12_GLOBAL__N_18offset_tEEE10hipError_tPvRmT1_PNSt15iterator_traitsISK_E10value_typeET2_T3_PNSL_ISQ_E10value_typeET4_jRbjT5_SW_jjP12ihipStream_tbEUlT_E2_NS1_11comp_targetILNS1_3genE4ELNS1_11target_archE910ELNS1_3gpuE8ELNS1_3repE0EEENS1_30default_config_static_selectorELNS0_4arch9wavefront6targetE0EEEvSK_.num_named_barrier, 0
	.set _ZN7rocprim17ROCPRIM_400000_NS6detail17trampoline_kernelINS0_14default_configENS1_36segmented_radix_sort_config_selectorIalEEZNS1_25segmented_radix_sort_implIS3_Lb0EPKaPaPKlPlN2at6native12_GLOBAL__N_18offset_tEEE10hipError_tPvRmT1_PNSt15iterator_traitsISK_E10value_typeET2_T3_PNSL_ISQ_E10value_typeET4_jRbjT5_SW_jjP12ihipStream_tbEUlT_E2_NS1_11comp_targetILNS1_3genE4ELNS1_11target_archE910ELNS1_3gpuE8ELNS1_3repE0EEENS1_30default_config_static_selectorELNS0_4arch9wavefront6targetE0EEEvSK_.private_seg_size, 0
	.set _ZN7rocprim17ROCPRIM_400000_NS6detail17trampoline_kernelINS0_14default_configENS1_36segmented_radix_sort_config_selectorIalEEZNS1_25segmented_radix_sort_implIS3_Lb0EPKaPaPKlPlN2at6native12_GLOBAL__N_18offset_tEEE10hipError_tPvRmT1_PNSt15iterator_traitsISK_E10value_typeET2_T3_PNSL_ISQ_E10value_typeET4_jRbjT5_SW_jjP12ihipStream_tbEUlT_E2_NS1_11comp_targetILNS1_3genE4ELNS1_11target_archE910ELNS1_3gpuE8ELNS1_3repE0EEENS1_30default_config_static_selectorELNS0_4arch9wavefront6targetE0EEEvSK_.uses_vcc, 0
	.set _ZN7rocprim17ROCPRIM_400000_NS6detail17trampoline_kernelINS0_14default_configENS1_36segmented_radix_sort_config_selectorIalEEZNS1_25segmented_radix_sort_implIS3_Lb0EPKaPaPKlPlN2at6native12_GLOBAL__N_18offset_tEEE10hipError_tPvRmT1_PNSt15iterator_traitsISK_E10value_typeET2_T3_PNSL_ISQ_E10value_typeET4_jRbjT5_SW_jjP12ihipStream_tbEUlT_E2_NS1_11comp_targetILNS1_3genE4ELNS1_11target_archE910ELNS1_3gpuE8ELNS1_3repE0EEENS1_30default_config_static_selectorELNS0_4arch9wavefront6targetE0EEEvSK_.uses_flat_scratch, 0
	.set _ZN7rocprim17ROCPRIM_400000_NS6detail17trampoline_kernelINS0_14default_configENS1_36segmented_radix_sort_config_selectorIalEEZNS1_25segmented_radix_sort_implIS3_Lb0EPKaPaPKlPlN2at6native12_GLOBAL__N_18offset_tEEE10hipError_tPvRmT1_PNSt15iterator_traitsISK_E10value_typeET2_T3_PNSL_ISQ_E10value_typeET4_jRbjT5_SW_jjP12ihipStream_tbEUlT_E2_NS1_11comp_targetILNS1_3genE4ELNS1_11target_archE910ELNS1_3gpuE8ELNS1_3repE0EEENS1_30default_config_static_selectorELNS0_4arch9wavefront6targetE0EEEvSK_.has_dyn_sized_stack, 0
	.set _ZN7rocprim17ROCPRIM_400000_NS6detail17trampoline_kernelINS0_14default_configENS1_36segmented_radix_sort_config_selectorIalEEZNS1_25segmented_radix_sort_implIS3_Lb0EPKaPaPKlPlN2at6native12_GLOBAL__N_18offset_tEEE10hipError_tPvRmT1_PNSt15iterator_traitsISK_E10value_typeET2_T3_PNSL_ISQ_E10value_typeET4_jRbjT5_SW_jjP12ihipStream_tbEUlT_E2_NS1_11comp_targetILNS1_3genE4ELNS1_11target_archE910ELNS1_3gpuE8ELNS1_3repE0EEENS1_30default_config_static_selectorELNS0_4arch9wavefront6targetE0EEEvSK_.has_recursion, 0
	.set _ZN7rocprim17ROCPRIM_400000_NS6detail17trampoline_kernelINS0_14default_configENS1_36segmented_radix_sort_config_selectorIalEEZNS1_25segmented_radix_sort_implIS3_Lb0EPKaPaPKlPlN2at6native12_GLOBAL__N_18offset_tEEE10hipError_tPvRmT1_PNSt15iterator_traitsISK_E10value_typeET2_T3_PNSL_ISQ_E10value_typeET4_jRbjT5_SW_jjP12ihipStream_tbEUlT_E2_NS1_11comp_targetILNS1_3genE4ELNS1_11target_archE910ELNS1_3gpuE8ELNS1_3repE0EEENS1_30default_config_static_selectorELNS0_4arch9wavefront6targetE0EEEvSK_.has_indirect_call, 0
	.section	.AMDGPU.csdata,"",@progbits
; Kernel info:
; codeLenInByte = 0
; TotalNumSgprs: 0
; NumVgprs: 0
; ScratchSize: 0
; MemoryBound: 0
; FloatMode: 240
; IeeeMode: 1
; LDSByteSize: 0 bytes/workgroup (compile time only)
; SGPRBlocks: 0
; VGPRBlocks: 0
; NumSGPRsForWavesPerEU: 1
; NumVGPRsForWavesPerEU: 1
; Occupancy: 16
; WaveLimiterHint : 0
; COMPUTE_PGM_RSRC2:SCRATCH_EN: 0
; COMPUTE_PGM_RSRC2:USER_SGPR: 6
; COMPUTE_PGM_RSRC2:TRAP_HANDLER: 0
; COMPUTE_PGM_RSRC2:TGID_X_EN: 1
; COMPUTE_PGM_RSRC2:TGID_Y_EN: 0
; COMPUTE_PGM_RSRC2:TGID_Z_EN: 0
; COMPUTE_PGM_RSRC2:TIDIG_COMP_CNT: 0
	.section	.text._ZN7rocprim17ROCPRIM_400000_NS6detail17trampoline_kernelINS0_14default_configENS1_36segmented_radix_sort_config_selectorIalEEZNS1_25segmented_radix_sort_implIS3_Lb0EPKaPaPKlPlN2at6native12_GLOBAL__N_18offset_tEEE10hipError_tPvRmT1_PNSt15iterator_traitsISK_E10value_typeET2_T3_PNSL_ISQ_E10value_typeET4_jRbjT5_SW_jjP12ihipStream_tbEUlT_E2_NS1_11comp_targetILNS1_3genE3ELNS1_11target_archE908ELNS1_3gpuE7ELNS1_3repE0EEENS1_30default_config_static_selectorELNS0_4arch9wavefront6targetE0EEEvSK_,"axG",@progbits,_ZN7rocprim17ROCPRIM_400000_NS6detail17trampoline_kernelINS0_14default_configENS1_36segmented_radix_sort_config_selectorIalEEZNS1_25segmented_radix_sort_implIS3_Lb0EPKaPaPKlPlN2at6native12_GLOBAL__N_18offset_tEEE10hipError_tPvRmT1_PNSt15iterator_traitsISK_E10value_typeET2_T3_PNSL_ISQ_E10value_typeET4_jRbjT5_SW_jjP12ihipStream_tbEUlT_E2_NS1_11comp_targetILNS1_3genE3ELNS1_11target_archE908ELNS1_3gpuE7ELNS1_3repE0EEENS1_30default_config_static_selectorELNS0_4arch9wavefront6targetE0EEEvSK_,comdat
	.globl	_ZN7rocprim17ROCPRIM_400000_NS6detail17trampoline_kernelINS0_14default_configENS1_36segmented_radix_sort_config_selectorIalEEZNS1_25segmented_radix_sort_implIS3_Lb0EPKaPaPKlPlN2at6native12_GLOBAL__N_18offset_tEEE10hipError_tPvRmT1_PNSt15iterator_traitsISK_E10value_typeET2_T3_PNSL_ISQ_E10value_typeET4_jRbjT5_SW_jjP12ihipStream_tbEUlT_E2_NS1_11comp_targetILNS1_3genE3ELNS1_11target_archE908ELNS1_3gpuE7ELNS1_3repE0EEENS1_30default_config_static_selectorELNS0_4arch9wavefront6targetE0EEEvSK_ ; -- Begin function _ZN7rocprim17ROCPRIM_400000_NS6detail17trampoline_kernelINS0_14default_configENS1_36segmented_radix_sort_config_selectorIalEEZNS1_25segmented_radix_sort_implIS3_Lb0EPKaPaPKlPlN2at6native12_GLOBAL__N_18offset_tEEE10hipError_tPvRmT1_PNSt15iterator_traitsISK_E10value_typeET2_T3_PNSL_ISQ_E10value_typeET4_jRbjT5_SW_jjP12ihipStream_tbEUlT_E2_NS1_11comp_targetILNS1_3genE3ELNS1_11target_archE908ELNS1_3gpuE7ELNS1_3repE0EEENS1_30default_config_static_selectorELNS0_4arch9wavefront6targetE0EEEvSK_
	.p2align	8
	.type	_ZN7rocprim17ROCPRIM_400000_NS6detail17trampoline_kernelINS0_14default_configENS1_36segmented_radix_sort_config_selectorIalEEZNS1_25segmented_radix_sort_implIS3_Lb0EPKaPaPKlPlN2at6native12_GLOBAL__N_18offset_tEEE10hipError_tPvRmT1_PNSt15iterator_traitsISK_E10value_typeET2_T3_PNSL_ISQ_E10value_typeET4_jRbjT5_SW_jjP12ihipStream_tbEUlT_E2_NS1_11comp_targetILNS1_3genE3ELNS1_11target_archE908ELNS1_3gpuE7ELNS1_3repE0EEENS1_30default_config_static_selectorELNS0_4arch9wavefront6targetE0EEEvSK_,@function
_ZN7rocprim17ROCPRIM_400000_NS6detail17trampoline_kernelINS0_14default_configENS1_36segmented_radix_sort_config_selectorIalEEZNS1_25segmented_radix_sort_implIS3_Lb0EPKaPaPKlPlN2at6native12_GLOBAL__N_18offset_tEEE10hipError_tPvRmT1_PNSt15iterator_traitsISK_E10value_typeET2_T3_PNSL_ISQ_E10value_typeET4_jRbjT5_SW_jjP12ihipStream_tbEUlT_E2_NS1_11comp_targetILNS1_3genE3ELNS1_11target_archE908ELNS1_3gpuE7ELNS1_3repE0EEENS1_30default_config_static_selectorELNS0_4arch9wavefront6targetE0EEEvSK_: ; @_ZN7rocprim17ROCPRIM_400000_NS6detail17trampoline_kernelINS0_14default_configENS1_36segmented_radix_sort_config_selectorIalEEZNS1_25segmented_radix_sort_implIS3_Lb0EPKaPaPKlPlN2at6native12_GLOBAL__N_18offset_tEEE10hipError_tPvRmT1_PNSt15iterator_traitsISK_E10value_typeET2_T3_PNSL_ISQ_E10value_typeET4_jRbjT5_SW_jjP12ihipStream_tbEUlT_E2_NS1_11comp_targetILNS1_3genE3ELNS1_11target_archE908ELNS1_3gpuE7ELNS1_3repE0EEENS1_30default_config_static_selectorELNS0_4arch9wavefront6targetE0EEEvSK_
; %bb.0:
	.section	.rodata,"a",@progbits
	.p2align	6, 0x0
	.amdhsa_kernel _ZN7rocprim17ROCPRIM_400000_NS6detail17trampoline_kernelINS0_14default_configENS1_36segmented_radix_sort_config_selectorIalEEZNS1_25segmented_radix_sort_implIS3_Lb0EPKaPaPKlPlN2at6native12_GLOBAL__N_18offset_tEEE10hipError_tPvRmT1_PNSt15iterator_traitsISK_E10value_typeET2_T3_PNSL_ISQ_E10value_typeET4_jRbjT5_SW_jjP12ihipStream_tbEUlT_E2_NS1_11comp_targetILNS1_3genE3ELNS1_11target_archE908ELNS1_3gpuE7ELNS1_3repE0EEENS1_30default_config_static_selectorELNS0_4arch9wavefront6targetE0EEEvSK_
		.amdhsa_group_segment_fixed_size 0
		.amdhsa_private_segment_fixed_size 0
		.amdhsa_kernarg_size 80
		.amdhsa_user_sgpr_count 6
		.amdhsa_user_sgpr_private_segment_buffer 1
		.amdhsa_user_sgpr_dispatch_ptr 0
		.amdhsa_user_sgpr_queue_ptr 0
		.amdhsa_user_sgpr_kernarg_segment_ptr 1
		.amdhsa_user_sgpr_dispatch_id 0
		.amdhsa_user_sgpr_flat_scratch_init 0
		.amdhsa_user_sgpr_private_segment_size 0
		.amdhsa_wavefront_size32 1
		.amdhsa_uses_dynamic_stack 0
		.amdhsa_system_sgpr_private_segment_wavefront_offset 0
		.amdhsa_system_sgpr_workgroup_id_x 1
		.amdhsa_system_sgpr_workgroup_id_y 0
		.amdhsa_system_sgpr_workgroup_id_z 0
		.amdhsa_system_sgpr_workgroup_info 0
		.amdhsa_system_vgpr_workitem_id 0
		.amdhsa_next_free_vgpr 1
		.amdhsa_next_free_sgpr 1
		.amdhsa_reserve_vcc 0
		.amdhsa_reserve_flat_scratch 0
		.amdhsa_float_round_mode_32 0
		.amdhsa_float_round_mode_16_64 0
		.amdhsa_float_denorm_mode_32 3
		.amdhsa_float_denorm_mode_16_64 3
		.amdhsa_dx10_clamp 1
		.amdhsa_ieee_mode 1
		.amdhsa_fp16_overflow 0
		.amdhsa_workgroup_processor_mode 1
		.amdhsa_memory_ordered 1
		.amdhsa_forward_progress 1
		.amdhsa_shared_vgpr_count 0
		.amdhsa_exception_fp_ieee_invalid_op 0
		.amdhsa_exception_fp_denorm_src 0
		.amdhsa_exception_fp_ieee_div_zero 0
		.amdhsa_exception_fp_ieee_overflow 0
		.amdhsa_exception_fp_ieee_underflow 0
		.amdhsa_exception_fp_ieee_inexact 0
		.amdhsa_exception_int_div_zero 0
	.end_amdhsa_kernel
	.section	.text._ZN7rocprim17ROCPRIM_400000_NS6detail17trampoline_kernelINS0_14default_configENS1_36segmented_radix_sort_config_selectorIalEEZNS1_25segmented_radix_sort_implIS3_Lb0EPKaPaPKlPlN2at6native12_GLOBAL__N_18offset_tEEE10hipError_tPvRmT1_PNSt15iterator_traitsISK_E10value_typeET2_T3_PNSL_ISQ_E10value_typeET4_jRbjT5_SW_jjP12ihipStream_tbEUlT_E2_NS1_11comp_targetILNS1_3genE3ELNS1_11target_archE908ELNS1_3gpuE7ELNS1_3repE0EEENS1_30default_config_static_selectorELNS0_4arch9wavefront6targetE0EEEvSK_,"axG",@progbits,_ZN7rocprim17ROCPRIM_400000_NS6detail17trampoline_kernelINS0_14default_configENS1_36segmented_radix_sort_config_selectorIalEEZNS1_25segmented_radix_sort_implIS3_Lb0EPKaPaPKlPlN2at6native12_GLOBAL__N_18offset_tEEE10hipError_tPvRmT1_PNSt15iterator_traitsISK_E10value_typeET2_T3_PNSL_ISQ_E10value_typeET4_jRbjT5_SW_jjP12ihipStream_tbEUlT_E2_NS1_11comp_targetILNS1_3genE3ELNS1_11target_archE908ELNS1_3gpuE7ELNS1_3repE0EEENS1_30default_config_static_selectorELNS0_4arch9wavefront6targetE0EEEvSK_,comdat
.Lfunc_end422:
	.size	_ZN7rocprim17ROCPRIM_400000_NS6detail17trampoline_kernelINS0_14default_configENS1_36segmented_radix_sort_config_selectorIalEEZNS1_25segmented_radix_sort_implIS3_Lb0EPKaPaPKlPlN2at6native12_GLOBAL__N_18offset_tEEE10hipError_tPvRmT1_PNSt15iterator_traitsISK_E10value_typeET2_T3_PNSL_ISQ_E10value_typeET4_jRbjT5_SW_jjP12ihipStream_tbEUlT_E2_NS1_11comp_targetILNS1_3genE3ELNS1_11target_archE908ELNS1_3gpuE7ELNS1_3repE0EEENS1_30default_config_static_selectorELNS0_4arch9wavefront6targetE0EEEvSK_, .Lfunc_end422-_ZN7rocprim17ROCPRIM_400000_NS6detail17trampoline_kernelINS0_14default_configENS1_36segmented_radix_sort_config_selectorIalEEZNS1_25segmented_radix_sort_implIS3_Lb0EPKaPaPKlPlN2at6native12_GLOBAL__N_18offset_tEEE10hipError_tPvRmT1_PNSt15iterator_traitsISK_E10value_typeET2_T3_PNSL_ISQ_E10value_typeET4_jRbjT5_SW_jjP12ihipStream_tbEUlT_E2_NS1_11comp_targetILNS1_3genE3ELNS1_11target_archE908ELNS1_3gpuE7ELNS1_3repE0EEENS1_30default_config_static_selectorELNS0_4arch9wavefront6targetE0EEEvSK_
                                        ; -- End function
	.set _ZN7rocprim17ROCPRIM_400000_NS6detail17trampoline_kernelINS0_14default_configENS1_36segmented_radix_sort_config_selectorIalEEZNS1_25segmented_radix_sort_implIS3_Lb0EPKaPaPKlPlN2at6native12_GLOBAL__N_18offset_tEEE10hipError_tPvRmT1_PNSt15iterator_traitsISK_E10value_typeET2_T3_PNSL_ISQ_E10value_typeET4_jRbjT5_SW_jjP12ihipStream_tbEUlT_E2_NS1_11comp_targetILNS1_3genE3ELNS1_11target_archE908ELNS1_3gpuE7ELNS1_3repE0EEENS1_30default_config_static_selectorELNS0_4arch9wavefront6targetE0EEEvSK_.num_vgpr, 0
	.set _ZN7rocprim17ROCPRIM_400000_NS6detail17trampoline_kernelINS0_14default_configENS1_36segmented_radix_sort_config_selectorIalEEZNS1_25segmented_radix_sort_implIS3_Lb0EPKaPaPKlPlN2at6native12_GLOBAL__N_18offset_tEEE10hipError_tPvRmT1_PNSt15iterator_traitsISK_E10value_typeET2_T3_PNSL_ISQ_E10value_typeET4_jRbjT5_SW_jjP12ihipStream_tbEUlT_E2_NS1_11comp_targetILNS1_3genE3ELNS1_11target_archE908ELNS1_3gpuE7ELNS1_3repE0EEENS1_30default_config_static_selectorELNS0_4arch9wavefront6targetE0EEEvSK_.num_agpr, 0
	.set _ZN7rocprim17ROCPRIM_400000_NS6detail17trampoline_kernelINS0_14default_configENS1_36segmented_radix_sort_config_selectorIalEEZNS1_25segmented_radix_sort_implIS3_Lb0EPKaPaPKlPlN2at6native12_GLOBAL__N_18offset_tEEE10hipError_tPvRmT1_PNSt15iterator_traitsISK_E10value_typeET2_T3_PNSL_ISQ_E10value_typeET4_jRbjT5_SW_jjP12ihipStream_tbEUlT_E2_NS1_11comp_targetILNS1_3genE3ELNS1_11target_archE908ELNS1_3gpuE7ELNS1_3repE0EEENS1_30default_config_static_selectorELNS0_4arch9wavefront6targetE0EEEvSK_.numbered_sgpr, 0
	.set _ZN7rocprim17ROCPRIM_400000_NS6detail17trampoline_kernelINS0_14default_configENS1_36segmented_radix_sort_config_selectorIalEEZNS1_25segmented_radix_sort_implIS3_Lb0EPKaPaPKlPlN2at6native12_GLOBAL__N_18offset_tEEE10hipError_tPvRmT1_PNSt15iterator_traitsISK_E10value_typeET2_T3_PNSL_ISQ_E10value_typeET4_jRbjT5_SW_jjP12ihipStream_tbEUlT_E2_NS1_11comp_targetILNS1_3genE3ELNS1_11target_archE908ELNS1_3gpuE7ELNS1_3repE0EEENS1_30default_config_static_selectorELNS0_4arch9wavefront6targetE0EEEvSK_.num_named_barrier, 0
	.set _ZN7rocprim17ROCPRIM_400000_NS6detail17trampoline_kernelINS0_14default_configENS1_36segmented_radix_sort_config_selectorIalEEZNS1_25segmented_radix_sort_implIS3_Lb0EPKaPaPKlPlN2at6native12_GLOBAL__N_18offset_tEEE10hipError_tPvRmT1_PNSt15iterator_traitsISK_E10value_typeET2_T3_PNSL_ISQ_E10value_typeET4_jRbjT5_SW_jjP12ihipStream_tbEUlT_E2_NS1_11comp_targetILNS1_3genE3ELNS1_11target_archE908ELNS1_3gpuE7ELNS1_3repE0EEENS1_30default_config_static_selectorELNS0_4arch9wavefront6targetE0EEEvSK_.private_seg_size, 0
	.set _ZN7rocprim17ROCPRIM_400000_NS6detail17trampoline_kernelINS0_14default_configENS1_36segmented_radix_sort_config_selectorIalEEZNS1_25segmented_radix_sort_implIS3_Lb0EPKaPaPKlPlN2at6native12_GLOBAL__N_18offset_tEEE10hipError_tPvRmT1_PNSt15iterator_traitsISK_E10value_typeET2_T3_PNSL_ISQ_E10value_typeET4_jRbjT5_SW_jjP12ihipStream_tbEUlT_E2_NS1_11comp_targetILNS1_3genE3ELNS1_11target_archE908ELNS1_3gpuE7ELNS1_3repE0EEENS1_30default_config_static_selectorELNS0_4arch9wavefront6targetE0EEEvSK_.uses_vcc, 0
	.set _ZN7rocprim17ROCPRIM_400000_NS6detail17trampoline_kernelINS0_14default_configENS1_36segmented_radix_sort_config_selectorIalEEZNS1_25segmented_radix_sort_implIS3_Lb0EPKaPaPKlPlN2at6native12_GLOBAL__N_18offset_tEEE10hipError_tPvRmT1_PNSt15iterator_traitsISK_E10value_typeET2_T3_PNSL_ISQ_E10value_typeET4_jRbjT5_SW_jjP12ihipStream_tbEUlT_E2_NS1_11comp_targetILNS1_3genE3ELNS1_11target_archE908ELNS1_3gpuE7ELNS1_3repE0EEENS1_30default_config_static_selectorELNS0_4arch9wavefront6targetE0EEEvSK_.uses_flat_scratch, 0
	.set _ZN7rocprim17ROCPRIM_400000_NS6detail17trampoline_kernelINS0_14default_configENS1_36segmented_radix_sort_config_selectorIalEEZNS1_25segmented_radix_sort_implIS3_Lb0EPKaPaPKlPlN2at6native12_GLOBAL__N_18offset_tEEE10hipError_tPvRmT1_PNSt15iterator_traitsISK_E10value_typeET2_T3_PNSL_ISQ_E10value_typeET4_jRbjT5_SW_jjP12ihipStream_tbEUlT_E2_NS1_11comp_targetILNS1_3genE3ELNS1_11target_archE908ELNS1_3gpuE7ELNS1_3repE0EEENS1_30default_config_static_selectorELNS0_4arch9wavefront6targetE0EEEvSK_.has_dyn_sized_stack, 0
	.set _ZN7rocprim17ROCPRIM_400000_NS6detail17trampoline_kernelINS0_14default_configENS1_36segmented_radix_sort_config_selectorIalEEZNS1_25segmented_radix_sort_implIS3_Lb0EPKaPaPKlPlN2at6native12_GLOBAL__N_18offset_tEEE10hipError_tPvRmT1_PNSt15iterator_traitsISK_E10value_typeET2_T3_PNSL_ISQ_E10value_typeET4_jRbjT5_SW_jjP12ihipStream_tbEUlT_E2_NS1_11comp_targetILNS1_3genE3ELNS1_11target_archE908ELNS1_3gpuE7ELNS1_3repE0EEENS1_30default_config_static_selectorELNS0_4arch9wavefront6targetE0EEEvSK_.has_recursion, 0
	.set _ZN7rocprim17ROCPRIM_400000_NS6detail17trampoline_kernelINS0_14default_configENS1_36segmented_radix_sort_config_selectorIalEEZNS1_25segmented_radix_sort_implIS3_Lb0EPKaPaPKlPlN2at6native12_GLOBAL__N_18offset_tEEE10hipError_tPvRmT1_PNSt15iterator_traitsISK_E10value_typeET2_T3_PNSL_ISQ_E10value_typeET4_jRbjT5_SW_jjP12ihipStream_tbEUlT_E2_NS1_11comp_targetILNS1_3genE3ELNS1_11target_archE908ELNS1_3gpuE7ELNS1_3repE0EEENS1_30default_config_static_selectorELNS0_4arch9wavefront6targetE0EEEvSK_.has_indirect_call, 0
	.section	.AMDGPU.csdata,"",@progbits
; Kernel info:
; codeLenInByte = 0
; TotalNumSgprs: 0
; NumVgprs: 0
; ScratchSize: 0
; MemoryBound: 0
; FloatMode: 240
; IeeeMode: 1
; LDSByteSize: 0 bytes/workgroup (compile time only)
; SGPRBlocks: 0
; VGPRBlocks: 0
; NumSGPRsForWavesPerEU: 1
; NumVGPRsForWavesPerEU: 1
; Occupancy: 16
; WaveLimiterHint : 0
; COMPUTE_PGM_RSRC2:SCRATCH_EN: 0
; COMPUTE_PGM_RSRC2:USER_SGPR: 6
; COMPUTE_PGM_RSRC2:TRAP_HANDLER: 0
; COMPUTE_PGM_RSRC2:TGID_X_EN: 1
; COMPUTE_PGM_RSRC2:TGID_Y_EN: 0
; COMPUTE_PGM_RSRC2:TGID_Z_EN: 0
; COMPUTE_PGM_RSRC2:TIDIG_COMP_CNT: 0
	.section	.text._ZN7rocprim17ROCPRIM_400000_NS6detail17trampoline_kernelINS0_14default_configENS1_36segmented_radix_sort_config_selectorIalEEZNS1_25segmented_radix_sort_implIS3_Lb0EPKaPaPKlPlN2at6native12_GLOBAL__N_18offset_tEEE10hipError_tPvRmT1_PNSt15iterator_traitsISK_E10value_typeET2_T3_PNSL_ISQ_E10value_typeET4_jRbjT5_SW_jjP12ihipStream_tbEUlT_E2_NS1_11comp_targetILNS1_3genE2ELNS1_11target_archE906ELNS1_3gpuE6ELNS1_3repE0EEENS1_30default_config_static_selectorELNS0_4arch9wavefront6targetE0EEEvSK_,"axG",@progbits,_ZN7rocprim17ROCPRIM_400000_NS6detail17trampoline_kernelINS0_14default_configENS1_36segmented_radix_sort_config_selectorIalEEZNS1_25segmented_radix_sort_implIS3_Lb0EPKaPaPKlPlN2at6native12_GLOBAL__N_18offset_tEEE10hipError_tPvRmT1_PNSt15iterator_traitsISK_E10value_typeET2_T3_PNSL_ISQ_E10value_typeET4_jRbjT5_SW_jjP12ihipStream_tbEUlT_E2_NS1_11comp_targetILNS1_3genE2ELNS1_11target_archE906ELNS1_3gpuE6ELNS1_3repE0EEENS1_30default_config_static_selectorELNS0_4arch9wavefront6targetE0EEEvSK_,comdat
	.globl	_ZN7rocprim17ROCPRIM_400000_NS6detail17trampoline_kernelINS0_14default_configENS1_36segmented_radix_sort_config_selectorIalEEZNS1_25segmented_radix_sort_implIS3_Lb0EPKaPaPKlPlN2at6native12_GLOBAL__N_18offset_tEEE10hipError_tPvRmT1_PNSt15iterator_traitsISK_E10value_typeET2_T3_PNSL_ISQ_E10value_typeET4_jRbjT5_SW_jjP12ihipStream_tbEUlT_E2_NS1_11comp_targetILNS1_3genE2ELNS1_11target_archE906ELNS1_3gpuE6ELNS1_3repE0EEENS1_30default_config_static_selectorELNS0_4arch9wavefront6targetE0EEEvSK_ ; -- Begin function _ZN7rocprim17ROCPRIM_400000_NS6detail17trampoline_kernelINS0_14default_configENS1_36segmented_radix_sort_config_selectorIalEEZNS1_25segmented_radix_sort_implIS3_Lb0EPKaPaPKlPlN2at6native12_GLOBAL__N_18offset_tEEE10hipError_tPvRmT1_PNSt15iterator_traitsISK_E10value_typeET2_T3_PNSL_ISQ_E10value_typeET4_jRbjT5_SW_jjP12ihipStream_tbEUlT_E2_NS1_11comp_targetILNS1_3genE2ELNS1_11target_archE906ELNS1_3gpuE6ELNS1_3repE0EEENS1_30default_config_static_selectorELNS0_4arch9wavefront6targetE0EEEvSK_
	.p2align	8
	.type	_ZN7rocprim17ROCPRIM_400000_NS6detail17trampoline_kernelINS0_14default_configENS1_36segmented_radix_sort_config_selectorIalEEZNS1_25segmented_radix_sort_implIS3_Lb0EPKaPaPKlPlN2at6native12_GLOBAL__N_18offset_tEEE10hipError_tPvRmT1_PNSt15iterator_traitsISK_E10value_typeET2_T3_PNSL_ISQ_E10value_typeET4_jRbjT5_SW_jjP12ihipStream_tbEUlT_E2_NS1_11comp_targetILNS1_3genE2ELNS1_11target_archE906ELNS1_3gpuE6ELNS1_3repE0EEENS1_30default_config_static_selectorELNS0_4arch9wavefront6targetE0EEEvSK_,@function
_ZN7rocprim17ROCPRIM_400000_NS6detail17trampoline_kernelINS0_14default_configENS1_36segmented_radix_sort_config_selectorIalEEZNS1_25segmented_radix_sort_implIS3_Lb0EPKaPaPKlPlN2at6native12_GLOBAL__N_18offset_tEEE10hipError_tPvRmT1_PNSt15iterator_traitsISK_E10value_typeET2_T3_PNSL_ISQ_E10value_typeET4_jRbjT5_SW_jjP12ihipStream_tbEUlT_E2_NS1_11comp_targetILNS1_3genE2ELNS1_11target_archE906ELNS1_3gpuE6ELNS1_3repE0EEENS1_30default_config_static_selectorELNS0_4arch9wavefront6targetE0EEEvSK_: ; @_ZN7rocprim17ROCPRIM_400000_NS6detail17trampoline_kernelINS0_14default_configENS1_36segmented_radix_sort_config_selectorIalEEZNS1_25segmented_radix_sort_implIS3_Lb0EPKaPaPKlPlN2at6native12_GLOBAL__N_18offset_tEEE10hipError_tPvRmT1_PNSt15iterator_traitsISK_E10value_typeET2_T3_PNSL_ISQ_E10value_typeET4_jRbjT5_SW_jjP12ihipStream_tbEUlT_E2_NS1_11comp_targetILNS1_3genE2ELNS1_11target_archE906ELNS1_3gpuE6ELNS1_3repE0EEENS1_30default_config_static_selectorELNS0_4arch9wavefront6targetE0EEEvSK_
; %bb.0:
	.section	.rodata,"a",@progbits
	.p2align	6, 0x0
	.amdhsa_kernel _ZN7rocprim17ROCPRIM_400000_NS6detail17trampoline_kernelINS0_14default_configENS1_36segmented_radix_sort_config_selectorIalEEZNS1_25segmented_radix_sort_implIS3_Lb0EPKaPaPKlPlN2at6native12_GLOBAL__N_18offset_tEEE10hipError_tPvRmT1_PNSt15iterator_traitsISK_E10value_typeET2_T3_PNSL_ISQ_E10value_typeET4_jRbjT5_SW_jjP12ihipStream_tbEUlT_E2_NS1_11comp_targetILNS1_3genE2ELNS1_11target_archE906ELNS1_3gpuE6ELNS1_3repE0EEENS1_30default_config_static_selectorELNS0_4arch9wavefront6targetE0EEEvSK_
		.amdhsa_group_segment_fixed_size 0
		.amdhsa_private_segment_fixed_size 0
		.amdhsa_kernarg_size 80
		.amdhsa_user_sgpr_count 6
		.amdhsa_user_sgpr_private_segment_buffer 1
		.amdhsa_user_sgpr_dispatch_ptr 0
		.amdhsa_user_sgpr_queue_ptr 0
		.amdhsa_user_sgpr_kernarg_segment_ptr 1
		.amdhsa_user_sgpr_dispatch_id 0
		.amdhsa_user_sgpr_flat_scratch_init 0
		.amdhsa_user_sgpr_private_segment_size 0
		.amdhsa_wavefront_size32 1
		.amdhsa_uses_dynamic_stack 0
		.amdhsa_system_sgpr_private_segment_wavefront_offset 0
		.amdhsa_system_sgpr_workgroup_id_x 1
		.amdhsa_system_sgpr_workgroup_id_y 0
		.amdhsa_system_sgpr_workgroup_id_z 0
		.amdhsa_system_sgpr_workgroup_info 0
		.amdhsa_system_vgpr_workitem_id 0
		.amdhsa_next_free_vgpr 1
		.amdhsa_next_free_sgpr 1
		.amdhsa_reserve_vcc 0
		.amdhsa_reserve_flat_scratch 0
		.amdhsa_float_round_mode_32 0
		.amdhsa_float_round_mode_16_64 0
		.amdhsa_float_denorm_mode_32 3
		.amdhsa_float_denorm_mode_16_64 3
		.amdhsa_dx10_clamp 1
		.amdhsa_ieee_mode 1
		.amdhsa_fp16_overflow 0
		.amdhsa_workgroup_processor_mode 1
		.amdhsa_memory_ordered 1
		.amdhsa_forward_progress 1
		.amdhsa_shared_vgpr_count 0
		.amdhsa_exception_fp_ieee_invalid_op 0
		.amdhsa_exception_fp_denorm_src 0
		.amdhsa_exception_fp_ieee_div_zero 0
		.amdhsa_exception_fp_ieee_overflow 0
		.amdhsa_exception_fp_ieee_underflow 0
		.amdhsa_exception_fp_ieee_inexact 0
		.amdhsa_exception_int_div_zero 0
	.end_amdhsa_kernel
	.section	.text._ZN7rocprim17ROCPRIM_400000_NS6detail17trampoline_kernelINS0_14default_configENS1_36segmented_radix_sort_config_selectorIalEEZNS1_25segmented_radix_sort_implIS3_Lb0EPKaPaPKlPlN2at6native12_GLOBAL__N_18offset_tEEE10hipError_tPvRmT1_PNSt15iterator_traitsISK_E10value_typeET2_T3_PNSL_ISQ_E10value_typeET4_jRbjT5_SW_jjP12ihipStream_tbEUlT_E2_NS1_11comp_targetILNS1_3genE2ELNS1_11target_archE906ELNS1_3gpuE6ELNS1_3repE0EEENS1_30default_config_static_selectorELNS0_4arch9wavefront6targetE0EEEvSK_,"axG",@progbits,_ZN7rocprim17ROCPRIM_400000_NS6detail17trampoline_kernelINS0_14default_configENS1_36segmented_radix_sort_config_selectorIalEEZNS1_25segmented_radix_sort_implIS3_Lb0EPKaPaPKlPlN2at6native12_GLOBAL__N_18offset_tEEE10hipError_tPvRmT1_PNSt15iterator_traitsISK_E10value_typeET2_T3_PNSL_ISQ_E10value_typeET4_jRbjT5_SW_jjP12ihipStream_tbEUlT_E2_NS1_11comp_targetILNS1_3genE2ELNS1_11target_archE906ELNS1_3gpuE6ELNS1_3repE0EEENS1_30default_config_static_selectorELNS0_4arch9wavefront6targetE0EEEvSK_,comdat
.Lfunc_end423:
	.size	_ZN7rocprim17ROCPRIM_400000_NS6detail17trampoline_kernelINS0_14default_configENS1_36segmented_radix_sort_config_selectorIalEEZNS1_25segmented_radix_sort_implIS3_Lb0EPKaPaPKlPlN2at6native12_GLOBAL__N_18offset_tEEE10hipError_tPvRmT1_PNSt15iterator_traitsISK_E10value_typeET2_T3_PNSL_ISQ_E10value_typeET4_jRbjT5_SW_jjP12ihipStream_tbEUlT_E2_NS1_11comp_targetILNS1_3genE2ELNS1_11target_archE906ELNS1_3gpuE6ELNS1_3repE0EEENS1_30default_config_static_selectorELNS0_4arch9wavefront6targetE0EEEvSK_, .Lfunc_end423-_ZN7rocprim17ROCPRIM_400000_NS6detail17trampoline_kernelINS0_14default_configENS1_36segmented_radix_sort_config_selectorIalEEZNS1_25segmented_radix_sort_implIS3_Lb0EPKaPaPKlPlN2at6native12_GLOBAL__N_18offset_tEEE10hipError_tPvRmT1_PNSt15iterator_traitsISK_E10value_typeET2_T3_PNSL_ISQ_E10value_typeET4_jRbjT5_SW_jjP12ihipStream_tbEUlT_E2_NS1_11comp_targetILNS1_3genE2ELNS1_11target_archE906ELNS1_3gpuE6ELNS1_3repE0EEENS1_30default_config_static_selectorELNS0_4arch9wavefront6targetE0EEEvSK_
                                        ; -- End function
	.set _ZN7rocprim17ROCPRIM_400000_NS6detail17trampoline_kernelINS0_14default_configENS1_36segmented_radix_sort_config_selectorIalEEZNS1_25segmented_radix_sort_implIS3_Lb0EPKaPaPKlPlN2at6native12_GLOBAL__N_18offset_tEEE10hipError_tPvRmT1_PNSt15iterator_traitsISK_E10value_typeET2_T3_PNSL_ISQ_E10value_typeET4_jRbjT5_SW_jjP12ihipStream_tbEUlT_E2_NS1_11comp_targetILNS1_3genE2ELNS1_11target_archE906ELNS1_3gpuE6ELNS1_3repE0EEENS1_30default_config_static_selectorELNS0_4arch9wavefront6targetE0EEEvSK_.num_vgpr, 0
	.set _ZN7rocprim17ROCPRIM_400000_NS6detail17trampoline_kernelINS0_14default_configENS1_36segmented_radix_sort_config_selectorIalEEZNS1_25segmented_radix_sort_implIS3_Lb0EPKaPaPKlPlN2at6native12_GLOBAL__N_18offset_tEEE10hipError_tPvRmT1_PNSt15iterator_traitsISK_E10value_typeET2_T3_PNSL_ISQ_E10value_typeET4_jRbjT5_SW_jjP12ihipStream_tbEUlT_E2_NS1_11comp_targetILNS1_3genE2ELNS1_11target_archE906ELNS1_3gpuE6ELNS1_3repE0EEENS1_30default_config_static_selectorELNS0_4arch9wavefront6targetE0EEEvSK_.num_agpr, 0
	.set _ZN7rocprim17ROCPRIM_400000_NS6detail17trampoline_kernelINS0_14default_configENS1_36segmented_radix_sort_config_selectorIalEEZNS1_25segmented_radix_sort_implIS3_Lb0EPKaPaPKlPlN2at6native12_GLOBAL__N_18offset_tEEE10hipError_tPvRmT1_PNSt15iterator_traitsISK_E10value_typeET2_T3_PNSL_ISQ_E10value_typeET4_jRbjT5_SW_jjP12ihipStream_tbEUlT_E2_NS1_11comp_targetILNS1_3genE2ELNS1_11target_archE906ELNS1_3gpuE6ELNS1_3repE0EEENS1_30default_config_static_selectorELNS0_4arch9wavefront6targetE0EEEvSK_.numbered_sgpr, 0
	.set _ZN7rocprim17ROCPRIM_400000_NS6detail17trampoline_kernelINS0_14default_configENS1_36segmented_radix_sort_config_selectorIalEEZNS1_25segmented_radix_sort_implIS3_Lb0EPKaPaPKlPlN2at6native12_GLOBAL__N_18offset_tEEE10hipError_tPvRmT1_PNSt15iterator_traitsISK_E10value_typeET2_T3_PNSL_ISQ_E10value_typeET4_jRbjT5_SW_jjP12ihipStream_tbEUlT_E2_NS1_11comp_targetILNS1_3genE2ELNS1_11target_archE906ELNS1_3gpuE6ELNS1_3repE0EEENS1_30default_config_static_selectorELNS0_4arch9wavefront6targetE0EEEvSK_.num_named_barrier, 0
	.set _ZN7rocprim17ROCPRIM_400000_NS6detail17trampoline_kernelINS0_14default_configENS1_36segmented_radix_sort_config_selectorIalEEZNS1_25segmented_radix_sort_implIS3_Lb0EPKaPaPKlPlN2at6native12_GLOBAL__N_18offset_tEEE10hipError_tPvRmT1_PNSt15iterator_traitsISK_E10value_typeET2_T3_PNSL_ISQ_E10value_typeET4_jRbjT5_SW_jjP12ihipStream_tbEUlT_E2_NS1_11comp_targetILNS1_3genE2ELNS1_11target_archE906ELNS1_3gpuE6ELNS1_3repE0EEENS1_30default_config_static_selectorELNS0_4arch9wavefront6targetE0EEEvSK_.private_seg_size, 0
	.set _ZN7rocprim17ROCPRIM_400000_NS6detail17trampoline_kernelINS0_14default_configENS1_36segmented_radix_sort_config_selectorIalEEZNS1_25segmented_radix_sort_implIS3_Lb0EPKaPaPKlPlN2at6native12_GLOBAL__N_18offset_tEEE10hipError_tPvRmT1_PNSt15iterator_traitsISK_E10value_typeET2_T3_PNSL_ISQ_E10value_typeET4_jRbjT5_SW_jjP12ihipStream_tbEUlT_E2_NS1_11comp_targetILNS1_3genE2ELNS1_11target_archE906ELNS1_3gpuE6ELNS1_3repE0EEENS1_30default_config_static_selectorELNS0_4arch9wavefront6targetE0EEEvSK_.uses_vcc, 0
	.set _ZN7rocprim17ROCPRIM_400000_NS6detail17trampoline_kernelINS0_14default_configENS1_36segmented_radix_sort_config_selectorIalEEZNS1_25segmented_radix_sort_implIS3_Lb0EPKaPaPKlPlN2at6native12_GLOBAL__N_18offset_tEEE10hipError_tPvRmT1_PNSt15iterator_traitsISK_E10value_typeET2_T3_PNSL_ISQ_E10value_typeET4_jRbjT5_SW_jjP12ihipStream_tbEUlT_E2_NS1_11comp_targetILNS1_3genE2ELNS1_11target_archE906ELNS1_3gpuE6ELNS1_3repE0EEENS1_30default_config_static_selectorELNS0_4arch9wavefront6targetE0EEEvSK_.uses_flat_scratch, 0
	.set _ZN7rocprim17ROCPRIM_400000_NS6detail17trampoline_kernelINS0_14default_configENS1_36segmented_radix_sort_config_selectorIalEEZNS1_25segmented_radix_sort_implIS3_Lb0EPKaPaPKlPlN2at6native12_GLOBAL__N_18offset_tEEE10hipError_tPvRmT1_PNSt15iterator_traitsISK_E10value_typeET2_T3_PNSL_ISQ_E10value_typeET4_jRbjT5_SW_jjP12ihipStream_tbEUlT_E2_NS1_11comp_targetILNS1_3genE2ELNS1_11target_archE906ELNS1_3gpuE6ELNS1_3repE0EEENS1_30default_config_static_selectorELNS0_4arch9wavefront6targetE0EEEvSK_.has_dyn_sized_stack, 0
	.set _ZN7rocprim17ROCPRIM_400000_NS6detail17trampoline_kernelINS0_14default_configENS1_36segmented_radix_sort_config_selectorIalEEZNS1_25segmented_radix_sort_implIS3_Lb0EPKaPaPKlPlN2at6native12_GLOBAL__N_18offset_tEEE10hipError_tPvRmT1_PNSt15iterator_traitsISK_E10value_typeET2_T3_PNSL_ISQ_E10value_typeET4_jRbjT5_SW_jjP12ihipStream_tbEUlT_E2_NS1_11comp_targetILNS1_3genE2ELNS1_11target_archE906ELNS1_3gpuE6ELNS1_3repE0EEENS1_30default_config_static_selectorELNS0_4arch9wavefront6targetE0EEEvSK_.has_recursion, 0
	.set _ZN7rocprim17ROCPRIM_400000_NS6detail17trampoline_kernelINS0_14default_configENS1_36segmented_radix_sort_config_selectorIalEEZNS1_25segmented_radix_sort_implIS3_Lb0EPKaPaPKlPlN2at6native12_GLOBAL__N_18offset_tEEE10hipError_tPvRmT1_PNSt15iterator_traitsISK_E10value_typeET2_T3_PNSL_ISQ_E10value_typeET4_jRbjT5_SW_jjP12ihipStream_tbEUlT_E2_NS1_11comp_targetILNS1_3genE2ELNS1_11target_archE906ELNS1_3gpuE6ELNS1_3repE0EEENS1_30default_config_static_selectorELNS0_4arch9wavefront6targetE0EEEvSK_.has_indirect_call, 0
	.section	.AMDGPU.csdata,"",@progbits
; Kernel info:
; codeLenInByte = 0
; TotalNumSgprs: 0
; NumVgprs: 0
; ScratchSize: 0
; MemoryBound: 0
; FloatMode: 240
; IeeeMode: 1
; LDSByteSize: 0 bytes/workgroup (compile time only)
; SGPRBlocks: 0
; VGPRBlocks: 0
; NumSGPRsForWavesPerEU: 1
; NumVGPRsForWavesPerEU: 1
; Occupancy: 16
; WaveLimiterHint : 0
; COMPUTE_PGM_RSRC2:SCRATCH_EN: 0
; COMPUTE_PGM_RSRC2:USER_SGPR: 6
; COMPUTE_PGM_RSRC2:TRAP_HANDLER: 0
; COMPUTE_PGM_RSRC2:TGID_X_EN: 1
; COMPUTE_PGM_RSRC2:TGID_Y_EN: 0
; COMPUTE_PGM_RSRC2:TGID_Z_EN: 0
; COMPUTE_PGM_RSRC2:TIDIG_COMP_CNT: 0
	.section	.text._ZN7rocprim17ROCPRIM_400000_NS6detail17trampoline_kernelINS0_14default_configENS1_36segmented_radix_sort_config_selectorIalEEZNS1_25segmented_radix_sort_implIS3_Lb0EPKaPaPKlPlN2at6native12_GLOBAL__N_18offset_tEEE10hipError_tPvRmT1_PNSt15iterator_traitsISK_E10value_typeET2_T3_PNSL_ISQ_E10value_typeET4_jRbjT5_SW_jjP12ihipStream_tbEUlT_E2_NS1_11comp_targetILNS1_3genE10ELNS1_11target_archE1201ELNS1_3gpuE5ELNS1_3repE0EEENS1_30default_config_static_selectorELNS0_4arch9wavefront6targetE0EEEvSK_,"axG",@progbits,_ZN7rocprim17ROCPRIM_400000_NS6detail17trampoline_kernelINS0_14default_configENS1_36segmented_radix_sort_config_selectorIalEEZNS1_25segmented_radix_sort_implIS3_Lb0EPKaPaPKlPlN2at6native12_GLOBAL__N_18offset_tEEE10hipError_tPvRmT1_PNSt15iterator_traitsISK_E10value_typeET2_T3_PNSL_ISQ_E10value_typeET4_jRbjT5_SW_jjP12ihipStream_tbEUlT_E2_NS1_11comp_targetILNS1_3genE10ELNS1_11target_archE1201ELNS1_3gpuE5ELNS1_3repE0EEENS1_30default_config_static_selectorELNS0_4arch9wavefront6targetE0EEEvSK_,comdat
	.globl	_ZN7rocprim17ROCPRIM_400000_NS6detail17trampoline_kernelINS0_14default_configENS1_36segmented_radix_sort_config_selectorIalEEZNS1_25segmented_radix_sort_implIS3_Lb0EPKaPaPKlPlN2at6native12_GLOBAL__N_18offset_tEEE10hipError_tPvRmT1_PNSt15iterator_traitsISK_E10value_typeET2_T3_PNSL_ISQ_E10value_typeET4_jRbjT5_SW_jjP12ihipStream_tbEUlT_E2_NS1_11comp_targetILNS1_3genE10ELNS1_11target_archE1201ELNS1_3gpuE5ELNS1_3repE0EEENS1_30default_config_static_selectorELNS0_4arch9wavefront6targetE0EEEvSK_ ; -- Begin function _ZN7rocprim17ROCPRIM_400000_NS6detail17trampoline_kernelINS0_14default_configENS1_36segmented_radix_sort_config_selectorIalEEZNS1_25segmented_radix_sort_implIS3_Lb0EPKaPaPKlPlN2at6native12_GLOBAL__N_18offset_tEEE10hipError_tPvRmT1_PNSt15iterator_traitsISK_E10value_typeET2_T3_PNSL_ISQ_E10value_typeET4_jRbjT5_SW_jjP12ihipStream_tbEUlT_E2_NS1_11comp_targetILNS1_3genE10ELNS1_11target_archE1201ELNS1_3gpuE5ELNS1_3repE0EEENS1_30default_config_static_selectorELNS0_4arch9wavefront6targetE0EEEvSK_
	.p2align	8
	.type	_ZN7rocprim17ROCPRIM_400000_NS6detail17trampoline_kernelINS0_14default_configENS1_36segmented_radix_sort_config_selectorIalEEZNS1_25segmented_radix_sort_implIS3_Lb0EPKaPaPKlPlN2at6native12_GLOBAL__N_18offset_tEEE10hipError_tPvRmT1_PNSt15iterator_traitsISK_E10value_typeET2_T3_PNSL_ISQ_E10value_typeET4_jRbjT5_SW_jjP12ihipStream_tbEUlT_E2_NS1_11comp_targetILNS1_3genE10ELNS1_11target_archE1201ELNS1_3gpuE5ELNS1_3repE0EEENS1_30default_config_static_selectorELNS0_4arch9wavefront6targetE0EEEvSK_,@function
_ZN7rocprim17ROCPRIM_400000_NS6detail17trampoline_kernelINS0_14default_configENS1_36segmented_radix_sort_config_selectorIalEEZNS1_25segmented_radix_sort_implIS3_Lb0EPKaPaPKlPlN2at6native12_GLOBAL__N_18offset_tEEE10hipError_tPvRmT1_PNSt15iterator_traitsISK_E10value_typeET2_T3_PNSL_ISQ_E10value_typeET4_jRbjT5_SW_jjP12ihipStream_tbEUlT_E2_NS1_11comp_targetILNS1_3genE10ELNS1_11target_archE1201ELNS1_3gpuE5ELNS1_3repE0EEENS1_30default_config_static_selectorELNS0_4arch9wavefront6targetE0EEEvSK_: ; @_ZN7rocprim17ROCPRIM_400000_NS6detail17trampoline_kernelINS0_14default_configENS1_36segmented_radix_sort_config_selectorIalEEZNS1_25segmented_radix_sort_implIS3_Lb0EPKaPaPKlPlN2at6native12_GLOBAL__N_18offset_tEEE10hipError_tPvRmT1_PNSt15iterator_traitsISK_E10value_typeET2_T3_PNSL_ISQ_E10value_typeET4_jRbjT5_SW_jjP12ihipStream_tbEUlT_E2_NS1_11comp_targetILNS1_3genE10ELNS1_11target_archE1201ELNS1_3gpuE5ELNS1_3repE0EEENS1_30default_config_static_selectorELNS0_4arch9wavefront6targetE0EEEvSK_
; %bb.0:
	.section	.rodata,"a",@progbits
	.p2align	6, 0x0
	.amdhsa_kernel _ZN7rocprim17ROCPRIM_400000_NS6detail17trampoline_kernelINS0_14default_configENS1_36segmented_radix_sort_config_selectorIalEEZNS1_25segmented_radix_sort_implIS3_Lb0EPKaPaPKlPlN2at6native12_GLOBAL__N_18offset_tEEE10hipError_tPvRmT1_PNSt15iterator_traitsISK_E10value_typeET2_T3_PNSL_ISQ_E10value_typeET4_jRbjT5_SW_jjP12ihipStream_tbEUlT_E2_NS1_11comp_targetILNS1_3genE10ELNS1_11target_archE1201ELNS1_3gpuE5ELNS1_3repE0EEENS1_30default_config_static_selectorELNS0_4arch9wavefront6targetE0EEEvSK_
		.amdhsa_group_segment_fixed_size 0
		.amdhsa_private_segment_fixed_size 0
		.amdhsa_kernarg_size 80
		.amdhsa_user_sgpr_count 6
		.amdhsa_user_sgpr_private_segment_buffer 1
		.amdhsa_user_sgpr_dispatch_ptr 0
		.amdhsa_user_sgpr_queue_ptr 0
		.amdhsa_user_sgpr_kernarg_segment_ptr 1
		.amdhsa_user_sgpr_dispatch_id 0
		.amdhsa_user_sgpr_flat_scratch_init 0
		.amdhsa_user_sgpr_private_segment_size 0
		.amdhsa_wavefront_size32 1
		.amdhsa_uses_dynamic_stack 0
		.amdhsa_system_sgpr_private_segment_wavefront_offset 0
		.amdhsa_system_sgpr_workgroup_id_x 1
		.amdhsa_system_sgpr_workgroup_id_y 0
		.amdhsa_system_sgpr_workgroup_id_z 0
		.amdhsa_system_sgpr_workgroup_info 0
		.amdhsa_system_vgpr_workitem_id 0
		.amdhsa_next_free_vgpr 1
		.amdhsa_next_free_sgpr 1
		.amdhsa_reserve_vcc 0
		.amdhsa_reserve_flat_scratch 0
		.amdhsa_float_round_mode_32 0
		.amdhsa_float_round_mode_16_64 0
		.amdhsa_float_denorm_mode_32 3
		.amdhsa_float_denorm_mode_16_64 3
		.amdhsa_dx10_clamp 1
		.amdhsa_ieee_mode 1
		.amdhsa_fp16_overflow 0
		.amdhsa_workgroup_processor_mode 1
		.amdhsa_memory_ordered 1
		.amdhsa_forward_progress 1
		.amdhsa_shared_vgpr_count 0
		.amdhsa_exception_fp_ieee_invalid_op 0
		.amdhsa_exception_fp_denorm_src 0
		.amdhsa_exception_fp_ieee_div_zero 0
		.amdhsa_exception_fp_ieee_overflow 0
		.amdhsa_exception_fp_ieee_underflow 0
		.amdhsa_exception_fp_ieee_inexact 0
		.amdhsa_exception_int_div_zero 0
	.end_amdhsa_kernel
	.section	.text._ZN7rocprim17ROCPRIM_400000_NS6detail17trampoline_kernelINS0_14default_configENS1_36segmented_radix_sort_config_selectorIalEEZNS1_25segmented_radix_sort_implIS3_Lb0EPKaPaPKlPlN2at6native12_GLOBAL__N_18offset_tEEE10hipError_tPvRmT1_PNSt15iterator_traitsISK_E10value_typeET2_T3_PNSL_ISQ_E10value_typeET4_jRbjT5_SW_jjP12ihipStream_tbEUlT_E2_NS1_11comp_targetILNS1_3genE10ELNS1_11target_archE1201ELNS1_3gpuE5ELNS1_3repE0EEENS1_30default_config_static_selectorELNS0_4arch9wavefront6targetE0EEEvSK_,"axG",@progbits,_ZN7rocprim17ROCPRIM_400000_NS6detail17trampoline_kernelINS0_14default_configENS1_36segmented_radix_sort_config_selectorIalEEZNS1_25segmented_radix_sort_implIS3_Lb0EPKaPaPKlPlN2at6native12_GLOBAL__N_18offset_tEEE10hipError_tPvRmT1_PNSt15iterator_traitsISK_E10value_typeET2_T3_PNSL_ISQ_E10value_typeET4_jRbjT5_SW_jjP12ihipStream_tbEUlT_E2_NS1_11comp_targetILNS1_3genE10ELNS1_11target_archE1201ELNS1_3gpuE5ELNS1_3repE0EEENS1_30default_config_static_selectorELNS0_4arch9wavefront6targetE0EEEvSK_,comdat
.Lfunc_end424:
	.size	_ZN7rocprim17ROCPRIM_400000_NS6detail17trampoline_kernelINS0_14default_configENS1_36segmented_radix_sort_config_selectorIalEEZNS1_25segmented_radix_sort_implIS3_Lb0EPKaPaPKlPlN2at6native12_GLOBAL__N_18offset_tEEE10hipError_tPvRmT1_PNSt15iterator_traitsISK_E10value_typeET2_T3_PNSL_ISQ_E10value_typeET4_jRbjT5_SW_jjP12ihipStream_tbEUlT_E2_NS1_11comp_targetILNS1_3genE10ELNS1_11target_archE1201ELNS1_3gpuE5ELNS1_3repE0EEENS1_30default_config_static_selectorELNS0_4arch9wavefront6targetE0EEEvSK_, .Lfunc_end424-_ZN7rocprim17ROCPRIM_400000_NS6detail17trampoline_kernelINS0_14default_configENS1_36segmented_radix_sort_config_selectorIalEEZNS1_25segmented_radix_sort_implIS3_Lb0EPKaPaPKlPlN2at6native12_GLOBAL__N_18offset_tEEE10hipError_tPvRmT1_PNSt15iterator_traitsISK_E10value_typeET2_T3_PNSL_ISQ_E10value_typeET4_jRbjT5_SW_jjP12ihipStream_tbEUlT_E2_NS1_11comp_targetILNS1_3genE10ELNS1_11target_archE1201ELNS1_3gpuE5ELNS1_3repE0EEENS1_30default_config_static_selectorELNS0_4arch9wavefront6targetE0EEEvSK_
                                        ; -- End function
	.set _ZN7rocprim17ROCPRIM_400000_NS6detail17trampoline_kernelINS0_14default_configENS1_36segmented_radix_sort_config_selectorIalEEZNS1_25segmented_radix_sort_implIS3_Lb0EPKaPaPKlPlN2at6native12_GLOBAL__N_18offset_tEEE10hipError_tPvRmT1_PNSt15iterator_traitsISK_E10value_typeET2_T3_PNSL_ISQ_E10value_typeET4_jRbjT5_SW_jjP12ihipStream_tbEUlT_E2_NS1_11comp_targetILNS1_3genE10ELNS1_11target_archE1201ELNS1_3gpuE5ELNS1_3repE0EEENS1_30default_config_static_selectorELNS0_4arch9wavefront6targetE0EEEvSK_.num_vgpr, 0
	.set _ZN7rocprim17ROCPRIM_400000_NS6detail17trampoline_kernelINS0_14default_configENS1_36segmented_radix_sort_config_selectorIalEEZNS1_25segmented_radix_sort_implIS3_Lb0EPKaPaPKlPlN2at6native12_GLOBAL__N_18offset_tEEE10hipError_tPvRmT1_PNSt15iterator_traitsISK_E10value_typeET2_T3_PNSL_ISQ_E10value_typeET4_jRbjT5_SW_jjP12ihipStream_tbEUlT_E2_NS1_11comp_targetILNS1_3genE10ELNS1_11target_archE1201ELNS1_3gpuE5ELNS1_3repE0EEENS1_30default_config_static_selectorELNS0_4arch9wavefront6targetE0EEEvSK_.num_agpr, 0
	.set _ZN7rocprim17ROCPRIM_400000_NS6detail17trampoline_kernelINS0_14default_configENS1_36segmented_radix_sort_config_selectorIalEEZNS1_25segmented_radix_sort_implIS3_Lb0EPKaPaPKlPlN2at6native12_GLOBAL__N_18offset_tEEE10hipError_tPvRmT1_PNSt15iterator_traitsISK_E10value_typeET2_T3_PNSL_ISQ_E10value_typeET4_jRbjT5_SW_jjP12ihipStream_tbEUlT_E2_NS1_11comp_targetILNS1_3genE10ELNS1_11target_archE1201ELNS1_3gpuE5ELNS1_3repE0EEENS1_30default_config_static_selectorELNS0_4arch9wavefront6targetE0EEEvSK_.numbered_sgpr, 0
	.set _ZN7rocprim17ROCPRIM_400000_NS6detail17trampoline_kernelINS0_14default_configENS1_36segmented_radix_sort_config_selectorIalEEZNS1_25segmented_radix_sort_implIS3_Lb0EPKaPaPKlPlN2at6native12_GLOBAL__N_18offset_tEEE10hipError_tPvRmT1_PNSt15iterator_traitsISK_E10value_typeET2_T3_PNSL_ISQ_E10value_typeET4_jRbjT5_SW_jjP12ihipStream_tbEUlT_E2_NS1_11comp_targetILNS1_3genE10ELNS1_11target_archE1201ELNS1_3gpuE5ELNS1_3repE0EEENS1_30default_config_static_selectorELNS0_4arch9wavefront6targetE0EEEvSK_.num_named_barrier, 0
	.set _ZN7rocprim17ROCPRIM_400000_NS6detail17trampoline_kernelINS0_14default_configENS1_36segmented_radix_sort_config_selectorIalEEZNS1_25segmented_radix_sort_implIS3_Lb0EPKaPaPKlPlN2at6native12_GLOBAL__N_18offset_tEEE10hipError_tPvRmT1_PNSt15iterator_traitsISK_E10value_typeET2_T3_PNSL_ISQ_E10value_typeET4_jRbjT5_SW_jjP12ihipStream_tbEUlT_E2_NS1_11comp_targetILNS1_3genE10ELNS1_11target_archE1201ELNS1_3gpuE5ELNS1_3repE0EEENS1_30default_config_static_selectorELNS0_4arch9wavefront6targetE0EEEvSK_.private_seg_size, 0
	.set _ZN7rocprim17ROCPRIM_400000_NS6detail17trampoline_kernelINS0_14default_configENS1_36segmented_radix_sort_config_selectorIalEEZNS1_25segmented_radix_sort_implIS3_Lb0EPKaPaPKlPlN2at6native12_GLOBAL__N_18offset_tEEE10hipError_tPvRmT1_PNSt15iterator_traitsISK_E10value_typeET2_T3_PNSL_ISQ_E10value_typeET4_jRbjT5_SW_jjP12ihipStream_tbEUlT_E2_NS1_11comp_targetILNS1_3genE10ELNS1_11target_archE1201ELNS1_3gpuE5ELNS1_3repE0EEENS1_30default_config_static_selectorELNS0_4arch9wavefront6targetE0EEEvSK_.uses_vcc, 0
	.set _ZN7rocprim17ROCPRIM_400000_NS6detail17trampoline_kernelINS0_14default_configENS1_36segmented_radix_sort_config_selectorIalEEZNS1_25segmented_radix_sort_implIS3_Lb0EPKaPaPKlPlN2at6native12_GLOBAL__N_18offset_tEEE10hipError_tPvRmT1_PNSt15iterator_traitsISK_E10value_typeET2_T3_PNSL_ISQ_E10value_typeET4_jRbjT5_SW_jjP12ihipStream_tbEUlT_E2_NS1_11comp_targetILNS1_3genE10ELNS1_11target_archE1201ELNS1_3gpuE5ELNS1_3repE0EEENS1_30default_config_static_selectorELNS0_4arch9wavefront6targetE0EEEvSK_.uses_flat_scratch, 0
	.set _ZN7rocprim17ROCPRIM_400000_NS6detail17trampoline_kernelINS0_14default_configENS1_36segmented_radix_sort_config_selectorIalEEZNS1_25segmented_radix_sort_implIS3_Lb0EPKaPaPKlPlN2at6native12_GLOBAL__N_18offset_tEEE10hipError_tPvRmT1_PNSt15iterator_traitsISK_E10value_typeET2_T3_PNSL_ISQ_E10value_typeET4_jRbjT5_SW_jjP12ihipStream_tbEUlT_E2_NS1_11comp_targetILNS1_3genE10ELNS1_11target_archE1201ELNS1_3gpuE5ELNS1_3repE0EEENS1_30default_config_static_selectorELNS0_4arch9wavefront6targetE0EEEvSK_.has_dyn_sized_stack, 0
	.set _ZN7rocprim17ROCPRIM_400000_NS6detail17trampoline_kernelINS0_14default_configENS1_36segmented_radix_sort_config_selectorIalEEZNS1_25segmented_radix_sort_implIS3_Lb0EPKaPaPKlPlN2at6native12_GLOBAL__N_18offset_tEEE10hipError_tPvRmT1_PNSt15iterator_traitsISK_E10value_typeET2_T3_PNSL_ISQ_E10value_typeET4_jRbjT5_SW_jjP12ihipStream_tbEUlT_E2_NS1_11comp_targetILNS1_3genE10ELNS1_11target_archE1201ELNS1_3gpuE5ELNS1_3repE0EEENS1_30default_config_static_selectorELNS0_4arch9wavefront6targetE0EEEvSK_.has_recursion, 0
	.set _ZN7rocprim17ROCPRIM_400000_NS6detail17trampoline_kernelINS0_14default_configENS1_36segmented_radix_sort_config_selectorIalEEZNS1_25segmented_radix_sort_implIS3_Lb0EPKaPaPKlPlN2at6native12_GLOBAL__N_18offset_tEEE10hipError_tPvRmT1_PNSt15iterator_traitsISK_E10value_typeET2_T3_PNSL_ISQ_E10value_typeET4_jRbjT5_SW_jjP12ihipStream_tbEUlT_E2_NS1_11comp_targetILNS1_3genE10ELNS1_11target_archE1201ELNS1_3gpuE5ELNS1_3repE0EEENS1_30default_config_static_selectorELNS0_4arch9wavefront6targetE0EEEvSK_.has_indirect_call, 0
	.section	.AMDGPU.csdata,"",@progbits
; Kernel info:
; codeLenInByte = 0
; TotalNumSgprs: 0
; NumVgprs: 0
; ScratchSize: 0
; MemoryBound: 0
; FloatMode: 240
; IeeeMode: 1
; LDSByteSize: 0 bytes/workgroup (compile time only)
; SGPRBlocks: 0
; VGPRBlocks: 0
; NumSGPRsForWavesPerEU: 1
; NumVGPRsForWavesPerEU: 1
; Occupancy: 16
; WaveLimiterHint : 0
; COMPUTE_PGM_RSRC2:SCRATCH_EN: 0
; COMPUTE_PGM_RSRC2:USER_SGPR: 6
; COMPUTE_PGM_RSRC2:TRAP_HANDLER: 0
; COMPUTE_PGM_RSRC2:TGID_X_EN: 1
; COMPUTE_PGM_RSRC2:TGID_Y_EN: 0
; COMPUTE_PGM_RSRC2:TGID_Z_EN: 0
; COMPUTE_PGM_RSRC2:TIDIG_COMP_CNT: 0
	.section	.text._ZN7rocprim17ROCPRIM_400000_NS6detail17trampoline_kernelINS0_14default_configENS1_36segmented_radix_sort_config_selectorIalEEZNS1_25segmented_radix_sort_implIS3_Lb0EPKaPaPKlPlN2at6native12_GLOBAL__N_18offset_tEEE10hipError_tPvRmT1_PNSt15iterator_traitsISK_E10value_typeET2_T3_PNSL_ISQ_E10value_typeET4_jRbjT5_SW_jjP12ihipStream_tbEUlT_E2_NS1_11comp_targetILNS1_3genE10ELNS1_11target_archE1200ELNS1_3gpuE4ELNS1_3repE0EEENS1_30default_config_static_selectorELNS0_4arch9wavefront6targetE0EEEvSK_,"axG",@progbits,_ZN7rocprim17ROCPRIM_400000_NS6detail17trampoline_kernelINS0_14default_configENS1_36segmented_radix_sort_config_selectorIalEEZNS1_25segmented_radix_sort_implIS3_Lb0EPKaPaPKlPlN2at6native12_GLOBAL__N_18offset_tEEE10hipError_tPvRmT1_PNSt15iterator_traitsISK_E10value_typeET2_T3_PNSL_ISQ_E10value_typeET4_jRbjT5_SW_jjP12ihipStream_tbEUlT_E2_NS1_11comp_targetILNS1_3genE10ELNS1_11target_archE1200ELNS1_3gpuE4ELNS1_3repE0EEENS1_30default_config_static_selectorELNS0_4arch9wavefront6targetE0EEEvSK_,comdat
	.globl	_ZN7rocprim17ROCPRIM_400000_NS6detail17trampoline_kernelINS0_14default_configENS1_36segmented_radix_sort_config_selectorIalEEZNS1_25segmented_radix_sort_implIS3_Lb0EPKaPaPKlPlN2at6native12_GLOBAL__N_18offset_tEEE10hipError_tPvRmT1_PNSt15iterator_traitsISK_E10value_typeET2_T3_PNSL_ISQ_E10value_typeET4_jRbjT5_SW_jjP12ihipStream_tbEUlT_E2_NS1_11comp_targetILNS1_3genE10ELNS1_11target_archE1200ELNS1_3gpuE4ELNS1_3repE0EEENS1_30default_config_static_selectorELNS0_4arch9wavefront6targetE0EEEvSK_ ; -- Begin function _ZN7rocprim17ROCPRIM_400000_NS6detail17trampoline_kernelINS0_14default_configENS1_36segmented_radix_sort_config_selectorIalEEZNS1_25segmented_radix_sort_implIS3_Lb0EPKaPaPKlPlN2at6native12_GLOBAL__N_18offset_tEEE10hipError_tPvRmT1_PNSt15iterator_traitsISK_E10value_typeET2_T3_PNSL_ISQ_E10value_typeET4_jRbjT5_SW_jjP12ihipStream_tbEUlT_E2_NS1_11comp_targetILNS1_3genE10ELNS1_11target_archE1200ELNS1_3gpuE4ELNS1_3repE0EEENS1_30default_config_static_selectorELNS0_4arch9wavefront6targetE0EEEvSK_
	.p2align	8
	.type	_ZN7rocprim17ROCPRIM_400000_NS6detail17trampoline_kernelINS0_14default_configENS1_36segmented_radix_sort_config_selectorIalEEZNS1_25segmented_radix_sort_implIS3_Lb0EPKaPaPKlPlN2at6native12_GLOBAL__N_18offset_tEEE10hipError_tPvRmT1_PNSt15iterator_traitsISK_E10value_typeET2_T3_PNSL_ISQ_E10value_typeET4_jRbjT5_SW_jjP12ihipStream_tbEUlT_E2_NS1_11comp_targetILNS1_3genE10ELNS1_11target_archE1200ELNS1_3gpuE4ELNS1_3repE0EEENS1_30default_config_static_selectorELNS0_4arch9wavefront6targetE0EEEvSK_,@function
_ZN7rocprim17ROCPRIM_400000_NS6detail17trampoline_kernelINS0_14default_configENS1_36segmented_radix_sort_config_selectorIalEEZNS1_25segmented_radix_sort_implIS3_Lb0EPKaPaPKlPlN2at6native12_GLOBAL__N_18offset_tEEE10hipError_tPvRmT1_PNSt15iterator_traitsISK_E10value_typeET2_T3_PNSL_ISQ_E10value_typeET4_jRbjT5_SW_jjP12ihipStream_tbEUlT_E2_NS1_11comp_targetILNS1_3genE10ELNS1_11target_archE1200ELNS1_3gpuE4ELNS1_3repE0EEENS1_30default_config_static_selectorELNS0_4arch9wavefront6targetE0EEEvSK_: ; @_ZN7rocprim17ROCPRIM_400000_NS6detail17trampoline_kernelINS0_14default_configENS1_36segmented_radix_sort_config_selectorIalEEZNS1_25segmented_radix_sort_implIS3_Lb0EPKaPaPKlPlN2at6native12_GLOBAL__N_18offset_tEEE10hipError_tPvRmT1_PNSt15iterator_traitsISK_E10value_typeET2_T3_PNSL_ISQ_E10value_typeET4_jRbjT5_SW_jjP12ihipStream_tbEUlT_E2_NS1_11comp_targetILNS1_3genE10ELNS1_11target_archE1200ELNS1_3gpuE4ELNS1_3repE0EEENS1_30default_config_static_selectorELNS0_4arch9wavefront6targetE0EEEvSK_
; %bb.0:
	.section	.rodata,"a",@progbits
	.p2align	6, 0x0
	.amdhsa_kernel _ZN7rocprim17ROCPRIM_400000_NS6detail17trampoline_kernelINS0_14default_configENS1_36segmented_radix_sort_config_selectorIalEEZNS1_25segmented_radix_sort_implIS3_Lb0EPKaPaPKlPlN2at6native12_GLOBAL__N_18offset_tEEE10hipError_tPvRmT1_PNSt15iterator_traitsISK_E10value_typeET2_T3_PNSL_ISQ_E10value_typeET4_jRbjT5_SW_jjP12ihipStream_tbEUlT_E2_NS1_11comp_targetILNS1_3genE10ELNS1_11target_archE1200ELNS1_3gpuE4ELNS1_3repE0EEENS1_30default_config_static_selectorELNS0_4arch9wavefront6targetE0EEEvSK_
		.amdhsa_group_segment_fixed_size 0
		.amdhsa_private_segment_fixed_size 0
		.amdhsa_kernarg_size 80
		.amdhsa_user_sgpr_count 6
		.amdhsa_user_sgpr_private_segment_buffer 1
		.amdhsa_user_sgpr_dispatch_ptr 0
		.amdhsa_user_sgpr_queue_ptr 0
		.amdhsa_user_sgpr_kernarg_segment_ptr 1
		.amdhsa_user_sgpr_dispatch_id 0
		.amdhsa_user_sgpr_flat_scratch_init 0
		.amdhsa_user_sgpr_private_segment_size 0
		.amdhsa_wavefront_size32 1
		.amdhsa_uses_dynamic_stack 0
		.amdhsa_system_sgpr_private_segment_wavefront_offset 0
		.amdhsa_system_sgpr_workgroup_id_x 1
		.amdhsa_system_sgpr_workgroup_id_y 0
		.amdhsa_system_sgpr_workgroup_id_z 0
		.amdhsa_system_sgpr_workgroup_info 0
		.amdhsa_system_vgpr_workitem_id 0
		.amdhsa_next_free_vgpr 1
		.amdhsa_next_free_sgpr 1
		.amdhsa_reserve_vcc 0
		.amdhsa_reserve_flat_scratch 0
		.amdhsa_float_round_mode_32 0
		.amdhsa_float_round_mode_16_64 0
		.amdhsa_float_denorm_mode_32 3
		.amdhsa_float_denorm_mode_16_64 3
		.amdhsa_dx10_clamp 1
		.amdhsa_ieee_mode 1
		.amdhsa_fp16_overflow 0
		.amdhsa_workgroup_processor_mode 1
		.amdhsa_memory_ordered 1
		.amdhsa_forward_progress 1
		.amdhsa_shared_vgpr_count 0
		.amdhsa_exception_fp_ieee_invalid_op 0
		.amdhsa_exception_fp_denorm_src 0
		.amdhsa_exception_fp_ieee_div_zero 0
		.amdhsa_exception_fp_ieee_overflow 0
		.amdhsa_exception_fp_ieee_underflow 0
		.amdhsa_exception_fp_ieee_inexact 0
		.amdhsa_exception_int_div_zero 0
	.end_amdhsa_kernel
	.section	.text._ZN7rocprim17ROCPRIM_400000_NS6detail17trampoline_kernelINS0_14default_configENS1_36segmented_radix_sort_config_selectorIalEEZNS1_25segmented_radix_sort_implIS3_Lb0EPKaPaPKlPlN2at6native12_GLOBAL__N_18offset_tEEE10hipError_tPvRmT1_PNSt15iterator_traitsISK_E10value_typeET2_T3_PNSL_ISQ_E10value_typeET4_jRbjT5_SW_jjP12ihipStream_tbEUlT_E2_NS1_11comp_targetILNS1_3genE10ELNS1_11target_archE1200ELNS1_3gpuE4ELNS1_3repE0EEENS1_30default_config_static_selectorELNS0_4arch9wavefront6targetE0EEEvSK_,"axG",@progbits,_ZN7rocprim17ROCPRIM_400000_NS6detail17trampoline_kernelINS0_14default_configENS1_36segmented_radix_sort_config_selectorIalEEZNS1_25segmented_radix_sort_implIS3_Lb0EPKaPaPKlPlN2at6native12_GLOBAL__N_18offset_tEEE10hipError_tPvRmT1_PNSt15iterator_traitsISK_E10value_typeET2_T3_PNSL_ISQ_E10value_typeET4_jRbjT5_SW_jjP12ihipStream_tbEUlT_E2_NS1_11comp_targetILNS1_3genE10ELNS1_11target_archE1200ELNS1_3gpuE4ELNS1_3repE0EEENS1_30default_config_static_selectorELNS0_4arch9wavefront6targetE0EEEvSK_,comdat
.Lfunc_end425:
	.size	_ZN7rocprim17ROCPRIM_400000_NS6detail17trampoline_kernelINS0_14default_configENS1_36segmented_radix_sort_config_selectorIalEEZNS1_25segmented_radix_sort_implIS3_Lb0EPKaPaPKlPlN2at6native12_GLOBAL__N_18offset_tEEE10hipError_tPvRmT1_PNSt15iterator_traitsISK_E10value_typeET2_T3_PNSL_ISQ_E10value_typeET4_jRbjT5_SW_jjP12ihipStream_tbEUlT_E2_NS1_11comp_targetILNS1_3genE10ELNS1_11target_archE1200ELNS1_3gpuE4ELNS1_3repE0EEENS1_30default_config_static_selectorELNS0_4arch9wavefront6targetE0EEEvSK_, .Lfunc_end425-_ZN7rocprim17ROCPRIM_400000_NS6detail17trampoline_kernelINS0_14default_configENS1_36segmented_radix_sort_config_selectorIalEEZNS1_25segmented_radix_sort_implIS3_Lb0EPKaPaPKlPlN2at6native12_GLOBAL__N_18offset_tEEE10hipError_tPvRmT1_PNSt15iterator_traitsISK_E10value_typeET2_T3_PNSL_ISQ_E10value_typeET4_jRbjT5_SW_jjP12ihipStream_tbEUlT_E2_NS1_11comp_targetILNS1_3genE10ELNS1_11target_archE1200ELNS1_3gpuE4ELNS1_3repE0EEENS1_30default_config_static_selectorELNS0_4arch9wavefront6targetE0EEEvSK_
                                        ; -- End function
	.set _ZN7rocprim17ROCPRIM_400000_NS6detail17trampoline_kernelINS0_14default_configENS1_36segmented_radix_sort_config_selectorIalEEZNS1_25segmented_radix_sort_implIS3_Lb0EPKaPaPKlPlN2at6native12_GLOBAL__N_18offset_tEEE10hipError_tPvRmT1_PNSt15iterator_traitsISK_E10value_typeET2_T3_PNSL_ISQ_E10value_typeET4_jRbjT5_SW_jjP12ihipStream_tbEUlT_E2_NS1_11comp_targetILNS1_3genE10ELNS1_11target_archE1200ELNS1_3gpuE4ELNS1_3repE0EEENS1_30default_config_static_selectorELNS0_4arch9wavefront6targetE0EEEvSK_.num_vgpr, 0
	.set _ZN7rocprim17ROCPRIM_400000_NS6detail17trampoline_kernelINS0_14default_configENS1_36segmented_radix_sort_config_selectorIalEEZNS1_25segmented_radix_sort_implIS3_Lb0EPKaPaPKlPlN2at6native12_GLOBAL__N_18offset_tEEE10hipError_tPvRmT1_PNSt15iterator_traitsISK_E10value_typeET2_T3_PNSL_ISQ_E10value_typeET4_jRbjT5_SW_jjP12ihipStream_tbEUlT_E2_NS1_11comp_targetILNS1_3genE10ELNS1_11target_archE1200ELNS1_3gpuE4ELNS1_3repE0EEENS1_30default_config_static_selectorELNS0_4arch9wavefront6targetE0EEEvSK_.num_agpr, 0
	.set _ZN7rocprim17ROCPRIM_400000_NS6detail17trampoline_kernelINS0_14default_configENS1_36segmented_radix_sort_config_selectorIalEEZNS1_25segmented_radix_sort_implIS3_Lb0EPKaPaPKlPlN2at6native12_GLOBAL__N_18offset_tEEE10hipError_tPvRmT1_PNSt15iterator_traitsISK_E10value_typeET2_T3_PNSL_ISQ_E10value_typeET4_jRbjT5_SW_jjP12ihipStream_tbEUlT_E2_NS1_11comp_targetILNS1_3genE10ELNS1_11target_archE1200ELNS1_3gpuE4ELNS1_3repE0EEENS1_30default_config_static_selectorELNS0_4arch9wavefront6targetE0EEEvSK_.numbered_sgpr, 0
	.set _ZN7rocprim17ROCPRIM_400000_NS6detail17trampoline_kernelINS0_14default_configENS1_36segmented_radix_sort_config_selectorIalEEZNS1_25segmented_radix_sort_implIS3_Lb0EPKaPaPKlPlN2at6native12_GLOBAL__N_18offset_tEEE10hipError_tPvRmT1_PNSt15iterator_traitsISK_E10value_typeET2_T3_PNSL_ISQ_E10value_typeET4_jRbjT5_SW_jjP12ihipStream_tbEUlT_E2_NS1_11comp_targetILNS1_3genE10ELNS1_11target_archE1200ELNS1_3gpuE4ELNS1_3repE0EEENS1_30default_config_static_selectorELNS0_4arch9wavefront6targetE0EEEvSK_.num_named_barrier, 0
	.set _ZN7rocprim17ROCPRIM_400000_NS6detail17trampoline_kernelINS0_14default_configENS1_36segmented_radix_sort_config_selectorIalEEZNS1_25segmented_radix_sort_implIS3_Lb0EPKaPaPKlPlN2at6native12_GLOBAL__N_18offset_tEEE10hipError_tPvRmT1_PNSt15iterator_traitsISK_E10value_typeET2_T3_PNSL_ISQ_E10value_typeET4_jRbjT5_SW_jjP12ihipStream_tbEUlT_E2_NS1_11comp_targetILNS1_3genE10ELNS1_11target_archE1200ELNS1_3gpuE4ELNS1_3repE0EEENS1_30default_config_static_selectorELNS0_4arch9wavefront6targetE0EEEvSK_.private_seg_size, 0
	.set _ZN7rocprim17ROCPRIM_400000_NS6detail17trampoline_kernelINS0_14default_configENS1_36segmented_radix_sort_config_selectorIalEEZNS1_25segmented_radix_sort_implIS3_Lb0EPKaPaPKlPlN2at6native12_GLOBAL__N_18offset_tEEE10hipError_tPvRmT1_PNSt15iterator_traitsISK_E10value_typeET2_T3_PNSL_ISQ_E10value_typeET4_jRbjT5_SW_jjP12ihipStream_tbEUlT_E2_NS1_11comp_targetILNS1_3genE10ELNS1_11target_archE1200ELNS1_3gpuE4ELNS1_3repE0EEENS1_30default_config_static_selectorELNS0_4arch9wavefront6targetE0EEEvSK_.uses_vcc, 0
	.set _ZN7rocprim17ROCPRIM_400000_NS6detail17trampoline_kernelINS0_14default_configENS1_36segmented_radix_sort_config_selectorIalEEZNS1_25segmented_radix_sort_implIS3_Lb0EPKaPaPKlPlN2at6native12_GLOBAL__N_18offset_tEEE10hipError_tPvRmT1_PNSt15iterator_traitsISK_E10value_typeET2_T3_PNSL_ISQ_E10value_typeET4_jRbjT5_SW_jjP12ihipStream_tbEUlT_E2_NS1_11comp_targetILNS1_3genE10ELNS1_11target_archE1200ELNS1_3gpuE4ELNS1_3repE0EEENS1_30default_config_static_selectorELNS0_4arch9wavefront6targetE0EEEvSK_.uses_flat_scratch, 0
	.set _ZN7rocprim17ROCPRIM_400000_NS6detail17trampoline_kernelINS0_14default_configENS1_36segmented_radix_sort_config_selectorIalEEZNS1_25segmented_radix_sort_implIS3_Lb0EPKaPaPKlPlN2at6native12_GLOBAL__N_18offset_tEEE10hipError_tPvRmT1_PNSt15iterator_traitsISK_E10value_typeET2_T3_PNSL_ISQ_E10value_typeET4_jRbjT5_SW_jjP12ihipStream_tbEUlT_E2_NS1_11comp_targetILNS1_3genE10ELNS1_11target_archE1200ELNS1_3gpuE4ELNS1_3repE0EEENS1_30default_config_static_selectorELNS0_4arch9wavefront6targetE0EEEvSK_.has_dyn_sized_stack, 0
	.set _ZN7rocprim17ROCPRIM_400000_NS6detail17trampoline_kernelINS0_14default_configENS1_36segmented_radix_sort_config_selectorIalEEZNS1_25segmented_radix_sort_implIS3_Lb0EPKaPaPKlPlN2at6native12_GLOBAL__N_18offset_tEEE10hipError_tPvRmT1_PNSt15iterator_traitsISK_E10value_typeET2_T3_PNSL_ISQ_E10value_typeET4_jRbjT5_SW_jjP12ihipStream_tbEUlT_E2_NS1_11comp_targetILNS1_3genE10ELNS1_11target_archE1200ELNS1_3gpuE4ELNS1_3repE0EEENS1_30default_config_static_selectorELNS0_4arch9wavefront6targetE0EEEvSK_.has_recursion, 0
	.set _ZN7rocprim17ROCPRIM_400000_NS6detail17trampoline_kernelINS0_14default_configENS1_36segmented_radix_sort_config_selectorIalEEZNS1_25segmented_radix_sort_implIS3_Lb0EPKaPaPKlPlN2at6native12_GLOBAL__N_18offset_tEEE10hipError_tPvRmT1_PNSt15iterator_traitsISK_E10value_typeET2_T3_PNSL_ISQ_E10value_typeET4_jRbjT5_SW_jjP12ihipStream_tbEUlT_E2_NS1_11comp_targetILNS1_3genE10ELNS1_11target_archE1200ELNS1_3gpuE4ELNS1_3repE0EEENS1_30default_config_static_selectorELNS0_4arch9wavefront6targetE0EEEvSK_.has_indirect_call, 0
	.section	.AMDGPU.csdata,"",@progbits
; Kernel info:
; codeLenInByte = 0
; TotalNumSgprs: 0
; NumVgprs: 0
; ScratchSize: 0
; MemoryBound: 0
; FloatMode: 240
; IeeeMode: 1
; LDSByteSize: 0 bytes/workgroup (compile time only)
; SGPRBlocks: 0
; VGPRBlocks: 0
; NumSGPRsForWavesPerEU: 1
; NumVGPRsForWavesPerEU: 1
; Occupancy: 16
; WaveLimiterHint : 0
; COMPUTE_PGM_RSRC2:SCRATCH_EN: 0
; COMPUTE_PGM_RSRC2:USER_SGPR: 6
; COMPUTE_PGM_RSRC2:TRAP_HANDLER: 0
; COMPUTE_PGM_RSRC2:TGID_X_EN: 1
; COMPUTE_PGM_RSRC2:TGID_Y_EN: 0
; COMPUTE_PGM_RSRC2:TGID_Z_EN: 0
; COMPUTE_PGM_RSRC2:TIDIG_COMP_CNT: 0
	.section	.text._ZN7rocprim17ROCPRIM_400000_NS6detail17trampoline_kernelINS0_14default_configENS1_36segmented_radix_sort_config_selectorIalEEZNS1_25segmented_radix_sort_implIS3_Lb0EPKaPaPKlPlN2at6native12_GLOBAL__N_18offset_tEEE10hipError_tPvRmT1_PNSt15iterator_traitsISK_E10value_typeET2_T3_PNSL_ISQ_E10value_typeET4_jRbjT5_SW_jjP12ihipStream_tbEUlT_E2_NS1_11comp_targetILNS1_3genE9ELNS1_11target_archE1100ELNS1_3gpuE3ELNS1_3repE0EEENS1_30default_config_static_selectorELNS0_4arch9wavefront6targetE0EEEvSK_,"axG",@progbits,_ZN7rocprim17ROCPRIM_400000_NS6detail17trampoline_kernelINS0_14default_configENS1_36segmented_radix_sort_config_selectorIalEEZNS1_25segmented_radix_sort_implIS3_Lb0EPKaPaPKlPlN2at6native12_GLOBAL__N_18offset_tEEE10hipError_tPvRmT1_PNSt15iterator_traitsISK_E10value_typeET2_T3_PNSL_ISQ_E10value_typeET4_jRbjT5_SW_jjP12ihipStream_tbEUlT_E2_NS1_11comp_targetILNS1_3genE9ELNS1_11target_archE1100ELNS1_3gpuE3ELNS1_3repE0EEENS1_30default_config_static_selectorELNS0_4arch9wavefront6targetE0EEEvSK_,comdat
	.globl	_ZN7rocprim17ROCPRIM_400000_NS6detail17trampoline_kernelINS0_14default_configENS1_36segmented_radix_sort_config_selectorIalEEZNS1_25segmented_radix_sort_implIS3_Lb0EPKaPaPKlPlN2at6native12_GLOBAL__N_18offset_tEEE10hipError_tPvRmT1_PNSt15iterator_traitsISK_E10value_typeET2_T3_PNSL_ISQ_E10value_typeET4_jRbjT5_SW_jjP12ihipStream_tbEUlT_E2_NS1_11comp_targetILNS1_3genE9ELNS1_11target_archE1100ELNS1_3gpuE3ELNS1_3repE0EEENS1_30default_config_static_selectorELNS0_4arch9wavefront6targetE0EEEvSK_ ; -- Begin function _ZN7rocprim17ROCPRIM_400000_NS6detail17trampoline_kernelINS0_14default_configENS1_36segmented_radix_sort_config_selectorIalEEZNS1_25segmented_radix_sort_implIS3_Lb0EPKaPaPKlPlN2at6native12_GLOBAL__N_18offset_tEEE10hipError_tPvRmT1_PNSt15iterator_traitsISK_E10value_typeET2_T3_PNSL_ISQ_E10value_typeET4_jRbjT5_SW_jjP12ihipStream_tbEUlT_E2_NS1_11comp_targetILNS1_3genE9ELNS1_11target_archE1100ELNS1_3gpuE3ELNS1_3repE0EEENS1_30default_config_static_selectorELNS0_4arch9wavefront6targetE0EEEvSK_
	.p2align	8
	.type	_ZN7rocprim17ROCPRIM_400000_NS6detail17trampoline_kernelINS0_14default_configENS1_36segmented_radix_sort_config_selectorIalEEZNS1_25segmented_radix_sort_implIS3_Lb0EPKaPaPKlPlN2at6native12_GLOBAL__N_18offset_tEEE10hipError_tPvRmT1_PNSt15iterator_traitsISK_E10value_typeET2_T3_PNSL_ISQ_E10value_typeET4_jRbjT5_SW_jjP12ihipStream_tbEUlT_E2_NS1_11comp_targetILNS1_3genE9ELNS1_11target_archE1100ELNS1_3gpuE3ELNS1_3repE0EEENS1_30default_config_static_selectorELNS0_4arch9wavefront6targetE0EEEvSK_,@function
_ZN7rocprim17ROCPRIM_400000_NS6detail17trampoline_kernelINS0_14default_configENS1_36segmented_radix_sort_config_selectorIalEEZNS1_25segmented_radix_sort_implIS3_Lb0EPKaPaPKlPlN2at6native12_GLOBAL__N_18offset_tEEE10hipError_tPvRmT1_PNSt15iterator_traitsISK_E10value_typeET2_T3_PNSL_ISQ_E10value_typeET4_jRbjT5_SW_jjP12ihipStream_tbEUlT_E2_NS1_11comp_targetILNS1_3genE9ELNS1_11target_archE1100ELNS1_3gpuE3ELNS1_3repE0EEENS1_30default_config_static_selectorELNS0_4arch9wavefront6targetE0EEEvSK_: ; @_ZN7rocprim17ROCPRIM_400000_NS6detail17trampoline_kernelINS0_14default_configENS1_36segmented_radix_sort_config_selectorIalEEZNS1_25segmented_radix_sort_implIS3_Lb0EPKaPaPKlPlN2at6native12_GLOBAL__N_18offset_tEEE10hipError_tPvRmT1_PNSt15iterator_traitsISK_E10value_typeET2_T3_PNSL_ISQ_E10value_typeET4_jRbjT5_SW_jjP12ihipStream_tbEUlT_E2_NS1_11comp_targetILNS1_3genE9ELNS1_11target_archE1100ELNS1_3gpuE3ELNS1_3repE0EEENS1_30default_config_static_selectorELNS0_4arch9wavefront6targetE0EEEvSK_
; %bb.0:
	.section	.rodata,"a",@progbits
	.p2align	6, 0x0
	.amdhsa_kernel _ZN7rocprim17ROCPRIM_400000_NS6detail17trampoline_kernelINS0_14default_configENS1_36segmented_radix_sort_config_selectorIalEEZNS1_25segmented_radix_sort_implIS3_Lb0EPKaPaPKlPlN2at6native12_GLOBAL__N_18offset_tEEE10hipError_tPvRmT1_PNSt15iterator_traitsISK_E10value_typeET2_T3_PNSL_ISQ_E10value_typeET4_jRbjT5_SW_jjP12ihipStream_tbEUlT_E2_NS1_11comp_targetILNS1_3genE9ELNS1_11target_archE1100ELNS1_3gpuE3ELNS1_3repE0EEENS1_30default_config_static_selectorELNS0_4arch9wavefront6targetE0EEEvSK_
		.amdhsa_group_segment_fixed_size 0
		.amdhsa_private_segment_fixed_size 0
		.amdhsa_kernarg_size 80
		.amdhsa_user_sgpr_count 6
		.amdhsa_user_sgpr_private_segment_buffer 1
		.amdhsa_user_sgpr_dispatch_ptr 0
		.amdhsa_user_sgpr_queue_ptr 0
		.amdhsa_user_sgpr_kernarg_segment_ptr 1
		.amdhsa_user_sgpr_dispatch_id 0
		.amdhsa_user_sgpr_flat_scratch_init 0
		.amdhsa_user_sgpr_private_segment_size 0
		.amdhsa_wavefront_size32 1
		.amdhsa_uses_dynamic_stack 0
		.amdhsa_system_sgpr_private_segment_wavefront_offset 0
		.amdhsa_system_sgpr_workgroup_id_x 1
		.amdhsa_system_sgpr_workgroup_id_y 0
		.amdhsa_system_sgpr_workgroup_id_z 0
		.amdhsa_system_sgpr_workgroup_info 0
		.amdhsa_system_vgpr_workitem_id 0
		.amdhsa_next_free_vgpr 1
		.amdhsa_next_free_sgpr 1
		.amdhsa_reserve_vcc 0
		.amdhsa_reserve_flat_scratch 0
		.amdhsa_float_round_mode_32 0
		.amdhsa_float_round_mode_16_64 0
		.amdhsa_float_denorm_mode_32 3
		.amdhsa_float_denorm_mode_16_64 3
		.amdhsa_dx10_clamp 1
		.amdhsa_ieee_mode 1
		.amdhsa_fp16_overflow 0
		.amdhsa_workgroup_processor_mode 1
		.amdhsa_memory_ordered 1
		.amdhsa_forward_progress 1
		.amdhsa_shared_vgpr_count 0
		.amdhsa_exception_fp_ieee_invalid_op 0
		.amdhsa_exception_fp_denorm_src 0
		.amdhsa_exception_fp_ieee_div_zero 0
		.amdhsa_exception_fp_ieee_overflow 0
		.amdhsa_exception_fp_ieee_underflow 0
		.amdhsa_exception_fp_ieee_inexact 0
		.amdhsa_exception_int_div_zero 0
	.end_amdhsa_kernel
	.section	.text._ZN7rocprim17ROCPRIM_400000_NS6detail17trampoline_kernelINS0_14default_configENS1_36segmented_radix_sort_config_selectorIalEEZNS1_25segmented_radix_sort_implIS3_Lb0EPKaPaPKlPlN2at6native12_GLOBAL__N_18offset_tEEE10hipError_tPvRmT1_PNSt15iterator_traitsISK_E10value_typeET2_T3_PNSL_ISQ_E10value_typeET4_jRbjT5_SW_jjP12ihipStream_tbEUlT_E2_NS1_11comp_targetILNS1_3genE9ELNS1_11target_archE1100ELNS1_3gpuE3ELNS1_3repE0EEENS1_30default_config_static_selectorELNS0_4arch9wavefront6targetE0EEEvSK_,"axG",@progbits,_ZN7rocprim17ROCPRIM_400000_NS6detail17trampoline_kernelINS0_14default_configENS1_36segmented_radix_sort_config_selectorIalEEZNS1_25segmented_radix_sort_implIS3_Lb0EPKaPaPKlPlN2at6native12_GLOBAL__N_18offset_tEEE10hipError_tPvRmT1_PNSt15iterator_traitsISK_E10value_typeET2_T3_PNSL_ISQ_E10value_typeET4_jRbjT5_SW_jjP12ihipStream_tbEUlT_E2_NS1_11comp_targetILNS1_3genE9ELNS1_11target_archE1100ELNS1_3gpuE3ELNS1_3repE0EEENS1_30default_config_static_selectorELNS0_4arch9wavefront6targetE0EEEvSK_,comdat
.Lfunc_end426:
	.size	_ZN7rocprim17ROCPRIM_400000_NS6detail17trampoline_kernelINS0_14default_configENS1_36segmented_radix_sort_config_selectorIalEEZNS1_25segmented_radix_sort_implIS3_Lb0EPKaPaPKlPlN2at6native12_GLOBAL__N_18offset_tEEE10hipError_tPvRmT1_PNSt15iterator_traitsISK_E10value_typeET2_T3_PNSL_ISQ_E10value_typeET4_jRbjT5_SW_jjP12ihipStream_tbEUlT_E2_NS1_11comp_targetILNS1_3genE9ELNS1_11target_archE1100ELNS1_3gpuE3ELNS1_3repE0EEENS1_30default_config_static_selectorELNS0_4arch9wavefront6targetE0EEEvSK_, .Lfunc_end426-_ZN7rocprim17ROCPRIM_400000_NS6detail17trampoline_kernelINS0_14default_configENS1_36segmented_radix_sort_config_selectorIalEEZNS1_25segmented_radix_sort_implIS3_Lb0EPKaPaPKlPlN2at6native12_GLOBAL__N_18offset_tEEE10hipError_tPvRmT1_PNSt15iterator_traitsISK_E10value_typeET2_T3_PNSL_ISQ_E10value_typeET4_jRbjT5_SW_jjP12ihipStream_tbEUlT_E2_NS1_11comp_targetILNS1_3genE9ELNS1_11target_archE1100ELNS1_3gpuE3ELNS1_3repE0EEENS1_30default_config_static_selectorELNS0_4arch9wavefront6targetE0EEEvSK_
                                        ; -- End function
	.set _ZN7rocprim17ROCPRIM_400000_NS6detail17trampoline_kernelINS0_14default_configENS1_36segmented_radix_sort_config_selectorIalEEZNS1_25segmented_radix_sort_implIS3_Lb0EPKaPaPKlPlN2at6native12_GLOBAL__N_18offset_tEEE10hipError_tPvRmT1_PNSt15iterator_traitsISK_E10value_typeET2_T3_PNSL_ISQ_E10value_typeET4_jRbjT5_SW_jjP12ihipStream_tbEUlT_E2_NS1_11comp_targetILNS1_3genE9ELNS1_11target_archE1100ELNS1_3gpuE3ELNS1_3repE0EEENS1_30default_config_static_selectorELNS0_4arch9wavefront6targetE0EEEvSK_.num_vgpr, 0
	.set _ZN7rocprim17ROCPRIM_400000_NS6detail17trampoline_kernelINS0_14default_configENS1_36segmented_radix_sort_config_selectorIalEEZNS1_25segmented_radix_sort_implIS3_Lb0EPKaPaPKlPlN2at6native12_GLOBAL__N_18offset_tEEE10hipError_tPvRmT1_PNSt15iterator_traitsISK_E10value_typeET2_T3_PNSL_ISQ_E10value_typeET4_jRbjT5_SW_jjP12ihipStream_tbEUlT_E2_NS1_11comp_targetILNS1_3genE9ELNS1_11target_archE1100ELNS1_3gpuE3ELNS1_3repE0EEENS1_30default_config_static_selectorELNS0_4arch9wavefront6targetE0EEEvSK_.num_agpr, 0
	.set _ZN7rocprim17ROCPRIM_400000_NS6detail17trampoline_kernelINS0_14default_configENS1_36segmented_radix_sort_config_selectorIalEEZNS1_25segmented_radix_sort_implIS3_Lb0EPKaPaPKlPlN2at6native12_GLOBAL__N_18offset_tEEE10hipError_tPvRmT1_PNSt15iterator_traitsISK_E10value_typeET2_T3_PNSL_ISQ_E10value_typeET4_jRbjT5_SW_jjP12ihipStream_tbEUlT_E2_NS1_11comp_targetILNS1_3genE9ELNS1_11target_archE1100ELNS1_3gpuE3ELNS1_3repE0EEENS1_30default_config_static_selectorELNS0_4arch9wavefront6targetE0EEEvSK_.numbered_sgpr, 0
	.set _ZN7rocprim17ROCPRIM_400000_NS6detail17trampoline_kernelINS0_14default_configENS1_36segmented_radix_sort_config_selectorIalEEZNS1_25segmented_radix_sort_implIS3_Lb0EPKaPaPKlPlN2at6native12_GLOBAL__N_18offset_tEEE10hipError_tPvRmT1_PNSt15iterator_traitsISK_E10value_typeET2_T3_PNSL_ISQ_E10value_typeET4_jRbjT5_SW_jjP12ihipStream_tbEUlT_E2_NS1_11comp_targetILNS1_3genE9ELNS1_11target_archE1100ELNS1_3gpuE3ELNS1_3repE0EEENS1_30default_config_static_selectorELNS0_4arch9wavefront6targetE0EEEvSK_.num_named_barrier, 0
	.set _ZN7rocprim17ROCPRIM_400000_NS6detail17trampoline_kernelINS0_14default_configENS1_36segmented_radix_sort_config_selectorIalEEZNS1_25segmented_radix_sort_implIS3_Lb0EPKaPaPKlPlN2at6native12_GLOBAL__N_18offset_tEEE10hipError_tPvRmT1_PNSt15iterator_traitsISK_E10value_typeET2_T3_PNSL_ISQ_E10value_typeET4_jRbjT5_SW_jjP12ihipStream_tbEUlT_E2_NS1_11comp_targetILNS1_3genE9ELNS1_11target_archE1100ELNS1_3gpuE3ELNS1_3repE0EEENS1_30default_config_static_selectorELNS0_4arch9wavefront6targetE0EEEvSK_.private_seg_size, 0
	.set _ZN7rocprim17ROCPRIM_400000_NS6detail17trampoline_kernelINS0_14default_configENS1_36segmented_radix_sort_config_selectorIalEEZNS1_25segmented_radix_sort_implIS3_Lb0EPKaPaPKlPlN2at6native12_GLOBAL__N_18offset_tEEE10hipError_tPvRmT1_PNSt15iterator_traitsISK_E10value_typeET2_T3_PNSL_ISQ_E10value_typeET4_jRbjT5_SW_jjP12ihipStream_tbEUlT_E2_NS1_11comp_targetILNS1_3genE9ELNS1_11target_archE1100ELNS1_3gpuE3ELNS1_3repE0EEENS1_30default_config_static_selectorELNS0_4arch9wavefront6targetE0EEEvSK_.uses_vcc, 0
	.set _ZN7rocprim17ROCPRIM_400000_NS6detail17trampoline_kernelINS0_14default_configENS1_36segmented_radix_sort_config_selectorIalEEZNS1_25segmented_radix_sort_implIS3_Lb0EPKaPaPKlPlN2at6native12_GLOBAL__N_18offset_tEEE10hipError_tPvRmT1_PNSt15iterator_traitsISK_E10value_typeET2_T3_PNSL_ISQ_E10value_typeET4_jRbjT5_SW_jjP12ihipStream_tbEUlT_E2_NS1_11comp_targetILNS1_3genE9ELNS1_11target_archE1100ELNS1_3gpuE3ELNS1_3repE0EEENS1_30default_config_static_selectorELNS0_4arch9wavefront6targetE0EEEvSK_.uses_flat_scratch, 0
	.set _ZN7rocprim17ROCPRIM_400000_NS6detail17trampoline_kernelINS0_14default_configENS1_36segmented_radix_sort_config_selectorIalEEZNS1_25segmented_radix_sort_implIS3_Lb0EPKaPaPKlPlN2at6native12_GLOBAL__N_18offset_tEEE10hipError_tPvRmT1_PNSt15iterator_traitsISK_E10value_typeET2_T3_PNSL_ISQ_E10value_typeET4_jRbjT5_SW_jjP12ihipStream_tbEUlT_E2_NS1_11comp_targetILNS1_3genE9ELNS1_11target_archE1100ELNS1_3gpuE3ELNS1_3repE0EEENS1_30default_config_static_selectorELNS0_4arch9wavefront6targetE0EEEvSK_.has_dyn_sized_stack, 0
	.set _ZN7rocprim17ROCPRIM_400000_NS6detail17trampoline_kernelINS0_14default_configENS1_36segmented_radix_sort_config_selectorIalEEZNS1_25segmented_radix_sort_implIS3_Lb0EPKaPaPKlPlN2at6native12_GLOBAL__N_18offset_tEEE10hipError_tPvRmT1_PNSt15iterator_traitsISK_E10value_typeET2_T3_PNSL_ISQ_E10value_typeET4_jRbjT5_SW_jjP12ihipStream_tbEUlT_E2_NS1_11comp_targetILNS1_3genE9ELNS1_11target_archE1100ELNS1_3gpuE3ELNS1_3repE0EEENS1_30default_config_static_selectorELNS0_4arch9wavefront6targetE0EEEvSK_.has_recursion, 0
	.set _ZN7rocprim17ROCPRIM_400000_NS6detail17trampoline_kernelINS0_14default_configENS1_36segmented_radix_sort_config_selectorIalEEZNS1_25segmented_radix_sort_implIS3_Lb0EPKaPaPKlPlN2at6native12_GLOBAL__N_18offset_tEEE10hipError_tPvRmT1_PNSt15iterator_traitsISK_E10value_typeET2_T3_PNSL_ISQ_E10value_typeET4_jRbjT5_SW_jjP12ihipStream_tbEUlT_E2_NS1_11comp_targetILNS1_3genE9ELNS1_11target_archE1100ELNS1_3gpuE3ELNS1_3repE0EEENS1_30default_config_static_selectorELNS0_4arch9wavefront6targetE0EEEvSK_.has_indirect_call, 0
	.section	.AMDGPU.csdata,"",@progbits
; Kernel info:
; codeLenInByte = 0
; TotalNumSgprs: 0
; NumVgprs: 0
; ScratchSize: 0
; MemoryBound: 0
; FloatMode: 240
; IeeeMode: 1
; LDSByteSize: 0 bytes/workgroup (compile time only)
; SGPRBlocks: 0
; VGPRBlocks: 0
; NumSGPRsForWavesPerEU: 1
; NumVGPRsForWavesPerEU: 1
; Occupancy: 16
; WaveLimiterHint : 0
; COMPUTE_PGM_RSRC2:SCRATCH_EN: 0
; COMPUTE_PGM_RSRC2:USER_SGPR: 6
; COMPUTE_PGM_RSRC2:TRAP_HANDLER: 0
; COMPUTE_PGM_RSRC2:TGID_X_EN: 1
; COMPUTE_PGM_RSRC2:TGID_Y_EN: 0
; COMPUTE_PGM_RSRC2:TGID_Z_EN: 0
; COMPUTE_PGM_RSRC2:TIDIG_COMP_CNT: 0
	.section	.text._ZN7rocprim17ROCPRIM_400000_NS6detail17trampoline_kernelINS0_14default_configENS1_36segmented_radix_sort_config_selectorIalEEZNS1_25segmented_radix_sort_implIS3_Lb0EPKaPaPKlPlN2at6native12_GLOBAL__N_18offset_tEEE10hipError_tPvRmT1_PNSt15iterator_traitsISK_E10value_typeET2_T3_PNSL_ISQ_E10value_typeET4_jRbjT5_SW_jjP12ihipStream_tbEUlT_E2_NS1_11comp_targetILNS1_3genE8ELNS1_11target_archE1030ELNS1_3gpuE2ELNS1_3repE0EEENS1_30default_config_static_selectorELNS0_4arch9wavefront6targetE0EEEvSK_,"axG",@progbits,_ZN7rocprim17ROCPRIM_400000_NS6detail17trampoline_kernelINS0_14default_configENS1_36segmented_radix_sort_config_selectorIalEEZNS1_25segmented_radix_sort_implIS3_Lb0EPKaPaPKlPlN2at6native12_GLOBAL__N_18offset_tEEE10hipError_tPvRmT1_PNSt15iterator_traitsISK_E10value_typeET2_T3_PNSL_ISQ_E10value_typeET4_jRbjT5_SW_jjP12ihipStream_tbEUlT_E2_NS1_11comp_targetILNS1_3genE8ELNS1_11target_archE1030ELNS1_3gpuE2ELNS1_3repE0EEENS1_30default_config_static_selectorELNS0_4arch9wavefront6targetE0EEEvSK_,comdat
	.globl	_ZN7rocprim17ROCPRIM_400000_NS6detail17trampoline_kernelINS0_14default_configENS1_36segmented_radix_sort_config_selectorIalEEZNS1_25segmented_radix_sort_implIS3_Lb0EPKaPaPKlPlN2at6native12_GLOBAL__N_18offset_tEEE10hipError_tPvRmT1_PNSt15iterator_traitsISK_E10value_typeET2_T3_PNSL_ISQ_E10value_typeET4_jRbjT5_SW_jjP12ihipStream_tbEUlT_E2_NS1_11comp_targetILNS1_3genE8ELNS1_11target_archE1030ELNS1_3gpuE2ELNS1_3repE0EEENS1_30default_config_static_selectorELNS0_4arch9wavefront6targetE0EEEvSK_ ; -- Begin function _ZN7rocprim17ROCPRIM_400000_NS6detail17trampoline_kernelINS0_14default_configENS1_36segmented_radix_sort_config_selectorIalEEZNS1_25segmented_radix_sort_implIS3_Lb0EPKaPaPKlPlN2at6native12_GLOBAL__N_18offset_tEEE10hipError_tPvRmT1_PNSt15iterator_traitsISK_E10value_typeET2_T3_PNSL_ISQ_E10value_typeET4_jRbjT5_SW_jjP12ihipStream_tbEUlT_E2_NS1_11comp_targetILNS1_3genE8ELNS1_11target_archE1030ELNS1_3gpuE2ELNS1_3repE0EEENS1_30default_config_static_selectorELNS0_4arch9wavefront6targetE0EEEvSK_
	.p2align	8
	.type	_ZN7rocprim17ROCPRIM_400000_NS6detail17trampoline_kernelINS0_14default_configENS1_36segmented_radix_sort_config_selectorIalEEZNS1_25segmented_radix_sort_implIS3_Lb0EPKaPaPKlPlN2at6native12_GLOBAL__N_18offset_tEEE10hipError_tPvRmT1_PNSt15iterator_traitsISK_E10value_typeET2_T3_PNSL_ISQ_E10value_typeET4_jRbjT5_SW_jjP12ihipStream_tbEUlT_E2_NS1_11comp_targetILNS1_3genE8ELNS1_11target_archE1030ELNS1_3gpuE2ELNS1_3repE0EEENS1_30default_config_static_selectorELNS0_4arch9wavefront6targetE0EEEvSK_,@function
_ZN7rocprim17ROCPRIM_400000_NS6detail17trampoline_kernelINS0_14default_configENS1_36segmented_radix_sort_config_selectorIalEEZNS1_25segmented_radix_sort_implIS3_Lb0EPKaPaPKlPlN2at6native12_GLOBAL__N_18offset_tEEE10hipError_tPvRmT1_PNSt15iterator_traitsISK_E10value_typeET2_T3_PNSL_ISQ_E10value_typeET4_jRbjT5_SW_jjP12ihipStream_tbEUlT_E2_NS1_11comp_targetILNS1_3genE8ELNS1_11target_archE1030ELNS1_3gpuE2ELNS1_3repE0EEENS1_30default_config_static_selectorELNS0_4arch9wavefront6targetE0EEEvSK_: ; @_ZN7rocprim17ROCPRIM_400000_NS6detail17trampoline_kernelINS0_14default_configENS1_36segmented_radix_sort_config_selectorIalEEZNS1_25segmented_radix_sort_implIS3_Lb0EPKaPaPKlPlN2at6native12_GLOBAL__N_18offset_tEEE10hipError_tPvRmT1_PNSt15iterator_traitsISK_E10value_typeET2_T3_PNSL_ISQ_E10value_typeET4_jRbjT5_SW_jjP12ihipStream_tbEUlT_E2_NS1_11comp_targetILNS1_3genE8ELNS1_11target_archE1030ELNS1_3gpuE2ELNS1_3repE0EEENS1_30default_config_static_selectorELNS0_4arch9wavefront6targetE0EEEvSK_
; %bb.0:
	s_add_u32 s0, s0, s8
	s_load_dwordx4 s[8:11], s[4:5], 0x34
	s_addc_u32 s1, s1, 0
	s_mov_b32 s32, 0
	s_waitcnt lgkmcnt(0)
	s_add_i32 s58, s9, s6
	s_add_i32 s59, s11, s6
	s_mul_i32 s58, s58, s8
	s_mul_i32 s59, s59, s10
	s_cmp_le_u32 s59, s58
	s_cbranch_scc1 .LBB427_1262
; %bb.1:
	s_clause 0x3
	s_load_dword s8, s[4:5], 0x30
	s_load_dwordx4 s[52:55], s[4:5], 0x20
	s_load_dwordx4 s[40:43], s[4:5], 0x44
	s_load_dwordx8 s[44:51], s[4:5], 0x0
	s_waitcnt lgkmcnt(0)
	s_bitcmp1_b32 s8, 0
	s_mov_b32 s8, -1
	s_cselect_b32 s43, -1, 0
	s_sub_i32 s60, s59, s58
	s_cmpk_lt_u32 s60, 0x1101
	s_cbranch_scc0 .LBB427_15
; %bb.2:
	s_cmpk_lt_u32 s60, 0x81
	s_cbranch_scc0 .LBB427_9
; %bb.3:
	s_load_dword s8, s[4:5], 0x5c
	s_mov_b32 s19, exec_lo
	s_waitcnt lgkmcnt(0)
	s_lshr_b32 s9, s8, 16
	s_and_b32 s8, s8, 0xffff
	v_mad_u32_u24 v3, v2, s9, v1
	v_mad_u64_u32 v[3:4], null, v3, s8, v[0:1]
	v_cmpx_gt_u32_e32 32, v3
	s_cbranch_execz .LBB427_8
; %bb.4:
	v_cndmask_b32_e64 v3, 0, 1, s43
	s_and_b32 s8, s40, 1
	v_cmp_ne_u32_e32 vcc_lo, s8, v3
	s_mov_b32 s8, -1
	s_cbranch_vccnz .LBB427_6
; %bb.5:
	v_lshlrev_b32_e32 v3, 20, v2
	v_lshlrev_b32_e32 v4, 10, v1
	s_mov_b64 s[10:11], src_shared_base
	v_mov_b32_e32 v40, v0
	v_mov_b32_e32 v41, v1
	;; [unrolled: 1-line block ×3, first 2 shown]
	v_or3_b32 v31, v0, v4, v3
	v_mov_b32_e32 v0, s44
	v_mov_b32_e32 v42, v2
	;; [unrolled: 1-line block ×14, first 2 shown]
	s_add_u32 s8, s4, 0x50
	s_addc_u32 s9, s5, 0
	s_getpc_b64 s[14:15]
	s_add_u32 s14, s14, _ZN7rocprim17ROCPRIM_400000_NS6detail26segmented_warp_sort_helperINS1_20WarpSortHelperConfigILj32ELj4ELj256EEEalLi256ELb0EvE4sortIPKaPaPKlPlEEvT_T0_T1_T2_jjjjRNS5_12storage_typeE@rel32@lo+4
	s_addc_u32 s15, s15, _ZN7rocprim17ROCPRIM_400000_NS6detail26segmented_warp_sort_helperINS1_20WarpSortHelperConfigILj32ELj4ELj256EEEalLi256ELb0EvE4sortIPKaPaPKlPlEEvT_T0_T1_T2_jjjjRNS5_12storage_typeE@rel32@hi+12
	s_mov_b32 s12, s6
	s_mov_b32 s13, s7
	s_mov_b64 s[20:21], s[4:5]
	s_mov_b32 s22, s7
	s_mov_b32 s23, s6
	s_swappc_b64 s[30:31], s[14:15]
	v_mov_b32_e32 v1, v41
	v_mov_b32_e32 v2, v42
	;; [unrolled: 1-line block ×3, first 2 shown]
	s_mov_b32 s6, s23
	s_mov_b32 s7, s22
	s_mov_b64 s[4:5], s[20:21]
	s_mov_b32 s8, 0
.LBB427_6:
	s_andn2_b32 vcc_lo, exec_lo, s8
	s_cbranch_vccnz .LBB427_8
; %bb.7:
	v_lshlrev_b32_e32 v3, 20, v2
	v_lshlrev_b32_e32 v4, 10, v1
	s_mov_b64 s[10:11], src_shared_base
	v_mov_b32_e32 v40, v0
	v_mov_b32_e32 v41, v1
	;; [unrolled: 1-line block ×3, first 2 shown]
	v_or3_b32 v31, v0, v4, v3
	v_mov_b32_e32 v0, s44
	v_mov_b32_e32 v42, v2
	;; [unrolled: 1-line block ×14, first 2 shown]
	s_add_u32 s8, s4, 0x50
	s_addc_u32 s9, s5, 0
	s_getpc_b64 s[14:15]
	s_add_u32 s14, s14, _ZN7rocprim17ROCPRIM_400000_NS6detail26segmented_warp_sort_helperINS1_20WarpSortHelperConfigILj32ELj4ELj256EEEalLi256ELb0EvE4sortIPKaPaPKlPlEEvT_T0_T1_T2_jjjjRNS5_12storage_typeE@rel32@lo+4
	s_addc_u32 s15, s15, _ZN7rocprim17ROCPRIM_400000_NS6detail26segmented_warp_sort_helperINS1_20WarpSortHelperConfigILj32ELj4ELj256EEEalLi256ELb0EvE4sortIPKaPaPKlPlEEvT_T0_T1_T2_jjjjRNS5_12storage_typeE@rel32@hi+12
	s_mov_b32 s12, s6
	s_mov_b32 s13, s7
	s_mov_b64 s[20:21], s[4:5]
	s_mov_b32 s23, s7
	s_mov_b32 s22, s6
	s_swappc_b64 s[30:31], s[14:15]
	v_mov_b32_e32 v1, v41
	v_mov_b32_e32 v2, v42
	;; [unrolled: 1-line block ×3, first 2 shown]
	s_mov_b32 s6, s22
	s_mov_b32 s7, s23
	s_mov_b64 s[4:5], s[20:21]
.LBB427_8:
	s_or_b32 exec_lo, exec_lo, s19
	s_mov_b32 s8, 0
.LBB427_9:
	s_andn2_b32 vcc_lo, exec_lo, s8
	s_cbranch_vccnz .LBB427_14
; %bb.10:
	v_cndmask_b32_e64 v3, 0, 1, s43
	s_and_b32 s8, s40, 1
	v_lshlrev_b32_e32 v41, 20, v2
	v_lshlrev_b32_e32 v42, 10, v1
	v_cmp_ne_u32_e32 vcc_lo, s8, v3
	s_mov_b32 s8, -1
	s_cbranch_vccnz .LBB427_12
; %bb.11:
	s_mov_b64 s[10:11], src_shared_base
	v_or3_b32 v31, v0, v42, v41
	v_mov_b32_e32 v40, v0
	v_mov_b32_e32 v0, s44
	;; [unrolled: 1-line block ×17, first 2 shown]
	s_add_u32 s8, s4, 0x50
	s_addc_u32 s9, s5, 0
	s_getpc_b64 s[14:15]
	s_add_u32 s14, s14, _ZN7rocprim17ROCPRIM_400000_NS6detail40segmented_radix_sort_single_block_helperIalLj256ELj17ELb0EE4sortIPKaPaPKlPlEEbT_T0_T1_T2_jjjjRNS3_12storage_typeE@rel32@lo+4
	s_addc_u32 s15, s15, _ZN7rocprim17ROCPRIM_400000_NS6detail40segmented_radix_sort_single_block_helperIalLj256ELj17ELb0EE4sortIPKaPaPKlPlEEbT_T0_T1_T2_jjjjRNS3_12storage_typeE@rel32@hi+12
	s_mov_b32 s12, s6
	s_mov_b32 s13, s7
	s_mov_b64 s[28:29], s[4:5]
	s_mov_b32 s33, s7
	s_mov_b32 s34, s6
	s_swappc_b64 s[30:31], s[14:15]
	v_mov_b32_e32 v1, v43
	v_mov_b32_e32 v2, v44
	v_mov_b32_e32 v0, v40
	s_mov_b32 s6, s34
	s_mov_b32 s7, s33
	s_mov_b64 s[4:5], s[28:29]
	s_mov_b32 s8, 0
.LBB427_12:
	s_andn2_b32 vcc_lo, exec_lo, s8
	s_cbranch_vccnz .LBB427_14
; %bb.13:
	s_mov_b64 s[10:11], src_shared_base
	v_or3_b32 v31, v0, v42, v41
	v_mov_b32_e32 v40, v0
	v_mov_b32_e32 v0, s44
	;; [unrolled: 1-line block ×17, first 2 shown]
	s_add_u32 s8, s4, 0x50
	s_addc_u32 s9, s5, 0
	s_getpc_b64 s[14:15]
	s_add_u32 s14, s14, _ZN7rocprim17ROCPRIM_400000_NS6detail40segmented_radix_sort_single_block_helperIalLj256ELj17ELb0EE4sortIPKaPaPKlPlEEbT_T0_T1_T2_jjjjRNS3_12storage_typeE@rel32@lo+4
	s_addc_u32 s15, s15, _ZN7rocprim17ROCPRIM_400000_NS6detail40segmented_radix_sort_single_block_helperIalLj256ELj17ELb0EE4sortIPKaPaPKlPlEEbT_T0_T1_T2_jjjjRNS3_12storage_typeE@rel32@hi+12
	s_mov_b32 s12, s6
	s_mov_b32 s13, s7
	s_mov_b64 s[28:29], s[4:5]
	s_mov_b32 s34, s7
	s_mov_b32 s33, s6
	s_swappc_b64 s[30:31], s[14:15]
	v_mov_b32_e32 v1, v41
	v_mov_b32_e32 v2, v42
	;; [unrolled: 1-line block ×3, first 2 shown]
	s_mov_b32 s6, s33
	s_mov_b32 s7, s34
	s_mov_b64 s[4:5], s[28:29]
.LBB427_14:
	s_mov_b32 s8, 0
.LBB427_15:
	s_andn2_b32 vcc_lo, exec_lo, s8
	s_cbranch_vccnz .LBB427_1262
; %bb.16:
	s_cmp_ge_u32 s41, s42
	s_cbranch_scc1 .LBB427_1262
; %bb.17:
	v_lshlrev_b32_e32 v43, 2, v0
	v_and_b32_e32 v3, 3, v0
	v_and_b32_e32 v5, 0xe0, v0
	s_add_u32 s56, s4, 0x50
	v_lshrrev_b32_e32 v7, 3, v0
	v_mad_u32_u24 v64, v0, 12, v43
	v_lshlrev_b32_e32 v63, 2, v3
	v_min_u32_e32 v6, 0x60, v5
	v_or_b32_e32 v3, 31, v5
	v_mul_u32_u24_e32 v68, 17, v5
	v_add_nc_u32_e32 v69, v64, v43
	v_lshlrev_b32_e32 v5, 4, v0
	v_or_b32_e32 v6, 31, v6
	v_cmp_eq_u32_e64 s4, v0, v3
	v_add_nc_u32_e32 v3, 1, v0
	v_mbcnt_lo_u32_b32 v86, -1, 0
	v_sub_nc_u32_e32 v70, v69, v5
	v_lshlrev_b32_e32 v5, 3, v68
	v_cmp_eq_u32_e64 s9, v0, v6
	v_mul_u32_u24_e32 v71, 36, v3
	v_cmp_ne_u32_e64 s14, 0x80, v3
	v_and_b32_e32 v62, 28, v7
	v_add_co_u32 v73, s15, s54, v5
	v_add_co_ci_u32_e64 v74, null, s55, 0, s15
	v_add_co_u32 v3, s15, s48, v68
	v_add_co_ci_u32_e64 v6, null, s49, 0, s15
	;; [unrolled: 2-line block ×6, first 2 shown]
	v_add_co_u32 v84, s15, s50, v5
	v_add_co_u32 v45, s8, s48, v0
	v_add_co_ci_u32_e64 v85, null, s51, 0, s15
	v_add_co_u32 v87, s15, s44, v68
	v_add_co_u32 v90, vcc_lo, v3, v86
	v_mov_b32_e32 v4, 0
	v_or_b32_e32 v44, 0x100, v0
	v_add_co_ci_u32_e64 v46, null, s49, 0, s8
	v_or_b32_e32 v47, 0x200, v0
	v_or_b32_e32 v48, 0x300, v0
	;; [unrolled: 1-line block ×15, first 2 shown]
	v_cmp_gt_u32_e64 s8, 0x80, v0
	v_or_b32_e32 v65, 0x8a00, v62
	v_cmp_gt_u32_e64 s10, 4, v0
	v_add_nc_u32_e32 v66, 0x8a00, v43
	v_cmp_lt_u32_e64 s11, 31, v0
	v_add_nc_u32_e32 v67, 0x89fc, v62
	v_cmp_gt_u32_e64 s12, 8, v0
	v_cmp_eq_u32_e64 s13, 0, v0
	v_lshlrev_b32_e32 v72, 5, v0
	v_mul_u32_u24_e32 v75, 7, v0
	v_add_co_ci_u32_e64 v88, null, s45, 0, s15
	v_mov_b32_e32 v89, 1
	v_add_co_ci_u32_e64 v91, null, 0, v6, vcc_lo
	v_mov_b32_e32 v92, 0xffff
	v_mov_b32_e32 v93, 0x80
	s_addc_u32 s57, s5, 0
	s_mov_b32 s51, 0
	s_mov_b32 s61, s41
	s_branch .LBB427_20
.LBB427_18:                             ;   in Loop: Header=BB427_20 Depth=1
	s_waitcnt lgkmcnt(0)
	s_barrier
.LBB427_19:                             ;   in Loop: Header=BB427_20 Depth=1
	s_add_i32 s61, s61, 7
	buffer_gl0_inv
	s_cmp_ge_u32 s61, s42
	s_cbranch_scc1 .LBB427_1262
.LBB427_20:                             ; =>This Loop Header: Depth=1
                                        ;     Child Loop BB427_24 Depth 2
                                        ;     Child Loop BB427_108 Depth 2
	;; [unrolled: 1-line block ×8, first 2 shown]
	s_sub_i32 s5, s42, s61
	s_xor_b32 s43, s43, -1
	s_min_u32 s5, s5, 7
	ds_write2st64_b32 v43, v4, v4 offset1:4
	s_lshl_b32 s5, -1, s5
	s_waitcnt lgkmcnt(0)
	s_waitcnt_vscnt null, 0x0
	s_not_b32 s62, s5
	s_cmp_lg_u32 s61, s41
	s_mov_b32 s5, -1
	s_cbranch_scc0 .LBB427_642
; %bb.21:                               ;   in Loop: Header=BB427_20 Depth=1
	s_and_b32 vcc_lo, exec_lo, s43
	s_cbranch_vccz .LBB427_331
; %bb.22:                               ;   in Loop: Header=BB427_20 Depth=1
	v_mov_b32_e32 v17, 0
	v_mov_b32_e32 v20, 0
	;; [unrolled: 1-line block ×17, first 2 shown]
	s_mov_b32 s5, s60
	s_mov_b32 s17, s58
	s_barrier
	buffer_gl0_inv
	s_branch .LBB427_24
.LBB427_23:                             ;   in Loop: Header=BB427_24 Depth=2
	s_or_b32 exec_lo, exec_lo, s16
	s_addk_i32 s5, 0xef00
	s_cmp_ge_u32 s15, s59
	s_mov_b32 s17, s15
	s_cbranch_scc1 .LBB427_96
.LBB427_24:                             ;   Parent Loop BB427_20 Depth=1
                                        ; =>  This Inner Loop Header: Depth=2
	s_add_i32 s15, s17, 0x1100
	s_mov_b32 s16, -1
	s_cmp_gt_u32 s15, s59
                                        ; implicit-def: $vgpr21
                                        ; implicit-def: $vgpr22
                                        ; implicit-def: $vgpr23
                                        ; implicit-def: $vgpr24
                                        ; implicit-def: $vgpr25
                                        ; implicit-def: $vgpr26
                                        ; implicit-def: $vgpr27
                                        ; implicit-def: $vgpr28
                                        ; implicit-def: $vgpr29
                                        ; implicit-def: $vgpr30
                                        ; implicit-def: $vgpr31
                                        ; implicit-def: $vgpr32
                                        ; implicit-def: $vgpr33
                                        ; implicit-def: $vgpr34
                                        ; implicit-def: $vgpr35
                                        ; implicit-def: $vgpr36
                                        ; implicit-def: $vgpr37
	s_cbranch_scc1 .LBB427_26
; %bb.25:                               ;   in Loop: Header=BB427_24 Depth=2
	v_add_co_u32 v38, vcc_lo, v45, s17
	v_add_co_ci_u32_e64 v39, null, 0, v46, vcc_lo
	s_mov_b32 s16, 0
	v_add_co_u32 v21, vcc_lo, 0x800, v38
	v_add_co_ci_u32_e64 v22, null, 0, v39, vcc_lo
	v_add_co_u32 v23, vcc_lo, 0x1000, v38
	v_add_co_ci_u32_e64 v24, null, 0, v39, vcc_lo
	s_clause 0x10
	global_load_ubyte v36, v[21:22], off offset:1792
	global_load_ubyte v37, v[23:24], off
	global_load_ubyte v35, v[21:22], off offset:1536
	global_load_ubyte v34, v[21:22], off offset:1280
	;; [unrolled: 1-line block ×6, first 2 shown]
	global_load_ubyte v29, v[21:22], off
	global_load_ubyte v28, v[38:39], off offset:1792
	global_load_ubyte v27, v[38:39], off offset:1536
	;; [unrolled: 1-line block ×7, first 2 shown]
	global_load_ubyte v21, v[38:39], off
.LBB427_26:                             ;   in Loop: Header=BB427_24 Depth=2
	s_andn2_b32 vcc_lo, exec_lo, s16
	s_movk_i32 s16, 0x1100
	s_cbranch_vccnz .LBB427_46
; %bb.27:                               ;   in Loop: Header=BB427_24 Depth=2
	s_add_u32 s16, s48, s17
	s_addc_u32 s17, s49, 0
	s_mov_b32 s18, exec_lo
	v_cmpx_gt_u32_e64 s5, v0
	s_cbranch_execnz .LBB427_80
; %bb.28:                               ;   in Loop: Header=BB427_24 Depth=2
	s_or_b32 exec_lo, exec_lo, s18
	s_mov_b32 s18, exec_lo
	v_cmpx_gt_u32_e64 s5, v44
	s_cbranch_execnz .LBB427_81
.LBB427_29:                             ;   in Loop: Header=BB427_24 Depth=2
	s_or_b32 exec_lo, exec_lo, s18
	s_mov_b32 s18, exec_lo
	v_cmpx_gt_u32_e64 s5, v47
	s_cbranch_execnz .LBB427_82
.LBB427_30:                             ;   in Loop: Header=BB427_24 Depth=2
	s_or_b32 exec_lo, exec_lo, s18
	s_mov_b32 s18, exec_lo
	v_cmpx_gt_u32_e64 s5, v48
	s_cbranch_execnz .LBB427_83
.LBB427_31:                             ;   in Loop: Header=BB427_24 Depth=2
	s_or_b32 exec_lo, exec_lo, s18
	s_mov_b32 s18, exec_lo
	v_cmpx_gt_u32_e64 s5, v49
	s_cbranch_execnz .LBB427_84
.LBB427_32:                             ;   in Loop: Header=BB427_24 Depth=2
	s_or_b32 exec_lo, exec_lo, s18
	s_mov_b32 s18, exec_lo
	v_cmpx_gt_u32_e64 s5, v50
	s_cbranch_execnz .LBB427_85
.LBB427_33:                             ;   in Loop: Header=BB427_24 Depth=2
	s_or_b32 exec_lo, exec_lo, s18
	s_mov_b32 s18, exec_lo
	v_cmpx_gt_u32_e64 s5, v51
	s_cbranch_execnz .LBB427_86
.LBB427_34:                             ;   in Loop: Header=BB427_24 Depth=2
	s_or_b32 exec_lo, exec_lo, s18
	s_mov_b32 s18, exec_lo
	v_cmpx_gt_u32_e64 s5, v52
	s_cbranch_execnz .LBB427_87
.LBB427_35:                             ;   in Loop: Header=BB427_24 Depth=2
	s_or_b32 exec_lo, exec_lo, s18
	s_mov_b32 s18, exec_lo
	v_cmpx_gt_u32_e64 s5, v53
	s_cbranch_execnz .LBB427_88
.LBB427_36:                             ;   in Loop: Header=BB427_24 Depth=2
	s_or_b32 exec_lo, exec_lo, s18
	s_mov_b32 s18, exec_lo
	v_cmpx_gt_u32_e64 s5, v54
	s_cbranch_execnz .LBB427_89
.LBB427_37:                             ;   in Loop: Header=BB427_24 Depth=2
	s_or_b32 exec_lo, exec_lo, s18
	s_mov_b32 s18, exec_lo
	v_cmpx_gt_u32_e64 s5, v55
	s_cbranch_execnz .LBB427_90
.LBB427_38:                             ;   in Loop: Header=BB427_24 Depth=2
	s_or_b32 exec_lo, exec_lo, s18
	s_mov_b32 s18, exec_lo
	v_cmpx_gt_u32_e64 s5, v56
	s_cbranch_execnz .LBB427_91
.LBB427_39:                             ;   in Loop: Header=BB427_24 Depth=2
	s_or_b32 exec_lo, exec_lo, s18
	s_mov_b32 s18, exec_lo
	v_cmpx_gt_u32_e64 s5, v57
	s_cbranch_execnz .LBB427_92
.LBB427_40:                             ;   in Loop: Header=BB427_24 Depth=2
	s_or_b32 exec_lo, exec_lo, s18
	s_mov_b32 s18, exec_lo
	v_cmpx_gt_u32_e64 s5, v58
	s_cbranch_execnz .LBB427_93
.LBB427_41:                             ;   in Loop: Header=BB427_24 Depth=2
	s_or_b32 exec_lo, exec_lo, s18
	s_mov_b32 s18, exec_lo
	v_cmpx_gt_u32_e64 s5, v59
	s_cbranch_execnz .LBB427_94
.LBB427_42:                             ;   in Loop: Header=BB427_24 Depth=2
	s_or_b32 exec_lo, exec_lo, s18
	s_mov_b32 s18, exec_lo
	v_cmpx_gt_u32_e64 s5, v60
	s_cbranch_execnz .LBB427_95
.LBB427_43:                             ;   in Loop: Header=BB427_24 Depth=2
	s_or_b32 exec_lo, exec_lo, s18
	s_mov_b32 s18, exec_lo
	v_cmpx_gt_u32_e64 s5, v61
	s_cbranch_execz .LBB427_45
.LBB427_44:                             ;   in Loop: Header=BB427_24 Depth=2
	s_waitcnt vmcnt(0)
	v_add_co_u32 v21, s16, s16, v61
	v_add_co_ci_u32_e64 v22, null, s17, 0, s16
	global_load_ubyte v3, v[21:22], off
.LBB427_45:                             ;   in Loop: Header=BB427_24 Depth=2
	s_or_b32 exec_lo, exec_lo, s18
	s_waitcnt vmcnt(0)
	v_mov_b32_e32 v21, v17
	v_mov_b32_e32 v22, v20
	v_mov_b32_e32 v23, v19
	v_mov_b32_e32 v24, v18
	v_mov_b32_e32 v25, v16
	v_mov_b32_e32 v26, v15
	v_mov_b32_e32 v27, v14
	v_mov_b32_e32 v28, v13
	v_mov_b32_e32 v29, v12
	v_mov_b32_e32 v30, v11
	v_mov_b32_e32 v31, v10
	v_mov_b32_e32 v32, v9
	v_mov_b32_e32 v33, v8
	v_mov_b32_e32 v34, v7
	v_mov_b32_e32 v35, v6
	v_mov_b32_e32 v36, v5
	v_mov_b32_e32 v37, v3
	s_mov_b32 s16, s5
.LBB427_46:                             ;   in Loop: Header=BB427_24 Depth=2
	s_waitcnt vmcnt(15)
	v_mov_b32_e32 v3, v37
	v_mov_b32_e32 v5, v36
	s_waitcnt vmcnt(14)
	v_mov_b32_e32 v6, v35
	s_waitcnt vmcnt(13)
	;; [unrolled: 2-line block ×15, first 2 shown]
	v_mov_b32_e32 v17, v21
	s_mov_b32 s17, exec_lo
	v_cmpx_gt_u32_e64 s16, v0
	s_cbranch_execnz .LBB427_63
; %bb.47:                               ;   in Loop: Header=BB427_24 Depth=2
	s_or_b32 exec_lo, exec_lo, s17
	s_mov_b32 s17, exec_lo
	v_cmpx_gt_u32_e64 s16, v44
	s_cbranch_execnz .LBB427_64
.LBB427_48:                             ;   in Loop: Header=BB427_24 Depth=2
	s_or_b32 exec_lo, exec_lo, s17
	s_mov_b32 s17, exec_lo
	v_cmpx_gt_u32_e64 s16, v47
	s_cbranch_execnz .LBB427_65
.LBB427_49:                             ;   in Loop: Header=BB427_24 Depth=2
	s_or_b32 exec_lo, exec_lo, s17
	s_mov_b32 s17, exec_lo
	v_cmpx_gt_u32_e64 s16, v48
	s_cbranch_execnz .LBB427_66
.LBB427_50:                             ;   in Loop: Header=BB427_24 Depth=2
	s_or_b32 exec_lo, exec_lo, s17
	s_mov_b32 s17, exec_lo
	v_cmpx_gt_u32_e64 s16, v49
	s_cbranch_execnz .LBB427_67
.LBB427_51:                             ;   in Loop: Header=BB427_24 Depth=2
	s_or_b32 exec_lo, exec_lo, s17
	s_mov_b32 s17, exec_lo
	v_cmpx_gt_u32_e64 s16, v50
	s_cbranch_execnz .LBB427_68
.LBB427_52:                             ;   in Loop: Header=BB427_24 Depth=2
	s_or_b32 exec_lo, exec_lo, s17
	s_mov_b32 s17, exec_lo
	v_cmpx_gt_u32_e64 s16, v51
	s_cbranch_execnz .LBB427_69
.LBB427_53:                             ;   in Loop: Header=BB427_24 Depth=2
	s_or_b32 exec_lo, exec_lo, s17
	s_mov_b32 s17, exec_lo
	v_cmpx_gt_u32_e64 s16, v52
	s_cbranch_execnz .LBB427_70
.LBB427_54:                             ;   in Loop: Header=BB427_24 Depth=2
	s_or_b32 exec_lo, exec_lo, s17
	s_mov_b32 s17, exec_lo
	v_cmpx_gt_u32_e64 s16, v53
	s_cbranch_execnz .LBB427_71
.LBB427_55:                             ;   in Loop: Header=BB427_24 Depth=2
	s_or_b32 exec_lo, exec_lo, s17
	s_mov_b32 s17, exec_lo
	v_cmpx_gt_u32_e64 s16, v54
	s_cbranch_execnz .LBB427_72
.LBB427_56:                             ;   in Loop: Header=BB427_24 Depth=2
	s_or_b32 exec_lo, exec_lo, s17
	s_mov_b32 s17, exec_lo
	v_cmpx_gt_u32_e64 s16, v55
	s_cbranch_execnz .LBB427_73
.LBB427_57:                             ;   in Loop: Header=BB427_24 Depth=2
	s_or_b32 exec_lo, exec_lo, s17
	s_mov_b32 s17, exec_lo
	v_cmpx_gt_u32_e64 s16, v56
	s_cbranch_execnz .LBB427_74
.LBB427_58:                             ;   in Loop: Header=BB427_24 Depth=2
	s_or_b32 exec_lo, exec_lo, s17
	s_mov_b32 s17, exec_lo
	v_cmpx_gt_u32_e64 s16, v57
	s_cbranch_execnz .LBB427_75
.LBB427_59:                             ;   in Loop: Header=BB427_24 Depth=2
	s_or_b32 exec_lo, exec_lo, s17
	s_mov_b32 s17, exec_lo
	v_cmpx_gt_u32_e64 s16, v58
	s_cbranch_execnz .LBB427_76
.LBB427_60:                             ;   in Loop: Header=BB427_24 Depth=2
	s_or_b32 exec_lo, exec_lo, s17
	s_mov_b32 s17, exec_lo
	v_cmpx_gt_u32_e64 s16, v59
	s_cbranch_execnz .LBB427_77
.LBB427_61:                             ;   in Loop: Header=BB427_24 Depth=2
	s_or_b32 exec_lo, exec_lo, s17
	s_mov_b32 s17, exec_lo
	v_cmpx_gt_u32_e64 s16, v60
	s_cbranch_execnz .LBB427_78
.LBB427_62:                             ;   in Loop: Header=BB427_24 Depth=2
	s_or_b32 exec_lo, exec_lo, s17
	v_cmp_gt_u32_e32 vcc_lo, s16, v61
	s_and_saveexec_b32 s16, vcc_lo
	s_cbranch_execz .LBB427_23
	s_branch .LBB427_79
.LBB427_63:                             ;   in Loop: Header=BB427_24 Depth=2
	v_xor_b32_e32 v21, 0x80, v17
	v_lshrrev_b32_sdwa v21, s61, v21 dst_sel:DWORD dst_unused:UNUSED_PAD src0_sel:DWORD src1_sel:BYTE_0
	v_and_b32_e32 v21, s62, v21
	v_lshl_or_b32 v21, v21, 4, v63
	ds_add_u32 v21, v89
	s_or_b32 exec_lo, exec_lo, s17
	s_mov_b32 s17, exec_lo
	v_cmpx_gt_u32_e64 s16, v44
	s_cbranch_execz .LBB427_48
.LBB427_64:                             ;   in Loop: Header=BB427_24 Depth=2
	v_xor_b32_e32 v21, 0x80, v20
	v_lshrrev_b32_sdwa v21, s61, v21 dst_sel:DWORD dst_unused:UNUSED_PAD src0_sel:DWORD src1_sel:BYTE_0
	v_and_b32_e32 v21, s62, v21
	v_lshl_or_b32 v21, v21, 4, v63
	ds_add_u32 v21, v89
	s_or_b32 exec_lo, exec_lo, s17
	s_mov_b32 s17, exec_lo
	v_cmpx_gt_u32_e64 s16, v47
	s_cbranch_execz .LBB427_49
.LBB427_65:                             ;   in Loop: Header=BB427_24 Depth=2
	v_xor_b32_e32 v21, 0x80, v19
	v_lshrrev_b32_sdwa v21, s61, v21 dst_sel:DWORD dst_unused:UNUSED_PAD src0_sel:DWORD src1_sel:BYTE_0
	v_and_b32_e32 v21, s62, v21
	v_lshl_or_b32 v21, v21, 4, v63
	ds_add_u32 v21, v89
	s_or_b32 exec_lo, exec_lo, s17
	s_mov_b32 s17, exec_lo
	v_cmpx_gt_u32_e64 s16, v48
	s_cbranch_execz .LBB427_50
.LBB427_66:                             ;   in Loop: Header=BB427_24 Depth=2
	v_xor_b32_e32 v21, 0x80, v18
	v_lshrrev_b32_sdwa v21, s61, v21 dst_sel:DWORD dst_unused:UNUSED_PAD src0_sel:DWORD src1_sel:BYTE_0
	v_and_b32_e32 v21, s62, v21
	v_lshl_or_b32 v21, v21, 4, v63
	ds_add_u32 v21, v89
	s_or_b32 exec_lo, exec_lo, s17
	s_mov_b32 s17, exec_lo
	v_cmpx_gt_u32_e64 s16, v49
	s_cbranch_execz .LBB427_51
.LBB427_67:                             ;   in Loop: Header=BB427_24 Depth=2
	v_xor_b32_e32 v21, 0x80, v16
	v_lshrrev_b32_sdwa v21, s61, v21 dst_sel:DWORD dst_unused:UNUSED_PAD src0_sel:DWORD src1_sel:BYTE_0
	v_and_b32_e32 v21, s62, v21
	v_lshl_or_b32 v21, v21, 4, v63
	ds_add_u32 v21, v89
	s_or_b32 exec_lo, exec_lo, s17
	s_mov_b32 s17, exec_lo
	v_cmpx_gt_u32_e64 s16, v50
	s_cbranch_execz .LBB427_52
.LBB427_68:                             ;   in Loop: Header=BB427_24 Depth=2
	v_xor_b32_e32 v21, 0x80, v15
	v_lshrrev_b32_sdwa v21, s61, v21 dst_sel:DWORD dst_unused:UNUSED_PAD src0_sel:DWORD src1_sel:BYTE_0
	v_and_b32_e32 v21, s62, v21
	v_lshl_or_b32 v21, v21, 4, v63
	ds_add_u32 v21, v89
	s_or_b32 exec_lo, exec_lo, s17
	s_mov_b32 s17, exec_lo
	v_cmpx_gt_u32_e64 s16, v51
	s_cbranch_execz .LBB427_53
.LBB427_69:                             ;   in Loop: Header=BB427_24 Depth=2
	v_xor_b32_e32 v21, 0x80, v14
	v_lshrrev_b32_sdwa v21, s61, v21 dst_sel:DWORD dst_unused:UNUSED_PAD src0_sel:DWORD src1_sel:BYTE_0
	v_and_b32_e32 v21, s62, v21
	v_lshl_or_b32 v21, v21, 4, v63
	ds_add_u32 v21, v89
	s_or_b32 exec_lo, exec_lo, s17
	s_mov_b32 s17, exec_lo
	v_cmpx_gt_u32_e64 s16, v52
	s_cbranch_execz .LBB427_54
.LBB427_70:                             ;   in Loop: Header=BB427_24 Depth=2
	v_xor_b32_e32 v21, 0x80, v13
	v_lshrrev_b32_sdwa v21, s61, v21 dst_sel:DWORD dst_unused:UNUSED_PAD src0_sel:DWORD src1_sel:BYTE_0
	v_and_b32_e32 v21, s62, v21
	v_lshl_or_b32 v21, v21, 4, v63
	ds_add_u32 v21, v89
	s_or_b32 exec_lo, exec_lo, s17
	s_mov_b32 s17, exec_lo
	v_cmpx_gt_u32_e64 s16, v53
	s_cbranch_execz .LBB427_55
.LBB427_71:                             ;   in Loop: Header=BB427_24 Depth=2
	v_xor_b32_e32 v21, 0x80, v12
	v_lshrrev_b32_sdwa v21, s61, v21 dst_sel:DWORD dst_unused:UNUSED_PAD src0_sel:DWORD src1_sel:BYTE_0
	v_and_b32_e32 v21, s62, v21
	v_lshl_or_b32 v21, v21, 4, v63
	ds_add_u32 v21, v89
	s_or_b32 exec_lo, exec_lo, s17
	s_mov_b32 s17, exec_lo
	v_cmpx_gt_u32_e64 s16, v54
	s_cbranch_execz .LBB427_56
.LBB427_72:                             ;   in Loop: Header=BB427_24 Depth=2
	v_xor_b32_e32 v21, 0x80, v11
	v_lshrrev_b32_sdwa v21, s61, v21 dst_sel:DWORD dst_unused:UNUSED_PAD src0_sel:DWORD src1_sel:BYTE_0
	v_and_b32_e32 v21, s62, v21
	v_lshl_or_b32 v21, v21, 4, v63
	ds_add_u32 v21, v89
	s_or_b32 exec_lo, exec_lo, s17
	s_mov_b32 s17, exec_lo
	v_cmpx_gt_u32_e64 s16, v55
	s_cbranch_execz .LBB427_57
.LBB427_73:                             ;   in Loop: Header=BB427_24 Depth=2
	v_xor_b32_e32 v21, 0x80, v10
	v_lshrrev_b32_sdwa v21, s61, v21 dst_sel:DWORD dst_unused:UNUSED_PAD src0_sel:DWORD src1_sel:BYTE_0
	v_and_b32_e32 v21, s62, v21
	v_lshl_or_b32 v21, v21, 4, v63
	ds_add_u32 v21, v89
	s_or_b32 exec_lo, exec_lo, s17
	s_mov_b32 s17, exec_lo
	v_cmpx_gt_u32_e64 s16, v56
	s_cbranch_execz .LBB427_58
.LBB427_74:                             ;   in Loop: Header=BB427_24 Depth=2
	v_xor_b32_e32 v21, 0x80, v9
	v_lshrrev_b32_sdwa v21, s61, v21 dst_sel:DWORD dst_unused:UNUSED_PAD src0_sel:DWORD src1_sel:BYTE_0
	v_and_b32_e32 v21, s62, v21
	v_lshl_or_b32 v21, v21, 4, v63
	ds_add_u32 v21, v89
	s_or_b32 exec_lo, exec_lo, s17
	s_mov_b32 s17, exec_lo
	v_cmpx_gt_u32_e64 s16, v57
	s_cbranch_execz .LBB427_59
.LBB427_75:                             ;   in Loop: Header=BB427_24 Depth=2
	v_xor_b32_e32 v21, 0x80, v8
	v_lshrrev_b32_sdwa v21, s61, v21 dst_sel:DWORD dst_unused:UNUSED_PAD src0_sel:DWORD src1_sel:BYTE_0
	v_and_b32_e32 v21, s62, v21
	v_lshl_or_b32 v21, v21, 4, v63
	ds_add_u32 v21, v89
	s_or_b32 exec_lo, exec_lo, s17
	s_mov_b32 s17, exec_lo
	v_cmpx_gt_u32_e64 s16, v58
	s_cbranch_execz .LBB427_60
.LBB427_76:                             ;   in Loop: Header=BB427_24 Depth=2
	v_xor_b32_e32 v21, 0x80, v7
	v_lshrrev_b32_sdwa v21, s61, v21 dst_sel:DWORD dst_unused:UNUSED_PAD src0_sel:DWORD src1_sel:BYTE_0
	v_and_b32_e32 v21, s62, v21
	v_lshl_or_b32 v21, v21, 4, v63
	ds_add_u32 v21, v89
	s_or_b32 exec_lo, exec_lo, s17
	s_mov_b32 s17, exec_lo
	v_cmpx_gt_u32_e64 s16, v59
	s_cbranch_execz .LBB427_61
.LBB427_77:                             ;   in Loop: Header=BB427_24 Depth=2
	v_xor_b32_e32 v21, 0x80, v6
	v_lshrrev_b32_sdwa v21, s61, v21 dst_sel:DWORD dst_unused:UNUSED_PAD src0_sel:DWORD src1_sel:BYTE_0
	v_and_b32_e32 v21, s62, v21
	v_lshl_or_b32 v21, v21, 4, v63
	ds_add_u32 v21, v89
	s_or_b32 exec_lo, exec_lo, s17
	s_mov_b32 s17, exec_lo
	v_cmpx_gt_u32_e64 s16, v60
	s_cbranch_execz .LBB427_62
.LBB427_78:                             ;   in Loop: Header=BB427_24 Depth=2
	v_xor_b32_e32 v21, 0x80, v5
	v_lshrrev_b32_sdwa v21, s61, v21 dst_sel:DWORD dst_unused:UNUSED_PAD src0_sel:DWORD src1_sel:BYTE_0
	v_and_b32_e32 v21, s62, v21
	v_lshl_or_b32 v21, v21, 4, v63
	ds_add_u32 v21, v89
	s_or_b32 exec_lo, exec_lo, s17
	v_cmp_gt_u32_e32 vcc_lo, s16, v61
	s_and_saveexec_b32 s16, vcc_lo
	s_cbranch_execz .LBB427_23
.LBB427_79:                             ;   in Loop: Header=BB427_24 Depth=2
	v_xor_b32_e32 v21, 0x80, v3
	v_lshrrev_b32_sdwa v21, s61, v21 dst_sel:DWORD dst_unused:UNUSED_PAD src0_sel:DWORD src1_sel:BYTE_0
	v_and_b32_e32 v21, s62, v21
	v_lshl_or_b32 v21, v21, 4, v63
	ds_add_u32 v21, v89
	s_branch .LBB427_23
.LBB427_80:                             ;   in Loop: Header=BB427_24 Depth=2
	s_waitcnt vmcnt(0)
	v_add_co_u32 v21, s19, s16, v0
	v_add_co_ci_u32_e64 v22, null, s17, 0, s19
	global_load_ubyte v17, v[21:22], off
	s_or_b32 exec_lo, exec_lo, s18
	s_mov_b32 s18, exec_lo
	v_cmpx_gt_u32_e64 s5, v44
	s_cbranch_execz .LBB427_29
.LBB427_81:                             ;   in Loop: Header=BB427_24 Depth=2
	v_add_co_u32 v20, s19, s16, v0
	s_waitcnt vmcnt(0)
	v_add_co_ci_u32_e64 v21, null, s17, 0, s19
	global_load_ubyte v20, v[20:21], off offset:256
	s_or_b32 exec_lo, exec_lo, s18
	s_mov_b32 s18, exec_lo
	v_cmpx_gt_u32_e64 s5, v47
	s_cbranch_execz .LBB427_30
.LBB427_82:                             ;   in Loop: Header=BB427_24 Depth=2
	s_waitcnt vmcnt(0)
	v_add_co_u32 v21, s19, s16, v0
	v_add_co_ci_u32_e64 v22, null, s17, 0, s19
	global_load_ubyte v19, v[21:22], off offset:512
	s_or_b32 exec_lo, exec_lo, s18
	s_mov_b32 s18, exec_lo
	v_cmpx_gt_u32_e64 s5, v48
	s_cbranch_execz .LBB427_31
.LBB427_83:                             ;   in Loop: Header=BB427_24 Depth=2
	s_waitcnt vmcnt(0)
	v_add_co_u32 v21, s19, s16, v0
	v_add_co_ci_u32_e64 v22, null, s17, 0, s19
	global_load_ubyte v18, v[21:22], off offset:768
	s_or_b32 exec_lo, exec_lo, s18
	s_mov_b32 s18, exec_lo
	v_cmpx_gt_u32_e64 s5, v49
	s_cbranch_execz .LBB427_32
.LBB427_84:                             ;   in Loop: Header=BB427_24 Depth=2
	s_waitcnt vmcnt(0)
	v_add_co_u32 v21, s19, s16, v0
	v_add_co_ci_u32_e64 v22, null, s17, 0, s19
	global_load_ubyte v16, v[21:22], off offset:1024
	s_or_b32 exec_lo, exec_lo, s18
	s_mov_b32 s18, exec_lo
	v_cmpx_gt_u32_e64 s5, v50
	s_cbranch_execz .LBB427_33
.LBB427_85:                             ;   in Loop: Header=BB427_24 Depth=2
	s_waitcnt vmcnt(0)
	v_add_co_u32 v21, s19, s16, v0
	v_add_co_ci_u32_e64 v22, null, s17, 0, s19
	global_load_ubyte v15, v[21:22], off offset:1280
	s_or_b32 exec_lo, exec_lo, s18
	s_mov_b32 s18, exec_lo
	v_cmpx_gt_u32_e64 s5, v51
	s_cbranch_execz .LBB427_34
.LBB427_86:                             ;   in Loop: Header=BB427_24 Depth=2
	s_waitcnt vmcnt(0)
	v_add_co_u32 v21, s19, s16, v0
	v_add_co_ci_u32_e64 v22, null, s17, 0, s19
	global_load_ubyte v14, v[21:22], off offset:1536
	s_or_b32 exec_lo, exec_lo, s18
	s_mov_b32 s18, exec_lo
	v_cmpx_gt_u32_e64 s5, v52
	s_cbranch_execz .LBB427_35
.LBB427_87:                             ;   in Loop: Header=BB427_24 Depth=2
	s_waitcnt vmcnt(0)
	v_add_co_u32 v21, s19, s16, v0
	v_add_co_ci_u32_e64 v22, null, s17, 0, s19
	global_load_ubyte v13, v[21:22], off offset:1792
	s_or_b32 exec_lo, exec_lo, s18
	s_mov_b32 s18, exec_lo
	v_cmpx_gt_u32_e64 s5, v53
	s_cbranch_execz .LBB427_36
.LBB427_88:                             ;   in Loop: Header=BB427_24 Depth=2
	s_waitcnt vmcnt(0)
	v_add_co_u32 v21, s19, s16, v53
	v_add_co_ci_u32_e64 v22, null, s17, 0, s19
	global_load_ubyte v12, v[21:22], off
	s_or_b32 exec_lo, exec_lo, s18
	s_mov_b32 s18, exec_lo
	v_cmpx_gt_u32_e64 s5, v54
	s_cbranch_execz .LBB427_37
.LBB427_89:                             ;   in Loop: Header=BB427_24 Depth=2
	s_waitcnt vmcnt(0)
	v_add_co_u32 v21, s19, s16, v54
	v_add_co_ci_u32_e64 v22, null, s17, 0, s19
	global_load_ubyte v11, v[21:22], off
	s_or_b32 exec_lo, exec_lo, s18
	s_mov_b32 s18, exec_lo
	v_cmpx_gt_u32_e64 s5, v55
	s_cbranch_execz .LBB427_38
.LBB427_90:                             ;   in Loop: Header=BB427_24 Depth=2
	s_waitcnt vmcnt(0)
	v_add_co_u32 v21, s19, s16, v55
	v_add_co_ci_u32_e64 v22, null, s17, 0, s19
	global_load_ubyte v10, v[21:22], off
	s_or_b32 exec_lo, exec_lo, s18
	s_mov_b32 s18, exec_lo
	v_cmpx_gt_u32_e64 s5, v56
	s_cbranch_execz .LBB427_39
.LBB427_91:                             ;   in Loop: Header=BB427_24 Depth=2
	s_waitcnt vmcnt(0)
	v_add_co_u32 v21, s19, s16, v56
	v_add_co_ci_u32_e64 v22, null, s17, 0, s19
	global_load_ubyte v9, v[21:22], off
	s_or_b32 exec_lo, exec_lo, s18
	s_mov_b32 s18, exec_lo
	v_cmpx_gt_u32_e64 s5, v57
	s_cbranch_execz .LBB427_40
.LBB427_92:                             ;   in Loop: Header=BB427_24 Depth=2
	s_waitcnt vmcnt(0)
	v_add_co_u32 v21, s19, s16, v57
	v_add_co_ci_u32_e64 v22, null, s17, 0, s19
	global_load_ubyte v8, v[21:22], off
	s_or_b32 exec_lo, exec_lo, s18
	s_mov_b32 s18, exec_lo
	v_cmpx_gt_u32_e64 s5, v58
	s_cbranch_execz .LBB427_41
.LBB427_93:                             ;   in Loop: Header=BB427_24 Depth=2
	s_waitcnt vmcnt(0)
	v_add_co_u32 v21, s19, s16, v58
	v_add_co_ci_u32_e64 v22, null, s17, 0, s19
	global_load_ubyte v7, v[21:22], off
	s_or_b32 exec_lo, exec_lo, s18
	s_mov_b32 s18, exec_lo
	v_cmpx_gt_u32_e64 s5, v59
	s_cbranch_execz .LBB427_42
.LBB427_94:                             ;   in Loop: Header=BB427_24 Depth=2
	s_waitcnt vmcnt(0)
	v_add_co_u32 v21, s19, s16, v59
	v_add_co_ci_u32_e64 v22, null, s17, 0, s19
	global_load_ubyte v6, v[21:22], off
	s_or_b32 exec_lo, exec_lo, s18
	s_mov_b32 s18, exec_lo
	v_cmpx_gt_u32_e64 s5, v60
	s_cbranch_execz .LBB427_43
.LBB427_95:                             ;   in Loop: Header=BB427_24 Depth=2
	s_waitcnt vmcnt(0)
	v_add_co_u32 v21, s19, s16, v60
	v_add_co_ci_u32_e64 v22, null, s17, 0, s19
	global_load_ubyte v5, v[21:22], off
	s_or_b32 exec_lo, exec_lo, s18
	s_mov_b32 s18, exec_lo
	v_cmpx_gt_u32_e64 s5, v61
	s_cbranch_execnz .LBB427_44
	s_branch .LBB427_45
.LBB427_96:                             ;   in Loop: Header=BB427_20 Depth=1
	v_mov_b32_e32 v3, 0
	s_waitcnt lgkmcnt(0)
	s_barrier
	buffer_gl0_inv
	s_and_saveexec_b32 s5, s8
	s_cbranch_execz .LBB427_98
; %bb.97:                               ;   in Loop: Header=BB427_20 Depth=1
	ds_read2_b64 v[5:8], v64 offset1:1
	s_waitcnt lgkmcnt(0)
	v_add_nc_u32_e32 v3, v6, v5
	v_add3_u32 v3, v3, v7, v8
.LBB427_98:                             ;   in Loop: Header=BB427_20 Depth=1
	s_or_b32 exec_lo, exec_lo, s5
	v_and_b32_e32 v5, 15, v86
	v_mov_b32_dpp v6, v3 row_shr:1 row_mask:0xf bank_mask:0xf
	v_and_b32_e32 v7, 16, v86
	v_cmp_eq_u32_e64 s5, 0, v5
	v_cmp_lt_u32_e64 s15, 1, v5
	v_cmp_lt_u32_e64 s16, 3, v5
	v_cmp_lt_u32_e64 s17, 7, v5
	v_cmp_eq_u32_e64 s18, 0, v7
	v_cndmask_b32_e64 v6, v6, 0, s5
	v_add_nc_u32_e32 v3, v6, v3
	v_mov_b32_dpp v6, v3 row_shr:2 row_mask:0xf bank_mask:0xf
	v_cndmask_b32_e64 v6, 0, v6, s15
	v_add_nc_u32_e32 v3, v3, v6
	v_mov_b32_dpp v6, v3 row_shr:4 row_mask:0xf bank_mask:0xf
	;; [unrolled: 3-line block ×3, first 2 shown]
	v_cndmask_b32_e64 v5, 0, v6, s17
	v_bfe_i32 v6, v86, 4, 1
	v_add_nc_u32_e32 v3, v3, v5
	ds_swizzle_b32 v5, v3 offset:swizzle(BROADCAST,32,15)
	s_waitcnt lgkmcnt(0)
	v_and_b32_e32 v5, v6, v5
	v_add_nc_u32_e32 v3, v3, v5
	s_and_saveexec_b32 s19, s9
; %bb.99:                               ;   in Loop: Header=BB427_20 Depth=1
	ds_write_b32 v65, v3
; %bb.100:                              ;   in Loop: Header=BB427_20 Depth=1
	s_or_b32 exec_lo, exec_lo, s19
	s_waitcnt lgkmcnt(0)
	s_barrier
	buffer_gl0_inv
	s_and_saveexec_b32 s19, s10
	s_cbranch_execz .LBB427_102
; %bb.101:                              ;   in Loop: Header=BB427_20 Depth=1
	ds_read_b32 v5, v66
	v_and_b32_e32 v6, 3, v86
	v_cmp_ne_u32_e32 vcc_lo, 0, v6
	s_waitcnt lgkmcnt(0)
	v_mov_b32_dpp v7, v5 row_shr:1 row_mask:0xf bank_mask:0xf
	v_cndmask_b32_e32 v7, 0, v7, vcc_lo
	v_cmp_lt_u32_e32 vcc_lo, 1, v6
	v_add_nc_u32_e32 v5, v7, v5
	v_mov_b32_dpp v7, v5 row_shr:2 row_mask:0xf bank_mask:0xf
	v_cndmask_b32_e32 v6, 0, v7, vcc_lo
	v_add_nc_u32_e32 v5, v5, v6
	ds_write_b32 v66, v5
.LBB427_102:                            ;   in Loop: Header=BB427_20 Depth=1
	s_or_b32 exec_lo, exec_lo, s19
	v_mov_b32_e32 v5, 0
	s_waitcnt lgkmcnt(0)
	s_barrier
	buffer_gl0_inv
	s_and_saveexec_b32 s19, s11
; %bb.103:                              ;   in Loop: Header=BB427_20 Depth=1
	ds_read_b32 v5, v67
; %bb.104:                              ;   in Loop: Header=BB427_20 Depth=1
	s_or_b32 exec_lo, exec_lo, s19
	v_sub_co_u32 v6, s19, v86, 1
	s_waitcnt lgkmcnt(0)
	v_add_nc_u32_e32 v3, v5, v3
	s_barrier
	v_cmp_gt_i32_e32 vcc_lo, 0, v6
	buffer_gl0_inv
	v_cndmask_b32_e32 v6, v6, v86, vcc_lo
	v_lshlrev_b32_e32 v94, 2, v6
	ds_bpermute_b32 v3, v94, v3
	s_and_saveexec_b32 s20, s8
	s_cbranch_execz .LBB427_106
; %bb.105:                              ;   in Loop: Header=BB427_20 Depth=1
	s_waitcnt lgkmcnt(0)
	v_cndmask_b32_e64 v3, v3, v5, s19
	v_add_nc_u32_e32 v3, s58, v3
	ds_write_b32 v43, v3
.LBB427_106:                            ;   in Loop: Header=BB427_20 Depth=1
	s_or_b32 exec_lo, exec_lo, s20
	s_clause 0x1
	s_load_dword s20, s[56:57], 0x4
	s_load_dword s23, s[56:57], 0xc
	v_and_b32_e32 v5, 7, v86
	v_lshlrev_b32_e32 v6, 3, v86
	v_or_b32_e32 v95, v86, v68
	v_mov_b32_e32 v115, 0
	s_mov_b32 s63, s60
	v_cmp_lt_u32_e64 s22, 3, v5
	v_add_co_u32 v96, vcc_lo, v73, v6
	v_add_co_ci_u32_e64 v97, null, 0, v74, vcc_lo
	v_add_nc_u32_e32 v98, 32, v95
	v_add_nc_u32_e32 v99, 64, v95
	;; [unrolled: 1-line block ×8, first 2 shown]
	s_waitcnt lgkmcnt(0)
	s_cmp_lt_u32 s7, s20
	v_add_nc_u32_e32 v106, 0x120, v95
	s_cselect_b32 s20, 14, 20
	v_add_nc_u32_e32 v107, 0x140, v95
	s_add_u32 s20, s56, s20
	s_addc_u32 s21, s57, 0
	s_and_b32 s23, s23, 0xffff
	global_load_ushort v3, v4, s[20:21]
	v_cmp_eq_u32_e64 s20, 0, v5
	v_cmp_lt_u32_e64 s21, 1, v5
	v_add_nc_u32_e32 v108, 0x160, v95
	v_add_nc_u32_e32 v109, 0x180, v95
	;; [unrolled: 1-line block ×6, first 2 shown]
	s_mov_b32 s50, s58
                                        ; implicit-def: $vgpr7_vgpr8
                                        ; implicit-def: $vgpr9_vgpr10
                                        ; implicit-def: $vgpr11_vgpr12
                                        ; implicit-def: $vgpr13_vgpr14
                                        ; implicit-def: $vgpr15_vgpr16
                                        ; implicit-def: $vgpr19_vgpr20
                                        ; implicit-def: $vgpr23_vgpr24
                                        ; implicit-def: $vgpr27_vgpr28
                                        ; implicit-def: $vgpr17_vgpr18
                                        ; implicit-def: $vgpr21_vgpr22
                                        ; implicit-def: $vgpr25_vgpr26
                                        ; implicit-def: $vgpr29_vgpr30
                                        ; implicit-def: $vgpr31_vgpr32
                                        ; implicit-def: $vgpr33_vgpr34
                                        ; implicit-def: $vgpr35_vgpr36
                                        ; implicit-def: $vgpr37_vgpr38
                                        ; implicit-def: $vgpr116
                                        ; implicit-def: $vgpr117
                                        ; implicit-def: $vgpr118
                                        ; implicit-def: $vgpr119
                                        ; implicit-def: $vgpr120
                                        ; implicit-def: $vgpr121
                                        ; implicit-def: $vgpr122
                                        ; implicit-def: $vgpr123
                                        ; implicit-def: $vgpr124
                                        ; implicit-def: $vgpr125
                                        ; implicit-def: $vgpr126
                                        ; implicit-def: $vgpr127
                                        ; implicit-def: $vgpr128
                                        ; implicit-def: $vgpr129
                                        ; implicit-def: $vgpr130
                                        ; implicit-def: $vgpr131
                                        ; implicit-def: $vgpr132
                                        ; implicit-def: $vgpr133
                                        ; implicit-def: $vgpr134
	s_waitcnt vmcnt(0)
	v_mad_u32_u24 v3, v2, v3, v1
	v_mad_u64_u32 v[5:6], null, v3, s23, v[0:1]
	v_lshrrev_b32_e32 v3, 3, v5
                                        ; implicit-def: $vgpr5_vgpr6
	v_and_b32_e32 v114, 0x1ffffffc, v3
	s_branch .LBB427_108
.LBB427_107:                            ;   in Loop: Header=BB427_108 Depth=2
	s_or_b32 exec_lo, exec_lo, s23
	s_addk_i32 s63, 0xef00
	s_cmp_lt_u32 s64, s59
	s_mov_b32 s50, s64
	s_cbranch_scc0 .LBB427_330
.LBB427_108:                            ;   Parent Loop BB427_20 Depth=1
                                        ; =>  This Inner Loop Header: Depth=2
	s_add_i32 s64, s50, 0x1100
	s_cmp_gt_u32 s64, s59
	s_cbranch_scc1 .LBB427_110
; %bb.109:                              ;   in Loop: Header=BB427_108 Depth=2
	v_add_co_u32 v39, vcc_lo, v90, s50
	v_add_co_ci_u32_e64 v40, null, 0, v91, vcc_lo
	s_mov_b32 s23, -1
	s_clause 0xf
	global_load_ubyte v42, v[39:40], off offset:480
	global_load_ubyte v41, v[39:40], off offset:448
	;; [unrolled: 1-line block ×15, first 2 shown]
	global_load_ubyte v144, v[39:40], off
	s_movk_i32 s24, 0x1100
	s_cbranch_execz .LBB427_111
	s_branch .LBB427_129
.LBB427_110:                            ;   in Loop: Header=BB427_108 Depth=2
	s_mov_b32 s23, 0
                                        ; implicit-def: $vgpr144
                                        ; implicit-def: $vgpr145
                                        ; implicit-def: $vgpr146
                                        ; implicit-def: $vgpr149
                                        ; implicit-def: $vgpr148
                                        ; implicit-def: $vgpr141
                                        ; implicit-def: $vgpr142
                                        ; implicit-def: $vgpr143
                                        ; implicit-def: $vgpr140
                                        ; implicit-def: $vgpr137
                                        ; implicit-def: $vgpr138
                                        ; implicit-def: $vgpr139
                                        ; implicit-def: $vgpr135
                                        ; implicit-def: $vgpr3
                                        ; implicit-def: $vgpr41
                                        ; implicit-def: $vgpr42
                                        ; implicit-def: $vgpr115
	s_movk_i32 s24, 0x1100
.LBB427_111:                            ;   in Loop: Header=BB427_108 Depth=2
	v_add_co_u32 v39, vcc_lo, v90, s50
	v_add_co_ci_u32_e64 v40, null, 0, v91, vcc_lo
	v_mov_b32_e32 v115, 0x7f
	s_waitcnt vmcnt(0)
	v_mov_b32_e32 v144, 0x7f
	v_mov_b32_e32 v145, 0x7f
	v_mov_b32_e32 v146, 0x7f
	v_mov_b32_e32 v149, 0x7f
	v_mov_b32_e32 v148, 0x7f
	v_mov_b32_e32 v141, 0x7f
	v_mov_b32_e32 v142, 0x7f
	v_mov_b32_e32 v143, 0x7f
	v_mov_b32_e32 v140, 0x7f
	v_mov_b32_e32 v137, 0x7f
	v_mov_b32_e32 v138, 0x7f
	v_mov_b32_e32 v139, 0x7f
	v_mov_b32_e32 v135, 0x7f
	v_mov_b32_e32 v3, 0x7f
	v_mov_b32_e32 v41, 0x7f
	v_mov_b32_e32 v42, 0x7f
	s_mov_b32 s23, exec_lo
	v_cmpx_gt_u32_e64 s63, v95
	s_cbranch_execnz .LBB427_315
; %bb.112:                              ;   in Loop: Header=BB427_108 Depth=2
	s_or_b32 exec_lo, exec_lo, s23
	s_mov_b32 s23, exec_lo
	v_cmpx_gt_u32_e64 s63, v98
	s_cbranch_execnz .LBB427_316
.LBB427_113:                            ;   in Loop: Header=BB427_108 Depth=2
	s_or_b32 exec_lo, exec_lo, s23
	s_mov_b32 s23, exec_lo
	v_cmpx_gt_u32_e64 s63, v99
	s_cbranch_execnz .LBB427_317
.LBB427_114:                            ;   in Loop: Header=BB427_108 Depth=2
	s_or_b32 exec_lo, exec_lo, s23
	s_mov_b32 s23, exec_lo
	v_cmpx_gt_u32_e64 s63, v100
	s_cbranch_execnz .LBB427_318
.LBB427_115:                            ;   in Loop: Header=BB427_108 Depth=2
	s_or_b32 exec_lo, exec_lo, s23
	s_mov_b32 s23, exec_lo
	v_cmpx_gt_u32_e64 s63, v101
	s_cbranch_execnz .LBB427_319
.LBB427_116:                            ;   in Loop: Header=BB427_108 Depth=2
	s_or_b32 exec_lo, exec_lo, s23
	s_mov_b32 s23, exec_lo
	v_cmpx_gt_u32_e64 s63, v102
	s_cbranch_execnz .LBB427_320
.LBB427_117:                            ;   in Loop: Header=BB427_108 Depth=2
	s_or_b32 exec_lo, exec_lo, s23
	s_mov_b32 s23, exec_lo
	v_cmpx_gt_u32_e64 s63, v103
	s_cbranch_execnz .LBB427_321
.LBB427_118:                            ;   in Loop: Header=BB427_108 Depth=2
	s_or_b32 exec_lo, exec_lo, s23
	s_mov_b32 s23, exec_lo
	v_cmpx_gt_u32_e64 s63, v104
	s_cbranch_execnz .LBB427_322
.LBB427_119:                            ;   in Loop: Header=BB427_108 Depth=2
	s_or_b32 exec_lo, exec_lo, s23
	s_mov_b32 s23, exec_lo
	v_cmpx_gt_u32_e64 s63, v105
	s_cbranch_execnz .LBB427_323
.LBB427_120:                            ;   in Loop: Header=BB427_108 Depth=2
	s_or_b32 exec_lo, exec_lo, s23
	s_mov_b32 s23, exec_lo
	v_cmpx_gt_u32_e64 s63, v106
	s_cbranch_execnz .LBB427_324
.LBB427_121:                            ;   in Loop: Header=BB427_108 Depth=2
	s_or_b32 exec_lo, exec_lo, s23
	s_mov_b32 s23, exec_lo
	v_cmpx_gt_u32_e64 s63, v107
	s_cbranch_execnz .LBB427_325
.LBB427_122:                            ;   in Loop: Header=BB427_108 Depth=2
	s_or_b32 exec_lo, exec_lo, s23
	s_mov_b32 s23, exec_lo
	v_cmpx_gt_u32_e64 s63, v108
	s_cbranch_execnz .LBB427_326
.LBB427_123:                            ;   in Loop: Header=BB427_108 Depth=2
	s_or_b32 exec_lo, exec_lo, s23
	s_mov_b32 s23, exec_lo
	v_cmpx_gt_u32_e64 s63, v109
	s_cbranch_execnz .LBB427_327
.LBB427_124:                            ;   in Loop: Header=BB427_108 Depth=2
	s_or_b32 exec_lo, exec_lo, s23
	s_mov_b32 s23, exec_lo
	v_cmpx_gt_u32_e64 s63, v110
	s_cbranch_execnz .LBB427_328
.LBB427_125:                            ;   in Loop: Header=BB427_108 Depth=2
	s_or_b32 exec_lo, exec_lo, s23
	s_mov_b32 s23, exec_lo
	v_cmpx_gt_u32_e64 s63, v111
	s_cbranch_execnz .LBB427_329
.LBB427_126:                            ;   in Loop: Header=BB427_108 Depth=2
	s_or_b32 exec_lo, exec_lo, s23
	s_mov_b32 s23, exec_lo
	v_cmpx_gt_u32_e64 s63, v112
	s_cbranch_execz .LBB427_128
.LBB427_127:                            ;   in Loop: Header=BB427_108 Depth=2
	global_load_ubyte v42, v[39:40], off offset:480
.LBB427_128:                            ;   in Loop: Header=BB427_108 Depth=2
	s_or_b32 exec_lo, exec_lo, s23
	v_cmp_gt_u32_e64 s23, s63, v113
	s_sub_i32 s24, s59, s50
.LBB427_129:                            ;   in Loop: Header=BB427_108 Depth=2
	v_mov_b32_e32 v136, s63
	s_and_saveexec_b32 s25, s23
	s_cbranch_execz .LBB427_131
; %bb.130:                              ;   in Loop: Header=BB427_108 Depth=2
	v_add_co_u32 v39, vcc_lo, v90, s50
	v_add_co_ci_u32_e64 v40, null, s51, v91, vcc_lo
	v_mov_b32_e32 v136, s24
	global_load_ubyte v115, v[39:40], off offset:512
.LBB427_131:                            ;   in Loop: Header=BB427_108 Depth=2
	s_or_b32 exec_lo, exec_lo, s25
	s_waitcnt vmcnt(0)
	v_xor_b32_e32 v39, 0x80, v144
	ds_write2_b32 v69, v4, v4 offset0:136 offset1:137
	ds_write2_b32 v69, v4, v4 offset0:138 offset1:139
	ds_write_b32 v69, v4 offset:560
	s_waitcnt lgkmcnt(0)
	s_barrier
	v_and_b32_sdwa v40, v92, v39 dst_sel:DWORD dst_unused:UNUSED_PAD src0_sel:DWORD src1_sel:BYTE_0
	buffer_gl0_inv
	; wave barrier
	v_lshrrev_b32_e32 v40, s61, v40
	v_and_b32_e32 v147, s62, v40
	v_and_b32_e32 v40, 1, v147
	v_lshlrev_b32_e32 v144, 30, v147
	v_lshlrev_b32_e32 v150, 29, v147
	;; [unrolled: 1-line block ×4, first 2 shown]
	v_add_co_u32 v40, s23, v40, -1
	v_cndmask_b32_e64 v151, 0, 1, s23
	v_not_b32_e32 v155, v144
	v_cmp_gt_i32_e64 s23, 0, v144
	v_not_b32_e32 v144, v150
	v_lshlrev_b32_e32 v154, 26, v147
	v_cmp_ne_u32_e32 vcc_lo, 0, v151
	v_ashrrev_i32_e32 v155, 31, v155
	v_lshlrev_b32_e32 v151, 25, v147
	v_ashrrev_i32_e32 v144, 31, v144
	v_mul_u32_u24_e32 v147, 36, v147
	v_xor_b32_e32 v40, vcc_lo, v40
	v_cmp_gt_i32_e32 vcc_lo, 0, v150
	v_not_b32_e32 v150, v152
	v_xor_b32_e32 v155, s23, v155
	v_cmp_gt_i32_e64 s23, 0, v152
	v_and_b32_e32 v40, exec_lo, v40
	v_not_b32_e32 v152, v153
	v_ashrrev_i32_e32 v150, 31, v150
	v_xor_b32_e32 v144, vcc_lo, v144
	v_cmp_gt_i32_e32 vcc_lo, 0, v153
	v_and_b32_e32 v40, v40, v155
	v_not_b32_e32 v153, v154
	v_ashrrev_i32_e32 v152, 31, v152
	v_xor_b32_e32 v150, s23, v150
	v_cmp_gt_i32_e64 s23, 0, v154
	v_and_b32_e32 v40, v40, v144
	v_not_b32_e32 v144, v151
	v_ashrrev_i32_e32 v153, 31, v153
	v_xor_b32_e32 v152, vcc_lo, v152
	v_cmp_gt_i32_e32 vcc_lo, 0, v151
	v_and_b32_e32 v40, v40, v150
	v_ashrrev_i32_e32 v144, 31, v144
	v_xor_b32_e32 v150, s23, v153
	v_add_nc_u32_e32 v147, v114, v147
	v_and_b32_e32 v40, v40, v152
	v_xor_b32_e32 v144, vcc_lo, v144
	v_and_b32_e32 v40, v40, v150
	v_and_b32_e32 v40, v40, v144
	v_mbcnt_lo_u32_b32 v144, v40, 0
	v_cmp_ne_u32_e64 s23, 0, v40
	v_cmp_eq_u32_e32 vcc_lo, 0, v144
	s_and_b32 s24, s23, vcc_lo
	s_and_saveexec_b32 s23, s24
; %bb.132:                              ;   in Loop: Header=BB427_108 Depth=2
	v_bcnt_u32_b32 v40, v40, 0
	ds_write_b32 v147, v40 offset:544
; %bb.133:                              ;   in Loop: Header=BB427_108 Depth=2
	s_or_b32 exec_lo, exec_lo, s23
	v_xor_b32_sdwa v40, v145, v93 dst_sel:BYTE_1 dst_unused:UNUSED_PAD src0_sel:DWORD src1_sel:DWORD
	v_xor_b32_e32 v146, 0x80, v146
	v_xor_b32_sdwa v149, v149, v93 dst_sel:BYTE_1 dst_unused:UNUSED_PAD src0_sel:DWORD src1_sel:DWORD
	; wave barrier
	v_or_b32_sdwa v145, v39, v40 dst_sel:DWORD dst_unused:UNUSED_PAD src0_sel:BYTE_0 src1_sel:DWORD
	v_or_b32_sdwa v39, v146, v149 dst_sel:WORD_1 dst_unused:UNUSED_PAD src0_sel:BYTE_0 src1_sel:DWORD
	v_or_b32_sdwa v146, v145, v39 dst_sel:DWORD dst_unused:UNUSED_PAD src0_sel:WORD_0 src1_sel:DWORD
	v_lshrrev_b32_sdwa v39, s61, v146 dst_sel:DWORD dst_unused:UNUSED_PAD src0_sel:DWORD src1_sel:BYTE_1
	v_and_b32_e32 v40, s62, v39
	v_and_b32_e32 v39, 1, v40
	v_lshlrev_b32_e32 v149, 30, v40
	v_lshlrev_b32_e32 v150, 29, v40
	;; [unrolled: 1-line block ×4, first 2 shown]
	v_add_co_u32 v39, s23, v39, -1
	v_cndmask_b32_e64 v151, 0, 1, s23
	v_not_b32_e32 v155, v149
	v_cmp_gt_i32_e64 s23, 0, v149
	v_not_b32_e32 v149, v150
	v_lshlrev_b32_e32 v154, 26, v40
	v_cmp_ne_u32_e32 vcc_lo, 0, v151
	v_ashrrev_i32_e32 v155, 31, v155
	v_lshlrev_b32_e32 v151, 25, v40
	v_ashrrev_i32_e32 v149, 31, v149
	v_xor_b32_e32 v39, vcc_lo, v39
	v_cmp_gt_i32_e32 vcc_lo, 0, v150
	v_not_b32_e32 v150, v152
	v_xor_b32_e32 v155, s23, v155
	v_cmp_gt_i32_e64 s23, 0, v152
	v_and_b32_e32 v39, exec_lo, v39
	v_not_b32_e32 v152, v153
	v_ashrrev_i32_e32 v150, 31, v150
	v_xor_b32_e32 v149, vcc_lo, v149
	v_cmp_gt_i32_e32 vcc_lo, 0, v153
	v_and_b32_e32 v39, v39, v155
	v_not_b32_e32 v153, v154
	v_ashrrev_i32_e32 v152, 31, v152
	v_xor_b32_e32 v150, s23, v150
	v_cmp_gt_i32_e64 s23, 0, v154
	v_and_b32_e32 v39, v39, v149
	v_not_b32_e32 v149, v151
	v_ashrrev_i32_e32 v153, 31, v153
	v_xor_b32_e32 v152, vcc_lo, v152
	v_cmp_gt_i32_e32 vcc_lo, 0, v151
	v_and_b32_e32 v39, v39, v150
	v_ashrrev_i32_e32 v149, 31, v149
	v_xor_b32_e32 v150, s23, v153
	v_mad_u32_u24 v151, v40, 36, v114
	v_mul_u32_u24_e32 v40, 36, v40
	v_and_b32_e32 v39, v39, v152
	v_xor_b32_e32 v152, vcc_lo, v149
	ds_read_b32 v149, v151 offset:544
	v_add_nc_u32_e32 v151, v114, v40
	v_and_b32_e32 v39, v39, v150
	; wave barrier
	v_and_b32_e32 v39, v39, v152
	v_mbcnt_lo_u32_b32 v150, v39, 0
	v_cmp_ne_u32_e64 s23, 0, v39
	v_cmp_eq_u32_e32 vcc_lo, 0, v150
	s_and_b32 s24, s23, vcc_lo
	s_and_saveexec_b32 s23, s24
	s_cbranch_execz .LBB427_135
; %bb.134:                              ;   in Loop: Header=BB427_108 Depth=2
	s_waitcnt lgkmcnt(0)
	v_bcnt_u32_b32 v39, v39, v149
	ds_write_b32 v151, v39 offset:544
.LBB427_135:                            ;   in Loop: Header=BB427_108 Depth=2
	s_or_b32 exec_lo, exec_lo, s23
	v_lshrrev_b32_sdwa v39, s61, v146 dst_sel:DWORD dst_unused:UNUSED_PAD src0_sel:DWORD src1_sel:BYTE_2
	; wave barrier
	v_and_b32_e32 v40, s62, v39
	v_and_b32_e32 v39, 1, v40
	v_lshlrev_b32_e32 v152, 30, v40
	v_lshlrev_b32_e32 v153, 29, v40
	;; [unrolled: 1-line block ×4, first 2 shown]
	v_add_co_u32 v39, s23, v39, -1
	v_cndmask_b32_e64 v154, 0, 1, s23
	v_not_b32_e32 v158, v152
	v_cmp_gt_i32_e64 s23, 0, v152
	v_not_b32_e32 v152, v153
	v_lshlrev_b32_e32 v157, 26, v40
	v_cmp_ne_u32_e32 vcc_lo, 0, v154
	v_ashrrev_i32_e32 v158, 31, v158
	v_lshlrev_b32_e32 v154, 25, v40
	v_ashrrev_i32_e32 v152, 31, v152
	v_xor_b32_e32 v39, vcc_lo, v39
	v_cmp_gt_i32_e32 vcc_lo, 0, v153
	v_not_b32_e32 v153, v155
	v_xor_b32_e32 v158, s23, v158
	v_cmp_gt_i32_e64 s23, 0, v155
	v_and_b32_e32 v39, exec_lo, v39
	v_not_b32_e32 v155, v156
	v_ashrrev_i32_e32 v153, 31, v153
	v_xor_b32_e32 v152, vcc_lo, v152
	v_cmp_gt_i32_e32 vcc_lo, 0, v156
	v_and_b32_e32 v39, v39, v158
	v_not_b32_e32 v156, v157
	v_ashrrev_i32_e32 v155, 31, v155
	v_xor_b32_e32 v153, s23, v153
	v_cmp_gt_i32_e64 s23, 0, v157
	v_and_b32_e32 v39, v39, v152
	v_not_b32_e32 v152, v154
	v_ashrrev_i32_e32 v156, 31, v156
	v_xor_b32_e32 v155, vcc_lo, v155
	v_cmp_gt_i32_e32 vcc_lo, 0, v154
	v_and_b32_e32 v39, v39, v153
	v_ashrrev_i32_e32 v152, 31, v152
	v_xor_b32_e32 v153, s23, v156
	v_mad_u32_u24 v154, v40, 36, v114
	v_mul_u32_u24_e32 v40, 36, v40
	v_and_b32_e32 v39, v39, v155
	v_xor_b32_e32 v155, vcc_lo, v152
	ds_read_b32 v152, v154 offset:544
	v_and_b32_e32 v39, v39, v153
	; wave barrier
	v_and_b32_e32 v39, v39, v155
	v_add_nc_u32_e32 v155, v114, v40
	v_mbcnt_lo_u32_b32 v153, v39, 0
	v_cmp_ne_u32_e64 s23, 0, v39
	v_cmp_eq_u32_e32 vcc_lo, 0, v153
	s_and_b32 s24, s23, vcc_lo
	s_and_saveexec_b32 s23, s24
	s_cbranch_execz .LBB427_137
; %bb.136:                              ;   in Loop: Header=BB427_108 Depth=2
	s_waitcnt lgkmcnt(0)
	v_bcnt_u32_b32 v39, v39, v152
	ds_write_b32 v155, v39 offset:544
.LBB427_137:                            ;   in Loop: Header=BB427_108 Depth=2
	s_or_b32 exec_lo, exec_lo, s23
	v_lshrrev_b32_e32 v154, 24, v146
	; wave barrier
	v_lshrrev_b32_e32 v39, s61, v154
	v_and_b32_e32 v40, s62, v39
	v_and_b32_e32 v39, 1, v40
	v_lshlrev_b32_e32 v156, 30, v40
	v_lshlrev_b32_e32 v157, 29, v40
	;; [unrolled: 1-line block ×4, first 2 shown]
	v_add_co_u32 v39, s23, v39, -1
	v_cndmask_b32_e64 v158, 0, 1, s23
	v_not_b32_e32 v162, v156
	v_cmp_gt_i32_e64 s23, 0, v156
	v_not_b32_e32 v156, v157
	v_lshlrev_b32_e32 v161, 26, v40
	v_cmp_ne_u32_e32 vcc_lo, 0, v158
	v_ashrrev_i32_e32 v162, 31, v162
	v_lshlrev_b32_e32 v158, 25, v40
	v_ashrrev_i32_e32 v156, 31, v156
	v_xor_b32_e32 v39, vcc_lo, v39
	v_cmp_gt_i32_e32 vcc_lo, 0, v157
	v_not_b32_e32 v157, v159
	v_xor_b32_e32 v162, s23, v162
	v_cmp_gt_i32_e64 s23, 0, v159
	v_and_b32_e32 v39, exec_lo, v39
	v_not_b32_e32 v159, v160
	v_ashrrev_i32_e32 v157, 31, v157
	v_xor_b32_e32 v156, vcc_lo, v156
	v_cmp_gt_i32_e32 vcc_lo, 0, v160
	v_and_b32_e32 v39, v39, v162
	v_not_b32_e32 v160, v161
	v_ashrrev_i32_e32 v159, 31, v159
	v_xor_b32_e32 v157, s23, v157
	v_cmp_gt_i32_e64 s23, 0, v161
	v_and_b32_e32 v39, v39, v156
	v_not_b32_e32 v156, v158
	v_ashrrev_i32_e32 v160, 31, v160
	v_xor_b32_e32 v159, vcc_lo, v159
	v_cmp_gt_i32_e32 vcc_lo, 0, v158
	v_and_b32_e32 v39, v39, v157
	v_ashrrev_i32_e32 v156, 31, v156
	v_xor_b32_e32 v157, s23, v160
	v_mad_u32_u24 v158, v40, 36, v114
	v_mul_u32_u24_e32 v40, 36, v40
	v_and_b32_e32 v39, v39, v159
	v_xor_b32_e32 v159, vcc_lo, v156
	ds_read_b32 v156, v158 offset:544
	v_add_nc_u32_e32 v158, v114, v40
	v_and_b32_e32 v39, v39, v157
	; wave barrier
	v_and_b32_e32 v39, v39, v159
	v_mbcnt_lo_u32_b32 v157, v39, 0
	v_cmp_ne_u32_e64 s23, 0, v39
	v_cmp_eq_u32_e32 vcc_lo, 0, v157
	s_and_b32 s24, s23, vcc_lo
	s_and_saveexec_b32 s23, s24
	s_cbranch_execz .LBB427_139
; %bb.138:                              ;   in Loop: Header=BB427_108 Depth=2
	s_waitcnt lgkmcnt(0)
	v_bcnt_u32_b32 v39, v39, v156
	ds_write_b32 v158, v39 offset:544
.LBB427_139:                            ;   in Loop: Header=BB427_108 Depth=2
	s_or_b32 exec_lo, exec_lo, s23
	v_xor_b32_e32 v39, 0x80, v148
	; wave barrier
	v_and_b32_sdwa v40, v92, v39 dst_sel:DWORD dst_unused:UNUSED_PAD src0_sel:DWORD src1_sel:BYTE_0
	v_lshrrev_b32_e32 v40, s61, v40
	v_and_b32_e32 v160, s62, v40
	v_and_b32_e32 v40, 1, v160
	v_lshlrev_b32_e32 v148, 30, v160
	v_lshlrev_b32_e32 v159, 29, v160
	;; [unrolled: 1-line block ×4, first 2 shown]
	v_add_co_u32 v40, s23, v40, -1
	v_cndmask_b32_e64 v161, 0, 1, s23
	v_not_b32_e32 v165, v148
	v_cmp_gt_i32_e64 s23, 0, v148
	v_not_b32_e32 v148, v159
	v_lshlrev_b32_e32 v164, 26, v160
	v_cmp_ne_u32_e32 vcc_lo, 0, v161
	v_ashrrev_i32_e32 v165, 31, v165
	v_lshlrev_b32_e32 v161, 25, v160
	v_ashrrev_i32_e32 v148, 31, v148
	v_xor_b32_e32 v40, vcc_lo, v40
	v_cmp_gt_i32_e32 vcc_lo, 0, v159
	v_not_b32_e32 v159, v162
	v_xor_b32_e32 v165, s23, v165
	v_cmp_gt_i32_e64 s23, 0, v162
	v_and_b32_e32 v40, exec_lo, v40
	v_not_b32_e32 v162, v163
	v_ashrrev_i32_e32 v159, 31, v159
	v_xor_b32_e32 v148, vcc_lo, v148
	v_cmp_gt_i32_e32 vcc_lo, 0, v163
	v_and_b32_e32 v40, v40, v165
	v_not_b32_e32 v163, v164
	v_ashrrev_i32_e32 v162, 31, v162
	v_xor_b32_e32 v159, s23, v159
	v_cmp_gt_i32_e64 s23, 0, v164
	v_and_b32_e32 v40, v40, v148
	v_not_b32_e32 v148, v161
	v_ashrrev_i32_e32 v163, 31, v163
	v_xor_b32_e32 v162, vcc_lo, v162
	v_cmp_gt_i32_e32 vcc_lo, 0, v161
	v_and_b32_e32 v40, v40, v159
	v_ashrrev_i32_e32 v148, 31, v148
	v_xor_b32_e32 v159, s23, v163
	v_mad_u32_u24 v161, v160, 36, v114
	v_mul_u32_u24_e32 v160, 36, v160
	v_and_b32_e32 v40, v40, v162
	v_xor_b32_e32 v162, vcc_lo, v148
	ds_read_b32 v148, v161 offset:544
	v_add_nc_u32_e32 v160, v114, v160
	v_and_b32_e32 v40, v40, v159
	; wave barrier
	v_and_b32_e32 v40, v40, v162
	v_mbcnt_lo_u32_b32 v159, v40, 0
	v_cmp_ne_u32_e64 s23, 0, v40
	v_cmp_eq_u32_e32 vcc_lo, 0, v159
	s_and_b32 s24, s23, vcc_lo
	s_and_saveexec_b32 s23, s24
	s_cbranch_execz .LBB427_141
; %bb.140:                              ;   in Loop: Header=BB427_108 Depth=2
	s_waitcnt lgkmcnt(0)
	v_bcnt_u32_b32 v40, v40, v148
	ds_write_b32 v160, v40 offset:544
.LBB427_141:                            ;   in Loop: Header=BB427_108 Depth=2
	s_or_b32 exec_lo, exec_lo, s23
	v_xor_b32_sdwa v40, v141, v93 dst_sel:BYTE_1 dst_unused:UNUSED_PAD src0_sel:DWORD src1_sel:DWORD
	v_xor_b32_e32 v142, 0x80, v142
	v_xor_b32_sdwa v143, v143, v93 dst_sel:BYTE_1 dst_unused:UNUSED_PAD src0_sel:DWORD src1_sel:DWORD
	; wave barrier
	v_or_b32_sdwa v141, v39, v40 dst_sel:DWORD dst_unused:UNUSED_PAD src0_sel:BYTE_0 src1_sel:DWORD
	v_or_b32_sdwa v39, v142, v143 dst_sel:WORD_1 dst_unused:UNUSED_PAD src0_sel:BYTE_0 src1_sel:DWORD
	v_or_b32_sdwa v142, v141, v39 dst_sel:DWORD dst_unused:UNUSED_PAD src0_sel:WORD_0 src1_sel:DWORD
	v_lshrrev_b32_sdwa v39, s61, v142 dst_sel:DWORD dst_unused:UNUSED_PAD src0_sel:DWORD src1_sel:BYTE_1
	v_and_b32_e32 v40, s62, v39
	v_and_b32_e32 v39, 1, v40
	v_lshlrev_b32_e32 v143, 30, v40
	v_lshlrev_b32_e32 v161, 29, v40
	;; [unrolled: 1-line block ×4, first 2 shown]
	v_add_co_u32 v39, s23, v39, -1
	v_cndmask_b32_e64 v162, 0, 1, s23
	v_not_b32_e32 v166, v143
	v_cmp_gt_i32_e64 s23, 0, v143
	v_not_b32_e32 v143, v161
	v_lshlrev_b32_e32 v165, 26, v40
	v_cmp_ne_u32_e32 vcc_lo, 0, v162
	v_ashrrev_i32_e32 v166, 31, v166
	v_lshlrev_b32_e32 v162, 25, v40
	v_ashrrev_i32_e32 v143, 31, v143
	v_xor_b32_e32 v39, vcc_lo, v39
	v_cmp_gt_i32_e32 vcc_lo, 0, v161
	v_not_b32_e32 v161, v163
	v_xor_b32_e32 v166, s23, v166
	v_cmp_gt_i32_e64 s23, 0, v163
	v_and_b32_e32 v39, exec_lo, v39
	v_not_b32_e32 v163, v164
	v_ashrrev_i32_e32 v161, 31, v161
	v_xor_b32_e32 v143, vcc_lo, v143
	v_cmp_gt_i32_e32 vcc_lo, 0, v164
	v_and_b32_e32 v39, v39, v166
	v_not_b32_e32 v164, v165
	v_ashrrev_i32_e32 v163, 31, v163
	v_xor_b32_e32 v161, s23, v161
	v_cmp_gt_i32_e64 s23, 0, v165
	v_and_b32_e32 v39, v39, v143
	v_not_b32_e32 v143, v162
	v_ashrrev_i32_e32 v164, 31, v164
	v_xor_b32_e32 v163, vcc_lo, v163
	v_cmp_gt_i32_e32 vcc_lo, 0, v162
	v_and_b32_e32 v39, v39, v161
	v_ashrrev_i32_e32 v143, 31, v143
	v_xor_b32_e32 v161, s23, v164
	v_mad_u32_u24 v162, v40, 36, v114
	v_mul_u32_u24_e32 v40, 36, v40
	v_and_b32_e32 v39, v39, v163
	v_xor_b32_e32 v163, vcc_lo, v143
	ds_read_b32 v143, v162 offset:544
	v_add_nc_u32_e32 v162, v114, v40
	v_and_b32_e32 v39, v39, v161
	; wave barrier
	v_and_b32_e32 v39, v39, v163
	v_mbcnt_lo_u32_b32 v161, v39, 0
	v_cmp_ne_u32_e64 s23, 0, v39
	v_cmp_eq_u32_e32 vcc_lo, 0, v161
	s_and_b32 s24, s23, vcc_lo
	s_and_saveexec_b32 s23, s24
	s_cbranch_execz .LBB427_143
; %bb.142:                              ;   in Loop: Header=BB427_108 Depth=2
	s_waitcnt lgkmcnt(0)
	v_bcnt_u32_b32 v39, v39, v143
	ds_write_b32 v162, v39 offset:544
.LBB427_143:                            ;   in Loop: Header=BB427_108 Depth=2
	s_or_b32 exec_lo, exec_lo, s23
	v_lshrrev_b32_sdwa v39, s61, v142 dst_sel:DWORD dst_unused:UNUSED_PAD src0_sel:DWORD src1_sel:BYTE_2
	; wave barrier
	v_and_b32_e32 v40, s62, v39
	v_and_b32_e32 v39, 1, v40
	v_lshlrev_b32_e32 v163, 30, v40
	v_lshlrev_b32_e32 v164, 29, v40
	;; [unrolled: 1-line block ×4, first 2 shown]
	v_add_co_u32 v39, s23, v39, -1
	v_cndmask_b32_e64 v165, 0, 1, s23
	v_not_b32_e32 v169, v163
	v_cmp_gt_i32_e64 s23, 0, v163
	v_not_b32_e32 v163, v164
	v_lshlrev_b32_e32 v168, 26, v40
	v_cmp_ne_u32_e32 vcc_lo, 0, v165
	v_ashrrev_i32_e32 v169, 31, v169
	v_lshlrev_b32_e32 v165, 25, v40
	v_ashrrev_i32_e32 v163, 31, v163
	v_xor_b32_e32 v39, vcc_lo, v39
	v_cmp_gt_i32_e32 vcc_lo, 0, v164
	v_not_b32_e32 v164, v166
	v_xor_b32_e32 v169, s23, v169
	v_cmp_gt_i32_e64 s23, 0, v166
	v_and_b32_e32 v39, exec_lo, v39
	v_not_b32_e32 v166, v167
	v_ashrrev_i32_e32 v164, 31, v164
	v_xor_b32_e32 v163, vcc_lo, v163
	v_cmp_gt_i32_e32 vcc_lo, 0, v167
	v_and_b32_e32 v39, v39, v169
	v_not_b32_e32 v167, v168
	v_ashrrev_i32_e32 v166, 31, v166
	v_xor_b32_e32 v164, s23, v164
	v_cmp_gt_i32_e64 s23, 0, v168
	v_and_b32_e32 v39, v39, v163
	v_not_b32_e32 v163, v165
	v_ashrrev_i32_e32 v167, 31, v167
	v_xor_b32_e32 v166, vcc_lo, v166
	v_cmp_gt_i32_e32 vcc_lo, 0, v165
	v_and_b32_e32 v39, v39, v164
	v_ashrrev_i32_e32 v163, 31, v163
	v_xor_b32_e32 v164, s23, v167
	v_mad_u32_u24 v165, v40, 36, v114
	v_mul_u32_u24_e32 v40, 36, v40
	v_and_b32_e32 v39, v39, v166
	v_xor_b32_e32 v166, vcc_lo, v163
	ds_read_b32 v163, v165 offset:544
	v_and_b32_e32 v39, v39, v164
	; wave barrier
	v_and_b32_e32 v39, v39, v166
	v_add_nc_u32_e32 v166, v114, v40
	v_mbcnt_lo_u32_b32 v164, v39, 0
	v_cmp_ne_u32_e64 s23, 0, v39
	v_cmp_eq_u32_e32 vcc_lo, 0, v164
	s_and_b32 s24, s23, vcc_lo
	s_and_saveexec_b32 s23, s24
	s_cbranch_execz .LBB427_145
; %bb.144:                              ;   in Loop: Header=BB427_108 Depth=2
	s_waitcnt lgkmcnt(0)
	v_bcnt_u32_b32 v39, v39, v163
	ds_write_b32 v166, v39 offset:544
.LBB427_145:                            ;   in Loop: Header=BB427_108 Depth=2
	s_or_b32 exec_lo, exec_lo, s23
	v_lshrrev_b32_e32 v165, 24, v142
	; wave barrier
	v_lshrrev_b32_e32 v39, s61, v165
	v_and_b32_e32 v40, s62, v39
	v_and_b32_e32 v39, 1, v40
	v_lshlrev_b32_e32 v167, 30, v40
	v_lshlrev_b32_e32 v168, 29, v40
	;; [unrolled: 1-line block ×4, first 2 shown]
	v_add_co_u32 v39, s23, v39, -1
	v_cndmask_b32_e64 v169, 0, 1, s23
	v_not_b32_e32 v173, v167
	v_cmp_gt_i32_e64 s23, 0, v167
	v_not_b32_e32 v167, v168
	v_lshlrev_b32_e32 v172, 26, v40
	v_cmp_ne_u32_e32 vcc_lo, 0, v169
	v_ashrrev_i32_e32 v173, 31, v173
	v_lshlrev_b32_e32 v169, 25, v40
	v_ashrrev_i32_e32 v167, 31, v167
	v_xor_b32_e32 v39, vcc_lo, v39
	v_cmp_gt_i32_e32 vcc_lo, 0, v168
	v_not_b32_e32 v168, v170
	v_xor_b32_e32 v173, s23, v173
	v_cmp_gt_i32_e64 s23, 0, v170
	v_and_b32_e32 v39, exec_lo, v39
	v_not_b32_e32 v170, v171
	v_ashrrev_i32_e32 v168, 31, v168
	v_xor_b32_e32 v167, vcc_lo, v167
	v_cmp_gt_i32_e32 vcc_lo, 0, v171
	v_and_b32_e32 v39, v39, v173
	v_not_b32_e32 v171, v172
	v_ashrrev_i32_e32 v170, 31, v170
	v_xor_b32_e32 v168, s23, v168
	v_cmp_gt_i32_e64 s23, 0, v172
	v_and_b32_e32 v39, v39, v167
	v_not_b32_e32 v167, v169
	v_ashrrev_i32_e32 v171, 31, v171
	v_xor_b32_e32 v170, vcc_lo, v170
	v_cmp_gt_i32_e32 vcc_lo, 0, v169
	v_and_b32_e32 v39, v39, v168
	v_ashrrev_i32_e32 v167, 31, v167
	v_xor_b32_e32 v168, s23, v171
	v_mad_u32_u24 v169, v40, 36, v114
	v_mul_u32_u24_e32 v40, 36, v40
	v_and_b32_e32 v39, v39, v170
	v_xor_b32_e32 v170, vcc_lo, v167
	ds_read_b32 v167, v169 offset:544
	v_add_nc_u32_e32 v169, v114, v40
	v_and_b32_e32 v39, v39, v168
	; wave barrier
	v_and_b32_e32 v39, v39, v170
	v_mbcnt_lo_u32_b32 v168, v39, 0
	v_cmp_ne_u32_e64 s23, 0, v39
	v_cmp_eq_u32_e32 vcc_lo, 0, v168
	s_and_b32 s24, s23, vcc_lo
	s_and_saveexec_b32 s23, s24
	s_cbranch_execz .LBB427_147
; %bb.146:                              ;   in Loop: Header=BB427_108 Depth=2
	s_waitcnt lgkmcnt(0)
	v_bcnt_u32_b32 v39, v39, v167
	ds_write_b32 v169, v39 offset:544
.LBB427_147:                            ;   in Loop: Header=BB427_108 Depth=2
	s_or_b32 exec_lo, exec_lo, s23
	v_xor_b32_e32 v39, 0x80, v140
	; wave barrier
	v_and_b32_sdwa v40, v92, v39 dst_sel:DWORD dst_unused:UNUSED_PAD src0_sel:DWORD src1_sel:BYTE_0
	v_lshrrev_b32_e32 v40, s61, v40
	v_and_b32_e32 v171, s62, v40
	v_and_b32_e32 v40, 1, v171
	v_lshlrev_b32_e32 v140, 30, v171
	v_lshlrev_b32_e32 v170, 29, v171
	;; [unrolled: 1-line block ×4, first 2 shown]
	v_add_co_u32 v40, s23, v40, -1
	v_cndmask_b32_e64 v172, 0, 1, s23
	v_not_b32_e32 v176, v140
	v_cmp_gt_i32_e64 s23, 0, v140
	v_not_b32_e32 v140, v170
	v_lshlrev_b32_e32 v175, 26, v171
	v_cmp_ne_u32_e32 vcc_lo, 0, v172
	v_ashrrev_i32_e32 v176, 31, v176
	v_lshlrev_b32_e32 v172, 25, v171
	v_ashrrev_i32_e32 v140, 31, v140
	v_xor_b32_e32 v40, vcc_lo, v40
	v_cmp_gt_i32_e32 vcc_lo, 0, v170
	v_not_b32_e32 v170, v173
	v_xor_b32_e32 v176, s23, v176
	v_cmp_gt_i32_e64 s23, 0, v173
	v_and_b32_e32 v40, exec_lo, v40
	v_not_b32_e32 v173, v174
	v_ashrrev_i32_e32 v170, 31, v170
	v_xor_b32_e32 v140, vcc_lo, v140
	v_cmp_gt_i32_e32 vcc_lo, 0, v174
	v_and_b32_e32 v40, v40, v176
	v_not_b32_e32 v174, v175
	v_ashrrev_i32_e32 v173, 31, v173
	v_xor_b32_e32 v170, s23, v170
	v_cmp_gt_i32_e64 s23, 0, v175
	v_and_b32_e32 v40, v40, v140
	v_not_b32_e32 v140, v172
	v_ashrrev_i32_e32 v174, 31, v174
	v_xor_b32_e32 v173, vcc_lo, v173
	v_cmp_gt_i32_e32 vcc_lo, 0, v172
	v_and_b32_e32 v40, v40, v170
	v_ashrrev_i32_e32 v140, 31, v140
	v_xor_b32_e32 v170, s23, v174
	v_mad_u32_u24 v172, v171, 36, v114
	v_mul_u32_u24_e32 v171, 36, v171
	v_and_b32_e32 v40, v40, v173
	v_xor_b32_e32 v173, vcc_lo, v140
	ds_read_b32 v140, v172 offset:544
	v_add_nc_u32_e32 v171, v114, v171
	v_and_b32_e32 v40, v40, v170
	; wave barrier
	v_and_b32_e32 v40, v40, v173
	v_mbcnt_lo_u32_b32 v170, v40, 0
	v_cmp_ne_u32_e64 s23, 0, v40
	v_cmp_eq_u32_e32 vcc_lo, 0, v170
	s_and_b32 s24, s23, vcc_lo
	s_and_saveexec_b32 s23, s24
	s_cbranch_execz .LBB427_149
; %bb.148:                              ;   in Loop: Header=BB427_108 Depth=2
	s_waitcnt lgkmcnt(0)
	v_bcnt_u32_b32 v40, v40, v140
	ds_write_b32 v171, v40 offset:544
.LBB427_149:                            ;   in Loop: Header=BB427_108 Depth=2
	s_or_b32 exec_lo, exec_lo, s23
	v_xor_b32_sdwa v40, v137, v93 dst_sel:BYTE_1 dst_unused:UNUSED_PAD src0_sel:DWORD src1_sel:DWORD
	v_xor_b32_e32 v138, 0x80, v138
	v_xor_b32_sdwa v139, v139, v93 dst_sel:BYTE_1 dst_unused:UNUSED_PAD src0_sel:DWORD src1_sel:DWORD
	; wave barrier
	v_or_b32_sdwa v137, v39, v40 dst_sel:DWORD dst_unused:UNUSED_PAD src0_sel:BYTE_0 src1_sel:DWORD
	v_or_b32_sdwa v39, v138, v139 dst_sel:WORD_1 dst_unused:UNUSED_PAD src0_sel:BYTE_0 src1_sel:DWORD
	v_or_b32_sdwa v138, v137, v39 dst_sel:DWORD dst_unused:UNUSED_PAD src0_sel:WORD_0 src1_sel:DWORD
	v_lshrrev_b32_sdwa v39, s61, v138 dst_sel:DWORD dst_unused:UNUSED_PAD src0_sel:DWORD src1_sel:BYTE_1
	v_and_b32_e32 v40, s62, v39
	v_and_b32_e32 v39, 1, v40
	v_lshlrev_b32_e32 v139, 30, v40
	v_lshlrev_b32_e32 v172, 29, v40
	;; [unrolled: 1-line block ×4, first 2 shown]
	v_add_co_u32 v39, s23, v39, -1
	v_cndmask_b32_e64 v173, 0, 1, s23
	v_not_b32_e32 v177, v139
	v_cmp_gt_i32_e64 s23, 0, v139
	v_not_b32_e32 v139, v172
	v_lshlrev_b32_e32 v176, 26, v40
	v_cmp_ne_u32_e32 vcc_lo, 0, v173
	v_ashrrev_i32_e32 v177, 31, v177
	v_lshlrev_b32_e32 v173, 25, v40
	v_ashrrev_i32_e32 v139, 31, v139
	v_xor_b32_e32 v39, vcc_lo, v39
	v_cmp_gt_i32_e32 vcc_lo, 0, v172
	v_not_b32_e32 v172, v174
	v_xor_b32_e32 v177, s23, v177
	v_cmp_gt_i32_e64 s23, 0, v174
	v_and_b32_e32 v39, exec_lo, v39
	v_not_b32_e32 v174, v175
	v_ashrrev_i32_e32 v172, 31, v172
	v_xor_b32_e32 v139, vcc_lo, v139
	v_cmp_gt_i32_e32 vcc_lo, 0, v175
	v_and_b32_e32 v39, v39, v177
	v_not_b32_e32 v175, v176
	v_ashrrev_i32_e32 v174, 31, v174
	v_xor_b32_e32 v172, s23, v172
	v_cmp_gt_i32_e64 s23, 0, v176
	v_and_b32_e32 v39, v39, v139
	v_not_b32_e32 v139, v173
	v_ashrrev_i32_e32 v175, 31, v175
	v_xor_b32_e32 v174, vcc_lo, v174
	v_cmp_gt_i32_e32 vcc_lo, 0, v173
	v_and_b32_e32 v39, v39, v172
	v_ashrrev_i32_e32 v139, 31, v139
	v_xor_b32_e32 v172, s23, v175
	v_mad_u32_u24 v173, v40, 36, v114
	v_mul_u32_u24_e32 v40, 36, v40
	v_and_b32_e32 v39, v39, v174
	v_xor_b32_e32 v174, vcc_lo, v139
	ds_read_b32 v139, v173 offset:544
	v_add_nc_u32_e32 v173, v114, v40
	v_and_b32_e32 v39, v39, v172
	; wave barrier
	v_and_b32_e32 v39, v39, v174
	v_mbcnt_lo_u32_b32 v172, v39, 0
	v_cmp_ne_u32_e64 s23, 0, v39
	v_cmp_eq_u32_e32 vcc_lo, 0, v172
	s_and_b32 s24, s23, vcc_lo
	s_and_saveexec_b32 s23, s24
	s_cbranch_execz .LBB427_151
; %bb.150:                              ;   in Loop: Header=BB427_108 Depth=2
	s_waitcnt lgkmcnt(0)
	v_bcnt_u32_b32 v39, v39, v139
	ds_write_b32 v173, v39 offset:544
.LBB427_151:                            ;   in Loop: Header=BB427_108 Depth=2
	s_or_b32 exec_lo, exec_lo, s23
	v_lshrrev_b32_sdwa v39, s61, v138 dst_sel:DWORD dst_unused:UNUSED_PAD src0_sel:DWORD src1_sel:BYTE_2
	; wave barrier
	v_and_b32_e32 v40, s62, v39
	v_and_b32_e32 v39, 1, v40
	v_lshlrev_b32_e32 v174, 30, v40
	v_lshlrev_b32_e32 v175, 29, v40
	;; [unrolled: 1-line block ×4, first 2 shown]
	v_add_co_u32 v39, s23, v39, -1
	v_cndmask_b32_e64 v176, 0, 1, s23
	v_not_b32_e32 v180, v174
	v_cmp_gt_i32_e64 s23, 0, v174
	v_not_b32_e32 v174, v175
	v_lshlrev_b32_e32 v179, 26, v40
	v_cmp_ne_u32_e32 vcc_lo, 0, v176
	v_ashrrev_i32_e32 v180, 31, v180
	v_lshlrev_b32_e32 v176, 25, v40
	v_ashrrev_i32_e32 v174, 31, v174
	v_xor_b32_e32 v39, vcc_lo, v39
	v_cmp_gt_i32_e32 vcc_lo, 0, v175
	v_not_b32_e32 v175, v177
	v_xor_b32_e32 v180, s23, v180
	v_cmp_gt_i32_e64 s23, 0, v177
	v_and_b32_e32 v39, exec_lo, v39
	v_not_b32_e32 v177, v178
	v_ashrrev_i32_e32 v175, 31, v175
	v_xor_b32_e32 v174, vcc_lo, v174
	v_cmp_gt_i32_e32 vcc_lo, 0, v178
	v_and_b32_e32 v39, v39, v180
	v_not_b32_e32 v178, v179
	v_ashrrev_i32_e32 v177, 31, v177
	v_xor_b32_e32 v175, s23, v175
	v_cmp_gt_i32_e64 s23, 0, v179
	v_and_b32_e32 v39, v39, v174
	v_not_b32_e32 v174, v176
	v_ashrrev_i32_e32 v178, 31, v178
	v_xor_b32_e32 v177, vcc_lo, v177
	v_cmp_gt_i32_e32 vcc_lo, 0, v176
	v_and_b32_e32 v39, v39, v175
	v_ashrrev_i32_e32 v174, 31, v174
	v_xor_b32_e32 v175, s23, v178
	v_mad_u32_u24 v176, v40, 36, v114
	v_mul_u32_u24_e32 v40, 36, v40
	v_and_b32_e32 v39, v39, v177
	v_xor_b32_e32 v177, vcc_lo, v174
	ds_read_b32 v174, v176 offset:544
	v_and_b32_e32 v39, v39, v175
	; wave barrier
	v_and_b32_e32 v39, v39, v177
	v_add_nc_u32_e32 v177, v114, v40
	v_mbcnt_lo_u32_b32 v175, v39, 0
	v_cmp_ne_u32_e64 s23, 0, v39
	v_cmp_eq_u32_e32 vcc_lo, 0, v175
	s_and_b32 s24, s23, vcc_lo
	s_and_saveexec_b32 s23, s24
	s_cbranch_execz .LBB427_153
; %bb.152:                              ;   in Loop: Header=BB427_108 Depth=2
	s_waitcnt lgkmcnt(0)
	v_bcnt_u32_b32 v39, v39, v174
	ds_write_b32 v177, v39 offset:544
.LBB427_153:                            ;   in Loop: Header=BB427_108 Depth=2
	s_or_b32 exec_lo, exec_lo, s23
	v_lshrrev_b32_e32 v176, 24, v138
	; wave barrier
	v_lshrrev_b32_e32 v39, s61, v176
	v_and_b32_e32 v40, s62, v39
	v_and_b32_e32 v39, 1, v40
	v_lshlrev_b32_e32 v178, 30, v40
	v_lshlrev_b32_e32 v179, 29, v40
	;; [unrolled: 1-line block ×4, first 2 shown]
	v_add_co_u32 v39, s23, v39, -1
	v_cndmask_b32_e64 v180, 0, 1, s23
	v_not_b32_e32 v184, v178
	v_cmp_gt_i32_e64 s23, 0, v178
	v_not_b32_e32 v178, v179
	v_lshlrev_b32_e32 v183, 26, v40
	v_cmp_ne_u32_e32 vcc_lo, 0, v180
	v_ashrrev_i32_e32 v184, 31, v184
	v_lshlrev_b32_e32 v180, 25, v40
	v_ashrrev_i32_e32 v178, 31, v178
	v_xor_b32_e32 v39, vcc_lo, v39
	v_cmp_gt_i32_e32 vcc_lo, 0, v179
	v_not_b32_e32 v179, v181
	v_xor_b32_e32 v184, s23, v184
	v_cmp_gt_i32_e64 s23, 0, v181
	v_and_b32_e32 v39, exec_lo, v39
	v_not_b32_e32 v181, v182
	v_ashrrev_i32_e32 v179, 31, v179
	v_xor_b32_e32 v178, vcc_lo, v178
	v_cmp_gt_i32_e32 vcc_lo, 0, v182
	v_and_b32_e32 v39, v39, v184
	v_not_b32_e32 v182, v183
	v_ashrrev_i32_e32 v181, 31, v181
	v_xor_b32_e32 v179, s23, v179
	v_cmp_gt_i32_e64 s23, 0, v183
	v_and_b32_e32 v39, v39, v178
	v_not_b32_e32 v178, v180
	v_ashrrev_i32_e32 v182, 31, v182
	v_xor_b32_e32 v181, vcc_lo, v181
	v_cmp_gt_i32_e32 vcc_lo, 0, v180
	v_and_b32_e32 v39, v39, v179
	v_ashrrev_i32_e32 v178, 31, v178
	v_xor_b32_e32 v179, s23, v182
	v_mad_u32_u24 v180, v40, 36, v114
	v_mul_u32_u24_e32 v40, 36, v40
	v_and_b32_e32 v39, v39, v181
	v_xor_b32_e32 v181, vcc_lo, v178
	ds_read_b32 v178, v180 offset:544
	v_add_nc_u32_e32 v180, v114, v40
	v_and_b32_e32 v39, v39, v179
	; wave barrier
	v_and_b32_e32 v39, v39, v181
	v_mbcnt_lo_u32_b32 v179, v39, 0
	v_cmp_ne_u32_e64 s23, 0, v39
	v_cmp_eq_u32_e32 vcc_lo, 0, v179
	s_and_b32 s24, s23, vcc_lo
	s_and_saveexec_b32 s23, s24
	s_cbranch_execz .LBB427_155
; %bb.154:                              ;   in Loop: Header=BB427_108 Depth=2
	s_waitcnt lgkmcnt(0)
	v_bcnt_u32_b32 v39, v39, v178
	ds_write_b32 v180, v39 offset:544
.LBB427_155:                            ;   in Loop: Header=BB427_108 Depth=2
	s_or_b32 exec_lo, exec_lo, s23
	v_xor_b32_e32 v39, 0x80, v135
	; wave barrier
	v_and_b32_sdwa v40, v92, v39 dst_sel:DWORD dst_unused:UNUSED_PAD src0_sel:DWORD src1_sel:BYTE_0
	v_lshrrev_b32_e32 v40, s61, v40
	v_and_b32_e32 v182, s62, v40
	v_and_b32_e32 v40, 1, v182
	v_lshlrev_b32_e32 v135, 30, v182
	v_lshlrev_b32_e32 v181, 29, v182
	;; [unrolled: 1-line block ×4, first 2 shown]
	v_add_co_u32 v40, s23, v40, -1
	v_cndmask_b32_e64 v183, 0, 1, s23
	v_not_b32_e32 v187, v135
	v_cmp_gt_i32_e64 s23, 0, v135
	v_not_b32_e32 v135, v181
	v_lshlrev_b32_e32 v186, 26, v182
	v_cmp_ne_u32_e32 vcc_lo, 0, v183
	v_ashrrev_i32_e32 v187, 31, v187
	v_lshlrev_b32_e32 v183, 25, v182
	v_ashrrev_i32_e32 v135, 31, v135
	v_xor_b32_e32 v40, vcc_lo, v40
	v_cmp_gt_i32_e32 vcc_lo, 0, v181
	v_not_b32_e32 v181, v184
	v_xor_b32_e32 v187, s23, v187
	v_cmp_gt_i32_e64 s23, 0, v184
	v_and_b32_e32 v40, exec_lo, v40
	v_not_b32_e32 v184, v185
	v_ashrrev_i32_e32 v181, 31, v181
	v_xor_b32_e32 v135, vcc_lo, v135
	v_cmp_gt_i32_e32 vcc_lo, 0, v185
	v_and_b32_e32 v40, v40, v187
	v_not_b32_e32 v185, v186
	v_ashrrev_i32_e32 v184, 31, v184
	v_xor_b32_e32 v181, s23, v181
	v_cmp_gt_i32_e64 s23, 0, v186
	v_and_b32_e32 v40, v40, v135
	v_not_b32_e32 v135, v183
	v_ashrrev_i32_e32 v185, 31, v185
	v_xor_b32_e32 v184, vcc_lo, v184
	v_cmp_gt_i32_e32 vcc_lo, 0, v183
	v_and_b32_e32 v40, v40, v181
	v_ashrrev_i32_e32 v135, 31, v135
	v_xor_b32_e32 v181, s23, v185
	v_mad_u32_u24 v183, v182, 36, v114
	v_mul_u32_u24_e32 v182, 36, v182
	v_and_b32_e32 v40, v40, v184
	v_xor_b32_e32 v184, vcc_lo, v135
	ds_read_b32 v135, v183 offset:544
	v_add_nc_u32_e32 v183, v114, v182
	v_and_b32_e32 v40, v40, v181
	; wave barrier
	v_and_b32_e32 v40, v40, v184
	v_mbcnt_lo_u32_b32 v181, v40, 0
	v_cmp_ne_u32_e64 s23, 0, v40
	v_cmp_eq_u32_e32 vcc_lo, 0, v181
	s_and_b32 s24, s23, vcc_lo
	s_and_saveexec_b32 s23, s24
	s_cbranch_execz .LBB427_157
; %bb.156:                              ;   in Loop: Header=BB427_108 Depth=2
	s_waitcnt lgkmcnt(0)
	v_bcnt_u32_b32 v40, v40, v135
	ds_write_b32 v183, v40 offset:544
.LBB427_157:                            ;   in Loop: Header=BB427_108 Depth=2
	s_or_b32 exec_lo, exec_lo, s23
	v_xor_b32_sdwa v3, v3, v93 dst_sel:BYTE_1 dst_unused:UNUSED_PAD src0_sel:DWORD src1_sel:DWORD
	v_xor_b32_e32 v40, 0x80, v41
	v_xor_b32_sdwa v41, v42, v93 dst_sel:BYTE_1 dst_unused:UNUSED_PAD src0_sel:DWORD src1_sel:DWORD
	; wave barrier
	v_or_b32_sdwa v182, v39, v3 dst_sel:DWORD dst_unused:UNUSED_PAD src0_sel:BYTE_0 src1_sel:DWORD
	v_or_b32_sdwa v3, v40, v41 dst_sel:WORD_1 dst_unused:UNUSED_PAD src0_sel:BYTE_0 src1_sel:DWORD
	v_or_b32_sdwa v3, v182, v3 dst_sel:DWORD dst_unused:UNUSED_PAD src0_sel:WORD_0 src1_sel:DWORD
	v_lshrrev_b32_sdwa v39, s61, v3 dst_sel:DWORD dst_unused:UNUSED_PAD src0_sel:DWORD src1_sel:BYTE_1
	v_and_b32_e32 v40, s62, v39
	v_and_b32_e32 v39, 1, v40
	v_lshlrev_b32_e32 v41, 30, v40
	v_lshlrev_b32_e32 v42, 29, v40
	;; [unrolled: 1-line block ×4, first 2 shown]
	v_add_co_u32 v39, s23, v39, -1
	v_cndmask_b32_e64 v184, 0, 1, s23
	v_not_b32_e32 v188, v41
	v_cmp_gt_i32_e64 s23, 0, v41
	v_not_b32_e32 v41, v42
	v_lshlrev_b32_e32 v187, 26, v40
	v_cmp_ne_u32_e32 vcc_lo, 0, v184
	v_ashrrev_i32_e32 v188, 31, v188
	v_lshlrev_b32_e32 v184, 25, v40
	v_ashrrev_i32_e32 v41, 31, v41
	v_xor_b32_e32 v39, vcc_lo, v39
	v_cmp_gt_i32_e32 vcc_lo, 0, v42
	v_not_b32_e32 v42, v185
	v_xor_b32_e32 v188, s23, v188
	v_cmp_gt_i32_e64 s23, 0, v185
	v_and_b32_e32 v39, exec_lo, v39
	v_not_b32_e32 v185, v186
	v_ashrrev_i32_e32 v42, 31, v42
	v_xor_b32_e32 v41, vcc_lo, v41
	v_cmp_gt_i32_e32 vcc_lo, 0, v186
	v_and_b32_e32 v39, v39, v188
	v_not_b32_e32 v186, v187
	v_ashrrev_i32_e32 v185, 31, v185
	v_xor_b32_e32 v42, s23, v42
	v_cmp_gt_i32_e64 s23, 0, v187
	v_and_b32_e32 v39, v39, v41
	v_not_b32_e32 v41, v184
	v_ashrrev_i32_e32 v186, 31, v186
	v_xor_b32_e32 v185, vcc_lo, v185
	v_cmp_gt_i32_e32 vcc_lo, 0, v184
	v_and_b32_e32 v39, v39, v42
	v_ashrrev_i32_e32 v41, 31, v41
	v_xor_b32_e32 v42, s23, v186
	v_mad_u32_u24 v184, v40, 36, v114
	v_mul_u32_u24_e32 v40, 36, v40
	v_and_b32_e32 v39, v39, v185
	v_xor_b32_e32 v41, vcc_lo, v41
	ds_read_b32 v184, v184 offset:544
	v_add_nc_u32_e32 v186, v114, v40
	v_and_b32_e32 v39, v39, v42
	; wave barrier
	v_and_b32_e32 v39, v39, v41
	v_mbcnt_lo_u32_b32 v185, v39, 0
	v_cmp_ne_u32_e64 s23, 0, v39
	v_cmp_eq_u32_e32 vcc_lo, 0, v185
	s_and_b32 s24, s23, vcc_lo
	s_and_saveexec_b32 s23, s24
	s_cbranch_execz .LBB427_159
; %bb.158:                              ;   in Loop: Header=BB427_108 Depth=2
	s_waitcnt lgkmcnt(0)
	v_bcnt_u32_b32 v39, v39, v184
	ds_write_b32 v186, v39 offset:544
.LBB427_159:                            ;   in Loop: Header=BB427_108 Depth=2
	s_or_b32 exec_lo, exec_lo, s23
	v_lshrrev_b32_sdwa v39, s61, v3 dst_sel:DWORD dst_unused:UNUSED_PAD src0_sel:DWORD src1_sel:BYTE_2
	; wave barrier
	v_and_b32_e32 v40, s62, v39
	v_and_b32_e32 v39, 1, v40
	v_lshlrev_b32_e32 v41, 30, v40
	v_lshlrev_b32_e32 v42, 29, v40
	;; [unrolled: 1-line block ×4, first 2 shown]
	v_add_co_u32 v39, s23, v39, -1
	v_cndmask_b32_e64 v187, 0, 1, s23
	v_not_b32_e32 v191, v41
	v_cmp_gt_i32_e64 s23, 0, v41
	v_not_b32_e32 v41, v42
	v_lshlrev_b32_e32 v190, 26, v40
	v_cmp_ne_u32_e32 vcc_lo, 0, v187
	v_ashrrev_i32_e32 v191, 31, v191
	v_lshlrev_b32_e32 v187, 25, v40
	v_ashrrev_i32_e32 v41, 31, v41
	v_xor_b32_e32 v39, vcc_lo, v39
	v_cmp_gt_i32_e32 vcc_lo, 0, v42
	v_not_b32_e32 v42, v188
	v_xor_b32_e32 v191, s23, v191
	v_cmp_gt_i32_e64 s23, 0, v188
	v_and_b32_e32 v39, exec_lo, v39
	v_not_b32_e32 v188, v189
	v_ashrrev_i32_e32 v42, 31, v42
	v_xor_b32_e32 v41, vcc_lo, v41
	v_cmp_gt_i32_e32 vcc_lo, 0, v189
	v_and_b32_e32 v39, v39, v191
	v_not_b32_e32 v189, v190
	v_ashrrev_i32_e32 v188, 31, v188
	v_xor_b32_e32 v42, s23, v42
	v_cmp_gt_i32_e64 s23, 0, v190
	v_and_b32_e32 v39, v39, v41
	v_not_b32_e32 v41, v187
	v_ashrrev_i32_e32 v189, 31, v189
	v_xor_b32_e32 v188, vcc_lo, v188
	v_cmp_gt_i32_e32 vcc_lo, 0, v187
	v_and_b32_e32 v39, v39, v42
	v_ashrrev_i32_e32 v41, 31, v41
	v_xor_b32_e32 v42, s23, v189
	v_mad_u32_u24 v187, v40, 36, v114
	v_mul_u32_u24_e32 v40, 36, v40
	v_and_b32_e32 v39, v39, v188
	v_xor_b32_e32 v41, vcc_lo, v41
	ds_read_b32 v187, v187 offset:544
	v_add_nc_u32_e32 v190, v114, v40
	v_and_b32_e32 v39, v39, v42
	; wave barrier
	v_and_b32_e32 v39, v39, v41
	v_mbcnt_lo_u32_b32 v188, v39, 0
	v_cmp_ne_u32_e64 s23, 0, v39
	v_cmp_eq_u32_e32 vcc_lo, 0, v188
	s_and_b32 s24, s23, vcc_lo
	s_and_saveexec_b32 s23, s24
	s_cbranch_execz .LBB427_161
; %bb.160:                              ;   in Loop: Header=BB427_108 Depth=2
	s_waitcnt lgkmcnt(0)
	v_bcnt_u32_b32 v39, v39, v187
	ds_write_b32 v190, v39 offset:544
.LBB427_161:                            ;   in Loop: Header=BB427_108 Depth=2
	s_or_b32 exec_lo, exec_lo, s23
	v_lshrrev_b32_e32 v189, 24, v3
	; wave barrier
	v_lshrrev_b32_e32 v39, s61, v189
	v_and_b32_e32 v40, s62, v39
	v_and_b32_e32 v39, 1, v40
	v_lshlrev_b32_e32 v41, 30, v40
	v_lshlrev_b32_e32 v42, 29, v40
	;; [unrolled: 1-line block ×4, first 2 shown]
	v_add_co_u32 v39, s23, v39, -1
	v_cndmask_b32_e64 v191, 0, 1, s23
	v_not_b32_e32 v195, v41
	v_cmp_gt_i32_e64 s23, 0, v41
	v_not_b32_e32 v41, v42
	v_lshlrev_b32_e32 v194, 26, v40
	v_cmp_ne_u32_e32 vcc_lo, 0, v191
	v_ashrrev_i32_e32 v195, 31, v195
	v_lshlrev_b32_e32 v191, 25, v40
	v_ashrrev_i32_e32 v41, 31, v41
	v_xor_b32_e32 v39, vcc_lo, v39
	v_cmp_gt_i32_e32 vcc_lo, 0, v42
	v_not_b32_e32 v42, v192
	v_xor_b32_e32 v195, s23, v195
	v_cmp_gt_i32_e64 s23, 0, v192
	v_and_b32_e32 v39, exec_lo, v39
	v_not_b32_e32 v192, v193
	v_ashrrev_i32_e32 v42, 31, v42
	v_xor_b32_e32 v41, vcc_lo, v41
	v_cmp_gt_i32_e32 vcc_lo, 0, v193
	v_and_b32_e32 v39, v39, v195
	v_not_b32_e32 v193, v194
	v_ashrrev_i32_e32 v192, 31, v192
	v_xor_b32_e32 v42, s23, v42
	v_cmp_gt_i32_e64 s23, 0, v194
	v_and_b32_e32 v39, v39, v41
	v_not_b32_e32 v41, v191
	v_ashrrev_i32_e32 v193, 31, v193
	v_xor_b32_e32 v192, vcc_lo, v192
	v_cmp_gt_i32_e32 vcc_lo, 0, v191
	v_and_b32_e32 v39, v39, v42
	v_ashrrev_i32_e32 v41, 31, v41
	v_xor_b32_e32 v42, s23, v193
	v_mad_u32_u24 v191, v40, 36, v114
	v_mul_u32_u24_e32 v40, 36, v40
	v_and_b32_e32 v39, v39, v192
	v_xor_b32_e32 v41, vcc_lo, v41
	ds_read_b32 v191, v191 offset:544
	v_add_nc_u32_e32 v193, v114, v40
	v_and_b32_e32 v39, v39, v42
	; wave barrier
	v_and_b32_e32 v39, v39, v41
	v_mbcnt_lo_u32_b32 v192, v39, 0
	v_cmp_ne_u32_e64 s23, 0, v39
	v_cmp_eq_u32_e32 vcc_lo, 0, v192
	s_and_b32 s24, s23, vcc_lo
	s_and_saveexec_b32 s23, s24
	s_cbranch_execz .LBB427_163
; %bb.162:                              ;   in Loop: Header=BB427_108 Depth=2
	s_waitcnt lgkmcnt(0)
	v_bcnt_u32_b32 v39, v39, v191
	ds_write_b32 v193, v39 offset:544
.LBB427_163:                            ;   in Loop: Header=BB427_108 Depth=2
	s_or_b32 exec_lo, exec_lo, s23
	v_xor_b32_e32 v115, 0xffffff80, v115
	; wave barrier
	v_lshrrev_b32_sdwa v39, s61, v115 dst_sel:DWORD dst_unused:UNUSED_PAD src0_sel:DWORD src1_sel:BYTE_0
	v_and_b32_e32 v40, s62, v39
	v_and_b32_e32 v39, 1, v40
	v_lshlrev_b32_e32 v41, 30, v40
	v_lshlrev_b32_e32 v42, 29, v40
	;; [unrolled: 1-line block ×4, first 2 shown]
	v_add_co_u32 v39, s23, v39, -1
	v_cndmask_b32_e64 v194, 0, 1, s23
	v_not_b32_e32 v198, v41
	v_cmp_gt_i32_e64 s23, 0, v41
	v_not_b32_e32 v41, v42
	v_lshlrev_b32_e32 v197, 26, v40
	v_cmp_ne_u32_e32 vcc_lo, 0, v194
	v_ashrrev_i32_e32 v198, 31, v198
	v_lshlrev_b32_e32 v194, 25, v40
	v_ashrrev_i32_e32 v41, 31, v41
	v_xor_b32_e32 v39, vcc_lo, v39
	v_cmp_gt_i32_e32 vcc_lo, 0, v42
	v_not_b32_e32 v42, v195
	v_xor_b32_e32 v198, s23, v198
	v_cmp_gt_i32_e64 s23, 0, v195
	v_and_b32_e32 v39, exec_lo, v39
	v_not_b32_e32 v195, v196
	v_ashrrev_i32_e32 v42, 31, v42
	v_xor_b32_e32 v41, vcc_lo, v41
	v_cmp_gt_i32_e32 vcc_lo, 0, v196
	v_and_b32_e32 v39, v39, v198
	v_not_b32_e32 v196, v197
	v_ashrrev_i32_e32 v195, 31, v195
	v_xor_b32_e32 v42, s23, v42
	v_cmp_gt_i32_e64 s23, 0, v197
	v_and_b32_e32 v39, v39, v41
	v_not_b32_e32 v41, v194
	v_ashrrev_i32_e32 v196, 31, v196
	v_xor_b32_e32 v195, vcc_lo, v195
	v_cmp_gt_i32_e32 vcc_lo, 0, v194
	v_and_b32_e32 v39, v39, v42
	v_ashrrev_i32_e32 v41, 31, v41
	v_xor_b32_e32 v42, s23, v196
	v_mad_u32_u24 v194, v40, 36, v114
	v_mul_u32_u24_e32 v40, 36, v40
	v_and_b32_e32 v39, v39, v195
	v_xor_b32_e32 v41, vcc_lo, v41
	ds_read_b32 v194, v194 offset:544
	v_add_nc_u32_e32 v196, v114, v40
	v_and_b32_e32 v39, v39, v42
	; wave barrier
	v_and_b32_e32 v39, v39, v41
	v_mbcnt_lo_u32_b32 v195, v39, 0
	v_cmp_ne_u32_e64 s23, 0, v39
	v_cmp_eq_u32_e32 vcc_lo, 0, v195
	s_and_b32 s24, s23, vcc_lo
	s_and_saveexec_b32 s23, s24
	s_cbranch_execz .LBB427_165
; %bb.164:                              ;   in Loop: Header=BB427_108 Depth=2
	s_waitcnt lgkmcnt(0)
	v_bcnt_u32_b32 v39, v39, v194
	ds_write_b32 v196, v39 offset:544
.LBB427_165:                            ;   in Loop: Header=BB427_108 Depth=2
	s_or_b32 exec_lo, exec_lo, s23
	; wave barrier
	s_waitcnt lgkmcnt(0)
	s_barrier
	buffer_gl0_inv
	ds_read2_b32 v[41:42], v69 offset0:136 offset1:137
	ds_read2_b32 v[39:40], v69 offset0:138 offset1:139
	ds_read_b32 v197, v69 offset:560
	s_waitcnt lgkmcnt(1)
	v_add3_u32 v198, v42, v41, v39
	s_waitcnt lgkmcnt(0)
	v_add3_u32 v197, v198, v40, v197
	v_mov_b32_dpp v198, v197 row_shr:1 row_mask:0xf bank_mask:0xf
	v_cndmask_b32_e64 v198, v198, 0, s5
	v_add_nc_u32_e32 v197, v198, v197
	v_mov_b32_dpp v198, v197 row_shr:2 row_mask:0xf bank_mask:0xf
	v_cndmask_b32_e64 v198, 0, v198, s15
	v_add_nc_u32_e32 v197, v197, v198
	;; [unrolled: 3-line block ×4, first 2 shown]
	ds_swizzle_b32 v198, v197 offset:swizzle(BROADCAST,32,15)
	s_waitcnt lgkmcnt(0)
	v_cndmask_b32_e64 v198, v198, 0, s18
	v_add_nc_u32_e32 v197, v197, v198
	s_and_saveexec_b32 s23, s4
; %bb.166:                              ;   in Loop: Header=BB427_108 Depth=2
	ds_write_b32 v62, v197 offset:512
; %bb.167:                              ;   in Loop: Header=BB427_108 Depth=2
	s_or_b32 exec_lo, exec_lo, s23
	s_waitcnt lgkmcnt(0)
	s_barrier
	buffer_gl0_inv
	s_and_saveexec_b32 s23, s12
	s_cbranch_execz .LBB427_169
; %bb.168:                              ;   in Loop: Header=BB427_108 Depth=2
	ds_read_b32 v198, v70 offset:512
	s_waitcnt lgkmcnt(0)
	v_mov_b32_dpp v199, v198 row_shr:1 row_mask:0xf bank_mask:0xf
	v_cndmask_b32_e64 v199, v199, 0, s20
	v_add_nc_u32_e32 v198, v199, v198
	v_mov_b32_dpp v199, v198 row_shr:2 row_mask:0xf bank_mask:0xf
	v_cndmask_b32_e64 v199, 0, v199, s21
	v_add_nc_u32_e32 v198, v198, v199
	;; [unrolled: 3-line block ×3, first 2 shown]
	ds_write_b32 v70, v198 offset:512
.LBB427_169:                            ;   in Loop: Header=BB427_108 Depth=2
	s_or_b32 exec_lo, exec_lo, s23
	v_mov_b32_e32 v198, 0
	s_waitcnt lgkmcnt(0)
	s_barrier
	buffer_gl0_inv
	s_and_saveexec_b32 s23, s11
; %bb.170:                              ;   in Loop: Header=BB427_108 Depth=2
	ds_read_b32 v198, v62 offset:508
; %bb.171:                              ;   in Loop: Header=BB427_108 Depth=2
	s_or_b32 exec_lo, exec_lo, s23
	s_waitcnt lgkmcnt(0)
	v_add_nc_u32_e32 v197, v198, v197
	ds_bpermute_b32 v197, v94, v197
	s_waitcnt lgkmcnt(0)
	v_cndmask_b32_e64 v197, v197, v198, s19
	v_cndmask_b32_e64 v197, v197, 0, s13
	v_add_nc_u32_e32 v41, v197, v41
	v_add_nc_u32_e32 v42, v41, v42
	;; [unrolled: 1-line block ×4, first 2 shown]
	ds_write2_b32 v69, v197, v41 offset0:136 offset1:137
	ds_write2_b32 v69, v42, v39 offset0:138 offset1:139
	ds_write_b32 v69, v40 offset:560
	s_waitcnt lgkmcnt(0)
	s_barrier
	buffer_gl0_inv
	ds_read_b32 v39, v147 offset:544
	ds_read_b32 v40, v151 offset:544
	;; [unrolled: 1-line block ×17, first 2 shown]
	s_and_saveexec_b32 s23, s8
	s_cbranch_execz .LBB427_175
; %bb.172:                              ;   in Loop: Header=BB427_108 Depth=2
	v_add_nc_u32_e32 v133, v70, v72
	v_mov_b32_e32 v134, 0x1100
	ds_read_b32 v133, v133 offset:544
	s_and_saveexec_b32 s24, s14
; %bb.173:                              ;   in Loop: Header=BB427_108 Depth=2
	ds_read_b32 v134, v71 offset:544
; %bb.174:                              ;   in Loop: Header=BB427_108 Depth=2
	s_or_b32 exec_lo, exec_lo, s24
	s_waitcnt lgkmcnt(0)
	v_sub_nc_u32_e32 v134, v134, v133
.LBB427_175:                            ;   in Loop: Header=BB427_108 Depth=2
	s_or_b32 exec_lo, exec_lo, s23
	v_lshrrev_b32_e32 v201, 8, v146
	v_lshrrev_b32_e32 v202, 16, v146
	;; [unrolled: 1-line block ×8, first 2 shown]
	s_waitcnt lgkmcnt(0)
	s_barrier
	buffer_gl0_inv
	s_and_saveexec_b32 s23, s8
	s_cbranch_execz .LBB427_177
; %bb.176:                              ;   in Loop: Header=BB427_108 Depth=2
	ds_read_b32 v3, v43
	s_waitcnt lgkmcnt(0)
	v_sub_nc_u32_e32 v3, v3, v133
	ds_write_b32 v43, v3
.LBB427_177:                            ;   in Loop: Header=BB427_108 Depth=2
	s_or_b32 exec_lo, exec_lo, s23
	v_add_nc_u32_e32 v155, v39, v144
	v_add3_u32 v151, v150, v149, v40
	v_add3_u32 v150, v153, v152, v41
	;; [unrolled: 1-line block ×16, first 2 shown]
	v_cmp_lt_u32_e64 s39, v0, v136
	ds_write_b8 v155, v145 offset:512
	ds_write_b8 v151, v201 offset:512
	;; [unrolled: 1-line block ×17, first 2 shown]
	s_waitcnt lgkmcnt(0)
	s_barrier
	buffer_gl0_inv
	s_and_saveexec_b32 s23, s39
	s_cbranch_execnz .LBB427_250
; %bb.178:                              ;   in Loop: Header=BB427_108 Depth=2
	s_or_b32 exec_lo, exec_lo, s23
	v_cmp_lt_u32_e64 s38, v44, v136
	s_and_saveexec_b32 s23, s38
	s_cbranch_execnz .LBB427_251
.LBB427_179:                            ;   in Loop: Header=BB427_108 Depth=2
	s_or_b32 exec_lo, exec_lo, s23
	v_cmp_lt_u32_e64 s37, v47, v136
	s_and_saveexec_b32 s23, s37
	s_cbranch_execnz .LBB427_252
.LBB427_180:                            ;   in Loop: Header=BB427_108 Depth=2
	s_or_b32 exec_lo, exec_lo, s23
	v_cmp_lt_u32_e64 s36, v48, v136
	s_and_saveexec_b32 s23, s36
	s_cbranch_execnz .LBB427_253
.LBB427_181:                            ;   in Loop: Header=BB427_108 Depth=2
	s_or_b32 exec_lo, exec_lo, s23
	v_cmp_lt_u32_e64 s35, v49, v136
	s_and_saveexec_b32 s23, s35
	s_cbranch_execnz .LBB427_254
.LBB427_182:                            ;   in Loop: Header=BB427_108 Depth=2
	s_or_b32 exec_lo, exec_lo, s23
	v_cmp_lt_u32_e64 s34, v50, v136
	s_and_saveexec_b32 s23, s34
	s_cbranch_execnz .LBB427_255
.LBB427_183:                            ;   in Loop: Header=BB427_108 Depth=2
	s_or_b32 exec_lo, exec_lo, s23
	v_cmp_lt_u32_e64 s33, v51, v136
	s_and_saveexec_b32 s23, s33
	s_cbranch_execnz .LBB427_256
.LBB427_184:                            ;   in Loop: Header=BB427_108 Depth=2
	s_or_b32 exec_lo, exec_lo, s23
	v_cmp_lt_u32_e64 s31, v52, v136
	s_and_saveexec_b32 s23, s31
	s_cbranch_execnz .LBB427_257
.LBB427_185:                            ;   in Loop: Header=BB427_108 Depth=2
	s_or_b32 exec_lo, exec_lo, s23
	v_cmp_lt_u32_e64 s30, v53, v136
	s_and_saveexec_b32 s23, s30
	s_cbranch_execnz .LBB427_258
.LBB427_186:                            ;   in Loop: Header=BB427_108 Depth=2
	s_or_b32 exec_lo, exec_lo, s23
	v_cmp_lt_u32_e64 s29, v54, v136
	s_and_saveexec_b32 s23, s29
	s_cbranch_execnz .LBB427_259
.LBB427_187:                            ;   in Loop: Header=BB427_108 Depth=2
	s_or_b32 exec_lo, exec_lo, s23
	v_cmp_lt_u32_e64 s28, v55, v136
	s_and_saveexec_b32 s23, s28
	s_cbranch_execnz .LBB427_260
.LBB427_188:                            ;   in Loop: Header=BB427_108 Depth=2
	s_or_b32 exec_lo, exec_lo, s23
	v_cmp_lt_u32_e64 s27, v56, v136
	s_and_saveexec_b32 s23, s27
	s_cbranch_execnz .LBB427_261
.LBB427_189:                            ;   in Loop: Header=BB427_108 Depth=2
	s_or_b32 exec_lo, exec_lo, s23
	v_cmp_lt_u32_e64 s26, v57, v136
	s_and_saveexec_b32 s23, s26
	s_cbranch_execnz .LBB427_262
.LBB427_190:                            ;   in Loop: Header=BB427_108 Depth=2
	s_or_b32 exec_lo, exec_lo, s23
	v_cmp_lt_u32_e64 s25, v58, v136
	s_and_saveexec_b32 s23, s25
	s_cbranch_execnz .LBB427_263
.LBB427_191:                            ;   in Loop: Header=BB427_108 Depth=2
	s_or_b32 exec_lo, exec_lo, s23
	v_cmp_lt_u32_e64 s24, v59, v136
	s_and_saveexec_b32 s23, s24
	s_cbranch_execnz .LBB427_264
.LBB427_192:                            ;   in Loop: Header=BB427_108 Depth=2
	s_or_b32 exec_lo, exec_lo, s23
	v_cmp_lt_u32_e64 s23, v60, v136
	s_and_saveexec_b32 s40, s23
	s_cbranch_execnz .LBB427_265
.LBB427_193:                            ;   in Loop: Header=BB427_108 Depth=2
	s_or_b32 exec_lo, exec_lo, s40
	v_cmp_lt_u32_e32 vcc_lo, v61, v136
	s_and_saveexec_b32 s40, vcc_lo
	s_cbranch_execz .LBB427_195
.LBB427_194:                            ;   in Loop: Header=BB427_108 Depth=2
	ds_read_u8 v39, v0 offset:4608
	s_waitcnt lgkmcnt(0)
	v_lshrrev_b32_sdwa v40, s61, v39 dst_sel:DWORD dst_unused:UNUSED_PAD src0_sel:DWORD src1_sel:BYTE_0
	v_xor_b32_e32 v39, 0x80, v39
	v_and_b32_e32 v40, s62, v40
	v_lshlrev_b32_e32 v40, 2, v40
	ds_read_b32 v40, v40
	s_waitcnt lgkmcnt(0)
	v_add_nc_u32_e32 v40, v40, v61
	global_store_byte v40, v39, s[46:47]
.LBB427_195:                            ;   in Loop: Header=BB427_108 Depth=2
	s_or_b32 exec_lo, exec_lo, s40
	s_lshl_b64 s[66:67], s[50:51], 3
	v_add_co_u32 v39, s40, v96, s66
	v_add_co_ci_u32_e64 v40, null, s67, v97, s40
	v_cmp_lt_u32_e64 s40, v95, v136
	s_and_saveexec_b32 s50, s40
	s_xor_b32 s40, exec_lo, s50
	s_cbranch_execnz .LBB427_266
; %bb.196:                              ;   in Loop: Header=BB427_108 Depth=2
	s_or_b32 exec_lo, exec_lo, s40
	s_mov_b32 s50, exec_lo
	v_cmpx_lt_u32_e64 v98, v136
	s_cbranch_execnz .LBB427_267
.LBB427_197:                            ;   in Loop: Header=BB427_108 Depth=2
	s_or_b32 exec_lo, exec_lo, s50
	s_mov_b32 s50, exec_lo
	v_cmpx_lt_u32_e64 v99, v136
	s_cbranch_execnz .LBB427_268
.LBB427_198:                            ;   in Loop: Header=BB427_108 Depth=2
	s_or_b32 exec_lo, exec_lo, s50
	s_mov_b32 s50, exec_lo
	v_cmpx_lt_u32_e64 v100, v136
	s_cbranch_execnz .LBB427_269
.LBB427_199:                            ;   in Loop: Header=BB427_108 Depth=2
	s_or_b32 exec_lo, exec_lo, s50
	s_mov_b32 s50, exec_lo
	v_cmpx_lt_u32_e64 v101, v136
	s_cbranch_execnz .LBB427_270
.LBB427_200:                            ;   in Loop: Header=BB427_108 Depth=2
	s_or_b32 exec_lo, exec_lo, s50
	s_mov_b32 s50, exec_lo
	v_cmpx_lt_u32_e64 v102, v136
	s_cbranch_execnz .LBB427_271
.LBB427_201:                            ;   in Loop: Header=BB427_108 Depth=2
	s_or_b32 exec_lo, exec_lo, s50
	s_mov_b32 s50, exec_lo
	v_cmpx_lt_u32_e64 v103, v136
	s_cbranch_execnz .LBB427_272
.LBB427_202:                            ;   in Loop: Header=BB427_108 Depth=2
	s_or_b32 exec_lo, exec_lo, s50
	s_mov_b32 s50, exec_lo
	v_cmpx_lt_u32_e64 v104, v136
	s_cbranch_execnz .LBB427_273
.LBB427_203:                            ;   in Loop: Header=BB427_108 Depth=2
	s_or_b32 exec_lo, exec_lo, s50
	s_mov_b32 s50, exec_lo
	v_cmpx_lt_u32_e64 v105, v136
	s_cbranch_execnz .LBB427_274
.LBB427_204:                            ;   in Loop: Header=BB427_108 Depth=2
	s_or_b32 exec_lo, exec_lo, s50
	s_mov_b32 s50, exec_lo
	v_cmpx_lt_u32_e64 v106, v136
	s_cbranch_execnz .LBB427_275
.LBB427_205:                            ;   in Loop: Header=BB427_108 Depth=2
	s_or_b32 exec_lo, exec_lo, s50
	s_mov_b32 s50, exec_lo
	v_cmpx_lt_u32_e64 v107, v136
	s_cbranch_execnz .LBB427_276
.LBB427_206:                            ;   in Loop: Header=BB427_108 Depth=2
	s_or_b32 exec_lo, exec_lo, s50
	s_mov_b32 s50, exec_lo
	v_cmpx_lt_u32_e64 v108, v136
	s_cbranch_execnz .LBB427_277
.LBB427_207:                            ;   in Loop: Header=BB427_108 Depth=2
	s_or_b32 exec_lo, exec_lo, s50
	s_mov_b32 s50, exec_lo
	v_cmpx_lt_u32_e64 v109, v136
	s_cbranch_execnz .LBB427_278
.LBB427_208:                            ;   in Loop: Header=BB427_108 Depth=2
	s_or_b32 exec_lo, exec_lo, s50
	s_mov_b32 s50, exec_lo
	v_cmpx_lt_u32_e64 v110, v136
	s_cbranch_execnz .LBB427_279
.LBB427_209:                            ;   in Loop: Header=BB427_108 Depth=2
	s_or_b32 exec_lo, exec_lo, s50
	s_mov_b32 s50, exec_lo
	v_cmpx_lt_u32_e64 v111, v136
	s_cbranch_execnz .LBB427_280
.LBB427_210:                            ;   in Loop: Header=BB427_108 Depth=2
	s_or_b32 exec_lo, exec_lo, s50
	s_mov_b32 s50, exec_lo
	v_cmpx_lt_u32_e64 v112, v136
	s_cbranch_execnz .LBB427_281
.LBB427_211:                            ;   in Loop: Header=BB427_108 Depth=2
	s_or_b32 exec_lo, exec_lo, s50
	s_mov_b32 s50, exec_lo
	v_cmpx_lt_u32_e64 v113, v136
	s_cbranch_execnz .LBB427_282
.LBB427_212:                            ;   in Loop: Header=BB427_108 Depth=2
	s_or_b32 exec_lo, exec_lo, s50
	s_and_saveexec_b32 s40, s39
	s_cbranch_execnz .LBB427_283
.LBB427_213:                            ;   in Loop: Header=BB427_108 Depth=2
	s_or_b32 exec_lo, exec_lo, s40
	s_and_saveexec_b32 s40, s38
	s_cbranch_execnz .LBB427_284
.LBB427_214:                            ;   in Loop: Header=BB427_108 Depth=2
	s_or_b32 exec_lo, exec_lo, s40
	s_and_saveexec_b32 s40, s37
	s_cbranch_execnz .LBB427_285
.LBB427_215:                            ;   in Loop: Header=BB427_108 Depth=2
	s_or_b32 exec_lo, exec_lo, s40
	s_and_saveexec_b32 s40, s36
	s_cbranch_execnz .LBB427_286
.LBB427_216:                            ;   in Loop: Header=BB427_108 Depth=2
	s_or_b32 exec_lo, exec_lo, s40
	s_and_saveexec_b32 s40, s35
	s_cbranch_execnz .LBB427_287
.LBB427_217:                            ;   in Loop: Header=BB427_108 Depth=2
	s_or_b32 exec_lo, exec_lo, s40
	s_and_saveexec_b32 s40, s34
	s_cbranch_execnz .LBB427_288
.LBB427_218:                            ;   in Loop: Header=BB427_108 Depth=2
	s_or_b32 exec_lo, exec_lo, s40
	s_and_saveexec_b32 s40, s33
	s_cbranch_execnz .LBB427_289
.LBB427_219:                            ;   in Loop: Header=BB427_108 Depth=2
	s_or_b32 exec_lo, exec_lo, s40
	s_and_saveexec_b32 s40, s31
	s_cbranch_execnz .LBB427_290
.LBB427_220:                            ;   in Loop: Header=BB427_108 Depth=2
	s_or_b32 exec_lo, exec_lo, s40
	s_and_saveexec_b32 s40, s30
	s_cbranch_execnz .LBB427_291
.LBB427_221:                            ;   in Loop: Header=BB427_108 Depth=2
	s_or_b32 exec_lo, exec_lo, s40
	s_and_saveexec_b32 s40, s29
	s_cbranch_execnz .LBB427_292
.LBB427_222:                            ;   in Loop: Header=BB427_108 Depth=2
	s_or_b32 exec_lo, exec_lo, s40
	s_and_saveexec_b32 s40, s28
	s_cbranch_execnz .LBB427_293
.LBB427_223:                            ;   in Loop: Header=BB427_108 Depth=2
	s_or_b32 exec_lo, exec_lo, s40
	s_and_saveexec_b32 s40, s27
	s_cbranch_execnz .LBB427_294
.LBB427_224:                            ;   in Loop: Header=BB427_108 Depth=2
	s_or_b32 exec_lo, exec_lo, s40
	s_and_saveexec_b32 s40, s26
	s_cbranch_execnz .LBB427_295
.LBB427_225:                            ;   in Loop: Header=BB427_108 Depth=2
	s_or_b32 exec_lo, exec_lo, s40
	s_and_saveexec_b32 s40, s25
	s_cbranch_execnz .LBB427_296
.LBB427_226:                            ;   in Loop: Header=BB427_108 Depth=2
	s_or_b32 exec_lo, exec_lo, s40
	s_and_saveexec_b32 s40, s24
	s_cbranch_execnz .LBB427_297
.LBB427_227:                            ;   in Loop: Header=BB427_108 Depth=2
	s_or_b32 exec_lo, exec_lo, s40
	s_and_saveexec_b32 s40, s23
	s_cbranch_execnz .LBB427_298
.LBB427_228:                            ;   in Loop: Header=BB427_108 Depth=2
	s_or_b32 exec_lo, exec_lo, s40
	s_and_saveexec_b32 s40, vcc_lo
	s_cbranch_execz .LBB427_230
.LBB427_229:                            ;   in Loop: Header=BB427_108 Depth=2
	ds_read_u8 v39, v0 offset:4608
	s_waitcnt lgkmcnt(0)
	v_lshrrev_b32_e32 v39, s61, v39
	v_and_b32_e32 v116, s62, v39
.LBB427_230:                            ;   in Loop: Header=BB427_108 Depth=2
	s_or_b32 exec_lo, exec_lo, s40
	v_lshlrev_b32_e32 v39, 3, v155
	v_lshlrev_b32_e32 v40, 3, v151
	s_waitcnt vmcnt(0)
	s_waitcnt_vscnt null, 0x0
	s_barrier
	buffer_gl0_inv
	ds_write_b64 v39, v[37:38] offset:512
	ds_write_b64 v40, v[35:36] offset:512
	v_lshlrev_b32_e32 v39, 3, v150
	v_lshlrev_b32_e32 v40, 3, v149
	v_lshlrev_b32_e32 v136, 3, v148
	v_lshlrev_b32_e32 v137, 3, v147
	v_lshlrev_b32_e32 v141, 3, v146
	ds_write_b64 v39, v[33:34] offset:512
	ds_write_b64 v40, v[31:32] offset:512
	ds_write_b64 v136, v[29:30] offset:512
	ds_write_b64 v137, v[25:26] offset:512
	ds_write_b64 v141, v[21:22] offset:512
	v_lshlrev_b32_e32 v39, 3, v144
	v_lshlrev_b32_e32 v40, 3, v143
	v_lshlrev_b32_e32 v136, 3, v142
	v_lshlrev_b32_e32 v137, 3, v140
	v_lshlrev_b32_e32 v139, 3, v139
	ds_write_b64 v39, v[17:18] offset:512
	ds_write_b64 v40, v[27:28] offset:512
	ds_write_b64 v136, v[23:24] offset:512
	;; [unrolled: 10-line block ×3, first 2 shown]
	ds_write_b64 v41, v[7:8] offset:512
	ds_write_b64 v3, v[5:6] offset:512
	s_waitcnt lgkmcnt(0)
	s_barrier
	buffer_gl0_inv
	s_and_saveexec_b32 s40, s39
	s_cbranch_execnz .LBB427_299
; %bb.231:                              ;   in Loop: Header=BB427_108 Depth=2
	s_or_b32 exec_lo, exec_lo, s40
	s_and_saveexec_b32 s39, s38
	s_cbranch_execnz .LBB427_300
.LBB427_232:                            ;   in Loop: Header=BB427_108 Depth=2
	s_or_b32 exec_lo, exec_lo, s39
	s_and_saveexec_b32 s38, s37
	s_cbranch_execnz .LBB427_301
.LBB427_233:                            ;   in Loop: Header=BB427_108 Depth=2
	s_or_b32 exec_lo, exec_lo, s38
	s_and_saveexec_b32 s37, s36
	s_cbranch_execnz .LBB427_302
.LBB427_234:                            ;   in Loop: Header=BB427_108 Depth=2
	s_or_b32 exec_lo, exec_lo, s37
	s_and_saveexec_b32 s36, s35
	s_cbranch_execnz .LBB427_303
.LBB427_235:                            ;   in Loop: Header=BB427_108 Depth=2
	s_or_b32 exec_lo, exec_lo, s36
	s_and_saveexec_b32 s35, s34
	s_cbranch_execnz .LBB427_304
.LBB427_236:                            ;   in Loop: Header=BB427_108 Depth=2
	s_or_b32 exec_lo, exec_lo, s35
	s_and_saveexec_b32 s34, s33
	s_cbranch_execnz .LBB427_305
.LBB427_237:                            ;   in Loop: Header=BB427_108 Depth=2
	s_or_b32 exec_lo, exec_lo, s34
	s_and_saveexec_b32 s33, s31
	s_cbranch_execnz .LBB427_306
.LBB427_238:                            ;   in Loop: Header=BB427_108 Depth=2
	s_or_b32 exec_lo, exec_lo, s33
	s_and_saveexec_b32 s31, s30
	s_cbranch_execnz .LBB427_307
.LBB427_239:                            ;   in Loop: Header=BB427_108 Depth=2
	s_or_b32 exec_lo, exec_lo, s31
	s_and_saveexec_b32 s30, s29
	s_cbranch_execnz .LBB427_308
.LBB427_240:                            ;   in Loop: Header=BB427_108 Depth=2
	s_or_b32 exec_lo, exec_lo, s30
	s_and_saveexec_b32 s29, s28
	s_cbranch_execnz .LBB427_309
.LBB427_241:                            ;   in Loop: Header=BB427_108 Depth=2
	s_or_b32 exec_lo, exec_lo, s29
	s_and_saveexec_b32 s28, s27
	s_cbranch_execnz .LBB427_310
.LBB427_242:                            ;   in Loop: Header=BB427_108 Depth=2
	s_or_b32 exec_lo, exec_lo, s28
	s_and_saveexec_b32 s27, s26
	s_cbranch_execnz .LBB427_311
.LBB427_243:                            ;   in Loop: Header=BB427_108 Depth=2
	s_or_b32 exec_lo, exec_lo, s27
	s_and_saveexec_b32 s26, s25
	s_cbranch_execnz .LBB427_312
.LBB427_244:                            ;   in Loop: Header=BB427_108 Depth=2
	s_or_b32 exec_lo, exec_lo, s26
	s_and_saveexec_b32 s25, s24
	s_cbranch_execnz .LBB427_313
.LBB427_245:                            ;   in Loop: Header=BB427_108 Depth=2
	s_or_b32 exec_lo, exec_lo, s25
	s_and_saveexec_b32 s24, s23
	s_cbranch_execnz .LBB427_314
.LBB427_246:                            ;   in Loop: Header=BB427_108 Depth=2
	s_or_b32 exec_lo, exec_lo, s24
	s_and_saveexec_b32 s23, vcc_lo
	s_cbranch_execz .LBB427_248
.LBB427_247:                            ;   in Loop: Header=BB427_108 Depth=2
	v_lshlrev_b32_e32 v3, 2, v116
	v_add_nc_u32_e32 v39, v0, v75
	ds_read_b32 v3, v3
	ds_read_b64 v[39:40], v39 offset:33280
	s_waitcnt lgkmcnt(1)
	v_add_nc_u32_e32 v3, v3, v61
	v_lshlrev_b64 v[41:42], 3, v[3:4]
	v_add_co_u32 v41, vcc_lo, s52, v41
	v_add_co_ci_u32_e64 v42, null, s53, v42, vcc_lo
	s_waitcnt lgkmcnt(0)
	global_store_dwordx2 v[41:42], v[39:40], off
.LBB427_248:                            ;   in Loop: Header=BB427_108 Depth=2
	s_or_b32 exec_lo, exec_lo, s23
	s_waitcnt_vscnt null, 0x0
	s_barrier
	buffer_gl0_inv
	s_and_saveexec_b32 s23, s8
	s_cbranch_execz .LBB427_107
; %bb.249:                              ;   in Loop: Header=BB427_108 Depth=2
	ds_read_b32 v3, v43
	s_waitcnt lgkmcnt(0)
	v_add3_u32 v3, v133, v134, v3
	ds_write_b32 v43, v3
	s_branch .LBB427_107
.LBB427_250:                            ;   in Loop: Header=BB427_108 Depth=2
	ds_read_u8 v39, v0 offset:512
	s_waitcnt lgkmcnt(0)
	v_lshrrev_b32_sdwa v40, s61, v39 dst_sel:DWORD dst_unused:UNUSED_PAD src0_sel:DWORD src1_sel:BYTE_0
	v_xor_b32_e32 v39, 0x80, v39
	v_and_b32_e32 v40, s62, v40
	v_lshlrev_b32_e32 v40, 2, v40
	ds_read_b32 v40, v40
	s_waitcnt lgkmcnt(0)
	v_add_nc_u32_e32 v40, v40, v0
	global_store_byte v40, v39, s[46:47]
	s_or_b32 exec_lo, exec_lo, s23
	v_cmp_lt_u32_e64 s38, v44, v136
	s_and_saveexec_b32 s23, s38
	s_cbranch_execz .LBB427_179
.LBB427_251:                            ;   in Loop: Header=BB427_108 Depth=2
	ds_read_u8 v39, v0 offset:768
	s_waitcnt lgkmcnt(0)
	v_lshrrev_b32_sdwa v40, s61, v39 dst_sel:DWORD dst_unused:UNUSED_PAD src0_sel:DWORD src1_sel:BYTE_0
	v_xor_b32_e32 v39, 0x80, v39
	v_and_b32_e32 v40, s62, v40
	v_lshlrev_b32_e32 v40, 2, v40
	ds_read_b32 v40, v40
	s_waitcnt lgkmcnt(0)
	v_add_nc_u32_e32 v40, v40, v44
	global_store_byte v40, v39, s[46:47]
	s_or_b32 exec_lo, exec_lo, s23
	v_cmp_lt_u32_e64 s37, v47, v136
	s_and_saveexec_b32 s23, s37
	s_cbranch_execz .LBB427_180
.LBB427_252:                            ;   in Loop: Header=BB427_108 Depth=2
	ds_read_u8 v39, v0 offset:1024
	s_waitcnt lgkmcnt(0)
	v_lshrrev_b32_sdwa v40, s61, v39 dst_sel:DWORD dst_unused:UNUSED_PAD src0_sel:DWORD src1_sel:BYTE_0
	v_xor_b32_e32 v39, 0x80, v39
	v_and_b32_e32 v40, s62, v40
	v_lshlrev_b32_e32 v40, 2, v40
	ds_read_b32 v40, v40
	s_waitcnt lgkmcnt(0)
	v_add_nc_u32_e32 v40, v40, v47
	global_store_byte v40, v39, s[46:47]
	s_or_b32 exec_lo, exec_lo, s23
	v_cmp_lt_u32_e64 s36, v48, v136
	s_and_saveexec_b32 s23, s36
	s_cbranch_execz .LBB427_181
.LBB427_253:                            ;   in Loop: Header=BB427_108 Depth=2
	ds_read_u8 v39, v0 offset:1280
	s_waitcnt lgkmcnt(0)
	v_lshrrev_b32_sdwa v40, s61, v39 dst_sel:DWORD dst_unused:UNUSED_PAD src0_sel:DWORD src1_sel:BYTE_0
	v_xor_b32_e32 v39, 0x80, v39
	v_and_b32_e32 v40, s62, v40
	v_lshlrev_b32_e32 v40, 2, v40
	ds_read_b32 v40, v40
	s_waitcnt lgkmcnt(0)
	v_add_nc_u32_e32 v40, v40, v48
	global_store_byte v40, v39, s[46:47]
	s_or_b32 exec_lo, exec_lo, s23
	v_cmp_lt_u32_e64 s35, v49, v136
	s_and_saveexec_b32 s23, s35
	s_cbranch_execz .LBB427_182
.LBB427_254:                            ;   in Loop: Header=BB427_108 Depth=2
	ds_read_u8 v39, v0 offset:1536
	s_waitcnt lgkmcnt(0)
	v_lshrrev_b32_sdwa v40, s61, v39 dst_sel:DWORD dst_unused:UNUSED_PAD src0_sel:DWORD src1_sel:BYTE_0
	v_xor_b32_e32 v39, 0x80, v39
	v_and_b32_e32 v40, s62, v40
	v_lshlrev_b32_e32 v40, 2, v40
	ds_read_b32 v40, v40
	s_waitcnt lgkmcnt(0)
	v_add_nc_u32_e32 v40, v40, v49
	global_store_byte v40, v39, s[46:47]
	s_or_b32 exec_lo, exec_lo, s23
	v_cmp_lt_u32_e64 s34, v50, v136
	s_and_saveexec_b32 s23, s34
	s_cbranch_execz .LBB427_183
.LBB427_255:                            ;   in Loop: Header=BB427_108 Depth=2
	ds_read_u8 v39, v0 offset:1792
	s_waitcnt lgkmcnt(0)
	v_lshrrev_b32_sdwa v40, s61, v39 dst_sel:DWORD dst_unused:UNUSED_PAD src0_sel:DWORD src1_sel:BYTE_0
	v_xor_b32_e32 v39, 0x80, v39
	v_and_b32_e32 v40, s62, v40
	v_lshlrev_b32_e32 v40, 2, v40
	ds_read_b32 v40, v40
	s_waitcnt lgkmcnt(0)
	v_add_nc_u32_e32 v40, v40, v50
	global_store_byte v40, v39, s[46:47]
	s_or_b32 exec_lo, exec_lo, s23
	v_cmp_lt_u32_e64 s33, v51, v136
	s_and_saveexec_b32 s23, s33
	s_cbranch_execz .LBB427_184
.LBB427_256:                            ;   in Loop: Header=BB427_108 Depth=2
	ds_read_u8 v39, v0 offset:2048
	s_waitcnt lgkmcnt(0)
	v_lshrrev_b32_sdwa v40, s61, v39 dst_sel:DWORD dst_unused:UNUSED_PAD src0_sel:DWORD src1_sel:BYTE_0
	v_xor_b32_e32 v39, 0x80, v39
	v_and_b32_e32 v40, s62, v40
	v_lshlrev_b32_e32 v40, 2, v40
	ds_read_b32 v40, v40
	s_waitcnt lgkmcnt(0)
	v_add_nc_u32_e32 v40, v40, v51
	global_store_byte v40, v39, s[46:47]
	s_or_b32 exec_lo, exec_lo, s23
	v_cmp_lt_u32_e64 s31, v52, v136
	s_and_saveexec_b32 s23, s31
	s_cbranch_execz .LBB427_185
.LBB427_257:                            ;   in Loop: Header=BB427_108 Depth=2
	ds_read_u8 v39, v0 offset:2304
	s_waitcnt lgkmcnt(0)
	v_lshrrev_b32_sdwa v40, s61, v39 dst_sel:DWORD dst_unused:UNUSED_PAD src0_sel:DWORD src1_sel:BYTE_0
	v_xor_b32_e32 v39, 0x80, v39
	v_and_b32_e32 v40, s62, v40
	v_lshlrev_b32_e32 v40, 2, v40
	ds_read_b32 v40, v40
	s_waitcnt lgkmcnt(0)
	v_add_nc_u32_e32 v40, v40, v52
	global_store_byte v40, v39, s[46:47]
	s_or_b32 exec_lo, exec_lo, s23
	v_cmp_lt_u32_e64 s30, v53, v136
	s_and_saveexec_b32 s23, s30
	s_cbranch_execz .LBB427_186
.LBB427_258:                            ;   in Loop: Header=BB427_108 Depth=2
	ds_read_u8 v39, v0 offset:2560
	s_waitcnt lgkmcnt(0)
	v_lshrrev_b32_sdwa v40, s61, v39 dst_sel:DWORD dst_unused:UNUSED_PAD src0_sel:DWORD src1_sel:BYTE_0
	v_xor_b32_e32 v39, 0x80, v39
	v_and_b32_e32 v40, s62, v40
	v_lshlrev_b32_e32 v40, 2, v40
	ds_read_b32 v40, v40
	s_waitcnt lgkmcnt(0)
	v_add_nc_u32_e32 v40, v40, v53
	global_store_byte v40, v39, s[46:47]
	s_or_b32 exec_lo, exec_lo, s23
	v_cmp_lt_u32_e64 s29, v54, v136
	s_and_saveexec_b32 s23, s29
	s_cbranch_execz .LBB427_187
.LBB427_259:                            ;   in Loop: Header=BB427_108 Depth=2
	ds_read_u8 v39, v0 offset:2816
	s_waitcnt lgkmcnt(0)
	v_lshrrev_b32_sdwa v40, s61, v39 dst_sel:DWORD dst_unused:UNUSED_PAD src0_sel:DWORD src1_sel:BYTE_0
	v_xor_b32_e32 v39, 0x80, v39
	v_and_b32_e32 v40, s62, v40
	v_lshlrev_b32_e32 v40, 2, v40
	ds_read_b32 v40, v40
	s_waitcnt lgkmcnt(0)
	v_add_nc_u32_e32 v40, v40, v54
	global_store_byte v40, v39, s[46:47]
	s_or_b32 exec_lo, exec_lo, s23
	v_cmp_lt_u32_e64 s28, v55, v136
	s_and_saveexec_b32 s23, s28
	s_cbranch_execz .LBB427_188
.LBB427_260:                            ;   in Loop: Header=BB427_108 Depth=2
	ds_read_u8 v39, v0 offset:3072
	s_waitcnt lgkmcnt(0)
	v_lshrrev_b32_sdwa v40, s61, v39 dst_sel:DWORD dst_unused:UNUSED_PAD src0_sel:DWORD src1_sel:BYTE_0
	v_xor_b32_e32 v39, 0x80, v39
	v_and_b32_e32 v40, s62, v40
	v_lshlrev_b32_e32 v40, 2, v40
	ds_read_b32 v40, v40
	s_waitcnt lgkmcnt(0)
	v_add_nc_u32_e32 v40, v40, v55
	global_store_byte v40, v39, s[46:47]
	s_or_b32 exec_lo, exec_lo, s23
	v_cmp_lt_u32_e64 s27, v56, v136
	s_and_saveexec_b32 s23, s27
	s_cbranch_execz .LBB427_189
.LBB427_261:                            ;   in Loop: Header=BB427_108 Depth=2
	ds_read_u8 v39, v0 offset:3328
	s_waitcnt lgkmcnt(0)
	v_lshrrev_b32_sdwa v40, s61, v39 dst_sel:DWORD dst_unused:UNUSED_PAD src0_sel:DWORD src1_sel:BYTE_0
	v_xor_b32_e32 v39, 0x80, v39
	v_and_b32_e32 v40, s62, v40
	v_lshlrev_b32_e32 v40, 2, v40
	ds_read_b32 v40, v40
	s_waitcnt lgkmcnt(0)
	v_add_nc_u32_e32 v40, v40, v56
	global_store_byte v40, v39, s[46:47]
	s_or_b32 exec_lo, exec_lo, s23
	v_cmp_lt_u32_e64 s26, v57, v136
	s_and_saveexec_b32 s23, s26
	s_cbranch_execz .LBB427_190
.LBB427_262:                            ;   in Loop: Header=BB427_108 Depth=2
	ds_read_u8 v39, v0 offset:3584
	s_waitcnt lgkmcnt(0)
	v_lshrrev_b32_sdwa v40, s61, v39 dst_sel:DWORD dst_unused:UNUSED_PAD src0_sel:DWORD src1_sel:BYTE_0
	v_xor_b32_e32 v39, 0x80, v39
	v_and_b32_e32 v40, s62, v40
	v_lshlrev_b32_e32 v40, 2, v40
	ds_read_b32 v40, v40
	s_waitcnt lgkmcnt(0)
	v_add_nc_u32_e32 v40, v40, v57
	global_store_byte v40, v39, s[46:47]
	s_or_b32 exec_lo, exec_lo, s23
	v_cmp_lt_u32_e64 s25, v58, v136
	s_and_saveexec_b32 s23, s25
	s_cbranch_execz .LBB427_191
.LBB427_263:                            ;   in Loop: Header=BB427_108 Depth=2
	ds_read_u8 v39, v0 offset:3840
	s_waitcnt lgkmcnt(0)
	v_lshrrev_b32_sdwa v40, s61, v39 dst_sel:DWORD dst_unused:UNUSED_PAD src0_sel:DWORD src1_sel:BYTE_0
	v_xor_b32_e32 v39, 0x80, v39
	v_and_b32_e32 v40, s62, v40
	v_lshlrev_b32_e32 v40, 2, v40
	ds_read_b32 v40, v40
	s_waitcnt lgkmcnt(0)
	v_add_nc_u32_e32 v40, v40, v58
	global_store_byte v40, v39, s[46:47]
	s_or_b32 exec_lo, exec_lo, s23
	v_cmp_lt_u32_e64 s24, v59, v136
	s_and_saveexec_b32 s23, s24
	s_cbranch_execz .LBB427_192
.LBB427_264:                            ;   in Loop: Header=BB427_108 Depth=2
	ds_read_u8 v39, v0 offset:4096
	s_waitcnt lgkmcnt(0)
	v_lshrrev_b32_sdwa v40, s61, v39 dst_sel:DWORD dst_unused:UNUSED_PAD src0_sel:DWORD src1_sel:BYTE_0
	v_xor_b32_e32 v39, 0x80, v39
	v_and_b32_e32 v40, s62, v40
	v_lshlrev_b32_e32 v40, 2, v40
	ds_read_b32 v40, v40
	s_waitcnt lgkmcnt(0)
	v_add_nc_u32_e32 v40, v40, v59
	global_store_byte v40, v39, s[46:47]
	s_or_b32 exec_lo, exec_lo, s23
	v_cmp_lt_u32_e64 s23, v60, v136
	s_and_saveexec_b32 s40, s23
	s_cbranch_execz .LBB427_193
.LBB427_265:                            ;   in Loop: Header=BB427_108 Depth=2
	ds_read_u8 v39, v0 offset:4352
	s_waitcnt lgkmcnt(0)
	v_lshrrev_b32_sdwa v40, s61, v39 dst_sel:DWORD dst_unused:UNUSED_PAD src0_sel:DWORD src1_sel:BYTE_0
	v_xor_b32_e32 v39, 0x80, v39
	v_and_b32_e32 v40, s62, v40
	v_lshlrev_b32_e32 v40, 2, v40
	ds_read_b32 v40, v40
	s_waitcnt lgkmcnt(0)
	v_add_nc_u32_e32 v40, v40, v60
	global_store_byte v40, v39, s[46:47]
	s_or_b32 exec_lo, exec_lo, s40
	v_cmp_lt_u32_e32 vcc_lo, v61, v136
	s_and_saveexec_b32 s40, vcc_lo
	s_cbranch_execnz .LBB427_194
	s_branch .LBB427_195
.LBB427_266:                            ;   in Loop: Header=BB427_108 Depth=2
	global_load_dwordx2 v[37:38], v[39:40], off
	s_or_b32 exec_lo, exec_lo, s40
	s_mov_b32 s50, exec_lo
	v_cmpx_lt_u32_e64 v98, v136
	s_cbranch_execz .LBB427_197
.LBB427_267:                            ;   in Loop: Header=BB427_108 Depth=2
	global_load_dwordx2 v[35:36], v[39:40], off offset:256
	s_or_b32 exec_lo, exec_lo, s50
	s_mov_b32 s50, exec_lo
	v_cmpx_lt_u32_e64 v99, v136
	s_cbranch_execz .LBB427_198
.LBB427_268:                            ;   in Loop: Header=BB427_108 Depth=2
	global_load_dwordx2 v[33:34], v[39:40], off offset:512
	s_or_b32 exec_lo, exec_lo, s50
	s_mov_b32 s50, exec_lo
	v_cmpx_lt_u32_e64 v100, v136
	s_cbranch_execz .LBB427_199
.LBB427_269:                            ;   in Loop: Header=BB427_108 Depth=2
	global_load_dwordx2 v[31:32], v[39:40], off offset:768
	s_or_b32 exec_lo, exec_lo, s50
	s_mov_b32 s50, exec_lo
	v_cmpx_lt_u32_e64 v101, v136
	s_cbranch_execz .LBB427_200
.LBB427_270:                            ;   in Loop: Header=BB427_108 Depth=2
	global_load_dwordx2 v[29:30], v[39:40], off offset:1024
	s_or_b32 exec_lo, exec_lo, s50
	s_mov_b32 s50, exec_lo
	v_cmpx_lt_u32_e64 v102, v136
	s_cbranch_execz .LBB427_201
.LBB427_271:                            ;   in Loop: Header=BB427_108 Depth=2
	global_load_dwordx2 v[25:26], v[39:40], off offset:1280
	s_or_b32 exec_lo, exec_lo, s50
	s_mov_b32 s50, exec_lo
	v_cmpx_lt_u32_e64 v103, v136
	s_cbranch_execz .LBB427_202
.LBB427_272:                            ;   in Loop: Header=BB427_108 Depth=2
	global_load_dwordx2 v[21:22], v[39:40], off offset:1536
	s_or_b32 exec_lo, exec_lo, s50
	s_mov_b32 s50, exec_lo
	v_cmpx_lt_u32_e64 v104, v136
	s_cbranch_execz .LBB427_203
.LBB427_273:                            ;   in Loop: Header=BB427_108 Depth=2
	global_load_dwordx2 v[17:18], v[39:40], off offset:1792
	s_or_b32 exec_lo, exec_lo, s50
	s_mov_b32 s50, exec_lo
	v_cmpx_lt_u32_e64 v105, v136
	s_cbranch_execz .LBB427_204
.LBB427_274:                            ;   in Loop: Header=BB427_108 Depth=2
	v_add_co_u32 v27, s40, 0x800, v39
	v_add_co_ci_u32_e64 v28, null, 0, v40, s40
	global_load_dwordx2 v[27:28], v[27:28], off
	s_or_b32 exec_lo, exec_lo, s50
	s_mov_b32 s50, exec_lo
	v_cmpx_lt_u32_e64 v106, v136
	s_cbranch_execz .LBB427_205
.LBB427_275:                            ;   in Loop: Header=BB427_108 Depth=2
	v_add_co_u32 v23, s40, 0x800, v39
	v_add_co_ci_u32_e64 v24, null, 0, v40, s40
	global_load_dwordx2 v[23:24], v[23:24], off offset:256
	s_or_b32 exec_lo, exec_lo, s50
	s_mov_b32 s50, exec_lo
	v_cmpx_lt_u32_e64 v107, v136
	s_cbranch_execz .LBB427_206
.LBB427_276:                            ;   in Loop: Header=BB427_108 Depth=2
	v_add_co_u32 v19, s40, 0x800, v39
	v_add_co_ci_u32_e64 v20, null, 0, v40, s40
	global_load_dwordx2 v[19:20], v[19:20], off offset:512
	s_or_b32 exec_lo, exec_lo, s50
	s_mov_b32 s50, exec_lo
	v_cmpx_lt_u32_e64 v108, v136
	s_cbranch_execz .LBB427_207
.LBB427_277:                            ;   in Loop: Header=BB427_108 Depth=2
	v_add_co_u32 v15, s40, 0x800, v39
	v_add_co_ci_u32_e64 v16, null, 0, v40, s40
	global_load_dwordx2 v[15:16], v[15:16], off offset:768
	s_or_b32 exec_lo, exec_lo, s50
	s_mov_b32 s50, exec_lo
	v_cmpx_lt_u32_e64 v109, v136
	s_cbranch_execz .LBB427_208
.LBB427_278:                            ;   in Loop: Header=BB427_108 Depth=2
	v_add_co_u32 v13, s40, 0x800, v39
	v_add_co_ci_u32_e64 v14, null, 0, v40, s40
	global_load_dwordx2 v[13:14], v[13:14], off offset:1024
	s_or_b32 exec_lo, exec_lo, s50
	s_mov_b32 s50, exec_lo
	v_cmpx_lt_u32_e64 v110, v136
	s_cbranch_execz .LBB427_209
.LBB427_279:                            ;   in Loop: Header=BB427_108 Depth=2
	v_add_co_u32 v11, s40, 0x800, v39
	v_add_co_ci_u32_e64 v12, null, 0, v40, s40
	global_load_dwordx2 v[11:12], v[11:12], off offset:1280
	s_or_b32 exec_lo, exec_lo, s50
	s_mov_b32 s50, exec_lo
	v_cmpx_lt_u32_e64 v111, v136
	s_cbranch_execz .LBB427_210
.LBB427_280:                            ;   in Loop: Header=BB427_108 Depth=2
	v_add_co_u32 v9, s40, 0x800, v39
	v_add_co_ci_u32_e64 v10, null, 0, v40, s40
	global_load_dwordx2 v[9:10], v[9:10], off offset:1536
	s_or_b32 exec_lo, exec_lo, s50
	s_mov_b32 s50, exec_lo
	v_cmpx_lt_u32_e64 v112, v136
	s_cbranch_execz .LBB427_211
.LBB427_281:                            ;   in Loop: Header=BB427_108 Depth=2
	v_add_co_u32 v7, s40, 0x800, v39
	v_add_co_ci_u32_e64 v8, null, 0, v40, s40
	global_load_dwordx2 v[7:8], v[7:8], off offset:1792
	s_or_b32 exec_lo, exec_lo, s50
	s_mov_b32 s50, exec_lo
	v_cmpx_lt_u32_e64 v113, v136
	s_cbranch_execz .LBB427_212
.LBB427_282:                            ;   in Loop: Header=BB427_108 Depth=2
	v_add_co_u32 v5, s40, 0x1000, v39
	v_add_co_ci_u32_e64 v6, null, 0, v40, s40
	global_load_dwordx2 v[5:6], v[5:6], off
	s_or_b32 exec_lo, exec_lo, s50
	s_and_saveexec_b32 s40, s39
	s_cbranch_execz .LBB427_213
.LBB427_283:                            ;   in Loop: Header=BB427_108 Depth=2
	ds_read_u8 v39, v0 offset:512
	s_waitcnt lgkmcnt(0)
	v_lshrrev_b32_e32 v39, s61, v39
	v_and_b32_e32 v132, s62, v39
	s_or_b32 exec_lo, exec_lo, s40
	s_and_saveexec_b32 s40, s38
	s_cbranch_execz .LBB427_214
.LBB427_284:                            ;   in Loop: Header=BB427_108 Depth=2
	ds_read_u8 v39, v0 offset:768
	s_waitcnt lgkmcnt(0)
	v_lshrrev_b32_e32 v39, s61, v39
	v_and_b32_e32 v131, s62, v39
	s_or_b32 exec_lo, exec_lo, s40
	s_and_saveexec_b32 s40, s37
	s_cbranch_execz .LBB427_215
.LBB427_285:                            ;   in Loop: Header=BB427_108 Depth=2
	ds_read_u8 v39, v0 offset:1024
	s_waitcnt lgkmcnt(0)
	v_lshrrev_b32_e32 v39, s61, v39
	v_and_b32_e32 v130, s62, v39
	s_or_b32 exec_lo, exec_lo, s40
	s_and_saveexec_b32 s40, s36
	s_cbranch_execz .LBB427_216
.LBB427_286:                            ;   in Loop: Header=BB427_108 Depth=2
	ds_read_u8 v39, v0 offset:1280
	s_waitcnt lgkmcnt(0)
	v_lshrrev_b32_e32 v39, s61, v39
	v_and_b32_e32 v129, s62, v39
	s_or_b32 exec_lo, exec_lo, s40
	s_and_saveexec_b32 s40, s35
	s_cbranch_execz .LBB427_217
.LBB427_287:                            ;   in Loop: Header=BB427_108 Depth=2
	ds_read_u8 v39, v0 offset:1536
	s_waitcnt lgkmcnt(0)
	v_lshrrev_b32_e32 v39, s61, v39
	v_and_b32_e32 v128, s62, v39
	s_or_b32 exec_lo, exec_lo, s40
	s_and_saveexec_b32 s40, s34
	s_cbranch_execz .LBB427_218
.LBB427_288:                            ;   in Loop: Header=BB427_108 Depth=2
	ds_read_u8 v39, v0 offset:1792
	s_waitcnt lgkmcnt(0)
	v_lshrrev_b32_e32 v39, s61, v39
	v_and_b32_e32 v127, s62, v39
	s_or_b32 exec_lo, exec_lo, s40
	s_and_saveexec_b32 s40, s33
	s_cbranch_execz .LBB427_219
.LBB427_289:                            ;   in Loop: Header=BB427_108 Depth=2
	ds_read_u8 v39, v0 offset:2048
	s_waitcnt lgkmcnt(0)
	v_lshrrev_b32_e32 v39, s61, v39
	v_and_b32_e32 v126, s62, v39
	s_or_b32 exec_lo, exec_lo, s40
	s_and_saveexec_b32 s40, s31
	s_cbranch_execz .LBB427_220
.LBB427_290:                            ;   in Loop: Header=BB427_108 Depth=2
	ds_read_u8 v39, v0 offset:2304
	s_waitcnt lgkmcnt(0)
	v_lshrrev_b32_e32 v39, s61, v39
	v_and_b32_e32 v125, s62, v39
	s_or_b32 exec_lo, exec_lo, s40
	s_and_saveexec_b32 s40, s30
	s_cbranch_execz .LBB427_221
.LBB427_291:                            ;   in Loop: Header=BB427_108 Depth=2
	ds_read_u8 v39, v0 offset:2560
	s_waitcnt lgkmcnt(0)
	v_lshrrev_b32_e32 v39, s61, v39
	v_and_b32_e32 v124, s62, v39
	s_or_b32 exec_lo, exec_lo, s40
	s_and_saveexec_b32 s40, s29
	s_cbranch_execz .LBB427_222
.LBB427_292:                            ;   in Loop: Header=BB427_108 Depth=2
	ds_read_u8 v39, v0 offset:2816
	s_waitcnt lgkmcnt(0)
	v_lshrrev_b32_e32 v39, s61, v39
	v_and_b32_e32 v123, s62, v39
	s_or_b32 exec_lo, exec_lo, s40
	s_and_saveexec_b32 s40, s28
	s_cbranch_execz .LBB427_223
.LBB427_293:                            ;   in Loop: Header=BB427_108 Depth=2
	ds_read_u8 v39, v0 offset:3072
	s_waitcnt lgkmcnt(0)
	v_lshrrev_b32_e32 v39, s61, v39
	v_and_b32_e32 v122, s62, v39
	s_or_b32 exec_lo, exec_lo, s40
	s_and_saveexec_b32 s40, s27
	s_cbranch_execz .LBB427_224
.LBB427_294:                            ;   in Loop: Header=BB427_108 Depth=2
	ds_read_u8 v39, v0 offset:3328
	s_waitcnt lgkmcnt(0)
	v_lshrrev_b32_e32 v39, s61, v39
	v_and_b32_e32 v121, s62, v39
	s_or_b32 exec_lo, exec_lo, s40
	s_and_saveexec_b32 s40, s26
	s_cbranch_execz .LBB427_225
.LBB427_295:                            ;   in Loop: Header=BB427_108 Depth=2
	ds_read_u8 v39, v0 offset:3584
	s_waitcnt lgkmcnt(0)
	v_lshrrev_b32_e32 v39, s61, v39
	v_and_b32_e32 v120, s62, v39
	s_or_b32 exec_lo, exec_lo, s40
	s_and_saveexec_b32 s40, s25
	s_cbranch_execz .LBB427_226
.LBB427_296:                            ;   in Loop: Header=BB427_108 Depth=2
	ds_read_u8 v39, v0 offset:3840
	s_waitcnt lgkmcnt(0)
	v_lshrrev_b32_e32 v39, s61, v39
	v_and_b32_e32 v119, s62, v39
	s_or_b32 exec_lo, exec_lo, s40
	s_and_saveexec_b32 s40, s24
	s_cbranch_execz .LBB427_227
.LBB427_297:                            ;   in Loop: Header=BB427_108 Depth=2
	ds_read_u8 v39, v0 offset:4096
	s_waitcnt lgkmcnt(0)
	v_lshrrev_b32_e32 v39, s61, v39
	v_and_b32_e32 v118, s62, v39
	s_or_b32 exec_lo, exec_lo, s40
	s_and_saveexec_b32 s40, s23
	s_cbranch_execz .LBB427_228
.LBB427_298:                            ;   in Loop: Header=BB427_108 Depth=2
	ds_read_u8 v39, v0 offset:4352
	s_waitcnt lgkmcnt(0)
	v_lshrrev_b32_e32 v39, s61, v39
	v_and_b32_e32 v117, s62, v39
	s_or_b32 exec_lo, exec_lo, s40
	s_and_saveexec_b32 s40, vcc_lo
	s_cbranch_execnz .LBB427_229
	s_branch .LBB427_230
.LBB427_299:                            ;   in Loop: Header=BB427_108 Depth=2
	v_lshlrev_b32_e32 v3, 2, v132
	v_add_nc_u32_e32 v39, v0, v75
	ds_read_b32 v3, v3
	ds_read_b64 v[39:40], v39 offset:512
	s_waitcnt lgkmcnt(1)
	v_add_nc_u32_e32 v3, v3, v0
	v_lshlrev_b64 v[41:42], 3, v[3:4]
	v_add_co_u32 v41, s39, s52, v41
	v_add_co_ci_u32_e64 v42, null, s53, v42, s39
	s_waitcnt lgkmcnt(0)
	global_store_dwordx2 v[41:42], v[39:40], off
	s_or_b32 exec_lo, exec_lo, s40
	s_and_saveexec_b32 s39, s38
	s_cbranch_execz .LBB427_232
.LBB427_300:                            ;   in Loop: Header=BB427_108 Depth=2
	v_lshlrev_b32_e32 v3, 2, v131
	v_add_nc_u32_e32 v39, v0, v75
	ds_read_b32 v3, v3
	ds_read_b64 v[39:40], v39 offset:2560
	s_waitcnt lgkmcnt(1)
	v_add_nc_u32_e32 v3, v3, v44
	v_lshlrev_b64 v[41:42], 3, v[3:4]
	v_add_co_u32 v41, s38, s52, v41
	v_add_co_ci_u32_e64 v42, null, s53, v42, s38
	s_waitcnt lgkmcnt(0)
	global_store_dwordx2 v[41:42], v[39:40], off
	s_or_b32 exec_lo, exec_lo, s39
	s_and_saveexec_b32 s38, s37
	s_cbranch_execz .LBB427_233
.LBB427_301:                            ;   in Loop: Header=BB427_108 Depth=2
	v_lshlrev_b32_e32 v3, 2, v130
	v_add_nc_u32_e32 v39, v0, v75
	ds_read_b32 v3, v3
	ds_read_b64 v[39:40], v39 offset:4608
	s_waitcnt lgkmcnt(1)
	v_add_nc_u32_e32 v3, v3, v47
	v_lshlrev_b64 v[41:42], 3, v[3:4]
	v_add_co_u32 v41, s37, s52, v41
	v_add_co_ci_u32_e64 v42, null, s53, v42, s37
	s_waitcnt lgkmcnt(0)
	global_store_dwordx2 v[41:42], v[39:40], off
	s_or_b32 exec_lo, exec_lo, s38
	s_and_saveexec_b32 s37, s36
	s_cbranch_execz .LBB427_234
.LBB427_302:                            ;   in Loop: Header=BB427_108 Depth=2
	v_lshlrev_b32_e32 v3, 2, v129
	v_add_nc_u32_e32 v39, v0, v75
	ds_read_b32 v3, v3
	ds_read_b64 v[39:40], v39 offset:6656
	s_waitcnt lgkmcnt(1)
	v_add_nc_u32_e32 v3, v3, v48
	v_lshlrev_b64 v[41:42], 3, v[3:4]
	v_add_co_u32 v41, s36, s52, v41
	v_add_co_ci_u32_e64 v42, null, s53, v42, s36
	s_waitcnt lgkmcnt(0)
	global_store_dwordx2 v[41:42], v[39:40], off
	s_or_b32 exec_lo, exec_lo, s37
	s_and_saveexec_b32 s36, s35
	s_cbranch_execz .LBB427_235
.LBB427_303:                            ;   in Loop: Header=BB427_108 Depth=2
	v_lshlrev_b32_e32 v3, 2, v128
	v_add_nc_u32_e32 v39, v0, v75
	ds_read_b32 v3, v3
	ds_read_b64 v[39:40], v39 offset:8704
	s_waitcnt lgkmcnt(1)
	v_add_nc_u32_e32 v3, v3, v49
	v_lshlrev_b64 v[41:42], 3, v[3:4]
	v_add_co_u32 v41, s35, s52, v41
	v_add_co_ci_u32_e64 v42, null, s53, v42, s35
	s_waitcnt lgkmcnt(0)
	global_store_dwordx2 v[41:42], v[39:40], off
	s_or_b32 exec_lo, exec_lo, s36
	s_and_saveexec_b32 s35, s34
	s_cbranch_execz .LBB427_236
.LBB427_304:                            ;   in Loop: Header=BB427_108 Depth=2
	v_lshlrev_b32_e32 v3, 2, v127
	v_add_nc_u32_e32 v39, v0, v75
	ds_read_b32 v3, v3
	ds_read_b64 v[39:40], v39 offset:10752
	s_waitcnt lgkmcnt(1)
	v_add_nc_u32_e32 v3, v3, v50
	v_lshlrev_b64 v[41:42], 3, v[3:4]
	v_add_co_u32 v41, s34, s52, v41
	v_add_co_ci_u32_e64 v42, null, s53, v42, s34
	s_waitcnt lgkmcnt(0)
	global_store_dwordx2 v[41:42], v[39:40], off
	s_or_b32 exec_lo, exec_lo, s35
	s_and_saveexec_b32 s34, s33
	s_cbranch_execz .LBB427_237
.LBB427_305:                            ;   in Loop: Header=BB427_108 Depth=2
	v_lshlrev_b32_e32 v3, 2, v126
	v_add_nc_u32_e32 v39, v0, v75
	ds_read_b32 v3, v3
	ds_read_b64 v[39:40], v39 offset:12800
	s_waitcnt lgkmcnt(1)
	v_add_nc_u32_e32 v3, v3, v51
	v_lshlrev_b64 v[41:42], 3, v[3:4]
	v_add_co_u32 v41, s33, s52, v41
	v_add_co_ci_u32_e64 v42, null, s53, v42, s33
	s_waitcnt lgkmcnt(0)
	global_store_dwordx2 v[41:42], v[39:40], off
	s_or_b32 exec_lo, exec_lo, s34
	s_and_saveexec_b32 s33, s31
	s_cbranch_execz .LBB427_238
.LBB427_306:                            ;   in Loop: Header=BB427_108 Depth=2
	v_lshlrev_b32_e32 v3, 2, v125
	v_add_nc_u32_e32 v39, v0, v75
	ds_read_b32 v3, v3
	ds_read_b64 v[39:40], v39 offset:14848
	s_waitcnt lgkmcnt(1)
	v_add_nc_u32_e32 v3, v3, v52
	v_lshlrev_b64 v[41:42], 3, v[3:4]
	v_add_co_u32 v41, s31, s52, v41
	v_add_co_ci_u32_e64 v42, null, s53, v42, s31
	s_waitcnt lgkmcnt(0)
	global_store_dwordx2 v[41:42], v[39:40], off
	s_or_b32 exec_lo, exec_lo, s33
	s_and_saveexec_b32 s31, s30
	s_cbranch_execz .LBB427_239
.LBB427_307:                            ;   in Loop: Header=BB427_108 Depth=2
	v_lshlrev_b32_e32 v3, 2, v124
	v_add_nc_u32_e32 v39, v0, v75
	ds_read_b32 v3, v3
	ds_read_b64 v[39:40], v39 offset:16896
	s_waitcnt lgkmcnt(1)
	v_add_nc_u32_e32 v3, v3, v53
	v_lshlrev_b64 v[41:42], 3, v[3:4]
	v_add_co_u32 v41, s30, s52, v41
	v_add_co_ci_u32_e64 v42, null, s53, v42, s30
	s_waitcnt lgkmcnt(0)
	global_store_dwordx2 v[41:42], v[39:40], off
	s_or_b32 exec_lo, exec_lo, s31
	s_and_saveexec_b32 s30, s29
	s_cbranch_execz .LBB427_240
.LBB427_308:                            ;   in Loop: Header=BB427_108 Depth=2
	v_lshlrev_b32_e32 v3, 2, v123
	v_add_nc_u32_e32 v39, v0, v75
	ds_read_b32 v3, v3
	ds_read_b64 v[39:40], v39 offset:18944
	s_waitcnt lgkmcnt(1)
	v_add_nc_u32_e32 v3, v3, v54
	v_lshlrev_b64 v[41:42], 3, v[3:4]
	v_add_co_u32 v41, s29, s52, v41
	v_add_co_ci_u32_e64 v42, null, s53, v42, s29
	s_waitcnt lgkmcnt(0)
	global_store_dwordx2 v[41:42], v[39:40], off
	s_or_b32 exec_lo, exec_lo, s30
	s_and_saveexec_b32 s29, s28
	s_cbranch_execz .LBB427_241
.LBB427_309:                            ;   in Loop: Header=BB427_108 Depth=2
	v_lshlrev_b32_e32 v3, 2, v122
	v_add_nc_u32_e32 v39, v0, v75
	ds_read_b32 v3, v3
	ds_read_b64 v[39:40], v39 offset:20992
	s_waitcnt lgkmcnt(1)
	v_add_nc_u32_e32 v3, v3, v55
	v_lshlrev_b64 v[41:42], 3, v[3:4]
	v_add_co_u32 v41, s28, s52, v41
	v_add_co_ci_u32_e64 v42, null, s53, v42, s28
	s_waitcnt lgkmcnt(0)
	global_store_dwordx2 v[41:42], v[39:40], off
	s_or_b32 exec_lo, exec_lo, s29
	s_and_saveexec_b32 s28, s27
	s_cbranch_execz .LBB427_242
.LBB427_310:                            ;   in Loop: Header=BB427_108 Depth=2
	v_lshlrev_b32_e32 v3, 2, v121
	v_add_nc_u32_e32 v39, v0, v75
	ds_read_b32 v3, v3
	ds_read_b64 v[39:40], v39 offset:23040
	s_waitcnt lgkmcnt(1)
	v_add_nc_u32_e32 v3, v3, v56
	v_lshlrev_b64 v[41:42], 3, v[3:4]
	v_add_co_u32 v41, s27, s52, v41
	v_add_co_ci_u32_e64 v42, null, s53, v42, s27
	s_waitcnt lgkmcnt(0)
	global_store_dwordx2 v[41:42], v[39:40], off
	s_or_b32 exec_lo, exec_lo, s28
	s_and_saveexec_b32 s27, s26
	s_cbranch_execz .LBB427_243
.LBB427_311:                            ;   in Loop: Header=BB427_108 Depth=2
	v_lshlrev_b32_e32 v3, 2, v120
	v_add_nc_u32_e32 v39, v0, v75
	ds_read_b32 v3, v3
	ds_read_b64 v[39:40], v39 offset:25088
	s_waitcnt lgkmcnt(1)
	v_add_nc_u32_e32 v3, v3, v57
	v_lshlrev_b64 v[41:42], 3, v[3:4]
	v_add_co_u32 v41, s26, s52, v41
	v_add_co_ci_u32_e64 v42, null, s53, v42, s26
	s_waitcnt lgkmcnt(0)
	global_store_dwordx2 v[41:42], v[39:40], off
	s_or_b32 exec_lo, exec_lo, s27
	s_and_saveexec_b32 s26, s25
	s_cbranch_execz .LBB427_244
.LBB427_312:                            ;   in Loop: Header=BB427_108 Depth=2
	v_lshlrev_b32_e32 v3, 2, v119
	v_add_nc_u32_e32 v39, v0, v75
	ds_read_b32 v3, v3
	ds_read_b64 v[39:40], v39 offset:27136
	s_waitcnt lgkmcnt(1)
	v_add_nc_u32_e32 v3, v3, v58
	v_lshlrev_b64 v[41:42], 3, v[3:4]
	v_add_co_u32 v41, s25, s52, v41
	v_add_co_ci_u32_e64 v42, null, s53, v42, s25
	s_waitcnt lgkmcnt(0)
	global_store_dwordx2 v[41:42], v[39:40], off
	s_or_b32 exec_lo, exec_lo, s26
	s_and_saveexec_b32 s25, s24
	s_cbranch_execz .LBB427_245
.LBB427_313:                            ;   in Loop: Header=BB427_108 Depth=2
	v_lshlrev_b32_e32 v3, 2, v118
	v_add_nc_u32_e32 v39, v0, v75
	ds_read_b32 v3, v3
	ds_read_b64 v[39:40], v39 offset:29184
	s_waitcnt lgkmcnt(1)
	v_add_nc_u32_e32 v3, v3, v59
	v_lshlrev_b64 v[41:42], 3, v[3:4]
	v_add_co_u32 v41, s24, s52, v41
	v_add_co_ci_u32_e64 v42, null, s53, v42, s24
	s_waitcnt lgkmcnt(0)
	global_store_dwordx2 v[41:42], v[39:40], off
	s_or_b32 exec_lo, exec_lo, s25
	s_and_saveexec_b32 s24, s23
	s_cbranch_execz .LBB427_246
.LBB427_314:                            ;   in Loop: Header=BB427_108 Depth=2
	v_lshlrev_b32_e32 v3, 2, v117
	v_add_nc_u32_e32 v39, v0, v75
	ds_read_b32 v3, v3
	ds_read_b64 v[39:40], v39 offset:31232
	s_waitcnt lgkmcnt(1)
	v_add_nc_u32_e32 v3, v3, v60
	v_lshlrev_b64 v[41:42], 3, v[3:4]
	v_add_co_u32 v41, s23, s52, v41
	v_add_co_ci_u32_e64 v42, null, s53, v42, s23
	s_waitcnt lgkmcnt(0)
	global_store_dwordx2 v[41:42], v[39:40], off
	s_or_b32 exec_lo, exec_lo, s24
	s_and_saveexec_b32 s23, vcc_lo
	s_cbranch_execnz .LBB427_247
	s_branch .LBB427_248
.LBB427_315:                            ;   in Loop: Header=BB427_108 Depth=2
	global_load_ubyte v144, v[39:40], off
	v_mov_b32_e32 v115, 0x7f
	v_mov_b32_e32 v145, 0x7f
	;; [unrolled: 1-line block ×16, first 2 shown]
	s_or_b32 exec_lo, exec_lo, s23
	s_mov_b32 s23, exec_lo
	v_cmpx_gt_u32_e64 s63, v98
	s_cbranch_execz .LBB427_113
.LBB427_316:                            ;   in Loop: Header=BB427_108 Depth=2
	global_load_ubyte v145, v[39:40], off offset:32
	s_or_b32 exec_lo, exec_lo, s23
	s_mov_b32 s23, exec_lo
	v_cmpx_gt_u32_e64 s63, v99
	s_cbranch_execz .LBB427_114
.LBB427_317:                            ;   in Loop: Header=BB427_108 Depth=2
	global_load_ubyte v146, v[39:40], off offset:64
	s_or_b32 exec_lo, exec_lo, s23
	s_mov_b32 s23, exec_lo
	v_cmpx_gt_u32_e64 s63, v100
	s_cbranch_execz .LBB427_115
.LBB427_318:                            ;   in Loop: Header=BB427_108 Depth=2
	global_load_ubyte v149, v[39:40], off offset:96
	s_or_b32 exec_lo, exec_lo, s23
	s_mov_b32 s23, exec_lo
	v_cmpx_gt_u32_e64 s63, v101
	s_cbranch_execz .LBB427_116
.LBB427_319:                            ;   in Loop: Header=BB427_108 Depth=2
	global_load_ubyte v148, v[39:40], off offset:128
	s_or_b32 exec_lo, exec_lo, s23
	s_mov_b32 s23, exec_lo
	v_cmpx_gt_u32_e64 s63, v102
	s_cbranch_execz .LBB427_117
.LBB427_320:                            ;   in Loop: Header=BB427_108 Depth=2
	global_load_ubyte v141, v[39:40], off offset:160
	s_or_b32 exec_lo, exec_lo, s23
	s_mov_b32 s23, exec_lo
	v_cmpx_gt_u32_e64 s63, v103
	s_cbranch_execz .LBB427_118
.LBB427_321:                            ;   in Loop: Header=BB427_108 Depth=2
	global_load_ubyte v142, v[39:40], off offset:192
	s_or_b32 exec_lo, exec_lo, s23
	s_mov_b32 s23, exec_lo
	v_cmpx_gt_u32_e64 s63, v104
	s_cbranch_execz .LBB427_119
.LBB427_322:                            ;   in Loop: Header=BB427_108 Depth=2
	global_load_ubyte v143, v[39:40], off offset:224
	s_or_b32 exec_lo, exec_lo, s23
	s_mov_b32 s23, exec_lo
	v_cmpx_gt_u32_e64 s63, v105
	s_cbranch_execz .LBB427_120
.LBB427_323:                            ;   in Loop: Header=BB427_108 Depth=2
	global_load_ubyte v140, v[39:40], off offset:256
	s_or_b32 exec_lo, exec_lo, s23
	s_mov_b32 s23, exec_lo
	v_cmpx_gt_u32_e64 s63, v106
	s_cbranch_execz .LBB427_121
.LBB427_324:                            ;   in Loop: Header=BB427_108 Depth=2
	global_load_ubyte v137, v[39:40], off offset:288
	s_or_b32 exec_lo, exec_lo, s23
	s_mov_b32 s23, exec_lo
	v_cmpx_gt_u32_e64 s63, v107
	s_cbranch_execz .LBB427_122
.LBB427_325:                            ;   in Loop: Header=BB427_108 Depth=2
	global_load_ubyte v138, v[39:40], off offset:320
	s_or_b32 exec_lo, exec_lo, s23
	s_mov_b32 s23, exec_lo
	v_cmpx_gt_u32_e64 s63, v108
	s_cbranch_execz .LBB427_123
.LBB427_326:                            ;   in Loop: Header=BB427_108 Depth=2
	global_load_ubyte v139, v[39:40], off offset:352
	s_or_b32 exec_lo, exec_lo, s23
	s_mov_b32 s23, exec_lo
	v_cmpx_gt_u32_e64 s63, v109
	s_cbranch_execz .LBB427_124
.LBB427_327:                            ;   in Loop: Header=BB427_108 Depth=2
	global_load_ubyte v135, v[39:40], off offset:384
	s_or_b32 exec_lo, exec_lo, s23
	s_mov_b32 s23, exec_lo
	v_cmpx_gt_u32_e64 s63, v110
	s_cbranch_execz .LBB427_125
.LBB427_328:                            ;   in Loop: Header=BB427_108 Depth=2
	global_load_ubyte v3, v[39:40], off offset:416
	s_or_b32 exec_lo, exec_lo, s23
	s_mov_b32 s23, exec_lo
	v_cmpx_gt_u32_e64 s63, v111
	s_cbranch_execz .LBB427_126
.LBB427_329:                            ;   in Loop: Header=BB427_108 Depth=2
	global_load_ubyte v41, v[39:40], off offset:448
	s_or_b32 exec_lo, exec_lo, s23
	s_mov_b32 s23, exec_lo
	v_cmpx_gt_u32_e64 s63, v112
	s_cbranch_execnz .LBB427_127
	s_branch .LBB427_128
.LBB427_330:                            ;   in Loop: Header=BB427_20 Depth=1
	s_waitcnt lgkmcnt(0)
	s_mov_b32 s5, 0
	s_barrier
.LBB427_331:                            ;   in Loop: Header=BB427_20 Depth=1
	s_and_b32 vcc_lo, exec_lo, s5
	s_cbranch_vccz .LBB427_641
; %bb.332:                              ;   in Loop: Header=BB427_20 Depth=1
	v_mov_b32_e32 v17, 0
	v_mov_b32_e32 v20, 0
	;; [unrolled: 1-line block ×17, first 2 shown]
	s_mov_b32 s5, s60
	s_mov_b32 s17, s58
	s_barrier
	buffer_gl0_inv
	s_branch .LBB427_334
.LBB427_333:                            ;   in Loop: Header=BB427_334 Depth=2
	s_or_b32 exec_lo, exec_lo, s16
	s_addk_i32 s5, 0xef00
	s_cmp_ge_u32 s15, s59
	s_mov_b32 s17, s15
	s_cbranch_scc1 .LBB427_406
.LBB427_334:                            ;   Parent Loop BB427_20 Depth=1
                                        ; =>  This Inner Loop Header: Depth=2
	s_add_i32 s15, s17, 0x1100
	s_mov_b32 s16, -1
	s_cmp_gt_u32 s15, s59
                                        ; implicit-def: $vgpr21
                                        ; implicit-def: $vgpr22
                                        ; implicit-def: $vgpr23
                                        ; implicit-def: $vgpr24
                                        ; implicit-def: $vgpr25
                                        ; implicit-def: $vgpr26
                                        ; implicit-def: $vgpr27
                                        ; implicit-def: $vgpr28
                                        ; implicit-def: $vgpr29
                                        ; implicit-def: $vgpr30
                                        ; implicit-def: $vgpr31
                                        ; implicit-def: $vgpr32
                                        ; implicit-def: $vgpr33
                                        ; implicit-def: $vgpr34
                                        ; implicit-def: $vgpr35
                                        ; implicit-def: $vgpr36
                                        ; implicit-def: $vgpr37
	s_cbranch_scc1 .LBB427_336
; %bb.335:                              ;   in Loop: Header=BB427_334 Depth=2
	v_add_co_u32 v38, vcc_lo, v76, s17
	v_add_co_ci_u32_e64 v39, null, 0, v77, vcc_lo
	s_mov_b32 s16, 0
	v_add_co_u32 v21, vcc_lo, 0x800, v38
	v_add_co_ci_u32_e64 v22, null, 0, v39, vcc_lo
	v_add_co_u32 v23, vcc_lo, 0x1000, v38
	v_add_co_ci_u32_e64 v24, null, 0, v39, vcc_lo
	s_clause 0x10
	global_load_ubyte v36, v[21:22], off offset:1792
	global_load_ubyte v37, v[23:24], off
	global_load_ubyte v35, v[21:22], off offset:1536
	global_load_ubyte v34, v[21:22], off offset:1280
	global_load_ubyte v33, v[21:22], off offset:1024
	global_load_ubyte v32, v[21:22], off offset:768
	global_load_ubyte v31, v[21:22], off offset:512
	global_load_ubyte v30, v[21:22], off offset:256
	global_load_ubyte v29, v[21:22], off
	global_load_ubyte v28, v[38:39], off offset:1792
	global_load_ubyte v27, v[38:39], off offset:1536
	;; [unrolled: 1-line block ×7, first 2 shown]
	global_load_ubyte v21, v[38:39], off
.LBB427_336:                            ;   in Loop: Header=BB427_334 Depth=2
	s_andn2_b32 vcc_lo, exec_lo, s16
	s_movk_i32 s16, 0x1100
	s_cbranch_vccnz .LBB427_356
; %bb.337:                              ;   in Loop: Header=BB427_334 Depth=2
	s_add_u32 s16, s46, s17
	s_addc_u32 s17, s47, 0
	s_mov_b32 s18, exec_lo
	v_cmpx_gt_u32_e64 s5, v0
	s_cbranch_execnz .LBB427_390
; %bb.338:                              ;   in Loop: Header=BB427_334 Depth=2
	s_or_b32 exec_lo, exec_lo, s18
	s_mov_b32 s18, exec_lo
	v_cmpx_gt_u32_e64 s5, v44
	s_cbranch_execnz .LBB427_391
.LBB427_339:                            ;   in Loop: Header=BB427_334 Depth=2
	s_or_b32 exec_lo, exec_lo, s18
	s_mov_b32 s18, exec_lo
	v_cmpx_gt_u32_e64 s5, v47
	s_cbranch_execnz .LBB427_392
.LBB427_340:                            ;   in Loop: Header=BB427_334 Depth=2
	s_or_b32 exec_lo, exec_lo, s18
	s_mov_b32 s18, exec_lo
	v_cmpx_gt_u32_e64 s5, v48
	s_cbranch_execnz .LBB427_393
.LBB427_341:                            ;   in Loop: Header=BB427_334 Depth=2
	s_or_b32 exec_lo, exec_lo, s18
	s_mov_b32 s18, exec_lo
	v_cmpx_gt_u32_e64 s5, v49
	s_cbranch_execnz .LBB427_394
.LBB427_342:                            ;   in Loop: Header=BB427_334 Depth=2
	s_or_b32 exec_lo, exec_lo, s18
	s_mov_b32 s18, exec_lo
	v_cmpx_gt_u32_e64 s5, v50
	s_cbranch_execnz .LBB427_395
.LBB427_343:                            ;   in Loop: Header=BB427_334 Depth=2
	s_or_b32 exec_lo, exec_lo, s18
	s_mov_b32 s18, exec_lo
	v_cmpx_gt_u32_e64 s5, v51
	s_cbranch_execnz .LBB427_396
.LBB427_344:                            ;   in Loop: Header=BB427_334 Depth=2
	s_or_b32 exec_lo, exec_lo, s18
	s_mov_b32 s18, exec_lo
	v_cmpx_gt_u32_e64 s5, v52
	s_cbranch_execnz .LBB427_397
.LBB427_345:                            ;   in Loop: Header=BB427_334 Depth=2
	s_or_b32 exec_lo, exec_lo, s18
	s_mov_b32 s18, exec_lo
	v_cmpx_gt_u32_e64 s5, v53
	s_cbranch_execnz .LBB427_398
.LBB427_346:                            ;   in Loop: Header=BB427_334 Depth=2
	s_or_b32 exec_lo, exec_lo, s18
	s_mov_b32 s18, exec_lo
	v_cmpx_gt_u32_e64 s5, v54
	s_cbranch_execnz .LBB427_399
.LBB427_347:                            ;   in Loop: Header=BB427_334 Depth=2
	s_or_b32 exec_lo, exec_lo, s18
	s_mov_b32 s18, exec_lo
	v_cmpx_gt_u32_e64 s5, v55
	s_cbranch_execnz .LBB427_400
.LBB427_348:                            ;   in Loop: Header=BB427_334 Depth=2
	s_or_b32 exec_lo, exec_lo, s18
	s_mov_b32 s18, exec_lo
	v_cmpx_gt_u32_e64 s5, v56
	s_cbranch_execnz .LBB427_401
.LBB427_349:                            ;   in Loop: Header=BB427_334 Depth=2
	s_or_b32 exec_lo, exec_lo, s18
	s_mov_b32 s18, exec_lo
	v_cmpx_gt_u32_e64 s5, v57
	s_cbranch_execnz .LBB427_402
.LBB427_350:                            ;   in Loop: Header=BB427_334 Depth=2
	s_or_b32 exec_lo, exec_lo, s18
	s_mov_b32 s18, exec_lo
	v_cmpx_gt_u32_e64 s5, v58
	s_cbranch_execnz .LBB427_403
.LBB427_351:                            ;   in Loop: Header=BB427_334 Depth=2
	s_or_b32 exec_lo, exec_lo, s18
	s_mov_b32 s18, exec_lo
	v_cmpx_gt_u32_e64 s5, v59
	s_cbranch_execnz .LBB427_404
.LBB427_352:                            ;   in Loop: Header=BB427_334 Depth=2
	s_or_b32 exec_lo, exec_lo, s18
	s_mov_b32 s18, exec_lo
	v_cmpx_gt_u32_e64 s5, v60
	s_cbranch_execnz .LBB427_405
.LBB427_353:                            ;   in Loop: Header=BB427_334 Depth=2
	s_or_b32 exec_lo, exec_lo, s18
	s_mov_b32 s18, exec_lo
	v_cmpx_gt_u32_e64 s5, v61
	s_cbranch_execz .LBB427_355
.LBB427_354:                            ;   in Loop: Header=BB427_334 Depth=2
	s_waitcnt vmcnt(0)
	v_add_co_u32 v21, s16, s16, v61
	v_add_co_ci_u32_e64 v22, null, s17, 0, s16
	global_load_ubyte v3, v[21:22], off
.LBB427_355:                            ;   in Loop: Header=BB427_334 Depth=2
	s_or_b32 exec_lo, exec_lo, s18
	s_waitcnt vmcnt(0)
	v_mov_b32_e32 v21, v17
	v_mov_b32_e32 v22, v20
	;; [unrolled: 1-line block ×17, first 2 shown]
	s_mov_b32 s16, s5
.LBB427_356:                            ;   in Loop: Header=BB427_334 Depth=2
	s_waitcnt vmcnt(15)
	v_mov_b32_e32 v3, v37
	v_mov_b32_e32 v5, v36
	s_waitcnt vmcnt(14)
	v_mov_b32_e32 v6, v35
	s_waitcnt vmcnt(13)
	v_mov_b32_e32 v7, v34
	s_waitcnt vmcnt(12)
	v_mov_b32_e32 v8, v33
	s_waitcnt vmcnt(11)
	v_mov_b32_e32 v9, v32
	s_waitcnt vmcnt(10)
	v_mov_b32_e32 v10, v31
	s_waitcnt vmcnt(9)
	v_mov_b32_e32 v11, v30
	s_waitcnt vmcnt(8)
	v_mov_b32_e32 v12, v29
	s_waitcnt vmcnt(7)
	v_mov_b32_e32 v13, v28
	s_waitcnt vmcnt(6)
	v_mov_b32_e32 v14, v27
	s_waitcnt vmcnt(5)
	v_mov_b32_e32 v15, v26
	s_waitcnt vmcnt(4)
	v_mov_b32_e32 v16, v25
	s_waitcnt vmcnt(3)
	v_mov_b32_e32 v18, v24
	s_waitcnt vmcnt(2)
	v_mov_b32_e32 v19, v23
	s_waitcnt vmcnt(1)
	v_mov_b32_e32 v20, v22
	s_waitcnt vmcnt(0)
	v_mov_b32_e32 v17, v21
	s_mov_b32 s17, exec_lo
	v_cmpx_gt_u32_e64 s16, v0
	s_cbranch_execnz .LBB427_373
; %bb.357:                              ;   in Loop: Header=BB427_334 Depth=2
	s_or_b32 exec_lo, exec_lo, s17
	s_mov_b32 s17, exec_lo
	v_cmpx_gt_u32_e64 s16, v44
	s_cbranch_execnz .LBB427_374
.LBB427_358:                            ;   in Loop: Header=BB427_334 Depth=2
	s_or_b32 exec_lo, exec_lo, s17
	s_mov_b32 s17, exec_lo
	v_cmpx_gt_u32_e64 s16, v47
	s_cbranch_execnz .LBB427_375
.LBB427_359:                            ;   in Loop: Header=BB427_334 Depth=2
	s_or_b32 exec_lo, exec_lo, s17
	s_mov_b32 s17, exec_lo
	v_cmpx_gt_u32_e64 s16, v48
	s_cbranch_execnz .LBB427_376
.LBB427_360:                            ;   in Loop: Header=BB427_334 Depth=2
	s_or_b32 exec_lo, exec_lo, s17
	s_mov_b32 s17, exec_lo
	v_cmpx_gt_u32_e64 s16, v49
	s_cbranch_execnz .LBB427_377
.LBB427_361:                            ;   in Loop: Header=BB427_334 Depth=2
	s_or_b32 exec_lo, exec_lo, s17
	s_mov_b32 s17, exec_lo
	v_cmpx_gt_u32_e64 s16, v50
	s_cbranch_execnz .LBB427_378
.LBB427_362:                            ;   in Loop: Header=BB427_334 Depth=2
	s_or_b32 exec_lo, exec_lo, s17
	s_mov_b32 s17, exec_lo
	v_cmpx_gt_u32_e64 s16, v51
	s_cbranch_execnz .LBB427_379
.LBB427_363:                            ;   in Loop: Header=BB427_334 Depth=2
	s_or_b32 exec_lo, exec_lo, s17
	s_mov_b32 s17, exec_lo
	v_cmpx_gt_u32_e64 s16, v52
	s_cbranch_execnz .LBB427_380
.LBB427_364:                            ;   in Loop: Header=BB427_334 Depth=2
	s_or_b32 exec_lo, exec_lo, s17
	s_mov_b32 s17, exec_lo
	v_cmpx_gt_u32_e64 s16, v53
	s_cbranch_execnz .LBB427_381
.LBB427_365:                            ;   in Loop: Header=BB427_334 Depth=2
	s_or_b32 exec_lo, exec_lo, s17
	s_mov_b32 s17, exec_lo
	v_cmpx_gt_u32_e64 s16, v54
	s_cbranch_execnz .LBB427_382
.LBB427_366:                            ;   in Loop: Header=BB427_334 Depth=2
	s_or_b32 exec_lo, exec_lo, s17
	s_mov_b32 s17, exec_lo
	v_cmpx_gt_u32_e64 s16, v55
	s_cbranch_execnz .LBB427_383
.LBB427_367:                            ;   in Loop: Header=BB427_334 Depth=2
	s_or_b32 exec_lo, exec_lo, s17
	s_mov_b32 s17, exec_lo
	v_cmpx_gt_u32_e64 s16, v56
	s_cbranch_execnz .LBB427_384
.LBB427_368:                            ;   in Loop: Header=BB427_334 Depth=2
	s_or_b32 exec_lo, exec_lo, s17
	s_mov_b32 s17, exec_lo
	v_cmpx_gt_u32_e64 s16, v57
	s_cbranch_execnz .LBB427_385
.LBB427_369:                            ;   in Loop: Header=BB427_334 Depth=2
	s_or_b32 exec_lo, exec_lo, s17
	s_mov_b32 s17, exec_lo
	v_cmpx_gt_u32_e64 s16, v58
	s_cbranch_execnz .LBB427_386
.LBB427_370:                            ;   in Loop: Header=BB427_334 Depth=2
	s_or_b32 exec_lo, exec_lo, s17
	s_mov_b32 s17, exec_lo
	v_cmpx_gt_u32_e64 s16, v59
	s_cbranch_execnz .LBB427_387
.LBB427_371:                            ;   in Loop: Header=BB427_334 Depth=2
	s_or_b32 exec_lo, exec_lo, s17
	s_mov_b32 s17, exec_lo
	v_cmpx_gt_u32_e64 s16, v60
	s_cbranch_execnz .LBB427_388
.LBB427_372:                            ;   in Loop: Header=BB427_334 Depth=2
	s_or_b32 exec_lo, exec_lo, s17
	v_cmp_gt_u32_e32 vcc_lo, s16, v61
	s_and_saveexec_b32 s16, vcc_lo
	s_cbranch_execz .LBB427_333
	s_branch .LBB427_389
.LBB427_373:                            ;   in Loop: Header=BB427_334 Depth=2
	v_xor_b32_e32 v21, 0x80, v17
	v_lshrrev_b32_sdwa v21, s61, v21 dst_sel:DWORD dst_unused:UNUSED_PAD src0_sel:DWORD src1_sel:BYTE_0
	v_and_b32_e32 v21, s62, v21
	v_lshl_or_b32 v21, v21, 4, v63
	ds_add_u32 v21, v89
	s_or_b32 exec_lo, exec_lo, s17
	s_mov_b32 s17, exec_lo
	v_cmpx_gt_u32_e64 s16, v44
	s_cbranch_execz .LBB427_358
.LBB427_374:                            ;   in Loop: Header=BB427_334 Depth=2
	v_xor_b32_e32 v21, 0x80, v20
	v_lshrrev_b32_sdwa v21, s61, v21 dst_sel:DWORD dst_unused:UNUSED_PAD src0_sel:DWORD src1_sel:BYTE_0
	v_and_b32_e32 v21, s62, v21
	v_lshl_or_b32 v21, v21, 4, v63
	ds_add_u32 v21, v89
	s_or_b32 exec_lo, exec_lo, s17
	s_mov_b32 s17, exec_lo
	v_cmpx_gt_u32_e64 s16, v47
	s_cbranch_execz .LBB427_359
.LBB427_375:                            ;   in Loop: Header=BB427_334 Depth=2
	v_xor_b32_e32 v21, 0x80, v19
	v_lshrrev_b32_sdwa v21, s61, v21 dst_sel:DWORD dst_unused:UNUSED_PAD src0_sel:DWORD src1_sel:BYTE_0
	v_and_b32_e32 v21, s62, v21
	v_lshl_or_b32 v21, v21, 4, v63
	ds_add_u32 v21, v89
	s_or_b32 exec_lo, exec_lo, s17
	s_mov_b32 s17, exec_lo
	v_cmpx_gt_u32_e64 s16, v48
	s_cbranch_execz .LBB427_360
.LBB427_376:                            ;   in Loop: Header=BB427_334 Depth=2
	v_xor_b32_e32 v21, 0x80, v18
	v_lshrrev_b32_sdwa v21, s61, v21 dst_sel:DWORD dst_unused:UNUSED_PAD src0_sel:DWORD src1_sel:BYTE_0
	v_and_b32_e32 v21, s62, v21
	v_lshl_or_b32 v21, v21, 4, v63
	ds_add_u32 v21, v89
	s_or_b32 exec_lo, exec_lo, s17
	s_mov_b32 s17, exec_lo
	v_cmpx_gt_u32_e64 s16, v49
	s_cbranch_execz .LBB427_361
.LBB427_377:                            ;   in Loop: Header=BB427_334 Depth=2
	v_xor_b32_e32 v21, 0x80, v16
	v_lshrrev_b32_sdwa v21, s61, v21 dst_sel:DWORD dst_unused:UNUSED_PAD src0_sel:DWORD src1_sel:BYTE_0
	v_and_b32_e32 v21, s62, v21
	v_lshl_or_b32 v21, v21, 4, v63
	ds_add_u32 v21, v89
	s_or_b32 exec_lo, exec_lo, s17
	s_mov_b32 s17, exec_lo
	v_cmpx_gt_u32_e64 s16, v50
	s_cbranch_execz .LBB427_362
.LBB427_378:                            ;   in Loop: Header=BB427_334 Depth=2
	v_xor_b32_e32 v21, 0x80, v15
	v_lshrrev_b32_sdwa v21, s61, v21 dst_sel:DWORD dst_unused:UNUSED_PAD src0_sel:DWORD src1_sel:BYTE_0
	v_and_b32_e32 v21, s62, v21
	v_lshl_or_b32 v21, v21, 4, v63
	ds_add_u32 v21, v89
	s_or_b32 exec_lo, exec_lo, s17
	s_mov_b32 s17, exec_lo
	v_cmpx_gt_u32_e64 s16, v51
	s_cbranch_execz .LBB427_363
.LBB427_379:                            ;   in Loop: Header=BB427_334 Depth=2
	v_xor_b32_e32 v21, 0x80, v14
	v_lshrrev_b32_sdwa v21, s61, v21 dst_sel:DWORD dst_unused:UNUSED_PAD src0_sel:DWORD src1_sel:BYTE_0
	v_and_b32_e32 v21, s62, v21
	v_lshl_or_b32 v21, v21, 4, v63
	ds_add_u32 v21, v89
	s_or_b32 exec_lo, exec_lo, s17
	s_mov_b32 s17, exec_lo
	v_cmpx_gt_u32_e64 s16, v52
	s_cbranch_execz .LBB427_364
.LBB427_380:                            ;   in Loop: Header=BB427_334 Depth=2
	v_xor_b32_e32 v21, 0x80, v13
	v_lshrrev_b32_sdwa v21, s61, v21 dst_sel:DWORD dst_unused:UNUSED_PAD src0_sel:DWORD src1_sel:BYTE_0
	v_and_b32_e32 v21, s62, v21
	v_lshl_or_b32 v21, v21, 4, v63
	ds_add_u32 v21, v89
	s_or_b32 exec_lo, exec_lo, s17
	s_mov_b32 s17, exec_lo
	v_cmpx_gt_u32_e64 s16, v53
	s_cbranch_execz .LBB427_365
.LBB427_381:                            ;   in Loop: Header=BB427_334 Depth=2
	v_xor_b32_e32 v21, 0x80, v12
	v_lshrrev_b32_sdwa v21, s61, v21 dst_sel:DWORD dst_unused:UNUSED_PAD src0_sel:DWORD src1_sel:BYTE_0
	v_and_b32_e32 v21, s62, v21
	v_lshl_or_b32 v21, v21, 4, v63
	ds_add_u32 v21, v89
	s_or_b32 exec_lo, exec_lo, s17
	s_mov_b32 s17, exec_lo
	v_cmpx_gt_u32_e64 s16, v54
	s_cbranch_execz .LBB427_366
.LBB427_382:                            ;   in Loop: Header=BB427_334 Depth=2
	v_xor_b32_e32 v21, 0x80, v11
	v_lshrrev_b32_sdwa v21, s61, v21 dst_sel:DWORD dst_unused:UNUSED_PAD src0_sel:DWORD src1_sel:BYTE_0
	v_and_b32_e32 v21, s62, v21
	v_lshl_or_b32 v21, v21, 4, v63
	ds_add_u32 v21, v89
	s_or_b32 exec_lo, exec_lo, s17
	s_mov_b32 s17, exec_lo
	v_cmpx_gt_u32_e64 s16, v55
	s_cbranch_execz .LBB427_367
.LBB427_383:                            ;   in Loop: Header=BB427_334 Depth=2
	v_xor_b32_e32 v21, 0x80, v10
	v_lshrrev_b32_sdwa v21, s61, v21 dst_sel:DWORD dst_unused:UNUSED_PAD src0_sel:DWORD src1_sel:BYTE_0
	v_and_b32_e32 v21, s62, v21
	v_lshl_or_b32 v21, v21, 4, v63
	ds_add_u32 v21, v89
	s_or_b32 exec_lo, exec_lo, s17
	s_mov_b32 s17, exec_lo
	v_cmpx_gt_u32_e64 s16, v56
	s_cbranch_execz .LBB427_368
.LBB427_384:                            ;   in Loop: Header=BB427_334 Depth=2
	v_xor_b32_e32 v21, 0x80, v9
	v_lshrrev_b32_sdwa v21, s61, v21 dst_sel:DWORD dst_unused:UNUSED_PAD src0_sel:DWORD src1_sel:BYTE_0
	v_and_b32_e32 v21, s62, v21
	v_lshl_or_b32 v21, v21, 4, v63
	ds_add_u32 v21, v89
	s_or_b32 exec_lo, exec_lo, s17
	s_mov_b32 s17, exec_lo
	v_cmpx_gt_u32_e64 s16, v57
	s_cbranch_execz .LBB427_369
.LBB427_385:                            ;   in Loop: Header=BB427_334 Depth=2
	v_xor_b32_e32 v21, 0x80, v8
	v_lshrrev_b32_sdwa v21, s61, v21 dst_sel:DWORD dst_unused:UNUSED_PAD src0_sel:DWORD src1_sel:BYTE_0
	v_and_b32_e32 v21, s62, v21
	v_lshl_or_b32 v21, v21, 4, v63
	ds_add_u32 v21, v89
	s_or_b32 exec_lo, exec_lo, s17
	s_mov_b32 s17, exec_lo
	v_cmpx_gt_u32_e64 s16, v58
	s_cbranch_execz .LBB427_370
.LBB427_386:                            ;   in Loop: Header=BB427_334 Depth=2
	v_xor_b32_e32 v21, 0x80, v7
	v_lshrrev_b32_sdwa v21, s61, v21 dst_sel:DWORD dst_unused:UNUSED_PAD src0_sel:DWORD src1_sel:BYTE_0
	v_and_b32_e32 v21, s62, v21
	v_lshl_or_b32 v21, v21, 4, v63
	ds_add_u32 v21, v89
	s_or_b32 exec_lo, exec_lo, s17
	s_mov_b32 s17, exec_lo
	v_cmpx_gt_u32_e64 s16, v59
	s_cbranch_execz .LBB427_371
.LBB427_387:                            ;   in Loop: Header=BB427_334 Depth=2
	v_xor_b32_e32 v21, 0x80, v6
	v_lshrrev_b32_sdwa v21, s61, v21 dst_sel:DWORD dst_unused:UNUSED_PAD src0_sel:DWORD src1_sel:BYTE_0
	v_and_b32_e32 v21, s62, v21
	v_lshl_or_b32 v21, v21, 4, v63
	ds_add_u32 v21, v89
	s_or_b32 exec_lo, exec_lo, s17
	s_mov_b32 s17, exec_lo
	v_cmpx_gt_u32_e64 s16, v60
	s_cbranch_execz .LBB427_372
.LBB427_388:                            ;   in Loop: Header=BB427_334 Depth=2
	v_xor_b32_e32 v21, 0x80, v5
	v_lshrrev_b32_sdwa v21, s61, v21 dst_sel:DWORD dst_unused:UNUSED_PAD src0_sel:DWORD src1_sel:BYTE_0
	v_and_b32_e32 v21, s62, v21
	v_lshl_or_b32 v21, v21, 4, v63
	ds_add_u32 v21, v89
	s_or_b32 exec_lo, exec_lo, s17
	v_cmp_gt_u32_e32 vcc_lo, s16, v61
	s_and_saveexec_b32 s16, vcc_lo
	s_cbranch_execz .LBB427_333
.LBB427_389:                            ;   in Loop: Header=BB427_334 Depth=2
	v_xor_b32_e32 v21, 0x80, v3
	v_lshrrev_b32_sdwa v21, s61, v21 dst_sel:DWORD dst_unused:UNUSED_PAD src0_sel:DWORD src1_sel:BYTE_0
	v_and_b32_e32 v21, s62, v21
	v_lshl_or_b32 v21, v21, 4, v63
	ds_add_u32 v21, v89
	s_branch .LBB427_333
.LBB427_390:                            ;   in Loop: Header=BB427_334 Depth=2
	s_waitcnt vmcnt(0)
	v_add_co_u32 v21, s19, s16, v0
	v_add_co_ci_u32_e64 v22, null, s17, 0, s19
	global_load_ubyte v17, v[21:22], off
	s_or_b32 exec_lo, exec_lo, s18
	s_mov_b32 s18, exec_lo
	v_cmpx_gt_u32_e64 s5, v44
	s_cbranch_execz .LBB427_339
.LBB427_391:                            ;   in Loop: Header=BB427_334 Depth=2
	v_add_co_u32 v20, s19, s16, v0
	s_waitcnt vmcnt(0)
	v_add_co_ci_u32_e64 v21, null, s17, 0, s19
	global_load_ubyte v20, v[20:21], off offset:256
	s_or_b32 exec_lo, exec_lo, s18
	s_mov_b32 s18, exec_lo
	v_cmpx_gt_u32_e64 s5, v47
	s_cbranch_execz .LBB427_340
.LBB427_392:                            ;   in Loop: Header=BB427_334 Depth=2
	s_waitcnt vmcnt(0)
	v_add_co_u32 v21, s19, s16, v0
	v_add_co_ci_u32_e64 v22, null, s17, 0, s19
	global_load_ubyte v19, v[21:22], off offset:512
	s_or_b32 exec_lo, exec_lo, s18
	s_mov_b32 s18, exec_lo
	v_cmpx_gt_u32_e64 s5, v48
	s_cbranch_execz .LBB427_341
.LBB427_393:                            ;   in Loop: Header=BB427_334 Depth=2
	s_waitcnt vmcnt(0)
	v_add_co_u32 v21, s19, s16, v0
	v_add_co_ci_u32_e64 v22, null, s17, 0, s19
	global_load_ubyte v18, v[21:22], off offset:768
	s_or_b32 exec_lo, exec_lo, s18
	s_mov_b32 s18, exec_lo
	v_cmpx_gt_u32_e64 s5, v49
	s_cbranch_execz .LBB427_342
.LBB427_394:                            ;   in Loop: Header=BB427_334 Depth=2
	s_waitcnt vmcnt(0)
	v_add_co_u32 v21, s19, s16, v0
	v_add_co_ci_u32_e64 v22, null, s17, 0, s19
	global_load_ubyte v16, v[21:22], off offset:1024
	s_or_b32 exec_lo, exec_lo, s18
	s_mov_b32 s18, exec_lo
	v_cmpx_gt_u32_e64 s5, v50
	s_cbranch_execz .LBB427_343
.LBB427_395:                            ;   in Loop: Header=BB427_334 Depth=2
	s_waitcnt vmcnt(0)
	v_add_co_u32 v21, s19, s16, v0
	v_add_co_ci_u32_e64 v22, null, s17, 0, s19
	global_load_ubyte v15, v[21:22], off offset:1280
	s_or_b32 exec_lo, exec_lo, s18
	s_mov_b32 s18, exec_lo
	v_cmpx_gt_u32_e64 s5, v51
	s_cbranch_execz .LBB427_344
.LBB427_396:                            ;   in Loop: Header=BB427_334 Depth=2
	s_waitcnt vmcnt(0)
	v_add_co_u32 v21, s19, s16, v0
	v_add_co_ci_u32_e64 v22, null, s17, 0, s19
	global_load_ubyte v14, v[21:22], off offset:1536
	s_or_b32 exec_lo, exec_lo, s18
	s_mov_b32 s18, exec_lo
	v_cmpx_gt_u32_e64 s5, v52
	s_cbranch_execz .LBB427_345
.LBB427_397:                            ;   in Loop: Header=BB427_334 Depth=2
	s_waitcnt vmcnt(0)
	v_add_co_u32 v21, s19, s16, v0
	v_add_co_ci_u32_e64 v22, null, s17, 0, s19
	global_load_ubyte v13, v[21:22], off offset:1792
	s_or_b32 exec_lo, exec_lo, s18
	s_mov_b32 s18, exec_lo
	v_cmpx_gt_u32_e64 s5, v53
	s_cbranch_execz .LBB427_346
.LBB427_398:                            ;   in Loop: Header=BB427_334 Depth=2
	s_waitcnt vmcnt(0)
	v_add_co_u32 v21, s19, s16, v53
	v_add_co_ci_u32_e64 v22, null, s17, 0, s19
	global_load_ubyte v12, v[21:22], off
	s_or_b32 exec_lo, exec_lo, s18
	s_mov_b32 s18, exec_lo
	v_cmpx_gt_u32_e64 s5, v54
	s_cbranch_execz .LBB427_347
.LBB427_399:                            ;   in Loop: Header=BB427_334 Depth=2
	s_waitcnt vmcnt(0)
	v_add_co_u32 v21, s19, s16, v54
	v_add_co_ci_u32_e64 v22, null, s17, 0, s19
	global_load_ubyte v11, v[21:22], off
	s_or_b32 exec_lo, exec_lo, s18
	s_mov_b32 s18, exec_lo
	v_cmpx_gt_u32_e64 s5, v55
	s_cbranch_execz .LBB427_348
.LBB427_400:                            ;   in Loop: Header=BB427_334 Depth=2
	s_waitcnt vmcnt(0)
	v_add_co_u32 v21, s19, s16, v55
	v_add_co_ci_u32_e64 v22, null, s17, 0, s19
	global_load_ubyte v10, v[21:22], off
	s_or_b32 exec_lo, exec_lo, s18
	s_mov_b32 s18, exec_lo
	v_cmpx_gt_u32_e64 s5, v56
	s_cbranch_execz .LBB427_349
.LBB427_401:                            ;   in Loop: Header=BB427_334 Depth=2
	s_waitcnt vmcnt(0)
	v_add_co_u32 v21, s19, s16, v56
	v_add_co_ci_u32_e64 v22, null, s17, 0, s19
	global_load_ubyte v9, v[21:22], off
	s_or_b32 exec_lo, exec_lo, s18
	s_mov_b32 s18, exec_lo
	v_cmpx_gt_u32_e64 s5, v57
	s_cbranch_execz .LBB427_350
.LBB427_402:                            ;   in Loop: Header=BB427_334 Depth=2
	s_waitcnt vmcnt(0)
	v_add_co_u32 v21, s19, s16, v57
	v_add_co_ci_u32_e64 v22, null, s17, 0, s19
	global_load_ubyte v8, v[21:22], off
	s_or_b32 exec_lo, exec_lo, s18
	s_mov_b32 s18, exec_lo
	v_cmpx_gt_u32_e64 s5, v58
	s_cbranch_execz .LBB427_351
.LBB427_403:                            ;   in Loop: Header=BB427_334 Depth=2
	s_waitcnt vmcnt(0)
	v_add_co_u32 v21, s19, s16, v58
	v_add_co_ci_u32_e64 v22, null, s17, 0, s19
	global_load_ubyte v7, v[21:22], off
	s_or_b32 exec_lo, exec_lo, s18
	s_mov_b32 s18, exec_lo
	v_cmpx_gt_u32_e64 s5, v59
	s_cbranch_execz .LBB427_352
.LBB427_404:                            ;   in Loop: Header=BB427_334 Depth=2
	s_waitcnt vmcnt(0)
	v_add_co_u32 v21, s19, s16, v59
	v_add_co_ci_u32_e64 v22, null, s17, 0, s19
	global_load_ubyte v6, v[21:22], off
	s_or_b32 exec_lo, exec_lo, s18
	s_mov_b32 s18, exec_lo
	v_cmpx_gt_u32_e64 s5, v60
	s_cbranch_execz .LBB427_353
.LBB427_405:                            ;   in Loop: Header=BB427_334 Depth=2
	s_waitcnt vmcnt(0)
	v_add_co_u32 v21, s19, s16, v60
	v_add_co_ci_u32_e64 v22, null, s17, 0, s19
	global_load_ubyte v5, v[21:22], off
	s_or_b32 exec_lo, exec_lo, s18
	s_mov_b32 s18, exec_lo
	v_cmpx_gt_u32_e64 s5, v61
	s_cbranch_execnz .LBB427_354
	s_branch .LBB427_355
.LBB427_406:                            ;   in Loop: Header=BB427_20 Depth=1
	v_mov_b32_e32 v3, 0
	s_waitcnt lgkmcnt(0)
	s_barrier
	buffer_gl0_inv
	s_and_saveexec_b32 s5, s8
	s_cbranch_execz .LBB427_408
; %bb.407:                              ;   in Loop: Header=BB427_20 Depth=1
	ds_read2_b64 v[5:8], v64 offset1:1
	s_waitcnt lgkmcnt(0)
	v_add_nc_u32_e32 v3, v6, v5
	v_add3_u32 v3, v3, v7, v8
.LBB427_408:                            ;   in Loop: Header=BB427_20 Depth=1
	s_or_b32 exec_lo, exec_lo, s5
	v_and_b32_e32 v5, 15, v86
	v_mov_b32_dpp v6, v3 row_shr:1 row_mask:0xf bank_mask:0xf
	v_and_b32_e32 v7, 16, v86
	v_cmp_eq_u32_e64 s5, 0, v5
	v_cmp_lt_u32_e64 s15, 1, v5
	v_cmp_lt_u32_e64 s16, 3, v5
	v_cmp_lt_u32_e64 s17, 7, v5
	v_cmp_eq_u32_e64 s18, 0, v7
	v_cndmask_b32_e64 v6, v6, 0, s5
	v_add_nc_u32_e32 v3, v6, v3
	v_mov_b32_dpp v6, v3 row_shr:2 row_mask:0xf bank_mask:0xf
	v_cndmask_b32_e64 v6, 0, v6, s15
	v_add_nc_u32_e32 v3, v3, v6
	v_mov_b32_dpp v6, v3 row_shr:4 row_mask:0xf bank_mask:0xf
	;; [unrolled: 3-line block ×3, first 2 shown]
	v_cndmask_b32_e64 v5, 0, v6, s17
	v_bfe_i32 v6, v86, 4, 1
	v_add_nc_u32_e32 v3, v3, v5
	ds_swizzle_b32 v5, v3 offset:swizzle(BROADCAST,32,15)
	s_waitcnt lgkmcnt(0)
	v_and_b32_e32 v5, v6, v5
	v_add_nc_u32_e32 v3, v3, v5
	s_and_saveexec_b32 s19, s9
; %bb.409:                              ;   in Loop: Header=BB427_20 Depth=1
	ds_write_b32 v65, v3
; %bb.410:                              ;   in Loop: Header=BB427_20 Depth=1
	s_or_b32 exec_lo, exec_lo, s19
	s_waitcnt lgkmcnt(0)
	s_barrier
	buffer_gl0_inv
	s_and_saveexec_b32 s19, s10
	s_cbranch_execz .LBB427_412
; %bb.411:                              ;   in Loop: Header=BB427_20 Depth=1
	ds_read_b32 v5, v66
	v_and_b32_e32 v6, 3, v86
	v_cmp_ne_u32_e32 vcc_lo, 0, v6
	s_waitcnt lgkmcnt(0)
	v_mov_b32_dpp v7, v5 row_shr:1 row_mask:0xf bank_mask:0xf
	v_cndmask_b32_e32 v7, 0, v7, vcc_lo
	v_cmp_lt_u32_e32 vcc_lo, 1, v6
	v_add_nc_u32_e32 v5, v7, v5
	v_mov_b32_dpp v7, v5 row_shr:2 row_mask:0xf bank_mask:0xf
	v_cndmask_b32_e32 v6, 0, v7, vcc_lo
	v_add_nc_u32_e32 v5, v5, v6
	ds_write_b32 v66, v5
.LBB427_412:                            ;   in Loop: Header=BB427_20 Depth=1
	s_or_b32 exec_lo, exec_lo, s19
	v_mov_b32_e32 v5, 0
	s_waitcnt lgkmcnt(0)
	s_barrier
	buffer_gl0_inv
	s_and_saveexec_b32 s19, s11
; %bb.413:                              ;   in Loop: Header=BB427_20 Depth=1
	ds_read_b32 v5, v67
; %bb.414:                              ;   in Loop: Header=BB427_20 Depth=1
	s_or_b32 exec_lo, exec_lo, s19
	v_sub_co_u32 v6, s19, v86, 1
	s_waitcnt lgkmcnt(0)
	v_add_nc_u32_e32 v3, v5, v3
	s_barrier
	v_cmp_gt_i32_e32 vcc_lo, 0, v6
	buffer_gl0_inv
	v_cndmask_b32_e32 v6, v6, v86, vcc_lo
	v_lshlrev_b32_e32 v94, 2, v6
	ds_bpermute_b32 v3, v94, v3
	s_and_saveexec_b32 s20, s8
	s_cbranch_execz .LBB427_416
; %bb.415:                              ;   in Loop: Header=BB427_20 Depth=1
	s_waitcnt lgkmcnt(0)
	v_cndmask_b32_e64 v3, v3, v5, s19
	v_add_nc_u32_e32 v3, s58, v3
	ds_write_b32 v43, v3
.LBB427_416:                            ;   in Loop: Header=BB427_20 Depth=1
	s_or_b32 exec_lo, exec_lo, s20
	s_load_dwordx2 s[20:21], s[56:57], 0x0
	v_and_b32_e32 v6, 7, v86
	v_lshlrev_b32_e32 v7, 3, v86
	v_or_b32_e32 v95, v86, v68
	v_add_co_u32 v96, vcc_lo, v80, v86
	v_add_co_ci_u32_e64 v97, null, 0, v81, vcc_lo
	v_add_co_u32 v98, vcc_lo, v78, v7
	v_add_co_ci_u32_e64 v99, null, 0, v79, vcc_lo
	v_add_nc_u32_e32 v100, 32, v95
	v_add_nc_u32_e32 v101, 64, v95
	;; [unrolled: 1-line block ×8, first 2 shown]
	s_waitcnt lgkmcnt(0)
	s_cmp_lt_u32 s7, s21
	v_add_nc_u32_e32 v108, 0x120, v95
	s_cselect_b32 s21, 14, 20
	v_add_nc_u32_e32 v109, 0x140, v95
	s_add_u32 s22, s56, s21
	s_addc_u32 s23, s57, 0
	s_cmp_lt_u32 s6, s20
	global_load_ushort v3, v4, s[22:23]
	s_cselect_b32 s20, 12, 18
	v_add_nc_u32_e32 v110, 0x160, v95
	s_add_u32 s20, s56, s20
	s_addc_u32 s21, s57, 0
	v_add_nc_u32_e32 v111, 0x180, v95
	global_load_ushort v5, v4, s[20:21]
	v_cmp_eq_u32_e64 s20, 0, v6
	v_cmp_lt_u32_e64 s21, 1, v6
	v_cmp_lt_u32_e64 s22, 3, v6
	v_add_nc_u32_e32 v112, 0x1a0, v95
	v_add_nc_u32_e32 v113, 0x1c0, v95
	;; [unrolled: 1-line block ×4, first 2 shown]
	v_mov_b32_e32 v117, 0
	s_mov_b32 s63, s60
	s_mov_b32 s50, s58
                                        ; implicit-def: $vgpr7_vgpr8
                                        ; implicit-def: $vgpr9_vgpr10
                                        ; implicit-def: $vgpr11_vgpr12
                                        ; implicit-def: $vgpr13_vgpr14
                                        ; implicit-def: $vgpr15_vgpr16
                                        ; implicit-def: $vgpr19_vgpr20
                                        ; implicit-def: $vgpr23_vgpr24
                                        ; implicit-def: $vgpr27_vgpr28
                                        ; implicit-def: $vgpr17_vgpr18
                                        ; implicit-def: $vgpr21_vgpr22
                                        ; implicit-def: $vgpr25_vgpr26
                                        ; implicit-def: $vgpr29_vgpr30
                                        ; implicit-def: $vgpr31_vgpr32
                                        ; implicit-def: $vgpr33_vgpr34
                                        ; implicit-def: $vgpr35_vgpr36
                                        ; implicit-def: $vgpr37_vgpr38
                                        ; implicit-def: $vgpr118
                                        ; implicit-def: $vgpr119
                                        ; implicit-def: $vgpr120
                                        ; implicit-def: $vgpr121
                                        ; implicit-def: $vgpr122
                                        ; implicit-def: $vgpr123
                                        ; implicit-def: $vgpr124
                                        ; implicit-def: $vgpr125
                                        ; implicit-def: $vgpr126
                                        ; implicit-def: $vgpr127
                                        ; implicit-def: $vgpr128
                                        ; implicit-def: $vgpr129
                                        ; implicit-def: $vgpr130
                                        ; implicit-def: $vgpr131
                                        ; implicit-def: $vgpr132
                                        ; implicit-def: $vgpr133
                                        ; implicit-def: $vgpr134
                                        ; implicit-def: $vgpr135
                                        ; implicit-def: $vgpr136
	s_waitcnt vmcnt(1)
	v_mad_u32_u24 v3, v2, v3, v1
	s_waitcnt vmcnt(0)
	v_mad_u64_u32 v[5:6], null, v3, v5, v[0:1]
	v_lshrrev_b32_e32 v3, 3, v5
                                        ; implicit-def: $vgpr5_vgpr6
	v_and_b32_e32 v116, 0x1ffffffc, v3
	s_branch .LBB427_418
.LBB427_417:                            ;   in Loop: Header=BB427_418 Depth=2
	s_or_b32 exec_lo, exec_lo, s23
	s_addk_i32 s63, 0xef00
	s_cmp_lt_u32 s64, s59
	s_mov_b32 s50, s64
	s_cbranch_scc0 .LBB427_640
.LBB427_418:                            ;   Parent Loop BB427_20 Depth=1
                                        ; =>  This Inner Loop Header: Depth=2
	s_add_i32 s64, s50, 0x1100
	s_cmp_gt_u32 s64, s59
	s_cbranch_scc1 .LBB427_420
; %bb.419:                              ;   in Loop: Header=BB427_418 Depth=2
	v_add_co_u32 v39, vcc_lo, v96, s50
	v_add_co_ci_u32_e64 v40, null, 0, v97, vcc_lo
	s_mov_b32 s23, -1
	s_clause 0xf
	global_load_ubyte v42, v[39:40], off offset:480
	global_load_ubyte v41, v[39:40], off offset:448
	;; [unrolled: 1-line block ×15, first 2 shown]
	global_load_ubyte v146, v[39:40], off
	s_movk_i32 s24, 0x1100
	s_cbranch_execz .LBB427_421
	s_branch .LBB427_439
.LBB427_420:                            ;   in Loop: Header=BB427_418 Depth=2
	s_mov_b32 s23, 0
                                        ; implicit-def: $vgpr146
                                        ; implicit-def: $vgpr147
                                        ; implicit-def: $vgpr148
                                        ; implicit-def: $vgpr151
                                        ; implicit-def: $vgpr150
                                        ; implicit-def: $vgpr143
                                        ; implicit-def: $vgpr144
                                        ; implicit-def: $vgpr145
                                        ; implicit-def: $vgpr142
                                        ; implicit-def: $vgpr139
                                        ; implicit-def: $vgpr140
                                        ; implicit-def: $vgpr141
                                        ; implicit-def: $vgpr137
                                        ; implicit-def: $vgpr3
                                        ; implicit-def: $vgpr41
                                        ; implicit-def: $vgpr42
                                        ; implicit-def: $vgpr117
	s_movk_i32 s24, 0x1100
.LBB427_421:                            ;   in Loop: Header=BB427_418 Depth=2
	v_add_co_u32 v39, vcc_lo, v96, s50
	v_add_co_ci_u32_e64 v40, null, 0, v97, vcc_lo
	v_mov_b32_e32 v117, 0x7f
	s_waitcnt vmcnt(0)
	v_mov_b32_e32 v146, 0x7f
	v_mov_b32_e32 v147, 0x7f
	;; [unrolled: 1-line block ×16, first 2 shown]
	s_mov_b32 s23, exec_lo
	v_cmpx_gt_u32_e64 s63, v95
	s_cbranch_execnz .LBB427_625
; %bb.422:                              ;   in Loop: Header=BB427_418 Depth=2
	s_or_b32 exec_lo, exec_lo, s23
	s_mov_b32 s23, exec_lo
	v_cmpx_gt_u32_e64 s63, v100
	s_cbranch_execnz .LBB427_626
.LBB427_423:                            ;   in Loop: Header=BB427_418 Depth=2
	s_or_b32 exec_lo, exec_lo, s23
	s_mov_b32 s23, exec_lo
	v_cmpx_gt_u32_e64 s63, v101
	s_cbranch_execnz .LBB427_627
.LBB427_424:                            ;   in Loop: Header=BB427_418 Depth=2
	s_or_b32 exec_lo, exec_lo, s23
	s_mov_b32 s23, exec_lo
	v_cmpx_gt_u32_e64 s63, v102
	s_cbranch_execnz .LBB427_628
.LBB427_425:                            ;   in Loop: Header=BB427_418 Depth=2
	s_or_b32 exec_lo, exec_lo, s23
	s_mov_b32 s23, exec_lo
	v_cmpx_gt_u32_e64 s63, v103
	s_cbranch_execnz .LBB427_629
.LBB427_426:                            ;   in Loop: Header=BB427_418 Depth=2
	s_or_b32 exec_lo, exec_lo, s23
	s_mov_b32 s23, exec_lo
	v_cmpx_gt_u32_e64 s63, v104
	s_cbranch_execnz .LBB427_630
.LBB427_427:                            ;   in Loop: Header=BB427_418 Depth=2
	s_or_b32 exec_lo, exec_lo, s23
	s_mov_b32 s23, exec_lo
	v_cmpx_gt_u32_e64 s63, v105
	s_cbranch_execnz .LBB427_631
.LBB427_428:                            ;   in Loop: Header=BB427_418 Depth=2
	s_or_b32 exec_lo, exec_lo, s23
	s_mov_b32 s23, exec_lo
	v_cmpx_gt_u32_e64 s63, v106
	s_cbranch_execnz .LBB427_632
.LBB427_429:                            ;   in Loop: Header=BB427_418 Depth=2
	s_or_b32 exec_lo, exec_lo, s23
	s_mov_b32 s23, exec_lo
	v_cmpx_gt_u32_e64 s63, v107
	s_cbranch_execnz .LBB427_633
.LBB427_430:                            ;   in Loop: Header=BB427_418 Depth=2
	s_or_b32 exec_lo, exec_lo, s23
	s_mov_b32 s23, exec_lo
	v_cmpx_gt_u32_e64 s63, v108
	s_cbranch_execnz .LBB427_634
.LBB427_431:                            ;   in Loop: Header=BB427_418 Depth=2
	s_or_b32 exec_lo, exec_lo, s23
	s_mov_b32 s23, exec_lo
	v_cmpx_gt_u32_e64 s63, v109
	s_cbranch_execnz .LBB427_635
.LBB427_432:                            ;   in Loop: Header=BB427_418 Depth=2
	s_or_b32 exec_lo, exec_lo, s23
	s_mov_b32 s23, exec_lo
	v_cmpx_gt_u32_e64 s63, v110
	s_cbranch_execnz .LBB427_636
.LBB427_433:                            ;   in Loop: Header=BB427_418 Depth=2
	s_or_b32 exec_lo, exec_lo, s23
	s_mov_b32 s23, exec_lo
	v_cmpx_gt_u32_e64 s63, v111
	s_cbranch_execnz .LBB427_637
.LBB427_434:                            ;   in Loop: Header=BB427_418 Depth=2
	s_or_b32 exec_lo, exec_lo, s23
	s_mov_b32 s23, exec_lo
	v_cmpx_gt_u32_e64 s63, v112
	s_cbranch_execnz .LBB427_638
.LBB427_435:                            ;   in Loop: Header=BB427_418 Depth=2
	s_or_b32 exec_lo, exec_lo, s23
	s_mov_b32 s23, exec_lo
	v_cmpx_gt_u32_e64 s63, v113
	s_cbranch_execnz .LBB427_639
.LBB427_436:                            ;   in Loop: Header=BB427_418 Depth=2
	s_or_b32 exec_lo, exec_lo, s23
	s_mov_b32 s23, exec_lo
	v_cmpx_gt_u32_e64 s63, v114
	s_cbranch_execz .LBB427_438
.LBB427_437:                            ;   in Loop: Header=BB427_418 Depth=2
	global_load_ubyte v42, v[39:40], off offset:480
.LBB427_438:                            ;   in Loop: Header=BB427_418 Depth=2
	s_or_b32 exec_lo, exec_lo, s23
	v_cmp_gt_u32_e64 s23, s63, v115
	s_sub_i32 s24, s59, s50
.LBB427_439:                            ;   in Loop: Header=BB427_418 Depth=2
	v_mov_b32_e32 v138, s63
	s_and_saveexec_b32 s25, s23
	s_cbranch_execz .LBB427_441
; %bb.440:                              ;   in Loop: Header=BB427_418 Depth=2
	v_add_co_u32 v39, vcc_lo, v96, s50
	v_add_co_ci_u32_e64 v40, null, s51, v97, vcc_lo
	v_mov_b32_e32 v138, s24
	global_load_ubyte v117, v[39:40], off offset:512
.LBB427_441:                            ;   in Loop: Header=BB427_418 Depth=2
	s_or_b32 exec_lo, exec_lo, s25
	s_waitcnt vmcnt(0)
	v_xor_b32_e32 v39, 0x80, v146
	ds_write2_b32 v69, v4, v4 offset0:136 offset1:137
	ds_write2_b32 v69, v4, v4 offset0:138 offset1:139
	ds_write_b32 v69, v4 offset:560
	s_waitcnt lgkmcnt(0)
	s_barrier
	v_and_b32_sdwa v40, v92, v39 dst_sel:DWORD dst_unused:UNUSED_PAD src0_sel:DWORD src1_sel:BYTE_0
	buffer_gl0_inv
	; wave barrier
	v_lshrrev_b32_e32 v40, s61, v40
	v_and_b32_e32 v149, s62, v40
	v_and_b32_e32 v40, 1, v149
	v_lshlrev_b32_e32 v146, 30, v149
	v_lshlrev_b32_e32 v152, 29, v149
	;; [unrolled: 1-line block ×4, first 2 shown]
	v_add_co_u32 v40, s23, v40, -1
	v_cndmask_b32_e64 v153, 0, 1, s23
	v_not_b32_e32 v157, v146
	v_cmp_gt_i32_e64 s23, 0, v146
	v_not_b32_e32 v146, v152
	v_lshlrev_b32_e32 v156, 26, v149
	v_cmp_ne_u32_e32 vcc_lo, 0, v153
	v_ashrrev_i32_e32 v157, 31, v157
	v_lshlrev_b32_e32 v153, 25, v149
	v_ashrrev_i32_e32 v146, 31, v146
	v_mul_u32_u24_e32 v149, 36, v149
	v_xor_b32_e32 v40, vcc_lo, v40
	v_cmp_gt_i32_e32 vcc_lo, 0, v152
	v_not_b32_e32 v152, v154
	v_xor_b32_e32 v157, s23, v157
	v_cmp_gt_i32_e64 s23, 0, v154
	v_and_b32_e32 v40, exec_lo, v40
	v_not_b32_e32 v154, v155
	v_ashrrev_i32_e32 v152, 31, v152
	v_xor_b32_e32 v146, vcc_lo, v146
	v_cmp_gt_i32_e32 vcc_lo, 0, v155
	v_and_b32_e32 v40, v40, v157
	v_not_b32_e32 v155, v156
	v_ashrrev_i32_e32 v154, 31, v154
	v_xor_b32_e32 v152, s23, v152
	v_cmp_gt_i32_e64 s23, 0, v156
	v_and_b32_e32 v40, v40, v146
	v_not_b32_e32 v146, v153
	v_ashrrev_i32_e32 v155, 31, v155
	v_xor_b32_e32 v154, vcc_lo, v154
	v_cmp_gt_i32_e32 vcc_lo, 0, v153
	v_and_b32_e32 v40, v40, v152
	v_ashrrev_i32_e32 v146, 31, v146
	v_xor_b32_e32 v152, s23, v155
	v_add_nc_u32_e32 v149, v116, v149
	v_and_b32_e32 v40, v40, v154
	v_xor_b32_e32 v146, vcc_lo, v146
	v_and_b32_e32 v40, v40, v152
	v_and_b32_e32 v40, v40, v146
	v_mbcnt_lo_u32_b32 v146, v40, 0
	v_cmp_ne_u32_e64 s23, 0, v40
	v_cmp_eq_u32_e32 vcc_lo, 0, v146
	s_and_b32 s24, s23, vcc_lo
	s_and_saveexec_b32 s23, s24
; %bb.442:                              ;   in Loop: Header=BB427_418 Depth=2
	v_bcnt_u32_b32 v40, v40, 0
	ds_write_b32 v149, v40 offset:544
; %bb.443:                              ;   in Loop: Header=BB427_418 Depth=2
	s_or_b32 exec_lo, exec_lo, s23
	v_xor_b32_sdwa v40, v147, v93 dst_sel:BYTE_1 dst_unused:UNUSED_PAD src0_sel:DWORD src1_sel:DWORD
	v_xor_b32_e32 v148, 0x80, v148
	v_xor_b32_sdwa v151, v151, v93 dst_sel:BYTE_1 dst_unused:UNUSED_PAD src0_sel:DWORD src1_sel:DWORD
	; wave barrier
	v_or_b32_sdwa v147, v39, v40 dst_sel:DWORD dst_unused:UNUSED_PAD src0_sel:BYTE_0 src1_sel:DWORD
	v_or_b32_sdwa v39, v148, v151 dst_sel:WORD_1 dst_unused:UNUSED_PAD src0_sel:BYTE_0 src1_sel:DWORD
	v_or_b32_sdwa v148, v147, v39 dst_sel:DWORD dst_unused:UNUSED_PAD src0_sel:WORD_0 src1_sel:DWORD
	v_lshrrev_b32_sdwa v39, s61, v148 dst_sel:DWORD dst_unused:UNUSED_PAD src0_sel:DWORD src1_sel:BYTE_1
	v_and_b32_e32 v40, s62, v39
	v_and_b32_e32 v39, 1, v40
	v_lshlrev_b32_e32 v151, 30, v40
	v_lshlrev_b32_e32 v152, 29, v40
	;; [unrolled: 1-line block ×4, first 2 shown]
	v_add_co_u32 v39, s23, v39, -1
	v_cndmask_b32_e64 v153, 0, 1, s23
	v_not_b32_e32 v157, v151
	v_cmp_gt_i32_e64 s23, 0, v151
	v_not_b32_e32 v151, v152
	v_lshlrev_b32_e32 v156, 26, v40
	v_cmp_ne_u32_e32 vcc_lo, 0, v153
	v_ashrrev_i32_e32 v157, 31, v157
	v_lshlrev_b32_e32 v153, 25, v40
	v_ashrrev_i32_e32 v151, 31, v151
	v_xor_b32_e32 v39, vcc_lo, v39
	v_cmp_gt_i32_e32 vcc_lo, 0, v152
	v_not_b32_e32 v152, v154
	v_xor_b32_e32 v157, s23, v157
	v_cmp_gt_i32_e64 s23, 0, v154
	v_and_b32_e32 v39, exec_lo, v39
	v_not_b32_e32 v154, v155
	v_ashrrev_i32_e32 v152, 31, v152
	v_xor_b32_e32 v151, vcc_lo, v151
	v_cmp_gt_i32_e32 vcc_lo, 0, v155
	v_and_b32_e32 v39, v39, v157
	v_not_b32_e32 v155, v156
	v_ashrrev_i32_e32 v154, 31, v154
	v_xor_b32_e32 v152, s23, v152
	v_cmp_gt_i32_e64 s23, 0, v156
	v_and_b32_e32 v39, v39, v151
	v_not_b32_e32 v151, v153
	v_ashrrev_i32_e32 v155, 31, v155
	v_xor_b32_e32 v154, vcc_lo, v154
	v_cmp_gt_i32_e32 vcc_lo, 0, v153
	v_and_b32_e32 v39, v39, v152
	v_ashrrev_i32_e32 v151, 31, v151
	v_xor_b32_e32 v152, s23, v155
	v_mad_u32_u24 v153, v40, 36, v116
	v_mul_u32_u24_e32 v40, 36, v40
	v_and_b32_e32 v39, v39, v154
	v_xor_b32_e32 v154, vcc_lo, v151
	ds_read_b32 v151, v153 offset:544
	v_add_nc_u32_e32 v153, v116, v40
	v_and_b32_e32 v39, v39, v152
	; wave barrier
	v_and_b32_e32 v39, v39, v154
	v_mbcnt_lo_u32_b32 v152, v39, 0
	v_cmp_ne_u32_e64 s23, 0, v39
	v_cmp_eq_u32_e32 vcc_lo, 0, v152
	s_and_b32 s24, s23, vcc_lo
	s_and_saveexec_b32 s23, s24
	s_cbranch_execz .LBB427_445
; %bb.444:                              ;   in Loop: Header=BB427_418 Depth=2
	s_waitcnt lgkmcnt(0)
	v_bcnt_u32_b32 v39, v39, v151
	ds_write_b32 v153, v39 offset:544
.LBB427_445:                            ;   in Loop: Header=BB427_418 Depth=2
	s_or_b32 exec_lo, exec_lo, s23
	v_lshrrev_b32_sdwa v39, s61, v148 dst_sel:DWORD dst_unused:UNUSED_PAD src0_sel:DWORD src1_sel:BYTE_2
	; wave barrier
	v_and_b32_e32 v40, s62, v39
	v_and_b32_e32 v39, 1, v40
	v_lshlrev_b32_e32 v154, 30, v40
	v_lshlrev_b32_e32 v155, 29, v40
	;; [unrolled: 1-line block ×4, first 2 shown]
	v_add_co_u32 v39, s23, v39, -1
	v_cndmask_b32_e64 v156, 0, 1, s23
	v_not_b32_e32 v160, v154
	v_cmp_gt_i32_e64 s23, 0, v154
	v_not_b32_e32 v154, v155
	v_lshlrev_b32_e32 v159, 26, v40
	v_cmp_ne_u32_e32 vcc_lo, 0, v156
	v_ashrrev_i32_e32 v160, 31, v160
	v_lshlrev_b32_e32 v156, 25, v40
	v_ashrrev_i32_e32 v154, 31, v154
	v_xor_b32_e32 v39, vcc_lo, v39
	v_cmp_gt_i32_e32 vcc_lo, 0, v155
	v_not_b32_e32 v155, v157
	v_xor_b32_e32 v160, s23, v160
	v_cmp_gt_i32_e64 s23, 0, v157
	v_and_b32_e32 v39, exec_lo, v39
	v_not_b32_e32 v157, v158
	v_ashrrev_i32_e32 v155, 31, v155
	v_xor_b32_e32 v154, vcc_lo, v154
	v_cmp_gt_i32_e32 vcc_lo, 0, v158
	v_and_b32_e32 v39, v39, v160
	v_not_b32_e32 v158, v159
	v_ashrrev_i32_e32 v157, 31, v157
	v_xor_b32_e32 v155, s23, v155
	v_cmp_gt_i32_e64 s23, 0, v159
	v_and_b32_e32 v39, v39, v154
	v_not_b32_e32 v154, v156
	v_ashrrev_i32_e32 v158, 31, v158
	v_xor_b32_e32 v157, vcc_lo, v157
	v_cmp_gt_i32_e32 vcc_lo, 0, v156
	v_and_b32_e32 v39, v39, v155
	v_ashrrev_i32_e32 v154, 31, v154
	v_xor_b32_e32 v155, s23, v158
	v_mad_u32_u24 v156, v40, 36, v116
	v_mul_u32_u24_e32 v40, 36, v40
	v_and_b32_e32 v39, v39, v157
	v_xor_b32_e32 v157, vcc_lo, v154
	ds_read_b32 v154, v156 offset:544
	v_and_b32_e32 v39, v39, v155
	; wave barrier
	v_and_b32_e32 v39, v39, v157
	v_add_nc_u32_e32 v157, v116, v40
	v_mbcnt_lo_u32_b32 v155, v39, 0
	v_cmp_ne_u32_e64 s23, 0, v39
	v_cmp_eq_u32_e32 vcc_lo, 0, v155
	s_and_b32 s24, s23, vcc_lo
	s_and_saveexec_b32 s23, s24
	s_cbranch_execz .LBB427_447
; %bb.446:                              ;   in Loop: Header=BB427_418 Depth=2
	s_waitcnt lgkmcnt(0)
	v_bcnt_u32_b32 v39, v39, v154
	ds_write_b32 v157, v39 offset:544
.LBB427_447:                            ;   in Loop: Header=BB427_418 Depth=2
	s_or_b32 exec_lo, exec_lo, s23
	v_lshrrev_b32_e32 v156, 24, v148
	; wave barrier
	v_lshrrev_b32_e32 v39, s61, v156
	v_and_b32_e32 v40, s62, v39
	v_and_b32_e32 v39, 1, v40
	v_lshlrev_b32_e32 v158, 30, v40
	v_lshlrev_b32_e32 v159, 29, v40
	;; [unrolled: 1-line block ×4, first 2 shown]
	v_add_co_u32 v39, s23, v39, -1
	v_cndmask_b32_e64 v160, 0, 1, s23
	v_not_b32_e32 v164, v158
	v_cmp_gt_i32_e64 s23, 0, v158
	v_not_b32_e32 v158, v159
	v_lshlrev_b32_e32 v163, 26, v40
	v_cmp_ne_u32_e32 vcc_lo, 0, v160
	v_ashrrev_i32_e32 v164, 31, v164
	v_lshlrev_b32_e32 v160, 25, v40
	v_ashrrev_i32_e32 v158, 31, v158
	v_xor_b32_e32 v39, vcc_lo, v39
	v_cmp_gt_i32_e32 vcc_lo, 0, v159
	v_not_b32_e32 v159, v161
	v_xor_b32_e32 v164, s23, v164
	v_cmp_gt_i32_e64 s23, 0, v161
	v_and_b32_e32 v39, exec_lo, v39
	v_not_b32_e32 v161, v162
	v_ashrrev_i32_e32 v159, 31, v159
	v_xor_b32_e32 v158, vcc_lo, v158
	v_cmp_gt_i32_e32 vcc_lo, 0, v162
	v_and_b32_e32 v39, v39, v164
	v_not_b32_e32 v162, v163
	v_ashrrev_i32_e32 v161, 31, v161
	v_xor_b32_e32 v159, s23, v159
	v_cmp_gt_i32_e64 s23, 0, v163
	v_and_b32_e32 v39, v39, v158
	v_not_b32_e32 v158, v160
	v_ashrrev_i32_e32 v162, 31, v162
	v_xor_b32_e32 v161, vcc_lo, v161
	v_cmp_gt_i32_e32 vcc_lo, 0, v160
	v_and_b32_e32 v39, v39, v159
	v_ashrrev_i32_e32 v158, 31, v158
	v_xor_b32_e32 v159, s23, v162
	v_mad_u32_u24 v160, v40, 36, v116
	v_mul_u32_u24_e32 v40, 36, v40
	v_and_b32_e32 v39, v39, v161
	v_xor_b32_e32 v161, vcc_lo, v158
	ds_read_b32 v158, v160 offset:544
	v_add_nc_u32_e32 v160, v116, v40
	v_and_b32_e32 v39, v39, v159
	; wave barrier
	v_and_b32_e32 v39, v39, v161
	v_mbcnt_lo_u32_b32 v159, v39, 0
	v_cmp_ne_u32_e64 s23, 0, v39
	v_cmp_eq_u32_e32 vcc_lo, 0, v159
	s_and_b32 s24, s23, vcc_lo
	s_and_saveexec_b32 s23, s24
	s_cbranch_execz .LBB427_449
; %bb.448:                              ;   in Loop: Header=BB427_418 Depth=2
	s_waitcnt lgkmcnt(0)
	v_bcnt_u32_b32 v39, v39, v158
	ds_write_b32 v160, v39 offset:544
.LBB427_449:                            ;   in Loop: Header=BB427_418 Depth=2
	s_or_b32 exec_lo, exec_lo, s23
	v_xor_b32_e32 v39, 0x80, v150
	; wave barrier
	v_and_b32_sdwa v40, v92, v39 dst_sel:DWORD dst_unused:UNUSED_PAD src0_sel:DWORD src1_sel:BYTE_0
	v_lshrrev_b32_e32 v40, s61, v40
	v_and_b32_e32 v162, s62, v40
	v_and_b32_e32 v40, 1, v162
	v_lshlrev_b32_e32 v150, 30, v162
	v_lshlrev_b32_e32 v161, 29, v162
	;; [unrolled: 1-line block ×4, first 2 shown]
	v_add_co_u32 v40, s23, v40, -1
	v_cndmask_b32_e64 v163, 0, 1, s23
	v_not_b32_e32 v167, v150
	v_cmp_gt_i32_e64 s23, 0, v150
	v_not_b32_e32 v150, v161
	v_lshlrev_b32_e32 v166, 26, v162
	v_cmp_ne_u32_e32 vcc_lo, 0, v163
	v_ashrrev_i32_e32 v167, 31, v167
	v_lshlrev_b32_e32 v163, 25, v162
	v_ashrrev_i32_e32 v150, 31, v150
	v_xor_b32_e32 v40, vcc_lo, v40
	v_cmp_gt_i32_e32 vcc_lo, 0, v161
	v_not_b32_e32 v161, v164
	v_xor_b32_e32 v167, s23, v167
	v_cmp_gt_i32_e64 s23, 0, v164
	v_and_b32_e32 v40, exec_lo, v40
	v_not_b32_e32 v164, v165
	v_ashrrev_i32_e32 v161, 31, v161
	v_xor_b32_e32 v150, vcc_lo, v150
	v_cmp_gt_i32_e32 vcc_lo, 0, v165
	v_and_b32_e32 v40, v40, v167
	v_not_b32_e32 v165, v166
	v_ashrrev_i32_e32 v164, 31, v164
	v_xor_b32_e32 v161, s23, v161
	v_cmp_gt_i32_e64 s23, 0, v166
	v_and_b32_e32 v40, v40, v150
	v_not_b32_e32 v150, v163
	v_ashrrev_i32_e32 v165, 31, v165
	v_xor_b32_e32 v164, vcc_lo, v164
	v_cmp_gt_i32_e32 vcc_lo, 0, v163
	v_and_b32_e32 v40, v40, v161
	v_ashrrev_i32_e32 v150, 31, v150
	v_xor_b32_e32 v161, s23, v165
	v_mad_u32_u24 v163, v162, 36, v116
	v_mul_u32_u24_e32 v162, 36, v162
	v_and_b32_e32 v40, v40, v164
	v_xor_b32_e32 v164, vcc_lo, v150
	ds_read_b32 v150, v163 offset:544
	v_add_nc_u32_e32 v162, v116, v162
	v_and_b32_e32 v40, v40, v161
	; wave barrier
	v_and_b32_e32 v40, v40, v164
	v_mbcnt_lo_u32_b32 v161, v40, 0
	v_cmp_ne_u32_e64 s23, 0, v40
	v_cmp_eq_u32_e32 vcc_lo, 0, v161
	s_and_b32 s24, s23, vcc_lo
	s_and_saveexec_b32 s23, s24
	s_cbranch_execz .LBB427_451
; %bb.450:                              ;   in Loop: Header=BB427_418 Depth=2
	s_waitcnt lgkmcnt(0)
	v_bcnt_u32_b32 v40, v40, v150
	ds_write_b32 v162, v40 offset:544
.LBB427_451:                            ;   in Loop: Header=BB427_418 Depth=2
	s_or_b32 exec_lo, exec_lo, s23
	v_xor_b32_sdwa v40, v143, v93 dst_sel:BYTE_1 dst_unused:UNUSED_PAD src0_sel:DWORD src1_sel:DWORD
	v_xor_b32_e32 v144, 0x80, v144
	v_xor_b32_sdwa v145, v145, v93 dst_sel:BYTE_1 dst_unused:UNUSED_PAD src0_sel:DWORD src1_sel:DWORD
	; wave barrier
	v_or_b32_sdwa v143, v39, v40 dst_sel:DWORD dst_unused:UNUSED_PAD src0_sel:BYTE_0 src1_sel:DWORD
	v_or_b32_sdwa v39, v144, v145 dst_sel:WORD_1 dst_unused:UNUSED_PAD src0_sel:BYTE_0 src1_sel:DWORD
	v_or_b32_sdwa v144, v143, v39 dst_sel:DWORD dst_unused:UNUSED_PAD src0_sel:WORD_0 src1_sel:DWORD
	v_lshrrev_b32_sdwa v39, s61, v144 dst_sel:DWORD dst_unused:UNUSED_PAD src0_sel:DWORD src1_sel:BYTE_1
	v_and_b32_e32 v40, s62, v39
	v_and_b32_e32 v39, 1, v40
	v_lshlrev_b32_e32 v145, 30, v40
	v_lshlrev_b32_e32 v163, 29, v40
	;; [unrolled: 1-line block ×4, first 2 shown]
	v_add_co_u32 v39, s23, v39, -1
	v_cndmask_b32_e64 v164, 0, 1, s23
	v_not_b32_e32 v168, v145
	v_cmp_gt_i32_e64 s23, 0, v145
	v_not_b32_e32 v145, v163
	v_lshlrev_b32_e32 v167, 26, v40
	v_cmp_ne_u32_e32 vcc_lo, 0, v164
	v_ashrrev_i32_e32 v168, 31, v168
	v_lshlrev_b32_e32 v164, 25, v40
	v_ashrrev_i32_e32 v145, 31, v145
	v_xor_b32_e32 v39, vcc_lo, v39
	v_cmp_gt_i32_e32 vcc_lo, 0, v163
	v_not_b32_e32 v163, v165
	v_xor_b32_e32 v168, s23, v168
	v_cmp_gt_i32_e64 s23, 0, v165
	v_and_b32_e32 v39, exec_lo, v39
	v_not_b32_e32 v165, v166
	v_ashrrev_i32_e32 v163, 31, v163
	v_xor_b32_e32 v145, vcc_lo, v145
	v_cmp_gt_i32_e32 vcc_lo, 0, v166
	v_and_b32_e32 v39, v39, v168
	v_not_b32_e32 v166, v167
	v_ashrrev_i32_e32 v165, 31, v165
	v_xor_b32_e32 v163, s23, v163
	v_cmp_gt_i32_e64 s23, 0, v167
	v_and_b32_e32 v39, v39, v145
	v_not_b32_e32 v145, v164
	v_ashrrev_i32_e32 v166, 31, v166
	v_xor_b32_e32 v165, vcc_lo, v165
	v_cmp_gt_i32_e32 vcc_lo, 0, v164
	v_and_b32_e32 v39, v39, v163
	v_ashrrev_i32_e32 v145, 31, v145
	v_xor_b32_e32 v163, s23, v166
	v_mad_u32_u24 v164, v40, 36, v116
	v_mul_u32_u24_e32 v40, 36, v40
	v_and_b32_e32 v39, v39, v165
	v_xor_b32_e32 v165, vcc_lo, v145
	ds_read_b32 v145, v164 offset:544
	v_add_nc_u32_e32 v164, v116, v40
	v_and_b32_e32 v39, v39, v163
	; wave barrier
	v_and_b32_e32 v39, v39, v165
	v_mbcnt_lo_u32_b32 v163, v39, 0
	v_cmp_ne_u32_e64 s23, 0, v39
	v_cmp_eq_u32_e32 vcc_lo, 0, v163
	s_and_b32 s24, s23, vcc_lo
	s_and_saveexec_b32 s23, s24
	s_cbranch_execz .LBB427_453
; %bb.452:                              ;   in Loop: Header=BB427_418 Depth=2
	s_waitcnt lgkmcnt(0)
	v_bcnt_u32_b32 v39, v39, v145
	ds_write_b32 v164, v39 offset:544
.LBB427_453:                            ;   in Loop: Header=BB427_418 Depth=2
	s_or_b32 exec_lo, exec_lo, s23
	v_lshrrev_b32_sdwa v39, s61, v144 dst_sel:DWORD dst_unused:UNUSED_PAD src0_sel:DWORD src1_sel:BYTE_2
	; wave barrier
	v_and_b32_e32 v40, s62, v39
	v_and_b32_e32 v39, 1, v40
	v_lshlrev_b32_e32 v165, 30, v40
	v_lshlrev_b32_e32 v166, 29, v40
	;; [unrolled: 1-line block ×4, first 2 shown]
	v_add_co_u32 v39, s23, v39, -1
	v_cndmask_b32_e64 v167, 0, 1, s23
	v_not_b32_e32 v171, v165
	v_cmp_gt_i32_e64 s23, 0, v165
	v_not_b32_e32 v165, v166
	v_lshlrev_b32_e32 v170, 26, v40
	v_cmp_ne_u32_e32 vcc_lo, 0, v167
	v_ashrrev_i32_e32 v171, 31, v171
	v_lshlrev_b32_e32 v167, 25, v40
	v_ashrrev_i32_e32 v165, 31, v165
	v_xor_b32_e32 v39, vcc_lo, v39
	v_cmp_gt_i32_e32 vcc_lo, 0, v166
	v_not_b32_e32 v166, v168
	v_xor_b32_e32 v171, s23, v171
	v_cmp_gt_i32_e64 s23, 0, v168
	v_and_b32_e32 v39, exec_lo, v39
	v_not_b32_e32 v168, v169
	v_ashrrev_i32_e32 v166, 31, v166
	v_xor_b32_e32 v165, vcc_lo, v165
	v_cmp_gt_i32_e32 vcc_lo, 0, v169
	v_and_b32_e32 v39, v39, v171
	v_not_b32_e32 v169, v170
	v_ashrrev_i32_e32 v168, 31, v168
	v_xor_b32_e32 v166, s23, v166
	v_cmp_gt_i32_e64 s23, 0, v170
	v_and_b32_e32 v39, v39, v165
	v_not_b32_e32 v165, v167
	v_ashrrev_i32_e32 v169, 31, v169
	v_xor_b32_e32 v168, vcc_lo, v168
	v_cmp_gt_i32_e32 vcc_lo, 0, v167
	v_and_b32_e32 v39, v39, v166
	v_ashrrev_i32_e32 v165, 31, v165
	v_xor_b32_e32 v166, s23, v169
	v_mad_u32_u24 v167, v40, 36, v116
	v_mul_u32_u24_e32 v40, 36, v40
	v_and_b32_e32 v39, v39, v168
	v_xor_b32_e32 v168, vcc_lo, v165
	ds_read_b32 v165, v167 offset:544
	v_and_b32_e32 v39, v39, v166
	; wave barrier
	v_and_b32_e32 v39, v39, v168
	v_add_nc_u32_e32 v168, v116, v40
	v_mbcnt_lo_u32_b32 v166, v39, 0
	v_cmp_ne_u32_e64 s23, 0, v39
	v_cmp_eq_u32_e32 vcc_lo, 0, v166
	s_and_b32 s24, s23, vcc_lo
	s_and_saveexec_b32 s23, s24
	s_cbranch_execz .LBB427_455
; %bb.454:                              ;   in Loop: Header=BB427_418 Depth=2
	s_waitcnt lgkmcnt(0)
	v_bcnt_u32_b32 v39, v39, v165
	ds_write_b32 v168, v39 offset:544
.LBB427_455:                            ;   in Loop: Header=BB427_418 Depth=2
	s_or_b32 exec_lo, exec_lo, s23
	v_lshrrev_b32_e32 v167, 24, v144
	; wave barrier
	v_lshrrev_b32_e32 v39, s61, v167
	v_and_b32_e32 v40, s62, v39
	v_and_b32_e32 v39, 1, v40
	v_lshlrev_b32_e32 v169, 30, v40
	v_lshlrev_b32_e32 v170, 29, v40
	;; [unrolled: 1-line block ×4, first 2 shown]
	v_add_co_u32 v39, s23, v39, -1
	v_cndmask_b32_e64 v171, 0, 1, s23
	v_not_b32_e32 v175, v169
	v_cmp_gt_i32_e64 s23, 0, v169
	v_not_b32_e32 v169, v170
	v_lshlrev_b32_e32 v174, 26, v40
	v_cmp_ne_u32_e32 vcc_lo, 0, v171
	v_ashrrev_i32_e32 v175, 31, v175
	v_lshlrev_b32_e32 v171, 25, v40
	v_ashrrev_i32_e32 v169, 31, v169
	v_xor_b32_e32 v39, vcc_lo, v39
	v_cmp_gt_i32_e32 vcc_lo, 0, v170
	v_not_b32_e32 v170, v172
	v_xor_b32_e32 v175, s23, v175
	v_cmp_gt_i32_e64 s23, 0, v172
	v_and_b32_e32 v39, exec_lo, v39
	v_not_b32_e32 v172, v173
	v_ashrrev_i32_e32 v170, 31, v170
	v_xor_b32_e32 v169, vcc_lo, v169
	v_cmp_gt_i32_e32 vcc_lo, 0, v173
	v_and_b32_e32 v39, v39, v175
	v_not_b32_e32 v173, v174
	v_ashrrev_i32_e32 v172, 31, v172
	v_xor_b32_e32 v170, s23, v170
	v_cmp_gt_i32_e64 s23, 0, v174
	v_and_b32_e32 v39, v39, v169
	v_not_b32_e32 v169, v171
	v_ashrrev_i32_e32 v173, 31, v173
	v_xor_b32_e32 v172, vcc_lo, v172
	v_cmp_gt_i32_e32 vcc_lo, 0, v171
	v_and_b32_e32 v39, v39, v170
	v_ashrrev_i32_e32 v169, 31, v169
	v_xor_b32_e32 v170, s23, v173
	v_mad_u32_u24 v171, v40, 36, v116
	v_mul_u32_u24_e32 v40, 36, v40
	v_and_b32_e32 v39, v39, v172
	v_xor_b32_e32 v172, vcc_lo, v169
	ds_read_b32 v169, v171 offset:544
	v_add_nc_u32_e32 v171, v116, v40
	v_and_b32_e32 v39, v39, v170
	; wave barrier
	v_and_b32_e32 v39, v39, v172
	v_mbcnt_lo_u32_b32 v170, v39, 0
	v_cmp_ne_u32_e64 s23, 0, v39
	v_cmp_eq_u32_e32 vcc_lo, 0, v170
	s_and_b32 s24, s23, vcc_lo
	s_and_saveexec_b32 s23, s24
	s_cbranch_execz .LBB427_457
; %bb.456:                              ;   in Loop: Header=BB427_418 Depth=2
	s_waitcnt lgkmcnt(0)
	v_bcnt_u32_b32 v39, v39, v169
	ds_write_b32 v171, v39 offset:544
.LBB427_457:                            ;   in Loop: Header=BB427_418 Depth=2
	s_or_b32 exec_lo, exec_lo, s23
	v_xor_b32_e32 v39, 0x80, v142
	; wave barrier
	v_and_b32_sdwa v40, v92, v39 dst_sel:DWORD dst_unused:UNUSED_PAD src0_sel:DWORD src1_sel:BYTE_0
	v_lshrrev_b32_e32 v40, s61, v40
	v_and_b32_e32 v173, s62, v40
	v_and_b32_e32 v40, 1, v173
	v_lshlrev_b32_e32 v142, 30, v173
	v_lshlrev_b32_e32 v172, 29, v173
	;; [unrolled: 1-line block ×4, first 2 shown]
	v_add_co_u32 v40, s23, v40, -1
	v_cndmask_b32_e64 v174, 0, 1, s23
	v_not_b32_e32 v178, v142
	v_cmp_gt_i32_e64 s23, 0, v142
	v_not_b32_e32 v142, v172
	v_lshlrev_b32_e32 v177, 26, v173
	v_cmp_ne_u32_e32 vcc_lo, 0, v174
	v_ashrrev_i32_e32 v178, 31, v178
	v_lshlrev_b32_e32 v174, 25, v173
	v_ashrrev_i32_e32 v142, 31, v142
	v_xor_b32_e32 v40, vcc_lo, v40
	v_cmp_gt_i32_e32 vcc_lo, 0, v172
	v_not_b32_e32 v172, v175
	v_xor_b32_e32 v178, s23, v178
	v_cmp_gt_i32_e64 s23, 0, v175
	v_and_b32_e32 v40, exec_lo, v40
	v_not_b32_e32 v175, v176
	v_ashrrev_i32_e32 v172, 31, v172
	v_xor_b32_e32 v142, vcc_lo, v142
	v_cmp_gt_i32_e32 vcc_lo, 0, v176
	v_and_b32_e32 v40, v40, v178
	v_not_b32_e32 v176, v177
	v_ashrrev_i32_e32 v175, 31, v175
	v_xor_b32_e32 v172, s23, v172
	v_cmp_gt_i32_e64 s23, 0, v177
	v_and_b32_e32 v40, v40, v142
	v_not_b32_e32 v142, v174
	v_ashrrev_i32_e32 v176, 31, v176
	v_xor_b32_e32 v175, vcc_lo, v175
	v_cmp_gt_i32_e32 vcc_lo, 0, v174
	v_and_b32_e32 v40, v40, v172
	v_ashrrev_i32_e32 v142, 31, v142
	v_xor_b32_e32 v172, s23, v176
	v_mad_u32_u24 v174, v173, 36, v116
	v_mul_u32_u24_e32 v173, 36, v173
	v_and_b32_e32 v40, v40, v175
	v_xor_b32_e32 v175, vcc_lo, v142
	ds_read_b32 v142, v174 offset:544
	v_add_nc_u32_e32 v173, v116, v173
	v_and_b32_e32 v40, v40, v172
	; wave barrier
	v_and_b32_e32 v40, v40, v175
	v_mbcnt_lo_u32_b32 v172, v40, 0
	v_cmp_ne_u32_e64 s23, 0, v40
	v_cmp_eq_u32_e32 vcc_lo, 0, v172
	s_and_b32 s24, s23, vcc_lo
	s_and_saveexec_b32 s23, s24
	s_cbranch_execz .LBB427_459
; %bb.458:                              ;   in Loop: Header=BB427_418 Depth=2
	s_waitcnt lgkmcnt(0)
	v_bcnt_u32_b32 v40, v40, v142
	ds_write_b32 v173, v40 offset:544
.LBB427_459:                            ;   in Loop: Header=BB427_418 Depth=2
	s_or_b32 exec_lo, exec_lo, s23
	v_xor_b32_sdwa v40, v139, v93 dst_sel:BYTE_1 dst_unused:UNUSED_PAD src0_sel:DWORD src1_sel:DWORD
	v_xor_b32_e32 v140, 0x80, v140
	v_xor_b32_sdwa v141, v141, v93 dst_sel:BYTE_1 dst_unused:UNUSED_PAD src0_sel:DWORD src1_sel:DWORD
	; wave barrier
	v_or_b32_sdwa v139, v39, v40 dst_sel:DWORD dst_unused:UNUSED_PAD src0_sel:BYTE_0 src1_sel:DWORD
	v_or_b32_sdwa v39, v140, v141 dst_sel:WORD_1 dst_unused:UNUSED_PAD src0_sel:BYTE_0 src1_sel:DWORD
	v_or_b32_sdwa v140, v139, v39 dst_sel:DWORD dst_unused:UNUSED_PAD src0_sel:WORD_0 src1_sel:DWORD
	v_lshrrev_b32_sdwa v39, s61, v140 dst_sel:DWORD dst_unused:UNUSED_PAD src0_sel:DWORD src1_sel:BYTE_1
	v_and_b32_e32 v40, s62, v39
	v_and_b32_e32 v39, 1, v40
	v_lshlrev_b32_e32 v141, 30, v40
	v_lshlrev_b32_e32 v174, 29, v40
	;; [unrolled: 1-line block ×4, first 2 shown]
	v_add_co_u32 v39, s23, v39, -1
	v_cndmask_b32_e64 v175, 0, 1, s23
	v_not_b32_e32 v179, v141
	v_cmp_gt_i32_e64 s23, 0, v141
	v_not_b32_e32 v141, v174
	v_lshlrev_b32_e32 v178, 26, v40
	v_cmp_ne_u32_e32 vcc_lo, 0, v175
	v_ashrrev_i32_e32 v179, 31, v179
	v_lshlrev_b32_e32 v175, 25, v40
	v_ashrrev_i32_e32 v141, 31, v141
	v_xor_b32_e32 v39, vcc_lo, v39
	v_cmp_gt_i32_e32 vcc_lo, 0, v174
	v_not_b32_e32 v174, v176
	v_xor_b32_e32 v179, s23, v179
	v_cmp_gt_i32_e64 s23, 0, v176
	v_and_b32_e32 v39, exec_lo, v39
	v_not_b32_e32 v176, v177
	v_ashrrev_i32_e32 v174, 31, v174
	v_xor_b32_e32 v141, vcc_lo, v141
	v_cmp_gt_i32_e32 vcc_lo, 0, v177
	v_and_b32_e32 v39, v39, v179
	v_not_b32_e32 v177, v178
	v_ashrrev_i32_e32 v176, 31, v176
	v_xor_b32_e32 v174, s23, v174
	v_cmp_gt_i32_e64 s23, 0, v178
	v_and_b32_e32 v39, v39, v141
	v_not_b32_e32 v141, v175
	v_ashrrev_i32_e32 v177, 31, v177
	v_xor_b32_e32 v176, vcc_lo, v176
	v_cmp_gt_i32_e32 vcc_lo, 0, v175
	v_and_b32_e32 v39, v39, v174
	v_ashrrev_i32_e32 v141, 31, v141
	v_xor_b32_e32 v174, s23, v177
	v_mad_u32_u24 v175, v40, 36, v116
	v_mul_u32_u24_e32 v40, 36, v40
	v_and_b32_e32 v39, v39, v176
	v_xor_b32_e32 v176, vcc_lo, v141
	ds_read_b32 v141, v175 offset:544
	v_add_nc_u32_e32 v175, v116, v40
	v_and_b32_e32 v39, v39, v174
	; wave barrier
	v_and_b32_e32 v39, v39, v176
	v_mbcnt_lo_u32_b32 v174, v39, 0
	v_cmp_ne_u32_e64 s23, 0, v39
	v_cmp_eq_u32_e32 vcc_lo, 0, v174
	s_and_b32 s24, s23, vcc_lo
	s_and_saveexec_b32 s23, s24
	s_cbranch_execz .LBB427_461
; %bb.460:                              ;   in Loop: Header=BB427_418 Depth=2
	s_waitcnt lgkmcnt(0)
	v_bcnt_u32_b32 v39, v39, v141
	ds_write_b32 v175, v39 offset:544
.LBB427_461:                            ;   in Loop: Header=BB427_418 Depth=2
	s_or_b32 exec_lo, exec_lo, s23
	v_lshrrev_b32_sdwa v39, s61, v140 dst_sel:DWORD dst_unused:UNUSED_PAD src0_sel:DWORD src1_sel:BYTE_2
	; wave barrier
	v_and_b32_e32 v40, s62, v39
	v_and_b32_e32 v39, 1, v40
	v_lshlrev_b32_e32 v176, 30, v40
	v_lshlrev_b32_e32 v177, 29, v40
	;; [unrolled: 1-line block ×4, first 2 shown]
	v_add_co_u32 v39, s23, v39, -1
	v_cndmask_b32_e64 v178, 0, 1, s23
	v_not_b32_e32 v182, v176
	v_cmp_gt_i32_e64 s23, 0, v176
	v_not_b32_e32 v176, v177
	v_lshlrev_b32_e32 v181, 26, v40
	v_cmp_ne_u32_e32 vcc_lo, 0, v178
	v_ashrrev_i32_e32 v182, 31, v182
	v_lshlrev_b32_e32 v178, 25, v40
	v_ashrrev_i32_e32 v176, 31, v176
	v_xor_b32_e32 v39, vcc_lo, v39
	v_cmp_gt_i32_e32 vcc_lo, 0, v177
	v_not_b32_e32 v177, v179
	v_xor_b32_e32 v182, s23, v182
	v_cmp_gt_i32_e64 s23, 0, v179
	v_and_b32_e32 v39, exec_lo, v39
	v_not_b32_e32 v179, v180
	v_ashrrev_i32_e32 v177, 31, v177
	v_xor_b32_e32 v176, vcc_lo, v176
	v_cmp_gt_i32_e32 vcc_lo, 0, v180
	v_and_b32_e32 v39, v39, v182
	v_not_b32_e32 v180, v181
	v_ashrrev_i32_e32 v179, 31, v179
	v_xor_b32_e32 v177, s23, v177
	v_cmp_gt_i32_e64 s23, 0, v181
	v_and_b32_e32 v39, v39, v176
	v_not_b32_e32 v176, v178
	v_ashrrev_i32_e32 v180, 31, v180
	v_xor_b32_e32 v179, vcc_lo, v179
	v_cmp_gt_i32_e32 vcc_lo, 0, v178
	v_and_b32_e32 v39, v39, v177
	v_ashrrev_i32_e32 v176, 31, v176
	v_xor_b32_e32 v177, s23, v180
	v_mad_u32_u24 v178, v40, 36, v116
	v_mul_u32_u24_e32 v40, 36, v40
	v_and_b32_e32 v39, v39, v179
	v_xor_b32_e32 v179, vcc_lo, v176
	ds_read_b32 v176, v178 offset:544
	v_and_b32_e32 v39, v39, v177
	; wave barrier
	v_and_b32_e32 v39, v39, v179
	v_add_nc_u32_e32 v179, v116, v40
	v_mbcnt_lo_u32_b32 v177, v39, 0
	v_cmp_ne_u32_e64 s23, 0, v39
	v_cmp_eq_u32_e32 vcc_lo, 0, v177
	s_and_b32 s24, s23, vcc_lo
	s_and_saveexec_b32 s23, s24
	s_cbranch_execz .LBB427_463
; %bb.462:                              ;   in Loop: Header=BB427_418 Depth=2
	s_waitcnt lgkmcnt(0)
	v_bcnt_u32_b32 v39, v39, v176
	ds_write_b32 v179, v39 offset:544
.LBB427_463:                            ;   in Loop: Header=BB427_418 Depth=2
	s_or_b32 exec_lo, exec_lo, s23
	v_lshrrev_b32_e32 v178, 24, v140
	; wave barrier
	v_lshrrev_b32_e32 v39, s61, v178
	v_and_b32_e32 v40, s62, v39
	v_and_b32_e32 v39, 1, v40
	v_lshlrev_b32_e32 v180, 30, v40
	v_lshlrev_b32_e32 v181, 29, v40
	;; [unrolled: 1-line block ×4, first 2 shown]
	v_add_co_u32 v39, s23, v39, -1
	v_cndmask_b32_e64 v182, 0, 1, s23
	v_not_b32_e32 v186, v180
	v_cmp_gt_i32_e64 s23, 0, v180
	v_not_b32_e32 v180, v181
	v_lshlrev_b32_e32 v185, 26, v40
	v_cmp_ne_u32_e32 vcc_lo, 0, v182
	v_ashrrev_i32_e32 v186, 31, v186
	v_lshlrev_b32_e32 v182, 25, v40
	v_ashrrev_i32_e32 v180, 31, v180
	v_xor_b32_e32 v39, vcc_lo, v39
	v_cmp_gt_i32_e32 vcc_lo, 0, v181
	v_not_b32_e32 v181, v183
	v_xor_b32_e32 v186, s23, v186
	v_cmp_gt_i32_e64 s23, 0, v183
	v_and_b32_e32 v39, exec_lo, v39
	v_not_b32_e32 v183, v184
	v_ashrrev_i32_e32 v181, 31, v181
	v_xor_b32_e32 v180, vcc_lo, v180
	v_cmp_gt_i32_e32 vcc_lo, 0, v184
	v_and_b32_e32 v39, v39, v186
	v_not_b32_e32 v184, v185
	v_ashrrev_i32_e32 v183, 31, v183
	v_xor_b32_e32 v181, s23, v181
	v_cmp_gt_i32_e64 s23, 0, v185
	v_and_b32_e32 v39, v39, v180
	v_not_b32_e32 v180, v182
	v_ashrrev_i32_e32 v184, 31, v184
	v_xor_b32_e32 v183, vcc_lo, v183
	v_cmp_gt_i32_e32 vcc_lo, 0, v182
	v_and_b32_e32 v39, v39, v181
	v_ashrrev_i32_e32 v180, 31, v180
	v_xor_b32_e32 v181, s23, v184
	v_mad_u32_u24 v182, v40, 36, v116
	v_mul_u32_u24_e32 v40, 36, v40
	v_and_b32_e32 v39, v39, v183
	v_xor_b32_e32 v183, vcc_lo, v180
	ds_read_b32 v180, v182 offset:544
	v_add_nc_u32_e32 v182, v116, v40
	v_and_b32_e32 v39, v39, v181
	; wave barrier
	v_and_b32_e32 v39, v39, v183
	v_mbcnt_lo_u32_b32 v181, v39, 0
	v_cmp_ne_u32_e64 s23, 0, v39
	v_cmp_eq_u32_e32 vcc_lo, 0, v181
	s_and_b32 s24, s23, vcc_lo
	s_and_saveexec_b32 s23, s24
	s_cbranch_execz .LBB427_465
; %bb.464:                              ;   in Loop: Header=BB427_418 Depth=2
	s_waitcnt lgkmcnt(0)
	v_bcnt_u32_b32 v39, v39, v180
	ds_write_b32 v182, v39 offset:544
.LBB427_465:                            ;   in Loop: Header=BB427_418 Depth=2
	s_or_b32 exec_lo, exec_lo, s23
	v_xor_b32_e32 v39, 0x80, v137
	; wave barrier
	v_and_b32_sdwa v40, v92, v39 dst_sel:DWORD dst_unused:UNUSED_PAD src0_sel:DWORD src1_sel:BYTE_0
	v_lshrrev_b32_e32 v40, s61, v40
	v_and_b32_e32 v184, s62, v40
	v_and_b32_e32 v40, 1, v184
	v_lshlrev_b32_e32 v137, 30, v184
	v_lshlrev_b32_e32 v183, 29, v184
	;; [unrolled: 1-line block ×4, first 2 shown]
	v_add_co_u32 v40, s23, v40, -1
	v_cndmask_b32_e64 v185, 0, 1, s23
	v_not_b32_e32 v189, v137
	v_cmp_gt_i32_e64 s23, 0, v137
	v_not_b32_e32 v137, v183
	v_lshlrev_b32_e32 v188, 26, v184
	v_cmp_ne_u32_e32 vcc_lo, 0, v185
	v_ashrrev_i32_e32 v189, 31, v189
	v_lshlrev_b32_e32 v185, 25, v184
	v_ashrrev_i32_e32 v137, 31, v137
	v_xor_b32_e32 v40, vcc_lo, v40
	v_cmp_gt_i32_e32 vcc_lo, 0, v183
	v_not_b32_e32 v183, v186
	v_xor_b32_e32 v189, s23, v189
	v_cmp_gt_i32_e64 s23, 0, v186
	v_and_b32_e32 v40, exec_lo, v40
	v_not_b32_e32 v186, v187
	v_ashrrev_i32_e32 v183, 31, v183
	v_xor_b32_e32 v137, vcc_lo, v137
	v_cmp_gt_i32_e32 vcc_lo, 0, v187
	v_and_b32_e32 v40, v40, v189
	v_not_b32_e32 v187, v188
	v_ashrrev_i32_e32 v186, 31, v186
	v_xor_b32_e32 v183, s23, v183
	v_cmp_gt_i32_e64 s23, 0, v188
	v_and_b32_e32 v40, v40, v137
	v_not_b32_e32 v137, v185
	v_ashrrev_i32_e32 v187, 31, v187
	v_xor_b32_e32 v186, vcc_lo, v186
	v_cmp_gt_i32_e32 vcc_lo, 0, v185
	v_and_b32_e32 v40, v40, v183
	v_ashrrev_i32_e32 v137, 31, v137
	v_xor_b32_e32 v183, s23, v187
	v_mad_u32_u24 v185, v184, 36, v116
	v_mul_u32_u24_e32 v184, 36, v184
	v_and_b32_e32 v40, v40, v186
	v_xor_b32_e32 v186, vcc_lo, v137
	ds_read_b32 v137, v185 offset:544
	v_add_nc_u32_e32 v185, v116, v184
	v_and_b32_e32 v40, v40, v183
	; wave barrier
	v_and_b32_e32 v40, v40, v186
	v_mbcnt_lo_u32_b32 v183, v40, 0
	v_cmp_ne_u32_e64 s23, 0, v40
	v_cmp_eq_u32_e32 vcc_lo, 0, v183
	s_and_b32 s24, s23, vcc_lo
	s_and_saveexec_b32 s23, s24
	s_cbranch_execz .LBB427_467
; %bb.466:                              ;   in Loop: Header=BB427_418 Depth=2
	s_waitcnt lgkmcnt(0)
	v_bcnt_u32_b32 v40, v40, v137
	ds_write_b32 v185, v40 offset:544
.LBB427_467:                            ;   in Loop: Header=BB427_418 Depth=2
	s_or_b32 exec_lo, exec_lo, s23
	v_xor_b32_sdwa v3, v3, v93 dst_sel:BYTE_1 dst_unused:UNUSED_PAD src0_sel:DWORD src1_sel:DWORD
	v_xor_b32_e32 v40, 0x80, v41
	v_xor_b32_sdwa v41, v42, v93 dst_sel:BYTE_1 dst_unused:UNUSED_PAD src0_sel:DWORD src1_sel:DWORD
	; wave barrier
	v_or_b32_sdwa v184, v39, v3 dst_sel:DWORD dst_unused:UNUSED_PAD src0_sel:BYTE_0 src1_sel:DWORD
	v_or_b32_sdwa v3, v40, v41 dst_sel:WORD_1 dst_unused:UNUSED_PAD src0_sel:BYTE_0 src1_sel:DWORD
	v_or_b32_sdwa v3, v184, v3 dst_sel:DWORD dst_unused:UNUSED_PAD src0_sel:WORD_0 src1_sel:DWORD
	v_lshrrev_b32_sdwa v39, s61, v3 dst_sel:DWORD dst_unused:UNUSED_PAD src0_sel:DWORD src1_sel:BYTE_1
	v_and_b32_e32 v40, s62, v39
	v_and_b32_e32 v39, 1, v40
	v_lshlrev_b32_e32 v41, 30, v40
	v_lshlrev_b32_e32 v42, 29, v40
	;; [unrolled: 1-line block ×4, first 2 shown]
	v_add_co_u32 v39, s23, v39, -1
	v_cndmask_b32_e64 v186, 0, 1, s23
	v_not_b32_e32 v190, v41
	v_cmp_gt_i32_e64 s23, 0, v41
	v_not_b32_e32 v41, v42
	v_lshlrev_b32_e32 v189, 26, v40
	v_cmp_ne_u32_e32 vcc_lo, 0, v186
	v_ashrrev_i32_e32 v190, 31, v190
	v_lshlrev_b32_e32 v186, 25, v40
	v_ashrrev_i32_e32 v41, 31, v41
	v_xor_b32_e32 v39, vcc_lo, v39
	v_cmp_gt_i32_e32 vcc_lo, 0, v42
	v_not_b32_e32 v42, v187
	v_xor_b32_e32 v190, s23, v190
	v_cmp_gt_i32_e64 s23, 0, v187
	v_and_b32_e32 v39, exec_lo, v39
	v_not_b32_e32 v187, v188
	v_ashrrev_i32_e32 v42, 31, v42
	v_xor_b32_e32 v41, vcc_lo, v41
	v_cmp_gt_i32_e32 vcc_lo, 0, v188
	v_and_b32_e32 v39, v39, v190
	v_not_b32_e32 v188, v189
	v_ashrrev_i32_e32 v187, 31, v187
	v_xor_b32_e32 v42, s23, v42
	v_cmp_gt_i32_e64 s23, 0, v189
	v_and_b32_e32 v39, v39, v41
	v_not_b32_e32 v41, v186
	v_ashrrev_i32_e32 v188, 31, v188
	v_xor_b32_e32 v187, vcc_lo, v187
	v_cmp_gt_i32_e32 vcc_lo, 0, v186
	v_and_b32_e32 v39, v39, v42
	v_ashrrev_i32_e32 v41, 31, v41
	v_xor_b32_e32 v42, s23, v188
	v_mad_u32_u24 v186, v40, 36, v116
	v_mul_u32_u24_e32 v40, 36, v40
	v_and_b32_e32 v39, v39, v187
	v_xor_b32_e32 v41, vcc_lo, v41
	ds_read_b32 v186, v186 offset:544
	v_add_nc_u32_e32 v188, v116, v40
	v_and_b32_e32 v39, v39, v42
	; wave barrier
	v_and_b32_e32 v39, v39, v41
	v_mbcnt_lo_u32_b32 v187, v39, 0
	v_cmp_ne_u32_e64 s23, 0, v39
	v_cmp_eq_u32_e32 vcc_lo, 0, v187
	s_and_b32 s24, s23, vcc_lo
	s_and_saveexec_b32 s23, s24
	s_cbranch_execz .LBB427_469
; %bb.468:                              ;   in Loop: Header=BB427_418 Depth=2
	s_waitcnt lgkmcnt(0)
	v_bcnt_u32_b32 v39, v39, v186
	ds_write_b32 v188, v39 offset:544
.LBB427_469:                            ;   in Loop: Header=BB427_418 Depth=2
	s_or_b32 exec_lo, exec_lo, s23
	v_lshrrev_b32_sdwa v39, s61, v3 dst_sel:DWORD dst_unused:UNUSED_PAD src0_sel:DWORD src1_sel:BYTE_2
	; wave barrier
	v_and_b32_e32 v40, s62, v39
	v_and_b32_e32 v39, 1, v40
	v_lshlrev_b32_e32 v41, 30, v40
	v_lshlrev_b32_e32 v42, 29, v40
	;; [unrolled: 1-line block ×4, first 2 shown]
	v_add_co_u32 v39, s23, v39, -1
	v_cndmask_b32_e64 v189, 0, 1, s23
	v_not_b32_e32 v193, v41
	v_cmp_gt_i32_e64 s23, 0, v41
	v_not_b32_e32 v41, v42
	v_lshlrev_b32_e32 v192, 26, v40
	v_cmp_ne_u32_e32 vcc_lo, 0, v189
	v_ashrrev_i32_e32 v193, 31, v193
	v_lshlrev_b32_e32 v189, 25, v40
	v_ashrrev_i32_e32 v41, 31, v41
	v_xor_b32_e32 v39, vcc_lo, v39
	v_cmp_gt_i32_e32 vcc_lo, 0, v42
	v_not_b32_e32 v42, v190
	v_xor_b32_e32 v193, s23, v193
	v_cmp_gt_i32_e64 s23, 0, v190
	v_and_b32_e32 v39, exec_lo, v39
	v_not_b32_e32 v190, v191
	v_ashrrev_i32_e32 v42, 31, v42
	v_xor_b32_e32 v41, vcc_lo, v41
	v_cmp_gt_i32_e32 vcc_lo, 0, v191
	v_and_b32_e32 v39, v39, v193
	v_not_b32_e32 v191, v192
	v_ashrrev_i32_e32 v190, 31, v190
	v_xor_b32_e32 v42, s23, v42
	v_cmp_gt_i32_e64 s23, 0, v192
	v_and_b32_e32 v39, v39, v41
	v_not_b32_e32 v41, v189
	v_ashrrev_i32_e32 v191, 31, v191
	v_xor_b32_e32 v190, vcc_lo, v190
	v_cmp_gt_i32_e32 vcc_lo, 0, v189
	v_and_b32_e32 v39, v39, v42
	v_ashrrev_i32_e32 v41, 31, v41
	v_xor_b32_e32 v42, s23, v191
	v_mad_u32_u24 v189, v40, 36, v116
	v_mul_u32_u24_e32 v40, 36, v40
	v_and_b32_e32 v39, v39, v190
	v_xor_b32_e32 v41, vcc_lo, v41
	ds_read_b32 v189, v189 offset:544
	v_add_nc_u32_e32 v192, v116, v40
	v_and_b32_e32 v39, v39, v42
	; wave barrier
	v_and_b32_e32 v39, v39, v41
	v_mbcnt_lo_u32_b32 v190, v39, 0
	v_cmp_ne_u32_e64 s23, 0, v39
	v_cmp_eq_u32_e32 vcc_lo, 0, v190
	s_and_b32 s24, s23, vcc_lo
	s_and_saveexec_b32 s23, s24
	s_cbranch_execz .LBB427_471
; %bb.470:                              ;   in Loop: Header=BB427_418 Depth=2
	s_waitcnt lgkmcnt(0)
	v_bcnt_u32_b32 v39, v39, v189
	ds_write_b32 v192, v39 offset:544
.LBB427_471:                            ;   in Loop: Header=BB427_418 Depth=2
	s_or_b32 exec_lo, exec_lo, s23
	v_lshrrev_b32_e32 v191, 24, v3
	; wave barrier
	v_lshrrev_b32_e32 v39, s61, v191
	v_and_b32_e32 v40, s62, v39
	v_and_b32_e32 v39, 1, v40
	v_lshlrev_b32_e32 v41, 30, v40
	v_lshlrev_b32_e32 v42, 29, v40
	;; [unrolled: 1-line block ×4, first 2 shown]
	v_add_co_u32 v39, s23, v39, -1
	v_cndmask_b32_e64 v193, 0, 1, s23
	v_not_b32_e32 v197, v41
	v_cmp_gt_i32_e64 s23, 0, v41
	v_not_b32_e32 v41, v42
	v_lshlrev_b32_e32 v196, 26, v40
	v_cmp_ne_u32_e32 vcc_lo, 0, v193
	v_ashrrev_i32_e32 v197, 31, v197
	v_lshlrev_b32_e32 v193, 25, v40
	v_ashrrev_i32_e32 v41, 31, v41
	v_xor_b32_e32 v39, vcc_lo, v39
	v_cmp_gt_i32_e32 vcc_lo, 0, v42
	v_not_b32_e32 v42, v194
	v_xor_b32_e32 v197, s23, v197
	v_cmp_gt_i32_e64 s23, 0, v194
	v_and_b32_e32 v39, exec_lo, v39
	v_not_b32_e32 v194, v195
	v_ashrrev_i32_e32 v42, 31, v42
	v_xor_b32_e32 v41, vcc_lo, v41
	v_cmp_gt_i32_e32 vcc_lo, 0, v195
	v_and_b32_e32 v39, v39, v197
	v_not_b32_e32 v195, v196
	v_ashrrev_i32_e32 v194, 31, v194
	v_xor_b32_e32 v42, s23, v42
	v_cmp_gt_i32_e64 s23, 0, v196
	v_and_b32_e32 v39, v39, v41
	v_not_b32_e32 v41, v193
	v_ashrrev_i32_e32 v195, 31, v195
	v_xor_b32_e32 v194, vcc_lo, v194
	v_cmp_gt_i32_e32 vcc_lo, 0, v193
	v_and_b32_e32 v39, v39, v42
	v_ashrrev_i32_e32 v41, 31, v41
	v_xor_b32_e32 v42, s23, v195
	v_mad_u32_u24 v193, v40, 36, v116
	v_mul_u32_u24_e32 v40, 36, v40
	v_and_b32_e32 v39, v39, v194
	v_xor_b32_e32 v41, vcc_lo, v41
	ds_read_b32 v193, v193 offset:544
	v_add_nc_u32_e32 v195, v116, v40
	v_and_b32_e32 v39, v39, v42
	; wave barrier
	v_and_b32_e32 v39, v39, v41
	v_mbcnt_lo_u32_b32 v194, v39, 0
	v_cmp_ne_u32_e64 s23, 0, v39
	v_cmp_eq_u32_e32 vcc_lo, 0, v194
	s_and_b32 s24, s23, vcc_lo
	s_and_saveexec_b32 s23, s24
	s_cbranch_execz .LBB427_473
; %bb.472:                              ;   in Loop: Header=BB427_418 Depth=2
	s_waitcnt lgkmcnt(0)
	v_bcnt_u32_b32 v39, v39, v193
	ds_write_b32 v195, v39 offset:544
.LBB427_473:                            ;   in Loop: Header=BB427_418 Depth=2
	s_or_b32 exec_lo, exec_lo, s23
	v_xor_b32_e32 v117, 0xffffff80, v117
	; wave barrier
	v_lshrrev_b32_sdwa v39, s61, v117 dst_sel:DWORD dst_unused:UNUSED_PAD src0_sel:DWORD src1_sel:BYTE_0
	v_and_b32_e32 v40, s62, v39
	v_and_b32_e32 v39, 1, v40
	v_lshlrev_b32_e32 v41, 30, v40
	v_lshlrev_b32_e32 v42, 29, v40
	;; [unrolled: 1-line block ×4, first 2 shown]
	v_add_co_u32 v39, s23, v39, -1
	v_cndmask_b32_e64 v196, 0, 1, s23
	v_not_b32_e32 v200, v41
	v_cmp_gt_i32_e64 s23, 0, v41
	v_not_b32_e32 v41, v42
	v_lshlrev_b32_e32 v199, 26, v40
	v_cmp_ne_u32_e32 vcc_lo, 0, v196
	v_ashrrev_i32_e32 v200, 31, v200
	v_lshlrev_b32_e32 v196, 25, v40
	v_ashrrev_i32_e32 v41, 31, v41
	v_xor_b32_e32 v39, vcc_lo, v39
	v_cmp_gt_i32_e32 vcc_lo, 0, v42
	v_not_b32_e32 v42, v197
	v_xor_b32_e32 v200, s23, v200
	v_cmp_gt_i32_e64 s23, 0, v197
	v_and_b32_e32 v39, exec_lo, v39
	v_not_b32_e32 v197, v198
	v_ashrrev_i32_e32 v42, 31, v42
	v_xor_b32_e32 v41, vcc_lo, v41
	v_cmp_gt_i32_e32 vcc_lo, 0, v198
	v_and_b32_e32 v39, v39, v200
	v_not_b32_e32 v198, v199
	v_ashrrev_i32_e32 v197, 31, v197
	v_xor_b32_e32 v42, s23, v42
	v_cmp_gt_i32_e64 s23, 0, v199
	v_and_b32_e32 v39, v39, v41
	v_not_b32_e32 v41, v196
	v_ashrrev_i32_e32 v198, 31, v198
	v_xor_b32_e32 v197, vcc_lo, v197
	v_cmp_gt_i32_e32 vcc_lo, 0, v196
	v_and_b32_e32 v39, v39, v42
	v_ashrrev_i32_e32 v41, 31, v41
	v_xor_b32_e32 v42, s23, v198
	v_mad_u32_u24 v196, v40, 36, v116
	v_mul_u32_u24_e32 v40, 36, v40
	v_and_b32_e32 v39, v39, v197
	v_xor_b32_e32 v41, vcc_lo, v41
	ds_read_b32 v196, v196 offset:544
	v_add_nc_u32_e32 v198, v116, v40
	v_and_b32_e32 v39, v39, v42
	; wave barrier
	v_and_b32_e32 v39, v39, v41
	v_mbcnt_lo_u32_b32 v197, v39, 0
	v_cmp_ne_u32_e64 s23, 0, v39
	v_cmp_eq_u32_e32 vcc_lo, 0, v197
	s_and_b32 s24, s23, vcc_lo
	s_and_saveexec_b32 s23, s24
	s_cbranch_execz .LBB427_475
; %bb.474:                              ;   in Loop: Header=BB427_418 Depth=2
	s_waitcnt lgkmcnt(0)
	v_bcnt_u32_b32 v39, v39, v196
	ds_write_b32 v198, v39 offset:544
.LBB427_475:                            ;   in Loop: Header=BB427_418 Depth=2
	s_or_b32 exec_lo, exec_lo, s23
	; wave barrier
	s_waitcnt lgkmcnt(0)
	s_barrier
	buffer_gl0_inv
	ds_read2_b32 v[41:42], v69 offset0:136 offset1:137
	ds_read2_b32 v[39:40], v69 offset0:138 offset1:139
	ds_read_b32 v199, v69 offset:560
	s_waitcnt lgkmcnt(1)
	v_add3_u32 v200, v42, v41, v39
	s_waitcnt lgkmcnt(0)
	v_add3_u32 v199, v200, v40, v199
	v_mov_b32_dpp v200, v199 row_shr:1 row_mask:0xf bank_mask:0xf
	v_cndmask_b32_e64 v200, v200, 0, s5
	v_add_nc_u32_e32 v199, v200, v199
	v_mov_b32_dpp v200, v199 row_shr:2 row_mask:0xf bank_mask:0xf
	v_cndmask_b32_e64 v200, 0, v200, s15
	v_add_nc_u32_e32 v199, v199, v200
	;; [unrolled: 3-line block ×4, first 2 shown]
	ds_swizzle_b32 v200, v199 offset:swizzle(BROADCAST,32,15)
	s_waitcnt lgkmcnt(0)
	v_cndmask_b32_e64 v200, v200, 0, s18
	v_add_nc_u32_e32 v199, v199, v200
	s_and_saveexec_b32 s23, s4
; %bb.476:                              ;   in Loop: Header=BB427_418 Depth=2
	ds_write_b32 v62, v199 offset:512
; %bb.477:                              ;   in Loop: Header=BB427_418 Depth=2
	s_or_b32 exec_lo, exec_lo, s23
	s_waitcnt lgkmcnt(0)
	s_barrier
	buffer_gl0_inv
	s_and_saveexec_b32 s23, s12
	s_cbranch_execz .LBB427_479
; %bb.478:                              ;   in Loop: Header=BB427_418 Depth=2
	ds_read_b32 v200, v70 offset:512
	s_waitcnt lgkmcnt(0)
	v_mov_b32_dpp v201, v200 row_shr:1 row_mask:0xf bank_mask:0xf
	v_cndmask_b32_e64 v201, v201, 0, s20
	v_add_nc_u32_e32 v200, v201, v200
	v_mov_b32_dpp v201, v200 row_shr:2 row_mask:0xf bank_mask:0xf
	v_cndmask_b32_e64 v201, 0, v201, s21
	v_add_nc_u32_e32 v200, v200, v201
	;; [unrolled: 3-line block ×3, first 2 shown]
	ds_write_b32 v70, v200 offset:512
.LBB427_479:                            ;   in Loop: Header=BB427_418 Depth=2
	s_or_b32 exec_lo, exec_lo, s23
	v_mov_b32_e32 v200, 0
	s_waitcnt lgkmcnt(0)
	s_barrier
	buffer_gl0_inv
	s_and_saveexec_b32 s23, s11
; %bb.480:                              ;   in Loop: Header=BB427_418 Depth=2
	ds_read_b32 v200, v62 offset:508
; %bb.481:                              ;   in Loop: Header=BB427_418 Depth=2
	s_or_b32 exec_lo, exec_lo, s23
	s_waitcnt lgkmcnt(0)
	v_add_nc_u32_e32 v199, v200, v199
	ds_bpermute_b32 v199, v94, v199
	s_waitcnt lgkmcnt(0)
	v_cndmask_b32_e64 v199, v199, v200, s19
	v_cndmask_b32_e64 v199, v199, 0, s13
	v_add_nc_u32_e32 v41, v199, v41
	v_add_nc_u32_e32 v42, v41, v42
	;; [unrolled: 1-line block ×4, first 2 shown]
	ds_write2_b32 v69, v199, v41 offset0:136 offset1:137
	ds_write2_b32 v69, v42, v39 offset0:138 offset1:139
	ds_write_b32 v69, v40 offset:560
	s_waitcnt lgkmcnt(0)
	s_barrier
	buffer_gl0_inv
	ds_read_b32 v39, v149 offset:544
	ds_read_b32 v40, v153 offset:544
	;; [unrolled: 1-line block ×17, first 2 shown]
	s_and_saveexec_b32 s23, s8
	s_cbranch_execz .LBB427_485
; %bb.482:                              ;   in Loop: Header=BB427_418 Depth=2
	v_add_nc_u32_e32 v135, v70, v72
	v_mov_b32_e32 v136, 0x1100
	ds_read_b32 v135, v135 offset:544
	s_and_saveexec_b32 s24, s14
; %bb.483:                              ;   in Loop: Header=BB427_418 Depth=2
	ds_read_b32 v136, v71 offset:544
; %bb.484:                              ;   in Loop: Header=BB427_418 Depth=2
	s_or_b32 exec_lo, exec_lo, s24
	s_waitcnt lgkmcnt(0)
	v_sub_nc_u32_e32 v136, v136, v135
.LBB427_485:                            ;   in Loop: Header=BB427_418 Depth=2
	s_or_b32 exec_lo, exec_lo, s23
	v_lshrrev_b32_e32 v203, 8, v148
	v_lshrrev_b32_e32 v204, 16, v148
	;; [unrolled: 1-line block ×8, first 2 shown]
	s_waitcnt lgkmcnt(0)
	s_barrier
	buffer_gl0_inv
	s_and_saveexec_b32 s23, s8
	s_cbranch_execz .LBB427_487
; %bb.486:                              ;   in Loop: Header=BB427_418 Depth=2
	ds_read_b32 v3, v43
	s_waitcnt lgkmcnt(0)
	v_sub_nc_u32_e32 v3, v3, v135
	ds_write_b32 v43, v3
.LBB427_487:                            ;   in Loop: Header=BB427_418 Depth=2
	s_or_b32 exec_lo, exec_lo, s23
	v_add_nc_u32_e32 v157, v39, v146
	v_add3_u32 v153, v152, v151, v40
	v_add3_u32 v152, v155, v154, v41
	;; [unrolled: 1-line block ×16, first 2 shown]
	v_cmp_lt_u32_e64 s39, v0, v138
	ds_write_b8 v157, v147 offset:512
	ds_write_b8 v153, v203 offset:512
	;; [unrolled: 1-line block ×17, first 2 shown]
	s_waitcnt lgkmcnt(0)
	s_barrier
	buffer_gl0_inv
	s_and_saveexec_b32 s23, s39
	s_cbranch_execnz .LBB427_560
; %bb.488:                              ;   in Loop: Header=BB427_418 Depth=2
	s_or_b32 exec_lo, exec_lo, s23
	v_cmp_lt_u32_e64 s38, v44, v138
	s_and_saveexec_b32 s23, s38
	s_cbranch_execnz .LBB427_561
.LBB427_489:                            ;   in Loop: Header=BB427_418 Depth=2
	s_or_b32 exec_lo, exec_lo, s23
	v_cmp_lt_u32_e64 s37, v47, v138
	s_and_saveexec_b32 s23, s37
	s_cbranch_execnz .LBB427_562
.LBB427_490:                            ;   in Loop: Header=BB427_418 Depth=2
	s_or_b32 exec_lo, exec_lo, s23
	v_cmp_lt_u32_e64 s36, v48, v138
	s_and_saveexec_b32 s23, s36
	s_cbranch_execnz .LBB427_563
.LBB427_491:                            ;   in Loop: Header=BB427_418 Depth=2
	s_or_b32 exec_lo, exec_lo, s23
	v_cmp_lt_u32_e64 s35, v49, v138
	s_and_saveexec_b32 s23, s35
	s_cbranch_execnz .LBB427_564
.LBB427_492:                            ;   in Loop: Header=BB427_418 Depth=2
	s_or_b32 exec_lo, exec_lo, s23
	v_cmp_lt_u32_e64 s34, v50, v138
	s_and_saveexec_b32 s23, s34
	s_cbranch_execnz .LBB427_565
.LBB427_493:                            ;   in Loop: Header=BB427_418 Depth=2
	s_or_b32 exec_lo, exec_lo, s23
	v_cmp_lt_u32_e64 s33, v51, v138
	s_and_saveexec_b32 s23, s33
	s_cbranch_execnz .LBB427_566
.LBB427_494:                            ;   in Loop: Header=BB427_418 Depth=2
	s_or_b32 exec_lo, exec_lo, s23
	v_cmp_lt_u32_e64 s31, v52, v138
	s_and_saveexec_b32 s23, s31
	s_cbranch_execnz .LBB427_567
.LBB427_495:                            ;   in Loop: Header=BB427_418 Depth=2
	s_or_b32 exec_lo, exec_lo, s23
	v_cmp_lt_u32_e64 s30, v53, v138
	s_and_saveexec_b32 s23, s30
	s_cbranch_execnz .LBB427_568
.LBB427_496:                            ;   in Loop: Header=BB427_418 Depth=2
	s_or_b32 exec_lo, exec_lo, s23
	v_cmp_lt_u32_e64 s29, v54, v138
	s_and_saveexec_b32 s23, s29
	s_cbranch_execnz .LBB427_569
.LBB427_497:                            ;   in Loop: Header=BB427_418 Depth=2
	s_or_b32 exec_lo, exec_lo, s23
	v_cmp_lt_u32_e64 s28, v55, v138
	s_and_saveexec_b32 s23, s28
	s_cbranch_execnz .LBB427_570
.LBB427_498:                            ;   in Loop: Header=BB427_418 Depth=2
	s_or_b32 exec_lo, exec_lo, s23
	v_cmp_lt_u32_e64 s27, v56, v138
	s_and_saveexec_b32 s23, s27
	s_cbranch_execnz .LBB427_571
.LBB427_499:                            ;   in Loop: Header=BB427_418 Depth=2
	s_or_b32 exec_lo, exec_lo, s23
	v_cmp_lt_u32_e64 s26, v57, v138
	s_and_saveexec_b32 s23, s26
	s_cbranch_execnz .LBB427_572
.LBB427_500:                            ;   in Loop: Header=BB427_418 Depth=2
	s_or_b32 exec_lo, exec_lo, s23
	v_cmp_lt_u32_e64 s25, v58, v138
	s_and_saveexec_b32 s23, s25
	s_cbranch_execnz .LBB427_573
.LBB427_501:                            ;   in Loop: Header=BB427_418 Depth=2
	s_or_b32 exec_lo, exec_lo, s23
	v_cmp_lt_u32_e64 s24, v59, v138
	s_and_saveexec_b32 s23, s24
	s_cbranch_execnz .LBB427_574
.LBB427_502:                            ;   in Loop: Header=BB427_418 Depth=2
	s_or_b32 exec_lo, exec_lo, s23
	v_cmp_lt_u32_e64 s23, v60, v138
	s_and_saveexec_b32 s40, s23
	s_cbranch_execnz .LBB427_575
.LBB427_503:                            ;   in Loop: Header=BB427_418 Depth=2
	s_or_b32 exec_lo, exec_lo, s40
	v_cmp_lt_u32_e32 vcc_lo, v61, v138
	s_and_saveexec_b32 s40, vcc_lo
	s_cbranch_execz .LBB427_505
.LBB427_504:                            ;   in Loop: Header=BB427_418 Depth=2
	ds_read_u8 v39, v0 offset:4608
	s_waitcnt lgkmcnt(0)
	v_lshrrev_b32_sdwa v40, s61, v39 dst_sel:DWORD dst_unused:UNUSED_PAD src0_sel:DWORD src1_sel:BYTE_0
	v_xor_b32_e32 v39, 0x80, v39
	v_and_b32_e32 v40, s62, v40
	v_lshlrev_b32_e32 v40, 2, v40
	ds_read_b32 v40, v40
	s_waitcnt lgkmcnt(0)
	v_add_nc_u32_e32 v40, v40, v61
	global_store_byte v40, v39, s[48:49]
.LBB427_505:                            ;   in Loop: Header=BB427_418 Depth=2
	s_or_b32 exec_lo, exec_lo, s40
	s_lshl_b64 s[66:67], s[50:51], 3
	v_add_co_u32 v39, s40, v98, s66
	v_add_co_ci_u32_e64 v40, null, s67, v99, s40
	v_cmp_lt_u32_e64 s40, v95, v138
	s_and_saveexec_b32 s50, s40
	s_xor_b32 s40, exec_lo, s50
	s_cbranch_execnz .LBB427_576
; %bb.506:                              ;   in Loop: Header=BB427_418 Depth=2
	s_or_b32 exec_lo, exec_lo, s40
	s_mov_b32 s50, exec_lo
	v_cmpx_lt_u32_e64 v100, v138
	s_cbranch_execnz .LBB427_577
.LBB427_507:                            ;   in Loop: Header=BB427_418 Depth=2
	s_or_b32 exec_lo, exec_lo, s50
	s_mov_b32 s50, exec_lo
	v_cmpx_lt_u32_e64 v101, v138
	s_cbranch_execnz .LBB427_578
.LBB427_508:                            ;   in Loop: Header=BB427_418 Depth=2
	s_or_b32 exec_lo, exec_lo, s50
	s_mov_b32 s50, exec_lo
	v_cmpx_lt_u32_e64 v102, v138
	s_cbranch_execnz .LBB427_579
.LBB427_509:                            ;   in Loop: Header=BB427_418 Depth=2
	s_or_b32 exec_lo, exec_lo, s50
	s_mov_b32 s50, exec_lo
	v_cmpx_lt_u32_e64 v103, v138
	s_cbranch_execnz .LBB427_580
.LBB427_510:                            ;   in Loop: Header=BB427_418 Depth=2
	s_or_b32 exec_lo, exec_lo, s50
	s_mov_b32 s50, exec_lo
	v_cmpx_lt_u32_e64 v104, v138
	s_cbranch_execnz .LBB427_581
.LBB427_511:                            ;   in Loop: Header=BB427_418 Depth=2
	s_or_b32 exec_lo, exec_lo, s50
	s_mov_b32 s50, exec_lo
	v_cmpx_lt_u32_e64 v105, v138
	s_cbranch_execnz .LBB427_582
.LBB427_512:                            ;   in Loop: Header=BB427_418 Depth=2
	s_or_b32 exec_lo, exec_lo, s50
	s_mov_b32 s50, exec_lo
	v_cmpx_lt_u32_e64 v106, v138
	s_cbranch_execnz .LBB427_583
.LBB427_513:                            ;   in Loop: Header=BB427_418 Depth=2
	s_or_b32 exec_lo, exec_lo, s50
	s_mov_b32 s50, exec_lo
	v_cmpx_lt_u32_e64 v107, v138
	s_cbranch_execnz .LBB427_584
.LBB427_514:                            ;   in Loop: Header=BB427_418 Depth=2
	s_or_b32 exec_lo, exec_lo, s50
	s_mov_b32 s50, exec_lo
	v_cmpx_lt_u32_e64 v108, v138
	s_cbranch_execnz .LBB427_585
.LBB427_515:                            ;   in Loop: Header=BB427_418 Depth=2
	s_or_b32 exec_lo, exec_lo, s50
	s_mov_b32 s50, exec_lo
	v_cmpx_lt_u32_e64 v109, v138
	s_cbranch_execnz .LBB427_586
.LBB427_516:                            ;   in Loop: Header=BB427_418 Depth=2
	s_or_b32 exec_lo, exec_lo, s50
	s_mov_b32 s50, exec_lo
	v_cmpx_lt_u32_e64 v110, v138
	s_cbranch_execnz .LBB427_587
.LBB427_517:                            ;   in Loop: Header=BB427_418 Depth=2
	s_or_b32 exec_lo, exec_lo, s50
	s_mov_b32 s50, exec_lo
	v_cmpx_lt_u32_e64 v111, v138
	s_cbranch_execnz .LBB427_588
.LBB427_518:                            ;   in Loop: Header=BB427_418 Depth=2
	s_or_b32 exec_lo, exec_lo, s50
	s_mov_b32 s50, exec_lo
	v_cmpx_lt_u32_e64 v112, v138
	s_cbranch_execnz .LBB427_589
.LBB427_519:                            ;   in Loop: Header=BB427_418 Depth=2
	s_or_b32 exec_lo, exec_lo, s50
	s_mov_b32 s50, exec_lo
	v_cmpx_lt_u32_e64 v113, v138
	s_cbranch_execnz .LBB427_590
.LBB427_520:                            ;   in Loop: Header=BB427_418 Depth=2
	s_or_b32 exec_lo, exec_lo, s50
	s_mov_b32 s50, exec_lo
	v_cmpx_lt_u32_e64 v114, v138
	s_cbranch_execnz .LBB427_591
.LBB427_521:                            ;   in Loop: Header=BB427_418 Depth=2
	s_or_b32 exec_lo, exec_lo, s50
	s_mov_b32 s50, exec_lo
	v_cmpx_lt_u32_e64 v115, v138
	s_cbranch_execnz .LBB427_592
.LBB427_522:                            ;   in Loop: Header=BB427_418 Depth=2
	s_or_b32 exec_lo, exec_lo, s50
	s_and_saveexec_b32 s40, s39
	s_cbranch_execnz .LBB427_593
.LBB427_523:                            ;   in Loop: Header=BB427_418 Depth=2
	s_or_b32 exec_lo, exec_lo, s40
	s_and_saveexec_b32 s40, s38
	s_cbranch_execnz .LBB427_594
.LBB427_524:                            ;   in Loop: Header=BB427_418 Depth=2
	s_or_b32 exec_lo, exec_lo, s40
	s_and_saveexec_b32 s40, s37
	s_cbranch_execnz .LBB427_595
.LBB427_525:                            ;   in Loop: Header=BB427_418 Depth=2
	s_or_b32 exec_lo, exec_lo, s40
	s_and_saveexec_b32 s40, s36
	s_cbranch_execnz .LBB427_596
.LBB427_526:                            ;   in Loop: Header=BB427_418 Depth=2
	s_or_b32 exec_lo, exec_lo, s40
	s_and_saveexec_b32 s40, s35
	s_cbranch_execnz .LBB427_597
.LBB427_527:                            ;   in Loop: Header=BB427_418 Depth=2
	s_or_b32 exec_lo, exec_lo, s40
	s_and_saveexec_b32 s40, s34
	s_cbranch_execnz .LBB427_598
.LBB427_528:                            ;   in Loop: Header=BB427_418 Depth=2
	s_or_b32 exec_lo, exec_lo, s40
	s_and_saveexec_b32 s40, s33
	s_cbranch_execnz .LBB427_599
.LBB427_529:                            ;   in Loop: Header=BB427_418 Depth=2
	s_or_b32 exec_lo, exec_lo, s40
	s_and_saveexec_b32 s40, s31
	s_cbranch_execnz .LBB427_600
.LBB427_530:                            ;   in Loop: Header=BB427_418 Depth=2
	s_or_b32 exec_lo, exec_lo, s40
	s_and_saveexec_b32 s40, s30
	s_cbranch_execnz .LBB427_601
.LBB427_531:                            ;   in Loop: Header=BB427_418 Depth=2
	s_or_b32 exec_lo, exec_lo, s40
	s_and_saveexec_b32 s40, s29
	s_cbranch_execnz .LBB427_602
.LBB427_532:                            ;   in Loop: Header=BB427_418 Depth=2
	s_or_b32 exec_lo, exec_lo, s40
	s_and_saveexec_b32 s40, s28
	s_cbranch_execnz .LBB427_603
.LBB427_533:                            ;   in Loop: Header=BB427_418 Depth=2
	s_or_b32 exec_lo, exec_lo, s40
	s_and_saveexec_b32 s40, s27
	s_cbranch_execnz .LBB427_604
.LBB427_534:                            ;   in Loop: Header=BB427_418 Depth=2
	s_or_b32 exec_lo, exec_lo, s40
	s_and_saveexec_b32 s40, s26
	s_cbranch_execnz .LBB427_605
.LBB427_535:                            ;   in Loop: Header=BB427_418 Depth=2
	s_or_b32 exec_lo, exec_lo, s40
	s_and_saveexec_b32 s40, s25
	s_cbranch_execnz .LBB427_606
.LBB427_536:                            ;   in Loop: Header=BB427_418 Depth=2
	s_or_b32 exec_lo, exec_lo, s40
	s_and_saveexec_b32 s40, s24
	s_cbranch_execnz .LBB427_607
.LBB427_537:                            ;   in Loop: Header=BB427_418 Depth=2
	s_or_b32 exec_lo, exec_lo, s40
	s_and_saveexec_b32 s40, s23
	s_cbranch_execnz .LBB427_608
.LBB427_538:                            ;   in Loop: Header=BB427_418 Depth=2
	s_or_b32 exec_lo, exec_lo, s40
	s_and_saveexec_b32 s40, vcc_lo
	s_cbranch_execz .LBB427_540
.LBB427_539:                            ;   in Loop: Header=BB427_418 Depth=2
	ds_read_u8 v39, v0 offset:4608
	s_waitcnt lgkmcnt(0)
	v_lshrrev_b32_e32 v39, s61, v39
	v_and_b32_e32 v118, s62, v39
.LBB427_540:                            ;   in Loop: Header=BB427_418 Depth=2
	s_or_b32 exec_lo, exec_lo, s40
	v_lshlrev_b32_e32 v39, 3, v157
	v_lshlrev_b32_e32 v40, 3, v153
	s_waitcnt vmcnt(0)
	s_waitcnt_vscnt null, 0x0
	s_barrier
	buffer_gl0_inv
	ds_write_b64 v39, v[37:38] offset:512
	ds_write_b64 v40, v[35:36] offset:512
	v_lshlrev_b32_e32 v39, 3, v152
	v_lshlrev_b32_e32 v40, 3, v151
	v_lshlrev_b32_e32 v138, 3, v150
	v_lshlrev_b32_e32 v139, 3, v149
	v_lshlrev_b32_e32 v143, 3, v148
	ds_write_b64 v39, v[33:34] offset:512
	ds_write_b64 v40, v[31:32] offset:512
	ds_write_b64 v138, v[29:30] offset:512
	ds_write_b64 v139, v[25:26] offset:512
	ds_write_b64 v143, v[21:22] offset:512
	v_lshlrev_b32_e32 v39, 3, v146
	v_lshlrev_b32_e32 v40, 3, v145
	v_lshlrev_b32_e32 v138, 3, v144
	v_lshlrev_b32_e32 v139, 3, v142
	v_lshlrev_b32_e32 v141, 3, v141
	ds_write_b64 v39, v[17:18] offset:512
	ds_write_b64 v40, v[27:28] offset:512
	ds_write_b64 v138, v[23:24] offset:512
	;; [unrolled: 10-line block ×3, first 2 shown]
	ds_write_b64 v41, v[7:8] offset:512
	ds_write_b64 v3, v[5:6] offset:512
	s_waitcnt lgkmcnt(0)
	s_barrier
	buffer_gl0_inv
	s_and_saveexec_b32 s40, s39
	s_cbranch_execnz .LBB427_609
; %bb.541:                              ;   in Loop: Header=BB427_418 Depth=2
	s_or_b32 exec_lo, exec_lo, s40
	s_and_saveexec_b32 s39, s38
	s_cbranch_execnz .LBB427_610
.LBB427_542:                            ;   in Loop: Header=BB427_418 Depth=2
	s_or_b32 exec_lo, exec_lo, s39
	s_and_saveexec_b32 s38, s37
	s_cbranch_execnz .LBB427_611
.LBB427_543:                            ;   in Loop: Header=BB427_418 Depth=2
	s_or_b32 exec_lo, exec_lo, s38
	s_and_saveexec_b32 s37, s36
	s_cbranch_execnz .LBB427_612
.LBB427_544:                            ;   in Loop: Header=BB427_418 Depth=2
	s_or_b32 exec_lo, exec_lo, s37
	s_and_saveexec_b32 s36, s35
	s_cbranch_execnz .LBB427_613
.LBB427_545:                            ;   in Loop: Header=BB427_418 Depth=2
	s_or_b32 exec_lo, exec_lo, s36
	s_and_saveexec_b32 s35, s34
	s_cbranch_execnz .LBB427_614
.LBB427_546:                            ;   in Loop: Header=BB427_418 Depth=2
	s_or_b32 exec_lo, exec_lo, s35
	s_and_saveexec_b32 s34, s33
	s_cbranch_execnz .LBB427_615
.LBB427_547:                            ;   in Loop: Header=BB427_418 Depth=2
	s_or_b32 exec_lo, exec_lo, s34
	s_and_saveexec_b32 s33, s31
	s_cbranch_execnz .LBB427_616
.LBB427_548:                            ;   in Loop: Header=BB427_418 Depth=2
	s_or_b32 exec_lo, exec_lo, s33
	s_and_saveexec_b32 s31, s30
	s_cbranch_execnz .LBB427_617
.LBB427_549:                            ;   in Loop: Header=BB427_418 Depth=2
	s_or_b32 exec_lo, exec_lo, s31
	s_and_saveexec_b32 s30, s29
	s_cbranch_execnz .LBB427_618
.LBB427_550:                            ;   in Loop: Header=BB427_418 Depth=2
	s_or_b32 exec_lo, exec_lo, s30
	s_and_saveexec_b32 s29, s28
	s_cbranch_execnz .LBB427_619
.LBB427_551:                            ;   in Loop: Header=BB427_418 Depth=2
	s_or_b32 exec_lo, exec_lo, s29
	s_and_saveexec_b32 s28, s27
	s_cbranch_execnz .LBB427_620
.LBB427_552:                            ;   in Loop: Header=BB427_418 Depth=2
	s_or_b32 exec_lo, exec_lo, s28
	s_and_saveexec_b32 s27, s26
	s_cbranch_execnz .LBB427_621
.LBB427_553:                            ;   in Loop: Header=BB427_418 Depth=2
	s_or_b32 exec_lo, exec_lo, s27
	s_and_saveexec_b32 s26, s25
	s_cbranch_execnz .LBB427_622
.LBB427_554:                            ;   in Loop: Header=BB427_418 Depth=2
	s_or_b32 exec_lo, exec_lo, s26
	s_and_saveexec_b32 s25, s24
	s_cbranch_execnz .LBB427_623
.LBB427_555:                            ;   in Loop: Header=BB427_418 Depth=2
	s_or_b32 exec_lo, exec_lo, s25
	s_and_saveexec_b32 s24, s23
	s_cbranch_execnz .LBB427_624
.LBB427_556:                            ;   in Loop: Header=BB427_418 Depth=2
	s_or_b32 exec_lo, exec_lo, s24
	s_and_saveexec_b32 s23, vcc_lo
	s_cbranch_execz .LBB427_558
.LBB427_557:                            ;   in Loop: Header=BB427_418 Depth=2
	v_lshlrev_b32_e32 v3, 2, v118
	v_add_nc_u32_e32 v39, v0, v75
	ds_read_b32 v3, v3
	ds_read_b64 v[39:40], v39 offset:33280
	s_waitcnt lgkmcnt(1)
	v_add_nc_u32_e32 v3, v3, v61
	v_lshlrev_b64 v[41:42], 3, v[3:4]
	v_add_co_u32 v41, vcc_lo, s54, v41
	v_add_co_ci_u32_e64 v42, null, s55, v42, vcc_lo
	s_waitcnt lgkmcnt(0)
	global_store_dwordx2 v[41:42], v[39:40], off
.LBB427_558:                            ;   in Loop: Header=BB427_418 Depth=2
	s_or_b32 exec_lo, exec_lo, s23
	s_waitcnt_vscnt null, 0x0
	s_barrier
	buffer_gl0_inv
	s_and_saveexec_b32 s23, s8
	s_cbranch_execz .LBB427_417
; %bb.559:                              ;   in Loop: Header=BB427_418 Depth=2
	ds_read_b32 v3, v43
	s_waitcnt lgkmcnt(0)
	v_add3_u32 v3, v135, v136, v3
	ds_write_b32 v43, v3
	s_branch .LBB427_417
.LBB427_560:                            ;   in Loop: Header=BB427_418 Depth=2
	ds_read_u8 v39, v0 offset:512
	s_waitcnt lgkmcnt(0)
	v_lshrrev_b32_sdwa v40, s61, v39 dst_sel:DWORD dst_unused:UNUSED_PAD src0_sel:DWORD src1_sel:BYTE_0
	v_xor_b32_e32 v39, 0x80, v39
	v_and_b32_e32 v40, s62, v40
	v_lshlrev_b32_e32 v40, 2, v40
	ds_read_b32 v40, v40
	s_waitcnt lgkmcnt(0)
	v_add_nc_u32_e32 v40, v40, v0
	global_store_byte v40, v39, s[48:49]
	s_or_b32 exec_lo, exec_lo, s23
	v_cmp_lt_u32_e64 s38, v44, v138
	s_and_saveexec_b32 s23, s38
	s_cbranch_execz .LBB427_489
.LBB427_561:                            ;   in Loop: Header=BB427_418 Depth=2
	ds_read_u8 v39, v0 offset:768
	s_waitcnt lgkmcnt(0)
	v_lshrrev_b32_sdwa v40, s61, v39 dst_sel:DWORD dst_unused:UNUSED_PAD src0_sel:DWORD src1_sel:BYTE_0
	v_xor_b32_e32 v39, 0x80, v39
	v_and_b32_e32 v40, s62, v40
	v_lshlrev_b32_e32 v40, 2, v40
	ds_read_b32 v40, v40
	s_waitcnt lgkmcnt(0)
	v_add_nc_u32_e32 v40, v40, v44
	global_store_byte v40, v39, s[48:49]
	s_or_b32 exec_lo, exec_lo, s23
	v_cmp_lt_u32_e64 s37, v47, v138
	s_and_saveexec_b32 s23, s37
	s_cbranch_execz .LBB427_490
.LBB427_562:                            ;   in Loop: Header=BB427_418 Depth=2
	ds_read_u8 v39, v0 offset:1024
	s_waitcnt lgkmcnt(0)
	v_lshrrev_b32_sdwa v40, s61, v39 dst_sel:DWORD dst_unused:UNUSED_PAD src0_sel:DWORD src1_sel:BYTE_0
	v_xor_b32_e32 v39, 0x80, v39
	v_and_b32_e32 v40, s62, v40
	v_lshlrev_b32_e32 v40, 2, v40
	ds_read_b32 v40, v40
	s_waitcnt lgkmcnt(0)
	v_add_nc_u32_e32 v40, v40, v47
	global_store_byte v40, v39, s[48:49]
	s_or_b32 exec_lo, exec_lo, s23
	v_cmp_lt_u32_e64 s36, v48, v138
	s_and_saveexec_b32 s23, s36
	s_cbranch_execz .LBB427_491
.LBB427_563:                            ;   in Loop: Header=BB427_418 Depth=2
	ds_read_u8 v39, v0 offset:1280
	s_waitcnt lgkmcnt(0)
	v_lshrrev_b32_sdwa v40, s61, v39 dst_sel:DWORD dst_unused:UNUSED_PAD src0_sel:DWORD src1_sel:BYTE_0
	v_xor_b32_e32 v39, 0x80, v39
	v_and_b32_e32 v40, s62, v40
	v_lshlrev_b32_e32 v40, 2, v40
	ds_read_b32 v40, v40
	s_waitcnt lgkmcnt(0)
	v_add_nc_u32_e32 v40, v40, v48
	global_store_byte v40, v39, s[48:49]
	s_or_b32 exec_lo, exec_lo, s23
	v_cmp_lt_u32_e64 s35, v49, v138
	s_and_saveexec_b32 s23, s35
	s_cbranch_execz .LBB427_492
.LBB427_564:                            ;   in Loop: Header=BB427_418 Depth=2
	ds_read_u8 v39, v0 offset:1536
	s_waitcnt lgkmcnt(0)
	v_lshrrev_b32_sdwa v40, s61, v39 dst_sel:DWORD dst_unused:UNUSED_PAD src0_sel:DWORD src1_sel:BYTE_0
	v_xor_b32_e32 v39, 0x80, v39
	v_and_b32_e32 v40, s62, v40
	v_lshlrev_b32_e32 v40, 2, v40
	ds_read_b32 v40, v40
	s_waitcnt lgkmcnt(0)
	v_add_nc_u32_e32 v40, v40, v49
	global_store_byte v40, v39, s[48:49]
	s_or_b32 exec_lo, exec_lo, s23
	v_cmp_lt_u32_e64 s34, v50, v138
	s_and_saveexec_b32 s23, s34
	s_cbranch_execz .LBB427_493
.LBB427_565:                            ;   in Loop: Header=BB427_418 Depth=2
	ds_read_u8 v39, v0 offset:1792
	s_waitcnt lgkmcnt(0)
	v_lshrrev_b32_sdwa v40, s61, v39 dst_sel:DWORD dst_unused:UNUSED_PAD src0_sel:DWORD src1_sel:BYTE_0
	v_xor_b32_e32 v39, 0x80, v39
	v_and_b32_e32 v40, s62, v40
	v_lshlrev_b32_e32 v40, 2, v40
	ds_read_b32 v40, v40
	s_waitcnt lgkmcnt(0)
	v_add_nc_u32_e32 v40, v40, v50
	global_store_byte v40, v39, s[48:49]
	s_or_b32 exec_lo, exec_lo, s23
	v_cmp_lt_u32_e64 s33, v51, v138
	s_and_saveexec_b32 s23, s33
	s_cbranch_execz .LBB427_494
.LBB427_566:                            ;   in Loop: Header=BB427_418 Depth=2
	ds_read_u8 v39, v0 offset:2048
	s_waitcnt lgkmcnt(0)
	v_lshrrev_b32_sdwa v40, s61, v39 dst_sel:DWORD dst_unused:UNUSED_PAD src0_sel:DWORD src1_sel:BYTE_0
	v_xor_b32_e32 v39, 0x80, v39
	v_and_b32_e32 v40, s62, v40
	v_lshlrev_b32_e32 v40, 2, v40
	ds_read_b32 v40, v40
	s_waitcnt lgkmcnt(0)
	v_add_nc_u32_e32 v40, v40, v51
	global_store_byte v40, v39, s[48:49]
	s_or_b32 exec_lo, exec_lo, s23
	v_cmp_lt_u32_e64 s31, v52, v138
	s_and_saveexec_b32 s23, s31
	s_cbranch_execz .LBB427_495
.LBB427_567:                            ;   in Loop: Header=BB427_418 Depth=2
	ds_read_u8 v39, v0 offset:2304
	s_waitcnt lgkmcnt(0)
	v_lshrrev_b32_sdwa v40, s61, v39 dst_sel:DWORD dst_unused:UNUSED_PAD src0_sel:DWORD src1_sel:BYTE_0
	v_xor_b32_e32 v39, 0x80, v39
	v_and_b32_e32 v40, s62, v40
	v_lshlrev_b32_e32 v40, 2, v40
	ds_read_b32 v40, v40
	s_waitcnt lgkmcnt(0)
	v_add_nc_u32_e32 v40, v40, v52
	global_store_byte v40, v39, s[48:49]
	s_or_b32 exec_lo, exec_lo, s23
	v_cmp_lt_u32_e64 s30, v53, v138
	s_and_saveexec_b32 s23, s30
	s_cbranch_execz .LBB427_496
.LBB427_568:                            ;   in Loop: Header=BB427_418 Depth=2
	ds_read_u8 v39, v0 offset:2560
	s_waitcnt lgkmcnt(0)
	v_lshrrev_b32_sdwa v40, s61, v39 dst_sel:DWORD dst_unused:UNUSED_PAD src0_sel:DWORD src1_sel:BYTE_0
	v_xor_b32_e32 v39, 0x80, v39
	v_and_b32_e32 v40, s62, v40
	v_lshlrev_b32_e32 v40, 2, v40
	ds_read_b32 v40, v40
	s_waitcnt lgkmcnt(0)
	v_add_nc_u32_e32 v40, v40, v53
	global_store_byte v40, v39, s[48:49]
	s_or_b32 exec_lo, exec_lo, s23
	v_cmp_lt_u32_e64 s29, v54, v138
	s_and_saveexec_b32 s23, s29
	s_cbranch_execz .LBB427_497
.LBB427_569:                            ;   in Loop: Header=BB427_418 Depth=2
	ds_read_u8 v39, v0 offset:2816
	s_waitcnt lgkmcnt(0)
	v_lshrrev_b32_sdwa v40, s61, v39 dst_sel:DWORD dst_unused:UNUSED_PAD src0_sel:DWORD src1_sel:BYTE_0
	v_xor_b32_e32 v39, 0x80, v39
	v_and_b32_e32 v40, s62, v40
	v_lshlrev_b32_e32 v40, 2, v40
	ds_read_b32 v40, v40
	s_waitcnt lgkmcnt(0)
	v_add_nc_u32_e32 v40, v40, v54
	global_store_byte v40, v39, s[48:49]
	s_or_b32 exec_lo, exec_lo, s23
	v_cmp_lt_u32_e64 s28, v55, v138
	s_and_saveexec_b32 s23, s28
	s_cbranch_execz .LBB427_498
.LBB427_570:                            ;   in Loop: Header=BB427_418 Depth=2
	ds_read_u8 v39, v0 offset:3072
	s_waitcnt lgkmcnt(0)
	v_lshrrev_b32_sdwa v40, s61, v39 dst_sel:DWORD dst_unused:UNUSED_PAD src0_sel:DWORD src1_sel:BYTE_0
	v_xor_b32_e32 v39, 0x80, v39
	v_and_b32_e32 v40, s62, v40
	v_lshlrev_b32_e32 v40, 2, v40
	ds_read_b32 v40, v40
	s_waitcnt lgkmcnt(0)
	v_add_nc_u32_e32 v40, v40, v55
	global_store_byte v40, v39, s[48:49]
	s_or_b32 exec_lo, exec_lo, s23
	v_cmp_lt_u32_e64 s27, v56, v138
	s_and_saveexec_b32 s23, s27
	s_cbranch_execz .LBB427_499
.LBB427_571:                            ;   in Loop: Header=BB427_418 Depth=2
	ds_read_u8 v39, v0 offset:3328
	s_waitcnt lgkmcnt(0)
	v_lshrrev_b32_sdwa v40, s61, v39 dst_sel:DWORD dst_unused:UNUSED_PAD src0_sel:DWORD src1_sel:BYTE_0
	v_xor_b32_e32 v39, 0x80, v39
	v_and_b32_e32 v40, s62, v40
	v_lshlrev_b32_e32 v40, 2, v40
	ds_read_b32 v40, v40
	s_waitcnt lgkmcnt(0)
	v_add_nc_u32_e32 v40, v40, v56
	global_store_byte v40, v39, s[48:49]
	s_or_b32 exec_lo, exec_lo, s23
	v_cmp_lt_u32_e64 s26, v57, v138
	s_and_saveexec_b32 s23, s26
	s_cbranch_execz .LBB427_500
.LBB427_572:                            ;   in Loop: Header=BB427_418 Depth=2
	ds_read_u8 v39, v0 offset:3584
	s_waitcnt lgkmcnt(0)
	v_lshrrev_b32_sdwa v40, s61, v39 dst_sel:DWORD dst_unused:UNUSED_PAD src0_sel:DWORD src1_sel:BYTE_0
	v_xor_b32_e32 v39, 0x80, v39
	v_and_b32_e32 v40, s62, v40
	v_lshlrev_b32_e32 v40, 2, v40
	ds_read_b32 v40, v40
	s_waitcnt lgkmcnt(0)
	v_add_nc_u32_e32 v40, v40, v57
	global_store_byte v40, v39, s[48:49]
	s_or_b32 exec_lo, exec_lo, s23
	v_cmp_lt_u32_e64 s25, v58, v138
	s_and_saveexec_b32 s23, s25
	s_cbranch_execz .LBB427_501
.LBB427_573:                            ;   in Loop: Header=BB427_418 Depth=2
	ds_read_u8 v39, v0 offset:3840
	s_waitcnt lgkmcnt(0)
	v_lshrrev_b32_sdwa v40, s61, v39 dst_sel:DWORD dst_unused:UNUSED_PAD src0_sel:DWORD src1_sel:BYTE_0
	v_xor_b32_e32 v39, 0x80, v39
	v_and_b32_e32 v40, s62, v40
	v_lshlrev_b32_e32 v40, 2, v40
	ds_read_b32 v40, v40
	s_waitcnt lgkmcnt(0)
	v_add_nc_u32_e32 v40, v40, v58
	global_store_byte v40, v39, s[48:49]
	s_or_b32 exec_lo, exec_lo, s23
	v_cmp_lt_u32_e64 s24, v59, v138
	s_and_saveexec_b32 s23, s24
	s_cbranch_execz .LBB427_502
.LBB427_574:                            ;   in Loop: Header=BB427_418 Depth=2
	ds_read_u8 v39, v0 offset:4096
	s_waitcnt lgkmcnt(0)
	v_lshrrev_b32_sdwa v40, s61, v39 dst_sel:DWORD dst_unused:UNUSED_PAD src0_sel:DWORD src1_sel:BYTE_0
	v_xor_b32_e32 v39, 0x80, v39
	v_and_b32_e32 v40, s62, v40
	v_lshlrev_b32_e32 v40, 2, v40
	ds_read_b32 v40, v40
	s_waitcnt lgkmcnt(0)
	v_add_nc_u32_e32 v40, v40, v59
	global_store_byte v40, v39, s[48:49]
	s_or_b32 exec_lo, exec_lo, s23
	v_cmp_lt_u32_e64 s23, v60, v138
	s_and_saveexec_b32 s40, s23
	s_cbranch_execz .LBB427_503
.LBB427_575:                            ;   in Loop: Header=BB427_418 Depth=2
	ds_read_u8 v39, v0 offset:4352
	s_waitcnt lgkmcnt(0)
	v_lshrrev_b32_sdwa v40, s61, v39 dst_sel:DWORD dst_unused:UNUSED_PAD src0_sel:DWORD src1_sel:BYTE_0
	v_xor_b32_e32 v39, 0x80, v39
	v_and_b32_e32 v40, s62, v40
	v_lshlrev_b32_e32 v40, 2, v40
	ds_read_b32 v40, v40
	s_waitcnt lgkmcnt(0)
	v_add_nc_u32_e32 v40, v40, v60
	global_store_byte v40, v39, s[48:49]
	s_or_b32 exec_lo, exec_lo, s40
	v_cmp_lt_u32_e32 vcc_lo, v61, v138
	s_and_saveexec_b32 s40, vcc_lo
	s_cbranch_execnz .LBB427_504
	s_branch .LBB427_505
.LBB427_576:                            ;   in Loop: Header=BB427_418 Depth=2
	global_load_dwordx2 v[37:38], v[39:40], off
	s_or_b32 exec_lo, exec_lo, s40
	s_mov_b32 s50, exec_lo
	v_cmpx_lt_u32_e64 v100, v138
	s_cbranch_execz .LBB427_507
.LBB427_577:                            ;   in Loop: Header=BB427_418 Depth=2
	global_load_dwordx2 v[35:36], v[39:40], off offset:256
	s_or_b32 exec_lo, exec_lo, s50
	s_mov_b32 s50, exec_lo
	v_cmpx_lt_u32_e64 v101, v138
	s_cbranch_execz .LBB427_508
.LBB427_578:                            ;   in Loop: Header=BB427_418 Depth=2
	global_load_dwordx2 v[33:34], v[39:40], off offset:512
	s_or_b32 exec_lo, exec_lo, s50
	s_mov_b32 s50, exec_lo
	v_cmpx_lt_u32_e64 v102, v138
	s_cbranch_execz .LBB427_509
.LBB427_579:                            ;   in Loop: Header=BB427_418 Depth=2
	global_load_dwordx2 v[31:32], v[39:40], off offset:768
	s_or_b32 exec_lo, exec_lo, s50
	s_mov_b32 s50, exec_lo
	v_cmpx_lt_u32_e64 v103, v138
	s_cbranch_execz .LBB427_510
.LBB427_580:                            ;   in Loop: Header=BB427_418 Depth=2
	global_load_dwordx2 v[29:30], v[39:40], off offset:1024
	s_or_b32 exec_lo, exec_lo, s50
	s_mov_b32 s50, exec_lo
	v_cmpx_lt_u32_e64 v104, v138
	s_cbranch_execz .LBB427_511
.LBB427_581:                            ;   in Loop: Header=BB427_418 Depth=2
	global_load_dwordx2 v[25:26], v[39:40], off offset:1280
	s_or_b32 exec_lo, exec_lo, s50
	s_mov_b32 s50, exec_lo
	v_cmpx_lt_u32_e64 v105, v138
	s_cbranch_execz .LBB427_512
.LBB427_582:                            ;   in Loop: Header=BB427_418 Depth=2
	global_load_dwordx2 v[21:22], v[39:40], off offset:1536
	s_or_b32 exec_lo, exec_lo, s50
	s_mov_b32 s50, exec_lo
	v_cmpx_lt_u32_e64 v106, v138
	s_cbranch_execz .LBB427_513
.LBB427_583:                            ;   in Loop: Header=BB427_418 Depth=2
	global_load_dwordx2 v[17:18], v[39:40], off offset:1792
	s_or_b32 exec_lo, exec_lo, s50
	s_mov_b32 s50, exec_lo
	v_cmpx_lt_u32_e64 v107, v138
	s_cbranch_execz .LBB427_514
.LBB427_584:                            ;   in Loop: Header=BB427_418 Depth=2
	v_add_co_u32 v27, s40, 0x800, v39
	v_add_co_ci_u32_e64 v28, null, 0, v40, s40
	global_load_dwordx2 v[27:28], v[27:28], off
	s_or_b32 exec_lo, exec_lo, s50
	s_mov_b32 s50, exec_lo
	v_cmpx_lt_u32_e64 v108, v138
	s_cbranch_execz .LBB427_515
.LBB427_585:                            ;   in Loop: Header=BB427_418 Depth=2
	v_add_co_u32 v23, s40, 0x800, v39
	v_add_co_ci_u32_e64 v24, null, 0, v40, s40
	global_load_dwordx2 v[23:24], v[23:24], off offset:256
	s_or_b32 exec_lo, exec_lo, s50
	s_mov_b32 s50, exec_lo
	v_cmpx_lt_u32_e64 v109, v138
	s_cbranch_execz .LBB427_516
.LBB427_586:                            ;   in Loop: Header=BB427_418 Depth=2
	v_add_co_u32 v19, s40, 0x800, v39
	v_add_co_ci_u32_e64 v20, null, 0, v40, s40
	global_load_dwordx2 v[19:20], v[19:20], off offset:512
	s_or_b32 exec_lo, exec_lo, s50
	s_mov_b32 s50, exec_lo
	v_cmpx_lt_u32_e64 v110, v138
	s_cbranch_execz .LBB427_517
.LBB427_587:                            ;   in Loop: Header=BB427_418 Depth=2
	v_add_co_u32 v15, s40, 0x800, v39
	v_add_co_ci_u32_e64 v16, null, 0, v40, s40
	global_load_dwordx2 v[15:16], v[15:16], off offset:768
	s_or_b32 exec_lo, exec_lo, s50
	s_mov_b32 s50, exec_lo
	v_cmpx_lt_u32_e64 v111, v138
	s_cbranch_execz .LBB427_518
.LBB427_588:                            ;   in Loop: Header=BB427_418 Depth=2
	v_add_co_u32 v13, s40, 0x800, v39
	v_add_co_ci_u32_e64 v14, null, 0, v40, s40
	global_load_dwordx2 v[13:14], v[13:14], off offset:1024
	s_or_b32 exec_lo, exec_lo, s50
	s_mov_b32 s50, exec_lo
	v_cmpx_lt_u32_e64 v112, v138
	s_cbranch_execz .LBB427_519
.LBB427_589:                            ;   in Loop: Header=BB427_418 Depth=2
	v_add_co_u32 v11, s40, 0x800, v39
	v_add_co_ci_u32_e64 v12, null, 0, v40, s40
	global_load_dwordx2 v[11:12], v[11:12], off offset:1280
	s_or_b32 exec_lo, exec_lo, s50
	s_mov_b32 s50, exec_lo
	v_cmpx_lt_u32_e64 v113, v138
	s_cbranch_execz .LBB427_520
.LBB427_590:                            ;   in Loop: Header=BB427_418 Depth=2
	v_add_co_u32 v9, s40, 0x800, v39
	v_add_co_ci_u32_e64 v10, null, 0, v40, s40
	global_load_dwordx2 v[9:10], v[9:10], off offset:1536
	s_or_b32 exec_lo, exec_lo, s50
	s_mov_b32 s50, exec_lo
	v_cmpx_lt_u32_e64 v114, v138
	s_cbranch_execz .LBB427_521
.LBB427_591:                            ;   in Loop: Header=BB427_418 Depth=2
	v_add_co_u32 v7, s40, 0x800, v39
	v_add_co_ci_u32_e64 v8, null, 0, v40, s40
	global_load_dwordx2 v[7:8], v[7:8], off offset:1792
	s_or_b32 exec_lo, exec_lo, s50
	s_mov_b32 s50, exec_lo
	v_cmpx_lt_u32_e64 v115, v138
	s_cbranch_execz .LBB427_522
.LBB427_592:                            ;   in Loop: Header=BB427_418 Depth=2
	v_add_co_u32 v5, s40, 0x1000, v39
	v_add_co_ci_u32_e64 v6, null, 0, v40, s40
	global_load_dwordx2 v[5:6], v[5:6], off
	s_or_b32 exec_lo, exec_lo, s50
	s_and_saveexec_b32 s40, s39
	s_cbranch_execz .LBB427_523
.LBB427_593:                            ;   in Loop: Header=BB427_418 Depth=2
	ds_read_u8 v39, v0 offset:512
	s_waitcnt lgkmcnt(0)
	v_lshrrev_b32_e32 v39, s61, v39
	v_and_b32_e32 v134, s62, v39
	s_or_b32 exec_lo, exec_lo, s40
	s_and_saveexec_b32 s40, s38
	s_cbranch_execz .LBB427_524
.LBB427_594:                            ;   in Loop: Header=BB427_418 Depth=2
	ds_read_u8 v39, v0 offset:768
	s_waitcnt lgkmcnt(0)
	v_lshrrev_b32_e32 v39, s61, v39
	v_and_b32_e32 v133, s62, v39
	s_or_b32 exec_lo, exec_lo, s40
	s_and_saveexec_b32 s40, s37
	s_cbranch_execz .LBB427_525
.LBB427_595:                            ;   in Loop: Header=BB427_418 Depth=2
	ds_read_u8 v39, v0 offset:1024
	s_waitcnt lgkmcnt(0)
	v_lshrrev_b32_e32 v39, s61, v39
	v_and_b32_e32 v132, s62, v39
	s_or_b32 exec_lo, exec_lo, s40
	s_and_saveexec_b32 s40, s36
	s_cbranch_execz .LBB427_526
.LBB427_596:                            ;   in Loop: Header=BB427_418 Depth=2
	ds_read_u8 v39, v0 offset:1280
	s_waitcnt lgkmcnt(0)
	v_lshrrev_b32_e32 v39, s61, v39
	v_and_b32_e32 v131, s62, v39
	s_or_b32 exec_lo, exec_lo, s40
	s_and_saveexec_b32 s40, s35
	s_cbranch_execz .LBB427_527
.LBB427_597:                            ;   in Loop: Header=BB427_418 Depth=2
	ds_read_u8 v39, v0 offset:1536
	s_waitcnt lgkmcnt(0)
	v_lshrrev_b32_e32 v39, s61, v39
	v_and_b32_e32 v130, s62, v39
	s_or_b32 exec_lo, exec_lo, s40
	s_and_saveexec_b32 s40, s34
	s_cbranch_execz .LBB427_528
.LBB427_598:                            ;   in Loop: Header=BB427_418 Depth=2
	ds_read_u8 v39, v0 offset:1792
	s_waitcnt lgkmcnt(0)
	v_lshrrev_b32_e32 v39, s61, v39
	v_and_b32_e32 v129, s62, v39
	s_or_b32 exec_lo, exec_lo, s40
	s_and_saveexec_b32 s40, s33
	s_cbranch_execz .LBB427_529
.LBB427_599:                            ;   in Loop: Header=BB427_418 Depth=2
	ds_read_u8 v39, v0 offset:2048
	s_waitcnt lgkmcnt(0)
	v_lshrrev_b32_e32 v39, s61, v39
	v_and_b32_e32 v128, s62, v39
	s_or_b32 exec_lo, exec_lo, s40
	s_and_saveexec_b32 s40, s31
	s_cbranch_execz .LBB427_530
.LBB427_600:                            ;   in Loop: Header=BB427_418 Depth=2
	ds_read_u8 v39, v0 offset:2304
	s_waitcnt lgkmcnt(0)
	v_lshrrev_b32_e32 v39, s61, v39
	v_and_b32_e32 v127, s62, v39
	s_or_b32 exec_lo, exec_lo, s40
	s_and_saveexec_b32 s40, s30
	s_cbranch_execz .LBB427_531
.LBB427_601:                            ;   in Loop: Header=BB427_418 Depth=2
	ds_read_u8 v39, v0 offset:2560
	s_waitcnt lgkmcnt(0)
	v_lshrrev_b32_e32 v39, s61, v39
	v_and_b32_e32 v126, s62, v39
	s_or_b32 exec_lo, exec_lo, s40
	s_and_saveexec_b32 s40, s29
	s_cbranch_execz .LBB427_532
.LBB427_602:                            ;   in Loop: Header=BB427_418 Depth=2
	ds_read_u8 v39, v0 offset:2816
	s_waitcnt lgkmcnt(0)
	v_lshrrev_b32_e32 v39, s61, v39
	v_and_b32_e32 v125, s62, v39
	s_or_b32 exec_lo, exec_lo, s40
	s_and_saveexec_b32 s40, s28
	s_cbranch_execz .LBB427_533
.LBB427_603:                            ;   in Loop: Header=BB427_418 Depth=2
	ds_read_u8 v39, v0 offset:3072
	s_waitcnt lgkmcnt(0)
	v_lshrrev_b32_e32 v39, s61, v39
	v_and_b32_e32 v124, s62, v39
	s_or_b32 exec_lo, exec_lo, s40
	s_and_saveexec_b32 s40, s27
	s_cbranch_execz .LBB427_534
.LBB427_604:                            ;   in Loop: Header=BB427_418 Depth=2
	ds_read_u8 v39, v0 offset:3328
	s_waitcnt lgkmcnt(0)
	v_lshrrev_b32_e32 v39, s61, v39
	v_and_b32_e32 v123, s62, v39
	s_or_b32 exec_lo, exec_lo, s40
	s_and_saveexec_b32 s40, s26
	s_cbranch_execz .LBB427_535
.LBB427_605:                            ;   in Loop: Header=BB427_418 Depth=2
	ds_read_u8 v39, v0 offset:3584
	s_waitcnt lgkmcnt(0)
	v_lshrrev_b32_e32 v39, s61, v39
	v_and_b32_e32 v122, s62, v39
	s_or_b32 exec_lo, exec_lo, s40
	s_and_saveexec_b32 s40, s25
	s_cbranch_execz .LBB427_536
.LBB427_606:                            ;   in Loop: Header=BB427_418 Depth=2
	ds_read_u8 v39, v0 offset:3840
	s_waitcnt lgkmcnt(0)
	v_lshrrev_b32_e32 v39, s61, v39
	v_and_b32_e32 v121, s62, v39
	s_or_b32 exec_lo, exec_lo, s40
	s_and_saveexec_b32 s40, s24
	s_cbranch_execz .LBB427_537
.LBB427_607:                            ;   in Loop: Header=BB427_418 Depth=2
	ds_read_u8 v39, v0 offset:4096
	s_waitcnt lgkmcnt(0)
	v_lshrrev_b32_e32 v39, s61, v39
	v_and_b32_e32 v120, s62, v39
	s_or_b32 exec_lo, exec_lo, s40
	s_and_saveexec_b32 s40, s23
	s_cbranch_execz .LBB427_538
.LBB427_608:                            ;   in Loop: Header=BB427_418 Depth=2
	ds_read_u8 v39, v0 offset:4352
	s_waitcnt lgkmcnt(0)
	v_lshrrev_b32_e32 v39, s61, v39
	v_and_b32_e32 v119, s62, v39
	s_or_b32 exec_lo, exec_lo, s40
	s_and_saveexec_b32 s40, vcc_lo
	s_cbranch_execnz .LBB427_539
	s_branch .LBB427_540
.LBB427_609:                            ;   in Loop: Header=BB427_418 Depth=2
	v_lshlrev_b32_e32 v3, 2, v134
	v_add_nc_u32_e32 v39, v0, v75
	ds_read_b32 v3, v3
	ds_read_b64 v[39:40], v39 offset:512
	s_waitcnt lgkmcnt(1)
	v_add_nc_u32_e32 v3, v3, v0
	v_lshlrev_b64 v[41:42], 3, v[3:4]
	v_add_co_u32 v41, s39, s54, v41
	v_add_co_ci_u32_e64 v42, null, s55, v42, s39
	s_waitcnt lgkmcnt(0)
	global_store_dwordx2 v[41:42], v[39:40], off
	s_or_b32 exec_lo, exec_lo, s40
	s_and_saveexec_b32 s39, s38
	s_cbranch_execz .LBB427_542
.LBB427_610:                            ;   in Loop: Header=BB427_418 Depth=2
	v_lshlrev_b32_e32 v3, 2, v133
	v_add_nc_u32_e32 v39, v0, v75
	ds_read_b32 v3, v3
	ds_read_b64 v[39:40], v39 offset:2560
	s_waitcnt lgkmcnt(1)
	v_add_nc_u32_e32 v3, v3, v44
	v_lshlrev_b64 v[41:42], 3, v[3:4]
	v_add_co_u32 v41, s38, s54, v41
	v_add_co_ci_u32_e64 v42, null, s55, v42, s38
	s_waitcnt lgkmcnt(0)
	global_store_dwordx2 v[41:42], v[39:40], off
	s_or_b32 exec_lo, exec_lo, s39
	s_and_saveexec_b32 s38, s37
	s_cbranch_execz .LBB427_543
.LBB427_611:                            ;   in Loop: Header=BB427_418 Depth=2
	v_lshlrev_b32_e32 v3, 2, v132
	v_add_nc_u32_e32 v39, v0, v75
	ds_read_b32 v3, v3
	ds_read_b64 v[39:40], v39 offset:4608
	s_waitcnt lgkmcnt(1)
	v_add_nc_u32_e32 v3, v3, v47
	v_lshlrev_b64 v[41:42], 3, v[3:4]
	v_add_co_u32 v41, s37, s54, v41
	v_add_co_ci_u32_e64 v42, null, s55, v42, s37
	s_waitcnt lgkmcnt(0)
	global_store_dwordx2 v[41:42], v[39:40], off
	s_or_b32 exec_lo, exec_lo, s38
	s_and_saveexec_b32 s37, s36
	s_cbranch_execz .LBB427_544
.LBB427_612:                            ;   in Loop: Header=BB427_418 Depth=2
	v_lshlrev_b32_e32 v3, 2, v131
	v_add_nc_u32_e32 v39, v0, v75
	ds_read_b32 v3, v3
	ds_read_b64 v[39:40], v39 offset:6656
	s_waitcnt lgkmcnt(1)
	v_add_nc_u32_e32 v3, v3, v48
	v_lshlrev_b64 v[41:42], 3, v[3:4]
	v_add_co_u32 v41, s36, s54, v41
	v_add_co_ci_u32_e64 v42, null, s55, v42, s36
	s_waitcnt lgkmcnt(0)
	global_store_dwordx2 v[41:42], v[39:40], off
	s_or_b32 exec_lo, exec_lo, s37
	s_and_saveexec_b32 s36, s35
	s_cbranch_execz .LBB427_545
.LBB427_613:                            ;   in Loop: Header=BB427_418 Depth=2
	v_lshlrev_b32_e32 v3, 2, v130
	v_add_nc_u32_e32 v39, v0, v75
	ds_read_b32 v3, v3
	ds_read_b64 v[39:40], v39 offset:8704
	s_waitcnt lgkmcnt(1)
	v_add_nc_u32_e32 v3, v3, v49
	v_lshlrev_b64 v[41:42], 3, v[3:4]
	v_add_co_u32 v41, s35, s54, v41
	v_add_co_ci_u32_e64 v42, null, s55, v42, s35
	s_waitcnt lgkmcnt(0)
	global_store_dwordx2 v[41:42], v[39:40], off
	s_or_b32 exec_lo, exec_lo, s36
	s_and_saveexec_b32 s35, s34
	s_cbranch_execz .LBB427_546
.LBB427_614:                            ;   in Loop: Header=BB427_418 Depth=2
	v_lshlrev_b32_e32 v3, 2, v129
	v_add_nc_u32_e32 v39, v0, v75
	ds_read_b32 v3, v3
	ds_read_b64 v[39:40], v39 offset:10752
	s_waitcnt lgkmcnt(1)
	v_add_nc_u32_e32 v3, v3, v50
	v_lshlrev_b64 v[41:42], 3, v[3:4]
	v_add_co_u32 v41, s34, s54, v41
	v_add_co_ci_u32_e64 v42, null, s55, v42, s34
	s_waitcnt lgkmcnt(0)
	global_store_dwordx2 v[41:42], v[39:40], off
	s_or_b32 exec_lo, exec_lo, s35
	s_and_saveexec_b32 s34, s33
	s_cbranch_execz .LBB427_547
.LBB427_615:                            ;   in Loop: Header=BB427_418 Depth=2
	v_lshlrev_b32_e32 v3, 2, v128
	v_add_nc_u32_e32 v39, v0, v75
	ds_read_b32 v3, v3
	ds_read_b64 v[39:40], v39 offset:12800
	s_waitcnt lgkmcnt(1)
	v_add_nc_u32_e32 v3, v3, v51
	v_lshlrev_b64 v[41:42], 3, v[3:4]
	v_add_co_u32 v41, s33, s54, v41
	v_add_co_ci_u32_e64 v42, null, s55, v42, s33
	s_waitcnt lgkmcnt(0)
	global_store_dwordx2 v[41:42], v[39:40], off
	s_or_b32 exec_lo, exec_lo, s34
	s_and_saveexec_b32 s33, s31
	s_cbranch_execz .LBB427_548
.LBB427_616:                            ;   in Loop: Header=BB427_418 Depth=2
	v_lshlrev_b32_e32 v3, 2, v127
	v_add_nc_u32_e32 v39, v0, v75
	ds_read_b32 v3, v3
	ds_read_b64 v[39:40], v39 offset:14848
	s_waitcnt lgkmcnt(1)
	v_add_nc_u32_e32 v3, v3, v52
	v_lshlrev_b64 v[41:42], 3, v[3:4]
	v_add_co_u32 v41, s31, s54, v41
	v_add_co_ci_u32_e64 v42, null, s55, v42, s31
	s_waitcnt lgkmcnt(0)
	global_store_dwordx2 v[41:42], v[39:40], off
	s_or_b32 exec_lo, exec_lo, s33
	s_and_saveexec_b32 s31, s30
	s_cbranch_execz .LBB427_549
.LBB427_617:                            ;   in Loop: Header=BB427_418 Depth=2
	v_lshlrev_b32_e32 v3, 2, v126
	v_add_nc_u32_e32 v39, v0, v75
	ds_read_b32 v3, v3
	ds_read_b64 v[39:40], v39 offset:16896
	s_waitcnt lgkmcnt(1)
	v_add_nc_u32_e32 v3, v3, v53
	v_lshlrev_b64 v[41:42], 3, v[3:4]
	v_add_co_u32 v41, s30, s54, v41
	v_add_co_ci_u32_e64 v42, null, s55, v42, s30
	s_waitcnt lgkmcnt(0)
	global_store_dwordx2 v[41:42], v[39:40], off
	s_or_b32 exec_lo, exec_lo, s31
	s_and_saveexec_b32 s30, s29
	s_cbranch_execz .LBB427_550
.LBB427_618:                            ;   in Loop: Header=BB427_418 Depth=2
	v_lshlrev_b32_e32 v3, 2, v125
	v_add_nc_u32_e32 v39, v0, v75
	ds_read_b32 v3, v3
	ds_read_b64 v[39:40], v39 offset:18944
	s_waitcnt lgkmcnt(1)
	v_add_nc_u32_e32 v3, v3, v54
	v_lshlrev_b64 v[41:42], 3, v[3:4]
	v_add_co_u32 v41, s29, s54, v41
	v_add_co_ci_u32_e64 v42, null, s55, v42, s29
	s_waitcnt lgkmcnt(0)
	global_store_dwordx2 v[41:42], v[39:40], off
	s_or_b32 exec_lo, exec_lo, s30
	s_and_saveexec_b32 s29, s28
	s_cbranch_execz .LBB427_551
.LBB427_619:                            ;   in Loop: Header=BB427_418 Depth=2
	v_lshlrev_b32_e32 v3, 2, v124
	v_add_nc_u32_e32 v39, v0, v75
	ds_read_b32 v3, v3
	ds_read_b64 v[39:40], v39 offset:20992
	s_waitcnt lgkmcnt(1)
	v_add_nc_u32_e32 v3, v3, v55
	v_lshlrev_b64 v[41:42], 3, v[3:4]
	v_add_co_u32 v41, s28, s54, v41
	v_add_co_ci_u32_e64 v42, null, s55, v42, s28
	s_waitcnt lgkmcnt(0)
	global_store_dwordx2 v[41:42], v[39:40], off
	s_or_b32 exec_lo, exec_lo, s29
	s_and_saveexec_b32 s28, s27
	s_cbranch_execz .LBB427_552
.LBB427_620:                            ;   in Loop: Header=BB427_418 Depth=2
	v_lshlrev_b32_e32 v3, 2, v123
	v_add_nc_u32_e32 v39, v0, v75
	ds_read_b32 v3, v3
	ds_read_b64 v[39:40], v39 offset:23040
	s_waitcnt lgkmcnt(1)
	v_add_nc_u32_e32 v3, v3, v56
	v_lshlrev_b64 v[41:42], 3, v[3:4]
	v_add_co_u32 v41, s27, s54, v41
	v_add_co_ci_u32_e64 v42, null, s55, v42, s27
	s_waitcnt lgkmcnt(0)
	global_store_dwordx2 v[41:42], v[39:40], off
	s_or_b32 exec_lo, exec_lo, s28
	s_and_saveexec_b32 s27, s26
	s_cbranch_execz .LBB427_553
.LBB427_621:                            ;   in Loop: Header=BB427_418 Depth=2
	v_lshlrev_b32_e32 v3, 2, v122
	v_add_nc_u32_e32 v39, v0, v75
	ds_read_b32 v3, v3
	ds_read_b64 v[39:40], v39 offset:25088
	s_waitcnt lgkmcnt(1)
	v_add_nc_u32_e32 v3, v3, v57
	v_lshlrev_b64 v[41:42], 3, v[3:4]
	v_add_co_u32 v41, s26, s54, v41
	v_add_co_ci_u32_e64 v42, null, s55, v42, s26
	s_waitcnt lgkmcnt(0)
	global_store_dwordx2 v[41:42], v[39:40], off
	s_or_b32 exec_lo, exec_lo, s27
	s_and_saveexec_b32 s26, s25
	s_cbranch_execz .LBB427_554
.LBB427_622:                            ;   in Loop: Header=BB427_418 Depth=2
	v_lshlrev_b32_e32 v3, 2, v121
	v_add_nc_u32_e32 v39, v0, v75
	ds_read_b32 v3, v3
	ds_read_b64 v[39:40], v39 offset:27136
	s_waitcnt lgkmcnt(1)
	v_add_nc_u32_e32 v3, v3, v58
	v_lshlrev_b64 v[41:42], 3, v[3:4]
	v_add_co_u32 v41, s25, s54, v41
	v_add_co_ci_u32_e64 v42, null, s55, v42, s25
	s_waitcnt lgkmcnt(0)
	global_store_dwordx2 v[41:42], v[39:40], off
	s_or_b32 exec_lo, exec_lo, s26
	s_and_saveexec_b32 s25, s24
	s_cbranch_execz .LBB427_555
.LBB427_623:                            ;   in Loop: Header=BB427_418 Depth=2
	v_lshlrev_b32_e32 v3, 2, v120
	v_add_nc_u32_e32 v39, v0, v75
	ds_read_b32 v3, v3
	ds_read_b64 v[39:40], v39 offset:29184
	s_waitcnt lgkmcnt(1)
	v_add_nc_u32_e32 v3, v3, v59
	v_lshlrev_b64 v[41:42], 3, v[3:4]
	v_add_co_u32 v41, s24, s54, v41
	v_add_co_ci_u32_e64 v42, null, s55, v42, s24
	s_waitcnt lgkmcnt(0)
	global_store_dwordx2 v[41:42], v[39:40], off
	s_or_b32 exec_lo, exec_lo, s25
	s_and_saveexec_b32 s24, s23
	s_cbranch_execz .LBB427_556
.LBB427_624:                            ;   in Loop: Header=BB427_418 Depth=2
	v_lshlrev_b32_e32 v3, 2, v119
	v_add_nc_u32_e32 v39, v0, v75
	ds_read_b32 v3, v3
	ds_read_b64 v[39:40], v39 offset:31232
	s_waitcnt lgkmcnt(1)
	v_add_nc_u32_e32 v3, v3, v60
	v_lshlrev_b64 v[41:42], 3, v[3:4]
	v_add_co_u32 v41, s23, s54, v41
	v_add_co_ci_u32_e64 v42, null, s55, v42, s23
	s_waitcnt lgkmcnt(0)
	global_store_dwordx2 v[41:42], v[39:40], off
	s_or_b32 exec_lo, exec_lo, s24
	s_and_saveexec_b32 s23, vcc_lo
	s_cbranch_execnz .LBB427_557
	s_branch .LBB427_558
.LBB427_625:                            ;   in Loop: Header=BB427_418 Depth=2
	global_load_ubyte v146, v[39:40], off
	v_mov_b32_e32 v117, 0x7f
	v_mov_b32_e32 v147, 0x7f
	v_mov_b32_e32 v148, 0x7f
	v_mov_b32_e32 v151, 0x7f
	v_mov_b32_e32 v150, 0x7f
	v_mov_b32_e32 v143, 0x7f
	v_mov_b32_e32 v144, 0x7f
	v_mov_b32_e32 v145, 0x7f
	v_mov_b32_e32 v142, 0x7f
	v_mov_b32_e32 v139, 0x7f
	v_mov_b32_e32 v140, 0x7f
	v_mov_b32_e32 v141, 0x7f
	v_mov_b32_e32 v137, 0x7f
	v_mov_b32_e32 v3, 0x7f
	v_mov_b32_e32 v41, 0x7f
	v_mov_b32_e32 v42, 0x7f
	s_or_b32 exec_lo, exec_lo, s23
	s_mov_b32 s23, exec_lo
	v_cmpx_gt_u32_e64 s63, v100
	s_cbranch_execz .LBB427_423
.LBB427_626:                            ;   in Loop: Header=BB427_418 Depth=2
	global_load_ubyte v147, v[39:40], off offset:32
	s_or_b32 exec_lo, exec_lo, s23
	s_mov_b32 s23, exec_lo
	v_cmpx_gt_u32_e64 s63, v101
	s_cbranch_execz .LBB427_424
.LBB427_627:                            ;   in Loop: Header=BB427_418 Depth=2
	global_load_ubyte v148, v[39:40], off offset:64
	s_or_b32 exec_lo, exec_lo, s23
	s_mov_b32 s23, exec_lo
	v_cmpx_gt_u32_e64 s63, v102
	s_cbranch_execz .LBB427_425
.LBB427_628:                            ;   in Loop: Header=BB427_418 Depth=2
	global_load_ubyte v151, v[39:40], off offset:96
	s_or_b32 exec_lo, exec_lo, s23
	s_mov_b32 s23, exec_lo
	v_cmpx_gt_u32_e64 s63, v103
	s_cbranch_execz .LBB427_426
.LBB427_629:                            ;   in Loop: Header=BB427_418 Depth=2
	global_load_ubyte v150, v[39:40], off offset:128
	s_or_b32 exec_lo, exec_lo, s23
	s_mov_b32 s23, exec_lo
	v_cmpx_gt_u32_e64 s63, v104
	s_cbranch_execz .LBB427_427
.LBB427_630:                            ;   in Loop: Header=BB427_418 Depth=2
	global_load_ubyte v143, v[39:40], off offset:160
	s_or_b32 exec_lo, exec_lo, s23
	s_mov_b32 s23, exec_lo
	v_cmpx_gt_u32_e64 s63, v105
	s_cbranch_execz .LBB427_428
.LBB427_631:                            ;   in Loop: Header=BB427_418 Depth=2
	global_load_ubyte v144, v[39:40], off offset:192
	s_or_b32 exec_lo, exec_lo, s23
	s_mov_b32 s23, exec_lo
	v_cmpx_gt_u32_e64 s63, v106
	s_cbranch_execz .LBB427_429
.LBB427_632:                            ;   in Loop: Header=BB427_418 Depth=2
	global_load_ubyte v145, v[39:40], off offset:224
	s_or_b32 exec_lo, exec_lo, s23
	s_mov_b32 s23, exec_lo
	v_cmpx_gt_u32_e64 s63, v107
	s_cbranch_execz .LBB427_430
.LBB427_633:                            ;   in Loop: Header=BB427_418 Depth=2
	global_load_ubyte v142, v[39:40], off offset:256
	s_or_b32 exec_lo, exec_lo, s23
	s_mov_b32 s23, exec_lo
	v_cmpx_gt_u32_e64 s63, v108
	s_cbranch_execz .LBB427_431
.LBB427_634:                            ;   in Loop: Header=BB427_418 Depth=2
	global_load_ubyte v139, v[39:40], off offset:288
	s_or_b32 exec_lo, exec_lo, s23
	s_mov_b32 s23, exec_lo
	v_cmpx_gt_u32_e64 s63, v109
	s_cbranch_execz .LBB427_432
.LBB427_635:                            ;   in Loop: Header=BB427_418 Depth=2
	global_load_ubyte v140, v[39:40], off offset:320
	s_or_b32 exec_lo, exec_lo, s23
	s_mov_b32 s23, exec_lo
	v_cmpx_gt_u32_e64 s63, v110
	s_cbranch_execz .LBB427_433
.LBB427_636:                            ;   in Loop: Header=BB427_418 Depth=2
	global_load_ubyte v141, v[39:40], off offset:352
	s_or_b32 exec_lo, exec_lo, s23
	s_mov_b32 s23, exec_lo
	v_cmpx_gt_u32_e64 s63, v111
	s_cbranch_execz .LBB427_434
.LBB427_637:                            ;   in Loop: Header=BB427_418 Depth=2
	global_load_ubyte v137, v[39:40], off offset:384
	s_or_b32 exec_lo, exec_lo, s23
	s_mov_b32 s23, exec_lo
	v_cmpx_gt_u32_e64 s63, v112
	s_cbranch_execz .LBB427_435
.LBB427_638:                            ;   in Loop: Header=BB427_418 Depth=2
	global_load_ubyte v3, v[39:40], off offset:416
	s_or_b32 exec_lo, exec_lo, s23
	s_mov_b32 s23, exec_lo
	v_cmpx_gt_u32_e64 s63, v113
	s_cbranch_execz .LBB427_436
.LBB427_639:                            ;   in Loop: Header=BB427_418 Depth=2
	global_load_ubyte v41, v[39:40], off offset:448
	s_or_b32 exec_lo, exec_lo, s23
	s_mov_b32 s23, exec_lo
	v_cmpx_gt_u32_e64 s63, v114
	s_cbranch_execnz .LBB427_437
	s_branch .LBB427_438
.LBB427_640:                            ;   in Loop: Header=BB427_20 Depth=1
	s_waitcnt lgkmcnt(0)
	s_barrier
.LBB427_641:                            ;   in Loop: Header=BB427_20 Depth=1
	s_mov_b32 s5, 0
.LBB427_642:                            ;   in Loop: Header=BB427_20 Depth=1
	s_andn2_b32 vcc_lo, exec_lo, s5
	s_cbranch_vccnz .LBB427_19
; %bb.643:                              ;   in Loop: Header=BB427_20 Depth=1
	s_and_b32 vcc_lo, exec_lo, s43
	s_mov_b32 s5, -1
	s_cbranch_vccz .LBB427_953
; %bb.644:                              ;   in Loop: Header=BB427_20 Depth=1
	v_mov_b32_e32 v17, 0
	v_mov_b32_e32 v20, 0
	;; [unrolled: 1-line block ×17, first 2 shown]
	s_mov_b32 s5, s60
	s_mov_b32 s17, s58
	s_barrier
	buffer_gl0_inv
	s_branch .LBB427_646
.LBB427_645:                            ;   in Loop: Header=BB427_646 Depth=2
	s_or_b32 exec_lo, exec_lo, s16
	s_addk_i32 s5, 0xef00
	s_cmp_ge_u32 s15, s59
	s_mov_b32 s17, s15
	s_cbranch_scc1 .LBB427_718
.LBB427_646:                            ;   Parent Loop BB427_20 Depth=1
                                        ; =>  This Inner Loop Header: Depth=2
	s_add_i32 s15, s17, 0x1100
	s_mov_b32 s16, -1
	s_cmp_gt_u32 s15, s59
                                        ; implicit-def: $vgpr21
                                        ; implicit-def: $vgpr22
                                        ; implicit-def: $vgpr23
                                        ; implicit-def: $vgpr24
                                        ; implicit-def: $vgpr25
                                        ; implicit-def: $vgpr26
                                        ; implicit-def: $vgpr27
                                        ; implicit-def: $vgpr28
                                        ; implicit-def: $vgpr29
                                        ; implicit-def: $vgpr30
                                        ; implicit-def: $vgpr31
                                        ; implicit-def: $vgpr32
                                        ; implicit-def: $vgpr33
                                        ; implicit-def: $vgpr34
                                        ; implicit-def: $vgpr35
                                        ; implicit-def: $vgpr36
                                        ; implicit-def: $vgpr37
	s_cbranch_scc1 .LBB427_648
; %bb.647:                              ;   in Loop: Header=BB427_646 Depth=2
	v_add_co_u32 v38, vcc_lo, v82, s17
	v_add_co_ci_u32_e64 v39, null, 0, v83, vcc_lo
	s_mov_b32 s16, 0
	v_add_co_u32 v21, vcc_lo, 0x800, v38
	v_add_co_ci_u32_e64 v22, null, 0, v39, vcc_lo
	v_add_co_u32 v23, vcc_lo, 0x1000, v38
	v_add_co_ci_u32_e64 v24, null, 0, v39, vcc_lo
	s_clause 0x10
	global_load_ubyte v36, v[21:22], off offset:1792
	global_load_ubyte v37, v[23:24], off
	global_load_ubyte v35, v[21:22], off offset:1536
	global_load_ubyte v34, v[21:22], off offset:1280
	global_load_ubyte v33, v[21:22], off offset:1024
	global_load_ubyte v32, v[21:22], off offset:768
	global_load_ubyte v31, v[21:22], off offset:512
	global_load_ubyte v30, v[21:22], off offset:256
	global_load_ubyte v29, v[21:22], off
	global_load_ubyte v28, v[38:39], off offset:1792
	global_load_ubyte v27, v[38:39], off offset:1536
	;; [unrolled: 1-line block ×7, first 2 shown]
	global_load_ubyte v21, v[38:39], off
.LBB427_648:                            ;   in Loop: Header=BB427_646 Depth=2
	s_andn2_b32 vcc_lo, exec_lo, s16
	s_movk_i32 s16, 0x1100
	s_cbranch_vccnz .LBB427_668
; %bb.649:                              ;   in Loop: Header=BB427_646 Depth=2
	s_add_u32 s16, s44, s17
	s_addc_u32 s17, s45, 0
	s_mov_b32 s18, exec_lo
	v_cmpx_gt_u32_e64 s5, v0
	s_cbranch_execnz .LBB427_702
; %bb.650:                              ;   in Loop: Header=BB427_646 Depth=2
	s_or_b32 exec_lo, exec_lo, s18
	s_mov_b32 s18, exec_lo
	v_cmpx_gt_u32_e64 s5, v44
	s_cbranch_execnz .LBB427_703
.LBB427_651:                            ;   in Loop: Header=BB427_646 Depth=2
	s_or_b32 exec_lo, exec_lo, s18
	s_mov_b32 s18, exec_lo
	v_cmpx_gt_u32_e64 s5, v47
	s_cbranch_execnz .LBB427_704
.LBB427_652:                            ;   in Loop: Header=BB427_646 Depth=2
	s_or_b32 exec_lo, exec_lo, s18
	s_mov_b32 s18, exec_lo
	v_cmpx_gt_u32_e64 s5, v48
	s_cbranch_execnz .LBB427_705
.LBB427_653:                            ;   in Loop: Header=BB427_646 Depth=2
	s_or_b32 exec_lo, exec_lo, s18
	s_mov_b32 s18, exec_lo
	v_cmpx_gt_u32_e64 s5, v49
	s_cbranch_execnz .LBB427_706
.LBB427_654:                            ;   in Loop: Header=BB427_646 Depth=2
	s_or_b32 exec_lo, exec_lo, s18
	s_mov_b32 s18, exec_lo
	v_cmpx_gt_u32_e64 s5, v50
	s_cbranch_execnz .LBB427_707
.LBB427_655:                            ;   in Loop: Header=BB427_646 Depth=2
	s_or_b32 exec_lo, exec_lo, s18
	s_mov_b32 s18, exec_lo
	v_cmpx_gt_u32_e64 s5, v51
	s_cbranch_execnz .LBB427_708
.LBB427_656:                            ;   in Loop: Header=BB427_646 Depth=2
	s_or_b32 exec_lo, exec_lo, s18
	s_mov_b32 s18, exec_lo
	v_cmpx_gt_u32_e64 s5, v52
	s_cbranch_execnz .LBB427_709
.LBB427_657:                            ;   in Loop: Header=BB427_646 Depth=2
	s_or_b32 exec_lo, exec_lo, s18
	s_mov_b32 s18, exec_lo
	v_cmpx_gt_u32_e64 s5, v53
	s_cbranch_execnz .LBB427_710
.LBB427_658:                            ;   in Loop: Header=BB427_646 Depth=2
	s_or_b32 exec_lo, exec_lo, s18
	s_mov_b32 s18, exec_lo
	v_cmpx_gt_u32_e64 s5, v54
	s_cbranch_execnz .LBB427_711
.LBB427_659:                            ;   in Loop: Header=BB427_646 Depth=2
	s_or_b32 exec_lo, exec_lo, s18
	s_mov_b32 s18, exec_lo
	v_cmpx_gt_u32_e64 s5, v55
	s_cbranch_execnz .LBB427_712
.LBB427_660:                            ;   in Loop: Header=BB427_646 Depth=2
	s_or_b32 exec_lo, exec_lo, s18
	s_mov_b32 s18, exec_lo
	v_cmpx_gt_u32_e64 s5, v56
	s_cbranch_execnz .LBB427_713
.LBB427_661:                            ;   in Loop: Header=BB427_646 Depth=2
	s_or_b32 exec_lo, exec_lo, s18
	s_mov_b32 s18, exec_lo
	v_cmpx_gt_u32_e64 s5, v57
	s_cbranch_execnz .LBB427_714
.LBB427_662:                            ;   in Loop: Header=BB427_646 Depth=2
	s_or_b32 exec_lo, exec_lo, s18
	s_mov_b32 s18, exec_lo
	v_cmpx_gt_u32_e64 s5, v58
	s_cbranch_execnz .LBB427_715
.LBB427_663:                            ;   in Loop: Header=BB427_646 Depth=2
	s_or_b32 exec_lo, exec_lo, s18
	s_mov_b32 s18, exec_lo
	v_cmpx_gt_u32_e64 s5, v59
	s_cbranch_execnz .LBB427_716
.LBB427_664:                            ;   in Loop: Header=BB427_646 Depth=2
	s_or_b32 exec_lo, exec_lo, s18
	s_mov_b32 s18, exec_lo
	v_cmpx_gt_u32_e64 s5, v60
	s_cbranch_execnz .LBB427_717
.LBB427_665:                            ;   in Loop: Header=BB427_646 Depth=2
	s_or_b32 exec_lo, exec_lo, s18
	s_mov_b32 s18, exec_lo
	v_cmpx_gt_u32_e64 s5, v61
	s_cbranch_execz .LBB427_667
.LBB427_666:                            ;   in Loop: Header=BB427_646 Depth=2
	s_waitcnt vmcnt(0)
	v_add_co_u32 v21, s16, s16, v61
	v_add_co_ci_u32_e64 v22, null, s17, 0, s16
	global_load_ubyte v3, v[21:22], off
.LBB427_667:                            ;   in Loop: Header=BB427_646 Depth=2
	s_or_b32 exec_lo, exec_lo, s18
	s_waitcnt vmcnt(0)
	v_mov_b32_e32 v21, v17
	v_mov_b32_e32 v22, v20
	;; [unrolled: 1-line block ×17, first 2 shown]
	s_mov_b32 s16, s5
.LBB427_668:                            ;   in Loop: Header=BB427_646 Depth=2
	s_waitcnt vmcnt(15)
	v_mov_b32_e32 v3, v37
	v_mov_b32_e32 v5, v36
	s_waitcnt vmcnt(14)
	v_mov_b32_e32 v6, v35
	s_waitcnt vmcnt(13)
	;; [unrolled: 2-line block ×15, first 2 shown]
	v_mov_b32_e32 v17, v21
	s_mov_b32 s17, exec_lo
	v_cmpx_gt_u32_e64 s16, v0
	s_cbranch_execnz .LBB427_685
; %bb.669:                              ;   in Loop: Header=BB427_646 Depth=2
	s_or_b32 exec_lo, exec_lo, s17
	s_mov_b32 s17, exec_lo
	v_cmpx_gt_u32_e64 s16, v44
	s_cbranch_execnz .LBB427_686
.LBB427_670:                            ;   in Loop: Header=BB427_646 Depth=2
	s_or_b32 exec_lo, exec_lo, s17
	s_mov_b32 s17, exec_lo
	v_cmpx_gt_u32_e64 s16, v47
	s_cbranch_execnz .LBB427_687
.LBB427_671:                            ;   in Loop: Header=BB427_646 Depth=2
	s_or_b32 exec_lo, exec_lo, s17
	s_mov_b32 s17, exec_lo
	v_cmpx_gt_u32_e64 s16, v48
	s_cbranch_execnz .LBB427_688
.LBB427_672:                            ;   in Loop: Header=BB427_646 Depth=2
	s_or_b32 exec_lo, exec_lo, s17
	s_mov_b32 s17, exec_lo
	v_cmpx_gt_u32_e64 s16, v49
	s_cbranch_execnz .LBB427_689
.LBB427_673:                            ;   in Loop: Header=BB427_646 Depth=2
	s_or_b32 exec_lo, exec_lo, s17
	s_mov_b32 s17, exec_lo
	v_cmpx_gt_u32_e64 s16, v50
	s_cbranch_execnz .LBB427_690
.LBB427_674:                            ;   in Loop: Header=BB427_646 Depth=2
	s_or_b32 exec_lo, exec_lo, s17
	s_mov_b32 s17, exec_lo
	v_cmpx_gt_u32_e64 s16, v51
	s_cbranch_execnz .LBB427_691
.LBB427_675:                            ;   in Loop: Header=BB427_646 Depth=2
	s_or_b32 exec_lo, exec_lo, s17
	s_mov_b32 s17, exec_lo
	v_cmpx_gt_u32_e64 s16, v52
	s_cbranch_execnz .LBB427_692
.LBB427_676:                            ;   in Loop: Header=BB427_646 Depth=2
	s_or_b32 exec_lo, exec_lo, s17
	s_mov_b32 s17, exec_lo
	v_cmpx_gt_u32_e64 s16, v53
	s_cbranch_execnz .LBB427_693
.LBB427_677:                            ;   in Loop: Header=BB427_646 Depth=2
	s_or_b32 exec_lo, exec_lo, s17
	s_mov_b32 s17, exec_lo
	v_cmpx_gt_u32_e64 s16, v54
	s_cbranch_execnz .LBB427_694
.LBB427_678:                            ;   in Loop: Header=BB427_646 Depth=2
	s_or_b32 exec_lo, exec_lo, s17
	s_mov_b32 s17, exec_lo
	v_cmpx_gt_u32_e64 s16, v55
	s_cbranch_execnz .LBB427_695
.LBB427_679:                            ;   in Loop: Header=BB427_646 Depth=2
	s_or_b32 exec_lo, exec_lo, s17
	s_mov_b32 s17, exec_lo
	v_cmpx_gt_u32_e64 s16, v56
	s_cbranch_execnz .LBB427_696
.LBB427_680:                            ;   in Loop: Header=BB427_646 Depth=2
	s_or_b32 exec_lo, exec_lo, s17
	s_mov_b32 s17, exec_lo
	v_cmpx_gt_u32_e64 s16, v57
	s_cbranch_execnz .LBB427_697
.LBB427_681:                            ;   in Loop: Header=BB427_646 Depth=2
	s_or_b32 exec_lo, exec_lo, s17
	s_mov_b32 s17, exec_lo
	v_cmpx_gt_u32_e64 s16, v58
	s_cbranch_execnz .LBB427_698
.LBB427_682:                            ;   in Loop: Header=BB427_646 Depth=2
	s_or_b32 exec_lo, exec_lo, s17
	s_mov_b32 s17, exec_lo
	v_cmpx_gt_u32_e64 s16, v59
	s_cbranch_execnz .LBB427_699
.LBB427_683:                            ;   in Loop: Header=BB427_646 Depth=2
	s_or_b32 exec_lo, exec_lo, s17
	s_mov_b32 s17, exec_lo
	v_cmpx_gt_u32_e64 s16, v60
	s_cbranch_execnz .LBB427_700
.LBB427_684:                            ;   in Loop: Header=BB427_646 Depth=2
	s_or_b32 exec_lo, exec_lo, s17
	v_cmp_gt_u32_e32 vcc_lo, s16, v61
	s_and_saveexec_b32 s16, vcc_lo
	s_cbranch_execz .LBB427_645
	s_branch .LBB427_701
.LBB427_685:                            ;   in Loop: Header=BB427_646 Depth=2
	v_xor_b32_e32 v21, 0x80, v17
	v_lshrrev_b32_sdwa v21, s41, v21 dst_sel:DWORD dst_unused:UNUSED_PAD src0_sel:DWORD src1_sel:BYTE_0
	v_and_b32_e32 v21, s62, v21
	v_lshl_or_b32 v21, v21, 4, v63
	ds_add_u32 v21, v89
	s_or_b32 exec_lo, exec_lo, s17
	s_mov_b32 s17, exec_lo
	v_cmpx_gt_u32_e64 s16, v44
	s_cbranch_execz .LBB427_670
.LBB427_686:                            ;   in Loop: Header=BB427_646 Depth=2
	v_xor_b32_e32 v21, 0x80, v20
	v_lshrrev_b32_sdwa v21, s41, v21 dst_sel:DWORD dst_unused:UNUSED_PAD src0_sel:DWORD src1_sel:BYTE_0
	v_and_b32_e32 v21, s62, v21
	v_lshl_or_b32 v21, v21, 4, v63
	ds_add_u32 v21, v89
	s_or_b32 exec_lo, exec_lo, s17
	s_mov_b32 s17, exec_lo
	v_cmpx_gt_u32_e64 s16, v47
	s_cbranch_execz .LBB427_671
.LBB427_687:                            ;   in Loop: Header=BB427_646 Depth=2
	v_xor_b32_e32 v21, 0x80, v19
	v_lshrrev_b32_sdwa v21, s41, v21 dst_sel:DWORD dst_unused:UNUSED_PAD src0_sel:DWORD src1_sel:BYTE_0
	v_and_b32_e32 v21, s62, v21
	v_lshl_or_b32 v21, v21, 4, v63
	ds_add_u32 v21, v89
	s_or_b32 exec_lo, exec_lo, s17
	s_mov_b32 s17, exec_lo
	v_cmpx_gt_u32_e64 s16, v48
	s_cbranch_execz .LBB427_672
.LBB427_688:                            ;   in Loop: Header=BB427_646 Depth=2
	v_xor_b32_e32 v21, 0x80, v18
	v_lshrrev_b32_sdwa v21, s41, v21 dst_sel:DWORD dst_unused:UNUSED_PAD src0_sel:DWORD src1_sel:BYTE_0
	v_and_b32_e32 v21, s62, v21
	v_lshl_or_b32 v21, v21, 4, v63
	ds_add_u32 v21, v89
	s_or_b32 exec_lo, exec_lo, s17
	s_mov_b32 s17, exec_lo
	v_cmpx_gt_u32_e64 s16, v49
	s_cbranch_execz .LBB427_673
.LBB427_689:                            ;   in Loop: Header=BB427_646 Depth=2
	v_xor_b32_e32 v21, 0x80, v16
	v_lshrrev_b32_sdwa v21, s41, v21 dst_sel:DWORD dst_unused:UNUSED_PAD src0_sel:DWORD src1_sel:BYTE_0
	v_and_b32_e32 v21, s62, v21
	v_lshl_or_b32 v21, v21, 4, v63
	ds_add_u32 v21, v89
	s_or_b32 exec_lo, exec_lo, s17
	s_mov_b32 s17, exec_lo
	v_cmpx_gt_u32_e64 s16, v50
	s_cbranch_execz .LBB427_674
.LBB427_690:                            ;   in Loop: Header=BB427_646 Depth=2
	v_xor_b32_e32 v21, 0x80, v15
	v_lshrrev_b32_sdwa v21, s41, v21 dst_sel:DWORD dst_unused:UNUSED_PAD src0_sel:DWORD src1_sel:BYTE_0
	v_and_b32_e32 v21, s62, v21
	v_lshl_or_b32 v21, v21, 4, v63
	ds_add_u32 v21, v89
	s_or_b32 exec_lo, exec_lo, s17
	s_mov_b32 s17, exec_lo
	v_cmpx_gt_u32_e64 s16, v51
	s_cbranch_execz .LBB427_675
.LBB427_691:                            ;   in Loop: Header=BB427_646 Depth=2
	v_xor_b32_e32 v21, 0x80, v14
	v_lshrrev_b32_sdwa v21, s41, v21 dst_sel:DWORD dst_unused:UNUSED_PAD src0_sel:DWORD src1_sel:BYTE_0
	v_and_b32_e32 v21, s62, v21
	v_lshl_or_b32 v21, v21, 4, v63
	ds_add_u32 v21, v89
	s_or_b32 exec_lo, exec_lo, s17
	s_mov_b32 s17, exec_lo
	v_cmpx_gt_u32_e64 s16, v52
	s_cbranch_execz .LBB427_676
.LBB427_692:                            ;   in Loop: Header=BB427_646 Depth=2
	v_xor_b32_e32 v21, 0x80, v13
	v_lshrrev_b32_sdwa v21, s41, v21 dst_sel:DWORD dst_unused:UNUSED_PAD src0_sel:DWORD src1_sel:BYTE_0
	v_and_b32_e32 v21, s62, v21
	v_lshl_or_b32 v21, v21, 4, v63
	ds_add_u32 v21, v89
	s_or_b32 exec_lo, exec_lo, s17
	s_mov_b32 s17, exec_lo
	v_cmpx_gt_u32_e64 s16, v53
	s_cbranch_execz .LBB427_677
.LBB427_693:                            ;   in Loop: Header=BB427_646 Depth=2
	v_xor_b32_e32 v21, 0x80, v12
	v_lshrrev_b32_sdwa v21, s41, v21 dst_sel:DWORD dst_unused:UNUSED_PAD src0_sel:DWORD src1_sel:BYTE_0
	v_and_b32_e32 v21, s62, v21
	v_lshl_or_b32 v21, v21, 4, v63
	ds_add_u32 v21, v89
	s_or_b32 exec_lo, exec_lo, s17
	s_mov_b32 s17, exec_lo
	v_cmpx_gt_u32_e64 s16, v54
	s_cbranch_execz .LBB427_678
.LBB427_694:                            ;   in Loop: Header=BB427_646 Depth=2
	v_xor_b32_e32 v21, 0x80, v11
	v_lshrrev_b32_sdwa v21, s41, v21 dst_sel:DWORD dst_unused:UNUSED_PAD src0_sel:DWORD src1_sel:BYTE_0
	v_and_b32_e32 v21, s62, v21
	v_lshl_or_b32 v21, v21, 4, v63
	ds_add_u32 v21, v89
	s_or_b32 exec_lo, exec_lo, s17
	s_mov_b32 s17, exec_lo
	v_cmpx_gt_u32_e64 s16, v55
	s_cbranch_execz .LBB427_679
.LBB427_695:                            ;   in Loop: Header=BB427_646 Depth=2
	v_xor_b32_e32 v21, 0x80, v10
	v_lshrrev_b32_sdwa v21, s41, v21 dst_sel:DWORD dst_unused:UNUSED_PAD src0_sel:DWORD src1_sel:BYTE_0
	v_and_b32_e32 v21, s62, v21
	v_lshl_or_b32 v21, v21, 4, v63
	ds_add_u32 v21, v89
	s_or_b32 exec_lo, exec_lo, s17
	s_mov_b32 s17, exec_lo
	v_cmpx_gt_u32_e64 s16, v56
	s_cbranch_execz .LBB427_680
.LBB427_696:                            ;   in Loop: Header=BB427_646 Depth=2
	v_xor_b32_e32 v21, 0x80, v9
	v_lshrrev_b32_sdwa v21, s41, v21 dst_sel:DWORD dst_unused:UNUSED_PAD src0_sel:DWORD src1_sel:BYTE_0
	v_and_b32_e32 v21, s62, v21
	v_lshl_or_b32 v21, v21, 4, v63
	ds_add_u32 v21, v89
	s_or_b32 exec_lo, exec_lo, s17
	s_mov_b32 s17, exec_lo
	v_cmpx_gt_u32_e64 s16, v57
	s_cbranch_execz .LBB427_681
.LBB427_697:                            ;   in Loop: Header=BB427_646 Depth=2
	v_xor_b32_e32 v21, 0x80, v8
	v_lshrrev_b32_sdwa v21, s41, v21 dst_sel:DWORD dst_unused:UNUSED_PAD src0_sel:DWORD src1_sel:BYTE_0
	v_and_b32_e32 v21, s62, v21
	v_lshl_or_b32 v21, v21, 4, v63
	ds_add_u32 v21, v89
	s_or_b32 exec_lo, exec_lo, s17
	s_mov_b32 s17, exec_lo
	v_cmpx_gt_u32_e64 s16, v58
	s_cbranch_execz .LBB427_682
.LBB427_698:                            ;   in Loop: Header=BB427_646 Depth=2
	v_xor_b32_e32 v21, 0x80, v7
	v_lshrrev_b32_sdwa v21, s41, v21 dst_sel:DWORD dst_unused:UNUSED_PAD src0_sel:DWORD src1_sel:BYTE_0
	v_and_b32_e32 v21, s62, v21
	v_lshl_or_b32 v21, v21, 4, v63
	ds_add_u32 v21, v89
	s_or_b32 exec_lo, exec_lo, s17
	s_mov_b32 s17, exec_lo
	v_cmpx_gt_u32_e64 s16, v59
	s_cbranch_execz .LBB427_683
.LBB427_699:                            ;   in Loop: Header=BB427_646 Depth=2
	v_xor_b32_e32 v21, 0x80, v6
	v_lshrrev_b32_sdwa v21, s41, v21 dst_sel:DWORD dst_unused:UNUSED_PAD src0_sel:DWORD src1_sel:BYTE_0
	v_and_b32_e32 v21, s62, v21
	v_lshl_or_b32 v21, v21, 4, v63
	ds_add_u32 v21, v89
	s_or_b32 exec_lo, exec_lo, s17
	s_mov_b32 s17, exec_lo
	v_cmpx_gt_u32_e64 s16, v60
	s_cbranch_execz .LBB427_684
.LBB427_700:                            ;   in Loop: Header=BB427_646 Depth=2
	v_xor_b32_e32 v21, 0x80, v5
	v_lshrrev_b32_sdwa v21, s41, v21 dst_sel:DWORD dst_unused:UNUSED_PAD src0_sel:DWORD src1_sel:BYTE_0
	v_and_b32_e32 v21, s62, v21
	v_lshl_or_b32 v21, v21, 4, v63
	ds_add_u32 v21, v89
	s_or_b32 exec_lo, exec_lo, s17
	v_cmp_gt_u32_e32 vcc_lo, s16, v61
	s_and_saveexec_b32 s16, vcc_lo
	s_cbranch_execz .LBB427_645
.LBB427_701:                            ;   in Loop: Header=BB427_646 Depth=2
	v_xor_b32_e32 v21, 0x80, v3
	v_lshrrev_b32_sdwa v21, s41, v21 dst_sel:DWORD dst_unused:UNUSED_PAD src0_sel:DWORD src1_sel:BYTE_0
	v_and_b32_e32 v21, s62, v21
	v_lshl_or_b32 v21, v21, 4, v63
	ds_add_u32 v21, v89
	s_branch .LBB427_645
.LBB427_702:                            ;   in Loop: Header=BB427_646 Depth=2
	s_waitcnt vmcnt(0)
	v_add_co_u32 v21, s19, s16, v0
	v_add_co_ci_u32_e64 v22, null, s17, 0, s19
	global_load_ubyte v17, v[21:22], off
	s_or_b32 exec_lo, exec_lo, s18
	s_mov_b32 s18, exec_lo
	v_cmpx_gt_u32_e64 s5, v44
	s_cbranch_execz .LBB427_651
.LBB427_703:                            ;   in Loop: Header=BB427_646 Depth=2
	v_add_co_u32 v20, s19, s16, v0
	s_waitcnt vmcnt(0)
	v_add_co_ci_u32_e64 v21, null, s17, 0, s19
	global_load_ubyte v20, v[20:21], off offset:256
	s_or_b32 exec_lo, exec_lo, s18
	s_mov_b32 s18, exec_lo
	v_cmpx_gt_u32_e64 s5, v47
	s_cbranch_execz .LBB427_652
.LBB427_704:                            ;   in Loop: Header=BB427_646 Depth=2
	s_waitcnt vmcnt(0)
	v_add_co_u32 v21, s19, s16, v0
	v_add_co_ci_u32_e64 v22, null, s17, 0, s19
	global_load_ubyte v19, v[21:22], off offset:512
	s_or_b32 exec_lo, exec_lo, s18
	s_mov_b32 s18, exec_lo
	v_cmpx_gt_u32_e64 s5, v48
	s_cbranch_execz .LBB427_653
.LBB427_705:                            ;   in Loop: Header=BB427_646 Depth=2
	s_waitcnt vmcnt(0)
	v_add_co_u32 v21, s19, s16, v0
	v_add_co_ci_u32_e64 v22, null, s17, 0, s19
	global_load_ubyte v18, v[21:22], off offset:768
	s_or_b32 exec_lo, exec_lo, s18
	s_mov_b32 s18, exec_lo
	v_cmpx_gt_u32_e64 s5, v49
	s_cbranch_execz .LBB427_654
.LBB427_706:                            ;   in Loop: Header=BB427_646 Depth=2
	s_waitcnt vmcnt(0)
	v_add_co_u32 v21, s19, s16, v0
	v_add_co_ci_u32_e64 v22, null, s17, 0, s19
	global_load_ubyte v16, v[21:22], off offset:1024
	s_or_b32 exec_lo, exec_lo, s18
	s_mov_b32 s18, exec_lo
	v_cmpx_gt_u32_e64 s5, v50
	s_cbranch_execz .LBB427_655
.LBB427_707:                            ;   in Loop: Header=BB427_646 Depth=2
	s_waitcnt vmcnt(0)
	v_add_co_u32 v21, s19, s16, v0
	v_add_co_ci_u32_e64 v22, null, s17, 0, s19
	global_load_ubyte v15, v[21:22], off offset:1280
	s_or_b32 exec_lo, exec_lo, s18
	s_mov_b32 s18, exec_lo
	v_cmpx_gt_u32_e64 s5, v51
	s_cbranch_execz .LBB427_656
.LBB427_708:                            ;   in Loop: Header=BB427_646 Depth=2
	s_waitcnt vmcnt(0)
	v_add_co_u32 v21, s19, s16, v0
	v_add_co_ci_u32_e64 v22, null, s17, 0, s19
	global_load_ubyte v14, v[21:22], off offset:1536
	s_or_b32 exec_lo, exec_lo, s18
	s_mov_b32 s18, exec_lo
	v_cmpx_gt_u32_e64 s5, v52
	s_cbranch_execz .LBB427_657
.LBB427_709:                            ;   in Loop: Header=BB427_646 Depth=2
	s_waitcnt vmcnt(0)
	v_add_co_u32 v21, s19, s16, v0
	v_add_co_ci_u32_e64 v22, null, s17, 0, s19
	global_load_ubyte v13, v[21:22], off offset:1792
	s_or_b32 exec_lo, exec_lo, s18
	s_mov_b32 s18, exec_lo
	v_cmpx_gt_u32_e64 s5, v53
	s_cbranch_execz .LBB427_658
.LBB427_710:                            ;   in Loop: Header=BB427_646 Depth=2
	s_waitcnt vmcnt(0)
	v_add_co_u32 v21, s19, s16, v53
	v_add_co_ci_u32_e64 v22, null, s17, 0, s19
	global_load_ubyte v12, v[21:22], off
	s_or_b32 exec_lo, exec_lo, s18
	s_mov_b32 s18, exec_lo
	v_cmpx_gt_u32_e64 s5, v54
	s_cbranch_execz .LBB427_659
.LBB427_711:                            ;   in Loop: Header=BB427_646 Depth=2
	s_waitcnt vmcnt(0)
	v_add_co_u32 v21, s19, s16, v54
	v_add_co_ci_u32_e64 v22, null, s17, 0, s19
	global_load_ubyte v11, v[21:22], off
	s_or_b32 exec_lo, exec_lo, s18
	s_mov_b32 s18, exec_lo
	v_cmpx_gt_u32_e64 s5, v55
	s_cbranch_execz .LBB427_660
.LBB427_712:                            ;   in Loop: Header=BB427_646 Depth=2
	s_waitcnt vmcnt(0)
	v_add_co_u32 v21, s19, s16, v55
	v_add_co_ci_u32_e64 v22, null, s17, 0, s19
	global_load_ubyte v10, v[21:22], off
	s_or_b32 exec_lo, exec_lo, s18
	s_mov_b32 s18, exec_lo
	v_cmpx_gt_u32_e64 s5, v56
	s_cbranch_execz .LBB427_661
.LBB427_713:                            ;   in Loop: Header=BB427_646 Depth=2
	s_waitcnt vmcnt(0)
	v_add_co_u32 v21, s19, s16, v56
	v_add_co_ci_u32_e64 v22, null, s17, 0, s19
	global_load_ubyte v9, v[21:22], off
	s_or_b32 exec_lo, exec_lo, s18
	s_mov_b32 s18, exec_lo
	v_cmpx_gt_u32_e64 s5, v57
	s_cbranch_execz .LBB427_662
.LBB427_714:                            ;   in Loop: Header=BB427_646 Depth=2
	s_waitcnt vmcnt(0)
	v_add_co_u32 v21, s19, s16, v57
	v_add_co_ci_u32_e64 v22, null, s17, 0, s19
	global_load_ubyte v8, v[21:22], off
	s_or_b32 exec_lo, exec_lo, s18
	s_mov_b32 s18, exec_lo
	v_cmpx_gt_u32_e64 s5, v58
	s_cbranch_execz .LBB427_663
.LBB427_715:                            ;   in Loop: Header=BB427_646 Depth=2
	s_waitcnt vmcnt(0)
	v_add_co_u32 v21, s19, s16, v58
	v_add_co_ci_u32_e64 v22, null, s17, 0, s19
	global_load_ubyte v7, v[21:22], off
	s_or_b32 exec_lo, exec_lo, s18
	s_mov_b32 s18, exec_lo
	v_cmpx_gt_u32_e64 s5, v59
	s_cbranch_execz .LBB427_664
.LBB427_716:                            ;   in Loop: Header=BB427_646 Depth=2
	s_waitcnt vmcnt(0)
	v_add_co_u32 v21, s19, s16, v59
	v_add_co_ci_u32_e64 v22, null, s17, 0, s19
	global_load_ubyte v6, v[21:22], off
	s_or_b32 exec_lo, exec_lo, s18
	s_mov_b32 s18, exec_lo
	v_cmpx_gt_u32_e64 s5, v60
	s_cbranch_execz .LBB427_665
.LBB427_717:                            ;   in Loop: Header=BB427_646 Depth=2
	s_waitcnt vmcnt(0)
	v_add_co_u32 v21, s19, s16, v60
	v_add_co_ci_u32_e64 v22, null, s17, 0, s19
	global_load_ubyte v5, v[21:22], off
	s_or_b32 exec_lo, exec_lo, s18
	s_mov_b32 s18, exec_lo
	v_cmpx_gt_u32_e64 s5, v61
	s_cbranch_execnz .LBB427_666
	s_branch .LBB427_667
.LBB427_718:                            ;   in Loop: Header=BB427_20 Depth=1
	v_mov_b32_e32 v3, 0
	s_waitcnt lgkmcnt(0)
	s_barrier
	buffer_gl0_inv
	s_and_saveexec_b32 s5, s8
	s_cbranch_execz .LBB427_720
; %bb.719:                              ;   in Loop: Header=BB427_20 Depth=1
	ds_read2_b64 v[5:8], v64 offset1:1
	s_waitcnt lgkmcnt(0)
	v_add_nc_u32_e32 v3, v6, v5
	v_add3_u32 v3, v3, v7, v8
.LBB427_720:                            ;   in Loop: Header=BB427_20 Depth=1
	s_or_b32 exec_lo, exec_lo, s5
	v_and_b32_e32 v5, 15, v86
	v_mov_b32_dpp v6, v3 row_shr:1 row_mask:0xf bank_mask:0xf
	v_and_b32_e32 v7, 16, v86
	v_cmp_eq_u32_e64 s5, 0, v5
	v_cmp_lt_u32_e64 s15, 1, v5
	v_cmp_lt_u32_e64 s16, 3, v5
	;; [unrolled: 1-line block ×3, first 2 shown]
	v_cmp_eq_u32_e64 s18, 0, v7
	v_cndmask_b32_e64 v6, v6, 0, s5
	v_add_nc_u32_e32 v3, v6, v3
	v_mov_b32_dpp v6, v3 row_shr:2 row_mask:0xf bank_mask:0xf
	v_cndmask_b32_e64 v6, 0, v6, s15
	v_add_nc_u32_e32 v3, v3, v6
	v_mov_b32_dpp v6, v3 row_shr:4 row_mask:0xf bank_mask:0xf
	;; [unrolled: 3-line block ×3, first 2 shown]
	v_cndmask_b32_e64 v5, 0, v6, s17
	v_bfe_i32 v6, v86, 4, 1
	v_add_nc_u32_e32 v3, v3, v5
	ds_swizzle_b32 v5, v3 offset:swizzle(BROADCAST,32,15)
	s_waitcnt lgkmcnt(0)
	v_and_b32_e32 v5, v6, v5
	v_add_nc_u32_e32 v3, v3, v5
	s_and_saveexec_b32 s19, s9
; %bb.721:                              ;   in Loop: Header=BB427_20 Depth=1
	ds_write_b32 v65, v3
; %bb.722:                              ;   in Loop: Header=BB427_20 Depth=1
	s_or_b32 exec_lo, exec_lo, s19
	s_waitcnt lgkmcnt(0)
	s_barrier
	buffer_gl0_inv
	s_and_saveexec_b32 s19, s10
	s_cbranch_execz .LBB427_724
; %bb.723:                              ;   in Loop: Header=BB427_20 Depth=1
	ds_read_b32 v5, v66
	v_and_b32_e32 v6, 3, v86
	v_cmp_ne_u32_e32 vcc_lo, 0, v6
	s_waitcnt lgkmcnt(0)
	v_mov_b32_dpp v7, v5 row_shr:1 row_mask:0xf bank_mask:0xf
	v_cndmask_b32_e32 v7, 0, v7, vcc_lo
	v_cmp_lt_u32_e32 vcc_lo, 1, v6
	v_add_nc_u32_e32 v5, v7, v5
	v_mov_b32_dpp v7, v5 row_shr:2 row_mask:0xf bank_mask:0xf
	v_cndmask_b32_e32 v6, 0, v7, vcc_lo
	v_add_nc_u32_e32 v5, v5, v6
	ds_write_b32 v66, v5
.LBB427_724:                            ;   in Loop: Header=BB427_20 Depth=1
	s_or_b32 exec_lo, exec_lo, s19
	v_mov_b32_e32 v5, 0
	s_waitcnt lgkmcnt(0)
	s_barrier
	buffer_gl0_inv
	s_and_saveexec_b32 s19, s11
; %bb.725:                              ;   in Loop: Header=BB427_20 Depth=1
	ds_read_b32 v5, v67
; %bb.726:                              ;   in Loop: Header=BB427_20 Depth=1
	s_or_b32 exec_lo, exec_lo, s19
	v_sub_co_u32 v6, s19, v86, 1
	s_waitcnt lgkmcnt(0)
	v_add_nc_u32_e32 v3, v5, v3
	s_barrier
	v_cmp_gt_i32_e32 vcc_lo, 0, v6
	buffer_gl0_inv
	v_cndmask_b32_e32 v6, v6, v86, vcc_lo
	v_lshlrev_b32_e32 v94, 2, v6
	ds_bpermute_b32 v3, v94, v3
	s_and_saveexec_b32 s20, s8
	s_cbranch_execz .LBB427_728
; %bb.727:                              ;   in Loop: Header=BB427_20 Depth=1
	s_waitcnt lgkmcnt(0)
	v_cndmask_b32_e64 v3, v3, v5, s19
	v_add_nc_u32_e32 v3, s58, v3
	ds_write_b32 v43, v3
.LBB427_728:                            ;   in Loop: Header=BB427_20 Depth=1
	s_or_b32 exec_lo, exec_lo, s20
	s_load_dwordx2 s[20:21], s[56:57], 0x0
	v_and_b32_e32 v6, 7, v86
	v_lshlrev_b32_e32 v7, 3, v86
	v_or_b32_e32 v95, v86, v68
	v_add_co_u32 v96, vcc_lo, v87, v86
	v_add_co_ci_u32_e64 v97, null, 0, v88, vcc_lo
	v_add_co_u32 v98, vcc_lo, v84, v7
	v_add_co_ci_u32_e64 v99, null, 0, v85, vcc_lo
	v_add_nc_u32_e32 v100, 32, v95
	v_add_nc_u32_e32 v101, 64, v95
	;; [unrolled: 1-line block ×8, first 2 shown]
	s_waitcnt lgkmcnt(0)
	s_cmp_lt_u32 s7, s21
	v_add_nc_u32_e32 v108, 0x120, v95
	s_cselect_b32 s21, 14, 20
	v_add_nc_u32_e32 v109, 0x140, v95
	s_add_u32 s22, s56, s21
	s_addc_u32 s23, s57, 0
	s_cmp_lt_u32 s6, s20
	global_load_ushort v3, v4, s[22:23]
	s_cselect_b32 s20, 12, 18
	v_add_nc_u32_e32 v110, 0x160, v95
	s_add_u32 s20, s56, s20
	s_addc_u32 s21, s57, 0
	v_add_nc_u32_e32 v111, 0x180, v95
	global_load_ushort v5, v4, s[20:21]
	v_cmp_eq_u32_e64 s20, 0, v6
	v_cmp_lt_u32_e64 s21, 1, v6
	v_cmp_lt_u32_e64 s22, 3, v6
	v_add_nc_u32_e32 v112, 0x1a0, v95
	v_add_nc_u32_e32 v113, 0x1c0, v95
	;; [unrolled: 1-line block ×4, first 2 shown]
	v_mov_b32_e32 v117, 0
	s_mov_b32 s63, s60
	s_mov_b32 s50, s58
                                        ; implicit-def: $vgpr7_vgpr8
                                        ; implicit-def: $vgpr9_vgpr10
                                        ; implicit-def: $vgpr11_vgpr12
                                        ; implicit-def: $vgpr13_vgpr14
                                        ; implicit-def: $vgpr15_vgpr16
                                        ; implicit-def: $vgpr19_vgpr20
                                        ; implicit-def: $vgpr23_vgpr24
                                        ; implicit-def: $vgpr27_vgpr28
                                        ; implicit-def: $vgpr17_vgpr18
                                        ; implicit-def: $vgpr21_vgpr22
                                        ; implicit-def: $vgpr25_vgpr26
                                        ; implicit-def: $vgpr29_vgpr30
                                        ; implicit-def: $vgpr31_vgpr32
                                        ; implicit-def: $vgpr33_vgpr34
                                        ; implicit-def: $vgpr35_vgpr36
                                        ; implicit-def: $vgpr37_vgpr38
                                        ; implicit-def: $vgpr118
                                        ; implicit-def: $vgpr119
                                        ; implicit-def: $vgpr120
                                        ; implicit-def: $vgpr121
                                        ; implicit-def: $vgpr122
                                        ; implicit-def: $vgpr123
                                        ; implicit-def: $vgpr124
                                        ; implicit-def: $vgpr125
                                        ; implicit-def: $vgpr126
                                        ; implicit-def: $vgpr127
                                        ; implicit-def: $vgpr128
                                        ; implicit-def: $vgpr129
                                        ; implicit-def: $vgpr130
                                        ; implicit-def: $vgpr131
                                        ; implicit-def: $vgpr132
                                        ; implicit-def: $vgpr133
                                        ; implicit-def: $vgpr134
                                        ; implicit-def: $vgpr135
                                        ; implicit-def: $vgpr136
	s_waitcnt vmcnt(1)
	v_mad_u32_u24 v3, v2, v3, v1
	s_waitcnt vmcnt(0)
	v_mad_u64_u32 v[5:6], null, v3, v5, v[0:1]
	v_lshrrev_b32_e32 v3, 3, v5
                                        ; implicit-def: $vgpr5_vgpr6
	v_and_b32_e32 v116, 0x1ffffffc, v3
	s_branch .LBB427_730
.LBB427_729:                            ;   in Loop: Header=BB427_730 Depth=2
	s_or_b32 exec_lo, exec_lo, s23
	s_addk_i32 s63, 0xef00
	s_cmp_lt_u32 s64, s59
	s_mov_b32 s50, s64
	s_cbranch_scc0 .LBB427_952
.LBB427_730:                            ;   Parent Loop BB427_20 Depth=1
                                        ; =>  This Inner Loop Header: Depth=2
	s_add_i32 s64, s50, 0x1100
	s_cmp_gt_u32 s64, s59
	s_cbranch_scc1 .LBB427_732
; %bb.731:                              ;   in Loop: Header=BB427_730 Depth=2
	v_add_co_u32 v39, vcc_lo, v96, s50
	v_add_co_ci_u32_e64 v40, null, 0, v97, vcc_lo
	s_mov_b32 s23, -1
	s_clause 0xf
	global_load_ubyte v42, v[39:40], off offset:480
	global_load_ubyte v41, v[39:40], off offset:448
	;; [unrolled: 1-line block ×15, first 2 shown]
	global_load_ubyte v146, v[39:40], off
	s_movk_i32 s24, 0x1100
	s_cbranch_execz .LBB427_733
	s_branch .LBB427_751
.LBB427_732:                            ;   in Loop: Header=BB427_730 Depth=2
	s_mov_b32 s23, 0
                                        ; implicit-def: $vgpr146
                                        ; implicit-def: $vgpr147
                                        ; implicit-def: $vgpr148
                                        ; implicit-def: $vgpr151
                                        ; implicit-def: $vgpr150
                                        ; implicit-def: $vgpr143
                                        ; implicit-def: $vgpr144
                                        ; implicit-def: $vgpr145
                                        ; implicit-def: $vgpr142
                                        ; implicit-def: $vgpr139
                                        ; implicit-def: $vgpr140
                                        ; implicit-def: $vgpr141
                                        ; implicit-def: $vgpr137
                                        ; implicit-def: $vgpr3
                                        ; implicit-def: $vgpr41
                                        ; implicit-def: $vgpr42
                                        ; implicit-def: $vgpr117
	s_movk_i32 s24, 0x1100
.LBB427_733:                            ;   in Loop: Header=BB427_730 Depth=2
	v_add_co_u32 v39, vcc_lo, v96, s50
	v_add_co_ci_u32_e64 v40, null, 0, v97, vcc_lo
	v_mov_b32_e32 v117, 0x7f
	s_waitcnt vmcnt(0)
	v_mov_b32_e32 v146, 0x7f
	v_mov_b32_e32 v147, 0x7f
	;; [unrolled: 1-line block ×16, first 2 shown]
	s_mov_b32 s23, exec_lo
	v_cmpx_gt_u32_e64 s63, v95
	s_cbranch_execnz .LBB427_937
; %bb.734:                              ;   in Loop: Header=BB427_730 Depth=2
	s_or_b32 exec_lo, exec_lo, s23
	s_mov_b32 s23, exec_lo
	v_cmpx_gt_u32_e64 s63, v100
	s_cbranch_execnz .LBB427_938
.LBB427_735:                            ;   in Loop: Header=BB427_730 Depth=2
	s_or_b32 exec_lo, exec_lo, s23
	s_mov_b32 s23, exec_lo
	v_cmpx_gt_u32_e64 s63, v101
	s_cbranch_execnz .LBB427_939
.LBB427_736:                            ;   in Loop: Header=BB427_730 Depth=2
	s_or_b32 exec_lo, exec_lo, s23
	s_mov_b32 s23, exec_lo
	v_cmpx_gt_u32_e64 s63, v102
	s_cbranch_execnz .LBB427_940
.LBB427_737:                            ;   in Loop: Header=BB427_730 Depth=2
	s_or_b32 exec_lo, exec_lo, s23
	s_mov_b32 s23, exec_lo
	v_cmpx_gt_u32_e64 s63, v103
	s_cbranch_execnz .LBB427_941
.LBB427_738:                            ;   in Loop: Header=BB427_730 Depth=2
	s_or_b32 exec_lo, exec_lo, s23
	s_mov_b32 s23, exec_lo
	v_cmpx_gt_u32_e64 s63, v104
	s_cbranch_execnz .LBB427_942
.LBB427_739:                            ;   in Loop: Header=BB427_730 Depth=2
	s_or_b32 exec_lo, exec_lo, s23
	s_mov_b32 s23, exec_lo
	v_cmpx_gt_u32_e64 s63, v105
	s_cbranch_execnz .LBB427_943
.LBB427_740:                            ;   in Loop: Header=BB427_730 Depth=2
	s_or_b32 exec_lo, exec_lo, s23
	s_mov_b32 s23, exec_lo
	v_cmpx_gt_u32_e64 s63, v106
	s_cbranch_execnz .LBB427_944
.LBB427_741:                            ;   in Loop: Header=BB427_730 Depth=2
	s_or_b32 exec_lo, exec_lo, s23
	s_mov_b32 s23, exec_lo
	v_cmpx_gt_u32_e64 s63, v107
	s_cbranch_execnz .LBB427_945
.LBB427_742:                            ;   in Loop: Header=BB427_730 Depth=2
	s_or_b32 exec_lo, exec_lo, s23
	s_mov_b32 s23, exec_lo
	v_cmpx_gt_u32_e64 s63, v108
	s_cbranch_execnz .LBB427_946
.LBB427_743:                            ;   in Loop: Header=BB427_730 Depth=2
	s_or_b32 exec_lo, exec_lo, s23
	s_mov_b32 s23, exec_lo
	v_cmpx_gt_u32_e64 s63, v109
	s_cbranch_execnz .LBB427_947
.LBB427_744:                            ;   in Loop: Header=BB427_730 Depth=2
	s_or_b32 exec_lo, exec_lo, s23
	s_mov_b32 s23, exec_lo
	v_cmpx_gt_u32_e64 s63, v110
	s_cbranch_execnz .LBB427_948
.LBB427_745:                            ;   in Loop: Header=BB427_730 Depth=2
	s_or_b32 exec_lo, exec_lo, s23
	s_mov_b32 s23, exec_lo
	v_cmpx_gt_u32_e64 s63, v111
	s_cbranch_execnz .LBB427_949
.LBB427_746:                            ;   in Loop: Header=BB427_730 Depth=2
	s_or_b32 exec_lo, exec_lo, s23
	s_mov_b32 s23, exec_lo
	v_cmpx_gt_u32_e64 s63, v112
	s_cbranch_execnz .LBB427_950
.LBB427_747:                            ;   in Loop: Header=BB427_730 Depth=2
	s_or_b32 exec_lo, exec_lo, s23
	s_mov_b32 s23, exec_lo
	v_cmpx_gt_u32_e64 s63, v113
	s_cbranch_execnz .LBB427_951
.LBB427_748:                            ;   in Loop: Header=BB427_730 Depth=2
	s_or_b32 exec_lo, exec_lo, s23
	s_mov_b32 s23, exec_lo
	v_cmpx_gt_u32_e64 s63, v114
	s_cbranch_execz .LBB427_750
.LBB427_749:                            ;   in Loop: Header=BB427_730 Depth=2
	global_load_ubyte v42, v[39:40], off offset:480
.LBB427_750:                            ;   in Loop: Header=BB427_730 Depth=2
	s_or_b32 exec_lo, exec_lo, s23
	v_cmp_gt_u32_e64 s23, s63, v115
	s_sub_i32 s24, s59, s50
.LBB427_751:                            ;   in Loop: Header=BB427_730 Depth=2
	v_mov_b32_e32 v138, s63
	s_and_saveexec_b32 s25, s23
	s_cbranch_execz .LBB427_753
; %bb.752:                              ;   in Loop: Header=BB427_730 Depth=2
	v_add_co_u32 v39, vcc_lo, v96, s50
	v_add_co_ci_u32_e64 v40, null, s51, v97, vcc_lo
	v_mov_b32_e32 v138, s24
	global_load_ubyte v117, v[39:40], off offset:512
.LBB427_753:                            ;   in Loop: Header=BB427_730 Depth=2
	s_or_b32 exec_lo, exec_lo, s25
	s_waitcnt vmcnt(0)
	v_xor_b32_e32 v39, 0x80, v146
	ds_write2_b32 v69, v4, v4 offset0:136 offset1:137
	ds_write2_b32 v69, v4, v4 offset0:138 offset1:139
	ds_write_b32 v69, v4 offset:560
	s_waitcnt lgkmcnt(0)
	s_barrier
	v_and_b32_sdwa v40, v92, v39 dst_sel:DWORD dst_unused:UNUSED_PAD src0_sel:DWORD src1_sel:BYTE_0
	buffer_gl0_inv
	; wave barrier
	v_lshrrev_b32_e32 v40, s41, v40
	v_and_b32_e32 v149, s62, v40
	v_and_b32_e32 v40, 1, v149
	v_lshlrev_b32_e32 v146, 30, v149
	v_lshlrev_b32_e32 v152, 29, v149
	v_lshlrev_b32_e32 v154, 28, v149
	v_lshlrev_b32_e32 v155, 27, v149
	v_add_co_u32 v40, s23, v40, -1
	v_cndmask_b32_e64 v153, 0, 1, s23
	v_not_b32_e32 v157, v146
	v_cmp_gt_i32_e64 s23, 0, v146
	v_not_b32_e32 v146, v152
	v_lshlrev_b32_e32 v156, 26, v149
	v_cmp_ne_u32_e32 vcc_lo, 0, v153
	v_ashrrev_i32_e32 v157, 31, v157
	v_lshlrev_b32_e32 v153, 25, v149
	v_ashrrev_i32_e32 v146, 31, v146
	v_mul_u32_u24_e32 v149, 36, v149
	v_xor_b32_e32 v40, vcc_lo, v40
	v_cmp_gt_i32_e32 vcc_lo, 0, v152
	v_not_b32_e32 v152, v154
	v_xor_b32_e32 v157, s23, v157
	v_cmp_gt_i32_e64 s23, 0, v154
	v_and_b32_e32 v40, exec_lo, v40
	v_not_b32_e32 v154, v155
	v_ashrrev_i32_e32 v152, 31, v152
	v_xor_b32_e32 v146, vcc_lo, v146
	v_cmp_gt_i32_e32 vcc_lo, 0, v155
	v_and_b32_e32 v40, v40, v157
	v_not_b32_e32 v155, v156
	v_ashrrev_i32_e32 v154, 31, v154
	v_xor_b32_e32 v152, s23, v152
	v_cmp_gt_i32_e64 s23, 0, v156
	v_and_b32_e32 v40, v40, v146
	v_not_b32_e32 v146, v153
	v_ashrrev_i32_e32 v155, 31, v155
	v_xor_b32_e32 v154, vcc_lo, v154
	v_cmp_gt_i32_e32 vcc_lo, 0, v153
	v_and_b32_e32 v40, v40, v152
	v_ashrrev_i32_e32 v146, 31, v146
	v_xor_b32_e32 v152, s23, v155
	v_add_nc_u32_e32 v149, v116, v149
	v_and_b32_e32 v40, v40, v154
	v_xor_b32_e32 v146, vcc_lo, v146
	v_and_b32_e32 v40, v40, v152
	v_and_b32_e32 v40, v40, v146
	v_mbcnt_lo_u32_b32 v146, v40, 0
	v_cmp_ne_u32_e64 s23, 0, v40
	v_cmp_eq_u32_e32 vcc_lo, 0, v146
	s_and_b32 s24, s23, vcc_lo
	s_and_saveexec_b32 s23, s24
; %bb.754:                              ;   in Loop: Header=BB427_730 Depth=2
	v_bcnt_u32_b32 v40, v40, 0
	ds_write_b32 v149, v40 offset:544
; %bb.755:                              ;   in Loop: Header=BB427_730 Depth=2
	s_or_b32 exec_lo, exec_lo, s23
	v_xor_b32_sdwa v40, v147, v93 dst_sel:BYTE_1 dst_unused:UNUSED_PAD src0_sel:DWORD src1_sel:DWORD
	v_xor_b32_e32 v148, 0x80, v148
	v_xor_b32_sdwa v151, v151, v93 dst_sel:BYTE_1 dst_unused:UNUSED_PAD src0_sel:DWORD src1_sel:DWORD
	; wave barrier
	v_or_b32_sdwa v147, v39, v40 dst_sel:DWORD dst_unused:UNUSED_PAD src0_sel:BYTE_0 src1_sel:DWORD
	v_or_b32_sdwa v39, v148, v151 dst_sel:WORD_1 dst_unused:UNUSED_PAD src0_sel:BYTE_0 src1_sel:DWORD
	v_or_b32_sdwa v148, v147, v39 dst_sel:DWORD dst_unused:UNUSED_PAD src0_sel:WORD_0 src1_sel:DWORD
	v_lshrrev_b32_sdwa v39, s41, v148 dst_sel:DWORD dst_unused:UNUSED_PAD src0_sel:DWORD src1_sel:BYTE_1
	v_and_b32_e32 v40, s62, v39
	v_and_b32_e32 v39, 1, v40
	v_lshlrev_b32_e32 v151, 30, v40
	v_lshlrev_b32_e32 v152, 29, v40
	;; [unrolled: 1-line block ×4, first 2 shown]
	v_add_co_u32 v39, s23, v39, -1
	v_cndmask_b32_e64 v153, 0, 1, s23
	v_not_b32_e32 v157, v151
	v_cmp_gt_i32_e64 s23, 0, v151
	v_not_b32_e32 v151, v152
	v_lshlrev_b32_e32 v156, 26, v40
	v_cmp_ne_u32_e32 vcc_lo, 0, v153
	v_ashrrev_i32_e32 v157, 31, v157
	v_lshlrev_b32_e32 v153, 25, v40
	v_ashrrev_i32_e32 v151, 31, v151
	v_xor_b32_e32 v39, vcc_lo, v39
	v_cmp_gt_i32_e32 vcc_lo, 0, v152
	v_not_b32_e32 v152, v154
	v_xor_b32_e32 v157, s23, v157
	v_cmp_gt_i32_e64 s23, 0, v154
	v_and_b32_e32 v39, exec_lo, v39
	v_not_b32_e32 v154, v155
	v_ashrrev_i32_e32 v152, 31, v152
	v_xor_b32_e32 v151, vcc_lo, v151
	v_cmp_gt_i32_e32 vcc_lo, 0, v155
	v_and_b32_e32 v39, v39, v157
	v_not_b32_e32 v155, v156
	v_ashrrev_i32_e32 v154, 31, v154
	v_xor_b32_e32 v152, s23, v152
	v_cmp_gt_i32_e64 s23, 0, v156
	v_and_b32_e32 v39, v39, v151
	v_not_b32_e32 v151, v153
	v_ashrrev_i32_e32 v155, 31, v155
	v_xor_b32_e32 v154, vcc_lo, v154
	v_cmp_gt_i32_e32 vcc_lo, 0, v153
	v_and_b32_e32 v39, v39, v152
	v_ashrrev_i32_e32 v151, 31, v151
	v_xor_b32_e32 v152, s23, v155
	v_mad_u32_u24 v153, v40, 36, v116
	v_mul_u32_u24_e32 v40, 36, v40
	v_and_b32_e32 v39, v39, v154
	v_xor_b32_e32 v154, vcc_lo, v151
	ds_read_b32 v151, v153 offset:544
	v_add_nc_u32_e32 v153, v116, v40
	v_and_b32_e32 v39, v39, v152
	; wave barrier
	v_and_b32_e32 v39, v39, v154
	v_mbcnt_lo_u32_b32 v152, v39, 0
	v_cmp_ne_u32_e64 s23, 0, v39
	v_cmp_eq_u32_e32 vcc_lo, 0, v152
	s_and_b32 s24, s23, vcc_lo
	s_and_saveexec_b32 s23, s24
	s_cbranch_execz .LBB427_757
; %bb.756:                              ;   in Loop: Header=BB427_730 Depth=2
	s_waitcnt lgkmcnt(0)
	v_bcnt_u32_b32 v39, v39, v151
	ds_write_b32 v153, v39 offset:544
.LBB427_757:                            ;   in Loop: Header=BB427_730 Depth=2
	s_or_b32 exec_lo, exec_lo, s23
	v_lshrrev_b32_sdwa v39, s41, v148 dst_sel:DWORD dst_unused:UNUSED_PAD src0_sel:DWORD src1_sel:BYTE_2
	; wave barrier
	v_and_b32_e32 v40, s62, v39
	v_and_b32_e32 v39, 1, v40
	v_lshlrev_b32_e32 v154, 30, v40
	v_lshlrev_b32_e32 v155, 29, v40
	;; [unrolled: 1-line block ×4, first 2 shown]
	v_add_co_u32 v39, s23, v39, -1
	v_cndmask_b32_e64 v156, 0, 1, s23
	v_not_b32_e32 v160, v154
	v_cmp_gt_i32_e64 s23, 0, v154
	v_not_b32_e32 v154, v155
	v_lshlrev_b32_e32 v159, 26, v40
	v_cmp_ne_u32_e32 vcc_lo, 0, v156
	v_ashrrev_i32_e32 v160, 31, v160
	v_lshlrev_b32_e32 v156, 25, v40
	v_ashrrev_i32_e32 v154, 31, v154
	v_xor_b32_e32 v39, vcc_lo, v39
	v_cmp_gt_i32_e32 vcc_lo, 0, v155
	v_not_b32_e32 v155, v157
	v_xor_b32_e32 v160, s23, v160
	v_cmp_gt_i32_e64 s23, 0, v157
	v_and_b32_e32 v39, exec_lo, v39
	v_not_b32_e32 v157, v158
	v_ashrrev_i32_e32 v155, 31, v155
	v_xor_b32_e32 v154, vcc_lo, v154
	v_cmp_gt_i32_e32 vcc_lo, 0, v158
	v_and_b32_e32 v39, v39, v160
	v_not_b32_e32 v158, v159
	v_ashrrev_i32_e32 v157, 31, v157
	v_xor_b32_e32 v155, s23, v155
	v_cmp_gt_i32_e64 s23, 0, v159
	v_and_b32_e32 v39, v39, v154
	v_not_b32_e32 v154, v156
	v_ashrrev_i32_e32 v158, 31, v158
	v_xor_b32_e32 v157, vcc_lo, v157
	v_cmp_gt_i32_e32 vcc_lo, 0, v156
	v_and_b32_e32 v39, v39, v155
	v_ashrrev_i32_e32 v154, 31, v154
	v_xor_b32_e32 v155, s23, v158
	v_mad_u32_u24 v156, v40, 36, v116
	v_mul_u32_u24_e32 v40, 36, v40
	v_and_b32_e32 v39, v39, v157
	v_xor_b32_e32 v157, vcc_lo, v154
	ds_read_b32 v154, v156 offset:544
	v_and_b32_e32 v39, v39, v155
	; wave barrier
	v_and_b32_e32 v39, v39, v157
	v_add_nc_u32_e32 v157, v116, v40
	v_mbcnt_lo_u32_b32 v155, v39, 0
	v_cmp_ne_u32_e64 s23, 0, v39
	v_cmp_eq_u32_e32 vcc_lo, 0, v155
	s_and_b32 s24, s23, vcc_lo
	s_and_saveexec_b32 s23, s24
	s_cbranch_execz .LBB427_759
; %bb.758:                              ;   in Loop: Header=BB427_730 Depth=2
	s_waitcnt lgkmcnt(0)
	v_bcnt_u32_b32 v39, v39, v154
	ds_write_b32 v157, v39 offset:544
.LBB427_759:                            ;   in Loop: Header=BB427_730 Depth=2
	s_or_b32 exec_lo, exec_lo, s23
	v_lshrrev_b32_e32 v156, 24, v148
	; wave barrier
	v_lshrrev_b32_e32 v39, s41, v156
	v_and_b32_e32 v40, s62, v39
	v_and_b32_e32 v39, 1, v40
	v_lshlrev_b32_e32 v158, 30, v40
	v_lshlrev_b32_e32 v159, 29, v40
	;; [unrolled: 1-line block ×4, first 2 shown]
	v_add_co_u32 v39, s23, v39, -1
	v_cndmask_b32_e64 v160, 0, 1, s23
	v_not_b32_e32 v164, v158
	v_cmp_gt_i32_e64 s23, 0, v158
	v_not_b32_e32 v158, v159
	v_lshlrev_b32_e32 v163, 26, v40
	v_cmp_ne_u32_e32 vcc_lo, 0, v160
	v_ashrrev_i32_e32 v164, 31, v164
	v_lshlrev_b32_e32 v160, 25, v40
	v_ashrrev_i32_e32 v158, 31, v158
	v_xor_b32_e32 v39, vcc_lo, v39
	v_cmp_gt_i32_e32 vcc_lo, 0, v159
	v_not_b32_e32 v159, v161
	v_xor_b32_e32 v164, s23, v164
	v_cmp_gt_i32_e64 s23, 0, v161
	v_and_b32_e32 v39, exec_lo, v39
	v_not_b32_e32 v161, v162
	v_ashrrev_i32_e32 v159, 31, v159
	v_xor_b32_e32 v158, vcc_lo, v158
	v_cmp_gt_i32_e32 vcc_lo, 0, v162
	v_and_b32_e32 v39, v39, v164
	v_not_b32_e32 v162, v163
	v_ashrrev_i32_e32 v161, 31, v161
	v_xor_b32_e32 v159, s23, v159
	v_cmp_gt_i32_e64 s23, 0, v163
	v_and_b32_e32 v39, v39, v158
	v_not_b32_e32 v158, v160
	v_ashrrev_i32_e32 v162, 31, v162
	v_xor_b32_e32 v161, vcc_lo, v161
	v_cmp_gt_i32_e32 vcc_lo, 0, v160
	v_and_b32_e32 v39, v39, v159
	v_ashrrev_i32_e32 v158, 31, v158
	v_xor_b32_e32 v159, s23, v162
	v_mad_u32_u24 v160, v40, 36, v116
	v_mul_u32_u24_e32 v40, 36, v40
	v_and_b32_e32 v39, v39, v161
	v_xor_b32_e32 v161, vcc_lo, v158
	ds_read_b32 v158, v160 offset:544
	v_add_nc_u32_e32 v160, v116, v40
	v_and_b32_e32 v39, v39, v159
	; wave barrier
	v_and_b32_e32 v39, v39, v161
	v_mbcnt_lo_u32_b32 v159, v39, 0
	v_cmp_ne_u32_e64 s23, 0, v39
	v_cmp_eq_u32_e32 vcc_lo, 0, v159
	s_and_b32 s24, s23, vcc_lo
	s_and_saveexec_b32 s23, s24
	s_cbranch_execz .LBB427_761
; %bb.760:                              ;   in Loop: Header=BB427_730 Depth=2
	s_waitcnt lgkmcnt(0)
	v_bcnt_u32_b32 v39, v39, v158
	ds_write_b32 v160, v39 offset:544
.LBB427_761:                            ;   in Loop: Header=BB427_730 Depth=2
	s_or_b32 exec_lo, exec_lo, s23
	v_xor_b32_e32 v39, 0x80, v150
	; wave barrier
	v_and_b32_sdwa v40, v92, v39 dst_sel:DWORD dst_unused:UNUSED_PAD src0_sel:DWORD src1_sel:BYTE_0
	v_lshrrev_b32_e32 v40, s41, v40
	v_and_b32_e32 v162, s62, v40
	v_and_b32_e32 v40, 1, v162
	v_lshlrev_b32_e32 v150, 30, v162
	v_lshlrev_b32_e32 v161, 29, v162
	;; [unrolled: 1-line block ×4, first 2 shown]
	v_add_co_u32 v40, s23, v40, -1
	v_cndmask_b32_e64 v163, 0, 1, s23
	v_not_b32_e32 v167, v150
	v_cmp_gt_i32_e64 s23, 0, v150
	v_not_b32_e32 v150, v161
	v_lshlrev_b32_e32 v166, 26, v162
	v_cmp_ne_u32_e32 vcc_lo, 0, v163
	v_ashrrev_i32_e32 v167, 31, v167
	v_lshlrev_b32_e32 v163, 25, v162
	v_ashrrev_i32_e32 v150, 31, v150
	v_xor_b32_e32 v40, vcc_lo, v40
	v_cmp_gt_i32_e32 vcc_lo, 0, v161
	v_not_b32_e32 v161, v164
	v_xor_b32_e32 v167, s23, v167
	v_cmp_gt_i32_e64 s23, 0, v164
	v_and_b32_e32 v40, exec_lo, v40
	v_not_b32_e32 v164, v165
	v_ashrrev_i32_e32 v161, 31, v161
	v_xor_b32_e32 v150, vcc_lo, v150
	v_cmp_gt_i32_e32 vcc_lo, 0, v165
	v_and_b32_e32 v40, v40, v167
	v_not_b32_e32 v165, v166
	v_ashrrev_i32_e32 v164, 31, v164
	v_xor_b32_e32 v161, s23, v161
	v_cmp_gt_i32_e64 s23, 0, v166
	v_and_b32_e32 v40, v40, v150
	v_not_b32_e32 v150, v163
	v_ashrrev_i32_e32 v165, 31, v165
	v_xor_b32_e32 v164, vcc_lo, v164
	v_cmp_gt_i32_e32 vcc_lo, 0, v163
	v_and_b32_e32 v40, v40, v161
	v_ashrrev_i32_e32 v150, 31, v150
	v_xor_b32_e32 v161, s23, v165
	v_mad_u32_u24 v163, v162, 36, v116
	v_mul_u32_u24_e32 v162, 36, v162
	v_and_b32_e32 v40, v40, v164
	v_xor_b32_e32 v164, vcc_lo, v150
	ds_read_b32 v150, v163 offset:544
	v_add_nc_u32_e32 v162, v116, v162
	v_and_b32_e32 v40, v40, v161
	; wave barrier
	v_and_b32_e32 v40, v40, v164
	v_mbcnt_lo_u32_b32 v161, v40, 0
	v_cmp_ne_u32_e64 s23, 0, v40
	v_cmp_eq_u32_e32 vcc_lo, 0, v161
	s_and_b32 s24, s23, vcc_lo
	s_and_saveexec_b32 s23, s24
	s_cbranch_execz .LBB427_763
; %bb.762:                              ;   in Loop: Header=BB427_730 Depth=2
	s_waitcnt lgkmcnt(0)
	v_bcnt_u32_b32 v40, v40, v150
	ds_write_b32 v162, v40 offset:544
.LBB427_763:                            ;   in Loop: Header=BB427_730 Depth=2
	s_or_b32 exec_lo, exec_lo, s23
	v_xor_b32_sdwa v40, v143, v93 dst_sel:BYTE_1 dst_unused:UNUSED_PAD src0_sel:DWORD src1_sel:DWORD
	v_xor_b32_e32 v144, 0x80, v144
	v_xor_b32_sdwa v145, v145, v93 dst_sel:BYTE_1 dst_unused:UNUSED_PAD src0_sel:DWORD src1_sel:DWORD
	; wave barrier
	v_or_b32_sdwa v143, v39, v40 dst_sel:DWORD dst_unused:UNUSED_PAD src0_sel:BYTE_0 src1_sel:DWORD
	v_or_b32_sdwa v39, v144, v145 dst_sel:WORD_1 dst_unused:UNUSED_PAD src0_sel:BYTE_0 src1_sel:DWORD
	v_or_b32_sdwa v144, v143, v39 dst_sel:DWORD dst_unused:UNUSED_PAD src0_sel:WORD_0 src1_sel:DWORD
	v_lshrrev_b32_sdwa v39, s41, v144 dst_sel:DWORD dst_unused:UNUSED_PAD src0_sel:DWORD src1_sel:BYTE_1
	v_and_b32_e32 v40, s62, v39
	v_and_b32_e32 v39, 1, v40
	v_lshlrev_b32_e32 v145, 30, v40
	v_lshlrev_b32_e32 v163, 29, v40
	;; [unrolled: 1-line block ×4, first 2 shown]
	v_add_co_u32 v39, s23, v39, -1
	v_cndmask_b32_e64 v164, 0, 1, s23
	v_not_b32_e32 v168, v145
	v_cmp_gt_i32_e64 s23, 0, v145
	v_not_b32_e32 v145, v163
	v_lshlrev_b32_e32 v167, 26, v40
	v_cmp_ne_u32_e32 vcc_lo, 0, v164
	v_ashrrev_i32_e32 v168, 31, v168
	v_lshlrev_b32_e32 v164, 25, v40
	v_ashrrev_i32_e32 v145, 31, v145
	v_xor_b32_e32 v39, vcc_lo, v39
	v_cmp_gt_i32_e32 vcc_lo, 0, v163
	v_not_b32_e32 v163, v165
	v_xor_b32_e32 v168, s23, v168
	v_cmp_gt_i32_e64 s23, 0, v165
	v_and_b32_e32 v39, exec_lo, v39
	v_not_b32_e32 v165, v166
	v_ashrrev_i32_e32 v163, 31, v163
	v_xor_b32_e32 v145, vcc_lo, v145
	v_cmp_gt_i32_e32 vcc_lo, 0, v166
	v_and_b32_e32 v39, v39, v168
	v_not_b32_e32 v166, v167
	v_ashrrev_i32_e32 v165, 31, v165
	v_xor_b32_e32 v163, s23, v163
	v_cmp_gt_i32_e64 s23, 0, v167
	v_and_b32_e32 v39, v39, v145
	v_not_b32_e32 v145, v164
	v_ashrrev_i32_e32 v166, 31, v166
	v_xor_b32_e32 v165, vcc_lo, v165
	v_cmp_gt_i32_e32 vcc_lo, 0, v164
	v_and_b32_e32 v39, v39, v163
	v_ashrrev_i32_e32 v145, 31, v145
	v_xor_b32_e32 v163, s23, v166
	v_mad_u32_u24 v164, v40, 36, v116
	v_mul_u32_u24_e32 v40, 36, v40
	v_and_b32_e32 v39, v39, v165
	v_xor_b32_e32 v165, vcc_lo, v145
	ds_read_b32 v145, v164 offset:544
	v_add_nc_u32_e32 v164, v116, v40
	v_and_b32_e32 v39, v39, v163
	; wave barrier
	v_and_b32_e32 v39, v39, v165
	v_mbcnt_lo_u32_b32 v163, v39, 0
	v_cmp_ne_u32_e64 s23, 0, v39
	v_cmp_eq_u32_e32 vcc_lo, 0, v163
	s_and_b32 s24, s23, vcc_lo
	s_and_saveexec_b32 s23, s24
	s_cbranch_execz .LBB427_765
; %bb.764:                              ;   in Loop: Header=BB427_730 Depth=2
	s_waitcnt lgkmcnt(0)
	v_bcnt_u32_b32 v39, v39, v145
	ds_write_b32 v164, v39 offset:544
.LBB427_765:                            ;   in Loop: Header=BB427_730 Depth=2
	s_or_b32 exec_lo, exec_lo, s23
	v_lshrrev_b32_sdwa v39, s41, v144 dst_sel:DWORD dst_unused:UNUSED_PAD src0_sel:DWORD src1_sel:BYTE_2
	; wave barrier
	v_and_b32_e32 v40, s62, v39
	v_and_b32_e32 v39, 1, v40
	v_lshlrev_b32_e32 v165, 30, v40
	v_lshlrev_b32_e32 v166, 29, v40
	;; [unrolled: 1-line block ×4, first 2 shown]
	v_add_co_u32 v39, s23, v39, -1
	v_cndmask_b32_e64 v167, 0, 1, s23
	v_not_b32_e32 v171, v165
	v_cmp_gt_i32_e64 s23, 0, v165
	v_not_b32_e32 v165, v166
	v_lshlrev_b32_e32 v170, 26, v40
	v_cmp_ne_u32_e32 vcc_lo, 0, v167
	v_ashrrev_i32_e32 v171, 31, v171
	v_lshlrev_b32_e32 v167, 25, v40
	v_ashrrev_i32_e32 v165, 31, v165
	v_xor_b32_e32 v39, vcc_lo, v39
	v_cmp_gt_i32_e32 vcc_lo, 0, v166
	v_not_b32_e32 v166, v168
	v_xor_b32_e32 v171, s23, v171
	v_cmp_gt_i32_e64 s23, 0, v168
	v_and_b32_e32 v39, exec_lo, v39
	v_not_b32_e32 v168, v169
	v_ashrrev_i32_e32 v166, 31, v166
	v_xor_b32_e32 v165, vcc_lo, v165
	v_cmp_gt_i32_e32 vcc_lo, 0, v169
	v_and_b32_e32 v39, v39, v171
	v_not_b32_e32 v169, v170
	v_ashrrev_i32_e32 v168, 31, v168
	v_xor_b32_e32 v166, s23, v166
	v_cmp_gt_i32_e64 s23, 0, v170
	v_and_b32_e32 v39, v39, v165
	v_not_b32_e32 v165, v167
	v_ashrrev_i32_e32 v169, 31, v169
	v_xor_b32_e32 v168, vcc_lo, v168
	v_cmp_gt_i32_e32 vcc_lo, 0, v167
	v_and_b32_e32 v39, v39, v166
	v_ashrrev_i32_e32 v165, 31, v165
	v_xor_b32_e32 v166, s23, v169
	v_mad_u32_u24 v167, v40, 36, v116
	v_mul_u32_u24_e32 v40, 36, v40
	v_and_b32_e32 v39, v39, v168
	v_xor_b32_e32 v168, vcc_lo, v165
	ds_read_b32 v165, v167 offset:544
	v_and_b32_e32 v39, v39, v166
	; wave barrier
	v_and_b32_e32 v39, v39, v168
	v_add_nc_u32_e32 v168, v116, v40
	v_mbcnt_lo_u32_b32 v166, v39, 0
	v_cmp_ne_u32_e64 s23, 0, v39
	v_cmp_eq_u32_e32 vcc_lo, 0, v166
	s_and_b32 s24, s23, vcc_lo
	s_and_saveexec_b32 s23, s24
	s_cbranch_execz .LBB427_767
; %bb.766:                              ;   in Loop: Header=BB427_730 Depth=2
	s_waitcnt lgkmcnt(0)
	v_bcnt_u32_b32 v39, v39, v165
	ds_write_b32 v168, v39 offset:544
.LBB427_767:                            ;   in Loop: Header=BB427_730 Depth=2
	s_or_b32 exec_lo, exec_lo, s23
	v_lshrrev_b32_e32 v167, 24, v144
	; wave barrier
	v_lshrrev_b32_e32 v39, s41, v167
	v_and_b32_e32 v40, s62, v39
	v_and_b32_e32 v39, 1, v40
	v_lshlrev_b32_e32 v169, 30, v40
	v_lshlrev_b32_e32 v170, 29, v40
	v_lshlrev_b32_e32 v172, 28, v40
	v_lshlrev_b32_e32 v173, 27, v40
	v_add_co_u32 v39, s23, v39, -1
	v_cndmask_b32_e64 v171, 0, 1, s23
	v_not_b32_e32 v175, v169
	v_cmp_gt_i32_e64 s23, 0, v169
	v_not_b32_e32 v169, v170
	v_lshlrev_b32_e32 v174, 26, v40
	v_cmp_ne_u32_e32 vcc_lo, 0, v171
	v_ashrrev_i32_e32 v175, 31, v175
	v_lshlrev_b32_e32 v171, 25, v40
	v_ashrrev_i32_e32 v169, 31, v169
	v_xor_b32_e32 v39, vcc_lo, v39
	v_cmp_gt_i32_e32 vcc_lo, 0, v170
	v_not_b32_e32 v170, v172
	v_xor_b32_e32 v175, s23, v175
	v_cmp_gt_i32_e64 s23, 0, v172
	v_and_b32_e32 v39, exec_lo, v39
	v_not_b32_e32 v172, v173
	v_ashrrev_i32_e32 v170, 31, v170
	v_xor_b32_e32 v169, vcc_lo, v169
	v_cmp_gt_i32_e32 vcc_lo, 0, v173
	v_and_b32_e32 v39, v39, v175
	v_not_b32_e32 v173, v174
	v_ashrrev_i32_e32 v172, 31, v172
	v_xor_b32_e32 v170, s23, v170
	v_cmp_gt_i32_e64 s23, 0, v174
	v_and_b32_e32 v39, v39, v169
	v_not_b32_e32 v169, v171
	v_ashrrev_i32_e32 v173, 31, v173
	v_xor_b32_e32 v172, vcc_lo, v172
	v_cmp_gt_i32_e32 vcc_lo, 0, v171
	v_and_b32_e32 v39, v39, v170
	v_ashrrev_i32_e32 v169, 31, v169
	v_xor_b32_e32 v170, s23, v173
	v_mad_u32_u24 v171, v40, 36, v116
	v_mul_u32_u24_e32 v40, 36, v40
	v_and_b32_e32 v39, v39, v172
	v_xor_b32_e32 v172, vcc_lo, v169
	ds_read_b32 v169, v171 offset:544
	v_add_nc_u32_e32 v171, v116, v40
	v_and_b32_e32 v39, v39, v170
	; wave barrier
	v_and_b32_e32 v39, v39, v172
	v_mbcnt_lo_u32_b32 v170, v39, 0
	v_cmp_ne_u32_e64 s23, 0, v39
	v_cmp_eq_u32_e32 vcc_lo, 0, v170
	s_and_b32 s24, s23, vcc_lo
	s_and_saveexec_b32 s23, s24
	s_cbranch_execz .LBB427_769
; %bb.768:                              ;   in Loop: Header=BB427_730 Depth=2
	s_waitcnt lgkmcnt(0)
	v_bcnt_u32_b32 v39, v39, v169
	ds_write_b32 v171, v39 offset:544
.LBB427_769:                            ;   in Loop: Header=BB427_730 Depth=2
	s_or_b32 exec_lo, exec_lo, s23
	v_xor_b32_e32 v39, 0x80, v142
	; wave barrier
	v_and_b32_sdwa v40, v92, v39 dst_sel:DWORD dst_unused:UNUSED_PAD src0_sel:DWORD src1_sel:BYTE_0
	v_lshrrev_b32_e32 v40, s41, v40
	v_and_b32_e32 v173, s62, v40
	v_and_b32_e32 v40, 1, v173
	v_lshlrev_b32_e32 v142, 30, v173
	v_lshlrev_b32_e32 v172, 29, v173
	;; [unrolled: 1-line block ×4, first 2 shown]
	v_add_co_u32 v40, s23, v40, -1
	v_cndmask_b32_e64 v174, 0, 1, s23
	v_not_b32_e32 v178, v142
	v_cmp_gt_i32_e64 s23, 0, v142
	v_not_b32_e32 v142, v172
	v_lshlrev_b32_e32 v177, 26, v173
	v_cmp_ne_u32_e32 vcc_lo, 0, v174
	v_ashrrev_i32_e32 v178, 31, v178
	v_lshlrev_b32_e32 v174, 25, v173
	v_ashrrev_i32_e32 v142, 31, v142
	v_xor_b32_e32 v40, vcc_lo, v40
	v_cmp_gt_i32_e32 vcc_lo, 0, v172
	v_not_b32_e32 v172, v175
	v_xor_b32_e32 v178, s23, v178
	v_cmp_gt_i32_e64 s23, 0, v175
	v_and_b32_e32 v40, exec_lo, v40
	v_not_b32_e32 v175, v176
	v_ashrrev_i32_e32 v172, 31, v172
	v_xor_b32_e32 v142, vcc_lo, v142
	v_cmp_gt_i32_e32 vcc_lo, 0, v176
	v_and_b32_e32 v40, v40, v178
	v_not_b32_e32 v176, v177
	v_ashrrev_i32_e32 v175, 31, v175
	v_xor_b32_e32 v172, s23, v172
	v_cmp_gt_i32_e64 s23, 0, v177
	v_and_b32_e32 v40, v40, v142
	v_not_b32_e32 v142, v174
	v_ashrrev_i32_e32 v176, 31, v176
	v_xor_b32_e32 v175, vcc_lo, v175
	v_cmp_gt_i32_e32 vcc_lo, 0, v174
	v_and_b32_e32 v40, v40, v172
	v_ashrrev_i32_e32 v142, 31, v142
	v_xor_b32_e32 v172, s23, v176
	v_mad_u32_u24 v174, v173, 36, v116
	v_mul_u32_u24_e32 v173, 36, v173
	v_and_b32_e32 v40, v40, v175
	v_xor_b32_e32 v175, vcc_lo, v142
	ds_read_b32 v142, v174 offset:544
	v_add_nc_u32_e32 v173, v116, v173
	v_and_b32_e32 v40, v40, v172
	; wave barrier
	v_and_b32_e32 v40, v40, v175
	v_mbcnt_lo_u32_b32 v172, v40, 0
	v_cmp_ne_u32_e64 s23, 0, v40
	v_cmp_eq_u32_e32 vcc_lo, 0, v172
	s_and_b32 s24, s23, vcc_lo
	s_and_saveexec_b32 s23, s24
	s_cbranch_execz .LBB427_771
; %bb.770:                              ;   in Loop: Header=BB427_730 Depth=2
	s_waitcnt lgkmcnt(0)
	v_bcnt_u32_b32 v40, v40, v142
	ds_write_b32 v173, v40 offset:544
.LBB427_771:                            ;   in Loop: Header=BB427_730 Depth=2
	s_or_b32 exec_lo, exec_lo, s23
	v_xor_b32_sdwa v40, v139, v93 dst_sel:BYTE_1 dst_unused:UNUSED_PAD src0_sel:DWORD src1_sel:DWORD
	v_xor_b32_e32 v140, 0x80, v140
	v_xor_b32_sdwa v141, v141, v93 dst_sel:BYTE_1 dst_unused:UNUSED_PAD src0_sel:DWORD src1_sel:DWORD
	; wave barrier
	v_or_b32_sdwa v139, v39, v40 dst_sel:DWORD dst_unused:UNUSED_PAD src0_sel:BYTE_0 src1_sel:DWORD
	v_or_b32_sdwa v39, v140, v141 dst_sel:WORD_1 dst_unused:UNUSED_PAD src0_sel:BYTE_0 src1_sel:DWORD
	v_or_b32_sdwa v140, v139, v39 dst_sel:DWORD dst_unused:UNUSED_PAD src0_sel:WORD_0 src1_sel:DWORD
	v_lshrrev_b32_sdwa v39, s41, v140 dst_sel:DWORD dst_unused:UNUSED_PAD src0_sel:DWORD src1_sel:BYTE_1
	v_and_b32_e32 v40, s62, v39
	v_and_b32_e32 v39, 1, v40
	v_lshlrev_b32_e32 v141, 30, v40
	v_lshlrev_b32_e32 v174, 29, v40
	;; [unrolled: 1-line block ×4, first 2 shown]
	v_add_co_u32 v39, s23, v39, -1
	v_cndmask_b32_e64 v175, 0, 1, s23
	v_not_b32_e32 v179, v141
	v_cmp_gt_i32_e64 s23, 0, v141
	v_not_b32_e32 v141, v174
	v_lshlrev_b32_e32 v178, 26, v40
	v_cmp_ne_u32_e32 vcc_lo, 0, v175
	v_ashrrev_i32_e32 v179, 31, v179
	v_lshlrev_b32_e32 v175, 25, v40
	v_ashrrev_i32_e32 v141, 31, v141
	v_xor_b32_e32 v39, vcc_lo, v39
	v_cmp_gt_i32_e32 vcc_lo, 0, v174
	v_not_b32_e32 v174, v176
	v_xor_b32_e32 v179, s23, v179
	v_cmp_gt_i32_e64 s23, 0, v176
	v_and_b32_e32 v39, exec_lo, v39
	v_not_b32_e32 v176, v177
	v_ashrrev_i32_e32 v174, 31, v174
	v_xor_b32_e32 v141, vcc_lo, v141
	v_cmp_gt_i32_e32 vcc_lo, 0, v177
	v_and_b32_e32 v39, v39, v179
	v_not_b32_e32 v177, v178
	v_ashrrev_i32_e32 v176, 31, v176
	v_xor_b32_e32 v174, s23, v174
	v_cmp_gt_i32_e64 s23, 0, v178
	v_and_b32_e32 v39, v39, v141
	v_not_b32_e32 v141, v175
	v_ashrrev_i32_e32 v177, 31, v177
	v_xor_b32_e32 v176, vcc_lo, v176
	v_cmp_gt_i32_e32 vcc_lo, 0, v175
	v_and_b32_e32 v39, v39, v174
	v_ashrrev_i32_e32 v141, 31, v141
	v_xor_b32_e32 v174, s23, v177
	v_mad_u32_u24 v175, v40, 36, v116
	v_mul_u32_u24_e32 v40, 36, v40
	v_and_b32_e32 v39, v39, v176
	v_xor_b32_e32 v176, vcc_lo, v141
	ds_read_b32 v141, v175 offset:544
	v_add_nc_u32_e32 v175, v116, v40
	v_and_b32_e32 v39, v39, v174
	; wave barrier
	v_and_b32_e32 v39, v39, v176
	v_mbcnt_lo_u32_b32 v174, v39, 0
	v_cmp_ne_u32_e64 s23, 0, v39
	v_cmp_eq_u32_e32 vcc_lo, 0, v174
	s_and_b32 s24, s23, vcc_lo
	s_and_saveexec_b32 s23, s24
	s_cbranch_execz .LBB427_773
; %bb.772:                              ;   in Loop: Header=BB427_730 Depth=2
	s_waitcnt lgkmcnt(0)
	v_bcnt_u32_b32 v39, v39, v141
	ds_write_b32 v175, v39 offset:544
.LBB427_773:                            ;   in Loop: Header=BB427_730 Depth=2
	s_or_b32 exec_lo, exec_lo, s23
	v_lshrrev_b32_sdwa v39, s41, v140 dst_sel:DWORD dst_unused:UNUSED_PAD src0_sel:DWORD src1_sel:BYTE_2
	; wave barrier
	v_and_b32_e32 v40, s62, v39
	v_and_b32_e32 v39, 1, v40
	v_lshlrev_b32_e32 v176, 30, v40
	v_lshlrev_b32_e32 v177, 29, v40
	;; [unrolled: 1-line block ×4, first 2 shown]
	v_add_co_u32 v39, s23, v39, -1
	v_cndmask_b32_e64 v178, 0, 1, s23
	v_not_b32_e32 v182, v176
	v_cmp_gt_i32_e64 s23, 0, v176
	v_not_b32_e32 v176, v177
	v_lshlrev_b32_e32 v181, 26, v40
	v_cmp_ne_u32_e32 vcc_lo, 0, v178
	v_ashrrev_i32_e32 v182, 31, v182
	v_lshlrev_b32_e32 v178, 25, v40
	v_ashrrev_i32_e32 v176, 31, v176
	v_xor_b32_e32 v39, vcc_lo, v39
	v_cmp_gt_i32_e32 vcc_lo, 0, v177
	v_not_b32_e32 v177, v179
	v_xor_b32_e32 v182, s23, v182
	v_cmp_gt_i32_e64 s23, 0, v179
	v_and_b32_e32 v39, exec_lo, v39
	v_not_b32_e32 v179, v180
	v_ashrrev_i32_e32 v177, 31, v177
	v_xor_b32_e32 v176, vcc_lo, v176
	v_cmp_gt_i32_e32 vcc_lo, 0, v180
	v_and_b32_e32 v39, v39, v182
	v_not_b32_e32 v180, v181
	v_ashrrev_i32_e32 v179, 31, v179
	v_xor_b32_e32 v177, s23, v177
	v_cmp_gt_i32_e64 s23, 0, v181
	v_and_b32_e32 v39, v39, v176
	v_not_b32_e32 v176, v178
	v_ashrrev_i32_e32 v180, 31, v180
	v_xor_b32_e32 v179, vcc_lo, v179
	v_cmp_gt_i32_e32 vcc_lo, 0, v178
	v_and_b32_e32 v39, v39, v177
	v_ashrrev_i32_e32 v176, 31, v176
	v_xor_b32_e32 v177, s23, v180
	v_mad_u32_u24 v178, v40, 36, v116
	v_mul_u32_u24_e32 v40, 36, v40
	v_and_b32_e32 v39, v39, v179
	v_xor_b32_e32 v179, vcc_lo, v176
	ds_read_b32 v176, v178 offset:544
	v_and_b32_e32 v39, v39, v177
	; wave barrier
	v_and_b32_e32 v39, v39, v179
	v_add_nc_u32_e32 v179, v116, v40
	v_mbcnt_lo_u32_b32 v177, v39, 0
	v_cmp_ne_u32_e64 s23, 0, v39
	v_cmp_eq_u32_e32 vcc_lo, 0, v177
	s_and_b32 s24, s23, vcc_lo
	s_and_saveexec_b32 s23, s24
	s_cbranch_execz .LBB427_775
; %bb.774:                              ;   in Loop: Header=BB427_730 Depth=2
	s_waitcnt lgkmcnt(0)
	v_bcnt_u32_b32 v39, v39, v176
	ds_write_b32 v179, v39 offset:544
.LBB427_775:                            ;   in Loop: Header=BB427_730 Depth=2
	s_or_b32 exec_lo, exec_lo, s23
	v_lshrrev_b32_e32 v178, 24, v140
	; wave barrier
	v_lshrrev_b32_e32 v39, s41, v178
	v_and_b32_e32 v40, s62, v39
	v_and_b32_e32 v39, 1, v40
	v_lshlrev_b32_e32 v180, 30, v40
	v_lshlrev_b32_e32 v181, 29, v40
	;; [unrolled: 1-line block ×4, first 2 shown]
	v_add_co_u32 v39, s23, v39, -1
	v_cndmask_b32_e64 v182, 0, 1, s23
	v_not_b32_e32 v186, v180
	v_cmp_gt_i32_e64 s23, 0, v180
	v_not_b32_e32 v180, v181
	v_lshlrev_b32_e32 v185, 26, v40
	v_cmp_ne_u32_e32 vcc_lo, 0, v182
	v_ashrrev_i32_e32 v186, 31, v186
	v_lshlrev_b32_e32 v182, 25, v40
	v_ashrrev_i32_e32 v180, 31, v180
	v_xor_b32_e32 v39, vcc_lo, v39
	v_cmp_gt_i32_e32 vcc_lo, 0, v181
	v_not_b32_e32 v181, v183
	v_xor_b32_e32 v186, s23, v186
	v_cmp_gt_i32_e64 s23, 0, v183
	v_and_b32_e32 v39, exec_lo, v39
	v_not_b32_e32 v183, v184
	v_ashrrev_i32_e32 v181, 31, v181
	v_xor_b32_e32 v180, vcc_lo, v180
	v_cmp_gt_i32_e32 vcc_lo, 0, v184
	v_and_b32_e32 v39, v39, v186
	v_not_b32_e32 v184, v185
	v_ashrrev_i32_e32 v183, 31, v183
	v_xor_b32_e32 v181, s23, v181
	v_cmp_gt_i32_e64 s23, 0, v185
	v_and_b32_e32 v39, v39, v180
	v_not_b32_e32 v180, v182
	v_ashrrev_i32_e32 v184, 31, v184
	v_xor_b32_e32 v183, vcc_lo, v183
	v_cmp_gt_i32_e32 vcc_lo, 0, v182
	v_and_b32_e32 v39, v39, v181
	v_ashrrev_i32_e32 v180, 31, v180
	v_xor_b32_e32 v181, s23, v184
	v_mad_u32_u24 v182, v40, 36, v116
	v_mul_u32_u24_e32 v40, 36, v40
	v_and_b32_e32 v39, v39, v183
	v_xor_b32_e32 v183, vcc_lo, v180
	ds_read_b32 v180, v182 offset:544
	v_add_nc_u32_e32 v182, v116, v40
	v_and_b32_e32 v39, v39, v181
	; wave barrier
	v_and_b32_e32 v39, v39, v183
	v_mbcnt_lo_u32_b32 v181, v39, 0
	v_cmp_ne_u32_e64 s23, 0, v39
	v_cmp_eq_u32_e32 vcc_lo, 0, v181
	s_and_b32 s24, s23, vcc_lo
	s_and_saveexec_b32 s23, s24
	s_cbranch_execz .LBB427_777
; %bb.776:                              ;   in Loop: Header=BB427_730 Depth=2
	s_waitcnt lgkmcnt(0)
	v_bcnt_u32_b32 v39, v39, v180
	ds_write_b32 v182, v39 offset:544
.LBB427_777:                            ;   in Loop: Header=BB427_730 Depth=2
	s_or_b32 exec_lo, exec_lo, s23
	v_xor_b32_e32 v39, 0x80, v137
	; wave barrier
	v_and_b32_sdwa v40, v92, v39 dst_sel:DWORD dst_unused:UNUSED_PAD src0_sel:DWORD src1_sel:BYTE_0
	v_lshrrev_b32_e32 v40, s41, v40
	v_and_b32_e32 v184, s62, v40
	v_and_b32_e32 v40, 1, v184
	v_lshlrev_b32_e32 v137, 30, v184
	v_lshlrev_b32_e32 v183, 29, v184
	;; [unrolled: 1-line block ×4, first 2 shown]
	v_add_co_u32 v40, s23, v40, -1
	v_cndmask_b32_e64 v185, 0, 1, s23
	v_not_b32_e32 v189, v137
	v_cmp_gt_i32_e64 s23, 0, v137
	v_not_b32_e32 v137, v183
	v_lshlrev_b32_e32 v188, 26, v184
	v_cmp_ne_u32_e32 vcc_lo, 0, v185
	v_ashrrev_i32_e32 v189, 31, v189
	v_lshlrev_b32_e32 v185, 25, v184
	v_ashrrev_i32_e32 v137, 31, v137
	v_xor_b32_e32 v40, vcc_lo, v40
	v_cmp_gt_i32_e32 vcc_lo, 0, v183
	v_not_b32_e32 v183, v186
	v_xor_b32_e32 v189, s23, v189
	v_cmp_gt_i32_e64 s23, 0, v186
	v_and_b32_e32 v40, exec_lo, v40
	v_not_b32_e32 v186, v187
	v_ashrrev_i32_e32 v183, 31, v183
	v_xor_b32_e32 v137, vcc_lo, v137
	v_cmp_gt_i32_e32 vcc_lo, 0, v187
	v_and_b32_e32 v40, v40, v189
	v_not_b32_e32 v187, v188
	v_ashrrev_i32_e32 v186, 31, v186
	v_xor_b32_e32 v183, s23, v183
	v_cmp_gt_i32_e64 s23, 0, v188
	v_and_b32_e32 v40, v40, v137
	v_not_b32_e32 v137, v185
	v_ashrrev_i32_e32 v187, 31, v187
	v_xor_b32_e32 v186, vcc_lo, v186
	v_cmp_gt_i32_e32 vcc_lo, 0, v185
	v_and_b32_e32 v40, v40, v183
	v_ashrrev_i32_e32 v137, 31, v137
	v_xor_b32_e32 v183, s23, v187
	v_mad_u32_u24 v185, v184, 36, v116
	v_mul_u32_u24_e32 v184, 36, v184
	v_and_b32_e32 v40, v40, v186
	v_xor_b32_e32 v186, vcc_lo, v137
	ds_read_b32 v137, v185 offset:544
	v_add_nc_u32_e32 v185, v116, v184
	v_and_b32_e32 v40, v40, v183
	; wave barrier
	v_and_b32_e32 v40, v40, v186
	v_mbcnt_lo_u32_b32 v183, v40, 0
	v_cmp_ne_u32_e64 s23, 0, v40
	v_cmp_eq_u32_e32 vcc_lo, 0, v183
	s_and_b32 s24, s23, vcc_lo
	s_and_saveexec_b32 s23, s24
	s_cbranch_execz .LBB427_779
; %bb.778:                              ;   in Loop: Header=BB427_730 Depth=2
	s_waitcnt lgkmcnt(0)
	v_bcnt_u32_b32 v40, v40, v137
	ds_write_b32 v185, v40 offset:544
.LBB427_779:                            ;   in Loop: Header=BB427_730 Depth=2
	s_or_b32 exec_lo, exec_lo, s23
	v_xor_b32_sdwa v3, v3, v93 dst_sel:BYTE_1 dst_unused:UNUSED_PAD src0_sel:DWORD src1_sel:DWORD
	v_xor_b32_e32 v40, 0x80, v41
	v_xor_b32_sdwa v41, v42, v93 dst_sel:BYTE_1 dst_unused:UNUSED_PAD src0_sel:DWORD src1_sel:DWORD
	; wave barrier
	v_or_b32_sdwa v184, v39, v3 dst_sel:DWORD dst_unused:UNUSED_PAD src0_sel:BYTE_0 src1_sel:DWORD
	v_or_b32_sdwa v3, v40, v41 dst_sel:WORD_1 dst_unused:UNUSED_PAD src0_sel:BYTE_0 src1_sel:DWORD
	v_or_b32_sdwa v3, v184, v3 dst_sel:DWORD dst_unused:UNUSED_PAD src0_sel:WORD_0 src1_sel:DWORD
	v_lshrrev_b32_sdwa v39, s41, v3 dst_sel:DWORD dst_unused:UNUSED_PAD src0_sel:DWORD src1_sel:BYTE_1
	v_and_b32_e32 v40, s62, v39
	v_and_b32_e32 v39, 1, v40
	v_lshlrev_b32_e32 v41, 30, v40
	v_lshlrev_b32_e32 v42, 29, v40
	;; [unrolled: 1-line block ×4, first 2 shown]
	v_add_co_u32 v39, s23, v39, -1
	v_cndmask_b32_e64 v186, 0, 1, s23
	v_not_b32_e32 v190, v41
	v_cmp_gt_i32_e64 s23, 0, v41
	v_not_b32_e32 v41, v42
	v_lshlrev_b32_e32 v189, 26, v40
	v_cmp_ne_u32_e32 vcc_lo, 0, v186
	v_ashrrev_i32_e32 v190, 31, v190
	v_lshlrev_b32_e32 v186, 25, v40
	v_ashrrev_i32_e32 v41, 31, v41
	v_xor_b32_e32 v39, vcc_lo, v39
	v_cmp_gt_i32_e32 vcc_lo, 0, v42
	v_not_b32_e32 v42, v187
	v_xor_b32_e32 v190, s23, v190
	v_cmp_gt_i32_e64 s23, 0, v187
	v_and_b32_e32 v39, exec_lo, v39
	v_not_b32_e32 v187, v188
	v_ashrrev_i32_e32 v42, 31, v42
	v_xor_b32_e32 v41, vcc_lo, v41
	v_cmp_gt_i32_e32 vcc_lo, 0, v188
	v_and_b32_e32 v39, v39, v190
	v_not_b32_e32 v188, v189
	v_ashrrev_i32_e32 v187, 31, v187
	v_xor_b32_e32 v42, s23, v42
	v_cmp_gt_i32_e64 s23, 0, v189
	v_and_b32_e32 v39, v39, v41
	v_not_b32_e32 v41, v186
	v_ashrrev_i32_e32 v188, 31, v188
	v_xor_b32_e32 v187, vcc_lo, v187
	v_cmp_gt_i32_e32 vcc_lo, 0, v186
	v_and_b32_e32 v39, v39, v42
	v_ashrrev_i32_e32 v41, 31, v41
	v_xor_b32_e32 v42, s23, v188
	v_mad_u32_u24 v186, v40, 36, v116
	v_mul_u32_u24_e32 v40, 36, v40
	v_and_b32_e32 v39, v39, v187
	v_xor_b32_e32 v41, vcc_lo, v41
	ds_read_b32 v186, v186 offset:544
	v_add_nc_u32_e32 v188, v116, v40
	v_and_b32_e32 v39, v39, v42
	; wave barrier
	v_and_b32_e32 v39, v39, v41
	v_mbcnt_lo_u32_b32 v187, v39, 0
	v_cmp_ne_u32_e64 s23, 0, v39
	v_cmp_eq_u32_e32 vcc_lo, 0, v187
	s_and_b32 s24, s23, vcc_lo
	s_and_saveexec_b32 s23, s24
	s_cbranch_execz .LBB427_781
; %bb.780:                              ;   in Loop: Header=BB427_730 Depth=2
	s_waitcnt lgkmcnt(0)
	v_bcnt_u32_b32 v39, v39, v186
	ds_write_b32 v188, v39 offset:544
.LBB427_781:                            ;   in Loop: Header=BB427_730 Depth=2
	s_or_b32 exec_lo, exec_lo, s23
	v_lshrrev_b32_sdwa v39, s41, v3 dst_sel:DWORD dst_unused:UNUSED_PAD src0_sel:DWORD src1_sel:BYTE_2
	; wave barrier
	v_and_b32_e32 v40, s62, v39
	v_and_b32_e32 v39, 1, v40
	v_lshlrev_b32_e32 v41, 30, v40
	v_lshlrev_b32_e32 v42, 29, v40
	v_lshlrev_b32_e32 v190, 28, v40
	v_lshlrev_b32_e32 v191, 27, v40
	v_add_co_u32 v39, s23, v39, -1
	v_cndmask_b32_e64 v189, 0, 1, s23
	v_not_b32_e32 v193, v41
	v_cmp_gt_i32_e64 s23, 0, v41
	v_not_b32_e32 v41, v42
	v_lshlrev_b32_e32 v192, 26, v40
	v_cmp_ne_u32_e32 vcc_lo, 0, v189
	v_ashrrev_i32_e32 v193, 31, v193
	v_lshlrev_b32_e32 v189, 25, v40
	v_ashrrev_i32_e32 v41, 31, v41
	v_xor_b32_e32 v39, vcc_lo, v39
	v_cmp_gt_i32_e32 vcc_lo, 0, v42
	v_not_b32_e32 v42, v190
	v_xor_b32_e32 v193, s23, v193
	v_cmp_gt_i32_e64 s23, 0, v190
	v_and_b32_e32 v39, exec_lo, v39
	v_not_b32_e32 v190, v191
	v_ashrrev_i32_e32 v42, 31, v42
	v_xor_b32_e32 v41, vcc_lo, v41
	v_cmp_gt_i32_e32 vcc_lo, 0, v191
	v_and_b32_e32 v39, v39, v193
	v_not_b32_e32 v191, v192
	v_ashrrev_i32_e32 v190, 31, v190
	v_xor_b32_e32 v42, s23, v42
	v_cmp_gt_i32_e64 s23, 0, v192
	v_and_b32_e32 v39, v39, v41
	v_not_b32_e32 v41, v189
	v_ashrrev_i32_e32 v191, 31, v191
	v_xor_b32_e32 v190, vcc_lo, v190
	v_cmp_gt_i32_e32 vcc_lo, 0, v189
	v_and_b32_e32 v39, v39, v42
	v_ashrrev_i32_e32 v41, 31, v41
	v_xor_b32_e32 v42, s23, v191
	v_mad_u32_u24 v189, v40, 36, v116
	v_mul_u32_u24_e32 v40, 36, v40
	v_and_b32_e32 v39, v39, v190
	v_xor_b32_e32 v41, vcc_lo, v41
	ds_read_b32 v189, v189 offset:544
	v_add_nc_u32_e32 v192, v116, v40
	v_and_b32_e32 v39, v39, v42
	; wave barrier
	v_and_b32_e32 v39, v39, v41
	v_mbcnt_lo_u32_b32 v190, v39, 0
	v_cmp_ne_u32_e64 s23, 0, v39
	v_cmp_eq_u32_e32 vcc_lo, 0, v190
	s_and_b32 s24, s23, vcc_lo
	s_and_saveexec_b32 s23, s24
	s_cbranch_execz .LBB427_783
; %bb.782:                              ;   in Loop: Header=BB427_730 Depth=2
	s_waitcnt lgkmcnt(0)
	v_bcnt_u32_b32 v39, v39, v189
	ds_write_b32 v192, v39 offset:544
.LBB427_783:                            ;   in Loop: Header=BB427_730 Depth=2
	s_or_b32 exec_lo, exec_lo, s23
	v_lshrrev_b32_e32 v191, 24, v3
	; wave barrier
	v_lshrrev_b32_e32 v39, s41, v191
	v_and_b32_e32 v40, s62, v39
	v_and_b32_e32 v39, 1, v40
	v_lshlrev_b32_e32 v41, 30, v40
	v_lshlrev_b32_e32 v42, 29, v40
	;; [unrolled: 1-line block ×4, first 2 shown]
	v_add_co_u32 v39, s23, v39, -1
	v_cndmask_b32_e64 v193, 0, 1, s23
	v_not_b32_e32 v197, v41
	v_cmp_gt_i32_e64 s23, 0, v41
	v_not_b32_e32 v41, v42
	v_lshlrev_b32_e32 v196, 26, v40
	v_cmp_ne_u32_e32 vcc_lo, 0, v193
	v_ashrrev_i32_e32 v197, 31, v197
	v_lshlrev_b32_e32 v193, 25, v40
	v_ashrrev_i32_e32 v41, 31, v41
	v_xor_b32_e32 v39, vcc_lo, v39
	v_cmp_gt_i32_e32 vcc_lo, 0, v42
	v_not_b32_e32 v42, v194
	v_xor_b32_e32 v197, s23, v197
	v_cmp_gt_i32_e64 s23, 0, v194
	v_and_b32_e32 v39, exec_lo, v39
	v_not_b32_e32 v194, v195
	v_ashrrev_i32_e32 v42, 31, v42
	v_xor_b32_e32 v41, vcc_lo, v41
	v_cmp_gt_i32_e32 vcc_lo, 0, v195
	v_and_b32_e32 v39, v39, v197
	v_not_b32_e32 v195, v196
	v_ashrrev_i32_e32 v194, 31, v194
	v_xor_b32_e32 v42, s23, v42
	v_cmp_gt_i32_e64 s23, 0, v196
	v_and_b32_e32 v39, v39, v41
	v_not_b32_e32 v41, v193
	v_ashrrev_i32_e32 v195, 31, v195
	v_xor_b32_e32 v194, vcc_lo, v194
	v_cmp_gt_i32_e32 vcc_lo, 0, v193
	v_and_b32_e32 v39, v39, v42
	v_ashrrev_i32_e32 v41, 31, v41
	v_xor_b32_e32 v42, s23, v195
	v_mad_u32_u24 v193, v40, 36, v116
	v_mul_u32_u24_e32 v40, 36, v40
	v_and_b32_e32 v39, v39, v194
	v_xor_b32_e32 v41, vcc_lo, v41
	ds_read_b32 v193, v193 offset:544
	v_add_nc_u32_e32 v195, v116, v40
	v_and_b32_e32 v39, v39, v42
	; wave barrier
	v_and_b32_e32 v39, v39, v41
	v_mbcnt_lo_u32_b32 v194, v39, 0
	v_cmp_ne_u32_e64 s23, 0, v39
	v_cmp_eq_u32_e32 vcc_lo, 0, v194
	s_and_b32 s24, s23, vcc_lo
	s_and_saveexec_b32 s23, s24
	s_cbranch_execz .LBB427_785
; %bb.784:                              ;   in Loop: Header=BB427_730 Depth=2
	s_waitcnt lgkmcnt(0)
	v_bcnt_u32_b32 v39, v39, v193
	ds_write_b32 v195, v39 offset:544
.LBB427_785:                            ;   in Loop: Header=BB427_730 Depth=2
	s_or_b32 exec_lo, exec_lo, s23
	v_xor_b32_e32 v117, 0xffffff80, v117
	; wave barrier
	v_lshrrev_b32_sdwa v39, s41, v117 dst_sel:DWORD dst_unused:UNUSED_PAD src0_sel:DWORD src1_sel:BYTE_0
	v_and_b32_e32 v40, s62, v39
	v_and_b32_e32 v39, 1, v40
	v_lshlrev_b32_e32 v41, 30, v40
	v_lshlrev_b32_e32 v42, 29, v40
	v_lshlrev_b32_e32 v197, 28, v40
	v_lshlrev_b32_e32 v198, 27, v40
	v_add_co_u32 v39, s23, v39, -1
	v_cndmask_b32_e64 v196, 0, 1, s23
	v_not_b32_e32 v200, v41
	v_cmp_gt_i32_e64 s23, 0, v41
	v_not_b32_e32 v41, v42
	v_lshlrev_b32_e32 v199, 26, v40
	v_cmp_ne_u32_e32 vcc_lo, 0, v196
	v_ashrrev_i32_e32 v200, 31, v200
	v_lshlrev_b32_e32 v196, 25, v40
	v_ashrrev_i32_e32 v41, 31, v41
	v_xor_b32_e32 v39, vcc_lo, v39
	v_cmp_gt_i32_e32 vcc_lo, 0, v42
	v_not_b32_e32 v42, v197
	v_xor_b32_e32 v200, s23, v200
	v_cmp_gt_i32_e64 s23, 0, v197
	v_and_b32_e32 v39, exec_lo, v39
	v_not_b32_e32 v197, v198
	v_ashrrev_i32_e32 v42, 31, v42
	v_xor_b32_e32 v41, vcc_lo, v41
	v_cmp_gt_i32_e32 vcc_lo, 0, v198
	v_and_b32_e32 v39, v39, v200
	v_not_b32_e32 v198, v199
	v_ashrrev_i32_e32 v197, 31, v197
	v_xor_b32_e32 v42, s23, v42
	v_cmp_gt_i32_e64 s23, 0, v199
	v_and_b32_e32 v39, v39, v41
	v_not_b32_e32 v41, v196
	v_ashrrev_i32_e32 v198, 31, v198
	v_xor_b32_e32 v197, vcc_lo, v197
	v_cmp_gt_i32_e32 vcc_lo, 0, v196
	v_and_b32_e32 v39, v39, v42
	v_ashrrev_i32_e32 v41, 31, v41
	v_xor_b32_e32 v42, s23, v198
	v_mad_u32_u24 v196, v40, 36, v116
	v_mul_u32_u24_e32 v40, 36, v40
	v_and_b32_e32 v39, v39, v197
	v_xor_b32_e32 v41, vcc_lo, v41
	ds_read_b32 v196, v196 offset:544
	v_add_nc_u32_e32 v198, v116, v40
	v_and_b32_e32 v39, v39, v42
	; wave barrier
	v_and_b32_e32 v39, v39, v41
	v_mbcnt_lo_u32_b32 v197, v39, 0
	v_cmp_ne_u32_e64 s23, 0, v39
	v_cmp_eq_u32_e32 vcc_lo, 0, v197
	s_and_b32 s24, s23, vcc_lo
	s_and_saveexec_b32 s23, s24
	s_cbranch_execz .LBB427_787
; %bb.786:                              ;   in Loop: Header=BB427_730 Depth=2
	s_waitcnt lgkmcnt(0)
	v_bcnt_u32_b32 v39, v39, v196
	ds_write_b32 v198, v39 offset:544
.LBB427_787:                            ;   in Loop: Header=BB427_730 Depth=2
	s_or_b32 exec_lo, exec_lo, s23
	; wave barrier
	s_waitcnt lgkmcnt(0)
	s_barrier
	buffer_gl0_inv
	ds_read2_b32 v[41:42], v69 offset0:136 offset1:137
	ds_read2_b32 v[39:40], v69 offset0:138 offset1:139
	ds_read_b32 v199, v69 offset:560
	s_waitcnt lgkmcnt(1)
	v_add3_u32 v200, v42, v41, v39
	s_waitcnt lgkmcnt(0)
	v_add3_u32 v199, v200, v40, v199
	v_mov_b32_dpp v200, v199 row_shr:1 row_mask:0xf bank_mask:0xf
	v_cndmask_b32_e64 v200, v200, 0, s5
	v_add_nc_u32_e32 v199, v200, v199
	v_mov_b32_dpp v200, v199 row_shr:2 row_mask:0xf bank_mask:0xf
	v_cndmask_b32_e64 v200, 0, v200, s15
	v_add_nc_u32_e32 v199, v199, v200
	;; [unrolled: 3-line block ×4, first 2 shown]
	ds_swizzle_b32 v200, v199 offset:swizzle(BROADCAST,32,15)
	s_waitcnt lgkmcnt(0)
	v_cndmask_b32_e64 v200, v200, 0, s18
	v_add_nc_u32_e32 v199, v199, v200
	s_and_saveexec_b32 s23, s4
; %bb.788:                              ;   in Loop: Header=BB427_730 Depth=2
	ds_write_b32 v62, v199 offset:512
; %bb.789:                              ;   in Loop: Header=BB427_730 Depth=2
	s_or_b32 exec_lo, exec_lo, s23
	s_waitcnt lgkmcnt(0)
	s_barrier
	buffer_gl0_inv
	s_and_saveexec_b32 s23, s12
	s_cbranch_execz .LBB427_791
; %bb.790:                              ;   in Loop: Header=BB427_730 Depth=2
	ds_read_b32 v200, v70 offset:512
	s_waitcnt lgkmcnt(0)
	v_mov_b32_dpp v201, v200 row_shr:1 row_mask:0xf bank_mask:0xf
	v_cndmask_b32_e64 v201, v201, 0, s20
	v_add_nc_u32_e32 v200, v201, v200
	v_mov_b32_dpp v201, v200 row_shr:2 row_mask:0xf bank_mask:0xf
	v_cndmask_b32_e64 v201, 0, v201, s21
	v_add_nc_u32_e32 v200, v200, v201
	;; [unrolled: 3-line block ×3, first 2 shown]
	ds_write_b32 v70, v200 offset:512
.LBB427_791:                            ;   in Loop: Header=BB427_730 Depth=2
	s_or_b32 exec_lo, exec_lo, s23
	v_mov_b32_e32 v200, 0
	s_waitcnt lgkmcnt(0)
	s_barrier
	buffer_gl0_inv
	s_and_saveexec_b32 s23, s11
; %bb.792:                              ;   in Loop: Header=BB427_730 Depth=2
	ds_read_b32 v200, v62 offset:508
; %bb.793:                              ;   in Loop: Header=BB427_730 Depth=2
	s_or_b32 exec_lo, exec_lo, s23
	s_waitcnt lgkmcnt(0)
	v_add_nc_u32_e32 v199, v200, v199
	ds_bpermute_b32 v199, v94, v199
	s_waitcnt lgkmcnt(0)
	v_cndmask_b32_e64 v199, v199, v200, s19
	v_cndmask_b32_e64 v199, v199, 0, s13
	v_add_nc_u32_e32 v41, v199, v41
	v_add_nc_u32_e32 v42, v41, v42
	;; [unrolled: 1-line block ×4, first 2 shown]
	ds_write2_b32 v69, v199, v41 offset0:136 offset1:137
	ds_write2_b32 v69, v42, v39 offset0:138 offset1:139
	ds_write_b32 v69, v40 offset:560
	s_waitcnt lgkmcnt(0)
	s_barrier
	buffer_gl0_inv
	ds_read_b32 v39, v149 offset:544
	ds_read_b32 v40, v153 offset:544
	;; [unrolled: 1-line block ×17, first 2 shown]
	s_and_saveexec_b32 s23, s8
	s_cbranch_execz .LBB427_797
; %bb.794:                              ;   in Loop: Header=BB427_730 Depth=2
	v_add_nc_u32_e32 v135, v70, v72
	v_mov_b32_e32 v136, 0x1100
	ds_read_b32 v135, v135 offset:544
	s_and_saveexec_b32 s24, s14
; %bb.795:                              ;   in Loop: Header=BB427_730 Depth=2
	ds_read_b32 v136, v71 offset:544
; %bb.796:                              ;   in Loop: Header=BB427_730 Depth=2
	s_or_b32 exec_lo, exec_lo, s24
	s_waitcnt lgkmcnt(0)
	v_sub_nc_u32_e32 v136, v136, v135
.LBB427_797:                            ;   in Loop: Header=BB427_730 Depth=2
	s_or_b32 exec_lo, exec_lo, s23
	v_lshrrev_b32_e32 v203, 8, v148
	v_lshrrev_b32_e32 v204, 16, v148
	v_lshrrev_b32_e32 v201, 8, v144
	v_lshrrev_b32_e32 v202, 16, v144
	v_lshrrev_b32_e32 v199, 8, v140
	v_lshrrev_b32_e32 v200, 16, v140
	v_lshrrev_b32_e32 v195, 8, v3
	v_lshrrev_b32_e32 v198, 16, v3
	s_waitcnt lgkmcnt(0)
	s_barrier
	buffer_gl0_inv
	s_and_saveexec_b32 s23, s8
	s_cbranch_execz .LBB427_799
; %bb.798:                              ;   in Loop: Header=BB427_730 Depth=2
	ds_read_b32 v3, v43
	s_waitcnt lgkmcnt(0)
	v_sub_nc_u32_e32 v3, v3, v135
	ds_write_b32 v43, v3
.LBB427_799:                            ;   in Loop: Header=BB427_730 Depth=2
	s_or_b32 exec_lo, exec_lo, s23
	v_add_nc_u32_e32 v157, v39, v146
	v_add3_u32 v153, v152, v151, v40
	v_add3_u32 v152, v155, v154, v41
	;; [unrolled: 1-line block ×16, first 2 shown]
	v_cmp_lt_u32_e64 s39, v0, v138
	ds_write_b8 v157, v147 offset:512
	ds_write_b8 v153, v203 offset:512
	;; [unrolled: 1-line block ×17, first 2 shown]
	s_waitcnt lgkmcnt(0)
	s_barrier
	buffer_gl0_inv
	s_and_saveexec_b32 s23, s39
	s_cbranch_execnz .LBB427_872
; %bb.800:                              ;   in Loop: Header=BB427_730 Depth=2
	s_or_b32 exec_lo, exec_lo, s23
	v_cmp_lt_u32_e64 s38, v44, v138
	s_and_saveexec_b32 s23, s38
	s_cbranch_execnz .LBB427_873
.LBB427_801:                            ;   in Loop: Header=BB427_730 Depth=2
	s_or_b32 exec_lo, exec_lo, s23
	v_cmp_lt_u32_e64 s37, v47, v138
	s_and_saveexec_b32 s23, s37
	s_cbranch_execnz .LBB427_874
.LBB427_802:                            ;   in Loop: Header=BB427_730 Depth=2
	s_or_b32 exec_lo, exec_lo, s23
	v_cmp_lt_u32_e64 s36, v48, v138
	s_and_saveexec_b32 s23, s36
	s_cbranch_execnz .LBB427_875
.LBB427_803:                            ;   in Loop: Header=BB427_730 Depth=2
	s_or_b32 exec_lo, exec_lo, s23
	v_cmp_lt_u32_e64 s35, v49, v138
	s_and_saveexec_b32 s23, s35
	s_cbranch_execnz .LBB427_876
.LBB427_804:                            ;   in Loop: Header=BB427_730 Depth=2
	s_or_b32 exec_lo, exec_lo, s23
	v_cmp_lt_u32_e64 s34, v50, v138
	s_and_saveexec_b32 s23, s34
	s_cbranch_execnz .LBB427_877
.LBB427_805:                            ;   in Loop: Header=BB427_730 Depth=2
	s_or_b32 exec_lo, exec_lo, s23
	v_cmp_lt_u32_e64 s33, v51, v138
	s_and_saveexec_b32 s23, s33
	s_cbranch_execnz .LBB427_878
.LBB427_806:                            ;   in Loop: Header=BB427_730 Depth=2
	s_or_b32 exec_lo, exec_lo, s23
	v_cmp_lt_u32_e64 s31, v52, v138
	s_and_saveexec_b32 s23, s31
	s_cbranch_execnz .LBB427_879
.LBB427_807:                            ;   in Loop: Header=BB427_730 Depth=2
	s_or_b32 exec_lo, exec_lo, s23
	v_cmp_lt_u32_e64 s30, v53, v138
	s_and_saveexec_b32 s23, s30
	s_cbranch_execnz .LBB427_880
.LBB427_808:                            ;   in Loop: Header=BB427_730 Depth=2
	s_or_b32 exec_lo, exec_lo, s23
	v_cmp_lt_u32_e64 s29, v54, v138
	s_and_saveexec_b32 s23, s29
	s_cbranch_execnz .LBB427_881
.LBB427_809:                            ;   in Loop: Header=BB427_730 Depth=2
	s_or_b32 exec_lo, exec_lo, s23
	v_cmp_lt_u32_e64 s28, v55, v138
	s_and_saveexec_b32 s23, s28
	s_cbranch_execnz .LBB427_882
.LBB427_810:                            ;   in Loop: Header=BB427_730 Depth=2
	s_or_b32 exec_lo, exec_lo, s23
	v_cmp_lt_u32_e64 s27, v56, v138
	s_and_saveexec_b32 s23, s27
	s_cbranch_execnz .LBB427_883
.LBB427_811:                            ;   in Loop: Header=BB427_730 Depth=2
	s_or_b32 exec_lo, exec_lo, s23
	v_cmp_lt_u32_e64 s26, v57, v138
	s_and_saveexec_b32 s23, s26
	s_cbranch_execnz .LBB427_884
.LBB427_812:                            ;   in Loop: Header=BB427_730 Depth=2
	s_or_b32 exec_lo, exec_lo, s23
	v_cmp_lt_u32_e64 s25, v58, v138
	s_and_saveexec_b32 s23, s25
	s_cbranch_execnz .LBB427_885
.LBB427_813:                            ;   in Loop: Header=BB427_730 Depth=2
	s_or_b32 exec_lo, exec_lo, s23
	v_cmp_lt_u32_e64 s24, v59, v138
	s_and_saveexec_b32 s23, s24
	s_cbranch_execnz .LBB427_886
.LBB427_814:                            ;   in Loop: Header=BB427_730 Depth=2
	s_or_b32 exec_lo, exec_lo, s23
	v_cmp_lt_u32_e64 s23, v60, v138
	s_and_saveexec_b32 s40, s23
	s_cbranch_execnz .LBB427_887
.LBB427_815:                            ;   in Loop: Header=BB427_730 Depth=2
	s_or_b32 exec_lo, exec_lo, s40
	v_cmp_lt_u32_e32 vcc_lo, v61, v138
	s_and_saveexec_b32 s40, vcc_lo
	s_cbranch_execz .LBB427_817
.LBB427_816:                            ;   in Loop: Header=BB427_730 Depth=2
	ds_read_u8 v39, v0 offset:4608
	s_waitcnt lgkmcnt(0)
	v_lshrrev_b32_sdwa v40, s41, v39 dst_sel:DWORD dst_unused:UNUSED_PAD src0_sel:DWORD src1_sel:BYTE_0
	v_xor_b32_e32 v39, 0x80, v39
	v_and_b32_e32 v40, s62, v40
	v_lshlrev_b32_e32 v40, 2, v40
	ds_read_b32 v40, v40
	s_waitcnt lgkmcnt(0)
	v_add_nc_u32_e32 v40, v40, v61
	global_store_byte v40, v39, s[46:47]
.LBB427_817:                            ;   in Loop: Header=BB427_730 Depth=2
	s_or_b32 exec_lo, exec_lo, s40
	s_lshl_b64 s[66:67], s[50:51], 3
	v_add_co_u32 v39, s40, v98, s66
	v_add_co_ci_u32_e64 v40, null, s67, v99, s40
	v_cmp_lt_u32_e64 s40, v95, v138
	s_and_saveexec_b32 s50, s40
	s_xor_b32 s40, exec_lo, s50
	s_cbranch_execnz .LBB427_888
; %bb.818:                              ;   in Loop: Header=BB427_730 Depth=2
	s_or_b32 exec_lo, exec_lo, s40
	s_mov_b32 s50, exec_lo
	v_cmpx_lt_u32_e64 v100, v138
	s_cbranch_execnz .LBB427_889
.LBB427_819:                            ;   in Loop: Header=BB427_730 Depth=2
	s_or_b32 exec_lo, exec_lo, s50
	s_mov_b32 s50, exec_lo
	v_cmpx_lt_u32_e64 v101, v138
	s_cbranch_execnz .LBB427_890
.LBB427_820:                            ;   in Loop: Header=BB427_730 Depth=2
	s_or_b32 exec_lo, exec_lo, s50
	s_mov_b32 s50, exec_lo
	v_cmpx_lt_u32_e64 v102, v138
	s_cbranch_execnz .LBB427_891
.LBB427_821:                            ;   in Loop: Header=BB427_730 Depth=2
	s_or_b32 exec_lo, exec_lo, s50
	s_mov_b32 s50, exec_lo
	v_cmpx_lt_u32_e64 v103, v138
	s_cbranch_execnz .LBB427_892
.LBB427_822:                            ;   in Loop: Header=BB427_730 Depth=2
	s_or_b32 exec_lo, exec_lo, s50
	s_mov_b32 s50, exec_lo
	v_cmpx_lt_u32_e64 v104, v138
	s_cbranch_execnz .LBB427_893
.LBB427_823:                            ;   in Loop: Header=BB427_730 Depth=2
	s_or_b32 exec_lo, exec_lo, s50
	s_mov_b32 s50, exec_lo
	v_cmpx_lt_u32_e64 v105, v138
	s_cbranch_execnz .LBB427_894
.LBB427_824:                            ;   in Loop: Header=BB427_730 Depth=2
	s_or_b32 exec_lo, exec_lo, s50
	s_mov_b32 s50, exec_lo
	v_cmpx_lt_u32_e64 v106, v138
	s_cbranch_execnz .LBB427_895
.LBB427_825:                            ;   in Loop: Header=BB427_730 Depth=2
	s_or_b32 exec_lo, exec_lo, s50
	s_mov_b32 s50, exec_lo
	v_cmpx_lt_u32_e64 v107, v138
	s_cbranch_execnz .LBB427_896
.LBB427_826:                            ;   in Loop: Header=BB427_730 Depth=2
	s_or_b32 exec_lo, exec_lo, s50
	s_mov_b32 s50, exec_lo
	v_cmpx_lt_u32_e64 v108, v138
	s_cbranch_execnz .LBB427_897
.LBB427_827:                            ;   in Loop: Header=BB427_730 Depth=2
	s_or_b32 exec_lo, exec_lo, s50
	s_mov_b32 s50, exec_lo
	v_cmpx_lt_u32_e64 v109, v138
	s_cbranch_execnz .LBB427_898
.LBB427_828:                            ;   in Loop: Header=BB427_730 Depth=2
	s_or_b32 exec_lo, exec_lo, s50
	s_mov_b32 s50, exec_lo
	v_cmpx_lt_u32_e64 v110, v138
	s_cbranch_execnz .LBB427_899
.LBB427_829:                            ;   in Loop: Header=BB427_730 Depth=2
	s_or_b32 exec_lo, exec_lo, s50
	s_mov_b32 s50, exec_lo
	v_cmpx_lt_u32_e64 v111, v138
	s_cbranch_execnz .LBB427_900
.LBB427_830:                            ;   in Loop: Header=BB427_730 Depth=2
	s_or_b32 exec_lo, exec_lo, s50
	s_mov_b32 s50, exec_lo
	v_cmpx_lt_u32_e64 v112, v138
	s_cbranch_execnz .LBB427_901
.LBB427_831:                            ;   in Loop: Header=BB427_730 Depth=2
	s_or_b32 exec_lo, exec_lo, s50
	s_mov_b32 s50, exec_lo
	v_cmpx_lt_u32_e64 v113, v138
	s_cbranch_execnz .LBB427_902
.LBB427_832:                            ;   in Loop: Header=BB427_730 Depth=2
	s_or_b32 exec_lo, exec_lo, s50
	s_mov_b32 s50, exec_lo
	v_cmpx_lt_u32_e64 v114, v138
	s_cbranch_execnz .LBB427_903
.LBB427_833:                            ;   in Loop: Header=BB427_730 Depth=2
	s_or_b32 exec_lo, exec_lo, s50
	s_mov_b32 s50, exec_lo
	v_cmpx_lt_u32_e64 v115, v138
	s_cbranch_execnz .LBB427_904
.LBB427_834:                            ;   in Loop: Header=BB427_730 Depth=2
	s_or_b32 exec_lo, exec_lo, s50
	s_and_saveexec_b32 s40, s39
	s_cbranch_execnz .LBB427_905
.LBB427_835:                            ;   in Loop: Header=BB427_730 Depth=2
	s_or_b32 exec_lo, exec_lo, s40
	s_and_saveexec_b32 s40, s38
	s_cbranch_execnz .LBB427_906
.LBB427_836:                            ;   in Loop: Header=BB427_730 Depth=2
	s_or_b32 exec_lo, exec_lo, s40
	s_and_saveexec_b32 s40, s37
	s_cbranch_execnz .LBB427_907
.LBB427_837:                            ;   in Loop: Header=BB427_730 Depth=2
	s_or_b32 exec_lo, exec_lo, s40
	s_and_saveexec_b32 s40, s36
	s_cbranch_execnz .LBB427_908
.LBB427_838:                            ;   in Loop: Header=BB427_730 Depth=2
	s_or_b32 exec_lo, exec_lo, s40
	s_and_saveexec_b32 s40, s35
	s_cbranch_execnz .LBB427_909
.LBB427_839:                            ;   in Loop: Header=BB427_730 Depth=2
	s_or_b32 exec_lo, exec_lo, s40
	s_and_saveexec_b32 s40, s34
	s_cbranch_execnz .LBB427_910
.LBB427_840:                            ;   in Loop: Header=BB427_730 Depth=2
	s_or_b32 exec_lo, exec_lo, s40
	s_and_saveexec_b32 s40, s33
	s_cbranch_execnz .LBB427_911
.LBB427_841:                            ;   in Loop: Header=BB427_730 Depth=2
	s_or_b32 exec_lo, exec_lo, s40
	s_and_saveexec_b32 s40, s31
	s_cbranch_execnz .LBB427_912
.LBB427_842:                            ;   in Loop: Header=BB427_730 Depth=2
	s_or_b32 exec_lo, exec_lo, s40
	s_and_saveexec_b32 s40, s30
	s_cbranch_execnz .LBB427_913
.LBB427_843:                            ;   in Loop: Header=BB427_730 Depth=2
	s_or_b32 exec_lo, exec_lo, s40
	s_and_saveexec_b32 s40, s29
	s_cbranch_execnz .LBB427_914
.LBB427_844:                            ;   in Loop: Header=BB427_730 Depth=2
	s_or_b32 exec_lo, exec_lo, s40
	s_and_saveexec_b32 s40, s28
	s_cbranch_execnz .LBB427_915
.LBB427_845:                            ;   in Loop: Header=BB427_730 Depth=2
	s_or_b32 exec_lo, exec_lo, s40
	s_and_saveexec_b32 s40, s27
	s_cbranch_execnz .LBB427_916
.LBB427_846:                            ;   in Loop: Header=BB427_730 Depth=2
	s_or_b32 exec_lo, exec_lo, s40
	s_and_saveexec_b32 s40, s26
	s_cbranch_execnz .LBB427_917
.LBB427_847:                            ;   in Loop: Header=BB427_730 Depth=2
	s_or_b32 exec_lo, exec_lo, s40
	s_and_saveexec_b32 s40, s25
	s_cbranch_execnz .LBB427_918
.LBB427_848:                            ;   in Loop: Header=BB427_730 Depth=2
	s_or_b32 exec_lo, exec_lo, s40
	s_and_saveexec_b32 s40, s24
	s_cbranch_execnz .LBB427_919
.LBB427_849:                            ;   in Loop: Header=BB427_730 Depth=2
	s_or_b32 exec_lo, exec_lo, s40
	s_and_saveexec_b32 s40, s23
	s_cbranch_execnz .LBB427_920
.LBB427_850:                            ;   in Loop: Header=BB427_730 Depth=2
	s_or_b32 exec_lo, exec_lo, s40
	s_and_saveexec_b32 s40, vcc_lo
	s_cbranch_execz .LBB427_852
.LBB427_851:                            ;   in Loop: Header=BB427_730 Depth=2
	ds_read_u8 v39, v0 offset:4608
	s_waitcnt lgkmcnt(0)
	v_lshrrev_b32_e32 v39, s41, v39
	v_and_b32_e32 v118, s62, v39
.LBB427_852:                            ;   in Loop: Header=BB427_730 Depth=2
	s_or_b32 exec_lo, exec_lo, s40
	v_lshlrev_b32_e32 v39, 3, v157
	v_lshlrev_b32_e32 v40, 3, v153
	s_waitcnt vmcnt(0)
	s_waitcnt_vscnt null, 0x0
	s_barrier
	buffer_gl0_inv
	ds_write_b64 v39, v[37:38] offset:512
	ds_write_b64 v40, v[35:36] offset:512
	v_lshlrev_b32_e32 v39, 3, v152
	v_lshlrev_b32_e32 v40, 3, v151
	v_lshlrev_b32_e32 v138, 3, v150
	v_lshlrev_b32_e32 v139, 3, v149
	v_lshlrev_b32_e32 v143, 3, v148
	ds_write_b64 v39, v[33:34] offset:512
	ds_write_b64 v40, v[31:32] offset:512
	ds_write_b64 v138, v[29:30] offset:512
	ds_write_b64 v139, v[25:26] offset:512
	ds_write_b64 v143, v[21:22] offset:512
	v_lshlrev_b32_e32 v39, 3, v146
	v_lshlrev_b32_e32 v40, 3, v145
	v_lshlrev_b32_e32 v138, 3, v144
	v_lshlrev_b32_e32 v139, 3, v142
	v_lshlrev_b32_e32 v141, 3, v141
	ds_write_b64 v39, v[17:18] offset:512
	ds_write_b64 v40, v[27:28] offset:512
	ds_write_b64 v138, v[23:24] offset:512
	;; [unrolled: 10-line block ×3, first 2 shown]
	ds_write_b64 v41, v[7:8] offset:512
	ds_write_b64 v3, v[5:6] offset:512
	s_waitcnt lgkmcnt(0)
	s_barrier
	buffer_gl0_inv
	s_and_saveexec_b32 s40, s39
	s_cbranch_execnz .LBB427_921
; %bb.853:                              ;   in Loop: Header=BB427_730 Depth=2
	s_or_b32 exec_lo, exec_lo, s40
	s_and_saveexec_b32 s39, s38
	s_cbranch_execnz .LBB427_922
.LBB427_854:                            ;   in Loop: Header=BB427_730 Depth=2
	s_or_b32 exec_lo, exec_lo, s39
	s_and_saveexec_b32 s38, s37
	s_cbranch_execnz .LBB427_923
.LBB427_855:                            ;   in Loop: Header=BB427_730 Depth=2
	s_or_b32 exec_lo, exec_lo, s38
	s_and_saveexec_b32 s37, s36
	s_cbranch_execnz .LBB427_924
.LBB427_856:                            ;   in Loop: Header=BB427_730 Depth=2
	s_or_b32 exec_lo, exec_lo, s37
	s_and_saveexec_b32 s36, s35
	s_cbranch_execnz .LBB427_925
.LBB427_857:                            ;   in Loop: Header=BB427_730 Depth=2
	s_or_b32 exec_lo, exec_lo, s36
	s_and_saveexec_b32 s35, s34
	s_cbranch_execnz .LBB427_926
.LBB427_858:                            ;   in Loop: Header=BB427_730 Depth=2
	s_or_b32 exec_lo, exec_lo, s35
	s_and_saveexec_b32 s34, s33
	s_cbranch_execnz .LBB427_927
.LBB427_859:                            ;   in Loop: Header=BB427_730 Depth=2
	s_or_b32 exec_lo, exec_lo, s34
	s_and_saveexec_b32 s33, s31
	s_cbranch_execnz .LBB427_928
.LBB427_860:                            ;   in Loop: Header=BB427_730 Depth=2
	s_or_b32 exec_lo, exec_lo, s33
	s_and_saveexec_b32 s31, s30
	s_cbranch_execnz .LBB427_929
.LBB427_861:                            ;   in Loop: Header=BB427_730 Depth=2
	s_or_b32 exec_lo, exec_lo, s31
	s_and_saveexec_b32 s30, s29
	s_cbranch_execnz .LBB427_930
.LBB427_862:                            ;   in Loop: Header=BB427_730 Depth=2
	s_or_b32 exec_lo, exec_lo, s30
	s_and_saveexec_b32 s29, s28
	s_cbranch_execnz .LBB427_931
.LBB427_863:                            ;   in Loop: Header=BB427_730 Depth=2
	s_or_b32 exec_lo, exec_lo, s29
	s_and_saveexec_b32 s28, s27
	s_cbranch_execnz .LBB427_932
.LBB427_864:                            ;   in Loop: Header=BB427_730 Depth=2
	s_or_b32 exec_lo, exec_lo, s28
	s_and_saveexec_b32 s27, s26
	s_cbranch_execnz .LBB427_933
.LBB427_865:                            ;   in Loop: Header=BB427_730 Depth=2
	s_or_b32 exec_lo, exec_lo, s27
	s_and_saveexec_b32 s26, s25
	s_cbranch_execnz .LBB427_934
.LBB427_866:                            ;   in Loop: Header=BB427_730 Depth=2
	s_or_b32 exec_lo, exec_lo, s26
	s_and_saveexec_b32 s25, s24
	s_cbranch_execnz .LBB427_935
.LBB427_867:                            ;   in Loop: Header=BB427_730 Depth=2
	s_or_b32 exec_lo, exec_lo, s25
	s_and_saveexec_b32 s24, s23
	s_cbranch_execnz .LBB427_936
.LBB427_868:                            ;   in Loop: Header=BB427_730 Depth=2
	s_or_b32 exec_lo, exec_lo, s24
	s_and_saveexec_b32 s23, vcc_lo
	s_cbranch_execz .LBB427_870
.LBB427_869:                            ;   in Loop: Header=BB427_730 Depth=2
	v_lshlrev_b32_e32 v3, 2, v118
	v_add_nc_u32_e32 v39, v0, v75
	ds_read_b32 v3, v3
	ds_read_b64 v[39:40], v39 offset:33280
	s_waitcnt lgkmcnt(1)
	v_add_nc_u32_e32 v3, v3, v61
	v_lshlrev_b64 v[41:42], 3, v[3:4]
	v_add_co_u32 v41, vcc_lo, s52, v41
	v_add_co_ci_u32_e64 v42, null, s53, v42, vcc_lo
	s_waitcnt lgkmcnt(0)
	global_store_dwordx2 v[41:42], v[39:40], off
.LBB427_870:                            ;   in Loop: Header=BB427_730 Depth=2
	s_or_b32 exec_lo, exec_lo, s23
	s_waitcnt_vscnt null, 0x0
	s_barrier
	buffer_gl0_inv
	s_and_saveexec_b32 s23, s8
	s_cbranch_execz .LBB427_729
; %bb.871:                              ;   in Loop: Header=BB427_730 Depth=2
	ds_read_b32 v3, v43
	s_waitcnt lgkmcnt(0)
	v_add3_u32 v3, v135, v136, v3
	ds_write_b32 v43, v3
	s_branch .LBB427_729
.LBB427_872:                            ;   in Loop: Header=BB427_730 Depth=2
	ds_read_u8 v39, v0 offset:512
	s_waitcnt lgkmcnt(0)
	v_lshrrev_b32_sdwa v40, s41, v39 dst_sel:DWORD dst_unused:UNUSED_PAD src0_sel:DWORD src1_sel:BYTE_0
	v_xor_b32_e32 v39, 0x80, v39
	v_and_b32_e32 v40, s62, v40
	v_lshlrev_b32_e32 v40, 2, v40
	ds_read_b32 v40, v40
	s_waitcnt lgkmcnt(0)
	v_add_nc_u32_e32 v40, v40, v0
	global_store_byte v40, v39, s[46:47]
	s_or_b32 exec_lo, exec_lo, s23
	v_cmp_lt_u32_e64 s38, v44, v138
	s_and_saveexec_b32 s23, s38
	s_cbranch_execz .LBB427_801
.LBB427_873:                            ;   in Loop: Header=BB427_730 Depth=2
	ds_read_u8 v39, v0 offset:768
	s_waitcnt lgkmcnt(0)
	v_lshrrev_b32_sdwa v40, s41, v39 dst_sel:DWORD dst_unused:UNUSED_PAD src0_sel:DWORD src1_sel:BYTE_0
	v_xor_b32_e32 v39, 0x80, v39
	v_and_b32_e32 v40, s62, v40
	v_lshlrev_b32_e32 v40, 2, v40
	ds_read_b32 v40, v40
	s_waitcnt lgkmcnt(0)
	v_add_nc_u32_e32 v40, v40, v44
	global_store_byte v40, v39, s[46:47]
	s_or_b32 exec_lo, exec_lo, s23
	v_cmp_lt_u32_e64 s37, v47, v138
	s_and_saveexec_b32 s23, s37
	s_cbranch_execz .LBB427_802
.LBB427_874:                            ;   in Loop: Header=BB427_730 Depth=2
	ds_read_u8 v39, v0 offset:1024
	s_waitcnt lgkmcnt(0)
	v_lshrrev_b32_sdwa v40, s41, v39 dst_sel:DWORD dst_unused:UNUSED_PAD src0_sel:DWORD src1_sel:BYTE_0
	v_xor_b32_e32 v39, 0x80, v39
	v_and_b32_e32 v40, s62, v40
	v_lshlrev_b32_e32 v40, 2, v40
	ds_read_b32 v40, v40
	s_waitcnt lgkmcnt(0)
	v_add_nc_u32_e32 v40, v40, v47
	global_store_byte v40, v39, s[46:47]
	s_or_b32 exec_lo, exec_lo, s23
	v_cmp_lt_u32_e64 s36, v48, v138
	s_and_saveexec_b32 s23, s36
	s_cbranch_execz .LBB427_803
.LBB427_875:                            ;   in Loop: Header=BB427_730 Depth=2
	ds_read_u8 v39, v0 offset:1280
	s_waitcnt lgkmcnt(0)
	v_lshrrev_b32_sdwa v40, s41, v39 dst_sel:DWORD dst_unused:UNUSED_PAD src0_sel:DWORD src1_sel:BYTE_0
	v_xor_b32_e32 v39, 0x80, v39
	v_and_b32_e32 v40, s62, v40
	v_lshlrev_b32_e32 v40, 2, v40
	ds_read_b32 v40, v40
	s_waitcnt lgkmcnt(0)
	v_add_nc_u32_e32 v40, v40, v48
	global_store_byte v40, v39, s[46:47]
	s_or_b32 exec_lo, exec_lo, s23
	v_cmp_lt_u32_e64 s35, v49, v138
	s_and_saveexec_b32 s23, s35
	s_cbranch_execz .LBB427_804
.LBB427_876:                            ;   in Loop: Header=BB427_730 Depth=2
	ds_read_u8 v39, v0 offset:1536
	s_waitcnt lgkmcnt(0)
	v_lshrrev_b32_sdwa v40, s41, v39 dst_sel:DWORD dst_unused:UNUSED_PAD src0_sel:DWORD src1_sel:BYTE_0
	v_xor_b32_e32 v39, 0x80, v39
	v_and_b32_e32 v40, s62, v40
	v_lshlrev_b32_e32 v40, 2, v40
	ds_read_b32 v40, v40
	s_waitcnt lgkmcnt(0)
	v_add_nc_u32_e32 v40, v40, v49
	global_store_byte v40, v39, s[46:47]
	s_or_b32 exec_lo, exec_lo, s23
	v_cmp_lt_u32_e64 s34, v50, v138
	s_and_saveexec_b32 s23, s34
	s_cbranch_execz .LBB427_805
.LBB427_877:                            ;   in Loop: Header=BB427_730 Depth=2
	ds_read_u8 v39, v0 offset:1792
	s_waitcnt lgkmcnt(0)
	v_lshrrev_b32_sdwa v40, s41, v39 dst_sel:DWORD dst_unused:UNUSED_PAD src0_sel:DWORD src1_sel:BYTE_0
	v_xor_b32_e32 v39, 0x80, v39
	v_and_b32_e32 v40, s62, v40
	v_lshlrev_b32_e32 v40, 2, v40
	ds_read_b32 v40, v40
	s_waitcnt lgkmcnt(0)
	v_add_nc_u32_e32 v40, v40, v50
	global_store_byte v40, v39, s[46:47]
	s_or_b32 exec_lo, exec_lo, s23
	v_cmp_lt_u32_e64 s33, v51, v138
	s_and_saveexec_b32 s23, s33
	s_cbranch_execz .LBB427_806
.LBB427_878:                            ;   in Loop: Header=BB427_730 Depth=2
	ds_read_u8 v39, v0 offset:2048
	s_waitcnt lgkmcnt(0)
	v_lshrrev_b32_sdwa v40, s41, v39 dst_sel:DWORD dst_unused:UNUSED_PAD src0_sel:DWORD src1_sel:BYTE_0
	v_xor_b32_e32 v39, 0x80, v39
	v_and_b32_e32 v40, s62, v40
	v_lshlrev_b32_e32 v40, 2, v40
	ds_read_b32 v40, v40
	s_waitcnt lgkmcnt(0)
	v_add_nc_u32_e32 v40, v40, v51
	global_store_byte v40, v39, s[46:47]
	s_or_b32 exec_lo, exec_lo, s23
	v_cmp_lt_u32_e64 s31, v52, v138
	s_and_saveexec_b32 s23, s31
	s_cbranch_execz .LBB427_807
.LBB427_879:                            ;   in Loop: Header=BB427_730 Depth=2
	ds_read_u8 v39, v0 offset:2304
	s_waitcnt lgkmcnt(0)
	v_lshrrev_b32_sdwa v40, s41, v39 dst_sel:DWORD dst_unused:UNUSED_PAD src0_sel:DWORD src1_sel:BYTE_0
	v_xor_b32_e32 v39, 0x80, v39
	v_and_b32_e32 v40, s62, v40
	v_lshlrev_b32_e32 v40, 2, v40
	ds_read_b32 v40, v40
	s_waitcnt lgkmcnt(0)
	v_add_nc_u32_e32 v40, v40, v52
	global_store_byte v40, v39, s[46:47]
	s_or_b32 exec_lo, exec_lo, s23
	v_cmp_lt_u32_e64 s30, v53, v138
	s_and_saveexec_b32 s23, s30
	s_cbranch_execz .LBB427_808
.LBB427_880:                            ;   in Loop: Header=BB427_730 Depth=2
	ds_read_u8 v39, v0 offset:2560
	s_waitcnt lgkmcnt(0)
	v_lshrrev_b32_sdwa v40, s41, v39 dst_sel:DWORD dst_unused:UNUSED_PAD src0_sel:DWORD src1_sel:BYTE_0
	v_xor_b32_e32 v39, 0x80, v39
	v_and_b32_e32 v40, s62, v40
	v_lshlrev_b32_e32 v40, 2, v40
	ds_read_b32 v40, v40
	s_waitcnt lgkmcnt(0)
	v_add_nc_u32_e32 v40, v40, v53
	global_store_byte v40, v39, s[46:47]
	s_or_b32 exec_lo, exec_lo, s23
	v_cmp_lt_u32_e64 s29, v54, v138
	s_and_saveexec_b32 s23, s29
	s_cbranch_execz .LBB427_809
.LBB427_881:                            ;   in Loop: Header=BB427_730 Depth=2
	ds_read_u8 v39, v0 offset:2816
	s_waitcnt lgkmcnt(0)
	v_lshrrev_b32_sdwa v40, s41, v39 dst_sel:DWORD dst_unused:UNUSED_PAD src0_sel:DWORD src1_sel:BYTE_0
	v_xor_b32_e32 v39, 0x80, v39
	v_and_b32_e32 v40, s62, v40
	v_lshlrev_b32_e32 v40, 2, v40
	ds_read_b32 v40, v40
	s_waitcnt lgkmcnt(0)
	v_add_nc_u32_e32 v40, v40, v54
	global_store_byte v40, v39, s[46:47]
	s_or_b32 exec_lo, exec_lo, s23
	v_cmp_lt_u32_e64 s28, v55, v138
	s_and_saveexec_b32 s23, s28
	s_cbranch_execz .LBB427_810
.LBB427_882:                            ;   in Loop: Header=BB427_730 Depth=2
	ds_read_u8 v39, v0 offset:3072
	s_waitcnt lgkmcnt(0)
	v_lshrrev_b32_sdwa v40, s41, v39 dst_sel:DWORD dst_unused:UNUSED_PAD src0_sel:DWORD src1_sel:BYTE_0
	v_xor_b32_e32 v39, 0x80, v39
	v_and_b32_e32 v40, s62, v40
	v_lshlrev_b32_e32 v40, 2, v40
	ds_read_b32 v40, v40
	s_waitcnt lgkmcnt(0)
	v_add_nc_u32_e32 v40, v40, v55
	global_store_byte v40, v39, s[46:47]
	s_or_b32 exec_lo, exec_lo, s23
	v_cmp_lt_u32_e64 s27, v56, v138
	s_and_saveexec_b32 s23, s27
	s_cbranch_execz .LBB427_811
.LBB427_883:                            ;   in Loop: Header=BB427_730 Depth=2
	ds_read_u8 v39, v0 offset:3328
	s_waitcnt lgkmcnt(0)
	v_lshrrev_b32_sdwa v40, s41, v39 dst_sel:DWORD dst_unused:UNUSED_PAD src0_sel:DWORD src1_sel:BYTE_0
	v_xor_b32_e32 v39, 0x80, v39
	v_and_b32_e32 v40, s62, v40
	v_lshlrev_b32_e32 v40, 2, v40
	ds_read_b32 v40, v40
	s_waitcnt lgkmcnt(0)
	v_add_nc_u32_e32 v40, v40, v56
	global_store_byte v40, v39, s[46:47]
	s_or_b32 exec_lo, exec_lo, s23
	v_cmp_lt_u32_e64 s26, v57, v138
	s_and_saveexec_b32 s23, s26
	s_cbranch_execz .LBB427_812
.LBB427_884:                            ;   in Loop: Header=BB427_730 Depth=2
	ds_read_u8 v39, v0 offset:3584
	s_waitcnt lgkmcnt(0)
	v_lshrrev_b32_sdwa v40, s41, v39 dst_sel:DWORD dst_unused:UNUSED_PAD src0_sel:DWORD src1_sel:BYTE_0
	v_xor_b32_e32 v39, 0x80, v39
	v_and_b32_e32 v40, s62, v40
	v_lshlrev_b32_e32 v40, 2, v40
	ds_read_b32 v40, v40
	s_waitcnt lgkmcnt(0)
	v_add_nc_u32_e32 v40, v40, v57
	global_store_byte v40, v39, s[46:47]
	s_or_b32 exec_lo, exec_lo, s23
	v_cmp_lt_u32_e64 s25, v58, v138
	s_and_saveexec_b32 s23, s25
	s_cbranch_execz .LBB427_813
.LBB427_885:                            ;   in Loop: Header=BB427_730 Depth=2
	ds_read_u8 v39, v0 offset:3840
	s_waitcnt lgkmcnt(0)
	v_lshrrev_b32_sdwa v40, s41, v39 dst_sel:DWORD dst_unused:UNUSED_PAD src0_sel:DWORD src1_sel:BYTE_0
	v_xor_b32_e32 v39, 0x80, v39
	v_and_b32_e32 v40, s62, v40
	v_lshlrev_b32_e32 v40, 2, v40
	ds_read_b32 v40, v40
	s_waitcnt lgkmcnt(0)
	v_add_nc_u32_e32 v40, v40, v58
	global_store_byte v40, v39, s[46:47]
	s_or_b32 exec_lo, exec_lo, s23
	v_cmp_lt_u32_e64 s24, v59, v138
	s_and_saveexec_b32 s23, s24
	s_cbranch_execz .LBB427_814
.LBB427_886:                            ;   in Loop: Header=BB427_730 Depth=2
	ds_read_u8 v39, v0 offset:4096
	s_waitcnt lgkmcnt(0)
	v_lshrrev_b32_sdwa v40, s41, v39 dst_sel:DWORD dst_unused:UNUSED_PAD src0_sel:DWORD src1_sel:BYTE_0
	v_xor_b32_e32 v39, 0x80, v39
	v_and_b32_e32 v40, s62, v40
	v_lshlrev_b32_e32 v40, 2, v40
	ds_read_b32 v40, v40
	s_waitcnt lgkmcnt(0)
	v_add_nc_u32_e32 v40, v40, v59
	global_store_byte v40, v39, s[46:47]
	s_or_b32 exec_lo, exec_lo, s23
	v_cmp_lt_u32_e64 s23, v60, v138
	s_and_saveexec_b32 s40, s23
	s_cbranch_execz .LBB427_815
.LBB427_887:                            ;   in Loop: Header=BB427_730 Depth=2
	ds_read_u8 v39, v0 offset:4352
	s_waitcnt lgkmcnt(0)
	v_lshrrev_b32_sdwa v40, s41, v39 dst_sel:DWORD dst_unused:UNUSED_PAD src0_sel:DWORD src1_sel:BYTE_0
	v_xor_b32_e32 v39, 0x80, v39
	v_and_b32_e32 v40, s62, v40
	v_lshlrev_b32_e32 v40, 2, v40
	ds_read_b32 v40, v40
	s_waitcnt lgkmcnt(0)
	v_add_nc_u32_e32 v40, v40, v60
	global_store_byte v40, v39, s[46:47]
	s_or_b32 exec_lo, exec_lo, s40
	v_cmp_lt_u32_e32 vcc_lo, v61, v138
	s_and_saveexec_b32 s40, vcc_lo
	s_cbranch_execnz .LBB427_816
	s_branch .LBB427_817
.LBB427_888:                            ;   in Loop: Header=BB427_730 Depth=2
	global_load_dwordx2 v[37:38], v[39:40], off
	s_or_b32 exec_lo, exec_lo, s40
	s_mov_b32 s50, exec_lo
	v_cmpx_lt_u32_e64 v100, v138
	s_cbranch_execz .LBB427_819
.LBB427_889:                            ;   in Loop: Header=BB427_730 Depth=2
	global_load_dwordx2 v[35:36], v[39:40], off offset:256
	s_or_b32 exec_lo, exec_lo, s50
	s_mov_b32 s50, exec_lo
	v_cmpx_lt_u32_e64 v101, v138
	s_cbranch_execz .LBB427_820
.LBB427_890:                            ;   in Loop: Header=BB427_730 Depth=2
	global_load_dwordx2 v[33:34], v[39:40], off offset:512
	s_or_b32 exec_lo, exec_lo, s50
	s_mov_b32 s50, exec_lo
	v_cmpx_lt_u32_e64 v102, v138
	s_cbranch_execz .LBB427_821
.LBB427_891:                            ;   in Loop: Header=BB427_730 Depth=2
	global_load_dwordx2 v[31:32], v[39:40], off offset:768
	s_or_b32 exec_lo, exec_lo, s50
	s_mov_b32 s50, exec_lo
	v_cmpx_lt_u32_e64 v103, v138
	s_cbranch_execz .LBB427_822
.LBB427_892:                            ;   in Loop: Header=BB427_730 Depth=2
	global_load_dwordx2 v[29:30], v[39:40], off offset:1024
	s_or_b32 exec_lo, exec_lo, s50
	s_mov_b32 s50, exec_lo
	v_cmpx_lt_u32_e64 v104, v138
	s_cbranch_execz .LBB427_823
.LBB427_893:                            ;   in Loop: Header=BB427_730 Depth=2
	global_load_dwordx2 v[25:26], v[39:40], off offset:1280
	s_or_b32 exec_lo, exec_lo, s50
	s_mov_b32 s50, exec_lo
	v_cmpx_lt_u32_e64 v105, v138
	s_cbranch_execz .LBB427_824
.LBB427_894:                            ;   in Loop: Header=BB427_730 Depth=2
	global_load_dwordx2 v[21:22], v[39:40], off offset:1536
	s_or_b32 exec_lo, exec_lo, s50
	s_mov_b32 s50, exec_lo
	v_cmpx_lt_u32_e64 v106, v138
	s_cbranch_execz .LBB427_825
.LBB427_895:                            ;   in Loop: Header=BB427_730 Depth=2
	global_load_dwordx2 v[17:18], v[39:40], off offset:1792
	s_or_b32 exec_lo, exec_lo, s50
	s_mov_b32 s50, exec_lo
	v_cmpx_lt_u32_e64 v107, v138
	s_cbranch_execz .LBB427_826
.LBB427_896:                            ;   in Loop: Header=BB427_730 Depth=2
	v_add_co_u32 v27, s40, 0x800, v39
	v_add_co_ci_u32_e64 v28, null, 0, v40, s40
	global_load_dwordx2 v[27:28], v[27:28], off
	s_or_b32 exec_lo, exec_lo, s50
	s_mov_b32 s50, exec_lo
	v_cmpx_lt_u32_e64 v108, v138
	s_cbranch_execz .LBB427_827
.LBB427_897:                            ;   in Loop: Header=BB427_730 Depth=2
	v_add_co_u32 v23, s40, 0x800, v39
	v_add_co_ci_u32_e64 v24, null, 0, v40, s40
	global_load_dwordx2 v[23:24], v[23:24], off offset:256
	s_or_b32 exec_lo, exec_lo, s50
	s_mov_b32 s50, exec_lo
	v_cmpx_lt_u32_e64 v109, v138
	s_cbranch_execz .LBB427_828
.LBB427_898:                            ;   in Loop: Header=BB427_730 Depth=2
	v_add_co_u32 v19, s40, 0x800, v39
	v_add_co_ci_u32_e64 v20, null, 0, v40, s40
	global_load_dwordx2 v[19:20], v[19:20], off offset:512
	s_or_b32 exec_lo, exec_lo, s50
	s_mov_b32 s50, exec_lo
	v_cmpx_lt_u32_e64 v110, v138
	s_cbranch_execz .LBB427_829
.LBB427_899:                            ;   in Loop: Header=BB427_730 Depth=2
	v_add_co_u32 v15, s40, 0x800, v39
	v_add_co_ci_u32_e64 v16, null, 0, v40, s40
	global_load_dwordx2 v[15:16], v[15:16], off offset:768
	s_or_b32 exec_lo, exec_lo, s50
	s_mov_b32 s50, exec_lo
	v_cmpx_lt_u32_e64 v111, v138
	s_cbranch_execz .LBB427_830
.LBB427_900:                            ;   in Loop: Header=BB427_730 Depth=2
	v_add_co_u32 v13, s40, 0x800, v39
	v_add_co_ci_u32_e64 v14, null, 0, v40, s40
	global_load_dwordx2 v[13:14], v[13:14], off offset:1024
	s_or_b32 exec_lo, exec_lo, s50
	s_mov_b32 s50, exec_lo
	v_cmpx_lt_u32_e64 v112, v138
	s_cbranch_execz .LBB427_831
.LBB427_901:                            ;   in Loop: Header=BB427_730 Depth=2
	v_add_co_u32 v11, s40, 0x800, v39
	v_add_co_ci_u32_e64 v12, null, 0, v40, s40
	global_load_dwordx2 v[11:12], v[11:12], off offset:1280
	s_or_b32 exec_lo, exec_lo, s50
	s_mov_b32 s50, exec_lo
	v_cmpx_lt_u32_e64 v113, v138
	s_cbranch_execz .LBB427_832
.LBB427_902:                            ;   in Loop: Header=BB427_730 Depth=2
	v_add_co_u32 v9, s40, 0x800, v39
	v_add_co_ci_u32_e64 v10, null, 0, v40, s40
	global_load_dwordx2 v[9:10], v[9:10], off offset:1536
	s_or_b32 exec_lo, exec_lo, s50
	s_mov_b32 s50, exec_lo
	v_cmpx_lt_u32_e64 v114, v138
	s_cbranch_execz .LBB427_833
.LBB427_903:                            ;   in Loop: Header=BB427_730 Depth=2
	v_add_co_u32 v7, s40, 0x800, v39
	v_add_co_ci_u32_e64 v8, null, 0, v40, s40
	global_load_dwordx2 v[7:8], v[7:8], off offset:1792
	s_or_b32 exec_lo, exec_lo, s50
	s_mov_b32 s50, exec_lo
	v_cmpx_lt_u32_e64 v115, v138
	s_cbranch_execz .LBB427_834
.LBB427_904:                            ;   in Loop: Header=BB427_730 Depth=2
	v_add_co_u32 v5, s40, 0x1000, v39
	v_add_co_ci_u32_e64 v6, null, 0, v40, s40
	global_load_dwordx2 v[5:6], v[5:6], off
	s_or_b32 exec_lo, exec_lo, s50
	s_and_saveexec_b32 s40, s39
	s_cbranch_execz .LBB427_835
.LBB427_905:                            ;   in Loop: Header=BB427_730 Depth=2
	ds_read_u8 v39, v0 offset:512
	s_waitcnt lgkmcnt(0)
	v_lshrrev_b32_e32 v39, s41, v39
	v_and_b32_e32 v134, s62, v39
	s_or_b32 exec_lo, exec_lo, s40
	s_and_saveexec_b32 s40, s38
	s_cbranch_execz .LBB427_836
.LBB427_906:                            ;   in Loop: Header=BB427_730 Depth=2
	ds_read_u8 v39, v0 offset:768
	s_waitcnt lgkmcnt(0)
	v_lshrrev_b32_e32 v39, s41, v39
	v_and_b32_e32 v133, s62, v39
	s_or_b32 exec_lo, exec_lo, s40
	s_and_saveexec_b32 s40, s37
	s_cbranch_execz .LBB427_837
.LBB427_907:                            ;   in Loop: Header=BB427_730 Depth=2
	ds_read_u8 v39, v0 offset:1024
	s_waitcnt lgkmcnt(0)
	v_lshrrev_b32_e32 v39, s41, v39
	v_and_b32_e32 v132, s62, v39
	s_or_b32 exec_lo, exec_lo, s40
	s_and_saveexec_b32 s40, s36
	s_cbranch_execz .LBB427_838
.LBB427_908:                            ;   in Loop: Header=BB427_730 Depth=2
	ds_read_u8 v39, v0 offset:1280
	s_waitcnt lgkmcnt(0)
	v_lshrrev_b32_e32 v39, s41, v39
	v_and_b32_e32 v131, s62, v39
	s_or_b32 exec_lo, exec_lo, s40
	s_and_saveexec_b32 s40, s35
	s_cbranch_execz .LBB427_839
.LBB427_909:                            ;   in Loop: Header=BB427_730 Depth=2
	ds_read_u8 v39, v0 offset:1536
	s_waitcnt lgkmcnt(0)
	v_lshrrev_b32_e32 v39, s41, v39
	v_and_b32_e32 v130, s62, v39
	s_or_b32 exec_lo, exec_lo, s40
	s_and_saveexec_b32 s40, s34
	s_cbranch_execz .LBB427_840
.LBB427_910:                            ;   in Loop: Header=BB427_730 Depth=2
	ds_read_u8 v39, v0 offset:1792
	s_waitcnt lgkmcnt(0)
	v_lshrrev_b32_e32 v39, s41, v39
	v_and_b32_e32 v129, s62, v39
	s_or_b32 exec_lo, exec_lo, s40
	s_and_saveexec_b32 s40, s33
	s_cbranch_execz .LBB427_841
.LBB427_911:                            ;   in Loop: Header=BB427_730 Depth=2
	ds_read_u8 v39, v0 offset:2048
	s_waitcnt lgkmcnt(0)
	v_lshrrev_b32_e32 v39, s41, v39
	v_and_b32_e32 v128, s62, v39
	s_or_b32 exec_lo, exec_lo, s40
	s_and_saveexec_b32 s40, s31
	s_cbranch_execz .LBB427_842
.LBB427_912:                            ;   in Loop: Header=BB427_730 Depth=2
	ds_read_u8 v39, v0 offset:2304
	s_waitcnt lgkmcnt(0)
	v_lshrrev_b32_e32 v39, s41, v39
	v_and_b32_e32 v127, s62, v39
	s_or_b32 exec_lo, exec_lo, s40
	s_and_saveexec_b32 s40, s30
	s_cbranch_execz .LBB427_843
.LBB427_913:                            ;   in Loop: Header=BB427_730 Depth=2
	ds_read_u8 v39, v0 offset:2560
	s_waitcnt lgkmcnt(0)
	v_lshrrev_b32_e32 v39, s41, v39
	v_and_b32_e32 v126, s62, v39
	s_or_b32 exec_lo, exec_lo, s40
	s_and_saveexec_b32 s40, s29
	s_cbranch_execz .LBB427_844
.LBB427_914:                            ;   in Loop: Header=BB427_730 Depth=2
	ds_read_u8 v39, v0 offset:2816
	s_waitcnt lgkmcnt(0)
	v_lshrrev_b32_e32 v39, s41, v39
	v_and_b32_e32 v125, s62, v39
	s_or_b32 exec_lo, exec_lo, s40
	s_and_saveexec_b32 s40, s28
	s_cbranch_execz .LBB427_845
.LBB427_915:                            ;   in Loop: Header=BB427_730 Depth=2
	ds_read_u8 v39, v0 offset:3072
	s_waitcnt lgkmcnt(0)
	v_lshrrev_b32_e32 v39, s41, v39
	v_and_b32_e32 v124, s62, v39
	s_or_b32 exec_lo, exec_lo, s40
	s_and_saveexec_b32 s40, s27
	s_cbranch_execz .LBB427_846
.LBB427_916:                            ;   in Loop: Header=BB427_730 Depth=2
	ds_read_u8 v39, v0 offset:3328
	s_waitcnt lgkmcnt(0)
	v_lshrrev_b32_e32 v39, s41, v39
	v_and_b32_e32 v123, s62, v39
	s_or_b32 exec_lo, exec_lo, s40
	s_and_saveexec_b32 s40, s26
	s_cbranch_execz .LBB427_847
.LBB427_917:                            ;   in Loop: Header=BB427_730 Depth=2
	ds_read_u8 v39, v0 offset:3584
	s_waitcnt lgkmcnt(0)
	v_lshrrev_b32_e32 v39, s41, v39
	v_and_b32_e32 v122, s62, v39
	s_or_b32 exec_lo, exec_lo, s40
	s_and_saveexec_b32 s40, s25
	s_cbranch_execz .LBB427_848
.LBB427_918:                            ;   in Loop: Header=BB427_730 Depth=2
	ds_read_u8 v39, v0 offset:3840
	s_waitcnt lgkmcnt(0)
	v_lshrrev_b32_e32 v39, s41, v39
	v_and_b32_e32 v121, s62, v39
	s_or_b32 exec_lo, exec_lo, s40
	s_and_saveexec_b32 s40, s24
	s_cbranch_execz .LBB427_849
.LBB427_919:                            ;   in Loop: Header=BB427_730 Depth=2
	ds_read_u8 v39, v0 offset:4096
	s_waitcnt lgkmcnt(0)
	v_lshrrev_b32_e32 v39, s41, v39
	v_and_b32_e32 v120, s62, v39
	s_or_b32 exec_lo, exec_lo, s40
	s_and_saveexec_b32 s40, s23
	s_cbranch_execz .LBB427_850
.LBB427_920:                            ;   in Loop: Header=BB427_730 Depth=2
	ds_read_u8 v39, v0 offset:4352
	s_waitcnt lgkmcnt(0)
	v_lshrrev_b32_e32 v39, s41, v39
	v_and_b32_e32 v119, s62, v39
	s_or_b32 exec_lo, exec_lo, s40
	s_and_saveexec_b32 s40, vcc_lo
	s_cbranch_execnz .LBB427_851
	s_branch .LBB427_852
.LBB427_921:                            ;   in Loop: Header=BB427_730 Depth=2
	v_lshlrev_b32_e32 v3, 2, v134
	v_add_nc_u32_e32 v39, v0, v75
	ds_read_b32 v3, v3
	ds_read_b64 v[39:40], v39 offset:512
	s_waitcnt lgkmcnt(1)
	v_add_nc_u32_e32 v3, v3, v0
	v_lshlrev_b64 v[41:42], 3, v[3:4]
	v_add_co_u32 v41, s39, s52, v41
	v_add_co_ci_u32_e64 v42, null, s53, v42, s39
	s_waitcnt lgkmcnt(0)
	global_store_dwordx2 v[41:42], v[39:40], off
	s_or_b32 exec_lo, exec_lo, s40
	s_and_saveexec_b32 s39, s38
	s_cbranch_execz .LBB427_854
.LBB427_922:                            ;   in Loop: Header=BB427_730 Depth=2
	v_lshlrev_b32_e32 v3, 2, v133
	v_add_nc_u32_e32 v39, v0, v75
	ds_read_b32 v3, v3
	ds_read_b64 v[39:40], v39 offset:2560
	s_waitcnt lgkmcnt(1)
	v_add_nc_u32_e32 v3, v3, v44
	v_lshlrev_b64 v[41:42], 3, v[3:4]
	v_add_co_u32 v41, s38, s52, v41
	v_add_co_ci_u32_e64 v42, null, s53, v42, s38
	s_waitcnt lgkmcnt(0)
	global_store_dwordx2 v[41:42], v[39:40], off
	s_or_b32 exec_lo, exec_lo, s39
	s_and_saveexec_b32 s38, s37
	s_cbranch_execz .LBB427_855
.LBB427_923:                            ;   in Loop: Header=BB427_730 Depth=2
	v_lshlrev_b32_e32 v3, 2, v132
	v_add_nc_u32_e32 v39, v0, v75
	ds_read_b32 v3, v3
	ds_read_b64 v[39:40], v39 offset:4608
	s_waitcnt lgkmcnt(1)
	v_add_nc_u32_e32 v3, v3, v47
	v_lshlrev_b64 v[41:42], 3, v[3:4]
	v_add_co_u32 v41, s37, s52, v41
	v_add_co_ci_u32_e64 v42, null, s53, v42, s37
	s_waitcnt lgkmcnt(0)
	global_store_dwordx2 v[41:42], v[39:40], off
	s_or_b32 exec_lo, exec_lo, s38
	s_and_saveexec_b32 s37, s36
	s_cbranch_execz .LBB427_856
.LBB427_924:                            ;   in Loop: Header=BB427_730 Depth=2
	v_lshlrev_b32_e32 v3, 2, v131
	v_add_nc_u32_e32 v39, v0, v75
	ds_read_b32 v3, v3
	ds_read_b64 v[39:40], v39 offset:6656
	s_waitcnt lgkmcnt(1)
	v_add_nc_u32_e32 v3, v3, v48
	v_lshlrev_b64 v[41:42], 3, v[3:4]
	v_add_co_u32 v41, s36, s52, v41
	v_add_co_ci_u32_e64 v42, null, s53, v42, s36
	s_waitcnt lgkmcnt(0)
	global_store_dwordx2 v[41:42], v[39:40], off
	s_or_b32 exec_lo, exec_lo, s37
	s_and_saveexec_b32 s36, s35
	s_cbranch_execz .LBB427_857
.LBB427_925:                            ;   in Loop: Header=BB427_730 Depth=2
	v_lshlrev_b32_e32 v3, 2, v130
	v_add_nc_u32_e32 v39, v0, v75
	ds_read_b32 v3, v3
	ds_read_b64 v[39:40], v39 offset:8704
	s_waitcnt lgkmcnt(1)
	v_add_nc_u32_e32 v3, v3, v49
	v_lshlrev_b64 v[41:42], 3, v[3:4]
	v_add_co_u32 v41, s35, s52, v41
	v_add_co_ci_u32_e64 v42, null, s53, v42, s35
	s_waitcnt lgkmcnt(0)
	global_store_dwordx2 v[41:42], v[39:40], off
	s_or_b32 exec_lo, exec_lo, s36
	s_and_saveexec_b32 s35, s34
	s_cbranch_execz .LBB427_858
.LBB427_926:                            ;   in Loop: Header=BB427_730 Depth=2
	v_lshlrev_b32_e32 v3, 2, v129
	v_add_nc_u32_e32 v39, v0, v75
	ds_read_b32 v3, v3
	ds_read_b64 v[39:40], v39 offset:10752
	s_waitcnt lgkmcnt(1)
	v_add_nc_u32_e32 v3, v3, v50
	v_lshlrev_b64 v[41:42], 3, v[3:4]
	v_add_co_u32 v41, s34, s52, v41
	v_add_co_ci_u32_e64 v42, null, s53, v42, s34
	s_waitcnt lgkmcnt(0)
	global_store_dwordx2 v[41:42], v[39:40], off
	s_or_b32 exec_lo, exec_lo, s35
	s_and_saveexec_b32 s34, s33
	s_cbranch_execz .LBB427_859
.LBB427_927:                            ;   in Loop: Header=BB427_730 Depth=2
	v_lshlrev_b32_e32 v3, 2, v128
	v_add_nc_u32_e32 v39, v0, v75
	ds_read_b32 v3, v3
	ds_read_b64 v[39:40], v39 offset:12800
	s_waitcnt lgkmcnt(1)
	v_add_nc_u32_e32 v3, v3, v51
	v_lshlrev_b64 v[41:42], 3, v[3:4]
	v_add_co_u32 v41, s33, s52, v41
	v_add_co_ci_u32_e64 v42, null, s53, v42, s33
	s_waitcnt lgkmcnt(0)
	global_store_dwordx2 v[41:42], v[39:40], off
	s_or_b32 exec_lo, exec_lo, s34
	s_and_saveexec_b32 s33, s31
	s_cbranch_execz .LBB427_860
.LBB427_928:                            ;   in Loop: Header=BB427_730 Depth=2
	v_lshlrev_b32_e32 v3, 2, v127
	v_add_nc_u32_e32 v39, v0, v75
	ds_read_b32 v3, v3
	ds_read_b64 v[39:40], v39 offset:14848
	s_waitcnt lgkmcnt(1)
	v_add_nc_u32_e32 v3, v3, v52
	v_lshlrev_b64 v[41:42], 3, v[3:4]
	v_add_co_u32 v41, s31, s52, v41
	v_add_co_ci_u32_e64 v42, null, s53, v42, s31
	s_waitcnt lgkmcnt(0)
	global_store_dwordx2 v[41:42], v[39:40], off
	s_or_b32 exec_lo, exec_lo, s33
	s_and_saveexec_b32 s31, s30
	s_cbranch_execz .LBB427_861
.LBB427_929:                            ;   in Loop: Header=BB427_730 Depth=2
	v_lshlrev_b32_e32 v3, 2, v126
	v_add_nc_u32_e32 v39, v0, v75
	ds_read_b32 v3, v3
	ds_read_b64 v[39:40], v39 offset:16896
	s_waitcnt lgkmcnt(1)
	v_add_nc_u32_e32 v3, v3, v53
	v_lshlrev_b64 v[41:42], 3, v[3:4]
	v_add_co_u32 v41, s30, s52, v41
	v_add_co_ci_u32_e64 v42, null, s53, v42, s30
	s_waitcnt lgkmcnt(0)
	global_store_dwordx2 v[41:42], v[39:40], off
	s_or_b32 exec_lo, exec_lo, s31
	s_and_saveexec_b32 s30, s29
	s_cbranch_execz .LBB427_862
.LBB427_930:                            ;   in Loop: Header=BB427_730 Depth=2
	v_lshlrev_b32_e32 v3, 2, v125
	v_add_nc_u32_e32 v39, v0, v75
	ds_read_b32 v3, v3
	ds_read_b64 v[39:40], v39 offset:18944
	s_waitcnt lgkmcnt(1)
	v_add_nc_u32_e32 v3, v3, v54
	v_lshlrev_b64 v[41:42], 3, v[3:4]
	v_add_co_u32 v41, s29, s52, v41
	v_add_co_ci_u32_e64 v42, null, s53, v42, s29
	s_waitcnt lgkmcnt(0)
	global_store_dwordx2 v[41:42], v[39:40], off
	s_or_b32 exec_lo, exec_lo, s30
	s_and_saveexec_b32 s29, s28
	s_cbranch_execz .LBB427_863
.LBB427_931:                            ;   in Loop: Header=BB427_730 Depth=2
	v_lshlrev_b32_e32 v3, 2, v124
	v_add_nc_u32_e32 v39, v0, v75
	ds_read_b32 v3, v3
	ds_read_b64 v[39:40], v39 offset:20992
	s_waitcnt lgkmcnt(1)
	v_add_nc_u32_e32 v3, v3, v55
	v_lshlrev_b64 v[41:42], 3, v[3:4]
	v_add_co_u32 v41, s28, s52, v41
	v_add_co_ci_u32_e64 v42, null, s53, v42, s28
	s_waitcnt lgkmcnt(0)
	global_store_dwordx2 v[41:42], v[39:40], off
	s_or_b32 exec_lo, exec_lo, s29
	s_and_saveexec_b32 s28, s27
	s_cbranch_execz .LBB427_864
.LBB427_932:                            ;   in Loop: Header=BB427_730 Depth=2
	v_lshlrev_b32_e32 v3, 2, v123
	v_add_nc_u32_e32 v39, v0, v75
	ds_read_b32 v3, v3
	ds_read_b64 v[39:40], v39 offset:23040
	s_waitcnt lgkmcnt(1)
	v_add_nc_u32_e32 v3, v3, v56
	v_lshlrev_b64 v[41:42], 3, v[3:4]
	v_add_co_u32 v41, s27, s52, v41
	v_add_co_ci_u32_e64 v42, null, s53, v42, s27
	s_waitcnt lgkmcnt(0)
	global_store_dwordx2 v[41:42], v[39:40], off
	s_or_b32 exec_lo, exec_lo, s28
	s_and_saveexec_b32 s27, s26
	s_cbranch_execz .LBB427_865
.LBB427_933:                            ;   in Loop: Header=BB427_730 Depth=2
	v_lshlrev_b32_e32 v3, 2, v122
	v_add_nc_u32_e32 v39, v0, v75
	ds_read_b32 v3, v3
	ds_read_b64 v[39:40], v39 offset:25088
	s_waitcnt lgkmcnt(1)
	v_add_nc_u32_e32 v3, v3, v57
	v_lshlrev_b64 v[41:42], 3, v[3:4]
	v_add_co_u32 v41, s26, s52, v41
	v_add_co_ci_u32_e64 v42, null, s53, v42, s26
	s_waitcnt lgkmcnt(0)
	global_store_dwordx2 v[41:42], v[39:40], off
	s_or_b32 exec_lo, exec_lo, s27
	s_and_saveexec_b32 s26, s25
	s_cbranch_execz .LBB427_866
.LBB427_934:                            ;   in Loop: Header=BB427_730 Depth=2
	v_lshlrev_b32_e32 v3, 2, v121
	v_add_nc_u32_e32 v39, v0, v75
	ds_read_b32 v3, v3
	ds_read_b64 v[39:40], v39 offset:27136
	s_waitcnt lgkmcnt(1)
	v_add_nc_u32_e32 v3, v3, v58
	v_lshlrev_b64 v[41:42], 3, v[3:4]
	v_add_co_u32 v41, s25, s52, v41
	v_add_co_ci_u32_e64 v42, null, s53, v42, s25
	s_waitcnt lgkmcnt(0)
	global_store_dwordx2 v[41:42], v[39:40], off
	s_or_b32 exec_lo, exec_lo, s26
	s_and_saveexec_b32 s25, s24
	s_cbranch_execz .LBB427_867
.LBB427_935:                            ;   in Loop: Header=BB427_730 Depth=2
	v_lshlrev_b32_e32 v3, 2, v120
	v_add_nc_u32_e32 v39, v0, v75
	ds_read_b32 v3, v3
	ds_read_b64 v[39:40], v39 offset:29184
	s_waitcnt lgkmcnt(1)
	v_add_nc_u32_e32 v3, v3, v59
	v_lshlrev_b64 v[41:42], 3, v[3:4]
	v_add_co_u32 v41, s24, s52, v41
	v_add_co_ci_u32_e64 v42, null, s53, v42, s24
	s_waitcnt lgkmcnt(0)
	global_store_dwordx2 v[41:42], v[39:40], off
	s_or_b32 exec_lo, exec_lo, s25
	s_and_saveexec_b32 s24, s23
	s_cbranch_execz .LBB427_868
.LBB427_936:                            ;   in Loop: Header=BB427_730 Depth=2
	v_lshlrev_b32_e32 v3, 2, v119
	v_add_nc_u32_e32 v39, v0, v75
	ds_read_b32 v3, v3
	ds_read_b64 v[39:40], v39 offset:31232
	s_waitcnt lgkmcnt(1)
	v_add_nc_u32_e32 v3, v3, v60
	v_lshlrev_b64 v[41:42], 3, v[3:4]
	v_add_co_u32 v41, s23, s52, v41
	v_add_co_ci_u32_e64 v42, null, s53, v42, s23
	s_waitcnt lgkmcnt(0)
	global_store_dwordx2 v[41:42], v[39:40], off
	s_or_b32 exec_lo, exec_lo, s24
	s_and_saveexec_b32 s23, vcc_lo
	s_cbranch_execnz .LBB427_869
	s_branch .LBB427_870
.LBB427_937:                            ;   in Loop: Header=BB427_730 Depth=2
	global_load_ubyte v146, v[39:40], off
	v_mov_b32_e32 v117, 0x7f
	v_mov_b32_e32 v147, 0x7f
	v_mov_b32_e32 v148, 0x7f
	v_mov_b32_e32 v151, 0x7f
	v_mov_b32_e32 v150, 0x7f
	v_mov_b32_e32 v143, 0x7f
	v_mov_b32_e32 v144, 0x7f
	v_mov_b32_e32 v145, 0x7f
	v_mov_b32_e32 v142, 0x7f
	v_mov_b32_e32 v139, 0x7f
	v_mov_b32_e32 v140, 0x7f
	v_mov_b32_e32 v141, 0x7f
	v_mov_b32_e32 v137, 0x7f
	v_mov_b32_e32 v3, 0x7f
	v_mov_b32_e32 v41, 0x7f
	v_mov_b32_e32 v42, 0x7f
	s_or_b32 exec_lo, exec_lo, s23
	s_mov_b32 s23, exec_lo
	v_cmpx_gt_u32_e64 s63, v100
	s_cbranch_execz .LBB427_735
.LBB427_938:                            ;   in Loop: Header=BB427_730 Depth=2
	global_load_ubyte v147, v[39:40], off offset:32
	s_or_b32 exec_lo, exec_lo, s23
	s_mov_b32 s23, exec_lo
	v_cmpx_gt_u32_e64 s63, v101
	s_cbranch_execz .LBB427_736
.LBB427_939:                            ;   in Loop: Header=BB427_730 Depth=2
	global_load_ubyte v148, v[39:40], off offset:64
	s_or_b32 exec_lo, exec_lo, s23
	s_mov_b32 s23, exec_lo
	v_cmpx_gt_u32_e64 s63, v102
	s_cbranch_execz .LBB427_737
.LBB427_940:                            ;   in Loop: Header=BB427_730 Depth=2
	global_load_ubyte v151, v[39:40], off offset:96
	s_or_b32 exec_lo, exec_lo, s23
	s_mov_b32 s23, exec_lo
	v_cmpx_gt_u32_e64 s63, v103
	s_cbranch_execz .LBB427_738
.LBB427_941:                            ;   in Loop: Header=BB427_730 Depth=2
	global_load_ubyte v150, v[39:40], off offset:128
	s_or_b32 exec_lo, exec_lo, s23
	s_mov_b32 s23, exec_lo
	v_cmpx_gt_u32_e64 s63, v104
	s_cbranch_execz .LBB427_739
.LBB427_942:                            ;   in Loop: Header=BB427_730 Depth=2
	global_load_ubyte v143, v[39:40], off offset:160
	s_or_b32 exec_lo, exec_lo, s23
	s_mov_b32 s23, exec_lo
	v_cmpx_gt_u32_e64 s63, v105
	s_cbranch_execz .LBB427_740
.LBB427_943:                            ;   in Loop: Header=BB427_730 Depth=2
	global_load_ubyte v144, v[39:40], off offset:192
	s_or_b32 exec_lo, exec_lo, s23
	s_mov_b32 s23, exec_lo
	v_cmpx_gt_u32_e64 s63, v106
	s_cbranch_execz .LBB427_741
.LBB427_944:                            ;   in Loop: Header=BB427_730 Depth=2
	global_load_ubyte v145, v[39:40], off offset:224
	s_or_b32 exec_lo, exec_lo, s23
	s_mov_b32 s23, exec_lo
	v_cmpx_gt_u32_e64 s63, v107
	s_cbranch_execz .LBB427_742
.LBB427_945:                            ;   in Loop: Header=BB427_730 Depth=2
	global_load_ubyte v142, v[39:40], off offset:256
	s_or_b32 exec_lo, exec_lo, s23
	s_mov_b32 s23, exec_lo
	v_cmpx_gt_u32_e64 s63, v108
	s_cbranch_execz .LBB427_743
.LBB427_946:                            ;   in Loop: Header=BB427_730 Depth=2
	global_load_ubyte v139, v[39:40], off offset:288
	s_or_b32 exec_lo, exec_lo, s23
	s_mov_b32 s23, exec_lo
	v_cmpx_gt_u32_e64 s63, v109
	s_cbranch_execz .LBB427_744
.LBB427_947:                            ;   in Loop: Header=BB427_730 Depth=2
	global_load_ubyte v140, v[39:40], off offset:320
	s_or_b32 exec_lo, exec_lo, s23
	s_mov_b32 s23, exec_lo
	v_cmpx_gt_u32_e64 s63, v110
	s_cbranch_execz .LBB427_745
.LBB427_948:                            ;   in Loop: Header=BB427_730 Depth=2
	global_load_ubyte v141, v[39:40], off offset:352
	s_or_b32 exec_lo, exec_lo, s23
	s_mov_b32 s23, exec_lo
	v_cmpx_gt_u32_e64 s63, v111
	s_cbranch_execz .LBB427_746
.LBB427_949:                            ;   in Loop: Header=BB427_730 Depth=2
	global_load_ubyte v137, v[39:40], off offset:384
	s_or_b32 exec_lo, exec_lo, s23
	s_mov_b32 s23, exec_lo
	v_cmpx_gt_u32_e64 s63, v112
	s_cbranch_execz .LBB427_747
.LBB427_950:                            ;   in Loop: Header=BB427_730 Depth=2
	global_load_ubyte v3, v[39:40], off offset:416
	s_or_b32 exec_lo, exec_lo, s23
	s_mov_b32 s23, exec_lo
	v_cmpx_gt_u32_e64 s63, v113
	s_cbranch_execz .LBB427_748
.LBB427_951:                            ;   in Loop: Header=BB427_730 Depth=2
	global_load_ubyte v41, v[39:40], off offset:448
	s_or_b32 exec_lo, exec_lo, s23
	s_mov_b32 s23, exec_lo
	v_cmpx_gt_u32_e64 s63, v114
	s_cbranch_execnz .LBB427_749
	s_branch .LBB427_750
.LBB427_952:                            ;   in Loop: Header=BB427_20 Depth=1
	s_waitcnt lgkmcnt(0)
	s_mov_b32 s5, 0
	s_barrier
.LBB427_953:                            ;   in Loop: Header=BB427_20 Depth=1
	s_and_b32 vcc_lo, exec_lo, s5
	s_cbranch_vccz .LBB427_19
; %bb.954:                              ;   in Loop: Header=BB427_20 Depth=1
	v_mov_b32_e32 v17, 0
	v_mov_b32_e32 v20, 0
	;; [unrolled: 1-line block ×17, first 2 shown]
	s_mov_b32 s5, s60
	s_mov_b32 s17, s58
	s_barrier
	buffer_gl0_inv
	s_branch .LBB427_956
.LBB427_955:                            ;   in Loop: Header=BB427_956 Depth=2
	s_or_b32 exec_lo, exec_lo, s16
	s_addk_i32 s5, 0xef00
	s_cmp_ge_u32 s15, s59
	s_mov_b32 s17, s15
	s_cbranch_scc1 .LBB427_1028
.LBB427_956:                            ;   Parent Loop BB427_20 Depth=1
                                        ; =>  This Inner Loop Header: Depth=2
	s_add_i32 s15, s17, 0x1100
	s_mov_b32 s16, -1
	s_cmp_gt_u32 s15, s59
                                        ; implicit-def: $vgpr21
                                        ; implicit-def: $vgpr22
                                        ; implicit-def: $vgpr23
                                        ; implicit-def: $vgpr24
                                        ; implicit-def: $vgpr25
                                        ; implicit-def: $vgpr26
                                        ; implicit-def: $vgpr27
                                        ; implicit-def: $vgpr28
                                        ; implicit-def: $vgpr29
                                        ; implicit-def: $vgpr30
                                        ; implicit-def: $vgpr31
                                        ; implicit-def: $vgpr32
                                        ; implicit-def: $vgpr33
                                        ; implicit-def: $vgpr34
                                        ; implicit-def: $vgpr35
                                        ; implicit-def: $vgpr36
                                        ; implicit-def: $vgpr37
	s_cbranch_scc1 .LBB427_958
; %bb.957:                              ;   in Loop: Header=BB427_956 Depth=2
	v_add_co_u32 v38, vcc_lo, v82, s17
	v_add_co_ci_u32_e64 v39, null, 0, v83, vcc_lo
	s_mov_b32 s16, 0
	v_add_co_u32 v21, vcc_lo, 0x800, v38
	v_add_co_ci_u32_e64 v22, null, 0, v39, vcc_lo
	v_add_co_u32 v23, vcc_lo, 0x1000, v38
	v_add_co_ci_u32_e64 v24, null, 0, v39, vcc_lo
	s_clause 0x10
	global_load_ubyte v36, v[21:22], off offset:1792
	global_load_ubyte v37, v[23:24], off
	global_load_ubyte v35, v[21:22], off offset:1536
	global_load_ubyte v34, v[21:22], off offset:1280
	;; [unrolled: 1-line block ×6, first 2 shown]
	global_load_ubyte v29, v[21:22], off
	global_load_ubyte v28, v[38:39], off offset:1792
	global_load_ubyte v27, v[38:39], off offset:1536
	;; [unrolled: 1-line block ×7, first 2 shown]
	global_load_ubyte v21, v[38:39], off
.LBB427_958:                            ;   in Loop: Header=BB427_956 Depth=2
	s_andn2_b32 vcc_lo, exec_lo, s16
	s_movk_i32 s16, 0x1100
	s_cbranch_vccnz .LBB427_978
; %bb.959:                              ;   in Loop: Header=BB427_956 Depth=2
	s_add_u32 s16, s44, s17
	s_addc_u32 s17, s45, 0
	s_mov_b32 s18, exec_lo
	v_cmpx_gt_u32_e64 s5, v0
	s_cbranch_execnz .LBB427_1012
; %bb.960:                              ;   in Loop: Header=BB427_956 Depth=2
	s_or_b32 exec_lo, exec_lo, s18
	s_mov_b32 s18, exec_lo
	v_cmpx_gt_u32_e64 s5, v44
	s_cbranch_execnz .LBB427_1013
.LBB427_961:                            ;   in Loop: Header=BB427_956 Depth=2
	s_or_b32 exec_lo, exec_lo, s18
	s_mov_b32 s18, exec_lo
	v_cmpx_gt_u32_e64 s5, v47
	s_cbranch_execnz .LBB427_1014
.LBB427_962:                            ;   in Loop: Header=BB427_956 Depth=2
	s_or_b32 exec_lo, exec_lo, s18
	s_mov_b32 s18, exec_lo
	v_cmpx_gt_u32_e64 s5, v48
	s_cbranch_execnz .LBB427_1015
.LBB427_963:                            ;   in Loop: Header=BB427_956 Depth=2
	s_or_b32 exec_lo, exec_lo, s18
	s_mov_b32 s18, exec_lo
	v_cmpx_gt_u32_e64 s5, v49
	s_cbranch_execnz .LBB427_1016
.LBB427_964:                            ;   in Loop: Header=BB427_956 Depth=2
	s_or_b32 exec_lo, exec_lo, s18
	s_mov_b32 s18, exec_lo
	v_cmpx_gt_u32_e64 s5, v50
	s_cbranch_execnz .LBB427_1017
.LBB427_965:                            ;   in Loop: Header=BB427_956 Depth=2
	s_or_b32 exec_lo, exec_lo, s18
	s_mov_b32 s18, exec_lo
	v_cmpx_gt_u32_e64 s5, v51
	s_cbranch_execnz .LBB427_1018
.LBB427_966:                            ;   in Loop: Header=BB427_956 Depth=2
	s_or_b32 exec_lo, exec_lo, s18
	s_mov_b32 s18, exec_lo
	v_cmpx_gt_u32_e64 s5, v52
	s_cbranch_execnz .LBB427_1019
.LBB427_967:                            ;   in Loop: Header=BB427_956 Depth=2
	s_or_b32 exec_lo, exec_lo, s18
	s_mov_b32 s18, exec_lo
	v_cmpx_gt_u32_e64 s5, v53
	s_cbranch_execnz .LBB427_1020
.LBB427_968:                            ;   in Loop: Header=BB427_956 Depth=2
	s_or_b32 exec_lo, exec_lo, s18
	s_mov_b32 s18, exec_lo
	v_cmpx_gt_u32_e64 s5, v54
	s_cbranch_execnz .LBB427_1021
.LBB427_969:                            ;   in Loop: Header=BB427_956 Depth=2
	s_or_b32 exec_lo, exec_lo, s18
	s_mov_b32 s18, exec_lo
	v_cmpx_gt_u32_e64 s5, v55
	s_cbranch_execnz .LBB427_1022
.LBB427_970:                            ;   in Loop: Header=BB427_956 Depth=2
	s_or_b32 exec_lo, exec_lo, s18
	s_mov_b32 s18, exec_lo
	v_cmpx_gt_u32_e64 s5, v56
	s_cbranch_execnz .LBB427_1023
.LBB427_971:                            ;   in Loop: Header=BB427_956 Depth=2
	s_or_b32 exec_lo, exec_lo, s18
	s_mov_b32 s18, exec_lo
	v_cmpx_gt_u32_e64 s5, v57
	s_cbranch_execnz .LBB427_1024
.LBB427_972:                            ;   in Loop: Header=BB427_956 Depth=2
	s_or_b32 exec_lo, exec_lo, s18
	s_mov_b32 s18, exec_lo
	v_cmpx_gt_u32_e64 s5, v58
	s_cbranch_execnz .LBB427_1025
.LBB427_973:                            ;   in Loop: Header=BB427_956 Depth=2
	s_or_b32 exec_lo, exec_lo, s18
	s_mov_b32 s18, exec_lo
	v_cmpx_gt_u32_e64 s5, v59
	s_cbranch_execnz .LBB427_1026
.LBB427_974:                            ;   in Loop: Header=BB427_956 Depth=2
	s_or_b32 exec_lo, exec_lo, s18
	s_mov_b32 s18, exec_lo
	v_cmpx_gt_u32_e64 s5, v60
	s_cbranch_execnz .LBB427_1027
.LBB427_975:                            ;   in Loop: Header=BB427_956 Depth=2
	s_or_b32 exec_lo, exec_lo, s18
	s_mov_b32 s18, exec_lo
	v_cmpx_gt_u32_e64 s5, v61
	s_cbranch_execz .LBB427_977
.LBB427_976:                            ;   in Loop: Header=BB427_956 Depth=2
	s_waitcnt vmcnt(0)
	v_add_co_u32 v21, s16, s16, v61
	v_add_co_ci_u32_e64 v22, null, s17, 0, s16
	global_load_ubyte v3, v[21:22], off
.LBB427_977:                            ;   in Loop: Header=BB427_956 Depth=2
	s_or_b32 exec_lo, exec_lo, s18
	s_waitcnt vmcnt(0)
	v_mov_b32_e32 v21, v17
	v_mov_b32_e32 v22, v20
	;; [unrolled: 1-line block ×17, first 2 shown]
	s_mov_b32 s16, s5
.LBB427_978:                            ;   in Loop: Header=BB427_956 Depth=2
	s_waitcnt vmcnt(15)
	v_mov_b32_e32 v3, v37
	v_mov_b32_e32 v5, v36
	s_waitcnt vmcnt(14)
	v_mov_b32_e32 v6, v35
	s_waitcnt vmcnt(13)
	;; [unrolled: 2-line block ×15, first 2 shown]
	v_mov_b32_e32 v17, v21
	s_mov_b32 s17, exec_lo
	v_cmpx_gt_u32_e64 s16, v0
	s_cbranch_execnz .LBB427_995
; %bb.979:                              ;   in Loop: Header=BB427_956 Depth=2
	s_or_b32 exec_lo, exec_lo, s17
	s_mov_b32 s17, exec_lo
	v_cmpx_gt_u32_e64 s16, v44
	s_cbranch_execnz .LBB427_996
.LBB427_980:                            ;   in Loop: Header=BB427_956 Depth=2
	s_or_b32 exec_lo, exec_lo, s17
	s_mov_b32 s17, exec_lo
	v_cmpx_gt_u32_e64 s16, v47
	s_cbranch_execnz .LBB427_997
.LBB427_981:                            ;   in Loop: Header=BB427_956 Depth=2
	s_or_b32 exec_lo, exec_lo, s17
	s_mov_b32 s17, exec_lo
	v_cmpx_gt_u32_e64 s16, v48
	s_cbranch_execnz .LBB427_998
.LBB427_982:                            ;   in Loop: Header=BB427_956 Depth=2
	s_or_b32 exec_lo, exec_lo, s17
	s_mov_b32 s17, exec_lo
	v_cmpx_gt_u32_e64 s16, v49
	s_cbranch_execnz .LBB427_999
.LBB427_983:                            ;   in Loop: Header=BB427_956 Depth=2
	s_or_b32 exec_lo, exec_lo, s17
	s_mov_b32 s17, exec_lo
	v_cmpx_gt_u32_e64 s16, v50
	s_cbranch_execnz .LBB427_1000
.LBB427_984:                            ;   in Loop: Header=BB427_956 Depth=2
	s_or_b32 exec_lo, exec_lo, s17
	s_mov_b32 s17, exec_lo
	v_cmpx_gt_u32_e64 s16, v51
	s_cbranch_execnz .LBB427_1001
.LBB427_985:                            ;   in Loop: Header=BB427_956 Depth=2
	s_or_b32 exec_lo, exec_lo, s17
	s_mov_b32 s17, exec_lo
	v_cmpx_gt_u32_e64 s16, v52
	s_cbranch_execnz .LBB427_1002
.LBB427_986:                            ;   in Loop: Header=BB427_956 Depth=2
	s_or_b32 exec_lo, exec_lo, s17
	s_mov_b32 s17, exec_lo
	v_cmpx_gt_u32_e64 s16, v53
	s_cbranch_execnz .LBB427_1003
.LBB427_987:                            ;   in Loop: Header=BB427_956 Depth=2
	s_or_b32 exec_lo, exec_lo, s17
	s_mov_b32 s17, exec_lo
	v_cmpx_gt_u32_e64 s16, v54
	s_cbranch_execnz .LBB427_1004
.LBB427_988:                            ;   in Loop: Header=BB427_956 Depth=2
	s_or_b32 exec_lo, exec_lo, s17
	s_mov_b32 s17, exec_lo
	v_cmpx_gt_u32_e64 s16, v55
	s_cbranch_execnz .LBB427_1005
.LBB427_989:                            ;   in Loop: Header=BB427_956 Depth=2
	s_or_b32 exec_lo, exec_lo, s17
	s_mov_b32 s17, exec_lo
	v_cmpx_gt_u32_e64 s16, v56
	s_cbranch_execnz .LBB427_1006
.LBB427_990:                            ;   in Loop: Header=BB427_956 Depth=2
	s_or_b32 exec_lo, exec_lo, s17
	s_mov_b32 s17, exec_lo
	v_cmpx_gt_u32_e64 s16, v57
	s_cbranch_execnz .LBB427_1007
.LBB427_991:                            ;   in Loop: Header=BB427_956 Depth=2
	s_or_b32 exec_lo, exec_lo, s17
	s_mov_b32 s17, exec_lo
	v_cmpx_gt_u32_e64 s16, v58
	s_cbranch_execnz .LBB427_1008
.LBB427_992:                            ;   in Loop: Header=BB427_956 Depth=2
	s_or_b32 exec_lo, exec_lo, s17
	s_mov_b32 s17, exec_lo
	v_cmpx_gt_u32_e64 s16, v59
	s_cbranch_execnz .LBB427_1009
.LBB427_993:                            ;   in Loop: Header=BB427_956 Depth=2
	s_or_b32 exec_lo, exec_lo, s17
	s_mov_b32 s17, exec_lo
	v_cmpx_gt_u32_e64 s16, v60
	s_cbranch_execnz .LBB427_1010
.LBB427_994:                            ;   in Loop: Header=BB427_956 Depth=2
	s_or_b32 exec_lo, exec_lo, s17
	v_cmp_gt_u32_e32 vcc_lo, s16, v61
	s_and_saveexec_b32 s16, vcc_lo
	s_cbranch_execz .LBB427_955
	s_branch .LBB427_1011
.LBB427_995:                            ;   in Loop: Header=BB427_956 Depth=2
	v_xor_b32_e32 v21, 0x80, v17
	v_lshrrev_b32_sdwa v21, s41, v21 dst_sel:DWORD dst_unused:UNUSED_PAD src0_sel:DWORD src1_sel:BYTE_0
	v_and_b32_e32 v21, s62, v21
	v_lshl_or_b32 v21, v21, 4, v63
	ds_add_u32 v21, v89
	s_or_b32 exec_lo, exec_lo, s17
	s_mov_b32 s17, exec_lo
	v_cmpx_gt_u32_e64 s16, v44
	s_cbranch_execz .LBB427_980
.LBB427_996:                            ;   in Loop: Header=BB427_956 Depth=2
	v_xor_b32_e32 v21, 0x80, v20
	v_lshrrev_b32_sdwa v21, s41, v21 dst_sel:DWORD dst_unused:UNUSED_PAD src0_sel:DWORD src1_sel:BYTE_0
	v_and_b32_e32 v21, s62, v21
	v_lshl_or_b32 v21, v21, 4, v63
	ds_add_u32 v21, v89
	s_or_b32 exec_lo, exec_lo, s17
	s_mov_b32 s17, exec_lo
	v_cmpx_gt_u32_e64 s16, v47
	s_cbranch_execz .LBB427_981
.LBB427_997:                            ;   in Loop: Header=BB427_956 Depth=2
	v_xor_b32_e32 v21, 0x80, v19
	v_lshrrev_b32_sdwa v21, s41, v21 dst_sel:DWORD dst_unused:UNUSED_PAD src0_sel:DWORD src1_sel:BYTE_0
	v_and_b32_e32 v21, s62, v21
	v_lshl_or_b32 v21, v21, 4, v63
	ds_add_u32 v21, v89
	s_or_b32 exec_lo, exec_lo, s17
	s_mov_b32 s17, exec_lo
	v_cmpx_gt_u32_e64 s16, v48
	s_cbranch_execz .LBB427_982
.LBB427_998:                            ;   in Loop: Header=BB427_956 Depth=2
	v_xor_b32_e32 v21, 0x80, v18
	v_lshrrev_b32_sdwa v21, s41, v21 dst_sel:DWORD dst_unused:UNUSED_PAD src0_sel:DWORD src1_sel:BYTE_0
	v_and_b32_e32 v21, s62, v21
	v_lshl_or_b32 v21, v21, 4, v63
	ds_add_u32 v21, v89
	s_or_b32 exec_lo, exec_lo, s17
	s_mov_b32 s17, exec_lo
	v_cmpx_gt_u32_e64 s16, v49
	s_cbranch_execz .LBB427_983
.LBB427_999:                            ;   in Loop: Header=BB427_956 Depth=2
	v_xor_b32_e32 v21, 0x80, v16
	v_lshrrev_b32_sdwa v21, s41, v21 dst_sel:DWORD dst_unused:UNUSED_PAD src0_sel:DWORD src1_sel:BYTE_0
	v_and_b32_e32 v21, s62, v21
	v_lshl_or_b32 v21, v21, 4, v63
	ds_add_u32 v21, v89
	s_or_b32 exec_lo, exec_lo, s17
	s_mov_b32 s17, exec_lo
	v_cmpx_gt_u32_e64 s16, v50
	s_cbranch_execz .LBB427_984
.LBB427_1000:                           ;   in Loop: Header=BB427_956 Depth=2
	v_xor_b32_e32 v21, 0x80, v15
	v_lshrrev_b32_sdwa v21, s41, v21 dst_sel:DWORD dst_unused:UNUSED_PAD src0_sel:DWORD src1_sel:BYTE_0
	v_and_b32_e32 v21, s62, v21
	v_lshl_or_b32 v21, v21, 4, v63
	ds_add_u32 v21, v89
	s_or_b32 exec_lo, exec_lo, s17
	s_mov_b32 s17, exec_lo
	v_cmpx_gt_u32_e64 s16, v51
	s_cbranch_execz .LBB427_985
.LBB427_1001:                           ;   in Loop: Header=BB427_956 Depth=2
	v_xor_b32_e32 v21, 0x80, v14
	v_lshrrev_b32_sdwa v21, s41, v21 dst_sel:DWORD dst_unused:UNUSED_PAD src0_sel:DWORD src1_sel:BYTE_0
	v_and_b32_e32 v21, s62, v21
	v_lshl_or_b32 v21, v21, 4, v63
	ds_add_u32 v21, v89
	s_or_b32 exec_lo, exec_lo, s17
	s_mov_b32 s17, exec_lo
	v_cmpx_gt_u32_e64 s16, v52
	s_cbranch_execz .LBB427_986
.LBB427_1002:                           ;   in Loop: Header=BB427_956 Depth=2
	v_xor_b32_e32 v21, 0x80, v13
	v_lshrrev_b32_sdwa v21, s41, v21 dst_sel:DWORD dst_unused:UNUSED_PAD src0_sel:DWORD src1_sel:BYTE_0
	v_and_b32_e32 v21, s62, v21
	v_lshl_or_b32 v21, v21, 4, v63
	ds_add_u32 v21, v89
	s_or_b32 exec_lo, exec_lo, s17
	s_mov_b32 s17, exec_lo
	v_cmpx_gt_u32_e64 s16, v53
	s_cbranch_execz .LBB427_987
.LBB427_1003:                           ;   in Loop: Header=BB427_956 Depth=2
	v_xor_b32_e32 v21, 0x80, v12
	v_lshrrev_b32_sdwa v21, s41, v21 dst_sel:DWORD dst_unused:UNUSED_PAD src0_sel:DWORD src1_sel:BYTE_0
	v_and_b32_e32 v21, s62, v21
	v_lshl_or_b32 v21, v21, 4, v63
	ds_add_u32 v21, v89
	s_or_b32 exec_lo, exec_lo, s17
	s_mov_b32 s17, exec_lo
	v_cmpx_gt_u32_e64 s16, v54
	s_cbranch_execz .LBB427_988
.LBB427_1004:                           ;   in Loop: Header=BB427_956 Depth=2
	v_xor_b32_e32 v21, 0x80, v11
	v_lshrrev_b32_sdwa v21, s41, v21 dst_sel:DWORD dst_unused:UNUSED_PAD src0_sel:DWORD src1_sel:BYTE_0
	v_and_b32_e32 v21, s62, v21
	v_lshl_or_b32 v21, v21, 4, v63
	ds_add_u32 v21, v89
	s_or_b32 exec_lo, exec_lo, s17
	s_mov_b32 s17, exec_lo
	v_cmpx_gt_u32_e64 s16, v55
	s_cbranch_execz .LBB427_989
.LBB427_1005:                           ;   in Loop: Header=BB427_956 Depth=2
	v_xor_b32_e32 v21, 0x80, v10
	v_lshrrev_b32_sdwa v21, s41, v21 dst_sel:DWORD dst_unused:UNUSED_PAD src0_sel:DWORD src1_sel:BYTE_0
	v_and_b32_e32 v21, s62, v21
	v_lshl_or_b32 v21, v21, 4, v63
	ds_add_u32 v21, v89
	s_or_b32 exec_lo, exec_lo, s17
	s_mov_b32 s17, exec_lo
	v_cmpx_gt_u32_e64 s16, v56
	s_cbranch_execz .LBB427_990
.LBB427_1006:                           ;   in Loop: Header=BB427_956 Depth=2
	v_xor_b32_e32 v21, 0x80, v9
	v_lshrrev_b32_sdwa v21, s41, v21 dst_sel:DWORD dst_unused:UNUSED_PAD src0_sel:DWORD src1_sel:BYTE_0
	v_and_b32_e32 v21, s62, v21
	v_lshl_or_b32 v21, v21, 4, v63
	ds_add_u32 v21, v89
	s_or_b32 exec_lo, exec_lo, s17
	s_mov_b32 s17, exec_lo
	v_cmpx_gt_u32_e64 s16, v57
	s_cbranch_execz .LBB427_991
.LBB427_1007:                           ;   in Loop: Header=BB427_956 Depth=2
	v_xor_b32_e32 v21, 0x80, v8
	v_lshrrev_b32_sdwa v21, s41, v21 dst_sel:DWORD dst_unused:UNUSED_PAD src0_sel:DWORD src1_sel:BYTE_0
	v_and_b32_e32 v21, s62, v21
	v_lshl_or_b32 v21, v21, 4, v63
	ds_add_u32 v21, v89
	s_or_b32 exec_lo, exec_lo, s17
	s_mov_b32 s17, exec_lo
	v_cmpx_gt_u32_e64 s16, v58
	s_cbranch_execz .LBB427_992
.LBB427_1008:                           ;   in Loop: Header=BB427_956 Depth=2
	v_xor_b32_e32 v21, 0x80, v7
	v_lshrrev_b32_sdwa v21, s41, v21 dst_sel:DWORD dst_unused:UNUSED_PAD src0_sel:DWORD src1_sel:BYTE_0
	v_and_b32_e32 v21, s62, v21
	v_lshl_or_b32 v21, v21, 4, v63
	ds_add_u32 v21, v89
	s_or_b32 exec_lo, exec_lo, s17
	s_mov_b32 s17, exec_lo
	v_cmpx_gt_u32_e64 s16, v59
	s_cbranch_execz .LBB427_993
.LBB427_1009:                           ;   in Loop: Header=BB427_956 Depth=2
	v_xor_b32_e32 v21, 0x80, v6
	v_lshrrev_b32_sdwa v21, s41, v21 dst_sel:DWORD dst_unused:UNUSED_PAD src0_sel:DWORD src1_sel:BYTE_0
	v_and_b32_e32 v21, s62, v21
	v_lshl_or_b32 v21, v21, 4, v63
	ds_add_u32 v21, v89
	s_or_b32 exec_lo, exec_lo, s17
	s_mov_b32 s17, exec_lo
	v_cmpx_gt_u32_e64 s16, v60
	s_cbranch_execz .LBB427_994
.LBB427_1010:                           ;   in Loop: Header=BB427_956 Depth=2
	v_xor_b32_e32 v21, 0x80, v5
	v_lshrrev_b32_sdwa v21, s41, v21 dst_sel:DWORD dst_unused:UNUSED_PAD src0_sel:DWORD src1_sel:BYTE_0
	v_and_b32_e32 v21, s62, v21
	v_lshl_or_b32 v21, v21, 4, v63
	ds_add_u32 v21, v89
	s_or_b32 exec_lo, exec_lo, s17
	v_cmp_gt_u32_e32 vcc_lo, s16, v61
	s_and_saveexec_b32 s16, vcc_lo
	s_cbranch_execz .LBB427_955
.LBB427_1011:                           ;   in Loop: Header=BB427_956 Depth=2
	v_xor_b32_e32 v21, 0x80, v3
	v_lshrrev_b32_sdwa v21, s41, v21 dst_sel:DWORD dst_unused:UNUSED_PAD src0_sel:DWORD src1_sel:BYTE_0
	v_and_b32_e32 v21, s62, v21
	v_lshl_or_b32 v21, v21, 4, v63
	ds_add_u32 v21, v89
	s_branch .LBB427_955
.LBB427_1012:                           ;   in Loop: Header=BB427_956 Depth=2
	s_waitcnt vmcnt(0)
	v_add_co_u32 v21, s19, s16, v0
	v_add_co_ci_u32_e64 v22, null, s17, 0, s19
	global_load_ubyte v17, v[21:22], off
	s_or_b32 exec_lo, exec_lo, s18
	s_mov_b32 s18, exec_lo
	v_cmpx_gt_u32_e64 s5, v44
	s_cbranch_execz .LBB427_961
.LBB427_1013:                           ;   in Loop: Header=BB427_956 Depth=2
	v_add_co_u32 v20, s19, s16, v0
	s_waitcnt vmcnt(0)
	v_add_co_ci_u32_e64 v21, null, s17, 0, s19
	global_load_ubyte v20, v[20:21], off offset:256
	s_or_b32 exec_lo, exec_lo, s18
	s_mov_b32 s18, exec_lo
	v_cmpx_gt_u32_e64 s5, v47
	s_cbranch_execz .LBB427_962
.LBB427_1014:                           ;   in Loop: Header=BB427_956 Depth=2
	s_waitcnt vmcnt(0)
	v_add_co_u32 v21, s19, s16, v0
	v_add_co_ci_u32_e64 v22, null, s17, 0, s19
	global_load_ubyte v19, v[21:22], off offset:512
	s_or_b32 exec_lo, exec_lo, s18
	s_mov_b32 s18, exec_lo
	v_cmpx_gt_u32_e64 s5, v48
	s_cbranch_execz .LBB427_963
.LBB427_1015:                           ;   in Loop: Header=BB427_956 Depth=2
	s_waitcnt vmcnt(0)
	v_add_co_u32 v21, s19, s16, v0
	v_add_co_ci_u32_e64 v22, null, s17, 0, s19
	global_load_ubyte v18, v[21:22], off offset:768
	s_or_b32 exec_lo, exec_lo, s18
	s_mov_b32 s18, exec_lo
	v_cmpx_gt_u32_e64 s5, v49
	s_cbranch_execz .LBB427_964
.LBB427_1016:                           ;   in Loop: Header=BB427_956 Depth=2
	s_waitcnt vmcnt(0)
	v_add_co_u32 v21, s19, s16, v0
	v_add_co_ci_u32_e64 v22, null, s17, 0, s19
	global_load_ubyte v16, v[21:22], off offset:1024
	s_or_b32 exec_lo, exec_lo, s18
	s_mov_b32 s18, exec_lo
	v_cmpx_gt_u32_e64 s5, v50
	s_cbranch_execz .LBB427_965
.LBB427_1017:                           ;   in Loop: Header=BB427_956 Depth=2
	s_waitcnt vmcnt(0)
	v_add_co_u32 v21, s19, s16, v0
	v_add_co_ci_u32_e64 v22, null, s17, 0, s19
	global_load_ubyte v15, v[21:22], off offset:1280
	s_or_b32 exec_lo, exec_lo, s18
	s_mov_b32 s18, exec_lo
	v_cmpx_gt_u32_e64 s5, v51
	s_cbranch_execz .LBB427_966
.LBB427_1018:                           ;   in Loop: Header=BB427_956 Depth=2
	s_waitcnt vmcnt(0)
	v_add_co_u32 v21, s19, s16, v0
	v_add_co_ci_u32_e64 v22, null, s17, 0, s19
	global_load_ubyte v14, v[21:22], off offset:1536
	s_or_b32 exec_lo, exec_lo, s18
	s_mov_b32 s18, exec_lo
	v_cmpx_gt_u32_e64 s5, v52
	s_cbranch_execz .LBB427_967
.LBB427_1019:                           ;   in Loop: Header=BB427_956 Depth=2
	s_waitcnt vmcnt(0)
	v_add_co_u32 v21, s19, s16, v0
	v_add_co_ci_u32_e64 v22, null, s17, 0, s19
	global_load_ubyte v13, v[21:22], off offset:1792
	s_or_b32 exec_lo, exec_lo, s18
	s_mov_b32 s18, exec_lo
	v_cmpx_gt_u32_e64 s5, v53
	s_cbranch_execz .LBB427_968
.LBB427_1020:                           ;   in Loop: Header=BB427_956 Depth=2
	s_waitcnt vmcnt(0)
	v_add_co_u32 v21, s19, s16, v53
	v_add_co_ci_u32_e64 v22, null, s17, 0, s19
	global_load_ubyte v12, v[21:22], off
	s_or_b32 exec_lo, exec_lo, s18
	s_mov_b32 s18, exec_lo
	v_cmpx_gt_u32_e64 s5, v54
	s_cbranch_execz .LBB427_969
.LBB427_1021:                           ;   in Loop: Header=BB427_956 Depth=2
	s_waitcnt vmcnt(0)
	v_add_co_u32 v21, s19, s16, v54
	v_add_co_ci_u32_e64 v22, null, s17, 0, s19
	global_load_ubyte v11, v[21:22], off
	s_or_b32 exec_lo, exec_lo, s18
	s_mov_b32 s18, exec_lo
	v_cmpx_gt_u32_e64 s5, v55
	s_cbranch_execz .LBB427_970
.LBB427_1022:                           ;   in Loop: Header=BB427_956 Depth=2
	s_waitcnt vmcnt(0)
	v_add_co_u32 v21, s19, s16, v55
	v_add_co_ci_u32_e64 v22, null, s17, 0, s19
	global_load_ubyte v10, v[21:22], off
	s_or_b32 exec_lo, exec_lo, s18
	s_mov_b32 s18, exec_lo
	v_cmpx_gt_u32_e64 s5, v56
	s_cbranch_execz .LBB427_971
.LBB427_1023:                           ;   in Loop: Header=BB427_956 Depth=2
	s_waitcnt vmcnt(0)
	v_add_co_u32 v21, s19, s16, v56
	v_add_co_ci_u32_e64 v22, null, s17, 0, s19
	global_load_ubyte v9, v[21:22], off
	s_or_b32 exec_lo, exec_lo, s18
	s_mov_b32 s18, exec_lo
	v_cmpx_gt_u32_e64 s5, v57
	s_cbranch_execz .LBB427_972
.LBB427_1024:                           ;   in Loop: Header=BB427_956 Depth=2
	s_waitcnt vmcnt(0)
	v_add_co_u32 v21, s19, s16, v57
	v_add_co_ci_u32_e64 v22, null, s17, 0, s19
	global_load_ubyte v8, v[21:22], off
	s_or_b32 exec_lo, exec_lo, s18
	s_mov_b32 s18, exec_lo
	v_cmpx_gt_u32_e64 s5, v58
	s_cbranch_execz .LBB427_973
.LBB427_1025:                           ;   in Loop: Header=BB427_956 Depth=2
	s_waitcnt vmcnt(0)
	v_add_co_u32 v21, s19, s16, v58
	v_add_co_ci_u32_e64 v22, null, s17, 0, s19
	global_load_ubyte v7, v[21:22], off
	s_or_b32 exec_lo, exec_lo, s18
	s_mov_b32 s18, exec_lo
	v_cmpx_gt_u32_e64 s5, v59
	s_cbranch_execz .LBB427_974
.LBB427_1026:                           ;   in Loop: Header=BB427_956 Depth=2
	s_waitcnt vmcnt(0)
	v_add_co_u32 v21, s19, s16, v59
	v_add_co_ci_u32_e64 v22, null, s17, 0, s19
	global_load_ubyte v6, v[21:22], off
	s_or_b32 exec_lo, exec_lo, s18
	s_mov_b32 s18, exec_lo
	v_cmpx_gt_u32_e64 s5, v60
	s_cbranch_execz .LBB427_975
.LBB427_1027:                           ;   in Loop: Header=BB427_956 Depth=2
	s_waitcnt vmcnt(0)
	v_add_co_u32 v21, s19, s16, v60
	v_add_co_ci_u32_e64 v22, null, s17, 0, s19
	global_load_ubyte v5, v[21:22], off
	s_or_b32 exec_lo, exec_lo, s18
	s_mov_b32 s18, exec_lo
	v_cmpx_gt_u32_e64 s5, v61
	s_cbranch_execnz .LBB427_976
	s_branch .LBB427_977
.LBB427_1028:                           ;   in Loop: Header=BB427_20 Depth=1
	v_mov_b32_e32 v3, 0
	s_waitcnt lgkmcnt(0)
	s_barrier
	buffer_gl0_inv
	s_and_saveexec_b32 s5, s8
	s_cbranch_execz .LBB427_1030
; %bb.1029:                             ;   in Loop: Header=BB427_20 Depth=1
	ds_read2_b64 v[5:8], v64 offset1:1
	s_waitcnt lgkmcnt(0)
	v_add_nc_u32_e32 v3, v6, v5
	v_add3_u32 v3, v3, v7, v8
.LBB427_1030:                           ;   in Loop: Header=BB427_20 Depth=1
	s_or_b32 exec_lo, exec_lo, s5
	v_and_b32_e32 v5, 15, v86
	v_mov_b32_dpp v6, v3 row_shr:1 row_mask:0xf bank_mask:0xf
	v_and_b32_e32 v7, 16, v86
	v_cmp_eq_u32_e64 s5, 0, v5
	v_cmp_lt_u32_e64 s15, 1, v5
	v_cmp_lt_u32_e64 s16, 3, v5
	;; [unrolled: 1-line block ×3, first 2 shown]
	v_cmp_eq_u32_e64 s18, 0, v7
	v_cndmask_b32_e64 v6, v6, 0, s5
	v_add_nc_u32_e32 v3, v6, v3
	v_mov_b32_dpp v6, v3 row_shr:2 row_mask:0xf bank_mask:0xf
	v_cndmask_b32_e64 v6, 0, v6, s15
	v_add_nc_u32_e32 v3, v3, v6
	v_mov_b32_dpp v6, v3 row_shr:4 row_mask:0xf bank_mask:0xf
	;; [unrolled: 3-line block ×3, first 2 shown]
	v_cndmask_b32_e64 v5, 0, v6, s17
	v_bfe_i32 v6, v86, 4, 1
	v_add_nc_u32_e32 v3, v3, v5
	ds_swizzle_b32 v5, v3 offset:swizzle(BROADCAST,32,15)
	s_waitcnt lgkmcnt(0)
	v_and_b32_e32 v5, v6, v5
	v_add_nc_u32_e32 v3, v3, v5
	s_and_saveexec_b32 s19, s9
; %bb.1031:                             ;   in Loop: Header=BB427_20 Depth=1
	ds_write_b32 v65, v3
; %bb.1032:                             ;   in Loop: Header=BB427_20 Depth=1
	s_or_b32 exec_lo, exec_lo, s19
	s_waitcnt lgkmcnt(0)
	s_barrier
	buffer_gl0_inv
	s_and_saveexec_b32 s19, s10
	s_cbranch_execz .LBB427_1034
; %bb.1033:                             ;   in Loop: Header=BB427_20 Depth=1
	ds_read_b32 v5, v66
	v_and_b32_e32 v6, 3, v86
	v_cmp_ne_u32_e32 vcc_lo, 0, v6
	s_waitcnt lgkmcnt(0)
	v_mov_b32_dpp v7, v5 row_shr:1 row_mask:0xf bank_mask:0xf
	v_cndmask_b32_e32 v7, 0, v7, vcc_lo
	v_cmp_lt_u32_e32 vcc_lo, 1, v6
	v_add_nc_u32_e32 v5, v7, v5
	v_mov_b32_dpp v7, v5 row_shr:2 row_mask:0xf bank_mask:0xf
	v_cndmask_b32_e32 v6, 0, v7, vcc_lo
	v_add_nc_u32_e32 v5, v5, v6
	ds_write_b32 v66, v5
.LBB427_1034:                           ;   in Loop: Header=BB427_20 Depth=1
	s_or_b32 exec_lo, exec_lo, s19
	v_mov_b32_e32 v5, 0
	s_waitcnt lgkmcnt(0)
	s_barrier
	buffer_gl0_inv
	s_and_saveexec_b32 s19, s11
; %bb.1035:                             ;   in Loop: Header=BB427_20 Depth=1
	ds_read_b32 v5, v67
; %bb.1036:                             ;   in Loop: Header=BB427_20 Depth=1
	s_or_b32 exec_lo, exec_lo, s19
	v_sub_co_u32 v6, s19, v86, 1
	s_waitcnt lgkmcnt(0)
	v_add_nc_u32_e32 v3, v5, v3
	s_barrier
	v_cmp_gt_i32_e32 vcc_lo, 0, v6
	buffer_gl0_inv
	v_cndmask_b32_e32 v6, v6, v86, vcc_lo
	v_lshlrev_b32_e32 v94, 2, v6
	ds_bpermute_b32 v3, v94, v3
	s_and_saveexec_b32 s20, s8
	s_cbranch_execz .LBB427_1038
; %bb.1037:                             ;   in Loop: Header=BB427_20 Depth=1
	s_waitcnt lgkmcnt(0)
	v_cndmask_b32_e64 v3, v3, v5, s19
	v_add_nc_u32_e32 v3, s58, v3
	ds_write_b32 v43, v3
.LBB427_1038:                           ;   in Loop: Header=BB427_20 Depth=1
	s_or_b32 exec_lo, exec_lo, s20
	s_load_dwordx2 s[20:21], s[56:57], 0x0
	v_and_b32_e32 v6, 7, v86
	v_lshlrev_b32_e32 v7, 3, v86
	v_or_b32_e32 v95, v86, v68
	v_add_co_u32 v96, vcc_lo, v87, v86
	v_add_co_ci_u32_e64 v97, null, 0, v88, vcc_lo
	v_add_co_u32 v98, vcc_lo, v84, v7
	v_add_co_ci_u32_e64 v99, null, 0, v85, vcc_lo
	v_add_nc_u32_e32 v100, 32, v95
	v_add_nc_u32_e32 v101, 64, v95
	;; [unrolled: 1-line block ×8, first 2 shown]
	s_waitcnt lgkmcnt(0)
	s_cmp_lt_u32 s7, s21
	v_add_nc_u32_e32 v108, 0x120, v95
	s_cselect_b32 s21, 14, 20
	v_add_nc_u32_e32 v109, 0x140, v95
	s_add_u32 s22, s56, s21
	s_addc_u32 s23, s57, 0
	s_cmp_lt_u32 s6, s20
	global_load_ushort v3, v4, s[22:23]
	s_cselect_b32 s20, 12, 18
	v_add_nc_u32_e32 v110, 0x160, v95
	s_add_u32 s20, s56, s20
	s_addc_u32 s21, s57, 0
	v_add_nc_u32_e32 v111, 0x180, v95
	global_load_ushort v5, v4, s[20:21]
	v_cmp_eq_u32_e64 s20, 0, v6
	v_cmp_lt_u32_e64 s21, 1, v6
	v_cmp_lt_u32_e64 s22, 3, v6
	v_add_nc_u32_e32 v112, 0x1a0, v95
	v_add_nc_u32_e32 v113, 0x1c0, v95
	;; [unrolled: 1-line block ×4, first 2 shown]
	v_mov_b32_e32 v117, 0
	s_mov_b32 s63, s60
	s_mov_b32 s50, s58
                                        ; implicit-def: $vgpr7_vgpr8
                                        ; implicit-def: $vgpr9_vgpr10
                                        ; implicit-def: $vgpr11_vgpr12
                                        ; implicit-def: $vgpr13_vgpr14
                                        ; implicit-def: $vgpr15_vgpr16
                                        ; implicit-def: $vgpr19_vgpr20
                                        ; implicit-def: $vgpr23_vgpr24
                                        ; implicit-def: $vgpr27_vgpr28
                                        ; implicit-def: $vgpr17_vgpr18
                                        ; implicit-def: $vgpr21_vgpr22
                                        ; implicit-def: $vgpr25_vgpr26
                                        ; implicit-def: $vgpr29_vgpr30
                                        ; implicit-def: $vgpr31_vgpr32
                                        ; implicit-def: $vgpr33_vgpr34
                                        ; implicit-def: $vgpr35_vgpr36
                                        ; implicit-def: $vgpr37_vgpr38
                                        ; implicit-def: $vgpr118
                                        ; implicit-def: $vgpr119
                                        ; implicit-def: $vgpr120
                                        ; implicit-def: $vgpr121
                                        ; implicit-def: $vgpr122
                                        ; implicit-def: $vgpr123
                                        ; implicit-def: $vgpr124
                                        ; implicit-def: $vgpr125
                                        ; implicit-def: $vgpr126
                                        ; implicit-def: $vgpr127
                                        ; implicit-def: $vgpr128
                                        ; implicit-def: $vgpr129
                                        ; implicit-def: $vgpr130
                                        ; implicit-def: $vgpr131
                                        ; implicit-def: $vgpr132
                                        ; implicit-def: $vgpr133
                                        ; implicit-def: $vgpr134
                                        ; implicit-def: $vgpr135
                                        ; implicit-def: $vgpr136
	s_waitcnt vmcnt(1)
	v_mad_u32_u24 v3, v2, v3, v1
	s_waitcnt vmcnt(0)
	v_mad_u64_u32 v[5:6], null, v3, v5, v[0:1]
	v_lshrrev_b32_e32 v3, 3, v5
                                        ; implicit-def: $vgpr5_vgpr6
	v_and_b32_e32 v116, 0x1ffffffc, v3
	s_branch .LBB427_1040
.LBB427_1039:                           ;   in Loop: Header=BB427_1040 Depth=2
	s_or_b32 exec_lo, exec_lo, s23
	s_addk_i32 s63, 0xef00
	s_cmp_lt_u32 s64, s59
	s_mov_b32 s50, s64
	s_cbranch_scc0 .LBB427_18
.LBB427_1040:                           ;   Parent Loop BB427_20 Depth=1
                                        ; =>  This Inner Loop Header: Depth=2
	s_add_i32 s64, s50, 0x1100
	s_cmp_gt_u32 s64, s59
	s_cbranch_scc1 .LBB427_1042
; %bb.1041:                             ;   in Loop: Header=BB427_1040 Depth=2
	v_add_co_u32 v39, vcc_lo, v96, s50
	v_add_co_ci_u32_e64 v40, null, 0, v97, vcc_lo
	s_mov_b32 s23, -1
	s_clause 0xf
	global_load_ubyte v42, v[39:40], off offset:480
	global_load_ubyte v41, v[39:40], off offset:448
	;; [unrolled: 1-line block ×15, first 2 shown]
	global_load_ubyte v146, v[39:40], off
	s_movk_i32 s24, 0x1100
	s_cbranch_execz .LBB427_1043
	s_branch .LBB427_1061
.LBB427_1042:                           ;   in Loop: Header=BB427_1040 Depth=2
	s_mov_b32 s23, 0
                                        ; implicit-def: $vgpr146
                                        ; implicit-def: $vgpr147
                                        ; implicit-def: $vgpr148
                                        ; implicit-def: $vgpr151
                                        ; implicit-def: $vgpr150
                                        ; implicit-def: $vgpr143
                                        ; implicit-def: $vgpr144
                                        ; implicit-def: $vgpr145
                                        ; implicit-def: $vgpr142
                                        ; implicit-def: $vgpr139
                                        ; implicit-def: $vgpr140
                                        ; implicit-def: $vgpr141
                                        ; implicit-def: $vgpr137
                                        ; implicit-def: $vgpr3
                                        ; implicit-def: $vgpr41
                                        ; implicit-def: $vgpr42
                                        ; implicit-def: $vgpr117
	s_movk_i32 s24, 0x1100
.LBB427_1043:                           ;   in Loop: Header=BB427_1040 Depth=2
	v_add_co_u32 v39, vcc_lo, v96, s50
	v_add_co_ci_u32_e64 v40, null, 0, v97, vcc_lo
	v_mov_b32_e32 v117, 0x7f
	s_waitcnt vmcnt(0)
	v_mov_b32_e32 v146, 0x7f
	v_mov_b32_e32 v147, 0x7f
	;; [unrolled: 1-line block ×16, first 2 shown]
	s_mov_b32 s23, exec_lo
	v_cmpx_gt_u32_e64 s63, v95
	s_cbranch_execnz .LBB427_1247
; %bb.1044:                             ;   in Loop: Header=BB427_1040 Depth=2
	s_or_b32 exec_lo, exec_lo, s23
	s_mov_b32 s23, exec_lo
	v_cmpx_gt_u32_e64 s63, v100
	s_cbranch_execnz .LBB427_1248
.LBB427_1045:                           ;   in Loop: Header=BB427_1040 Depth=2
	s_or_b32 exec_lo, exec_lo, s23
	s_mov_b32 s23, exec_lo
	v_cmpx_gt_u32_e64 s63, v101
	s_cbranch_execnz .LBB427_1249
.LBB427_1046:                           ;   in Loop: Header=BB427_1040 Depth=2
	s_or_b32 exec_lo, exec_lo, s23
	s_mov_b32 s23, exec_lo
	v_cmpx_gt_u32_e64 s63, v102
	s_cbranch_execnz .LBB427_1250
.LBB427_1047:                           ;   in Loop: Header=BB427_1040 Depth=2
	s_or_b32 exec_lo, exec_lo, s23
	s_mov_b32 s23, exec_lo
	v_cmpx_gt_u32_e64 s63, v103
	s_cbranch_execnz .LBB427_1251
.LBB427_1048:                           ;   in Loop: Header=BB427_1040 Depth=2
	s_or_b32 exec_lo, exec_lo, s23
	s_mov_b32 s23, exec_lo
	v_cmpx_gt_u32_e64 s63, v104
	s_cbranch_execnz .LBB427_1252
.LBB427_1049:                           ;   in Loop: Header=BB427_1040 Depth=2
	s_or_b32 exec_lo, exec_lo, s23
	s_mov_b32 s23, exec_lo
	v_cmpx_gt_u32_e64 s63, v105
	s_cbranch_execnz .LBB427_1253
.LBB427_1050:                           ;   in Loop: Header=BB427_1040 Depth=2
	s_or_b32 exec_lo, exec_lo, s23
	s_mov_b32 s23, exec_lo
	v_cmpx_gt_u32_e64 s63, v106
	s_cbranch_execnz .LBB427_1254
.LBB427_1051:                           ;   in Loop: Header=BB427_1040 Depth=2
	s_or_b32 exec_lo, exec_lo, s23
	s_mov_b32 s23, exec_lo
	v_cmpx_gt_u32_e64 s63, v107
	s_cbranch_execnz .LBB427_1255
.LBB427_1052:                           ;   in Loop: Header=BB427_1040 Depth=2
	s_or_b32 exec_lo, exec_lo, s23
	s_mov_b32 s23, exec_lo
	v_cmpx_gt_u32_e64 s63, v108
	s_cbranch_execnz .LBB427_1256
.LBB427_1053:                           ;   in Loop: Header=BB427_1040 Depth=2
	s_or_b32 exec_lo, exec_lo, s23
	s_mov_b32 s23, exec_lo
	v_cmpx_gt_u32_e64 s63, v109
	s_cbranch_execnz .LBB427_1257
.LBB427_1054:                           ;   in Loop: Header=BB427_1040 Depth=2
	s_or_b32 exec_lo, exec_lo, s23
	s_mov_b32 s23, exec_lo
	v_cmpx_gt_u32_e64 s63, v110
	s_cbranch_execnz .LBB427_1258
.LBB427_1055:                           ;   in Loop: Header=BB427_1040 Depth=2
	s_or_b32 exec_lo, exec_lo, s23
	s_mov_b32 s23, exec_lo
	v_cmpx_gt_u32_e64 s63, v111
	s_cbranch_execnz .LBB427_1259
.LBB427_1056:                           ;   in Loop: Header=BB427_1040 Depth=2
	s_or_b32 exec_lo, exec_lo, s23
	s_mov_b32 s23, exec_lo
	v_cmpx_gt_u32_e64 s63, v112
	s_cbranch_execnz .LBB427_1260
.LBB427_1057:                           ;   in Loop: Header=BB427_1040 Depth=2
	s_or_b32 exec_lo, exec_lo, s23
	s_mov_b32 s23, exec_lo
	v_cmpx_gt_u32_e64 s63, v113
	s_cbranch_execnz .LBB427_1261
.LBB427_1058:                           ;   in Loop: Header=BB427_1040 Depth=2
	s_or_b32 exec_lo, exec_lo, s23
	s_mov_b32 s23, exec_lo
	v_cmpx_gt_u32_e64 s63, v114
	s_cbranch_execz .LBB427_1060
.LBB427_1059:                           ;   in Loop: Header=BB427_1040 Depth=2
	global_load_ubyte v42, v[39:40], off offset:480
.LBB427_1060:                           ;   in Loop: Header=BB427_1040 Depth=2
	s_or_b32 exec_lo, exec_lo, s23
	v_cmp_gt_u32_e64 s23, s63, v115
	s_sub_i32 s24, s59, s50
.LBB427_1061:                           ;   in Loop: Header=BB427_1040 Depth=2
	v_mov_b32_e32 v138, s63
	s_and_saveexec_b32 s25, s23
	s_cbranch_execz .LBB427_1063
; %bb.1062:                             ;   in Loop: Header=BB427_1040 Depth=2
	v_add_co_u32 v39, vcc_lo, v96, s50
	v_add_co_ci_u32_e64 v40, null, s51, v97, vcc_lo
	v_mov_b32_e32 v138, s24
	global_load_ubyte v117, v[39:40], off offset:512
.LBB427_1063:                           ;   in Loop: Header=BB427_1040 Depth=2
	s_or_b32 exec_lo, exec_lo, s25
	s_waitcnt vmcnt(0)
	v_xor_b32_e32 v39, 0x80, v146
	ds_write2_b32 v69, v4, v4 offset0:136 offset1:137
	ds_write2_b32 v69, v4, v4 offset0:138 offset1:139
	ds_write_b32 v69, v4 offset:560
	s_waitcnt lgkmcnt(0)
	s_barrier
	v_and_b32_sdwa v40, v92, v39 dst_sel:DWORD dst_unused:UNUSED_PAD src0_sel:DWORD src1_sel:BYTE_0
	buffer_gl0_inv
	; wave barrier
	v_lshrrev_b32_e32 v40, s41, v40
	v_and_b32_e32 v149, s62, v40
	v_and_b32_e32 v40, 1, v149
	v_lshlrev_b32_e32 v146, 30, v149
	v_lshlrev_b32_e32 v152, 29, v149
	;; [unrolled: 1-line block ×4, first 2 shown]
	v_add_co_u32 v40, s23, v40, -1
	v_cndmask_b32_e64 v153, 0, 1, s23
	v_not_b32_e32 v157, v146
	v_cmp_gt_i32_e64 s23, 0, v146
	v_not_b32_e32 v146, v152
	v_lshlrev_b32_e32 v156, 26, v149
	v_cmp_ne_u32_e32 vcc_lo, 0, v153
	v_ashrrev_i32_e32 v157, 31, v157
	v_lshlrev_b32_e32 v153, 25, v149
	v_ashrrev_i32_e32 v146, 31, v146
	v_mul_u32_u24_e32 v149, 36, v149
	v_xor_b32_e32 v40, vcc_lo, v40
	v_cmp_gt_i32_e32 vcc_lo, 0, v152
	v_not_b32_e32 v152, v154
	v_xor_b32_e32 v157, s23, v157
	v_cmp_gt_i32_e64 s23, 0, v154
	v_and_b32_e32 v40, exec_lo, v40
	v_not_b32_e32 v154, v155
	v_ashrrev_i32_e32 v152, 31, v152
	v_xor_b32_e32 v146, vcc_lo, v146
	v_cmp_gt_i32_e32 vcc_lo, 0, v155
	v_and_b32_e32 v40, v40, v157
	v_not_b32_e32 v155, v156
	v_ashrrev_i32_e32 v154, 31, v154
	v_xor_b32_e32 v152, s23, v152
	v_cmp_gt_i32_e64 s23, 0, v156
	v_and_b32_e32 v40, v40, v146
	v_not_b32_e32 v146, v153
	v_ashrrev_i32_e32 v155, 31, v155
	v_xor_b32_e32 v154, vcc_lo, v154
	v_cmp_gt_i32_e32 vcc_lo, 0, v153
	v_and_b32_e32 v40, v40, v152
	v_ashrrev_i32_e32 v146, 31, v146
	v_xor_b32_e32 v152, s23, v155
	v_add_nc_u32_e32 v149, v116, v149
	v_and_b32_e32 v40, v40, v154
	v_xor_b32_e32 v146, vcc_lo, v146
	v_and_b32_e32 v40, v40, v152
	v_and_b32_e32 v40, v40, v146
	v_mbcnt_lo_u32_b32 v146, v40, 0
	v_cmp_ne_u32_e64 s23, 0, v40
	v_cmp_eq_u32_e32 vcc_lo, 0, v146
	s_and_b32 s24, s23, vcc_lo
	s_and_saveexec_b32 s23, s24
; %bb.1064:                             ;   in Loop: Header=BB427_1040 Depth=2
	v_bcnt_u32_b32 v40, v40, 0
	ds_write_b32 v149, v40 offset:544
; %bb.1065:                             ;   in Loop: Header=BB427_1040 Depth=2
	s_or_b32 exec_lo, exec_lo, s23
	v_xor_b32_sdwa v40, v147, v93 dst_sel:BYTE_1 dst_unused:UNUSED_PAD src0_sel:DWORD src1_sel:DWORD
	v_xor_b32_e32 v148, 0x80, v148
	v_xor_b32_sdwa v151, v151, v93 dst_sel:BYTE_1 dst_unused:UNUSED_PAD src0_sel:DWORD src1_sel:DWORD
	; wave barrier
	v_or_b32_sdwa v147, v39, v40 dst_sel:DWORD dst_unused:UNUSED_PAD src0_sel:BYTE_0 src1_sel:DWORD
	v_or_b32_sdwa v39, v148, v151 dst_sel:WORD_1 dst_unused:UNUSED_PAD src0_sel:BYTE_0 src1_sel:DWORD
	v_or_b32_sdwa v148, v147, v39 dst_sel:DWORD dst_unused:UNUSED_PAD src0_sel:WORD_0 src1_sel:DWORD
	v_lshrrev_b32_sdwa v39, s41, v148 dst_sel:DWORD dst_unused:UNUSED_PAD src0_sel:DWORD src1_sel:BYTE_1
	v_and_b32_e32 v40, s62, v39
	v_and_b32_e32 v39, 1, v40
	v_lshlrev_b32_e32 v151, 30, v40
	v_lshlrev_b32_e32 v152, 29, v40
	;; [unrolled: 1-line block ×4, first 2 shown]
	v_add_co_u32 v39, s23, v39, -1
	v_cndmask_b32_e64 v153, 0, 1, s23
	v_not_b32_e32 v157, v151
	v_cmp_gt_i32_e64 s23, 0, v151
	v_not_b32_e32 v151, v152
	v_lshlrev_b32_e32 v156, 26, v40
	v_cmp_ne_u32_e32 vcc_lo, 0, v153
	v_ashrrev_i32_e32 v157, 31, v157
	v_lshlrev_b32_e32 v153, 25, v40
	v_ashrrev_i32_e32 v151, 31, v151
	v_xor_b32_e32 v39, vcc_lo, v39
	v_cmp_gt_i32_e32 vcc_lo, 0, v152
	v_not_b32_e32 v152, v154
	v_xor_b32_e32 v157, s23, v157
	v_cmp_gt_i32_e64 s23, 0, v154
	v_and_b32_e32 v39, exec_lo, v39
	v_not_b32_e32 v154, v155
	v_ashrrev_i32_e32 v152, 31, v152
	v_xor_b32_e32 v151, vcc_lo, v151
	v_cmp_gt_i32_e32 vcc_lo, 0, v155
	v_and_b32_e32 v39, v39, v157
	v_not_b32_e32 v155, v156
	v_ashrrev_i32_e32 v154, 31, v154
	v_xor_b32_e32 v152, s23, v152
	v_cmp_gt_i32_e64 s23, 0, v156
	v_and_b32_e32 v39, v39, v151
	v_not_b32_e32 v151, v153
	v_ashrrev_i32_e32 v155, 31, v155
	v_xor_b32_e32 v154, vcc_lo, v154
	v_cmp_gt_i32_e32 vcc_lo, 0, v153
	v_and_b32_e32 v39, v39, v152
	v_ashrrev_i32_e32 v151, 31, v151
	v_xor_b32_e32 v152, s23, v155
	v_mad_u32_u24 v153, v40, 36, v116
	v_mul_u32_u24_e32 v40, 36, v40
	v_and_b32_e32 v39, v39, v154
	v_xor_b32_e32 v154, vcc_lo, v151
	ds_read_b32 v151, v153 offset:544
	v_add_nc_u32_e32 v153, v116, v40
	v_and_b32_e32 v39, v39, v152
	; wave barrier
	v_and_b32_e32 v39, v39, v154
	v_mbcnt_lo_u32_b32 v152, v39, 0
	v_cmp_ne_u32_e64 s23, 0, v39
	v_cmp_eq_u32_e32 vcc_lo, 0, v152
	s_and_b32 s24, s23, vcc_lo
	s_and_saveexec_b32 s23, s24
	s_cbranch_execz .LBB427_1067
; %bb.1066:                             ;   in Loop: Header=BB427_1040 Depth=2
	s_waitcnt lgkmcnt(0)
	v_bcnt_u32_b32 v39, v39, v151
	ds_write_b32 v153, v39 offset:544
.LBB427_1067:                           ;   in Loop: Header=BB427_1040 Depth=2
	s_or_b32 exec_lo, exec_lo, s23
	v_lshrrev_b32_sdwa v39, s41, v148 dst_sel:DWORD dst_unused:UNUSED_PAD src0_sel:DWORD src1_sel:BYTE_2
	; wave barrier
	v_and_b32_e32 v40, s62, v39
	v_and_b32_e32 v39, 1, v40
	v_lshlrev_b32_e32 v154, 30, v40
	v_lshlrev_b32_e32 v155, 29, v40
	;; [unrolled: 1-line block ×4, first 2 shown]
	v_add_co_u32 v39, s23, v39, -1
	v_cndmask_b32_e64 v156, 0, 1, s23
	v_not_b32_e32 v160, v154
	v_cmp_gt_i32_e64 s23, 0, v154
	v_not_b32_e32 v154, v155
	v_lshlrev_b32_e32 v159, 26, v40
	v_cmp_ne_u32_e32 vcc_lo, 0, v156
	v_ashrrev_i32_e32 v160, 31, v160
	v_lshlrev_b32_e32 v156, 25, v40
	v_ashrrev_i32_e32 v154, 31, v154
	v_xor_b32_e32 v39, vcc_lo, v39
	v_cmp_gt_i32_e32 vcc_lo, 0, v155
	v_not_b32_e32 v155, v157
	v_xor_b32_e32 v160, s23, v160
	v_cmp_gt_i32_e64 s23, 0, v157
	v_and_b32_e32 v39, exec_lo, v39
	v_not_b32_e32 v157, v158
	v_ashrrev_i32_e32 v155, 31, v155
	v_xor_b32_e32 v154, vcc_lo, v154
	v_cmp_gt_i32_e32 vcc_lo, 0, v158
	v_and_b32_e32 v39, v39, v160
	v_not_b32_e32 v158, v159
	v_ashrrev_i32_e32 v157, 31, v157
	v_xor_b32_e32 v155, s23, v155
	v_cmp_gt_i32_e64 s23, 0, v159
	v_and_b32_e32 v39, v39, v154
	v_not_b32_e32 v154, v156
	v_ashrrev_i32_e32 v158, 31, v158
	v_xor_b32_e32 v157, vcc_lo, v157
	v_cmp_gt_i32_e32 vcc_lo, 0, v156
	v_and_b32_e32 v39, v39, v155
	v_ashrrev_i32_e32 v154, 31, v154
	v_xor_b32_e32 v155, s23, v158
	v_mad_u32_u24 v156, v40, 36, v116
	v_mul_u32_u24_e32 v40, 36, v40
	v_and_b32_e32 v39, v39, v157
	v_xor_b32_e32 v157, vcc_lo, v154
	ds_read_b32 v154, v156 offset:544
	v_and_b32_e32 v39, v39, v155
	; wave barrier
	v_and_b32_e32 v39, v39, v157
	v_add_nc_u32_e32 v157, v116, v40
	v_mbcnt_lo_u32_b32 v155, v39, 0
	v_cmp_ne_u32_e64 s23, 0, v39
	v_cmp_eq_u32_e32 vcc_lo, 0, v155
	s_and_b32 s24, s23, vcc_lo
	s_and_saveexec_b32 s23, s24
	s_cbranch_execz .LBB427_1069
; %bb.1068:                             ;   in Loop: Header=BB427_1040 Depth=2
	s_waitcnt lgkmcnt(0)
	v_bcnt_u32_b32 v39, v39, v154
	ds_write_b32 v157, v39 offset:544
.LBB427_1069:                           ;   in Loop: Header=BB427_1040 Depth=2
	s_or_b32 exec_lo, exec_lo, s23
	v_lshrrev_b32_e32 v156, 24, v148
	; wave barrier
	v_lshrrev_b32_e32 v39, s41, v156
	v_and_b32_e32 v40, s62, v39
	v_and_b32_e32 v39, 1, v40
	v_lshlrev_b32_e32 v158, 30, v40
	v_lshlrev_b32_e32 v159, 29, v40
	;; [unrolled: 1-line block ×4, first 2 shown]
	v_add_co_u32 v39, s23, v39, -1
	v_cndmask_b32_e64 v160, 0, 1, s23
	v_not_b32_e32 v164, v158
	v_cmp_gt_i32_e64 s23, 0, v158
	v_not_b32_e32 v158, v159
	v_lshlrev_b32_e32 v163, 26, v40
	v_cmp_ne_u32_e32 vcc_lo, 0, v160
	v_ashrrev_i32_e32 v164, 31, v164
	v_lshlrev_b32_e32 v160, 25, v40
	v_ashrrev_i32_e32 v158, 31, v158
	v_xor_b32_e32 v39, vcc_lo, v39
	v_cmp_gt_i32_e32 vcc_lo, 0, v159
	v_not_b32_e32 v159, v161
	v_xor_b32_e32 v164, s23, v164
	v_cmp_gt_i32_e64 s23, 0, v161
	v_and_b32_e32 v39, exec_lo, v39
	v_not_b32_e32 v161, v162
	v_ashrrev_i32_e32 v159, 31, v159
	v_xor_b32_e32 v158, vcc_lo, v158
	v_cmp_gt_i32_e32 vcc_lo, 0, v162
	v_and_b32_e32 v39, v39, v164
	v_not_b32_e32 v162, v163
	v_ashrrev_i32_e32 v161, 31, v161
	v_xor_b32_e32 v159, s23, v159
	v_cmp_gt_i32_e64 s23, 0, v163
	v_and_b32_e32 v39, v39, v158
	v_not_b32_e32 v158, v160
	v_ashrrev_i32_e32 v162, 31, v162
	v_xor_b32_e32 v161, vcc_lo, v161
	v_cmp_gt_i32_e32 vcc_lo, 0, v160
	v_and_b32_e32 v39, v39, v159
	v_ashrrev_i32_e32 v158, 31, v158
	v_xor_b32_e32 v159, s23, v162
	v_mad_u32_u24 v160, v40, 36, v116
	v_mul_u32_u24_e32 v40, 36, v40
	v_and_b32_e32 v39, v39, v161
	v_xor_b32_e32 v161, vcc_lo, v158
	ds_read_b32 v158, v160 offset:544
	v_add_nc_u32_e32 v160, v116, v40
	v_and_b32_e32 v39, v39, v159
	; wave barrier
	v_and_b32_e32 v39, v39, v161
	v_mbcnt_lo_u32_b32 v159, v39, 0
	v_cmp_ne_u32_e64 s23, 0, v39
	v_cmp_eq_u32_e32 vcc_lo, 0, v159
	s_and_b32 s24, s23, vcc_lo
	s_and_saveexec_b32 s23, s24
	s_cbranch_execz .LBB427_1071
; %bb.1070:                             ;   in Loop: Header=BB427_1040 Depth=2
	s_waitcnt lgkmcnt(0)
	v_bcnt_u32_b32 v39, v39, v158
	ds_write_b32 v160, v39 offset:544
.LBB427_1071:                           ;   in Loop: Header=BB427_1040 Depth=2
	s_or_b32 exec_lo, exec_lo, s23
	v_xor_b32_e32 v39, 0x80, v150
	; wave barrier
	v_and_b32_sdwa v40, v92, v39 dst_sel:DWORD dst_unused:UNUSED_PAD src0_sel:DWORD src1_sel:BYTE_0
	v_lshrrev_b32_e32 v40, s41, v40
	v_and_b32_e32 v162, s62, v40
	v_and_b32_e32 v40, 1, v162
	v_lshlrev_b32_e32 v150, 30, v162
	v_lshlrev_b32_e32 v161, 29, v162
	v_lshlrev_b32_e32 v164, 28, v162
	v_lshlrev_b32_e32 v165, 27, v162
	v_add_co_u32 v40, s23, v40, -1
	v_cndmask_b32_e64 v163, 0, 1, s23
	v_not_b32_e32 v167, v150
	v_cmp_gt_i32_e64 s23, 0, v150
	v_not_b32_e32 v150, v161
	v_lshlrev_b32_e32 v166, 26, v162
	v_cmp_ne_u32_e32 vcc_lo, 0, v163
	v_ashrrev_i32_e32 v167, 31, v167
	v_lshlrev_b32_e32 v163, 25, v162
	v_ashrrev_i32_e32 v150, 31, v150
	v_xor_b32_e32 v40, vcc_lo, v40
	v_cmp_gt_i32_e32 vcc_lo, 0, v161
	v_not_b32_e32 v161, v164
	v_xor_b32_e32 v167, s23, v167
	v_cmp_gt_i32_e64 s23, 0, v164
	v_and_b32_e32 v40, exec_lo, v40
	v_not_b32_e32 v164, v165
	v_ashrrev_i32_e32 v161, 31, v161
	v_xor_b32_e32 v150, vcc_lo, v150
	v_cmp_gt_i32_e32 vcc_lo, 0, v165
	v_and_b32_e32 v40, v40, v167
	v_not_b32_e32 v165, v166
	v_ashrrev_i32_e32 v164, 31, v164
	v_xor_b32_e32 v161, s23, v161
	v_cmp_gt_i32_e64 s23, 0, v166
	v_and_b32_e32 v40, v40, v150
	v_not_b32_e32 v150, v163
	v_ashrrev_i32_e32 v165, 31, v165
	v_xor_b32_e32 v164, vcc_lo, v164
	v_cmp_gt_i32_e32 vcc_lo, 0, v163
	v_and_b32_e32 v40, v40, v161
	v_ashrrev_i32_e32 v150, 31, v150
	v_xor_b32_e32 v161, s23, v165
	v_mad_u32_u24 v163, v162, 36, v116
	v_mul_u32_u24_e32 v162, 36, v162
	v_and_b32_e32 v40, v40, v164
	v_xor_b32_e32 v164, vcc_lo, v150
	ds_read_b32 v150, v163 offset:544
	v_add_nc_u32_e32 v162, v116, v162
	v_and_b32_e32 v40, v40, v161
	; wave barrier
	v_and_b32_e32 v40, v40, v164
	v_mbcnt_lo_u32_b32 v161, v40, 0
	v_cmp_ne_u32_e64 s23, 0, v40
	v_cmp_eq_u32_e32 vcc_lo, 0, v161
	s_and_b32 s24, s23, vcc_lo
	s_and_saveexec_b32 s23, s24
	s_cbranch_execz .LBB427_1073
; %bb.1072:                             ;   in Loop: Header=BB427_1040 Depth=2
	s_waitcnt lgkmcnt(0)
	v_bcnt_u32_b32 v40, v40, v150
	ds_write_b32 v162, v40 offset:544
.LBB427_1073:                           ;   in Loop: Header=BB427_1040 Depth=2
	s_or_b32 exec_lo, exec_lo, s23
	v_xor_b32_sdwa v40, v143, v93 dst_sel:BYTE_1 dst_unused:UNUSED_PAD src0_sel:DWORD src1_sel:DWORD
	v_xor_b32_e32 v144, 0x80, v144
	v_xor_b32_sdwa v145, v145, v93 dst_sel:BYTE_1 dst_unused:UNUSED_PAD src0_sel:DWORD src1_sel:DWORD
	; wave barrier
	v_or_b32_sdwa v143, v39, v40 dst_sel:DWORD dst_unused:UNUSED_PAD src0_sel:BYTE_0 src1_sel:DWORD
	v_or_b32_sdwa v39, v144, v145 dst_sel:WORD_1 dst_unused:UNUSED_PAD src0_sel:BYTE_0 src1_sel:DWORD
	v_or_b32_sdwa v144, v143, v39 dst_sel:DWORD dst_unused:UNUSED_PAD src0_sel:WORD_0 src1_sel:DWORD
	v_lshrrev_b32_sdwa v39, s41, v144 dst_sel:DWORD dst_unused:UNUSED_PAD src0_sel:DWORD src1_sel:BYTE_1
	v_and_b32_e32 v40, s62, v39
	v_and_b32_e32 v39, 1, v40
	v_lshlrev_b32_e32 v145, 30, v40
	v_lshlrev_b32_e32 v163, 29, v40
	;; [unrolled: 1-line block ×4, first 2 shown]
	v_add_co_u32 v39, s23, v39, -1
	v_cndmask_b32_e64 v164, 0, 1, s23
	v_not_b32_e32 v168, v145
	v_cmp_gt_i32_e64 s23, 0, v145
	v_not_b32_e32 v145, v163
	v_lshlrev_b32_e32 v167, 26, v40
	v_cmp_ne_u32_e32 vcc_lo, 0, v164
	v_ashrrev_i32_e32 v168, 31, v168
	v_lshlrev_b32_e32 v164, 25, v40
	v_ashrrev_i32_e32 v145, 31, v145
	v_xor_b32_e32 v39, vcc_lo, v39
	v_cmp_gt_i32_e32 vcc_lo, 0, v163
	v_not_b32_e32 v163, v165
	v_xor_b32_e32 v168, s23, v168
	v_cmp_gt_i32_e64 s23, 0, v165
	v_and_b32_e32 v39, exec_lo, v39
	v_not_b32_e32 v165, v166
	v_ashrrev_i32_e32 v163, 31, v163
	v_xor_b32_e32 v145, vcc_lo, v145
	v_cmp_gt_i32_e32 vcc_lo, 0, v166
	v_and_b32_e32 v39, v39, v168
	v_not_b32_e32 v166, v167
	v_ashrrev_i32_e32 v165, 31, v165
	v_xor_b32_e32 v163, s23, v163
	v_cmp_gt_i32_e64 s23, 0, v167
	v_and_b32_e32 v39, v39, v145
	v_not_b32_e32 v145, v164
	v_ashrrev_i32_e32 v166, 31, v166
	v_xor_b32_e32 v165, vcc_lo, v165
	v_cmp_gt_i32_e32 vcc_lo, 0, v164
	v_and_b32_e32 v39, v39, v163
	v_ashrrev_i32_e32 v145, 31, v145
	v_xor_b32_e32 v163, s23, v166
	v_mad_u32_u24 v164, v40, 36, v116
	v_mul_u32_u24_e32 v40, 36, v40
	v_and_b32_e32 v39, v39, v165
	v_xor_b32_e32 v165, vcc_lo, v145
	ds_read_b32 v145, v164 offset:544
	v_add_nc_u32_e32 v164, v116, v40
	v_and_b32_e32 v39, v39, v163
	; wave barrier
	v_and_b32_e32 v39, v39, v165
	v_mbcnt_lo_u32_b32 v163, v39, 0
	v_cmp_ne_u32_e64 s23, 0, v39
	v_cmp_eq_u32_e32 vcc_lo, 0, v163
	s_and_b32 s24, s23, vcc_lo
	s_and_saveexec_b32 s23, s24
	s_cbranch_execz .LBB427_1075
; %bb.1074:                             ;   in Loop: Header=BB427_1040 Depth=2
	s_waitcnt lgkmcnt(0)
	v_bcnt_u32_b32 v39, v39, v145
	ds_write_b32 v164, v39 offset:544
.LBB427_1075:                           ;   in Loop: Header=BB427_1040 Depth=2
	s_or_b32 exec_lo, exec_lo, s23
	v_lshrrev_b32_sdwa v39, s41, v144 dst_sel:DWORD dst_unused:UNUSED_PAD src0_sel:DWORD src1_sel:BYTE_2
	; wave barrier
	v_and_b32_e32 v40, s62, v39
	v_and_b32_e32 v39, 1, v40
	v_lshlrev_b32_e32 v165, 30, v40
	v_lshlrev_b32_e32 v166, 29, v40
	;; [unrolled: 1-line block ×4, first 2 shown]
	v_add_co_u32 v39, s23, v39, -1
	v_cndmask_b32_e64 v167, 0, 1, s23
	v_not_b32_e32 v171, v165
	v_cmp_gt_i32_e64 s23, 0, v165
	v_not_b32_e32 v165, v166
	v_lshlrev_b32_e32 v170, 26, v40
	v_cmp_ne_u32_e32 vcc_lo, 0, v167
	v_ashrrev_i32_e32 v171, 31, v171
	v_lshlrev_b32_e32 v167, 25, v40
	v_ashrrev_i32_e32 v165, 31, v165
	v_xor_b32_e32 v39, vcc_lo, v39
	v_cmp_gt_i32_e32 vcc_lo, 0, v166
	v_not_b32_e32 v166, v168
	v_xor_b32_e32 v171, s23, v171
	v_cmp_gt_i32_e64 s23, 0, v168
	v_and_b32_e32 v39, exec_lo, v39
	v_not_b32_e32 v168, v169
	v_ashrrev_i32_e32 v166, 31, v166
	v_xor_b32_e32 v165, vcc_lo, v165
	v_cmp_gt_i32_e32 vcc_lo, 0, v169
	v_and_b32_e32 v39, v39, v171
	v_not_b32_e32 v169, v170
	v_ashrrev_i32_e32 v168, 31, v168
	v_xor_b32_e32 v166, s23, v166
	v_cmp_gt_i32_e64 s23, 0, v170
	v_and_b32_e32 v39, v39, v165
	v_not_b32_e32 v165, v167
	v_ashrrev_i32_e32 v169, 31, v169
	v_xor_b32_e32 v168, vcc_lo, v168
	v_cmp_gt_i32_e32 vcc_lo, 0, v167
	v_and_b32_e32 v39, v39, v166
	v_ashrrev_i32_e32 v165, 31, v165
	v_xor_b32_e32 v166, s23, v169
	v_mad_u32_u24 v167, v40, 36, v116
	v_mul_u32_u24_e32 v40, 36, v40
	v_and_b32_e32 v39, v39, v168
	v_xor_b32_e32 v168, vcc_lo, v165
	ds_read_b32 v165, v167 offset:544
	v_and_b32_e32 v39, v39, v166
	; wave barrier
	v_and_b32_e32 v39, v39, v168
	v_add_nc_u32_e32 v168, v116, v40
	v_mbcnt_lo_u32_b32 v166, v39, 0
	v_cmp_ne_u32_e64 s23, 0, v39
	v_cmp_eq_u32_e32 vcc_lo, 0, v166
	s_and_b32 s24, s23, vcc_lo
	s_and_saveexec_b32 s23, s24
	s_cbranch_execz .LBB427_1077
; %bb.1076:                             ;   in Loop: Header=BB427_1040 Depth=2
	s_waitcnt lgkmcnt(0)
	v_bcnt_u32_b32 v39, v39, v165
	ds_write_b32 v168, v39 offset:544
.LBB427_1077:                           ;   in Loop: Header=BB427_1040 Depth=2
	s_or_b32 exec_lo, exec_lo, s23
	v_lshrrev_b32_e32 v167, 24, v144
	; wave barrier
	v_lshrrev_b32_e32 v39, s41, v167
	v_and_b32_e32 v40, s62, v39
	v_and_b32_e32 v39, 1, v40
	v_lshlrev_b32_e32 v169, 30, v40
	v_lshlrev_b32_e32 v170, 29, v40
	;; [unrolled: 1-line block ×4, first 2 shown]
	v_add_co_u32 v39, s23, v39, -1
	v_cndmask_b32_e64 v171, 0, 1, s23
	v_not_b32_e32 v175, v169
	v_cmp_gt_i32_e64 s23, 0, v169
	v_not_b32_e32 v169, v170
	v_lshlrev_b32_e32 v174, 26, v40
	v_cmp_ne_u32_e32 vcc_lo, 0, v171
	v_ashrrev_i32_e32 v175, 31, v175
	v_lshlrev_b32_e32 v171, 25, v40
	v_ashrrev_i32_e32 v169, 31, v169
	v_xor_b32_e32 v39, vcc_lo, v39
	v_cmp_gt_i32_e32 vcc_lo, 0, v170
	v_not_b32_e32 v170, v172
	v_xor_b32_e32 v175, s23, v175
	v_cmp_gt_i32_e64 s23, 0, v172
	v_and_b32_e32 v39, exec_lo, v39
	v_not_b32_e32 v172, v173
	v_ashrrev_i32_e32 v170, 31, v170
	v_xor_b32_e32 v169, vcc_lo, v169
	v_cmp_gt_i32_e32 vcc_lo, 0, v173
	v_and_b32_e32 v39, v39, v175
	v_not_b32_e32 v173, v174
	v_ashrrev_i32_e32 v172, 31, v172
	v_xor_b32_e32 v170, s23, v170
	v_cmp_gt_i32_e64 s23, 0, v174
	v_and_b32_e32 v39, v39, v169
	v_not_b32_e32 v169, v171
	v_ashrrev_i32_e32 v173, 31, v173
	v_xor_b32_e32 v172, vcc_lo, v172
	v_cmp_gt_i32_e32 vcc_lo, 0, v171
	v_and_b32_e32 v39, v39, v170
	v_ashrrev_i32_e32 v169, 31, v169
	v_xor_b32_e32 v170, s23, v173
	v_mad_u32_u24 v171, v40, 36, v116
	v_mul_u32_u24_e32 v40, 36, v40
	v_and_b32_e32 v39, v39, v172
	v_xor_b32_e32 v172, vcc_lo, v169
	ds_read_b32 v169, v171 offset:544
	v_add_nc_u32_e32 v171, v116, v40
	v_and_b32_e32 v39, v39, v170
	; wave barrier
	v_and_b32_e32 v39, v39, v172
	v_mbcnt_lo_u32_b32 v170, v39, 0
	v_cmp_ne_u32_e64 s23, 0, v39
	v_cmp_eq_u32_e32 vcc_lo, 0, v170
	s_and_b32 s24, s23, vcc_lo
	s_and_saveexec_b32 s23, s24
	s_cbranch_execz .LBB427_1079
; %bb.1078:                             ;   in Loop: Header=BB427_1040 Depth=2
	s_waitcnt lgkmcnt(0)
	v_bcnt_u32_b32 v39, v39, v169
	ds_write_b32 v171, v39 offset:544
.LBB427_1079:                           ;   in Loop: Header=BB427_1040 Depth=2
	s_or_b32 exec_lo, exec_lo, s23
	v_xor_b32_e32 v39, 0x80, v142
	; wave barrier
	v_and_b32_sdwa v40, v92, v39 dst_sel:DWORD dst_unused:UNUSED_PAD src0_sel:DWORD src1_sel:BYTE_0
	v_lshrrev_b32_e32 v40, s41, v40
	v_and_b32_e32 v173, s62, v40
	v_and_b32_e32 v40, 1, v173
	v_lshlrev_b32_e32 v142, 30, v173
	v_lshlrev_b32_e32 v172, 29, v173
	;; [unrolled: 1-line block ×4, first 2 shown]
	v_add_co_u32 v40, s23, v40, -1
	v_cndmask_b32_e64 v174, 0, 1, s23
	v_not_b32_e32 v178, v142
	v_cmp_gt_i32_e64 s23, 0, v142
	v_not_b32_e32 v142, v172
	v_lshlrev_b32_e32 v177, 26, v173
	v_cmp_ne_u32_e32 vcc_lo, 0, v174
	v_ashrrev_i32_e32 v178, 31, v178
	v_lshlrev_b32_e32 v174, 25, v173
	v_ashrrev_i32_e32 v142, 31, v142
	v_xor_b32_e32 v40, vcc_lo, v40
	v_cmp_gt_i32_e32 vcc_lo, 0, v172
	v_not_b32_e32 v172, v175
	v_xor_b32_e32 v178, s23, v178
	v_cmp_gt_i32_e64 s23, 0, v175
	v_and_b32_e32 v40, exec_lo, v40
	v_not_b32_e32 v175, v176
	v_ashrrev_i32_e32 v172, 31, v172
	v_xor_b32_e32 v142, vcc_lo, v142
	v_cmp_gt_i32_e32 vcc_lo, 0, v176
	v_and_b32_e32 v40, v40, v178
	v_not_b32_e32 v176, v177
	v_ashrrev_i32_e32 v175, 31, v175
	v_xor_b32_e32 v172, s23, v172
	v_cmp_gt_i32_e64 s23, 0, v177
	v_and_b32_e32 v40, v40, v142
	v_not_b32_e32 v142, v174
	v_ashrrev_i32_e32 v176, 31, v176
	v_xor_b32_e32 v175, vcc_lo, v175
	v_cmp_gt_i32_e32 vcc_lo, 0, v174
	v_and_b32_e32 v40, v40, v172
	v_ashrrev_i32_e32 v142, 31, v142
	v_xor_b32_e32 v172, s23, v176
	v_mad_u32_u24 v174, v173, 36, v116
	v_mul_u32_u24_e32 v173, 36, v173
	v_and_b32_e32 v40, v40, v175
	v_xor_b32_e32 v175, vcc_lo, v142
	ds_read_b32 v142, v174 offset:544
	v_add_nc_u32_e32 v173, v116, v173
	v_and_b32_e32 v40, v40, v172
	; wave barrier
	v_and_b32_e32 v40, v40, v175
	v_mbcnt_lo_u32_b32 v172, v40, 0
	v_cmp_ne_u32_e64 s23, 0, v40
	v_cmp_eq_u32_e32 vcc_lo, 0, v172
	s_and_b32 s24, s23, vcc_lo
	s_and_saveexec_b32 s23, s24
	s_cbranch_execz .LBB427_1081
; %bb.1080:                             ;   in Loop: Header=BB427_1040 Depth=2
	s_waitcnt lgkmcnt(0)
	v_bcnt_u32_b32 v40, v40, v142
	ds_write_b32 v173, v40 offset:544
.LBB427_1081:                           ;   in Loop: Header=BB427_1040 Depth=2
	s_or_b32 exec_lo, exec_lo, s23
	v_xor_b32_sdwa v40, v139, v93 dst_sel:BYTE_1 dst_unused:UNUSED_PAD src0_sel:DWORD src1_sel:DWORD
	v_xor_b32_e32 v140, 0x80, v140
	v_xor_b32_sdwa v141, v141, v93 dst_sel:BYTE_1 dst_unused:UNUSED_PAD src0_sel:DWORD src1_sel:DWORD
	; wave barrier
	v_or_b32_sdwa v139, v39, v40 dst_sel:DWORD dst_unused:UNUSED_PAD src0_sel:BYTE_0 src1_sel:DWORD
	v_or_b32_sdwa v39, v140, v141 dst_sel:WORD_1 dst_unused:UNUSED_PAD src0_sel:BYTE_0 src1_sel:DWORD
	v_or_b32_sdwa v140, v139, v39 dst_sel:DWORD dst_unused:UNUSED_PAD src0_sel:WORD_0 src1_sel:DWORD
	v_lshrrev_b32_sdwa v39, s41, v140 dst_sel:DWORD dst_unused:UNUSED_PAD src0_sel:DWORD src1_sel:BYTE_1
	v_and_b32_e32 v40, s62, v39
	v_and_b32_e32 v39, 1, v40
	v_lshlrev_b32_e32 v141, 30, v40
	v_lshlrev_b32_e32 v174, 29, v40
	;; [unrolled: 1-line block ×4, first 2 shown]
	v_add_co_u32 v39, s23, v39, -1
	v_cndmask_b32_e64 v175, 0, 1, s23
	v_not_b32_e32 v179, v141
	v_cmp_gt_i32_e64 s23, 0, v141
	v_not_b32_e32 v141, v174
	v_lshlrev_b32_e32 v178, 26, v40
	v_cmp_ne_u32_e32 vcc_lo, 0, v175
	v_ashrrev_i32_e32 v179, 31, v179
	v_lshlrev_b32_e32 v175, 25, v40
	v_ashrrev_i32_e32 v141, 31, v141
	v_xor_b32_e32 v39, vcc_lo, v39
	v_cmp_gt_i32_e32 vcc_lo, 0, v174
	v_not_b32_e32 v174, v176
	v_xor_b32_e32 v179, s23, v179
	v_cmp_gt_i32_e64 s23, 0, v176
	v_and_b32_e32 v39, exec_lo, v39
	v_not_b32_e32 v176, v177
	v_ashrrev_i32_e32 v174, 31, v174
	v_xor_b32_e32 v141, vcc_lo, v141
	v_cmp_gt_i32_e32 vcc_lo, 0, v177
	v_and_b32_e32 v39, v39, v179
	v_not_b32_e32 v177, v178
	v_ashrrev_i32_e32 v176, 31, v176
	v_xor_b32_e32 v174, s23, v174
	v_cmp_gt_i32_e64 s23, 0, v178
	v_and_b32_e32 v39, v39, v141
	v_not_b32_e32 v141, v175
	v_ashrrev_i32_e32 v177, 31, v177
	v_xor_b32_e32 v176, vcc_lo, v176
	v_cmp_gt_i32_e32 vcc_lo, 0, v175
	v_and_b32_e32 v39, v39, v174
	v_ashrrev_i32_e32 v141, 31, v141
	v_xor_b32_e32 v174, s23, v177
	v_mad_u32_u24 v175, v40, 36, v116
	v_mul_u32_u24_e32 v40, 36, v40
	v_and_b32_e32 v39, v39, v176
	v_xor_b32_e32 v176, vcc_lo, v141
	ds_read_b32 v141, v175 offset:544
	v_add_nc_u32_e32 v175, v116, v40
	v_and_b32_e32 v39, v39, v174
	; wave barrier
	v_and_b32_e32 v39, v39, v176
	v_mbcnt_lo_u32_b32 v174, v39, 0
	v_cmp_ne_u32_e64 s23, 0, v39
	v_cmp_eq_u32_e32 vcc_lo, 0, v174
	s_and_b32 s24, s23, vcc_lo
	s_and_saveexec_b32 s23, s24
	s_cbranch_execz .LBB427_1083
; %bb.1082:                             ;   in Loop: Header=BB427_1040 Depth=2
	s_waitcnt lgkmcnt(0)
	v_bcnt_u32_b32 v39, v39, v141
	ds_write_b32 v175, v39 offset:544
.LBB427_1083:                           ;   in Loop: Header=BB427_1040 Depth=2
	s_or_b32 exec_lo, exec_lo, s23
	v_lshrrev_b32_sdwa v39, s41, v140 dst_sel:DWORD dst_unused:UNUSED_PAD src0_sel:DWORD src1_sel:BYTE_2
	; wave barrier
	v_and_b32_e32 v40, s62, v39
	v_and_b32_e32 v39, 1, v40
	v_lshlrev_b32_e32 v176, 30, v40
	v_lshlrev_b32_e32 v177, 29, v40
	;; [unrolled: 1-line block ×4, first 2 shown]
	v_add_co_u32 v39, s23, v39, -1
	v_cndmask_b32_e64 v178, 0, 1, s23
	v_not_b32_e32 v182, v176
	v_cmp_gt_i32_e64 s23, 0, v176
	v_not_b32_e32 v176, v177
	v_lshlrev_b32_e32 v181, 26, v40
	v_cmp_ne_u32_e32 vcc_lo, 0, v178
	v_ashrrev_i32_e32 v182, 31, v182
	v_lshlrev_b32_e32 v178, 25, v40
	v_ashrrev_i32_e32 v176, 31, v176
	v_xor_b32_e32 v39, vcc_lo, v39
	v_cmp_gt_i32_e32 vcc_lo, 0, v177
	v_not_b32_e32 v177, v179
	v_xor_b32_e32 v182, s23, v182
	v_cmp_gt_i32_e64 s23, 0, v179
	v_and_b32_e32 v39, exec_lo, v39
	v_not_b32_e32 v179, v180
	v_ashrrev_i32_e32 v177, 31, v177
	v_xor_b32_e32 v176, vcc_lo, v176
	v_cmp_gt_i32_e32 vcc_lo, 0, v180
	v_and_b32_e32 v39, v39, v182
	v_not_b32_e32 v180, v181
	v_ashrrev_i32_e32 v179, 31, v179
	v_xor_b32_e32 v177, s23, v177
	v_cmp_gt_i32_e64 s23, 0, v181
	v_and_b32_e32 v39, v39, v176
	v_not_b32_e32 v176, v178
	v_ashrrev_i32_e32 v180, 31, v180
	v_xor_b32_e32 v179, vcc_lo, v179
	v_cmp_gt_i32_e32 vcc_lo, 0, v178
	v_and_b32_e32 v39, v39, v177
	v_ashrrev_i32_e32 v176, 31, v176
	v_xor_b32_e32 v177, s23, v180
	v_mad_u32_u24 v178, v40, 36, v116
	v_mul_u32_u24_e32 v40, 36, v40
	v_and_b32_e32 v39, v39, v179
	v_xor_b32_e32 v179, vcc_lo, v176
	ds_read_b32 v176, v178 offset:544
	v_and_b32_e32 v39, v39, v177
	; wave barrier
	v_and_b32_e32 v39, v39, v179
	v_add_nc_u32_e32 v179, v116, v40
	v_mbcnt_lo_u32_b32 v177, v39, 0
	v_cmp_ne_u32_e64 s23, 0, v39
	v_cmp_eq_u32_e32 vcc_lo, 0, v177
	s_and_b32 s24, s23, vcc_lo
	s_and_saveexec_b32 s23, s24
	s_cbranch_execz .LBB427_1085
; %bb.1084:                             ;   in Loop: Header=BB427_1040 Depth=2
	s_waitcnt lgkmcnt(0)
	v_bcnt_u32_b32 v39, v39, v176
	ds_write_b32 v179, v39 offset:544
.LBB427_1085:                           ;   in Loop: Header=BB427_1040 Depth=2
	s_or_b32 exec_lo, exec_lo, s23
	v_lshrrev_b32_e32 v178, 24, v140
	; wave barrier
	v_lshrrev_b32_e32 v39, s41, v178
	v_and_b32_e32 v40, s62, v39
	v_and_b32_e32 v39, 1, v40
	v_lshlrev_b32_e32 v180, 30, v40
	v_lshlrev_b32_e32 v181, 29, v40
	;; [unrolled: 1-line block ×4, first 2 shown]
	v_add_co_u32 v39, s23, v39, -1
	v_cndmask_b32_e64 v182, 0, 1, s23
	v_not_b32_e32 v186, v180
	v_cmp_gt_i32_e64 s23, 0, v180
	v_not_b32_e32 v180, v181
	v_lshlrev_b32_e32 v185, 26, v40
	v_cmp_ne_u32_e32 vcc_lo, 0, v182
	v_ashrrev_i32_e32 v186, 31, v186
	v_lshlrev_b32_e32 v182, 25, v40
	v_ashrrev_i32_e32 v180, 31, v180
	v_xor_b32_e32 v39, vcc_lo, v39
	v_cmp_gt_i32_e32 vcc_lo, 0, v181
	v_not_b32_e32 v181, v183
	v_xor_b32_e32 v186, s23, v186
	v_cmp_gt_i32_e64 s23, 0, v183
	v_and_b32_e32 v39, exec_lo, v39
	v_not_b32_e32 v183, v184
	v_ashrrev_i32_e32 v181, 31, v181
	v_xor_b32_e32 v180, vcc_lo, v180
	v_cmp_gt_i32_e32 vcc_lo, 0, v184
	v_and_b32_e32 v39, v39, v186
	v_not_b32_e32 v184, v185
	v_ashrrev_i32_e32 v183, 31, v183
	v_xor_b32_e32 v181, s23, v181
	v_cmp_gt_i32_e64 s23, 0, v185
	v_and_b32_e32 v39, v39, v180
	v_not_b32_e32 v180, v182
	v_ashrrev_i32_e32 v184, 31, v184
	v_xor_b32_e32 v183, vcc_lo, v183
	v_cmp_gt_i32_e32 vcc_lo, 0, v182
	v_and_b32_e32 v39, v39, v181
	v_ashrrev_i32_e32 v180, 31, v180
	v_xor_b32_e32 v181, s23, v184
	v_mad_u32_u24 v182, v40, 36, v116
	v_mul_u32_u24_e32 v40, 36, v40
	v_and_b32_e32 v39, v39, v183
	v_xor_b32_e32 v183, vcc_lo, v180
	ds_read_b32 v180, v182 offset:544
	v_add_nc_u32_e32 v182, v116, v40
	v_and_b32_e32 v39, v39, v181
	; wave barrier
	v_and_b32_e32 v39, v39, v183
	v_mbcnt_lo_u32_b32 v181, v39, 0
	v_cmp_ne_u32_e64 s23, 0, v39
	v_cmp_eq_u32_e32 vcc_lo, 0, v181
	s_and_b32 s24, s23, vcc_lo
	s_and_saveexec_b32 s23, s24
	s_cbranch_execz .LBB427_1087
; %bb.1086:                             ;   in Loop: Header=BB427_1040 Depth=2
	s_waitcnt lgkmcnt(0)
	v_bcnt_u32_b32 v39, v39, v180
	ds_write_b32 v182, v39 offset:544
.LBB427_1087:                           ;   in Loop: Header=BB427_1040 Depth=2
	s_or_b32 exec_lo, exec_lo, s23
	v_xor_b32_e32 v39, 0x80, v137
	; wave barrier
	v_and_b32_sdwa v40, v92, v39 dst_sel:DWORD dst_unused:UNUSED_PAD src0_sel:DWORD src1_sel:BYTE_0
	v_lshrrev_b32_e32 v40, s41, v40
	v_and_b32_e32 v184, s62, v40
	v_and_b32_e32 v40, 1, v184
	v_lshlrev_b32_e32 v137, 30, v184
	v_lshlrev_b32_e32 v183, 29, v184
	;; [unrolled: 1-line block ×4, first 2 shown]
	v_add_co_u32 v40, s23, v40, -1
	v_cndmask_b32_e64 v185, 0, 1, s23
	v_not_b32_e32 v189, v137
	v_cmp_gt_i32_e64 s23, 0, v137
	v_not_b32_e32 v137, v183
	v_lshlrev_b32_e32 v188, 26, v184
	v_cmp_ne_u32_e32 vcc_lo, 0, v185
	v_ashrrev_i32_e32 v189, 31, v189
	v_lshlrev_b32_e32 v185, 25, v184
	v_ashrrev_i32_e32 v137, 31, v137
	v_xor_b32_e32 v40, vcc_lo, v40
	v_cmp_gt_i32_e32 vcc_lo, 0, v183
	v_not_b32_e32 v183, v186
	v_xor_b32_e32 v189, s23, v189
	v_cmp_gt_i32_e64 s23, 0, v186
	v_and_b32_e32 v40, exec_lo, v40
	v_not_b32_e32 v186, v187
	v_ashrrev_i32_e32 v183, 31, v183
	v_xor_b32_e32 v137, vcc_lo, v137
	v_cmp_gt_i32_e32 vcc_lo, 0, v187
	v_and_b32_e32 v40, v40, v189
	v_not_b32_e32 v187, v188
	v_ashrrev_i32_e32 v186, 31, v186
	v_xor_b32_e32 v183, s23, v183
	v_cmp_gt_i32_e64 s23, 0, v188
	v_and_b32_e32 v40, v40, v137
	v_not_b32_e32 v137, v185
	v_ashrrev_i32_e32 v187, 31, v187
	v_xor_b32_e32 v186, vcc_lo, v186
	v_cmp_gt_i32_e32 vcc_lo, 0, v185
	v_and_b32_e32 v40, v40, v183
	v_ashrrev_i32_e32 v137, 31, v137
	v_xor_b32_e32 v183, s23, v187
	v_mad_u32_u24 v185, v184, 36, v116
	v_mul_u32_u24_e32 v184, 36, v184
	v_and_b32_e32 v40, v40, v186
	v_xor_b32_e32 v186, vcc_lo, v137
	ds_read_b32 v137, v185 offset:544
	v_add_nc_u32_e32 v185, v116, v184
	v_and_b32_e32 v40, v40, v183
	; wave barrier
	v_and_b32_e32 v40, v40, v186
	v_mbcnt_lo_u32_b32 v183, v40, 0
	v_cmp_ne_u32_e64 s23, 0, v40
	v_cmp_eq_u32_e32 vcc_lo, 0, v183
	s_and_b32 s24, s23, vcc_lo
	s_and_saveexec_b32 s23, s24
	s_cbranch_execz .LBB427_1089
; %bb.1088:                             ;   in Loop: Header=BB427_1040 Depth=2
	s_waitcnt lgkmcnt(0)
	v_bcnt_u32_b32 v40, v40, v137
	ds_write_b32 v185, v40 offset:544
.LBB427_1089:                           ;   in Loop: Header=BB427_1040 Depth=2
	s_or_b32 exec_lo, exec_lo, s23
	v_xor_b32_sdwa v3, v3, v93 dst_sel:BYTE_1 dst_unused:UNUSED_PAD src0_sel:DWORD src1_sel:DWORD
	v_xor_b32_e32 v40, 0x80, v41
	v_xor_b32_sdwa v41, v42, v93 dst_sel:BYTE_1 dst_unused:UNUSED_PAD src0_sel:DWORD src1_sel:DWORD
	; wave barrier
	v_or_b32_sdwa v184, v39, v3 dst_sel:DWORD dst_unused:UNUSED_PAD src0_sel:BYTE_0 src1_sel:DWORD
	v_or_b32_sdwa v3, v40, v41 dst_sel:WORD_1 dst_unused:UNUSED_PAD src0_sel:BYTE_0 src1_sel:DWORD
	v_or_b32_sdwa v3, v184, v3 dst_sel:DWORD dst_unused:UNUSED_PAD src0_sel:WORD_0 src1_sel:DWORD
	v_lshrrev_b32_sdwa v39, s41, v3 dst_sel:DWORD dst_unused:UNUSED_PAD src0_sel:DWORD src1_sel:BYTE_1
	v_and_b32_e32 v40, s62, v39
	v_and_b32_e32 v39, 1, v40
	v_lshlrev_b32_e32 v41, 30, v40
	v_lshlrev_b32_e32 v42, 29, v40
	;; [unrolled: 1-line block ×4, first 2 shown]
	v_add_co_u32 v39, s23, v39, -1
	v_cndmask_b32_e64 v186, 0, 1, s23
	v_not_b32_e32 v190, v41
	v_cmp_gt_i32_e64 s23, 0, v41
	v_not_b32_e32 v41, v42
	v_lshlrev_b32_e32 v189, 26, v40
	v_cmp_ne_u32_e32 vcc_lo, 0, v186
	v_ashrrev_i32_e32 v190, 31, v190
	v_lshlrev_b32_e32 v186, 25, v40
	v_ashrrev_i32_e32 v41, 31, v41
	v_xor_b32_e32 v39, vcc_lo, v39
	v_cmp_gt_i32_e32 vcc_lo, 0, v42
	v_not_b32_e32 v42, v187
	v_xor_b32_e32 v190, s23, v190
	v_cmp_gt_i32_e64 s23, 0, v187
	v_and_b32_e32 v39, exec_lo, v39
	v_not_b32_e32 v187, v188
	v_ashrrev_i32_e32 v42, 31, v42
	v_xor_b32_e32 v41, vcc_lo, v41
	v_cmp_gt_i32_e32 vcc_lo, 0, v188
	v_and_b32_e32 v39, v39, v190
	v_not_b32_e32 v188, v189
	v_ashrrev_i32_e32 v187, 31, v187
	v_xor_b32_e32 v42, s23, v42
	v_cmp_gt_i32_e64 s23, 0, v189
	v_and_b32_e32 v39, v39, v41
	v_not_b32_e32 v41, v186
	v_ashrrev_i32_e32 v188, 31, v188
	v_xor_b32_e32 v187, vcc_lo, v187
	v_cmp_gt_i32_e32 vcc_lo, 0, v186
	v_and_b32_e32 v39, v39, v42
	v_ashrrev_i32_e32 v41, 31, v41
	v_xor_b32_e32 v42, s23, v188
	v_mad_u32_u24 v186, v40, 36, v116
	v_mul_u32_u24_e32 v40, 36, v40
	v_and_b32_e32 v39, v39, v187
	v_xor_b32_e32 v41, vcc_lo, v41
	ds_read_b32 v186, v186 offset:544
	v_add_nc_u32_e32 v188, v116, v40
	v_and_b32_e32 v39, v39, v42
	; wave barrier
	v_and_b32_e32 v39, v39, v41
	v_mbcnt_lo_u32_b32 v187, v39, 0
	v_cmp_ne_u32_e64 s23, 0, v39
	v_cmp_eq_u32_e32 vcc_lo, 0, v187
	s_and_b32 s24, s23, vcc_lo
	s_and_saveexec_b32 s23, s24
	s_cbranch_execz .LBB427_1091
; %bb.1090:                             ;   in Loop: Header=BB427_1040 Depth=2
	s_waitcnt lgkmcnt(0)
	v_bcnt_u32_b32 v39, v39, v186
	ds_write_b32 v188, v39 offset:544
.LBB427_1091:                           ;   in Loop: Header=BB427_1040 Depth=2
	s_or_b32 exec_lo, exec_lo, s23
	v_lshrrev_b32_sdwa v39, s41, v3 dst_sel:DWORD dst_unused:UNUSED_PAD src0_sel:DWORD src1_sel:BYTE_2
	; wave barrier
	v_and_b32_e32 v40, s62, v39
	v_and_b32_e32 v39, 1, v40
	v_lshlrev_b32_e32 v41, 30, v40
	v_lshlrev_b32_e32 v42, 29, v40
	;; [unrolled: 1-line block ×4, first 2 shown]
	v_add_co_u32 v39, s23, v39, -1
	v_cndmask_b32_e64 v189, 0, 1, s23
	v_not_b32_e32 v193, v41
	v_cmp_gt_i32_e64 s23, 0, v41
	v_not_b32_e32 v41, v42
	v_lshlrev_b32_e32 v192, 26, v40
	v_cmp_ne_u32_e32 vcc_lo, 0, v189
	v_ashrrev_i32_e32 v193, 31, v193
	v_lshlrev_b32_e32 v189, 25, v40
	v_ashrrev_i32_e32 v41, 31, v41
	v_xor_b32_e32 v39, vcc_lo, v39
	v_cmp_gt_i32_e32 vcc_lo, 0, v42
	v_not_b32_e32 v42, v190
	v_xor_b32_e32 v193, s23, v193
	v_cmp_gt_i32_e64 s23, 0, v190
	v_and_b32_e32 v39, exec_lo, v39
	v_not_b32_e32 v190, v191
	v_ashrrev_i32_e32 v42, 31, v42
	v_xor_b32_e32 v41, vcc_lo, v41
	v_cmp_gt_i32_e32 vcc_lo, 0, v191
	v_and_b32_e32 v39, v39, v193
	v_not_b32_e32 v191, v192
	v_ashrrev_i32_e32 v190, 31, v190
	v_xor_b32_e32 v42, s23, v42
	v_cmp_gt_i32_e64 s23, 0, v192
	v_and_b32_e32 v39, v39, v41
	v_not_b32_e32 v41, v189
	v_ashrrev_i32_e32 v191, 31, v191
	v_xor_b32_e32 v190, vcc_lo, v190
	v_cmp_gt_i32_e32 vcc_lo, 0, v189
	v_and_b32_e32 v39, v39, v42
	v_ashrrev_i32_e32 v41, 31, v41
	v_xor_b32_e32 v42, s23, v191
	v_mad_u32_u24 v189, v40, 36, v116
	v_mul_u32_u24_e32 v40, 36, v40
	v_and_b32_e32 v39, v39, v190
	v_xor_b32_e32 v41, vcc_lo, v41
	ds_read_b32 v189, v189 offset:544
	v_add_nc_u32_e32 v192, v116, v40
	v_and_b32_e32 v39, v39, v42
	; wave barrier
	v_and_b32_e32 v39, v39, v41
	v_mbcnt_lo_u32_b32 v190, v39, 0
	v_cmp_ne_u32_e64 s23, 0, v39
	v_cmp_eq_u32_e32 vcc_lo, 0, v190
	s_and_b32 s24, s23, vcc_lo
	s_and_saveexec_b32 s23, s24
	s_cbranch_execz .LBB427_1093
; %bb.1092:                             ;   in Loop: Header=BB427_1040 Depth=2
	s_waitcnt lgkmcnt(0)
	v_bcnt_u32_b32 v39, v39, v189
	ds_write_b32 v192, v39 offset:544
.LBB427_1093:                           ;   in Loop: Header=BB427_1040 Depth=2
	s_or_b32 exec_lo, exec_lo, s23
	v_lshrrev_b32_e32 v191, 24, v3
	; wave barrier
	v_lshrrev_b32_e32 v39, s41, v191
	v_and_b32_e32 v40, s62, v39
	v_and_b32_e32 v39, 1, v40
	v_lshlrev_b32_e32 v41, 30, v40
	v_lshlrev_b32_e32 v42, 29, v40
	;; [unrolled: 1-line block ×4, first 2 shown]
	v_add_co_u32 v39, s23, v39, -1
	v_cndmask_b32_e64 v193, 0, 1, s23
	v_not_b32_e32 v197, v41
	v_cmp_gt_i32_e64 s23, 0, v41
	v_not_b32_e32 v41, v42
	v_lshlrev_b32_e32 v196, 26, v40
	v_cmp_ne_u32_e32 vcc_lo, 0, v193
	v_ashrrev_i32_e32 v197, 31, v197
	v_lshlrev_b32_e32 v193, 25, v40
	v_ashrrev_i32_e32 v41, 31, v41
	v_xor_b32_e32 v39, vcc_lo, v39
	v_cmp_gt_i32_e32 vcc_lo, 0, v42
	v_not_b32_e32 v42, v194
	v_xor_b32_e32 v197, s23, v197
	v_cmp_gt_i32_e64 s23, 0, v194
	v_and_b32_e32 v39, exec_lo, v39
	v_not_b32_e32 v194, v195
	v_ashrrev_i32_e32 v42, 31, v42
	v_xor_b32_e32 v41, vcc_lo, v41
	v_cmp_gt_i32_e32 vcc_lo, 0, v195
	v_and_b32_e32 v39, v39, v197
	v_not_b32_e32 v195, v196
	v_ashrrev_i32_e32 v194, 31, v194
	v_xor_b32_e32 v42, s23, v42
	v_cmp_gt_i32_e64 s23, 0, v196
	v_and_b32_e32 v39, v39, v41
	v_not_b32_e32 v41, v193
	v_ashrrev_i32_e32 v195, 31, v195
	v_xor_b32_e32 v194, vcc_lo, v194
	v_cmp_gt_i32_e32 vcc_lo, 0, v193
	v_and_b32_e32 v39, v39, v42
	v_ashrrev_i32_e32 v41, 31, v41
	v_xor_b32_e32 v42, s23, v195
	v_mad_u32_u24 v193, v40, 36, v116
	v_mul_u32_u24_e32 v40, 36, v40
	v_and_b32_e32 v39, v39, v194
	v_xor_b32_e32 v41, vcc_lo, v41
	ds_read_b32 v193, v193 offset:544
	v_add_nc_u32_e32 v195, v116, v40
	v_and_b32_e32 v39, v39, v42
	; wave barrier
	v_and_b32_e32 v39, v39, v41
	v_mbcnt_lo_u32_b32 v194, v39, 0
	v_cmp_ne_u32_e64 s23, 0, v39
	v_cmp_eq_u32_e32 vcc_lo, 0, v194
	s_and_b32 s24, s23, vcc_lo
	s_and_saveexec_b32 s23, s24
	s_cbranch_execz .LBB427_1095
; %bb.1094:                             ;   in Loop: Header=BB427_1040 Depth=2
	s_waitcnt lgkmcnt(0)
	v_bcnt_u32_b32 v39, v39, v193
	ds_write_b32 v195, v39 offset:544
.LBB427_1095:                           ;   in Loop: Header=BB427_1040 Depth=2
	s_or_b32 exec_lo, exec_lo, s23
	v_xor_b32_e32 v117, 0xffffff80, v117
	; wave barrier
	v_lshrrev_b32_sdwa v39, s41, v117 dst_sel:DWORD dst_unused:UNUSED_PAD src0_sel:DWORD src1_sel:BYTE_0
	v_and_b32_e32 v40, s62, v39
	v_and_b32_e32 v39, 1, v40
	v_lshlrev_b32_e32 v41, 30, v40
	v_lshlrev_b32_e32 v42, 29, v40
	;; [unrolled: 1-line block ×4, first 2 shown]
	v_add_co_u32 v39, s23, v39, -1
	v_cndmask_b32_e64 v196, 0, 1, s23
	v_not_b32_e32 v200, v41
	v_cmp_gt_i32_e64 s23, 0, v41
	v_not_b32_e32 v41, v42
	v_lshlrev_b32_e32 v199, 26, v40
	v_cmp_ne_u32_e32 vcc_lo, 0, v196
	v_ashrrev_i32_e32 v200, 31, v200
	v_lshlrev_b32_e32 v196, 25, v40
	v_ashrrev_i32_e32 v41, 31, v41
	v_xor_b32_e32 v39, vcc_lo, v39
	v_cmp_gt_i32_e32 vcc_lo, 0, v42
	v_not_b32_e32 v42, v197
	v_xor_b32_e32 v200, s23, v200
	v_cmp_gt_i32_e64 s23, 0, v197
	v_and_b32_e32 v39, exec_lo, v39
	v_not_b32_e32 v197, v198
	v_ashrrev_i32_e32 v42, 31, v42
	v_xor_b32_e32 v41, vcc_lo, v41
	v_cmp_gt_i32_e32 vcc_lo, 0, v198
	v_and_b32_e32 v39, v39, v200
	v_not_b32_e32 v198, v199
	v_ashrrev_i32_e32 v197, 31, v197
	v_xor_b32_e32 v42, s23, v42
	v_cmp_gt_i32_e64 s23, 0, v199
	v_and_b32_e32 v39, v39, v41
	v_not_b32_e32 v41, v196
	v_ashrrev_i32_e32 v198, 31, v198
	v_xor_b32_e32 v197, vcc_lo, v197
	v_cmp_gt_i32_e32 vcc_lo, 0, v196
	v_and_b32_e32 v39, v39, v42
	v_ashrrev_i32_e32 v41, 31, v41
	v_xor_b32_e32 v42, s23, v198
	v_mad_u32_u24 v196, v40, 36, v116
	v_mul_u32_u24_e32 v40, 36, v40
	v_and_b32_e32 v39, v39, v197
	v_xor_b32_e32 v41, vcc_lo, v41
	ds_read_b32 v196, v196 offset:544
	v_add_nc_u32_e32 v198, v116, v40
	v_and_b32_e32 v39, v39, v42
	; wave barrier
	v_and_b32_e32 v39, v39, v41
	v_mbcnt_lo_u32_b32 v197, v39, 0
	v_cmp_ne_u32_e64 s23, 0, v39
	v_cmp_eq_u32_e32 vcc_lo, 0, v197
	s_and_b32 s24, s23, vcc_lo
	s_and_saveexec_b32 s23, s24
	s_cbranch_execz .LBB427_1097
; %bb.1096:                             ;   in Loop: Header=BB427_1040 Depth=2
	s_waitcnt lgkmcnt(0)
	v_bcnt_u32_b32 v39, v39, v196
	ds_write_b32 v198, v39 offset:544
.LBB427_1097:                           ;   in Loop: Header=BB427_1040 Depth=2
	s_or_b32 exec_lo, exec_lo, s23
	; wave barrier
	s_waitcnt lgkmcnt(0)
	s_barrier
	buffer_gl0_inv
	ds_read2_b32 v[41:42], v69 offset0:136 offset1:137
	ds_read2_b32 v[39:40], v69 offset0:138 offset1:139
	ds_read_b32 v199, v69 offset:560
	s_waitcnt lgkmcnt(1)
	v_add3_u32 v200, v42, v41, v39
	s_waitcnt lgkmcnt(0)
	v_add3_u32 v199, v200, v40, v199
	v_mov_b32_dpp v200, v199 row_shr:1 row_mask:0xf bank_mask:0xf
	v_cndmask_b32_e64 v200, v200, 0, s5
	v_add_nc_u32_e32 v199, v200, v199
	v_mov_b32_dpp v200, v199 row_shr:2 row_mask:0xf bank_mask:0xf
	v_cndmask_b32_e64 v200, 0, v200, s15
	v_add_nc_u32_e32 v199, v199, v200
	;; [unrolled: 3-line block ×4, first 2 shown]
	ds_swizzle_b32 v200, v199 offset:swizzle(BROADCAST,32,15)
	s_waitcnt lgkmcnt(0)
	v_cndmask_b32_e64 v200, v200, 0, s18
	v_add_nc_u32_e32 v199, v199, v200
	s_and_saveexec_b32 s23, s4
; %bb.1098:                             ;   in Loop: Header=BB427_1040 Depth=2
	ds_write_b32 v62, v199 offset:512
; %bb.1099:                             ;   in Loop: Header=BB427_1040 Depth=2
	s_or_b32 exec_lo, exec_lo, s23
	s_waitcnt lgkmcnt(0)
	s_barrier
	buffer_gl0_inv
	s_and_saveexec_b32 s23, s12
	s_cbranch_execz .LBB427_1101
; %bb.1100:                             ;   in Loop: Header=BB427_1040 Depth=2
	ds_read_b32 v200, v70 offset:512
	s_waitcnt lgkmcnt(0)
	v_mov_b32_dpp v201, v200 row_shr:1 row_mask:0xf bank_mask:0xf
	v_cndmask_b32_e64 v201, v201, 0, s20
	v_add_nc_u32_e32 v200, v201, v200
	v_mov_b32_dpp v201, v200 row_shr:2 row_mask:0xf bank_mask:0xf
	v_cndmask_b32_e64 v201, 0, v201, s21
	v_add_nc_u32_e32 v200, v200, v201
	;; [unrolled: 3-line block ×3, first 2 shown]
	ds_write_b32 v70, v200 offset:512
.LBB427_1101:                           ;   in Loop: Header=BB427_1040 Depth=2
	s_or_b32 exec_lo, exec_lo, s23
	v_mov_b32_e32 v200, 0
	s_waitcnt lgkmcnt(0)
	s_barrier
	buffer_gl0_inv
	s_and_saveexec_b32 s23, s11
; %bb.1102:                             ;   in Loop: Header=BB427_1040 Depth=2
	ds_read_b32 v200, v62 offset:508
; %bb.1103:                             ;   in Loop: Header=BB427_1040 Depth=2
	s_or_b32 exec_lo, exec_lo, s23
	s_waitcnt lgkmcnt(0)
	v_add_nc_u32_e32 v199, v200, v199
	ds_bpermute_b32 v199, v94, v199
	s_waitcnt lgkmcnt(0)
	v_cndmask_b32_e64 v199, v199, v200, s19
	v_cndmask_b32_e64 v199, v199, 0, s13
	v_add_nc_u32_e32 v41, v199, v41
	v_add_nc_u32_e32 v42, v41, v42
	;; [unrolled: 1-line block ×4, first 2 shown]
	ds_write2_b32 v69, v199, v41 offset0:136 offset1:137
	ds_write2_b32 v69, v42, v39 offset0:138 offset1:139
	ds_write_b32 v69, v40 offset:560
	s_waitcnt lgkmcnt(0)
	s_barrier
	buffer_gl0_inv
	ds_read_b32 v39, v149 offset:544
	ds_read_b32 v40, v153 offset:544
	;; [unrolled: 1-line block ×17, first 2 shown]
	s_and_saveexec_b32 s23, s8
	s_cbranch_execz .LBB427_1107
; %bb.1104:                             ;   in Loop: Header=BB427_1040 Depth=2
	v_add_nc_u32_e32 v135, v70, v72
	v_mov_b32_e32 v136, 0x1100
	ds_read_b32 v135, v135 offset:544
	s_and_saveexec_b32 s24, s14
; %bb.1105:                             ;   in Loop: Header=BB427_1040 Depth=2
	ds_read_b32 v136, v71 offset:544
; %bb.1106:                             ;   in Loop: Header=BB427_1040 Depth=2
	s_or_b32 exec_lo, exec_lo, s24
	s_waitcnt lgkmcnt(0)
	v_sub_nc_u32_e32 v136, v136, v135
.LBB427_1107:                           ;   in Loop: Header=BB427_1040 Depth=2
	s_or_b32 exec_lo, exec_lo, s23
	v_lshrrev_b32_e32 v203, 8, v148
	v_lshrrev_b32_e32 v204, 16, v148
	;; [unrolled: 1-line block ×8, first 2 shown]
	s_waitcnt lgkmcnt(0)
	s_barrier
	buffer_gl0_inv
	s_and_saveexec_b32 s23, s8
	s_cbranch_execz .LBB427_1109
; %bb.1108:                             ;   in Loop: Header=BB427_1040 Depth=2
	ds_read_b32 v3, v43
	s_waitcnt lgkmcnt(0)
	v_sub_nc_u32_e32 v3, v3, v135
	ds_write_b32 v43, v3
.LBB427_1109:                           ;   in Loop: Header=BB427_1040 Depth=2
	s_or_b32 exec_lo, exec_lo, s23
	v_add_nc_u32_e32 v157, v39, v146
	v_add3_u32 v153, v152, v151, v40
	v_add3_u32 v152, v155, v154, v41
	;; [unrolled: 1-line block ×16, first 2 shown]
	v_cmp_lt_u32_e64 s38, v0, v138
	ds_write_b8 v157, v147 offset:512
	ds_write_b8 v153, v203 offset:512
	;; [unrolled: 1-line block ×17, first 2 shown]
	s_waitcnt lgkmcnt(0)
	s_barrier
	buffer_gl0_inv
	s_and_saveexec_b32 s23, s38
	s_cbranch_execnz .LBB427_1182
; %bb.1110:                             ;   in Loop: Header=BB427_1040 Depth=2
	s_or_b32 exec_lo, exec_lo, s23
	v_cmp_lt_u32_e64 s39, v44, v138
	s_and_saveexec_b32 s23, s39
	s_cbranch_execnz .LBB427_1183
.LBB427_1111:                           ;   in Loop: Header=BB427_1040 Depth=2
	s_or_b32 exec_lo, exec_lo, s23
	v_cmp_lt_u32_e64 s37, v47, v138
	s_and_saveexec_b32 s23, s37
	s_cbranch_execnz .LBB427_1184
.LBB427_1112:                           ;   in Loop: Header=BB427_1040 Depth=2
	s_or_b32 exec_lo, exec_lo, s23
	v_cmp_lt_u32_e64 s36, v48, v138
	s_and_saveexec_b32 s23, s36
	s_cbranch_execnz .LBB427_1185
.LBB427_1113:                           ;   in Loop: Header=BB427_1040 Depth=2
	s_or_b32 exec_lo, exec_lo, s23
	v_cmp_lt_u32_e64 s35, v49, v138
	s_and_saveexec_b32 s23, s35
	s_cbranch_execnz .LBB427_1186
.LBB427_1114:                           ;   in Loop: Header=BB427_1040 Depth=2
	s_or_b32 exec_lo, exec_lo, s23
	v_cmp_lt_u32_e64 s34, v50, v138
	s_and_saveexec_b32 s23, s34
	s_cbranch_execnz .LBB427_1187
.LBB427_1115:                           ;   in Loop: Header=BB427_1040 Depth=2
	s_or_b32 exec_lo, exec_lo, s23
	v_cmp_lt_u32_e64 s33, v51, v138
	s_and_saveexec_b32 s23, s33
	s_cbranch_execnz .LBB427_1188
.LBB427_1116:                           ;   in Loop: Header=BB427_1040 Depth=2
	s_or_b32 exec_lo, exec_lo, s23
	v_cmp_lt_u32_e64 s31, v52, v138
	s_and_saveexec_b32 s23, s31
	s_cbranch_execnz .LBB427_1189
.LBB427_1117:                           ;   in Loop: Header=BB427_1040 Depth=2
	s_or_b32 exec_lo, exec_lo, s23
	v_cmp_lt_u32_e64 s30, v53, v138
	s_and_saveexec_b32 s23, s30
	s_cbranch_execnz .LBB427_1190
.LBB427_1118:                           ;   in Loop: Header=BB427_1040 Depth=2
	s_or_b32 exec_lo, exec_lo, s23
	v_cmp_lt_u32_e64 s29, v54, v138
	s_and_saveexec_b32 s23, s29
	s_cbranch_execnz .LBB427_1191
.LBB427_1119:                           ;   in Loop: Header=BB427_1040 Depth=2
	s_or_b32 exec_lo, exec_lo, s23
	v_cmp_lt_u32_e64 s28, v55, v138
	s_and_saveexec_b32 s23, s28
	s_cbranch_execnz .LBB427_1192
.LBB427_1120:                           ;   in Loop: Header=BB427_1040 Depth=2
	s_or_b32 exec_lo, exec_lo, s23
	v_cmp_lt_u32_e64 s27, v56, v138
	s_and_saveexec_b32 s23, s27
	s_cbranch_execnz .LBB427_1193
.LBB427_1121:                           ;   in Loop: Header=BB427_1040 Depth=2
	s_or_b32 exec_lo, exec_lo, s23
	v_cmp_lt_u32_e64 s26, v57, v138
	s_and_saveexec_b32 s23, s26
	s_cbranch_execnz .LBB427_1194
.LBB427_1122:                           ;   in Loop: Header=BB427_1040 Depth=2
	s_or_b32 exec_lo, exec_lo, s23
	v_cmp_lt_u32_e64 s25, v58, v138
	s_and_saveexec_b32 s23, s25
	s_cbranch_execnz .LBB427_1195
.LBB427_1123:                           ;   in Loop: Header=BB427_1040 Depth=2
	s_or_b32 exec_lo, exec_lo, s23
	v_cmp_lt_u32_e64 s24, v59, v138
	s_and_saveexec_b32 s23, s24
	s_cbranch_execnz .LBB427_1196
.LBB427_1124:                           ;   in Loop: Header=BB427_1040 Depth=2
	s_or_b32 exec_lo, exec_lo, s23
	v_cmp_lt_u32_e64 s23, v60, v138
	s_and_saveexec_b32 s40, s23
	s_cbranch_execnz .LBB427_1197
.LBB427_1125:                           ;   in Loop: Header=BB427_1040 Depth=2
	s_or_b32 exec_lo, exec_lo, s40
	v_cmp_lt_u32_e32 vcc_lo, v61, v138
	s_and_saveexec_b32 s40, vcc_lo
	s_cbranch_execz .LBB427_1127
.LBB427_1126:                           ;   in Loop: Header=BB427_1040 Depth=2
	ds_read_u8 v39, v0 offset:4608
	s_waitcnt lgkmcnt(0)
	v_lshrrev_b32_sdwa v40, s41, v39 dst_sel:DWORD dst_unused:UNUSED_PAD src0_sel:DWORD src1_sel:BYTE_0
	v_xor_b32_e32 v39, 0x80, v39
	v_and_b32_e32 v40, s62, v40
	v_lshlrev_b32_e32 v40, 2, v40
	ds_read_b32 v40, v40
	s_waitcnt lgkmcnt(0)
	v_add_nc_u32_e32 v40, v40, v61
	global_store_byte v40, v39, s[48:49]
.LBB427_1127:                           ;   in Loop: Header=BB427_1040 Depth=2
	s_or_b32 exec_lo, exec_lo, s40
	s_lshl_b64 s[66:67], s[50:51], 3
	v_add_co_u32 v39, s40, v98, s66
	v_add_co_ci_u32_e64 v40, null, s67, v99, s40
	v_cmp_lt_u32_e64 s40, v95, v138
	s_and_saveexec_b32 s50, s40
	s_xor_b32 s40, exec_lo, s50
	s_cbranch_execnz .LBB427_1198
; %bb.1128:                             ;   in Loop: Header=BB427_1040 Depth=2
	s_or_b32 exec_lo, exec_lo, s40
	s_mov_b32 s50, exec_lo
	v_cmpx_lt_u32_e64 v100, v138
	s_cbranch_execnz .LBB427_1199
.LBB427_1129:                           ;   in Loop: Header=BB427_1040 Depth=2
	s_or_b32 exec_lo, exec_lo, s50
	s_mov_b32 s50, exec_lo
	v_cmpx_lt_u32_e64 v101, v138
	s_cbranch_execnz .LBB427_1200
.LBB427_1130:                           ;   in Loop: Header=BB427_1040 Depth=2
	s_or_b32 exec_lo, exec_lo, s50
	s_mov_b32 s50, exec_lo
	v_cmpx_lt_u32_e64 v102, v138
	s_cbranch_execnz .LBB427_1201
.LBB427_1131:                           ;   in Loop: Header=BB427_1040 Depth=2
	s_or_b32 exec_lo, exec_lo, s50
	s_mov_b32 s50, exec_lo
	v_cmpx_lt_u32_e64 v103, v138
	s_cbranch_execnz .LBB427_1202
.LBB427_1132:                           ;   in Loop: Header=BB427_1040 Depth=2
	s_or_b32 exec_lo, exec_lo, s50
	s_mov_b32 s50, exec_lo
	v_cmpx_lt_u32_e64 v104, v138
	s_cbranch_execnz .LBB427_1203
.LBB427_1133:                           ;   in Loop: Header=BB427_1040 Depth=2
	s_or_b32 exec_lo, exec_lo, s50
	s_mov_b32 s50, exec_lo
	v_cmpx_lt_u32_e64 v105, v138
	s_cbranch_execnz .LBB427_1204
.LBB427_1134:                           ;   in Loop: Header=BB427_1040 Depth=2
	s_or_b32 exec_lo, exec_lo, s50
	s_mov_b32 s50, exec_lo
	v_cmpx_lt_u32_e64 v106, v138
	s_cbranch_execnz .LBB427_1205
.LBB427_1135:                           ;   in Loop: Header=BB427_1040 Depth=2
	s_or_b32 exec_lo, exec_lo, s50
	s_mov_b32 s50, exec_lo
	v_cmpx_lt_u32_e64 v107, v138
	s_cbranch_execnz .LBB427_1206
.LBB427_1136:                           ;   in Loop: Header=BB427_1040 Depth=2
	s_or_b32 exec_lo, exec_lo, s50
	s_mov_b32 s50, exec_lo
	v_cmpx_lt_u32_e64 v108, v138
	s_cbranch_execnz .LBB427_1207
.LBB427_1137:                           ;   in Loop: Header=BB427_1040 Depth=2
	s_or_b32 exec_lo, exec_lo, s50
	s_mov_b32 s50, exec_lo
	v_cmpx_lt_u32_e64 v109, v138
	s_cbranch_execnz .LBB427_1208
.LBB427_1138:                           ;   in Loop: Header=BB427_1040 Depth=2
	s_or_b32 exec_lo, exec_lo, s50
	s_mov_b32 s50, exec_lo
	v_cmpx_lt_u32_e64 v110, v138
	s_cbranch_execnz .LBB427_1209
.LBB427_1139:                           ;   in Loop: Header=BB427_1040 Depth=2
	s_or_b32 exec_lo, exec_lo, s50
	s_mov_b32 s50, exec_lo
	v_cmpx_lt_u32_e64 v111, v138
	s_cbranch_execnz .LBB427_1210
.LBB427_1140:                           ;   in Loop: Header=BB427_1040 Depth=2
	s_or_b32 exec_lo, exec_lo, s50
	s_mov_b32 s50, exec_lo
	v_cmpx_lt_u32_e64 v112, v138
	s_cbranch_execnz .LBB427_1211
.LBB427_1141:                           ;   in Loop: Header=BB427_1040 Depth=2
	s_or_b32 exec_lo, exec_lo, s50
	s_mov_b32 s50, exec_lo
	v_cmpx_lt_u32_e64 v113, v138
	s_cbranch_execnz .LBB427_1212
.LBB427_1142:                           ;   in Loop: Header=BB427_1040 Depth=2
	s_or_b32 exec_lo, exec_lo, s50
	s_mov_b32 s50, exec_lo
	v_cmpx_lt_u32_e64 v114, v138
	s_cbranch_execnz .LBB427_1213
.LBB427_1143:                           ;   in Loop: Header=BB427_1040 Depth=2
	s_or_b32 exec_lo, exec_lo, s50
	s_mov_b32 s50, exec_lo
	v_cmpx_lt_u32_e64 v115, v138
	s_cbranch_execnz .LBB427_1214
.LBB427_1144:                           ;   in Loop: Header=BB427_1040 Depth=2
	s_or_b32 exec_lo, exec_lo, s50
	s_and_saveexec_b32 s40, s38
	s_cbranch_execnz .LBB427_1215
.LBB427_1145:                           ;   in Loop: Header=BB427_1040 Depth=2
	s_or_b32 exec_lo, exec_lo, s40
	s_and_saveexec_b32 s40, s39
	s_cbranch_execnz .LBB427_1216
.LBB427_1146:                           ;   in Loop: Header=BB427_1040 Depth=2
	s_or_b32 exec_lo, exec_lo, s40
	s_and_saveexec_b32 s40, s37
	s_cbranch_execnz .LBB427_1217
.LBB427_1147:                           ;   in Loop: Header=BB427_1040 Depth=2
	s_or_b32 exec_lo, exec_lo, s40
	s_and_saveexec_b32 s40, s36
	s_cbranch_execnz .LBB427_1218
.LBB427_1148:                           ;   in Loop: Header=BB427_1040 Depth=2
	s_or_b32 exec_lo, exec_lo, s40
	s_and_saveexec_b32 s40, s35
	s_cbranch_execnz .LBB427_1219
.LBB427_1149:                           ;   in Loop: Header=BB427_1040 Depth=2
	s_or_b32 exec_lo, exec_lo, s40
	s_and_saveexec_b32 s40, s34
	s_cbranch_execnz .LBB427_1220
.LBB427_1150:                           ;   in Loop: Header=BB427_1040 Depth=2
	s_or_b32 exec_lo, exec_lo, s40
	s_and_saveexec_b32 s40, s33
	s_cbranch_execnz .LBB427_1221
.LBB427_1151:                           ;   in Loop: Header=BB427_1040 Depth=2
	s_or_b32 exec_lo, exec_lo, s40
	s_and_saveexec_b32 s40, s31
	s_cbranch_execnz .LBB427_1222
.LBB427_1152:                           ;   in Loop: Header=BB427_1040 Depth=2
	s_or_b32 exec_lo, exec_lo, s40
	s_and_saveexec_b32 s40, s30
	s_cbranch_execnz .LBB427_1223
.LBB427_1153:                           ;   in Loop: Header=BB427_1040 Depth=2
	s_or_b32 exec_lo, exec_lo, s40
	s_and_saveexec_b32 s40, s29
	s_cbranch_execnz .LBB427_1224
.LBB427_1154:                           ;   in Loop: Header=BB427_1040 Depth=2
	s_or_b32 exec_lo, exec_lo, s40
	s_and_saveexec_b32 s40, s28
	s_cbranch_execnz .LBB427_1225
.LBB427_1155:                           ;   in Loop: Header=BB427_1040 Depth=2
	s_or_b32 exec_lo, exec_lo, s40
	s_and_saveexec_b32 s40, s27
	s_cbranch_execnz .LBB427_1226
.LBB427_1156:                           ;   in Loop: Header=BB427_1040 Depth=2
	s_or_b32 exec_lo, exec_lo, s40
	s_and_saveexec_b32 s40, s26
	s_cbranch_execnz .LBB427_1227
.LBB427_1157:                           ;   in Loop: Header=BB427_1040 Depth=2
	s_or_b32 exec_lo, exec_lo, s40
	s_and_saveexec_b32 s40, s25
	s_cbranch_execnz .LBB427_1228
.LBB427_1158:                           ;   in Loop: Header=BB427_1040 Depth=2
	s_or_b32 exec_lo, exec_lo, s40
	s_and_saveexec_b32 s40, s24
	s_cbranch_execnz .LBB427_1229
.LBB427_1159:                           ;   in Loop: Header=BB427_1040 Depth=2
	s_or_b32 exec_lo, exec_lo, s40
	s_and_saveexec_b32 s40, s23
	s_cbranch_execnz .LBB427_1230
.LBB427_1160:                           ;   in Loop: Header=BB427_1040 Depth=2
	s_or_b32 exec_lo, exec_lo, s40
	s_and_saveexec_b32 s40, vcc_lo
	s_cbranch_execz .LBB427_1162
.LBB427_1161:                           ;   in Loop: Header=BB427_1040 Depth=2
	ds_read_u8 v39, v0 offset:4608
	s_waitcnt lgkmcnt(0)
	v_lshrrev_b32_e32 v39, s41, v39
	v_and_b32_e32 v118, s62, v39
.LBB427_1162:                           ;   in Loop: Header=BB427_1040 Depth=2
	s_or_b32 exec_lo, exec_lo, s40
	v_lshlrev_b32_e32 v39, 3, v157
	s_waitcnt vmcnt(0)
	s_waitcnt_vscnt null, 0x0
	v_lshlrev_b32_e32 v40, 3, v153
	s_barrier
	buffer_gl0_inv
	ds_write_b64 v39, v[37:38] offset:512
	v_lshlrev_b32_e32 v39, 3, v152
	ds_write_b64 v40, v[35:36] offset:512
	v_lshlrev_b32_e32 v40, 3, v151
	v_lshlrev_b32_e32 v138, 3, v150
	;; [unrolled: 1-line block ×3, first 2 shown]
	ds_write_b64 v39, v[33:34] offset:512
	v_lshlrev_b32_e32 v39, 3, v148
	ds_write_b64 v40, v[31:32] offset:512
	ds_write_b64 v138, v[29:30] offset:512
	ds_write_b64 v139, v[25:26] offset:512
	v_lshlrev_b32_e32 v40, 3, v146
	v_lshlrev_b32_e32 v138, 3, v144
	;; [unrolled: 1-line block ×3, first 2 shown]
	ds_write_b64 v39, v[21:22] offset:512
	v_lshlrev_b32_e32 v39, 3, v145
	ds_write_b64 v40, v[17:18] offset:512
	v_lshlrev_b32_e32 v40, 3, v141
	ds_write_b64 v39, v[27:28] offset:512
	ds_write_b64 v138, v[23:24] offset:512
	;; [unrolled: 1-line block ×3, first 2 shown]
	v_lshlrev_b32_e32 v39, 3, v140
	ds_write_b64 v40, v[15:16] offset:512
	v_lshlrev_b32_e32 v40, 3, v137
	v_lshlrev_b32_e32 v3, 3, v3
	;; [unrolled: 1-line block ×3, first 2 shown]
	ds_write_b64 v39, v[13:14] offset:512
	v_add_nc_u32_e32 v39, v0, v75
	v_lshlrev_b32_e32 v41, 3, v41
	ds_write_b64 v40, v[11:12] offset:512
	ds_write_b64 v42, v[9:10] offset:512
	;; [unrolled: 1-line block ×4, first 2 shown]
	s_waitcnt lgkmcnt(0)
	s_barrier
	buffer_gl0_inv
	s_and_saveexec_b32 s40, s38
	s_cbranch_execnz .LBB427_1231
; %bb.1163:                             ;   in Loop: Header=BB427_1040 Depth=2
	s_or_b32 exec_lo, exec_lo, s40
	s_and_saveexec_b32 s40, s39
	s_cbranch_execnz .LBB427_1232
.LBB427_1164:                           ;   in Loop: Header=BB427_1040 Depth=2
	s_or_b32 exec_lo, exec_lo, s40
	s_and_saveexec_b32 s38, s37
	s_cbranch_execnz .LBB427_1233
.LBB427_1165:                           ;   in Loop: Header=BB427_1040 Depth=2
	s_or_b32 exec_lo, exec_lo, s38
	s_and_saveexec_b32 s37, s36
	s_cbranch_execnz .LBB427_1234
.LBB427_1166:                           ;   in Loop: Header=BB427_1040 Depth=2
	s_or_b32 exec_lo, exec_lo, s37
	s_and_saveexec_b32 s36, s35
	s_cbranch_execnz .LBB427_1235
.LBB427_1167:                           ;   in Loop: Header=BB427_1040 Depth=2
	s_or_b32 exec_lo, exec_lo, s36
	s_and_saveexec_b32 s35, s34
	s_cbranch_execnz .LBB427_1236
.LBB427_1168:                           ;   in Loop: Header=BB427_1040 Depth=2
	s_or_b32 exec_lo, exec_lo, s35
	s_and_saveexec_b32 s34, s33
	s_cbranch_execnz .LBB427_1237
.LBB427_1169:                           ;   in Loop: Header=BB427_1040 Depth=2
	s_or_b32 exec_lo, exec_lo, s34
	s_and_saveexec_b32 s33, s31
	s_cbranch_execnz .LBB427_1238
.LBB427_1170:                           ;   in Loop: Header=BB427_1040 Depth=2
	s_or_b32 exec_lo, exec_lo, s33
	s_and_saveexec_b32 s31, s30
	s_cbranch_execnz .LBB427_1239
.LBB427_1171:                           ;   in Loop: Header=BB427_1040 Depth=2
	s_or_b32 exec_lo, exec_lo, s31
	s_and_saveexec_b32 s30, s29
	s_cbranch_execnz .LBB427_1240
.LBB427_1172:                           ;   in Loop: Header=BB427_1040 Depth=2
	s_or_b32 exec_lo, exec_lo, s30
	s_and_saveexec_b32 s29, s28
	s_cbranch_execnz .LBB427_1241
.LBB427_1173:                           ;   in Loop: Header=BB427_1040 Depth=2
	s_or_b32 exec_lo, exec_lo, s29
	s_and_saveexec_b32 s28, s27
	s_cbranch_execnz .LBB427_1242
.LBB427_1174:                           ;   in Loop: Header=BB427_1040 Depth=2
	s_or_b32 exec_lo, exec_lo, s28
	s_and_saveexec_b32 s27, s26
	s_cbranch_execnz .LBB427_1243
.LBB427_1175:                           ;   in Loop: Header=BB427_1040 Depth=2
	s_or_b32 exec_lo, exec_lo, s27
	s_and_saveexec_b32 s26, s25
	s_cbranch_execnz .LBB427_1244
.LBB427_1176:                           ;   in Loop: Header=BB427_1040 Depth=2
	s_or_b32 exec_lo, exec_lo, s26
	s_and_saveexec_b32 s25, s24
	s_cbranch_execnz .LBB427_1245
.LBB427_1177:                           ;   in Loop: Header=BB427_1040 Depth=2
	s_or_b32 exec_lo, exec_lo, s25
	s_and_saveexec_b32 s24, s23
	s_cbranch_execnz .LBB427_1246
.LBB427_1178:                           ;   in Loop: Header=BB427_1040 Depth=2
	s_or_b32 exec_lo, exec_lo, s24
	s_and_saveexec_b32 s23, vcc_lo
	s_cbranch_execz .LBB427_1180
.LBB427_1179:                           ;   in Loop: Header=BB427_1040 Depth=2
	v_lshlrev_b32_e32 v3, 2, v118
	ds_read_b32 v3, v3
	ds_read_b64 v[39:40], v39 offset:33280
	s_waitcnt lgkmcnt(1)
	v_add_nc_u32_e32 v3, v3, v61
	v_lshlrev_b64 v[41:42], 3, v[3:4]
	v_add_co_u32 v41, vcc_lo, s54, v41
	v_add_co_ci_u32_e64 v42, null, s55, v42, vcc_lo
	s_waitcnt lgkmcnt(0)
	global_store_dwordx2 v[41:42], v[39:40], off
.LBB427_1180:                           ;   in Loop: Header=BB427_1040 Depth=2
	s_or_b32 exec_lo, exec_lo, s23
	s_waitcnt_vscnt null, 0x0
	s_barrier
	buffer_gl0_inv
	s_and_saveexec_b32 s23, s8
	s_cbranch_execz .LBB427_1039
; %bb.1181:                             ;   in Loop: Header=BB427_1040 Depth=2
	ds_read_b32 v3, v43
	s_waitcnt lgkmcnt(0)
	v_add3_u32 v3, v135, v136, v3
	ds_write_b32 v43, v3
	s_branch .LBB427_1039
.LBB427_1182:                           ;   in Loop: Header=BB427_1040 Depth=2
	ds_read_u8 v39, v0 offset:512
	s_waitcnt lgkmcnt(0)
	v_lshrrev_b32_sdwa v40, s41, v39 dst_sel:DWORD dst_unused:UNUSED_PAD src0_sel:DWORD src1_sel:BYTE_0
	v_xor_b32_e32 v39, 0x80, v39
	v_and_b32_e32 v40, s62, v40
	v_lshlrev_b32_e32 v40, 2, v40
	ds_read_b32 v40, v40
	s_waitcnt lgkmcnt(0)
	v_add_nc_u32_e32 v40, v40, v0
	global_store_byte v40, v39, s[48:49]
	s_or_b32 exec_lo, exec_lo, s23
	v_cmp_lt_u32_e64 s39, v44, v138
	s_and_saveexec_b32 s23, s39
	s_cbranch_execz .LBB427_1111
.LBB427_1183:                           ;   in Loop: Header=BB427_1040 Depth=2
	ds_read_u8 v39, v0 offset:768
	s_waitcnt lgkmcnt(0)
	v_lshrrev_b32_sdwa v40, s41, v39 dst_sel:DWORD dst_unused:UNUSED_PAD src0_sel:DWORD src1_sel:BYTE_0
	v_xor_b32_e32 v39, 0x80, v39
	v_and_b32_e32 v40, s62, v40
	v_lshlrev_b32_e32 v40, 2, v40
	ds_read_b32 v40, v40
	s_waitcnt lgkmcnt(0)
	v_add_nc_u32_e32 v40, v40, v44
	global_store_byte v40, v39, s[48:49]
	s_or_b32 exec_lo, exec_lo, s23
	v_cmp_lt_u32_e64 s37, v47, v138
	s_and_saveexec_b32 s23, s37
	s_cbranch_execz .LBB427_1112
.LBB427_1184:                           ;   in Loop: Header=BB427_1040 Depth=2
	ds_read_u8 v39, v0 offset:1024
	s_waitcnt lgkmcnt(0)
	v_lshrrev_b32_sdwa v40, s41, v39 dst_sel:DWORD dst_unused:UNUSED_PAD src0_sel:DWORD src1_sel:BYTE_0
	v_xor_b32_e32 v39, 0x80, v39
	v_and_b32_e32 v40, s62, v40
	v_lshlrev_b32_e32 v40, 2, v40
	ds_read_b32 v40, v40
	s_waitcnt lgkmcnt(0)
	v_add_nc_u32_e32 v40, v40, v47
	global_store_byte v40, v39, s[48:49]
	s_or_b32 exec_lo, exec_lo, s23
	v_cmp_lt_u32_e64 s36, v48, v138
	s_and_saveexec_b32 s23, s36
	s_cbranch_execz .LBB427_1113
.LBB427_1185:                           ;   in Loop: Header=BB427_1040 Depth=2
	ds_read_u8 v39, v0 offset:1280
	s_waitcnt lgkmcnt(0)
	v_lshrrev_b32_sdwa v40, s41, v39 dst_sel:DWORD dst_unused:UNUSED_PAD src0_sel:DWORD src1_sel:BYTE_0
	v_xor_b32_e32 v39, 0x80, v39
	v_and_b32_e32 v40, s62, v40
	v_lshlrev_b32_e32 v40, 2, v40
	ds_read_b32 v40, v40
	s_waitcnt lgkmcnt(0)
	v_add_nc_u32_e32 v40, v40, v48
	global_store_byte v40, v39, s[48:49]
	s_or_b32 exec_lo, exec_lo, s23
	v_cmp_lt_u32_e64 s35, v49, v138
	s_and_saveexec_b32 s23, s35
	s_cbranch_execz .LBB427_1114
.LBB427_1186:                           ;   in Loop: Header=BB427_1040 Depth=2
	ds_read_u8 v39, v0 offset:1536
	s_waitcnt lgkmcnt(0)
	v_lshrrev_b32_sdwa v40, s41, v39 dst_sel:DWORD dst_unused:UNUSED_PAD src0_sel:DWORD src1_sel:BYTE_0
	v_xor_b32_e32 v39, 0x80, v39
	v_and_b32_e32 v40, s62, v40
	v_lshlrev_b32_e32 v40, 2, v40
	ds_read_b32 v40, v40
	s_waitcnt lgkmcnt(0)
	v_add_nc_u32_e32 v40, v40, v49
	global_store_byte v40, v39, s[48:49]
	s_or_b32 exec_lo, exec_lo, s23
	v_cmp_lt_u32_e64 s34, v50, v138
	s_and_saveexec_b32 s23, s34
	s_cbranch_execz .LBB427_1115
.LBB427_1187:                           ;   in Loop: Header=BB427_1040 Depth=2
	ds_read_u8 v39, v0 offset:1792
	s_waitcnt lgkmcnt(0)
	v_lshrrev_b32_sdwa v40, s41, v39 dst_sel:DWORD dst_unused:UNUSED_PAD src0_sel:DWORD src1_sel:BYTE_0
	v_xor_b32_e32 v39, 0x80, v39
	v_and_b32_e32 v40, s62, v40
	v_lshlrev_b32_e32 v40, 2, v40
	ds_read_b32 v40, v40
	s_waitcnt lgkmcnt(0)
	v_add_nc_u32_e32 v40, v40, v50
	global_store_byte v40, v39, s[48:49]
	s_or_b32 exec_lo, exec_lo, s23
	v_cmp_lt_u32_e64 s33, v51, v138
	s_and_saveexec_b32 s23, s33
	s_cbranch_execz .LBB427_1116
.LBB427_1188:                           ;   in Loop: Header=BB427_1040 Depth=2
	ds_read_u8 v39, v0 offset:2048
	s_waitcnt lgkmcnt(0)
	v_lshrrev_b32_sdwa v40, s41, v39 dst_sel:DWORD dst_unused:UNUSED_PAD src0_sel:DWORD src1_sel:BYTE_0
	v_xor_b32_e32 v39, 0x80, v39
	v_and_b32_e32 v40, s62, v40
	v_lshlrev_b32_e32 v40, 2, v40
	ds_read_b32 v40, v40
	s_waitcnt lgkmcnt(0)
	v_add_nc_u32_e32 v40, v40, v51
	global_store_byte v40, v39, s[48:49]
	s_or_b32 exec_lo, exec_lo, s23
	v_cmp_lt_u32_e64 s31, v52, v138
	s_and_saveexec_b32 s23, s31
	s_cbranch_execz .LBB427_1117
.LBB427_1189:                           ;   in Loop: Header=BB427_1040 Depth=2
	ds_read_u8 v39, v0 offset:2304
	s_waitcnt lgkmcnt(0)
	v_lshrrev_b32_sdwa v40, s41, v39 dst_sel:DWORD dst_unused:UNUSED_PAD src0_sel:DWORD src1_sel:BYTE_0
	v_xor_b32_e32 v39, 0x80, v39
	v_and_b32_e32 v40, s62, v40
	v_lshlrev_b32_e32 v40, 2, v40
	ds_read_b32 v40, v40
	s_waitcnt lgkmcnt(0)
	v_add_nc_u32_e32 v40, v40, v52
	global_store_byte v40, v39, s[48:49]
	s_or_b32 exec_lo, exec_lo, s23
	v_cmp_lt_u32_e64 s30, v53, v138
	s_and_saveexec_b32 s23, s30
	s_cbranch_execz .LBB427_1118
.LBB427_1190:                           ;   in Loop: Header=BB427_1040 Depth=2
	ds_read_u8 v39, v0 offset:2560
	s_waitcnt lgkmcnt(0)
	v_lshrrev_b32_sdwa v40, s41, v39 dst_sel:DWORD dst_unused:UNUSED_PAD src0_sel:DWORD src1_sel:BYTE_0
	v_xor_b32_e32 v39, 0x80, v39
	v_and_b32_e32 v40, s62, v40
	v_lshlrev_b32_e32 v40, 2, v40
	ds_read_b32 v40, v40
	s_waitcnt lgkmcnt(0)
	v_add_nc_u32_e32 v40, v40, v53
	global_store_byte v40, v39, s[48:49]
	s_or_b32 exec_lo, exec_lo, s23
	v_cmp_lt_u32_e64 s29, v54, v138
	s_and_saveexec_b32 s23, s29
	s_cbranch_execz .LBB427_1119
.LBB427_1191:                           ;   in Loop: Header=BB427_1040 Depth=2
	ds_read_u8 v39, v0 offset:2816
	s_waitcnt lgkmcnt(0)
	v_lshrrev_b32_sdwa v40, s41, v39 dst_sel:DWORD dst_unused:UNUSED_PAD src0_sel:DWORD src1_sel:BYTE_0
	v_xor_b32_e32 v39, 0x80, v39
	v_and_b32_e32 v40, s62, v40
	v_lshlrev_b32_e32 v40, 2, v40
	ds_read_b32 v40, v40
	s_waitcnt lgkmcnt(0)
	v_add_nc_u32_e32 v40, v40, v54
	global_store_byte v40, v39, s[48:49]
	s_or_b32 exec_lo, exec_lo, s23
	v_cmp_lt_u32_e64 s28, v55, v138
	s_and_saveexec_b32 s23, s28
	s_cbranch_execz .LBB427_1120
.LBB427_1192:                           ;   in Loop: Header=BB427_1040 Depth=2
	ds_read_u8 v39, v0 offset:3072
	s_waitcnt lgkmcnt(0)
	v_lshrrev_b32_sdwa v40, s41, v39 dst_sel:DWORD dst_unused:UNUSED_PAD src0_sel:DWORD src1_sel:BYTE_0
	v_xor_b32_e32 v39, 0x80, v39
	v_and_b32_e32 v40, s62, v40
	v_lshlrev_b32_e32 v40, 2, v40
	ds_read_b32 v40, v40
	s_waitcnt lgkmcnt(0)
	v_add_nc_u32_e32 v40, v40, v55
	global_store_byte v40, v39, s[48:49]
	s_or_b32 exec_lo, exec_lo, s23
	v_cmp_lt_u32_e64 s27, v56, v138
	s_and_saveexec_b32 s23, s27
	s_cbranch_execz .LBB427_1121
.LBB427_1193:                           ;   in Loop: Header=BB427_1040 Depth=2
	ds_read_u8 v39, v0 offset:3328
	s_waitcnt lgkmcnt(0)
	v_lshrrev_b32_sdwa v40, s41, v39 dst_sel:DWORD dst_unused:UNUSED_PAD src0_sel:DWORD src1_sel:BYTE_0
	v_xor_b32_e32 v39, 0x80, v39
	v_and_b32_e32 v40, s62, v40
	v_lshlrev_b32_e32 v40, 2, v40
	ds_read_b32 v40, v40
	s_waitcnt lgkmcnt(0)
	v_add_nc_u32_e32 v40, v40, v56
	global_store_byte v40, v39, s[48:49]
	s_or_b32 exec_lo, exec_lo, s23
	v_cmp_lt_u32_e64 s26, v57, v138
	s_and_saveexec_b32 s23, s26
	s_cbranch_execz .LBB427_1122
.LBB427_1194:                           ;   in Loop: Header=BB427_1040 Depth=2
	ds_read_u8 v39, v0 offset:3584
	s_waitcnt lgkmcnt(0)
	v_lshrrev_b32_sdwa v40, s41, v39 dst_sel:DWORD dst_unused:UNUSED_PAD src0_sel:DWORD src1_sel:BYTE_0
	v_xor_b32_e32 v39, 0x80, v39
	v_and_b32_e32 v40, s62, v40
	v_lshlrev_b32_e32 v40, 2, v40
	ds_read_b32 v40, v40
	s_waitcnt lgkmcnt(0)
	v_add_nc_u32_e32 v40, v40, v57
	global_store_byte v40, v39, s[48:49]
	s_or_b32 exec_lo, exec_lo, s23
	v_cmp_lt_u32_e64 s25, v58, v138
	s_and_saveexec_b32 s23, s25
	s_cbranch_execz .LBB427_1123
.LBB427_1195:                           ;   in Loop: Header=BB427_1040 Depth=2
	ds_read_u8 v39, v0 offset:3840
	s_waitcnt lgkmcnt(0)
	v_lshrrev_b32_sdwa v40, s41, v39 dst_sel:DWORD dst_unused:UNUSED_PAD src0_sel:DWORD src1_sel:BYTE_0
	v_xor_b32_e32 v39, 0x80, v39
	v_and_b32_e32 v40, s62, v40
	v_lshlrev_b32_e32 v40, 2, v40
	ds_read_b32 v40, v40
	s_waitcnt lgkmcnt(0)
	v_add_nc_u32_e32 v40, v40, v58
	global_store_byte v40, v39, s[48:49]
	s_or_b32 exec_lo, exec_lo, s23
	v_cmp_lt_u32_e64 s24, v59, v138
	s_and_saveexec_b32 s23, s24
	s_cbranch_execz .LBB427_1124
.LBB427_1196:                           ;   in Loop: Header=BB427_1040 Depth=2
	ds_read_u8 v39, v0 offset:4096
	s_waitcnt lgkmcnt(0)
	v_lshrrev_b32_sdwa v40, s41, v39 dst_sel:DWORD dst_unused:UNUSED_PAD src0_sel:DWORD src1_sel:BYTE_0
	v_xor_b32_e32 v39, 0x80, v39
	v_and_b32_e32 v40, s62, v40
	v_lshlrev_b32_e32 v40, 2, v40
	ds_read_b32 v40, v40
	s_waitcnt lgkmcnt(0)
	v_add_nc_u32_e32 v40, v40, v59
	global_store_byte v40, v39, s[48:49]
	s_or_b32 exec_lo, exec_lo, s23
	v_cmp_lt_u32_e64 s23, v60, v138
	s_and_saveexec_b32 s40, s23
	s_cbranch_execz .LBB427_1125
.LBB427_1197:                           ;   in Loop: Header=BB427_1040 Depth=2
	ds_read_u8 v39, v0 offset:4352
	s_waitcnt lgkmcnt(0)
	v_lshrrev_b32_sdwa v40, s41, v39 dst_sel:DWORD dst_unused:UNUSED_PAD src0_sel:DWORD src1_sel:BYTE_0
	v_xor_b32_e32 v39, 0x80, v39
	v_and_b32_e32 v40, s62, v40
	v_lshlrev_b32_e32 v40, 2, v40
	ds_read_b32 v40, v40
	s_waitcnt lgkmcnt(0)
	v_add_nc_u32_e32 v40, v40, v60
	global_store_byte v40, v39, s[48:49]
	s_or_b32 exec_lo, exec_lo, s40
	v_cmp_lt_u32_e32 vcc_lo, v61, v138
	s_and_saveexec_b32 s40, vcc_lo
	s_cbranch_execnz .LBB427_1126
	s_branch .LBB427_1127
.LBB427_1198:                           ;   in Loop: Header=BB427_1040 Depth=2
	global_load_dwordx2 v[37:38], v[39:40], off
	s_or_b32 exec_lo, exec_lo, s40
	s_mov_b32 s50, exec_lo
	v_cmpx_lt_u32_e64 v100, v138
	s_cbranch_execz .LBB427_1129
.LBB427_1199:                           ;   in Loop: Header=BB427_1040 Depth=2
	global_load_dwordx2 v[35:36], v[39:40], off offset:256
	s_or_b32 exec_lo, exec_lo, s50
	s_mov_b32 s50, exec_lo
	v_cmpx_lt_u32_e64 v101, v138
	s_cbranch_execz .LBB427_1130
.LBB427_1200:                           ;   in Loop: Header=BB427_1040 Depth=2
	global_load_dwordx2 v[33:34], v[39:40], off offset:512
	s_or_b32 exec_lo, exec_lo, s50
	s_mov_b32 s50, exec_lo
	v_cmpx_lt_u32_e64 v102, v138
	s_cbranch_execz .LBB427_1131
.LBB427_1201:                           ;   in Loop: Header=BB427_1040 Depth=2
	global_load_dwordx2 v[31:32], v[39:40], off offset:768
	s_or_b32 exec_lo, exec_lo, s50
	s_mov_b32 s50, exec_lo
	v_cmpx_lt_u32_e64 v103, v138
	s_cbranch_execz .LBB427_1132
.LBB427_1202:                           ;   in Loop: Header=BB427_1040 Depth=2
	global_load_dwordx2 v[29:30], v[39:40], off offset:1024
	s_or_b32 exec_lo, exec_lo, s50
	s_mov_b32 s50, exec_lo
	v_cmpx_lt_u32_e64 v104, v138
	s_cbranch_execz .LBB427_1133
.LBB427_1203:                           ;   in Loop: Header=BB427_1040 Depth=2
	global_load_dwordx2 v[25:26], v[39:40], off offset:1280
	s_or_b32 exec_lo, exec_lo, s50
	s_mov_b32 s50, exec_lo
	v_cmpx_lt_u32_e64 v105, v138
	s_cbranch_execz .LBB427_1134
.LBB427_1204:                           ;   in Loop: Header=BB427_1040 Depth=2
	global_load_dwordx2 v[21:22], v[39:40], off offset:1536
	s_or_b32 exec_lo, exec_lo, s50
	s_mov_b32 s50, exec_lo
	v_cmpx_lt_u32_e64 v106, v138
	s_cbranch_execz .LBB427_1135
.LBB427_1205:                           ;   in Loop: Header=BB427_1040 Depth=2
	global_load_dwordx2 v[17:18], v[39:40], off offset:1792
	s_or_b32 exec_lo, exec_lo, s50
	s_mov_b32 s50, exec_lo
	v_cmpx_lt_u32_e64 v107, v138
	s_cbranch_execz .LBB427_1136
.LBB427_1206:                           ;   in Loop: Header=BB427_1040 Depth=2
	v_add_co_u32 v27, s40, 0x800, v39
	v_add_co_ci_u32_e64 v28, null, 0, v40, s40
	global_load_dwordx2 v[27:28], v[27:28], off
	s_or_b32 exec_lo, exec_lo, s50
	s_mov_b32 s50, exec_lo
	v_cmpx_lt_u32_e64 v108, v138
	s_cbranch_execz .LBB427_1137
.LBB427_1207:                           ;   in Loop: Header=BB427_1040 Depth=2
	v_add_co_u32 v23, s40, 0x800, v39
	v_add_co_ci_u32_e64 v24, null, 0, v40, s40
	global_load_dwordx2 v[23:24], v[23:24], off offset:256
	s_or_b32 exec_lo, exec_lo, s50
	s_mov_b32 s50, exec_lo
	v_cmpx_lt_u32_e64 v109, v138
	s_cbranch_execz .LBB427_1138
.LBB427_1208:                           ;   in Loop: Header=BB427_1040 Depth=2
	v_add_co_u32 v19, s40, 0x800, v39
	v_add_co_ci_u32_e64 v20, null, 0, v40, s40
	global_load_dwordx2 v[19:20], v[19:20], off offset:512
	s_or_b32 exec_lo, exec_lo, s50
	s_mov_b32 s50, exec_lo
	v_cmpx_lt_u32_e64 v110, v138
	s_cbranch_execz .LBB427_1139
.LBB427_1209:                           ;   in Loop: Header=BB427_1040 Depth=2
	v_add_co_u32 v15, s40, 0x800, v39
	v_add_co_ci_u32_e64 v16, null, 0, v40, s40
	global_load_dwordx2 v[15:16], v[15:16], off offset:768
	s_or_b32 exec_lo, exec_lo, s50
	s_mov_b32 s50, exec_lo
	v_cmpx_lt_u32_e64 v111, v138
	s_cbranch_execz .LBB427_1140
.LBB427_1210:                           ;   in Loop: Header=BB427_1040 Depth=2
	v_add_co_u32 v13, s40, 0x800, v39
	v_add_co_ci_u32_e64 v14, null, 0, v40, s40
	global_load_dwordx2 v[13:14], v[13:14], off offset:1024
	s_or_b32 exec_lo, exec_lo, s50
	s_mov_b32 s50, exec_lo
	v_cmpx_lt_u32_e64 v112, v138
	s_cbranch_execz .LBB427_1141
.LBB427_1211:                           ;   in Loop: Header=BB427_1040 Depth=2
	v_add_co_u32 v11, s40, 0x800, v39
	v_add_co_ci_u32_e64 v12, null, 0, v40, s40
	global_load_dwordx2 v[11:12], v[11:12], off offset:1280
	s_or_b32 exec_lo, exec_lo, s50
	s_mov_b32 s50, exec_lo
	v_cmpx_lt_u32_e64 v113, v138
	s_cbranch_execz .LBB427_1142
.LBB427_1212:                           ;   in Loop: Header=BB427_1040 Depth=2
	v_add_co_u32 v9, s40, 0x800, v39
	v_add_co_ci_u32_e64 v10, null, 0, v40, s40
	global_load_dwordx2 v[9:10], v[9:10], off offset:1536
	s_or_b32 exec_lo, exec_lo, s50
	s_mov_b32 s50, exec_lo
	v_cmpx_lt_u32_e64 v114, v138
	s_cbranch_execz .LBB427_1143
.LBB427_1213:                           ;   in Loop: Header=BB427_1040 Depth=2
	v_add_co_u32 v7, s40, 0x800, v39
	v_add_co_ci_u32_e64 v8, null, 0, v40, s40
	global_load_dwordx2 v[7:8], v[7:8], off offset:1792
	s_or_b32 exec_lo, exec_lo, s50
	s_mov_b32 s50, exec_lo
	v_cmpx_lt_u32_e64 v115, v138
	s_cbranch_execz .LBB427_1144
.LBB427_1214:                           ;   in Loop: Header=BB427_1040 Depth=2
	v_add_co_u32 v5, s40, 0x1000, v39
	v_add_co_ci_u32_e64 v6, null, 0, v40, s40
	global_load_dwordx2 v[5:6], v[5:6], off
	s_or_b32 exec_lo, exec_lo, s50
	s_and_saveexec_b32 s40, s38
	s_cbranch_execz .LBB427_1145
.LBB427_1215:                           ;   in Loop: Header=BB427_1040 Depth=2
	ds_read_u8 v39, v0 offset:512
	s_waitcnt lgkmcnt(0)
	v_lshrrev_b32_e32 v39, s41, v39
	v_and_b32_e32 v134, s62, v39
	s_or_b32 exec_lo, exec_lo, s40
	s_and_saveexec_b32 s40, s39
	s_cbranch_execz .LBB427_1146
.LBB427_1216:                           ;   in Loop: Header=BB427_1040 Depth=2
	ds_read_u8 v39, v0 offset:768
	s_waitcnt lgkmcnt(0)
	v_lshrrev_b32_e32 v39, s41, v39
	v_and_b32_e32 v133, s62, v39
	s_or_b32 exec_lo, exec_lo, s40
	s_and_saveexec_b32 s40, s37
	s_cbranch_execz .LBB427_1147
.LBB427_1217:                           ;   in Loop: Header=BB427_1040 Depth=2
	ds_read_u8 v39, v0 offset:1024
	s_waitcnt lgkmcnt(0)
	v_lshrrev_b32_e32 v39, s41, v39
	v_and_b32_e32 v132, s62, v39
	s_or_b32 exec_lo, exec_lo, s40
	s_and_saveexec_b32 s40, s36
	s_cbranch_execz .LBB427_1148
.LBB427_1218:                           ;   in Loop: Header=BB427_1040 Depth=2
	ds_read_u8 v39, v0 offset:1280
	s_waitcnt lgkmcnt(0)
	v_lshrrev_b32_e32 v39, s41, v39
	v_and_b32_e32 v131, s62, v39
	s_or_b32 exec_lo, exec_lo, s40
	s_and_saveexec_b32 s40, s35
	s_cbranch_execz .LBB427_1149
.LBB427_1219:                           ;   in Loop: Header=BB427_1040 Depth=2
	ds_read_u8 v39, v0 offset:1536
	s_waitcnt lgkmcnt(0)
	v_lshrrev_b32_e32 v39, s41, v39
	v_and_b32_e32 v130, s62, v39
	s_or_b32 exec_lo, exec_lo, s40
	s_and_saveexec_b32 s40, s34
	s_cbranch_execz .LBB427_1150
.LBB427_1220:                           ;   in Loop: Header=BB427_1040 Depth=2
	ds_read_u8 v39, v0 offset:1792
	s_waitcnt lgkmcnt(0)
	v_lshrrev_b32_e32 v39, s41, v39
	v_and_b32_e32 v129, s62, v39
	s_or_b32 exec_lo, exec_lo, s40
	s_and_saveexec_b32 s40, s33
	s_cbranch_execz .LBB427_1151
.LBB427_1221:                           ;   in Loop: Header=BB427_1040 Depth=2
	ds_read_u8 v39, v0 offset:2048
	s_waitcnt lgkmcnt(0)
	v_lshrrev_b32_e32 v39, s41, v39
	v_and_b32_e32 v128, s62, v39
	s_or_b32 exec_lo, exec_lo, s40
	s_and_saveexec_b32 s40, s31
	s_cbranch_execz .LBB427_1152
.LBB427_1222:                           ;   in Loop: Header=BB427_1040 Depth=2
	ds_read_u8 v39, v0 offset:2304
	s_waitcnt lgkmcnt(0)
	v_lshrrev_b32_e32 v39, s41, v39
	v_and_b32_e32 v127, s62, v39
	s_or_b32 exec_lo, exec_lo, s40
	s_and_saveexec_b32 s40, s30
	s_cbranch_execz .LBB427_1153
.LBB427_1223:                           ;   in Loop: Header=BB427_1040 Depth=2
	ds_read_u8 v39, v0 offset:2560
	s_waitcnt lgkmcnt(0)
	v_lshrrev_b32_e32 v39, s41, v39
	v_and_b32_e32 v126, s62, v39
	s_or_b32 exec_lo, exec_lo, s40
	s_and_saveexec_b32 s40, s29
	s_cbranch_execz .LBB427_1154
.LBB427_1224:                           ;   in Loop: Header=BB427_1040 Depth=2
	ds_read_u8 v39, v0 offset:2816
	s_waitcnt lgkmcnt(0)
	v_lshrrev_b32_e32 v39, s41, v39
	v_and_b32_e32 v125, s62, v39
	s_or_b32 exec_lo, exec_lo, s40
	s_and_saveexec_b32 s40, s28
	s_cbranch_execz .LBB427_1155
.LBB427_1225:                           ;   in Loop: Header=BB427_1040 Depth=2
	ds_read_u8 v39, v0 offset:3072
	s_waitcnt lgkmcnt(0)
	v_lshrrev_b32_e32 v39, s41, v39
	v_and_b32_e32 v124, s62, v39
	s_or_b32 exec_lo, exec_lo, s40
	s_and_saveexec_b32 s40, s27
	s_cbranch_execz .LBB427_1156
.LBB427_1226:                           ;   in Loop: Header=BB427_1040 Depth=2
	ds_read_u8 v39, v0 offset:3328
	s_waitcnt lgkmcnt(0)
	v_lshrrev_b32_e32 v39, s41, v39
	v_and_b32_e32 v123, s62, v39
	s_or_b32 exec_lo, exec_lo, s40
	s_and_saveexec_b32 s40, s26
	s_cbranch_execz .LBB427_1157
.LBB427_1227:                           ;   in Loop: Header=BB427_1040 Depth=2
	ds_read_u8 v39, v0 offset:3584
	s_waitcnt lgkmcnt(0)
	v_lshrrev_b32_e32 v39, s41, v39
	v_and_b32_e32 v122, s62, v39
	s_or_b32 exec_lo, exec_lo, s40
	s_and_saveexec_b32 s40, s25
	s_cbranch_execz .LBB427_1158
.LBB427_1228:                           ;   in Loop: Header=BB427_1040 Depth=2
	ds_read_u8 v39, v0 offset:3840
	s_waitcnt lgkmcnt(0)
	v_lshrrev_b32_e32 v39, s41, v39
	v_and_b32_e32 v121, s62, v39
	s_or_b32 exec_lo, exec_lo, s40
	s_and_saveexec_b32 s40, s24
	s_cbranch_execz .LBB427_1159
.LBB427_1229:                           ;   in Loop: Header=BB427_1040 Depth=2
	ds_read_u8 v39, v0 offset:4096
	s_waitcnt lgkmcnt(0)
	v_lshrrev_b32_e32 v39, s41, v39
	v_and_b32_e32 v120, s62, v39
	s_or_b32 exec_lo, exec_lo, s40
	s_and_saveexec_b32 s40, s23
	s_cbranch_execz .LBB427_1160
.LBB427_1230:                           ;   in Loop: Header=BB427_1040 Depth=2
	ds_read_u8 v39, v0 offset:4352
	s_waitcnt lgkmcnt(0)
	v_lshrrev_b32_e32 v39, s41, v39
	v_and_b32_e32 v119, s62, v39
	s_or_b32 exec_lo, exec_lo, s40
	s_and_saveexec_b32 s40, vcc_lo
	s_cbranch_execnz .LBB427_1161
	s_branch .LBB427_1162
.LBB427_1231:                           ;   in Loop: Header=BB427_1040 Depth=2
	v_lshlrev_b32_e32 v3, 2, v134
	ds_read_b32 v3, v3
	ds_read_b64 v[40:41], v39 offset:512
	s_waitcnt lgkmcnt(1)
	v_add_nc_u32_e32 v3, v3, v0
	v_lshlrev_b64 v[137:138], 3, v[3:4]
	v_add_co_u32 v137, s38, s54, v137
	v_add_co_ci_u32_e64 v138, null, s55, v138, s38
	s_waitcnt lgkmcnt(0)
	global_store_dwordx2 v[137:138], v[40:41], off
	s_or_b32 exec_lo, exec_lo, s40
	s_and_saveexec_b32 s40, s39
	s_cbranch_execz .LBB427_1164
.LBB427_1232:                           ;   in Loop: Header=BB427_1040 Depth=2
	v_lshlrev_b32_e32 v3, 2, v133
	ds_read_b32 v3, v3
	ds_read_b64 v[40:41], v39 offset:2560
	s_waitcnt lgkmcnt(1)
	v_add_nc_u32_e32 v3, v3, v44
	v_lshlrev_b64 v[137:138], 3, v[3:4]
	v_add_co_u32 v137, s38, s54, v137
	v_add_co_ci_u32_e64 v138, null, s55, v138, s38
	s_waitcnt lgkmcnt(0)
	global_store_dwordx2 v[137:138], v[40:41], off
	s_or_b32 exec_lo, exec_lo, s40
	s_and_saveexec_b32 s38, s37
	s_cbranch_execz .LBB427_1165
.LBB427_1233:                           ;   in Loop: Header=BB427_1040 Depth=2
	v_lshlrev_b32_e32 v3, 2, v132
	ds_read_b32 v3, v3
	ds_read_b64 v[40:41], v39 offset:4608
	s_waitcnt lgkmcnt(1)
	v_add_nc_u32_e32 v3, v3, v47
	v_lshlrev_b64 v[137:138], 3, v[3:4]
	v_add_co_u32 v137, s37, s54, v137
	v_add_co_ci_u32_e64 v138, null, s55, v138, s37
	s_waitcnt lgkmcnt(0)
	global_store_dwordx2 v[137:138], v[40:41], off
	s_or_b32 exec_lo, exec_lo, s38
	s_and_saveexec_b32 s37, s36
	s_cbranch_execz .LBB427_1166
.LBB427_1234:                           ;   in Loop: Header=BB427_1040 Depth=2
	v_lshlrev_b32_e32 v3, 2, v131
	ds_read_b32 v3, v3
	ds_read_b64 v[40:41], v39 offset:6656
	s_waitcnt lgkmcnt(1)
	v_add_nc_u32_e32 v3, v3, v48
	v_lshlrev_b64 v[137:138], 3, v[3:4]
	v_add_co_u32 v137, s36, s54, v137
	v_add_co_ci_u32_e64 v138, null, s55, v138, s36
	s_waitcnt lgkmcnt(0)
	global_store_dwordx2 v[137:138], v[40:41], off
	s_or_b32 exec_lo, exec_lo, s37
	s_and_saveexec_b32 s36, s35
	s_cbranch_execz .LBB427_1167
.LBB427_1235:                           ;   in Loop: Header=BB427_1040 Depth=2
	v_lshlrev_b32_e32 v3, 2, v130
	ds_read_b32 v3, v3
	ds_read_b64 v[40:41], v39 offset:8704
	s_waitcnt lgkmcnt(1)
	v_add_nc_u32_e32 v3, v3, v49
	v_lshlrev_b64 v[137:138], 3, v[3:4]
	v_add_co_u32 v137, s35, s54, v137
	v_add_co_ci_u32_e64 v138, null, s55, v138, s35
	s_waitcnt lgkmcnt(0)
	global_store_dwordx2 v[137:138], v[40:41], off
	s_or_b32 exec_lo, exec_lo, s36
	s_and_saveexec_b32 s35, s34
	s_cbranch_execz .LBB427_1168
.LBB427_1236:                           ;   in Loop: Header=BB427_1040 Depth=2
	v_lshlrev_b32_e32 v3, 2, v129
	ds_read_b32 v3, v3
	ds_read_b64 v[40:41], v39 offset:10752
	s_waitcnt lgkmcnt(1)
	v_add_nc_u32_e32 v3, v3, v50
	v_lshlrev_b64 v[137:138], 3, v[3:4]
	v_add_co_u32 v137, s34, s54, v137
	v_add_co_ci_u32_e64 v138, null, s55, v138, s34
	s_waitcnt lgkmcnt(0)
	global_store_dwordx2 v[137:138], v[40:41], off
	s_or_b32 exec_lo, exec_lo, s35
	s_and_saveexec_b32 s34, s33
	s_cbranch_execz .LBB427_1169
.LBB427_1237:                           ;   in Loop: Header=BB427_1040 Depth=2
	v_lshlrev_b32_e32 v3, 2, v128
	ds_read_b32 v3, v3
	ds_read_b64 v[40:41], v39 offset:12800
	s_waitcnt lgkmcnt(1)
	v_add_nc_u32_e32 v3, v3, v51
	v_lshlrev_b64 v[137:138], 3, v[3:4]
	v_add_co_u32 v137, s33, s54, v137
	v_add_co_ci_u32_e64 v138, null, s55, v138, s33
	s_waitcnt lgkmcnt(0)
	global_store_dwordx2 v[137:138], v[40:41], off
	s_or_b32 exec_lo, exec_lo, s34
	s_and_saveexec_b32 s33, s31
	s_cbranch_execz .LBB427_1170
.LBB427_1238:                           ;   in Loop: Header=BB427_1040 Depth=2
	v_lshlrev_b32_e32 v3, 2, v127
	ds_read_b32 v3, v3
	ds_read_b64 v[40:41], v39 offset:14848
	s_waitcnt lgkmcnt(1)
	v_add_nc_u32_e32 v3, v3, v52
	v_lshlrev_b64 v[137:138], 3, v[3:4]
	v_add_co_u32 v137, s31, s54, v137
	v_add_co_ci_u32_e64 v138, null, s55, v138, s31
	s_waitcnt lgkmcnt(0)
	global_store_dwordx2 v[137:138], v[40:41], off
	s_or_b32 exec_lo, exec_lo, s33
	s_and_saveexec_b32 s31, s30
	s_cbranch_execz .LBB427_1171
.LBB427_1239:                           ;   in Loop: Header=BB427_1040 Depth=2
	v_lshlrev_b32_e32 v3, 2, v126
	ds_read_b32 v3, v3
	ds_read_b64 v[40:41], v39 offset:16896
	s_waitcnt lgkmcnt(1)
	v_add_nc_u32_e32 v3, v3, v53
	v_lshlrev_b64 v[137:138], 3, v[3:4]
	v_add_co_u32 v137, s30, s54, v137
	v_add_co_ci_u32_e64 v138, null, s55, v138, s30
	s_waitcnt lgkmcnt(0)
	global_store_dwordx2 v[137:138], v[40:41], off
	s_or_b32 exec_lo, exec_lo, s31
	s_and_saveexec_b32 s30, s29
	s_cbranch_execz .LBB427_1172
.LBB427_1240:                           ;   in Loop: Header=BB427_1040 Depth=2
	v_lshlrev_b32_e32 v3, 2, v125
	ds_read_b32 v3, v3
	ds_read_b64 v[40:41], v39 offset:18944
	s_waitcnt lgkmcnt(1)
	v_add_nc_u32_e32 v3, v3, v54
	v_lshlrev_b64 v[137:138], 3, v[3:4]
	v_add_co_u32 v137, s29, s54, v137
	v_add_co_ci_u32_e64 v138, null, s55, v138, s29
	s_waitcnt lgkmcnt(0)
	global_store_dwordx2 v[137:138], v[40:41], off
	s_or_b32 exec_lo, exec_lo, s30
	s_and_saveexec_b32 s29, s28
	s_cbranch_execz .LBB427_1173
.LBB427_1241:                           ;   in Loop: Header=BB427_1040 Depth=2
	v_lshlrev_b32_e32 v3, 2, v124
	ds_read_b32 v3, v3
	ds_read_b64 v[40:41], v39 offset:20992
	s_waitcnt lgkmcnt(1)
	v_add_nc_u32_e32 v3, v3, v55
	v_lshlrev_b64 v[137:138], 3, v[3:4]
	v_add_co_u32 v137, s28, s54, v137
	v_add_co_ci_u32_e64 v138, null, s55, v138, s28
	s_waitcnt lgkmcnt(0)
	global_store_dwordx2 v[137:138], v[40:41], off
	s_or_b32 exec_lo, exec_lo, s29
	s_and_saveexec_b32 s28, s27
	s_cbranch_execz .LBB427_1174
.LBB427_1242:                           ;   in Loop: Header=BB427_1040 Depth=2
	v_lshlrev_b32_e32 v3, 2, v123
	ds_read_b32 v3, v3
	ds_read_b64 v[40:41], v39 offset:23040
	s_waitcnt lgkmcnt(1)
	v_add_nc_u32_e32 v3, v3, v56
	v_lshlrev_b64 v[137:138], 3, v[3:4]
	v_add_co_u32 v137, s27, s54, v137
	v_add_co_ci_u32_e64 v138, null, s55, v138, s27
	s_waitcnt lgkmcnt(0)
	global_store_dwordx2 v[137:138], v[40:41], off
	s_or_b32 exec_lo, exec_lo, s28
	s_and_saveexec_b32 s27, s26
	s_cbranch_execz .LBB427_1175
.LBB427_1243:                           ;   in Loop: Header=BB427_1040 Depth=2
	v_lshlrev_b32_e32 v3, 2, v122
	ds_read_b32 v3, v3
	ds_read_b64 v[40:41], v39 offset:25088
	s_waitcnt lgkmcnt(1)
	v_add_nc_u32_e32 v3, v3, v57
	v_lshlrev_b64 v[137:138], 3, v[3:4]
	v_add_co_u32 v137, s26, s54, v137
	v_add_co_ci_u32_e64 v138, null, s55, v138, s26
	s_waitcnt lgkmcnt(0)
	global_store_dwordx2 v[137:138], v[40:41], off
	s_or_b32 exec_lo, exec_lo, s27
	s_and_saveexec_b32 s26, s25
	s_cbranch_execz .LBB427_1176
.LBB427_1244:                           ;   in Loop: Header=BB427_1040 Depth=2
	v_lshlrev_b32_e32 v3, 2, v121
	ds_read_b32 v3, v3
	ds_read_b64 v[40:41], v39 offset:27136
	s_waitcnt lgkmcnt(1)
	v_add_nc_u32_e32 v3, v3, v58
	v_lshlrev_b64 v[137:138], 3, v[3:4]
	v_add_co_u32 v137, s25, s54, v137
	v_add_co_ci_u32_e64 v138, null, s55, v138, s25
	s_waitcnt lgkmcnt(0)
	global_store_dwordx2 v[137:138], v[40:41], off
	s_or_b32 exec_lo, exec_lo, s26
	s_and_saveexec_b32 s25, s24
	s_cbranch_execz .LBB427_1177
.LBB427_1245:                           ;   in Loop: Header=BB427_1040 Depth=2
	v_lshlrev_b32_e32 v3, 2, v120
	ds_read_b32 v3, v3
	ds_read_b64 v[40:41], v39 offset:29184
	s_waitcnt lgkmcnt(1)
	v_add_nc_u32_e32 v3, v3, v59
	v_lshlrev_b64 v[137:138], 3, v[3:4]
	v_add_co_u32 v137, s24, s54, v137
	v_add_co_ci_u32_e64 v138, null, s55, v138, s24
	s_waitcnt lgkmcnt(0)
	global_store_dwordx2 v[137:138], v[40:41], off
	s_or_b32 exec_lo, exec_lo, s25
	s_and_saveexec_b32 s24, s23
	s_cbranch_execz .LBB427_1178
.LBB427_1246:                           ;   in Loop: Header=BB427_1040 Depth=2
	v_lshlrev_b32_e32 v3, 2, v119
	ds_read_b32 v3, v3
	ds_read_b64 v[40:41], v39 offset:31232
	s_waitcnt lgkmcnt(1)
	v_add_nc_u32_e32 v3, v3, v60
	v_lshlrev_b64 v[137:138], 3, v[3:4]
	v_add_co_u32 v137, s23, s54, v137
	v_add_co_ci_u32_e64 v138, null, s55, v138, s23
	s_waitcnt lgkmcnt(0)
	global_store_dwordx2 v[137:138], v[40:41], off
	s_or_b32 exec_lo, exec_lo, s24
	s_and_saveexec_b32 s23, vcc_lo
	s_cbranch_execnz .LBB427_1179
	s_branch .LBB427_1180
.LBB427_1247:                           ;   in Loop: Header=BB427_1040 Depth=2
	global_load_ubyte v146, v[39:40], off
	v_mov_b32_e32 v117, 0x7f
	v_mov_b32_e32 v147, 0x7f
	;; [unrolled: 1-line block ×16, first 2 shown]
	s_or_b32 exec_lo, exec_lo, s23
	s_mov_b32 s23, exec_lo
	v_cmpx_gt_u32_e64 s63, v100
	s_cbranch_execz .LBB427_1045
.LBB427_1248:                           ;   in Loop: Header=BB427_1040 Depth=2
	global_load_ubyte v147, v[39:40], off offset:32
	s_or_b32 exec_lo, exec_lo, s23
	s_mov_b32 s23, exec_lo
	v_cmpx_gt_u32_e64 s63, v101
	s_cbranch_execz .LBB427_1046
.LBB427_1249:                           ;   in Loop: Header=BB427_1040 Depth=2
	global_load_ubyte v148, v[39:40], off offset:64
	s_or_b32 exec_lo, exec_lo, s23
	s_mov_b32 s23, exec_lo
	v_cmpx_gt_u32_e64 s63, v102
	s_cbranch_execz .LBB427_1047
.LBB427_1250:                           ;   in Loop: Header=BB427_1040 Depth=2
	global_load_ubyte v151, v[39:40], off offset:96
	s_or_b32 exec_lo, exec_lo, s23
	s_mov_b32 s23, exec_lo
	v_cmpx_gt_u32_e64 s63, v103
	s_cbranch_execz .LBB427_1048
.LBB427_1251:                           ;   in Loop: Header=BB427_1040 Depth=2
	global_load_ubyte v150, v[39:40], off offset:128
	s_or_b32 exec_lo, exec_lo, s23
	s_mov_b32 s23, exec_lo
	v_cmpx_gt_u32_e64 s63, v104
	s_cbranch_execz .LBB427_1049
.LBB427_1252:                           ;   in Loop: Header=BB427_1040 Depth=2
	global_load_ubyte v143, v[39:40], off offset:160
	s_or_b32 exec_lo, exec_lo, s23
	s_mov_b32 s23, exec_lo
	v_cmpx_gt_u32_e64 s63, v105
	s_cbranch_execz .LBB427_1050
.LBB427_1253:                           ;   in Loop: Header=BB427_1040 Depth=2
	global_load_ubyte v144, v[39:40], off offset:192
	s_or_b32 exec_lo, exec_lo, s23
	s_mov_b32 s23, exec_lo
	v_cmpx_gt_u32_e64 s63, v106
	s_cbranch_execz .LBB427_1051
.LBB427_1254:                           ;   in Loop: Header=BB427_1040 Depth=2
	global_load_ubyte v145, v[39:40], off offset:224
	s_or_b32 exec_lo, exec_lo, s23
	s_mov_b32 s23, exec_lo
	v_cmpx_gt_u32_e64 s63, v107
	s_cbranch_execz .LBB427_1052
.LBB427_1255:                           ;   in Loop: Header=BB427_1040 Depth=2
	global_load_ubyte v142, v[39:40], off offset:256
	s_or_b32 exec_lo, exec_lo, s23
	s_mov_b32 s23, exec_lo
	v_cmpx_gt_u32_e64 s63, v108
	s_cbranch_execz .LBB427_1053
.LBB427_1256:                           ;   in Loop: Header=BB427_1040 Depth=2
	global_load_ubyte v139, v[39:40], off offset:288
	s_or_b32 exec_lo, exec_lo, s23
	s_mov_b32 s23, exec_lo
	v_cmpx_gt_u32_e64 s63, v109
	s_cbranch_execz .LBB427_1054
.LBB427_1257:                           ;   in Loop: Header=BB427_1040 Depth=2
	global_load_ubyte v140, v[39:40], off offset:320
	s_or_b32 exec_lo, exec_lo, s23
	s_mov_b32 s23, exec_lo
	v_cmpx_gt_u32_e64 s63, v110
	s_cbranch_execz .LBB427_1055
.LBB427_1258:                           ;   in Loop: Header=BB427_1040 Depth=2
	global_load_ubyte v141, v[39:40], off offset:352
	s_or_b32 exec_lo, exec_lo, s23
	s_mov_b32 s23, exec_lo
	v_cmpx_gt_u32_e64 s63, v111
	s_cbranch_execz .LBB427_1056
.LBB427_1259:                           ;   in Loop: Header=BB427_1040 Depth=2
	global_load_ubyte v137, v[39:40], off offset:384
	s_or_b32 exec_lo, exec_lo, s23
	s_mov_b32 s23, exec_lo
	v_cmpx_gt_u32_e64 s63, v112
	s_cbranch_execz .LBB427_1057
.LBB427_1260:                           ;   in Loop: Header=BB427_1040 Depth=2
	global_load_ubyte v3, v[39:40], off offset:416
	s_or_b32 exec_lo, exec_lo, s23
	s_mov_b32 s23, exec_lo
	v_cmpx_gt_u32_e64 s63, v113
	s_cbranch_execz .LBB427_1058
.LBB427_1261:                           ;   in Loop: Header=BB427_1040 Depth=2
	global_load_ubyte v41, v[39:40], off offset:448
	s_or_b32 exec_lo, exec_lo, s23
	s_mov_b32 s23, exec_lo
	v_cmpx_gt_u32_e64 s63, v114
	s_cbranch_execnz .LBB427_1059
	s_branch .LBB427_1060
.LBB427_1262:
	s_endpgm
	.section	.rodata,"a",@progbits
	.p2align	6, 0x0
	.amdhsa_kernel _ZN7rocprim17ROCPRIM_400000_NS6detail17trampoline_kernelINS0_14default_configENS1_36segmented_radix_sort_config_selectorIalEEZNS1_25segmented_radix_sort_implIS3_Lb0EPKaPaPKlPlN2at6native12_GLOBAL__N_18offset_tEEE10hipError_tPvRmT1_PNSt15iterator_traitsISK_E10value_typeET2_T3_PNSL_ISQ_E10value_typeET4_jRbjT5_SW_jjP12ihipStream_tbEUlT_E2_NS1_11comp_targetILNS1_3genE8ELNS1_11target_archE1030ELNS1_3gpuE2ELNS1_3repE0EEENS1_30default_config_static_selectorELNS0_4arch9wavefront6targetE0EEEvSK_
		.amdhsa_group_segment_fixed_size 35344
		.amdhsa_private_segment_fixed_size 240
		.amdhsa_kernarg_size 336
		.amdhsa_user_sgpr_count 6
		.amdhsa_user_sgpr_private_segment_buffer 1
		.amdhsa_user_sgpr_dispatch_ptr 0
		.amdhsa_user_sgpr_queue_ptr 0
		.amdhsa_user_sgpr_kernarg_segment_ptr 1
		.amdhsa_user_sgpr_dispatch_id 0
		.amdhsa_user_sgpr_flat_scratch_init 0
		.amdhsa_user_sgpr_private_segment_size 0
		.amdhsa_wavefront_size32 1
		.amdhsa_uses_dynamic_stack 0
		.amdhsa_system_sgpr_private_segment_wavefront_offset 1
		.amdhsa_system_sgpr_workgroup_id_x 1
		.amdhsa_system_sgpr_workgroup_id_y 1
		.amdhsa_system_sgpr_workgroup_id_z 0
		.amdhsa_system_sgpr_workgroup_info 0
		.amdhsa_system_vgpr_workitem_id 2
		.amdhsa_next_free_vgpr 248
		.amdhsa_next_free_sgpr 68
		.amdhsa_reserve_vcc 1
		.amdhsa_reserve_flat_scratch 0
		.amdhsa_float_round_mode_32 0
		.amdhsa_float_round_mode_16_64 0
		.amdhsa_float_denorm_mode_32 3
		.amdhsa_float_denorm_mode_16_64 3
		.amdhsa_dx10_clamp 1
		.amdhsa_ieee_mode 1
		.amdhsa_fp16_overflow 0
		.amdhsa_workgroup_processor_mode 1
		.amdhsa_memory_ordered 1
		.amdhsa_forward_progress 1
		.amdhsa_shared_vgpr_count 0
		.amdhsa_exception_fp_ieee_invalid_op 0
		.amdhsa_exception_fp_denorm_src 0
		.amdhsa_exception_fp_ieee_div_zero 0
		.amdhsa_exception_fp_ieee_overflow 0
		.amdhsa_exception_fp_ieee_underflow 0
		.amdhsa_exception_fp_ieee_inexact 0
		.amdhsa_exception_int_div_zero 0
	.end_amdhsa_kernel
	.section	.text._ZN7rocprim17ROCPRIM_400000_NS6detail17trampoline_kernelINS0_14default_configENS1_36segmented_radix_sort_config_selectorIalEEZNS1_25segmented_radix_sort_implIS3_Lb0EPKaPaPKlPlN2at6native12_GLOBAL__N_18offset_tEEE10hipError_tPvRmT1_PNSt15iterator_traitsISK_E10value_typeET2_T3_PNSL_ISQ_E10value_typeET4_jRbjT5_SW_jjP12ihipStream_tbEUlT_E2_NS1_11comp_targetILNS1_3genE8ELNS1_11target_archE1030ELNS1_3gpuE2ELNS1_3repE0EEENS1_30default_config_static_selectorELNS0_4arch9wavefront6targetE0EEEvSK_,"axG",@progbits,_ZN7rocprim17ROCPRIM_400000_NS6detail17trampoline_kernelINS0_14default_configENS1_36segmented_radix_sort_config_selectorIalEEZNS1_25segmented_radix_sort_implIS3_Lb0EPKaPaPKlPlN2at6native12_GLOBAL__N_18offset_tEEE10hipError_tPvRmT1_PNSt15iterator_traitsISK_E10value_typeET2_T3_PNSL_ISQ_E10value_typeET4_jRbjT5_SW_jjP12ihipStream_tbEUlT_E2_NS1_11comp_targetILNS1_3genE8ELNS1_11target_archE1030ELNS1_3gpuE2ELNS1_3repE0EEENS1_30default_config_static_selectorELNS0_4arch9wavefront6targetE0EEEvSK_,comdat
.Lfunc_end427:
	.size	_ZN7rocprim17ROCPRIM_400000_NS6detail17trampoline_kernelINS0_14default_configENS1_36segmented_radix_sort_config_selectorIalEEZNS1_25segmented_radix_sort_implIS3_Lb0EPKaPaPKlPlN2at6native12_GLOBAL__N_18offset_tEEE10hipError_tPvRmT1_PNSt15iterator_traitsISK_E10value_typeET2_T3_PNSL_ISQ_E10value_typeET4_jRbjT5_SW_jjP12ihipStream_tbEUlT_E2_NS1_11comp_targetILNS1_3genE8ELNS1_11target_archE1030ELNS1_3gpuE2ELNS1_3repE0EEENS1_30default_config_static_selectorELNS0_4arch9wavefront6targetE0EEEvSK_, .Lfunc_end427-_ZN7rocprim17ROCPRIM_400000_NS6detail17trampoline_kernelINS0_14default_configENS1_36segmented_radix_sort_config_selectorIalEEZNS1_25segmented_radix_sort_implIS3_Lb0EPKaPaPKlPlN2at6native12_GLOBAL__N_18offset_tEEE10hipError_tPvRmT1_PNSt15iterator_traitsISK_E10value_typeET2_T3_PNSL_ISQ_E10value_typeET4_jRbjT5_SW_jjP12ihipStream_tbEUlT_E2_NS1_11comp_targetILNS1_3genE8ELNS1_11target_archE1030ELNS1_3gpuE2ELNS1_3repE0EEENS1_30default_config_static_selectorELNS0_4arch9wavefront6targetE0EEEvSK_
                                        ; -- End function
	.set _ZN7rocprim17ROCPRIM_400000_NS6detail17trampoline_kernelINS0_14default_configENS1_36segmented_radix_sort_config_selectorIalEEZNS1_25segmented_radix_sort_implIS3_Lb0EPKaPaPKlPlN2at6native12_GLOBAL__N_18offset_tEEE10hipError_tPvRmT1_PNSt15iterator_traitsISK_E10value_typeET2_T3_PNSL_ISQ_E10value_typeET4_jRbjT5_SW_jjP12ihipStream_tbEUlT_E2_NS1_11comp_targetILNS1_3genE8ELNS1_11target_archE1030ELNS1_3gpuE2ELNS1_3repE0EEENS1_30default_config_static_selectorELNS0_4arch9wavefront6targetE0EEEvSK_.num_vgpr, max(205, .L_ZN7rocprim17ROCPRIM_400000_NS6detail26segmented_warp_sort_helperINS1_20WarpSortHelperConfigILj32ELj4ELj256EEEalLi256ELb0EvE4sortIPKaPaPKlPlEEvT_T0_T1_T2_jjjjRNS5_12storage_typeE.num_vgpr, .L_ZN7rocprim17ROCPRIM_400000_NS6detail40segmented_radix_sort_single_block_helperIalLj256ELj17ELb0EE4sortIPKaPaPKlPlEEbT_T0_T1_T2_jjjjRNS3_12storage_typeE.num_vgpr)
	.set _ZN7rocprim17ROCPRIM_400000_NS6detail17trampoline_kernelINS0_14default_configENS1_36segmented_radix_sort_config_selectorIalEEZNS1_25segmented_radix_sort_implIS3_Lb0EPKaPaPKlPlN2at6native12_GLOBAL__N_18offset_tEEE10hipError_tPvRmT1_PNSt15iterator_traitsISK_E10value_typeET2_T3_PNSL_ISQ_E10value_typeET4_jRbjT5_SW_jjP12ihipStream_tbEUlT_E2_NS1_11comp_targetILNS1_3genE8ELNS1_11target_archE1030ELNS1_3gpuE2ELNS1_3repE0EEENS1_30default_config_static_selectorELNS0_4arch9wavefront6targetE0EEEvSK_.num_agpr, max(0, .L_ZN7rocprim17ROCPRIM_400000_NS6detail26segmented_warp_sort_helperINS1_20WarpSortHelperConfigILj32ELj4ELj256EEEalLi256ELb0EvE4sortIPKaPaPKlPlEEvT_T0_T1_T2_jjjjRNS5_12storage_typeE.num_agpr, .L_ZN7rocprim17ROCPRIM_400000_NS6detail40segmented_radix_sort_single_block_helperIalLj256ELj17ELb0EE4sortIPKaPaPKlPlEEbT_T0_T1_T2_jjjjRNS3_12storage_typeE.num_agpr)
	.set _ZN7rocprim17ROCPRIM_400000_NS6detail17trampoline_kernelINS0_14default_configENS1_36segmented_radix_sort_config_selectorIalEEZNS1_25segmented_radix_sort_implIS3_Lb0EPKaPaPKlPlN2at6native12_GLOBAL__N_18offset_tEEE10hipError_tPvRmT1_PNSt15iterator_traitsISK_E10value_typeET2_T3_PNSL_ISQ_E10value_typeET4_jRbjT5_SW_jjP12ihipStream_tbEUlT_E2_NS1_11comp_targetILNS1_3genE8ELNS1_11target_archE1030ELNS1_3gpuE2ELNS1_3repE0EEENS1_30default_config_static_selectorELNS0_4arch9wavefront6targetE0EEEvSK_.numbered_sgpr, max(68, .L_ZN7rocprim17ROCPRIM_400000_NS6detail26segmented_warp_sort_helperINS1_20WarpSortHelperConfigILj32ELj4ELj256EEEalLi256ELb0EvE4sortIPKaPaPKlPlEEvT_T0_T1_T2_jjjjRNS5_12storage_typeE.numbered_sgpr, .L_ZN7rocprim17ROCPRIM_400000_NS6detail40segmented_radix_sort_single_block_helperIalLj256ELj17ELb0EE4sortIPKaPaPKlPlEEbT_T0_T1_T2_jjjjRNS3_12storage_typeE.numbered_sgpr)
	.set _ZN7rocprim17ROCPRIM_400000_NS6detail17trampoline_kernelINS0_14default_configENS1_36segmented_radix_sort_config_selectorIalEEZNS1_25segmented_radix_sort_implIS3_Lb0EPKaPaPKlPlN2at6native12_GLOBAL__N_18offset_tEEE10hipError_tPvRmT1_PNSt15iterator_traitsISK_E10value_typeET2_T3_PNSL_ISQ_E10value_typeET4_jRbjT5_SW_jjP12ihipStream_tbEUlT_E2_NS1_11comp_targetILNS1_3genE8ELNS1_11target_archE1030ELNS1_3gpuE2ELNS1_3repE0EEENS1_30default_config_static_selectorELNS0_4arch9wavefront6targetE0EEEvSK_.num_named_barrier, max(0, .L_ZN7rocprim17ROCPRIM_400000_NS6detail26segmented_warp_sort_helperINS1_20WarpSortHelperConfigILj32ELj4ELj256EEEalLi256ELb0EvE4sortIPKaPaPKlPlEEvT_T0_T1_T2_jjjjRNS5_12storage_typeE.num_named_barrier, .L_ZN7rocprim17ROCPRIM_400000_NS6detail40segmented_radix_sort_single_block_helperIalLj256ELj17ELb0EE4sortIPKaPaPKlPlEEbT_T0_T1_T2_jjjjRNS3_12storage_typeE.num_named_barrier)
	.set _ZN7rocprim17ROCPRIM_400000_NS6detail17trampoline_kernelINS0_14default_configENS1_36segmented_radix_sort_config_selectorIalEEZNS1_25segmented_radix_sort_implIS3_Lb0EPKaPaPKlPlN2at6native12_GLOBAL__N_18offset_tEEE10hipError_tPvRmT1_PNSt15iterator_traitsISK_E10value_typeET2_T3_PNSL_ISQ_E10value_typeET4_jRbjT5_SW_jjP12ihipStream_tbEUlT_E2_NS1_11comp_targetILNS1_3genE8ELNS1_11target_archE1030ELNS1_3gpuE2ELNS1_3repE0EEENS1_30default_config_static_selectorELNS0_4arch9wavefront6targetE0EEEvSK_.private_seg_size, 0+max(.L_ZN7rocprim17ROCPRIM_400000_NS6detail26segmented_warp_sort_helperINS1_20WarpSortHelperConfigILj32ELj4ELj256EEEalLi256ELb0EvE4sortIPKaPaPKlPlEEvT_T0_T1_T2_jjjjRNS5_12storage_typeE.private_seg_size, .L_ZN7rocprim17ROCPRIM_400000_NS6detail40segmented_radix_sort_single_block_helperIalLj256ELj17ELb0EE4sortIPKaPaPKlPlEEbT_T0_T1_T2_jjjjRNS3_12storage_typeE.private_seg_size)
	.set _ZN7rocprim17ROCPRIM_400000_NS6detail17trampoline_kernelINS0_14default_configENS1_36segmented_radix_sort_config_selectorIalEEZNS1_25segmented_radix_sort_implIS3_Lb0EPKaPaPKlPlN2at6native12_GLOBAL__N_18offset_tEEE10hipError_tPvRmT1_PNSt15iterator_traitsISK_E10value_typeET2_T3_PNSL_ISQ_E10value_typeET4_jRbjT5_SW_jjP12ihipStream_tbEUlT_E2_NS1_11comp_targetILNS1_3genE8ELNS1_11target_archE1030ELNS1_3gpuE2ELNS1_3repE0EEENS1_30default_config_static_selectorELNS0_4arch9wavefront6targetE0EEEvSK_.uses_vcc, or(1, .L_ZN7rocprim17ROCPRIM_400000_NS6detail26segmented_warp_sort_helperINS1_20WarpSortHelperConfigILj32ELj4ELj256EEEalLi256ELb0EvE4sortIPKaPaPKlPlEEvT_T0_T1_T2_jjjjRNS5_12storage_typeE.uses_vcc, .L_ZN7rocprim17ROCPRIM_400000_NS6detail40segmented_radix_sort_single_block_helperIalLj256ELj17ELb0EE4sortIPKaPaPKlPlEEbT_T0_T1_T2_jjjjRNS3_12storage_typeE.uses_vcc)
	.set _ZN7rocprim17ROCPRIM_400000_NS6detail17trampoline_kernelINS0_14default_configENS1_36segmented_radix_sort_config_selectorIalEEZNS1_25segmented_radix_sort_implIS3_Lb0EPKaPaPKlPlN2at6native12_GLOBAL__N_18offset_tEEE10hipError_tPvRmT1_PNSt15iterator_traitsISK_E10value_typeET2_T3_PNSL_ISQ_E10value_typeET4_jRbjT5_SW_jjP12ihipStream_tbEUlT_E2_NS1_11comp_targetILNS1_3genE8ELNS1_11target_archE1030ELNS1_3gpuE2ELNS1_3repE0EEENS1_30default_config_static_selectorELNS0_4arch9wavefront6targetE0EEEvSK_.uses_flat_scratch, or(0, .L_ZN7rocprim17ROCPRIM_400000_NS6detail26segmented_warp_sort_helperINS1_20WarpSortHelperConfigILj32ELj4ELj256EEEalLi256ELb0EvE4sortIPKaPaPKlPlEEvT_T0_T1_T2_jjjjRNS5_12storage_typeE.uses_flat_scratch, .L_ZN7rocprim17ROCPRIM_400000_NS6detail40segmented_radix_sort_single_block_helperIalLj256ELj17ELb0EE4sortIPKaPaPKlPlEEbT_T0_T1_T2_jjjjRNS3_12storage_typeE.uses_flat_scratch)
	.set _ZN7rocprim17ROCPRIM_400000_NS6detail17trampoline_kernelINS0_14default_configENS1_36segmented_radix_sort_config_selectorIalEEZNS1_25segmented_radix_sort_implIS3_Lb0EPKaPaPKlPlN2at6native12_GLOBAL__N_18offset_tEEE10hipError_tPvRmT1_PNSt15iterator_traitsISK_E10value_typeET2_T3_PNSL_ISQ_E10value_typeET4_jRbjT5_SW_jjP12ihipStream_tbEUlT_E2_NS1_11comp_targetILNS1_3genE8ELNS1_11target_archE1030ELNS1_3gpuE2ELNS1_3repE0EEENS1_30default_config_static_selectorELNS0_4arch9wavefront6targetE0EEEvSK_.has_dyn_sized_stack, or(0, .L_ZN7rocprim17ROCPRIM_400000_NS6detail26segmented_warp_sort_helperINS1_20WarpSortHelperConfigILj32ELj4ELj256EEEalLi256ELb0EvE4sortIPKaPaPKlPlEEvT_T0_T1_T2_jjjjRNS5_12storage_typeE.has_dyn_sized_stack, .L_ZN7rocprim17ROCPRIM_400000_NS6detail40segmented_radix_sort_single_block_helperIalLj256ELj17ELb0EE4sortIPKaPaPKlPlEEbT_T0_T1_T2_jjjjRNS3_12storage_typeE.has_dyn_sized_stack)
	.set _ZN7rocprim17ROCPRIM_400000_NS6detail17trampoline_kernelINS0_14default_configENS1_36segmented_radix_sort_config_selectorIalEEZNS1_25segmented_radix_sort_implIS3_Lb0EPKaPaPKlPlN2at6native12_GLOBAL__N_18offset_tEEE10hipError_tPvRmT1_PNSt15iterator_traitsISK_E10value_typeET2_T3_PNSL_ISQ_E10value_typeET4_jRbjT5_SW_jjP12ihipStream_tbEUlT_E2_NS1_11comp_targetILNS1_3genE8ELNS1_11target_archE1030ELNS1_3gpuE2ELNS1_3repE0EEENS1_30default_config_static_selectorELNS0_4arch9wavefront6targetE0EEEvSK_.has_recursion, or(0, .L_ZN7rocprim17ROCPRIM_400000_NS6detail26segmented_warp_sort_helperINS1_20WarpSortHelperConfigILj32ELj4ELj256EEEalLi256ELb0EvE4sortIPKaPaPKlPlEEvT_T0_T1_T2_jjjjRNS5_12storage_typeE.has_recursion, .L_ZN7rocprim17ROCPRIM_400000_NS6detail40segmented_radix_sort_single_block_helperIalLj256ELj17ELb0EE4sortIPKaPaPKlPlEEbT_T0_T1_T2_jjjjRNS3_12storage_typeE.has_recursion)
	.set _ZN7rocprim17ROCPRIM_400000_NS6detail17trampoline_kernelINS0_14default_configENS1_36segmented_radix_sort_config_selectorIalEEZNS1_25segmented_radix_sort_implIS3_Lb0EPKaPaPKlPlN2at6native12_GLOBAL__N_18offset_tEEE10hipError_tPvRmT1_PNSt15iterator_traitsISK_E10value_typeET2_T3_PNSL_ISQ_E10value_typeET4_jRbjT5_SW_jjP12ihipStream_tbEUlT_E2_NS1_11comp_targetILNS1_3genE8ELNS1_11target_archE1030ELNS1_3gpuE2ELNS1_3repE0EEENS1_30default_config_static_selectorELNS0_4arch9wavefront6targetE0EEEvSK_.has_indirect_call, or(0, .L_ZN7rocprim17ROCPRIM_400000_NS6detail26segmented_warp_sort_helperINS1_20WarpSortHelperConfigILj32ELj4ELj256EEEalLi256ELb0EvE4sortIPKaPaPKlPlEEvT_T0_T1_T2_jjjjRNS5_12storage_typeE.has_indirect_call, .L_ZN7rocprim17ROCPRIM_400000_NS6detail40segmented_radix_sort_single_block_helperIalLj256ELj17ELb0EE4sortIPKaPaPKlPlEEbT_T0_T1_T2_jjjjRNS3_12storage_typeE.has_indirect_call)
	.section	.AMDGPU.csdata,"",@progbits
; Kernel info:
; codeLenInByte = 66728
; TotalNumSgprs: 70
; NumVgprs: 248
; ScratchSize: 240
; MemoryBound: 0
; FloatMode: 240
; IeeeMode: 1
; LDSByteSize: 35344 bytes/workgroup (compile time only)
; SGPRBlocks: 0
; VGPRBlocks: 30
; NumSGPRsForWavesPerEU: 70
; NumVGPRsForWavesPerEU: 248
; Occupancy: 4
; WaveLimiterHint : 1
; COMPUTE_PGM_RSRC2:SCRATCH_EN: 1
; COMPUTE_PGM_RSRC2:USER_SGPR: 6
; COMPUTE_PGM_RSRC2:TRAP_HANDLER: 0
; COMPUTE_PGM_RSRC2:TGID_X_EN: 1
; COMPUTE_PGM_RSRC2:TGID_Y_EN: 1
; COMPUTE_PGM_RSRC2:TGID_Z_EN: 0
; COMPUTE_PGM_RSRC2:TIDIG_COMP_CNT: 2
	.section	.text._ZN2at6native12_GLOBAL__N_123sort_postprocess_kernelIiEEvPKT_PS3_PlPK15HIP_vector_typeIiLj2EEii,"axG",@progbits,_ZN2at6native12_GLOBAL__N_123sort_postprocess_kernelIiEEvPKT_PS3_PlPK15HIP_vector_typeIiLj2EEii,comdat
	.globl	_ZN2at6native12_GLOBAL__N_123sort_postprocess_kernelIiEEvPKT_PS3_PlPK15HIP_vector_typeIiLj2EEii ; -- Begin function _ZN2at6native12_GLOBAL__N_123sort_postprocess_kernelIiEEvPKT_PS3_PlPK15HIP_vector_typeIiLj2EEii
	.p2align	8
	.type	_ZN2at6native12_GLOBAL__N_123sort_postprocess_kernelIiEEvPKT_PS3_PlPK15HIP_vector_typeIiLj2EEii,@function
_ZN2at6native12_GLOBAL__N_123sort_postprocess_kernelIiEEvPKT_PS3_PlPK15HIP_vector_typeIiLj2EEii: ; @_ZN2at6native12_GLOBAL__N_123sort_postprocess_kernelIiEEvPKT_PS3_PlPK15HIP_vector_typeIiLj2EEii
; %bb.0:
	s_clause 0x1
	s_load_dword s2, s[4:5], 0x34
	s_load_dwordx2 s[8:9], s[4:5], 0x20
	s_add_u32 s0, s4, 40
	s_addc_u32 s1, s5, 0
	s_waitcnt lgkmcnt(0)
	s_and_b32 s15, s2, 0xffff
	s_mul_i32 s13, s15, s6
	s_mul_hi_u32 s12, s15, s6
	v_add_co_u32 v1, s2, s13, v0
	v_add_co_ci_u32_e64 v2, null, s12, 0, s2
	s_mul_i32 s2, s9, s8
	s_ashr_i32 s3, s2, 31
	v_cmp_gt_i64_e32 vcc_lo, s[2:3], v[1:2]
	v_mov_b32_e32 v1, 0
	s_and_saveexec_b32 s6, vcc_lo
	s_cbranch_execz .LBB428_3
; %bb.1:
	s_abs_i32 s14, s9
	s_load_dword s0, s[0:1], 0x0
	v_cvt_f32_u32_e32 v2, s14
	s_sub_i32 s1, 0, s14
	s_load_dwordx8 s[4:11], s[4:5], 0x0
	v_rcp_iflag_f32_e32 v2, v2
	v_mul_f32_e32 v2, 0x4f7ffffe, v2
	v_cvt_u32_f32_e32 v2, v2
	v_mul_lo_u32 v3, s1, v2
	s_waitcnt lgkmcnt(0)
	s_mul_i32 s1, s0, s15
	s_mov_b32 s15, 0
	v_mul_hi_u32 v3, v2, v3
	v_add_nc_u32_e32 v2, v2, v3
.LBB428_2:                              ; =>This Inner Loop Header: Depth=1
	v_add_nc_u32_e32 v3, s13, v0
	v_sub_nc_u32_e32 v4, 0, v3
	v_ashrrev_i32_e32 v6, 31, v3
	v_max_i32_e32 v4, v3, v4
	v_add_nc_u32_e32 v3, v3, v6
	v_mul_hi_u32 v5, v4, v2
	v_mul_lo_u32 v5, v5, s14
	v_sub_nc_u32_e32 v4, v4, v5
	v_subrev_nc_u32_e32 v5, s14, v4
	v_cmp_le_u32_e32 vcc_lo, s14, v4
	v_cndmask_b32_e32 v4, v4, v5, vcc_lo
	v_subrev_nc_u32_e32 v5, s14, v4
	v_cmp_le_u32_e32 vcc_lo, s14, v4
	v_cndmask_b32_e32 v4, v4, v5, vcc_lo
	v_xor_b32_e32 v4, v4, v6
	v_sub_nc_u32_e32 v3, v3, v4
	v_sub_nc_u32_e32 v5, v4, v6
	v_ashrrev_i32_e32 v4, 31, v3
	v_ashrrev_i32_e32 v6, 31, v5
	v_lshlrev_b64 v[7:8], 3, v[3:4]
	v_lshlrev_b64 v[9:10], 3, v[5:6]
	;; [unrolled: 1-line block ×4, first 2 shown]
	v_add_co_u32 v11, vcc_lo, s10, v7
	v_add_co_ci_u32_e64 v12, null, s11, v8, vcc_lo
	v_add_co_u32 v7, s0, s8, v7
	v_add_co_u32 v11, vcc_lo, v11, v9
	v_add_co_ci_u32_e64 v12, null, v12, v10, vcc_lo
	v_add_co_u32 v15, vcc_lo, s4, v3
	v_add_co_ci_u32_e64 v16, null, s5, v4, vcc_lo
	global_load_dword v11, v[11:12], off offset:4
	v_add_co_ci_u32_e64 v8, null, s9, v8, s0
	s_waitcnt vmcnt(0)
	v_ashrrev_i32_e32 v12, 31, v11
	v_lshlrev_b64 v[13:14], 2, v[11:12]
	v_add_co_u32 v13, vcc_lo, v15, v13
	v_add_co_ci_u32_e64 v14, null, v16, v14, vcc_lo
	v_add_co_u32 v0, vcc_lo, v0, s1
	v_add_co_ci_u32_e64 v1, null, 0, v1, vcc_lo
	global_load_dword v15, v[13:14], off
	v_add_co_u32 v13, vcc_lo, s13, v0
	v_add_co_ci_u32_e64 v14, null, s12, v1, vcc_lo
	v_cmp_le_i64_e32 vcc_lo, s[2:3], v[13:14]
	v_add_co_u32 v13, s0, s6, v3
	v_add_co_ci_u32_e64 v14, null, s7, v4, s0
	v_add_co_u32 v3, s0, v7, v9
	v_add_co_ci_u32_e64 v4, null, v8, v10, s0
	;; [unrolled: 2-line block ×3, first 2 shown]
	s_or_b32 s15, vcc_lo, s15
	global_store_dwordx2 v[3:4], v[11:12], off
	s_waitcnt vmcnt(0)
	global_store_dword v[5:6], v15, off
	s_andn2_b32 exec_lo, exec_lo, s15
	s_cbranch_execnz .LBB428_2
.LBB428_3:
	s_endpgm
	.section	.rodata,"a",@progbits
	.p2align	6, 0x0
	.amdhsa_kernel _ZN2at6native12_GLOBAL__N_123sort_postprocess_kernelIiEEvPKT_PS3_PlPK15HIP_vector_typeIiLj2EEii
		.amdhsa_group_segment_fixed_size 0
		.amdhsa_private_segment_fixed_size 0
		.amdhsa_kernarg_size 296
		.amdhsa_user_sgpr_count 6
		.amdhsa_user_sgpr_private_segment_buffer 1
		.amdhsa_user_sgpr_dispatch_ptr 0
		.amdhsa_user_sgpr_queue_ptr 0
		.amdhsa_user_sgpr_kernarg_segment_ptr 1
		.amdhsa_user_sgpr_dispatch_id 0
		.amdhsa_user_sgpr_flat_scratch_init 0
		.amdhsa_user_sgpr_private_segment_size 0
		.amdhsa_wavefront_size32 1
		.amdhsa_uses_dynamic_stack 0
		.amdhsa_system_sgpr_private_segment_wavefront_offset 0
		.amdhsa_system_sgpr_workgroup_id_x 1
		.amdhsa_system_sgpr_workgroup_id_y 0
		.amdhsa_system_sgpr_workgroup_id_z 0
		.amdhsa_system_sgpr_workgroup_info 0
		.amdhsa_system_vgpr_workitem_id 0
		.amdhsa_next_free_vgpr 17
		.amdhsa_next_free_sgpr 16
		.amdhsa_reserve_vcc 1
		.amdhsa_reserve_flat_scratch 0
		.amdhsa_float_round_mode_32 0
		.amdhsa_float_round_mode_16_64 0
		.amdhsa_float_denorm_mode_32 3
		.amdhsa_float_denorm_mode_16_64 3
		.amdhsa_dx10_clamp 1
		.amdhsa_ieee_mode 1
		.amdhsa_fp16_overflow 0
		.amdhsa_workgroup_processor_mode 1
		.amdhsa_memory_ordered 1
		.amdhsa_forward_progress 1
		.amdhsa_shared_vgpr_count 0
		.amdhsa_exception_fp_ieee_invalid_op 0
		.amdhsa_exception_fp_denorm_src 0
		.amdhsa_exception_fp_ieee_div_zero 0
		.amdhsa_exception_fp_ieee_overflow 0
		.amdhsa_exception_fp_ieee_underflow 0
		.amdhsa_exception_fp_ieee_inexact 0
		.amdhsa_exception_int_div_zero 0
	.end_amdhsa_kernel
	.section	.text._ZN2at6native12_GLOBAL__N_123sort_postprocess_kernelIiEEvPKT_PS3_PlPK15HIP_vector_typeIiLj2EEii,"axG",@progbits,_ZN2at6native12_GLOBAL__N_123sort_postprocess_kernelIiEEvPKT_PS3_PlPK15HIP_vector_typeIiLj2EEii,comdat
.Lfunc_end428:
	.size	_ZN2at6native12_GLOBAL__N_123sort_postprocess_kernelIiEEvPKT_PS3_PlPK15HIP_vector_typeIiLj2EEii, .Lfunc_end428-_ZN2at6native12_GLOBAL__N_123sort_postprocess_kernelIiEEvPKT_PS3_PlPK15HIP_vector_typeIiLj2EEii
                                        ; -- End function
	.set _ZN2at6native12_GLOBAL__N_123sort_postprocess_kernelIiEEvPKT_PS3_PlPK15HIP_vector_typeIiLj2EEii.num_vgpr, 17
	.set _ZN2at6native12_GLOBAL__N_123sort_postprocess_kernelIiEEvPKT_PS3_PlPK15HIP_vector_typeIiLj2EEii.num_agpr, 0
	.set _ZN2at6native12_GLOBAL__N_123sort_postprocess_kernelIiEEvPKT_PS3_PlPK15HIP_vector_typeIiLj2EEii.numbered_sgpr, 16
	.set _ZN2at6native12_GLOBAL__N_123sort_postprocess_kernelIiEEvPKT_PS3_PlPK15HIP_vector_typeIiLj2EEii.num_named_barrier, 0
	.set _ZN2at6native12_GLOBAL__N_123sort_postprocess_kernelIiEEvPKT_PS3_PlPK15HIP_vector_typeIiLj2EEii.private_seg_size, 0
	.set _ZN2at6native12_GLOBAL__N_123sort_postprocess_kernelIiEEvPKT_PS3_PlPK15HIP_vector_typeIiLj2EEii.uses_vcc, 1
	.set _ZN2at6native12_GLOBAL__N_123sort_postprocess_kernelIiEEvPKT_PS3_PlPK15HIP_vector_typeIiLj2EEii.uses_flat_scratch, 0
	.set _ZN2at6native12_GLOBAL__N_123sort_postprocess_kernelIiEEvPKT_PS3_PlPK15HIP_vector_typeIiLj2EEii.has_dyn_sized_stack, 0
	.set _ZN2at6native12_GLOBAL__N_123sort_postprocess_kernelIiEEvPKT_PS3_PlPK15HIP_vector_typeIiLj2EEii.has_recursion, 0
	.set _ZN2at6native12_GLOBAL__N_123sort_postprocess_kernelIiEEvPKT_PS3_PlPK15HIP_vector_typeIiLj2EEii.has_indirect_call, 0
	.section	.AMDGPU.csdata,"",@progbits
; Kernel info:
; codeLenInByte = 512
; TotalNumSgprs: 18
; NumVgprs: 17
; ScratchSize: 0
; MemoryBound: 0
; FloatMode: 240
; IeeeMode: 1
; LDSByteSize: 0 bytes/workgroup (compile time only)
; SGPRBlocks: 0
; VGPRBlocks: 2
; NumSGPRsForWavesPerEU: 18
; NumVGPRsForWavesPerEU: 17
; Occupancy: 16
; WaveLimiterHint : 1
; COMPUTE_PGM_RSRC2:SCRATCH_EN: 0
; COMPUTE_PGM_RSRC2:USER_SGPR: 6
; COMPUTE_PGM_RSRC2:TRAP_HANDLER: 0
; COMPUTE_PGM_RSRC2:TGID_X_EN: 1
; COMPUTE_PGM_RSRC2:TGID_Y_EN: 0
; COMPUTE_PGM_RSRC2:TGID_Z_EN: 0
; COMPUTE_PGM_RSRC2:TIDIG_COMP_CNT: 0
	.section	.text._ZN7rocprim17ROCPRIM_400000_NS6detail17trampoline_kernelINS0_13select_configILj256ELj13ELNS0_17block_load_methodE3ELS4_3ELS4_3ELNS0_20block_scan_algorithmE0ELj4294967295EEENS1_25partition_config_selectorILNS1_17partition_subalgoE4EjNS0_10empty_typeEbEEZZNS1_14partition_implILS8_4ELb0ES6_15HIP_vector_typeIjLj2EENS0_17counting_iteratorIjlEEPS9_SG_NS0_5tupleIJPjSI_NS0_16reverse_iteratorISI_EEEEENSH_IJSG_SG_SG_EEES9_SI_JZNS1_25segmented_radix_sort_implINS0_14default_configELb1EPKiPiPKlPlN2at6native12_GLOBAL__N_18offset_tEEE10hipError_tPvRmT1_PNSt15iterator_traitsIS12_E10value_typeET2_T3_PNS13_IS18_E10value_typeET4_jRbjT5_S1E_jjP12ihipStream_tbEUljE_ZNSN_ISO_Lb1ESQ_SR_ST_SU_SY_EESZ_S10_S11_S12_S16_S17_S18_S1B_S1C_jS1D_jS1E_S1E_jjS1G_bEUljE0_EEESZ_S10_S11_S18_S1C_S1E_T6_T7_T9_mT8_S1G_bDpT10_ENKUlT_T0_E_clISt17integral_constantIbLb0EES1U_EEDaS1P_S1Q_EUlS1P_E_NS1_11comp_targetILNS1_3genE0ELNS1_11target_archE4294967295ELNS1_3gpuE0ELNS1_3repE0EEENS1_30default_config_static_selectorELNS0_4arch9wavefront6targetE0EEEvS12_,"axG",@progbits,_ZN7rocprim17ROCPRIM_400000_NS6detail17trampoline_kernelINS0_13select_configILj256ELj13ELNS0_17block_load_methodE3ELS4_3ELS4_3ELNS0_20block_scan_algorithmE0ELj4294967295EEENS1_25partition_config_selectorILNS1_17partition_subalgoE4EjNS0_10empty_typeEbEEZZNS1_14partition_implILS8_4ELb0ES6_15HIP_vector_typeIjLj2EENS0_17counting_iteratorIjlEEPS9_SG_NS0_5tupleIJPjSI_NS0_16reverse_iteratorISI_EEEEENSH_IJSG_SG_SG_EEES9_SI_JZNS1_25segmented_radix_sort_implINS0_14default_configELb1EPKiPiPKlPlN2at6native12_GLOBAL__N_18offset_tEEE10hipError_tPvRmT1_PNSt15iterator_traitsIS12_E10value_typeET2_T3_PNS13_IS18_E10value_typeET4_jRbjT5_S1E_jjP12ihipStream_tbEUljE_ZNSN_ISO_Lb1ESQ_SR_ST_SU_SY_EESZ_S10_S11_S12_S16_S17_S18_S1B_S1C_jS1D_jS1E_S1E_jjS1G_bEUljE0_EEESZ_S10_S11_S18_S1C_S1E_T6_T7_T9_mT8_S1G_bDpT10_ENKUlT_T0_E_clISt17integral_constantIbLb0EES1U_EEDaS1P_S1Q_EUlS1P_E_NS1_11comp_targetILNS1_3genE0ELNS1_11target_archE4294967295ELNS1_3gpuE0ELNS1_3repE0EEENS1_30default_config_static_selectorELNS0_4arch9wavefront6targetE0EEEvS12_,comdat
	.globl	_ZN7rocprim17ROCPRIM_400000_NS6detail17trampoline_kernelINS0_13select_configILj256ELj13ELNS0_17block_load_methodE3ELS4_3ELS4_3ELNS0_20block_scan_algorithmE0ELj4294967295EEENS1_25partition_config_selectorILNS1_17partition_subalgoE4EjNS0_10empty_typeEbEEZZNS1_14partition_implILS8_4ELb0ES6_15HIP_vector_typeIjLj2EENS0_17counting_iteratorIjlEEPS9_SG_NS0_5tupleIJPjSI_NS0_16reverse_iteratorISI_EEEEENSH_IJSG_SG_SG_EEES9_SI_JZNS1_25segmented_radix_sort_implINS0_14default_configELb1EPKiPiPKlPlN2at6native12_GLOBAL__N_18offset_tEEE10hipError_tPvRmT1_PNSt15iterator_traitsIS12_E10value_typeET2_T3_PNS13_IS18_E10value_typeET4_jRbjT5_S1E_jjP12ihipStream_tbEUljE_ZNSN_ISO_Lb1ESQ_SR_ST_SU_SY_EESZ_S10_S11_S12_S16_S17_S18_S1B_S1C_jS1D_jS1E_S1E_jjS1G_bEUljE0_EEESZ_S10_S11_S18_S1C_S1E_T6_T7_T9_mT8_S1G_bDpT10_ENKUlT_T0_E_clISt17integral_constantIbLb0EES1U_EEDaS1P_S1Q_EUlS1P_E_NS1_11comp_targetILNS1_3genE0ELNS1_11target_archE4294967295ELNS1_3gpuE0ELNS1_3repE0EEENS1_30default_config_static_selectorELNS0_4arch9wavefront6targetE0EEEvS12_ ; -- Begin function _ZN7rocprim17ROCPRIM_400000_NS6detail17trampoline_kernelINS0_13select_configILj256ELj13ELNS0_17block_load_methodE3ELS4_3ELS4_3ELNS0_20block_scan_algorithmE0ELj4294967295EEENS1_25partition_config_selectorILNS1_17partition_subalgoE4EjNS0_10empty_typeEbEEZZNS1_14partition_implILS8_4ELb0ES6_15HIP_vector_typeIjLj2EENS0_17counting_iteratorIjlEEPS9_SG_NS0_5tupleIJPjSI_NS0_16reverse_iteratorISI_EEEEENSH_IJSG_SG_SG_EEES9_SI_JZNS1_25segmented_radix_sort_implINS0_14default_configELb1EPKiPiPKlPlN2at6native12_GLOBAL__N_18offset_tEEE10hipError_tPvRmT1_PNSt15iterator_traitsIS12_E10value_typeET2_T3_PNS13_IS18_E10value_typeET4_jRbjT5_S1E_jjP12ihipStream_tbEUljE_ZNSN_ISO_Lb1ESQ_SR_ST_SU_SY_EESZ_S10_S11_S12_S16_S17_S18_S1B_S1C_jS1D_jS1E_S1E_jjS1G_bEUljE0_EEESZ_S10_S11_S18_S1C_S1E_T6_T7_T9_mT8_S1G_bDpT10_ENKUlT_T0_E_clISt17integral_constantIbLb0EES1U_EEDaS1P_S1Q_EUlS1P_E_NS1_11comp_targetILNS1_3genE0ELNS1_11target_archE4294967295ELNS1_3gpuE0ELNS1_3repE0EEENS1_30default_config_static_selectorELNS0_4arch9wavefront6targetE0EEEvS12_
	.p2align	8
	.type	_ZN7rocprim17ROCPRIM_400000_NS6detail17trampoline_kernelINS0_13select_configILj256ELj13ELNS0_17block_load_methodE3ELS4_3ELS4_3ELNS0_20block_scan_algorithmE0ELj4294967295EEENS1_25partition_config_selectorILNS1_17partition_subalgoE4EjNS0_10empty_typeEbEEZZNS1_14partition_implILS8_4ELb0ES6_15HIP_vector_typeIjLj2EENS0_17counting_iteratorIjlEEPS9_SG_NS0_5tupleIJPjSI_NS0_16reverse_iteratorISI_EEEEENSH_IJSG_SG_SG_EEES9_SI_JZNS1_25segmented_radix_sort_implINS0_14default_configELb1EPKiPiPKlPlN2at6native12_GLOBAL__N_18offset_tEEE10hipError_tPvRmT1_PNSt15iterator_traitsIS12_E10value_typeET2_T3_PNS13_IS18_E10value_typeET4_jRbjT5_S1E_jjP12ihipStream_tbEUljE_ZNSN_ISO_Lb1ESQ_SR_ST_SU_SY_EESZ_S10_S11_S12_S16_S17_S18_S1B_S1C_jS1D_jS1E_S1E_jjS1G_bEUljE0_EEESZ_S10_S11_S18_S1C_S1E_T6_T7_T9_mT8_S1G_bDpT10_ENKUlT_T0_E_clISt17integral_constantIbLb0EES1U_EEDaS1P_S1Q_EUlS1P_E_NS1_11comp_targetILNS1_3genE0ELNS1_11target_archE4294967295ELNS1_3gpuE0ELNS1_3repE0EEENS1_30default_config_static_selectorELNS0_4arch9wavefront6targetE0EEEvS12_,@function
_ZN7rocprim17ROCPRIM_400000_NS6detail17trampoline_kernelINS0_13select_configILj256ELj13ELNS0_17block_load_methodE3ELS4_3ELS4_3ELNS0_20block_scan_algorithmE0ELj4294967295EEENS1_25partition_config_selectorILNS1_17partition_subalgoE4EjNS0_10empty_typeEbEEZZNS1_14partition_implILS8_4ELb0ES6_15HIP_vector_typeIjLj2EENS0_17counting_iteratorIjlEEPS9_SG_NS0_5tupleIJPjSI_NS0_16reverse_iteratorISI_EEEEENSH_IJSG_SG_SG_EEES9_SI_JZNS1_25segmented_radix_sort_implINS0_14default_configELb1EPKiPiPKlPlN2at6native12_GLOBAL__N_18offset_tEEE10hipError_tPvRmT1_PNSt15iterator_traitsIS12_E10value_typeET2_T3_PNS13_IS18_E10value_typeET4_jRbjT5_S1E_jjP12ihipStream_tbEUljE_ZNSN_ISO_Lb1ESQ_SR_ST_SU_SY_EESZ_S10_S11_S12_S16_S17_S18_S1B_S1C_jS1D_jS1E_S1E_jjS1G_bEUljE0_EEESZ_S10_S11_S18_S1C_S1E_T6_T7_T9_mT8_S1G_bDpT10_ENKUlT_T0_E_clISt17integral_constantIbLb0EES1U_EEDaS1P_S1Q_EUlS1P_E_NS1_11comp_targetILNS1_3genE0ELNS1_11target_archE4294967295ELNS1_3gpuE0ELNS1_3repE0EEENS1_30default_config_static_selectorELNS0_4arch9wavefront6targetE0EEEvS12_: ; @_ZN7rocprim17ROCPRIM_400000_NS6detail17trampoline_kernelINS0_13select_configILj256ELj13ELNS0_17block_load_methodE3ELS4_3ELS4_3ELNS0_20block_scan_algorithmE0ELj4294967295EEENS1_25partition_config_selectorILNS1_17partition_subalgoE4EjNS0_10empty_typeEbEEZZNS1_14partition_implILS8_4ELb0ES6_15HIP_vector_typeIjLj2EENS0_17counting_iteratorIjlEEPS9_SG_NS0_5tupleIJPjSI_NS0_16reverse_iteratorISI_EEEEENSH_IJSG_SG_SG_EEES9_SI_JZNS1_25segmented_radix_sort_implINS0_14default_configELb1EPKiPiPKlPlN2at6native12_GLOBAL__N_18offset_tEEE10hipError_tPvRmT1_PNSt15iterator_traitsIS12_E10value_typeET2_T3_PNS13_IS18_E10value_typeET4_jRbjT5_S1E_jjP12ihipStream_tbEUljE_ZNSN_ISO_Lb1ESQ_SR_ST_SU_SY_EESZ_S10_S11_S12_S16_S17_S18_S1B_S1C_jS1D_jS1E_S1E_jjS1G_bEUljE0_EEESZ_S10_S11_S18_S1C_S1E_T6_T7_T9_mT8_S1G_bDpT10_ENKUlT_T0_E_clISt17integral_constantIbLb0EES1U_EEDaS1P_S1Q_EUlS1P_E_NS1_11comp_targetILNS1_3genE0ELNS1_11target_archE4294967295ELNS1_3gpuE0ELNS1_3repE0EEENS1_30default_config_static_selectorELNS0_4arch9wavefront6targetE0EEEvS12_
; %bb.0:
	.section	.rodata,"a",@progbits
	.p2align	6, 0x0
	.amdhsa_kernel _ZN7rocprim17ROCPRIM_400000_NS6detail17trampoline_kernelINS0_13select_configILj256ELj13ELNS0_17block_load_methodE3ELS4_3ELS4_3ELNS0_20block_scan_algorithmE0ELj4294967295EEENS1_25partition_config_selectorILNS1_17partition_subalgoE4EjNS0_10empty_typeEbEEZZNS1_14partition_implILS8_4ELb0ES6_15HIP_vector_typeIjLj2EENS0_17counting_iteratorIjlEEPS9_SG_NS0_5tupleIJPjSI_NS0_16reverse_iteratorISI_EEEEENSH_IJSG_SG_SG_EEES9_SI_JZNS1_25segmented_radix_sort_implINS0_14default_configELb1EPKiPiPKlPlN2at6native12_GLOBAL__N_18offset_tEEE10hipError_tPvRmT1_PNSt15iterator_traitsIS12_E10value_typeET2_T3_PNS13_IS18_E10value_typeET4_jRbjT5_S1E_jjP12ihipStream_tbEUljE_ZNSN_ISO_Lb1ESQ_SR_ST_SU_SY_EESZ_S10_S11_S12_S16_S17_S18_S1B_S1C_jS1D_jS1E_S1E_jjS1G_bEUljE0_EEESZ_S10_S11_S18_S1C_S1E_T6_T7_T9_mT8_S1G_bDpT10_ENKUlT_T0_E_clISt17integral_constantIbLb0EES1U_EEDaS1P_S1Q_EUlS1P_E_NS1_11comp_targetILNS1_3genE0ELNS1_11target_archE4294967295ELNS1_3gpuE0ELNS1_3repE0EEENS1_30default_config_static_selectorELNS0_4arch9wavefront6targetE0EEEvS12_
		.amdhsa_group_segment_fixed_size 0
		.amdhsa_private_segment_fixed_size 0
		.amdhsa_kernarg_size 176
		.amdhsa_user_sgpr_count 6
		.amdhsa_user_sgpr_private_segment_buffer 1
		.amdhsa_user_sgpr_dispatch_ptr 0
		.amdhsa_user_sgpr_queue_ptr 0
		.amdhsa_user_sgpr_kernarg_segment_ptr 1
		.amdhsa_user_sgpr_dispatch_id 0
		.amdhsa_user_sgpr_flat_scratch_init 0
		.amdhsa_user_sgpr_private_segment_size 0
		.amdhsa_wavefront_size32 1
		.amdhsa_uses_dynamic_stack 0
		.amdhsa_system_sgpr_private_segment_wavefront_offset 0
		.amdhsa_system_sgpr_workgroup_id_x 1
		.amdhsa_system_sgpr_workgroup_id_y 0
		.amdhsa_system_sgpr_workgroup_id_z 0
		.amdhsa_system_sgpr_workgroup_info 0
		.amdhsa_system_vgpr_workitem_id 0
		.amdhsa_next_free_vgpr 1
		.amdhsa_next_free_sgpr 1
		.amdhsa_reserve_vcc 0
		.amdhsa_reserve_flat_scratch 0
		.amdhsa_float_round_mode_32 0
		.amdhsa_float_round_mode_16_64 0
		.amdhsa_float_denorm_mode_32 3
		.amdhsa_float_denorm_mode_16_64 3
		.amdhsa_dx10_clamp 1
		.amdhsa_ieee_mode 1
		.amdhsa_fp16_overflow 0
		.amdhsa_workgroup_processor_mode 1
		.amdhsa_memory_ordered 1
		.amdhsa_forward_progress 1
		.amdhsa_shared_vgpr_count 0
		.amdhsa_exception_fp_ieee_invalid_op 0
		.amdhsa_exception_fp_denorm_src 0
		.amdhsa_exception_fp_ieee_div_zero 0
		.amdhsa_exception_fp_ieee_overflow 0
		.amdhsa_exception_fp_ieee_underflow 0
		.amdhsa_exception_fp_ieee_inexact 0
		.amdhsa_exception_int_div_zero 0
	.end_amdhsa_kernel
	.section	.text._ZN7rocprim17ROCPRIM_400000_NS6detail17trampoline_kernelINS0_13select_configILj256ELj13ELNS0_17block_load_methodE3ELS4_3ELS4_3ELNS0_20block_scan_algorithmE0ELj4294967295EEENS1_25partition_config_selectorILNS1_17partition_subalgoE4EjNS0_10empty_typeEbEEZZNS1_14partition_implILS8_4ELb0ES6_15HIP_vector_typeIjLj2EENS0_17counting_iteratorIjlEEPS9_SG_NS0_5tupleIJPjSI_NS0_16reverse_iteratorISI_EEEEENSH_IJSG_SG_SG_EEES9_SI_JZNS1_25segmented_radix_sort_implINS0_14default_configELb1EPKiPiPKlPlN2at6native12_GLOBAL__N_18offset_tEEE10hipError_tPvRmT1_PNSt15iterator_traitsIS12_E10value_typeET2_T3_PNS13_IS18_E10value_typeET4_jRbjT5_S1E_jjP12ihipStream_tbEUljE_ZNSN_ISO_Lb1ESQ_SR_ST_SU_SY_EESZ_S10_S11_S12_S16_S17_S18_S1B_S1C_jS1D_jS1E_S1E_jjS1G_bEUljE0_EEESZ_S10_S11_S18_S1C_S1E_T6_T7_T9_mT8_S1G_bDpT10_ENKUlT_T0_E_clISt17integral_constantIbLb0EES1U_EEDaS1P_S1Q_EUlS1P_E_NS1_11comp_targetILNS1_3genE0ELNS1_11target_archE4294967295ELNS1_3gpuE0ELNS1_3repE0EEENS1_30default_config_static_selectorELNS0_4arch9wavefront6targetE0EEEvS12_,"axG",@progbits,_ZN7rocprim17ROCPRIM_400000_NS6detail17trampoline_kernelINS0_13select_configILj256ELj13ELNS0_17block_load_methodE3ELS4_3ELS4_3ELNS0_20block_scan_algorithmE0ELj4294967295EEENS1_25partition_config_selectorILNS1_17partition_subalgoE4EjNS0_10empty_typeEbEEZZNS1_14partition_implILS8_4ELb0ES6_15HIP_vector_typeIjLj2EENS0_17counting_iteratorIjlEEPS9_SG_NS0_5tupleIJPjSI_NS0_16reverse_iteratorISI_EEEEENSH_IJSG_SG_SG_EEES9_SI_JZNS1_25segmented_radix_sort_implINS0_14default_configELb1EPKiPiPKlPlN2at6native12_GLOBAL__N_18offset_tEEE10hipError_tPvRmT1_PNSt15iterator_traitsIS12_E10value_typeET2_T3_PNS13_IS18_E10value_typeET4_jRbjT5_S1E_jjP12ihipStream_tbEUljE_ZNSN_ISO_Lb1ESQ_SR_ST_SU_SY_EESZ_S10_S11_S12_S16_S17_S18_S1B_S1C_jS1D_jS1E_S1E_jjS1G_bEUljE0_EEESZ_S10_S11_S18_S1C_S1E_T6_T7_T9_mT8_S1G_bDpT10_ENKUlT_T0_E_clISt17integral_constantIbLb0EES1U_EEDaS1P_S1Q_EUlS1P_E_NS1_11comp_targetILNS1_3genE0ELNS1_11target_archE4294967295ELNS1_3gpuE0ELNS1_3repE0EEENS1_30default_config_static_selectorELNS0_4arch9wavefront6targetE0EEEvS12_,comdat
.Lfunc_end429:
	.size	_ZN7rocprim17ROCPRIM_400000_NS6detail17trampoline_kernelINS0_13select_configILj256ELj13ELNS0_17block_load_methodE3ELS4_3ELS4_3ELNS0_20block_scan_algorithmE0ELj4294967295EEENS1_25partition_config_selectorILNS1_17partition_subalgoE4EjNS0_10empty_typeEbEEZZNS1_14partition_implILS8_4ELb0ES6_15HIP_vector_typeIjLj2EENS0_17counting_iteratorIjlEEPS9_SG_NS0_5tupleIJPjSI_NS0_16reverse_iteratorISI_EEEEENSH_IJSG_SG_SG_EEES9_SI_JZNS1_25segmented_radix_sort_implINS0_14default_configELb1EPKiPiPKlPlN2at6native12_GLOBAL__N_18offset_tEEE10hipError_tPvRmT1_PNSt15iterator_traitsIS12_E10value_typeET2_T3_PNS13_IS18_E10value_typeET4_jRbjT5_S1E_jjP12ihipStream_tbEUljE_ZNSN_ISO_Lb1ESQ_SR_ST_SU_SY_EESZ_S10_S11_S12_S16_S17_S18_S1B_S1C_jS1D_jS1E_S1E_jjS1G_bEUljE0_EEESZ_S10_S11_S18_S1C_S1E_T6_T7_T9_mT8_S1G_bDpT10_ENKUlT_T0_E_clISt17integral_constantIbLb0EES1U_EEDaS1P_S1Q_EUlS1P_E_NS1_11comp_targetILNS1_3genE0ELNS1_11target_archE4294967295ELNS1_3gpuE0ELNS1_3repE0EEENS1_30default_config_static_selectorELNS0_4arch9wavefront6targetE0EEEvS12_, .Lfunc_end429-_ZN7rocprim17ROCPRIM_400000_NS6detail17trampoline_kernelINS0_13select_configILj256ELj13ELNS0_17block_load_methodE3ELS4_3ELS4_3ELNS0_20block_scan_algorithmE0ELj4294967295EEENS1_25partition_config_selectorILNS1_17partition_subalgoE4EjNS0_10empty_typeEbEEZZNS1_14partition_implILS8_4ELb0ES6_15HIP_vector_typeIjLj2EENS0_17counting_iteratorIjlEEPS9_SG_NS0_5tupleIJPjSI_NS0_16reverse_iteratorISI_EEEEENSH_IJSG_SG_SG_EEES9_SI_JZNS1_25segmented_radix_sort_implINS0_14default_configELb1EPKiPiPKlPlN2at6native12_GLOBAL__N_18offset_tEEE10hipError_tPvRmT1_PNSt15iterator_traitsIS12_E10value_typeET2_T3_PNS13_IS18_E10value_typeET4_jRbjT5_S1E_jjP12ihipStream_tbEUljE_ZNSN_ISO_Lb1ESQ_SR_ST_SU_SY_EESZ_S10_S11_S12_S16_S17_S18_S1B_S1C_jS1D_jS1E_S1E_jjS1G_bEUljE0_EEESZ_S10_S11_S18_S1C_S1E_T6_T7_T9_mT8_S1G_bDpT10_ENKUlT_T0_E_clISt17integral_constantIbLb0EES1U_EEDaS1P_S1Q_EUlS1P_E_NS1_11comp_targetILNS1_3genE0ELNS1_11target_archE4294967295ELNS1_3gpuE0ELNS1_3repE0EEENS1_30default_config_static_selectorELNS0_4arch9wavefront6targetE0EEEvS12_
                                        ; -- End function
	.set _ZN7rocprim17ROCPRIM_400000_NS6detail17trampoline_kernelINS0_13select_configILj256ELj13ELNS0_17block_load_methodE3ELS4_3ELS4_3ELNS0_20block_scan_algorithmE0ELj4294967295EEENS1_25partition_config_selectorILNS1_17partition_subalgoE4EjNS0_10empty_typeEbEEZZNS1_14partition_implILS8_4ELb0ES6_15HIP_vector_typeIjLj2EENS0_17counting_iteratorIjlEEPS9_SG_NS0_5tupleIJPjSI_NS0_16reverse_iteratorISI_EEEEENSH_IJSG_SG_SG_EEES9_SI_JZNS1_25segmented_radix_sort_implINS0_14default_configELb1EPKiPiPKlPlN2at6native12_GLOBAL__N_18offset_tEEE10hipError_tPvRmT1_PNSt15iterator_traitsIS12_E10value_typeET2_T3_PNS13_IS18_E10value_typeET4_jRbjT5_S1E_jjP12ihipStream_tbEUljE_ZNSN_ISO_Lb1ESQ_SR_ST_SU_SY_EESZ_S10_S11_S12_S16_S17_S18_S1B_S1C_jS1D_jS1E_S1E_jjS1G_bEUljE0_EEESZ_S10_S11_S18_S1C_S1E_T6_T7_T9_mT8_S1G_bDpT10_ENKUlT_T0_E_clISt17integral_constantIbLb0EES1U_EEDaS1P_S1Q_EUlS1P_E_NS1_11comp_targetILNS1_3genE0ELNS1_11target_archE4294967295ELNS1_3gpuE0ELNS1_3repE0EEENS1_30default_config_static_selectorELNS0_4arch9wavefront6targetE0EEEvS12_.num_vgpr, 0
	.set _ZN7rocprim17ROCPRIM_400000_NS6detail17trampoline_kernelINS0_13select_configILj256ELj13ELNS0_17block_load_methodE3ELS4_3ELS4_3ELNS0_20block_scan_algorithmE0ELj4294967295EEENS1_25partition_config_selectorILNS1_17partition_subalgoE4EjNS0_10empty_typeEbEEZZNS1_14partition_implILS8_4ELb0ES6_15HIP_vector_typeIjLj2EENS0_17counting_iteratorIjlEEPS9_SG_NS0_5tupleIJPjSI_NS0_16reverse_iteratorISI_EEEEENSH_IJSG_SG_SG_EEES9_SI_JZNS1_25segmented_radix_sort_implINS0_14default_configELb1EPKiPiPKlPlN2at6native12_GLOBAL__N_18offset_tEEE10hipError_tPvRmT1_PNSt15iterator_traitsIS12_E10value_typeET2_T3_PNS13_IS18_E10value_typeET4_jRbjT5_S1E_jjP12ihipStream_tbEUljE_ZNSN_ISO_Lb1ESQ_SR_ST_SU_SY_EESZ_S10_S11_S12_S16_S17_S18_S1B_S1C_jS1D_jS1E_S1E_jjS1G_bEUljE0_EEESZ_S10_S11_S18_S1C_S1E_T6_T7_T9_mT8_S1G_bDpT10_ENKUlT_T0_E_clISt17integral_constantIbLb0EES1U_EEDaS1P_S1Q_EUlS1P_E_NS1_11comp_targetILNS1_3genE0ELNS1_11target_archE4294967295ELNS1_3gpuE0ELNS1_3repE0EEENS1_30default_config_static_selectorELNS0_4arch9wavefront6targetE0EEEvS12_.num_agpr, 0
	.set _ZN7rocprim17ROCPRIM_400000_NS6detail17trampoline_kernelINS0_13select_configILj256ELj13ELNS0_17block_load_methodE3ELS4_3ELS4_3ELNS0_20block_scan_algorithmE0ELj4294967295EEENS1_25partition_config_selectorILNS1_17partition_subalgoE4EjNS0_10empty_typeEbEEZZNS1_14partition_implILS8_4ELb0ES6_15HIP_vector_typeIjLj2EENS0_17counting_iteratorIjlEEPS9_SG_NS0_5tupleIJPjSI_NS0_16reverse_iteratorISI_EEEEENSH_IJSG_SG_SG_EEES9_SI_JZNS1_25segmented_radix_sort_implINS0_14default_configELb1EPKiPiPKlPlN2at6native12_GLOBAL__N_18offset_tEEE10hipError_tPvRmT1_PNSt15iterator_traitsIS12_E10value_typeET2_T3_PNS13_IS18_E10value_typeET4_jRbjT5_S1E_jjP12ihipStream_tbEUljE_ZNSN_ISO_Lb1ESQ_SR_ST_SU_SY_EESZ_S10_S11_S12_S16_S17_S18_S1B_S1C_jS1D_jS1E_S1E_jjS1G_bEUljE0_EEESZ_S10_S11_S18_S1C_S1E_T6_T7_T9_mT8_S1G_bDpT10_ENKUlT_T0_E_clISt17integral_constantIbLb0EES1U_EEDaS1P_S1Q_EUlS1P_E_NS1_11comp_targetILNS1_3genE0ELNS1_11target_archE4294967295ELNS1_3gpuE0ELNS1_3repE0EEENS1_30default_config_static_selectorELNS0_4arch9wavefront6targetE0EEEvS12_.numbered_sgpr, 0
	.set _ZN7rocprim17ROCPRIM_400000_NS6detail17trampoline_kernelINS0_13select_configILj256ELj13ELNS0_17block_load_methodE3ELS4_3ELS4_3ELNS0_20block_scan_algorithmE0ELj4294967295EEENS1_25partition_config_selectorILNS1_17partition_subalgoE4EjNS0_10empty_typeEbEEZZNS1_14partition_implILS8_4ELb0ES6_15HIP_vector_typeIjLj2EENS0_17counting_iteratorIjlEEPS9_SG_NS0_5tupleIJPjSI_NS0_16reverse_iteratorISI_EEEEENSH_IJSG_SG_SG_EEES9_SI_JZNS1_25segmented_radix_sort_implINS0_14default_configELb1EPKiPiPKlPlN2at6native12_GLOBAL__N_18offset_tEEE10hipError_tPvRmT1_PNSt15iterator_traitsIS12_E10value_typeET2_T3_PNS13_IS18_E10value_typeET4_jRbjT5_S1E_jjP12ihipStream_tbEUljE_ZNSN_ISO_Lb1ESQ_SR_ST_SU_SY_EESZ_S10_S11_S12_S16_S17_S18_S1B_S1C_jS1D_jS1E_S1E_jjS1G_bEUljE0_EEESZ_S10_S11_S18_S1C_S1E_T6_T7_T9_mT8_S1G_bDpT10_ENKUlT_T0_E_clISt17integral_constantIbLb0EES1U_EEDaS1P_S1Q_EUlS1P_E_NS1_11comp_targetILNS1_3genE0ELNS1_11target_archE4294967295ELNS1_3gpuE0ELNS1_3repE0EEENS1_30default_config_static_selectorELNS0_4arch9wavefront6targetE0EEEvS12_.num_named_barrier, 0
	.set _ZN7rocprim17ROCPRIM_400000_NS6detail17trampoline_kernelINS0_13select_configILj256ELj13ELNS0_17block_load_methodE3ELS4_3ELS4_3ELNS0_20block_scan_algorithmE0ELj4294967295EEENS1_25partition_config_selectorILNS1_17partition_subalgoE4EjNS0_10empty_typeEbEEZZNS1_14partition_implILS8_4ELb0ES6_15HIP_vector_typeIjLj2EENS0_17counting_iteratorIjlEEPS9_SG_NS0_5tupleIJPjSI_NS0_16reverse_iteratorISI_EEEEENSH_IJSG_SG_SG_EEES9_SI_JZNS1_25segmented_radix_sort_implINS0_14default_configELb1EPKiPiPKlPlN2at6native12_GLOBAL__N_18offset_tEEE10hipError_tPvRmT1_PNSt15iterator_traitsIS12_E10value_typeET2_T3_PNS13_IS18_E10value_typeET4_jRbjT5_S1E_jjP12ihipStream_tbEUljE_ZNSN_ISO_Lb1ESQ_SR_ST_SU_SY_EESZ_S10_S11_S12_S16_S17_S18_S1B_S1C_jS1D_jS1E_S1E_jjS1G_bEUljE0_EEESZ_S10_S11_S18_S1C_S1E_T6_T7_T9_mT8_S1G_bDpT10_ENKUlT_T0_E_clISt17integral_constantIbLb0EES1U_EEDaS1P_S1Q_EUlS1P_E_NS1_11comp_targetILNS1_3genE0ELNS1_11target_archE4294967295ELNS1_3gpuE0ELNS1_3repE0EEENS1_30default_config_static_selectorELNS0_4arch9wavefront6targetE0EEEvS12_.private_seg_size, 0
	.set _ZN7rocprim17ROCPRIM_400000_NS6detail17trampoline_kernelINS0_13select_configILj256ELj13ELNS0_17block_load_methodE3ELS4_3ELS4_3ELNS0_20block_scan_algorithmE0ELj4294967295EEENS1_25partition_config_selectorILNS1_17partition_subalgoE4EjNS0_10empty_typeEbEEZZNS1_14partition_implILS8_4ELb0ES6_15HIP_vector_typeIjLj2EENS0_17counting_iteratorIjlEEPS9_SG_NS0_5tupleIJPjSI_NS0_16reverse_iteratorISI_EEEEENSH_IJSG_SG_SG_EEES9_SI_JZNS1_25segmented_radix_sort_implINS0_14default_configELb1EPKiPiPKlPlN2at6native12_GLOBAL__N_18offset_tEEE10hipError_tPvRmT1_PNSt15iterator_traitsIS12_E10value_typeET2_T3_PNS13_IS18_E10value_typeET4_jRbjT5_S1E_jjP12ihipStream_tbEUljE_ZNSN_ISO_Lb1ESQ_SR_ST_SU_SY_EESZ_S10_S11_S12_S16_S17_S18_S1B_S1C_jS1D_jS1E_S1E_jjS1G_bEUljE0_EEESZ_S10_S11_S18_S1C_S1E_T6_T7_T9_mT8_S1G_bDpT10_ENKUlT_T0_E_clISt17integral_constantIbLb0EES1U_EEDaS1P_S1Q_EUlS1P_E_NS1_11comp_targetILNS1_3genE0ELNS1_11target_archE4294967295ELNS1_3gpuE0ELNS1_3repE0EEENS1_30default_config_static_selectorELNS0_4arch9wavefront6targetE0EEEvS12_.uses_vcc, 0
	.set _ZN7rocprim17ROCPRIM_400000_NS6detail17trampoline_kernelINS0_13select_configILj256ELj13ELNS0_17block_load_methodE3ELS4_3ELS4_3ELNS0_20block_scan_algorithmE0ELj4294967295EEENS1_25partition_config_selectorILNS1_17partition_subalgoE4EjNS0_10empty_typeEbEEZZNS1_14partition_implILS8_4ELb0ES6_15HIP_vector_typeIjLj2EENS0_17counting_iteratorIjlEEPS9_SG_NS0_5tupleIJPjSI_NS0_16reverse_iteratorISI_EEEEENSH_IJSG_SG_SG_EEES9_SI_JZNS1_25segmented_radix_sort_implINS0_14default_configELb1EPKiPiPKlPlN2at6native12_GLOBAL__N_18offset_tEEE10hipError_tPvRmT1_PNSt15iterator_traitsIS12_E10value_typeET2_T3_PNS13_IS18_E10value_typeET4_jRbjT5_S1E_jjP12ihipStream_tbEUljE_ZNSN_ISO_Lb1ESQ_SR_ST_SU_SY_EESZ_S10_S11_S12_S16_S17_S18_S1B_S1C_jS1D_jS1E_S1E_jjS1G_bEUljE0_EEESZ_S10_S11_S18_S1C_S1E_T6_T7_T9_mT8_S1G_bDpT10_ENKUlT_T0_E_clISt17integral_constantIbLb0EES1U_EEDaS1P_S1Q_EUlS1P_E_NS1_11comp_targetILNS1_3genE0ELNS1_11target_archE4294967295ELNS1_3gpuE0ELNS1_3repE0EEENS1_30default_config_static_selectorELNS0_4arch9wavefront6targetE0EEEvS12_.uses_flat_scratch, 0
	.set _ZN7rocprim17ROCPRIM_400000_NS6detail17trampoline_kernelINS0_13select_configILj256ELj13ELNS0_17block_load_methodE3ELS4_3ELS4_3ELNS0_20block_scan_algorithmE0ELj4294967295EEENS1_25partition_config_selectorILNS1_17partition_subalgoE4EjNS0_10empty_typeEbEEZZNS1_14partition_implILS8_4ELb0ES6_15HIP_vector_typeIjLj2EENS0_17counting_iteratorIjlEEPS9_SG_NS0_5tupleIJPjSI_NS0_16reverse_iteratorISI_EEEEENSH_IJSG_SG_SG_EEES9_SI_JZNS1_25segmented_radix_sort_implINS0_14default_configELb1EPKiPiPKlPlN2at6native12_GLOBAL__N_18offset_tEEE10hipError_tPvRmT1_PNSt15iterator_traitsIS12_E10value_typeET2_T3_PNS13_IS18_E10value_typeET4_jRbjT5_S1E_jjP12ihipStream_tbEUljE_ZNSN_ISO_Lb1ESQ_SR_ST_SU_SY_EESZ_S10_S11_S12_S16_S17_S18_S1B_S1C_jS1D_jS1E_S1E_jjS1G_bEUljE0_EEESZ_S10_S11_S18_S1C_S1E_T6_T7_T9_mT8_S1G_bDpT10_ENKUlT_T0_E_clISt17integral_constantIbLb0EES1U_EEDaS1P_S1Q_EUlS1P_E_NS1_11comp_targetILNS1_3genE0ELNS1_11target_archE4294967295ELNS1_3gpuE0ELNS1_3repE0EEENS1_30default_config_static_selectorELNS0_4arch9wavefront6targetE0EEEvS12_.has_dyn_sized_stack, 0
	.set _ZN7rocprim17ROCPRIM_400000_NS6detail17trampoline_kernelINS0_13select_configILj256ELj13ELNS0_17block_load_methodE3ELS4_3ELS4_3ELNS0_20block_scan_algorithmE0ELj4294967295EEENS1_25partition_config_selectorILNS1_17partition_subalgoE4EjNS0_10empty_typeEbEEZZNS1_14partition_implILS8_4ELb0ES6_15HIP_vector_typeIjLj2EENS0_17counting_iteratorIjlEEPS9_SG_NS0_5tupleIJPjSI_NS0_16reverse_iteratorISI_EEEEENSH_IJSG_SG_SG_EEES9_SI_JZNS1_25segmented_radix_sort_implINS0_14default_configELb1EPKiPiPKlPlN2at6native12_GLOBAL__N_18offset_tEEE10hipError_tPvRmT1_PNSt15iterator_traitsIS12_E10value_typeET2_T3_PNS13_IS18_E10value_typeET4_jRbjT5_S1E_jjP12ihipStream_tbEUljE_ZNSN_ISO_Lb1ESQ_SR_ST_SU_SY_EESZ_S10_S11_S12_S16_S17_S18_S1B_S1C_jS1D_jS1E_S1E_jjS1G_bEUljE0_EEESZ_S10_S11_S18_S1C_S1E_T6_T7_T9_mT8_S1G_bDpT10_ENKUlT_T0_E_clISt17integral_constantIbLb0EES1U_EEDaS1P_S1Q_EUlS1P_E_NS1_11comp_targetILNS1_3genE0ELNS1_11target_archE4294967295ELNS1_3gpuE0ELNS1_3repE0EEENS1_30default_config_static_selectorELNS0_4arch9wavefront6targetE0EEEvS12_.has_recursion, 0
	.set _ZN7rocprim17ROCPRIM_400000_NS6detail17trampoline_kernelINS0_13select_configILj256ELj13ELNS0_17block_load_methodE3ELS4_3ELS4_3ELNS0_20block_scan_algorithmE0ELj4294967295EEENS1_25partition_config_selectorILNS1_17partition_subalgoE4EjNS0_10empty_typeEbEEZZNS1_14partition_implILS8_4ELb0ES6_15HIP_vector_typeIjLj2EENS0_17counting_iteratorIjlEEPS9_SG_NS0_5tupleIJPjSI_NS0_16reverse_iteratorISI_EEEEENSH_IJSG_SG_SG_EEES9_SI_JZNS1_25segmented_radix_sort_implINS0_14default_configELb1EPKiPiPKlPlN2at6native12_GLOBAL__N_18offset_tEEE10hipError_tPvRmT1_PNSt15iterator_traitsIS12_E10value_typeET2_T3_PNS13_IS18_E10value_typeET4_jRbjT5_S1E_jjP12ihipStream_tbEUljE_ZNSN_ISO_Lb1ESQ_SR_ST_SU_SY_EESZ_S10_S11_S12_S16_S17_S18_S1B_S1C_jS1D_jS1E_S1E_jjS1G_bEUljE0_EEESZ_S10_S11_S18_S1C_S1E_T6_T7_T9_mT8_S1G_bDpT10_ENKUlT_T0_E_clISt17integral_constantIbLb0EES1U_EEDaS1P_S1Q_EUlS1P_E_NS1_11comp_targetILNS1_3genE0ELNS1_11target_archE4294967295ELNS1_3gpuE0ELNS1_3repE0EEENS1_30default_config_static_selectorELNS0_4arch9wavefront6targetE0EEEvS12_.has_indirect_call, 0
	.section	.AMDGPU.csdata,"",@progbits
; Kernel info:
; codeLenInByte = 0
; TotalNumSgprs: 0
; NumVgprs: 0
; ScratchSize: 0
; MemoryBound: 0
; FloatMode: 240
; IeeeMode: 1
; LDSByteSize: 0 bytes/workgroup (compile time only)
; SGPRBlocks: 0
; VGPRBlocks: 0
; NumSGPRsForWavesPerEU: 1
; NumVGPRsForWavesPerEU: 1
; Occupancy: 16
; WaveLimiterHint : 0
; COMPUTE_PGM_RSRC2:SCRATCH_EN: 0
; COMPUTE_PGM_RSRC2:USER_SGPR: 6
; COMPUTE_PGM_RSRC2:TRAP_HANDLER: 0
; COMPUTE_PGM_RSRC2:TGID_X_EN: 1
; COMPUTE_PGM_RSRC2:TGID_Y_EN: 0
; COMPUTE_PGM_RSRC2:TGID_Z_EN: 0
; COMPUTE_PGM_RSRC2:TIDIG_COMP_CNT: 0
	.section	.text._ZN7rocprim17ROCPRIM_400000_NS6detail17trampoline_kernelINS0_13select_configILj256ELj13ELNS0_17block_load_methodE3ELS4_3ELS4_3ELNS0_20block_scan_algorithmE0ELj4294967295EEENS1_25partition_config_selectorILNS1_17partition_subalgoE4EjNS0_10empty_typeEbEEZZNS1_14partition_implILS8_4ELb0ES6_15HIP_vector_typeIjLj2EENS0_17counting_iteratorIjlEEPS9_SG_NS0_5tupleIJPjSI_NS0_16reverse_iteratorISI_EEEEENSH_IJSG_SG_SG_EEES9_SI_JZNS1_25segmented_radix_sort_implINS0_14default_configELb1EPKiPiPKlPlN2at6native12_GLOBAL__N_18offset_tEEE10hipError_tPvRmT1_PNSt15iterator_traitsIS12_E10value_typeET2_T3_PNS13_IS18_E10value_typeET4_jRbjT5_S1E_jjP12ihipStream_tbEUljE_ZNSN_ISO_Lb1ESQ_SR_ST_SU_SY_EESZ_S10_S11_S12_S16_S17_S18_S1B_S1C_jS1D_jS1E_S1E_jjS1G_bEUljE0_EEESZ_S10_S11_S18_S1C_S1E_T6_T7_T9_mT8_S1G_bDpT10_ENKUlT_T0_E_clISt17integral_constantIbLb0EES1U_EEDaS1P_S1Q_EUlS1P_E_NS1_11comp_targetILNS1_3genE5ELNS1_11target_archE942ELNS1_3gpuE9ELNS1_3repE0EEENS1_30default_config_static_selectorELNS0_4arch9wavefront6targetE0EEEvS12_,"axG",@progbits,_ZN7rocprim17ROCPRIM_400000_NS6detail17trampoline_kernelINS0_13select_configILj256ELj13ELNS0_17block_load_methodE3ELS4_3ELS4_3ELNS0_20block_scan_algorithmE0ELj4294967295EEENS1_25partition_config_selectorILNS1_17partition_subalgoE4EjNS0_10empty_typeEbEEZZNS1_14partition_implILS8_4ELb0ES6_15HIP_vector_typeIjLj2EENS0_17counting_iteratorIjlEEPS9_SG_NS0_5tupleIJPjSI_NS0_16reverse_iteratorISI_EEEEENSH_IJSG_SG_SG_EEES9_SI_JZNS1_25segmented_radix_sort_implINS0_14default_configELb1EPKiPiPKlPlN2at6native12_GLOBAL__N_18offset_tEEE10hipError_tPvRmT1_PNSt15iterator_traitsIS12_E10value_typeET2_T3_PNS13_IS18_E10value_typeET4_jRbjT5_S1E_jjP12ihipStream_tbEUljE_ZNSN_ISO_Lb1ESQ_SR_ST_SU_SY_EESZ_S10_S11_S12_S16_S17_S18_S1B_S1C_jS1D_jS1E_S1E_jjS1G_bEUljE0_EEESZ_S10_S11_S18_S1C_S1E_T6_T7_T9_mT8_S1G_bDpT10_ENKUlT_T0_E_clISt17integral_constantIbLb0EES1U_EEDaS1P_S1Q_EUlS1P_E_NS1_11comp_targetILNS1_3genE5ELNS1_11target_archE942ELNS1_3gpuE9ELNS1_3repE0EEENS1_30default_config_static_selectorELNS0_4arch9wavefront6targetE0EEEvS12_,comdat
	.globl	_ZN7rocprim17ROCPRIM_400000_NS6detail17trampoline_kernelINS0_13select_configILj256ELj13ELNS0_17block_load_methodE3ELS4_3ELS4_3ELNS0_20block_scan_algorithmE0ELj4294967295EEENS1_25partition_config_selectorILNS1_17partition_subalgoE4EjNS0_10empty_typeEbEEZZNS1_14partition_implILS8_4ELb0ES6_15HIP_vector_typeIjLj2EENS0_17counting_iteratorIjlEEPS9_SG_NS0_5tupleIJPjSI_NS0_16reverse_iteratorISI_EEEEENSH_IJSG_SG_SG_EEES9_SI_JZNS1_25segmented_radix_sort_implINS0_14default_configELb1EPKiPiPKlPlN2at6native12_GLOBAL__N_18offset_tEEE10hipError_tPvRmT1_PNSt15iterator_traitsIS12_E10value_typeET2_T3_PNS13_IS18_E10value_typeET4_jRbjT5_S1E_jjP12ihipStream_tbEUljE_ZNSN_ISO_Lb1ESQ_SR_ST_SU_SY_EESZ_S10_S11_S12_S16_S17_S18_S1B_S1C_jS1D_jS1E_S1E_jjS1G_bEUljE0_EEESZ_S10_S11_S18_S1C_S1E_T6_T7_T9_mT8_S1G_bDpT10_ENKUlT_T0_E_clISt17integral_constantIbLb0EES1U_EEDaS1P_S1Q_EUlS1P_E_NS1_11comp_targetILNS1_3genE5ELNS1_11target_archE942ELNS1_3gpuE9ELNS1_3repE0EEENS1_30default_config_static_selectorELNS0_4arch9wavefront6targetE0EEEvS12_ ; -- Begin function _ZN7rocprim17ROCPRIM_400000_NS6detail17trampoline_kernelINS0_13select_configILj256ELj13ELNS0_17block_load_methodE3ELS4_3ELS4_3ELNS0_20block_scan_algorithmE0ELj4294967295EEENS1_25partition_config_selectorILNS1_17partition_subalgoE4EjNS0_10empty_typeEbEEZZNS1_14partition_implILS8_4ELb0ES6_15HIP_vector_typeIjLj2EENS0_17counting_iteratorIjlEEPS9_SG_NS0_5tupleIJPjSI_NS0_16reverse_iteratorISI_EEEEENSH_IJSG_SG_SG_EEES9_SI_JZNS1_25segmented_radix_sort_implINS0_14default_configELb1EPKiPiPKlPlN2at6native12_GLOBAL__N_18offset_tEEE10hipError_tPvRmT1_PNSt15iterator_traitsIS12_E10value_typeET2_T3_PNS13_IS18_E10value_typeET4_jRbjT5_S1E_jjP12ihipStream_tbEUljE_ZNSN_ISO_Lb1ESQ_SR_ST_SU_SY_EESZ_S10_S11_S12_S16_S17_S18_S1B_S1C_jS1D_jS1E_S1E_jjS1G_bEUljE0_EEESZ_S10_S11_S18_S1C_S1E_T6_T7_T9_mT8_S1G_bDpT10_ENKUlT_T0_E_clISt17integral_constantIbLb0EES1U_EEDaS1P_S1Q_EUlS1P_E_NS1_11comp_targetILNS1_3genE5ELNS1_11target_archE942ELNS1_3gpuE9ELNS1_3repE0EEENS1_30default_config_static_selectorELNS0_4arch9wavefront6targetE0EEEvS12_
	.p2align	8
	.type	_ZN7rocprim17ROCPRIM_400000_NS6detail17trampoline_kernelINS0_13select_configILj256ELj13ELNS0_17block_load_methodE3ELS4_3ELS4_3ELNS0_20block_scan_algorithmE0ELj4294967295EEENS1_25partition_config_selectorILNS1_17partition_subalgoE4EjNS0_10empty_typeEbEEZZNS1_14partition_implILS8_4ELb0ES6_15HIP_vector_typeIjLj2EENS0_17counting_iteratorIjlEEPS9_SG_NS0_5tupleIJPjSI_NS0_16reverse_iteratorISI_EEEEENSH_IJSG_SG_SG_EEES9_SI_JZNS1_25segmented_radix_sort_implINS0_14default_configELb1EPKiPiPKlPlN2at6native12_GLOBAL__N_18offset_tEEE10hipError_tPvRmT1_PNSt15iterator_traitsIS12_E10value_typeET2_T3_PNS13_IS18_E10value_typeET4_jRbjT5_S1E_jjP12ihipStream_tbEUljE_ZNSN_ISO_Lb1ESQ_SR_ST_SU_SY_EESZ_S10_S11_S12_S16_S17_S18_S1B_S1C_jS1D_jS1E_S1E_jjS1G_bEUljE0_EEESZ_S10_S11_S18_S1C_S1E_T6_T7_T9_mT8_S1G_bDpT10_ENKUlT_T0_E_clISt17integral_constantIbLb0EES1U_EEDaS1P_S1Q_EUlS1P_E_NS1_11comp_targetILNS1_3genE5ELNS1_11target_archE942ELNS1_3gpuE9ELNS1_3repE0EEENS1_30default_config_static_selectorELNS0_4arch9wavefront6targetE0EEEvS12_,@function
_ZN7rocprim17ROCPRIM_400000_NS6detail17trampoline_kernelINS0_13select_configILj256ELj13ELNS0_17block_load_methodE3ELS4_3ELS4_3ELNS0_20block_scan_algorithmE0ELj4294967295EEENS1_25partition_config_selectorILNS1_17partition_subalgoE4EjNS0_10empty_typeEbEEZZNS1_14partition_implILS8_4ELb0ES6_15HIP_vector_typeIjLj2EENS0_17counting_iteratorIjlEEPS9_SG_NS0_5tupleIJPjSI_NS0_16reverse_iteratorISI_EEEEENSH_IJSG_SG_SG_EEES9_SI_JZNS1_25segmented_radix_sort_implINS0_14default_configELb1EPKiPiPKlPlN2at6native12_GLOBAL__N_18offset_tEEE10hipError_tPvRmT1_PNSt15iterator_traitsIS12_E10value_typeET2_T3_PNS13_IS18_E10value_typeET4_jRbjT5_S1E_jjP12ihipStream_tbEUljE_ZNSN_ISO_Lb1ESQ_SR_ST_SU_SY_EESZ_S10_S11_S12_S16_S17_S18_S1B_S1C_jS1D_jS1E_S1E_jjS1G_bEUljE0_EEESZ_S10_S11_S18_S1C_S1E_T6_T7_T9_mT8_S1G_bDpT10_ENKUlT_T0_E_clISt17integral_constantIbLb0EES1U_EEDaS1P_S1Q_EUlS1P_E_NS1_11comp_targetILNS1_3genE5ELNS1_11target_archE942ELNS1_3gpuE9ELNS1_3repE0EEENS1_30default_config_static_selectorELNS0_4arch9wavefront6targetE0EEEvS12_: ; @_ZN7rocprim17ROCPRIM_400000_NS6detail17trampoline_kernelINS0_13select_configILj256ELj13ELNS0_17block_load_methodE3ELS4_3ELS4_3ELNS0_20block_scan_algorithmE0ELj4294967295EEENS1_25partition_config_selectorILNS1_17partition_subalgoE4EjNS0_10empty_typeEbEEZZNS1_14partition_implILS8_4ELb0ES6_15HIP_vector_typeIjLj2EENS0_17counting_iteratorIjlEEPS9_SG_NS0_5tupleIJPjSI_NS0_16reverse_iteratorISI_EEEEENSH_IJSG_SG_SG_EEES9_SI_JZNS1_25segmented_radix_sort_implINS0_14default_configELb1EPKiPiPKlPlN2at6native12_GLOBAL__N_18offset_tEEE10hipError_tPvRmT1_PNSt15iterator_traitsIS12_E10value_typeET2_T3_PNS13_IS18_E10value_typeET4_jRbjT5_S1E_jjP12ihipStream_tbEUljE_ZNSN_ISO_Lb1ESQ_SR_ST_SU_SY_EESZ_S10_S11_S12_S16_S17_S18_S1B_S1C_jS1D_jS1E_S1E_jjS1G_bEUljE0_EEESZ_S10_S11_S18_S1C_S1E_T6_T7_T9_mT8_S1G_bDpT10_ENKUlT_T0_E_clISt17integral_constantIbLb0EES1U_EEDaS1P_S1Q_EUlS1P_E_NS1_11comp_targetILNS1_3genE5ELNS1_11target_archE942ELNS1_3gpuE9ELNS1_3repE0EEENS1_30default_config_static_selectorELNS0_4arch9wavefront6targetE0EEEvS12_
; %bb.0:
	.section	.rodata,"a",@progbits
	.p2align	6, 0x0
	.amdhsa_kernel _ZN7rocprim17ROCPRIM_400000_NS6detail17trampoline_kernelINS0_13select_configILj256ELj13ELNS0_17block_load_methodE3ELS4_3ELS4_3ELNS0_20block_scan_algorithmE0ELj4294967295EEENS1_25partition_config_selectorILNS1_17partition_subalgoE4EjNS0_10empty_typeEbEEZZNS1_14partition_implILS8_4ELb0ES6_15HIP_vector_typeIjLj2EENS0_17counting_iteratorIjlEEPS9_SG_NS0_5tupleIJPjSI_NS0_16reverse_iteratorISI_EEEEENSH_IJSG_SG_SG_EEES9_SI_JZNS1_25segmented_radix_sort_implINS0_14default_configELb1EPKiPiPKlPlN2at6native12_GLOBAL__N_18offset_tEEE10hipError_tPvRmT1_PNSt15iterator_traitsIS12_E10value_typeET2_T3_PNS13_IS18_E10value_typeET4_jRbjT5_S1E_jjP12ihipStream_tbEUljE_ZNSN_ISO_Lb1ESQ_SR_ST_SU_SY_EESZ_S10_S11_S12_S16_S17_S18_S1B_S1C_jS1D_jS1E_S1E_jjS1G_bEUljE0_EEESZ_S10_S11_S18_S1C_S1E_T6_T7_T9_mT8_S1G_bDpT10_ENKUlT_T0_E_clISt17integral_constantIbLb0EES1U_EEDaS1P_S1Q_EUlS1P_E_NS1_11comp_targetILNS1_3genE5ELNS1_11target_archE942ELNS1_3gpuE9ELNS1_3repE0EEENS1_30default_config_static_selectorELNS0_4arch9wavefront6targetE0EEEvS12_
		.amdhsa_group_segment_fixed_size 0
		.amdhsa_private_segment_fixed_size 0
		.amdhsa_kernarg_size 176
		.amdhsa_user_sgpr_count 6
		.amdhsa_user_sgpr_private_segment_buffer 1
		.amdhsa_user_sgpr_dispatch_ptr 0
		.amdhsa_user_sgpr_queue_ptr 0
		.amdhsa_user_sgpr_kernarg_segment_ptr 1
		.amdhsa_user_sgpr_dispatch_id 0
		.amdhsa_user_sgpr_flat_scratch_init 0
		.amdhsa_user_sgpr_private_segment_size 0
		.amdhsa_wavefront_size32 1
		.amdhsa_uses_dynamic_stack 0
		.amdhsa_system_sgpr_private_segment_wavefront_offset 0
		.amdhsa_system_sgpr_workgroup_id_x 1
		.amdhsa_system_sgpr_workgroup_id_y 0
		.amdhsa_system_sgpr_workgroup_id_z 0
		.amdhsa_system_sgpr_workgroup_info 0
		.amdhsa_system_vgpr_workitem_id 0
		.amdhsa_next_free_vgpr 1
		.amdhsa_next_free_sgpr 1
		.amdhsa_reserve_vcc 0
		.amdhsa_reserve_flat_scratch 0
		.amdhsa_float_round_mode_32 0
		.amdhsa_float_round_mode_16_64 0
		.amdhsa_float_denorm_mode_32 3
		.amdhsa_float_denorm_mode_16_64 3
		.amdhsa_dx10_clamp 1
		.amdhsa_ieee_mode 1
		.amdhsa_fp16_overflow 0
		.amdhsa_workgroup_processor_mode 1
		.amdhsa_memory_ordered 1
		.amdhsa_forward_progress 1
		.amdhsa_shared_vgpr_count 0
		.amdhsa_exception_fp_ieee_invalid_op 0
		.amdhsa_exception_fp_denorm_src 0
		.amdhsa_exception_fp_ieee_div_zero 0
		.amdhsa_exception_fp_ieee_overflow 0
		.amdhsa_exception_fp_ieee_underflow 0
		.amdhsa_exception_fp_ieee_inexact 0
		.amdhsa_exception_int_div_zero 0
	.end_amdhsa_kernel
	.section	.text._ZN7rocprim17ROCPRIM_400000_NS6detail17trampoline_kernelINS0_13select_configILj256ELj13ELNS0_17block_load_methodE3ELS4_3ELS4_3ELNS0_20block_scan_algorithmE0ELj4294967295EEENS1_25partition_config_selectorILNS1_17partition_subalgoE4EjNS0_10empty_typeEbEEZZNS1_14partition_implILS8_4ELb0ES6_15HIP_vector_typeIjLj2EENS0_17counting_iteratorIjlEEPS9_SG_NS0_5tupleIJPjSI_NS0_16reverse_iteratorISI_EEEEENSH_IJSG_SG_SG_EEES9_SI_JZNS1_25segmented_radix_sort_implINS0_14default_configELb1EPKiPiPKlPlN2at6native12_GLOBAL__N_18offset_tEEE10hipError_tPvRmT1_PNSt15iterator_traitsIS12_E10value_typeET2_T3_PNS13_IS18_E10value_typeET4_jRbjT5_S1E_jjP12ihipStream_tbEUljE_ZNSN_ISO_Lb1ESQ_SR_ST_SU_SY_EESZ_S10_S11_S12_S16_S17_S18_S1B_S1C_jS1D_jS1E_S1E_jjS1G_bEUljE0_EEESZ_S10_S11_S18_S1C_S1E_T6_T7_T9_mT8_S1G_bDpT10_ENKUlT_T0_E_clISt17integral_constantIbLb0EES1U_EEDaS1P_S1Q_EUlS1P_E_NS1_11comp_targetILNS1_3genE5ELNS1_11target_archE942ELNS1_3gpuE9ELNS1_3repE0EEENS1_30default_config_static_selectorELNS0_4arch9wavefront6targetE0EEEvS12_,"axG",@progbits,_ZN7rocprim17ROCPRIM_400000_NS6detail17trampoline_kernelINS0_13select_configILj256ELj13ELNS0_17block_load_methodE3ELS4_3ELS4_3ELNS0_20block_scan_algorithmE0ELj4294967295EEENS1_25partition_config_selectorILNS1_17partition_subalgoE4EjNS0_10empty_typeEbEEZZNS1_14partition_implILS8_4ELb0ES6_15HIP_vector_typeIjLj2EENS0_17counting_iteratorIjlEEPS9_SG_NS0_5tupleIJPjSI_NS0_16reverse_iteratorISI_EEEEENSH_IJSG_SG_SG_EEES9_SI_JZNS1_25segmented_radix_sort_implINS0_14default_configELb1EPKiPiPKlPlN2at6native12_GLOBAL__N_18offset_tEEE10hipError_tPvRmT1_PNSt15iterator_traitsIS12_E10value_typeET2_T3_PNS13_IS18_E10value_typeET4_jRbjT5_S1E_jjP12ihipStream_tbEUljE_ZNSN_ISO_Lb1ESQ_SR_ST_SU_SY_EESZ_S10_S11_S12_S16_S17_S18_S1B_S1C_jS1D_jS1E_S1E_jjS1G_bEUljE0_EEESZ_S10_S11_S18_S1C_S1E_T6_T7_T9_mT8_S1G_bDpT10_ENKUlT_T0_E_clISt17integral_constantIbLb0EES1U_EEDaS1P_S1Q_EUlS1P_E_NS1_11comp_targetILNS1_3genE5ELNS1_11target_archE942ELNS1_3gpuE9ELNS1_3repE0EEENS1_30default_config_static_selectorELNS0_4arch9wavefront6targetE0EEEvS12_,comdat
.Lfunc_end430:
	.size	_ZN7rocprim17ROCPRIM_400000_NS6detail17trampoline_kernelINS0_13select_configILj256ELj13ELNS0_17block_load_methodE3ELS4_3ELS4_3ELNS0_20block_scan_algorithmE0ELj4294967295EEENS1_25partition_config_selectorILNS1_17partition_subalgoE4EjNS0_10empty_typeEbEEZZNS1_14partition_implILS8_4ELb0ES6_15HIP_vector_typeIjLj2EENS0_17counting_iteratorIjlEEPS9_SG_NS0_5tupleIJPjSI_NS0_16reverse_iteratorISI_EEEEENSH_IJSG_SG_SG_EEES9_SI_JZNS1_25segmented_radix_sort_implINS0_14default_configELb1EPKiPiPKlPlN2at6native12_GLOBAL__N_18offset_tEEE10hipError_tPvRmT1_PNSt15iterator_traitsIS12_E10value_typeET2_T3_PNS13_IS18_E10value_typeET4_jRbjT5_S1E_jjP12ihipStream_tbEUljE_ZNSN_ISO_Lb1ESQ_SR_ST_SU_SY_EESZ_S10_S11_S12_S16_S17_S18_S1B_S1C_jS1D_jS1E_S1E_jjS1G_bEUljE0_EEESZ_S10_S11_S18_S1C_S1E_T6_T7_T9_mT8_S1G_bDpT10_ENKUlT_T0_E_clISt17integral_constantIbLb0EES1U_EEDaS1P_S1Q_EUlS1P_E_NS1_11comp_targetILNS1_3genE5ELNS1_11target_archE942ELNS1_3gpuE9ELNS1_3repE0EEENS1_30default_config_static_selectorELNS0_4arch9wavefront6targetE0EEEvS12_, .Lfunc_end430-_ZN7rocprim17ROCPRIM_400000_NS6detail17trampoline_kernelINS0_13select_configILj256ELj13ELNS0_17block_load_methodE3ELS4_3ELS4_3ELNS0_20block_scan_algorithmE0ELj4294967295EEENS1_25partition_config_selectorILNS1_17partition_subalgoE4EjNS0_10empty_typeEbEEZZNS1_14partition_implILS8_4ELb0ES6_15HIP_vector_typeIjLj2EENS0_17counting_iteratorIjlEEPS9_SG_NS0_5tupleIJPjSI_NS0_16reverse_iteratorISI_EEEEENSH_IJSG_SG_SG_EEES9_SI_JZNS1_25segmented_radix_sort_implINS0_14default_configELb1EPKiPiPKlPlN2at6native12_GLOBAL__N_18offset_tEEE10hipError_tPvRmT1_PNSt15iterator_traitsIS12_E10value_typeET2_T3_PNS13_IS18_E10value_typeET4_jRbjT5_S1E_jjP12ihipStream_tbEUljE_ZNSN_ISO_Lb1ESQ_SR_ST_SU_SY_EESZ_S10_S11_S12_S16_S17_S18_S1B_S1C_jS1D_jS1E_S1E_jjS1G_bEUljE0_EEESZ_S10_S11_S18_S1C_S1E_T6_T7_T9_mT8_S1G_bDpT10_ENKUlT_T0_E_clISt17integral_constantIbLb0EES1U_EEDaS1P_S1Q_EUlS1P_E_NS1_11comp_targetILNS1_3genE5ELNS1_11target_archE942ELNS1_3gpuE9ELNS1_3repE0EEENS1_30default_config_static_selectorELNS0_4arch9wavefront6targetE0EEEvS12_
                                        ; -- End function
	.set _ZN7rocprim17ROCPRIM_400000_NS6detail17trampoline_kernelINS0_13select_configILj256ELj13ELNS0_17block_load_methodE3ELS4_3ELS4_3ELNS0_20block_scan_algorithmE0ELj4294967295EEENS1_25partition_config_selectorILNS1_17partition_subalgoE4EjNS0_10empty_typeEbEEZZNS1_14partition_implILS8_4ELb0ES6_15HIP_vector_typeIjLj2EENS0_17counting_iteratorIjlEEPS9_SG_NS0_5tupleIJPjSI_NS0_16reverse_iteratorISI_EEEEENSH_IJSG_SG_SG_EEES9_SI_JZNS1_25segmented_radix_sort_implINS0_14default_configELb1EPKiPiPKlPlN2at6native12_GLOBAL__N_18offset_tEEE10hipError_tPvRmT1_PNSt15iterator_traitsIS12_E10value_typeET2_T3_PNS13_IS18_E10value_typeET4_jRbjT5_S1E_jjP12ihipStream_tbEUljE_ZNSN_ISO_Lb1ESQ_SR_ST_SU_SY_EESZ_S10_S11_S12_S16_S17_S18_S1B_S1C_jS1D_jS1E_S1E_jjS1G_bEUljE0_EEESZ_S10_S11_S18_S1C_S1E_T6_T7_T9_mT8_S1G_bDpT10_ENKUlT_T0_E_clISt17integral_constantIbLb0EES1U_EEDaS1P_S1Q_EUlS1P_E_NS1_11comp_targetILNS1_3genE5ELNS1_11target_archE942ELNS1_3gpuE9ELNS1_3repE0EEENS1_30default_config_static_selectorELNS0_4arch9wavefront6targetE0EEEvS12_.num_vgpr, 0
	.set _ZN7rocprim17ROCPRIM_400000_NS6detail17trampoline_kernelINS0_13select_configILj256ELj13ELNS0_17block_load_methodE3ELS4_3ELS4_3ELNS0_20block_scan_algorithmE0ELj4294967295EEENS1_25partition_config_selectorILNS1_17partition_subalgoE4EjNS0_10empty_typeEbEEZZNS1_14partition_implILS8_4ELb0ES6_15HIP_vector_typeIjLj2EENS0_17counting_iteratorIjlEEPS9_SG_NS0_5tupleIJPjSI_NS0_16reverse_iteratorISI_EEEEENSH_IJSG_SG_SG_EEES9_SI_JZNS1_25segmented_radix_sort_implINS0_14default_configELb1EPKiPiPKlPlN2at6native12_GLOBAL__N_18offset_tEEE10hipError_tPvRmT1_PNSt15iterator_traitsIS12_E10value_typeET2_T3_PNS13_IS18_E10value_typeET4_jRbjT5_S1E_jjP12ihipStream_tbEUljE_ZNSN_ISO_Lb1ESQ_SR_ST_SU_SY_EESZ_S10_S11_S12_S16_S17_S18_S1B_S1C_jS1D_jS1E_S1E_jjS1G_bEUljE0_EEESZ_S10_S11_S18_S1C_S1E_T6_T7_T9_mT8_S1G_bDpT10_ENKUlT_T0_E_clISt17integral_constantIbLb0EES1U_EEDaS1P_S1Q_EUlS1P_E_NS1_11comp_targetILNS1_3genE5ELNS1_11target_archE942ELNS1_3gpuE9ELNS1_3repE0EEENS1_30default_config_static_selectorELNS0_4arch9wavefront6targetE0EEEvS12_.num_agpr, 0
	.set _ZN7rocprim17ROCPRIM_400000_NS6detail17trampoline_kernelINS0_13select_configILj256ELj13ELNS0_17block_load_methodE3ELS4_3ELS4_3ELNS0_20block_scan_algorithmE0ELj4294967295EEENS1_25partition_config_selectorILNS1_17partition_subalgoE4EjNS0_10empty_typeEbEEZZNS1_14partition_implILS8_4ELb0ES6_15HIP_vector_typeIjLj2EENS0_17counting_iteratorIjlEEPS9_SG_NS0_5tupleIJPjSI_NS0_16reverse_iteratorISI_EEEEENSH_IJSG_SG_SG_EEES9_SI_JZNS1_25segmented_radix_sort_implINS0_14default_configELb1EPKiPiPKlPlN2at6native12_GLOBAL__N_18offset_tEEE10hipError_tPvRmT1_PNSt15iterator_traitsIS12_E10value_typeET2_T3_PNS13_IS18_E10value_typeET4_jRbjT5_S1E_jjP12ihipStream_tbEUljE_ZNSN_ISO_Lb1ESQ_SR_ST_SU_SY_EESZ_S10_S11_S12_S16_S17_S18_S1B_S1C_jS1D_jS1E_S1E_jjS1G_bEUljE0_EEESZ_S10_S11_S18_S1C_S1E_T6_T7_T9_mT8_S1G_bDpT10_ENKUlT_T0_E_clISt17integral_constantIbLb0EES1U_EEDaS1P_S1Q_EUlS1P_E_NS1_11comp_targetILNS1_3genE5ELNS1_11target_archE942ELNS1_3gpuE9ELNS1_3repE0EEENS1_30default_config_static_selectorELNS0_4arch9wavefront6targetE0EEEvS12_.numbered_sgpr, 0
	.set _ZN7rocprim17ROCPRIM_400000_NS6detail17trampoline_kernelINS0_13select_configILj256ELj13ELNS0_17block_load_methodE3ELS4_3ELS4_3ELNS0_20block_scan_algorithmE0ELj4294967295EEENS1_25partition_config_selectorILNS1_17partition_subalgoE4EjNS0_10empty_typeEbEEZZNS1_14partition_implILS8_4ELb0ES6_15HIP_vector_typeIjLj2EENS0_17counting_iteratorIjlEEPS9_SG_NS0_5tupleIJPjSI_NS0_16reverse_iteratorISI_EEEEENSH_IJSG_SG_SG_EEES9_SI_JZNS1_25segmented_radix_sort_implINS0_14default_configELb1EPKiPiPKlPlN2at6native12_GLOBAL__N_18offset_tEEE10hipError_tPvRmT1_PNSt15iterator_traitsIS12_E10value_typeET2_T3_PNS13_IS18_E10value_typeET4_jRbjT5_S1E_jjP12ihipStream_tbEUljE_ZNSN_ISO_Lb1ESQ_SR_ST_SU_SY_EESZ_S10_S11_S12_S16_S17_S18_S1B_S1C_jS1D_jS1E_S1E_jjS1G_bEUljE0_EEESZ_S10_S11_S18_S1C_S1E_T6_T7_T9_mT8_S1G_bDpT10_ENKUlT_T0_E_clISt17integral_constantIbLb0EES1U_EEDaS1P_S1Q_EUlS1P_E_NS1_11comp_targetILNS1_3genE5ELNS1_11target_archE942ELNS1_3gpuE9ELNS1_3repE0EEENS1_30default_config_static_selectorELNS0_4arch9wavefront6targetE0EEEvS12_.num_named_barrier, 0
	.set _ZN7rocprim17ROCPRIM_400000_NS6detail17trampoline_kernelINS0_13select_configILj256ELj13ELNS0_17block_load_methodE3ELS4_3ELS4_3ELNS0_20block_scan_algorithmE0ELj4294967295EEENS1_25partition_config_selectorILNS1_17partition_subalgoE4EjNS0_10empty_typeEbEEZZNS1_14partition_implILS8_4ELb0ES6_15HIP_vector_typeIjLj2EENS0_17counting_iteratorIjlEEPS9_SG_NS0_5tupleIJPjSI_NS0_16reverse_iteratorISI_EEEEENSH_IJSG_SG_SG_EEES9_SI_JZNS1_25segmented_radix_sort_implINS0_14default_configELb1EPKiPiPKlPlN2at6native12_GLOBAL__N_18offset_tEEE10hipError_tPvRmT1_PNSt15iterator_traitsIS12_E10value_typeET2_T3_PNS13_IS18_E10value_typeET4_jRbjT5_S1E_jjP12ihipStream_tbEUljE_ZNSN_ISO_Lb1ESQ_SR_ST_SU_SY_EESZ_S10_S11_S12_S16_S17_S18_S1B_S1C_jS1D_jS1E_S1E_jjS1G_bEUljE0_EEESZ_S10_S11_S18_S1C_S1E_T6_T7_T9_mT8_S1G_bDpT10_ENKUlT_T0_E_clISt17integral_constantIbLb0EES1U_EEDaS1P_S1Q_EUlS1P_E_NS1_11comp_targetILNS1_3genE5ELNS1_11target_archE942ELNS1_3gpuE9ELNS1_3repE0EEENS1_30default_config_static_selectorELNS0_4arch9wavefront6targetE0EEEvS12_.private_seg_size, 0
	.set _ZN7rocprim17ROCPRIM_400000_NS6detail17trampoline_kernelINS0_13select_configILj256ELj13ELNS0_17block_load_methodE3ELS4_3ELS4_3ELNS0_20block_scan_algorithmE0ELj4294967295EEENS1_25partition_config_selectorILNS1_17partition_subalgoE4EjNS0_10empty_typeEbEEZZNS1_14partition_implILS8_4ELb0ES6_15HIP_vector_typeIjLj2EENS0_17counting_iteratorIjlEEPS9_SG_NS0_5tupleIJPjSI_NS0_16reverse_iteratorISI_EEEEENSH_IJSG_SG_SG_EEES9_SI_JZNS1_25segmented_radix_sort_implINS0_14default_configELb1EPKiPiPKlPlN2at6native12_GLOBAL__N_18offset_tEEE10hipError_tPvRmT1_PNSt15iterator_traitsIS12_E10value_typeET2_T3_PNS13_IS18_E10value_typeET4_jRbjT5_S1E_jjP12ihipStream_tbEUljE_ZNSN_ISO_Lb1ESQ_SR_ST_SU_SY_EESZ_S10_S11_S12_S16_S17_S18_S1B_S1C_jS1D_jS1E_S1E_jjS1G_bEUljE0_EEESZ_S10_S11_S18_S1C_S1E_T6_T7_T9_mT8_S1G_bDpT10_ENKUlT_T0_E_clISt17integral_constantIbLb0EES1U_EEDaS1P_S1Q_EUlS1P_E_NS1_11comp_targetILNS1_3genE5ELNS1_11target_archE942ELNS1_3gpuE9ELNS1_3repE0EEENS1_30default_config_static_selectorELNS0_4arch9wavefront6targetE0EEEvS12_.uses_vcc, 0
	.set _ZN7rocprim17ROCPRIM_400000_NS6detail17trampoline_kernelINS0_13select_configILj256ELj13ELNS0_17block_load_methodE3ELS4_3ELS4_3ELNS0_20block_scan_algorithmE0ELj4294967295EEENS1_25partition_config_selectorILNS1_17partition_subalgoE4EjNS0_10empty_typeEbEEZZNS1_14partition_implILS8_4ELb0ES6_15HIP_vector_typeIjLj2EENS0_17counting_iteratorIjlEEPS9_SG_NS0_5tupleIJPjSI_NS0_16reverse_iteratorISI_EEEEENSH_IJSG_SG_SG_EEES9_SI_JZNS1_25segmented_radix_sort_implINS0_14default_configELb1EPKiPiPKlPlN2at6native12_GLOBAL__N_18offset_tEEE10hipError_tPvRmT1_PNSt15iterator_traitsIS12_E10value_typeET2_T3_PNS13_IS18_E10value_typeET4_jRbjT5_S1E_jjP12ihipStream_tbEUljE_ZNSN_ISO_Lb1ESQ_SR_ST_SU_SY_EESZ_S10_S11_S12_S16_S17_S18_S1B_S1C_jS1D_jS1E_S1E_jjS1G_bEUljE0_EEESZ_S10_S11_S18_S1C_S1E_T6_T7_T9_mT8_S1G_bDpT10_ENKUlT_T0_E_clISt17integral_constantIbLb0EES1U_EEDaS1P_S1Q_EUlS1P_E_NS1_11comp_targetILNS1_3genE5ELNS1_11target_archE942ELNS1_3gpuE9ELNS1_3repE0EEENS1_30default_config_static_selectorELNS0_4arch9wavefront6targetE0EEEvS12_.uses_flat_scratch, 0
	.set _ZN7rocprim17ROCPRIM_400000_NS6detail17trampoline_kernelINS0_13select_configILj256ELj13ELNS0_17block_load_methodE3ELS4_3ELS4_3ELNS0_20block_scan_algorithmE0ELj4294967295EEENS1_25partition_config_selectorILNS1_17partition_subalgoE4EjNS0_10empty_typeEbEEZZNS1_14partition_implILS8_4ELb0ES6_15HIP_vector_typeIjLj2EENS0_17counting_iteratorIjlEEPS9_SG_NS0_5tupleIJPjSI_NS0_16reverse_iteratorISI_EEEEENSH_IJSG_SG_SG_EEES9_SI_JZNS1_25segmented_radix_sort_implINS0_14default_configELb1EPKiPiPKlPlN2at6native12_GLOBAL__N_18offset_tEEE10hipError_tPvRmT1_PNSt15iterator_traitsIS12_E10value_typeET2_T3_PNS13_IS18_E10value_typeET4_jRbjT5_S1E_jjP12ihipStream_tbEUljE_ZNSN_ISO_Lb1ESQ_SR_ST_SU_SY_EESZ_S10_S11_S12_S16_S17_S18_S1B_S1C_jS1D_jS1E_S1E_jjS1G_bEUljE0_EEESZ_S10_S11_S18_S1C_S1E_T6_T7_T9_mT8_S1G_bDpT10_ENKUlT_T0_E_clISt17integral_constantIbLb0EES1U_EEDaS1P_S1Q_EUlS1P_E_NS1_11comp_targetILNS1_3genE5ELNS1_11target_archE942ELNS1_3gpuE9ELNS1_3repE0EEENS1_30default_config_static_selectorELNS0_4arch9wavefront6targetE0EEEvS12_.has_dyn_sized_stack, 0
	.set _ZN7rocprim17ROCPRIM_400000_NS6detail17trampoline_kernelINS0_13select_configILj256ELj13ELNS0_17block_load_methodE3ELS4_3ELS4_3ELNS0_20block_scan_algorithmE0ELj4294967295EEENS1_25partition_config_selectorILNS1_17partition_subalgoE4EjNS0_10empty_typeEbEEZZNS1_14partition_implILS8_4ELb0ES6_15HIP_vector_typeIjLj2EENS0_17counting_iteratorIjlEEPS9_SG_NS0_5tupleIJPjSI_NS0_16reverse_iteratorISI_EEEEENSH_IJSG_SG_SG_EEES9_SI_JZNS1_25segmented_radix_sort_implINS0_14default_configELb1EPKiPiPKlPlN2at6native12_GLOBAL__N_18offset_tEEE10hipError_tPvRmT1_PNSt15iterator_traitsIS12_E10value_typeET2_T3_PNS13_IS18_E10value_typeET4_jRbjT5_S1E_jjP12ihipStream_tbEUljE_ZNSN_ISO_Lb1ESQ_SR_ST_SU_SY_EESZ_S10_S11_S12_S16_S17_S18_S1B_S1C_jS1D_jS1E_S1E_jjS1G_bEUljE0_EEESZ_S10_S11_S18_S1C_S1E_T6_T7_T9_mT8_S1G_bDpT10_ENKUlT_T0_E_clISt17integral_constantIbLb0EES1U_EEDaS1P_S1Q_EUlS1P_E_NS1_11comp_targetILNS1_3genE5ELNS1_11target_archE942ELNS1_3gpuE9ELNS1_3repE0EEENS1_30default_config_static_selectorELNS0_4arch9wavefront6targetE0EEEvS12_.has_recursion, 0
	.set _ZN7rocprim17ROCPRIM_400000_NS6detail17trampoline_kernelINS0_13select_configILj256ELj13ELNS0_17block_load_methodE3ELS4_3ELS4_3ELNS0_20block_scan_algorithmE0ELj4294967295EEENS1_25partition_config_selectorILNS1_17partition_subalgoE4EjNS0_10empty_typeEbEEZZNS1_14partition_implILS8_4ELb0ES6_15HIP_vector_typeIjLj2EENS0_17counting_iteratorIjlEEPS9_SG_NS0_5tupleIJPjSI_NS0_16reverse_iteratorISI_EEEEENSH_IJSG_SG_SG_EEES9_SI_JZNS1_25segmented_radix_sort_implINS0_14default_configELb1EPKiPiPKlPlN2at6native12_GLOBAL__N_18offset_tEEE10hipError_tPvRmT1_PNSt15iterator_traitsIS12_E10value_typeET2_T3_PNS13_IS18_E10value_typeET4_jRbjT5_S1E_jjP12ihipStream_tbEUljE_ZNSN_ISO_Lb1ESQ_SR_ST_SU_SY_EESZ_S10_S11_S12_S16_S17_S18_S1B_S1C_jS1D_jS1E_S1E_jjS1G_bEUljE0_EEESZ_S10_S11_S18_S1C_S1E_T6_T7_T9_mT8_S1G_bDpT10_ENKUlT_T0_E_clISt17integral_constantIbLb0EES1U_EEDaS1P_S1Q_EUlS1P_E_NS1_11comp_targetILNS1_3genE5ELNS1_11target_archE942ELNS1_3gpuE9ELNS1_3repE0EEENS1_30default_config_static_selectorELNS0_4arch9wavefront6targetE0EEEvS12_.has_indirect_call, 0
	.section	.AMDGPU.csdata,"",@progbits
; Kernel info:
; codeLenInByte = 0
; TotalNumSgprs: 0
; NumVgprs: 0
; ScratchSize: 0
; MemoryBound: 0
; FloatMode: 240
; IeeeMode: 1
; LDSByteSize: 0 bytes/workgroup (compile time only)
; SGPRBlocks: 0
; VGPRBlocks: 0
; NumSGPRsForWavesPerEU: 1
; NumVGPRsForWavesPerEU: 1
; Occupancy: 16
; WaveLimiterHint : 0
; COMPUTE_PGM_RSRC2:SCRATCH_EN: 0
; COMPUTE_PGM_RSRC2:USER_SGPR: 6
; COMPUTE_PGM_RSRC2:TRAP_HANDLER: 0
; COMPUTE_PGM_RSRC2:TGID_X_EN: 1
; COMPUTE_PGM_RSRC2:TGID_Y_EN: 0
; COMPUTE_PGM_RSRC2:TGID_Z_EN: 0
; COMPUTE_PGM_RSRC2:TIDIG_COMP_CNT: 0
	.section	.text._ZN7rocprim17ROCPRIM_400000_NS6detail17trampoline_kernelINS0_13select_configILj256ELj13ELNS0_17block_load_methodE3ELS4_3ELS4_3ELNS0_20block_scan_algorithmE0ELj4294967295EEENS1_25partition_config_selectorILNS1_17partition_subalgoE4EjNS0_10empty_typeEbEEZZNS1_14partition_implILS8_4ELb0ES6_15HIP_vector_typeIjLj2EENS0_17counting_iteratorIjlEEPS9_SG_NS0_5tupleIJPjSI_NS0_16reverse_iteratorISI_EEEEENSH_IJSG_SG_SG_EEES9_SI_JZNS1_25segmented_radix_sort_implINS0_14default_configELb1EPKiPiPKlPlN2at6native12_GLOBAL__N_18offset_tEEE10hipError_tPvRmT1_PNSt15iterator_traitsIS12_E10value_typeET2_T3_PNS13_IS18_E10value_typeET4_jRbjT5_S1E_jjP12ihipStream_tbEUljE_ZNSN_ISO_Lb1ESQ_SR_ST_SU_SY_EESZ_S10_S11_S12_S16_S17_S18_S1B_S1C_jS1D_jS1E_S1E_jjS1G_bEUljE0_EEESZ_S10_S11_S18_S1C_S1E_T6_T7_T9_mT8_S1G_bDpT10_ENKUlT_T0_E_clISt17integral_constantIbLb0EES1U_EEDaS1P_S1Q_EUlS1P_E_NS1_11comp_targetILNS1_3genE4ELNS1_11target_archE910ELNS1_3gpuE8ELNS1_3repE0EEENS1_30default_config_static_selectorELNS0_4arch9wavefront6targetE0EEEvS12_,"axG",@progbits,_ZN7rocprim17ROCPRIM_400000_NS6detail17trampoline_kernelINS0_13select_configILj256ELj13ELNS0_17block_load_methodE3ELS4_3ELS4_3ELNS0_20block_scan_algorithmE0ELj4294967295EEENS1_25partition_config_selectorILNS1_17partition_subalgoE4EjNS0_10empty_typeEbEEZZNS1_14partition_implILS8_4ELb0ES6_15HIP_vector_typeIjLj2EENS0_17counting_iteratorIjlEEPS9_SG_NS0_5tupleIJPjSI_NS0_16reverse_iteratorISI_EEEEENSH_IJSG_SG_SG_EEES9_SI_JZNS1_25segmented_radix_sort_implINS0_14default_configELb1EPKiPiPKlPlN2at6native12_GLOBAL__N_18offset_tEEE10hipError_tPvRmT1_PNSt15iterator_traitsIS12_E10value_typeET2_T3_PNS13_IS18_E10value_typeET4_jRbjT5_S1E_jjP12ihipStream_tbEUljE_ZNSN_ISO_Lb1ESQ_SR_ST_SU_SY_EESZ_S10_S11_S12_S16_S17_S18_S1B_S1C_jS1D_jS1E_S1E_jjS1G_bEUljE0_EEESZ_S10_S11_S18_S1C_S1E_T6_T7_T9_mT8_S1G_bDpT10_ENKUlT_T0_E_clISt17integral_constantIbLb0EES1U_EEDaS1P_S1Q_EUlS1P_E_NS1_11comp_targetILNS1_3genE4ELNS1_11target_archE910ELNS1_3gpuE8ELNS1_3repE0EEENS1_30default_config_static_selectorELNS0_4arch9wavefront6targetE0EEEvS12_,comdat
	.globl	_ZN7rocprim17ROCPRIM_400000_NS6detail17trampoline_kernelINS0_13select_configILj256ELj13ELNS0_17block_load_methodE3ELS4_3ELS4_3ELNS0_20block_scan_algorithmE0ELj4294967295EEENS1_25partition_config_selectorILNS1_17partition_subalgoE4EjNS0_10empty_typeEbEEZZNS1_14partition_implILS8_4ELb0ES6_15HIP_vector_typeIjLj2EENS0_17counting_iteratorIjlEEPS9_SG_NS0_5tupleIJPjSI_NS0_16reverse_iteratorISI_EEEEENSH_IJSG_SG_SG_EEES9_SI_JZNS1_25segmented_radix_sort_implINS0_14default_configELb1EPKiPiPKlPlN2at6native12_GLOBAL__N_18offset_tEEE10hipError_tPvRmT1_PNSt15iterator_traitsIS12_E10value_typeET2_T3_PNS13_IS18_E10value_typeET4_jRbjT5_S1E_jjP12ihipStream_tbEUljE_ZNSN_ISO_Lb1ESQ_SR_ST_SU_SY_EESZ_S10_S11_S12_S16_S17_S18_S1B_S1C_jS1D_jS1E_S1E_jjS1G_bEUljE0_EEESZ_S10_S11_S18_S1C_S1E_T6_T7_T9_mT8_S1G_bDpT10_ENKUlT_T0_E_clISt17integral_constantIbLb0EES1U_EEDaS1P_S1Q_EUlS1P_E_NS1_11comp_targetILNS1_3genE4ELNS1_11target_archE910ELNS1_3gpuE8ELNS1_3repE0EEENS1_30default_config_static_selectorELNS0_4arch9wavefront6targetE0EEEvS12_ ; -- Begin function _ZN7rocprim17ROCPRIM_400000_NS6detail17trampoline_kernelINS0_13select_configILj256ELj13ELNS0_17block_load_methodE3ELS4_3ELS4_3ELNS0_20block_scan_algorithmE0ELj4294967295EEENS1_25partition_config_selectorILNS1_17partition_subalgoE4EjNS0_10empty_typeEbEEZZNS1_14partition_implILS8_4ELb0ES6_15HIP_vector_typeIjLj2EENS0_17counting_iteratorIjlEEPS9_SG_NS0_5tupleIJPjSI_NS0_16reverse_iteratorISI_EEEEENSH_IJSG_SG_SG_EEES9_SI_JZNS1_25segmented_radix_sort_implINS0_14default_configELb1EPKiPiPKlPlN2at6native12_GLOBAL__N_18offset_tEEE10hipError_tPvRmT1_PNSt15iterator_traitsIS12_E10value_typeET2_T3_PNS13_IS18_E10value_typeET4_jRbjT5_S1E_jjP12ihipStream_tbEUljE_ZNSN_ISO_Lb1ESQ_SR_ST_SU_SY_EESZ_S10_S11_S12_S16_S17_S18_S1B_S1C_jS1D_jS1E_S1E_jjS1G_bEUljE0_EEESZ_S10_S11_S18_S1C_S1E_T6_T7_T9_mT8_S1G_bDpT10_ENKUlT_T0_E_clISt17integral_constantIbLb0EES1U_EEDaS1P_S1Q_EUlS1P_E_NS1_11comp_targetILNS1_3genE4ELNS1_11target_archE910ELNS1_3gpuE8ELNS1_3repE0EEENS1_30default_config_static_selectorELNS0_4arch9wavefront6targetE0EEEvS12_
	.p2align	8
	.type	_ZN7rocprim17ROCPRIM_400000_NS6detail17trampoline_kernelINS0_13select_configILj256ELj13ELNS0_17block_load_methodE3ELS4_3ELS4_3ELNS0_20block_scan_algorithmE0ELj4294967295EEENS1_25partition_config_selectorILNS1_17partition_subalgoE4EjNS0_10empty_typeEbEEZZNS1_14partition_implILS8_4ELb0ES6_15HIP_vector_typeIjLj2EENS0_17counting_iteratorIjlEEPS9_SG_NS0_5tupleIJPjSI_NS0_16reverse_iteratorISI_EEEEENSH_IJSG_SG_SG_EEES9_SI_JZNS1_25segmented_radix_sort_implINS0_14default_configELb1EPKiPiPKlPlN2at6native12_GLOBAL__N_18offset_tEEE10hipError_tPvRmT1_PNSt15iterator_traitsIS12_E10value_typeET2_T3_PNS13_IS18_E10value_typeET4_jRbjT5_S1E_jjP12ihipStream_tbEUljE_ZNSN_ISO_Lb1ESQ_SR_ST_SU_SY_EESZ_S10_S11_S12_S16_S17_S18_S1B_S1C_jS1D_jS1E_S1E_jjS1G_bEUljE0_EEESZ_S10_S11_S18_S1C_S1E_T6_T7_T9_mT8_S1G_bDpT10_ENKUlT_T0_E_clISt17integral_constantIbLb0EES1U_EEDaS1P_S1Q_EUlS1P_E_NS1_11comp_targetILNS1_3genE4ELNS1_11target_archE910ELNS1_3gpuE8ELNS1_3repE0EEENS1_30default_config_static_selectorELNS0_4arch9wavefront6targetE0EEEvS12_,@function
_ZN7rocprim17ROCPRIM_400000_NS6detail17trampoline_kernelINS0_13select_configILj256ELj13ELNS0_17block_load_methodE3ELS4_3ELS4_3ELNS0_20block_scan_algorithmE0ELj4294967295EEENS1_25partition_config_selectorILNS1_17partition_subalgoE4EjNS0_10empty_typeEbEEZZNS1_14partition_implILS8_4ELb0ES6_15HIP_vector_typeIjLj2EENS0_17counting_iteratorIjlEEPS9_SG_NS0_5tupleIJPjSI_NS0_16reverse_iteratorISI_EEEEENSH_IJSG_SG_SG_EEES9_SI_JZNS1_25segmented_radix_sort_implINS0_14default_configELb1EPKiPiPKlPlN2at6native12_GLOBAL__N_18offset_tEEE10hipError_tPvRmT1_PNSt15iterator_traitsIS12_E10value_typeET2_T3_PNS13_IS18_E10value_typeET4_jRbjT5_S1E_jjP12ihipStream_tbEUljE_ZNSN_ISO_Lb1ESQ_SR_ST_SU_SY_EESZ_S10_S11_S12_S16_S17_S18_S1B_S1C_jS1D_jS1E_S1E_jjS1G_bEUljE0_EEESZ_S10_S11_S18_S1C_S1E_T6_T7_T9_mT8_S1G_bDpT10_ENKUlT_T0_E_clISt17integral_constantIbLb0EES1U_EEDaS1P_S1Q_EUlS1P_E_NS1_11comp_targetILNS1_3genE4ELNS1_11target_archE910ELNS1_3gpuE8ELNS1_3repE0EEENS1_30default_config_static_selectorELNS0_4arch9wavefront6targetE0EEEvS12_: ; @_ZN7rocprim17ROCPRIM_400000_NS6detail17trampoline_kernelINS0_13select_configILj256ELj13ELNS0_17block_load_methodE3ELS4_3ELS4_3ELNS0_20block_scan_algorithmE0ELj4294967295EEENS1_25partition_config_selectorILNS1_17partition_subalgoE4EjNS0_10empty_typeEbEEZZNS1_14partition_implILS8_4ELb0ES6_15HIP_vector_typeIjLj2EENS0_17counting_iteratorIjlEEPS9_SG_NS0_5tupleIJPjSI_NS0_16reverse_iteratorISI_EEEEENSH_IJSG_SG_SG_EEES9_SI_JZNS1_25segmented_radix_sort_implINS0_14default_configELb1EPKiPiPKlPlN2at6native12_GLOBAL__N_18offset_tEEE10hipError_tPvRmT1_PNSt15iterator_traitsIS12_E10value_typeET2_T3_PNS13_IS18_E10value_typeET4_jRbjT5_S1E_jjP12ihipStream_tbEUljE_ZNSN_ISO_Lb1ESQ_SR_ST_SU_SY_EESZ_S10_S11_S12_S16_S17_S18_S1B_S1C_jS1D_jS1E_S1E_jjS1G_bEUljE0_EEESZ_S10_S11_S18_S1C_S1E_T6_T7_T9_mT8_S1G_bDpT10_ENKUlT_T0_E_clISt17integral_constantIbLb0EES1U_EEDaS1P_S1Q_EUlS1P_E_NS1_11comp_targetILNS1_3genE4ELNS1_11target_archE910ELNS1_3gpuE8ELNS1_3repE0EEENS1_30default_config_static_selectorELNS0_4arch9wavefront6targetE0EEEvS12_
; %bb.0:
	.section	.rodata,"a",@progbits
	.p2align	6, 0x0
	.amdhsa_kernel _ZN7rocprim17ROCPRIM_400000_NS6detail17trampoline_kernelINS0_13select_configILj256ELj13ELNS0_17block_load_methodE3ELS4_3ELS4_3ELNS0_20block_scan_algorithmE0ELj4294967295EEENS1_25partition_config_selectorILNS1_17partition_subalgoE4EjNS0_10empty_typeEbEEZZNS1_14partition_implILS8_4ELb0ES6_15HIP_vector_typeIjLj2EENS0_17counting_iteratorIjlEEPS9_SG_NS0_5tupleIJPjSI_NS0_16reverse_iteratorISI_EEEEENSH_IJSG_SG_SG_EEES9_SI_JZNS1_25segmented_radix_sort_implINS0_14default_configELb1EPKiPiPKlPlN2at6native12_GLOBAL__N_18offset_tEEE10hipError_tPvRmT1_PNSt15iterator_traitsIS12_E10value_typeET2_T3_PNS13_IS18_E10value_typeET4_jRbjT5_S1E_jjP12ihipStream_tbEUljE_ZNSN_ISO_Lb1ESQ_SR_ST_SU_SY_EESZ_S10_S11_S12_S16_S17_S18_S1B_S1C_jS1D_jS1E_S1E_jjS1G_bEUljE0_EEESZ_S10_S11_S18_S1C_S1E_T6_T7_T9_mT8_S1G_bDpT10_ENKUlT_T0_E_clISt17integral_constantIbLb0EES1U_EEDaS1P_S1Q_EUlS1P_E_NS1_11comp_targetILNS1_3genE4ELNS1_11target_archE910ELNS1_3gpuE8ELNS1_3repE0EEENS1_30default_config_static_selectorELNS0_4arch9wavefront6targetE0EEEvS12_
		.amdhsa_group_segment_fixed_size 0
		.amdhsa_private_segment_fixed_size 0
		.amdhsa_kernarg_size 176
		.amdhsa_user_sgpr_count 6
		.amdhsa_user_sgpr_private_segment_buffer 1
		.amdhsa_user_sgpr_dispatch_ptr 0
		.amdhsa_user_sgpr_queue_ptr 0
		.amdhsa_user_sgpr_kernarg_segment_ptr 1
		.amdhsa_user_sgpr_dispatch_id 0
		.amdhsa_user_sgpr_flat_scratch_init 0
		.amdhsa_user_sgpr_private_segment_size 0
		.amdhsa_wavefront_size32 1
		.amdhsa_uses_dynamic_stack 0
		.amdhsa_system_sgpr_private_segment_wavefront_offset 0
		.amdhsa_system_sgpr_workgroup_id_x 1
		.amdhsa_system_sgpr_workgroup_id_y 0
		.amdhsa_system_sgpr_workgroup_id_z 0
		.amdhsa_system_sgpr_workgroup_info 0
		.amdhsa_system_vgpr_workitem_id 0
		.amdhsa_next_free_vgpr 1
		.amdhsa_next_free_sgpr 1
		.amdhsa_reserve_vcc 0
		.amdhsa_reserve_flat_scratch 0
		.amdhsa_float_round_mode_32 0
		.amdhsa_float_round_mode_16_64 0
		.amdhsa_float_denorm_mode_32 3
		.amdhsa_float_denorm_mode_16_64 3
		.amdhsa_dx10_clamp 1
		.amdhsa_ieee_mode 1
		.amdhsa_fp16_overflow 0
		.amdhsa_workgroup_processor_mode 1
		.amdhsa_memory_ordered 1
		.amdhsa_forward_progress 1
		.amdhsa_shared_vgpr_count 0
		.amdhsa_exception_fp_ieee_invalid_op 0
		.amdhsa_exception_fp_denorm_src 0
		.amdhsa_exception_fp_ieee_div_zero 0
		.amdhsa_exception_fp_ieee_overflow 0
		.amdhsa_exception_fp_ieee_underflow 0
		.amdhsa_exception_fp_ieee_inexact 0
		.amdhsa_exception_int_div_zero 0
	.end_amdhsa_kernel
	.section	.text._ZN7rocprim17ROCPRIM_400000_NS6detail17trampoline_kernelINS0_13select_configILj256ELj13ELNS0_17block_load_methodE3ELS4_3ELS4_3ELNS0_20block_scan_algorithmE0ELj4294967295EEENS1_25partition_config_selectorILNS1_17partition_subalgoE4EjNS0_10empty_typeEbEEZZNS1_14partition_implILS8_4ELb0ES6_15HIP_vector_typeIjLj2EENS0_17counting_iteratorIjlEEPS9_SG_NS0_5tupleIJPjSI_NS0_16reverse_iteratorISI_EEEEENSH_IJSG_SG_SG_EEES9_SI_JZNS1_25segmented_radix_sort_implINS0_14default_configELb1EPKiPiPKlPlN2at6native12_GLOBAL__N_18offset_tEEE10hipError_tPvRmT1_PNSt15iterator_traitsIS12_E10value_typeET2_T3_PNS13_IS18_E10value_typeET4_jRbjT5_S1E_jjP12ihipStream_tbEUljE_ZNSN_ISO_Lb1ESQ_SR_ST_SU_SY_EESZ_S10_S11_S12_S16_S17_S18_S1B_S1C_jS1D_jS1E_S1E_jjS1G_bEUljE0_EEESZ_S10_S11_S18_S1C_S1E_T6_T7_T9_mT8_S1G_bDpT10_ENKUlT_T0_E_clISt17integral_constantIbLb0EES1U_EEDaS1P_S1Q_EUlS1P_E_NS1_11comp_targetILNS1_3genE4ELNS1_11target_archE910ELNS1_3gpuE8ELNS1_3repE0EEENS1_30default_config_static_selectorELNS0_4arch9wavefront6targetE0EEEvS12_,"axG",@progbits,_ZN7rocprim17ROCPRIM_400000_NS6detail17trampoline_kernelINS0_13select_configILj256ELj13ELNS0_17block_load_methodE3ELS4_3ELS4_3ELNS0_20block_scan_algorithmE0ELj4294967295EEENS1_25partition_config_selectorILNS1_17partition_subalgoE4EjNS0_10empty_typeEbEEZZNS1_14partition_implILS8_4ELb0ES6_15HIP_vector_typeIjLj2EENS0_17counting_iteratorIjlEEPS9_SG_NS0_5tupleIJPjSI_NS0_16reverse_iteratorISI_EEEEENSH_IJSG_SG_SG_EEES9_SI_JZNS1_25segmented_radix_sort_implINS0_14default_configELb1EPKiPiPKlPlN2at6native12_GLOBAL__N_18offset_tEEE10hipError_tPvRmT1_PNSt15iterator_traitsIS12_E10value_typeET2_T3_PNS13_IS18_E10value_typeET4_jRbjT5_S1E_jjP12ihipStream_tbEUljE_ZNSN_ISO_Lb1ESQ_SR_ST_SU_SY_EESZ_S10_S11_S12_S16_S17_S18_S1B_S1C_jS1D_jS1E_S1E_jjS1G_bEUljE0_EEESZ_S10_S11_S18_S1C_S1E_T6_T7_T9_mT8_S1G_bDpT10_ENKUlT_T0_E_clISt17integral_constantIbLb0EES1U_EEDaS1P_S1Q_EUlS1P_E_NS1_11comp_targetILNS1_3genE4ELNS1_11target_archE910ELNS1_3gpuE8ELNS1_3repE0EEENS1_30default_config_static_selectorELNS0_4arch9wavefront6targetE0EEEvS12_,comdat
.Lfunc_end431:
	.size	_ZN7rocprim17ROCPRIM_400000_NS6detail17trampoline_kernelINS0_13select_configILj256ELj13ELNS0_17block_load_methodE3ELS4_3ELS4_3ELNS0_20block_scan_algorithmE0ELj4294967295EEENS1_25partition_config_selectorILNS1_17partition_subalgoE4EjNS0_10empty_typeEbEEZZNS1_14partition_implILS8_4ELb0ES6_15HIP_vector_typeIjLj2EENS0_17counting_iteratorIjlEEPS9_SG_NS0_5tupleIJPjSI_NS0_16reverse_iteratorISI_EEEEENSH_IJSG_SG_SG_EEES9_SI_JZNS1_25segmented_radix_sort_implINS0_14default_configELb1EPKiPiPKlPlN2at6native12_GLOBAL__N_18offset_tEEE10hipError_tPvRmT1_PNSt15iterator_traitsIS12_E10value_typeET2_T3_PNS13_IS18_E10value_typeET4_jRbjT5_S1E_jjP12ihipStream_tbEUljE_ZNSN_ISO_Lb1ESQ_SR_ST_SU_SY_EESZ_S10_S11_S12_S16_S17_S18_S1B_S1C_jS1D_jS1E_S1E_jjS1G_bEUljE0_EEESZ_S10_S11_S18_S1C_S1E_T6_T7_T9_mT8_S1G_bDpT10_ENKUlT_T0_E_clISt17integral_constantIbLb0EES1U_EEDaS1P_S1Q_EUlS1P_E_NS1_11comp_targetILNS1_3genE4ELNS1_11target_archE910ELNS1_3gpuE8ELNS1_3repE0EEENS1_30default_config_static_selectorELNS0_4arch9wavefront6targetE0EEEvS12_, .Lfunc_end431-_ZN7rocprim17ROCPRIM_400000_NS6detail17trampoline_kernelINS0_13select_configILj256ELj13ELNS0_17block_load_methodE3ELS4_3ELS4_3ELNS0_20block_scan_algorithmE0ELj4294967295EEENS1_25partition_config_selectorILNS1_17partition_subalgoE4EjNS0_10empty_typeEbEEZZNS1_14partition_implILS8_4ELb0ES6_15HIP_vector_typeIjLj2EENS0_17counting_iteratorIjlEEPS9_SG_NS0_5tupleIJPjSI_NS0_16reverse_iteratorISI_EEEEENSH_IJSG_SG_SG_EEES9_SI_JZNS1_25segmented_radix_sort_implINS0_14default_configELb1EPKiPiPKlPlN2at6native12_GLOBAL__N_18offset_tEEE10hipError_tPvRmT1_PNSt15iterator_traitsIS12_E10value_typeET2_T3_PNS13_IS18_E10value_typeET4_jRbjT5_S1E_jjP12ihipStream_tbEUljE_ZNSN_ISO_Lb1ESQ_SR_ST_SU_SY_EESZ_S10_S11_S12_S16_S17_S18_S1B_S1C_jS1D_jS1E_S1E_jjS1G_bEUljE0_EEESZ_S10_S11_S18_S1C_S1E_T6_T7_T9_mT8_S1G_bDpT10_ENKUlT_T0_E_clISt17integral_constantIbLb0EES1U_EEDaS1P_S1Q_EUlS1P_E_NS1_11comp_targetILNS1_3genE4ELNS1_11target_archE910ELNS1_3gpuE8ELNS1_3repE0EEENS1_30default_config_static_selectorELNS0_4arch9wavefront6targetE0EEEvS12_
                                        ; -- End function
	.set _ZN7rocprim17ROCPRIM_400000_NS6detail17trampoline_kernelINS0_13select_configILj256ELj13ELNS0_17block_load_methodE3ELS4_3ELS4_3ELNS0_20block_scan_algorithmE0ELj4294967295EEENS1_25partition_config_selectorILNS1_17partition_subalgoE4EjNS0_10empty_typeEbEEZZNS1_14partition_implILS8_4ELb0ES6_15HIP_vector_typeIjLj2EENS0_17counting_iteratorIjlEEPS9_SG_NS0_5tupleIJPjSI_NS0_16reverse_iteratorISI_EEEEENSH_IJSG_SG_SG_EEES9_SI_JZNS1_25segmented_radix_sort_implINS0_14default_configELb1EPKiPiPKlPlN2at6native12_GLOBAL__N_18offset_tEEE10hipError_tPvRmT1_PNSt15iterator_traitsIS12_E10value_typeET2_T3_PNS13_IS18_E10value_typeET4_jRbjT5_S1E_jjP12ihipStream_tbEUljE_ZNSN_ISO_Lb1ESQ_SR_ST_SU_SY_EESZ_S10_S11_S12_S16_S17_S18_S1B_S1C_jS1D_jS1E_S1E_jjS1G_bEUljE0_EEESZ_S10_S11_S18_S1C_S1E_T6_T7_T9_mT8_S1G_bDpT10_ENKUlT_T0_E_clISt17integral_constantIbLb0EES1U_EEDaS1P_S1Q_EUlS1P_E_NS1_11comp_targetILNS1_3genE4ELNS1_11target_archE910ELNS1_3gpuE8ELNS1_3repE0EEENS1_30default_config_static_selectorELNS0_4arch9wavefront6targetE0EEEvS12_.num_vgpr, 0
	.set _ZN7rocprim17ROCPRIM_400000_NS6detail17trampoline_kernelINS0_13select_configILj256ELj13ELNS0_17block_load_methodE3ELS4_3ELS4_3ELNS0_20block_scan_algorithmE0ELj4294967295EEENS1_25partition_config_selectorILNS1_17partition_subalgoE4EjNS0_10empty_typeEbEEZZNS1_14partition_implILS8_4ELb0ES6_15HIP_vector_typeIjLj2EENS0_17counting_iteratorIjlEEPS9_SG_NS0_5tupleIJPjSI_NS0_16reverse_iteratorISI_EEEEENSH_IJSG_SG_SG_EEES9_SI_JZNS1_25segmented_radix_sort_implINS0_14default_configELb1EPKiPiPKlPlN2at6native12_GLOBAL__N_18offset_tEEE10hipError_tPvRmT1_PNSt15iterator_traitsIS12_E10value_typeET2_T3_PNS13_IS18_E10value_typeET4_jRbjT5_S1E_jjP12ihipStream_tbEUljE_ZNSN_ISO_Lb1ESQ_SR_ST_SU_SY_EESZ_S10_S11_S12_S16_S17_S18_S1B_S1C_jS1D_jS1E_S1E_jjS1G_bEUljE0_EEESZ_S10_S11_S18_S1C_S1E_T6_T7_T9_mT8_S1G_bDpT10_ENKUlT_T0_E_clISt17integral_constantIbLb0EES1U_EEDaS1P_S1Q_EUlS1P_E_NS1_11comp_targetILNS1_3genE4ELNS1_11target_archE910ELNS1_3gpuE8ELNS1_3repE0EEENS1_30default_config_static_selectorELNS0_4arch9wavefront6targetE0EEEvS12_.num_agpr, 0
	.set _ZN7rocprim17ROCPRIM_400000_NS6detail17trampoline_kernelINS0_13select_configILj256ELj13ELNS0_17block_load_methodE3ELS4_3ELS4_3ELNS0_20block_scan_algorithmE0ELj4294967295EEENS1_25partition_config_selectorILNS1_17partition_subalgoE4EjNS0_10empty_typeEbEEZZNS1_14partition_implILS8_4ELb0ES6_15HIP_vector_typeIjLj2EENS0_17counting_iteratorIjlEEPS9_SG_NS0_5tupleIJPjSI_NS0_16reverse_iteratorISI_EEEEENSH_IJSG_SG_SG_EEES9_SI_JZNS1_25segmented_radix_sort_implINS0_14default_configELb1EPKiPiPKlPlN2at6native12_GLOBAL__N_18offset_tEEE10hipError_tPvRmT1_PNSt15iterator_traitsIS12_E10value_typeET2_T3_PNS13_IS18_E10value_typeET4_jRbjT5_S1E_jjP12ihipStream_tbEUljE_ZNSN_ISO_Lb1ESQ_SR_ST_SU_SY_EESZ_S10_S11_S12_S16_S17_S18_S1B_S1C_jS1D_jS1E_S1E_jjS1G_bEUljE0_EEESZ_S10_S11_S18_S1C_S1E_T6_T7_T9_mT8_S1G_bDpT10_ENKUlT_T0_E_clISt17integral_constantIbLb0EES1U_EEDaS1P_S1Q_EUlS1P_E_NS1_11comp_targetILNS1_3genE4ELNS1_11target_archE910ELNS1_3gpuE8ELNS1_3repE0EEENS1_30default_config_static_selectorELNS0_4arch9wavefront6targetE0EEEvS12_.numbered_sgpr, 0
	.set _ZN7rocprim17ROCPRIM_400000_NS6detail17trampoline_kernelINS0_13select_configILj256ELj13ELNS0_17block_load_methodE3ELS4_3ELS4_3ELNS0_20block_scan_algorithmE0ELj4294967295EEENS1_25partition_config_selectorILNS1_17partition_subalgoE4EjNS0_10empty_typeEbEEZZNS1_14partition_implILS8_4ELb0ES6_15HIP_vector_typeIjLj2EENS0_17counting_iteratorIjlEEPS9_SG_NS0_5tupleIJPjSI_NS0_16reverse_iteratorISI_EEEEENSH_IJSG_SG_SG_EEES9_SI_JZNS1_25segmented_radix_sort_implINS0_14default_configELb1EPKiPiPKlPlN2at6native12_GLOBAL__N_18offset_tEEE10hipError_tPvRmT1_PNSt15iterator_traitsIS12_E10value_typeET2_T3_PNS13_IS18_E10value_typeET4_jRbjT5_S1E_jjP12ihipStream_tbEUljE_ZNSN_ISO_Lb1ESQ_SR_ST_SU_SY_EESZ_S10_S11_S12_S16_S17_S18_S1B_S1C_jS1D_jS1E_S1E_jjS1G_bEUljE0_EEESZ_S10_S11_S18_S1C_S1E_T6_T7_T9_mT8_S1G_bDpT10_ENKUlT_T0_E_clISt17integral_constantIbLb0EES1U_EEDaS1P_S1Q_EUlS1P_E_NS1_11comp_targetILNS1_3genE4ELNS1_11target_archE910ELNS1_3gpuE8ELNS1_3repE0EEENS1_30default_config_static_selectorELNS0_4arch9wavefront6targetE0EEEvS12_.num_named_barrier, 0
	.set _ZN7rocprim17ROCPRIM_400000_NS6detail17trampoline_kernelINS0_13select_configILj256ELj13ELNS0_17block_load_methodE3ELS4_3ELS4_3ELNS0_20block_scan_algorithmE0ELj4294967295EEENS1_25partition_config_selectorILNS1_17partition_subalgoE4EjNS0_10empty_typeEbEEZZNS1_14partition_implILS8_4ELb0ES6_15HIP_vector_typeIjLj2EENS0_17counting_iteratorIjlEEPS9_SG_NS0_5tupleIJPjSI_NS0_16reverse_iteratorISI_EEEEENSH_IJSG_SG_SG_EEES9_SI_JZNS1_25segmented_radix_sort_implINS0_14default_configELb1EPKiPiPKlPlN2at6native12_GLOBAL__N_18offset_tEEE10hipError_tPvRmT1_PNSt15iterator_traitsIS12_E10value_typeET2_T3_PNS13_IS18_E10value_typeET4_jRbjT5_S1E_jjP12ihipStream_tbEUljE_ZNSN_ISO_Lb1ESQ_SR_ST_SU_SY_EESZ_S10_S11_S12_S16_S17_S18_S1B_S1C_jS1D_jS1E_S1E_jjS1G_bEUljE0_EEESZ_S10_S11_S18_S1C_S1E_T6_T7_T9_mT8_S1G_bDpT10_ENKUlT_T0_E_clISt17integral_constantIbLb0EES1U_EEDaS1P_S1Q_EUlS1P_E_NS1_11comp_targetILNS1_3genE4ELNS1_11target_archE910ELNS1_3gpuE8ELNS1_3repE0EEENS1_30default_config_static_selectorELNS0_4arch9wavefront6targetE0EEEvS12_.private_seg_size, 0
	.set _ZN7rocprim17ROCPRIM_400000_NS6detail17trampoline_kernelINS0_13select_configILj256ELj13ELNS0_17block_load_methodE3ELS4_3ELS4_3ELNS0_20block_scan_algorithmE0ELj4294967295EEENS1_25partition_config_selectorILNS1_17partition_subalgoE4EjNS0_10empty_typeEbEEZZNS1_14partition_implILS8_4ELb0ES6_15HIP_vector_typeIjLj2EENS0_17counting_iteratorIjlEEPS9_SG_NS0_5tupleIJPjSI_NS0_16reverse_iteratorISI_EEEEENSH_IJSG_SG_SG_EEES9_SI_JZNS1_25segmented_radix_sort_implINS0_14default_configELb1EPKiPiPKlPlN2at6native12_GLOBAL__N_18offset_tEEE10hipError_tPvRmT1_PNSt15iterator_traitsIS12_E10value_typeET2_T3_PNS13_IS18_E10value_typeET4_jRbjT5_S1E_jjP12ihipStream_tbEUljE_ZNSN_ISO_Lb1ESQ_SR_ST_SU_SY_EESZ_S10_S11_S12_S16_S17_S18_S1B_S1C_jS1D_jS1E_S1E_jjS1G_bEUljE0_EEESZ_S10_S11_S18_S1C_S1E_T6_T7_T9_mT8_S1G_bDpT10_ENKUlT_T0_E_clISt17integral_constantIbLb0EES1U_EEDaS1P_S1Q_EUlS1P_E_NS1_11comp_targetILNS1_3genE4ELNS1_11target_archE910ELNS1_3gpuE8ELNS1_3repE0EEENS1_30default_config_static_selectorELNS0_4arch9wavefront6targetE0EEEvS12_.uses_vcc, 0
	.set _ZN7rocprim17ROCPRIM_400000_NS6detail17trampoline_kernelINS0_13select_configILj256ELj13ELNS0_17block_load_methodE3ELS4_3ELS4_3ELNS0_20block_scan_algorithmE0ELj4294967295EEENS1_25partition_config_selectorILNS1_17partition_subalgoE4EjNS0_10empty_typeEbEEZZNS1_14partition_implILS8_4ELb0ES6_15HIP_vector_typeIjLj2EENS0_17counting_iteratorIjlEEPS9_SG_NS0_5tupleIJPjSI_NS0_16reverse_iteratorISI_EEEEENSH_IJSG_SG_SG_EEES9_SI_JZNS1_25segmented_radix_sort_implINS0_14default_configELb1EPKiPiPKlPlN2at6native12_GLOBAL__N_18offset_tEEE10hipError_tPvRmT1_PNSt15iterator_traitsIS12_E10value_typeET2_T3_PNS13_IS18_E10value_typeET4_jRbjT5_S1E_jjP12ihipStream_tbEUljE_ZNSN_ISO_Lb1ESQ_SR_ST_SU_SY_EESZ_S10_S11_S12_S16_S17_S18_S1B_S1C_jS1D_jS1E_S1E_jjS1G_bEUljE0_EEESZ_S10_S11_S18_S1C_S1E_T6_T7_T9_mT8_S1G_bDpT10_ENKUlT_T0_E_clISt17integral_constantIbLb0EES1U_EEDaS1P_S1Q_EUlS1P_E_NS1_11comp_targetILNS1_3genE4ELNS1_11target_archE910ELNS1_3gpuE8ELNS1_3repE0EEENS1_30default_config_static_selectorELNS0_4arch9wavefront6targetE0EEEvS12_.uses_flat_scratch, 0
	.set _ZN7rocprim17ROCPRIM_400000_NS6detail17trampoline_kernelINS0_13select_configILj256ELj13ELNS0_17block_load_methodE3ELS4_3ELS4_3ELNS0_20block_scan_algorithmE0ELj4294967295EEENS1_25partition_config_selectorILNS1_17partition_subalgoE4EjNS0_10empty_typeEbEEZZNS1_14partition_implILS8_4ELb0ES6_15HIP_vector_typeIjLj2EENS0_17counting_iteratorIjlEEPS9_SG_NS0_5tupleIJPjSI_NS0_16reverse_iteratorISI_EEEEENSH_IJSG_SG_SG_EEES9_SI_JZNS1_25segmented_radix_sort_implINS0_14default_configELb1EPKiPiPKlPlN2at6native12_GLOBAL__N_18offset_tEEE10hipError_tPvRmT1_PNSt15iterator_traitsIS12_E10value_typeET2_T3_PNS13_IS18_E10value_typeET4_jRbjT5_S1E_jjP12ihipStream_tbEUljE_ZNSN_ISO_Lb1ESQ_SR_ST_SU_SY_EESZ_S10_S11_S12_S16_S17_S18_S1B_S1C_jS1D_jS1E_S1E_jjS1G_bEUljE0_EEESZ_S10_S11_S18_S1C_S1E_T6_T7_T9_mT8_S1G_bDpT10_ENKUlT_T0_E_clISt17integral_constantIbLb0EES1U_EEDaS1P_S1Q_EUlS1P_E_NS1_11comp_targetILNS1_3genE4ELNS1_11target_archE910ELNS1_3gpuE8ELNS1_3repE0EEENS1_30default_config_static_selectorELNS0_4arch9wavefront6targetE0EEEvS12_.has_dyn_sized_stack, 0
	.set _ZN7rocprim17ROCPRIM_400000_NS6detail17trampoline_kernelINS0_13select_configILj256ELj13ELNS0_17block_load_methodE3ELS4_3ELS4_3ELNS0_20block_scan_algorithmE0ELj4294967295EEENS1_25partition_config_selectorILNS1_17partition_subalgoE4EjNS0_10empty_typeEbEEZZNS1_14partition_implILS8_4ELb0ES6_15HIP_vector_typeIjLj2EENS0_17counting_iteratorIjlEEPS9_SG_NS0_5tupleIJPjSI_NS0_16reverse_iteratorISI_EEEEENSH_IJSG_SG_SG_EEES9_SI_JZNS1_25segmented_radix_sort_implINS0_14default_configELb1EPKiPiPKlPlN2at6native12_GLOBAL__N_18offset_tEEE10hipError_tPvRmT1_PNSt15iterator_traitsIS12_E10value_typeET2_T3_PNS13_IS18_E10value_typeET4_jRbjT5_S1E_jjP12ihipStream_tbEUljE_ZNSN_ISO_Lb1ESQ_SR_ST_SU_SY_EESZ_S10_S11_S12_S16_S17_S18_S1B_S1C_jS1D_jS1E_S1E_jjS1G_bEUljE0_EEESZ_S10_S11_S18_S1C_S1E_T6_T7_T9_mT8_S1G_bDpT10_ENKUlT_T0_E_clISt17integral_constantIbLb0EES1U_EEDaS1P_S1Q_EUlS1P_E_NS1_11comp_targetILNS1_3genE4ELNS1_11target_archE910ELNS1_3gpuE8ELNS1_3repE0EEENS1_30default_config_static_selectorELNS0_4arch9wavefront6targetE0EEEvS12_.has_recursion, 0
	.set _ZN7rocprim17ROCPRIM_400000_NS6detail17trampoline_kernelINS0_13select_configILj256ELj13ELNS0_17block_load_methodE3ELS4_3ELS4_3ELNS0_20block_scan_algorithmE0ELj4294967295EEENS1_25partition_config_selectorILNS1_17partition_subalgoE4EjNS0_10empty_typeEbEEZZNS1_14partition_implILS8_4ELb0ES6_15HIP_vector_typeIjLj2EENS0_17counting_iteratorIjlEEPS9_SG_NS0_5tupleIJPjSI_NS0_16reverse_iteratorISI_EEEEENSH_IJSG_SG_SG_EEES9_SI_JZNS1_25segmented_radix_sort_implINS0_14default_configELb1EPKiPiPKlPlN2at6native12_GLOBAL__N_18offset_tEEE10hipError_tPvRmT1_PNSt15iterator_traitsIS12_E10value_typeET2_T3_PNS13_IS18_E10value_typeET4_jRbjT5_S1E_jjP12ihipStream_tbEUljE_ZNSN_ISO_Lb1ESQ_SR_ST_SU_SY_EESZ_S10_S11_S12_S16_S17_S18_S1B_S1C_jS1D_jS1E_S1E_jjS1G_bEUljE0_EEESZ_S10_S11_S18_S1C_S1E_T6_T7_T9_mT8_S1G_bDpT10_ENKUlT_T0_E_clISt17integral_constantIbLb0EES1U_EEDaS1P_S1Q_EUlS1P_E_NS1_11comp_targetILNS1_3genE4ELNS1_11target_archE910ELNS1_3gpuE8ELNS1_3repE0EEENS1_30default_config_static_selectorELNS0_4arch9wavefront6targetE0EEEvS12_.has_indirect_call, 0
	.section	.AMDGPU.csdata,"",@progbits
; Kernel info:
; codeLenInByte = 0
; TotalNumSgprs: 0
; NumVgprs: 0
; ScratchSize: 0
; MemoryBound: 0
; FloatMode: 240
; IeeeMode: 1
; LDSByteSize: 0 bytes/workgroup (compile time only)
; SGPRBlocks: 0
; VGPRBlocks: 0
; NumSGPRsForWavesPerEU: 1
; NumVGPRsForWavesPerEU: 1
; Occupancy: 16
; WaveLimiterHint : 0
; COMPUTE_PGM_RSRC2:SCRATCH_EN: 0
; COMPUTE_PGM_RSRC2:USER_SGPR: 6
; COMPUTE_PGM_RSRC2:TRAP_HANDLER: 0
; COMPUTE_PGM_RSRC2:TGID_X_EN: 1
; COMPUTE_PGM_RSRC2:TGID_Y_EN: 0
; COMPUTE_PGM_RSRC2:TGID_Z_EN: 0
; COMPUTE_PGM_RSRC2:TIDIG_COMP_CNT: 0
	.section	.text._ZN7rocprim17ROCPRIM_400000_NS6detail17trampoline_kernelINS0_13select_configILj256ELj13ELNS0_17block_load_methodE3ELS4_3ELS4_3ELNS0_20block_scan_algorithmE0ELj4294967295EEENS1_25partition_config_selectorILNS1_17partition_subalgoE4EjNS0_10empty_typeEbEEZZNS1_14partition_implILS8_4ELb0ES6_15HIP_vector_typeIjLj2EENS0_17counting_iteratorIjlEEPS9_SG_NS0_5tupleIJPjSI_NS0_16reverse_iteratorISI_EEEEENSH_IJSG_SG_SG_EEES9_SI_JZNS1_25segmented_radix_sort_implINS0_14default_configELb1EPKiPiPKlPlN2at6native12_GLOBAL__N_18offset_tEEE10hipError_tPvRmT1_PNSt15iterator_traitsIS12_E10value_typeET2_T3_PNS13_IS18_E10value_typeET4_jRbjT5_S1E_jjP12ihipStream_tbEUljE_ZNSN_ISO_Lb1ESQ_SR_ST_SU_SY_EESZ_S10_S11_S12_S16_S17_S18_S1B_S1C_jS1D_jS1E_S1E_jjS1G_bEUljE0_EEESZ_S10_S11_S18_S1C_S1E_T6_T7_T9_mT8_S1G_bDpT10_ENKUlT_T0_E_clISt17integral_constantIbLb0EES1U_EEDaS1P_S1Q_EUlS1P_E_NS1_11comp_targetILNS1_3genE3ELNS1_11target_archE908ELNS1_3gpuE7ELNS1_3repE0EEENS1_30default_config_static_selectorELNS0_4arch9wavefront6targetE0EEEvS12_,"axG",@progbits,_ZN7rocprim17ROCPRIM_400000_NS6detail17trampoline_kernelINS0_13select_configILj256ELj13ELNS0_17block_load_methodE3ELS4_3ELS4_3ELNS0_20block_scan_algorithmE0ELj4294967295EEENS1_25partition_config_selectorILNS1_17partition_subalgoE4EjNS0_10empty_typeEbEEZZNS1_14partition_implILS8_4ELb0ES6_15HIP_vector_typeIjLj2EENS0_17counting_iteratorIjlEEPS9_SG_NS0_5tupleIJPjSI_NS0_16reverse_iteratorISI_EEEEENSH_IJSG_SG_SG_EEES9_SI_JZNS1_25segmented_radix_sort_implINS0_14default_configELb1EPKiPiPKlPlN2at6native12_GLOBAL__N_18offset_tEEE10hipError_tPvRmT1_PNSt15iterator_traitsIS12_E10value_typeET2_T3_PNS13_IS18_E10value_typeET4_jRbjT5_S1E_jjP12ihipStream_tbEUljE_ZNSN_ISO_Lb1ESQ_SR_ST_SU_SY_EESZ_S10_S11_S12_S16_S17_S18_S1B_S1C_jS1D_jS1E_S1E_jjS1G_bEUljE0_EEESZ_S10_S11_S18_S1C_S1E_T6_T7_T9_mT8_S1G_bDpT10_ENKUlT_T0_E_clISt17integral_constantIbLb0EES1U_EEDaS1P_S1Q_EUlS1P_E_NS1_11comp_targetILNS1_3genE3ELNS1_11target_archE908ELNS1_3gpuE7ELNS1_3repE0EEENS1_30default_config_static_selectorELNS0_4arch9wavefront6targetE0EEEvS12_,comdat
	.globl	_ZN7rocprim17ROCPRIM_400000_NS6detail17trampoline_kernelINS0_13select_configILj256ELj13ELNS0_17block_load_methodE3ELS4_3ELS4_3ELNS0_20block_scan_algorithmE0ELj4294967295EEENS1_25partition_config_selectorILNS1_17partition_subalgoE4EjNS0_10empty_typeEbEEZZNS1_14partition_implILS8_4ELb0ES6_15HIP_vector_typeIjLj2EENS0_17counting_iteratorIjlEEPS9_SG_NS0_5tupleIJPjSI_NS0_16reverse_iteratorISI_EEEEENSH_IJSG_SG_SG_EEES9_SI_JZNS1_25segmented_radix_sort_implINS0_14default_configELb1EPKiPiPKlPlN2at6native12_GLOBAL__N_18offset_tEEE10hipError_tPvRmT1_PNSt15iterator_traitsIS12_E10value_typeET2_T3_PNS13_IS18_E10value_typeET4_jRbjT5_S1E_jjP12ihipStream_tbEUljE_ZNSN_ISO_Lb1ESQ_SR_ST_SU_SY_EESZ_S10_S11_S12_S16_S17_S18_S1B_S1C_jS1D_jS1E_S1E_jjS1G_bEUljE0_EEESZ_S10_S11_S18_S1C_S1E_T6_T7_T9_mT8_S1G_bDpT10_ENKUlT_T0_E_clISt17integral_constantIbLb0EES1U_EEDaS1P_S1Q_EUlS1P_E_NS1_11comp_targetILNS1_3genE3ELNS1_11target_archE908ELNS1_3gpuE7ELNS1_3repE0EEENS1_30default_config_static_selectorELNS0_4arch9wavefront6targetE0EEEvS12_ ; -- Begin function _ZN7rocprim17ROCPRIM_400000_NS6detail17trampoline_kernelINS0_13select_configILj256ELj13ELNS0_17block_load_methodE3ELS4_3ELS4_3ELNS0_20block_scan_algorithmE0ELj4294967295EEENS1_25partition_config_selectorILNS1_17partition_subalgoE4EjNS0_10empty_typeEbEEZZNS1_14partition_implILS8_4ELb0ES6_15HIP_vector_typeIjLj2EENS0_17counting_iteratorIjlEEPS9_SG_NS0_5tupleIJPjSI_NS0_16reverse_iteratorISI_EEEEENSH_IJSG_SG_SG_EEES9_SI_JZNS1_25segmented_radix_sort_implINS0_14default_configELb1EPKiPiPKlPlN2at6native12_GLOBAL__N_18offset_tEEE10hipError_tPvRmT1_PNSt15iterator_traitsIS12_E10value_typeET2_T3_PNS13_IS18_E10value_typeET4_jRbjT5_S1E_jjP12ihipStream_tbEUljE_ZNSN_ISO_Lb1ESQ_SR_ST_SU_SY_EESZ_S10_S11_S12_S16_S17_S18_S1B_S1C_jS1D_jS1E_S1E_jjS1G_bEUljE0_EEESZ_S10_S11_S18_S1C_S1E_T6_T7_T9_mT8_S1G_bDpT10_ENKUlT_T0_E_clISt17integral_constantIbLb0EES1U_EEDaS1P_S1Q_EUlS1P_E_NS1_11comp_targetILNS1_3genE3ELNS1_11target_archE908ELNS1_3gpuE7ELNS1_3repE0EEENS1_30default_config_static_selectorELNS0_4arch9wavefront6targetE0EEEvS12_
	.p2align	8
	.type	_ZN7rocprim17ROCPRIM_400000_NS6detail17trampoline_kernelINS0_13select_configILj256ELj13ELNS0_17block_load_methodE3ELS4_3ELS4_3ELNS0_20block_scan_algorithmE0ELj4294967295EEENS1_25partition_config_selectorILNS1_17partition_subalgoE4EjNS0_10empty_typeEbEEZZNS1_14partition_implILS8_4ELb0ES6_15HIP_vector_typeIjLj2EENS0_17counting_iteratorIjlEEPS9_SG_NS0_5tupleIJPjSI_NS0_16reverse_iteratorISI_EEEEENSH_IJSG_SG_SG_EEES9_SI_JZNS1_25segmented_radix_sort_implINS0_14default_configELb1EPKiPiPKlPlN2at6native12_GLOBAL__N_18offset_tEEE10hipError_tPvRmT1_PNSt15iterator_traitsIS12_E10value_typeET2_T3_PNS13_IS18_E10value_typeET4_jRbjT5_S1E_jjP12ihipStream_tbEUljE_ZNSN_ISO_Lb1ESQ_SR_ST_SU_SY_EESZ_S10_S11_S12_S16_S17_S18_S1B_S1C_jS1D_jS1E_S1E_jjS1G_bEUljE0_EEESZ_S10_S11_S18_S1C_S1E_T6_T7_T9_mT8_S1G_bDpT10_ENKUlT_T0_E_clISt17integral_constantIbLb0EES1U_EEDaS1P_S1Q_EUlS1P_E_NS1_11comp_targetILNS1_3genE3ELNS1_11target_archE908ELNS1_3gpuE7ELNS1_3repE0EEENS1_30default_config_static_selectorELNS0_4arch9wavefront6targetE0EEEvS12_,@function
_ZN7rocprim17ROCPRIM_400000_NS6detail17trampoline_kernelINS0_13select_configILj256ELj13ELNS0_17block_load_methodE3ELS4_3ELS4_3ELNS0_20block_scan_algorithmE0ELj4294967295EEENS1_25partition_config_selectorILNS1_17partition_subalgoE4EjNS0_10empty_typeEbEEZZNS1_14partition_implILS8_4ELb0ES6_15HIP_vector_typeIjLj2EENS0_17counting_iteratorIjlEEPS9_SG_NS0_5tupleIJPjSI_NS0_16reverse_iteratorISI_EEEEENSH_IJSG_SG_SG_EEES9_SI_JZNS1_25segmented_radix_sort_implINS0_14default_configELb1EPKiPiPKlPlN2at6native12_GLOBAL__N_18offset_tEEE10hipError_tPvRmT1_PNSt15iterator_traitsIS12_E10value_typeET2_T3_PNS13_IS18_E10value_typeET4_jRbjT5_S1E_jjP12ihipStream_tbEUljE_ZNSN_ISO_Lb1ESQ_SR_ST_SU_SY_EESZ_S10_S11_S12_S16_S17_S18_S1B_S1C_jS1D_jS1E_S1E_jjS1G_bEUljE0_EEESZ_S10_S11_S18_S1C_S1E_T6_T7_T9_mT8_S1G_bDpT10_ENKUlT_T0_E_clISt17integral_constantIbLb0EES1U_EEDaS1P_S1Q_EUlS1P_E_NS1_11comp_targetILNS1_3genE3ELNS1_11target_archE908ELNS1_3gpuE7ELNS1_3repE0EEENS1_30default_config_static_selectorELNS0_4arch9wavefront6targetE0EEEvS12_: ; @_ZN7rocprim17ROCPRIM_400000_NS6detail17trampoline_kernelINS0_13select_configILj256ELj13ELNS0_17block_load_methodE3ELS4_3ELS4_3ELNS0_20block_scan_algorithmE0ELj4294967295EEENS1_25partition_config_selectorILNS1_17partition_subalgoE4EjNS0_10empty_typeEbEEZZNS1_14partition_implILS8_4ELb0ES6_15HIP_vector_typeIjLj2EENS0_17counting_iteratorIjlEEPS9_SG_NS0_5tupleIJPjSI_NS0_16reverse_iteratorISI_EEEEENSH_IJSG_SG_SG_EEES9_SI_JZNS1_25segmented_radix_sort_implINS0_14default_configELb1EPKiPiPKlPlN2at6native12_GLOBAL__N_18offset_tEEE10hipError_tPvRmT1_PNSt15iterator_traitsIS12_E10value_typeET2_T3_PNS13_IS18_E10value_typeET4_jRbjT5_S1E_jjP12ihipStream_tbEUljE_ZNSN_ISO_Lb1ESQ_SR_ST_SU_SY_EESZ_S10_S11_S12_S16_S17_S18_S1B_S1C_jS1D_jS1E_S1E_jjS1G_bEUljE0_EEESZ_S10_S11_S18_S1C_S1E_T6_T7_T9_mT8_S1G_bDpT10_ENKUlT_T0_E_clISt17integral_constantIbLb0EES1U_EEDaS1P_S1Q_EUlS1P_E_NS1_11comp_targetILNS1_3genE3ELNS1_11target_archE908ELNS1_3gpuE7ELNS1_3repE0EEENS1_30default_config_static_selectorELNS0_4arch9wavefront6targetE0EEEvS12_
; %bb.0:
	.section	.rodata,"a",@progbits
	.p2align	6, 0x0
	.amdhsa_kernel _ZN7rocprim17ROCPRIM_400000_NS6detail17trampoline_kernelINS0_13select_configILj256ELj13ELNS0_17block_load_methodE3ELS4_3ELS4_3ELNS0_20block_scan_algorithmE0ELj4294967295EEENS1_25partition_config_selectorILNS1_17partition_subalgoE4EjNS0_10empty_typeEbEEZZNS1_14partition_implILS8_4ELb0ES6_15HIP_vector_typeIjLj2EENS0_17counting_iteratorIjlEEPS9_SG_NS0_5tupleIJPjSI_NS0_16reverse_iteratorISI_EEEEENSH_IJSG_SG_SG_EEES9_SI_JZNS1_25segmented_radix_sort_implINS0_14default_configELb1EPKiPiPKlPlN2at6native12_GLOBAL__N_18offset_tEEE10hipError_tPvRmT1_PNSt15iterator_traitsIS12_E10value_typeET2_T3_PNS13_IS18_E10value_typeET4_jRbjT5_S1E_jjP12ihipStream_tbEUljE_ZNSN_ISO_Lb1ESQ_SR_ST_SU_SY_EESZ_S10_S11_S12_S16_S17_S18_S1B_S1C_jS1D_jS1E_S1E_jjS1G_bEUljE0_EEESZ_S10_S11_S18_S1C_S1E_T6_T7_T9_mT8_S1G_bDpT10_ENKUlT_T0_E_clISt17integral_constantIbLb0EES1U_EEDaS1P_S1Q_EUlS1P_E_NS1_11comp_targetILNS1_3genE3ELNS1_11target_archE908ELNS1_3gpuE7ELNS1_3repE0EEENS1_30default_config_static_selectorELNS0_4arch9wavefront6targetE0EEEvS12_
		.amdhsa_group_segment_fixed_size 0
		.amdhsa_private_segment_fixed_size 0
		.amdhsa_kernarg_size 176
		.amdhsa_user_sgpr_count 6
		.amdhsa_user_sgpr_private_segment_buffer 1
		.amdhsa_user_sgpr_dispatch_ptr 0
		.amdhsa_user_sgpr_queue_ptr 0
		.amdhsa_user_sgpr_kernarg_segment_ptr 1
		.amdhsa_user_sgpr_dispatch_id 0
		.amdhsa_user_sgpr_flat_scratch_init 0
		.amdhsa_user_sgpr_private_segment_size 0
		.amdhsa_wavefront_size32 1
		.amdhsa_uses_dynamic_stack 0
		.amdhsa_system_sgpr_private_segment_wavefront_offset 0
		.amdhsa_system_sgpr_workgroup_id_x 1
		.amdhsa_system_sgpr_workgroup_id_y 0
		.amdhsa_system_sgpr_workgroup_id_z 0
		.amdhsa_system_sgpr_workgroup_info 0
		.amdhsa_system_vgpr_workitem_id 0
		.amdhsa_next_free_vgpr 1
		.amdhsa_next_free_sgpr 1
		.amdhsa_reserve_vcc 0
		.amdhsa_reserve_flat_scratch 0
		.amdhsa_float_round_mode_32 0
		.amdhsa_float_round_mode_16_64 0
		.amdhsa_float_denorm_mode_32 3
		.amdhsa_float_denorm_mode_16_64 3
		.amdhsa_dx10_clamp 1
		.amdhsa_ieee_mode 1
		.amdhsa_fp16_overflow 0
		.amdhsa_workgroup_processor_mode 1
		.amdhsa_memory_ordered 1
		.amdhsa_forward_progress 1
		.amdhsa_shared_vgpr_count 0
		.amdhsa_exception_fp_ieee_invalid_op 0
		.amdhsa_exception_fp_denorm_src 0
		.amdhsa_exception_fp_ieee_div_zero 0
		.amdhsa_exception_fp_ieee_overflow 0
		.amdhsa_exception_fp_ieee_underflow 0
		.amdhsa_exception_fp_ieee_inexact 0
		.amdhsa_exception_int_div_zero 0
	.end_amdhsa_kernel
	.section	.text._ZN7rocprim17ROCPRIM_400000_NS6detail17trampoline_kernelINS0_13select_configILj256ELj13ELNS0_17block_load_methodE3ELS4_3ELS4_3ELNS0_20block_scan_algorithmE0ELj4294967295EEENS1_25partition_config_selectorILNS1_17partition_subalgoE4EjNS0_10empty_typeEbEEZZNS1_14partition_implILS8_4ELb0ES6_15HIP_vector_typeIjLj2EENS0_17counting_iteratorIjlEEPS9_SG_NS0_5tupleIJPjSI_NS0_16reverse_iteratorISI_EEEEENSH_IJSG_SG_SG_EEES9_SI_JZNS1_25segmented_radix_sort_implINS0_14default_configELb1EPKiPiPKlPlN2at6native12_GLOBAL__N_18offset_tEEE10hipError_tPvRmT1_PNSt15iterator_traitsIS12_E10value_typeET2_T3_PNS13_IS18_E10value_typeET4_jRbjT5_S1E_jjP12ihipStream_tbEUljE_ZNSN_ISO_Lb1ESQ_SR_ST_SU_SY_EESZ_S10_S11_S12_S16_S17_S18_S1B_S1C_jS1D_jS1E_S1E_jjS1G_bEUljE0_EEESZ_S10_S11_S18_S1C_S1E_T6_T7_T9_mT8_S1G_bDpT10_ENKUlT_T0_E_clISt17integral_constantIbLb0EES1U_EEDaS1P_S1Q_EUlS1P_E_NS1_11comp_targetILNS1_3genE3ELNS1_11target_archE908ELNS1_3gpuE7ELNS1_3repE0EEENS1_30default_config_static_selectorELNS0_4arch9wavefront6targetE0EEEvS12_,"axG",@progbits,_ZN7rocprim17ROCPRIM_400000_NS6detail17trampoline_kernelINS0_13select_configILj256ELj13ELNS0_17block_load_methodE3ELS4_3ELS4_3ELNS0_20block_scan_algorithmE0ELj4294967295EEENS1_25partition_config_selectorILNS1_17partition_subalgoE4EjNS0_10empty_typeEbEEZZNS1_14partition_implILS8_4ELb0ES6_15HIP_vector_typeIjLj2EENS0_17counting_iteratorIjlEEPS9_SG_NS0_5tupleIJPjSI_NS0_16reverse_iteratorISI_EEEEENSH_IJSG_SG_SG_EEES9_SI_JZNS1_25segmented_radix_sort_implINS0_14default_configELb1EPKiPiPKlPlN2at6native12_GLOBAL__N_18offset_tEEE10hipError_tPvRmT1_PNSt15iterator_traitsIS12_E10value_typeET2_T3_PNS13_IS18_E10value_typeET4_jRbjT5_S1E_jjP12ihipStream_tbEUljE_ZNSN_ISO_Lb1ESQ_SR_ST_SU_SY_EESZ_S10_S11_S12_S16_S17_S18_S1B_S1C_jS1D_jS1E_S1E_jjS1G_bEUljE0_EEESZ_S10_S11_S18_S1C_S1E_T6_T7_T9_mT8_S1G_bDpT10_ENKUlT_T0_E_clISt17integral_constantIbLb0EES1U_EEDaS1P_S1Q_EUlS1P_E_NS1_11comp_targetILNS1_3genE3ELNS1_11target_archE908ELNS1_3gpuE7ELNS1_3repE0EEENS1_30default_config_static_selectorELNS0_4arch9wavefront6targetE0EEEvS12_,comdat
.Lfunc_end432:
	.size	_ZN7rocprim17ROCPRIM_400000_NS6detail17trampoline_kernelINS0_13select_configILj256ELj13ELNS0_17block_load_methodE3ELS4_3ELS4_3ELNS0_20block_scan_algorithmE0ELj4294967295EEENS1_25partition_config_selectorILNS1_17partition_subalgoE4EjNS0_10empty_typeEbEEZZNS1_14partition_implILS8_4ELb0ES6_15HIP_vector_typeIjLj2EENS0_17counting_iteratorIjlEEPS9_SG_NS0_5tupleIJPjSI_NS0_16reverse_iteratorISI_EEEEENSH_IJSG_SG_SG_EEES9_SI_JZNS1_25segmented_radix_sort_implINS0_14default_configELb1EPKiPiPKlPlN2at6native12_GLOBAL__N_18offset_tEEE10hipError_tPvRmT1_PNSt15iterator_traitsIS12_E10value_typeET2_T3_PNS13_IS18_E10value_typeET4_jRbjT5_S1E_jjP12ihipStream_tbEUljE_ZNSN_ISO_Lb1ESQ_SR_ST_SU_SY_EESZ_S10_S11_S12_S16_S17_S18_S1B_S1C_jS1D_jS1E_S1E_jjS1G_bEUljE0_EEESZ_S10_S11_S18_S1C_S1E_T6_T7_T9_mT8_S1G_bDpT10_ENKUlT_T0_E_clISt17integral_constantIbLb0EES1U_EEDaS1P_S1Q_EUlS1P_E_NS1_11comp_targetILNS1_3genE3ELNS1_11target_archE908ELNS1_3gpuE7ELNS1_3repE0EEENS1_30default_config_static_selectorELNS0_4arch9wavefront6targetE0EEEvS12_, .Lfunc_end432-_ZN7rocprim17ROCPRIM_400000_NS6detail17trampoline_kernelINS0_13select_configILj256ELj13ELNS0_17block_load_methodE3ELS4_3ELS4_3ELNS0_20block_scan_algorithmE0ELj4294967295EEENS1_25partition_config_selectorILNS1_17partition_subalgoE4EjNS0_10empty_typeEbEEZZNS1_14partition_implILS8_4ELb0ES6_15HIP_vector_typeIjLj2EENS0_17counting_iteratorIjlEEPS9_SG_NS0_5tupleIJPjSI_NS0_16reverse_iteratorISI_EEEEENSH_IJSG_SG_SG_EEES9_SI_JZNS1_25segmented_radix_sort_implINS0_14default_configELb1EPKiPiPKlPlN2at6native12_GLOBAL__N_18offset_tEEE10hipError_tPvRmT1_PNSt15iterator_traitsIS12_E10value_typeET2_T3_PNS13_IS18_E10value_typeET4_jRbjT5_S1E_jjP12ihipStream_tbEUljE_ZNSN_ISO_Lb1ESQ_SR_ST_SU_SY_EESZ_S10_S11_S12_S16_S17_S18_S1B_S1C_jS1D_jS1E_S1E_jjS1G_bEUljE0_EEESZ_S10_S11_S18_S1C_S1E_T6_T7_T9_mT8_S1G_bDpT10_ENKUlT_T0_E_clISt17integral_constantIbLb0EES1U_EEDaS1P_S1Q_EUlS1P_E_NS1_11comp_targetILNS1_3genE3ELNS1_11target_archE908ELNS1_3gpuE7ELNS1_3repE0EEENS1_30default_config_static_selectorELNS0_4arch9wavefront6targetE0EEEvS12_
                                        ; -- End function
	.set _ZN7rocprim17ROCPRIM_400000_NS6detail17trampoline_kernelINS0_13select_configILj256ELj13ELNS0_17block_load_methodE3ELS4_3ELS4_3ELNS0_20block_scan_algorithmE0ELj4294967295EEENS1_25partition_config_selectorILNS1_17partition_subalgoE4EjNS0_10empty_typeEbEEZZNS1_14partition_implILS8_4ELb0ES6_15HIP_vector_typeIjLj2EENS0_17counting_iteratorIjlEEPS9_SG_NS0_5tupleIJPjSI_NS0_16reverse_iteratorISI_EEEEENSH_IJSG_SG_SG_EEES9_SI_JZNS1_25segmented_radix_sort_implINS0_14default_configELb1EPKiPiPKlPlN2at6native12_GLOBAL__N_18offset_tEEE10hipError_tPvRmT1_PNSt15iterator_traitsIS12_E10value_typeET2_T3_PNS13_IS18_E10value_typeET4_jRbjT5_S1E_jjP12ihipStream_tbEUljE_ZNSN_ISO_Lb1ESQ_SR_ST_SU_SY_EESZ_S10_S11_S12_S16_S17_S18_S1B_S1C_jS1D_jS1E_S1E_jjS1G_bEUljE0_EEESZ_S10_S11_S18_S1C_S1E_T6_T7_T9_mT8_S1G_bDpT10_ENKUlT_T0_E_clISt17integral_constantIbLb0EES1U_EEDaS1P_S1Q_EUlS1P_E_NS1_11comp_targetILNS1_3genE3ELNS1_11target_archE908ELNS1_3gpuE7ELNS1_3repE0EEENS1_30default_config_static_selectorELNS0_4arch9wavefront6targetE0EEEvS12_.num_vgpr, 0
	.set _ZN7rocprim17ROCPRIM_400000_NS6detail17trampoline_kernelINS0_13select_configILj256ELj13ELNS0_17block_load_methodE3ELS4_3ELS4_3ELNS0_20block_scan_algorithmE0ELj4294967295EEENS1_25partition_config_selectorILNS1_17partition_subalgoE4EjNS0_10empty_typeEbEEZZNS1_14partition_implILS8_4ELb0ES6_15HIP_vector_typeIjLj2EENS0_17counting_iteratorIjlEEPS9_SG_NS0_5tupleIJPjSI_NS0_16reverse_iteratorISI_EEEEENSH_IJSG_SG_SG_EEES9_SI_JZNS1_25segmented_radix_sort_implINS0_14default_configELb1EPKiPiPKlPlN2at6native12_GLOBAL__N_18offset_tEEE10hipError_tPvRmT1_PNSt15iterator_traitsIS12_E10value_typeET2_T3_PNS13_IS18_E10value_typeET4_jRbjT5_S1E_jjP12ihipStream_tbEUljE_ZNSN_ISO_Lb1ESQ_SR_ST_SU_SY_EESZ_S10_S11_S12_S16_S17_S18_S1B_S1C_jS1D_jS1E_S1E_jjS1G_bEUljE0_EEESZ_S10_S11_S18_S1C_S1E_T6_T7_T9_mT8_S1G_bDpT10_ENKUlT_T0_E_clISt17integral_constantIbLb0EES1U_EEDaS1P_S1Q_EUlS1P_E_NS1_11comp_targetILNS1_3genE3ELNS1_11target_archE908ELNS1_3gpuE7ELNS1_3repE0EEENS1_30default_config_static_selectorELNS0_4arch9wavefront6targetE0EEEvS12_.num_agpr, 0
	.set _ZN7rocprim17ROCPRIM_400000_NS6detail17trampoline_kernelINS0_13select_configILj256ELj13ELNS0_17block_load_methodE3ELS4_3ELS4_3ELNS0_20block_scan_algorithmE0ELj4294967295EEENS1_25partition_config_selectorILNS1_17partition_subalgoE4EjNS0_10empty_typeEbEEZZNS1_14partition_implILS8_4ELb0ES6_15HIP_vector_typeIjLj2EENS0_17counting_iteratorIjlEEPS9_SG_NS0_5tupleIJPjSI_NS0_16reverse_iteratorISI_EEEEENSH_IJSG_SG_SG_EEES9_SI_JZNS1_25segmented_radix_sort_implINS0_14default_configELb1EPKiPiPKlPlN2at6native12_GLOBAL__N_18offset_tEEE10hipError_tPvRmT1_PNSt15iterator_traitsIS12_E10value_typeET2_T3_PNS13_IS18_E10value_typeET4_jRbjT5_S1E_jjP12ihipStream_tbEUljE_ZNSN_ISO_Lb1ESQ_SR_ST_SU_SY_EESZ_S10_S11_S12_S16_S17_S18_S1B_S1C_jS1D_jS1E_S1E_jjS1G_bEUljE0_EEESZ_S10_S11_S18_S1C_S1E_T6_T7_T9_mT8_S1G_bDpT10_ENKUlT_T0_E_clISt17integral_constantIbLb0EES1U_EEDaS1P_S1Q_EUlS1P_E_NS1_11comp_targetILNS1_3genE3ELNS1_11target_archE908ELNS1_3gpuE7ELNS1_3repE0EEENS1_30default_config_static_selectorELNS0_4arch9wavefront6targetE0EEEvS12_.numbered_sgpr, 0
	.set _ZN7rocprim17ROCPRIM_400000_NS6detail17trampoline_kernelINS0_13select_configILj256ELj13ELNS0_17block_load_methodE3ELS4_3ELS4_3ELNS0_20block_scan_algorithmE0ELj4294967295EEENS1_25partition_config_selectorILNS1_17partition_subalgoE4EjNS0_10empty_typeEbEEZZNS1_14partition_implILS8_4ELb0ES6_15HIP_vector_typeIjLj2EENS0_17counting_iteratorIjlEEPS9_SG_NS0_5tupleIJPjSI_NS0_16reverse_iteratorISI_EEEEENSH_IJSG_SG_SG_EEES9_SI_JZNS1_25segmented_radix_sort_implINS0_14default_configELb1EPKiPiPKlPlN2at6native12_GLOBAL__N_18offset_tEEE10hipError_tPvRmT1_PNSt15iterator_traitsIS12_E10value_typeET2_T3_PNS13_IS18_E10value_typeET4_jRbjT5_S1E_jjP12ihipStream_tbEUljE_ZNSN_ISO_Lb1ESQ_SR_ST_SU_SY_EESZ_S10_S11_S12_S16_S17_S18_S1B_S1C_jS1D_jS1E_S1E_jjS1G_bEUljE0_EEESZ_S10_S11_S18_S1C_S1E_T6_T7_T9_mT8_S1G_bDpT10_ENKUlT_T0_E_clISt17integral_constantIbLb0EES1U_EEDaS1P_S1Q_EUlS1P_E_NS1_11comp_targetILNS1_3genE3ELNS1_11target_archE908ELNS1_3gpuE7ELNS1_3repE0EEENS1_30default_config_static_selectorELNS0_4arch9wavefront6targetE0EEEvS12_.num_named_barrier, 0
	.set _ZN7rocprim17ROCPRIM_400000_NS6detail17trampoline_kernelINS0_13select_configILj256ELj13ELNS0_17block_load_methodE3ELS4_3ELS4_3ELNS0_20block_scan_algorithmE0ELj4294967295EEENS1_25partition_config_selectorILNS1_17partition_subalgoE4EjNS0_10empty_typeEbEEZZNS1_14partition_implILS8_4ELb0ES6_15HIP_vector_typeIjLj2EENS0_17counting_iteratorIjlEEPS9_SG_NS0_5tupleIJPjSI_NS0_16reverse_iteratorISI_EEEEENSH_IJSG_SG_SG_EEES9_SI_JZNS1_25segmented_radix_sort_implINS0_14default_configELb1EPKiPiPKlPlN2at6native12_GLOBAL__N_18offset_tEEE10hipError_tPvRmT1_PNSt15iterator_traitsIS12_E10value_typeET2_T3_PNS13_IS18_E10value_typeET4_jRbjT5_S1E_jjP12ihipStream_tbEUljE_ZNSN_ISO_Lb1ESQ_SR_ST_SU_SY_EESZ_S10_S11_S12_S16_S17_S18_S1B_S1C_jS1D_jS1E_S1E_jjS1G_bEUljE0_EEESZ_S10_S11_S18_S1C_S1E_T6_T7_T9_mT8_S1G_bDpT10_ENKUlT_T0_E_clISt17integral_constantIbLb0EES1U_EEDaS1P_S1Q_EUlS1P_E_NS1_11comp_targetILNS1_3genE3ELNS1_11target_archE908ELNS1_3gpuE7ELNS1_3repE0EEENS1_30default_config_static_selectorELNS0_4arch9wavefront6targetE0EEEvS12_.private_seg_size, 0
	.set _ZN7rocprim17ROCPRIM_400000_NS6detail17trampoline_kernelINS0_13select_configILj256ELj13ELNS0_17block_load_methodE3ELS4_3ELS4_3ELNS0_20block_scan_algorithmE0ELj4294967295EEENS1_25partition_config_selectorILNS1_17partition_subalgoE4EjNS0_10empty_typeEbEEZZNS1_14partition_implILS8_4ELb0ES6_15HIP_vector_typeIjLj2EENS0_17counting_iteratorIjlEEPS9_SG_NS0_5tupleIJPjSI_NS0_16reverse_iteratorISI_EEEEENSH_IJSG_SG_SG_EEES9_SI_JZNS1_25segmented_radix_sort_implINS0_14default_configELb1EPKiPiPKlPlN2at6native12_GLOBAL__N_18offset_tEEE10hipError_tPvRmT1_PNSt15iterator_traitsIS12_E10value_typeET2_T3_PNS13_IS18_E10value_typeET4_jRbjT5_S1E_jjP12ihipStream_tbEUljE_ZNSN_ISO_Lb1ESQ_SR_ST_SU_SY_EESZ_S10_S11_S12_S16_S17_S18_S1B_S1C_jS1D_jS1E_S1E_jjS1G_bEUljE0_EEESZ_S10_S11_S18_S1C_S1E_T6_T7_T9_mT8_S1G_bDpT10_ENKUlT_T0_E_clISt17integral_constantIbLb0EES1U_EEDaS1P_S1Q_EUlS1P_E_NS1_11comp_targetILNS1_3genE3ELNS1_11target_archE908ELNS1_3gpuE7ELNS1_3repE0EEENS1_30default_config_static_selectorELNS0_4arch9wavefront6targetE0EEEvS12_.uses_vcc, 0
	.set _ZN7rocprim17ROCPRIM_400000_NS6detail17trampoline_kernelINS0_13select_configILj256ELj13ELNS0_17block_load_methodE3ELS4_3ELS4_3ELNS0_20block_scan_algorithmE0ELj4294967295EEENS1_25partition_config_selectorILNS1_17partition_subalgoE4EjNS0_10empty_typeEbEEZZNS1_14partition_implILS8_4ELb0ES6_15HIP_vector_typeIjLj2EENS0_17counting_iteratorIjlEEPS9_SG_NS0_5tupleIJPjSI_NS0_16reverse_iteratorISI_EEEEENSH_IJSG_SG_SG_EEES9_SI_JZNS1_25segmented_radix_sort_implINS0_14default_configELb1EPKiPiPKlPlN2at6native12_GLOBAL__N_18offset_tEEE10hipError_tPvRmT1_PNSt15iterator_traitsIS12_E10value_typeET2_T3_PNS13_IS18_E10value_typeET4_jRbjT5_S1E_jjP12ihipStream_tbEUljE_ZNSN_ISO_Lb1ESQ_SR_ST_SU_SY_EESZ_S10_S11_S12_S16_S17_S18_S1B_S1C_jS1D_jS1E_S1E_jjS1G_bEUljE0_EEESZ_S10_S11_S18_S1C_S1E_T6_T7_T9_mT8_S1G_bDpT10_ENKUlT_T0_E_clISt17integral_constantIbLb0EES1U_EEDaS1P_S1Q_EUlS1P_E_NS1_11comp_targetILNS1_3genE3ELNS1_11target_archE908ELNS1_3gpuE7ELNS1_3repE0EEENS1_30default_config_static_selectorELNS0_4arch9wavefront6targetE0EEEvS12_.uses_flat_scratch, 0
	.set _ZN7rocprim17ROCPRIM_400000_NS6detail17trampoline_kernelINS0_13select_configILj256ELj13ELNS0_17block_load_methodE3ELS4_3ELS4_3ELNS0_20block_scan_algorithmE0ELj4294967295EEENS1_25partition_config_selectorILNS1_17partition_subalgoE4EjNS0_10empty_typeEbEEZZNS1_14partition_implILS8_4ELb0ES6_15HIP_vector_typeIjLj2EENS0_17counting_iteratorIjlEEPS9_SG_NS0_5tupleIJPjSI_NS0_16reverse_iteratorISI_EEEEENSH_IJSG_SG_SG_EEES9_SI_JZNS1_25segmented_radix_sort_implINS0_14default_configELb1EPKiPiPKlPlN2at6native12_GLOBAL__N_18offset_tEEE10hipError_tPvRmT1_PNSt15iterator_traitsIS12_E10value_typeET2_T3_PNS13_IS18_E10value_typeET4_jRbjT5_S1E_jjP12ihipStream_tbEUljE_ZNSN_ISO_Lb1ESQ_SR_ST_SU_SY_EESZ_S10_S11_S12_S16_S17_S18_S1B_S1C_jS1D_jS1E_S1E_jjS1G_bEUljE0_EEESZ_S10_S11_S18_S1C_S1E_T6_T7_T9_mT8_S1G_bDpT10_ENKUlT_T0_E_clISt17integral_constantIbLb0EES1U_EEDaS1P_S1Q_EUlS1P_E_NS1_11comp_targetILNS1_3genE3ELNS1_11target_archE908ELNS1_3gpuE7ELNS1_3repE0EEENS1_30default_config_static_selectorELNS0_4arch9wavefront6targetE0EEEvS12_.has_dyn_sized_stack, 0
	.set _ZN7rocprim17ROCPRIM_400000_NS6detail17trampoline_kernelINS0_13select_configILj256ELj13ELNS0_17block_load_methodE3ELS4_3ELS4_3ELNS0_20block_scan_algorithmE0ELj4294967295EEENS1_25partition_config_selectorILNS1_17partition_subalgoE4EjNS0_10empty_typeEbEEZZNS1_14partition_implILS8_4ELb0ES6_15HIP_vector_typeIjLj2EENS0_17counting_iteratorIjlEEPS9_SG_NS0_5tupleIJPjSI_NS0_16reverse_iteratorISI_EEEEENSH_IJSG_SG_SG_EEES9_SI_JZNS1_25segmented_radix_sort_implINS0_14default_configELb1EPKiPiPKlPlN2at6native12_GLOBAL__N_18offset_tEEE10hipError_tPvRmT1_PNSt15iterator_traitsIS12_E10value_typeET2_T3_PNS13_IS18_E10value_typeET4_jRbjT5_S1E_jjP12ihipStream_tbEUljE_ZNSN_ISO_Lb1ESQ_SR_ST_SU_SY_EESZ_S10_S11_S12_S16_S17_S18_S1B_S1C_jS1D_jS1E_S1E_jjS1G_bEUljE0_EEESZ_S10_S11_S18_S1C_S1E_T6_T7_T9_mT8_S1G_bDpT10_ENKUlT_T0_E_clISt17integral_constantIbLb0EES1U_EEDaS1P_S1Q_EUlS1P_E_NS1_11comp_targetILNS1_3genE3ELNS1_11target_archE908ELNS1_3gpuE7ELNS1_3repE0EEENS1_30default_config_static_selectorELNS0_4arch9wavefront6targetE0EEEvS12_.has_recursion, 0
	.set _ZN7rocprim17ROCPRIM_400000_NS6detail17trampoline_kernelINS0_13select_configILj256ELj13ELNS0_17block_load_methodE3ELS4_3ELS4_3ELNS0_20block_scan_algorithmE0ELj4294967295EEENS1_25partition_config_selectorILNS1_17partition_subalgoE4EjNS0_10empty_typeEbEEZZNS1_14partition_implILS8_4ELb0ES6_15HIP_vector_typeIjLj2EENS0_17counting_iteratorIjlEEPS9_SG_NS0_5tupleIJPjSI_NS0_16reverse_iteratorISI_EEEEENSH_IJSG_SG_SG_EEES9_SI_JZNS1_25segmented_radix_sort_implINS0_14default_configELb1EPKiPiPKlPlN2at6native12_GLOBAL__N_18offset_tEEE10hipError_tPvRmT1_PNSt15iterator_traitsIS12_E10value_typeET2_T3_PNS13_IS18_E10value_typeET4_jRbjT5_S1E_jjP12ihipStream_tbEUljE_ZNSN_ISO_Lb1ESQ_SR_ST_SU_SY_EESZ_S10_S11_S12_S16_S17_S18_S1B_S1C_jS1D_jS1E_S1E_jjS1G_bEUljE0_EEESZ_S10_S11_S18_S1C_S1E_T6_T7_T9_mT8_S1G_bDpT10_ENKUlT_T0_E_clISt17integral_constantIbLb0EES1U_EEDaS1P_S1Q_EUlS1P_E_NS1_11comp_targetILNS1_3genE3ELNS1_11target_archE908ELNS1_3gpuE7ELNS1_3repE0EEENS1_30default_config_static_selectorELNS0_4arch9wavefront6targetE0EEEvS12_.has_indirect_call, 0
	.section	.AMDGPU.csdata,"",@progbits
; Kernel info:
; codeLenInByte = 0
; TotalNumSgprs: 0
; NumVgprs: 0
; ScratchSize: 0
; MemoryBound: 0
; FloatMode: 240
; IeeeMode: 1
; LDSByteSize: 0 bytes/workgroup (compile time only)
; SGPRBlocks: 0
; VGPRBlocks: 0
; NumSGPRsForWavesPerEU: 1
; NumVGPRsForWavesPerEU: 1
; Occupancy: 16
; WaveLimiterHint : 0
; COMPUTE_PGM_RSRC2:SCRATCH_EN: 0
; COMPUTE_PGM_RSRC2:USER_SGPR: 6
; COMPUTE_PGM_RSRC2:TRAP_HANDLER: 0
; COMPUTE_PGM_RSRC2:TGID_X_EN: 1
; COMPUTE_PGM_RSRC2:TGID_Y_EN: 0
; COMPUTE_PGM_RSRC2:TGID_Z_EN: 0
; COMPUTE_PGM_RSRC2:TIDIG_COMP_CNT: 0
	.section	.text._ZN7rocprim17ROCPRIM_400000_NS6detail17trampoline_kernelINS0_13select_configILj256ELj13ELNS0_17block_load_methodE3ELS4_3ELS4_3ELNS0_20block_scan_algorithmE0ELj4294967295EEENS1_25partition_config_selectorILNS1_17partition_subalgoE4EjNS0_10empty_typeEbEEZZNS1_14partition_implILS8_4ELb0ES6_15HIP_vector_typeIjLj2EENS0_17counting_iteratorIjlEEPS9_SG_NS0_5tupleIJPjSI_NS0_16reverse_iteratorISI_EEEEENSH_IJSG_SG_SG_EEES9_SI_JZNS1_25segmented_radix_sort_implINS0_14default_configELb1EPKiPiPKlPlN2at6native12_GLOBAL__N_18offset_tEEE10hipError_tPvRmT1_PNSt15iterator_traitsIS12_E10value_typeET2_T3_PNS13_IS18_E10value_typeET4_jRbjT5_S1E_jjP12ihipStream_tbEUljE_ZNSN_ISO_Lb1ESQ_SR_ST_SU_SY_EESZ_S10_S11_S12_S16_S17_S18_S1B_S1C_jS1D_jS1E_S1E_jjS1G_bEUljE0_EEESZ_S10_S11_S18_S1C_S1E_T6_T7_T9_mT8_S1G_bDpT10_ENKUlT_T0_E_clISt17integral_constantIbLb0EES1U_EEDaS1P_S1Q_EUlS1P_E_NS1_11comp_targetILNS1_3genE2ELNS1_11target_archE906ELNS1_3gpuE6ELNS1_3repE0EEENS1_30default_config_static_selectorELNS0_4arch9wavefront6targetE0EEEvS12_,"axG",@progbits,_ZN7rocprim17ROCPRIM_400000_NS6detail17trampoline_kernelINS0_13select_configILj256ELj13ELNS0_17block_load_methodE3ELS4_3ELS4_3ELNS0_20block_scan_algorithmE0ELj4294967295EEENS1_25partition_config_selectorILNS1_17partition_subalgoE4EjNS0_10empty_typeEbEEZZNS1_14partition_implILS8_4ELb0ES6_15HIP_vector_typeIjLj2EENS0_17counting_iteratorIjlEEPS9_SG_NS0_5tupleIJPjSI_NS0_16reverse_iteratorISI_EEEEENSH_IJSG_SG_SG_EEES9_SI_JZNS1_25segmented_radix_sort_implINS0_14default_configELb1EPKiPiPKlPlN2at6native12_GLOBAL__N_18offset_tEEE10hipError_tPvRmT1_PNSt15iterator_traitsIS12_E10value_typeET2_T3_PNS13_IS18_E10value_typeET4_jRbjT5_S1E_jjP12ihipStream_tbEUljE_ZNSN_ISO_Lb1ESQ_SR_ST_SU_SY_EESZ_S10_S11_S12_S16_S17_S18_S1B_S1C_jS1D_jS1E_S1E_jjS1G_bEUljE0_EEESZ_S10_S11_S18_S1C_S1E_T6_T7_T9_mT8_S1G_bDpT10_ENKUlT_T0_E_clISt17integral_constantIbLb0EES1U_EEDaS1P_S1Q_EUlS1P_E_NS1_11comp_targetILNS1_3genE2ELNS1_11target_archE906ELNS1_3gpuE6ELNS1_3repE0EEENS1_30default_config_static_selectorELNS0_4arch9wavefront6targetE0EEEvS12_,comdat
	.globl	_ZN7rocprim17ROCPRIM_400000_NS6detail17trampoline_kernelINS0_13select_configILj256ELj13ELNS0_17block_load_methodE3ELS4_3ELS4_3ELNS0_20block_scan_algorithmE0ELj4294967295EEENS1_25partition_config_selectorILNS1_17partition_subalgoE4EjNS0_10empty_typeEbEEZZNS1_14partition_implILS8_4ELb0ES6_15HIP_vector_typeIjLj2EENS0_17counting_iteratorIjlEEPS9_SG_NS0_5tupleIJPjSI_NS0_16reverse_iteratorISI_EEEEENSH_IJSG_SG_SG_EEES9_SI_JZNS1_25segmented_radix_sort_implINS0_14default_configELb1EPKiPiPKlPlN2at6native12_GLOBAL__N_18offset_tEEE10hipError_tPvRmT1_PNSt15iterator_traitsIS12_E10value_typeET2_T3_PNS13_IS18_E10value_typeET4_jRbjT5_S1E_jjP12ihipStream_tbEUljE_ZNSN_ISO_Lb1ESQ_SR_ST_SU_SY_EESZ_S10_S11_S12_S16_S17_S18_S1B_S1C_jS1D_jS1E_S1E_jjS1G_bEUljE0_EEESZ_S10_S11_S18_S1C_S1E_T6_T7_T9_mT8_S1G_bDpT10_ENKUlT_T0_E_clISt17integral_constantIbLb0EES1U_EEDaS1P_S1Q_EUlS1P_E_NS1_11comp_targetILNS1_3genE2ELNS1_11target_archE906ELNS1_3gpuE6ELNS1_3repE0EEENS1_30default_config_static_selectorELNS0_4arch9wavefront6targetE0EEEvS12_ ; -- Begin function _ZN7rocprim17ROCPRIM_400000_NS6detail17trampoline_kernelINS0_13select_configILj256ELj13ELNS0_17block_load_methodE3ELS4_3ELS4_3ELNS0_20block_scan_algorithmE0ELj4294967295EEENS1_25partition_config_selectorILNS1_17partition_subalgoE4EjNS0_10empty_typeEbEEZZNS1_14partition_implILS8_4ELb0ES6_15HIP_vector_typeIjLj2EENS0_17counting_iteratorIjlEEPS9_SG_NS0_5tupleIJPjSI_NS0_16reverse_iteratorISI_EEEEENSH_IJSG_SG_SG_EEES9_SI_JZNS1_25segmented_radix_sort_implINS0_14default_configELb1EPKiPiPKlPlN2at6native12_GLOBAL__N_18offset_tEEE10hipError_tPvRmT1_PNSt15iterator_traitsIS12_E10value_typeET2_T3_PNS13_IS18_E10value_typeET4_jRbjT5_S1E_jjP12ihipStream_tbEUljE_ZNSN_ISO_Lb1ESQ_SR_ST_SU_SY_EESZ_S10_S11_S12_S16_S17_S18_S1B_S1C_jS1D_jS1E_S1E_jjS1G_bEUljE0_EEESZ_S10_S11_S18_S1C_S1E_T6_T7_T9_mT8_S1G_bDpT10_ENKUlT_T0_E_clISt17integral_constantIbLb0EES1U_EEDaS1P_S1Q_EUlS1P_E_NS1_11comp_targetILNS1_3genE2ELNS1_11target_archE906ELNS1_3gpuE6ELNS1_3repE0EEENS1_30default_config_static_selectorELNS0_4arch9wavefront6targetE0EEEvS12_
	.p2align	8
	.type	_ZN7rocprim17ROCPRIM_400000_NS6detail17trampoline_kernelINS0_13select_configILj256ELj13ELNS0_17block_load_methodE3ELS4_3ELS4_3ELNS0_20block_scan_algorithmE0ELj4294967295EEENS1_25partition_config_selectorILNS1_17partition_subalgoE4EjNS0_10empty_typeEbEEZZNS1_14partition_implILS8_4ELb0ES6_15HIP_vector_typeIjLj2EENS0_17counting_iteratorIjlEEPS9_SG_NS0_5tupleIJPjSI_NS0_16reverse_iteratorISI_EEEEENSH_IJSG_SG_SG_EEES9_SI_JZNS1_25segmented_radix_sort_implINS0_14default_configELb1EPKiPiPKlPlN2at6native12_GLOBAL__N_18offset_tEEE10hipError_tPvRmT1_PNSt15iterator_traitsIS12_E10value_typeET2_T3_PNS13_IS18_E10value_typeET4_jRbjT5_S1E_jjP12ihipStream_tbEUljE_ZNSN_ISO_Lb1ESQ_SR_ST_SU_SY_EESZ_S10_S11_S12_S16_S17_S18_S1B_S1C_jS1D_jS1E_S1E_jjS1G_bEUljE0_EEESZ_S10_S11_S18_S1C_S1E_T6_T7_T9_mT8_S1G_bDpT10_ENKUlT_T0_E_clISt17integral_constantIbLb0EES1U_EEDaS1P_S1Q_EUlS1P_E_NS1_11comp_targetILNS1_3genE2ELNS1_11target_archE906ELNS1_3gpuE6ELNS1_3repE0EEENS1_30default_config_static_selectorELNS0_4arch9wavefront6targetE0EEEvS12_,@function
_ZN7rocprim17ROCPRIM_400000_NS6detail17trampoline_kernelINS0_13select_configILj256ELj13ELNS0_17block_load_methodE3ELS4_3ELS4_3ELNS0_20block_scan_algorithmE0ELj4294967295EEENS1_25partition_config_selectorILNS1_17partition_subalgoE4EjNS0_10empty_typeEbEEZZNS1_14partition_implILS8_4ELb0ES6_15HIP_vector_typeIjLj2EENS0_17counting_iteratorIjlEEPS9_SG_NS0_5tupleIJPjSI_NS0_16reverse_iteratorISI_EEEEENSH_IJSG_SG_SG_EEES9_SI_JZNS1_25segmented_radix_sort_implINS0_14default_configELb1EPKiPiPKlPlN2at6native12_GLOBAL__N_18offset_tEEE10hipError_tPvRmT1_PNSt15iterator_traitsIS12_E10value_typeET2_T3_PNS13_IS18_E10value_typeET4_jRbjT5_S1E_jjP12ihipStream_tbEUljE_ZNSN_ISO_Lb1ESQ_SR_ST_SU_SY_EESZ_S10_S11_S12_S16_S17_S18_S1B_S1C_jS1D_jS1E_S1E_jjS1G_bEUljE0_EEESZ_S10_S11_S18_S1C_S1E_T6_T7_T9_mT8_S1G_bDpT10_ENKUlT_T0_E_clISt17integral_constantIbLb0EES1U_EEDaS1P_S1Q_EUlS1P_E_NS1_11comp_targetILNS1_3genE2ELNS1_11target_archE906ELNS1_3gpuE6ELNS1_3repE0EEENS1_30default_config_static_selectorELNS0_4arch9wavefront6targetE0EEEvS12_: ; @_ZN7rocprim17ROCPRIM_400000_NS6detail17trampoline_kernelINS0_13select_configILj256ELj13ELNS0_17block_load_methodE3ELS4_3ELS4_3ELNS0_20block_scan_algorithmE0ELj4294967295EEENS1_25partition_config_selectorILNS1_17partition_subalgoE4EjNS0_10empty_typeEbEEZZNS1_14partition_implILS8_4ELb0ES6_15HIP_vector_typeIjLj2EENS0_17counting_iteratorIjlEEPS9_SG_NS0_5tupleIJPjSI_NS0_16reverse_iteratorISI_EEEEENSH_IJSG_SG_SG_EEES9_SI_JZNS1_25segmented_radix_sort_implINS0_14default_configELb1EPKiPiPKlPlN2at6native12_GLOBAL__N_18offset_tEEE10hipError_tPvRmT1_PNSt15iterator_traitsIS12_E10value_typeET2_T3_PNS13_IS18_E10value_typeET4_jRbjT5_S1E_jjP12ihipStream_tbEUljE_ZNSN_ISO_Lb1ESQ_SR_ST_SU_SY_EESZ_S10_S11_S12_S16_S17_S18_S1B_S1C_jS1D_jS1E_S1E_jjS1G_bEUljE0_EEESZ_S10_S11_S18_S1C_S1E_T6_T7_T9_mT8_S1G_bDpT10_ENKUlT_T0_E_clISt17integral_constantIbLb0EES1U_EEDaS1P_S1Q_EUlS1P_E_NS1_11comp_targetILNS1_3genE2ELNS1_11target_archE906ELNS1_3gpuE6ELNS1_3repE0EEENS1_30default_config_static_selectorELNS0_4arch9wavefront6targetE0EEEvS12_
; %bb.0:
	.section	.rodata,"a",@progbits
	.p2align	6, 0x0
	.amdhsa_kernel _ZN7rocprim17ROCPRIM_400000_NS6detail17trampoline_kernelINS0_13select_configILj256ELj13ELNS0_17block_load_methodE3ELS4_3ELS4_3ELNS0_20block_scan_algorithmE0ELj4294967295EEENS1_25partition_config_selectorILNS1_17partition_subalgoE4EjNS0_10empty_typeEbEEZZNS1_14partition_implILS8_4ELb0ES6_15HIP_vector_typeIjLj2EENS0_17counting_iteratorIjlEEPS9_SG_NS0_5tupleIJPjSI_NS0_16reverse_iteratorISI_EEEEENSH_IJSG_SG_SG_EEES9_SI_JZNS1_25segmented_radix_sort_implINS0_14default_configELb1EPKiPiPKlPlN2at6native12_GLOBAL__N_18offset_tEEE10hipError_tPvRmT1_PNSt15iterator_traitsIS12_E10value_typeET2_T3_PNS13_IS18_E10value_typeET4_jRbjT5_S1E_jjP12ihipStream_tbEUljE_ZNSN_ISO_Lb1ESQ_SR_ST_SU_SY_EESZ_S10_S11_S12_S16_S17_S18_S1B_S1C_jS1D_jS1E_S1E_jjS1G_bEUljE0_EEESZ_S10_S11_S18_S1C_S1E_T6_T7_T9_mT8_S1G_bDpT10_ENKUlT_T0_E_clISt17integral_constantIbLb0EES1U_EEDaS1P_S1Q_EUlS1P_E_NS1_11comp_targetILNS1_3genE2ELNS1_11target_archE906ELNS1_3gpuE6ELNS1_3repE0EEENS1_30default_config_static_selectorELNS0_4arch9wavefront6targetE0EEEvS12_
		.amdhsa_group_segment_fixed_size 0
		.amdhsa_private_segment_fixed_size 0
		.amdhsa_kernarg_size 176
		.amdhsa_user_sgpr_count 6
		.amdhsa_user_sgpr_private_segment_buffer 1
		.amdhsa_user_sgpr_dispatch_ptr 0
		.amdhsa_user_sgpr_queue_ptr 0
		.amdhsa_user_sgpr_kernarg_segment_ptr 1
		.amdhsa_user_sgpr_dispatch_id 0
		.amdhsa_user_sgpr_flat_scratch_init 0
		.amdhsa_user_sgpr_private_segment_size 0
		.amdhsa_wavefront_size32 1
		.amdhsa_uses_dynamic_stack 0
		.amdhsa_system_sgpr_private_segment_wavefront_offset 0
		.amdhsa_system_sgpr_workgroup_id_x 1
		.amdhsa_system_sgpr_workgroup_id_y 0
		.amdhsa_system_sgpr_workgroup_id_z 0
		.amdhsa_system_sgpr_workgroup_info 0
		.amdhsa_system_vgpr_workitem_id 0
		.amdhsa_next_free_vgpr 1
		.amdhsa_next_free_sgpr 1
		.amdhsa_reserve_vcc 0
		.amdhsa_reserve_flat_scratch 0
		.amdhsa_float_round_mode_32 0
		.amdhsa_float_round_mode_16_64 0
		.amdhsa_float_denorm_mode_32 3
		.amdhsa_float_denorm_mode_16_64 3
		.amdhsa_dx10_clamp 1
		.amdhsa_ieee_mode 1
		.amdhsa_fp16_overflow 0
		.amdhsa_workgroup_processor_mode 1
		.amdhsa_memory_ordered 1
		.amdhsa_forward_progress 1
		.amdhsa_shared_vgpr_count 0
		.amdhsa_exception_fp_ieee_invalid_op 0
		.amdhsa_exception_fp_denorm_src 0
		.amdhsa_exception_fp_ieee_div_zero 0
		.amdhsa_exception_fp_ieee_overflow 0
		.amdhsa_exception_fp_ieee_underflow 0
		.amdhsa_exception_fp_ieee_inexact 0
		.amdhsa_exception_int_div_zero 0
	.end_amdhsa_kernel
	.section	.text._ZN7rocprim17ROCPRIM_400000_NS6detail17trampoline_kernelINS0_13select_configILj256ELj13ELNS0_17block_load_methodE3ELS4_3ELS4_3ELNS0_20block_scan_algorithmE0ELj4294967295EEENS1_25partition_config_selectorILNS1_17partition_subalgoE4EjNS0_10empty_typeEbEEZZNS1_14partition_implILS8_4ELb0ES6_15HIP_vector_typeIjLj2EENS0_17counting_iteratorIjlEEPS9_SG_NS0_5tupleIJPjSI_NS0_16reverse_iteratorISI_EEEEENSH_IJSG_SG_SG_EEES9_SI_JZNS1_25segmented_radix_sort_implINS0_14default_configELb1EPKiPiPKlPlN2at6native12_GLOBAL__N_18offset_tEEE10hipError_tPvRmT1_PNSt15iterator_traitsIS12_E10value_typeET2_T3_PNS13_IS18_E10value_typeET4_jRbjT5_S1E_jjP12ihipStream_tbEUljE_ZNSN_ISO_Lb1ESQ_SR_ST_SU_SY_EESZ_S10_S11_S12_S16_S17_S18_S1B_S1C_jS1D_jS1E_S1E_jjS1G_bEUljE0_EEESZ_S10_S11_S18_S1C_S1E_T6_T7_T9_mT8_S1G_bDpT10_ENKUlT_T0_E_clISt17integral_constantIbLb0EES1U_EEDaS1P_S1Q_EUlS1P_E_NS1_11comp_targetILNS1_3genE2ELNS1_11target_archE906ELNS1_3gpuE6ELNS1_3repE0EEENS1_30default_config_static_selectorELNS0_4arch9wavefront6targetE0EEEvS12_,"axG",@progbits,_ZN7rocprim17ROCPRIM_400000_NS6detail17trampoline_kernelINS0_13select_configILj256ELj13ELNS0_17block_load_methodE3ELS4_3ELS4_3ELNS0_20block_scan_algorithmE0ELj4294967295EEENS1_25partition_config_selectorILNS1_17partition_subalgoE4EjNS0_10empty_typeEbEEZZNS1_14partition_implILS8_4ELb0ES6_15HIP_vector_typeIjLj2EENS0_17counting_iteratorIjlEEPS9_SG_NS0_5tupleIJPjSI_NS0_16reverse_iteratorISI_EEEEENSH_IJSG_SG_SG_EEES9_SI_JZNS1_25segmented_radix_sort_implINS0_14default_configELb1EPKiPiPKlPlN2at6native12_GLOBAL__N_18offset_tEEE10hipError_tPvRmT1_PNSt15iterator_traitsIS12_E10value_typeET2_T3_PNS13_IS18_E10value_typeET4_jRbjT5_S1E_jjP12ihipStream_tbEUljE_ZNSN_ISO_Lb1ESQ_SR_ST_SU_SY_EESZ_S10_S11_S12_S16_S17_S18_S1B_S1C_jS1D_jS1E_S1E_jjS1G_bEUljE0_EEESZ_S10_S11_S18_S1C_S1E_T6_T7_T9_mT8_S1G_bDpT10_ENKUlT_T0_E_clISt17integral_constantIbLb0EES1U_EEDaS1P_S1Q_EUlS1P_E_NS1_11comp_targetILNS1_3genE2ELNS1_11target_archE906ELNS1_3gpuE6ELNS1_3repE0EEENS1_30default_config_static_selectorELNS0_4arch9wavefront6targetE0EEEvS12_,comdat
.Lfunc_end433:
	.size	_ZN7rocprim17ROCPRIM_400000_NS6detail17trampoline_kernelINS0_13select_configILj256ELj13ELNS0_17block_load_methodE3ELS4_3ELS4_3ELNS0_20block_scan_algorithmE0ELj4294967295EEENS1_25partition_config_selectorILNS1_17partition_subalgoE4EjNS0_10empty_typeEbEEZZNS1_14partition_implILS8_4ELb0ES6_15HIP_vector_typeIjLj2EENS0_17counting_iteratorIjlEEPS9_SG_NS0_5tupleIJPjSI_NS0_16reverse_iteratorISI_EEEEENSH_IJSG_SG_SG_EEES9_SI_JZNS1_25segmented_radix_sort_implINS0_14default_configELb1EPKiPiPKlPlN2at6native12_GLOBAL__N_18offset_tEEE10hipError_tPvRmT1_PNSt15iterator_traitsIS12_E10value_typeET2_T3_PNS13_IS18_E10value_typeET4_jRbjT5_S1E_jjP12ihipStream_tbEUljE_ZNSN_ISO_Lb1ESQ_SR_ST_SU_SY_EESZ_S10_S11_S12_S16_S17_S18_S1B_S1C_jS1D_jS1E_S1E_jjS1G_bEUljE0_EEESZ_S10_S11_S18_S1C_S1E_T6_T7_T9_mT8_S1G_bDpT10_ENKUlT_T0_E_clISt17integral_constantIbLb0EES1U_EEDaS1P_S1Q_EUlS1P_E_NS1_11comp_targetILNS1_3genE2ELNS1_11target_archE906ELNS1_3gpuE6ELNS1_3repE0EEENS1_30default_config_static_selectorELNS0_4arch9wavefront6targetE0EEEvS12_, .Lfunc_end433-_ZN7rocprim17ROCPRIM_400000_NS6detail17trampoline_kernelINS0_13select_configILj256ELj13ELNS0_17block_load_methodE3ELS4_3ELS4_3ELNS0_20block_scan_algorithmE0ELj4294967295EEENS1_25partition_config_selectorILNS1_17partition_subalgoE4EjNS0_10empty_typeEbEEZZNS1_14partition_implILS8_4ELb0ES6_15HIP_vector_typeIjLj2EENS0_17counting_iteratorIjlEEPS9_SG_NS0_5tupleIJPjSI_NS0_16reverse_iteratorISI_EEEEENSH_IJSG_SG_SG_EEES9_SI_JZNS1_25segmented_radix_sort_implINS0_14default_configELb1EPKiPiPKlPlN2at6native12_GLOBAL__N_18offset_tEEE10hipError_tPvRmT1_PNSt15iterator_traitsIS12_E10value_typeET2_T3_PNS13_IS18_E10value_typeET4_jRbjT5_S1E_jjP12ihipStream_tbEUljE_ZNSN_ISO_Lb1ESQ_SR_ST_SU_SY_EESZ_S10_S11_S12_S16_S17_S18_S1B_S1C_jS1D_jS1E_S1E_jjS1G_bEUljE0_EEESZ_S10_S11_S18_S1C_S1E_T6_T7_T9_mT8_S1G_bDpT10_ENKUlT_T0_E_clISt17integral_constantIbLb0EES1U_EEDaS1P_S1Q_EUlS1P_E_NS1_11comp_targetILNS1_3genE2ELNS1_11target_archE906ELNS1_3gpuE6ELNS1_3repE0EEENS1_30default_config_static_selectorELNS0_4arch9wavefront6targetE0EEEvS12_
                                        ; -- End function
	.set _ZN7rocprim17ROCPRIM_400000_NS6detail17trampoline_kernelINS0_13select_configILj256ELj13ELNS0_17block_load_methodE3ELS4_3ELS4_3ELNS0_20block_scan_algorithmE0ELj4294967295EEENS1_25partition_config_selectorILNS1_17partition_subalgoE4EjNS0_10empty_typeEbEEZZNS1_14partition_implILS8_4ELb0ES6_15HIP_vector_typeIjLj2EENS0_17counting_iteratorIjlEEPS9_SG_NS0_5tupleIJPjSI_NS0_16reverse_iteratorISI_EEEEENSH_IJSG_SG_SG_EEES9_SI_JZNS1_25segmented_radix_sort_implINS0_14default_configELb1EPKiPiPKlPlN2at6native12_GLOBAL__N_18offset_tEEE10hipError_tPvRmT1_PNSt15iterator_traitsIS12_E10value_typeET2_T3_PNS13_IS18_E10value_typeET4_jRbjT5_S1E_jjP12ihipStream_tbEUljE_ZNSN_ISO_Lb1ESQ_SR_ST_SU_SY_EESZ_S10_S11_S12_S16_S17_S18_S1B_S1C_jS1D_jS1E_S1E_jjS1G_bEUljE0_EEESZ_S10_S11_S18_S1C_S1E_T6_T7_T9_mT8_S1G_bDpT10_ENKUlT_T0_E_clISt17integral_constantIbLb0EES1U_EEDaS1P_S1Q_EUlS1P_E_NS1_11comp_targetILNS1_3genE2ELNS1_11target_archE906ELNS1_3gpuE6ELNS1_3repE0EEENS1_30default_config_static_selectorELNS0_4arch9wavefront6targetE0EEEvS12_.num_vgpr, 0
	.set _ZN7rocprim17ROCPRIM_400000_NS6detail17trampoline_kernelINS0_13select_configILj256ELj13ELNS0_17block_load_methodE3ELS4_3ELS4_3ELNS0_20block_scan_algorithmE0ELj4294967295EEENS1_25partition_config_selectorILNS1_17partition_subalgoE4EjNS0_10empty_typeEbEEZZNS1_14partition_implILS8_4ELb0ES6_15HIP_vector_typeIjLj2EENS0_17counting_iteratorIjlEEPS9_SG_NS0_5tupleIJPjSI_NS0_16reverse_iteratorISI_EEEEENSH_IJSG_SG_SG_EEES9_SI_JZNS1_25segmented_radix_sort_implINS0_14default_configELb1EPKiPiPKlPlN2at6native12_GLOBAL__N_18offset_tEEE10hipError_tPvRmT1_PNSt15iterator_traitsIS12_E10value_typeET2_T3_PNS13_IS18_E10value_typeET4_jRbjT5_S1E_jjP12ihipStream_tbEUljE_ZNSN_ISO_Lb1ESQ_SR_ST_SU_SY_EESZ_S10_S11_S12_S16_S17_S18_S1B_S1C_jS1D_jS1E_S1E_jjS1G_bEUljE0_EEESZ_S10_S11_S18_S1C_S1E_T6_T7_T9_mT8_S1G_bDpT10_ENKUlT_T0_E_clISt17integral_constantIbLb0EES1U_EEDaS1P_S1Q_EUlS1P_E_NS1_11comp_targetILNS1_3genE2ELNS1_11target_archE906ELNS1_3gpuE6ELNS1_3repE0EEENS1_30default_config_static_selectorELNS0_4arch9wavefront6targetE0EEEvS12_.num_agpr, 0
	.set _ZN7rocprim17ROCPRIM_400000_NS6detail17trampoline_kernelINS0_13select_configILj256ELj13ELNS0_17block_load_methodE3ELS4_3ELS4_3ELNS0_20block_scan_algorithmE0ELj4294967295EEENS1_25partition_config_selectorILNS1_17partition_subalgoE4EjNS0_10empty_typeEbEEZZNS1_14partition_implILS8_4ELb0ES6_15HIP_vector_typeIjLj2EENS0_17counting_iteratorIjlEEPS9_SG_NS0_5tupleIJPjSI_NS0_16reverse_iteratorISI_EEEEENSH_IJSG_SG_SG_EEES9_SI_JZNS1_25segmented_radix_sort_implINS0_14default_configELb1EPKiPiPKlPlN2at6native12_GLOBAL__N_18offset_tEEE10hipError_tPvRmT1_PNSt15iterator_traitsIS12_E10value_typeET2_T3_PNS13_IS18_E10value_typeET4_jRbjT5_S1E_jjP12ihipStream_tbEUljE_ZNSN_ISO_Lb1ESQ_SR_ST_SU_SY_EESZ_S10_S11_S12_S16_S17_S18_S1B_S1C_jS1D_jS1E_S1E_jjS1G_bEUljE0_EEESZ_S10_S11_S18_S1C_S1E_T6_T7_T9_mT8_S1G_bDpT10_ENKUlT_T0_E_clISt17integral_constantIbLb0EES1U_EEDaS1P_S1Q_EUlS1P_E_NS1_11comp_targetILNS1_3genE2ELNS1_11target_archE906ELNS1_3gpuE6ELNS1_3repE0EEENS1_30default_config_static_selectorELNS0_4arch9wavefront6targetE0EEEvS12_.numbered_sgpr, 0
	.set _ZN7rocprim17ROCPRIM_400000_NS6detail17trampoline_kernelINS0_13select_configILj256ELj13ELNS0_17block_load_methodE3ELS4_3ELS4_3ELNS0_20block_scan_algorithmE0ELj4294967295EEENS1_25partition_config_selectorILNS1_17partition_subalgoE4EjNS0_10empty_typeEbEEZZNS1_14partition_implILS8_4ELb0ES6_15HIP_vector_typeIjLj2EENS0_17counting_iteratorIjlEEPS9_SG_NS0_5tupleIJPjSI_NS0_16reverse_iteratorISI_EEEEENSH_IJSG_SG_SG_EEES9_SI_JZNS1_25segmented_radix_sort_implINS0_14default_configELb1EPKiPiPKlPlN2at6native12_GLOBAL__N_18offset_tEEE10hipError_tPvRmT1_PNSt15iterator_traitsIS12_E10value_typeET2_T3_PNS13_IS18_E10value_typeET4_jRbjT5_S1E_jjP12ihipStream_tbEUljE_ZNSN_ISO_Lb1ESQ_SR_ST_SU_SY_EESZ_S10_S11_S12_S16_S17_S18_S1B_S1C_jS1D_jS1E_S1E_jjS1G_bEUljE0_EEESZ_S10_S11_S18_S1C_S1E_T6_T7_T9_mT8_S1G_bDpT10_ENKUlT_T0_E_clISt17integral_constantIbLb0EES1U_EEDaS1P_S1Q_EUlS1P_E_NS1_11comp_targetILNS1_3genE2ELNS1_11target_archE906ELNS1_3gpuE6ELNS1_3repE0EEENS1_30default_config_static_selectorELNS0_4arch9wavefront6targetE0EEEvS12_.num_named_barrier, 0
	.set _ZN7rocprim17ROCPRIM_400000_NS6detail17trampoline_kernelINS0_13select_configILj256ELj13ELNS0_17block_load_methodE3ELS4_3ELS4_3ELNS0_20block_scan_algorithmE0ELj4294967295EEENS1_25partition_config_selectorILNS1_17partition_subalgoE4EjNS0_10empty_typeEbEEZZNS1_14partition_implILS8_4ELb0ES6_15HIP_vector_typeIjLj2EENS0_17counting_iteratorIjlEEPS9_SG_NS0_5tupleIJPjSI_NS0_16reverse_iteratorISI_EEEEENSH_IJSG_SG_SG_EEES9_SI_JZNS1_25segmented_radix_sort_implINS0_14default_configELb1EPKiPiPKlPlN2at6native12_GLOBAL__N_18offset_tEEE10hipError_tPvRmT1_PNSt15iterator_traitsIS12_E10value_typeET2_T3_PNS13_IS18_E10value_typeET4_jRbjT5_S1E_jjP12ihipStream_tbEUljE_ZNSN_ISO_Lb1ESQ_SR_ST_SU_SY_EESZ_S10_S11_S12_S16_S17_S18_S1B_S1C_jS1D_jS1E_S1E_jjS1G_bEUljE0_EEESZ_S10_S11_S18_S1C_S1E_T6_T7_T9_mT8_S1G_bDpT10_ENKUlT_T0_E_clISt17integral_constantIbLb0EES1U_EEDaS1P_S1Q_EUlS1P_E_NS1_11comp_targetILNS1_3genE2ELNS1_11target_archE906ELNS1_3gpuE6ELNS1_3repE0EEENS1_30default_config_static_selectorELNS0_4arch9wavefront6targetE0EEEvS12_.private_seg_size, 0
	.set _ZN7rocprim17ROCPRIM_400000_NS6detail17trampoline_kernelINS0_13select_configILj256ELj13ELNS0_17block_load_methodE3ELS4_3ELS4_3ELNS0_20block_scan_algorithmE0ELj4294967295EEENS1_25partition_config_selectorILNS1_17partition_subalgoE4EjNS0_10empty_typeEbEEZZNS1_14partition_implILS8_4ELb0ES6_15HIP_vector_typeIjLj2EENS0_17counting_iteratorIjlEEPS9_SG_NS0_5tupleIJPjSI_NS0_16reverse_iteratorISI_EEEEENSH_IJSG_SG_SG_EEES9_SI_JZNS1_25segmented_radix_sort_implINS0_14default_configELb1EPKiPiPKlPlN2at6native12_GLOBAL__N_18offset_tEEE10hipError_tPvRmT1_PNSt15iterator_traitsIS12_E10value_typeET2_T3_PNS13_IS18_E10value_typeET4_jRbjT5_S1E_jjP12ihipStream_tbEUljE_ZNSN_ISO_Lb1ESQ_SR_ST_SU_SY_EESZ_S10_S11_S12_S16_S17_S18_S1B_S1C_jS1D_jS1E_S1E_jjS1G_bEUljE0_EEESZ_S10_S11_S18_S1C_S1E_T6_T7_T9_mT8_S1G_bDpT10_ENKUlT_T0_E_clISt17integral_constantIbLb0EES1U_EEDaS1P_S1Q_EUlS1P_E_NS1_11comp_targetILNS1_3genE2ELNS1_11target_archE906ELNS1_3gpuE6ELNS1_3repE0EEENS1_30default_config_static_selectorELNS0_4arch9wavefront6targetE0EEEvS12_.uses_vcc, 0
	.set _ZN7rocprim17ROCPRIM_400000_NS6detail17trampoline_kernelINS0_13select_configILj256ELj13ELNS0_17block_load_methodE3ELS4_3ELS4_3ELNS0_20block_scan_algorithmE0ELj4294967295EEENS1_25partition_config_selectorILNS1_17partition_subalgoE4EjNS0_10empty_typeEbEEZZNS1_14partition_implILS8_4ELb0ES6_15HIP_vector_typeIjLj2EENS0_17counting_iteratorIjlEEPS9_SG_NS0_5tupleIJPjSI_NS0_16reverse_iteratorISI_EEEEENSH_IJSG_SG_SG_EEES9_SI_JZNS1_25segmented_radix_sort_implINS0_14default_configELb1EPKiPiPKlPlN2at6native12_GLOBAL__N_18offset_tEEE10hipError_tPvRmT1_PNSt15iterator_traitsIS12_E10value_typeET2_T3_PNS13_IS18_E10value_typeET4_jRbjT5_S1E_jjP12ihipStream_tbEUljE_ZNSN_ISO_Lb1ESQ_SR_ST_SU_SY_EESZ_S10_S11_S12_S16_S17_S18_S1B_S1C_jS1D_jS1E_S1E_jjS1G_bEUljE0_EEESZ_S10_S11_S18_S1C_S1E_T6_T7_T9_mT8_S1G_bDpT10_ENKUlT_T0_E_clISt17integral_constantIbLb0EES1U_EEDaS1P_S1Q_EUlS1P_E_NS1_11comp_targetILNS1_3genE2ELNS1_11target_archE906ELNS1_3gpuE6ELNS1_3repE0EEENS1_30default_config_static_selectorELNS0_4arch9wavefront6targetE0EEEvS12_.uses_flat_scratch, 0
	.set _ZN7rocprim17ROCPRIM_400000_NS6detail17trampoline_kernelINS0_13select_configILj256ELj13ELNS0_17block_load_methodE3ELS4_3ELS4_3ELNS0_20block_scan_algorithmE0ELj4294967295EEENS1_25partition_config_selectorILNS1_17partition_subalgoE4EjNS0_10empty_typeEbEEZZNS1_14partition_implILS8_4ELb0ES6_15HIP_vector_typeIjLj2EENS0_17counting_iteratorIjlEEPS9_SG_NS0_5tupleIJPjSI_NS0_16reverse_iteratorISI_EEEEENSH_IJSG_SG_SG_EEES9_SI_JZNS1_25segmented_radix_sort_implINS0_14default_configELb1EPKiPiPKlPlN2at6native12_GLOBAL__N_18offset_tEEE10hipError_tPvRmT1_PNSt15iterator_traitsIS12_E10value_typeET2_T3_PNS13_IS18_E10value_typeET4_jRbjT5_S1E_jjP12ihipStream_tbEUljE_ZNSN_ISO_Lb1ESQ_SR_ST_SU_SY_EESZ_S10_S11_S12_S16_S17_S18_S1B_S1C_jS1D_jS1E_S1E_jjS1G_bEUljE0_EEESZ_S10_S11_S18_S1C_S1E_T6_T7_T9_mT8_S1G_bDpT10_ENKUlT_T0_E_clISt17integral_constantIbLb0EES1U_EEDaS1P_S1Q_EUlS1P_E_NS1_11comp_targetILNS1_3genE2ELNS1_11target_archE906ELNS1_3gpuE6ELNS1_3repE0EEENS1_30default_config_static_selectorELNS0_4arch9wavefront6targetE0EEEvS12_.has_dyn_sized_stack, 0
	.set _ZN7rocprim17ROCPRIM_400000_NS6detail17trampoline_kernelINS0_13select_configILj256ELj13ELNS0_17block_load_methodE3ELS4_3ELS4_3ELNS0_20block_scan_algorithmE0ELj4294967295EEENS1_25partition_config_selectorILNS1_17partition_subalgoE4EjNS0_10empty_typeEbEEZZNS1_14partition_implILS8_4ELb0ES6_15HIP_vector_typeIjLj2EENS0_17counting_iteratorIjlEEPS9_SG_NS0_5tupleIJPjSI_NS0_16reverse_iteratorISI_EEEEENSH_IJSG_SG_SG_EEES9_SI_JZNS1_25segmented_radix_sort_implINS0_14default_configELb1EPKiPiPKlPlN2at6native12_GLOBAL__N_18offset_tEEE10hipError_tPvRmT1_PNSt15iterator_traitsIS12_E10value_typeET2_T3_PNS13_IS18_E10value_typeET4_jRbjT5_S1E_jjP12ihipStream_tbEUljE_ZNSN_ISO_Lb1ESQ_SR_ST_SU_SY_EESZ_S10_S11_S12_S16_S17_S18_S1B_S1C_jS1D_jS1E_S1E_jjS1G_bEUljE0_EEESZ_S10_S11_S18_S1C_S1E_T6_T7_T9_mT8_S1G_bDpT10_ENKUlT_T0_E_clISt17integral_constantIbLb0EES1U_EEDaS1P_S1Q_EUlS1P_E_NS1_11comp_targetILNS1_3genE2ELNS1_11target_archE906ELNS1_3gpuE6ELNS1_3repE0EEENS1_30default_config_static_selectorELNS0_4arch9wavefront6targetE0EEEvS12_.has_recursion, 0
	.set _ZN7rocprim17ROCPRIM_400000_NS6detail17trampoline_kernelINS0_13select_configILj256ELj13ELNS0_17block_load_methodE3ELS4_3ELS4_3ELNS0_20block_scan_algorithmE0ELj4294967295EEENS1_25partition_config_selectorILNS1_17partition_subalgoE4EjNS0_10empty_typeEbEEZZNS1_14partition_implILS8_4ELb0ES6_15HIP_vector_typeIjLj2EENS0_17counting_iteratorIjlEEPS9_SG_NS0_5tupleIJPjSI_NS0_16reverse_iteratorISI_EEEEENSH_IJSG_SG_SG_EEES9_SI_JZNS1_25segmented_radix_sort_implINS0_14default_configELb1EPKiPiPKlPlN2at6native12_GLOBAL__N_18offset_tEEE10hipError_tPvRmT1_PNSt15iterator_traitsIS12_E10value_typeET2_T3_PNS13_IS18_E10value_typeET4_jRbjT5_S1E_jjP12ihipStream_tbEUljE_ZNSN_ISO_Lb1ESQ_SR_ST_SU_SY_EESZ_S10_S11_S12_S16_S17_S18_S1B_S1C_jS1D_jS1E_S1E_jjS1G_bEUljE0_EEESZ_S10_S11_S18_S1C_S1E_T6_T7_T9_mT8_S1G_bDpT10_ENKUlT_T0_E_clISt17integral_constantIbLb0EES1U_EEDaS1P_S1Q_EUlS1P_E_NS1_11comp_targetILNS1_3genE2ELNS1_11target_archE906ELNS1_3gpuE6ELNS1_3repE0EEENS1_30default_config_static_selectorELNS0_4arch9wavefront6targetE0EEEvS12_.has_indirect_call, 0
	.section	.AMDGPU.csdata,"",@progbits
; Kernel info:
; codeLenInByte = 0
; TotalNumSgprs: 0
; NumVgprs: 0
; ScratchSize: 0
; MemoryBound: 0
; FloatMode: 240
; IeeeMode: 1
; LDSByteSize: 0 bytes/workgroup (compile time only)
; SGPRBlocks: 0
; VGPRBlocks: 0
; NumSGPRsForWavesPerEU: 1
; NumVGPRsForWavesPerEU: 1
; Occupancy: 16
; WaveLimiterHint : 0
; COMPUTE_PGM_RSRC2:SCRATCH_EN: 0
; COMPUTE_PGM_RSRC2:USER_SGPR: 6
; COMPUTE_PGM_RSRC2:TRAP_HANDLER: 0
; COMPUTE_PGM_RSRC2:TGID_X_EN: 1
; COMPUTE_PGM_RSRC2:TGID_Y_EN: 0
; COMPUTE_PGM_RSRC2:TGID_Z_EN: 0
; COMPUTE_PGM_RSRC2:TIDIG_COMP_CNT: 0
	.section	.text._ZN7rocprim17ROCPRIM_400000_NS6detail17trampoline_kernelINS0_13select_configILj256ELj13ELNS0_17block_load_methodE3ELS4_3ELS4_3ELNS0_20block_scan_algorithmE0ELj4294967295EEENS1_25partition_config_selectorILNS1_17partition_subalgoE4EjNS0_10empty_typeEbEEZZNS1_14partition_implILS8_4ELb0ES6_15HIP_vector_typeIjLj2EENS0_17counting_iteratorIjlEEPS9_SG_NS0_5tupleIJPjSI_NS0_16reverse_iteratorISI_EEEEENSH_IJSG_SG_SG_EEES9_SI_JZNS1_25segmented_radix_sort_implINS0_14default_configELb1EPKiPiPKlPlN2at6native12_GLOBAL__N_18offset_tEEE10hipError_tPvRmT1_PNSt15iterator_traitsIS12_E10value_typeET2_T3_PNS13_IS18_E10value_typeET4_jRbjT5_S1E_jjP12ihipStream_tbEUljE_ZNSN_ISO_Lb1ESQ_SR_ST_SU_SY_EESZ_S10_S11_S12_S16_S17_S18_S1B_S1C_jS1D_jS1E_S1E_jjS1G_bEUljE0_EEESZ_S10_S11_S18_S1C_S1E_T6_T7_T9_mT8_S1G_bDpT10_ENKUlT_T0_E_clISt17integral_constantIbLb0EES1U_EEDaS1P_S1Q_EUlS1P_E_NS1_11comp_targetILNS1_3genE10ELNS1_11target_archE1200ELNS1_3gpuE4ELNS1_3repE0EEENS1_30default_config_static_selectorELNS0_4arch9wavefront6targetE0EEEvS12_,"axG",@progbits,_ZN7rocprim17ROCPRIM_400000_NS6detail17trampoline_kernelINS0_13select_configILj256ELj13ELNS0_17block_load_methodE3ELS4_3ELS4_3ELNS0_20block_scan_algorithmE0ELj4294967295EEENS1_25partition_config_selectorILNS1_17partition_subalgoE4EjNS0_10empty_typeEbEEZZNS1_14partition_implILS8_4ELb0ES6_15HIP_vector_typeIjLj2EENS0_17counting_iteratorIjlEEPS9_SG_NS0_5tupleIJPjSI_NS0_16reverse_iteratorISI_EEEEENSH_IJSG_SG_SG_EEES9_SI_JZNS1_25segmented_radix_sort_implINS0_14default_configELb1EPKiPiPKlPlN2at6native12_GLOBAL__N_18offset_tEEE10hipError_tPvRmT1_PNSt15iterator_traitsIS12_E10value_typeET2_T3_PNS13_IS18_E10value_typeET4_jRbjT5_S1E_jjP12ihipStream_tbEUljE_ZNSN_ISO_Lb1ESQ_SR_ST_SU_SY_EESZ_S10_S11_S12_S16_S17_S18_S1B_S1C_jS1D_jS1E_S1E_jjS1G_bEUljE0_EEESZ_S10_S11_S18_S1C_S1E_T6_T7_T9_mT8_S1G_bDpT10_ENKUlT_T0_E_clISt17integral_constantIbLb0EES1U_EEDaS1P_S1Q_EUlS1P_E_NS1_11comp_targetILNS1_3genE10ELNS1_11target_archE1200ELNS1_3gpuE4ELNS1_3repE0EEENS1_30default_config_static_selectorELNS0_4arch9wavefront6targetE0EEEvS12_,comdat
	.globl	_ZN7rocprim17ROCPRIM_400000_NS6detail17trampoline_kernelINS0_13select_configILj256ELj13ELNS0_17block_load_methodE3ELS4_3ELS4_3ELNS0_20block_scan_algorithmE0ELj4294967295EEENS1_25partition_config_selectorILNS1_17partition_subalgoE4EjNS0_10empty_typeEbEEZZNS1_14partition_implILS8_4ELb0ES6_15HIP_vector_typeIjLj2EENS0_17counting_iteratorIjlEEPS9_SG_NS0_5tupleIJPjSI_NS0_16reverse_iteratorISI_EEEEENSH_IJSG_SG_SG_EEES9_SI_JZNS1_25segmented_radix_sort_implINS0_14default_configELb1EPKiPiPKlPlN2at6native12_GLOBAL__N_18offset_tEEE10hipError_tPvRmT1_PNSt15iterator_traitsIS12_E10value_typeET2_T3_PNS13_IS18_E10value_typeET4_jRbjT5_S1E_jjP12ihipStream_tbEUljE_ZNSN_ISO_Lb1ESQ_SR_ST_SU_SY_EESZ_S10_S11_S12_S16_S17_S18_S1B_S1C_jS1D_jS1E_S1E_jjS1G_bEUljE0_EEESZ_S10_S11_S18_S1C_S1E_T6_T7_T9_mT8_S1G_bDpT10_ENKUlT_T0_E_clISt17integral_constantIbLb0EES1U_EEDaS1P_S1Q_EUlS1P_E_NS1_11comp_targetILNS1_3genE10ELNS1_11target_archE1200ELNS1_3gpuE4ELNS1_3repE0EEENS1_30default_config_static_selectorELNS0_4arch9wavefront6targetE0EEEvS12_ ; -- Begin function _ZN7rocprim17ROCPRIM_400000_NS6detail17trampoline_kernelINS0_13select_configILj256ELj13ELNS0_17block_load_methodE3ELS4_3ELS4_3ELNS0_20block_scan_algorithmE0ELj4294967295EEENS1_25partition_config_selectorILNS1_17partition_subalgoE4EjNS0_10empty_typeEbEEZZNS1_14partition_implILS8_4ELb0ES6_15HIP_vector_typeIjLj2EENS0_17counting_iteratorIjlEEPS9_SG_NS0_5tupleIJPjSI_NS0_16reverse_iteratorISI_EEEEENSH_IJSG_SG_SG_EEES9_SI_JZNS1_25segmented_radix_sort_implINS0_14default_configELb1EPKiPiPKlPlN2at6native12_GLOBAL__N_18offset_tEEE10hipError_tPvRmT1_PNSt15iterator_traitsIS12_E10value_typeET2_T3_PNS13_IS18_E10value_typeET4_jRbjT5_S1E_jjP12ihipStream_tbEUljE_ZNSN_ISO_Lb1ESQ_SR_ST_SU_SY_EESZ_S10_S11_S12_S16_S17_S18_S1B_S1C_jS1D_jS1E_S1E_jjS1G_bEUljE0_EEESZ_S10_S11_S18_S1C_S1E_T6_T7_T9_mT8_S1G_bDpT10_ENKUlT_T0_E_clISt17integral_constantIbLb0EES1U_EEDaS1P_S1Q_EUlS1P_E_NS1_11comp_targetILNS1_3genE10ELNS1_11target_archE1200ELNS1_3gpuE4ELNS1_3repE0EEENS1_30default_config_static_selectorELNS0_4arch9wavefront6targetE0EEEvS12_
	.p2align	8
	.type	_ZN7rocprim17ROCPRIM_400000_NS6detail17trampoline_kernelINS0_13select_configILj256ELj13ELNS0_17block_load_methodE3ELS4_3ELS4_3ELNS0_20block_scan_algorithmE0ELj4294967295EEENS1_25partition_config_selectorILNS1_17partition_subalgoE4EjNS0_10empty_typeEbEEZZNS1_14partition_implILS8_4ELb0ES6_15HIP_vector_typeIjLj2EENS0_17counting_iteratorIjlEEPS9_SG_NS0_5tupleIJPjSI_NS0_16reverse_iteratorISI_EEEEENSH_IJSG_SG_SG_EEES9_SI_JZNS1_25segmented_radix_sort_implINS0_14default_configELb1EPKiPiPKlPlN2at6native12_GLOBAL__N_18offset_tEEE10hipError_tPvRmT1_PNSt15iterator_traitsIS12_E10value_typeET2_T3_PNS13_IS18_E10value_typeET4_jRbjT5_S1E_jjP12ihipStream_tbEUljE_ZNSN_ISO_Lb1ESQ_SR_ST_SU_SY_EESZ_S10_S11_S12_S16_S17_S18_S1B_S1C_jS1D_jS1E_S1E_jjS1G_bEUljE0_EEESZ_S10_S11_S18_S1C_S1E_T6_T7_T9_mT8_S1G_bDpT10_ENKUlT_T0_E_clISt17integral_constantIbLb0EES1U_EEDaS1P_S1Q_EUlS1P_E_NS1_11comp_targetILNS1_3genE10ELNS1_11target_archE1200ELNS1_3gpuE4ELNS1_3repE0EEENS1_30default_config_static_selectorELNS0_4arch9wavefront6targetE0EEEvS12_,@function
_ZN7rocprim17ROCPRIM_400000_NS6detail17trampoline_kernelINS0_13select_configILj256ELj13ELNS0_17block_load_methodE3ELS4_3ELS4_3ELNS0_20block_scan_algorithmE0ELj4294967295EEENS1_25partition_config_selectorILNS1_17partition_subalgoE4EjNS0_10empty_typeEbEEZZNS1_14partition_implILS8_4ELb0ES6_15HIP_vector_typeIjLj2EENS0_17counting_iteratorIjlEEPS9_SG_NS0_5tupleIJPjSI_NS0_16reverse_iteratorISI_EEEEENSH_IJSG_SG_SG_EEES9_SI_JZNS1_25segmented_radix_sort_implINS0_14default_configELb1EPKiPiPKlPlN2at6native12_GLOBAL__N_18offset_tEEE10hipError_tPvRmT1_PNSt15iterator_traitsIS12_E10value_typeET2_T3_PNS13_IS18_E10value_typeET4_jRbjT5_S1E_jjP12ihipStream_tbEUljE_ZNSN_ISO_Lb1ESQ_SR_ST_SU_SY_EESZ_S10_S11_S12_S16_S17_S18_S1B_S1C_jS1D_jS1E_S1E_jjS1G_bEUljE0_EEESZ_S10_S11_S18_S1C_S1E_T6_T7_T9_mT8_S1G_bDpT10_ENKUlT_T0_E_clISt17integral_constantIbLb0EES1U_EEDaS1P_S1Q_EUlS1P_E_NS1_11comp_targetILNS1_3genE10ELNS1_11target_archE1200ELNS1_3gpuE4ELNS1_3repE0EEENS1_30default_config_static_selectorELNS0_4arch9wavefront6targetE0EEEvS12_: ; @_ZN7rocprim17ROCPRIM_400000_NS6detail17trampoline_kernelINS0_13select_configILj256ELj13ELNS0_17block_load_methodE3ELS4_3ELS4_3ELNS0_20block_scan_algorithmE0ELj4294967295EEENS1_25partition_config_selectorILNS1_17partition_subalgoE4EjNS0_10empty_typeEbEEZZNS1_14partition_implILS8_4ELb0ES6_15HIP_vector_typeIjLj2EENS0_17counting_iteratorIjlEEPS9_SG_NS0_5tupleIJPjSI_NS0_16reverse_iteratorISI_EEEEENSH_IJSG_SG_SG_EEES9_SI_JZNS1_25segmented_radix_sort_implINS0_14default_configELb1EPKiPiPKlPlN2at6native12_GLOBAL__N_18offset_tEEE10hipError_tPvRmT1_PNSt15iterator_traitsIS12_E10value_typeET2_T3_PNS13_IS18_E10value_typeET4_jRbjT5_S1E_jjP12ihipStream_tbEUljE_ZNSN_ISO_Lb1ESQ_SR_ST_SU_SY_EESZ_S10_S11_S12_S16_S17_S18_S1B_S1C_jS1D_jS1E_S1E_jjS1G_bEUljE0_EEESZ_S10_S11_S18_S1C_S1E_T6_T7_T9_mT8_S1G_bDpT10_ENKUlT_T0_E_clISt17integral_constantIbLb0EES1U_EEDaS1P_S1Q_EUlS1P_E_NS1_11comp_targetILNS1_3genE10ELNS1_11target_archE1200ELNS1_3gpuE4ELNS1_3repE0EEENS1_30default_config_static_selectorELNS0_4arch9wavefront6targetE0EEEvS12_
; %bb.0:
	.section	.rodata,"a",@progbits
	.p2align	6, 0x0
	.amdhsa_kernel _ZN7rocprim17ROCPRIM_400000_NS6detail17trampoline_kernelINS0_13select_configILj256ELj13ELNS0_17block_load_methodE3ELS4_3ELS4_3ELNS0_20block_scan_algorithmE0ELj4294967295EEENS1_25partition_config_selectorILNS1_17partition_subalgoE4EjNS0_10empty_typeEbEEZZNS1_14partition_implILS8_4ELb0ES6_15HIP_vector_typeIjLj2EENS0_17counting_iteratorIjlEEPS9_SG_NS0_5tupleIJPjSI_NS0_16reverse_iteratorISI_EEEEENSH_IJSG_SG_SG_EEES9_SI_JZNS1_25segmented_radix_sort_implINS0_14default_configELb1EPKiPiPKlPlN2at6native12_GLOBAL__N_18offset_tEEE10hipError_tPvRmT1_PNSt15iterator_traitsIS12_E10value_typeET2_T3_PNS13_IS18_E10value_typeET4_jRbjT5_S1E_jjP12ihipStream_tbEUljE_ZNSN_ISO_Lb1ESQ_SR_ST_SU_SY_EESZ_S10_S11_S12_S16_S17_S18_S1B_S1C_jS1D_jS1E_S1E_jjS1G_bEUljE0_EEESZ_S10_S11_S18_S1C_S1E_T6_T7_T9_mT8_S1G_bDpT10_ENKUlT_T0_E_clISt17integral_constantIbLb0EES1U_EEDaS1P_S1Q_EUlS1P_E_NS1_11comp_targetILNS1_3genE10ELNS1_11target_archE1200ELNS1_3gpuE4ELNS1_3repE0EEENS1_30default_config_static_selectorELNS0_4arch9wavefront6targetE0EEEvS12_
		.amdhsa_group_segment_fixed_size 0
		.amdhsa_private_segment_fixed_size 0
		.amdhsa_kernarg_size 176
		.amdhsa_user_sgpr_count 6
		.amdhsa_user_sgpr_private_segment_buffer 1
		.amdhsa_user_sgpr_dispatch_ptr 0
		.amdhsa_user_sgpr_queue_ptr 0
		.amdhsa_user_sgpr_kernarg_segment_ptr 1
		.amdhsa_user_sgpr_dispatch_id 0
		.amdhsa_user_sgpr_flat_scratch_init 0
		.amdhsa_user_sgpr_private_segment_size 0
		.amdhsa_wavefront_size32 1
		.amdhsa_uses_dynamic_stack 0
		.amdhsa_system_sgpr_private_segment_wavefront_offset 0
		.amdhsa_system_sgpr_workgroup_id_x 1
		.amdhsa_system_sgpr_workgroup_id_y 0
		.amdhsa_system_sgpr_workgroup_id_z 0
		.amdhsa_system_sgpr_workgroup_info 0
		.amdhsa_system_vgpr_workitem_id 0
		.amdhsa_next_free_vgpr 1
		.amdhsa_next_free_sgpr 1
		.amdhsa_reserve_vcc 0
		.amdhsa_reserve_flat_scratch 0
		.amdhsa_float_round_mode_32 0
		.amdhsa_float_round_mode_16_64 0
		.amdhsa_float_denorm_mode_32 3
		.amdhsa_float_denorm_mode_16_64 3
		.amdhsa_dx10_clamp 1
		.amdhsa_ieee_mode 1
		.amdhsa_fp16_overflow 0
		.amdhsa_workgroup_processor_mode 1
		.amdhsa_memory_ordered 1
		.amdhsa_forward_progress 1
		.amdhsa_shared_vgpr_count 0
		.amdhsa_exception_fp_ieee_invalid_op 0
		.amdhsa_exception_fp_denorm_src 0
		.amdhsa_exception_fp_ieee_div_zero 0
		.amdhsa_exception_fp_ieee_overflow 0
		.amdhsa_exception_fp_ieee_underflow 0
		.amdhsa_exception_fp_ieee_inexact 0
		.amdhsa_exception_int_div_zero 0
	.end_amdhsa_kernel
	.section	.text._ZN7rocprim17ROCPRIM_400000_NS6detail17trampoline_kernelINS0_13select_configILj256ELj13ELNS0_17block_load_methodE3ELS4_3ELS4_3ELNS0_20block_scan_algorithmE0ELj4294967295EEENS1_25partition_config_selectorILNS1_17partition_subalgoE4EjNS0_10empty_typeEbEEZZNS1_14partition_implILS8_4ELb0ES6_15HIP_vector_typeIjLj2EENS0_17counting_iteratorIjlEEPS9_SG_NS0_5tupleIJPjSI_NS0_16reverse_iteratorISI_EEEEENSH_IJSG_SG_SG_EEES9_SI_JZNS1_25segmented_radix_sort_implINS0_14default_configELb1EPKiPiPKlPlN2at6native12_GLOBAL__N_18offset_tEEE10hipError_tPvRmT1_PNSt15iterator_traitsIS12_E10value_typeET2_T3_PNS13_IS18_E10value_typeET4_jRbjT5_S1E_jjP12ihipStream_tbEUljE_ZNSN_ISO_Lb1ESQ_SR_ST_SU_SY_EESZ_S10_S11_S12_S16_S17_S18_S1B_S1C_jS1D_jS1E_S1E_jjS1G_bEUljE0_EEESZ_S10_S11_S18_S1C_S1E_T6_T7_T9_mT8_S1G_bDpT10_ENKUlT_T0_E_clISt17integral_constantIbLb0EES1U_EEDaS1P_S1Q_EUlS1P_E_NS1_11comp_targetILNS1_3genE10ELNS1_11target_archE1200ELNS1_3gpuE4ELNS1_3repE0EEENS1_30default_config_static_selectorELNS0_4arch9wavefront6targetE0EEEvS12_,"axG",@progbits,_ZN7rocprim17ROCPRIM_400000_NS6detail17trampoline_kernelINS0_13select_configILj256ELj13ELNS0_17block_load_methodE3ELS4_3ELS4_3ELNS0_20block_scan_algorithmE0ELj4294967295EEENS1_25partition_config_selectorILNS1_17partition_subalgoE4EjNS0_10empty_typeEbEEZZNS1_14partition_implILS8_4ELb0ES6_15HIP_vector_typeIjLj2EENS0_17counting_iteratorIjlEEPS9_SG_NS0_5tupleIJPjSI_NS0_16reverse_iteratorISI_EEEEENSH_IJSG_SG_SG_EEES9_SI_JZNS1_25segmented_radix_sort_implINS0_14default_configELb1EPKiPiPKlPlN2at6native12_GLOBAL__N_18offset_tEEE10hipError_tPvRmT1_PNSt15iterator_traitsIS12_E10value_typeET2_T3_PNS13_IS18_E10value_typeET4_jRbjT5_S1E_jjP12ihipStream_tbEUljE_ZNSN_ISO_Lb1ESQ_SR_ST_SU_SY_EESZ_S10_S11_S12_S16_S17_S18_S1B_S1C_jS1D_jS1E_S1E_jjS1G_bEUljE0_EEESZ_S10_S11_S18_S1C_S1E_T6_T7_T9_mT8_S1G_bDpT10_ENKUlT_T0_E_clISt17integral_constantIbLb0EES1U_EEDaS1P_S1Q_EUlS1P_E_NS1_11comp_targetILNS1_3genE10ELNS1_11target_archE1200ELNS1_3gpuE4ELNS1_3repE0EEENS1_30default_config_static_selectorELNS0_4arch9wavefront6targetE0EEEvS12_,comdat
.Lfunc_end434:
	.size	_ZN7rocprim17ROCPRIM_400000_NS6detail17trampoline_kernelINS0_13select_configILj256ELj13ELNS0_17block_load_methodE3ELS4_3ELS4_3ELNS0_20block_scan_algorithmE0ELj4294967295EEENS1_25partition_config_selectorILNS1_17partition_subalgoE4EjNS0_10empty_typeEbEEZZNS1_14partition_implILS8_4ELb0ES6_15HIP_vector_typeIjLj2EENS0_17counting_iteratorIjlEEPS9_SG_NS0_5tupleIJPjSI_NS0_16reverse_iteratorISI_EEEEENSH_IJSG_SG_SG_EEES9_SI_JZNS1_25segmented_radix_sort_implINS0_14default_configELb1EPKiPiPKlPlN2at6native12_GLOBAL__N_18offset_tEEE10hipError_tPvRmT1_PNSt15iterator_traitsIS12_E10value_typeET2_T3_PNS13_IS18_E10value_typeET4_jRbjT5_S1E_jjP12ihipStream_tbEUljE_ZNSN_ISO_Lb1ESQ_SR_ST_SU_SY_EESZ_S10_S11_S12_S16_S17_S18_S1B_S1C_jS1D_jS1E_S1E_jjS1G_bEUljE0_EEESZ_S10_S11_S18_S1C_S1E_T6_T7_T9_mT8_S1G_bDpT10_ENKUlT_T0_E_clISt17integral_constantIbLb0EES1U_EEDaS1P_S1Q_EUlS1P_E_NS1_11comp_targetILNS1_3genE10ELNS1_11target_archE1200ELNS1_3gpuE4ELNS1_3repE0EEENS1_30default_config_static_selectorELNS0_4arch9wavefront6targetE0EEEvS12_, .Lfunc_end434-_ZN7rocprim17ROCPRIM_400000_NS6detail17trampoline_kernelINS0_13select_configILj256ELj13ELNS0_17block_load_methodE3ELS4_3ELS4_3ELNS0_20block_scan_algorithmE0ELj4294967295EEENS1_25partition_config_selectorILNS1_17partition_subalgoE4EjNS0_10empty_typeEbEEZZNS1_14partition_implILS8_4ELb0ES6_15HIP_vector_typeIjLj2EENS0_17counting_iteratorIjlEEPS9_SG_NS0_5tupleIJPjSI_NS0_16reverse_iteratorISI_EEEEENSH_IJSG_SG_SG_EEES9_SI_JZNS1_25segmented_radix_sort_implINS0_14default_configELb1EPKiPiPKlPlN2at6native12_GLOBAL__N_18offset_tEEE10hipError_tPvRmT1_PNSt15iterator_traitsIS12_E10value_typeET2_T3_PNS13_IS18_E10value_typeET4_jRbjT5_S1E_jjP12ihipStream_tbEUljE_ZNSN_ISO_Lb1ESQ_SR_ST_SU_SY_EESZ_S10_S11_S12_S16_S17_S18_S1B_S1C_jS1D_jS1E_S1E_jjS1G_bEUljE0_EEESZ_S10_S11_S18_S1C_S1E_T6_T7_T9_mT8_S1G_bDpT10_ENKUlT_T0_E_clISt17integral_constantIbLb0EES1U_EEDaS1P_S1Q_EUlS1P_E_NS1_11comp_targetILNS1_3genE10ELNS1_11target_archE1200ELNS1_3gpuE4ELNS1_3repE0EEENS1_30default_config_static_selectorELNS0_4arch9wavefront6targetE0EEEvS12_
                                        ; -- End function
	.set _ZN7rocprim17ROCPRIM_400000_NS6detail17trampoline_kernelINS0_13select_configILj256ELj13ELNS0_17block_load_methodE3ELS4_3ELS4_3ELNS0_20block_scan_algorithmE0ELj4294967295EEENS1_25partition_config_selectorILNS1_17partition_subalgoE4EjNS0_10empty_typeEbEEZZNS1_14partition_implILS8_4ELb0ES6_15HIP_vector_typeIjLj2EENS0_17counting_iteratorIjlEEPS9_SG_NS0_5tupleIJPjSI_NS0_16reverse_iteratorISI_EEEEENSH_IJSG_SG_SG_EEES9_SI_JZNS1_25segmented_radix_sort_implINS0_14default_configELb1EPKiPiPKlPlN2at6native12_GLOBAL__N_18offset_tEEE10hipError_tPvRmT1_PNSt15iterator_traitsIS12_E10value_typeET2_T3_PNS13_IS18_E10value_typeET4_jRbjT5_S1E_jjP12ihipStream_tbEUljE_ZNSN_ISO_Lb1ESQ_SR_ST_SU_SY_EESZ_S10_S11_S12_S16_S17_S18_S1B_S1C_jS1D_jS1E_S1E_jjS1G_bEUljE0_EEESZ_S10_S11_S18_S1C_S1E_T6_T7_T9_mT8_S1G_bDpT10_ENKUlT_T0_E_clISt17integral_constantIbLb0EES1U_EEDaS1P_S1Q_EUlS1P_E_NS1_11comp_targetILNS1_3genE10ELNS1_11target_archE1200ELNS1_3gpuE4ELNS1_3repE0EEENS1_30default_config_static_selectorELNS0_4arch9wavefront6targetE0EEEvS12_.num_vgpr, 0
	.set _ZN7rocprim17ROCPRIM_400000_NS6detail17trampoline_kernelINS0_13select_configILj256ELj13ELNS0_17block_load_methodE3ELS4_3ELS4_3ELNS0_20block_scan_algorithmE0ELj4294967295EEENS1_25partition_config_selectorILNS1_17partition_subalgoE4EjNS0_10empty_typeEbEEZZNS1_14partition_implILS8_4ELb0ES6_15HIP_vector_typeIjLj2EENS0_17counting_iteratorIjlEEPS9_SG_NS0_5tupleIJPjSI_NS0_16reverse_iteratorISI_EEEEENSH_IJSG_SG_SG_EEES9_SI_JZNS1_25segmented_radix_sort_implINS0_14default_configELb1EPKiPiPKlPlN2at6native12_GLOBAL__N_18offset_tEEE10hipError_tPvRmT1_PNSt15iterator_traitsIS12_E10value_typeET2_T3_PNS13_IS18_E10value_typeET4_jRbjT5_S1E_jjP12ihipStream_tbEUljE_ZNSN_ISO_Lb1ESQ_SR_ST_SU_SY_EESZ_S10_S11_S12_S16_S17_S18_S1B_S1C_jS1D_jS1E_S1E_jjS1G_bEUljE0_EEESZ_S10_S11_S18_S1C_S1E_T6_T7_T9_mT8_S1G_bDpT10_ENKUlT_T0_E_clISt17integral_constantIbLb0EES1U_EEDaS1P_S1Q_EUlS1P_E_NS1_11comp_targetILNS1_3genE10ELNS1_11target_archE1200ELNS1_3gpuE4ELNS1_3repE0EEENS1_30default_config_static_selectorELNS0_4arch9wavefront6targetE0EEEvS12_.num_agpr, 0
	.set _ZN7rocprim17ROCPRIM_400000_NS6detail17trampoline_kernelINS0_13select_configILj256ELj13ELNS0_17block_load_methodE3ELS4_3ELS4_3ELNS0_20block_scan_algorithmE0ELj4294967295EEENS1_25partition_config_selectorILNS1_17partition_subalgoE4EjNS0_10empty_typeEbEEZZNS1_14partition_implILS8_4ELb0ES6_15HIP_vector_typeIjLj2EENS0_17counting_iteratorIjlEEPS9_SG_NS0_5tupleIJPjSI_NS0_16reverse_iteratorISI_EEEEENSH_IJSG_SG_SG_EEES9_SI_JZNS1_25segmented_radix_sort_implINS0_14default_configELb1EPKiPiPKlPlN2at6native12_GLOBAL__N_18offset_tEEE10hipError_tPvRmT1_PNSt15iterator_traitsIS12_E10value_typeET2_T3_PNS13_IS18_E10value_typeET4_jRbjT5_S1E_jjP12ihipStream_tbEUljE_ZNSN_ISO_Lb1ESQ_SR_ST_SU_SY_EESZ_S10_S11_S12_S16_S17_S18_S1B_S1C_jS1D_jS1E_S1E_jjS1G_bEUljE0_EEESZ_S10_S11_S18_S1C_S1E_T6_T7_T9_mT8_S1G_bDpT10_ENKUlT_T0_E_clISt17integral_constantIbLb0EES1U_EEDaS1P_S1Q_EUlS1P_E_NS1_11comp_targetILNS1_3genE10ELNS1_11target_archE1200ELNS1_3gpuE4ELNS1_3repE0EEENS1_30default_config_static_selectorELNS0_4arch9wavefront6targetE0EEEvS12_.numbered_sgpr, 0
	.set _ZN7rocprim17ROCPRIM_400000_NS6detail17trampoline_kernelINS0_13select_configILj256ELj13ELNS0_17block_load_methodE3ELS4_3ELS4_3ELNS0_20block_scan_algorithmE0ELj4294967295EEENS1_25partition_config_selectorILNS1_17partition_subalgoE4EjNS0_10empty_typeEbEEZZNS1_14partition_implILS8_4ELb0ES6_15HIP_vector_typeIjLj2EENS0_17counting_iteratorIjlEEPS9_SG_NS0_5tupleIJPjSI_NS0_16reverse_iteratorISI_EEEEENSH_IJSG_SG_SG_EEES9_SI_JZNS1_25segmented_radix_sort_implINS0_14default_configELb1EPKiPiPKlPlN2at6native12_GLOBAL__N_18offset_tEEE10hipError_tPvRmT1_PNSt15iterator_traitsIS12_E10value_typeET2_T3_PNS13_IS18_E10value_typeET4_jRbjT5_S1E_jjP12ihipStream_tbEUljE_ZNSN_ISO_Lb1ESQ_SR_ST_SU_SY_EESZ_S10_S11_S12_S16_S17_S18_S1B_S1C_jS1D_jS1E_S1E_jjS1G_bEUljE0_EEESZ_S10_S11_S18_S1C_S1E_T6_T7_T9_mT8_S1G_bDpT10_ENKUlT_T0_E_clISt17integral_constantIbLb0EES1U_EEDaS1P_S1Q_EUlS1P_E_NS1_11comp_targetILNS1_3genE10ELNS1_11target_archE1200ELNS1_3gpuE4ELNS1_3repE0EEENS1_30default_config_static_selectorELNS0_4arch9wavefront6targetE0EEEvS12_.num_named_barrier, 0
	.set _ZN7rocprim17ROCPRIM_400000_NS6detail17trampoline_kernelINS0_13select_configILj256ELj13ELNS0_17block_load_methodE3ELS4_3ELS4_3ELNS0_20block_scan_algorithmE0ELj4294967295EEENS1_25partition_config_selectorILNS1_17partition_subalgoE4EjNS0_10empty_typeEbEEZZNS1_14partition_implILS8_4ELb0ES6_15HIP_vector_typeIjLj2EENS0_17counting_iteratorIjlEEPS9_SG_NS0_5tupleIJPjSI_NS0_16reverse_iteratorISI_EEEEENSH_IJSG_SG_SG_EEES9_SI_JZNS1_25segmented_radix_sort_implINS0_14default_configELb1EPKiPiPKlPlN2at6native12_GLOBAL__N_18offset_tEEE10hipError_tPvRmT1_PNSt15iterator_traitsIS12_E10value_typeET2_T3_PNS13_IS18_E10value_typeET4_jRbjT5_S1E_jjP12ihipStream_tbEUljE_ZNSN_ISO_Lb1ESQ_SR_ST_SU_SY_EESZ_S10_S11_S12_S16_S17_S18_S1B_S1C_jS1D_jS1E_S1E_jjS1G_bEUljE0_EEESZ_S10_S11_S18_S1C_S1E_T6_T7_T9_mT8_S1G_bDpT10_ENKUlT_T0_E_clISt17integral_constantIbLb0EES1U_EEDaS1P_S1Q_EUlS1P_E_NS1_11comp_targetILNS1_3genE10ELNS1_11target_archE1200ELNS1_3gpuE4ELNS1_3repE0EEENS1_30default_config_static_selectorELNS0_4arch9wavefront6targetE0EEEvS12_.private_seg_size, 0
	.set _ZN7rocprim17ROCPRIM_400000_NS6detail17trampoline_kernelINS0_13select_configILj256ELj13ELNS0_17block_load_methodE3ELS4_3ELS4_3ELNS0_20block_scan_algorithmE0ELj4294967295EEENS1_25partition_config_selectorILNS1_17partition_subalgoE4EjNS0_10empty_typeEbEEZZNS1_14partition_implILS8_4ELb0ES6_15HIP_vector_typeIjLj2EENS0_17counting_iteratorIjlEEPS9_SG_NS0_5tupleIJPjSI_NS0_16reverse_iteratorISI_EEEEENSH_IJSG_SG_SG_EEES9_SI_JZNS1_25segmented_radix_sort_implINS0_14default_configELb1EPKiPiPKlPlN2at6native12_GLOBAL__N_18offset_tEEE10hipError_tPvRmT1_PNSt15iterator_traitsIS12_E10value_typeET2_T3_PNS13_IS18_E10value_typeET4_jRbjT5_S1E_jjP12ihipStream_tbEUljE_ZNSN_ISO_Lb1ESQ_SR_ST_SU_SY_EESZ_S10_S11_S12_S16_S17_S18_S1B_S1C_jS1D_jS1E_S1E_jjS1G_bEUljE0_EEESZ_S10_S11_S18_S1C_S1E_T6_T7_T9_mT8_S1G_bDpT10_ENKUlT_T0_E_clISt17integral_constantIbLb0EES1U_EEDaS1P_S1Q_EUlS1P_E_NS1_11comp_targetILNS1_3genE10ELNS1_11target_archE1200ELNS1_3gpuE4ELNS1_3repE0EEENS1_30default_config_static_selectorELNS0_4arch9wavefront6targetE0EEEvS12_.uses_vcc, 0
	.set _ZN7rocprim17ROCPRIM_400000_NS6detail17trampoline_kernelINS0_13select_configILj256ELj13ELNS0_17block_load_methodE3ELS4_3ELS4_3ELNS0_20block_scan_algorithmE0ELj4294967295EEENS1_25partition_config_selectorILNS1_17partition_subalgoE4EjNS0_10empty_typeEbEEZZNS1_14partition_implILS8_4ELb0ES6_15HIP_vector_typeIjLj2EENS0_17counting_iteratorIjlEEPS9_SG_NS0_5tupleIJPjSI_NS0_16reverse_iteratorISI_EEEEENSH_IJSG_SG_SG_EEES9_SI_JZNS1_25segmented_radix_sort_implINS0_14default_configELb1EPKiPiPKlPlN2at6native12_GLOBAL__N_18offset_tEEE10hipError_tPvRmT1_PNSt15iterator_traitsIS12_E10value_typeET2_T3_PNS13_IS18_E10value_typeET4_jRbjT5_S1E_jjP12ihipStream_tbEUljE_ZNSN_ISO_Lb1ESQ_SR_ST_SU_SY_EESZ_S10_S11_S12_S16_S17_S18_S1B_S1C_jS1D_jS1E_S1E_jjS1G_bEUljE0_EEESZ_S10_S11_S18_S1C_S1E_T6_T7_T9_mT8_S1G_bDpT10_ENKUlT_T0_E_clISt17integral_constantIbLb0EES1U_EEDaS1P_S1Q_EUlS1P_E_NS1_11comp_targetILNS1_3genE10ELNS1_11target_archE1200ELNS1_3gpuE4ELNS1_3repE0EEENS1_30default_config_static_selectorELNS0_4arch9wavefront6targetE0EEEvS12_.uses_flat_scratch, 0
	.set _ZN7rocprim17ROCPRIM_400000_NS6detail17trampoline_kernelINS0_13select_configILj256ELj13ELNS0_17block_load_methodE3ELS4_3ELS4_3ELNS0_20block_scan_algorithmE0ELj4294967295EEENS1_25partition_config_selectorILNS1_17partition_subalgoE4EjNS0_10empty_typeEbEEZZNS1_14partition_implILS8_4ELb0ES6_15HIP_vector_typeIjLj2EENS0_17counting_iteratorIjlEEPS9_SG_NS0_5tupleIJPjSI_NS0_16reverse_iteratorISI_EEEEENSH_IJSG_SG_SG_EEES9_SI_JZNS1_25segmented_radix_sort_implINS0_14default_configELb1EPKiPiPKlPlN2at6native12_GLOBAL__N_18offset_tEEE10hipError_tPvRmT1_PNSt15iterator_traitsIS12_E10value_typeET2_T3_PNS13_IS18_E10value_typeET4_jRbjT5_S1E_jjP12ihipStream_tbEUljE_ZNSN_ISO_Lb1ESQ_SR_ST_SU_SY_EESZ_S10_S11_S12_S16_S17_S18_S1B_S1C_jS1D_jS1E_S1E_jjS1G_bEUljE0_EEESZ_S10_S11_S18_S1C_S1E_T6_T7_T9_mT8_S1G_bDpT10_ENKUlT_T0_E_clISt17integral_constantIbLb0EES1U_EEDaS1P_S1Q_EUlS1P_E_NS1_11comp_targetILNS1_3genE10ELNS1_11target_archE1200ELNS1_3gpuE4ELNS1_3repE0EEENS1_30default_config_static_selectorELNS0_4arch9wavefront6targetE0EEEvS12_.has_dyn_sized_stack, 0
	.set _ZN7rocprim17ROCPRIM_400000_NS6detail17trampoline_kernelINS0_13select_configILj256ELj13ELNS0_17block_load_methodE3ELS4_3ELS4_3ELNS0_20block_scan_algorithmE0ELj4294967295EEENS1_25partition_config_selectorILNS1_17partition_subalgoE4EjNS0_10empty_typeEbEEZZNS1_14partition_implILS8_4ELb0ES6_15HIP_vector_typeIjLj2EENS0_17counting_iteratorIjlEEPS9_SG_NS0_5tupleIJPjSI_NS0_16reverse_iteratorISI_EEEEENSH_IJSG_SG_SG_EEES9_SI_JZNS1_25segmented_radix_sort_implINS0_14default_configELb1EPKiPiPKlPlN2at6native12_GLOBAL__N_18offset_tEEE10hipError_tPvRmT1_PNSt15iterator_traitsIS12_E10value_typeET2_T3_PNS13_IS18_E10value_typeET4_jRbjT5_S1E_jjP12ihipStream_tbEUljE_ZNSN_ISO_Lb1ESQ_SR_ST_SU_SY_EESZ_S10_S11_S12_S16_S17_S18_S1B_S1C_jS1D_jS1E_S1E_jjS1G_bEUljE0_EEESZ_S10_S11_S18_S1C_S1E_T6_T7_T9_mT8_S1G_bDpT10_ENKUlT_T0_E_clISt17integral_constantIbLb0EES1U_EEDaS1P_S1Q_EUlS1P_E_NS1_11comp_targetILNS1_3genE10ELNS1_11target_archE1200ELNS1_3gpuE4ELNS1_3repE0EEENS1_30default_config_static_selectorELNS0_4arch9wavefront6targetE0EEEvS12_.has_recursion, 0
	.set _ZN7rocprim17ROCPRIM_400000_NS6detail17trampoline_kernelINS0_13select_configILj256ELj13ELNS0_17block_load_methodE3ELS4_3ELS4_3ELNS0_20block_scan_algorithmE0ELj4294967295EEENS1_25partition_config_selectorILNS1_17partition_subalgoE4EjNS0_10empty_typeEbEEZZNS1_14partition_implILS8_4ELb0ES6_15HIP_vector_typeIjLj2EENS0_17counting_iteratorIjlEEPS9_SG_NS0_5tupleIJPjSI_NS0_16reverse_iteratorISI_EEEEENSH_IJSG_SG_SG_EEES9_SI_JZNS1_25segmented_radix_sort_implINS0_14default_configELb1EPKiPiPKlPlN2at6native12_GLOBAL__N_18offset_tEEE10hipError_tPvRmT1_PNSt15iterator_traitsIS12_E10value_typeET2_T3_PNS13_IS18_E10value_typeET4_jRbjT5_S1E_jjP12ihipStream_tbEUljE_ZNSN_ISO_Lb1ESQ_SR_ST_SU_SY_EESZ_S10_S11_S12_S16_S17_S18_S1B_S1C_jS1D_jS1E_S1E_jjS1G_bEUljE0_EEESZ_S10_S11_S18_S1C_S1E_T6_T7_T9_mT8_S1G_bDpT10_ENKUlT_T0_E_clISt17integral_constantIbLb0EES1U_EEDaS1P_S1Q_EUlS1P_E_NS1_11comp_targetILNS1_3genE10ELNS1_11target_archE1200ELNS1_3gpuE4ELNS1_3repE0EEENS1_30default_config_static_selectorELNS0_4arch9wavefront6targetE0EEEvS12_.has_indirect_call, 0
	.section	.AMDGPU.csdata,"",@progbits
; Kernel info:
; codeLenInByte = 0
; TotalNumSgprs: 0
; NumVgprs: 0
; ScratchSize: 0
; MemoryBound: 0
; FloatMode: 240
; IeeeMode: 1
; LDSByteSize: 0 bytes/workgroup (compile time only)
; SGPRBlocks: 0
; VGPRBlocks: 0
; NumSGPRsForWavesPerEU: 1
; NumVGPRsForWavesPerEU: 1
; Occupancy: 16
; WaveLimiterHint : 0
; COMPUTE_PGM_RSRC2:SCRATCH_EN: 0
; COMPUTE_PGM_RSRC2:USER_SGPR: 6
; COMPUTE_PGM_RSRC2:TRAP_HANDLER: 0
; COMPUTE_PGM_RSRC2:TGID_X_EN: 1
; COMPUTE_PGM_RSRC2:TGID_Y_EN: 0
; COMPUTE_PGM_RSRC2:TGID_Z_EN: 0
; COMPUTE_PGM_RSRC2:TIDIG_COMP_CNT: 0
	.section	.text._ZN7rocprim17ROCPRIM_400000_NS6detail17trampoline_kernelINS0_13select_configILj256ELj13ELNS0_17block_load_methodE3ELS4_3ELS4_3ELNS0_20block_scan_algorithmE0ELj4294967295EEENS1_25partition_config_selectorILNS1_17partition_subalgoE4EjNS0_10empty_typeEbEEZZNS1_14partition_implILS8_4ELb0ES6_15HIP_vector_typeIjLj2EENS0_17counting_iteratorIjlEEPS9_SG_NS0_5tupleIJPjSI_NS0_16reverse_iteratorISI_EEEEENSH_IJSG_SG_SG_EEES9_SI_JZNS1_25segmented_radix_sort_implINS0_14default_configELb1EPKiPiPKlPlN2at6native12_GLOBAL__N_18offset_tEEE10hipError_tPvRmT1_PNSt15iterator_traitsIS12_E10value_typeET2_T3_PNS13_IS18_E10value_typeET4_jRbjT5_S1E_jjP12ihipStream_tbEUljE_ZNSN_ISO_Lb1ESQ_SR_ST_SU_SY_EESZ_S10_S11_S12_S16_S17_S18_S1B_S1C_jS1D_jS1E_S1E_jjS1G_bEUljE0_EEESZ_S10_S11_S18_S1C_S1E_T6_T7_T9_mT8_S1G_bDpT10_ENKUlT_T0_E_clISt17integral_constantIbLb0EES1U_EEDaS1P_S1Q_EUlS1P_E_NS1_11comp_targetILNS1_3genE9ELNS1_11target_archE1100ELNS1_3gpuE3ELNS1_3repE0EEENS1_30default_config_static_selectorELNS0_4arch9wavefront6targetE0EEEvS12_,"axG",@progbits,_ZN7rocprim17ROCPRIM_400000_NS6detail17trampoline_kernelINS0_13select_configILj256ELj13ELNS0_17block_load_methodE3ELS4_3ELS4_3ELNS0_20block_scan_algorithmE0ELj4294967295EEENS1_25partition_config_selectorILNS1_17partition_subalgoE4EjNS0_10empty_typeEbEEZZNS1_14partition_implILS8_4ELb0ES6_15HIP_vector_typeIjLj2EENS0_17counting_iteratorIjlEEPS9_SG_NS0_5tupleIJPjSI_NS0_16reverse_iteratorISI_EEEEENSH_IJSG_SG_SG_EEES9_SI_JZNS1_25segmented_radix_sort_implINS0_14default_configELb1EPKiPiPKlPlN2at6native12_GLOBAL__N_18offset_tEEE10hipError_tPvRmT1_PNSt15iterator_traitsIS12_E10value_typeET2_T3_PNS13_IS18_E10value_typeET4_jRbjT5_S1E_jjP12ihipStream_tbEUljE_ZNSN_ISO_Lb1ESQ_SR_ST_SU_SY_EESZ_S10_S11_S12_S16_S17_S18_S1B_S1C_jS1D_jS1E_S1E_jjS1G_bEUljE0_EEESZ_S10_S11_S18_S1C_S1E_T6_T7_T9_mT8_S1G_bDpT10_ENKUlT_T0_E_clISt17integral_constantIbLb0EES1U_EEDaS1P_S1Q_EUlS1P_E_NS1_11comp_targetILNS1_3genE9ELNS1_11target_archE1100ELNS1_3gpuE3ELNS1_3repE0EEENS1_30default_config_static_selectorELNS0_4arch9wavefront6targetE0EEEvS12_,comdat
	.globl	_ZN7rocprim17ROCPRIM_400000_NS6detail17trampoline_kernelINS0_13select_configILj256ELj13ELNS0_17block_load_methodE3ELS4_3ELS4_3ELNS0_20block_scan_algorithmE0ELj4294967295EEENS1_25partition_config_selectorILNS1_17partition_subalgoE4EjNS0_10empty_typeEbEEZZNS1_14partition_implILS8_4ELb0ES6_15HIP_vector_typeIjLj2EENS0_17counting_iteratorIjlEEPS9_SG_NS0_5tupleIJPjSI_NS0_16reverse_iteratorISI_EEEEENSH_IJSG_SG_SG_EEES9_SI_JZNS1_25segmented_radix_sort_implINS0_14default_configELb1EPKiPiPKlPlN2at6native12_GLOBAL__N_18offset_tEEE10hipError_tPvRmT1_PNSt15iterator_traitsIS12_E10value_typeET2_T3_PNS13_IS18_E10value_typeET4_jRbjT5_S1E_jjP12ihipStream_tbEUljE_ZNSN_ISO_Lb1ESQ_SR_ST_SU_SY_EESZ_S10_S11_S12_S16_S17_S18_S1B_S1C_jS1D_jS1E_S1E_jjS1G_bEUljE0_EEESZ_S10_S11_S18_S1C_S1E_T6_T7_T9_mT8_S1G_bDpT10_ENKUlT_T0_E_clISt17integral_constantIbLb0EES1U_EEDaS1P_S1Q_EUlS1P_E_NS1_11comp_targetILNS1_3genE9ELNS1_11target_archE1100ELNS1_3gpuE3ELNS1_3repE0EEENS1_30default_config_static_selectorELNS0_4arch9wavefront6targetE0EEEvS12_ ; -- Begin function _ZN7rocprim17ROCPRIM_400000_NS6detail17trampoline_kernelINS0_13select_configILj256ELj13ELNS0_17block_load_methodE3ELS4_3ELS4_3ELNS0_20block_scan_algorithmE0ELj4294967295EEENS1_25partition_config_selectorILNS1_17partition_subalgoE4EjNS0_10empty_typeEbEEZZNS1_14partition_implILS8_4ELb0ES6_15HIP_vector_typeIjLj2EENS0_17counting_iteratorIjlEEPS9_SG_NS0_5tupleIJPjSI_NS0_16reverse_iteratorISI_EEEEENSH_IJSG_SG_SG_EEES9_SI_JZNS1_25segmented_radix_sort_implINS0_14default_configELb1EPKiPiPKlPlN2at6native12_GLOBAL__N_18offset_tEEE10hipError_tPvRmT1_PNSt15iterator_traitsIS12_E10value_typeET2_T3_PNS13_IS18_E10value_typeET4_jRbjT5_S1E_jjP12ihipStream_tbEUljE_ZNSN_ISO_Lb1ESQ_SR_ST_SU_SY_EESZ_S10_S11_S12_S16_S17_S18_S1B_S1C_jS1D_jS1E_S1E_jjS1G_bEUljE0_EEESZ_S10_S11_S18_S1C_S1E_T6_T7_T9_mT8_S1G_bDpT10_ENKUlT_T0_E_clISt17integral_constantIbLb0EES1U_EEDaS1P_S1Q_EUlS1P_E_NS1_11comp_targetILNS1_3genE9ELNS1_11target_archE1100ELNS1_3gpuE3ELNS1_3repE0EEENS1_30default_config_static_selectorELNS0_4arch9wavefront6targetE0EEEvS12_
	.p2align	8
	.type	_ZN7rocprim17ROCPRIM_400000_NS6detail17trampoline_kernelINS0_13select_configILj256ELj13ELNS0_17block_load_methodE3ELS4_3ELS4_3ELNS0_20block_scan_algorithmE0ELj4294967295EEENS1_25partition_config_selectorILNS1_17partition_subalgoE4EjNS0_10empty_typeEbEEZZNS1_14partition_implILS8_4ELb0ES6_15HIP_vector_typeIjLj2EENS0_17counting_iteratorIjlEEPS9_SG_NS0_5tupleIJPjSI_NS0_16reverse_iteratorISI_EEEEENSH_IJSG_SG_SG_EEES9_SI_JZNS1_25segmented_radix_sort_implINS0_14default_configELb1EPKiPiPKlPlN2at6native12_GLOBAL__N_18offset_tEEE10hipError_tPvRmT1_PNSt15iterator_traitsIS12_E10value_typeET2_T3_PNS13_IS18_E10value_typeET4_jRbjT5_S1E_jjP12ihipStream_tbEUljE_ZNSN_ISO_Lb1ESQ_SR_ST_SU_SY_EESZ_S10_S11_S12_S16_S17_S18_S1B_S1C_jS1D_jS1E_S1E_jjS1G_bEUljE0_EEESZ_S10_S11_S18_S1C_S1E_T6_T7_T9_mT8_S1G_bDpT10_ENKUlT_T0_E_clISt17integral_constantIbLb0EES1U_EEDaS1P_S1Q_EUlS1P_E_NS1_11comp_targetILNS1_3genE9ELNS1_11target_archE1100ELNS1_3gpuE3ELNS1_3repE0EEENS1_30default_config_static_selectorELNS0_4arch9wavefront6targetE0EEEvS12_,@function
_ZN7rocprim17ROCPRIM_400000_NS6detail17trampoline_kernelINS0_13select_configILj256ELj13ELNS0_17block_load_methodE3ELS4_3ELS4_3ELNS0_20block_scan_algorithmE0ELj4294967295EEENS1_25partition_config_selectorILNS1_17partition_subalgoE4EjNS0_10empty_typeEbEEZZNS1_14partition_implILS8_4ELb0ES6_15HIP_vector_typeIjLj2EENS0_17counting_iteratorIjlEEPS9_SG_NS0_5tupleIJPjSI_NS0_16reverse_iteratorISI_EEEEENSH_IJSG_SG_SG_EEES9_SI_JZNS1_25segmented_radix_sort_implINS0_14default_configELb1EPKiPiPKlPlN2at6native12_GLOBAL__N_18offset_tEEE10hipError_tPvRmT1_PNSt15iterator_traitsIS12_E10value_typeET2_T3_PNS13_IS18_E10value_typeET4_jRbjT5_S1E_jjP12ihipStream_tbEUljE_ZNSN_ISO_Lb1ESQ_SR_ST_SU_SY_EESZ_S10_S11_S12_S16_S17_S18_S1B_S1C_jS1D_jS1E_S1E_jjS1G_bEUljE0_EEESZ_S10_S11_S18_S1C_S1E_T6_T7_T9_mT8_S1G_bDpT10_ENKUlT_T0_E_clISt17integral_constantIbLb0EES1U_EEDaS1P_S1Q_EUlS1P_E_NS1_11comp_targetILNS1_3genE9ELNS1_11target_archE1100ELNS1_3gpuE3ELNS1_3repE0EEENS1_30default_config_static_selectorELNS0_4arch9wavefront6targetE0EEEvS12_: ; @_ZN7rocprim17ROCPRIM_400000_NS6detail17trampoline_kernelINS0_13select_configILj256ELj13ELNS0_17block_load_methodE3ELS4_3ELS4_3ELNS0_20block_scan_algorithmE0ELj4294967295EEENS1_25partition_config_selectorILNS1_17partition_subalgoE4EjNS0_10empty_typeEbEEZZNS1_14partition_implILS8_4ELb0ES6_15HIP_vector_typeIjLj2EENS0_17counting_iteratorIjlEEPS9_SG_NS0_5tupleIJPjSI_NS0_16reverse_iteratorISI_EEEEENSH_IJSG_SG_SG_EEES9_SI_JZNS1_25segmented_radix_sort_implINS0_14default_configELb1EPKiPiPKlPlN2at6native12_GLOBAL__N_18offset_tEEE10hipError_tPvRmT1_PNSt15iterator_traitsIS12_E10value_typeET2_T3_PNS13_IS18_E10value_typeET4_jRbjT5_S1E_jjP12ihipStream_tbEUljE_ZNSN_ISO_Lb1ESQ_SR_ST_SU_SY_EESZ_S10_S11_S12_S16_S17_S18_S1B_S1C_jS1D_jS1E_S1E_jjS1G_bEUljE0_EEESZ_S10_S11_S18_S1C_S1E_T6_T7_T9_mT8_S1G_bDpT10_ENKUlT_T0_E_clISt17integral_constantIbLb0EES1U_EEDaS1P_S1Q_EUlS1P_E_NS1_11comp_targetILNS1_3genE9ELNS1_11target_archE1100ELNS1_3gpuE3ELNS1_3repE0EEENS1_30default_config_static_selectorELNS0_4arch9wavefront6targetE0EEEvS12_
; %bb.0:
	.section	.rodata,"a",@progbits
	.p2align	6, 0x0
	.amdhsa_kernel _ZN7rocprim17ROCPRIM_400000_NS6detail17trampoline_kernelINS0_13select_configILj256ELj13ELNS0_17block_load_methodE3ELS4_3ELS4_3ELNS0_20block_scan_algorithmE0ELj4294967295EEENS1_25partition_config_selectorILNS1_17partition_subalgoE4EjNS0_10empty_typeEbEEZZNS1_14partition_implILS8_4ELb0ES6_15HIP_vector_typeIjLj2EENS0_17counting_iteratorIjlEEPS9_SG_NS0_5tupleIJPjSI_NS0_16reverse_iteratorISI_EEEEENSH_IJSG_SG_SG_EEES9_SI_JZNS1_25segmented_radix_sort_implINS0_14default_configELb1EPKiPiPKlPlN2at6native12_GLOBAL__N_18offset_tEEE10hipError_tPvRmT1_PNSt15iterator_traitsIS12_E10value_typeET2_T3_PNS13_IS18_E10value_typeET4_jRbjT5_S1E_jjP12ihipStream_tbEUljE_ZNSN_ISO_Lb1ESQ_SR_ST_SU_SY_EESZ_S10_S11_S12_S16_S17_S18_S1B_S1C_jS1D_jS1E_S1E_jjS1G_bEUljE0_EEESZ_S10_S11_S18_S1C_S1E_T6_T7_T9_mT8_S1G_bDpT10_ENKUlT_T0_E_clISt17integral_constantIbLb0EES1U_EEDaS1P_S1Q_EUlS1P_E_NS1_11comp_targetILNS1_3genE9ELNS1_11target_archE1100ELNS1_3gpuE3ELNS1_3repE0EEENS1_30default_config_static_selectorELNS0_4arch9wavefront6targetE0EEEvS12_
		.amdhsa_group_segment_fixed_size 0
		.amdhsa_private_segment_fixed_size 0
		.amdhsa_kernarg_size 176
		.amdhsa_user_sgpr_count 6
		.amdhsa_user_sgpr_private_segment_buffer 1
		.amdhsa_user_sgpr_dispatch_ptr 0
		.amdhsa_user_sgpr_queue_ptr 0
		.amdhsa_user_sgpr_kernarg_segment_ptr 1
		.amdhsa_user_sgpr_dispatch_id 0
		.amdhsa_user_sgpr_flat_scratch_init 0
		.amdhsa_user_sgpr_private_segment_size 0
		.amdhsa_wavefront_size32 1
		.amdhsa_uses_dynamic_stack 0
		.amdhsa_system_sgpr_private_segment_wavefront_offset 0
		.amdhsa_system_sgpr_workgroup_id_x 1
		.amdhsa_system_sgpr_workgroup_id_y 0
		.amdhsa_system_sgpr_workgroup_id_z 0
		.amdhsa_system_sgpr_workgroup_info 0
		.amdhsa_system_vgpr_workitem_id 0
		.amdhsa_next_free_vgpr 1
		.amdhsa_next_free_sgpr 1
		.amdhsa_reserve_vcc 0
		.amdhsa_reserve_flat_scratch 0
		.amdhsa_float_round_mode_32 0
		.amdhsa_float_round_mode_16_64 0
		.amdhsa_float_denorm_mode_32 3
		.amdhsa_float_denorm_mode_16_64 3
		.amdhsa_dx10_clamp 1
		.amdhsa_ieee_mode 1
		.amdhsa_fp16_overflow 0
		.amdhsa_workgroup_processor_mode 1
		.amdhsa_memory_ordered 1
		.amdhsa_forward_progress 1
		.amdhsa_shared_vgpr_count 0
		.amdhsa_exception_fp_ieee_invalid_op 0
		.amdhsa_exception_fp_denorm_src 0
		.amdhsa_exception_fp_ieee_div_zero 0
		.amdhsa_exception_fp_ieee_overflow 0
		.amdhsa_exception_fp_ieee_underflow 0
		.amdhsa_exception_fp_ieee_inexact 0
		.amdhsa_exception_int_div_zero 0
	.end_amdhsa_kernel
	.section	.text._ZN7rocprim17ROCPRIM_400000_NS6detail17trampoline_kernelINS0_13select_configILj256ELj13ELNS0_17block_load_methodE3ELS4_3ELS4_3ELNS0_20block_scan_algorithmE0ELj4294967295EEENS1_25partition_config_selectorILNS1_17partition_subalgoE4EjNS0_10empty_typeEbEEZZNS1_14partition_implILS8_4ELb0ES6_15HIP_vector_typeIjLj2EENS0_17counting_iteratorIjlEEPS9_SG_NS0_5tupleIJPjSI_NS0_16reverse_iteratorISI_EEEEENSH_IJSG_SG_SG_EEES9_SI_JZNS1_25segmented_radix_sort_implINS0_14default_configELb1EPKiPiPKlPlN2at6native12_GLOBAL__N_18offset_tEEE10hipError_tPvRmT1_PNSt15iterator_traitsIS12_E10value_typeET2_T3_PNS13_IS18_E10value_typeET4_jRbjT5_S1E_jjP12ihipStream_tbEUljE_ZNSN_ISO_Lb1ESQ_SR_ST_SU_SY_EESZ_S10_S11_S12_S16_S17_S18_S1B_S1C_jS1D_jS1E_S1E_jjS1G_bEUljE0_EEESZ_S10_S11_S18_S1C_S1E_T6_T7_T9_mT8_S1G_bDpT10_ENKUlT_T0_E_clISt17integral_constantIbLb0EES1U_EEDaS1P_S1Q_EUlS1P_E_NS1_11comp_targetILNS1_3genE9ELNS1_11target_archE1100ELNS1_3gpuE3ELNS1_3repE0EEENS1_30default_config_static_selectorELNS0_4arch9wavefront6targetE0EEEvS12_,"axG",@progbits,_ZN7rocprim17ROCPRIM_400000_NS6detail17trampoline_kernelINS0_13select_configILj256ELj13ELNS0_17block_load_methodE3ELS4_3ELS4_3ELNS0_20block_scan_algorithmE0ELj4294967295EEENS1_25partition_config_selectorILNS1_17partition_subalgoE4EjNS0_10empty_typeEbEEZZNS1_14partition_implILS8_4ELb0ES6_15HIP_vector_typeIjLj2EENS0_17counting_iteratorIjlEEPS9_SG_NS0_5tupleIJPjSI_NS0_16reverse_iteratorISI_EEEEENSH_IJSG_SG_SG_EEES9_SI_JZNS1_25segmented_radix_sort_implINS0_14default_configELb1EPKiPiPKlPlN2at6native12_GLOBAL__N_18offset_tEEE10hipError_tPvRmT1_PNSt15iterator_traitsIS12_E10value_typeET2_T3_PNS13_IS18_E10value_typeET4_jRbjT5_S1E_jjP12ihipStream_tbEUljE_ZNSN_ISO_Lb1ESQ_SR_ST_SU_SY_EESZ_S10_S11_S12_S16_S17_S18_S1B_S1C_jS1D_jS1E_S1E_jjS1G_bEUljE0_EEESZ_S10_S11_S18_S1C_S1E_T6_T7_T9_mT8_S1G_bDpT10_ENKUlT_T0_E_clISt17integral_constantIbLb0EES1U_EEDaS1P_S1Q_EUlS1P_E_NS1_11comp_targetILNS1_3genE9ELNS1_11target_archE1100ELNS1_3gpuE3ELNS1_3repE0EEENS1_30default_config_static_selectorELNS0_4arch9wavefront6targetE0EEEvS12_,comdat
.Lfunc_end435:
	.size	_ZN7rocprim17ROCPRIM_400000_NS6detail17trampoline_kernelINS0_13select_configILj256ELj13ELNS0_17block_load_methodE3ELS4_3ELS4_3ELNS0_20block_scan_algorithmE0ELj4294967295EEENS1_25partition_config_selectorILNS1_17partition_subalgoE4EjNS0_10empty_typeEbEEZZNS1_14partition_implILS8_4ELb0ES6_15HIP_vector_typeIjLj2EENS0_17counting_iteratorIjlEEPS9_SG_NS0_5tupleIJPjSI_NS0_16reverse_iteratorISI_EEEEENSH_IJSG_SG_SG_EEES9_SI_JZNS1_25segmented_radix_sort_implINS0_14default_configELb1EPKiPiPKlPlN2at6native12_GLOBAL__N_18offset_tEEE10hipError_tPvRmT1_PNSt15iterator_traitsIS12_E10value_typeET2_T3_PNS13_IS18_E10value_typeET4_jRbjT5_S1E_jjP12ihipStream_tbEUljE_ZNSN_ISO_Lb1ESQ_SR_ST_SU_SY_EESZ_S10_S11_S12_S16_S17_S18_S1B_S1C_jS1D_jS1E_S1E_jjS1G_bEUljE0_EEESZ_S10_S11_S18_S1C_S1E_T6_T7_T9_mT8_S1G_bDpT10_ENKUlT_T0_E_clISt17integral_constantIbLb0EES1U_EEDaS1P_S1Q_EUlS1P_E_NS1_11comp_targetILNS1_3genE9ELNS1_11target_archE1100ELNS1_3gpuE3ELNS1_3repE0EEENS1_30default_config_static_selectorELNS0_4arch9wavefront6targetE0EEEvS12_, .Lfunc_end435-_ZN7rocprim17ROCPRIM_400000_NS6detail17trampoline_kernelINS0_13select_configILj256ELj13ELNS0_17block_load_methodE3ELS4_3ELS4_3ELNS0_20block_scan_algorithmE0ELj4294967295EEENS1_25partition_config_selectorILNS1_17partition_subalgoE4EjNS0_10empty_typeEbEEZZNS1_14partition_implILS8_4ELb0ES6_15HIP_vector_typeIjLj2EENS0_17counting_iteratorIjlEEPS9_SG_NS0_5tupleIJPjSI_NS0_16reverse_iteratorISI_EEEEENSH_IJSG_SG_SG_EEES9_SI_JZNS1_25segmented_radix_sort_implINS0_14default_configELb1EPKiPiPKlPlN2at6native12_GLOBAL__N_18offset_tEEE10hipError_tPvRmT1_PNSt15iterator_traitsIS12_E10value_typeET2_T3_PNS13_IS18_E10value_typeET4_jRbjT5_S1E_jjP12ihipStream_tbEUljE_ZNSN_ISO_Lb1ESQ_SR_ST_SU_SY_EESZ_S10_S11_S12_S16_S17_S18_S1B_S1C_jS1D_jS1E_S1E_jjS1G_bEUljE0_EEESZ_S10_S11_S18_S1C_S1E_T6_T7_T9_mT8_S1G_bDpT10_ENKUlT_T0_E_clISt17integral_constantIbLb0EES1U_EEDaS1P_S1Q_EUlS1P_E_NS1_11comp_targetILNS1_3genE9ELNS1_11target_archE1100ELNS1_3gpuE3ELNS1_3repE0EEENS1_30default_config_static_selectorELNS0_4arch9wavefront6targetE0EEEvS12_
                                        ; -- End function
	.set _ZN7rocprim17ROCPRIM_400000_NS6detail17trampoline_kernelINS0_13select_configILj256ELj13ELNS0_17block_load_methodE3ELS4_3ELS4_3ELNS0_20block_scan_algorithmE0ELj4294967295EEENS1_25partition_config_selectorILNS1_17partition_subalgoE4EjNS0_10empty_typeEbEEZZNS1_14partition_implILS8_4ELb0ES6_15HIP_vector_typeIjLj2EENS0_17counting_iteratorIjlEEPS9_SG_NS0_5tupleIJPjSI_NS0_16reverse_iteratorISI_EEEEENSH_IJSG_SG_SG_EEES9_SI_JZNS1_25segmented_radix_sort_implINS0_14default_configELb1EPKiPiPKlPlN2at6native12_GLOBAL__N_18offset_tEEE10hipError_tPvRmT1_PNSt15iterator_traitsIS12_E10value_typeET2_T3_PNS13_IS18_E10value_typeET4_jRbjT5_S1E_jjP12ihipStream_tbEUljE_ZNSN_ISO_Lb1ESQ_SR_ST_SU_SY_EESZ_S10_S11_S12_S16_S17_S18_S1B_S1C_jS1D_jS1E_S1E_jjS1G_bEUljE0_EEESZ_S10_S11_S18_S1C_S1E_T6_T7_T9_mT8_S1G_bDpT10_ENKUlT_T0_E_clISt17integral_constantIbLb0EES1U_EEDaS1P_S1Q_EUlS1P_E_NS1_11comp_targetILNS1_3genE9ELNS1_11target_archE1100ELNS1_3gpuE3ELNS1_3repE0EEENS1_30default_config_static_selectorELNS0_4arch9wavefront6targetE0EEEvS12_.num_vgpr, 0
	.set _ZN7rocprim17ROCPRIM_400000_NS6detail17trampoline_kernelINS0_13select_configILj256ELj13ELNS0_17block_load_methodE3ELS4_3ELS4_3ELNS0_20block_scan_algorithmE0ELj4294967295EEENS1_25partition_config_selectorILNS1_17partition_subalgoE4EjNS0_10empty_typeEbEEZZNS1_14partition_implILS8_4ELb0ES6_15HIP_vector_typeIjLj2EENS0_17counting_iteratorIjlEEPS9_SG_NS0_5tupleIJPjSI_NS0_16reverse_iteratorISI_EEEEENSH_IJSG_SG_SG_EEES9_SI_JZNS1_25segmented_radix_sort_implINS0_14default_configELb1EPKiPiPKlPlN2at6native12_GLOBAL__N_18offset_tEEE10hipError_tPvRmT1_PNSt15iterator_traitsIS12_E10value_typeET2_T3_PNS13_IS18_E10value_typeET4_jRbjT5_S1E_jjP12ihipStream_tbEUljE_ZNSN_ISO_Lb1ESQ_SR_ST_SU_SY_EESZ_S10_S11_S12_S16_S17_S18_S1B_S1C_jS1D_jS1E_S1E_jjS1G_bEUljE0_EEESZ_S10_S11_S18_S1C_S1E_T6_T7_T9_mT8_S1G_bDpT10_ENKUlT_T0_E_clISt17integral_constantIbLb0EES1U_EEDaS1P_S1Q_EUlS1P_E_NS1_11comp_targetILNS1_3genE9ELNS1_11target_archE1100ELNS1_3gpuE3ELNS1_3repE0EEENS1_30default_config_static_selectorELNS0_4arch9wavefront6targetE0EEEvS12_.num_agpr, 0
	.set _ZN7rocprim17ROCPRIM_400000_NS6detail17trampoline_kernelINS0_13select_configILj256ELj13ELNS0_17block_load_methodE3ELS4_3ELS4_3ELNS0_20block_scan_algorithmE0ELj4294967295EEENS1_25partition_config_selectorILNS1_17partition_subalgoE4EjNS0_10empty_typeEbEEZZNS1_14partition_implILS8_4ELb0ES6_15HIP_vector_typeIjLj2EENS0_17counting_iteratorIjlEEPS9_SG_NS0_5tupleIJPjSI_NS0_16reverse_iteratorISI_EEEEENSH_IJSG_SG_SG_EEES9_SI_JZNS1_25segmented_radix_sort_implINS0_14default_configELb1EPKiPiPKlPlN2at6native12_GLOBAL__N_18offset_tEEE10hipError_tPvRmT1_PNSt15iterator_traitsIS12_E10value_typeET2_T3_PNS13_IS18_E10value_typeET4_jRbjT5_S1E_jjP12ihipStream_tbEUljE_ZNSN_ISO_Lb1ESQ_SR_ST_SU_SY_EESZ_S10_S11_S12_S16_S17_S18_S1B_S1C_jS1D_jS1E_S1E_jjS1G_bEUljE0_EEESZ_S10_S11_S18_S1C_S1E_T6_T7_T9_mT8_S1G_bDpT10_ENKUlT_T0_E_clISt17integral_constantIbLb0EES1U_EEDaS1P_S1Q_EUlS1P_E_NS1_11comp_targetILNS1_3genE9ELNS1_11target_archE1100ELNS1_3gpuE3ELNS1_3repE0EEENS1_30default_config_static_selectorELNS0_4arch9wavefront6targetE0EEEvS12_.numbered_sgpr, 0
	.set _ZN7rocprim17ROCPRIM_400000_NS6detail17trampoline_kernelINS0_13select_configILj256ELj13ELNS0_17block_load_methodE3ELS4_3ELS4_3ELNS0_20block_scan_algorithmE0ELj4294967295EEENS1_25partition_config_selectorILNS1_17partition_subalgoE4EjNS0_10empty_typeEbEEZZNS1_14partition_implILS8_4ELb0ES6_15HIP_vector_typeIjLj2EENS0_17counting_iteratorIjlEEPS9_SG_NS0_5tupleIJPjSI_NS0_16reverse_iteratorISI_EEEEENSH_IJSG_SG_SG_EEES9_SI_JZNS1_25segmented_radix_sort_implINS0_14default_configELb1EPKiPiPKlPlN2at6native12_GLOBAL__N_18offset_tEEE10hipError_tPvRmT1_PNSt15iterator_traitsIS12_E10value_typeET2_T3_PNS13_IS18_E10value_typeET4_jRbjT5_S1E_jjP12ihipStream_tbEUljE_ZNSN_ISO_Lb1ESQ_SR_ST_SU_SY_EESZ_S10_S11_S12_S16_S17_S18_S1B_S1C_jS1D_jS1E_S1E_jjS1G_bEUljE0_EEESZ_S10_S11_S18_S1C_S1E_T6_T7_T9_mT8_S1G_bDpT10_ENKUlT_T0_E_clISt17integral_constantIbLb0EES1U_EEDaS1P_S1Q_EUlS1P_E_NS1_11comp_targetILNS1_3genE9ELNS1_11target_archE1100ELNS1_3gpuE3ELNS1_3repE0EEENS1_30default_config_static_selectorELNS0_4arch9wavefront6targetE0EEEvS12_.num_named_barrier, 0
	.set _ZN7rocprim17ROCPRIM_400000_NS6detail17trampoline_kernelINS0_13select_configILj256ELj13ELNS0_17block_load_methodE3ELS4_3ELS4_3ELNS0_20block_scan_algorithmE0ELj4294967295EEENS1_25partition_config_selectorILNS1_17partition_subalgoE4EjNS0_10empty_typeEbEEZZNS1_14partition_implILS8_4ELb0ES6_15HIP_vector_typeIjLj2EENS0_17counting_iteratorIjlEEPS9_SG_NS0_5tupleIJPjSI_NS0_16reverse_iteratorISI_EEEEENSH_IJSG_SG_SG_EEES9_SI_JZNS1_25segmented_radix_sort_implINS0_14default_configELb1EPKiPiPKlPlN2at6native12_GLOBAL__N_18offset_tEEE10hipError_tPvRmT1_PNSt15iterator_traitsIS12_E10value_typeET2_T3_PNS13_IS18_E10value_typeET4_jRbjT5_S1E_jjP12ihipStream_tbEUljE_ZNSN_ISO_Lb1ESQ_SR_ST_SU_SY_EESZ_S10_S11_S12_S16_S17_S18_S1B_S1C_jS1D_jS1E_S1E_jjS1G_bEUljE0_EEESZ_S10_S11_S18_S1C_S1E_T6_T7_T9_mT8_S1G_bDpT10_ENKUlT_T0_E_clISt17integral_constantIbLb0EES1U_EEDaS1P_S1Q_EUlS1P_E_NS1_11comp_targetILNS1_3genE9ELNS1_11target_archE1100ELNS1_3gpuE3ELNS1_3repE0EEENS1_30default_config_static_selectorELNS0_4arch9wavefront6targetE0EEEvS12_.private_seg_size, 0
	.set _ZN7rocprim17ROCPRIM_400000_NS6detail17trampoline_kernelINS0_13select_configILj256ELj13ELNS0_17block_load_methodE3ELS4_3ELS4_3ELNS0_20block_scan_algorithmE0ELj4294967295EEENS1_25partition_config_selectorILNS1_17partition_subalgoE4EjNS0_10empty_typeEbEEZZNS1_14partition_implILS8_4ELb0ES6_15HIP_vector_typeIjLj2EENS0_17counting_iteratorIjlEEPS9_SG_NS0_5tupleIJPjSI_NS0_16reverse_iteratorISI_EEEEENSH_IJSG_SG_SG_EEES9_SI_JZNS1_25segmented_radix_sort_implINS0_14default_configELb1EPKiPiPKlPlN2at6native12_GLOBAL__N_18offset_tEEE10hipError_tPvRmT1_PNSt15iterator_traitsIS12_E10value_typeET2_T3_PNS13_IS18_E10value_typeET4_jRbjT5_S1E_jjP12ihipStream_tbEUljE_ZNSN_ISO_Lb1ESQ_SR_ST_SU_SY_EESZ_S10_S11_S12_S16_S17_S18_S1B_S1C_jS1D_jS1E_S1E_jjS1G_bEUljE0_EEESZ_S10_S11_S18_S1C_S1E_T6_T7_T9_mT8_S1G_bDpT10_ENKUlT_T0_E_clISt17integral_constantIbLb0EES1U_EEDaS1P_S1Q_EUlS1P_E_NS1_11comp_targetILNS1_3genE9ELNS1_11target_archE1100ELNS1_3gpuE3ELNS1_3repE0EEENS1_30default_config_static_selectorELNS0_4arch9wavefront6targetE0EEEvS12_.uses_vcc, 0
	.set _ZN7rocprim17ROCPRIM_400000_NS6detail17trampoline_kernelINS0_13select_configILj256ELj13ELNS0_17block_load_methodE3ELS4_3ELS4_3ELNS0_20block_scan_algorithmE0ELj4294967295EEENS1_25partition_config_selectorILNS1_17partition_subalgoE4EjNS0_10empty_typeEbEEZZNS1_14partition_implILS8_4ELb0ES6_15HIP_vector_typeIjLj2EENS0_17counting_iteratorIjlEEPS9_SG_NS0_5tupleIJPjSI_NS0_16reverse_iteratorISI_EEEEENSH_IJSG_SG_SG_EEES9_SI_JZNS1_25segmented_radix_sort_implINS0_14default_configELb1EPKiPiPKlPlN2at6native12_GLOBAL__N_18offset_tEEE10hipError_tPvRmT1_PNSt15iterator_traitsIS12_E10value_typeET2_T3_PNS13_IS18_E10value_typeET4_jRbjT5_S1E_jjP12ihipStream_tbEUljE_ZNSN_ISO_Lb1ESQ_SR_ST_SU_SY_EESZ_S10_S11_S12_S16_S17_S18_S1B_S1C_jS1D_jS1E_S1E_jjS1G_bEUljE0_EEESZ_S10_S11_S18_S1C_S1E_T6_T7_T9_mT8_S1G_bDpT10_ENKUlT_T0_E_clISt17integral_constantIbLb0EES1U_EEDaS1P_S1Q_EUlS1P_E_NS1_11comp_targetILNS1_3genE9ELNS1_11target_archE1100ELNS1_3gpuE3ELNS1_3repE0EEENS1_30default_config_static_selectorELNS0_4arch9wavefront6targetE0EEEvS12_.uses_flat_scratch, 0
	.set _ZN7rocprim17ROCPRIM_400000_NS6detail17trampoline_kernelINS0_13select_configILj256ELj13ELNS0_17block_load_methodE3ELS4_3ELS4_3ELNS0_20block_scan_algorithmE0ELj4294967295EEENS1_25partition_config_selectorILNS1_17partition_subalgoE4EjNS0_10empty_typeEbEEZZNS1_14partition_implILS8_4ELb0ES6_15HIP_vector_typeIjLj2EENS0_17counting_iteratorIjlEEPS9_SG_NS0_5tupleIJPjSI_NS0_16reverse_iteratorISI_EEEEENSH_IJSG_SG_SG_EEES9_SI_JZNS1_25segmented_radix_sort_implINS0_14default_configELb1EPKiPiPKlPlN2at6native12_GLOBAL__N_18offset_tEEE10hipError_tPvRmT1_PNSt15iterator_traitsIS12_E10value_typeET2_T3_PNS13_IS18_E10value_typeET4_jRbjT5_S1E_jjP12ihipStream_tbEUljE_ZNSN_ISO_Lb1ESQ_SR_ST_SU_SY_EESZ_S10_S11_S12_S16_S17_S18_S1B_S1C_jS1D_jS1E_S1E_jjS1G_bEUljE0_EEESZ_S10_S11_S18_S1C_S1E_T6_T7_T9_mT8_S1G_bDpT10_ENKUlT_T0_E_clISt17integral_constantIbLb0EES1U_EEDaS1P_S1Q_EUlS1P_E_NS1_11comp_targetILNS1_3genE9ELNS1_11target_archE1100ELNS1_3gpuE3ELNS1_3repE0EEENS1_30default_config_static_selectorELNS0_4arch9wavefront6targetE0EEEvS12_.has_dyn_sized_stack, 0
	.set _ZN7rocprim17ROCPRIM_400000_NS6detail17trampoline_kernelINS0_13select_configILj256ELj13ELNS0_17block_load_methodE3ELS4_3ELS4_3ELNS0_20block_scan_algorithmE0ELj4294967295EEENS1_25partition_config_selectorILNS1_17partition_subalgoE4EjNS0_10empty_typeEbEEZZNS1_14partition_implILS8_4ELb0ES6_15HIP_vector_typeIjLj2EENS0_17counting_iteratorIjlEEPS9_SG_NS0_5tupleIJPjSI_NS0_16reverse_iteratorISI_EEEEENSH_IJSG_SG_SG_EEES9_SI_JZNS1_25segmented_radix_sort_implINS0_14default_configELb1EPKiPiPKlPlN2at6native12_GLOBAL__N_18offset_tEEE10hipError_tPvRmT1_PNSt15iterator_traitsIS12_E10value_typeET2_T3_PNS13_IS18_E10value_typeET4_jRbjT5_S1E_jjP12ihipStream_tbEUljE_ZNSN_ISO_Lb1ESQ_SR_ST_SU_SY_EESZ_S10_S11_S12_S16_S17_S18_S1B_S1C_jS1D_jS1E_S1E_jjS1G_bEUljE0_EEESZ_S10_S11_S18_S1C_S1E_T6_T7_T9_mT8_S1G_bDpT10_ENKUlT_T0_E_clISt17integral_constantIbLb0EES1U_EEDaS1P_S1Q_EUlS1P_E_NS1_11comp_targetILNS1_3genE9ELNS1_11target_archE1100ELNS1_3gpuE3ELNS1_3repE0EEENS1_30default_config_static_selectorELNS0_4arch9wavefront6targetE0EEEvS12_.has_recursion, 0
	.set _ZN7rocprim17ROCPRIM_400000_NS6detail17trampoline_kernelINS0_13select_configILj256ELj13ELNS0_17block_load_methodE3ELS4_3ELS4_3ELNS0_20block_scan_algorithmE0ELj4294967295EEENS1_25partition_config_selectorILNS1_17partition_subalgoE4EjNS0_10empty_typeEbEEZZNS1_14partition_implILS8_4ELb0ES6_15HIP_vector_typeIjLj2EENS0_17counting_iteratorIjlEEPS9_SG_NS0_5tupleIJPjSI_NS0_16reverse_iteratorISI_EEEEENSH_IJSG_SG_SG_EEES9_SI_JZNS1_25segmented_radix_sort_implINS0_14default_configELb1EPKiPiPKlPlN2at6native12_GLOBAL__N_18offset_tEEE10hipError_tPvRmT1_PNSt15iterator_traitsIS12_E10value_typeET2_T3_PNS13_IS18_E10value_typeET4_jRbjT5_S1E_jjP12ihipStream_tbEUljE_ZNSN_ISO_Lb1ESQ_SR_ST_SU_SY_EESZ_S10_S11_S12_S16_S17_S18_S1B_S1C_jS1D_jS1E_S1E_jjS1G_bEUljE0_EEESZ_S10_S11_S18_S1C_S1E_T6_T7_T9_mT8_S1G_bDpT10_ENKUlT_T0_E_clISt17integral_constantIbLb0EES1U_EEDaS1P_S1Q_EUlS1P_E_NS1_11comp_targetILNS1_3genE9ELNS1_11target_archE1100ELNS1_3gpuE3ELNS1_3repE0EEENS1_30default_config_static_selectorELNS0_4arch9wavefront6targetE0EEEvS12_.has_indirect_call, 0
	.section	.AMDGPU.csdata,"",@progbits
; Kernel info:
; codeLenInByte = 0
; TotalNumSgprs: 0
; NumVgprs: 0
; ScratchSize: 0
; MemoryBound: 0
; FloatMode: 240
; IeeeMode: 1
; LDSByteSize: 0 bytes/workgroup (compile time only)
; SGPRBlocks: 0
; VGPRBlocks: 0
; NumSGPRsForWavesPerEU: 1
; NumVGPRsForWavesPerEU: 1
; Occupancy: 16
; WaveLimiterHint : 0
; COMPUTE_PGM_RSRC2:SCRATCH_EN: 0
; COMPUTE_PGM_RSRC2:USER_SGPR: 6
; COMPUTE_PGM_RSRC2:TRAP_HANDLER: 0
; COMPUTE_PGM_RSRC2:TGID_X_EN: 1
; COMPUTE_PGM_RSRC2:TGID_Y_EN: 0
; COMPUTE_PGM_RSRC2:TGID_Z_EN: 0
; COMPUTE_PGM_RSRC2:TIDIG_COMP_CNT: 0
	.section	.text._ZN7rocprim17ROCPRIM_400000_NS6detail17trampoline_kernelINS0_13select_configILj256ELj13ELNS0_17block_load_methodE3ELS4_3ELS4_3ELNS0_20block_scan_algorithmE0ELj4294967295EEENS1_25partition_config_selectorILNS1_17partition_subalgoE4EjNS0_10empty_typeEbEEZZNS1_14partition_implILS8_4ELb0ES6_15HIP_vector_typeIjLj2EENS0_17counting_iteratorIjlEEPS9_SG_NS0_5tupleIJPjSI_NS0_16reverse_iteratorISI_EEEEENSH_IJSG_SG_SG_EEES9_SI_JZNS1_25segmented_radix_sort_implINS0_14default_configELb1EPKiPiPKlPlN2at6native12_GLOBAL__N_18offset_tEEE10hipError_tPvRmT1_PNSt15iterator_traitsIS12_E10value_typeET2_T3_PNS13_IS18_E10value_typeET4_jRbjT5_S1E_jjP12ihipStream_tbEUljE_ZNSN_ISO_Lb1ESQ_SR_ST_SU_SY_EESZ_S10_S11_S12_S16_S17_S18_S1B_S1C_jS1D_jS1E_S1E_jjS1G_bEUljE0_EEESZ_S10_S11_S18_S1C_S1E_T6_T7_T9_mT8_S1G_bDpT10_ENKUlT_T0_E_clISt17integral_constantIbLb0EES1U_EEDaS1P_S1Q_EUlS1P_E_NS1_11comp_targetILNS1_3genE8ELNS1_11target_archE1030ELNS1_3gpuE2ELNS1_3repE0EEENS1_30default_config_static_selectorELNS0_4arch9wavefront6targetE0EEEvS12_,"axG",@progbits,_ZN7rocprim17ROCPRIM_400000_NS6detail17trampoline_kernelINS0_13select_configILj256ELj13ELNS0_17block_load_methodE3ELS4_3ELS4_3ELNS0_20block_scan_algorithmE0ELj4294967295EEENS1_25partition_config_selectorILNS1_17partition_subalgoE4EjNS0_10empty_typeEbEEZZNS1_14partition_implILS8_4ELb0ES6_15HIP_vector_typeIjLj2EENS0_17counting_iteratorIjlEEPS9_SG_NS0_5tupleIJPjSI_NS0_16reverse_iteratorISI_EEEEENSH_IJSG_SG_SG_EEES9_SI_JZNS1_25segmented_radix_sort_implINS0_14default_configELb1EPKiPiPKlPlN2at6native12_GLOBAL__N_18offset_tEEE10hipError_tPvRmT1_PNSt15iterator_traitsIS12_E10value_typeET2_T3_PNS13_IS18_E10value_typeET4_jRbjT5_S1E_jjP12ihipStream_tbEUljE_ZNSN_ISO_Lb1ESQ_SR_ST_SU_SY_EESZ_S10_S11_S12_S16_S17_S18_S1B_S1C_jS1D_jS1E_S1E_jjS1G_bEUljE0_EEESZ_S10_S11_S18_S1C_S1E_T6_T7_T9_mT8_S1G_bDpT10_ENKUlT_T0_E_clISt17integral_constantIbLb0EES1U_EEDaS1P_S1Q_EUlS1P_E_NS1_11comp_targetILNS1_3genE8ELNS1_11target_archE1030ELNS1_3gpuE2ELNS1_3repE0EEENS1_30default_config_static_selectorELNS0_4arch9wavefront6targetE0EEEvS12_,comdat
	.globl	_ZN7rocprim17ROCPRIM_400000_NS6detail17trampoline_kernelINS0_13select_configILj256ELj13ELNS0_17block_load_methodE3ELS4_3ELS4_3ELNS0_20block_scan_algorithmE0ELj4294967295EEENS1_25partition_config_selectorILNS1_17partition_subalgoE4EjNS0_10empty_typeEbEEZZNS1_14partition_implILS8_4ELb0ES6_15HIP_vector_typeIjLj2EENS0_17counting_iteratorIjlEEPS9_SG_NS0_5tupleIJPjSI_NS0_16reverse_iteratorISI_EEEEENSH_IJSG_SG_SG_EEES9_SI_JZNS1_25segmented_radix_sort_implINS0_14default_configELb1EPKiPiPKlPlN2at6native12_GLOBAL__N_18offset_tEEE10hipError_tPvRmT1_PNSt15iterator_traitsIS12_E10value_typeET2_T3_PNS13_IS18_E10value_typeET4_jRbjT5_S1E_jjP12ihipStream_tbEUljE_ZNSN_ISO_Lb1ESQ_SR_ST_SU_SY_EESZ_S10_S11_S12_S16_S17_S18_S1B_S1C_jS1D_jS1E_S1E_jjS1G_bEUljE0_EEESZ_S10_S11_S18_S1C_S1E_T6_T7_T9_mT8_S1G_bDpT10_ENKUlT_T0_E_clISt17integral_constantIbLb0EES1U_EEDaS1P_S1Q_EUlS1P_E_NS1_11comp_targetILNS1_3genE8ELNS1_11target_archE1030ELNS1_3gpuE2ELNS1_3repE0EEENS1_30default_config_static_selectorELNS0_4arch9wavefront6targetE0EEEvS12_ ; -- Begin function _ZN7rocprim17ROCPRIM_400000_NS6detail17trampoline_kernelINS0_13select_configILj256ELj13ELNS0_17block_load_methodE3ELS4_3ELS4_3ELNS0_20block_scan_algorithmE0ELj4294967295EEENS1_25partition_config_selectorILNS1_17partition_subalgoE4EjNS0_10empty_typeEbEEZZNS1_14partition_implILS8_4ELb0ES6_15HIP_vector_typeIjLj2EENS0_17counting_iteratorIjlEEPS9_SG_NS0_5tupleIJPjSI_NS0_16reverse_iteratorISI_EEEEENSH_IJSG_SG_SG_EEES9_SI_JZNS1_25segmented_radix_sort_implINS0_14default_configELb1EPKiPiPKlPlN2at6native12_GLOBAL__N_18offset_tEEE10hipError_tPvRmT1_PNSt15iterator_traitsIS12_E10value_typeET2_T3_PNS13_IS18_E10value_typeET4_jRbjT5_S1E_jjP12ihipStream_tbEUljE_ZNSN_ISO_Lb1ESQ_SR_ST_SU_SY_EESZ_S10_S11_S12_S16_S17_S18_S1B_S1C_jS1D_jS1E_S1E_jjS1G_bEUljE0_EEESZ_S10_S11_S18_S1C_S1E_T6_T7_T9_mT8_S1G_bDpT10_ENKUlT_T0_E_clISt17integral_constantIbLb0EES1U_EEDaS1P_S1Q_EUlS1P_E_NS1_11comp_targetILNS1_3genE8ELNS1_11target_archE1030ELNS1_3gpuE2ELNS1_3repE0EEENS1_30default_config_static_selectorELNS0_4arch9wavefront6targetE0EEEvS12_
	.p2align	8
	.type	_ZN7rocprim17ROCPRIM_400000_NS6detail17trampoline_kernelINS0_13select_configILj256ELj13ELNS0_17block_load_methodE3ELS4_3ELS4_3ELNS0_20block_scan_algorithmE0ELj4294967295EEENS1_25partition_config_selectorILNS1_17partition_subalgoE4EjNS0_10empty_typeEbEEZZNS1_14partition_implILS8_4ELb0ES6_15HIP_vector_typeIjLj2EENS0_17counting_iteratorIjlEEPS9_SG_NS0_5tupleIJPjSI_NS0_16reverse_iteratorISI_EEEEENSH_IJSG_SG_SG_EEES9_SI_JZNS1_25segmented_radix_sort_implINS0_14default_configELb1EPKiPiPKlPlN2at6native12_GLOBAL__N_18offset_tEEE10hipError_tPvRmT1_PNSt15iterator_traitsIS12_E10value_typeET2_T3_PNS13_IS18_E10value_typeET4_jRbjT5_S1E_jjP12ihipStream_tbEUljE_ZNSN_ISO_Lb1ESQ_SR_ST_SU_SY_EESZ_S10_S11_S12_S16_S17_S18_S1B_S1C_jS1D_jS1E_S1E_jjS1G_bEUljE0_EEESZ_S10_S11_S18_S1C_S1E_T6_T7_T9_mT8_S1G_bDpT10_ENKUlT_T0_E_clISt17integral_constantIbLb0EES1U_EEDaS1P_S1Q_EUlS1P_E_NS1_11comp_targetILNS1_3genE8ELNS1_11target_archE1030ELNS1_3gpuE2ELNS1_3repE0EEENS1_30default_config_static_selectorELNS0_4arch9wavefront6targetE0EEEvS12_,@function
_ZN7rocprim17ROCPRIM_400000_NS6detail17trampoline_kernelINS0_13select_configILj256ELj13ELNS0_17block_load_methodE3ELS4_3ELS4_3ELNS0_20block_scan_algorithmE0ELj4294967295EEENS1_25partition_config_selectorILNS1_17partition_subalgoE4EjNS0_10empty_typeEbEEZZNS1_14partition_implILS8_4ELb0ES6_15HIP_vector_typeIjLj2EENS0_17counting_iteratorIjlEEPS9_SG_NS0_5tupleIJPjSI_NS0_16reverse_iteratorISI_EEEEENSH_IJSG_SG_SG_EEES9_SI_JZNS1_25segmented_radix_sort_implINS0_14default_configELb1EPKiPiPKlPlN2at6native12_GLOBAL__N_18offset_tEEE10hipError_tPvRmT1_PNSt15iterator_traitsIS12_E10value_typeET2_T3_PNS13_IS18_E10value_typeET4_jRbjT5_S1E_jjP12ihipStream_tbEUljE_ZNSN_ISO_Lb1ESQ_SR_ST_SU_SY_EESZ_S10_S11_S12_S16_S17_S18_S1B_S1C_jS1D_jS1E_S1E_jjS1G_bEUljE0_EEESZ_S10_S11_S18_S1C_S1E_T6_T7_T9_mT8_S1G_bDpT10_ENKUlT_T0_E_clISt17integral_constantIbLb0EES1U_EEDaS1P_S1Q_EUlS1P_E_NS1_11comp_targetILNS1_3genE8ELNS1_11target_archE1030ELNS1_3gpuE2ELNS1_3repE0EEENS1_30default_config_static_selectorELNS0_4arch9wavefront6targetE0EEEvS12_: ; @_ZN7rocprim17ROCPRIM_400000_NS6detail17trampoline_kernelINS0_13select_configILj256ELj13ELNS0_17block_load_methodE3ELS4_3ELS4_3ELNS0_20block_scan_algorithmE0ELj4294967295EEENS1_25partition_config_selectorILNS1_17partition_subalgoE4EjNS0_10empty_typeEbEEZZNS1_14partition_implILS8_4ELb0ES6_15HIP_vector_typeIjLj2EENS0_17counting_iteratorIjlEEPS9_SG_NS0_5tupleIJPjSI_NS0_16reverse_iteratorISI_EEEEENSH_IJSG_SG_SG_EEES9_SI_JZNS1_25segmented_radix_sort_implINS0_14default_configELb1EPKiPiPKlPlN2at6native12_GLOBAL__N_18offset_tEEE10hipError_tPvRmT1_PNSt15iterator_traitsIS12_E10value_typeET2_T3_PNS13_IS18_E10value_typeET4_jRbjT5_S1E_jjP12ihipStream_tbEUljE_ZNSN_ISO_Lb1ESQ_SR_ST_SU_SY_EESZ_S10_S11_S12_S16_S17_S18_S1B_S1C_jS1D_jS1E_S1E_jjS1G_bEUljE0_EEESZ_S10_S11_S18_S1C_S1E_T6_T7_T9_mT8_S1G_bDpT10_ENKUlT_T0_E_clISt17integral_constantIbLb0EES1U_EEDaS1P_S1Q_EUlS1P_E_NS1_11comp_targetILNS1_3genE8ELNS1_11target_archE1030ELNS1_3gpuE2ELNS1_3repE0EEENS1_30default_config_static_selectorELNS0_4arch9wavefront6targetE0EEEvS12_
; %bb.0:
	s_clause 0x6
	s_load_dword s3, s[4:5], 0x80
	s_load_dwordx2 s[34:35], s[4:5], 0x10
	s_load_dwordx2 s[0:1], s[4:5], 0x68
	s_load_dword s7, s[4:5], 0x8
	s_load_dwordx4 s[24:27], s[4:5], 0x58
	s_load_dwordx2 s[40:41], s[4:5], 0xa8
	s_load_dwordx8 s[16:23], s[4:5], 0x88
	s_mul_i32 s42, s6, 0xd00
	s_waitcnt lgkmcnt(0)
	s_mul_i32 s2, s3, 0xd00
	s_add_i32 s3, s3, -1
	s_add_u32 s8, s34, s2
	s_addc_u32 s9, s35, 0
	s_load_dwordx4 s[28:31], s[26:27], 0x0
	s_cmp_eq_u32 s6, s3
	v_cmp_gt_u64_e64 s1, s[0:1], s[8:9]
	s_cselect_b32 s33, -1, 0
	s_cmp_lg_u32 s6, s3
	s_cselect_b32 s3, -1, 0
	s_add_i32 s7, s7, s42
	s_or_b32 s1, s3, s1
	s_add_i32 s7, s7, s34
	s_and_b32 vcc_lo, exec_lo, s1
	v_add_nc_u32_e32 v1, s7, v0
	s_mov_b32 s3, -1
	v_add_nc_u32_e32 v2, 0x100, v1
	v_add_nc_u32_e32 v3, 0x200, v1
	;; [unrolled: 1-line block ×12, first 2 shown]
	s_cbranch_vccz .LBB436_2
; %bb.1:
	v_lshlrev_b32_e32 v14, 2, v0
	s_mov_b32 s3, 0
	ds_write2st64_b32 v14, v1, v2 offset1:4
	ds_write2st64_b32 v14, v3, v4 offset0:8 offset1:12
	ds_write2st64_b32 v14, v5, v6 offset0:16 offset1:20
	;; [unrolled: 1-line block ×5, first 2 shown]
	ds_write_b32 v14, v13 offset:12288
	s_waitcnt lgkmcnt(0)
	s_barrier
.LBB436_2:
	s_andn2_b32 vcc_lo, exec_lo, s3
	s_add_i32 s2, s2, s34
	s_cbranch_vccnz .LBB436_4
; %bb.3:
	v_lshlrev_b32_e32 v14, 2, v0
	ds_write2st64_b32 v14, v1, v2 offset1:4
	ds_write2st64_b32 v14, v3, v4 offset0:8 offset1:12
	ds_write2st64_b32 v14, v5, v6 offset0:16 offset1:20
	;; [unrolled: 1-line block ×5, first 2 shown]
	ds_write_b32 v14, v13 offset:12288
	s_waitcnt lgkmcnt(0)
	s_barrier
.LBB436_4:
	v_mul_u32_u24_e32 v29, 13, v0
	s_clause 0x1
	s_load_dwordx4 s[36:39], s[4:5], 0x28
	s_load_dwordx2 s[26:27], s[4:5], 0x38
	s_waitcnt lgkmcnt(0)
	buffer_gl0_inv
	v_cndmask_b32_e64 v27, 0, 1, s1
	s_sub_i32 s43, s0, s2
	v_lshlrev_b32_e32 v1, 2, v29
	s_andn2_b32 vcc_lo, exec_lo, s1
	ds_read_b32 v28, v1 offset:48
	ds_read2_b32 v[9:10], v1 offset0:10 offset1:11
	ds_read2_b32 v[11:12], v1 offset0:8 offset1:9
	;; [unrolled: 1-line block ×4, first 2 shown]
	ds_read2_b32 v[19:20], v1 offset1:1
	ds_read2_b32 v[17:18], v1 offset0:2 offset1:3
	s_waitcnt lgkmcnt(0)
	s_barrier
	buffer_gl0_inv
	s_cbranch_vccnz .LBB436_32
; %bb.5:
	v_add_nc_u32_e32 v1, s17, v19
	v_add_nc_u32_e32 v2, s19, v19
	s_mov_b32 s45, 0
	s_mov_b32 s44, 0
	s_mov_b32 s1, exec_lo
	v_mul_lo_u32 v1, v1, s16
	v_mul_lo_u32 v2, v2, s18
	v_sub_nc_u32_e32 v1, v1, v2
	v_cmp_lt_u32_e32 vcc_lo, s20, v1
	v_cmpx_ge_u32_e64 s20, v1
	s_cbranch_execz .LBB436_7
; %bb.6:
	v_add_nc_u32_e32 v1, s22, v19
	v_add_nc_u32_e32 v2, s40, v19
	v_mul_lo_u32 v1, v1, s21
	v_mul_lo_u32 v2, v2, s23
	v_sub_nc_u32_e32 v1, v1, v2
	v_cmp_lt_u32_e64 s0, s41, v1
	s_and_b32 s44, s0, exec_lo
.LBB436_7:
	s_or_b32 exec_lo, exec_lo, s1
	v_add_nc_u32_e32 v1, s17, v20
	v_add_nc_u32_e32 v2, s19, v20
	s_mov_b32 s2, exec_lo
	v_mul_lo_u32 v1, v1, s16
	v_mul_lo_u32 v2, v2, s18
	v_sub_nc_u32_e32 v1, v1, v2
	v_cmp_lt_u32_e64 s0, s20, v1
	v_cmpx_ge_u32_e64 s20, v1
	s_cbranch_execz .LBB436_9
; %bb.8:
	v_add_nc_u32_e32 v1, s22, v20
	v_add_nc_u32_e32 v2, s40, v20
	v_mul_lo_u32 v1, v1, s21
	v_mul_lo_u32 v2, v2, s23
	v_sub_nc_u32_e32 v1, v1, v2
	v_cmp_lt_u32_e64 s1, s41, v1
	s_and_b32 s45, s1, exec_lo
.LBB436_9:
	s_or_b32 exec_lo, exec_lo, s2
	v_add_nc_u32_e32 v1, s17, v17
	v_add_nc_u32_e32 v2, s19, v17
	s_mov_b32 s47, 0
	s_mov_b32 s46, 0
	s_mov_b32 s3, exec_lo
	v_mul_lo_u32 v1, v1, s16
	v_mul_lo_u32 v2, v2, s18
	v_sub_nc_u32_e32 v1, v1, v2
	v_cmp_lt_u32_e64 s1, s20, v1
	v_cmpx_ge_u32_e64 s20, v1
	s_cbranch_execz .LBB436_11
; %bb.10:
	v_add_nc_u32_e32 v1, s22, v17
	v_add_nc_u32_e32 v2, s40, v17
	v_mul_lo_u32 v1, v1, s21
	v_mul_lo_u32 v2, v2, s23
	v_sub_nc_u32_e32 v1, v1, v2
	v_cmp_lt_u32_e64 s2, s41, v1
	s_and_b32 s46, s2, exec_lo
.LBB436_11:
	s_or_b32 exec_lo, exec_lo, s3
	v_add_nc_u32_e32 v1, s17, v18
	v_add_nc_u32_e32 v2, s19, v18
	s_mov_b32 s7, exec_lo
	v_mul_lo_u32 v1, v1, s16
	v_mul_lo_u32 v2, v2, s18
	v_sub_nc_u32_e32 v1, v1, v2
	v_cmp_lt_u32_e64 s2, s20, v1
	v_cmpx_ge_u32_e64 s20, v1
	s_cbranch_execz .LBB436_13
; %bb.12:
	v_add_nc_u32_e32 v1, s22, v18
	v_add_nc_u32_e32 v2, s40, v18
	v_mul_lo_u32 v1, v1, s21
	v_mul_lo_u32 v2, v2, s23
	v_sub_nc_u32_e32 v1, v1, v2
	v_cmp_lt_u32_e64 s3, s41, v1
	s_and_b32 s47, s3, exec_lo
.LBB436_13:
	s_or_b32 exec_lo, exec_lo, s7
	v_add_nc_u32_e32 v1, s17, v15
	v_add_nc_u32_e32 v2, s19, v15
	s_mov_b32 s49, 0
	s_mov_b32 s48, 0
	s_mov_b32 s8, exec_lo
	v_mul_lo_u32 v1, v1, s16
	v_mul_lo_u32 v2, v2, s18
	v_sub_nc_u32_e32 v1, v1, v2
	v_cmp_lt_u32_e64 s3, s20, v1
	;; [unrolled: 40-line block ×6, first 2 shown]
	v_cmpx_ge_u32_e64 s20, v1
	s_cbranch_execz .LBB436_31
; %bb.30:
	v_add_nc_u32_e32 v1, s22, v28
	v_add_nc_u32_e32 v2, s40, v28
	v_mul_lo_u32 v1, v1, s21
	v_mul_lo_u32 v2, v2, s23
	v_sub_nc_u32_e32 v1, v1, v2
	v_cmp_lt_u32_e64 s15, s41, v1
	s_and_b32 s57, s15, exec_lo
.LBB436_31:
	s_or_b32 exec_lo, exec_lo, s58
	v_cndmask_b32_e64 v2, 0, 1, s0
	v_cndmask_b32_e64 v4, 0, 1, s2
	v_cndmask_b32_e64 v1, 0, 1, vcc_lo
	v_cndmask_b32_e64 v3, 0, 1, s1
	v_cndmask_b32_e64 v6, 0, 1, s7
	v_lshlrev_b16 v2, 8, v2
	v_lshlrev_b16 v4, 8, v4
	v_cndmask_b32_e64 v8, 0, 1, s9
	v_cndmask_b32_e64 v22, 0, 1, s11
	;; [unrolled: 1-line block ×3, first 2 shown]
	v_or_b32_e32 v1, v1, v2
	v_or_b32_sdwa v2, v3, v4 dst_sel:WORD_1 dst_unused:UNUSED_PAD src0_sel:DWORD src1_sel:DWORD
	v_cndmask_b32_e64 v3, 0, 1, s44
	v_cndmask_b32_e64 v5, 0, 1, s3
	;; [unrolled: 1-line block ×11, first 2 shown]
	v_or_b32_sdwa v30, v1, v2 dst_sel:DWORD dst_unused:UNUSED_PAD src0_sel:WORD_0 src1_sel:DWORD
	v_lshlrev_b16 v1, 8, v6
	v_lshlrev_b16 v2, 8, v8
	;; [unrolled: 1-line block ×5, first 2 shown]
	v_cndmask_b32_e64 v26, 0, 1, s53
	v_cndmask_b32_e64 v32, 0, 1, s51
	v_cndmask_b32_e64 v35, 0, 1, s49
	v_cndmask_b32_e64 v38, 0, 1, s47
	v_cndmask_b32_e64 v40, 0, 1, s45
	v_or_b32_e32 v1, v5, v1
	v_or_b32_sdwa v2, v7, v2 dst_sel:WORD_1 dst_unused:UNUSED_PAD src0_sel:DWORD src1_sel:DWORD
	v_or_b32_e32 v5, v21, v6
	v_or_b32_sdwa v6, v23, v8 dst_sel:WORD_1 dst_unused:UNUSED_PAD src0_sel:DWORD src1_sel:DWORD
	v_or_b32_e32 v3, v4, v3
	v_lshlrev_b16 v4, 8, v39
	v_lshlrev_b16 v7, 8, v36
	;; [unrolled: 1-line block ×5, first 2 shown]
	v_or_b32_sdwa v4, v40, v4 dst_sel:WORD_1 dst_unused:UNUSED_PAD src0_sel:DWORD src1_sel:DWORD
	v_or_b32_e32 v7, v38, v7
	v_or_b32_sdwa v8, v35, v8 dst_sel:WORD_1 dst_unused:UNUSED_PAD src0_sel:DWORD src1_sel:DWORD
	v_or_b32_e32 v21, v32, v21
	v_or_b32_sdwa v22, v26, v22 dst_sel:WORD_1 dst_unused:UNUSED_PAD src0_sel:DWORD src1_sel:DWORD
	v_cndmask_b32_e64 v34, 0, 1, s55
	v_cndmask_b32_e64 v37, 0, 1, s57
	v_or_b32_sdwa v32, v1, v2 dst_sel:DWORD dst_unused:UNUSED_PAD src0_sel:WORD_0 src1_sel:DWORD
	v_or_b32_sdwa v35, v5, v6 dst_sel:DWORD dst_unused:UNUSED_PAD src0_sel:WORD_0 src1_sel:DWORD
	;; [unrolled: 1-line block ×5, first 2 shown]
	s_load_dwordx2 s[4:5], s[4:5], 0x78
	s_and_b32 vcc_lo, exec_lo, s54
	s_add_i32 s7, s43, 0xd00
	s_cbranch_vccnz .LBB436_33
	s_branch .LBB436_110
.LBB436_32:
                                        ; implicit-def: $vgpr37
                                        ; implicit-def: $vgpr34
                                        ; implicit-def: $vgpr33
                                        ; implicit-def: $vgpr31
                                        ; implicit-def: $vgpr36
                                        ; implicit-def: $vgpr35
                                        ; implicit-def: $vgpr32
                                        ; implicit-def: $vgpr30
	s_load_dwordx2 s[4:5], s[4:5], 0x78
	s_add_i32 s7, s43, 0xd00
	s_cbranch_execz .LBB436_110
.LBB436_33:
	v_mov_b32_e32 v2, 0
	v_mov_b32_e32 v1, 0
	s_mov_b32 s1, exec_lo
	v_cmpx_gt_u32_e64 s7, v29
	s_cbranch_execz .LBB436_37
; %bb.34:
	v_add_nc_u32_e32 v1, s17, v19
	v_add_nc_u32_e32 v2, s19, v19
	s_mov_b32 s3, 0
	s_mov_b32 s2, exec_lo
	v_mul_lo_u32 v1, v1, s16
	v_mul_lo_u32 v2, v2, s18
	v_sub_nc_u32_e32 v1, v1, v2
	v_cmp_lt_u32_e32 vcc_lo, s20, v1
	v_cmpx_ge_u32_e64 s20, v1
	s_cbranch_execz .LBB436_36
; %bb.35:
	v_add_nc_u32_e32 v1, s22, v19
	v_add_nc_u32_e32 v2, s40, v19
	v_mul_lo_u32 v1, v1, s21
	v_mul_lo_u32 v2, v2, s23
	v_sub_nc_u32_e32 v1, v1, v2
	v_cmp_lt_u32_e64 s0, s41, v1
	s_and_b32 s3, s0, exec_lo
.LBB436_36:
	s_or_b32 exec_lo, exec_lo, s2
	v_cndmask_b32_e64 v2, 0, 1, s3
	v_cndmask_b32_e64 v1, 0, 1, vcc_lo
.LBB436_37:
	s_or_b32 exec_lo, exec_lo, s1
	v_add_nc_u32_e32 v3, 1, v29
	v_lshlrev_b16 v21, 8, v2
	v_and_b32_e32 v6, 0xff, v1
	v_lshlrev_b16 v7, 8, 0
                                        ; implicit-def: $vgpr5
                                        ; implicit-def: $vgpr8
                                        ; implicit-def: $vgpr2
                                        ; implicit-def: $vgpr4
	v_cmp_le_u32_e32 vcc_lo, s7, v3
                                        ; implicit-def: $vgpr3
	s_and_saveexec_b32 s0, vcc_lo
	s_xor_b32 s0, exec_lo, s0
	s_cbranch_execz .LBB436_39
; %bb.38:
	v_mov_b32_e32 v1, 8
	v_mov_b32_e32 v2, 0xff
	;; [unrolled: 1-line block ×3, first 2 shown]
	v_and_b32_e32 v4, 0xffff, v7
	v_and_b32_e32 v3, 0xffff, v7
	v_lshrrev_b32_sdwa v1, v1, v21 dst_sel:BYTE_1 dst_unused:UNUSED_PAD src0_sel:DWORD src1_sel:WORD_0
	v_and_b32_sdwa v2, v21, v2 dst_sel:DWORD dst_unused:UNUSED_PAD src0_sel:WORD_0 src1_sel:DWORD
                                        ; implicit-def: $vgpr21
	v_or_b32_e32 v1, v2, v1
	v_and_b32_e32 v2, 0xffff, v7
                                        ; implicit-def: $vgpr7
	v_and_b32_e32 v8, 0xffff, v1
                                        ; implicit-def: $vgpr1
.LBB436_39:
	s_andn2_saveexec_b32 s1, s0
	s_cbranch_execz .LBB436_43
; %bb.40:
	v_add_nc_u32_e32 v2, s17, v20
	v_add_nc_u32_e32 v3, s19, v20
	s_mov_b32 s2, 0
	s_mov_b32 s3, exec_lo
	v_mul_lo_u32 v2, v2, s16
	v_mul_lo_u32 v3, v3, s18
	v_sub_nc_u32_e32 v2, v2, v3
	v_cmp_lt_u32_e32 vcc_lo, s20, v2
	v_cmpx_ge_u32_e64 s20, v2
	s_cbranch_execz .LBB436_42
; %bb.41:
	v_add_nc_u32_e32 v2, s22, v20
	v_add_nc_u32_e32 v3, s40, v20
	v_mul_lo_u32 v2, v2, s21
	v_mul_lo_u32 v3, v3, s23
	v_sub_nc_u32_e32 v2, v2, v3
	v_cmp_lt_u32_e64 s0, s41, v2
	s_and_b32 s2, s0, exec_lo
.LBB436_42:
	s_or_b32 exec_lo, exec_lo, s3
	v_mov_b32_e32 v2, 0xff
	v_mov_b32_e32 v3, 8
	v_cndmask_b32_e64 v4, 0, 1, vcc_lo
	v_mov_b32_e32 v5, 0
	v_and_b32_sdwa v2, v21, v2 dst_sel:DWORD dst_unused:UNUSED_PAD src0_sel:WORD_0 src1_sel:DWORD
	v_lshrrev_b32_sdwa v3, v3, v21 dst_sel:BYTE_1 dst_unused:UNUSED_PAD src0_sel:DWORD src1_sel:WORD_0
	v_lshlrev_b16 v4, 8, v4
	v_or_b32_e32 v2, v2, v3
	v_cndmask_b32_e64 v3, 0, 1, s2
	v_or_b32_sdwa v1, v1, v4 dst_sel:DWORD dst_unused:UNUSED_PAD src0_sel:BYTE_0 src1_sel:DWORD
	v_and_b32_e32 v4, 0xffff, v7
	v_and_b32_e32 v8, 0xffff, v2
	v_mov_b32_e32 v2, 0
	v_and_b32_e32 v6, 0xffff, v1
	v_lshl_or_b32 v8, v3, 16, v8
	v_and_b32_e32 v3, 0xffff, v7
.LBB436_43:
	s_or_b32 exec_lo, exec_lo, s1
	v_add_nc_u32_e32 v1, 2, v29
                                        ; implicit-def: $vgpr7
	v_cmp_le_u32_e32 vcc_lo, s7, v1
                                        ; implicit-def: $vgpr1
	s_and_saveexec_b32 s0, vcc_lo
	s_xor_b32 s0, exec_lo, s0
	s_cbranch_execz .LBB436_45
; %bb.44:
	v_lshrrev_b32_e32 v1, 24, v6
	v_mov_b32_e32 v7, 8
	v_and_b32_e32 v21, 0xff0000, v8
	v_perm_b32 v4, v4, v4, 0x3060504
	v_perm_b32 v1, v1, v6, 0x40c0100
	v_lshrrev_b32_sdwa v6, v7, v1 dst_sel:BYTE_1 dst_unused:UNUSED_PAD src0_sel:DWORD src1_sel:DWORD
	v_or_b32_sdwa v6, v1, v6 dst_sel:DWORD dst_unused:UNUSED_PAD src0_sel:BYTE_0 src1_sel:DWORD
	v_and_b32_e32 v6, 0xffff, v6
	v_and_or_b32 v7, 0xff000000, v1, v6
	v_perm_b32 v1, v8, v21, 0x3020504
                                        ; implicit-def: $vgpr6
                                        ; implicit-def: $vgpr8
.LBB436_45:
	s_andn2_saveexec_b32 s1, s0
	s_cbranch_execz .LBB436_49
; %bb.46:
	v_add_nc_u32_e32 v1, s17, v17
	v_add_nc_u32_e32 v7, s19, v17
	s_mov_b32 s2, 0
	s_mov_b32 s3, exec_lo
	v_mul_lo_u32 v1, v1, s16
	v_mul_lo_u32 v7, v7, s18
	v_sub_nc_u32_e32 v1, v1, v7
	v_cmp_lt_u32_e32 vcc_lo, s20, v1
	v_cmpx_ge_u32_e64 s20, v1
	s_cbranch_execz .LBB436_48
; %bb.47:
	v_add_nc_u32_e32 v1, s22, v17
	v_add_nc_u32_e32 v7, s40, v17
	v_mul_lo_u32 v1, v1, s21
	v_mul_lo_u32 v7, v7, s23
	v_sub_nc_u32_e32 v1, v1, v7
	v_cmp_lt_u32_e64 s0, s41, v1
	s_and_b32 s2, s0, exec_lo
.LBB436_48:
	s_or_b32 exec_lo, exec_lo, s3
	v_mov_b32_e32 v1, 8
	v_mov_b32_e32 v7, 24
	v_cndmask_b32_e64 v22, 0, 1, s2
	v_mov_b32_e32 v23, 0xff
	v_cndmask_b32_e64 v21, 0, 1, vcc_lo
	v_lshrrev_b32_sdwa v24, v1, v6 dst_sel:BYTE_1 dst_unused:UNUSED_PAD src0_sel:DWORD src1_sel:DWORD
	v_lshrrev_b32_sdwa v7, v7, v6 dst_sel:BYTE_1 dst_unused:UNUSED_PAD src0_sel:DWORD src1_sel:DWORD
	;; [unrolled: 1-line block ×3, first 2 shown]
	v_lshlrev_b16 v22, 8, v22
	v_and_b32_sdwa v23, v8, v23 dst_sel:DWORD dst_unused:UNUSED_PAD src0_sel:WORD_1 src1_sel:DWORD
	v_or_b32_sdwa v6, v6, v24 dst_sel:DWORD dst_unused:UNUSED_PAD src0_sel:BYTE_0 src1_sel:DWORD
	v_or_b32_sdwa v7, v21, v7 dst_sel:WORD_1 dst_unused:UNUSED_PAD src0_sel:DWORD src1_sel:DWORD
	v_or_b32_sdwa v1, v8, v1 dst_sel:DWORD dst_unused:UNUSED_PAD src0_sel:BYTE_0 src1_sel:DWORD
	v_or_b32_sdwa v8, v23, v22 dst_sel:WORD_1 dst_unused:UNUSED_PAD src0_sel:DWORD src1_sel:DWORD
	v_or_b32_sdwa v7, v6, v7 dst_sel:DWORD dst_unused:UNUSED_PAD src0_sel:WORD_0 src1_sel:DWORD
	v_or_b32_sdwa v1, v1, v8 dst_sel:DWORD dst_unused:UNUSED_PAD src0_sel:WORD_0 src1_sel:DWORD
.LBB436_49:
	s_or_b32 exec_lo, exec_lo, s1
	v_add_nc_u32_e32 v6, 3, v29
                                        ; implicit-def: $vgpr30
	v_cmp_le_u32_e32 vcc_lo, s7, v6
                                        ; implicit-def: $vgpr6
	s_and_saveexec_b32 s0, vcc_lo
	s_xor_b32 s0, exec_lo, s0
	s_cbranch_execz .LBB436_51
; %bb.50:
	v_mov_b32_e32 v6, 24
	v_mov_b32_e32 v8, 0xff
	;; [unrolled: 1-line block ×3, first 2 shown]
	v_and_b32_e32 v22, 0xff0000, v7
	v_perm_b32 v4, v4, v4, 0x3060504
	v_lshrrev_b32_sdwa v6, v6, v5 dst_sel:BYTE_1 dst_unused:UNUSED_PAD src0_sel:DWORD src1_sel:DWORD
	v_and_b32_sdwa v8, v5, v8 dst_sel:DWORD dst_unused:UNUSED_PAD src0_sel:WORD_1 src1_sel:DWORD
	v_lshrrev_b32_sdwa v5, v21, v5 dst_sel:BYTE_1 dst_unused:UNUSED_PAD src0_sel:DWORD src1_sel:DWORD
	v_perm_b32 v30, v7, v22, 0x3020504
	v_perm_b32 v3, v3, v3, 0x3060504
                                        ; implicit-def: $vgpr7
	v_or_b32_sdwa v6, v8, v6 dst_sel:WORD_1 dst_unused:UNUSED_PAD src0_sel:DWORD src1_sel:DWORD
	v_or_b32_sdwa v6, v5, v6 dst_sel:DWORD dst_unused:UNUSED_PAD src0_sel:WORD_0 src1_sel:DWORD
                                        ; implicit-def: $vgpr5
.LBB436_51:
	s_andn2_saveexec_b32 s1, s0
	s_cbranch_execz .LBB436_55
; %bb.52:
	v_add_nc_u32_e32 v6, s17, v18
	v_add_nc_u32_e32 v8, s19, v18
	s_mov_b32 s2, 0
	s_mov_b32 s3, exec_lo
	v_mul_lo_u32 v6, v6, s16
	v_mul_lo_u32 v8, v8, s18
	v_sub_nc_u32_e32 v6, v6, v8
	v_cmp_lt_u32_e32 vcc_lo, s20, v6
	v_cmpx_ge_u32_e64 s20, v6
	s_cbranch_execz .LBB436_54
; %bb.53:
	v_add_nc_u32_e32 v6, s22, v18
	v_add_nc_u32_e32 v8, s40, v18
	v_mul_lo_u32 v6, v6, s21
	v_mul_lo_u32 v8, v8, s23
	v_sub_nc_u32_e32 v6, v6, v8
	v_cmp_lt_u32_e64 s0, s41, v6
	s_and_b32 s2, s0, exec_lo
.LBB436_54:
	s_or_b32 exec_lo, exec_lo, s3
	v_mov_b32_e32 v6, 8
	v_cndmask_b32_e64 v8, 0, 1, vcc_lo
	v_mov_b32_e32 v21, 0xff
	v_mov_b32_e32 v22, 24
	v_cndmask_b32_e64 v23, 0, 1, s2
	v_lshrrev_b32_sdwa v24, v6, v7 dst_sel:BYTE_1 dst_unused:UNUSED_PAD src0_sel:DWORD src1_sel:DWORD
	v_lshlrev_b16 v8, 8, v8
	v_and_b32_sdwa v25, v7, v21 dst_sel:DWORD dst_unused:UNUSED_PAD src0_sel:WORD_1 src1_sel:DWORD
	v_lshrrev_b32_sdwa v22, v22, v5 dst_sel:BYTE_1 dst_unused:UNUSED_PAD src0_sel:DWORD src1_sel:DWORD
	v_and_b32_sdwa v21, v5, v21 dst_sel:DWORD dst_unused:UNUSED_PAD src0_sel:WORD_1 src1_sel:DWORD
	v_lshrrev_b32_sdwa v5, v6, v5 dst_sel:BYTE_1 dst_unused:UNUSED_PAD src0_sel:DWORD src1_sel:DWORD
	v_or_b32_sdwa v6, v7, v24 dst_sel:DWORD dst_unused:UNUSED_PAD src0_sel:BYTE_0 src1_sel:DWORD
	v_or_b32_sdwa v7, v25, v8 dst_sel:WORD_1 dst_unused:UNUSED_PAD src0_sel:DWORD src1_sel:DWORD
	v_or_b32_sdwa v8, v21, v22 dst_sel:WORD_1 dst_unused:UNUSED_PAD src0_sel:DWORD src1_sel:DWORD
	v_or_b32_e32 v5, v23, v5
	v_or_b32_sdwa v30, v6, v7 dst_sel:DWORD dst_unused:UNUSED_PAD src0_sel:WORD_0 src1_sel:DWORD
	v_or_b32_sdwa v6, v5, v8 dst_sel:DWORD dst_unused:UNUSED_PAD src0_sel:WORD_0 src1_sel:DWORD
.LBB436_55:
	s_or_b32 exec_lo, exec_lo, s1
	v_add_nc_u32_e32 v5, 4, v29
                                        ; implicit-def: $vgpr7
	v_cmp_le_u32_e32 vcc_lo, s7, v5
                                        ; implicit-def: $vgpr5
	s_and_saveexec_b32 s0, vcc_lo
	s_xor_b32 s0, exec_lo, s0
	s_cbranch_execz .LBB436_57
; %bb.56:
	v_mov_b32_e32 v5, 24
	v_mov_b32_e32 v7, 0xff
	v_mov_b32_e32 v8, 8
	v_perm_b32 v3, v3, v3, 0x3060504
	v_lshrrev_b32_sdwa v21, v5, v4 dst_sel:BYTE_1 dst_unused:UNUSED_PAD src0_sel:DWORD src1_sel:DWORD
	v_and_b32_sdwa v22, v4, v7 dst_sel:DWORD dst_unused:UNUSED_PAD src0_sel:WORD_1 src1_sel:DWORD
	v_lshrrev_b32_sdwa v5, v5, v6 dst_sel:BYTE_1 dst_unused:UNUSED_PAD src0_sel:DWORD src1_sel:DWORD
	v_and_b32_sdwa v7, v6, v7 dst_sel:DWORD dst_unused:UNUSED_PAD src0_sel:WORD_1 src1_sel:DWORD
	v_lshrrev_b32_sdwa v4, v8, v4 dst_sel:BYTE_1 dst_unused:UNUSED_PAD src0_sel:DWORD src1_sel:DWORD
	v_or_b32_sdwa v8, v22, v21 dst_sel:WORD_1 dst_unused:UNUSED_PAD src0_sel:DWORD src1_sel:DWORD
	v_or_b32_e32 v7, v7, v5
	v_or_b32_sdwa v5, v4, v8 dst_sel:DWORD dst_unused:UNUSED_PAD src0_sel:WORD_0 src1_sel:DWORD
                                        ; implicit-def: $vgpr4
	v_perm_b32 v7, v7, v6, 0x5040c00
                                        ; implicit-def: $vgpr6
.LBB436_57:
	s_andn2_saveexec_b32 s1, s0
	s_cbranch_execz .LBB436_61
; %bb.58:
	v_add_nc_u32_e32 v5, s17, v15
	v_add_nc_u32_e32 v7, s19, v15
	s_mov_b32 s2, 0
	s_mov_b32 s3, exec_lo
	v_mul_lo_u32 v5, v5, s16
	v_mul_lo_u32 v7, v7, s18
	v_sub_nc_u32_e32 v5, v5, v7
	v_cmp_lt_u32_e32 vcc_lo, s20, v5
	v_cmpx_ge_u32_e64 s20, v5
	s_cbranch_execz .LBB436_60
; %bb.59:
	v_add_nc_u32_e32 v5, s22, v15
	v_add_nc_u32_e32 v7, s40, v15
	v_mul_lo_u32 v5, v5, s21
	v_mul_lo_u32 v7, v7, s23
	v_sub_nc_u32_e32 v5, v5, v7
	v_cmp_lt_u32_e64 s0, s41, v5
	s_and_b32 s2, s0, exec_lo
.LBB436_60:
	s_or_b32 exec_lo, exec_lo, s3
	v_mov_b32_e32 v5, 24
	v_mov_b32_e32 v7, 0xff
	;; [unrolled: 1-line block ×3, first 2 shown]
	v_cndmask_b32_e64 v21, 0, 1, s2
	v_cndmask_b32_e64 v22, 0, 1, vcc_lo
	v_lshrrev_b32_sdwa v23, v5, v4 dst_sel:BYTE_1 dst_unused:UNUSED_PAD src0_sel:DWORD src1_sel:DWORD
	v_and_b32_sdwa v24, v4, v7 dst_sel:DWORD dst_unused:UNUSED_PAD src0_sel:WORD_1 src1_sel:DWORD
	v_lshrrev_b32_sdwa v4, v8, v4 dst_sel:BYTE_1 dst_unused:UNUSED_PAD src0_sel:DWORD src1_sel:DWORD
	v_lshlrev_b16 v8, 8, v21
	v_lshrrev_b32_sdwa v5, v5, v6 dst_sel:BYTE_1 dst_unused:UNUSED_PAD src0_sel:DWORD src1_sel:DWORD
	v_and_b32_sdwa v7, v6, v7 dst_sel:DWORD dst_unused:UNUSED_PAD src0_sel:WORD_1 src1_sel:DWORD
	v_or_b32_sdwa v21, v24, v23 dst_sel:WORD_1 dst_unused:UNUSED_PAD src0_sel:DWORD src1_sel:DWORD
	v_or_b32_e32 v4, v22, v4
	v_or_b32_sdwa v6, v6, v8 dst_sel:DWORD dst_unused:UNUSED_PAD src0_sel:BYTE_0 src1_sel:DWORD
	v_or_b32_sdwa v7, v7, v5 dst_sel:WORD_1 dst_unused:UNUSED_PAD src0_sel:DWORD src1_sel:DWORD
	v_or_b32_sdwa v5, v4, v21 dst_sel:DWORD dst_unused:UNUSED_PAD src0_sel:WORD_0 src1_sel:DWORD
	v_or_b32_sdwa v7, v6, v7 dst_sel:DWORD dst_unused:UNUSED_PAD src0_sel:WORD_0 src1_sel:DWORD
.LBB436_61:
	s_or_b32 exec_lo, exec_lo, s1
	v_add_nc_u32_e32 v4, 5, v29
                                        ; implicit-def: $vgpr6
	v_cmp_le_u32_e32 vcc_lo, s7, v4
                                        ; implicit-def: $vgpr4
	s_and_saveexec_b32 s0, vcc_lo
	s_xor_b32 s0, exec_lo, s0
	s_cbranch_execz .LBB436_63
; %bb.62:
	v_lshrrev_b32_e32 v4, 24, v7
	v_mov_b32_e32 v6, 8
	v_mov_b32_e32 v8, 0xff
	v_perm_b32 v3, v3, v3, 0x3060504
	v_perm_b32 v4, v4, v7, 0x40c0100
	v_mov_b32_e32 v7, 24
	v_and_b32_sdwa v8, v5, v8 dst_sel:DWORD dst_unused:UNUSED_PAD src0_sel:WORD_1 src1_sel:DWORD
	v_lshrrev_b32_sdwa v6, v6, v4 dst_sel:BYTE_1 dst_unused:UNUSED_PAD src0_sel:DWORD src1_sel:DWORD
	v_lshrrev_b32_sdwa v7, v7, v5 dst_sel:BYTE_1 dst_unused:UNUSED_PAD src0_sel:DWORD src1_sel:DWORD
	v_or_b32_sdwa v6, v4, v6 dst_sel:DWORD dst_unused:UNUSED_PAD src0_sel:BYTE_0 src1_sel:DWORD
	v_or_b32_e32 v7, v8, v7
	v_and_b32_e32 v8, 0xffff, v6
	v_perm_b32 v6, v7, v5, 0x5040c00
                                        ; implicit-def: $vgpr5
                                        ; implicit-def: $vgpr7
	v_and_or_b32 v4, 0xff000000, v4, v8
.LBB436_63:
	s_andn2_saveexec_b32 s1, s0
	s_cbranch_execz .LBB436_67
; %bb.64:
	v_add_nc_u32_e32 v4, s17, v16
	v_add_nc_u32_e32 v6, s19, v16
	s_mov_b32 s2, 0
	s_mov_b32 s3, exec_lo
	v_mul_lo_u32 v4, v4, s16
	v_mul_lo_u32 v6, v6, s18
	v_sub_nc_u32_e32 v4, v4, v6
	v_cmp_lt_u32_e32 vcc_lo, s20, v4
	v_cmpx_ge_u32_e64 s20, v4
	s_cbranch_execz .LBB436_66
; %bb.65:
	v_add_nc_u32_e32 v4, s22, v16
	v_add_nc_u32_e32 v6, s40, v16
	v_mul_lo_u32 v4, v4, s21
	v_mul_lo_u32 v6, v6, s23
	v_sub_nc_u32_e32 v4, v4, v6
	v_cmp_lt_u32_e64 s0, s41, v4
	s_and_b32 s2, s0, exec_lo
.LBB436_66:
	s_or_b32 exec_lo, exec_lo, s3
	v_cndmask_b32_e64 v4, 0, 1, vcc_lo
	v_mov_b32_e32 v6, 24
	v_mov_b32_e32 v8, 0xff
	;; [unrolled: 1-line block ×3, first 2 shown]
	v_cndmask_b32_e64 v22, 0, 1, s2
	v_lshlrev_b16 v4, 8, v4
	v_lshrrev_b32_sdwa v23, v6, v5 dst_sel:BYTE_1 dst_unused:UNUSED_PAD src0_sel:DWORD src1_sel:DWORD
	v_and_b32_sdwa v8, v5, v8 dst_sel:DWORD dst_unused:UNUSED_PAD src0_sel:WORD_1 src1_sel:DWORD
	v_lshrrev_b32_sdwa v21, v21, v7 dst_sel:BYTE_1 dst_unused:UNUSED_PAD src0_sel:DWORD src1_sel:DWORD
	v_lshrrev_b32_sdwa v6, v6, v7 dst_sel:BYTE_1 dst_unused:UNUSED_PAD src0_sel:DWORD src1_sel:DWORD
	v_or_b32_sdwa v4, v5, v4 dst_sel:DWORD dst_unused:UNUSED_PAD src0_sel:BYTE_0 src1_sel:DWORD
	v_or_b32_sdwa v5, v8, v23 dst_sel:WORD_1 dst_unused:UNUSED_PAD src0_sel:DWORD src1_sel:DWORD
	v_or_b32_sdwa v7, v7, v21 dst_sel:DWORD dst_unused:UNUSED_PAD src0_sel:BYTE_0 src1_sel:DWORD
	v_or_b32_sdwa v8, v22, v6 dst_sel:WORD_1 dst_unused:UNUSED_PAD src0_sel:DWORD src1_sel:DWORD
	v_or_b32_sdwa v6, v4, v5 dst_sel:DWORD dst_unused:UNUSED_PAD src0_sel:WORD_0 src1_sel:DWORD
	v_or_b32_sdwa v4, v7, v8 dst_sel:DWORD dst_unused:UNUSED_PAD src0_sel:WORD_0 src1_sel:DWORD
.LBB436_67:
	s_or_b32 exec_lo, exec_lo, s1
	v_add_nc_u32_e32 v5, 6, v29
                                        ; implicit-def: $vgpr31
	v_cmp_le_u32_e32 vcc_lo, s7, v5
                                        ; implicit-def: $vgpr5
	s_and_saveexec_b32 s0, vcc_lo
	s_xor_b32 s0, exec_lo, s0
	s_cbranch_execz .LBB436_69
; %bb.68:
	v_lshrrev_b32_e32 v5, 24, v6
	v_mov_b32_e32 v7, 8
	v_perm_b32 v3, v3, v3, 0x3060504
	v_perm_b32 v5, v5, v6, 0x40c0100
	v_lshrrev_b32_sdwa v6, v7, v5 dst_sel:BYTE_1 dst_unused:UNUSED_PAD src0_sel:DWORD src1_sel:DWORD
	v_and_b32_e32 v7, 0xff0000, v4
	v_or_b32_sdwa v6, v5, v6 dst_sel:DWORD dst_unused:UNUSED_PAD src0_sel:BYTE_0 src1_sel:DWORD
	v_perm_b32 v31, v4, v7, 0x3020504
                                        ; implicit-def: $vgpr4
	v_and_b32_e32 v6, 0xffff, v6
	v_and_or_b32 v5, 0xff000000, v5, v6
                                        ; implicit-def: $vgpr6
.LBB436_69:
	s_andn2_saveexec_b32 s1, s0
	s_cbranch_execz .LBB436_73
; %bb.70:
	v_add_nc_u32_e32 v5, s17, v13
	v_add_nc_u32_e32 v7, s19, v13
	s_mov_b32 s2, 0
	s_mov_b32 s3, exec_lo
	v_mul_lo_u32 v5, v5, s16
	v_mul_lo_u32 v7, v7, s18
	v_sub_nc_u32_e32 v5, v5, v7
	v_cmp_lt_u32_e32 vcc_lo, s20, v5
	v_cmpx_ge_u32_e64 s20, v5
	s_cbranch_execz .LBB436_72
; %bb.71:
	v_add_nc_u32_e32 v5, s22, v13
	v_add_nc_u32_e32 v7, s40, v13
	v_mul_lo_u32 v5, v5, s21
	v_mul_lo_u32 v7, v7, s23
	v_sub_nc_u32_e32 v5, v5, v7
	v_cmp_lt_u32_e64 s0, s41, v5
	s_and_b32 s2, s0, exec_lo
.LBB436_72:
	s_or_b32 exec_lo, exec_lo, s3
	v_mov_b32_e32 v5, 8
	v_mov_b32_e32 v7, 24
	v_cndmask_b32_e64 v21, 0, 1, s2
	v_mov_b32_e32 v22, 0xff
	v_cndmask_b32_e64 v8, 0, 1, vcc_lo
	v_lshrrev_b32_sdwa v23, v5, v6 dst_sel:BYTE_1 dst_unused:UNUSED_PAD src0_sel:DWORD src1_sel:DWORD
	v_lshrrev_b32_sdwa v7, v7, v6 dst_sel:BYTE_1 dst_unused:UNUSED_PAD src0_sel:DWORD src1_sel:DWORD
	;; [unrolled: 1-line block ×3, first 2 shown]
	v_lshlrev_b16 v21, 8, v21
	v_and_b32_sdwa v22, v4, v22 dst_sel:DWORD dst_unused:UNUSED_PAD src0_sel:WORD_1 src1_sel:DWORD
	v_or_b32_sdwa v6, v6, v23 dst_sel:DWORD dst_unused:UNUSED_PAD src0_sel:BYTE_0 src1_sel:DWORD
	v_or_b32_sdwa v7, v8, v7 dst_sel:WORD_1 dst_unused:UNUSED_PAD src0_sel:DWORD src1_sel:DWORD
	v_or_b32_sdwa v4, v4, v5 dst_sel:DWORD dst_unused:UNUSED_PAD src0_sel:BYTE_0 src1_sel:DWORD
	v_or_b32_sdwa v8, v22, v21 dst_sel:WORD_1 dst_unused:UNUSED_PAD src0_sel:DWORD src1_sel:DWORD
	v_or_b32_sdwa v5, v6, v7 dst_sel:DWORD dst_unused:UNUSED_PAD src0_sel:WORD_0 src1_sel:DWORD
	v_or_b32_sdwa v31, v4, v8 dst_sel:DWORD dst_unused:UNUSED_PAD src0_sel:WORD_0 src1_sel:DWORD
.LBB436_73:
	s_or_b32 exec_lo, exec_lo, s1
	v_add_nc_u32_e32 v4, 7, v29
                                        ; implicit-def: $vgpr32
	v_cmp_le_u32_e32 vcc_lo, s7, v4
                                        ; implicit-def: $vgpr4
	s_and_saveexec_b32 s0, vcc_lo
	s_xor_b32 s0, exec_lo, s0
	s_cbranch_execz .LBB436_75
; %bb.74:
	v_mov_b32_e32 v4, 24
	v_mov_b32_e32 v6, 0xff
	;; [unrolled: 1-line block ×3, first 2 shown]
	v_lshrrev_b32_sdwa v4, v4, v3 dst_sel:BYTE_1 dst_unused:UNUSED_PAD src0_sel:DWORD src1_sel:DWORD
	v_and_b32_sdwa v6, v3, v6 dst_sel:DWORD dst_unused:UNUSED_PAD src0_sel:WORD_1 src1_sel:DWORD
	v_lshrrev_b32_sdwa v3, v7, v3 dst_sel:BYTE_1 dst_unused:UNUSED_PAD src0_sel:DWORD src1_sel:DWORD
	v_and_b32_e32 v7, 0xff0000, v5
	v_or_b32_sdwa v4, v6, v4 dst_sel:WORD_1 dst_unused:UNUSED_PAD src0_sel:DWORD src1_sel:DWORD
	v_perm_b32 v32, v5, v7, 0x3020504
                                        ; implicit-def: $vgpr5
	v_or_b32_sdwa v4, v3, v4 dst_sel:DWORD dst_unused:UNUSED_PAD src0_sel:WORD_0 src1_sel:DWORD
                                        ; implicit-def: $vgpr3
.LBB436_75:
	s_andn2_saveexec_b32 s1, s0
	s_cbranch_execz .LBB436_79
; %bb.76:
	v_add_nc_u32_e32 v4, s17, v14
	v_add_nc_u32_e32 v6, s19, v14
	s_mov_b32 s2, 0
	s_mov_b32 s3, exec_lo
	v_mul_lo_u32 v4, v4, s16
	v_mul_lo_u32 v6, v6, s18
	v_sub_nc_u32_e32 v4, v4, v6
	v_cmp_lt_u32_e32 vcc_lo, s20, v4
	v_cmpx_ge_u32_e64 s20, v4
	s_cbranch_execz .LBB436_78
; %bb.77:
	v_add_nc_u32_e32 v4, s22, v14
	v_add_nc_u32_e32 v6, s40, v14
	v_mul_lo_u32 v4, v4, s21
	v_mul_lo_u32 v6, v6, s23
	v_sub_nc_u32_e32 v4, v4, v6
	v_cmp_lt_u32_e64 s0, s41, v4
	s_and_b32 s2, s0, exec_lo
.LBB436_78:
	s_or_b32 exec_lo, exec_lo, s3
	v_mov_b32_e32 v4, 8
	v_cndmask_b32_e64 v6, 0, 1, vcc_lo
	v_mov_b32_e32 v7, 0xff
	v_mov_b32_e32 v8, 24
	v_cndmask_b32_e64 v21, 0, 1, s2
	v_lshrrev_b32_sdwa v22, v4, v5 dst_sel:BYTE_1 dst_unused:UNUSED_PAD src0_sel:DWORD src1_sel:DWORD
	v_lshlrev_b16 v6, 8, v6
	v_and_b32_sdwa v23, v5, v7 dst_sel:DWORD dst_unused:UNUSED_PAD src0_sel:WORD_1 src1_sel:DWORD
	v_lshrrev_b32_sdwa v8, v8, v3 dst_sel:BYTE_1 dst_unused:UNUSED_PAD src0_sel:DWORD src1_sel:DWORD
	v_and_b32_sdwa v7, v3, v7 dst_sel:DWORD dst_unused:UNUSED_PAD src0_sel:WORD_1 src1_sel:DWORD
	v_lshrrev_b32_sdwa v3, v4, v3 dst_sel:BYTE_1 dst_unused:UNUSED_PAD src0_sel:DWORD src1_sel:DWORD
	v_or_b32_sdwa v4, v5, v22 dst_sel:DWORD dst_unused:UNUSED_PAD src0_sel:BYTE_0 src1_sel:DWORD
	v_or_b32_sdwa v5, v23, v6 dst_sel:WORD_1 dst_unused:UNUSED_PAD src0_sel:DWORD src1_sel:DWORD
	v_or_b32_sdwa v6, v7, v8 dst_sel:WORD_1 dst_unused:UNUSED_PAD src0_sel:DWORD src1_sel:DWORD
	v_or_b32_e32 v3, v21, v3
	v_or_b32_sdwa v32, v4, v5 dst_sel:DWORD dst_unused:UNUSED_PAD src0_sel:WORD_0 src1_sel:DWORD
	v_or_b32_sdwa v4, v3, v6 dst_sel:DWORD dst_unused:UNUSED_PAD src0_sel:WORD_0 src1_sel:DWORD
.LBB436_79:
	s_or_b32 exec_lo, exec_lo, s1
	v_add_nc_u32_e32 v3, 8, v29
                                        ; implicit-def: $vgpr5
	v_cmp_le_u32_e32 vcc_lo, s7, v3
                                        ; implicit-def: $vgpr3
	s_and_saveexec_b32 s0, vcc_lo
	s_xor_b32 s0, exec_lo, s0
	s_cbranch_execz .LBB436_81
; %bb.80:
	v_mov_b32_e32 v3, 24
	v_mov_b32_e32 v5, 0xff
	;; [unrolled: 1-line block ×3, first 2 shown]
	v_perm_b32 v1, v1, v1, 0x3060504
	v_lshrrev_b32_sdwa v7, v3, v4 dst_sel:BYTE_1 dst_unused:UNUSED_PAD src0_sel:DWORD src1_sel:DWORD
	v_lshrrev_b32_sdwa v3, v3, v2 dst_sel:BYTE_1 dst_unused:UNUSED_PAD src0_sel:DWORD src1_sel:DWORD
	v_and_b32_sdwa v8, v2, v5 dst_sel:DWORD dst_unused:UNUSED_PAD src0_sel:WORD_1 src1_sel:DWORD
	v_and_b32_sdwa v5, v4, v5 dst_sel:DWORD dst_unused:UNUSED_PAD src0_sel:WORD_1 src1_sel:DWORD
	v_lshrrev_b32_sdwa v2, v6, v2 dst_sel:BYTE_1 dst_unused:UNUSED_PAD src0_sel:DWORD src1_sel:DWORD
	v_or_b32_sdwa v3, v8, v3 dst_sel:WORD_1 dst_unused:UNUSED_PAD src0_sel:DWORD src1_sel:DWORD
	v_or_b32_e32 v5, v5, v7
	v_or_b32_sdwa v3, v2, v3 dst_sel:DWORD dst_unused:UNUSED_PAD src0_sel:WORD_0 src1_sel:DWORD
	v_perm_b32 v5, v5, v4, 0x5040c00
                                        ; implicit-def: $vgpr2
                                        ; implicit-def: $vgpr4
.LBB436_81:
	s_andn2_saveexec_b32 s1, s0
	s_cbranch_execz .LBB436_85
; %bb.82:
	v_add_nc_u32_e32 v3, s17, v11
	v_add_nc_u32_e32 v5, s19, v11
	s_mov_b32 s2, 0
	s_mov_b32 s3, exec_lo
	v_mul_lo_u32 v3, v3, s16
	v_mul_lo_u32 v5, v5, s18
	v_sub_nc_u32_e32 v3, v3, v5
	v_cmp_lt_u32_e32 vcc_lo, s20, v3
	v_cmpx_ge_u32_e64 s20, v3
	s_cbranch_execz .LBB436_84
; %bb.83:
	v_add_nc_u32_e32 v3, s22, v11
	v_add_nc_u32_e32 v5, s40, v11
	v_mul_lo_u32 v3, v3, s21
	v_mul_lo_u32 v5, v5, s23
	v_sub_nc_u32_e32 v3, v3, v5
	v_cmp_lt_u32_e64 s0, s41, v3
	s_and_b32 s2, s0, exec_lo
.LBB436_84:
	s_or_b32 exec_lo, exec_lo, s3
	v_mov_b32_e32 v3, 24
	v_mov_b32_e32 v5, 0xff
	;; [unrolled: 1-line block ×3, first 2 shown]
	v_cndmask_b32_e64 v7, 0, 1, s2
	v_cndmask_b32_e64 v8, 0, 1, vcc_lo
	v_lshrrev_b32_sdwa v21, v3, v2 dst_sel:BYTE_1 dst_unused:UNUSED_PAD src0_sel:DWORD src1_sel:DWORD
	v_and_b32_sdwa v22, v2, v5 dst_sel:DWORD dst_unused:UNUSED_PAD src0_sel:WORD_1 src1_sel:DWORD
	v_lshrrev_b32_sdwa v2, v6, v2 dst_sel:BYTE_1 dst_unused:UNUSED_PAD src0_sel:DWORD src1_sel:DWORD
	v_lshlrev_b16 v6, 8, v7
	v_lshrrev_b32_sdwa v3, v3, v4 dst_sel:BYTE_1 dst_unused:UNUSED_PAD src0_sel:DWORD src1_sel:DWORD
	v_and_b32_sdwa v5, v4, v5 dst_sel:DWORD dst_unused:UNUSED_PAD src0_sel:WORD_1 src1_sel:DWORD
	v_or_b32_sdwa v7, v22, v21 dst_sel:WORD_1 dst_unused:UNUSED_PAD src0_sel:DWORD src1_sel:DWORD
	v_or_b32_e32 v2, v8, v2
	v_or_b32_sdwa v4, v4, v6 dst_sel:DWORD dst_unused:UNUSED_PAD src0_sel:BYTE_0 src1_sel:DWORD
	v_or_b32_sdwa v5, v5, v3 dst_sel:WORD_1 dst_unused:UNUSED_PAD src0_sel:DWORD src1_sel:DWORD
	v_or_b32_sdwa v3, v2, v7 dst_sel:DWORD dst_unused:UNUSED_PAD src0_sel:WORD_0 src1_sel:DWORD
	v_or_b32_sdwa v5, v4, v5 dst_sel:DWORD dst_unused:UNUSED_PAD src0_sel:WORD_0 src1_sel:DWORD
.LBB436_85:
	s_or_b32 exec_lo, exec_lo, s1
	v_add_nc_u32_e32 v2, 9, v29
                                        ; implicit-def: $vgpr4
	v_cmp_le_u32_e32 vcc_lo, s7, v2
                                        ; implicit-def: $vgpr2
	s_and_saveexec_b32 s0, vcc_lo
	s_xor_b32 s0, exec_lo, s0
	s_cbranch_execz .LBB436_87
; %bb.86:
	v_lshrrev_b32_e32 v2, 24, v5
	v_mov_b32_e32 v4, 8
	v_mov_b32_e32 v6, 0xff
	v_perm_b32 v1, v1, v1, 0x3060504
	v_perm_b32 v2, v2, v5, 0x40c0100
	v_mov_b32_e32 v5, 24
	v_and_b32_sdwa v6, v3, v6 dst_sel:DWORD dst_unused:UNUSED_PAD src0_sel:WORD_1 src1_sel:DWORD
	v_lshrrev_b32_sdwa v4, v4, v2 dst_sel:BYTE_1 dst_unused:UNUSED_PAD src0_sel:DWORD src1_sel:DWORD
	v_lshrrev_b32_sdwa v5, v5, v3 dst_sel:BYTE_1 dst_unused:UNUSED_PAD src0_sel:DWORD src1_sel:DWORD
	v_or_b32_sdwa v4, v2, v4 dst_sel:DWORD dst_unused:UNUSED_PAD src0_sel:BYTE_0 src1_sel:DWORD
	v_or_b32_e32 v5, v6, v5
	v_and_b32_e32 v6, 0xffff, v4
	v_perm_b32 v4, v5, v3, 0x5040c00
                                        ; implicit-def: $vgpr3
                                        ; implicit-def: $vgpr5
	v_and_or_b32 v2, 0xff000000, v2, v6
.LBB436_87:
	s_andn2_saveexec_b32 s1, s0
	s_cbranch_execz .LBB436_91
; %bb.88:
	v_add_nc_u32_e32 v2, s17, v12
	v_add_nc_u32_e32 v4, s19, v12
	s_mov_b32 s2, 0
	s_mov_b32 s3, exec_lo
	v_mul_lo_u32 v2, v2, s16
	v_mul_lo_u32 v4, v4, s18
	v_sub_nc_u32_e32 v2, v2, v4
	v_cmp_lt_u32_e32 vcc_lo, s20, v2
	v_cmpx_ge_u32_e64 s20, v2
	s_cbranch_execz .LBB436_90
; %bb.89:
	v_add_nc_u32_e32 v2, s22, v12
	v_add_nc_u32_e32 v4, s40, v12
	v_mul_lo_u32 v2, v2, s21
	v_mul_lo_u32 v4, v4, s23
	v_sub_nc_u32_e32 v2, v2, v4
	v_cmp_lt_u32_e64 s0, s41, v2
	s_and_b32 s2, s0, exec_lo
.LBB436_90:
	s_or_b32 exec_lo, exec_lo, s3
	v_cndmask_b32_e64 v2, 0, 1, vcc_lo
	v_mov_b32_e32 v4, 24
	v_mov_b32_e32 v6, 0xff
	;; [unrolled: 1-line block ×3, first 2 shown]
	v_cndmask_b32_e64 v8, 0, 1, s2
	v_lshlrev_b16 v2, 8, v2
	v_lshrrev_b32_sdwa v21, v4, v3 dst_sel:BYTE_1 dst_unused:UNUSED_PAD src0_sel:DWORD src1_sel:DWORD
	v_and_b32_sdwa v6, v3, v6 dst_sel:DWORD dst_unused:UNUSED_PAD src0_sel:WORD_1 src1_sel:DWORD
	v_lshrrev_b32_sdwa v7, v7, v5 dst_sel:BYTE_1 dst_unused:UNUSED_PAD src0_sel:DWORD src1_sel:DWORD
	v_lshrrev_b32_sdwa v4, v4, v5 dst_sel:BYTE_1 dst_unused:UNUSED_PAD src0_sel:DWORD src1_sel:DWORD
	v_or_b32_sdwa v2, v3, v2 dst_sel:DWORD dst_unused:UNUSED_PAD src0_sel:BYTE_0 src1_sel:DWORD
	v_or_b32_sdwa v3, v6, v21 dst_sel:WORD_1 dst_unused:UNUSED_PAD src0_sel:DWORD src1_sel:DWORD
	v_or_b32_sdwa v5, v5, v7 dst_sel:DWORD dst_unused:UNUSED_PAD src0_sel:BYTE_0 src1_sel:DWORD
	v_or_b32_sdwa v6, v8, v4 dst_sel:WORD_1 dst_unused:UNUSED_PAD src0_sel:DWORD src1_sel:DWORD
	v_or_b32_sdwa v4, v2, v3 dst_sel:DWORD dst_unused:UNUSED_PAD src0_sel:WORD_0 src1_sel:DWORD
	v_or_b32_sdwa v2, v5, v6 dst_sel:DWORD dst_unused:UNUSED_PAD src0_sel:WORD_0 src1_sel:DWORD
.LBB436_91:
	s_or_b32 exec_lo, exec_lo, s1
	v_add_nc_u32_e32 v3, 10, v29
                                        ; implicit-def: $vgpr33
	v_cmp_le_u32_e32 vcc_lo, s7, v3
                                        ; implicit-def: $vgpr3
	s_and_saveexec_b32 s0, vcc_lo
	s_xor_b32 s0, exec_lo, s0
	s_cbranch_execz .LBB436_93
; %bb.92:
	v_lshrrev_b32_e32 v3, 24, v4
	v_mov_b32_e32 v5, 8
	v_perm_b32 v1, v1, v1, 0x3060504
	v_perm_b32 v3, v3, v4, 0x40c0100
	v_lshrrev_b32_sdwa v4, v5, v3 dst_sel:BYTE_1 dst_unused:UNUSED_PAD src0_sel:DWORD src1_sel:DWORD
	v_and_b32_e32 v5, 0xff0000, v2
	v_or_b32_sdwa v4, v3, v4 dst_sel:DWORD dst_unused:UNUSED_PAD src0_sel:BYTE_0 src1_sel:DWORD
	v_perm_b32 v33, v2, v5, 0x3020504
                                        ; implicit-def: $vgpr2
	v_and_b32_e32 v4, 0xffff, v4
	v_and_or_b32 v3, 0xff000000, v3, v4
                                        ; implicit-def: $vgpr4
.LBB436_93:
	s_andn2_saveexec_b32 s1, s0
	s_cbranch_execz .LBB436_97
; %bb.94:
	v_add_nc_u32_e32 v3, s17, v9
	v_add_nc_u32_e32 v5, s19, v9
	s_mov_b32 s2, 0
	s_mov_b32 s3, exec_lo
	v_mul_lo_u32 v3, v3, s16
	v_mul_lo_u32 v5, v5, s18
	v_sub_nc_u32_e32 v3, v3, v5
	v_cmp_lt_u32_e32 vcc_lo, s20, v3
	v_cmpx_ge_u32_e64 s20, v3
	s_cbranch_execz .LBB436_96
; %bb.95:
	v_add_nc_u32_e32 v3, s22, v9
	v_add_nc_u32_e32 v5, s40, v9
	v_mul_lo_u32 v3, v3, s21
	v_mul_lo_u32 v5, v5, s23
	v_sub_nc_u32_e32 v3, v3, v5
	v_cmp_lt_u32_e64 s0, s41, v3
	s_and_b32 s2, s0, exec_lo
.LBB436_96:
	s_or_b32 exec_lo, exec_lo, s3
	v_mov_b32_e32 v3, 8
	v_mov_b32_e32 v5, 24
	v_cndmask_b32_e64 v7, 0, 1, s2
	v_mov_b32_e32 v8, 0xff
	v_cndmask_b32_e64 v6, 0, 1, vcc_lo
	v_lshrrev_b32_sdwa v21, v3, v4 dst_sel:BYTE_1 dst_unused:UNUSED_PAD src0_sel:DWORD src1_sel:DWORD
	v_lshrrev_b32_sdwa v5, v5, v4 dst_sel:BYTE_1 dst_unused:UNUSED_PAD src0_sel:DWORD src1_sel:DWORD
	;; [unrolled: 1-line block ×3, first 2 shown]
	v_lshlrev_b16 v7, 8, v7
	v_and_b32_sdwa v8, v2, v8 dst_sel:DWORD dst_unused:UNUSED_PAD src0_sel:WORD_1 src1_sel:DWORD
	v_or_b32_sdwa v4, v4, v21 dst_sel:DWORD dst_unused:UNUSED_PAD src0_sel:BYTE_0 src1_sel:DWORD
	v_or_b32_sdwa v5, v6, v5 dst_sel:WORD_1 dst_unused:UNUSED_PAD src0_sel:DWORD src1_sel:DWORD
	v_or_b32_sdwa v2, v2, v3 dst_sel:DWORD dst_unused:UNUSED_PAD src0_sel:BYTE_0 src1_sel:DWORD
	v_or_b32_sdwa v6, v8, v7 dst_sel:WORD_1 dst_unused:UNUSED_PAD src0_sel:DWORD src1_sel:DWORD
	v_or_b32_sdwa v3, v4, v5 dst_sel:DWORD dst_unused:UNUSED_PAD src0_sel:WORD_0 src1_sel:DWORD
	v_or_b32_sdwa v33, v2, v6 dst_sel:DWORD dst_unused:UNUSED_PAD src0_sel:WORD_0 src1_sel:DWORD
.LBB436_97:
	s_or_b32 exec_lo, exec_lo, s1
	v_add_nc_u32_e32 v2, 11, v29
	v_mov_b32_e32 v34, 0
	s_mov_b32 s0, exec_lo
                                        ; implicit-def: $vgpr35
	v_cmpx_le_u32_e64 s7, v2
	s_xor_b32 s0, exec_lo, s0
; %bb.98:
	v_and_b32_e32 v2, 0xff0000, v3
	v_perm_b32 v1, v1, v1, 0x3060504
	v_perm_b32 v35, v3, v2, 0x3020504
                                        ; implicit-def: $vgpr3
; %bb.99:
	s_andn2_saveexec_b32 s1, s0
	s_cbranch_execz .LBB436_103
; %bb.100:
	v_add_nc_u32_e32 v2, s17, v10
	v_add_nc_u32_e32 v4, s19, v10
	s_mov_b32 s2, 0
	s_mov_b32 s3, exec_lo
	v_mul_lo_u32 v2, v2, s16
	v_mul_lo_u32 v4, v4, s18
	v_sub_nc_u32_e32 v2, v2, v4
	v_cmp_lt_u32_e32 vcc_lo, s20, v2
	v_cmpx_ge_u32_e64 s20, v2
	s_cbranch_execz .LBB436_102
; %bb.101:
	v_add_nc_u32_e32 v2, s22, v10
	v_add_nc_u32_e32 v4, s40, v10
	v_mul_lo_u32 v2, v2, s21
	v_mul_lo_u32 v4, v4, s23
	v_sub_nc_u32_e32 v2, v2, v4
	v_cmp_lt_u32_e64 s0, s41, v2
	s_and_b32 s2, s0, exec_lo
.LBB436_102:
	s_or_b32 exec_lo, exec_lo, s3
	v_mov_b32_e32 v2, 8
	v_cndmask_b32_e64 v4, 0, 1, vcc_lo
	v_mov_b32_e32 v5, 0xff
	v_cndmask_b32_e64 v34, 0, 1, s2
	v_lshrrev_b32_sdwa v2, v2, v3 dst_sel:BYTE_1 dst_unused:UNUSED_PAD src0_sel:DWORD src1_sel:DWORD
	v_lshlrev_b16 v4, 8, v4
	v_and_b32_sdwa v5, v3, v5 dst_sel:DWORD dst_unused:UNUSED_PAD src0_sel:WORD_1 src1_sel:DWORD
	v_or_b32_sdwa v2, v3, v2 dst_sel:DWORD dst_unused:UNUSED_PAD src0_sel:BYTE_0 src1_sel:DWORD
	v_or_b32_sdwa v3, v5, v4 dst_sel:WORD_1 dst_unused:UNUSED_PAD src0_sel:DWORD src1_sel:DWORD
	v_or_b32_sdwa v35, v2, v3 dst_sel:DWORD dst_unused:UNUSED_PAD src0_sel:WORD_0 src1_sel:DWORD
.LBB436_103:
	s_or_b32 exec_lo, exec_lo, s1
	v_add_nc_u32_e32 v2, 12, v29
	s_mov_b32 s0, exec_lo
                                        ; implicit-def: $vgpr36
	v_cmpx_le_u32_e64 s7, v2
	s_xor_b32 s0, exec_lo, s0
	s_cbranch_execz .LBB436_105
; %bb.104:
	v_mov_b32_e32 v2, 24
	v_mov_b32_e32 v3, 0xff
	;; [unrolled: 1-line block ×3, first 2 shown]
	v_lshrrev_b32_sdwa v2, v2, v1 dst_sel:BYTE_1 dst_unused:UNUSED_PAD src0_sel:DWORD src1_sel:DWORD
	v_and_b32_sdwa v3, v1, v3 dst_sel:DWORD dst_unused:UNUSED_PAD src0_sel:WORD_1 src1_sel:DWORD
	v_lshrrev_b32_sdwa v1, v4, v1 dst_sel:BYTE_1 dst_unused:UNUSED_PAD src0_sel:DWORD src1_sel:DWORD
	v_or_b32_sdwa v2, v3, v2 dst_sel:WORD_1 dst_unused:UNUSED_PAD src0_sel:DWORD src1_sel:DWORD
	v_or_b32_sdwa v36, v1, v2 dst_sel:DWORD dst_unused:UNUSED_PAD src0_sel:WORD_0 src1_sel:DWORD
                                        ; implicit-def: $vgpr1
.LBB436_105:
	s_or_saveexec_b32 s1, s0
	v_mov_b32_e32 v37, 0
	s_xor_b32 exec_lo, exec_lo, s1
	s_cbranch_execz .LBB436_109
; %bb.106:
	v_add_nc_u32_e32 v2, s17, v28
	v_add_nc_u32_e32 v3, s19, v28
	s_mov_b32 s2, 0
	s_mov_b32 s3, exec_lo
	v_mul_lo_u32 v2, v2, s16
	v_mul_lo_u32 v3, v3, s18
	v_sub_nc_u32_e32 v2, v2, v3
	v_cmp_lt_u32_e32 vcc_lo, s20, v2
	v_cmpx_ge_u32_e64 s20, v2
	s_cbranch_execz .LBB436_108
; %bb.107:
	v_add_nc_u32_e32 v2, s22, v28
	v_add_nc_u32_e32 v3, s40, v28
	v_mul_lo_u32 v2, v2, s21
	v_mul_lo_u32 v3, v3, s23
	v_sub_nc_u32_e32 v2, v2, v3
	v_cmp_lt_u32_e64 s0, s41, v2
	s_and_b32 s2, s0, exec_lo
.LBB436_108:
	s_or_b32 exec_lo, exec_lo, s3
	v_mov_b32_e32 v2, 24
	v_mov_b32_e32 v3, 0xff
	;; [unrolled: 1-line block ×3, first 2 shown]
	v_cndmask_b32_e64 v5, 0, 1, vcc_lo
	v_cndmask_b32_e64 v37, 0, 1, s2
	v_lshrrev_b32_sdwa v2, v2, v1 dst_sel:BYTE_1 dst_unused:UNUSED_PAD src0_sel:DWORD src1_sel:DWORD
	v_and_b32_sdwa v3, v1, v3 dst_sel:DWORD dst_unused:UNUSED_PAD src0_sel:WORD_1 src1_sel:DWORD
	v_lshrrev_b32_sdwa v1, v4, v1 dst_sel:BYTE_1 dst_unused:UNUSED_PAD src0_sel:DWORD src1_sel:DWORD
	v_or_b32_sdwa v2, v3, v2 dst_sel:WORD_1 dst_unused:UNUSED_PAD src0_sel:DWORD src1_sel:DWORD
	v_or_b32_e32 v1, v5, v1
	v_or_b32_sdwa v36, v1, v2 dst_sel:DWORD dst_unused:UNUSED_PAD src0_sel:WORD_0 src1_sel:DWORD
.LBB436_109:
	s_or_b32 exec_lo, exec_lo, s1
.LBB436_110:
	v_and_b32_e32 v60, 0xff, v30
	v_bfe_u32 v61, v36, 8, 8
	v_bfe_u32 v57, v30, 8, 8
	;; [unrolled: 1-line block ×4, first 2 shown]
	v_lshrrev_b32_e32 v43, 24, v36
	v_lshrrev_b32_e32 v42, 24, v30
	v_and_b32_e32 v56, 0xff, v31
	v_and_b32_e32 v54, 0xff, v32
	v_bfe_u32 v55, v31, 8, 8
	v_add3_u32 v1, v57, v60, v59
	v_add3_u32 v2, v58, v61, v43
	v_bfe_u32 v52, v32, 8, 8
	v_bfe_u32 v53, v31, 16, 8
	;; [unrolled: 1-line block ×3, first 2 shown]
	v_lshrrev_b32_e32 v41, 24, v31
	v_add3_u32 v1, v1, v42, v54
	v_add3_u32 v2, v2, v56, v55
	v_lshrrev_b32_e32 v40, 24, v32
	v_and_b32_e32 v51, 0xff, v33
	v_and_b32_e32 v49, 0xff, v35
	v_bfe_u32 v50, v33, 8, 8
	v_add3_u32 v1, v1, v52, v46
	v_add3_u32 v2, v2, v53, v41
	v_bfe_u32 v47, v35, 8, 8
	v_bfe_u32 v48, v33, 16, 8
	;; [unrolled: 1-line block ×3, first 2 shown]
	v_lshrrev_b32_e32 v39, 24, v33
	v_add3_u32 v1, v1, v40, v49
	v_add3_u32 v2, v2, v51, v50
	v_mbcnt_lo_u32_b32 v62, -1, 0
	v_lshrrev_b32_e32 v38, 24, v35
	v_and_b32_e32 v44, 0xff, v34
	v_and_b32_e32 v3, 0xff, v36
	;; [unrolled: 1-line block ×3, first 2 shown]
	v_add3_u32 v1, v1, v47, v45
	v_add3_u32 v2, v2, v48, v39
	v_and_b32_e32 v64, 15, v62
	v_and_b32_e32 v66, 16, v62
	v_lshrrev_b32_e32 v63, 5, v0
	v_add3_u32 v67, v1, v38, v3
	v_add3_u32 v68, v2, v44, v4
	v_cmp_eq_u32_e64 s1, 0, v64
	v_cmp_lt_u32_e64 s0, 1, v64
	v_cmp_lt_u32_e64 s2, 3, v64
	v_or_b32_e32 v65, 31, v0
	s_cmp_lg_u32 s6, 0
	s_mov_b32 s3, -1
	v_cmp_lt_u32_e32 vcc_lo, 7, v64
	s_cbranch_scc0 .LBB436_132
; %bb.111:
	v_mov_b32_dpp v1, v68 row_shr:1 row_mask:0xf bank_mask:0xf
	v_mov_b32_dpp v2, v67 row_shr:1 row_mask:0xf bank_mask:0xf
	s_mov_b32 s3, exec_lo
	v_add_nc_u32_e32 v1, v1, v68
	v_add_nc_u32_e32 v2, v2, v67
	v_cndmask_b32_e64 v1, v1, v68, s1
	v_cndmask_b32_e64 v2, v2, v67, s1
	v_mov_b32_dpp v3, v1 row_shr:2 row_mask:0xf bank_mask:0xf
	v_mov_b32_dpp v4, v2 row_shr:2 row_mask:0xf bank_mask:0xf
	v_add_nc_u32_e32 v3, v1, v3
	v_add_nc_u32_e32 v4, v2, v4
	v_cndmask_b32_e64 v1, v1, v3, s0
	v_cndmask_b32_e64 v2, v2, v4, s0
	v_mov_b32_dpp v3, v1 row_shr:4 row_mask:0xf bank_mask:0xf
	v_mov_b32_dpp v4, v2 row_shr:4 row_mask:0xf bank_mask:0xf
	;; [unrolled: 6-line block ×3, first 2 shown]
	v_add_nc_u32_e32 v3, v1, v3
	v_add_nc_u32_e32 v4, v2, v4
	v_cndmask_b32_e32 v1, v1, v3, vcc_lo
	v_cndmask_b32_e32 v2, v2, v4, vcc_lo
	v_cmp_eq_u32_e32 vcc_lo, 0, v66
	ds_swizzle_b32 v3, v1 offset:swizzle(BROADCAST,32,15)
	ds_swizzle_b32 v4, v2 offset:swizzle(BROADCAST,32,15)
	s_waitcnt lgkmcnt(0)
	v_add_nc_u32_e32 v3, v1, v3
	v_add_nc_u32_e32 v4, v2, v4
	v_cmpx_eq_u32_e64 v0, v65
	s_cbranch_execz .LBB436_113
; %bb.112:
	v_lshlrev_b32_e32 v7, 3, v63
	v_cndmask_b32_e32 v6, v3, v1, vcc_lo
	v_cndmask_b32_e32 v5, v4, v2, vcc_lo
	ds_write_b64 v7, v[5:6]
.LBB436_113:
	s_or_b32 exec_lo, exec_lo, s3
	s_mov_b32 s3, exec_lo
	s_waitcnt lgkmcnt(0)
	s_barrier
	buffer_gl0_inv
	v_cmpx_gt_u32_e32 8, v0
	s_cbranch_execz .LBB436_115
; %bb.114:
	v_lshlrev_b32_e32 v7, 3, v0
	v_and_b32_e32 v22, 7, v62
	ds_read_b64 v[5:6], v7
	v_cmp_eq_u32_e64 s2, 0, v22
	s_waitcnt lgkmcnt(0)
	v_mov_b32_dpp v8, v5 row_shr:1 row_mask:0xf bank_mask:0xf
	v_mov_b32_dpp v21, v6 row_shr:1 row_mask:0xf bank_mask:0xf
	v_add_nc_u32_e32 v8, v8, v5
	v_add_nc_u32_e32 v21, v21, v6
	v_cndmask_b32_e64 v5, v8, v5, s2
	v_cndmask_b32_e64 v6, v21, v6, s2
	v_cmp_lt_u32_e64 s2, 1, v22
	v_mov_b32_dpp v8, v5 row_shr:2 row_mask:0xf bank_mask:0xf
	v_mov_b32_dpp v21, v6 row_shr:2 row_mask:0xf bank_mask:0xf
	v_add_nc_u32_e32 v8, v5, v8
	v_add_nc_u32_e32 v21, v6, v21
	v_cndmask_b32_e64 v5, v5, v8, s2
	v_cndmask_b32_e64 v6, v6, v21, s2
	v_cmp_lt_u32_e64 s2, 3, v22
	v_mov_b32_dpp v8, v5 row_shr:4 row_mask:0xf bank_mask:0xf
	v_mov_b32_dpp v21, v6 row_shr:4 row_mask:0xf bank_mask:0xf
	v_cndmask_b32_e64 v8, 0, v8, s2
	v_cndmask_b32_e64 v21, 0, v21, s2
	v_add_nc_u32_e32 v5, v8, v5
	v_add_nc_u32_e32 v6, v21, v6
	ds_write_b64 v7, v[5:6]
.LBB436_115:
	s_or_b32 exec_lo, exec_lo, s3
	v_cndmask_b32_e32 v1, v3, v1, vcc_lo
	v_cndmask_b32_e32 v2, v4, v2, vcc_lo
	s_mov_b32 s3, exec_lo
	v_cmp_gt_u32_e32 vcc_lo, 32, v0
	s_waitcnt lgkmcnt(0)
	s_barrier
	buffer_gl0_inv
                                        ; implicit-def: $vgpr21
	v_cmpx_lt_u32_e32 31, v0
	s_cbranch_execz .LBB436_117
; %bb.116:
	v_lshl_add_u32 v3, v63, 3, -8
	ds_read_b64 v[21:22], v3
	s_waitcnt lgkmcnt(0)
	v_add_nc_u32_e32 v1, v22, v1
	v_add_nc_u32_e32 v2, v21, v2
.LBB436_117:
	s_or_b32 exec_lo, exec_lo, s3
	v_sub_co_u32 v3, s2, v62, 1
	v_cmp_gt_i32_e64 s3, 0, v3
	v_cndmask_b32_e64 v3, v3, v62, s3
	v_lshlrev_b32_e32 v3, 2, v3
	ds_bpermute_b32 v69, v3, v2
	ds_bpermute_b32 v70, v3, v1
	s_and_saveexec_b32 s3, vcc_lo
	s_cbranch_execz .LBB436_137
; %bb.118:
	v_mov_b32_e32 v4, 0
	ds_read_b64 v[1:2], v4 offset:56
	s_and_saveexec_b32 s8, s2
	s_cbranch_execz .LBB436_120
; %bb.119:
	s_add_i32 s10, s6, 32
	s_mov_b32 s11, 0
	v_mov_b32_e32 v3, 1
	s_lshl_b64 s[10:11], s[10:11], 4
	s_add_u32 s10, s4, s10
	s_addc_u32 s11, s5, s11
	v_mov_b32_e32 v5, s10
	v_mov_b32_e32 v6, s11
	s_waitcnt lgkmcnt(0)
	;;#ASMSTART
	global_store_dwordx4 v[5:6], v[1:4] off	
s_waitcnt vmcnt(0)
	;;#ASMEND
.LBB436_120:
	s_or_b32 exec_lo, exec_lo, s8
	v_xad_u32 v23, v62, -1, s6
	s_mov_b32 s9, 0
	v_add_nc_u32_e32 v3, 32, v23
	v_lshlrev_b64 v[5:6], 4, v[3:4]
	v_add_co_u32 v24, vcc_lo, s4, v5
	v_add_co_ci_u32_e64 v25, null, s5, v6, vcc_lo
	;;#ASMSTART
	global_load_dwordx4 v[5:8], v[24:25] off glc dlc	
s_waitcnt vmcnt(0)
	;;#ASMEND
	v_cmp_eq_u16_sdwa s10, v7, v4 src0_sel:BYTE_0 src1_sel:DWORD
	s_and_saveexec_b32 s8, s10
	s_cbranch_execz .LBB436_124
; %bb.121:
	v_mov_b32_e32 v3, 0
.LBB436_122:                            ; =>This Inner Loop Header: Depth=1
	;;#ASMSTART
	global_load_dwordx4 v[5:8], v[24:25] off glc dlc	
s_waitcnt vmcnt(0)
	;;#ASMEND
	v_cmp_ne_u16_sdwa s10, v7, v3 src0_sel:BYTE_0 src1_sel:DWORD
	s_or_b32 s9, s10, s9
	s_andn2_b32 exec_lo, exec_lo, s9
	s_cbranch_execnz .LBB436_122
; %bb.123:
	s_or_b32 exec_lo, exec_lo, s9
.LBB436_124:
	s_or_b32 exec_lo, exec_lo, s8
	v_cmp_ne_u32_e32 vcc_lo, 31, v62
	v_mov_b32_e32 v72, 2
	v_lshlrev_b32_e64 v73, v62, -1
	v_add_nc_u32_e32 v75, 2, v62
	v_add_nc_u32_e32 v77, 4, v62
	v_add_co_ci_u32_e64 v3, null, 0, v62, vcc_lo
	v_cmp_eq_u16_sdwa s8, v7, v72 src0_sel:BYTE_0 src1_sel:DWORD
	v_cmp_gt_u32_e32 vcc_lo, 30, v62
	v_add_nc_u32_e32 v79, 8, v62
	v_lshlrev_b32_e32 v71, 2, v3
	v_lshl_or_b32 v80, v62, 2, 64
	v_and_b32_e32 v8, s8, v73
	v_cndmask_b32_e64 v24, 0, 2, vcc_lo
	v_add_nc_u32_e32 v81, 16, v62
	ds_bpermute_b32 v3, v71, v6
	ds_bpermute_b32 v4, v71, v5
	v_or_b32_e32 v8, 0x80000000, v8
	v_add_lshl_u32 v74, v24, v62, 2
	v_ffbl_b32_e32 v8, v8
	v_cmp_lt_u32_e32 vcc_lo, v62, v8
	s_waitcnt lgkmcnt(1)
	v_add_nc_u32_e32 v3, v3, v6
	s_waitcnt lgkmcnt(0)
	v_add_nc_u32_e32 v4, v4, v5
	v_cndmask_b32_e32 v3, v6, v3, vcc_lo
	v_cndmask_b32_e32 v4, v5, v4, vcc_lo
	v_cmp_gt_u32_e32 vcc_lo, 28, v62
	ds_bpermute_b32 v5, v74, v3
	ds_bpermute_b32 v6, v74, v4
	v_cndmask_b32_e64 v24, 0, 4, vcc_lo
	v_cmp_gt_u32_e32 vcc_lo, v75, v8
	v_add_lshl_u32 v76, v24, v62, 2
	s_waitcnt lgkmcnt(1)
	v_add_nc_u32_e32 v5, v3, v5
	s_waitcnt lgkmcnt(0)
	v_add_nc_u32_e32 v6, v4, v6
	v_cndmask_b32_e32 v3, v5, v3, vcc_lo
	v_cndmask_b32_e32 v4, v6, v4, vcc_lo
	v_cmp_gt_u32_e32 vcc_lo, 24, v62
	ds_bpermute_b32 v5, v76, v3
	ds_bpermute_b32 v6, v76, v4
	v_cndmask_b32_e64 v24, 0, 8, vcc_lo
	v_cmp_gt_u32_e32 vcc_lo, v77, v8
	v_add_lshl_u32 v78, v24, v62, 2
	v_mov_b32_e32 v24, 0
	s_waitcnt lgkmcnt(1)
	v_add_nc_u32_e32 v5, v3, v5
	s_waitcnt lgkmcnt(0)
	v_add_nc_u32_e32 v6, v4, v6
	v_cndmask_b32_e32 v3, v5, v3, vcc_lo
	v_cndmask_b32_e32 v4, v6, v4, vcc_lo
	v_cmp_gt_u32_e32 vcc_lo, v79, v8
	ds_bpermute_b32 v5, v78, v3
	ds_bpermute_b32 v6, v78, v4
	s_waitcnt lgkmcnt(1)
	v_add_nc_u32_e32 v5, v3, v5
	s_waitcnt lgkmcnt(0)
	v_add_nc_u32_e32 v6, v4, v6
	v_cndmask_b32_e32 v3, v5, v3, vcc_lo
	v_cndmask_b32_e32 v4, v6, v4, vcc_lo
	v_cmp_le_u32_e32 vcc_lo, v81, v8
	ds_bpermute_b32 v6, v80, v3
	ds_bpermute_b32 v5, v80, v4
	s_waitcnt lgkmcnt(1)
	v_cndmask_b32_e32 v6, 0, v6, vcc_lo
	s_waitcnt lgkmcnt(0)
	v_cndmask_b32_e32 v5, 0, v5, vcc_lo
	v_add_nc_u32_e32 v6, v6, v3
	v_add_nc_u32_e32 v5, v5, v4
	s_branch .LBB436_128
.LBB436_125:                            ;   in Loop: Header=BB436_128 Depth=1
	s_or_b32 exec_lo, exec_lo, s9
.LBB436_126:                            ;   in Loop: Header=BB436_128 Depth=1
	s_or_b32 exec_lo, exec_lo, s8
	ds_bpermute_b32 v8, v71, v5
	ds_bpermute_b32 v25, v71, v6
	v_cmp_eq_u16_sdwa s8, v7, v72 src0_sel:BYTE_0 src1_sel:DWORD
	v_subrev_nc_u32_e32 v23, 32, v23
	v_and_or_b32 v26, s8, v73, 0x80000000
	s_mov_b32 s8, 0
	v_ffbl_b32_e32 v26, v26
	v_cmp_lt_u32_e32 vcc_lo, v62, v26
	s_waitcnt lgkmcnt(1)
	v_add_nc_u32_e32 v8, v8, v5
	s_waitcnt lgkmcnt(0)
	v_add_nc_u32_e32 v25, v25, v6
	v_cndmask_b32_e32 v5, v5, v8, vcc_lo
	v_cndmask_b32_e32 v6, v6, v25, vcc_lo
	v_cmp_gt_u32_e32 vcc_lo, v75, v26
	ds_bpermute_b32 v8, v74, v5
	ds_bpermute_b32 v25, v74, v6
	s_waitcnt lgkmcnt(1)
	v_add_nc_u32_e32 v8, v5, v8
	s_waitcnt lgkmcnt(0)
	v_add_nc_u32_e32 v25, v6, v25
	v_cndmask_b32_e32 v5, v8, v5, vcc_lo
	v_cndmask_b32_e32 v6, v25, v6, vcc_lo
	v_cmp_gt_u32_e32 vcc_lo, v77, v26
	ds_bpermute_b32 v8, v76, v5
	ds_bpermute_b32 v25, v76, v6
	;; [unrolled: 9-line block ×3, first 2 shown]
	s_waitcnt lgkmcnt(1)
	v_add_nc_u32_e32 v8, v5, v8
	s_waitcnt lgkmcnt(0)
	v_add_nc_u32_e32 v25, v6, v25
	v_cndmask_b32_e32 v5, v8, v5, vcc_lo
	v_cndmask_b32_e32 v6, v25, v6, vcc_lo
	v_cmp_le_u32_e32 vcc_lo, v81, v26
	ds_bpermute_b32 v8, v80, v5
	ds_bpermute_b32 v25, v80, v6
	s_waitcnt lgkmcnt(1)
	v_cndmask_b32_e32 v8, 0, v8, vcc_lo
	s_waitcnt lgkmcnt(0)
	v_cndmask_b32_e32 v25, 0, v25, vcc_lo
	v_add3_u32 v5, v5, v3, v8
	v_add3_u32 v6, v6, v4, v25
.LBB436_127:                            ;   in Loop: Header=BB436_128 Depth=1
	s_and_b32 vcc_lo, exec_lo, s8
	s_cbranch_vccnz .LBB436_133
.LBB436_128:                            ; =>This Loop Header: Depth=1
                                        ;     Child Loop BB436_131 Depth 2
	v_cmp_ne_u16_sdwa s8, v7, v72 src0_sel:BYTE_0 src1_sel:DWORD
	v_mov_b32_e32 v3, v5
	v_mov_b32_e32 v4, v6
                                        ; implicit-def: $vgpr7
                                        ; implicit-def: $vgpr5_vgpr6
	s_cmp_lg_u32 s8, exec_lo
	s_mov_b32 s8, -1
	s_cbranch_scc1 .LBB436_127
; %bb.129:                              ;   in Loop: Header=BB436_128 Depth=1
	v_lshlrev_b64 v[5:6], 4, v[23:24]
	v_add_co_u32 v25, vcc_lo, s4, v5
	v_add_co_ci_u32_e64 v26, null, s5, v6, vcc_lo
	;;#ASMSTART
	global_load_dwordx4 v[5:8], v[25:26] off glc dlc	
s_waitcnt vmcnt(0)
	;;#ASMEND
	v_cmp_eq_u16_sdwa s9, v7, v24 src0_sel:BYTE_0 src1_sel:DWORD
	s_and_saveexec_b32 s8, s9
	s_cbranch_execz .LBB436_126
; %bb.130:                              ;   in Loop: Header=BB436_128 Depth=1
	s_mov_b32 s9, 0
.LBB436_131:                            ;   Parent Loop BB436_128 Depth=1
                                        ; =>  This Inner Loop Header: Depth=2
	;;#ASMSTART
	global_load_dwordx4 v[5:8], v[25:26] off glc dlc	
s_waitcnt vmcnt(0)
	;;#ASMEND
	v_cmp_ne_u16_sdwa s10, v7, v24 src0_sel:BYTE_0 src1_sel:DWORD
	s_or_b32 s9, s10, s9
	s_andn2_b32 exec_lo, exec_lo, s9
	s_cbranch_execnz .LBB436_131
	s_branch .LBB436_125
.LBB436_132:
                                        ; implicit-def: $vgpr23
                                        ; implicit-def: $vgpr3
                                        ; implicit-def: $vgpr24
	s_and_b32 vcc_lo, exec_lo, s3
	s_cbranch_vccnz .LBB436_138
	s_branch .LBB436_147
.LBB436_133:
	s_and_saveexec_b32 s8, s2
	s_cbranch_execnz .LBB436_375
; %bb.134:
	s_or_b32 exec_lo, exec_lo, s8
	s_and_saveexec_b32 s6, s2
	s_cbranch_execnz .LBB436_376
.LBB436_135:
	s_or_b32 exec_lo, exec_lo, s6
	v_cmp_eq_u32_e32 vcc_lo, 0, v0
	s_and_b32 exec_lo, exec_lo, vcc_lo
.LBB436_136:
	v_mov_b32_e32 v1, 0
	ds_write_b64 v1, v[3:4] offset:56
.LBB436_137:
	s_or_b32 exec_lo, exec_lo, s3
	v_mov_b32_e32 v1, 0
	s_waitcnt lgkmcnt(0)
	s_barrier
	buffer_gl0_inv
	v_cndmask_b32_e64 v7, v69, v21, s2
	ds_read_b64 v[5:6], v1 offset:56
	s_waitcnt lgkmcnt(0)
	s_barrier
	buffer_gl0_inv
	ds_read_b128 v[1:4], v1 offset:13312
	v_cndmask_b32_e64 v8, v70, v22, s2
	v_cmp_eq_u32_e32 vcc_lo, 0, v0
	v_add_nc_u32_e32 v7, v5, v7
	v_add_nc_u32_e32 v8, v6, v8
	v_cndmask_b32_e32 v24, v7, v5, vcc_lo
	v_cndmask_b32_e32 v23, v8, v6, vcc_lo
	s_branch .LBB436_147
.LBB436_138:
	s_waitcnt lgkmcnt(0)
	v_mov_b32_dpp v1, v67 row_shr:1 row_mask:0xf bank_mask:0xf
	v_mov_b32_dpp v2, v68 row_shr:1 row_mask:0xf bank_mask:0xf
	v_cmp_lt_u32_e32 vcc_lo, 3, v64
	v_add_nc_u32_e32 v1, v1, v67
	v_add_nc_u32_e32 v2, v2, v68
	v_cndmask_b32_e64 v1, v1, v67, s1
	v_cndmask_b32_e64 v2, v2, v68, s1
	s_mov_b32 s1, exec_lo
	v_mov_b32_dpp v3, v1 row_shr:2 row_mask:0xf bank_mask:0xf
	v_mov_b32_dpp v4, v2 row_shr:2 row_mask:0xf bank_mask:0xf
	v_add_nc_u32_e32 v3, v1, v3
	v_add_nc_u32_e32 v4, v2, v4
	v_cndmask_b32_e64 v1, v1, v3, s0
	v_cndmask_b32_e64 v2, v2, v4, s0
	v_mov_b32_dpp v3, v1 row_shr:4 row_mask:0xf bank_mask:0xf
	v_mov_b32_dpp v4, v2 row_shr:4 row_mask:0xf bank_mask:0xf
	v_add_nc_u32_e32 v3, v1, v3
	v_add_nc_u32_e32 v4, v2, v4
	v_cndmask_b32_e32 v3, v1, v3, vcc_lo
	v_cndmask_b32_e32 v2, v2, v4, vcc_lo
	v_cmp_lt_u32_e32 vcc_lo, 7, v64
	v_mov_b32_dpp v1, v3 row_shr:8 row_mask:0xf bank_mask:0xf
	v_mov_b32_dpp v4, v2 row_shr:8 row_mask:0xf bank_mask:0xf
	v_add_nc_u32_e32 v5, v3, v1
	v_add_nc_u32_e32 v1, v2, v4
	v_cndmask_b32_e32 v1, v2, v1, vcc_lo
	v_cndmask_b32_e32 v2, v3, v5, vcc_lo
	v_cmp_eq_u32_e32 vcc_lo, 0, v66
	ds_swizzle_b32 v3, v1 offset:swizzle(BROADCAST,32,15)
	ds_swizzle_b32 v4, v2 offset:swizzle(BROADCAST,32,15)
	s_waitcnt lgkmcnt(1)
	v_add_nc_u32_e32 v3, v1, v3
	s_waitcnt lgkmcnt(0)
	v_add_nc_u32_e32 v4, v2, v4
	v_cmpx_eq_u32_e64 v0, v65
	s_cbranch_execz .LBB436_140
; %bb.139:
	v_cndmask_b32_e32 v5, v4, v2, vcc_lo
	v_cndmask_b32_e32 v6, v3, v1, vcc_lo
	v_lshlrev_b32_e32 v7, 3, v63
	ds_write_b64 v7, v[5:6]
.LBB436_140:
	s_or_b32 exec_lo, exec_lo, s1
	s_mov_b32 s1, exec_lo
	s_waitcnt lgkmcnt(0)
	s_barrier
	buffer_gl0_inv
	v_cmpx_gt_u32_e32 8, v0
	s_cbranch_execz .LBB436_142
; %bb.141:
	v_lshlrev_b32_e32 v7, 3, v0
	v_and_b32_e32 v22, 7, v62
	ds_read_b64 v[5:6], v7
	v_cmp_eq_u32_e64 s0, 0, v22
	s_waitcnt lgkmcnt(0)
	v_mov_b32_dpp v8, v5 row_shr:1 row_mask:0xf bank_mask:0xf
	v_mov_b32_dpp v21, v6 row_shr:1 row_mask:0xf bank_mask:0xf
	v_add_nc_u32_e32 v8, v8, v5
	v_add_nc_u32_e32 v21, v21, v6
	v_cndmask_b32_e64 v5, v8, v5, s0
	v_cndmask_b32_e64 v6, v21, v6, s0
	v_cmp_lt_u32_e64 s0, 1, v22
	v_mov_b32_dpp v8, v5 row_shr:2 row_mask:0xf bank_mask:0xf
	v_mov_b32_dpp v21, v6 row_shr:2 row_mask:0xf bank_mask:0xf
	v_add_nc_u32_e32 v8, v5, v8
	v_add_nc_u32_e32 v21, v6, v21
	v_cndmask_b32_e64 v5, v5, v8, s0
	v_cndmask_b32_e64 v6, v6, v21, s0
	v_cmp_lt_u32_e64 s0, 3, v22
	v_mov_b32_dpp v8, v5 row_shr:4 row_mask:0xf bank_mask:0xf
	v_mov_b32_dpp v21, v6 row_shr:4 row_mask:0xf bank_mask:0xf
	v_cndmask_b32_e64 v8, 0, v8, s0
	v_cndmask_b32_e64 v21, 0, v21, s0
	v_add_nc_u32_e32 v5, v8, v5
	v_add_nc_u32_e32 v6, v21, v6
	ds_write_b64 v7, v[5:6]
.LBB436_142:
	s_or_b32 exec_lo, exec_lo, s1
	v_mov_b32_e32 v7, 0
	v_mov_b32_e32 v5, 0
	v_mov_b32_e32 v6, 0
	s_mov_b32 s1, exec_lo
	s_waitcnt lgkmcnt(0)
	s_barrier
	buffer_gl0_inv
	v_cmpx_lt_u32_e32 31, v0
; %bb.143:
	v_lshl_add_u32 v5, v63, 3, -8
	ds_read_b64 v[5:6], v5
; %bb.144:
	s_or_b32 exec_lo, exec_lo, s1
	v_sub_co_u32 v8, s0, v62, 1
	v_cndmask_b32_e32 v2, v4, v2, vcc_lo
	v_cndmask_b32_e32 v1, v3, v1, vcc_lo
	v_cmp_eq_u32_e32 vcc_lo, 0, v0
	v_cmp_gt_i32_e64 s1, 0, v8
	s_waitcnt lgkmcnt(0)
	v_add_nc_u32_e32 v2, v5, v2
	v_add_nc_u32_e32 v1, v6, v1
	v_cndmask_b32_e64 v4, v8, v62, s1
	v_lshlrev_b32_e32 v3, 2, v4
	ds_bpermute_b32 v8, v3, v2
	ds_bpermute_b32 v21, v3, v1
	ds_read_b64 v[1:2], v7 offset:56
	s_and_saveexec_b32 s1, vcc_lo
	s_cbranch_execz .LBB436_146
; %bb.145:
	s_add_u32 s2, s4, 0x200
	s_addc_u32 s3, s5, 0
	v_mov_b32_e32 v3, 2
	v_mov_b32_e32 v23, s3
	v_mov_b32_e32 v4, 0
	v_mov_b32_e32 v22, s2
	s_waitcnt lgkmcnt(0)
	;;#ASMSTART
	global_store_dwordx4 v[22:23], v[1:4] off	
s_waitcnt vmcnt(0)
	;;#ASMEND
.LBB436_146:
	s_or_b32 exec_lo, exec_lo, s1
	s_waitcnt lgkmcnt(1)
	v_cndmask_b32_e64 v3, v21, v6, s0
	v_cndmask_b32_e64 v5, v8, v5, s0
	v_mov_b32_e32 v4, 0
	s_waitcnt lgkmcnt(0)
	s_barrier
	v_cndmask_b32_e64 v23, v3, 0, vcc_lo
	v_cndmask_b32_e64 v24, v5, 0, vcc_lo
	v_mov_b32_e32 v3, 0
	buffer_gl0_inv
.LBB436_147:
	v_add_nc_u32_e32 v61, v23, v61
	v_add_nc_u32_e32 v60, v24, v60
	s_waitcnt lgkmcnt(0)
	v_sub_nc_u32_e32 v23, v23, v4
	v_lshrrev_b32_e32 v26, 8, v36
	v_lshlrev_b32_e32 v66, 1, v1
	v_add_nc_u32_e32 v58, v61, v58
	v_sub_nc_u32_e32 v61, v61, v4
	v_add_nc_u32_e32 v57, v60, v57
	v_sub_nc_u32_e32 v24, v24, v3
	v_sub_nc_u32_e32 v60, v60, v3
	v_add_nc_u32_e32 v23, v23, v1
	v_add_nc_u32_e32 v61, v61, v1
	v_and_b32_e32 v26, 1, v26
	v_mov_b32_e32 v68, 1
	v_add3_u32 v29, v66, v2, v29
	v_add_nc_u32_e32 v73, v24, v23
	v_add_nc_u32_e32 v72, v61, v60
	v_cmp_eq_u32_e32 vcc_lo, 1, v26
	v_and_b32_sdwa v71, v68, v36 dst_sel:DWORD dst_unused:UNUSED_PAD src0_sel:DWORD src1_sel:WORD_1
	v_lshrrev_b32_e32 v25, 8, v30
	v_sub_nc_u32_e32 v73, v29, v73
	v_sub_nc_u32_e32 v72, v29, v72
	v_and_b32_e32 v67, 1, v30
	v_add_nc_u32_e32 v62, v58, v43
	v_and_b32_e32 v25, 1, v25
	v_cndmask_b32_e32 v23, v73, v23, vcc_lo
	v_add_nc_u32_e32 v72, 1, v72
	v_cmp_eq_u32_e32 vcc_lo, 1, v71
	v_sub_nc_u32_e32 v58, v58, v4
	v_add_nc_u32_e32 v59, v57, v59
	v_sub_nc_u32_e32 v57, v57, v3
	v_add_co_u32 v5, s0, s28, v3
	v_cndmask_b32_e32 v26, v72, v61, vcc_lo
	v_cmp_eq_u32_e32 vcc_lo, 1, v67
	v_add_nc_u32_e32 v58, v58, v1
	v_add_co_ci_u32_e64 v6, null, s29, 0, s0
	v_sub_co_u32 v64, s0, s30, v1
	v_cndmask_b32_e32 v67, v23, v24, vcc_lo
	v_cmp_eq_u32_e32 vcc_lo, 1, v25
	v_sub_co_ci_u32_e64 v65, null, s31, 0, s0
	v_and_b32_e32 v43, 1, v43
	v_add_nc_u32_e32 v56, v62, v56
	v_cndmask_b32_e32 v25, v26, v60, vcc_lo
	v_add_nc_u32_e32 v26, v58, v57
	v_add_co_u32 v23, vcc_lo, v64, v4
	v_add_co_ci_u32_e64 v24, null, 0, v65, vcc_lo
	v_sub_nc_u32_e32 v26, v29, v26
	v_sub_nc_u32_e32 v62, v62, v4
	v_and_b32_sdwa v30, v68, v30 dst_sel:DWORD dst_unused:UNUSED_PAD src0_sel:DWORD src1_sel:WORD_1
	v_cmp_eq_u32_e32 vcc_lo, 1, v43
	v_add_nc_u32_e32 v63, v59, v42
	v_add_nc_u32_e32 v26, 2, v26
	v_sub_nc_u32_e32 v59, v59, v3
	v_add_nc_u32_e32 v62, v62, v1
	v_add_nc_u32_e32 v55, v56, v55
	v_lshlrev_b32_e32 v60, 2, v67
	v_cndmask_b32_e32 v26, v26, v58, vcc_lo
	v_cmp_eq_u32_e32 vcc_lo, 1, v30
	v_lshlrev_b32_e32 v25, 2, v25
	v_sub_nc_u32_e32 v56, v56, v4
	v_add_nc_u32_e32 v43, v59, v62
	v_sub_nc_u32_e32 v58, v63, v3
	v_cndmask_b32_e32 v26, v26, v57, vcc_lo
	ds_write_b32 v60, v19
	v_add_nc_u32_e32 v56, v56, v1
	v_sub_nc_u32_e32 v19, v29, v43
	ds_write_b32 v25, v20
	v_lshlrev_b32_e32 v25, 2, v26
	v_and_b32_e32 v26, 1, v31
	v_lshrrev_b32_e32 v22, 8, v31
	v_add_nc_u32_e32 v54, v63, v54
	v_add_nc_u32_e32 v20, v58, v56
	;; [unrolled: 1-line block ×3, first 2 shown]
	v_and_b32_e32 v30, 1, v42
	v_sub_nc_u32_e32 v42, v55, v4
	v_cmp_eq_u32_e32 vcc_lo, 1, v26
	v_sub_nc_u32_e32 v20, v29, v20
	v_and_b32_e32 v22, 1, v22
	v_sub_nc_u32_e32 v26, v54, v3
	v_add_nc_u32_e32 v42, v42, v1
	v_cndmask_b32_e32 v19, v19, v62, vcc_lo
	v_cmp_eq_u32_e32 vcc_lo, 1, v30
	v_add_nc_u32_e32 v20, 4, v20
	v_and_b32_e32 v30, 1, v32
	v_add_nc_u32_e32 v43, v26, v42
	v_lshrrev_b32_e32 v21, 8, v32
	v_cndmask_b32_e32 v19, v19, v59, vcc_lo
	v_cmp_eq_u32_e32 vcc_lo, 1, v22
	v_add_nc_u32_e32 v53, v55, v53
	ds_write_b32 v25, v17
	v_and_b32_sdwa v25, v68, v31 dst_sel:DWORD dst_unused:UNUSED_PAD src0_sel:DWORD src1_sel:WORD_1
	v_lshlrev_b32_e32 v17, 2, v19
	v_cndmask_b32_e32 v20, v20, v56, vcc_lo
	v_sub_nc_u32_e32 v19, v29, v43
	v_cmp_eq_u32_e32 vcc_lo, 1, v30
	v_add_nc_u32_e32 v52, v54, v52
	v_add_nc_u32_e32 v69, v53, v41
	v_and_b32_e32 v21, 1, v21
	v_sub_nc_u32_e32 v22, v53, v4
	v_cndmask_b32_e32 v20, v20, v58, vcc_lo
	v_add_nc_u32_e32 v19, 5, v19
	v_cmp_eq_u32_e32 vcc_lo, 1, v25
	v_add_nc_u32_e32 v46, v52, v46
	v_sub_nc_u32_e32 v30, v52, v3
	v_sub_nc_u32_e32 v31, v69, v4
	v_add_nc_u32_e32 v22, v22, v1
	v_cndmask_b32_e32 v19, v19, v42, vcc_lo
	v_cmp_eq_u32_e32 vcc_lo, 1, v21
	v_sub_nc_u32_e32 v25, v46, v3
	v_add_nc_u32_e32 v31, v31, v1
	v_lshlrev_b32_e32 v20, 2, v20
	v_add_nc_u32_e32 v42, v30, v22
	v_cndmask_b32_e32 v19, v19, v26, vcc_lo
	ds_write_b32 v17, v18
	v_add_nc_u32_e32 v21, v25, v31
	ds_write_b32 v20, v15
	v_sub_nc_u32_e32 v17, v29, v42
	v_lshlrev_b32_e32 v15, 2, v19
	v_and_b32_e32 v19, 1, v41
	v_sub_nc_u32_e32 v18, v29, v21
	v_and_b32_e32 v21, 1, v33
	v_add_nc_u32_e32 v17, 6, v17
	v_add_nc_u32_e32 v51, v69, v51
	v_cmp_eq_u32_e32 vcc_lo, 1, v19
	v_and_b32_sdwa v20, v68, v32 dst_sel:DWORD dst_unused:UNUSED_PAD src0_sel:DWORD src1_sel:WORD_1
	v_add_nc_u32_e32 v18, 7, v18
	v_add_nc_u32_e32 v70, v46, v40
	v_sub_nc_u32_e32 v19, v51, v4
	v_cndmask_b32_e32 v17, v17, v22, vcc_lo
	v_cmp_eq_u32_e32 vcc_lo, 1, v21
	v_and_b32_e32 v22, 1, v40
	v_add_nc_u32_e32 v50, v51, v50
	v_sub_nc_u32_e32 v21, v70, v3
	v_add_nc_u32_e32 v19, v19, v1
	v_cndmask_b32_e32 v18, v18, v31, vcc_lo
	v_cmp_eq_u32_e32 vcc_lo, 1, v20
	v_lshrrev_b32_e32 v8, 8, v33
	v_add_nc_u32_e32 v49, v70, v49
	v_add_nc_u32_e32 v20, v21, v19
	ds_write_b32 v15, v16
	v_cndmask_b32_e32 v17, v17, v30, vcc_lo
	v_cmp_eq_u32_e32 vcc_lo, 1, v22
	v_sub_nc_u32_e32 v15, v50, v4
	v_add_nc_u32_e32 v48, v50, v48
	v_and_b32_e32 v8, 1, v8
	v_lshlrev_b32_e32 v16, 2, v17
	v_cndmask_b32_e32 v18, v18, v25, vcc_lo
	v_add_nc_u32_e32 v15, v15, v1
	v_add_nc_u32_e32 v47, v49, v47
	v_cmp_eq_u32_e32 vcc_lo, 1, v8
	v_lshrrev_b32_e32 v7, 8, v35
	v_lshlrev_b32_e32 v17, 2, v18
	v_sub_nc_u32_e32 v18, v29, v20
	v_sub_nc_u32_e32 v20, v49, v3
	ds_write_b32 v16, v13
	ds_write_b32 v17, v14
	v_and_b32_e32 v16, 1, v35
	v_add_nc_u32_e32 v13, 8, v18
	v_add_nc_u32_e32 v14, v20, v15
	v_sub_nc_u32_e32 v17, v48, v4
	v_add_nc_u32_e32 v74, v48, v39
	v_add_nc_u32_e32 v45, v47, v45
	v_cndmask_b32_e32 v8, v13, v19, vcc_lo
	v_sub_nc_u32_e32 v13, v29, v14
	v_sub_nc_u32_e32 v14, v47, v3
	v_add_nc_u32_e32 v17, v17, v1
	v_cmp_eq_u32_e32 vcc_lo, 1, v16
	v_and_b32_sdwa v16, v68, v33 dst_sel:DWORD dst_unused:UNUSED_PAD src0_sel:DWORD src1_sel:WORD_1
	v_add_nc_u32_e32 v44, v74, v44
	v_add_nc_u32_e32 v13, 9, v13
	v_and_b32_e32 v7, 1, v7
	v_cndmask_b32_e32 v8, v8, v21, vcc_lo
	v_add_nc_u32_e32 v18, v14, v17
	v_sub_nc_u32_e32 v19, v74, v4
	v_cmp_eq_u32_e32 vcc_lo, 1, v16
	v_add_nc_u32_e32 v61, v45, v38
	v_and_b32_e32 v25, 1, v37
	v_sub_nc_u32_e32 v16, v29, v18
	v_sub_nc_u32_e32 v18, v45, v3
	v_cndmask_b32_e32 v13, v13, v15, vcc_lo
	v_sub_nc_u32_e32 v15, v44, v4
	v_add_nc_u32_e32 v19, v19, v1
	v_cmp_eq_u32_e32 vcc_lo, 1, v7
	v_sub_nc_u32_e32 v3, v61, v3
	v_add_nc_u32_e32 v16, 10, v16
	v_add_nc_u32_e32 v15, v15, v1
	v_and_b32_sdwa v22, v68, v35 dst_sel:DWORD dst_unused:UNUSED_PAD src0_sel:DWORD src1_sel:WORD_1
	v_cndmask_b32_e32 v7, v13, v20, vcc_lo
	v_add_nc_u32_e32 v13, v18, v19
	v_and_b32_e32 v20, 1, v39
	v_add_nc_u32_e32 v21, v3, v15
	v_lshlrev_b32_e32 v8, 2, v8
	v_lshlrev_b32_e32 v7, 2, v7
	v_sub_nc_u32_e32 v13, v29, v13
	v_cmp_eq_u32_e32 vcc_lo, 1, v20
	v_and_b32_e32 v20, 1, v34
	v_add_nc_u32_e32 v13, 11, v13
	v_cndmask_b32_e32 v16, v16, v17, vcc_lo
	v_sub_nc_u32_e32 v17, v29, v21
	v_cmp_eq_u32_e32 vcc_lo, 1, v20
	v_and_b32_e32 v21, 1, v38
	v_add_nc_u32_e32 v17, 12, v17
	v_cndmask_b32_e32 v13, v13, v19, vcc_lo
	v_cmp_eq_u32_e32 vcc_lo, 1, v25
	v_and_b32_e32 v19, 1, v36
	v_cndmask_b32_e32 v15, v17, v15, vcc_lo
	v_cmp_eq_u32_e32 vcc_lo, 1, v22
	v_cndmask_b32_e32 v14, v16, v14, vcc_lo
	v_cmp_eq_u32_e32 vcc_lo, 1, v21
	v_lshlrev_b32_e32 v14, 2, v14
	v_cndmask_b32_e32 v13, v13, v18, vcc_lo
	v_cmp_eq_u32_e32 vcc_lo, 1, v19
	v_lshlrev_b32_e32 v13, 2, v13
	v_cndmask_b32_e32 v3, v15, v3, vcc_lo
	v_lshlrev_b32_e32 v3, 2, v3
	ds_write_b32 v8, v11
	ds_write_b32 v7, v12
	;; [unrolled: 1-line block ×5, first 2 shown]
	v_add_co_u32 v3, s0, v2, v66
	v_add_co_ci_u32_e64 v7, null, 0, 0, s0
	s_add_u32 s0, s34, s42
	v_add_co_u32 v3, vcc_lo, v3, v23
	v_add_co_ci_u32_e64 v7, null, v7, v24, vcc_lo
	s_addc_u32 s1, s35, 0
	v_add_co_u32 v3, vcc_lo, v3, v5
	v_add_co_ci_u32_e64 v9, null, v7, v6, vcc_lo
	v_lshlrev_b64 v[7:8], 2, v[23:24]
	v_sub_co_u32 v3, vcc_lo, s0, v3
	v_sub_co_ci_u32_e64 v11, null, s1, v9, vcc_lo
	v_lshlrev_b64 v[9:10], 2, v[5:6]
	v_add_co_u32 v7, vcc_lo, s38, v7
	v_add_co_ci_u32_e64 v8, null, s39, v8, vcc_lo
	v_cmp_ne_u32_e32 vcc_lo, 1, v27
	v_add_co_u32 v9, s0, s36, v9
	v_add_nc_u32_e32 v12, v1, v2
	v_add_co_ci_u32_e64 v10, null, s37, v10, s0
	s_and_b32 vcc_lo, exec_lo, vcc_lo
	s_mov_b32 s0, -1
	s_waitcnt lgkmcnt(0)
	s_barrier
	buffer_gl0_inv
	s_cbranch_vccz .LBB436_151
; %bb.148:
	s_and_b32 vcc_lo, exec_lo, s0
	s_cbranch_vccnz .LBB436_256
.LBB436_149:
	v_cmp_eq_u32_e32 vcc_lo, 0, v0
	s_and_b32 s0, vcc_lo, s33
	s_and_saveexec_b32 s1, s0
	s_cbranch_execnz .LBB436_374
.LBB436_150:
	s_endpgm
.LBB436_151:
	s_mov_b32 s0, exec_lo
	v_cmpx_ge_u32_e64 v0, v1
	s_xor_b32 s0, exec_lo, s0
	s_cbranch_execz .LBB436_157
; %bb.152:
	s_mov_b32 s1, exec_lo
	v_cmpx_ge_u32_e64 v0, v12
	s_xor_b32 s1, exec_lo, s1
	s_cbranch_execz .LBB436_154
; %bb.153:
	v_lshlrev_b32_e32 v13, 2, v0
	ds_read_b32 v15, v13
	v_add_co_u32 v13, vcc_lo, v3, v0
	v_add_co_ci_u32_e64 v14, null, 0, v11, vcc_lo
	v_lshlrev_b64 v[13:14], 2, v[13:14]
	v_sub_co_u32 v13, vcc_lo, s26, v13
	v_sub_co_ci_u32_e64 v14, null, s27, v14, vcc_lo
	s_waitcnt lgkmcnt(0)
	global_store_dword v[13:14], v15, off offset:-4
.LBB436_154:
	s_andn2_saveexec_b32 s1, s1
	s_cbranch_execz .LBB436_156
; %bb.155:
	v_lshlrev_b32_e32 v13, 2, v0
	v_readfirstlane_b32 s2, v7
	v_readfirstlane_b32 s3, v8
	ds_read_b32 v14, v13
	s_waitcnt lgkmcnt(0)
	global_store_dword v13, v14, s[2:3]
.LBB436_156:
	s_or_b32 exec_lo, exec_lo, s1
.LBB436_157:
	s_andn2_saveexec_b32 s0, s0
	s_cbranch_execz .LBB436_159
; %bb.158:
	v_lshlrev_b32_e32 v13, 2, v0
	v_readfirstlane_b32 s2, v9
	v_readfirstlane_b32 s3, v10
	ds_read_b32 v14, v13
	s_waitcnt lgkmcnt(0)
	global_store_dword v13, v14, s[2:3]
.LBB436_159:
	s_or_b32 exec_lo, exec_lo, s0
	v_or_b32_e32 v13, 0x100, v0
	s_mov_b32 s0, exec_lo
	v_cmpx_ge_u32_e64 v13, v1
	s_xor_b32 s0, exec_lo, s0
	s_cbranch_execz .LBB436_165
; %bb.160:
	s_mov_b32 s1, exec_lo
	v_cmpx_ge_u32_e64 v13, v12
	s_xor_b32 s1, exec_lo, s1
	s_cbranch_execz .LBB436_162
; %bb.161:
	v_lshlrev_b32_e32 v13, 2, v0
	ds_read_b32 v15, v13 offset:1024
	v_add_co_u32 v13, vcc_lo, v3, v0
	v_add_co_ci_u32_e64 v14, null, 0, v11, vcc_lo
	v_lshlrev_b64 v[13:14], 2, v[13:14]
	v_sub_co_u32 v13, vcc_lo, s26, v13
	v_sub_co_ci_u32_e64 v14, null, s27, v14, vcc_lo
	s_waitcnt lgkmcnt(0)
	global_store_dword v[13:14], v15, off offset:-1028
.LBB436_162:
	s_andn2_saveexec_b32 s1, s1
	s_cbranch_execz .LBB436_164
; %bb.163:
	v_lshlrev_b32_e32 v13, 2, v0
	v_readfirstlane_b32 s2, v7
	v_readfirstlane_b32 s3, v8
	ds_read_b32 v14, v13 offset:1024
	s_waitcnt lgkmcnt(0)
	global_store_dword v13, v14, s[2:3] offset:1024
.LBB436_164:
	s_or_b32 exec_lo, exec_lo, s1
.LBB436_165:
	s_andn2_saveexec_b32 s0, s0
	s_cbranch_execz .LBB436_167
; %bb.166:
	v_lshlrev_b32_e32 v13, 2, v0
	v_readfirstlane_b32 s2, v9
	v_readfirstlane_b32 s3, v10
	ds_read_b32 v14, v13 offset:1024
	s_waitcnt lgkmcnt(0)
	global_store_dword v13, v14, s[2:3] offset:1024
.LBB436_167:
	s_or_b32 exec_lo, exec_lo, s0
	v_or_b32_e32 v13, 0x200, v0
	s_mov_b32 s0, exec_lo
	v_cmpx_ge_u32_e64 v13, v1
	s_xor_b32 s0, exec_lo, s0
	s_cbranch_execz .LBB436_173
; %bb.168:
	s_mov_b32 s1, exec_lo
	v_cmpx_ge_u32_e64 v13, v12
	s_xor_b32 s1, exec_lo, s1
	s_cbranch_execz .LBB436_170
; %bb.169:
	v_lshlrev_b32_e32 v15, 2, v0
	v_add_co_u32 v13, vcc_lo, v3, v0
	v_add_co_ci_u32_e64 v14, null, 0, v11, vcc_lo
	ds_read_b32 v15, v15 offset:2048
	v_lshlrev_b64 v[13:14], 2, v[13:14]
	v_sub_co_u32 v13, vcc_lo, s26, v13
	v_sub_co_ci_u32_e64 v14, null, s27, v14, vcc_lo
	v_add_co_u32 v13, vcc_lo, 0xfffff800, v13
	v_add_co_ci_u32_e64 v14, null, -1, v14, vcc_lo
	s_waitcnt lgkmcnt(0)
	global_store_dword v[13:14], v15, off offset:-4
                                        ; implicit-def: $vgpr13
.LBB436_170:
	s_andn2_saveexec_b32 s1, s1
	s_cbranch_execz .LBB436_172
; %bb.171:
	v_lshlrev_b32_e32 v14, 2, v0
	v_lshlrev_b32_e32 v13, 2, v13
	v_readfirstlane_b32 s2, v7
	v_readfirstlane_b32 s3, v8
	ds_read_b32 v14, v14 offset:2048
	s_waitcnt lgkmcnt(0)
	global_store_dword v13, v14, s[2:3]
.LBB436_172:
	s_or_b32 exec_lo, exec_lo, s1
                                        ; implicit-def: $vgpr13
.LBB436_173:
	s_andn2_saveexec_b32 s0, s0
	s_cbranch_execz .LBB436_175
; %bb.174:
	v_lshlrev_b32_e32 v14, 2, v0
	v_lshlrev_b32_e32 v13, 2, v13
	v_readfirstlane_b32 s2, v9
	v_readfirstlane_b32 s3, v10
	ds_read_b32 v14, v14 offset:2048
	s_waitcnt lgkmcnt(0)
	global_store_dword v13, v14, s[2:3]
.LBB436_175:
	s_or_b32 exec_lo, exec_lo, s0
	v_or_b32_e32 v13, 0x300, v0
	s_mov_b32 s0, exec_lo
	v_cmpx_ge_u32_e64 v13, v1
	s_xor_b32 s0, exec_lo, s0
	s_cbranch_execz .LBB436_181
; %bb.176:
	s_mov_b32 s1, exec_lo
	v_cmpx_ge_u32_e64 v13, v12
	s_xor_b32 s1, exec_lo, s1
	s_cbranch_execz .LBB436_178
; %bb.177:
	v_lshlrev_b32_e32 v14, 2, v0
	v_add_co_u32 v13, vcc_lo, v3, v13
	ds_read_b32 v15, v14 offset:3072
	v_add_co_ci_u32_e64 v14, null, 0, v11, vcc_lo
	v_lshlrev_b64 v[13:14], 2, v[13:14]
	v_sub_co_u32 v13, vcc_lo, s26, v13
	v_sub_co_ci_u32_e64 v14, null, s27, v14, vcc_lo
	s_waitcnt lgkmcnt(0)
	global_store_dword v[13:14], v15, off offset:-4
                                        ; implicit-def: $vgpr13
.LBB436_178:
	s_andn2_saveexec_b32 s1, s1
	s_cbranch_execz .LBB436_180
; %bb.179:
	v_lshlrev_b32_e32 v14, 2, v0
	v_lshlrev_b32_e32 v13, 2, v13
	v_readfirstlane_b32 s2, v7
	v_readfirstlane_b32 s3, v8
	ds_read_b32 v14, v14 offset:3072
	s_waitcnt lgkmcnt(0)
	global_store_dword v13, v14, s[2:3]
.LBB436_180:
	s_or_b32 exec_lo, exec_lo, s1
                                        ; implicit-def: $vgpr13
.LBB436_181:
	s_andn2_saveexec_b32 s0, s0
	s_cbranch_execz .LBB436_183
; %bb.182:
	v_lshlrev_b32_e32 v14, 2, v0
	v_lshlrev_b32_e32 v13, 2, v13
	v_readfirstlane_b32 s2, v9
	v_readfirstlane_b32 s3, v10
	ds_read_b32 v14, v14 offset:3072
	s_waitcnt lgkmcnt(0)
	global_store_dword v13, v14, s[2:3]
.LBB436_183:
	s_or_b32 exec_lo, exec_lo, s0
	v_or_b32_e32 v13, 0x400, v0
	s_mov_b32 s0, exec_lo
	v_cmpx_ge_u32_e64 v13, v1
	s_xor_b32 s0, exec_lo, s0
	s_cbranch_execz .LBB436_189
; %bb.184:
	s_mov_b32 s1, exec_lo
	v_cmpx_ge_u32_e64 v13, v12
	s_xor_b32 s1, exec_lo, s1
	s_cbranch_execz .LBB436_186
; %bb.185:
	v_lshlrev_b32_e32 v14, 2, v0
	v_add_co_u32 v13, vcc_lo, v3, v13
	ds_read_b32 v15, v14 offset:4096
	v_add_co_ci_u32_e64 v14, null, 0, v11, vcc_lo
	v_lshlrev_b64 v[13:14], 2, v[13:14]
	v_sub_co_u32 v13, vcc_lo, s26, v13
	v_sub_co_ci_u32_e64 v14, null, s27, v14, vcc_lo
	s_waitcnt lgkmcnt(0)
	global_store_dword v[13:14], v15, off offset:-4
                                        ; implicit-def: $vgpr13
.LBB436_186:
	s_andn2_saveexec_b32 s1, s1
	s_cbranch_execz .LBB436_188
; %bb.187:
	v_lshlrev_b32_e32 v14, 2, v0
	v_lshlrev_b32_e32 v13, 2, v13
	v_readfirstlane_b32 s2, v7
	v_readfirstlane_b32 s3, v8
	ds_read_b32 v14, v14 offset:4096
	s_waitcnt lgkmcnt(0)
	global_store_dword v13, v14, s[2:3]
.LBB436_188:
	s_or_b32 exec_lo, exec_lo, s1
                                        ; implicit-def: $vgpr13
.LBB436_189:
	;; [unrolled: 48-line block ×10, first 2 shown]
	s_andn2_saveexec_b32 s0, s0
	s_cbranch_execz .LBB436_255
; %bb.254:
	v_lshlrev_b32_e32 v14, 2, v0
	v_lshlrev_b32_e32 v13, 2, v13
	v_readfirstlane_b32 s2, v9
	v_readfirstlane_b32 s3, v10
	ds_read_b32 v14, v14 offset:12288
	s_waitcnt lgkmcnt(0)
	global_store_dword v13, v14, s[2:3]
.LBB436_255:
	s_or_b32 exec_lo, exec_lo, s0
	s_branch .LBB436_149
.LBB436_256:
	s_mov_b32 s0, exec_lo
	v_cmpx_gt_u32_e64 s7, v0
	s_cbranch_execz .LBB436_265
; %bb.257:
	s_mov_b32 s1, exec_lo
	v_cmpx_ge_u32_e64 v0, v1
	s_xor_b32 s1, exec_lo, s1
	s_cbranch_execz .LBB436_263
; %bb.258:
	s_mov_b32 s2, exec_lo
	v_cmpx_ge_u32_e64 v0, v12
	s_xor_b32 s2, exec_lo, s2
	s_cbranch_execz .LBB436_260
; %bb.259:
	v_lshlrev_b32_e32 v13, 2, v0
	ds_read_b32 v15, v13
	v_add_co_u32 v13, vcc_lo, v3, v0
	v_add_co_ci_u32_e64 v14, null, 0, v11, vcc_lo
	v_lshlrev_b64 v[13:14], 2, v[13:14]
	v_sub_co_u32 v13, vcc_lo, s26, v13
	v_sub_co_ci_u32_e64 v14, null, s27, v14, vcc_lo
	s_waitcnt lgkmcnt(0)
	global_store_dword v[13:14], v15, off offset:-4
.LBB436_260:
	s_andn2_saveexec_b32 s2, s2
	s_cbranch_execz .LBB436_262
; %bb.261:
	v_lshlrev_b32_e32 v13, 2, v0
	v_readfirstlane_b32 s4, v7
	v_readfirstlane_b32 s5, v8
	ds_read_b32 v14, v13
	s_waitcnt lgkmcnt(0)
	global_store_dword v13, v14, s[4:5]
.LBB436_262:
	s_or_b32 exec_lo, exec_lo, s2
.LBB436_263:
	s_andn2_saveexec_b32 s1, s1
	s_cbranch_execz .LBB436_265
; %bb.264:
	v_lshlrev_b32_e32 v13, 2, v0
	v_readfirstlane_b32 s2, v9
	v_readfirstlane_b32 s3, v10
	ds_read_b32 v14, v13
	s_waitcnt lgkmcnt(0)
	global_store_dword v13, v14, s[2:3]
.LBB436_265:
	s_or_b32 exec_lo, exec_lo, s0
	v_or_b32_e32 v13, 0x100, v0
	s_mov_b32 s0, exec_lo
	v_cmpx_gt_u32_e64 s7, v13
	s_cbranch_execz .LBB436_274
; %bb.266:
	s_mov_b32 s1, exec_lo
	v_cmpx_ge_u32_e64 v13, v1
	s_xor_b32 s1, exec_lo, s1
	s_cbranch_execz .LBB436_272
; %bb.267:
	s_mov_b32 s2, exec_lo
	v_cmpx_ge_u32_e64 v13, v12
	s_xor_b32 s2, exec_lo, s2
	s_cbranch_execz .LBB436_269
; %bb.268:
	v_lshlrev_b32_e32 v13, 2, v0
	ds_read_b32 v15, v13 offset:1024
	v_add_co_u32 v13, vcc_lo, v3, v0
	v_add_co_ci_u32_e64 v14, null, 0, v11, vcc_lo
	v_lshlrev_b64 v[13:14], 2, v[13:14]
	v_sub_co_u32 v13, vcc_lo, s26, v13
	v_sub_co_ci_u32_e64 v14, null, s27, v14, vcc_lo
	s_waitcnt lgkmcnt(0)
	global_store_dword v[13:14], v15, off offset:-1028
.LBB436_269:
	s_andn2_saveexec_b32 s2, s2
	s_cbranch_execz .LBB436_271
; %bb.270:
	v_lshlrev_b32_e32 v13, 2, v0
	v_readfirstlane_b32 s4, v7
	v_readfirstlane_b32 s5, v8
	ds_read_b32 v14, v13 offset:1024
	s_waitcnt lgkmcnt(0)
	global_store_dword v13, v14, s[4:5] offset:1024
.LBB436_271:
	s_or_b32 exec_lo, exec_lo, s2
.LBB436_272:
	s_andn2_saveexec_b32 s1, s1
	s_cbranch_execz .LBB436_274
; %bb.273:
	v_lshlrev_b32_e32 v13, 2, v0
	v_readfirstlane_b32 s2, v9
	v_readfirstlane_b32 s3, v10
	ds_read_b32 v14, v13 offset:1024
	s_waitcnt lgkmcnt(0)
	global_store_dword v13, v14, s[2:3] offset:1024
.LBB436_274:
	s_or_b32 exec_lo, exec_lo, s0
	v_or_b32_e32 v13, 0x200, v0
	s_mov_b32 s0, exec_lo
	v_cmpx_gt_u32_e64 s7, v13
	s_cbranch_execz .LBB436_283
; %bb.275:
	s_mov_b32 s1, exec_lo
	v_cmpx_ge_u32_e64 v13, v1
	s_xor_b32 s1, exec_lo, s1
	s_cbranch_execz .LBB436_281
; %bb.276:
	s_mov_b32 s2, exec_lo
	v_cmpx_ge_u32_e64 v13, v12
	s_xor_b32 s2, exec_lo, s2
	s_cbranch_execz .LBB436_278
; %bb.277:
	v_lshlrev_b32_e32 v15, 2, v0
	v_add_co_u32 v13, vcc_lo, v3, v0
	v_add_co_ci_u32_e64 v14, null, 0, v11, vcc_lo
	ds_read_b32 v15, v15 offset:2048
	v_lshlrev_b64 v[13:14], 2, v[13:14]
	v_sub_co_u32 v13, vcc_lo, s26, v13
	v_sub_co_ci_u32_e64 v14, null, s27, v14, vcc_lo
	v_add_co_u32 v13, vcc_lo, 0xfffff800, v13
	v_add_co_ci_u32_e64 v14, null, -1, v14, vcc_lo
	s_waitcnt lgkmcnt(0)
	global_store_dword v[13:14], v15, off offset:-4
                                        ; implicit-def: $vgpr13
.LBB436_278:
	s_andn2_saveexec_b32 s2, s2
	s_cbranch_execz .LBB436_280
; %bb.279:
	v_lshlrev_b32_e32 v14, 2, v0
	v_lshlrev_b32_e32 v13, 2, v13
	v_readfirstlane_b32 s4, v7
	v_readfirstlane_b32 s5, v8
	ds_read_b32 v14, v14 offset:2048
	s_waitcnt lgkmcnt(0)
	global_store_dword v13, v14, s[4:5]
.LBB436_280:
	s_or_b32 exec_lo, exec_lo, s2
                                        ; implicit-def: $vgpr13
.LBB436_281:
	s_andn2_saveexec_b32 s1, s1
	s_cbranch_execz .LBB436_283
; %bb.282:
	v_lshlrev_b32_e32 v14, 2, v0
	v_lshlrev_b32_e32 v13, 2, v13
	v_readfirstlane_b32 s2, v9
	v_readfirstlane_b32 s3, v10
	ds_read_b32 v14, v14 offset:2048
	s_waitcnt lgkmcnt(0)
	global_store_dword v13, v14, s[2:3]
.LBB436_283:
	s_or_b32 exec_lo, exec_lo, s0
	v_or_b32_e32 v13, 0x300, v0
	s_mov_b32 s0, exec_lo
	v_cmpx_gt_u32_e64 s7, v13
	s_cbranch_execz .LBB436_292
; %bb.284:
	s_mov_b32 s1, exec_lo
	v_cmpx_ge_u32_e64 v13, v1
	s_xor_b32 s1, exec_lo, s1
	s_cbranch_execz .LBB436_290
; %bb.285:
	s_mov_b32 s2, exec_lo
	v_cmpx_ge_u32_e64 v13, v12
	s_xor_b32 s2, exec_lo, s2
	s_cbranch_execz .LBB436_287
; %bb.286:
	v_lshlrev_b32_e32 v14, 2, v0
	v_add_co_u32 v13, vcc_lo, v3, v13
	ds_read_b32 v15, v14 offset:3072
	v_add_co_ci_u32_e64 v14, null, 0, v11, vcc_lo
	v_lshlrev_b64 v[13:14], 2, v[13:14]
	v_sub_co_u32 v13, vcc_lo, s26, v13
	v_sub_co_ci_u32_e64 v14, null, s27, v14, vcc_lo
	s_waitcnt lgkmcnt(0)
	global_store_dword v[13:14], v15, off offset:-4
                                        ; implicit-def: $vgpr13
.LBB436_287:
	s_andn2_saveexec_b32 s2, s2
	s_cbranch_execz .LBB436_289
; %bb.288:
	v_lshlrev_b32_e32 v14, 2, v0
	v_lshlrev_b32_e32 v13, 2, v13
	v_readfirstlane_b32 s4, v7
	v_readfirstlane_b32 s5, v8
	ds_read_b32 v14, v14 offset:3072
	s_waitcnt lgkmcnt(0)
	global_store_dword v13, v14, s[4:5]
.LBB436_289:
	s_or_b32 exec_lo, exec_lo, s2
                                        ; implicit-def: $vgpr13
.LBB436_290:
	s_andn2_saveexec_b32 s1, s1
	s_cbranch_execz .LBB436_292
; %bb.291:
	v_lshlrev_b32_e32 v14, 2, v0
	v_lshlrev_b32_e32 v13, 2, v13
	v_readfirstlane_b32 s2, v9
	v_readfirstlane_b32 s3, v10
	ds_read_b32 v14, v14 offset:3072
	s_waitcnt lgkmcnt(0)
	global_store_dword v13, v14, s[2:3]
.LBB436_292:
	s_or_b32 exec_lo, exec_lo, s0
	v_or_b32_e32 v13, 0x400, v0
	s_mov_b32 s0, exec_lo
	v_cmpx_gt_u32_e64 s7, v13
	s_cbranch_execz .LBB436_301
; %bb.293:
	s_mov_b32 s1, exec_lo
	v_cmpx_ge_u32_e64 v13, v1
	s_xor_b32 s1, exec_lo, s1
	s_cbranch_execz .LBB436_299
; %bb.294:
	s_mov_b32 s2, exec_lo
	v_cmpx_ge_u32_e64 v13, v12
	s_xor_b32 s2, exec_lo, s2
	s_cbranch_execz .LBB436_296
; %bb.295:
	v_lshlrev_b32_e32 v14, 2, v0
	v_add_co_u32 v13, vcc_lo, v3, v13
	ds_read_b32 v15, v14 offset:4096
	v_add_co_ci_u32_e64 v14, null, 0, v11, vcc_lo
	v_lshlrev_b64 v[13:14], 2, v[13:14]
	v_sub_co_u32 v13, vcc_lo, s26, v13
	v_sub_co_ci_u32_e64 v14, null, s27, v14, vcc_lo
	s_waitcnt lgkmcnt(0)
	global_store_dword v[13:14], v15, off offset:-4
                                        ; implicit-def: $vgpr13
.LBB436_296:
	s_andn2_saveexec_b32 s2, s2
	s_cbranch_execz .LBB436_298
; %bb.297:
	v_lshlrev_b32_e32 v14, 2, v0
	v_lshlrev_b32_e32 v13, 2, v13
	v_readfirstlane_b32 s4, v7
	v_readfirstlane_b32 s5, v8
	ds_read_b32 v14, v14 offset:4096
	s_waitcnt lgkmcnt(0)
	global_store_dword v13, v14, s[4:5]
.LBB436_298:
	s_or_b32 exec_lo, exec_lo, s2
                                        ; implicit-def: $vgpr13
.LBB436_299:
	s_andn2_saveexec_b32 s1, s1
	s_cbranch_execz .LBB436_301
; %bb.300:
	v_lshlrev_b32_e32 v14, 2, v0
	v_lshlrev_b32_e32 v13, 2, v13
	v_readfirstlane_b32 s2, v9
	v_readfirstlane_b32 s3, v10
	ds_read_b32 v14, v14 offset:4096
	s_waitcnt lgkmcnt(0)
	global_store_dword v13, v14, s[2:3]
.LBB436_301:
	;; [unrolled: 52-line block ×9, first 2 shown]
	s_or_b32 exec_lo, exec_lo, s0
	v_or_b32_e32 v13, 0xc00, v0
	s_mov_b32 s0, exec_lo
	v_cmpx_gt_u32_e64 s7, v13
	s_cbranch_execz .LBB436_373
; %bb.365:
	s_mov_b32 s1, exec_lo
	v_cmpx_ge_u32_e64 v13, v1
	s_xor_b32 s1, exec_lo, s1
	s_cbranch_execz .LBB436_371
; %bb.366:
	s_mov_b32 s2, exec_lo
	v_cmpx_ge_u32_e64 v13, v12
	s_xor_b32 s2, exec_lo, s2
	s_cbranch_execz .LBB436_368
; %bb.367:
	v_lshlrev_b32_e32 v7, 2, v0
	ds_read_b32 v9, v7 offset:12288
	v_add_co_u32 v7, vcc_lo, v3, v13
	v_add_co_ci_u32_e64 v8, null, 0, v11, vcc_lo
                                        ; implicit-def: $vgpr13
	v_lshlrev_b64 v[7:8], 2, v[7:8]
	v_sub_co_u32 v7, vcc_lo, s26, v7
	v_sub_co_ci_u32_e64 v8, null, s27, v8, vcc_lo
	s_waitcnt lgkmcnt(0)
	global_store_dword v[7:8], v9, off offset:-4
                                        ; implicit-def: $vgpr7_vgpr8
.LBB436_368:
	s_andn2_saveexec_b32 s2, s2
	s_cbranch_execz .LBB436_370
; %bb.369:
	v_lshlrev_b32_e32 v3, 2, v0
	v_lshlrev_b32_e32 v9, 2, v13
	v_readfirstlane_b32 s4, v7
	v_readfirstlane_b32 s5, v8
	ds_read_b32 v3, v3 offset:12288
	s_waitcnt lgkmcnt(0)
	global_store_dword v9, v3, s[4:5]
.LBB436_370:
	s_or_b32 exec_lo, exec_lo, s2
                                        ; implicit-def: $vgpr13
                                        ; implicit-def: $vgpr9_vgpr10
.LBB436_371:
	s_andn2_saveexec_b32 s1, s1
	s_cbranch_execz .LBB436_373
; %bb.372:
	v_lshlrev_b32_e32 v3, 2, v0
	v_lshlrev_b32_e32 v7, 2, v13
	v_readfirstlane_b32 s2, v9
	v_readfirstlane_b32 s3, v10
	ds_read_b32 v3, v3 offset:12288
	s_waitcnt lgkmcnt(0)
	global_store_dword v7, v3, s[2:3]
.LBB436_373:
	s_or_b32 exec_lo, exec_lo, s0
	v_cmp_eq_u32_e32 vcc_lo, 0, v0
	s_and_b32 s0, vcc_lo, s33
	s_and_saveexec_b32 s1, s0
	s_cbranch_execz .LBB436_150
.LBB436_374:
	v_add_co_u32 v0, s0, s30, v2
	v_add_co_ci_u32_e64 v3, null, s31, 0, s0
	v_mov_b32_e32 v7, 0
	v_add_co_u32 v2, vcc_lo, v0, v4
	v_add_co_ci_u32_e64 v3, null, 0, v3, vcc_lo
	v_add_co_u32 v0, vcc_lo, v5, v1
	v_add_co_ci_u32_e64 v1, null, 0, v6, vcc_lo
	global_store_dwordx4 v7, v[0:3], s[24:25]
	s_endpgm
.LBB436_375:
	s_add_i32 s10, s6, 32
	s_mov_b32 s11, 0
	v_add_nc_u32_e32 v6, v4, v2
	s_lshl_b64 s[10:11], s[10:11], 4
	v_add_nc_u32_e32 v5, v3, v1
	s_add_u32 s10, s4, s10
	s_addc_u32 s11, s5, s11
	v_mov_b32_e32 v7, 2
	v_mov_b32_e32 v24, s11
	;; [unrolled: 1-line block ×4, first 2 shown]
	;;#ASMSTART
	global_store_dwordx4 v[23:24], v[5:8] off	
s_waitcnt vmcnt(0)
	;;#ASMEND
	s_or_b32 exec_lo, exec_lo, s8
	s_and_saveexec_b32 s6, s2
	s_cbranch_execz .LBB436_135
.LBB436_376:
	v_mov_b32_e32 v5, 0
	ds_write_b128 v5, v[1:4] offset:13312
	s_or_b32 exec_lo, exec_lo, s6
	v_cmp_eq_u32_e32 vcc_lo, 0, v0
	s_and_b32 exec_lo, exec_lo, vcc_lo
	s_cbranch_execnz .LBB436_136
	s_branch .LBB436_137
	.section	.rodata,"a",@progbits
	.p2align	6, 0x0
	.amdhsa_kernel _ZN7rocprim17ROCPRIM_400000_NS6detail17trampoline_kernelINS0_13select_configILj256ELj13ELNS0_17block_load_methodE3ELS4_3ELS4_3ELNS0_20block_scan_algorithmE0ELj4294967295EEENS1_25partition_config_selectorILNS1_17partition_subalgoE4EjNS0_10empty_typeEbEEZZNS1_14partition_implILS8_4ELb0ES6_15HIP_vector_typeIjLj2EENS0_17counting_iteratorIjlEEPS9_SG_NS0_5tupleIJPjSI_NS0_16reverse_iteratorISI_EEEEENSH_IJSG_SG_SG_EEES9_SI_JZNS1_25segmented_radix_sort_implINS0_14default_configELb1EPKiPiPKlPlN2at6native12_GLOBAL__N_18offset_tEEE10hipError_tPvRmT1_PNSt15iterator_traitsIS12_E10value_typeET2_T3_PNS13_IS18_E10value_typeET4_jRbjT5_S1E_jjP12ihipStream_tbEUljE_ZNSN_ISO_Lb1ESQ_SR_ST_SU_SY_EESZ_S10_S11_S12_S16_S17_S18_S1B_S1C_jS1D_jS1E_S1E_jjS1G_bEUljE0_EEESZ_S10_S11_S18_S1C_S1E_T6_T7_T9_mT8_S1G_bDpT10_ENKUlT_T0_E_clISt17integral_constantIbLb0EES1U_EEDaS1P_S1Q_EUlS1P_E_NS1_11comp_targetILNS1_3genE8ELNS1_11target_archE1030ELNS1_3gpuE2ELNS1_3repE0EEENS1_30default_config_static_selectorELNS0_4arch9wavefront6targetE0EEEvS12_
		.amdhsa_group_segment_fixed_size 13328
		.amdhsa_private_segment_fixed_size 0
		.amdhsa_kernarg_size 176
		.amdhsa_user_sgpr_count 6
		.amdhsa_user_sgpr_private_segment_buffer 1
		.amdhsa_user_sgpr_dispatch_ptr 0
		.amdhsa_user_sgpr_queue_ptr 0
		.amdhsa_user_sgpr_kernarg_segment_ptr 1
		.amdhsa_user_sgpr_dispatch_id 0
		.amdhsa_user_sgpr_flat_scratch_init 0
		.amdhsa_user_sgpr_private_segment_size 0
		.amdhsa_wavefront_size32 1
		.amdhsa_uses_dynamic_stack 0
		.amdhsa_system_sgpr_private_segment_wavefront_offset 0
		.amdhsa_system_sgpr_workgroup_id_x 1
		.amdhsa_system_sgpr_workgroup_id_y 0
		.amdhsa_system_sgpr_workgroup_id_z 0
		.amdhsa_system_sgpr_workgroup_info 0
		.amdhsa_system_vgpr_workitem_id 0
		.amdhsa_next_free_vgpr 82
		.amdhsa_next_free_sgpr 59
		.amdhsa_reserve_vcc 1
		.amdhsa_reserve_flat_scratch 0
		.amdhsa_float_round_mode_32 0
		.amdhsa_float_round_mode_16_64 0
		.amdhsa_float_denorm_mode_32 3
		.amdhsa_float_denorm_mode_16_64 3
		.amdhsa_dx10_clamp 1
		.amdhsa_ieee_mode 1
		.amdhsa_fp16_overflow 0
		.amdhsa_workgroup_processor_mode 1
		.amdhsa_memory_ordered 1
		.amdhsa_forward_progress 1
		.amdhsa_shared_vgpr_count 0
		.amdhsa_exception_fp_ieee_invalid_op 0
		.amdhsa_exception_fp_denorm_src 0
		.amdhsa_exception_fp_ieee_div_zero 0
		.amdhsa_exception_fp_ieee_overflow 0
		.amdhsa_exception_fp_ieee_underflow 0
		.amdhsa_exception_fp_ieee_inexact 0
		.amdhsa_exception_int_div_zero 0
	.end_amdhsa_kernel
	.section	.text._ZN7rocprim17ROCPRIM_400000_NS6detail17trampoline_kernelINS0_13select_configILj256ELj13ELNS0_17block_load_methodE3ELS4_3ELS4_3ELNS0_20block_scan_algorithmE0ELj4294967295EEENS1_25partition_config_selectorILNS1_17partition_subalgoE4EjNS0_10empty_typeEbEEZZNS1_14partition_implILS8_4ELb0ES6_15HIP_vector_typeIjLj2EENS0_17counting_iteratorIjlEEPS9_SG_NS0_5tupleIJPjSI_NS0_16reverse_iteratorISI_EEEEENSH_IJSG_SG_SG_EEES9_SI_JZNS1_25segmented_radix_sort_implINS0_14default_configELb1EPKiPiPKlPlN2at6native12_GLOBAL__N_18offset_tEEE10hipError_tPvRmT1_PNSt15iterator_traitsIS12_E10value_typeET2_T3_PNS13_IS18_E10value_typeET4_jRbjT5_S1E_jjP12ihipStream_tbEUljE_ZNSN_ISO_Lb1ESQ_SR_ST_SU_SY_EESZ_S10_S11_S12_S16_S17_S18_S1B_S1C_jS1D_jS1E_S1E_jjS1G_bEUljE0_EEESZ_S10_S11_S18_S1C_S1E_T6_T7_T9_mT8_S1G_bDpT10_ENKUlT_T0_E_clISt17integral_constantIbLb0EES1U_EEDaS1P_S1Q_EUlS1P_E_NS1_11comp_targetILNS1_3genE8ELNS1_11target_archE1030ELNS1_3gpuE2ELNS1_3repE0EEENS1_30default_config_static_selectorELNS0_4arch9wavefront6targetE0EEEvS12_,"axG",@progbits,_ZN7rocprim17ROCPRIM_400000_NS6detail17trampoline_kernelINS0_13select_configILj256ELj13ELNS0_17block_load_methodE3ELS4_3ELS4_3ELNS0_20block_scan_algorithmE0ELj4294967295EEENS1_25partition_config_selectorILNS1_17partition_subalgoE4EjNS0_10empty_typeEbEEZZNS1_14partition_implILS8_4ELb0ES6_15HIP_vector_typeIjLj2EENS0_17counting_iteratorIjlEEPS9_SG_NS0_5tupleIJPjSI_NS0_16reverse_iteratorISI_EEEEENSH_IJSG_SG_SG_EEES9_SI_JZNS1_25segmented_radix_sort_implINS0_14default_configELb1EPKiPiPKlPlN2at6native12_GLOBAL__N_18offset_tEEE10hipError_tPvRmT1_PNSt15iterator_traitsIS12_E10value_typeET2_T3_PNS13_IS18_E10value_typeET4_jRbjT5_S1E_jjP12ihipStream_tbEUljE_ZNSN_ISO_Lb1ESQ_SR_ST_SU_SY_EESZ_S10_S11_S12_S16_S17_S18_S1B_S1C_jS1D_jS1E_S1E_jjS1G_bEUljE0_EEESZ_S10_S11_S18_S1C_S1E_T6_T7_T9_mT8_S1G_bDpT10_ENKUlT_T0_E_clISt17integral_constantIbLb0EES1U_EEDaS1P_S1Q_EUlS1P_E_NS1_11comp_targetILNS1_3genE8ELNS1_11target_archE1030ELNS1_3gpuE2ELNS1_3repE0EEENS1_30default_config_static_selectorELNS0_4arch9wavefront6targetE0EEEvS12_,comdat
.Lfunc_end436:
	.size	_ZN7rocprim17ROCPRIM_400000_NS6detail17trampoline_kernelINS0_13select_configILj256ELj13ELNS0_17block_load_methodE3ELS4_3ELS4_3ELNS0_20block_scan_algorithmE0ELj4294967295EEENS1_25partition_config_selectorILNS1_17partition_subalgoE4EjNS0_10empty_typeEbEEZZNS1_14partition_implILS8_4ELb0ES6_15HIP_vector_typeIjLj2EENS0_17counting_iteratorIjlEEPS9_SG_NS0_5tupleIJPjSI_NS0_16reverse_iteratorISI_EEEEENSH_IJSG_SG_SG_EEES9_SI_JZNS1_25segmented_radix_sort_implINS0_14default_configELb1EPKiPiPKlPlN2at6native12_GLOBAL__N_18offset_tEEE10hipError_tPvRmT1_PNSt15iterator_traitsIS12_E10value_typeET2_T3_PNS13_IS18_E10value_typeET4_jRbjT5_S1E_jjP12ihipStream_tbEUljE_ZNSN_ISO_Lb1ESQ_SR_ST_SU_SY_EESZ_S10_S11_S12_S16_S17_S18_S1B_S1C_jS1D_jS1E_S1E_jjS1G_bEUljE0_EEESZ_S10_S11_S18_S1C_S1E_T6_T7_T9_mT8_S1G_bDpT10_ENKUlT_T0_E_clISt17integral_constantIbLb0EES1U_EEDaS1P_S1Q_EUlS1P_E_NS1_11comp_targetILNS1_3genE8ELNS1_11target_archE1030ELNS1_3gpuE2ELNS1_3repE0EEENS1_30default_config_static_selectorELNS0_4arch9wavefront6targetE0EEEvS12_, .Lfunc_end436-_ZN7rocprim17ROCPRIM_400000_NS6detail17trampoline_kernelINS0_13select_configILj256ELj13ELNS0_17block_load_methodE3ELS4_3ELS4_3ELNS0_20block_scan_algorithmE0ELj4294967295EEENS1_25partition_config_selectorILNS1_17partition_subalgoE4EjNS0_10empty_typeEbEEZZNS1_14partition_implILS8_4ELb0ES6_15HIP_vector_typeIjLj2EENS0_17counting_iteratorIjlEEPS9_SG_NS0_5tupleIJPjSI_NS0_16reverse_iteratorISI_EEEEENSH_IJSG_SG_SG_EEES9_SI_JZNS1_25segmented_radix_sort_implINS0_14default_configELb1EPKiPiPKlPlN2at6native12_GLOBAL__N_18offset_tEEE10hipError_tPvRmT1_PNSt15iterator_traitsIS12_E10value_typeET2_T3_PNS13_IS18_E10value_typeET4_jRbjT5_S1E_jjP12ihipStream_tbEUljE_ZNSN_ISO_Lb1ESQ_SR_ST_SU_SY_EESZ_S10_S11_S12_S16_S17_S18_S1B_S1C_jS1D_jS1E_S1E_jjS1G_bEUljE0_EEESZ_S10_S11_S18_S1C_S1E_T6_T7_T9_mT8_S1G_bDpT10_ENKUlT_T0_E_clISt17integral_constantIbLb0EES1U_EEDaS1P_S1Q_EUlS1P_E_NS1_11comp_targetILNS1_3genE8ELNS1_11target_archE1030ELNS1_3gpuE2ELNS1_3repE0EEENS1_30default_config_static_selectorELNS0_4arch9wavefront6targetE0EEEvS12_
                                        ; -- End function
	.set _ZN7rocprim17ROCPRIM_400000_NS6detail17trampoline_kernelINS0_13select_configILj256ELj13ELNS0_17block_load_methodE3ELS4_3ELS4_3ELNS0_20block_scan_algorithmE0ELj4294967295EEENS1_25partition_config_selectorILNS1_17partition_subalgoE4EjNS0_10empty_typeEbEEZZNS1_14partition_implILS8_4ELb0ES6_15HIP_vector_typeIjLj2EENS0_17counting_iteratorIjlEEPS9_SG_NS0_5tupleIJPjSI_NS0_16reverse_iteratorISI_EEEEENSH_IJSG_SG_SG_EEES9_SI_JZNS1_25segmented_radix_sort_implINS0_14default_configELb1EPKiPiPKlPlN2at6native12_GLOBAL__N_18offset_tEEE10hipError_tPvRmT1_PNSt15iterator_traitsIS12_E10value_typeET2_T3_PNS13_IS18_E10value_typeET4_jRbjT5_S1E_jjP12ihipStream_tbEUljE_ZNSN_ISO_Lb1ESQ_SR_ST_SU_SY_EESZ_S10_S11_S12_S16_S17_S18_S1B_S1C_jS1D_jS1E_S1E_jjS1G_bEUljE0_EEESZ_S10_S11_S18_S1C_S1E_T6_T7_T9_mT8_S1G_bDpT10_ENKUlT_T0_E_clISt17integral_constantIbLb0EES1U_EEDaS1P_S1Q_EUlS1P_E_NS1_11comp_targetILNS1_3genE8ELNS1_11target_archE1030ELNS1_3gpuE2ELNS1_3repE0EEENS1_30default_config_static_selectorELNS0_4arch9wavefront6targetE0EEEvS12_.num_vgpr, 82
	.set _ZN7rocprim17ROCPRIM_400000_NS6detail17trampoline_kernelINS0_13select_configILj256ELj13ELNS0_17block_load_methodE3ELS4_3ELS4_3ELNS0_20block_scan_algorithmE0ELj4294967295EEENS1_25partition_config_selectorILNS1_17partition_subalgoE4EjNS0_10empty_typeEbEEZZNS1_14partition_implILS8_4ELb0ES6_15HIP_vector_typeIjLj2EENS0_17counting_iteratorIjlEEPS9_SG_NS0_5tupleIJPjSI_NS0_16reverse_iteratorISI_EEEEENSH_IJSG_SG_SG_EEES9_SI_JZNS1_25segmented_radix_sort_implINS0_14default_configELb1EPKiPiPKlPlN2at6native12_GLOBAL__N_18offset_tEEE10hipError_tPvRmT1_PNSt15iterator_traitsIS12_E10value_typeET2_T3_PNS13_IS18_E10value_typeET4_jRbjT5_S1E_jjP12ihipStream_tbEUljE_ZNSN_ISO_Lb1ESQ_SR_ST_SU_SY_EESZ_S10_S11_S12_S16_S17_S18_S1B_S1C_jS1D_jS1E_S1E_jjS1G_bEUljE0_EEESZ_S10_S11_S18_S1C_S1E_T6_T7_T9_mT8_S1G_bDpT10_ENKUlT_T0_E_clISt17integral_constantIbLb0EES1U_EEDaS1P_S1Q_EUlS1P_E_NS1_11comp_targetILNS1_3genE8ELNS1_11target_archE1030ELNS1_3gpuE2ELNS1_3repE0EEENS1_30default_config_static_selectorELNS0_4arch9wavefront6targetE0EEEvS12_.num_agpr, 0
	.set _ZN7rocprim17ROCPRIM_400000_NS6detail17trampoline_kernelINS0_13select_configILj256ELj13ELNS0_17block_load_methodE3ELS4_3ELS4_3ELNS0_20block_scan_algorithmE0ELj4294967295EEENS1_25partition_config_selectorILNS1_17partition_subalgoE4EjNS0_10empty_typeEbEEZZNS1_14partition_implILS8_4ELb0ES6_15HIP_vector_typeIjLj2EENS0_17counting_iteratorIjlEEPS9_SG_NS0_5tupleIJPjSI_NS0_16reverse_iteratorISI_EEEEENSH_IJSG_SG_SG_EEES9_SI_JZNS1_25segmented_radix_sort_implINS0_14default_configELb1EPKiPiPKlPlN2at6native12_GLOBAL__N_18offset_tEEE10hipError_tPvRmT1_PNSt15iterator_traitsIS12_E10value_typeET2_T3_PNS13_IS18_E10value_typeET4_jRbjT5_S1E_jjP12ihipStream_tbEUljE_ZNSN_ISO_Lb1ESQ_SR_ST_SU_SY_EESZ_S10_S11_S12_S16_S17_S18_S1B_S1C_jS1D_jS1E_S1E_jjS1G_bEUljE0_EEESZ_S10_S11_S18_S1C_S1E_T6_T7_T9_mT8_S1G_bDpT10_ENKUlT_T0_E_clISt17integral_constantIbLb0EES1U_EEDaS1P_S1Q_EUlS1P_E_NS1_11comp_targetILNS1_3genE8ELNS1_11target_archE1030ELNS1_3gpuE2ELNS1_3repE0EEENS1_30default_config_static_selectorELNS0_4arch9wavefront6targetE0EEEvS12_.numbered_sgpr, 59
	.set _ZN7rocprim17ROCPRIM_400000_NS6detail17trampoline_kernelINS0_13select_configILj256ELj13ELNS0_17block_load_methodE3ELS4_3ELS4_3ELNS0_20block_scan_algorithmE0ELj4294967295EEENS1_25partition_config_selectorILNS1_17partition_subalgoE4EjNS0_10empty_typeEbEEZZNS1_14partition_implILS8_4ELb0ES6_15HIP_vector_typeIjLj2EENS0_17counting_iteratorIjlEEPS9_SG_NS0_5tupleIJPjSI_NS0_16reverse_iteratorISI_EEEEENSH_IJSG_SG_SG_EEES9_SI_JZNS1_25segmented_radix_sort_implINS0_14default_configELb1EPKiPiPKlPlN2at6native12_GLOBAL__N_18offset_tEEE10hipError_tPvRmT1_PNSt15iterator_traitsIS12_E10value_typeET2_T3_PNS13_IS18_E10value_typeET4_jRbjT5_S1E_jjP12ihipStream_tbEUljE_ZNSN_ISO_Lb1ESQ_SR_ST_SU_SY_EESZ_S10_S11_S12_S16_S17_S18_S1B_S1C_jS1D_jS1E_S1E_jjS1G_bEUljE0_EEESZ_S10_S11_S18_S1C_S1E_T6_T7_T9_mT8_S1G_bDpT10_ENKUlT_T0_E_clISt17integral_constantIbLb0EES1U_EEDaS1P_S1Q_EUlS1P_E_NS1_11comp_targetILNS1_3genE8ELNS1_11target_archE1030ELNS1_3gpuE2ELNS1_3repE0EEENS1_30default_config_static_selectorELNS0_4arch9wavefront6targetE0EEEvS12_.num_named_barrier, 0
	.set _ZN7rocprim17ROCPRIM_400000_NS6detail17trampoline_kernelINS0_13select_configILj256ELj13ELNS0_17block_load_methodE3ELS4_3ELS4_3ELNS0_20block_scan_algorithmE0ELj4294967295EEENS1_25partition_config_selectorILNS1_17partition_subalgoE4EjNS0_10empty_typeEbEEZZNS1_14partition_implILS8_4ELb0ES6_15HIP_vector_typeIjLj2EENS0_17counting_iteratorIjlEEPS9_SG_NS0_5tupleIJPjSI_NS0_16reverse_iteratorISI_EEEEENSH_IJSG_SG_SG_EEES9_SI_JZNS1_25segmented_radix_sort_implINS0_14default_configELb1EPKiPiPKlPlN2at6native12_GLOBAL__N_18offset_tEEE10hipError_tPvRmT1_PNSt15iterator_traitsIS12_E10value_typeET2_T3_PNS13_IS18_E10value_typeET4_jRbjT5_S1E_jjP12ihipStream_tbEUljE_ZNSN_ISO_Lb1ESQ_SR_ST_SU_SY_EESZ_S10_S11_S12_S16_S17_S18_S1B_S1C_jS1D_jS1E_S1E_jjS1G_bEUljE0_EEESZ_S10_S11_S18_S1C_S1E_T6_T7_T9_mT8_S1G_bDpT10_ENKUlT_T0_E_clISt17integral_constantIbLb0EES1U_EEDaS1P_S1Q_EUlS1P_E_NS1_11comp_targetILNS1_3genE8ELNS1_11target_archE1030ELNS1_3gpuE2ELNS1_3repE0EEENS1_30default_config_static_selectorELNS0_4arch9wavefront6targetE0EEEvS12_.private_seg_size, 0
	.set _ZN7rocprim17ROCPRIM_400000_NS6detail17trampoline_kernelINS0_13select_configILj256ELj13ELNS0_17block_load_methodE3ELS4_3ELS4_3ELNS0_20block_scan_algorithmE0ELj4294967295EEENS1_25partition_config_selectorILNS1_17partition_subalgoE4EjNS0_10empty_typeEbEEZZNS1_14partition_implILS8_4ELb0ES6_15HIP_vector_typeIjLj2EENS0_17counting_iteratorIjlEEPS9_SG_NS0_5tupleIJPjSI_NS0_16reverse_iteratorISI_EEEEENSH_IJSG_SG_SG_EEES9_SI_JZNS1_25segmented_radix_sort_implINS0_14default_configELb1EPKiPiPKlPlN2at6native12_GLOBAL__N_18offset_tEEE10hipError_tPvRmT1_PNSt15iterator_traitsIS12_E10value_typeET2_T3_PNS13_IS18_E10value_typeET4_jRbjT5_S1E_jjP12ihipStream_tbEUljE_ZNSN_ISO_Lb1ESQ_SR_ST_SU_SY_EESZ_S10_S11_S12_S16_S17_S18_S1B_S1C_jS1D_jS1E_S1E_jjS1G_bEUljE0_EEESZ_S10_S11_S18_S1C_S1E_T6_T7_T9_mT8_S1G_bDpT10_ENKUlT_T0_E_clISt17integral_constantIbLb0EES1U_EEDaS1P_S1Q_EUlS1P_E_NS1_11comp_targetILNS1_3genE8ELNS1_11target_archE1030ELNS1_3gpuE2ELNS1_3repE0EEENS1_30default_config_static_selectorELNS0_4arch9wavefront6targetE0EEEvS12_.uses_vcc, 1
	.set _ZN7rocprim17ROCPRIM_400000_NS6detail17trampoline_kernelINS0_13select_configILj256ELj13ELNS0_17block_load_methodE3ELS4_3ELS4_3ELNS0_20block_scan_algorithmE0ELj4294967295EEENS1_25partition_config_selectorILNS1_17partition_subalgoE4EjNS0_10empty_typeEbEEZZNS1_14partition_implILS8_4ELb0ES6_15HIP_vector_typeIjLj2EENS0_17counting_iteratorIjlEEPS9_SG_NS0_5tupleIJPjSI_NS0_16reverse_iteratorISI_EEEEENSH_IJSG_SG_SG_EEES9_SI_JZNS1_25segmented_radix_sort_implINS0_14default_configELb1EPKiPiPKlPlN2at6native12_GLOBAL__N_18offset_tEEE10hipError_tPvRmT1_PNSt15iterator_traitsIS12_E10value_typeET2_T3_PNS13_IS18_E10value_typeET4_jRbjT5_S1E_jjP12ihipStream_tbEUljE_ZNSN_ISO_Lb1ESQ_SR_ST_SU_SY_EESZ_S10_S11_S12_S16_S17_S18_S1B_S1C_jS1D_jS1E_S1E_jjS1G_bEUljE0_EEESZ_S10_S11_S18_S1C_S1E_T6_T7_T9_mT8_S1G_bDpT10_ENKUlT_T0_E_clISt17integral_constantIbLb0EES1U_EEDaS1P_S1Q_EUlS1P_E_NS1_11comp_targetILNS1_3genE8ELNS1_11target_archE1030ELNS1_3gpuE2ELNS1_3repE0EEENS1_30default_config_static_selectorELNS0_4arch9wavefront6targetE0EEEvS12_.uses_flat_scratch, 0
	.set _ZN7rocprim17ROCPRIM_400000_NS6detail17trampoline_kernelINS0_13select_configILj256ELj13ELNS0_17block_load_methodE3ELS4_3ELS4_3ELNS0_20block_scan_algorithmE0ELj4294967295EEENS1_25partition_config_selectorILNS1_17partition_subalgoE4EjNS0_10empty_typeEbEEZZNS1_14partition_implILS8_4ELb0ES6_15HIP_vector_typeIjLj2EENS0_17counting_iteratorIjlEEPS9_SG_NS0_5tupleIJPjSI_NS0_16reverse_iteratorISI_EEEEENSH_IJSG_SG_SG_EEES9_SI_JZNS1_25segmented_radix_sort_implINS0_14default_configELb1EPKiPiPKlPlN2at6native12_GLOBAL__N_18offset_tEEE10hipError_tPvRmT1_PNSt15iterator_traitsIS12_E10value_typeET2_T3_PNS13_IS18_E10value_typeET4_jRbjT5_S1E_jjP12ihipStream_tbEUljE_ZNSN_ISO_Lb1ESQ_SR_ST_SU_SY_EESZ_S10_S11_S12_S16_S17_S18_S1B_S1C_jS1D_jS1E_S1E_jjS1G_bEUljE0_EEESZ_S10_S11_S18_S1C_S1E_T6_T7_T9_mT8_S1G_bDpT10_ENKUlT_T0_E_clISt17integral_constantIbLb0EES1U_EEDaS1P_S1Q_EUlS1P_E_NS1_11comp_targetILNS1_3genE8ELNS1_11target_archE1030ELNS1_3gpuE2ELNS1_3repE0EEENS1_30default_config_static_selectorELNS0_4arch9wavefront6targetE0EEEvS12_.has_dyn_sized_stack, 0
	.set _ZN7rocprim17ROCPRIM_400000_NS6detail17trampoline_kernelINS0_13select_configILj256ELj13ELNS0_17block_load_methodE3ELS4_3ELS4_3ELNS0_20block_scan_algorithmE0ELj4294967295EEENS1_25partition_config_selectorILNS1_17partition_subalgoE4EjNS0_10empty_typeEbEEZZNS1_14partition_implILS8_4ELb0ES6_15HIP_vector_typeIjLj2EENS0_17counting_iteratorIjlEEPS9_SG_NS0_5tupleIJPjSI_NS0_16reverse_iteratorISI_EEEEENSH_IJSG_SG_SG_EEES9_SI_JZNS1_25segmented_radix_sort_implINS0_14default_configELb1EPKiPiPKlPlN2at6native12_GLOBAL__N_18offset_tEEE10hipError_tPvRmT1_PNSt15iterator_traitsIS12_E10value_typeET2_T3_PNS13_IS18_E10value_typeET4_jRbjT5_S1E_jjP12ihipStream_tbEUljE_ZNSN_ISO_Lb1ESQ_SR_ST_SU_SY_EESZ_S10_S11_S12_S16_S17_S18_S1B_S1C_jS1D_jS1E_S1E_jjS1G_bEUljE0_EEESZ_S10_S11_S18_S1C_S1E_T6_T7_T9_mT8_S1G_bDpT10_ENKUlT_T0_E_clISt17integral_constantIbLb0EES1U_EEDaS1P_S1Q_EUlS1P_E_NS1_11comp_targetILNS1_3genE8ELNS1_11target_archE1030ELNS1_3gpuE2ELNS1_3repE0EEENS1_30default_config_static_selectorELNS0_4arch9wavefront6targetE0EEEvS12_.has_recursion, 0
	.set _ZN7rocprim17ROCPRIM_400000_NS6detail17trampoline_kernelINS0_13select_configILj256ELj13ELNS0_17block_load_methodE3ELS4_3ELS4_3ELNS0_20block_scan_algorithmE0ELj4294967295EEENS1_25partition_config_selectorILNS1_17partition_subalgoE4EjNS0_10empty_typeEbEEZZNS1_14partition_implILS8_4ELb0ES6_15HIP_vector_typeIjLj2EENS0_17counting_iteratorIjlEEPS9_SG_NS0_5tupleIJPjSI_NS0_16reverse_iteratorISI_EEEEENSH_IJSG_SG_SG_EEES9_SI_JZNS1_25segmented_radix_sort_implINS0_14default_configELb1EPKiPiPKlPlN2at6native12_GLOBAL__N_18offset_tEEE10hipError_tPvRmT1_PNSt15iterator_traitsIS12_E10value_typeET2_T3_PNS13_IS18_E10value_typeET4_jRbjT5_S1E_jjP12ihipStream_tbEUljE_ZNSN_ISO_Lb1ESQ_SR_ST_SU_SY_EESZ_S10_S11_S12_S16_S17_S18_S1B_S1C_jS1D_jS1E_S1E_jjS1G_bEUljE0_EEESZ_S10_S11_S18_S1C_S1E_T6_T7_T9_mT8_S1G_bDpT10_ENKUlT_T0_E_clISt17integral_constantIbLb0EES1U_EEDaS1P_S1Q_EUlS1P_E_NS1_11comp_targetILNS1_3genE8ELNS1_11target_archE1030ELNS1_3gpuE2ELNS1_3repE0EEENS1_30default_config_static_selectorELNS0_4arch9wavefront6targetE0EEEvS12_.has_indirect_call, 0
	.section	.AMDGPU.csdata,"",@progbits
; Kernel info:
; codeLenInByte = 16236
; TotalNumSgprs: 61
; NumVgprs: 82
; ScratchSize: 0
; MemoryBound: 0
; FloatMode: 240
; IeeeMode: 1
; LDSByteSize: 13328 bytes/workgroup (compile time only)
; SGPRBlocks: 0
; VGPRBlocks: 10
; NumSGPRsForWavesPerEU: 61
; NumVGPRsForWavesPerEU: 82
; Occupancy: 10
; WaveLimiterHint : 1
; COMPUTE_PGM_RSRC2:SCRATCH_EN: 0
; COMPUTE_PGM_RSRC2:USER_SGPR: 6
; COMPUTE_PGM_RSRC2:TRAP_HANDLER: 0
; COMPUTE_PGM_RSRC2:TGID_X_EN: 1
; COMPUTE_PGM_RSRC2:TGID_Y_EN: 0
; COMPUTE_PGM_RSRC2:TGID_Z_EN: 0
; COMPUTE_PGM_RSRC2:TIDIG_COMP_CNT: 0
	.section	.text._ZN7rocprim17ROCPRIM_400000_NS6detail17trampoline_kernelINS0_13select_configILj256ELj13ELNS0_17block_load_methodE3ELS4_3ELS4_3ELNS0_20block_scan_algorithmE0ELj4294967295EEENS1_25partition_config_selectorILNS1_17partition_subalgoE4EjNS0_10empty_typeEbEEZZNS1_14partition_implILS8_4ELb0ES6_15HIP_vector_typeIjLj2EENS0_17counting_iteratorIjlEEPS9_SG_NS0_5tupleIJPjSI_NS0_16reverse_iteratorISI_EEEEENSH_IJSG_SG_SG_EEES9_SI_JZNS1_25segmented_radix_sort_implINS0_14default_configELb1EPKiPiPKlPlN2at6native12_GLOBAL__N_18offset_tEEE10hipError_tPvRmT1_PNSt15iterator_traitsIS12_E10value_typeET2_T3_PNS13_IS18_E10value_typeET4_jRbjT5_S1E_jjP12ihipStream_tbEUljE_ZNSN_ISO_Lb1ESQ_SR_ST_SU_SY_EESZ_S10_S11_S12_S16_S17_S18_S1B_S1C_jS1D_jS1E_S1E_jjS1G_bEUljE0_EEESZ_S10_S11_S18_S1C_S1E_T6_T7_T9_mT8_S1G_bDpT10_ENKUlT_T0_E_clISt17integral_constantIbLb1EES1U_EEDaS1P_S1Q_EUlS1P_E_NS1_11comp_targetILNS1_3genE0ELNS1_11target_archE4294967295ELNS1_3gpuE0ELNS1_3repE0EEENS1_30default_config_static_selectorELNS0_4arch9wavefront6targetE0EEEvS12_,"axG",@progbits,_ZN7rocprim17ROCPRIM_400000_NS6detail17trampoline_kernelINS0_13select_configILj256ELj13ELNS0_17block_load_methodE3ELS4_3ELS4_3ELNS0_20block_scan_algorithmE0ELj4294967295EEENS1_25partition_config_selectorILNS1_17partition_subalgoE4EjNS0_10empty_typeEbEEZZNS1_14partition_implILS8_4ELb0ES6_15HIP_vector_typeIjLj2EENS0_17counting_iteratorIjlEEPS9_SG_NS0_5tupleIJPjSI_NS0_16reverse_iteratorISI_EEEEENSH_IJSG_SG_SG_EEES9_SI_JZNS1_25segmented_radix_sort_implINS0_14default_configELb1EPKiPiPKlPlN2at6native12_GLOBAL__N_18offset_tEEE10hipError_tPvRmT1_PNSt15iterator_traitsIS12_E10value_typeET2_T3_PNS13_IS18_E10value_typeET4_jRbjT5_S1E_jjP12ihipStream_tbEUljE_ZNSN_ISO_Lb1ESQ_SR_ST_SU_SY_EESZ_S10_S11_S12_S16_S17_S18_S1B_S1C_jS1D_jS1E_S1E_jjS1G_bEUljE0_EEESZ_S10_S11_S18_S1C_S1E_T6_T7_T9_mT8_S1G_bDpT10_ENKUlT_T0_E_clISt17integral_constantIbLb1EES1U_EEDaS1P_S1Q_EUlS1P_E_NS1_11comp_targetILNS1_3genE0ELNS1_11target_archE4294967295ELNS1_3gpuE0ELNS1_3repE0EEENS1_30default_config_static_selectorELNS0_4arch9wavefront6targetE0EEEvS12_,comdat
	.globl	_ZN7rocprim17ROCPRIM_400000_NS6detail17trampoline_kernelINS0_13select_configILj256ELj13ELNS0_17block_load_methodE3ELS4_3ELS4_3ELNS0_20block_scan_algorithmE0ELj4294967295EEENS1_25partition_config_selectorILNS1_17partition_subalgoE4EjNS0_10empty_typeEbEEZZNS1_14partition_implILS8_4ELb0ES6_15HIP_vector_typeIjLj2EENS0_17counting_iteratorIjlEEPS9_SG_NS0_5tupleIJPjSI_NS0_16reverse_iteratorISI_EEEEENSH_IJSG_SG_SG_EEES9_SI_JZNS1_25segmented_radix_sort_implINS0_14default_configELb1EPKiPiPKlPlN2at6native12_GLOBAL__N_18offset_tEEE10hipError_tPvRmT1_PNSt15iterator_traitsIS12_E10value_typeET2_T3_PNS13_IS18_E10value_typeET4_jRbjT5_S1E_jjP12ihipStream_tbEUljE_ZNSN_ISO_Lb1ESQ_SR_ST_SU_SY_EESZ_S10_S11_S12_S16_S17_S18_S1B_S1C_jS1D_jS1E_S1E_jjS1G_bEUljE0_EEESZ_S10_S11_S18_S1C_S1E_T6_T7_T9_mT8_S1G_bDpT10_ENKUlT_T0_E_clISt17integral_constantIbLb1EES1U_EEDaS1P_S1Q_EUlS1P_E_NS1_11comp_targetILNS1_3genE0ELNS1_11target_archE4294967295ELNS1_3gpuE0ELNS1_3repE0EEENS1_30default_config_static_selectorELNS0_4arch9wavefront6targetE0EEEvS12_ ; -- Begin function _ZN7rocprim17ROCPRIM_400000_NS6detail17trampoline_kernelINS0_13select_configILj256ELj13ELNS0_17block_load_methodE3ELS4_3ELS4_3ELNS0_20block_scan_algorithmE0ELj4294967295EEENS1_25partition_config_selectorILNS1_17partition_subalgoE4EjNS0_10empty_typeEbEEZZNS1_14partition_implILS8_4ELb0ES6_15HIP_vector_typeIjLj2EENS0_17counting_iteratorIjlEEPS9_SG_NS0_5tupleIJPjSI_NS0_16reverse_iteratorISI_EEEEENSH_IJSG_SG_SG_EEES9_SI_JZNS1_25segmented_radix_sort_implINS0_14default_configELb1EPKiPiPKlPlN2at6native12_GLOBAL__N_18offset_tEEE10hipError_tPvRmT1_PNSt15iterator_traitsIS12_E10value_typeET2_T3_PNS13_IS18_E10value_typeET4_jRbjT5_S1E_jjP12ihipStream_tbEUljE_ZNSN_ISO_Lb1ESQ_SR_ST_SU_SY_EESZ_S10_S11_S12_S16_S17_S18_S1B_S1C_jS1D_jS1E_S1E_jjS1G_bEUljE0_EEESZ_S10_S11_S18_S1C_S1E_T6_T7_T9_mT8_S1G_bDpT10_ENKUlT_T0_E_clISt17integral_constantIbLb1EES1U_EEDaS1P_S1Q_EUlS1P_E_NS1_11comp_targetILNS1_3genE0ELNS1_11target_archE4294967295ELNS1_3gpuE0ELNS1_3repE0EEENS1_30default_config_static_selectorELNS0_4arch9wavefront6targetE0EEEvS12_
	.p2align	8
	.type	_ZN7rocprim17ROCPRIM_400000_NS6detail17trampoline_kernelINS0_13select_configILj256ELj13ELNS0_17block_load_methodE3ELS4_3ELS4_3ELNS0_20block_scan_algorithmE0ELj4294967295EEENS1_25partition_config_selectorILNS1_17partition_subalgoE4EjNS0_10empty_typeEbEEZZNS1_14partition_implILS8_4ELb0ES6_15HIP_vector_typeIjLj2EENS0_17counting_iteratorIjlEEPS9_SG_NS0_5tupleIJPjSI_NS0_16reverse_iteratorISI_EEEEENSH_IJSG_SG_SG_EEES9_SI_JZNS1_25segmented_radix_sort_implINS0_14default_configELb1EPKiPiPKlPlN2at6native12_GLOBAL__N_18offset_tEEE10hipError_tPvRmT1_PNSt15iterator_traitsIS12_E10value_typeET2_T3_PNS13_IS18_E10value_typeET4_jRbjT5_S1E_jjP12ihipStream_tbEUljE_ZNSN_ISO_Lb1ESQ_SR_ST_SU_SY_EESZ_S10_S11_S12_S16_S17_S18_S1B_S1C_jS1D_jS1E_S1E_jjS1G_bEUljE0_EEESZ_S10_S11_S18_S1C_S1E_T6_T7_T9_mT8_S1G_bDpT10_ENKUlT_T0_E_clISt17integral_constantIbLb1EES1U_EEDaS1P_S1Q_EUlS1P_E_NS1_11comp_targetILNS1_3genE0ELNS1_11target_archE4294967295ELNS1_3gpuE0ELNS1_3repE0EEENS1_30default_config_static_selectorELNS0_4arch9wavefront6targetE0EEEvS12_,@function
_ZN7rocprim17ROCPRIM_400000_NS6detail17trampoline_kernelINS0_13select_configILj256ELj13ELNS0_17block_load_methodE3ELS4_3ELS4_3ELNS0_20block_scan_algorithmE0ELj4294967295EEENS1_25partition_config_selectorILNS1_17partition_subalgoE4EjNS0_10empty_typeEbEEZZNS1_14partition_implILS8_4ELb0ES6_15HIP_vector_typeIjLj2EENS0_17counting_iteratorIjlEEPS9_SG_NS0_5tupleIJPjSI_NS0_16reverse_iteratorISI_EEEEENSH_IJSG_SG_SG_EEES9_SI_JZNS1_25segmented_radix_sort_implINS0_14default_configELb1EPKiPiPKlPlN2at6native12_GLOBAL__N_18offset_tEEE10hipError_tPvRmT1_PNSt15iterator_traitsIS12_E10value_typeET2_T3_PNS13_IS18_E10value_typeET4_jRbjT5_S1E_jjP12ihipStream_tbEUljE_ZNSN_ISO_Lb1ESQ_SR_ST_SU_SY_EESZ_S10_S11_S12_S16_S17_S18_S1B_S1C_jS1D_jS1E_S1E_jjS1G_bEUljE0_EEESZ_S10_S11_S18_S1C_S1E_T6_T7_T9_mT8_S1G_bDpT10_ENKUlT_T0_E_clISt17integral_constantIbLb1EES1U_EEDaS1P_S1Q_EUlS1P_E_NS1_11comp_targetILNS1_3genE0ELNS1_11target_archE4294967295ELNS1_3gpuE0ELNS1_3repE0EEENS1_30default_config_static_selectorELNS0_4arch9wavefront6targetE0EEEvS12_: ; @_ZN7rocprim17ROCPRIM_400000_NS6detail17trampoline_kernelINS0_13select_configILj256ELj13ELNS0_17block_load_methodE3ELS4_3ELS4_3ELNS0_20block_scan_algorithmE0ELj4294967295EEENS1_25partition_config_selectorILNS1_17partition_subalgoE4EjNS0_10empty_typeEbEEZZNS1_14partition_implILS8_4ELb0ES6_15HIP_vector_typeIjLj2EENS0_17counting_iteratorIjlEEPS9_SG_NS0_5tupleIJPjSI_NS0_16reverse_iteratorISI_EEEEENSH_IJSG_SG_SG_EEES9_SI_JZNS1_25segmented_radix_sort_implINS0_14default_configELb1EPKiPiPKlPlN2at6native12_GLOBAL__N_18offset_tEEE10hipError_tPvRmT1_PNSt15iterator_traitsIS12_E10value_typeET2_T3_PNS13_IS18_E10value_typeET4_jRbjT5_S1E_jjP12ihipStream_tbEUljE_ZNSN_ISO_Lb1ESQ_SR_ST_SU_SY_EESZ_S10_S11_S12_S16_S17_S18_S1B_S1C_jS1D_jS1E_S1E_jjS1G_bEUljE0_EEESZ_S10_S11_S18_S1C_S1E_T6_T7_T9_mT8_S1G_bDpT10_ENKUlT_T0_E_clISt17integral_constantIbLb1EES1U_EEDaS1P_S1Q_EUlS1P_E_NS1_11comp_targetILNS1_3genE0ELNS1_11target_archE4294967295ELNS1_3gpuE0ELNS1_3repE0EEENS1_30default_config_static_selectorELNS0_4arch9wavefront6targetE0EEEvS12_
; %bb.0:
	.section	.rodata,"a",@progbits
	.p2align	6, 0x0
	.amdhsa_kernel _ZN7rocprim17ROCPRIM_400000_NS6detail17trampoline_kernelINS0_13select_configILj256ELj13ELNS0_17block_load_methodE3ELS4_3ELS4_3ELNS0_20block_scan_algorithmE0ELj4294967295EEENS1_25partition_config_selectorILNS1_17partition_subalgoE4EjNS0_10empty_typeEbEEZZNS1_14partition_implILS8_4ELb0ES6_15HIP_vector_typeIjLj2EENS0_17counting_iteratorIjlEEPS9_SG_NS0_5tupleIJPjSI_NS0_16reverse_iteratorISI_EEEEENSH_IJSG_SG_SG_EEES9_SI_JZNS1_25segmented_radix_sort_implINS0_14default_configELb1EPKiPiPKlPlN2at6native12_GLOBAL__N_18offset_tEEE10hipError_tPvRmT1_PNSt15iterator_traitsIS12_E10value_typeET2_T3_PNS13_IS18_E10value_typeET4_jRbjT5_S1E_jjP12ihipStream_tbEUljE_ZNSN_ISO_Lb1ESQ_SR_ST_SU_SY_EESZ_S10_S11_S12_S16_S17_S18_S1B_S1C_jS1D_jS1E_S1E_jjS1G_bEUljE0_EEESZ_S10_S11_S18_S1C_S1E_T6_T7_T9_mT8_S1G_bDpT10_ENKUlT_T0_E_clISt17integral_constantIbLb1EES1U_EEDaS1P_S1Q_EUlS1P_E_NS1_11comp_targetILNS1_3genE0ELNS1_11target_archE4294967295ELNS1_3gpuE0ELNS1_3repE0EEENS1_30default_config_static_selectorELNS0_4arch9wavefront6targetE0EEEvS12_
		.amdhsa_group_segment_fixed_size 0
		.amdhsa_private_segment_fixed_size 0
		.amdhsa_kernarg_size 184
		.amdhsa_user_sgpr_count 6
		.amdhsa_user_sgpr_private_segment_buffer 1
		.amdhsa_user_sgpr_dispatch_ptr 0
		.amdhsa_user_sgpr_queue_ptr 0
		.amdhsa_user_sgpr_kernarg_segment_ptr 1
		.amdhsa_user_sgpr_dispatch_id 0
		.amdhsa_user_sgpr_flat_scratch_init 0
		.amdhsa_user_sgpr_private_segment_size 0
		.amdhsa_wavefront_size32 1
		.amdhsa_uses_dynamic_stack 0
		.amdhsa_system_sgpr_private_segment_wavefront_offset 0
		.amdhsa_system_sgpr_workgroup_id_x 1
		.amdhsa_system_sgpr_workgroup_id_y 0
		.amdhsa_system_sgpr_workgroup_id_z 0
		.amdhsa_system_sgpr_workgroup_info 0
		.amdhsa_system_vgpr_workitem_id 0
		.amdhsa_next_free_vgpr 1
		.amdhsa_next_free_sgpr 1
		.amdhsa_reserve_vcc 0
		.amdhsa_reserve_flat_scratch 0
		.amdhsa_float_round_mode_32 0
		.amdhsa_float_round_mode_16_64 0
		.amdhsa_float_denorm_mode_32 3
		.amdhsa_float_denorm_mode_16_64 3
		.amdhsa_dx10_clamp 1
		.amdhsa_ieee_mode 1
		.amdhsa_fp16_overflow 0
		.amdhsa_workgroup_processor_mode 1
		.amdhsa_memory_ordered 1
		.amdhsa_forward_progress 1
		.amdhsa_shared_vgpr_count 0
		.amdhsa_exception_fp_ieee_invalid_op 0
		.amdhsa_exception_fp_denorm_src 0
		.amdhsa_exception_fp_ieee_div_zero 0
		.amdhsa_exception_fp_ieee_overflow 0
		.amdhsa_exception_fp_ieee_underflow 0
		.amdhsa_exception_fp_ieee_inexact 0
		.amdhsa_exception_int_div_zero 0
	.end_amdhsa_kernel
	.section	.text._ZN7rocprim17ROCPRIM_400000_NS6detail17trampoline_kernelINS0_13select_configILj256ELj13ELNS0_17block_load_methodE3ELS4_3ELS4_3ELNS0_20block_scan_algorithmE0ELj4294967295EEENS1_25partition_config_selectorILNS1_17partition_subalgoE4EjNS0_10empty_typeEbEEZZNS1_14partition_implILS8_4ELb0ES6_15HIP_vector_typeIjLj2EENS0_17counting_iteratorIjlEEPS9_SG_NS0_5tupleIJPjSI_NS0_16reverse_iteratorISI_EEEEENSH_IJSG_SG_SG_EEES9_SI_JZNS1_25segmented_radix_sort_implINS0_14default_configELb1EPKiPiPKlPlN2at6native12_GLOBAL__N_18offset_tEEE10hipError_tPvRmT1_PNSt15iterator_traitsIS12_E10value_typeET2_T3_PNS13_IS18_E10value_typeET4_jRbjT5_S1E_jjP12ihipStream_tbEUljE_ZNSN_ISO_Lb1ESQ_SR_ST_SU_SY_EESZ_S10_S11_S12_S16_S17_S18_S1B_S1C_jS1D_jS1E_S1E_jjS1G_bEUljE0_EEESZ_S10_S11_S18_S1C_S1E_T6_T7_T9_mT8_S1G_bDpT10_ENKUlT_T0_E_clISt17integral_constantIbLb1EES1U_EEDaS1P_S1Q_EUlS1P_E_NS1_11comp_targetILNS1_3genE0ELNS1_11target_archE4294967295ELNS1_3gpuE0ELNS1_3repE0EEENS1_30default_config_static_selectorELNS0_4arch9wavefront6targetE0EEEvS12_,"axG",@progbits,_ZN7rocprim17ROCPRIM_400000_NS6detail17trampoline_kernelINS0_13select_configILj256ELj13ELNS0_17block_load_methodE3ELS4_3ELS4_3ELNS0_20block_scan_algorithmE0ELj4294967295EEENS1_25partition_config_selectorILNS1_17partition_subalgoE4EjNS0_10empty_typeEbEEZZNS1_14partition_implILS8_4ELb0ES6_15HIP_vector_typeIjLj2EENS0_17counting_iteratorIjlEEPS9_SG_NS0_5tupleIJPjSI_NS0_16reverse_iteratorISI_EEEEENSH_IJSG_SG_SG_EEES9_SI_JZNS1_25segmented_radix_sort_implINS0_14default_configELb1EPKiPiPKlPlN2at6native12_GLOBAL__N_18offset_tEEE10hipError_tPvRmT1_PNSt15iterator_traitsIS12_E10value_typeET2_T3_PNS13_IS18_E10value_typeET4_jRbjT5_S1E_jjP12ihipStream_tbEUljE_ZNSN_ISO_Lb1ESQ_SR_ST_SU_SY_EESZ_S10_S11_S12_S16_S17_S18_S1B_S1C_jS1D_jS1E_S1E_jjS1G_bEUljE0_EEESZ_S10_S11_S18_S1C_S1E_T6_T7_T9_mT8_S1G_bDpT10_ENKUlT_T0_E_clISt17integral_constantIbLb1EES1U_EEDaS1P_S1Q_EUlS1P_E_NS1_11comp_targetILNS1_3genE0ELNS1_11target_archE4294967295ELNS1_3gpuE0ELNS1_3repE0EEENS1_30default_config_static_selectorELNS0_4arch9wavefront6targetE0EEEvS12_,comdat
.Lfunc_end437:
	.size	_ZN7rocprim17ROCPRIM_400000_NS6detail17trampoline_kernelINS0_13select_configILj256ELj13ELNS0_17block_load_methodE3ELS4_3ELS4_3ELNS0_20block_scan_algorithmE0ELj4294967295EEENS1_25partition_config_selectorILNS1_17partition_subalgoE4EjNS0_10empty_typeEbEEZZNS1_14partition_implILS8_4ELb0ES6_15HIP_vector_typeIjLj2EENS0_17counting_iteratorIjlEEPS9_SG_NS0_5tupleIJPjSI_NS0_16reverse_iteratorISI_EEEEENSH_IJSG_SG_SG_EEES9_SI_JZNS1_25segmented_radix_sort_implINS0_14default_configELb1EPKiPiPKlPlN2at6native12_GLOBAL__N_18offset_tEEE10hipError_tPvRmT1_PNSt15iterator_traitsIS12_E10value_typeET2_T3_PNS13_IS18_E10value_typeET4_jRbjT5_S1E_jjP12ihipStream_tbEUljE_ZNSN_ISO_Lb1ESQ_SR_ST_SU_SY_EESZ_S10_S11_S12_S16_S17_S18_S1B_S1C_jS1D_jS1E_S1E_jjS1G_bEUljE0_EEESZ_S10_S11_S18_S1C_S1E_T6_T7_T9_mT8_S1G_bDpT10_ENKUlT_T0_E_clISt17integral_constantIbLb1EES1U_EEDaS1P_S1Q_EUlS1P_E_NS1_11comp_targetILNS1_3genE0ELNS1_11target_archE4294967295ELNS1_3gpuE0ELNS1_3repE0EEENS1_30default_config_static_selectorELNS0_4arch9wavefront6targetE0EEEvS12_, .Lfunc_end437-_ZN7rocprim17ROCPRIM_400000_NS6detail17trampoline_kernelINS0_13select_configILj256ELj13ELNS0_17block_load_methodE3ELS4_3ELS4_3ELNS0_20block_scan_algorithmE0ELj4294967295EEENS1_25partition_config_selectorILNS1_17partition_subalgoE4EjNS0_10empty_typeEbEEZZNS1_14partition_implILS8_4ELb0ES6_15HIP_vector_typeIjLj2EENS0_17counting_iteratorIjlEEPS9_SG_NS0_5tupleIJPjSI_NS0_16reverse_iteratorISI_EEEEENSH_IJSG_SG_SG_EEES9_SI_JZNS1_25segmented_radix_sort_implINS0_14default_configELb1EPKiPiPKlPlN2at6native12_GLOBAL__N_18offset_tEEE10hipError_tPvRmT1_PNSt15iterator_traitsIS12_E10value_typeET2_T3_PNS13_IS18_E10value_typeET4_jRbjT5_S1E_jjP12ihipStream_tbEUljE_ZNSN_ISO_Lb1ESQ_SR_ST_SU_SY_EESZ_S10_S11_S12_S16_S17_S18_S1B_S1C_jS1D_jS1E_S1E_jjS1G_bEUljE0_EEESZ_S10_S11_S18_S1C_S1E_T6_T7_T9_mT8_S1G_bDpT10_ENKUlT_T0_E_clISt17integral_constantIbLb1EES1U_EEDaS1P_S1Q_EUlS1P_E_NS1_11comp_targetILNS1_3genE0ELNS1_11target_archE4294967295ELNS1_3gpuE0ELNS1_3repE0EEENS1_30default_config_static_selectorELNS0_4arch9wavefront6targetE0EEEvS12_
                                        ; -- End function
	.set _ZN7rocprim17ROCPRIM_400000_NS6detail17trampoline_kernelINS0_13select_configILj256ELj13ELNS0_17block_load_methodE3ELS4_3ELS4_3ELNS0_20block_scan_algorithmE0ELj4294967295EEENS1_25partition_config_selectorILNS1_17partition_subalgoE4EjNS0_10empty_typeEbEEZZNS1_14partition_implILS8_4ELb0ES6_15HIP_vector_typeIjLj2EENS0_17counting_iteratorIjlEEPS9_SG_NS0_5tupleIJPjSI_NS0_16reverse_iteratorISI_EEEEENSH_IJSG_SG_SG_EEES9_SI_JZNS1_25segmented_radix_sort_implINS0_14default_configELb1EPKiPiPKlPlN2at6native12_GLOBAL__N_18offset_tEEE10hipError_tPvRmT1_PNSt15iterator_traitsIS12_E10value_typeET2_T3_PNS13_IS18_E10value_typeET4_jRbjT5_S1E_jjP12ihipStream_tbEUljE_ZNSN_ISO_Lb1ESQ_SR_ST_SU_SY_EESZ_S10_S11_S12_S16_S17_S18_S1B_S1C_jS1D_jS1E_S1E_jjS1G_bEUljE0_EEESZ_S10_S11_S18_S1C_S1E_T6_T7_T9_mT8_S1G_bDpT10_ENKUlT_T0_E_clISt17integral_constantIbLb1EES1U_EEDaS1P_S1Q_EUlS1P_E_NS1_11comp_targetILNS1_3genE0ELNS1_11target_archE4294967295ELNS1_3gpuE0ELNS1_3repE0EEENS1_30default_config_static_selectorELNS0_4arch9wavefront6targetE0EEEvS12_.num_vgpr, 0
	.set _ZN7rocprim17ROCPRIM_400000_NS6detail17trampoline_kernelINS0_13select_configILj256ELj13ELNS0_17block_load_methodE3ELS4_3ELS4_3ELNS0_20block_scan_algorithmE0ELj4294967295EEENS1_25partition_config_selectorILNS1_17partition_subalgoE4EjNS0_10empty_typeEbEEZZNS1_14partition_implILS8_4ELb0ES6_15HIP_vector_typeIjLj2EENS0_17counting_iteratorIjlEEPS9_SG_NS0_5tupleIJPjSI_NS0_16reverse_iteratorISI_EEEEENSH_IJSG_SG_SG_EEES9_SI_JZNS1_25segmented_radix_sort_implINS0_14default_configELb1EPKiPiPKlPlN2at6native12_GLOBAL__N_18offset_tEEE10hipError_tPvRmT1_PNSt15iterator_traitsIS12_E10value_typeET2_T3_PNS13_IS18_E10value_typeET4_jRbjT5_S1E_jjP12ihipStream_tbEUljE_ZNSN_ISO_Lb1ESQ_SR_ST_SU_SY_EESZ_S10_S11_S12_S16_S17_S18_S1B_S1C_jS1D_jS1E_S1E_jjS1G_bEUljE0_EEESZ_S10_S11_S18_S1C_S1E_T6_T7_T9_mT8_S1G_bDpT10_ENKUlT_T0_E_clISt17integral_constantIbLb1EES1U_EEDaS1P_S1Q_EUlS1P_E_NS1_11comp_targetILNS1_3genE0ELNS1_11target_archE4294967295ELNS1_3gpuE0ELNS1_3repE0EEENS1_30default_config_static_selectorELNS0_4arch9wavefront6targetE0EEEvS12_.num_agpr, 0
	.set _ZN7rocprim17ROCPRIM_400000_NS6detail17trampoline_kernelINS0_13select_configILj256ELj13ELNS0_17block_load_methodE3ELS4_3ELS4_3ELNS0_20block_scan_algorithmE0ELj4294967295EEENS1_25partition_config_selectorILNS1_17partition_subalgoE4EjNS0_10empty_typeEbEEZZNS1_14partition_implILS8_4ELb0ES6_15HIP_vector_typeIjLj2EENS0_17counting_iteratorIjlEEPS9_SG_NS0_5tupleIJPjSI_NS0_16reverse_iteratorISI_EEEEENSH_IJSG_SG_SG_EEES9_SI_JZNS1_25segmented_radix_sort_implINS0_14default_configELb1EPKiPiPKlPlN2at6native12_GLOBAL__N_18offset_tEEE10hipError_tPvRmT1_PNSt15iterator_traitsIS12_E10value_typeET2_T3_PNS13_IS18_E10value_typeET4_jRbjT5_S1E_jjP12ihipStream_tbEUljE_ZNSN_ISO_Lb1ESQ_SR_ST_SU_SY_EESZ_S10_S11_S12_S16_S17_S18_S1B_S1C_jS1D_jS1E_S1E_jjS1G_bEUljE0_EEESZ_S10_S11_S18_S1C_S1E_T6_T7_T9_mT8_S1G_bDpT10_ENKUlT_T0_E_clISt17integral_constantIbLb1EES1U_EEDaS1P_S1Q_EUlS1P_E_NS1_11comp_targetILNS1_3genE0ELNS1_11target_archE4294967295ELNS1_3gpuE0ELNS1_3repE0EEENS1_30default_config_static_selectorELNS0_4arch9wavefront6targetE0EEEvS12_.numbered_sgpr, 0
	.set _ZN7rocprim17ROCPRIM_400000_NS6detail17trampoline_kernelINS0_13select_configILj256ELj13ELNS0_17block_load_methodE3ELS4_3ELS4_3ELNS0_20block_scan_algorithmE0ELj4294967295EEENS1_25partition_config_selectorILNS1_17partition_subalgoE4EjNS0_10empty_typeEbEEZZNS1_14partition_implILS8_4ELb0ES6_15HIP_vector_typeIjLj2EENS0_17counting_iteratorIjlEEPS9_SG_NS0_5tupleIJPjSI_NS0_16reverse_iteratorISI_EEEEENSH_IJSG_SG_SG_EEES9_SI_JZNS1_25segmented_radix_sort_implINS0_14default_configELb1EPKiPiPKlPlN2at6native12_GLOBAL__N_18offset_tEEE10hipError_tPvRmT1_PNSt15iterator_traitsIS12_E10value_typeET2_T3_PNS13_IS18_E10value_typeET4_jRbjT5_S1E_jjP12ihipStream_tbEUljE_ZNSN_ISO_Lb1ESQ_SR_ST_SU_SY_EESZ_S10_S11_S12_S16_S17_S18_S1B_S1C_jS1D_jS1E_S1E_jjS1G_bEUljE0_EEESZ_S10_S11_S18_S1C_S1E_T6_T7_T9_mT8_S1G_bDpT10_ENKUlT_T0_E_clISt17integral_constantIbLb1EES1U_EEDaS1P_S1Q_EUlS1P_E_NS1_11comp_targetILNS1_3genE0ELNS1_11target_archE4294967295ELNS1_3gpuE0ELNS1_3repE0EEENS1_30default_config_static_selectorELNS0_4arch9wavefront6targetE0EEEvS12_.num_named_barrier, 0
	.set _ZN7rocprim17ROCPRIM_400000_NS6detail17trampoline_kernelINS0_13select_configILj256ELj13ELNS0_17block_load_methodE3ELS4_3ELS4_3ELNS0_20block_scan_algorithmE0ELj4294967295EEENS1_25partition_config_selectorILNS1_17partition_subalgoE4EjNS0_10empty_typeEbEEZZNS1_14partition_implILS8_4ELb0ES6_15HIP_vector_typeIjLj2EENS0_17counting_iteratorIjlEEPS9_SG_NS0_5tupleIJPjSI_NS0_16reverse_iteratorISI_EEEEENSH_IJSG_SG_SG_EEES9_SI_JZNS1_25segmented_radix_sort_implINS0_14default_configELb1EPKiPiPKlPlN2at6native12_GLOBAL__N_18offset_tEEE10hipError_tPvRmT1_PNSt15iterator_traitsIS12_E10value_typeET2_T3_PNS13_IS18_E10value_typeET4_jRbjT5_S1E_jjP12ihipStream_tbEUljE_ZNSN_ISO_Lb1ESQ_SR_ST_SU_SY_EESZ_S10_S11_S12_S16_S17_S18_S1B_S1C_jS1D_jS1E_S1E_jjS1G_bEUljE0_EEESZ_S10_S11_S18_S1C_S1E_T6_T7_T9_mT8_S1G_bDpT10_ENKUlT_T0_E_clISt17integral_constantIbLb1EES1U_EEDaS1P_S1Q_EUlS1P_E_NS1_11comp_targetILNS1_3genE0ELNS1_11target_archE4294967295ELNS1_3gpuE0ELNS1_3repE0EEENS1_30default_config_static_selectorELNS0_4arch9wavefront6targetE0EEEvS12_.private_seg_size, 0
	.set _ZN7rocprim17ROCPRIM_400000_NS6detail17trampoline_kernelINS0_13select_configILj256ELj13ELNS0_17block_load_methodE3ELS4_3ELS4_3ELNS0_20block_scan_algorithmE0ELj4294967295EEENS1_25partition_config_selectorILNS1_17partition_subalgoE4EjNS0_10empty_typeEbEEZZNS1_14partition_implILS8_4ELb0ES6_15HIP_vector_typeIjLj2EENS0_17counting_iteratorIjlEEPS9_SG_NS0_5tupleIJPjSI_NS0_16reverse_iteratorISI_EEEEENSH_IJSG_SG_SG_EEES9_SI_JZNS1_25segmented_radix_sort_implINS0_14default_configELb1EPKiPiPKlPlN2at6native12_GLOBAL__N_18offset_tEEE10hipError_tPvRmT1_PNSt15iterator_traitsIS12_E10value_typeET2_T3_PNS13_IS18_E10value_typeET4_jRbjT5_S1E_jjP12ihipStream_tbEUljE_ZNSN_ISO_Lb1ESQ_SR_ST_SU_SY_EESZ_S10_S11_S12_S16_S17_S18_S1B_S1C_jS1D_jS1E_S1E_jjS1G_bEUljE0_EEESZ_S10_S11_S18_S1C_S1E_T6_T7_T9_mT8_S1G_bDpT10_ENKUlT_T0_E_clISt17integral_constantIbLb1EES1U_EEDaS1P_S1Q_EUlS1P_E_NS1_11comp_targetILNS1_3genE0ELNS1_11target_archE4294967295ELNS1_3gpuE0ELNS1_3repE0EEENS1_30default_config_static_selectorELNS0_4arch9wavefront6targetE0EEEvS12_.uses_vcc, 0
	.set _ZN7rocprim17ROCPRIM_400000_NS6detail17trampoline_kernelINS0_13select_configILj256ELj13ELNS0_17block_load_methodE3ELS4_3ELS4_3ELNS0_20block_scan_algorithmE0ELj4294967295EEENS1_25partition_config_selectorILNS1_17partition_subalgoE4EjNS0_10empty_typeEbEEZZNS1_14partition_implILS8_4ELb0ES6_15HIP_vector_typeIjLj2EENS0_17counting_iteratorIjlEEPS9_SG_NS0_5tupleIJPjSI_NS0_16reverse_iteratorISI_EEEEENSH_IJSG_SG_SG_EEES9_SI_JZNS1_25segmented_radix_sort_implINS0_14default_configELb1EPKiPiPKlPlN2at6native12_GLOBAL__N_18offset_tEEE10hipError_tPvRmT1_PNSt15iterator_traitsIS12_E10value_typeET2_T3_PNS13_IS18_E10value_typeET4_jRbjT5_S1E_jjP12ihipStream_tbEUljE_ZNSN_ISO_Lb1ESQ_SR_ST_SU_SY_EESZ_S10_S11_S12_S16_S17_S18_S1B_S1C_jS1D_jS1E_S1E_jjS1G_bEUljE0_EEESZ_S10_S11_S18_S1C_S1E_T6_T7_T9_mT8_S1G_bDpT10_ENKUlT_T0_E_clISt17integral_constantIbLb1EES1U_EEDaS1P_S1Q_EUlS1P_E_NS1_11comp_targetILNS1_3genE0ELNS1_11target_archE4294967295ELNS1_3gpuE0ELNS1_3repE0EEENS1_30default_config_static_selectorELNS0_4arch9wavefront6targetE0EEEvS12_.uses_flat_scratch, 0
	.set _ZN7rocprim17ROCPRIM_400000_NS6detail17trampoline_kernelINS0_13select_configILj256ELj13ELNS0_17block_load_methodE3ELS4_3ELS4_3ELNS0_20block_scan_algorithmE0ELj4294967295EEENS1_25partition_config_selectorILNS1_17partition_subalgoE4EjNS0_10empty_typeEbEEZZNS1_14partition_implILS8_4ELb0ES6_15HIP_vector_typeIjLj2EENS0_17counting_iteratorIjlEEPS9_SG_NS0_5tupleIJPjSI_NS0_16reverse_iteratorISI_EEEEENSH_IJSG_SG_SG_EEES9_SI_JZNS1_25segmented_radix_sort_implINS0_14default_configELb1EPKiPiPKlPlN2at6native12_GLOBAL__N_18offset_tEEE10hipError_tPvRmT1_PNSt15iterator_traitsIS12_E10value_typeET2_T3_PNS13_IS18_E10value_typeET4_jRbjT5_S1E_jjP12ihipStream_tbEUljE_ZNSN_ISO_Lb1ESQ_SR_ST_SU_SY_EESZ_S10_S11_S12_S16_S17_S18_S1B_S1C_jS1D_jS1E_S1E_jjS1G_bEUljE0_EEESZ_S10_S11_S18_S1C_S1E_T6_T7_T9_mT8_S1G_bDpT10_ENKUlT_T0_E_clISt17integral_constantIbLb1EES1U_EEDaS1P_S1Q_EUlS1P_E_NS1_11comp_targetILNS1_3genE0ELNS1_11target_archE4294967295ELNS1_3gpuE0ELNS1_3repE0EEENS1_30default_config_static_selectorELNS0_4arch9wavefront6targetE0EEEvS12_.has_dyn_sized_stack, 0
	.set _ZN7rocprim17ROCPRIM_400000_NS6detail17trampoline_kernelINS0_13select_configILj256ELj13ELNS0_17block_load_methodE3ELS4_3ELS4_3ELNS0_20block_scan_algorithmE0ELj4294967295EEENS1_25partition_config_selectorILNS1_17partition_subalgoE4EjNS0_10empty_typeEbEEZZNS1_14partition_implILS8_4ELb0ES6_15HIP_vector_typeIjLj2EENS0_17counting_iteratorIjlEEPS9_SG_NS0_5tupleIJPjSI_NS0_16reverse_iteratorISI_EEEEENSH_IJSG_SG_SG_EEES9_SI_JZNS1_25segmented_radix_sort_implINS0_14default_configELb1EPKiPiPKlPlN2at6native12_GLOBAL__N_18offset_tEEE10hipError_tPvRmT1_PNSt15iterator_traitsIS12_E10value_typeET2_T3_PNS13_IS18_E10value_typeET4_jRbjT5_S1E_jjP12ihipStream_tbEUljE_ZNSN_ISO_Lb1ESQ_SR_ST_SU_SY_EESZ_S10_S11_S12_S16_S17_S18_S1B_S1C_jS1D_jS1E_S1E_jjS1G_bEUljE0_EEESZ_S10_S11_S18_S1C_S1E_T6_T7_T9_mT8_S1G_bDpT10_ENKUlT_T0_E_clISt17integral_constantIbLb1EES1U_EEDaS1P_S1Q_EUlS1P_E_NS1_11comp_targetILNS1_3genE0ELNS1_11target_archE4294967295ELNS1_3gpuE0ELNS1_3repE0EEENS1_30default_config_static_selectorELNS0_4arch9wavefront6targetE0EEEvS12_.has_recursion, 0
	.set _ZN7rocprim17ROCPRIM_400000_NS6detail17trampoline_kernelINS0_13select_configILj256ELj13ELNS0_17block_load_methodE3ELS4_3ELS4_3ELNS0_20block_scan_algorithmE0ELj4294967295EEENS1_25partition_config_selectorILNS1_17partition_subalgoE4EjNS0_10empty_typeEbEEZZNS1_14partition_implILS8_4ELb0ES6_15HIP_vector_typeIjLj2EENS0_17counting_iteratorIjlEEPS9_SG_NS0_5tupleIJPjSI_NS0_16reverse_iteratorISI_EEEEENSH_IJSG_SG_SG_EEES9_SI_JZNS1_25segmented_radix_sort_implINS0_14default_configELb1EPKiPiPKlPlN2at6native12_GLOBAL__N_18offset_tEEE10hipError_tPvRmT1_PNSt15iterator_traitsIS12_E10value_typeET2_T3_PNS13_IS18_E10value_typeET4_jRbjT5_S1E_jjP12ihipStream_tbEUljE_ZNSN_ISO_Lb1ESQ_SR_ST_SU_SY_EESZ_S10_S11_S12_S16_S17_S18_S1B_S1C_jS1D_jS1E_S1E_jjS1G_bEUljE0_EEESZ_S10_S11_S18_S1C_S1E_T6_T7_T9_mT8_S1G_bDpT10_ENKUlT_T0_E_clISt17integral_constantIbLb1EES1U_EEDaS1P_S1Q_EUlS1P_E_NS1_11comp_targetILNS1_3genE0ELNS1_11target_archE4294967295ELNS1_3gpuE0ELNS1_3repE0EEENS1_30default_config_static_selectorELNS0_4arch9wavefront6targetE0EEEvS12_.has_indirect_call, 0
	.section	.AMDGPU.csdata,"",@progbits
; Kernel info:
; codeLenInByte = 0
; TotalNumSgprs: 0
; NumVgprs: 0
; ScratchSize: 0
; MemoryBound: 0
; FloatMode: 240
; IeeeMode: 1
; LDSByteSize: 0 bytes/workgroup (compile time only)
; SGPRBlocks: 0
; VGPRBlocks: 0
; NumSGPRsForWavesPerEU: 1
; NumVGPRsForWavesPerEU: 1
; Occupancy: 16
; WaveLimiterHint : 0
; COMPUTE_PGM_RSRC2:SCRATCH_EN: 0
; COMPUTE_PGM_RSRC2:USER_SGPR: 6
; COMPUTE_PGM_RSRC2:TRAP_HANDLER: 0
; COMPUTE_PGM_RSRC2:TGID_X_EN: 1
; COMPUTE_PGM_RSRC2:TGID_Y_EN: 0
; COMPUTE_PGM_RSRC2:TGID_Z_EN: 0
; COMPUTE_PGM_RSRC2:TIDIG_COMP_CNT: 0
	.section	.text._ZN7rocprim17ROCPRIM_400000_NS6detail17trampoline_kernelINS0_13select_configILj256ELj13ELNS0_17block_load_methodE3ELS4_3ELS4_3ELNS0_20block_scan_algorithmE0ELj4294967295EEENS1_25partition_config_selectorILNS1_17partition_subalgoE4EjNS0_10empty_typeEbEEZZNS1_14partition_implILS8_4ELb0ES6_15HIP_vector_typeIjLj2EENS0_17counting_iteratorIjlEEPS9_SG_NS0_5tupleIJPjSI_NS0_16reverse_iteratorISI_EEEEENSH_IJSG_SG_SG_EEES9_SI_JZNS1_25segmented_radix_sort_implINS0_14default_configELb1EPKiPiPKlPlN2at6native12_GLOBAL__N_18offset_tEEE10hipError_tPvRmT1_PNSt15iterator_traitsIS12_E10value_typeET2_T3_PNS13_IS18_E10value_typeET4_jRbjT5_S1E_jjP12ihipStream_tbEUljE_ZNSN_ISO_Lb1ESQ_SR_ST_SU_SY_EESZ_S10_S11_S12_S16_S17_S18_S1B_S1C_jS1D_jS1E_S1E_jjS1G_bEUljE0_EEESZ_S10_S11_S18_S1C_S1E_T6_T7_T9_mT8_S1G_bDpT10_ENKUlT_T0_E_clISt17integral_constantIbLb1EES1U_EEDaS1P_S1Q_EUlS1P_E_NS1_11comp_targetILNS1_3genE5ELNS1_11target_archE942ELNS1_3gpuE9ELNS1_3repE0EEENS1_30default_config_static_selectorELNS0_4arch9wavefront6targetE0EEEvS12_,"axG",@progbits,_ZN7rocprim17ROCPRIM_400000_NS6detail17trampoline_kernelINS0_13select_configILj256ELj13ELNS0_17block_load_methodE3ELS4_3ELS4_3ELNS0_20block_scan_algorithmE0ELj4294967295EEENS1_25partition_config_selectorILNS1_17partition_subalgoE4EjNS0_10empty_typeEbEEZZNS1_14partition_implILS8_4ELb0ES6_15HIP_vector_typeIjLj2EENS0_17counting_iteratorIjlEEPS9_SG_NS0_5tupleIJPjSI_NS0_16reverse_iteratorISI_EEEEENSH_IJSG_SG_SG_EEES9_SI_JZNS1_25segmented_radix_sort_implINS0_14default_configELb1EPKiPiPKlPlN2at6native12_GLOBAL__N_18offset_tEEE10hipError_tPvRmT1_PNSt15iterator_traitsIS12_E10value_typeET2_T3_PNS13_IS18_E10value_typeET4_jRbjT5_S1E_jjP12ihipStream_tbEUljE_ZNSN_ISO_Lb1ESQ_SR_ST_SU_SY_EESZ_S10_S11_S12_S16_S17_S18_S1B_S1C_jS1D_jS1E_S1E_jjS1G_bEUljE0_EEESZ_S10_S11_S18_S1C_S1E_T6_T7_T9_mT8_S1G_bDpT10_ENKUlT_T0_E_clISt17integral_constantIbLb1EES1U_EEDaS1P_S1Q_EUlS1P_E_NS1_11comp_targetILNS1_3genE5ELNS1_11target_archE942ELNS1_3gpuE9ELNS1_3repE0EEENS1_30default_config_static_selectorELNS0_4arch9wavefront6targetE0EEEvS12_,comdat
	.globl	_ZN7rocprim17ROCPRIM_400000_NS6detail17trampoline_kernelINS0_13select_configILj256ELj13ELNS0_17block_load_methodE3ELS4_3ELS4_3ELNS0_20block_scan_algorithmE0ELj4294967295EEENS1_25partition_config_selectorILNS1_17partition_subalgoE4EjNS0_10empty_typeEbEEZZNS1_14partition_implILS8_4ELb0ES6_15HIP_vector_typeIjLj2EENS0_17counting_iteratorIjlEEPS9_SG_NS0_5tupleIJPjSI_NS0_16reverse_iteratorISI_EEEEENSH_IJSG_SG_SG_EEES9_SI_JZNS1_25segmented_radix_sort_implINS0_14default_configELb1EPKiPiPKlPlN2at6native12_GLOBAL__N_18offset_tEEE10hipError_tPvRmT1_PNSt15iterator_traitsIS12_E10value_typeET2_T3_PNS13_IS18_E10value_typeET4_jRbjT5_S1E_jjP12ihipStream_tbEUljE_ZNSN_ISO_Lb1ESQ_SR_ST_SU_SY_EESZ_S10_S11_S12_S16_S17_S18_S1B_S1C_jS1D_jS1E_S1E_jjS1G_bEUljE0_EEESZ_S10_S11_S18_S1C_S1E_T6_T7_T9_mT8_S1G_bDpT10_ENKUlT_T0_E_clISt17integral_constantIbLb1EES1U_EEDaS1P_S1Q_EUlS1P_E_NS1_11comp_targetILNS1_3genE5ELNS1_11target_archE942ELNS1_3gpuE9ELNS1_3repE0EEENS1_30default_config_static_selectorELNS0_4arch9wavefront6targetE0EEEvS12_ ; -- Begin function _ZN7rocprim17ROCPRIM_400000_NS6detail17trampoline_kernelINS0_13select_configILj256ELj13ELNS0_17block_load_methodE3ELS4_3ELS4_3ELNS0_20block_scan_algorithmE0ELj4294967295EEENS1_25partition_config_selectorILNS1_17partition_subalgoE4EjNS0_10empty_typeEbEEZZNS1_14partition_implILS8_4ELb0ES6_15HIP_vector_typeIjLj2EENS0_17counting_iteratorIjlEEPS9_SG_NS0_5tupleIJPjSI_NS0_16reverse_iteratorISI_EEEEENSH_IJSG_SG_SG_EEES9_SI_JZNS1_25segmented_radix_sort_implINS0_14default_configELb1EPKiPiPKlPlN2at6native12_GLOBAL__N_18offset_tEEE10hipError_tPvRmT1_PNSt15iterator_traitsIS12_E10value_typeET2_T3_PNS13_IS18_E10value_typeET4_jRbjT5_S1E_jjP12ihipStream_tbEUljE_ZNSN_ISO_Lb1ESQ_SR_ST_SU_SY_EESZ_S10_S11_S12_S16_S17_S18_S1B_S1C_jS1D_jS1E_S1E_jjS1G_bEUljE0_EEESZ_S10_S11_S18_S1C_S1E_T6_T7_T9_mT8_S1G_bDpT10_ENKUlT_T0_E_clISt17integral_constantIbLb1EES1U_EEDaS1P_S1Q_EUlS1P_E_NS1_11comp_targetILNS1_3genE5ELNS1_11target_archE942ELNS1_3gpuE9ELNS1_3repE0EEENS1_30default_config_static_selectorELNS0_4arch9wavefront6targetE0EEEvS12_
	.p2align	8
	.type	_ZN7rocprim17ROCPRIM_400000_NS6detail17trampoline_kernelINS0_13select_configILj256ELj13ELNS0_17block_load_methodE3ELS4_3ELS4_3ELNS0_20block_scan_algorithmE0ELj4294967295EEENS1_25partition_config_selectorILNS1_17partition_subalgoE4EjNS0_10empty_typeEbEEZZNS1_14partition_implILS8_4ELb0ES6_15HIP_vector_typeIjLj2EENS0_17counting_iteratorIjlEEPS9_SG_NS0_5tupleIJPjSI_NS0_16reverse_iteratorISI_EEEEENSH_IJSG_SG_SG_EEES9_SI_JZNS1_25segmented_radix_sort_implINS0_14default_configELb1EPKiPiPKlPlN2at6native12_GLOBAL__N_18offset_tEEE10hipError_tPvRmT1_PNSt15iterator_traitsIS12_E10value_typeET2_T3_PNS13_IS18_E10value_typeET4_jRbjT5_S1E_jjP12ihipStream_tbEUljE_ZNSN_ISO_Lb1ESQ_SR_ST_SU_SY_EESZ_S10_S11_S12_S16_S17_S18_S1B_S1C_jS1D_jS1E_S1E_jjS1G_bEUljE0_EEESZ_S10_S11_S18_S1C_S1E_T6_T7_T9_mT8_S1G_bDpT10_ENKUlT_T0_E_clISt17integral_constantIbLb1EES1U_EEDaS1P_S1Q_EUlS1P_E_NS1_11comp_targetILNS1_3genE5ELNS1_11target_archE942ELNS1_3gpuE9ELNS1_3repE0EEENS1_30default_config_static_selectorELNS0_4arch9wavefront6targetE0EEEvS12_,@function
_ZN7rocprim17ROCPRIM_400000_NS6detail17trampoline_kernelINS0_13select_configILj256ELj13ELNS0_17block_load_methodE3ELS4_3ELS4_3ELNS0_20block_scan_algorithmE0ELj4294967295EEENS1_25partition_config_selectorILNS1_17partition_subalgoE4EjNS0_10empty_typeEbEEZZNS1_14partition_implILS8_4ELb0ES6_15HIP_vector_typeIjLj2EENS0_17counting_iteratorIjlEEPS9_SG_NS0_5tupleIJPjSI_NS0_16reverse_iteratorISI_EEEEENSH_IJSG_SG_SG_EEES9_SI_JZNS1_25segmented_radix_sort_implINS0_14default_configELb1EPKiPiPKlPlN2at6native12_GLOBAL__N_18offset_tEEE10hipError_tPvRmT1_PNSt15iterator_traitsIS12_E10value_typeET2_T3_PNS13_IS18_E10value_typeET4_jRbjT5_S1E_jjP12ihipStream_tbEUljE_ZNSN_ISO_Lb1ESQ_SR_ST_SU_SY_EESZ_S10_S11_S12_S16_S17_S18_S1B_S1C_jS1D_jS1E_S1E_jjS1G_bEUljE0_EEESZ_S10_S11_S18_S1C_S1E_T6_T7_T9_mT8_S1G_bDpT10_ENKUlT_T0_E_clISt17integral_constantIbLb1EES1U_EEDaS1P_S1Q_EUlS1P_E_NS1_11comp_targetILNS1_3genE5ELNS1_11target_archE942ELNS1_3gpuE9ELNS1_3repE0EEENS1_30default_config_static_selectorELNS0_4arch9wavefront6targetE0EEEvS12_: ; @_ZN7rocprim17ROCPRIM_400000_NS6detail17trampoline_kernelINS0_13select_configILj256ELj13ELNS0_17block_load_methodE3ELS4_3ELS4_3ELNS0_20block_scan_algorithmE0ELj4294967295EEENS1_25partition_config_selectorILNS1_17partition_subalgoE4EjNS0_10empty_typeEbEEZZNS1_14partition_implILS8_4ELb0ES6_15HIP_vector_typeIjLj2EENS0_17counting_iteratorIjlEEPS9_SG_NS0_5tupleIJPjSI_NS0_16reverse_iteratorISI_EEEEENSH_IJSG_SG_SG_EEES9_SI_JZNS1_25segmented_radix_sort_implINS0_14default_configELb1EPKiPiPKlPlN2at6native12_GLOBAL__N_18offset_tEEE10hipError_tPvRmT1_PNSt15iterator_traitsIS12_E10value_typeET2_T3_PNS13_IS18_E10value_typeET4_jRbjT5_S1E_jjP12ihipStream_tbEUljE_ZNSN_ISO_Lb1ESQ_SR_ST_SU_SY_EESZ_S10_S11_S12_S16_S17_S18_S1B_S1C_jS1D_jS1E_S1E_jjS1G_bEUljE0_EEESZ_S10_S11_S18_S1C_S1E_T6_T7_T9_mT8_S1G_bDpT10_ENKUlT_T0_E_clISt17integral_constantIbLb1EES1U_EEDaS1P_S1Q_EUlS1P_E_NS1_11comp_targetILNS1_3genE5ELNS1_11target_archE942ELNS1_3gpuE9ELNS1_3repE0EEENS1_30default_config_static_selectorELNS0_4arch9wavefront6targetE0EEEvS12_
; %bb.0:
	.section	.rodata,"a",@progbits
	.p2align	6, 0x0
	.amdhsa_kernel _ZN7rocprim17ROCPRIM_400000_NS6detail17trampoline_kernelINS0_13select_configILj256ELj13ELNS0_17block_load_methodE3ELS4_3ELS4_3ELNS0_20block_scan_algorithmE0ELj4294967295EEENS1_25partition_config_selectorILNS1_17partition_subalgoE4EjNS0_10empty_typeEbEEZZNS1_14partition_implILS8_4ELb0ES6_15HIP_vector_typeIjLj2EENS0_17counting_iteratorIjlEEPS9_SG_NS0_5tupleIJPjSI_NS0_16reverse_iteratorISI_EEEEENSH_IJSG_SG_SG_EEES9_SI_JZNS1_25segmented_radix_sort_implINS0_14default_configELb1EPKiPiPKlPlN2at6native12_GLOBAL__N_18offset_tEEE10hipError_tPvRmT1_PNSt15iterator_traitsIS12_E10value_typeET2_T3_PNS13_IS18_E10value_typeET4_jRbjT5_S1E_jjP12ihipStream_tbEUljE_ZNSN_ISO_Lb1ESQ_SR_ST_SU_SY_EESZ_S10_S11_S12_S16_S17_S18_S1B_S1C_jS1D_jS1E_S1E_jjS1G_bEUljE0_EEESZ_S10_S11_S18_S1C_S1E_T6_T7_T9_mT8_S1G_bDpT10_ENKUlT_T0_E_clISt17integral_constantIbLb1EES1U_EEDaS1P_S1Q_EUlS1P_E_NS1_11comp_targetILNS1_3genE5ELNS1_11target_archE942ELNS1_3gpuE9ELNS1_3repE0EEENS1_30default_config_static_selectorELNS0_4arch9wavefront6targetE0EEEvS12_
		.amdhsa_group_segment_fixed_size 0
		.amdhsa_private_segment_fixed_size 0
		.amdhsa_kernarg_size 184
		.amdhsa_user_sgpr_count 6
		.amdhsa_user_sgpr_private_segment_buffer 1
		.amdhsa_user_sgpr_dispatch_ptr 0
		.amdhsa_user_sgpr_queue_ptr 0
		.amdhsa_user_sgpr_kernarg_segment_ptr 1
		.amdhsa_user_sgpr_dispatch_id 0
		.amdhsa_user_sgpr_flat_scratch_init 0
		.amdhsa_user_sgpr_private_segment_size 0
		.amdhsa_wavefront_size32 1
		.amdhsa_uses_dynamic_stack 0
		.amdhsa_system_sgpr_private_segment_wavefront_offset 0
		.amdhsa_system_sgpr_workgroup_id_x 1
		.amdhsa_system_sgpr_workgroup_id_y 0
		.amdhsa_system_sgpr_workgroup_id_z 0
		.amdhsa_system_sgpr_workgroup_info 0
		.amdhsa_system_vgpr_workitem_id 0
		.amdhsa_next_free_vgpr 1
		.amdhsa_next_free_sgpr 1
		.amdhsa_reserve_vcc 0
		.amdhsa_reserve_flat_scratch 0
		.amdhsa_float_round_mode_32 0
		.amdhsa_float_round_mode_16_64 0
		.amdhsa_float_denorm_mode_32 3
		.amdhsa_float_denorm_mode_16_64 3
		.amdhsa_dx10_clamp 1
		.amdhsa_ieee_mode 1
		.amdhsa_fp16_overflow 0
		.amdhsa_workgroup_processor_mode 1
		.amdhsa_memory_ordered 1
		.amdhsa_forward_progress 1
		.amdhsa_shared_vgpr_count 0
		.amdhsa_exception_fp_ieee_invalid_op 0
		.amdhsa_exception_fp_denorm_src 0
		.amdhsa_exception_fp_ieee_div_zero 0
		.amdhsa_exception_fp_ieee_overflow 0
		.amdhsa_exception_fp_ieee_underflow 0
		.amdhsa_exception_fp_ieee_inexact 0
		.amdhsa_exception_int_div_zero 0
	.end_amdhsa_kernel
	.section	.text._ZN7rocprim17ROCPRIM_400000_NS6detail17trampoline_kernelINS0_13select_configILj256ELj13ELNS0_17block_load_methodE3ELS4_3ELS4_3ELNS0_20block_scan_algorithmE0ELj4294967295EEENS1_25partition_config_selectorILNS1_17partition_subalgoE4EjNS0_10empty_typeEbEEZZNS1_14partition_implILS8_4ELb0ES6_15HIP_vector_typeIjLj2EENS0_17counting_iteratorIjlEEPS9_SG_NS0_5tupleIJPjSI_NS0_16reverse_iteratorISI_EEEEENSH_IJSG_SG_SG_EEES9_SI_JZNS1_25segmented_radix_sort_implINS0_14default_configELb1EPKiPiPKlPlN2at6native12_GLOBAL__N_18offset_tEEE10hipError_tPvRmT1_PNSt15iterator_traitsIS12_E10value_typeET2_T3_PNS13_IS18_E10value_typeET4_jRbjT5_S1E_jjP12ihipStream_tbEUljE_ZNSN_ISO_Lb1ESQ_SR_ST_SU_SY_EESZ_S10_S11_S12_S16_S17_S18_S1B_S1C_jS1D_jS1E_S1E_jjS1G_bEUljE0_EEESZ_S10_S11_S18_S1C_S1E_T6_T7_T9_mT8_S1G_bDpT10_ENKUlT_T0_E_clISt17integral_constantIbLb1EES1U_EEDaS1P_S1Q_EUlS1P_E_NS1_11comp_targetILNS1_3genE5ELNS1_11target_archE942ELNS1_3gpuE9ELNS1_3repE0EEENS1_30default_config_static_selectorELNS0_4arch9wavefront6targetE0EEEvS12_,"axG",@progbits,_ZN7rocprim17ROCPRIM_400000_NS6detail17trampoline_kernelINS0_13select_configILj256ELj13ELNS0_17block_load_methodE3ELS4_3ELS4_3ELNS0_20block_scan_algorithmE0ELj4294967295EEENS1_25partition_config_selectorILNS1_17partition_subalgoE4EjNS0_10empty_typeEbEEZZNS1_14partition_implILS8_4ELb0ES6_15HIP_vector_typeIjLj2EENS0_17counting_iteratorIjlEEPS9_SG_NS0_5tupleIJPjSI_NS0_16reverse_iteratorISI_EEEEENSH_IJSG_SG_SG_EEES9_SI_JZNS1_25segmented_radix_sort_implINS0_14default_configELb1EPKiPiPKlPlN2at6native12_GLOBAL__N_18offset_tEEE10hipError_tPvRmT1_PNSt15iterator_traitsIS12_E10value_typeET2_T3_PNS13_IS18_E10value_typeET4_jRbjT5_S1E_jjP12ihipStream_tbEUljE_ZNSN_ISO_Lb1ESQ_SR_ST_SU_SY_EESZ_S10_S11_S12_S16_S17_S18_S1B_S1C_jS1D_jS1E_S1E_jjS1G_bEUljE0_EEESZ_S10_S11_S18_S1C_S1E_T6_T7_T9_mT8_S1G_bDpT10_ENKUlT_T0_E_clISt17integral_constantIbLb1EES1U_EEDaS1P_S1Q_EUlS1P_E_NS1_11comp_targetILNS1_3genE5ELNS1_11target_archE942ELNS1_3gpuE9ELNS1_3repE0EEENS1_30default_config_static_selectorELNS0_4arch9wavefront6targetE0EEEvS12_,comdat
.Lfunc_end438:
	.size	_ZN7rocprim17ROCPRIM_400000_NS6detail17trampoline_kernelINS0_13select_configILj256ELj13ELNS0_17block_load_methodE3ELS4_3ELS4_3ELNS0_20block_scan_algorithmE0ELj4294967295EEENS1_25partition_config_selectorILNS1_17partition_subalgoE4EjNS0_10empty_typeEbEEZZNS1_14partition_implILS8_4ELb0ES6_15HIP_vector_typeIjLj2EENS0_17counting_iteratorIjlEEPS9_SG_NS0_5tupleIJPjSI_NS0_16reverse_iteratorISI_EEEEENSH_IJSG_SG_SG_EEES9_SI_JZNS1_25segmented_radix_sort_implINS0_14default_configELb1EPKiPiPKlPlN2at6native12_GLOBAL__N_18offset_tEEE10hipError_tPvRmT1_PNSt15iterator_traitsIS12_E10value_typeET2_T3_PNS13_IS18_E10value_typeET4_jRbjT5_S1E_jjP12ihipStream_tbEUljE_ZNSN_ISO_Lb1ESQ_SR_ST_SU_SY_EESZ_S10_S11_S12_S16_S17_S18_S1B_S1C_jS1D_jS1E_S1E_jjS1G_bEUljE0_EEESZ_S10_S11_S18_S1C_S1E_T6_T7_T9_mT8_S1G_bDpT10_ENKUlT_T0_E_clISt17integral_constantIbLb1EES1U_EEDaS1P_S1Q_EUlS1P_E_NS1_11comp_targetILNS1_3genE5ELNS1_11target_archE942ELNS1_3gpuE9ELNS1_3repE0EEENS1_30default_config_static_selectorELNS0_4arch9wavefront6targetE0EEEvS12_, .Lfunc_end438-_ZN7rocprim17ROCPRIM_400000_NS6detail17trampoline_kernelINS0_13select_configILj256ELj13ELNS0_17block_load_methodE3ELS4_3ELS4_3ELNS0_20block_scan_algorithmE0ELj4294967295EEENS1_25partition_config_selectorILNS1_17partition_subalgoE4EjNS0_10empty_typeEbEEZZNS1_14partition_implILS8_4ELb0ES6_15HIP_vector_typeIjLj2EENS0_17counting_iteratorIjlEEPS9_SG_NS0_5tupleIJPjSI_NS0_16reverse_iteratorISI_EEEEENSH_IJSG_SG_SG_EEES9_SI_JZNS1_25segmented_radix_sort_implINS0_14default_configELb1EPKiPiPKlPlN2at6native12_GLOBAL__N_18offset_tEEE10hipError_tPvRmT1_PNSt15iterator_traitsIS12_E10value_typeET2_T3_PNS13_IS18_E10value_typeET4_jRbjT5_S1E_jjP12ihipStream_tbEUljE_ZNSN_ISO_Lb1ESQ_SR_ST_SU_SY_EESZ_S10_S11_S12_S16_S17_S18_S1B_S1C_jS1D_jS1E_S1E_jjS1G_bEUljE0_EEESZ_S10_S11_S18_S1C_S1E_T6_T7_T9_mT8_S1G_bDpT10_ENKUlT_T0_E_clISt17integral_constantIbLb1EES1U_EEDaS1P_S1Q_EUlS1P_E_NS1_11comp_targetILNS1_3genE5ELNS1_11target_archE942ELNS1_3gpuE9ELNS1_3repE0EEENS1_30default_config_static_selectorELNS0_4arch9wavefront6targetE0EEEvS12_
                                        ; -- End function
	.set _ZN7rocprim17ROCPRIM_400000_NS6detail17trampoline_kernelINS0_13select_configILj256ELj13ELNS0_17block_load_methodE3ELS4_3ELS4_3ELNS0_20block_scan_algorithmE0ELj4294967295EEENS1_25partition_config_selectorILNS1_17partition_subalgoE4EjNS0_10empty_typeEbEEZZNS1_14partition_implILS8_4ELb0ES6_15HIP_vector_typeIjLj2EENS0_17counting_iteratorIjlEEPS9_SG_NS0_5tupleIJPjSI_NS0_16reverse_iteratorISI_EEEEENSH_IJSG_SG_SG_EEES9_SI_JZNS1_25segmented_radix_sort_implINS0_14default_configELb1EPKiPiPKlPlN2at6native12_GLOBAL__N_18offset_tEEE10hipError_tPvRmT1_PNSt15iterator_traitsIS12_E10value_typeET2_T3_PNS13_IS18_E10value_typeET4_jRbjT5_S1E_jjP12ihipStream_tbEUljE_ZNSN_ISO_Lb1ESQ_SR_ST_SU_SY_EESZ_S10_S11_S12_S16_S17_S18_S1B_S1C_jS1D_jS1E_S1E_jjS1G_bEUljE0_EEESZ_S10_S11_S18_S1C_S1E_T6_T7_T9_mT8_S1G_bDpT10_ENKUlT_T0_E_clISt17integral_constantIbLb1EES1U_EEDaS1P_S1Q_EUlS1P_E_NS1_11comp_targetILNS1_3genE5ELNS1_11target_archE942ELNS1_3gpuE9ELNS1_3repE0EEENS1_30default_config_static_selectorELNS0_4arch9wavefront6targetE0EEEvS12_.num_vgpr, 0
	.set _ZN7rocprim17ROCPRIM_400000_NS6detail17trampoline_kernelINS0_13select_configILj256ELj13ELNS0_17block_load_methodE3ELS4_3ELS4_3ELNS0_20block_scan_algorithmE0ELj4294967295EEENS1_25partition_config_selectorILNS1_17partition_subalgoE4EjNS0_10empty_typeEbEEZZNS1_14partition_implILS8_4ELb0ES6_15HIP_vector_typeIjLj2EENS0_17counting_iteratorIjlEEPS9_SG_NS0_5tupleIJPjSI_NS0_16reverse_iteratorISI_EEEEENSH_IJSG_SG_SG_EEES9_SI_JZNS1_25segmented_radix_sort_implINS0_14default_configELb1EPKiPiPKlPlN2at6native12_GLOBAL__N_18offset_tEEE10hipError_tPvRmT1_PNSt15iterator_traitsIS12_E10value_typeET2_T3_PNS13_IS18_E10value_typeET4_jRbjT5_S1E_jjP12ihipStream_tbEUljE_ZNSN_ISO_Lb1ESQ_SR_ST_SU_SY_EESZ_S10_S11_S12_S16_S17_S18_S1B_S1C_jS1D_jS1E_S1E_jjS1G_bEUljE0_EEESZ_S10_S11_S18_S1C_S1E_T6_T7_T9_mT8_S1G_bDpT10_ENKUlT_T0_E_clISt17integral_constantIbLb1EES1U_EEDaS1P_S1Q_EUlS1P_E_NS1_11comp_targetILNS1_3genE5ELNS1_11target_archE942ELNS1_3gpuE9ELNS1_3repE0EEENS1_30default_config_static_selectorELNS0_4arch9wavefront6targetE0EEEvS12_.num_agpr, 0
	.set _ZN7rocprim17ROCPRIM_400000_NS6detail17trampoline_kernelINS0_13select_configILj256ELj13ELNS0_17block_load_methodE3ELS4_3ELS4_3ELNS0_20block_scan_algorithmE0ELj4294967295EEENS1_25partition_config_selectorILNS1_17partition_subalgoE4EjNS0_10empty_typeEbEEZZNS1_14partition_implILS8_4ELb0ES6_15HIP_vector_typeIjLj2EENS0_17counting_iteratorIjlEEPS9_SG_NS0_5tupleIJPjSI_NS0_16reverse_iteratorISI_EEEEENSH_IJSG_SG_SG_EEES9_SI_JZNS1_25segmented_radix_sort_implINS0_14default_configELb1EPKiPiPKlPlN2at6native12_GLOBAL__N_18offset_tEEE10hipError_tPvRmT1_PNSt15iterator_traitsIS12_E10value_typeET2_T3_PNS13_IS18_E10value_typeET4_jRbjT5_S1E_jjP12ihipStream_tbEUljE_ZNSN_ISO_Lb1ESQ_SR_ST_SU_SY_EESZ_S10_S11_S12_S16_S17_S18_S1B_S1C_jS1D_jS1E_S1E_jjS1G_bEUljE0_EEESZ_S10_S11_S18_S1C_S1E_T6_T7_T9_mT8_S1G_bDpT10_ENKUlT_T0_E_clISt17integral_constantIbLb1EES1U_EEDaS1P_S1Q_EUlS1P_E_NS1_11comp_targetILNS1_3genE5ELNS1_11target_archE942ELNS1_3gpuE9ELNS1_3repE0EEENS1_30default_config_static_selectorELNS0_4arch9wavefront6targetE0EEEvS12_.numbered_sgpr, 0
	.set _ZN7rocprim17ROCPRIM_400000_NS6detail17trampoline_kernelINS0_13select_configILj256ELj13ELNS0_17block_load_methodE3ELS4_3ELS4_3ELNS0_20block_scan_algorithmE0ELj4294967295EEENS1_25partition_config_selectorILNS1_17partition_subalgoE4EjNS0_10empty_typeEbEEZZNS1_14partition_implILS8_4ELb0ES6_15HIP_vector_typeIjLj2EENS0_17counting_iteratorIjlEEPS9_SG_NS0_5tupleIJPjSI_NS0_16reverse_iteratorISI_EEEEENSH_IJSG_SG_SG_EEES9_SI_JZNS1_25segmented_radix_sort_implINS0_14default_configELb1EPKiPiPKlPlN2at6native12_GLOBAL__N_18offset_tEEE10hipError_tPvRmT1_PNSt15iterator_traitsIS12_E10value_typeET2_T3_PNS13_IS18_E10value_typeET4_jRbjT5_S1E_jjP12ihipStream_tbEUljE_ZNSN_ISO_Lb1ESQ_SR_ST_SU_SY_EESZ_S10_S11_S12_S16_S17_S18_S1B_S1C_jS1D_jS1E_S1E_jjS1G_bEUljE0_EEESZ_S10_S11_S18_S1C_S1E_T6_T7_T9_mT8_S1G_bDpT10_ENKUlT_T0_E_clISt17integral_constantIbLb1EES1U_EEDaS1P_S1Q_EUlS1P_E_NS1_11comp_targetILNS1_3genE5ELNS1_11target_archE942ELNS1_3gpuE9ELNS1_3repE0EEENS1_30default_config_static_selectorELNS0_4arch9wavefront6targetE0EEEvS12_.num_named_barrier, 0
	.set _ZN7rocprim17ROCPRIM_400000_NS6detail17trampoline_kernelINS0_13select_configILj256ELj13ELNS0_17block_load_methodE3ELS4_3ELS4_3ELNS0_20block_scan_algorithmE0ELj4294967295EEENS1_25partition_config_selectorILNS1_17partition_subalgoE4EjNS0_10empty_typeEbEEZZNS1_14partition_implILS8_4ELb0ES6_15HIP_vector_typeIjLj2EENS0_17counting_iteratorIjlEEPS9_SG_NS0_5tupleIJPjSI_NS0_16reverse_iteratorISI_EEEEENSH_IJSG_SG_SG_EEES9_SI_JZNS1_25segmented_radix_sort_implINS0_14default_configELb1EPKiPiPKlPlN2at6native12_GLOBAL__N_18offset_tEEE10hipError_tPvRmT1_PNSt15iterator_traitsIS12_E10value_typeET2_T3_PNS13_IS18_E10value_typeET4_jRbjT5_S1E_jjP12ihipStream_tbEUljE_ZNSN_ISO_Lb1ESQ_SR_ST_SU_SY_EESZ_S10_S11_S12_S16_S17_S18_S1B_S1C_jS1D_jS1E_S1E_jjS1G_bEUljE0_EEESZ_S10_S11_S18_S1C_S1E_T6_T7_T9_mT8_S1G_bDpT10_ENKUlT_T0_E_clISt17integral_constantIbLb1EES1U_EEDaS1P_S1Q_EUlS1P_E_NS1_11comp_targetILNS1_3genE5ELNS1_11target_archE942ELNS1_3gpuE9ELNS1_3repE0EEENS1_30default_config_static_selectorELNS0_4arch9wavefront6targetE0EEEvS12_.private_seg_size, 0
	.set _ZN7rocprim17ROCPRIM_400000_NS6detail17trampoline_kernelINS0_13select_configILj256ELj13ELNS0_17block_load_methodE3ELS4_3ELS4_3ELNS0_20block_scan_algorithmE0ELj4294967295EEENS1_25partition_config_selectorILNS1_17partition_subalgoE4EjNS0_10empty_typeEbEEZZNS1_14partition_implILS8_4ELb0ES6_15HIP_vector_typeIjLj2EENS0_17counting_iteratorIjlEEPS9_SG_NS0_5tupleIJPjSI_NS0_16reverse_iteratorISI_EEEEENSH_IJSG_SG_SG_EEES9_SI_JZNS1_25segmented_radix_sort_implINS0_14default_configELb1EPKiPiPKlPlN2at6native12_GLOBAL__N_18offset_tEEE10hipError_tPvRmT1_PNSt15iterator_traitsIS12_E10value_typeET2_T3_PNS13_IS18_E10value_typeET4_jRbjT5_S1E_jjP12ihipStream_tbEUljE_ZNSN_ISO_Lb1ESQ_SR_ST_SU_SY_EESZ_S10_S11_S12_S16_S17_S18_S1B_S1C_jS1D_jS1E_S1E_jjS1G_bEUljE0_EEESZ_S10_S11_S18_S1C_S1E_T6_T7_T9_mT8_S1G_bDpT10_ENKUlT_T0_E_clISt17integral_constantIbLb1EES1U_EEDaS1P_S1Q_EUlS1P_E_NS1_11comp_targetILNS1_3genE5ELNS1_11target_archE942ELNS1_3gpuE9ELNS1_3repE0EEENS1_30default_config_static_selectorELNS0_4arch9wavefront6targetE0EEEvS12_.uses_vcc, 0
	.set _ZN7rocprim17ROCPRIM_400000_NS6detail17trampoline_kernelINS0_13select_configILj256ELj13ELNS0_17block_load_methodE3ELS4_3ELS4_3ELNS0_20block_scan_algorithmE0ELj4294967295EEENS1_25partition_config_selectorILNS1_17partition_subalgoE4EjNS0_10empty_typeEbEEZZNS1_14partition_implILS8_4ELb0ES6_15HIP_vector_typeIjLj2EENS0_17counting_iteratorIjlEEPS9_SG_NS0_5tupleIJPjSI_NS0_16reverse_iteratorISI_EEEEENSH_IJSG_SG_SG_EEES9_SI_JZNS1_25segmented_radix_sort_implINS0_14default_configELb1EPKiPiPKlPlN2at6native12_GLOBAL__N_18offset_tEEE10hipError_tPvRmT1_PNSt15iterator_traitsIS12_E10value_typeET2_T3_PNS13_IS18_E10value_typeET4_jRbjT5_S1E_jjP12ihipStream_tbEUljE_ZNSN_ISO_Lb1ESQ_SR_ST_SU_SY_EESZ_S10_S11_S12_S16_S17_S18_S1B_S1C_jS1D_jS1E_S1E_jjS1G_bEUljE0_EEESZ_S10_S11_S18_S1C_S1E_T6_T7_T9_mT8_S1G_bDpT10_ENKUlT_T0_E_clISt17integral_constantIbLb1EES1U_EEDaS1P_S1Q_EUlS1P_E_NS1_11comp_targetILNS1_3genE5ELNS1_11target_archE942ELNS1_3gpuE9ELNS1_3repE0EEENS1_30default_config_static_selectorELNS0_4arch9wavefront6targetE0EEEvS12_.uses_flat_scratch, 0
	.set _ZN7rocprim17ROCPRIM_400000_NS6detail17trampoline_kernelINS0_13select_configILj256ELj13ELNS0_17block_load_methodE3ELS4_3ELS4_3ELNS0_20block_scan_algorithmE0ELj4294967295EEENS1_25partition_config_selectorILNS1_17partition_subalgoE4EjNS0_10empty_typeEbEEZZNS1_14partition_implILS8_4ELb0ES6_15HIP_vector_typeIjLj2EENS0_17counting_iteratorIjlEEPS9_SG_NS0_5tupleIJPjSI_NS0_16reverse_iteratorISI_EEEEENSH_IJSG_SG_SG_EEES9_SI_JZNS1_25segmented_radix_sort_implINS0_14default_configELb1EPKiPiPKlPlN2at6native12_GLOBAL__N_18offset_tEEE10hipError_tPvRmT1_PNSt15iterator_traitsIS12_E10value_typeET2_T3_PNS13_IS18_E10value_typeET4_jRbjT5_S1E_jjP12ihipStream_tbEUljE_ZNSN_ISO_Lb1ESQ_SR_ST_SU_SY_EESZ_S10_S11_S12_S16_S17_S18_S1B_S1C_jS1D_jS1E_S1E_jjS1G_bEUljE0_EEESZ_S10_S11_S18_S1C_S1E_T6_T7_T9_mT8_S1G_bDpT10_ENKUlT_T0_E_clISt17integral_constantIbLb1EES1U_EEDaS1P_S1Q_EUlS1P_E_NS1_11comp_targetILNS1_3genE5ELNS1_11target_archE942ELNS1_3gpuE9ELNS1_3repE0EEENS1_30default_config_static_selectorELNS0_4arch9wavefront6targetE0EEEvS12_.has_dyn_sized_stack, 0
	.set _ZN7rocprim17ROCPRIM_400000_NS6detail17trampoline_kernelINS0_13select_configILj256ELj13ELNS0_17block_load_methodE3ELS4_3ELS4_3ELNS0_20block_scan_algorithmE0ELj4294967295EEENS1_25partition_config_selectorILNS1_17partition_subalgoE4EjNS0_10empty_typeEbEEZZNS1_14partition_implILS8_4ELb0ES6_15HIP_vector_typeIjLj2EENS0_17counting_iteratorIjlEEPS9_SG_NS0_5tupleIJPjSI_NS0_16reverse_iteratorISI_EEEEENSH_IJSG_SG_SG_EEES9_SI_JZNS1_25segmented_radix_sort_implINS0_14default_configELb1EPKiPiPKlPlN2at6native12_GLOBAL__N_18offset_tEEE10hipError_tPvRmT1_PNSt15iterator_traitsIS12_E10value_typeET2_T3_PNS13_IS18_E10value_typeET4_jRbjT5_S1E_jjP12ihipStream_tbEUljE_ZNSN_ISO_Lb1ESQ_SR_ST_SU_SY_EESZ_S10_S11_S12_S16_S17_S18_S1B_S1C_jS1D_jS1E_S1E_jjS1G_bEUljE0_EEESZ_S10_S11_S18_S1C_S1E_T6_T7_T9_mT8_S1G_bDpT10_ENKUlT_T0_E_clISt17integral_constantIbLb1EES1U_EEDaS1P_S1Q_EUlS1P_E_NS1_11comp_targetILNS1_3genE5ELNS1_11target_archE942ELNS1_3gpuE9ELNS1_3repE0EEENS1_30default_config_static_selectorELNS0_4arch9wavefront6targetE0EEEvS12_.has_recursion, 0
	.set _ZN7rocprim17ROCPRIM_400000_NS6detail17trampoline_kernelINS0_13select_configILj256ELj13ELNS0_17block_load_methodE3ELS4_3ELS4_3ELNS0_20block_scan_algorithmE0ELj4294967295EEENS1_25partition_config_selectorILNS1_17partition_subalgoE4EjNS0_10empty_typeEbEEZZNS1_14partition_implILS8_4ELb0ES6_15HIP_vector_typeIjLj2EENS0_17counting_iteratorIjlEEPS9_SG_NS0_5tupleIJPjSI_NS0_16reverse_iteratorISI_EEEEENSH_IJSG_SG_SG_EEES9_SI_JZNS1_25segmented_radix_sort_implINS0_14default_configELb1EPKiPiPKlPlN2at6native12_GLOBAL__N_18offset_tEEE10hipError_tPvRmT1_PNSt15iterator_traitsIS12_E10value_typeET2_T3_PNS13_IS18_E10value_typeET4_jRbjT5_S1E_jjP12ihipStream_tbEUljE_ZNSN_ISO_Lb1ESQ_SR_ST_SU_SY_EESZ_S10_S11_S12_S16_S17_S18_S1B_S1C_jS1D_jS1E_S1E_jjS1G_bEUljE0_EEESZ_S10_S11_S18_S1C_S1E_T6_T7_T9_mT8_S1G_bDpT10_ENKUlT_T0_E_clISt17integral_constantIbLb1EES1U_EEDaS1P_S1Q_EUlS1P_E_NS1_11comp_targetILNS1_3genE5ELNS1_11target_archE942ELNS1_3gpuE9ELNS1_3repE0EEENS1_30default_config_static_selectorELNS0_4arch9wavefront6targetE0EEEvS12_.has_indirect_call, 0
	.section	.AMDGPU.csdata,"",@progbits
; Kernel info:
; codeLenInByte = 0
; TotalNumSgprs: 0
; NumVgprs: 0
; ScratchSize: 0
; MemoryBound: 0
; FloatMode: 240
; IeeeMode: 1
; LDSByteSize: 0 bytes/workgroup (compile time only)
; SGPRBlocks: 0
; VGPRBlocks: 0
; NumSGPRsForWavesPerEU: 1
; NumVGPRsForWavesPerEU: 1
; Occupancy: 16
; WaveLimiterHint : 0
; COMPUTE_PGM_RSRC2:SCRATCH_EN: 0
; COMPUTE_PGM_RSRC2:USER_SGPR: 6
; COMPUTE_PGM_RSRC2:TRAP_HANDLER: 0
; COMPUTE_PGM_RSRC2:TGID_X_EN: 1
; COMPUTE_PGM_RSRC2:TGID_Y_EN: 0
; COMPUTE_PGM_RSRC2:TGID_Z_EN: 0
; COMPUTE_PGM_RSRC2:TIDIG_COMP_CNT: 0
	.section	.text._ZN7rocprim17ROCPRIM_400000_NS6detail17trampoline_kernelINS0_13select_configILj256ELj13ELNS0_17block_load_methodE3ELS4_3ELS4_3ELNS0_20block_scan_algorithmE0ELj4294967295EEENS1_25partition_config_selectorILNS1_17partition_subalgoE4EjNS0_10empty_typeEbEEZZNS1_14partition_implILS8_4ELb0ES6_15HIP_vector_typeIjLj2EENS0_17counting_iteratorIjlEEPS9_SG_NS0_5tupleIJPjSI_NS0_16reverse_iteratorISI_EEEEENSH_IJSG_SG_SG_EEES9_SI_JZNS1_25segmented_radix_sort_implINS0_14default_configELb1EPKiPiPKlPlN2at6native12_GLOBAL__N_18offset_tEEE10hipError_tPvRmT1_PNSt15iterator_traitsIS12_E10value_typeET2_T3_PNS13_IS18_E10value_typeET4_jRbjT5_S1E_jjP12ihipStream_tbEUljE_ZNSN_ISO_Lb1ESQ_SR_ST_SU_SY_EESZ_S10_S11_S12_S16_S17_S18_S1B_S1C_jS1D_jS1E_S1E_jjS1G_bEUljE0_EEESZ_S10_S11_S18_S1C_S1E_T6_T7_T9_mT8_S1G_bDpT10_ENKUlT_T0_E_clISt17integral_constantIbLb1EES1U_EEDaS1P_S1Q_EUlS1P_E_NS1_11comp_targetILNS1_3genE4ELNS1_11target_archE910ELNS1_3gpuE8ELNS1_3repE0EEENS1_30default_config_static_selectorELNS0_4arch9wavefront6targetE0EEEvS12_,"axG",@progbits,_ZN7rocprim17ROCPRIM_400000_NS6detail17trampoline_kernelINS0_13select_configILj256ELj13ELNS0_17block_load_methodE3ELS4_3ELS4_3ELNS0_20block_scan_algorithmE0ELj4294967295EEENS1_25partition_config_selectorILNS1_17partition_subalgoE4EjNS0_10empty_typeEbEEZZNS1_14partition_implILS8_4ELb0ES6_15HIP_vector_typeIjLj2EENS0_17counting_iteratorIjlEEPS9_SG_NS0_5tupleIJPjSI_NS0_16reverse_iteratorISI_EEEEENSH_IJSG_SG_SG_EEES9_SI_JZNS1_25segmented_radix_sort_implINS0_14default_configELb1EPKiPiPKlPlN2at6native12_GLOBAL__N_18offset_tEEE10hipError_tPvRmT1_PNSt15iterator_traitsIS12_E10value_typeET2_T3_PNS13_IS18_E10value_typeET4_jRbjT5_S1E_jjP12ihipStream_tbEUljE_ZNSN_ISO_Lb1ESQ_SR_ST_SU_SY_EESZ_S10_S11_S12_S16_S17_S18_S1B_S1C_jS1D_jS1E_S1E_jjS1G_bEUljE0_EEESZ_S10_S11_S18_S1C_S1E_T6_T7_T9_mT8_S1G_bDpT10_ENKUlT_T0_E_clISt17integral_constantIbLb1EES1U_EEDaS1P_S1Q_EUlS1P_E_NS1_11comp_targetILNS1_3genE4ELNS1_11target_archE910ELNS1_3gpuE8ELNS1_3repE0EEENS1_30default_config_static_selectorELNS0_4arch9wavefront6targetE0EEEvS12_,comdat
	.globl	_ZN7rocprim17ROCPRIM_400000_NS6detail17trampoline_kernelINS0_13select_configILj256ELj13ELNS0_17block_load_methodE3ELS4_3ELS4_3ELNS0_20block_scan_algorithmE0ELj4294967295EEENS1_25partition_config_selectorILNS1_17partition_subalgoE4EjNS0_10empty_typeEbEEZZNS1_14partition_implILS8_4ELb0ES6_15HIP_vector_typeIjLj2EENS0_17counting_iteratorIjlEEPS9_SG_NS0_5tupleIJPjSI_NS0_16reverse_iteratorISI_EEEEENSH_IJSG_SG_SG_EEES9_SI_JZNS1_25segmented_radix_sort_implINS0_14default_configELb1EPKiPiPKlPlN2at6native12_GLOBAL__N_18offset_tEEE10hipError_tPvRmT1_PNSt15iterator_traitsIS12_E10value_typeET2_T3_PNS13_IS18_E10value_typeET4_jRbjT5_S1E_jjP12ihipStream_tbEUljE_ZNSN_ISO_Lb1ESQ_SR_ST_SU_SY_EESZ_S10_S11_S12_S16_S17_S18_S1B_S1C_jS1D_jS1E_S1E_jjS1G_bEUljE0_EEESZ_S10_S11_S18_S1C_S1E_T6_T7_T9_mT8_S1G_bDpT10_ENKUlT_T0_E_clISt17integral_constantIbLb1EES1U_EEDaS1P_S1Q_EUlS1P_E_NS1_11comp_targetILNS1_3genE4ELNS1_11target_archE910ELNS1_3gpuE8ELNS1_3repE0EEENS1_30default_config_static_selectorELNS0_4arch9wavefront6targetE0EEEvS12_ ; -- Begin function _ZN7rocprim17ROCPRIM_400000_NS6detail17trampoline_kernelINS0_13select_configILj256ELj13ELNS0_17block_load_methodE3ELS4_3ELS4_3ELNS0_20block_scan_algorithmE0ELj4294967295EEENS1_25partition_config_selectorILNS1_17partition_subalgoE4EjNS0_10empty_typeEbEEZZNS1_14partition_implILS8_4ELb0ES6_15HIP_vector_typeIjLj2EENS0_17counting_iteratorIjlEEPS9_SG_NS0_5tupleIJPjSI_NS0_16reverse_iteratorISI_EEEEENSH_IJSG_SG_SG_EEES9_SI_JZNS1_25segmented_radix_sort_implINS0_14default_configELb1EPKiPiPKlPlN2at6native12_GLOBAL__N_18offset_tEEE10hipError_tPvRmT1_PNSt15iterator_traitsIS12_E10value_typeET2_T3_PNS13_IS18_E10value_typeET4_jRbjT5_S1E_jjP12ihipStream_tbEUljE_ZNSN_ISO_Lb1ESQ_SR_ST_SU_SY_EESZ_S10_S11_S12_S16_S17_S18_S1B_S1C_jS1D_jS1E_S1E_jjS1G_bEUljE0_EEESZ_S10_S11_S18_S1C_S1E_T6_T7_T9_mT8_S1G_bDpT10_ENKUlT_T0_E_clISt17integral_constantIbLb1EES1U_EEDaS1P_S1Q_EUlS1P_E_NS1_11comp_targetILNS1_3genE4ELNS1_11target_archE910ELNS1_3gpuE8ELNS1_3repE0EEENS1_30default_config_static_selectorELNS0_4arch9wavefront6targetE0EEEvS12_
	.p2align	8
	.type	_ZN7rocprim17ROCPRIM_400000_NS6detail17trampoline_kernelINS0_13select_configILj256ELj13ELNS0_17block_load_methodE3ELS4_3ELS4_3ELNS0_20block_scan_algorithmE0ELj4294967295EEENS1_25partition_config_selectorILNS1_17partition_subalgoE4EjNS0_10empty_typeEbEEZZNS1_14partition_implILS8_4ELb0ES6_15HIP_vector_typeIjLj2EENS0_17counting_iteratorIjlEEPS9_SG_NS0_5tupleIJPjSI_NS0_16reverse_iteratorISI_EEEEENSH_IJSG_SG_SG_EEES9_SI_JZNS1_25segmented_radix_sort_implINS0_14default_configELb1EPKiPiPKlPlN2at6native12_GLOBAL__N_18offset_tEEE10hipError_tPvRmT1_PNSt15iterator_traitsIS12_E10value_typeET2_T3_PNS13_IS18_E10value_typeET4_jRbjT5_S1E_jjP12ihipStream_tbEUljE_ZNSN_ISO_Lb1ESQ_SR_ST_SU_SY_EESZ_S10_S11_S12_S16_S17_S18_S1B_S1C_jS1D_jS1E_S1E_jjS1G_bEUljE0_EEESZ_S10_S11_S18_S1C_S1E_T6_T7_T9_mT8_S1G_bDpT10_ENKUlT_T0_E_clISt17integral_constantIbLb1EES1U_EEDaS1P_S1Q_EUlS1P_E_NS1_11comp_targetILNS1_3genE4ELNS1_11target_archE910ELNS1_3gpuE8ELNS1_3repE0EEENS1_30default_config_static_selectorELNS0_4arch9wavefront6targetE0EEEvS12_,@function
_ZN7rocprim17ROCPRIM_400000_NS6detail17trampoline_kernelINS0_13select_configILj256ELj13ELNS0_17block_load_methodE3ELS4_3ELS4_3ELNS0_20block_scan_algorithmE0ELj4294967295EEENS1_25partition_config_selectorILNS1_17partition_subalgoE4EjNS0_10empty_typeEbEEZZNS1_14partition_implILS8_4ELb0ES6_15HIP_vector_typeIjLj2EENS0_17counting_iteratorIjlEEPS9_SG_NS0_5tupleIJPjSI_NS0_16reverse_iteratorISI_EEEEENSH_IJSG_SG_SG_EEES9_SI_JZNS1_25segmented_radix_sort_implINS0_14default_configELb1EPKiPiPKlPlN2at6native12_GLOBAL__N_18offset_tEEE10hipError_tPvRmT1_PNSt15iterator_traitsIS12_E10value_typeET2_T3_PNS13_IS18_E10value_typeET4_jRbjT5_S1E_jjP12ihipStream_tbEUljE_ZNSN_ISO_Lb1ESQ_SR_ST_SU_SY_EESZ_S10_S11_S12_S16_S17_S18_S1B_S1C_jS1D_jS1E_S1E_jjS1G_bEUljE0_EEESZ_S10_S11_S18_S1C_S1E_T6_T7_T9_mT8_S1G_bDpT10_ENKUlT_T0_E_clISt17integral_constantIbLb1EES1U_EEDaS1P_S1Q_EUlS1P_E_NS1_11comp_targetILNS1_3genE4ELNS1_11target_archE910ELNS1_3gpuE8ELNS1_3repE0EEENS1_30default_config_static_selectorELNS0_4arch9wavefront6targetE0EEEvS12_: ; @_ZN7rocprim17ROCPRIM_400000_NS6detail17trampoline_kernelINS0_13select_configILj256ELj13ELNS0_17block_load_methodE3ELS4_3ELS4_3ELNS0_20block_scan_algorithmE0ELj4294967295EEENS1_25partition_config_selectorILNS1_17partition_subalgoE4EjNS0_10empty_typeEbEEZZNS1_14partition_implILS8_4ELb0ES6_15HIP_vector_typeIjLj2EENS0_17counting_iteratorIjlEEPS9_SG_NS0_5tupleIJPjSI_NS0_16reverse_iteratorISI_EEEEENSH_IJSG_SG_SG_EEES9_SI_JZNS1_25segmented_radix_sort_implINS0_14default_configELb1EPKiPiPKlPlN2at6native12_GLOBAL__N_18offset_tEEE10hipError_tPvRmT1_PNSt15iterator_traitsIS12_E10value_typeET2_T3_PNS13_IS18_E10value_typeET4_jRbjT5_S1E_jjP12ihipStream_tbEUljE_ZNSN_ISO_Lb1ESQ_SR_ST_SU_SY_EESZ_S10_S11_S12_S16_S17_S18_S1B_S1C_jS1D_jS1E_S1E_jjS1G_bEUljE0_EEESZ_S10_S11_S18_S1C_S1E_T6_T7_T9_mT8_S1G_bDpT10_ENKUlT_T0_E_clISt17integral_constantIbLb1EES1U_EEDaS1P_S1Q_EUlS1P_E_NS1_11comp_targetILNS1_3genE4ELNS1_11target_archE910ELNS1_3gpuE8ELNS1_3repE0EEENS1_30default_config_static_selectorELNS0_4arch9wavefront6targetE0EEEvS12_
; %bb.0:
	.section	.rodata,"a",@progbits
	.p2align	6, 0x0
	.amdhsa_kernel _ZN7rocprim17ROCPRIM_400000_NS6detail17trampoline_kernelINS0_13select_configILj256ELj13ELNS0_17block_load_methodE3ELS4_3ELS4_3ELNS0_20block_scan_algorithmE0ELj4294967295EEENS1_25partition_config_selectorILNS1_17partition_subalgoE4EjNS0_10empty_typeEbEEZZNS1_14partition_implILS8_4ELb0ES6_15HIP_vector_typeIjLj2EENS0_17counting_iteratorIjlEEPS9_SG_NS0_5tupleIJPjSI_NS0_16reverse_iteratorISI_EEEEENSH_IJSG_SG_SG_EEES9_SI_JZNS1_25segmented_radix_sort_implINS0_14default_configELb1EPKiPiPKlPlN2at6native12_GLOBAL__N_18offset_tEEE10hipError_tPvRmT1_PNSt15iterator_traitsIS12_E10value_typeET2_T3_PNS13_IS18_E10value_typeET4_jRbjT5_S1E_jjP12ihipStream_tbEUljE_ZNSN_ISO_Lb1ESQ_SR_ST_SU_SY_EESZ_S10_S11_S12_S16_S17_S18_S1B_S1C_jS1D_jS1E_S1E_jjS1G_bEUljE0_EEESZ_S10_S11_S18_S1C_S1E_T6_T7_T9_mT8_S1G_bDpT10_ENKUlT_T0_E_clISt17integral_constantIbLb1EES1U_EEDaS1P_S1Q_EUlS1P_E_NS1_11comp_targetILNS1_3genE4ELNS1_11target_archE910ELNS1_3gpuE8ELNS1_3repE0EEENS1_30default_config_static_selectorELNS0_4arch9wavefront6targetE0EEEvS12_
		.amdhsa_group_segment_fixed_size 0
		.amdhsa_private_segment_fixed_size 0
		.amdhsa_kernarg_size 184
		.amdhsa_user_sgpr_count 6
		.amdhsa_user_sgpr_private_segment_buffer 1
		.amdhsa_user_sgpr_dispatch_ptr 0
		.amdhsa_user_sgpr_queue_ptr 0
		.amdhsa_user_sgpr_kernarg_segment_ptr 1
		.amdhsa_user_sgpr_dispatch_id 0
		.amdhsa_user_sgpr_flat_scratch_init 0
		.amdhsa_user_sgpr_private_segment_size 0
		.amdhsa_wavefront_size32 1
		.amdhsa_uses_dynamic_stack 0
		.amdhsa_system_sgpr_private_segment_wavefront_offset 0
		.amdhsa_system_sgpr_workgroup_id_x 1
		.amdhsa_system_sgpr_workgroup_id_y 0
		.amdhsa_system_sgpr_workgroup_id_z 0
		.amdhsa_system_sgpr_workgroup_info 0
		.amdhsa_system_vgpr_workitem_id 0
		.amdhsa_next_free_vgpr 1
		.amdhsa_next_free_sgpr 1
		.amdhsa_reserve_vcc 0
		.amdhsa_reserve_flat_scratch 0
		.amdhsa_float_round_mode_32 0
		.amdhsa_float_round_mode_16_64 0
		.amdhsa_float_denorm_mode_32 3
		.amdhsa_float_denorm_mode_16_64 3
		.amdhsa_dx10_clamp 1
		.amdhsa_ieee_mode 1
		.amdhsa_fp16_overflow 0
		.amdhsa_workgroup_processor_mode 1
		.amdhsa_memory_ordered 1
		.amdhsa_forward_progress 1
		.amdhsa_shared_vgpr_count 0
		.amdhsa_exception_fp_ieee_invalid_op 0
		.amdhsa_exception_fp_denorm_src 0
		.amdhsa_exception_fp_ieee_div_zero 0
		.amdhsa_exception_fp_ieee_overflow 0
		.amdhsa_exception_fp_ieee_underflow 0
		.amdhsa_exception_fp_ieee_inexact 0
		.amdhsa_exception_int_div_zero 0
	.end_amdhsa_kernel
	.section	.text._ZN7rocprim17ROCPRIM_400000_NS6detail17trampoline_kernelINS0_13select_configILj256ELj13ELNS0_17block_load_methodE3ELS4_3ELS4_3ELNS0_20block_scan_algorithmE0ELj4294967295EEENS1_25partition_config_selectorILNS1_17partition_subalgoE4EjNS0_10empty_typeEbEEZZNS1_14partition_implILS8_4ELb0ES6_15HIP_vector_typeIjLj2EENS0_17counting_iteratorIjlEEPS9_SG_NS0_5tupleIJPjSI_NS0_16reverse_iteratorISI_EEEEENSH_IJSG_SG_SG_EEES9_SI_JZNS1_25segmented_radix_sort_implINS0_14default_configELb1EPKiPiPKlPlN2at6native12_GLOBAL__N_18offset_tEEE10hipError_tPvRmT1_PNSt15iterator_traitsIS12_E10value_typeET2_T3_PNS13_IS18_E10value_typeET4_jRbjT5_S1E_jjP12ihipStream_tbEUljE_ZNSN_ISO_Lb1ESQ_SR_ST_SU_SY_EESZ_S10_S11_S12_S16_S17_S18_S1B_S1C_jS1D_jS1E_S1E_jjS1G_bEUljE0_EEESZ_S10_S11_S18_S1C_S1E_T6_T7_T9_mT8_S1G_bDpT10_ENKUlT_T0_E_clISt17integral_constantIbLb1EES1U_EEDaS1P_S1Q_EUlS1P_E_NS1_11comp_targetILNS1_3genE4ELNS1_11target_archE910ELNS1_3gpuE8ELNS1_3repE0EEENS1_30default_config_static_selectorELNS0_4arch9wavefront6targetE0EEEvS12_,"axG",@progbits,_ZN7rocprim17ROCPRIM_400000_NS6detail17trampoline_kernelINS0_13select_configILj256ELj13ELNS0_17block_load_methodE3ELS4_3ELS4_3ELNS0_20block_scan_algorithmE0ELj4294967295EEENS1_25partition_config_selectorILNS1_17partition_subalgoE4EjNS0_10empty_typeEbEEZZNS1_14partition_implILS8_4ELb0ES6_15HIP_vector_typeIjLj2EENS0_17counting_iteratorIjlEEPS9_SG_NS0_5tupleIJPjSI_NS0_16reverse_iteratorISI_EEEEENSH_IJSG_SG_SG_EEES9_SI_JZNS1_25segmented_radix_sort_implINS0_14default_configELb1EPKiPiPKlPlN2at6native12_GLOBAL__N_18offset_tEEE10hipError_tPvRmT1_PNSt15iterator_traitsIS12_E10value_typeET2_T3_PNS13_IS18_E10value_typeET4_jRbjT5_S1E_jjP12ihipStream_tbEUljE_ZNSN_ISO_Lb1ESQ_SR_ST_SU_SY_EESZ_S10_S11_S12_S16_S17_S18_S1B_S1C_jS1D_jS1E_S1E_jjS1G_bEUljE0_EEESZ_S10_S11_S18_S1C_S1E_T6_T7_T9_mT8_S1G_bDpT10_ENKUlT_T0_E_clISt17integral_constantIbLb1EES1U_EEDaS1P_S1Q_EUlS1P_E_NS1_11comp_targetILNS1_3genE4ELNS1_11target_archE910ELNS1_3gpuE8ELNS1_3repE0EEENS1_30default_config_static_selectorELNS0_4arch9wavefront6targetE0EEEvS12_,comdat
.Lfunc_end439:
	.size	_ZN7rocprim17ROCPRIM_400000_NS6detail17trampoline_kernelINS0_13select_configILj256ELj13ELNS0_17block_load_methodE3ELS4_3ELS4_3ELNS0_20block_scan_algorithmE0ELj4294967295EEENS1_25partition_config_selectorILNS1_17partition_subalgoE4EjNS0_10empty_typeEbEEZZNS1_14partition_implILS8_4ELb0ES6_15HIP_vector_typeIjLj2EENS0_17counting_iteratorIjlEEPS9_SG_NS0_5tupleIJPjSI_NS0_16reverse_iteratorISI_EEEEENSH_IJSG_SG_SG_EEES9_SI_JZNS1_25segmented_radix_sort_implINS0_14default_configELb1EPKiPiPKlPlN2at6native12_GLOBAL__N_18offset_tEEE10hipError_tPvRmT1_PNSt15iterator_traitsIS12_E10value_typeET2_T3_PNS13_IS18_E10value_typeET4_jRbjT5_S1E_jjP12ihipStream_tbEUljE_ZNSN_ISO_Lb1ESQ_SR_ST_SU_SY_EESZ_S10_S11_S12_S16_S17_S18_S1B_S1C_jS1D_jS1E_S1E_jjS1G_bEUljE0_EEESZ_S10_S11_S18_S1C_S1E_T6_T7_T9_mT8_S1G_bDpT10_ENKUlT_T0_E_clISt17integral_constantIbLb1EES1U_EEDaS1P_S1Q_EUlS1P_E_NS1_11comp_targetILNS1_3genE4ELNS1_11target_archE910ELNS1_3gpuE8ELNS1_3repE0EEENS1_30default_config_static_selectorELNS0_4arch9wavefront6targetE0EEEvS12_, .Lfunc_end439-_ZN7rocprim17ROCPRIM_400000_NS6detail17trampoline_kernelINS0_13select_configILj256ELj13ELNS0_17block_load_methodE3ELS4_3ELS4_3ELNS0_20block_scan_algorithmE0ELj4294967295EEENS1_25partition_config_selectorILNS1_17partition_subalgoE4EjNS0_10empty_typeEbEEZZNS1_14partition_implILS8_4ELb0ES6_15HIP_vector_typeIjLj2EENS0_17counting_iteratorIjlEEPS9_SG_NS0_5tupleIJPjSI_NS0_16reverse_iteratorISI_EEEEENSH_IJSG_SG_SG_EEES9_SI_JZNS1_25segmented_radix_sort_implINS0_14default_configELb1EPKiPiPKlPlN2at6native12_GLOBAL__N_18offset_tEEE10hipError_tPvRmT1_PNSt15iterator_traitsIS12_E10value_typeET2_T3_PNS13_IS18_E10value_typeET4_jRbjT5_S1E_jjP12ihipStream_tbEUljE_ZNSN_ISO_Lb1ESQ_SR_ST_SU_SY_EESZ_S10_S11_S12_S16_S17_S18_S1B_S1C_jS1D_jS1E_S1E_jjS1G_bEUljE0_EEESZ_S10_S11_S18_S1C_S1E_T6_T7_T9_mT8_S1G_bDpT10_ENKUlT_T0_E_clISt17integral_constantIbLb1EES1U_EEDaS1P_S1Q_EUlS1P_E_NS1_11comp_targetILNS1_3genE4ELNS1_11target_archE910ELNS1_3gpuE8ELNS1_3repE0EEENS1_30default_config_static_selectorELNS0_4arch9wavefront6targetE0EEEvS12_
                                        ; -- End function
	.set _ZN7rocprim17ROCPRIM_400000_NS6detail17trampoline_kernelINS0_13select_configILj256ELj13ELNS0_17block_load_methodE3ELS4_3ELS4_3ELNS0_20block_scan_algorithmE0ELj4294967295EEENS1_25partition_config_selectorILNS1_17partition_subalgoE4EjNS0_10empty_typeEbEEZZNS1_14partition_implILS8_4ELb0ES6_15HIP_vector_typeIjLj2EENS0_17counting_iteratorIjlEEPS9_SG_NS0_5tupleIJPjSI_NS0_16reverse_iteratorISI_EEEEENSH_IJSG_SG_SG_EEES9_SI_JZNS1_25segmented_radix_sort_implINS0_14default_configELb1EPKiPiPKlPlN2at6native12_GLOBAL__N_18offset_tEEE10hipError_tPvRmT1_PNSt15iterator_traitsIS12_E10value_typeET2_T3_PNS13_IS18_E10value_typeET4_jRbjT5_S1E_jjP12ihipStream_tbEUljE_ZNSN_ISO_Lb1ESQ_SR_ST_SU_SY_EESZ_S10_S11_S12_S16_S17_S18_S1B_S1C_jS1D_jS1E_S1E_jjS1G_bEUljE0_EEESZ_S10_S11_S18_S1C_S1E_T6_T7_T9_mT8_S1G_bDpT10_ENKUlT_T0_E_clISt17integral_constantIbLb1EES1U_EEDaS1P_S1Q_EUlS1P_E_NS1_11comp_targetILNS1_3genE4ELNS1_11target_archE910ELNS1_3gpuE8ELNS1_3repE0EEENS1_30default_config_static_selectorELNS0_4arch9wavefront6targetE0EEEvS12_.num_vgpr, 0
	.set _ZN7rocprim17ROCPRIM_400000_NS6detail17trampoline_kernelINS0_13select_configILj256ELj13ELNS0_17block_load_methodE3ELS4_3ELS4_3ELNS0_20block_scan_algorithmE0ELj4294967295EEENS1_25partition_config_selectorILNS1_17partition_subalgoE4EjNS0_10empty_typeEbEEZZNS1_14partition_implILS8_4ELb0ES6_15HIP_vector_typeIjLj2EENS0_17counting_iteratorIjlEEPS9_SG_NS0_5tupleIJPjSI_NS0_16reverse_iteratorISI_EEEEENSH_IJSG_SG_SG_EEES9_SI_JZNS1_25segmented_radix_sort_implINS0_14default_configELb1EPKiPiPKlPlN2at6native12_GLOBAL__N_18offset_tEEE10hipError_tPvRmT1_PNSt15iterator_traitsIS12_E10value_typeET2_T3_PNS13_IS18_E10value_typeET4_jRbjT5_S1E_jjP12ihipStream_tbEUljE_ZNSN_ISO_Lb1ESQ_SR_ST_SU_SY_EESZ_S10_S11_S12_S16_S17_S18_S1B_S1C_jS1D_jS1E_S1E_jjS1G_bEUljE0_EEESZ_S10_S11_S18_S1C_S1E_T6_T7_T9_mT8_S1G_bDpT10_ENKUlT_T0_E_clISt17integral_constantIbLb1EES1U_EEDaS1P_S1Q_EUlS1P_E_NS1_11comp_targetILNS1_3genE4ELNS1_11target_archE910ELNS1_3gpuE8ELNS1_3repE0EEENS1_30default_config_static_selectorELNS0_4arch9wavefront6targetE0EEEvS12_.num_agpr, 0
	.set _ZN7rocprim17ROCPRIM_400000_NS6detail17trampoline_kernelINS0_13select_configILj256ELj13ELNS0_17block_load_methodE3ELS4_3ELS4_3ELNS0_20block_scan_algorithmE0ELj4294967295EEENS1_25partition_config_selectorILNS1_17partition_subalgoE4EjNS0_10empty_typeEbEEZZNS1_14partition_implILS8_4ELb0ES6_15HIP_vector_typeIjLj2EENS0_17counting_iteratorIjlEEPS9_SG_NS0_5tupleIJPjSI_NS0_16reverse_iteratorISI_EEEEENSH_IJSG_SG_SG_EEES9_SI_JZNS1_25segmented_radix_sort_implINS0_14default_configELb1EPKiPiPKlPlN2at6native12_GLOBAL__N_18offset_tEEE10hipError_tPvRmT1_PNSt15iterator_traitsIS12_E10value_typeET2_T3_PNS13_IS18_E10value_typeET4_jRbjT5_S1E_jjP12ihipStream_tbEUljE_ZNSN_ISO_Lb1ESQ_SR_ST_SU_SY_EESZ_S10_S11_S12_S16_S17_S18_S1B_S1C_jS1D_jS1E_S1E_jjS1G_bEUljE0_EEESZ_S10_S11_S18_S1C_S1E_T6_T7_T9_mT8_S1G_bDpT10_ENKUlT_T0_E_clISt17integral_constantIbLb1EES1U_EEDaS1P_S1Q_EUlS1P_E_NS1_11comp_targetILNS1_3genE4ELNS1_11target_archE910ELNS1_3gpuE8ELNS1_3repE0EEENS1_30default_config_static_selectorELNS0_4arch9wavefront6targetE0EEEvS12_.numbered_sgpr, 0
	.set _ZN7rocprim17ROCPRIM_400000_NS6detail17trampoline_kernelINS0_13select_configILj256ELj13ELNS0_17block_load_methodE3ELS4_3ELS4_3ELNS0_20block_scan_algorithmE0ELj4294967295EEENS1_25partition_config_selectorILNS1_17partition_subalgoE4EjNS0_10empty_typeEbEEZZNS1_14partition_implILS8_4ELb0ES6_15HIP_vector_typeIjLj2EENS0_17counting_iteratorIjlEEPS9_SG_NS0_5tupleIJPjSI_NS0_16reverse_iteratorISI_EEEEENSH_IJSG_SG_SG_EEES9_SI_JZNS1_25segmented_radix_sort_implINS0_14default_configELb1EPKiPiPKlPlN2at6native12_GLOBAL__N_18offset_tEEE10hipError_tPvRmT1_PNSt15iterator_traitsIS12_E10value_typeET2_T3_PNS13_IS18_E10value_typeET4_jRbjT5_S1E_jjP12ihipStream_tbEUljE_ZNSN_ISO_Lb1ESQ_SR_ST_SU_SY_EESZ_S10_S11_S12_S16_S17_S18_S1B_S1C_jS1D_jS1E_S1E_jjS1G_bEUljE0_EEESZ_S10_S11_S18_S1C_S1E_T6_T7_T9_mT8_S1G_bDpT10_ENKUlT_T0_E_clISt17integral_constantIbLb1EES1U_EEDaS1P_S1Q_EUlS1P_E_NS1_11comp_targetILNS1_3genE4ELNS1_11target_archE910ELNS1_3gpuE8ELNS1_3repE0EEENS1_30default_config_static_selectorELNS0_4arch9wavefront6targetE0EEEvS12_.num_named_barrier, 0
	.set _ZN7rocprim17ROCPRIM_400000_NS6detail17trampoline_kernelINS0_13select_configILj256ELj13ELNS0_17block_load_methodE3ELS4_3ELS4_3ELNS0_20block_scan_algorithmE0ELj4294967295EEENS1_25partition_config_selectorILNS1_17partition_subalgoE4EjNS0_10empty_typeEbEEZZNS1_14partition_implILS8_4ELb0ES6_15HIP_vector_typeIjLj2EENS0_17counting_iteratorIjlEEPS9_SG_NS0_5tupleIJPjSI_NS0_16reverse_iteratorISI_EEEEENSH_IJSG_SG_SG_EEES9_SI_JZNS1_25segmented_radix_sort_implINS0_14default_configELb1EPKiPiPKlPlN2at6native12_GLOBAL__N_18offset_tEEE10hipError_tPvRmT1_PNSt15iterator_traitsIS12_E10value_typeET2_T3_PNS13_IS18_E10value_typeET4_jRbjT5_S1E_jjP12ihipStream_tbEUljE_ZNSN_ISO_Lb1ESQ_SR_ST_SU_SY_EESZ_S10_S11_S12_S16_S17_S18_S1B_S1C_jS1D_jS1E_S1E_jjS1G_bEUljE0_EEESZ_S10_S11_S18_S1C_S1E_T6_T7_T9_mT8_S1G_bDpT10_ENKUlT_T0_E_clISt17integral_constantIbLb1EES1U_EEDaS1P_S1Q_EUlS1P_E_NS1_11comp_targetILNS1_3genE4ELNS1_11target_archE910ELNS1_3gpuE8ELNS1_3repE0EEENS1_30default_config_static_selectorELNS0_4arch9wavefront6targetE0EEEvS12_.private_seg_size, 0
	.set _ZN7rocprim17ROCPRIM_400000_NS6detail17trampoline_kernelINS0_13select_configILj256ELj13ELNS0_17block_load_methodE3ELS4_3ELS4_3ELNS0_20block_scan_algorithmE0ELj4294967295EEENS1_25partition_config_selectorILNS1_17partition_subalgoE4EjNS0_10empty_typeEbEEZZNS1_14partition_implILS8_4ELb0ES6_15HIP_vector_typeIjLj2EENS0_17counting_iteratorIjlEEPS9_SG_NS0_5tupleIJPjSI_NS0_16reverse_iteratorISI_EEEEENSH_IJSG_SG_SG_EEES9_SI_JZNS1_25segmented_radix_sort_implINS0_14default_configELb1EPKiPiPKlPlN2at6native12_GLOBAL__N_18offset_tEEE10hipError_tPvRmT1_PNSt15iterator_traitsIS12_E10value_typeET2_T3_PNS13_IS18_E10value_typeET4_jRbjT5_S1E_jjP12ihipStream_tbEUljE_ZNSN_ISO_Lb1ESQ_SR_ST_SU_SY_EESZ_S10_S11_S12_S16_S17_S18_S1B_S1C_jS1D_jS1E_S1E_jjS1G_bEUljE0_EEESZ_S10_S11_S18_S1C_S1E_T6_T7_T9_mT8_S1G_bDpT10_ENKUlT_T0_E_clISt17integral_constantIbLb1EES1U_EEDaS1P_S1Q_EUlS1P_E_NS1_11comp_targetILNS1_3genE4ELNS1_11target_archE910ELNS1_3gpuE8ELNS1_3repE0EEENS1_30default_config_static_selectorELNS0_4arch9wavefront6targetE0EEEvS12_.uses_vcc, 0
	.set _ZN7rocprim17ROCPRIM_400000_NS6detail17trampoline_kernelINS0_13select_configILj256ELj13ELNS0_17block_load_methodE3ELS4_3ELS4_3ELNS0_20block_scan_algorithmE0ELj4294967295EEENS1_25partition_config_selectorILNS1_17partition_subalgoE4EjNS0_10empty_typeEbEEZZNS1_14partition_implILS8_4ELb0ES6_15HIP_vector_typeIjLj2EENS0_17counting_iteratorIjlEEPS9_SG_NS0_5tupleIJPjSI_NS0_16reverse_iteratorISI_EEEEENSH_IJSG_SG_SG_EEES9_SI_JZNS1_25segmented_radix_sort_implINS0_14default_configELb1EPKiPiPKlPlN2at6native12_GLOBAL__N_18offset_tEEE10hipError_tPvRmT1_PNSt15iterator_traitsIS12_E10value_typeET2_T3_PNS13_IS18_E10value_typeET4_jRbjT5_S1E_jjP12ihipStream_tbEUljE_ZNSN_ISO_Lb1ESQ_SR_ST_SU_SY_EESZ_S10_S11_S12_S16_S17_S18_S1B_S1C_jS1D_jS1E_S1E_jjS1G_bEUljE0_EEESZ_S10_S11_S18_S1C_S1E_T6_T7_T9_mT8_S1G_bDpT10_ENKUlT_T0_E_clISt17integral_constantIbLb1EES1U_EEDaS1P_S1Q_EUlS1P_E_NS1_11comp_targetILNS1_3genE4ELNS1_11target_archE910ELNS1_3gpuE8ELNS1_3repE0EEENS1_30default_config_static_selectorELNS0_4arch9wavefront6targetE0EEEvS12_.uses_flat_scratch, 0
	.set _ZN7rocprim17ROCPRIM_400000_NS6detail17trampoline_kernelINS0_13select_configILj256ELj13ELNS0_17block_load_methodE3ELS4_3ELS4_3ELNS0_20block_scan_algorithmE0ELj4294967295EEENS1_25partition_config_selectorILNS1_17partition_subalgoE4EjNS0_10empty_typeEbEEZZNS1_14partition_implILS8_4ELb0ES6_15HIP_vector_typeIjLj2EENS0_17counting_iteratorIjlEEPS9_SG_NS0_5tupleIJPjSI_NS0_16reverse_iteratorISI_EEEEENSH_IJSG_SG_SG_EEES9_SI_JZNS1_25segmented_radix_sort_implINS0_14default_configELb1EPKiPiPKlPlN2at6native12_GLOBAL__N_18offset_tEEE10hipError_tPvRmT1_PNSt15iterator_traitsIS12_E10value_typeET2_T3_PNS13_IS18_E10value_typeET4_jRbjT5_S1E_jjP12ihipStream_tbEUljE_ZNSN_ISO_Lb1ESQ_SR_ST_SU_SY_EESZ_S10_S11_S12_S16_S17_S18_S1B_S1C_jS1D_jS1E_S1E_jjS1G_bEUljE0_EEESZ_S10_S11_S18_S1C_S1E_T6_T7_T9_mT8_S1G_bDpT10_ENKUlT_T0_E_clISt17integral_constantIbLb1EES1U_EEDaS1P_S1Q_EUlS1P_E_NS1_11comp_targetILNS1_3genE4ELNS1_11target_archE910ELNS1_3gpuE8ELNS1_3repE0EEENS1_30default_config_static_selectorELNS0_4arch9wavefront6targetE0EEEvS12_.has_dyn_sized_stack, 0
	.set _ZN7rocprim17ROCPRIM_400000_NS6detail17trampoline_kernelINS0_13select_configILj256ELj13ELNS0_17block_load_methodE3ELS4_3ELS4_3ELNS0_20block_scan_algorithmE0ELj4294967295EEENS1_25partition_config_selectorILNS1_17partition_subalgoE4EjNS0_10empty_typeEbEEZZNS1_14partition_implILS8_4ELb0ES6_15HIP_vector_typeIjLj2EENS0_17counting_iteratorIjlEEPS9_SG_NS0_5tupleIJPjSI_NS0_16reverse_iteratorISI_EEEEENSH_IJSG_SG_SG_EEES9_SI_JZNS1_25segmented_radix_sort_implINS0_14default_configELb1EPKiPiPKlPlN2at6native12_GLOBAL__N_18offset_tEEE10hipError_tPvRmT1_PNSt15iterator_traitsIS12_E10value_typeET2_T3_PNS13_IS18_E10value_typeET4_jRbjT5_S1E_jjP12ihipStream_tbEUljE_ZNSN_ISO_Lb1ESQ_SR_ST_SU_SY_EESZ_S10_S11_S12_S16_S17_S18_S1B_S1C_jS1D_jS1E_S1E_jjS1G_bEUljE0_EEESZ_S10_S11_S18_S1C_S1E_T6_T7_T9_mT8_S1G_bDpT10_ENKUlT_T0_E_clISt17integral_constantIbLb1EES1U_EEDaS1P_S1Q_EUlS1P_E_NS1_11comp_targetILNS1_3genE4ELNS1_11target_archE910ELNS1_3gpuE8ELNS1_3repE0EEENS1_30default_config_static_selectorELNS0_4arch9wavefront6targetE0EEEvS12_.has_recursion, 0
	.set _ZN7rocprim17ROCPRIM_400000_NS6detail17trampoline_kernelINS0_13select_configILj256ELj13ELNS0_17block_load_methodE3ELS4_3ELS4_3ELNS0_20block_scan_algorithmE0ELj4294967295EEENS1_25partition_config_selectorILNS1_17partition_subalgoE4EjNS0_10empty_typeEbEEZZNS1_14partition_implILS8_4ELb0ES6_15HIP_vector_typeIjLj2EENS0_17counting_iteratorIjlEEPS9_SG_NS0_5tupleIJPjSI_NS0_16reverse_iteratorISI_EEEEENSH_IJSG_SG_SG_EEES9_SI_JZNS1_25segmented_radix_sort_implINS0_14default_configELb1EPKiPiPKlPlN2at6native12_GLOBAL__N_18offset_tEEE10hipError_tPvRmT1_PNSt15iterator_traitsIS12_E10value_typeET2_T3_PNS13_IS18_E10value_typeET4_jRbjT5_S1E_jjP12ihipStream_tbEUljE_ZNSN_ISO_Lb1ESQ_SR_ST_SU_SY_EESZ_S10_S11_S12_S16_S17_S18_S1B_S1C_jS1D_jS1E_S1E_jjS1G_bEUljE0_EEESZ_S10_S11_S18_S1C_S1E_T6_T7_T9_mT8_S1G_bDpT10_ENKUlT_T0_E_clISt17integral_constantIbLb1EES1U_EEDaS1P_S1Q_EUlS1P_E_NS1_11comp_targetILNS1_3genE4ELNS1_11target_archE910ELNS1_3gpuE8ELNS1_3repE0EEENS1_30default_config_static_selectorELNS0_4arch9wavefront6targetE0EEEvS12_.has_indirect_call, 0
	.section	.AMDGPU.csdata,"",@progbits
; Kernel info:
; codeLenInByte = 0
; TotalNumSgprs: 0
; NumVgprs: 0
; ScratchSize: 0
; MemoryBound: 0
; FloatMode: 240
; IeeeMode: 1
; LDSByteSize: 0 bytes/workgroup (compile time only)
; SGPRBlocks: 0
; VGPRBlocks: 0
; NumSGPRsForWavesPerEU: 1
; NumVGPRsForWavesPerEU: 1
; Occupancy: 16
; WaveLimiterHint : 0
; COMPUTE_PGM_RSRC2:SCRATCH_EN: 0
; COMPUTE_PGM_RSRC2:USER_SGPR: 6
; COMPUTE_PGM_RSRC2:TRAP_HANDLER: 0
; COMPUTE_PGM_RSRC2:TGID_X_EN: 1
; COMPUTE_PGM_RSRC2:TGID_Y_EN: 0
; COMPUTE_PGM_RSRC2:TGID_Z_EN: 0
; COMPUTE_PGM_RSRC2:TIDIG_COMP_CNT: 0
	.section	.text._ZN7rocprim17ROCPRIM_400000_NS6detail17trampoline_kernelINS0_13select_configILj256ELj13ELNS0_17block_load_methodE3ELS4_3ELS4_3ELNS0_20block_scan_algorithmE0ELj4294967295EEENS1_25partition_config_selectorILNS1_17partition_subalgoE4EjNS0_10empty_typeEbEEZZNS1_14partition_implILS8_4ELb0ES6_15HIP_vector_typeIjLj2EENS0_17counting_iteratorIjlEEPS9_SG_NS0_5tupleIJPjSI_NS0_16reverse_iteratorISI_EEEEENSH_IJSG_SG_SG_EEES9_SI_JZNS1_25segmented_radix_sort_implINS0_14default_configELb1EPKiPiPKlPlN2at6native12_GLOBAL__N_18offset_tEEE10hipError_tPvRmT1_PNSt15iterator_traitsIS12_E10value_typeET2_T3_PNS13_IS18_E10value_typeET4_jRbjT5_S1E_jjP12ihipStream_tbEUljE_ZNSN_ISO_Lb1ESQ_SR_ST_SU_SY_EESZ_S10_S11_S12_S16_S17_S18_S1B_S1C_jS1D_jS1E_S1E_jjS1G_bEUljE0_EEESZ_S10_S11_S18_S1C_S1E_T6_T7_T9_mT8_S1G_bDpT10_ENKUlT_T0_E_clISt17integral_constantIbLb1EES1U_EEDaS1P_S1Q_EUlS1P_E_NS1_11comp_targetILNS1_3genE3ELNS1_11target_archE908ELNS1_3gpuE7ELNS1_3repE0EEENS1_30default_config_static_selectorELNS0_4arch9wavefront6targetE0EEEvS12_,"axG",@progbits,_ZN7rocprim17ROCPRIM_400000_NS6detail17trampoline_kernelINS0_13select_configILj256ELj13ELNS0_17block_load_methodE3ELS4_3ELS4_3ELNS0_20block_scan_algorithmE0ELj4294967295EEENS1_25partition_config_selectorILNS1_17partition_subalgoE4EjNS0_10empty_typeEbEEZZNS1_14partition_implILS8_4ELb0ES6_15HIP_vector_typeIjLj2EENS0_17counting_iteratorIjlEEPS9_SG_NS0_5tupleIJPjSI_NS0_16reverse_iteratorISI_EEEEENSH_IJSG_SG_SG_EEES9_SI_JZNS1_25segmented_radix_sort_implINS0_14default_configELb1EPKiPiPKlPlN2at6native12_GLOBAL__N_18offset_tEEE10hipError_tPvRmT1_PNSt15iterator_traitsIS12_E10value_typeET2_T3_PNS13_IS18_E10value_typeET4_jRbjT5_S1E_jjP12ihipStream_tbEUljE_ZNSN_ISO_Lb1ESQ_SR_ST_SU_SY_EESZ_S10_S11_S12_S16_S17_S18_S1B_S1C_jS1D_jS1E_S1E_jjS1G_bEUljE0_EEESZ_S10_S11_S18_S1C_S1E_T6_T7_T9_mT8_S1G_bDpT10_ENKUlT_T0_E_clISt17integral_constantIbLb1EES1U_EEDaS1P_S1Q_EUlS1P_E_NS1_11comp_targetILNS1_3genE3ELNS1_11target_archE908ELNS1_3gpuE7ELNS1_3repE0EEENS1_30default_config_static_selectorELNS0_4arch9wavefront6targetE0EEEvS12_,comdat
	.globl	_ZN7rocprim17ROCPRIM_400000_NS6detail17trampoline_kernelINS0_13select_configILj256ELj13ELNS0_17block_load_methodE3ELS4_3ELS4_3ELNS0_20block_scan_algorithmE0ELj4294967295EEENS1_25partition_config_selectorILNS1_17partition_subalgoE4EjNS0_10empty_typeEbEEZZNS1_14partition_implILS8_4ELb0ES6_15HIP_vector_typeIjLj2EENS0_17counting_iteratorIjlEEPS9_SG_NS0_5tupleIJPjSI_NS0_16reverse_iteratorISI_EEEEENSH_IJSG_SG_SG_EEES9_SI_JZNS1_25segmented_radix_sort_implINS0_14default_configELb1EPKiPiPKlPlN2at6native12_GLOBAL__N_18offset_tEEE10hipError_tPvRmT1_PNSt15iterator_traitsIS12_E10value_typeET2_T3_PNS13_IS18_E10value_typeET4_jRbjT5_S1E_jjP12ihipStream_tbEUljE_ZNSN_ISO_Lb1ESQ_SR_ST_SU_SY_EESZ_S10_S11_S12_S16_S17_S18_S1B_S1C_jS1D_jS1E_S1E_jjS1G_bEUljE0_EEESZ_S10_S11_S18_S1C_S1E_T6_T7_T9_mT8_S1G_bDpT10_ENKUlT_T0_E_clISt17integral_constantIbLb1EES1U_EEDaS1P_S1Q_EUlS1P_E_NS1_11comp_targetILNS1_3genE3ELNS1_11target_archE908ELNS1_3gpuE7ELNS1_3repE0EEENS1_30default_config_static_selectorELNS0_4arch9wavefront6targetE0EEEvS12_ ; -- Begin function _ZN7rocprim17ROCPRIM_400000_NS6detail17trampoline_kernelINS0_13select_configILj256ELj13ELNS0_17block_load_methodE3ELS4_3ELS4_3ELNS0_20block_scan_algorithmE0ELj4294967295EEENS1_25partition_config_selectorILNS1_17partition_subalgoE4EjNS0_10empty_typeEbEEZZNS1_14partition_implILS8_4ELb0ES6_15HIP_vector_typeIjLj2EENS0_17counting_iteratorIjlEEPS9_SG_NS0_5tupleIJPjSI_NS0_16reverse_iteratorISI_EEEEENSH_IJSG_SG_SG_EEES9_SI_JZNS1_25segmented_radix_sort_implINS0_14default_configELb1EPKiPiPKlPlN2at6native12_GLOBAL__N_18offset_tEEE10hipError_tPvRmT1_PNSt15iterator_traitsIS12_E10value_typeET2_T3_PNS13_IS18_E10value_typeET4_jRbjT5_S1E_jjP12ihipStream_tbEUljE_ZNSN_ISO_Lb1ESQ_SR_ST_SU_SY_EESZ_S10_S11_S12_S16_S17_S18_S1B_S1C_jS1D_jS1E_S1E_jjS1G_bEUljE0_EEESZ_S10_S11_S18_S1C_S1E_T6_T7_T9_mT8_S1G_bDpT10_ENKUlT_T0_E_clISt17integral_constantIbLb1EES1U_EEDaS1P_S1Q_EUlS1P_E_NS1_11comp_targetILNS1_3genE3ELNS1_11target_archE908ELNS1_3gpuE7ELNS1_3repE0EEENS1_30default_config_static_selectorELNS0_4arch9wavefront6targetE0EEEvS12_
	.p2align	8
	.type	_ZN7rocprim17ROCPRIM_400000_NS6detail17trampoline_kernelINS0_13select_configILj256ELj13ELNS0_17block_load_methodE3ELS4_3ELS4_3ELNS0_20block_scan_algorithmE0ELj4294967295EEENS1_25partition_config_selectorILNS1_17partition_subalgoE4EjNS0_10empty_typeEbEEZZNS1_14partition_implILS8_4ELb0ES6_15HIP_vector_typeIjLj2EENS0_17counting_iteratorIjlEEPS9_SG_NS0_5tupleIJPjSI_NS0_16reverse_iteratorISI_EEEEENSH_IJSG_SG_SG_EEES9_SI_JZNS1_25segmented_radix_sort_implINS0_14default_configELb1EPKiPiPKlPlN2at6native12_GLOBAL__N_18offset_tEEE10hipError_tPvRmT1_PNSt15iterator_traitsIS12_E10value_typeET2_T3_PNS13_IS18_E10value_typeET4_jRbjT5_S1E_jjP12ihipStream_tbEUljE_ZNSN_ISO_Lb1ESQ_SR_ST_SU_SY_EESZ_S10_S11_S12_S16_S17_S18_S1B_S1C_jS1D_jS1E_S1E_jjS1G_bEUljE0_EEESZ_S10_S11_S18_S1C_S1E_T6_T7_T9_mT8_S1G_bDpT10_ENKUlT_T0_E_clISt17integral_constantIbLb1EES1U_EEDaS1P_S1Q_EUlS1P_E_NS1_11comp_targetILNS1_3genE3ELNS1_11target_archE908ELNS1_3gpuE7ELNS1_3repE0EEENS1_30default_config_static_selectorELNS0_4arch9wavefront6targetE0EEEvS12_,@function
_ZN7rocprim17ROCPRIM_400000_NS6detail17trampoline_kernelINS0_13select_configILj256ELj13ELNS0_17block_load_methodE3ELS4_3ELS4_3ELNS0_20block_scan_algorithmE0ELj4294967295EEENS1_25partition_config_selectorILNS1_17partition_subalgoE4EjNS0_10empty_typeEbEEZZNS1_14partition_implILS8_4ELb0ES6_15HIP_vector_typeIjLj2EENS0_17counting_iteratorIjlEEPS9_SG_NS0_5tupleIJPjSI_NS0_16reverse_iteratorISI_EEEEENSH_IJSG_SG_SG_EEES9_SI_JZNS1_25segmented_radix_sort_implINS0_14default_configELb1EPKiPiPKlPlN2at6native12_GLOBAL__N_18offset_tEEE10hipError_tPvRmT1_PNSt15iterator_traitsIS12_E10value_typeET2_T3_PNS13_IS18_E10value_typeET4_jRbjT5_S1E_jjP12ihipStream_tbEUljE_ZNSN_ISO_Lb1ESQ_SR_ST_SU_SY_EESZ_S10_S11_S12_S16_S17_S18_S1B_S1C_jS1D_jS1E_S1E_jjS1G_bEUljE0_EEESZ_S10_S11_S18_S1C_S1E_T6_T7_T9_mT8_S1G_bDpT10_ENKUlT_T0_E_clISt17integral_constantIbLb1EES1U_EEDaS1P_S1Q_EUlS1P_E_NS1_11comp_targetILNS1_3genE3ELNS1_11target_archE908ELNS1_3gpuE7ELNS1_3repE0EEENS1_30default_config_static_selectorELNS0_4arch9wavefront6targetE0EEEvS12_: ; @_ZN7rocprim17ROCPRIM_400000_NS6detail17trampoline_kernelINS0_13select_configILj256ELj13ELNS0_17block_load_methodE3ELS4_3ELS4_3ELNS0_20block_scan_algorithmE0ELj4294967295EEENS1_25partition_config_selectorILNS1_17partition_subalgoE4EjNS0_10empty_typeEbEEZZNS1_14partition_implILS8_4ELb0ES6_15HIP_vector_typeIjLj2EENS0_17counting_iteratorIjlEEPS9_SG_NS0_5tupleIJPjSI_NS0_16reverse_iteratorISI_EEEEENSH_IJSG_SG_SG_EEES9_SI_JZNS1_25segmented_radix_sort_implINS0_14default_configELb1EPKiPiPKlPlN2at6native12_GLOBAL__N_18offset_tEEE10hipError_tPvRmT1_PNSt15iterator_traitsIS12_E10value_typeET2_T3_PNS13_IS18_E10value_typeET4_jRbjT5_S1E_jjP12ihipStream_tbEUljE_ZNSN_ISO_Lb1ESQ_SR_ST_SU_SY_EESZ_S10_S11_S12_S16_S17_S18_S1B_S1C_jS1D_jS1E_S1E_jjS1G_bEUljE0_EEESZ_S10_S11_S18_S1C_S1E_T6_T7_T9_mT8_S1G_bDpT10_ENKUlT_T0_E_clISt17integral_constantIbLb1EES1U_EEDaS1P_S1Q_EUlS1P_E_NS1_11comp_targetILNS1_3genE3ELNS1_11target_archE908ELNS1_3gpuE7ELNS1_3repE0EEENS1_30default_config_static_selectorELNS0_4arch9wavefront6targetE0EEEvS12_
; %bb.0:
	.section	.rodata,"a",@progbits
	.p2align	6, 0x0
	.amdhsa_kernel _ZN7rocprim17ROCPRIM_400000_NS6detail17trampoline_kernelINS0_13select_configILj256ELj13ELNS0_17block_load_methodE3ELS4_3ELS4_3ELNS0_20block_scan_algorithmE0ELj4294967295EEENS1_25partition_config_selectorILNS1_17partition_subalgoE4EjNS0_10empty_typeEbEEZZNS1_14partition_implILS8_4ELb0ES6_15HIP_vector_typeIjLj2EENS0_17counting_iteratorIjlEEPS9_SG_NS0_5tupleIJPjSI_NS0_16reverse_iteratorISI_EEEEENSH_IJSG_SG_SG_EEES9_SI_JZNS1_25segmented_radix_sort_implINS0_14default_configELb1EPKiPiPKlPlN2at6native12_GLOBAL__N_18offset_tEEE10hipError_tPvRmT1_PNSt15iterator_traitsIS12_E10value_typeET2_T3_PNS13_IS18_E10value_typeET4_jRbjT5_S1E_jjP12ihipStream_tbEUljE_ZNSN_ISO_Lb1ESQ_SR_ST_SU_SY_EESZ_S10_S11_S12_S16_S17_S18_S1B_S1C_jS1D_jS1E_S1E_jjS1G_bEUljE0_EEESZ_S10_S11_S18_S1C_S1E_T6_T7_T9_mT8_S1G_bDpT10_ENKUlT_T0_E_clISt17integral_constantIbLb1EES1U_EEDaS1P_S1Q_EUlS1P_E_NS1_11comp_targetILNS1_3genE3ELNS1_11target_archE908ELNS1_3gpuE7ELNS1_3repE0EEENS1_30default_config_static_selectorELNS0_4arch9wavefront6targetE0EEEvS12_
		.amdhsa_group_segment_fixed_size 0
		.amdhsa_private_segment_fixed_size 0
		.amdhsa_kernarg_size 184
		.amdhsa_user_sgpr_count 6
		.amdhsa_user_sgpr_private_segment_buffer 1
		.amdhsa_user_sgpr_dispatch_ptr 0
		.amdhsa_user_sgpr_queue_ptr 0
		.amdhsa_user_sgpr_kernarg_segment_ptr 1
		.amdhsa_user_sgpr_dispatch_id 0
		.amdhsa_user_sgpr_flat_scratch_init 0
		.amdhsa_user_sgpr_private_segment_size 0
		.amdhsa_wavefront_size32 1
		.amdhsa_uses_dynamic_stack 0
		.amdhsa_system_sgpr_private_segment_wavefront_offset 0
		.amdhsa_system_sgpr_workgroup_id_x 1
		.amdhsa_system_sgpr_workgroup_id_y 0
		.amdhsa_system_sgpr_workgroup_id_z 0
		.amdhsa_system_sgpr_workgroup_info 0
		.amdhsa_system_vgpr_workitem_id 0
		.amdhsa_next_free_vgpr 1
		.amdhsa_next_free_sgpr 1
		.amdhsa_reserve_vcc 0
		.amdhsa_reserve_flat_scratch 0
		.amdhsa_float_round_mode_32 0
		.amdhsa_float_round_mode_16_64 0
		.amdhsa_float_denorm_mode_32 3
		.amdhsa_float_denorm_mode_16_64 3
		.amdhsa_dx10_clamp 1
		.amdhsa_ieee_mode 1
		.amdhsa_fp16_overflow 0
		.amdhsa_workgroup_processor_mode 1
		.amdhsa_memory_ordered 1
		.amdhsa_forward_progress 1
		.amdhsa_shared_vgpr_count 0
		.amdhsa_exception_fp_ieee_invalid_op 0
		.amdhsa_exception_fp_denorm_src 0
		.amdhsa_exception_fp_ieee_div_zero 0
		.amdhsa_exception_fp_ieee_overflow 0
		.amdhsa_exception_fp_ieee_underflow 0
		.amdhsa_exception_fp_ieee_inexact 0
		.amdhsa_exception_int_div_zero 0
	.end_amdhsa_kernel
	.section	.text._ZN7rocprim17ROCPRIM_400000_NS6detail17trampoline_kernelINS0_13select_configILj256ELj13ELNS0_17block_load_methodE3ELS4_3ELS4_3ELNS0_20block_scan_algorithmE0ELj4294967295EEENS1_25partition_config_selectorILNS1_17partition_subalgoE4EjNS0_10empty_typeEbEEZZNS1_14partition_implILS8_4ELb0ES6_15HIP_vector_typeIjLj2EENS0_17counting_iteratorIjlEEPS9_SG_NS0_5tupleIJPjSI_NS0_16reverse_iteratorISI_EEEEENSH_IJSG_SG_SG_EEES9_SI_JZNS1_25segmented_radix_sort_implINS0_14default_configELb1EPKiPiPKlPlN2at6native12_GLOBAL__N_18offset_tEEE10hipError_tPvRmT1_PNSt15iterator_traitsIS12_E10value_typeET2_T3_PNS13_IS18_E10value_typeET4_jRbjT5_S1E_jjP12ihipStream_tbEUljE_ZNSN_ISO_Lb1ESQ_SR_ST_SU_SY_EESZ_S10_S11_S12_S16_S17_S18_S1B_S1C_jS1D_jS1E_S1E_jjS1G_bEUljE0_EEESZ_S10_S11_S18_S1C_S1E_T6_T7_T9_mT8_S1G_bDpT10_ENKUlT_T0_E_clISt17integral_constantIbLb1EES1U_EEDaS1P_S1Q_EUlS1P_E_NS1_11comp_targetILNS1_3genE3ELNS1_11target_archE908ELNS1_3gpuE7ELNS1_3repE0EEENS1_30default_config_static_selectorELNS0_4arch9wavefront6targetE0EEEvS12_,"axG",@progbits,_ZN7rocprim17ROCPRIM_400000_NS6detail17trampoline_kernelINS0_13select_configILj256ELj13ELNS0_17block_load_methodE3ELS4_3ELS4_3ELNS0_20block_scan_algorithmE0ELj4294967295EEENS1_25partition_config_selectorILNS1_17partition_subalgoE4EjNS0_10empty_typeEbEEZZNS1_14partition_implILS8_4ELb0ES6_15HIP_vector_typeIjLj2EENS0_17counting_iteratorIjlEEPS9_SG_NS0_5tupleIJPjSI_NS0_16reverse_iteratorISI_EEEEENSH_IJSG_SG_SG_EEES9_SI_JZNS1_25segmented_radix_sort_implINS0_14default_configELb1EPKiPiPKlPlN2at6native12_GLOBAL__N_18offset_tEEE10hipError_tPvRmT1_PNSt15iterator_traitsIS12_E10value_typeET2_T3_PNS13_IS18_E10value_typeET4_jRbjT5_S1E_jjP12ihipStream_tbEUljE_ZNSN_ISO_Lb1ESQ_SR_ST_SU_SY_EESZ_S10_S11_S12_S16_S17_S18_S1B_S1C_jS1D_jS1E_S1E_jjS1G_bEUljE0_EEESZ_S10_S11_S18_S1C_S1E_T6_T7_T9_mT8_S1G_bDpT10_ENKUlT_T0_E_clISt17integral_constantIbLb1EES1U_EEDaS1P_S1Q_EUlS1P_E_NS1_11comp_targetILNS1_3genE3ELNS1_11target_archE908ELNS1_3gpuE7ELNS1_3repE0EEENS1_30default_config_static_selectorELNS0_4arch9wavefront6targetE0EEEvS12_,comdat
.Lfunc_end440:
	.size	_ZN7rocprim17ROCPRIM_400000_NS6detail17trampoline_kernelINS0_13select_configILj256ELj13ELNS0_17block_load_methodE3ELS4_3ELS4_3ELNS0_20block_scan_algorithmE0ELj4294967295EEENS1_25partition_config_selectorILNS1_17partition_subalgoE4EjNS0_10empty_typeEbEEZZNS1_14partition_implILS8_4ELb0ES6_15HIP_vector_typeIjLj2EENS0_17counting_iteratorIjlEEPS9_SG_NS0_5tupleIJPjSI_NS0_16reverse_iteratorISI_EEEEENSH_IJSG_SG_SG_EEES9_SI_JZNS1_25segmented_radix_sort_implINS0_14default_configELb1EPKiPiPKlPlN2at6native12_GLOBAL__N_18offset_tEEE10hipError_tPvRmT1_PNSt15iterator_traitsIS12_E10value_typeET2_T3_PNS13_IS18_E10value_typeET4_jRbjT5_S1E_jjP12ihipStream_tbEUljE_ZNSN_ISO_Lb1ESQ_SR_ST_SU_SY_EESZ_S10_S11_S12_S16_S17_S18_S1B_S1C_jS1D_jS1E_S1E_jjS1G_bEUljE0_EEESZ_S10_S11_S18_S1C_S1E_T6_T7_T9_mT8_S1G_bDpT10_ENKUlT_T0_E_clISt17integral_constantIbLb1EES1U_EEDaS1P_S1Q_EUlS1P_E_NS1_11comp_targetILNS1_3genE3ELNS1_11target_archE908ELNS1_3gpuE7ELNS1_3repE0EEENS1_30default_config_static_selectorELNS0_4arch9wavefront6targetE0EEEvS12_, .Lfunc_end440-_ZN7rocprim17ROCPRIM_400000_NS6detail17trampoline_kernelINS0_13select_configILj256ELj13ELNS0_17block_load_methodE3ELS4_3ELS4_3ELNS0_20block_scan_algorithmE0ELj4294967295EEENS1_25partition_config_selectorILNS1_17partition_subalgoE4EjNS0_10empty_typeEbEEZZNS1_14partition_implILS8_4ELb0ES6_15HIP_vector_typeIjLj2EENS0_17counting_iteratorIjlEEPS9_SG_NS0_5tupleIJPjSI_NS0_16reverse_iteratorISI_EEEEENSH_IJSG_SG_SG_EEES9_SI_JZNS1_25segmented_radix_sort_implINS0_14default_configELb1EPKiPiPKlPlN2at6native12_GLOBAL__N_18offset_tEEE10hipError_tPvRmT1_PNSt15iterator_traitsIS12_E10value_typeET2_T3_PNS13_IS18_E10value_typeET4_jRbjT5_S1E_jjP12ihipStream_tbEUljE_ZNSN_ISO_Lb1ESQ_SR_ST_SU_SY_EESZ_S10_S11_S12_S16_S17_S18_S1B_S1C_jS1D_jS1E_S1E_jjS1G_bEUljE0_EEESZ_S10_S11_S18_S1C_S1E_T6_T7_T9_mT8_S1G_bDpT10_ENKUlT_T0_E_clISt17integral_constantIbLb1EES1U_EEDaS1P_S1Q_EUlS1P_E_NS1_11comp_targetILNS1_3genE3ELNS1_11target_archE908ELNS1_3gpuE7ELNS1_3repE0EEENS1_30default_config_static_selectorELNS0_4arch9wavefront6targetE0EEEvS12_
                                        ; -- End function
	.set _ZN7rocprim17ROCPRIM_400000_NS6detail17trampoline_kernelINS0_13select_configILj256ELj13ELNS0_17block_load_methodE3ELS4_3ELS4_3ELNS0_20block_scan_algorithmE0ELj4294967295EEENS1_25partition_config_selectorILNS1_17partition_subalgoE4EjNS0_10empty_typeEbEEZZNS1_14partition_implILS8_4ELb0ES6_15HIP_vector_typeIjLj2EENS0_17counting_iteratorIjlEEPS9_SG_NS0_5tupleIJPjSI_NS0_16reverse_iteratorISI_EEEEENSH_IJSG_SG_SG_EEES9_SI_JZNS1_25segmented_radix_sort_implINS0_14default_configELb1EPKiPiPKlPlN2at6native12_GLOBAL__N_18offset_tEEE10hipError_tPvRmT1_PNSt15iterator_traitsIS12_E10value_typeET2_T3_PNS13_IS18_E10value_typeET4_jRbjT5_S1E_jjP12ihipStream_tbEUljE_ZNSN_ISO_Lb1ESQ_SR_ST_SU_SY_EESZ_S10_S11_S12_S16_S17_S18_S1B_S1C_jS1D_jS1E_S1E_jjS1G_bEUljE0_EEESZ_S10_S11_S18_S1C_S1E_T6_T7_T9_mT8_S1G_bDpT10_ENKUlT_T0_E_clISt17integral_constantIbLb1EES1U_EEDaS1P_S1Q_EUlS1P_E_NS1_11comp_targetILNS1_3genE3ELNS1_11target_archE908ELNS1_3gpuE7ELNS1_3repE0EEENS1_30default_config_static_selectorELNS0_4arch9wavefront6targetE0EEEvS12_.num_vgpr, 0
	.set _ZN7rocprim17ROCPRIM_400000_NS6detail17trampoline_kernelINS0_13select_configILj256ELj13ELNS0_17block_load_methodE3ELS4_3ELS4_3ELNS0_20block_scan_algorithmE0ELj4294967295EEENS1_25partition_config_selectorILNS1_17partition_subalgoE4EjNS0_10empty_typeEbEEZZNS1_14partition_implILS8_4ELb0ES6_15HIP_vector_typeIjLj2EENS0_17counting_iteratorIjlEEPS9_SG_NS0_5tupleIJPjSI_NS0_16reverse_iteratorISI_EEEEENSH_IJSG_SG_SG_EEES9_SI_JZNS1_25segmented_radix_sort_implINS0_14default_configELb1EPKiPiPKlPlN2at6native12_GLOBAL__N_18offset_tEEE10hipError_tPvRmT1_PNSt15iterator_traitsIS12_E10value_typeET2_T3_PNS13_IS18_E10value_typeET4_jRbjT5_S1E_jjP12ihipStream_tbEUljE_ZNSN_ISO_Lb1ESQ_SR_ST_SU_SY_EESZ_S10_S11_S12_S16_S17_S18_S1B_S1C_jS1D_jS1E_S1E_jjS1G_bEUljE0_EEESZ_S10_S11_S18_S1C_S1E_T6_T7_T9_mT8_S1G_bDpT10_ENKUlT_T0_E_clISt17integral_constantIbLb1EES1U_EEDaS1P_S1Q_EUlS1P_E_NS1_11comp_targetILNS1_3genE3ELNS1_11target_archE908ELNS1_3gpuE7ELNS1_3repE0EEENS1_30default_config_static_selectorELNS0_4arch9wavefront6targetE0EEEvS12_.num_agpr, 0
	.set _ZN7rocprim17ROCPRIM_400000_NS6detail17trampoline_kernelINS0_13select_configILj256ELj13ELNS0_17block_load_methodE3ELS4_3ELS4_3ELNS0_20block_scan_algorithmE0ELj4294967295EEENS1_25partition_config_selectorILNS1_17partition_subalgoE4EjNS0_10empty_typeEbEEZZNS1_14partition_implILS8_4ELb0ES6_15HIP_vector_typeIjLj2EENS0_17counting_iteratorIjlEEPS9_SG_NS0_5tupleIJPjSI_NS0_16reverse_iteratorISI_EEEEENSH_IJSG_SG_SG_EEES9_SI_JZNS1_25segmented_radix_sort_implINS0_14default_configELb1EPKiPiPKlPlN2at6native12_GLOBAL__N_18offset_tEEE10hipError_tPvRmT1_PNSt15iterator_traitsIS12_E10value_typeET2_T3_PNS13_IS18_E10value_typeET4_jRbjT5_S1E_jjP12ihipStream_tbEUljE_ZNSN_ISO_Lb1ESQ_SR_ST_SU_SY_EESZ_S10_S11_S12_S16_S17_S18_S1B_S1C_jS1D_jS1E_S1E_jjS1G_bEUljE0_EEESZ_S10_S11_S18_S1C_S1E_T6_T7_T9_mT8_S1G_bDpT10_ENKUlT_T0_E_clISt17integral_constantIbLb1EES1U_EEDaS1P_S1Q_EUlS1P_E_NS1_11comp_targetILNS1_3genE3ELNS1_11target_archE908ELNS1_3gpuE7ELNS1_3repE0EEENS1_30default_config_static_selectorELNS0_4arch9wavefront6targetE0EEEvS12_.numbered_sgpr, 0
	.set _ZN7rocprim17ROCPRIM_400000_NS6detail17trampoline_kernelINS0_13select_configILj256ELj13ELNS0_17block_load_methodE3ELS4_3ELS4_3ELNS0_20block_scan_algorithmE0ELj4294967295EEENS1_25partition_config_selectorILNS1_17partition_subalgoE4EjNS0_10empty_typeEbEEZZNS1_14partition_implILS8_4ELb0ES6_15HIP_vector_typeIjLj2EENS0_17counting_iteratorIjlEEPS9_SG_NS0_5tupleIJPjSI_NS0_16reverse_iteratorISI_EEEEENSH_IJSG_SG_SG_EEES9_SI_JZNS1_25segmented_radix_sort_implINS0_14default_configELb1EPKiPiPKlPlN2at6native12_GLOBAL__N_18offset_tEEE10hipError_tPvRmT1_PNSt15iterator_traitsIS12_E10value_typeET2_T3_PNS13_IS18_E10value_typeET4_jRbjT5_S1E_jjP12ihipStream_tbEUljE_ZNSN_ISO_Lb1ESQ_SR_ST_SU_SY_EESZ_S10_S11_S12_S16_S17_S18_S1B_S1C_jS1D_jS1E_S1E_jjS1G_bEUljE0_EEESZ_S10_S11_S18_S1C_S1E_T6_T7_T9_mT8_S1G_bDpT10_ENKUlT_T0_E_clISt17integral_constantIbLb1EES1U_EEDaS1P_S1Q_EUlS1P_E_NS1_11comp_targetILNS1_3genE3ELNS1_11target_archE908ELNS1_3gpuE7ELNS1_3repE0EEENS1_30default_config_static_selectorELNS0_4arch9wavefront6targetE0EEEvS12_.num_named_barrier, 0
	.set _ZN7rocprim17ROCPRIM_400000_NS6detail17trampoline_kernelINS0_13select_configILj256ELj13ELNS0_17block_load_methodE3ELS4_3ELS4_3ELNS0_20block_scan_algorithmE0ELj4294967295EEENS1_25partition_config_selectorILNS1_17partition_subalgoE4EjNS0_10empty_typeEbEEZZNS1_14partition_implILS8_4ELb0ES6_15HIP_vector_typeIjLj2EENS0_17counting_iteratorIjlEEPS9_SG_NS0_5tupleIJPjSI_NS0_16reverse_iteratorISI_EEEEENSH_IJSG_SG_SG_EEES9_SI_JZNS1_25segmented_radix_sort_implINS0_14default_configELb1EPKiPiPKlPlN2at6native12_GLOBAL__N_18offset_tEEE10hipError_tPvRmT1_PNSt15iterator_traitsIS12_E10value_typeET2_T3_PNS13_IS18_E10value_typeET4_jRbjT5_S1E_jjP12ihipStream_tbEUljE_ZNSN_ISO_Lb1ESQ_SR_ST_SU_SY_EESZ_S10_S11_S12_S16_S17_S18_S1B_S1C_jS1D_jS1E_S1E_jjS1G_bEUljE0_EEESZ_S10_S11_S18_S1C_S1E_T6_T7_T9_mT8_S1G_bDpT10_ENKUlT_T0_E_clISt17integral_constantIbLb1EES1U_EEDaS1P_S1Q_EUlS1P_E_NS1_11comp_targetILNS1_3genE3ELNS1_11target_archE908ELNS1_3gpuE7ELNS1_3repE0EEENS1_30default_config_static_selectorELNS0_4arch9wavefront6targetE0EEEvS12_.private_seg_size, 0
	.set _ZN7rocprim17ROCPRIM_400000_NS6detail17trampoline_kernelINS0_13select_configILj256ELj13ELNS0_17block_load_methodE3ELS4_3ELS4_3ELNS0_20block_scan_algorithmE0ELj4294967295EEENS1_25partition_config_selectorILNS1_17partition_subalgoE4EjNS0_10empty_typeEbEEZZNS1_14partition_implILS8_4ELb0ES6_15HIP_vector_typeIjLj2EENS0_17counting_iteratorIjlEEPS9_SG_NS0_5tupleIJPjSI_NS0_16reverse_iteratorISI_EEEEENSH_IJSG_SG_SG_EEES9_SI_JZNS1_25segmented_radix_sort_implINS0_14default_configELb1EPKiPiPKlPlN2at6native12_GLOBAL__N_18offset_tEEE10hipError_tPvRmT1_PNSt15iterator_traitsIS12_E10value_typeET2_T3_PNS13_IS18_E10value_typeET4_jRbjT5_S1E_jjP12ihipStream_tbEUljE_ZNSN_ISO_Lb1ESQ_SR_ST_SU_SY_EESZ_S10_S11_S12_S16_S17_S18_S1B_S1C_jS1D_jS1E_S1E_jjS1G_bEUljE0_EEESZ_S10_S11_S18_S1C_S1E_T6_T7_T9_mT8_S1G_bDpT10_ENKUlT_T0_E_clISt17integral_constantIbLb1EES1U_EEDaS1P_S1Q_EUlS1P_E_NS1_11comp_targetILNS1_3genE3ELNS1_11target_archE908ELNS1_3gpuE7ELNS1_3repE0EEENS1_30default_config_static_selectorELNS0_4arch9wavefront6targetE0EEEvS12_.uses_vcc, 0
	.set _ZN7rocprim17ROCPRIM_400000_NS6detail17trampoline_kernelINS0_13select_configILj256ELj13ELNS0_17block_load_methodE3ELS4_3ELS4_3ELNS0_20block_scan_algorithmE0ELj4294967295EEENS1_25partition_config_selectorILNS1_17partition_subalgoE4EjNS0_10empty_typeEbEEZZNS1_14partition_implILS8_4ELb0ES6_15HIP_vector_typeIjLj2EENS0_17counting_iteratorIjlEEPS9_SG_NS0_5tupleIJPjSI_NS0_16reverse_iteratorISI_EEEEENSH_IJSG_SG_SG_EEES9_SI_JZNS1_25segmented_radix_sort_implINS0_14default_configELb1EPKiPiPKlPlN2at6native12_GLOBAL__N_18offset_tEEE10hipError_tPvRmT1_PNSt15iterator_traitsIS12_E10value_typeET2_T3_PNS13_IS18_E10value_typeET4_jRbjT5_S1E_jjP12ihipStream_tbEUljE_ZNSN_ISO_Lb1ESQ_SR_ST_SU_SY_EESZ_S10_S11_S12_S16_S17_S18_S1B_S1C_jS1D_jS1E_S1E_jjS1G_bEUljE0_EEESZ_S10_S11_S18_S1C_S1E_T6_T7_T9_mT8_S1G_bDpT10_ENKUlT_T0_E_clISt17integral_constantIbLb1EES1U_EEDaS1P_S1Q_EUlS1P_E_NS1_11comp_targetILNS1_3genE3ELNS1_11target_archE908ELNS1_3gpuE7ELNS1_3repE0EEENS1_30default_config_static_selectorELNS0_4arch9wavefront6targetE0EEEvS12_.uses_flat_scratch, 0
	.set _ZN7rocprim17ROCPRIM_400000_NS6detail17trampoline_kernelINS0_13select_configILj256ELj13ELNS0_17block_load_methodE3ELS4_3ELS4_3ELNS0_20block_scan_algorithmE0ELj4294967295EEENS1_25partition_config_selectorILNS1_17partition_subalgoE4EjNS0_10empty_typeEbEEZZNS1_14partition_implILS8_4ELb0ES6_15HIP_vector_typeIjLj2EENS0_17counting_iteratorIjlEEPS9_SG_NS0_5tupleIJPjSI_NS0_16reverse_iteratorISI_EEEEENSH_IJSG_SG_SG_EEES9_SI_JZNS1_25segmented_radix_sort_implINS0_14default_configELb1EPKiPiPKlPlN2at6native12_GLOBAL__N_18offset_tEEE10hipError_tPvRmT1_PNSt15iterator_traitsIS12_E10value_typeET2_T3_PNS13_IS18_E10value_typeET4_jRbjT5_S1E_jjP12ihipStream_tbEUljE_ZNSN_ISO_Lb1ESQ_SR_ST_SU_SY_EESZ_S10_S11_S12_S16_S17_S18_S1B_S1C_jS1D_jS1E_S1E_jjS1G_bEUljE0_EEESZ_S10_S11_S18_S1C_S1E_T6_T7_T9_mT8_S1G_bDpT10_ENKUlT_T0_E_clISt17integral_constantIbLb1EES1U_EEDaS1P_S1Q_EUlS1P_E_NS1_11comp_targetILNS1_3genE3ELNS1_11target_archE908ELNS1_3gpuE7ELNS1_3repE0EEENS1_30default_config_static_selectorELNS0_4arch9wavefront6targetE0EEEvS12_.has_dyn_sized_stack, 0
	.set _ZN7rocprim17ROCPRIM_400000_NS6detail17trampoline_kernelINS0_13select_configILj256ELj13ELNS0_17block_load_methodE3ELS4_3ELS4_3ELNS0_20block_scan_algorithmE0ELj4294967295EEENS1_25partition_config_selectorILNS1_17partition_subalgoE4EjNS0_10empty_typeEbEEZZNS1_14partition_implILS8_4ELb0ES6_15HIP_vector_typeIjLj2EENS0_17counting_iteratorIjlEEPS9_SG_NS0_5tupleIJPjSI_NS0_16reverse_iteratorISI_EEEEENSH_IJSG_SG_SG_EEES9_SI_JZNS1_25segmented_radix_sort_implINS0_14default_configELb1EPKiPiPKlPlN2at6native12_GLOBAL__N_18offset_tEEE10hipError_tPvRmT1_PNSt15iterator_traitsIS12_E10value_typeET2_T3_PNS13_IS18_E10value_typeET4_jRbjT5_S1E_jjP12ihipStream_tbEUljE_ZNSN_ISO_Lb1ESQ_SR_ST_SU_SY_EESZ_S10_S11_S12_S16_S17_S18_S1B_S1C_jS1D_jS1E_S1E_jjS1G_bEUljE0_EEESZ_S10_S11_S18_S1C_S1E_T6_T7_T9_mT8_S1G_bDpT10_ENKUlT_T0_E_clISt17integral_constantIbLb1EES1U_EEDaS1P_S1Q_EUlS1P_E_NS1_11comp_targetILNS1_3genE3ELNS1_11target_archE908ELNS1_3gpuE7ELNS1_3repE0EEENS1_30default_config_static_selectorELNS0_4arch9wavefront6targetE0EEEvS12_.has_recursion, 0
	.set _ZN7rocprim17ROCPRIM_400000_NS6detail17trampoline_kernelINS0_13select_configILj256ELj13ELNS0_17block_load_methodE3ELS4_3ELS4_3ELNS0_20block_scan_algorithmE0ELj4294967295EEENS1_25partition_config_selectorILNS1_17partition_subalgoE4EjNS0_10empty_typeEbEEZZNS1_14partition_implILS8_4ELb0ES6_15HIP_vector_typeIjLj2EENS0_17counting_iteratorIjlEEPS9_SG_NS0_5tupleIJPjSI_NS0_16reverse_iteratorISI_EEEEENSH_IJSG_SG_SG_EEES9_SI_JZNS1_25segmented_radix_sort_implINS0_14default_configELb1EPKiPiPKlPlN2at6native12_GLOBAL__N_18offset_tEEE10hipError_tPvRmT1_PNSt15iterator_traitsIS12_E10value_typeET2_T3_PNS13_IS18_E10value_typeET4_jRbjT5_S1E_jjP12ihipStream_tbEUljE_ZNSN_ISO_Lb1ESQ_SR_ST_SU_SY_EESZ_S10_S11_S12_S16_S17_S18_S1B_S1C_jS1D_jS1E_S1E_jjS1G_bEUljE0_EEESZ_S10_S11_S18_S1C_S1E_T6_T7_T9_mT8_S1G_bDpT10_ENKUlT_T0_E_clISt17integral_constantIbLb1EES1U_EEDaS1P_S1Q_EUlS1P_E_NS1_11comp_targetILNS1_3genE3ELNS1_11target_archE908ELNS1_3gpuE7ELNS1_3repE0EEENS1_30default_config_static_selectorELNS0_4arch9wavefront6targetE0EEEvS12_.has_indirect_call, 0
	.section	.AMDGPU.csdata,"",@progbits
; Kernel info:
; codeLenInByte = 0
; TotalNumSgprs: 0
; NumVgprs: 0
; ScratchSize: 0
; MemoryBound: 0
; FloatMode: 240
; IeeeMode: 1
; LDSByteSize: 0 bytes/workgroup (compile time only)
; SGPRBlocks: 0
; VGPRBlocks: 0
; NumSGPRsForWavesPerEU: 1
; NumVGPRsForWavesPerEU: 1
; Occupancy: 16
; WaveLimiterHint : 0
; COMPUTE_PGM_RSRC2:SCRATCH_EN: 0
; COMPUTE_PGM_RSRC2:USER_SGPR: 6
; COMPUTE_PGM_RSRC2:TRAP_HANDLER: 0
; COMPUTE_PGM_RSRC2:TGID_X_EN: 1
; COMPUTE_PGM_RSRC2:TGID_Y_EN: 0
; COMPUTE_PGM_RSRC2:TGID_Z_EN: 0
; COMPUTE_PGM_RSRC2:TIDIG_COMP_CNT: 0
	.section	.text._ZN7rocprim17ROCPRIM_400000_NS6detail17trampoline_kernelINS0_13select_configILj256ELj13ELNS0_17block_load_methodE3ELS4_3ELS4_3ELNS0_20block_scan_algorithmE0ELj4294967295EEENS1_25partition_config_selectorILNS1_17partition_subalgoE4EjNS0_10empty_typeEbEEZZNS1_14partition_implILS8_4ELb0ES6_15HIP_vector_typeIjLj2EENS0_17counting_iteratorIjlEEPS9_SG_NS0_5tupleIJPjSI_NS0_16reverse_iteratorISI_EEEEENSH_IJSG_SG_SG_EEES9_SI_JZNS1_25segmented_radix_sort_implINS0_14default_configELb1EPKiPiPKlPlN2at6native12_GLOBAL__N_18offset_tEEE10hipError_tPvRmT1_PNSt15iterator_traitsIS12_E10value_typeET2_T3_PNS13_IS18_E10value_typeET4_jRbjT5_S1E_jjP12ihipStream_tbEUljE_ZNSN_ISO_Lb1ESQ_SR_ST_SU_SY_EESZ_S10_S11_S12_S16_S17_S18_S1B_S1C_jS1D_jS1E_S1E_jjS1G_bEUljE0_EEESZ_S10_S11_S18_S1C_S1E_T6_T7_T9_mT8_S1G_bDpT10_ENKUlT_T0_E_clISt17integral_constantIbLb1EES1U_EEDaS1P_S1Q_EUlS1P_E_NS1_11comp_targetILNS1_3genE2ELNS1_11target_archE906ELNS1_3gpuE6ELNS1_3repE0EEENS1_30default_config_static_selectorELNS0_4arch9wavefront6targetE0EEEvS12_,"axG",@progbits,_ZN7rocprim17ROCPRIM_400000_NS6detail17trampoline_kernelINS0_13select_configILj256ELj13ELNS0_17block_load_methodE3ELS4_3ELS4_3ELNS0_20block_scan_algorithmE0ELj4294967295EEENS1_25partition_config_selectorILNS1_17partition_subalgoE4EjNS0_10empty_typeEbEEZZNS1_14partition_implILS8_4ELb0ES6_15HIP_vector_typeIjLj2EENS0_17counting_iteratorIjlEEPS9_SG_NS0_5tupleIJPjSI_NS0_16reverse_iteratorISI_EEEEENSH_IJSG_SG_SG_EEES9_SI_JZNS1_25segmented_radix_sort_implINS0_14default_configELb1EPKiPiPKlPlN2at6native12_GLOBAL__N_18offset_tEEE10hipError_tPvRmT1_PNSt15iterator_traitsIS12_E10value_typeET2_T3_PNS13_IS18_E10value_typeET4_jRbjT5_S1E_jjP12ihipStream_tbEUljE_ZNSN_ISO_Lb1ESQ_SR_ST_SU_SY_EESZ_S10_S11_S12_S16_S17_S18_S1B_S1C_jS1D_jS1E_S1E_jjS1G_bEUljE0_EEESZ_S10_S11_S18_S1C_S1E_T6_T7_T9_mT8_S1G_bDpT10_ENKUlT_T0_E_clISt17integral_constantIbLb1EES1U_EEDaS1P_S1Q_EUlS1P_E_NS1_11comp_targetILNS1_3genE2ELNS1_11target_archE906ELNS1_3gpuE6ELNS1_3repE0EEENS1_30default_config_static_selectorELNS0_4arch9wavefront6targetE0EEEvS12_,comdat
	.globl	_ZN7rocprim17ROCPRIM_400000_NS6detail17trampoline_kernelINS0_13select_configILj256ELj13ELNS0_17block_load_methodE3ELS4_3ELS4_3ELNS0_20block_scan_algorithmE0ELj4294967295EEENS1_25partition_config_selectorILNS1_17partition_subalgoE4EjNS0_10empty_typeEbEEZZNS1_14partition_implILS8_4ELb0ES6_15HIP_vector_typeIjLj2EENS0_17counting_iteratorIjlEEPS9_SG_NS0_5tupleIJPjSI_NS0_16reverse_iteratorISI_EEEEENSH_IJSG_SG_SG_EEES9_SI_JZNS1_25segmented_radix_sort_implINS0_14default_configELb1EPKiPiPKlPlN2at6native12_GLOBAL__N_18offset_tEEE10hipError_tPvRmT1_PNSt15iterator_traitsIS12_E10value_typeET2_T3_PNS13_IS18_E10value_typeET4_jRbjT5_S1E_jjP12ihipStream_tbEUljE_ZNSN_ISO_Lb1ESQ_SR_ST_SU_SY_EESZ_S10_S11_S12_S16_S17_S18_S1B_S1C_jS1D_jS1E_S1E_jjS1G_bEUljE0_EEESZ_S10_S11_S18_S1C_S1E_T6_T7_T9_mT8_S1G_bDpT10_ENKUlT_T0_E_clISt17integral_constantIbLb1EES1U_EEDaS1P_S1Q_EUlS1P_E_NS1_11comp_targetILNS1_3genE2ELNS1_11target_archE906ELNS1_3gpuE6ELNS1_3repE0EEENS1_30default_config_static_selectorELNS0_4arch9wavefront6targetE0EEEvS12_ ; -- Begin function _ZN7rocprim17ROCPRIM_400000_NS6detail17trampoline_kernelINS0_13select_configILj256ELj13ELNS0_17block_load_methodE3ELS4_3ELS4_3ELNS0_20block_scan_algorithmE0ELj4294967295EEENS1_25partition_config_selectorILNS1_17partition_subalgoE4EjNS0_10empty_typeEbEEZZNS1_14partition_implILS8_4ELb0ES6_15HIP_vector_typeIjLj2EENS0_17counting_iteratorIjlEEPS9_SG_NS0_5tupleIJPjSI_NS0_16reverse_iteratorISI_EEEEENSH_IJSG_SG_SG_EEES9_SI_JZNS1_25segmented_radix_sort_implINS0_14default_configELb1EPKiPiPKlPlN2at6native12_GLOBAL__N_18offset_tEEE10hipError_tPvRmT1_PNSt15iterator_traitsIS12_E10value_typeET2_T3_PNS13_IS18_E10value_typeET4_jRbjT5_S1E_jjP12ihipStream_tbEUljE_ZNSN_ISO_Lb1ESQ_SR_ST_SU_SY_EESZ_S10_S11_S12_S16_S17_S18_S1B_S1C_jS1D_jS1E_S1E_jjS1G_bEUljE0_EEESZ_S10_S11_S18_S1C_S1E_T6_T7_T9_mT8_S1G_bDpT10_ENKUlT_T0_E_clISt17integral_constantIbLb1EES1U_EEDaS1P_S1Q_EUlS1P_E_NS1_11comp_targetILNS1_3genE2ELNS1_11target_archE906ELNS1_3gpuE6ELNS1_3repE0EEENS1_30default_config_static_selectorELNS0_4arch9wavefront6targetE0EEEvS12_
	.p2align	8
	.type	_ZN7rocprim17ROCPRIM_400000_NS6detail17trampoline_kernelINS0_13select_configILj256ELj13ELNS0_17block_load_methodE3ELS4_3ELS4_3ELNS0_20block_scan_algorithmE0ELj4294967295EEENS1_25partition_config_selectorILNS1_17partition_subalgoE4EjNS0_10empty_typeEbEEZZNS1_14partition_implILS8_4ELb0ES6_15HIP_vector_typeIjLj2EENS0_17counting_iteratorIjlEEPS9_SG_NS0_5tupleIJPjSI_NS0_16reverse_iteratorISI_EEEEENSH_IJSG_SG_SG_EEES9_SI_JZNS1_25segmented_radix_sort_implINS0_14default_configELb1EPKiPiPKlPlN2at6native12_GLOBAL__N_18offset_tEEE10hipError_tPvRmT1_PNSt15iterator_traitsIS12_E10value_typeET2_T3_PNS13_IS18_E10value_typeET4_jRbjT5_S1E_jjP12ihipStream_tbEUljE_ZNSN_ISO_Lb1ESQ_SR_ST_SU_SY_EESZ_S10_S11_S12_S16_S17_S18_S1B_S1C_jS1D_jS1E_S1E_jjS1G_bEUljE0_EEESZ_S10_S11_S18_S1C_S1E_T6_T7_T9_mT8_S1G_bDpT10_ENKUlT_T0_E_clISt17integral_constantIbLb1EES1U_EEDaS1P_S1Q_EUlS1P_E_NS1_11comp_targetILNS1_3genE2ELNS1_11target_archE906ELNS1_3gpuE6ELNS1_3repE0EEENS1_30default_config_static_selectorELNS0_4arch9wavefront6targetE0EEEvS12_,@function
_ZN7rocprim17ROCPRIM_400000_NS6detail17trampoline_kernelINS0_13select_configILj256ELj13ELNS0_17block_load_methodE3ELS4_3ELS4_3ELNS0_20block_scan_algorithmE0ELj4294967295EEENS1_25partition_config_selectorILNS1_17partition_subalgoE4EjNS0_10empty_typeEbEEZZNS1_14partition_implILS8_4ELb0ES6_15HIP_vector_typeIjLj2EENS0_17counting_iteratorIjlEEPS9_SG_NS0_5tupleIJPjSI_NS0_16reverse_iteratorISI_EEEEENSH_IJSG_SG_SG_EEES9_SI_JZNS1_25segmented_radix_sort_implINS0_14default_configELb1EPKiPiPKlPlN2at6native12_GLOBAL__N_18offset_tEEE10hipError_tPvRmT1_PNSt15iterator_traitsIS12_E10value_typeET2_T3_PNS13_IS18_E10value_typeET4_jRbjT5_S1E_jjP12ihipStream_tbEUljE_ZNSN_ISO_Lb1ESQ_SR_ST_SU_SY_EESZ_S10_S11_S12_S16_S17_S18_S1B_S1C_jS1D_jS1E_S1E_jjS1G_bEUljE0_EEESZ_S10_S11_S18_S1C_S1E_T6_T7_T9_mT8_S1G_bDpT10_ENKUlT_T0_E_clISt17integral_constantIbLb1EES1U_EEDaS1P_S1Q_EUlS1P_E_NS1_11comp_targetILNS1_3genE2ELNS1_11target_archE906ELNS1_3gpuE6ELNS1_3repE0EEENS1_30default_config_static_selectorELNS0_4arch9wavefront6targetE0EEEvS12_: ; @_ZN7rocprim17ROCPRIM_400000_NS6detail17trampoline_kernelINS0_13select_configILj256ELj13ELNS0_17block_load_methodE3ELS4_3ELS4_3ELNS0_20block_scan_algorithmE0ELj4294967295EEENS1_25partition_config_selectorILNS1_17partition_subalgoE4EjNS0_10empty_typeEbEEZZNS1_14partition_implILS8_4ELb0ES6_15HIP_vector_typeIjLj2EENS0_17counting_iteratorIjlEEPS9_SG_NS0_5tupleIJPjSI_NS0_16reverse_iteratorISI_EEEEENSH_IJSG_SG_SG_EEES9_SI_JZNS1_25segmented_radix_sort_implINS0_14default_configELb1EPKiPiPKlPlN2at6native12_GLOBAL__N_18offset_tEEE10hipError_tPvRmT1_PNSt15iterator_traitsIS12_E10value_typeET2_T3_PNS13_IS18_E10value_typeET4_jRbjT5_S1E_jjP12ihipStream_tbEUljE_ZNSN_ISO_Lb1ESQ_SR_ST_SU_SY_EESZ_S10_S11_S12_S16_S17_S18_S1B_S1C_jS1D_jS1E_S1E_jjS1G_bEUljE0_EEESZ_S10_S11_S18_S1C_S1E_T6_T7_T9_mT8_S1G_bDpT10_ENKUlT_T0_E_clISt17integral_constantIbLb1EES1U_EEDaS1P_S1Q_EUlS1P_E_NS1_11comp_targetILNS1_3genE2ELNS1_11target_archE906ELNS1_3gpuE6ELNS1_3repE0EEENS1_30default_config_static_selectorELNS0_4arch9wavefront6targetE0EEEvS12_
; %bb.0:
	.section	.rodata,"a",@progbits
	.p2align	6, 0x0
	.amdhsa_kernel _ZN7rocprim17ROCPRIM_400000_NS6detail17trampoline_kernelINS0_13select_configILj256ELj13ELNS0_17block_load_methodE3ELS4_3ELS4_3ELNS0_20block_scan_algorithmE0ELj4294967295EEENS1_25partition_config_selectorILNS1_17partition_subalgoE4EjNS0_10empty_typeEbEEZZNS1_14partition_implILS8_4ELb0ES6_15HIP_vector_typeIjLj2EENS0_17counting_iteratorIjlEEPS9_SG_NS0_5tupleIJPjSI_NS0_16reverse_iteratorISI_EEEEENSH_IJSG_SG_SG_EEES9_SI_JZNS1_25segmented_radix_sort_implINS0_14default_configELb1EPKiPiPKlPlN2at6native12_GLOBAL__N_18offset_tEEE10hipError_tPvRmT1_PNSt15iterator_traitsIS12_E10value_typeET2_T3_PNS13_IS18_E10value_typeET4_jRbjT5_S1E_jjP12ihipStream_tbEUljE_ZNSN_ISO_Lb1ESQ_SR_ST_SU_SY_EESZ_S10_S11_S12_S16_S17_S18_S1B_S1C_jS1D_jS1E_S1E_jjS1G_bEUljE0_EEESZ_S10_S11_S18_S1C_S1E_T6_T7_T9_mT8_S1G_bDpT10_ENKUlT_T0_E_clISt17integral_constantIbLb1EES1U_EEDaS1P_S1Q_EUlS1P_E_NS1_11comp_targetILNS1_3genE2ELNS1_11target_archE906ELNS1_3gpuE6ELNS1_3repE0EEENS1_30default_config_static_selectorELNS0_4arch9wavefront6targetE0EEEvS12_
		.amdhsa_group_segment_fixed_size 0
		.amdhsa_private_segment_fixed_size 0
		.amdhsa_kernarg_size 184
		.amdhsa_user_sgpr_count 6
		.amdhsa_user_sgpr_private_segment_buffer 1
		.amdhsa_user_sgpr_dispatch_ptr 0
		.amdhsa_user_sgpr_queue_ptr 0
		.amdhsa_user_sgpr_kernarg_segment_ptr 1
		.amdhsa_user_sgpr_dispatch_id 0
		.amdhsa_user_sgpr_flat_scratch_init 0
		.amdhsa_user_sgpr_private_segment_size 0
		.amdhsa_wavefront_size32 1
		.amdhsa_uses_dynamic_stack 0
		.amdhsa_system_sgpr_private_segment_wavefront_offset 0
		.amdhsa_system_sgpr_workgroup_id_x 1
		.amdhsa_system_sgpr_workgroup_id_y 0
		.amdhsa_system_sgpr_workgroup_id_z 0
		.amdhsa_system_sgpr_workgroup_info 0
		.amdhsa_system_vgpr_workitem_id 0
		.amdhsa_next_free_vgpr 1
		.amdhsa_next_free_sgpr 1
		.amdhsa_reserve_vcc 0
		.amdhsa_reserve_flat_scratch 0
		.amdhsa_float_round_mode_32 0
		.amdhsa_float_round_mode_16_64 0
		.amdhsa_float_denorm_mode_32 3
		.amdhsa_float_denorm_mode_16_64 3
		.amdhsa_dx10_clamp 1
		.amdhsa_ieee_mode 1
		.amdhsa_fp16_overflow 0
		.amdhsa_workgroup_processor_mode 1
		.amdhsa_memory_ordered 1
		.amdhsa_forward_progress 1
		.amdhsa_shared_vgpr_count 0
		.amdhsa_exception_fp_ieee_invalid_op 0
		.amdhsa_exception_fp_denorm_src 0
		.amdhsa_exception_fp_ieee_div_zero 0
		.amdhsa_exception_fp_ieee_overflow 0
		.amdhsa_exception_fp_ieee_underflow 0
		.amdhsa_exception_fp_ieee_inexact 0
		.amdhsa_exception_int_div_zero 0
	.end_amdhsa_kernel
	.section	.text._ZN7rocprim17ROCPRIM_400000_NS6detail17trampoline_kernelINS0_13select_configILj256ELj13ELNS0_17block_load_methodE3ELS4_3ELS4_3ELNS0_20block_scan_algorithmE0ELj4294967295EEENS1_25partition_config_selectorILNS1_17partition_subalgoE4EjNS0_10empty_typeEbEEZZNS1_14partition_implILS8_4ELb0ES6_15HIP_vector_typeIjLj2EENS0_17counting_iteratorIjlEEPS9_SG_NS0_5tupleIJPjSI_NS0_16reverse_iteratorISI_EEEEENSH_IJSG_SG_SG_EEES9_SI_JZNS1_25segmented_radix_sort_implINS0_14default_configELb1EPKiPiPKlPlN2at6native12_GLOBAL__N_18offset_tEEE10hipError_tPvRmT1_PNSt15iterator_traitsIS12_E10value_typeET2_T3_PNS13_IS18_E10value_typeET4_jRbjT5_S1E_jjP12ihipStream_tbEUljE_ZNSN_ISO_Lb1ESQ_SR_ST_SU_SY_EESZ_S10_S11_S12_S16_S17_S18_S1B_S1C_jS1D_jS1E_S1E_jjS1G_bEUljE0_EEESZ_S10_S11_S18_S1C_S1E_T6_T7_T9_mT8_S1G_bDpT10_ENKUlT_T0_E_clISt17integral_constantIbLb1EES1U_EEDaS1P_S1Q_EUlS1P_E_NS1_11comp_targetILNS1_3genE2ELNS1_11target_archE906ELNS1_3gpuE6ELNS1_3repE0EEENS1_30default_config_static_selectorELNS0_4arch9wavefront6targetE0EEEvS12_,"axG",@progbits,_ZN7rocprim17ROCPRIM_400000_NS6detail17trampoline_kernelINS0_13select_configILj256ELj13ELNS0_17block_load_methodE3ELS4_3ELS4_3ELNS0_20block_scan_algorithmE0ELj4294967295EEENS1_25partition_config_selectorILNS1_17partition_subalgoE4EjNS0_10empty_typeEbEEZZNS1_14partition_implILS8_4ELb0ES6_15HIP_vector_typeIjLj2EENS0_17counting_iteratorIjlEEPS9_SG_NS0_5tupleIJPjSI_NS0_16reverse_iteratorISI_EEEEENSH_IJSG_SG_SG_EEES9_SI_JZNS1_25segmented_radix_sort_implINS0_14default_configELb1EPKiPiPKlPlN2at6native12_GLOBAL__N_18offset_tEEE10hipError_tPvRmT1_PNSt15iterator_traitsIS12_E10value_typeET2_T3_PNS13_IS18_E10value_typeET4_jRbjT5_S1E_jjP12ihipStream_tbEUljE_ZNSN_ISO_Lb1ESQ_SR_ST_SU_SY_EESZ_S10_S11_S12_S16_S17_S18_S1B_S1C_jS1D_jS1E_S1E_jjS1G_bEUljE0_EEESZ_S10_S11_S18_S1C_S1E_T6_T7_T9_mT8_S1G_bDpT10_ENKUlT_T0_E_clISt17integral_constantIbLb1EES1U_EEDaS1P_S1Q_EUlS1P_E_NS1_11comp_targetILNS1_3genE2ELNS1_11target_archE906ELNS1_3gpuE6ELNS1_3repE0EEENS1_30default_config_static_selectorELNS0_4arch9wavefront6targetE0EEEvS12_,comdat
.Lfunc_end441:
	.size	_ZN7rocprim17ROCPRIM_400000_NS6detail17trampoline_kernelINS0_13select_configILj256ELj13ELNS0_17block_load_methodE3ELS4_3ELS4_3ELNS0_20block_scan_algorithmE0ELj4294967295EEENS1_25partition_config_selectorILNS1_17partition_subalgoE4EjNS0_10empty_typeEbEEZZNS1_14partition_implILS8_4ELb0ES6_15HIP_vector_typeIjLj2EENS0_17counting_iteratorIjlEEPS9_SG_NS0_5tupleIJPjSI_NS0_16reverse_iteratorISI_EEEEENSH_IJSG_SG_SG_EEES9_SI_JZNS1_25segmented_radix_sort_implINS0_14default_configELb1EPKiPiPKlPlN2at6native12_GLOBAL__N_18offset_tEEE10hipError_tPvRmT1_PNSt15iterator_traitsIS12_E10value_typeET2_T3_PNS13_IS18_E10value_typeET4_jRbjT5_S1E_jjP12ihipStream_tbEUljE_ZNSN_ISO_Lb1ESQ_SR_ST_SU_SY_EESZ_S10_S11_S12_S16_S17_S18_S1B_S1C_jS1D_jS1E_S1E_jjS1G_bEUljE0_EEESZ_S10_S11_S18_S1C_S1E_T6_T7_T9_mT8_S1G_bDpT10_ENKUlT_T0_E_clISt17integral_constantIbLb1EES1U_EEDaS1P_S1Q_EUlS1P_E_NS1_11comp_targetILNS1_3genE2ELNS1_11target_archE906ELNS1_3gpuE6ELNS1_3repE0EEENS1_30default_config_static_selectorELNS0_4arch9wavefront6targetE0EEEvS12_, .Lfunc_end441-_ZN7rocprim17ROCPRIM_400000_NS6detail17trampoline_kernelINS0_13select_configILj256ELj13ELNS0_17block_load_methodE3ELS4_3ELS4_3ELNS0_20block_scan_algorithmE0ELj4294967295EEENS1_25partition_config_selectorILNS1_17partition_subalgoE4EjNS0_10empty_typeEbEEZZNS1_14partition_implILS8_4ELb0ES6_15HIP_vector_typeIjLj2EENS0_17counting_iteratorIjlEEPS9_SG_NS0_5tupleIJPjSI_NS0_16reverse_iteratorISI_EEEEENSH_IJSG_SG_SG_EEES9_SI_JZNS1_25segmented_radix_sort_implINS0_14default_configELb1EPKiPiPKlPlN2at6native12_GLOBAL__N_18offset_tEEE10hipError_tPvRmT1_PNSt15iterator_traitsIS12_E10value_typeET2_T3_PNS13_IS18_E10value_typeET4_jRbjT5_S1E_jjP12ihipStream_tbEUljE_ZNSN_ISO_Lb1ESQ_SR_ST_SU_SY_EESZ_S10_S11_S12_S16_S17_S18_S1B_S1C_jS1D_jS1E_S1E_jjS1G_bEUljE0_EEESZ_S10_S11_S18_S1C_S1E_T6_T7_T9_mT8_S1G_bDpT10_ENKUlT_T0_E_clISt17integral_constantIbLb1EES1U_EEDaS1P_S1Q_EUlS1P_E_NS1_11comp_targetILNS1_3genE2ELNS1_11target_archE906ELNS1_3gpuE6ELNS1_3repE0EEENS1_30default_config_static_selectorELNS0_4arch9wavefront6targetE0EEEvS12_
                                        ; -- End function
	.set _ZN7rocprim17ROCPRIM_400000_NS6detail17trampoline_kernelINS0_13select_configILj256ELj13ELNS0_17block_load_methodE3ELS4_3ELS4_3ELNS0_20block_scan_algorithmE0ELj4294967295EEENS1_25partition_config_selectorILNS1_17partition_subalgoE4EjNS0_10empty_typeEbEEZZNS1_14partition_implILS8_4ELb0ES6_15HIP_vector_typeIjLj2EENS0_17counting_iteratorIjlEEPS9_SG_NS0_5tupleIJPjSI_NS0_16reverse_iteratorISI_EEEEENSH_IJSG_SG_SG_EEES9_SI_JZNS1_25segmented_radix_sort_implINS0_14default_configELb1EPKiPiPKlPlN2at6native12_GLOBAL__N_18offset_tEEE10hipError_tPvRmT1_PNSt15iterator_traitsIS12_E10value_typeET2_T3_PNS13_IS18_E10value_typeET4_jRbjT5_S1E_jjP12ihipStream_tbEUljE_ZNSN_ISO_Lb1ESQ_SR_ST_SU_SY_EESZ_S10_S11_S12_S16_S17_S18_S1B_S1C_jS1D_jS1E_S1E_jjS1G_bEUljE0_EEESZ_S10_S11_S18_S1C_S1E_T6_T7_T9_mT8_S1G_bDpT10_ENKUlT_T0_E_clISt17integral_constantIbLb1EES1U_EEDaS1P_S1Q_EUlS1P_E_NS1_11comp_targetILNS1_3genE2ELNS1_11target_archE906ELNS1_3gpuE6ELNS1_3repE0EEENS1_30default_config_static_selectorELNS0_4arch9wavefront6targetE0EEEvS12_.num_vgpr, 0
	.set _ZN7rocprim17ROCPRIM_400000_NS6detail17trampoline_kernelINS0_13select_configILj256ELj13ELNS0_17block_load_methodE3ELS4_3ELS4_3ELNS0_20block_scan_algorithmE0ELj4294967295EEENS1_25partition_config_selectorILNS1_17partition_subalgoE4EjNS0_10empty_typeEbEEZZNS1_14partition_implILS8_4ELb0ES6_15HIP_vector_typeIjLj2EENS0_17counting_iteratorIjlEEPS9_SG_NS0_5tupleIJPjSI_NS0_16reverse_iteratorISI_EEEEENSH_IJSG_SG_SG_EEES9_SI_JZNS1_25segmented_radix_sort_implINS0_14default_configELb1EPKiPiPKlPlN2at6native12_GLOBAL__N_18offset_tEEE10hipError_tPvRmT1_PNSt15iterator_traitsIS12_E10value_typeET2_T3_PNS13_IS18_E10value_typeET4_jRbjT5_S1E_jjP12ihipStream_tbEUljE_ZNSN_ISO_Lb1ESQ_SR_ST_SU_SY_EESZ_S10_S11_S12_S16_S17_S18_S1B_S1C_jS1D_jS1E_S1E_jjS1G_bEUljE0_EEESZ_S10_S11_S18_S1C_S1E_T6_T7_T9_mT8_S1G_bDpT10_ENKUlT_T0_E_clISt17integral_constantIbLb1EES1U_EEDaS1P_S1Q_EUlS1P_E_NS1_11comp_targetILNS1_3genE2ELNS1_11target_archE906ELNS1_3gpuE6ELNS1_3repE0EEENS1_30default_config_static_selectorELNS0_4arch9wavefront6targetE0EEEvS12_.num_agpr, 0
	.set _ZN7rocprim17ROCPRIM_400000_NS6detail17trampoline_kernelINS0_13select_configILj256ELj13ELNS0_17block_load_methodE3ELS4_3ELS4_3ELNS0_20block_scan_algorithmE0ELj4294967295EEENS1_25partition_config_selectorILNS1_17partition_subalgoE4EjNS0_10empty_typeEbEEZZNS1_14partition_implILS8_4ELb0ES6_15HIP_vector_typeIjLj2EENS0_17counting_iteratorIjlEEPS9_SG_NS0_5tupleIJPjSI_NS0_16reverse_iteratorISI_EEEEENSH_IJSG_SG_SG_EEES9_SI_JZNS1_25segmented_radix_sort_implINS0_14default_configELb1EPKiPiPKlPlN2at6native12_GLOBAL__N_18offset_tEEE10hipError_tPvRmT1_PNSt15iterator_traitsIS12_E10value_typeET2_T3_PNS13_IS18_E10value_typeET4_jRbjT5_S1E_jjP12ihipStream_tbEUljE_ZNSN_ISO_Lb1ESQ_SR_ST_SU_SY_EESZ_S10_S11_S12_S16_S17_S18_S1B_S1C_jS1D_jS1E_S1E_jjS1G_bEUljE0_EEESZ_S10_S11_S18_S1C_S1E_T6_T7_T9_mT8_S1G_bDpT10_ENKUlT_T0_E_clISt17integral_constantIbLb1EES1U_EEDaS1P_S1Q_EUlS1P_E_NS1_11comp_targetILNS1_3genE2ELNS1_11target_archE906ELNS1_3gpuE6ELNS1_3repE0EEENS1_30default_config_static_selectorELNS0_4arch9wavefront6targetE0EEEvS12_.numbered_sgpr, 0
	.set _ZN7rocprim17ROCPRIM_400000_NS6detail17trampoline_kernelINS0_13select_configILj256ELj13ELNS0_17block_load_methodE3ELS4_3ELS4_3ELNS0_20block_scan_algorithmE0ELj4294967295EEENS1_25partition_config_selectorILNS1_17partition_subalgoE4EjNS0_10empty_typeEbEEZZNS1_14partition_implILS8_4ELb0ES6_15HIP_vector_typeIjLj2EENS0_17counting_iteratorIjlEEPS9_SG_NS0_5tupleIJPjSI_NS0_16reverse_iteratorISI_EEEEENSH_IJSG_SG_SG_EEES9_SI_JZNS1_25segmented_radix_sort_implINS0_14default_configELb1EPKiPiPKlPlN2at6native12_GLOBAL__N_18offset_tEEE10hipError_tPvRmT1_PNSt15iterator_traitsIS12_E10value_typeET2_T3_PNS13_IS18_E10value_typeET4_jRbjT5_S1E_jjP12ihipStream_tbEUljE_ZNSN_ISO_Lb1ESQ_SR_ST_SU_SY_EESZ_S10_S11_S12_S16_S17_S18_S1B_S1C_jS1D_jS1E_S1E_jjS1G_bEUljE0_EEESZ_S10_S11_S18_S1C_S1E_T6_T7_T9_mT8_S1G_bDpT10_ENKUlT_T0_E_clISt17integral_constantIbLb1EES1U_EEDaS1P_S1Q_EUlS1P_E_NS1_11comp_targetILNS1_3genE2ELNS1_11target_archE906ELNS1_3gpuE6ELNS1_3repE0EEENS1_30default_config_static_selectorELNS0_4arch9wavefront6targetE0EEEvS12_.num_named_barrier, 0
	.set _ZN7rocprim17ROCPRIM_400000_NS6detail17trampoline_kernelINS0_13select_configILj256ELj13ELNS0_17block_load_methodE3ELS4_3ELS4_3ELNS0_20block_scan_algorithmE0ELj4294967295EEENS1_25partition_config_selectorILNS1_17partition_subalgoE4EjNS0_10empty_typeEbEEZZNS1_14partition_implILS8_4ELb0ES6_15HIP_vector_typeIjLj2EENS0_17counting_iteratorIjlEEPS9_SG_NS0_5tupleIJPjSI_NS0_16reverse_iteratorISI_EEEEENSH_IJSG_SG_SG_EEES9_SI_JZNS1_25segmented_radix_sort_implINS0_14default_configELb1EPKiPiPKlPlN2at6native12_GLOBAL__N_18offset_tEEE10hipError_tPvRmT1_PNSt15iterator_traitsIS12_E10value_typeET2_T3_PNS13_IS18_E10value_typeET4_jRbjT5_S1E_jjP12ihipStream_tbEUljE_ZNSN_ISO_Lb1ESQ_SR_ST_SU_SY_EESZ_S10_S11_S12_S16_S17_S18_S1B_S1C_jS1D_jS1E_S1E_jjS1G_bEUljE0_EEESZ_S10_S11_S18_S1C_S1E_T6_T7_T9_mT8_S1G_bDpT10_ENKUlT_T0_E_clISt17integral_constantIbLb1EES1U_EEDaS1P_S1Q_EUlS1P_E_NS1_11comp_targetILNS1_3genE2ELNS1_11target_archE906ELNS1_3gpuE6ELNS1_3repE0EEENS1_30default_config_static_selectorELNS0_4arch9wavefront6targetE0EEEvS12_.private_seg_size, 0
	.set _ZN7rocprim17ROCPRIM_400000_NS6detail17trampoline_kernelINS0_13select_configILj256ELj13ELNS0_17block_load_methodE3ELS4_3ELS4_3ELNS0_20block_scan_algorithmE0ELj4294967295EEENS1_25partition_config_selectorILNS1_17partition_subalgoE4EjNS0_10empty_typeEbEEZZNS1_14partition_implILS8_4ELb0ES6_15HIP_vector_typeIjLj2EENS0_17counting_iteratorIjlEEPS9_SG_NS0_5tupleIJPjSI_NS0_16reverse_iteratorISI_EEEEENSH_IJSG_SG_SG_EEES9_SI_JZNS1_25segmented_radix_sort_implINS0_14default_configELb1EPKiPiPKlPlN2at6native12_GLOBAL__N_18offset_tEEE10hipError_tPvRmT1_PNSt15iterator_traitsIS12_E10value_typeET2_T3_PNS13_IS18_E10value_typeET4_jRbjT5_S1E_jjP12ihipStream_tbEUljE_ZNSN_ISO_Lb1ESQ_SR_ST_SU_SY_EESZ_S10_S11_S12_S16_S17_S18_S1B_S1C_jS1D_jS1E_S1E_jjS1G_bEUljE0_EEESZ_S10_S11_S18_S1C_S1E_T6_T7_T9_mT8_S1G_bDpT10_ENKUlT_T0_E_clISt17integral_constantIbLb1EES1U_EEDaS1P_S1Q_EUlS1P_E_NS1_11comp_targetILNS1_3genE2ELNS1_11target_archE906ELNS1_3gpuE6ELNS1_3repE0EEENS1_30default_config_static_selectorELNS0_4arch9wavefront6targetE0EEEvS12_.uses_vcc, 0
	.set _ZN7rocprim17ROCPRIM_400000_NS6detail17trampoline_kernelINS0_13select_configILj256ELj13ELNS0_17block_load_methodE3ELS4_3ELS4_3ELNS0_20block_scan_algorithmE0ELj4294967295EEENS1_25partition_config_selectorILNS1_17partition_subalgoE4EjNS0_10empty_typeEbEEZZNS1_14partition_implILS8_4ELb0ES6_15HIP_vector_typeIjLj2EENS0_17counting_iteratorIjlEEPS9_SG_NS0_5tupleIJPjSI_NS0_16reverse_iteratorISI_EEEEENSH_IJSG_SG_SG_EEES9_SI_JZNS1_25segmented_radix_sort_implINS0_14default_configELb1EPKiPiPKlPlN2at6native12_GLOBAL__N_18offset_tEEE10hipError_tPvRmT1_PNSt15iterator_traitsIS12_E10value_typeET2_T3_PNS13_IS18_E10value_typeET4_jRbjT5_S1E_jjP12ihipStream_tbEUljE_ZNSN_ISO_Lb1ESQ_SR_ST_SU_SY_EESZ_S10_S11_S12_S16_S17_S18_S1B_S1C_jS1D_jS1E_S1E_jjS1G_bEUljE0_EEESZ_S10_S11_S18_S1C_S1E_T6_T7_T9_mT8_S1G_bDpT10_ENKUlT_T0_E_clISt17integral_constantIbLb1EES1U_EEDaS1P_S1Q_EUlS1P_E_NS1_11comp_targetILNS1_3genE2ELNS1_11target_archE906ELNS1_3gpuE6ELNS1_3repE0EEENS1_30default_config_static_selectorELNS0_4arch9wavefront6targetE0EEEvS12_.uses_flat_scratch, 0
	.set _ZN7rocprim17ROCPRIM_400000_NS6detail17trampoline_kernelINS0_13select_configILj256ELj13ELNS0_17block_load_methodE3ELS4_3ELS4_3ELNS0_20block_scan_algorithmE0ELj4294967295EEENS1_25partition_config_selectorILNS1_17partition_subalgoE4EjNS0_10empty_typeEbEEZZNS1_14partition_implILS8_4ELb0ES6_15HIP_vector_typeIjLj2EENS0_17counting_iteratorIjlEEPS9_SG_NS0_5tupleIJPjSI_NS0_16reverse_iteratorISI_EEEEENSH_IJSG_SG_SG_EEES9_SI_JZNS1_25segmented_radix_sort_implINS0_14default_configELb1EPKiPiPKlPlN2at6native12_GLOBAL__N_18offset_tEEE10hipError_tPvRmT1_PNSt15iterator_traitsIS12_E10value_typeET2_T3_PNS13_IS18_E10value_typeET4_jRbjT5_S1E_jjP12ihipStream_tbEUljE_ZNSN_ISO_Lb1ESQ_SR_ST_SU_SY_EESZ_S10_S11_S12_S16_S17_S18_S1B_S1C_jS1D_jS1E_S1E_jjS1G_bEUljE0_EEESZ_S10_S11_S18_S1C_S1E_T6_T7_T9_mT8_S1G_bDpT10_ENKUlT_T0_E_clISt17integral_constantIbLb1EES1U_EEDaS1P_S1Q_EUlS1P_E_NS1_11comp_targetILNS1_3genE2ELNS1_11target_archE906ELNS1_3gpuE6ELNS1_3repE0EEENS1_30default_config_static_selectorELNS0_4arch9wavefront6targetE0EEEvS12_.has_dyn_sized_stack, 0
	.set _ZN7rocprim17ROCPRIM_400000_NS6detail17trampoline_kernelINS0_13select_configILj256ELj13ELNS0_17block_load_methodE3ELS4_3ELS4_3ELNS0_20block_scan_algorithmE0ELj4294967295EEENS1_25partition_config_selectorILNS1_17partition_subalgoE4EjNS0_10empty_typeEbEEZZNS1_14partition_implILS8_4ELb0ES6_15HIP_vector_typeIjLj2EENS0_17counting_iteratorIjlEEPS9_SG_NS0_5tupleIJPjSI_NS0_16reverse_iteratorISI_EEEEENSH_IJSG_SG_SG_EEES9_SI_JZNS1_25segmented_radix_sort_implINS0_14default_configELb1EPKiPiPKlPlN2at6native12_GLOBAL__N_18offset_tEEE10hipError_tPvRmT1_PNSt15iterator_traitsIS12_E10value_typeET2_T3_PNS13_IS18_E10value_typeET4_jRbjT5_S1E_jjP12ihipStream_tbEUljE_ZNSN_ISO_Lb1ESQ_SR_ST_SU_SY_EESZ_S10_S11_S12_S16_S17_S18_S1B_S1C_jS1D_jS1E_S1E_jjS1G_bEUljE0_EEESZ_S10_S11_S18_S1C_S1E_T6_T7_T9_mT8_S1G_bDpT10_ENKUlT_T0_E_clISt17integral_constantIbLb1EES1U_EEDaS1P_S1Q_EUlS1P_E_NS1_11comp_targetILNS1_3genE2ELNS1_11target_archE906ELNS1_3gpuE6ELNS1_3repE0EEENS1_30default_config_static_selectorELNS0_4arch9wavefront6targetE0EEEvS12_.has_recursion, 0
	.set _ZN7rocprim17ROCPRIM_400000_NS6detail17trampoline_kernelINS0_13select_configILj256ELj13ELNS0_17block_load_methodE3ELS4_3ELS4_3ELNS0_20block_scan_algorithmE0ELj4294967295EEENS1_25partition_config_selectorILNS1_17partition_subalgoE4EjNS0_10empty_typeEbEEZZNS1_14partition_implILS8_4ELb0ES6_15HIP_vector_typeIjLj2EENS0_17counting_iteratorIjlEEPS9_SG_NS0_5tupleIJPjSI_NS0_16reverse_iteratorISI_EEEEENSH_IJSG_SG_SG_EEES9_SI_JZNS1_25segmented_radix_sort_implINS0_14default_configELb1EPKiPiPKlPlN2at6native12_GLOBAL__N_18offset_tEEE10hipError_tPvRmT1_PNSt15iterator_traitsIS12_E10value_typeET2_T3_PNS13_IS18_E10value_typeET4_jRbjT5_S1E_jjP12ihipStream_tbEUljE_ZNSN_ISO_Lb1ESQ_SR_ST_SU_SY_EESZ_S10_S11_S12_S16_S17_S18_S1B_S1C_jS1D_jS1E_S1E_jjS1G_bEUljE0_EEESZ_S10_S11_S18_S1C_S1E_T6_T7_T9_mT8_S1G_bDpT10_ENKUlT_T0_E_clISt17integral_constantIbLb1EES1U_EEDaS1P_S1Q_EUlS1P_E_NS1_11comp_targetILNS1_3genE2ELNS1_11target_archE906ELNS1_3gpuE6ELNS1_3repE0EEENS1_30default_config_static_selectorELNS0_4arch9wavefront6targetE0EEEvS12_.has_indirect_call, 0
	.section	.AMDGPU.csdata,"",@progbits
; Kernel info:
; codeLenInByte = 0
; TotalNumSgprs: 0
; NumVgprs: 0
; ScratchSize: 0
; MemoryBound: 0
; FloatMode: 240
; IeeeMode: 1
; LDSByteSize: 0 bytes/workgroup (compile time only)
; SGPRBlocks: 0
; VGPRBlocks: 0
; NumSGPRsForWavesPerEU: 1
; NumVGPRsForWavesPerEU: 1
; Occupancy: 16
; WaveLimiterHint : 0
; COMPUTE_PGM_RSRC2:SCRATCH_EN: 0
; COMPUTE_PGM_RSRC2:USER_SGPR: 6
; COMPUTE_PGM_RSRC2:TRAP_HANDLER: 0
; COMPUTE_PGM_RSRC2:TGID_X_EN: 1
; COMPUTE_PGM_RSRC2:TGID_Y_EN: 0
; COMPUTE_PGM_RSRC2:TGID_Z_EN: 0
; COMPUTE_PGM_RSRC2:TIDIG_COMP_CNT: 0
	.section	.text._ZN7rocprim17ROCPRIM_400000_NS6detail17trampoline_kernelINS0_13select_configILj256ELj13ELNS0_17block_load_methodE3ELS4_3ELS4_3ELNS0_20block_scan_algorithmE0ELj4294967295EEENS1_25partition_config_selectorILNS1_17partition_subalgoE4EjNS0_10empty_typeEbEEZZNS1_14partition_implILS8_4ELb0ES6_15HIP_vector_typeIjLj2EENS0_17counting_iteratorIjlEEPS9_SG_NS0_5tupleIJPjSI_NS0_16reverse_iteratorISI_EEEEENSH_IJSG_SG_SG_EEES9_SI_JZNS1_25segmented_radix_sort_implINS0_14default_configELb1EPKiPiPKlPlN2at6native12_GLOBAL__N_18offset_tEEE10hipError_tPvRmT1_PNSt15iterator_traitsIS12_E10value_typeET2_T3_PNS13_IS18_E10value_typeET4_jRbjT5_S1E_jjP12ihipStream_tbEUljE_ZNSN_ISO_Lb1ESQ_SR_ST_SU_SY_EESZ_S10_S11_S12_S16_S17_S18_S1B_S1C_jS1D_jS1E_S1E_jjS1G_bEUljE0_EEESZ_S10_S11_S18_S1C_S1E_T6_T7_T9_mT8_S1G_bDpT10_ENKUlT_T0_E_clISt17integral_constantIbLb1EES1U_EEDaS1P_S1Q_EUlS1P_E_NS1_11comp_targetILNS1_3genE10ELNS1_11target_archE1200ELNS1_3gpuE4ELNS1_3repE0EEENS1_30default_config_static_selectorELNS0_4arch9wavefront6targetE0EEEvS12_,"axG",@progbits,_ZN7rocprim17ROCPRIM_400000_NS6detail17trampoline_kernelINS0_13select_configILj256ELj13ELNS0_17block_load_methodE3ELS4_3ELS4_3ELNS0_20block_scan_algorithmE0ELj4294967295EEENS1_25partition_config_selectorILNS1_17partition_subalgoE4EjNS0_10empty_typeEbEEZZNS1_14partition_implILS8_4ELb0ES6_15HIP_vector_typeIjLj2EENS0_17counting_iteratorIjlEEPS9_SG_NS0_5tupleIJPjSI_NS0_16reverse_iteratorISI_EEEEENSH_IJSG_SG_SG_EEES9_SI_JZNS1_25segmented_radix_sort_implINS0_14default_configELb1EPKiPiPKlPlN2at6native12_GLOBAL__N_18offset_tEEE10hipError_tPvRmT1_PNSt15iterator_traitsIS12_E10value_typeET2_T3_PNS13_IS18_E10value_typeET4_jRbjT5_S1E_jjP12ihipStream_tbEUljE_ZNSN_ISO_Lb1ESQ_SR_ST_SU_SY_EESZ_S10_S11_S12_S16_S17_S18_S1B_S1C_jS1D_jS1E_S1E_jjS1G_bEUljE0_EEESZ_S10_S11_S18_S1C_S1E_T6_T7_T9_mT8_S1G_bDpT10_ENKUlT_T0_E_clISt17integral_constantIbLb1EES1U_EEDaS1P_S1Q_EUlS1P_E_NS1_11comp_targetILNS1_3genE10ELNS1_11target_archE1200ELNS1_3gpuE4ELNS1_3repE0EEENS1_30default_config_static_selectorELNS0_4arch9wavefront6targetE0EEEvS12_,comdat
	.globl	_ZN7rocprim17ROCPRIM_400000_NS6detail17trampoline_kernelINS0_13select_configILj256ELj13ELNS0_17block_load_methodE3ELS4_3ELS4_3ELNS0_20block_scan_algorithmE0ELj4294967295EEENS1_25partition_config_selectorILNS1_17partition_subalgoE4EjNS0_10empty_typeEbEEZZNS1_14partition_implILS8_4ELb0ES6_15HIP_vector_typeIjLj2EENS0_17counting_iteratorIjlEEPS9_SG_NS0_5tupleIJPjSI_NS0_16reverse_iteratorISI_EEEEENSH_IJSG_SG_SG_EEES9_SI_JZNS1_25segmented_radix_sort_implINS0_14default_configELb1EPKiPiPKlPlN2at6native12_GLOBAL__N_18offset_tEEE10hipError_tPvRmT1_PNSt15iterator_traitsIS12_E10value_typeET2_T3_PNS13_IS18_E10value_typeET4_jRbjT5_S1E_jjP12ihipStream_tbEUljE_ZNSN_ISO_Lb1ESQ_SR_ST_SU_SY_EESZ_S10_S11_S12_S16_S17_S18_S1B_S1C_jS1D_jS1E_S1E_jjS1G_bEUljE0_EEESZ_S10_S11_S18_S1C_S1E_T6_T7_T9_mT8_S1G_bDpT10_ENKUlT_T0_E_clISt17integral_constantIbLb1EES1U_EEDaS1P_S1Q_EUlS1P_E_NS1_11comp_targetILNS1_3genE10ELNS1_11target_archE1200ELNS1_3gpuE4ELNS1_3repE0EEENS1_30default_config_static_selectorELNS0_4arch9wavefront6targetE0EEEvS12_ ; -- Begin function _ZN7rocprim17ROCPRIM_400000_NS6detail17trampoline_kernelINS0_13select_configILj256ELj13ELNS0_17block_load_methodE3ELS4_3ELS4_3ELNS0_20block_scan_algorithmE0ELj4294967295EEENS1_25partition_config_selectorILNS1_17partition_subalgoE4EjNS0_10empty_typeEbEEZZNS1_14partition_implILS8_4ELb0ES6_15HIP_vector_typeIjLj2EENS0_17counting_iteratorIjlEEPS9_SG_NS0_5tupleIJPjSI_NS0_16reverse_iteratorISI_EEEEENSH_IJSG_SG_SG_EEES9_SI_JZNS1_25segmented_radix_sort_implINS0_14default_configELb1EPKiPiPKlPlN2at6native12_GLOBAL__N_18offset_tEEE10hipError_tPvRmT1_PNSt15iterator_traitsIS12_E10value_typeET2_T3_PNS13_IS18_E10value_typeET4_jRbjT5_S1E_jjP12ihipStream_tbEUljE_ZNSN_ISO_Lb1ESQ_SR_ST_SU_SY_EESZ_S10_S11_S12_S16_S17_S18_S1B_S1C_jS1D_jS1E_S1E_jjS1G_bEUljE0_EEESZ_S10_S11_S18_S1C_S1E_T6_T7_T9_mT8_S1G_bDpT10_ENKUlT_T0_E_clISt17integral_constantIbLb1EES1U_EEDaS1P_S1Q_EUlS1P_E_NS1_11comp_targetILNS1_3genE10ELNS1_11target_archE1200ELNS1_3gpuE4ELNS1_3repE0EEENS1_30default_config_static_selectorELNS0_4arch9wavefront6targetE0EEEvS12_
	.p2align	8
	.type	_ZN7rocprim17ROCPRIM_400000_NS6detail17trampoline_kernelINS0_13select_configILj256ELj13ELNS0_17block_load_methodE3ELS4_3ELS4_3ELNS0_20block_scan_algorithmE0ELj4294967295EEENS1_25partition_config_selectorILNS1_17partition_subalgoE4EjNS0_10empty_typeEbEEZZNS1_14partition_implILS8_4ELb0ES6_15HIP_vector_typeIjLj2EENS0_17counting_iteratorIjlEEPS9_SG_NS0_5tupleIJPjSI_NS0_16reverse_iteratorISI_EEEEENSH_IJSG_SG_SG_EEES9_SI_JZNS1_25segmented_radix_sort_implINS0_14default_configELb1EPKiPiPKlPlN2at6native12_GLOBAL__N_18offset_tEEE10hipError_tPvRmT1_PNSt15iterator_traitsIS12_E10value_typeET2_T3_PNS13_IS18_E10value_typeET4_jRbjT5_S1E_jjP12ihipStream_tbEUljE_ZNSN_ISO_Lb1ESQ_SR_ST_SU_SY_EESZ_S10_S11_S12_S16_S17_S18_S1B_S1C_jS1D_jS1E_S1E_jjS1G_bEUljE0_EEESZ_S10_S11_S18_S1C_S1E_T6_T7_T9_mT8_S1G_bDpT10_ENKUlT_T0_E_clISt17integral_constantIbLb1EES1U_EEDaS1P_S1Q_EUlS1P_E_NS1_11comp_targetILNS1_3genE10ELNS1_11target_archE1200ELNS1_3gpuE4ELNS1_3repE0EEENS1_30default_config_static_selectorELNS0_4arch9wavefront6targetE0EEEvS12_,@function
_ZN7rocprim17ROCPRIM_400000_NS6detail17trampoline_kernelINS0_13select_configILj256ELj13ELNS0_17block_load_methodE3ELS4_3ELS4_3ELNS0_20block_scan_algorithmE0ELj4294967295EEENS1_25partition_config_selectorILNS1_17partition_subalgoE4EjNS0_10empty_typeEbEEZZNS1_14partition_implILS8_4ELb0ES6_15HIP_vector_typeIjLj2EENS0_17counting_iteratorIjlEEPS9_SG_NS0_5tupleIJPjSI_NS0_16reverse_iteratorISI_EEEEENSH_IJSG_SG_SG_EEES9_SI_JZNS1_25segmented_radix_sort_implINS0_14default_configELb1EPKiPiPKlPlN2at6native12_GLOBAL__N_18offset_tEEE10hipError_tPvRmT1_PNSt15iterator_traitsIS12_E10value_typeET2_T3_PNS13_IS18_E10value_typeET4_jRbjT5_S1E_jjP12ihipStream_tbEUljE_ZNSN_ISO_Lb1ESQ_SR_ST_SU_SY_EESZ_S10_S11_S12_S16_S17_S18_S1B_S1C_jS1D_jS1E_S1E_jjS1G_bEUljE0_EEESZ_S10_S11_S18_S1C_S1E_T6_T7_T9_mT8_S1G_bDpT10_ENKUlT_T0_E_clISt17integral_constantIbLb1EES1U_EEDaS1P_S1Q_EUlS1P_E_NS1_11comp_targetILNS1_3genE10ELNS1_11target_archE1200ELNS1_3gpuE4ELNS1_3repE0EEENS1_30default_config_static_selectorELNS0_4arch9wavefront6targetE0EEEvS12_: ; @_ZN7rocprim17ROCPRIM_400000_NS6detail17trampoline_kernelINS0_13select_configILj256ELj13ELNS0_17block_load_methodE3ELS4_3ELS4_3ELNS0_20block_scan_algorithmE0ELj4294967295EEENS1_25partition_config_selectorILNS1_17partition_subalgoE4EjNS0_10empty_typeEbEEZZNS1_14partition_implILS8_4ELb0ES6_15HIP_vector_typeIjLj2EENS0_17counting_iteratorIjlEEPS9_SG_NS0_5tupleIJPjSI_NS0_16reverse_iteratorISI_EEEEENSH_IJSG_SG_SG_EEES9_SI_JZNS1_25segmented_radix_sort_implINS0_14default_configELb1EPKiPiPKlPlN2at6native12_GLOBAL__N_18offset_tEEE10hipError_tPvRmT1_PNSt15iterator_traitsIS12_E10value_typeET2_T3_PNS13_IS18_E10value_typeET4_jRbjT5_S1E_jjP12ihipStream_tbEUljE_ZNSN_ISO_Lb1ESQ_SR_ST_SU_SY_EESZ_S10_S11_S12_S16_S17_S18_S1B_S1C_jS1D_jS1E_S1E_jjS1G_bEUljE0_EEESZ_S10_S11_S18_S1C_S1E_T6_T7_T9_mT8_S1G_bDpT10_ENKUlT_T0_E_clISt17integral_constantIbLb1EES1U_EEDaS1P_S1Q_EUlS1P_E_NS1_11comp_targetILNS1_3genE10ELNS1_11target_archE1200ELNS1_3gpuE4ELNS1_3repE0EEENS1_30default_config_static_selectorELNS0_4arch9wavefront6targetE0EEEvS12_
; %bb.0:
	.section	.rodata,"a",@progbits
	.p2align	6, 0x0
	.amdhsa_kernel _ZN7rocprim17ROCPRIM_400000_NS6detail17trampoline_kernelINS0_13select_configILj256ELj13ELNS0_17block_load_methodE3ELS4_3ELS4_3ELNS0_20block_scan_algorithmE0ELj4294967295EEENS1_25partition_config_selectorILNS1_17partition_subalgoE4EjNS0_10empty_typeEbEEZZNS1_14partition_implILS8_4ELb0ES6_15HIP_vector_typeIjLj2EENS0_17counting_iteratorIjlEEPS9_SG_NS0_5tupleIJPjSI_NS0_16reverse_iteratorISI_EEEEENSH_IJSG_SG_SG_EEES9_SI_JZNS1_25segmented_radix_sort_implINS0_14default_configELb1EPKiPiPKlPlN2at6native12_GLOBAL__N_18offset_tEEE10hipError_tPvRmT1_PNSt15iterator_traitsIS12_E10value_typeET2_T3_PNS13_IS18_E10value_typeET4_jRbjT5_S1E_jjP12ihipStream_tbEUljE_ZNSN_ISO_Lb1ESQ_SR_ST_SU_SY_EESZ_S10_S11_S12_S16_S17_S18_S1B_S1C_jS1D_jS1E_S1E_jjS1G_bEUljE0_EEESZ_S10_S11_S18_S1C_S1E_T6_T7_T9_mT8_S1G_bDpT10_ENKUlT_T0_E_clISt17integral_constantIbLb1EES1U_EEDaS1P_S1Q_EUlS1P_E_NS1_11comp_targetILNS1_3genE10ELNS1_11target_archE1200ELNS1_3gpuE4ELNS1_3repE0EEENS1_30default_config_static_selectorELNS0_4arch9wavefront6targetE0EEEvS12_
		.amdhsa_group_segment_fixed_size 0
		.amdhsa_private_segment_fixed_size 0
		.amdhsa_kernarg_size 184
		.amdhsa_user_sgpr_count 6
		.amdhsa_user_sgpr_private_segment_buffer 1
		.amdhsa_user_sgpr_dispatch_ptr 0
		.amdhsa_user_sgpr_queue_ptr 0
		.amdhsa_user_sgpr_kernarg_segment_ptr 1
		.amdhsa_user_sgpr_dispatch_id 0
		.amdhsa_user_sgpr_flat_scratch_init 0
		.amdhsa_user_sgpr_private_segment_size 0
		.amdhsa_wavefront_size32 1
		.amdhsa_uses_dynamic_stack 0
		.amdhsa_system_sgpr_private_segment_wavefront_offset 0
		.amdhsa_system_sgpr_workgroup_id_x 1
		.amdhsa_system_sgpr_workgroup_id_y 0
		.amdhsa_system_sgpr_workgroup_id_z 0
		.amdhsa_system_sgpr_workgroup_info 0
		.amdhsa_system_vgpr_workitem_id 0
		.amdhsa_next_free_vgpr 1
		.amdhsa_next_free_sgpr 1
		.amdhsa_reserve_vcc 0
		.amdhsa_reserve_flat_scratch 0
		.amdhsa_float_round_mode_32 0
		.amdhsa_float_round_mode_16_64 0
		.amdhsa_float_denorm_mode_32 3
		.amdhsa_float_denorm_mode_16_64 3
		.amdhsa_dx10_clamp 1
		.amdhsa_ieee_mode 1
		.amdhsa_fp16_overflow 0
		.amdhsa_workgroup_processor_mode 1
		.amdhsa_memory_ordered 1
		.amdhsa_forward_progress 1
		.amdhsa_shared_vgpr_count 0
		.amdhsa_exception_fp_ieee_invalid_op 0
		.amdhsa_exception_fp_denorm_src 0
		.amdhsa_exception_fp_ieee_div_zero 0
		.amdhsa_exception_fp_ieee_overflow 0
		.amdhsa_exception_fp_ieee_underflow 0
		.amdhsa_exception_fp_ieee_inexact 0
		.amdhsa_exception_int_div_zero 0
	.end_amdhsa_kernel
	.section	.text._ZN7rocprim17ROCPRIM_400000_NS6detail17trampoline_kernelINS0_13select_configILj256ELj13ELNS0_17block_load_methodE3ELS4_3ELS4_3ELNS0_20block_scan_algorithmE0ELj4294967295EEENS1_25partition_config_selectorILNS1_17partition_subalgoE4EjNS0_10empty_typeEbEEZZNS1_14partition_implILS8_4ELb0ES6_15HIP_vector_typeIjLj2EENS0_17counting_iteratorIjlEEPS9_SG_NS0_5tupleIJPjSI_NS0_16reverse_iteratorISI_EEEEENSH_IJSG_SG_SG_EEES9_SI_JZNS1_25segmented_radix_sort_implINS0_14default_configELb1EPKiPiPKlPlN2at6native12_GLOBAL__N_18offset_tEEE10hipError_tPvRmT1_PNSt15iterator_traitsIS12_E10value_typeET2_T3_PNS13_IS18_E10value_typeET4_jRbjT5_S1E_jjP12ihipStream_tbEUljE_ZNSN_ISO_Lb1ESQ_SR_ST_SU_SY_EESZ_S10_S11_S12_S16_S17_S18_S1B_S1C_jS1D_jS1E_S1E_jjS1G_bEUljE0_EEESZ_S10_S11_S18_S1C_S1E_T6_T7_T9_mT8_S1G_bDpT10_ENKUlT_T0_E_clISt17integral_constantIbLb1EES1U_EEDaS1P_S1Q_EUlS1P_E_NS1_11comp_targetILNS1_3genE10ELNS1_11target_archE1200ELNS1_3gpuE4ELNS1_3repE0EEENS1_30default_config_static_selectorELNS0_4arch9wavefront6targetE0EEEvS12_,"axG",@progbits,_ZN7rocprim17ROCPRIM_400000_NS6detail17trampoline_kernelINS0_13select_configILj256ELj13ELNS0_17block_load_methodE3ELS4_3ELS4_3ELNS0_20block_scan_algorithmE0ELj4294967295EEENS1_25partition_config_selectorILNS1_17partition_subalgoE4EjNS0_10empty_typeEbEEZZNS1_14partition_implILS8_4ELb0ES6_15HIP_vector_typeIjLj2EENS0_17counting_iteratorIjlEEPS9_SG_NS0_5tupleIJPjSI_NS0_16reverse_iteratorISI_EEEEENSH_IJSG_SG_SG_EEES9_SI_JZNS1_25segmented_radix_sort_implINS0_14default_configELb1EPKiPiPKlPlN2at6native12_GLOBAL__N_18offset_tEEE10hipError_tPvRmT1_PNSt15iterator_traitsIS12_E10value_typeET2_T3_PNS13_IS18_E10value_typeET4_jRbjT5_S1E_jjP12ihipStream_tbEUljE_ZNSN_ISO_Lb1ESQ_SR_ST_SU_SY_EESZ_S10_S11_S12_S16_S17_S18_S1B_S1C_jS1D_jS1E_S1E_jjS1G_bEUljE0_EEESZ_S10_S11_S18_S1C_S1E_T6_T7_T9_mT8_S1G_bDpT10_ENKUlT_T0_E_clISt17integral_constantIbLb1EES1U_EEDaS1P_S1Q_EUlS1P_E_NS1_11comp_targetILNS1_3genE10ELNS1_11target_archE1200ELNS1_3gpuE4ELNS1_3repE0EEENS1_30default_config_static_selectorELNS0_4arch9wavefront6targetE0EEEvS12_,comdat
.Lfunc_end442:
	.size	_ZN7rocprim17ROCPRIM_400000_NS6detail17trampoline_kernelINS0_13select_configILj256ELj13ELNS0_17block_load_methodE3ELS4_3ELS4_3ELNS0_20block_scan_algorithmE0ELj4294967295EEENS1_25partition_config_selectorILNS1_17partition_subalgoE4EjNS0_10empty_typeEbEEZZNS1_14partition_implILS8_4ELb0ES6_15HIP_vector_typeIjLj2EENS0_17counting_iteratorIjlEEPS9_SG_NS0_5tupleIJPjSI_NS0_16reverse_iteratorISI_EEEEENSH_IJSG_SG_SG_EEES9_SI_JZNS1_25segmented_radix_sort_implINS0_14default_configELb1EPKiPiPKlPlN2at6native12_GLOBAL__N_18offset_tEEE10hipError_tPvRmT1_PNSt15iterator_traitsIS12_E10value_typeET2_T3_PNS13_IS18_E10value_typeET4_jRbjT5_S1E_jjP12ihipStream_tbEUljE_ZNSN_ISO_Lb1ESQ_SR_ST_SU_SY_EESZ_S10_S11_S12_S16_S17_S18_S1B_S1C_jS1D_jS1E_S1E_jjS1G_bEUljE0_EEESZ_S10_S11_S18_S1C_S1E_T6_T7_T9_mT8_S1G_bDpT10_ENKUlT_T0_E_clISt17integral_constantIbLb1EES1U_EEDaS1P_S1Q_EUlS1P_E_NS1_11comp_targetILNS1_3genE10ELNS1_11target_archE1200ELNS1_3gpuE4ELNS1_3repE0EEENS1_30default_config_static_selectorELNS0_4arch9wavefront6targetE0EEEvS12_, .Lfunc_end442-_ZN7rocprim17ROCPRIM_400000_NS6detail17trampoline_kernelINS0_13select_configILj256ELj13ELNS0_17block_load_methodE3ELS4_3ELS4_3ELNS0_20block_scan_algorithmE0ELj4294967295EEENS1_25partition_config_selectorILNS1_17partition_subalgoE4EjNS0_10empty_typeEbEEZZNS1_14partition_implILS8_4ELb0ES6_15HIP_vector_typeIjLj2EENS0_17counting_iteratorIjlEEPS9_SG_NS0_5tupleIJPjSI_NS0_16reverse_iteratorISI_EEEEENSH_IJSG_SG_SG_EEES9_SI_JZNS1_25segmented_radix_sort_implINS0_14default_configELb1EPKiPiPKlPlN2at6native12_GLOBAL__N_18offset_tEEE10hipError_tPvRmT1_PNSt15iterator_traitsIS12_E10value_typeET2_T3_PNS13_IS18_E10value_typeET4_jRbjT5_S1E_jjP12ihipStream_tbEUljE_ZNSN_ISO_Lb1ESQ_SR_ST_SU_SY_EESZ_S10_S11_S12_S16_S17_S18_S1B_S1C_jS1D_jS1E_S1E_jjS1G_bEUljE0_EEESZ_S10_S11_S18_S1C_S1E_T6_T7_T9_mT8_S1G_bDpT10_ENKUlT_T0_E_clISt17integral_constantIbLb1EES1U_EEDaS1P_S1Q_EUlS1P_E_NS1_11comp_targetILNS1_3genE10ELNS1_11target_archE1200ELNS1_3gpuE4ELNS1_3repE0EEENS1_30default_config_static_selectorELNS0_4arch9wavefront6targetE0EEEvS12_
                                        ; -- End function
	.set _ZN7rocprim17ROCPRIM_400000_NS6detail17trampoline_kernelINS0_13select_configILj256ELj13ELNS0_17block_load_methodE3ELS4_3ELS4_3ELNS0_20block_scan_algorithmE0ELj4294967295EEENS1_25partition_config_selectorILNS1_17partition_subalgoE4EjNS0_10empty_typeEbEEZZNS1_14partition_implILS8_4ELb0ES6_15HIP_vector_typeIjLj2EENS0_17counting_iteratorIjlEEPS9_SG_NS0_5tupleIJPjSI_NS0_16reverse_iteratorISI_EEEEENSH_IJSG_SG_SG_EEES9_SI_JZNS1_25segmented_radix_sort_implINS0_14default_configELb1EPKiPiPKlPlN2at6native12_GLOBAL__N_18offset_tEEE10hipError_tPvRmT1_PNSt15iterator_traitsIS12_E10value_typeET2_T3_PNS13_IS18_E10value_typeET4_jRbjT5_S1E_jjP12ihipStream_tbEUljE_ZNSN_ISO_Lb1ESQ_SR_ST_SU_SY_EESZ_S10_S11_S12_S16_S17_S18_S1B_S1C_jS1D_jS1E_S1E_jjS1G_bEUljE0_EEESZ_S10_S11_S18_S1C_S1E_T6_T7_T9_mT8_S1G_bDpT10_ENKUlT_T0_E_clISt17integral_constantIbLb1EES1U_EEDaS1P_S1Q_EUlS1P_E_NS1_11comp_targetILNS1_3genE10ELNS1_11target_archE1200ELNS1_3gpuE4ELNS1_3repE0EEENS1_30default_config_static_selectorELNS0_4arch9wavefront6targetE0EEEvS12_.num_vgpr, 0
	.set _ZN7rocprim17ROCPRIM_400000_NS6detail17trampoline_kernelINS0_13select_configILj256ELj13ELNS0_17block_load_methodE3ELS4_3ELS4_3ELNS0_20block_scan_algorithmE0ELj4294967295EEENS1_25partition_config_selectorILNS1_17partition_subalgoE4EjNS0_10empty_typeEbEEZZNS1_14partition_implILS8_4ELb0ES6_15HIP_vector_typeIjLj2EENS0_17counting_iteratorIjlEEPS9_SG_NS0_5tupleIJPjSI_NS0_16reverse_iteratorISI_EEEEENSH_IJSG_SG_SG_EEES9_SI_JZNS1_25segmented_radix_sort_implINS0_14default_configELb1EPKiPiPKlPlN2at6native12_GLOBAL__N_18offset_tEEE10hipError_tPvRmT1_PNSt15iterator_traitsIS12_E10value_typeET2_T3_PNS13_IS18_E10value_typeET4_jRbjT5_S1E_jjP12ihipStream_tbEUljE_ZNSN_ISO_Lb1ESQ_SR_ST_SU_SY_EESZ_S10_S11_S12_S16_S17_S18_S1B_S1C_jS1D_jS1E_S1E_jjS1G_bEUljE0_EEESZ_S10_S11_S18_S1C_S1E_T6_T7_T9_mT8_S1G_bDpT10_ENKUlT_T0_E_clISt17integral_constantIbLb1EES1U_EEDaS1P_S1Q_EUlS1P_E_NS1_11comp_targetILNS1_3genE10ELNS1_11target_archE1200ELNS1_3gpuE4ELNS1_3repE0EEENS1_30default_config_static_selectorELNS0_4arch9wavefront6targetE0EEEvS12_.num_agpr, 0
	.set _ZN7rocprim17ROCPRIM_400000_NS6detail17trampoline_kernelINS0_13select_configILj256ELj13ELNS0_17block_load_methodE3ELS4_3ELS4_3ELNS0_20block_scan_algorithmE0ELj4294967295EEENS1_25partition_config_selectorILNS1_17partition_subalgoE4EjNS0_10empty_typeEbEEZZNS1_14partition_implILS8_4ELb0ES6_15HIP_vector_typeIjLj2EENS0_17counting_iteratorIjlEEPS9_SG_NS0_5tupleIJPjSI_NS0_16reverse_iteratorISI_EEEEENSH_IJSG_SG_SG_EEES9_SI_JZNS1_25segmented_radix_sort_implINS0_14default_configELb1EPKiPiPKlPlN2at6native12_GLOBAL__N_18offset_tEEE10hipError_tPvRmT1_PNSt15iterator_traitsIS12_E10value_typeET2_T3_PNS13_IS18_E10value_typeET4_jRbjT5_S1E_jjP12ihipStream_tbEUljE_ZNSN_ISO_Lb1ESQ_SR_ST_SU_SY_EESZ_S10_S11_S12_S16_S17_S18_S1B_S1C_jS1D_jS1E_S1E_jjS1G_bEUljE0_EEESZ_S10_S11_S18_S1C_S1E_T6_T7_T9_mT8_S1G_bDpT10_ENKUlT_T0_E_clISt17integral_constantIbLb1EES1U_EEDaS1P_S1Q_EUlS1P_E_NS1_11comp_targetILNS1_3genE10ELNS1_11target_archE1200ELNS1_3gpuE4ELNS1_3repE0EEENS1_30default_config_static_selectorELNS0_4arch9wavefront6targetE0EEEvS12_.numbered_sgpr, 0
	.set _ZN7rocprim17ROCPRIM_400000_NS6detail17trampoline_kernelINS0_13select_configILj256ELj13ELNS0_17block_load_methodE3ELS4_3ELS4_3ELNS0_20block_scan_algorithmE0ELj4294967295EEENS1_25partition_config_selectorILNS1_17partition_subalgoE4EjNS0_10empty_typeEbEEZZNS1_14partition_implILS8_4ELb0ES6_15HIP_vector_typeIjLj2EENS0_17counting_iteratorIjlEEPS9_SG_NS0_5tupleIJPjSI_NS0_16reverse_iteratorISI_EEEEENSH_IJSG_SG_SG_EEES9_SI_JZNS1_25segmented_radix_sort_implINS0_14default_configELb1EPKiPiPKlPlN2at6native12_GLOBAL__N_18offset_tEEE10hipError_tPvRmT1_PNSt15iterator_traitsIS12_E10value_typeET2_T3_PNS13_IS18_E10value_typeET4_jRbjT5_S1E_jjP12ihipStream_tbEUljE_ZNSN_ISO_Lb1ESQ_SR_ST_SU_SY_EESZ_S10_S11_S12_S16_S17_S18_S1B_S1C_jS1D_jS1E_S1E_jjS1G_bEUljE0_EEESZ_S10_S11_S18_S1C_S1E_T6_T7_T9_mT8_S1G_bDpT10_ENKUlT_T0_E_clISt17integral_constantIbLb1EES1U_EEDaS1P_S1Q_EUlS1P_E_NS1_11comp_targetILNS1_3genE10ELNS1_11target_archE1200ELNS1_3gpuE4ELNS1_3repE0EEENS1_30default_config_static_selectorELNS0_4arch9wavefront6targetE0EEEvS12_.num_named_barrier, 0
	.set _ZN7rocprim17ROCPRIM_400000_NS6detail17trampoline_kernelINS0_13select_configILj256ELj13ELNS0_17block_load_methodE3ELS4_3ELS4_3ELNS0_20block_scan_algorithmE0ELj4294967295EEENS1_25partition_config_selectorILNS1_17partition_subalgoE4EjNS0_10empty_typeEbEEZZNS1_14partition_implILS8_4ELb0ES6_15HIP_vector_typeIjLj2EENS0_17counting_iteratorIjlEEPS9_SG_NS0_5tupleIJPjSI_NS0_16reverse_iteratorISI_EEEEENSH_IJSG_SG_SG_EEES9_SI_JZNS1_25segmented_radix_sort_implINS0_14default_configELb1EPKiPiPKlPlN2at6native12_GLOBAL__N_18offset_tEEE10hipError_tPvRmT1_PNSt15iterator_traitsIS12_E10value_typeET2_T3_PNS13_IS18_E10value_typeET4_jRbjT5_S1E_jjP12ihipStream_tbEUljE_ZNSN_ISO_Lb1ESQ_SR_ST_SU_SY_EESZ_S10_S11_S12_S16_S17_S18_S1B_S1C_jS1D_jS1E_S1E_jjS1G_bEUljE0_EEESZ_S10_S11_S18_S1C_S1E_T6_T7_T9_mT8_S1G_bDpT10_ENKUlT_T0_E_clISt17integral_constantIbLb1EES1U_EEDaS1P_S1Q_EUlS1P_E_NS1_11comp_targetILNS1_3genE10ELNS1_11target_archE1200ELNS1_3gpuE4ELNS1_3repE0EEENS1_30default_config_static_selectorELNS0_4arch9wavefront6targetE0EEEvS12_.private_seg_size, 0
	.set _ZN7rocprim17ROCPRIM_400000_NS6detail17trampoline_kernelINS0_13select_configILj256ELj13ELNS0_17block_load_methodE3ELS4_3ELS4_3ELNS0_20block_scan_algorithmE0ELj4294967295EEENS1_25partition_config_selectorILNS1_17partition_subalgoE4EjNS0_10empty_typeEbEEZZNS1_14partition_implILS8_4ELb0ES6_15HIP_vector_typeIjLj2EENS0_17counting_iteratorIjlEEPS9_SG_NS0_5tupleIJPjSI_NS0_16reverse_iteratorISI_EEEEENSH_IJSG_SG_SG_EEES9_SI_JZNS1_25segmented_radix_sort_implINS0_14default_configELb1EPKiPiPKlPlN2at6native12_GLOBAL__N_18offset_tEEE10hipError_tPvRmT1_PNSt15iterator_traitsIS12_E10value_typeET2_T3_PNS13_IS18_E10value_typeET4_jRbjT5_S1E_jjP12ihipStream_tbEUljE_ZNSN_ISO_Lb1ESQ_SR_ST_SU_SY_EESZ_S10_S11_S12_S16_S17_S18_S1B_S1C_jS1D_jS1E_S1E_jjS1G_bEUljE0_EEESZ_S10_S11_S18_S1C_S1E_T6_T7_T9_mT8_S1G_bDpT10_ENKUlT_T0_E_clISt17integral_constantIbLb1EES1U_EEDaS1P_S1Q_EUlS1P_E_NS1_11comp_targetILNS1_3genE10ELNS1_11target_archE1200ELNS1_3gpuE4ELNS1_3repE0EEENS1_30default_config_static_selectorELNS0_4arch9wavefront6targetE0EEEvS12_.uses_vcc, 0
	.set _ZN7rocprim17ROCPRIM_400000_NS6detail17trampoline_kernelINS0_13select_configILj256ELj13ELNS0_17block_load_methodE3ELS4_3ELS4_3ELNS0_20block_scan_algorithmE0ELj4294967295EEENS1_25partition_config_selectorILNS1_17partition_subalgoE4EjNS0_10empty_typeEbEEZZNS1_14partition_implILS8_4ELb0ES6_15HIP_vector_typeIjLj2EENS0_17counting_iteratorIjlEEPS9_SG_NS0_5tupleIJPjSI_NS0_16reverse_iteratorISI_EEEEENSH_IJSG_SG_SG_EEES9_SI_JZNS1_25segmented_radix_sort_implINS0_14default_configELb1EPKiPiPKlPlN2at6native12_GLOBAL__N_18offset_tEEE10hipError_tPvRmT1_PNSt15iterator_traitsIS12_E10value_typeET2_T3_PNS13_IS18_E10value_typeET4_jRbjT5_S1E_jjP12ihipStream_tbEUljE_ZNSN_ISO_Lb1ESQ_SR_ST_SU_SY_EESZ_S10_S11_S12_S16_S17_S18_S1B_S1C_jS1D_jS1E_S1E_jjS1G_bEUljE0_EEESZ_S10_S11_S18_S1C_S1E_T6_T7_T9_mT8_S1G_bDpT10_ENKUlT_T0_E_clISt17integral_constantIbLb1EES1U_EEDaS1P_S1Q_EUlS1P_E_NS1_11comp_targetILNS1_3genE10ELNS1_11target_archE1200ELNS1_3gpuE4ELNS1_3repE0EEENS1_30default_config_static_selectorELNS0_4arch9wavefront6targetE0EEEvS12_.uses_flat_scratch, 0
	.set _ZN7rocprim17ROCPRIM_400000_NS6detail17trampoline_kernelINS0_13select_configILj256ELj13ELNS0_17block_load_methodE3ELS4_3ELS4_3ELNS0_20block_scan_algorithmE0ELj4294967295EEENS1_25partition_config_selectorILNS1_17partition_subalgoE4EjNS0_10empty_typeEbEEZZNS1_14partition_implILS8_4ELb0ES6_15HIP_vector_typeIjLj2EENS0_17counting_iteratorIjlEEPS9_SG_NS0_5tupleIJPjSI_NS0_16reverse_iteratorISI_EEEEENSH_IJSG_SG_SG_EEES9_SI_JZNS1_25segmented_radix_sort_implINS0_14default_configELb1EPKiPiPKlPlN2at6native12_GLOBAL__N_18offset_tEEE10hipError_tPvRmT1_PNSt15iterator_traitsIS12_E10value_typeET2_T3_PNS13_IS18_E10value_typeET4_jRbjT5_S1E_jjP12ihipStream_tbEUljE_ZNSN_ISO_Lb1ESQ_SR_ST_SU_SY_EESZ_S10_S11_S12_S16_S17_S18_S1B_S1C_jS1D_jS1E_S1E_jjS1G_bEUljE0_EEESZ_S10_S11_S18_S1C_S1E_T6_T7_T9_mT8_S1G_bDpT10_ENKUlT_T0_E_clISt17integral_constantIbLb1EES1U_EEDaS1P_S1Q_EUlS1P_E_NS1_11comp_targetILNS1_3genE10ELNS1_11target_archE1200ELNS1_3gpuE4ELNS1_3repE0EEENS1_30default_config_static_selectorELNS0_4arch9wavefront6targetE0EEEvS12_.has_dyn_sized_stack, 0
	.set _ZN7rocprim17ROCPRIM_400000_NS6detail17trampoline_kernelINS0_13select_configILj256ELj13ELNS0_17block_load_methodE3ELS4_3ELS4_3ELNS0_20block_scan_algorithmE0ELj4294967295EEENS1_25partition_config_selectorILNS1_17partition_subalgoE4EjNS0_10empty_typeEbEEZZNS1_14partition_implILS8_4ELb0ES6_15HIP_vector_typeIjLj2EENS0_17counting_iteratorIjlEEPS9_SG_NS0_5tupleIJPjSI_NS0_16reverse_iteratorISI_EEEEENSH_IJSG_SG_SG_EEES9_SI_JZNS1_25segmented_radix_sort_implINS0_14default_configELb1EPKiPiPKlPlN2at6native12_GLOBAL__N_18offset_tEEE10hipError_tPvRmT1_PNSt15iterator_traitsIS12_E10value_typeET2_T3_PNS13_IS18_E10value_typeET4_jRbjT5_S1E_jjP12ihipStream_tbEUljE_ZNSN_ISO_Lb1ESQ_SR_ST_SU_SY_EESZ_S10_S11_S12_S16_S17_S18_S1B_S1C_jS1D_jS1E_S1E_jjS1G_bEUljE0_EEESZ_S10_S11_S18_S1C_S1E_T6_T7_T9_mT8_S1G_bDpT10_ENKUlT_T0_E_clISt17integral_constantIbLb1EES1U_EEDaS1P_S1Q_EUlS1P_E_NS1_11comp_targetILNS1_3genE10ELNS1_11target_archE1200ELNS1_3gpuE4ELNS1_3repE0EEENS1_30default_config_static_selectorELNS0_4arch9wavefront6targetE0EEEvS12_.has_recursion, 0
	.set _ZN7rocprim17ROCPRIM_400000_NS6detail17trampoline_kernelINS0_13select_configILj256ELj13ELNS0_17block_load_methodE3ELS4_3ELS4_3ELNS0_20block_scan_algorithmE0ELj4294967295EEENS1_25partition_config_selectorILNS1_17partition_subalgoE4EjNS0_10empty_typeEbEEZZNS1_14partition_implILS8_4ELb0ES6_15HIP_vector_typeIjLj2EENS0_17counting_iteratorIjlEEPS9_SG_NS0_5tupleIJPjSI_NS0_16reverse_iteratorISI_EEEEENSH_IJSG_SG_SG_EEES9_SI_JZNS1_25segmented_radix_sort_implINS0_14default_configELb1EPKiPiPKlPlN2at6native12_GLOBAL__N_18offset_tEEE10hipError_tPvRmT1_PNSt15iterator_traitsIS12_E10value_typeET2_T3_PNS13_IS18_E10value_typeET4_jRbjT5_S1E_jjP12ihipStream_tbEUljE_ZNSN_ISO_Lb1ESQ_SR_ST_SU_SY_EESZ_S10_S11_S12_S16_S17_S18_S1B_S1C_jS1D_jS1E_S1E_jjS1G_bEUljE0_EEESZ_S10_S11_S18_S1C_S1E_T6_T7_T9_mT8_S1G_bDpT10_ENKUlT_T0_E_clISt17integral_constantIbLb1EES1U_EEDaS1P_S1Q_EUlS1P_E_NS1_11comp_targetILNS1_3genE10ELNS1_11target_archE1200ELNS1_3gpuE4ELNS1_3repE0EEENS1_30default_config_static_selectorELNS0_4arch9wavefront6targetE0EEEvS12_.has_indirect_call, 0
	.section	.AMDGPU.csdata,"",@progbits
; Kernel info:
; codeLenInByte = 0
; TotalNumSgprs: 0
; NumVgprs: 0
; ScratchSize: 0
; MemoryBound: 0
; FloatMode: 240
; IeeeMode: 1
; LDSByteSize: 0 bytes/workgroup (compile time only)
; SGPRBlocks: 0
; VGPRBlocks: 0
; NumSGPRsForWavesPerEU: 1
; NumVGPRsForWavesPerEU: 1
; Occupancy: 16
; WaveLimiterHint : 0
; COMPUTE_PGM_RSRC2:SCRATCH_EN: 0
; COMPUTE_PGM_RSRC2:USER_SGPR: 6
; COMPUTE_PGM_RSRC2:TRAP_HANDLER: 0
; COMPUTE_PGM_RSRC2:TGID_X_EN: 1
; COMPUTE_PGM_RSRC2:TGID_Y_EN: 0
; COMPUTE_PGM_RSRC2:TGID_Z_EN: 0
; COMPUTE_PGM_RSRC2:TIDIG_COMP_CNT: 0
	.section	.text._ZN7rocprim17ROCPRIM_400000_NS6detail17trampoline_kernelINS0_13select_configILj256ELj13ELNS0_17block_load_methodE3ELS4_3ELS4_3ELNS0_20block_scan_algorithmE0ELj4294967295EEENS1_25partition_config_selectorILNS1_17partition_subalgoE4EjNS0_10empty_typeEbEEZZNS1_14partition_implILS8_4ELb0ES6_15HIP_vector_typeIjLj2EENS0_17counting_iteratorIjlEEPS9_SG_NS0_5tupleIJPjSI_NS0_16reverse_iteratorISI_EEEEENSH_IJSG_SG_SG_EEES9_SI_JZNS1_25segmented_radix_sort_implINS0_14default_configELb1EPKiPiPKlPlN2at6native12_GLOBAL__N_18offset_tEEE10hipError_tPvRmT1_PNSt15iterator_traitsIS12_E10value_typeET2_T3_PNS13_IS18_E10value_typeET4_jRbjT5_S1E_jjP12ihipStream_tbEUljE_ZNSN_ISO_Lb1ESQ_SR_ST_SU_SY_EESZ_S10_S11_S12_S16_S17_S18_S1B_S1C_jS1D_jS1E_S1E_jjS1G_bEUljE0_EEESZ_S10_S11_S18_S1C_S1E_T6_T7_T9_mT8_S1G_bDpT10_ENKUlT_T0_E_clISt17integral_constantIbLb1EES1U_EEDaS1P_S1Q_EUlS1P_E_NS1_11comp_targetILNS1_3genE9ELNS1_11target_archE1100ELNS1_3gpuE3ELNS1_3repE0EEENS1_30default_config_static_selectorELNS0_4arch9wavefront6targetE0EEEvS12_,"axG",@progbits,_ZN7rocprim17ROCPRIM_400000_NS6detail17trampoline_kernelINS0_13select_configILj256ELj13ELNS0_17block_load_methodE3ELS4_3ELS4_3ELNS0_20block_scan_algorithmE0ELj4294967295EEENS1_25partition_config_selectorILNS1_17partition_subalgoE4EjNS0_10empty_typeEbEEZZNS1_14partition_implILS8_4ELb0ES6_15HIP_vector_typeIjLj2EENS0_17counting_iteratorIjlEEPS9_SG_NS0_5tupleIJPjSI_NS0_16reverse_iteratorISI_EEEEENSH_IJSG_SG_SG_EEES9_SI_JZNS1_25segmented_radix_sort_implINS0_14default_configELb1EPKiPiPKlPlN2at6native12_GLOBAL__N_18offset_tEEE10hipError_tPvRmT1_PNSt15iterator_traitsIS12_E10value_typeET2_T3_PNS13_IS18_E10value_typeET4_jRbjT5_S1E_jjP12ihipStream_tbEUljE_ZNSN_ISO_Lb1ESQ_SR_ST_SU_SY_EESZ_S10_S11_S12_S16_S17_S18_S1B_S1C_jS1D_jS1E_S1E_jjS1G_bEUljE0_EEESZ_S10_S11_S18_S1C_S1E_T6_T7_T9_mT8_S1G_bDpT10_ENKUlT_T0_E_clISt17integral_constantIbLb1EES1U_EEDaS1P_S1Q_EUlS1P_E_NS1_11comp_targetILNS1_3genE9ELNS1_11target_archE1100ELNS1_3gpuE3ELNS1_3repE0EEENS1_30default_config_static_selectorELNS0_4arch9wavefront6targetE0EEEvS12_,comdat
	.globl	_ZN7rocprim17ROCPRIM_400000_NS6detail17trampoline_kernelINS0_13select_configILj256ELj13ELNS0_17block_load_methodE3ELS4_3ELS4_3ELNS0_20block_scan_algorithmE0ELj4294967295EEENS1_25partition_config_selectorILNS1_17partition_subalgoE4EjNS0_10empty_typeEbEEZZNS1_14partition_implILS8_4ELb0ES6_15HIP_vector_typeIjLj2EENS0_17counting_iteratorIjlEEPS9_SG_NS0_5tupleIJPjSI_NS0_16reverse_iteratorISI_EEEEENSH_IJSG_SG_SG_EEES9_SI_JZNS1_25segmented_radix_sort_implINS0_14default_configELb1EPKiPiPKlPlN2at6native12_GLOBAL__N_18offset_tEEE10hipError_tPvRmT1_PNSt15iterator_traitsIS12_E10value_typeET2_T3_PNS13_IS18_E10value_typeET4_jRbjT5_S1E_jjP12ihipStream_tbEUljE_ZNSN_ISO_Lb1ESQ_SR_ST_SU_SY_EESZ_S10_S11_S12_S16_S17_S18_S1B_S1C_jS1D_jS1E_S1E_jjS1G_bEUljE0_EEESZ_S10_S11_S18_S1C_S1E_T6_T7_T9_mT8_S1G_bDpT10_ENKUlT_T0_E_clISt17integral_constantIbLb1EES1U_EEDaS1P_S1Q_EUlS1P_E_NS1_11comp_targetILNS1_3genE9ELNS1_11target_archE1100ELNS1_3gpuE3ELNS1_3repE0EEENS1_30default_config_static_selectorELNS0_4arch9wavefront6targetE0EEEvS12_ ; -- Begin function _ZN7rocprim17ROCPRIM_400000_NS6detail17trampoline_kernelINS0_13select_configILj256ELj13ELNS0_17block_load_methodE3ELS4_3ELS4_3ELNS0_20block_scan_algorithmE0ELj4294967295EEENS1_25partition_config_selectorILNS1_17partition_subalgoE4EjNS0_10empty_typeEbEEZZNS1_14partition_implILS8_4ELb0ES6_15HIP_vector_typeIjLj2EENS0_17counting_iteratorIjlEEPS9_SG_NS0_5tupleIJPjSI_NS0_16reverse_iteratorISI_EEEEENSH_IJSG_SG_SG_EEES9_SI_JZNS1_25segmented_radix_sort_implINS0_14default_configELb1EPKiPiPKlPlN2at6native12_GLOBAL__N_18offset_tEEE10hipError_tPvRmT1_PNSt15iterator_traitsIS12_E10value_typeET2_T3_PNS13_IS18_E10value_typeET4_jRbjT5_S1E_jjP12ihipStream_tbEUljE_ZNSN_ISO_Lb1ESQ_SR_ST_SU_SY_EESZ_S10_S11_S12_S16_S17_S18_S1B_S1C_jS1D_jS1E_S1E_jjS1G_bEUljE0_EEESZ_S10_S11_S18_S1C_S1E_T6_T7_T9_mT8_S1G_bDpT10_ENKUlT_T0_E_clISt17integral_constantIbLb1EES1U_EEDaS1P_S1Q_EUlS1P_E_NS1_11comp_targetILNS1_3genE9ELNS1_11target_archE1100ELNS1_3gpuE3ELNS1_3repE0EEENS1_30default_config_static_selectorELNS0_4arch9wavefront6targetE0EEEvS12_
	.p2align	8
	.type	_ZN7rocprim17ROCPRIM_400000_NS6detail17trampoline_kernelINS0_13select_configILj256ELj13ELNS0_17block_load_methodE3ELS4_3ELS4_3ELNS0_20block_scan_algorithmE0ELj4294967295EEENS1_25partition_config_selectorILNS1_17partition_subalgoE4EjNS0_10empty_typeEbEEZZNS1_14partition_implILS8_4ELb0ES6_15HIP_vector_typeIjLj2EENS0_17counting_iteratorIjlEEPS9_SG_NS0_5tupleIJPjSI_NS0_16reverse_iteratorISI_EEEEENSH_IJSG_SG_SG_EEES9_SI_JZNS1_25segmented_radix_sort_implINS0_14default_configELb1EPKiPiPKlPlN2at6native12_GLOBAL__N_18offset_tEEE10hipError_tPvRmT1_PNSt15iterator_traitsIS12_E10value_typeET2_T3_PNS13_IS18_E10value_typeET4_jRbjT5_S1E_jjP12ihipStream_tbEUljE_ZNSN_ISO_Lb1ESQ_SR_ST_SU_SY_EESZ_S10_S11_S12_S16_S17_S18_S1B_S1C_jS1D_jS1E_S1E_jjS1G_bEUljE0_EEESZ_S10_S11_S18_S1C_S1E_T6_T7_T9_mT8_S1G_bDpT10_ENKUlT_T0_E_clISt17integral_constantIbLb1EES1U_EEDaS1P_S1Q_EUlS1P_E_NS1_11comp_targetILNS1_3genE9ELNS1_11target_archE1100ELNS1_3gpuE3ELNS1_3repE0EEENS1_30default_config_static_selectorELNS0_4arch9wavefront6targetE0EEEvS12_,@function
_ZN7rocprim17ROCPRIM_400000_NS6detail17trampoline_kernelINS0_13select_configILj256ELj13ELNS0_17block_load_methodE3ELS4_3ELS4_3ELNS0_20block_scan_algorithmE0ELj4294967295EEENS1_25partition_config_selectorILNS1_17partition_subalgoE4EjNS0_10empty_typeEbEEZZNS1_14partition_implILS8_4ELb0ES6_15HIP_vector_typeIjLj2EENS0_17counting_iteratorIjlEEPS9_SG_NS0_5tupleIJPjSI_NS0_16reverse_iteratorISI_EEEEENSH_IJSG_SG_SG_EEES9_SI_JZNS1_25segmented_radix_sort_implINS0_14default_configELb1EPKiPiPKlPlN2at6native12_GLOBAL__N_18offset_tEEE10hipError_tPvRmT1_PNSt15iterator_traitsIS12_E10value_typeET2_T3_PNS13_IS18_E10value_typeET4_jRbjT5_S1E_jjP12ihipStream_tbEUljE_ZNSN_ISO_Lb1ESQ_SR_ST_SU_SY_EESZ_S10_S11_S12_S16_S17_S18_S1B_S1C_jS1D_jS1E_S1E_jjS1G_bEUljE0_EEESZ_S10_S11_S18_S1C_S1E_T6_T7_T9_mT8_S1G_bDpT10_ENKUlT_T0_E_clISt17integral_constantIbLb1EES1U_EEDaS1P_S1Q_EUlS1P_E_NS1_11comp_targetILNS1_3genE9ELNS1_11target_archE1100ELNS1_3gpuE3ELNS1_3repE0EEENS1_30default_config_static_selectorELNS0_4arch9wavefront6targetE0EEEvS12_: ; @_ZN7rocprim17ROCPRIM_400000_NS6detail17trampoline_kernelINS0_13select_configILj256ELj13ELNS0_17block_load_methodE3ELS4_3ELS4_3ELNS0_20block_scan_algorithmE0ELj4294967295EEENS1_25partition_config_selectorILNS1_17partition_subalgoE4EjNS0_10empty_typeEbEEZZNS1_14partition_implILS8_4ELb0ES6_15HIP_vector_typeIjLj2EENS0_17counting_iteratorIjlEEPS9_SG_NS0_5tupleIJPjSI_NS0_16reverse_iteratorISI_EEEEENSH_IJSG_SG_SG_EEES9_SI_JZNS1_25segmented_radix_sort_implINS0_14default_configELb1EPKiPiPKlPlN2at6native12_GLOBAL__N_18offset_tEEE10hipError_tPvRmT1_PNSt15iterator_traitsIS12_E10value_typeET2_T3_PNS13_IS18_E10value_typeET4_jRbjT5_S1E_jjP12ihipStream_tbEUljE_ZNSN_ISO_Lb1ESQ_SR_ST_SU_SY_EESZ_S10_S11_S12_S16_S17_S18_S1B_S1C_jS1D_jS1E_S1E_jjS1G_bEUljE0_EEESZ_S10_S11_S18_S1C_S1E_T6_T7_T9_mT8_S1G_bDpT10_ENKUlT_T0_E_clISt17integral_constantIbLb1EES1U_EEDaS1P_S1Q_EUlS1P_E_NS1_11comp_targetILNS1_3genE9ELNS1_11target_archE1100ELNS1_3gpuE3ELNS1_3repE0EEENS1_30default_config_static_selectorELNS0_4arch9wavefront6targetE0EEEvS12_
; %bb.0:
	.section	.rodata,"a",@progbits
	.p2align	6, 0x0
	.amdhsa_kernel _ZN7rocprim17ROCPRIM_400000_NS6detail17trampoline_kernelINS0_13select_configILj256ELj13ELNS0_17block_load_methodE3ELS4_3ELS4_3ELNS0_20block_scan_algorithmE0ELj4294967295EEENS1_25partition_config_selectorILNS1_17partition_subalgoE4EjNS0_10empty_typeEbEEZZNS1_14partition_implILS8_4ELb0ES6_15HIP_vector_typeIjLj2EENS0_17counting_iteratorIjlEEPS9_SG_NS0_5tupleIJPjSI_NS0_16reverse_iteratorISI_EEEEENSH_IJSG_SG_SG_EEES9_SI_JZNS1_25segmented_radix_sort_implINS0_14default_configELb1EPKiPiPKlPlN2at6native12_GLOBAL__N_18offset_tEEE10hipError_tPvRmT1_PNSt15iterator_traitsIS12_E10value_typeET2_T3_PNS13_IS18_E10value_typeET4_jRbjT5_S1E_jjP12ihipStream_tbEUljE_ZNSN_ISO_Lb1ESQ_SR_ST_SU_SY_EESZ_S10_S11_S12_S16_S17_S18_S1B_S1C_jS1D_jS1E_S1E_jjS1G_bEUljE0_EEESZ_S10_S11_S18_S1C_S1E_T6_T7_T9_mT8_S1G_bDpT10_ENKUlT_T0_E_clISt17integral_constantIbLb1EES1U_EEDaS1P_S1Q_EUlS1P_E_NS1_11comp_targetILNS1_3genE9ELNS1_11target_archE1100ELNS1_3gpuE3ELNS1_3repE0EEENS1_30default_config_static_selectorELNS0_4arch9wavefront6targetE0EEEvS12_
		.amdhsa_group_segment_fixed_size 0
		.amdhsa_private_segment_fixed_size 0
		.amdhsa_kernarg_size 184
		.amdhsa_user_sgpr_count 6
		.amdhsa_user_sgpr_private_segment_buffer 1
		.amdhsa_user_sgpr_dispatch_ptr 0
		.amdhsa_user_sgpr_queue_ptr 0
		.amdhsa_user_sgpr_kernarg_segment_ptr 1
		.amdhsa_user_sgpr_dispatch_id 0
		.amdhsa_user_sgpr_flat_scratch_init 0
		.amdhsa_user_sgpr_private_segment_size 0
		.amdhsa_wavefront_size32 1
		.amdhsa_uses_dynamic_stack 0
		.amdhsa_system_sgpr_private_segment_wavefront_offset 0
		.amdhsa_system_sgpr_workgroup_id_x 1
		.amdhsa_system_sgpr_workgroup_id_y 0
		.amdhsa_system_sgpr_workgroup_id_z 0
		.amdhsa_system_sgpr_workgroup_info 0
		.amdhsa_system_vgpr_workitem_id 0
		.amdhsa_next_free_vgpr 1
		.amdhsa_next_free_sgpr 1
		.amdhsa_reserve_vcc 0
		.amdhsa_reserve_flat_scratch 0
		.amdhsa_float_round_mode_32 0
		.amdhsa_float_round_mode_16_64 0
		.amdhsa_float_denorm_mode_32 3
		.amdhsa_float_denorm_mode_16_64 3
		.amdhsa_dx10_clamp 1
		.amdhsa_ieee_mode 1
		.amdhsa_fp16_overflow 0
		.amdhsa_workgroup_processor_mode 1
		.amdhsa_memory_ordered 1
		.amdhsa_forward_progress 1
		.amdhsa_shared_vgpr_count 0
		.amdhsa_exception_fp_ieee_invalid_op 0
		.amdhsa_exception_fp_denorm_src 0
		.amdhsa_exception_fp_ieee_div_zero 0
		.amdhsa_exception_fp_ieee_overflow 0
		.amdhsa_exception_fp_ieee_underflow 0
		.amdhsa_exception_fp_ieee_inexact 0
		.amdhsa_exception_int_div_zero 0
	.end_amdhsa_kernel
	.section	.text._ZN7rocprim17ROCPRIM_400000_NS6detail17trampoline_kernelINS0_13select_configILj256ELj13ELNS0_17block_load_methodE3ELS4_3ELS4_3ELNS0_20block_scan_algorithmE0ELj4294967295EEENS1_25partition_config_selectorILNS1_17partition_subalgoE4EjNS0_10empty_typeEbEEZZNS1_14partition_implILS8_4ELb0ES6_15HIP_vector_typeIjLj2EENS0_17counting_iteratorIjlEEPS9_SG_NS0_5tupleIJPjSI_NS0_16reverse_iteratorISI_EEEEENSH_IJSG_SG_SG_EEES9_SI_JZNS1_25segmented_radix_sort_implINS0_14default_configELb1EPKiPiPKlPlN2at6native12_GLOBAL__N_18offset_tEEE10hipError_tPvRmT1_PNSt15iterator_traitsIS12_E10value_typeET2_T3_PNS13_IS18_E10value_typeET4_jRbjT5_S1E_jjP12ihipStream_tbEUljE_ZNSN_ISO_Lb1ESQ_SR_ST_SU_SY_EESZ_S10_S11_S12_S16_S17_S18_S1B_S1C_jS1D_jS1E_S1E_jjS1G_bEUljE0_EEESZ_S10_S11_S18_S1C_S1E_T6_T7_T9_mT8_S1G_bDpT10_ENKUlT_T0_E_clISt17integral_constantIbLb1EES1U_EEDaS1P_S1Q_EUlS1P_E_NS1_11comp_targetILNS1_3genE9ELNS1_11target_archE1100ELNS1_3gpuE3ELNS1_3repE0EEENS1_30default_config_static_selectorELNS0_4arch9wavefront6targetE0EEEvS12_,"axG",@progbits,_ZN7rocprim17ROCPRIM_400000_NS6detail17trampoline_kernelINS0_13select_configILj256ELj13ELNS0_17block_load_methodE3ELS4_3ELS4_3ELNS0_20block_scan_algorithmE0ELj4294967295EEENS1_25partition_config_selectorILNS1_17partition_subalgoE4EjNS0_10empty_typeEbEEZZNS1_14partition_implILS8_4ELb0ES6_15HIP_vector_typeIjLj2EENS0_17counting_iteratorIjlEEPS9_SG_NS0_5tupleIJPjSI_NS0_16reverse_iteratorISI_EEEEENSH_IJSG_SG_SG_EEES9_SI_JZNS1_25segmented_radix_sort_implINS0_14default_configELb1EPKiPiPKlPlN2at6native12_GLOBAL__N_18offset_tEEE10hipError_tPvRmT1_PNSt15iterator_traitsIS12_E10value_typeET2_T3_PNS13_IS18_E10value_typeET4_jRbjT5_S1E_jjP12ihipStream_tbEUljE_ZNSN_ISO_Lb1ESQ_SR_ST_SU_SY_EESZ_S10_S11_S12_S16_S17_S18_S1B_S1C_jS1D_jS1E_S1E_jjS1G_bEUljE0_EEESZ_S10_S11_S18_S1C_S1E_T6_T7_T9_mT8_S1G_bDpT10_ENKUlT_T0_E_clISt17integral_constantIbLb1EES1U_EEDaS1P_S1Q_EUlS1P_E_NS1_11comp_targetILNS1_3genE9ELNS1_11target_archE1100ELNS1_3gpuE3ELNS1_3repE0EEENS1_30default_config_static_selectorELNS0_4arch9wavefront6targetE0EEEvS12_,comdat
.Lfunc_end443:
	.size	_ZN7rocprim17ROCPRIM_400000_NS6detail17trampoline_kernelINS0_13select_configILj256ELj13ELNS0_17block_load_methodE3ELS4_3ELS4_3ELNS0_20block_scan_algorithmE0ELj4294967295EEENS1_25partition_config_selectorILNS1_17partition_subalgoE4EjNS0_10empty_typeEbEEZZNS1_14partition_implILS8_4ELb0ES6_15HIP_vector_typeIjLj2EENS0_17counting_iteratorIjlEEPS9_SG_NS0_5tupleIJPjSI_NS0_16reverse_iteratorISI_EEEEENSH_IJSG_SG_SG_EEES9_SI_JZNS1_25segmented_radix_sort_implINS0_14default_configELb1EPKiPiPKlPlN2at6native12_GLOBAL__N_18offset_tEEE10hipError_tPvRmT1_PNSt15iterator_traitsIS12_E10value_typeET2_T3_PNS13_IS18_E10value_typeET4_jRbjT5_S1E_jjP12ihipStream_tbEUljE_ZNSN_ISO_Lb1ESQ_SR_ST_SU_SY_EESZ_S10_S11_S12_S16_S17_S18_S1B_S1C_jS1D_jS1E_S1E_jjS1G_bEUljE0_EEESZ_S10_S11_S18_S1C_S1E_T6_T7_T9_mT8_S1G_bDpT10_ENKUlT_T0_E_clISt17integral_constantIbLb1EES1U_EEDaS1P_S1Q_EUlS1P_E_NS1_11comp_targetILNS1_3genE9ELNS1_11target_archE1100ELNS1_3gpuE3ELNS1_3repE0EEENS1_30default_config_static_selectorELNS0_4arch9wavefront6targetE0EEEvS12_, .Lfunc_end443-_ZN7rocprim17ROCPRIM_400000_NS6detail17trampoline_kernelINS0_13select_configILj256ELj13ELNS0_17block_load_methodE3ELS4_3ELS4_3ELNS0_20block_scan_algorithmE0ELj4294967295EEENS1_25partition_config_selectorILNS1_17partition_subalgoE4EjNS0_10empty_typeEbEEZZNS1_14partition_implILS8_4ELb0ES6_15HIP_vector_typeIjLj2EENS0_17counting_iteratorIjlEEPS9_SG_NS0_5tupleIJPjSI_NS0_16reverse_iteratorISI_EEEEENSH_IJSG_SG_SG_EEES9_SI_JZNS1_25segmented_radix_sort_implINS0_14default_configELb1EPKiPiPKlPlN2at6native12_GLOBAL__N_18offset_tEEE10hipError_tPvRmT1_PNSt15iterator_traitsIS12_E10value_typeET2_T3_PNS13_IS18_E10value_typeET4_jRbjT5_S1E_jjP12ihipStream_tbEUljE_ZNSN_ISO_Lb1ESQ_SR_ST_SU_SY_EESZ_S10_S11_S12_S16_S17_S18_S1B_S1C_jS1D_jS1E_S1E_jjS1G_bEUljE0_EEESZ_S10_S11_S18_S1C_S1E_T6_T7_T9_mT8_S1G_bDpT10_ENKUlT_T0_E_clISt17integral_constantIbLb1EES1U_EEDaS1P_S1Q_EUlS1P_E_NS1_11comp_targetILNS1_3genE9ELNS1_11target_archE1100ELNS1_3gpuE3ELNS1_3repE0EEENS1_30default_config_static_selectorELNS0_4arch9wavefront6targetE0EEEvS12_
                                        ; -- End function
	.set _ZN7rocprim17ROCPRIM_400000_NS6detail17trampoline_kernelINS0_13select_configILj256ELj13ELNS0_17block_load_methodE3ELS4_3ELS4_3ELNS0_20block_scan_algorithmE0ELj4294967295EEENS1_25partition_config_selectorILNS1_17partition_subalgoE4EjNS0_10empty_typeEbEEZZNS1_14partition_implILS8_4ELb0ES6_15HIP_vector_typeIjLj2EENS0_17counting_iteratorIjlEEPS9_SG_NS0_5tupleIJPjSI_NS0_16reverse_iteratorISI_EEEEENSH_IJSG_SG_SG_EEES9_SI_JZNS1_25segmented_radix_sort_implINS0_14default_configELb1EPKiPiPKlPlN2at6native12_GLOBAL__N_18offset_tEEE10hipError_tPvRmT1_PNSt15iterator_traitsIS12_E10value_typeET2_T3_PNS13_IS18_E10value_typeET4_jRbjT5_S1E_jjP12ihipStream_tbEUljE_ZNSN_ISO_Lb1ESQ_SR_ST_SU_SY_EESZ_S10_S11_S12_S16_S17_S18_S1B_S1C_jS1D_jS1E_S1E_jjS1G_bEUljE0_EEESZ_S10_S11_S18_S1C_S1E_T6_T7_T9_mT8_S1G_bDpT10_ENKUlT_T0_E_clISt17integral_constantIbLb1EES1U_EEDaS1P_S1Q_EUlS1P_E_NS1_11comp_targetILNS1_3genE9ELNS1_11target_archE1100ELNS1_3gpuE3ELNS1_3repE0EEENS1_30default_config_static_selectorELNS0_4arch9wavefront6targetE0EEEvS12_.num_vgpr, 0
	.set _ZN7rocprim17ROCPRIM_400000_NS6detail17trampoline_kernelINS0_13select_configILj256ELj13ELNS0_17block_load_methodE3ELS4_3ELS4_3ELNS0_20block_scan_algorithmE0ELj4294967295EEENS1_25partition_config_selectorILNS1_17partition_subalgoE4EjNS0_10empty_typeEbEEZZNS1_14partition_implILS8_4ELb0ES6_15HIP_vector_typeIjLj2EENS0_17counting_iteratorIjlEEPS9_SG_NS0_5tupleIJPjSI_NS0_16reverse_iteratorISI_EEEEENSH_IJSG_SG_SG_EEES9_SI_JZNS1_25segmented_radix_sort_implINS0_14default_configELb1EPKiPiPKlPlN2at6native12_GLOBAL__N_18offset_tEEE10hipError_tPvRmT1_PNSt15iterator_traitsIS12_E10value_typeET2_T3_PNS13_IS18_E10value_typeET4_jRbjT5_S1E_jjP12ihipStream_tbEUljE_ZNSN_ISO_Lb1ESQ_SR_ST_SU_SY_EESZ_S10_S11_S12_S16_S17_S18_S1B_S1C_jS1D_jS1E_S1E_jjS1G_bEUljE0_EEESZ_S10_S11_S18_S1C_S1E_T6_T7_T9_mT8_S1G_bDpT10_ENKUlT_T0_E_clISt17integral_constantIbLb1EES1U_EEDaS1P_S1Q_EUlS1P_E_NS1_11comp_targetILNS1_3genE9ELNS1_11target_archE1100ELNS1_3gpuE3ELNS1_3repE0EEENS1_30default_config_static_selectorELNS0_4arch9wavefront6targetE0EEEvS12_.num_agpr, 0
	.set _ZN7rocprim17ROCPRIM_400000_NS6detail17trampoline_kernelINS0_13select_configILj256ELj13ELNS0_17block_load_methodE3ELS4_3ELS4_3ELNS0_20block_scan_algorithmE0ELj4294967295EEENS1_25partition_config_selectorILNS1_17partition_subalgoE4EjNS0_10empty_typeEbEEZZNS1_14partition_implILS8_4ELb0ES6_15HIP_vector_typeIjLj2EENS0_17counting_iteratorIjlEEPS9_SG_NS0_5tupleIJPjSI_NS0_16reverse_iteratorISI_EEEEENSH_IJSG_SG_SG_EEES9_SI_JZNS1_25segmented_radix_sort_implINS0_14default_configELb1EPKiPiPKlPlN2at6native12_GLOBAL__N_18offset_tEEE10hipError_tPvRmT1_PNSt15iterator_traitsIS12_E10value_typeET2_T3_PNS13_IS18_E10value_typeET4_jRbjT5_S1E_jjP12ihipStream_tbEUljE_ZNSN_ISO_Lb1ESQ_SR_ST_SU_SY_EESZ_S10_S11_S12_S16_S17_S18_S1B_S1C_jS1D_jS1E_S1E_jjS1G_bEUljE0_EEESZ_S10_S11_S18_S1C_S1E_T6_T7_T9_mT8_S1G_bDpT10_ENKUlT_T0_E_clISt17integral_constantIbLb1EES1U_EEDaS1P_S1Q_EUlS1P_E_NS1_11comp_targetILNS1_3genE9ELNS1_11target_archE1100ELNS1_3gpuE3ELNS1_3repE0EEENS1_30default_config_static_selectorELNS0_4arch9wavefront6targetE0EEEvS12_.numbered_sgpr, 0
	.set _ZN7rocprim17ROCPRIM_400000_NS6detail17trampoline_kernelINS0_13select_configILj256ELj13ELNS0_17block_load_methodE3ELS4_3ELS4_3ELNS0_20block_scan_algorithmE0ELj4294967295EEENS1_25partition_config_selectorILNS1_17partition_subalgoE4EjNS0_10empty_typeEbEEZZNS1_14partition_implILS8_4ELb0ES6_15HIP_vector_typeIjLj2EENS0_17counting_iteratorIjlEEPS9_SG_NS0_5tupleIJPjSI_NS0_16reverse_iteratorISI_EEEEENSH_IJSG_SG_SG_EEES9_SI_JZNS1_25segmented_radix_sort_implINS0_14default_configELb1EPKiPiPKlPlN2at6native12_GLOBAL__N_18offset_tEEE10hipError_tPvRmT1_PNSt15iterator_traitsIS12_E10value_typeET2_T3_PNS13_IS18_E10value_typeET4_jRbjT5_S1E_jjP12ihipStream_tbEUljE_ZNSN_ISO_Lb1ESQ_SR_ST_SU_SY_EESZ_S10_S11_S12_S16_S17_S18_S1B_S1C_jS1D_jS1E_S1E_jjS1G_bEUljE0_EEESZ_S10_S11_S18_S1C_S1E_T6_T7_T9_mT8_S1G_bDpT10_ENKUlT_T0_E_clISt17integral_constantIbLb1EES1U_EEDaS1P_S1Q_EUlS1P_E_NS1_11comp_targetILNS1_3genE9ELNS1_11target_archE1100ELNS1_3gpuE3ELNS1_3repE0EEENS1_30default_config_static_selectorELNS0_4arch9wavefront6targetE0EEEvS12_.num_named_barrier, 0
	.set _ZN7rocprim17ROCPRIM_400000_NS6detail17trampoline_kernelINS0_13select_configILj256ELj13ELNS0_17block_load_methodE3ELS4_3ELS4_3ELNS0_20block_scan_algorithmE0ELj4294967295EEENS1_25partition_config_selectorILNS1_17partition_subalgoE4EjNS0_10empty_typeEbEEZZNS1_14partition_implILS8_4ELb0ES6_15HIP_vector_typeIjLj2EENS0_17counting_iteratorIjlEEPS9_SG_NS0_5tupleIJPjSI_NS0_16reverse_iteratorISI_EEEEENSH_IJSG_SG_SG_EEES9_SI_JZNS1_25segmented_radix_sort_implINS0_14default_configELb1EPKiPiPKlPlN2at6native12_GLOBAL__N_18offset_tEEE10hipError_tPvRmT1_PNSt15iterator_traitsIS12_E10value_typeET2_T3_PNS13_IS18_E10value_typeET4_jRbjT5_S1E_jjP12ihipStream_tbEUljE_ZNSN_ISO_Lb1ESQ_SR_ST_SU_SY_EESZ_S10_S11_S12_S16_S17_S18_S1B_S1C_jS1D_jS1E_S1E_jjS1G_bEUljE0_EEESZ_S10_S11_S18_S1C_S1E_T6_T7_T9_mT8_S1G_bDpT10_ENKUlT_T0_E_clISt17integral_constantIbLb1EES1U_EEDaS1P_S1Q_EUlS1P_E_NS1_11comp_targetILNS1_3genE9ELNS1_11target_archE1100ELNS1_3gpuE3ELNS1_3repE0EEENS1_30default_config_static_selectorELNS0_4arch9wavefront6targetE0EEEvS12_.private_seg_size, 0
	.set _ZN7rocprim17ROCPRIM_400000_NS6detail17trampoline_kernelINS0_13select_configILj256ELj13ELNS0_17block_load_methodE3ELS4_3ELS4_3ELNS0_20block_scan_algorithmE0ELj4294967295EEENS1_25partition_config_selectorILNS1_17partition_subalgoE4EjNS0_10empty_typeEbEEZZNS1_14partition_implILS8_4ELb0ES6_15HIP_vector_typeIjLj2EENS0_17counting_iteratorIjlEEPS9_SG_NS0_5tupleIJPjSI_NS0_16reverse_iteratorISI_EEEEENSH_IJSG_SG_SG_EEES9_SI_JZNS1_25segmented_radix_sort_implINS0_14default_configELb1EPKiPiPKlPlN2at6native12_GLOBAL__N_18offset_tEEE10hipError_tPvRmT1_PNSt15iterator_traitsIS12_E10value_typeET2_T3_PNS13_IS18_E10value_typeET4_jRbjT5_S1E_jjP12ihipStream_tbEUljE_ZNSN_ISO_Lb1ESQ_SR_ST_SU_SY_EESZ_S10_S11_S12_S16_S17_S18_S1B_S1C_jS1D_jS1E_S1E_jjS1G_bEUljE0_EEESZ_S10_S11_S18_S1C_S1E_T6_T7_T9_mT8_S1G_bDpT10_ENKUlT_T0_E_clISt17integral_constantIbLb1EES1U_EEDaS1P_S1Q_EUlS1P_E_NS1_11comp_targetILNS1_3genE9ELNS1_11target_archE1100ELNS1_3gpuE3ELNS1_3repE0EEENS1_30default_config_static_selectorELNS0_4arch9wavefront6targetE0EEEvS12_.uses_vcc, 0
	.set _ZN7rocprim17ROCPRIM_400000_NS6detail17trampoline_kernelINS0_13select_configILj256ELj13ELNS0_17block_load_methodE3ELS4_3ELS4_3ELNS0_20block_scan_algorithmE0ELj4294967295EEENS1_25partition_config_selectorILNS1_17partition_subalgoE4EjNS0_10empty_typeEbEEZZNS1_14partition_implILS8_4ELb0ES6_15HIP_vector_typeIjLj2EENS0_17counting_iteratorIjlEEPS9_SG_NS0_5tupleIJPjSI_NS0_16reverse_iteratorISI_EEEEENSH_IJSG_SG_SG_EEES9_SI_JZNS1_25segmented_radix_sort_implINS0_14default_configELb1EPKiPiPKlPlN2at6native12_GLOBAL__N_18offset_tEEE10hipError_tPvRmT1_PNSt15iterator_traitsIS12_E10value_typeET2_T3_PNS13_IS18_E10value_typeET4_jRbjT5_S1E_jjP12ihipStream_tbEUljE_ZNSN_ISO_Lb1ESQ_SR_ST_SU_SY_EESZ_S10_S11_S12_S16_S17_S18_S1B_S1C_jS1D_jS1E_S1E_jjS1G_bEUljE0_EEESZ_S10_S11_S18_S1C_S1E_T6_T7_T9_mT8_S1G_bDpT10_ENKUlT_T0_E_clISt17integral_constantIbLb1EES1U_EEDaS1P_S1Q_EUlS1P_E_NS1_11comp_targetILNS1_3genE9ELNS1_11target_archE1100ELNS1_3gpuE3ELNS1_3repE0EEENS1_30default_config_static_selectorELNS0_4arch9wavefront6targetE0EEEvS12_.uses_flat_scratch, 0
	.set _ZN7rocprim17ROCPRIM_400000_NS6detail17trampoline_kernelINS0_13select_configILj256ELj13ELNS0_17block_load_methodE3ELS4_3ELS4_3ELNS0_20block_scan_algorithmE0ELj4294967295EEENS1_25partition_config_selectorILNS1_17partition_subalgoE4EjNS0_10empty_typeEbEEZZNS1_14partition_implILS8_4ELb0ES6_15HIP_vector_typeIjLj2EENS0_17counting_iteratorIjlEEPS9_SG_NS0_5tupleIJPjSI_NS0_16reverse_iteratorISI_EEEEENSH_IJSG_SG_SG_EEES9_SI_JZNS1_25segmented_radix_sort_implINS0_14default_configELb1EPKiPiPKlPlN2at6native12_GLOBAL__N_18offset_tEEE10hipError_tPvRmT1_PNSt15iterator_traitsIS12_E10value_typeET2_T3_PNS13_IS18_E10value_typeET4_jRbjT5_S1E_jjP12ihipStream_tbEUljE_ZNSN_ISO_Lb1ESQ_SR_ST_SU_SY_EESZ_S10_S11_S12_S16_S17_S18_S1B_S1C_jS1D_jS1E_S1E_jjS1G_bEUljE0_EEESZ_S10_S11_S18_S1C_S1E_T6_T7_T9_mT8_S1G_bDpT10_ENKUlT_T0_E_clISt17integral_constantIbLb1EES1U_EEDaS1P_S1Q_EUlS1P_E_NS1_11comp_targetILNS1_3genE9ELNS1_11target_archE1100ELNS1_3gpuE3ELNS1_3repE0EEENS1_30default_config_static_selectorELNS0_4arch9wavefront6targetE0EEEvS12_.has_dyn_sized_stack, 0
	.set _ZN7rocprim17ROCPRIM_400000_NS6detail17trampoline_kernelINS0_13select_configILj256ELj13ELNS0_17block_load_methodE3ELS4_3ELS4_3ELNS0_20block_scan_algorithmE0ELj4294967295EEENS1_25partition_config_selectorILNS1_17partition_subalgoE4EjNS0_10empty_typeEbEEZZNS1_14partition_implILS8_4ELb0ES6_15HIP_vector_typeIjLj2EENS0_17counting_iteratorIjlEEPS9_SG_NS0_5tupleIJPjSI_NS0_16reverse_iteratorISI_EEEEENSH_IJSG_SG_SG_EEES9_SI_JZNS1_25segmented_radix_sort_implINS0_14default_configELb1EPKiPiPKlPlN2at6native12_GLOBAL__N_18offset_tEEE10hipError_tPvRmT1_PNSt15iterator_traitsIS12_E10value_typeET2_T3_PNS13_IS18_E10value_typeET4_jRbjT5_S1E_jjP12ihipStream_tbEUljE_ZNSN_ISO_Lb1ESQ_SR_ST_SU_SY_EESZ_S10_S11_S12_S16_S17_S18_S1B_S1C_jS1D_jS1E_S1E_jjS1G_bEUljE0_EEESZ_S10_S11_S18_S1C_S1E_T6_T7_T9_mT8_S1G_bDpT10_ENKUlT_T0_E_clISt17integral_constantIbLb1EES1U_EEDaS1P_S1Q_EUlS1P_E_NS1_11comp_targetILNS1_3genE9ELNS1_11target_archE1100ELNS1_3gpuE3ELNS1_3repE0EEENS1_30default_config_static_selectorELNS0_4arch9wavefront6targetE0EEEvS12_.has_recursion, 0
	.set _ZN7rocprim17ROCPRIM_400000_NS6detail17trampoline_kernelINS0_13select_configILj256ELj13ELNS0_17block_load_methodE3ELS4_3ELS4_3ELNS0_20block_scan_algorithmE0ELj4294967295EEENS1_25partition_config_selectorILNS1_17partition_subalgoE4EjNS0_10empty_typeEbEEZZNS1_14partition_implILS8_4ELb0ES6_15HIP_vector_typeIjLj2EENS0_17counting_iteratorIjlEEPS9_SG_NS0_5tupleIJPjSI_NS0_16reverse_iteratorISI_EEEEENSH_IJSG_SG_SG_EEES9_SI_JZNS1_25segmented_radix_sort_implINS0_14default_configELb1EPKiPiPKlPlN2at6native12_GLOBAL__N_18offset_tEEE10hipError_tPvRmT1_PNSt15iterator_traitsIS12_E10value_typeET2_T3_PNS13_IS18_E10value_typeET4_jRbjT5_S1E_jjP12ihipStream_tbEUljE_ZNSN_ISO_Lb1ESQ_SR_ST_SU_SY_EESZ_S10_S11_S12_S16_S17_S18_S1B_S1C_jS1D_jS1E_S1E_jjS1G_bEUljE0_EEESZ_S10_S11_S18_S1C_S1E_T6_T7_T9_mT8_S1G_bDpT10_ENKUlT_T0_E_clISt17integral_constantIbLb1EES1U_EEDaS1P_S1Q_EUlS1P_E_NS1_11comp_targetILNS1_3genE9ELNS1_11target_archE1100ELNS1_3gpuE3ELNS1_3repE0EEENS1_30default_config_static_selectorELNS0_4arch9wavefront6targetE0EEEvS12_.has_indirect_call, 0
	.section	.AMDGPU.csdata,"",@progbits
; Kernel info:
; codeLenInByte = 0
; TotalNumSgprs: 0
; NumVgprs: 0
; ScratchSize: 0
; MemoryBound: 0
; FloatMode: 240
; IeeeMode: 1
; LDSByteSize: 0 bytes/workgroup (compile time only)
; SGPRBlocks: 0
; VGPRBlocks: 0
; NumSGPRsForWavesPerEU: 1
; NumVGPRsForWavesPerEU: 1
; Occupancy: 16
; WaveLimiterHint : 0
; COMPUTE_PGM_RSRC2:SCRATCH_EN: 0
; COMPUTE_PGM_RSRC2:USER_SGPR: 6
; COMPUTE_PGM_RSRC2:TRAP_HANDLER: 0
; COMPUTE_PGM_RSRC2:TGID_X_EN: 1
; COMPUTE_PGM_RSRC2:TGID_Y_EN: 0
; COMPUTE_PGM_RSRC2:TGID_Z_EN: 0
; COMPUTE_PGM_RSRC2:TIDIG_COMP_CNT: 0
	.section	.text._ZN7rocprim17ROCPRIM_400000_NS6detail17trampoline_kernelINS0_13select_configILj256ELj13ELNS0_17block_load_methodE3ELS4_3ELS4_3ELNS0_20block_scan_algorithmE0ELj4294967295EEENS1_25partition_config_selectorILNS1_17partition_subalgoE4EjNS0_10empty_typeEbEEZZNS1_14partition_implILS8_4ELb0ES6_15HIP_vector_typeIjLj2EENS0_17counting_iteratorIjlEEPS9_SG_NS0_5tupleIJPjSI_NS0_16reverse_iteratorISI_EEEEENSH_IJSG_SG_SG_EEES9_SI_JZNS1_25segmented_radix_sort_implINS0_14default_configELb1EPKiPiPKlPlN2at6native12_GLOBAL__N_18offset_tEEE10hipError_tPvRmT1_PNSt15iterator_traitsIS12_E10value_typeET2_T3_PNS13_IS18_E10value_typeET4_jRbjT5_S1E_jjP12ihipStream_tbEUljE_ZNSN_ISO_Lb1ESQ_SR_ST_SU_SY_EESZ_S10_S11_S12_S16_S17_S18_S1B_S1C_jS1D_jS1E_S1E_jjS1G_bEUljE0_EEESZ_S10_S11_S18_S1C_S1E_T6_T7_T9_mT8_S1G_bDpT10_ENKUlT_T0_E_clISt17integral_constantIbLb1EES1U_EEDaS1P_S1Q_EUlS1P_E_NS1_11comp_targetILNS1_3genE8ELNS1_11target_archE1030ELNS1_3gpuE2ELNS1_3repE0EEENS1_30default_config_static_selectorELNS0_4arch9wavefront6targetE0EEEvS12_,"axG",@progbits,_ZN7rocprim17ROCPRIM_400000_NS6detail17trampoline_kernelINS0_13select_configILj256ELj13ELNS0_17block_load_methodE3ELS4_3ELS4_3ELNS0_20block_scan_algorithmE0ELj4294967295EEENS1_25partition_config_selectorILNS1_17partition_subalgoE4EjNS0_10empty_typeEbEEZZNS1_14partition_implILS8_4ELb0ES6_15HIP_vector_typeIjLj2EENS0_17counting_iteratorIjlEEPS9_SG_NS0_5tupleIJPjSI_NS0_16reverse_iteratorISI_EEEEENSH_IJSG_SG_SG_EEES9_SI_JZNS1_25segmented_radix_sort_implINS0_14default_configELb1EPKiPiPKlPlN2at6native12_GLOBAL__N_18offset_tEEE10hipError_tPvRmT1_PNSt15iterator_traitsIS12_E10value_typeET2_T3_PNS13_IS18_E10value_typeET4_jRbjT5_S1E_jjP12ihipStream_tbEUljE_ZNSN_ISO_Lb1ESQ_SR_ST_SU_SY_EESZ_S10_S11_S12_S16_S17_S18_S1B_S1C_jS1D_jS1E_S1E_jjS1G_bEUljE0_EEESZ_S10_S11_S18_S1C_S1E_T6_T7_T9_mT8_S1G_bDpT10_ENKUlT_T0_E_clISt17integral_constantIbLb1EES1U_EEDaS1P_S1Q_EUlS1P_E_NS1_11comp_targetILNS1_3genE8ELNS1_11target_archE1030ELNS1_3gpuE2ELNS1_3repE0EEENS1_30default_config_static_selectorELNS0_4arch9wavefront6targetE0EEEvS12_,comdat
	.globl	_ZN7rocprim17ROCPRIM_400000_NS6detail17trampoline_kernelINS0_13select_configILj256ELj13ELNS0_17block_load_methodE3ELS4_3ELS4_3ELNS0_20block_scan_algorithmE0ELj4294967295EEENS1_25partition_config_selectorILNS1_17partition_subalgoE4EjNS0_10empty_typeEbEEZZNS1_14partition_implILS8_4ELb0ES6_15HIP_vector_typeIjLj2EENS0_17counting_iteratorIjlEEPS9_SG_NS0_5tupleIJPjSI_NS0_16reverse_iteratorISI_EEEEENSH_IJSG_SG_SG_EEES9_SI_JZNS1_25segmented_radix_sort_implINS0_14default_configELb1EPKiPiPKlPlN2at6native12_GLOBAL__N_18offset_tEEE10hipError_tPvRmT1_PNSt15iterator_traitsIS12_E10value_typeET2_T3_PNS13_IS18_E10value_typeET4_jRbjT5_S1E_jjP12ihipStream_tbEUljE_ZNSN_ISO_Lb1ESQ_SR_ST_SU_SY_EESZ_S10_S11_S12_S16_S17_S18_S1B_S1C_jS1D_jS1E_S1E_jjS1G_bEUljE0_EEESZ_S10_S11_S18_S1C_S1E_T6_T7_T9_mT8_S1G_bDpT10_ENKUlT_T0_E_clISt17integral_constantIbLb1EES1U_EEDaS1P_S1Q_EUlS1P_E_NS1_11comp_targetILNS1_3genE8ELNS1_11target_archE1030ELNS1_3gpuE2ELNS1_3repE0EEENS1_30default_config_static_selectorELNS0_4arch9wavefront6targetE0EEEvS12_ ; -- Begin function _ZN7rocprim17ROCPRIM_400000_NS6detail17trampoline_kernelINS0_13select_configILj256ELj13ELNS0_17block_load_methodE3ELS4_3ELS4_3ELNS0_20block_scan_algorithmE0ELj4294967295EEENS1_25partition_config_selectorILNS1_17partition_subalgoE4EjNS0_10empty_typeEbEEZZNS1_14partition_implILS8_4ELb0ES6_15HIP_vector_typeIjLj2EENS0_17counting_iteratorIjlEEPS9_SG_NS0_5tupleIJPjSI_NS0_16reverse_iteratorISI_EEEEENSH_IJSG_SG_SG_EEES9_SI_JZNS1_25segmented_radix_sort_implINS0_14default_configELb1EPKiPiPKlPlN2at6native12_GLOBAL__N_18offset_tEEE10hipError_tPvRmT1_PNSt15iterator_traitsIS12_E10value_typeET2_T3_PNS13_IS18_E10value_typeET4_jRbjT5_S1E_jjP12ihipStream_tbEUljE_ZNSN_ISO_Lb1ESQ_SR_ST_SU_SY_EESZ_S10_S11_S12_S16_S17_S18_S1B_S1C_jS1D_jS1E_S1E_jjS1G_bEUljE0_EEESZ_S10_S11_S18_S1C_S1E_T6_T7_T9_mT8_S1G_bDpT10_ENKUlT_T0_E_clISt17integral_constantIbLb1EES1U_EEDaS1P_S1Q_EUlS1P_E_NS1_11comp_targetILNS1_3genE8ELNS1_11target_archE1030ELNS1_3gpuE2ELNS1_3repE0EEENS1_30default_config_static_selectorELNS0_4arch9wavefront6targetE0EEEvS12_
	.p2align	8
	.type	_ZN7rocprim17ROCPRIM_400000_NS6detail17trampoline_kernelINS0_13select_configILj256ELj13ELNS0_17block_load_methodE3ELS4_3ELS4_3ELNS0_20block_scan_algorithmE0ELj4294967295EEENS1_25partition_config_selectorILNS1_17partition_subalgoE4EjNS0_10empty_typeEbEEZZNS1_14partition_implILS8_4ELb0ES6_15HIP_vector_typeIjLj2EENS0_17counting_iteratorIjlEEPS9_SG_NS0_5tupleIJPjSI_NS0_16reverse_iteratorISI_EEEEENSH_IJSG_SG_SG_EEES9_SI_JZNS1_25segmented_radix_sort_implINS0_14default_configELb1EPKiPiPKlPlN2at6native12_GLOBAL__N_18offset_tEEE10hipError_tPvRmT1_PNSt15iterator_traitsIS12_E10value_typeET2_T3_PNS13_IS18_E10value_typeET4_jRbjT5_S1E_jjP12ihipStream_tbEUljE_ZNSN_ISO_Lb1ESQ_SR_ST_SU_SY_EESZ_S10_S11_S12_S16_S17_S18_S1B_S1C_jS1D_jS1E_S1E_jjS1G_bEUljE0_EEESZ_S10_S11_S18_S1C_S1E_T6_T7_T9_mT8_S1G_bDpT10_ENKUlT_T0_E_clISt17integral_constantIbLb1EES1U_EEDaS1P_S1Q_EUlS1P_E_NS1_11comp_targetILNS1_3genE8ELNS1_11target_archE1030ELNS1_3gpuE2ELNS1_3repE0EEENS1_30default_config_static_selectorELNS0_4arch9wavefront6targetE0EEEvS12_,@function
_ZN7rocprim17ROCPRIM_400000_NS6detail17trampoline_kernelINS0_13select_configILj256ELj13ELNS0_17block_load_methodE3ELS4_3ELS4_3ELNS0_20block_scan_algorithmE0ELj4294967295EEENS1_25partition_config_selectorILNS1_17partition_subalgoE4EjNS0_10empty_typeEbEEZZNS1_14partition_implILS8_4ELb0ES6_15HIP_vector_typeIjLj2EENS0_17counting_iteratorIjlEEPS9_SG_NS0_5tupleIJPjSI_NS0_16reverse_iteratorISI_EEEEENSH_IJSG_SG_SG_EEES9_SI_JZNS1_25segmented_radix_sort_implINS0_14default_configELb1EPKiPiPKlPlN2at6native12_GLOBAL__N_18offset_tEEE10hipError_tPvRmT1_PNSt15iterator_traitsIS12_E10value_typeET2_T3_PNS13_IS18_E10value_typeET4_jRbjT5_S1E_jjP12ihipStream_tbEUljE_ZNSN_ISO_Lb1ESQ_SR_ST_SU_SY_EESZ_S10_S11_S12_S16_S17_S18_S1B_S1C_jS1D_jS1E_S1E_jjS1G_bEUljE0_EEESZ_S10_S11_S18_S1C_S1E_T6_T7_T9_mT8_S1G_bDpT10_ENKUlT_T0_E_clISt17integral_constantIbLb1EES1U_EEDaS1P_S1Q_EUlS1P_E_NS1_11comp_targetILNS1_3genE8ELNS1_11target_archE1030ELNS1_3gpuE2ELNS1_3repE0EEENS1_30default_config_static_selectorELNS0_4arch9wavefront6targetE0EEEvS12_: ; @_ZN7rocprim17ROCPRIM_400000_NS6detail17trampoline_kernelINS0_13select_configILj256ELj13ELNS0_17block_load_methodE3ELS4_3ELS4_3ELNS0_20block_scan_algorithmE0ELj4294967295EEENS1_25partition_config_selectorILNS1_17partition_subalgoE4EjNS0_10empty_typeEbEEZZNS1_14partition_implILS8_4ELb0ES6_15HIP_vector_typeIjLj2EENS0_17counting_iteratorIjlEEPS9_SG_NS0_5tupleIJPjSI_NS0_16reverse_iteratorISI_EEEEENSH_IJSG_SG_SG_EEES9_SI_JZNS1_25segmented_radix_sort_implINS0_14default_configELb1EPKiPiPKlPlN2at6native12_GLOBAL__N_18offset_tEEE10hipError_tPvRmT1_PNSt15iterator_traitsIS12_E10value_typeET2_T3_PNS13_IS18_E10value_typeET4_jRbjT5_S1E_jjP12ihipStream_tbEUljE_ZNSN_ISO_Lb1ESQ_SR_ST_SU_SY_EESZ_S10_S11_S12_S16_S17_S18_S1B_S1C_jS1D_jS1E_S1E_jjS1G_bEUljE0_EEESZ_S10_S11_S18_S1C_S1E_T6_T7_T9_mT8_S1G_bDpT10_ENKUlT_T0_E_clISt17integral_constantIbLb1EES1U_EEDaS1P_S1Q_EUlS1P_E_NS1_11comp_targetILNS1_3genE8ELNS1_11target_archE1030ELNS1_3gpuE2ELNS1_3repE0EEENS1_30default_config_static_selectorELNS0_4arch9wavefront6targetE0EEEvS12_
; %bb.0:
	s_endpgm
	.section	.rodata,"a",@progbits
	.p2align	6, 0x0
	.amdhsa_kernel _ZN7rocprim17ROCPRIM_400000_NS6detail17trampoline_kernelINS0_13select_configILj256ELj13ELNS0_17block_load_methodE3ELS4_3ELS4_3ELNS0_20block_scan_algorithmE0ELj4294967295EEENS1_25partition_config_selectorILNS1_17partition_subalgoE4EjNS0_10empty_typeEbEEZZNS1_14partition_implILS8_4ELb0ES6_15HIP_vector_typeIjLj2EENS0_17counting_iteratorIjlEEPS9_SG_NS0_5tupleIJPjSI_NS0_16reverse_iteratorISI_EEEEENSH_IJSG_SG_SG_EEES9_SI_JZNS1_25segmented_radix_sort_implINS0_14default_configELb1EPKiPiPKlPlN2at6native12_GLOBAL__N_18offset_tEEE10hipError_tPvRmT1_PNSt15iterator_traitsIS12_E10value_typeET2_T3_PNS13_IS18_E10value_typeET4_jRbjT5_S1E_jjP12ihipStream_tbEUljE_ZNSN_ISO_Lb1ESQ_SR_ST_SU_SY_EESZ_S10_S11_S12_S16_S17_S18_S1B_S1C_jS1D_jS1E_S1E_jjS1G_bEUljE0_EEESZ_S10_S11_S18_S1C_S1E_T6_T7_T9_mT8_S1G_bDpT10_ENKUlT_T0_E_clISt17integral_constantIbLb1EES1U_EEDaS1P_S1Q_EUlS1P_E_NS1_11comp_targetILNS1_3genE8ELNS1_11target_archE1030ELNS1_3gpuE2ELNS1_3repE0EEENS1_30default_config_static_selectorELNS0_4arch9wavefront6targetE0EEEvS12_
		.amdhsa_group_segment_fixed_size 0
		.amdhsa_private_segment_fixed_size 0
		.amdhsa_kernarg_size 184
		.amdhsa_user_sgpr_count 6
		.amdhsa_user_sgpr_private_segment_buffer 1
		.amdhsa_user_sgpr_dispatch_ptr 0
		.amdhsa_user_sgpr_queue_ptr 0
		.amdhsa_user_sgpr_kernarg_segment_ptr 1
		.amdhsa_user_sgpr_dispatch_id 0
		.amdhsa_user_sgpr_flat_scratch_init 0
		.amdhsa_user_sgpr_private_segment_size 0
		.amdhsa_wavefront_size32 1
		.amdhsa_uses_dynamic_stack 0
		.amdhsa_system_sgpr_private_segment_wavefront_offset 0
		.amdhsa_system_sgpr_workgroup_id_x 1
		.amdhsa_system_sgpr_workgroup_id_y 0
		.amdhsa_system_sgpr_workgroup_id_z 0
		.amdhsa_system_sgpr_workgroup_info 0
		.amdhsa_system_vgpr_workitem_id 0
		.amdhsa_next_free_vgpr 1
		.amdhsa_next_free_sgpr 1
		.amdhsa_reserve_vcc 0
		.amdhsa_reserve_flat_scratch 0
		.amdhsa_float_round_mode_32 0
		.amdhsa_float_round_mode_16_64 0
		.amdhsa_float_denorm_mode_32 3
		.amdhsa_float_denorm_mode_16_64 3
		.amdhsa_dx10_clamp 1
		.amdhsa_ieee_mode 1
		.amdhsa_fp16_overflow 0
		.amdhsa_workgroup_processor_mode 1
		.amdhsa_memory_ordered 1
		.amdhsa_forward_progress 1
		.amdhsa_shared_vgpr_count 0
		.amdhsa_exception_fp_ieee_invalid_op 0
		.amdhsa_exception_fp_denorm_src 0
		.amdhsa_exception_fp_ieee_div_zero 0
		.amdhsa_exception_fp_ieee_overflow 0
		.amdhsa_exception_fp_ieee_underflow 0
		.amdhsa_exception_fp_ieee_inexact 0
		.amdhsa_exception_int_div_zero 0
	.end_amdhsa_kernel
	.section	.text._ZN7rocprim17ROCPRIM_400000_NS6detail17trampoline_kernelINS0_13select_configILj256ELj13ELNS0_17block_load_methodE3ELS4_3ELS4_3ELNS0_20block_scan_algorithmE0ELj4294967295EEENS1_25partition_config_selectorILNS1_17partition_subalgoE4EjNS0_10empty_typeEbEEZZNS1_14partition_implILS8_4ELb0ES6_15HIP_vector_typeIjLj2EENS0_17counting_iteratorIjlEEPS9_SG_NS0_5tupleIJPjSI_NS0_16reverse_iteratorISI_EEEEENSH_IJSG_SG_SG_EEES9_SI_JZNS1_25segmented_radix_sort_implINS0_14default_configELb1EPKiPiPKlPlN2at6native12_GLOBAL__N_18offset_tEEE10hipError_tPvRmT1_PNSt15iterator_traitsIS12_E10value_typeET2_T3_PNS13_IS18_E10value_typeET4_jRbjT5_S1E_jjP12ihipStream_tbEUljE_ZNSN_ISO_Lb1ESQ_SR_ST_SU_SY_EESZ_S10_S11_S12_S16_S17_S18_S1B_S1C_jS1D_jS1E_S1E_jjS1G_bEUljE0_EEESZ_S10_S11_S18_S1C_S1E_T6_T7_T9_mT8_S1G_bDpT10_ENKUlT_T0_E_clISt17integral_constantIbLb1EES1U_EEDaS1P_S1Q_EUlS1P_E_NS1_11comp_targetILNS1_3genE8ELNS1_11target_archE1030ELNS1_3gpuE2ELNS1_3repE0EEENS1_30default_config_static_selectorELNS0_4arch9wavefront6targetE0EEEvS12_,"axG",@progbits,_ZN7rocprim17ROCPRIM_400000_NS6detail17trampoline_kernelINS0_13select_configILj256ELj13ELNS0_17block_load_methodE3ELS4_3ELS4_3ELNS0_20block_scan_algorithmE0ELj4294967295EEENS1_25partition_config_selectorILNS1_17partition_subalgoE4EjNS0_10empty_typeEbEEZZNS1_14partition_implILS8_4ELb0ES6_15HIP_vector_typeIjLj2EENS0_17counting_iteratorIjlEEPS9_SG_NS0_5tupleIJPjSI_NS0_16reverse_iteratorISI_EEEEENSH_IJSG_SG_SG_EEES9_SI_JZNS1_25segmented_radix_sort_implINS0_14default_configELb1EPKiPiPKlPlN2at6native12_GLOBAL__N_18offset_tEEE10hipError_tPvRmT1_PNSt15iterator_traitsIS12_E10value_typeET2_T3_PNS13_IS18_E10value_typeET4_jRbjT5_S1E_jjP12ihipStream_tbEUljE_ZNSN_ISO_Lb1ESQ_SR_ST_SU_SY_EESZ_S10_S11_S12_S16_S17_S18_S1B_S1C_jS1D_jS1E_S1E_jjS1G_bEUljE0_EEESZ_S10_S11_S18_S1C_S1E_T6_T7_T9_mT8_S1G_bDpT10_ENKUlT_T0_E_clISt17integral_constantIbLb1EES1U_EEDaS1P_S1Q_EUlS1P_E_NS1_11comp_targetILNS1_3genE8ELNS1_11target_archE1030ELNS1_3gpuE2ELNS1_3repE0EEENS1_30default_config_static_selectorELNS0_4arch9wavefront6targetE0EEEvS12_,comdat
.Lfunc_end444:
	.size	_ZN7rocprim17ROCPRIM_400000_NS6detail17trampoline_kernelINS0_13select_configILj256ELj13ELNS0_17block_load_methodE3ELS4_3ELS4_3ELNS0_20block_scan_algorithmE0ELj4294967295EEENS1_25partition_config_selectorILNS1_17partition_subalgoE4EjNS0_10empty_typeEbEEZZNS1_14partition_implILS8_4ELb0ES6_15HIP_vector_typeIjLj2EENS0_17counting_iteratorIjlEEPS9_SG_NS0_5tupleIJPjSI_NS0_16reverse_iteratorISI_EEEEENSH_IJSG_SG_SG_EEES9_SI_JZNS1_25segmented_radix_sort_implINS0_14default_configELb1EPKiPiPKlPlN2at6native12_GLOBAL__N_18offset_tEEE10hipError_tPvRmT1_PNSt15iterator_traitsIS12_E10value_typeET2_T3_PNS13_IS18_E10value_typeET4_jRbjT5_S1E_jjP12ihipStream_tbEUljE_ZNSN_ISO_Lb1ESQ_SR_ST_SU_SY_EESZ_S10_S11_S12_S16_S17_S18_S1B_S1C_jS1D_jS1E_S1E_jjS1G_bEUljE0_EEESZ_S10_S11_S18_S1C_S1E_T6_T7_T9_mT8_S1G_bDpT10_ENKUlT_T0_E_clISt17integral_constantIbLb1EES1U_EEDaS1P_S1Q_EUlS1P_E_NS1_11comp_targetILNS1_3genE8ELNS1_11target_archE1030ELNS1_3gpuE2ELNS1_3repE0EEENS1_30default_config_static_selectorELNS0_4arch9wavefront6targetE0EEEvS12_, .Lfunc_end444-_ZN7rocprim17ROCPRIM_400000_NS6detail17trampoline_kernelINS0_13select_configILj256ELj13ELNS0_17block_load_methodE3ELS4_3ELS4_3ELNS0_20block_scan_algorithmE0ELj4294967295EEENS1_25partition_config_selectorILNS1_17partition_subalgoE4EjNS0_10empty_typeEbEEZZNS1_14partition_implILS8_4ELb0ES6_15HIP_vector_typeIjLj2EENS0_17counting_iteratorIjlEEPS9_SG_NS0_5tupleIJPjSI_NS0_16reverse_iteratorISI_EEEEENSH_IJSG_SG_SG_EEES9_SI_JZNS1_25segmented_radix_sort_implINS0_14default_configELb1EPKiPiPKlPlN2at6native12_GLOBAL__N_18offset_tEEE10hipError_tPvRmT1_PNSt15iterator_traitsIS12_E10value_typeET2_T3_PNS13_IS18_E10value_typeET4_jRbjT5_S1E_jjP12ihipStream_tbEUljE_ZNSN_ISO_Lb1ESQ_SR_ST_SU_SY_EESZ_S10_S11_S12_S16_S17_S18_S1B_S1C_jS1D_jS1E_S1E_jjS1G_bEUljE0_EEESZ_S10_S11_S18_S1C_S1E_T6_T7_T9_mT8_S1G_bDpT10_ENKUlT_T0_E_clISt17integral_constantIbLb1EES1U_EEDaS1P_S1Q_EUlS1P_E_NS1_11comp_targetILNS1_3genE8ELNS1_11target_archE1030ELNS1_3gpuE2ELNS1_3repE0EEENS1_30default_config_static_selectorELNS0_4arch9wavefront6targetE0EEEvS12_
                                        ; -- End function
	.set _ZN7rocprim17ROCPRIM_400000_NS6detail17trampoline_kernelINS0_13select_configILj256ELj13ELNS0_17block_load_methodE3ELS4_3ELS4_3ELNS0_20block_scan_algorithmE0ELj4294967295EEENS1_25partition_config_selectorILNS1_17partition_subalgoE4EjNS0_10empty_typeEbEEZZNS1_14partition_implILS8_4ELb0ES6_15HIP_vector_typeIjLj2EENS0_17counting_iteratorIjlEEPS9_SG_NS0_5tupleIJPjSI_NS0_16reverse_iteratorISI_EEEEENSH_IJSG_SG_SG_EEES9_SI_JZNS1_25segmented_radix_sort_implINS0_14default_configELb1EPKiPiPKlPlN2at6native12_GLOBAL__N_18offset_tEEE10hipError_tPvRmT1_PNSt15iterator_traitsIS12_E10value_typeET2_T3_PNS13_IS18_E10value_typeET4_jRbjT5_S1E_jjP12ihipStream_tbEUljE_ZNSN_ISO_Lb1ESQ_SR_ST_SU_SY_EESZ_S10_S11_S12_S16_S17_S18_S1B_S1C_jS1D_jS1E_S1E_jjS1G_bEUljE0_EEESZ_S10_S11_S18_S1C_S1E_T6_T7_T9_mT8_S1G_bDpT10_ENKUlT_T0_E_clISt17integral_constantIbLb1EES1U_EEDaS1P_S1Q_EUlS1P_E_NS1_11comp_targetILNS1_3genE8ELNS1_11target_archE1030ELNS1_3gpuE2ELNS1_3repE0EEENS1_30default_config_static_selectorELNS0_4arch9wavefront6targetE0EEEvS12_.num_vgpr, 0
	.set _ZN7rocprim17ROCPRIM_400000_NS6detail17trampoline_kernelINS0_13select_configILj256ELj13ELNS0_17block_load_methodE3ELS4_3ELS4_3ELNS0_20block_scan_algorithmE0ELj4294967295EEENS1_25partition_config_selectorILNS1_17partition_subalgoE4EjNS0_10empty_typeEbEEZZNS1_14partition_implILS8_4ELb0ES6_15HIP_vector_typeIjLj2EENS0_17counting_iteratorIjlEEPS9_SG_NS0_5tupleIJPjSI_NS0_16reverse_iteratorISI_EEEEENSH_IJSG_SG_SG_EEES9_SI_JZNS1_25segmented_radix_sort_implINS0_14default_configELb1EPKiPiPKlPlN2at6native12_GLOBAL__N_18offset_tEEE10hipError_tPvRmT1_PNSt15iterator_traitsIS12_E10value_typeET2_T3_PNS13_IS18_E10value_typeET4_jRbjT5_S1E_jjP12ihipStream_tbEUljE_ZNSN_ISO_Lb1ESQ_SR_ST_SU_SY_EESZ_S10_S11_S12_S16_S17_S18_S1B_S1C_jS1D_jS1E_S1E_jjS1G_bEUljE0_EEESZ_S10_S11_S18_S1C_S1E_T6_T7_T9_mT8_S1G_bDpT10_ENKUlT_T0_E_clISt17integral_constantIbLb1EES1U_EEDaS1P_S1Q_EUlS1P_E_NS1_11comp_targetILNS1_3genE8ELNS1_11target_archE1030ELNS1_3gpuE2ELNS1_3repE0EEENS1_30default_config_static_selectorELNS0_4arch9wavefront6targetE0EEEvS12_.num_agpr, 0
	.set _ZN7rocprim17ROCPRIM_400000_NS6detail17trampoline_kernelINS0_13select_configILj256ELj13ELNS0_17block_load_methodE3ELS4_3ELS4_3ELNS0_20block_scan_algorithmE0ELj4294967295EEENS1_25partition_config_selectorILNS1_17partition_subalgoE4EjNS0_10empty_typeEbEEZZNS1_14partition_implILS8_4ELb0ES6_15HIP_vector_typeIjLj2EENS0_17counting_iteratorIjlEEPS9_SG_NS0_5tupleIJPjSI_NS0_16reverse_iteratorISI_EEEEENSH_IJSG_SG_SG_EEES9_SI_JZNS1_25segmented_radix_sort_implINS0_14default_configELb1EPKiPiPKlPlN2at6native12_GLOBAL__N_18offset_tEEE10hipError_tPvRmT1_PNSt15iterator_traitsIS12_E10value_typeET2_T3_PNS13_IS18_E10value_typeET4_jRbjT5_S1E_jjP12ihipStream_tbEUljE_ZNSN_ISO_Lb1ESQ_SR_ST_SU_SY_EESZ_S10_S11_S12_S16_S17_S18_S1B_S1C_jS1D_jS1E_S1E_jjS1G_bEUljE0_EEESZ_S10_S11_S18_S1C_S1E_T6_T7_T9_mT8_S1G_bDpT10_ENKUlT_T0_E_clISt17integral_constantIbLb1EES1U_EEDaS1P_S1Q_EUlS1P_E_NS1_11comp_targetILNS1_3genE8ELNS1_11target_archE1030ELNS1_3gpuE2ELNS1_3repE0EEENS1_30default_config_static_selectorELNS0_4arch9wavefront6targetE0EEEvS12_.numbered_sgpr, 0
	.set _ZN7rocprim17ROCPRIM_400000_NS6detail17trampoline_kernelINS0_13select_configILj256ELj13ELNS0_17block_load_methodE3ELS4_3ELS4_3ELNS0_20block_scan_algorithmE0ELj4294967295EEENS1_25partition_config_selectorILNS1_17partition_subalgoE4EjNS0_10empty_typeEbEEZZNS1_14partition_implILS8_4ELb0ES6_15HIP_vector_typeIjLj2EENS0_17counting_iteratorIjlEEPS9_SG_NS0_5tupleIJPjSI_NS0_16reverse_iteratorISI_EEEEENSH_IJSG_SG_SG_EEES9_SI_JZNS1_25segmented_radix_sort_implINS0_14default_configELb1EPKiPiPKlPlN2at6native12_GLOBAL__N_18offset_tEEE10hipError_tPvRmT1_PNSt15iterator_traitsIS12_E10value_typeET2_T3_PNS13_IS18_E10value_typeET4_jRbjT5_S1E_jjP12ihipStream_tbEUljE_ZNSN_ISO_Lb1ESQ_SR_ST_SU_SY_EESZ_S10_S11_S12_S16_S17_S18_S1B_S1C_jS1D_jS1E_S1E_jjS1G_bEUljE0_EEESZ_S10_S11_S18_S1C_S1E_T6_T7_T9_mT8_S1G_bDpT10_ENKUlT_T0_E_clISt17integral_constantIbLb1EES1U_EEDaS1P_S1Q_EUlS1P_E_NS1_11comp_targetILNS1_3genE8ELNS1_11target_archE1030ELNS1_3gpuE2ELNS1_3repE0EEENS1_30default_config_static_selectorELNS0_4arch9wavefront6targetE0EEEvS12_.num_named_barrier, 0
	.set _ZN7rocprim17ROCPRIM_400000_NS6detail17trampoline_kernelINS0_13select_configILj256ELj13ELNS0_17block_load_methodE3ELS4_3ELS4_3ELNS0_20block_scan_algorithmE0ELj4294967295EEENS1_25partition_config_selectorILNS1_17partition_subalgoE4EjNS0_10empty_typeEbEEZZNS1_14partition_implILS8_4ELb0ES6_15HIP_vector_typeIjLj2EENS0_17counting_iteratorIjlEEPS9_SG_NS0_5tupleIJPjSI_NS0_16reverse_iteratorISI_EEEEENSH_IJSG_SG_SG_EEES9_SI_JZNS1_25segmented_radix_sort_implINS0_14default_configELb1EPKiPiPKlPlN2at6native12_GLOBAL__N_18offset_tEEE10hipError_tPvRmT1_PNSt15iterator_traitsIS12_E10value_typeET2_T3_PNS13_IS18_E10value_typeET4_jRbjT5_S1E_jjP12ihipStream_tbEUljE_ZNSN_ISO_Lb1ESQ_SR_ST_SU_SY_EESZ_S10_S11_S12_S16_S17_S18_S1B_S1C_jS1D_jS1E_S1E_jjS1G_bEUljE0_EEESZ_S10_S11_S18_S1C_S1E_T6_T7_T9_mT8_S1G_bDpT10_ENKUlT_T0_E_clISt17integral_constantIbLb1EES1U_EEDaS1P_S1Q_EUlS1P_E_NS1_11comp_targetILNS1_3genE8ELNS1_11target_archE1030ELNS1_3gpuE2ELNS1_3repE0EEENS1_30default_config_static_selectorELNS0_4arch9wavefront6targetE0EEEvS12_.private_seg_size, 0
	.set _ZN7rocprim17ROCPRIM_400000_NS6detail17trampoline_kernelINS0_13select_configILj256ELj13ELNS0_17block_load_methodE3ELS4_3ELS4_3ELNS0_20block_scan_algorithmE0ELj4294967295EEENS1_25partition_config_selectorILNS1_17partition_subalgoE4EjNS0_10empty_typeEbEEZZNS1_14partition_implILS8_4ELb0ES6_15HIP_vector_typeIjLj2EENS0_17counting_iteratorIjlEEPS9_SG_NS0_5tupleIJPjSI_NS0_16reverse_iteratorISI_EEEEENSH_IJSG_SG_SG_EEES9_SI_JZNS1_25segmented_radix_sort_implINS0_14default_configELb1EPKiPiPKlPlN2at6native12_GLOBAL__N_18offset_tEEE10hipError_tPvRmT1_PNSt15iterator_traitsIS12_E10value_typeET2_T3_PNS13_IS18_E10value_typeET4_jRbjT5_S1E_jjP12ihipStream_tbEUljE_ZNSN_ISO_Lb1ESQ_SR_ST_SU_SY_EESZ_S10_S11_S12_S16_S17_S18_S1B_S1C_jS1D_jS1E_S1E_jjS1G_bEUljE0_EEESZ_S10_S11_S18_S1C_S1E_T6_T7_T9_mT8_S1G_bDpT10_ENKUlT_T0_E_clISt17integral_constantIbLb1EES1U_EEDaS1P_S1Q_EUlS1P_E_NS1_11comp_targetILNS1_3genE8ELNS1_11target_archE1030ELNS1_3gpuE2ELNS1_3repE0EEENS1_30default_config_static_selectorELNS0_4arch9wavefront6targetE0EEEvS12_.uses_vcc, 0
	.set _ZN7rocprim17ROCPRIM_400000_NS6detail17trampoline_kernelINS0_13select_configILj256ELj13ELNS0_17block_load_methodE3ELS4_3ELS4_3ELNS0_20block_scan_algorithmE0ELj4294967295EEENS1_25partition_config_selectorILNS1_17partition_subalgoE4EjNS0_10empty_typeEbEEZZNS1_14partition_implILS8_4ELb0ES6_15HIP_vector_typeIjLj2EENS0_17counting_iteratorIjlEEPS9_SG_NS0_5tupleIJPjSI_NS0_16reverse_iteratorISI_EEEEENSH_IJSG_SG_SG_EEES9_SI_JZNS1_25segmented_radix_sort_implINS0_14default_configELb1EPKiPiPKlPlN2at6native12_GLOBAL__N_18offset_tEEE10hipError_tPvRmT1_PNSt15iterator_traitsIS12_E10value_typeET2_T3_PNS13_IS18_E10value_typeET4_jRbjT5_S1E_jjP12ihipStream_tbEUljE_ZNSN_ISO_Lb1ESQ_SR_ST_SU_SY_EESZ_S10_S11_S12_S16_S17_S18_S1B_S1C_jS1D_jS1E_S1E_jjS1G_bEUljE0_EEESZ_S10_S11_S18_S1C_S1E_T6_T7_T9_mT8_S1G_bDpT10_ENKUlT_T0_E_clISt17integral_constantIbLb1EES1U_EEDaS1P_S1Q_EUlS1P_E_NS1_11comp_targetILNS1_3genE8ELNS1_11target_archE1030ELNS1_3gpuE2ELNS1_3repE0EEENS1_30default_config_static_selectorELNS0_4arch9wavefront6targetE0EEEvS12_.uses_flat_scratch, 0
	.set _ZN7rocprim17ROCPRIM_400000_NS6detail17trampoline_kernelINS0_13select_configILj256ELj13ELNS0_17block_load_methodE3ELS4_3ELS4_3ELNS0_20block_scan_algorithmE0ELj4294967295EEENS1_25partition_config_selectorILNS1_17partition_subalgoE4EjNS0_10empty_typeEbEEZZNS1_14partition_implILS8_4ELb0ES6_15HIP_vector_typeIjLj2EENS0_17counting_iteratorIjlEEPS9_SG_NS0_5tupleIJPjSI_NS0_16reverse_iteratorISI_EEEEENSH_IJSG_SG_SG_EEES9_SI_JZNS1_25segmented_radix_sort_implINS0_14default_configELb1EPKiPiPKlPlN2at6native12_GLOBAL__N_18offset_tEEE10hipError_tPvRmT1_PNSt15iterator_traitsIS12_E10value_typeET2_T3_PNS13_IS18_E10value_typeET4_jRbjT5_S1E_jjP12ihipStream_tbEUljE_ZNSN_ISO_Lb1ESQ_SR_ST_SU_SY_EESZ_S10_S11_S12_S16_S17_S18_S1B_S1C_jS1D_jS1E_S1E_jjS1G_bEUljE0_EEESZ_S10_S11_S18_S1C_S1E_T6_T7_T9_mT8_S1G_bDpT10_ENKUlT_T0_E_clISt17integral_constantIbLb1EES1U_EEDaS1P_S1Q_EUlS1P_E_NS1_11comp_targetILNS1_3genE8ELNS1_11target_archE1030ELNS1_3gpuE2ELNS1_3repE0EEENS1_30default_config_static_selectorELNS0_4arch9wavefront6targetE0EEEvS12_.has_dyn_sized_stack, 0
	.set _ZN7rocprim17ROCPRIM_400000_NS6detail17trampoline_kernelINS0_13select_configILj256ELj13ELNS0_17block_load_methodE3ELS4_3ELS4_3ELNS0_20block_scan_algorithmE0ELj4294967295EEENS1_25partition_config_selectorILNS1_17partition_subalgoE4EjNS0_10empty_typeEbEEZZNS1_14partition_implILS8_4ELb0ES6_15HIP_vector_typeIjLj2EENS0_17counting_iteratorIjlEEPS9_SG_NS0_5tupleIJPjSI_NS0_16reverse_iteratorISI_EEEEENSH_IJSG_SG_SG_EEES9_SI_JZNS1_25segmented_radix_sort_implINS0_14default_configELb1EPKiPiPKlPlN2at6native12_GLOBAL__N_18offset_tEEE10hipError_tPvRmT1_PNSt15iterator_traitsIS12_E10value_typeET2_T3_PNS13_IS18_E10value_typeET4_jRbjT5_S1E_jjP12ihipStream_tbEUljE_ZNSN_ISO_Lb1ESQ_SR_ST_SU_SY_EESZ_S10_S11_S12_S16_S17_S18_S1B_S1C_jS1D_jS1E_S1E_jjS1G_bEUljE0_EEESZ_S10_S11_S18_S1C_S1E_T6_T7_T9_mT8_S1G_bDpT10_ENKUlT_T0_E_clISt17integral_constantIbLb1EES1U_EEDaS1P_S1Q_EUlS1P_E_NS1_11comp_targetILNS1_3genE8ELNS1_11target_archE1030ELNS1_3gpuE2ELNS1_3repE0EEENS1_30default_config_static_selectorELNS0_4arch9wavefront6targetE0EEEvS12_.has_recursion, 0
	.set _ZN7rocprim17ROCPRIM_400000_NS6detail17trampoline_kernelINS0_13select_configILj256ELj13ELNS0_17block_load_methodE3ELS4_3ELS4_3ELNS0_20block_scan_algorithmE0ELj4294967295EEENS1_25partition_config_selectorILNS1_17partition_subalgoE4EjNS0_10empty_typeEbEEZZNS1_14partition_implILS8_4ELb0ES6_15HIP_vector_typeIjLj2EENS0_17counting_iteratorIjlEEPS9_SG_NS0_5tupleIJPjSI_NS0_16reverse_iteratorISI_EEEEENSH_IJSG_SG_SG_EEES9_SI_JZNS1_25segmented_radix_sort_implINS0_14default_configELb1EPKiPiPKlPlN2at6native12_GLOBAL__N_18offset_tEEE10hipError_tPvRmT1_PNSt15iterator_traitsIS12_E10value_typeET2_T3_PNS13_IS18_E10value_typeET4_jRbjT5_S1E_jjP12ihipStream_tbEUljE_ZNSN_ISO_Lb1ESQ_SR_ST_SU_SY_EESZ_S10_S11_S12_S16_S17_S18_S1B_S1C_jS1D_jS1E_S1E_jjS1G_bEUljE0_EEESZ_S10_S11_S18_S1C_S1E_T6_T7_T9_mT8_S1G_bDpT10_ENKUlT_T0_E_clISt17integral_constantIbLb1EES1U_EEDaS1P_S1Q_EUlS1P_E_NS1_11comp_targetILNS1_3genE8ELNS1_11target_archE1030ELNS1_3gpuE2ELNS1_3repE0EEENS1_30default_config_static_selectorELNS0_4arch9wavefront6targetE0EEEvS12_.has_indirect_call, 0
	.section	.AMDGPU.csdata,"",@progbits
; Kernel info:
; codeLenInByte = 4
; TotalNumSgprs: 0
; NumVgprs: 0
; ScratchSize: 0
; MemoryBound: 0
; FloatMode: 240
; IeeeMode: 1
; LDSByteSize: 0 bytes/workgroup (compile time only)
; SGPRBlocks: 0
; VGPRBlocks: 0
; NumSGPRsForWavesPerEU: 1
; NumVGPRsForWavesPerEU: 1
; Occupancy: 16
; WaveLimiterHint : 0
; COMPUTE_PGM_RSRC2:SCRATCH_EN: 0
; COMPUTE_PGM_RSRC2:USER_SGPR: 6
; COMPUTE_PGM_RSRC2:TRAP_HANDLER: 0
; COMPUTE_PGM_RSRC2:TGID_X_EN: 1
; COMPUTE_PGM_RSRC2:TGID_Y_EN: 0
; COMPUTE_PGM_RSRC2:TGID_Z_EN: 0
; COMPUTE_PGM_RSRC2:TIDIG_COMP_CNT: 0
	.section	.text._ZN7rocprim17ROCPRIM_400000_NS6detail17trampoline_kernelINS0_13select_configILj256ELj13ELNS0_17block_load_methodE3ELS4_3ELS4_3ELNS0_20block_scan_algorithmE0ELj4294967295EEENS1_25partition_config_selectorILNS1_17partition_subalgoE4EjNS0_10empty_typeEbEEZZNS1_14partition_implILS8_4ELb0ES6_15HIP_vector_typeIjLj2EENS0_17counting_iteratorIjlEEPS9_SG_NS0_5tupleIJPjSI_NS0_16reverse_iteratorISI_EEEEENSH_IJSG_SG_SG_EEES9_SI_JZNS1_25segmented_radix_sort_implINS0_14default_configELb1EPKiPiPKlPlN2at6native12_GLOBAL__N_18offset_tEEE10hipError_tPvRmT1_PNSt15iterator_traitsIS12_E10value_typeET2_T3_PNS13_IS18_E10value_typeET4_jRbjT5_S1E_jjP12ihipStream_tbEUljE_ZNSN_ISO_Lb1ESQ_SR_ST_SU_SY_EESZ_S10_S11_S12_S16_S17_S18_S1B_S1C_jS1D_jS1E_S1E_jjS1G_bEUljE0_EEESZ_S10_S11_S18_S1C_S1E_T6_T7_T9_mT8_S1G_bDpT10_ENKUlT_T0_E_clISt17integral_constantIbLb1EES1T_IbLb0EEEEDaS1P_S1Q_EUlS1P_E_NS1_11comp_targetILNS1_3genE0ELNS1_11target_archE4294967295ELNS1_3gpuE0ELNS1_3repE0EEENS1_30default_config_static_selectorELNS0_4arch9wavefront6targetE0EEEvS12_,"axG",@progbits,_ZN7rocprim17ROCPRIM_400000_NS6detail17trampoline_kernelINS0_13select_configILj256ELj13ELNS0_17block_load_methodE3ELS4_3ELS4_3ELNS0_20block_scan_algorithmE0ELj4294967295EEENS1_25partition_config_selectorILNS1_17partition_subalgoE4EjNS0_10empty_typeEbEEZZNS1_14partition_implILS8_4ELb0ES6_15HIP_vector_typeIjLj2EENS0_17counting_iteratorIjlEEPS9_SG_NS0_5tupleIJPjSI_NS0_16reverse_iteratorISI_EEEEENSH_IJSG_SG_SG_EEES9_SI_JZNS1_25segmented_radix_sort_implINS0_14default_configELb1EPKiPiPKlPlN2at6native12_GLOBAL__N_18offset_tEEE10hipError_tPvRmT1_PNSt15iterator_traitsIS12_E10value_typeET2_T3_PNS13_IS18_E10value_typeET4_jRbjT5_S1E_jjP12ihipStream_tbEUljE_ZNSN_ISO_Lb1ESQ_SR_ST_SU_SY_EESZ_S10_S11_S12_S16_S17_S18_S1B_S1C_jS1D_jS1E_S1E_jjS1G_bEUljE0_EEESZ_S10_S11_S18_S1C_S1E_T6_T7_T9_mT8_S1G_bDpT10_ENKUlT_T0_E_clISt17integral_constantIbLb1EES1T_IbLb0EEEEDaS1P_S1Q_EUlS1P_E_NS1_11comp_targetILNS1_3genE0ELNS1_11target_archE4294967295ELNS1_3gpuE0ELNS1_3repE0EEENS1_30default_config_static_selectorELNS0_4arch9wavefront6targetE0EEEvS12_,comdat
	.globl	_ZN7rocprim17ROCPRIM_400000_NS6detail17trampoline_kernelINS0_13select_configILj256ELj13ELNS0_17block_load_methodE3ELS4_3ELS4_3ELNS0_20block_scan_algorithmE0ELj4294967295EEENS1_25partition_config_selectorILNS1_17partition_subalgoE4EjNS0_10empty_typeEbEEZZNS1_14partition_implILS8_4ELb0ES6_15HIP_vector_typeIjLj2EENS0_17counting_iteratorIjlEEPS9_SG_NS0_5tupleIJPjSI_NS0_16reverse_iteratorISI_EEEEENSH_IJSG_SG_SG_EEES9_SI_JZNS1_25segmented_radix_sort_implINS0_14default_configELb1EPKiPiPKlPlN2at6native12_GLOBAL__N_18offset_tEEE10hipError_tPvRmT1_PNSt15iterator_traitsIS12_E10value_typeET2_T3_PNS13_IS18_E10value_typeET4_jRbjT5_S1E_jjP12ihipStream_tbEUljE_ZNSN_ISO_Lb1ESQ_SR_ST_SU_SY_EESZ_S10_S11_S12_S16_S17_S18_S1B_S1C_jS1D_jS1E_S1E_jjS1G_bEUljE0_EEESZ_S10_S11_S18_S1C_S1E_T6_T7_T9_mT8_S1G_bDpT10_ENKUlT_T0_E_clISt17integral_constantIbLb1EES1T_IbLb0EEEEDaS1P_S1Q_EUlS1P_E_NS1_11comp_targetILNS1_3genE0ELNS1_11target_archE4294967295ELNS1_3gpuE0ELNS1_3repE0EEENS1_30default_config_static_selectorELNS0_4arch9wavefront6targetE0EEEvS12_ ; -- Begin function _ZN7rocprim17ROCPRIM_400000_NS6detail17trampoline_kernelINS0_13select_configILj256ELj13ELNS0_17block_load_methodE3ELS4_3ELS4_3ELNS0_20block_scan_algorithmE0ELj4294967295EEENS1_25partition_config_selectorILNS1_17partition_subalgoE4EjNS0_10empty_typeEbEEZZNS1_14partition_implILS8_4ELb0ES6_15HIP_vector_typeIjLj2EENS0_17counting_iteratorIjlEEPS9_SG_NS0_5tupleIJPjSI_NS0_16reverse_iteratorISI_EEEEENSH_IJSG_SG_SG_EEES9_SI_JZNS1_25segmented_radix_sort_implINS0_14default_configELb1EPKiPiPKlPlN2at6native12_GLOBAL__N_18offset_tEEE10hipError_tPvRmT1_PNSt15iterator_traitsIS12_E10value_typeET2_T3_PNS13_IS18_E10value_typeET4_jRbjT5_S1E_jjP12ihipStream_tbEUljE_ZNSN_ISO_Lb1ESQ_SR_ST_SU_SY_EESZ_S10_S11_S12_S16_S17_S18_S1B_S1C_jS1D_jS1E_S1E_jjS1G_bEUljE0_EEESZ_S10_S11_S18_S1C_S1E_T6_T7_T9_mT8_S1G_bDpT10_ENKUlT_T0_E_clISt17integral_constantIbLb1EES1T_IbLb0EEEEDaS1P_S1Q_EUlS1P_E_NS1_11comp_targetILNS1_3genE0ELNS1_11target_archE4294967295ELNS1_3gpuE0ELNS1_3repE0EEENS1_30default_config_static_selectorELNS0_4arch9wavefront6targetE0EEEvS12_
	.p2align	8
	.type	_ZN7rocprim17ROCPRIM_400000_NS6detail17trampoline_kernelINS0_13select_configILj256ELj13ELNS0_17block_load_methodE3ELS4_3ELS4_3ELNS0_20block_scan_algorithmE0ELj4294967295EEENS1_25partition_config_selectorILNS1_17partition_subalgoE4EjNS0_10empty_typeEbEEZZNS1_14partition_implILS8_4ELb0ES6_15HIP_vector_typeIjLj2EENS0_17counting_iteratorIjlEEPS9_SG_NS0_5tupleIJPjSI_NS0_16reverse_iteratorISI_EEEEENSH_IJSG_SG_SG_EEES9_SI_JZNS1_25segmented_radix_sort_implINS0_14default_configELb1EPKiPiPKlPlN2at6native12_GLOBAL__N_18offset_tEEE10hipError_tPvRmT1_PNSt15iterator_traitsIS12_E10value_typeET2_T3_PNS13_IS18_E10value_typeET4_jRbjT5_S1E_jjP12ihipStream_tbEUljE_ZNSN_ISO_Lb1ESQ_SR_ST_SU_SY_EESZ_S10_S11_S12_S16_S17_S18_S1B_S1C_jS1D_jS1E_S1E_jjS1G_bEUljE0_EEESZ_S10_S11_S18_S1C_S1E_T6_T7_T9_mT8_S1G_bDpT10_ENKUlT_T0_E_clISt17integral_constantIbLb1EES1T_IbLb0EEEEDaS1P_S1Q_EUlS1P_E_NS1_11comp_targetILNS1_3genE0ELNS1_11target_archE4294967295ELNS1_3gpuE0ELNS1_3repE0EEENS1_30default_config_static_selectorELNS0_4arch9wavefront6targetE0EEEvS12_,@function
_ZN7rocprim17ROCPRIM_400000_NS6detail17trampoline_kernelINS0_13select_configILj256ELj13ELNS0_17block_load_methodE3ELS4_3ELS4_3ELNS0_20block_scan_algorithmE0ELj4294967295EEENS1_25partition_config_selectorILNS1_17partition_subalgoE4EjNS0_10empty_typeEbEEZZNS1_14partition_implILS8_4ELb0ES6_15HIP_vector_typeIjLj2EENS0_17counting_iteratorIjlEEPS9_SG_NS0_5tupleIJPjSI_NS0_16reverse_iteratorISI_EEEEENSH_IJSG_SG_SG_EEES9_SI_JZNS1_25segmented_radix_sort_implINS0_14default_configELb1EPKiPiPKlPlN2at6native12_GLOBAL__N_18offset_tEEE10hipError_tPvRmT1_PNSt15iterator_traitsIS12_E10value_typeET2_T3_PNS13_IS18_E10value_typeET4_jRbjT5_S1E_jjP12ihipStream_tbEUljE_ZNSN_ISO_Lb1ESQ_SR_ST_SU_SY_EESZ_S10_S11_S12_S16_S17_S18_S1B_S1C_jS1D_jS1E_S1E_jjS1G_bEUljE0_EEESZ_S10_S11_S18_S1C_S1E_T6_T7_T9_mT8_S1G_bDpT10_ENKUlT_T0_E_clISt17integral_constantIbLb1EES1T_IbLb0EEEEDaS1P_S1Q_EUlS1P_E_NS1_11comp_targetILNS1_3genE0ELNS1_11target_archE4294967295ELNS1_3gpuE0ELNS1_3repE0EEENS1_30default_config_static_selectorELNS0_4arch9wavefront6targetE0EEEvS12_: ; @_ZN7rocprim17ROCPRIM_400000_NS6detail17trampoline_kernelINS0_13select_configILj256ELj13ELNS0_17block_load_methodE3ELS4_3ELS4_3ELNS0_20block_scan_algorithmE0ELj4294967295EEENS1_25partition_config_selectorILNS1_17partition_subalgoE4EjNS0_10empty_typeEbEEZZNS1_14partition_implILS8_4ELb0ES6_15HIP_vector_typeIjLj2EENS0_17counting_iteratorIjlEEPS9_SG_NS0_5tupleIJPjSI_NS0_16reverse_iteratorISI_EEEEENSH_IJSG_SG_SG_EEES9_SI_JZNS1_25segmented_radix_sort_implINS0_14default_configELb1EPKiPiPKlPlN2at6native12_GLOBAL__N_18offset_tEEE10hipError_tPvRmT1_PNSt15iterator_traitsIS12_E10value_typeET2_T3_PNS13_IS18_E10value_typeET4_jRbjT5_S1E_jjP12ihipStream_tbEUljE_ZNSN_ISO_Lb1ESQ_SR_ST_SU_SY_EESZ_S10_S11_S12_S16_S17_S18_S1B_S1C_jS1D_jS1E_S1E_jjS1G_bEUljE0_EEESZ_S10_S11_S18_S1C_S1E_T6_T7_T9_mT8_S1G_bDpT10_ENKUlT_T0_E_clISt17integral_constantIbLb1EES1T_IbLb0EEEEDaS1P_S1Q_EUlS1P_E_NS1_11comp_targetILNS1_3genE0ELNS1_11target_archE4294967295ELNS1_3gpuE0ELNS1_3repE0EEENS1_30default_config_static_selectorELNS0_4arch9wavefront6targetE0EEEvS12_
; %bb.0:
	.section	.rodata,"a",@progbits
	.p2align	6, 0x0
	.amdhsa_kernel _ZN7rocprim17ROCPRIM_400000_NS6detail17trampoline_kernelINS0_13select_configILj256ELj13ELNS0_17block_load_methodE3ELS4_3ELS4_3ELNS0_20block_scan_algorithmE0ELj4294967295EEENS1_25partition_config_selectorILNS1_17partition_subalgoE4EjNS0_10empty_typeEbEEZZNS1_14partition_implILS8_4ELb0ES6_15HIP_vector_typeIjLj2EENS0_17counting_iteratorIjlEEPS9_SG_NS0_5tupleIJPjSI_NS0_16reverse_iteratorISI_EEEEENSH_IJSG_SG_SG_EEES9_SI_JZNS1_25segmented_radix_sort_implINS0_14default_configELb1EPKiPiPKlPlN2at6native12_GLOBAL__N_18offset_tEEE10hipError_tPvRmT1_PNSt15iterator_traitsIS12_E10value_typeET2_T3_PNS13_IS18_E10value_typeET4_jRbjT5_S1E_jjP12ihipStream_tbEUljE_ZNSN_ISO_Lb1ESQ_SR_ST_SU_SY_EESZ_S10_S11_S12_S16_S17_S18_S1B_S1C_jS1D_jS1E_S1E_jjS1G_bEUljE0_EEESZ_S10_S11_S18_S1C_S1E_T6_T7_T9_mT8_S1G_bDpT10_ENKUlT_T0_E_clISt17integral_constantIbLb1EES1T_IbLb0EEEEDaS1P_S1Q_EUlS1P_E_NS1_11comp_targetILNS1_3genE0ELNS1_11target_archE4294967295ELNS1_3gpuE0ELNS1_3repE0EEENS1_30default_config_static_selectorELNS0_4arch9wavefront6targetE0EEEvS12_
		.amdhsa_group_segment_fixed_size 0
		.amdhsa_private_segment_fixed_size 0
		.amdhsa_kernarg_size 176
		.amdhsa_user_sgpr_count 6
		.amdhsa_user_sgpr_private_segment_buffer 1
		.amdhsa_user_sgpr_dispatch_ptr 0
		.amdhsa_user_sgpr_queue_ptr 0
		.amdhsa_user_sgpr_kernarg_segment_ptr 1
		.amdhsa_user_sgpr_dispatch_id 0
		.amdhsa_user_sgpr_flat_scratch_init 0
		.amdhsa_user_sgpr_private_segment_size 0
		.amdhsa_wavefront_size32 1
		.amdhsa_uses_dynamic_stack 0
		.amdhsa_system_sgpr_private_segment_wavefront_offset 0
		.amdhsa_system_sgpr_workgroup_id_x 1
		.amdhsa_system_sgpr_workgroup_id_y 0
		.amdhsa_system_sgpr_workgroup_id_z 0
		.amdhsa_system_sgpr_workgroup_info 0
		.amdhsa_system_vgpr_workitem_id 0
		.amdhsa_next_free_vgpr 1
		.amdhsa_next_free_sgpr 1
		.amdhsa_reserve_vcc 0
		.amdhsa_reserve_flat_scratch 0
		.amdhsa_float_round_mode_32 0
		.amdhsa_float_round_mode_16_64 0
		.amdhsa_float_denorm_mode_32 3
		.amdhsa_float_denorm_mode_16_64 3
		.amdhsa_dx10_clamp 1
		.amdhsa_ieee_mode 1
		.amdhsa_fp16_overflow 0
		.amdhsa_workgroup_processor_mode 1
		.amdhsa_memory_ordered 1
		.amdhsa_forward_progress 1
		.amdhsa_shared_vgpr_count 0
		.amdhsa_exception_fp_ieee_invalid_op 0
		.amdhsa_exception_fp_denorm_src 0
		.amdhsa_exception_fp_ieee_div_zero 0
		.amdhsa_exception_fp_ieee_overflow 0
		.amdhsa_exception_fp_ieee_underflow 0
		.amdhsa_exception_fp_ieee_inexact 0
		.amdhsa_exception_int_div_zero 0
	.end_amdhsa_kernel
	.section	.text._ZN7rocprim17ROCPRIM_400000_NS6detail17trampoline_kernelINS0_13select_configILj256ELj13ELNS0_17block_load_methodE3ELS4_3ELS4_3ELNS0_20block_scan_algorithmE0ELj4294967295EEENS1_25partition_config_selectorILNS1_17partition_subalgoE4EjNS0_10empty_typeEbEEZZNS1_14partition_implILS8_4ELb0ES6_15HIP_vector_typeIjLj2EENS0_17counting_iteratorIjlEEPS9_SG_NS0_5tupleIJPjSI_NS0_16reverse_iteratorISI_EEEEENSH_IJSG_SG_SG_EEES9_SI_JZNS1_25segmented_radix_sort_implINS0_14default_configELb1EPKiPiPKlPlN2at6native12_GLOBAL__N_18offset_tEEE10hipError_tPvRmT1_PNSt15iterator_traitsIS12_E10value_typeET2_T3_PNS13_IS18_E10value_typeET4_jRbjT5_S1E_jjP12ihipStream_tbEUljE_ZNSN_ISO_Lb1ESQ_SR_ST_SU_SY_EESZ_S10_S11_S12_S16_S17_S18_S1B_S1C_jS1D_jS1E_S1E_jjS1G_bEUljE0_EEESZ_S10_S11_S18_S1C_S1E_T6_T7_T9_mT8_S1G_bDpT10_ENKUlT_T0_E_clISt17integral_constantIbLb1EES1T_IbLb0EEEEDaS1P_S1Q_EUlS1P_E_NS1_11comp_targetILNS1_3genE0ELNS1_11target_archE4294967295ELNS1_3gpuE0ELNS1_3repE0EEENS1_30default_config_static_selectorELNS0_4arch9wavefront6targetE0EEEvS12_,"axG",@progbits,_ZN7rocprim17ROCPRIM_400000_NS6detail17trampoline_kernelINS0_13select_configILj256ELj13ELNS0_17block_load_methodE3ELS4_3ELS4_3ELNS0_20block_scan_algorithmE0ELj4294967295EEENS1_25partition_config_selectorILNS1_17partition_subalgoE4EjNS0_10empty_typeEbEEZZNS1_14partition_implILS8_4ELb0ES6_15HIP_vector_typeIjLj2EENS0_17counting_iteratorIjlEEPS9_SG_NS0_5tupleIJPjSI_NS0_16reverse_iteratorISI_EEEEENSH_IJSG_SG_SG_EEES9_SI_JZNS1_25segmented_radix_sort_implINS0_14default_configELb1EPKiPiPKlPlN2at6native12_GLOBAL__N_18offset_tEEE10hipError_tPvRmT1_PNSt15iterator_traitsIS12_E10value_typeET2_T3_PNS13_IS18_E10value_typeET4_jRbjT5_S1E_jjP12ihipStream_tbEUljE_ZNSN_ISO_Lb1ESQ_SR_ST_SU_SY_EESZ_S10_S11_S12_S16_S17_S18_S1B_S1C_jS1D_jS1E_S1E_jjS1G_bEUljE0_EEESZ_S10_S11_S18_S1C_S1E_T6_T7_T9_mT8_S1G_bDpT10_ENKUlT_T0_E_clISt17integral_constantIbLb1EES1T_IbLb0EEEEDaS1P_S1Q_EUlS1P_E_NS1_11comp_targetILNS1_3genE0ELNS1_11target_archE4294967295ELNS1_3gpuE0ELNS1_3repE0EEENS1_30default_config_static_selectorELNS0_4arch9wavefront6targetE0EEEvS12_,comdat
.Lfunc_end445:
	.size	_ZN7rocprim17ROCPRIM_400000_NS6detail17trampoline_kernelINS0_13select_configILj256ELj13ELNS0_17block_load_methodE3ELS4_3ELS4_3ELNS0_20block_scan_algorithmE0ELj4294967295EEENS1_25partition_config_selectorILNS1_17partition_subalgoE4EjNS0_10empty_typeEbEEZZNS1_14partition_implILS8_4ELb0ES6_15HIP_vector_typeIjLj2EENS0_17counting_iteratorIjlEEPS9_SG_NS0_5tupleIJPjSI_NS0_16reverse_iteratorISI_EEEEENSH_IJSG_SG_SG_EEES9_SI_JZNS1_25segmented_radix_sort_implINS0_14default_configELb1EPKiPiPKlPlN2at6native12_GLOBAL__N_18offset_tEEE10hipError_tPvRmT1_PNSt15iterator_traitsIS12_E10value_typeET2_T3_PNS13_IS18_E10value_typeET4_jRbjT5_S1E_jjP12ihipStream_tbEUljE_ZNSN_ISO_Lb1ESQ_SR_ST_SU_SY_EESZ_S10_S11_S12_S16_S17_S18_S1B_S1C_jS1D_jS1E_S1E_jjS1G_bEUljE0_EEESZ_S10_S11_S18_S1C_S1E_T6_T7_T9_mT8_S1G_bDpT10_ENKUlT_T0_E_clISt17integral_constantIbLb1EES1T_IbLb0EEEEDaS1P_S1Q_EUlS1P_E_NS1_11comp_targetILNS1_3genE0ELNS1_11target_archE4294967295ELNS1_3gpuE0ELNS1_3repE0EEENS1_30default_config_static_selectorELNS0_4arch9wavefront6targetE0EEEvS12_, .Lfunc_end445-_ZN7rocprim17ROCPRIM_400000_NS6detail17trampoline_kernelINS0_13select_configILj256ELj13ELNS0_17block_load_methodE3ELS4_3ELS4_3ELNS0_20block_scan_algorithmE0ELj4294967295EEENS1_25partition_config_selectorILNS1_17partition_subalgoE4EjNS0_10empty_typeEbEEZZNS1_14partition_implILS8_4ELb0ES6_15HIP_vector_typeIjLj2EENS0_17counting_iteratorIjlEEPS9_SG_NS0_5tupleIJPjSI_NS0_16reverse_iteratorISI_EEEEENSH_IJSG_SG_SG_EEES9_SI_JZNS1_25segmented_radix_sort_implINS0_14default_configELb1EPKiPiPKlPlN2at6native12_GLOBAL__N_18offset_tEEE10hipError_tPvRmT1_PNSt15iterator_traitsIS12_E10value_typeET2_T3_PNS13_IS18_E10value_typeET4_jRbjT5_S1E_jjP12ihipStream_tbEUljE_ZNSN_ISO_Lb1ESQ_SR_ST_SU_SY_EESZ_S10_S11_S12_S16_S17_S18_S1B_S1C_jS1D_jS1E_S1E_jjS1G_bEUljE0_EEESZ_S10_S11_S18_S1C_S1E_T6_T7_T9_mT8_S1G_bDpT10_ENKUlT_T0_E_clISt17integral_constantIbLb1EES1T_IbLb0EEEEDaS1P_S1Q_EUlS1P_E_NS1_11comp_targetILNS1_3genE0ELNS1_11target_archE4294967295ELNS1_3gpuE0ELNS1_3repE0EEENS1_30default_config_static_selectorELNS0_4arch9wavefront6targetE0EEEvS12_
                                        ; -- End function
	.set _ZN7rocprim17ROCPRIM_400000_NS6detail17trampoline_kernelINS0_13select_configILj256ELj13ELNS0_17block_load_methodE3ELS4_3ELS4_3ELNS0_20block_scan_algorithmE0ELj4294967295EEENS1_25partition_config_selectorILNS1_17partition_subalgoE4EjNS0_10empty_typeEbEEZZNS1_14partition_implILS8_4ELb0ES6_15HIP_vector_typeIjLj2EENS0_17counting_iteratorIjlEEPS9_SG_NS0_5tupleIJPjSI_NS0_16reverse_iteratorISI_EEEEENSH_IJSG_SG_SG_EEES9_SI_JZNS1_25segmented_radix_sort_implINS0_14default_configELb1EPKiPiPKlPlN2at6native12_GLOBAL__N_18offset_tEEE10hipError_tPvRmT1_PNSt15iterator_traitsIS12_E10value_typeET2_T3_PNS13_IS18_E10value_typeET4_jRbjT5_S1E_jjP12ihipStream_tbEUljE_ZNSN_ISO_Lb1ESQ_SR_ST_SU_SY_EESZ_S10_S11_S12_S16_S17_S18_S1B_S1C_jS1D_jS1E_S1E_jjS1G_bEUljE0_EEESZ_S10_S11_S18_S1C_S1E_T6_T7_T9_mT8_S1G_bDpT10_ENKUlT_T0_E_clISt17integral_constantIbLb1EES1T_IbLb0EEEEDaS1P_S1Q_EUlS1P_E_NS1_11comp_targetILNS1_3genE0ELNS1_11target_archE4294967295ELNS1_3gpuE0ELNS1_3repE0EEENS1_30default_config_static_selectorELNS0_4arch9wavefront6targetE0EEEvS12_.num_vgpr, 0
	.set _ZN7rocprim17ROCPRIM_400000_NS6detail17trampoline_kernelINS0_13select_configILj256ELj13ELNS0_17block_load_methodE3ELS4_3ELS4_3ELNS0_20block_scan_algorithmE0ELj4294967295EEENS1_25partition_config_selectorILNS1_17partition_subalgoE4EjNS0_10empty_typeEbEEZZNS1_14partition_implILS8_4ELb0ES6_15HIP_vector_typeIjLj2EENS0_17counting_iteratorIjlEEPS9_SG_NS0_5tupleIJPjSI_NS0_16reverse_iteratorISI_EEEEENSH_IJSG_SG_SG_EEES9_SI_JZNS1_25segmented_radix_sort_implINS0_14default_configELb1EPKiPiPKlPlN2at6native12_GLOBAL__N_18offset_tEEE10hipError_tPvRmT1_PNSt15iterator_traitsIS12_E10value_typeET2_T3_PNS13_IS18_E10value_typeET4_jRbjT5_S1E_jjP12ihipStream_tbEUljE_ZNSN_ISO_Lb1ESQ_SR_ST_SU_SY_EESZ_S10_S11_S12_S16_S17_S18_S1B_S1C_jS1D_jS1E_S1E_jjS1G_bEUljE0_EEESZ_S10_S11_S18_S1C_S1E_T6_T7_T9_mT8_S1G_bDpT10_ENKUlT_T0_E_clISt17integral_constantIbLb1EES1T_IbLb0EEEEDaS1P_S1Q_EUlS1P_E_NS1_11comp_targetILNS1_3genE0ELNS1_11target_archE4294967295ELNS1_3gpuE0ELNS1_3repE0EEENS1_30default_config_static_selectorELNS0_4arch9wavefront6targetE0EEEvS12_.num_agpr, 0
	.set _ZN7rocprim17ROCPRIM_400000_NS6detail17trampoline_kernelINS0_13select_configILj256ELj13ELNS0_17block_load_methodE3ELS4_3ELS4_3ELNS0_20block_scan_algorithmE0ELj4294967295EEENS1_25partition_config_selectorILNS1_17partition_subalgoE4EjNS0_10empty_typeEbEEZZNS1_14partition_implILS8_4ELb0ES6_15HIP_vector_typeIjLj2EENS0_17counting_iteratorIjlEEPS9_SG_NS0_5tupleIJPjSI_NS0_16reverse_iteratorISI_EEEEENSH_IJSG_SG_SG_EEES9_SI_JZNS1_25segmented_radix_sort_implINS0_14default_configELb1EPKiPiPKlPlN2at6native12_GLOBAL__N_18offset_tEEE10hipError_tPvRmT1_PNSt15iterator_traitsIS12_E10value_typeET2_T3_PNS13_IS18_E10value_typeET4_jRbjT5_S1E_jjP12ihipStream_tbEUljE_ZNSN_ISO_Lb1ESQ_SR_ST_SU_SY_EESZ_S10_S11_S12_S16_S17_S18_S1B_S1C_jS1D_jS1E_S1E_jjS1G_bEUljE0_EEESZ_S10_S11_S18_S1C_S1E_T6_T7_T9_mT8_S1G_bDpT10_ENKUlT_T0_E_clISt17integral_constantIbLb1EES1T_IbLb0EEEEDaS1P_S1Q_EUlS1P_E_NS1_11comp_targetILNS1_3genE0ELNS1_11target_archE4294967295ELNS1_3gpuE0ELNS1_3repE0EEENS1_30default_config_static_selectorELNS0_4arch9wavefront6targetE0EEEvS12_.numbered_sgpr, 0
	.set _ZN7rocprim17ROCPRIM_400000_NS6detail17trampoline_kernelINS0_13select_configILj256ELj13ELNS0_17block_load_methodE3ELS4_3ELS4_3ELNS0_20block_scan_algorithmE0ELj4294967295EEENS1_25partition_config_selectorILNS1_17partition_subalgoE4EjNS0_10empty_typeEbEEZZNS1_14partition_implILS8_4ELb0ES6_15HIP_vector_typeIjLj2EENS0_17counting_iteratorIjlEEPS9_SG_NS0_5tupleIJPjSI_NS0_16reverse_iteratorISI_EEEEENSH_IJSG_SG_SG_EEES9_SI_JZNS1_25segmented_radix_sort_implINS0_14default_configELb1EPKiPiPKlPlN2at6native12_GLOBAL__N_18offset_tEEE10hipError_tPvRmT1_PNSt15iterator_traitsIS12_E10value_typeET2_T3_PNS13_IS18_E10value_typeET4_jRbjT5_S1E_jjP12ihipStream_tbEUljE_ZNSN_ISO_Lb1ESQ_SR_ST_SU_SY_EESZ_S10_S11_S12_S16_S17_S18_S1B_S1C_jS1D_jS1E_S1E_jjS1G_bEUljE0_EEESZ_S10_S11_S18_S1C_S1E_T6_T7_T9_mT8_S1G_bDpT10_ENKUlT_T0_E_clISt17integral_constantIbLb1EES1T_IbLb0EEEEDaS1P_S1Q_EUlS1P_E_NS1_11comp_targetILNS1_3genE0ELNS1_11target_archE4294967295ELNS1_3gpuE0ELNS1_3repE0EEENS1_30default_config_static_selectorELNS0_4arch9wavefront6targetE0EEEvS12_.num_named_barrier, 0
	.set _ZN7rocprim17ROCPRIM_400000_NS6detail17trampoline_kernelINS0_13select_configILj256ELj13ELNS0_17block_load_methodE3ELS4_3ELS4_3ELNS0_20block_scan_algorithmE0ELj4294967295EEENS1_25partition_config_selectorILNS1_17partition_subalgoE4EjNS0_10empty_typeEbEEZZNS1_14partition_implILS8_4ELb0ES6_15HIP_vector_typeIjLj2EENS0_17counting_iteratorIjlEEPS9_SG_NS0_5tupleIJPjSI_NS0_16reverse_iteratorISI_EEEEENSH_IJSG_SG_SG_EEES9_SI_JZNS1_25segmented_radix_sort_implINS0_14default_configELb1EPKiPiPKlPlN2at6native12_GLOBAL__N_18offset_tEEE10hipError_tPvRmT1_PNSt15iterator_traitsIS12_E10value_typeET2_T3_PNS13_IS18_E10value_typeET4_jRbjT5_S1E_jjP12ihipStream_tbEUljE_ZNSN_ISO_Lb1ESQ_SR_ST_SU_SY_EESZ_S10_S11_S12_S16_S17_S18_S1B_S1C_jS1D_jS1E_S1E_jjS1G_bEUljE0_EEESZ_S10_S11_S18_S1C_S1E_T6_T7_T9_mT8_S1G_bDpT10_ENKUlT_T0_E_clISt17integral_constantIbLb1EES1T_IbLb0EEEEDaS1P_S1Q_EUlS1P_E_NS1_11comp_targetILNS1_3genE0ELNS1_11target_archE4294967295ELNS1_3gpuE0ELNS1_3repE0EEENS1_30default_config_static_selectorELNS0_4arch9wavefront6targetE0EEEvS12_.private_seg_size, 0
	.set _ZN7rocprim17ROCPRIM_400000_NS6detail17trampoline_kernelINS0_13select_configILj256ELj13ELNS0_17block_load_methodE3ELS4_3ELS4_3ELNS0_20block_scan_algorithmE0ELj4294967295EEENS1_25partition_config_selectorILNS1_17partition_subalgoE4EjNS0_10empty_typeEbEEZZNS1_14partition_implILS8_4ELb0ES6_15HIP_vector_typeIjLj2EENS0_17counting_iteratorIjlEEPS9_SG_NS0_5tupleIJPjSI_NS0_16reverse_iteratorISI_EEEEENSH_IJSG_SG_SG_EEES9_SI_JZNS1_25segmented_radix_sort_implINS0_14default_configELb1EPKiPiPKlPlN2at6native12_GLOBAL__N_18offset_tEEE10hipError_tPvRmT1_PNSt15iterator_traitsIS12_E10value_typeET2_T3_PNS13_IS18_E10value_typeET4_jRbjT5_S1E_jjP12ihipStream_tbEUljE_ZNSN_ISO_Lb1ESQ_SR_ST_SU_SY_EESZ_S10_S11_S12_S16_S17_S18_S1B_S1C_jS1D_jS1E_S1E_jjS1G_bEUljE0_EEESZ_S10_S11_S18_S1C_S1E_T6_T7_T9_mT8_S1G_bDpT10_ENKUlT_T0_E_clISt17integral_constantIbLb1EES1T_IbLb0EEEEDaS1P_S1Q_EUlS1P_E_NS1_11comp_targetILNS1_3genE0ELNS1_11target_archE4294967295ELNS1_3gpuE0ELNS1_3repE0EEENS1_30default_config_static_selectorELNS0_4arch9wavefront6targetE0EEEvS12_.uses_vcc, 0
	.set _ZN7rocprim17ROCPRIM_400000_NS6detail17trampoline_kernelINS0_13select_configILj256ELj13ELNS0_17block_load_methodE3ELS4_3ELS4_3ELNS0_20block_scan_algorithmE0ELj4294967295EEENS1_25partition_config_selectorILNS1_17partition_subalgoE4EjNS0_10empty_typeEbEEZZNS1_14partition_implILS8_4ELb0ES6_15HIP_vector_typeIjLj2EENS0_17counting_iteratorIjlEEPS9_SG_NS0_5tupleIJPjSI_NS0_16reverse_iteratorISI_EEEEENSH_IJSG_SG_SG_EEES9_SI_JZNS1_25segmented_radix_sort_implINS0_14default_configELb1EPKiPiPKlPlN2at6native12_GLOBAL__N_18offset_tEEE10hipError_tPvRmT1_PNSt15iterator_traitsIS12_E10value_typeET2_T3_PNS13_IS18_E10value_typeET4_jRbjT5_S1E_jjP12ihipStream_tbEUljE_ZNSN_ISO_Lb1ESQ_SR_ST_SU_SY_EESZ_S10_S11_S12_S16_S17_S18_S1B_S1C_jS1D_jS1E_S1E_jjS1G_bEUljE0_EEESZ_S10_S11_S18_S1C_S1E_T6_T7_T9_mT8_S1G_bDpT10_ENKUlT_T0_E_clISt17integral_constantIbLb1EES1T_IbLb0EEEEDaS1P_S1Q_EUlS1P_E_NS1_11comp_targetILNS1_3genE0ELNS1_11target_archE4294967295ELNS1_3gpuE0ELNS1_3repE0EEENS1_30default_config_static_selectorELNS0_4arch9wavefront6targetE0EEEvS12_.uses_flat_scratch, 0
	.set _ZN7rocprim17ROCPRIM_400000_NS6detail17trampoline_kernelINS0_13select_configILj256ELj13ELNS0_17block_load_methodE3ELS4_3ELS4_3ELNS0_20block_scan_algorithmE0ELj4294967295EEENS1_25partition_config_selectorILNS1_17partition_subalgoE4EjNS0_10empty_typeEbEEZZNS1_14partition_implILS8_4ELb0ES6_15HIP_vector_typeIjLj2EENS0_17counting_iteratorIjlEEPS9_SG_NS0_5tupleIJPjSI_NS0_16reverse_iteratorISI_EEEEENSH_IJSG_SG_SG_EEES9_SI_JZNS1_25segmented_radix_sort_implINS0_14default_configELb1EPKiPiPKlPlN2at6native12_GLOBAL__N_18offset_tEEE10hipError_tPvRmT1_PNSt15iterator_traitsIS12_E10value_typeET2_T3_PNS13_IS18_E10value_typeET4_jRbjT5_S1E_jjP12ihipStream_tbEUljE_ZNSN_ISO_Lb1ESQ_SR_ST_SU_SY_EESZ_S10_S11_S12_S16_S17_S18_S1B_S1C_jS1D_jS1E_S1E_jjS1G_bEUljE0_EEESZ_S10_S11_S18_S1C_S1E_T6_T7_T9_mT8_S1G_bDpT10_ENKUlT_T0_E_clISt17integral_constantIbLb1EES1T_IbLb0EEEEDaS1P_S1Q_EUlS1P_E_NS1_11comp_targetILNS1_3genE0ELNS1_11target_archE4294967295ELNS1_3gpuE0ELNS1_3repE0EEENS1_30default_config_static_selectorELNS0_4arch9wavefront6targetE0EEEvS12_.has_dyn_sized_stack, 0
	.set _ZN7rocprim17ROCPRIM_400000_NS6detail17trampoline_kernelINS0_13select_configILj256ELj13ELNS0_17block_load_methodE3ELS4_3ELS4_3ELNS0_20block_scan_algorithmE0ELj4294967295EEENS1_25partition_config_selectorILNS1_17partition_subalgoE4EjNS0_10empty_typeEbEEZZNS1_14partition_implILS8_4ELb0ES6_15HIP_vector_typeIjLj2EENS0_17counting_iteratorIjlEEPS9_SG_NS0_5tupleIJPjSI_NS0_16reverse_iteratorISI_EEEEENSH_IJSG_SG_SG_EEES9_SI_JZNS1_25segmented_radix_sort_implINS0_14default_configELb1EPKiPiPKlPlN2at6native12_GLOBAL__N_18offset_tEEE10hipError_tPvRmT1_PNSt15iterator_traitsIS12_E10value_typeET2_T3_PNS13_IS18_E10value_typeET4_jRbjT5_S1E_jjP12ihipStream_tbEUljE_ZNSN_ISO_Lb1ESQ_SR_ST_SU_SY_EESZ_S10_S11_S12_S16_S17_S18_S1B_S1C_jS1D_jS1E_S1E_jjS1G_bEUljE0_EEESZ_S10_S11_S18_S1C_S1E_T6_T7_T9_mT8_S1G_bDpT10_ENKUlT_T0_E_clISt17integral_constantIbLb1EES1T_IbLb0EEEEDaS1P_S1Q_EUlS1P_E_NS1_11comp_targetILNS1_3genE0ELNS1_11target_archE4294967295ELNS1_3gpuE0ELNS1_3repE0EEENS1_30default_config_static_selectorELNS0_4arch9wavefront6targetE0EEEvS12_.has_recursion, 0
	.set _ZN7rocprim17ROCPRIM_400000_NS6detail17trampoline_kernelINS0_13select_configILj256ELj13ELNS0_17block_load_methodE3ELS4_3ELS4_3ELNS0_20block_scan_algorithmE0ELj4294967295EEENS1_25partition_config_selectorILNS1_17partition_subalgoE4EjNS0_10empty_typeEbEEZZNS1_14partition_implILS8_4ELb0ES6_15HIP_vector_typeIjLj2EENS0_17counting_iteratorIjlEEPS9_SG_NS0_5tupleIJPjSI_NS0_16reverse_iteratorISI_EEEEENSH_IJSG_SG_SG_EEES9_SI_JZNS1_25segmented_radix_sort_implINS0_14default_configELb1EPKiPiPKlPlN2at6native12_GLOBAL__N_18offset_tEEE10hipError_tPvRmT1_PNSt15iterator_traitsIS12_E10value_typeET2_T3_PNS13_IS18_E10value_typeET4_jRbjT5_S1E_jjP12ihipStream_tbEUljE_ZNSN_ISO_Lb1ESQ_SR_ST_SU_SY_EESZ_S10_S11_S12_S16_S17_S18_S1B_S1C_jS1D_jS1E_S1E_jjS1G_bEUljE0_EEESZ_S10_S11_S18_S1C_S1E_T6_T7_T9_mT8_S1G_bDpT10_ENKUlT_T0_E_clISt17integral_constantIbLb1EES1T_IbLb0EEEEDaS1P_S1Q_EUlS1P_E_NS1_11comp_targetILNS1_3genE0ELNS1_11target_archE4294967295ELNS1_3gpuE0ELNS1_3repE0EEENS1_30default_config_static_selectorELNS0_4arch9wavefront6targetE0EEEvS12_.has_indirect_call, 0
	.section	.AMDGPU.csdata,"",@progbits
; Kernel info:
; codeLenInByte = 0
; TotalNumSgprs: 0
; NumVgprs: 0
; ScratchSize: 0
; MemoryBound: 0
; FloatMode: 240
; IeeeMode: 1
; LDSByteSize: 0 bytes/workgroup (compile time only)
; SGPRBlocks: 0
; VGPRBlocks: 0
; NumSGPRsForWavesPerEU: 1
; NumVGPRsForWavesPerEU: 1
; Occupancy: 16
; WaveLimiterHint : 0
; COMPUTE_PGM_RSRC2:SCRATCH_EN: 0
; COMPUTE_PGM_RSRC2:USER_SGPR: 6
; COMPUTE_PGM_RSRC2:TRAP_HANDLER: 0
; COMPUTE_PGM_RSRC2:TGID_X_EN: 1
; COMPUTE_PGM_RSRC2:TGID_Y_EN: 0
; COMPUTE_PGM_RSRC2:TGID_Z_EN: 0
; COMPUTE_PGM_RSRC2:TIDIG_COMP_CNT: 0
	.section	.text._ZN7rocprim17ROCPRIM_400000_NS6detail17trampoline_kernelINS0_13select_configILj256ELj13ELNS0_17block_load_methodE3ELS4_3ELS4_3ELNS0_20block_scan_algorithmE0ELj4294967295EEENS1_25partition_config_selectorILNS1_17partition_subalgoE4EjNS0_10empty_typeEbEEZZNS1_14partition_implILS8_4ELb0ES6_15HIP_vector_typeIjLj2EENS0_17counting_iteratorIjlEEPS9_SG_NS0_5tupleIJPjSI_NS0_16reverse_iteratorISI_EEEEENSH_IJSG_SG_SG_EEES9_SI_JZNS1_25segmented_radix_sort_implINS0_14default_configELb1EPKiPiPKlPlN2at6native12_GLOBAL__N_18offset_tEEE10hipError_tPvRmT1_PNSt15iterator_traitsIS12_E10value_typeET2_T3_PNS13_IS18_E10value_typeET4_jRbjT5_S1E_jjP12ihipStream_tbEUljE_ZNSN_ISO_Lb1ESQ_SR_ST_SU_SY_EESZ_S10_S11_S12_S16_S17_S18_S1B_S1C_jS1D_jS1E_S1E_jjS1G_bEUljE0_EEESZ_S10_S11_S18_S1C_S1E_T6_T7_T9_mT8_S1G_bDpT10_ENKUlT_T0_E_clISt17integral_constantIbLb1EES1T_IbLb0EEEEDaS1P_S1Q_EUlS1P_E_NS1_11comp_targetILNS1_3genE5ELNS1_11target_archE942ELNS1_3gpuE9ELNS1_3repE0EEENS1_30default_config_static_selectorELNS0_4arch9wavefront6targetE0EEEvS12_,"axG",@progbits,_ZN7rocprim17ROCPRIM_400000_NS6detail17trampoline_kernelINS0_13select_configILj256ELj13ELNS0_17block_load_methodE3ELS4_3ELS4_3ELNS0_20block_scan_algorithmE0ELj4294967295EEENS1_25partition_config_selectorILNS1_17partition_subalgoE4EjNS0_10empty_typeEbEEZZNS1_14partition_implILS8_4ELb0ES6_15HIP_vector_typeIjLj2EENS0_17counting_iteratorIjlEEPS9_SG_NS0_5tupleIJPjSI_NS0_16reverse_iteratorISI_EEEEENSH_IJSG_SG_SG_EEES9_SI_JZNS1_25segmented_radix_sort_implINS0_14default_configELb1EPKiPiPKlPlN2at6native12_GLOBAL__N_18offset_tEEE10hipError_tPvRmT1_PNSt15iterator_traitsIS12_E10value_typeET2_T3_PNS13_IS18_E10value_typeET4_jRbjT5_S1E_jjP12ihipStream_tbEUljE_ZNSN_ISO_Lb1ESQ_SR_ST_SU_SY_EESZ_S10_S11_S12_S16_S17_S18_S1B_S1C_jS1D_jS1E_S1E_jjS1G_bEUljE0_EEESZ_S10_S11_S18_S1C_S1E_T6_T7_T9_mT8_S1G_bDpT10_ENKUlT_T0_E_clISt17integral_constantIbLb1EES1T_IbLb0EEEEDaS1P_S1Q_EUlS1P_E_NS1_11comp_targetILNS1_3genE5ELNS1_11target_archE942ELNS1_3gpuE9ELNS1_3repE0EEENS1_30default_config_static_selectorELNS0_4arch9wavefront6targetE0EEEvS12_,comdat
	.globl	_ZN7rocprim17ROCPRIM_400000_NS6detail17trampoline_kernelINS0_13select_configILj256ELj13ELNS0_17block_load_methodE3ELS4_3ELS4_3ELNS0_20block_scan_algorithmE0ELj4294967295EEENS1_25partition_config_selectorILNS1_17partition_subalgoE4EjNS0_10empty_typeEbEEZZNS1_14partition_implILS8_4ELb0ES6_15HIP_vector_typeIjLj2EENS0_17counting_iteratorIjlEEPS9_SG_NS0_5tupleIJPjSI_NS0_16reverse_iteratorISI_EEEEENSH_IJSG_SG_SG_EEES9_SI_JZNS1_25segmented_radix_sort_implINS0_14default_configELb1EPKiPiPKlPlN2at6native12_GLOBAL__N_18offset_tEEE10hipError_tPvRmT1_PNSt15iterator_traitsIS12_E10value_typeET2_T3_PNS13_IS18_E10value_typeET4_jRbjT5_S1E_jjP12ihipStream_tbEUljE_ZNSN_ISO_Lb1ESQ_SR_ST_SU_SY_EESZ_S10_S11_S12_S16_S17_S18_S1B_S1C_jS1D_jS1E_S1E_jjS1G_bEUljE0_EEESZ_S10_S11_S18_S1C_S1E_T6_T7_T9_mT8_S1G_bDpT10_ENKUlT_T0_E_clISt17integral_constantIbLb1EES1T_IbLb0EEEEDaS1P_S1Q_EUlS1P_E_NS1_11comp_targetILNS1_3genE5ELNS1_11target_archE942ELNS1_3gpuE9ELNS1_3repE0EEENS1_30default_config_static_selectorELNS0_4arch9wavefront6targetE0EEEvS12_ ; -- Begin function _ZN7rocprim17ROCPRIM_400000_NS6detail17trampoline_kernelINS0_13select_configILj256ELj13ELNS0_17block_load_methodE3ELS4_3ELS4_3ELNS0_20block_scan_algorithmE0ELj4294967295EEENS1_25partition_config_selectorILNS1_17partition_subalgoE4EjNS0_10empty_typeEbEEZZNS1_14partition_implILS8_4ELb0ES6_15HIP_vector_typeIjLj2EENS0_17counting_iteratorIjlEEPS9_SG_NS0_5tupleIJPjSI_NS0_16reverse_iteratorISI_EEEEENSH_IJSG_SG_SG_EEES9_SI_JZNS1_25segmented_radix_sort_implINS0_14default_configELb1EPKiPiPKlPlN2at6native12_GLOBAL__N_18offset_tEEE10hipError_tPvRmT1_PNSt15iterator_traitsIS12_E10value_typeET2_T3_PNS13_IS18_E10value_typeET4_jRbjT5_S1E_jjP12ihipStream_tbEUljE_ZNSN_ISO_Lb1ESQ_SR_ST_SU_SY_EESZ_S10_S11_S12_S16_S17_S18_S1B_S1C_jS1D_jS1E_S1E_jjS1G_bEUljE0_EEESZ_S10_S11_S18_S1C_S1E_T6_T7_T9_mT8_S1G_bDpT10_ENKUlT_T0_E_clISt17integral_constantIbLb1EES1T_IbLb0EEEEDaS1P_S1Q_EUlS1P_E_NS1_11comp_targetILNS1_3genE5ELNS1_11target_archE942ELNS1_3gpuE9ELNS1_3repE0EEENS1_30default_config_static_selectorELNS0_4arch9wavefront6targetE0EEEvS12_
	.p2align	8
	.type	_ZN7rocprim17ROCPRIM_400000_NS6detail17trampoline_kernelINS0_13select_configILj256ELj13ELNS0_17block_load_methodE3ELS4_3ELS4_3ELNS0_20block_scan_algorithmE0ELj4294967295EEENS1_25partition_config_selectorILNS1_17partition_subalgoE4EjNS0_10empty_typeEbEEZZNS1_14partition_implILS8_4ELb0ES6_15HIP_vector_typeIjLj2EENS0_17counting_iteratorIjlEEPS9_SG_NS0_5tupleIJPjSI_NS0_16reverse_iteratorISI_EEEEENSH_IJSG_SG_SG_EEES9_SI_JZNS1_25segmented_radix_sort_implINS0_14default_configELb1EPKiPiPKlPlN2at6native12_GLOBAL__N_18offset_tEEE10hipError_tPvRmT1_PNSt15iterator_traitsIS12_E10value_typeET2_T3_PNS13_IS18_E10value_typeET4_jRbjT5_S1E_jjP12ihipStream_tbEUljE_ZNSN_ISO_Lb1ESQ_SR_ST_SU_SY_EESZ_S10_S11_S12_S16_S17_S18_S1B_S1C_jS1D_jS1E_S1E_jjS1G_bEUljE0_EEESZ_S10_S11_S18_S1C_S1E_T6_T7_T9_mT8_S1G_bDpT10_ENKUlT_T0_E_clISt17integral_constantIbLb1EES1T_IbLb0EEEEDaS1P_S1Q_EUlS1P_E_NS1_11comp_targetILNS1_3genE5ELNS1_11target_archE942ELNS1_3gpuE9ELNS1_3repE0EEENS1_30default_config_static_selectorELNS0_4arch9wavefront6targetE0EEEvS12_,@function
_ZN7rocprim17ROCPRIM_400000_NS6detail17trampoline_kernelINS0_13select_configILj256ELj13ELNS0_17block_load_methodE3ELS4_3ELS4_3ELNS0_20block_scan_algorithmE0ELj4294967295EEENS1_25partition_config_selectorILNS1_17partition_subalgoE4EjNS0_10empty_typeEbEEZZNS1_14partition_implILS8_4ELb0ES6_15HIP_vector_typeIjLj2EENS0_17counting_iteratorIjlEEPS9_SG_NS0_5tupleIJPjSI_NS0_16reverse_iteratorISI_EEEEENSH_IJSG_SG_SG_EEES9_SI_JZNS1_25segmented_radix_sort_implINS0_14default_configELb1EPKiPiPKlPlN2at6native12_GLOBAL__N_18offset_tEEE10hipError_tPvRmT1_PNSt15iterator_traitsIS12_E10value_typeET2_T3_PNS13_IS18_E10value_typeET4_jRbjT5_S1E_jjP12ihipStream_tbEUljE_ZNSN_ISO_Lb1ESQ_SR_ST_SU_SY_EESZ_S10_S11_S12_S16_S17_S18_S1B_S1C_jS1D_jS1E_S1E_jjS1G_bEUljE0_EEESZ_S10_S11_S18_S1C_S1E_T6_T7_T9_mT8_S1G_bDpT10_ENKUlT_T0_E_clISt17integral_constantIbLb1EES1T_IbLb0EEEEDaS1P_S1Q_EUlS1P_E_NS1_11comp_targetILNS1_3genE5ELNS1_11target_archE942ELNS1_3gpuE9ELNS1_3repE0EEENS1_30default_config_static_selectorELNS0_4arch9wavefront6targetE0EEEvS12_: ; @_ZN7rocprim17ROCPRIM_400000_NS6detail17trampoline_kernelINS0_13select_configILj256ELj13ELNS0_17block_load_methodE3ELS4_3ELS4_3ELNS0_20block_scan_algorithmE0ELj4294967295EEENS1_25partition_config_selectorILNS1_17partition_subalgoE4EjNS0_10empty_typeEbEEZZNS1_14partition_implILS8_4ELb0ES6_15HIP_vector_typeIjLj2EENS0_17counting_iteratorIjlEEPS9_SG_NS0_5tupleIJPjSI_NS0_16reverse_iteratorISI_EEEEENSH_IJSG_SG_SG_EEES9_SI_JZNS1_25segmented_radix_sort_implINS0_14default_configELb1EPKiPiPKlPlN2at6native12_GLOBAL__N_18offset_tEEE10hipError_tPvRmT1_PNSt15iterator_traitsIS12_E10value_typeET2_T3_PNS13_IS18_E10value_typeET4_jRbjT5_S1E_jjP12ihipStream_tbEUljE_ZNSN_ISO_Lb1ESQ_SR_ST_SU_SY_EESZ_S10_S11_S12_S16_S17_S18_S1B_S1C_jS1D_jS1E_S1E_jjS1G_bEUljE0_EEESZ_S10_S11_S18_S1C_S1E_T6_T7_T9_mT8_S1G_bDpT10_ENKUlT_T0_E_clISt17integral_constantIbLb1EES1T_IbLb0EEEEDaS1P_S1Q_EUlS1P_E_NS1_11comp_targetILNS1_3genE5ELNS1_11target_archE942ELNS1_3gpuE9ELNS1_3repE0EEENS1_30default_config_static_selectorELNS0_4arch9wavefront6targetE0EEEvS12_
; %bb.0:
	.section	.rodata,"a",@progbits
	.p2align	6, 0x0
	.amdhsa_kernel _ZN7rocprim17ROCPRIM_400000_NS6detail17trampoline_kernelINS0_13select_configILj256ELj13ELNS0_17block_load_methodE3ELS4_3ELS4_3ELNS0_20block_scan_algorithmE0ELj4294967295EEENS1_25partition_config_selectorILNS1_17partition_subalgoE4EjNS0_10empty_typeEbEEZZNS1_14partition_implILS8_4ELb0ES6_15HIP_vector_typeIjLj2EENS0_17counting_iteratorIjlEEPS9_SG_NS0_5tupleIJPjSI_NS0_16reverse_iteratorISI_EEEEENSH_IJSG_SG_SG_EEES9_SI_JZNS1_25segmented_radix_sort_implINS0_14default_configELb1EPKiPiPKlPlN2at6native12_GLOBAL__N_18offset_tEEE10hipError_tPvRmT1_PNSt15iterator_traitsIS12_E10value_typeET2_T3_PNS13_IS18_E10value_typeET4_jRbjT5_S1E_jjP12ihipStream_tbEUljE_ZNSN_ISO_Lb1ESQ_SR_ST_SU_SY_EESZ_S10_S11_S12_S16_S17_S18_S1B_S1C_jS1D_jS1E_S1E_jjS1G_bEUljE0_EEESZ_S10_S11_S18_S1C_S1E_T6_T7_T9_mT8_S1G_bDpT10_ENKUlT_T0_E_clISt17integral_constantIbLb1EES1T_IbLb0EEEEDaS1P_S1Q_EUlS1P_E_NS1_11comp_targetILNS1_3genE5ELNS1_11target_archE942ELNS1_3gpuE9ELNS1_3repE0EEENS1_30default_config_static_selectorELNS0_4arch9wavefront6targetE0EEEvS12_
		.amdhsa_group_segment_fixed_size 0
		.amdhsa_private_segment_fixed_size 0
		.amdhsa_kernarg_size 176
		.amdhsa_user_sgpr_count 6
		.amdhsa_user_sgpr_private_segment_buffer 1
		.amdhsa_user_sgpr_dispatch_ptr 0
		.amdhsa_user_sgpr_queue_ptr 0
		.amdhsa_user_sgpr_kernarg_segment_ptr 1
		.amdhsa_user_sgpr_dispatch_id 0
		.amdhsa_user_sgpr_flat_scratch_init 0
		.amdhsa_user_sgpr_private_segment_size 0
		.amdhsa_wavefront_size32 1
		.amdhsa_uses_dynamic_stack 0
		.amdhsa_system_sgpr_private_segment_wavefront_offset 0
		.amdhsa_system_sgpr_workgroup_id_x 1
		.amdhsa_system_sgpr_workgroup_id_y 0
		.amdhsa_system_sgpr_workgroup_id_z 0
		.amdhsa_system_sgpr_workgroup_info 0
		.amdhsa_system_vgpr_workitem_id 0
		.amdhsa_next_free_vgpr 1
		.amdhsa_next_free_sgpr 1
		.amdhsa_reserve_vcc 0
		.amdhsa_reserve_flat_scratch 0
		.amdhsa_float_round_mode_32 0
		.amdhsa_float_round_mode_16_64 0
		.amdhsa_float_denorm_mode_32 3
		.amdhsa_float_denorm_mode_16_64 3
		.amdhsa_dx10_clamp 1
		.amdhsa_ieee_mode 1
		.amdhsa_fp16_overflow 0
		.amdhsa_workgroup_processor_mode 1
		.amdhsa_memory_ordered 1
		.amdhsa_forward_progress 1
		.amdhsa_shared_vgpr_count 0
		.amdhsa_exception_fp_ieee_invalid_op 0
		.amdhsa_exception_fp_denorm_src 0
		.amdhsa_exception_fp_ieee_div_zero 0
		.amdhsa_exception_fp_ieee_overflow 0
		.amdhsa_exception_fp_ieee_underflow 0
		.amdhsa_exception_fp_ieee_inexact 0
		.amdhsa_exception_int_div_zero 0
	.end_amdhsa_kernel
	.section	.text._ZN7rocprim17ROCPRIM_400000_NS6detail17trampoline_kernelINS0_13select_configILj256ELj13ELNS0_17block_load_methodE3ELS4_3ELS4_3ELNS0_20block_scan_algorithmE0ELj4294967295EEENS1_25partition_config_selectorILNS1_17partition_subalgoE4EjNS0_10empty_typeEbEEZZNS1_14partition_implILS8_4ELb0ES6_15HIP_vector_typeIjLj2EENS0_17counting_iteratorIjlEEPS9_SG_NS0_5tupleIJPjSI_NS0_16reverse_iteratorISI_EEEEENSH_IJSG_SG_SG_EEES9_SI_JZNS1_25segmented_radix_sort_implINS0_14default_configELb1EPKiPiPKlPlN2at6native12_GLOBAL__N_18offset_tEEE10hipError_tPvRmT1_PNSt15iterator_traitsIS12_E10value_typeET2_T3_PNS13_IS18_E10value_typeET4_jRbjT5_S1E_jjP12ihipStream_tbEUljE_ZNSN_ISO_Lb1ESQ_SR_ST_SU_SY_EESZ_S10_S11_S12_S16_S17_S18_S1B_S1C_jS1D_jS1E_S1E_jjS1G_bEUljE0_EEESZ_S10_S11_S18_S1C_S1E_T6_T7_T9_mT8_S1G_bDpT10_ENKUlT_T0_E_clISt17integral_constantIbLb1EES1T_IbLb0EEEEDaS1P_S1Q_EUlS1P_E_NS1_11comp_targetILNS1_3genE5ELNS1_11target_archE942ELNS1_3gpuE9ELNS1_3repE0EEENS1_30default_config_static_selectorELNS0_4arch9wavefront6targetE0EEEvS12_,"axG",@progbits,_ZN7rocprim17ROCPRIM_400000_NS6detail17trampoline_kernelINS0_13select_configILj256ELj13ELNS0_17block_load_methodE3ELS4_3ELS4_3ELNS0_20block_scan_algorithmE0ELj4294967295EEENS1_25partition_config_selectorILNS1_17partition_subalgoE4EjNS0_10empty_typeEbEEZZNS1_14partition_implILS8_4ELb0ES6_15HIP_vector_typeIjLj2EENS0_17counting_iteratorIjlEEPS9_SG_NS0_5tupleIJPjSI_NS0_16reverse_iteratorISI_EEEEENSH_IJSG_SG_SG_EEES9_SI_JZNS1_25segmented_radix_sort_implINS0_14default_configELb1EPKiPiPKlPlN2at6native12_GLOBAL__N_18offset_tEEE10hipError_tPvRmT1_PNSt15iterator_traitsIS12_E10value_typeET2_T3_PNS13_IS18_E10value_typeET4_jRbjT5_S1E_jjP12ihipStream_tbEUljE_ZNSN_ISO_Lb1ESQ_SR_ST_SU_SY_EESZ_S10_S11_S12_S16_S17_S18_S1B_S1C_jS1D_jS1E_S1E_jjS1G_bEUljE0_EEESZ_S10_S11_S18_S1C_S1E_T6_T7_T9_mT8_S1G_bDpT10_ENKUlT_T0_E_clISt17integral_constantIbLb1EES1T_IbLb0EEEEDaS1P_S1Q_EUlS1P_E_NS1_11comp_targetILNS1_3genE5ELNS1_11target_archE942ELNS1_3gpuE9ELNS1_3repE0EEENS1_30default_config_static_selectorELNS0_4arch9wavefront6targetE0EEEvS12_,comdat
.Lfunc_end446:
	.size	_ZN7rocprim17ROCPRIM_400000_NS6detail17trampoline_kernelINS0_13select_configILj256ELj13ELNS0_17block_load_methodE3ELS4_3ELS4_3ELNS0_20block_scan_algorithmE0ELj4294967295EEENS1_25partition_config_selectorILNS1_17partition_subalgoE4EjNS0_10empty_typeEbEEZZNS1_14partition_implILS8_4ELb0ES6_15HIP_vector_typeIjLj2EENS0_17counting_iteratorIjlEEPS9_SG_NS0_5tupleIJPjSI_NS0_16reverse_iteratorISI_EEEEENSH_IJSG_SG_SG_EEES9_SI_JZNS1_25segmented_radix_sort_implINS0_14default_configELb1EPKiPiPKlPlN2at6native12_GLOBAL__N_18offset_tEEE10hipError_tPvRmT1_PNSt15iterator_traitsIS12_E10value_typeET2_T3_PNS13_IS18_E10value_typeET4_jRbjT5_S1E_jjP12ihipStream_tbEUljE_ZNSN_ISO_Lb1ESQ_SR_ST_SU_SY_EESZ_S10_S11_S12_S16_S17_S18_S1B_S1C_jS1D_jS1E_S1E_jjS1G_bEUljE0_EEESZ_S10_S11_S18_S1C_S1E_T6_T7_T9_mT8_S1G_bDpT10_ENKUlT_T0_E_clISt17integral_constantIbLb1EES1T_IbLb0EEEEDaS1P_S1Q_EUlS1P_E_NS1_11comp_targetILNS1_3genE5ELNS1_11target_archE942ELNS1_3gpuE9ELNS1_3repE0EEENS1_30default_config_static_selectorELNS0_4arch9wavefront6targetE0EEEvS12_, .Lfunc_end446-_ZN7rocprim17ROCPRIM_400000_NS6detail17trampoline_kernelINS0_13select_configILj256ELj13ELNS0_17block_load_methodE3ELS4_3ELS4_3ELNS0_20block_scan_algorithmE0ELj4294967295EEENS1_25partition_config_selectorILNS1_17partition_subalgoE4EjNS0_10empty_typeEbEEZZNS1_14partition_implILS8_4ELb0ES6_15HIP_vector_typeIjLj2EENS0_17counting_iteratorIjlEEPS9_SG_NS0_5tupleIJPjSI_NS0_16reverse_iteratorISI_EEEEENSH_IJSG_SG_SG_EEES9_SI_JZNS1_25segmented_radix_sort_implINS0_14default_configELb1EPKiPiPKlPlN2at6native12_GLOBAL__N_18offset_tEEE10hipError_tPvRmT1_PNSt15iterator_traitsIS12_E10value_typeET2_T3_PNS13_IS18_E10value_typeET4_jRbjT5_S1E_jjP12ihipStream_tbEUljE_ZNSN_ISO_Lb1ESQ_SR_ST_SU_SY_EESZ_S10_S11_S12_S16_S17_S18_S1B_S1C_jS1D_jS1E_S1E_jjS1G_bEUljE0_EEESZ_S10_S11_S18_S1C_S1E_T6_T7_T9_mT8_S1G_bDpT10_ENKUlT_T0_E_clISt17integral_constantIbLb1EES1T_IbLb0EEEEDaS1P_S1Q_EUlS1P_E_NS1_11comp_targetILNS1_3genE5ELNS1_11target_archE942ELNS1_3gpuE9ELNS1_3repE0EEENS1_30default_config_static_selectorELNS0_4arch9wavefront6targetE0EEEvS12_
                                        ; -- End function
	.set _ZN7rocprim17ROCPRIM_400000_NS6detail17trampoline_kernelINS0_13select_configILj256ELj13ELNS0_17block_load_methodE3ELS4_3ELS4_3ELNS0_20block_scan_algorithmE0ELj4294967295EEENS1_25partition_config_selectorILNS1_17partition_subalgoE4EjNS0_10empty_typeEbEEZZNS1_14partition_implILS8_4ELb0ES6_15HIP_vector_typeIjLj2EENS0_17counting_iteratorIjlEEPS9_SG_NS0_5tupleIJPjSI_NS0_16reverse_iteratorISI_EEEEENSH_IJSG_SG_SG_EEES9_SI_JZNS1_25segmented_radix_sort_implINS0_14default_configELb1EPKiPiPKlPlN2at6native12_GLOBAL__N_18offset_tEEE10hipError_tPvRmT1_PNSt15iterator_traitsIS12_E10value_typeET2_T3_PNS13_IS18_E10value_typeET4_jRbjT5_S1E_jjP12ihipStream_tbEUljE_ZNSN_ISO_Lb1ESQ_SR_ST_SU_SY_EESZ_S10_S11_S12_S16_S17_S18_S1B_S1C_jS1D_jS1E_S1E_jjS1G_bEUljE0_EEESZ_S10_S11_S18_S1C_S1E_T6_T7_T9_mT8_S1G_bDpT10_ENKUlT_T0_E_clISt17integral_constantIbLb1EES1T_IbLb0EEEEDaS1P_S1Q_EUlS1P_E_NS1_11comp_targetILNS1_3genE5ELNS1_11target_archE942ELNS1_3gpuE9ELNS1_3repE0EEENS1_30default_config_static_selectorELNS0_4arch9wavefront6targetE0EEEvS12_.num_vgpr, 0
	.set _ZN7rocprim17ROCPRIM_400000_NS6detail17trampoline_kernelINS0_13select_configILj256ELj13ELNS0_17block_load_methodE3ELS4_3ELS4_3ELNS0_20block_scan_algorithmE0ELj4294967295EEENS1_25partition_config_selectorILNS1_17partition_subalgoE4EjNS0_10empty_typeEbEEZZNS1_14partition_implILS8_4ELb0ES6_15HIP_vector_typeIjLj2EENS0_17counting_iteratorIjlEEPS9_SG_NS0_5tupleIJPjSI_NS0_16reverse_iteratorISI_EEEEENSH_IJSG_SG_SG_EEES9_SI_JZNS1_25segmented_radix_sort_implINS0_14default_configELb1EPKiPiPKlPlN2at6native12_GLOBAL__N_18offset_tEEE10hipError_tPvRmT1_PNSt15iterator_traitsIS12_E10value_typeET2_T3_PNS13_IS18_E10value_typeET4_jRbjT5_S1E_jjP12ihipStream_tbEUljE_ZNSN_ISO_Lb1ESQ_SR_ST_SU_SY_EESZ_S10_S11_S12_S16_S17_S18_S1B_S1C_jS1D_jS1E_S1E_jjS1G_bEUljE0_EEESZ_S10_S11_S18_S1C_S1E_T6_T7_T9_mT8_S1G_bDpT10_ENKUlT_T0_E_clISt17integral_constantIbLb1EES1T_IbLb0EEEEDaS1P_S1Q_EUlS1P_E_NS1_11comp_targetILNS1_3genE5ELNS1_11target_archE942ELNS1_3gpuE9ELNS1_3repE0EEENS1_30default_config_static_selectorELNS0_4arch9wavefront6targetE0EEEvS12_.num_agpr, 0
	.set _ZN7rocprim17ROCPRIM_400000_NS6detail17trampoline_kernelINS0_13select_configILj256ELj13ELNS0_17block_load_methodE3ELS4_3ELS4_3ELNS0_20block_scan_algorithmE0ELj4294967295EEENS1_25partition_config_selectorILNS1_17partition_subalgoE4EjNS0_10empty_typeEbEEZZNS1_14partition_implILS8_4ELb0ES6_15HIP_vector_typeIjLj2EENS0_17counting_iteratorIjlEEPS9_SG_NS0_5tupleIJPjSI_NS0_16reverse_iteratorISI_EEEEENSH_IJSG_SG_SG_EEES9_SI_JZNS1_25segmented_radix_sort_implINS0_14default_configELb1EPKiPiPKlPlN2at6native12_GLOBAL__N_18offset_tEEE10hipError_tPvRmT1_PNSt15iterator_traitsIS12_E10value_typeET2_T3_PNS13_IS18_E10value_typeET4_jRbjT5_S1E_jjP12ihipStream_tbEUljE_ZNSN_ISO_Lb1ESQ_SR_ST_SU_SY_EESZ_S10_S11_S12_S16_S17_S18_S1B_S1C_jS1D_jS1E_S1E_jjS1G_bEUljE0_EEESZ_S10_S11_S18_S1C_S1E_T6_T7_T9_mT8_S1G_bDpT10_ENKUlT_T0_E_clISt17integral_constantIbLb1EES1T_IbLb0EEEEDaS1P_S1Q_EUlS1P_E_NS1_11comp_targetILNS1_3genE5ELNS1_11target_archE942ELNS1_3gpuE9ELNS1_3repE0EEENS1_30default_config_static_selectorELNS0_4arch9wavefront6targetE0EEEvS12_.numbered_sgpr, 0
	.set _ZN7rocprim17ROCPRIM_400000_NS6detail17trampoline_kernelINS0_13select_configILj256ELj13ELNS0_17block_load_methodE3ELS4_3ELS4_3ELNS0_20block_scan_algorithmE0ELj4294967295EEENS1_25partition_config_selectorILNS1_17partition_subalgoE4EjNS0_10empty_typeEbEEZZNS1_14partition_implILS8_4ELb0ES6_15HIP_vector_typeIjLj2EENS0_17counting_iteratorIjlEEPS9_SG_NS0_5tupleIJPjSI_NS0_16reverse_iteratorISI_EEEEENSH_IJSG_SG_SG_EEES9_SI_JZNS1_25segmented_radix_sort_implINS0_14default_configELb1EPKiPiPKlPlN2at6native12_GLOBAL__N_18offset_tEEE10hipError_tPvRmT1_PNSt15iterator_traitsIS12_E10value_typeET2_T3_PNS13_IS18_E10value_typeET4_jRbjT5_S1E_jjP12ihipStream_tbEUljE_ZNSN_ISO_Lb1ESQ_SR_ST_SU_SY_EESZ_S10_S11_S12_S16_S17_S18_S1B_S1C_jS1D_jS1E_S1E_jjS1G_bEUljE0_EEESZ_S10_S11_S18_S1C_S1E_T6_T7_T9_mT8_S1G_bDpT10_ENKUlT_T0_E_clISt17integral_constantIbLb1EES1T_IbLb0EEEEDaS1P_S1Q_EUlS1P_E_NS1_11comp_targetILNS1_3genE5ELNS1_11target_archE942ELNS1_3gpuE9ELNS1_3repE0EEENS1_30default_config_static_selectorELNS0_4arch9wavefront6targetE0EEEvS12_.num_named_barrier, 0
	.set _ZN7rocprim17ROCPRIM_400000_NS6detail17trampoline_kernelINS0_13select_configILj256ELj13ELNS0_17block_load_methodE3ELS4_3ELS4_3ELNS0_20block_scan_algorithmE0ELj4294967295EEENS1_25partition_config_selectorILNS1_17partition_subalgoE4EjNS0_10empty_typeEbEEZZNS1_14partition_implILS8_4ELb0ES6_15HIP_vector_typeIjLj2EENS0_17counting_iteratorIjlEEPS9_SG_NS0_5tupleIJPjSI_NS0_16reverse_iteratorISI_EEEEENSH_IJSG_SG_SG_EEES9_SI_JZNS1_25segmented_radix_sort_implINS0_14default_configELb1EPKiPiPKlPlN2at6native12_GLOBAL__N_18offset_tEEE10hipError_tPvRmT1_PNSt15iterator_traitsIS12_E10value_typeET2_T3_PNS13_IS18_E10value_typeET4_jRbjT5_S1E_jjP12ihipStream_tbEUljE_ZNSN_ISO_Lb1ESQ_SR_ST_SU_SY_EESZ_S10_S11_S12_S16_S17_S18_S1B_S1C_jS1D_jS1E_S1E_jjS1G_bEUljE0_EEESZ_S10_S11_S18_S1C_S1E_T6_T7_T9_mT8_S1G_bDpT10_ENKUlT_T0_E_clISt17integral_constantIbLb1EES1T_IbLb0EEEEDaS1P_S1Q_EUlS1P_E_NS1_11comp_targetILNS1_3genE5ELNS1_11target_archE942ELNS1_3gpuE9ELNS1_3repE0EEENS1_30default_config_static_selectorELNS0_4arch9wavefront6targetE0EEEvS12_.private_seg_size, 0
	.set _ZN7rocprim17ROCPRIM_400000_NS6detail17trampoline_kernelINS0_13select_configILj256ELj13ELNS0_17block_load_methodE3ELS4_3ELS4_3ELNS0_20block_scan_algorithmE0ELj4294967295EEENS1_25partition_config_selectorILNS1_17partition_subalgoE4EjNS0_10empty_typeEbEEZZNS1_14partition_implILS8_4ELb0ES6_15HIP_vector_typeIjLj2EENS0_17counting_iteratorIjlEEPS9_SG_NS0_5tupleIJPjSI_NS0_16reverse_iteratorISI_EEEEENSH_IJSG_SG_SG_EEES9_SI_JZNS1_25segmented_radix_sort_implINS0_14default_configELb1EPKiPiPKlPlN2at6native12_GLOBAL__N_18offset_tEEE10hipError_tPvRmT1_PNSt15iterator_traitsIS12_E10value_typeET2_T3_PNS13_IS18_E10value_typeET4_jRbjT5_S1E_jjP12ihipStream_tbEUljE_ZNSN_ISO_Lb1ESQ_SR_ST_SU_SY_EESZ_S10_S11_S12_S16_S17_S18_S1B_S1C_jS1D_jS1E_S1E_jjS1G_bEUljE0_EEESZ_S10_S11_S18_S1C_S1E_T6_T7_T9_mT8_S1G_bDpT10_ENKUlT_T0_E_clISt17integral_constantIbLb1EES1T_IbLb0EEEEDaS1P_S1Q_EUlS1P_E_NS1_11comp_targetILNS1_3genE5ELNS1_11target_archE942ELNS1_3gpuE9ELNS1_3repE0EEENS1_30default_config_static_selectorELNS0_4arch9wavefront6targetE0EEEvS12_.uses_vcc, 0
	.set _ZN7rocprim17ROCPRIM_400000_NS6detail17trampoline_kernelINS0_13select_configILj256ELj13ELNS0_17block_load_methodE3ELS4_3ELS4_3ELNS0_20block_scan_algorithmE0ELj4294967295EEENS1_25partition_config_selectorILNS1_17partition_subalgoE4EjNS0_10empty_typeEbEEZZNS1_14partition_implILS8_4ELb0ES6_15HIP_vector_typeIjLj2EENS0_17counting_iteratorIjlEEPS9_SG_NS0_5tupleIJPjSI_NS0_16reverse_iteratorISI_EEEEENSH_IJSG_SG_SG_EEES9_SI_JZNS1_25segmented_radix_sort_implINS0_14default_configELb1EPKiPiPKlPlN2at6native12_GLOBAL__N_18offset_tEEE10hipError_tPvRmT1_PNSt15iterator_traitsIS12_E10value_typeET2_T3_PNS13_IS18_E10value_typeET4_jRbjT5_S1E_jjP12ihipStream_tbEUljE_ZNSN_ISO_Lb1ESQ_SR_ST_SU_SY_EESZ_S10_S11_S12_S16_S17_S18_S1B_S1C_jS1D_jS1E_S1E_jjS1G_bEUljE0_EEESZ_S10_S11_S18_S1C_S1E_T6_T7_T9_mT8_S1G_bDpT10_ENKUlT_T0_E_clISt17integral_constantIbLb1EES1T_IbLb0EEEEDaS1P_S1Q_EUlS1P_E_NS1_11comp_targetILNS1_3genE5ELNS1_11target_archE942ELNS1_3gpuE9ELNS1_3repE0EEENS1_30default_config_static_selectorELNS0_4arch9wavefront6targetE0EEEvS12_.uses_flat_scratch, 0
	.set _ZN7rocprim17ROCPRIM_400000_NS6detail17trampoline_kernelINS0_13select_configILj256ELj13ELNS0_17block_load_methodE3ELS4_3ELS4_3ELNS0_20block_scan_algorithmE0ELj4294967295EEENS1_25partition_config_selectorILNS1_17partition_subalgoE4EjNS0_10empty_typeEbEEZZNS1_14partition_implILS8_4ELb0ES6_15HIP_vector_typeIjLj2EENS0_17counting_iteratorIjlEEPS9_SG_NS0_5tupleIJPjSI_NS0_16reverse_iteratorISI_EEEEENSH_IJSG_SG_SG_EEES9_SI_JZNS1_25segmented_radix_sort_implINS0_14default_configELb1EPKiPiPKlPlN2at6native12_GLOBAL__N_18offset_tEEE10hipError_tPvRmT1_PNSt15iterator_traitsIS12_E10value_typeET2_T3_PNS13_IS18_E10value_typeET4_jRbjT5_S1E_jjP12ihipStream_tbEUljE_ZNSN_ISO_Lb1ESQ_SR_ST_SU_SY_EESZ_S10_S11_S12_S16_S17_S18_S1B_S1C_jS1D_jS1E_S1E_jjS1G_bEUljE0_EEESZ_S10_S11_S18_S1C_S1E_T6_T7_T9_mT8_S1G_bDpT10_ENKUlT_T0_E_clISt17integral_constantIbLb1EES1T_IbLb0EEEEDaS1P_S1Q_EUlS1P_E_NS1_11comp_targetILNS1_3genE5ELNS1_11target_archE942ELNS1_3gpuE9ELNS1_3repE0EEENS1_30default_config_static_selectorELNS0_4arch9wavefront6targetE0EEEvS12_.has_dyn_sized_stack, 0
	.set _ZN7rocprim17ROCPRIM_400000_NS6detail17trampoline_kernelINS0_13select_configILj256ELj13ELNS0_17block_load_methodE3ELS4_3ELS4_3ELNS0_20block_scan_algorithmE0ELj4294967295EEENS1_25partition_config_selectorILNS1_17partition_subalgoE4EjNS0_10empty_typeEbEEZZNS1_14partition_implILS8_4ELb0ES6_15HIP_vector_typeIjLj2EENS0_17counting_iteratorIjlEEPS9_SG_NS0_5tupleIJPjSI_NS0_16reverse_iteratorISI_EEEEENSH_IJSG_SG_SG_EEES9_SI_JZNS1_25segmented_radix_sort_implINS0_14default_configELb1EPKiPiPKlPlN2at6native12_GLOBAL__N_18offset_tEEE10hipError_tPvRmT1_PNSt15iterator_traitsIS12_E10value_typeET2_T3_PNS13_IS18_E10value_typeET4_jRbjT5_S1E_jjP12ihipStream_tbEUljE_ZNSN_ISO_Lb1ESQ_SR_ST_SU_SY_EESZ_S10_S11_S12_S16_S17_S18_S1B_S1C_jS1D_jS1E_S1E_jjS1G_bEUljE0_EEESZ_S10_S11_S18_S1C_S1E_T6_T7_T9_mT8_S1G_bDpT10_ENKUlT_T0_E_clISt17integral_constantIbLb1EES1T_IbLb0EEEEDaS1P_S1Q_EUlS1P_E_NS1_11comp_targetILNS1_3genE5ELNS1_11target_archE942ELNS1_3gpuE9ELNS1_3repE0EEENS1_30default_config_static_selectorELNS0_4arch9wavefront6targetE0EEEvS12_.has_recursion, 0
	.set _ZN7rocprim17ROCPRIM_400000_NS6detail17trampoline_kernelINS0_13select_configILj256ELj13ELNS0_17block_load_methodE3ELS4_3ELS4_3ELNS0_20block_scan_algorithmE0ELj4294967295EEENS1_25partition_config_selectorILNS1_17partition_subalgoE4EjNS0_10empty_typeEbEEZZNS1_14partition_implILS8_4ELb0ES6_15HIP_vector_typeIjLj2EENS0_17counting_iteratorIjlEEPS9_SG_NS0_5tupleIJPjSI_NS0_16reverse_iteratorISI_EEEEENSH_IJSG_SG_SG_EEES9_SI_JZNS1_25segmented_radix_sort_implINS0_14default_configELb1EPKiPiPKlPlN2at6native12_GLOBAL__N_18offset_tEEE10hipError_tPvRmT1_PNSt15iterator_traitsIS12_E10value_typeET2_T3_PNS13_IS18_E10value_typeET4_jRbjT5_S1E_jjP12ihipStream_tbEUljE_ZNSN_ISO_Lb1ESQ_SR_ST_SU_SY_EESZ_S10_S11_S12_S16_S17_S18_S1B_S1C_jS1D_jS1E_S1E_jjS1G_bEUljE0_EEESZ_S10_S11_S18_S1C_S1E_T6_T7_T9_mT8_S1G_bDpT10_ENKUlT_T0_E_clISt17integral_constantIbLb1EES1T_IbLb0EEEEDaS1P_S1Q_EUlS1P_E_NS1_11comp_targetILNS1_3genE5ELNS1_11target_archE942ELNS1_3gpuE9ELNS1_3repE0EEENS1_30default_config_static_selectorELNS0_4arch9wavefront6targetE0EEEvS12_.has_indirect_call, 0
	.section	.AMDGPU.csdata,"",@progbits
; Kernel info:
; codeLenInByte = 0
; TotalNumSgprs: 0
; NumVgprs: 0
; ScratchSize: 0
; MemoryBound: 0
; FloatMode: 240
; IeeeMode: 1
; LDSByteSize: 0 bytes/workgroup (compile time only)
; SGPRBlocks: 0
; VGPRBlocks: 0
; NumSGPRsForWavesPerEU: 1
; NumVGPRsForWavesPerEU: 1
; Occupancy: 16
; WaveLimiterHint : 0
; COMPUTE_PGM_RSRC2:SCRATCH_EN: 0
; COMPUTE_PGM_RSRC2:USER_SGPR: 6
; COMPUTE_PGM_RSRC2:TRAP_HANDLER: 0
; COMPUTE_PGM_RSRC2:TGID_X_EN: 1
; COMPUTE_PGM_RSRC2:TGID_Y_EN: 0
; COMPUTE_PGM_RSRC2:TGID_Z_EN: 0
; COMPUTE_PGM_RSRC2:TIDIG_COMP_CNT: 0
	.section	.text._ZN7rocprim17ROCPRIM_400000_NS6detail17trampoline_kernelINS0_13select_configILj256ELj13ELNS0_17block_load_methodE3ELS4_3ELS4_3ELNS0_20block_scan_algorithmE0ELj4294967295EEENS1_25partition_config_selectorILNS1_17partition_subalgoE4EjNS0_10empty_typeEbEEZZNS1_14partition_implILS8_4ELb0ES6_15HIP_vector_typeIjLj2EENS0_17counting_iteratorIjlEEPS9_SG_NS0_5tupleIJPjSI_NS0_16reverse_iteratorISI_EEEEENSH_IJSG_SG_SG_EEES9_SI_JZNS1_25segmented_radix_sort_implINS0_14default_configELb1EPKiPiPKlPlN2at6native12_GLOBAL__N_18offset_tEEE10hipError_tPvRmT1_PNSt15iterator_traitsIS12_E10value_typeET2_T3_PNS13_IS18_E10value_typeET4_jRbjT5_S1E_jjP12ihipStream_tbEUljE_ZNSN_ISO_Lb1ESQ_SR_ST_SU_SY_EESZ_S10_S11_S12_S16_S17_S18_S1B_S1C_jS1D_jS1E_S1E_jjS1G_bEUljE0_EEESZ_S10_S11_S18_S1C_S1E_T6_T7_T9_mT8_S1G_bDpT10_ENKUlT_T0_E_clISt17integral_constantIbLb1EES1T_IbLb0EEEEDaS1P_S1Q_EUlS1P_E_NS1_11comp_targetILNS1_3genE4ELNS1_11target_archE910ELNS1_3gpuE8ELNS1_3repE0EEENS1_30default_config_static_selectorELNS0_4arch9wavefront6targetE0EEEvS12_,"axG",@progbits,_ZN7rocprim17ROCPRIM_400000_NS6detail17trampoline_kernelINS0_13select_configILj256ELj13ELNS0_17block_load_methodE3ELS4_3ELS4_3ELNS0_20block_scan_algorithmE0ELj4294967295EEENS1_25partition_config_selectorILNS1_17partition_subalgoE4EjNS0_10empty_typeEbEEZZNS1_14partition_implILS8_4ELb0ES6_15HIP_vector_typeIjLj2EENS0_17counting_iteratorIjlEEPS9_SG_NS0_5tupleIJPjSI_NS0_16reverse_iteratorISI_EEEEENSH_IJSG_SG_SG_EEES9_SI_JZNS1_25segmented_radix_sort_implINS0_14default_configELb1EPKiPiPKlPlN2at6native12_GLOBAL__N_18offset_tEEE10hipError_tPvRmT1_PNSt15iterator_traitsIS12_E10value_typeET2_T3_PNS13_IS18_E10value_typeET4_jRbjT5_S1E_jjP12ihipStream_tbEUljE_ZNSN_ISO_Lb1ESQ_SR_ST_SU_SY_EESZ_S10_S11_S12_S16_S17_S18_S1B_S1C_jS1D_jS1E_S1E_jjS1G_bEUljE0_EEESZ_S10_S11_S18_S1C_S1E_T6_T7_T9_mT8_S1G_bDpT10_ENKUlT_T0_E_clISt17integral_constantIbLb1EES1T_IbLb0EEEEDaS1P_S1Q_EUlS1P_E_NS1_11comp_targetILNS1_3genE4ELNS1_11target_archE910ELNS1_3gpuE8ELNS1_3repE0EEENS1_30default_config_static_selectorELNS0_4arch9wavefront6targetE0EEEvS12_,comdat
	.globl	_ZN7rocprim17ROCPRIM_400000_NS6detail17trampoline_kernelINS0_13select_configILj256ELj13ELNS0_17block_load_methodE3ELS4_3ELS4_3ELNS0_20block_scan_algorithmE0ELj4294967295EEENS1_25partition_config_selectorILNS1_17partition_subalgoE4EjNS0_10empty_typeEbEEZZNS1_14partition_implILS8_4ELb0ES6_15HIP_vector_typeIjLj2EENS0_17counting_iteratorIjlEEPS9_SG_NS0_5tupleIJPjSI_NS0_16reverse_iteratorISI_EEEEENSH_IJSG_SG_SG_EEES9_SI_JZNS1_25segmented_radix_sort_implINS0_14default_configELb1EPKiPiPKlPlN2at6native12_GLOBAL__N_18offset_tEEE10hipError_tPvRmT1_PNSt15iterator_traitsIS12_E10value_typeET2_T3_PNS13_IS18_E10value_typeET4_jRbjT5_S1E_jjP12ihipStream_tbEUljE_ZNSN_ISO_Lb1ESQ_SR_ST_SU_SY_EESZ_S10_S11_S12_S16_S17_S18_S1B_S1C_jS1D_jS1E_S1E_jjS1G_bEUljE0_EEESZ_S10_S11_S18_S1C_S1E_T6_T7_T9_mT8_S1G_bDpT10_ENKUlT_T0_E_clISt17integral_constantIbLb1EES1T_IbLb0EEEEDaS1P_S1Q_EUlS1P_E_NS1_11comp_targetILNS1_3genE4ELNS1_11target_archE910ELNS1_3gpuE8ELNS1_3repE0EEENS1_30default_config_static_selectorELNS0_4arch9wavefront6targetE0EEEvS12_ ; -- Begin function _ZN7rocprim17ROCPRIM_400000_NS6detail17trampoline_kernelINS0_13select_configILj256ELj13ELNS0_17block_load_methodE3ELS4_3ELS4_3ELNS0_20block_scan_algorithmE0ELj4294967295EEENS1_25partition_config_selectorILNS1_17partition_subalgoE4EjNS0_10empty_typeEbEEZZNS1_14partition_implILS8_4ELb0ES6_15HIP_vector_typeIjLj2EENS0_17counting_iteratorIjlEEPS9_SG_NS0_5tupleIJPjSI_NS0_16reverse_iteratorISI_EEEEENSH_IJSG_SG_SG_EEES9_SI_JZNS1_25segmented_radix_sort_implINS0_14default_configELb1EPKiPiPKlPlN2at6native12_GLOBAL__N_18offset_tEEE10hipError_tPvRmT1_PNSt15iterator_traitsIS12_E10value_typeET2_T3_PNS13_IS18_E10value_typeET4_jRbjT5_S1E_jjP12ihipStream_tbEUljE_ZNSN_ISO_Lb1ESQ_SR_ST_SU_SY_EESZ_S10_S11_S12_S16_S17_S18_S1B_S1C_jS1D_jS1E_S1E_jjS1G_bEUljE0_EEESZ_S10_S11_S18_S1C_S1E_T6_T7_T9_mT8_S1G_bDpT10_ENKUlT_T0_E_clISt17integral_constantIbLb1EES1T_IbLb0EEEEDaS1P_S1Q_EUlS1P_E_NS1_11comp_targetILNS1_3genE4ELNS1_11target_archE910ELNS1_3gpuE8ELNS1_3repE0EEENS1_30default_config_static_selectorELNS0_4arch9wavefront6targetE0EEEvS12_
	.p2align	8
	.type	_ZN7rocprim17ROCPRIM_400000_NS6detail17trampoline_kernelINS0_13select_configILj256ELj13ELNS0_17block_load_methodE3ELS4_3ELS4_3ELNS0_20block_scan_algorithmE0ELj4294967295EEENS1_25partition_config_selectorILNS1_17partition_subalgoE4EjNS0_10empty_typeEbEEZZNS1_14partition_implILS8_4ELb0ES6_15HIP_vector_typeIjLj2EENS0_17counting_iteratorIjlEEPS9_SG_NS0_5tupleIJPjSI_NS0_16reverse_iteratorISI_EEEEENSH_IJSG_SG_SG_EEES9_SI_JZNS1_25segmented_radix_sort_implINS0_14default_configELb1EPKiPiPKlPlN2at6native12_GLOBAL__N_18offset_tEEE10hipError_tPvRmT1_PNSt15iterator_traitsIS12_E10value_typeET2_T3_PNS13_IS18_E10value_typeET4_jRbjT5_S1E_jjP12ihipStream_tbEUljE_ZNSN_ISO_Lb1ESQ_SR_ST_SU_SY_EESZ_S10_S11_S12_S16_S17_S18_S1B_S1C_jS1D_jS1E_S1E_jjS1G_bEUljE0_EEESZ_S10_S11_S18_S1C_S1E_T6_T7_T9_mT8_S1G_bDpT10_ENKUlT_T0_E_clISt17integral_constantIbLb1EES1T_IbLb0EEEEDaS1P_S1Q_EUlS1P_E_NS1_11comp_targetILNS1_3genE4ELNS1_11target_archE910ELNS1_3gpuE8ELNS1_3repE0EEENS1_30default_config_static_selectorELNS0_4arch9wavefront6targetE0EEEvS12_,@function
_ZN7rocprim17ROCPRIM_400000_NS6detail17trampoline_kernelINS0_13select_configILj256ELj13ELNS0_17block_load_methodE3ELS4_3ELS4_3ELNS0_20block_scan_algorithmE0ELj4294967295EEENS1_25partition_config_selectorILNS1_17partition_subalgoE4EjNS0_10empty_typeEbEEZZNS1_14partition_implILS8_4ELb0ES6_15HIP_vector_typeIjLj2EENS0_17counting_iteratorIjlEEPS9_SG_NS0_5tupleIJPjSI_NS0_16reverse_iteratorISI_EEEEENSH_IJSG_SG_SG_EEES9_SI_JZNS1_25segmented_radix_sort_implINS0_14default_configELb1EPKiPiPKlPlN2at6native12_GLOBAL__N_18offset_tEEE10hipError_tPvRmT1_PNSt15iterator_traitsIS12_E10value_typeET2_T3_PNS13_IS18_E10value_typeET4_jRbjT5_S1E_jjP12ihipStream_tbEUljE_ZNSN_ISO_Lb1ESQ_SR_ST_SU_SY_EESZ_S10_S11_S12_S16_S17_S18_S1B_S1C_jS1D_jS1E_S1E_jjS1G_bEUljE0_EEESZ_S10_S11_S18_S1C_S1E_T6_T7_T9_mT8_S1G_bDpT10_ENKUlT_T0_E_clISt17integral_constantIbLb1EES1T_IbLb0EEEEDaS1P_S1Q_EUlS1P_E_NS1_11comp_targetILNS1_3genE4ELNS1_11target_archE910ELNS1_3gpuE8ELNS1_3repE0EEENS1_30default_config_static_selectorELNS0_4arch9wavefront6targetE0EEEvS12_: ; @_ZN7rocprim17ROCPRIM_400000_NS6detail17trampoline_kernelINS0_13select_configILj256ELj13ELNS0_17block_load_methodE3ELS4_3ELS4_3ELNS0_20block_scan_algorithmE0ELj4294967295EEENS1_25partition_config_selectorILNS1_17partition_subalgoE4EjNS0_10empty_typeEbEEZZNS1_14partition_implILS8_4ELb0ES6_15HIP_vector_typeIjLj2EENS0_17counting_iteratorIjlEEPS9_SG_NS0_5tupleIJPjSI_NS0_16reverse_iteratorISI_EEEEENSH_IJSG_SG_SG_EEES9_SI_JZNS1_25segmented_radix_sort_implINS0_14default_configELb1EPKiPiPKlPlN2at6native12_GLOBAL__N_18offset_tEEE10hipError_tPvRmT1_PNSt15iterator_traitsIS12_E10value_typeET2_T3_PNS13_IS18_E10value_typeET4_jRbjT5_S1E_jjP12ihipStream_tbEUljE_ZNSN_ISO_Lb1ESQ_SR_ST_SU_SY_EESZ_S10_S11_S12_S16_S17_S18_S1B_S1C_jS1D_jS1E_S1E_jjS1G_bEUljE0_EEESZ_S10_S11_S18_S1C_S1E_T6_T7_T9_mT8_S1G_bDpT10_ENKUlT_T0_E_clISt17integral_constantIbLb1EES1T_IbLb0EEEEDaS1P_S1Q_EUlS1P_E_NS1_11comp_targetILNS1_3genE4ELNS1_11target_archE910ELNS1_3gpuE8ELNS1_3repE0EEENS1_30default_config_static_selectorELNS0_4arch9wavefront6targetE0EEEvS12_
; %bb.0:
	.section	.rodata,"a",@progbits
	.p2align	6, 0x0
	.amdhsa_kernel _ZN7rocprim17ROCPRIM_400000_NS6detail17trampoline_kernelINS0_13select_configILj256ELj13ELNS0_17block_load_methodE3ELS4_3ELS4_3ELNS0_20block_scan_algorithmE0ELj4294967295EEENS1_25partition_config_selectorILNS1_17partition_subalgoE4EjNS0_10empty_typeEbEEZZNS1_14partition_implILS8_4ELb0ES6_15HIP_vector_typeIjLj2EENS0_17counting_iteratorIjlEEPS9_SG_NS0_5tupleIJPjSI_NS0_16reverse_iteratorISI_EEEEENSH_IJSG_SG_SG_EEES9_SI_JZNS1_25segmented_radix_sort_implINS0_14default_configELb1EPKiPiPKlPlN2at6native12_GLOBAL__N_18offset_tEEE10hipError_tPvRmT1_PNSt15iterator_traitsIS12_E10value_typeET2_T3_PNS13_IS18_E10value_typeET4_jRbjT5_S1E_jjP12ihipStream_tbEUljE_ZNSN_ISO_Lb1ESQ_SR_ST_SU_SY_EESZ_S10_S11_S12_S16_S17_S18_S1B_S1C_jS1D_jS1E_S1E_jjS1G_bEUljE0_EEESZ_S10_S11_S18_S1C_S1E_T6_T7_T9_mT8_S1G_bDpT10_ENKUlT_T0_E_clISt17integral_constantIbLb1EES1T_IbLb0EEEEDaS1P_S1Q_EUlS1P_E_NS1_11comp_targetILNS1_3genE4ELNS1_11target_archE910ELNS1_3gpuE8ELNS1_3repE0EEENS1_30default_config_static_selectorELNS0_4arch9wavefront6targetE0EEEvS12_
		.amdhsa_group_segment_fixed_size 0
		.amdhsa_private_segment_fixed_size 0
		.amdhsa_kernarg_size 176
		.amdhsa_user_sgpr_count 6
		.amdhsa_user_sgpr_private_segment_buffer 1
		.amdhsa_user_sgpr_dispatch_ptr 0
		.amdhsa_user_sgpr_queue_ptr 0
		.amdhsa_user_sgpr_kernarg_segment_ptr 1
		.amdhsa_user_sgpr_dispatch_id 0
		.amdhsa_user_sgpr_flat_scratch_init 0
		.amdhsa_user_sgpr_private_segment_size 0
		.amdhsa_wavefront_size32 1
		.amdhsa_uses_dynamic_stack 0
		.amdhsa_system_sgpr_private_segment_wavefront_offset 0
		.amdhsa_system_sgpr_workgroup_id_x 1
		.amdhsa_system_sgpr_workgroup_id_y 0
		.amdhsa_system_sgpr_workgroup_id_z 0
		.amdhsa_system_sgpr_workgroup_info 0
		.amdhsa_system_vgpr_workitem_id 0
		.amdhsa_next_free_vgpr 1
		.amdhsa_next_free_sgpr 1
		.amdhsa_reserve_vcc 0
		.amdhsa_reserve_flat_scratch 0
		.amdhsa_float_round_mode_32 0
		.amdhsa_float_round_mode_16_64 0
		.amdhsa_float_denorm_mode_32 3
		.amdhsa_float_denorm_mode_16_64 3
		.amdhsa_dx10_clamp 1
		.amdhsa_ieee_mode 1
		.amdhsa_fp16_overflow 0
		.amdhsa_workgroup_processor_mode 1
		.amdhsa_memory_ordered 1
		.amdhsa_forward_progress 1
		.amdhsa_shared_vgpr_count 0
		.amdhsa_exception_fp_ieee_invalid_op 0
		.amdhsa_exception_fp_denorm_src 0
		.amdhsa_exception_fp_ieee_div_zero 0
		.amdhsa_exception_fp_ieee_overflow 0
		.amdhsa_exception_fp_ieee_underflow 0
		.amdhsa_exception_fp_ieee_inexact 0
		.amdhsa_exception_int_div_zero 0
	.end_amdhsa_kernel
	.section	.text._ZN7rocprim17ROCPRIM_400000_NS6detail17trampoline_kernelINS0_13select_configILj256ELj13ELNS0_17block_load_methodE3ELS4_3ELS4_3ELNS0_20block_scan_algorithmE0ELj4294967295EEENS1_25partition_config_selectorILNS1_17partition_subalgoE4EjNS0_10empty_typeEbEEZZNS1_14partition_implILS8_4ELb0ES6_15HIP_vector_typeIjLj2EENS0_17counting_iteratorIjlEEPS9_SG_NS0_5tupleIJPjSI_NS0_16reverse_iteratorISI_EEEEENSH_IJSG_SG_SG_EEES9_SI_JZNS1_25segmented_radix_sort_implINS0_14default_configELb1EPKiPiPKlPlN2at6native12_GLOBAL__N_18offset_tEEE10hipError_tPvRmT1_PNSt15iterator_traitsIS12_E10value_typeET2_T3_PNS13_IS18_E10value_typeET4_jRbjT5_S1E_jjP12ihipStream_tbEUljE_ZNSN_ISO_Lb1ESQ_SR_ST_SU_SY_EESZ_S10_S11_S12_S16_S17_S18_S1B_S1C_jS1D_jS1E_S1E_jjS1G_bEUljE0_EEESZ_S10_S11_S18_S1C_S1E_T6_T7_T9_mT8_S1G_bDpT10_ENKUlT_T0_E_clISt17integral_constantIbLb1EES1T_IbLb0EEEEDaS1P_S1Q_EUlS1P_E_NS1_11comp_targetILNS1_3genE4ELNS1_11target_archE910ELNS1_3gpuE8ELNS1_3repE0EEENS1_30default_config_static_selectorELNS0_4arch9wavefront6targetE0EEEvS12_,"axG",@progbits,_ZN7rocprim17ROCPRIM_400000_NS6detail17trampoline_kernelINS0_13select_configILj256ELj13ELNS0_17block_load_methodE3ELS4_3ELS4_3ELNS0_20block_scan_algorithmE0ELj4294967295EEENS1_25partition_config_selectorILNS1_17partition_subalgoE4EjNS0_10empty_typeEbEEZZNS1_14partition_implILS8_4ELb0ES6_15HIP_vector_typeIjLj2EENS0_17counting_iteratorIjlEEPS9_SG_NS0_5tupleIJPjSI_NS0_16reverse_iteratorISI_EEEEENSH_IJSG_SG_SG_EEES9_SI_JZNS1_25segmented_radix_sort_implINS0_14default_configELb1EPKiPiPKlPlN2at6native12_GLOBAL__N_18offset_tEEE10hipError_tPvRmT1_PNSt15iterator_traitsIS12_E10value_typeET2_T3_PNS13_IS18_E10value_typeET4_jRbjT5_S1E_jjP12ihipStream_tbEUljE_ZNSN_ISO_Lb1ESQ_SR_ST_SU_SY_EESZ_S10_S11_S12_S16_S17_S18_S1B_S1C_jS1D_jS1E_S1E_jjS1G_bEUljE0_EEESZ_S10_S11_S18_S1C_S1E_T6_T7_T9_mT8_S1G_bDpT10_ENKUlT_T0_E_clISt17integral_constantIbLb1EES1T_IbLb0EEEEDaS1P_S1Q_EUlS1P_E_NS1_11comp_targetILNS1_3genE4ELNS1_11target_archE910ELNS1_3gpuE8ELNS1_3repE0EEENS1_30default_config_static_selectorELNS0_4arch9wavefront6targetE0EEEvS12_,comdat
.Lfunc_end447:
	.size	_ZN7rocprim17ROCPRIM_400000_NS6detail17trampoline_kernelINS0_13select_configILj256ELj13ELNS0_17block_load_methodE3ELS4_3ELS4_3ELNS0_20block_scan_algorithmE0ELj4294967295EEENS1_25partition_config_selectorILNS1_17partition_subalgoE4EjNS0_10empty_typeEbEEZZNS1_14partition_implILS8_4ELb0ES6_15HIP_vector_typeIjLj2EENS0_17counting_iteratorIjlEEPS9_SG_NS0_5tupleIJPjSI_NS0_16reverse_iteratorISI_EEEEENSH_IJSG_SG_SG_EEES9_SI_JZNS1_25segmented_radix_sort_implINS0_14default_configELb1EPKiPiPKlPlN2at6native12_GLOBAL__N_18offset_tEEE10hipError_tPvRmT1_PNSt15iterator_traitsIS12_E10value_typeET2_T3_PNS13_IS18_E10value_typeET4_jRbjT5_S1E_jjP12ihipStream_tbEUljE_ZNSN_ISO_Lb1ESQ_SR_ST_SU_SY_EESZ_S10_S11_S12_S16_S17_S18_S1B_S1C_jS1D_jS1E_S1E_jjS1G_bEUljE0_EEESZ_S10_S11_S18_S1C_S1E_T6_T7_T9_mT8_S1G_bDpT10_ENKUlT_T0_E_clISt17integral_constantIbLb1EES1T_IbLb0EEEEDaS1P_S1Q_EUlS1P_E_NS1_11comp_targetILNS1_3genE4ELNS1_11target_archE910ELNS1_3gpuE8ELNS1_3repE0EEENS1_30default_config_static_selectorELNS0_4arch9wavefront6targetE0EEEvS12_, .Lfunc_end447-_ZN7rocprim17ROCPRIM_400000_NS6detail17trampoline_kernelINS0_13select_configILj256ELj13ELNS0_17block_load_methodE3ELS4_3ELS4_3ELNS0_20block_scan_algorithmE0ELj4294967295EEENS1_25partition_config_selectorILNS1_17partition_subalgoE4EjNS0_10empty_typeEbEEZZNS1_14partition_implILS8_4ELb0ES6_15HIP_vector_typeIjLj2EENS0_17counting_iteratorIjlEEPS9_SG_NS0_5tupleIJPjSI_NS0_16reverse_iteratorISI_EEEEENSH_IJSG_SG_SG_EEES9_SI_JZNS1_25segmented_radix_sort_implINS0_14default_configELb1EPKiPiPKlPlN2at6native12_GLOBAL__N_18offset_tEEE10hipError_tPvRmT1_PNSt15iterator_traitsIS12_E10value_typeET2_T3_PNS13_IS18_E10value_typeET4_jRbjT5_S1E_jjP12ihipStream_tbEUljE_ZNSN_ISO_Lb1ESQ_SR_ST_SU_SY_EESZ_S10_S11_S12_S16_S17_S18_S1B_S1C_jS1D_jS1E_S1E_jjS1G_bEUljE0_EEESZ_S10_S11_S18_S1C_S1E_T6_T7_T9_mT8_S1G_bDpT10_ENKUlT_T0_E_clISt17integral_constantIbLb1EES1T_IbLb0EEEEDaS1P_S1Q_EUlS1P_E_NS1_11comp_targetILNS1_3genE4ELNS1_11target_archE910ELNS1_3gpuE8ELNS1_3repE0EEENS1_30default_config_static_selectorELNS0_4arch9wavefront6targetE0EEEvS12_
                                        ; -- End function
	.set _ZN7rocprim17ROCPRIM_400000_NS6detail17trampoline_kernelINS0_13select_configILj256ELj13ELNS0_17block_load_methodE3ELS4_3ELS4_3ELNS0_20block_scan_algorithmE0ELj4294967295EEENS1_25partition_config_selectorILNS1_17partition_subalgoE4EjNS0_10empty_typeEbEEZZNS1_14partition_implILS8_4ELb0ES6_15HIP_vector_typeIjLj2EENS0_17counting_iteratorIjlEEPS9_SG_NS0_5tupleIJPjSI_NS0_16reverse_iteratorISI_EEEEENSH_IJSG_SG_SG_EEES9_SI_JZNS1_25segmented_radix_sort_implINS0_14default_configELb1EPKiPiPKlPlN2at6native12_GLOBAL__N_18offset_tEEE10hipError_tPvRmT1_PNSt15iterator_traitsIS12_E10value_typeET2_T3_PNS13_IS18_E10value_typeET4_jRbjT5_S1E_jjP12ihipStream_tbEUljE_ZNSN_ISO_Lb1ESQ_SR_ST_SU_SY_EESZ_S10_S11_S12_S16_S17_S18_S1B_S1C_jS1D_jS1E_S1E_jjS1G_bEUljE0_EEESZ_S10_S11_S18_S1C_S1E_T6_T7_T9_mT8_S1G_bDpT10_ENKUlT_T0_E_clISt17integral_constantIbLb1EES1T_IbLb0EEEEDaS1P_S1Q_EUlS1P_E_NS1_11comp_targetILNS1_3genE4ELNS1_11target_archE910ELNS1_3gpuE8ELNS1_3repE0EEENS1_30default_config_static_selectorELNS0_4arch9wavefront6targetE0EEEvS12_.num_vgpr, 0
	.set _ZN7rocprim17ROCPRIM_400000_NS6detail17trampoline_kernelINS0_13select_configILj256ELj13ELNS0_17block_load_methodE3ELS4_3ELS4_3ELNS0_20block_scan_algorithmE0ELj4294967295EEENS1_25partition_config_selectorILNS1_17partition_subalgoE4EjNS0_10empty_typeEbEEZZNS1_14partition_implILS8_4ELb0ES6_15HIP_vector_typeIjLj2EENS0_17counting_iteratorIjlEEPS9_SG_NS0_5tupleIJPjSI_NS0_16reverse_iteratorISI_EEEEENSH_IJSG_SG_SG_EEES9_SI_JZNS1_25segmented_radix_sort_implINS0_14default_configELb1EPKiPiPKlPlN2at6native12_GLOBAL__N_18offset_tEEE10hipError_tPvRmT1_PNSt15iterator_traitsIS12_E10value_typeET2_T3_PNS13_IS18_E10value_typeET4_jRbjT5_S1E_jjP12ihipStream_tbEUljE_ZNSN_ISO_Lb1ESQ_SR_ST_SU_SY_EESZ_S10_S11_S12_S16_S17_S18_S1B_S1C_jS1D_jS1E_S1E_jjS1G_bEUljE0_EEESZ_S10_S11_S18_S1C_S1E_T6_T7_T9_mT8_S1G_bDpT10_ENKUlT_T0_E_clISt17integral_constantIbLb1EES1T_IbLb0EEEEDaS1P_S1Q_EUlS1P_E_NS1_11comp_targetILNS1_3genE4ELNS1_11target_archE910ELNS1_3gpuE8ELNS1_3repE0EEENS1_30default_config_static_selectorELNS0_4arch9wavefront6targetE0EEEvS12_.num_agpr, 0
	.set _ZN7rocprim17ROCPRIM_400000_NS6detail17trampoline_kernelINS0_13select_configILj256ELj13ELNS0_17block_load_methodE3ELS4_3ELS4_3ELNS0_20block_scan_algorithmE0ELj4294967295EEENS1_25partition_config_selectorILNS1_17partition_subalgoE4EjNS0_10empty_typeEbEEZZNS1_14partition_implILS8_4ELb0ES6_15HIP_vector_typeIjLj2EENS0_17counting_iteratorIjlEEPS9_SG_NS0_5tupleIJPjSI_NS0_16reverse_iteratorISI_EEEEENSH_IJSG_SG_SG_EEES9_SI_JZNS1_25segmented_radix_sort_implINS0_14default_configELb1EPKiPiPKlPlN2at6native12_GLOBAL__N_18offset_tEEE10hipError_tPvRmT1_PNSt15iterator_traitsIS12_E10value_typeET2_T3_PNS13_IS18_E10value_typeET4_jRbjT5_S1E_jjP12ihipStream_tbEUljE_ZNSN_ISO_Lb1ESQ_SR_ST_SU_SY_EESZ_S10_S11_S12_S16_S17_S18_S1B_S1C_jS1D_jS1E_S1E_jjS1G_bEUljE0_EEESZ_S10_S11_S18_S1C_S1E_T6_T7_T9_mT8_S1G_bDpT10_ENKUlT_T0_E_clISt17integral_constantIbLb1EES1T_IbLb0EEEEDaS1P_S1Q_EUlS1P_E_NS1_11comp_targetILNS1_3genE4ELNS1_11target_archE910ELNS1_3gpuE8ELNS1_3repE0EEENS1_30default_config_static_selectorELNS0_4arch9wavefront6targetE0EEEvS12_.numbered_sgpr, 0
	.set _ZN7rocprim17ROCPRIM_400000_NS6detail17trampoline_kernelINS0_13select_configILj256ELj13ELNS0_17block_load_methodE3ELS4_3ELS4_3ELNS0_20block_scan_algorithmE0ELj4294967295EEENS1_25partition_config_selectorILNS1_17partition_subalgoE4EjNS0_10empty_typeEbEEZZNS1_14partition_implILS8_4ELb0ES6_15HIP_vector_typeIjLj2EENS0_17counting_iteratorIjlEEPS9_SG_NS0_5tupleIJPjSI_NS0_16reverse_iteratorISI_EEEEENSH_IJSG_SG_SG_EEES9_SI_JZNS1_25segmented_radix_sort_implINS0_14default_configELb1EPKiPiPKlPlN2at6native12_GLOBAL__N_18offset_tEEE10hipError_tPvRmT1_PNSt15iterator_traitsIS12_E10value_typeET2_T3_PNS13_IS18_E10value_typeET4_jRbjT5_S1E_jjP12ihipStream_tbEUljE_ZNSN_ISO_Lb1ESQ_SR_ST_SU_SY_EESZ_S10_S11_S12_S16_S17_S18_S1B_S1C_jS1D_jS1E_S1E_jjS1G_bEUljE0_EEESZ_S10_S11_S18_S1C_S1E_T6_T7_T9_mT8_S1G_bDpT10_ENKUlT_T0_E_clISt17integral_constantIbLb1EES1T_IbLb0EEEEDaS1P_S1Q_EUlS1P_E_NS1_11comp_targetILNS1_3genE4ELNS1_11target_archE910ELNS1_3gpuE8ELNS1_3repE0EEENS1_30default_config_static_selectorELNS0_4arch9wavefront6targetE0EEEvS12_.num_named_barrier, 0
	.set _ZN7rocprim17ROCPRIM_400000_NS6detail17trampoline_kernelINS0_13select_configILj256ELj13ELNS0_17block_load_methodE3ELS4_3ELS4_3ELNS0_20block_scan_algorithmE0ELj4294967295EEENS1_25partition_config_selectorILNS1_17partition_subalgoE4EjNS0_10empty_typeEbEEZZNS1_14partition_implILS8_4ELb0ES6_15HIP_vector_typeIjLj2EENS0_17counting_iteratorIjlEEPS9_SG_NS0_5tupleIJPjSI_NS0_16reverse_iteratorISI_EEEEENSH_IJSG_SG_SG_EEES9_SI_JZNS1_25segmented_radix_sort_implINS0_14default_configELb1EPKiPiPKlPlN2at6native12_GLOBAL__N_18offset_tEEE10hipError_tPvRmT1_PNSt15iterator_traitsIS12_E10value_typeET2_T3_PNS13_IS18_E10value_typeET4_jRbjT5_S1E_jjP12ihipStream_tbEUljE_ZNSN_ISO_Lb1ESQ_SR_ST_SU_SY_EESZ_S10_S11_S12_S16_S17_S18_S1B_S1C_jS1D_jS1E_S1E_jjS1G_bEUljE0_EEESZ_S10_S11_S18_S1C_S1E_T6_T7_T9_mT8_S1G_bDpT10_ENKUlT_T0_E_clISt17integral_constantIbLb1EES1T_IbLb0EEEEDaS1P_S1Q_EUlS1P_E_NS1_11comp_targetILNS1_3genE4ELNS1_11target_archE910ELNS1_3gpuE8ELNS1_3repE0EEENS1_30default_config_static_selectorELNS0_4arch9wavefront6targetE0EEEvS12_.private_seg_size, 0
	.set _ZN7rocprim17ROCPRIM_400000_NS6detail17trampoline_kernelINS0_13select_configILj256ELj13ELNS0_17block_load_methodE3ELS4_3ELS4_3ELNS0_20block_scan_algorithmE0ELj4294967295EEENS1_25partition_config_selectorILNS1_17partition_subalgoE4EjNS0_10empty_typeEbEEZZNS1_14partition_implILS8_4ELb0ES6_15HIP_vector_typeIjLj2EENS0_17counting_iteratorIjlEEPS9_SG_NS0_5tupleIJPjSI_NS0_16reverse_iteratorISI_EEEEENSH_IJSG_SG_SG_EEES9_SI_JZNS1_25segmented_radix_sort_implINS0_14default_configELb1EPKiPiPKlPlN2at6native12_GLOBAL__N_18offset_tEEE10hipError_tPvRmT1_PNSt15iterator_traitsIS12_E10value_typeET2_T3_PNS13_IS18_E10value_typeET4_jRbjT5_S1E_jjP12ihipStream_tbEUljE_ZNSN_ISO_Lb1ESQ_SR_ST_SU_SY_EESZ_S10_S11_S12_S16_S17_S18_S1B_S1C_jS1D_jS1E_S1E_jjS1G_bEUljE0_EEESZ_S10_S11_S18_S1C_S1E_T6_T7_T9_mT8_S1G_bDpT10_ENKUlT_T0_E_clISt17integral_constantIbLb1EES1T_IbLb0EEEEDaS1P_S1Q_EUlS1P_E_NS1_11comp_targetILNS1_3genE4ELNS1_11target_archE910ELNS1_3gpuE8ELNS1_3repE0EEENS1_30default_config_static_selectorELNS0_4arch9wavefront6targetE0EEEvS12_.uses_vcc, 0
	.set _ZN7rocprim17ROCPRIM_400000_NS6detail17trampoline_kernelINS0_13select_configILj256ELj13ELNS0_17block_load_methodE3ELS4_3ELS4_3ELNS0_20block_scan_algorithmE0ELj4294967295EEENS1_25partition_config_selectorILNS1_17partition_subalgoE4EjNS0_10empty_typeEbEEZZNS1_14partition_implILS8_4ELb0ES6_15HIP_vector_typeIjLj2EENS0_17counting_iteratorIjlEEPS9_SG_NS0_5tupleIJPjSI_NS0_16reverse_iteratorISI_EEEEENSH_IJSG_SG_SG_EEES9_SI_JZNS1_25segmented_radix_sort_implINS0_14default_configELb1EPKiPiPKlPlN2at6native12_GLOBAL__N_18offset_tEEE10hipError_tPvRmT1_PNSt15iterator_traitsIS12_E10value_typeET2_T3_PNS13_IS18_E10value_typeET4_jRbjT5_S1E_jjP12ihipStream_tbEUljE_ZNSN_ISO_Lb1ESQ_SR_ST_SU_SY_EESZ_S10_S11_S12_S16_S17_S18_S1B_S1C_jS1D_jS1E_S1E_jjS1G_bEUljE0_EEESZ_S10_S11_S18_S1C_S1E_T6_T7_T9_mT8_S1G_bDpT10_ENKUlT_T0_E_clISt17integral_constantIbLb1EES1T_IbLb0EEEEDaS1P_S1Q_EUlS1P_E_NS1_11comp_targetILNS1_3genE4ELNS1_11target_archE910ELNS1_3gpuE8ELNS1_3repE0EEENS1_30default_config_static_selectorELNS0_4arch9wavefront6targetE0EEEvS12_.uses_flat_scratch, 0
	.set _ZN7rocprim17ROCPRIM_400000_NS6detail17trampoline_kernelINS0_13select_configILj256ELj13ELNS0_17block_load_methodE3ELS4_3ELS4_3ELNS0_20block_scan_algorithmE0ELj4294967295EEENS1_25partition_config_selectorILNS1_17partition_subalgoE4EjNS0_10empty_typeEbEEZZNS1_14partition_implILS8_4ELb0ES6_15HIP_vector_typeIjLj2EENS0_17counting_iteratorIjlEEPS9_SG_NS0_5tupleIJPjSI_NS0_16reverse_iteratorISI_EEEEENSH_IJSG_SG_SG_EEES9_SI_JZNS1_25segmented_radix_sort_implINS0_14default_configELb1EPKiPiPKlPlN2at6native12_GLOBAL__N_18offset_tEEE10hipError_tPvRmT1_PNSt15iterator_traitsIS12_E10value_typeET2_T3_PNS13_IS18_E10value_typeET4_jRbjT5_S1E_jjP12ihipStream_tbEUljE_ZNSN_ISO_Lb1ESQ_SR_ST_SU_SY_EESZ_S10_S11_S12_S16_S17_S18_S1B_S1C_jS1D_jS1E_S1E_jjS1G_bEUljE0_EEESZ_S10_S11_S18_S1C_S1E_T6_T7_T9_mT8_S1G_bDpT10_ENKUlT_T0_E_clISt17integral_constantIbLb1EES1T_IbLb0EEEEDaS1P_S1Q_EUlS1P_E_NS1_11comp_targetILNS1_3genE4ELNS1_11target_archE910ELNS1_3gpuE8ELNS1_3repE0EEENS1_30default_config_static_selectorELNS0_4arch9wavefront6targetE0EEEvS12_.has_dyn_sized_stack, 0
	.set _ZN7rocprim17ROCPRIM_400000_NS6detail17trampoline_kernelINS0_13select_configILj256ELj13ELNS0_17block_load_methodE3ELS4_3ELS4_3ELNS0_20block_scan_algorithmE0ELj4294967295EEENS1_25partition_config_selectorILNS1_17partition_subalgoE4EjNS0_10empty_typeEbEEZZNS1_14partition_implILS8_4ELb0ES6_15HIP_vector_typeIjLj2EENS0_17counting_iteratorIjlEEPS9_SG_NS0_5tupleIJPjSI_NS0_16reverse_iteratorISI_EEEEENSH_IJSG_SG_SG_EEES9_SI_JZNS1_25segmented_radix_sort_implINS0_14default_configELb1EPKiPiPKlPlN2at6native12_GLOBAL__N_18offset_tEEE10hipError_tPvRmT1_PNSt15iterator_traitsIS12_E10value_typeET2_T3_PNS13_IS18_E10value_typeET4_jRbjT5_S1E_jjP12ihipStream_tbEUljE_ZNSN_ISO_Lb1ESQ_SR_ST_SU_SY_EESZ_S10_S11_S12_S16_S17_S18_S1B_S1C_jS1D_jS1E_S1E_jjS1G_bEUljE0_EEESZ_S10_S11_S18_S1C_S1E_T6_T7_T9_mT8_S1G_bDpT10_ENKUlT_T0_E_clISt17integral_constantIbLb1EES1T_IbLb0EEEEDaS1P_S1Q_EUlS1P_E_NS1_11comp_targetILNS1_3genE4ELNS1_11target_archE910ELNS1_3gpuE8ELNS1_3repE0EEENS1_30default_config_static_selectorELNS0_4arch9wavefront6targetE0EEEvS12_.has_recursion, 0
	.set _ZN7rocprim17ROCPRIM_400000_NS6detail17trampoline_kernelINS0_13select_configILj256ELj13ELNS0_17block_load_methodE3ELS4_3ELS4_3ELNS0_20block_scan_algorithmE0ELj4294967295EEENS1_25partition_config_selectorILNS1_17partition_subalgoE4EjNS0_10empty_typeEbEEZZNS1_14partition_implILS8_4ELb0ES6_15HIP_vector_typeIjLj2EENS0_17counting_iteratorIjlEEPS9_SG_NS0_5tupleIJPjSI_NS0_16reverse_iteratorISI_EEEEENSH_IJSG_SG_SG_EEES9_SI_JZNS1_25segmented_radix_sort_implINS0_14default_configELb1EPKiPiPKlPlN2at6native12_GLOBAL__N_18offset_tEEE10hipError_tPvRmT1_PNSt15iterator_traitsIS12_E10value_typeET2_T3_PNS13_IS18_E10value_typeET4_jRbjT5_S1E_jjP12ihipStream_tbEUljE_ZNSN_ISO_Lb1ESQ_SR_ST_SU_SY_EESZ_S10_S11_S12_S16_S17_S18_S1B_S1C_jS1D_jS1E_S1E_jjS1G_bEUljE0_EEESZ_S10_S11_S18_S1C_S1E_T6_T7_T9_mT8_S1G_bDpT10_ENKUlT_T0_E_clISt17integral_constantIbLb1EES1T_IbLb0EEEEDaS1P_S1Q_EUlS1P_E_NS1_11comp_targetILNS1_3genE4ELNS1_11target_archE910ELNS1_3gpuE8ELNS1_3repE0EEENS1_30default_config_static_selectorELNS0_4arch9wavefront6targetE0EEEvS12_.has_indirect_call, 0
	.section	.AMDGPU.csdata,"",@progbits
; Kernel info:
; codeLenInByte = 0
; TotalNumSgprs: 0
; NumVgprs: 0
; ScratchSize: 0
; MemoryBound: 0
; FloatMode: 240
; IeeeMode: 1
; LDSByteSize: 0 bytes/workgroup (compile time only)
; SGPRBlocks: 0
; VGPRBlocks: 0
; NumSGPRsForWavesPerEU: 1
; NumVGPRsForWavesPerEU: 1
; Occupancy: 16
; WaveLimiterHint : 0
; COMPUTE_PGM_RSRC2:SCRATCH_EN: 0
; COMPUTE_PGM_RSRC2:USER_SGPR: 6
; COMPUTE_PGM_RSRC2:TRAP_HANDLER: 0
; COMPUTE_PGM_RSRC2:TGID_X_EN: 1
; COMPUTE_PGM_RSRC2:TGID_Y_EN: 0
; COMPUTE_PGM_RSRC2:TGID_Z_EN: 0
; COMPUTE_PGM_RSRC2:TIDIG_COMP_CNT: 0
	.section	.text._ZN7rocprim17ROCPRIM_400000_NS6detail17trampoline_kernelINS0_13select_configILj256ELj13ELNS0_17block_load_methodE3ELS4_3ELS4_3ELNS0_20block_scan_algorithmE0ELj4294967295EEENS1_25partition_config_selectorILNS1_17partition_subalgoE4EjNS0_10empty_typeEbEEZZNS1_14partition_implILS8_4ELb0ES6_15HIP_vector_typeIjLj2EENS0_17counting_iteratorIjlEEPS9_SG_NS0_5tupleIJPjSI_NS0_16reverse_iteratorISI_EEEEENSH_IJSG_SG_SG_EEES9_SI_JZNS1_25segmented_radix_sort_implINS0_14default_configELb1EPKiPiPKlPlN2at6native12_GLOBAL__N_18offset_tEEE10hipError_tPvRmT1_PNSt15iterator_traitsIS12_E10value_typeET2_T3_PNS13_IS18_E10value_typeET4_jRbjT5_S1E_jjP12ihipStream_tbEUljE_ZNSN_ISO_Lb1ESQ_SR_ST_SU_SY_EESZ_S10_S11_S12_S16_S17_S18_S1B_S1C_jS1D_jS1E_S1E_jjS1G_bEUljE0_EEESZ_S10_S11_S18_S1C_S1E_T6_T7_T9_mT8_S1G_bDpT10_ENKUlT_T0_E_clISt17integral_constantIbLb1EES1T_IbLb0EEEEDaS1P_S1Q_EUlS1P_E_NS1_11comp_targetILNS1_3genE3ELNS1_11target_archE908ELNS1_3gpuE7ELNS1_3repE0EEENS1_30default_config_static_selectorELNS0_4arch9wavefront6targetE0EEEvS12_,"axG",@progbits,_ZN7rocprim17ROCPRIM_400000_NS6detail17trampoline_kernelINS0_13select_configILj256ELj13ELNS0_17block_load_methodE3ELS4_3ELS4_3ELNS0_20block_scan_algorithmE0ELj4294967295EEENS1_25partition_config_selectorILNS1_17partition_subalgoE4EjNS0_10empty_typeEbEEZZNS1_14partition_implILS8_4ELb0ES6_15HIP_vector_typeIjLj2EENS0_17counting_iteratorIjlEEPS9_SG_NS0_5tupleIJPjSI_NS0_16reverse_iteratorISI_EEEEENSH_IJSG_SG_SG_EEES9_SI_JZNS1_25segmented_radix_sort_implINS0_14default_configELb1EPKiPiPKlPlN2at6native12_GLOBAL__N_18offset_tEEE10hipError_tPvRmT1_PNSt15iterator_traitsIS12_E10value_typeET2_T3_PNS13_IS18_E10value_typeET4_jRbjT5_S1E_jjP12ihipStream_tbEUljE_ZNSN_ISO_Lb1ESQ_SR_ST_SU_SY_EESZ_S10_S11_S12_S16_S17_S18_S1B_S1C_jS1D_jS1E_S1E_jjS1G_bEUljE0_EEESZ_S10_S11_S18_S1C_S1E_T6_T7_T9_mT8_S1G_bDpT10_ENKUlT_T0_E_clISt17integral_constantIbLb1EES1T_IbLb0EEEEDaS1P_S1Q_EUlS1P_E_NS1_11comp_targetILNS1_3genE3ELNS1_11target_archE908ELNS1_3gpuE7ELNS1_3repE0EEENS1_30default_config_static_selectorELNS0_4arch9wavefront6targetE0EEEvS12_,comdat
	.globl	_ZN7rocprim17ROCPRIM_400000_NS6detail17trampoline_kernelINS0_13select_configILj256ELj13ELNS0_17block_load_methodE3ELS4_3ELS4_3ELNS0_20block_scan_algorithmE0ELj4294967295EEENS1_25partition_config_selectorILNS1_17partition_subalgoE4EjNS0_10empty_typeEbEEZZNS1_14partition_implILS8_4ELb0ES6_15HIP_vector_typeIjLj2EENS0_17counting_iteratorIjlEEPS9_SG_NS0_5tupleIJPjSI_NS0_16reverse_iteratorISI_EEEEENSH_IJSG_SG_SG_EEES9_SI_JZNS1_25segmented_radix_sort_implINS0_14default_configELb1EPKiPiPKlPlN2at6native12_GLOBAL__N_18offset_tEEE10hipError_tPvRmT1_PNSt15iterator_traitsIS12_E10value_typeET2_T3_PNS13_IS18_E10value_typeET4_jRbjT5_S1E_jjP12ihipStream_tbEUljE_ZNSN_ISO_Lb1ESQ_SR_ST_SU_SY_EESZ_S10_S11_S12_S16_S17_S18_S1B_S1C_jS1D_jS1E_S1E_jjS1G_bEUljE0_EEESZ_S10_S11_S18_S1C_S1E_T6_T7_T9_mT8_S1G_bDpT10_ENKUlT_T0_E_clISt17integral_constantIbLb1EES1T_IbLb0EEEEDaS1P_S1Q_EUlS1P_E_NS1_11comp_targetILNS1_3genE3ELNS1_11target_archE908ELNS1_3gpuE7ELNS1_3repE0EEENS1_30default_config_static_selectorELNS0_4arch9wavefront6targetE0EEEvS12_ ; -- Begin function _ZN7rocprim17ROCPRIM_400000_NS6detail17trampoline_kernelINS0_13select_configILj256ELj13ELNS0_17block_load_methodE3ELS4_3ELS4_3ELNS0_20block_scan_algorithmE0ELj4294967295EEENS1_25partition_config_selectorILNS1_17partition_subalgoE4EjNS0_10empty_typeEbEEZZNS1_14partition_implILS8_4ELb0ES6_15HIP_vector_typeIjLj2EENS0_17counting_iteratorIjlEEPS9_SG_NS0_5tupleIJPjSI_NS0_16reverse_iteratorISI_EEEEENSH_IJSG_SG_SG_EEES9_SI_JZNS1_25segmented_radix_sort_implINS0_14default_configELb1EPKiPiPKlPlN2at6native12_GLOBAL__N_18offset_tEEE10hipError_tPvRmT1_PNSt15iterator_traitsIS12_E10value_typeET2_T3_PNS13_IS18_E10value_typeET4_jRbjT5_S1E_jjP12ihipStream_tbEUljE_ZNSN_ISO_Lb1ESQ_SR_ST_SU_SY_EESZ_S10_S11_S12_S16_S17_S18_S1B_S1C_jS1D_jS1E_S1E_jjS1G_bEUljE0_EEESZ_S10_S11_S18_S1C_S1E_T6_T7_T9_mT8_S1G_bDpT10_ENKUlT_T0_E_clISt17integral_constantIbLb1EES1T_IbLb0EEEEDaS1P_S1Q_EUlS1P_E_NS1_11comp_targetILNS1_3genE3ELNS1_11target_archE908ELNS1_3gpuE7ELNS1_3repE0EEENS1_30default_config_static_selectorELNS0_4arch9wavefront6targetE0EEEvS12_
	.p2align	8
	.type	_ZN7rocprim17ROCPRIM_400000_NS6detail17trampoline_kernelINS0_13select_configILj256ELj13ELNS0_17block_load_methodE3ELS4_3ELS4_3ELNS0_20block_scan_algorithmE0ELj4294967295EEENS1_25partition_config_selectorILNS1_17partition_subalgoE4EjNS0_10empty_typeEbEEZZNS1_14partition_implILS8_4ELb0ES6_15HIP_vector_typeIjLj2EENS0_17counting_iteratorIjlEEPS9_SG_NS0_5tupleIJPjSI_NS0_16reverse_iteratorISI_EEEEENSH_IJSG_SG_SG_EEES9_SI_JZNS1_25segmented_radix_sort_implINS0_14default_configELb1EPKiPiPKlPlN2at6native12_GLOBAL__N_18offset_tEEE10hipError_tPvRmT1_PNSt15iterator_traitsIS12_E10value_typeET2_T3_PNS13_IS18_E10value_typeET4_jRbjT5_S1E_jjP12ihipStream_tbEUljE_ZNSN_ISO_Lb1ESQ_SR_ST_SU_SY_EESZ_S10_S11_S12_S16_S17_S18_S1B_S1C_jS1D_jS1E_S1E_jjS1G_bEUljE0_EEESZ_S10_S11_S18_S1C_S1E_T6_T7_T9_mT8_S1G_bDpT10_ENKUlT_T0_E_clISt17integral_constantIbLb1EES1T_IbLb0EEEEDaS1P_S1Q_EUlS1P_E_NS1_11comp_targetILNS1_3genE3ELNS1_11target_archE908ELNS1_3gpuE7ELNS1_3repE0EEENS1_30default_config_static_selectorELNS0_4arch9wavefront6targetE0EEEvS12_,@function
_ZN7rocprim17ROCPRIM_400000_NS6detail17trampoline_kernelINS0_13select_configILj256ELj13ELNS0_17block_load_methodE3ELS4_3ELS4_3ELNS0_20block_scan_algorithmE0ELj4294967295EEENS1_25partition_config_selectorILNS1_17partition_subalgoE4EjNS0_10empty_typeEbEEZZNS1_14partition_implILS8_4ELb0ES6_15HIP_vector_typeIjLj2EENS0_17counting_iteratorIjlEEPS9_SG_NS0_5tupleIJPjSI_NS0_16reverse_iteratorISI_EEEEENSH_IJSG_SG_SG_EEES9_SI_JZNS1_25segmented_radix_sort_implINS0_14default_configELb1EPKiPiPKlPlN2at6native12_GLOBAL__N_18offset_tEEE10hipError_tPvRmT1_PNSt15iterator_traitsIS12_E10value_typeET2_T3_PNS13_IS18_E10value_typeET4_jRbjT5_S1E_jjP12ihipStream_tbEUljE_ZNSN_ISO_Lb1ESQ_SR_ST_SU_SY_EESZ_S10_S11_S12_S16_S17_S18_S1B_S1C_jS1D_jS1E_S1E_jjS1G_bEUljE0_EEESZ_S10_S11_S18_S1C_S1E_T6_T7_T9_mT8_S1G_bDpT10_ENKUlT_T0_E_clISt17integral_constantIbLb1EES1T_IbLb0EEEEDaS1P_S1Q_EUlS1P_E_NS1_11comp_targetILNS1_3genE3ELNS1_11target_archE908ELNS1_3gpuE7ELNS1_3repE0EEENS1_30default_config_static_selectorELNS0_4arch9wavefront6targetE0EEEvS12_: ; @_ZN7rocprim17ROCPRIM_400000_NS6detail17trampoline_kernelINS0_13select_configILj256ELj13ELNS0_17block_load_methodE3ELS4_3ELS4_3ELNS0_20block_scan_algorithmE0ELj4294967295EEENS1_25partition_config_selectorILNS1_17partition_subalgoE4EjNS0_10empty_typeEbEEZZNS1_14partition_implILS8_4ELb0ES6_15HIP_vector_typeIjLj2EENS0_17counting_iteratorIjlEEPS9_SG_NS0_5tupleIJPjSI_NS0_16reverse_iteratorISI_EEEEENSH_IJSG_SG_SG_EEES9_SI_JZNS1_25segmented_radix_sort_implINS0_14default_configELb1EPKiPiPKlPlN2at6native12_GLOBAL__N_18offset_tEEE10hipError_tPvRmT1_PNSt15iterator_traitsIS12_E10value_typeET2_T3_PNS13_IS18_E10value_typeET4_jRbjT5_S1E_jjP12ihipStream_tbEUljE_ZNSN_ISO_Lb1ESQ_SR_ST_SU_SY_EESZ_S10_S11_S12_S16_S17_S18_S1B_S1C_jS1D_jS1E_S1E_jjS1G_bEUljE0_EEESZ_S10_S11_S18_S1C_S1E_T6_T7_T9_mT8_S1G_bDpT10_ENKUlT_T0_E_clISt17integral_constantIbLb1EES1T_IbLb0EEEEDaS1P_S1Q_EUlS1P_E_NS1_11comp_targetILNS1_3genE3ELNS1_11target_archE908ELNS1_3gpuE7ELNS1_3repE0EEENS1_30default_config_static_selectorELNS0_4arch9wavefront6targetE0EEEvS12_
; %bb.0:
	.section	.rodata,"a",@progbits
	.p2align	6, 0x0
	.amdhsa_kernel _ZN7rocprim17ROCPRIM_400000_NS6detail17trampoline_kernelINS0_13select_configILj256ELj13ELNS0_17block_load_methodE3ELS4_3ELS4_3ELNS0_20block_scan_algorithmE0ELj4294967295EEENS1_25partition_config_selectorILNS1_17partition_subalgoE4EjNS0_10empty_typeEbEEZZNS1_14partition_implILS8_4ELb0ES6_15HIP_vector_typeIjLj2EENS0_17counting_iteratorIjlEEPS9_SG_NS0_5tupleIJPjSI_NS0_16reverse_iteratorISI_EEEEENSH_IJSG_SG_SG_EEES9_SI_JZNS1_25segmented_radix_sort_implINS0_14default_configELb1EPKiPiPKlPlN2at6native12_GLOBAL__N_18offset_tEEE10hipError_tPvRmT1_PNSt15iterator_traitsIS12_E10value_typeET2_T3_PNS13_IS18_E10value_typeET4_jRbjT5_S1E_jjP12ihipStream_tbEUljE_ZNSN_ISO_Lb1ESQ_SR_ST_SU_SY_EESZ_S10_S11_S12_S16_S17_S18_S1B_S1C_jS1D_jS1E_S1E_jjS1G_bEUljE0_EEESZ_S10_S11_S18_S1C_S1E_T6_T7_T9_mT8_S1G_bDpT10_ENKUlT_T0_E_clISt17integral_constantIbLb1EES1T_IbLb0EEEEDaS1P_S1Q_EUlS1P_E_NS1_11comp_targetILNS1_3genE3ELNS1_11target_archE908ELNS1_3gpuE7ELNS1_3repE0EEENS1_30default_config_static_selectorELNS0_4arch9wavefront6targetE0EEEvS12_
		.amdhsa_group_segment_fixed_size 0
		.amdhsa_private_segment_fixed_size 0
		.amdhsa_kernarg_size 176
		.amdhsa_user_sgpr_count 6
		.amdhsa_user_sgpr_private_segment_buffer 1
		.amdhsa_user_sgpr_dispatch_ptr 0
		.amdhsa_user_sgpr_queue_ptr 0
		.amdhsa_user_sgpr_kernarg_segment_ptr 1
		.amdhsa_user_sgpr_dispatch_id 0
		.amdhsa_user_sgpr_flat_scratch_init 0
		.amdhsa_user_sgpr_private_segment_size 0
		.amdhsa_wavefront_size32 1
		.amdhsa_uses_dynamic_stack 0
		.amdhsa_system_sgpr_private_segment_wavefront_offset 0
		.amdhsa_system_sgpr_workgroup_id_x 1
		.amdhsa_system_sgpr_workgroup_id_y 0
		.amdhsa_system_sgpr_workgroup_id_z 0
		.amdhsa_system_sgpr_workgroup_info 0
		.amdhsa_system_vgpr_workitem_id 0
		.amdhsa_next_free_vgpr 1
		.amdhsa_next_free_sgpr 1
		.amdhsa_reserve_vcc 0
		.amdhsa_reserve_flat_scratch 0
		.amdhsa_float_round_mode_32 0
		.amdhsa_float_round_mode_16_64 0
		.amdhsa_float_denorm_mode_32 3
		.amdhsa_float_denorm_mode_16_64 3
		.amdhsa_dx10_clamp 1
		.amdhsa_ieee_mode 1
		.amdhsa_fp16_overflow 0
		.amdhsa_workgroup_processor_mode 1
		.amdhsa_memory_ordered 1
		.amdhsa_forward_progress 1
		.amdhsa_shared_vgpr_count 0
		.amdhsa_exception_fp_ieee_invalid_op 0
		.amdhsa_exception_fp_denorm_src 0
		.amdhsa_exception_fp_ieee_div_zero 0
		.amdhsa_exception_fp_ieee_overflow 0
		.amdhsa_exception_fp_ieee_underflow 0
		.amdhsa_exception_fp_ieee_inexact 0
		.amdhsa_exception_int_div_zero 0
	.end_amdhsa_kernel
	.section	.text._ZN7rocprim17ROCPRIM_400000_NS6detail17trampoline_kernelINS0_13select_configILj256ELj13ELNS0_17block_load_methodE3ELS4_3ELS4_3ELNS0_20block_scan_algorithmE0ELj4294967295EEENS1_25partition_config_selectorILNS1_17partition_subalgoE4EjNS0_10empty_typeEbEEZZNS1_14partition_implILS8_4ELb0ES6_15HIP_vector_typeIjLj2EENS0_17counting_iteratorIjlEEPS9_SG_NS0_5tupleIJPjSI_NS0_16reverse_iteratorISI_EEEEENSH_IJSG_SG_SG_EEES9_SI_JZNS1_25segmented_radix_sort_implINS0_14default_configELb1EPKiPiPKlPlN2at6native12_GLOBAL__N_18offset_tEEE10hipError_tPvRmT1_PNSt15iterator_traitsIS12_E10value_typeET2_T3_PNS13_IS18_E10value_typeET4_jRbjT5_S1E_jjP12ihipStream_tbEUljE_ZNSN_ISO_Lb1ESQ_SR_ST_SU_SY_EESZ_S10_S11_S12_S16_S17_S18_S1B_S1C_jS1D_jS1E_S1E_jjS1G_bEUljE0_EEESZ_S10_S11_S18_S1C_S1E_T6_T7_T9_mT8_S1G_bDpT10_ENKUlT_T0_E_clISt17integral_constantIbLb1EES1T_IbLb0EEEEDaS1P_S1Q_EUlS1P_E_NS1_11comp_targetILNS1_3genE3ELNS1_11target_archE908ELNS1_3gpuE7ELNS1_3repE0EEENS1_30default_config_static_selectorELNS0_4arch9wavefront6targetE0EEEvS12_,"axG",@progbits,_ZN7rocprim17ROCPRIM_400000_NS6detail17trampoline_kernelINS0_13select_configILj256ELj13ELNS0_17block_load_methodE3ELS4_3ELS4_3ELNS0_20block_scan_algorithmE0ELj4294967295EEENS1_25partition_config_selectorILNS1_17partition_subalgoE4EjNS0_10empty_typeEbEEZZNS1_14partition_implILS8_4ELb0ES6_15HIP_vector_typeIjLj2EENS0_17counting_iteratorIjlEEPS9_SG_NS0_5tupleIJPjSI_NS0_16reverse_iteratorISI_EEEEENSH_IJSG_SG_SG_EEES9_SI_JZNS1_25segmented_radix_sort_implINS0_14default_configELb1EPKiPiPKlPlN2at6native12_GLOBAL__N_18offset_tEEE10hipError_tPvRmT1_PNSt15iterator_traitsIS12_E10value_typeET2_T3_PNS13_IS18_E10value_typeET4_jRbjT5_S1E_jjP12ihipStream_tbEUljE_ZNSN_ISO_Lb1ESQ_SR_ST_SU_SY_EESZ_S10_S11_S12_S16_S17_S18_S1B_S1C_jS1D_jS1E_S1E_jjS1G_bEUljE0_EEESZ_S10_S11_S18_S1C_S1E_T6_T7_T9_mT8_S1G_bDpT10_ENKUlT_T0_E_clISt17integral_constantIbLb1EES1T_IbLb0EEEEDaS1P_S1Q_EUlS1P_E_NS1_11comp_targetILNS1_3genE3ELNS1_11target_archE908ELNS1_3gpuE7ELNS1_3repE0EEENS1_30default_config_static_selectorELNS0_4arch9wavefront6targetE0EEEvS12_,comdat
.Lfunc_end448:
	.size	_ZN7rocprim17ROCPRIM_400000_NS6detail17trampoline_kernelINS0_13select_configILj256ELj13ELNS0_17block_load_methodE3ELS4_3ELS4_3ELNS0_20block_scan_algorithmE0ELj4294967295EEENS1_25partition_config_selectorILNS1_17partition_subalgoE4EjNS0_10empty_typeEbEEZZNS1_14partition_implILS8_4ELb0ES6_15HIP_vector_typeIjLj2EENS0_17counting_iteratorIjlEEPS9_SG_NS0_5tupleIJPjSI_NS0_16reverse_iteratorISI_EEEEENSH_IJSG_SG_SG_EEES9_SI_JZNS1_25segmented_radix_sort_implINS0_14default_configELb1EPKiPiPKlPlN2at6native12_GLOBAL__N_18offset_tEEE10hipError_tPvRmT1_PNSt15iterator_traitsIS12_E10value_typeET2_T3_PNS13_IS18_E10value_typeET4_jRbjT5_S1E_jjP12ihipStream_tbEUljE_ZNSN_ISO_Lb1ESQ_SR_ST_SU_SY_EESZ_S10_S11_S12_S16_S17_S18_S1B_S1C_jS1D_jS1E_S1E_jjS1G_bEUljE0_EEESZ_S10_S11_S18_S1C_S1E_T6_T7_T9_mT8_S1G_bDpT10_ENKUlT_T0_E_clISt17integral_constantIbLb1EES1T_IbLb0EEEEDaS1P_S1Q_EUlS1P_E_NS1_11comp_targetILNS1_3genE3ELNS1_11target_archE908ELNS1_3gpuE7ELNS1_3repE0EEENS1_30default_config_static_selectorELNS0_4arch9wavefront6targetE0EEEvS12_, .Lfunc_end448-_ZN7rocprim17ROCPRIM_400000_NS6detail17trampoline_kernelINS0_13select_configILj256ELj13ELNS0_17block_load_methodE3ELS4_3ELS4_3ELNS0_20block_scan_algorithmE0ELj4294967295EEENS1_25partition_config_selectorILNS1_17partition_subalgoE4EjNS0_10empty_typeEbEEZZNS1_14partition_implILS8_4ELb0ES6_15HIP_vector_typeIjLj2EENS0_17counting_iteratorIjlEEPS9_SG_NS0_5tupleIJPjSI_NS0_16reverse_iteratorISI_EEEEENSH_IJSG_SG_SG_EEES9_SI_JZNS1_25segmented_radix_sort_implINS0_14default_configELb1EPKiPiPKlPlN2at6native12_GLOBAL__N_18offset_tEEE10hipError_tPvRmT1_PNSt15iterator_traitsIS12_E10value_typeET2_T3_PNS13_IS18_E10value_typeET4_jRbjT5_S1E_jjP12ihipStream_tbEUljE_ZNSN_ISO_Lb1ESQ_SR_ST_SU_SY_EESZ_S10_S11_S12_S16_S17_S18_S1B_S1C_jS1D_jS1E_S1E_jjS1G_bEUljE0_EEESZ_S10_S11_S18_S1C_S1E_T6_T7_T9_mT8_S1G_bDpT10_ENKUlT_T0_E_clISt17integral_constantIbLb1EES1T_IbLb0EEEEDaS1P_S1Q_EUlS1P_E_NS1_11comp_targetILNS1_3genE3ELNS1_11target_archE908ELNS1_3gpuE7ELNS1_3repE0EEENS1_30default_config_static_selectorELNS0_4arch9wavefront6targetE0EEEvS12_
                                        ; -- End function
	.set _ZN7rocprim17ROCPRIM_400000_NS6detail17trampoline_kernelINS0_13select_configILj256ELj13ELNS0_17block_load_methodE3ELS4_3ELS4_3ELNS0_20block_scan_algorithmE0ELj4294967295EEENS1_25partition_config_selectorILNS1_17partition_subalgoE4EjNS0_10empty_typeEbEEZZNS1_14partition_implILS8_4ELb0ES6_15HIP_vector_typeIjLj2EENS0_17counting_iteratorIjlEEPS9_SG_NS0_5tupleIJPjSI_NS0_16reverse_iteratorISI_EEEEENSH_IJSG_SG_SG_EEES9_SI_JZNS1_25segmented_radix_sort_implINS0_14default_configELb1EPKiPiPKlPlN2at6native12_GLOBAL__N_18offset_tEEE10hipError_tPvRmT1_PNSt15iterator_traitsIS12_E10value_typeET2_T3_PNS13_IS18_E10value_typeET4_jRbjT5_S1E_jjP12ihipStream_tbEUljE_ZNSN_ISO_Lb1ESQ_SR_ST_SU_SY_EESZ_S10_S11_S12_S16_S17_S18_S1B_S1C_jS1D_jS1E_S1E_jjS1G_bEUljE0_EEESZ_S10_S11_S18_S1C_S1E_T6_T7_T9_mT8_S1G_bDpT10_ENKUlT_T0_E_clISt17integral_constantIbLb1EES1T_IbLb0EEEEDaS1P_S1Q_EUlS1P_E_NS1_11comp_targetILNS1_3genE3ELNS1_11target_archE908ELNS1_3gpuE7ELNS1_3repE0EEENS1_30default_config_static_selectorELNS0_4arch9wavefront6targetE0EEEvS12_.num_vgpr, 0
	.set _ZN7rocprim17ROCPRIM_400000_NS6detail17trampoline_kernelINS0_13select_configILj256ELj13ELNS0_17block_load_methodE3ELS4_3ELS4_3ELNS0_20block_scan_algorithmE0ELj4294967295EEENS1_25partition_config_selectorILNS1_17partition_subalgoE4EjNS0_10empty_typeEbEEZZNS1_14partition_implILS8_4ELb0ES6_15HIP_vector_typeIjLj2EENS0_17counting_iteratorIjlEEPS9_SG_NS0_5tupleIJPjSI_NS0_16reverse_iteratorISI_EEEEENSH_IJSG_SG_SG_EEES9_SI_JZNS1_25segmented_radix_sort_implINS0_14default_configELb1EPKiPiPKlPlN2at6native12_GLOBAL__N_18offset_tEEE10hipError_tPvRmT1_PNSt15iterator_traitsIS12_E10value_typeET2_T3_PNS13_IS18_E10value_typeET4_jRbjT5_S1E_jjP12ihipStream_tbEUljE_ZNSN_ISO_Lb1ESQ_SR_ST_SU_SY_EESZ_S10_S11_S12_S16_S17_S18_S1B_S1C_jS1D_jS1E_S1E_jjS1G_bEUljE0_EEESZ_S10_S11_S18_S1C_S1E_T6_T7_T9_mT8_S1G_bDpT10_ENKUlT_T0_E_clISt17integral_constantIbLb1EES1T_IbLb0EEEEDaS1P_S1Q_EUlS1P_E_NS1_11comp_targetILNS1_3genE3ELNS1_11target_archE908ELNS1_3gpuE7ELNS1_3repE0EEENS1_30default_config_static_selectorELNS0_4arch9wavefront6targetE0EEEvS12_.num_agpr, 0
	.set _ZN7rocprim17ROCPRIM_400000_NS6detail17trampoline_kernelINS0_13select_configILj256ELj13ELNS0_17block_load_methodE3ELS4_3ELS4_3ELNS0_20block_scan_algorithmE0ELj4294967295EEENS1_25partition_config_selectorILNS1_17partition_subalgoE4EjNS0_10empty_typeEbEEZZNS1_14partition_implILS8_4ELb0ES6_15HIP_vector_typeIjLj2EENS0_17counting_iteratorIjlEEPS9_SG_NS0_5tupleIJPjSI_NS0_16reverse_iteratorISI_EEEEENSH_IJSG_SG_SG_EEES9_SI_JZNS1_25segmented_radix_sort_implINS0_14default_configELb1EPKiPiPKlPlN2at6native12_GLOBAL__N_18offset_tEEE10hipError_tPvRmT1_PNSt15iterator_traitsIS12_E10value_typeET2_T3_PNS13_IS18_E10value_typeET4_jRbjT5_S1E_jjP12ihipStream_tbEUljE_ZNSN_ISO_Lb1ESQ_SR_ST_SU_SY_EESZ_S10_S11_S12_S16_S17_S18_S1B_S1C_jS1D_jS1E_S1E_jjS1G_bEUljE0_EEESZ_S10_S11_S18_S1C_S1E_T6_T7_T9_mT8_S1G_bDpT10_ENKUlT_T0_E_clISt17integral_constantIbLb1EES1T_IbLb0EEEEDaS1P_S1Q_EUlS1P_E_NS1_11comp_targetILNS1_3genE3ELNS1_11target_archE908ELNS1_3gpuE7ELNS1_3repE0EEENS1_30default_config_static_selectorELNS0_4arch9wavefront6targetE0EEEvS12_.numbered_sgpr, 0
	.set _ZN7rocprim17ROCPRIM_400000_NS6detail17trampoline_kernelINS0_13select_configILj256ELj13ELNS0_17block_load_methodE3ELS4_3ELS4_3ELNS0_20block_scan_algorithmE0ELj4294967295EEENS1_25partition_config_selectorILNS1_17partition_subalgoE4EjNS0_10empty_typeEbEEZZNS1_14partition_implILS8_4ELb0ES6_15HIP_vector_typeIjLj2EENS0_17counting_iteratorIjlEEPS9_SG_NS0_5tupleIJPjSI_NS0_16reverse_iteratorISI_EEEEENSH_IJSG_SG_SG_EEES9_SI_JZNS1_25segmented_radix_sort_implINS0_14default_configELb1EPKiPiPKlPlN2at6native12_GLOBAL__N_18offset_tEEE10hipError_tPvRmT1_PNSt15iterator_traitsIS12_E10value_typeET2_T3_PNS13_IS18_E10value_typeET4_jRbjT5_S1E_jjP12ihipStream_tbEUljE_ZNSN_ISO_Lb1ESQ_SR_ST_SU_SY_EESZ_S10_S11_S12_S16_S17_S18_S1B_S1C_jS1D_jS1E_S1E_jjS1G_bEUljE0_EEESZ_S10_S11_S18_S1C_S1E_T6_T7_T9_mT8_S1G_bDpT10_ENKUlT_T0_E_clISt17integral_constantIbLb1EES1T_IbLb0EEEEDaS1P_S1Q_EUlS1P_E_NS1_11comp_targetILNS1_3genE3ELNS1_11target_archE908ELNS1_3gpuE7ELNS1_3repE0EEENS1_30default_config_static_selectorELNS0_4arch9wavefront6targetE0EEEvS12_.num_named_barrier, 0
	.set _ZN7rocprim17ROCPRIM_400000_NS6detail17trampoline_kernelINS0_13select_configILj256ELj13ELNS0_17block_load_methodE3ELS4_3ELS4_3ELNS0_20block_scan_algorithmE0ELj4294967295EEENS1_25partition_config_selectorILNS1_17partition_subalgoE4EjNS0_10empty_typeEbEEZZNS1_14partition_implILS8_4ELb0ES6_15HIP_vector_typeIjLj2EENS0_17counting_iteratorIjlEEPS9_SG_NS0_5tupleIJPjSI_NS0_16reverse_iteratorISI_EEEEENSH_IJSG_SG_SG_EEES9_SI_JZNS1_25segmented_radix_sort_implINS0_14default_configELb1EPKiPiPKlPlN2at6native12_GLOBAL__N_18offset_tEEE10hipError_tPvRmT1_PNSt15iterator_traitsIS12_E10value_typeET2_T3_PNS13_IS18_E10value_typeET4_jRbjT5_S1E_jjP12ihipStream_tbEUljE_ZNSN_ISO_Lb1ESQ_SR_ST_SU_SY_EESZ_S10_S11_S12_S16_S17_S18_S1B_S1C_jS1D_jS1E_S1E_jjS1G_bEUljE0_EEESZ_S10_S11_S18_S1C_S1E_T6_T7_T9_mT8_S1G_bDpT10_ENKUlT_T0_E_clISt17integral_constantIbLb1EES1T_IbLb0EEEEDaS1P_S1Q_EUlS1P_E_NS1_11comp_targetILNS1_3genE3ELNS1_11target_archE908ELNS1_3gpuE7ELNS1_3repE0EEENS1_30default_config_static_selectorELNS0_4arch9wavefront6targetE0EEEvS12_.private_seg_size, 0
	.set _ZN7rocprim17ROCPRIM_400000_NS6detail17trampoline_kernelINS0_13select_configILj256ELj13ELNS0_17block_load_methodE3ELS4_3ELS4_3ELNS0_20block_scan_algorithmE0ELj4294967295EEENS1_25partition_config_selectorILNS1_17partition_subalgoE4EjNS0_10empty_typeEbEEZZNS1_14partition_implILS8_4ELb0ES6_15HIP_vector_typeIjLj2EENS0_17counting_iteratorIjlEEPS9_SG_NS0_5tupleIJPjSI_NS0_16reverse_iteratorISI_EEEEENSH_IJSG_SG_SG_EEES9_SI_JZNS1_25segmented_radix_sort_implINS0_14default_configELb1EPKiPiPKlPlN2at6native12_GLOBAL__N_18offset_tEEE10hipError_tPvRmT1_PNSt15iterator_traitsIS12_E10value_typeET2_T3_PNS13_IS18_E10value_typeET4_jRbjT5_S1E_jjP12ihipStream_tbEUljE_ZNSN_ISO_Lb1ESQ_SR_ST_SU_SY_EESZ_S10_S11_S12_S16_S17_S18_S1B_S1C_jS1D_jS1E_S1E_jjS1G_bEUljE0_EEESZ_S10_S11_S18_S1C_S1E_T6_T7_T9_mT8_S1G_bDpT10_ENKUlT_T0_E_clISt17integral_constantIbLb1EES1T_IbLb0EEEEDaS1P_S1Q_EUlS1P_E_NS1_11comp_targetILNS1_3genE3ELNS1_11target_archE908ELNS1_3gpuE7ELNS1_3repE0EEENS1_30default_config_static_selectorELNS0_4arch9wavefront6targetE0EEEvS12_.uses_vcc, 0
	.set _ZN7rocprim17ROCPRIM_400000_NS6detail17trampoline_kernelINS0_13select_configILj256ELj13ELNS0_17block_load_methodE3ELS4_3ELS4_3ELNS0_20block_scan_algorithmE0ELj4294967295EEENS1_25partition_config_selectorILNS1_17partition_subalgoE4EjNS0_10empty_typeEbEEZZNS1_14partition_implILS8_4ELb0ES6_15HIP_vector_typeIjLj2EENS0_17counting_iteratorIjlEEPS9_SG_NS0_5tupleIJPjSI_NS0_16reverse_iteratorISI_EEEEENSH_IJSG_SG_SG_EEES9_SI_JZNS1_25segmented_radix_sort_implINS0_14default_configELb1EPKiPiPKlPlN2at6native12_GLOBAL__N_18offset_tEEE10hipError_tPvRmT1_PNSt15iterator_traitsIS12_E10value_typeET2_T3_PNS13_IS18_E10value_typeET4_jRbjT5_S1E_jjP12ihipStream_tbEUljE_ZNSN_ISO_Lb1ESQ_SR_ST_SU_SY_EESZ_S10_S11_S12_S16_S17_S18_S1B_S1C_jS1D_jS1E_S1E_jjS1G_bEUljE0_EEESZ_S10_S11_S18_S1C_S1E_T6_T7_T9_mT8_S1G_bDpT10_ENKUlT_T0_E_clISt17integral_constantIbLb1EES1T_IbLb0EEEEDaS1P_S1Q_EUlS1P_E_NS1_11comp_targetILNS1_3genE3ELNS1_11target_archE908ELNS1_3gpuE7ELNS1_3repE0EEENS1_30default_config_static_selectorELNS0_4arch9wavefront6targetE0EEEvS12_.uses_flat_scratch, 0
	.set _ZN7rocprim17ROCPRIM_400000_NS6detail17trampoline_kernelINS0_13select_configILj256ELj13ELNS0_17block_load_methodE3ELS4_3ELS4_3ELNS0_20block_scan_algorithmE0ELj4294967295EEENS1_25partition_config_selectorILNS1_17partition_subalgoE4EjNS0_10empty_typeEbEEZZNS1_14partition_implILS8_4ELb0ES6_15HIP_vector_typeIjLj2EENS0_17counting_iteratorIjlEEPS9_SG_NS0_5tupleIJPjSI_NS0_16reverse_iteratorISI_EEEEENSH_IJSG_SG_SG_EEES9_SI_JZNS1_25segmented_radix_sort_implINS0_14default_configELb1EPKiPiPKlPlN2at6native12_GLOBAL__N_18offset_tEEE10hipError_tPvRmT1_PNSt15iterator_traitsIS12_E10value_typeET2_T3_PNS13_IS18_E10value_typeET4_jRbjT5_S1E_jjP12ihipStream_tbEUljE_ZNSN_ISO_Lb1ESQ_SR_ST_SU_SY_EESZ_S10_S11_S12_S16_S17_S18_S1B_S1C_jS1D_jS1E_S1E_jjS1G_bEUljE0_EEESZ_S10_S11_S18_S1C_S1E_T6_T7_T9_mT8_S1G_bDpT10_ENKUlT_T0_E_clISt17integral_constantIbLb1EES1T_IbLb0EEEEDaS1P_S1Q_EUlS1P_E_NS1_11comp_targetILNS1_3genE3ELNS1_11target_archE908ELNS1_3gpuE7ELNS1_3repE0EEENS1_30default_config_static_selectorELNS0_4arch9wavefront6targetE0EEEvS12_.has_dyn_sized_stack, 0
	.set _ZN7rocprim17ROCPRIM_400000_NS6detail17trampoline_kernelINS0_13select_configILj256ELj13ELNS0_17block_load_methodE3ELS4_3ELS4_3ELNS0_20block_scan_algorithmE0ELj4294967295EEENS1_25partition_config_selectorILNS1_17partition_subalgoE4EjNS0_10empty_typeEbEEZZNS1_14partition_implILS8_4ELb0ES6_15HIP_vector_typeIjLj2EENS0_17counting_iteratorIjlEEPS9_SG_NS0_5tupleIJPjSI_NS0_16reverse_iteratorISI_EEEEENSH_IJSG_SG_SG_EEES9_SI_JZNS1_25segmented_radix_sort_implINS0_14default_configELb1EPKiPiPKlPlN2at6native12_GLOBAL__N_18offset_tEEE10hipError_tPvRmT1_PNSt15iterator_traitsIS12_E10value_typeET2_T3_PNS13_IS18_E10value_typeET4_jRbjT5_S1E_jjP12ihipStream_tbEUljE_ZNSN_ISO_Lb1ESQ_SR_ST_SU_SY_EESZ_S10_S11_S12_S16_S17_S18_S1B_S1C_jS1D_jS1E_S1E_jjS1G_bEUljE0_EEESZ_S10_S11_S18_S1C_S1E_T6_T7_T9_mT8_S1G_bDpT10_ENKUlT_T0_E_clISt17integral_constantIbLb1EES1T_IbLb0EEEEDaS1P_S1Q_EUlS1P_E_NS1_11comp_targetILNS1_3genE3ELNS1_11target_archE908ELNS1_3gpuE7ELNS1_3repE0EEENS1_30default_config_static_selectorELNS0_4arch9wavefront6targetE0EEEvS12_.has_recursion, 0
	.set _ZN7rocprim17ROCPRIM_400000_NS6detail17trampoline_kernelINS0_13select_configILj256ELj13ELNS0_17block_load_methodE3ELS4_3ELS4_3ELNS0_20block_scan_algorithmE0ELj4294967295EEENS1_25partition_config_selectorILNS1_17partition_subalgoE4EjNS0_10empty_typeEbEEZZNS1_14partition_implILS8_4ELb0ES6_15HIP_vector_typeIjLj2EENS0_17counting_iteratorIjlEEPS9_SG_NS0_5tupleIJPjSI_NS0_16reverse_iteratorISI_EEEEENSH_IJSG_SG_SG_EEES9_SI_JZNS1_25segmented_radix_sort_implINS0_14default_configELb1EPKiPiPKlPlN2at6native12_GLOBAL__N_18offset_tEEE10hipError_tPvRmT1_PNSt15iterator_traitsIS12_E10value_typeET2_T3_PNS13_IS18_E10value_typeET4_jRbjT5_S1E_jjP12ihipStream_tbEUljE_ZNSN_ISO_Lb1ESQ_SR_ST_SU_SY_EESZ_S10_S11_S12_S16_S17_S18_S1B_S1C_jS1D_jS1E_S1E_jjS1G_bEUljE0_EEESZ_S10_S11_S18_S1C_S1E_T6_T7_T9_mT8_S1G_bDpT10_ENKUlT_T0_E_clISt17integral_constantIbLb1EES1T_IbLb0EEEEDaS1P_S1Q_EUlS1P_E_NS1_11comp_targetILNS1_3genE3ELNS1_11target_archE908ELNS1_3gpuE7ELNS1_3repE0EEENS1_30default_config_static_selectorELNS0_4arch9wavefront6targetE0EEEvS12_.has_indirect_call, 0
	.section	.AMDGPU.csdata,"",@progbits
; Kernel info:
; codeLenInByte = 0
; TotalNumSgprs: 0
; NumVgprs: 0
; ScratchSize: 0
; MemoryBound: 0
; FloatMode: 240
; IeeeMode: 1
; LDSByteSize: 0 bytes/workgroup (compile time only)
; SGPRBlocks: 0
; VGPRBlocks: 0
; NumSGPRsForWavesPerEU: 1
; NumVGPRsForWavesPerEU: 1
; Occupancy: 16
; WaveLimiterHint : 0
; COMPUTE_PGM_RSRC2:SCRATCH_EN: 0
; COMPUTE_PGM_RSRC2:USER_SGPR: 6
; COMPUTE_PGM_RSRC2:TRAP_HANDLER: 0
; COMPUTE_PGM_RSRC2:TGID_X_EN: 1
; COMPUTE_PGM_RSRC2:TGID_Y_EN: 0
; COMPUTE_PGM_RSRC2:TGID_Z_EN: 0
; COMPUTE_PGM_RSRC2:TIDIG_COMP_CNT: 0
	.section	.text._ZN7rocprim17ROCPRIM_400000_NS6detail17trampoline_kernelINS0_13select_configILj256ELj13ELNS0_17block_load_methodE3ELS4_3ELS4_3ELNS0_20block_scan_algorithmE0ELj4294967295EEENS1_25partition_config_selectorILNS1_17partition_subalgoE4EjNS0_10empty_typeEbEEZZNS1_14partition_implILS8_4ELb0ES6_15HIP_vector_typeIjLj2EENS0_17counting_iteratorIjlEEPS9_SG_NS0_5tupleIJPjSI_NS0_16reverse_iteratorISI_EEEEENSH_IJSG_SG_SG_EEES9_SI_JZNS1_25segmented_radix_sort_implINS0_14default_configELb1EPKiPiPKlPlN2at6native12_GLOBAL__N_18offset_tEEE10hipError_tPvRmT1_PNSt15iterator_traitsIS12_E10value_typeET2_T3_PNS13_IS18_E10value_typeET4_jRbjT5_S1E_jjP12ihipStream_tbEUljE_ZNSN_ISO_Lb1ESQ_SR_ST_SU_SY_EESZ_S10_S11_S12_S16_S17_S18_S1B_S1C_jS1D_jS1E_S1E_jjS1G_bEUljE0_EEESZ_S10_S11_S18_S1C_S1E_T6_T7_T9_mT8_S1G_bDpT10_ENKUlT_T0_E_clISt17integral_constantIbLb1EES1T_IbLb0EEEEDaS1P_S1Q_EUlS1P_E_NS1_11comp_targetILNS1_3genE2ELNS1_11target_archE906ELNS1_3gpuE6ELNS1_3repE0EEENS1_30default_config_static_selectorELNS0_4arch9wavefront6targetE0EEEvS12_,"axG",@progbits,_ZN7rocprim17ROCPRIM_400000_NS6detail17trampoline_kernelINS0_13select_configILj256ELj13ELNS0_17block_load_methodE3ELS4_3ELS4_3ELNS0_20block_scan_algorithmE0ELj4294967295EEENS1_25partition_config_selectorILNS1_17partition_subalgoE4EjNS0_10empty_typeEbEEZZNS1_14partition_implILS8_4ELb0ES6_15HIP_vector_typeIjLj2EENS0_17counting_iteratorIjlEEPS9_SG_NS0_5tupleIJPjSI_NS0_16reverse_iteratorISI_EEEEENSH_IJSG_SG_SG_EEES9_SI_JZNS1_25segmented_radix_sort_implINS0_14default_configELb1EPKiPiPKlPlN2at6native12_GLOBAL__N_18offset_tEEE10hipError_tPvRmT1_PNSt15iterator_traitsIS12_E10value_typeET2_T3_PNS13_IS18_E10value_typeET4_jRbjT5_S1E_jjP12ihipStream_tbEUljE_ZNSN_ISO_Lb1ESQ_SR_ST_SU_SY_EESZ_S10_S11_S12_S16_S17_S18_S1B_S1C_jS1D_jS1E_S1E_jjS1G_bEUljE0_EEESZ_S10_S11_S18_S1C_S1E_T6_T7_T9_mT8_S1G_bDpT10_ENKUlT_T0_E_clISt17integral_constantIbLb1EES1T_IbLb0EEEEDaS1P_S1Q_EUlS1P_E_NS1_11comp_targetILNS1_3genE2ELNS1_11target_archE906ELNS1_3gpuE6ELNS1_3repE0EEENS1_30default_config_static_selectorELNS0_4arch9wavefront6targetE0EEEvS12_,comdat
	.globl	_ZN7rocprim17ROCPRIM_400000_NS6detail17trampoline_kernelINS0_13select_configILj256ELj13ELNS0_17block_load_methodE3ELS4_3ELS4_3ELNS0_20block_scan_algorithmE0ELj4294967295EEENS1_25partition_config_selectorILNS1_17partition_subalgoE4EjNS0_10empty_typeEbEEZZNS1_14partition_implILS8_4ELb0ES6_15HIP_vector_typeIjLj2EENS0_17counting_iteratorIjlEEPS9_SG_NS0_5tupleIJPjSI_NS0_16reverse_iteratorISI_EEEEENSH_IJSG_SG_SG_EEES9_SI_JZNS1_25segmented_radix_sort_implINS0_14default_configELb1EPKiPiPKlPlN2at6native12_GLOBAL__N_18offset_tEEE10hipError_tPvRmT1_PNSt15iterator_traitsIS12_E10value_typeET2_T3_PNS13_IS18_E10value_typeET4_jRbjT5_S1E_jjP12ihipStream_tbEUljE_ZNSN_ISO_Lb1ESQ_SR_ST_SU_SY_EESZ_S10_S11_S12_S16_S17_S18_S1B_S1C_jS1D_jS1E_S1E_jjS1G_bEUljE0_EEESZ_S10_S11_S18_S1C_S1E_T6_T7_T9_mT8_S1G_bDpT10_ENKUlT_T0_E_clISt17integral_constantIbLb1EES1T_IbLb0EEEEDaS1P_S1Q_EUlS1P_E_NS1_11comp_targetILNS1_3genE2ELNS1_11target_archE906ELNS1_3gpuE6ELNS1_3repE0EEENS1_30default_config_static_selectorELNS0_4arch9wavefront6targetE0EEEvS12_ ; -- Begin function _ZN7rocprim17ROCPRIM_400000_NS6detail17trampoline_kernelINS0_13select_configILj256ELj13ELNS0_17block_load_methodE3ELS4_3ELS4_3ELNS0_20block_scan_algorithmE0ELj4294967295EEENS1_25partition_config_selectorILNS1_17partition_subalgoE4EjNS0_10empty_typeEbEEZZNS1_14partition_implILS8_4ELb0ES6_15HIP_vector_typeIjLj2EENS0_17counting_iteratorIjlEEPS9_SG_NS0_5tupleIJPjSI_NS0_16reverse_iteratorISI_EEEEENSH_IJSG_SG_SG_EEES9_SI_JZNS1_25segmented_radix_sort_implINS0_14default_configELb1EPKiPiPKlPlN2at6native12_GLOBAL__N_18offset_tEEE10hipError_tPvRmT1_PNSt15iterator_traitsIS12_E10value_typeET2_T3_PNS13_IS18_E10value_typeET4_jRbjT5_S1E_jjP12ihipStream_tbEUljE_ZNSN_ISO_Lb1ESQ_SR_ST_SU_SY_EESZ_S10_S11_S12_S16_S17_S18_S1B_S1C_jS1D_jS1E_S1E_jjS1G_bEUljE0_EEESZ_S10_S11_S18_S1C_S1E_T6_T7_T9_mT8_S1G_bDpT10_ENKUlT_T0_E_clISt17integral_constantIbLb1EES1T_IbLb0EEEEDaS1P_S1Q_EUlS1P_E_NS1_11comp_targetILNS1_3genE2ELNS1_11target_archE906ELNS1_3gpuE6ELNS1_3repE0EEENS1_30default_config_static_selectorELNS0_4arch9wavefront6targetE0EEEvS12_
	.p2align	8
	.type	_ZN7rocprim17ROCPRIM_400000_NS6detail17trampoline_kernelINS0_13select_configILj256ELj13ELNS0_17block_load_methodE3ELS4_3ELS4_3ELNS0_20block_scan_algorithmE0ELj4294967295EEENS1_25partition_config_selectorILNS1_17partition_subalgoE4EjNS0_10empty_typeEbEEZZNS1_14partition_implILS8_4ELb0ES6_15HIP_vector_typeIjLj2EENS0_17counting_iteratorIjlEEPS9_SG_NS0_5tupleIJPjSI_NS0_16reverse_iteratorISI_EEEEENSH_IJSG_SG_SG_EEES9_SI_JZNS1_25segmented_radix_sort_implINS0_14default_configELb1EPKiPiPKlPlN2at6native12_GLOBAL__N_18offset_tEEE10hipError_tPvRmT1_PNSt15iterator_traitsIS12_E10value_typeET2_T3_PNS13_IS18_E10value_typeET4_jRbjT5_S1E_jjP12ihipStream_tbEUljE_ZNSN_ISO_Lb1ESQ_SR_ST_SU_SY_EESZ_S10_S11_S12_S16_S17_S18_S1B_S1C_jS1D_jS1E_S1E_jjS1G_bEUljE0_EEESZ_S10_S11_S18_S1C_S1E_T6_T7_T9_mT8_S1G_bDpT10_ENKUlT_T0_E_clISt17integral_constantIbLb1EES1T_IbLb0EEEEDaS1P_S1Q_EUlS1P_E_NS1_11comp_targetILNS1_3genE2ELNS1_11target_archE906ELNS1_3gpuE6ELNS1_3repE0EEENS1_30default_config_static_selectorELNS0_4arch9wavefront6targetE0EEEvS12_,@function
_ZN7rocprim17ROCPRIM_400000_NS6detail17trampoline_kernelINS0_13select_configILj256ELj13ELNS0_17block_load_methodE3ELS4_3ELS4_3ELNS0_20block_scan_algorithmE0ELj4294967295EEENS1_25partition_config_selectorILNS1_17partition_subalgoE4EjNS0_10empty_typeEbEEZZNS1_14partition_implILS8_4ELb0ES6_15HIP_vector_typeIjLj2EENS0_17counting_iteratorIjlEEPS9_SG_NS0_5tupleIJPjSI_NS0_16reverse_iteratorISI_EEEEENSH_IJSG_SG_SG_EEES9_SI_JZNS1_25segmented_radix_sort_implINS0_14default_configELb1EPKiPiPKlPlN2at6native12_GLOBAL__N_18offset_tEEE10hipError_tPvRmT1_PNSt15iterator_traitsIS12_E10value_typeET2_T3_PNS13_IS18_E10value_typeET4_jRbjT5_S1E_jjP12ihipStream_tbEUljE_ZNSN_ISO_Lb1ESQ_SR_ST_SU_SY_EESZ_S10_S11_S12_S16_S17_S18_S1B_S1C_jS1D_jS1E_S1E_jjS1G_bEUljE0_EEESZ_S10_S11_S18_S1C_S1E_T6_T7_T9_mT8_S1G_bDpT10_ENKUlT_T0_E_clISt17integral_constantIbLb1EES1T_IbLb0EEEEDaS1P_S1Q_EUlS1P_E_NS1_11comp_targetILNS1_3genE2ELNS1_11target_archE906ELNS1_3gpuE6ELNS1_3repE0EEENS1_30default_config_static_selectorELNS0_4arch9wavefront6targetE0EEEvS12_: ; @_ZN7rocprim17ROCPRIM_400000_NS6detail17trampoline_kernelINS0_13select_configILj256ELj13ELNS0_17block_load_methodE3ELS4_3ELS4_3ELNS0_20block_scan_algorithmE0ELj4294967295EEENS1_25partition_config_selectorILNS1_17partition_subalgoE4EjNS0_10empty_typeEbEEZZNS1_14partition_implILS8_4ELb0ES6_15HIP_vector_typeIjLj2EENS0_17counting_iteratorIjlEEPS9_SG_NS0_5tupleIJPjSI_NS0_16reverse_iteratorISI_EEEEENSH_IJSG_SG_SG_EEES9_SI_JZNS1_25segmented_radix_sort_implINS0_14default_configELb1EPKiPiPKlPlN2at6native12_GLOBAL__N_18offset_tEEE10hipError_tPvRmT1_PNSt15iterator_traitsIS12_E10value_typeET2_T3_PNS13_IS18_E10value_typeET4_jRbjT5_S1E_jjP12ihipStream_tbEUljE_ZNSN_ISO_Lb1ESQ_SR_ST_SU_SY_EESZ_S10_S11_S12_S16_S17_S18_S1B_S1C_jS1D_jS1E_S1E_jjS1G_bEUljE0_EEESZ_S10_S11_S18_S1C_S1E_T6_T7_T9_mT8_S1G_bDpT10_ENKUlT_T0_E_clISt17integral_constantIbLb1EES1T_IbLb0EEEEDaS1P_S1Q_EUlS1P_E_NS1_11comp_targetILNS1_3genE2ELNS1_11target_archE906ELNS1_3gpuE6ELNS1_3repE0EEENS1_30default_config_static_selectorELNS0_4arch9wavefront6targetE0EEEvS12_
; %bb.0:
	.section	.rodata,"a",@progbits
	.p2align	6, 0x0
	.amdhsa_kernel _ZN7rocprim17ROCPRIM_400000_NS6detail17trampoline_kernelINS0_13select_configILj256ELj13ELNS0_17block_load_methodE3ELS4_3ELS4_3ELNS0_20block_scan_algorithmE0ELj4294967295EEENS1_25partition_config_selectorILNS1_17partition_subalgoE4EjNS0_10empty_typeEbEEZZNS1_14partition_implILS8_4ELb0ES6_15HIP_vector_typeIjLj2EENS0_17counting_iteratorIjlEEPS9_SG_NS0_5tupleIJPjSI_NS0_16reverse_iteratorISI_EEEEENSH_IJSG_SG_SG_EEES9_SI_JZNS1_25segmented_radix_sort_implINS0_14default_configELb1EPKiPiPKlPlN2at6native12_GLOBAL__N_18offset_tEEE10hipError_tPvRmT1_PNSt15iterator_traitsIS12_E10value_typeET2_T3_PNS13_IS18_E10value_typeET4_jRbjT5_S1E_jjP12ihipStream_tbEUljE_ZNSN_ISO_Lb1ESQ_SR_ST_SU_SY_EESZ_S10_S11_S12_S16_S17_S18_S1B_S1C_jS1D_jS1E_S1E_jjS1G_bEUljE0_EEESZ_S10_S11_S18_S1C_S1E_T6_T7_T9_mT8_S1G_bDpT10_ENKUlT_T0_E_clISt17integral_constantIbLb1EES1T_IbLb0EEEEDaS1P_S1Q_EUlS1P_E_NS1_11comp_targetILNS1_3genE2ELNS1_11target_archE906ELNS1_3gpuE6ELNS1_3repE0EEENS1_30default_config_static_selectorELNS0_4arch9wavefront6targetE0EEEvS12_
		.amdhsa_group_segment_fixed_size 0
		.amdhsa_private_segment_fixed_size 0
		.amdhsa_kernarg_size 176
		.amdhsa_user_sgpr_count 6
		.amdhsa_user_sgpr_private_segment_buffer 1
		.amdhsa_user_sgpr_dispatch_ptr 0
		.amdhsa_user_sgpr_queue_ptr 0
		.amdhsa_user_sgpr_kernarg_segment_ptr 1
		.amdhsa_user_sgpr_dispatch_id 0
		.amdhsa_user_sgpr_flat_scratch_init 0
		.amdhsa_user_sgpr_private_segment_size 0
		.amdhsa_wavefront_size32 1
		.amdhsa_uses_dynamic_stack 0
		.amdhsa_system_sgpr_private_segment_wavefront_offset 0
		.amdhsa_system_sgpr_workgroup_id_x 1
		.amdhsa_system_sgpr_workgroup_id_y 0
		.amdhsa_system_sgpr_workgroup_id_z 0
		.amdhsa_system_sgpr_workgroup_info 0
		.amdhsa_system_vgpr_workitem_id 0
		.amdhsa_next_free_vgpr 1
		.amdhsa_next_free_sgpr 1
		.amdhsa_reserve_vcc 0
		.amdhsa_reserve_flat_scratch 0
		.amdhsa_float_round_mode_32 0
		.amdhsa_float_round_mode_16_64 0
		.amdhsa_float_denorm_mode_32 3
		.amdhsa_float_denorm_mode_16_64 3
		.amdhsa_dx10_clamp 1
		.amdhsa_ieee_mode 1
		.amdhsa_fp16_overflow 0
		.amdhsa_workgroup_processor_mode 1
		.amdhsa_memory_ordered 1
		.amdhsa_forward_progress 1
		.amdhsa_shared_vgpr_count 0
		.amdhsa_exception_fp_ieee_invalid_op 0
		.amdhsa_exception_fp_denorm_src 0
		.amdhsa_exception_fp_ieee_div_zero 0
		.amdhsa_exception_fp_ieee_overflow 0
		.amdhsa_exception_fp_ieee_underflow 0
		.amdhsa_exception_fp_ieee_inexact 0
		.amdhsa_exception_int_div_zero 0
	.end_amdhsa_kernel
	.section	.text._ZN7rocprim17ROCPRIM_400000_NS6detail17trampoline_kernelINS0_13select_configILj256ELj13ELNS0_17block_load_methodE3ELS4_3ELS4_3ELNS0_20block_scan_algorithmE0ELj4294967295EEENS1_25partition_config_selectorILNS1_17partition_subalgoE4EjNS0_10empty_typeEbEEZZNS1_14partition_implILS8_4ELb0ES6_15HIP_vector_typeIjLj2EENS0_17counting_iteratorIjlEEPS9_SG_NS0_5tupleIJPjSI_NS0_16reverse_iteratorISI_EEEEENSH_IJSG_SG_SG_EEES9_SI_JZNS1_25segmented_radix_sort_implINS0_14default_configELb1EPKiPiPKlPlN2at6native12_GLOBAL__N_18offset_tEEE10hipError_tPvRmT1_PNSt15iterator_traitsIS12_E10value_typeET2_T3_PNS13_IS18_E10value_typeET4_jRbjT5_S1E_jjP12ihipStream_tbEUljE_ZNSN_ISO_Lb1ESQ_SR_ST_SU_SY_EESZ_S10_S11_S12_S16_S17_S18_S1B_S1C_jS1D_jS1E_S1E_jjS1G_bEUljE0_EEESZ_S10_S11_S18_S1C_S1E_T6_T7_T9_mT8_S1G_bDpT10_ENKUlT_T0_E_clISt17integral_constantIbLb1EES1T_IbLb0EEEEDaS1P_S1Q_EUlS1P_E_NS1_11comp_targetILNS1_3genE2ELNS1_11target_archE906ELNS1_3gpuE6ELNS1_3repE0EEENS1_30default_config_static_selectorELNS0_4arch9wavefront6targetE0EEEvS12_,"axG",@progbits,_ZN7rocprim17ROCPRIM_400000_NS6detail17trampoline_kernelINS0_13select_configILj256ELj13ELNS0_17block_load_methodE3ELS4_3ELS4_3ELNS0_20block_scan_algorithmE0ELj4294967295EEENS1_25partition_config_selectorILNS1_17partition_subalgoE4EjNS0_10empty_typeEbEEZZNS1_14partition_implILS8_4ELb0ES6_15HIP_vector_typeIjLj2EENS0_17counting_iteratorIjlEEPS9_SG_NS0_5tupleIJPjSI_NS0_16reverse_iteratorISI_EEEEENSH_IJSG_SG_SG_EEES9_SI_JZNS1_25segmented_radix_sort_implINS0_14default_configELb1EPKiPiPKlPlN2at6native12_GLOBAL__N_18offset_tEEE10hipError_tPvRmT1_PNSt15iterator_traitsIS12_E10value_typeET2_T3_PNS13_IS18_E10value_typeET4_jRbjT5_S1E_jjP12ihipStream_tbEUljE_ZNSN_ISO_Lb1ESQ_SR_ST_SU_SY_EESZ_S10_S11_S12_S16_S17_S18_S1B_S1C_jS1D_jS1E_S1E_jjS1G_bEUljE0_EEESZ_S10_S11_S18_S1C_S1E_T6_T7_T9_mT8_S1G_bDpT10_ENKUlT_T0_E_clISt17integral_constantIbLb1EES1T_IbLb0EEEEDaS1P_S1Q_EUlS1P_E_NS1_11comp_targetILNS1_3genE2ELNS1_11target_archE906ELNS1_3gpuE6ELNS1_3repE0EEENS1_30default_config_static_selectorELNS0_4arch9wavefront6targetE0EEEvS12_,comdat
.Lfunc_end449:
	.size	_ZN7rocprim17ROCPRIM_400000_NS6detail17trampoline_kernelINS0_13select_configILj256ELj13ELNS0_17block_load_methodE3ELS4_3ELS4_3ELNS0_20block_scan_algorithmE0ELj4294967295EEENS1_25partition_config_selectorILNS1_17partition_subalgoE4EjNS0_10empty_typeEbEEZZNS1_14partition_implILS8_4ELb0ES6_15HIP_vector_typeIjLj2EENS0_17counting_iteratorIjlEEPS9_SG_NS0_5tupleIJPjSI_NS0_16reverse_iteratorISI_EEEEENSH_IJSG_SG_SG_EEES9_SI_JZNS1_25segmented_radix_sort_implINS0_14default_configELb1EPKiPiPKlPlN2at6native12_GLOBAL__N_18offset_tEEE10hipError_tPvRmT1_PNSt15iterator_traitsIS12_E10value_typeET2_T3_PNS13_IS18_E10value_typeET4_jRbjT5_S1E_jjP12ihipStream_tbEUljE_ZNSN_ISO_Lb1ESQ_SR_ST_SU_SY_EESZ_S10_S11_S12_S16_S17_S18_S1B_S1C_jS1D_jS1E_S1E_jjS1G_bEUljE0_EEESZ_S10_S11_S18_S1C_S1E_T6_T7_T9_mT8_S1G_bDpT10_ENKUlT_T0_E_clISt17integral_constantIbLb1EES1T_IbLb0EEEEDaS1P_S1Q_EUlS1P_E_NS1_11comp_targetILNS1_3genE2ELNS1_11target_archE906ELNS1_3gpuE6ELNS1_3repE0EEENS1_30default_config_static_selectorELNS0_4arch9wavefront6targetE0EEEvS12_, .Lfunc_end449-_ZN7rocprim17ROCPRIM_400000_NS6detail17trampoline_kernelINS0_13select_configILj256ELj13ELNS0_17block_load_methodE3ELS4_3ELS4_3ELNS0_20block_scan_algorithmE0ELj4294967295EEENS1_25partition_config_selectorILNS1_17partition_subalgoE4EjNS0_10empty_typeEbEEZZNS1_14partition_implILS8_4ELb0ES6_15HIP_vector_typeIjLj2EENS0_17counting_iteratorIjlEEPS9_SG_NS0_5tupleIJPjSI_NS0_16reverse_iteratorISI_EEEEENSH_IJSG_SG_SG_EEES9_SI_JZNS1_25segmented_radix_sort_implINS0_14default_configELb1EPKiPiPKlPlN2at6native12_GLOBAL__N_18offset_tEEE10hipError_tPvRmT1_PNSt15iterator_traitsIS12_E10value_typeET2_T3_PNS13_IS18_E10value_typeET4_jRbjT5_S1E_jjP12ihipStream_tbEUljE_ZNSN_ISO_Lb1ESQ_SR_ST_SU_SY_EESZ_S10_S11_S12_S16_S17_S18_S1B_S1C_jS1D_jS1E_S1E_jjS1G_bEUljE0_EEESZ_S10_S11_S18_S1C_S1E_T6_T7_T9_mT8_S1G_bDpT10_ENKUlT_T0_E_clISt17integral_constantIbLb1EES1T_IbLb0EEEEDaS1P_S1Q_EUlS1P_E_NS1_11comp_targetILNS1_3genE2ELNS1_11target_archE906ELNS1_3gpuE6ELNS1_3repE0EEENS1_30default_config_static_selectorELNS0_4arch9wavefront6targetE0EEEvS12_
                                        ; -- End function
	.set _ZN7rocprim17ROCPRIM_400000_NS6detail17trampoline_kernelINS0_13select_configILj256ELj13ELNS0_17block_load_methodE3ELS4_3ELS4_3ELNS0_20block_scan_algorithmE0ELj4294967295EEENS1_25partition_config_selectorILNS1_17partition_subalgoE4EjNS0_10empty_typeEbEEZZNS1_14partition_implILS8_4ELb0ES6_15HIP_vector_typeIjLj2EENS0_17counting_iteratorIjlEEPS9_SG_NS0_5tupleIJPjSI_NS0_16reverse_iteratorISI_EEEEENSH_IJSG_SG_SG_EEES9_SI_JZNS1_25segmented_radix_sort_implINS0_14default_configELb1EPKiPiPKlPlN2at6native12_GLOBAL__N_18offset_tEEE10hipError_tPvRmT1_PNSt15iterator_traitsIS12_E10value_typeET2_T3_PNS13_IS18_E10value_typeET4_jRbjT5_S1E_jjP12ihipStream_tbEUljE_ZNSN_ISO_Lb1ESQ_SR_ST_SU_SY_EESZ_S10_S11_S12_S16_S17_S18_S1B_S1C_jS1D_jS1E_S1E_jjS1G_bEUljE0_EEESZ_S10_S11_S18_S1C_S1E_T6_T7_T9_mT8_S1G_bDpT10_ENKUlT_T0_E_clISt17integral_constantIbLb1EES1T_IbLb0EEEEDaS1P_S1Q_EUlS1P_E_NS1_11comp_targetILNS1_3genE2ELNS1_11target_archE906ELNS1_3gpuE6ELNS1_3repE0EEENS1_30default_config_static_selectorELNS0_4arch9wavefront6targetE0EEEvS12_.num_vgpr, 0
	.set _ZN7rocprim17ROCPRIM_400000_NS6detail17trampoline_kernelINS0_13select_configILj256ELj13ELNS0_17block_load_methodE3ELS4_3ELS4_3ELNS0_20block_scan_algorithmE0ELj4294967295EEENS1_25partition_config_selectorILNS1_17partition_subalgoE4EjNS0_10empty_typeEbEEZZNS1_14partition_implILS8_4ELb0ES6_15HIP_vector_typeIjLj2EENS0_17counting_iteratorIjlEEPS9_SG_NS0_5tupleIJPjSI_NS0_16reverse_iteratorISI_EEEEENSH_IJSG_SG_SG_EEES9_SI_JZNS1_25segmented_radix_sort_implINS0_14default_configELb1EPKiPiPKlPlN2at6native12_GLOBAL__N_18offset_tEEE10hipError_tPvRmT1_PNSt15iterator_traitsIS12_E10value_typeET2_T3_PNS13_IS18_E10value_typeET4_jRbjT5_S1E_jjP12ihipStream_tbEUljE_ZNSN_ISO_Lb1ESQ_SR_ST_SU_SY_EESZ_S10_S11_S12_S16_S17_S18_S1B_S1C_jS1D_jS1E_S1E_jjS1G_bEUljE0_EEESZ_S10_S11_S18_S1C_S1E_T6_T7_T9_mT8_S1G_bDpT10_ENKUlT_T0_E_clISt17integral_constantIbLb1EES1T_IbLb0EEEEDaS1P_S1Q_EUlS1P_E_NS1_11comp_targetILNS1_3genE2ELNS1_11target_archE906ELNS1_3gpuE6ELNS1_3repE0EEENS1_30default_config_static_selectorELNS0_4arch9wavefront6targetE0EEEvS12_.num_agpr, 0
	.set _ZN7rocprim17ROCPRIM_400000_NS6detail17trampoline_kernelINS0_13select_configILj256ELj13ELNS0_17block_load_methodE3ELS4_3ELS4_3ELNS0_20block_scan_algorithmE0ELj4294967295EEENS1_25partition_config_selectorILNS1_17partition_subalgoE4EjNS0_10empty_typeEbEEZZNS1_14partition_implILS8_4ELb0ES6_15HIP_vector_typeIjLj2EENS0_17counting_iteratorIjlEEPS9_SG_NS0_5tupleIJPjSI_NS0_16reverse_iteratorISI_EEEEENSH_IJSG_SG_SG_EEES9_SI_JZNS1_25segmented_radix_sort_implINS0_14default_configELb1EPKiPiPKlPlN2at6native12_GLOBAL__N_18offset_tEEE10hipError_tPvRmT1_PNSt15iterator_traitsIS12_E10value_typeET2_T3_PNS13_IS18_E10value_typeET4_jRbjT5_S1E_jjP12ihipStream_tbEUljE_ZNSN_ISO_Lb1ESQ_SR_ST_SU_SY_EESZ_S10_S11_S12_S16_S17_S18_S1B_S1C_jS1D_jS1E_S1E_jjS1G_bEUljE0_EEESZ_S10_S11_S18_S1C_S1E_T6_T7_T9_mT8_S1G_bDpT10_ENKUlT_T0_E_clISt17integral_constantIbLb1EES1T_IbLb0EEEEDaS1P_S1Q_EUlS1P_E_NS1_11comp_targetILNS1_3genE2ELNS1_11target_archE906ELNS1_3gpuE6ELNS1_3repE0EEENS1_30default_config_static_selectorELNS0_4arch9wavefront6targetE0EEEvS12_.numbered_sgpr, 0
	.set _ZN7rocprim17ROCPRIM_400000_NS6detail17trampoline_kernelINS0_13select_configILj256ELj13ELNS0_17block_load_methodE3ELS4_3ELS4_3ELNS0_20block_scan_algorithmE0ELj4294967295EEENS1_25partition_config_selectorILNS1_17partition_subalgoE4EjNS0_10empty_typeEbEEZZNS1_14partition_implILS8_4ELb0ES6_15HIP_vector_typeIjLj2EENS0_17counting_iteratorIjlEEPS9_SG_NS0_5tupleIJPjSI_NS0_16reverse_iteratorISI_EEEEENSH_IJSG_SG_SG_EEES9_SI_JZNS1_25segmented_radix_sort_implINS0_14default_configELb1EPKiPiPKlPlN2at6native12_GLOBAL__N_18offset_tEEE10hipError_tPvRmT1_PNSt15iterator_traitsIS12_E10value_typeET2_T3_PNS13_IS18_E10value_typeET4_jRbjT5_S1E_jjP12ihipStream_tbEUljE_ZNSN_ISO_Lb1ESQ_SR_ST_SU_SY_EESZ_S10_S11_S12_S16_S17_S18_S1B_S1C_jS1D_jS1E_S1E_jjS1G_bEUljE0_EEESZ_S10_S11_S18_S1C_S1E_T6_T7_T9_mT8_S1G_bDpT10_ENKUlT_T0_E_clISt17integral_constantIbLb1EES1T_IbLb0EEEEDaS1P_S1Q_EUlS1P_E_NS1_11comp_targetILNS1_3genE2ELNS1_11target_archE906ELNS1_3gpuE6ELNS1_3repE0EEENS1_30default_config_static_selectorELNS0_4arch9wavefront6targetE0EEEvS12_.num_named_barrier, 0
	.set _ZN7rocprim17ROCPRIM_400000_NS6detail17trampoline_kernelINS0_13select_configILj256ELj13ELNS0_17block_load_methodE3ELS4_3ELS4_3ELNS0_20block_scan_algorithmE0ELj4294967295EEENS1_25partition_config_selectorILNS1_17partition_subalgoE4EjNS0_10empty_typeEbEEZZNS1_14partition_implILS8_4ELb0ES6_15HIP_vector_typeIjLj2EENS0_17counting_iteratorIjlEEPS9_SG_NS0_5tupleIJPjSI_NS0_16reverse_iteratorISI_EEEEENSH_IJSG_SG_SG_EEES9_SI_JZNS1_25segmented_radix_sort_implINS0_14default_configELb1EPKiPiPKlPlN2at6native12_GLOBAL__N_18offset_tEEE10hipError_tPvRmT1_PNSt15iterator_traitsIS12_E10value_typeET2_T3_PNS13_IS18_E10value_typeET4_jRbjT5_S1E_jjP12ihipStream_tbEUljE_ZNSN_ISO_Lb1ESQ_SR_ST_SU_SY_EESZ_S10_S11_S12_S16_S17_S18_S1B_S1C_jS1D_jS1E_S1E_jjS1G_bEUljE0_EEESZ_S10_S11_S18_S1C_S1E_T6_T7_T9_mT8_S1G_bDpT10_ENKUlT_T0_E_clISt17integral_constantIbLb1EES1T_IbLb0EEEEDaS1P_S1Q_EUlS1P_E_NS1_11comp_targetILNS1_3genE2ELNS1_11target_archE906ELNS1_3gpuE6ELNS1_3repE0EEENS1_30default_config_static_selectorELNS0_4arch9wavefront6targetE0EEEvS12_.private_seg_size, 0
	.set _ZN7rocprim17ROCPRIM_400000_NS6detail17trampoline_kernelINS0_13select_configILj256ELj13ELNS0_17block_load_methodE3ELS4_3ELS4_3ELNS0_20block_scan_algorithmE0ELj4294967295EEENS1_25partition_config_selectorILNS1_17partition_subalgoE4EjNS0_10empty_typeEbEEZZNS1_14partition_implILS8_4ELb0ES6_15HIP_vector_typeIjLj2EENS0_17counting_iteratorIjlEEPS9_SG_NS0_5tupleIJPjSI_NS0_16reverse_iteratorISI_EEEEENSH_IJSG_SG_SG_EEES9_SI_JZNS1_25segmented_radix_sort_implINS0_14default_configELb1EPKiPiPKlPlN2at6native12_GLOBAL__N_18offset_tEEE10hipError_tPvRmT1_PNSt15iterator_traitsIS12_E10value_typeET2_T3_PNS13_IS18_E10value_typeET4_jRbjT5_S1E_jjP12ihipStream_tbEUljE_ZNSN_ISO_Lb1ESQ_SR_ST_SU_SY_EESZ_S10_S11_S12_S16_S17_S18_S1B_S1C_jS1D_jS1E_S1E_jjS1G_bEUljE0_EEESZ_S10_S11_S18_S1C_S1E_T6_T7_T9_mT8_S1G_bDpT10_ENKUlT_T0_E_clISt17integral_constantIbLb1EES1T_IbLb0EEEEDaS1P_S1Q_EUlS1P_E_NS1_11comp_targetILNS1_3genE2ELNS1_11target_archE906ELNS1_3gpuE6ELNS1_3repE0EEENS1_30default_config_static_selectorELNS0_4arch9wavefront6targetE0EEEvS12_.uses_vcc, 0
	.set _ZN7rocprim17ROCPRIM_400000_NS6detail17trampoline_kernelINS0_13select_configILj256ELj13ELNS0_17block_load_methodE3ELS4_3ELS4_3ELNS0_20block_scan_algorithmE0ELj4294967295EEENS1_25partition_config_selectorILNS1_17partition_subalgoE4EjNS0_10empty_typeEbEEZZNS1_14partition_implILS8_4ELb0ES6_15HIP_vector_typeIjLj2EENS0_17counting_iteratorIjlEEPS9_SG_NS0_5tupleIJPjSI_NS0_16reverse_iteratorISI_EEEEENSH_IJSG_SG_SG_EEES9_SI_JZNS1_25segmented_radix_sort_implINS0_14default_configELb1EPKiPiPKlPlN2at6native12_GLOBAL__N_18offset_tEEE10hipError_tPvRmT1_PNSt15iterator_traitsIS12_E10value_typeET2_T3_PNS13_IS18_E10value_typeET4_jRbjT5_S1E_jjP12ihipStream_tbEUljE_ZNSN_ISO_Lb1ESQ_SR_ST_SU_SY_EESZ_S10_S11_S12_S16_S17_S18_S1B_S1C_jS1D_jS1E_S1E_jjS1G_bEUljE0_EEESZ_S10_S11_S18_S1C_S1E_T6_T7_T9_mT8_S1G_bDpT10_ENKUlT_T0_E_clISt17integral_constantIbLb1EES1T_IbLb0EEEEDaS1P_S1Q_EUlS1P_E_NS1_11comp_targetILNS1_3genE2ELNS1_11target_archE906ELNS1_3gpuE6ELNS1_3repE0EEENS1_30default_config_static_selectorELNS0_4arch9wavefront6targetE0EEEvS12_.uses_flat_scratch, 0
	.set _ZN7rocprim17ROCPRIM_400000_NS6detail17trampoline_kernelINS0_13select_configILj256ELj13ELNS0_17block_load_methodE3ELS4_3ELS4_3ELNS0_20block_scan_algorithmE0ELj4294967295EEENS1_25partition_config_selectorILNS1_17partition_subalgoE4EjNS0_10empty_typeEbEEZZNS1_14partition_implILS8_4ELb0ES6_15HIP_vector_typeIjLj2EENS0_17counting_iteratorIjlEEPS9_SG_NS0_5tupleIJPjSI_NS0_16reverse_iteratorISI_EEEEENSH_IJSG_SG_SG_EEES9_SI_JZNS1_25segmented_radix_sort_implINS0_14default_configELb1EPKiPiPKlPlN2at6native12_GLOBAL__N_18offset_tEEE10hipError_tPvRmT1_PNSt15iterator_traitsIS12_E10value_typeET2_T3_PNS13_IS18_E10value_typeET4_jRbjT5_S1E_jjP12ihipStream_tbEUljE_ZNSN_ISO_Lb1ESQ_SR_ST_SU_SY_EESZ_S10_S11_S12_S16_S17_S18_S1B_S1C_jS1D_jS1E_S1E_jjS1G_bEUljE0_EEESZ_S10_S11_S18_S1C_S1E_T6_T7_T9_mT8_S1G_bDpT10_ENKUlT_T0_E_clISt17integral_constantIbLb1EES1T_IbLb0EEEEDaS1P_S1Q_EUlS1P_E_NS1_11comp_targetILNS1_3genE2ELNS1_11target_archE906ELNS1_3gpuE6ELNS1_3repE0EEENS1_30default_config_static_selectorELNS0_4arch9wavefront6targetE0EEEvS12_.has_dyn_sized_stack, 0
	.set _ZN7rocprim17ROCPRIM_400000_NS6detail17trampoline_kernelINS0_13select_configILj256ELj13ELNS0_17block_load_methodE3ELS4_3ELS4_3ELNS0_20block_scan_algorithmE0ELj4294967295EEENS1_25partition_config_selectorILNS1_17partition_subalgoE4EjNS0_10empty_typeEbEEZZNS1_14partition_implILS8_4ELb0ES6_15HIP_vector_typeIjLj2EENS0_17counting_iteratorIjlEEPS9_SG_NS0_5tupleIJPjSI_NS0_16reverse_iteratorISI_EEEEENSH_IJSG_SG_SG_EEES9_SI_JZNS1_25segmented_radix_sort_implINS0_14default_configELb1EPKiPiPKlPlN2at6native12_GLOBAL__N_18offset_tEEE10hipError_tPvRmT1_PNSt15iterator_traitsIS12_E10value_typeET2_T3_PNS13_IS18_E10value_typeET4_jRbjT5_S1E_jjP12ihipStream_tbEUljE_ZNSN_ISO_Lb1ESQ_SR_ST_SU_SY_EESZ_S10_S11_S12_S16_S17_S18_S1B_S1C_jS1D_jS1E_S1E_jjS1G_bEUljE0_EEESZ_S10_S11_S18_S1C_S1E_T6_T7_T9_mT8_S1G_bDpT10_ENKUlT_T0_E_clISt17integral_constantIbLb1EES1T_IbLb0EEEEDaS1P_S1Q_EUlS1P_E_NS1_11comp_targetILNS1_3genE2ELNS1_11target_archE906ELNS1_3gpuE6ELNS1_3repE0EEENS1_30default_config_static_selectorELNS0_4arch9wavefront6targetE0EEEvS12_.has_recursion, 0
	.set _ZN7rocprim17ROCPRIM_400000_NS6detail17trampoline_kernelINS0_13select_configILj256ELj13ELNS0_17block_load_methodE3ELS4_3ELS4_3ELNS0_20block_scan_algorithmE0ELj4294967295EEENS1_25partition_config_selectorILNS1_17partition_subalgoE4EjNS0_10empty_typeEbEEZZNS1_14partition_implILS8_4ELb0ES6_15HIP_vector_typeIjLj2EENS0_17counting_iteratorIjlEEPS9_SG_NS0_5tupleIJPjSI_NS0_16reverse_iteratorISI_EEEEENSH_IJSG_SG_SG_EEES9_SI_JZNS1_25segmented_radix_sort_implINS0_14default_configELb1EPKiPiPKlPlN2at6native12_GLOBAL__N_18offset_tEEE10hipError_tPvRmT1_PNSt15iterator_traitsIS12_E10value_typeET2_T3_PNS13_IS18_E10value_typeET4_jRbjT5_S1E_jjP12ihipStream_tbEUljE_ZNSN_ISO_Lb1ESQ_SR_ST_SU_SY_EESZ_S10_S11_S12_S16_S17_S18_S1B_S1C_jS1D_jS1E_S1E_jjS1G_bEUljE0_EEESZ_S10_S11_S18_S1C_S1E_T6_T7_T9_mT8_S1G_bDpT10_ENKUlT_T0_E_clISt17integral_constantIbLb1EES1T_IbLb0EEEEDaS1P_S1Q_EUlS1P_E_NS1_11comp_targetILNS1_3genE2ELNS1_11target_archE906ELNS1_3gpuE6ELNS1_3repE0EEENS1_30default_config_static_selectorELNS0_4arch9wavefront6targetE0EEEvS12_.has_indirect_call, 0
	.section	.AMDGPU.csdata,"",@progbits
; Kernel info:
; codeLenInByte = 0
; TotalNumSgprs: 0
; NumVgprs: 0
; ScratchSize: 0
; MemoryBound: 0
; FloatMode: 240
; IeeeMode: 1
; LDSByteSize: 0 bytes/workgroup (compile time only)
; SGPRBlocks: 0
; VGPRBlocks: 0
; NumSGPRsForWavesPerEU: 1
; NumVGPRsForWavesPerEU: 1
; Occupancy: 16
; WaveLimiterHint : 0
; COMPUTE_PGM_RSRC2:SCRATCH_EN: 0
; COMPUTE_PGM_RSRC2:USER_SGPR: 6
; COMPUTE_PGM_RSRC2:TRAP_HANDLER: 0
; COMPUTE_PGM_RSRC2:TGID_X_EN: 1
; COMPUTE_PGM_RSRC2:TGID_Y_EN: 0
; COMPUTE_PGM_RSRC2:TGID_Z_EN: 0
; COMPUTE_PGM_RSRC2:TIDIG_COMP_CNT: 0
	.section	.text._ZN7rocprim17ROCPRIM_400000_NS6detail17trampoline_kernelINS0_13select_configILj256ELj13ELNS0_17block_load_methodE3ELS4_3ELS4_3ELNS0_20block_scan_algorithmE0ELj4294967295EEENS1_25partition_config_selectorILNS1_17partition_subalgoE4EjNS0_10empty_typeEbEEZZNS1_14partition_implILS8_4ELb0ES6_15HIP_vector_typeIjLj2EENS0_17counting_iteratorIjlEEPS9_SG_NS0_5tupleIJPjSI_NS0_16reverse_iteratorISI_EEEEENSH_IJSG_SG_SG_EEES9_SI_JZNS1_25segmented_radix_sort_implINS0_14default_configELb1EPKiPiPKlPlN2at6native12_GLOBAL__N_18offset_tEEE10hipError_tPvRmT1_PNSt15iterator_traitsIS12_E10value_typeET2_T3_PNS13_IS18_E10value_typeET4_jRbjT5_S1E_jjP12ihipStream_tbEUljE_ZNSN_ISO_Lb1ESQ_SR_ST_SU_SY_EESZ_S10_S11_S12_S16_S17_S18_S1B_S1C_jS1D_jS1E_S1E_jjS1G_bEUljE0_EEESZ_S10_S11_S18_S1C_S1E_T6_T7_T9_mT8_S1G_bDpT10_ENKUlT_T0_E_clISt17integral_constantIbLb1EES1T_IbLb0EEEEDaS1P_S1Q_EUlS1P_E_NS1_11comp_targetILNS1_3genE10ELNS1_11target_archE1200ELNS1_3gpuE4ELNS1_3repE0EEENS1_30default_config_static_selectorELNS0_4arch9wavefront6targetE0EEEvS12_,"axG",@progbits,_ZN7rocprim17ROCPRIM_400000_NS6detail17trampoline_kernelINS0_13select_configILj256ELj13ELNS0_17block_load_methodE3ELS4_3ELS4_3ELNS0_20block_scan_algorithmE0ELj4294967295EEENS1_25partition_config_selectorILNS1_17partition_subalgoE4EjNS0_10empty_typeEbEEZZNS1_14partition_implILS8_4ELb0ES6_15HIP_vector_typeIjLj2EENS0_17counting_iteratorIjlEEPS9_SG_NS0_5tupleIJPjSI_NS0_16reverse_iteratorISI_EEEEENSH_IJSG_SG_SG_EEES9_SI_JZNS1_25segmented_radix_sort_implINS0_14default_configELb1EPKiPiPKlPlN2at6native12_GLOBAL__N_18offset_tEEE10hipError_tPvRmT1_PNSt15iterator_traitsIS12_E10value_typeET2_T3_PNS13_IS18_E10value_typeET4_jRbjT5_S1E_jjP12ihipStream_tbEUljE_ZNSN_ISO_Lb1ESQ_SR_ST_SU_SY_EESZ_S10_S11_S12_S16_S17_S18_S1B_S1C_jS1D_jS1E_S1E_jjS1G_bEUljE0_EEESZ_S10_S11_S18_S1C_S1E_T6_T7_T9_mT8_S1G_bDpT10_ENKUlT_T0_E_clISt17integral_constantIbLb1EES1T_IbLb0EEEEDaS1P_S1Q_EUlS1P_E_NS1_11comp_targetILNS1_3genE10ELNS1_11target_archE1200ELNS1_3gpuE4ELNS1_3repE0EEENS1_30default_config_static_selectorELNS0_4arch9wavefront6targetE0EEEvS12_,comdat
	.globl	_ZN7rocprim17ROCPRIM_400000_NS6detail17trampoline_kernelINS0_13select_configILj256ELj13ELNS0_17block_load_methodE3ELS4_3ELS4_3ELNS0_20block_scan_algorithmE0ELj4294967295EEENS1_25partition_config_selectorILNS1_17partition_subalgoE4EjNS0_10empty_typeEbEEZZNS1_14partition_implILS8_4ELb0ES6_15HIP_vector_typeIjLj2EENS0_17counting_iteratorIjlEEPS9_SG_NS0_5tupleIJPjSI_NS0_16reverse_iteratorISI_EEEEENSH_IJSG_SG_SG_EEES9_SI_JZNS1_25segmented_radix_sort_implINS0_14default_configELb1EPKiPiPKlPlN2at6native12_GLOBAL__N_18offset_tEEE10hipError_tPvRmT1_PNSt15iterator_traitsIS12_E10value_typeET2_T3_PNS13_IS18_E10value_typeET4_jRbjT5_S1E_jjP12ihipStream_tbEUljE_ZNSN_ISO_Lb1ESQ_SR_ST_SU_SY_EESZ_S10_S11_S12_S16_S17_S18_S1B_S1C_jS1D_jS1E_S1E_jjS1G_bEUljE0_EEESZ_S10_S11_S18_S1C_S1E_T6_T7_T9_mT8_S1G_bDpT10_ENKUlT_T0_E_clISt17integral_constantIbLb1EES1T_IbLb0EEEEDaS1P_S1Q_EUlS1P_E_NS1_11comp_targetILNS1_3genE10ELNS1_11target_archE1200ELNS1_3gpuE4ELNS1_3repE0EEENS1_30default_config_static_selectorELNS0_4arch9wavefront6targetE0EEEvS12_ ; -- Begin function _ZN7rocprim17ROCPRIM_400000_NS6detail17trampoline_kernelINS0_13select_configILj256ELj13ELNS0_17block_load_methodE3ELS4_3ELS4_3ELNS0_20block_scan_algorithmE0ELj4294967295EEENS1_25partition_config_selectorILNS1_17partition_subalgoE4EjNS0_10empty_typeEbEEZZNS1_14partition_implILS8_4ELb0ES6_15HIP_vector_typeIjLj2EENS0_17counting_iteratorIjlEEPS9_SG_NS0_5tupleIJPjSI_NS0_16reverse_iteratorISI_EEEEENSH_IJSG_SG_SG_EEES9_SI_JZNS1_25segmented_radix_sort_implINS0_14default_configELb1EPKiPiPKlPlN2at6native12_GLOBAL__N_18offset_tEEE10hipError_tPvRmT1_PNSt15iterator_traitsIS12_E10value_typeET2_T3_PNS13_IS18_E10value_typeET4_jRbjT5_S1E_jjP12ihipStream_tbEUljE_ZNSN_ISO_Lb1ESQ_SR_ST_SU_SY_EESZ_S10_S11_S12_S16_S17_S18_S1B_S1C_jS1D_jS1E_S1E_jjS1G_bEUljE0_EEESZ_S10_S11_S18_S1C_S1E_T6_T7_T9_mT8_S1G_bDpT10_ENKUlT_T0_E_clISt17integral_constantIbLb1EES1T_IbLb0EEEEDaS1P_S1Q_EUlS1P_E_NS1_11comp_targetILNS1_3genE10ELNS1_11target_archE1200ELNS1_3gpuE4ELNS1_3repE0EEENS1_30default_config_static_selectorELNS0_4arch9wavefront6targetE0EEEvS12_
	.p2align	8
	.type	_ZN7rocprim17ROCPRIM_400000_NS6detail17trampoline_kernelINS0_13select_configILj256ELj13ELNS0_17block_load_methodE3ELS4_3ELS4_3ELNS0_20block_scan_algorithmE0ELj4294967295EEENS1_25partition_config_selectorILNS1_17partition_subalgoE4EjNS0_10empty_typeEbEEZZNS1_14partition_implILS8_4ELb0ES6_15HIP_vector_typeIjLj2EENS0_17counting_iteratorIjlEEPS9_SG_NS0_5tupleIJPjSI_NS0_16reverse_iteratorISI_EEEEENSH_IJSG_SG_SG_EEES9_SI_JZNS1_25segmented_radix_sort_implINS0_14default_configELb1EPKiPiPKlPlN2at6native12_GLOBAL__N_18offset_tEEE10hipError_tPvRmT1_PNSt15iterator_traitsIS12_E10value_typeET2_T3_PNS13_IS18_E10value_typeET4_jRbjT5_S1E_jjP12ihipStream_tbEUljE_ZNSN_ISO_Lb1ESQ_SR_ST_SU_SY_EESZ_S10_S11_S12_S16_S17_S18_S1B_S1C_jS1D_jS1E_S1E_jjS1G_bEUljE0_EEESZ_S10_S11_S18_S1C_S1E_T6_T7_T9_mT8_S1G_bDpT10_ENKUlT_T0_E_clISt17integral_constantIbLb1EES1T_IbLb0EEEEDaS1P_S1Q_EUlS1P_E_NS1_11comp_targetILNS1_3genE10ELNS1_11target_archE1200ELNS1_3gpuE4ELNS1_3repE0EEENS1_30default_config_static_selectorELNS0_4arch9wavefront6targetE0EEEvS12_,@function
_ZN7rocprim17ROCPRIM_400000_NS6detail17trampoline_kernelINS0_13select_configILj256ELj13ELNS0_17block_load_methodE3ELS4_3ELS4_3ELNS0_20block_scan_algorithmE0ELj4294967295EEENS1_25partition_config_selectorILNS1_17partition_subalgoE4EjNS0_10empty_typeEbEEZZNS1_14partition_implILS8_4ELb0ES6_15HIP_vector_typeIjLj2EENS0_17counting_iteratorIjlEEPS9_SG_NS0_5tupleIJPjSI_NS0_16reverse_iteratorISI_EEEEENSH_IJSG_SG_SG_EEES9_SI_JZNS1_25segmented_radix_sort_implINS0_14default_configELb1EPKiPiPKlPlN2at6native12_GLOBAL__N_18offset_tEEE10hipError_tPvRmT1_PNSt15iterator_traitsIS12_E10value_typeET2_T3_PNS13_IS18_E10value_typeET4_jRbjT5_S1E_jjP12ihipStream_tbEUljE_ZNSN_ISO_Lb1ESQ_SR_ST_SU_SY_EESZ_S10_S11_S12_S16_S17_S18_S1B_S1C_jS1D_jS1E_S1E_jjS1G_bEUljE0_EEESZ_S10_S11_S18_S1C_S1E_T6_T7_T9_mT8_S1G_bDpT10_ENKUlT_T0_E_clISt17integral_constantIbLb1EES1T_IbLb0EEEEDaS1P_S1Q_EUlS1P_E_NS1_11comp_targetILNS1_3genE10ELNS1_11target_archE1200ELNS1_3gpuE4ELNS1_3repE0EEENS1_30default_config_static_selectorELNS0_4arch9wavefront6targetE0EEEvS12_: ; @_ZN7rocprim17ROCPRIM_400000_NS6detail17trampoline_kernelINS0_13select_configILj256ELj13ELNS0_17block_load_methodE3ELS4_3ELS4_3ELNS0_20block_scan_algorithmE0ELj4294967295EEENS1_25partition_config_selectorILNS1_17partition_subalgoE4EjNS0_10empty_typeEbEEZZNS1_14partition_implILS8_4ELb0ES6_15HIP_vector_typeIjLj2EENS0_17counting_iteratorIjlEEPS9_SG_NS0_5tupleIJPjSI_NS0_16reverse_iteratorISI_EEEEENSH_IJSG_SG_SG_EEES9_SI_JZNS1_25segmented_radix_sort_implINS0_14default_configELb1EPKiPiPKlPlN2at6native12_GLOBAL__N_18offset_tEEE10hipError_tPvRmT1_PNSt15iterator_traitsIS12_E10value_typeET2_T3_PNS13_IS18_E10value_typeET4_jRbjT5_S1E_jjP12ihipStream_tbEUljE_ZNSN_ISO_Lb1ESQ_SR_ST_SU_SY_EESZ_S10_S11_S12_S16_S17_S18_S1B_S1C_jS1D_jS1E_S1E_jjS1G_bEUljE0_EEESZ_S10_S11_S18_S1C_S1E_T6_T7_T9_mT8_S1G_bDpT10_ENKUlT_T0_E_clISt17integral_constantIbLb1EES1T_IbLb0EEEEDaS1P_S1Q_EUlS1P_E_NS1_11comp_targetILNS1_3genE10ELNS1_11target_archE1200ELNS1_3gpuE4ELNS1_3repE0EEENS1_30default_config_static_selectorELNS0_4arch9wavefront6targetE0EEEvS12_
; %bb.0:
	.section	.rodata,"a",@progbits
	.p2align	6, 0x0
	.amdhsa_kernel _ZN7rocprim17ROCPRIM_400000_NS6detail17trampoline_kernelINS0_13select_configILj256ELj13ELNS0_17block_load_methodE3ELS4_3ELS4_3ELNS0_20block_scan_algorithmE0ELj4294967295EEENS1_25partition_config_selectorILNS1_17partition_subalgoE4EjNS0_10empty_typeEbEEZZNS1_14partition_implILS8_4ELb0ES6_15HIP_vector_typeIjLj2EENS0_17counting_iteratorIjlEEPS9_SG_NS0_5tupleIJPjSI_NS0_16reverse_iteratorISI_EEEEENSH_IJSG_SG_SG_EEES9_SI_JZNS1_25segmented_radix_sort_implINS0_14default_configELb1EPKiPiPKlPlN2at6native12_GLOBAL__N_18offset_tEEE10hipError_tPvRmT1_PNSt15iterator_traitsIS12_E10value_typeET2_T3_PNS13_IS18_E10value_typeET4_jRbjT5_S1E_jjP12ihipStream_tbEUljE_ZNSN_ISO_Lb1ESQ_SR_ST_SU_SY_EESZ_S10_S11_S12_S16_S17_S18_S1B_S1C_jS1D_jS1E_S1E_jjS1G_bEUljE0_EEESZ_S10_S11_S18_S1C_S1E_T6_T7_T9_mT8_S1G_bDpT10_ENKUlT_T0_E_clISt17integral_constantIbLb1EES1T_IbLb0EEEEDaS1P_S1Q_EUlS1P_E_NS1_11comp_targetILNS1_3genE10ELNS1_11target_archE1200ELNS1_3gpuE4ELNS1_3repE0EEENS1_30default_config_static_selectorELNS0_4arch9wavefront6targetE0EEEvS12_
		.amdhsa_group_segment_fixed_size 0
		.amdhsa_private_segment_fixed_size 0
		.amdhsa_kernarg_size 176
		.amdhsa_user_sgpr_count 6
		.amdhsa_user_sgpr_private_segment_buffer 1
		.amdhsa_user_sgpr_dispatch_ptr 0
		.amdhsa_user_sgpr_queue_ptr 0
		.amdhsa_user_sgpr_kernarg_segment_ptr 1
		.amdhsa_user_sgpr_dispatch_id 0
		.amdhsa_user_sgpr_flat_scratch_init 0
		.amdhsa_user_sgpr_private_segment_size 0
		.amdhsa_wavefront_size32 1
		.amdhsa_uses_dynamic_stack 0
		.amdhsa_system_sgpr_private_segment_wavefront_offset 0
		.amdhsa_system_sgpr_workgroup_id_x 1
		.amdhsa_system_sgpr_workgroup_id_y 0
		.amdhsa_system_sgpr_workgroup_id_z 0
		.amdhsa_system_sgpr_workgroup_info 0
		.amdhsa_system_vgpr_workitem_id 0
		.amdhsa_next_free_vgpr 1
		.amdhsa_next_free_sgpr 1
		.amdhsa_reserve_vcc 0
		.amdhsa_reserve_flat_scratch 0
		.amdhsa_float_round_mode_32 0
		.amdhsa_float_round_mode_16_64 0
		.amdhsa_float_denorm_mode_32 3
		.amdhsa_float_denorm_mode_16_64 3
		.amdhsa_dx10_clamp 1
		.amdhsa_ieee_mode 1
		.amdhsa_fp16_overflow 0
		.amdhsa_workgroup_processor_mode 1
		.amdhsa_memory_ordered 1
		.amdhsa_forward_progress 1
		.amdhsa_shared_vgpr_count 0
		.amdhsa_exception_fp_ieee_invalid_op 0
		.amdhsa_exception_fp_denorm_src 0
		.amdhsa_exception_fp_ieee_div_zero 0
		.amdhsa_exception_fp_ieee_overflow 0
		.amdhsa_exception_fp_ieee_underflow 0
		.amdhsa_exception_fp_ieee_inexact 0
		.amdhsa_exception_int_div_zero 0
	.end_amdhsa_kernel
	.section	.text._ZN7rocprim17ROCPRIM_400000_NS6detail17trampoline_kernelINS0_13select_configILj256ELj13ELNS0_17block_load_methodE3ELS4_3ELS4_3ELNS0_20block_scan_algorithmE0ELj4294967295EEENS1_25partition_config_selectorILNS1_17partition_subalgoE4EjNS0_10empty_typeEbEEZZNS1_14partition_implILS8_4ELb0ES6_15HIP_vector_typeIjLj2EENS0_17counting_iteratorIjlEEPS9_SG_NS0_5tupleIJPjSI_NS0_16reverse_iteratorISI_EEEEENSH_IJSG_SG_SG_EEES9_SI_JZNS1_25segmented_radix_sort_implINS0_14default_configELb1EPKiPiPKlPlN2at6native12_GLOBAL__N_18offset_tEEE10hipError_tPvRmT1_PNSt15iterator_traitsIS12_E10value_typeET2_T3_PNS13_IS18_E10value_typeET4_jRbjT5_S1E_jjP12ihipStream_tbEUljE_ZNSN_ISO_Lb1ESQ_SR_ST_SU_SY_EESZ_S10_S11_S12_S16_S17_S18_S1B_S1C_jS1D_jS1E_S1E_jjS1G_bEUljE0_EEESZ_S10_S11_S18_S1C_S1E_T6_T7_T9_mT8_S1G_bDpT10_ENKUlT_T0_E_clISt17integral_constantIbLb1EES1T_IbLb0EEEEDaS1P_S1Q_EUlS1P_E_NS1_11comp_targetILNS1_3genE10ELNS1_11target_archE1200ELNS1_3gpuE4ELNS1_3repE0EEENS1_30default_config_static_selectorELNS0_4arch9wavefront6targetE0EEEvS12_,"axG",@progbits,_ZN7rocprim17ROCPRIM_400000_NS6detail17trampoline_kernelINS0_13select_configILj256ELj13ELNS0_17block_load_methodE3ELS4_3ELS4_3ELNS0_20block_scan_algorithmE0ELj4294967295EEENS1_25partition_config_selectorILNS1_17partition_subalgoE4EjNS0_10empty_typeEbEEZZNS1_14partition_implILS8_4ELb0ES6_15HIP_vector_typeIjLj2EENS0_17counting_iteratorIjlEEPS9_SG_NS0_5tupleIJPjSI_NS0_16reverse_iteratorISI_EEEEENSH_IJSG_SG_SG_EEES9_SI_JZNS1_25segmented_radix_sort_implINS0_14default_configELb1EPKiPiPKlPlN2at6native12_GLOBAL__N_18offset_tEEE10hipError_tPvRmT1_PNSt15iterator_traitsIS12_E10value_typeET2_T3_PNS13_IS18_E10value_typeET4_jRbjT5_S1E_jjP12ihipStream_tbEUljE_ZNSN_ISO_Lb1ESQ_SR_ST_SU_SY_EESZ_S10_S11_S12_S16_S17_S18_S1B_S1C_jS1D_jS1E_S1E_jjS1G_bEUljE0_EEESZ_S10_S11_S18_S1C_S1E_T6_T7_T9_mT8_S1G_bDpT10_ENKUlT_T0_E_clISt17integral_constantIbLb1EES1T_IbLb0EEEEDaS1P_S1Q_EUlS1P_E_NS1_11comp_targetILNS1_3genE10ELNS1_11target_archE1200ELNS1_3gpuE4ELNS1_3repE0EEENS1_30default_config_static_selectorELNS0_4arch9wavefront6targetE0EEEvS12_,comdat
.Lfunc_end450:
	.size	_ZN7rocprim17ROCPRIM_400000_NS6detail17trampoline_kernelINS0_13select_configILj256ELj13ELNS0_17block_load_methodE3ELS4_3ELS4_3ELNS0_20block_scan_algorithmE0ELj4294967295EEENS1_25partition_config_selectorILNS1_17partition_subalgoE4EjNS0_10empty_typeEbEEZZNS1_14partition_implILS8_4ELb0ES6_15HIP_vector_typeIjLj2EENS0_17counting_iteratorIjlEEPS9_SG_NS0_5tupleIJPjSI_NS0_16reverse_iteratorISI_EEEEENSH_IJSG_SG_SG_EEES9_SI_JZNS1_25segmented_radix_sort_implINS0_14default_configELb1EPKiPiPKlPlN2at6native12_GLOBAL__N_18offset_tEEE10hipError_tPvRmT1_PNSt15iterator_traitsIS12_E10value_typeET2_T3_PNS13_IS18_E10value_typeET4_jRbjT5_S1E_jjP12ihipStream_tbEUljE_ZNSN_ISO_Lb1ESQ_SR_ST_SU_SY_EESZ_S10_S11_S12_S16_S17_S18_S1B_S1C_jS1D_jS1E_S1E_jjS1G_bEUljE0_EEESZ_S10_S11_S18_S1C_S1E_T6_T7_T9_mT8_S1G_bDpT10_ENKUlT_T0_E_clISt17integral_constantIbLb1EES1T_IbLb0EEEEDaS1P_S1Q_EUlS1P_E_NS1_11comp_targetILNS1_3genE10ELNS1_11target_archE1200ELNS1_3gpuE4ELNS1_3repE0EEENS1_30default_config_static_selectorELNS0_4arch9wavefront6targetE0EEEvS12_, .Lfunc_end450-_ZN7rocprim17ROCPRIM_400000_NS6detail17trampoline_kernelINS0_13select_configILj256ELj13ELNS0_17block_load_methodE3ELS4_3ELS4_3ELNS0_20block_scan_algorithmE0ELj4294967295EEENS1_25partition_config_selectorILNS1_17partition_subalgoE4EjNS0_10empty_typeEbEEZZNS1_14partition_implILS8_4ELb0ES6_15HIP_vector_typeIjLj2EENS0_17counting_iteratorIjlEEPS9_SG_NS0_5tupleIJPjSI_NS0_16reverse_iteratorISI_EEEEENSH_IJSG_SG_SG_EEES9_SI_JZNS1_25segmented_radix_sort_implINS0_14default_configELb1EPKiPiPKlPlN2at6native12_GLOBAL__N_18offset_tEEE10hipError_tPvRmT1_PNSt15iterator_traitsIS12_E10value_typeET2_T3_PNS13_IS18_E10value_typeET4_jRbjT5_S1E_jjP12ihipStream_tbEUljE_ZNSN_ISO_Lb1ESQ_SR_ST_SU_SY_EESZ_S10_S11_S12_S16_S17_S18_S1B_S1C_jS1D_jS1E_S1E_jjS1G_bEUljE0_EEESZ_S10_S11_S18_S1C_S1E_T6_T7_T9_mT8_S1G_bDpT10_ENKUlT_T0_E_clISt17integral_constantIbLb1EES1T_IbLb0EEEEDaS1P_S1Q_EUlS1P_E_NS1_11comp_targetILNS1_3genE10ELNS1_11target_archE1200ELNS1_3gpuE4ELNS1_3repE0EEENS1_30default_config_static_selectorELNS0_4arch9wavefront6targetE0EEEvS12_
                                        ; -- End function
	.set _ZN7rocprim17ROCPRIM_400000_NS6detail17trampoline_kernelINS0_13select_configILj256ELj13ELNS0_17block_load_methodE3ELS4_3ELS4_3ELNS0_20block_scan_algorithmE0ELj4294967295EEENS1_25partition_config_selectorILNS1_17partition_subalgoE4EjNS0_10empty_typeEbEEZZNS1_14partition_implILS8_4ELb0ES6_15HIP_vector_typeIjLj2EENS0_17counting_iteratorIjlEEPS9_SG_NS0_5tupleIJPjSI_NS0_16reverse_iteratorISI_EEEEENSH_IJSG_SG_SG_EEES9_SI_JZNS1_25segmented_radix_sort_implINS0_14default_configELb1EPKiPiPKlPlN2at6native12_GLOBAL__N_18offset_tEEE10hipError_tPvRmT1_PNSt15iterator_traitsIS12_E10value_typeET2_T3_PNS13_IS18_E10value_typeET4_jRbjT5_S1E_jjP12ihipStream_tbEUljE_ZNSN_ISO_Lb1ESQ_SR_ST_SU_SY_EESZ_S10_S11_S12_S16_S17_S18_S1B_S1C_jS1D_jS1E_S1E_jjS1G_bEUljE0_EEESZ_S10_S11_S18_S1C_S1E_T6_T7_T9_mT8_S1G_bDpT10_ENKUlT_T0_E_clISt17integral_constantIbLb1EES1T_IbLb0EEEEDaS1P_S1Q_EUlS1P_E_NS1_11comp_targetILNS1_3genE10ELNS1_11target_archE1200ELNS1_3gpuE4ELNS1_3repE0EEENS1_30default_config_static_selectorELNS0_4arch9wavefront6targetE0EEEvS12_.num_vgpr, 0
	.set _ZN7rocprim17ROCPRIM_400000_NS6detail17trampoline_kernelINS0_13select_configILj256ELj13ELNS0_17block_load_methodE3ELS4_3ELS4_3ELNS0_20block_scan_algorithmE0ELj4294967295EEENS1_25partition_config_selectorILNS1_17partition_subalgoE4EjNS0_10empty_typeEbEEZZNS1_14partition_implILS8_4ELb0ES6_15HIP_vector_typeIjLj2EENS0_17counting_iteratorIjlEEPS9_SG_NS0_5tupleIJPjSI_NS0_16reverse_iteratorISI_EEEEENSH_IJSG_SG_SG_EEES9_SI_JZNS1_25segmented_radix_sort_implINS0_14default_configELb1EPKiPiPKlPlN2at6native12_GLOBAL__N_18offset_tEEE10hipError_tPvRmT1_PNSt15iterator_traitsIS12_E10value_typeET2_T3_PNS13_IS18_E10value_typeET4_jRbjT5_S1E_jjP12ihipStream_tbEUljE_ZNSN_ISO_Lb1ESQ_SR_ST_SU_SY_EESZ_S10_S11_S12_S16_S17_S18_S1B_S1C_jS1D_jS1E_S1E_jjS1G_bEUljE0_EEESZ_S10_S11_S18_S1C_S1E_T6_T7_T9_mT8_S1G_bDpT10_ENKUlT_T0_E_clISt17integral_constantIbLb1EES1T_IbLb0EEEEDaS1P_S1Q_EUlS1P_E_NS1_11comp_targetILNS1_3genE10ELNS1_11target_archE1200ELNS1_3gpuE4ELNS1_3repE0EEENS1_30default_config_static_selectorELNS0_4arch9wavefront6targetE0EEEvS12_.num_agpr, 0
	.set _ZN7rocprim17ROCPRIM_400000_NS6detail17trampoline_kernelINS0_13select_configILj256ELj13ELNS0_17block_load_methodE3ELS4_3ELS4_3ELNS0_20block_scan_algorithmE0ELj4294967295EEENS1_25partition_config_selectorILNS1_17partition_subalgoE4EjNS0_10empty_typeEbEEZZNS1_14partition_implILS8_4ELb0ES6_15HIP_vector_typeIjLj2EENS0_17counting_iteratorIjlEEPS9_SG_NS0_5tupleIJPjSI_NS0_16reverse_iteratorISI_EEEEENSH_IJSG_SG_SG_EEES9_SI_JZNS1_25segmented_radix_sort_implINS0_14default_configELb1EPKiPiPKlPlN2at6native12_GLOBAL__N_18offset_tEEE10hipError_tPvRmT1_PNSt15iterator_traitsIS12_E10value_typeET2_T3_PNS13_IS18_E10value_typeET4_jRbjT5_S1E_jjP12ihipStream_tbEUljE_ZNSN_ISO_Lb1ESQ_SR_ST_SU_SY_EESZ_S10_S11_S12_S16_S17_S18_S1B_S1C_jS1D_jS1E_S1E_jjS1G_bEUljE0_EEESZ_S10_S11_S18_S1C_S1E_T6_T7_T9_mT8_S1G_bDpT10_ENKUlT_T0_E_clISt17integral_constantIbLb1EES1T_IbLb0EEEEDaS1P_S1Q_EUlS1P_E_NS1_11comp_targetILNS1_3genE10ELNS1_11target_archE1200ELNS1_3gpuE4ELNS1_3repE0EEENS1_30default_config_static_selectorELNS0_4arch9wavefront6targetE0EEEvS12_.numbered_sgpr, 0
	.set _ZN7rocprim17ROCPRIM_400000_NS6detail17trampoline_kernelINS0_13select_configILj256ELj13ELNS0_17block_load_methodE3ELS4_3ELS4_3ELNS0_20block_scan_algorithmE0ELj4294967295EEENS1_25partition_config_selectorILNS1_17partition_subalgoE4EjNS0_10empty_typeEbEEZZNS1_14partition_implILS8_4ELb0ES6_15HIP_vector_typeIjLj2EENS0_17counting_iteratorIjlEEPS9_SG_NS0_5tupleIJPjSI_NS0_16reverse_iteratorISI_EEEEENSH_IJSG_SG_SG_EEES9_SI_JZNS1_25segmented_radix_sort_implINS0_14default_configELb1EPKiPiPKlPlN2at6native12_GLOBAL__N_18offset_tEEE10hipError_tPvRmT1_PNSt15iterator_traitsIS12_E10value_typeET2_T3_PNS13_IS18_E10value_typeET4_jRbjT5_S1E_jjP12ihipStream_tbEUljE_ZNSN_ISO_Lb1ESQ_SR_ST_SU_SY_EESZ_S10_S11_S12_S16_S17_S18_S1B_S1C_jS1D_jS1E_S1E_jjS1G_bEUljE0_EEESZ_S10_S11_S18_S1C_S1E_T6_T7_T9_mT8_S1G_bDpT10_ENKUlT_T0_E_clISt17integral_constantIbLb1EES1T_IbLb0EEEEDaS1P_S1Q_EUlS1P_E_NS1_11comp_targetILNS1_3genE10ELNS1_11target_archE1200ELNS1_3gpuE4ELNS1_3repE0EEENS1_30default_config_static_selectorELNS0_4arch9wavefront6targetE0EEEvS12_.num_named_barrier, 0
	.set _ZN7rocprim17ROCPRIM_400000_NS6detail17trampoline_kernelINS0_13select_configILj256ELj13ELNS0_17block_load_methodE3ELS4_3ELS4_3ELNS0_20block_scan_algorithmE0ELj4294967295EEENS1_25partition_config_selectorILNS1_17partition_subalgoE4EjNS0_10empty_typeEbEEZZNS1_14partition_implILS8_4ELb0ES6_15HIP_vector_typeIjLj2EENS0_17counting_iteratorIjlEEPS9_SG_NS0_5tupleIJPjSI_NS0_16reverse_iteratorISI_EEEEENSH_IJSG_SG_SG_EEES9_SI_JZNS1_25segmented_radix_sort_implINS0_14default_configELb1EPKiPiPKlPlN2at6native12_GLOBAL__N_18offset_tEEE10hipError_tPvRmT1_PNSt15iterator_traitsIS12_E10value_typeET2_T3_PNS13_IS18_E10value_typeET4_jRbjT5_S1E_jjP12ihipStream_tbEUljE_ZNSN_ISO_Lb1ESQ_SR_ST_SU_SY_EESZ_S10_S11_S12_S16_S17_S18_S1B_S1C_jS1D_jS1E_S1E_jjS1G_bEUljE0_EEESZ_S10_S11_S18_S1C_S1E_T6_T7_T9_mT8_S1G_bDpT10_ENKUlT_T0_E_clISt17integral_constantIbLb1EES1T_IbLb0EEEEDaS1P_S1Q_EUlS1P_E_NS1_11comp_targetILNS1_3genE10ELNS1_11target_archE1200ELNS1_3gpuE4ELNS1_3repE0EEENS1_30default_config_static_selectorELNS0_4arch9wavefront6targetE0EEEvS12_.private_seg_size, 0
	.set _ZN7rocprim17ROCPRIM_400000_NS6detail17trampoline_kernelINS0_13select_configILj256ELj13ELNS0_17block_load_methodE3ELS4_3ELS4_3ELNS0_20block_scan_algorithmE0ELj4294967295EEENS1_25partition_config_selectorILNS1_17partition_subalgoE4EjNS0_10empty_typeEbEEZZNS1_14partition_implILS8_4ELb0ES6_15HIP_vector_typeIjLj2EENS0_17counting_iteratorIjlEEPS9_SG_NS0_5tupleIJPjSI_NS0_16reverse_iteratorISI_EEEEENSH_IJSG_SG_SG_EEES9_SI_JZNS1_25segmented_radix_sort_implINS0_14default_configELb1EPKiPiPKlPlN2at6native12_GLOBAL__N_18offset_tEEE10hipError_tPvRmT1_PNSt15iterator_traitsIS12_E10value_typeET2_T3_PNS13_IS18_E10value_typeET4_jRbjT5_S1E_jjP12ihipStream_tbEUljE_ZNSN_ISO_Lb1ESQ_SR_ST_SU_SY_EESZ_S10_S11_S12_S16_S17_S18_S1B_S1C_jS1D_jS1E_S1E_jjS1G_bEUljE0_EEESZ_S10_S11_S18_S1C_S1E_T6_T7_T9_mT8_S1G_bDpT10_ENKUlT_T0_E_clISt17integral_constantIbLb1EES1T_IbLb0EEEEDaS1P_S1Q_EUlS1P_E_NS1_11comp_targetILNS1_3genE10ELNS1_11target_archE1200ELNS1_3gpuE4ELNS1_3repE0EEENS1_30default_config_static_selectorELNS0_4arch9wavefront6targetE0EEEvS12_.uses_vcc, 0
	.set _ZN7rocprim17ROCPRIM_400000_NS6detail17trampoline_kernelINS0_13select_configILj256ELj13ELNS0_17block_load_methodE3ELS4_3ELS4_3ELNS0_20block_scan_algorithmE0ELj4294967295EEENS1_25partition_config_selectorILNS1_17partition_subalgoE4EjNS0_10empty_typeEbEEZZNS1_14partition_implILS8_4ELb0ES6_15HIP_vector_typeIjLj2EENS0_17counting_iteratorIjlEEPS9_SG_NS0_5tupleIJPjSI_NS0_16reverse_iteratorISI_EEEEENSH_IJSG_SG_SG_EEES9_SI_JZNS1_25segmented_radix_sort_implINS0_14default_configELb1EPKiPiPKlPlN2at6native12_GLOBAL__N_18offset_tEEE10hipError_tPvRmT1_PNSt15iterator_traitsIS12_E10value_typeET2_T3_PNS13_IS18_E10value_typeET4_jRbjT5_S1E_jjP12ihipStream_tbEUljE_ZNSN_ISO_Lb1ESQ_SR_ST_SU_SY_EESZ_S10_S11_S12_S16_S17_S18_S1B_S1C_jS1D_jS1E_S1E_jjS1G_bEUljE0_EEESZ_S10_S11_S18_S1C_S1E_T6_T7_T9_mT8_S1G_bDpT10_ENKUlT_T0_E_clISt17integral_constantIbLb1EES1T_IbLb0EEEEDaS1P_S1Q_EUlS1P_E_NS1_11comp_targetILNS1_3genE10ELNS1_11target_archE1200ELNS1_3gpuE4ELNS1_3repE0EEENS1_30default_config_static_selectorELNS0_4arch9wavefront6targetE0EEEvS12_.uses_flat_scratch, 0
	.set _ZN7rocprim17ROCPRIM_400000_NS6detail17trampoline_kernelINS0_13select_configILj256ELj13ELNS0_17block_load_methodE3ELS4_3ELS4_3ELNS0_20block_scan_algorithmE0ELj4294967295EEENS1_25partition_config_selectorILNS1_17partition_subalgoE4EjNS0_10empty_typeEbEEZZNS1_14partition_implILS8_4ELb0ES6_15HIP_vector_typeIjLj2EENS0_17counting_iteratorIjlEEPS9_SG_NS0_5tupleIJPjSI_NS0_16reverse_iteratorISI_EEEEENSH_IJSG_SG_SG_EEES9_SI_JZNS1_25segmented_radix_sort_implINS0_14default_configELb1EPKiPiPKlPlN2at6native12_GLOBAL__N_18offset_tEEE10hipError_tPvRmT1_PNSt15iterator_traitsIS12_E10value_typeET2_T3_PNS13_IS18_E10value_typeET4_jRbjT5_S1E_jjP12ihipStream_tbEUljE_ZNSN_ISO_Lb1ESQ_SR_ST_SU_SY_EESZ_S10_S11_S12_S16_S17_S18_S1B_S1C_jS1D_jS1E_S1E_jjS1G_bEUljE0_EEESZ_S10_S11_S18_S1C_S1E_T6_T7_T9_mT8_S1G_bDpT10_ENKUlT_T0_E_clISt17integral_constantIbLb1EES1T_IbLb0EEEEDaS1P_S1Q_EUlS1P_E_NS1_11comp_targetILNS1_3genE10ELNS1_11target_archE1200ELNS1_3gpuE4ELNS1_3repE0EEENS1_30default_config_static_selectorELNS0_4arch9wavefront6targetE0EEEvS12_.has_dyn_sized_stack, 0
	.set _ZN7rocprim17ROCPRIM_400000_NS6detail17trampoline_kernelINS0_13select_configILj256ELj13ELNS0_17block_load_methodE3ELS4_3ELS4_3ELNS0_20block_scan_algorithmE0ELj4294967295EEENS1_25partition_config_selectorILNS1_17partition_subalgoE4EjNS0_10empty_typeEbEEZZNS1_14partition_implILS8_4ELb0ES6_15HIP_vector_typeIjLj2EENS0_17counting_iteratorIjlEEPS9_SG_NS0_5tupleIJPjSI_NS0_16reverse_iteratorISI_EEEEENSH_IJSG_SG_SG_EEES9_SI_JZNS1_25segmented_radix_sort_implINS0_14default_configELb1EPKiPiPKlPlN2at6native12_GLOBAL__N_18offset_tEEE10hipError_tPvRmT1_PNSt15iterator_traitsIS12_E10value_typeET2_T3_PNS13_IS18_E10value_typeET4_jRbjT5_S1E_jjP12ihipStream_tbEUljE_ZNSN_ISO_Lb1ESQ_SR_ST_SU_SY_EESZ_S10_S11_S12_S16_S17_S18_S1B_S1C_jS1D_jS1E_S1E_jjS1G_bEUljE0_EEESZ_S10_S11_S18_S1C_S1E_T6_T7_T9_mT8_S1G_bDpT10_ENKUlT_T0_E_clISt17integral_constantIbLb1EES1T_IbLb0EEEEDaS1P_S1Q_EUlS1P_E_NS1_11comp_targetILNS1_3genE10ELNS1_11target_archE1200ELNS1_3gpuE4ELNS1_3repE0EEENS1_30default_config_static_selectorELNS0_4arch9wavefront6targetE0EEEvS12_.has_recursion, 0
	.set _ZN7rocprim17ROCPRIM_400000_NS6detail17trampoline_kernelINS0_13select_configILj256ELj13ELNS0_17block_load_methodE3ELS4_3ELS4_3ELNS0_20block_scan_algorithmE0ELj4294967295EEENS1_25partition_config_selectorILNS1_17partition_subalgoE4EjNS0_10empty_typeEbEEZZNS1_14partition_implILS8_4ELb0ES6_15HIP_vector_typeIjLj2EENS0_17counting_iteratorIjlEEPS9_SG_NS0_5tupleIJPjSI_NS0_16reverse_iteratorISI_EEEEENSH_IJSG_SG_SG_EEES9_SI_JZNS1_25segmented_radix_sort_implINS0_14default_configELb1EPKiPiPKlPlN2at6native12_GLOBAL__N_18offset_tEEE10hipError_tPvRmT1_PNSt15iterator_traitsIS12_E10value_typeET2_T3_PNS13_IS18_E10value_typeET4_jRbjT5_S1E_jjP12ihipStream_tbEUljE_ZNSN_ISO_Lb1ESQ_SR_ST_SU_SY_EESZ_S10_S11_S12_S16_S17_S18_S1B_S1C_jS1D_jS1E_S1E_jjS1G_bEUljE0_EEESZ_S10_S11_S18_S1C_S1E_T6_T7_T9_mT8_S1G_bDpT10_ENKUlT_T0_E_clISt17integral_constantIbLb1EES1T_IbLb0EEEEDaS1P_S1Q_EUlS1P_E_NS1_11comp_targetILNS1_3genE10ELNS1_11target_archE1200ELNS1_3gpuE4ELNS1_3repE0EEENS1_30default_config_static_selectorELNS0_4arch9wavefront6targetE0EEEvS12_.has_indirect_call, 0
	.section	.AMDGPU.csdata,"",@progbits
; Kernel info:
; codeLenInByte = 0
; TotalNumSgprs: 0
; NumVgprs: 0
; ScratchSize: 0
; MemoryBound: 0
; FloatMode: 240
; IeeeMode: 1
; LDSByteSize: 0 bytes/workgroup (compile time only)
; SGPRBlocks: 0
; VGPRBlocks: 0
; NumSGPRsForWavesPerEU: 1
; NumVGPRsForWavesPerEU: 1
; Occupancy: 16
; WaveLimiterHint : 0
; COMPUTE_PGM_RSRC2:SCRATCH_EN: 0
; COMPUTE_PGM_RSRC2:USER_SGPR: 6
; COMPUTE_PGM_RSRC2:TRAP_HANDLER: 0
; COMPUTE_PGM_RSRC2:TGID_X_EN: 1
; COMPUTE_PGM_RSRC2:TGID_Y_EN: 0
; COMPUTE_PGM_RSRC2:TGID_Z_EN: 0
; COMPUTE_PGM_RSRC2:TIDIG_COMP_CNT: 0
	.section	.text._ZN7rocprim17ROCPRIM_400000_NS6detail17trampoline_kernelINS0_13select_configILj256ELj13ELNS0_17block_load_methodE3ELS4_3ELS4_3ELNS0_20block_scan_algorithmE0ELj4294967295EEENS1_25partition_config_selectorILNS1_17partition_subalgoE4EjNS0_10empty_typeEbEEZZNS1_14partition_implILS8_4ELb0ES6_15HIP_vector_typeIjLj2EENS0_17counting_iteratorIjlEEPS9_SG_NS0_5tupleIJPjSI_NS0_16reverse_iteratorISI_EEEEENSH_IJSG_SG_SG_EEES9_SI_JZNS1_25segmented_radix_sort_implINS0_14default_configELb1EPKiPiPKlPlN2at6native12_GLOBAL__N_18offset_tEEE10hipError_tPvRmT1_PNSt15iterator_traitsIS12_E10value_typeET2_T3_PNS13_IS18_E10value_typeET4_jRbjT5_S1E_jjP12ihipStream_tbEUljE_ZNSN_ISO_Lb1ESQ_SR_ST_SU_SY_EESZ_S10_S11_S12_S16_S17_S18_S1B_S1C_jS1D_jS1E_S1E_jjS1G_bEUljE0_EEESZ_S10_S11_S18_S1C_S1E_T6_T7_T9_mT8_S1G_bDpT10_ENKUlT_T0_E_clISt17integral_constantIbLb1EES1T_IbLb0EEEEDaS1P_S1Q_EUlS1P_E_NS1_11comp_targetILNS1_3genE9ELNS1_11target_archE1100ELNS1_3gpuE3ELNS1_3repE0EEENS1_30default_config_static_selectorELNS0_4arch9wavefront6targetE0EEEvS12_,"axG",@progbits,_ZN7rocprim17ROCPRIM_400000_NS6detail17trampoline_kernelINS0_13select_configILj256ELj13ELNS0_17block_load_methodE3ELS4_3ELS4_3ELNS0_20block_scan_algorithmE0ELj4294967295EEENS1_25partition_config_selectorILNS1_17partition_subalgoE4EjNS0_10empty_typeEbEEZZNS1_14partition_implILS8_4ELb0ES6_15HIP_vector_typeIjLj2EENS0_17counting_iteratorIjlEEPS9_SG_NS0_5tupleIJPjSI_NS0_16reverse_iteratorISI_EEEEENSH_IJSG_SG_SG_EEES9_SI_JZNS1_25segmented_radix_sort_implINS0_14default_configELb1EPKiPiPKlPlN2at6native12_GLOBAL__N_18offset_tEEE10hipError_tPvRmT1_PNSt15iterator_traitsIS12_E10value_typeET2_T3_PNS13_IS18_E10value_typeET4_jRbjT5_S1E_jjP12ihipStream_tbEUljE_ZNSN_ISO_Lb1ESQ_SR_ST_SU_SY_EESZ_S10_S11_S12_S16_S17_S18_S1B_S1C_jS1D_jS1E_S1E_jjS1G_bEUljE0_EEESZ_S10_S11_S18_S1C_S1E_T6_T7_T9_mT8_S1G_bDpT10_ENKUlT_T0_E_clISt17integral_constantIbLb1EES1T_IbLb0EEEEDaS1P_S1Q_EUlS1P_E_NS1_11comp_targetILNS1_3genE9ELNS1_11target_archE1100ELNS1_3gpuE3ELNS1_3repE0EEENS1_30default_config_static_selectorELNS0_4arch9wavefront6targetE0EEEvS12_,comdat
	.globl	_ZN7rocprim17ROCPRIM_400000_NS6detail17trampoline_kernelINS0_13select_configILj256ELj13ELNS0_17block_load_methodE3ELS4_3ELS4_3ELNS0_20block_scan_algorithmE0ELj4294967295EEENS1_25partition_config_selectorILNS1_17partition_subalgoE4EjNS0_10empty_typeEbEEZZNS1_14partition_implILS8_4ELb0ES6_15HIP_vector_typeIjLj2EENS0_17counting_iteratorIjlEEPS9_SG_NS0_5tupleIJPjSI_NS0_16reverse_iteratorISI_EEEEENSH_IJSG_SG_SG_EEES9_SI_JZNS1_25segmented_radix_sort_implINS0_14default_configELb1EPKiPiPKlPlN2at6native12_GLOBAL__N_18offset_tEEE10hipError_tPvRmT1_PNSt15iterator_traitsIS12_E10value_typeET2_T3_PNS13_IS18_E10value_typeET4_jRbjT5_S1E_jjP12ihipStream_tbEUljE_ZNSN_ISO_Lb1ESQ_SR_ST_SU_SY_EESZ_S10_S11_S12_S16_S17_S18_S1B_S1C_jS1D_jS1E_S1E_jjS1G_bEUljE0_EEESZ_S10_S11_S18_S1C_S1E_T6_T7_T9_mT8_S1G_bDpT10_ENKUlT_T0_E_clISt17integral_constantIbLb1EES1T_IbLb0EEEEDaS1P_S1Q_EUlS1P_E_NS1_11comp_targetILNS1_3genE9ELNS1_11target_archE1100ELNS1_3gpuE3ELNS1_3repE0EEENS1_30default_config_static_selectorELNS0_4arch9wavefront6targetE0EEEvS12_ ; -- Begin function _ZN7rocprim17ROCPRIM_400000_NS6detail17trampoline_kernelINS0_13select_configILj256ELj13ELNS0_17block_load_methodE3ELS4_3ELS4_3ELNS0_20block_scan_algorithmE0ELj4294967295EEENS1_25partition_config_selectorILNS1_17partition_subalgoE4EjNS0_10empty_typeEbEEZZNS1_14partition_implILS8_4ELb0ES6_15HIP_vector_typeIjLj2EENS0_17counting_iteratorIjlEEPS9_SG_NS0_5tupleIJPjSI_NS0_16reverse_iteratorISI_EEEEENSH_IJSG_SG_SG_EEES9_SI_JZNS1_25segmented_radix_sort_implINS0_14default_configELb1EPKiPiPKlPlN2at6native12_GLOBAL__N_18offset_tEEE10hipError_tPvRmT1_PNSt15iterator_traitsIS12_E10value_typeET2_T3_PNS13_IS18_E10value_typeET4_jRbjT5_S1E_jjP12ihipStream_tbEUljE_ZNSN_ISO_Lb1ESQ_SR_ST_SU_SY_EESZ_S10_S11_S12_S16_S17_S18_S1B_S1C_jS1D_jS1E_S1E_jjS1G_bEUljE0_EEESZ_S10_S11_S18_S1C_S1E_T6_T7_T9_mT8_S1G_bDpT10_ENKUlT_T0_E_clISt17integral_constantIbLb1EES1T_IbLb0EEEEDaS1P_S1Q_EUlS1P_E_NS1_11comp_targetILNS1_3genE9ELNS1_11target_archE1100ELNS1_3gpuE3ELNS1_3repE0EEENS1_30default_config_static_selectorELNS0_4arch9wavefront6targetE0EEEvS12_
	.p2align	8
	.type	_ZN7rocprim17ROCPRIM_400000_NS6detail17trampoline_kernelINS0_13select_configILj256ELj13ELNS0_17block_load_methodE3ELS4_3ELS4_3ELNS0_20block_scan_algorithmE0ELj4294967295EEENS1_25partition_config_selectorILNS1_17partition_subalgoE4EjNS0_10empty_typeEbEEZZNS1_14partition_implILS8_4ELb0ES6_15HIP_vector_typeIjLj2EENS0_17counting_iteratorIjlEEPS9_SG_NS0_5tupleIJPjSI_NS0_16reverse_iteratorISI_EEEEENSH_IJSG_SG_SG_EEES9_SI_JZNS1_25segmented_radix_sort_implINS0_14default_configELb1EPKiPiPKlPlN2at6native12_GLOBAL__N_18offset_tEEE10hipError_tPvRmT1_PNSt15iterator_traitsIS12_E10value_typeET2_T3_PNS13_IS18_E10value_typeET4_jRbjT5_S1E_jjP12ihipStream_tbEUljE_ZNSN_ISO_Lb1ESQ_SR_ST_SU_SY_EESZ_S10_S11_S12_S16_S17_S18_S1B_S1C_jS1D_jS1E_S1E_jjS1G_bEUljE0_EEESZ_S10_S11_S18_S1C_S1E_T6_T7_T9_mT8_S1G_bDpT10_ENKUlT_T0_E_clISt17integral_constantIbLb1EES1T_IbLb0EEEEDaS1P_S1Q_EUlS1P_E_NS1_11comp_targetILNS1_3genE9ELNS1_11target_archE1100ELNS1_3gpuE3ELNS1_3repE0EEENS1_30default_config_static_selectorELNS0_4arch9wavefront6targetE0EEEvS12_,@function
_ZN7rocprim17ROCPRIM_400000_NS6detail17trampoline_kernelINS0_13select_configILj256ELj13ELNS0_17block_load_methodE3ELS4_3ELS4_3ELNS0_20block_scan_algorithmE0ELj4294967295EEENS1_25partition_config_selectorILNS1_17partition_subalgoE4EjNS0_10empty_typeEbEEZZNS1_14partition_implILS8_4ELb0ES6_15HIP_vector_typeIjLj2EENS0_17counting_iteratorIjlEEPS9_SG_NS0_5tupleIJPjSI_NS0_16reverse_iteratorISI_EEEEENSH_IJSG_SG_SG_EEES9_SI_JZNS1_25segmented_radix_sort_implINS0_14default_configELb1EPKiPiPKlPlN2at6native12_GLOBAL__N_18offset_tEEE10hipError_tPvRmT1_PNSt15iterator_traitsIS12_E10value_typeET2_T3_PNS13_IS18_E10value_typeET4_jRbjT5_S1E_jjP12ihipStream_tbEUljE_ZNSN_ISO_Lb1ESQ_SR_ST_SU_SY_EESZ_S10_S11_S12_S16_S17_S18_S1B_S1C_jS1D_jS1E_S1E_jjS1G_bEUljE0_EEESZ_S10_S11_S18_S1C_S1E_T6_T7_T9_mT8_S1G_bDpT10_ENKUlT_T0_E_clISt17integral_constantIbLb1EES1T_IbLb0EEEEDaS1P_S1Q_EUlS1P_E_NS1_11comp_targetILNS1_3genE9ELNS1_11target_archE1100ELNS1_3gpuE3ELNS1_3repE0EEENS1_30default_config_static_selectorELNS0_4arch9wavefront6targetE0EEEvS12_: ; @_ZN7rocprim17ROCPRIM_400000_NS6detail17trampoline_kernelINS0_13select_configILj256ELj13ELNS0_17block_load_methodE3ELS4_3ELS4_3ELNS0_20block_scan_algorithmE0ELj4294967295EEENS1_25partition_config_selectorILNS1_17partition_subalgoE4EjNS0_10empty_typeEbEEZZNS1_14partition_implILS8_4ELb0ES6_15HIP_vector_typeIjLj2EENS0_17counting_iteratorIjlEEPS9_SG_NS0_5tupleIJPjSI_NS0_16reverse_iteratorISI_EEEEENSH_IJSG_SG_SG_EEES9_SI_JZNS1_25segmented_radix_sort_implINS0_14default_configELb1EPKiPiPKlPlN2at6native12_GLOBAL__N_18offset_tEEE10hipError_tPvRmT1_PNSt15iterator_traitsIS12_E10value_typeET2_T3_PNS13_IS18_E10value_typeET4_jRbjT5_S1E_jjP12ihipStream_tbEUljE_ZNSN_ISO_Lb1ESQ_SR_ST_SU_SY_EESZ_S10_S11_S12_S16_S17_S18_S1B_S1C_jS1D_jS1E_S1E_jjS1G_bEUljE0_EEESZ_S10_S11_S18_S1C_S1E_T6_T7_T9_mT8_S1G_bDpT10_ENKUlT_T0_E_clISt17integral_constantIbLb1EES1T_IbLb0EEEEDaS1P_S1Q_EUlS1P_E_NS1_11comp_targetILNS1_3genE9ELNS1_11target_archE1100ELNS1_3gpuE3ELNS1_3repE0EEENS1_30default_config_static_selectorELNS0_4arch9wavefront6targetE0EEEvS12_
; %bb.0:
	.section	.rodata,"a",@progbits
	.p2align	6, 0x0
	.amdhsa_kernel _ZN7rocprim17ROCPRIM_400000_NS6detail17trampoline_kernelINS0_13select_configILj256ELj13ELNS0_17block_load_methodE3ELS4_3ELS4_3ELNS0_20block_scan_algorithmE0ELj4294967295EEENS1_25partition_config_selectorILNS1_17partition_subalgoE4EjNS0_10empty_typeEbEEZZNS1_14partition_implILS8_4ELb0ES6_15HIP_vector_typeIjLj2EENS0_17counting_iteratorIjlEEPS9_SG_NS0_5tupleIJPjSI_NS0_16reverse_iteratorISI_EEEEENSH_IJSG_SG_SG_EEES9_SI_JZNS1_25segmented_radix_sort_implINS0_14default_configELb1EPKiPiPKlPlN2at6native12_GLOBAL__N_18offset_tEEE10hipError_tPvRmT1_PNSt15iterator_traitsIS12_E10value_typeET2_T3_PNS13_IS18_E10value_typeET4_jRbjT5_S1E_jjP12ihipStream_tbEUljE_ZNSN_ISO_Lb1ESQ_SR_ST_SU_SY_EESZ_S10_S11_S12_S16_S17_S18_S1B_S1C_jS1D_jS1E_S1E_jjS1G_bEUljE0_EEESZ_S10_S11_S18_S1C_S1E_T6_T7_T9_mT8_S1G_bDpT10_ENKUlT_T0_E_clISt17integral_constantIbLb1EES1T_IbLb0EEEEDaS1P_S1Q_EUlS1P_E_NS1_11comp_targetILNS1_3genE9ELNS1_11target_archE1100ELNS1_3gpuE3ELNS1_3repE0EEENS1_30default_config_static_selectorELNS0_4arch9wavefront6targetE0EEEvS12_
		.amdhsa_group_segment_fixed_size 0
		.amdhsa_private_segment_fixed_size 0
		.amdhsa_kernarg_size 176
		.amdhsa_user_sgpr_count 6
		.amdhsa_user_sgpr_private_segment_buffer 1
		.amdhsa_user_sgpr_dispatch_ptr 0
		.amdhsa_user_sgpr_queue_ptr 0
		.amdhsa_user_sgpr_kernarg_segment_ptr 1
		.amdhsa_user_sgpr_dispatch_id 0
		.amdhsa_user_sgpr_flat_scratch_init 0
		.amdhsa_user_sgpr_private_segment_size 0
		.amdhsa_wavefront_size32 1
		.amdhsa_uses_dynamic_stack 0
		.amdhsa_system_sgpr_private_segment_wavefront_offset 0
		.amdhsa_system_sgpr_workgroup_id_x 1
		.amdhsa_system_sgpr_workgroup_id_y 0
		.amdhsa_system_sgpr_workgroup_id_z 0
		.amdhsa_system_sgpr_workgroup_info 0
		.amdhsa_system_vgpr_workitem_id 0
		.amdhsa_next_free_vgpr 1
		.amdhsa_next_free_sgpr 1
		.amdhsa_reserve_vcc 0
		.amdhsa_reserve_flat_scratch 0
		.amdhsa_float_round_mode_32 0
		.amdhsa_float_round_mode_16_64 0
		.amdhsa_float_denorm_mode_32 3
		.amdhsa_float_denorm_mode_16_64 3
		.amdhsa_dx10_clamp 1
		.amdhsa_ieee_mode 1
		.amdhsa_fp16_overflow 0
		.amdhsa_workgroup_processor_mode 1
		.amdhsa_memory_ordered 1
		.amdhsa_forward_progress 1
		.amdhsa_shared_vgpr_count 0
		.amdhsa_exception_fp_ieee_invalid_op 0
		.amdhsa_exception_fp_denorm_src 0
		.amdhsa_exception_fp_ieee_div_zero 0
		.amdhsa_exception_fp_ieee_overflow 0
		.amdhsa_exception_fp_ieee_underflow 0
		.amdhsa_exception_fp_ieee_inexact 0
		.amdhsa_exception_int_div_zero 0
	.end_amdhsa_kernel
	.section	.text._ZN7rocprim17ROCPRIM_400000_NS6detail17trampoline_kernelINS0_13select_configILj256ELj13ELNS0_17block_load_methodE3ELS4_3ELS4_3ELNS0_20block_scan_algorithmE0ELj4294967295EEENS1_25partition_config_selectorILNS1_17partition_subalgoE4EjNS0_10empty_typeEbEEZZNS1_14partition_implILS8_4ELb0ES6_15HIP_vector_typeIjLj2EENS0_17counting_iteratorIjlEEPS9_SG_NS0_5tupleIJPjSI_NS0_16reverse_iteratorISI_EEEEENSH_IJSG_SG_SG_EEES9_SI_JZNS1_25segmented_radix_sort_implINS0_14default_configELb1EPKiPiPKlPlN2at6native12_GLOBAL__N_18offset_tEEE10hipError_tPvRmT1_PNSt15iterator_traitsIS12_E10value_typeET2_T3_PNS13_IS18_E10value_typeET4_jRbjT5_S1E_jjP12ihipStream_tbEUljE_ZNSN_ISO_Lb1ESQ_SR_ST_SU_SY_EESZ_S10_S11_S12_S16_S17_S18_S1B_S1C_jS1D_jS1E_S1E_jjS1G_bEUljE0_EEESZ_S10_S11_S18_S1C_S1E_T6_T7_T9_mT8_S1G_bDpT10_ENKUlT_T0_E_clISt17integral_constantIbLb1EES1T_IbLb0EEEEDaS1P_S1Q_EUlS1P_E_NS1_11comp_targetILNS1_3genE9ELNS1_11target_archE1100ELNS1_3gpuE3ELNS1_3repE0EEENS1_30default_config_static_selectorELNS0_4arch9wavefront6targetE0EEEvS12_,"axG",@progbits,_ZN7rocprim17ROCPRIM_400000_NS6detail17trampoline_kernelINS0_13select_configILj256ELj13ELNS0_17block_load_methodE3ELS4_3ELS4_3ELNS0_20block_scan_algorithmE0ELj4294967295EEENS1_25partition_config_selectorILNS1_17partition_subalgoE4EjNS0_10empty_typeEbEEZZNS1_14partition_implILS8_4ELb0ES6_15HIP_vector_typeIjLj2EENS0_17counting_iteratorIjlEEPS9_SG_NS0_5tupleIJPjSI_NS0_16reverse_iteratorISI_EEEEENSH_IJSG_SG_SG_EEES9_SI_JZNS1_25segmented_radix_sort_implINS0_14default_configELb1EPKiPiPKlPlN2at6native12_GLOBAL__N_18offset_tEEE10hipError_tPvRmT1_PNSt15iterator_traitsIS12_E10value_typeET2_T3_PNS13_IS18_E10value_typeET4_jRbjT5_S1E_jjP12ihipStream_tbEUljE_ZNSN_ISO_Lb1ESQ_SR_ST_SU_SY_EESZ_S10_S11_S12_S16_S17_S18_S1B_S1C_jS1D_jS1E_S1E_jjS1G_bEUljE0_EEESZ_S10_S11_S18_S1C_S1E_T6_T7_T9_mT8_S1G_bDpT10_ENKUlT_T0_E_clISt17integral_constantIbLb1EES1T_IbLb0EEEEDaS1P_S1Q_EUlS1P_E_NS1_11comp_targetILNS1_3genE9ELNS1_11target_archE1100ELNS1_3gpuE3ELNS1_3repE0EEENS1_30default_config_static_selectorELNS0_4arch9wavefront6targetE0EEEvS12_,comdat
.Lfunc_end451:
	.size	_ZN7rocprim17ROCPRIM_400000_NS6detail17trampoline_kernelINS0_13select_configILj256ELj13ELNS0_17block_load_methodE3ELS4_3ELS4_3ELNS0_20block_scan_algorithmE0ELj4294967295EEENS1_25partition_config_selectorILNS1_17partition_subalgoE4EjNS0_10empty_typeEbEEZZNS1_14partition_implILS8_4ELb0ES6_15HIP_vector_typeIjLj2EENS0_17counting_iteratorIjlEEPS9_SG_NS0_5tupleIJPjSI_NS0_16reverse_iteratorISI_EEEEENSH_IJSG_SG_SG_EEES9_SI_JZNS1_25segmented_radix_sort_implINS0_14default_configELb1EPKiPiPKlPlN2at6native12_GLOBAL__N_18offset_tEEE10hipError_tPvRmT1_PNSt15iterator_traitsIS12_E10value_typeET2_T3_PNS13_IS18_E10value_typeET4_jRbjT5_S1E_jjP12ihipStream_tbEUljE_ZNSN_ISO_Lb1ESQ_SR_ST_SU_SY_EESZ_S10_S11_S12_S16_S17_S18_S1B_S1C_jS1D_jS1E_S1E_jjS1G_bEUljE0_EEESZ_S10_S11_S18_S1C_S1E_T6_T7_T9_mT8_S1G_bDpT10_ENKUlT_T0_E_clISt17integral_constantIbLb1EES1T_IbLb0EEEEDaS1P_S1Q_EUlS1P_E_NS1_11comp_targetILNS1_3genE9ELNS1_11target_archE1100ELNS1_3gpuE3ELNS1_3repE0EEENS1_30default_config_static_selectorELNS0_4arch9wavefront6targetE0EEEvS12_, .Lfunc_end451-_ZN7rocprim17ROCPRIM_400000_NS6detail17trampoline_kernelINS0_13select_configILj256ELj13ELNS0_17block_load_methodE3ELS4_3ELS4_3ELNS0_20block_scan_algorithmE0ELj4294967295EEENS1_25partition_config_selectorILNS1_17partition_subalgoE4EjNS0_10empty_typeEbEEZZNS1_14partition_implILS8_4ELb0ES6_15HIP_vector_typeIjLj2EENS0_17counting_iteratorIjlEEPS9_SG_NS0_5tupleIJPjSI_NS0_16reverse_iteratorISI_EEEEENSH_IJSG_SG_SG_EEES9_SI_JZNS1_25segmented_radix_sort_implINS0_14default_configELb1EPKiPiPKlPlN2at6native12_GLOBAL__N_18offset_tEEE10hipError_tPvRmT1_PNSt15iterator_traitsIS12_E10value_typeET2_T3_PNS13_IS18_E10value_typeET4_jRbjT5_S1E_jjP12ihipStream_tbEUljE_ZNSN_ISO_Lb1ESQ_SR_ST_SU_SY_EESZ_S10_S11_S12_S16_S17_S18_S1B_S1C_jS1D_jS1E_S1E_jjS1G_bEUljE0_EEESZ_S10_S11_S18_S1C_S1E_T6_T7_T9_mT8_S1G_bDpT10_ENKUlT_T0_E_clISt17integral_constantIbLb1EES1T_IbLb0EEEEDaS1P_S1Q_EUlS1P_E_NS1_11comp_targetILNS1_3genE9ELNS1_11target_archE1100ELNS1_3gpuE3ELNS1_3repE0EEENS1_30default_config_static_selectorELNS0_4arch9wavefront6targetE0EEEvS12_
                                        ; -- End function
	.set _ZN7rocprim17ROCPRIM_400000_NS6detail17trampoline_kernelINS0_13select_configILj256ELj13ELNS0_17block_load_methodE3ELS4_3ELS4_3ELNS0_20block_scan_algorithmE0ELj4294967295EEENS1_25partition_config_selectorILNS1_17partition_subalgoE4EjNS0_10empty_typeEbEEZZNS1_14partition_implILS8_4ELb0ES6_15HIP_vector_typeIjLj2EENS0_17counting_iteratorIjlEEPS9_SG_NS0_5tupleIJPjSI_NS0_16reverse_iteratorISI_EEEEENSH_IJSG_SG_SG_EEES9_SI_JZNS1_25segmented_radix_sort_implINS0_14default_configELb1EPKiPiPKlPlN2at6native12_GLOBAL__N_18offset_tEEE10hipError_tPvRmT1_PNSt15iterator_traitsIS12_E10value_typeET2_T3_PNS13_IS18_E10value_typeET4_jRbjT5_S1E_jjP12ihipStream_tbEUljE_ZNSN_ISO_Lb1ESQ_SR_ST_SU_SY_EESZ_S10_S11_S12_S16_S17_S18_S1B_S1C_jS1D_jS1E_S1E_jjS1G_bEUljE0_EEESZ_S10_S11_S18_S1C_S1E_T6_T7_T9_mT8_S1G_bDpT10_ENKUlT_T0_E_clISt17integral_constantIbLb1EES1T_IbLb0EEEEDaS1P_S1Q_EUlS1P_E_NS1_11comp_targetILNS1_3genE9ELNS1_11target_archE1100ELNS1_3gpuE3ELNS1_3repE0EEENS1_30default_config_static_selectorELNS0_4arch9wavefront6targetE0EEEvS12_.num_vgpr, 0
	.set _ZN7rocprim17ROCPRIM_400000_NS6detail17trampoline_kernelINS0_13select_configILj256ELj13ELNS0_17block_load_methodE3ELS4_3ELS4_3ELNS0_20block_scan_algorithmE0ELj4294967295EEENS1_25partition_config_selectorILNS1_17partition_subalgoE4EjNS0_10empty_typeEbEEZZNS1_14partition_implILS8_4ELb0ES6_15HIP_vector_typeIjLj2EENS0_17counting_iteratorIjlEEPS9_SG_NS0_5tupleIJPjSI_NS0_16reverse_iteratorISI_EEEEENSH_IJSG_SG_SG_EEES9_SI_JZNS1_25segmented_radix_sort_implINS0_14default_configELb1EPKiPiPKlPlN2at6native12_GLOBAL__N_18offset_tEEE10hipError_tPvRmT1_PNSt15iterator_traitsIS12_E10value_typeET2_T3_PNS13_IS18_E10value_typeET4_jRbjT5_S1E_jjP12ihipStream_tbEUljE_ZNSN_ISO_Lb1ESQ_SR_ST_SU_SY_EESZ_S10_S11_S12_S16_S17_S18_S1B_S1C_jS1D_jS1E_S1E_jjS1G_bEUljE0_EEESZ_S10_S11_S18_S1C_S1E_T6_T7_T9_mT8_S1G_bDpT10_ENKUlT_T0_E_clISt17integral_constantIbLb1EES1T_IbLb0EEEEDaS1P_S1Q_EUlS1P_E_NS1_11comp_targetILNS1_3genE9ELNS1_11target_archE1100ELNS1_3gpuE3ELNS1_3repE0EEENS1_30default_config_static_selectorELNS0_4arch9wavefront6targetE0EEEvS12_.num_agpr, 0
	.set _ZN7rocprim17ROCPRIM_400000_NS6detail17trampoline_kernelINS0_13select_configILj256ELj13ELNS0_17block_load_methodE3ELS4_3ELS4_3ELNS0_20block_scan_algorithmE0ELj4294967295EEENS1_25partition_config_selectorILNS1_17partition_subalgoE4EjNS0_10empty_typeEbEEZZNS1_14partition_implILS8_4ELb0ES6_15HIP_vector_typeIjLj2EENS0_17counting_iteratorIjlEEPS9_SG_NS0_5tupleIJPjSI_NS0_16reverse_iteratorISI_EEEEENSH_IJSG_SG_SG_EEES9_SI_JZNS1_25segmented_radix_sort_implINS0_14default_configELb1EPKiPiPKlPlN2at6native12_GLOBAL__N_18offset_tEEE10hipError_tPvRmT1_PNSt15iterator_traitsIS12_E10value_typeET2_T3_PNS13_IS18_E10value_typeET4_jRbjT5_S1E_jjP12ihipStream_tbEUljE_ZNSN_ISO_Lb1ESQ_SR_ST_SU_SY_EESZ_S10_S11_S12_S16_S17_S18_S1B_S1C_jS1D_jS1E_S1E_jjS1G_bEUljE0_EEESZ_S10_S11_S18_S1C_S1E_T6_T7_T9_mT8_S1G_bDpT10_ENKUlT_T0_E_clISt17integral_constantIbLb1EES1T_IbLb0EEEEDaS1P_S1Q_EUlS1P_E_NS1_11comp_targetILNS1_3genE9ELNS1_11target_archE1100ELNS1_3gpuE3ELNS1_3repE0EEENS1_30default_config_static_selectorELNS0_4arch9wavefront6targetE0EEEvS12_.numbered_sgpr, 0
	.set _ZN7rocprim17ROCPRIM_400000_NS6detail17trampoline_kernelINS0_13select_configILj256ELj13ELNS0_17block_load_methodE3ELS4_3ELS4_3ELNS0_20block_scan_algorithmE0ELj4294967295EEENS1_25partition_config_selectorILNS1_17partition_subalgoE4EjNS0_10empty_typeEbEEZZNS1_14partition_implILS8_4ELb0ES6_15HIP_vector_typeIjLj2EENS0_17counting_iteratorIjlEEPS9_SG_NS0_5tupleIJPjSI_NS0_16reverse_iteratorISI_EEEEENSH_IJSG_SG_SG_EEES9_SI_JZNS1_25segmented_radix_sort_implINS0_14default_configELb1EPKiPiPKlPlN2at6native12_GLOBAL__N_18offset_tEEE10hipError_tPvRmT1_PNSt15iterator_traitsIS12_E10value_typeET2_T3_PNS13_IS18_E10value_typeET4_jRbjT5_S1E_jjP12ihipStream_tbEUljE_ZNSN_ISO_Lb1ESQ_SR_ST_SU_SY_EESZ_S10_S11_S12_S16_S17_S18_S1B_S1C_jS1D_jS1E_S1E_jjS1G_bEUljE0_EEESZ_S10_S11_S18_S1C_S1E_T6_T7_T9_mT8_S1G_bDpT10_ENKUlT_T0_E_clISt17integral_constantIbLb1EES1T_IbLb0EEEEDaS1P_S1Q_EUlS1P_E_NS1_11comp_targetILNS1_3genE9ELNS1_11target_archE1100ELNS1_3gpuE3ELNS1_3repE0EEENS1_30default_config_static_selectorELNS0_4arch9wavefront6targetE0EEEvS12_.num_named_barrier, 0
	.set _ZN7rocprim17ROCPRIM_400000_NS6detail17trampoline_kernelINS0_13select_configILj256ELj13ELNS0_17block_load_methodE3ELS4_3ELS4_3ELNS0_20block_scan_algorithmE0ELj4294967295EEENS1_25partition_config_selectorILNS1_17partition_subalgoE4EjNS0_10empty_typeEbEEZZNS1_14partition_implILS8_4ELb0ES6_15HIP_vector_typeIjLj2EENS0_17counting_iteratorIjlEEPS9_SG_NS0_5tupleIJPjSI_NS0_16reverse_iteratorISI_EEEEENSH_IJSG_SG_SG_EEES9_SI_JZNS1_25segmented_radix_sort_implINS0_14default_configELb1EPKiPiPKlPlN2at6native12_GLOBAL__N_18offset_tEEE10hipError_tPvRmT1_PNSt15iterator_traitsIS12_E10value_typeET2_T3_PNS13_IS18_E10value_typeET4_jRbjT5_S1E_jjP12ihipStream_tbEUljE_ZNSN_ISO_Lb1ESQ_SR_ST_SU_SY_EESZ_S10_S11_S12_S16_S17_S18_S1B_S1C_jS1D_jS1E_S1E_jjS1G_bEUljE0_EEESZ_S10_S11_S18_S1C_S1E_T6_T7_T9_mT8_S1G_bDpT10_ENKUlT_T0_E_clISt17integral_constantIbLb1EES1T_IbLb0EEEEDaS1P_S1Q_EUlS1P_E_NS1_11comp_targetILNS1_3genE9ELNS1_11target_archE1100ELNS1_3gpuE3ELNS1_3repE0EEENS1_30default_config_static_selectorELNS0_4arch9wavefront6targetE0EEEvS12_.private_seg_size, 0
	.set _ZN7rocprim17ROCPRIM_400000_NS6detail17trampoline_kernelINS0_13select_configILj256ELj13ELNS0_17block_load_methodE3ELS4_3ELS4_3ELNS0_20block_scan_algorithmE0ELj4294967295EEENS1_25partition_config_selectorILNS1_17partition_subalgoE4EjNS0_10empty_typeEbEEZZNS1_14partition_implILS8_4ELb0ES6_15HIP_vector_typeIjLj2EENS0_17counting_iteratorIjlEEPS9_SG_NS0_5tupleIJPjSI_NS0_16reverse_iteratorISI_EEEEENSH_IJSG_SG_SG_EEES9_SI_JZNS1_25segmented_radix_sort_implINS0_14default_configELb1EPKiPiPKlPlN2at6native12_GLOBAL__N_18offset_tEEE10hipError_tPvRmT1_PNSt15iterator_traitsIS12_E10value_typeET2_T3_PNS13_IS18_E10value_typeET4_jRbjT5_S1E_jjP12ihipStream_tbEUljE_ZNSN_ISO_Lb1ESQ_SR_ST_SU_SY_EESZ_S10_S11_S12_S16_S17_S18_S1B_S1C_jS1D_jS1E_S1E_jjS1G_bEUljE0_EEESZ_S10_S11_S18_S1C_S1E_T6_T7_T9_mT8_S1G_bDpT10_ENKUlT_T0_E_clISt17integral_constantIbLb1EES1T_IbLb0EEEEDaS1P_S1Q_EUlS1P_E_NS1_11comp_targetILNS1_3genE9ELNS1_11target_archE1100ELNS1_3gpuE3ELNS1_3repE0EEENS1_30default_config_static_selectorELNS0_4arch9wavefront6targetE0EEEvS12_.uses_vcc, 0
	.set _ZN7rocprim17ROCPRIM_400000_NS6detail17trampoline_kernelINS0_13select_configILj256ELj13ELNS0_17block_load_methodE3ELS4_3ELS4_3ELNS0_20block_scan_algorithmE0ELj4294967295EEENS1_25partition_config_selectorILNS1_17partition_subalgoE4EjNS0_10empty_typeEbEEZZNS1_14partition_implILS8_4ELb0ES6_15HIP_vector_typeIjLj2EENS0_17counting_iteratorIjlEEPS9_SG_NS0_5tupleIJPjSI_NS0_16reverse_iteratorISI_EEEEENSH_IJSG_SG_SG_EEES9_SI_JZNS1_25segmented_radix_sort_implINS0_14default_configELb1EPKiPiPKlPlN2at6native12_GLOBAL__N_18offset_tEEE10hipError_tPvRmT1_PNSt15iterator_traitsIS12_E10value_typeET2_T3_PNS13_IS18_E10value_typeET4_jRbjT5_S1E_jjP12ihipStream_tbEUljE_ZNSN_ISO_Lb1ESQ_SR_ST_SU_SY_EESZ_S10_S11_S12_S16_S17_S18_S1B_S1C_jS1D_jS1E_S1E_jjS1G_bEUljE0_EEESZ_S10_S11_S18_S1C_S1E_T6_T7_T9_mT8_S1G_bDpT10_ENKUlT_T0_E_clISt17integral_constantIbLb1EES1T_IbLb0EEEEDaS1P_S1Q_EUlS1P_E_NS1_11comp_targetILNS1_3genE9ELNS1_11target_archE1100ELNS1_3gpuE3ELNS1_3repE0EEENS1_30default_config_static_selectorELNS0_4arch9wavefront6targetE0EEEvS12_.uses_flat_scratch, 0
	.set _ZN7rocprim17ROCPRIM_400000_NS6detail17trampoline_kernelINS0_13select_configILj256ELj13ELNS0_17block_load_methodE3ELS4_3ELS4_3ELNS0_20block_scan_algorithmE0ELj4294967295EEENS1_25partition_config_selectorILNS1_17partition_subalgoE4EjNS0_10empty_typeEbEEZZNS1_14partition_implILS8_4ELb0ES6_15HIP_vector_typeIjLj2EENS0_17counting_iteratorIjlEEPS9_SG_NS0_5tupleIJPjSI_NS0_16reverse_iteratorISI_EEEEENSH_IJSG_SG_SG_EEES9_SI_JZNS1_25segmented_radix_sort_implINS0_14default_configELb1EPKiPiPKlPlN2at6native12_GLOBAL__N_18offset_tEEE10hipError_tPvRmT1_PNSt15iterator_traitsIS12_E10value_typeET2_T3_PNS13_IS18_E10value_typeET4_jRbjT5_S1E_jjP12ihipStream_tbEUljE_ZNSN_ISO_Lb1ESQ_SR_ST_SU_SY_EESZ_S10_S11_S12_S16_S17_S18_S1B_S1C_jS1D_jS1E_S1E_jjS1G_bEUljE0_EEESZ_S10_S11_S18_S1C_S1E_T6_T7_T9_mT8_S1G_bDpT10_ENKUlT_T0_E_clISt17integral_constantIbLb1EES1T_IbLb0EEEEDaS1P_S1Q_EUlS1P_E_NS1_11comp_targetILNS1_3genE9ELNS1_11target_archE1100ELNS1_3gpuE3ELNS1_3repE0EEENS1_30default_config_static_selectorELNS0_4arch9wavefront6targetE0EEEvS12_.has_dyn_sized_stack, 0
	.set _ZN7rocprim17ROCPRIM_400000_NS6detail17trampoline_kernelINS0_13select_configILj256ELj13ELNS0_17block_load_methodE3ELS4_3ELS4_3ELNS0_20block_scan_algorithmE0ELj4294967295EEENS1_25partition_config_selectorILNS1_17partition_subalgoE4EjNS0_10empty_typeEbEEZZNS1_14partition_implILS8_4ELb0ES6_15HIP_vector_typeIjLj2EENS0_17counting_iteratorIjlEEPS9_SG_NS0_5tupleIJPjSI_NS0_16reverse_iteratorISI_EEEEENSH_IJSG_SG_SG_EEES9_SI_JZNS1_25segmented_radix_sort_implINS0_14default_configELb1EPKiPiPKlPlN2at6native12_GLOBAL__N_18offset_tEEE10hipError_tPvRmT1_PNSt15iterator_traitsIS12_E10value_typeET2_T3_PNS13_IS18_E10value_typeET4_jRbjT5_S1E_jjP12ihipStream_tbEUljE_ZNSN_ISO_Lb1ESQ_SR_ST_SU_SY_EESZ_S10_S11_S12_S16_S17_S18_S1B_S1C_jS1D_jS1E_S1E_jjS1G_bEUljE0_EEESZ_S10_S11_S18_S1C_S1E_T6_T7_T9_mT8_S1G_bDpT10_ENKUlT_T0_E_clISt17integral_constantIbLb1EES1T_IbLb0EEEEDaS1P_S1Q_EUlS1P_E_NS1_11comp_targetILNS1_3genE9ELNS1_11target_archE1100ELNS1_3gpuE3ELNS1_3repE0EEENS1_30default_config_static_selectorELNS0_4arch9wavefront6targetE0EEEvS12_.has_recursion, 0
	.set _ZN7rocprim17ROCPRIM_400000_NS6detail17trampoline_kernelINS0_13select_configILj256ELj13ELNS0_17block_load_methodE3ELS4_3ELS4_3ELNS0_20block_scan_algorithmE0ELj4294967295EEENS1_25partition_config_selectorILNS1_17partition_subalgoE4EjNS0_10empty_typeEbEEZZNS1_14partition_implILS8_4ELb0ES6_15HIP_vector_typeIjLj2EENS0_17counting_iteratorIjlEEPS9_SG_NS0_5tupleIJPjSI_NS0_16reverse_iteratorISI_EEEEENSH_IJSG_SG_SG_EEES9_SI_JZNS1_25segmented_radix_sort_implINS0_14default_configELb1EPKiPiPKlPlN2at6native12_GLOBAL__N_18offset_tEEE10hipError_tPvRmT1_PNSt15iterator_traitsIS12_E10value_typeET2_T3_PNS13_IS18_E10value_typeET4_jRbjT5_S1E_jjP12ihipStream_tbEUljE_ZNSN_ISO_Lb1ESQ_SR_ST_SU_SY_EESZ_S10_S11_S12_S16_S17_S18_S1B_S1C_jS1D_jS1E_S1E_jjS1G_bEUljE0_EEESZ_S10_S11_S18_S1C_S1E_T6_T7_T9_mT8_S1G_bDpT10_ENKUlT_T0_E_clISt17integral_constantIbLb1EES1T_IbLb0EEEEDaS1P_S1Q_EUlS1P_E_NS1_11comp_targetILNS1_3genE9ELNS1_11target_archE1100ELNS1_3gpuE3ELNS1_3repE0EEENS1_30default_config_static_selectorELNS0_4arch9wavefront6targetE0EEEvS12_.has_indirect_call, 0
	.section	.AMDGPU.csdata,"",@progbits
; Kernel info:
; codeLenInByte = 0
; TotalNumSgprs: 0
; NumVgprs: 0
; ScratchSize: 0
; MemoryBound: 0
; FloatMode: 240
; IeeeMode: 1
; LDSByteSize: 0 bytes/workgroup (compile time only)
; SGPRBlocks: 0
; VGPRBlocks: 0
; NumSGPRsForWavesPerEU: 1
; NumVGPRsForWavesPerEU: 1
; Occupancy: 16
; WaveLimiterHint : 0
; COMPUTE_PGM_RSRC2:SCRATCH_EN: 0
; COMPUTE_PGM_RSRC2:USER_SGPR: 6
; COMPUTE_PGM_RSRC2:TRAP_HANDLER: 0
; COMPUTE_PGM_RSRC2:TGID_X_EN: 1
; COMPUTE_PGM_RSRC2:TGID_Y_EN: 0
; COMPUTE_PGM_RSRC2:TGID_Z_EN: 0
; COMPUTE_PGM_RSRC2:TIDIG_COMP_CNT: 0
	.section	.text._ZN7rocprim17ROCPRIM_400000_NS6detail17trampoline_kernelINS0_13select_configILj256ELj13ELNS0_17block_load_methodE3ELS4_3ELS4_3ELNS0_20block_scan_algorithmE0ELj4294967295EEENS1_25partition_config_selectorILNS1_17partition_subalgoE4EjNS0_10empty_typeEbEEZZNS1_14partition_implILS8_4ELb0ES6_15HIP_vector_typeIjLj2EENS0_17counting_iteratorIjlEEPS9_SG_NS0_5tupleIJPjSI_NS0_16reverse_iteratorISI_EEEEENSH_IJSG_SG_SG_EEES9_SI_JZNS1_25segmented_radix_sort_implINS0_14default_configELb1EPKiPiPKlPlN2at6native12_GLOBAL__N_18offset_tEEE10hipError_tPvRmT1_PNSt15iterator_traitsIS12_E10value_typeET2_T3_PNS13_IS18_E10value_typeET4_jRbjT5_S1E_jjP12ihipStream_tbEUljE_ZNSN_ISO_Lb1ESQ_SR_ST_SU_SY_EESZ_S10_S11_S12_S16_S17_S18_S1B_S1C_jS1D_jS1E_S1E_jjS1G_bEUljE0_EEESZ_S10_S11_S18_S1C_S1E_T6_T7_T9_mT8_S1G_bDpT10_ENKUlT_T0_E_clISt17integral_constantIbLb1EES1T_IbLb0EEEEDaS1P_S1Q_EUlS1P_E_NS1_11comp_targetILNS1_3genE8ELNS1_11target_archE1030ELNS1_3gpuE2ELNS1_3repE0EEENS1_30default_config_static_selectorELNS0_4arch9wavefront6targetE0EEEvS12_,"axG",@progbits,_ZN7rocprim17ROCPRIM_400000_NS6detail17trampoline_kernelINS0_13select_configILj256ELj13ELNS0_17block_load_methodE3ELS4_3ELS4_3ELNS0_20block_scan_algorithmE0ELj4294967295EEENS1_25partition_config_selectorILNS1_17partition_subalgoE4EjNS0_10empty_typeEbEEZZNS1_14partition_implILS8_4ELb0ES6_15HIP_vector_typeIjLj2EENS0_17counting_iteratorIjlEEPS9_SG_NS0_5tupleIJPjSI_NS0_16reverse_iteratorISI_EEEEENSH_IJSG_SG_SG_EEES9_SI_JZNS1_25segmented_radix_sort_implINS0_14default_configELb1EPKiPiPKlPlN2at6native12_GLOBAL__N_18offset_tEEE10hipError_tPvRmT1_PNSt15iterator_traitsIS12_E10value_typeET2_T3_PNS13_IS18_E10value_typeET4_jRbjT5_S1E_jjP12ihipStream_tbEUljE_ZNSN_ISO_Lb1ESQ_SR_ST_SU_SY_EESZ_S10_S11_S12_S16_S17_S18_S1B_S1C_jS1D_jS1E_S1E_jjS1G_bEUljE0_EEESZ_S10_S11_S18_S1C_S1E_T6_T7_T9_mT8_S1G_bDpT10_ENKUlT_T0_E_clISt17integral_constantIbLb1EES1T_IbLb0EEEEDaS1P_S1Q_EUlS1P_E_NS1_11comp_targetILNS1_3genE8ELNS1_11target_archE1030ELNS1_3gpuE2ELNS1_3repE0EEENS1_30default_config_static_selectorELNS0_4arch9wavefront6targetE0EEEvS12_,comdat
	.globl	_ZN7rocprim17ROCPRIM_400000_NS6detail17trampoline_kernelINS0_13select_configILj256ELj13ELNS0_17block_load_methodE3ELS4_3ELS4_3ELNS0_20block_scan_algorithmE0ELj4294967295EEENS1_25partition_config_selectorILNS1_17partition_subalgoE4EjNS0_10empty_typeEbEEZZNS1_14partition_implILS8_4ELb0ES6_15HIP_vector_typeIjLj2EENS0_17counting_iteratorIjlEEPS9_SG_NS0_5tupleIJPjSI_NS0_16reverse_iteratorISI_EEEEENSH_IJSG_SG_SG_EEES9_SI_JZNS1_25segmented_radix_sort_implINS0_14default_configELb1EPKiPiPKlPlN2at6native12_GLOBAL__N_18offset_tEEE10hipError_tPvRmT1_PNSt15iterator_traitsIS12_E10value_typeET2_T3_PNS13_IS18_E10value_typeET4_jRbjT5_S1E_jjP12ihipStream_tbEUljE_ZNSN_ISO_Lb1ESQ_SR_ST_SU_SY_EESZ_S10_S11_S12_S16_S17_S18_S1B_S1C_jS1D_jS1E_S1E_jjS1G_bEUljE0_EEESZ_S10_S11_S18_S1C_S1E_T6_T7_T9_mT8_S1G_bDpT10_ENKUlT_T0_E_clISt17integral_constantIbLb1EES1T_IbLb0EEEEDaS1P_S1Q_EUlS1P_E_NS1_11comp_targetILNS1_3genE8ELNS1_11target_archE1030ELNS1_3gpuE2ELNS1_3repE0EEENS1_30default_config_static_selectorELNS0_4arch9wavefront6targetE0EEEvS12_ ; -- Begin function _ZN7rocprim17ROCPRIM_400000_NS6detail17trampoline_kernelINS0_13select_configILj256ELj13ELNS0_17block_load_methodE3ELS4_3ELS4_3ELNS0_20block_scan_algorithmE0ELj4294967295EEENS1_25partition_config_selectorILNS1_17partition_subalgoE4EjNS0_10empty_typeEbEEZZNS1_14partition_implILS8_4ELb0ES6_15HIP_vector_typeIjLj2EENS0_17counting_iteratorIjlEEPS9_SG_NS0_5tupleIJPjSI_NS0_16reverse_iteratorISI_EEEEENSH_IJSG_SG_SG_EEES9_SI_JZNS1_25segmented_radix_sort_implINS0_14default_configELb1EPKiPiPKlPlN2at6native12_GLOBAL__N_18offset_tEEE10hipError_tPvRmT1_PNSt15iterator_traitsIS12_E10value_typeET2_T3_PNS13_IS18_E10value_typeET4_jRbjT5_S1E_jjP12ihipStream_tbEUljE_ZNSN_ISO_Lb1ESQ_SR_ST_SU_SY_EESZ_S10_S11_S12_S16_S17_S18_S1B_S1C_jS1D_jS1E_S1E_jjS1G_bEUljE0_EEESZ_S10_S11_S18_S1C_S1E_T6_T7_T9_mT8_S1G_bDpT10_ENKUlT_T0_E_clISt17integral_constantIbLb1EES1T_IbLb0EEEEDaS1P_S1Q_EUlS1P_E_NS1_11comp_targetILNS1_3genE8ELNS1_11target_archE1030ELNS1_3gpuE2ELNS1_3repE0EEENS1_30default_config_static_selectorELNS0_4arch9wavefront6targetE0EEEvS12_
	.p2align	8
	.type	_ZN7rocprim17ROCPRIM_400000_NS6detail17trampoline_kernelINS0_13select_configILj256ELj13ELNS0_17block_load_methodE3ELS4_3ELS4_3ELNS0_20block_scan_algorithmE0ELj4294967295EEENS1_25partition_config_selectorILNS1_17partition_subalgoE4EjNS0_10empty_typeEbEEZZNS1_14partition_implILS8_4ELb0ES6_15HIP_vector_typeIjLj2EENS0_17counting_iteratorIjlEEPS9_SG_NS0_5tupleIJPjSI_NS0_16reverse_iteratorISI_EEEEENSH_IJSG_SG_SG_EEES9_SI_JZNS1_25segmented_radix_sort_implINS0_14default_configELb1EPKiPiPKlPlN2at6native12_GLOBAL__N_18offset_tEEE10hipError_tPvRmT1_PNSt15iterator_traitsIS12_E10value_typeET2_T3_PNS13_IS18_E10value_typeET4_jRbjT5_S1E_jjP12ihipStream_tbEUljE_ZNSN_ISO_Lb1ESQ_SR_ST_SU_SY_EESZ_S10_S11_S12_S16_S17_S18_S1B_S1C_jS1D_jS1E_S1E_jjS1G_bEUljE0_EEESZ_S10_S11_S18_S1C_S1E_T6_T7_T9_mT8_S1G_bDpT10_ENKUlT_T0_E_clISt17integral_constantIbLb1EES1T_IbLb0EEEEDaS1P_S1Q_EUlS1P_E_NS1_11comp_targetILNS1_3genE8ELNS1_11target_archE1030ELNS1_3gpuE2ELNS1_3repE0EEENS1_30default_config_static_selectorELNS0_4arch9wavefront6targetE0EEEvS12_,@function
_ZN7rocprim17ROCPRIM_400000_NS6detail17trampoline_kernelINS0_13select_configILj256ELj13ELNS0_17block_load_methodE3ELS4_3ELS4_3ELNS0_20block_scan_algorithmE0ELj4294967295EEENS1_25partition_config_selectorILNS1_17partition_subalgoE4EjNS0_10empty_typeEbEEZZNS1_14partition_implILS8_4ELb0ES6_15HIP_vector_typeIjLj2EENS0_17counting_iteratorIjlEEPS9_SG_NS0_5tupleIJPjSI_NS0_16reverse_iteratorISI_EEEEENSH_IJSG_SG_SG_EEES9_SI_JZNS1_25segmented_radix_sort_implINS0_14default_configELb1EPKiPiPKlPlN2at6native12_GLOBAL__N_18offset_tEEE10hipError_tPvRmT1_PNSt15iterator_traitsIS12_E10value_typeET2_T3_PNS13_IS18_E10value_typeET4_jRbjT5_S1E_jjP12ihipStream_tbEUljE_ZNSN_ISO_Lb1ESQ_SR_ST_SU_SY_EESZ_S10_S11_S12_S16_S17_S18_S1B_S1C_jS1D_jS1E_S1E_jjS1G_bEUljE0_EEESZ_S10_S11_S18_S1C_S1E_T6_T7_T9_mT8_S1G_bDpT10_ENKUlT_T0_E_clISt17integral_constantIbLb1EES1T_IbLb0EEEEDaS1P_S1Q_EUlS1P_E_NS1_11comp_targetILNS1_3genE8ELNS1_11target_archE1030ELNS1_3gpuE2ELNS1_3repE0EEENS1_30default_config_static_selectorELNS0_4arch9wavefront6targetE0EEEvS12_: ; @_ZN7rocprim17ROCPRIM_400000_NS6detail17trampoline_kernelINS0_13select_configILj256ELj13ELNS0_17block_load_methodE3ELS4_3ELS4_3ELNS0_20block_scan_algorithmE0ELj4294967295EEENS1_25partition_config_selectorILNS1_17partition_subalgoE4EjNS0_10empty_typeEbEEZZNS1_14partition_implILS8_4ELb0ES6_15HIP_vector_typeIjLj2EENS0_17counting_iteratorIjlEEPS9_SG_NS0_5tupleIJPjSI_NS0_16reverse_iteratorISI_EEEEENSH_IJSG_SG_SG_EEES9_SI_JZNS1_25segmented_radix_sort_implINS0_14default_configELb1EPKiPiPKlPlN2at6native12_GLOBAL__N_18offset_tEEE10hipError_tPvRmT1_PNSt15iterator_traitsIS12_E10value_typeET2_T3_PNS13_IS18_E10value_typeET4_jRbjT5_S1E_jjP12ihipStream_tbEUljE_ZNSN_ISO_Lb1ESQ_SR_ST_SU_SY_EESZ_S10_S11_S12_S16_S17_S18_S1B_S1C_jS1D_jS1E_S1E_jjS1G_bEUljE0_EEESZ_S10_S11_S18_S1C_S1E_T6_T7_T9_mT8_S1G_bDpT10_ENKUlT_T0_E_clISt17integral_constantIbLb1EES1T_IbLb0EEEEDaS1P_S1Q_EUlS1P_E_NS1_11comp_targetILNS1_3genE8ELNS1_11target_archE1030ELNS1_3gpuE2ELNS1_3repE0EEENS1_30default_config_static_selectorELNS0_4arch9wavefront6targetE0EEEvS12_
; %bb.0:
	s_endpgm
	.section	.rodata,"a",@progbits
	.p2align	6, 0x0
	.amdhsa_kernel _ZN7rocprim17ROCPRIM_400000_NS6detail17trampoline_kernelINS0_13select_configILj256ELj13ELNS0_17block_load_methodE3ELS4_3ELS4_3ELNS0_20block_scan_algorithmE0ELj4294967295EEENS1_25partition_config_selectorILNS1_17partition_subalgoE4EjNS0_10empty_typeEbEEZZNS1_14partition_implILS8_4ELb0ES6_15HIP_vector_typeIjLj2EENS0_17counting_iteratorIjlEEPS9_SG_NS0_5tupleIJPjSI_NS0_16reverse_iteratorISI_EEEEENSH_IJSG_SG_SG_EEES9_SI_JZNS1_25segmented_radix_sort_implINS0_14default_configELb1EPKiPiPKlPlN2at6native12_GLOBAL__N_18offset_tEEE10hipError_tPvRmT1_PNSt15iterator_traitsIS12_E10value_typeET2_T3_PNS13_IS18_E10value_typeET4_jRbjT5_S1E_jjP12ihipStream_tbEUljE_ZNSN_ISO_Lb1ESQ_SR_ST_SU_SY_EESZ_S10_S11_S12_S16_S17_S18_S1B_S1C_jS1D_jS1E_S1E_jjS1G_bEUljE0_EEESZ_S10_S11_S18_S1C_S1E_T6_T7_T9_mT8_S1G_bDpT10_ENKUlT_T0_E_clISt17integral_constantIbLb1EES1T_IbLb0EEEEDaS1P_S1Q_EUlS1P_E_NS1_11comp_targetILNS1_3genE8ELNS1_11target_archE1030ELNS1_3gpuE2ELNS1_3repE0EEENS1_30default_config_static_selectorELNS0_4arch9wavefront6targetE0EEEvS12_
		.amdhsa_group_segment_fixed_size 0
		.amdhsa_private_segment_fixed_size 0
		.amdhsa_kernarg_size 176
		.amdhsa_user_sgpr_count 6
		.amdhsa_user_sgpr_private_segment_buffer 1
		.amdhsa_user_sgpr_dispatch_ptr 0
		.amdhsa_user_sgpr_queue_ptr 0
		.amdhsa_user_sgpr_kernarg_segment_ptr 1
		.amdhsa_user_sgpr_dispatch_id 0
		.amdhsa_user_sgpr_flat_scratch_init 0
		.amdhsa_user_sgpr_private_segment_size 0
		.amdhsa_wavefront_size32 1
		.amdhsa_uses_dynamic_stack 0
		.amdhsa_system_sgpr_private_segment_wavefront_offset 0
		.amdhsa_system_sgpr_workgroup_id_x 1
		.amdhsa_system_sgpr_workgroup_id_y 0
		.amdhsa_system_sgpr_workgroup_id_z 0
		.amdhsa_system_sgpr_workgroup_info 0
		.amdhsa_system_vgpr_workitem_id 0
		.amdhsa_next_free_vgpr 1
		.amdhsa_next_free_sgpr 1
		.amdhsa_reserve_vcc 0
		.amdhsa_reserve_flat_scratch 0
		.amdhsa_float_round_mode_32 0
		.amdhsa_float_round_mode_16_64 0
		.amdhsa_float_denorm_mode_32 3
		.amdhsa_float_denorm_mode_16_64 3
		.amdhsa_dx10_clamp 1
		.amdhsa_ieee_mode 1
		.amdhsa_fp16_overflow 0
		.amdhsa_workgroup_processor_mode 1
		.amdhsa_memory_ordered 1
		.amdhsa_forward_progress 1
		.amdhsa_shared_vgpr_count 0
		.amdhsa_exception_fp_ieee_invalid_op 0
		.amdhsa_exception_fp_denorm_src 0
		.amdhsa_exception_fp_ieee_div_zero 0
		.amdhsa_exception_fp_ieee_overflow 0
		.amdhsa_exception_fp_ieee_underflow 0
		.amdhsa_exception_fp_ieee_inexact 0
		.amdhsa_exception_int_div_zero 0
	.end_amdhsa_kernel
	.section	.text._ZN7rocprim17ROCPRIM_400000_NS6detail17trampoline_kernelINS0_13select_configILj256ELj13ELNS0_17block_load_methodE3ELS4_3ELS4_3ELNS0_20block_scan_algorithmE0ELj4294967295EEENS1_25partition_config_selectorILNS1_17partition_subalgoE4EjNS0_10empty_typeEbEEZZNS1_14partition_implILS8_4ELb0ES6_15HIP_vector_typeIjLj2EENS0_17counting_iteratorIjlEEPS9_SG_NS0_5tupleIJPjSI_NS0_16reverse_iteratorISI_EEEEENSH_IJSG_SG_SG_EEES9_SI_JZNS1_25segmented_radix_sort_implINS0_14default_configELb1EPKiPiPKlPlN2at6native12_GLOBAL__N_18offset_tEEE10hipError_tPvRmT1_PNSt15iterator_traitsIS12_E10value_typeET2_T3_PNS13_IS18_E10value_typeET4_jRbjT5_S1E_jjP12ihipStream_tbEUljE_ZNSN_ISO_Lb1ESQ_SR_ST_SU_SY_EESZ_S10_S11_S12_S16_S17_S18_S1B_S1C_jS1D_jS1E_S1E_jjS1G_bEUljE0_EEESZ_S10_S11_S18_S1C_S1E_T6_T7_T9_mT8_S1G_bDpT10_ENKUlT_T0_E_clISt17integral_constantIbLb1EES1T_IbLb0EEEEDaS1P_S1Q_EUlS1P_E_NS1_11comp_targetILNS1_3genE8ELNS1_11target_archE1030ELNS1_3gpuE2ELNS1_3repE0EEENS1_30default_config_static_selectorELNS0_4arch9wavefront6targetE0EEEvS12_,"axG",@progbits,_ZN7rocprim17ROCPRIM_400000_NS6detail17trampoline_kernelINS0_13select_configILj256ELj13ELNS0_17block_load_methodE3ELS4_3ELS4_3ELNS0_20block_scan_algorithmE0ELj4294967295EEENS1_25partition_config_selectorILNS1_17partition_subalgoE4EjNS0_10empty_typeEbEEZZNS1_14partition_implILS8_4ELb0ES6_15HIP_vector_typeIjLj2EENS0_17counting_iteratorIjlEEPS9_SG_NS0_5tupleIJPjSI_NS0_16reverse_iteratorISI_EEEEENSH_IJSG_SG_SG_EEES9_SI_JZNS1_25segmented_radix_sort_implINS0_14default_configELb1EPKiPiPKlPlN2at6native12_GLOBAL__N_18offset_tEEE10hipError_tPvRmT1_PNSt15iterator_traitsIS12_E10value_typeET2_T3_PNS13_IS18_E10value_typeET4_jRbjT5_S1E_jjP12ihipStream_tbEUljE_ZNSN_ISO_Lb1ESQ_SR_ST_SU_SY_EESZ_S10_S11_S12_S16_S17_S18_S1B_S1C_jS1D_jS1E_S1E_jjS1G_bEUljE0_EEESZ_S10_S11_S18_S1C_S1E_T6_T7_T9_mT8_S1G_bDpT10_ENKUlT_T0_E_clISt17integral_constantIbLb1EES1T_IbLb0EEEEDaS1P_S1Q_EUlS1P_E_NS1_11comp_targetILNS1_3genE8ELNS1_11target_archE1030ELNS1_3gpuE2ELNS1_3repE0EEENS1_30default_config_static_selectorELNS0_4arch9wavefront6targetE0EEEvS12_,comdat
.Lfunc_end452:
	.size	_ZN7rocprim17ROCPRIM_400000_NS6detail17trampoline_kernelINS0_13select_configILj256ELj13ELNS0_17block_load_methodE3ELS4_3ELS4_3ELNS0_20block_scan_algorithmE0ELj4294967295EEENS1_25partition_config_selectorILNS1_17partition_subalgoE4EjNS0_10empty_typeEbEEZZNS1_14partition_implILS8_4ELb0ES6_15HIP_vector_typeIjLj2EENS0_17counting_iteratorIjlEEPS9_SG_NS0_5tupleIJPjSI_NS0_16reverse_iteratorISI_EEEEENSH_IJSG_SG_SG_EEES9_SI_JZNS1_25segmented_radix_sort_implINS0_14default_configELb1EPKiPiPKlPlN2at6native12_GLOBAL__N_18offset_tEEE10hipError_tPvRmT1_PNSt15iterator_traitsIS12_E10value_typeET2_T3_PNS13_IS18_E10value_typeET4_jRbjT5_S1E_jjP12ihipStream_tbEUljE_ZNSN_ISO_Lb1ESQ_SR_ST_SU_SY_EESZ_S10_S11_S12_S16_S17_S18_S1B_S1C_jS1D_jS1E_S1E_jjS1G_bEUljE0_EEESZ_S10_S11_S18_S1C_S1E_T6_T7_T9_mT8_S1G_bDpT10_ENKUlT_T0_E_clISt17integral_constantIbLb1EES1T_IbLb0EEEEDaS1P_S1Q_EUlS1P_E_NS1_11comp_targetILNS1_3genE8ELNS1_11target_archE1030ELNS1_3gpuE2ELNS1_3repE0EEENS1_30default_config_static_selectorELNS0_4arch9wavefront6targetE0EEEvS12_, .Lfunc_end452-_ZN7rocprim17ROCPRIM_400000_NS6detail17trampoline_kernelINS0_13select_configILj256ELj13ELNS0_17block_load_methodE3ELS4_3ELS4_3ELNS0_20block_scan_algorithmE0ELj4294967295EEENS1_25partition_config_selectorILNS1_17partition_subalgoE4EjNS0_10empty_typeEbEEZZNS1_14partition_implILS8_4ELb0ES6_15HIP_vector_typeIjLj2EENS0_17counting_iteratorIjlEEPS9_SG_NS0_5tupleIJPjSI_NS0_16reverse_iteratorISI_EEEEENSH_IJSG_SG_SG_EEES9_SI_JZNS1_25segmented_radix_sort_implINS0_14default_configELb1EPKiPiPKlPlN2at6native12_GLOBAL__N_18offset_tEEE10hipError_tPvRmT1_PNSt15iterator_traitsIS12_E10value_typeET2_T3_PNS13_IS18_E10value_typeET4_jRbjT5_S1E_jjP12ihipStream_tbEUljE_ZNSN_ISO_Lb1ESQ_SR_ST_SU_SY_EESZ_S10_S11_S12_S16_S17_S18_S1B_S1C_jS1D_jS1E_S1E_jjS1G_bEUljE0_EEESZ_S10_S11_S18_S1C_S1E_T6_T7_T9_mT8_S1G_bDpT10_ENKUlT_T0_E_clISt17integral_constantIbLb1EES1T_IbLb0EEEEDaS1P_S1Q_EUlS1P_E_NS1_11comp_targetILNS1_3genE8ELNS1_11target_archE1030ELNS1_3gpuE2ELNS1_3repE0EEENS1_30default_config_static_selectorELNS0_4arch9wavefront6targetE0EEEvS12_
                                        ; -- End function
	.set _ZN7rocprim17ROCPRIM_400000_NS6detail17trampoline_kernelINS0_13select_configILj256ELj13ELNS0_17block_load_methodE3ELS4_3ELS4_3ELNS0_20block_scan_algorithmE0ELj4294967295EEENS1_25partition_config_selectorILNS1_17partition_subalgoE4EjNS0_10empty_typeEbEEZZNS1_14partition_implILS8_4ELb0ES6_15HIP_vector_typeIjLj2EENS0_17counting_iteratorIjlEEPS9_SG_NS0_5tupleIJPjSI_NS0_16reverse_iteratorISI_EEEEENSH_IJSG_SG_SG_EEES9_SI_JZNS1_25segmented_radix_sort_implINS0_14default_configELb1EPKiPiPKlPlN2at6native12_GLOBAL__N_18offset_tEEE10hipError_tPvRmT1_PNSt15iterator_traitsIS12_E10value_typeET2_T3_PNS13_IS18_E10value_typeET4_jRbjT5_S1E_jjP12ihipStream_tbEUljE_ZNSN_ISO_Lb1ESQ_SR_ST_SU_SY_EESZ_S10_S11_S12_S16_S17_S18_S1B_S1C_jS1D_jS1E_S1E_jjS1G_bEUljE0_EEESZ_S10_S11_S18_S1C_S1E_T6_T7_T9_mT8_S1G_bDpT10_ENKUlT_T0_E_clISt17integral_constantIbLb1EES1T_IbLb0EEEEDaS1P_S1Q_EUlS1P_E_NS1_11comp_targetILNS1_3genE8ELNS1_11target_archE1030ELNS1_3gpuE2ELNS1_3repE0EEENS1_30default_config_static_selectorELNS0_4arch9wavefront6targetE0EEEvS12_.num_vgpr, 0
	.set _ZN7rocprim17ROCPRIM_400000_NS6detail17trampoline_kernelINS0_13select_configILj256ELj13ELNS0_17block_load_methodE3ELS4_3ELS4_3ELNS0_20block_scan_algorithmE0ELj4294967295EEENS1_25partition_config_selectorILNS1_17partition_subalgoE4EjNS0_10empty_typeEbEEZZNS1_14partition_implILS8_4ELb0ES6_15HIP_vector_typeIjLj2EENS0_17counting_iteratorIjlEEPS9_SG_NS0_5tupleIJPjSI_NS0_16reverse_iteratorISI_EEEEENSH_IJSG_SG_SG_EEES9_SI_JZNS1_25segmented_radix_sort_implINS0_14default_configELb1EPKiPiPKlPlN2at6native12_GLOBAL__N_18offset_tEEE10hipError_tPvRmT1_PNSt15iterator_traitsIS12_E10value_typeET2_T3_PNS13_IS18_E10value_typeET4_jRbjT5_S1E_jjP12ihipStream_tbEUljE_ZNSN_ISO_Lb1ESQ_SR_ST_SU_SY_EESZ_S10_S11_S12_S16_S17_S18_S1B_S1C_jS1D_jS1E_S1E_jjS1G_bEUljE0_EEESZ_S10_S11_S18_S1C_S1E_T6_T7_T9_mT8_S1G_bDpT10_ENKUlT_T0_E_clISt17integral_constantIbLb1EES1T_IbLb0EEEEDaS1P_S1Q_EUlS1P_E_NS1_11comp_targetILNS1_3genE8ELNS1_11target_archE1030ELNS1_3gpuE2ELNS1_3repE0EEENS1_30default_config_static_selectorELNS0_4arch9wavefront6targetE0EEEvS12_.num_agpr, 0
	.set _ZN7rocprim17ROCPRIM_400000_NS6detail17trampoline_kernelINS0_13select_configILj256ELj13ELNS0_17block_load_methodE3ELS4_3ELS4_3ELNS0_20block_scan_algorithmE0ELj4294967295EEENS1_25partition_config_selectorILNS1_17partition_subalgoE4EjNS0_10empty_typeEbEEZZNS1_14partition_implILS8_4ELb0ES6_15HIP_vector_typeIjLj2EENS0_17counting_iteratorIjlEEPS9_SG_NS0_5tupleIJPjSI_NS0_16reverse_iteratorISI_EEEEENSH_IJSG_SG_SG_EEES9_SI_JZNS1_25segmented_radix_sort_implINS0_14default_configELb1EPKiPiPKlPlN2at6native12_GLOBAL__N_18offset_tEEE10hipError_tPvRmT1_PNSt15iterator_traitsIS12_E10value_typeET2_T3_PNS13_IS18_E10value_typeET4_jRbjT5_S1E_jjP12ihipStream_tbEUljE_ZNSN_ISO_Lb1ESQ_SR_ST_SU_SY_EESZ_S10_S11_S12_S16_S17_S18_S1B_S1C_jS1D_jS1E_S1E_jjS1G_bEUljE0_EEESZ_S10_S11_S18_S1C_S1E_T6_T7_T9_mT8_S1G_bDpT10_ENKUlT_T0_E_clISt17integral_constantIbLb1EES1T_IbLb0EEEEDaS1P_S1Q_EUlS1P_E_NS1_11comp_targetILNS1_3genE8ELNS1_11target_archE1030ELNS1_3gpuE2ELNS1_3repE0EEENS1_30default_config_static_selectorELNS0_4arch9wavefront6targetE0EEEvS12_.numbered_sgpr, 0
	.set _ZN7rocprim17ROCPRIM_400000_NS6detail17trampoline_kernelINS0_13select_configILj256ELj13ELNS0_17block_load_methodE3ELS4_3ELS4_3ELNS0_20block_scan_algorithmE0ELj4294967295EEENS1_25partition_config_selectorILNS1_17partition_subalgoE4EjNS0_10empty_typeEbEEZZNS1_14partition_implILS8_4ELb0ES6_15HIP_vector_typeIjLj2EENS0_17counting_iteratorIjlEEPS9_SG_NS0_5tupleIJPjSI_NS0_16reverse_iteratorISI_EEEEENSH_IJSG_SG_SG_EEES9_SI_JZNS1_25segmented_radix_sort_implINS0_14default_configELb1EPKiPiPKlPlN2at6native12_GLOBAL__N_18offset_tEEE10hipError_tPvRmT1_PNSt15iterator_traitsIS12_E10value_typeET2_T3_PNS13_IS18_E10value_typeET4_jRbjT5_S1E_jjP12ihipStream_tbEUljE_ZNSN_ISO_Lb1ESQ_SR_ST_SU_SY_EESZ_S10_S11_S12_S16_S17_S18_S1B_S1C_jS1D_jS1E_S1E_jjS1G_bEUljE0_EEESZ_S10_S11_S18_S1C_S1E_T6_T7_T9_mT8_S1G_bDpT10_ENKUlT_T0_E_clISt17integral_constantIbLb1EES1T_IbLb0EEEEDaS1P_S1Q_EUlS1P_E_NS1_11comp_targetILNS1_3genE8ELNS1_11target_archE1030ELNS1_3gpuE2ELNS1_3repE0EEENS1_30default_config_static_selectorELNS0_4arch9wavefront6targetE0EEEvS12_.num_named_barrier, 0
	.set _ZN7rocprim17ROCPRIM_400000_NS6detail17trampoline_kernelINS0_13select_configILj256ELj13ELNS0_17block_load_methodE3ELS4_3ELS4_3ELNS0_20block_scan_algorithmE0ELj4294967295EEENS1_25partition_config_selectorILNS1_17partition_subalgoE4EjNS0_10empty_typeEbEEZZNS1_14partition_implILS8_4ELb0ES6_15HIP_vector_typeIjLj2EENS0_17counting_iteratorIjlEEPS9_SG_NS0_5tupleIJPjSI_NS0_16reverse_iteratorISI_EEEEENSH_IJSG_SG_SG_EEES9_SI_JZNS1_25segmented_radix_sort_implINS0_14default_configELb1EPKiPiPKlPlN2at6native12_GLOBAL__N_18offset_tEEE10hipError_tPvRmT1_PNSt15iterator_traitsIS12_E10value_typeET2_T3_PNS13_IS18_E10value_typeET4_jRbjT5_S1E_jjP12ihipStream_tbEUljE_ZNSN_ISO_Lb1ESQ_SR_ST_SU_SY_EESZ_S10_S11_S12_S16_S17_S18_S1B_S1C_jS1D_jS1E_S1E_jjS1G_bEUljE0_EEESZ_S10_S11_S18_S1C_S1E_T6_T7_T9_mT8_S1G_bDpT10_ENKUlT_T0_E_clISt17integral_constantIbLb1EES1T_IbLb0EEEEDaS1P_S1Q_EUlS1P_E_NS1_11comp_targetILNS1_3genE8ELNS1_11target_archE1030ELNS1_3gpuE2ELNS1_3repE0EEENS1_30default_config_static_selectorELNS0_4arch9wavefront6targetE0EEEvS12_.private_seg_size, 0
	.set _ZN7rocprim17ROCPRIM_400000_NS6detail17trampoline_kernelINS0_13select_configILj256ELj13ELNS0_17block_load_methodE3ELS4_3ELS4_3ELNS0_20block_scan_algorithmE0ELj4294967295EEENS1_25partition_config_selectorILNS1_17partition_subalgoE4EjNS0_10empty_typeEbEEZZNS1_14partition_implILS8_4ELb0ES6_15HIP_vector_typeIjLj2EENS0_17counting_iteratorIjlEEPS9_SG_NS0_5tupleIJPjSI_NS0_16reverse_iteratorISI_EEEEENSH_IJSG_SG_SG_EEES9_SI_JZNS1_25segmented_radix_sort_implINS0_14default_configELb1EPKiPiPKlPlN2at6native12_GLOBAL__N_18offset_tEEE10hipError_tPvRmT1_PNSt15iterator_traitsIS12_E10value_typeET2_T3_PNS13_IS18_E10value_typeET4_jRbjT5_S1E_jjP12ihipStream_tbEUljE_ZNSN_ISO_Lb1ESQ_SR_ST_SU_SY_EESZ_S10_S11_S12_S16_S17_S18_S1B_S1C_jS1D_jS1E_S1E_jjS1G_bEUljE0_EEESZ_S10_S11_S18_S1C_S1E_T6_T7_T9_mT8_S1G_bDpT10_ENKUlT_T0_E_clISt17integral_constantIbLb1EES1T_IbLb0EEEEDaS1P_S1Q_EUlS1P_E_NS1_11comp_targetILNS1_3genE8ELNS1_11target_archE1030ELNS1_3gpuE2ELNS1_3repE0EEENS1_30default_config_static_selectorELNS0_4arch9wavefront6targetE0EEEvS12_.uses_vcc, 0
	.set _ZN7rocprim17ROCPRIM_400000_NS6detail17trampoline_kernelINS0_13select_configILj256ELj13ELNS0_17block_load_methodE3ELS4_3ELS4_3ELNS0_20block_scan_algorithmE0ELj4294967295EEENS1_25partition_config_selectorILNS1_17partition_subalgoE4EjNS0_10empty_typeEbEEZZNS1_14partition_implILS8_4ELb0ES6_15HIP_vector_typeIjLj2EENS0_17counting_iteratorIjlEEPS9_SG_NS0_5tupleIJPjSI_NS0_16reverse_iteratorISI_EEEEENSH_IJSG_SG_SG_EEES9_SI_JZNS1_25segmented_radix_sort_implINS0_14default_configELb1EPKiPiPKlPlN2at6native12_GLOBAL__N_18offset_tEEE10hipError_tPvRmT1_PNSt15iterator_traitsIS12_E10value_typeET2_T3_PNS13_IS18_E10value_typeET4_jRbjT5_S1E_jjP12ihipStream_tbEUljE_ZNSN_ISO_Lb1ESQ_SR_ST_SU_SY_EESZ_S10_S11_S12_S16_S17_S18_S1B_S1C_jS1D_jS1E_S1E_jjS1G_bEUljE0_EEESZ_S10_S11_S18_S1C_S1E_T6_T7_T9_mT8_S1G_bDpT10_ENKUlT_T0_E_clISt17integral_constantIbLb1EES1T_IbLb0EEEEDaS1P_S1Q_EUlS1P_E_NS1_11comp_targetILNS1_3genE8ELNS1_11target_archE1030ELNS1_3gpuE2ELNS1_3repE0EEENS1_30default_config_static_selectorELNS0_4arch9wavefront6targetE0EEEvS12_.uses_flat_scratch, 0
	.set _ZN7rocprim17ROCPRIM_400000_NS6detail17trampoline_kernelINS0_13select_configILj256ELj13ELNS0_17block_load_methodE3ELS4_3ELS4_3ELNS0_20block_scan_algorithmE0ELj4294967295EEENS1_25partition_config_selectorILNS1_17partition_subalgoE4EjNS0_10empty_typeEbEEZZNS1_14partition_implILS8_4ELb0ES6_15HIP_vector_typeIjLj2EENS0_17counting_iteratorIjlEEPS9_SG_NS0_5tupleIJPjSI_NS0_16reverse_iteratorISI_EEEEENSH_IJSG_SG_SG_EEES9_SI_JZNS1_25segmented_radix_sort_implINS0_14default_configELb1EPKiPiPKlPlN2at6native12_GLOBAL__N_18offset_tEEE10hipError_tPvRmT1_PNSt15iterator_traitsIS12_E10value_typeET2_T3_PNS13_IS18_E10value_typeET4_jRbjT5_S1E_jjP12ihipStream_tbEUljE_ZNSN_ISO_Lb1ESQ_SR_ST_SU_SY_EESZ_S10_S11_S12_S16_S17_S18_S1B_S1C_jS1D_jS1E_S1E_jjS1G_bEUljE0_EEESZ_S10_S11_S18_S1C_S1E_T6_T7_T9_mT8_S1G_bDpT10_ENKUlT_T0_E_clISt17integral_constantIbLb1EES1T_IbLb0EEEEDaS1P_S1Q_EUlS1P_E_NS1_11comp_targetILNS1_3genE8ELNS1_11target_archE1030ELNS1_3gpuE2ELNS1_3repE0EEENS1_30default_config_static_selectorELNS0_4arch9wavefront6targetE0EEEvS12_.has_dyn_sized_stack, 0
	.set _ZN7rocprim17ROCPRIM_400000_NS6detail17trampoline_kernelINS0_13select_configILj256ELj13ELNS0_17block_load_methodE3ELS4_3ELS4_3ELNS0_20block_scan_algorithmE0ELj4294967295EEENS1_25partition_config_selectorILNS1_17partition_subalgoE4EjNS0_10empty_typeEbEEZZNS1_14partition_implILS8_4ELb0ES6_15HIP_vector_typeIjLj2EENS0_17counting_iteratorIjlEEPS9_SG_NS0_5tupleIJPjSI_NS0_16reverse_iteratorISI_EEEEENSH_IJSG_SG_SG_EEES9_SI_JZNS1_25segmented_radix_sort_implINS0_14default_configELb1EPKiPiPKlPlN2at6native12_GLOBAL__N_18offset_tEEE10hipError_tPvRmT1_PNSt15iterator_traitsIS12_E10value_typeET2_T3_PNS13_IS18_E10value_typeET4_jRbjT5_S1E_jjP12ihipStream_tbEUljE_ZNSN_ISO_Lb1ESQ_SR_ST_SU_SY_EESZ_S10_S11_S12_S16_S17_S18_S1B_S1C_jS1D_jS1E_S1E_jjS1G_bEUljE0_EEESZ_S10_S11_S18_S1C_S1E_T6_T7_T9_mT8_S1G_bDpT10_ENKUlT_T0_E_clISt17integral_constantIbLb1EES1T_IbLb0EEEEDaS1P_S1Q_EUlS1P_E_NS1_11comp_targetILNS1_3genE8ELNS1_11target_archE1030ELNS1_3gpuE2ELNS1_3repE0EEENS1_30default_config_static_selectorELNS0_4arch9wavefront6targetE0EEEvS12_.has_recursion, 0
	.set _ZN7rocprim17ROCPRIM_400000_NS6detail17trampoline_kernelINS0_13select_configILj256ELj13ELNS0_17block_load_methodE3ELS4_3ELS4_3ELNS0_20block_scan_algorithmE0ELj4294967295EEENS1_25partition_config_selectorILNS1_17partition_subalgoE4EjNS0_10empty_typeEbEEZZNS1_14partition_implILS8_4ELb0ES6_15HIP_vector_typeIjLj2EENS0_17counting_iteratorIjlEEPS9_SG_NS0_5tupleIJPjSI_NS0_16reverse_iteratorISI_EEEEENSH_IJSG_SG_SG_EEES9_SI_JZNS1_25segmented_radix_sort_implINS0_14default_configELb1EPKiPiPKlPlN2at6native12_GLOBAL__N_18offset_tEEE10hipError_tPvRmT1_PNSt15iterator_traitsIS12_E10value_typeET2_T3_PNS13_IS18_E10value_typeET4_jRbjT5_S1E_jjP12ihipStream_tbEUljE_ZNSN_ISO_Lb1ESQ_SR_ST_SU_SY_EESZ_S10_S11_S12_S16_S17_S18_S1B_S1C_jS1D_jS1E_S1E_jjS1G_bEUljE0_EEESZ_S10_S11_S18_S1C_S1E_T6_T7_T9_mT8_S1G_bDpT10_ENKUlT_T0_E_clISt17integral_constantIbLb1EES1T_IbLb0EEEEDaS1P_S1Q_EUlS1P_E_NS1_11comp_targetILNS1_3genE8ELNS1_11target_archE1030ELNS1_3gpuE2ELNS1_3repE0EEENS1_30default_config_static_selectorELNS0_4arch9wavefront6targetE0EEEvS12_.has_indirect_call, 0
	.section	.AMDGPU.csdata,"",@progbits
; Kernel info:
; codeLenInByte = 4
; TotalNumSgprs: 0
; NumVgprs: 0
; ScratchSize: 0
; MemoryBound: 0
; FloatMode: 240
; IeeeMode: 1
; LDSByteSize: 0 bytes/workgroup (compile time only)
; SGPRBlocks: 0
; VGPRBlocks: 0
; NumSGPRsForWavesPerEU: 1
; NumVGPRsForWavesPerEU: 1
; Occupancy: 16
; WaveLimiterHint : 0
; COMPUTE_PGM_RSRC2:SCRATCH_EN: 0
; COMPUTE_PGM_RSRC2:USER_SGPR: 6
; COMPUTE_PGM_RSRC2:TRAP_HANDLER: 0
; COMPUTE_PGM_RSRC2:TGID_X_EN: 1
; COMPUTE_PGM_RSRC2:TGID_Y_EN: 0
; COMPUTE_PGM_RSRC2:TGID_Z_EN: 0
; COMPUTE_PGM_RSRC2:TIDIG_COMP_CNT: 0
	.section	.text._ZN7rocprim17ROCPRIM_400000_NS6detail17trampoline_kernelINS0_13select_configILj256ELj13ELNS0_17block_load_methodE3ELS4_3ELS4_3ELNS0_20block_scan_algorithmE0ELj4294967295EEENS1_25partition_config_selectorILNS1_17partition_subalgoE4EjNS0_10empty_typeEbEEZZNS1_14partition_implILS8_4ELb0ES6_15HIP_vector_typeIjLj2EENS0_17counting_iteratorIjlEEPS9_SG_NS0_5tupleIJPjSI_NS0_16reverse_iteratorISI_EEEEENSH_IJSG_SG_SG_EEES9_SI_JZNS1_25segmented_radix_sort_implINS0_14default_configELb1EPKiPiPKlPlN2at6native12_GLOBAL__N_18offset_tEEE10hipError_tPvRmT1_PNSt15iterator_traitsIS12_E10value_typeET2_T3_PNS13_IS18_E10value_typeET4_jRbjT5_S1E_jjP12ihipStream_tbEUljE_ZNSN_ISO_Lb1ESQ_SR_ST_SU_SY_EESZ_S10_S11_S12_S16_S17_S18_S1B_S1C_jS1D_jS1E_S1E_jjS1G_bEUljE0_EEESZ_S10_S11_S18_S1C_S1E_T6_T7_T9_mT8_S1G_bDpT10_ENKUlT_T0_E_clISt17integral_constantIbLb0EES1T_IbLb1EEEEDaS1P_S1Q_EUlS1P_E_NS1_11comp_targetILNS1_3genE0ELNS1_11target_archE4294967295ELNS1_3gpuE0ELNS1_3repE0EEENS1_30default_config_static_selectorELNS0_4arch9wavefront6targetE0EEEvS12_,"axG",@progbits,_ZN7rocprim17ROCPRIM_400000_NS6detail17trampoline_kernelINS0_13select_configILj256ELj13ELNS0_17block_load_methodE3ELS4_3ELS4_3ELNS0_20block_scan_algorithmE0ELj4294967295EEENS1_25partition_config_selectorILNS1_17partition_subalgoE4EjNS0_10empty_typeEbEEZZNS1_14partition_implILS8_4ELb0ES6_15HIP_vector_typeIjLj2EENS0_17counting_iteratorIjlEEPS9_SG_NS0_5tupleIJPjSI_NS0_16reverse_iteratorISI_EEEEENSH_IJSG_SG_SG_EEES9_SI_JZNS1_25segmented_radix_sort_implINS0_14default_configELb1EPKiPiPKlPlN2at6native12_GLOBAL__N_18offset_tEEE10hipError_tPvRmT1_PNSt15iterator_traitsIS12_E10value_typeET2_T3_PNS13_IS18_E10value_typeET4_jRbjT5_S1E_jjP12ihipStream_tbEUljE_ZNSN_ISO_Lb1ESQ_SR_ST_SU_SY_EESZ_S10_S11_S12_S16_S17_S18_S1B_S1C_jS1D_jS1E_S1E_jjS1G_bEUljE0_EEESZ_S10_S11_S18_S1C_S1E_T6_T7_T9_mT8_S1G_bDpT10_ENKUlT_T0_E_clISt17integral_constantIbLb0EES1T_IbLb1EEEEDaS1P_S1Q_EUlS1P_E_NS1_11comp_targetILNS1_3genE0ELNS1_11target_archE4294967295ELNS1_3gpuE0ELNS1_3repE0EEENS1_30default_config_static_selectorELNS0_4arch9wavefront6targetE0EEEvS12_,comdat
	.globl	_ZN7rocprim17ROCPRIM_400000_NS6detail17trampoline_kernelINS0_13select_configILj256ELj13ELNS0_17block_load_methodE3ELS4_3ELS4_3ELNS0_20block_scan_algorithmE0ELj4294967295EEENS1_25partition_config_selectorILNS1_17partition_subalgoE4EjNS0_10empty_typeEbEEZZNS1_14partition_implILS8_4ELb0ES6_15HIP_vector_typeIjLj2EENS0_17counting_iteratorIjlEEPS9_SG_NS0_5tupleIJPjSI_NS0_16reverse_iteratorISI_EEEEENSH_IJSG_SG_SG_EEES9_SI_JZNS1_25segmented_radix_sort_implINS0_14default_configELb1EPKiPiPKlPlN2at6native12_GLOBAL__N_18offset_tEEE10hipError_tPvRmT1_PNSt15iterator_traitsIS12_E10value_typeET2_T3_PNS13_IS18_E10value_typeET4_jRbjT5_S1E_jjP12ihipStream_tbEUljE_ZNSN_ISO_Lb1ESQ_SR_ST_SU_SY_EESZ_S10_S11_S12_S16_S17_S18_S1B_S1C_jS1D_jS1E_S1E_jjS1G_bEUljE0_EEESZ_S10_S11_S18_S1C_S1E_T6_T7_T9_mT8_S1G_bDpT10_ENKUlT_T0_E_clISt17integral_constantIbLb0EES1T_IbLb1EEEEDaS1P_S1Q_EUlS1P_E_NS1_11comp_targetILNS1_3genE0ELNS1_11target_archE4294967295ELNS1_3gpuE0ELNS1_3repE0EEENS1_30default_config_static_selectorELNS0_4arch9wavefront6targetE0EEEvS12_ ; -- Begin function _ZN7rocprim17ROCPRIM_400000_NS6detail17trampoline_kernelINS0_13select_configILj256ELj13ELNS0_17block_load_methodE3ELS4_3ELS4_3ELNS0_20block_scan_algorithmE0ELj4294967295EEENS1_25partition_config_selectorILNS1_17partition_subalgoE4EjNS0_10empty_typeEbEEZZNS1_14partition_implILS8_4ELb0ES6_15HIP_vector_typeIjLj2EENS0_17counting_iteratorIjlEEPS9_SG_NS0_5tupleIJPjSI_NS0_16reverse_iteratorISI_EEEEENSH_IJSG_SG_SG_EEES9_SI_JZNS1_25segmented_radix_sort_implINS0_14default_configELb1EPKiPiPKlPlN2at6native12_GLOBAL__N_18offset_tEEE10hipError_tPvRmT1_PNSt15iterator_traitsIS12_E10value_typeET2_T3_PNS13_IS18_E10value_typeET4_jRbjT5_S1E_jjP12ihipStream_tbEUljE_ZNSN_ISO_Lb1ESQ_SR_ST_SU_SY_EESZ_S10_S11_S12_S16_S17_S18_S1B_S1C_jS1D_jS1E_S1E_jjS1G_bEUljE0_EEESZ_S10_S11_S18_S1C_S1E_T6_T7_T9_mT8_S1G_bDpT10_ENKUlT_T0_E_clISt17integral_constantIbLb0EES1T_IbLb1EEEEDaS1P_S1Q_EUlS1P_E_NS1_11comp_targetILNS1_3genE0ELNS1_11target_archE4294967295ELNS1_3gpuE0ELNS1_3repE0EEENS1_30default_config_static_selectorELNS0_4arch9wavefront6targetE0EEEvS12_
	.p2align	8
	.type	_ZN7rocprim17ROCPRIM_400000_NS6detail17trampoline_kernelINS0_13select_configILj256ELj13ELNS0_17block_load_methodE3ELS4_3ELS4_3ELNS0_20block_scan_algorithmE0ELj4294967295EEENS1_25partition_config_selectorILNS1_17partition_subalgoE4EjNS0_10empty_typeEbEEZZNS1_14partition_implILS8_4ELb0ES6_15HIP_vector_typeIjLj2EENS0_17counting_iteratorIjlEEPS9_SG_NS0_5tupleIJPjSI_NS0_16reverse_iteratorISI_EEEEENSH_IJSG_SG_SG_EEES9_SI_JZNS1_25segmented_radix_sort_implINS0_14default_configELb1EPKiPiPKlPlN2at6native12_GLOBAL__N_18offset_tEEE10hipError_tPvRmT1_PNSt15iterator_traitsIS12_E10value_typeET2_T3_PNS13_IS18_E10value_typeET4_jRbjT5_S1E_jjP12ihipStream_tbEUljE_ZNSN_ISO_Lb1ESQ_SR_ST_SU_SY_EESZ_S10_S11_S12_S16_S17_S18_S1B_S1C_jS1D_jS1E_S1E_jjS1G_bEUljE0_EEESZ_S10_S11_S18_S1C_S1E_T6_T7_T9_mT8_S1G_bDpT10_ENKUlT_T0_E_clISt17integral_constantIbLb0EES1T_IbLb1EEEEDaS1P_S1Q_EUlS1P_E_NS1_11comp_targetILNS1_3genE0ELNS1_11target_archE4294967295ELNS1_3gpuE0ELNS1_3repE0EEENS1_30default_config_static_selectorELNS0_4arch9wavefront6targetE0EEEvS12_,@function
_ZN7rocprim17ROCPRIM_400000_NS6detail17trampoline_kernelINS0_13select_configILj256ELj13ELNS0_17block_load_methodE3ELS4_3ELS4_3ELNS0_20block_scan_algorithmE0ELj4294967295EEENS1_25partition_config_selectorILNS1_17partition_subalgoE4EjNS0_10empty_typeEbEEZZNS1_14partition_implILS8_4ELb0ES6_15HIP_vector_typeIjLj2EENS0_17counting_iteratorIjlEEPS9_SG_NS0_5tupleIJPjSI_NS0_16reverse_iteratorISI_EEEEENSH_IJSG_SG_SG_EEES9_SI_JZNS1_25segmented_radix_sort_implINS0_14default_configELb1EPKiPiPKlPlN2at6native12_GLOBAL__N_18offset_tEEE10hipError_tPvRmT1_PNSt15iterator_traitsIS12_E10value_typeET2_T3_PNS13_IS18_E10value_typeET4_jRbjT5_S1E_jjP12ihipStream_tbEUljE_ZNSN_ISO_Lb1ESQ_SR_ST_SU_SY_EESZ_S10_S11_S12_S16_S17_S18_S1B_S1C_jS1D_jS1E_S1E_jjS1G_bEUljE0_EEESZ_S10_S11_S18_S1C_S1E_T6_T7_T9_mT8_S1G_bDpT10_ENKUlT_T0_E_clISt17integral_constantIbLb0EES1T_IbLb1EEEEDaS1P_S1Q_EUlS1P_E_NS1_11comp_targetILNS1_3genE0ELNS1_11target_archE4294967295ELNS1_3gpuE0ELNS1_3repE0EEENS1_30default_config_static_selectorELNS0_4arch9wavefront6targetE0EEEvS12_: ; @_ZN7rocprim17ROCPRIM_400000_NS6detail17trampoline_kernelINS0_13select_configILj256ELj13ELNS0_17block_load_methodE3ELS4_3ELS4_3ELNS0_20block_scan_algorithmE0ELj4294967295EEENS1_25partition_config_selectorILNS1_17partition_subalgoE4EjNS0_10empty_typeEbEEZZNS1_14partition_implILS8_4ELb0ES6_15HIP_vector_typeIjLj2EENS0_17counting_iteratorIjlEEPS9_SG_NS0_5tupleIJPjSI_NS0_16reverse_iteratorISI_EEEEENSH_IJSG_SG_SG_EEES9_SI_JZNS1_25segmented_radix_sort_implINS0_14default_configELb1EPKiPiPKlPlN2at6native12_GLOBAL__N_18offset_tEEE10hipError_tPvRmT1_PNSt15iterator_traitsIS12_E10value_typeET2_T3_PNS13_IS18_E10value_typeET4_jRbjT5_S1E_jjP12ihipStream_tbEUljE_ZNSN_ISO_Lb1ESQ_SR_ST_SU_SY_EESZ_S10_S11_S12_S16_S17_S18_S1B_S1C_jS1D_jS1E_S1E_jjS1G_bEUljE0_EEESZ_S10_S11_S18_S1C_S1E_T6_T7_T9_mT8_S1G_bDpT10_ENKUlT_T0_E_clISt17integral_constantIbLb0EES1T_IbLb1EEEEDaS1P_S1Q_EUlS1P_E_NS1_11comp_targetILNS1_3genE0ELNS1_11target_archE4294967295ELNS1_3gpuE0ELNS1_3repE0EEENS1_30default_config_static_selectorELNS0_4arch9wavefront6targetE0EEEvS12_
; %bb.0:
	.section	.rodata,"a",@progbits
	.p2align	6, 0x0
	.amdhsa_kernel _ZN7rocprim17ROCPRIM_400000_NS6detail17trampoline_kernelINS0_13select_configILj256ELj13ELNS0_17block_load_methodE3ELS4_3ELS4_3ELNS0_20block_scan_algorithmE0ELj4294967295EEENS1_25partition_config_selectorILNS1_17partition_subalgoE4EjNS0_10empty_typeEbEEZZNS1_14partition_implILS8_4ELb0ES6_15HIP_vector_typeIjLj2EENS0_17counting_iteratorIjlEEPS9_SG_NS0_5tupleIJPjSI_NS0_16reverse_iteratorISI_EEEEENSH_IJSG_SG_SG_EEES9_SI_JZNS1_25segmented_radix_sort_implINS0_14default_configELb1EPKiPiPKlPlN2at6native12_GLOBAL__N_18offset_tEEE10hipError_tPvRmT1_PNSt15iterator_traitsIS12_E10value_typeET2_T3_PNS13_IS18_E10value_typeET4_jRbjT5_S1E_jjP12ihipStream_tbEUljE_ZNSN_ISO_Lb1ESQ_SR_ST_SU_SY_EESZ_S10_S11_S12_S16_S17_S18_S1B_S1C_jS1D_jS1E_S1E_jjS1G_bEUljE0_EEESZ_S10_S11_S18_S1C_S1E_T6_T7_T9_mT8_S1G_bDpT10_ENKUlT_T0_E_clISt17integral_constantIbLb0EES1T_IbLb1EEEEDaS1P_S1Q_EUlS1P_E_NS1_11comp_targetILNS1_3genE0ELNS1_11target_archE4294967295ELNS1_3gpuE0ELNS1_3repE0EEENS1_30default_config_static_selectorELNS0_4arch9wavefront6targetE0EEEvS12_
		.amdhsa_group_segment_fixed_size 0
		.amdhsa_private_segment_fixed_size 0
		.amdhsa_kernarg_size 184
		.amdhsa_user_sgpr_count 6
		.amdhsa_user_sgpr_private_segment_buffer 1
		.amdhsa_user_sgpr_dispatch_ptr 0
		.amdhsa_user_sgpr_queue_ptr 0
		.amdhsa_user_sgpr_kernarg_segment_ptr 1
		.amdhsa_user_sgpr_dispatch_id 0
		.amdhsa_user_sgpr_flat_scratch_init 0
		.amdhsa_user_sgpr_private_segment_size 0
		.amdhsa_wavefront_size32 1
		.amdhsa_uses_dynamic_stack 0
		.amdhsa_system_sgpr_private_segment_wavefront_offset 0
		.amdhsa_system_sgpr_workgroup_id_x 1
		.amdhsa_system_sgpr_workgroup_id_y 0
		.amdhsa_system_sgpr_workgroup_id_z 0
		.amdhsa_system_sgpr_workgroup_info 0
		.amdhsa_system_vgpr_workitem_id 0
		.amdhsa_next_free_vgpr 1
		.amdhsa_next_free_sgpr 1
		.amdhsa_reserve_vcc 0
		.amdhsa_reserve_flat_scratch 0
		.amdhsa_float_round_mode_32 0
		.amdhsa_float_round_mode_16_64 0
		.amdhsa_float_denorm_mode_32 3
		.amdhsa_float_denorm_mode_16_64 3
		.amdhsa_dx10_clamp 1
		.amdhsa_ieee_mode 1
		.amdhsa_fp16_overflow 0
		.amdhsa_workgroup_processor_mode 1
		.amdhsa_memory_ordered 1
		.amdhsa_forward_progress 1
		.amdhsa_shared_vgpr_count 0
		.amdhsa_exception_fp_ieee_invalid_op 0
		.amdhsa_exception_fp_denorm_src 0
		.amdhsa_exception_fp_ieee_div_zero 0
		.amdhsa_exception_fp_ieee_overflow 0
		.amdhsa_exception_fp_ieee_underflow 0
		.amdhsa_exception_fp_ieee_inexact 0
		.amdhsa_exception_int_div_zero 0
	.end_amdhsa_kernel
	.section	.text._ZN7rocprim17ROCPRIM_400000_NS6detail17trampoline_kernelINS0_13select_configILj256ELj13ELNS0_17block_load_methodE3ELS4_3ELS4_3ELNS0_20block_scan_algorithmE0ELj4294967295EEENS1_25partition_config_selectorILNS1_17partition_subalgoE4EjNS0_10empty_typeEbEEZZNS1_14partition_implILS8_4ELb0ES6_15HIP_vector_typeIjLj2EENS0_17counting_iteratorIjlEEPS9_SG_NS0_5tupleIJPjSI_NS0_16reverse_iteratorISI_EEEEENSH_IJSG_SG_SG_EEES9_SI_JZNS1_25segmented_radix_sort_implINS0_14default_configELb1EPKiPiPKlPlN2at6native12_GLOBAL__N_18offset_tEEE10hipError_tPvRmT1_PNSt15iterator_traitsIS12_E10value_typeET2_T3_PNS13_IS18_E10value_typeET4_jRbjT5_S1E_jjP12ihipStream_tbEUljE_ZNSN_ISO_Lb1ESQ_SR_ST_SU_SY_EESZ_S10_S11_S12_S16_S17_S18_S1B_S1C_jS1D_jS1E_S1E_jjS1G_bEUljE0_EEESZ_S10_S11_S18_S1C_S1E_T6_T7_T9_mT8_S1G_bDpT10_ENKUlT_T0_E_clISt17integral_constantIbLb0EES1T_IbLb1EEEEDaS1P_S1Q_EUlS1P_E_NS1_11comp_targetILNS1_3genE0ELNS1_11target_archE4294967295ELNS1_3gpuE0ELNS1_3repE0EEENS1_30default_config_static_selectorELNS0_4arch9wavefront6targetE0EEEvS12_,"axG",@progbits,_ZN7rocprim17ROCPRIM_400000_NS6detail17trampoline_kernelINS0_13select_configILj256ELj13ELNS0_17block_load_methodE3ELS4_3ELS4_3ELNS0_20block_scan_algorithmE0ELj4294967295EEENS1_25partition_config_selectorILNS1_17partition_subalgoE4EjNS0_10empty_typeEbEEZZNS1_14partition_implILS8_4ELb0ES6_15HIP_vector_typeIjLj2EENS0_17counting_iteratorIjlEEPS9_SG_NS0_5tupleIJPjSI_NS0_16reverse_iteratorISI_EEEEENSH_IJSG_SG_SG_EEES9_SI_JZNS1_25segmented_radix_sort_implINS0_14default_configELb1EPKiPiPKlPlN2at6native12_GLOBAL__N_18offset_tEEE10hipError_tPvRmT1_PNSt15iterator_traitsIS12_E10value_typeET2_T3_PNS13_IS18_E10value_typeET4_jRbjT5_S1E_jjP12ihipStream_tbEUljE_ZNSN_ISO_Lb1ESQ_SR_ST_SU_SY_EESZ_S10_S11_S12_S16_S17_S18_S1B_S1C_jS1D_jS1E_S1E_jjS1G_bEUljE0_EEESZ_S10_S11_S18_S1C_S1E_T6_T7_T9_mT8_S1G_bDpT10_ENKUlT_T0_E_clISt17integral_constantIbLb0EES1T_IbLb1EEEEDaS1P_S1Q_EUlS1P_E_NS1_11comp_targetILNS1_3genE0ELNS1_11target_archE4294967295ELNS1_3gpuE0ELNS1_3repE0EEENS1_30default_config_static_selectorELNS0_4arch9wavefront6targetE0EEEvS12_,comdat
.Lfunc_end453:
	.size	_ZN7rocprim17ROCPRIM_400000_NS6detail17trampoline_kernelINS0_13select_configILj256ELj13ELNS0_17block_load_methodE3ELS4_3ELS4_3ELNS0_20block_scan_algorithmE0ELj4294967295EEENS1_25partition_config_selectorILNS1_17partition_subalgoE4EjNS0_10empty_typeEbEEZZNS1_14partition_implILS8_4ELb0ES6_15HIP_vector_typeIjLj2EENS0_17counting_iteratorIjlEEPS9_SG_NS0_5tupleIJPjSI_NS0_16reverse_iteratorISI_EEEEENSH_IJSG_SG_SG_EEES9_SI_JZNS1_25segmented_radix_sort_implINS0_14default_configELb1EPKiPiPKlPlN2at6native12_GLOBAL__N_18offset_tEEE10hipError_tPvRmT1_PNSt15iterator_traitsIS12_E10value_typeET2_T3_PNS13_IS18_E10value_typeET4_jRbjT5_S1E_jjP12ihipStream_tbEUljE_ZNSN_ISO_Lb1ESQ_SR_ST_SU_SY_EESZ_S10_S11_S12_S16_S17_S18_S1B_S1C_jS1D_jS1E_S1E_jjS1G_bEUljE0_EEESZ_S10_S11_S18_S1C_S1E_T6_T7_T9_mT8_S1G_bDpT10_ENKUlT_T0_E_clISt17integral_constantIbLb0EES1T_IbLb1EEEEDaS1P_S1Q_EUlS1P_E_NS1_11comp_targetILNS1_3genE0ELNS1_11target_archE4294967295ELNS1_3gpuE0ELNS1_3repE0EEENS1_30default_config_static_selectorELNS0_4arch9wavefront6targetE0EEEvS12_, .Lfunc_end453-_ZN7rocprim17ROCPRIM_400000_NS6detail17trampoline_kernelINS0_13select_configILj256ELj13ELNS0_17block_load_methodE3ELS4_3ELS4_3ELNS0_20block_scan_algorithmE0ELj4294967295EEENS1_25partition_config_selectorILNS1_17partition_subalgoE4EjNS0_10empty_typeEbEEZZNS1_14partition_implILS8_4ELb0ES6_15HIP_vector_typeIjLj2EENS0_17counting_iteratorIjlEEPS9_SG_NS0_5tupleIJPjSI_NS0_16reverse_iteratorISI_EEEEENSH_IJSG_SG_SG_EEES9_SI_JZNS1_25segmented_radix_sort_implINS0_14default_configELb1EPKiPiPKlPlN2at6native12_GLOBAL__N_18offset_tEEE10hipError_tPvRmT1_PNSt15iterator_traitsIS12_E10value_typeET2_T3_PNS13_IS18_E10value_typeET4_jRbjT5_S1E_jjP12ihipStream_tbEUljE_ZNSN_ISO_Lb1ESQ_SR_ST_SU_SY_EESZ_S10_S11_S12_S16_S17_S18_S1B_S1C_jS1D_jS1E_S1E_jjS1G_bEUljE0_EEESZ_S10_S11_S18_S1C_S1E_T6_T7_T9_mT8_S1G_bDpT10_ENKUlT_T0_E_clISt17integral_constantIbLb0EES1T_IbLb1EEEEDaS1P_S1Q_EUlS1P_E_NS1_11comp_targetILNS1_3genE0ELNS1_11target_archE4294967295ELNS1_3gpuE0ELNS1_3repE0EEENS1_30default_config_static_selectorELNS0_4arch9wavefront6targetE0EEEvS12_
                                        ; -- End function
	.set _ZN7rocprim17ROCPRIM_400000_NS6detail17trampoline_kernelINS0_13select_configILj256ELj13ELNS0_17block_load_methodE3ELS4_3ELS4_3ELNS0_20block_scan_algorithmE0ELj4294967295EEENS1_25partition_config_selectorILNS1_17partition_subalgoE4EjNS0_10empty_typeEbEEZZNS1_14partition_implILS8_4ELb0ES6_15HIP_vector_typeIjLj2EENS0_17counting_iteratorIjlEEPS9_SG_NS0_5tupleIJPjSI_NS0_16reverse_iteratorISI_EEEEENSH_IJSG_SG_SG_EEES9_SI_JZNS1_25segmented_radix_sort_implINS0_14default_configELb1EPKiPiPKlPlN2at6native12_GLOBAL__N_18offset_tEEE10hipError_tPvRmT1_PNSt15iterator_traitsIS12_E10value_typeET2_T3_PNS13_IS18_E10value_typeET4_jRbjT5_S1E_jjP12ihipStream_tbEUljE_ZNSN_ISO_Lb1ESQ_SR_ST_SU_SY_EESZ_S10_S11_S12_S16_S17_S18_S1B_S1C_jS1D_jS1E_S1E_jjS1G_bEUljE0_EEESZ_S10_S11_S18_S1C_S1E_T6_T7_T9_mT8_S1G_bDpT10_ENKUlT_T0_E_clISt17integral_constantIbLb0EES1T_IbLb1EEEEDaS1P_S1Q_EUlS1P_E_NS1_11comp_targetILNS1_3genE0ELNS1_11target_archE4294967295ELNS1_3gpuE0ELNS1_3repE0EEENS1_30default_config_static_selectorELNS0_4arch9wavefront6targetE0EEEvS12_.num_vgpr, 0
	.set _ZN7rocprim17ROCPRIM_400000_NS6detail17trampoline_kernelINS0_13select_configILj256ELj13ELNS0_17block_load_methodE3ELS4_3ELS4_3ELNS0_20block_scan_algorithmE0ELj4294967295EEENS1_25partition_config_selectorILNS1_17partition_subalgoE4EjNS0_10empty_typeEbEEZZNS1_14partition_implILS8_4ELb0ES6_15HIP_vector_typeIjLj2EENS0_17counting_iteratorIjlEEPS9_SG_NS0_5tupleIJPjSI_NS0_16reverse_iteratorISI_EEEEENSH_IJSG_SG_SG_EEES9_SI_JZNS1_25segmented_radix_sort_implINS0_14default_configELb1EPKiPiPKlPlN2at6native12_GLOBAL__N_18offset_tEEE10hipError_tPvRmT1_PNSt15iterator_traitsIS12_E10value_typeET2_T3_PNS13_IS18_E10value_typeET4_jRbjT5_S1E_jjP12ihipStream_tbEUljE_ZNSN_ISO_Lb1ESQ_SR_ST_SU_SY_EESZ_S10_S11_S12_S16_S17_S18_S1B_S1C_jS1D_jS1E_S1E_jjS1G_bEUljE0_EEESZ_S10_S11_S18_S1C_S1E_T6_T7_T9_mT8_S1G_bDpT10_ENKUlT_T0_E_clISt17integral_constantIbLb0EES1T_IbLb1EEEEDaS1P_S1Q_EUlS1P_E_NS1_11comp_targetILNS1_3genE0ELNS1_11target_archE4294967295ELNS1_3gpuE0ELNS1_3repE0EEENS1_30default_config_static_selectorELNS0_4arch9wavefront6targetE0EEEvS12_.num_agpr, 0
	.set _ZN7rocprim17ROCPRIM_400000_NS6detail17trampoline_kernelINS0_13select_configILj256ELj13ELNS0_17block_load_methodE3ELS4_3ELS4_3ELNS0_20block_scan_algorithmE0ELj4294967295EEENS1_25partition_config_selectorILNS1_17partition_subalgoE4EjNS0_10empty_typeEbEEZZNS1_14partition_implILS8_4ELb0ES6_15HIP_vector_typeIjLj2EENS0_17counting_iteratorIjlEEPS9_SG_NS0_5tupleIJPjSI_NS0_16reverse_iteratorISI_EEEEENSH_IJSG_SG_SG_EEES9_SI_JZNS1_25segmented_radix_sort_implINS0_14default_configELb1EPKiPiPKlPlN2at6native12_GLOBAL__N_18offset_tEEE10hipError_tPvRmT1_PNSt15iterator_traitsIS12_E10value_typeET2_T3_PNS13_IS18_E10value_typeET4_jRbjT5_S1E_jjP12ihipStream_tbEUljE_ZNSN_ISO_Lb1ESQ_SR_ST_SU_SY_EESZ_S10_S11_S12_S16_S17_S18_S1B_S1C_jS1D_jS1E_S1E_jjS1G_bEUljE0_EEESZ_S10_S11_S18_S1C_S1E_T6_T7_T9_mT8_S1G_bDpT10_ENKUlT_T0_E_clISt17integral_constantIbLb0EES1T_IbLb1EEEEDaS1P_S1Q_EUlS1P_E_NS1_11comp_targetILNS1_3genE0ELNS1_11target_archE4294967295ELNS1_3gpuE0ELNS1_3repE0EEENS1_30default_config_static_selectorELNS0_4arch9wavefront6targetE0EEEvS12_.numbered_sgpr, 0
	.set _ZN7rocprim17ROCPRIM_400000_NS6detail17trampoline_kernelINS0_13select_configILj256ELj13ELNS0_17block_load_methodE3ELS4_3ELS4_3ELNS0_20block_scan_algorithmE0ELj4294967295EEENS1_25partition_config_selectorILNS1_17partition_subalgoE4EjNS0_10empty_typeEbEEZZNS1_14partition_implILS8_4ELb0ES6_15HIP_vector_typeIjLj2EENS0_17counting_iteratorIjlEEPS9_SG_NS0_5tupleIJPjSI_NS0_16reverse_iteratorISI_EEEEENSH_IJSG_SG_SG_EEES9_SI_JZNS1_25segmented_radix_sort_implINS0_14default_configELb1EPKiPiPKlPlN2at6native12_GLOBAL__N_18offset_tEEE10hipError_tPvRmT1_PNSt15iterator_traitsIS12_E10value_typeET2_T3_PNS13_IS18_E10value_typeET4_jRbjT5_S1E_jjP12ihipStream_tbEUljE_ZNSN_ISO_Lb1ESQ_SR_ST_SU_SY_EESZ_S10_S11_S12_S16_S17_S18_S1B_S1C_jS1D_jS1E_S1E_jjS1G_bEUljE0_EEESZ_S10_S11_S18_S1C_S1E_T6_T7_T9_mT8_S1G_bDpT10_ENKUlT_T0_E_clISt17integral_constantIbLb0EES1T_IbLb1EEEEDaS1P_S1Q_EUlS1P_E_NS1_11comp_targetILNS1_3genE0ELNS1_11target_archE4294967295ELNS1_3gpuE0ELNS1_3repE0EEENS1_30default_config_static_selectorELNS0_4arch9wavefront6targetE0EEEvS12_.num_named_barrier, 0
	.set _ZN7rocprim17ROCPRIM_400000_NS6detail17trampoline_kernelINS0_13select_configILj256ELj13ELNS0_17block_load_methodE3ELS4_3ELS4_3ELNS0_20block_scan_algorithmE0ELj4294967295EEENS1_25partition_config_selectorILNS1_17partition_subalgoE4EjNS0_10empty_typeEbEEZZNS1_14partition_implILS8_4ELb0ES6_15HIP_vector_typeIjLj2EENS0_17counting_iteratorIjlEEPS9_SG_NS0_5tupleIJPjSI_NS0_16reverse_iteratorISI_EEEEENSH_IJSG_SG_SG_EEES9_SI_JZNS1_25segmented_radix_sort_implINS0_14default_configELb1EPKiPiPKlPlN2at6native12_GLOBAL__N_18offset_tEEE10hipError_tPvRmT1_PNSt15iterator_traitsIS12_E10value_typeET2_T3_PNS13_IS18_E10value_typeET4_jRbjT5_S1E_jjP12ihipStream_tbEUljE_ZNSN_ISO_Lb1ESQ_SR_ST_SU_SY_EESZ_S10_S11_S12_S16_S17_S18_S1B_S1C_jS1D_jS1E_S1E_jjS1G_bEUljE0_EEESZ_S10_S11_S18_S1C_S1E_T6_T7_T9_mT8_S1G_bDpT10_ENKUlT_T0_E_clISt17integral_constantIbLb0EES1T_IbLb1EEEEDaS1P_S1Q_EUlS1P_E_NS1_11comp_targetILNS1_3genE0ELNS1_11target_archE4294967295ELNS1_3gpuE0ELNS1_3repE0EEENS1_30default_config_static_selectorELNS0_4arch9wavefront6targetE0EEEvS12_.private_seg_size, 0
	.set _ZN7rocprim17ROCPRIM_400000_NS6detail17trampoline_kernelINS0_13select_configILj256ELj13ELNS0_17block_load_methodE3ELS4_3ELS4_3ELNS0_20block_scan_algorithmE0ELj4294967295EEENS1_25partition_config_selectorILNS1_17partition_subalgoE4EjNS0_10empty_typeEbEEZZNS1_14partition_implILS8_4ELb0ES6_15HIP_vector_typeIjLj2EENS0_17counting_iteratorIjlEEPS9_SG_NS0_5tupleIJPjSI_NS0_16reverse_iteratorISI_EEEEENSH_IJSG_SG_SG_EEES9_SI_JZNS1_25segmented_radix_sort_implINS0_14default_configELb1EPKiPiPKlPlN2at6native12_GLOBAL__N_18offset_tEEE10hipError_tPvRmT1_PNSt15iterator_traitsIS12_E10value_typeET2_T3_PNS13_IS18_E10value_typeET4_jRbjT5_S1E_jjP12ihipStream_tbEUljE_ZNSN_ISO_Lb1ESQ_SR_ST_SU_SY_EESZ_S10_S11_S12_S16_S17_S18_S1B_S1C_jS1D_jS1E_S1E_jjS1G_bEUljE0_EEESZ_S10_S11_S18_S1C_S1E_T6_T7_T9_mT8_S1G_bDpT10_ENKUlT_T0_E_clISt17integral_constantIbLb0EES1T_IbLb1EEEEDaS1P_S1Q_EUlS1P_E_NS1_11comp_targetILNS1_3genE0ELNS1_11target_archE4294967295ELNS1_3gpuE0ELNS1_3repE0EEENS1_30default_config_static_selectorELNS0_4arch9wavefront6targetE0EEEvS12_.uses_vcc, 0
	.set _ZN7rocprim17ROCPRIM_400000_NS6detail17trampoline_kernelINS0_13select_configILj256ELj13ELNS0_17block_load_methodE3ELS4_3ELS4_3ELNS0_20block_scan_algorithmE0ELj4294967295EEENS1_25partition_config_selectorILNS1_17partition_subalgoE4EjNS0_10empty_typeEbEEZZNS1_14partition_implILS8_4ELb0ES6_15HIP_vector_typeIjLj2EENS0_17counting_iteratorIjlEEPS9_SG_NS0_5tupleIJPjSI_NS0_16reverse_iteratorISI_EEEEENSH_IJSG_SG_SG_EEES9_SI_JZNS1_25segmented_radix_sort_implINS0_14default_configELb1EPKiPiPKlPlN2at6native12_GLOBAL__N_18offset_tEEE10hipError_tPvRmT1_PNSt15iterator_traitsIS12_E10value_typeET2_T3_PNS13_IS18_E10value_typeET4_jRbjT5_S1E_jjP12ihipStream_tbEUljE_ZNSN_ISO_Lb1ESQ_SR_ST_SU_SY_EESZ_S10_S11_S12_S16_S17_S18_S1B_S1C_jS1D_jS1E_S1E_jjS1G_bEUljE0_EEESZ_S10_S11_S18_S1C_S1E_T6_T7_T9_mT8_S1G_bDpT10_ENKUlT_T0_E_clISt17integral_constantIbLb0EES1T_IbLb1EEEEDaS1P_S1Q_EUlS1P_E_NS1_11comp_targetILNS1_3genE0ELNS1_11target_archE4294967295ELNS1_3gpuE0ELNS1_3repE0EEENS1_30default_config_static_selectorELNS0_4arch9wavefront6targetE0EEEvS12_.uses_flat_scratch, 0
	.set _ZN7rocprim17ROCPRIM_400000_NS6detail17trampoline_kernelINS0_13select_configILj256ELj13ELNS0_17block_load_methodE3ELS4_3ELS4_3ELNS0_20block_scan_algorithmE0ELj4294967295EEENS1_25partition_config_selectorILNS1_17partition_subalgoE4EjNS0_10empty_typeEbEEZZNS1_14partition_implILS8_4ELb0ES6_15HIP_vector_typeIjLj2EENS0_17counting_iteratorIjlEEPS9_SG_NS0_5tupleIJPjSI_NS0_16reverse_iteratorISI_EEEEENSH_IJSG_SG_SG_EEES9_SI_JZNS1_25segmented_radix_sort_implINS0_14default_configELb1EPKiPiPKlPlN2at6native12_GLOBAL__N_18offset_tEEE10hipError_tPvRmT1_PNSt15iterator_traitsIS12_E10value_typeET2_T3_PNS13_IS18_E10value_typeET4_jRbjT5_S1E_jjP12ihipStream_tbEUljE_ZNSN_ISO_Lb1ESQ_SR_ST_SU_SY_EESZ_S10_S11_S12_S16_S17_S18_S1B_S1C_jS1D_jS1E_S1E_jjS1G_bEUljE0_EEESZ_S10_S11_S18_S1C_S1E_T6_T7_T9_mT8_S1G_bDpT10_ENKUlT_T0_E_clISt17integral_constantIbLb0EES1T_IbLb1EEEEDaS1P_S1Q_EUlS1P_E_NS1_11comp_targetILNS1_3genE0ELNS1_11target_archE4294967295ELNS1_3gpuE0ELNS1_3repE0EEENS1_30default_config_static_selectorELNS0_4arch9wavefront6targetE0EEEvS12_.has_dyn_sized_stack, 0
	.set _ZN7rocprim17ROCPRIM_400000_NS6detail17trampoline_kernelINS0_13select_configILj256ELj13ELNS0_17block_load_methodE3ELS4_3ELS4_3ELNS0_20block_scan_algorithmE0ELj4294967295EEENS1_25partition_config_selectorILNS1_17partition_subalgoE4EjNS0_10empty_typeEbEEZZNS1_14partition_implILS8_4ELb0ES6_15HIP_vector_typeIjLj2EENS0_17counting_iteratorIjlEEPS9_SG_NS0_5tupleIJPjSI_NS0_16reverse_iteratorISI_EEEEENSH_IJSG_SG_SG_EEES9_SI_JZNS1_25segmented_radix_sort_implINS0_14default_configELb1EPKiPiPKlPlN2at6native12_GLOBAL__N_18offset_tEEE10hipError_tPvRmT1_PNSt15iterator_traitsIS12_E10value_typeET2_T3_PNS13_IS18_E10value_typeET4_jRbjT5_S1E_jjP12ihipStream_tbEUljE_ZNSN_ISO_Lb1ESQ_SR_ST_SU_SY_EESZ_S10_S11_S12_S16_S17_S18_S1B_S1C_jS1D_jS1E_S1E_jjS1G_bEUljE0_EEESZ_S10_S11_S18_S1C_S1E_T6_T7_T9_mT8_S1G_bDpT10_ENKUlT_T0_E_clISt17integral_constantIbLb0EES1T_IbLb1EEEEDaS1P_S1Q_EUlS1P_E_NS1_11comp_targetILNS1_3genE0ELNS1_11target_archE4294967295ELNS1_3gpuE0ELNS1_3repE0EEENS1_30default_config_static_selectorELNS0_4arch9wavefront6targetE0EEEvS12_.has_recursion, 0
	.set _ZN7rocprim17ROCPRIM_400000_NS6detail17trampoline_kernelINS0_13select_configILj256ELj13ELNS0_17block_load_methodE3ELS4_3ELS4_3ELNS0_20block_scan_algorithmE0ELj4294967295EEENS1_25partition_config_selectorILNS1_17partition_subalgoE4EjNS0_10empty_typeEbEEZZNS1_14partition_implILS8_4ELb0ES6_15HIP_vector_typeIjLj2EENS0_17counting_iteratorIjlEEPS9_SG_NS0_5tupleIJPjSI_NS0_16reverse_iteratorISI_EEEEENSH_IJSG_SG_SG_EEES9_SI_JZNS1_25segmented_radix_sort_implINS0_14default_configELb1EPKiPiPKlPlN2at6native12_GLOBAL__N_18offset_tEEE10hipError_tPvRmT1_PNSt15iterator_traitsIS12_E10value_typeET2_T3_PNS13_IS18_E10value_typeET4_jRbjT5_S1E_jjP12ihipStream_tbEUljE_ZNSN_ISO_Lb1ESQ_SR_ST_SU_SY_EESZ_S10_S11_S12_S16_S17_S18_S1B_S1C_jS1D_jS1E_S1E_jjS1G_bEUljE0_EEESZ_S10_S11_S18_S1C_S1E_T6_T7_T9_mT8_S1G_bDpT10_ENKUlT_T0_E_clISt17integral_constantIbLb0EES1T_IbLb1EEEEDaS1P_S1Q_EUlS1P_E_NS1_11comp_targetILNS1_3genE0ELNS1_11target_archE4294967295ELNS1_3gpuE0ELNS1_3repE0EEENS1_30default_config_static_selectorELNS0_4arch9wavefront6targetE0EEEvS12_.has_indirect_call, 0
	.section	.AMDGPU.csdata,"",@progbits
; Kernel info:
; codeLenInByte = 0
; TotalNumSgprs: 0
; NumVgprs: 0
; ScratchSize: 0
; MemoryBound: 0
; FloatMode: 240
; IeeeMode: 1
; LDSByteSize: 0 bytes/workgroup (compile time only)
; SGPRBlocks: 0
; VGPRBlocks: 0
; NumSGPRsForWavesPerEU: 1
; NumVGPRsForWavesPerEU: 1
; Occupancy: 16
; WaveLimiterHint : 0
; COMPUTE_PGM_RSRC2:SCRATCH_EN: 0
; COMPUTE_PGM_RSRC2:USER_SGPR: 6
; COMPUTE_PGM_RSRC2:TRAP_HANDLER: 0
; COMPUTE_PGM_RSRC2:TGID_X_EN: 1
; COMPUTE_PGM_RSRC2:TGID_Y_EN: 0
; COMPUTE_PGM_RSRC2:TGID_Z_EN: 0
; COMPUTE_PGM_RSRC2:TIDIG_COMP_CNT: 0
	.section	.text._ZN7rocprim17ROCPRIM_400000_NS6detail17trampoline_kernelINS0_13select_configILj256ELj13ELNS0_17block_load_methodE3ELS4_3ELS4_3ELNS0_20block_scan_algorithmE0ELj4294967295EEENS1_25partition_config_selectorILNS1_17partition_subalgoE4EjNS0_10empty_typeEbEEZZNS1_14partition_implILS8_4ELb0ES6_15HIP_vector_typeIjLj2EENS0_17counting_iteratorIjlEEPS9_SG_NS0_5tupleIJPjSI_NS0_16reverse_iteratorISI_EEEEENSH_IJSG_SG_SG_EEES9_SI_JZNS1_25segmented_radix_sort_implINS0_14default_configELb1EPKiPiPKlPlN2at6native12_GLOBAL__N_18offset_tEEE10hipError_tPvRmT1_PNSt15iterator_traitsIS12_E10value_typeET2_T3_PNS13_IS18_E10value_typeET4_jRbjT5_S1E_jjP12ihipStream_tbEUljE_ZNSN_ISO_Lb1ESQ_SR_ST_SU_SY_EESZ_S10_S11_S12_S16_S17_S18_S1B_S1C_jS1D_jS1E_S1E_jjS1G_bEUljE0_EEESZ_S10_S11_S18_S1C_S1E_T6_T7_T9_mT8_S1G_bDpT10_ENKUlT_T0_E_clISt17integral_constantIbLb0EES1T_IbLb1EEEEDaS1P_S1Q_EUlS1P_E_NS1_11comp_targetILNS1_3genE5ELNS1_11target_archE942ELNS1_3gpuE9ELNS1_3repE0EEENS1_30default_config_static_selectorELNS0_4arch9wavefront6targetE0EEEvS12_,"axG",@progbits,_ZN7rocprim17ROCPRIM_400000_NS6detail17trampoline_kernelINS0_13select_configILj256ELj13ELNS0_17block_load_methodE3ELS4_3ELS4_3ELNS0_20block_scan_algorithmE0ELj4294967295EEENS1_25partition_config_selectorILNS1_17partition_subalgoE4EjNS0_10empty_typeEbEEZZNS1_14partition_implILS8_4ELb0ES6_15HIP_vector_typeIjLj2EENS0_17counting_iteratorIjlEEPS9_SG_NS0_5tupleIJPjSI_NS0_16reverse_iteratorISI_EEEEENSH_IJSG_SG_SG_EEES9_SI_JZNS1_25segmented_radix_sort_implINS0_14default_configELb1EPKiPiPKlPlN2at6native12_GLOBAL__N_18offset_tEEE10hipError_tPvRmT1_PNSt15iterator_traitsIS12_E10value_typeET2_T3_PNS13_IS18_E10value_typeET4_jRbjT5_S1E_jjP12ihipStream_tbEUljE_ZNSN_ISO_Lb1ESQ_SR_ST_SU_SY_EESZ_S10_S11_S12_S16_S17_S18_S1B_S1C_jS1D_jS1E_S1E_jjS1G_bEUljE0_EEESZ_S10_S11_S18_S1C_S1E_T6_T7_T9_mT8_S1G_bDpT10_ENKUlT_T0_E_clISt17integral_constantIbLb0EES1T_IbLb1EEEEDaS1P_S1Q_EUlS1P_E_NS1_11comp_targetILNS1_3genE5ELNS1_11target_archE942ELNS1_3gpuE9ELNS1_3repE0EEENS1_30default_config_static_selectorELNS0_4arch9wavefront6targetE0EEEvS12_,comdat
	.globl	_ZN7rocprim17ROCPRIM_400000_NS6detail17trampoline_kernelINS0_13select_configILj256ELj13ELNS0_17block_load_methodE3ELS4_3ELS4_3ELNS0_20block_scan_algorithmE0ELj4294967295EEENS1_25partition_config_selectorILNS1_17partition_subalgoE4EjNS0_10empty_typeEbEEZZNS1_14partition_implILS8_4ELb0ES6_15HIP_vector_typeIjLj2EENS0_17counting_iteratorIjlEEPS9_SG_NS0_5tupleIJPjSI_NS0_16reverse_iteratorISI_EEEEENSH_IJSG_SG_SG_EEES9_SI_JZNS1_25segmented_radix_sort_implINS0_14default_configELb1EPKiPiPKlPlN2at6native12_GLOBAL__N_18offset_tEEE10hipError_tPvRmT1_PNSt15iterator_traitsIS12_E10value_typeET2_T3_PNS13_IS18_E10value_typeET4_jRbjT5_S1E_jjP12ihipStream_tbEUljE_ZNSN_ISO_Lb1ESQ_SR_ST_SU_SY_EESZ_S10_S11_S12_S16_S17_S18_S1B_S1C_jS1D_jS1E_S1E_jjS1G_bEUljE0_EEESZ_S10_S11_S18_S1C_S1E_T6_T7_T9_mT8_S1G_bDpT10_ENKUlT_T0_E_clISt17integral_constantIbLb0EES1T_IbLb1EEEEDaS1P_S1Q_EUlS1P_E_NS1_11comp_targetILNS1_3genE5ELNS1_11target_archE942ELNS1_3gpuE9ELNS1_3repE0EEENS1_30default_config_static_selectorELNS0_4arch9wavefront6targetE0EEEvS12_ ; -- Begin function _ZN7rocprim17ROCPRIM_400000_NS6detail17trampoline_kernelINS0_13select_configILj256ELj13ELNS0_17block_load_methodE3ELS4_3ELS4_3ELNS0_20block_scan_algorithmE0ELj4294967295EEENS1_25partition_config_selectorILNS1_17partition_subalgoE4EjNS0_10empty_typeEbEEZZNS1_14partition_implILS8_4ELb0ES6_15HIP_vector_typeIjLj2EENS0_17counting_iteratorIjlEEPS9_SG_NS0_5tupleIJPjSI_NS0_16reverse_iteratorISI_EEEEENSH_IJSG_SG_SG_EEES9_SI_JZNS1_25segmented_radix_sort_implINS0_14default_configELb1EPKiPiPKlPlN2at6native12_GLOBAL__N_18offset_tEEE10hipError_tPvRmT1_PNSt15iterator_traitsIS12_E10value_typeET2_T3_PNS13_IS18_E10value_typeET4_jRbjT5_S1E_jjP12ihipStream_tbEUljE_ZNSN_ISO_Lb1ESQ_SR_ST_SU_SY_EESZ_S10_S11_S12_S16_S17_S18_S1B_S1C_jS1D_jS1E_S1E_jjS1G_bEUljE0_EEESZ_S10_S11_S18_S1C_S1E_T6_T7_T9_mT8_S1G_bDpT10_ENKUlT_T0_E_clISt17integral_constantIbLb0EES1T_IbLb1EEEEDaS1P_S1Q_EUlS1P_E_NS1_11comp_targetILNS1_3genE5ELNS1_11target_archE942ELNS1_3gpuE9ELNS1_3repE0EEENS1_30default_config_static_selectorELNS0_4arch9wavefront6targetE0EEEvS12_
	.p2align	8
	.type	_ZN7rocprim17ROCPRIM_400000_NS6detail17trampoline_kernelINS0_13select_configILj256ELj13ELNS0_17block_load_methodE3ELS4_3ELS4_3ELNS0_20block_scan_algorithmE0ELj4294967295EEENS1_25partition_config_selectorILNS1_17partition_subalgoE4EjNS0_10empty_typeEbEEZZNS1_14partition_implILS8_4ELb0ES6_15HIP_vector_typeIjLj2EENS0_17counting_iteratorIjlEEPS9_SG_NS0_5tupleIJPjSI_NS0_16reverse_iteratorISI_EEEEENSH_IJSG_SG_SG_EEES9_SI_JZNS1_25segmented_radix_sort_implINS0_14default_configELb1EPKiPiPKlPlN2at6native12_GLOBAL__N_18offset_tEEE10hipError_tPvRmT1_PNSt15iterator_traitsIS12_E10value_typeET2_T3_PNS13_IS18_E10value_typeET4_jRbjT5_S1E_jjP12ihipStream_tbEUljE_ZNSN_ISO_Lb1ESQ_SR_ST_SU_SY_EESZ_S10_S11_S12_S16_S17_S18_S1B_S1C_jS1D_jS1E_S1E_jjS1G_bEUljE0_EEESZ_S10_S11_S18_S1C_S1E_T6_T7_T9_mT8_S1G_bDpT10_ENKUlT_T0_E_clISt17integral_constantIbLb0EES1T_IbLb1EEEEDaS1P_S1Q_EUlS1P_E_NS1_11comp_targetILNS1_3genE5ELNS1_11target_archE942ELNS1_3gpuE9ELNS1_3repE0EEENS1_30default_config_static_selectorELNS0_4arch9wavefront6targetE0EEEvS12_,@function
_ZN7rocprim17ROCPRIM_400000_NS6detail17trampoline_kernelINS0_13select_configILj256ELj13ELNS0_17block_load_methodE3ELS4_3ELS4_3ELNS0_20block_scan_algorithmE0ELj4294967295EEENS1_25partition_config_selectorILNS1_17partition_subalgoE4EjNS0_10empty_typeEbEEZZNS1_14partition_implILS8_4ELb0ES6_15HIP_vector_typeIjLj2EENS0_17counting_iteratorIjlEEPS9_SG_NS0_5tupleIJPjSI_NS0_16reverse_iteratorISI_EEEEENSH_IJSG_SG_SG_EEES9_SI_JZNS1_25segmented_radix_sort_implINS0_14default_configELb1EPKiPiPKlPlN2at6native12_GLOBAL__N_18offset_tEEE10hipError_tPvRmT1_PNSt15iterator_traitsIS12_E10value_typeET2_T3_PNS13_IS18_E10value_typeET4_jRbjT5_S1E_jjP12ihipStream_tbEUljE_ZNSN_ISO_Lb1ESQ_SR_ST_SU_SY_EESZ_S10_S11_S12_S16_S17_S18_S1B_S1C_jS1D_jS1E_S1E_jjS1G_bEUljE0_EEESZ_S10_S11_S18_S1C_S1E_T6_T7_T9_mT8_S1G_bDpT10_ENKUlT_T0_E_clISt17integral_constantIbLb0EES1T_IbLb1EEEEDaS1P_S1Q_EUlS1P_E_NS1_11comp_targetILNS1_3genE5ELNS1_11target_archE942ELNS1_3gpuE9ELNS1_3repE0EEENS1_30default_config_static_selectorELNS0_4arch9wavefront6targetE0EEEvS12_: ; @_ZN7rocprim17ROCPRIM_400000_NS6detail17trampoline_kernelINS0_13select_configILj256ELj13ELNS0_17block_load_methodE3ELS4_3ELS4_3ELNS0_20block_scan_algorithmE0ELj4294967295EEENS1_25partition_config_selectorILNS1_17partition_subalgoE4EjNS0_10empty_typeEbEEZZNS1_14partition_implILS8_4ELb0ES6_15HIP_vector_typeIjLj2EENS0_17counting_iteratorIjlEEPS9_SG_NS0_5tupleIJPjSI_NS0_16reverse_iteratorISI_EEEEENSH_IJSG_SG_SG_EEES9_SI_JZNS1_25segmented_radix_sort_implINS0_14default_configELb1EPKiPiPKlPlN2at6native12_GLOBAL__N_18offset_tEEE10hipError_tPvRmT1_PNSt15iterator_traitsIS12_E10value_typeET2_T3_PNS13_IS18_E10value_typeET4_jRbjT5_S1E_jjP12ihipStream_tbEUljE_ZNSN_ISO_Lb1ESQ_SR_ST_SU_SY_EESZ_S10_S11_S12_S16_S17_S18_S1B_S1C_jS1D_jS1E_S1E_jjS1G_bEUljE0_EEESZ_S10_S11_S18_S1C_S1E_T6_T7_T9_mT8_S1G_bDpT10_ENKUlT_T0_E_clISt17integral_constantIbLb0EES1T_IbLb1EEEEDaS1P_S1Q_EUlS1P_E_NS1_11comp_targetILNS1_3genE5ELNS1_11target_archE942ELNS1_3gpuE9ELNS1_3repE0EEENS1_30default_config_static_selectorELNS0_4arch9wavefront6targetE0EEEvS12_
; %bb.0:
	.section	.rodata,"a",@progbits
	.p2align	6, 0x0
	.amdhsa_kernel _ZN7rocprim17ROCPRIM_400000_NS6detail17trampoline_kernelINS0_13select_configILj256ELj13ELNS0_17block_load_methodE3ELS4_3ELS4_3ELNS0_20block_scan_algorithmE0ELj4294967295EEENS1_25partition_config_selectorILNS1_17partition_subalgoE4EjNS0_10empty_typeEbEEZZNS1_14partition_implILS8_4ELb0ES6_15HIP_vector_typeIjLj2EENS0_17counting_iteratorIjlEEPS9_SG_NS0_5tupleIJPjSI_NS0_16reverse_iteratorISI_EEEEENSH_IJSG_SG_SG_EEES9_SI_JZNS1_25segmented_radix_sort_implINS0_14default_configELb1EPKiPiPKlPlN2at6native12_GLOBAL__N_18offset_tEEE10hipError_tPvRmT1_PNSt15iterator_traitsIS12_E10value_typeET2_T3_PNS13_IS18_E10value_typeET4_jRbjT5_S1E_jjP12ihipStream_tbEUljE_ZNSN_ISO_Lb1ESQ_SR_ST_SU_SY_EESZ_S10_S11_S12_S16_S17_S18_S1B_S1C_jS1D_jS1E_S1E_jjS1G_bEUljE0_EEESZ_S10_S11_S18_S1C_S1E_T6_T7_T9_mT8_S1G_bDpT10_ENKUlT_T0_E_clISt17integral_constantIbLb0EES1T_IbLb1EEEEDaS1P_S1Q_EUlS1P_E_NS1_11comp_targetILNS1_3genE5ELNS1_11target_archE942ELNS1_3gpuE9ELNS1_3repE0EEENS1_30default_config_static_selectorELNS0_4arch9wavefront6targetE0EEEvS12_
		.amdhsa_group_segment_fixed_size 0
		.amdhsa_private_segment_fixed_size 0
		.amdhsa_kernarg_size 184
		.amdhsa_user_sgpr_count 6
		.amdhsa_user_sgpr_private_segment_buffer 1
		.amdhsa_user_sgpr_dispatch_ptr 0
		.amdhsa_user_sgpr_queue_ptr 0
		.amdhsa_user_sgpr_kernarg_segment_ptr 1
		.amdhsa_user_sgpr_dispatch_id 0
		.amdhsa_user_sgpr_flat_scratch_init 0
		.amdhsa_user_sgpr_private_segment_size 0
		.amdhsa_wavefront_size32 1
		.amdhsa_uses_dynamic_stack 0
		.amdhsa_system_sgpr_private_segment_wavefront_offset 0
		.amdhsa_system_sgpr_workgroup_id_x 1
		.amdhsa_system_sgpr_workgroup_id_y 0
		.amdhsa_system_sgpr_workgroup_id_z 0
		.amdhsa_system_sgpr_workgroup_info 0
		.amdhsa_system_vgpr_workitem_id 0
		.amdhsa_next_free_vgpr 1
		.amdhsa_next_free_sgpr 1
		.amdhsa_reserve_vcc 0
		.amdhsa_reserve_flat_scratch 0
		.amdhsa_float_round_mode_32 0
		.amdhsa_float_round_mode_16_64 0
		.amdhsa_float_denorm_mode_32 3
		.amdhsa_float_denorm_mode_16_64 3
		.amdhsa_dx10_clamp 1
		.amdhsa_ieee_mode 1
		.amdhsa_fp16_overflow 0
		.amdhsa_workgroup_processor_mode 1
		.amdhsa_memory_ordered 1
		.amdhsa_forward_progress 1
		.amdhsa_shared_vgpr_count 0
		.amdhsa_exception_fp_ieee_invalid_op 0
		.amdhsa_exception_fp_denorm_src 0
		.amdhsa_exception_fp_ieee_div_zero 0
		.amdhsa_exception_fp_ieee_overflow 0
		.amdhsa_exception_fp_ieee_underflow 0
		.amdhsa_exception_fp_ieee_inexact 0
		.amdhsa_exception_int_div_zero 0
	.end_amdhsa_kernel
	.section	.text._ZN7rocprim17ROCPRIM_400000_NS6detail17trampoline_kernelINS0_13select_configILj256ELj13ELNS0_17block_load_methodE3ELS4_3ELS4_3ELNS0_20block_scan_algorithmE0ELj4294967295EEENS1_25partition_config_selectorILNS1_17partition_subalgoE4EjNS0_10empty_typeEbEEZZNS1_14partition_implILS8_4ELb0ES6_15HIP_vector_typeIjLj2EENS0_17counting_iteratorIjlEEPS9_SG_NS0_5tupleIJPjSI_NS0_16reverse_iteratorISI_EEEEENSH_IJSG_SG_SG_EEES9_SI_JZNS1_25segmented_radix_sort_implINS0_14default_configELb1EPKiPiPKlPlN2at6native12_GLOBAL__N_18offset_tEEE10hipError_tPvRmT1_PNSt15iterator_traitsIS12_E10value_typeET2_T3_PNS13_IS18_E10value_typeET4_jRbjT5_S1E_jjP12ihipStream_tbEUljE_ZNSN_ISO_Lb1ESQ_SR_ST_SU_SY_EESZ_S10_S11_S12_S16_S17_S18_S1B_S1C_jS1D_jS1E_S1E_jjS1G_bEUljE0_EEESZ_S10_S11_S18_S1C_S1E_T6_T7_T9_mT8_S1G_bDpT10_ENKUlT_T0_E_clISt17integral_constantIbLb0EES1T_IbLb1EEEEDaS1P_S1Q_EUlS1P_E_NS1_11comp_targetILNS1_3genE5ELNS1_11target_archE942ELNS1_3gpuE9ELNS1_3repE0EEENS1_30default_config_static_selectorELNS0_4arch9wavefront6targetE0EEEvS12_,"axG",@progbits,_ZN7rocprim17ROCPRIM_400000_NS6detail17trampoline_kernelINS0_13select_configILj256ELj13ELNS0_17block_load_methodE3ELS4_3ELS4_3ELNS0_20block_scan_algorithmE0ELj4294967295EEENS1_25partition_config_selectorILNS1_17partition_subalgoE4EjNS0_10empty_typeEbEEZZNS1_14partition_implILS8_4ELb0ES6_15HIP_vector_typeIjLj2EENS0_17counting_iteratorIjlEEPS9_SG_NS0_5tupleIJPjSI_NS0_16reverse_iteratorISI_EEEEENSH_IJSG_SG_SG_EEES9_SI_JZNS1_25segmented_radix_sort_implINS0_14default_configELb1EPKiPiPKlPlN2at6native12_GLOBAL__N_18offset_tEEE10hipError_tPvRmT1_PNSt15iterator_traitsIS12_E10value_typeET2_T3_PNS13_IS18_E10value_typeET4_jRbjT5_S1E_jjP12ihipStream_tbEUljE_ZNSN_ISO_Lb1ESQ_SR_ST_SU_SY_EESZ_S10_S11_S12_S16_S17_S18_S1B_S1C_jS1D_jS1E_S1E_jjS1G_bEUljE0_EEESZ_S10_S11_S18_S1C_S1E_T6_T7_T9_mT8_S1G_bDpT10_ENKUlT_T0_E_clISt17integral_constantIbLb0EES1T_IbLb1EEEEDaS1P_S1Q_EUlS1P_E_NS1_11comp_targetILNS1_3genE5ELNS1_11target_archE942ELNS1_3gpuE9ELNS1_3repE0EEENS1_30default_config_static_selectorELNS0_4arch9wavefront6targetE0EEEvS12_,comdat
.Lfunc_end454:
	.size	_ZN7rocprim17ROCPRIM_400000_NS6detail17trampoline_kernelINS0_13select_configILj256ELj13ELNS0_17block_load_methodE3ELS4_3ELS4_3ELNS0_20block_scan_algorithmE0ELj4294967295EEENS1_25partition_config_selectorILNS1_17partition_subalgoE4EjNS0_10empty_typeEbEEZZNS1_14partition_implILS8_4ELb0ES6_15HIP_vector_typeIjLj2EENS0_17counting_iteratorIjlEEPS9_SG_NS0_5tupleIJPjSI_NS0_16reverse_iteratorISI_EEEEENSH_IJSG_SG_SG_EEES9_SI_JZNS1_25segmented_radix_sort_implINS0_14default_configELb1EPKiPiPKlPlN2at6native12_GLOBAL__N_18offset_tEEE10hipError_tPvRmT1_PNSt15iterator_traitsIS12_E10value_typeET2_T3_PNS13_IS18_E10value_typeET4_jRbjT5_S1E_jjP12ihipStream_tbEUljE_ZNSN_ISO_Lb1ESQ_SR_ST_SU_SY_EESZ_S10_S11_S12_S16_S17_S18_S1B_S1C_jS1D_jS1E_S1E_jjS1G_bEUljE0_EEESZ_S10_S11_S18_S1C_S1E_T6_T7_T9_mT8_S1G_bDpT10_ENKUlT_T0_E_clISt17integral_constantIbLb0EES1T_IbLb1EEEEDaS1P_S1Q_EUlS1P_E_NS1_11comp_targetILNS1_3genE5ELNS1_11target_archE942ELNS1_3gpuE9ELNS1_3repE0EEENS1_30default_config_static_selectorELNS0_4arch9wavefront6targetE0EEEvS12_, .Lfunc_end454-_ZN7rocprim17ROCPRIM_400000_NS6detail17trampoline_kernelINS0_13select_configILj256ELj13ELNS0_17block_load_methodE3ELS4_3ELS4_3ELNS0_20block_scan_algorithmE0ELj4294967295EEENS1_25partition_config_selectorILNS1_17partition_subalgoE4EjNS0_10empty_typeEbEEZZNS1_14partition_implILS8_4ELb0ES6_15HIP_vector_typeIjLj2EENS0_17counting_iteratorIjlEEPS9_SG_NS0_5tupleIJPjSI_NS0_16reverse_iteratorISI_EEEEENSH_IJSG_SG_SG_EEES9_SI_JZNS1_25segmented_radix_sort_implINS0_14default_configELb1EPKiPiPKlPlN2at6native12_GLOBAL__N_18offset_tEEE10hipError_tPvRmT1_PNSt15iterator_traitsIS12_E10value_typeET2_T3_PNS13_IS18_E10value_typeET4_jRbjT5_S1E_jjP12ihipStream_tbEUljE_ZNSN_ISO_Lb1ESQ_SR_ST_SU_SY_EESZ_S10_S11_S12_S16_S17_S18_S1B_S1C_jS1D_jS1E_S1E_jjS1G_bEUljE0_EEESZ_S10_S11_S18_S1C_S1E_T6_T7_T9_mT8_S1G_bDpT10_ENKUlT_T0_E_clISt17integral_constantIbLb0EES1T_IbLb1EEEEDaS1P_S1Q_EUlS1P_E_NS1_11comp_targetILNS1_3genE5ELNS1_11target_archE942ELNS1_3gpuE9ELNS1_3repE0EEENS1_30default_config_static_selectorELNS0_4arch9wavefront6targetE0EEEvS12_
                                        ; -- End function
	.set _ZN7rocprim17ROCPRIM_400000_NS6detail17trampoline_kernelINS0_13select_configILj256ELj13ELNS0_17block_load_methodE3ELS4_3ELS4_3ELNS0_20block_scan_algorithmE0ELj4294967295EEENS1_25partition_config_selectorILNS1_17partition_subalgoE4EjNS0_10empty_typeEbEEZZNS1_14partition_implILS8_4ELb0ES6_15HIP_vector_typeIjLj2EENS0_17counting_iteratorIjlEEPS9_SG_NS0_5tupleIJPjSI_NS0_16reverse_iteratorISI_EEEEENSH_IJSG_SG_SG_EEES9_SI_JZNS1_25segmented_radix_sort_implINS0_14default_configELb1EPKiPiPKlPlN2at6native12_GLOBAL__N_18offset_tEEE10hipError_tPvRmT1_PNSt15iterator_traitsIS12_E10value_typeET2_T3_PNS13_IS18_E10value_typeET4_jRbjT5_S1E_jjP12ihipStream_tbEUljE_ZNSN_ISO_Lb1ESQ_SR_ST_SU_SY_EESZ_S10_S11_S12_S16_S17_S18_S1B_S1C_jS1D_jS1E_S1E_jjS1G_bEUljE0_EEESZ_S10_S11_S18_S1C_S1E_T6_T7_T9_mT8_S1G_bDpT10_ENKUlT_T0_E_clISt17integral_constantIbLb0EES1T_IbLb1EEEEDaS1P_S1Q_EUlS1P_E_NS1_11comp_targetILNS1_3genE5ELNS1_11target_archE942ELNS1_3gpuE9ELNS1_3repE0EEENS1_30default_config_static_selectorELNS0_4arch9wavefront6targetE0EEEvS12_.num_vgpr, 0
	.set _ZN7rocprim17ROCPRIM_400000_NS6detail17trampoline_kernelINS0_13select_configILj256ELj13ELNS0_17block_load_methodE3ELS4_3ELS4_3ELNS0_20block_scan_algorithmE0ELj4294967295EEENS1_25partition_config_selectorILNS1_17partition_subalgoE4EjNS0_10empty_typeEbEEZZNS1_14partition_implILS8_4ELb0ES6_15HIP_vector_typeIjLj2EENS0_17counting_iteratorIjlEEPS9_SG_NS0_5tupleIJPjSI_NS0_16reverse_iteratorISI_EEEEENSH_IJSG_SG_SG_EEES9_SI_JZNS1_25segmented_radix_sort_implINS0_14default_configELb1EPKiPiPKlPlN2at6native12_GLOBAL__N_18offset_tEEE10hipError_tPvRmT1_PNSt15iterator_traitsIS12_E10value_typeET2_T3_PNS13_IS18_E10value_typeET4_jRbjT5_S1E_jjP12ihipStream_tbEUljE_ZNSN_ISO_Lb1ESQ_SR_ST_SU_SY_EESZ_S10_S11_S12_S16_S17_S18_S1B_S1C_jS1D_jS1E_S1E_jjS1G_bEUljE0_EEESZ_S10_S11_S18_S1C_S1E_T6_T7_T9_mT8_S1G_bDpT10_ENKUlT_T0_E_clISt17integral_constantIbLb0EES1T_IbLb1EEEEDaS1P_S1Q_EUlS1P_E_NS1_11comp_targetILNS1_3genE5ELNS1_11target_archE942ELNS1_3gpuE9ELNS1_3repE0EEENS1_30default_config_static_selectorELNS0_4arch9wavefront6targetE0EEEvS12_.num_agpr, 0
	.set _ZN7rocprim17ROCPRIM_400000_NS6detail17trampoline_kernelINS0_13select_configILj256ELj13ELNS0_17block_load_methodE3ELS4_3ELS4_3ELNS0_20block_scan_algorithmE0ELj4294967295EEENS1_25partition_config_selectorILNS1_17partition_subalgoE4EjNS0_10empty_typeEbEEZZNS1_14partition_implILS8_4ELb0ES6_15HIP_vector_typeIjLj2EENS0_17counting_iteratorIjlEEPS9_SG_NS0_5tupleIJPjSI_NS0_16reverse_iteratorISI_EEEEENSH_IJSG_SG_SG_EEES9_SI_JZNS1_25segmented_radix_sort_implINS0_14default_configELb1EPKiPiPKlPlN2at6native12_GLOBAL__N_18offset_tEEE10hipError_tPvRmT1_PNSt15iterator_traitsIS12_E10value_typeET2_T3_PNS13_IS18_E10value_typeET4_jRbjT5_S1E_jjP12ihipStream_tbEUljE_ZNSN_ISO_Lb1ESQ_SR_ST_SU_SY_EESZ_S10_S11_S12_S16_S17_S18_S1B_S1C_jS1D_jS1E_S1E_jjS1G_bEUljE0_EEESZ_S10_S11_S18_S1C_S1E_T6_T7_T9_mT8_S1G_bDpT10_ENKUlT_T0_E_clISt17integral_constantIbLb0EES1T_IbLb1EEEEDaS1P_S1Q_EUlS1P_E_NS1_11comp_targetILNS1_3genE5ELNS1_11target_archE942ELNS1_3gpuE9ELNS1_3repE0EEENS1_30default_config_static_selectorELNS0_4arch9wavefront6targetE0EEEvS12_.numbered_sgpr, 0
	.set _ZN7rocprim17ROCPRIM_400000_NS6detail17trampoline_kernelINS0_13select_configILj256ELj13ELNS0_17block_load_methodE3ELS4_3ELS4_3ELNS0_20block_scan_algorithmE0ELj4294967295EEENS1_25partition_config_selectorILNS1_17partition_subalgoE4EjNS0_10empty_typeEbEEZZNS1_14partition_implILS8_4ELb0ES6_15HIP_vector_typeIjLj2EENS0_17counting_iteratorIjlEEPS9_SG_NS0_5tupleIJPjSI_NS0_16reverse_iteratorISI_EEEEENSH_IJSG_SG_SG_EEES9_SI_JZNS1_25segmented_radix_sort_implINS0_14default_configELb1EPKiPiPKlPlN2at6native12_GLOBAL__N_18offset_tEEE10hipError_tPvRmT1_PNSt15iterator_traitsIS12_E10value_typeET2_T3_PNS13_IS18_E10value_typeET4_jRbjT5_S1E_jjP12ihipStream_tbEUljE_ZNSN_ISO_Lb1ESQ_SR_ST_SU_SY_EESZ_S10_S11_S12_S16_S17_S18_S1B_S1C_jS1D_jS1E_S1E_jjS1G_bEUljE0_EEESZ_S10_S11_S18_S1C_S1E_T6_T7_T9_mT8_S1G_bDpT10_ENKUlT_T0_E_clISt17integral_constantIbLb0EES1T_IbLb1EEEEDaS1P_S1Q_EUlS1P_E_NS1_11comp_targetILNS1_3genE5ELNS1_11target_archE942ELNS1_3gpuE9ELNS1_3repE0EEENS1_30default_config_static_selectorELNS0_4arch9wavefront6targetE0EEEvS12_.num_named_barrier, 0
	.set _ZN7rocprim17ROCPRIM_400000_NS6detail17trampoline_kernelINS0_13select_configILj256ELj13ELNS0_17block_load_methodE3ELS4_3ELS4_3ELNS0_20block_scan_algorithmE0ELj4294967295EEENS1_25partition_config_selectorILNS1_17partition_subalgoE4EjNS0_10empty_typeEbEEZZNS1_14partition_implILS8_4ELb0ES6_15HIP_vector_typeIjLj2EENS0_17counting_iteratorIjlEEPS9_SG_NS0_5tupleIJPjSI_NS0_16reverse_iteratorISI_EEEEENSH_IJSG_SG_SG_EEES9_SI_JZNS1_25segmented_radix_sort_implINS0_14default_configELb1EPKiPiPKlPlN2at6native12_GLOBAL__N_18offset_tEEE10hipError_tPvRmT1_PNSt15iterator_traitsIS12_E10value_typeET2_T3_PNS13_IS18_E10value_typeET4_jRbjT5_S1E_jjP12ihipStream_tbEUljE_ZNSN_ISO_Lb1ESQ_SR_ST_SU_SY_EESZ_S10_S11_S12_S16_S17_S18_S1B_S1C_jS1D_jS1E_S1E_jjS1G_bEUljE0_EEESZ_S10_S11_S18_S1C_S1E_T6_T7_T9_mT8_S1G_bDpT10_ENKUlT_T0_E_clISt17integral_constantIbLb0EES1T_IbLb1EEEEDaS1P_S1Q_EUlS1P_E_NS1_11comp_targetILNS1_3genE5ELNS1_11target_archE942ELNS1_3gpuE9ELNS1_3repE0EEENS1_30default_config_static_selectorELNS0_4arch9wavefront6targetE0EEEvS12_.private_seg_size, 0
	.set _ZN7rocprim17ROCPRIM_400000_NS6detail17trampoline_kernelINS0_13select_configILj256ELj13ELNS0_17block_load_methodE3ELS4_3ELS4_3ELNS0_20block_scan_algorithmE0ELj4294967295EEENS1_25partition_config_selectorILNS1_17partition_subalgoE4EjNS0_10empty_typeEbEEZZNS1_14partition_implILS8_4ELb0ES6_15HIP_vector_typeIjLj2EENS0_17counting_iteratorIjlEEPS9_SG_NS0_5tupleIJPjSI_NS0_16reverse_iteratorISI_EEEEENSH_IJSG_SG_SG_EEES9_SI_JZNS1_25segmented_radix_sort_implINS0_14default_configELb1EPKiPiPKlPlN2at6native12_GLOBAL__N_18offset_tEEE10hipError_tPvRmT1_PNSt15iterator_traitsIS12_E10value_typeET2_T3_PNS13_IS18_E10value_typeET4_jRbjT5_S1E_jjP12ihipStream_tbEUljE_ZNSN_ISO_Lb1ESQ_SR_ST_SU_SY_EESZ_S10_S11_S12_S16_S17_S18_S1B_S1C_jS1D_jS1E_S1E_jjS1G_bEUljE0_EEESZ_S10_S11_S18_S1C_S1E_T6_T7_T9_mT8_S1G_bDpT10_ENKUlT_T0_E_clISt17integral_constantIbLb0EES1T_IbLb1EEEEDaS1P_S1Q_EUlS1P_E_NS1_11comp_targetILNS1_3genE5ELNS1_11target_archE942ELNS1_3gpuE9ELNS1_3repE0EEENS1_30default_config_static_selectorELNS0_4arch9wavefront6targetE0EEEvS12_.uses_vcc, 0
	.set _ZN7rocprim17ROCPRIM_400000_NS6detail17trampoline_kernelINS0_13select_configILj256ELj13ELNS0_17block_load_methodE3ELS4_3ELS4_3ELNS0_20block_scan_algorithmE0ELj4294967295EEENS1_25partition_config_selectorILNS1_17partition_subalgoE4EjNS0_10empty_typeEbEEZZNS1_14partition_implILS8_4ELb0ES6_15HIP_vector_typeIjLj2EENS0_17counting_iteratorIjlEEPS9_SG_NS0_5tupleIJPjSI_NS0_16reverse_iteratorISI_EEEEENSH_IJSG_SG_SG_EEES9_SI_JZNS1_25segmented_radix_sort_implINS0_14default_configELb1EPKiPiPKlPlN2at6native12_GLOBAL__N_18offset_tEEE10hipError_tPvRmT1_PNSt15iterator_traitsIS12_E10value_typeET2_T3_PNS13_IS18_E10value_typeET4_jRbjT5_S1E_jjP12ihipStream_tbEUljE_ZNSN_ISO_Lb1ESQ_SR_ST_SU_SY_EESZ_S10_S11_S12_S16_S17_S18_S1B_S1C_jS1D_jS1E_S1E_jjS1G_bEUljE0_EEESZ_S10_S11_S18_S1C_S1E_T6_T7_T9_mT8_S1G_bDpT10_ENKUlT_T0_E_clISt17integral_constantIbLb0EES1T_IbLb1EEEEDaS1P_S1Q_EUlS1P_E_NS1_11comp_targetILNS1_3genE5ELNS1_11target_archE942ELNS1_3gpuE9ELNS1_3repE0EEENS1_30default_config_static_selectorELNS0_4arch9wavefront6targetE0EEEvS12_.uses_flat_scratch, 0
	.set _ZN7rocprim17ROCPRIM_400000_NS6detail17trampoline_kernelINS0_13select_configILj256ELj13ELNS0_17block_load_methodE3ELS4_3ELS4_3ELNS0_20block_scan_algorithmE0ELj4294967295EEENS1_25partition_config_selectorILNS1_17partition_subalgoE4EjNS0_10empty_typeEbEEZZNS1_14partition_implILS8_4ELb0ES6_15HIP_vector_typeIjLj2EENS0_17counting_iteratorIjlEEPS9_SG_NS0_5tupleIJPjSI_NS0_16reverse_iteratorISI_EEEEENSH_IJSG_SG_SG_EEES9_SI_JZNS1_25segmented_radix_sort_implINS0_14default_configELb1EPKiPiPKlPlN2at6native12_GLOBAL__N_18offset_tEEE10hipError_tPvRmT1_PNSt15iterator_traitsIS12_E10value_typeET2_T3_PNS13_IS18_E10value_typeET4_jRbjT5_S1E_jjP12ihipStream_tbEUljE_ZNSN_ISO_Lb1ESQ_SR_ST_SU_SY_EESZ_S10_S11_S12_S16_S17_S18_S1B_S1C_jS1D_jS1E_S1E_jjS1G_bEUljE0_EEESZ_S10_S11_S18_S1C_S1E_T6_T7_T9_mT8_S1G_bDpT10_ENKUlT_T0_E_clISt17integral_constantIbLb0EES1T_IbLb1EEEEDaS1P_S1Q_EUlS1P_E_NS1_11comp_targetILNS1_3genE5ELNS1_11target_archE942ELNS1_3gpuE9ELNS1_3repE0EEENS1_30default_config_static_selectorELNS0_4arch9wavefront6targetE0EEEvS12_.has_dyn_sized_stack, 0
	.set _ZN7rocprim17ROCPRIM_400000_NS6detail17trampoline_kernelINS0_13select_configILj256ELj13ELNS0_17block_load_methodE3ELS4_3ELS4_3ELNS0_20block_scan_algorithmE0ELj4294967295EEENS1_25partition_config_selectorILNS1_17partition_subalgoE4EjNS0_10empty_typeEbEEZZNS1_14partition_implILS8_4ELb0ES6_15HIP_vector_typeIjLj2EENS0_17counting_iteratorIjlEEPS9_SG_NS0_5tupleIJPjSI_NS0_16reverse_iteratorISI_EEEEENSH_IJSG_SG_SG_EEES9_SI_JZNS1_25segmented_radix_sort_implINS0_14default_configELb1EPKiPiPKlPlN2at6native12_GLOBAL__N_18offset_tEEE10hipError_tPvRmT1_PNSt15iterator_traitsIS12_E10value_typeET2_T3_PNS13_IS18_E10value_typeET4_jRbjT5_S1E_jjP12ihipStream_tbEUljE_ZNSN_ISO_Lb1ESQ_SR_ST_SU_SY_EESZ_S10_S11_S12_S16_S17_S18_S1B_S1C_jS1D_jS1E_S1E_jjS1G_bEUljE0_EEESZ_S10_S11_S18_S1C_S1E_T6_T7_T9_mT8_S1G_bDpT10_ENKUlT_T0_E_clISt17integral_constantIbLb0EES1T_IbLb1EEEEDaS1P_S1Q_EUlS1P_E_NS1_11comp_targetILNS1_3genE5ELNS1_11target_archE942ELNS1_3gpuE9ELNS1_3repE0EEENS1_30default_config_static_selectorELNS0_4arch9wavefront6targetE0EEEvS12_.has_recursion, 0
	.set _ZN7rocprim17ROCPRIM_400000_NS6detail17trampoline_kernelINS0_13select_configILj256ELj13ELNS0_17block_load_methodE3ELS4_3ELS4_3ELNS0_20block_scan_algorithmE0ELj4294967295EEENS1_25partition_config_selectorILNS1_17partition_subalgoE4EjNS0_10empty_typeEbEEZZNS1_14partition_implILS8_4ELb0ES6_15HIP_vector_typeIjLj2EENS0_17counting_iteratorIjlEEPS9_SG_NS0_5tupleIJPjSI_NS0_16reverse_iteratorISI_EEEEENSH_IJSG_SG_SG_EEES9_SI_JZNS1_25segmented_radix_sort_implINS0_14default_configELb1EPKiPiPKlPlN2at6native12_GLOBAL__N_18offset_tEEE10hipError_tPvRmT1_PNSt15iterator_traitsIS12_E10value_typeET2_T3_PNS13_IS18_E10value_typeET4_jRbjT5_S1E_jjP12ihipStream_tbEUljE_ZNSN_ISO_Lb1ESQ_SR_ST_SU_SY_EESZ_S10_S11_S12_S16_S17_S18_S1B_S1C_jS1D_jS1E_S1E_jjS1G_bEUljE0_EEESZ_S10_S11_S18_S1C_S1E_T6_T7_T9_mT8_S1G_bDpT10_ENKUlT_T0_E_clISt17integral_constantIbLb0EES1T_IbLb1EEEEDaS1P_S1Q_EUlS1P_E_NS1_11comp_targetILNS1_3genE5ELNS1_11target_archE942ELNS1_3gpuE9ELNS1_3repE0EEENS1_30default_config_static_selectorELNS0_4arch9wavefront6targetE0EEEvS12_.has_indirect_call, 0
	.section	.AMDGPU.csdata,"",@progbits
; Kernel info:
; codeLenInByte = 0
; TotalNumSgprs: 0
; NumVgprs: 0
; ScratchSize: 0
; MemoryBound: 0
; FloatMode: 240
; IeeeMode: 1
; LDSByteSize: 0 bytes/workgroup (compile time only)
; SGPRBlocks: 0
; VGPRBlocks: 0
; NumSGPRsForWavesPerEU: 1
; NumVGPRsForWavesPerEU: 1
; Occupancy: 16
; WaveLimiterHint : 0
; COMPUTE_PGM_RSRC2:SCRATCH_EN: 0
; COMPUTE_PGM_RSRC2:USER_SGPR: 6
; COMPUTE_PGM_RSRC2:TRAP_HANDLER: 0
; COMPUTE_PGM_RSRC2:TGID_X_EN: 1
; COMPUTE_PGM_RSRC2:TGID_Y_EN: 0
; COMPUTE_PGM_RSRC2:TGID_Z_EN: 0
; COMPUTE_PGM_RSRC2:TIDIG_COMP_CNT: 0
	.section	.text._ZN7rocprim17ROCPRIM_400000_NS6detail17trampoline_kernelINS0_13select_configILj256ELj13ELNS0_17block_load_methodE3ELS4_3ELS4_3ELNS0_20block_scan_algorithmE0ELj4294967295EEENS1_25partition_config_selectorILNS1_17partition_subalgoE4EjNS0_10empty_typeEbEEZZNS1_14partition_implILS8_4ELb0ES6_15HIP_vector_typeIjLj2EENS0_17counting_iteratorIjlEEPS9_SG_NS0_5tupleIJPjSI_NS0_16reverse_iteratorISI_EEEEENSH_IJSG_SG_SG_EEES9_SI_JZNS1_25segmented_radix_sort_implINS0_14default_configELb1EPKiPiPKlPlN2at6native12_GLOBAL__N_18offset_tEEE10hipError_tPvRmT1_PNSt15iterator_traitsIS12_E10value_typeET2_T3_PNS13_IS18_E10value_typeET4_jRbjT5_S1E_jjP12ihipStream_tbEUljE_ZNSN_ISO_Lb1ESQ_SR_ST_SU_SY_EESZ_S10_S11_S12_S16_S17_S18_S1B_S1C_jS1D_jS1E_S1E_jjS1G_bEUljE0_EEESZ_S10_S11_S18_S1C_S1E_T6_T7_T9_mT8_S1G_bDpT10_ENKUlT_T0_E_clISt17integral_constantIbLb0EES1T_IbLb1EEEEDaS1P_S1Q_EUlS1P_E_NS1_11comp_targetILNS1_3genE4ELNS1_11target_archE910ELNS1_3gpuE8ELNS1_3repE0EEENS1_30default_config_static_selectorELNS0_4arch9wavefront6targetE0EEEvS12_,"axG",@progbits,_ZN7rocprim17ROCPRIM_400000_NS6detail17trampoline_kernelINS0_13select_configILj256ELj13ELNS0_17block_load_methodE3ELS4_3ELS4_3ELNS0_20block_scan_algorithmE0ELj4294967295EEENS1_25partition_config_selectorILNS1_17partition_subalgoE4EjNS0_10empty_typeEbEEZZNS1_14partition_implILS8_4ELb0ES6_15HIP_vector_typeIjLj2EENS0_17counting_iteratorIjlEEPS9_SG_NS0_5tupleIJPjSI_NS0_16reverse_iteratorISI_EEEEENSH_IJSG_SG_SG_EEES9_SI_JZNS1_25segmented_radix_sort_implINS0_14default_configELb1EPKiPiPKlPlN2at6native12_GLOBAL__N_18offset_tEEE10hipError_tPvRmT1_PNSt15iterator_traitsIS12_E10value_typeET2_T3_PNS13_IS18_E10value_typeET4_jRbjT5_S1E_jjP12ihipStream_tbEUljE_ZNSN_ISO_Lb1ESQ_SR_ST_SU_SY_EESZ_S10_S11_S12_S16_S17_S18_S1B_S1C_jS1D_jS1E_S1E_jjS1G_bEUljE0_EEESZ_S10_S11_S18_S1C_S1E_T6_T7_T9_mT8_S1G_bDpT10_ENKUlT_T0_E_clISt17integral_constantIbLb0EES1T_IbLb1EEEEDaS1P_S1Q_EUlS1P_E_NS1_11comp_targetILNS1_3genE4ELNS1_11target_archE910ELNS1_3gpuE8ELNS1_3repE0EEENS1_30default_config_static_selectorELNS0_4arch9wavefront6targetE0EEEvS12_,comdat
	.globl	_ZN7rocprim17ROCPRIM_400000_NS6detail17trampoline_kernelINS0_13select_configILj256ELj13ELNS0_17block_load_methodE3ELS4_3ELS4_3ELNS0_20block_scan_algorithmE0ELj4294967295EEENS1_25partition_config_selectorILNS1_17partition_subalgoE4EjNS0_10empty_typeEbEEZZNS1_14partition_implILS8_4ELb0ES6_15HIP_vector_typeIjLj2EENS0_17counting_iteratorIjlEEPS9_SG_NS0_5tupleIJPjSI_NS0_16reverse_iteratorISI_EEEEENSH_IJSG_SG_SG_EEES9_SI_JZNS1_25segmented_radix_sort_implINS0_14default_configELb1EPKiPiPKlPlN2at6native12_GLOBAL__N_18offset_tEEE10hipError_tPvRmT1_PNSt15iterator_traitsIS12_E10value_typeET2_T3_PNS13_IS18_E10value_typeET4_jRbjT5_S1E_jjP12ihipStream_tbEUljE_ZNSN_ISO_Lb1ESQ_SR_ST_SU_SY_EESZ_S10_S11_S12_S16_S17_S18_S1B_S1C_jS1D_jS1E_S1E_jjS1G_bEUljE0_EEESZ_S10_S11_S18_S1C_S1E_T6_T7_T9_mT8_S1G_bDpT10_ENKUlT_T0_E_clISt17integral_constantIbLb0EES1T_IbLb1EEEEDaS1P_S1Q_EUlS1P_E_NS1_11comp_targetILNS1_3genE4ELNS1_11target_archE910ELNS1_3gpuE8ELNS1_3repE0EEENS1_30default_config_static_selectorELNS0_4arch9wavefront6targetE0EEEvS12_ ; -- Begin function _ZN7rocprim17ROCPRIM_400000_NS6detail17trampoline_kernelINS0_13select_configILj256ELj13ELNS0_17block_load_methodE3ELS4_3ELS4_3ELNS0_20block_scan_algorithmE0ELj4294967295EEENS1_25partition_config_selectorILNS1_17partition_subalgoE4EjNS0_10empty_typeEbEEZZNS1_14partition_implILS8_4ELb0ES6_15HIP_vector_typeIjLj2EENS0_17counting_iteratorIjlEEPS9_SG_NS0_5tupleIJPjSI_NS0_16reverse_iteratorISI_EEEEENSH_IJSG_SG_SG_EEES9_SI_JZNS1_25segmented_radix_sort_implINS0_14default_configELb1EPKiPiPKlPlN2at6native12_GLOBAL__N_18offset_tEEE10hipError_tPvRmT1_PNSt15iterator_traitsIS12_E10value_typeET2_T3_PNS13_IS18_E10value_typeET4_jRbjT5_S1E_jjP12ihipStream_tbEUljE_ZNSN_ISO_Lb1ESQ_SR_ST_SU_SY_EESZ_S10_S11_S12_S16_S17_S18_S1B_S1C_jS1D_jS1E_S1E_jjS1G_bEUljE0_EEESZ_S10_S11_S18_S1C_S1E_T6_T7_T9_mT8_S1G_bDpT10_ENKUlT_T0_E_clISt17integral_constantIbLb0EES1T_IbLb1EEEEDaS1P_S1Q_EUlS1P_E_NS1_11comp_targetILNS1_3genE4ELNS1_11target_archE910ELNS1_3gpuE8ELNS1_3repE0EEENS1_30default_config_static_selectorELNS0_4arch9wavefront6targetE0EEEvS12_
	.p2align	8
	.type	_ZN7rocprim17ROCPRIM_400000_NS6detail17trampoline_kernelINS0_13select_configILj256ELj13ELNS0_17block_load_methodE3ELS4_3ELS4_3ELNS0_20block_scan_algorithmE0ELj4294967295EEENS1_25partition_config_selectorILNS1_17partition_subalgoE4EjNS0_10empty_typeEbEEZZNS1_14partition_implILS8_4ELb0ES6_15HIP_vector_typeIjLj2EENS0_17counting_iteratorIjlEEPS9_SG_NS0_5tupleIJPjSI_NS0_16reverse_iteratorISI_EEEEENSH_IJSG_SG_SG_EEES9_SI_JZNS1_25segmented_radix_sort_implINS0_14default_configELb1EPKiPiPKlPlN2at6native12_GLOBAL__N_18offset_tEEE10hipError_tPvRmT1_PNSt15iterator_traitsIS12_E10value_typeET2_T3_PNS13_IS18_E10value_typeET4_jRbjT5_S1E_jjP12ihipStream_tbEUljE_ZNSN_ISO_Lb1ESQ_SR_ST_SU_SY_EESZ_S10_S11_S12_S16_S17_S18_S1B_S1C_jS1D_jS1E_S1E_jjS1G_bEUljE0_EEESZ_S10_S11_S18_S1C_S1E_T6_T7_T9_mT8_S1G_bDpT10_ENKUlT_T0_E_clISt17integral_constantIbLb0EES1T_IbLb1EEEEDaS1P_S1Q_EUlS1P_E_NS1_11comp_targetILNS1_3genE4ELNS1_11target_archE910ELNS1_3gpuE8ELNS1_3repE0EEENS1_30default_config_static_selectorELNS0_4arch9wavefront6targetE0EEEvS12_,@function
_ZN7rocprim17ROCPRIM_400000_NS6detail17trampoline_kernelINS0_13select_configILj256ELj13ELNS0_17block_load_methodE3ELS4_3ELS4_3ELNS0_20block_scan_algorithmE0ELj4294967295EEENS1_25partition_config_selectorILNS1_17partition_subalgoE4EjNS0_10empty_typeEbEEZZNS1_14partition_implILS8_4ELb0ES6_15HIP_vector_typeIjLj2EENS0_17counting_iteratorIjlEEPS9_SG_NS0_5tupleIJPjSI_NS0_16reverse_iteratorISI_EEEEENSH_IJSG_SG_SG_EEES9_SI_JZNS1_25segmented_radix_sort_implINS0_14default_configELb1EPKiPiPKlPlN2at6native12_GLOBAL__N_18offset_tEEE10hipError_tPvRmT1_PNSt15iterator_traitsIS12_E10value_typeET2_T3_PNS13_IS18_E10value_typeET4_jRbjT5_S1E_jjP12ihipStream_tbEUljE_ZNSN_ISO_Lb1ESQ_SR_ST_SU_SY_EESZ_S10_S11_S12_S16_S17_S18_S1B_S1C_jS1D_jS1E_S1E_jjS1G_bEUljE0_EEESZ_S10_S11_S18_S1C_S1E_T6_T7_T9_mT8_S1G_bDpT10_ENKUlT_T0_E_clISt17integral_constantIbLb0EES1T_IbLb1EEEEDaS1P_S1Q_EUlS1P_E_NS1_11comp_targetILNS1_3genE4ELNS1_11target_archE910ELNS1_3gpuE8ELNS1_3repE0EEENS1_30default_config_static_selectorELNS0_4arch9wavefront6targetE0EEEvS12_: ; @_ZN7rocprim17ROCPRIM_400000_NS6detail17trampoline_kernelINS0_13select_configILj256ELj13ELNS0_17block_load_methodE3ELS4_3ELS4_3ELNS0_20block_scan_algorithmE0ELj4294967295EEENS1_25partition_config_selectorILNS1_17partition_subalgoE4EjNS0_10empty_typeEbEEZZNS1_14partition_implILS8_4ELb0ES6_15HIP_vector_typeIjLj2EENS0_17counting_iteratorIjlEEPS9_SG_NS0_5tupleIJPjSI_NS0_16reverse_iteratorISI_EEEEENSH_IJSG_SG_SG_EEES9_SI_JZNS1_25segmented_radix_sort_implINS0_14default_configELb1EPKiPiPKlPlN2at6native12_GLOBAL__N_18offset_tEEE10hipError_tPvRmT1_PNSt15iterator_traitsIS12_E10value_typeET2_T3_PNS13_IS18_E10value_typeET4_jRbjT5_S1E_jjP12ihipStream_tbEUljE_ZNSN_ISO_Lb1ESQ_SR_ST_SU_SY_EESZ_S10_S11_S12_S16_S17_S18_S1B_S1C_jS1D_jS1E_S1E_jjS1G_bEUljE0_EEESZ_S10_S11_S18_S1C_S1E_T6_T7_T9_mT8_S1G_bDpT10_ENKUlT_T0_E_clISt17integral_constantIbLb0EES1T_IbLb1EEEEDaS1P_S1Q_EUlS1P_E_NS1_11comp_targetILNS1_3genE4ELNS1_11target_archE910ELNS1_3gpuE8ELNS1_3repE0EEENS1_30default_config_static_selectorELNS0_4arch9wavefront6targetE0EEEvS12_
; %bb.0:
	.section	.rodata,"a",@progbits
	.p2align	6, 0x0
	.amdhsa_kernel _ZN7rocprim17ROCPRIM_400000_NS6detail17trampoline_kernelINS0_13select_configILj256ELj13ELNS0_17block_load_methodE3ELS4_3ELS4_3ELNS0_20block_scan_algorithmE0ELj4294967295EEENS1_25partition_config_selectorILNS1_17partition_subalgoE4EjNS0_10empty_typeEbEEZZNS1_14partition_implILS8_4ELb0ES6_15HIP_vector_typeIjLj2EENS0_17counting_iteratorIjlEEPS9_SG_NS0_5tupleIJPjSI_NS0_16reverse_iteratorISI_EEEEENSH_IJSG_SG_SG_EEES9_SI_JZNS1_25segmented_radix_sort_implINS0_14default_configELb1EPKiPiPKlPlN2at6native12_GLOBAL__N_18offset_tEEE10hipError_tPvRmT1_PNSt15iterator_traitsIS12_E10value_typeET2_T3_PNS13_IS18_E10value_typeET4_jRbjT5_S1E_jjP12ihipStream_tbEUljE_ZNSN_ISO_Lb1ESQ_SR_ST_SU_SY_EESZ_S10_S11_S12_S16_S17_S18_S1B_S1C_jS1D_jS1E_S1E_jjS1G_bEUljE0_EEESZ_S10_S11_S18_S1C_S1E_T6_T7_T9_mT8_S1G_bDpT10_ENKUlT_T0_E_clISt17integral_constantIbLb0EES1T_IbLb1EEEEDaS1P_S1Q_EUlS1P_E_NS1_11comp_targetILNS1_3genE4ELNS1_11target_archE910ELNS1_3gpuE8ELNS1_3repE0EEENS1_30default_config_static_selectorELNS0_4arch9wavefront6targetE0EEEvS12_
		.amdhsa_group_segment_fixed_size 0
		.amdhsa_private_segment_fixed_size 0
		.amdhsa_kernarg_size 184
		.amdhsa_user_sgpr_count 6
		.amdhsa_user_sgpr_private_segment_buffer 1
		.amdhsa_user_sgpr_dispatch_ptr 0
		.amdhsa_user_sgpr_queue_ptr 0
		.amdhsa_user_sgpr_kernarg_segment_ptr 1
		.amdhsa_user_sgpr_dispatch_id 0
		.amdhsa_user_sgpr_flat_scratch_init 0
		.amdhsa_user_sgpr_private_segment_size 0
		.amdhsa_wavefront_size32 1
		.amdhsa_uses_dynamic_stack 0
		.amdhsa_system_sgpr_private_segment_wavefront_offset 0
		.amdhsa_system_sgpr_workgroup_id_x 1
		.amdhsa_system_sgpr_workgroup_id_y 0
		.amdhsa_system_sgpr_workgroup_id_z 0
		.amdhsa_system_sgpr_workgroup_info 0
		.amdhsa_system_vgpr_workitem_id 0
		.amdhsa_next_free_vgpr 1
		.amdhsa_next_free_sgpr 1
		.amdhsa_reserve_vcc 0
		.amdhsa_reserve_flat_scratch 0
		.amdhsa_float_round_mode_32 0
		.amdhsa_float_round_mode_16_64 0
		.amdhsa_float_denorm_mode_32 3
		.amdhsa_float_denorm_mode_16_64 3
		.amdhsa_dx10_clamp 1
		.amdhsa_ieee_mode 1
		.amdhsa_fp16_overflow 0
		.amdhsa_workgroup_processor_mode 1
		.amdhsa_memory_ordered 1
		.amdhsa_forward_progress 1
		.amdhsa_shared_vgpr_count 0
		.amdhsa_exception_fp_ieee_invalid_op 0
		.amdhsa_exception_fp_denorm_src 0
		.amdhsa_exception_fp_ieee_div_zero 0
		.amdhsa_exception_fp_ieee_overflow 0
		.amdhsa_exception_fp_ieee_underflow 0
		.amdhsa_exception_fp_ieee_inexact 0
		.amdhsa_exception_int_div_zero 0
	.end_amdhsa_kernel
	.section	.text._ZN7rocprim17ROCPRIM_400000_NS6detail17trampoline_kernelINS0_13select_configILj256ELj13ELNS0_17block_load_methodE3ELS4_3ELS4_3ELNS0_20block_scan_algorithmE0ELj4294967295EEENS1_25partition_config_selectorILNS1_17partition_subalgoE4EjNS0_10empty_typeEbEEZZNS1_14partition_implILS8_4ELb0ES6_15HIP_vector_typeIjLj2EENS0_17counting_iteratorIjlEEPS9_SG_NS0_5tupleIJPjSI_NS0_16reverse_iteratorISI_EEEEENSH_IJSG_SG_SG_EEES9_SI_JZNS1_25segmented_radix_sort_implINS0_14default_configELb1EPKiPiPKlPlN2at6native12_GLOBAL__N_18offset_tEEE10hipError_tPvRmT1_PNSt15iterator_traitsIS12_E10value_typeET2_T3_PNS13_IS18_E10value_typeET4_jRbjT5_S1E_jjP12ihipStream_tbEUljE_ZNSN_ISO_Lb1ESQ_SR_ST_SU_SY_EESZ_S10_S11_S12_S16_S17_S18_S1B_S1C_jS1D_jS1E_S1E_jjS1G_bEUljE0_EEESZ_S10_S11_S18_S1C_S1E_T6_T7_T9_mT8_S1G_bDpT10_ENKUlT_T0_E_clISt17integral_constantIbLb0EES1T_IbLb1EEEEDaS1P_S1Q_EUlS1P_E_NS1_11comp_targetILNS1_3genE4ELNS1_11target_archE910ELNS1_3gpuE8ELNS1_3repE0EEENS1_30default_config_static_selectorELNS0_4arch9wavefront6targetE0EEEvS12_,"axG",@progbits,_ZN7rocprim17ROCPRIM_400000_NS6detail17trampoline_kernelINS0_13select_configILj256ELj13ELNS0_17block_load_methodE3ELS4_3ELS4_3ELNS0_20block_scan_algorithmE0ELj4294967295EEENS1_25partition_config_selectorILNS1_17partition_subalgoE4EjNS0_10empty_typeEbEEZZNS1_14partition_implILS8_4ELb0ES6_15HIP_vector_typeIjLj2EENS0_17counting_iteratorIjlEEPS9_SG_NS0_5tupleIJPjSI_NS0_16reverse_iteratorISI_EEEEENSH_IJSG_SG_SG_EEES9_SI_JZNS1_25segmented_radix_sort_implINS0_14default_configELb1EPKiPiPKlPlN2at6native12_GLOBAL__N_18offset_tEEE10hipError_tPvRmT1_PNSt15iterator_traitsIS12_E10value_typeET2_T3_PNS13_IS18_E10value_typeET4_jRbjT5_S1E_jjP12ihipStream_tbEUljE_ZNSN_ISO_Lb1ESQ_SR_ST_SU_SY_EESZ_S10_S11_S12_S16_S17_S18_S1B_S1C_jS1D_jS1E_S1E_jjS1G_bEUljE0_EEESZ_S10_S11_S18_S1C_S1E_T6_T7_T9_mT8_S1G_bDpT10_ENKUlT_T0_E_clISt17integral_constantIbLb0EES1T_IbLb1EEEEDaS1P_S1Q_EUlS1P_E_NS1_11comp_targetILNS1_3genE4ELNS1_11target_archE910ELNS1_3gpuE8ELNS1_3repE0EEENS1_30default_config_static_selectorELNS0_4arch9wavefront6targetE0EEEvS12_,comdat
.Lfunc_end455:
	.size	_ZN7rocprim17ROCPRIM_400000_NS6detail17trampoline_kernelINS0_13select_configILj256ELj13ELNS0_17block_load_methodE3ELS4_3ELS4_3ELNS0_20block_scan_algorithmE0ELj4294967295EEENS1_25partition_config_selectorILNS1_17partition_subalgoE4EjNS0_10empty_typeEbEEZZNS1_14partition_implILS8_4ELb0ES6_15HIP_vector_typeIjLj2EENS0_17counting_iteratorIjlEEPS9_SG_NS0_5tupleIJPjSI_NS0_16reverse_iteratorISI_EEEEENSH_IJSG_SG_SG_EEES9_SI_JZNS1_25segmented_radix_sort_implINS0_14default_configELb1EPKiPiPKlPlN2at6native12_GLOBAL__N_18offset_tEEE10hipError_tPvRmT1_PNSt15iterator_traitsIS12_E10value_typeET2_T3_PNS13_IS18_E10value_typeET4_jRbjT5_S1E_jjP12ihipStream_tbEUljE_ZNSN_ISO_Lb1ESQ_SR_ST_SU_SY_EESZ_S10_S11_S12_S16_S17_S18_S1B_S1C_jS1D_jS1E_S1E_jjS1G_bEUljE0_EEESZ_S10_S11_S18_S1C_S1E_T6_T7_T9_mT8_S1G_bDpT10_ENKUlT_T0_E_clISt17integral_constantIbLb0EES1T_IbLb1EEEEDaS1P_S1Q_EUlS1P_E_NS1_11comp_targetILNS1_3genE4ELNS1_11target_archE910ELNS1_3gpuE8ELNS1_3repE0EEENS1_30default_config_static_selectorELNS0_4arch9wavefront6targetE0EEEvS12_, .Lfunc_end455-_ZN7rocprim17ROCPRIM_400000_NS6detail17trampoline_kernelINS0_13select_configILj256ELj13ELNS0_17block_load_methodE3ELS4_3ELS4_3ELNS0_20block_scan_algorithmE0ELj4294967295EEENS1_25partition_config_selectorILNS1_17partition_subalgoE4EjNS0_10empty_typeEbEEZZNS1_14partition_implILS8_4ELb0ES6_15HIP_vector_typeIjLj2EENS0_17counting_iteratorIjlEEPS9_SG_NS0_5tupleIJPjSI_NS0_16reverse_iteratorISI_EEEEENSH_IJSG_SG_SG_EEES9_SI_JZNS1_25segmented_radix_sort_implINS0_14default_configELb1EPKiPiPKlPlN2at6native12_GLOBAL__N_18offset_tEEE10hipError_tPvRmT1_PNSt15iterator_traitsIS12_E10value_typeET2_T3_PNS13_IS18_E10value_typeET4_jRbjT5_S1E_jjP12ihipStream_tbEUljE_ZNSN_ISO_Lb1ESQ_SR_ST_SU_SY_EESZ_S10_S11_S12_S16_S17_S18_S1B_S1C_jS1D_jS1E_S1E_jjS1G_bEUljE0_EEESZ_S10_S11_S18_S1C_S1E_T6_T7_T9_mT8_S1G_bDpT10_ENKUlT_T0_E_clISt17integral_constantIbLb0EES1T_IbLb1EEEEDaS1P_S1Q_EUlS1P_E_NS1_11comp_targetILNS1_3genE4ELNS1_11target_archE910ELNS1_3gpuE8ELNS1_3repE0EEENS1_30default_config_static_selectorELNS0_4arch9wavefront6targetE0EEEvS12_
                                        ; -- End function
	.set _ZN7rocprim17ROCPRIM_400000_NS6detail17trampoline_kernelINS0_13select_configILj256ELj13ELNS0_17block_load_methodE3ELS4_3ELS4_3ELNS0_20block_scan_algorithmE0ELj4294967295EEENS1_25partition_config_selectorILNS1_17partition_subalgoE4EjNS0_10empty_typeEbEEZZNS1_14partition_implILS8_4ELb0ES6_15HIP_vector_typeIjLj2EENS0_17counting_iteratorIjlEEPS9_SG_NS0_5tupleIJPjSI_NS0_16reverse_iteratorISI_EEEEENSH_IJSG_SG_SG_EEES9_SI_JZNS1_25segmented_radix_sort_implINS0_14default_configELb1EPKiPiPKlPlN2at6native12_GLOBAL__N_18offset_tEEE10hipError_tPvRmT1_PNSt15iterator_traitsIS12_E10value_typeET2_T3_PNS13_IS18_E10value_typeET4_jRbjT5_S1E_jjP12ihipStream_tbEUljE_ZNSN_ISO_Lb1ESQ_SR_ST_SU_SY_EESZ_S10_S11_S12_S16_S17_S18_S1B_S1C_jS1D_jS1E_S1E_jjS1G_bEUljE0_EEESZ_S10_S11_S18_S1C_S1E_T6_T7_T9_mT8_S1G_bDpT10_ENKUlT_T0_E_clISt17integral_constantIbLb0EES1T_IbLb1EEEEDaS1P_S1Q_EUlS1P_E_NS1_11comp_targetILNS1_3genE4ELNS1_11target_archE910ELNS1_3gpuE8ELNS1_3repE0EEENS1_30default_config_static_selectorELNS0_4arch9wavefront6targetE0EEEvS12_.num_vgpr, 0
	.set _ZN7rocprim17ROCPRIM_400000_NS6detail17trampoline_kernelINS0_13select_configILj256ELj13ELNS0_17block_load_methodE3ELS4_3ELS4_3ELNS0_20block_scan_algorithmE0ELj4294967295EEENS1_25partition_config_selectorILNS1_17partition_subalgoE4EjNS0_10empty_typeEbEEZZNS1_14partition_implILS8_4ELb0ES6_15HIP_vector_typeIjLj2EENS0_17counting_iteratorIjlEEPS9_SG_NS0_5tupleIJPjSI_NS0_16reverse_iteratorISI_EEEEENSH_IJSG_SG_SG_EEES9_SI_JZNS1_25segmented_radix_sort_implINS0_14default_configELb1EPKiPiPKlPlN2at6native12_GLOBAL__N_18offset_tEEE10hipError_tPvRmT1_PNSt15iterator_traitsIS12_E10value_typeET2_T3_PNS13_IS18_E10value_typeET4_jRbjT5_S1E_jjP12ihipStream_tbEUljE_ZNSN_ISO_Lb1ESQ_SR_ST_SU_SY_EESZ_S10_S11_S12_S16_S17_S18_S1B_S1C_jS1D_jS1E_S1E_jjS1G_bEUljE0_EEESZ_S10_S11_S18_S1C_S1E_T6_T7_T9_mT8_S1G_bDpT10_ENKUlT_T0_E_clISt17integral_constantIbLb0EES1T_IbLb1EEEEDaS1P_S1Q_EUlS1P_E_NS1_11comp_targetILNS1_3genE4ELNS1_11target_archE910ELNS1_3gpuE8ELNS1_3repE0EEENS1_30default_config_static_selectorELNS0_4arch9wavefront6targetE0EEEvS12_.num_agpr, 0
	.set _ZN7rocprim17ROCPRIM_400000_NS6detail17trampoline_kernelINS0_13select_configILj256ELj13ELNS0_17block_load_methodE3ELS4_3ELS4_3ELNS0_20block_scan_algorithmE0ELj4294967295EEENS1_25partition_config_selectorILNS1_17partition_subalgoE4EjNS0_10empty_typeEbEEZZNS1_14partition_implILS8_4ELb0ES6_15HIP_vector_typeIjLj2EENS0_17counting_iteratorIjlEEPS9_SG_NS0_5tupleIJPjSI_NS0_16reverse_iteratorISI_EEEEENSH_IJSG_SG_SG_EEES9_SI_JZNS1_25segmented_radix_sort_implINS0_14default_configELb1EPKiPiPKlPlN2at6native12_GLOBAL__N_18offset_tEEE10hipError_tPvRmT1_PNSt15iterator_traitsIS12_E10value_typeET2_T3_PNS13_IS18_E10value_typeET4_jRbjT5_S1E_jjP12ihipStream_tbEUljE_ZNSN_ISO_Lb1ESQ_SR_ST_SU_SY_EESZ_S10_S11_S12_S16_S17_S18_S1B_S1C_jS1D_jS1E_S1E_jjS1G_bEUljE0_EEESZ_S10_S11_S18_S1C_S1E_T6_T7_T9_mT8_S1G_bDpT10_ENKUlT_T0_E_clISt17integral_constantIbLb0EES1T_IbLb1EEEEDaS1P_S1Q_EUlS1P_E_NS1_11comp_targetILNS1_3genE4ELNS1_11target_archE910ELNS1_3gpuE8ELNS1_3repE0EEENS1_30default_config_static_selectorELNS0_4arch9wavefront6targetE0EEEvS12_.numbered_sgpr, 0
	.set _ZN7rocprim17ROCPRIM_400000_NS6detail17trampoline_kernelINS0_13select_configILj256ELj13ELNS0_17block_load_methodE3ELS4_3ELS4_3ELNS0_20block_scan_algorithmE0ELj4294967295EEENS1_25partition_config_selectorILNS1_17partition_subalgoE4EjNS0_10empty_typeEbEEZZNS1_14partition_implILS8_4ELb0ES6_15HIP_vector_typeIjLj2EENS0_17counting_iteratorIjlEEPS9_SG_NS0_5tupleIJPjSI_NS0_16reverse_iteratorISI_EEEEENSH_IJSG_SG_SG_EEES9_SI_JZNS1_25segmented_radix_sort_implINS0_14default_configELb1EPKiPiPKlPlN2at6native12_GLOBAL__N_18offset_tEEE10hipError_tPvRmT1_PNSt15iterator_traitsIS12_E10value_typeET2_T3_PNS13_IS18_E10value_typeET4_jRbjT5_S1E_jjP12ihipStream_tbEUljE_ZNSN_ISO_Lb1ESQ_SR_ST_SU_SY_EESZ_S10_S11_S12_S16_S17_S18_S1B_S1C_jS1D_jS1E_S1E_jjS1G_bEUljE0_EEESZ_S10_S11_S18_S1C_S1E_T6_T7_T9_mT8_S1G_bDpT10_ENKUlT_T0_E_clISt17integral_constantIbLb0EES1T_IbLb1EEEEDaS1P_S1Q_EUlS1P_E_NS1_11comp_targetILNS1_3genE4ELNS1_11target_archE910ELNS1_3gpuE8ELNS1_3repE0EEENS1_30default_config_static_selectorELNS0_4arch9wavefront6targetE0EEEvS12_.num_named_barrier, 0
	.set _ZN7rocprim17ROCPRIM_400000_NS6detail17trampoline_kernelINS0_13select_configILj256ELj13ELNS0_17block_load_methodE3ELS4_3ELS4_3ELNS0_20block_scan_algorithmE0ELj4294967295EEENS1_25partition_config_selectorILNS1_17partition_subalgoE4EjNS0_10empty_typeEbEEZZNS1_14partition_implILS8_4ELb0ES6_15HIP_vector_typeIjLj2EENS0_17counting_iteratorIjlEEPS9_SG_NS0_5tupleIJPjSI_NS0_16reverse_iteratorISI_EEEEENSH_IJSG_SG_SG_EEES9_SI_JZNS1_25segmented_radix_sort_implINS0_14default_configELb1EPKiPiPKlPlN2at6native12_GLOBAL__N_18offset_tEEE10hipError_tPvRmT1_PNSt15iterator_traitsIS12_E10value_typeET2_T3_PNS13_IS18_E10value_typeET4_jRbjT5_S1E_jjP12ihipStream_tbEUljE_ZNSN_ISO_Lb1ESQ_SR_ST_SU_SY_EESZ_S10_S11_S12_S16_S17_S18_S1B_S1C_jS1D_jS1E_S1E_jjS1G_bEUljE0_EEESZ_S10_S11_S18_S1C_S1E_T6_T7_T9_mT8_S1G_bDpT10_ENKUlT_T0_E_clISt17integral_constantIbLb0EES1T_IbLb1EEEEDaS1P_S1Q_EUlS1P_E_NS1_11comp_targetILNS1_3genE4ELNS1_11target_archE910ELNS1_3gpuE8ELNS1_3repE0EEENS1_30default_config_static_selectorELNS0_4arch9wavefront6targetE0EEEvS12_.private_seg_size, 0
	.set _ZN7rocprim17ROCPRIM_400000_NS6detail17trampoline_kernelINS0_13select_configILj256ELj13ELNS0_17block_load_methodE3ELS4_3ELS4_3ELNS0_20block_scan_algorithmE0ELj4294967295EEENS1_25partition_config_selectorILNS1_17partition_subalgoE4EjNS0_10empty_typeEbEEZZNS1_14partition_implILS8_4ELb0ES6_15HIP_vector_typeIjLj2EENS0_17counting_iteratorIjlEEPS9_SG_NS0_5tupleIJPjSI_NS0_16reverse_iteratorISI_EEEEENSH_IJSG_SG_SG_EEES9_SI_JZNS1_25segmented_radix_sort_implINS0_14default_configELb1EPKiPiPKlPlN2at6native12_GLOBAL__N_18offset_tEEE10hipError_tPvRmT1_PNSt15iterator_traitsIS12_E10value_typeET2_T3_PNS13_IS18_E10value_typeET4_jRbjT5_S1E_jjP12ihipStream_tbEUljE_ZNSN_ISO_Lb1ESQ_SR_ST_SU_SY_EESZ_S10_S11_S12_S16_S17_S18_S1B_S1C_jS1D_jS1E_S1E_jjS1G_bEUljE0_EEESZ_S10_S11_S18_S1C_S1E_T6_T7_T9_mT8_S1G_bDpT10_ENKUlT_T0_E_clISt17integral_constantIbLb0EES1T_IbLb1EEEEDaS1P_S1Q_EUlS1P_E_NS1_11comp_targetILNS1_3genE4ELNS1_11target_archE910ELNS1_3gpuE8ELNS1_3repE0EEENS1_30default_config_static_selectorELNS0_4arch9wavefront6targetE0EEEvS12_.uses_vcc, 0
	.set _ZN7rocprim17ROCPRIM_400000_NS6detail17trampoline_kernelINS0_13select_configILj256ELj13ELNS0_17block_load_methodE3ELS4_3ELS4_3ELNS0_20block_scan_algorithmE0ELj4294967295EEENS1_25partition_config_selectorILNS1_17partition_subalgoE4EjNS0_10empty_typeEbEEZZNS1_14partition_implILS8_4ELb0ES6_15HIP_vector_typeIjLj2EENS0_17counting_iteratorIjlEEPS9_SG_NS0_5tupleIJPjSI_NS0_16reverse_iteratorISI_EEEEENSH_IJSG_SG_SG_EEES9_SI_JZNS1_25segmented_radix_sort_implINS0_14default_configELb1EPKiPiPKlPlN2at6native12_GLOBAL__N_18offset_tEEE10hipError_tPvRmT1_PNSt15iterator_traitsIS12_E10value_typeET2_T3_PNS13_IS18_E10value_typeET4_jRbjT5_S1E_jjP12ihipStream_tbEUljE_ZNSN_ISO_Lb1ESQ_SR_ST_SU_SY_EESZ_S10_S11_S12_S16_S17_S18_S1B_S1C_jS1D_jS1E_S1E_jjS1G_bEUljE0_EEESZ_S10_S11_S18_S1C_S1E_T6_T7_T9_mT8_S1G_bDpT10_ENKUlT_T0_E_clISt17integral_constantIbLb0EES1T_IbLb1EEEEDaS1P_S1Q_EUlS1P_E_NS1_11comp_targetILNS1_3genE4ELNS1_11target_archE910ELNS1_3gpuE8ELNS1_3repE0EEENS1_30default_config_static_selectorELNS0_4arch9wavefront6targetE0EEEvS12_.uses_flat_scratch, 0
	.set _ZN7rocprim17ROCPRIM_400000_NS6detail17trampoline_kernelINS0_13select_configILj256ELj13ELNS0_17block_load_methodE3ELS4_3ELS4_3ELNS0_20block_scan_algorithmE0ELj4294967295EEENS1_25partition_config_selectorILNS1_17partition_subalgoE4EjNS0_10empty_typeEbEEZZNS1_14partition_implILS8_4ELb0ES6_15HIP_vector_typeIjLj2EENS0_17counting_iteratorIjlEEPS9_SG_NS0_5tupleIJPjSI_NS0_16reverse_iteratorISI_EEEEENSH_IJSG_SG_SG_EEES9_SI_JZNS1_25segmented_radix_sort_implINS0_14default_configELb1EPKiPiPKlPlN2at6native12_GLOBAL__N_18offset_tEEE10hipError_tPvRmT1_PNSt15iterator_traitsIS12_E10value_typeET2_T3_PNS13_IS18_E10value_typeET4_jRbjT5_S1E_jjP12ihipStream_tbEUljE_ZNSN_ISO_Lb1ESQ_SR_ST_SU_SY_EESZ_S10_S11_S12_S16_S17_S18_S1B_S1C_jS1D_jS1E_S1E_jjS1G_bEUljE0_EEESZ_S10_S11_S18_S1C_S1E_T6_T7_T9_mT8_S1G_bDpT10_ENKUlT_T0_E_clISt17integral_constantIbLb0EES1T_IbLb1EEEEDaS1P_S1Q_EUlS1P_E_NS1_11comp_targetILNS1_3genE4ELNS1_11target_archE910ELNS1_3gpuE8ELNS1_3repE0EEENS1_30default_config_static_selectorELNS0_4arch9wavefront6targetE0EEEvS12_.has_dyn_sized_stack, 0
	.set _ZN7rocprim17ROCPRIM_400000_NS6detail17trampoline_kernelINS0_13select_configILj256ELj13ELNS0_17block_load_methodE3ELS4_3ELS4_3ELNS0_20block_scan_algorithmE0ELj4294967295EEENS1_25partition_config_selectorILNS1_17partition_subalgoE4EjNS0_10empty_typeEbEEZZNS1_14partition_implILS8_4ELb0ES6_15HIP_vector_typeIjLj2EENS0_17counting_iteratorIjlEEPS9_SG_NS0_5tupleIJPjSI_NS0_16reverse_iteratorISI_EEEEENSH_IJSG_SG_SG_EEES9_SI_JZNS1_25segmented_radix_sort_implINS0_14default_configELb1EPKiPiPKlPlN2at6native12_GLOBAL__N_18offset_tEEE10hipError_tPvRmT1_PNSt15iterator_traitsIS12_E10value_typeET2_T3_PNS13_IS18_E10value_typeET4_jRbjT5_S1E_jjP12ihipStream_tbEUljE_ZNSN_ISO_Lb1ESQ_SR_ST_SU_SY_EESZ_S10_S11_S12_S16_S17_S18_S1B_S1C_jS1D_jS1E_S1E_jjS1G_bEUljE0_EEESZ_S10_S11_S18_S1C_S1E_T6_T7_T9_mT8_S1G_bDpT10_ENKUlT_T0_E_clISt17integral_constantIbLb0EES1T_IbLb1EEEEDaS1P_S1Q_EUlS1P_E_NS1_11comp_targetILNS1_3genE4ELNS1_11target_archE910ELNS1_3gpuE8ELNS1_3repE0EEENS1_30default_config_static_selectorELNS0_4arch9wavefront6targetE0EEEvS12_.has_recursion, 0
	.set _ZN7rocprim17ROCPRIM_400000_NS6detail17trampoline_kernelINS0_13select_configILj256ELj13ELNS0_17block_load_methodE3ELS4_3ELS4_3ELNS0_20block_scan_algorithmE0ELj4294967295EEENS1_25partition_config_selectorILNS1_17partition_subalgoE4EjNS0_10empty_typeEbEEZZNS1_14partition_implILS8_4ELb0ES6_15HIP_vector_typeIjLj2EENS0_17counting_iteratorIjlEEPS9_SG_NS0_5tupleIJPjSI_NS0_16reverse_iteratorISI_EEEEENSH_IJSG_SG_SG_EEES9_SI_JZNS1_25segmented_radix_sort_implINS0_14default_configELb1EPKiPiPKlPlN2at6native12_GLOBAL__N_18offset_tEEE10hipError_tPvRmT1_PNSt15iterator_traitsIS12_E10value_typeET2_T3_PNS13_IS18_E10value_typeET4_jRbjT5_S1E_jjP12ihipStream_tbEUljE_ZNSN_ISO_Lb1ESQ_SR_ST_SU_SY_EESZ_S10_S11_S12_S16_S17_S18_S1B_S1C_jS1D_jS1E_S1E_jjS1G_bEUljE0_EEESZ_S10_S11_S18_S1C_S1E_T6_T7_T9_mT8_S1G_bDpT10_ENKUlT_T0_E_clISt17integral_constantIbLb0EES1T_IbLb1EEEEDaS1P_S1Q_EUlS1P_E_NS1_11comp_targetILNS1_3genE4ELNS1_11target_archE910ELNS1_3gpuE8ELNS1_3repE0EEENS1_30default_config_static_selectorELNS0_4arch9wavefront6targetE0EEEvS12_.has_indirect_call, 0
	.section	.AMDGPU.csdata,"",@progbits
; Kernel info:
; codeLenInByte = 0
; TotalNumSgprs: 0
; NumVgprs: 0
; ScratchSize: 0
; MemoryBound: 0
; FloatMode: 240
; IeeeMode: 1
; LDSByteSize: 0 bytes/workgroup (compile time only)
; SGPRBlocks: 0
; VGPRBlocks: 0
; NumSGPRsForWavesPerEU: 1
; NumVGPRsForWavesPerEU: 1
; Occupancy: 16
; WaveLimiterHint : 0
; COMPUTE_PGM_RSRC2:SCRATCH_EN: 0
; COMPUTE_PGM_RSRC2:USER_SGPR: 6
; COMPUTE_PGM_RSRC2:TRAP_HANDLER: 0
; COMPUTE_PGM_RSRC2:TGID_X_EN: 1
; COMPUTE_PGM_RSRC2:TGID_Y_EN: 0
; COMPUTE_PGM_RSRC2:TGID_Z_EN: 0
; COMPUTE_PGM_RSRC2:TIDIG_COMP_CNT: 0
	.section	.text._ZN7rocprim17ROCPRIM_400000_NS6detail17trampoline_kernelINS0_13select_configILj256ELj13ELNS0_17block_load_methodE3ELS4_3ELS4_3ELNS0_20block_scan_algorithmE0ELj4294967295EEENS1_25partition_config_selectorILNS1_17partition_subalgoE4EjNS0_10empty_typeEbEEZZNS1_14partition_implILS8_4ELb0ES6_15HIP_vector_typeIjLj2EENS0_17counting_iteratorIjlEEPS9_SG_NS0_5tupleIJPjSI_NS0_16reverse_iteratorISI_EEEEENSH_IJSG_SG_SG_EEES9_SI_JZNS1_25segmented_radix_sort_implINS0_14default_configELb1EPKiPiPKlPlN2at6native12_GLOBAL__N_18offset_tEEE10hipError_tPvRmT1_PNSt15iterator_traitsIS12_E10value_typeET2_T3_PNS13_IS18_E10value_typeET4_jRbjT5_S1E_jjP12ihipStream_tbEUljE_ZNSN_ISO_Lb1ESQ_SR_ST_SU_SY_EESZ_S10_S11_S12_S16_S17_S18_S1B_S1C_jS1D_jS1E_S1E_jjS1G_bEUljE0_EEESZ_S10_S11_S18_S1C_S1E_T6_T7_T9_mT8_S1G_bDpT10_ENKUlT_T0_E_clISt17integral_constantIbLb0EES1T_IbLb1EEEEDaS1P_S1Q_EUlS1P_E_NS1_11comp_targetILNS1_3genE3ELNS1_11target_archE908ELNS1_3gpuE7ELNS1_3repE0EEENS1_30default_config_static_selectorELNS0_4arch9wavefront6targetE0EEEvS12_,"axG",@progbits,_ZN7rocprim17ROCPRIM_400000_NS6detail17trampoline_kernelINS0_13select_configILj256ELj13ELNS0_17block_load_methodE3ELS4_3ELS4_3ELNS0_20block_scan_algorithmE0ELj4294967295EEENS1_25partition_config_selectorILNS1_17partition_subalgoE4EjNS0_10empty_typeEbEEZZNS1_14partition_implILS8_4ELb0ES6_15HIP_vector_typeIjLj2EENS0_17counting_iteratorIjlEEPS9_SG_NS0_5tupleIJPjSI_NS0_16reverse_iteratorISI_EEEEENSH_IJSG_SG_SG_EEES9_SI_JZNS1_25segmented_radix_sort_implINS0_14default_configELb1EPKiPiPKlPlN2at6native12_GLOBAL__N_18offset_tEEE10hipError_tPvRmT1_PNSt15iterator_traitsIS12_E10value_typeET2_T3_PNS13_IS18_E10value_typeET4_jRbjT5_S1E_jjP12ihipStream_tbEUljE_ZNSN_ISO_Lb1ESQ_SR_ST_SU_SY_EESZ_S10_S11_S12_S16_S17_S18_S1B_S1C_jS1D_jS1E_S1E_jjS1G_bEUljE0_EEESZ_S10_S11_S18_S1C_S1E_T6_T7_T9_mT8_S1G_bDpT10_ENKUlT_T0_E_clISt17integral_constantIbLb0EES1T_IbLb1EEEEDaS1P_S1Q_EUlS1P_E_NS1_11comp_targetILNS1_3genE3ELNS1_11target_archE908ELNS1_3gpuE7ELNS1_3repE0EEENS1_30default_config_static_selectorELNS0_4arch9wavefront6targetE0EEEvS12_,comdat
	.globl	_ZN7rocprim17ROCPRIM_400000_NS6detail17trampoline_kernelINS0_13select_configILj256ELj13ELNS0_17block_load_methodE3ELS4_3ELS4_3ELNS0_20block_scan_algorithmE0ELj4294967295EEENS1_25partition_config_selectorILNS1_17partition_subalgoE4EjNS0_10empty_typeEbEEZZNS1_14partition_implILS8_4ELb0ES6_15HIP_vector_typeIjLj2EENS0_17counting_iteratorIjlEEPS9_SG_NS0_5tupleIJPjSI_NS0_16reverse_iteratorISI_EEEEENSH_IJSG_SG_SG_EEES9_SI_JZNS1_25segmented_radix_sort_implINS0_14default_configELb1EPKiPiPKlPlN2at6native12_GLOBAL__N_18offset_tEEE10hipError_tPvRmT1_PNSt15iterator_traitsIS12_E10value_typeET2_T3_PNS13_IS18_E10value_typeET4_jRbjT5_S1E_jjP12ihipStream_tbEUljE_ZNSN_ISO_Lb1ESQ_SR_ST_SU_SY_EESZ_S10_S11_S12_S16_S17_S18_S1B_S1C_jS1D_jS1E_S1E_jjS1G_bEUljE0_EEESZ_S10_S11_S18_S1C_S1E_T6_T7_T9_mT8_S1G_bDpT10_ENKUlT_T0_E_clISt17integral_constantIbLb0EES1T_IbLb1EEEEDaS1P_S1Q_EUlS1P_E_NS1_11comp_targetILNS1_3genE3ELNS1_11target_archE908ELNS1_3gpuE7ELNS1_3repE0EEENS1_30default_config_static_selectorELNS0_4arch9wavefront6targetE0EEEvS12_ ; -- Begin function _ZN7rocprim17ROCPRIM_400000_NS6detail17trampoline_kernelINS0_13select_configILj256ELj13ELNS0_17block_load_methodE3ELS4_3ELS4_3ELNS0_20block_scan_algorithmE0ELj4294967295EEENS1_25partition_config_selectorILNS1_17partition_subalgoE4EjNS0_10empty_typeEbEEZZNS1_14partition_implILS8_4ELb0ES6_15HIP_vector_typeIjLj2EENS0_17counting_iteratorIjlEEPS9_SG_NS0_5tupleIJPjSI_NS0_16reverse_iteratorISI_EEEEENSH_IJSG_SG_SG_EEES9_SI_JZNS1_25segmented_radix_sort_implINS0_14default_configELb1EPKiPiPKlPlN2at6native12_GLOBAL__N_18offset_tEEE10hipError_tPvRmT1_PNSt15iterator_traitsIS12_E10value_typeET2_T3_PNS13_IS18_E10value_typeET4_jRbjT5_S1E_jjP12ihipStream_tbEUljE_ZNSN_ISO_Lb1ESQ_SR_ST_SU_SY_EESZ_S10_S11_S12_S16_S17_S18_S1B_S1C_jS1D_jS1E_S1E_jjS1G_bEUljE0_EEESZ_S10_S11_S18_S1C_S1E_T6_T7_T9_mT8_S1G_bDpT10_ENKUlT_T0_E_clISt17integral_constantIbLb0EES1T_IbLb1EEEEDaS1P_S1Q_EUlS1P_E_NS1_11comp_targetILNS1_3genE3ELNS1_11target_archE908ELNS1_3gpuE7ELNS1_3repE0EEENS1_30default_config_static_selectorELNS0_4arch9wavefront6targetE0EEEvS12_
	.p2align	8
	.type	_ZN7rocprim17ROCPRIM_400000_NS6detail17trampoline_kernelINS0_13select_configILj256ELj13ELNS0_17block_load_methodE3ELS4_3ELS4_3ELNS0_20block_scan_algorithmE0ELj4294967295EEENS1_25partition_config_selectorILNS1_17partition_subalgoE4EjNS0_10empty_typeEbEEZZNS1_14partition_implILS8_4ELb0ES6_15HIP_vector_typeIjLj2EENS0_17counting_iteratorIjlEEPS9_SG_NS0_5tupleIJPjSI_NS0_16reverse_iteratorISI_EEEEENSH_IJSG_SG_SG_EEES9_SI_JZNS1_25segmented_radix_sort_implINS0_14default_configELb1EPKiPiPKlPlN2at6native12_GLOBAL__N_18offset_tEEE10hipError_tPvRmT1_PNSt15iterator_traitsIS12_E10value_typeET2_T3_PNS13_IS18_E10value_typeET4_jRbjT5_S1E_jjP12ihipStream_tbEUljE_ZNSN_ISO_Lb1ESQ_SR_ST_SU_SY_EESZ_S10_S11_S12_S16_S17_S18_S1B_S1C_jS1D_jS1E_S1E_jjS1G_bEUljE0_EEESZ_S10_S11_S18_S1C_S1E_T6_T7_T9_mT8_S1G_bDpT10_ENKUlT_T0_E_clISt17integral_constantIbLb0EES1T_IbLb1EEEEDaS1P_S1Q_EUlS1P_E_NS1_11comp_targetILNS1_3genE3ELNS1_11target_archE908ELNS1_3gpuE7ELNS1_3repE0EEENS1_30default_config_static_selectorELNS0_4arch9wavefront6targetE0EEEvS12_,@function
_ZN7rocprim17ROCPRIM_400000_NS6detail17trampoline_kernelINS0_13select_configILj256ELj13ELNS0_17block_load_methodE3ELS4_3ELS4_3ELNS0_20block_scan_algorithmE0ELj4294967295EEENS1_25partition_config_selectorILNS1_17partition_subalgoE4EjNS0_10empty_typeEbEEZZNS1_14partition_implILS8_4ELb0ES6_15HIP_vector_typeIjLj2EENS0_17counting_iteratorIjlEEPS9_SG_NS0_5tupleIJPjSI_NS0_16reverse_iteratorISI_EEEEENSH_IJSG_SG_SG_EEES9_SI_JZNS1_25segmented_radix_sort_implINS0_14default_configELb1EPKiPiPKlPlN2at6native12_GLOBAL__N_18offset_tEEE10hipError_tPvRmT1_PNSt15iterator_traitsIS12_E10value_typeET2_T3_PNS13_IS18_E10value_typeET4_jRbjT5_S1E_jjP12ihipStream_tbEUljE_ZNSN_ISO_Lb1ESQ_SR_ST_SU_SY_EESZ_S10_S11_S12_S16_S17_S18_S1B_S1C_jS1D_jS1E_S1E_jjS1G_bEUljE0_EEESZ_S10_S11_S18_S1C_S1E_T6_T7_T9_mT8_S1G_bDpT10_ENKUlT_T0_E_clISt17integral_constantIbLb0EES1T_IbLb1EEEEDaS1P_S1Q_EUlS1P_E_NS1_11comp_targetILNS1_3genE3ELNS1_11target_archE908ELNS1_3gpuE7ELNS1_3repE0EEENS1_30default_config_static_selectorELNS0_4arch9wavefront6targetE0EEEvS12_: ; @_ZN7rocprim17ROCPRIM_400000_NS6detail17trampoline_kernelINS0_13select_configILj256ELj13ELNS0_17block_load_methodE3ELS4_3ELS4_3ELNS0_20block_scan_algorithmE0ELj4294967295EEENS1_25partition_config_selectorILNS1_17partition_subalgoE4EjNS0_10empty_typeEbEEZZNS1_14partition_implILS8_4ELb0ES6_15HIP_vector_typeIjLj2EENS0_17counting_iteratorIjlEEPS9_SG_NS0_5tupleIJPjSI_NS0_16reverse_iteratorISI_EEEEENSH_IJSG_SG_SG_EEES9_SI_JZNS1_25segmented_radix_sort_implINS0_14default_configELb1EPKiPiPKlPlN2at6native12_GLOBAL__N_18offset_tEEE10hipError_tPvRmT1_PNSt15iterator_traitsIS12_E10value_typeET2_T3_PNS13_IS18_E10value_typeET4_jRbjT5_S1E_jjP12ihipStream_tbEUljE_ZNSN_ISO_Lb1ESQ_SR_ST_SU_SY_EESZ_S10_S11_S12_S16_S17_S18_S1B_S1C_jS1D_jS1E_S1E_jjS1G_bEUljE0_EEESZ_S10_S11_S18_S1C_S1E_T6_T7_T9_mT8_S1G_bDpT10_ENKUlT_T0_E_clISt17integral_constantIbLb0EES1T_IbLb1EEEEDaS1P_S1Q_EUlS1P_E_NS1_11comp_targetILNS1_3genE3ELNS1_11target_archE908ELNS1_3gpuE7ELNS1_3repE0EEENS1_30default_config_static_selectorELNS0_4arch9wavefront6targetE0EEEvS12_
; %bb.0:
	.section	.rodata,"a",@progbits
	.p2align	6, 0x0
	.amdhsa_kernel _ZN7rocprim17ROCPRIM_400000_NS6detail17trampoline_kernelINS0_13select_configILj256ELj13ELNS0_17block_load_methodE3ELS4_3ELS4_3ELNS0_20block_scan_algorithmE0ELj4294967295EEENS1_25partition_config_selectorILNS1_17partition_subalgoE4EjNS0_10empty_typeEbEEZZNS1_14partition_implILS8_4ELb0ES6_15HIP_vector_typeIjLj2EENS0_17counting_iteratorIjlEEPS9_SG_NS0_5tupleIJPjSI_NS0_16reverse_iteratorISI_EEEEENSH_IJSG_SG_SG_EEES9_SI_JZNS1_25segmented_radix_sort_implINS0_14default_configELb1EPKiPiPKlPlN2at6native12_GLOBAL__N_18offset_tEEE10hipError_tPvRmT1_PNSt15iterator_traitsIS12_E10value_typeET2_T3_PNS13_IS18_E10value_typeET4_jRbjT5_S1E_jjP12ihipStream_tbEUljE_ZNSN_ISO_Lb1ESQ_SR_ST_SU_SY_EESZ_S10_S11_S12_S16_S17_S18_S1B_S1C_jS1D_jS1E_S1E_jjS1G_bEUljE0_EEESZ_S10_S11_S18_S1C_S1E_T6_T7_T9_mT8_S1G_bDpT10_ENKUlT_T0_E_clISt17integral_constantIbLb0EES1T_IbLb1EEEEDaS1P_S1Q_EUlS1P_E_NS1_11comp_targetILNS1_3genE3ELNS1_11target_archE908ELNS1_3gpuE7ELNS1_3repE0EEENS1_30default_config_static_selectorELNS0_4arch9wavefront6targetE0EEEvS12_
		.amdhsa_group_segment_fixed_size 0
		.amdhsa_private_segment_fixed_size 0
		.amdhsa_kernarg_size 184
		.amdhsa_user_sgpr_count 6
		.amdhsa_user_sgpr_private_segment_buffer 1
		.amdhsa_user_sgpr_dispatch_ptr 0
		.amdhsa_user_sgpr_queue_ptr 0
		.amdhsa_user_sgpr_kernarg_segment_ptr 1
		.amdhsa_user_sgpr_dispatch_id 0
		.amdhsa_user_sgpr_flat_scratch_init 0
		.amdhsa_user_sgpr_private_segment_size 0
		.amdhsa_wavefront_size32 1
		.amdhsa_uses_dynamic_stack 0
		.amdhsa_system_sgpr_private_segment_wavefront_offset 0
		.amdhsa_system_sgpr_workgroup_id_x 1
		.amdhsa_system_sgpr_workgroup_id_y 0
		.amdhsa_system_sgpr_workgroup_id_z 0
		.amdhsa_system_sgpr_workgroup_info 0
		.amdhsa_system_vgpr_workitem_id 0
		.amdhsa_next_free_vgpr 1
		.amdhsa_next_free_sgpr 1
		.amdhsa_reserve_vcc 0
		.amdhsa_reserve_flat_scratch 0
		.amdhsa_float_round_mode_32 0
		.amdhsa_float_round_mode_16_64 0
		.amdhsa_float_denorm_mode_32 3
		.amdhsa_float_denorm_mode_16_64 3
		.amdhsa_dx10_clamp 1
		.amdhsa_ieee_mode 1
		.amdhsa_fp16_overflow 0
		.amdhsa_workgroup_processor_mode 1
		.amdhsa_memory_ordered 1
		.amdhsa_forward_progress 1
		.amdhsa_shared_vgpr_count 0
		.amdhsa_exception_fp_ieee_invalid_op 0
		.amdhsa_exception_fp_denorm_src 0
		.amdhsa_exception_fp_ieee_div_zero 0
		.amdhsa_exception_fp_ieee_overflow 0
		.amdhsa_exception_fp_ieee_underflow 0
		.amdhsa_exception_fp_ieee_inexact 0
		.amdhsa_exception_int_div_zero 0
	.end_amdhsa_kernel
	.section	.text._ZN7rocprim17ROCPRIM_400000_NS6detail17trampoline_kernelINS0_13select_configILj256ELj13ELNS0_17block_load_methodE3ELS4_3ELS4_3ELNS0_20block_scan_algorithmE0ELj4294967295EEENS1_25partition_config_selectorILNS1_17partition_subalgoE4EjNS0_10empty_typeEbEEZZNS1_14partition_implILS8_4ELb0ES6_15HIP_vector_typeIjLj2EENS0_17counting_iteratorIjlEEPS9_SG_NS0_5tupleIJPjSI_NS0_16reverse_iteratorISI_EEEEENSH_IJSG_SG_SG_EEES9_SI_JZNS1_25segmented_radix_sort_implINS0_14default_configELb1EPKiPiPKlPlN2at6native12_GLOBAL__N_18offset_tEEE10hipError_tPvRmT1_PNSt15iterator_traitsIS12_E10value_typeET2_T3_PNS13_IS18_E10value_typeET4_jRbjT5_S1E_jjP12ihipStream_tbEUljE_ZNSN_ISO_Lb1ESQ_SR_ST_SU_SY_EESZ_S10_S11_S12_S16_S17_S18_S1B_S1C_jS1D_jS1E_S1E_jjS1G_bEUljE0_EEESZ_S10_S11_S18_S1C_S1E_T6_T7_T9_mT8_S1G_bDpT10_ENKUlT_T0_E_clISt17integral_constantIbLb0EES1T_IbLb1EEEEDaS1P_S1Q_EUlS1P_E_NS1_11comp_targetILNS1_3genE3ELNS1_11target_archE908ELNS1_3gpuE7ELNS1_3repE0EEENS1_30default_config_static_selectorELNS0_4arch9wavefront6targetE0EEEvS12_,"axG",@progbits,_ZN7rocprim17ROCPRIM_400000_NS6detail17trampoline_kernelINS0_13select_configILj256ELj13ELNS0_17block_load_methodE3ELS4_3ELS4_3ELNS0_20block_scan_algorithmE0ELj4294967295EEENS1_25partition_config_selectorILNS1_17partition_subalgoE4EjNS0_10empty_typeEbEEZZNS1_14partition_implILS8_4ELb0ES6_15HIP_vector_typeIjLj2EENS0_17counting_iteratorIjlEEPS9_SG_NS0_5tupleIJPjSI_NS0_16reverse_iteratorISI_EEEEENSH_IJSG_SG_SG_EEES9_SI_JZNS1_25segmented_radix_sort_implINS0_14default_configELb1EPKiPiPKlPlN2at6native12_GLOBAL__N_18offset_tEEE10hipError_tPvRmT1_PNSt15iterator_traitsIS12_E10value_typeET2_T3_PNS13_IS18_E10value_typeET4_jRbjT5_S1E_jjP12ihipStream_tbEUljE_ZNSN_ISO_Lb1ESQ_SR_ST_SU_SY_EESZ_S10_S11_S12_S16_S17_S18_S1B_S1C_jS1D_jS1E_S1E_jjS1G_bEUljE0_EEESZ_S10_S11_S18_S1C_S1E_T6_T7_T9_mT8_S1G_bDpT10_ENKUlT_T0_E_clISt17integral_constantIbLb0EES1T_IbLb1EEEEDaS1P_S1Q_EUlS1P_E_NS1_11comp_targetILNS1_3genE3ELNS1_11target_archE908ELNS1_3gpuE7ELNS1_3repE0EEENS1_30default_config_static_selectorELNS0_4arch9wavefront6targetE0EEEvS12_,comdat
.Lfunc_end456:
	.size	_ZN7rocprim17ROCPRIM_400000_NS6detail17trampoline_kernelINS0_13select_configILj256ELj13ELNS0_17block_load_methodE3ELS4_3ELS4_3ELNS0_20block_scan_algorithmE0ELj4294967295EEENS1_25partition_config_selectorILNS1_17partition_subalgoE4EjNS0_10empty_typeEbEEZZNS1_14partition_implILS8_4ELb0ES6_15HIP_vector_typeIjLj2EENS0_17counting_iteratorIjlEEPS9_SG_NS0_5tupleIJPjSI_NS0_16reverse_iteratorISI_EEEEENSH_IJSG_SG_SG_EEES9_SI_JZNS1_25segmented_radix_sort_implINS0_14default_configELb1EPKiPiPKlPlN2at6native12_GLOBAL__N_18offset_tEEE10hipError_tPvRmT1_PNSt15iterator_traitsIS12_E10value_typeET2_T3_PNS13_IS18_E10value_typeET4_jRbjT5_S1E_jjP12ihipStream_tbEUljE_ZNSN_ISO_Lb1ESQ_SR_ST_SU_SY_EESZ_S10_S11_S12_S16_S17_S18_S1B_S1C_jS1D_jS1E_S1E_jjS1G_bEUljE0_EEESZ_S10_S11_S18_S1C_S1E_T6_T7_T9_mT8_S1G_bDpT10_ENKUlT_T0_E_clISt17integral_constantIbLb0EES1T_IbLb1EEEEDaS1P_S1Q_EUlS1P_E_NS1_11comp_targetILNS1_3genE3ELNS1_11target_archE908ELNS1_3gpuE7ELNS1_3repE0EEENS1_30default_config_static_selectorELNS0_4arch9wavefront6targetE0EEEvS12_, .Lfunc_end456-_ZN7rocprim17ROCPRIM_400000_NS6detail17trampoline_kernelINS0_13select_configILj256ELj13ELNS0_17block_load_methodE3ELS4_3ELS4_3ELNS0_20block_scan_algorithmE0ELj4294967295EEENS1_25partition_config_selectorILNS1_17partition_subalgoE4EjNS0_10empty_typeEbEEZZNS1_14partition_implILS8_4ELb0ES6_15HIP_vector_typeIjLj2EENS0_17counting_iteratorIjlEEPS9_SG_NS0_5tupleIJPjSI_NS0_16reverse_iteratorISI_EEEEENSH_IJSG_SG_SG_EEES9_SI_JZNS1_25segmented_radix_sort_implINS0_14default_configELb1EPKiPiPKlPlN2at6native12_GLOBAL__N_18offset_tEEE10hipError_tPvRmT1_PNSt15iterator_traitsIS12_E10value_typeET2_T3_PNS13_IS18_E10value_typeET4_jRbjT5_S1E_jjP12ihipStream_tbEUljE_ZNSN_ISO_Lb1ESQ_SR_ST_SU_SY_EESZ_S10_S11_S12_S16_S17_S18_S1B_S1C_jS1D_jS1E_S1E_jjS1G_bEUljE0_EEESZ_S10_S11_S18_S1C_S1E_T6_T7_T9_mT8_S1G_bDpT10_ENKUlT_T0_E_clISt17integral_constantIbLb0EES1T_IbLb1EEEEDaS1P_S1Q_EUlS1P_E_NS1_11comp_targetILNS1_3genE3ELNS1_11target_archE908ELNS1_3gpuE7ELNS1_3repE0EEENS1_30default_config_static_selectorELNS0_4arch9wavefront6targetE0EEEvS12_
                                        ; -- End function
	.set _ZN7rocprim17ROCPRIM_400000_NS6detail17trampoline_kernelINS0_13select_configILj256ELj13ELNS0_17block_load_methodE3ELS4_3ELS4_3ELNS0_20block_scan_algorithmE0ELj4294967295EEENS1_25partition_config_selectorILNS1_17partition_subalgoE4EjNS0_10empty_typeEbEEZZNS1_14partition_implILS8_4ELb0ES6_15HIP_vector_typeIjLj2EENS0_17counting_iteratorIjlEEPS9_SG_NS0_5tupleIJPjSI_NS0_16reverse_iteratorISI_EEEEENSH_IJSG_SG_SG_EEES9_SI_JZNS1_25segmented_radix_sort_implINS0_14default_configELb1EPKiPiPKlPlN2at6native12_GLOBAL__N_18offset_tEEE10hipError_tPvRmT1_PNSt15iterator_traitsIS12_E10value_typeET2_T3_PNS13_IS18_E10value_typeET4_jRbjT5_S1E_jjP12ihipStream_tbEUljE_ZNSN_ISO_Lb1ESQ_SR_ST_SU_SY_EESZ_S10_S11_S12_S16_S17_S18_S1B_S1C_jS1D_jS1E_S1E_jjS1G_bEUljE0_EEESZ_S10_S11_S18_S1C_S1E_T6_T7_T9_mT8_S1G_bDpT10_ENKUlT_T0_E_clISt17integral_constantIbLb0EES1T_IbLb1EEEEDaS1P_S1Q_EUlS1P_E_NS1_11comp_targetILNS1_3genE3ELNS1_11target_archE908ELNS1_3gpuE7ELNS1_3repE0EEENS1_30default_config_static_selectorELNS0_4arch9wavefront6targetE0EEEvS12_.num_vgpr, 0
	.set _ZN7rocprim17ROCPRIM_400000_NS6detail17trampoline_kernelINS0_13select_configILj256ELj13ELNS0_17block_load_methodE3ELS4_3ELS4_3ELNS0_20block_scan_algorithmE0ELj4294967295EEENS1_25partition_config_selectorILNS1_17partition_subalgoE4EjNS0_10empty_typeEbEEZZNS1_14partition_implILS8_4ELb0ES6_15HIP_vector_typeIjLj2EENS0_17counting_iteratorIjlEEPS9_SG_NS0_5tupleIJPjSI_NS0_16reverse_iteratorISI_EEEEENSH_IJSG_SG_SG_EEES9_SI_JZNS1_25segmented_radix_sort_implINS0_14default_configELb1EPKiPiPKlPlN2at6native12_GLOBAL__N_18offset_tEEE10hipError_tPvRmT1_PNSt15iterator_traitsIS12_E10value_typeET2_T3_PNS13_IS18_E10value_typeET4_jRbjT5_S1E_jjP12ihipStream_tbEUljE_ZNSN_ISO_Lb1ESQ_SR_ST_SU_SY_EESZ_S10_S11_S12_S16_S17_S18_S1B_S1C_jS1D_jS1E_S1E_jjS1G_bEUljE0_EEESZ_S10_S11_S18_S1C_S1E_T6_T7_T9_mT8_S1G_bDpT10_ENKUlT_T0_E_clISt17integral_constantIbLb0EES1T_IbLb1EEEEDaS1P_S1Q_EUlS1P_E_NS1_11comp_targetILNS1_3genE3ELNS1_11target_archE908ELNS1_3gpuE7ELNS1_3repE0EEENS1_30default_config_static_selectorELNS0_4arch9wavefront6targetE0EEEvS12_.num_agpr, 0
	.set _ZN7rocprim17ROCPRIM_400000_NS6detail17trampoline_kernelINS0_13select_configILj256ELj13ELNS0_17block_load_methodE3ELS4_3ELS4_3ELNS0_20block_scan_algorithmE0ELj4294967295EEENS1_25partition_config_selectorILNS1_17partition_subalgoE4EjNS0_10empty_typeEbEEZZNS1_14partition_implILS8_4ELb0ES6_15HIP_vector_typeIjLj2EENS0_17counting_iteratorIjlEEPS9_SG_NS0_5tupleIJPjSI_NS0_16reverse_iteratorISI_EEEEENSH_IJSG_SG_SG_EEES9_SI_JZNS1_25segmented_radix_sort_implINS0_14default_configELb1EPKiPiPKlPlN2at6native12_GLOBAL__N_18offset_tEEE10hipError_tPvRmT1_PNSt15iterator_traitsIS12_E10value_typeET2_T3_PNS13_IS18_E10value_typeET4_jRbjT5_S1E_jjP12ihipStream_tbEUljE_ZNSN_ISO_Lb1ESQ_SR_ST_SU_SY_EESZ_S10_S11_S12_S16_S17_S18_S1B_S1C_jS1D_jS1E_S1E_jjS1G_bEUljE0_EEESZ_S10_S11_S18_S1C_S1E_T6_T7_T9_mT8_S1G_bDpT10_ENKUlT_T0_E_clISt17integral_constantIbLb0EES1T_IbLb1EEEEDaS1P_S1Q_EUlS1P_E_NS1_11comp_targetILNS1_3genE3ELNS1_11target_archE908ELNS1_3gpuE7ELNS1_3repE0EEENS1_30default_config_static_selectorELNS0_4arch9wavefront6targetE0EEEvS12_.numbered_sgpr, 0
	.set _ZN7rocprim17ROCPRIM_400000_NS6detail17trampoline_kernelINS0_13select_configILj256ELj13ELNS0_17block_load_methodE3ELS4_3ELS4_3ELNS0_20block_scan_algorithmE0ELj4294967295EEENS1_25partition_config_selectorILNS1_17partition_subalgoE4EjNS0_10empty_typeEbEEZZNS1_14partition_implILS8_4ELb0ES6_15HIP_vector_typeIjLj2EENS0_17counting_iteratorIjlEEPS9_SG_NS0_5tupleIJPjSI_NS0_16reverse_iteratorISI_EEEEENSH_IJSG_SG_SG_EEES9_SI_JZNS1_25segmented_radix_sort_implINS0_14default_configELb1EPKiPiPKlPlN2at6native12_GLOBAL__N_18offset_tEEE10hipError_tPvRmT1_PNSt15iterator_traitsIS12_E10value_typeET2_T3_PNS13_IS18_E10value_typeET4_jRbjT5_S1E_jjP12ihipStream_tbEUljE_ZNSN_ISO_Lb1ESQ_SR_ST_SU_SY_EESZ_S10_S11_S12_S16_S17_S18_S1B_S1C_jS1D_jS1E_S1E_jjS1G_bEUljE0_EEESZ_S10_S11_S18_S1C_S1E_T6_T7_T9_mT8_S1G_bDpT10_ENKUlT_T0_E_clISt17integral_constantIbLb0EES1T_IbLb1EEEEDaS1P_S1Q_EUlS1P_E_NS1_11comp_targetILNS1_3genE3ELNS1_11target_archE908ELNS1_3gpuE7ELNS1_3repE0EEENS1_30default_config_static_selectorELNS0_4arch9wavefront6targetE0EEEvS12_.num_named_barrier, 0
	.set _ZN7rocprim17ROCPRIM_400000_NS6detail17trampoline_kernelINS0_13select_configILj256ELj13ELNS0_17block_load_methodE3ELS4_3ELS4_3ELNS0_20block_scan_algorithmE0ELj4294967295EEENS1_25partition_config_selectorILNS1_17partition_subalgoE4EjNS0_10empty_typeEbEEZZNS1_14partition_implILS8_4ELb0ES6_15HIP_vector_typeIjLj2EENS0_17counting_iteratorIjlEEPS9_SG_NS0_5tupleIJPjSI_NS0_16reverse_iteratorISI_EEEEENSH_IJSG_SG_SG_EEES9_SI_JZNS1_25segmented_radix_sort_implINS0_14default_configELb1EPKiPiPKlPlN2at6native12_GLOBAL__N_18offset_tEEE10hipError_tPvRmT1_PNSt15iterator_traitsIS12_E10value_typeET2_T3_PNS13_IS18_E10value_typeET4_jRbjT5_S1E_jjP12ihipStream_tbEUljE_ZNSN_ISO_Lb1ESQ_SR_ST_SU_SY_EESZ_S10_S11_S12_S16_S17_S18_S1B_S1C_jS1D_jS1E_S1E_jjS1G_bEUljE0_EEESZ_S10_S11_S18_S1C_S1E_T6_T7_T9_mT8_S1G_bDpT10_ENKUlT_T0_E_clISt17integral_constantIbLb0EES1T_IbLb1EEEEDaS1P_S1Q_EUlS1P_E_NS1_11comp_targetILNS1_3genE3ELNS1_11target_archE908ELNS1_3gpuE7ELNS1_3repE0EEENS1_30default_config_static_selectorELNS0_4arch9wavefront6targetE0EEEvS12_.private_seg_size, 0
	.set _ZN7rocprim17ROCPRIM_400000_NS6detail17trampoline_kernelINS0_13select_configILj256ELj13ELNS0_17block_load_methodE3ELS4_3ELS4_3ELNS0_20block_scan_algorithmE0ELj4294967295EEENS1_25partition_config_selectorILNS1_17partition_subalgoE4EjNS0_10empty_typeEbEEZZNS1_14partition_implILS8_4ELb0ES6_15HIP_vector_typeIjLj2EENS0_17counting_iteratorIjlEEPS9_SG_NS0_5tupleIJPjSI_NS0_16reverse_iteratorISI_EEEEENSH_IJSG_SG_SG_EEES9_SI_JZNS1_25segmented_radix_sort_implINS0_14default_configELb1EPKiPiPKlPlN2at6native12_GLOBAL__N_18offset_tEEE10hipError_tPvRmT1_PNSt15iterator_traitsIS12_E10value_typeET2_T3_PNS13_IS18_E10value_typeET4_jRbjT5_S1E_jjP12ihipStream_tbEUljE_ZNSN_ISO_Lb1ESQ_SR_ST_SU_SY_EESZ_S10_S11_S12_S16_S17_S18_S1B_S1C_jS1D_jS1E_S1E_jjS1G_bEUljE0_EEESZ_S10_S11_S18_S1C_S1E_T6_T7_T9_mT8_S1G_bDpT10_ENKUlT_T0_E_clISt17integral_constantIbLb0EES1T_IbLb1EEEEDaS1P_S1Q_EUlS1P_E_NS1_11comp_targetILNS1_3genE3ELNS1_11target_archE908ELNS1_3gpuE7ELNS1_3repE0EEENS1_30default_config_static_selectorELNS0_4arch9wavefront6targetE0EEEvS12_.uses_vcc, 0
	.set _ZN7rocprim17ROCPRIM_400000_NS6detail17trampoline_kernelINS0_13select_configILj256ELj13ELNS0_17block_load_methodE3ELS4_3ELS4_3ELNS0_20block_scan_algorithmE0ELj4294967295EEENS1_25partition_config_selectorILNS1_17partition_subalgoE4EjNS0_10empty_typeEbEEZZNS1_14partition_implILS8_4ELb0ES6_15HIP_vector_typeIjLj2EENS0_17counting_iteratorIjlEEPS9_SG_NS0_5tupleIJPjSI_NS0_16reverse_iteratorISI_EEEEENSH_IJSG_SG_SG_EEES9_SI_JZNS1_25segmented_radix_sort_implINS0_14default_configELb1EPKiPiPKlPlN2at6native12_GLOBAL__N_18offset_tEEE10hipError_tPvRmT1_PNSt15iterator_traitsIS12_E10value_typeET2_T3_PNS13_IS18_E10value_typeET4_jRbjT5_S1E_jjP12ihipStream_tbEUljE_ZNSN_ISO_Lb1ESQ_SR_ST_SU_SY_EESZ_S10_S11_S12_S16_S17_S18_S1B_S1C_jS1D_jS1E_S1E_jjS1G_bEUljE0_EEESZ_S10_S11_S18_S1C_S1E_T6_T7_T9_mT8_S1G_bDpT10_ENKUlT_T0_E_clISt17integral_constantIbLb0EES1T_IbLb1EEEEDaS1P_S1Q_EUlS1P_E_NS1_11comp_targetILNS1_3genE3ELNS1_11target_archE908ELNS1_3gpuE7ELNS1_3repE0EEENS1_30default_config_static_selectorELNS0_4arch9wavefront6targetE0EEEvS12_.uses_flat_scratch, 0
	.set _ZN7rocprim17ROCPRIM_400000_NS6detail17trampoline_kernelINS0_13select_configILj256ELj13ELNS0_17block_load_methodE3ELS4_3ELS4_3ELNS0_20block_scan_algorithmE0ELj4294967295EEENS1_25partition_config_selectorILNS1_17partition_subalgoE4EjNS0_10empty_typeEbEEZZNS1_14partition_implILS8_4ELb0ES6_15HIP_vector_typeIjLj2EENS0_17counting_iteratorIjlEEPS9_SG_NS0_5tupleIJPjSI_NS0_16reverse_iteratorISI_EEEEENSH_IJSG_SG_SG_EEES9_SI_JZNS1_25segmented_radix_sort_implINS0_14default_configELb1EPKiPiPKlPlN2at6native12_GLOBAL__N_18offset_tEEE10hipError_tPvRmT1_PNSt15iterator_traitsIS12_E10value_typeET2_T3_PNS13_IS18_E10value_typeET4_jRbjT5_S1E_jjP12ihipStream_tbEUljE_ZNSN_ISO_Lb1ESQ_SR_ST_SU_SY_EESZ_S10_S11_S12_S16_S17_S18_S1B_S1C_jS1D_jS1E_S1E_jjS1G_bEUljE0_EEESZ_S10_S11_S18_S1C_S1E_T6_T7_T9_mT8_S1G_bDpT10_ENKUlT_T0_E_clISt17integral_constantIbLb0EES1T_IbLb1EEEEDaS1P_S1Q_EUlS1P_E_NS1_11comp_targetILNS1_3genE3ELNS1_11target_archE908ELNS1_3gpuE7ELNS1_3repE0EEENS1_30default_config_static_selectorELNS0_4arch9wavefront6targetE0EEEvS12_.has_dyn_sized_stack, 0
	.set _ZN7rocprim17ROCPRIM_400000_NS6detail17trampoline_kernelINS0_13select_configILj256ELj13ELNS0_17block_load_methodE3ELS4_3ELS4_3ELNS0_20block_scan_algorithmE0ELj4294967295EEENS1_25partition_config_selectorILNS1_17partition_subalgoE4EjNS0_10empty_typeEbEEZZNS1_14partition_implILS8_4ELb0ES6_15HIP_vector_typeIjLj2EENS0_17counting_iteratorIjlEEPS9_SG_NS0_5tupleIJPjSI_NS0_16reverse_iteratorISI_EEEEENSH_IJSG_SG_SG_EEES9_SI_JZNS1_25segmented_radix_sort_implINS0_14default_configELb1EPKiPiPKlPlN2at6native12_GLOBAL__N_18offset_tEEE10hipError_tPvRmT1_PNSt15iterator_traitsIS12_E10value_typeET2_T3_PNS13_IS18_E10value_typeET4_jRbjT5_S1E_jjP12ihipStream_tbEUljE_ZNSN_ISO_Lb1ESQ_SR_ST_SU_SY_EESZ_S10_S11_S12_S16_S17_S18_S1B_S1C_jS1D_jS1E_S1E_jjS1G_bEUljE0_EEESZ_S10_S11_S18_S1C_S1E_T6_T7_T9_mT8_S1G_bDpT10_ENKUlT_T0_E_clISt17integral_constantIbLb0EES1T_IbLb1EEEEDaS1P_S1Q_EUlS1P_E_NS1_11comp_targetILNS1_3genE3ELNS1_11target_archE908ELNS1_3gpuE7ELNS1_3repE0EEENS1_30default_config_static_selectorELNS0_4arch9wavefront6targetE0EEEvS12_.has_recursion, 0
	.set _ZN7rocprim17ROCPRIM_400000_NS6detail17trampoline_kernelINS0_13select_configILj256ELj13ELNS0_17block_load_methodE3ELS4_3ELS4_3ELNS0_20block_scan_algorithmE0ELj4294967295EEENS1_25partition_config_selectorILNS1_17partition_subalgoE4EjNS0_10empty_typeEbEEZZNS1_14partition_implILS8_4ELb0ES6_15HIP_vector_typeIjLj2EENS0_17counting_iteratorIjlEEPS9_SG_NS0_5tupleIJPjSI_NS0_16reverse_iteratorISI_EEEEENSH_IJSG_SG_SG_EEES9_SI_JZNS1_25segmented_radix_sort_implINS0_14default_configELb1EPKiPiPKlPlN2at6native12_GLOBAL__N_18offset_tEEE10hipError_tPvRmT1_PNSt15iterator_traitsIS12_E10value_typeET2_T3_PNS13_IS18_E10value_typeET4_jRbjT5_S1E_jjP12ihipStream_tbEUljE_ZNSN_ISO_Lb1ESQ_SR_ST_SU_SY_EESZ_S10_S11_S12_S16_S17_S18_S1B_S1C_jS1D_jS1E_S1E_jjS1G_bEUljE0_EEESZ_S10_S11_S18_S1C_S1E_T6_T7_T9_mT8_S1G_bDpT10_ENKUlT_T0_E_clISt17integral_constantIbLb0EES1T_IbLb1EEEEDaS1P_S1Q_EUlS1P_E_NS1_11comp_targetILNS1_3genE3ELNS1_11target_archE908ELNS1_3gpuE7ELNS1_3repE0EEENS1_30default_config_static_selectorELNS0_4arch9wavefront6targetE0EEEvS12_.has_indirect_call, 0
	.section	.AMDGPU.csdata,"",@progbits
; Kernel info:
; codeLenInByte = 0
; TotalNumSgprs: 0
; NumVgprs: 0
; ScratchSize: 0
; MemoryBound: 0
; FloatMode: 240
; IeeeMode: 1
; LDSByteSize: 0 bytes/workgroup (compile time only)
; SGPRBlocks: 0
; VGPRBlocks: 0
; NumSGPRsForWavesPerEU: 1
; NumVGPRsForWavesPerEU: 1
; Occupancy: 16
; WaveLimiterHint : 0
; COMPUTE_PGM_RSRC2:SCRATCH_EN: 0
; COMPUTE_PGM_RSRC2:USER_SGPR: 6
; COMPUTE_PGM_RSRC2:TRAP_HANDLER: 0
; COMPUTE_PGM_RSRC2:TGID_X_EN: 1
; COMPUTE_PGM_RSRC2:TGID_Y_EN: 0
; COMPUTE_PGM_RSRC2:TGID_Z_EN: 0
; COMPUTE_PGM_RSRC2:TIDIG_COMP_CNT: 0
	.section	.text._ZN7rocprim17ROCPRIM_400000_NS6detail17trampoline_kernelINS0_13select_configILj256ELj13ELNS0_17block_load_methodE3ELS4_3ELS4_3ELNS0_20block_scan_algorithmE0ELj4294967295EEENS1_25partition_config_selectorILNS1_17partition_subalgoE4EjNS0_10empty_typeEbEEZZNS1_14partition_implILS8_4ELb0ES6_15HIP_vector_typeIjLj2EENS0_17counting_iteratorIjlEEPS9_SG_NS0_5tupleIJPjSI_NS0_16reverse_iteratorISI_EEEEENSH_IJSG_SG_SG_EEES9_SI_JZNS1_25segmented_radix_sort_implINS0_14default_configELb1EPKiPiPKlPlN2at6native12_GLOBAL__N_18offset_tEEE10hipError_tPvRmT1_PNSt15iterator_traitsIS12_E10value_typeET2_T3_PNS13_IS18_E10value_typeET4_jRbjT5_S1E_jjP12ihipStream_tbEUljE_ZNSN_ISO_Lb1ESQ_SR_ST_SU_SY_EESZ_S10_S11_S12_S16_S17_S18_S1B_S1C_jS1D_jS1E_S1E_jjS1G_bEUljE0_EEESZ_S10_S11_S18_S1C_S1E_T6_T7_T9_mT8_S1G_bDpT10_ENKUlT_T0_E_clISt17integral_constantIbLb0EES1T_IbLb1EEEEDaS1P_S1Q_EUlS1P_E_NS1_11comp_targetILNS1_3genE2ELNS1_11target_archE906ELNS1_3gpuE6ELNS1_3repE0EEENS1_30default_config_static_selectorELNS0_4arch9wavefront6targetE0EEEvS12_,"axG",@progbits,_ZN7rocprim17ROCPRIM_400000_NS6detail17trampoline_kernelINS0_13select_configILj256ELj13ELNS0_17block_load_methodE3ELS4_3ELS4_3ELNS0_20block_scan_algorithmE0ELj4294967295EEENS1_25partition_config_selectorILNS1_17partition_subalgoE4EjNS0_10empty_typeEbEEZZNS1_14partition_implILS8_4ELb0ES6_15HIP_vector_typeIjLj2EENS0_17counting_iteratorIjlEEPS9_SG_NS0_5tupleIJPjSI_NS0_16reverse_iteratorISI_EEEEENSH_IJSG_SG_SG_EEES9_SI_JZNS1_25segmented_radix_sort_implINS0_14default_configELb1EPKiPiPKlPlN2at6native12_GLOBAL__N_18offset_tEEE10hipError_tPvRmT1_PNSt15iterator_traitsIS12_E10value_typeET2_T3_PNS13_IS18_E10value_typeET4_jRbjT5_S1E_jjP12ihipStream_tbEUljE_ZNSN_ISO_Lb1ESQ_SR_ST_SU_SY_EESZ_S10_S11_S12_S16_S17_S18_S1B_S1C_jS1D_jS1E_S1E_jjS1G_bEUljE0_EEESZ_S10_S11_S18_S1C_S1E_T6_T7_T9_mT8_S1G_bDpT10_ENKUlT_T0_E_clISt17integral_constantIbLb0EES1T_IbLb1EEEEDaS1P_S1Q_EUlS1P_E_NS1_11comp_targetILNS1_3genE2ELNS1_11target_archE906ELNS1_3gpuE6ELNS1_3repE0EEENS1_30default_config_static_selectorELNS0_4arch9wavefront6targetE0EEEvS12_,comdat
	.globl	_ZN7rocprim17ROCPRIM_400000_NS6detail17trampoline_kernelINS0_13select_configILj256ELj13ELNS0_17block_load_methodE3ELS4_3ELS4_3ELNS0_20block_scan_algorithmE0ELj4294967295EEENS1_25partition_config_selectorILNS1_17partition_subalgoE4EjNS0_10empty_typeEbEEZZNS1_14partition_implILS8_4ELb0ES6_15HIP_vector_typeIjLj2EENS0_17counting_iteratorIjlEEPS9_SG_NS0_5tupleIJPjSI_NS0_16reverse_iteratorISI_EEEEENSH_IJSG_SG_SG_EEES9_SI_JZNS1_25segmented_radix_sort_implINS0_14default_configELb1EPKiPiPKlPlN2at6native12_GLOBAL__N_18offset_tEEE10hipError_tPvRmT1_PNSt15iterator_traitsIS12_E10value_typeET2_T3_PNS13_IS18_E10value_typeET4_jRbjT5_S1E_jjP12ihipStream_tbEUljE_ZNSN_ISO_Lb1ESQ_SR_ST_SU_SY_EESZ_S10_S11_S12_S16_S17_S18_S1B_S1C_jS1D_jS1E_S1E_jjS1G_bEUljE0_EEESZ_S10_S11_S18_S1C_S1E_T6_T7_T9_mT8_S1G_bDpT10_ENKUlT_T0_E_clISt17integral_constantIbLb0EES1T_IbLb1EEEEDaS1P_S1Q_EUlS1P_E_NS1_11comp_targetILNS1_3genE2ELNS1_11target_archE906ELNS1_3gpuE6ELNS1_3repE0EEENS1_30default_config_static_selectorELNS0_4arch9wavefront6targetE0EEEvS12_ ; -- Begin function _ZN7rocprim17ROCPRIM_400000_NS6detail17trampoline_kernelINS0_13select_configILj256ELj13ELNS0_17block_load_methodE3ELS4_3ELS4_3ELNS0_20block_scan_algorithmE0ELj4294967295EEENS1_25partition_config_selectorILNS1_17partition_subalgoE4EjNS0_10empty_typeEbEEZZNS1_14partition_implILS8_4ELb0ES6_15HIP_vector_typeIjLj2EENS0_17counting_iteratorIjlEEPS9_SG_NS0_5tupleIJPjSI_NS0_16reverse_iteratorISI_EEEEENSH_IJSG_SG_SG_EEES9_SI_JZNS1_25segmented_radix_sort_implINS0_14default_configELb1EPKiPiPKlPlN2at6native12_GLOBAL__N_18offset_tEEE10hipError_tPvRmT1_PNSt15iterator_traitsIS12_E10value_typeET2_T3_PNS13_IS18_E10value_typeET4_jRbjT5_S1E_jjP12ihipStream_tbEUljE_ZNSN_ISO_Lb1ESQ_SR_ST_SU_SY_EESZ_S10_S11_S12_S16_S17_S18_S1B_S1C_jS1D_jS1E_S1E_jjS1G_bEUljE0_EEESZ_S10_S11_S18_S1C_S1E_T6_T7_T9_mT8_S1G_bDpT10_ENKUlT_T0_E_clISt17integral_constantIbLb0EES1T_IbLb1EEEEDaS1P_S1Q_EUlS1P_E_NS1_11comp_targetILNS1_3genE2ELNS1_11target_archE906ELNS1_3gpuE6ELNS1_3repE0EEENS1_30default_config_static_selectorELNS0_4arch9wavefront6targetE0EEEvS12_
	.p2align	8
	.type	_ZN7rocprim17ROCPRIM_400000_NS6detail17trampoline_kernelINS0_13select_configILj256ELj13ELNS0_17block_load_methodE3ELS4_3ELS4_3ELNS0_20block_scan_algorithmE0ELj4294967295EEENS1_25partition_config_selectorILNS1_17partition_subalgoE4EjNS0_10empty_typeEbEEZZNS1_14partition_implILS8_4ELb0ES6_15HIP_vector_typeIjLj2EENS0_17counting_iteratorIjlEEPS9_SG_NS0_5tupleIJPjSI_NS0_16reverse_iteratorISI_EEEEENSH_IJSG_SG_SG_EEES9_SI_JZNS1_25segmented_radix_sort_implINS0_14default_configELb1EPKiPiPKlPlN2at6native12_GLOBAL__N_18offset_tEEE10hipError_tPvRmT1_PNSt15iterator_traitsIS12_E10value_typeET2_T3_PNS13_IS18_E10value_typeET4_jRbjT5_S1E_jjP12ihipStream_tbEUljE_ZNSN_ISO_Lb1ESQ_SR_ST_SU_SY_EESZ_S10_S11_S12_S16_S17_S18_S1B_S1C_jS1D_jS1E_S1E_jjS1G_bEUljE0_EEESZ_S10_S11_S18_S1C_S1E_T6_T7_T9_mT8_S1G_bDpT10_ENKUlT_T0_E_clISt17integral_constantIbLb0EES1T_IbLb1EEEEDaS1P_S1Q_EUlS1P_E_NS1_11comp_targetILNS1_3genE2ELNS1_11target_archE906ELNS1_3gpuE6ELNS1_3repE0EEENS1_30default_config_static_selectorELNS0_4arch9wavefront6targetE0EEEvS12_,@function
_ZN7rocprim17ROCPRIM_400000_NS6detail17trampoline_kernelINS0_13select_configILj256ELj13ELNS0_17block_load_methodE3ELS4_3ELS4_3ELNS0_20block_scan_algorithmE0ELj4294967295EEENS1_25partition_config_selectorILNS1_17partition_subalgoE4EjNS0_10empty_typeEbEEZZNS1_14partition_implILS8_4ELb0ES6_15HIP_vector_typeIjLj2EENS0_17counting_iteratorIjlEEPS9_SG_NS0_5tupleIJPjSI_NS0_16reverse_iteratorISI_EEEEENSH_IJSG_SG_SG_EEES9_SI_JZNS1_25segmented_radix_sort_implINS0_14default_configELb1EPKiPiPKlPlN2at6native12_GLOBAL__N_18offset_tEEE10hipError_tPvRmT1_PNSt15iterator_traitsIS12_E10value_typeET2_T3_PNS13_IS18_E10value_typeET4_jRbjT5_S1E_jjP12ihipStream_tbEUljE_ZNSN_ISO_Lb1ESQ_SR_ST_SU_SY_EESZ_S10_S11_S12_S16_S17_S18_S1B_S1C_jS1D_jS1E_S1E_jjS1G_bEUljE0_EEESZ_S10_S11_S18_S1C_S1E_T6_T7_T9_mT8_S1G_bDpT10_ENKUlT_T0_E_clISt17integral_constantIbLb0EES1T_IbLb1EEEEDaS1P_S1Q_EUlS1P_E_NS1_11comp_targetILNS1_3genE2ELNS1_11target_archE906ELNS1_3gpuE6ELNS1_3repE0EEENS1_30default_config_static_selectorELNS0_4arch9wavefront6targetE0EEEvS12_: ; @_ZN7rocprim17ROCPRIM_400000_NS6detail17trampoline_kernelINS0_13select_configILj256ELj13ELNS0_17block_load_methodE3ELS4_3ELS4_3ELNS0_20block_scan_algorithmE0ELj4294967295EEENS1_25partition_config_selectorILNS1_17partition_subalgoE4EjNS0_10empty_typeEbEEZZNS1_14partition_implILS8_4ELb0ES6_15HIP_vector_typeIjLj2EENS0_17counting_iteratorIjlEEPS9_SG_NS0_5tupleIJPjSI_NS0_16reverse_iteratorISI_EEEEENSH_IJSG_SG_SG_EEES9_SI_JZNS1_25segmented_radix_sort_implINS0_14default_configELb1EPKiPiPKlPlN2at6native12_GLOBAL__N_18offset_tEEE10hipError_tPvRmT1_PNSt15iterator_traitsIS12_E10value_typeET2_T3_PNS13_IS18_E10value_typeET4_jRbjT5_S1E_jjP12ihipStream_tbEUljE_ZNSN_ISO_Lb1ESQ_SR_ST_SU_SY_EESZ_S10_S11_S12_S16_S17_S18_S1B_S1C_jS1D_jS1E_S1E_jjS1G_bEUljE0_EEESZ_S10_S11_S18_S1C_S1E_T6_T7_T9_mT8_S1G_bDpT10_ENKUlT_T0_E_clISt17integral_constantIbLb0EES1T_IbLb1EEEEDaS1P_S1Q_EUlS1P_E_NS1_11comp_targetILNS1_3genE2ELNS1_11target_archE906ELNS1_3gpuE6ELNS1_3repE0EEENS1_30default_config_static_selectorELNS0_4arch9wavefront6targetE0EEEvS12_
; %bb.0:
	.section	.rodata,"a",@progbits
	.p2align	6, 0x0
	.amdhsa_kernel _ZN7rocprim17ROCPRIM_400000_NS6detail17trampoline_kernelINS0_13select_configILj256ELj13ELNS0_17block_load_methodE3ELS4_3ELS4_3ELNS0_20block_scan_algorithmE0ELj4294967295EEENS1_25partition_config_selectorILNS1_17partition_subalgoE4EjNS0_10empty_typeEbEEZZNS1_14partition_implILS8_4ELb0ES6_15HIP_vector_typeIjLj2EENS0_17counting_iteratorIjlEEPS9_SG_NS0_5tupleIJPjSI_NS0_16reverse_iteratorISI_EEEEENSH_IJSG_SG_SG_EEES9_SI_JZNS1_25segmented_radix_sort_implINS0_14default_configELb1EPKiPiPKlPlN2at6native12_GLOBAL__N_18offset_tEEE10hipError_tPvRmT1_PNSt15iterator_traitsIS12_E10value_typeET2_T3_PNS13_IS18_E10value_typeET4_jRbjT5_S1E_jjP12ihipStream_tbEUljE_ZNSN_ISO_Lb1ESQ_SR_ST_SU_SY_EESZ_S10_S11_S12_S16_S17_S18_S1B_S1C_jS1D_jS1E_S1E_jjS1G_bEUljE0_EEESZ_S10_S11_S18_S1C_S1E_T6_T7_T9_mT8_S1G_bDpT10_ENKUlT_T0_E_clISt17integral_constantIbLb0EES1T_IbLb1EEEEDaS1P_S1Q_EUlS1P_E_NS1_11comp_targetILNS1_3genE2ELNS1_11target_archE906ELNS1_3gpuE6ELNS1_3repE0EEENS1_30default_config_static_selectorELNS0_4arch9wavefront6targetE0EEEvS12_
		.amdhsa_group_segment_fixed_size 0
		.amdhsa_private_segment_fixed_size 0
		.amdhsa_kernarg_size 184
		.amdhsa_user_sgpr_count 6
		.amdhsa_user_sgpr_private_segment_buffer 1
		.amdhsa_user_sgpr_dispatch_ptr 0
		.amdhsa_user_sgpr_queue_ptr 0
		.amdhsa_user_sgpr_kernarg_segment_ptr 1
		.amdhsa_user_sgpr_dispatch_id 0
		.amdhsa_user_sgpr_flat_scratch_init 0
		.amdhsa_user_sgpr_private_segment_size 0
		.amdhsa_wavefront_size32 1
		.amdhsa_uses_dynamic_stack 0
		.amdhsa_system_sgpr_private_segment_wavefront_offset 0
		.amdhsa_system_sgpr_workgroup_id_x 1
		.amdhsa_system_sgpr_workgroup_id_y 0
		.amdhsa_system_sgpr_workgroup_id_z 0
		.amdhsa_system_sgpr_workgroup_info 0
		.amdhsa_system_vgpr_workitem_id 0
		.amdhsa_next_free_vgpr 1
		.amdhsa_next_free_sgpr 1
		.amdhsa_reserve_vcc 0
		.amdhsa_reserve_flat_scratch 0
		.amdhsa_float_round_mode_32 0
		.amdhsa_float_round_mode_16_64 0
		.amdhsa_float_denorm_mode_32 3
		.amdhsa_float_denorm_mode_16_64 3
		.amdhsa_dx10_clamp 1
		.amdhsa_ieee_mode 1
		.amdhsa_fp16_overflow 0
		.amdhsa_workgroup_processor_mode 1
		.amdhsa_memory_ordered 1
		.amdhsa_forward_progress 1
		.amdhsa_shared_vgpr_count 0
		.amdhsa_exception_fp_ieee_invalid_op 0
		.amdhsa_exception_fp_denorm_src 0
		.amdhsa_exception_fp_ieee_div_zero 0
		.amdhsa_exception_fp_ieee_overflow 0
		.amdhsa_exception_fp_ieee_underflow 0
		.amdhsa_exception_fp_ieee_inexact 0
		.amdhsa_exception_int_div_zero 0
	.end_amdhsa_kernel
	.section	.text._ZN7rocprim17ROCPRIM_400000_NS6detail17trampoline_kernelINS0_13select_configILj256ELj13ELNS0_17block_load_methodE3ELS4_3ELS4_3ELNS0_20block_scan_algorithmE0ELj4294967295EEENS1_25partition_config_selectorILNS1_17partition_subalgoE4EjNS0_10empty_typeEbEEZZNS1_14partition_implILS8_4ELb0ES6_15HIP_vector_typeIjLj2EENS0_17counting_iteratorIjlEEPS9_SG_NS0_5tupleIJPjSI_NS0_16reverse_iteratorISI_EEEEENSH_IJSG_SG_SG_EEES9_SI_JZNS1_25segmented_radix_sort_implINS0_14default_configELb1EPKiPiPKlPlN2at6native12_GLOBAL__N_18offset_tEEE10hipError_tPvRmT1_PNSt15iterator_traitsIS12_E10value_typeET2_T3_PNS13_IS18_E10value_typeET4_jRbjT5_S1E_jjP12ihipStream_tbEUljE_ZNSN_ISO_Lb1ESQ_SR_ST_SU_SY_EESZ_S10_S11_S12_S16_S17_S18_S1B_S1C_jS1D_jS1E_S1E_jjS1G_bEUljE0_EEESZ_S10_S11_S18_S1C_S1E_T6_T7_T9_mT8_S1G_bDpT10_ENKUlT_T0_E_clISt17integral_constantIbLb0EES1T_IbLb1EEEEDaS1P_S1Q_EUlS1P_E_NS1_11comp_targetILNS1_3genE2ELNS1_11target_archE906ELNS1_3gpuE6ELNS1_3repE0EEENS1_30default_config_static_selectorELNS0_4arch9wavefront6targetE0EEEvS12_,"axG",@progbits,_ZN7rocprim17ROCPRIM_400000_NS6detail17trampoline_kernelINS0_13select_configILj256ELj13ELNS0_17block_load_methodE3ELS4_3ELS4_3ELNS0_20block_scan_algorithmE0ELj4294967295EEENS1_25partition_config_selectorILNS1_17partition_subalgoE4EjNS0_10empty_typeEbEEZZNS1_14partition_implILS8_4ELb0ES6_15HIP_vector_typeIjLj2EENS0_17counting_iteratorIjlEEPS9_SG_NS0_5tupleIJPjSI_NS0_16reverse_iteratorISI_EEEEENSH_IJSG_SG_SG_EEES9_SI_JZNS1_25segmented_radix_sort_implINS0_14default_configELb1EPKiPiPKlPlN2at6native12_GLOBAL__N_18offset_tEEE10hipError_tPvRmT1_PNSt15iterator_traitsIS12_E10value_typeET2_T3_PNS13_IS18_E10value_typeET4_jRbjT5_S1E_jjP12ihipStream_tbEUljE_ZNSN_ISO_Lb1ESQ_SR_ST_SU_SY_EESZ_S10_S11_S12_S16_S17_S18_S1B_S1C_jS1D_jS1E_S1E_jjS1G_bEUljE0_EEESZ_S10_S11_S18_S1C_S1E_T6_T7_T9_mT8_S1G_bDpT10_ENKUlT_T0_E_clISt17integral_constantIbLb0EES1T_IbLb1EEEEDaS1P_S1Q_EUlS1P_E_NS1_11comp_targetILNS1_3genE2ELNS1_11target_archE906ELNS1_3gpuE6ELNS1_3repE0EEENS1_30default_config_static_selectorELNS0_4arch9wavefront6targetE0EEEvS12_,comdat
.Lfunc_end457:
	.size	_ZN7rocprim17ROCPRIM_400000_NS6detail17trampoline_kernelINS0_13select_configILj256ELj13ELNS0_17block_load_methodE3ELS4_3ELS4_3ELNS0_20block_scan_algorithmE0ELj4294967295EEENS1_25partition_config_selectorILNS1_17partition_subalgoE4EjNS0_10empty_typeEbEEZZNS1_14partition_implILS8_4ELb0ES6_15HIP_vector_typeIjLj2EENS0_17counting_iteratorIjlEEPS9_SG_NS0_5tupleIJPjSI_NS0_16reverse_iteratorISI_EEEEENSH_IJSG_SG_SG_EEES9_SI_JZNS1_25segmented_radix_sort_implINS0_14default_configELb1EPKiPiPKlPlN2at6native12_GLOBAL__N_18offset_tEEE10hipError_tPvRmT1_PNSt15iterator_traitsIS12_E10value_typeET2_T3_PNS13_IS18_E10value_typeET4_jRbjT5_S1E_jjP12ihipStream_tbEUljE_ZNSN_ISO_Lb1ESQ_SR_ST_SU_SY_EESZ_S10_S11_S12_S16_S17_S18_S1B_S1C_jS1D_jS1E_S1E_jjS1G_bEUljE0_EEESZ_S10_S11_S18_S1C_S1E_T6_T7_T9_mT8_S1G_bDpT10_ENKUlT_T0_E_clISt17integral_constantIbLb0EES1T_IbLb1EEEEDaS1P_S1Q_EUlS1P_E_NS1_11comp_targetILNS1_3genE2ELNS1_11target_archE906ELNS1_3gpuE6ELNS1_3repE0EEENS1_30default_config_static_selectorELNS0_4arch9wavefront6targetE0EEEvS12_, .Lfunc_end457-_ZN7rocprim17ROCPRIM_400000_NS6detail17trampoline_kernelINS0_13select_configILj256ELj13ELNS0_17block_load_methodE3ELS4_3ELS4_3ELNS0_20block_scan_algorithmE0ELj4294967295EEENS1_25partition_config_selectorILNS1_17partition_subalgoE4EjNS0_10empty_typeEbEEZZNS1_14partition_implILS8_4ELb0ES6_15HIP_vector_typeIjLj2EENS0_17counting_iteratorIjlEEPS9_SG_NS0_5tupleIJPjSI_NS0_16reverse_iteratorISI_EEEEENSH_IJSG_SG_SG_EEES9_SI_JZNS1_25segmented_radix_sort_implINS0_14default_configELb1EPKiPiPKlPlN2at6native12_GLOBAL__N_18offset_tEEE10hipError_tPvRmT1_PNSt15iterator_traitsIS12_E10value_typeET2_T3_PNS13_IS18_E10value_typeET4_jRbjT5_S1E_jjP12ihipStream_tbEUljE_ZNSN_ISO_Lb1ESQ_SR_ST_SU_SY_EESZ_S10_S11_S12_S16_S17_S18_S1B_S1C_jS1D_jS1E_S1E_jjS1G_bEUljE0_EEESZ_S10_S11_S18_S1C_S1E_T6_T7_T9_mT8_S1G_bDpT10_ENKUlT_T0_E_clISt17integral_constantIbLb0EES1T_IbLb1EEEEDaS1P_S1Q_EUlS1P_E_NS1_11comp_targetILNS1_3genE2ELNS1_11target_archE906ELNS1_3gpuE6ELNS1_3repE0EEENS1_30default_config_static_selectorELNS0_4arch9wavefront6targetE0EEEvS12_
                                        ; -- End function
	.set _ZN7rocprim17ROCPRIM_400000_NS6detail17trampoline_kernelINS0_13select_configILj256ELj13ELNS0_17block_load_methodE3ELS4_3ELS4_3ELNS0_20block_scan_algorithmE0ELj4294967295EEENS1_25partition_config_selectorILNS1_17partition_subalgoE4EjNS0_10empty_typeEbEEZZNS1_14partition_implILS8_4ELb0ES6_15HIP_vector_typeIjLj2EENS0_17counting_iteratorIjlEEPS9_SG_NS0_5tupleIJPjSI_NS0_16reverse_iteratorISI_EEEEENSH_IJSG_SG_SG_EEES9_SI_JZNS1_25segmented_radix_sort_implINS0_14default_configELb1EPKiPiPKlPlN2at6native12_GLOBAL__N_18offset_tEEE10hipError_tPvRmT1_PNSt15iterator_traitsIS12_E10value_typeET2_T3_PNS13_IS18_E10value_typeET4_jRbjT5_S1E_jjP12ihipStream_tbEUljE_ZNSN_ISO_Lb1ESQ_SR_ST_SU_SY_EESZ_S10_S11_S12_S16_S17_S18_S1B_S1C_jS1D_jS1E_S1E_jjS1G_bEUljE0_EEESZ_S10_S11_S18_S1C_S1E_T6_T7_T9_mT8_S1G_bDpT10_ENKUlT_T0_E_clISt17integral_constantIbLb0EES1T_IbLb1EEEEDaS1P_S1Q_EUlS1P_E_NS1_11comp_targetILNS1_3genE2ELNS1_11target_archE906ELNS1_3gpuE6ELNS1_3repE0EEENS1_30default_config_static_selectorELNS0_4arch9wavefront6targetE0EEEvS12_.num_vgpr, 0
	.set _ZN7rocprim17ROCPRIM_400000_NS6detail17trampoline_kernelINS0_13select_configILj256ELj13ELNS0_17block_load_methodE3ELS4_3ELS4_3ELNS0_20block_scan_algorithmE0ELj4294967295EEENS1_25partition_config_selectorILNS1_17partition_subalgoE4EjNS0_10empty_typeEbEEZZNS1_14partition_implILS8_4ELb0ES6_15HIP_vector_typeIjLj2EENS0_17counting_iteratorIjlEEPS9_SG_NS0_5tupleIJPjSI_NS0_16reverse_iteratorISI_EEEEENSH_IJSG_SG_SG_EEES9_SI_JZNS1_25segmented_radix_sort_implINS0_14default_configELb1EPKiPiPKlPlN2at6native12_GLOBAL__N_18offset_tEEE10hipError_tPvRmT1_PNSt15iterator_traitsIS12_E10value_typeET2_T3_PNS13_IS18_E10value_typeET4_jRbjT5_S1E_jjP12ihipStream_tbEUljE_ZNSN_ISO_Lb1ESQ_SR_ST_SU_SY_EESZ_S10_S11_S12_S16_S17_S18_S1B_S1C_jS1D_jS1E_S1E_jjS1G_bEUljE0_EEESZ_S10_S11_S18_S1C_S1E_T6_T7_T9_mT8_S1G_bDpT10_ENKUlT_T0_E_clISt17integral_constantIbLb0EES1T_IbLb1EEEEDaS1P_S1Q_EUlS1P_E_NS1_11comp_targetILNS1_3genE2ELNS1_11target_archE906ELNS1_3gpuE6ELNS1_3repE0EEENS1_30default_config_static_selectorELNS0_4arch9wavefront6targetE0EEEvS12_.num_agpr, 0
	.set _ZN7rocprim17ROCPRIM_400000_NS6detail17trampoline_kernelINS0_13select_configILj256ELj13ELNS0_17block_load_methodE3ELS4_3ELS4_3ELNS0_20block_scan_algorithmE0ELj4294967295EEENS1_25partition_config_selectorILNS1_17partition_subalgoE4EjNS0_10empty_typeEbEEZZNS1_14partition_implILS8_4ELb0ES6_15HIP_vector_typeIjLj2EENS0_17counting_iteratorIjlEEPS9_SG_NS0_5tupleIJPjSI_NS0_16reverse_iteratorISI_EEEEENSH_IJSG_SG_SG_EEES9_SI_JZNS1_25segmented_radix_sort_implINS0_14default_configELb1EPKiPiPKlPlN2at6native12_GLOBAL__N_18offset_tEEE10hipError_tPvRmT1_PNSt15iterator_traitsIS12_E10value_typeET2_T3_PNS13_IS18_E10value_typeET4_jRbjT5_S1E_jjP12ihipStream_tbEUljE_ZNSN_ISO_Lb1ESQ_SR_ST_SU_SY_EESZ_S10_S11_S12_S16_S17_S18_S1B_S1C_jS1D_jS1E_S1E_jjS1G_bEUljE0_EEESZ_S10_S11_S18_S1C_S1E_T6_T7_T9_mT8_S1G_bDpT10_ENKUlT_T0_E_clISt17integral_constantIbLb0EES1T_IbLb1EEEEDaS1P_S1Q_EUlS1P_E_NS1_11comp_targetILNS1_3genE2ELNS1_11target_archE906ELNS1_3gpuE6ELNS1_3repE0EEENS1_30default_config_static_selectorELNS0_4arch9wavefront6targetE0EEEvS12_.numbered_sgpr, 0
	.set _ZN7rocprim17ROCPRIM_400000_NS6detail17trampoline_kernelINS0_13select_configILj256ELj13ELNS0_17block_load_methodE3ELS4_3ELS4_3ELNS0_20block_scan_algorithmE0ELj4294967295EEENS1_25partition_config_selectorILNS1_17partition_subalgoE4EjNS0_10empty_typeEbEEZZNS1_14partition_implILS8_4ELb0ES6_15HIP_vector_typeIjLj2EENS0_17counting_iteratorIjlEEPS9_SG_NS0_5tupleIJPjSI_NS0_16reverse_iteratorISI_EEEEENSH_IJSG_SG_SG_EEES9_SI_JZNS1_25segmented_radix_sort_implINS0_14default_configELb1EPKiPiPKlPlN2at6native12_GLOBAL__N_18offset_tEEE10hipError_tPvRmT1_PNSt15iterator_traitsIS12_E10value_typeET2_T3_PNS13_IS18_E10value_typeET4_jRbjT5_S1E_jjP12ihipStream_tbEUljE_ZNSN_ISO_Lb1ESQ_SR_ST_SU_SY_EESZ_S10_S11_S12_S16_S17_S18_S1B_S1C_jS1D_jS1E_S1E_jjS1G_bEUljE0_EEESZ_S10_S11_S18_S1C_S1E_T6_T7_T9_mT8_S1G_bDpT10_ENKUlT_T0_E_clISt17integral_constantIbLb0EES1T_IbLb1EEEEDaS1P_S1Q_EUlS1P_E_NS1_11comp_targetILNS1_3genE2ELNS1_11target_archE906ELNS1_3gpuE6ELNS1_3repE0EEENS1_30default_config_static_selectorELNS0_4arch9wavefront6targetE0EEEvS12_.num_named_barrier, 0
	.set _ZN7rocprim17ROCPRIM_400000_NS6detail17trampoline_kernelINS0_13select_configILj256ELj13ELNS0_17block_load_methodE3ELS4_3ELS4_3ELNS0_20block_scan_algorithmE0ELj4294967295EEENS1_25partition_config_selectorILNS1_17partition_subalgoE4EjNS0_10empty_typeEbEEZZNS1_14partition_implILS8_4ELb0ES6_15HIP_vector_typeIjLj2EENS0_17counting_iteratorIjlEEPS9_SG_NS0_5tupleIJPjSI_NS0_16reverse_iteratorISI_EEEEENSH_IJSG_SG_SG_EEES9_SI_JZNS1_25segmented_radix_sort_implINS0_14default_configELb1EPKiPiPKlPlN2at6native12_GLOBAL__N_18offset_tEEE10hipError_tPvRmT1_PNSt15iterator_traitsIS12_E10value_typeET2_T3_PNS13_IS18_E10value_typeET4_jRbjT5_S1E_jjP12ihipStream_tbEUljE_ZNSN_ISO_Lb1ESQ_SR_ST_SU_SY_EESZ_S10_S11_S12_S16_S17_S18_S1B_S1C_jS1D_jS1E_S1E_jjS1G_bEUljE0_EEESZ_S10_S11_S18_S1C_S1E_T6_T7_T9_mT8_S1G_bDpT10_ENKUlT_T0_E_clISt17integral_constantIbLb0EES1T_IbLb1EEEEDaS1P_S1Q_EUlS1P_E_NS1_11comp_targetILNS1_3genE2ELNS1_11target_archE906ELNS1_3gpuE6ELNS1_3repE0EEENS1_30default_config_static_selectorELNS0_4arch9wavefront6targetE0EEEvS12_.private_seg_size, 0
	.set _ZN7rocprim17ROCPRIM_400000_NS6detail17trampoline_kernelINS0_13select_configILj256ELj13ELNS0_17block_load_methodE3ELS4_3ELS4_3ELNS0_20block_scan_algorithmE0ELj4294967295EEENS1_25partition_config_selectorILNS1_17partition_subalgoE4EjNS0_10empty_typeEbEEZZNS1_14partition_implILS8_4ELb0ES6_15HIP_vector_typeIjLj2EENS0_17counting_iteratorIjlEEPS9_SG_NS0_5tupleIJPjSI_NS0_16reverse_iteratorISI_EEEEENSH_IJSG_SG_SG_EEES9_SI_JZNS1_25segmented_radix_sort_implINS0_14default_configELb1EPKiPiPKlPlN2at6native12_GLOBAL__N_18offset_tEEE10hipError_tPvRmT1_PNSt15iterator_traitsIS12_E10value_typeET2_T3_PNS13_IS18_E10value_typeET4_jRbjT5_S1E_jjP12ihipStream_tbEUljE_ZNSN_ISO_Lb1ESQ_SR_ST_SU_SY_EESZ_S10_S11_S12_S16_S17_S18_S1B_S1C_jS1D_jS1E_S1E_jjS1G_bEUljE0_EEESZ_S10_S11_S18_S1C_S1E_T6_T7_T9_mT8_S1G_bDpT10_ENKUlT_T0_E_clISt17integral_constantIbLb0EES1T_IbLb1EEEEDaS1P_S1Q_EUlS1P_E_NS1_11comp_targetILNS1_3genE2ELNS1_11target_archE906ELNS1_3gpuE6ELNS1_3repE0EEENS1_30default_config_static_selectorELNS0_4arch9wavefront6targetE0EEEvS12_.uses_vcc, 0
	.set _ZN7rocprim17ROCPRIM_400000_NS6detail17trampoline_kernelINS0_13select_configILj256ELj13ELNS0_17block_load_methodE3ELS4_3ELS4_3ELNS0_20block_scan_algorithmE0ELj4294967295EEENS1_25partition_config_selectorILNS1_17partition_subalgoE4EjNS0_10empty_typeEbEEZZNS1_14partition_implILS8_4ELb0ES6_15HIP_vector_typeIjLj2EENS0_17counting_iteratorIjlEEPS9_SG_NS0_5tupleIJPjSI_NS0_16reverse_iteratorISI_EEEEENSH_IJSG_SG_SG_EEES9_SI_JZNS1_25segmented_radix_sort_implINS0_14default_configELb1EPKiPiPKlPlN2at6native12_GLOBAL__N_18offset_tEEE10hipError_tPvRmT1_PNSt15iterator_traitsIS12_E10value_typeET2_T3_PNS13_IS18_E10value_typeET4_jRbjT5_S1E_jjP12ihipStream_tbEUljE_ZNSN_ISO_Lb1ESQ_SR_ST_SU_SY_EESZ_S10_S11_S12_S16_S17_S18_S1B_S1C_jS1D_jS1E_S1E_jjS1G_bEUljE0_EEESZ_S10_S11_S18_S1C_S1E_T6_T7_T9_mT8_S1G_bDpT10_ENKUlT_T0_E_clISt17integral_constantIbLb0EES1T_IbLb1EEEEDaS1P_S1Q_EUlS1P_E_NS1_11comp_targetILNS1_3genE2ELNS1_11target_archE906ELNS1_3gpuE6ELNS1_3repE0EEENS1_30default_config_static_selectorELNS0_4arch9wavefront6targetE0EEEvS12_.uses_flat_scratch, 0
	.set _ZN7rocprim17ROCPRIM_400000_NS6detail17trampoline_kernelINS0_13select_configILj256ELj13ELNS0_17block_load_methodE3ELS4_3ELS4_3ELNS0_20block_scan_algorithmE0ELj4294967295EEENS1_25partition_config_selectorILNS1_17partition_subalgoE4EjNS0_10empty_typeEbEEZZNS1_14partition_implILS8_4ELb0ES6_15HIP_vector_typeIjLj2EENS0_17counting_iteratorIjlEEPS9_SG_NS0_5tupleIJPjSI_NS0_16reverse_iteratorISI_EEEEENSH_IJSG_SG_SG_EEES9_SI_JZNS1_25segmented_radix_sort_implINS0_14default_configELb1EPKiPiPKlPlN2at6native12_GLOBAL__N_18offset_tEEE10hipError_tPvRmT1_PNSt15iterator_traitsIS12_E10value_typeET2_T3_PNS13_IS18_E10value_typeET4_jRbjT5_S1E_jjP12ihipStream_tbEUljE_ZNSN_ISO_Lb1ESQ_SR_ST_SU_SY_EESZ_S10_S11_S12_S16_S17_S18_S1B_S1C_jS1D_jS1E_S1E_jjS1G_bEUljE0_EEESZ_S10_S11_S18_S1C_S1E_T6_T7_T9_mT8_S1G_bDpT10_ENKUlT_T0_E_clISt17integral_constantIbLb0EES1T_IbLb1EEEEDaS1P_S1Q_EUlS1P_E_NS1_11comp_targetILNS1_3genE2ELNS1_11target_archE906ELNS1_3gpuE6ELNS1_3repE0EEENS1_30default_config_static_selectorELNS0_4arch9wavefront6targetE0EEEvS12_.has_dyn_sized_stack, 0
	.set _ZN7rocprim17ROCPRIM_400000_NS6detail17trampoline_kernelINS0_13select_configILj256ELj13ELNS0_17block_load_methodE3ELS4_3ELS4_3ELNS0_20block_scan_algorithmE0ELj4294967295EEENS1_25partition_config_selectorILNS1_17partition_subalgoE4EjNS0_10empty_typeEbEEZZNS1_14partition_implILS8_4ELb0ES6_15HIP_vector_typeIjLj2EENS0_17counting_iteratorIjlEEPS9_SG_NS0_5tupleIJPjSI_NS0_16reverse_iteratorISI_EEEEENSH_IJSG_SG_SG_EEES9_SI_JZNS1_25segmented_radix_sort_implINS0_14default_configELb1EPKiPiPKlPlN2at6native12_GLOBAL__N_18offset_tEEE10hipError_tPvRmT1_PNSt15iterator_traitsIS12_E10value_typeET2_T3_PNS13_IS18_E10value_typeET4_jRbjT5_S1E_jjP12ihipStream_tbEUljE_ZNSN_ISO_Lb1ESQ_SR_ST_SU_SY_EESZ_S10_S11_S12_S16_S17_S18_S1B_S1C_jS1D_jS1E_S1E_jjS1G_bEUljE0_EEESZ_S10_S11_S18_S1C_S1E_T6_T7_T9_mT8_S1G_bDpT10_ENKUlT_T0_E_clISt17integral_constantIbLb0EES1T_IbLb1EEEEDaS1P_S1Q_EUlS1P_E_NS1_11comp_targetILNS1_3genE2ELNS1_11target_archE906ELNS1_3gpuE6ELNS1_3repE0EEENS1_30default_config_static_selectorELNS0_4arch9wavefront6targetE0EEEvS12_.has_recursion, 0
	.set _ZN7rocprim17ROCPRIM_400000_NS6detail17trampoline_kernelINS0_13select_configILj256ELj13ELNS0_17block_load_methodE3ELS4_3ELS4_3ELNS0_20block_scan_algorithmE0ELj4294967295EEENS1_25partition_config_selectorILNS1_17partition_subalgoE4EjNS0_10empty_typeEbEEZZNS1_14partition_implILS8_4ELb0ES6_15HIP_vector_typeIjLj2EENS0_17counting_iteratorIjlEEPS9_SG_NS0_5tupleIJPjSI_NS0_16reverse_iteratorISI_EEEEENSH_IJSG_SG_SG_EEES9_SI_JZNS1_25segmented_radix_sort_implINS0_14default_configELb1EPKiPiPKlPlN2at6native12_GLOBAL__N_18offset_tEEE10hipError_tPvRmT1_PNSt15iterator_traitsIS12_E10value_typeET2_T3_PNS13_IS18_E10value_typeET4_jRbjT5_S1E_jjP12ihipStream_tbEUljE_ZNSN_ISO_Lb1ESQ_SR_ST_SU_SY_EESZ_S10_S11_S12_S16_S17_S18_S1B_S1C_jS1D_jS1E_S1E_jjS1G_bEUljE0_EEESZ_S10_S11_S18_S1C_S1E_T6_T7_T9_mT8_S1G_bDpT10_ENKUlT_T0_E_clISt17integral_constantIbLb0EES1T_IbLb1EEEEDaS1P_S1Q_EUlS1P_E_NS1_11comp_targetILNS1_3genE2ELNS1_11target_archE906ELNS1_3gpuE6ELNS1_3repE0EEENS1_30default_config_static_selectorELNS0_4arch9wavefront6targetE0EEEvS12_.has_indirect_call, 0
	.section	.AMDGPU.csdata,"",@progbits
; Kernel info:
; codeLenInByte = 0
; TotalNumSgprs: 0
; NumVgprs: 0
; ScratchSize: 0
; MemoryBound: 0
; FloatMode: 240
; IeeeMode: 1
; LDSByteSize: 0 bytes/workgroup (compile time only)
; SGPRBlocks: 0
; VGPRBlocks: 0
; NumSGPRsForWavesPerEU: 1
; NumVGPRsForWavesPerEU: 1
; Occupancy: 16
; WaveLimiterHint : 0
; COMPUTE_PGM_RSRC2:SCRATCH_EN: 0
; COMPUTE_PGM_RSRC2:USER_SGPR: 6
; COMPUTE_PGM_RSRC2:TRAP_HANDLER: 0
; COMPUTE_PGM_RSRC2:TGID_X_EN: 1
; COMPUTE_PGM_RSRC2:TGID_Y_EN: 0
; COMPUTE_PGM_RSRC2:TGID_Z_EN: 0
; COMPUTE_PGM_RSRC2:TIDIG_COMP_CNT: 0
	.section	.text._ZN7rocprim17ROCPRIM_400000_NS6detail17trampoline_kernelINS0_13select_configILj256ELj13ELNS0_17block_load_methodE3ELS4_3ELS4_3ELNS0_20block_scan_algorithmE0ELj4294967295EEENS1_25partition_config_selectorILNS1_17partition_subalgoE4EjNS0_10empty_typeEbEEZZNS1_14partition_implILS8_4ELb0ES6_15HIP_vector_typeIjLj2EENS0_17counting_iteratorIjlEEPS9_SG_NS0_5tupleIJPjSI_NS0_16reverse_iteratorISI_EEEEENSH_IJSG_SG_SG_EEES9_SI_JZNS1_25segmented_radix_sort_implINS0_14default_configELb1EPKiPiPKlPlN2at6native12_GLOBAL__N_18offset_tEEE10hipError_tPvRmT1_PNSt15iterator_traitsIS12_E10value_typeET2_T3_PNS13_IS18_E10value_typeET4_jRbjT5_S1E_jjP12ihipStream_tbEUljE_ZNSN_ISO_Lb1ESQ_SR_ST_SU_SY_EESZ_S10_S11_S12_S16_S17_S18_S1B_S1C_jS1D_jS1E_S1E_jjS1G_bEUljE0_EEESZ_S10_S11_S18_S1C_S1E_T6_T7_T9_mT8_S1G_bDpT10_ENKUlT_T0_E_clISt17integral_constantIbLb0EES1T_IbLb1EEEEDaS1P_S1Q_EUlS1P_E_NS1_11comp_targetILNS1_3genE10ELNS1_11target_archE1200ELNS1_3gpuE4ELNS1_3repE0EEENS1_30default_config_static_selectorELNS0_4arch9wavefront6targetE0EEEvS12_,"axG",@progbits,_ZN7rocprim17ROCPRIM_400000_NS6detail17trampoline_kernelINS0_13select_configILj256ELj13ELNS0_17block_load_methodE3ELS4_3ELS4_3ELNS0_20block_scan_algorithmE0ELj4294967295EEENS1_25partition_config_selectorILNS1_17partition_subalgoE4EjNS0_10empty_typeEbEEZZNS1_14partition_implILS8_4ELb0ES6_15HIP_vector_typeIjLj2EENS0_17counting_iteratorIjlEEPS9_SG_NS0_5tupleIJPjSI_NS0_16reverse_iteratorISI_EEEEENSH_IJSG_SG_SG_EEES9_SI_JZNS1_25segmented_radix_sort_implINS0_14default_configELb1EPKiPiPKlPlN2at6native12_GLOBAL__N_18offset_tEEE10hipError_tPvRmT1_PNSt15iterator_traitsIS12_E10value_typeET2_T3_PNS13_IS18_E10value_typeET4_jRbjT5_S1E_jjP12ihipStream_tbEUljE_ZNSN_ISO_Lb1ESQ_SR_ST_SU_SY_EESZ_S10_S11_S12_S16_S17_S18_S1B_S1C_jS1D_jS1E_S1E_jjS1G_bEUljE0_EEESZ_S10_S11_S18_S1C_S1E_T6_T7_T9_mT8_S1G_bDpT10_ENKUlT_T0_E_clISt17integral_constantIbLb0EES1T_IbLb1EEEEDaS1P_S1Q_EUlS1P_E_NS1_11comp_targetILNS1_3genE10ELNS1_11target_archE1200ELNS1_3gpuE4ELNS1_3repE0EEENS1_30default_config_static_selectorELNS0_4arch9wavefront6targetE0EEEvS12_,comdat
	.globl	_ZN7rocprim17ROCPRIM_400000_NS6detail17trampoline_kernelINS0_13select_configILj256ELj13ELNS0_17block_load_methodE3ELS4_3ELS4_3ELNS0_20block_scan_algorithmE0ELj4294967295EEENS1_25partition_config_selectorILNS1_17partition_subalgoE4EjNS0_10empty_typeEbEEZZNS1_14partition_implILS8_4ELb0ES6_15HIP_vector_typeIjLj2EENS0_17counting_iteratorIjlEEPS9_SG_NS0_5tupleIJPjSI_NS0_16reverse_iteratorISI_EEEEENSH_IJSG_SG_SG_EEES9_SI_JZNS1_25segmented_radix_sort_implINS0_14default_configELb1EPKiPiPKlPlN2at6native12_GLOBAL__N_18offset_tEEE10hipError_tPvRmT1_PNSt15iterator_traitsIS12_E10value_typeET2_T3_PNS13_IS18_E10value_typeET4_jRbjT5_S1E_jjP12ihipStream_tbEUljE_ZNSN_ISO_Lb1ESQ_SR_ST_SU_SY_EESZ_S10_S11_S12_S16_S17_S18_S1B_S1C_jS1D_jS1E_S1E_jjS1G_bEUljE0_EEESZ_S10_S11_S18_S1C_S1E_T6_T7_T9_mT8_S1G_bDpT10_ENKUlT_T0_E_clISt17integral_constantIbLb0EES1T_IbLb1EEEEDaS1P_S1Q_EUlS1P_E_NS1_11comp_targetILNS1_3genE10ELNS1_11target_archE1200ELNS1_3gpuE4ELNS1_3repE0EEENS1_30default_config_static_selectorELNS0_4arch9wavefront6targetE0EEEvS12_ ; -- Begin function _ZN7rocprim17ROCPRIM_400000_NS6detail17trampoline_kernelINS0_13select_configILj256ELj13ELNS0_17block_load_methodE3ELS4_3ELS4_3ELNS0_20block_scan_algorithmE0ELj4294967295EEENS1_25partition_config_selectorILNS1_17partition_subalgoE4EjNS0_10empty_typeEbEEZZNS1_14partition_implILS8_4ELb0ES6_15HIP_vector_typeIjLj2EENS0_17counting_iteratorIjlEEPS9_SG_NS0_5tupleIJPjSI_NS0_16reverse_iteratorISI_EEEEENSH_IJSG_SG_SG_EEES9_SI_JZNS1_25segmented_radix_sort_implINS0_14default_configELb1EPKiPiPKlPlN2at6native12_GLOBAL__N_18offset_tEEE10hipError_tPvRmT1_PNSt15iterator_traitsIS12_E10value_typeET2_T3_PNS13_IS18_E10value_typeET4_jRbjT5_S1E_jjP12ihipStream_tbEUljE_ZNSN_ISO_Lb1ESQ_SR_ST_SU_SY_EESZ_S10_S11_S12_S16_S17_S18_S1B_S1C_jS1D_jS1E_S1E_jjS1G_bEUljE0_EEESZ_S10_S11_S18_S1C_S1E_T6_T7_T9_mT8_S1G_bDpT10_ENKUlT_T0_E_clISt17integral_constantIbLb0EES1T_IbLb1EEEEDaS1P_S1Q_EUlS1P_E_NS1_11comp_targetILNS1_3genE10ELNS1_11target_archE1200ELNS1_3gpuE4ELNS1_3repE0EEENS1_30default_config_static_selectorELNS0_4arch9wavefront6targetE0EEEvS12_
	.p2align	8
	.type	_ZN7rocprim17ROCPRIM_400000_NS6detail17trampoline_kernelINS0_13select_configILj256ELj13ELNS0_17block_load_methodE3ELS4_3ELS4_3ELNS0_20block_scan_algorithmE0ELj4294967295EEENS1_25partition_config_selectorILNS1_17partition_subalgoE4EjNS0_10empty_typeEbEEZZNS1_14partition_implILS8_4ELb0ES6_15HIP_vector_typeIjLj2EENS0_17counting_iteratorIjlEEPS9_SG_NS0_5tupleIJPjSI_NS0_16reverse_iteratorISI_EEEEENSH_IJSG_SG_SG_EEES9_SI_JZNS1_25segmented_radix_sort_implINS0_14default_configELb1EPKiPiPKlPlN2at6native12_GLOBAL__N_18offset_tEEE10hipError_tPvRmT1_PNSt15iterator_traitsIS12_E10value_typeET2_T3_PNS13_IS18_E10value_typeET4_jRbjT5_S1E_jjP12ihipStream_tbEUljE_ZNSN_ISO_Lb1ESQ_SR_ST_SU_SY_EESZ_S10_S11_S12_S16_S17_S18_S1B_S1C_jS1D_jS1E_S1E_jjS1G_bEUljE0_EEESZ_S10_S11_S18_S1C_S1E_T6_T7_T9_mT8_S1G_bDpT10_ENKUlT_T0_E_clISt17integral_constantIbLb0EES1T_IbLb1EEEEDaS1P_S1Q_EUlS1P_E_NS1_11comp_targetILNS1_3genE10ELNS1_11target_archE1200ELNS1_3gpuE4ELNS1_3repE0EEENS1_30default_config_static_selectorELNS0_4arch9wavefront6targetE0EEEvS12_,@function
_ZN7rocprim17ROCPRIM_400000_NS6detail17trampoline_kernelINS0_13select_configILj256ELj13ELNS0_17block_load_methodE3ELS4_3ELS4_3ELNS0_20block_scan_algorithmE0ELj4294967295EEENS1_25partition_config_selectorILNS1_17partition_subalgoE4EjNS0_10empty_typeEbEEZZNS1_14partition_implILS8_4ELb0ES6_15HIP_vector_typeIjLj2EENS0_17counting_iteratorIjlEEPS9_SG_NS0_5tupleIJPjSI_NS0_16reverse_iteratorISI_EEEEENSH_IJSG_SG_SG_EEES9_SI_JZNS1_25segmented_radix_sort_implINS0_14default_configELb1EPKiPiPKlPlN2at6native12_GLOBAL__N_18offset_tEEE10hipError_tPvRmT1_PNSt15iterator_traitsIS12_E10value_typeET2_T3_PNS13_IS18_E10value_typeET4_jRbjT5_S1E_jjP12ihipStream_tbEUljE_ZNSN_ISO_Lb1ESQ_SR_ST_SU_SY_EESZ_S10_S11_S12_S16_S17_S18_S1B_S1C_jS1D_jS1E_S1E_jjS1G_bEUljE0_EEESZ_S10_S11_S18_S1C_S1E_T6_T7_T9_mT8_S1G_bDpT10_ENKUlT_T0_E_clISt17integral_constantIbLb0EES1T_IbLb1EEEEDaS1P_S1Q_EUlS1P_E_NS1_11comp_targetILNS1_3genE10ELNS1_11target_archE1200ELNS1_3gpuE4ELNS1_3repE0EEENS1_30default_config_static_selectorELNS0_4arch9wavefront6targetE0EEEvS12_: ; @_ZN7rocprim17ROCPRIM_400000_NS6detail17trampoline_kernelINS0_13select_configILj256ELj13ELNS0_17block_load_methodE3ELS4_3ELS4_3ELNS0_20block_scan_algorithmE0ELj4294967295EEENS1_25partition_config_selectorILNS1_17partition_subalgoE4EjNS0_10empty_typeEbEEZZNS1_14partition_implILS8_4ELb0ES6_15HIP_vector_typeIjLj2EENS0_17counting_iteratorIjlEEPS9_SG_NS0_5tupleIJPjSI_NS0_16reverse_iteratorISI_EEEEENSH_IJSG_SG_SG_EEES9_SI_JZNS1_25segmented_radix_sort_implINS0_14default_configELb1EPKiPiPKlPlN2at6native12_GLOBAL__N_18offset_tEEE10hipError_tPvRmT1_PNSt15iterator_traitsIS12_E10value_typeET2_T3_PNS13_IS18_E10value_typeET4_jRbjT5_S1E_jjP12ihipStream_tbEUljE_ZNSN_ISO_Lb1ESQ_SR_ST_SU_SY_EESZ_S10_S11_S12_S16_S17_S18_S1B_S1C_jS1D_jS1E_S1E_jjS1G_bEUljE0_EEESZ_S10_S11_S18_S1C_S1E_T6_T7_T9_mT8_S1G_bDpT10_ENKUlT_T0_E_clISt17integral_constantIbLb0EES1T_IbLb1EEEEDaS1P_S1Q_EUlS1P_E_NS1_11comp_targetILNS1_3genE10ELNS1_11target_archE1200ELNS1_3gpuE4ELNS1_3repE0EEENS1_30default_config_static_selectorELNS0_4arch9wavefront6targetE0EEEvS12_
; %bb.0:
	.section	.rodata,"a",@progbits
	.p2align	6, 0x0
	.amdhsa_kernel _ZN7rocprim17ROCPRIM_400000_NS6detail17trampoline_kernelINS0_13select_configILj256ELj13ELNS0_17block_load_methodE3ELS4_3ELS4_3ELNS0_20block_scan_algorithmE0ELj4294967295EEENS1_25partition_config_selectorILNS1_17partition_subalgoE4EjNS0_10empty_typeEbEEZZNS1_14partition_implILS8_4ELb0ES6_15HIP_vector_typeIjLj2EENS0_17counting_iteratorIjlEEPS9_SG_NS0_5tupleIJPjSI_NS0_16reverse_iteratorISI_EEEEENSH_IJSG_SG_SG_EEES9_SI_JZNS1_25segmented_radix_sort_implINS0_14default_configELb1EPKiPiPKlPlN2at6native12_GLOBAL__N_18offset_tEEE10hipError_tPvRmT1_PNSt15iterator_traitsIS12_E10value_typeET2_T3_PNS13_IS18_E10value_typeET4_jRbjT5_S1E_jjP12ihipStream_tbEUljE_ZNSN_ISO_Lb1ESQ_SR_ST_SU_SY_EESZ_S10_S11_S12_S16_S17_S18_S1B_S1C_jS1D_jS1E_S1E_jjS1G_bEUljE0_EEESZ_S10_S11_S18_S1C_S1E_T6_T7_T9_mT8_S1G_bDpT10_ENKUlT_T0_E_clISt17integral_constantIbLb0EES1T_IbLb1EEEEDaS1P_S1Q_EUlS1P_E_NS1_11comp_targetILNS1_3genE10ELNS1_11target_archE1200ELNS1_3gpuE4ELNS1_3repE0EEENS1_30default_config_static_selectorELNS0_4arch9wavefront6targetE0EEEvS12_
		.amdhsa_group_segment_fixed_size 0
		.amdhsa_private_segment_fixed_size 0
		.amdhsa_kernarg_size 184
		.amdhsa_user_sgpr_count 6
		.amdhsa_user_sgpr_private_segment_buffer 1
		.amdhsa_user_sgpr_dispatch_ptr 0
		.amdhsa_user_sgpr_queue_ptr 0
		.amdhsa_user_sgpr_kernarg_segment_ptr 1
		.amdhsa_user_sgpr_dispatch_id 0
		.amdhsa_user_sgpr_flat_scratch_init 0
		.amdhsa_user_sgpr_private_segment_size 0
		.amdhsa_wavefront_size32 1
		.amdhsa_uses_dynamic_stack 0
		.amdhsa_system_sgpr_private_segment_wavefront_offset 0
		.amdhsa_system_sgpr_workgroup_id_x 1
		.amdhsa_system_sgpr_workgroup_id_y 0
		.amdhsa_system_sgpr_workgroup_id_z 0
		.amdhsa_system_sgpr_workgroup_info 0
		.amdhsa_system_vgpr_workitem_id 0
		.amdhsa_next_free_vgpr 1
		.amdhsa_next_free_sgpr 1
		.amdhsa_reserve_vcc 0
		.amdhsa_reserve_flat_scratch 0
		.amdhsa_float_round_mode_32 0
		.amdhsa_float_round_mode_16_64 0
		.amdhsa_float_denorm_mode_32 3
		.amdhsa_float_denorm_mode_16_64 3
		.amdhsa_dx10_clamp 1
		.amdhsa_ieee_mode 1
		.amdhsa_fp16_overflow 0
		.amdhsa_workgroup_processor_mode 1
		.amdhsa_memory_ordered 1
		.amdhsa_forward_progress 1
		.amdhsa_shared_vgpr_count 0
		.amdhsa_exception_fp_ieee_invalid_op 0
		.amdhsa_exception_fp_denorm_src 0
		.amdhsa_exception_fp_ieee_div_zero 0
		.amdhsa_exception_fp_ieee_overflow 0
		.amdhsa_exception_fp_ieee_underflow 0
		.amdhsa_exception_fp_ieee_inexact 0
		.amdhsa_exception_int_div_zero 0
	.end_amdhsa_kernel
	.section	.text._ZN7rocprim17ROCPRIM_400000_NS6detail17trampoline_kernelINS0_13select_configILj256ELj13ELNS0_17block_load_methodE3ELS4_3ELS4_3ELNS0_20block_scan_algorithmE0ELj4294967295EEENS1_25partition_config_selectorILNS1_17partition_subalgoE4EjNS0_10empty_typeEbEEZZNS1_14partition_implILS8_4ELb0ES6_15HIP_vector_typeIjLj2EENS0_17counting_iteratorIjlEEPS9_SG_NS0_5tupleIJPjSI_NS0_16reverse_iteratorISI_EEEEENSH_IJSG_SG_SG_EEES9_SI_JZNS1_25segmented_radix_sort_implINS0_14default_configELb1EPKiPiPKlPlN2at6native12_GLOBAL__N_18offset_tEEE10hipError_tPvRmT1_PNSt15iterator_traitsIS12_E10value_typeET2_T3_PNS13_IS18_E10value_typeET4_jRbjT5_S1E_jjP12ihipStream_tbEUljE_ZNSN_ISO_Lb1ESQ_SR_ST_SU_SY_EESZ_S10_S11_S12_S16_S17_S18_S1B_S1C_jS1D_jS1E_S1E_jjS1G_bEUljE0_EEESZ_S10_S11_S18_S1C_S1E_T6_T7_T9_mT8_S1G_bDpT10_ENKUlT_T0_E_clISt17integral_constantIbLb0EES1T_IbLb1EEEEDaS1P_S1Q_EUlS1P_E_NS1_11comp_targetILNS1_3genE10ELNS1_11target_archE1200ELNS1_3gpuE4ELNS1_3repE0EEENS1_30default_config_static_selectorELNS0_4arch9wavefront6targetE0EEEvS12_,"axG",@progbits,_ZN7rocprim17ROCPRIM_400000_NS6detail17trampoline_kernelINS0_13select_configILj256ELj13ELNS0_17block_load_methodE3ELS4_3ELS4_3ELNS0_20block_scan_algorithmE0ELj4294967295EEENS1_25partition_config_selectorILNS1_17partition_subalgoE4EjNS0_10empty_typeEbEEZZNS1_14partition_implILS8_4ELb0ES6_15HIP_vector_typeIjLj2EENS0_17counting_iteratorIjlEEPS9_SG_NS0_5tupleIJPjSI_NS0_16reverse_iteratorISI_EEEEENSH_IJSG_SG_SG_EEES9_SI_JZNS1_25segmented_radix_sort_implINS0_14default_configELb1EPKiPiPKlPlN2at6native12_GLOBAL__N_18offset_tEEE10hipError_tPvRmT1_PNSt15iterator_traitsIS12_E10value_typeET2_T3_PNS13_IS18_E10value_typeET4_jRbjT5_S1E_jjP12ihipStream_tbEUljE_ZNSN_ISO_Lb1ESQ_SR_ST_SU_SY_EESZ_S10_S11_S12_S16_S17_S18_S1B_S1C_jS1D_jS1E_S1E_jjS1G_bEUljE0_EEESZ_S10_S11_S18_S1C_S1E_T6_T7_T9_mT8_S1G_bDpT10_ENKUlT_T0_E_clISt17integral_constantIbLb0EES1T_IbLb1EEEEDaS1P_S1Q_EUlS1P_E_NS1_11comp_targetILNS1_3genE10ELNS1_11target_archE1200ELNS1_3gpuE4ELNS1_3repE0EEENS1_30default_config_static_selectorELNS0_4arch9wavefront6targetE0EEEvS12_,comdat
.Lfunc_end458:
	.size	_ZN7rocprim17ROCPRIM_400000_NS6detail17trampoline_kernelINS0_13select_configILj256ELj13ELNS0_17block_load_methodE3ELS4_3ELS4_3ELNS0_20block_scan_algorithmE0ELj4294967295EEENS1_25partition_config_selectorILNS1_17partition_subalgoE4EjNS0_10empty_typeEbEEZZNS1_14partition_implILS8_4ELb0ES6_15HIP_vector_typeIjLj2EENS0_17counting_iteratorIjlEEPS9_SG_NS0_5tupleIJPjSI_NS0_16reverse_iteratorISI_EEEEENSH_IJSG_SG_SG_EEES9_SI_JZNS1_25segmented_radix_sort_implINS0_14default_configELb1EPKiPiPKlPlN2at6native12_GLOBAL__N_18offset_tEEE10hipError_tPvRmT1_PNSt15iterator_traitsIS12_E10value_typeET2_T3_PNS13_IS18_E10value_typeET4_jRbjT5_S1E_jjP12ihipStream_tbEUljE_ZNSN_ISO_Lb1ESQ_SR_ST_SU_SY_EESZ_S10_S11_S12_S16_S17_S18_S1B_S1C_jS1D_jS1E_S1E_jjS1G_bEUljE0_EEESZ_S10_S11_S18_S1C_S1E_T6_T7_T9_mT8_S1G_bDpT10_ENKUlT_T0_E_clISt17integral_constantIbLb0EES1T_IbLb1EEEEDaS1P_S1Q_EUlS1P_E_NS1_11comp_targetILNS1_3genE10ELNS1_11target_archE1200ELNS1_3gpuE4ELNS1_3repE0EEENS1_30default_config_static_selectorELNS0_4arch9wavefront6targetE0EEEvS12_, .Lfunc_end458-_ZN7rocprim17ROCPRIM_400000_NS6detail17trampoline_kernelINS0_13select_configILj256ELj13ELNS0_17block_load_methodE3ELS4_3ELS4_3ELNS0_20block_scan_algorithmE0ELj4294967295EEENS1_25partition_config_selectorILNS1_17partition_subalgoE4EjNS0_10empty_typeEbEEZZNS1_14partition_implILS8_4ELb0ES6_15HIP_vector_typeIjLj2EENS0_17counting_iteratorIjlEEPS9_SG_NS0_5tupleIJPjSI_NS0_16reverse_iteratorISI_EEEEENSH_IJSG_SG_SG_EEES9_SI_JZNS1_25segmented_radix_sort_implINS0_14default_configELb1EPKiPiPKlPlN2at6native12_GLOBAL__N_18offset_tEEE10hipError_tPvRmT1_PNSt15iterator_traitsIS12_E10value_typeET2_T3_PNS13_IS18_E10value_typeET4_jRbjT5_S1E_jjP12ihipStream_tbEUljE_ZNSN_ISO_Lb1ESQ_SR_ST_SU_SY_EESZ_S10_S11_S12_S16_S17_S18_S1B_S1C_jS1D_jS1E_S1E_jjS1G_bEUljE0_EEESZ_S10_S11_S18_S1C_S1E_T6_T7_T9_mT8_S1G_bDpT10_ENKUlT_T0_E_clISt17integral_constantIbLb0EES1T_IbLb1EEEEDaS1P_S1Q_EUlS1P_E_NS1_11comp_targetILNS1_3genE10ELNS1_11target_archE1200ELNS1_3gpuE4ELNS1_3repE0EEENS1_30default_config_static_selectorELNS0_4arch9wavefront6targetE0EEEvS12_
                                        ; -- End function
	.set _ZN7rocprim17ROCPRIM_400000_NS6detail17trampoline_kernelINS0_13select_configILj256ELj13ELNS0_17block_load_methodE3ELS4_3ELS4_3ELNS0_20block_scan_algorithmE0ELj4294967295EEENS1_25partition_config_selectorILNS1_17partition_subalgoE4EjNS0_10empty_typeEbEEZZNS1_14partition_implILS8_4ELb0ES6_15HIP_vector_typeIjLj2EENS0_17counting_iteratorIjlEEPS9_SG_NS0_5tupleIJPjSI_NS0_16reverse_iteratorISI_EEEEENSH_IJSG_SG_SG_EEES9_SI_JZNS1_25segmented_radix_sort_implINS0_14default_configELb1EPKiPiPKlPlN2at6native12_GLOBAL__N_18offset_tEEE10hipError_tPvRmT1_PNSt15iterator_traitsIS12_E10value_typeET2_T3_PNS13_IS18_E10value_typeET4_jRbjT5_S1E_jjP12ihipStream_tbEUljE_ZNSN_ISO_Lb1ESQ_SR_ST_SU_SY_EESZ_S10_S11_S12_S16_S17_S18_S1B_S1C_jS1D_jS1E_S1E_jjS1G_bEUljE0_EEESZ_S10_S11_S18_S1C_S1E_T6_T7_T9_mT8_S1G_bDpT10_ENKUlT_T0_E_clISt17integral_constantIbLb0EES1T_IbLb1EEEEDaS1P_S1Q_EUlS1P_E_NS1_11comp_targetILNS1_3genE10ELNS1_11target_archE1200ELNS1_3gpuE4ELNS1_3repE0EEENS1_30default_config_static_selectorELNS0_4arch9wavefront6targetE0EEEvS12_.num_vgpr, 0
	.set _ZN7rocprim17ROCPRIM_400000_NS6detail17trampoline_kernelINS0_13select_configILj256ELj13ELNS0_17block_load_methodE3ELS4_3ELS4_3ELNS0_20block_scan_algorithmE0ELj4294967295EEENS1_25partition_config_selectorILNS1_17partition_subalgoE4EjNS0_10empty_typeEbEEZZNS1_14partition_implILS8_4ELb0ES6_15HIP_vector_typeIjLj2EENS0_17counting_iteratorIjlEEPS9_SG_NS0_5tupleIJPjSI_NS0_16reverse_iteratorISI_EEEEENSH_IJSG_SG_SG_EEES9_SI_JZNS1_25segmented_radix_sort_implINS0_14default_configELb1EPKiPiPKlPlN2at6native12_GLOBAL__N_18offset_tEEE10hipError_tPvRmT1_PNSt15iterator_traitsIS12_E10value_typeET2_T3_PNS13_IS18_E10value_typeET4_jRbjT5_S1E_jjP12ihipStream_tbEUljE_ZNSN_ISO_Lb1ESQ_SR_ST_SU_SY_EESZ_S10_S11_S12_S16_S17_S18_S1B_S1C_jS1D_jS1E_S1E_jjS1G_bEUljE0_EEESZ_S10_S11_S18_S1C_S1E_T6_T7_T9_mT8_S1G_bDpT10_ENKUlT_T0_E_clISt17integral_constantIbLb0EES1T_IbLb1EEEEDaS1P_S1Q_EUlS1P_E_NS1_11comp_targetILNS1_3genE10ELNS1_11target_archE1200ELNS1_3gpuE4ELNS1_3repE0EEENS1_30default_config_static_selectorELNS0_4arch9wavefront6targetE0EEEvS12_.num_agpr, 0
	.set _ZN7rocprim17ROCPRIM_400000_NS6detail17trampoline_kernelINS0_13select_configILj256ELj13ELNS0_17block_load_methodE3ELS4_3ELS4_3ELNS0_20block_scan_algorithmE0ELj4294967295EEENS1_25partition_config_selectorILNS1_17partition_subalgoE4EjNS0_10empty_typeEbEEZZNS1_14partition_implILS8_4ELb0ES6_15HIP_vector_typeIjLj2EENS0_17counting_iteratorIjlEEPS9_SG_NS0_5tupleIJPjSI_NS0_16reverse_iteratorISI_EEEEENSH_IJSG_SG_SG_EEES9_SI_JZNS1_25segmented_radix_sort_implINS0_14default_configELb1EPKiPiPKlPlN2at6native12_GLOBAL__N_18offset_tEEE10hipError_tPvRmT1_PNSt15iterator_traitsIS12_E10value_typeET2_T3_PNS13_IS18_E10value_typeET4_jRbjT5_S1E_jjP12ihipStream_tbEUljE_ZNSN_ISO_Lb1ESQ_SR_ST_SU_SY_EESZ_S10_S11_S12_S16_S17_S18_S1B_S1C_jS1D_jS1E_S1E_jjS1G_bEUljE0_EEESZ_S10_S11_S18_S1C_S1E_T6_T7_T9_mT8_S1G_bDpT10_ENKUlT_T0_E_clISt17integral_constantIbLb0EES1T_IbLb1EEEEDaS1P_S1Q_EUlS1P_E_NS1_11comp_targetILNS1_3genE10ELNS1_11target_archE1200ELNS1_3gpuE4ELNS1_3repE0EEENS1_30default_config_static_selectorELNS0_4arch9wavefront6targetE0EEEvS12_.numbered_sgpr, 0
	.set _ZN7rocprim17ROCPRIM_400000_NS6detail17trampoline_kernelINS0_13select_configILj256ELj13ELNS0_17block_load_methodE3ELS4_3ELS4_3ELNS0_20block_scan_algorithmE0ELj4294967295EEENS1_25partition_config_selectorILNS1_17partition_subalgoE4EjNS0_10empty_typeEbEEZZNS1_14partition_implILS8_4ELb0ES6_15HIP_vector_typeIjLj2EENS0_17counting_iteratorIjlEEPS9_SG_NS0_5tupleIJPjSI_NS0_16reverse_iteratorISI_EEEEENSH_IJSG_SG_SG_EEES9_SI_JZNS1_25segmented_radix_sort_implINS0_14default_configELb1EPKiPiPKlPlN2at6native12_GLOBAL__N_18offset_tEEE10hipError_tPvRmT1_PNSt15iterator_traitsIS12_E10value_typeET2_T3_PNS13_IS18_E10value_typeET4_jRbjT5_S1E_jjP12ihipStream_tbEUljE_ZNSN_ISO_Lb1ESQ_SR_ST_SU_SY_EESZ_S10_S11_S12_S16_S17_S18_S1B_S1C_jS1D_jS1E_S1E_jjS1G_bEUljE0_EEESZ_S10_S11_S18_S1C_S1E_T6_T7_T9_mT8_S1G_bDpT10_ENKUlT_T0_E_clISt17integral_constantIbLb0EES1T_IbLb1EEEEDaS1P_S1Q_EUlS1P_E_NS1_11comp_targetILNS1_3genE10ELNS1_11target_archE1200ELNS1_3gpuE4ELNS1_3repE0EEENS1_30default_config_static_selectorELNS0_4arch9wavefront6targetE0EEEvS12_.num_named_barrier, 0
	.set _ZN7rocprim17ROCPRIM_400000_NS6detail17trampoline_kernelINS0_13select_configILj256ELj13ELNS0_17block_load_methodE3ELS4_3ELS4_3ELNS0_20block_scan_algorithmE0ELj4294967295EEENS1_25partition_config_selectorILNS1_17partition_subalgoE4EjNS0_10empty_typeEbEEZZNS1_14partition_implILS8_4ELb0ES6_15HIP_vector_typeIjLj2EENS0_17counting_iteratorIjlEEPS9_SG_NS0_5tupleIJPjSI_NS0_16reverse_iteratorISI_EEEEENSH_IJSG_SG_SG_EEES9_SI_JZNS1_25segmented_radix_sort_implINS0_14default_configELb1EPKiPiPKlPlN2at6native12_GLOBAL__N_18offset_tEEE10hipError_tPvRmT1_PNSt15iterator_traitsIS12_E10value_typeET2_T3_PNS13_IS18_E10value_typeET4_jRbjT5_S1E_jjP12ihipStream_tbEUljE_ZNSN_ISO_Lb1ESQ_SR_ST_SU_SY_EESZ_S10_S11_S12_S16_S17_S18_S1B_S1C_jS1D_jS1E_S1E_jjS1G_bEUljE0_EEESZ_S10_S11_S18_S1C_S1E_T6_T7_T9_mT8_S1G_bDpT10_ENKUlT_T0_E_clISt17integral_constantIbLb0EES1T_IbLb1EEEEDaS1P_S1Q_EUlS1P_E_NS1_11comp_targetILNS1_3genE10ELNS1_11target_archE1200ELNS1_3gpuE4ELNS1_3repE0EEENS1_30default_config_static_selectorELNS0_4arch9wavefront6targetE0EEEvS12_.private_seg_size, 0
	.set _ZN7rocprim17ROCPRIM_400000_NS6detail17trampoline_kernelINS0_13select_configILj256ELj13ELNS0_17block_load_methodE3ELS4_3ELS4_3ELNS0_20block_scan_algorithmE0ELj4294967295EEENS1_25partition_config_selectorILNS1_17partition_subalgoE4EjNS0_10empty_typeEbEEZZNS1_14partition_implILS8_4ELb0ES6_15HIP_vector_typeIjLj2EENS0_17counting_iteratorIjlEEPS9_SG_NS0_5tupleIJPjSI_NS0_16reverse_iteratorISI_EEEEENSH_IJSG_SG_SG_EEES9_SI_JZNS1_25segmented_radix_sort_implINS0_14default_configELb1EPKiPiPKlPlN2at6native12_GLOBAL__N_18offset_tEEE10hipError_tPvRmT1_PNSt15iterator_traitsIS12_E10value_typeET2_T3_PNS13_IS18_E10value_typeET4_jRbjT5_S1E_jjP12ihipStream_tbEUljE_ZNSN_ISO_Lb1ESQ_SR_ST_SU_SY_EESZ_S10_S11_S12_S16_S17_S18_S1B_S1C_jS1D_jS1E_S1E_jjS1G_bEUljE0_EEESZ_S10_S11_S18_S1C_S1E_T6_T7_T9_mT8_S1G_bDpT10_ENKUlT_T0_E_clISt17integral_constantIbLb0EES1T_IbLb1EEEEDaS1P_S1Q_EUlS1P_E_NS1_11comp_targetILNS1_3genE10ELNS1_11target_archE1200ELNS1_3gpuE4ELNS1_3repE0EEENS1_30default_config_static_selectorELNS0_4arch9wavefront6targetE0EEEvS12_.uses_vcc, 0
	.set _ZN7rocprim17ROCPRIM_400000_NS6detail17trampoline_kernelINS0_13select_configILj256ELj13ELNS0_17block_load_methodE3ELS4_3ELS4_3ELNS0_20block_scan_algorithmE0ELj4294967295EEENS1_25partition_config_selectorILNS1_17partition_subalgoE4EjNS0_10empty_typeEbEEZZNS1_14partition_implILS8_4ELb0ES6_15HIP_vector_typeIjLj2EENS0_17counting_iteratorIjlEEPS9_SG_NS0_5tupleIJPjSI_NS0_16reverse_iteratorISI_EEEEENSH_IJSG_SG_SG_EEES9_SI_JZNS1_25segmented_radix_sort_implINS0_14default_configELb1EPKiPiPKlPlN2at6native12_GLOBAL__N_18offset_tEEE10hipError_tPvRmT1_PNSt15iterator_traitsIS12_E10value_typeET2_T3_PNS13_IS18_E10value_typeET4_jRbjT5_S1E_jjP12ihipStream_tbEUljE_ZNSN_ISO_Lb1ESQ_SR_ST_SU_SY_EESZ_S10_S11_S12_S16_S17_S18_S1B_S1C_jS1D_jS1E_S1E_jjS1G_bEUljE0_EEESZ_S10_S11_S18_S1C_S1E_T6_T7_T9_mT8_S1G_bDpT10_ENKUlT_T0_E_clISt17integral_constantIbLb0EES1T_IbLb1EEEEDaS1P_S1Q_EUlS1P_E_NS1_11comp_targetILNS1_3genE10ELNS1_11target_archE1200ELNS1_3gpuE4ELNS1_3repE0EEENS1_30default_config_static_selectorELNS0_4arch9wavefront6targetE0EEEvS12_.uses_flat_scratch, 0
	.set _ZN7rocprim17ROCPRIM_400000_NS6detail17trampoline_kernelINS0_13select_configILj256ELj13ELNS0_17block_load_methodE3ELS4_3ELS4_3ELNS0_20block_scan_algorithmE0ELj4294967295EEENS1_25partition_config_selectorILNS1_17partition_subalgoE4EjNS0_10empty_typeEbEEZZNS1_14partition_implILS8_4ELb0ES6_15HIP_vector_typeIjLj2EENS0_17counting_iteratorIjlEEPS9_SG_NS0_5tupleIJPjSI_NS0_16reverse_iteratorISI_EEEEENSH_IJSG_SG_SG_EEES9_SI_JZNS1_25segmented_radix_sort_implINS0_14default_configELb1EPKiPiPKlPlN2at6native12_GLOBAL__N_18offset_tEEE10hipError_tPvRmT1_PNSt15iterator_traitsIS12_E10value_typeET2_T3_PNS13_IS18_E10value_typeET4_jRbjT5_S1E_jjP12ihipStream_tbEUljE_ZNSN_ISO_Lb1ESQ_SR_ST_SU_SY_EESZ_S10_S11_S12_S16_S17_S18_S1B_S1C_jS1D_jS1E_S1E_jjS1G_bEUljE0_EEESZ_S10_S11_S18_S1C_S1E_T6_T7_T9_mT8_S1G_bDpT10_ENKUlT_T0_E_clISt17integral_constantIbLb0EES1T_IbLb1EEEEDaS1P_S1Q_EUlS1P_E_NS1_11comp_targetILNS1_3genE10ELNS1_11target_archE1200ELNS1_3gpuE4ELNS1_3repE0EEENS1_30default_config_static_selectorELNS0_4arch9wavefront6targetE0EEEvS12_.has_dyn_sized_stack, 0
	.set _ZN7rocprim17ROCPRIM_400000_NS6detail17trampoline_kernelINS0_13select_configILj256ELj13ELNS0_17block_load_methodE3ELS4_3ELS4_3ELNS0_20block_scan_algorithmE0ELj4294967295EEENS1_25partition_config_selectorILNS1_17partition_subalgoE4EjNS0_10empty_typeEbEEZZNS1_14partition_implILS8_4ELb0ES6_15HIP_vector_typeIjLj2EENS0_17counting_iteratorIjlEEPS9_SG_NS0_5tupleIJPjSI_NS0_16reverse_iteratorISI_EEEEENSH_IJSG_SG_SG_EEES9_SI_JZNS1_25segmented_radix_sort_implINS0_14default_configELb1EPKiPiPKlPlN2at6native12_GLOBAL__N_18offset_tEEE10hipError_tPvRmT1_PNSt15iterator_traitsIS12_E10value_typeET2_T3_PNS13_IS18_E10value_typeET4_jRbjT5_S1E_jjP12ihipStream_tbEUljE_ZNSN_ISO_Lb1ESQ_SR_ST_SU_SY_EESZ_S10_S11_S12_S16_S17_S18_S1B_S1C_jS1D_jS1E_S1E_jjS1G_bEUljE0_EEESZ_S10_S11_S18_S1C_S1E_T6_T7_T9_mT8_S1G_bDpT10_ENKUlT_T0_E_clISt17integral_constantIbLb0EES1T_IbLb1EEEEDaS1P_S1Q_EUlS1P_E_NS1_11comp_targetILNS1_3genE10ELNS1_11target_archE1200ELNS1_3gpuE4ELNS1_3repE0EEENS1_30default_config_static_selectorELNS0_4arch9wavefront6targetE0EEEvS12_.has_recursion, 0
	.set _ZN7rocprim17ROCPRIM_400000_NS6detail17trampoline_kernelINS0_13select_configILj256ELj13ELNS0_17block_load_methodE3ELS4_3ELS4_3ELNS0_20block_scan_algorithmE0ELj4294967295EEENS1_25partition_config_selectorILNS1_17partition_subalgoE4EjNS0_10empty_typeEbEEZZNS1_14partition_implILS8_4ELb0ES6_15HIP_vector_typeIjLj2EENS0_17counting_iteratorIjlEEPS9_SG_NS0_5tupleIJPjSI_NS0_16reverse_iteratorISI_EEEEENSH_IJSG_SG_SG_EEES9_SI_JZNS1_25segmented_radix_sort_implINS0_14default_configELb1EPKiPiPKlPlN2at6native12_GLOBAL__N_18offset_tEEE10hipError_tPvRmT1_PNSt15iterator_traitsIS12_E10value_typeET2_T3_PNS13_IS18_E10value_typeET4_jRbjT5_S1E_jjP12ihipStream_tbEUljE_ZNSN_ISO_Lb1ESQ_SR_ST_SU_SY_EESZ_S10_S11_S12_S16_S17_S18_S1B_S1C_jS1D_jS1E_S1E_jjS1G_bEUljE0_EEESZ_S10_S11_S18_S1C_S1E_T6_T7_T9_mT8_S1G_bDpT10_ENKUlT_T0_E_clISt17integral_constantIbLb0EES1T_IbLb1EEEEDaS1P_S1Q_EUlS1P_E_NS1_11comp_targetILNS1_3genE10ELNS1_11target_archE1200ELNS1_3gpuE4ELNS1_3repE0EEENS1_30default_config_static_selectorELNS0_4arch9wavefront6targetE0EEEvS12_.has_indirect_call, 0
	.section	.AMDGPU.csdata,"",@progbits
; Kernel info:
; codeLenInByte = 0
; TotalNumSgprs: 0
; NumVgprs: 0
; ScratchSize: 0
; MemoryBound: 0
; FloatMode: 240
; IeeeMode: 1
; LDSByteSize: 0 bytes/workgroup (compile time only)
; SGPRBlocks: 0
; VGPRBlocks: 0
; NumSGPRsForWavesPerEU: 1
; NumVGPRsForWavesPerEU: 1
; Occupancy: 16
; WaveLimiterHint : 0
; COMPUTE_PGM_RSRC2:SCRATCH_EN: 0
; COMPUTE_PGM_RSRC2:USER_SGPR: 6
; COMPUTE_PGM_RSRC2:TRAP_HANDLER: 0
; COMPUTE_PGM_RSRC2:TGID_X_EN: 1
; COMPUTE_PGM_RSRC2:TGID_Y_EN: 0
; COMPUTE_PGM_RSRC2:TGID_Z_EN: 0
; COMPUTE_PGM_RSRC2:TIDIG_COMP_CNT: 0
	.section	.text._ZN7rocprim17ROCPRIM_400000_NS6detail17trampoline_kernelINS0_13select_configILj256ELj13ELNS0_17block_load_methodE3ELS4_3ELS4_3ELNS0_20block_scan_algorithmE0ELj4294967295EEENS1_25partition_config_selectorILNS1_17partition_subalgoE4EjNS0_10empty_typeEbEEZZNS1_14partition_implILS8_4ELb0ES6_15HIP_vector_typeIjLj2EENS0_17counting_iteratorIjlEEPS9_SG_NS0_5tupleIJPjSI_NS0_16reverse_iteratorISI_EEEEENSH_IJSG_SG_SG_EEES9_SI_JZNS1_25segmented_radix_sort_implINS0_14default_configELb1EPKiPiPKlPlN2at6native12_GLOBAL__N_18offset_tEEE10hipError_tPvRmT1_PNSt15iterator_traitsIS12_E10value_typeET2_T3_PNS13_IS18_E10value_typeET4_jRbjT5_S1E_jjP12ihipStream_tbEUljE_ZNSN_ISO_Lb1ESQ_SR_ST_SU_SY_EESZ_S10_S11_S12_S16_S17_S18_S1B_S1C_jS1D_jS1E_S1E_jjS1G_bEUljE0_EEESZ_S10_S11_S18_S1C_S1E_T6_T7_T9_mT8_S1G_bDpT10_ENKUlT_T0_E_clISt17integral_constantIbLb0EES1T_IbLb1EEEEDaS1P_S1Q_EUlS1P_E_NS1_11comp_targetILNS1_3genE9ELNS1_11target_archE1100ELNS1_3gpuE3ELNS1_3repE0EEENS1_30default_config_static_selectorELNS0_4arch9wavefront6targetE0EEEvS12_,"axG",@progbits,_ZN7rocprim17ROCPRIM_400000_NS6detail17trampoline_kernelINS0_13select_configILj256ELj13ELNS0_17block_load_methodE3ELS4_3ELS4_3ELNS0_20block_scan_algorithmE0ELj4294967295EEENS1_25partition_config_selectorILNS1_17partition_subalgoE4EjNS0_10empty_typeEbEEZZNS1_14partition_implILS8_4ELb0ES6_15HIP_vector_typeIjLj2EENS0_17counting_iteratorIjlEEPS9_SG_NS0_5tupleIJPjSI_NS0_16reverse_iteratorISI_EEEEENSH_IJSG_SG_SG_EEES9_SI_JZNS1_25segmented_radix_sort_implINS0_14default_configELb1EPKiPiPKlPlN2at6native12_GLOBAL__N_18offset_tEEE10hipError_tPvRmT1_PNSt15iterator_traitsIS12_E10value_typeET2_T3_PNS13_IS18_E10value_typeET4_jRbjT5_S1E_jjP12ihipStream_tbEUljE_ZNSN_ISO_Lb1ESQ_SR_ST_SU_SY_EESZ_S10_S11_S12_S16_S17_S18_S1B_S1C_jS1D_jS1E_S1E_jjS1G_bEUljE0_EEESZ_S10_S11_S18_S1C_S1E_T6_T7_T9_mT8_S1G_bDpT10_ENKUlT_T0_E_clISt17integral_constantIbLb0EES1T_IbLb1EEEEDaS1P_S1Q_EUlS1P_E_NS1_11comp_targetILNS1_3genE9ELNS1_11target_archE1100ELNS1_3gpuE3ELNS1_3repE0EEENS1_30default_config_static_selectorELNS0_4arch9wavefront6targetE0EEEvS12_,comdat
	.globl	_ZN7rocprim17ROCPRIM_400000_NS6detail17trampoline_kernelINS0_13select_configILj256ELj13ELNS0_17block_load_methodE3ELS4_3ELS4_3ELNS0_20block_scan_algorithmE0ELj4294967295EEENS1_25partition_config_selectorILNS1_17partition_subalgoE4EjNS0_10empty_typeEbEEZZNS1_14partition_implILS8_4ELb0ES6_15HIP_vector_typeIjLj2EENS0_17counting_iteratorIjlEEPS9_SG_NS0_5tupleIJPjSI_NS0_16reverse_iteratorISI_EEEEENSH_IJSG_SG_SG_EEES9_SI_JZNS1_25segmented_radix_sort_implINS0_14default_configELb1EPKiPiPKlPlN2at6native12_GLOBAL__N_18offset_tEEE10hipError_tPvRmT1_PNSt15iterator_traitsIS12_E10value_typeET2_T3_PNS13_IS18_E10value_typeET4_jRbjT5_S1E_jjP12ihipStream_tbEUljE_ZNSN_ISO_Lb1ESQ_SR_ST_SU_SY_EESZ_S10_S11_S12_S16_S17_S18_S1B_S1C_jS1D_jS1E_S1E_jjS1G_bEUljE0_EEESZ_S10_S11_S18_S1C_S1E_T6_T7_T9_mT8_S1G_bDpT10_ENKUlT_T0_E_clISt17integral_constantIbLb0EES1T_IbLb1EEEEDaS1P_S1Q_EUlS1P_E_NS1_11comp_targetILNS1_3genE9ELNS1_11target_archE1100ELNS1_3gpuE3ELNS1_3repE0EEENS1_30default_config_static_selectorELNS0_4arch9wavefront6targetE0EEEvS12_ ; -- Begin function _ZN7rocprim17ROCPRIM_400000_NS6detail17trampoline_kernelINS0_13select_configILj256ELj13ELNS0_17block_load_methodE3ELS4_3ELS4_3ELNS0_20block_scan_algorithmE0ELj4294967295EEENS1_25partition_config_selectorILNS1_17partition_subalgoE4EjNS0_10empty_typeEbEEZZNS1_14partition_implILS8_4ELb0ES6_15HIP_vector_typeIjLj2EENS0_17counting_iteratorIjlEEPS9_SG_NS0_5tupleIJPjSI_NS0_16reverse_iteratorISI_EEEEENSH_IJSG_SG_SG_EEES9_SI_JZNS1_25segmented_radix_sort_implINS0_14default_configELb1EPKiPiPKlPlN2at6native12_GLOBAL__N_18offset_tEEE10hipError_tPvRmT1_PNSt15iterator_traitsIS12_E10value_typeET2_T3_PNS13_IS18_E10value_typeET4_jRbjT5_S1E_jjP12ihipStream_tbEUljE_ZNSN_ISO_Lb1ESQ_SR_ST_SU_SY_EESZ_S10_S11_S12_S16_S17_S18_S1B_S1C_jS1D_jS1E_S1E_jjS1G_bEUljE0_EEESZ_S10_S11_S18_S1C_S1E_T6_T7_T9_mT8_S1G_bDpT10_ENKUlT_T0_E_clISt17integral_constantIbLb0EES1T_IbLb1EEEEDaS1P_S1Q_EUlS1P_E_NS1_11comp_targetILNS1_3genE9ELNS1_11target_archE1100ELNS1_3gpuE3ELNS1_3repE0EEENS1_30default_config_static_selectorELNS0_4arch9wavefront6targetE0EEEvS12_
	.p2align	8
	.type	_ZN7rocprim17ROCPRIM_400000_NS6detail17trampoline_kernelINS0_13select_configILj256ELj13ELNS0_17block_load_methodE3ELS4_3ELS4_3ELNS0_20block_scan_algorithmE0ELj4294967295EEENS1_25partition_config_selectorILNS1_17partition_subalgoE4EjNS0_10empty_typeEbEEZZNS1_14partition_implILS8_4ELb0ES6_15HIP_vector_typeIjLj2EENS0_17counting_iteratorIjlEEPS9_SG_NS0_5tupleIJPjSI_NS0_16reverse_iteratorISI_EEEEENSH_IJSG_SG_SG_EEES9_SI_JZNS1_25segmented_radix_sort_implINS0_14default_configELb1EPKiPiPKlPlN2at6native12_GLOBAL__N_18offset_tEEE10hipError_tPvRmT1_PNSt15iterator_traitsIS12_E10value_typeET2_T3_PNS13_IS18_E10value_typeET4_jRbjT5_S1E_jjP12ihipStream_tbEUljE_ZNSN_ISO_Lb1ESQ_SR_ST_SU_SY_EESZ_S10_S11_S12_S16_S17_S18_S1B_S1C_jS1D_jS1E_S1E_jjS1G_bEUljE0_EEESZ_S10_S11_S18_S1C_S1E_T6_T7_T9_mT8_S1G_bDpT10_ENKUlT_T0_E_clISt17integral_constantIbLb0EES1T_IbLb1EEEEDaS1P_S1Q_EUlS1P_E_NS1_11comp_targetILNS1_3genE9ELNS1_11target_archE1100ELNS1_3gpuE3ELNS1_3repE0EEENS1_30default_config_static_selectorELNS0_4arch9wavefront6targetE0EEEvS12_,@function
_ZN7rocprim17ROCPRIM_400000_NS6detail17trampoline_kernelINS0_13select_configILj256ELj13ELNS0_17block_load_methodE3ELS4_3ELS4_3ELNS0_20block_scan_algorithmE0ELj4294967295EEENS1_25partition_config_selectorILNS1_17partition_subalgoE4EjNS0_10empty_typeEbEEZZNS1_14partition_implILS8_4ELb0ES6_15HIP_vector_typeIjLj2EENS0_17counting_iteratorIjlEEPS9_SG_NS0_5tupleIJPjSI_NS0_16reverse_iteratorISI_EEEEENSH_IJSG_SG_SG_EEES9_SI_JZNS1_25segmented_radix_sort_implINS0_14default_configELb1EPKiPiPKlPlN2at6native12_GLOBAL__N_18offset_tEEE10hipError_tPvRmT1_PNSt15iterator_traitsIS12_E10value_typeET2_T3_PNS13_IS18_E10value_typeET4_jRbjT5_S1E_jjP12ihipStream_tbEUljE_ZNSN_ISO_Lb1ESQ_SR_ST_SU_SY_EESZ_S10_S11_S12_S16_S17_S18_S1B_S1C_jS1D_jS1E_S1E_jjS1G_bEUljE0_EEESZ_S10_S11_S18_S1C_S1E_T6_T7_T9_mT8_S1G_bDpT10_ENKUlT_T0_E_clISt17integral_constantIbLb0EES1T_IbLb1EEEEDaS1P_S1Q_EUlS1P_E_NS1_11comp_targetILNS1_3genE9ELNS1_11target_archE1100ELNS1_3gpuE3ELNS1_3repE0EEENS1_30default_config_static_selectorELNS0_4arch9wavefront6targetE0EEEvS12_: ; @_ZN7rocprim17ROCPRIM_400000_NS6detail17trampoline_kernelINS0_13select_configILj256ELj13ELNS0_17block_load_methodE3ELS4_3ELS4_3ELNS0_20block_scan_algorithmE0ELj4294967295EEENS1_25partition_config_selectorILNS1_17partition_subalgoE4EjNS0_10empty_typeEbEEZZNS1_14partition_implILS8_4ELb0ES6_15HIP_vector_typeIjLj2EENS0_17counting_iteratorIjlEEPS9_SG_NS0_5tupleIJPjSI_NS0_16reverse_iteratorISI_EEEEENSH_IJSG_SG_SG_EEES9_SI_JZNS1_25segmented_radix_sort_implINS0_14default_configELb1EPKiPiPKlPlN2at6native12_GLOBAL__N_18offset_tEEE10hipError_tPvRmT1_PNSt15iterator_traitsIS12_E10value_typeET2_T3_PNS13_IS18_E10value_typeET4_jRbjT5_S1E_jjP12ihipStream_tbEUljE_ZNSN_ISO_Lb1ESQ_SR_ST_SU_SY_EESZ_S10_S11_S12_S16_S17_S18_S1B_S1C_jS1D_jS1E_S1E_jjS1G_bEUljE0_EEESZ_S10_S11_S18_S1C_S1E_T6_T7_T9_mT8_S1G_bDpT10_ENKUlT_T0_E_clISt17integral_constantIbLb0EES1T_IbLb1EEEEDaS1P_S1Q_EUlS1P_E_NS1_11comp_targetILNS1_3genE9ELNS1_11target_archE1100ELNS1_3gpuE3ELNS1_3repE0EEENS1_30default_config_static_selectorELNS0_4arch9wavefront6targetE0EEEvS12_
; %bb.0:
	.section	.rodata,"a",@progbits
	.p2align	6, 0x0
	.amdhsa_kernel _ZN7rocprim17ROCPRIM_400000_NS6detail17trampoline_kernelINS0_13select_configILj256ELj13ELNS0_17block_load_methodE3ELS4_3ELS4_3ELNS0_20block_scan_algorithmE0ELj4294967295EEENS1_25partition_config_selectorILNS1_17partition_subalgoE4EjNS0_10empty_typeEbEEZZNS1_14partition_implILS8_4ELb0ES6_15HIP_vector_typeIjLj2EENS0_17counting_iteratorIjlEEPS9_SG_NS0_5tupleIJPjSI_NS0_16reverse_iteratorISI_EEEEENSH_IJSG_SG_SG_EEES9_SI_JZNS1_25segmented_radix_sort_implINS0_14default_configELb1EPKiPiPKlPlN2at6native12_GLOBAL__N_18offset_tEEE10hipError_tPvRmT1_PNSt15iterator_traitsIS12_E10value_typeET2_T3_PNS13_IS18_E10value_typeET4_jRbjT5_S1E_jjP12ihipStream_tbEUljE_ZNSN_ISO_Lb1ESQ_SR_ST_SU_SY_EESZ_S10_S11_S12_S16_S17_S18_S1B_S1C_jS1D_jS1E_S1E_jjS1G_bEUljE0_EEESZ_S10_S11_S18_S1C_S1E_T6_T7_T9_mT8_S1G_bDpT10_ENKUlT_T0_E_clISt17integral_constantIbLb0EES1T_IbLb1EEEEDaS1P_S1Q_EUlS1P_E_NS1_11comp_targetILNS1_3genE9ELNS1_11target_archE1100ELNS1_3gpuE3ELNS1_3repE0EEENS1_30default_config_static_selectorELNS0_4arch9wavefront6targetE0EEEvS12_
		.amdhsa_group_segment_fixed_size 0
		.amdhsa_private_segment_fixed_size 0
		.amdhsa_kernarg_size 184
		.amdhsa_user_sgpr_count 6
		.amdhsa_user_sgpr_private_segment_buffer 1
		.amdhsa_user_sgpr_dispatch_ptr 0
		.amdhsa_user_sgpr_queue_ptr 0
		.amdhsa_user_sgpr_kernarg_segment_ptr 1
		.amdhsa_user_sgpr_dispatch_id 0
		.amdhsa_user_sgpr_flat_scratch_init 0
		.amdhsa_user_sgpr_private_segment_size 0
		.amdhsa_wavefront_size32 1
		.amdhsa_uses_dynamic_stack 0
		.amdhsa_system_sgpr_private_segment_wavefront_offset 0
		.amdhsa_system_sgpr_workgroup_id_x 1
		.amdhsa_system_sgpr_workgroup_id_y 0
		.amdhsa_system_sgpr_workgroup_id_z 0
		.amdhsa_system_sgpr_workgroup_info 0
		.amdhsa_system_vgpr_workitem_id 0
		.amdhsa_next_free_vgpr 1
		.amdhsa_next_free_sgpr 1
		.amdhsa_reserve_vcc 0
		.amdhsa_reserve_flat_scratch 0
		.amdhsa_float_round_mode_32 0
		.amdhsa_float_round_mode_16_64 0
		.amdhsa_float_denorm_mode_32 3
		.amdhsa_float_denorm_mode_16_64 3
		.amdhsa_dx10_clamp 1
		.amdhsa_ieee_mode 1
		.amdhsa_fp16_overflow 0
		.amdhsa_workgroup_processor_mode 1
		.amdhsa_memory_ordered 1
		.amdhsa_forward_progress 1
		.amdhsa_shared_vgpr_count 0
		.amdhsa_exception_fp_ieee_invalid_op 0
		.amdhsa_exception_fp_denorm_src 0
		.amdhsa_exception_fp_ieee_div_zero 0
		.amdhsa_exception_fp_ieee_overflow 0
		.amdhsa_exception_fp_ieee_underflow 0
		.amdhsa_exception_fp_ieee_inexact 0
		.amdhsa_exception_int_div_zero 0
	.end_amdhsa_kernel
	.section	.text._ZN7rocprim17ROCPRIM_400000_NS6detail17trampoline_kernelINS0_13select_configILj256ELj13ELNS0_17block_load_methodE3ELS4_3ELS4_3ELNS0_20block_scan_algorithmE0ELj4294967295EEENS1_25partition_config_selectorILNS1_17partition_subalgoE4EjNS0_10empty_typeEbEEZZNS1_14partition_implILS8_4ELb0ES6_15HIP_vector_typeIjLj2EENS0_17counting_iteratorIjlEEPS9_SG_NS0_5tupleIJPjSI_NS0_16reverse_iteratorISI_EEEEENSH_IJSG_SG_SG_EEES9_SI_JZNS1_25segmented_radix_sort_implINS0_14default_configELb1EPKiPiPKlPlN2at6native12_GLOBAL__N_18offset_tEEE10hipError_tPvRmT1_PNSt15iterator_traitsIS12_E10value_typeET2_T3_PNS13_IS18_E10value_typeET4_jRbjT5_S1E_jjP12ihipStream_tbEUljE_ZNSN_ISO_Lb1ESQ_SR_ST_SU_SY_EESZ_S10_S11_S12_S16_S17_S18_S1B_S1C_jS1D_jS1E_S1E_jjS1G_bEUljE0_EEESZ_S10_S11_S18_S1C_S1E_T6_T7_T9_mT8_S1G_bDpT10_ENKUlT_T0_E_clISt17integral_constantIbLb0EES1T_IbLb1EEEEDaS1P_S1Q_EUlS1P_E_NS1_11comp_targetILNS1_3genE9ELNS1_11target_archE1100ELNS1_3gpuE3ELNS1_3repE0EEENS1_30default_config_static_selectorELNS0_4arch9wavefront6targetE0EEEvS12_,"axG",@progbits,_ZN7rocprim17ROCPRIM_400000_NS6detail17trampoline_kernelINS0_13select_configILj256ELj13ELNS0_17block_load_methodE3ELS4_3ELS4_3ELNS0_20block_scan_algorithmE0ELj4294967295EEENS1_25partition_config_selectorILNS1_17partition_subalgoE4EjNS0_10empty_typeEbEEZZNS1_14partition_implILS8_4ELb0ES6_15HIP_vector_typeIjLj2EENS0_17counting_iteratorIjlEEPS9_SG_NS0_5tupleIJPjSI_NS0_16reverse_iteratorISI_EEEEENSH_IJSG_SG_SG_EEES9_SI_JZNS1_25segmented_radix_sort_implINS0_14default_configELb1EPKiPiPKlPlN2at6native12_GLOBAL__N_18offset_tEEE10hipError_tPvRmT1_PNSt15iterator_traitsIS12_E10value_typeET2_T3_PNS13_IS18_E10value_typeET4_jRbjT5_S1E_jjP12ihipStream_tbEUljE_ZNSN_ISO_Lb1ESQ_SR_ST_SU_SY_EESZ_S10_S11_S12_S16_S17_S18_S1B_S1C_jS1D_jS1E_S1E_jjS1G_bEUljE0_EEESZ_S10_S11_S18_S1C_S1E_T6_T7_T9_mT8_S1G_bDpT10_ENKUlT_T0_E_clISt17integral_constantIbLb0EES1T_IbLb1EEEEDaS1P_S1Q_EUlS1P_E_NS1_11comp_targetILNS1_3genE9ELNS1_11target_archE1100ELNS1_3gpuE3ELNS1_3repE0EEENS1_30default_config_static_selectorELNS0_4arch9wavefront6targetE0EEEvS12_,comdat
.Lfunc_end459:
	.size	_ZN7rocprim17ROCPRIM_400000_NS6detail17trampoline_kernelINS0_13select_configILj256ELj13ELNS0_17block_load_methodE3ELS4_3ELS4_3ELNS0_20block_scan_algorithmE0ELj4294967295EEENS1_25partition_config_selectorILNS1_17partition_subalgoE4EjNS0_10empty_typeEbEEZZNS1_14partition_implILS8_4ELb0ES6_15HIP_vector_typeIjLj2EENS0_17counting_iteratorIjlEEPS9_SG_NS0_5tupleIJPjSI_NS0_16reverse_iteratorISI_EEEEENSH_IJSG_SG_SG_EEES9_SI_JZNS1_25segmented_radix_sort_implINS0_14default_configELb1EPKiPiPKlPlN2at6native12_GLOBAL__N_18offset_tEEE10hipError_tPvRmT1_PNSt15iterator_traitsIS12_E10value_typeET2_T3_PNS13_IS18_E10value_typeET4_jRbjT5_S1E_jjP12ihipStream_tbEUljE_ZNSN_ISO_Lb1ESQ_SR_ST_SU_SY_EESZ_S10_S11_S12_S16_S17_S18_S1B_S1C_jS1D_jS1E_S1E_jjS1G_bEUljE0_EEESZ_S10_S11_S18_S1C_S1E_T6_T7_T9_mT8_S1G_bDpT10_ENKUlT_T0_E_clISt17integral_constantIbLb0EES1T_IbLb1EEEEDaS1P_S1Q_EUlS1P_E_NS1_11comp_targetILNS1_3genE9ELNS1_11target_archE1100ELNS1_3gpuE3ELNS1_3repE0EEENS1_30default_config_static_selectorELNS0_4arch9wavefront6targetE0EEEvS12_, .Lfunc_end459-_ZN7rocprim17ROCPRIM_400000_NS6detail17trampoline_kernelINS0_13select_configILj256ELj13ELNS0_17block_load_methodE3ELS4_3ELS4_3ELNS0_20block_scan_algorithmE0ELj4294967295EEENS1_25partition_config_selectorILNS1_17partition_subalgoE4EjNS0_10empty_typeEbEEZZNS1_14partition_implILS8_4ELb0ES6_15HIP_vector_typeIjLj2EENS0_17counting_iteratorIjlEEPS9_SG_NS0_5tupleIJPjSI_NS0_16reverse_iteratorISI_EEEEENSH_IJSG_SG_SG_EEES9_SI_JZNS1_25segmented_radix_sort_implINS0_14default_configELb1EPKiPiPKlPlN2at6native12_GLOBAL__N_18offset_tEEE10hipError_tPvRmT1_PNSt15iterator_traitsIS12_E10value_typeET2_T3_PNS13_IS18_E10value_typeET4_jRbjT5_S1E_jjP12ihipStream_tbEUljE_ZNSN_ISO_Lb1ESQ_SR_ST_SU_SY_EESZ_S10_S11_S12_S16_S17_S18_S1B_S1C_jS1D_jS1E_S1E_jjS1G_bEUljE0_EEESZ_S10_S11_S18_S1C_S1E_T6_T7_T9_mT8_S1G_bDpT10_ENKUlT_T0_E_clISt17integral_constantIbLb0EES1T_IbLb1EEEEDaS1P_S1Q_EUlS1P_E_NS1_11comp_targetILNS1_3genE9ELNS1_11target_archE1100ELNS1_3gpuE3ELNS1_3repE0EEENS1_30default_config_static_selectorELNS0_4arch9wavefront6targetE0EEEvS12_
                                        ; -- End function
	.set _ZN7rocprim17ROCPRIM_400000_NS6detail17trampoline_kernelINS0_13select_configILj256ELj13ELNS0_17block_load_methodE3ELS4_3ELS4_3ELNS0_20block_scan_algorithmE0ELj4294967295EEENS1_25partition_config_selectorILNS1_17partition_subalgoE4EjNS0_10empty_typeEbEEZZNS1_14partition_implILS8_4ELb0ES6_15HIP_vector_typeIjLj2EENS0_17counting_iteratorIjlEEPS9_SG_NS0_5tupleIJPjSI_NS0_16reverse_iteratorISI_EEEEENSH_IJSG_SG_SG_EEES9_SI_JZNS1_25segmented_radix_sort_implINS0_14default_configELb1EPKiPiPKlPlN2at6native12_GLOBAL__N_18offset_tEEE10hipError_tPvRmT1_PNSt15iterator_traitsIS12_E10value_typeET2_T3_PNS13_IS18_E10value_typeET4_jRbjT5_S1E_jjP12ihipStream_tbEUljE_ZNSN_ISO_Lb1ESQ_SR_ST_SU_SY_EESZ_S10_S11_S12_S16_S17_S18_S1B_S1C_jS1D_jS1E_S1E_jjS1G_bEUljE0_EEESZ_S10_S11_S18_S1C_S1E_T6_T7_T9_mT8_S1G_bDpT10_ENKUlT_T0_E_clISt17integral_constantIbLb0EES1T_IbLb1EEEEDaS1P_S1Q_EUlS1P_E_NS1_11comp_targetILNS1_3genE9ELNS1_11target_archE1100ELNS1_3gpuE3ELNS1_3repE0EEENS1_30default_config_static_selectorELNS0_4arch9wavefront6targetE0EEEvS12_.num_vgpr, 0
	.set _ZN7rocprim17ROCPRIM_400000_NS6detail17trampoline_kernelINS0_13select_configILj256ELj13ELNS0_17block_load_methodE3ELS4_3ELS4_3ELNS0_20block_scan_algorithmE0ELj4294967295EEENS1_25partition_config_selectorILNS1_17partition_subalgoE4EjNS0_10empty_typeEbEEZZNS1_14partition_implILS8_4ELb0ES6_15HIP_vector_typeIjLj2EENS0_17counting_iteratorIjlEEPS9_SG_NS0_5tupleIJPjSI_NS0_16reverse_iteratorISI_EEEEENSH_IJSG_SG_SG_EEES9_SI_JZNS1_25segmented_radix_sort_implINS0_14default_configELb1EPKiPiPKlPlN2at6native12_GLOBAL__N_18offset_tEEE10hipError_tPvRmT1_PNSt15iterator_traitsIS12_E10value_typeET2_T3_PNS13_IS18_E10value_typeET4_jRbjT5_S1E_jjP12ihipStream_tbEUljE_ZNSN_ISO_Lb1ESQ_SR_ST_SU_SY_EESZ_S10_S11_S12_S16_S17_S18_S1B_S1C_jS1D_jS1E_S1E_jjS1G_bEUljE0_EEESZ_S10_S11_S18_S1C_S1E_T6_T7_T9_mT8_S1G_bDpT10_ENKUlT_T0_E_clISt17integral_constantIbLb0EES1T_IbLb1EEEEDaS1P_S1Q_EUlS1P_E_NS1_11comp_targetILNS1_3genE9ELNS1_11target_archE1100ELNS1_3gpuE3ELNS1_3repE0EEENS1_30default_config_static_selectorELNS0_4arch9wavefront6targetE0EEEvS12_.num_agpr, 0
	.set _ZN7rocprim17ROCPRIM_400000_NS6detail17trampoline_kernelINS0_13select_configILj256ELj13ELNS0_17block_load_methodE3ELS4_3ELS4_3ELNS0_20block_scan_algorithmE0ELj4294967295EEENS1_25partition_config_selectorILNS1_17partition_subalgoE4EjNS0_10empty_typeEbEEZZNS1_14partition_implILS8_4ELb0ES6_15HIP_vector_typeIjLj2EENS0_17counting_iteratorIjlEEPS9_SG_NS0_5tupleIJPjSI_NS0_16reverse_iteratorISI_EEEEENSH_IJSG_SG_SG_EEES9_SI_JZNS1_25segmented_radix_sort_implINS0_14default_configELb1EPKiPiPKlPlN2at6native12_GLOBAL__N_18offset_tEEE10hipError_tPvRmT1_PNSt15iterator_traitsIS12_E10value_typeET2_T3_PNS13_IS18_E10value_typeET4_jRbjT5_S1E_jjP12ihipStream_tbEUljE_ZNSN_ISO_Lb1ESQ_SR_ST_SU_SY_EESZ_S10_S11_S12_S16_S17_S18_S1B_S1C_jS1D_jS1E_S1E_jjS1G_bEUljE0_EEESZ_S10_S11_S18_S1C_S1E_T6_T7_T9_mT8_S1G_bDpT10_ENKUlT_T0_E_clISt17integral_constantIbLb0EES1T_IbLb1EEEEDaS1P_S1Q_EUlS1P_E_NS1_11comp_targetILNS1_3genE9ELNS1_11target_archE1100ELNS1_3gpuE3ELNS1_3repE0EEENS1_30default_config_static_selectorELNS0_4arch9wavefront6targetE0EEEvS12_.numbered_sgpr, 0
	.set _ZN7rocprim17ROCPRIM_400000_NS6detail17trampoline_kernelINS0_13select_configILj256ELj13ELNS0_17block_load_methodE3ELS4_3ELS4_3ELNS0_20block_scan_algorithmE0ELj4294967295EEENS1_25partition_config_selectorILNS1_17partition_subalgoE4EjNS0_10empty_typeEbEEZZNS1_14partition_implILS8_4ELb0ES6_15HIP_vector_typeIjLj2EENS0_17counting_iteratorIjlEEPS9_SG_NS0_5tupleIJPjSI_NS0_16reverse_iteratorISI_EEEEENSH_IJSG_SG_SG_EEES9_SI_JZNS1_25segmented_radix_sort_implINS0_14default_configELb1EPKiPiPKlPlN2at6native12_GLOBAL__N_18offset_tEEE10hipError_tPvRmT1_PNSt15iterator_traitsIS12_E10value_typeET2_T3_PNS13_IS18_E10value_typeET4_jRbjT5_S1E_jjP12ihipStream_tbEUljE_ZNSN_ISO_Lb1ESQ_SR_ST_SU_SY_EESZ_S10_S11_S12_S16_S17_S18_S1B_S1C_jS1D_jS1E_S1E_jjS1G_bEUljE0_EEESZ_S10_S11_S18_S1C_S1E_T6_T7_T9_mT8_S1G_bDpT10_ENKUlT_T0_E_clISt17integral_constantIbLb0EES1T_IbLb1EEEEDaS1P_S1Q_EUlS1P_E_NS1_11comp_targetILNS1_3genE9ELNS1_11target_archE1100ELNS1_3gpuE3ELNS1_3repE0EEENS1_30default_config_static_selectorELNS0_4arch9wavefront6targetE0EEEvS12_.num_named_barrier, 0
	.set _ZN7rocprim17ROCPRIM_400000_NS6detail17trampoline_kernelINS0_13select_configILj256ELj13ELNS0_17block_load_methodE3ELS4_3ELS4_3ELNS0_20block_scan_algorithmE0ELj4294967295EEENS1_25partition_config_selectorILNS1_17partition_subalgoE4EjNS0_10empty_typeEbEEZZNS1_14partition_implILS8_4ELb0ES6_15HIP_vector_typeIjLj2EENS0_17counting_iteratorIjlEEPS9_SG_NS0_5tupleIJPjSI_NS0_16reverse_iteratorISI_EEEEENSH_IJSG_SG_SG_EEES9_SI_JZNS1_25segmented_radix_sort_implINS0_14default_configELb1EPKiPiPKlPlN2at6native12_GLOBAL__N_18offset_tEEE10hipError_tPvRmT1_PNSt15iterator_traitsIS12_E10value_typeET2_T3_PNS13_IS18_E10value_typeET4_jRbjT5_S1E_jjP12ihipStream_tbEUljE_ZNSN_ISO_Lb1ESQ_SR_ST_SU_SY_EESZ_S10_S11_S12_S16_S17_S18_S1B_S1C_jS1D_jS1E_S1E_jjS1G_bEUljE0_EEESZ_S10_S11_S18_S1C_S1E_T6_T7_T9_mT8_S1G_bDpT10_ENKUlT_T0_E_clISt17integral_constantIbLb0EES1T_IbLb1EEEEDaS1P_S1Q_EUlS1P_E_NS1_11comp_targetILNS1_3genE9ELNS1_11target_archE1100ELNS1_3gpuE3ELNS1_3repE0EEENS1_30default_config_static_selectorELNS0_4arch9wavefront6targetE0EEEvS12_.private_seg_size, 0
	.set _ZN7rocprim17ROCPRIM_400000_NS6detail17trampoline_kernelINS0_13select_configILj256ELj13ELNS0_17block_load_methodE3ELS4_3ELS4_3ELNS0_20block_scan_algorithmE0ELj4294967295EEENS1_25partition_config_selectorILNS1_17partition_subalgoE4EjNS0_10empty_typeEbEEZZNS1_14partition_implILS8_4ELb0ES6_15HIP_vector_typeIjLj2EENS0_17counting_iteratorIjlEEPS9_SG_NS0_5tupleIJPjSI_NS0_16reverse_iteratorISI_EEEEENSH_IJSG_SG_SG_EEES9_SI_JZNS1_25segmented_radix_sort_implINS0_14default_configELb1EPKiPiPKlPlN2at6native12_GLOBAL__N_18offset_tEEE10hipError_tPvRmT1_PNSt15iterator_traitsIS12_E10value_typeET2_T3_PNS13_IS18_E10value_typeET4_jRbjT5_S1E_jjP12ihipStream_tbEUljE_ZNSN_ISO_Lb1ESQ_SR_ST_SU_SY_EESZ_S10_S11_S12_S16_S17_S18_S1B_S1C_jS1D_jS1E_S1E_jjS1G_bEUljE0_EEESZ_S10_S11_S18_S1C_S1E_T6_T7_T9_mT8_S1G_bDpT10_ENKUlT_T0_E_clISt17integral_constantIbLb0EES1T_IbLb1EEEEDaS1P_S1Q_EUlS1P_E_NS1_11comp_targetILNS1_3genE9ELNS1_11target_archE1100ELNS1_3gpuE3ELNS1_3repE0EEENS1_30default_config_static_selectorELNS0_4arch9wavefront6targetE0EEEvS12_.uses_vcc, 0
	.set _ZN7rocprim17ROCPRIM_400000_NS6detail17trampoline_kernelINS0_13select_configILj256ELj13ELNS0_17block_load_methodE3ELS4_3ELS4_3ELNS0_20block_scan_algorithmE0ELj4294967295EEENS1_25partition_config_selectorILNS1_17partition_subalgoE4EjNS0_10empty_typeEbEEZZNS1_14partition_implILS8_4ELb0ES6_15HIP_vector_typeIjLj2EENS0_17counting_iteratorIjlEEPS9_SG_NS0_5tupleIJPjSI_NS0_16reverse_iteratorISI_EEEEENSH_IJSG_SG_SG_EEES9_SI_JZNS1_25segmented_radix_sort_implINS0_14default_configELb1EPKiPiPKlPlN2at6native12_GLOBAL__N_18offset_tEEE10hipError_tPvRmT1_PNSt15iterator_traitsIS12_E10value_typeET2_T3_PNS13_IS18_E10value_typeET4_jRbjT5_S1E_jjP12ihipStream_tbEUljE_ZNSN_ISO_Lb1ESQ_SR_ST_SU_SY_EESZ_S10_S11_S12_S16_S17_S18_S1B_S1C_jS1D_jS1E_S1E_jjS1G_bEUljE0_EEESZ_S10_S11_S18_S1C_S1E_T6_T7_T9_mT8_S1G_bDpT10_ENKUlT_T0_E_clISt17integral_constantIbLb0EES1T_IbLb1EEEEDaS1P_S1Q_EUlS1P_E_NS1_11comp_targetILNS1_3genE9ELNS1_11target_archE1100ELNS1_3gpuE3ELNS1_3repE0EEENS1_30default_config_static_selectorELNS0_4arch9wavefront6targetE0EEEvS12_.uses_flat_scratch, 0
	.set _ZN7rocprim17ROCPRIM_400000_NS6detail17trampoline_kernelINS0_13select_configILj256ELj13ELNS0_17block_load_methodE3ELS4_3ELS4_3ELNS0_20block_scan_algorithmE0ELj4294967295EEENS1_25partition_config_selectorILNS1_17partition_subalgoE4EjNS0_10empty_typeEbEEZZNS1_14partition_implILS8_4ELb0ES6_15HIP_vector_typeIjLj2EENS0_17counting_iteratorIjlEEPS9_SG_NS0_5tupleIJPjSI_NS0_16reverse_iteratorISI_EEEEENSH_IJSG_SG_SG_EEES9_SI_JZNS1_25segmented_radix_sort_implINS0_14default_configELb1EPKiPiPKlPlN2at6native12_GLOBAL__N_18offset_tEEE10hipError_tPvRmT1_PNSt15iterator_traitsIS12_E10value_typeET2_T3_PNS13_IS18_E10value_typeET4_jRbjT5_S1E_jjP12ihipStream_tbEUljE_ZNSN_ISO_Lb1ESQ_SR_ST_SU_SY_EESZ_S10_S11_S12_S16_S17_S18_S1B_S1C_jS1D_jS1E_S1E_jjS1G_bEUljE0_EEESZ_S10_S11_S18_S1C_S1E_T6_T7_T9_mT8_S1G_bDpT10_ENKUlT_T0_E_clISt17integral_constantIbLb0EES1T_IbLb1EEEEDaS1P_S1Q_EUlS1P_E_NS1_11comp_targetILNS1_3genE9ELNS1_11target_archE1100ELNS1_3gpuE3ELNS1_3repE0EEENS1_30default_config_static_selectorELNS0_4arch9wavefront6targetE0EEEvS12_.has_dyn_sized_stack, 0
	.set _ZN7rocprim17ROCPRIM_400000_NS6detail17trampoline_kernelINS0_13select_configILj256ELj13ELNS0_17block_load_methodE3ELS4_3ELS4_3ELNS0_20block_scan_algorithmE0ELj4294967295EEENS1_25partition_config_selectorILNS1_17partition_subalgoE4EjNS0_10empty_typeEbEEZZNS1_14partition_implILS8_4ELb0ES6_15HIP_vector_typeIjLj2EENS0_17counting_iteratorIjlEEPS9_SG_NS0_5tupleIJPjSI_NS0_16reverse_iteratorISI_EEEEENSH_IJSG_SG_SG_EEES9_SI_JZNS1_25segmented_radix_sort_implINS0_14default_configELb1EPKiPiPKlPlN2at6native12_GLOBAL__N_18offset_tEEE10hipError_tPvRmT1_PNSt15iterator_traitsIS12_E10value_typeET2_T3_PNS13_IS18_E10value_typeET4_jRbjT5_S1E_jjP12ihipStream_tbEUljE_ZNSN_ISO_Lb1ESQ_SR_ST_SU_SY_EESZ_S10_S11_S12_S16_S17_S18_S1B_S1C_jS1D_jS1E_S1E_jjS1G_bEUljE0_EEESZ_S10_S11_S18_S1C_S1E_T6_T7_T9_mT8_S1G_bDpT10_ENKUlT_T0_E_clISt17integral_constantIbLb0EES1T_IbLb1EEEEDaS1P_S1Q_EUlS1P_E_NS1_11comp_targetILNS1_3genE9ELNS1_11target_archE1100ELNS1_3gpuE3ELNS1_3repE0EEENS1_30default_config_static_selectorELNS0_4arch9wavefront6targetE0EEEvS12_.has_recursion, 0
	.set _ZN7rocprim17ROCPRIM_400000_NS6detail17trampoline_kernelINS0_13select_configILj256ELj13ELNS0_17block_load_methodE3ELS4_3ELS4_3ELNS0_20block_scan_algorithmE0ELj4294967295EEENS1_25partition_config_selectorILNS1_17partition_subalgoE4EjNS0_10empty_typeEbEEZZNS1_14partition_implILS8_4ELb0ES6_15HIP_vector_typeIjLj2EENS0_17counting_iteratorIjlEEPS9_SG_NS0_5tupleIJPjSI_NS0_16reverse_iteratorISI_EEEEENSH_IJSG_SG_SG_EEES9_SI_JZNS1_25segmented_radix_sort_implINS0_14default_configELb1EPKiPiPKlPlN2at6native12_GLOBAL__N_18offset_tEEE10hipError_tPvRmT1_PNSt15iterator_traitsIS12_E10value_typeET2_T3_PNS13_IS18_E10value_typeET4_jRbjT5_S1E_jjP12ihipStream_tbEUljE_ZNSN_ISO_Lb1ESQ_SR_ST_SU_SY_EESZ_S10_S11_S12_S16_S17_S18_S1B_S1C_jS1D_jS1E_S1E_jjS1G_bEUljE0_EEESZ_S10_S11_S18_S1C_S1E_T6_T7_T9_mT8_S1G_bDpT10_ENKUlT_T0_E_clISt17integral_constantIbLb0EES1T_IbLb1EEEEDaS1P_S1Q_EUlS1P_E_NS1_11comp_targetILNS1_3genE9ELNS1_11target_archE1100ELNS1_3gpuE3ELNS1_3repE0EEENS1_30default_config_static_selectorELNS0_4arch9wavefront6targetE0EEEvS12_.has_indirect_call, 0
	.section	.AMDGPU.csdata,"",@progbits
; Kernel info:
; codeLenInByte = 0
; TotalNumSgprs: 0
; NumVgprs: 0
; ScratchSize: 0
; MemoryBound: 0
; FloatMode: 240
; IeeeMode: 1
; LDSByteSize: 0 bytes/workgroup (compile time only)
; SGPRBlocks: 0
; VGPRBlocks: 0
; NumSGPRsForWavesPerEU: 1
; NumVGPRsForWavesPerEU: 1
; Occupancy: 16
; WaveLimiterHint : 0
; COMPUTE_PGM_RSRC2:SCRATCH_EN: 0
; COMPUTE_PGM_RSRC2:USER_SGPR: 6
; COMPUTE_PGM_RSRC2:TRAP_HANDLER: 0
; COMPUTE_PGM_RSRC2:TGID_X_EN: 1
; COMPUTE_PGM_RSRC2:TGID_Y_EN: 0
; COMPUTE_PGM_RSRC2:TGID_Z_EN: 0
; COMPUTE_PGM_RSRC2:TIDIG_COMP_CNT: 0
	.section	.text._ZN7rocprim17ROCPRIM_400000_NS6detail17trampoline_kernelINS0_13select_configILj256ELj13ELNS0_17block_load_methodE3ELS4_3ELS4_3ELNS0_20block_scan_algorithmE0ELj4294967295EEENS1_25partition_config_selectorILNS1_17partition_subalgoE4EjNS0_10empty_typeEbEEZZNS1_14partition_implILS8_4ELb0ES6_15HIP_vector_typeIjLj2EENS0_17counting_iteratorIjlEEPS9_SG_NS0_5tupleIJPjSI_NS0_16reverse_iteratorISI_EEEEENSH_IJSG_SG_SG_EEES9_SI_JZNS1_25segmented_radix_sort_implINS0_14default_configELb1EPKiPiPKlPlN2at6native12_GLOBAL__N_18offset_tEEE10hipError_tPvRmT1_PNSt15iterator_traitsIS12_E10value_typeET2_T3_PNS13_IS18_E10value_typeET4_jRbjT5_S1E_jjP12ihipStream_tbEUljE_ZNSN_ISO_Lb1ESQ_SR_ST_SU_SY_EESZ_S10_S11_S12_S16_S17_S18_S1B_S1C_jS1D_jS1E_S1E_jjS1G_bEUljE0_EEESZ_S10_S11_S18_S1C_S1E_T6_T7_T9_mT8_S1G_bDpT10_ENKUlT_T0_E_clISt17integral_constantIbLb0EES1T_IbLb1EEEEDaS1P_S1Q_EUlS1P_E_NS1_11comp_targetILNS1_3genE8ELNS1_11target_archE1030ELNS1_3gpuE2ELNS1_3repE0EEENS1_30default_config_static_selectorELNS0_4arch9wavefront6targetE0EEEvS12_,"axG",@progbits,_ZN7rocprim17ROCPRIM_400000_NS6detail17trampoline_kernelINS0_13select_configILj256ELj13ELNS0_17block_load_methodE3ELS4_3ELS4_3ELNS0_20block_scan_algorithmE0ELj4294967295EEENS1_25partition_config_selectorILNS1_17partition_subalgoE4EjNS0_10empty_typeEbEEZZNS1_14partition_implILS8_4ELb0ES6_15HIP_vector_typeIjLj2EENS0_17counting_iteratorIjlEEPS9_SG_NS0_5tupleIJPjSI_NS0_16reverse_iteratorISI_EEEEENSH_IJSG_SG_SG_EEES9_SI_JZNS1_25segmented_radix_sort_implINS0_14default_configELb1EPKiPiPKlPlN2at6native12_GLOBAL__N_18offset_tEEE10hipError_tPvRmT1_PNSt15iterator_traitsIS12_E10value_typeET2_T3_PNS13_IS18_E10value_typeET4_jRbjT5_S1E_jjP12ihipStream_tbEUljE_ZNSN_ISO_Lb1ESQ_SR_ST_SU_SY_EESZ_S10_S11_S12_S16_S17_S18_S1B_S1C_jS1D_jS1E_S1E_jjS1G_bEUljE0_EEESZ_S10_S11_S18_S1C_S1E_T6_T7_T9_mT8_S1G_bDpT10_ENKUlT_T0_E_clISt17integral_constantIbLb0EES1T_IbLb1EEEEDaS1P_S1Q_EUlS1P_E_NS1_11comp_targetILNS1_3genE8ELNS1_11target_archE1030ELNS1_3gpuE2ELNS1_3repE0EEENS1_30default_config_static_selectorELNS0_4arch9wavefront6targetE0EEEvS12_,comdat
	.globl	_ZN7rocprim17ROCPRIM_400000_NS6detail17trampoline_kernelINS0_13select_configILj256ELj13ELNS0_17block_load_methodE3ELS4_3ELS4_3ELNS0_20block_scan_algorithmE0ELj4294967295EEENS1_25partition_config_selectorILNS1_17partition_subalgoE4EjNS0_10empty_typeEbEEZZNS1_14partition_implILS8_4ELb0ES6_15HIP_vector_typeIjLj2EENS0_17counting_iteratorIjlEEPS9_SG_NS0_5tupleIJPjSI_NS0_16reverse_iteratorISI_EEEEENSH_IJSG_SG_SG_EEES9_SI_JZNS1_25segmented_radix_sort_implINS0_14default_configELb1EPKiPiPKlPlN2at6native12_GLOBAL__N_18offset_tEEE10hipError_tPvRmT1_PNSt15iterator_traitsIS12_E10value_typeET2_T3_PNS13_IS18_E10value_typeET4_jRbjT5_S1E_jjP12ihipStream_tbEUljE_ZNSN_ISO_Lb1ESQ_SR_ST_SU_SY_EESZ_S10_S11_S12_S16_S17_S18_S1B_S1C_jS1D_jS1E_S1E_jjS1G_bEUljE0_EEESZ_S10_S11_S18_S1C_S1E_T6_T7_T9_mT8_S1G_bDpT10_ENKUlT_T0_E_clISt17integral_constantIbLb0EES1T_IbLb1EEEEDaS1P_S1Q_EUlS1P_E_NS1_11comp_targetILNS1_3genE8ELNS1_11target_archE1030ELNS1_3gpuE2ELNS1_3repE0EEENS1_30default_config_static_selectorELNS0_4arch9wavefront6targetE0EEEvS12_ ; -- Begin function _ZN7rocprim17ROCPRIM_400000_NS6detail17trampoline_kernelINS0_13select_configILj256ELj13ELNS0_17block_load_methodE3ELS4_3ELS4_3ELNS0_20block_scan_algorithmE0ELj4294967295EEENS1_25partition_config_selectorILNS1_17partition_subalgoE4EjNS0_10empty_typeEbEEZZNS1_14partition_implILS8_4ELb0ES6_15HIP_vector_typeIjLj2EENS0_17counting_iteratorIjlEEPS9_SG_NS0_5tupleIJPjSI_NS0_16reverse_iteratorISI_EEEEENSH_IJSG_SG_SG_EEES9_SI_JZNS1_25segmented_radix_sort_implINS0_14default_configELb1EPKiPiPKlPlN2at6native12_GLOBAL__N_18offset_tEEE10hipError_tPvRmT1_PNSt15iterator_traitsIS12_E10value_typeET2_T3_PNS13_IS18_E10value_typeET4_jRbjT5_S1E_jjP12ihipStream_tbEUljE_ZNSN_ISO_Lb1ESQ_SR_ST_SU_SY_EESZ_S10_S11_S12_S16_S17_S18_S1B_S1C_jS1D_jS1E_S1E_jjS1G_bEUljE0_EEESZ_S10_S11_S18_S1C_S1E_T6_T7_T9_mT8_S1G_bDpT10_ENKUlT_T0_E_clISt17integral_constantIbLb0EES1T_IbLb1EEEEDaS1P_S1Q_EUlS1P_E_NS1_11comp_targetILNS1_3genE8ELNS1_11target_archE1030ELNS1_3gpuE2ELNS1_3repE0EEENS1_30default_config_static_selectorELNS0_4arch9wavefront6targetE0EEEvS12_
	.p2align	8
	.type	_ZN7rocprim17ROCPRIM_400000_NS6detail17trampoline_kernelINS0_13select_configILj256ELj13ELNS0_17block_load_methodE3ELS4_3ELS4_3ELNS0_20block_scan_algorithmE0ELj4294967295EEENS1_25partition_config_selectorILNS1_17partition_subalgoE4EjNS0_10empty_typeEbEEZZNS1_14partition_implILS8_4ELb0ES6_15HIP_vector_typeIjLj2EENS0_17counting_iteratorIjlEEPS9_SG_NS0_5tupleIJPjSI_NS0_16reverse_iteratorISI_EEEEENSH_IJSG_SG_SG_EEES9_SI_JZNS1_25segmented_radix_sort_implINS0_14default_configELb1EPKiPiPKlPlN2at6native12_GLOBAL__N_18offset_tEEE10hipError_tPvRmT1_PNSt15iterator_traitsIS12_E10value_typeET2_T3_PNS13_IS18_E10value_typeET4_jRbjT5_S1E_jjP12ihipStream_tbEUljE_ZNSN_ISO_Lb1ESQ_SR_ST_SU_SY_EESZ_S10_S11_S12_S16_S17_S18_S1B_S1C_jS1D_jS1E_S1E_jjS1G_bEUljE0_EEESZ_S10_S11_S18_S1C_S1E_T6_T7_T9_mT8_S1G_bDpT10_ENKUlT_T0_E_clISt17integral_constantIbLb0EES1T_IbLb1EEEEDaS1P_S1Q_EUlS1P_E_NS1_11comp_targetILNS1_3genE8ELNS1_11target_archE1030ELNS1_3gpuE2ELNS1_3repE0EEENS1_30default_config_static_selectorELNS0_4arch9wavefront6targetE0EEEvS12_,@function
_ZN7rocprim17ROCPRIM_400000_NS6detail17trampoline_kernelINS0_13select_configILj256ELj13ELNS0_17block_load_methodE3ELS4_3ELS4_3ELNS0_20block_scan_algorithmE0ELj4294967295EEENS1_25partition_config_selectorILNS1_17partition_subalgoE4EjNS0_10empty_typeEbEEZZNS1_14partition_implILS8_4ELb0ES6_15HIP_vector_typeIjLj2EENS0_17counting_iteratorIjlEEPS9_SG_NS0_5tupleIJPjSI_NS0_16reverse_iteratorISI_EEEEENSH_IJSG_SG_SG_EEES9_SI_JZNS1_25segmented_radix_sort_implINS0_14default_configELb1EPKiPiPKlPlN2at6native12_GLOBAL__N_18offset_tEEE10hipError_tPvRmT1_PNSt15iterator_traitsIS12_E10value_typeET2_T3_PNS13_IS18_E10value_typeET4_jRbjT5_S1E_jjP12ihipStream_tbEUljE_ZNSN_ISO_Lb1ESQ_SR_ST_SU_SY_EESZ_S10_S11_S12_S16_S17_S18_S1B_S1C_jS1D_jS1E_S1E_jjS1G_bEUljE0_EEESZ_S10_S11_S18_S1C_S1E_T6_T7_T9_mT8_S1G_bDpT10_ENKUlT_T0_E_clISt17integral_constantIbLb0EES1T_IbLb1EEEEDaS1P_S1Q_EUlS1P_E_NS1_11comp_targetILNS1_3genE8ELNS1_11target_archE1030ELNS1_3gpuE2ELNS1_3repE0EEENS1_30default_config_static_selectorELNS0_4arch9wavefront6targetE0EEEvS12_: ; @_ZN7rocprim17ROCPRIM_400000_NS6detail17trampoline_kernelINS0_13select_configILj256ELj13ELNS0_17block_load_methodE3ELS4_3ELS4_3ELNS0_20block_scan_algorithmE0ELj4294967295EEENS1_25partition_config_selectorILNS1_17partition_subalgoE4EjNS0_10empty_typeEbEEZZNS1_14partition_implILS8_4ELb0ES6_15HIP_vector_typeIjLj2EENS0_17counting_iteratorIjlEEPS9_SG_NS0_5tupleIJPjSI_NS0_16reverse_iteratorISI_EEEEENSH_IJSG_SG_SG_EEES9_SI_JZNS1_25segmented_radix_sort_implINS0_14default_configELb1EPKiPiPKlPlN2at6native12_GLOBAL__N_18offset_tEEE10hipError_tPvRmT1_PNSt15iterator_traitsIS12_E10value_typeET2_T3_PNS13_IS18_E10value_typeET4_jRbjT5_S1E_jjP12ihipStream_tbEUljE_ZNSN_ISO_Lb1ESQ_SR_ST_SU_SY_EESZ_S10_S11_S12_S16_S17_S18_S1B_S1C_jS1D_jS1E_S1E_jjS1G_bEUljE0_EEESZ_S10_S11_S18_S1C_S1E_T6_T7_T9_mT8_S1G_bDpT10_ENKUlT_T0_E_clISt17integral_constantIbLb0EES1T_IbLb1EEEEDaS1P_S1Q_EUlS1P_E_NS1_11comp_targetILNS1_3genE8ELNS1_11target_archE1030ELNS1_3gpuE2ELNS1_3repE0EEENS1_30default_config_static_selectorELNS0_4arch9wavefront6targetE0EEEvS12_
; %bb.0:
	s_clause 0x7
	s_load_dwordx2 s[34:35], s[4:5], 0x10
	s_load_dwordx4 s[28:31], s[4:5], 0x28
	s_load_dwordx2 s[14:15], s[4:5], 0x38
	s_load_dwordx4 s[24:27], s[4:5], 0x58
	s_load_dwordx2 s[2:3], s[4:5], 0x68
	s_load_dwordx2 s[36:37], s[4:5], 0x78
	;; [unrolled: 1-line block ×3, first 2 shown]
	s_load_dwordx8 s[16:23], s[4:5], 0x90
	v_cmp_eq_u32_e64 s0, 0, v0
	s_and_saveexec_b32 s1, s0
	s_cbranch_execz .LBB460_4
; %bb.1:
	s_mov_b32 s7, exec_lo
	s_mov_b32 s6, exec_lo
	v_mbcnt_lo_u32_b32 v1, s7, 0
                                        ; implicit-def: $vgpr2
	v_cmpx_eq_u32_e32 0, v1
	s_cbranch_execz .LBB460_3
; %bb.2:
	s_load_dwordx2 s[8:9], s[4:5], 0x88
	s_bcnt1_i32_b32 s7, s7
	v_mov_b32_e32 v2, 0
	v_mov_b32_e32 v3, s7
	s_waitcnt lgkmcnt(0)
	global_atomic_add v2, v2, v3, s[8:9] glc
.LBB460_3:
	s_or_b32 exec_lo, exec_lo, s6
	s_waitcnt vmcnt(0)
	v_readfirstlane_b32 s6, v2
	v_mov_b32_e32 v2, 0
	v_add_nc_u32_e32 v1, s6, v1
	ds_write_b32 v2, v1
.LBB460_4:
	s_or_b32 exec_lo, exec_lo, s1
	v_mov_b32_e32 v1, 0
	s_clause 0x1
	s_load_dword s6, s[4:5], 0x8
	s_load_dword s1, s[4:5], 0x80
	s_waitcnt lgkmcnt(0)
	s_barrier
	buffer_gl0_inv
	ds_read_b32 v5, v1
	s_waitcnt lgkmcnt(0)
	s_barrier
	buffer_gl0_inv
	global_load_dwordx4 v[1:4], v1, s[26:27]
	s_add_i32 s5, s6, s34
	s_mul_i32 s4, s1, 0xd00
	s_add_i32 s1, s1, -1
	s_add_u32 s6, s34, s4
	s_addc_u32 s7, s35, 0
	v_mul_lo_u32 v31, 0xd00, v5
	v_readfirstlane_b32 s27, v5
	v_cmp_gt_u64_e64 s3, s[2:3], s[6:7]
	v_cmp_ne_u32_e32 vcc_lo, s1, v5
	s_cmp_eq_u32 s27, s1
	s_cselect_b32 s26, -1, 0
	v_add3_u32 v5, v31, s5, v0
	s_or_b32 s1, s3, vcc_lo
	s_mov_b32 s3, -1
	s_and_b32 vcc_lo, exec_lo, s1
	v_add_nc_u32_e32 v6, 0x100, v5
	v_add_nc_u32_e32 v7, 0x200, v5
	v_add_nc_u32_e32 v8, 0x300, v5
	v_add_nc_u32_e32 v9, 0x400, v5
	v_add_nc_u32_e32 v10, 0x500, v5
	v_add_nc_u32_e32 v11, 0x600, v5
	v_add_nc_u32_e32 v12, 0x700, v5
	v_add_nc_u32_e32 v13, 0x800, v5
	v_add_nc_u32_e32 v14, 0x900, v5
	v_add_nc_u32_e32 v15, 0xa00, v5
	v_add_nc_u32_e32 v16, 0xb00, v5
	v_add_nc_u32_e32 v17, 0xc00, v5
	s_cbranch_vccz .LBB460_6
; %bb.5:
	v_lshlrev_b32_e32 v18, 2, v0
	s_mov_b32 s3, 0
	ds_write2st64_b32 v18, v5, v6 offset1:4
	ds_write2st64_b32 v18, v7, v8 offset0:8 offset1:12
	ds_write2st64_b32 v18, v9, v10 offset0:16 offset1:20
	;; [unrolled: 1-line block ×5, first 2 shown]
	ds_write_b32 v18, v17 offset:12288
	s_waitcnt vmcnt(0) lgkmcnt(0)
	s_barrier
.LBB460_6:
	s_andn2_b32 vcc_lo, exec_lo, s3
	s_add_i32 s4, s4, s34
	s_cbranch_vccnz .LBB460_8
; %bb.7:
	v_lshlrev_b32_e32 v18, 2, v0
	ds_write2st64_b32 v18, v5, v6 offset1:4
	ds_write2st64_b32 v18, v7, v8 offset0:8 offset1:12
	ds_write2st64_b32 v18, v9, v10 offset0:16 offset1:20
	;; [unrolled: 1-line block ×5, first 2 shown]
	ds_write_b32 v18, v17 offset:12288
	s_waitcnt vmcnt(0) lgkmcnt(0)
	s_barrier
.LBB460_8:
	v_mul_u32_u24_e32 v34, 13, v0
	s_waitcnt vmcnt(0)
	buffer_gl0_inv
	v_cndmask_b32_e64 v32, 0, 1, s1
	s_sub_i32 s33, s2, s4
	s_andn2_b32 vcc_lo, exec_lo, s1
	v_lshlrev_b32_e32 v5, 2, v34
	ds_read_b32 v33, v5 offset:48
	ds_read2_b32 v[13:14], v5 offset0:10 offset1:11
	ds_read2_b32 v[15:16], v5 offset0:8 offset1:9
	;; [unrolled: 1-line block ×4, first 2 shown]
	ds_read2_b32 v[23:24], v5 offset1:1
	ds_read2_b32 v[21:22], v5 offset0:2 offset1:3
	s_waitcnt lgkmcnt(0)
	s_barrier
	buffer_gl0_inv
	s_cbranch_vccnz .LBB460_36
; %bb.9:
	v_add_nc_u32_e32 v5, s17, v23
	v_add_nc_u32_e32 v6, s19, v23
	s_mov_b32 s41, 0
	s_mov_b32 s40, 0
	s_mov_b32 s2, exec_lo
	v_mul_lo_u32 v5, v5, s16
	v_mul_lo_u32 v6, v6, s18
	v_sub_nc_u32_e32 v5, v5, v6
	v_cmp_lt_u32_e32 vcc_lo, s20, v5
	v_cmpx_ge_u32_e64 s20, v5
	s_cbranch_execz .LBB460_11
; %bb.10:
	v_add_nc_u32_e32 v5, s22, v23
	v_add_nc_u32_e32 v6, s38, v23
	v_mul_lo_u32 v5, v5, s21
	v_mul_lo_u32 v6, v6, s23
	v_sub_nc_u32_e32 v5, v5, v6
	v_cmp_lt_u32_e64 s1, s39, v5
	s_and_b32 s40, s1, exec_lo
.LBB460_11:
	s_or_b32 exec_lo, exec_lo, s2
	v_add_nc_u32_e32 v5, s17, v24
	v_add_nc_u32_e32 v6, s19, v24
	s_mov_b32 s3, exec_lo
	v_mul_lo_u32 v5, v5, s16
	v_mul_lo_u32 v6, v6, s18
	v_sub_nc_u32_e32 v5, v5, v6
	v_cmp_lt_u32_e64 s1, s20, v5
	v_cmpx_ge_u32_e64 s20, v5
	s_cbranch_execz .LBB460_13
; %bb.12:
	v_add_nc_u32_e32 v5, s22, v24
	v_add_nc_u32_e32 v6, s38, v24
	v_mul_lo_u32 v5, v5, s21
	v_mul_lo_u32 v6, v6, s23
	v_sub_nc_u32_e32 v5, v5, v6
	v_cmp_lt_u32_e64 s2, s39, v5
	s_and_b32 s41, s2, exec_lo
.LBB460_13:
	s_or_b32 exec_lo, exec_lo, s3
	v_add_nc_u32_e32 v5, s17, v21
	v_add_nc_u32_e32 v6, s19, v21
	s_mov_b32 s43, 0
	s_mov_b32 s42, 0
	s_mov_b32 s4, exec_lo
	v_mul_lo_u32 v5, v5, s16
	v_mul_lo_u32 v6, v6, s18
	v_sub_nc_u32_e32 v5, v5, v6
	v_cmp_lt_u32_e64 s2, s20, v5
	v_cmpx_ge_u32_e64 s20, v5
	s_cbranch_execz .LBB460_15
; %bb.14:
	v_add_nc_u32_e32 v5, s22, v21
	v_add_nc_u32_e32 v6, s38, v21
	v_mul_lo_u32 v5, v5, s21
	v_mul_lo_u32 v6, v6, s23
	v_sub_nc_u32_e32 v5, v5, v6
	v_cmp_lt_u32_e64 s3, s39, v5
	s_and_b32 s42, s3, exec_lo
.LBB460_15:
	s_or_b32 exec_lo, exec_lo, s4
	v_add_nc_u32_e32 v5, s17, v22
	v_add_nc_u32_e32 v6, s19, v22
	s_mov_b32 s5, exec_lo
	v_mul_lo_u32 v5, v5, s16
	v_mul_lo_u32 v6, v6, s18
	v_sub_nc_u32_e32 v5, v5, v6
	v_cmp_lt_u32_e64 s3, s20, v5
	v_cmpx_ge_u32_e64 s20, v5
	s_cbranch_execz .LBB460_17
; %bb.16:
	v_add_nc_u32_e32 v5, s22, v22
	v_add_nc_u32_e32 v6, s38, v22
	v_mul_lo_u32 v5, v5, s21
	v_mul_lo_u32 v6, v6, s23
	v_sub_nc_u32_e32 v5, v5, v6
	v_cmp_lt_u32_e64 s4, s39, v5
	s_and_b32 s43, s4, exec_lo
.LBB460_17:
	s_or_b32 exec_lo, exec_lo, s5
	v_add_nc_u32_e32 v5, s17, v19
	v_add_nc_u32_e32 v6, s19, v19
	s_mov_b32 s45, 0
	s_mov_b32 s44, 0
	s_mov_b32 s6, exec_lo
	v_mul_lo_u32 v5, v5, s16
	v_mul_lo_u32 v6, v6, s18
	v_sub_nc_u32_e32 v5, v5, v6
	v_cmp_lt_u32_e64 s4, s20, v5
	;; [unrolled: 40-line block ×6, first 2 shown]
	v_cmpx_ge_u32_e64 s20, v5
	s_cbranch_execz .LBB460_35
; %bb.34:
	v_add_nc_u32_e32 v5, s22, v33
	v_add_nc_u32_e32 v6, s38, v33
	v_mul_lo_u32 v5, v5, s21
	v_mul_lo_u32 v6, v6, s23
	v_sub_nc_u32_e32 v5, v5, v6
	v_cmp_lt_u32_e64 s13, s39, v5
	s_and_b32 s53, s13, exec_lo
.LBB460_35:
	s_or_b32 exec_lo, exec_lo, s54
	v_cndmask_b32_e64 v6, 0, 1, s1
	v_cndmask_b32_e64 v8, 0, 1, s3
	v_cndmask_b32_e64 v5, 0, 1, vcc_lo
	v_cndmask_b32_e64 v7, 0, 1, s2
	v_cndmask_b32_e64 v10, 0, 1, s5
	v_lshlrev_b16 v6, 8, v6
	v_lshlrev_b16 v8, 8, v8
	v_cndmask_b32_e64 v12, 0, 1, s7
	v_cndmask_b32_e64 v26, 0, 1, s9
	;; [unrolled: 1-line block ×3, first 2 shown]
	v_or_b32_e32 v5, v5, v6
	v_or_b32_sdwa v6, v7, v8 dst_sel:WORD_1 dst_unused:UNUSED_PAD src0_sel:DWORD src1_sel:DWORD
	v_cndmask_b32_e64 v7, 0, 1, s40
	v_cndmask_b32_e64 v9, 0, 1, s4
	;; [unrolled: 1-line block ×11, first 2 shown]
	v_or_b32_sdwa v35, v5, v6 dst_sel:DWORD dst_unused:UNUSED_PAD src0_sel:WORD_0 src1_sel:DWORD
	v_lshlrev_b16 v5, 8, v10
	v_lshlrev_b16 v6, 8, v12
	;; [unrolled: 1-line block ×5, first 2 shown]
	v_cndmask_b32_e64 v30, 0, 1, s49
	v_cndmask_b32_e64 v37, 0, 1, s47
	;; [unrolled: 1-line block ×5, first 2 shown]
	v_or_b32_e32 v5, v9, v5
	v_or_b32_sdwa v6, v11, v6 dst_sel:WORD_1 dst_unused:UNUSED_PAD src0_sel:DWORD src1_sel:DWORD
	v_or_b32_e32 v9, v25, v10
	v_or_b32_sdwa v10, v27, v12 dst_sel:WORD_1 dst_unused:UNUSED_PAD src0_sel:DWORD src1_sel:DWORD
	v_or_b32_e32 v7, v8, v7
	v_lshlrev_b16 v8, 8, v44
	v_lshlrev_b16 v11, 8, v41
	;; [unrolled: 1-line block ×5, first 2 shown]
	v_or_b32_sdwa v8, v45, v8 dst_sel:WORD_1 dst_unused:UNUSED_PAD src0_sel:DWORD src1_sel:DWORD
	v_or_b32_e32 v11, v43, v11
	v_or_b32_sdwa v12, v40, v12 dst_sel:WORD_1 dst_unused:UNUSED_PAD src0_sel:DWORD src1_sel:DWORD
	v_or_b32_e32 v25, v37, v25
	v_or_b32_sdwa v26, v30, v26 dst_sel:WORD_1 dst_unused:UNUSED_PAD src0_sel:DWORD src1_sel:DWORD
	v_cndmask_b32_e64 v39, 0, 1, s51
	v_cndmask_b32_e64 v42, 0, 1, s53
	v_or_b32_sdwa v37, v5, v6 dst_sel:DWORD dst_unused:UNUSED_PAD src0_sel:WORD_0 src1_sel:DWORD
	v_or_b32_sdwa v40, v9, v10 dst_sel:DWORD dst_unused:UNUSED_PAD src0_sel:WORD_0 src1_sel:DWORD
	;; [unrolled: 1-line block ×5, first 2 shown]
	s_and_b32 vcc_lo, exec_lo, s50
	s_add_i32 s5, s33, 0xd00
	s_cbranch_vccnz .LBB460_37
	s_branch .LBB460_114
.LBB460_36:
                                        ; implicit-def: $vgpr42
                                        ; implicit-def: $vgpr39
                                        ; implicit-def: $vgpr38
                                        ; implicit-def: $vgpr36
                                        ; implicit-def: $vgpr41
                                        ; implicit-def: $vgpr40
                                        ; implicit-def: $vgpr37
                                        ; implicit-def: $vgpr35
	s_add_i32 s5, s33, 0xd00
	s_cbranch_execz .LBB460_114
.LBB460_37:
	v_mov_b32_e32 v6, 0
	v_mov_b32_e32 v5, 0
	s_mov_b32 s2, exec_lo
	v_cmpx_gt_u32_e64 s5, v34
	s_cbranch_execz .LBB460_41
; %bb.38:
	v_add_nc_u32_e32 v5, s17, v23
	v_add_nc_u32_e32 v6, s19, v23
	s_mov_b32 s4, 0
	s_mov_b32 s3, exec_lo
	v_mul_lo_u32 v5, v5, s16
	v_mul_lo_u32 v6, v6, s18
	v_sub_nc_u32_e32 v5, v5, v6
	v_cmp_lt_u32_e32 vcc_lo, s20, v5
	v_cmpx_ge_u32_e64 s20, v5
	s_cbranch_execz .LBB460_40
; %bb.39:
	v_add_nc_u32_e32 v5, s22, v23
	v_add_nc_u32_e32 v6, s38, v23
	v_mul_lo_u32 v5, v5, s21
	v_mul_lo_u32 v6, v6, s23
	v_sub_nc_u32_e32 v5, v5, v6
	v_cmp_lt_u32_e64 s1, s39, v5
	s_and_b32 s4, s1, exec_lo
.LBB460_40:
	s_or_b32 exec_lo, exec_lo, s3
	v_cndmask_b32_e64 v6, 0, 1, s4
	v_cndmask_b32_e64 v5, 0, 1, vcc_lo
.LBB460_41:
	s_or_b32 exec_lo, exec_lo, s2
	v_add_nc_u32_e32 v7, 1, v34
	v_lshlrev_b16 v25, 8, v6
	v_and_b32_e32 v10, 0xff, v5
	v_lshlrev_b16 v11, 8, 0
                                        ; implicit-def: $vgpr9
                                        ; implicit-def: $vgpr12
                                        ; implicit-def: $vgpr6
                                        ; implicit-def: $vgpr8
	v_cmp_le_u32_e32 vcc_lo, s5, v7
                                        ; implicit-def: $vgpr7
	s_and_saveexec_b32 s1, vcc_lo
	s_xor_b32 s1, exec_lo, s1
	s_cbranch_execz .LBB460_43
; %bb.42:
	v_mov_b32_e32 v5, 8
	v_mov_b32_e32 v6, 0xff
	;; [unrolled: 1-line block ×3, first 2 shown]
	v_and_b32_e32 v8, 0xffff, v11
	v_and_b32_e32 v7, 0xffff, v11
	v_lshrrev_b32_sdwa v5, v5, v25 dst_sel:BYTE_1 dst_unused:UNUSED_PAD src0_sel:DWORD src1_sel:WORD_0
	v_and_b32_sdwa v6, v25, v6 dst_sel:DWORD dst_unused:UNUSED_PAD src0_sel:WORD_0 src1_sel:DWORD
                                        ; implicit-def: $vgpr25
	v_or_b32_e32 v5, v6, v5
	v_and_b32_e32 v6, 0xffff, v11
                                        ; implicit-def: $vgpr11
	v_and_b32_e32 v12, 0xffff, v5
                                        ; implicit-def: $vgpr5
.LBB460_43:
	s_andn2_saveexec_b32 s2, s1
	s_cbranch_execz .LBB460_47
; %bb.44:
	v_add_nc_u32_e32 v6, s17, v24
	v_add_nc_u32_e32 v7, s19, v24
	s_mov_b32 s3, 0
	s_mov_b32 s4, exec_lo
	v_mul_lo_u32 v6, v6, s16
	v_mul_lo_u32 v7, v7, s18
	v_sub_nc_u32_e32 v6, v6, v7
	v_cmp_lt_u32_e32 vcc_lo, s20, v6
	v_cmpx_ge_u32_e64 s20, v6
	s_cbranch_execz .LBB460_46
; %bb.45:
	v_add_nc_u32_e32 v6, s22, v24
	v_add_nc_u32_e32 v7, s38, v24
	v_mul_lo_u32 v6, v6, s21
	v_mul_lo_u32 v7, v7, s23
	v_sub_nc_u32_e32 v6, v6, v7
	v_cmp_lt_u32_e64 s1, s39, v6
	s_and_b32 s3, s1, exec_lo
.LBB460_46:
	s_or_b32 exec_lo, exec_lo, s4
	v_mov_b32_e32 v6, 0xff
	v_mov_b32_e32 v7, 8
	v_cndmask_b32_e64 v8, 0, 1, vcc_lo
	v_mov_b32_e32 v9, 0
	v_and_b32_sdwa v6, v25, v6 dst_sel:DWORD dst_unused:UNUSED_PAD src0_sel:WORD_0 src1_sel:DWORD
	v_lshrrev_b32_sdwa v7, v7, v25 dst_sel:BYTE_1 dst_unused:UNUSED_PAD src0_sel:DWORD src1_sel:WORD_0
	v_lshlrev_b16 v8, 8, v8
	v_or_b32_e32 v6, v6, v7
	v_cndmask_b32_e64 v7, 0, 1, s3
	v_or_b32_sdwa v5, v5, v8 dst_sel:DWORD dst_unused:UNUSED_PAD src0_sel:BYTE_0 src1_sel:DWORD
	v_and_b32_e32 v8, 0xffff, v11
	v_and_b32_e32 v12, 0xffff, v6
	v_mov_b32_e32 v6, 0
	v_and_b32_e32 v10, 0xffff, v5
	v_lshl_or_b32 v12, v7, 16, v12
	v_and_b32_e32 v7, 0xffff, v11
.LBB460_47:
	s_or_b32 exec_lo, exec_lo, s2
	v_add_nc_u32_e32 v5, 2, v34
                                        ; implicit-def: $vgpr11
	v_cmp_le_u32_e32 vcc_lo, s5, v5
                                        ; implicit-def: $vgpr5
	s_and_saveexec_b32 s1, vcc_lo
	s_xor_b32 s1, exec_lo, s1
	s_cbranch_execz .LBB460_49
; %bb.48:
	v_lshrrev_b32_e32 v5, 24, v10
	v_mov_b32_e32 v11, 8
	v_and_b32_e32 v25, 0xff0000, v12
	v_perm_b32 v8, v8, v8, 0x3060504
	v_perm_b32 v5, v5, v10, 0x40c0100
	v_lshrrev_b32_sdwa v10, v11, v5 dst_sel:BYTE_1 dst_unused:UNUSED_PAD src0_sel:DWORD src1_sel:DWORD
	v_or_b32_sdwa v10, v5, v10 dst_sel:DWORD dst_unused:UNUSED_PAD src0_sel:BYTE_0 src1_sel:DWORD
	v_and_b32_e32 v10, 0xffff, v10
	v_and_or_b32 v11, 0xff000000, v5, v10
	v_perm_b32 v5, v12, v25, 0x3020504
                                        ; implicit-def: $vgpr10
                                        ; implicit-def: $vgpr12
.LBB460_49:
	s_andn2_saveexec_b32 s2, s1
	s_cbranch_execz .LBB460_53
; %bb.50:
	v_add_nc_u32_e32 v5, s17, v21
	v_add_nc_u32_e32 v11, s19, v21
	s_mov_b32 s3, 0
	s_mov_b32 s4, exec_lo
	v_mul_lo_u32 v5, v5, s16
	v_mul_lo_u32 v11, v11, s18
	v_sub_nc_u32_e32 v5, v5, v11
	v_cmp_lt_u32_e32 vcc_lo, s20, v5
	v_cmpx_ge_u32_e64 s20, v5
	s_cbranch_execz .LBB460_52
; %bb.51:
	v_add_nc_u32_e32 v5, s22, v21
	v_add_nc_u32_e32 v11, s38, v21
	v_mul_lo_u32 v5, v5, s21
	v_mul_lo_u32 v11, v11, s23
	v_sub_nc_u32_e32 v5, v5, v11
	v_cmp_lt_u32_e64 s1, s39, v5
	s_and_b32 s3, s1, exec_lo
.LBB460_52:
	s_or_b32 exec_lo, exec_lo, s4
	v_mov_b32_e32 v5, 8
	v_mov_b32_e32 v11, 24
	v_cndmask_b32_e64 v26, 0, 1, s3
	v_mov_b32_e32 v27, 0xff
	v_cndmask_b32_e64 v25, 0, 1, vcc_lo
	v_lshrrev_b32_sdwa v28, v5, v10 dst_sel:BYTE_1 dst_unused:UNUSED_PAD src0_sel:DWORD src1_sel:DWORD
	v_lshrrev_b32_sdwa v11, v11, v10 dst_sel:BYTE_1 dst_unused:UNUSED_PAD src0_sel:DWORD src1_sel:DWORD
	;; [unrolled: 1-line block ×3, first 2 shown]
	v_lshlrev_b16 v26, 8, v26
	v_and_b32_sdwa v27, v12, v27 dst_sel:DWORD dst_unused:UNUSED_PAD src0_sel:WORD_1 src1_sel:DWORD
	v_or_b32_sdwa v10, v10, v28 dst_sel:DWORD dst_unused:UNUSED_PAD src0_sel:BYTE_0 src1_sel:DWORD
	v_or_b32_sdwa v11, v25, v11 dst_sel:WORD_1 dst_unused:UNUSED_PAD src0_sel:DWORD src1_sel:DWORD
	v_or_b32_sdwa v5, v12, v5 dst_sel:DWORD dst_unused:UNUSED_PAD src0_sel:BYTE_0 src1_sel:DWORD
	v_or_b32_sdwa v12, v27, v26 dst_sel:WORD_1 dst_unused:UNUSED_PAD src0_sel:DWORD src1_sel:DWORD
	v_or_b32_sdwa v11, v10, v11 dst_sel:DWORD dst_unused:UNUSED_PAD src0_sel:WORD_0 src1_sel:DWORD
	v_or_b32_sdwa v5, v5, v12 dst_sel:DWORD dst_unused:UNUSED_PAD src0_sel:WORD_0 src1_sel:DWORD
.LBB460_53:
	s_or_b32 exec_lo, exec_lo, s2
	v_add_nc_u32_e32 v10, 3, v34
                                        ; implicit-def: $vgpr35
	v_cmp_le_u32_e32 vcc_lo, s5, v10
                                        ; implicit-def: $vgpr10
	s_and_saveexec_b32 s1, vcc_lo
	s_xor_b32 s1, exec_lo, s1
	s_cbranch_execz .LBB460_55
; %bb.54:
	v_mov_b32_e32 v10, 24
	v_mov_b32_e32 v12, 0xff
	;; [unrolled: 1-line block ×3, first 2 shown]
	v_and_b32_e32 v26, 0xff0000, v11
	v_perm_b32 v8, v8, v8, 0x3060504
	v_lshrrev_b32_sdwa v10, v10, v9 dst_sel:BYTE_1 dst_unused:UNUSED_PAD src0_sel:DWORD src1_sel:DWORD
	v_and_b32_sdwa v12, v9, v12 dst_sel:DWORD dst_unused:UNUSED_PAD src0_sel:WORD_1 src1_sel:DWORD
	v_lshrrev_b32_sdwa v9, v25, v9 dst_sel:BYTE_1 dst_unused:UNUSED_PAD src0_sel:DWORD src1_sel:DWORD
	v_perm_b32 v35, v11, v26, 0x3020504
	v_perm_b32 v7, v7, v7, 0x3060504
                                        ; implicit-def: $vgpr11
	v_or_b32_sdwa v10, v12, v10 dst_sel:WORD_1 dst_unused:UNUSED_PAD src0_sel:DWORD src1_sel:DWORD
	v_or_b32_sdwa v10, v9, v10 dst_sel:DWORD dst_unused:UNUSED_PAD src0_sel:WORD_0 src1_sel:DWORD
                                        ; implicit-def: $vgpr9
.LBB460_55:
	s_andn2_saveexec_b32 s2, s1
	s_cbranch_execz .LBB460_59
; %bb.56:
	v_add_nc_u32_e32 v10, s17, v22
	v_add_nc_u32_e32 v12, s19, v22
	s_mov_b32 s3, 0
	s_mov_b32 s4, exec_lo
	v_mul_lo_u32 v10, v10, s16
	v_mul_lo_u32 v12, v12, s18
	v_sub_nc_u32_e32 v10, v10, v12
	v_cmp_lt_u32_e32 vcc_lo, s20, v10
	v_cmpx_ge_u32_e64 s20, v10
	s_cbranch_execz .LBB460_58
; %bb.57:
	v_add_nc_u32_e32 v10, s22, v22
	v_add_nc_u32_e32 v12, s38, v22
	v_mul_lo_u32 v10, v10, s21
	v_mul_lo_u32 v12, v12, s23
	v_sub_nc_u32_e32 v10, v10, v12
	v_cmp_lt_u32_e64 s1, s39, v10
	s_and_b32 s3, s1, exec_lo
.LBB460_58:
	s_or_b32 exec_lo, exec_lo, s4
	v_mov_b32_e32 v10, 8
	v_cndmask_b32_e64 v12, 0, 1, vcc_lo
	v_mov_b32_e32 v25, 0xff
	v_mov_b32_e32 v26, 24
	v_cndmask_b32_e64 v27, 0, 1, s3
	v_lshrrev_b32_sdwa v28, v10, v11 dst_sel:BYTE_1 dst_unused:UNUSED_PAD src0_sel:DWORD src1_sel:DWORD
	v_lshlrev_b16 v12, 8, v12
	v_and_b32_sdwa v29, v11, v25 dst_sel:DWORD dst_unused:UNUSED_PAD src0_sel:WORD_1 src1_sel:DWORD
	v_lshrrev_b32_sdwa v26, v26, v9 dst_sel:BYTE_1 dst_unused:UNUSED_PAD src0_sel:DWORD src1_sel:DWORD
	v_and_b32_sdwa v25, v9, v25 dst_sel:DWORD dst_unused:UNUSED_PAD src0_sel:WORD_1 src1_sel:DWORD
	v_lshrrev_b32_sdwa v9, v10, v9 dst_sel:BYTE_1 dst_unused:UNUSED_PAD src0_sel:DWORD src1_sel:DWORD
	v_or_b32_sdwa v10, v11, v28 dst_sel:DWORD dst_unused:UNUSED_PAD src0_sel:BYTE_0 src1_sel:DWORD
	v_or_b32_sdwa v11, v29, v12 dst_sel:WORD_1 dst_unused:UNUSED_PAD src0_sel:DWORD src1_sel:DWORD
	v_or_b32_sdwa v12, v25, v26 dst_sel:WORD_1 dst_unused:UNUSED_PAD src0_sel:DWORD src1_sel:DWORD
	v_or_b32_e32 v9, v27, v9
	v_or_b32_sdwa v35, v10, v11 dst_sel:DWORD dst_unused:UNUSED_PAD src0_sel:WORD_0 src1_sel:DWORD
	v_or_b32_sdwa v10, v9, v12 dst_sel:DWORD dst_unused:UNUSED_PAD src0_sel:WORD_0 src1_sel:DWORD
.LBB460_59:
	s_or_b32 exec_lo, exec_lo, s2
	v_add_nc_u32_e32 v9, 4, v34
                                        ; implicit-def: $vgpr11
	v_cmp_le_u32_e32 vcc_lo, s5, v9
                                        ; implicit-def: $vgpr9
	s_and_saveexec_b32 s1, vcc_lo
	s_xor_b32 s1, exec_lo, s1
	s_cbranch_execz .LBB460_61
; %bb.60:
	v_mov_b32_e32 v9, 24
	v_mov_b32_e32 v11, 0xff
	v_mov_b32_e32 v12, 8
	v_perm_b32 v7, v7, v7, 0x3060504
	v_lshrrev_b32_sdwa v25, v9, v8 dst_sel:BYTE_1 dst_unused:UNUSED_PAD src0_sel:DWORD src1_sel:DWORD
	v_and_b32_sdwa v26, v8, v11 dst_sel:DWORD dst_unused:UNUSED_PAD src0_sel:WORD_1 src1_sel:DWORD
	v_lshrrev_b32_sdwa v9, v9, v10 dst_sel:BYTE_1 dst_unused:UNUSED_PAD src0_sel:DWORD src1_sel:DWORD
	v_and_b32_sdwa v11, v10, v11 dst_sel:DWORD dst_unused:UNUSED_PAD src0_sel:WORD_1 src1_sel:DWORD
	v_lshrrev_b32_sdwa v8, v12, v8 dst_sel:BYTE_1 dst_unused:UNUSED_PAD src0_sel:DWORD src1_sel:DWORD
	v_or_b32_sdwa v12, v26, v25 dst_sel:WORD_1 dst_unused:UNUSED_PAD src0_sel:DWORD src1_sel:DWORD
	v_or_b32_e32 v11, v11, v9
	v_or_b32_sdwa v9, v8, v12 dst_sel:DWORD dst_unused:UNUSED_PAD src0_sel:WORD_0 src1_sel:DWORD
                                        ; implicit-def: $vgpr8
	v_perm_b32 v11, v11, v10, 0x5040c00
                                        ; implicit-def: $vgpr10
.LBB460_61:
	s_andn2_saveexec_b32 s2, s1
	s_cbranch_execz .LBB460_65
; %bb.62:
	v_add_nc_u32_e32 v9, s17, v19
	v_add_nc_u32_e32 v11, s19, v19
	s_mov_b32 s3, 0
	s_mov_b32 s4, exec_lo
	v_mul_lo_u32 v9, v9, s16
	v_mul_lo_u32 v11, v11, s18
	v_sub_nc_u32_e32 v9, v9, v11
	v_cmp_lt_u32_e32 vcc_lo, s20, v9
	v_cmpx_ge_u32_e64 s20, v9
	s_cbranch_execz .LBB460_64
; %bb.63:
	v_add_nc_u32_e32 v9, s22, v19
	v_add_nc_u32_e32 v11, s38, v19
	v_mul_lo_u32 v9, v9, s21
	v_mul_lo_u32 v11, v11, s23
	v_sub_nc_u32_e32 v9, v9, v11
	v_cmp_lt_u32_e64 s1, s39, v9
	s_and_b32 s3, s1, exec_lo
.LBB460_64:
	s_or_b32 exec_lo, exec_lo, s4
	v_mov_b32_e32 v9, 24
	v_mov_b32_e32 v11, 0xff
	;; [unrolled: 1-line block ×3, first 2 shown]
	v_cndmask_b32_e64 v25, 0, 1, s3
	v_cndmask_b32_e64 v26, 0, 1, vcc_lo
	v_lshrrev_b32_sdwa v27, v9, v8 dst_sel:BYTE_1 dst_unused:UNUSED_PAD src0_sel:DWORD src1_sel:DWORD
	v_and_b32_sdwa v28, v8, v11 dst_sel:DWORD dst_unused:UNUSED_PAD src0_sel:WORD_1 src1_sel:DWORD
	v_lshrrev_b32_sdwa v8, v12, v8 dst_sel:BYTE_1 dst_unused:UNUSED_PAD src0_sel:DWORD src1_sel:DWORD
	v_lshlrev_b16 v12, 8, v25
	v_lshrrev_b32_sdwa v9, v9, v10 dst_sel:BYTE_1 dst_unused:UNUSED_PAD src0_sel:DWORD src1_sel:DWORD
	v_and_b32_sdwa v11, v10, v11 dst_sel:DWORD dst_unused:UNUSED_PAD src0_sel:WORD_1 src1_sel:DWORD
	v_or_b32_sdwa v25, v28, v27 dst_sel:WORD_1 dst_unused:UNUSED_PAD src0_sel:DWORD src1_sel:DWORD
	v_or_b32_e32 v8, v26, v8
	v_or_b32_sdwa v10, v10, v12 dst_sel:DWORD dst_unused:UNUSED_PAD src0_sel:BYTE_0 src1_sel:DWORD
	v_or_b32_sdwa v11, v11, v9 dst_sel:WORD_1 dst_unused:UNUSED_PAD src0_sel:DWORD src1_sel:DWORD
	v_or_b32_sdwa v9, v8, v25 dst_sel:DWORD dst_unused:UNUSED_PAD src0_sel:WORD_0 src1_sel:DWORD
	v_or_b32_sdwa v11, v10, v11 dst_sel:DWORD dst_unused:UNUSED_PAD src0_sel:WORD_0 src1_sel:DWORD
.LBB460_65:
	s_or_b32 exec_lo, exec_lo, s2
	v_add_nc_u32_e32 v8, 5, v34
                                        ; implicit-def: $vgpr10
	v_cmp_le_u32_e32 vcc_lo, s5, v8
                                        ; implicit-def: $vgpr8
	s_and_saveexec_b32 s1, vcc_lo
	s_xor_b32 s1, exec_lo, s1
	s_cbranch_execz .LBB460_67
; %bb.66:
	v_lshrrev_b32_e32 v8, 24, v11
	v_mov_b32_e32 v10, 8
	v_mov_b32_e32 v12, 0xff
	v_perm_b32 v7, v7, v7, 0x3060504
	v_perm_b32 v8, v8, v11, 0x40c0100
	v_mov_b32_e32 v11, 24
	v_and_b32_sdwa v12, v9, v12 dst_sel:DWORD dst_unused:UNUSED_PAD src0_sel:WORD_1 src1_sel:DWORD
	v_lshrrev_b32_sdwa v10, v10, v8 dst_sel:BYTE_1 dst_unused:UNUSED_PAD src0_sel:DWORD src1_sel:DWORD
	v_lshrrev_b32_sdwa v11, v11, v9 dst_sel:BYTE_1 dst_unused:UNUSED_PAD src0_sel:DWORD src1_sel:DWORD
	v_or_b32_sdwa v10, v8, v10 dst_sel:DWORD dst_unused:UNUSED_PAD src0_sel:BYTE_0 src1_sel:DWORD
	v_or_b32_e32 v11, v12, v11
	v_and_b32_e32 v12, 0xffff, v10
	v_perm_b32 v10, v11, v9, 0x5040c00
                                        ; implicit-def: $vgpr9
                                        ; implicit-def: $vgpr11
	v_and_or_b32 v8, 0xff000000, v8, v12
.LBB460_67:
	s_andn2_saveexec_b32 s2, s1
	s_cbranch_execz .LBB460_71
; %bb.68:
	v_add_nc_u32_e32 v8, s17, v20
	v_add_nc_u32_e32 v10, s19, v20
	s_mov_b32 s3, 0
	s_mov_b32 s4, exec_lo
	v_mul_lo_u32 v8, v8, s16
	v_mul_lo_u32 v10, v10, s18
	v_sub_nc_u32_e32 v8, v8, v10
	v_cmp_lt_u32_e32 vcc_lo, s20, v8
	v_cmpx_ge_u32_e64 s20, v8
	s_cbranch_execz .LBB460_70
; %bb.69:
	v_add_nc_u32_e32 v8, s22, v20
	v_add_nc_u32_e32 v10, s38, v20
	v_mul_lo_u32 v8, v8, s21
	v_mul_lo_u32 v10, v10, s23
	v_sub_nc_u32_e32 v8, v8, v10
	v_cmp_lt_u32_e64 s1, s39, v8
	s_and_b32 s3, s1, exec_lo
.LBB460_70:
	s_or_b32 exec_lo, exec_lo, s4
	v_cndmask_b32_e64 v8, 0, 1, vcc_lo
	v_mov_b32_e32 v10, 24
	v_mov_b32_e32 v12, 0xff
	;; [unrolled: 1-line block ×3, first 2 shown]
	v_cndmask_b32_e64 v26, 0, 1, s3
	v_lshlrev_b16 v8, 8, v8
	v_lshrrev_b32_sdwa v27, v10, v9 dst_sel:BYTE_1 dst_unused:UNUSED_PAD src0_sel:DWORD src1_sel:DWORD
	v_and_b32_sdwa v12, v9, v12 dst_sel:DWORD dst_unused:UNUSED_PAD src0_sel:WORD_1 src1_sel:DWORD
	v_lshrrev_b32_sdwa v25, v25, v11 dst_sel:BYTE_1 dst_unused:UNUSED_PAD src0_sel:DWORD src1_sel:DWORD
	v_lshrrev_b32_sdwa v10, v10, v11 dst_sel:BYTE_1 dst_unused:UNUSED_PAD src0_sel:DWORD src1_sel:DWORD
	v_or_b32_sdwa v8, v9, v8 dst_sel:DWORD dst_unused:UNUSED_PAD src0_sel:BYTE_0 src1_sel:DWORD
	v_or_b32_sdwa v9, v12, v27 dst_sel:WORD_1 dst_unused:UNUSED_PAD src0_sel:DWORD src1_sel:DWORD
	v_or_b32_sdwa v11, v11, v25 dst_sel:DWORD dst_unused:UNUSED_PAD src0_sel:BYTE_0 src1_sel:DWORD
	v_or_b32_sdwa v12, v26, v10 dst_sel:WORD_1 dst_unused:UNUSED_PAD src0_sel:DWORD src1_sel:DWORD
	v_or_b32_sdwa v10, v8, v9 dst_sel:DWORD dst_unused:UNUSED_PAD src0_sel:WORD_0 src1_sel:DWORD
	v_or_b32_sdwa v8, v11, v12 dst_sel:DWORD dst_unused:UNUSED_PAD src0_sel:WORD_0 src1_sel:DWORD
.LBB460_71:
	s_or_b32 exec_lo, exec_lo, s2
	v_add_nc_u32_e32 v9, 6, v34
                                        ; implicit-def: $vgpr36
	v_cmp_le_u32_e32 vcc_lo, s5, v9
                                        ; implicit-def: $vgpr9
	s_and_saveexec_b32 s1, vcc_lo
	s_xor_b32 s1, exec_lo, s1
	s_cbranch_execz .LBB460_73
; %bb.72:
	v_lshrrev_b32_e32 v9, 24, v10
	v_mov_b32_e32 v11, 8
	v_perm_b32 v7, v7, v7, 0x3060504
	v_perm_b32 v9, v9, v10, 0x40c0100
	v_lshrrev_b32_sdwa v10, v11, v9 dst_sel:BYTE_1 dst_unused:UNUSED_PAD src0_sel:DWORD src1_sel:DWORD
	v_and_b32_e32 v11, 0xff0000, v8
	v_or_b32_sdwa v10, v9, v10 dst_sel:DWORD dst_unused:UNUSED_PAD src0_sel:BYTE_0 src1_sel:DWORD
	v_perm_b32 v36, v8, v11, 0x3020504
                                        ; implicit-def: $vgpr8
	v_and_b32_e32 v10, 0xffff, v10
	v_and_or_b32 v9, 0xff000000, v9, v10
                                        ; implicit-def: $vgpr10
.LBB460_73:
	s_andn2_saveexec_b32 s2, s1
	s_cbranch_execz .LBB460_77
; %bb.74:
	v_add_nc_u32_e32 v9, s17, v17
	v_add_nc_u32_e32 v11, s19, v17
	s_mov_b32 s3, 0
	s_mov_b32 s4, exec_lo
	v_mul_lo_u32 v9, v9, s16
	v_mul_lo_u32 v11, v11, s18
	v_sub_nc_u32_e32 v9, v9, v11
	v_cmp_lt_u32_e32 vcc_lo, s20, v9
	v_cmpx_ge_u32_e64 s20, v9
	s_cbranch_execz .LBB460_76
; %bb.75:
	v_add_nc_u32_e32 v9, s22, v17
	v_add_nc_u32_e32 v11, s38, v17
	v_mul_lo_u32 v9, v9, s21
	v_mul_lo_u32 v11, v11, s23
	v_sub_nc_u32_e32 v9, v9, v11
	v_cmp_lt_u32_e64 s1, s39, v9
	s_and_b32 s3, s1, exec_lo
.LBB460_76:
	s_or_b32 exec_lo, exec_lo, s4
	v_mov_b32_e32 v9, 8
	v_mov_b32_e32 v11, 24
	v_cndmask_b32_e64 v25, 0, 1, s3
	v_mov_b32_e32 v26, 0xff
	v_cndmask_b32_e64 v12, 0, 1, vcc_lo
	v_lshrrev_b32_sdwa v27, v9, v10 dst_sel:BYTE_1 dst_unused:UNUSED_PAD src0_sel:DWORD src1_sel:DWORD
	v_lshrrev_b32_sdwa v11, v11, v10 dst_sel:BYTE_1 dst_unused:UNUSED_PAD src0_sel:DWORD src1_sel:DWORD
	;; [unrolled: 1-line block ×3, first 2 shown]
	v_lshlrev_b16 v25, 8, v25
	v_and_b32_sdwa v26, v8, v26 dst_sel:DWORD dst_unused:UNUSED_PAD src0_sel:WORD_1 src1_sel:DWORD
	v_or_b32_sdwa v10, v10, v27 dst_sel:DWORD dst_unused:UNUSED_PAD src0_sel:BYTE_0 src1_sel:DWORD
	v_or_b32_sdwa v11, v12, v11 dst_sel:WORD_1 dst_unused:UNUSED_PAD src0_sel:DWORD src1_sel:DWORD
	v_or_b32_sdwa v8, v8, v9 dst_sel:DWORD dst_unused:UNUSED_PAD src0_sel:BYTE_0 src1_sel:DWORD
	v_or_b32_sdwa v12, v26, v25 dst_sel:WORD_1 dst_unused:UNUSED_PAD src0_sel:DWORD src1_sel:DWORD
	v_or_b32_sdwa v9, v10, v11 dst_sel:DWORD dst_unused:UNUSED_PAD src0_sel:WORD_0 src1_sel:DWORD
	v_or_b32_sdwa v36, v8, v12 dst_sel:DWORD dst_unused:UNUSED_PAD src0_sel:WORD_0 src1_sel:DWORD
.LBB460_77:
	s_or_b32 exec_lo, exec_lo, s2
	v_add_nc_u32_e32 v8, 7, v34
                                        ; implicit-def: $vgpr37
	v_cmp_le_u32_e32 vcc_lo, s5, v8
                                        ; implicit-def: $vgpr8
	s_and_saveexec_b32 s1, vcc_lo
	s_xor_b32 s1, exec_lo, s1
	s_cbranch_execz .LBB460_79
; %bb.78:
	v_mov_b32_e32 v8, 24
	v_mov_b32_e32 v10, 0xff
	;; [unrolled: 1-line block ×3, first 2 shown]
	v_lshrrev_b32_sdwa v8, v8, v7 dst_sel:BYTE_1 dst_unused:UNUSED_PAD src0_sel:DWORD src1_sel:DWORD
	v_and_b32_sdwa v10, v7, v10 dst_sel:DWORD dst_unused:UNUSED_PAD src0_sel:WORD_1 src1_sel:DWORD
	v_lshrrev_b32_sdwa v7, v11, v7 dst_sel:BYTE_1 dst_unused:UNUSED_PAD src0_sel:DWORD src1_sel:DWORD
	v_and_b32_e32 v11, 0xff0000, v9
	v_or_b32_sdwa v8, v10, v8 dst_sel:WORD_1 dst_unused:UNUSED_PAD src0_sel:DWORD src1_sel:DWORD
	v_perm_b32 v37, v9, v11, 0x3020504
                                        ; implicit-def: $vgpr9
	v_or_b32_sdwa v8, v7, v8 dst_sel:DWORD dst_unused:UNUSED_PAD src0_sel:WORD_0 src1_sel:DWORD
                                        ; implicit-def: $vgpr7
.LBB460_79:
	s_andn2_saveexec_b32 s2, s1
	s_cbranch_execz .LBB460_83
; %bb.80:
	v_add_nc_u32_e32 v8, s17, v18
	v_add_nc_u32_e32 v10, s19, v18
	s_mov_b32 s3, 0
	s_mov_b32 s4, exec_lo
	v_mul_lo_u32 v8, v8, s16
	v_mul_lo_u32 v10, v10, s18
	v_sub_nc_u32_e32 v8, v8, v10
	v_cmp_lt_u32_e32 vcc_lo, s20, v8
	v_cmpx_ge_u32_e64 s20, v8
	s_cbranch_execz .LBB460_82
; %bb.81:
	v_add_nc_u32_e32 v8, s22, v18
	v_add_nc_u32_e32 v10, s38, v18
	v_mul_lo_u32 v8, v8, s21
	v_mul_lo_u32 v10, v10, s23
	v_sub_nc_u32_e32 v8, v8, v10
	v_cmp_lt_u32_e64 s1, s39, v8
	s_and_b32 s3, s1, exec_lo
.LBB460_82:
	s_or_b32 exec_lo, exec_lo, s4
	v_mov_b32_e32 v8, 8
	v_cndmask_b32_e64 v10, 0, 1, vcc_lo
	v_mov_b32_e32 v11, 0xff
	v_mov_b32_e32 v12, 24
	v_cndmask_b32_e64 v25, 0, 1, s3
	v_lshrrev_b32_sdwa v26, v8, v9 dst_sel:BYTE_1 dst_unused:UNUSED_PAD src0_sel:DWORD src1_sel:DWORD
	v_lshlrev_b16 v10, 8, v10
	v_and_b32_sdwa v27, v9, v11 dst_sel:DWORD dst_unused:UNUSED_PAD src0_sel:WORD_1 src1_sel:DWORD
	v_lshrrev_b32_sdwa v12, v12, v7 dst_sel:BYTE_1 dst_unused:UNUSED_PAD src0_sel:DWORD src1_sel:DWORD
	v_and_b32_sdwa v11, v7, v11 dst_sel:DWORD dst_unused:UNUSED_PAD src0_sel:WORD_1 src1_sel:DWORD
	v_lshrrev_b32_sdwa v7, v8, v7 dst_sel:BYTE_1 dst_unused:UNUSED_PAD src0_sel:DWORD src1_sel:DWORD
	v_or_b32_sdwa v8, v9, v26 dst_sel:DWORD dst_unused:UNUSED_PAD src0_sel:BYTE_0 src1_sel:DWORD
	v_or_b32_sdwa v9, v27, v10 dst_sel:WORD_1 dst_unused:UNUSED_PAD src0_sel:DWORD src1_sel:DWORD
	v_or_b32_sdwa v10, v11, v12 dst_sel:WORD_1 dst_unused:UNUSED_PAD src0_sel:DWORD src1_sel:DWORD
	v_or_b32_e32 v7, v25, v7
	v_or_b32_sdwa v37, v8, v9 dst_sel:DWORD dst_unused:UNUSED_PAD src0_sel:WORD_0 src1_sel:DWORD
	v_or_b32_sdwa v8, v7, v10 dst_sel:DWORD dst_unused:UNUSED_PAD src0_sel:WORD_0 src1_sel:DWORD
.LBB460_83:
	s_or_b32 exec_lo, exec_lo, s2
	v_add_nc_u32_e32 v7, 8, v34
                                        ; implicit-def: $vgpr9
	v_cmp_le_u32_e32 vcc_lo, s5, v7
                                        ; implicit-def: $vgpr7
	s_and_saveexec_b32 s1, vcc_lo
	s_xor_b32 s1, exec_lo, s1
	s_cbranch_execz .LBB460_85
; %bb.84:
	v_mov_b32_e32 v7, 24
	v_mov_b32_e32 v9, 0xff
	;; [unrolled: 1-line block ×3, first 2 shown]
	v_perm_b32 v5, v5, v5, 0x3060504
	v_lshrrev_b32_sdwa v11, v7, v8 dst_sel:BYTE_1 dst_unused:UNUSED_PAD src0_sel:DWORD src1_sel:DWORD
	v_lshrrev_b32_sdwa v7, v7, v6 dst_sel:BYTE_1 dst_unused:UNUSED_PAD src0_sel:DWORD src1_sel:DWORD
	v_and_b32_sdwa v12, v6, v9 dst_sel:DWORD dst_unused:UNUSED_PAD src0_sel:WORD_1 src1_sel:DWORD
	v_and_b32_sdwa v9, v8, v9 dst_sel:DWORD dst_unused:UNUSED_PAD src0_sel:WORD_1 src1_sel:DWORD
	v_lshrrev_b32_sdwa v6, v10, v6 dst_sel:BYTE_1 dst_unused:UNUSED_PAD src0_sel:DWORD src1_sel:DWORD
	v_or_b32_sdwa v7, v12, v7 dst_sel:WORD_1 dst_unused:UNUSED_PAD src0_sel:DWORD src1_sel:DWORD
	v_or_b32_e32 v9, v9, v11
	v_or_b32_sdwa v7, v6, v7 dst_sel:DWORD dst_unused:UNUSED_PAD src0_sel:WORD_0 src1_sel:DWORD
	v_perm_b32 v9, v9, v8, 0x5040c00
                                        ; implicit-def: $vgpr6
                                        ; implicit-def: $vgpr8
.LBB460_85:
	s_andn2_saveexec_b32 s2, s1
	s_cbranch_execz .LBB460_89
; %bb.86:
	v_add_nc_u32_e32 v7, s17, v15
	v_add_nc_u32_e32 v9, s19, v15
	s_mov_b32 s3, 0
	s_mov_b32 s4, exec_lo
	v_mul_lo_u32 v7, v7, s16
	v_mul_lo_u32 v9, v9, s18
	v_sub_nc_u32_e32 v7, v7, v9
	v_cmp_lt_u32_e32 vcc_lo, s20, v7
	v_cmpx_ge_u32_e64 s20, v7
	s_cbranch_execz .LBB460_88
; %bb.87:
	v_add_nc_u32_e32 v7, s22, v15
	v_add_nc_u32_e32 v9, s38, v15
	v_mul_lo_u32 v7, v7, s21
	v_mul_lo_u32 v9, v9, s23
	v_sub_nc_u32_e32 v7, v7, v9
	v_cmp_lt_u32_e64 s1, s39, v7
	s_and_b32 s3, s1, exec_lo
.LBB460_88:
	s_or_b32 exec_lo, exec_lo, s4
	v_mov_b32_e32 v7, 24
	v_mov_b32_e32 v9, 0xff
	v_mov_b32_e32 v10, 8
	v_cndmask_b32_e64 v11, 0, 1, s3
	v_cndmask_b32_e64 v12, 0, 1, vcc_lo
	v_lshrrev_b32_sdwa v25, v7, v6 dst_sel:BYTE_1 dst_unused:UNUSED_PAD src0_sel:DWORD src1_sel:DWORD
	v_and_b32_sdwa v26, v6, v9 dst_sel:DWORD dst_unused:UNUSED_PAD src0_sel:WORD_1 src1_sel:DWORD
	v_lshrrev_b32_sdwa v6, v10, v6 dst_sel:BYTE_1 dst_unused:UNUSED_PAD src0_sel:DWORD src1_sel:DWORD
	v_lshlrev_b16 v10, 8, v11
	v_lshrrev_b32_sdwa v7, v7, v8 dst_sel:BYTE_1 dst_unused:UNUSED_PAD src0_sel:DWORD src1_sel:DWORD
	v_and_b32_sdwa v9, v8, v9 dst_sel:DWORD dst_unused:UNUSED_PAD src0_sel:WORD_1 src1_sel:DWORD
	v_or_b32_sdwa v11, v26, v25 dst_sel:WORD_1 dst_unused:UNUSED_PAD src0_sel:DWORD src1_sel:DWORD
	v_or_b32_e32 v6, v12, v6
	v_or_b32_sdwa v8, v8, v10 dst_sel:DWORD dst_unused:UNUSED_PAD src0_sel:BYTE_0 src1_sel:DWORD
	v_or_b32_sdwa v9, v9, v7 dst_sel:WORD_1 dst_unused:UNUSED_PAD src0_sel:DWORD src1_sel:DWORD
	v_or_b32_sdwa v7, v6, v11 dst_sel:DWORD dst_unused:UNUSED_PAD src0_sel:WORD_0 src1_sel:DWORD
	v_or_b32_sdwa v9, v8, v9 dst_sel:DWORD dst_unused:UNUSED_PAD src0_sel:WORD_0 src1_sel:DWORD
.LBB460_89:
	s_or_b32 exec_lo, exec_lo, s2
	v_add_nc_u32_e32 v6, 9, v34
                                        ; implicit-def: $vgpr8
	v_cmp_le_u32_e32 vcc_lo, s5, v6
                                        ; implicit-def: $vgpr6
	s_and_saveexec_b32 s1, vcc_lo
	s_xor_b32 s1, exec_lo, s1
	s_cbranch_execz .LBB460_91
; %bb.90:
	v_lshrrev_b32_e32 v6, 24, v9
	v_mov_b32_e32 v8, 8
	v_mov_b32_e32 v10, 0xff
	v_perm_b32 v5, v5, v5, 0x3060504
	v_perm_b32 v6, v6, v9, 0x40c0100
	v_mov_b32_e32 v9, 24
	v_and_b32_sdwa v10, v7, v10 dst_sel:DWORD dst_unused:UNUSED_PAD src0_sel:WORD_1 src1_sel:DWORD
	v_lshrrev_b32_sdwa v8, v8, v6 dst_sel:BYTE_1 dst_unused:UNUSED_PAD src0_sel:DWORD src1_sel:DWORD
	v_lshrrev_b32_sdwa v9, v9, v7 dst_sel:BYTE_1 dst_unused:UNUSED_PAD src0_sel:DWORD src1_sel:DWORD
	v_or_b32_sdwa v8, v6, v8 dst_sel:DWORD dst_unused:UNUSED_PAD src0_sel:BYTE_0 src1_sel:DWORD
	v_or_b32_e32 v9, v10, v9
	v_and_b32_e32 v10, 0xffff, v8
	v_perm_b32 v8, v9, v7, 0x5040c00
                                        ; implicit-def: $vgpr7
                                        ; implicit-def: $vgpr9
	v_and_or_b32 v6, 0xff000000, v6, v10
.LBB460_91:
	s_andn2_saveexec_b32 s2, s1
	s_cbranch_execz .LBB460_95
; %bb.92:
	v_add_nc_u32_e32 v6, s17, v16
	v_add_nc_u32_e32 v8, s19, v16
	s_mov_b32 s3, 0
	s_mov_b32 s4, exec_lo
	v_mul_lo_u32 v6, v6, s16
	v_mul_lo_u32 v8, v8, s18
	v_sub_nc_u32_e32 v6, v6, v8
	v_cmp_lt_u32_e32 vcc_lo, s20, v6
	v_cmpx_ge_u32_e64 s20, v6
	s_cbranch_execz .LBB460_94
; %bb.93:
	v_add_nc_u32_e32 v6, s22, v16
	v_add_nc_u32_e32 v8, s38, v16
	v_mul_lo_u32 v6, v6, s21
	v_mul_lo_u32 v8, v8, s23
	v_sub_nc_u32_e32 v6, v6, v8
	v_cmp_lt_u32_e64 s1, s39, v6
	s_and_b32 s3, s1, exec_lo
.LBB460_94:
	s_or_b32 exec_lo, exec_lo, s4
	v_cndmask_b32_e64 v6, 0, 1, vcc_lo
	v_mov_b32_e32 v8, 24
	v_mov_b32_e32 v10, 0xff
	;; [unrolled: 1-line block ×3, first 2 shown]
	v_cndmask_b32_e64 v12, 0, 1, s3
	v_lshlrev_b16 v6, 8, v6
	v_lshrrev_b32_sdwa v25, v8, v7 dst_sel:BYTE_1 dst_unused:UNUSED_PAD src0_sel:DWORD src1_sel:DWORD
	v_and_b32_sdwa v10, v7, v10 dst_sel:DWORD dst_unused:UNUSED_PAD src0_sel:WORD_1 src1_sel:DWORD
	v_lshrrev_b32_sdwa v11, v11, v9 dst_sel:BYTE_1 dst_unused:UNUSED_PAD src0_sel:DWORD src1_sel:DWORD
	v_lshrrev_b32_sdwa v8, v8, v9 dst_sel:BYTE_1 dst_unused:UNUSED_PAD src0_sel:DWORD src1_sel:DWORD
	v_or_b32_sdwa v6, v7, v6 dst_sel:DWORD dst_unused:UNUSED_PAD src0_sel:BYTE_0 src1_sel:DWORD
	v_or_b32_sdwa v7, v10, v25 dst_sel:WORD_1 dst_unused:UNUSED_PAD src0_sel:DWORD src1_sel:DWORD
	v_or_b32_sdwa v9, v9, v11 dst_sel:DWORD dst_unused:UNUSED_PAD src0_sel:BYTE_0 src1_sel:DWORD
	v_or_b32_sdwa v10, v12, v8 dst_sel:WORD_1 dst_unused:UNUSED_PAD src0_sel:DWORD src1_sel:DWORD
	v_or_b32_sdwa v8, v6, v7 dst_sel:DWORD dst_unused:UNUSED_PAD src0_sel:WORD_0 src1_sel:DWORD
	v_or_b32_sdwa v6, v9, v10 dst_sel:DWORD dst_unused:UNUSED_PAD src0_sel:WORD_0 src1_sel:DWORD
.LBB460_95:
	s_or_b32 exec_lo, exec_lo, s2
	v_add_nc_u32_e32 v7, 10, v34
                                        ; implicit-def: $vgpr38
	v_cmp_le_u32_e32 vcc_lo, s5, v7
                                        ; implicit-def: $vgpr7
	s_and_saveexec_b32 s1, vcc_lo
	s_xor_b32 s1, exec_lo, s1
	s_cbranch_execz .LBB460_97
; %bb.96:
	v_lshrrev_b32_e32 v7, 24, v8
	v_mov_b32_e32 v9, 8
	v_perm_b32 v5, v5, v5, 0x3060504
	v_perm_b32 v7, v7, v8, 0x40c0100
	v_lshrrev_b32_sdwa v8, v9, v7 dst_sel:BYTE_1 dst_unused:UNUSED_PAD src0_sel:DWORD src1_sel:DWORD
	v_and_b32_e32 v9, 0xff0000, v6
	v_or_b32_sdwa v8, v7, v8 dst_sel:DWORD dst_unused:UNUSED_PAD src0_sel:BYTE_0 src1_sel:DWORD
	v_perm_b32 v38, v6, v9, 0x3020504
                                        ; implicit-def: $vgpr6
	v_and_b32_e32 v8, 0xffff, v8
	v_and_or_b32 v7, 0xff000000, v7, v8
                                        ; implicit-def: $vgpr8
.LBB460_97:
	s_andn2_saveexec_b32 s2, s1
	s_cbranch_execz .LBB460_101
; %bb.98:
	v_add_nc_u32_e32 v7, s17, v13
	v_add_nc_u32_e32 v9, s19, v13
	s_mov_b32 s3, 0
	s_mov_b32 s4, exec_lo
	v_mul_lo_u32 v7, v7, s16
	v_mul_lo_u32 v9, v9, s18
	v_sub_nc_u32_e32 v7, v7, v9
	v_cmp_lt_u32_e32 vcc_lo, s20, v7
	v_cmpx_ge_u32_e64 s20, v7
	s_cbranch_execz .LBB460_100
; %bb.99:
	v_add_nc_u32_e32 v7, s22, v13
	v_add_nc_u32_e32 v9, s38, v13
	v_mul_lo_u32 v7, v7, s21
	v_mul_lo_u32 v9, v9, s23
	v_sub_nc_u32_e32 v7, v7, v9
	v_cmp_lt_u32_e64 s1, s39, v7
	s_and_b32 s3, s1, exec_lo
.LBB460_100:
	s_or_b32 exec_lo, exec_lo, s4
	v_mov_b32_e32 v7, 8
	v_mov_b32_e32 v9, 24
	v_cndmask_b32_e64 v11, 0, 1, s3
	v_mov_b32_e32 v12, 0xff
	v_cndmask_b32_e64 v10, 0, 1, vcc_lo
	v_lshrrev_b32_sdwa v25, v7, v8 dst_sel:BYTE_1 dst_unused:UNUSED_PAD src0_sel:DWORD src1_sel:DWORD
	v_lshrrev_b32_sdwa v9, v9, v8 dst_sel:BYTE_1 dst_unused:UNUSED_PAD src0_sel:DWORD src1_sel:DWORD
	;; [unrolled: 1-line block ×3, first 2 shown]
	v_lshlrev_b16 v11, 8, v11
	v_and_b32_sdwa v12, v6, v12 dst_sel:DWORD dst_unused:UNUSED_PAD src0_sel:WORD_1 src1_sel:DWORD
	v_or_b32_sdwa v8, v8, v25 dst_sel:DWORD dst_unused:UNUSED_PAD src0_sel:BYTE_0 src1_sel:DWORD
	v_or_b32_sdwa v9, v10, v9 dst_sel:WORD_1 dst_unused:UNUSED_PAD src0_sel:DWORD src1_sel:DWORD
	v_or_b32_sdwa v6, v6, v7 dst_sel:DWORD dst_unused:UNUSED_PAD src0_sel:BYTE_0 src1_sel:DWORD
	v_or_b32_sdwa v10, v12, v11 dst_sel:WORD_1 dst_unused:UNUSED_PAD src0_sel:DWORD src1_sel:DWORD
	v_or_b32_sdwa v7, v8, v9 dst_sel:DWORD dst_unused:UNUSED_PAD src0_sel:WORD_0 src1_sel:DWORD
	v_or_b32_sdwa v38, v6, v10 dst_sel:DWORD dst_unused:UNUSED_PAD src0_sel:WORD_0 src1_sel:DWORD
.LBB460_101:
	s_or_b32 exec_lo, exec_lo, s2
	v_add_nc_u32_e32 v6, 11, v34
	v_mov_b32_e32 v39, 0
	s_mov_b32 s1, exec_lo
                                        ; implicit-def: $vgpr40
	v_cmpx_le_u32_e64 s5, v6
	s_xor_b32 s1, exec_lo, s1
; %bb.102:
	v_and_b32_e32 v6, 0xff0000, v7
	v_perm_b32 v5, v5, v5, 0x3060504
	v_perm_b32 v40, v7, v6, 0x3020504
                                        ; implicit-def: $vgpr7
; %bb.103:
	s_andn2_saveexec_b32 s2, s1
	s_cbranch_execz .LBB460_107
; %bb.104:
	v_add_nc_u32_e32 v6, s17, v14
	v_add_nc_u32_e32 v8, s19, v14
	s_mov_b32 s3, 0
	s_mov_b32 s4, exec_lo
	v_mul_lo_u32 v6, v6, s16
	v_mul_lo_u32 v8, v8, s18
	v_sub_nc_u32_e32 v6, v6, v8
	v_cmp_lt_u32_e32 vcc_lo, s20, v6
	v_cmpx_ge_u32_e64 s20, v6
	s_cbranch_execz .LBB460_106
; %bb.105:
	v_add_nc_u32_e32 v6, s22, v14
	v_add_nc_u32_e32 v8, s38, v14
	v_mul_lo_u32 v6, v6, s21
	v_mul_lo_u32 v8, v8, s23
	v_sub_nc_u32_e32 v6, v6, v8
	v_cmp_lt_u32_e64 s1, s39, v6
	s_and_b32 s3, s1, exec_lo
.LBB460_106:
	s_or_b32 exec_lo, exec_lo, s4
	v_mov_b32_e32 v6, 8
	v_cndmask_b32_e64 v8, 0, 1, vcc_lo
	v_mov_b32_e32 v9, 0xff
	v_cndmask_b32_e64 v39, 0, 1, s3
	v_lshrrev_b32_sdwa v6, v6, v7 dst_sel:BYTE_1 dst_unused:UNUSED_PAD src0_sel:DWORD src1_sel:DWORD
	v_lshlrev_b16 v8, 8, v8
	v_and_b32_sdwa v9, v7, v9 dst_sel:DWORD dst_unused:UNUSED_PAD src0_sel:WORD_1 src1_sel:DWORD
	v_or_b32_sdwa v6, v7, v6 dst_sel:DWORD dst_unused:UNUSED_PAD src0_sel:BYTE_0 src1_sel:DWORD
	v_or_b32_sdwa v7, v9, v8 dst_sel:WORD_1 dst_unused:UNUSED_PAD src0_sel:DWORD src1_sel:DWORD
	v_or_b32_sdwa v40, v6, v7 dst_sel:DWORD dst_unused:UNUSED_PAD src0_sel:WORD_0 src1_sel:DWORD
.LBB460_107:
	s_or_b32 exec_lo, exec_lo, s2
	v_add_nc_u32_e32 v6, 12, v34
	s_mov_b32 s1, exec_lo
                                        ; implicit-def: $vgpr41
	v_cmpx_le_u32_e64 s5, v6
	s_xor_b32 s1, exec_lo, s1
	s_cbranch_execz .LBB460_109
; %bb.108:
	v_mov_b32_e32 v6, 24
	v_mov_b32_e32 v7, 0xff
	;; [unrolled: 1-line block ×3, first 2 shown]
	v_lshrrev_b32_sdwa v6, v6, v5 dst_sel:BYTE_1 dst_unused:UNUSED_PAD src0_sel:DWORD src1_sel:DWORD
	v_and_b32_sdwa v7, v5, v7 dst_sel:DWORD dst_unused:UNUSED_PAD src0_sel:WORD_1 src1_sel:DWORD
	v_lshrrev_b32_sdwa v5, v8, v5 dst_sel:BYTE_1 dst_unused:UNUSED_PAD src0_sel:DWORD src1_sel:DWORD
	v_or_b32_sdwa v6, v7, v6 dst_sel:WORD_1 dst_unused:UNUSED_PAD src0_sel:DWORD src1_sel:DWORD
	v_or_b32_sdwa v41, v5, v6 dst_sel:DWORD dst_unused:UNUSED_PAD src0_sel:WORD_0 src1_sel:DWORD
                                        ; implicit-def: $vgpr5
.LBB460_109:
	s_or_saveexec_b32 s2, s1
	v_mov_b32_e32 v42, 0
	s_xor_b32 exec_lo, exec_lo, s2
	s_cbranch_execz .LBB460_113
; %bb.110:
	v_add_nc_u32_e32 v6, s17, v33
	v_add_nc_u32_e32 v7, s19, v33
	s_mov_b32 s3, 0
	s_mov_b32 s4, exec_lo
	v_mul_lo_u32 v6, v6, s16
	v_mul_lo_u32 v7, v7, s18
	v_sub_nc_u32_e32 v6, v6, v7
	v_cmp_lt_u32_e32 vcc_lo, s20, v6
	v_cmpx_ge_u32_e64 s20, v6
	s_cbranch_execz .LBB460_112
; %bb.111:
	v_add_nc_u32_e32 v6, s22, v33
	v_add_nc_u32_e32 v7, s38, v33
	v_mul_lo_u32 v6, v6, s21
	v_mul_lo_u32 v7, v7, s23
	v_sub_nc_u32_e32 v6, v6, v7
	v_cmp_lt_u32_e64 s1, s39, v6
	s_and_b32 s3, s1, exec_lo
.LBB460_112:
	s_or_b32 exec_lo, exec_lo, s4
	v_mov_b32_e32 v6, 24
	v_mov_b32_e32 v7, 0xff
	v_mov_b32_e32 v8, 8
	v_cndmask_b32_e64 v9, 0, 1, vcc_lo
	v_cndmask_b32_e64 v42, 0, 1, s3
	v_lshrrev_b32_sdwa v6, v6, v5 dst_sel:BYTE_1 dst_unused:UNUSED_PAD src0_sel:DWORD src1_sel:DWORD
	v_and_b32_sdwa v7, v5, v7 dst_sel:DWORD dst_unused:UNUSED_PAD src0_sel:WORD_1 src1_sel:DWORD
	v_lshrrev_b32_sdwa v5, v8, v5 dst_sel:BYTE_1 dst_unused:UNUSED_PAD src0_sel:DWORD src1_sel:DWORD
	v_or_b32_sdwa v6, v7, v6 dst_sel:WORD_1 dst_unused:UNUSED_PAD src0_sel:DWORD src1_sel:DWORD
	v_or_b32_e32 v5, v9, v5
	v_or_b32_sdwa v41, v5, v6 dst_sel:DWORD dst_unused:UNUSED_PAD src0_sel:WORD_0 src1_sel:DWORD
.LBB460_113:
	s_or_b32 exec_lo, exec_lo, s2
.LBB460_114:
	v_and_b32_e32 v65, 0xff, v35
	v_bfe_u32 v66, v41, 8, 8
	v_bfe_u32 v62, v35, 8, 8
	;; [unrolled: 1-line block ×4, first 2 shown]
	v_lshrrev_b32_e32 v48, 24, v41
	v_lshrrev_b32_e32 v47, 24, v35
	v_and_b32_e32 v61, 0xff, v36
	v_and_b32_e32 v59, 0xff, v37
	v_bfe_u32 v60, v36, 8, 8
	v_add3_u32 v5, v62, v65, v64
	v_add3_u32 v6, v63, v66, v48
	v_bfe_u32 v57, v37, 8, 8
	v_bfe_u32 v58, v36, 16, 8
	;; [unrolled: 1-line block ×3, first 2 shown]
	v_lshrrev_b32_e32 v46, 24, v36
	v_add3_u32 v5, v5, v47, v59
	v_add3_u32 v6, v6, v61, v60
	v_lshrrev_b32_e32 v45, 24, v37
	v_and_b32_e32 v56, 0xff, v38
	v_and_b32_e32 v54, 0xff, v40
	v_bfe_u32 v55, v38, 8, 8
	v_add3_u32 v5, v5, v57, v52
	v_add3_u32 v6, v6, v58, v46
	v_bfe_u32 v51, v40, 8, 8
	v_bfe_u32 v53, v38, 16, 8
	;; [unrolled: 1-line block ×3, first 2 shown]
	v_lshrrev_b32_e32 v44, 24, v38
	v_add3_u32 v5, v5, v45, v54
	v_add3_u32 v6, v6, v56, v55
	v_mbcnt_lo_u32_b32 v67, -1, 0
	v_lshrrev_b32_e32 v43, 24, v40
	v_and_b32_e32 v50, 0xff, v39
	v_and_b32_e32 v7, 0xff, v41
	;; [unrolled: 1-line block ×3, first 2 shown]
	v_add3_u32 v5, v5, v51, v49
	v_add3_u32 v6, v6, v53, v44
	v_and_b32_e32 v69, 15, v67
	v_and_b32_e32 v71, 16, v67
	v_lshrrev_b32_e32 v68, 5, v0
	v_add3_u32 v72, v5, v43, v7
	v_add3_u32 v73, v6, v50, v8
	v_cmp_eq_u32_e64 s2, 0, v69
	v_cmp_lt_u32_e64 s1, 1, v69
	v_cmp_lt_u32_e64 s3, 3, v69
	v_or_b32_e32 v70, 31, v0
	s_cmp_lg_u32 s27, 0
	s_mov_b32 s4, -1
	v_cmp_lt_u32_e32 vcc_lo, 7, v69
	s_cbranch_scc0 .LBB460_136
; %bb.115:
	v_mov_b32_dpp v5, v73 row_shr:1 row_mask:0xf bank_mask:0xf
	v_mov_b32_dpp v6, v72 row_shr:1 row_mask:0xf bank_mask:0xf
	s_mov_b32 s4, exec_lo
	v_add_nc_u32_e32 v5, v5, v73
	v_add_nc_u32_e32 v6, v6, v72
	v_cndmask_b32_e64 v5, v5, v73, s2
	v_cndmask_b32_e64 v6, v6, v72, s2
	v_mov_b32_dpp v7, v5 row_shr:2 row_mask:0xf bank_mask:0xf
	v_mov_b32_dpp v8, v6 row_shr:2 row_mask:0xf bank_mask:0xf
	v_add_nc_u32_e32 v7, v5, v7
	v_add_nc_u32_e32 v8, v6, v8
	v_cndmask_b32_e64 v5, v5, v7, s1
	v_cndmask_b32_e64 v6, v6, v8, s1
	v_mov_b32_dpp v7, v5 row_shr:4 row_mask:0xf bank_mask:0xf
	v_mov_b32_dpp v8, v6 row_shr:4 row_mask:0xf bank_mask:0xf
	v_add_nc_u32_e32 v7, v5, v7
	v_add_nc_u32_e32 v8, v6, v8
	v_cndmask_b32_e64 v5, v5, v7, s3
	v_cndmask_b32_e64 v6, v6, v8, s3
	v_mov_b32_dpp v7, v5 row_shr:8 row_mask:0xf bank_mask:0xf
	v_mov_b32_dpp v8, v6 row_shr:8 row_mask:0xf bank_mask:0xf
	v_add_nc_u32_e32 v7, v5, v7
	v_add_nc_u32_e32 v8, v6, v8
	v_cndmask_b32_e32 v5, v5, v7, vcc_lo
	v_cndmask_b32_e32 v6, v6, v8, vcc_lo
	v_cmp_eq_u32_e32 vcc_lo, 0, v71
	ds_swizzle_b32 v7, v5 offset:swizzle(BROADCAST,32,15)
	ds_swizzle_b32 v8, v6 offset:swizzle(BROADCAST,32,15)
	s_waitcnt lgkmcnt(1)
	v_add_nc_u32_e32 v7, v5, v7
	s_waitcnt lgkmcnt(0)
	v_add_nc_u32_e32 v8, v6, v8
	v_cmpx_eq_u32_e64 v0, v70
	s_cbranch_execz .LBB460_117
; %bb.116:
	v_lshlrev_b32_e32 v11, 3, v68
	v_cndmask_b32_e32 v10, v7, v5, vcc_lo
	v_cndmask_b32_e32 v9, v8, v6, vcc_lo
	ds_write_b64 v11, v[9:10]
.LBB460_117:
	s_or_b32 exec_lo, exec_lo, s4
	s_mov_b32 s4, exec_lo
	s_waitcnt lgkmcnt(0)
	s_barrier
	buffer_gl0_inv
	v_cmpx_gt_u32_e32 8, v0
	s_cbranch_execz .LBB460_119
; %bb.118:
	v_lshlrev_b32_e32 v11, 3, v0
	v_and_b32_e32 v26, 7, v67
	ds_read_b64 v[9:10], v11
	v_cmp_eq_u32_e64 s3, 0, v26
	s_waitcnt lgkmcnt(0)
	v_mov_b32_dpp v12, v9 row_shr:1 row_mask:0xf bank_mask:0xf
	v_mov_b32_dpp v25, v10 row_shr:1 row_mask:0xf bank_mask:0xf
	v_add_nc_u32_e32 v12, v12, v9
	v_add_nc_u32_e32 v25, v25, v10
	v_cndmask_b32_e64 v9, v12, v9, s3
	v_cndmask_b32_e64 v10, v25, v10, s3
	v_cmp_lt_u32_e64 s3, 1, v26
	v_mov_b32_dpp v12, v9 row_shr:2 row_mask:0xf bank_mask:0xf
	v_mov_b32_dpp v25, v10 row_shr:2 row_mask:0xf bank_mask:0xf
	v_add_nc_u32_e32 v12, v9, v12
	v_add_nc_u32_e32 v25, v10, v25
	v_cndmask_b32_e64 v9, v9, v12, s3
	v_cndmask_b32_e64 v10, v10, v25, s3
	v_cmp_lt_u32_e64 s3, 3, v26
	v_mov_b32_dpp v12, v9 row_shr:4 row_mask:0xf bank_mask:0xf
	v_mov_b32_dpp v25, v10 row_shr:4 row_mask:0xf bank_mask:0xf
	v_cndmask_b32_e64 v12, 0, v12, s3
	v_cndmask_b32_e64 v25, 0, v25, s3
	v_add_nc_u32_e32 v9, v12, v9
	v_add_nc_u32_e32 v10, v25, v10
	ds_write_b64 v11, v[9:10]
.LBB460_119:
	s_or_b32 exec_lo, exec_lo, s4
	v_cndmask_b32_e32 v5, v7, v5, vcc_lo
	v_cndmask_b32_e32 v6, v8, v6, vcc_lo
	s_mov_b32 s4, exec_lo
	v_cmp_gt_u32_e32 vcc_lo, 32, v0
	s_waitcnt lgkmcnt(0)
	s_barrier
	buffer_gl0_inv
                                        ; implicit-def: $vgpr25
	v_cmpx_lt_u32_e32 31, v0
	s_cbranch_execz .LBB460_121
; %bb.120:
	v_lshl_add_u32 v7, v68, 3, -8
	ds_read_b64 v[25:26], v7
	s_waitcnt lgkmcnt(0)
	v_add_nc_u32_e32 v5, v26, v5
	v_add_nc_u32_e32 v6, v25, v6
.LBB460_121:
	s_or_b32 exec_lo, exec_lo, s4
	v_sub_co_u32 v7, s3, v67, 1
	v_cmp_gt_i32_e64 s4, 0, v7
	v_cndmask_b32_e64 v7, v7, v67, s4
	v_lshlrev_b32_e32 v7, 2, v7
	ds_bpermute_b32 v74, v7, v6
	ds_bpermute_b32 v75, v7, v5
	s_and_saveexec_b32 s4, vcc_lo
	s_cbranch_execz .LBB460_141
; %bb.122:
	v_mov_b32_e32 v8, 0
	ds_read_b64 v[5:6], v8 offset:56
	s_and_saveexec_b32 s6, s3
	s_cbranch_execz .LBB460_124
; %bb.123:
	s_add_i32 s8, s27, 32
	s_mov_b32 s9, 0
	v_mov_b32_e32 v7, 1
	s_lshl_b64 s[8:9], s[8:9], 4
	s_add_u32 s8, s36, s8
	s_addc_u32 s9, s37, s9
	v_mov_b32_e32 v10, s9
	v_mov_b32_e32 v9, s8
	s_waitcnt lgkmcnt(0)
	;;#ASMSTART
	global_store_dwordx4 v[9:10], v[5:8] off	
s_waitcnt vmcnt(0)
	;;#ASMEND
.LBB460_124:
	s_or_b32 exec_lo, exec_lo, s6
	v_xad_u32 v27, v67, -1, s27
	s_mov_b32 s7, 0
	v_add_nc_u32_e32 v7, 32, v27
	v_lshlrev_b64 v[9:10], 4, v[7:8]
	v_add_co_u32 v28, vcc_lo, s36, v9
	v_add_co_ci_u32_e64 v29, null, s37, v10, vcc_lo
	;;#ASMSTART
	global_load_dwordx4 v[9:12], v[28:29] off glc dlc	
s_waitcnt vmcnt(0)
	;;#ASMEND
	v_cmp_eq_u16_sdwa s8, v11, v8 src0_sel:BYTE_0 src1_sel:DWORD
	s_and_saveexec_b32 s6, s8
	s_cbranch_execz .LBB460_128
; %bb.125:
	v_mov_b32_e32 v7, 0
.LBB460_126:                            ; =>This Inner Loop Header: Depth=1
	;;#ASMSTART
	global_load_dwordx4 v[9:12], v[28:29] off glc dlc	
s_waitcnt vmcnt(0)
	;;#ASMEND
	v_cmp_ne_u16_sdwa s8, v11, v7 src0_sel:BYTE_0 src1_sel:DWORD
	s_or_b32 s7, s8, s7
	s_andn2_b32 exec_lo, exec_lo, s7
	s_cbranch_execnz .LBB460_126
; %bb.127:
	s_or_b32 exec_lo, exec_lo, s7
.LBB460_128:
	s_or_b32 exec_lo, exec_lo, s6
	v_cmp_ne_u32_e32 vcc_lo, 31, v67
	v_mov_b32_e32 v77, 2
	v_lshlrev_b32_e64 v78, v67, -1
	v_add_nc_u32_e32 v80, 2, v67
	v_add_nc_u32_e32 v82, 4, v67
	v_add_co_ci_u32_e64 v7, null, 0, v67, vcc_lo
	v_cmp_eq_u16_sdwa s6, v11, v77 src0_sel:BYTE_0 src1_sel:DWORD
	v_cmp_gt_u32_e32 vcc_lo, 30, v67
	v_add_nc_u32_e32 v84, 8, v67
	v_lshlrev_b32_e32 v76, 2, v7
	v_lshl_or_b32 v85, v67, 2, 64
	v_and_b32_e32 v12, s6, v78
	v_cndmask_b32_e64 v28, 0, 2, vcc_lo
	v_add_nc_u32_e32 v86, 16, v67
	ds_bpermute_b32 v7, v76, v10
	ds_bpermute_b32 v8, v76, v9
	v_or_b32_e32 v12, 0x80000000, v12
	v_add_lshl_u32 v79, v28, v67, 2
	v_ffbl_b32_e32 v12, v12
	v_cmp_lt_u32_e32 vcc_lo, v67, v12
	s_waitcnt lgkmcnt(1)
	v_add_nc_u32_e32 v7, v7, v10
	s_waitcnt lgkmcnt(0)
	v_add_nc_u32_e32 v8, v8, v9
	v_cndmask_b32_e32 v7, v10, v7, vcc_lo
	v_cndmask_b32_e32 v8, v9, v8, vcc_lo
	v_cmp_gt_u32_e32 vcc_lo, 28, v67
	ds_bpermute_b32 v9, v79, v7
	ds_bpermute_b32 v10, v79, v8
	v_cndmask_b32_e64 v28, 0, 4, vcc_lo
	v_cmp_gt_u32_e32 vcc_lo, v80, v12
	v_add_lshl_u32 v81, v28, v67, 2
	s_waitcnt lgkmcnt(1)
	v_add_nc_u32_e32 v9, v7, v9
	s_waitcnt lgkmcnt(0)
	v_add_nc_u32_e32 v10, v8, v10
	v_cndmask_b32_e32 v7, v9, v7, vcc_lo
	v_cndmask_b32_e32 v8, v10, v8, vcc_lo
	v_cmp_gt_u32_e32 vcc_lo, 24, v67
	ds_bpermute_b32 v9, v81, v7
	ds_bpermute_b32 v10, v81, v8
	v_cndmask_b32_e64 v28, 0, 8, vcc_lo
	v_cmp_gt_u32_e32 vcc_lo, v82, v12
	v_add_lshl_u32 v83, v28, v67, 2
	v_mov_b32_e32 v28, 0
	s_waitcnt lgkmcnt(1)
	v_add_nc_u32_e32 v9, v7, v9
	s_waitcnt lgkmcnt(0)
	v_add_nc_u32_e32 v10, v8, v10
	v_cndmask_b32_e32 v7, v9, v7, vcc_lo
	v_cndmask_b32_e32 v8, v10, v8, vcc_lo
	v_cmp_gt_u32_e32 vcc_lo, v84, v12
	ds_bpermute_b32 v9, v83, v7
	ds_bpermute_b32 v10, v83, v8
	s_waitcnt lgkmcnt(1)
	v_add_nc_u32_e32 v9, v7, v9
	s_waitcnt lgkmcnt(0)
	v_add_nc_u32_e32 v10, v8, v10
	v_cndmask_b32_e32 v7, v9, v7, vcc_lo
	v_cndmask_b32_e32 v8, v10, v8, vcc_lo
	v_cmp_le_u32_e32 vcc_lo, v86, v12
	ds_bpermute_b32 v10, v85, v7
	ds_bpermute_b32 v9, v85, v8
	s_waitcnt lgkmcnt(1)
	v_cndmask_b32_e32 v10, 0, v10, vcc_lo
	s_waitcnt lgkmcnt(0)
	v_cndmask_b32_e32 v9, 0, v9, vcc_lo
	v_add_nc_u32_e32 v10, v10, v7
	v_add_nc_u32_e32 v9, v9, v8
	s_branch .LBB460_132
.LBB460_129:                            ;   in Loop: Header=BB460_132 Depth=1
	s_or_b32 exec_lo, exec_lo, s7
.LBB460_130:                            ;   in Loop: Header=BB460_132 Depth=1
	s_or_b32 exec_lo, exec_lo, s6
	ds_bpermute_b32 v12, v76, v9
	ds_bpermute_b32 v29, v76, v10
	v_cmp_eq_u16_sdwa s6, v11, v77 src0_sel:BYTE_0 src1_sel:DWORD
	v_subrev_nc_u32_e32 v27, 32, v27
	v_and_or_b32 v30, s6, v78, 0x80000000
	s_mov_b32 s6, 0
	v_ffbl_b32_e32 v30, v30
	v_cmp_lt_u32_e32 vcc_lo, v67, v30
	s_waitcnt lgkmcnt(1)
	v_add_nc_u32_e32 v12, v12, v9
	s_waitcnt lgkmcnt(0)
	v_add_nc_u32_e32 v29, v29, v10
	v_cndmask_b32_e32 v9, v9, v12, vcc_lo
	v_cndmask_b32_e32 v10, v10, v29, vcc_lo
	v_cmp_gt_u32_e32 vcc_lo, v80, v30
	ds_bpermute_b32 v12, v79, v9
	ds_bpermute_b32 v29, v79, v10
	s_waitcnt lgkmcnt(1)
	v_add_nc_u32_e32 v12, v9, v12
	s_waitcnt lgkmcnt(0)
	v_add_nc_u32_e32 v29, v10, v29
	v_cndmask_b32_e32 v9, v12, v9, vcc_lo
	v_cndmask_b32_e32 v10, v29, v10, vcc_lo
	v_cmp_gt_u32_e32 vcc_lo, v82, v30
	ds_bpermute_b32 v12, v81, v9
	ds_bpermute_b32 v29, v81, v10
	;; [unrolled: 9-line block ×3, first 2 shown]
	s_waitcnt lgkmcnt(1)
	v_add_nc_u32_e32 v12, v9, v12
	s_waitcnt lgkmcnt(0)
	v_add_nc_u32_e32 v29, v10, v29
	v_cndmask_b32_e32 v9, v12, v9, vcc_lo
	v_cndmask_b32_e32 v10, v29, v10, vcc_lo
	v_cmp_le_u32_e32 vcc_lo, v86, v30
	ds_bpermute_b32 v12, v85, v9
	ds_bpermute_b32 v29, v85, v10
	s_waitcnt lgkmcnt(1)
	v_cndmask_b32_e32 v12, 0, v12, vcc_lo
	s_waitcnt lgkmcnt(0)
	v_cndmask_b32_e32 v29, 0, v29, vcc_lo
	v_add3_u32 v9, v9, v7, v12
	v_add3_u32 v10, v10, v8, v29
.LBB460_131:                            ;   in Loop: Header=BB460_132 Depth=1
	s_and_b32 vcc_lo, exec_lo, s6
	s_cbranch_vccnz .LBB460_137
.LBB460_132:                            ; =>This Loop Header: Depth=1
                                        ;     Child Loop BB460_135 Depth 2
	v_cmp_ne_u16_sdwa s6, v11, v77 src0_sel:BYTE_0 src1_sel:DWORD
	v_mov_b32_e32 v7, v9
	v_mov_b32_e32 v8, v10
                                        ; implicit-def: $vgpr11
                                        ; implicit-def: $vgpr9_vgpr10
	s_cmp_lg_u32 s6, exec_lo
	s_mov_b32 s6, -1
	s_cbranch_scc1 .LBB460_131
; %bb.133:                              ;   in Loop: Header=BB460_132 Depth=1
	v_lshlrev_b64 v[9:10], 4, v[27:28]
	v_add_co_u32 v29, vcc_lo, s36, v9
	v_add_co_ci_u32_e64 v30, null, s37, v10, vcc_lo
	;;#ASMSTART
	global_load_dwordx4 v[9:12], v[29:30] off glc dlc	
s_waitcnt vmcnt(0)
	;;#ASMEND
	v_cmp_eq_u16_sdwa s7, v11, v28 src0_sel:BYTE_0 src1_sel:DWORD
	s_and_saveexec_b32 s6, s7
	s_cbranch_execz .LBB460_130
; %bb.134:                              ;   in Loop: Header=BB460_132 Depth=1
	s_mov_b32 s7, 0
.LBB460_135:                            ;   Parent Loop BB460_132 Depth=1
                                        ; =>  This Inner Loop Header: Depth=2
	;;#ASMSTART
	global_load_dwordx4 v[9:12], v[29:30] off glc dlc	
s_waitcnt vmcnt(0)
	;;#ASMEND
	v_cmp_ne_u16_sdwa s8, v11, v28 src0_sel:BYTE_0 src1_sel:DWORD
	s_or_b32 s7, s8, s7
	s_andn2_b32 exec_lo, exec_lo, s7
	s_cbranch_execnz .LBB460_135
	s_branch .LBB460_129
.LBB460_136:
                                        ; implicit-def: $vgpr25
                                        ; implicit-def: $vgpr7
                                        ; implicit-def: $vgpr26
	s_and_b32 vcc_lo, exec_lo, s4
	s_cbranch_vccnz .LBB460_142
	s_branch .LBB460_151
.LBB460_137:
	s_and_saveexec_b32 s6, s3
	s_cbranch_execnz .LBB460_379
; %bb.138:
	s_or_b32 exec_lo, exec_lo, s6
	s_and_saveexec_b32 s6, s3
	s_cbranch_execnz .LBB460_380
.LBB460_139:
	s_or_b32 exec_lo, exec_lo, s6
	s_and_b32 exec_lo, exec_lo, s0
.LBB460_140:
	v_mov_b32_e32 v5, 0
	ds_write_b64 v5, v[7:8] offset:56
.LBB460_141:
	s_or_b32 exec_lo, exec_lo, s4
	v_mov_b32_e32 v5, 0
	s_waitcnt lgkmcnt(0)
	s_barrier
	buffer_gl0_inv
	v_cndmask_b32_e64 v11, v75, v26, s3
	ds_read_b64 v[9:10], v5 offset:56
	s_waitcnt lgkmcnt(0)
	s_barrier
	buffer_gl0_inv
	ds_read_b128 v[5:8], v5 offset:13312
	v_cndmask_b32_e64 v12, v74, v25, s3
	v_add_nc_u32_e32 v11, v10, v11
	v_add_nc_u32_e32 v12, v9, v12
	v_cndmask_b32_e64 v25, v11, v10, s0
	v_cndmask_b32_e64 v26, v12, v9, s0
	s_branch .LBB460_151
.LBB460_142:
	s_waitcnt lgkmcnt(0)
	v_mov_b32_dpp v5, v72 row_shr:1 row_mask:0xf bank_mask:0xf
	v_mov_b32_dpp v6, v73 row_shr:1 row_mask:0xf bank_mask:0xf
	v_cmp_lt_u32_e32 vcc_lo, 3, v69
	v_add_nc_u32_e32 v5, v5, v72
	v_add_nc_u32_e32 v6, v6, v73
	v_cndmask_b32_e64 v5, v5, v72, s2
	v_cndmask_b32_e64 v6, v6, v73, s2
	s_mov_b32 s2, exec_lo
	v_mov_b32_dpp v7, v5 row_shr:2 row_mask:0xf bank_mask:0xf
	v_mov_b32_dpp v8, v6 row_shr:2 row_mask:0xf bank_mask:0xf
	v_add_nc_u32_e32 v7, v5, v7
	v_add_nc_u32_e32 v8, v6, v8
	v_cndmask_b32_e64 v5, v5, v7, s1
	v_cndmask_b32_e64 v6, v6, v8, s1
	v_mov_b32_dpp v7, v5 row_shr:4 row_mask:0xf bank_mask:0xf
	v_mov_b32_dpp v8, v6 row_shr:4 row_mask:0xf bank_mask:0xf
	v_add_nc_u32_e32 v7, v5, v7
	v_add_nc_u32_e32 v8, v6, v8
	v_cndmask_b32_e32 v7, v5, v7, vcc_lo
	v_cndmask_b32_e32 v6, v6, v8, vcc_lo
	v_cmp_lt_u32_e32 vcc_lo, 7, v69
	v_mov_b32_dpp v5, v7 row_shr:8 row_mask:0xf bank_mask:0xf
	v_mov_b32_dpp v8, v6 row_shr:8 row_mask:0xf bank_mask:0xf
	v_add_nc_u32_e32 v9, v7, v5
	v_add_nc_u32_e32 v5, v6, v8
	v_cndmask_b32_e32 v5, v6, v5, vcc_lo
	v_cndmask_b32_e32 v6, v7, v9, vcc_lo
	v_cmp_eq_u32_e32 vcc_lo, 0, v71
	ds_swizzle_b32 v7, v5 offset:swizzle(BROADCAST,32,15)
	ds_swizzle_b32 v8, v6 offset:swizzle(BROADCAST,32,15)
	s_waitcnt lgkmcnt(1)
	v_add_nc_u32_e32 v7, v5, v7
	s_waitcnt lgkmcnt(0)
	v_add_nc_u32_e32 v8, v6, v8
	v_cmpx_eq_u32_e64 v0, v70
	s_cbranch_execz .LBB460_144
; %bb.143:
	v_cndmask_b32_e32 v9, v8, v6, vcc_lo
	v_cndmask_b32_e32 v10, v7, v5, vcc_lo
	v_lshlrev_b32_e32 v11, 3, v68
	ds_write_b64 v11, v[9:10]
.LBB460_144:
	s_or_b32 exec_lo, exec_lo, s2
	s_mov_b32 s2, exec_lo
	s_waitcnt lgkmcnt(0)
	s_barrier
	buffer_gl0_inv
	v_cmpx_gt_u32_e32 8, v0
	s_cbranch_execz .LBB460_146
; %bb.145:
	v_lshlrev_b32_e32 v11, 3, v0
	v_and_b32_e32 v26, 7, v67
	ds_read_b64 v[9:10], v11
	v_cmp_eq_u32_e64 s1, 0, v26
	s_waitcnt lgkmcnt(0)
	v_mov_b32_dpp v12, v9 row_shr:1 row_mask:0xf bank_mask:0xf
	v_mov_b32_dpp v25, v10 row_shr:1 row_mask:0xf bank_mask:0xf
	v_add_nc_u32_e32 v12, v12, v9
	v_add_nc_u32_e32 v25, v25, v10
	v_cndmask_b32_e64 v9, v12, v9, s1
	v_cndmask_b32_e64 v10, v25, v10, s1
	v_cmp_lt_u32_e64 s1, 1, v26
	v_mov_b32_dpp v12, v9 row_shr:2 row_mask:0xf bank_mask:0xf
	v_mov_b32_dpp v25, v10 row_shr:2 row_mask:0xf bank_mask:0xf
	v_add_nc_u32_e32 v12, v9, v12
	v_add_nc_u32_e32 v25, v10, v25
	v_cndmask_b32_e64 v9, v9, v12, s1
	v_cndmask_b32_e64 v10, v10, v25, s1
	v_cmp_lt_u32_e64 s1, 3, v26
	v_mov_b32_dpp v12, v9 row_shr:4 row_mask:0xf bank_mask:0xf
	v_mov_b32_dpp v25, v10 row_shr:4 row_mask:0xf bank_mask:0xf
	v_cndmask_b32_e64 v12, 0, v12, s1
	v_cndmask_b32_e64 v25, 0, v25, s1
	v_add_nc_u32_e32 v9, v12, v9
	v_add_nc_u32_e32 v10, v25, v10
	ds_write_b64 v11, v[9:10]
.LBB460_146:
	s_or_b32 exec_lo, exec_lo, s2
	v_mov_b32_e32 v11, 0
	v_mov_b32_e32 v9, 0
	;; [unrolled: 1-line block ×3, first 2 shown]
	s_mov_b32 s2, exec_lo
	s_waitcnt lgkmcnt(0)
	s_barrier
	buffer_gl0_inv
	v_cmpx_lt_u32_e32 31, v0
; %bb.147:
	v_lshl_add_u32 v9, v68, 3, -8
	ds_read_b64 v[9:10], v9
; %bb.148:
	s_or_b32 exec_lo, exec_lo, s2
	v_sub_co_u32 v12, s1, v67, 1
	v_cndmask_b32_e32 v6, v8, v6, vcc_lo
	v_cndmask_b32_e32 v5, v7, v5, vcc_lo
	v_cmp_gt_i32_e64 s2, 0, v12
	s_waitcnt lgkmcnt(0)
	v_add_nc_u32_e32 v6, v9, v6
	v_add_nc_u32_e32 v5, v10, v5
	v_cndmask_b32_e64 v8, v12, v67, s2
	v_lshlrev_b32_e32 v7, 2, v8
	ds_bpermute_b32 v12, v7, v6
	ds_bpermute_b32 v25, v7, v5
	ds_read_b64 v[5:6], v11 offset:56
	s_and_saveexec_b32 s2, s0
	s_cbranch_execz .LBB460_150
; %bb.149:
	s_add_u32 s6, s36, 0x200
	s_addc_u32 s7, s37, 0
	v_mov_b32_e32 v7, 2
	v_mov_b32_e32 v27, s7
	v_mov_b32_e32 v8, 0
	v_mov_b32_e32 v26, s6
	s_waitcnt lgkmcnt(0)
	;;#ASMSTART
	global_store_dwordx4 v[26:27], v[5:8] off	
s_waitcnt vmcnt(0)
	;;#ASMEND
.LBB460_150:
	s_or_b32 exec_lo, exec_lo, s2
	s_waitcnt lgkmcnt(1)
	v_cndmask_b32_e64 v7, v25, v10, s1
	v_cndmask_b32_e64 v9, v12, v9, s1
	v_mov_b32_e32 v8, 0
	s_waitcnt lgkmcnt(0)
	s_barrier
	v_cndmask_b32_e64 v25, v7, 0, s0
	v_cndmask_b32_e64 v26, v9, 0, s0
	v_mov_b32_e32 v7, 0
	buffer_gl0_inv
.LBB460_151:
	v_add_nc_u32_e32 v30, v25, v66
	v_add_nc_u32_e32 v29, v26, v65
	s_waitcnt lgkmcnt(0)
	v_sub_nc_u32_e32 v25, v25, v8
	v_lshrrev_b32_e32 v28, 8, v41
	v_lshlrev_b32_e32 v69, 1, v5
	v_add_nc_u32_e32 v63, v30, v63
	v_sub_nc_u32_e32 v30, v30, v8
	v_add_nc_u32_e32 v62, v29, v62
	v_sub_nc_u32_e32 v26, v26, v7
	;; [unrolled: 2-line block ×3, first 2 shown]
	v_add_nc_u32_e32 v30, v30, v5
	v_and_b32_e32 v28, 1, v28
	v_mov_b32_e32 v71, 1
	v_add3_u32 v34, v69, v6, v34
	v_add_nc_u32_e32 v75, v26, v25
	v_add_nc_u32_e32 v76, v30, v29
	v_add_co_u32 v1, vcc_lo, v1, v7
	v_add_co_ci_u32_e64 v2, null, 0, v2, vcc_lo
	v_sub_co_u32 v67, vcc_lo, v3, v5
	v_subrev_co_ci_u32_e64 v68, null, 0, v4, vcc_lo
	v_and_b32_sdwa v74, v71, v41 dst_sel:DWORD dst_unused:UNUSED_PAD src0_sel:DWORD src1_sel:WORD_1
	v_sub_nc_u32_e32 v76, v34, v76
	v_sub_nc_u32_e32 v75, v34, v75
	v_cmp_eq_u32_e32 vcc_lo, 1, v28
	v_lshrrev_b32_e32 v27, 8, v35
	v_add_nc_u32_e32 v65, v63, v48
	v_and_b32_e32 v70, 1, v35
	v_sub_nc_u32_e32 v63, v63, v8
	v_add_nc_u32_e32 v76, 1, v76
	v_cndmask_b32_e32 v25, v75, v25, vcc_lo
	v_cmp_eq_u32_e32 vcc_lo, 1, v74
	v_add_nc_u32_e32 v64, v62, v64
	v_and_b32_e32 v27, 1, v27
	v_sub_nc_u32_e32 v62, v62, v7
	v_add_nc_u32_e32 v63, v63, v5
	v_cndmask_b32_e32 v30, v76, v30, vcc_lo
	v_cmp_eq_u32_e32 vcc_lo, 1, v70
	v_and_b32_e32 v48, 1, v48
	v_add_nc_u32_e32 v61, v65, v61
	v_add_nc_u32_e32 v74, v63, v62
	v_and_b32_sdwa v35, v71, v35 dst_sel:DWORD dst_unused:UNUSED_PAD src0_sel:DWORD src1_sel:WORD_1
	v_cndmask_b32_e32 v70, v25, v26, vcc_lo
	v_cmp_eq_u32_e32 vcc_lo, 1, v27
	v_sub_nc_u32_e32 v65, v65, v8
	v_add_nc_u32_e32 v66, v64, v47
	v_add_nc_u32_e32 v60, v61, v60
	v_sub_nc_u32_e32 v61, v61, v8
	v_cndmask_b32_e32 v27, v30, v29, vcc_lo
	v_sub_nc_u32_e32 v29, v34, v74
	v_add_co_u32 v25, vcc_lo, v67, v8
	v_add_co_ci_u32_e64 v26, null, 0, v68, vcc_lo
	v_add_nc_u32_e32 v29, 2, v29
	v_cmp_eq_u32_e32 vcc_lo, 1, v48
	v_sub_nc_u32_e32 v48, v64, v7
	v_lshlrev_b32_e32 v30, 2, v70
	v_add_nc_u32_e32 v61, v61, v5
	v_lshlrev_b32_e32 v27, 2, v27
	v_cndmask_b32_e32 v29, v29, v63, vcc_lo
	v_add_nc_u32_e32 v63, v65, v5
	v_cmp_eq_u32_e32 vcc_lo, 1, v35
	v_sub_nc_u32_e32 v35, v66, v7
	v_lshrrev_b32_e32 v12, 8, v36
	ds_write_b32 v30, v23
	ds_write_b32 v27, v24
	v_and_b32_e32 v30, 1, v36
	v_cndmask_b32_e32 v29, v29, v62, vcc_lo
	v_add_nc_u32_e32 v62, v48, v63
	v_add_nc_u32_e32 v24, v35, v61
	;; [unrolled: 1-line block ×3, first 2 shown]
	v_and_b32_e32 v12, 1, v12
	v_lshlrev_b32_e32 v23, 2, v29
	v_sub_nc_u32_e32 v27, v34, v62
	v_and_b32_e32 v29, 1, v47
	v_sub_nc_u32_e32 v47, v60, v8
	v_sub_nc_u32_e32 v24, v34, v24
	v_cmp_eq_u32_e32 vcc_lo, 1, v30
	v_add_nc_u32_e32 v27, 3, v27
	v_add_nc_u32_e32 v57, v59, v57
	v_sub_nc_u32_e32 v59, v59, v7
	v_add_nc_u32_e32 v47, v47, v5
	v_add_nc_u32_e32 v24, 4, v24
	v_cndmask_b32_e32 v27, v27, v63, vcc_lo
	v_cmp_eq_u32_e32 vcc_lo, 1, v12
	v_add_nc_u32_e32 v58, v60, v58
	v_and_b32_e32 v30, 1, v37
	v_add_nc_u32_e32 v60, v59, v47
	v_lshrrev_b32_e32 v11, 8, v37
	v_cndmask_b32_e32 v12, v24, v61, vcc_lo
	v_cmp_eq_u32_e32 vcc_lo, 1, v29
	ds_write_b32 v23, v21
	v_and_b32_sdwa v23, v71, v36 dst_sel:DWORD dst_unused:UNUSED_PAD src0_sel:DWORD src1_sel:WORD_1
	v_add_nc_u32_e32 v72, v58, v46
	v_and_b32_e32 v11, 1, v11
	v_cndmask_b32_e32 v24, v27, v48, vcc_lo
	v_sub_nc_u32_e32 v27, v34, v60
	v_cmp_eq_u32_e32 vcc_lo, 1, v30
	v_add_nc_u32_e32 v52, v57, v52
	v_sub_nc_u32_e32 v29, v72, v8
	v_lshlrev_b32_e32 v21, 2, v24
	v_add_nc_u32_e32 v24, 5, v27
	v_cndmask_b32_e32 v12, v12, v35, vcc_lo
	v_sub_nc_u32_e32 v27, v58, v8
	v_cmp_eq_u32_e32 vcc_lo, 1, v23
	v_add_nc_u32_e32 v29, v29, v5
	v_add_nc_u32_e32 v56, v72, v56
	v_lshlrev_b32_e32 v12, 2, v12
	v_add_nc_u32_e32 v27, v27, v5
	v_cndmask_b32_e32 v23, v24, v47, vcc_lo
	v_sub_nc_u32_e32 v24, v57, v7
	v_cmp_eq_u32_e32 vcc_lo, 1, v11
	ds_write_b32 v21, v22
	ds_write_b32 v12, v19
	v_and_b32_e32 v22, 1, v46
	v_and_b32_e32 v35, 1, v38
	v_add_nc_u32_e32 v30, v24, v27
	v_cndmask_b32_e32 v11, v23, v59, vcc_lo
	v_sub_nc_u32_e32 v23, v52, v7
	v_cmp_eq_u32_e32 vcc_lo, 1, v22
	v_add_nc_u32_e32 v73, v52, v45
	v_sub_nc_u32_e32 v19, v34, v30
	v_sub_nc_u32_e32 v30, v56, v8
	v_add_nc_u32_e32 v12, v23, v29
	v_and_b32_sdwa v21, v71, v37 dst_sel:DWORD dst_unused:UNUSED_PAD src0_sel:DWORD src1_sel:WORD_1
	v_sub_nc_u32_e32 v36, v73, v7
	v_add_nc_u32_e32 v19, 6, v19
	v_add_nc_u32_e32 v30, v30, v5
	v_sub_nc_u32_e32 v12, v34, v12
	v_and_b32_e32 v22, 1, v45
	v_lshrrev_b32_e32 v10, 8, v38
	v_cndmask_b32_e32 v19, v19, v27, vcc_lo
	v_cmp_eq_u32_e32 vcc_lo, 1, v35
	v_add_nc_u32_e32 v12, 7, v12
	v_add_nc_u32_e32 v55, v56, v55
	v_add_nc_u32_e32 v27, v36, v30
	v_add_nc_u32_e32 v54, v73, v54
	v_and_b32_e32 v10, 1, v10
	v_cndmask_b32_e32 v12, v12, v29, vcc_lo
	v_cmp_eq_u32_e32 vcc_lo, 1, v21
	v_sub_nc_u32_e32 v21, v34, v27
	v_add_nc_u32_e32 v53, v55, v53
	v_lshlrev_b32_e32 v11, 2, v11
	v_add_nc_u32_e32 v51, v54, v51
	v_cndmask_b32_e32 v19, v19, v24, vcc_lo
	v_cmp_eq_u32_e32 vcc_lo, 1, v22
	v_sub_nc_u32_e32 v22, v55, v8
	v_add_nc_u32_e32 v21, 8, v21
	v_sub_nc_u32_e32 v24, v54, v7
	v_lshlrev_b32_e32 v19, 2, v19
	v_cndmask_b32_e32 v12, v12, v23, vcc_lo
	v_add_nc_u32_e32 v22, v22, v5
	v_cmp_eq_u32_e32 vcc_lo, 1, v10
	v_add_nc_u32_e32 v77, v53, v44
	v_and_b32_e32 v23, 1, v40
	v_lshlrev_b32_e32 v12, 2, v12
	ds_write_b32 v11, v20
	ds_write_b32 v19, v17
	;; [unrolled: 1-line block ×3, first 2 shown]
	v_cndmask_b32_e32 v10, v21, v30, vcc_lo
	v_add_nc_u32_e32 v21, v24, v22
	v_sub_nc_u32_e32 v12, v53, v8
	v_lshrrev_b32_e32 v9, 8, v40
	v_add_nc_u32_e32 v49, v51, v49
	v_cmp_eq_u32_e32 vcc_lo, 1, v23
	v_sub_nc_u32_e32 v11, v34, v21
	v_and_b32_sdwa v17, v71, v38 dst_sel:DWORD dst_unused:UNUSED_PAD src0_sel:DWORD src1_sel:WORD_1
	v_sub_nc_u32_e32 v18, v51, v7
	v_sub_nc_u32_e32 v19, v77, v8
	v_add_nc_u32_e32 v12, v12, v5
	v_cndmask_b32_e32 v10, v10, v36, vcc_lo
	v_and_b32_e32 v9, 1, v9
	v_add_nc_u32_e32 v11, 9, v11
	v_cmp_eq_u32_e32 vcc_lo, 1, v17
	v_sub_nc_u32_e32 v17, v49, v7
	v_add_nc_u32_e32 v19, v19, v5
	v_add_nc_u32_e32 v20, v18, v12
	;; [unrolled: 1-line block ×3, first 2 shown]
	v_cndmask_b32_e32 v11, v11, v22, vcc_lo
	v_cmp_eq_u32_e32 vcc_lo, 1, v9
	v_add_nc_u32_e32 v21, v17, v19
	v_sub_nc_u32_e32 v20, v34, v20
	v_and_b32_e32 v23, 1, v44
	v_add_nc_u32_e32 v50, v49, v43
	v_cndmask_b32_e32 v9, v11, v24, vcc_lo
	v_sub_nc_u32_e32 v11, v28, v8
	v_sub_nc_u32_e32 v21, v34, v21
	v_add_nc_u32_e32 v20, 10, v20
	v_and_b32_e32 v24, 1, v39
	v_cmp_eq_u32_e32 vcc_lo, 1, v23
	v_and_b32_sdwa v22, v71, v40 dst_sel:DWORD dst_unused:UNUSED_PAD src0_sel:DWORD src1_sel:WORD_1
	v_sub_nc_u32_e32 v7, v50, v7
	v_add_nc_u32_e32 v11, v11, v5
	v_add_nc_u32_e32 v21, 11, v21
	v_cndmask_b32_e32 v12, v20, v12, vcc_lo
	v_cmp_eq_u32_e32 vcc_lo, 1, v24
	v_and_b32_e32 v20, 1, v43
	v_add_nc_u32_e32 v27, v7, v11
	v_lshlrev_b32_e32 v10, 2, v10
	v_lshlrev_b32_e32 v9, 2, v9
	v_cndmask_b32_e32 v19, v21, v19, vcc_lo
	v_cmp_eq_u32_e32 vcc_lo, 1, v22
	v_sub_nc_u32_e32 v23, v34, v27
	v_cndmask_b32_e32 v12, v12, v18, vcc_lo
	v_and_b32_e32 v18, 1, v42
	v_cmp_eq_u32_e32 vcc_lo, 1, v20
	v_add_nc_u32_e32 v21, 12, v23
	v_lshlrev_b32_e32 v12, 2, v12
	v_cndmask_b32_e32 v17, v19, v17, vcc_lo
	v_and_b32_e32 v19, 1, v41
	v_cmp_eq_u32_e32 vcc_lo, 1, v18
	v_lshlrev_b32_e32 v17, 2, v17
	ds_write_b32 v10, v15
	ds_write_b32 v9, v16
	;; [unrolled: 1-line block ×4, first 2 shown]
	v_cndmask_b32_e32 v11, v21, v11, vcc_lo
	v_cmp_eq_u32_e32 vcc_lo, 1, v19
	v_add_co_u32 v9, s1, v6, v69
	v_add_co_ci_u32_e64 v10, null, 0, 0, s1
	v_cndmask_b32_e32 v7, v11, v7, vcc_lo
	v_add_co_u32 v11, s1, s34, v31
	v_add_co_ci_u32_e64 v12, null, s35, 0, s1
	v_lshlrev_b32_e32 v7, 2, v7
	v_add_nc_u32_e32 v14, v5, v6
	ds_write_b32 v7, v33
	v_add_co_u32 v7, vcc_lo, v9, v25
	v_add_co_ci_u32_e64 v9, null, v10, v26, vcc_lo
	s_waitcnt lgkmcnt(0)
	v_add_co_u32 v7, vcc_lo, v7, v1
	v_add_co_ci_u32_e64 v13, null, v9, v2, vcc_lo
	v_lshlrev_b64 v[9:10], 2, v[25:26]
	v_sub_co_u32 v7, vcc_lo, v11, v7
	v_sub_co_ci_u32_e64 v13, null, v12, v13, vcc_lo
	v_lshlrev_b64 v[11:12], 2, v[1:2]
	v_add_co_u32 v9, vcc_lo, s30, v9
	v_add_co_ci_u32_e64 v10, null, s31, v10, vcc_lo
	v_cmp_ne_u32_e32 vcc_lo, 1, v32
	v_add_co_u32 v11, s1, s28, v11
	v_add_co_ci_u32_e64 v12, null, s29, v12, s1
	s_mov_b32 s1, -1
	s_barrier
	buffer_gl0_inv
	s_cbranch_vccz .LBB460_155
; %bb.152:
	s_and_b32 vcc_lo, exec_lo, s1
	s_cbranch_vccnz .LBB460_260
.LBB460_153:
	s_and_b32 s0, s0, s26
	s_and_saveexec_b32 s1, s0
	s_cbranch_execnz .LBB460_378
.LBB460_154:
	s_endpgm
.LBB460_155:
	s_mov_b32 s1, exec_lo
	v_cmpx_ge_u32_e64 v0, v5
	s_xor_b32 s1, exec_lo, s1
	s_cbranch_execz .LBB460_161
; %bb.156:
	s_mov_b32 s2, exec_lo
	v_cmpx_ge_u32_e64 v0, v14
	s_xor_b32 s2, exec_lo, s2
	s_cbranch_execz .LBB460_158
; %bb.157:
	v_lshlrev_b32_e32 v15, 2, v0
	ds_read_b32 v17, v15
	v_add_co_u32 v15, vcc_lo, v7, v0
	v_add_co_ci_u32_e64 v16, null, 0, v13, vcc_lo
	v_lshlrev_b64 v[15:16], 2, v[15:16]
	v_sub_co_u32 v15, vcc_lo, s14, v15
	v_sub_co_ci_u32_e64 v16, null, s15, v16, vcc_lo
	s_waitcnt lgkmcnt(0)
	global_store_dword v[15:16], v17, off offset:-4
.LBB460_158:
	s_andn2_saveexec_b32 s2, s2
	s_cbranch_execz .LBB460_160
; %bb.159:
	v_lshlrev_b32_e32 v15, 2, v0
	v_readfirstlane_b32 s6, v9
	v_readfirstlane_b32 s7, v10
	ds_read_b32 v16, v15
	s_waitcnt lgkmcnt(0)
	global_store_dword v15, v16, s[6:7]
.LBB460_160:
	s_or_b32 exec_lo, exec_lo, s2
.LBB460_161:
	s_andn2_saveexec_b32 s1, s1
	s_cbranch_execz .LBB460_163
; %bb.162:
	v_lshlrev_b32_e32 v15, 2, v0
	v_readfirstlane_b32 s2, v11
	v_readfirstlane_b32 s3, v12
	ds_read_b32 v16, v15
	s_waitcnt lgkmcnt(0)
	global_store_dword v15, v16, s[2:3]
.LBB460_163:
	s_or_b32 exec_lo, exec_lo, s1
	v_or_b32_e32 v15, 0x100, v0
	s_mov_b32 s1, exec_lo
	v_cmpx_ge_u32_e64 v15, v5
	s_xor_b32 s1, exec_lo, s1
	s_cbranch_execz .LBB460_169
; %bb.164:
	s_mov_b32 s2, exec_lo
	v_cmpx_ge_u32_e64 v15, v14
	s_xor_b32 s2, exec_lo, s2
	s_cbranch_execz .LBB460_166
; %bb.165:
	v_lshlrev_b32_e32 v15, 2, v0
	ds_read_b32 v17, v15 offset:1024
	v_add_co_u32 v15, vcc_lo, v7, v0
	v_add_co_ci_u32_e64 v16, null, 0, v13, vcc_lo
	v_lshlrev_b64 v[15:16], 2, v[15:16]
	v_sub_co_u32 v15, vcc_lo, s14, v15
	v_sub_co_ci_u32_e64 v16, null, s15, v16, vcc_lo
	s_waitcnt lgkmcnt(0)
	global_store_dword v[15:16], v17, off offset:-1028
.LBB460_166:
	s_andn2_saveexec_b32 s2, s2
	s_cbranch_execz .LBB460_168
; %bb.167:
	v_lshlrev_b32_e32 v15, 2, v0
	v_readfirstlane_b32 s6, v9
	v_readfirstlane_b32 s7, v10
	ds_read_b32 v16, v15 offset:1024
	s_waitcnt lgkmcnt(0)
	global_store_dword v15, v16, s[6:7] offset:1024
.LBB460_168:
	s_or_b32 exec_lo, exec_lo, s2
.LBB460_169:
	s_andn2_saveexec_b32 s1, s1
	s_cbranch_execz .LBB460_171
; %bb.170:
	v_lshlrev_b32_e32 v15, 2, v0
	v_readfirstlane_b32 s2, v11
	v_readfirstlane_b32 s3, v12
	ds_read_b32 v16, v15 offset:1024
	s_waitcnt lgkmcnt(0)
	global_store_dword v15, v16, s[2:3] offset:1024
.LBB460_171:
	s_or_b32 exec_lo, exec_lo, s1
	v_or_b32_e32 v15, 0x200, v0
	s_mov_b32 s1, exec_lo
	v_cmpx_ge_u32_e64 v15, v5
	s_xor_b32 s1, exec_lo, s1
	s_cbranch_execz .LBB460_177
; %bb.172:
	s_mov_b32 s2, exec_lo
	v_cmpx_ge_u32_e64 v15, v14
	s_xor_b32 s2, exec_lo, s2
	s_cbranch_execz .LBB460_174
; %bb.173:
	v_lshlrev_b32_e32 v17, 2, v0
	v_add_co_u32 v15, vcc_lo, v7, v0
	v_add_co_ci_u32_e64 v16, null, 0, v13, vcc_lo
	ds_read_b32 v17, v17 offset:2048
	v_lshlrev_b64 v[15:16], 2, v[15:16]
	v_sub_co_u32 v15, vcc_lo, s14, v15
	v_sub_co_ci_u32_e64 v16, null, s15, v16, vcc_lo
	v_add_co_u32 v15, vcc_lo, 0xfffff800, v15
	v_add_co_ci_u32_e64 v16, null, -1, v16, vcc_lo
	s_waitcnt lgkmcnt(0)
	global_store_dword v[15:16], v17, off offset:-4
                                        ; implicit-def: $vgpr15
.LBB460_174:
	s_andn2_saveexec_b32 s2, s2
	s_cbranch_execz .LBB460_176
; %bb.175:
	v_lshlrev_b32_e32 v16, 2, v0
	v_lshlrev_b32_e32 v15, 2, v15
	v_readfirstlane_b32 s6, v9
	v_readfirstlane_b32 s7, v10
	ds_read_b32 v16, v16 offset:2048
	s_waitcnt lgkmcnt(0)
	global_store_dword v15, v16, s[6:7]
.LBB460_176:
	s_or_b32 exec_lo, exec_lo, s2
                                        ; implicit-def: $vgpr15
.LBB460_177:
	s_andn2_saveexec_b32 s1, s1
	s_cbranch_execz .LBB460_179
; %bb.178:
	v_lshlrev_b32_e32 v16, 2, v0
	v_lshlrev_b32_e32 v15, 2, v15
	v_readfirstlane_b32 s2, v11
	v_readfirstlane_b32 s3, v12
	ds_read_b32 v16, v16 offset:2048
	s_waitcnt lgkmcnt(0)
	global_store_dword v15, v16, s[2:3]
.LBB460_179:
	s_or_b32 exec_lo, exec_lo, s1
	v_or_b32_e32 v15, 0x300, v0
	s_mov_b32 s1, exec_lo
	v_cmpx_ge_u32_e64 v15, v5
	s_xor_b32 s1, exec_lo, s1
	s_cbranch_execz .LBB460_185
; %bb.180:
	s_mov_b32 s2, exec_lo
	v_cmpx_ge_u32_e64 v15, v14
	s_xor_b32 s2, exec_lo, s2
	s_cbranch_execz .LBB460_182
; %bb.181:
	v_lshlrev_b32_e32 v16, 2, v0
	v_add_co_u32 v15, vcc_lo, v7, v15
	ds_read_b32 v17, v16 offset:3072
	v_add_co_ci_u32_e64 v16, null, 0, v13, vcc_lo
	v_lshlrev_b64 v[15:16], 2, v[15:16]
	v_sub_co_u32 v15, vcc_lo, s14, v15
	v_sub_co_ci_u32_e64 v16, null, s15, v16, vcc_lo
	s_waitcnt lgkmcnt(0)
	global_store_dword v[15:16], v17, off offset:-4
                                        ; implicit-def: $vgpr15
.LBB460_182:
	s_andn2_saveexec_b32 s2, s2
	s_cbranch_execz .LBB460_184
; %bb.183:
	v_lshlrev_b32_e32 v16, 2, v0
	v_lshlrev_b32_e32 v15, 2, v15
	v_readfirstlane_b32 s6, v9
	v_readfirstlane_b32 s7, v10
	ds_read_b32 v16, v16 offset:3072
	s_waitcnt lgkmcnt(0)
	global_store_dword v15, v16, s[6:7]
.LBB460_184:
	s_or_b32 exec_lo, exec_lo, s2
                                        ; implicit-def: $vgpr15
.LBB460_185:
	s_andn2_saveexec_b32 s1, s1
	s_cbranch_execz .LBB460_187
; %bb.186:
	v_lshlrev_b32_e32 v16, 2, v0
	v_lshlrev_b32_e32 v15, 2, v15
	v_readfirstlane_b32 s2, v11
	v_readfirstlane_b32 s3, v12
	ds_read_b32 v16, v16 offset:3072
	s_waitcnt lgkmcnt(0)
	global_store_dword v15, v16, s[2:3]
.LBB460_187:
	s_or_b32 exec_lo, exec_lo, s1
	v_or_b32_e32 v15, 0x400, v0
	s_mov_b32 s1, exec_lo
	v_cmpx_ge_u32_e64 v15, v5
	s_xor_b32 s1, exec_lo, s1
	s_cbranch_execz .LBB460_193
; %bb.188:
	s_mov_b32 s2, exec_lo
	v_cmpx_ge_u32_e64 v15, v14
	s_xor_b32 s2, exec_lo, s2
	s_cbranch_execz .LBB460_190
; %bb.189:
	v_lshlrev_b32_e32 v16, 2, v0
	v_add_co_u32 v15, vcc_lo, v7, v15
	ds_read_b32 v17, v16 offset:4096
	v_add_co_ci_u32_e64 v16, null, 0, v13, vcc_lo
	v_lshlrev_b64 v[15:16], 2, v[15:16]
	v_sub_co_u32 v15, vcc_lo, s14, v15
	v_sub_co_ci_u32_e64 v16, null, s15, v16, vcc_lo
	s_waitcnt lgkmcnt(0)
	global_store_dword v[15:16], v17, off offset:-4
                                        ; implicit-def: $vgpr15
.LBB460_190:
	s_andn2_saveexec_b32 s2, s2
	s_cbranch_execz .LBB460_192
; %bb.191:
	v_lshlrev_b32_e32 v16, 2, v0
	v_lshlrev_b32_e32 v15, 2, v15
	v_readfirstlane_b32 s6, v9
	v_readfirstlane_b32 s7, v10
	ds_read_b32 v16, v16 offset:4096
	s_waitcnt lgkmcnt(0)
	global_store_dword v15, v16, s[6:7]
.LBB460_192:
	s_or_b32 exec_lo, exec_lo, s2
                                        ; implicit-def: $vgpr15
.LBB460_193:
	;; [unrolled: 48-line block ×10, first 2 shown]
	s_andn2_saveexec_b32 s1, s1
	s_cbranch_execz .LBB460_259
; %bb.258:
	v_lshlrev_b32_e32 v16, 2, v0
	v_lshlrev_b32_e32 v15, 2, v15
	v_readfirstlane_b32 s2, v11
	v_readfirstlane_b32 s3, v12
	ds_read_b32 v16, v16 offset:12288
	s_waitcnt lgkmcnt(0)
	global_store_dword v15, v16, s[2:3]
.LBB460_259:
	s_or_b32 exec_lo, exec_lo, s1
	s_branch .LBB460_153
.LBB460_260:
	s_mov_b32 s1, exec_lo
	v_cmpx_gt_u32_e64 s5, v0
	s_cbranch_execz .LBB460_269
; %bb.261:
	s_mov_b32 s2, exec_lo
	v_cmpx_ge_u32_e64 v0, v5
	s_xor_b32 s2, exec_lo, s2
	s_cbranch_execz .LBB460_267
; %bb.262:
	s_mov_b32 s3, exec_lo
	v_cmpx_ge_u32_e64 v0, v14
	s_xor_b32 s3, exec_lo, s3
	s_cbranch_execz .LBB460_264
; %bb.263:
	v_lshlrev_b32_e32 v15, 2, v0
	ds_read_b32 v17, v15
	v_add_co_u32 v15, vcc_lo, v7, v0
	v_add_co_ci_u32_e64 v16, null, 0, v13, vcc_lo
	v_lshlrev_b64 v[15:16], 2, v[15:16]
	v_sub_co_u32 v15, vcc_lo, s14, v15
	v_sub_co_ci_u32_e64 v16, null, s15, v16, vcc_lo
	s_waitcnt lgkmcnt(0)
	global_store_dword v[15:16], v17, off offset:-4
.LBB460_264:
	s_andn2_saveexec_b32 s3, s3
	s_cbranch_execz .LBB460_266
; %bb.265:
	v_lshlrev_b32_e32 v15, 2, v0
	v_readfirstlane_b32 s6, v9
	v_readfirstlane_b32 s7, v10
	ds_read_b32 v16, v15
	s_waitcnt lgkmcnt(0)
	global_store_dword v15, v16, s[6:7]
.LBB460_266:
	s_or_b32 exec_lo, exec_lo, s3
.LBB460_267:
	s_andn2_saveexec_b32 s2, s2
	s_cbranch_execz .LBB460_269
; %bb.268:
	v_lshlrev_b32_e32 v15, 2, v0
	v_readfirstlane_b32 s2, v11
	v_readfirstlane_b32 s3, v12
	ds_read_b32 v16, v15
	s_waitcnt lgkmcnt(0)
	global_store_dword v15, v16, s[2:3]
.LBB460_269:
	s_or_b32 exec_lo, exec_lo, s1
	v_or_b32_e32 v15, 0x100, v0
	s_mov_b32 s1, exec_lo
	v_cmpx_gt_u32_e64 s5, v15
	s_cbranch_execz .LBB460_278
; %bb.270:
	s_mov_b32 s2, exec_lo
	v_cmpx_ge_u32_e64 v15, v5
	s_xor_b32 s2, exec_lo, s2
	s_cbranch_execz .LBB460_276
; %bb.271:
	s_mov_b32 s3, exec_lo
	v_cmpx_ge_u32_e64 v15, v14
	s_xor_b32 s3, exec_lo, s3
	s_cbranch_execz .LBB460_273
; %bb.272:
	v_lshlrev_b32_e32 v15, 2, v0
	ds_read_b32 v17, v15 offset:1024
	v_add_co_u32 v15, vcc_lo, v7, v0
	v_add_co_ci_u32_e64 v16, null, 0, v13, vcc_lo
	v_lshlrev_b64 v[15:16], 2, v[15:16]
	v_sub_co_u32 v15, vcc_lo, s14, v15
	v_sub_co_ci_u32_e64 v16, null, s15, v16, vcc_lo
	s_waitcnt lgkmcnt(0)
	global_store_dword v[15:16], v17, off offset:-1028
.LBB460_273:
	s_andn2_saveexec_b32 s3, s3
	s_cbranch_execz .LBB460_275
; %bb.274:
	v_lshlrev_b32_e32 v15, 2, v0
	v_readfirstlane_b32 s6, v9
	v_readfirstlane_b32 s7, v10
	ds_read_b32 v16, v15 offset:1024
	s_waitcnt lgkmcnt(0)
	global_store_dword v15, v16, s[6:7] offset:1024
.LBB460_275:
	s_or_b32 exec_lo, exec_lo, s3
.LBB460_276:
	s_andn2_saveexec_b32 s2, s2
	s_cbranch_execz .LBB460_278
; %bb.277:
	v_lshlrev_b32_e32 v15, 2, v0
	v_readfirstlane_b32 s2, v11
	v_readfirstlane_b32 s3, v12
	ds_read_b32 v16, v15 offset:1024
	s_waitcnt lgkmcnt(0)
	global_store_dword v15, v16, s[2:3] offset:1024
.LBB460_278:
	s_or_b32 exec_lo, exec_lo, s1
	v_or_b32_e32 v15, 0x200, v0
	s_mov_b32 s1, exec_lo
	v_cmpx_gt_u32_e64 s5, v15
	s_cbranch_execz .LBB460_287
; %bb.279:
	s_mov_b32 s2, exec_lo
	v_cmpx_ge_u32_e64 v15, v5
	s_xor_b32 s2, exec_lo, s2
	s_cbranch_execz .LBB460_285
; %bb.280:
	s_mov_b32 s3, exec_lo
	v_cmpx_ge_u32_e64 v15, v14
	s_xor_b32 s3, exec_lo, s3
	s_cbranch_execz .LBB460_282
; %bb.281:
	v_lshlrev_b32_e32 v17, 2, v0
	v_add_co_u32 v15, vcc_lo, v7, v0
	v_add_co_ci_u32_e64 v16, null, 0, v13, vcc_lo
	ds_read_b32 v17, v17 offset:2048
	v_lshlrev_b64 v[15:16], 2, v[15:16]
	v_sub_co_u32 v15, vcc_lo, s14, v15
	v_sub_co_ci_u32_e64 v16, null, s15, v16, vcc_lo
	v_add_co_u32 v15, vcc_lo, 0xfffff800, v15
	v_add_co_ci_u32_e64 v16, null, -1, v16, vcc_lo
	s_waitcnt lgkmcnt(0)
	global_store_dword v[15:16], v17, off offset:-4
                                        ; implicit-def: $vgpr15
.LBB460_282:
	s_andn2_saveexec_b32 s3, s3
	s_cbranch_execz .LBB460_284
; %bb.283:
	v_lshlrev_b32_e32 v16, 2, v0
	v_lshlrev_b32_e32 v15, 2, v15
	v_readfirstlane_b32 s6, v9
	v_readfirstlane_b32 s7, v10
	ds_read_b32 v16, v16 offset:2048
	s_waitcnt lgkmcnt(0)
	global_store_dword v15, v16, s[6:7]
.LBB460_284:
	s_or_b32 exec_lo, exec_lo, s3
                                        ; implicit-def: $vgpr15
.LBB460_285:
	s_andn2_saveexec_b32 s2, s2
	s_cbranch_execz .LBB460_287
; %bb.286:
	v_lshlrev_b32_e32 v16, 2, v0
	v_lshlrev_b32_e32 v15, 2, v15
	v_readfirstlane_b32 s2, v11
	v_readfirstlane_b32 s3, v12
	ds_read_b32 v16, v16 offset:2048
	s_waitcnt lgkmcnt(0)
	global_store_dword v15, v16, s[2:3]
.LBB460_287:
	s_or_b32 exec_lo, exec_lo, s1
	v_or_b32_e32 v15, 0x300, v0
	s_mov_b32 s1, exec_lo
	v_cmpx_gt_u32_e64 s5, v15
	s_cbranch_execz .LBB460_296
; %bb.288:
	s_mov_b32 s2, exec_lo
	v_cmpx_ge_u32_e64 v15, v5
	s_xor_b32 s2, exec_lo, s2
	s_cbranch_execz .LBB460_294
; %bb.289:
	s_mov_b32 s3, exec_lo
	v_cmpx_ge_u32_e64 v15, v14
	s_xor_b32 s3, exec_lo, s3
	s_cbranch_execz .LBB460_291
; %bb.290:
	v_lshlrev_b32_e32 v16, 2, v0
	v_add_co_u32 v15, vcc_lo, v7, v15
	ds_read_b32 v17, v16 offset:3072
	v_add_co_ci_u32_e64 v16, null, 0, v13, vcc_lo
	v_lshlrev_b64 v[15:16], 2, v[15:16]
	v_sub_co_u32 v15, vcc_lo, s14, v15
	v_sub_co_ci_u32_e64 v16, null, s15, v16, vcc_lo
	s_waitcnt lgkmcnt(0)
	global_store_dword v[15:16], v17, off offset:-4
                                        ; implicit-def: $vgpr15
.LBB460_291:
	s_andn2_saveexec_b32 s3, s3
	s_cbranch_execz .LBB460_293
; %bb.292:
	v_lshlrev_b32_e32 v16, 2, v0
	v_lshlrev_b32_e32 v15, 2, v15
	v_readfirstlane_b32 s6, v9
	v_readfirstlane_b32 s7, v10
	ds_read_b32 v16, v16 offset:3072
	s_waitcnt lgkmcnt(0)
	global_store_dword v15, v16, s[6:7]
.LBB460_293:
	s_or_b32 exec_lo, exec_lo, s3
                                        ; implicit-def: $vgpr15
.LBB460_294:
	s_andn2_saveexec_b32 s2, s2
	s_cbranch_execz .LBB460_296
; %bb.295:
	v_lshlrev_b32_e32 v16, 2, v0
	v_lshlrev_b32_e32 v15, 2, v15
	v_readfirstlane_b32 s2, v11
	v_readfirstlane_b32 s3, v12
	ds_read_b32 v16, v16 offset:3072
	s_waitcnt lgkmcnt(0)
	global_store_dword v15, v16, s[2:3]
.LBB460_296:
	s_or_b32 exec_lo, exec_lo, s1
	v_or_b32_e32 v15, 0x400, v0
	s_mov_b32 s1, exec_lo
	v_cmpx_gt_u32_e64 s5, v15
	s_cbranch_execz .LBB460_305
; %bb.297:
	s_mov_b32 s2, exec_lo
	v_cmpx_ge_u32_e64 v15, v5
	s_xor_b32 s2, exec_lo, s2
	s_cbranch_execz .LBB460_303
; %bb.298:
	s_mov_b32 s3, exec_lo
	v_cmpx_ge_u32_e64 v15, v14
	s_xor_b32 s3, exec_lo, s3
	s_cbranch_execz .LBB460_300
; %bb.299:
	v_lshlrev_b32_e32 v16, 2, v0
	v_add_co_u32 v15, vcc_lo, v7, v15
	ds_read_b32 v17, v16 offset:4096
	v_add_co_ci_u32_e64 v16, null, 0, v13, vcc_lo
	v_lshlrev_b64 v[15:16], 2, v[15:16]
	v_sub_co_u32 v15, vcc_lo, s14, v15
	v_sub_co_ci_u32_e64 v16, null, s15, v16, vcc_lo
	s_waitcnt lgkmcnt(0)
	global_store_dword v[15:16], v17, off offset:-4
                                        ; implicit-def: $vgpr15
.LBB460_300:
	s_andn2_saveexec_b32 s3, s3
	s_cbranch_execz .LBB460_302
; %bb.301:
	v_lshlrev_b32_e32 v16, 2, v0
	v_lshlrev_b32_e32 v15, 2, v15
	v_readfirstlane_b32 s6, v9
	v_readfirstlane_b32 s7, v10
	ds_read_b32 v16, v16 offset:4096
	s_waitcnt lgkmcnt(0)
	global_store_dword v15, v16, s[6:7]
.LBB460_302:
	s_or_b32 exec_lo, exec_lo, s3
                                        ; implicit-def: $vgpr15
.LBB460_303:
	s_andn2_saveexec_b32 s2, s2
	s_cbranch_execz .LBB460_305
; %bb.304:
	v_lshlrev_b32_e32 v16, 2, v0
	v_lshlrev_b32_e32 v15, 2, v15
	v_readfirstlane_b32 s2, v11
	v_readfirstlane_b32 s3, v12
	ds_read_b32 v16, v16 offset:4096
	s_waitcnt lgkmcnt(0)
	global_store_dword v15, v16, s[2:3]
.LBB460_305:
	;; [unrolled: 52-line block ×9, first 2 shown]
	s_or_b32 exec_lo, exec_lo, s1
	v_or_b32_e32 v15, 0xc00, v0
	s_mov_b32 s1, exec_lo
	v_cmpx_gt_u32_e64 s5, v15
	s_cbranch_execz .LBB460_377
; %bb.369:
	s_mov_b32 s2, exec_lo
	v_cmpx_ge_u32_e64 v15, v5
	s_xor_b32 s2, exec_lo, s2
	s_cbranch_execz .LBB460_375
; %bb.370:
	s_mov_b32 s3, exec_lo
	v_cmpx_ge_u32_e64 v15, v14
	s_xor_b32 s3, exec_lo, s3
	s_cbranch_execz .LBB460_372
; %bb.371:
	v_lshlrev_b32_e32 v0, 2, v0
	v_add_co_u32 v9, vcc_lo, v7, v15
	v_add_co_ci_u32_e64 v10, null, 0, v13, vcc_lo
	ds_read_b32 v0, v0 offset:12288
                                        ; implicit-def: $vgpr15
	v_lshlrev_b64 v[9:10], 2, v[9:10]
	v_sub_co_u32 v9, vcc_lo, s14, v9
	v_sub_co_ci_u32_e64 v10, null, s15, v10, vcc_lo
	s_waitcnt lgkmcnt(0)
	global_store_dword v[9:10], v0, off offset:-4
                                        ; implicit-def: $vgpr0
                                        ; implicit-def: $vgpr9_vgpr10
.LBB460_372:
	s_andn2_saveexec_b32 s3, s3
	s_cbranch_execz .LBB460_374
; %bb.373:
	v_lshlrev_b32_e32 v0, 2, v0
	v_lshlrev_b32_e32 v7, 2, v15
	v_readfirstlane_b32 s4, v9
	v_readfirstlane_b32 s5, v10
	ds_read_b32 v0, v0 offset:12288
	s_waitcnt lgkmcnt(0)
	global_store_dword v7, v0, s[4:5]
.LBB460_374:
	s_or_b32 exec_lo, exec_lo, s3
                                        ; implicit-def: $vgpr0
                                        ; implicit-def: $vgpr15
                                        ; implicit-def: $vgpr11_vgpr12
.LBB460_375:
	s_andn2_saveexec_b32 s2, s2
	s_cbranch_execz .LBB460_377
; %bb.376:
	v_lshlrev_b32_e32 v0, 2, v0
	v_lshlrev_b32_e32 v7, 2, v15
	v_readfirstlane_b32 s2, v11
	v_readfirstlane_b32 s3, v12
	ds_read_b32 v0, v0 offset:12288
	s_waitcnt lgkmcnt(0)
	global_store_dword v7, v0, s[2:3]
.LBB460_377:
	s_or_b32 exec_lo, exec_lo, s1
	s_and_b32 s0, s0, s26
	s_and_saveexec_b32 s1, s0
	s_cbranch_execz .LBB460_154
.LBB460_378:
	v_add_co_u32 v0, vcc_lo, v3, v6
	v_add_co_ci_u32_e64 v4, null, 0, v4, vcc_lo
	v_mov_b32_e32 v6, 0
	v_add_co_u32 v3, vcc_lo, v0, v8
	v_add_co_ci_u32_e64 v4, null, 0, v4, vcc_lo
	v_add_co_u32 v1, vcc_lo, v1, v5
	v_add_co_ci_u32_e64 v2, null, 0, v2, vcc_lo
	global_store_dwordx4 v6, v[1:4], s[24:25]
	s_endpgm
.LBB460_379:
	s_add_i32 s8, s27, 32
	s_mov_b32 s9, 0
	v_add_nc_u32_e32 v10, v8, v6
	s_lshl_b64 s[8:9], s[8:9], 4
	v_add_nc_u32_e32 v9, v7, v5
	s_add_u32 s8, s36, s8
	s_addc_u32 s9, s37, s9
	v_mov_b32_e32 v11, 2
	v_mov_b32_e32 v28, s9
	;; [unrolled: 1-line block ×4, first 2 shown]
	;;#ASMSTART
	global_store_dwordx4 v[27:28], v[9:12] off	
s_waitcnt vmcnt(0)
	;;#ASMEND
	s_or_b32 exec_lo, exec_lo, s6
	s_and_saveexec_b32 s6, s3
	s_cbranch_execz .LBB460_139
.LBB460_380:
	v_mov_b32_e32 v9, 0
	ds_write_b128 v9, v[5:8] offset:13312
	s_or_b32 exec_lo, exec_lo, s6
	s_and_b32 exec_lo, exec_lo, s0
	s_cbranch_execnz .LBB460_140
	s_branch .LBB460_141
	.section	.rodata,"a",@progbits
	.p2align	6, 0x0
	.amdhsa_kernel _ZN7rocprim17ROCPRIM_400000_NS6detail17trampoline_kernelINS0_13select_configILj256ELj13ELNS0_17block_load_methodE3ELS4_3ELS4_3ELNS0_20block_scan_algorithmE0ELj4294967295EEENS1_25partition_config_selectorILNS1_17partition_subalgoE4EjNS0_10empty_typeEbEEZZNS1_14partition_implILS8_4ELb0ES6_15HIP_vector_typeIjLj2EENS0_17counting_iteratorIjlEEPS9_SG_NS0_5tupleIJPjSI_NS0_16reverse_iteratorISI_EEEEENSH_IJSG_SG_SG_EEES9_SI_JZNS1_25segmented_radix_sort_implINS0_14default_configELb1EPKiPiPKlPlN2at6native12_GLOBAL__N_18offset_tEEE10hipError_tPvRmT1_PNSt15iterator_traitsIS12_E10value_typeET2_T3_PNS13_IS18_E10value_typeET4_jRbjT5_S1E_jjP12ihipStream_tbEUljE_ZNSN_ISO_Lb1ESQ_SR_ST_SU_SY_EESZ_S10_S11_S12_S16_S17_S18_S1B_S1C_jS1D_jS1E_S1E_jjS1G_bEUljE0_EEESZ_S10_S11_S18_S1C_S1E_T6_T7_T9_mT8_S1G_bDpT10_ENKUlT_T0_E_clISt17integral_constantIbLb0EES1T_IbLb1EEEEDaS1P_S1Q_EUlS1P_E_NS1_11comp_targetILNS1_3genE8ELNS1_11target_archE1030ELNS1_3gpuE2ELNS1_3repE0EEENS1_30default_config_static_selectorELNS0_4arch9wavefront6targetE0EEEvS12_
		.amdhsa_group_segment_fixed_size 13328
		.amdhsa_private_segment_fixed_size 0
		.amdhsa_kernarg_size 184
		.amdhsa_user_sgpr_count 6
		.amdhsa_user_sgpr_private_segment_buffer 1
		.amdhsa_user_sgpr_dispatch_ptr 0
		.amdhsa_user_sgpr_queue_ptr 0
		.amdhsa_user_sgpr_kernarg_segment_ptr 1
		.amdhsa_user_sgpr_dispatch_id 0
		.amdhsa_user_sgpr_flat_scratch_init 0
		.amdhsa_user_sgpr_private_segment_size 0
		.amdhsa_wavefront_size32 1
		.amdhsa_uses_dynamic_stack 0
		.amdhsa_system_sgpr_private_segment_wavefront_offset 0
		.amdhsa_system_sgpr_workgroup_id_x 1
		.amdhsa_system_sgpr_workgroup_id_y 0
		.amdhsa_system_sgpr_workgroup_id_z 0
		.amdhsa_system_sgpr_workgroup_info 0
		.amdhsa_system_vgpr_workitem_id 0
		.amdhsa_next_free_vgpr 87
		.amdhsa_next_free_sgpr 55
		.amdhsa_reserve_vcc 1
		.amdhsa_reserve_flat_scratch 0
		.amdhsa_float_round_mode_32 0
		.amdhsa_float_round_mode_16_64 0
		.amdhsa_float_denorm_mode_32 3
		.amdhsa_float_denorm_mode_16_64 3
		.amdhsa_dx10_clamp 1
		.amdhsa_ieee_mode 1
		.amdhsa_fp16_overflow 0
		.amdhsa_workgroup_processor_mode 1
		.amdhsa_memory_ordered 1
		.amdhsa_forward_progress 1
		.amdhsa_shared_vgpr_count 0
		.amdhsa_exception_fp_ieee_invalid_op 0
		.amdhsa_exception_fp_denorm_src 0
		.amdhsa_exception_fp_ieee_div_zero 0
		.amdhsa_exception_fp_ieee_overflow 0
		.amdhsa_exception_fp_ieee_underflow 0
		.amdhsa_exception_fp_ieee_inexact 0
		.amdhsa_exception_int_div_zero 0
	.end_amdhsa_kernel
	.section	.text._ZN7rocprim17ROCPRIM_400000_NS6detail17trampoline_kernelINS0_13select_configILj256ELj13ELNS0_17block_load_methodE3ELS4_3ELS4_3ELNS0_20block_scan_algorithmE0ELj4294967295EEENS1_25partition_config_selectorILNS1_17partition_subalgoE4EjNS0_10empty_typeEbEEZZNS1_14partition_implILS8_4ELb0ES6_15HIP_vector_typeIjLj2EENS0_17counting_iteratorIjlEEPS9_SG_NS0_5tupleIJPjSI_NS0_16reverse_iteratorISI_EEEEENSH_IJSG_SG_SG_EEES9_SI_JZNS1_25segmented_radix_sort_implINS0_14default_configELb1EPKiPiPKlPlN2at6native12_GLOBAL__N_18offset_tEEE10hipError_tPvRmT1_PNSt15iterator_traitsIS12_E10value_typeET2_T3_PNS13_IS18_E10value_typeET4_jRbjT5_S1E_jjP12ihipStream_tbEUljE_ZNSN_ISO_Lb1ESQ_SR_ST_SU_SY_EESZ_S10_S11_S12_S16_S17_S18_S1B_S1C_jS1D_jS1E_S1E_jjS1G_bEUljE0_EEESZ_S10_S11_S18_S1C_S1E_T6_T7_T9_mT8_S1G_bDpT10_ENKUlT_T0_E_clISt17integral_constantIbLb0EES1T_IbLb1EEEEDaS1P_S1Q_EUlS1P_E_NS1_11comp_targetILNS1_3genE8ELNS1_11target_archE1030ELNS1_3gpuE2ELNS1_3repE0EEENS1_30default_config_static_selectorELNS0_4arch9wavefront6targetE0EEEvS12_,"axG",@progbits,_ZN7rocprim17ROCPRIM_400000_NS6detail17trampoline_kernelINS0_13select_configILj256ELj13ELNS0_17block_load_methodE3ELS4_3ELS4_3ELNS0_20block_scan_algorithmE0ELj4294967295EEENS1_25partition_config_selectorILNS1_17partition_subalgoE4EjNS0_10empty_typeEbEEZZNS1_14partition_implILS8_4ELb0ES6_15HIP_vector_typeIjLj2EENS0_17counting_iteratorIjlEEPS9_SG_NS0_5tupleIJPjSI_NS0_16reverse_iteratorISI_EEEEENSH_IJSG_SG_SG_EEES9_SI_JZNS1_25segmented_radix_sort_implINS0_14default_configELb1EPKiPiPKlPlN2at6native12_GLOBAL__N_18offset_tEEE10hipError_tPvRmT1_PNSt15iterator_traitsIS12_E10value_typeET2_T3_PNS13_IS18_E10value_typeET4_jRbjT5_S1E_jjP12ihipStream_tbEUljE_ZNSN_ISO_Lb1ESQ_SR_ST_SU_SY_EESZ_S10_S11_S12_S16_S17_S18_S1B_S1C_jS1D_jS1E_S1E_jjS1G_bEUljE0_EEESZ_S10_S11_S18_S1C_S1E_T6_T7_T9_mT8_S1G_bDpT10_ENKUlT_T0_E_clISt17integral_constantIbLb0EES1T_IbLb1EEEEDaS1P_S1Q_EUlS1P_E_NS1_11comp_targetILNS1_3genE8ELNS1_11target_archE1030ELNS1_3gpuE2ELNS1_3repE0EEENS1_30default_config_static_selectorELNS0_4arch9wavefront6targetE0EEEvS12_,comdat
.Lfunc_end460:
	.size	_ZN7rocprim17ROCPRIM_400000_NS6detail17trampoline_kernelINS0_13select_configILj256ELj13ELNS0_17block_load_methodE3ELS4_3ELS4_3ELNS0_20block_scan_algorithmE0ELj4294967295EEENS1_25partition_config_selectorILNS1_17partition_subalgoE4EjNS0_10empty_typeEbEEZZNS1_14partition_implILS8_4ELb0ES6_15HIP_vector_typeIjLj2EENS0_17counting_iteratorIjlEEPS9_SG_NS0_5tupleIJPjSI_NS0_16reverse_iteratorISI_EEEEENSH_IJSG_SG_SG_EEES9_SI_JZNS1_25segmented_radix_sort_implINS0_14default_configELb1EPKiPiPKlPlN2at6native12_GLOBAL__N_18offset_tEEE10hipError_tPvRmT1_PNSt15iterator_traitsIS12_E10value_typeET2_T3_PNS13_IS18_E10value_typeET4_jRbjT5_S1E_jjP12ihipStream_tbEUljE_ZNSN_ISO_Lb1ESQ_SR_ST_SU_SY_EESZ_S10_S11_S12_S16_S17_S18_S1B_S1C_jS1D_jS1E_S1E_jjS1G_bEUljE0_EEESZ_S10_S11_S18_S1C_S1E_T6_T7_T9_mT8_S1G_bDpT10_ENKUlT_T0_E_clISt17integral_constantIbLb0EES1T_IbLb1EEEEDaS1P_S1Q_EUlS1P_E_NS1_11comp_targetILNS1_3genE8ELNS1_11target_archE1030ELNS1_3gpuE2ELNS1_3repE0EEENS1_30default_config_static_selectorELNS0_4arch9wavefront6targetE0EEEvS12_, .Lfunc_end460-_ZN7rocprim17ROCPRIM_400000_NS6detail17trampoline_kernelINS0_13select_configILj256ELj13ELNS0_17block_load_methodE3ELS4_3ELS4_3ELNS0_20block_scan_algorithmE0ELj4294967295EEENS1_25partition_config_selectorILNS1_17partition_subalgoE4EjNS0_10empty_typeEbEEZZNS1_14partition_implILS8_4ELb0ES6_15HIP_vector_typeIjLj2EENS0_17counting_iteratorIjlEEPS9_SG_NS0_5tupleIJPjSI_NS0_16reverse_iteratorISI_EEEEENSH_IJSG_SG_SG_EEES9_SI_JZNS1_25segmented_radix_sort_implINS0_14default_configELb1EPKiPiPKlPlN2at6native12_GLOBAL__N_18offset_tEEE10hipError_tPvRmT1_PNSt15iterator_traitsIS12_E10value_typeET2_T3_PNS13_IS18_E10value_typeET4_jRbjT5_S1E_jjP12ihipStream_tbEUljE_ZNSN_ISO_Lb1ESQ_SR_ST_SU_SY_EESZ_S10_S11_S12_S16_S17_S18_S1B_S1C_jS1D_jS1E_S1E_jjS1G_bEUljE0_EEESZ_S10_S11_S18_S1C_S1E_T6_T7_T9_mT8_S1G_bDpT10_ENKUlT_T0_E_clISt17integral_constantIbLb0EES1T_IbLb1EEEEDaS1P_S1Q_EUlS1P_E_NS1_11comp_targetILNS1_3genE8ELNS1_11target_archE1030ELNS1_3gpuE2ELNS1_3repE0EEENS1_30default_config_static_selectorELNS0_4arch9wavefront6targetE0EEEvS12_
                                        ; -- End function
	.set _ZN7rocprim17ROCPRIM_400000_NS6detail17trampoline_kernelINS0_13select_configILj256ELj13ELNS0_17block_load_methodE3ELS4_3ELS4_3ELNS0_20block_scan_algorithmE0ELj4294967295EEENS1_25partition_config_selectorILNS1_17partition_subalgoE4EjNS0_10empty_typeEbEEZZNS1_14partition_implILS8_4ELb0ES6_15HIP_vector_typeIjLj2EENS0_17counting_iteratorIjlEEPS9_SG_NS0_5tupleIJPjSI_NS0_16reverse_iteratorISI_EEEEENSH_IJSG_SG_SG_EEES9_SI_JZNS1_25segmented_radix_sort_implINS0_14default_configELb1EPKiPiPKlPlN2at6native12_GLOBAL__N_18offset_tEEE10hipError_tPvRmT1_PNSt15iterator_traitsIS12_E10value_typeET2_T3_PNS13_IS18_E10value_typeET4_jRbjT5_S1E_jjP12ihipStream_tbEUljE_ZNSN_ISO_Lb1ESQ_SR_ST_SU_SY_EESZ_S10_S11_S12_S16_S17_S18_S1B_S1C_jS1D_jS1E_S1E_jjS1G_bEUljE0_EEESZ_S10_S11_S18_S1C_S1E_T6_T7_T9_mT8_S1G_bDpT10_ENKUlT_T0_E_clISt17integral_constantIbLb0EES1T_IbLb1EEEEDaS1P_S1Q_EUlS1P_E_NS1_11comp_targetILNS1_3genE8ELNS1_11target_archE1030ELNS1_3gpuE2ELNS1_3repE0EEENS1_30default_config_static_selectorELNS0_4arch9wavefront6targetE0EEEvS12_.num_vgpr, 87
	.set _ZN7rocprim17ROCPRIM_400000_NS6detail17trampoline_kernelINS0_13select_configILj256ELj13ELNS0_17block_load_methodE3ELS4_3ELS4_3ELNS0_20block_scan_algorithmE0ELj4294967295EEENS1_25partition_config_selectorILNS1_17partition_subalgoE4EjNS0_10empty_typeEbEEZZNS1_14partition_implILS8_4ELb0ES6_15HIP_vector_typeIjLj2EENS0_17counting_iteratorIjlEEPS9_SG_NS0_5tupleIJPjSI_NS0_16reverse_iteratorISI_EEEEENSH_IJSG_SG_SG_EEES9_SI_JZNS1_25segmented_radix_sort_implINS0_14default_configELb1EPKiPiPKlPlN2at6native12_GLOBAL__N_18offset_tEEE10hipError_tPvRmT1_PNSt15iterator_traitsIS12_E10value_typeET2_T3_PNS13_IS18_E10value_typeET4_jRbjT5_S1E_jjP12ihipStream_tbEUljE_ZNSN_ISO_Lb1ESQ_SR_ST_SU_SY_EESZ_S10_S11_S12_S16_S17_S18_S1B_S1C_jS1D_jS1E_S1E_jjS1G_bEUljE0_EEESZ_S10_S11_S18_S1C_S1E_T6_T7_T9_mT8_S1G_bDpT10_ENKUlT_T0_E_clISt17integral_constantIbLb0EES1T_IbLb1EEEEDaS1P_S1Q_EUlS1P_E_NS1_11comp_targetILNS1_3genE8ELNS1_11target_archE1030ELNS1_3gpuE2ELNS1_3repE0EEENS1_30default_config_static_selectorELNS0_4arch9wavefront6targetE0EEEvS12_.num_agpr, 0
	.set _ZN7rocprim17ROCPRIM_400000_NS6detail17trampoline_kernelINS0_13select_configILj256ELj13ELNS0_17block_load_methodE3ELS4_3ELS4_3ELNS0_20block_scan_algorithmE0ELj4294967295EEENS1_25partition_config_selectorILNS1_17partition_subalgoE4EjNS0_10empty_typeEbEEZZNS1_14partition_implILS8_4ELb0ES6_15HIP_vector_typeIjLj2EENS0_17counting_iteratorIjlEEPS9_SG_NS0_5tupleIJPjSI_NS0_16reverse_iteratorISI_EEEEENSH_IJSG_SG_SG_EEES9_SI_JZNS1_25segmented_radix_sort_implINS0_14default_configELb1EPKiPiPKlPlN2at6native12_GLOBAL__N_18offset_tEEE10hipError_tPvRmT1_PNSt15iterator_traitsIS12_E10value_typeET2_T3_PNS13_IS18_E10value_typeET4_jRbjT5_S1E_jjP12ihipStream_tbEUljE_ZNSN_ISO_Lb1ESQ_SR_ST_SU_SY_EESZ_S10_S11_S12_S16_S17_S18_S1B_S1C_jS1D_jS1E_S1E_jjS1G_bEUljE0_EEESZ_S10_S11_S18_S1C_S1E_T6_T7_T9_mT8_S1G_bDpT10_ENKUlT_T0_E_clISt17integral_constantIbLb0EES1T_IbLb1EEEEDaS1P_S1Q_EUlS1P_E_NS1_11comp_targetILNS1_3genE8ELNS1_11target_archE1030ELNS1_3gpuE2ELNS1_3repE0EEENS1_30default_config_static_selectorELNS0_4arch9wavefront6targetE0EEEvS12_.numbered_sgpr, 55
	.set _ZN7rocprim17ROCPRIM_400000_NS6detail17trampoline_kernelINS0_13select_configILj256ELj13ELNS0_17block_load_methodE3ELS4_3ELS4_3ELNS0_20block_scan_algorithmE0ELj4294967295EEENS1_25partition_config_selectorILNS1_17partition_subalgoE4EjNS0_10empty_typeEbEEZZNS1_14partition_implILS8_4ELb0ES6_15HIP_vector_typeIjLj2EENS0_17counting_iteratorIjlEEPS9_SG_NS0_5tupleIJPjSI_NS0_16reverse_iteratorISI_EEEEENSH_IJSG_SG_SG_EEES9_SI_JZNS1_25segmented_radix_sort_implINS0_14default_configELb1EPKiPiPKlPlN2at6native12_GLOBAL__N_18offset_tEEE10hipError_tPvRmT1_PNSt15iterator_traitsIS12_E10value_typeET2_T3_PNS13_IS18_E10value_typeET4_jRbjT5_S1E_jjP12ihipStream_tbEUljE_ZNSN_ISO_Lb1ESQ_SR_ST_SU_SY_EESZ_S10_S11_S12_S16_S17_S18_S1B_S1C_jS1D_jS1E_S1E_jjS1G_bEUljE0_EEESZ_S10_S11_S18_S1C_S1E_T6_T7_T9_mT8_S1G_bDpT10_ENKUlT_T0_E_clISt17integral_constantIbLb0EES1T_IbLb1EEEEDaS1P_S1Q_EUlS1P_E_NS1_11comp_targetILNS1_3genE8ELNS1_11target_archE1030ELNS1_3gpuE2ELNS1_3repE0EEENS1_30default_config_static_selectorELNS0_4arch9wavefront6targetE0EEEvS12_.num_named_barrier, 0
	.set _ZN7rocprim17ROCPRIM_400000_NS6detail17trampoline_kernelINS0_13select_configILj256ELj13ELNS0_17block_load_methodE3ELS4_3ELS4_3ELNS0_20block_scan_algorithmE0ELj4294967295EEENS1_25partition_config_selectorILNS1_17partition_subalgoE4EjNS0_10empty_typeEbEEZZNS1_14partition_implILS8_4ELb0ES6_15HIP_vector_typeIjLj2EENS0_17counting_iteratorIjlEEPS9_SG_NS0_5tupleIJPjSI_NS0_16reverse_iteratorISI_EEEEENSH_IJSG_SG_SG_EEES9_SI_JZNS1_25segmented_radix_sort_implINS0_14default_configELb1EPKiPiPKlPlN2at6native12_GLOBAL__N_18offset_tEEE10hipError_tPvRmT1_PNSt15iterator_traitsIS12_E10value_typeET2_T3_PNS13_IS18_E10value_typeET4_jRbjT5_S1E_jjP12ihipStream_tbEUljE_ZNSN_ISO_Lb1ESQ_SR_ST_SU_SY_EESZ_S10_S11_S12_S16_S17_S18_S1B_S1C_jS1D_jS1E_S1E_jjS1G_bEUljE0_EEESZ_S10_S11_S18_S1C_S1E_T6_T7_T9_mT8_S1G_bDpT10_ENKUlT_T0_E_clISt17integral_constantIbLb0EES1T_IbLb1EEEEDaS1P_S1Q_EUlS1P_E_NS1_11comp_targetILNS1_3genE8ELNS1_11target_archE1030ELNS1_3gpuE2ELNS1_3repE0EEENS1_30default_config_static_selectorELNS0_4arch9wavefront6targetE0EEEvS12_.private_seg_size, 0
	.set _ZN7rocprim17ROCPRIM_400000_NS6detail17trampoline_kernelINS0_13select_configILj256ELj13ELNS0_17block_load_methodE3ELS4_3ELS4_3ELNS0_20block_scan_algorithmE0ELj4294967295EEENS1_25partition_config_selectorILNS1_17partition_subalgoE4EjNS0_10empty_typeEbEEZZNS1_14partition_implILS8_4ELb0ES6_15HIP_vector_typeIjLj2EENS0_17counting_iteratorIjlEEPS9_SG_NS0_5tupleIJPjSI_NS0_16reverse_iteratorISI_EEEEENSH_IJSG_SG_SG_EEES9_SI_JZNS1_25segmented_radix_sort_implINS0_14default_configELb1EPKiPiPKlPlN2at6native12_GLOBAL__N_18offset_tEEE10hipError_tPvRmT1_PNSt15iterator_traitsIS12_E10value_typeET2_T3_PNS13_IS18_E10value_typeET4_jRbjT5_S1E_jjP12ihipStream_tbEUljE_ZNSN_ISO_Lb1ESQ_SR_ST_SU_SY_EESZ_S10_S11_S12_S16_S17_S18_S1B_S1C_jS1D_jS1E_S1E_jjS1G_bEUljE0_EEESZ_S10_S11_S18_S1C_S1E_T6_T7_T9_mT8_S1G_bDpT10_ENKUlT_T0_E_clISt17integral_constantIbLb0EES1T_IbLb1EEEEDaS1P_S1Q_EUlS1P_E_NS1_11comp_targetILNS1_3genE8ELNS1_11target_archE1030ELNS1_3gpuE2ELNS1_3repE0EEENS1_30default_config_static_selectorELNS0_4arch9wavefront6targetE0EEEvS12_.uses_vcc, 1
	.set _ZN7rocprim17ROCPRIM_400000_NS6detail17trampoline_kernelINS0_13select_configILj256ELj13ELNS0_17block_load_methodE3ELS4_3ELS4_3ELNS0_20block_scan_algorithmE0ELj4294967295EEENS1_25partition_config_selectorILNS1_17partition_subalgoE4EjNS0_10empty_typeEbEEZZNS1_14partition_implILS8_4ELb0ES6_15HIP_vector_typeIjLj2EENS0_17counting_iteratorIjlEEPS9_SG_NS0_5tupleIJPjSI_NS0_16reverse_iteratorISI_EEEEENSH_IJSG_SG_SG_EEES9_SI_JZNS1_25segmented_radix_sort_implINS0_14default_configELb1EPKiPiPKlPlN2at6native12_GLOBAL__N_18offset_tEEE10hipError_tPvRmT1_PNSt15iterator_traitsIS12_E10value_typeET2_T3_PNS13_IS18_E10value_typeET4_jRbjT5_S1E_jjP12ihipStream_tbEUljE_ZNSN_ISO_Lb1ESQ_SR_ST_SU_SY_EESZ_S10_S11_S12_S16_S17_S18_S1B_S1C_jS1D_jS1E_S1E_jjS1G_bEUljE0_EEESZ_S10_S11_S18_S1C_S1E_T6_T7_T9_mT8_S1G_bDpT10_ENKUlT_T0_E_clISt17integral_constantIbLb0EES1T_IbLb1EEEEDaS1P_S1Q_EUlS1P_E_NS1_11comp_targetILNS1_3genE8ELNS1_11target_archE1030ELNS1_3gpuE2ELNS1_3repE0EEENS1_30default_config_static_selectorELNS0_4arch9wavefront6targetE0EEEvS12_.uses_flat_scratch, 0
	.set _ZN7rocprim17ROCPRIM_400000_NS6detail17trampoline_kernelINS0_13select_configILj256ELj13ELNS0_17block_load_methodE3ELS4_3ELS4_3ELNS0_20block_scan_algorithmE0ELj4294967295EEENS1_25partition_config_selectorILNS1_17partition_subalgoE4EjNS0_10empty_typeEbEEZZNS1_14partition_implILS8_4ELb0ES6_15HIP_vector_typeIjLj2EENS0_17counting_iteratorIjlEEPS9_SG_NS0_5tupleIJPjSI_NS0_16reverse_iteratorISI_EEEEENSH_IJSG_SG_SG_EEES9_SI_JZNS1_25segmented_radix_sort_implINS0_14default_configELb1EPKiPiPKlPlN2at6native12_GLOBAL__N_18offset_tEEE10hipError_tPvRmT1_PNSt15iterator_traitsIS12_E10value_typeET2_T3_PNS13_IS18_E10value_typeET4_jRbjT5_S1E_jjP12ihipStream_tbEUljE_ZNSN_ISO_Lb1ESQ_SR_ST_SU_SY_EESZ_S10_S11_S12_S16_S17_S18_S1B_S1C_jS1D_jS1E_S1E_jjS1G_bEUljE0_EEESZ_S10_S11_S18_S1C_S1E_T6_T7_T9_mT8_S1G_bDpT10_ENKUlT_T0_E_clISt17integral_constantIbLb0EES1T_IbLb1EEEEDaS1P_S1Q_EUlS1P_E_NS1_11comp_targetILNS1_3genE8ELNS1_11target_archE1030ELNS1_3gpuE2ELNS1_3repE0EEENS1_30default_config_static_selectorELNS0_4arch9wavefront6targetE0EEEvS12_.has_dyn_sized_stack, 0
	.set _ZN7rocprim17ROCPRIM_400000_NS6detail17trampoline_kernelINS0_13select_configILj256ELj13ELNS0_17block_load_methodE3ELS4_3ELS4_3ELNS0_20block_scan_algorithmE0ELj4294967295EEENS1_25partition_config_selectorILNS1_17partition_subalgoE4EjNS0_10empty_typeEbEEZZNS1_14partition_implILS8_4ELb0ES6_15HIP_vector_typeIjLj2EENS0_17counting_iteratorIjlEEPS9_SG_NS0_5tupleIJPjSI_NS0_16reverse_iteratorISI_EEEEENSH_IJSG_SG_SG_EEES9_SI_JZNS1_25segmented_radix_sort_implINS0_14default_configELb1EPKiPiPKlPlN2at6native12_GLOBAL__N_18offset_tEEE10hipError_tPvRmT1_PNSt15iterator_traitsIS12_E10value_typeET2_T3_PNS13_IS18_E10value_typeET4_jRbjT5_S1E_jjP12ihipStream_tbEUljE_ZNSN_ISO_Lb1ESQ_SR_ST_SU_SY_EESZ_S10_S11_S12_S16_S17_S18_S1B_S1C_jS1D_jS1E_S1E_jjS1G_bEUljE0_EEESZ_S10_S11_S18_S1C_S1E_T6_T7_T9_mT8_S1G_bDpT10_ENKUlT_T0_E_clISt17integral_constantIbLb0EES1T_IbLb1EEEEDaS1P_S1Q_EUlS1P_E_NS1_11comp_targetILNS1_3genE8ELNS1_11target_archE1030ELNS1_3gpuE2ELNS1_3repE0EEENS1_30default_config_static_selectorELNS0_4arch9wavefront6targetE0EEEvS12_.has_recursion, 0
	.set _ZN7rocprim17ROCPRIM_400000_NS6detail17trampoline_kernelINS0_13select_configILj256ELj13ELNS0_17block_load_methodE3ELS4_3ELS4_3ELNS0_20block_scan_algorithmE0ELj4294967295EEENS1_25partition_config_selectorILNS1_17partition_subalgoE4EjNS0_10empty_typeEbEEZZNS1_14partition_implILS8_4ELb0ES6_15HIP_vector_typeIjLj2EENS0_17counting_iteratorIjlEEPS9_SG_NS0_5tupleIJPjSI_NS0_16reverse_iteratorISI_EEEEENSH_IJSG_SG_SG_EEES9_SI_JZNS1_25segmented_radix_sort_implINS0_14default_configELb1EPKiPiPKlPlN2at6native12_GLOBAL__N_18offset_tEEE10hipError_tPvRmT1_PNSt15iterator_traitsIS12_E10value_typeET2_T3_PNS13_IS18_E10value_typeET4_jRbjT5_S1E_jjP12ihipStream_tbEUljE_ZNSN_ISO_Lb1ESQ_SR_ST_SU_SY_EESZ_S10_S11_S12_S16_S17_S18_S1B_S1C_jS1D_jS1E_S1E_jjS1G_bEUljE0_EEESZ_S10_S11_S18_S1C_S1E_T6_T7_T9_mT8_S1G_bDpT10_ENKUlT_T0_E_clISt17integral_constantIbLb0EES1T_IbLb1EEEEDaS1P_S1Q_EUlS1P_E_NS1_11comp_targetILNS1_3genE8ELNS1_11target_archE1030ELNS1_3gpuE2ELNS1_3repE0EEENS1_30default_config_static_selectorELNS0_4arch9wavefront6targetE0EEEvS12_.has_indirect_call, 0
	.section	.AMDGPU.csdata,"",@progbits
; Kernel info:
; codeLenInByte = 16368
; TotalNumSgprs: 57
; NumVgprs: 87
; ScratchSize: 0
; MemoryBound: 0
; FloatMode: 240
; IeeeMode: 1
; LDSByteSize: 13328 bytes/workgroup (compile time only)
; SGPRBlocks: 0
; VGPRBlocks: 10
; NumSGPRsForWavesPerEU: 57
; NumVGPRsForWavesPerEU: 87
; Occupancy: 10
; WaveLimiterHint : 1
; COMPUTE_PGM_RSRC2:SCRATCH_EN: 0
; COMPUTE_PGM_RSRC2:USER_SGPR: 6
; COMPUTE_PGM_RSRC2:TRAP_HANDLER: 0
; COMPUTE_PGM_RSRC2:TGID_X_EN: 1
; COMPUTE_PGM_RSRC2:TGID_Y_EN: 0
; COMPUTE_PGM_RSRC2:TGID_Z_EN: 0
; COMPUTE_PGM_RSRC2:TIDIG_COMP_CNT: 0
	.section	.text._ZN7rocprim17ROCPRIM_400000_NS6detail17trampoline_kernelINS0_13select_configILj256ELj13ELNS0_17block_load_methodE3ELS4_3ELS4_3ELNS0_20block_scan_algorithmE0ELj4294967295EEENS1_25partition_config_selectorILNS1_17partition_subalgoE3EjNS0_10empty_typeEbEEZZNS1_14partition_implILS8_3ELb0ES6_jNS0_17counting_iteratorIjlEEPS9_SE_NS0_5tupleIJPjSE_EEENSF_IJSE_SE_EEES9_SG_JZNS1_25segmented_radix_sort_implINS0_14default_configELb1EPKiPiPKlPlN2at6native12_GLOBAL__N_18offset_tEEE10hipError_tPvRmT1_PNSt15iterator_traitsISY_E10value_typeET2_T3_PNSZ_IS14_E10value_typeET4_jRbjT5_S1A_jjP12ihipStream_tbEUljE_EEESV_SW_SX_S14_S18_S1A_T6_T7_T9_mT8_S1C_bDpT10_ENKUlT_T0_E_clISt17integral_constantIbLb0EES1P_EEDaS1K_S1L_EUlS1K_E_NS1_11comp_targetILNS1_3genE0ELNS1_11target_archE4294967295ELNS1_3gpuE0ELNS1_3repE0EEENS1_30default_config_static_selectorELNS0_4arch9wavefront6targetE0EEEvSY_,"axG",@progbits,_ZN7rocprim17ROCPRIM_400000_NS6detail17trampoline_kernelINS0_13select_configILj256ELj13ELNS0_17block_load_methodE3ELS4_3ELS4_3ELNS0_20block_scan_algorithmE0ELj4294967295EEENS1_25partition_config_selectorILNS1_17partition_subalgoE3EjNS0_10empty_typeEbEEZZNS1_14partition_implILS8_3ELb0ES6_jNS0_17counting_iteratorIjlEEPS9_SE_NS0_5tupleIJPjSE_EEENSF_IJSE_SE_EEES9_SG_JZNS1_25segmented_radix_sort_implINS0_14default_configELb1EPKiPiPKlPlN2at6native12_GLOBAL__N_18offset_tEEE10hipError_tPvRmT1_PNSt15iterator_traitsISY_E10value_typeET2_T3_PNSZ_IS14_E10value_typeET4_jRbjT5_S1A_jjP12ihipStream_tbEUljE_EEESV_SW_SX_S14_S18_S1A_T6_T7_T9_mT8_S1C_bDpT10_ENKUlT_T0_E_clISt17integral_constantIbLb0EES1P_EEDaS1K_S1L_EUlS1K_E_NS1_11comp_targetILNS1_3genE0ELNS1_11target_archE4294967295ELNS1_3gpuE0ELNS1_3repE0EEENS1_30default_config_static_selectorELNS0_4arch9wavefront6targetE0EEEvSY_,comdat
	.globl	_ZN7rocprim17ROCPRIM_400000_NS6detail17trampoline_kernelINS0_13select_configILj256ELj13ELNS0_17block_load_methodE3ELS4_3ELS4_3ELNS0_20block_scan_algorithmE0ELj4294967295EEENS1_25partition_config_selectorILNS1_17partition_subalgoE3EjNS0_10empty_typeEbEEZZNS1_14partition_implILS8_3ELb0ES6_jNS0_17counting_iteratorIjlEEPS9_SE_NS0_5tupleIJPjSE_EEENSF_IJSE_SE_EEES9_SG_JZNS1_25segmented_radix_sort_implINS0_14default_configELb1EPKiPiPKlPlN2at6native12_GLOBAL__N_18offset_tEEE10hipError_tPvRmT1_PNSt15iterator_traitsISY_E10value_typeET2_T3_PNSZ_IS14_E10value_typeET4_jRbjT5_S1A_jjP12ihipStream_tbEUljE_EEESV_SW_SX_S14_S18_S1A_T6_T7_T9_mT8_S1C_bDpT10_ENKUlT_T0_E_clISt17integral_constantIbLb0EES1P_EEDaS1K_S1L_EUlS1K_E_NS1_11comp_targetILNS1_3genE0ELNS1_11target_archE4294967295ELNS1_3gpuE0ELNS1_3repE0EEENS1_30default_config_static_selectorELNS0_4arch9wavefront6targetE0EEEvSY_ ; -- Begin function _ZN7rocprim17ROCPRIM_400000_NS6detail17trampoline_kernelINS0_13select_configILj256ELj13ELNS0_17block_load_methodE3ELS4_3ELS4_3ELNS0_20block_scan_algorithmE0ELj4294967295EEENS1_25partition_config_selectorILNS1_17partition_subalgoE3EjNS0_10empty_typeEbEEZZNS1_14partition_implILS8_3ELb0ES6_jNS0_17counting_iteratorIjlEEPS9_SE_NS0_5tupleIJPjSE_EEENSF_IJSE_SE_EEES9_SG_JZNS1_25segmented_radix_sort_implINS0_14default_configELb1EPKiPiPKlPlN2at6native12_GLOBAL__N_18offset_tEEE10hipError_tPvRmT1_PNSt15iterator_traitsISY_E10value_typeET2_T3_PNSZ_IS14_E10value_typeET4_jRbjT5_S1A_jjP12ihipStream_tbEUljE_EEESV_SW_SX_S14_S18_S1A_T6_T7_T9_mT8_S1C_bDpT10_ENKUlT_T0_E_clISt17integral_constantIbLb0EES1P_EEDaS1K_S1L_EUlS1K_E_NS1_11comp_targetILNS1_3genE0ELNS1_11target_archE4294967295ELNS1_3gpuE0ELNS1_3repE0EEENS1_30default_config_static_selectorELNS0_4arch9wavefront6targetE0EEEvSY_
	.p2align	8
	.type	_ZN7rocprim17ROCPRIM_400000_NS6detail17trampoline_kernelINS0_13select_configILj256ELj13ELNS0_17block_load_methodE3ELS4_3ELS4_3ELNS0_20block_scan_algorithmE0ELj4294967295EEENS1_25partition_config_selectorILNS1_17partition_subalgoE3EjNS0_10empty_typeEbEEZZNS1_14partition_implILS8_3ELb0ES6_jNS0_17counting_iteratorIjlEEPS9_SE_NS0_5tupleIJPjSE_EEENSF_IJSE_SE_EEES9_SG_JZNS1_25segmented_radix_sort_implINS0_14default_configELb1EPKiPiPKlPlN2at6native12_GLOBAL__N_18offset_tEEE10hipError_tPvRmT1_PNSt15iterator_traitsISY_E10value_typeET2_T3_PNSZ_IS14_E10value_typeET4_jRbjT5_S1A_jjP12ihipStream_tbEUljE_EEESV_SW_SX_S14_S18_S1A_T6_T7_T9_mT8_S1C_bDpT10_ENKUlT_T0_E_clISt17integral_constantIbLb0EES1P_EEDaS1K_S1L_EUlS1K_E_NS1_11comp_targetILNS1_3genE0ELNS1_11target_archE4294967295ELNS1_3gpuE0ELNS1_3repE0EEENS1_30default_config_static_selectorELNS0_4arch9wavefront6targetE0EEEvSY_,@function
_ZN7rocprim17ROCPRIM_400000_NS6detail17trampoline_kernelINS0_13select_configILj256ELj13ELNS0_17block_load_methodE3ELS4_3ELS4_3ELNS0_20block_scan_algorithmE0ELj4294967295EEENS1_25partition_config_selectorILNS1_17partition_subalgoE3EjNS0_10empty_typeEbEEZZNS1_14partition_implILS8_3ELb0ES6_jNS0_17counting_iteratorIjlEEPS9_SE_NS0_5tupleIJPjSE_EEENSF_IJSE_SE_EEES9_SG_JZNS1_25segmented_radix_sort_implINS0_14default_configELb1EPKiPiPKlPlN2at6native12_GLOBAL__N_18offset_tEEE10hipError_tPvRmT1_PNSt15iterator_traitsISY_E10value_typeET2_T3_PNSZ_IS14_E10value_typeET4_jRbjT5_S1A_jjP12ihipStream_tbEUljE_EEESV_SW_SX_S14_S18_S1A_T6_T7_T9_mT8_S1C_bDpT10_ENKUlT_T0_E_clISt17integral_constantIbLb0EES1P_EEDaS1K_S1L_EUlS1K_E_NS1_11comp_targetILNS1_3genE0ELNS1_11target_archE4294967295ELNS1_3gpuE0ELNS1_3repE0EEENS1_30default_config_static_selectorELNS0_4arch9wavefront6targetE0EEEvSY_: ; @_ZN7rocprim17ROCPRIM_400000_NS6detail17trampoline_kernelINS0_13select_configILj256ELj13ELNS0_17block_load_methodE3ELS4_3ELS4_3ELNS0_20block_scan_algorithmE0ELj4294967295EEENS1_25partition_config_selectorILNS1_17partition_subalgoE3EjNS0_10empty_typeEbEEZZNS1_14partition_implILS8_3ELb0ES6_jNS0_17counting_iteratorIjlEEPS9_SE_NS0_5tupleIJPjSE_EEENSF_IJSE_SE_EEES9_SG_JZNS1_25segmented_radix_sort_implINS0_14default_configELb1EPKiPiPKlPlN2at6native12_GLOBAL__N_18offset_tEEE10hipError_tPvRmT1_PNSt15iterator_traitsISY_E10value_typeET2_T3_PNSZ_IS14_E10value_typeET4_jRbjT5_S1A_jjP12ihipStream_tbEUljE_EEESV_SW_SX_S14_S18_S1A_T6_T7_T9_mT8_S1C_bDpT10_ENKUlT_T0_E_clISt17integral_constantIbLb0EES1P_EEDaS1K_S1L_EUlS1K_E_NS1_11comp_targetILNS1_3genE0ELNS1_11target_archE4294967295ELNS1_3gpuE0ELNS1_3repE0EEENS1_30default_config_static_selectorELNS0_4arch9wavefront6targetE0EEEvSY_
; %bb.0:
	.section	.rodata,"a",@progbits
	.p2align	6, 0x0
	.amdhsa_kernel _ZN7rocprim17ROCPRIM_400000_NS6detail17trampoline_kernelINS0_13select_configILj256ELj13ELNS0_17block_load_methodE3ELS4_3ELS4_3ELNS0_20block_scan_algorithmE0ELj4294967295EEENS1_25partition_config_selectorILNS1_17partition_subalgoE3EjNS0_10empty_typeEbEEZZNS1_14partition_implILS8_3ELb0ES6_jNS0_17counting_iteratorIjlEEPS9_SE_NS0_5tupleIJPjSE_EEENSF_IJSE_SE_EEES9_SG_JZNS1_25segmented_radix_sort_implINS0_14default_configELb1EPKiPiPKlPlN2at6native12_GLOBAL__N_18offset_tEEE10hipError_tPvRmT1_PNSt15iterator_traitsISY_E10value_typeET2_T3_PNSZ_IS14_E10value_typeET4_jRbjT5_S1A_jjP12ihipStream_tbEUljE_EEESV_SW_SX_S14_S18_S1A_T6_T7_T9_mT8_S1C_bDpT10_ENKUlT_T0_E_clISt17integral_constantIbLb0EES1P_EEDaS1K_S1L_EUlS1K_E_NS1_11comp_targetILNS1_3genE0ELNS1_11target_archE4294967295ELNS1_3gpuE0ELNS1_3repE0EEENS1_30default_config_static_selectorELNS0_4arch9wavefront6targetE0EEEvSY_
		.amdhsa_group_segment_fixed_size 0
		.amdhsa_private_segment_fixed_size 0
		.amdhsa_kernarg_size 144
		.amdhsa_user_sgpr_count 6
		.amdhsa_user_sgpr_private_segment_buffer 1
		.amdhsa_user_sgpr_dispatch_ptr 0
		.amdhsa_user_sgpr_queue_ptr 0
		.amdhsa_user_sgpr_kernarg_segment_ptr 1
		.amdhsa_user_sgpr_dispatch_id 0
		.amdhsa_user_sgpr_flat_scratch_init 0
		.amdhsa_user_sgpr_private_segment_size 0
		.amdhsa_wavefront_size32 1
		.amdhsa_uses_dynamic_stack 0
		.amdhsa_system_sgpr_private_segment_wavefront_offset 0
		.amdhsa_system_sgpr_workgroup_id_x 1
		.amdhsa_system_sgpr_workgroup_id_y 0
		.amdhsa_system_sgpr_workgroup_id_z 0
		.amdhsa_system_sgpr_workgroup_info 0
		.amdhsa_system_vgpr_workitem_id 0
		.amdhsa_next_free_vgpr 1
		.amdhsa_next_free_sgpr 1
		.amdhsa_reserve_vcc 0
		.amdhsa_reserve_flat_scratch 0
		.amdhsa_float_round_mode_32 0
		.amdhsa_float_round_mode_16_64 0
		.amdhsa_float_denorm_mode_32 3
		.amdhsa_float_denorm_mode_16_64 3
		.amdhsa_dx10_clamp 1
		.amdhsa_ieee_mode 1
		.amdhsa_fp16_overflow 0
		.amdhsa_workgroup_processor_mode 1
		.amdhsa_memory_ordered 1
		.amdhsa_forward_progress 1
		.amdhsa_shared_vgpr_count 0
		.amdhsa_exception_fp_ieee_invalid_op 0
		.amdhsa_exception_fp_denorm_src 0
		.amdhsa_exception_fp_ieee_div_zero 0
		.amdhsa_exception_fp_ieee_overflow 0
		.amdhsa_exception_fp_ieee_underflow 0
		.amdhsa_exception_fp_ieee_inexact 0
		.amdhsa_exception_int_div_zero 0
	.end_amdhsa_kernel
	.section	.text._ZN7rocprim17ROCPRIM_400000_NS6detail17trampoline_kernelINS0_13select_configILj256ELj13ELNS0_17block_load_methodE3ELS4_3ELS4_3ELNS0_20block_scan_algorithmE0ELj4294967295EEENS1_25partition_config_selectorILNS1_17partition_subalgoE3EjNS0_10empty_typeEbEEZZNS1_14partition_implILS8_3ELb0ES6_jNS0_17counting_iteratorIjlEEPS9_SE_NS0_5tupleIJPjSE_EEENSF_IJSE_SE_EEES9_SG_JZNS1_25segmented_radix_sort_implINS0_14default_configELb1EPKiPiPKlPlN2at6native12_GLOBAL__N_18offset_tEEE10hipError_tPvRmT1_PNSt15iterator_traitsISY_E10value_typeET2_T3_PNSZ_IS14_E10value_typeET4_jRbjT5_S1A_jjP12ihipStream_tbEUljE_EEESV_SW_SX_S14_S18_S1A_T6_T7_T9_mT8_S1C_bDpT10_ENKUlT_T0_E_clISt17integral_constantIbLb0EES1P_EEDaS1K_S1L_EUlS1K_E_NS1_11comp_targetILNS1_3genE0ELNS1_11target_archE4294967295ELNS1_3gpuE0ELNS1_3repE0EEENS1_30default_config_static_selectorELNS0_4arch9wavefront6targetE0EEEvSY_,"axG",@progbits,_ZN7rocprim17ROCPRIM_400000_NS6detail17trampoline_kernelINS0_13select_configILj256ELj13ELNS0_17block_load_methodE3ELS4_3ELS4_3ELNS0_20block_scan_algorithmE0ELj4294967295EEENS1_25partition_config_selectorILNS1_17partition_subalgoE3EjNS0_10empty_typeEbEEZZNS1_14partition_implILS8_3ELb0ES6_jNS0_17counting_iteratorIjlEEPS9_SE_NS0_5tupleIJPjSE_EEENSF_IJSE_SE_EEES9_SG_JZNS1_25segmented_radix_sort_implINS0_14default_configELb1EPKiPiPKlPlN2at6native12_GLOBAL__N_18offset_tEEE10hipError_tPvRmT1_PNSt15iterator_traitsISY_E10value_typeET2_T3_PNSZ_IS14_E10value_typeET4_jRbjT5_S1A_jjP12ihipStream_tbEUljE_EEESV_SW_SX_S14_S18_S1A_T6_T7_T9_mT8_S1C_bDpT10_ENKUlT_T0_E_clISt17integral_constantIbLb0EES1P_EEDaS1K_S1L_EUlS1K_E_NS1_11comp_targetILNS1_3genE0ELNS1_11target_archE4294967295ELNS1_3gpuE0ELNS1_3repE0EEENS1_30default_config_static_selectorELNS0_4arch9wavefront6targetE0EEEvSY_,comdat
.Lfunc_end461:
	.size	_ZN7rocprim17ROCPRIM_400000_NS6detail17trampoline_kernelINS0_13select_configILj256ELj13ELNS0_17block_load_methodE3ELS4_3ELS4_3ELNS0_20block_scan_algorithmE0ELj4294967295EEENS1_25partition_config_selectorILNS1_17partition_subalgoE3EjNS0_10empty_typeEbEEZZNS1_14partition_implILS8_3ELb0ES6_jNS0_17counting_iteratorIjlEEPS9_SE_NS0_5tupleIJPjSE_EEENSF_IJSE_SE_EEES9_SG_JZNS1_25segmented_radix_sort_implINS0_14default_configELb1EPKiPiPKlPlN2at6native12_GLOBAL__N_18offset_tEEE10hipError_tPvRmT1_PNSt15iterator_traitsISY_E10value_typeET2_T3_PNSZ_IS14_E10value_typeET4_jRbjT5_S1A_jjP12ihipStream_tbEUljE_EEESV_SW_SX_S14_S18_S1A_T6_T7_T9_mT8_S1C_bDpT10_ENKUlT_T0_E_clISt17integral_constantIbLb0EES1P_EEDaS1K_S1L_EUlS1K_E_NS1_11comp_targetILNS1_3genE0ELNS1_11target_archE4294967295ELNS1_3gpuE0ELNS1_3repE0EEENS1_30default_config_static_selectorELNS0_4arch9wavefront6targetE0EEEvSY_, .Lfunc_end461-_ZN7rocprim17ROCPRIM_400000_NS6detail17trampoline_kernelINS0_13select_configILj256ELj13ELNS0_17block_load_methodE3ELS4_3ELS4_3ELNS0_20block_scan_algorithmE0ELj4294967295EEENS1_25partition_config_selectorILNS1_17partition_subalgoE3EjNS0_10empty_typeEbEEZZNS1_14partition_implILS8_3ELb0ES6_jNS0_17counting_iteratorIjlEEPS9_SE_NS0_5tupleIJPjSE_EEENSF_IJSE_SE_EEES9_SG_JZNS1_25segmented_radix_sort_implINS0_14default_configELb1EPKiPiPKlPlN2at6native12_GLOBAL__N_18offset_tEEE10hipError_tPvRmT1_PNSt15iterator_traitsISY_E10value_typeET2_T3_PNSZ_IS14_E10value_typeET4_jRbjT5_S1A_jjP12ihipStream_tbEUljE_EEESV_SW_SX_S14_S18_S1A_T6_T7_T9_mT8_S1C_bDpT10_ENKUlT_T0_E_clISt17integral_constantIbLb0EES1P_EEDaS1K_S1L_EUlS1K_E_NS1_11comp_targetILNS1_3genE0ELNS1_11target_archE4294967295ELNS1_3gpuE0ELNS1_3repE0EEENS1_30default_config_static_selectorELNS0_4arch9wavefront6targetE0EEEvSY_
                                        ; -- End function
	.set _ZN7rocprim17ROCPRIM_400000_NS6detail17trampoline_kernelINS0_13select_configILj256ELj13ELNS0_17block_load_methodE3ELS4_3ELS4_3ELNS0_20block_scan_algorithmE0ELj4294967295EEENS1_25partition_config_selectorILNS1_17partition_subalgoE3EjNS0_10empty_typeEbEEZZNS1_14partition_implILS8_3ELb0ES6_jNS0_17counting_iteratorIjlEEPS9_SE_NS0_5tupleIJPjSE_EEENSF_IJSE_SE_EEES9_SG_JZNS1_25segmented_radix_sort_implINS0_14default_configELb1EPKiPiPKlPlN2at6native12_GLOBAL__N_18offset_tEEE10hipError_tPvRmT1_PNSt15iterator_traitsISY_E10value_typeET2_T3_PNSZ_IS14_E10value_typeET4_jRbjT5_S1A_jjP12ihipStream_tbEUljE_EEESV_SW_SX_S14_S18_S1A_T6_T7_T9_mT8_S1C_bDpT10_ENKUlT_T0_E_clISt17integral_constantIbLb0EES1P_EEDaS1K_S1L_EUlS1K_E_NS1_11comp_targetILNS1_3genE0ELNS1_11target_archE4294967295ELNS1_3gpuE0ELNS1_3repE0EEENS1_30default_config_static_selectorELNS0_4arch9wavefront6targetE0EEEvSY_.num_vgpr, 0
	.set _ZN7rocprim17ROCPRIM_400000_NS6detail17trampoline_kernelINS0_13select_configILj256ELj13ELNS0_17block_load_methodE3ELS4_3ELS4_3ELNS0_20block_scan_algorithmE0ELj4294967295EEENS1_25partition_config_selectorILNS1_17partition_subalgoE3EjNS0_10empty_typeEbEEZZNS1_14partition_implILS8_3ELb0ES6_jNS0_17counting_iteratorIjlEEPS9_SE_NS0_5tupleIJPjSE_EEENSF_IJSE_SE_EEES9_SG_JZNS1_25segmented_radix_sort_implINS0_14default_configELb1EPKiPiPKlPlN2at6native12_GLOBAL__N_18offset_tEEE10hipError_tPvRmT1_PNSt15iterator_traitsISY_E10value_typeET2_T3_PNSZ_IS14_E10value_typeET4_jRbjT5_S1A_jjP12ihipStream_tbEUljE_EEESV_SW_SX_S14_S18_S1A_T6_T7_T9_mT8_S1C_bDpT10_ENKUlT_T0_E_clISt17integral_constantIbLb0EES1P_EEDaS1K_S1L_EUlS1K_E_NS1_11comp_targetILNS1_3genE0ELNS1_11target_archE4294967295ELNS1_3gpuE0ELNS1_3repE0EEENS1_30default_config_static_selectorELNS0_4arch9wavefront6targetE0EEEvSY_.num_agpr, 0
	.set _ZN7rocprim17ROCPRIM_400000_NS6detail17trampoline_kernelINS0_13select_configILj256ELj13ELNS0_17block_load_methodE3ELS4_3ELS4_3ELNS0_20block_scan_algorithmE0ELj4294967295EEENS1_25partition_config_selectorILNS1_17partition_subalgoE3EjNS0_10empty_typeEbEEZZNS1_14partition_implILS8_3ELb0ES6_jNS0_17counting_iteratorIjlEEPS9_SE_NS0_5tupleIJPjSE_EEENSF_IJSE_SE_EEES9_SG_JZNS1_25segmented_radix_sort_implINS0_14default_configELb1EPKiPiPKlPlN2at6native12_GLOBAL__N_18offset_tEEE10hipError_tPvRmT1_PNSt15iterator_traitsISY_E10value_typeET2_T3_PNSZ_IS14_E10value_typeET4_jRbjT5_S1A_jjP12ihipStream_tbEUljE_EEESV_SW_SX_S14_S18_S1A_T6_T7_T9_mT8_S1C_bDpT10_ENKUlT_T0_E_clISt17integral_constantIbLb0EES1P_EEDaS1K_S1L_EUlS1K_E_NS1_11comp_targetILNS1_3genE0ELNS1_11target_archE4294967295ELNS1_3gpuE0ELNS1_3repE0EEENS1_30default_config_static_selectorELNS0_4arch9wavefront6targetE0EEEvSY_.numbered_sgpr, 0
	.set _ZN7rocprim17ROCPRIM_400000_NS6detail17trampoline_kernelINS0_13select_configILj256ELj13ELNS0_17block_load_methodE3ELS4_3ELS4_3ELNS0_20block_scan_algorithmE0ELj4294967295EEENS1_25partition_config_selectorILNS1_17partition_subalgoE3EjNS0_10empty_typeEbEEZZNS1_14partition_implILS8_3ELb0ES6_jNS0_17counting_iteratorIjlEEPS9_SE_NS0_5tupleIJPjSE_EEENSF_IJSE_SE_EEES9_SG_JZNS1_25segmented_radix_sort_implINS0_14default_configELb1EPKiPiPKlPlN2at6native12_GLOBAL__N_18offset_tEEE10hipError_tPvRmT1_PNSt15iterator_traitsISY_E10value_typeET2_T3_PNSZ_IS14_E10value_typeET4_jRbjT5_S1A_jjP12ihipStream_tbEUljE_EEESV_SW_SX_S14_S18_S1A_T6_T7_T9_mT8_S1C_bDpT10_ENKUlT_T0_E_clISt17integral_constantIbLb0EES1P_EEDaS1K_S1L_EUlS1K_E_NS1_11comp_targetILNS1_3genE0ELNS1_11target_archE4294967295ELNS1_3gpuE0ELNS1_3repE0EEENS1_30default_config_static_selectorELNS0_4arch9wavefront6targetE0EEEvSY_.num_named_barrier, 0
	.set _ZN7rocprim17ROCPRIM_400000_NS6detail17trampoline_kernelINS0_13select_configILj256ELj13ELNS0_17block_load_methodE3ELS4_3ELS4_3ELNS0_20block_scan_algorithmE0ELj4294967295EEENS1_25partition_config_selectorILNS1_17partition_subalgoE3EjNS0_10empty_typeEbEEZZNS1_14partition_implILS8_3ELb0ES6_jNS0_17counting_iteratorIjlEEPS9_SE_NS0_5tupleIJPjSE_EEENSF_IJSE_SE_EEES9_SG_JZNS1_25segmented_radix_sort_implINS0_14default_configELb1EPKiPiPKlPlN2at6native12_GLOBAL__N_18offset_tEEE10hipError_tPvRmT1_PNSt15iterator_traitsISY_E10value_typeET2_T3_PNSZ_IS14_E10value_typeET4_jRbjT5_S1A_jjP12ihipStream_tbEUljE_EEESV_SW_SX_S14_S18_S1A_T6_T7_T9_mT8_S1C_bDpT10_ENKUlT_T0_E_clISt17integral_constantIbLb0EES1P_EEDaS1K_S1L_EUlS1K_E_NS1_11comp_targetILNS1_3genE0ELNS1_11target_archE4294967295ELNS1_3gpuE0ELNS1_3repE0EEENS1_30default_config_static_selectorELNS0_4arch9wavefront6targetE0EEEvSY_.private_seg_size, 0
	.set _ZN7rocprim17ROCPRIM_400000_NS6detail17trampoline_kernelINS0_13select_configILj256ELj13ELNS0_17block_load_methodE3ELS4_3ELS4_3ELNS0_20block_scan_algorithmE0ELj4294967295EEENS1_25partition_config_selectorILNS1_17partition_subalgoE3EjNS0_10empty_typeEbEEZZNS1_14partition_implILS8_3ELb0ES6_jNS0_17counting_iteratorIjlEEPS9_SE_NS0_5tupleIJPjSE_EEENSF_IJSE_SE_EEES9_SG_JZNS1_25segmented_radix_sort_implINS0_14default_configELb1EPKiPiPKlPlN2at6native12_GLOBAL__N_18offset_tEEE10hipError_tPvRmT1_PNSt15iterator_traitsISY_E10value_typeET2_T3_PNSZ_IS14_E10value_typeET4_jRbjT5_S1A_jjP12ihipStream_tbEUljE_EEESV_SW_SX_S14_S18_S1A_T6_T7_T9_mT8_S1C_bDpT10_ENKUlT_T0_E_clISt17integral_constantIbLb0EES1P_EEDaS1K_S1L_EUlS1K_E_NS1_11comp_targetILNS1_3genE0ELNS1_11target_archE4294967295ELNS1_3gpuE0ELNS1_3repE0EEENS1_30default_config_static_selectorELNS0_4arch9wavefront6targetE0EEEvSY_.uses_vcc, 0
	.set _ZN7rocprim17ROCPRIM_400000_NS6detail17trampoline_kernelINS0_13select_configILj256ELj13ELNS0_17block_load_methodE3ELS4_3ELS4_3ELNS0_20block_scan_algorithmE0ELj4294967295EEENS1_25partition_config_selectorILNS1_17partition_subalgoE3EjNS0_10empty_typeEbEEZZNS1_14partition_implILS8_3ELb0ES6_jNS0_17counting_iteratorIjlEEPS9_SE_NS0_5tupleIJPjSE_EEENSF_IJSE_SE_EEES9_SG_JZNS1_25segmented_radix_sort_implINS0_14default_configELb1EPKiPiPKlPlN2at6native12_GLOBAL__N_18offset_tEEE10hipError_tPvRmT1_PNSt15iterator_traitsISY_E10value_typeET2_T3_PNSZ_IS14_E10value_typeET4_jRbjT5_S1A_jjP12ihipStream_tbEUljE_EEESV_SW_SX_S14_S18_S1A_T6_T7_T9_mT8_S1C_bDpT10_ENKUlT_T0_E_clISt17integral_constantIbLb0EES1P_EEDaS1K_S1L_EUlS1K_E_NS1_11comp_targetILNS1_3genE0ELNS1_11target_archE4294967295ELNS1_3gpuE0ELNS1_3repE0EEENS1_30default_config_static_selectorELNS0_4arch9wavefront6targetE0EEEvSY_.uses_flat_scratch, 0
	.set _ZN7rocprim17ROCPRIM_400000_NS6detail17trampoline_kernelINS0_13select_configILj256ELj13ELNS0_17block_load_methodE3ELS4_3ELS4_3ELNS0_20block_scan_algorithmE0ELj4294967295EEENS1_25partition_config_selectorILNS1_17partition_subalgoE3EjNS0_10empty_typeEbEEZZNS1_14partition_implILS8_3ELb0ES6_jNS0_17counting_iteratorIjlEEPS9_SE_NS0_5tupleIJPjSE_EEENSF_IJSE_SE_EEES9_SG_JZNS1_25segmented_radix_sort_implINS0_14default_configELb1EPKiPiPKlPlN2at6native12_GLOBAL__N_18offset_tEEE10hipError_tPvRmT1_PNSt15iterator_traitsISY_E10value_typeET2_T3_PNSZ_IS14_E10value_typeET4_jRbjT5_S1A_jjP12ihipStream_tbEUljE_EEESV_SW_SX_S14_S18_S1A_T6_T7_T9_mT8_S1C_bDpT10_ENKUlT_T0_E_clISt17integral_constantIbLb0EES1P_EEDaS1K_S1L_EUlS1K_E_NS1_11comp_targetILNS1_3genE0ELNS1_11target_archE4294967295ELNS1_3gpuE0ELNS1_3repE0EEENS1_30default_config_static_selectorELNS0_4arch9wavefront6targetE0EEEvSY_.has_dyn_sized_stack, 0
	.set _ZN7rocprim17ROCPRIM_400000_NS6detail17trampoline_kernelINS0_13select_configILj256ELj13ELNS0_17block_load_methodE3ELS4_3ELS4_3ELNS0_20block_scan_algorithmE0ELj4294967295EEENS1_25partition_config_selectorILNS1_17partition_subalgoE3EjNS0_10empty_typeEbEEZZNS1_14partition_implILS8_3ELb0ES6_jNS0_17counting_iteratorIjlEEPS9_SE_NS0_5tupleIJPjSE_EEENSF_IJSE_SE_EEES9_SG_JZNS1_25segmented_radix_sort_implINS0_14default_configELb1EPKiPiPKlPlN2at6native12_GLOBAL__N_18offset_tEEE10hipError_tPvRmT1_PNSt15iterator_traitsISY_E10value_typeET2_T3_PNSZ_IS14_E10value_typeET4_jRbjT5_S1A_jjP12ihipStream_tbEUljE_EEESV_SW_SX_S14_S18_S1A_T6_T7_T9_mT8_S1C_bDpT10_ENKUlT_T0_E_clISt17integral_constantIbLb0EES1P_EEDaS1K_S1L_EUlS1K_E_NS1_11comp_targetILNS1_3genE0ELNS1_11target_archE4294967295ELNS1_3gpuE0ELNS1_3repE0EEENS1_30default_config_static_selectorELNS0_4arch9wavefront6targetE0EEEvSY_.has_recursion, 0
	.set _ZN7rocprim17ROCPRIM_400000_NS6detail17trampoline_kernelINS0_13select_configILj256ELj13ELNS0_17block_load_methodE3ELS4_3ELS4_3ELNS0_20block_scan_algorithmE0ELj4294967295EEENS1_25partition_config_selectorILNS1_17partition_subalgoE3EjNS0_10empty_typeEbEEZZNS1_14partition_implILS8_3ELb0ES6_jNS0_17counting_iteratorIjlEEPS9_SE_NS0_5tupleIJPjSE_EEENSF_IJSE_SE_EEES9_SG_JZNS1_25segmented_radix_sort_implINS0_14default_configELb1EPKiPiPKlPlN2at6native12_GLOBAL__N_18offset_tEEE10hipError_tPvRmT1_PNSt15iterator_traitsISY_E10value_typeET2_T3_PNSZ_IS14_E10value_typeET4_jRbjT5_S1A_jjP12ihipStream_tbEUljE_EEESV_SW_SX_S14_S18_S1A_T6_T7_T9_mT8_S1C_bDpT10_ENKUlT_T0_E_clISt17integral_constantIbLb0EES1P_EEDaS1K_S1L_EUlS1K_E_NS1_11comp_targetILNS1_3genE0ELNS1_11target_archE4294967295ELNS1_3gpuE0ELNS1_3repE0EEENS1_30default_config_static_selectorELNS0_4arch9wavefront6targetE0EEEvSY_.has_indirect_call, 0
	.section	.AMDGPU.csdata,"",@progbits
; Kernel info:
; codeLenInByte = 0
; TotalNumSgprs: 0
; NumVgprs: 0
; ScratchSize: 0
; MemoryBound: 0
; FloatMode: 240
; IeeeMode: 1
; LDSByteSize: 0 bytes/workgroup (compile time only)
; SGPRBlocks: 0
; VGPRBlocks: 0
; NumSGPRsForWavesPerEU: 1
; NumVGPRsForWavesPerEU: 1
; Occupancy: 16
; WaveLimiterHint : 0
; COMPUTE_PGM_RSRC2:SCRATCH_EN: 0
; COMPUTE_PGM_RSRC2:USER_SGPR: 6
; COMPUTE_PGM_RSRC2:TRAP_HANDLER: 0
; COMPUTE_PGM_RSRC2:TGID_X_EN: 1
; COMPUTE_PGM_RSRC2:TGID_Y_EN: 0
; COMPUTE_PGM_RSRC2:TGID_Z_EN: 0
; COMPUTE_PGM_RSRC2:TIDIG_COMP_CNT: 0
	.section	.text._ZN7rocprim17ROCPRIM_400000_NS6detail17trampoline_kernelINS0_13select_configILj256ELj13ELNS0_17block_load_methodE3ELS4_3ELS4_3ELNS0_20block_scan_algorithmE0ELj4294967295EEENS1_25partition_config_selectorILNS1_17partition_subalgoE3EjNS0_10empty_typeEbEEZZNS1_14partition_implILS8_3ELb0ES6_jNS0_17counting_iteratorIjlEEPS9_SE_NS0_5tupleIJPjSE_EEENSF_IJSE_SE_EEES9_SG_JZNS1_25segmented_radix_sort_implINS0_14default_configELb1EPKiPiPKlPlN2at6native12_GLOBAL__N_18offset_tEEE10hipError_tPvRmT1_PNSt15iterator_traitsISY_E10value_typeET2_T3_PNSZ_IS14_E10value_typeET4_jRbjT5_S1A_jjP12ihipStream_tbEUljE_EEESV_SW_SX_S14_S18_S1A_T6_T7_T9_mT8_S1C_bDpT10_ENKUlT_T0_E_clISt17integral_constantIbLb0EES1P_EEDaS1K_S1L_EUlS1K_E_NS1_11comp_targetILNS1_3genE5ELNS1_11target_archE942ELNS1_3gpuE9ELNS1_3repE0EEENS1_30default_config_static_selectorELNS0_4arch9wavefront6targetE0EEEvSY_,"axG",@progbits,_ZN7rocprim17ROCPRIM_400000_NS6detail17trampoline_kernelINS0_13select_configILj256ELj13ELNS0_17block_load_methodE3ELS4_3ELS4_3ELNS0_20block_scan_algorithmE0ELj4294967295EEENS1_25partition_config_selectorILNS1_17partition_subalgoE3EjNS0_10empty_typeEbEEZZNS1_14partition_implILS8_3ELb0ES6_jNS0_17counting_iteratorIjlEEPS9_SE_NS0_5tupleIJPjSE_EEENSF_IJSE_SE_EEES9_SG_JZNS1_25segmented_radix_sort_implINS0_14default_configELb1EPKiPiPKlPlN2at6native12_GLOBAL__N_18offset_tEEE10hipError_tPvRmT1_PNSt15iterator_traitsISY_E10value_typeET2_T3_PNSZ_IS14_E10value_typeET4_jRbjT5_S1A_jjP12ihipStream_tbEUljE_EEESV_SW_SX_S14_S18_S1A_T6_T7_T9_mT8_S1C_bDpT10_ENKUlT_T0_E_clISt17integral_constantIbLb0EES1P_EEDaS1K_S1L_EUlS1K_E_NS1_11comp_targetILNS1_3genE5ELNS1_11target_archE942ELNS1_3gpuE9ELNS1_3repE0EEENS1_30default_config_static_selectorELNS0_4arch9wavefront6targetE0EEEvSY_,comdat
	.globl	_ZN7rocprim17ROCPRIM_400000_NS6detail17trampoline_kernelINS0_13select_configILj256ELj13ELNS0_17block_load_methodE3ELS4_3ELS4_3ELNS0_20block_scan_algorithmE0ELj4294967295EEENS1_25partition_config_selectorILNS1_17partition_subalgoE3EjNS0_10empty_typeEbEEZZNS1_14partition_implILS8_3ELb0ES6_jNS0_17counting_iteratorIjlEEPS9_SE_NS0_5tupleIJPjSE_EEENSF_IJSE_SE_EEES9_SG_JZNS1_25segmented_radix_sort_implINS0_14default_configELb1EPKiPiPKlPlN2at6native12_GLOBAL__N_18offset_tEEE10hipError_tPvRmT1_PNSt15iterator_traitsISY_E10value_typeET2_T3_PNSZ_IS14_E10value_typeET4_jRbjT5_S1A_jjP12ihipStream_tbEUljE_EEESV_SW_SX_S14_S18_S1A_T6_T7_T9_mT8_S1C_bDpT10_ENKUlT_T0_E_clISt17integral_constantIbLb0EES1P_EEDaS1K_S1L_EUlS1K_E_NS1_11comp_targetILNS1_3genE5ELNS1_11target_archE942ELNS1_3gpuE9ELNS1_3repE0EEENS1_30default_config_static_selectorELNS0_4arch9wavefront6targetE0EEEvSY_ ; -- Begin function _ZN7rocprim17ROCPRIM_400000_NS6detail17trampoline_kernelINS0_13select_configILj256ELj13ELNS0_17block_load_methodE3ELS4_3ELS4_3ELNS0_20block_scan_algorithmE0ELj4294967295EEENS1_25partition_config_selectorILNS1_17partition_subalgoE3EjNS0_10empty_typeEbEEZZNS1_14partition_implILS8_3ELb0ES6_jNS0_17counting_iteratorIjlEEPS9_SE_NS0_5tupleIJPjSE_EEENSF_IJSE_SE_EEES9_SG_JZNS1_25segmented_radix_sort_implINS0_14default_configELb1EPKiPiPKlPlN2at6native12_GLOBAL__N_18offset_tEEE10hipError_tPvRmT1_PNSt15iterator_traitsISY_E10value_typeET2_T3_PNSZ_IS14_E10value_typeET4_jRbjT5_S1A_jjP12ihipStream_tbEUljE_EEESV_SW_SX_S14_S18_S1A_T6_T7_T9_mT8_S1C_bDpT10_ENKUlT_T0_E_clISt17integral_constantIbLb0EES1P_EEDaS1K_S1L_EUlS1K_E_NS1_11comp_targetILNS1_3genE5ELNS1_11target_archE942ELNS1_3gpuE9ELNS1_3repE0EEENS1_30default_config_static_selectorELNS0_4arch9wavefront6targetE0EEEvSY_
	.p2align	8
	.type	_ZN7rocprim17ROCPRIM_400000_NS6detail17trampoline_kernelINS0_13select_configILj256ELj13ELNS0_17block_load_methodE3ELS4_3ELS4_3ELNS0_20block_scan_algorithmE0ELj4294967295EEENS1_25partition_config_selectorILNS1_17partition_subalgoE3EjNS0_10empty_typeEbEEZZNS1_14partition_implILS8_3ELb0ES6_jNS0_17counting_iteratorIjlEEPS9_SE_NS0_5tupleIJPjSE_EEENSF_IJSE_SE_EEES9_SG_JZNS1_25segmented_radix_sort_implINS0_14default_configELb1EPKiPiPKlPlN2at6native12_GLOBAL__N_18offset_tEEE10hipError_tPvRmT1_PNSt15iterator_traitsISY_E10value_typeET2_T3_PNSZ_IS14_E10value_typeET4_jRbjT5_S1A_jjP12ihipStream_tbEUljE_EEESV_SW_SX_S14_S18_S1A_T6_T7_T9_mT8_S1C_bDpT10_ENKUlT_T0_E_clISt17integral_constantIbLb0EES1P_EEDaS1K_S1L_EUlS1K_E_NS1_11comp_targetILNS1_3genE5ELNS1_11target_archE942ELNS1_3gpuE9ELNS1_3repE0EEENS1_30default_config_static_selectorELNS0_4arch9wavefront6targetE0EEEvSY_,@function
_ZN7rocprim17ROCPRIM_400000_NS6detail17trampoline_kernelINS0_13select_configILj256ELj13ELNS0_17block_load_methodE3ELS4_3ELS4_3ELNS0_20block_scan_algorithmE0ELj4294967295EEENS1_25partition_config_selectorILNS1_17partition_subalgoE3EjNS0_10empty_typeEbEEZZNS1_14partition_implILS8_3ELb0ES6_jNS0_17counting_iteratorIjlEEPS9_SE_NS0_5tupleIJPjSE_EEENSF_IJSE_SE_EEES9_SG_JZNS1_25segmented_radix_sort_implINS0_14default_configELb1EPKiPiPKlPlN2at6native12_GLOBAL__N_18offset_tEEE10hipError_tPvRmT1_PNSt15iterator_traitsISY_E10value_typeET2_T3_PNSZ_IS14_E10value_typeET4_jRbjT5_S1A_jjP12ihipStream_tbEUljE_EEESV_SW_SX_S14_S18_S1A_T6_T7_T9_mT8_S1C_bDpT10_ENKUlT_T0_E_clISt17integral_constantIbLb0EES1P_EEDaS1K_S1L_EUlS1K_E_NS1_11comp_targetILNS1_3genE5ELNS1_11target_archE942ELNS1_3gpuE9ELNS1_3repE0EEENS1_30default_config_static_selectorELNS0_4arch9wavefront6targetE0EEEvSY_: ; @_ZN7rocprim17ROCPRIM_400000_NS6detail17trampoline_kernelINS0_13select_configILj256ELj13ELNS0_17block_load_methodE3ELS4_3ELS4_3ELNS0_20block_scan_algorithmE0ELj4294967295EEENS1_25partition_config_selectorILNS1_17partition_subalgoE3EjNS0_10empty_typeEbEEZZNS1_14partition_implILS8_3ELb0ES6_jNS0_17counting_iteratorIjlEEPS9_SE_NS0_5tupleIJPjSE_EEENSF_IJSE_SE_EEES9_SG_JZNS1_25segmented_radix_sort_implINS0_14default_configELb1EPKiPiPKlPlN2at6native12_GLOBAL__N_18offset_tEEE10hipError_tPvRmT1_PNSt15iterator_traitsISY_E10value_typeET2_T3_PNSZ_IS14_E10value_typeET4_jRbjT5_S1A_jjP12ihipStream_tbEUljE_EEESV_SW_SX_S14_S18_S1A_T6_T7_T9_mT8_S1C_bDpT10_ENKUlT_T0_E_clISt17integral_constantIbLb0EES1P_EEDaS1K_S1L_EUlS1K_E_NS1_11comp_targetILNS1_3genE5ELNS1_11target_archE942ELNS1_3gpuE9ELNS1_3repE0EEENS1_30default_config_static_selectorELNS0_4arch9wavefront6targetE0EEEvSY_
; %bb.0:
	.section	.rodata,"a",@progbits
	.p2align	6, 0x0
	.amdhsa_kernel _ZN7rocprim17ROCPRIM_400000_NS6detail17trampoline_kernelINS0_13select_configILj256ELj13ELNS0_17block_load_methodE3ELS4_3ELS4_3ELNS0_20block_scan_algorithmE0ELj4294967295EEENS1_25partition_config_selectorILNS1_17partition_subalgoE3EjNS0_10empty_typeEbEEZZNS1_14partition_implILS8_3ELb0ES6_jNS0_17counting_iteratorIjlEEPS9_SE_NS0_5tupleIJPjSE_EEENSF_IJSE_SE_EEES9_SG_JZNS1_25segmented_radix_sort_implINS0_14default_configELb1EPKiPiPKlPlN2at6native12_GLOBAL__N_18offset_tEEE10hipError_tPvRmT1_PNSt15iterator_traitsISY_E10value_typeET2_T3_PNSZ_IS14_E10value_typeET4_jRbjT5_S1A_jjP12ihipStream_tbEUljE_EEESV_SW_SX_S14_S18_S1A_T6_T7_T9_mT8_S1C_bDpT10_ENKUlT_T0_E_clISt17integral_constantIbLb0EES1P_EEDaS1K_S1L_EUlS1K_E_NS1_11comp_targetILNS1_3genE5ELNS1_11target_archE942ELNS1_3gpuE9ELNS1_3repE0EEENS1_30default_config_static_selectorELNS0_4arch9wavefront6targetE0EEEvSY_
		.amdhsa_group_segment_fixed_size 0
		.amdhsa_private_segment_fixed_size 0
		.amdhsa_kernarg_size 144
		.amdhsa_user_sgpr_count 6
		.amdhsa_user_sgpr_private_segment_buffer 1
		.amdhsa_user_sgpr_dispatch_ptr 0
		.amdhsa_user_sgpr_queue_ptr 0
		.amdhsa_user_sgpr_kernarg_segment_ptr 1
		.amdhsa_user_sgpr_dispatch_id 0
		.amdhsa_user_sgpr_flat_scratch_init 0
		.amdhsa_user_sgpr_private_segment_size 0
		.amdhsa_wavefront_size32 1
		.amdhsa_uses_dynamic_stack 0
		.amdhsa_system_sgpr_private_segment_wavefront_offset 0
		.amdhsa_system_sgpr_workgroup_id_x 1
		.amdhsa_system_sgpr_workgroup_id_y 0
		.amdhsa_system_sgpr_workgroup_id_z 0
		.amdhsa_system_sgpr_workgroup_info 0
		.amdhsa_system_vgpr_workitem_id 0
		.amdhsa_next_free_vgpr 1
		.amdhsa_next_free_sgpr 1
		.amdhsa_reserve_vcc 0
		.amdhsa_reserve_flat_scratch 0
		.amdhsa_float_round_mode_32 0
		.amdhsa_float_round_mode_16_64 0
		.amdhsa_float_denorm_mode_32 3
		.amdhsa_float_denorm_mode_16_64 3
		.amdhsa_dx10_clamp 1
		.amdhsa_ieee_mode 1
		.amdhsa_fp16_overflow 0
		.amdhsa_workgroup_processor_mode 1
		.amdhsa_memory_ordered 1
		.amdhsa_forward_progress 1
		.amdhsa_shared_vgpr_count 0
		.amdhsa_exception_fp_ieee_invalid_op 0
		.amdhsa_exception_fp_denorm_src 0
		.amdhsa_exception_fp_ieee_div_zero 0
		.amdhsa_exception_fp_ieee_overflow 0
		.amdhsa_exception_fp_ieee_underflow 0
		.amdhsa_exception_fp_ieee_inexact 0
		.amdhsa_exception_int_div_zero 0
	.end_amdhsa_kernel
	.section	.text._ZN7rocprim17ROCPRIM_400000_NS6detail17trampoline_kernelINS0_13select_configILj256ELj13ELNS0_17block_load_methodE3ELS4_3ELS4_3ELNS0_20block_scan_algorithmE0ELj4294967295EEENS1_25partition_config_selectorILNS1_17partition_subalgoE3EjNS0_10empty_typeEbEEZZNS1_14partition_implILS8_3ELb0ES6_jNS0_17counting_iteratorIjlEEPS9_SE_NS0_5tupleIJPjSE_EEENSF_IJSE_SE_EEES9_SG_JZNS1_25segmented_radix_sort_implINS0_14default_configELb1EPKiPiPKlPlN2at6native12_GLOBAL__N_18offset_tEEE10hipError_tPvRmT1_PNSt15iterator_traitsISY_E10value_typeET2_T3_PNSZ_IS14_E10value_typeET4_jRbjT5_S1A_jjP12ihipStream_tbEUljE_EEESV_SW_SX_S14_S18_S1A_T6_T7_T9_mT8_S1C_bDpT10_ENKUlT_T0_E_clISt17integral_constantIbLb0EES1P_EEDaS1K_S1L_EUlS1K_E_NS1_11comp_targetILNS1_3genE5ELNS1_11target_archE942ELNS1_3gpuE9ELNS1_3repE0EEENS1_30default_config_static_selectorELNS0_4arch9wavefront6targetE0EEEvSY_,"axG",@progbits,_ZN7rocprim17ROCPRIM_400000_NS6detail17trampoline_kernelINS0_13select_configILj256ELj13ELNS0_17block_load_methodE3ELS4_3ELS4_3ELNS0_20block_scan_algorithmE0ELj4294967295EEENS1_25partition_config_selectorILNS1_17partition_subalgoE3EjNS0_10empty_typeEbEEZZNS1_14partition_implILS8_3ELb0ES6_jNS0_17counting_iteratorIjlEEPS9_SE_NS0_5tupleIJPjSE_EEENSF_IJSE_SE_EEES9_SG_JZNS1_25segmented_radix_sort_implINS0_14default_configELb1EPKiPiPKlPlN2at6native12_GLOBAL__N_18offset_tEEE10hipError_tPvRmT1_PNSt15iterator_traitsISY_E10value_typeET2_T3_PNSZ_IS14_E10value_typeET4_jRbjT5_S1A_jjP12ihipStream_tbEUljE_EEESV_SW_SX_S14_S18_S1A_T6_T7_T9_mT8_S1C_bDpT10_ENKUlT_T0_E_clISt17integral_constantIbLb0EES1P_EEDaS1K_S1L_EUlS1K_E_NS1_11comp_targetILNS1_3genE5ELNS1_11target_archE942ELNS1_3gpuE9ELNS1_3repE0EEENS1_30default_config_static_selectorELNS0_4arch9wavefront6targetE0EEEvSY_,comdat
.Lfunc_end462:
	.size	_ZN7rocprim17ROCPRIM_400000_NS6detail17trampoline_kernelINS0_13select_configILj256ELj13ELNS0_17block_load_methodE3ELS4_3ELS4_3ELNS0_20block_scan_algorithmE0ELj4294967295EEENS1_25partition_config_selectorILNS1_17partition_subalgoE3EjNS0_10empty_typeEbEEZZNS1_14partition_implILS8_3ELb0ES6_jNS0_17counting_iteratorIjlEEPS9_SE_NS0_5tupleIJPjSE_EEENSF_IJSE_SE_EEES9_SG_JZNS1_25segmented_radix_sort_implINS0_14default_configELb1EPKiPiPKlPlN2at6native12_GLOBAL__N_18offset_tEEE10hipError_tPvRmT1_PNSt15iterator_traitsISY_E10value_typeET2_T3_PNSZ_IS14_E10value_typeET4_jRbjT5_S1A_jjP12ihipStream_tbEUljE_EEESV_SW_SX_S14_S18_S1A_T6_T7_T9_mT8_S1C_bDpT10_ENKUlT_T0_E_clISt17integral_constantIbLb0EES1P_EEDaS1K_S1L_EUlS1K_E_NS1_11comp_targetILNS1_3genE5ELNS1_11target_archE942ELNS1_3gpuE9ELNS1_3repE0EEENS1_30default_config_static_selectorELNS0_4arch9wavefront6targetE0EEEvSY_, .Lfunc_end462-_ZN7rocprim17ROCPRIM_400000_NS6detail17trampoline_kernelINS0_13select_configILj256ELj13ELNS0_17block_load_methodE3ELS4_3ELS4_3ELNS0_20block_scan_algorithmE0ELj4294967295EEENS1_25partition_config_selectorILNS1_17partition_subalgoE3EjNS0_10empty_typeEbEEZZNS1_14partition_implILS8_3ELb0ES6_jNS0_17counting_iteratorIjlEEPS9_SE_NS0_5tupleIJPjSE_EEENSF_IJSE_SE_EEES9_SG_JZNS1_25segmented_radix_sort_implINS0_14default_configELb1EPKiPiPKlPlN2at6native12_GLOBAL__N_18offset_tEEE10hipError_tPvRmT1_PNSt15iterator_traitsISY_E10value_typeET2_T3_PNSZ_IS14_E10value_typeET4_jRbjT5_S1A_jjP12ihipStream_tbEUljE_EEESV_SW_SX_S14_S18_S1A_T6_T7_T9_mT8_S1C_bDpT10_ENKUlT_T0_E_clISt17integral_constantIbLb0EES1P_EEDaS1K_S1L_EUlS1K_E_NS1_11comp_targetILNS1_3genE5ELNS1_11target_archE942ELNS1_3gpuE9ELNS1_3repE0EEENS1_30default_config_static_selectorELNS0_4arch9wavefront6targetE0EEEvSY_
                                        ; -- End function
	.set _ZN7rocprim17ROCPRIM_400000_NS6detail17trampoline_kernelINS0_13select_configILj256ELj13ELNS0_17block_load_methodE3ELS4_3ELS4_3ELNS0_20block_scan_algorithmE0ELj4294967295EEENS1_25partition_config_selectorILNS1_17partition_subalgoE3EjNS0_10empty_typeEbEEZZNS1_14partition_implILS8_3ELb0ES6_jNS0_17counting_iteratorIjlEEPS9_SE_NS0_5tupleIJPjSE_EEENSF_IJSE_SE_EEES9_SG_JZNS1_25segmented_radix_sort_implINS0_14default_configELb1EPKiPiPKlPlN2at6native12_GLOBAL__N_18offset_tEEE10hipError_tPvRmT1_PNSt15iterator_traitsISY_E10value_typeET2_T3_PNSZ_IS14_E10value_typeET4_jRbjT5_S1A_jjP12ihipStream_tbEUljE_EEESV_SW_SX_S14_S18_S1A_T6_T7_T9_mT8_S1C_bDpT10_ENKUlT_T0_E_clISt17integral_constantIbLb0EES1P_EEDaS1K_S1L_EUlS1K_E_NS1_11comp_targetILNS1_3genE5ELNS1_11target_archE942ELNS1_3gpuE9ELNS1_3repE0EEENS1_30default_config_static_selectorELNS0_4arch9wavefront6targetE0EEEvSY_.num_vgpr, 0
	.set _ZN7rocprim17ROCPRIM_400000_NS6detail17trampoline_kernelINS0_13select_configILj256ELj13ELNS0_17block_load_methodE3ELS4_3ELS4_3ELNS0_20block_scan_algorithmE0ELj4294967295EEENS1_25partition_config_selectorILNS1_17partition_subalgoE3EjNS0_10empty_typeEbEEZZNS1_14partition_implILS8_3ELb0ES6_jNS0_17counting_iteratorIjlEEPS9_SE_NS0_5tupleIJPjSE_EEENSF_IJSE_SE_EEES9_SG_JZNS1_25segmented_radix_sort_implINS0_14default_configELb1EPKiPiPKlPlN2at6native12_GLOBAL__N_18offset_tEEE10hipError_tPvRmT1_PNSt15iterator_traitsISY_E10value_typeET2_T3_PNSZ_IS14_E10value_typeET4_jRbjT5_S1A_jjP12ihipStream_tbEUljE_EEESV_SW_SX_S14_S18_S1A_T6_T7_T9_mT8_S1C_bDpT10_ENKUlT_T0_E_clISt17integral_constantIbLb0EES1P_EEDaS1K_S1L_EUlS1K_E_NS1_11comp_targetILNS1_3genE5ELNS1_11target_archE942ELNS1_3gpuE9ELNS1_3repE0EEENS1_30default_config_static_selectorELNS0_4arch9wavefront6targetE0EEEvSY_.num_agpr, 0
	.set _ZN7rocprim17ROCPRIM_400000_NS6detail17trampoline_kernelINS0_13select_configILj256ELj13ELNS0_17block_load_methodE3ELS4_3ELS4_3ELNS0_20block_scan_algorithmE0ELj4294967295EEENS1_25partition_config_selectorILNS1_17partition_subalgoE3EjNS0_10empty_typeEbEEZZNS1_14partition_implILS8_3ELb0ES6_jNS0_17counting_iteratorIjlEEPS9_SE_NS0_5tupleIJPjSE_EEENSF_IJSE_SE_EEES9_SG_JZNS1_25segmented_radix_sort_implINS0_14default_configELb1EPKiPiPKlPlN2at6native12_GLOBAL__N_18offset_tEEE10hipError_tPvRmT1_PNSt15iterator_traitsISY_E10value_typeET2_T3_PNSZ_IS14_E10value_typeET4_jRbjT5_S1A_jjP12ihipStream_tbEUljE_EEESV_SW_SX_S14_S18_S1A_T6_T7_T9_mT8_S1C_bDpT10_ENKUlT_T0_E_clISt17integral_constantIbLb0EES1P_EEDaS1K_S1L_EUlS1K_E_NS1_11comp_targetILNS1_3genE5ELNS1_11target_archE942ELNS1_3gpuE9ELNS1_3repE0EEENS1_30default_config_static_selectorELNS0_4arch9wavefront6targetE0EEEvSY_.numbered_sgpr, 0
	.set _ZN7rocprim17ROCPRIM_400000_NS6detail17trampoline_kernelINS0_13select_configILj256ELj13ELNS0_17block_load_methodE3ELS4_3ELS4_3ELNS0_20block_scan_algorithmE0ELj4294967295EEENS1_25partition_config_selectorILNS1_17partition_subalgoE3EjNS0_10empty_typeEbEEZZNS1_14partition_implILS8_3ELb0ES6_jNS0_17counting_iteratorIjlEEPS9_SE_NS0_5tupleIJPjSE_EEENSF_IJSE_SE_EEES9_SG_JZNS1_25segmented_radix_sort_implINS0_14default_configELb1EPKiPiPKlPlN2at6native12_GLOBAL__N_18offset_tEEE10hipError_tPvRmT1_PNSt15iterator_traitsISY_E10value_typeET2_T3_PNSZ_IS14_E10value_typeET4_jRbjT5_S1A_jjP12ihipStream_tbEUljE_EEESV_SW_SX_S14_S18_S1A_T6_T7_T9_mT8_S1C_bDpT10_ENKUlT_T0_E_clISt17integral_constantIbLb0EES1P_EEDaS1K_S1L_EUlS1K_E_NS1_11comp_targetILNS1_3genE5ELNS1_11target_archE942ELNS1_3gpuE9ELNS1_3repE0EEENS1_30default_config_static_selectorELNS0_4arch9wavefront6targetE0EEEvSY_.num_named_barrier, 0
	.set _ZN7rocprim17ROCPRIM_400000_NS6detail17trampoline_kernelINS0_13select_configILj256ELj13ELNS0_17block_load_methodE3ELS4_3ELS4_3ELNS0_20block_scan_algorithmE0ELj4294967295EEENS1_25partition_config_selectorILNS1_17partition_subalgoE3EjNS0_10empty_typeEbEEZZNS1_14partition_implILS8_3ELb0ES6_jNS0_17counting_iteratorIjlEEPS9_SE_NS0_5tupleIJPjSE_EEENSF_IJSE_SE_EEES9_SG_JZNS1_25segmented_radix_sort_implINS0_14default_configELb1EPKiPiPKlPlN2at6native12_GLOBAL__N_18offset_tEEE10hipError_tPvRmT1_PNSt15iterator_traitsISY_E10value_typeET2_T3_PNSZ_IS14_E10value_typeET4_jRbjT5_S1A_jjP12ihipStream_tbEUljE_EEESV_SW_SX_S14_S18_S1A_T6_T7_T9_mT8_S1C_bDpT10_ENKUlT_T0_E_clISt17integral_constantIbLb0EES1P_EEDaS1K_S1L_EUlS1K_E_NS1_11comp_targetILNS1_3genE5ELNS1_11target_archE942ELNS1_3gpuE9ELNS1_3repE0EEENS1_30default_config_static_selectorELNS0_4arch9wavefront6targetE0EEEvSY_.private_seg_size, 0
	.set _ZN7rocprim17ROCPRIM_400000_NS6detail17trampoline_kernelINS0_13select_configILj256ELj13ELNS0_17block_load_methodE3ELS4_3ELS4_3ELNS0_20block_scan_algorithmE0ELj4294967295EEENS1_25partition_config_selectorILNS1_17partition_subalgoE3EjNS0_10empty_typeEbEEZZNS1_14partition_implILS8_3ELb0ES6_jNS0_17counting_iteratorIjlEEPS9_SE_NS0_5tupleIJPjSE_EEENSF_IJSE_SE_EEES9_SG_JZNS1_25segmented_radix_sort_implINS0_14default_configELb1EPKiPiPKlPlN2at6native12_GLOBAL__N_18offset_tEEE10hipError_tPvRmT1_PNSt15iterator_traitsISY_E10value_typeET2_T3_PNSZ_IS14_E10value_typeET4_jRbjT5_S1A_jjP12ihipStream_tbEUljE_EEESV_SW_SX_S14_S18_S1A_T6_T7_T9_mT8_S1C_bDpT10_ENKUlT_T0_E_clISt17integral_constantIbLb0EES1P_EEDaS1K_S1L_EUlS1K_E_NS1_11comp_targetILNS1_3genE5ELNS1_11target_archE942ELNS1_3gpuE9ELNS1_3repE0EEENS1_30default_config_static_selectorELNS0_4arch9wavefront6targetE0EEEvSY_.uses_vcc, 0
	.set _ZN7rocprim17ROCPRIM_400000_NS6detail17trampoline_kernelINS0_13select_configILj256ELj13ELNS0_17block_load_methodE3ELS4_3ELS4_3ELNS0_20block_scan_algorithmE0ELj4294967295EEENS1_25partition_config_selectorILNS1_17partition_subalgoE3EjNS0_10empty_typeEbEEZZNS1_14partition_implILS8_3ELb0ES6_jNS0_17counting_iteratorIjlEEPS9_SE_NS0_5tupleIJPjSE_EEENSF_IJSE_SE_EEES9_SG_JZNS1_25segmented_radix_sort_implINS0_14default_configELb1EPKiPiPKlPlN2at6native12_GLOBAL__N_18offset_tEEE10hipError_tPvRmT1_PNSt15iterator_traitsISY_E10value_typeET2_T3_PNSZ_IS14_E10value_typeET4_jRbjT5_S1A_jjP12ihipStream_tbEUljE_EEESV_SW_SX_S14_S18_S1A_T6_T7_T9_mT8_S1C_bDpT10_ENKUlT_T0_E_clISt17integral_constantIbLb0EES1P_EEDaS1K_S1L_EUlS1K_E_NS1_11comp_targetILNS1_3genE5ELNS1_11target_archE942ELNS1_3gpuE9ELNS1_3repE0EEENS1_30default_config_static_selectorELNS0_4arch9wavefront6targetE0EEEvSY_.uses_flat_scratch, 0
	.set _ZN7rocprim17ROCPRIM_400000_NS6detail17trampoline_kernelINS0_13select_configILj256ELj13ELNS0_17block_load_methodE3ELS4_3ELS4_3ELNS0_20block_scan_algorithmE0ELj4294967295EEENS1_25partition_config_selectorILNS1_17partition_subalgoE3EjNS0_10empty_typeEbEEZZNS1_14partition_implILS8_3ELb0ES6_jNS0_17counting_iteratorIjlEEPS9_SE_NS0_5tupleIJPjSE_EEENSF_IJSE_SE_EEES9_SG_JZNS1_25segmented_radix_sort_implINS0_14default_configELb1EPKiPiPKlPlN2at6native12_GLOBAL__N_18offset_tEEE10hipError_tPvRmT1_PNSt15iterator_traitsISY_E10value_typeET2_T3_PNSZ_IS14_E10value_typeET4_jRbjT5_S1A_jjP12ihipStream_tbEUljE_EEESV_SW_SX_S14_S18_S1A_T6_T7_T9_mT8_S1C_bDpT10_ENKUlT_T0_E_clISt17integral_constantIbLb0EES1P_EEDaS1K_S1L_EUlS1K_E_NS1_11comp_targetILNS1_3genE5ELNS1_11target_archE942ELNS1_3gpuE9ELNS1_3repE0EEENS1_30default_config_static_selectorELNS0_4arch9wavefront6targetE0EEEvSY_.has_dyn_sized_stack, 0
	.set _ZN7rocprim17ROCPRIM_400000_NS6detail17trampoline_kernelINS0_13select_configILj256ELj13ELNS0_17block_load_methodE3ELS4_3ELS4_3ELNS0_20block_scan_algorithmE0ELj4294967295EEENS1_25partition_config_selectorILNS1_17partition_subalgoE3EjNS0_10empty_typeEbEEZZNS1_14partition_implILS8_3ELb0ES6_jNS0_17counting_iteratorIjlEEPS9_SE_NS0_5tupleIJPjSE_EEENSF_IJSE_SE_EEES9_SG_JZNS1_25segmented_radix_sort_implINS0_14default_configELb1EPKiPiPKlPlN2at6native12_GLOBAL__N_18offset_tEEE10hipError_tPvRmT1_PNSt15iterator_traitsISY_E10value_typeET2_T3_PNSZ_IS14_E10value_typeET4_jRbjT5_S1A_jjP12ihipStream_tbEUljE_EEESV_SW_SX_S14_S18_S1A_T6_T7_T9_mT8_S1C_bDpT10_ENKUlT_T0_E_clISt17integral_constantIbLb0EES1P_EEDaS1K_S1L_EUlS1K_E_NS1_11comp_targetILNS1_3genE5ELNS1_11target_archE942ELNS1_3gpuE9ELNS1_3repE0EEENS1_30default_config_static_selectorELNS0_4arch9wavefront6targetE0EEEvSY_.has_recursion, 0
	.set _ZN7rocprim17ROCPRIM_400000_NS6detail17trampoline_kernelINS0_13select_configILj256ELj13ELNS0_17block_load_methodE3ELS4_3ELS4_3ELNS0_20block_scan_algorithmE0ELj4294967295EEENS1_25partition_config_selectorILNS1_17partition_subalgoE3EjNS0_10empty_typeEbEEZZNS1_14partition_implILS8_3ELb0ES6_jNS0_17counting_iteratorIjlEEPS9_SE_NS0_5tupleIJPjSE_EEENSF_IJSE_SE_EEES9_SG_JZNS1_25segmented_radix_sort_implINS0_14default_configELb1EPKiPiPKlPlN2at6native12_GLOBAL__N_18offset_tEEE10hipError_tPvRmT1_PNSt15iterator_traitsISY_E10value_typeET2_T3_PNSZ_IS14_E10value_typeET4_jRbjT5_S1A_jjP12ihipStream_tbEUljE_EEESV_SW_SX_S14_S18_S1A_T6_T7_T9_mT8_S1C_bDpT10_ENKUlT_T0_E_clISt17integral_constantIbLb0EES1P_EEDaS1K_S1L_EUlS1K_E_NS1_11comp_targetILNS1_3genE5ELNS1_11target_archE942ELNS1_3gpuE9ELNS1_3repE0EEENS1_30default_config_static_selectorELNS0_4arch9wavefront6targetE0EEEvSY_.has_indirect_call, 0
	.section	.AMDGPU.csdata,"",@progbits
; Kernel info:
; codeLenInByte = 0
; TotalNumSgprs: 0
; NumVgprs: 0
; ScratchSize: 0
; MemoryBound: 0
; FloatMode: 240
; IeeeMode: 1
; LDSByteSize: 0 bytes/workgroup (compile time only)
; SGPRBlocks: 0
; VGPRBlocks: 0
; NumSGPRsForWavesPerEU: 1
; NumVGPRsForWavesPerEU: 1
; Occupancy: 16
; WaveLimiterHint : 0
; COMPUTE_PGM_RSRC2:SCRATCH_EN: 0
; COMPUTE_PGM_RSRC2:USER_SGPR: 6
; COMPUTE_PGM_RSRC2:TRAP_HANDLER: 0
; COMPUTE_PGM_RSRC2:TGID_X_EN: 1
; COMPUTE_PGM_RSRC2:TGID_Y_EN: 0
; COMPUTE_PGM_RSRC2:TGID_Z_EN: 0
; COMPUTE_PGM_RSRC2:TIDIG_COMP_CNT: 0
	.section	.text._ZN7rocprim17ROCPRIM_400000_NS6detail17trampoline_kernelINS0_13select_configILj256ELj13ELNS0_17block_load_methodE3ELS4_3ELS4_3ELNS0_20block_scan_algorithmE0ELj4294967295EEENS1_25partition_config_selectorILNS1_17partition_subalgoE3EjNS0_10empty_typeEbEEZZNS1_14partition_implILS8_3ELb0ES6_jNS0_17counting_iteratorIjlEEPS9_SE_NS0_5tupleIJPjSE_EEENSF_IJSE_SE_EEES9_SG_JZNS1_25segmented_radix_sort_implINS0_14default_configELb1EPKiPiPKlPlN2at6native12_GLOBAL__N_18offset_tEEE10hipError_tPvRmT1_PNSt15iterator_traitsISY_E10value_typeET2_T3_PNSZ_IS14_E10value_typeET4_jRbjT5_S1A_jjP12ihipStream_tbEUljE_EEESV_SW_SX_S14_S18_S1A_T6_T7_T9_mT8_S1C_bDpT10_ENKUlT_T0_E_clISt17integral_constantIbLb0EES1P_EEDaS1K_S1L_EUlS1K_E_NS1_11comp_targetILNS1_3genE4ELNS1_11target_archE910ELNS1_3gpuE8ELNS1_3repE0EEENS1_30default_config_static_selectorELNS0_4arch9wavefront6targetE0EEEvSY_,"axG",@progbits,_ZN7rocprim17ROCPRIM_400000_NS6detail17trampoline_kernelINS0_13select_configILj256ELj13ELNS0_17block_load_methodE3ELS4_3ELS4_3ELNS0_20block_scan_algorithmE0ELj4294967295EEENS1_25partition_config_selectorILNS1_17partition_subalgoE3EjNS0_10empty_typeEbEEZZNS1_14partition_implILS8_3ELb0ES6_jNS0_17counting_iteratorIjlEEPS9_SE_NS0_5tupleIJPjSE_EEENSF_IJSE_SE_EEES9_SG_JZNS1_25segmented_radix_sort_implINS0_14default_configELb1EPKiPiPKlPlN2at6native12_GLOBAL__N_18offset_tEEE10hipError_tPvRmT1_PNSt15iterator_traitsISY_E10value_typeET2_T3_PNSZ_IS14_E10value_typeET4_jRbjT5_S1A_jjP12ihipStream_tbEUljE_EEESV_SW_SX_S14_S18_S1A_T6_T7_T9_mT8_S1C_bDpT10_ENKUlT_T0_E_clISt17integral_constantIbLb0EES1P_EEDaS1K_S1L_EUlS1K_E_NS1_11comp_targetILNS1_3genE4ELNS1_11target_archE910ELNS1_3gpuE8ELNS1_3repE0EEENS1_30default_config_static_selectorELNS0_4arch9wavefront6targetE0EEEvSY_,comdat
	.globl	_ZN7rocprim17ROCPRIM_400000_NS6detail17trampoline_kernelINS0_13select_configILj256ELj13ELNS0_17block_load_methodE3ELS4_3ELS4_3ELNS0_20block_scan_algorithmE0ELj4294967295EEENS1_25partition_config_selectorILNS1_17partition_subalgoE3EjNS0_10empty_typeEbEEZZNS1_14partition_implILS8_3ELb0ES6_jNS0_17counting_iteratorIjlEEPS9_SE_NS0_5tupleIJPjSE_EEENSF_IJSE_SE_EEES9_SG_JZNS1_25segmented_radix_sort_implINS0_14default_configELb1EPKiPiPKlPlN2at6native12_GLOBAL__N_18offset_tEEE10hipError_tPvRmT1_PNSt15iterator_traitsISY_E10value_typeET2_T3_PNSZ_IS14_E10value_typeET4_jRbjT5_S1A_jjP12ihipStream_tbEUljE_EEESV_SW_SX_S14_S18_S1A_T6_T7_T9_mT8_S1C_bDpT10_ENKUlT_T0_E_clISt17integral_constantIbLb0EES1P_EEDaS1K_S1L_EUlS1K_E_NS1_11comp_targetILNS1_3genE4ELNS1_11target_archE910ELNS1_3gpuE8ELNS1_3repE0EEENS1_30default_config_static_selectorELNS0_4arch9wavefront6targetE0EEEvSY_ ; -- Begin function _ZN7rocprim17ROCPRIM_400000_NS6detail17trampoline_kernelINS0_13select_configILj256ELj13ELNS0_17block_load_methodE3ELS4_3ELS4_3ELNS0_20block_scan_algorithmE0ELj4294967295EEENS1_25partition_config_selectorILNS1_17partition_subalgoE3EjNS0_10empty_typeEbEEZZNS1_14partition_implILS8_3ELb0ES6_jNS0_17counting_iteratorIjlEEPS9_SE_NS0_5tupleIJPjSE_EEENSF_IJSE_SE_EEES9_SG_JZNS1_25segmented_radix_sort_implINS0_14default_configELb1EPKiPiPKlPlN2at6native12_GLOBAL__N_18offset_tEEE10hipError_tPvRmT1_PNSt15iterator_traitsISY_E10value_typeET2_T3_PNSZ_IS14_E10value_typeET4_jRbjT5_S1A_jjP12ihipStream_tbEUljE_EEESV_SW_SX_S14_S18_S1A_T6_T7_T9_mT8_S1C_bDpT10_ENKUlT_T0_E_clISt17integral_constantIbLb0EES1P_EEDaS1K_S1L_EUlS1K_E_NS1_11comp_targetILNS1_3genE4ELNS1_11target_archE910ELNS1_3gpuE8ELNS1_3repE0EEENS1_30default_config_static_selectorELNS0_4arch9wavefront6targetE0EEEvSY_
	.p2align	8
	.type	_ZN7rocprim17ROCPRIM_400000_NS6detail17trampoline_kernelINS0_13select_configILj256ELj13ELNS0_17block_load_methodE3ELS4_3ELS4_3ELNS0_20block_scan_algorithmE0ELj4294967295EEENS1_25partition_config_selectorILNS1_17partition_subalgoE3EjNS0_10empty_typeEbEEZZNS1_14partition_implILS8_3ELb0ES6_jNS0_17counting_iteratorIjlEEPS9_SE_NS0_5tupleIJPjSE_EEENSF_IJSE_SE_EEES9_SG_JZNS1_25segmented_radix_sort_implINS0_14default_configELb1EPKiPiPKlPlN2at6native12_GLOBAL__N_18offset_tEEE10hipError_tPvRmT1_PNSt15iterator_traitsISY_E10value_typeET2_T3_PNSZ_IS14_E10value_typeET4_jRbjT5_S1A_jjP12ihipStream_tbEUljE_EEESV_SW_SX_S14_S18_S1A_T6_T7_T9_mT8_S1C_bDpT10_ENKUlT_T0_E_clISt17integral_constantIbLb0EES1P_EEDaS1K_S1L_EUlS1K_E_NS1_11comp_targetILNS1_3genE4ELNS1_11target_archE910ELNS1_3gpuE8ELNS1_3repE0EEENS1_30default_config_static_selectorELNS0_4arch9wavefront6targetE0EEEvSY_,@function
_ZN7rocprim17ROCPRIM_400000_NS6detail17trampoline_kernelINS0_13select_configILj256ELj13ELNS0_17block_load_methodE3ELS4_3ELS4_3ELNS0_20block_scan_algorithmE0ELj4294967295EEENS1_25partition_config_selectorILNS1_17partition_subalgoE3EjNS0_10empty_typeEbEEZZNS1_14partition_implILS8_3ELb0ES6_jNS0_17counting_iteratorIjlEEPS9_SE_NS0_5tupleIJPjSE_EEENSF_IJSE_SE_EEES9_SG_JZNS1_25segmented_radix_sort_implINS0_14default_configELb1EPKiPiPKlPlN2at6native12_GLOBAL__N_18offset_tEEE10hipError_tPvRmT1_PNSt15iterator_traitsISY_E10value_typeET2_T3_PNSZ_IS14_E10value_typeET4_jRbjT5_S1A_jjP12ihipStream_tbEUljE_EEESV_SW_SX_S14_S18_S1A_T6_T7_T9_mT8_S1C_bDpT10_ENKUlT_T0_E_clISt17integral_constantIbLb0EES1P_EEDaS1K_S1L_EUlS1K_E_NS1_11comp_targetILNS1_3genE4ELNS1_11target_archE910ELNS1_3gpuE8ELNS1_3repE0EEENS1_30default_config_static_selectorELNS0_4arch9wavefront6targetE0EEEvSY_: ; @_ZN7rocprim17ROCPRIM_400000_NS6detail17trampoline_kernelINS0_13select_configILj256ELj13ELNS0_17block_load_methodE3ELS4_3ELS4_3ELNS0_20block_scan_algorithmE0ELj4294967295EEENS1_25partition_config_selectorILNS1_17partition_subalgoE3EjNS0_10empty_typeEbEEZZNS1_14partition_implILS8_3ELb0ES6_jNS0_17counting_iteratorIjlEEPS9_SE_NS0_5tupleIJPjSE_EEENSF_IJSE_SE_EEES9_SG_JZNS1_25segmented_radix_sort_implINS0_14default_configELb1EPKiPiPKlPlN2at6native12_GLOBAL__N_18offset_tEEE10hipError_tPvRmT1_PNSt15iterator_traitsISY_E10value_typeET2_T3_PNSZ_IS14_E10value_typeET4_jRbjT5_S1A_jjP12ihipStream_tbEUljE_EEESV_SW_SX_S14_S18_S1A_T6_T7_T9_mT8_S1C_bDpT10_ENKUlT_T0_E_clISt17integral_constantIbLb0EES1P_EEDaS1K_S1L_EUlS1K_E_NS1_11comp_targetILNS1_3genE4ELNS1_11target_archE910ELNS1_3gpuE8ELNS1_3repE0EEENS1_30default_config_static_selectorELNS0_4arch9wavefront6targetE0EEEvSY_
; %bb.0:
	.section	.rodata,"a",@progbits
	.p2align	6, 0x0
	.amdhsa_kernel _ZN7rocprim17ROCPRIM_400000_NS6detail17trampoline_kernelINS0_13select_configILj256ELj13ELNS0_17block_load_methodE3ELS4_3ELS4_3ELNS0_20block_scan_algorithmE0ELj4294967295EEENS1_25partition_config_selectorILNS1_17partition_subalgoE3EjNS0_10empty_typeEbEEZZNS1_14partition_implILS8_3ELb0ES6_jNS0_17counting_iteratorIjlEEPS9_SE_NS0_5tupleIJPjSE_EEENSF_IJSE_SE_EEES9_SG_JZNS1_25segmented_radix_sort_implINS0_14default_configELb1EPKiPiPKlPlN2at6native12_GLOBAL__N_18offset_tEEE10hipError_tPvRmT1_PNSt15iterator_traitsISY_E10value_typeET2_T3_PNSZ_IS14_E10value_typeET4_jRbjT5_S1A_jjP12ihipStream_tbEUljE_EEESV_SW_SX_S14_S18_S1A_T6_T7_T9_mT8_S1C_bDpT10_ENKUlT_T0_E_clISt17integral_constantIbLb0EES1P_EEDaS1K_S1L_EUlS1K_E_NS1_11comp_targetILNS1_3genE4ELNS1_11target_archE910ELNS1_3gpuE8ELNS1_3repE0EEENS1_30default_config_static_selectorELNS0_4arch9wavefront6targetE0EEEvSY_
		.amdhsa_group_segment_fixed_size 0
		.amdhsa_private_segment_fixed_size 0
		.amdhsa_kernarg_size 144
		.amdhsa_user_sgpr_count 6
		.amdhsa_user_sgpr_private_segment_buffer 1
		.amdhsa_user_sgpr_dispatch_ptr 0
		.amdhsa_user_sgpr_queue_ptr 0
		.amdhsa_user_sgpr_kernarg_segment_ptr 1
		.amdhsa_user_sgpr_dispatch_id 0
		.amdhsa_user_sgpr_flat_scratch_init 0
		.amdhsa_user_sgpr_private_segment_size 0
		.amdhsa_wavefront_size32 1
		.amdhsa_uses_dynamic_stack 0
		.amdhsa_system_sgpr_private_segment_wavefront_offset 0
		.amdhsa_system_sgpr_workgroup_id_x 1
		.amdhsa_system_sgpr_workgroup_id_y 0
		.amdhsa_system_sgpr_workgroup_id_z 0
		.amdhsa_system_sgpr_workgroup_info 0
		.amdhsa_system_vgpr_workitem_id 0
		.amdhsa_next_free_vgpr 1
		.amdhsa_next_free_sgpr 1
		.amdhsa_reserve_vcc 0
		.amdhsa_reserve_flat_scratch 0
		.amdhsa_float_round_mode_32 0
		.amdhsa_float_round_mode_16_64 0
		.amdhsa_float_denorm_mode_32 3
		.amdhsa_float_denorm_mode_16_64 3
		.amdhsa_dx10_clamp 1
		.amdhsa_ieee_mode 1
		.amdhsa_fp16_overflow 0
		.amdhsa_workgroup_processor_mode 1
		.amdhsa_memory_ordered 1
		.amdhsa_forward_progress 1
		.amdhsa_shared_vgpr_count 0
		.amdhsa_exception_fp_ieee_invalid_op 0
		.amdhsa_exception_fp_denorm_src 0
		.amdhsa_exception_fp_ieee_div_zero 0
		.amdhsa_exception_fp_ieee_overflow 0
		.amdhsa_exception_fp_ieee_underflow 0
		.amdhsa_exception_fp_ieee_inexact 0
		.amdhsa_exception_int_div_zero 0
	.end_amdhsa_kernel
	.section	.text._ZN7rocprim17ROCPRIM_400000_NS6detail17trampoline_kernelINS0_13select_configILj256ELj13ELNS0_17block_load_methodE3ELS4_3ELS4_3ELNS0_20block_scan_algorithmE0ELj4294967295EEENS1_25partition_config_selectorILNS1_17partition_subalgoE3EjNS0_10empty_typeEbEEZZNS1_14partition_implILS8_3ELb0ES6_jNS0_17counting_iteratorIjlEEPS9_SE_NS0_5tupleIJPjSE_EEENSF_IJSE_SE_EEES9_SG_JZNS1_25segmented_radix_sort_implINS0_14default_configELb1EPKiPiPKlPlN2at6native12_GLOBAL__N_18offset_tEEE10hipError_tPvRmT1_PNSt15iterator_traitsISY_E10value_typeET2_T3_PNSZ_IS14_E10value_typeET4_jRbjT5_S1A_jjP12ihipStream_tbEUljE_EEESV_SW_SX_S14_S18_S1A_T6_T7_T9_mT8_S1C_bDpT10_ENKUlT_T0_E_clISt17integral_constantIbLb0EES1P_EEDaS1K_S1L_EUlS1K_E_NS1_11comp_targetILNS1_3genE4ELNS1_11target_archE910ELNS1_3gpuE8ELNS1_3repE0EEENS1_30default_config_static_selectorELNS0_4arch9wavefront6targetE0EEEvSY_,"axG",@progbits,_ZN7rocprim17ROCPRIM_400000_NS6detail17trampoline_kernelINS0_13select_configILj256ELj13ELNS0_17block_load_methodE3ELS4_3ELS4_3ELNS0_20block_scan_algorithmE0ELj4294967295EEENS1_25partition_config_selectorILNS1_17partition_subalgoE3EjNS0_10empty_typeEbEEZZNS1_14partition_implILS8_3ELb0ES6_jNS0_17counting_iteratorIjlEEPS9_SE_NS0_5tupleIJPjSE_EEENSF_IJSE_SE_EEES9_SG_JZNS1_25segmented_radix_sort_implINS0_14default_configELb1EPKiPiPKlPlN2at6native12_GLOBAL__N_18offset_tEEE10hipError_tPvRmT1_PNSt15iterator_traitsISY_E10value_typeET2_T3_PNSZ_IS14_E10value_typeET4_jRbjT5_S1A_jjP12ihipStream_tbEUljE_EEESV_SW_SX_S14_S18_S1A_T6_T7_T9_mT8_S1C_bDpT10_ENKUlT_T0_E_clISt17integral_constantIbLb0EES1P_EEDaS1K_S1L_EUlS1K_E_NS1_11comp_targetILNS1_3genE4ELNS1_11target_archE910ELNS1_3gpuE8ELNS1_3repE0EEENS1_30default_config_static_selectorELNS0_4arch9wavefront6targetE0EEEvSY_,comdat
.Lfunc_end463:
	.size	_ZN7rocprim17ROCPRIM_400000_NS6detail17trampoline_kernelINS0_13select_configILj256ELj13ELNS0_17block_load_methodE3ELS4_3ELS4_3ELNS0_20block_scan_algorithmE0ELj4294967295EEENS1_25partition_config_selectorILNS1_17partition_subalgoE3EjNS0_10empty_typeEbEEZZNS1_14partition_implILS8_3ELb0ES6_jNS0_17counting_iteratorIjlEEPS9_SE_NS0_5tupleIJPjSE_EEENSF_IJSE_SE_EEES9_SG_JZNS1_25segmented_radix_sort_implINS0_14default_configELb1EPKiPiPKlPlN2at6native12_GLOBAL__N_18offset_tEEE10hipError_tPvRmT1_PNSt15iterator_traitsISY_E10value_typeET2_T3_PNSZ_IS14_E10value_typeET4_jRbjT5_S1A_jjP12ihipStream_tbEUljE_EEESV_SW_SX_S14_S18_S1A_T6_T7_T9_mT8_S1C_bDpT10_ENKUlT_T0_E_clISt17integral_constantIbLb0EES1P_EEDaS1K_S1L_EUlS1K_E_NS1_11comp_targetILNS1_3genE4ELNS1_11target_archE910ELNS1_3gpuE8ELNS1_3repE0EEENS1_30default_config_static_selectorELNS0_4arch9wavefront6targetE0EEEvSY_, .Lfunc_end463-_ZN7rocprim17ROCPRIM_400000_NS6detail17trampoline_kernelINS0_13select_configILj256ELj13ELNS0_17block_load_methodE3ELS4_3ELS4_3ELNS0_20block_scan_algorithmE0ELj4294967295EEENS1_25partition_config_selectorILNS1_17partition_subalgoE3EjNS0_10empty_typeEbEEZZNS1_14partition_implILS8_3ELb0ES6_jNS0_17counting_iteratorIjlEEPS9_SE_NS0_5tupleIJPjSE_EEENSF_IJSE_SE_EEES9_SG_JZNS1_25segmented_radix_sort_implINS0_14default_configELb1EPKiPiPKlPlN2at6native12_GLOBAL__N_18offset_tEEE10hipError_tPvRmT1_PNSt15iterator_traitsISY_E10value_typeET2_T3_PNSZ_IS14_E10value_typeET4_jRbjT5_S1A_jjP12ihipStream_tbEUljE_EEESV_SW_SX_S14_S18_S1A_T6_T7_T9_mT8_S1C_bDpT10_ENKUlT_T0_E_clISt17integral_constantIbLb0EES1P_EEDaS1K_S1L_EUlS1K_E_NS1_11comp_targetILNS1_3genE4ELNS1_11target_archE910ELNS1_3gpuE8ELNS1_3repE0EEENS1_30default_config_static_selectorELNS0_4arch9wavefront6targetE0EEEvSY_
                                        ; -- End function
	.set _ZN7rocprim17ROCPRIM_400000_NS6detail17trampoline_kernelINS0_13select_configILj256ELj13ELNS0_17block_load_methodE3ELS4_3ELS4_3ELNS0_20block_scan_algorithmE0ELj4294967295EEENS1_25partition_config_selectorILNS1_17partition_subalgoE3EjNS0_10empty_typeEbEEZZNS1_14partition_implILS8_3ELb0ES6_jNS0_17counting_iteratorIjlEEPS9_SE_NS0_5tupleIJPjSE_EEENSF_IJSE_SE_EEES9_SG_JZNS1_25segmented_radix_sort_implINS0_14default_configELb1EPKiPiPKlPlN2at6native12_GLOBAL__N_18offset_tEEE10hipError_tPvRmT1_PNSt15iterator_traitsISY_E10value_typeET2_T3_PNSZ_IS14_E10value_typeET4_jRbjT5_S1A_jjP12ihipStream_tbEUljE_EEESV_SW_SX_S14_S18_S1A_T6_T7_T9_mT8_S1C_bDpT10_ENKUlT_T0_E_clISt17integral_constantIbLb0EES1P_EEDaS1K_S1L_EUlS1K_E_NS1_11comp_targetILNS1_3genE4ELNS1_11target_archE910ELNS1_3gpuE8ELNS1_3repE0EEENS1_30default_config_static_selectorELNS0_4arch9wavefront6targetE0EEEvSY_.num_vgpr, 0
	.set _ZN7rocprim17ROCPRIM_400000_NS6detail17trampoline_kernelINS0_13select_configILj256ELj13ELNS0_17block_load_methodE3ELS4_3ELS4_3ELNS0_20block_scan_algorithmE0ELj4294967295EEENS1_25partition_config_selectorILNS1_17partition_subalgoE3EjNS0_10empty_typeEbEEZZNS1_14partition_implILS8_3ELb0ES6_jNS0_17counting_iteratorIjlEEPS9_SE_NS0_5tupleIJPjSE_EEENSF_IJSE_SE_EEES9_SG_JZNS1_25segmented_radix_sort_implINS0_14default_configELb1EPKiPiPKlPlN2at6native12_GLOBAL__N_18offset_tEEE10hipError_tPvRmT1_PNSt15iterator_traitsISY_E10value_typeET2_T3_PNSZ_IS14_E10value_typeET4_jRbjT5_S1A_jjP12ihipStream_tbEUljE_EEESV_SW_SX_S14_S18_S1A_T6_T7_T9_mT8_S1C_bDpT10_ENKUlT_T0_E_clISt17integral_constantIbLb0EES1P_EEDaS1K_S1L_EUlS1K_E_NS1_11comp_targetILNS1_3genE4ELNS1_11target_archE910ELNS1_3gpuE8ELNS1_3repE0EEENS1_30default_config_static_selectorELNS0_4arch9wavefront6targetE0EEEvSY_.num_agpr, 0
	.set _ZN7rocprim17ROCPRIM_400000_NS6detail17trampoline_kernelINS0_13select_configILj256ELj13ELNS0_17block_load_methodE3ELS4_3ELS4_3ELNS0_20block_scan_algorithmE0ELj4294967295EEENS1_25partition_config_selectorILNS1_17partition_subalgoE3EjNS0_10empty_typeEbEEZZNS1_14partition_implILS8_3ELb0ES6_jNS0_17counting_iteratorIjlEEPS9_SE_NS0_5tupleIJPjSE_EEENSF_IJSE_SE_EEES9_SG_JZNS1_25segmented_radix_sort_implINS0_14default_configELb1EPKiPiPKlPlN2at6native12_GLOBAL__N_18offset_tEEE10hipError_tPvRmT1_PNSt15iterator_traitsISY_E10value_typeET2_T3_PNSZ_IS14_E10value_typeET4_jRbjT5_S1A_jjP12ihipStream_tbEUljE_EEESV_SW_SX_S14_S18_S1A_T6_T7_T9_mT8_S1C_bDpT10_ENKUlT_T0_E_clISt17integral_constantIbLb0EES1P_EEDaS1K_S1L_EUlS1K_E_NS1_11comp_targetILNS1_3genE4ELNS1_11target_archE910ELNS1_3gpuE8ELNS1_3repE0EEENS1_30default_config_static_selectorELNS0_4arch9wavefront6targetE0EEEvSY_.numbered_sgpr, 0
	.set _ZN7rocprim17ROCPRIM_400000_NS6detail17trampoline_kernelINS0_13select_configILj256ELj13ELNS0_17block_load_methodE3ELS4_3ELS4_3ELNS0_20block_scan_algorithmE0ELj4294967295EEENS1_25partition_config_selectorILNS1_17partition_subalgoE3EjNS0_10empty_typeEbEEZZNS1_14partition_implILS8_3ELb0ES6_jNS0_17counting_iteratorIjlEEPS9_SE_NS0_5tupleIJPjSE_EEENSF_IJSE_SE_EEES9_SG_JZNS1_25segmented_radix_sort_implINS0_14default_configELb1EPKiPiPKlPlN2at6native12_GLOBAL__N_18offset_tEEE10hipError_tPvRmT1_PNSt15iterator_traitsISY_E10value_typeET2_T3_PNSZ_IS14_E10value_typeET4_jRbjT5_S1A_jjP12ihipStream_tbEUljE_EEESV_SW_SX_S14_S18_S1A_T6_T7_T9_mT8_S1C_bDpT10_ENKUlT_T0_E_clISt17integral_constantIbLb0EES1P_EEDaS1K_S1L_EUlS1K_E_NS1_11comp_targetILNS1_3genE4ELNS1_11target_archE910ELNS1_3gpuE8ELNS1_3repE0EEENS1_30default_config_static_selectorELNS0_4arch9wavefront6targetE0EEEvSY_.num_named_barrier, 0
	.set _ZN7rocprim17ROCPRIM_400000_NS6detail17trampoline_kernelINS0_13select_configILj256ELj13ELNS0_17block_load_methodE3ELS4_3ELS4_3ELNS0_20block_scan_algorithmE0ELj4294967295EEENS1_25partition_config_selectorILNS1_17partition_subalgoE3EjNS0_10empty_typeEbEEZZNS1_14partition_implILS8_3ELb0ES6_jNS0_17counting_iteratorIjlEEPS9_SE_NS0_5tupleIJPjSE_EEENSF_IJSE_SE_EEES9_SG_JZNS1_25segmented_radix_sort_implINS0_14default_configELb1EPKiPiPKlPlN2at6native12_GLOBAL__N_18offset_tEEE10hipError_tPvRmT1_PNSt15iterator_traitsISY_E10value_typeET2_T3_PNSZ_IS14_E10value_typeET4_jRbjT5_S1A_jjP12ihipStream_tbEUljE_EEESV_SW_SX_S14_S18_S1A_T6_T7_T9_mT8_S1C_bDpT10_ENKUlT_T0_E_clISt17integral_constantIbLb0EES1P_EEDaS1K_S1L_EUlS1K_E_NS1_11comp_targetILNS1_3genE4ELNS1_11target_archE910ELNS1_3gpuE8ELNS1_3repE0EEENS1_30default_config_static_selectorELNS0_4arch9wavefront6targetE0EEEvSY_.private_seg_size, 0
	.set _ZN7rocprim17ROCPRIM_400000_NS6detail17trampoline_kernelINS0_13select_configILj256ELj13ELNS0_17block_load_methodE3ELS4_3ELS4_3ELNS0_20block_scan_algorithmE0ELj4294967295EEENS1_25partition_config_selectorILNS1_17partition_subalgoE3EjNS0_10empty_typeEbEEZZNS1_14partition_implILS8_3ELb0ES6_jNS0_17counting_iteratorIjlEEPS9_SE_NS0_5tupleIJPjSE_EEENSF_IJSE_SE_EEES9_SG_JZNS1_25segmented_radix_sort_implINS0_14default_configELb1EPKiPiPKlPlN2at6native12_GLOBAL__N_18offset_tEEE10hipError_tPvRmT1_PNSt15iterator_traitsISY_E10value_typeET2_T3_PNSZ_IS14_E10value_typeET4_jRbjT5_S1A_jjP12ihipStream_tbEUljE_EEESV_SW_SX_S14_S18_S1A_T6_T7_T9_mT8_S1C_bDpT10_ENKUlT_T0_E_clISt17integral_constantIbLb0EES1P_EEDaS1K_S1L_EUlS1K_E_NS1_11comp_targetILNS1_3genE4ELNS1_11target_archE910ELNS1_3gpuE8ELNS1_3repE0EEENS1_30default_config_static_selectorELNS0_4arch9wavefront6targetE0EEEvSY_.uses_vcc, 0
	.set _ZN7rocprim17ROCPRIM_400000_NS6detail17trampoline_kernelINS0_13select_configILj256ELj13ELNS0_17block_load_methodE3ELS4_3ELS4_3ELNS0_20block_scan_algorithmE0ELj4294967295EEENS1_25partition_config_selectorILNS1_17partition_subalgoE3EjNS0_10empty_typeEbEEZZNS1_14partition_implILS8_3ELb0ES6_jNS0_17counting_iteratorIjlEEPS9_SE_NS0_5tupleIJPjSE_EEENSF_IJSE_SE_EEES9_SG_JZNS1_25segmented_radix_sort_implINS0_14default_configELb1EPKiPiPKlPlN2at6native12_GLOBAL__N_18offset_tEEE10hipError_tPvRmT1_PNSt15iterator_traitsISY_E10value_typeET2_T3_PNSZ_IS14_E10value_typeET4_jRbjT5_S1A_jjP12ihipStream_tbEUljE_EEESV_SW_SX_S14_S18_S1A_T6_T7_T9_mT8_S1C_bDpT10_ENKUlT_T0_E_clISt17integral_constantIbLb0EES1P_EEDaS1K_S1L_EUlS1K_E_NS1_11comp_targetILNS1_3genE4ELNS1_11target_archE910ELNS1_3gpuE8ELNS1_3repE0EEENS1_30default_config_static_selectorELNS0_4arch9wavefront6targetE0EEEvSY_.uses_flat_scratch, 0
	.set _ZN7rocprim17ROCPRIM_400000_NS6detail17trampoline_kernelINS0_13select_configILj256ELj13ELNS0_17block_load_methodE3ELS4_3ELS4_3ELNS0_20block_scan_algorithmE0ELj4294967295EEENS1_25partition_config_selectorILNS1_17partition_subalgoE3EjNS0_10empty_typeEbEEZZNS1_14partition_implILS8_3ELb0ES6_jNS0_17counting_iteratorIjlEEPS9_SE_NS0_5tupleIJPjSE_EEENSF_IJSE_SE_EEES9_SG_JZNS1_25segmented_radix_sort_implINS0_14default_configELb1EPKiPiPKlPlN2at6native12_GLOBAL__N_18offset_tEEE10hipError_tPvRmT1_PNSt15iterator_traitsISY_E10value_typeET2_T3_PNSZ_IS14_E10value_typeET4_jRbjT5_S1A_jjP12ihipStream_tbEUljE_EEESV_SW_SX_S14_S18_S1A_T6_T7_T9_mT8_S1C_bDpT10_ENKUlT_T0_E_clISt17integral_constantIbLb0EES1P_EEDaS1K_S1L_EUlS1K_E_NS1_11comp_targetILNS1_3genE4ELNS1_11target_archE910ELNS1_3gpuE8ELNS1_3repE0EEENS1_30default_config_static_selectorELNS0_4arch9wavefront6targetE0EEEvSY_.has_dyn_sized_stack, 0
	.set _ZN7rocprim17ROCPRIM_400000_NS6detail17trampoline_kernelINS0_13select_configILj256ELj13ELNS0_17block_load_methodE3ELS4_3ELS4_3ELNS0_20block_scan_algorithmE0ELj4294967295EEENS1_25partition_config_selectorILNS1_17partition_subalgoE3EjNS0_10empty_typeEbEEZZNS1_14partition_implILS8_3ELb0ES6_jNS0_17counting_iteratorIjlEEPS9_SE_NS0_5tupleIJPjSE_EEENSF_IJSE_SE_EEES9_SG_JZNS1_25segmented_radix_sort_implINS0_14default_configELb1EPKiPiPKlPlN2at6native12_GLOBAL__N_18offset_tEEE10hipError_tPvRmT1_PNSt15iterator_traitsISY_E10value_typeET2_T3_PNSZ_IS14_E10value_typeET4_jRbjT5_S1A_jjP12ihipStream_tbEUljE_EEESV_SW_SX_S14_S18_S1A_T6_T7_T9_mT8_S1C_bDpT10_ENKUlT_T0_E_clISt17integral_constantIbLb0EES1P_EEDaS1K_S1L_EUlS1K_E_NS1_11comp_targetILNS1_3genE4ELNS1_11target_archE910ELNS1_3gpuE8ELNS1_3repE0EEENS1_30default_config_static_selectorELNS0_4arch9wavefront6targetE0EEEvSY_.has_recursion, 0
	.set _ZN7rocprim17ROCPRIM_400000_NS6detail17trampoline_kernelINS0_13select_configILj256ELj13ELNS0_17block_load_methodE3ELS4_3ELS4_3ELNS0_20block_scan_algorithmE0ELj4294967295EEENS1_25partition_config_selectorILNS1_17partition_subalgoE3EjNS0_10empty_typeEbEEZZNS1_14partition_implILS8_3ELb0ES6_jNS0_17counting_iteratorIjlEEPS9_SE_NS0_5tupleIJPjSE_EEENSF_IJSE_SE_EEES9_SG_JZNS1_25segmented_radix_sort_implINS0_14default_configELb1EPKiPiPKlPlN2at6native12_GLOBAL__N_18offset_tEEE10hipError_tPvRmT1_PNSt15iterator_traitsISY_E10value_typeET2_T3_PNSZ_IS14_E10value_typeET4_jRbjT5_S1A_jjP12ihipStream_tbEUljE_EEESV_SW_SX_S14_S18_S1A_T6_T7_T9_mT8_S1C_bDpT10_ENKUlT_T0_E_clISt17integral_constantIbLb0EES1P_EEDaS1K_S1L_EUlS1K_E_NS1_11comp_targetILNS1_3genE4ELNS1_11target_archE910ELNS1_3gpuE8ELNS1_3repE0EEENS1_30default_config_static_selectorELNS0_4arch9wavefront6targetE0EEEvSY_.has_indirect_call, 0
	.section	.AMDGPU.csdata,"",@progbits
; Kernel info:
; codeLenInByte = 0
; TotalNumSgprs: 0
; NumVgprs: 0
; ScratchSize: 0
; MemoryBound: 0
; FloatMode: 240
; IeeeMode: 1
; LDSByteSize: 0 bytes/workgroup (compile time only)
; SGPRBlocks: 0
; VGPRBlocks: 0
; NumSGPRsForWavesPerEU: 1
; NumVGPRsForWavesPerEU: 1
; Occupancy: 16
; WaveLimiterHint : 0
; COMPUTE_PGM_RSRC2:SCRATCH_EN: 0
; COMPUTE_PGM_RSRC2:USER_SGPR: 6
; COMPUTE_PGM_RSRC2:TRAP_HANDLER: 0
; COMPUTE_PGM_RSRC2:TGID_X_EN: 1
; COMPUTE_PGM_RSRC2:TGID_Y_EN: 0
; COMPUTE_PGM_RSRC2:TGID_Z_EN: 0
; COMPUTE_PGM_RSRC2:TIDIG_COMP_CNT: 0
	.section	.text._ZN7rocprim17ROCPRIM_400000_NS6detail17trampoline_kernelINS0_13select_configILj256ELj13ELNS0_17block_load_methodE3ELS4_3ELS4_3ELNS0_20block_scan_algorithmE0ELj4294967295EEENS1_25partition_config_selectorILNS1_17partition_subalgoE3EjNS0_10empty_typeEbEEZZNS1_14partition_implILS8_3ELb0ES6_jNS0_17counting_iteratorIjlEEPS9_SE_NS0_5tupleIJPjSE_EEENSF_IJSE_SE_EEES9_SG_JZNS1_25segmented_radix_sort_implINS0_14default_configELb1EPKiPiPKlPlN2at6native12_GLOBAL__N_18offset_tEEE10hipError_tPvRmT1_PNSt15iterator_traitsISY_E10value_typeET2_T3_PNSZ_IS14_E10value_typeET4_jRbjT5_S1A_jjP12ihipStream_tbEUljE_EEESV_SW_SX_S14_S18_S1A_T6_T7_T9_mT8_S1C_bDpT10_ENKUlT_T0_E_clISt17integral_constantIbLb0EES1P_EEDaS1K_S1L_EUlS1K_E_NS1_11comp_targetILNS1_3genE3ELNS1_11target_archE908ELNS1_3gpuE7ELNS1_3repE0EEENS1_30default_config_static_selectorELNS0_4arch9wavefront6targetE0EEEvSY_,"axG",@progbits,_ZN7rocprim17ROCPRIM_400000_NS6detail17trampoline_kernelINS0_13select_configILj256ELj13ELNS0_17block_load_methodE3ELS4_3ELS4_3ELNS0_20block_scan_algorithmE0ELj4294967295EEENS1_25partition_config_selectorILNS1_17partition_subalgoE3EjNS0_10empty_typeEbEEZZNS1_14partition_implILS8_3ELb0ES6_jNS0_17counting_iteratorIjlEEPS9_SE_NS0_5tupleIJPjSE_EEENSF_IJSE_SE_EEES9_SG_JZNS1_25segmented_radix_sort_implINS0_14default_configELb1EPKiPiPKlPlN2at6native12_GLOBAL__N_18offset_tEEE10hipError_tPvRmT1_PNSt15iterator_traitsISY_E10value_typeET2_T3_PNSZ_IS14_E10value_typeET4_jRbjT5_S1A_jjP12ihipStream_tbEUljE_EEESV_SW_SX_S14_S18_S1A_T6_T7_T9_mT8_S1C_bDpT10_ENKUlT_T0_E_clISt17integral_constantIbLb0EES1P_EEDaS1K_S1L_EUlS1K_E_NS1_11comp_targetILNS1_3genE3ELNS1_11target_archE908ELNS1_3gpuE7ELNS1_3repE0EEENS1_30default_config_static_selectorELNS0_4arch9wavefront6targetE0EEEvSY_,comdat
	.globl	_ZN7rocprim17ROCPRIM_400000_NS6detail17trampoline_kernelINS0_13select_configILj256ELj13ELNS0_17block_load_methodE3ELS4_3ELS4_3ELNS0_20block_scan_algorithmE0ELj4294967295EEENS1_25partition_config_selectorILNS1_17partition_subalgoE3EjNS0_10empty_typeEbEEZZNS1_14partition_implILS8_3ELb0ES6_jNS0_17counting_iteratorIjlEEPS9_SE_NS0_5tupleIJPjSE_EEENSF_IJSE_SE_EEES9_SG_JZNS1_25segmented_radix_sort_implINS0_14default_configELb1EPKiPiPKlPlN2at6native12_GLOBAL__N_18offset_tEEE10hipError_tPvRmT1_PNSt15iterator_traitsISY_E10value_typeET2_T3_PNSZ_IS14_E10value_typeET4_jRbjT5_S1A_jjP12ihipStream_tbEUljE_EEESV_SW_SX_S14_S18_S1A_T6_T7_T9_mT8_S1C_bDpT10_ENKUlT_T0_E_clISt17integral_constantIbLb0EES1P_EEDaS1K_S1L_EUlS1K_E_NS1_11comp_targetILNS1_3genE3ELNS1_11target_archE908ELNS1_3gpuE7ELNS1_3repE0EEENS1_30default_config_static_selectorELNS0_4arch9wavefront6targetE0EEEvSY_ ; -- Begin function _ZN7rocprim17ROCPRIM_400000_NS6detail17trampoline_kernelINS0_13select_configILj256ELj13ELNS0_17block_load_methodE3ELS4_3ELS4_3ELNS0_20block_scan_algorithmE0ELj4294967295EEENS1_25partition_config_selectorILNS1_17partition_subalgoE3EjNS0_10empty_typeEbEEZZNS1_14partition_implILS8_3ELb0ES6_jNS0_17counting_iteratorIjlEEPS9_SE_NS0_5tupleIJPjSE_EEENSF_IJSE_SE_EEES9_SG_JZNS1_25segmented_radix_sort_implINS0_14default_configELb1EPKiPiPKlPlN2at6native12_GLOBAL__N_18offset_tEEE10hipError_tPvRmT1_PNSt15iterator_traitsISY_E10value_typeET2_T3_PNSZ_IS14_E10value_typeET4_jRbjT5_S1A_jjP12ihipStream_tbEUljE_EEESV_SW_SX_S14_S18_S1A_T6_T7_T9_mT8_S1C_bDpT10_ENKUlT_T0_E_clISt17integral_constantIbLb0EES1P_EEDaS1K_S1L_EUlS1K_E_NS1_11comp_targetILNS1_3genE3ELNS1_11target_archE908ELNS1_3gpuE7ELNS1_3repE0EEENS1_30default_config_static_selectorELNS0_4arch9wavefront6targetE0EEEvSY_
	.p2align	8
	.type	_ZN7rocprim17ROCPRIM_400000_NS6detail17trampoline_kernelINS0_13select_configILj256ELj13ELNS0_17block_load_methodE3ELS4_3ELS4_3ELNS0_20block_scan_algorithmE0ELj4294967295EEENS1_25partition_config_selectorILNS1_17partition_subalgoE3EjNS0_10empty_typeEbEEZZNS1_14partition_implILS8_3ELb0ES6_jNS0_17counting_iteratorIjlEEPS9_SE_NS0_5tupleIJPjSE_EEENSF_IJSE_SE_EEES9_SG_JZNS1_25segmented_radix_sort_implINS0_14default_configELb1EPKiPiPKlPlN2at6native12_GLOBAL__N_18offset_tEEE10hipError_tPvRmT1_PNSt15iterator_traitsISY_E10value_typeET2_T3_PNSZ_IS14_E10value_typeET4_jRbjT5_S1A_jjP12ihipStream_tbEUljE_EEESV_SW_SX_S14_S18_S1A_T6_T7_T9_mT8_S1C_bDpT10_ENKUlT_T0_E_clISt17integral_constantIbLb0EES1P_EEDaS1K_S1L_EUlS1K_E_NS1_11comp_targetILNS1_3genE3ELNS1_11target_archE908ELNS1_3gpuE7ELNS1_3repE0EEENS1_30default_config_static_selectorELNS0_4arch9wavefront6targetE0EEEvSY_,@function
_ZN7rocprim17ROCPRIM_400000_NS6detail17trampoline_kernelINS0_13select_configILj256ELj13ELNS0_17block_load_methodE3ELS4_3ELS4_3ELNS0_20block_scan_algorithmE0ELj4294967295EEENS1_25partition_config_selectorILNS1_17partition_subalgoE3EjNS0_10empty_typeEbEEZZNS1_14partition_implILS8_3ELb0ES6_jNS0_17counting_iteratorIjlEEPS9_SE_NS0_5tupleIJPjSE_EEENSF_IJSE_SE_EEES9_SG_JZNS1_25segmented_radix_sort_implINS0_14default_configELb1EPKiPiPKlPlN2at6native12_GLOBAL__N_18offset_tEEE10hipError_tPvRmT1_PNSt15iterator_traitsISY_E10value_typeET2_T3_PNSZ_IS14_E10value_typeET4_jRbjT5_S1A_jjP12ihipStream_tbEUljE_EEESV_SW_SX_S14_S18_S1A_T6_T7_T9_mT8_S1C_bDpT10_ENKUlT_T0_E_clISt17integral_constantIbLb0EES1P_EEDaS1K_S1L_EUlS1K_E_NS1_11comp_targetILNS1_3genE3ELNS1_11target_archE908ELNS1_3gpuE7ELNS1_3repE0EEENS1_30default_config_static_selectorELNS0_4arch9wavefront6targetE0EEEvSY_: ; @_ZN7rocprim17ROCPRIM_400000_NS6detail17trampoline_kernelINS0_13select_configILj256ELj13ELNS0_17block_load_methodE3ELS4_3ELS4_3ELNS0_20block_scan_algorithmE0ELj4294967295EEENS1_25partition_config_selectorILNS1_17partition_subalgoE3EjNS0_10empty_typeEbEEZZNS1_14partition_implILS8_3ELb0ES6_jNS0_17counting_iteratorIjlEEPS9_SE_NS0_5tupleIJPjSE_EEENSF_IJSE_SE_EEES9_SG_JZNS1_25segmented_radix_sort_implINS0_14default_configELb1EPKiPiPKlPlN2at6native12_GLOBAL__N_18offset_tEEE10hipError_tPvRmT1_PNSt15iterator_traitsISY_E10value_typeET2_T3_PNSZ_IS14_E10value_typeET4_jRbjT5_S1A_jjP12ihipStream_tbEUljE_EEESV_SW_SX_S14_S18_S1A_T6_T7_T9_mT8_S1C_bDpT10_ENKUlT_T0_E_clISt17integral_constantIbLb0EES1P_EEDaS1K_S1L_EUlS1K_E_NS1_11comp_targetILNS1_3genE3ELNS1_11target_archE908ELNS1_3gpuE7ELNS1_3repE0EEENS1_30default_config_static_selectorELNS0_4arch9wavefront6targetE0EEEvSY_
; %bb.0:
	.section	.rodata,"a",@progbits
	.p2align	6, 0x0
	.amdhsa_kernel _ZN7rocprim17ROCPRIM_400000_NS6detail17trampoline_kernelINS0_13select_configILj256ELj13ELNS0_17block_load_methodE3ELS4_3ELS4_3ELNS0_20block_scan_algorithmE0ELj4294967295EEENS1_25partition_config_selectorILNS1_17partition_subalgoE3EjNS0_10empty_typeEbEEZZNS1_14partition_implILS8_3ELb0ES6_jNS0_17counting_iteratorIjlEEPS9_SE_NS0_5tupleIJPjSE_EEENSF_IJSE_SE_EEES9_SG_JZNS1_25segmented_radix_sort_implINS0_14default_configELb1EPKiPiPKlPlN2at6native12_GLOBAL__N_18offset_tEEE10hipError_tPvRmT1_PNSt15iterator_traitsISY_E10value_typeET2_T3_PNSZ_IS14_E10value_typeET4_jRbjT5_S1A_jjP12ihipStream_tbEUljE_EEESV_SW_SX_S14_S18_S1A_T6_T7_T9_mT8_S1C_bDpT10_ENKUlT_T0_E_clISt17integral_constantIbLb0EES1P_EEDaS1K_S1L_EUlS1K_E_NS1_11comp_targetILNS1_3genE3ELNS1_11target_archE908ELNS1_3gpuE7ELNS1_3repE0EEENS1_30default_config_static_selectorELNS0_4arch9wavefront6targetE0EEEvSY_
		.amdhsa_group_segment_fixed_size 0
		.amdhsa_private_segment_fixed_size 0
		.amdhsa_kernarg_size 144
		.amdhsa_user_sgpr_count 6
		.amdhsa_user_sgpr_private_segment_buffer 1
		.amdhsa_user_sgpr_dispatch_ptr 0
		.amdhsa_user_sgpr_queue_ptr 0
		.amdhsa_user_sgpr_kernarg_segment_ptr 1
		.amdhsa_user_sgpr_dispatch_id 0
		.amdhsa_user_sgpr_flat_scratch_init 0
		.amdhsa_user_sgpr_private_segment_size 0
		.amdhsa_wavefront_size32 1
		.amdhsa_uses_dynamic_stack 0
		.amdhsa_system_sgpr_private_segment_wavefront_offset 0
		.amdhsa_system_sgpr_workgroup_id_x 1
		.amdhsa_system_sgpr_workgroup_id_y 0
		.amdhsa_system_sgpr_workgroup_id_z 0
		.amdhsa_system_sgpr_workgroup_info 0
		.amdhsa_system_vgpr_workitem_id 0
		.amdhsa_next_free_vgpr 1
		.amdhsa_next_free_sgpr 1
		.amdhsa_reserve_vcc 0
		.amdhsa_reserve_flat_scratch 0
		.amdhsa_float_round_mode_32 0
		.amdhsa_float_round_mode_16_64 0
		.amdhsa_float_denorm_mode_32 3
		.amdhsa_float_denorm_mode_16_64 3
		.amdhsa_dx10_clamp 1
		.amdhsa_ieee_mode 1
		.amdhsa_fp16_overflow 0
		.amdhsa_workgroup_processor_mode 1
		.amdhsa_memory_ordered 1
		.amdhsa_forward_progress 1
		.amdhsa_shared_vgpr_count 0
		.amdhsa_exception_fp_ieee_invalid_op 0
		.amdhsa_exception_fp_denorm_src 0
		.amdhsa_exception_fp_ieee_div_zero 0
		.amdhsa_exception_fp_ieee_overflow 0
		.amdhsa_exception_fp_ieee_underflow 0
		.amdhsa_exception_fp_ieee_inexact 0
		.amdhsa_exception_int_div_zero 0
	.end_amdhsa_kernel
	.section	.text._ZN7rocprim17ROCPRIM_400000_NS6detail17trampoline_kernelINS0_13select_configILj256ELj13ELNS0_17block_load_methodE3ELS4_3ELS4_3ELNS0_20block_scan_algorithmE0ELj4294967295EEENS1_25partition_config_selectorILNS1_17partition_subalgoE3EjNS0_10empty_typeEbEEZZNS1_14partition_implILS8_3ELb0ES6_jNS0_17counting_iteratorIjlEEPS9_SE_NS0_5tupleIJPjSE_EEENSF_IJSE_SE_EEES9_SG_JZNS1_25segmented_radix_sort_implINS0_14default_configELb1EPKiPiPKlPlN2at6native12_GLOBAL__N_18offset_tEEE10hipError_tPvRmT1_PNSt15iterator_traitsISY_E10value_typeET2_T3_PNSZ_IS14_E10value_typeET4_jRbjT5_S1A_jjP12ihipStream_tbEUljE_EEESV_SW_SX_S14_S18_S1A_T6_T7_T9_mT8_S1C_bDpT10_ENKUlT_T0_E_clISt17integral_constantIbLb0EES1P_EEDaS1K_S1L_EUlS1K_E_NS1_11comp_targetILNS1_3genE3ELNS1_11target_archE908ELNS1_3gpuE7ELNS1_3repE0EEENS1_30default_config_static_selectorELNS0_4arch9wavefront6targetE0EEEvSY_,"axG",@progbits,_ZN7rocprim17ROCPRIM_400000_NS6detail17trampoline_kernelINS0_13select_configILj256ELj13ELNS0_17block_load_methodE3ELS4_3ELS4_3ELNS0_20block_scan_algorithmE0ELj4294967295EEENS1_25partition_config_selectorILNS1_17partition_subalgoE3EjNS0_10empty_typeEbEEZZNS1_14partition_implILS8_3ELb0ES6_jNS0_17counting_iteratorIjlEEPS9_SE_NS0_5tupleIJPjSE_EEENSF_IJSE_SE_EEES9_SG_JZNS1_25segmented_radix_sort_implINS0_14default_configELb1EPKiPiPKlPlN2at6native12_GLOBAL__N_18offset_tEEE10hipError_tPvRmT1_PNSt15iterator_traitsISY_E10value_typeET2_T3_PNSZ_IS14_E10value_typeET4_jRbjT5_S1A_jjP12ihipStream_tbEUljE_EEESV_SW_SX_S14_S18_S1A_T6_T7_T9_mT8_S1C_bDpT10_ENKUlT_T0_E_clISt17integral_constantIbLb0EES1P_EEDaS1K_S1L_EUlS1K_E_NS1_11comp_targetILNS1_3genE3ELNS1_11target_archE908ELNS1_3gpuE7ELNS1_3repE0EEENS1_30default_config_static_selectorELNS0_4arch9wavefront6targetE0EEEvSY_,comdat
.Lfunc_end464:
	.size	_ZN7rocprim17ROCPRIM_400000_NS6detail17trampoline_kernelINS0_13select_configILj256ELj13ELNS0_17block_load_methodE3ELS4_3ELS4_3ELNS0_20block_scan_algorithmE0ELj4294967295EEENS1_25partition_config_selectorILNS1_17partition_subalgoE3EjNS0_10empty_typeEbEEZZNS1_14partition_implILS8_3ELb0ES6_jNS0_17counting_iteratorIjlEEPS9_SE_NS0_5tupleIJPjSE_EEENSF_IJSE_SE_EEES9_SG_JZNS1_25segmented_radix_sort_implINS0_14default_configELb1EPKiPiPKlPlN2at6native12_GLOBAL__N_18offset_tEEE10hipError_tPvRmT1_PNSt15iterator_traitsISY_E10value_typeET2_T3_PNSZ_IS14_E10value_typeET4_jRbjT5_S1A_jjP12ihipStream_tbEUljE_EEESV_SW_SX_S14_S18_S1A_T6_T7_T9_mT8_S1C_bDpT10_ENKUlT_T0_E_clISt17integral_constantIbLb0EES1P_EEDaS1K_S1L_EUlS1K_E_NS1_11comp_targetILNS1_3genE3ELNS1_11target_archE908ELNS1_3gpuE7ELNS1_3repE0EEENS1_30default_config_static_selectorELNS0_4arch9wavefront6targetE0EEEvSY_, .Lfunc_end464-_ZN7rocprim17ROCPRIM_400000_NS6detail17trampoline_kernelINS0_13select_configILj256ELj13ELNS0_17block_load_methodE3ELS4_3ELS4_3ELNS0_20block_scan_algorithmE0ELj4294967295EEENS1_25partition_config_selectorILNS1_17partition_subalgoE3EjNS0_10empty_typeEbEEZZNS1_14partition_implILS8_3ELb0ES6_jNS0_17counting_iteratorIjlEEPS9_SE_NS0_5tupleIJPjSE_EEENSF_IJSE_SE_EEES9_SG_JZNS1_25segmented_radix_sort_implINS0_14default_configELb1EPKiPiPKlPlN2at6native12_GLOBAL__N_18offset_tEEE10hipError_tPvRmT1_PNSt15iterator_traitsISY_E10value_typeET2_T3_PNSZ_IS14_E10value_typeET4_jRbjT5_S1A_jjP12ihipStream_tbEUljE_EEESV_SW_SX_S14_S18_S1A_T6_T7_T9_mT8_S1C_bDpT10_ENKUlT_T0_E_clISt17integral_constantIbLb0EES1P_EEDaS1K_S1L_EUlS1K_E_NS1_11comp_targetILNS1_3genE3ELNS1_11target_archE908ELNS1_3gpuE7ELNS1_3repE0EEENS1_30default_config_static_selectorELNS0_4arch9wavefront6targetE0EEEvSY_
                                        ; -- End function
	.set _ZN7rocprim17ROCPRIM_400000_NS6detail17trampoline_kernelINS0_13select_configILj256ELj13ELNS0_17block_load_methodE3ELS4_3ELS4_3ELNS0_20block_scan_algorithmE0ELj4294967295EEENS1_25partition_config_selectorILNS1_17partition_subalgoE3EjNS0_10empty_typeEbEEZZNS1_14partition_implILS8_3ELb0ES6_jNS0_17counting_iteratorIjlEEPS9_SE_NS0_5tupleIJPjSE_EEENSF_IJSE_SE_EEES9_SG_JZNS1_25segmented_radix_sort_implINS0_14default_configELb1EPKiPiPKlPlN2at6native12_GLOBAL__N_18offset_tEEE10hipError_tPvRmT1_PNSt15iterator_traitsISY_E10value_typeET2_T3_PNSZ_IS14_E10value_typeET4_jRbjT5_S1A_jjP12ihipStream_tbEUljE_EEESV_SW_SX_S14_S18_S1A_T6_T7_T9_mT8_S1C_bDpT10_ENKUlT_T0_E_clISt17integral_constantIbLb0EES1P_EEDaS1K_S1L_EUlS1K_E_NS1_11comp_targetILNS1_3genE3ELNS1_11target_archE908ELNS1_3gpuE7ELNS1_3repE0EEENS1_30default_config_static_selectorELNS0_4arch9wavefront6targetE0EEEvSY_.num_vgpr, 0
	.set _ZN7rocprim17ROCPRIM_400000_NS6detail17trampoline_kernelINS0_13select_configILj256ELj13ELNS0_17block_load_methodE3ELS4_3ELS4_3ELNS0_20block_scan_algorithmE0ELj4294967295EEENS1_25partition_config_selectorILNS1_17partition_subalgoE3EjNS0_10empty_typeEbEEZZNS1_14partition_implILS8_3ELb0ES6_jNS0_17counting_iteratorIjlEEPS9_SE_NS0_5tupleIJPjSE_EEENSF_IJSE_SE_EEES9_SG_JZNS1_25segmented_radix_sort_implINS0_14default_configELb1EPKiPiPKlPlN2at6native12_GLOBAL__N_18offset_tEEE10hipError_tPvRmT1_PNSt15iterator_traitsISY_E10value_typeET2_T3_PNSZ_IS14_E10value_typeET4_jRbjT5_S1A_jjP12ihipStream_tbEUljE_EEESV_SW_SX_S14_S18_S1A_T6_T7_T9_mT8_S1C_bDpT10_ENKUlT_T0_E_clISt17integral_constantIbLb0EES1P_EEDaS1K_S1L_EUlS1K_E_NS1_11comp_targetILNS1_3genE3ELNS1_11target_archE908ELNS1_3gpuE7ELNS1_3repE0EEENS1_30default_config_static_selectorELNS0_4arch9wavefront6targetE0EEEvSY_.num_agpr, 0
	.set _ZN7rocprim17ROCPRIM_400000_NS6detail17trampoline_kernelINS0_13select_configILj256ELj13ELNS0_17block_load_methodE3ELS4_3ELS4_3ELNS0_20block_scan_algorithmE0ELj4294967295EEENS1_25partition_config_selectorILNS1_17partition_subalgoE3EjNS0_10empty_typeEbEEZZNS1_14partition_implILS8_3ELb0ES6_jNS0_17counting_iteratorIjlEEPS9_SE_NS0_5tupleIJPjSE_EEENSF_IJSE_SE_EEES9_SG_JZNS1_25segmented_radix_sort_implINS0_14default_configELb1EPKiPiPKlPlN2at6native12_GLOBAL__N_18offset_tEEE10hipError_tPvRmT1_PNSt15iterator_traitsISY_E10value_typeET2_T3_PNSZ_IS14_E10value_typeET4_jRbjT5_S1A_jjP12ihipStream_tbEUljE_EEESV_SW_SX_S14_S18_S1A_T6_T7_T9_mT8_S1C_bDpT10_ENKUlT_T0_E_clISt17integral_constantIbLb0EES1P_EEDaS1K_S1L_EUlS1K_E_NS1_11comp_targetILNS1_3genE3ELNS1_11target_archE908ELNS1_3gpuE7ELNS1_3repE0EEENS1_30default_config_static_selectorELNS0_4arch9wavefront6targetE0EEEvSY_.numbered_sgpr, 0
	.set _ZN7rocprim17ROCPRIM_400000_NS6detail17trampoline_kernelINS0_13select_configILj256ELj13ELNS0_17block_load_methodE3ELS4_3ELS4_3ELNS0_20block_scan_algorithmE0ELj4294967295EEENS1_25partition_config_selectorILNS1_17partition_subalgoE3EjNS0_10empty_typeEbEEZZNS1_14partition_implILS8_3ELb0ES6_jNS0_17counting_iteratorIjlEEPS9_SE_NS0_5tupleIJPjSE_EEENSF_IJSE_SE_EEES9_SG_JZNS1_25segmented_radix_sort_implINS0_14default_configELb1EPKiPiPKlPlN2at6native12_GLOBAL__N_18offset_tEEE10hipError_tPvRmT1_PNSt15iterator_traitsISY_E10value_typeET2_T3_PNSZ_IS14_E10value_typeET4_jRbjT5_S1A_jjP12ihipStream_tbEUljE_EEESV_SW_SX_S14_S18_S1A_T6_T7_T9_mT8_S1C_bDpT10_ENKUlT_T0_E_clISt17integral_constantIbLb0EES1P_EEDaS1K_S1L_EUlS1K_E_NS1_11comp_targetILNS1_3genE3ELNS1_11target_archE908ELNS1_3gpuE7ELNS1_3repE0EEENS1_30default_config_static_selectorELNS0_4arch9wavefront6targetE0EEEvSY_.num_named_barrier, 0
	.set _ZN7rocprim17ROCPRIM_400000_NS6detail17trampoline_kernelINS0_13select_configILj256ELj13ELNS0_17block_load_methodE3ELS4_3ELS4_3ELNS0_20block_scan_algorithmE0ELj4294967295EEENS1_25partition_config_selectorILNS1_17partition_subalgoE3EjNS0_10empty_typeEbEEZZNS1_14partition_implILS8_3ELb0ES6_jNS0_17counting_iteratorIjlEEPS9_SE_NS0_5tupleIJPjSE_EEENSF_IJSE_SE_EEES9_SG_JZNS1_25segmented_radix_sort_implINS0_14default_configELb1EPKiPiPKlPlN2at6native12_GLOBAL__N_18offset_tEEE10hipError_tPvRmT1_PNSt15iterator_traitsISY_E10value_typeET2_T3_PNSZ_IS14_E10value_typeET4_jRbjT5_S1A_jjP12ihipStream_tbEUljE_EEESV_SW_SX_S14_S18_S1A_T6_T7_T9_mT8_S1C_bDpT10_ENKUlT_T0_E_clISt17integral_constantIbLb0EES1P_EEDaS1K_S1L_EUlS1K_E_NS1_11comp_targetILNS1_3genE3ELNS1_11target_archE908ELNS1_3gpuE7ELNS1_3repE0EEENS1_30default_config_static_selectorELNS0_4arch9wavefront6targetE0EEEvSY_.private_seg_size, 0
	.set _ZN7rocprim17ROCPRIM_400000_NS6detail17trampoline_kernelINS0_13select_configILj256ELj13ELNS0_17block_load_methodE3ELS4_3ELS4_3ELNS0_20block_scan_algorithmE0ELj4294967295EEENS1_25partition_config_selectorILNS1_17partition_subalgoE3EjNS0_10empty_typeEbEEZZNS1_14partition_implILS8_3ELb0ES6_jNS0_17counting_iteratorIjlEEPS9_SE_NS0_5tupleIJPjSE_EEENSF_IJSE_SE_EEES9_SG_JZNS1_25segmented_radix_sort_implINS0_14default_configELb1EPKiPiPKlPlN2at6native12_GLOBAL__N_18offset_tEEE10hipError_tPvRmT1_PNSt15iterator_traitsISY_E10value_typeET2_T3_PNSZ_IS14_E10value_typeET4_jRbjT5_S1A_jjP12ihipStream_tbEUljE_EEESV_SW_SX_S14_S18_S1A_T6_T7_T9_mT8_S1C_bDpT10_ENKUlT_T0_E_clISt17integral_constantIbLb0EES1P_EEDaS1K_S1L_EUlS1K_E_NS1_11comp_targetILNS1_3genE3ELNS1_11target_archE908ELNS1_3gpuE7ELNS1_3repE0EEENS1_30default_config_static_selectorELNS0_4arch9wavefront6targetE0EEEvSY_.uses_vcc, 0
	.set _ZN7rocprim17ROCPRIM_400000_NS6detail17trampoline_kernelINS0_13select_configILj256ELj13ELNS0_17block_load_methodE3ELS4_3ELS4_3ELNS0_20block_scan_algorithmE0ELj4294967295EEENS1_25partition_config_selectorILNS1_17partition_subalgoE3EjNS0_10empty_typeEbEEZZNS1_14partition_implILS8_3ELb0ES6_jNS0_17counting_iteratorIjlEEPS9_SE_NS0_5tupleIJPjSE_EEENSF_IJSE_SE_EEES9_SG_JZNS1_25segmented_radix_sort_implINS0_14default_configELb1EPKiPiPKlPlN2at6native12_GLOBAL__N_18offset_tEEE10hipError_tPvRmT1_PNSt15iterator_traitsISY_E10value_typeET2_T3_PNSZ_IS14_E10value_typeET4_jRbjT5_S1A_jjP12ihipStream_tbEUljE_EEESV_SW_SX_S14_S18_S1A_T6_T7_T9_mT8_S1C_bDpT10_ENKUlT_T0_E_clISt17integral_constantIbLb0EES1P_EEDaS1K_S1L_EUlS1K_E_NS1_11comp_targetILNS1_3genE3ELNS1_11target_archE908ELNS1_3gpuE7ELNS1_3repE0EEENS1_30default_config_static_selectorELNS0_4arch9wavefront6targetE0EEEvSY_.uses_flat_scratch, 0
	.set _ZN7rocprim17ROCPRIM_400000_NS6detail17trampoline_kernelINS0_13select_configILj256ELj13ELNS0_17block_load_methodE3ELS4_3ELS4_3ELNS0_20block_scan_algorithmE0ELj4294967295EEENS1_25partition_config_selectorILNS1_17partition_subalgoE3EjNS0_10empty_typeEbEEZZNS1_14partition_implILS8_3ELb0ES6_jNS0_17counting_iteratorIjlEEPS9_SE_NS0_5tupleIJPjSE_EEENSF_IJSE_SE_EEES9_SG_JZNS1_25segmented_radix_sort_implINS0_14default_configELb1EPKiPiPKlPlN2at6native12_GLOBAL__N_18offset_tEEE10hipError_tPvRmT1_PNSt15iterator_traitsISY_E10value_typeET2_T3_PNSZ_IS14_E10value_typeET4_jRbjT5_S1A_jjP12ihipStream_tbEUljE_EEESV_SW_SX_S14_S18_S1A_T6_T7_T9_mT8_S1C_bDpT10_ENKUlT_T0_E_clISt17integral_constantIbLb0EES1P_EEDaS1K_S1L_EUlS1K_E_NS1_11comp_targetILNS1_3genE3ELNS1_11target_archE908ELNS1_3gpuE7ELNS1_3repE0EEENS1_30default_config_static_selectorELNS0_4arch9wavefront6targetE0EEEvSY_.has_dyn_sized_stack, 0
	.set _ZN7rocprim17ROCPRIM_400000_NS6detail17trampoline_kernelINS0_13select_configILj256ELj13ELNS0_17block_load_methodE3ELS4_3ELS4_3ELNS0_20block_scan_algorithmE0ELj4294967295EEENS1_25partition_config_selectorILNS1_17partition_subalgoE3EjNS0_10empty_typeEbEEZZNS1_14partition_implILS8_3ELb0ES6_jNS0_17counting_iteratorIjlEEPS9_SE_NS0_5tupleIJPjSE_EEENSF_IJSE_SE_EEES9_SG_JZNS1_25segmented_radix_sort_implINS0_14default_configELb1EPKiPiPKlPlN2at6native12_GLOBAL__N_18offset_tEEE10hipError_tPvRmT1_PNSt15iterator_traitsISY_E10value_typeET2_T3_PNSZ_IS14_E10value_typeET4_jRbjT5_S1A_jjP12ihipStream_tbEUljE_EEESV_SW_SX_S14_S18_S1A_T6_T7_T9_mT8_S1C_bDpT10_ENKUlT_T0_E_clISt17integral_constantIbLb0EES1P_EEDaS1K_S1L_EUlS1K_E_NS1_11comp_targetILNS1_3genE3ELNS1_11target_archE908ELNS1_3gpuE7ELNS1_3repE0EEENS1_30default_config_static_selectorELNS0_4arch9wavefront6targetE0EEEvSY_.has_recursion, 0
	.set _ZN7rocprim17ROCPRIM_400000_NS6detail17trampoline_kernelINS0_13select_configILj256ELj13ELNS0_17block_load_methodE3ELS4_3ELS4_3ELNS0_20block_scan_algorithmE0ELj4294967295EEENS1_25partition_config_selectorILNS1_17partition_subalgoE3EjNS0_10empty_typeEbEEZZNS1_14partition_implILS8_3ELb0ES6_jNS0_17counting_iteratorIjlEEPS9_SE_NS0_5tupleIJPjSE_EEENSF_IJSE_SE_EEES9_SG_JZNS1_25segmented_radix_sort_implINS0_14default_configELb1EPKiPiPKlPlN2at6native12_GLOBAL__N_18offset_tEEE10hipError_tPvRmT1_PNSt15iterator_traitsISY_E10value_typeET2_T3_PNSZ_IS14_E10value_typeET4_jRbjT5_S1A_jjP12ihipStream_tbEUljE_EEESV_SW_SX_S14_S18_S1A_T6_T7_T9_mT8_S1C_bDpT10_ENKUlT_T0_E_clISt17integral_constantIbLb0EES1P_EEDaS1K_S1L_EUlS1K_E_NS1_11comp_targetILNS1_3genE3ELNS1_11target_archE908ELNS1_3gpuE7ELNS1_3repE0EEENS1_30default_config_static_selectorELNS0_4arch9wavefront6targetE0EEEvSY_.has_indirect_call, 0
	.section	.AMDGPU.csdata,"",@progbits
; Kernel info:
; codeLenInByte = 0
; TotalNumSgprs: 0
; NumVgprs: 0
; ScratchSize: 0
; MemoryBound: 0
; FloatMode: 240
; IeeeMode: 1
; LDSByteSize: 0 bytes/workgroup (compile time only)
; SGPRBlocks: 0
; VGPRBlocks: 0
; NumSGPRsForWavesPerEU: 1
; NumVGPRsForWavesPerEU: 1
; Occupancy: 16
; WaveLimiterHint : 0
; COMPUTE_PGM_RSRC2:SCRATCH_EN: 0
; COMPUTE_PGM_RSRC2:USER_SGPR: 6
; COMPUTE_PGM_RSRC2:TRAP_HANDLER: 0
; COMPUTE_PGM_RSRC2:TGID_X_EN: 1
; COMPUTE_PGM_RSRC2:TGID_Y_EN: 0
; COMPUTE_PGM_RSRC2:TGID_Z_EN: 0
; COMPUTE_PGM_RSRC2:TIDIG_COMP_CNT: 0
	.section	.text._ZN7rocprim17ROCPRIM_400000_NS6detail17trampoline_kernelINS0_13select_configILj256ELj13ELNS0_17block_load_methodE3ELS4_3ELS4_3ELNS0_20block_scan_algorithmE0ELj4294967295EEENS1_25partition_config_selectorILNS1_17partition_subalgoE3EjNS0_10empty_typeEbEEZZNS1_14partition_implILS8_3ELb0ES6_jNS0_17counting_iteratorIjlEEPS9_SE_NS0_5tupleIJPjSE_EEENSF_IJSE_SE_EEES9_SG_JZNS1_25segmented_radix_sort_implINS0_14default_configELb1EPKiPiPKlPlN2at6native12_GLOBAL__N_18offset_tEEE10hipError_tPvRmT1_PNSt15iterator_traitsISY_E10value_typeET2_T3_PNSZ_IS14_E10value_typeET4_jRbjT5_S1A_jjP12ihipStream_tbEUljE_EEESV_SW_SX_S14_S18_S1A_T6_T7_T9_mT8_S1C_bDpT10_ENKUlT_T0_E_clISt17integral_constantIbLb0EES1P_EEDaS1K_S1L_EUlS1K_E_NS1_11comp_targetILNS1_3genE2ELNS1_11target_archE906ELNS1_3gpuE6ELNS1_3repE0EEENS1_30default_config_static_selectorELNS0_4arch9wavefront6targetE0EEEvSY_,"axG",@progbits,_ZN7rocprim17ROCPRIM_400000_NS6detail17trampoline_kernelINS0_13select_configILj256ELj13ELNS0_17block_load_methodE3ELS4_3ELS4_3ELNS0_20block_scan_algorithmE0ELj4294967295EEENS1_25partition_config_selectorILNS1_17partition_subalgoE3EjNS0_10empty_typeEbEEZZNS1_14partition_implILS8_3ELb0ES6_jNS0_17counting_iteratorIjlEEPS9_SE_NS0_5tupleIJPjSE_EEENSF_IJSE_SE_EEES9_SG_JZNS1_25segmented_radix_sort_implINS0_14default_configELb1EPKiPiPKlPlN2at6native12_GLOBAL__N_18offset_tEEE10hipError_tPvRmT1_PNSt15iterator_traitsISY_E10value_typeET2_T3_PNSZ_IS14_E10value_typeET4_jRbjT5_S1A_jjP12ihipStream_tbEUljE_EEESV_SW_SX_S14_S18_S1A_T6_T7_T9_mT8_S1C_bDpT10_ENKUlT_T0_E_clISt17integral_constantIbLb0EES1P_EEDaS1K_S1L_EUlS1K_E_NS1_11comp_targetILNS1_3genE2ELNS1_11target_archE906ELNS1_3gpuE6ELNS1_3repE0EEENS1_30default_config_static_selectorELNS0_4arch9wavefront6targetE0EEEvSY_,comdat
	.globl	_ZN7rocprim17ROCPRIM_400000_NS6detail17trampoline_kernelINS0_13select_configILj256ELj13ELNS0_17block_load_methodE3ELS4_3ELS4_3ELNS0_20block_scan_algorithmE0ELj4294967295EEENS1_25partition_config_selectorILNS1_17partition_subalgoE3EjNS0_10empty_typeEbEEZZNS1_14partition_implILS8_3ELb0ES6_jNS0_17counting_iteratorIjlEEPS9_SE_NS0_5tupleIJPjSE_EEENSF_IJSE_SE_EEES9_SG_JZNS1_25segmented_radix_sort_implINS0_14default_configELb1EPKiPiPKlPlN2at6native12_GLOBAL__N_18offset_tEEE10hipError_tPvRmT1_PNSt15iterator_traitsISY_E10value_typeET2_T3_PNSZ_IS14_E10value_typeET4_jRbjT5_S1A_jjP12ihipStream_tbEUljE_EEESV_SW_SX_S14_S18_S1A_T6_T7_T9_mT8_S1C_bDpT10_ENKUlT_T0_E_clISt17integral_constantIbLb0EES1P_EEDaS1K_S1L_EUlS1K_E_NS1_11comp_targetILNS1_3genE2ELNS1_11target_archE906ELNS1_3gpuE6ELNS1_3repE0EEENS1_30default_config_static_selectorELNS0_4arch9wavefront6targetE0EEEvSY_ ; -- Begin function _ZN7rocprim17ROCPRIM_400000_NS6detail17trampoline_kernelINS0_13select_configILj256ELj13ELNS0_17block_load_methodE3ELS4_3ELS4_3ELNS0_20block_scan_algorithmE0ELj4294967295EEENS1_25partition_config_selectorILNS1_17partition_subalgoE3EjNS0_10empty_typeEbEEZZNS1_14partition_implILS8_3ELb0ES6_jNS0_17counting_iteratorIjlEEPS9_SE_NS0_5tupleIJPjSE_EEENSF_IJSE_SE_EEES9_SG_JZNS1_25segmented_radix_sort_implINS0_14default_configELb1EPKiPiPKlPlN2at6native12_GLOBAL__N_18offset_tEEE10hipError_tPvRmT1_PNSt15iterator_traitsISY_E10value_typeET2_T3_PNSZ_IS14_E10value_typeET4_jRbjT5_S1A_jjP12ihipStream_tbEUljE_EEESV_SW_SX_S14_S18_S1A_T6_T7_T9_mT8_S1C_bDpT10_ENKUlT_T0_E_clISt17integral_constantIbLb0EES1P_EEDaS1K_S1L_EUlS1K_E_NS1_11comp_targetILNS1_3genE2ELNS1_11target_archE906ELNS1_3gpuE6ELNS1_3repE0EEENS1_30default_config_static_selectorELNS0_4arch9wavefront6targetE0EEEvSY_
	.p2align	8
	.type	_ZN7rocprim17ROCPRIM_400000_NS6detail17trampoline_kernelINS0_13select_configILj256ELj13ELNS0_17block_load_methodE3ELS4_3ELS4_3ELNS0_20block_scan_algorithmE0ELj4294967295EEENS1_25partition_config_selectorILNS1_17partition_subalgoE3EjNS0_10empty_typeEbEEZZNS1_14partition_implILS8_3ELb0ES6_jNS0_17counting_iteratorIjlEEPS9_SE_NS0_5tupleIJPjSE_EEENSF_IJSE_SE_EEES9_SG_JZNS1_25segmented_radix_sort_implINS0_14default_configELb1EPKiPiPKlPlN2at6native12_GLOBAL__N_18offset_tEEE10hipError_tPvRmT1_PNSt15iterator_traitsISY_E10value_typeET2_T3_PNSZ_IS14_E10value_typeET4_jRbjT5_S1A_jjP12ihipStream_tbEUljE_EEESV_SW_SX_S14_S18_S1A_T6_T7_T9_mT8_S1C_bDpT10_ENKUlT_T0_E_clISt17integral_constantIbLb0EES1P_EEDaS1K_S1L_EUlS1K_E_NS1_11comp_targetILNS1_3genE2ELNS1_11target_archE906ELNS1_3gpuE6ELNS1_3repE0EEENS1_30default_config_static_selectorELNS0_4arch9wavefront6targetE0EEEvSY_,@function
_ZN7rocprim17ROCPRIM_400000_NS6detail17trampoline_kernelINS0_13select_configILj256ELj13ELNS0_17block_load_methodE3ELS4_3ELS4_3ELNS0_20block_scan_algorithmE0ELj4294967295EEENS1_25partition_config_selectorILNS1_17partition_subalgoE3EjNS0_10empty_typeEbEEZZNS1_14partition_implILS8_3ELb0ES6_jNS0_17counting_iteratorIjlEEPS9_SE_NS0_5tupleIJPjSE_EEENSF_IJSE_SE_EEES9_SG_JZNS1_25segmented_radix_sort_implINS0_14default_configELb1EPKiPiPKlPlN2at6native12_GLOBAL__N_18offset_tEEE10hipError_tPvRmT1_PNSt15iterator_traitsISY_E10value_typeET2_T3_PNSZ_IS14_E10value_typeET4_jRbjT5_S1A_jjP12ihipStream_tbEUljE_EEESV_SW_SX_S14_S18_S1A_T6_T7_T9_mT8_S1C_bDpT10_ENKUlT_T0_E_clISt17integral_constantIbLb0EES1P_EEDaS1K_S1L_EUlS1K_E_NS1_11comp_targetILNS1_3genE2ELNS1_11target_archE906ELNS1_3gpuE6ELNS1_3repE0EEENS1_30default_config_static_selectorELNS0_4arch9wavefront6targetE0EEEvSY_: ; @_ZN7rocprim17ROCPRIM_400000_NS6detail17trampoline_kernelINS0_13select_configILj256ELj13ELNS0_17block_load_methodE3ELS4_3ELS4_3ELNS0_20block_scan_algorithmE0ELj4294967295EEENS1_25partition_config_selectorILNS1_17partition_subalgoE3EjNS0_10empty_typeEbEEZZNS1_14partition_implILS8_3ELb0ES6_jNS0_17counting_iteratorIjlEEPS9_SE_NS0_5tupleIJPjSE_EEENSF_IJSE_SE_EEES9_SG_JZNS1_25segmented_radix_sort_implINS0_14default_configELb1EPKiPiPKlPlN2at6native12_GLOBAL__N_18offset_tEEE10hipError_tPvRmT1_PNSt15iterator_traitsISY_E10value_typeET2_T3_PNSZ_IS14_E10value_typeET4_jRbjT5_S1A_jjP12ihipStream_tbEUljE_EEESV_SW_SX_S14_S18_S1A_T6_T7_T9_mT8_S1C_bDpT10_ENKUlT_T0_E_clISt17integral_constantIbLb0EES1P_EEDaS1K_S1L_EUlS1K_E_NS1_11comp_targetILNS1_3genE2ELNS1_11target_archE906ELNS1_3gpuE6ELNS1_3repE0EEENS1_30default_config_static_selectorELNS0_4arch9wavefront6targetE0EEEvSY_
; %bb.0:
	.section	.rodata,"a",@progbits
	.p2align	6, 0x0
	.amdhsa_kernel _ZN7rocprim17ROCPRIM_400000_NS6detail17trampoline_kernelINS0_13select_configILj256ELj13ELNS0_17block_load_methodE3ELS4_3ELS4_3ELNS0_20block_scan_algorithmE0ELj4294967295EEENS1_25partition_config_selectorILNS1_17partition_subalgoE3EjNS0_10empty_typeEbEEZZNS1_14partition_implILS8_3ELb0ES6_jNS0_17counting_iteratorIjlEEPS9_SE_NS0_5tupleIJPjSE_EEENSF_IJSE_SE_EEES9_SG_JZNS1_25segmented_radix_sort_implINS0_14default_configELb1EPKiPiPKlPlN2at6native12_GLOBAL__N_18offset_tEEE10hipError_tPvRmT1_PNSt15iterator_traitsISY_E10value_typeET2_T3_PNSZ_IS14_E10value_typeET4_jRbjT5_S1A_jjP12ihipStream_tbEUljE_EEESV_SW_SX_S14_S18_S1A_T6_T7_T9_mT8_S1C_bDpT10_ENKUlT_T0_E_clISt17integral_constantIbLb0EES1P_EEDaS1K_S1L_EUlS1K_E_NS1_11comp_targetILNS1_3genE2ELNS1_11target_archE906ELNS1_3gpuE6ELNS1_3repE0EEENS1_30default_config_static_selectorELNS0_4arch9wavefront6targetE0EEEvSY_
		.amdhsa_group_segment_fixed_size 0
		.amdhsa_private_segment_fixed_size 0
		.amdhsa_kernarg_size 144
		.amdhsa_user_sgpr_count 6
		.amdhsa_user_sgpr_private_segment_buffer 1
		.amdhsa_user_sgpr_dispatch_ptr 0
		.amdhsa_user_sgpr_queue_ptr 0
		.amdhsa_user_sgpr_kernarg_segment_ptr 1
		.amdhsa_user_sgpr_dispatch_id 0
		.amdhsa_user_sgpr_flat_scratch_init 0
		.amdhsa_user_sgpr_private_segment_size 0
		.amdhsa_wavefront_size32 1
		.amdhsa_uses_dynamic_stack 0
		.amdhsa_system_sgpr_private_segment_wavefront_offset 0
		.amdhsa_system_sgpr_workgroup_id_x 1
		.amdhsa_system_sgpr_workgroup_id_y 0
		.amdhsa_system_sgpr_workgroup_id_z 0
		.amdhsa_system_sgpr_workgroup_info 0
		.amdhsa_system_vgpr_workitem_id 0
		.amdhsa_next_free_vgpr 1
		.amdhsa_next_free_sgpr 1
		.amdhsa_reserve_vcc 0
		.amdhsa_reserve_flat_scratch 0
		.amdhsa_float_round_mode_32 0
		.amdhsa_float_round_mode_16_64 0
		.amdhsa_float_denorm_mode_32 3
		.amdhsa_float_denorm_mode_16_64 3
		.amdhsa_dx10_clamp 1
		.amdhsa_ieee_mode 1
		.amdhsa_fp16_overflow 0
		.amdhsa_workgroup_processor_mode 1
		.amdhsa_memory_ordered 1
		.amdhsa_forward_progress 1
		.amdhsa_shared_vgpr_count 0
		.amdhsa_exception_fp_ieee_invalid_op 0
		.amdhsa_exception_fp_denorm_src 0
		.amdhsa_exception_fp_ieee_div_zero 0
		.amdhsa_exception_fp_ieee_overflow 0
		.amdhsa_exception_fp_ieee_underflow 0
		.amdhsa_exception_fp_ieee_inexact 0
		.amdhsa_exception_int_div_zero 0
	.end_amdhsa_kernel
	.section	.text._ZN7rocprim17ROCPRIM_400000_NS6detail17trampoline_kernelINS0_13select_configILj256ELj13ELNS0_17block_load_methodE3ELS4_3ELS4_3ELNS0_20block_scan_algorithmE0ELj4294967295EEENS1_25partition_config_selectorILNS1_17partition_subalgoE3EjNS0_10empty_typeEbEEZZNS1_14partition_implILS8_3ELb0ES6_jNS0_17counting_iteratorIjlEEPS9_SE_NS0_5tupleIJPjSE_EEENSF_IJSE_SE_EEES9_SG_JZNS1_25segmented_radix_sort_implINS0_14default_configELb1EPKiPiPKlPlN2at6native12_GLOBAL__N_18offset_tEEE10hipError_tPvRmT1_PNSt15iterator_traitsISY_E10value_typeET2_T3_PNSZ_IS14_E10value_typeET4_jRbjT5_S1A_jjP12ihipStream_tbEUljE_EEESV_SW_SX_S14_S18_S1A_T6_T7_T9_mT8_S1C_bDpT10_ENKUlT_T0_E_clISt17integral_constantIbLb0EES1P_EEDaS1K_S1L_EUlS1K_E_NS1_11comp_targetILNS1_3genE2ELNS1_11target_archE906ELNS1_3gpuE6ELNS1_3repE0EEENS1_30default_config_static_selectorELNS0_4arch9wavefront6targetE0EEEvSY_,"axG",@progbits,_ZN7rocprim17ROCPRIM_400000_NS6detail17trampoline_kernelINS0_13select_configILj256ELj13ELNS0_17block_load_methodE3ELS4_3ELS4_3ELNS0_20block_scan_algorithmE0ELj4294967295EEENS1_25partition_config_selectorILNS1_17partition_subalgoE3EjNS0_10empty_typeEbEEZZNS1_14partition_implILS8_3ELb0ES6_jNS0_17counting_iteratorIjlEEPS9_SE_NS0_5tupleIJPjSE_EEENSF_IJSE_SE_EEES9_SG_JZNS1_25segmented_radix_sort_implINS0_14default_configELb1EPKiPiPKlPlN2at6native12_GLOBAL__N_18offset_tEEE10hipError_tPvRmT1_PNSt15iterator_traitsISY_E10value_typeET2_T3_PNSZ_IS14_E10value_typeET4_jRbjT5_S1A_jjP12ihipStream_tbEUljE_EEESV_SW_SX_S14_S18_S1A_T6_T7_T9_mT8_S1C_bDpT10_ENKUlT_T0_E_clISt17integral_constantIbLb0EES1P_EEDaS1K_S1L_EUlS1K_E_NS1_11comp_targetILNS1_3genE2ELNS1_11target_archE906ELNS1_3gpuE6ELNS1_3repE0EEENS1_30default_config_static_selectorELNS0_4arch9wavefront6targetE0EEEvSY_,comdat
.Lfunc_end465:
	.size	_ZN7rocprim17ROCPRIM_400000_NS6detail17trampoline_kernelINS0_13select_configILj256ELj13ELNS0_17block_load_methodE3ELS4_3ELS4_3ELNS0_20block_scan_algorithmE0ELj4294967295EEENS1_25partition_config_selectorILNS1_17partition_subalgoE3EjNS0_10empty_typeEbEEZZNS1_14partition_implILS8_3ELb0ES6_jNS0_17counting_iteratorIjlEEPS9_SE_NS0_5tupleIJPjSE_EEENSF_IJSE_SE_EEES9_SG_JZNS1_25segmented_radix_sort_implINS0_14default_configELb1EPKiPiPKlPlN2at6native12_GLOBAL__N_18offset_tEEE10hipError_tPvRmT1_PNSt15iterator_traitsISY_E10value_typeET2_T3_PNSZ_IS14_E10value_typeET4_jRbjT5_S1A_jjP12ihipStream_tbEUljE_EEESV_SW_SX_S14_S18_S1A_T6_T7_T9_mT8_S1C_bDpT10_ENKUlT_T0_E_clISt17integral_constantIbLb0EES1P_EEDaS1K_S1L_EUlS1K_E_NS1_11comp_targetILNS1_3genE2ELNS1_11target_archE906ELNS1_3gpuE6ELNS1_3repE0EEENS1_30default_config_static_selectorELNS0_4arch9wavefront6targetE0EEEvSY_, .Lfunc_end465-_ZN7rocprim17ROCPRIM_400000_NS6detail17trampoline_kernelINS0_13select_configILj256ELj13ELNS0_17block_load_methodE3ELS4_3ELS4_3ELNS0_20block_scan_algorithmE0ELj4294967295EEENS1_25partition_config_selectorILNS1_17partition_subalgoE3EjNS0_10empty_typeEbEEZZNS1_14partition_implILS8_3ELb0ES6_jNS0_17counting_iteratorIjlEEPS9_SE_NS0_5tupleIJPjSE_EEENSF_IJSE_SE_EEES9_SG_JZNS1_25segmented_radix_sort_implINS0_14default_configELb1EPKiPiPKlPlN2at6native12_GLOBAL__N_18offset_tEEE10hipError_tPvRmT1_PNSt15iterator_traitsISY_E10value_typeET2_T3_PNSZ_IS14_E10value_typeET4_jRbjT5_S1A_jjP12ihipStream_tbEUljE_EEESV_SW_SX_S14_S18_S1A_T6_T7_T9_mT8_S1C_bDpT10_ENKUlT_T0_E_clISt17integral_constantIbLb0EES1P_EEDaS1K_S1L_EUlS1K_E_NS1_11comp_targetILNS1_3genE2ELNS1_11target_archE906ELNS1_3gpuE6ELNS1_3repE0EEENS1_30default_config_static_selectorELNS0_4arch9wavefront6targetE0EEEvSY_
                                        ; -- End function
	.set _ZN7rocprim17ROCPRIM_400000_NS6detail17trampoline_kernelINS0_13select_configILj256ELj13ELNS0_17block_load_methodE3ELS4_3ELS4_3ELNS0_20block_scan_algorithmE0ELj4294967295EEENS1_25partition_config_selectorILNS1_17partition_subalgoE3EjNS0_10empty_typeEbEEZZNS1_14partition_implILS8_3ELb0ES6_jNS0_17counting_iteratorIjlEEPS9_SE_NS0_5tupleIJPjSE_EEENSF_IJSE_SE_EEES9_SG_JZNS1_25segmented_radix_sort_implINS0_14default_configELb1EPKiPiPKlPlN2at6native12_GLOBAL__N_18offset_tEEE10hipError_tPvRmT1_PNSt15iterator_traitsISY_E10value_typeET2_T3_PNSZ_IS14_E10value_typeET4_jRbjT5_S1A_jjP12ihipStream_tbEUljE_EEESV_SW_SX_S14_S18_S1A_T6_T7_T9_mT8_S1C_bDpT10_ENKUlT_T0_E_clISt17integral_constantIbLb0EES1P_EEDaS1K_S1L_EUlS1K_E_NS1_11comp_targetILNS1_3genE2ELNS1_11target_archE906ELNS1_3gpuE6ELNS1_3repE0EEENS1_30default_config_static_selectorELNS0_4arch9wavefront6targetE0EEEvSY_.num_vgpr, 0
	.set _ZN7rocprim17ROCPRIM_400000_NS6detail17trampoline_kernelINS0_13select_configILj256ELj13ELNS0_17block_load_methodE3ELS4_3ELS4_3ELNS0_20block_scan_algorithmE0ELj4294967295EEENS1_25partition_config_selectorILNS1_17partition_subalgoE3EjNS0_10empty_typeEbEEZZNS1_14partition_implILS8_3ELb0ES6_jNS0_17counting_iteratorIjlEEPS9_SE_NS0_5tupleIJPjSE_EEENSF_IJSE_SE_EEES9_SG_JZNS1_25segmented_radix_sort_implINS0_14default_configELb1EPKiPiPKlPlN2at6native12_GLOBAL__N_18offset_tEEE10hipError_tPvRmT1_PNSt15iterator_traitsISY_E10value_typeET2_T3_PNSZ_IS14_E10value_typeET4_jRbjT5_S1A_jjP12ihipStream_tbEUljE_EEESV_SW_SX_S14_S18_S1A_T6_T7_T9_mT8_S1C_bDpT10_ENKUlT_T0_E_clISt17integral_constantIbLb0EES1P_EEDaS1K_S1L_EUlS1K_E_NS1_11comp_targetILNS1_3genE2ELNS1_11target_archE906ELNS1_3gpuE6ELNS1_3repE0EEENS1_30default_config_static_selectorELNS0_4arch9wavefront6targetE0EEEvSY_.num_agpr, 0
	.set _ZN7rocprim17ROCPRIM_400000_NS6detail17trampoline_kernelINS0_13select_configILj256ELj13ELNS0_17block_load_methodE3ELS4_3ELS4_3ELNS0_20block_scan_algorithmE0ELj4294967295EEENS1_25partition_config_selectorILNS1_17partition_subalgoE3EjNS0_10empty_typeEbEEZZNS1_14partition_implILS8_3ELb0ES6_jNS0_17counting_iteratorIjlEEPS9_SE_NS0_5tupleIJPjSE_EEENSF_IJSE_SE_EEES9_SG_JZNS1_25segmented_radix_sort_implINS0_14default_configELb1EPKiPiPKlPlN2at6native12_GLOBAL__N_18offset_tEEE10hipError_tPvRmT1_PNSt15iterator_traitsISY_E10value_typeET2_T3_PNSZ_IS14_E10value_typeET4_jRbjT5_S1A_jjP12ihipStream_tbEUljE_EEESV_SW_SX_S14_S18_S1A_T6_T7_T9_mT8_S1C_bDpT10_ENKUlT_T0_E_clISt17integral_constantIbLb0EES1P_EEDaS1K_S1L_EUlS1K_E_NS1_11comp_targetILNS1_3genE2ELNS1_11target_archE906ELNS1_3gpuE6ELNS1_3repE0EEENS1_30default_config_static_selectorELNS0_4arch9wavefront6targetE0EEEvSY_.numbered_sgpr, 0
	.set _ZN7rocprim17ROCPRIM_400000_NS6detail17trampoline_kernelINS0_13select_configILj256ELj13ELNS0_17block_load_methodE3ELS4_3ELS4_3ELNS0_20block_scan_algorithmE0ELj4294967295EEENS1_25partition_config_selectorILNS1_17partition_subalgoE3EjNS0_10empty_typeEbEEZZNS1_14partition_implILS8_3ELb0ES6_jNS0_17counting_iteratorIjlEEPS9_SE_NS0_5tupleIJPjSE_EEENSF_IJSE_SE_EEES9_SG_JZNS1_25segmented_radix_sort_implINS0_14default_configELb1EPKiPiPKlPlN2at6native12_GLOBAL__N_18offset_tEEE10hipError_tPvRmT1_PNSt15iterator_traitsISY_E10value_typeET2_T3_PNSZ_IS14_E10value_typeET4_jRbjT5_S1A_jjP12ihipStream_tbEUljE_EEESV_SW_SX_S14_S18_S1A_T6_T7_T9_mT8_S1C_bDpT10_ENKUlT_T0_E_clISt17integral_constantIbLb0EES1P_EEDaS1K_S1L_EUlS1K_E_NS1_11comp_targetILNS1_3genE2ELNS1_11target_archE906ELNS1_3gpuE6ELNS1_3repE0EEENS1_30default_config_static_selectorELNS0_4arch9wavefront6targetE0EEEvSY_.num_named_barrier, 0
	.set _ZN7rocprim17ROCPRIM_400000_NS6detail17trampoline_kernelINS0_13select_configILj256ELj13ELNS0_17block_load_methodE3ELS4_3ELS4_3ELNS0_20block_scan_algorithmE0ELj4294967295EEENS1_25partition_config_selectorILNS1_17partition_subalgoE3EjNS0_10empty_typeEbEEZZNS1_14partition_implILS8_3ELb0ES6_jNS0_17counting_iteratorIjlEEPS9_SE_NS0_5tupleIJPjSE_EEENSF_IJSE_SE_EEES9_SG_JZNS1_25segmented_radix_sort_implINS0_14default_configELb1EPKiPiPKlPlN2at6native12_GLOBAL__N_18offset_tEEE10hipError_tPvRmT1_PNSt15iterator_traitsISY_E10value_typeET2_T3_PNSZ_IS14_E10value_typeET4_jRbjT5_S1A_jjP12ihipStream_tbEUljE_EEESV_SW_SX_S14_S18_S1A_T6_T7_T9_mT8_S1C_bDpT10_ENKUlT_T0_E_clISt17integral_constantIbLb0EES1P_EEDaS1K_S1L_EUlS1K_E_NS1_11comp_targetILNS1_3genE2ELNS1_11target_archE906ELNS1_3gpuE6ELNS1_3repE0EEENS1_30default_config_static_selectorELNS0_4arch9wavefront6targetE0EEEvSY_.private_seg_size, 0
	.set _ZN7rocprim17ROCPRIM_400000_NS6detail17trampoline_kernelINS0_13select_configILj256ELj13ELNS0_17block_load_methodE3ELS4_3ELS4_3ELNS0_20block_scan_algorithmE0ELj4294967295EEENS1_25partition_config_selectorILNS1_17partition_subalgoE3EjNS0_10empty_typeEbEEZZNS1_14partition_implILS8_3ELb0ES6_jNS0_17counting_iteratorIjlEEPS9_SE_NS0_5tupleIJPjSE_EEENSF_IJSE_SE_EEES9_SG_JZNS1_25segmented_radix_sort_implINS0_14default_configELb1EPKiPiPKlPlN2at6native12_GLOBAL__N_18offset_tEEE10hipError_tPvRmT1_PNSt15iterator_traitsISY_E10value_typeET2_T3_PNSZ_IS14_E10value_typeET4_jRbjT5_S1A_jjP12ihipStream_tbEUljE_EEESV_SW_SX_S14_S18_S1A_T6_T7_T9_mT8_S1C_bDpT10_ENKUlT_T0_E_clISt17integral_constantIbLb0EES1P_EEDaS1K_S1L_EUlS1K_E_NS1_11comp_targetILNS1_3genE2ELNS1_11target_archE906ELNS1_3gpuE6ELNS1_3repE0EEENS1_30default_config_static_selectorELNS0_4arch9wavefront6targetE0EEEvSY_.uses_vcc, 0
	.set _ZN7rocprim17ROCPRIM_400000_NS6detail17trampoline_kernelINS0_13select_configILj256ELj13ELNS0_17block_load_methodE3ELS4_3ELS4_3ELNS0_20block_scan_algorithmE0ELj4294967295EEENS1_25partition_config_selectorILNS1_17partition_subalgoE3EjNS0_10empty_typeEbEEZZNS1_14partition_implILS8_3ELb0ES6_jNS0_17counting_iteratorIjlEEPS9_SE_NS0_5tupleIJPjSE_EEENSF_IJSE_SE_EEES9_SG_JZNS1_25segmented_radix_sort_implINS0_14default_configELb1EPKiPiPKlPlN2at6native12_GLOBAL__N_18offset_tEEE10hipError_tPvRmT1_PNSt15iterator_traitsISY_E10value_typeET2_T3_PNSZ_IS14_E10value_typeET4_jRbjT5_S1A_jjP12ihipStream_tbEUljE_EEESV_SW_SX_S14_S18_S1A_T6_T7_T9_mT8_S1C_bDpT10_ENKUlT_T0_E_clISt17integral_constantIbLb0EES1P_EEDaS1K_S1L_EUlS1K_E_NS1_11comp_targetILNS1_3genE2ELNS1_11target_archE906ELNS1_3gpuE6ELNS1_3repE0EEENS1_30default_config_static_selectorELNS0_4arch9wavefront6targetE0EEEvSY_.uses_flat_scratch, 0
	.set _ZN7rocprim17ROCPRIM_400000_NS6detail17trampoline_kernelINS0_13select_configILj256ELj13ELNS0_17block_load_methodE3ELS4_3ELS4_3ELNS0_20block_scan_algorithmE0ELj4294967295EEENS1_25partition_config_selectorILNS1_17partition_subalgoE3EjNS0_10empty_typeEbEEZZNS1_14partition_implILS8_3ELb0ES6_jNS0_17counting_iteratorIjlEEPS9_SE_NS0_5tupleIJPjSE_EEENSF_IJSE_SE_EEES9_SG_JZNS1_25segmented_radix_sort_implINS0_14default_configELb1EPKiPiPKlPlN2at6native12_GLOBAL__N_18offset_tEEE10hipError_tPvRmT1_PNSt15iterator_traitsISY_E10value_typeET2_T3_PNSZ_IS14_E10value_typeET4_jRbjT5_S1A_jjP12ihipStream_tbEUljE_EEESV_SW_SX_S14_S18_S1A_T6_T7_T9_mT8_S1C_bDpT10_ENKUlT_T0_E_clISt17integral_constantIbLb0EES1P_EEDaS1K_S1L_EUlS1K_E_NS1_11comp_targetILNS1_3genE2ELNS1_11target_archE906ELNS1_3gpuE6ELNS1_3repE0EEENS1_30default_config_static_selectorELNS0_4arch9wavefront6targetE0EEEvSY_.has_dyn_sized_stack, 0
	.set _ZN7rocprim17ROCPRIM_400000_NS6detail17trampoline_kernelINS0_13select_configILj256ELj13ELNS0_17block_load_methodE3ELS4_3ELS4_3ELNS0_20block_scan_algorithmE0ELj4294967295EEENS1_25partition_config_selectorILNS1_17partition_subalgoE3EjNS0_10empty_typeEbEEZZNS1_14partition_implILS8_3ELb0ES6_jNS0_17counting_iteratorIjlEEPS9_SE_NS0_5tupleIJPjSE_EEENSF_IJSE_SE_EEES9_SG_JZNS1_25segmented_radix_sort_implINS0_14default_configELb1EPKiPiPKlPlN2at6native12_GLOBAL__N_18offset_tEEE10hipError_tPvRmT1_PNSt15iterator_traitsISY_E10value_typeET2_T3_PNSZ_IS14_E10value_typeET4_jRbjT5_S1A_jjP12ihipStream_tbEUljE_EEESV_SW_SX_S14_S18_S1A_T6_T7_T9_mT8_S1C_bDpT10_ENKUlT_T0_E_clISt17integral_constantIbLb0EES1P_EEDaS1K_S1L_EUlS1K_E_NS1_11comp_targetILNS1_3genE2ELNS1_11target_archE906ELNS1_3gpuE6ELNS1_3repE0EEENS1_30default_config_static_selectorELNS0_4arch9wavefront6targetE0EEEvSY_.has_recursion, 0
	.set _ZN7rocprim17ROCPRIM_400000_NS6detail17trampoline_kernelINS0_13select_configILj256ELj13ELNS0_17block_load_methodE3ELS4_3ELS4_3ELNS0_20block_scan_algorithmE0ELj4294967295EEENS1_25partition_config_selectorILNS1_17partition_subalgoE3EjNS0_10empty_typeEbEEZZNS1_14partition_implILS8_3ELb0ES6_jNS0_17counting_iteratorIjlEEPS9_SE_NS0_5tupleIJPjSE_EEENSF_IJSE_SE_EEES9_SG_JZNS1_25segmented_radix_sort_implINS0_14default_configELb1EPKiPiPKlPlN2at6native12_GLOBAL__N_18offset_tEEE10hipError_tPvRmT1_PNSt15iterator_traitsISY_E10value_typeET2_T3_PNSZ_IS14_E10value_typeET4_jRbjT5_S1A_jjP12ihipStream_tbEUljE_EEESV_SW_SX_S14_S18_S1A_T6_T7_T9_mT8_S1C_bDpT10_ENKUlT_T0_E_clISt17integral_constantIbLb0EES1P_EEDaS1K_S1L_EUlS1K_E_NS1_11comp_targetILNS1_3genE2ELNS1_11target_archE906ELNS1_3gpuE6ELNS1_3repE0EEENS1_30default_config_static_selectorELNS0_4arch9wavefront6targetE0EEEvSY_.has_indirect_call, 0
	.section	.AMDGPU.csdata,"",@progbits
; Kernel info:
; codeLenInByte = 0
; TotalNumSgprs: 0
; NumVgprs: 0
; ScratchSize: 0
; MemoryBound: 0
; FloatMode: 240
; IeeeMode: 1
; LDSByteSize: 0 bytes/workgroup (compile time only)
; SGPRBlocks: 0
; VGPRBlocks: 0
; NumSGPRsForWavesPerEU: 1
; NumVGPRsForWavesPerEU: 1
; Occupancy: 16
; WaveLimiterHint : 0
; COMPUTE_PGM_RSRC2:SCRATCH_EN: 0
; COMPUTE_PGM_RSRC2:USER_SGPR: 6
; COMPUTE_PGM_RSRC2:TRAP_HANDLER: 0
; COMPUTE_PGM_RSRC2:TGID_X_EN: 1
; COMPUTE_PGM_RSRC2:TGID_Y_EN: 0
; COMPUTE_PGM_RSRC2:TGID_Z_EN: 0
; COMPUTE_PGM_RSRC2:TIDIG_COMP_CNT: 0
	.section	.text._ZN7rocprim17ROCPRIM_400000_NS6detail17trampoline_kernelINS0_13select_configILj256ELj13ELNS0_17block_load_methodE3ELS4_3ELS4_3ELNS0_20block_scan_algorithmE0ELj4294967295EEENS1_25partition_config_selectorILNS1_17partition_subalgoE3EjNS0_10empty_typeEbEEZZNS1_14partition_implILS8_3ELb0ES6_jNS0_17counting_iteratorIjlEEPS9_SE_NS0_5tupleIJPjSE_EEENSF_IJSE_SE_EEES9_SG_JZNS1_25segmented_radix_sort_implINS0_14default_configELb1EPKiPiPKlPlN2at6native12_GLOBAL__N_18offset_tEEE10hipError_tPvRmT1_PNSt15iterator_traitsISY_E10value_typeET2_T3_PNSZ_IS14_E10value_typeET4_jRbjT5_S1A_jjP12ihipStream_tbEUljE_EEESV_SW_SX_S14_S18_S1A_T6_T7_T9_mT8_S1C_bDpT10_ENKUlT_T0_E_clISt17integral_constantIbLb0EES1P_EEDaS1K_S1L_EUlS1K_E_NS1_11comp_targetILNS1_3genE10ELNS1_11target_archE1200ELNS1_3gpuE4ELNS1_3repE0EEENS1_30default_config_static_selectorELNS0_4arch9wavefront6targetE0EEEvSY_,"axG",@progbits,_ZN7rocprim17ROCPRIM_400000_NS6detail17trampoline_kernelINS0_13select_configILj256ELj13ELNS0_17block_load_methodE3ELS4_3ELS4_3ELNS0_20block_scan_algorithmE0ELj4294967295EEENS1_25partition_config_selectorILNS1_17partition_subalgoE3EjNS0_10empty_typeEbEEZZNS1_14partition_implILS8_3ELb0ES6_jNS0_17counting_iteratorIjlEEPS9_SE_NS0_5tupleIJPjSE_EEENSF_IJSE_SE_EEES9_SG_JZNS1_25segmented_radix_sort_implINS0_14default_configELb1EPKiPiPKlPlN2at6native12_GLOBAL__N_18offset_tEEE10hipError_tPvRmT1_PNSt15iterator_traitsISY_E10value_typeET2_T3_PNSZ_IS14_E10value_typeET4_jRbjT5_S1A_jjP12ihipStream_tbEUljE_EEESV_SW_SX_S14_S18_S1A_T6_T7_T9_mT8_S1C_bDpT10_ENKUlT_T0_E_clISt17integral_constantIbLb0EES1P_EEDaS1K_S1L_EUlS1K_E_NS1_11comp_targetILNS1_3genE10ELNS1_11target_archE1200ELNS1_3gpuE4ELNS1_3repE0EEENS1_30default_config_static_selectorELNS0_4arch9wavefront6targetE0EEEvSY_,comdat
	.globl	_ZN7rocprim17ROCPRIM_400000_NS6detail17trampoline_kernelINS0_13select_configILj256ELj13ELNS0_17block_load_methodE3ELS4_3ELS4_3ELNS0_20block_scan_algorithmE0ELj4294967295EEENS1_25partition_config_selectorILNS1_17partition_subalgoE3EjNS0_10empty_typeEbEEZZNS1_14partition_implILS8_3ELb0ES6_jNS0_17counting_iteratorIjlEEPS9_SE_NS0_5tupleIJPjSE_EEENSF_IJSE_SE_EEES9_SG_JZNS1_25segmented_radix_sort_implINS0_14default_configELb1EPKiPiPKlPlN2at6native12_GLOBAL__N_18offset_tEEE10hipError_tPvRmT1_PNSt15iterator_traitsISY_E10value_typeET2_T3_PNSZ_IS14_E10value_typeET4_jRbjT5_S1A_jjP12ihipStream_tbEUljE_EEESV_SW_SX_S14_S18_S1A_T6_T7_T9_mT8_S1C_bDpT10_ENKUlT_T0_E_clISt17integral_constantIbLb0EES1P_EEDaS1K_S1L_EUlS1K_E_NS1_11comp_targetILNS1_3genE10ELNS1_11target_archE1200ELNS1_3gpuE4ELNS1_3repE0EEENS1_30default_config_static_selectorELNS0_4arch9wavefront6targetE0EEEvSY_ ; -- Begin function _ZN7rocprim17ROCPRIM_400000_NS6detail17trampoline_kernelINS0_13select_configILj256ELj13ELNS0_17block_load_methodE3ELS4_3ELS4_3ELNS0_20block_scan_algorithmE0ELj4294967295EEENS1_25partition_config_selectorILNS1_17partition_subalgoE3EjNS0_10empty_typeEbEEZZNS1_14partition_implILS8_3ELb0ES6_jNS0_17counting_iteratorIjlEEPS9_SE_NS0_5tupleIJPjSE_EEENSF_IJSE_SE_EEES9_SG_JZNS1_25segmented_radix_sort_implINS0_14default_configELb1EPKiPiPKlPlN2at6native12_GLOBAL__N_18offset_tEEE10hipError_tPvRmT1_PNSt15iterator_traitsISY_E10value_typeET2_T3_PNSZ_IS14_E10value_typeET4_jRbjT5_S1A_jjP12ihipStream_tbEUljE_EEESV_SW_SX_S14_S18_S1A_T6_T7_T9_mT8_S1C_bDpT10_ENKUlT_T0_E_clISt17integral_constantIbLb0EES1P_EEDaS1K_S1L_EUlS1K_E_NS1_11comp_targetILNS1_3genE10ELNS1_11target_archE1200ELNS1_3gpuE4ELNS1_3repE0EEENS1_30default_config_static_selectorELNS0_4arch9wavefront6targetE0EEEvSY_
	.p2align	8
	.type	_ZN7rocprim17ROCPRIM_400000_NS6detail17trampoline_kernelINS0_13select_configILj256ELj13ELNS0_17block_load_methodE3ELS4_3ELS4_3ELNS0_20block_scan_algorithmE0ELj4294967295EEENS1_25partition_config_selectorILNS1_17partition_subalgoE3EjNS0_10empty_typeEbEEZZNS1_14partition_implILS8_3ELb0ES6_jNS0_17counting_iteratorIjlEEPS9_SE_NS0_5tupleIJPjSE_EEENSF_IJSE_SE_EEES9_SG_JZNS1_25segmented_radix_sort_implINS0_14default_configELb1EPKiPiPKlPlN2at6native12_GLOBAL__N_18offset_tEEE10hipError_tPvRmT1_PNSt15iterator_traitsISY_E10value_typeET2_T3_PNSZ_IS14_E10value_typeET4_jRbjT5_S1A_jjP12ihipStream_tbEUljE_EEESV_SW_SX_S14_S18_S1A_T6_T7_T9_mT8_S1C_bDpT10_ENKUlT_T0_E_clISt17integral_constantIbLb0EES1P_EEDaS1K_S1L_EUlS1K_E_NS1_11comp_targetILNS1_3genE10ELNS1_11target_archE1200ELNS1_3gpuE4ELNS1_3repE0EEENS1_30default_config_static_selectorELNS0_4arch9wavefront6targetE0EEEvSY_,@function
_ZN7rocprim17ROCPRIM_400000_NS6detail17trampoline_kernelINS0_13select_configILj256ELj13ELNS0_17block_load_methodE3ELS4_3ELS4_3ELNS0_20block_scan_algorithmE0ELj4294967295EEENS1_25partition_config_selectorILNS1_17partition_subalgoE3EjNS0_10empty_typeEbEEZZNS1_14partition_implILS8_3ELb0ES6_jNS0_17counting_iteratorIjlEEPS9_SE_NS0_5tupleIJPjSE_EEENSF_IJSE_SE_EEES9_SG_JZNS1_25segmented_radix_sort_implINS0_14default_configELb1EPKiPiPKlPlN2at6native12_GLOBAL__N_18offset_tEEE10hipError_tPvRmT1_PNSt15iterator_traitsISY_E10value_typeET2_T3_PNSZ_IS14_E10value_typeET4_jRbjT5_S1A_jjP12ihipStream_tbEUljE_EEESV_SW_SX_S14_S18_S1A_T6_T7_T9_mT8_S1C_bDpT10_ENKUlT_T0_E_clISt17integral_constantIbLb0EES1P_EEDaS1K_S1L_EUlS1K_E_NS1_11comp_targetILNS1_3genE10ELNS1_11target_archE1200ELNS1_3gpuE4ELNS1_3repE0EEENS1_30default_config_static_selectorELNS0_4arch9wavefront6targetE0EEEvSY_: ; @_ZN7rocprim17ROCPRIM_400000_NS6detail17trampoline_kernelINS0_13select_configILj256ELj13ELNS0_17block_load_methodE3ELS4_3ELS4_3ELNS0_20block_scan_algorithmE0ELj4294967295EEENS1_25partition_config_selectorILNS1_17partition_subalgoE3EjNS0_10empty_typeEbEEZZNS1_14partition_implILS8_3ELb0ES6_jNS0_17counting_iteratorIjlEEPS9_SE_NS0_5tupleIJPjSE_EEENSF_IJSE_SE_EEES9_SG_JZNS1_25segmented_radix_sort_implINS0_14default_configELb1EPKiPiPKlPlN2at6native12_GLOBAL__N_18offset_tEEE10hipError_tPvRmT1_PNSt15iterator_traitsISY_E10value_typeET2_T3_PNSZ_IS14_E10value_typeET4_jRbjT5_S1A_jjP12ihipStream_tbEUljE_EEESV_SW_SX_S14_S18_S1A_T6_T7_T9_mT8_S1C_bDpT10_ENKUlT_T0_E_clISt17integral_constantIbLb0EES1P_EEDaS1K_S1L_EUlS1K_E_NS1_11comp_targetILNS1_3genE10ELNS1_11target_archE1200ELNS1_3gpuE4ELNS1_3repE0EEENS1_30default_config_static_selectorELNS0_4arch9wavefront6targetE0EEEvSY_
; %bb.0:
	.section	.rodata,"a",@progbits
	.p2align	6, 0x0
	.amdhsa_kernel _ZN7rocprim17ROCPRIM_400000_NS6detail17trampoline_kernelINS0_13select_configILj256ELj13ELNS0_17block_load_methodE3ELS4_3ELS4_3ELNS0_20block_scan_algorithmE0ELj4294967295EEENS1_25partition_config_selectorILNS1_17partition_subalgoE3EjNS0_10empty_typeEbEEZZNS1_14partition_implILS8_3ELb0ES6_jNS0_17counting_iteratorIjlEEPS9_SE_NS0_5tupleIJPjSE_EEENSF_IJSE_SE_EEES9_SG_JZNS1_25segmented_radix_sort_implINS0_14default_configELb1EPKiPiPKlPlN2at6native12_GLOBAL__N_18offset_tEEE10hipError_tPvRmT1_PNSt15iterator_traitsISY_E10value_typeET2_T3_PNSZ_IS14_E10value_typeET4_jRbjT5_S1A_jjP12ihipStream_tbEUljE_EEESV_SW_SX_S14_S18_S1A_T6_T7_T9_mT8_S1C_bDpT10_ENKUlT_T0_E_clISt17integral_constantIbLb0EES1P_EEDaS1K_S1L_EUlS1K_E_NS1_11comp_targetILNS1_3genE10ELNS1_11target_archE1200ELNS1_3gpuE4ELNS1_3repE0EEENS1_30default_config_static_selectorELNS0_4arch9wavefront6targetE0EEEvSY_
		.amdhsa_group_segment_fixed_size 0
		.amdhsa_private_segment_fixed_size 0
		.amdhsa_kernarg_size 144
		.amdhsa_user_sgpr_count 6
		.amdhsa_user_sgpr_private_segment_buffer 1
		.amdhsa_user_sgpr_dispatch_ptr 0
		.amdhsa_user_sgpr_queue_ptr 0
		.amdhsa_user_sgpr_kernarg_segment_ptr 1
		.amdhsa_user_sgpr_dispatch_id 0
		.amdhsa_user_sgpr_flat_scratch_init 0
		.amdhsa_user_sgpr_private_segment_size 0
		.amdhsa_wavefront_size32 1
		.amdhsa_uses_dynamic_stack 0
		.amdhsa_system_sgpr_private_segment_wavefront_offset 0
		.amdhsa_system_sgpr_workgroup_id_x 1
		.amdhsa_system_sgpr_workgroup_id_y 0
		.amdhsa_system_sgpr_workgroup_id_z 0
		.amdhsa_system_sgpr_workgroup_info 0
		.amdhsa_system_vgpr_workitem_id 0
		.amdhsa_next_free_vgpr 1
		.amdhsa_next_free_sgpr 1
		.amdhsa_reserve_vcc 0
		.amdhsa_reserve_flat_scratch 0
		.amdhsa_float_round_mode_32 0
		.amdhsa_float_round_mode_16_64 0
		.amdhsa_float_denorm_mode_32 3
		.amdhsa_float_denorm_mode_16_64 3
		.amdhsa_dx10_clamp 1
		.amdhsa_ieee_mode 1
		.amdhsa_fp16_overflow 0
		.amdhsa_workgroup_processor_mode 1
		.amdhsa_memory_ordered 1
		.amdhsa_forward_progress 1
		.amdhsa_shared_vgpr_count 0
		.amdhsa_exception_fp_ieee_invalid_op 0
		.amdhsa_exception_fp_denorm_src 0
		.amdhsa_exception_fp_ieee_div_zero 0
		.amdhsa_exception_fp_ieee_overflow 0
		.amdhsa_exception_fp_ieee_underflow 0
		.amdhsa_exception_fp_ieee_inexact 0
		.amdhsa_exception_int_div_zero 0
	.end_amdhsa_kernel
	.section	.text._ZN7rocprim17ROCPRIM_400000_NS6detail17trampoline_kernelINS0_13select_configILj256ELj13ELNS0_17block_load_methodE3ELS4_3ELS4_3ELNS0_20block_scan_algorithmE0ELj4294967295EEENS1_25partition_config_selectorILNS1_17partition_subalgoE3EjNS0_10empty_typeEbEEZZNS1_14partition_implILS8_3ELb0ES6_jNS0_17counting_iteratorIjlEEPS9_SE_NS0_5tupleIJPjSE_EEENSF_IJSE_SE_EEES9_SG_JZNS1_25segmented_radix_sort_implINS0_14default_configELb1EPKiPiPKlPlN2at6native12_GLOBAL__N_18offset_tEEE10hipError_tPvRmT1_PNSt15iterator_traitsISY_E10value_typeET2_T3_PNSZ_IS14_E10value_typeET4_jRbjT5_S1A_jjP12ihipStream_tbEUljE_EEESV_SW_SX_S14_S18_S1A_T6_T7_T9_mT8_S1C_bDpT10_ENKUlT_T0_E_clISt17integral_constantIbLb0EES1P_EEDaS1K_S1L_EUlS1K_E_NS1_11comp_targetILNS1_3genE10ELNS1_11target_archE1200ELNS1_3gpuE4ELNS1_3repE0EEENS1_30default_config_static_selectorELNS0_4arch9wavefront6targetE0EEEvSY_,"axG",@progbits,_ZN7rocprim17ROCPRIM_400000_NS6detail17trampoline_kernelINS0_13select_configILj256ELj13ELNS0_17block_load_methodE3ELS4_3ELS4_3ELNS0_20block_scan_algorithmE0ELj4294967295EEENS1_25partition_config_selectorILNS1_17partition_subalgoE3EjNS0_10empty_typeEbEEZZNS1_14partition_implILS8_3ELb0ES6_jNS0_17counting_iteratorIjlEEPS9_SE_NS0_5tupleIJPjSE_EEENSF_IJSE_SE_EEES9_SG_JZNS1_25segmented_radix_sort_implINS0_14default_configELb1EPKiPiPKlPlN2at6native12_GLOBAL__N_18offset_tEEE10hipError_tPvRmT1_PNSt15iterator_traitsISY_E10value_typeET2_T3_PNSZ_IS14_E10value_typeET4_jRbjT5_S1A_jjP12ihipStream_tbEUljE_EEESV_SW_SX_S14_S18_S1A_T6_T7_T9_mT8_S1C_bDpT10_ENKUlT_T0_E_clISt17integral_constantIbLb0EES1P_EEDaS1K_S1L_EUlS1K_E_NS1_11comp_targetILNS1_3genE10ELNS1_11target_archE1200ELNS1_3gpuE4ELNS1_3repE0EEENS1_30default_config_static_selectorELNS0_4arch9wavefront6targetE0EEEvSY_,comdat
.Lfunc_end466:
	.size	_ZN7rocprim17ROCPRIM_400000_NS6detail17trampoline_kernelINS0_13select_configILj256ELj13ELNS0_17block_load_methodE3ELS4_3ELS4_3ELNS0_20block_scan_algorithmE0ELj4294967295EEENS1_25partition_config_selectorILNS1_17partition_subalgoE3EjNS0_10empty_typeEbEEZZNS1_14partition_implILS8_3ELb0ES6_jNS0_17counting_iteratorIjlEEPS9_SE_NS0_5tupleIJPjSE_EEENSF_IJSE_SE_EEES9_SG_JZNS1_25segmented_radix_sort_implINS0_14default_configELb1EPKiPiPKlPlN2at6native12_GLOBAL__N_18offset_tEEE10hipError_tPvRmT1_PNSt15iterator_traitsISY_E10value_typeET2_T3_PNSZ_IS14_E10value_typeET4_jRbjT5_S1A_jjP12ihipStream_tbEUljE_EEESV_SW_SX_S14_S18_S1A_T6_T7_T9_mT8_S1C_bDpT10_ENKUlT_T0_E_clISt17integral_constantIbLb0EES1P_EEDaS1K_S1L_EUlS1K_E_NS1_11comp_targetILNS1_3genE10ELNS1_11target_archE1200ELNS1_3gpuE4ELNS1_3repE0EEENS1_30default_config_static_selectorELNS0_4arch9wavefront6targetE0EEEvSY_, .Lfunc_end466-_ZN7rocprim17ROCPRIM_400000_NS6detail17trampoline_kernelINS0_13select_configILj256ELj13ELNS0_17block_load_methodE3ELS4_3ELS4_3ELNS0_20block_scan_algorithmE0ELj4294967295EEENS1_25partition_config_selectorILNS1_17partition_subalgoE3EjNS0_10empty_typeEbEEZZNS1_14partition_implILS8_3ELb0ES6_jNS0_17counting_iteratorIjlEEPS9_SE_NS0_5tupleIJPjSE_EEENSF_IJSE_SE_EEES9_SG_JZNS1_25segmented_radix_sort_implINS0_14default_configELb1EPKiPiPKlPlN2at6native12_GLOBAL__N_18offset_tEEE10hipError_tPvRmT1_PNSt15iterator_traitsISY_E10value_typeET2_T3_PNSZ_IS14_E10value_typeET4_jRbjT5_S1A_jjP12ihipStream_tbEUljE_EEESV_SW_SX_S14_S18_S1A_T6_T7_T9_mT8_S1C_bDpT10_ENKUlT_T0_E_clISt17integral_constantIbLb0EES1P_EEDaS1K_S1L_EUlS1K_E_NS1_11comp_targetILNS1_3genE10ELNS1_11target_archE1200ELNS1_3gpuE4ELNS1_3repE0EEENS1_30default_config_static_selectorELNS0_4arch9wavefront6targetE0EEEvSY_
                                        ; -- End function
	.set _ZN7rocprim17ROCPRIM_400000_NS6detail17trampoline_kernelINS0_13select_configILj256ELj13ELNS0_17block_load_methodE3ELS4_3ELS4_3ELNS0_20block_scan_algorithmE0ELj4294967295EEENS1_25partition_config_selectorILNS1_17partition_subalgoE3EjNS0_10empty_typeEbEEZZNS1_14partition_implILS8_3ELb0ES6_jNS0_17counting_iteratorIjlEEPS9_SE_NS0_5tupleIJPjSE_EEENSF_IJSE_SE_EEES9_SG_JZNS1_25segmented_radix_sort_implINS0_14default_configELb1EPKiPiPKlPlN2at6native12_GLOBAL__N_18offset_tEEE10hipError_tPvRmT1_PNSt15iterator_traitsISY_E10value_typeET2_T3_PNSZ_IS14_E10value_typeET4_jRbjT5_S1A_jjP12ihipStream_tbEUljE_EEESV_SW_SX_S14_S18_S1A_T6_T7_T9_mT8_S1C_bDpT10_ENKUlT_T0_E_clISt17integral_constantIbLb0EES1P_EEDaS1K_S1L_EUlS1K_E_NS1_11comp_targetILNS1_3genE10ELNS1_11target_archE1200ELNS1_3gpuE4ELNS1_3repE0EEENS1_30default_config_static_selectorELNS0_4arch9wavefront6targetE0EEEvSY_.num_vgpr, 0
	.set _ZN7rocprim17ROCPRIM_400000_NS6detail17trampoline_kernelINS0_13select_configILj256ELj13ELNS0_17block_load_methodE3ELS4_3ELS4_3ELNS0_20block_scan_algorithmE0ELj4294967295EEENS1_25partition_config_selectorILNS1_17partition_subalgoE3EjNS0_10empty_typeEbEEZZNS1_14partition_implILS8_3ELb0ES6_jNS0_17counting_iteratorIjlEEPS9_SE_NS0_5tupleIJPjSE_EEENSF_IJSE_SE_EEES9_SG_JZNS1_25segmented_radix_sort_implINS0_14default_configELb1EPKiPiPKlPlN2at6native12_GLOBAL__N_18offset_tEEE10hipError_tPvRmT1_PNSt15iterator_traitsISY_E10value_typeET2_T3_PNSZ_IS14_E10value_typeET4_jRbjT5_S1A_jjP12ihipStream_tbEUljE_EEESV_SW_SX_S14_S18_S1A_T6_T7_T9_mT8_S1C_bDpT10_ENKUlT_T0_E_clISt17integral_constantIbLb0EES1P_EEDaS1K_S1L_EUlS1K_E_NS1_11comp_targetILNS1_3genE10ELNS1_11target_archE1200ELNS1_3gpuE4ELNS1_3repE0EEENS1_30default_config_static_selectorELNS0_4arch9wavefront6targetE0EEEvSY_.num_agpr, 0
	.set _ZN7rocprim17ROCPRIM_400000_NS6detail17trampoline_kernelINS0_13select_configILj256ELj13ELNS0_17block_load_methodE3ELS4_3ELS4_3ELNS0_20block_scan_algorithmE0ELj4294967295EEENS1_25partition_config_selectorILNS1_17partition_subalgoE3EjNS0_10empty_typeEbEEZZNS1_14partition_implILS8_3ELb0ES6_jNS0_17counting_iteratorIjlEEPS9_SE_NS0_5tupleIJPjSE_EEENSF_IJSE_SE_EEES9_SG_JZNS1_25segmented_radix_sort_implINS0_14default_configELb1EPKiPiPKlPlN2at6native12_GLOBAL__N_18offset_tEEE10hipError_tPvRmT1_PNSt15iterator_traitsISY_E10value_typeET2_T3_PNSZ_IS14_E10value_typeET4_jRbjT5_S1A_jjP12ihipStream_tbEUljE_EEESV_SW_SX_S14_S18_S1A_T6_T7_T9_mT8_S1C_bDpT10_ENKUlT_T0_E_clISt17integral_constantIbLb0EES1P_EEDaS1K_S1L_EUlS1K_E_NS1_11comp_targetILNS1_3genE10ELNS1_11target_archE1200ELNS1_3gpuE4ELNS1_3repE0EEENS1_30default_config_static_selectorELNS0_4arch9wavefront6targetE0EEEvSY_.numbered_sgpr, 0
	.set _ZN7rocprim17ROCPRIM_400000_NS6detail17trampoline_kernelINS0_13select_configILj256ELj13ELNS0_17block_load_methodE3ELS4_3ELS4_3ELNS0_20block_scan_algorithmE0ELj4294967295EEENS1_25partition_config_selectorILNS1_17partition_subalgoE3EjNS0_10empty_typeEbEEZZNS1_14partition_implILS8_3ELb0ES6_jNS0_17counting_iteratorIjlEEPS9_SE_NS0_5tupleIJPjSE_EEENSF_IJSE_SE_EEES9_SG_JZNS1_25segmented_radix_sort_implINS0_14default_configELb1EPKiPiPKlPlN2at6native12_GLOBAL__N_18offset_tEEE10hipError_tPvRmT1_PNSt15iterator_traitsISY_E10value_typeET2_T3_PNSZ_IS14_E10value_typeET4_jRbjT5_S1A_jjP12ihipStream_tbEUljE_EEESV_SW_SX_S14_S18_S1A_T6_T7_T9_mT8_S1C_bDpT10_ENKUlT_T0_E_clISt17integral_constantIbLb0EES1P_EEDaS1K_S1L_EUlS1K_E_NS1_11comp_targetILNS1_3genE10ELNS1_11target_archE1200ELNS1_3gpuE4ELNS1_3repE0EEENS1_30default_config_static_selectorELNS0_4arch9wavefront6targetE0EEEvSY_.num_named_barrier, 0
	.set _ZN7rocprim17ROCPRIM_400000_NS6detail17trampoline_kernelINS0_13select_configILj256ELj13ELNS0_17block_load_methodE3ELS4_3ELS4_3ELNS0_20block_scan_algorithmE0ELj4294967295EEENS1_25partition_config_selectorILNS1_17partition_subalgoE3EjNS0_10empty_typeEbEEZZNS1_14partition_implILS8_3ELb0ES6_jNS0_17counting_iteratorIjlEEPS9_SE_NS0_5tupleIJPjSE_EEENSF_IJSE_SE_EEES9_SG_JZNS1_25segmented_radix_sort_implINS0_14default_configELb1EPKiPiPKlPlN2at6native12_GLOBAL__N_18offset_tEEE10hipError_tPvRmT1_PNSt15iterator_traitsISY_E10value_typeET2_T3_PNSZ_IS14_E10value_typeET4_jRbjT5_S1A_jjP12ihipStream_tbEUljE_EEESV_SW_SX_S14_S18_S1A_T6_T7_T9_mT8_S1C_bDpT10_ENKUlT_T0_E_clISt17integral_constantIbLb0EES1P_EEDaS1K_S1L_EUlS1K_E_NS1_11comp_targetILNS1_3genE10ELNS1_11target_archE1200ELNS1_3gpuE4ELNS1_3repE0EEENS1_30default_config_static_selectorELNS0_4arch9wavefront6targetE0EEEvSY_.private_seg_size, 0
	.set _ZN7rocprim17ROCPRIM_400000_NS6detail17trampoline_kernelINS0_13select_configILj256ELj13ELNS0_17block_load_methodE3ELS4_3ELS4_3ELNS0_20block_scan_algorithmE0ELj4294967295EEENS1_25partition_config_selectorILNS1_17partition_subalgoE3EjNS0_10empty_typeEbEEZZNS1_14partition_implILS8_3ELb0ES6_jNS0_17counting_iteratorIjlEEPS9_SE_NS0_5tupleIJPjSE_EEENSF_IJSE_SE_EEES9_SG_JZNS1_25segmented_radix_sort_implINS0_14default_configELb1EPKiPiPKlPlN2at6native12_GLOBAL__N_18offset_tEEE10hipError_tPvRmT1_PNSt15iterator_traitsISY_E10value_typeET2_T3_PNSZ_IS14_E10value_typeET4_jRbjT5_S1A_jjP12ihipStream_tbEUljE_EEESV_SW_SX_S14_S18_S1A_T6_T7_T9_mT8_S1C_bDpT10_ENKUlT_T0_E_clISt17integral_constantIbLb0EES1P_EEDaS1K_S1L_EUlS1K_E_NS1_11comp_targetILNS1_3genE10ELNS1_11target_archE1200ELNS1_3gpuE4ELNS1_3repE0EEENS1_30default_config_static_selectorELNS0_4arch9wavefront6targetE0EEEvSY_.uses_vcc, 0
	.set _ZN7rocprim17ROCPRIM_400000_NS6detail17trampoline_kernelINS0_13select_configILj256ELj13ELNS0_17block_load_methodE3ELS4_3ELS4_3ELNS0_20block_scan_algorithmE0ELj4294967295EEENS1_25partition_config_selectorILNS1_17partition_subalgoE3EjNS0_10empty_typeEbEEZZNS1_14partition_implILS8_3ELb0ES6_jNS0_17counting_iteratorIjlEEPS9_SE_NS0_5tupleIJPjSE_EEENSF_IJSE_SE_EEES9_SG_JZNS1_25segmented_radix_sort_implINS0_14default_configELb1EPKiPiPKlPlN2at6native12_GLOBAL__N_18offset_tEEE10hipError_tPvRmT1_PNSt15iterator_traitsISY_E10value_typeET2_T3_PNSZ_IS14_E10value_typeET4_jRbjT5_S1A_jjP12ihipStream_tbEUljE_EEESV_SW_SX_S14_S18_S1A_T6_T7_T9_mT8_S1C_bDpT10_ENKUlT_T0_E_clISt17integral_constantIbLb0EES1P_EEDaS1K_S1L_EUlS1K_E_NS1_11comp_targetILNS1_3genE10ELNS1_11target_archE1200ELNS1_3gpuE4ELNS1_3repE0EEENS1_30default_config_static_selectorELNS0_4arch9wavefront6targetE0EEEvSY_.uses_flat_scratch, 0
	.set _ZN7rocprim17ROCPRIM_400000_NS6detail17trampoline_kernelINS0_13select_configILj256ELj13ELNS0_17block_load_methodE3ELS4_3ELS4_3ELNS0_20block_scan_algorithmE0ELj4294967295EEENS1_25partition_config_selectorILNS1_17partition_subalgoE3EjNS0_10empty_typeEbEEZZNS1_14partition_implILS8_3ELb0ES6_jNS0_17counting_iteratorIjlEEPS9_SE_NS0_5tupleIJPjSE_EEENSF_IJSE_SE_EEES9_SG_JZNS1_25segmented_radix_sort_implINS0_14default_configELb1EPKiPiPKlPlN2at6native12_GLOBAL__N_18offset_tEEE10hipError_tPvRmT1_PNSt15iterator_traitsISY_E10value_typeET2_T3_PNSZ_IS14_E10value_typeET4_jRbjT5_S1A_jjP12ihipStream_tbEUljE_EEESV_SW_SX_S14_S18_S1A_T6_T7_T9_mT8_S1C_bDpT10_ENKUlT_T0_E_clISt17integral_constantIbLb0EES1P_EEDaS1K_S1L_EUlS1K_E_NS1_11comp_targetILNS1_3genE10ELNS1_11target_archE1200ELNS1_3gpuE4ELNS1_3repE0EEENS1_30default_config_static_selectorELNS0_4arch9wavefront6targetE0EEEvSY_.has_dyn_sized_stack, 0
	.set _ZN7rocprim17ROCPRIM_400000_NS6detail17trampoline_kernelINS0_13select_configILj256ELj13ELNS0_17block_load_methodE3ELS4_3ELS4_3ELNS0_20block_scan_algorithmE0ELj4294967295EEENS1_25partition_config_selectorILNS1_17partition_subalgoE3EjNS0_10empty_typeEbEEZZNS1_14partition_implILS8_3ELb0ES6_jNS0_17counting_iteratorIjlEEPS9_SE_NS0_5tupleIJPjSE_EEENSF_IJSE_SE_EEES9_SG_JZNS1_25segmented_radix_sort_implINS0_14default_configELb1EPKiPiPKlPlN2at6native12_GLOBAL__N_18offset_tEEE10hipError_tPvRmT1_PNSt15iterator_traitsISY_E10value_typeET2_T3_PNSZ_IS14_E10value_typeET4_jRbjT5_S1A_jjP12ihipStream_tbEUljE_EEESV_SW_SX_S14_S18_S1A_T6_T7_T9_mT8_S1C_bDpT10_ENKUlT_T0_E_clISt17integral_constantIbLb0EES1P_EEDaS1K_S1L_EUlS1K_E_NS1_11comp_targetILNS1_3genE10ELNS1_11target_archE1200ELNS1_3gpuE4ELNS1_3repE0EEENS1_30default_config_static_selectorELNS0_4arch9wavefront6targetE0EEEvSY_.has_recursion, 0
	.set _ZN7rocprim17ROCPRIM_400000_NS6detail17trampoline_kernelINS0_13select_configILj256ELj13ELNS0_17block_load_methodE3ELS4_3ELS4_3ELNS0_20block_scan_algorithmE0ELj4294967295EEENS1_25partition_config_selectorILNS1_17partition_subalgoE3EjNS0_10empty_typeEbEEZZNS1_14partition_implILS8_3ELb0ES6_jNS0_17counting_iteratorIjlEEPS9_SE_NS0_5tupleIJPjSE_EEENSF_IJSE_SE_EEES9_SG_JZNS1_25segmented_radix_sort_implINS0_14default_configELb1EPKiPiPKlPlN2at6native12_GLOBAL__N_18offset_tEEE10hipError_tPvRmT1_PNSt15iterator_traitsISY_E10value_typeET2_T3_PNSZ_IS14_E10value_typeET4_jRbjT5_S1A_jjP12ihipStream_tbEUljE_EEESV_SW_SX_S14_S18_S1A_T6_T7_T9_mT8_S1C_bDpT10_ENKUlT_T0_E_clISt17integral_constantIbLb0EES1P_EEDaS1K_S1L_EUlS1K_E_NS1_11comp_targetILNS1_3genE10ELNS1_11target_archE1200ELNS1_3gpuE4ELNS1_3repE0EEENS1_30default_config_static_selectorELNS0_4arch9wavefront6targetE0EEEvSY_.has_indirect_call, 0
	.section	.AMDGPU.csdata,"",@progbits
; Kernel info:
; codeLenInByte = 0
; TotalNumSgprs: 0
; NumVgprs: 0
; ScratchSize: 0
; MemoryBound: 0
; FloatMode: 240
; IeeeMode: 1
; LDSByteSize: 0 bytes/workgroup (compile time only)
; SGPRBlocks: 0
; VGPRBlocks: 0
; NumSGPRsForWavesPerEU: 1
; NumVGPRsForWavesPerEU: 1
; Occupancy: 16
; WaveLimiterHint : 0
; COMPUTE_PGM_RSRC2:SCRATCH_EN: 0
; COMPUTE_PGM_RSRC2:USER_SGPR: 6
; COMPUTE_PGM_RSRC2:TRAP_HANDLER: 0
; COMPUTE_PGM_RSRC2:TGID_X_EN: 1
; COMPUTE_PGM_RSRC2:TGID_Y_EN: 0
; COMPUTE_PGM_RSRC2:TGID_Z_EN: 0
; COMPUTE_PGM_RSRC2:TIDIG_COMP_CNT: 0
	.section	.text._ZN7rocprim17ROCPRIM_400000_NS6detail17trampoline_kernelINS0_13select_configILj256ELj13ELNS0_17block_load_methodE3ELS4_3ELS4_3ELNS0_20block_scan_algorithmE0ELj4294967295EEENS1_25partition_config_selectorILNS1_17partition_subalgoE3EjNS0_10empty_typeEbEEZZNS1_14partition_implILS8_3ELb0ES6_jNS0_17counting_iteratorIjlEEPS9_SE_NS0_5tupleIJPjSE_EEENSF_IJSE_SE_EEES9_SG_JZNS1_25segmented_radix_sort_implINS0_14default_configELb1EPKiPiPKlPlN2at6native12_GLOBAL__N_18offset_tEEE10hipError_tPvRmT1_PNSt15iterator_traitsISY_E10value_typeET2_T3_PNSZ_IS14_E10value_typeET4_jRbjT5_S1A_jjP12ihipStream_tbEUljE_EEESV_SW_SX_S14_S18_S1A_T6_T7_T9_mT8_S1C_bDpT10_ENKUlT_T0_E_clISt17integral_constantIbLb0EES1P_EEDaS1K_S1L_EUlS1K_E_NS1_11comp_targetILNS1_3genE9ELNS1_11target_archE1100ELNS1_3gpuE3ELNS1_3repE0EEENS1_30default_config_static_selectorELNS0_4arch9wavefront6targetE0EEEvSY_,"axG",@progbits,_ZN7rocprim17ROCPRIM_400000_NS6detail17trampoline_kernelINS0_13select_configILj256ELj13ELNS0_17block_load_methodE3ELS4_3ELS4_3ELNS0_20block_scan_algorithmE0ELj4294967295EEENS1_25partition_config_selectorILNS1_17partition_subalgoE3EjNS0_10empty_typeEbEEZZNS1_14partition_implILS8_3ELb0ES6_jNS0_17counting_iteratorIjlEEPS9_SE_NS0_5tupleIJPjSE_EEENSF_IJSE_SE_EEES9_SG_JZNS1_25segmented_radix_sort_implINS0_14default_configELb1EPKiPiPKlPlN2at6native12_GLOBAL__N_18offset_tEEE10hipError_tPvRmT1_PNSt15iterator_traitsISY_E10value_typeET2_T3_PNSZ_IS14_E10value_typeET4_jRbjT5_S1A_jjP12ihipStream_tbEUljE_EEESV_SW_SX_S14_S18_S1A_T6_T7_T9_mT8_S1C_bDpT10_ENKUlT_T0_E_clISt17integral_constantIbLb0EES1P_EEDaS1K_S1L_EUlS1K_E_NS1_11comp_targetILNS1_3genE9ELNS1_11target_archE1100ELNS1_3gpuE3ELNS1_3repE0EEENS1_30default_config_static_selectorELNS0_4arch9wavefront6targetE0EEEvSY_,comdat
	.globl	_ZN7rocprim17ROCPRIM_400000_NS6detail17trampoline_kernelINS0_13select_configILj256ELj13ELNS0_17block_load_methodE3ELS4_3ELS4_3ELNS0_20block_scan_algorithmE0ELj4294967295EEENS1_25partition_config_selectorILNS1_17partition_subalgoE3EjNS0_10empty_typeEbEEZZNS1_14partition_implILS8_3ELb0ES6_jNS0_17counting_iteratorIjlEEPS9_SE_NS0_5tupleIJPjSE_EEENSF_IJSE_SE_EEES9_SG_JZNS1_25segmented_radix_sort_implINS0_14default_configELb1EPKiPiPKlPlN2at6native12_GLOBAL__N_18offset_tEEE10hipError_tPvRmT1_PNSt15iterator_traitsISY_E10value_typeET2_T3_PNSZ_IS14_E10value_typeET4_jRbjT5_S1A_jjP12ihipStream_tbEUljE_EEESV_SW_SX_S14_S18_S1A_T6_T7_T9_mT8_S1C_bDpT10_ENKUlT_T0_E_clISt17integral_constantIbLb0EES1P_EEDaS1K_S1L_EUlS1K_E_NS1_11comp_targetILNS1_3genE9ELNS1_11target_archE1100ELNS1_3gpuE3ELNS1_3repE0EEENS1_30default_config_static_selectorELNS0_4arch9wavefront6targetE0EEEvSY_ ; -- Begin function _ZN7rocprim17ROCPRIM_400000_NS6detail17trampoline_kernelINS0_13select_configILj256ELj13ELNS0_17block_load_methodE3ELS4_3ELS4_3ELNS0_20block_scan_algorithmE0ELj4294967295EEENS1_25partition_config_selectorILNS1_17partition_subalgoE3EjNS0_10empty_typeEbEEZZNS1_14partition_implILS8_3ELb0ES6_jNS0_17counting_iteratorIjlEEPS9_SE_NS0_5tupleIJPjSE_EEENSF_IJSE_SE_EEES9_SG_JZNS1_25segmented_radix_sort_implINS0_14default_configELb1EPKiPiPKlPlN2at6native12_GLOBAL__N_18offset_tEEE10hipError_tPvRmT1_PNSt15iterator_traitsISY_E10value_typeET2_T3_PNSZ_IS14_E10value_typeET4_jRbjT5_S1A_jjP12ihipStream_tbEUljE_EEESV_SW_SX_S14_S18_S1A_T6_T7_T9_mT8_S1C_bDpT10_ENKUlT_T0_E_clISt17integral_constantIbLb0EES1P_EEDaS1K_S1L_EUlS1K_E_NS1_11comp_targetILNS1_3genE9ELNS1_11target_archE1100ELNS1_3gpuE3ELNS1_3repE0EEENS1_30default_config_static_selectorELNS0_4arch9wavefront6targetE0EEEvSY_
	.p2align	8
	.type	_ZN7rocprim17ROCPRIM_400000_NS6detail17trampoline_kernelINS0_13select_configILj256ELj13ELNS0_17block_load_methodE3ELS4_3ELS4_3ELNS0_20block_scan_algorithmE0ELj4294967295EEENS1_25partition_config_selectorILNS1_17partition_subalgoE3EjNS0_10empty_typeEbEEZZNS1_14partition_implILS8_3ELb0ES6_jNS0_17counting_iteratorIjlEEPS9_SE_NS0_5tupleIJPjSE_EEENSF_IJSE_SE_EEES9_SG_JZNS1_25segmented_radix_sort_implINS0_14default_configELb1EPKiPiPKlPlN2at6native12_GLOBAL__N_18offset_tEEE10hipError_tPvRmT1_PNSt15iterator_traitsISY_E10value_typeET2_T3_PNSZ_IS14_E10value_typeET4_jRbjT5_S1A_jjP12ihipStream_tbEUljE_EEESV_SW_SX_S14_S18_S1A_T6_T7_T9_mT8_S1C_bDpT10_ENKUlT_T0_E_clISt17integral_constantIbLb0EES1P_EEDaS1K_S1L_EUlS1K_E_NS1_11comp_targetILNS1_3genE9ELNS1_11target_archE1100ELNS1_3gpuE3ELNS1_3repE0EEENS1_30default_config_static_selectorELNS0_4arch9wavefront6targetE0EEEvSY_,@function
_ZN7rocprim17ROCPRIM_400000_NS6detail17trampoline_kernelINS0_13select_configILj256ELj13ELNS0_17block_load_methodE3ELS4_3ELS4_3ELNS0_20block_scan_algorithmE0ELj4294967295EEENS1_25partition_config_selectorILNS1_17partition_subalgoE3EjNS0_10empty_typeEbEEZZNS1_14partition_implILS8_3ELb0ES6_jNS0_17counting_iteratorIjlEEPS9_SE_NS0_5tupleIJPjSE_EEENSF_IJSE_SE_EEES9_SG_JZNS1_25segmented_radix_sort_implINS0_14default_configELb1EPKiPiPKlPlN2at6native12_GLOBAL__N_18offset_tEEE10hipError_tPvRmT1_PNSt15iterator_traitsISY_E10value_typeET2_T3_PNSZ_IS14_E10value_typeET4_jRbjT5_S1A_jjP12ihipStream_tbEUljE_EEESV_SW_SX_S14_S18_S1A_T6_T7_T9_mT8_S1C_bDpT10_ENKUlT_T0_E_clISt17integral_constantIbLb0EES1P_EEDaS1K_S1L_EUlS1K_E_NS1_11comp_targetILNS1_3genE9ELNS1_11target_archE1100ELNS1_3gpuE3ELNS1_3repE0EEENS1_30default_config_static_selectorELNS0_4arch9wavefront6targetE0EEEvSY_: ; @_ZN7rocprim17ROCPRIM_400000_NS6detail17trampoline_kernelINS0_13select_configILj256ELj13ELNS0_17block_load_methodE3ELS4_3ELS4_3ELNS0_20block_scan_algorithmE0ELj4294967295EEENS1_25partition_config_selectorILNS1_17partition_subalgoE3EjNS0_10empty_typeEbEEZZNS1_14partition_implILS8_3ELb0ES6_jNS0_17counting_iteratorIjlEEPS9_SE_NS0_5tupleIJPjSE_EEENSF_IJSE_SE_EEES9_SG_JZNS1_25segmented_radix_sort_implINS0_14default_configELb1EPKiPiPKlPlN2at6native12_GLOBAL__N_18offset_tEEE10hipError_tPvRmT1_PNSt15iterator_traitsISY_E10value_typeET2_T3_PNSZ_IS14_E10value_typeET4_jRbjT5_S1A_jjP12ihipStream_tbEUljE_EEESV_SW_SX_S14_S18_S1A_T6_T7_T9_mT8_S1C_bDpT10_ENKUlT_T0_E_clISt17integral_constantIbLb0EES1P_EEDaS1K_S1L_EUlS1K_E_NS1_11comp_targetILNS1_3genE9ELNS1_11target_archE1100ELNS1_3gpuE3ELNS1_3repE0EEENS1_30default_config_static_selectorELNS0_4arch9wavefront6targetE0EEEvSY_
; %bb.0:
	.section	.rodata,"a",@progbits
	.p2align	6, 0x0
	.amdhsa_kernel _ZN7rocprim17ROCPRIM_400000_NS6detail17trampoline_kernelINS0_13select_configILj256ELj13ELNS0_17block_load_methodE3ELS4_3ELS4_3ELNS0_20block_scan_algorithmE0ELj4294967295EEENS1_25partition_config_selectorILNS1_17partition_subalgoE3EjNS0_10empty_typeEbEEZZNS1_14partition_implILS8_3ELb0ES6_jNS0_17counting_iteratorIjlEEPS9_SE_NS0_5tupleIJPjSE_EEENSF_IJSE_SE_EEES9_SG_JZNS1_25segmented_radix_sort_implINS0_14default_configELb1EPKiPiPKlPlN2at6native12_GLOBAL__N_18offset_tEEE10hipError_tPvRmT1_PNSt15iterator_traitsISY_E10value_typeET2_T3_PNSZ_IS14_E10value_typeET4_jRbjT5_S1A_jjP12ihipStream_tbEUljE_EEESV_SW_SX_S14_S18_S1A_T6_T7_T9_mT8_S1C_bDpT10_ENKUlT_T0_E_clISt17integral_constantIbLb0EES1P_EEDaS1K_S1L_EUlS1K_E_NS1_11comp_targetILNS1_3genE9ELNS1_11target_archE1100ELNS1_3gpuE3ELNS1_3repE0EEENS1_30default_config_static_selectorELNS0_4arch9wavefront6targetE0EEEvSY_
		.amdhsa_group_segment_fixed_size 0
		.amdhsa_private_segment_fixed_size 0
		.amdhsa_kernarg_size 144
		.amdhsa_user_sgpr_count 6
		.amdhsa_user_sgpr_private_segment_buffer 1
		.amdhsa_user_sgpr_dispatch_ptr 0
		.amdhsa_user_sgpr_queue_ptr 0
		.amdhsa_user_sgpr_kernarg_segment_ptr 1
		.amdhsa_user_sgpr_dispatch_id 0
		.amdhsa_user_sgpr_flat_scratch_init 0
		.amdhsa_user_sgpr_private_segment_size 0
		.amdhsa_wavefront_size32 1
		.amdhsa_uses_dynamic_stack 0
		.amdhsa_system_sgpr_private_segment_wavefront_offset 0
		.amdhsa_system_sgpr_workgroup_id_x 1
		.amdhsa_system_sgpr_workgroup_id_y 0
		.amdhsa_system_sgpr_workgroup_id_z 0
		.amdhsa_system_sgpr_workgroup_info 0
		.amdhsa_system_vgpr_workitem_id 0
		.amdhsa_next_free_vgpr 1
		.amdhsa_next_free_sgpr 1
		.amdhsa_reserve_vcc 0
		.amdhsa_reserve_flat_scratch 0
		.amdhsa_float_round_mode_32 0
		.amdhsa_float_round_mode_16_64 0
		.amdhsa_float_denorm_mode_32 3
		.amdhsa_float_denorm_mode_16_64 3
		.amdhsa_dx10_clamp 1
		.amdhsa_ieee_mode 1
		.amdhsa_fp16_overflow 0
		.amdhsa_workgroup_processor_mode 1
		.amdhsa_memory_ordered 1
		.amdhsa_forward_progress 1
		.amdhsa_shared_vgpr_count 0
		.amdhsa_exception_fp_ieee_invalid_op 0
		.amdhsa_exception_fp_denorm_src 0
		.amdhsa_exception_fp_ieee_div_zero 0
		.amdhsa_exception_fp_ieee_overflow 0
		.amdhsa_exception_fp_ieee_underflow 0
		.amdhsa_exception_fp_ieee_inexact 0
		.amdhsa_exception_int_div_zero 0
	.end_amdhsa_kernel
	.section	.text._ZN7rocprim17ROCPRIM_400000_NS6detail17trampoline_kernelINS0_13select_configILj256ELj13ELNS0_17block_load_methodE3ELS4_3ELS4_3ELNS0_20block_scan_algorithmE0ELj4294967295EEENS1_25partition_config_selectorILNS1_17partition_subalgoE3EjNS0_10empty_typeEbEEZZNS1_14partition_implILS8_3ELb0ES6_jNS0_17counting_iteratorIjlEEPS9_SE_NS0_5tupleIJPjSE_EEENSF_IJSE_SE_EEES9_SG_JZNS1_25segmented_radix_sort_implINS0_14default_configELb1EPKiPiPKlPlN2at6native12_GLOBAL__N_18offset_tEEE10hipError_tPvRmT1_PNSt15iterator_traitsISY_E10value_typeET2_T3_PNSZ_IS14_E10value_typeET4_jRbjT5_S1A_jjP12ihipStream_tbEUljE_EEESV_SW_SX_S14_S18_S1A_T6_T7_T9_mT8_S1C_bDpT10_ENKUlT_T0_E_clISt17integral_constantIbLb0EES1P_EEDaS1K_S1L_EUlS1K_E_NS1_11comp_targetILNS1_3genE9ELNS1_11target_archE1100ELNS1_3gpuE3ELNS1_3repE0EEENS1_30default_config_static_selectorELNS0_4arch9wavefront6targetE0EEEvSY_,"axG",@progbits,_ZN7rocprim17ROCPRIM_400000_NS6detail17trampoline_kernelINS0_13select_configILj256ELj13ELNS0_17block_load_methodE3ELS4_3ELS4_3ELNS0_20block_scan_algorithmE0ELj4294967295EEENS1_25partition_config_selectorILNS1_17partition_subalgoE3EjNS0_10empty_typeEbEEZZNS1_14partition_implILS8_3ELb0ES6_jNS0_17counting_iteratorIjlEEPS9_SE_NS0_5tupleIJPjSE_EEENSF_IJSE_SE_EEES9_SG_JZNS1_25segmented_radix_sort_implINS0_14default_configELb1EPKiPiPKlPlN2at6native12_GLOBAL__N_18offset_tEEE10hipError_tPvRmT1_PNSt15iterator_traitsISY_E10value_typeET2_T3_PNSZ_IS14_E10value_typeET4_jRbjT5_S1A_jjP12ihipStream_tbEUljE_EEESV_SW_SX_S14_S18_S1A_T6_T7_T9_mT8_S1C_bDpT10_ENKUlT_T0_E_clISt17integral_constantIbLb0EES1P_EEDaS1K_S1L_EUlS1K_E_NS1_11comp_targetILNS1_3genE9ELNS1_11target_archE1100ELNS1_3gpuE3ELNS1_3repE0EEENS1_30default_config_static_selectorELNS0_4arch9wavefront6targetE0EEEvSY_,comdat
.Lfunc_end467:
	.size	_ZN7rocprim17ROCPRIM_400000_NS6detail17trampoline_kernelINS0_13select_configILj256ELj13ELNS0_17block_load_methodE3ELS4_3ELS4_3ELNS0_20block_scan_algorithmE0ELj4294967295EEENS1_25partition_config_selectorILNS1_17partition_subalgoE3EjNS0_10empty_typeEbEEZZNS1_14partition_implILS8_3ELb0ES6_jNS0_17counting_iteratorIjlEEPS9_SE_NS0_5tupleIJPjSE_EEENSF_IJSE_SE_EEES9_SG_JZNS1_25segmented_radix_sort_implINS0_14default_configELb1EPKiPiPKlPlN2at6native12_GLOBAL__N_18offset_tEEE10hipError_tPvRmT1_PNSt15iterator_traitsISY_E10value_typeET2_T3_PNSZ_IS14_E10value_typeET4_jRbjT5_S1A_jjP12ihipStream_tbEUljE_EEESV_SW_SX_S14_S18_S1A_T6_T7_T9_mT8_S1C_bDpT10_ENKUlT_T0_E_clISt17integral_constantIbLb0EES1P_EEDaS1K_S1L_EUlS1K_E_NS1_11comp_targetILNS1_3genE9ELNS1_11target_archE1100ELNS1_3gpuE3ELNS1_3repE0EEENS1_30default_config_static_selectorELNS0_4arch9wavefront6targetE0EEEvSY_, .Lfunc_end467-_ZN7rocprim17ROCPRIM_400000_NS6detail17trampoline_kernelINS0_13select_configILj256ELj13ELNS0_17block_load_methodE3ELS4_3ELS4_3ELNS0_20block_scan_algorithmE0ELj4294967295EEENS1_25partition_config_selectorILNS1_17partition_subalgoE3EjNS0_10empty_typeEbEEZZNS1_14partition_implILS8_3ELb0ES6_jNS0_17counting_iteratorIjlEEPS9_SE_NS0_5tupleIJPjSE_EEENSF_IJSE_SE_EEES9_SG_JZNS1_25segmented_radix_sort_implINS0_14default_configELb1EPKiPiPKlPlN2at6native12_GLOBAL__N_18offset_tEEE10hipError_tPvRmT1_PNSt15iterator_traitsISY_E10value_typeET2_T3_PNSZ_IS14_E10value_typeET4_jRbjT5_S1A_jjP12ihipStream_tbEUljE_EEESV_SW_SX_S14_S18_S1A_T6_T7_T9_mT8_S1C_bDpT10_ENKUlT_T0_E_clISt17integral_constantIbLb0EES1P_EEDaS1K_S1L_EUlS1K_E_NS1_11comp_targetILNS1_3genE9ELNS1_11target_archE1100ELNS1_3gpuE3ELNS1_3repE0EEENS1_30default_config_static_selectorELNS0_4arch9wavefront6targetE0EEEvSY_
                                        ; -- End function
	.set _ZN7rocprim17ROCPRIM_400000_NS6detail17trampoline_kernelINS0_13select_configILj256ELj13ELNS0_17block_load_methodE3ELS4_3ELS4_3ELNS0_20block_scan_algorithmE0ELj4294967295EEENS1_25partition_config_selectorILNS1_17partition_subalgoE3EjNS0_10empty_typeEbEEZZNS1_14partition_implILS8_3ELb0ES6_jNS0_17counting_iteratorIjlEEPS9_SE_NS0_5tupleIJPjSE_EEENSF_IJSE_SE_EEES9_SG_JZNS1_25segmented_radix_sort_implINS0_14default_configELb1EPKiPiPKlPlN2at6native12_GLOBAL__N_18offset_tEEE10hipError_tPvRmT1_PNSt15iterator_traitsISY_E10value_typeET2_T3_PNSZ_IS14_E10value_typeET4_jRbjT5_S1A_jjP12ihipStream_tbEUljE_EEESV_SW_SX_S14_S18_S1A_T6_T7_T9_mT8_S1C_bDpT10_ENKUlT_T0_E_clISt17integral_constantIbLb0EES1P_EEDaS1K_S1L_EUlS1K_E_NS1_11comp_targetILNS1_3genE9ELNS1_11target_archE1100ELNS1_3gpuE3ELNS1_3repE0EEENS1_30default_config_static_selectorELNS0_4arch9wavefront6targetE0EEEvSY_.num_vgpr, 0
	.set _ZN7rocprim17ROCPRIM_400000_NS6detail17trampoline_kernelINS0_13select_configILj256ELj13ELNS0_17block_load_methodE3ELS4_3ELS4_3ELNS0_20block_scan_algorithmE0ELj4294967295EEENS1_25partition_config_selectorILNS1_17partition_subalgoE3EjNS0_10empty_typeEbEEZZNS1_14partition_implILS8_3ELb0ES6_jNS0_17counting_iteratorIjlEEPS9_SE_NS0_5tupleIJPjSE_EEENSF_IJSE_SE_EEES9_SG_JZNS1_25segmented_radix_sort_implINS0_14default_configELb1EPKiPiPKlPlN2at6native12_GLOBAL__N_18offset_tEEE10hipError_tPvRmT1_PNSt15iterator_traitsISY_E10value_typeET2_T3_PNSZ_IS14_E10value_typeET4_jRbjT5_S1A_jjP12ihipStream_tbEUljE_EEESV_SW_SX_S14_S18_S1A_T6_T7_T9_mT8_S1C_bDpT10_ENKUlT_T0_E_clISt17integral_constantIbLb0EES1P_EEDaS1K_S1L_EUlS1K_E_NS1_11comp_targetILNS1_3genE9ELNS1_11target_archE1100ELNS1_3gpuE3ELNS1_3repE0EEENS1_30default_config_static_selectorELNS0_4arch9wavefront6targetE0EEEvSY_.num_agpr, 0
	.set _ZN7rocprim17ROCPRIM_400000_NS6detail17trampoline_kernelINS0_13select_configILj256ELj13ELNS0_17block_load_methodE3ELS4_3ELS4_3ELNS0_20block_scan_algorithmE0ELj4294967295EEENS1_25partition_config_selectorILNS1_17partition_subalgoE3EjNS0_10empty_typeEbEEZZNS1_14partition_implILS8_3ELb0ES6_jNS0_17counting_iteratorIjlEEPS9_SE_NS0_5tupleIJPjSE_EEENSF_IJSE_SE_EEES9_SG_JZNS1_25segmented_radix_sort_implINS0_14default_configELb1EPKiPiPKlPlN2at6native12_GLOBAL__N_18offset_tEEE10hipError_tPvRmT1_PNSt15iterator_traitsISY_E10value_typeET2_T3_PNSZ_IS14_E10value_typeET4_jRbjT5_S1A_jjP12ihipStream_tbEUljE_EEESV_SW_SX_S14_S18_S1A_T6_T7_T9_mT8_S1C_bDpT10_ENKUlT_T0_E_clISt17integral_constantIbLb0EES1P_EEDaS1K_S1L_EUlS1K_E_NS1_11comp_targetILNS1_3genE9ELNS1_11target_archE1100ELNS1_3gpuE3ELNS1_3repE0EEENS1_30default_config_static_selectorELNS0_4arch9wavefront6targetE0EEEvSY_.numbered_sgpr, 0
	.set _ZN7rocprim17ROCPRIM_400000_NS6detail17trampoline_kernelINS0_13select_configILj256ELj13ELNS0_17block_load_methodE3ELS4_3ELS4_3ELNS0_20block_scan_algorithmE0ELj4294967295EEENS1_25partition_config_selectorILNS1_17partition_subalgoE3EjNS0_10empty_typeEbEEZZNS1_14partition_implILS8_3ELb0ES6_jNS0_17counting_iteratorIjlEEPS9_SE_NS0_5tupleIJPjSE_EEENSF_IJSE_SE_EEES9_SG_JZNS1_25segmented_radix_sort_implINS0_14default_configELb1EPKiPiPKlPlN2at6native12_GLOBAL__N_18offset_tEEE10hipError_tPvRmT1_PNSt15iterator_traitsISY_E10value_typeET2_T3_PNSZ_IS14_E10value_typeET4_jRbjT5_S1A_jjP12ihipStream_tbEUljE_EEESV_SW_SX_S14_S18_S1A_T6_T7_T9_mT8_S1C_bDpT10_ENKUlT_T0_E_clISt17integral_constantIbLb0EES1P_EEDaS1K_S1L_EUlS1K_E_NS1_11comp_targetILNS1_3genE9ELNS1_11target_archE1100ELNS1_3gpuE3ELNS1_3repE0EEENS1_30default_config_static_selectorELNS0_4arch9wavefront6targetE0EEEvSY_.num_named_barrier, 0
	.set _ZN7rocprim17ROCPRIM_400000_NS6detail17trampoline_kernelINS0_13select_configILj256ELj13ELNS0_17block_load_methodE3ELS4_3ELS4_3ELNS0_20block_scan_algorithmE0ELj4294967295EEENS1_25partition_config_selectorILNS1_17partition_subalgoE3EjNS0_10empty_typeEbEEZZNS1_14partition_implILS8_3ELb0ES6_jNS0_17counting_iteratorIjlEEPS9_SE_NS0_5tupleIJPjSE_EEENSF_IJSE_SE_EEES9_SG_JZNS1_25segmented_radix_sort_implINS0_14default_configELb1EPKiPiPKlPlN2at6native12_GLOBAL__N_18offset_tEEE10hipError_tPvRmT1_PNSt15iterator_traitsISY_E10value_typeET2_T3_PNSZ_IS14_E10value_typeET4_jRbjT5_S1A_jjP12ihipStream_tbEUljE_EEESV_SW_SX_S14_S18_S1A_T6_T7_T9_mT8_S1C_bDpT10_ENKUlT_T0_E_clISt17integral_constantIbLb0EES1P_EEDaS1K_S1L_EUlS1K_E_NS1_11comp_targetILNS1_3genE9ELNS1_11target_archE1100ELNS1_3gpuE3ELNS1_3repE0EEENS1_30default_config_static_selectorELNS0_4arch9wavefront6targetE0EEEvSY_.private_seg_size, 0
	.set _ZN7rocprim17ROCPRIM_400000_NS6detail17trampoline_kernelINS0_13select_configILj256ELj13ELNS0_17block_load_methodE3ELS4_3ELS4_3ELNS0_20block_scan_algorithmE0ELj4294967295EEENS1_25partition_config_selectorILNS1_17partition_subalgoE3EjNS0_10empty_typeEbEEZZNS1_14partition_implILS8_3ELb0ES6_jNS0_17counting_iteratorIjlEEPS9_SE_NS0_5tupleIJPjSE_EEENSF_IJSE_SE_EEES9_SG_JZNS1_25segmented_radix_sort_implINS0_14default_configELb1EPKiPiPKlPlN2at6native12_GLOBAL__N_18offset_tEEE10hipError_tPvRmT1_PNSt15iterator_traitsISY_E10value_typeET2_T3_PNSZ_IS14_E10value_typeET4_jRbjT5_S1A_jjP12ihipStream_tbEUljE_EEESV_SW_SX_S14_S18_S1A_T6_T7_T9_mT8_S1C_bDpT10_ENKUlT_T0_E_clISt17integral_constantIbLb0EES1P_EEDaS1K_S1L_EUlS1K_E_NS1_11comp_targetILNS1_3genE9ELNS1_11target_archE1100ELNS1_3gpuE3ELNS1_3repE0EEENS1_30default_config_static_selectorELNS0_4arch9wavefront6targetE0EEEvSY_.uses_vcc, 0
	.set _ZN7rocprim17ROCPRIM_400000_NS6detail17trampoline_kernelINS0_13select_configILj256ELj13ELNS0_17block_load_methodE3ELS4_3ELS4_3ELNS0_20block_scan_algorithmE0ELj4294967295EEENS1_25partition_config_selectorILNS1_17partition_subalgoE3EjNS0_10empty_typeEbEEZZNS1_14partition_implILS8_3ELb0ES6_jNS0_17counting_iteratorIjlEEPS9_SE_NS0_5tupleIJPjSE_EEENSF_IJSE_SE_EEES9_SG_JZNS1_25segmented_radix_sort_implINS0_14default_configELb1EPKiPiPKlPlN2at6native12_GLOBAL__N_18offset_tEEE10hipError_tPvRmT1_PNSt15iterator_traitsISY_E10value_typeET2_T3_PNSZ_IS14_E10value_typeET4_jRbjT5_S1A_jjP12ihipStream_tbEUljE_EEESV_SW_SX_S14_S18_S1A_T6_T7_T9_mT8_S1C_bDpT10_ENKUlT_T0_E_clISt17integral_constantIbLb0EES1P_EEDaS1K_S1L_EUlS1K_E_NS1_11comp_targetILNS1_3genE9ELNS1_11target_archE1100ELNS1_3gpuE3ELNS1_3repE0EEENS1_30default_config_static_selectorELNS0_4arch9wavefront6targetE0EEEvSY_.uses_flat_scratch, 0
	.set _ZN7rocprim17ROCPRIM_400000_NS6detail17trampoline_kernelINS0_13select_configILj256ELj13ELNS0_17block_load_methodE3ELS4_3ELS4_3ELNS0_20block_scan_algorithmE0ELj4294967295EEENS1_25partition_config_selectorILNS1_17partition_subalgoE3EjNS0_10empty_typeEbEEZZNS1_14partition_implILS8_3ELb0ES6_jNS0_17counting_iteratorIjlEEPS9_SE_NS0_5tupleIJPjSE_EEENSF_IJSE_SE_EEES9_SG_JZNS1_25segmented_radix_sort_implINS0_14default_configELb1EPKiPiPKlPlN2at6native12_GLOBAL__N_18offset_tEEE10hipError_tPvRmT1_PNSt15iterator_traitsISY_E10value_typeET2_T3_PNSZ_IS14_E10value_typeET4_jRbjT5_S1A_jjP12ihipStream_tbEUljE_EEESV_SW_SX_S14_S18_S1A_T6_T7_T9_mT8_S1C_bDpT10_ENKUlT_T0_E_clISt17integral_constantIbLb0EES1P_EEDaS1K_S1L_EUlS1K_E_NS1_11comp_targetILNS1_3genE9ELNS1_11target_archE1100ELNS1_3gpuE3ELNS1_3repE0EEENS1_30default_config_static_selectorELNS0_4arch9wavefront6targetE0EEEvSY_.has_dyn_sized_stack, 0
	.set _ZN7rocprim17ROCPRIM_400000_NS6detail17trampoline_kernelINS0_13select_configILj256ELj13ELNS0_17block_load_methodE3ELS4_3ELS4_3ELNS0_20block_scan_algorithmE0ELj4294967295EEENS1_25partition_config_selectorILNS1_17partition_subalgoE3EjNS0_10empty_typeEbEEZZNS1_14partition_implILS8_3ELb0ES6_jNS0_17counting_iteratorIjlEEPS9_SE_NS0_5tupleIJPjSE_EEENSF_IJSE_SE_EEES9_SG_JZNS1_25segmented_radix_sort_implINS0_14default_configELb1EPKiPiPKlPlN2at6native12_GLOBAL__N_18offset_tEEE10hipError_tPvRmT1_PNSt15iterator_traitsISY_E10value_typeET2_T3_PNSZ_IS14_E10value_typeET4_jRbjT5_S1A_jjP12ihipStream_tbEUljE_EEESV_SW_SX_S14_S18_S1A_T6_T7_T9_mT8_S1C_bDpT10_ENKUlT_T0_E_clISt17integral_constantIbLb0EES1P_EEDaS1K_S1L_EUlS1K_E_NS1_11comp_targetILNS1_3genE9ELNS1_11target_archE1100ELNS1_3gpuE3ELNS1_3repE0EEENS1_30default_config_static_selectorELNS0_4arch9wavefront6targetE0EEEvSY_.has_recursion, 0
	.set _ZN7rocprim17ROCPRIM_400000_NS6detail17trampoline_kernelINS0_13select_configILj256ELj13ELNS0_17block_load_methodE3ELS4_3ELS4_3ELNS0_20block_scan_algorithmE0ELj4294967295EEENS1_25partition_config_selectorILNS1_17partition_subalgoE3EjNS0_10empty_typeEbEEZZNS1_14partition_implILS8_3ELb0ES6_jNS0_17counting_iteratorIjlEEPS9_SE_NS0_5tupleIJPjSE_EEENSF_IJSE_SE_EEES9_SG_JZNS1_25segmented_radix_sort_implINS0_14default_configELb1EPKiPiPKlPlN2at6native12_GLOBAL__N_18offset_tEEE10hipError_tPvRmT1_PNSt15iterator_traitsISY_E10value_typeET2_T3_PNSZ_IS14_E10value_typeET4_jRbjT5_S1A_jjP12ihipStream_tbEUljE_EEESV_SW_SX_S14_S18_S1A_T6_T7_T9_mT8_S1C_bDpT10_ENKUlT_T0_E_clISt17integral_constantIbLb0EES1P_EEDaS1K_S1L_EUlS1K_E_NS1_11comp_targetILNS1_3genE9ELNS1_11target_archE1100ELNS1_3gpuE3ELNS1_3repE0EEENS1_30default_config_static_selectorELNS0_4arch9wavefront6targetE0EEEvSY_.has_indirect_call, 0
	.section	.AMDGPU.csdata,"",@progbits
; Kernel info:
; codeLenInByte = 0
; TotalNumSgprs: 0
; NumVgprs: 0
; ScratchSize: 0
; MemoryBound: 0
; FloatMode: 240
; IeeeMode: 1
; LDSByteSize: 0 bytes/workgroup (compile time only)
; SGPRBlocks: 0
; VGPRBlocks: 0
; NumSGPRsForWavesPerEU: 1
; NumVGPRsForWavesPerEU: 1
; Occupancy: 16
; WaveLimiterHint : 0
; COMPUTE_PGM_RSRC2:SCRATCH_EN: 0
; COMPUTE_PGM_RSRC2:USER_SGPR: 6
; COMPUTE_PGM_RSRC2:TRAP_HANDLER: 0
; COMPUTE_PGM_RSRC2:TGID_X_EN: 1
; COMPUTE_PGM_RSRC2:TGID_Y_EN: 0
; COMPUTE_PGM_RSRC2:TGID_Z_EN: 0
; COMPUTE_PGM_RSRC2:TIDIG_COMP_CNT: 0
	.section	.text._ZN7rocprim17ROCPRIM_400000_NS6detail17trampoline_kernelINS0_13select_configILj256ELj13ELNS0_17block_load_methodE3ELS4_3ELS4_3ELNS0_20block_scan_algorithmE0ELj4294967295EEENS1_25partition_config_selectorILNS1_17partition_subalgoE3EjNS0_10empty_typeEbEEZZNS1_14partition_implILS8_3ELb0ES6_jNS0_17counting_iteratorIjlEEPS9_SE_NS0_5tupleIJPjSE_EEENSF_IJSE_SE_EEES9_SG_JZNS1_25segmented_radix_sort_implINS0_14default_configELb1EPKiPiPKlPlN2at6native12_GLOBAL__N_18offset_tEEE10hipError_tPvRmT1_PNSt15iterator_traitsISY_E10value_typeET2_T3_PNSZ_IS14_E10value_typeET4_jRbjT5_S1A_jjP12ihipStream_tbEUljE_EEESV_SW_SX_S14_S18_S1A_T6_T7_T9_mT8_S1C_bDpT10_ENKUlT_T0_E_clISt17integral_constantIbLb0EES1P_EEDaS1K_S1L_EUlS1K_E_NS1_11comp_targetILNS1_3genE8ELNS1_11target_archE1030ELNS1_3gpuE2ELNS1_3repE0EEENS1_30default_config_static_selectorELNS0_4arch9wavefront6targetE0EEEvSY_,"axG",@progbits,_ZN7rocprim17ROCPRIM_400000_NS6detail17trampoline_kernelINS0_13select_configILj256ELj13ELNS0_17block_load_methodE3ELS4_3ELS4_3ELNS0_20block_scan_algorithmE0ELj4294967295EEENS1_25partition_config_selectorILNS1_17partition_subalgoE3EjNS0_10empty_typeEbEEZZNS1_14partition_implILS8_3ELb0ES6_jNS0_17counting_iteratorIjlEEPS9_SE_NS0_5tupleIJPjSE_EEENSF_IJSE_SE_EEES9_SG_JZNS1_25segmented_radix_sort_implINS0_14default_configELb1EPKiPiPKlPlN2at6native12_GLOBAL__N_18offset_tEEE10hipError_tPvRmT1_PNSt15iterator_traitsISY_E10value_typeET2_T3_PNSZ_IS14_E10value_typeET4_jRbjT5_S1A_jjP12ihipStream_tbEUljE_EEESV_SW_SX_S14_S18_S1A_T6_T7_T9_mT8_S1C_bDpT10_ENKUlT_T0_E_clISt17integral_constantIbLb0EES1P_EEDaS1K_S1L_EUlS1K_E_NS1_11comp_targetILNS1_3genE8ELNS1_11target_archE1030ELNS1_3gpuE2ELNS1_3repE0EEENS1_30default_config_static_selectorELNS0_4arch9wavefront6targetE0EEEvSY_,comdat
	.globl	_ZN7rocprim17ROCPRIM_400000_NS6detail17trampoline_kernelINS0_13select_configILj256ELj13ELNS0_17block_load_methodE3ELS4_3ELS4_3ELNS0_20block_scan_algorithmE0ELj4294967295EEENS1_25partition_config_selectorILNS1_17partition_subalgoE3EjNS0_10empty_typeEbEEZZNS1_14partition_implILS8_3ELb0ES6_jNS0_17counting_iteratorIjlEEPS9_SE_NS0_5tupleIJPjSE_EEENSF_IJSE_SE_EEES9_SG_JZNS1_25segmented_radix_sort_implINS0_14default_configELb1EPKiPiPKlPlN2at6native12_GLOBAL__N_18offset_tEEE10hipError_tPvRmT1_PNSt15iterator_traitsISY_E10value_typeET2_T3_PNSZ_IS14_E10value_typeET4_jRbjT5_S1A_jjP12ihipStream_tbEUljE_EEESV_SW_SX_S14_S18_S1A_T6_T7_T9_mT8_S1C_bDpT10_ENKUlT_T0_E_clISt17integral_constantIbLb0EES1P_EEDaS1K_S1L_EUlS1K_E_NS1_11comp_targetILNS1_3genE8ELNS1_11target_archE1030ELNS1_3gpuE2ELNS1_3repE0EEENS1_30default_config_static_selectorELNS0_4arch9wavefront6targetE0EEEvSY_ ; -- Begin function _ZN7rocprim17ROCPRIM_400000_NS6detail17trampoline_kernelINS0_13select_configILj256ELj13ELNS0_17block_load_methodE3ELS4_3ELS4_3ELNS0_20block_scan_algorithmE0ELj4294967295EEENS1_25partition_config_selectorILNS1_17partition_subalgoE3EjNS0_10empty_typeEbEEZZNS1_14partition_implILS8_3ELb0ES6_jNS0_17counting_iteratorIjlEEPS9_SE_NS0_5tupleIJPjSE_EEENSF_IJSE_SE_EEES9_SG_JZNS1_25segmented_radix_sort_implINS0_14default_configELb1EPKiPiPKlPlN2at6native12_GLOBAL__N_18offset_tEEE10hipError_tPvRmT1_PNSt15iterator_traitsISY_E10value_typeET2_T3_PNSZ_IS14_E10value_typeET4_jRbjT5_S1A_jjP12ihipStream_tbEUljE_EEESV_SW_SX_S14_S18_S1A_T6_T7_T9_mT8_S1C_bDpT10_ENKUlT_T0_E_clISt17integral_constantIbLb0EES1P_EEDaS1K_S1L_EUlS1K_E_NS1_11comp_targetILNS1_3genE8ELNS1_11target_archE1030ELNS1_3gpuE2ELNS1_3repE0EEENS1_30default_config_static_selectorELNS0_4arch9wavefront6targetE0EEEvSY_
	.p2align	8
	.type	_ZN7rocprim17ROCPRIM_400000_NS6detail17trampoline_kernelINS0_13select_configILj256ELj13ELNS0_17block_load_methodE3ELS4_3ELS4_3ELNS0_20block_scan_algorithmE0ELj4294967295EEENS1_25partition_config_selectorILNS1_17partition_subalgoE3EjNS0_10empty_typeEbEEZZNS1_14partition_implILS8_3ELb0ES6_jNS0_17counting_iteratorIjlEEPS9_SE_NS0_5tupleIJPjSE_EEENSF_IJSE_SE_EEES9_SG_JZNS1_25segmented_radix_sort_implINS0_14default_configELb1EPKiPiPKlPlN2at6native12_GLOBAL__N_18offset_tEEE10hipError_tPvRmT1_PNSt15iterator_traitsISY_E10value_typeET2_T3_PNSZ_IS14_E10value_typeET4_jRbjT5_S1A_jjP12ihipStream_tbEUljE_EEESV_SW_SX_S14_S18_S1A_T6_T7_T9_mT8_S1C_bDpT10_ENKUlT_T0_E_clISt17integral_constantIbLb0EES1P_EEDaS1K_S1L_EUlS1K_E_NS1_11comp_targetILNS1_3genE8ELNS1_11target_archE1030ELNS1_3gpuE2ELNS1_3repE0EEENS1_30default_config_static_selectorELNS0_4arch9wavefront6targetE0EEEvSY_,@function
_ZN7rocprim17ROCPRIM_400000_NS6detail17trampoline_kernelINS0_13select_configILj256ELj13ELNS0_17block_load_methodE3ELS4_3ELS4_3ELNS0_20block_scan_algorithmE0ELj4294967295EEENS1_25partition_config_selectorILNS1_17partition_subalgoE3EjNS0_10empty_typeEbEEZZNS1_14partition_implILS8_3ELb0ES6_jNS0_17counting_iteratorIjlEEPS9_SE_NS0_5tupleIJPjSE_EEENSF_IJSE_SE_EEES9_SG_JZNS1_25segmented_radix_sort_implINS0_14default_configELb1EPKiPiPKlPlN2at6native12_GLOBAL__N_18offset_tEEE10hipError_tPvRmT1_PNSt15iterator_traitsISY_E10value_typeET2_T3_PNSZ_IS14_E10value_typeET4_jRbjT5_S1A_jjP12ihipStream_tbEUljE_EEESV_SW_SX_S14_S18_S1A_T6_T7_T9_mT8_S1C_bDpT10_ENKUlT_T0_E_clISt17integral_constantIbLb0EES1P_EEDaS1K_S1L_EUlS1K_E_NS1_11comp_targetILNS1_3genE8ELNS1_11target_archE1030ELNS1_3gpuE2ELNS1_3repE0EEENS1_30default_config_static_selectorELNS0_4arch9wavefront6targetE0EEEvSY_: ; @_ZN7rocprim17ROCPRIM_400000_NS6detail17trampoline_kernelINS0_13select_configILj256ELj13ELNS0_17block_load_methodE3ELS4_3ELS4_3ELNS0_20block_scan_algorithmE0ELj4294967295EEENS1_25partition_config_selectorILNS1_17partition_subalgoE3EjNS0_10empty_typeEbEEZZNS1_14partition_implILS8_3ELb0ES6_jNS0_17counting_iteratorIjlEEPS9_SE_NS0_5tupleIJPjSE_EEENSF_IJSE_SE_EEES9_SG_JZNS1_25segmented_radix_sort_implINS0_14default_configELb1EPKiPiPKlPlN2at6native12_GLOBAL__N_18offset_tEEE10hipError_tPvRmT1_PNSt15iterator_traitsISY_E10value_typeET2_T3_PNSZ_IS14_E10value_typeET4_jRbjT5_S1A_jjP12ihipStream_tbEUljE_EEESV_SW_SX_S14_S18_S1A_T6_T7_T9_mT8_S1C_bDpT10_ENKUlT_T0_E_clISt17integral_constantIbLb0EES1P_EEDaS1K_S1L_EUlS1K_E_NS1_11comp_targetILNS1_3genE8ELNS1_11target_archE1030ELNS1_3gpuE2ELNS1_3repE0EEENS1_30default_config_static_selectorELNS0_4arch9wavefront6targetE0EEEvSY_
; %bb.0:
	s_clause 0x6
	s_load_dword s0, s[4:5], 0x70
	s_load_dwordx2 s[16:17], s[4:5], 0x10
	s_load_dwordx4 s[12:15], s[4:5], 0x48
	s_load_dwordx2 s[18:19], s[4:5], 0x58
	s_load_dword s7, s[4:5], 0x8
	s_load_dwordx4 s[8:11], s[4:5], 0x78
	s_load_dword s1, s[4:5], 0x88
	s_mul_i32 s26, s6, 0xd00
	v_lshlrev_b32_e32 v42, 2, v0
	s_waitcnt lgkmcnt(0)
	s_mul_i32 s2, s0, 0xd00
	s_add_i32 s0, s0, -1
	s_add_i32 s3, s2, s16
	s_load_dwordx2 s[20:21], s[14:15], 0x0
	s_sub_i32 s25, s18, s3
	s_addk_i32 s25, 0xd00
	s_add_u32 s2, s16, s2
	s_addc_u32 s3, s17, 0
	s_cmp_eq_u32 s6, s0
	v_cmp_gt_u64_e64 s2, s[18:19], s[2:3]
	s_cselect_b32 s24, -1, 0
	s_cmp_lg_u32 s6, s0
	s_cselect_b32 s0, -1, 0
	s_add_i32 s3, s7, s26
	s_or_b32 s2, s0, s2
	s_add_i32 s3, s3, s16
	s_and_b32 vcc_lo, exec_lo, s2
	v_add_nc_u32_e32 v1, s3, v0
	s_mov_b32 s7, -1
	s_cbranch_vccz .LBB468_2
; %bb.1:
	v_add_nc_u32_e32 v2, 0x100, v1
	v_add_nc_u32_e32 v3, 0x200, v1
	;; [unrolled: 1-line block ×12, first 2 shown]
	ds_write2st64_b32 v42, v1, v2 offset1:4
	ds_write2st64_b32 v42, v3, v4 offset0:8 offset1:12
	ds_write2st64_b32 v42, v5, v6 offset0:16 offset1:20
	;; [unrolled: 1-line block ×5, first 2 shown]
	ds_write_b32 v42, v13 offset:12288
	s_waitcnt lgkmcnt(0)
	s_mov_b32 s7, 0
	s_barrier
.LBB468_2:
	v_cmp_gt_u32_e64 s0, s25, v0
	v_or_b32_e32 v41, 0x100, v0
	v_or_b32_e32 v40, 0x200, v0
	;; [unrolled: 1-line block ×12, first 2 shown]
	s_andn2_b32 vcc_lo, exec_lo, s7
	s_cbranch_vccnz .LBB468_4
; %bb.3:
	v_add_nc_u32_e32 v2, s3, v41
	v_cmp_gt_u32_e32 vcc_lo, s25, v41
	v_add_nc_u32_e32 v3, s3, v40
	v_add_nc_u32_e32 v4, s3, v39
	v_add_nc_u32_e32 v5, s3, v38
	v_add_nc_u32_e32 v6, s3, v37
	v_cndmask_b32_e32 v2, 0, v2, vcc_lo
	v_cmp_gt_u32_e32 vcc_lo, s25, v40
	v_add_nc_u32_e32 v7, s3, v36
	v_add_nc_u32_e32 v8, s3, v35
	;; [unrolled: 1-line block ×4, first 2 shown]
	v_cndmask_b32_e32 v3, 0, v3, vcc_lo
	v_cmp_gt_u32_e32 vcc_lo, s25, v39
	v_add_nc_u32_e32 v11, s3, v32
	v_add_nc_u32_e32 v12, s3, v31
	v_cndmask_b32_e64 v1, 0, v1, s0
	v_add_nc_u32_e32 v13, s3, v30
	v_cndmask_b32_e32 v4, 0, v4, vcc_lo
	v_cmp_gt_u32_e32 vcc_lo, s25, v38
	v_cndmask_b32_e32 v5, 0, v5, vcc_lo
	v_cmp_gt_u32_e32 vcc_lo, s25, v37
	;; [unrolled: 2-line block ×9, first 2 shown]
	v_cndmask_b32_e32 v13, 0, v13, vcc_lo
	ds_write2st64_b32 v42, v1, v2 offset1:4
	ds_write2st64_b32 v42, v3, v4 offset0:8 offset1:12
	ds_write2st64_b32 v42, v5, v6 offset0:16 offset1:20
	;; [unrolled: 1-line block ×5, first 2 shown]
	ds_write_b32 v42, v13 offset:12288
	s_waitcnt lgkmcnt(0)
	s_barrier
.LBB468_4:
	v_mul_u32_u24_e32 v45, 13, v0
	s_waitcnt lgkmcnt(0)
	buffer_gl0_inv
	v_cndmask_b32_e64 v43, 0, 1, s2
	s_andn2_b32 vcc_lo, exec_lo, s2
	v_lshlrev_b32_e32 v1, 2, v45
	ds_read2_b32 v[26:27], v1 offset0:2 offset1:3
	ds_read2_b32 v[22:23], v1 offset0:6 offset1:7
	;; [unrolled: 1-line block ×3, first 2 shown]
	ds_read2_b32 v[28:29], v1 offset1:1
	ds_read2_b32 v[18:19], v1 offset0:10 offset1:11
	ds_read_b32 v44, v1 offset:48
	ds_read2_b32 v[20:21], v1 offset0:8 offset1:9
	s_waitcnt lgkmcnt(0)
	s_barrier
	buffer_gl0_inv
	s_cbranch_vccnz .LBB468_6
; %bb.5:
	v_add_nc_u32_e32 v1, s9, v27
	v_add_nc_u32_e32 v4, s9, v26
	;; [unrolled: 1-line block ×6, first 2 shown]
	v_mul_lo_u32 v4, v4, s8
	v_mul_lo_u32 v1, v1, s8
	;; [unrolled: 1-line block ×4, first 2 shown]
	v_add_nc_u32_e32 v3, s9, v28
	v_add_nc_u32_e32 v7, s11, v28
	v_mul_lo_u32 v2, v2, s8
	v_mul_lo_u32 v6, v6, s10
	v_add_nc_u32_e32 v10, s11, v25
	v_mul_lo_u32 v3, v3, s8
	v_mul_lo_u32 v7, v7, s10
	v_sub_nc_u32_e32 v1, v1, v5
	v_sub_nc_u32_e32 v4, v4, v8
	v_add_nc_u32_e32 v5, s9, v23
	v_add_nc_u32_e32 v8, s11, v23
	v_sub_nc_u32_e32 v2, v2, v6
	v_add_nc_u32_e32 v6, s9, v25
	v_add_nc_u32_e32 v9, s9, v22
	v_mul_lo_u32 v5, v5, s8
	v_mul_lo_u32 v8, v8, s10
	v_sub_nc_u32_e32 v3, v3, v7
	v_add_nc_u32_e32 v7, s9, v24
	v_add_nc_u32_e32 v11, s11, v22
	v_mul_lo_u32 v6, v6, s8
	v_mul_lo_u32 v10, v10, s10
	v_add_nc_u32_e32 v12, s11, v24
	v_mul_lo_u32 v9, v9, s8
	v_mul_lo_u32 v7, v7, s8
	;; [unrolled: 1-line block ×3, first 2 shown]
	v_sub_nc_u32_e32 v5, v5, v8
	v_mul_lo_u32 v8, v12, s10
	v_cmp_lt_u32_e32 vcc_lo, s1, v1
	v_sub_nc_u32_e32 v6, v6, v10
	v_add_nc_u32_e32 v10, s9, v19
	v_add_nc_u32_e32 v14, s11, v19
	;; [unrolled: 1-line block ×3, first 2 shown]
	v_cndmask_b32_e64 v1, 0, 1, vcc_lo
	v_cmp_lt_u32_e32 vcc_lo, s1, v2
	v_sub_nc_u32_e32 v7, v7, v8
	v_sub_nc_u32_e32 v8, v9, v11
	v_add_nc_u32_e32 v11, s9, v21
	v_mul_lo_u32 v10, v10, s8
	v_mul_lo_u32 v14, v14, s10
	v_cndmask_b32_e64 v2, 0, 1, vcc_lo
	v_cmp_lt_u32_e32 vcc_lo, s1, v5
	v_mul_lo_u32 v11, v11, s8
	v_mul_lo_u32 v15, v15, s10
	v_mov_b32_e32 v9, 8
	v_lshlrev_b16 v2, 8, v2
	v_cndmask_b32_e64 v5, 0, 1, vcc_lo
	v_cmp_lt_u32_e32 vcc_lo, s1, v6
	v_sub_nc_u32_e32 v10, v10, v14
	v_add_nc_u32_e32 v12, s9, v20
	v_add_nc_u32_e32 v16, s11, v20
	v_sub_nc_u32_e32 v11, v11, v15
	v_cndmask_b32_e64 v6, 0, 1, vcc_lo
	v_cmp_lt_u32_e32 vcc_lo, s1, v10
	v_lshrrev_b32_sdwa v2, v9, v2 dst_sel:BYTE_1 dst_unused:UNUSED_PAD src0_sel:DWORD src1_sel:DWORD
	v_add_nc_u32_e32 v13, s9, v18
	v_add_nc_u32_e32 v17, s11, v18
	v_mul_lo_u32 v12, v12, s8
	v_cndmask_b32_e64 v10, 0, 1, vcc_lo
	v_cmp_lt_u32_e32 vcc_lo, s1, v11
	v_mul_lo_u32 v16, v16, s10
	v_mul_lo_u32 v13, v13, s8
	;; [unrolled: 1-line block ×3, first 2 shown]
	v_add_nc_u32_e32 v14, s9, v44
	v_cndmask_b32_e64 v11, 0, 1, vcc_lo
	v_cmp_lt_u32_e32 vcc_lo, s1, v3
	v_add_nc_u32_e32 v15, s11, v44
	v_lshlrev_b16 v1, 8, v1
	v_sub_nc_u32_e32 v12, v12, v16
	v_lshlrev_b16 v11, 8, v11
	v_cndmask_b32_e64 v3, 0, 1, vcc_lo
	v_cmp_lt_u32_e32 vcc_lo, s1, v4
	v_sub_nc_u32_e32 v13, v13, v17
	v_mul_lo_u32 v14, v14, s8
	v_mul_lo_u32 v15, v15, s10
	v_or_b32_e32 v2, v3, v2
	v_cndmask_b32_e64 v3, 0, 1, vcc_lo
	v_cmp_lt_u32_e32 vcc_lo, s1, v7
	v_lshlrev_b16 v6, 8, v6
	v_lshlrev_b16 v10, 8, v10
	;; [unrolled: 1-line block ×3, first 2 shown]
	v_lshrrev_b32_sdwa v1, v9, v1 dst_sel:BYTE_1 dst_unused:UNUSED_PAD src0_sel:DWORD src1_sel:DWORD
	v_cndmask_b32_e64 v4, 0, 1, vcc_lo
	v_cmp_lt_u32_e32 vcc_lo, s1, v8
	v_lshrrev_b32_sdwa v8, v9, v11 dst_sel:BYTE_1 dst_unused:UNUSED_PAD src0_sel:DWORD src1_sel:DWORD
	v_lshrrev_b32_sdwa v6, v9, v6 dst_sel:BYTE_1 dst_unused:UNUSED_PAD src0_sel:DWORD src1_sel:DWORD
	v_sub_nc_u32_e32 v14, v14, v15
	v_lshrrev_b32_sdwa v9, v9, v10 dst_sel:BYTE_1 dst_unused:UNUSED_PAD src0_sel:DWORD src1_sel:DWORD
	v_cndmask_b32_e64 v7, 0, 1, vcc_lo
	v_cmp_lt_u32_e32 vcc_lo, s1, v12
	v_or_b32_sdwa v1, v3, v1 dst_sel:WORD_1 dst_unused:UNUSED_PAD src0_sel:DWORD src1_sel:DWORD
	v_or_b32_e32 v3, v4, v6
	v_or_b32_sdwa v4, v7, v5 dst_sel:WORD_1 dst_unused:UNUSED_PAD src0_sel:DWORD src1_sel:DWORD
	v_cndmask_b32_e64 v11, 0, 1, vcc_lo
	v_cmp_lt_u32_e32 vcc_lo, s1, v13
	v_or_b32_sdwa v50, v2, v1 dst_sel:DWORD dst_unused:UNUSED_PAD src0_sel:WORD_0 src1_sel:DWORD
	v_or_b32_sdwa v48, v3, v4 dst_sel:DWORD dst_unused:UNUSED_PAD src0_sel:WORD_0 src1_sel:DWORD
	v_or_b32_e32 v5, v11, v8
	v_cndmask_b32_e64 v10, 0, 1, vcc_lo
	v_cmp_lt_u32_e32 vcc_lo, s1, v14
	v_or_b32_sdwa v6, v10, v9 dst_sel:WORD_1 dst_unused:UNUSED_PAD src0_sel:DWORD src1_sel:DWORD
	v_cndmask_b32_e64 v46, 0, 1, vcc_lo
	v_or_b32_sdwa v47, v5, v6 dst_sel:DWORD dst_unused:UNUSED_PAD src0_sel:WORD_0 src1_sel:DWORD
	s_clause 0x1
	s_load_dwordx2 s[14:15], s[4:5], 0x28
	s_load_dwordx2 s[22:23], s[4:5], 0x68
	s_cbranch_execz .LBB468_7
	s_branch .LBB468_34
.LBB468_6:
                                        ; implicit-def: $vgpr46
                                        ; implicit-def: $vgpr47
                                        ; implicit-def: $vgpr48
                                        ; implicit-def: $vgpr50
	s_clause 0x1
	s_load_dwordx2 s[14:15], s[4:5], 0x28
	s_load_dwordx2 s[22:23], s[4:5], 0x68
.LBB468_7:
	v_mov_b32_e32 v2, 0
	v_mov_b32_e32 v1, 0
	s_mov_b32 s0, exec_lo
	v_cmpx_gt_u32_e64 s25, v45
	s_cbranch_execz .LBB468_9
; %bb.8:
	v_add_nc_u32_e32 v1, s9, v28
	v_add_nc_u32_e32 v3, s11, v28
	v_mul_lo_u32 v1, v1, s8
	v_mul_lo_u32 v3, v3, s10
	v_sub_nc_u32_e32 v1, v1, v3
	v_cmp_lt_u32_e32 vcc_lo, s1, v1
	v_cndmask_b32_e64 v1, 0, 1, vcc_lo
.LBB468_9:
	s_or_b32 exec_lo, exec_lo, s0
	v_add_nc_u32_e32 v3, 1, v45
	s_mov_b32 s0, exec_lo
	v_cmpx_gt_u32_e64 s25, v3
	s_cbranch_execz .LBB468_11
; %bb.10:
	v_add_nc_u32_e32 v2, s9, v29
	v_add_nc_u32_e32 v3, s11, v29
	v_mul_lo_u32 v2, v2, s8
	v_mul_lo_u32 v3, v3, s10
	v_sub_nc_u32_e32 v2, v2, v3
	v_cmp_lt_u32_e32 vcc_lo, s1, v2
	v_cndmask_b32_e64 v2, 0, 1, vcc_lo
.LBB468_11:
	s_or_b32 exec_lo, exec_lo, s0
	v_add_nc_u32_e32 v3, 2, v45
	v_mov_b32_e32 v4, 0
	v_cmp_gt_u32_e32 vcc_lo, s25, v3
	v_mov_b32_e32 v3, 0
	s_and_saveexec_b32 s0, vcc_lo
	s_cbranch_execz .LBB468_13
; %bb.12:
	v_add_nc_u32_e32 v3, s9, v26
	v_add_nc_u32_e32 v5, s11, v26
	v_mul_lo_u32 v3, v3, s8
	v_mul_lo_u32 v5, v5, s10
	v_sub_nc_u32_e32 v3, v3, v5
	v_cmp_lt_u32_e32 vcc_lo, s1, v3
	v_cndmask_b32_e64 v3, 0, 1, vcc_lo
.LBB468_13:
	s_or_b32 exec_lo, exec_lo, s0
	v_add_nc_u32_e32 v5, 3, v45
	s_mov_b32 s0, exec_lo
	v_cmpx_gt_u32_e64 s25, v5
	s_cbranch_execz .LBB468_15
; %bb.14:
	v_add_nc_u32_e32 v4, s9, v27
	v_add_nc_u32_e32 v5, s11, v27
	v_mul_lo_u32 v4, v4, s8
	v_mul_lo_u32 v5, v5, s10
	v_sub_nc_u32_e32 v4, v4, v5
	v_cmp_lt_u32_e32 vcc_lo, s1, v4
	v_cndmask_b32_e64 v4, 0, 1, vcc_lo
.LBB468_15:
	s_or_b32 exec_lo, exec_lo, s0
	v_add_nc_u32_e32 v5, 4, v45
	v_mov_b32_e32 v6, 0
	v_cmp_gt_u32_e32 vcc_lo, s25, v5
	v_mov_b32_e32 v5, 0
	s_and_saveexec_b32 s0, vcc_lo
	;; [unrolled: 30-line block ×5, first 2 shown]
	s_cbranch_execz .LBB468_29
; %bb.28:
	v_add_nc_u32_e32 v11, s9, v18
	v_add_nc_u32_e32 v13, s11, v18
	v_mul_lo_u32 v11, v11, s8
	v_mul_lo_u32 v13, v13, s10
	v_sub_nc_u32_e32 v11, v11, v13
	v_cmp_lt_u32_e32 vcc_lo, s1, v11
	v_cndmask_b32_e64 v11, 0, 1, vcc_lo
.LBB468_29:
	s_or_b32 exec_lo, exec_lo, s0
	v_add_nc_u32_e32 v13, 11, v45
	s_mov_b32 s0, exec_lo
	v_cmpx_gt_u32_e64 s25, v13
	s_cbranch_execz .LBB468_31
; %bb.30:
	v_add_nc_u32_e32 v12, s9, v19
	v_add_nc_u32_e32 v13, s11, v19
	v_mul_lo_u32 v12, v12, s8
	v_mul_lo_u32 v13, v13, s10
	v_sub_nc_u32_e32 v12, v12, v13
	v_cmp_lt_u32_e32 vcc_lo, s1, v12
	v_cndmask_b32_e64 v12, 0, 1, vcc_lo
.LBB468_31:
	s_or_b32 exec_lo, exec_lo, s0
	v_add_nc_u32_e32 v13, 12, v45
	v_mov_b32_e32 v46, 0
	s_mov_b32 s0, exec_lo
	v_cmpx_gt_u32_e64 s25, v13
	s_cbranch_execz .LBB468_33
; %bb.32:
	v_add_nc_u32_e32 v13, s9, v44
	v_add_nc_u32_e32 v14, s11, v44
	v_mul_lo_u32 v13, v13, s8
	v_mul_lo_u32 v14, v14, s10
	v_sub_nc_u32_e32 v13, v13, v14
	v_cmp_lt_u32_e32 vcc_lo, s1, v13
	v_cndmask_b32_e64 v46, 0, 1, vcc_lo
.LBB468_33:
	s_or_b32 exec_lo, exec_lo, s0
	v_lshlrev_b16 v2, 8, v2
	v_lshlrev_b16 v4, 8, v4
	v_lshlrev_b16 v6, 8, v6
	v_lshlrev_b16 v8, 8, v8
	v_lshlrev_b16 v10, 8, v10
	v_or_b32_e32 v1, v1, v2
	v_lshlrev_b16 v2, 8, v12
	v_or_b32_sdwa v3, v3, v4 dst_sel:WORD_1 dst_unused:UNUSED_PAD src0_sel:DWORD src1_sel:DWORD
	v_or_b32_e32 v4, v5, v6
	v_or_b32_sdwa v5, v7, v8 dst_sel:WORD_1 dst_unused:UNUSED_PAD src0_sel:DWORD src1_sel:DWORD
	v_or_b32_e32 v6, v9, v10
	v_or_b32_sdwa v2, v11, v2 dst_sel:WORD_1 dst_unused:UNUSED_PAD src0_sel:DWORD src1_sel:DWORD
	v_or_b32_sdwa v50, v1, v3 dst_sel:DWORD dst_unused:UNUSED_PAD src0_sel:WORD_0 src1_sel:DWORD
	v_or_b32_sdwa v48, v4, v5 dst_sel:DWORD dst_unused:UNUSED_PAD src0_sel:WORD_0 src1_sel:DWORD
	;; [unrolled: 1-line block ×3, first 2 shown]
.LBB468_34:
	v_and_b32_e32 v53, 0xff, v50
	v_bfe_u32 v54, v50, 8, 8
	v_bfe_u32 v55, v50, 16, 8
	v_lshrrev_b32_e32 v52, 24, v50
	v_and_b32_e32 v56, 0xff, v48
	v_bfe_u32 v57, v48, 8, 8
	v_bfe_u32 v58, v48, 16, 8
	v_add3_u32 v1, v54, v53, v55
	v_lshrrev_b32_e32 v51, 24, v48
	v_and_b32_e32 v59, 0xff, v47
	v_bfe_u32 v60, v47, 8, 8
	v_mbcnt_lo_u32_b32 v62, -1, 0
	v_add3_u32 v1, v1, v52, v56
	v_bfe_u32 v61, v47, 16, 8
	v_lshrrev_b32_e32 v49, 24, v47
	v_and_b32_e32 v2, 0xff, v46
	v_and_b32_e32 v3, 15, v62
	v_add3_u32 v1, v1, v57, v58
	v_or_b32_e32 v4, 31, v0
	v_and_b32_e32 v5, 16, v62
	v_lshrrev_b32_e32 v63, 5, v0
	v_cmp_eq_u32_e64 s5, 0, v3
	v_add3_u32 v1, v1, v51, v59
	v_cmp_lt_u32_e64 s4, 1, v3
	v_cmp_lt_u32_e64 s3, 3, v3
	;; [unrolled: 1-line block ×3, first 2 shown]
	v_cmp_eq_u32_e64 s1, 0, v5
	v_add3_u32 v1, v1, v60, v61
	v_cmp_eq_u32_e64 s0, v0, v4
	s_cmp_lg_u32 s6, 0
	s_mov_b32 s7, -1
	v_add3_u32 v64, v1, v49, v2
	s_cbranch_scc0 .LBB468_56
; %bb.35:
	v_mov_b32_dpp v1, v64 row_shr:1 row_mask:0xf bank_mask:0xf
	v_cndmask_b32_e64 v1, v1, 0, s5
	v_add_nc_u32_e32 v1, v1, v64
	v_mov_b32_dpp v2, v1 row_shr:2 row_mask:0xf bank_mask:0xf
	v_cndmask_b32_e64 v2, 0, v2, s4
	v_add_nc_u32_e32 v1, v1, v2
	;; [unrolled: 3-line block ×4, first 2 shown]
	ds_swizzle_b32 v2, v1 offset:swizzle(BROADCAST,32,15)
	s_waitcnt lgkmcnt(0)
	v_cndmask_b32_e64 v2, v2, 0, s1
	v_add_nc_u32_e32 v1, v1, v2
	s_and_saveexec_b32 s7, s0
; %bb.36:
	v_lshlrev_b32_e32 v2, 2, v63
	ds_write_b32 v2, v1
; %bb.37:
	s_or_b32 exec_lo, exec_lo, s7
	s_mov_b32 s7, exec_lo
	s_waitcnt lgkmcnt(0)
	s_barrier
	buffer_gl0_inv
	v_cmpx_gt_u32_e32 8, v0
	s_cbranch_execz .LBB468_39
; %bb.38:
	ds_read_b32 v2, v42
	v_and_b32_e32 v3, 7, v62
	v_cmp_ne_u32_e32 vcc_lo, 0, v3
	s_waitcnt lgkmcnt(0)
	v_mov_b32_dpp v4, v2 row_shr:1 row_mask:0xf bank_mask:0xf
	v_cndmask_b32_e32 v4, 0, v4, vcc_lo
	v_cmp_lt_u32_e32 vcc_lo, 1, v3
	v_add_nc_u32_e32 v2, v4, v2
	v_mov_b32_dpp v4, v2 row_shr:2 row_mask:0xf bank_mask:0xf
	v_cndmask_b32_e32 v4, 0, v4, vcc_lo
	v_cmp_lt_u32_e32 vcc_lo, 3, v3
	v_add_nc_u32_e32 v2, v2, v4
	v_mov_b32_dpp v4, v2 row_shr:4 row_mask:0xf bank_mask:0xf
	v_cndmask_b32_e32 v3, 0, v4, vcc_lo
	v_add_nc_u32_e32 v2, v2, v3
	ds_write_b32 v42, v2
.LBB468_39:
	s_or_b32 exec_lo, exec_lo, s7
	s_mov_b32 s8, exec_lo
	v_cmp_gt_u32_e32 vcc_lo, 32, v0
	s_waitcnt lgkmcnt(0)
	s_barrier
	buffer_gl0_inv
                                        ; implicit-def: $vgpr10
	v_cmpx_lt_u32_e32 31, v0
	s_cbranch_execz .LBB468_41
; %bb.40:
	v_lshl_add_u32 v2, v63, 2, -4
	ds_read_b32 v10, v2
	s_waitcnt lgkmcnt(0)
	v_add_nc_u32_e32 v1, v10, v1
.LBB468_41:
	s_or_b32 exec_lo, exec_lo, s8
	v_sub_co_u32 v2, s7, v62, 1
	v_cmp_gt_i32_e64 s8, 0, v2
	v_cndmask_b32_e64 v2, v2, v62, s8
	v_lshlrev_b32_e32 v2, 2, v2
	ds_bpermute_b32 v11, v2, v1
	s_and_saveexec_b32 s8, vcc_lo
	s_cbranch_execz .LBB468_61
; %bb.42:
	v_mov_b32_e32 v7, 0
	ds_read_b32 v1, v7 offset:28
	s_and_saveexec_b32 s9, s7
	s_cbranch_execz .LBB468_44
; %bb.43:
	s_add_i32 s10, s6, 32
	s_mov_b32 s11, 0
	v_mov_b32_e32 v2, 1
	s_lshl_b64 s[10:11], s[10:11], 3
	s_add_u32 s10, s22, s10
	s_addc_u32 s11, s23, s11
	s_waitcnt lgkmcnt(0)
	global_store_dwordx2 v7, v[1:2], s[10:11]
.LBB468_44:
	s_or_b32 exec_lo, exec_lo, s9
	v_xad_u32 v3, v62, -1, s6
	s_mov_b32 s10, 0
	v_add_nc_u32_e32 v6, 32, v3
	v_lshlrev_b64 v[4:5], 3, v[6:7]
	v_add_co_u32 v8, vcc_lo, s22, v4
	v_add_co_ci_u32_e64 v9, null, s23, v5, vcc_lo
	global_load_dwordx2 v[5:6], v[8:9], off glc dlc
	s_waitcnt vmcnt(0)
	v_cmp_eq_u16_sdwa s11, v6, v7 src0_sel:BYTE_0 src1_sel:DWORD
	s_and_saveexec_b32 s9, s11
	s_cbranch_execz .LBB468_48
; %bb.45:
	v_mov_b32_e32 v2, 0
.LBB468_46:                             ; =>This Inner Loop Header: Depth=1
	global_load_dwordx2 v[5:6], v[8:9], off glc dlc
	s_waitcnt vmcnt(0)
	v_cmp_ne_u16_sdwa s11, v6, v2 src0_sel:BYTE_0 src1_sel:DWORD
	s_or_b32 s10, s11, s10
	s_andn2_b32 exec_lo, exec_lo, s10
	s_cbranch_execnz .LBB468_46
; %bb.47:
	s_or_b32 exec_lo, exec_lo, s10
.LBB468_48:
	s_or_b32 exec_lo, exec_lo, s9
	v_cmp_ne_u32_e32 vcc_lo, 31, v62
	v_mov_b32_e32 v12, 2
	v_lshlrev_b32_e64 v13, v62, -1
	v_add_nc_u32_e32 v15, 2, v62
	v_add_nc_u32_e32 v17, 4, v62
	v_add_co_ci_u32_e64 v2, null, 0, v62, vcc_lo
	v_cmp_eq_u16_sdwa s9, v6, v12 src0_sel:BYTE_0 src1_sel:DWORD
	v_cmp_gt_u32_e32 vcc_lo, 30, v62
	v_add_nc_u32_e32 v66, 8, v62
	v_lshlrev_b32_e32 v9, 2, v2
	v_lshl_or_b32 v67, v62, 2, 64
	v_and_or_b32 v4, s9, v13, 0x80000000
	v_cndmask_b32_e64 v7, 0, 2, vcc_lo
	v_add_nc_u32_e32 v68, 16, v62
	ds_bpermute_b32 v2, v9, v5
	v_ffbl_b32_e32 v4, v4
	v_add_lshl_u32 v14, v7, v62, 2
	v_cmp_lt_u32_e32 vcc_lo, v62, v4
	s_waitcnt lgkmcnt(0)
	v_cndmask_b32_e32 v2, 0, v2, vcc_lo
	v_cmp_gt_u32_e32 vcc_lo, 28, v62
	v_add_nc_u32_e32 v2, v2, v5
	v_cndmask_b32_e64 v7, 0, 4, vcc_lo
	v_cmp_le_u32_e32 vcc_lo, v15, v4
	ds_bpermute_b32 v5, v14, v2
	v_add_lshl_u32 v16, v7, v62, 2
	s_waitcnt lgkmcnt(0)
	v_cndmask_b32_e32 v5, 0, v5, vcc_lo
	v_cmp_gt_u32_e32 vcc_lo, 24, v62
	v_add_nc_u32_e32 v2, v2, v5
	v_cndmask_b32_e64 v7, 0, 8, vcc_lo
	v_cmp_le_u32_e32 vcc_lo, v17, v4
	ds_bpermute_b32 v5, v16, v2
	v_add_lshl_u32 v65, v7, v62, 2
	s_waitcnt lgkmcnt(0)
	v_cndmask_b32_e32 v5, 0, v5, vcc_lo
	v_cmp_le_u32_e32 vcc_lo, v66, v4
	v_add_nc_u32_e32 v2, v2, v5
	ds_bpermute_b32 v5, v65, v2
	s_waitcnt lgkmcnt(0)
	v_cndmask_b32_e32 v5, 0, v5, vcc_lo
	v_cmp_le_u32_e32 vcc_lo, v68, v4
	v_add_nc_u32_e32 v2, v2, v5
	ds_bpermute_b32 v5, v67, v2
	s_waitcnt lgkmcnt(0)
	v_cndmask_b32_e32 v4, 0, v5, vcc_lo
	v_add_nc_u32_e32 v5, v2, v4
	v_mov_b32_e32 v4, 0
	s_branch .LBB468_52
.LBB468_49:                             ;   in Loop: Header=BB468_52 Depth=1
	s_or_b32 exec_lo, exec_lo, s10
.LBB468_50:                             ;   in Loop: Header=BB468_52 Depth=1
	s_or_b32 exec_lo, exec_lo, s9
	ds_bpermute_b32 v7, v9, v5
	v_cmp_eq_u16_sdwa s9, v6, v12 src0_sel:BYTE_0 src1_sel:DWORD
	v_subrev_nc_u32_e32 v3, 32, v3
	v_and_or_b32 v8, s9, v13, 0x80000000
	s_mov_b32 s9, 0
	v_ffbl_b32_e32 v8, v8
	v_cmp_lt_u32_e32 vcc_lo, v62, v8
	s_waitcnt lgkmcnt(0)
	v_cndmask_b32_e32 v7, 0, v7, vcc_lo
	v_cmp_le_u32_e32 vcc_lo, v15, v8
	v_add_nc_u32_e32 v5, v7, v5
	ds_bpermute_b32 v7, v14, v5
	s_waitcnt lgkmcnt(0)
	v_cndmask_b32_e32 v7, 0, v7, vcc_lo
	v_cmp_le_u32_e32 vcc_lo, v17, v8
	v_add_nc_u32_e32 v5, v5, v7
	ds_bpermute_b32 v7, v16, v5
	;; [unrolled: 5-line block ×4, first 2 shown]
	s_waitcnt lgkmcnt(0)
	v_cndmask_b32_e32 v7, 0, v7, vcc_lo
	v_add3_u32 v5, v7, v2, v5
.LBB468_51:                             ;   in Loop: Header=BB468_52 Depth=1
	s_and_b32 vcc_lo, exec_lo, s9
	s_cbranch_vccnz .LBB468_57
.LBB468_52:                             ; =>This Loop Header: Depth=1
                                        ;     Child Loop BB468_55 Depth 2
	v_cmp_ne_u16_sdwa s9, v6, v12 src0_sel:BYTE_0 src1_sel:DWORD
	v_mov_b32_e32 v2, v5
                                        ; implicit-def: $vgpr5
                                        ; implicit-def: $vgpr6
	s_cmp_lg_u32 s9, exec_lo
	s_mov_b32 s9, -1
	s_cbranch_scc1 .LBB468_51
; %bb.53:                               ;   in Loop: Header=BB468_52 Depth=1
	v_lshlrev_b64 v[5:6], 3, v[3:4]
	v_add_co_u32 v7, vcc_lo, s22, v5
	v_add_co_ci_u32_e64 v8, null, s23, v6, vcc_lo
	global_load_dwordx2 v[5:6], v[7:8], off glc dlc
	s_waitcnt vmcnt(0)
	v_cmp_eq_u16_sdwa s10, v6, v4 src0_sel:BYTE_0 src1_sel:DWORD
	s_and_saveexec_b32 s9, s10
	s_cbranch_execz .LBB468_50
; %bb.54:                               ;   in Loop: Header=BB468_52 Depth=1
	s_mov_b32 s10, 0
.LBB468_55:                             ;   Parent Loop BB468_52 Depth=1
                                        ; =>  This Inner Loop Header: Depth=2
	global_load_dwordx2 v[5:6], v[7:8], off glc dlc
	s_waitcnt vmcnt(0)
	v_cmp_ne_u16_sdwa s11, v6, v4 src0_sel:BYTE_0 src1_sel:DWORD
	s_or_b32 s10, s11, s10
	s_andn2_b32 exec_lo, exec_lo, s10
	s_cbranch_execnz .LBB468_55
	s_branch .LBB468_49
.LBB468_56:
                                        ; implicit-def: $vgpr17
                                        ; implicit-def: $vgpr1_vgpr2_vgpr3_vgpr4_vgpr5_vgpr6_vgpr7_vgpr8_vgpr9_vgpr10_vgpr11_vgpr12_vgpr13_vgpr14_vgpr15_vgpr16
	s_and_b32 vcc_lo, exec_lo, s7
	s_cbranch_vccnz .LBB468_62
	s_branch .LBB468_71
.LBB468_57:
	s_and_saveexec_b32 s9, s7
	s_cbranch_execz .LBB468_59
; %bb.58:
	s_add_i32 s10, s6, 32
	s_mov_b32 s11, 0
	v_add_nc_u32_e32 v3, v2, v1
	v_mov_b32_e32 v4, 2
	s_lshl_b64 s[10:11], s[10:11], 3
	v_mov_b32_e32 v5, 0
	s_add_u32 s10, s22, s10
	s_addc_u32 s11, s23, s11
	global_store_dwordx2 v5, v[3:4], s[10:11]
	ds_write_b64 v5, v[1:2] offset:13312
.LBB468_59:
	s_or_b32 exec_lo, exec_lo, s9
	v_cmp_eq_u32_e32 vcc_lo, 0, v0
	s_and_b32 exec_lo, exec_lo, vcc_lo
; %bb.60:
	v_mov_b32_e32 v1, 0
	ds_write_b32 v1, v2 offset:28
.LBB468_61:
	s_or_b32 exec_lo, exec_lo, s8
	v_mov_b32_e32 v12, 0
	s_waitcnt lgkmcnt(0)
	s_waitcnt_vscnt null, 0x0
	s_barrier
	buffer_gl0_inv
	v_cndmask_b32_e64 v2, v11, v10, s7
	ds_read_b32 v1, v12 offset:28
	v_cmp_ne_u32_e32 vcc_lo, 0, v0
	s_waitcnt lgkmcnt(0)
	s_barrier
	buffer_gl0_inv
	ds_read_b64 v[16:17], v12 offset:13312
	v_cndmask_b32_e32 v2, 0, v2, vcc_lo
	v_add_nc_u32_e32 v1, v1, v2
	v_add_nc_u32_e32 v2, v1, v53
	;; [unrolled: 1-line block ×13, first 2 shown]
	s_branch .LBB468_71
.LBB468_62:
	v_mov_b32_dpp v1, v64 row_shr:1 row_mask:0xf bank_mask:0xf
	v_cndmask_b32_e64 v1, v1, 0, s5
	v_add_nc_u32_e32 v1, v1, v64
	v_mov_b32_dpp v2, v1 row_shr:2 row_mask:0xf bank_mask:0xf
	v_cndmask_b32_e64 v2, 0, v2, s4
	v_add_nc_u32_e32 v1, v1, v2
	;; [unrolled: 3-line block ×4, first 2 shown]
	ds_swizzle_b32 v2, v1 offset:swizzle(BROADCAST,32,15)
	s_waitcnt lgkmcnt(0)
	v_cndmask_b32_e64 v2, v2, 0, s1
	v_add_nc_u32_e32 v1, v1, v2
	s_and_saveexec_b32 s1, s0
; %bb.63:
	v_lshlrev_b32_e32 v2, 2, v63
	ds_write_b32 v2, v1
; %bb.64:
	s_or_b32 exec_lo, exec_lo, s1
	s_mov_b32 s0, exec_lo
	s_waitcnt lgkmcnt(0)
	s_barrier
	buffer_gl0_inv
	v_cmpx_gt_u32_e32 8, v0
	s_cbranch_execz .LBB468_66
; %bb.65:
	ds_read_b32 v2, v42
	v_and_b32_e32 v3, 7, v62
	v_cmp_ne_u32_e32 vcc_lo, 0, v3
	s_waitcnt lgkmcnt(0)
	v_mov_b32_dpp v4, v2 row_shr:1 row_mask:0xf bank_mask:0xf
	v_cndmask_b32_e32 v4, 0, v4, vcc_lo
	v_cmp_lt_u32_e32 vcc_lo, 1, v3
	v_add_nc_u32_e32 v2, v4, v2
	v_mov_b32_dpp v4, v2 row_shr:2 row_mask:0xf bank_mask:0xf
	v_cndmask_b32_e32 v4, 0, v4, vcc_lo
	v_cmp_lt_u32_e32 vcc_lo, 3, v3
	v_add_nc_u32_e32 v2, v2, v4
	v_mov_b32_dpp v4, v2 row_shr:4 row_mask:0xf bank_mask:0xf
	v_cndmask_b32_e32 v3, 0, v4, vcc_lo
	v_add_nc_u32_e32 v2, v2, v3
	ds_write_b32 v42, v2
.LBB468_66:
	s_or_b32 exec_lo, exec_lo, s0
	v_mov_b32_e32 v3, 0
	v_mov_b32_e32 v2, 0
	s_mov_b32 s0, exec_lo
	s_waitcnt lgkmcnt(0)
	s_barrier
	buffer_gl0_inv
	v_cmpx_lt_u32_e32 31, v0
; %bb.67:
	v_lshl_add_u32 v2, v63, 2, -4
	ds_read_b32 v2, v2
; %bb.68:
	s_or_b32 exec_lo, exec_lo, s0
	v_sub_co_u32 v4, vcc_lo, v62, 1
	s_waitcnt lgkmcnt(0)
	v_add_nc_u32_e32 v1, v2, v1
	ds_read_b32 v16, v3 offset:28
	v_cmp_gt_i32_e64 s0, 0, v4
	v_cndmask_b32_e64 v4, v4, v62, s0
	v_cmp_eq_u32_e64 s0, 0, v0
	v_lshlrev_b32_e32 v4, 2, v4
	ds_bpermute_b32 v1, v4, v1
	s_and_saveexec_b32 s1, s0
	s_cbranch_execz .LBB468_70
; %bb.69:
	v_mov_b32_e32 v3, 0
	v_mov_b32_e32 v17, 2
	s_waitcnt lgkmcnt(1)
	global_store_dwordx2 v3, v[16:17], s[22:23] offset:256
.LBB468_70:
	s_or_b32 exec_lo, exec_lo, s1
	s_waitcnt lgkmcnt(0)
	v_cndmask_b32_e32 v1, v1, v2, vcc_lo
	v_mov_b32_e32 v17, 0
	s_waitcnt_vscnt null, 0x0
	s_barrier
	buffer_gl0_inv
	v_cndmask_b32_e64 v1, v1, 0, s0
	v_add_nc_u32_e32 v2, v1, v53
	v_add_nc_u32_e32 v3, v2, v54
	;; [unrolled: 1-line block ×12, first 2 shown]
.LBB468_71:
	s_waitcnt lgkmcnt(0)
	v_add_nc_u32_e32 v45, v16, v45
	v_sub_nc_u32_e32 v1, v1, v17
	v_and_b32_e32 v54, 1, v50
	v_lshrrev_b32_e32 v53, 8, v50
	v_sub_nc_u32_e32 v2, v2, v17
	v_sub_nc_u32_e32 v3, v3, v17
	;; [unrolled: 1-line block ×3, first 2 shown]
	v_cmp_eq_u32_e32 vcc_lo, 1, v54
	v_and_b32_e32 v53, 1, v53
	v_mov_b32_e32 v56, 1
	v_sub_nc_u32_e32 v54, v45, v2
	v_sub_nc_u32_e32 v4, v4, v17
	v_cndmask_b32_e32 v1, v55, v1, vcc_lo
	v_sub_nc_u32_e32 v55, v45, v3
	v_and_b32_sdwa v50, v56, v50 dst_sel:DWORD dst_unused:UNUSED_PAD src0_sel:DWORD src1_sel:WORD_1
	v_add_nc_u32_e32 v54, 1, v54
	v_cmp_eq_u32_e32 vcc_lo, 1, v53
	v_lshlrev_b32_e32 v1, 2, v1
	v_and_b32_e32 v52, 1, v52
	v_sub_nc_u32_e32 v57, v45, v4
	v_add_nc_u32_e32 v55, 2, v55
	v_lshrrev_b32_e32 v15, 8, v48
	ds_write_b32 v1, v28
	v_cndmask_b32_e32 v1, v54, v2, vcc_lo
	v_cmp_eq_u32_e32 vcc_lo, 1, v50
	v_add_nc_u32_e32 v57, 3, v57
	v_lshrrev_b32_e32 v14, 8, v47
	v_lshlrev_b32_e32 v1, 2, v1
	v_cndmask_b32_e32 v2, v55, v3, vcc_lo
	v_cmp_eq_u32_e32 vcc_lo, 1, v52
	ds_write_b32 v1, v29
	v_lshlrev_b32_e32 v2, 2, v2
	v_cndmask_b32_e32 v3, v57, v4, vcc_lo
	v_sub_nc_u32_e32 v4, v5, v17
	v_sub_nc_u32_e32 v5, v6, v17
	v_lshlrev_b32_e32 v3, 2, v3
	v_sub_nc_u32_e32 v1, v45, v4
	v_sub_nc_u32_e32 v6, v45, v5
	ds_write_b32 v2, v26
	ds_write_b32 v3, v27
	v_and_b32_e32 v2, 1, v48
	v_add_nc_u32_e32 v1, 4, v1
	v_add_nc_u32_e32 v3, 5, v6
	v_sub_nc_u32_e32 v6, v7, v17
	v_and_b32_e32 v7, 1, v15
	v_cmp_eq_u32_e32 vcc_lo, 1, v2
	v_sub_nc_u32_e32 v2, v8, v17
	v_and_b32_e32 v8, 1, v51
	v_add_co_u32 v15, s0, s20, v17
	v_cndmask_b32_e32 v1, v1, v4, vcc_lo
	v_sub_nc_u32_e32 v4, v45, v6
	v_cmp_eq_u32_e32 vcc_lo, 1, v7
	v_and_b32_sdwa v7, v56, v48 dst_sel:DWORD dst_unused:UNUSED_PAD src0_sel:DWORD src1_sel:WORD_1
	v_lshlrev_b32_e32 v1, 2, v1
	v_add_nc_u32_e32 v4, 6, v4
	v_cndmask_b32_e32 v3, v3, v5, vcc_lo
	v_sub_nc_u32_e32 v5, v45, v2
	v_cmp_eq_u32_e32 vcc_lo, 1, v7
	v_sub_nc_u32_e32 v7, v13, v17
	v_lshlrev_b32_e32 v3, 2, v3
	v_add_nc_u32_e32 v5, 7, v5
	v_cndmask_b32_e32 v4, v4, v6, vcc_lo
	v_cmp_eq_u32_e32 vcc_lo, 1, v8
	v_sub_nc_u32_e32 v6, v9, v17
	ds_write_b32 v1, v24
	ds_write_b32 v3, v25
	v_lshlrev_b32_e32 v3, 2, v4
	v_cndmask_b32_e32 v2, v5, v2, vcc_lo
	v_sub_nc_u32_e32 v1, v45, v6
	v_and_b32_e32 v5, 1, v47
	v_sub_nc_u32_e32 v4, v10, v17
	v_and_b32_e32 v10, 1, v49
	v_lshlrev_b32_e32 v2, 2, v2
	v_add_nc_u32_e32 v1, 8, v1
	ds_write_b32 v3, v22
	ds_write_b32 v2, v23
	v_cmp_eq_u32_e32 vcc_lo, 1, v5
	v_sub_nc_u32_e32 v3, v11, v17
	v_sub_nc_u32_e32 v2, v45, v4
	;; [unrolled: 1-line block ×3, first 2 shown]
	v_and_b32_e32 v11, 1, v46
	v_cndmask_b32_e32 v1, v1, v6, vcc_lo
	v_and_b32_e32 v6, 1, v14
	v_sub_nc_u32_e32 v8, v45, v3
	v_add_nc_u32_e32 v2, 9, v2
	v_sub_nc_u32_e32 v9, v45, v5
	v_lshlrev_b32_e32 v1, 2, v1
	v_cmp_eq_u32_e32 vcc_lo, 1, v6
	v_add_nc_u32_e32 v6, 10, v8
	v_and_b32_sdwa v8, v56, v47 dst_sel:DWORD dst_unused:UNUSED_PAD src0_sel:DWORD src1_sel:WORD_1
	v_add_nc_u32_e32 v9, 11, v9
	v_add_co_ci_u32_e64 v17, null, s21, 0, s0
	v_cndmask_b32_e32 v2, v2, v4, vcc_lo
	v_cmp_eq_u32_e32 vcc_lo, 1, v8
	v_sub_nc_u32_e32 v4, v45, v7
	v_lshlrev_b32_e32 v2, 2, v2
	v_cndmask_b32_e32 v3, v6, v3, vcc_lo
	v_cmp_eq_u32_e32 vcc_lo, 1, v10
	v_add_nc_u32_e32 v4, 12, v4
	v_lshlrev_b32_e32 v3, 2, v3
	v_cndmask_b32_e32 v5, v9, v5, vcc_lo
	v_cmp_eq_u32_e32 vcc_lo, 1, v11
	v_lshlrev_b32_e32 v5, 2, v5
	v_cndmask_b32_e32 v4, v4, v7, vcc_lo
	v_cmp_ne_u32_e32 vcc_lo, 1, v43
	v_lshlrev_b32_e32 v4, 2, v4
	ds_write_b32 v1, v20
	ds_write_b32 v2, v21
	ds_write_b32 v3, v18
	ds_write_b32 v5, v19
	ds_write_b32 v4, v44
	s_waitcnt lgkmcnt(0)
	s_barrier
	buffer_gl0_inv
	ds_read2st64_b32 v[11:12], v42 offset1:4
	ds_read2st64_b32 v[9:10], v42 offset0:8 offset1:12
	ds_read2st64_b32 v[7:8], v42 offset0:16 offset1:20
	;; [unrolled: 1-line block ×5, first 2 shown]
	ds_read_b32 v18, v42 offset:12288
	s_cbranch_vccnz .LBB468_125
; %bb.72:
	s_sub_u32 s0, s18, s26
	v_sub_co_u32 v13, vcc_lo, v15, s16
	s_subb_u32 s1, s19, 0
	v_add_co_u32 v19, s0, s0, v16
	v_subrev_co_ci_u32_e64 v14, null, s17, v17, vcc_lo
	v_add_co_ci_u32_e64 v20, null, s1, 0, s0
	v_add_co_u32 v19, vcc_lo, v19, v13
	s_mov_b32 s0, exec_lo
	v_add_co_ci_u32_e64 v20, null, v20, v14, vcc_lo
                                        ; implicit-def: $vgpr13_vgpr14
	v_cmpx_ge_u32_e64 v0, v16
	s_xor_b32 s0, exec_lo, s0
; %bb.73:
	v_not_b32_e32 v13, v0
	v_ashrrev_i32_e32 v14, 31, v13
	v_add_co_u32 v13, vcc_lo, v19, v13
	v_add_co_ci_u32_e64 v14, null, v20, v14, vcc_lo
; %bb.74:
	s_andn2_saveexec_b32 s0, s0
; %bb.75:
	v_add_co_u32 v13, vcc_lo, v15, v0
	v_add_co_ci_u32_e64 v14, null, 0, v17, vcc_lo
; %bb.76:
	s_or_b32 exec_lo, exec_lo, s0
	v_lshlrev_b64 v[13:14], 2, v[13:14]
	s_mov_b32 s0, exec_lo
	v_add_co_u32 v13, vcc_lo, s14, v13
	v_add_co_ci_u32_e64 v14, null, s15, v14, vcc_lo
	s_waitcnt lgkmcnt(6)
	global_store_dword v[13:14], v11, off
                                        ; implicit-def: $vgpr13_vgpr14
	v_cmpx_ge_u32_e64 v41, v16
	s_xor_b32 s0, exec_lo, s0
; %bb.77:
	v_xor_b32_e32 v13, 0xfffffeff, v0
	v_ashrrev_i32_e32 v14, 31, v13
	v_add_co_u32 v13, vcc_lo, v19, v13
	v_add_co_ci_u32_e64 v14, null, v20, v14, vcc_lo
; %bb.78:
	s_andn2_saveexec_b32 s0, s0
; %bb.79:
	v_add_co_u32 v13, vcc_lo, v15, v41
	v_add_co_ci_u32_e64 v14, null, 0, v17, vcc_lo
; %bb.80:
	s_or_b32 exec_lo, exec_lo, s0
	v_lshlrev_b64 v[13:14], 2, v[13:14]
	s_mov_b32 s0, exec_lo
	v_add_co_u32 v13, vcc_lo, s14, v13
	v_add_co_ci_u32_e64 v14, null, s15, v14, vcc_lo
	global_store_dword v[13:14], v12, off
                                        ; implicit-def: $vgpr13_vgpr14
	v_cmpx_ge_u32_e64 v40, v16
	s_xor_b32 s0, exec_lo, s0
; %bb.81:
	v_xor_b32_e32 v13, 0xfffffdff, v0
	v_ashrrev_i32_e32 v14, 31, v13
	v_add_co_u32 v13, vcc_lo, v19, v13
	v_add_co_ci_u32_e64 v14, null, v20, v14, vcc_lo
; %bb.82:
	s_andn2_saveexec_b32 s0, s0
; %bb.83:
	v_add_co_u32 v13, vcc_lo, v15, v40
	v_add_co_ci_u32_e64 v14, null, 0, v17, vcc_lo
; %bb.84:
	s_or_b32 exec_lo, exec_lo, s0
	v_lshlrev_b64 v[13:14], 2, v[13:14]
	s_mov_b32 s0, exec_lo
	v_add_co_u32 v13, vcc_lo, s14, v13
	v_add_co_ci_u32_e64 v14, null, s15, v14, vcc_lo
	s_waitcnt lgkmcnt(5)
	global_store_dword v[13:14], v9, off
                                        ; implicit-def: $vgpr13_vgpr14
	v_cmpx_ge_u32_e64 v39, v16
	s_xor_b32 s0, exec_lo, s0
; %bb.85:
	v_xor_b32_e32 v13, 0xfffffcff, v0
	v_ashrrev_i32_e32 v14, 31, v13
	v_add_co_u32 v13, vcc_lo, v19, v13
	v_add_co_ci_u32_e64 v14, null, v20, v14, vcc_lo
; %bb.86:
	s_andn2_saveexec_b32 s0, s0
; %bb.87:
	v_add_co_u32 v13, vcc_lo, v15, v39
	v_add_co_ci_u32_e64 v14, null, 0, v17, vcc_lo
; %bb.88:
	s_or_b32 exec_lo, exec_lo, s0
	v_lshlrev_b64 v[13:14], 2, v[13:14]
	s_mov_b32 s0, exec_lo
	v_add_co_u32 v13, vcc_lo, s14, v13
	v_add_co_ci_u32_e64 v14, null, s15, v14, vcc_lo
	global_store_dword v[13:14], v10, off
                                        ; implicit-def: $vgpr13_vgpr14
	v_cmpx_ge_u32_e64 v38, v16
	s_xor_b32 s0, exec_lo, s0
; %bb.89:
	v_xor_b32_e32 v13, 0xfffffbff, v0
	;; [unrolled: 41-line block ×6, first 2 shown]
	v_ashrrev_i32_e32 v14, 31, v13
	v_add_co_u32 v13, vcc_lo, v19, v13
	v_add_co_ci_u32_e64 v14, null, v20, v14, vcc_lo
; %bb.122:
	s_andn2_saveexec_b32 s0, s0
; %bb.123:
	v_add_co_u32 v13, vcc_lo, v15, v30
	v_add_co_ci_u32_e64 v14, null, 0, v17, vcc_lo
; %bb.124:
	s_or_b32 exec_lo, exec_lo, s0
	s_mov_b32 s0, -1
	s_branch .LBB468_205
.LBB468_125:
	s_mov_b32 s0, 0
                                        ; implicit-def: $vgpr13_vgpr14
	s_cbranch_execz .LBB468_205
; %bb.126:
	s_add_u32 s1, s16, s26
	s_addc_u32 s2, s17, 0
	s_sub_u32 s1, s18, s1
	s_subb_u32 s2, s19, s2
	v_add_co_u32 v13, s1, s1, v16
	v_add_co_ci_u32_e64 v14, null, s2, 0, s1
	s_mov_b32 s1, exec_lo
	v_add_co_u32 v19, vcc_lo, v13, v15
	v_add_co_ci_u32_e64 v20, null, v14, v17, vcc_lo
	v_cmpx_gt_u32_e64 s25, v0
	s_cbranch_execz .LBB468_162
; %bb.127:
	s_mov_b32 s2, exec_lo
                                        ; implicit-def: $vgpr13_vgpr14
	v_cmpx_ge_u32_e64 v0, v16
	s_xor_b32 s2, exec_lo, s2
; %bb.128:
	v_not_b32_e32 v13, v0
	v_ashrrev_i32_e32 v14, 31, v13
	v_add_co_u32 v13, vcc_lo, v19, v13
	v_add_co_ci_u32_e64 v14, null, v20, v14, vcc_lo
; %bb.129:
	s_andn2_saveexec_b32 s2, s2
; %bb.130:
	v_add_co_u32 v13, vcc_lo, v15, v0
	v_add_co_ci_u32_e64 v14, null, 0, v17, vcc_lo
; %bb.131:
	s_or_b32 exec_lo, exec_lo, s2
	v_lshlrev_b64 v[13:14], 2, v[13:14]
	v_add_co_u32 v13, vcc_lo, s14, v13
	v_add_co_ci_u32_e64 v14, null, s15, v14, vcc_lo
	s_waitcnt lgkmcnt(6)
	global_store_dword v[13:14], v11, off
	s_or_b32 exec_lo, exec_lo, s1
	s_mov_b32 s1, exec_lo
	v_cmpx_gt_u32_e64 s25, v41
	s_cbranch_execnz .LBB468_163
.LBB468_132:
	s_or_b32 exec_lo, exec_lo, s1
	s_mov_b32 s1, exec_lo
	v_cmpx_gt_u32_e64 s25, v40
	s_cbranch_execz .LBB468_168
.LBB468_133:
	s_mov_b32 s2, exec_lo
                                        ; implicit-def: $vgpr11_vgpr12
	v_cmpx_ge_u32_e64 v40, v16
	s_xor_b32 s2, exec_lo, s2
	s_cbranch_execz .LBB468_135
; %bb.134:
	s_waitcnt lgkmcnt(6)
	v_xor_b32_e32 v11, 0xfffffdff, v0
                                        ; implicit-def: $vgpr40
	v_ashrrev_i32_e32 v12, 31, v11
	v_add_co_u32 v11, vcc_lo, v19, v11
	v_add_co_ci_u32_e64 v12, null, v20, v12, vcc_lo
.LBB468_135:
	s_andn2_saveexec_b32 s2, s2
	s_cbranch_execz .LBB468_137
; %bb.136:
	s_waitcnt lgkmcnt(6)
	v_add_co_u32 v11, vcc_lo, v15, v40
	v_add_co_ci_u32_e64 v12, null, 0, v17, vcc_lo
.LBB468_137:
	s_or_b32 exec_lo, exec_lo, s2
	s_waitcnt lgkmcnt(6)
	v_lshlrev_b64 v[11:12], 2, v[11:12]
	v_add_co_u32 v11, vcc_lo, s14, v11
	v_add_co_ci_u32_e64 v12, null, s15, v12, vcc_lo
	s_waitcnt lgkmcnt(5)
	global_store_dword v[11:12], v9, off
	s_or_b32 exec_lo, exec_lo, s1
	s_mov_b32 s1, exec_lo
	v_cmpx_gt_u32_e64 s25, v39
	s_cbranch_execnz .LBB468_169
.LBB468_138:
	s_or_b32 exec_lo, exec_lo, s1
	s_mov_b32 s1, exec_lo
	v_cmpx_gt_u32_e64 s25, v38
	s_cbranch_execz .LBB468_174
.LBB468_139:
	s_mov_b32 s2, exec_lo
                                        ; implicit-def: $vgpr9_vgpr10
	v_cmpx_ge_u32_e64 v38, v16
	s_xor_b32 s2, exec_lo, s2
	s_cbranch_execz .LBB468_141
; %bb.140:
	s_waitcnt lgkmcnt(5)
	v_xor_b32_e32 v9, 0xfffffbff, v0
                                        ; implicit-def: $vgpr38
	v_ashrrev_i32_e32 v10, 31, v9
	v_add_co_u32 v9, vcc_lo, v19, v9
	v_add_co_ci_u32_e64 v10, null, v20, v10, vcc_lo
.LBB468_141:
	s_andn2_saveexec_b32 s2, s2
	s_cbranch_execz .LBB468_143
; %bb.142:
	s_waitcnt lgkmcnt(5)
	v_add_co_u32 v9, vcc_lo, v15, v38
	v_add_co_ci_u32_e64 v10, null, 0, v17, vcc_lo
.LBB468_143:
	s_or_b32 exec_lo, exec_lo, s2
	s_waitcnt lgkmcnt(5)
	v_lshlrev_b64 v[9:10], 2, v[9:10]
	v_add_co_u32 v9, vcc_lo, s14, v9
	v_add_co_ci_u32_e64 v10, null, s15, v10, vcc_lo
	s_waitcnt lgkmcnt(4)
	global_store_dword v[9:10], v7, off
	s_or_b32 exec_lo, exec_lo, s1
	s_mov_b32 s1, exec_lo
	v_cmpx_gt_u32_e64 s25, v37
	s_cbranch_execnz .LBB468_175
.LBB468_144:
	s_or_b32 exec_lo, exec_lo, s1
	s_mov_b32 s1, exec_lo
	v_cmpx_gt_u32_e64 s25, v36
	s_cbranch_execz .LBB468_180
.LBB468_145:
	s_mov_b32 s2, exec_lo
                                        ; implicit-def: $vgpr7_vgpr8
	v_cmpx_ge_u32_e64 v36, v16
	s_xor_b32 s2, exec_lo, s2
	s_cbranch_execz .LBB468_147
; %bb.146:
	s_waitcnt lgkmcnt(4)
	v_xor_b32_e32 v7, 0xfffff9ff, v0
                                        ; implicit-def: $vgpr36
	v_ashrrev_i32_e32 v8, 31, v7
	v_add_co_u32 v7, vcc_lo, v19, v7
	v_add_co_ci_u32_e64 v8, null, v20, v8, vcc_lo
.LBB468_147:
	s_andn2_saveexec_b32 s2, s2
	s_cbranch_execz .LBB468_149
; %bb.148:
	s_waitcnt lgkmcnt(4)
	v_add_co_u32 v7, vcc_lo, v15, v36
	v_add_co_ci_u32_e64 v8, null, 0, v17, vcc_lo
.LBB468_149:
	s_or_b32 exec_lo, exec_lo, s2
	s_waitcnt lgkmcnt(4)
	v_lshlrev_b64 v[7:8], 2, v[7:8]
	v_add_co_u32 v7, vcc_lo, s14, v7
	v_add_co_ci_u32_e64 v8, null, s15, v8, vcc_lo
	s_waitcnt lgkmcnt(3)
	global_store_dword v[7:8], v5, off
	s_or_b32 exec_lo, exec_lo, s1
	s_mov_b32 s1, exec_lo
	v_cmpx_gt_u32_e64 s25, v35
	s_cbranch_execnz .LBB468_181
.LBB468_150:
	s_or_b32 exec_lo, exec_lo, s1
	s_mov_b32 s1, exec_lo
	v_cmpx_gt_u32_e64 s25, v34
	s_cbranch_execz .LBB468_186
.LBB468_151:
	s_mov_b32 s2, exec_lo
                                        ; implicit-def: $vgpr5_vgpr6
	v_cmpx_ge_u32_e64 v34, v16
	s_xor_b32 s2, exec_lo, s2
	s_cbranch_execz .LBB468_153
; %bb.152:
	s_waitcnt lgkmcnt(3)
	v_xor_b32_e32 v5, 0xfffff7ff, v0
                                        ; implicit-def: $vgpr34
	v_ashrrev_i32_e32 v6, 31, v5
	v_add_co_u32 v5, vcc_lo, v19, v5
	v_add_co_ci_u32_e64 v6, null, v20, v6, vcc_lo
.LBB468_153:
	s_andn2_saveexec_b32 s2, s2
	s_cbranch_execz .LBB468_155
; %bb.154:
	s_waitcnt lgkmcnt(3)
	v_add_co_u32 v5, vcc_lo, v15, v34
	v_add_co_ci_u32_e64 v6, null, 0, v17, vcc_lo
.LBB468_155:
	s_or_b32 exec_lo, exec_lo, s2
	s_waitcnt lgkmcnt(3)
	v_lshlrev_b64 v[5:6], 2, v[5:6]
	v_add_co_u32 v5, vcc_lo, s14, v5
	v_add_co_ci_u32_e64 v6, null, s15, v6, vcc_lo
	s_waitcnt lgkmcnt(2)
	global_store_dword v[5:6], v3, off
	s_or_b32 exec_lo, exec_lo, s1
	s_mov_b32 s1, exec_lo
	v_cmpx_gt_u32_e64 s25, v33
	s_cbranch_execnz .LBB468_187
.LBB468_156:
	s_or_b32 exec_lo, exec_lo, s1
	s_mov_b32 s1, exec_lo
	v_cmpx_gt_u32_e64 s25, v32
	s_cbranch_execz .LBB468_192
.LBB468_157:
	s_mov_b32 s2, exec_lo
                                        ; implicit-def: $vgpr3_vgpr4
	v_cmpx_ge_u32_e64 v32, v16
	s_xor_b32 s2, exec_lo, s2
	s_cbranch_execz .LBB468_159
; %bb.158:
	s_waitcnt lgkmcnt(2)
	v_xor_b32_e32 v3, 0xfffff5ff, v0
                                        ; implicit-def: $vgpr32
	v_ashrrev_i32_e32 v4, 31, v3
	v_add_co_u32 v3, vcc_lo, v19, v3
	v_add_co_ci_u32_e64 v4, null, v20, v4, vcc_lo
.LBB468_159:
	s_andn2_saveexec_b32 s2, s2
	s_cbranch_execz .LBB468_161
; %bb.160:
	s_waitcnt lgkmcnt(2)
	v_add_co_u32 v3, vcc_lo, v15, v32
	v_add_co_ci_u32_e64 v4, null, 0, v17, vcc_lo
.LBB468_161:
	s_or_b32 exec_lo, exec_lo, s2
	s_waitcnt lgkmcnt(2)
	v_lshlrev_b64 v[3:4], 2, v[3:4]
	v_add_co_u32 v3, vcc_lo, s14, v3
	v_add_co_ci_u32_e64 v4, null, s15, v4, vcc_lo
	s_waitcnt lgkmcnt(1)
	global_store_dword v[3:4], v1, off
	s_or_b32 exec_lo, exec_lo, s1
	s_mov_b32 s1, exec_lo
	v_cmpx_gt_u32_e64 s25, v31
	s_cbranch_execz .LBB468_198
	s_branch .LBB468_193
.LBB468_162:
	s_or_b32 exec_lo, exec_lo, s1
	s_mov_b32 s1, exec_lo
	v_cmpx_gt_u32_e64 s25, v41
	s_cbranch_execz .LBB468_132
.LBB468_163:
	s_mov_b32 s2, exec_lo
                                        ; implicit-def: $vgpr13_vgpr14
	v_cmpx_ge_u32_e64 v41, v16
	s_xor_b32 s2, exec_lo, s2
	s_cbranch_execz .LBB468_165
; %bb.164:
	s_waitcnt lgkmcnt(6)
	v_xor_b32_e32 v11, 0xfffffeff, v0
                                        ; implicit-def: $vgpr41
	v_ashrrev_i32_e32 v14, 31, v11
	v_add_co_u32 v13, vcc_lo, v19, v11
	v_add_co_ci_u32_e64 v14, null, v20, v14, vcc_lo
.LBB468_165:
	s_andn2_saveexec_b32 s2, s2
; %bb.166:
	v_add_co_u32 v13, vcc_lo, v15, v41
	v_add_co_ci_u32_e64 v14, null, 0, v17, vcc_lo
; %bb.167:
	s_or_b32 exec_lo, exec_lo, s2
	v_lshlrev_b64 v[13:14], 2, v[13:14]
	v_add_co_u32 v13, vcc_lo, s14, v13
	v_add_co_ci_u32_e64 v14, null, s15, v14, vcc_lo
	s_waitcnt lgkmcnt(6)
	global_store_dword v[13:14], v12, off
	s_or_b32 exec_lo, exec_lo, s1
	s_mov_b32 s1, exec_lo
	v_cmpx_gt_u32_e64 s25, v40
	s_cbranch_execnz .LBB468_133
.LBB468_168:
	s_or_b32 exec_lo, exec_lo, s1
	s_mov_b32 s1, exec_lo
	v_cmpx_gt_u32_e64 s25, v39
	s_cbranch_execz .LBB468_138
.LBB468_169:
	s_mov_b32 s2, exec_lo
                                        ; implicit-def: $vgpr11_vgpr12
	v_cmpx_ge_u32_e64 v39, v16
	s_xor_b32 s2, exec_lo, s2
	s_cbranch_execz .LBB468_171
; %bb.170:
	s_waitcnt lgkmcnt(5)
	v_xor_b32_e32 v9, 0xfffffcff, v0
                                        ; implicit-def: $vgpr39
	v_ashrrev_i32_e32 v12, 31, v9
	v_add_co_u32 v11, vcc_lo, v19, v9
	v_add_co_ci_u32_e64 v12, null, v20, v12, vcc_lo
.LBB468_171:
	s_andn2_saveexec_b32 s2, s2
	s_cbranch_execz .LBB468_173
; %bb.172:
	s_waitcnt lgkmcnt(6)
	v_add_co_u32 v11, vcc_lo, v15, v39
	v_add_co_ci_u32_e64 v12, null, 0, v17, vcc_lo
.LBB468_173:
	s_or_b32 exec_lo, exec_lo, s2
	s_waitcnt lgkmcnt(6)
	v_lshlrev_b64 v[11:12], 2, v[11:12]
	v_add_co_u32 v11, vcc_lo, s14, v11
	v_add_co_ci_u32_e64 v12, null, s15, v12, vcc_lo
	s_waitcnt lgkmcnt(5)
	global_store_dword v[11:12], v10, off
	s_or_b32 exec_lo, exec_lo, s1
	s_mov_b32 s1, exec_lo
	v_cmpx_gt_u32_e64 s25, v38
	s_cbranch_execnz .LBB468_139
.LBB468_174:
	s_or_b32 exec_lo, exec_lo, s1
	s_mov_b32 s1, exec_lo
	v_cmpx_gt_u32_e64 s25, v37
	s_cbranch_execz .LBB468_144
.LBB468_175:
	s_mov_b32 s2, exec_lo
                                        ; implicit-def: $vgpr9_vgpr10
	v_cmpx_ge_u32_e64 v37, v16
	s_xor_b32 s2, exec_lo, s2
	s_cbranch_execz .LBB468_177
; %bb.176:
	s_waitcnt lgkmcnt(4)
	v_xor_b32_e32 v7, 0xfffffaff, v0
                                        ; implicit-def: $vgpr37
	v_ashrrev_i32_e32 v10, 31, v7
	v_add_co_u32 v9, vcc_lo, v19, v7
	v_add_co_ci_u32_e64 v10, null, v20, v10, vcc_lo
.LBB468_177:
	s_andn2_saveexec_b32 s2, s2
	s_cbranch_execz .LBB468_179
; %bb.178:
	s_waitcnt lgkmcnt(5)
	v_add_co_u32 v9, vcc_lo, v15, v37
	v_add_co_ci_u32_e64 v10, null, 0, v17, vcc_lo
.LBB468_179:
	s_or_b32 exec_lo, exec_lo, s2
	s_waitcnt lgkmcnt(5)
	v_lshlrev_b64 v[9:10], 2, v[9:10]
	v_add_co_u32 v9, vcc_lo, s14, v9
	v_add_co_ci_u32_e64 v10, null, s15, v10, vcc_lo
	s_waitcnt lgkmcnt(4)
	global_store_dword v[9:10], v8, off
	s_or_b32 exec_lo, exec_lo, s1
	s_mov_b32 s1, exec_lo
	v_cmpx_gt_u32_e64 s25, v36
	s_cbranch_execnz .LBB468_145
.LBB468_180:
	s_or_b32 exec_lo, exec_lo, s1
	s_mov_b32 s1, exec_lo
	v_cmpx_gt_u32_e64 s25, v35
	s_cbranch_execz .LBB468_150
.LBB468_181:
	s_mov_b32 s2, exec_lo
                                        ; implicit-def: $vgpr7_vgpr8
	v_cmpx_ge_u32_e64 v35, v16
	s_xor_b32 s2, exec_lo, s2
	s_cbranch_execz .LBB468_183
; %bb.182:
	s_waitcnt lgkmcnt(3)
	v_xor_b32_e32 v5, 0xfffff8ff, v0
                                        ; implicit-def: $vgpr35
	v_ashrrev_i32_e32 v8, 31, v5
	v_add_co_u32 v7, vcc_lo, v19, v5
	v_add_co_ci_u32_e64 v8, null, v20, v8, vcc_lo
.LBB468_183:
	s_andn2_saveexec_b32 s2, s2
	s_cbranch_execz .LBB468_185
; %bb.184:
	s_waitcnt lgkmcnt(4)
	v_add_co_u32 v7, vcc_lo, v15, v35
	v_add_co_ci_u32_e64 v8, null, 0, v17, vcc_lo
.LBB468_185:
	s_or_b32 exec_lo, exec_lo, s2
	s_waitcnt lgkmcnt(4)
	v_lshlrev_b64 v[7:8], 2, v[7:8]
	v_add_co_u32 v7, vcc_lo, s14, v7
	v_add_co_ci_u32_e64 v8, null, s15, v8, vcc_lo
	s_waitcnt lgkmcnt(3)
	global_store_dword v[7:8], v6, off
	s_or_b32 exec_lo, exec_lo, s1
	s_mov_b32 s1, exec_lo
	v_cmpx_gt_u32_e64 s25, v34
	s_cbranch_execnz .LBB468_151
.LBB468_186:
	s_or_b32 exec_lo, exec_lo, s1
	s_mov_b32 s1, exec_lo
	v_cmpx_gt_u32_e64 s25, v33
	s_cbranch_execz .LBB468_156
.LBB468_187:
	s_mov_b32 s2, exec_lo
                                        ; implicit-def: $vgpr5_vgpr6
	v_cmpx_ge_u32_e64 v33, v16
	s_xor_b32 s2, exec_lo, s2
	s_cbranch_execz .LBB468_189
; %bb.188:
	s_waitcnt lgkmcnt(2)
	v_xor_b32_e32 v3, 0xfffff6ff, v0
                                        ; implicit-def: $vgpr33
	v_ashrrev_i32_e32 v6, 31, v3
	v_add_co_u32 v5, vcc_lo, v19, v3
	v_add_co_ci_u32_e64 v6, null, v20, v6, vcc_lo
.LBB468_189:
	s_andn2_saveexec_b32 s2, s2
	s_cbranch_execz .LBB468_191
; %bb.190:
	s_waitcnt lgkmcnt(3)
	v_add_co_u32 v5, vcc_lo, v15, v33
	v_add_co_ci_u32_e64 v6, null, 0, v17, vcc_lo
.LBB468_191:
	s_or_b32 exec_lo, exec_lo, s2
	s_waitcnt lgkmcnt(3)
	v_lshlrev_b64 v[5:6], 2, v[5:6]
	v_add_co_u32 v5, vcc_lo, s14, v5
	v_add_co_ci_u32_e64 v6, null, s15, v6, vcc_lo
	s_waitcnt lgkmcnt(2)
	global_store_dword v[5:6], v4, off
	s_or_b32 exec_lo, exec_lo, s1
	s_mov_b32 s1, exec_lo
	v_cmpx_gt_u32_e64 s25, v32
	s_cbranch_execnz .LBB468_157
.LBB468_192:
	s_or_b32 exec_lo, exec_lo, s1
	s_mov_b32 s1, exec_lo
	v_cmpx_gt_u32_e64 s25, v31
	s_cbranch_execz .LBB468_198
.LBB468_193:
	s_mov_b32 s2, exec_lo
                                        ; implicit-def: $vgpr3_vgpr4
	v_cmpx_ge_u32_e64 v31, v16
	s_xor_b32 s2, exec_lo, s2
	s_cbranch_execz .LBB468_195
; %bb.194:
	s_waitcnt lgkmcnt(1)
	v_xor_b32_e32 v1, 0xfffff4ff, v0
                                        ; implicit-def: $vgpr31
	v_ashrrev_i32_e32 v4, 31, v1
	v_add_co_u32 v3, vcc_lo, v19, v1
	v_add_co_ci_u32_e64 v4, null, v20, v4, vcc_lo
.LBB468_195:
	s_andn2_saveexec_b32 s2, s2
	s_cbranch_execz .LBB468_197
; %bb.196:
	s_waitcnt lgkmcnt(2)
	v_add_co_u32 v3, vcc_lo, v15, v31
	v_add_co_ci_u32_e64 v4, null, 0, v17, vcc_lo
.LBB468_197:
	s_or_b32 exec_lo, exec_lo, s2
	s_waitcnt lgkmcnt(2)
	v_lshlrev_b64 v[3:4], 2, v[3:4]
	v_add_co_u32 v3, vcc_lo, s14, v3
	v_add_co_ci_u32_e64 v4, null, s15, v4, vcc_lo
	s_waitcnt lgkmcnt(1)
	global_store_dword v[3:4], v2, off
.LBB468_198:
	s_or_b32 exec_lo, exec_lo, s1
	s_mov_b32 s1, exec_lo
                                        ; implicit-def: $vgpr13_vgpr14
	v_cmpx_gt_u32_e64 s25, v30
	s_cbranch_execz .LBB468_204
; %bb.199:
	s_mov_b32 s2, exec_lo
                                        ; implicit-def: $vgpr13_vgpr14
	v_cmpx_ge_u32_e64 v30, v16
	s_xor_b32 s2, exec_lo, s2
	s_cbranch_execz .LBB468_201
; %bb.200:
	s_waitcnt lgkmcnt(1)
	v_xor_b32_e32 v1, 0xfffff3ff, v0
                                        ; implicit-def: $vgpr30
	v_ashrrev_i32_e32 v2, 31, v1
	v_add_co_u32 v13, vcc_lo, v19, v1
	v_add_co_ci_u32_e64 v14, null, v20, v2, vcc_lo
.LBB468_201:
	s_andn2_saveexec_b32 s2, s2
; %bb.202:
	v_add_co_u32 v13, vcc_lo, v15, v30
	v_add_co_ci_u32_e64 v14, null, 0, v17, vcc_lo
; %bb.203:
	s_or_b32 exec_lo, exec_lo, s2
	s_or_b32 s0, s0, exec_lo
.LBB468_204:
	s_or_b32 exec_lo, exec_lo, s1
.LBB468_205:
	s_and_saveexec_b32 s1, s0
	s_cbranch_execz .LBB468_207
; %bb.206:
	s_waitcnt lgkmcnt(1)
	v_lshlrev_b64 v[1:2], 2, v[13:14]
	v_add_co_u32 v1, vcc_lo, s14, v1
	v_add_co_ci_u32_e64 v2, null, s15, v2, vcc_lo
	s_waitcnt lgkmcnt(0)
	global_store_dword v[1:2], v18, off
.LBB468_207:
	s_or_b32 exec_lo, exec_lo, s1
	v_cmp_eq_u32_e32 vcc_lo, 0, v0
	s_and_b32 s0, vcc_lo, s24
	s_and_saveexec_b32 s1, s0
	s_cbranch_execz .LBB468_209
; %bb.208:
	v_add_co_u32 v0, vcc_lo, v15, v16
	s_waitcnt lgkmcnt(1)
	v_mov_b32_e32 v2, 0
	v_add_co_ci_u32_e64 v1, null, 0, v17, vcc_lo
	global_store_dwordx2 v2, v[0:1], s[12:13]
.LBB468_209:
	s_endpgm
	.section	.rodata,"a",@progbits
	.p2align	6, 0x0
	.amdhsa_kernel _ZN7rocprim17ROCPRIM_400000_NS6detail17trampoline_kernelINS0_13select_configILj256ELj13ELNS0_17block_load_methodE3ELS4_3ELS4_3ELNS0_20block_scan_algorithmE0ELj4294967295EEENS1_25partition_config_selectorILNS1_17partition_subalgoE3EjNS0_10empty_typeEbEEZZNS1_14partition_implILS8_3ELb0ES6_jNS0_17counting_iteratorIjlEEPS9_SE_NS0_5tupleIJPjSE_EEENSF_IJSE_SE_EEES9_SG_JZNS1_25segmented_radix_sort_implINS0_14default_configELb1EPKiPiPKlPlN2at6native12_GLOBAL__N_18offset_tEEE10hipError_tPvRmT1_PNSt15iterator_traitsISY_E10value_typeET2_T3_PNSZ_IS14_E10value_typeET4_jRbjT5_S1A_jjP12ihipStream_tbEUljE_EEESV_SW_SX_S14_S18_S1A_T6_T7_T9_mT8_S1C_bDpT10_ENKUlT_T0_E_clISt17integral_constantIbLb0EES1P_EEDaS1K_S1L_EUlS1K_E_NS1_11comp_targetILNS1_3genE8ELNS1_11target_archE1030ELNS1_3gpuE2ELNS1_3repE0EEENS1_30default_config_static_selectorELNS0_4arch9wavefront6targetE0EEEvSY_
		.amdhsa_group_segment_fixed_size 13320
		.amdhsa_private_segment_fixed_size 0
		.amdhsa_kernarg_size 144
		.amdhsa_user_sgpr_count 6
		.amdhsa_user_sgpr_private_segment_buffer 1
		.amdhsa_user_sgpr_dispatch_ptr 0
		.amdhsa_user_sgpr_queue_ptr 0
		.amdhsa_user_sgpr_kernarg_segment_ptr 1
		.amdhsa_user_sgpr_dispatch_id 0
		.amdhsa_user_sgpr_flat_scratch_init 0
		.amdhsa_user_sgpr_private_segment_size 0
		.amdhsa_wavefront_size32 1
		.amdhsa_uses_dynamic_stack 0
		.amdhsa_system_sgpr_private_segment_wavefront_offset 0
		.amdhsa_system_sgpr_workgroup_id_x 1
		.amdhsa_system_sgpr_workgroup_id_y 0
		.amdhsa_system_sgpr_workgroup_id_z 0
		.amdhsa_system_sgpr_workgroup_info 0
		.amdhsa_system_vgpr_workitem_id 0
		.amdhsa_next_free_vgpr 69
		.amdhsa_next_free_sgpr 27
		.amdhsa_reserve_vcc 1
		.amdhsa_reserve_flat_scratch 0
		.amdhsa_float_round_mode_32 0
		.amdhsa_float_round_mode_16_64 0
		.amdhsa_float_denorm_mode_32 3
		.amdhsa_float_denorm_mode_16_64 3
		.amdhsa_dx10_clamp 1
		.amdhsa_ieee_mode 1
		.amdhsa_fp16_overflow 0
		.amdhsa_workgroup_processor_mode 1
		.amdhsa_memory_ordered 1
		.amdhsa_forward_progress 1
		.amdhsa_shared_vgpr_count 0
		.amdhsa_exception_fp_ieee_invalid_op 0
		.amdhsa_exception_fp_denorm_src 0
		.amdhsa_exception_fp_ieee_div_zero 0
		.amdhsa_exception_fp_ieee_overflow 0
		.amdhsa_exception_fp_ieee_underflow 0
		.amdhsa_exception_fp_ieee_inexact 0
		.amdhsa_exception_int_div_zero 0
	.end_amdhsa_kernel
	.section	.text._ZN7rocprim17ROCPRIM_400000_NS6detail17trampoline_kernelINS0_13select_configILj256ELj13ELNS0_17block_load_methodE3ELS4_3ELS4_3ELNS0_20block_scan_algorithmE0ELj4294967295EEENS1_25partition_config_selectorILNS1_17partition_subalgoE3EjNS0_10empty_typeEbEEZZNS1_14partition_implILS8_3ELb0ES6_jNS0_17counting_iteratorIjlEEPS9_SE_NS0_5tupleIJPjSE_EEENSF_IJSE_SE_EEES9_SG_JZNS1_25segmented_radix_sort_implINS0_14default_configELb1EPKiPiPKlPlN2at6native12_GLOBAL__N_18offset_tEEE10hipError_tPvRmT1_PNSt15iterator_traitsISY_E10value_typeET2_T3_PNSZ_IS14_E10value_typeET4_jRbjT5_S1A_jjP12ihipStream_tbEUljE_EEESV_SW_SX_S14_S18_S1A_T6_T7_T9_mT8_S1C_bDpT10_ENKUlT_T0_E_clISt17integral_constantIbLb0EES1P_EEDaS1K_S1L_EUlS1K_E_NS1_11comp_targetILNS1_3genE8ELNS1_11target_archE1030ELNS1_3gpuE2ELNS1_3repE0EEENS1_30default_config_static_selectorELNS0_4arch9wavefront6targetE0EEEvSY_,"axG",@progbits,_ZN7rocprim17ROCPRIM_400000_NS6detail17trampoline_kernelINS0_13select_configILj256ELj13ELNS0_17block_load_methodE3ELS4_3ELS4_3ELNS0_20block_scan_algorithmE0ELj4294967295EEENS1_25partition_config_selectorILNS1_17partition_subalgoE3EjNS0_10empty_typeEbEEZZNS1_14partition_implILS8_3ELb0ES6_jNS0_17counting_iteratorIjlEEPS9_SE_NS0_5tupleIJPjSE_EEENSF_IJSE_SE_EEES9_SG_JZNS1_25segmented_radix_sort_implINS0_14default_configELb1EPKiPiPKlPlN2at6native12_GLOBAL__N_18offset_tEEE10hipError_tPvRmT1_PNSt15iterator_traitsISY_E10value_typeET2_T3_PNSZ_IS14_E10value_typeET4_jRbjT5_S1A_jjP12ihipStream_tbEUljE_EEESV_SW_SX_S14_S18_S1A_T6_T7_T9_mT8_S1C_bDpT10_ENKUlT_T0_E_clISt17integral_constantIbLb0EES1P_EEDaS1K_S1L_EUlS1K_E_NS1_11comp_targetILNS1_3genE8ELNS1_11target_archE1030ELNS1_3gpuE2ELNS1_3repE0EEENS1_30default_config_static_selectorELNS0_4arch9wavefront6targetE0EEEvSY_,comdat
.Lfunc_end468:
	.size	_ZN7rocprim17ROCPRIM_400000_NS6detail17trampoline_kernelINS0_13select_configILj256ELj13ELNS0_17block_load_methodE3ELS4_3ELS4_3ELNS0_20block_scan_algorithmE0ELj4294967295EEENS1_25partition_config_selectorILNS1_17partition_subalgoE3EjNS0_10empty_typeEbEEZZNS1_14partition_implILS8_3ELb0ES6_jNS0_17counting_iteratorIjlEEPS9_SE_NS0_5tupleIJPjSE_EEENSF_IJSE_SE_EEES9_SG_JZNS1_25segmented_radix_sort_implINS0_14default_configELb1EPKiPiPKlPlN2at6native12_GLOBAL__N_18offset_tEEE10hipError_tPvRmT1_PNSt15iterator_traitsISY_E10value_typeET2_T3_PNSZ_IS14_E10value_typeET4_jRbjT5_S1A_jjP12ihipStream_tbEUljE_EEESV_SW_SX_S14_S18_S1A_T6_T7_T9_mT8_S1C_bDpT10_ENKUlT_T0_E_clISt17integral_constantIbLb0EES1P_EEDaS1K_S1L_EUlS1K_E_NS1_11comp_targetILNS1_3genE8ELNS1_11target_archE1030ELNS1_3gpuE2ELNS1_3repE0EEENS1_30default_config_static_selectorELNS0_4arch9wavefront6targetE0EEEvSY_, .Lfunc_end468-_ZN7rocprim17ROCPRIM_400000_NS6detail17trampoline_kernelINS0_13select_configILj256ELj13ELNS0_17block_load_methodE3ELS4_3ELS4_3ELNS0_20block_scan_algorithmE0ELj4294967295EEENS1_25partition_config_selectorILNS1_17partition_subalgoE3EjNS0_10empty_typeEbEEZZNS1_14partition_implILS8_3ELb0ES6_jNS0_17counting_iteratorIjlEEPS9_SE_NS0_5tupleIJPjSE_EEENSF_IJSE_SE_EEES9_SG_JZNS1_25segmented_radix_sort_implINS0_14default_configELb1EPKiPiPKlPlN2at6native12_GLOBAL__N_18offset_tEEE10hipError_tPvRmT1_PNSt15iterator_traitsISY_E10value_typeET2_T3_PNSZ_IS14_E10value_typeET4_jRbjT5_S1A_jjP12ihipStream_tbEUljE_EEESV_SW_SX_S14_S18_S1A_T6_T7_T9_mT8_S1C_bDpT10_ENKUlT_T0_E_clISt17integral_constantIbLb0EES1P_EEDaS1K_S1L_EUlS1K_E_NS1_11comp_targetILNS1_3genE8ELNS1_11target_archE1030ELNS1_3gpuE2ELNS1_3repE0EEENS1_30default_config_static_selectorELNS0_4arch9wavefront6targetE0EEEvSY_
                                        ; -- End function
	.set _ZN7rocprim17ROCPRIM_400000_NS6detail17trampoline_kernelINS0_13select_configILj256ELj13ELNS0_17block_load_methodE3ELS4_3ELS4_3ELNS0_20block_scan_algorithmE0ELj4294967295EEENS1_25partition_config_selectorILNS1_17partition_subalgoE3EjNS0_10empty_typeEbEEZZNS1_14partition_implILS8_3ELb0ES6_jNS0_17counting_iteratorIjlEEPS9_SE_NS0_5tupleIJPjSE_EEENSF_IJSE_SE_EEES9_SG_JZNS1_25segmented_radix_sort_implINS0_14default_configELb1EPKiPiPKlPlN2at6native12_GLOBAL__N_18offset_tEEE10hipError_tPvRmT1_PNSt15iterator_traitsISY_E10value_typeET2_T3_PNSZ_IS14_E10value_typeET4_jRbjT5_S1A_jjP12ihipStream_tbEUljE_EEESV_SW_SX_S14_S18_S1A_T6_T7_T9_mT8_S1C_bDpT10_ENKUlT_T0_E_clISt17integral_constantIbLb0EES1P_EEDaS1K_S1L_EUlS1K_E_NS1_11comp_targetILNS1_3genE8ELNS1_11target_archE1030ELNS1_3gpuE2ELNS1_3repE0EEENS1_30default_config_static_selectorELNS0_4arch9wavefront6targetE0EEEvSY_.num_vgpr, 69
	.set _ZN7rocprim17ROCPRIM_400000_NS6detail17trampoline_kernelINS0_13select_configILj256ELj13ELNS0_17block_load_methodE3ELS4_3ELS4_3ELNS0_20block_scan_algorithmE0ELj4294967295EEENS1_25partition_config_selectorILNS1_17partition_subalgoE3EjNS0_10empty_typeEbEEZZNS1_14partition_implILS8_3ELb0ES6_jNS0_17counting_iteratorIjlEEPS9_SE_NS0_5tupleIJPjSE_EEENSF_IJSE_SE_EEES9_SG_JZNS1_25segmented_radix_sort_implINS0_14default_configELb1EPKiPiPKlPlN2at6native12_GLOBAL__N_18offset_tEEE10hipError_tPvRmT1_PNSt15iterator_traitsISY_E10value_typeET2_T3_PNSZ_IS14_E10value_typeET4_jRbjT5_S1A_jjP12ihipStream_tbEUljE_EEESV_SW_SX_S14_S18_S1A_T6_T7_T9_mT8_S1C_bDpT10_ENKUlT_T0_E_clISt17integral_constantIbLb0EES1P_EEDaS1K_S1L_EUlS1K_E_NS1_11comp_targetILNS1_3genE8ELNS1_11target_archE1030ELNS1_3gpuE2ELNS1_3repE0EEENS1_30default_config_static_selectorELNS0_4arch9wavefront6targetE0EEEvSY_.num_agpr, 0
	.set _ZN7rocprim17ROCPRIM_400000_NS6detail17trampoline_kernelINS0_13select_configILj256ELj13ELNS0_17block_load_methodE3ELS4_3ELS4_3ELNS0_20block_scan_algorithmE0ELj4294967295EEENS1_25partition_config_selectorILNS1_17partition_subalgoE3EjNS0_10empty_typeEbEEZZNS1_14partition_implILS8_3ELb0ES6_jNS0_17counting_iteratorIjlEEPS9_SE_NS0_5tupleIJPjSE_EEENSF_IJSE_SE_EEES9_SG_JZNS1_25segmented_radix_sort_implINS0_14default_configELb1EPKiPiPKlPlN2at6native12_GLOBAL__N_18offset_tEEE10hipError_tPvRmT1_PNSt15iterator_traitsISY_E10value_typeET2_T3_PNSZ_IS14_E10value_typeET4_jRbjT5_S1A_jjP12ihipStream_tbEUljE_EEESV_SW_SX_S14_S18_S1A_T6_T7_T9_mT8_S1C_bDpT10_ENKUlT_T0_E_clISt17integral_constantIbLb0EES1P_EEDaS1K_S1L_EUlS1K_E_NS1_11comp_targetILNS1_3genE8ELNS1_11target_archE1030ELNS1_3gpuE2ELNS1_3repE0EEENS1_30default_config_static_selectorELNS0_4arch9wavefront6targetE0EEEvSY_.numbered_sgpr, 27
	.set _ZN7rocprim17ROCPRIM_400000_NS6detail17trampoline_kernelINS0_13select_configILj256ELj13ELNS0_17block_load_methodE3ELS4_3ELS4_3ELNS0_20block_scan_algorithmE0ELj4294967295EEENS1_25partition_config_selectorILNS1_17partition_subalgoE3EjNS0_10empty_typeEbEEZZNS1_14partition_implILS8_3ELb0ES6_jNS0_17counting_iteratorIjlEEPS9_SE_NS0_5tupleIJPjSE_EEENSF_IJSE_SE_EEES9_SG_JZNS1_25segmented_radix_sort_implINS0_14default_configELb1EPKiPiPKlPlN2at6native12_GLOBAL__N_18offset_tEEE10hipError_tPvRmT1_PNSt15iterator_traitsISY_E10value_typeET2_T3_PNSZ_IS14_E10value_typeET4_jRbjT5_S1A_jjP12ihipStream_tbEUljE_EEESV_SW_SX_S14_S18_S1A_T6_T7_T9_mT8_S1C_bDpT10_ENKUlT_T0_E_clISt17integral_constantIbLb0EES1P_EEDaS1K_S1L_EUlS1K_E_NS1_11comp_targetILNS1_3genE8ELNS1_11target_archE1030ELNS1_3gpuE2ELNS1_3repE0EEENS1_30default_config_static_selectorELNS0_4arch9wavefront6targetE0EEEvSY_.num_named_barrier, 0
	.set _ZN7rocprim17ROCPRIM_400000_NS6detail17trampoline_kernelINS0_13select_configILj256ELj13ELNS0_17block_load_methodE3ELS4_3ELS4_3ELNS0_20block_scan_algorithmE0ELj4294967295EEENS1_25partition_config_selectorILNS1_17partition_subalgoE3EjNS0_10empty_typeEbEEZZNS1_14partition_implILS8_3ELb0ES6_jNS0_17counting_iteratorIjlEEPS9_SE_NS0_5tupleIJPjSE_EEENSF_IJSE_SE_EEES9_SG_JZNS1_25segmented_radix_sort_implINS0_14default_configELb1EPKiPiPKlPlN2at6native12_GLOBAL__N_18offset_tEEE10hipError_tPvRmT1_PNSt15iterator_traitsISY_E10value_typeET2_T3_PNSZ_IS14_E10value_typeET4_jRbjT5_S1A_jjP12ihipStream_tbEUljE_EEESV_SW_SX_S14_S18_S1A_T6_T7_T9_mT8_S1C_bDpT10_ENKUlT_T0_E_clISt17integral_constantIbLb0EES1P_EEDaS1K_S1L_EUlS1K_E_NS1_11comp_targetILNS1_3genE8ELNS1_11target_archE1030ELNS1_3gpuE2ELNS1_3repE0EEENS1_30default_config_static_selectorELNS0_4arch9wavefront6targetE0EEEvSY_.private_seg_size, 0
	.set _ZN7rocprim17ROCPRIM_400000_NS6detail17trampoline_kernelINS0_13select_configILj256ELj13ELNS0_17block_load_methodE3ELS4_3ELS4_3ELNS0_20block_scan_algorithmE0ELj4294967295EEENS1_25partition_config_selectorILNS1_17partition_subalgoE3EjNS0_10empty_typeEbEEZZNS1_14partition_implILS8_3ELb0ES6_jNS0_17counting_iteratorIjlEEPS9_SE_NS0_5tupleIJPjSE_EEENSF_IJSE_SE_EEES9_SG_JZNS1_25segmented_radix_sort_implINS0_14default_configELb1EPKiPiPKlPlN2at6native12_GLOBAL__N_18offset_tEEE10hipError_tPvRmT1_PNSt15iterator_traitsISY_E10value_typeET2_T3_PNSZ_IS14_E10value_typeET4_jRbjT5_S1A_jjP12ihipStream_tbEUljE_EEESV_SW_SX_S14_S18_S1A_T6_T7_T9_mT8_S1C_bDpT10_ENKUlT_T0_E_clISt17integral_constantIbLb0EES1P_EEDaS1K_S1L_EUlS1K_E_NS1_11comp_targetILNS1_3genE8ELNS1_11target_archE1030ELNS1_3gpuE2ELNS1_3repE0EEENS1_30default_config_static_selectorELNS0_4arch9wavefront6targetE0EEEvSY_.uses_vcc, 1
	.set _ZN7rocprim17ROCPRIM_400000_NS6detail17trampoline_kernelINS0_13select_configILj256ELj13ELNS0_17block_load_methodE3ELS4_3ELS4_3ELNS0_20block_scan_algorithmE0ELj4294967295EEENS1_25partition_config_selectorILNS1_17partition_subalgoE3EjNS0_10empty_typeEbEEZZNS1_14partition_implILS8_3ELb0ES6_jNS0_17counting_iteratorIjlEEPS9_SE_NS0_5tupleIJPjSE_EEENSF_IJSE_SE_EEES9_SG_JZNS1_25segmented_radix_sort_implINS0_14default_configELb1EPKiPiPKlPlN2at6native12_GLOBAL__N_18offset_tEEE10hipError_tPvRmT1_PNSt15iterator_traitsISY_E10value_typeET2_T3_PNSZ_IS14_E10value_typeET4_jRbjT5_S1A_jjP12ihipStream_tbEUljE_EEESV_SW_SX_S14_S18_S1A_T6_T7_T9_mT8_S1C_bDpT10_ENKUlT_T0_E_clISt17integral_constantIbLb0EES1P_EEDaS1K_S1L_EUlS1K_E_NS1_11comp_targetILNS1_3genE8ELNS1_11target_archE1030ELNS1_3gpuE2ELNS1_3repE0EEENS1_30default_config_static_selectorELNS0_4arch9wavefront6targetE0EEEvSY_.uses_flat_scratch, 0
	.set _ZN7rocprim17ROCPRIM_400000_NS6detail17trampoline_kernelINS0_13select_configILj256ELj13ELNS0_17block_load_methodE3ELS4_3ELS4_3ELNS0_20block_scan_algorithmE0ELj4294967295EEENS1_25partition_config_selectorILNS1_17partition_subalgoE3EjNS0_10empty_typeEbEEZZNS1_14partition_implILS8_3ELb0ES6_jNS0_17counting_iteratorIjlEEPS9_SE_NS0_5tupleIJPjSE_EEENSF_IJSE_SE_EEES9_SG_JZNS1_25segmented_radix_sort_implINS0_14default_configELb1EPKiPiPKlPlN2at6native12_GLOBAL__N_18offset_tEEE10hipError_tPvRmT1_PNSt15iterator_traitsISY_E10value_typeET2_T3_PNSZ_IS14_E10value_typeET4_jRbjT5_S1A_jjP12ihipStream_tbEUljE_EEESV_SW_SX_S14_S18_S1A_T6_T7_T9_mT8_S1C_bDpT10_ENKUlT_T0_E_clISt17integral_constantIbLb0EES1P_EEDaS1K_S1L_EUlS1K_E_NS1_11comp_targetILNS1_3genE8ELNS1_11target_archE1030ELNS1_3gpuE2ELNS1_3repE0EEENS1_30default_config_static_selectorELNS0_4arch9wavefront6targetE0EEEvSY_.has_dyn_sized_stack, 0
	.set _ZN7rocprim17ROCPRIM_400000_NS6detail17trampoline_kernelINS0_13select_configILj256ELj13ELNS0_17block_load_methodE3ELS4_3ELS4_3ELNS0_20block_scan_algorithmE0ELj4294967295EEENS1_25partition_config_selectorILNS1_17partition_subalgoE3EjNS0_10empty_typeEbEEZZNS1_14partition_implILS8_3ELb0ES6_jNS0_17counting_iteratorIjlEEPS9_SE_NS0_5tupleIJPjSE_EEENSF_IJSE_SE_EEES9_SG_JZNS1_25segmented_radix_sort_implINS0_14default_configELb1EPKiPiPKlPlN2at6native12_GLOBAL__N_18offset_tEEE10hipError_tPvRmT1_PNSt15iterator_traitsISY_E10value_typeET2_T3_PNSZ_IS14_E10value_typeET4_jRbjT5_S1A_jjP12ihipStream_tbEUljE_EEESV_SW_SX_S14_S18_S1A_T6_T7_T9_mT8_S1C_bDpT10_ENKUlT_T0_E_clISt17integral_constantIbLb0EES1P_EEDaS1K_S1L_EUlS1K_E_NS1_11comp_targetILNS1_3genE8ELNS1_11target_archE1030ELNS1_3gpuE2ELNS1_3repE0EEENS1_30default_config_static_selectorELNS0_4arch9wavefront6targetE0EEEvSY_.has_recursion, 0
	.set _ZN7rocprim17ROCPRIM_400000_NS6detail17trampoline_kernelINS0_13select_configILj256ELj13ELNS0_17block_load_methodE3ELS4_3ELS4_3ELNS0_20block_scan_algorithmE0ELj4294967295EEENS1_25partition_config_selectorILNS1_17partition_subalgoE3EjNS0_10empty_typeEbEEZZNS1_14partition_implILS8_3ELb0ES6_jNS0_17counting_iteratorIjlEEPS9_SE_NS0_5tupleIJPjSE_EEENSF_IJSE_SE_EEES9_SG_JZNS1_25segmented_radix_sort_implINS0_14default_configELb1EPKiPiPKlPlN2at6native12_GLOBAL__N_18offset_tEEE10hipError_tPvRmT1_PNSt15iterator_traitsISY_E10value_typeET2_T3_PNSZ_IS14_E10value_typeET4_jRbjT5_S1A_jjP12ihipStream_tbEUljE_EEESV_SW_SX_S14_S18_S1A_T6_T7_T9_mT8_S1C_bDpT10_ENKUlT_T0_E_clISt17integral_constantIbLb0EES1P_EEDaS1K_S1L_EUlS1K_E_NS1_11comp_targetILNS1_3genE8ELNS1_11target_archE1030ELNS1_3gpuE2ELNS1_3repE0EEENS1_30default_config_static_selectorELNS0_4arch9wavefront6targetE0EEEvSY_.has_indirect_call, 0
	.section	.AMDGPU.csdata,"",@progbits
; Kernel info:
; codeLenInByte = 8564
; TotalNumSgprs: 29
; NumVgprs: 69
; ScratchSize: 0
; MemoryBound: 0
; FloatMode: 240
; IeeeMode: 1
; LDSByteSize: 13320 bytes/workgroup (compile time only)
; SGPRBlocks: 0
; VGPRBlocks: 8
; NumSGPRsForWavesPerEU: 29
; NumVGPRsForWavesPerEU: 69
; Occupancy: 12
; WaveLimiterHint : 0
; COMPUTE_PGM_RSRC2:SCRATCH_EN: 0
; COMPUTE_PGM_RSRC2:USER_SGPR: 6
; COMPUTE_PGM_RSRC2:TRAP_HANDLER: 0
; COMPUTE_PGM_RSRC2:TGID_X_EN: 1
; COMPUTE_PGM_RSRC2:TGID_Y_EN: 0
; COMPUTE_PGM_RSRC2:TGID_Z_EN: 0
; COMPUTE_PGM_RSRC2:TIDIG_COMP_CNT: 0
	.section	.text._ZN7rocprim17ROCPRIM_400000_NS6detail17trampoline_kernelINS0_13select_configILj256ELj13ELNS0_17block_load_methodE3ELS4_3ELS4_3ELNS0_20block_scan_algorithmE0ELj4294967295EEENS1_25partition_config_selectorILNS1_17partition_subalgoE3EjNS0_10empty_typeEbEEZZNS1_14partition_implILS8_3ELb0ES6_jNS0_17counting_iteratorIjlEEPS9_SE_NS0_5tupleIJPjSE_EEENSF_IJSE_SE_EEES9_SG_JZNS1_25segmented_radix_sort_implINS0_14default_configELb1EPKiPiPKlPlN2at6native12_GLOBAL__N_18offset_tEEE10hipError_tPvRmT1_PNSt15iterator_traitsISY_E10value_typeET2_T3_PNSZ_IS14_E10value_typeET4_jRbjT5_S1A_jjP12ihipStream_tbEUljE_EEESV_SW_SX_S14_S18_S1A_T6_T7_T9_mT8_S1C_bDpT10_ENKUlT_T0_E_clISt17integral_constantIbLb1EES1P_EEDaS1K_S1L_EUlS1K_E_NS1_11comp_targetILNS1_3genE0ELNS1_11target_archE4294967295ELNS1_3gpuE0ELNS1_3repE0EEENS1_30default_config_static_selectorELNS0_4arch9wavefront6targetE0EEEvSY_,"axG",@progbits,_ZN7rocprim17ROCPRIM_400000_NS6detail17trampoline_kernelINS0_13select_configILj256ELj13ELNS0_17block_load_methodE3ELS4_3ELS4_3ELNS0_20block_scan_algorithmE0ELj4294967295EEENS1_25partition_config_selectorILNS1_17partition_subalgoE3EjNS0_10empty_typeEbEEZZNS1_14partition_implILS8_3ELb0ES6_jNS0_17counting_iteratorIjlEEPS9_SE_NS0_5tupleIJPjSE_EEENSF_IJSE_SE_EEES9_SG_JZNS1_25segmented_radix_sort_implINS0_14default_configELb1EPKiPiPKlPlN2at6native12_GLOBAL__N_18offset_tEEE10hipError_tPvRmT1_PNSt15iterator_traitsISY_E10value_typeET2_T3_PNSZ_IS14_E10value_typeET4_jRbjT5_S1A_jjP12ihipStream_tbEUljE_EEESV_SW_SX_S14_S18_S1A_T6_T7_T9_mT8_S1C_bDpT10_ENKUlT_T0_E_clISt17integral_constantIbLb1EES1P_EEDaS1K_S1L_EUlS1K_E_NS1_11comp_targetILNS1_3genE0ELNS1_11target_archE4294967295ELNS1_3gpuE0ELNS1_3repE0EEENS1_30default_config_static_selectorELNS0_4arch9wavefront6targetE0EEEvSY_,comdat
	.globl	_ZN7rocprim17ROCPRIM_400000_NS6detail17trampoline_kernelINS0_13select_configILj256ELj13ELNS0_17block_load_methodE3ELS4_3ELS4_3ELNS0_20block_scan_algorithmE0ELj4294967295EEENS1_25partition_config_selectorILNS1_17partition_subalgoE3EjNS0_10empty_typeEbEEZZNS1_14partition_implILS8_3ELb0ES6_jNS0_17counting_iteratorIjlEEPS9_SE_NS0_5tupleIJPjSE_EEENSF_IJSE_SE_EEES9_SG_JZNS1_25segmented_radix_sort_implINS0_14default_configELb1EPKiPiPKlPlN2at6native12_GLOBAL__N_18offset_tEEE10hipError_tPvRmT1_PNSt15iterator_traitsISY_E10value_typeET2_T3_PNSZ_IS14_E10value_typeET4_jRbjT5_S1A_jjP12ihipStream_tbEUljE_EEESV_SW_SX_S14_S18_S1A_T6_T7_T9_mT8_S1C_bDpT10_ENKUlT_T0_E_clISt17integral_constantIbLb1EES1P_EEDaS1K_S1L_EUlS1K_E_NS1_11comp_targetILNS1_3genE0ELNS1_11target_archE4294967295ELNS1_3gpuE0ELNS1_3repE0EEENS1_30default_config_static_selectorELNS0_4arch9wavefront6targetE0EEEvSY_ ; -- Begin function _ZN7rocprim17ROCPRIM_400000_NS6detail17trampoline_kernelINS0_13select_configILj256ELj13ELNS0_17block_load_methodE3ELS4_3ELS4_3ELNS0_20block_scan_algorithmE0ELj4294967295EEENS1_25partition_config_selectorILNS1_17partition_subalgoE3EjNS0_10empty_typeEbEEZZNS1_14partition_implILS8_3ELb0ES6_jNS0_17counting_iteratorIjlEEPS9_SE_NS0_5tupleIJPjSE_EEENSF_IJSE_SE_EEES9_SG_JZNS1_25segmented_radix_sort_implINS0_14default_configELb1EPKiPiPKlPlN2at6native12_GLOBAL__N_18offset_tEEE10hipError_tPvRmT1_PNSt15iterator_traitsISY_E10value_typeET2_T3_PNSZ_IS14_E10value_typeET4_jRbjT5_S1A_jjP12ihipStream_tbEUljE_EEESV_SW_SX_S14_S18_S1A_T6_T7_T9_mT8_S1C_bDpT10_ENKUlT_T0_E_clISt17integral_constantIbLb1EES1P_EEDaS1K_S1L_EUlS1K_E_NS1_11comp_targetILNS1_3genE0ELNS1_11target_archE4294967295ELNS1_3gpuE0ELNS1_3repE0EEENS1_30default_config_static_selectorELNS0_4arch9wavefront6targetE0EEEvSY_
	.p2align	8
	.type	_ZN7rocprim17ROCPRIM_400000_NS6detail17trampoline_kernelINS0_13select_configILj256ELj13ELNS0_17block_load_methodE3ELS4_3ELS4_3ELNS0_20block_scan_algorithmE0ELj4294967295EEENS1_25partition_config_selectorILNS1_17partition_subalgoE3EjNS0_10empty_typeEbEEZZNS1_14partition_implILS8_3ELb0ES6_jNS0_17counting_iteratorIjlEEPS9_SE_NS0_5tupleIJPjSE_EEENSF_IJSE_SE_EEES9_SG_JZNS1_25segmented_radix_sort_implINS0_14default_configELb1EPKiPiPKlPlN2at6native12_GLOBAL__N_18offset_tEEE10hipError_tPvRmT1_PNSt15iterator_traitsISY_E10value_typeET2_T3_PNSZ_IS14_E10value_typeET4_jRbjT5_S1A_jjP12ihipStream_tbEUljE_EEESV_SW_SX_S14_S18_S1A_T6_T7_T9_mT8_S1C_bDpT10_ENKUlT_T0_E_clISt17integral_constantIbLb1EES1P_EEDaS1K_S1L_EUlS1K_E_NS1_11comp_targetILNS1_3genE0ELNS1_11target_archE4294967295ELNS1_3gpuE0ELNS1_3repE0EEENS1_30default_config_static_selectorELNS0_4arch9wavefront6targetE0EEEvSY_,@function
_ZN7rocprim17ROCPRIM_400000_NS6detail17trampoline_kernelINS0_13select_configILj256ELj13ELNS0_17block_load_methodE3ELS4_3ELS4_3ELNS0_20block_scan_algorithmE0ELj4294967295EEENS1_25partition_config_selectorILNS1_17partition_subalgoE3EjNS0_10empty_typeEbEEZZNS1_14partition_implILS8_3ELb0ES6_jNS0_17counting_iteratorIjlEEPS9_SE_NS0_5tupleIJPjSE_EEENSF_IJSE_SE_EEES9_SG_JZNS1_25segmented_radix_sort_implINS0_14default_configELb1EPKiPiPKlPlN2at6native12_GLOBAL__N_18offset_tEEE10hipError_tPvRmT1_PNSt15iterator_traitsISY_E10value_typeET2_T3_PNSZ_IS14_E10value_typeET4_jRbjT5_S1A_jjP12ihipStream_tbEUljE_EEESV_SW_SX_S14_S18_S1A_T6_T7_T9_mT8_S1C_bDpT10_ENKUlT_T0_E_clISt17integral_constantIbLb1EES1P_EEDaS1K_S1L_EUlS1K_E_NS1_11comp_targetILNS1_3genE0ELNS1_11target_archE4294967295ELNS1_3gpuE0ELNS1_3repE0EEENS1_30default_config_static_selectorELNS0_4arch9wavefront6targetE0EEEvSY_: ; @_ZN7rocprim17ROCPRIM_400000_NS6detail17trampoline_kernelINS0_13select_configILj256ELj13ELNS0_17block_load_methodE3ELS4_3ELS4_3ELNS0_20block_scan_algorithmE0ELj4294967295EEENS1_25partition_config_selectorILNS1_17partition_subalgoE3EjNS0_10empty_typeEbEEZZNS1_14partition_implILS8_3ELb0ES6_jNS0_17counting_iteratorIjlEEPS9_SE_NS0_5tupleIJPjSE_EEENSF_IJSE_SE_EEES9_SG_JZNS1_25segmented_radix_sort_implINS0_14default_configELb1EPKiPiPKlPlN2at6native12_GLOBAL__N_18offset_tEEE10hipError_tPvRmT1_PNSt15iterator_traitsISY_E10value_typeET2_T3_PNSZ_IS14_E10value_typeET4_jRbjT5_S1A_jjP12ihipStream_tbEUljE_EEESV_SW_SX_S14_S18_S1A_T6_T7_T9_mT8_S1C_bDpT10_ENKUlT_T0_E_clISt17integral_constantIbLb1EES1P_EEDaS1K_S1L_EUlS1K_E_NS1_11comp_targetILNS1_3genE0ELNS1_11target_archE4294967295ELNS1_3gpuE0ELNS1_3repE0EEENS1_30default_config_static_selectorELNS0_4arch9wavefront6targetE0EEEvSY_
; %bb.0:
	.section	.rodata,"a",@progbits
	.p2align	6, 0x0
	.amdhsa_kernel _ZN7rocprim17ROCPRIM_400000_NS6detail17trampoline_kernelINS0_13select_configILj256ELj13ELNS0_17block_load_methodE3ELS4_3ELS4_3ELNS0_20block_scan_algorithmE0ELj4294967295EEENS1_25partition_config_selectorILNS1_17partition_subalgoE3EjNS0_10empty_typeEbEEZZNS1_14partition_implILS8_3ELb0ES6_jNS0_17counting_iteratorIjlEEPS9_SE_NS0_5tupleIJPjSE_EEENSF_IJSE_SE_EEES9_SG_JZNS1_25segmented_radix_sort_implINS0_14default_configELb1EPKiPiPKlPlN2at6native12_GLOBAL__N_18offset_tEEE10hipError_tPvRmT1_PNSt15iterator_traitsISY_E10value_typeET2_T3_PNSZ_IS14_E10value_typeET4_jRbjT5_S1A_jjP12ihipStream_tbEUljE_EEESV_SW_SX_S14_S18_S1A_T6_T7_T9_mT8_S1C_bDpT10_ENKUlT_T0_E_clISt17integral_constantIbLb1EES1P_EEDaS1K_S1L_EUlS1K_E_NS1_11comp_targetILNS1_3genE0ELNS1_11target_archE4294967295ELNS1_3gpuE0ELNS1_3repE0EEENS1_30default_config_static_selectorELNS0_4arch9wavefront6targetE0EEEvSY_
		.amdhsa_group_segment_fixed_size 0
		.amdhsa_private_segment_fixed_size 0
		.amdhsa_kernarg_size 152
		.amdhsa_user_sgpr_count 6
		.amdhsa_user_sgpr_private_segment_buffer 1
		.amdhsa_user_sgpr_dispatch_ptr 0
		.amdhsa_user_sgpr_queue_ptr 0
		.amdhsa_user_sgpr_kernarg_segment_ptr 1
		.amdhsa_user_sgpr_dispatch_id 0
		.amdhsa_user_sgpr_flat_scratch_init 0
		.amdhsa_user_sgpr_private_segment_size 0
		.amdhsa_wavefront_size32 1
		.amdhsa_uses_dynamic_stack 0
		.amdhsa_system_sgpr_private_segment_wavefront_offset 0
		.amdhsa_system_sgpr_workgroup_id_x 1
		.amdhsa_system_sgpr_workgroup_id_y 0
		.amdhsa_system_sgpr_workgroup_id_z 0
		.amdhsa_system_sgpr_workgroup_info 0
		.amdhsa_system_vgpr_workitem_id 0
		.amdhsa_next_free_vgpr 1
		.amdhsa_next_free_sgpr 1
		.amdhsa_reserve_vcc 0
		.amdhsa_reserve_flat_scratch 0
		.amdhsa_float_round_mode_32 0
		.amdhsa_float_round_mode_16_64 0
		.amdhsa_float_denorm_mode_32 3
		.amdhsa_float_denorm_mode_16_64 3
		.amdhsa_dx10_clamp 1
		.amdhsa_ieee_mode 1
		.amdhsa_fp16_overflow 0
		.amdhsa_workgroup_processor_mode 1
		.amdhsa_memory_ordered 1
		.amdhsa_forward_progress 1
		.amdhsa_shared_vgpr_count 0
		.amdhsa_exception_fp_ieee_invalid_op 0
		.amdhsa_exception_fp_denorm_src 0
		.amdhsa_exception_fp_ieee_div_zero 0
		.amdhsa_exception_fp_ieee_overflow 0
		.amdhsa_exception_fp_ieee_underflow 0
		.amdhsa_exception_fp_ieee_inexact 0
		.amdhsa_exception_int_div_zero 0
	.end_amdhsa_kernel
	.section	.text._ZN7rocprim17ROCPRIM_400000_NS6detail17trampoline_kernelINS0_13select_configILj256ELj13ELNS0_17block_load_methodE3ELS4_3ELS4_3ELNS0_20block_scan_algorithmE0ELj4294967295EEENS1_25partition_config_selectorILNS1_17partition_subalgoE3EjNS0_10empty_typeEbEEZZNS1_14partition_implILS8_3ELb0ES6_jNS0_17counting_iteratorIjlEEPS9_SE_NS0_5tupleIJPjSE_EEENSF_IJSE_SE_EEES9_SG_JZNS1_25segmented_radix_sort_implINS0_14default_configELb1EPKiPiPKlPlN2at6native12_GLOBAL__N_18offset_tEEE10hipError_tPvRmT1_PNSt15iterator_traitsISY_E10value_typeET2_T3_PNSZ_IS14_E10value_typeET4_jRbjT5_S1A_jjP12ihipStream_tbEUljE_EEESV_SW_SX_S14_S18_S1A_T6_T7_T9_mT8_S1C_bDpT10_ENKUlT_T0_E_clISt17integral_constantIbLb1EES1P_EEDaS1K_S1L_EUlS1K_E_NS1_11comp_targetILNS1_3genE0ELNS1_11target_archE4294967295ELNS1_3gpuE0ELNS1_3repE0EEENS1_30default_config_static_selectorELNS0_4arch9wavefront6targetE0EEEvSY_,"axG",@progbits,_ZN7rocprim17ROCPRIM_400000_NS6detail17trampoline_kernelINS0_13select_configILj256ELj13ELNS0_17block_load_methodE3ELS4_3ELS4_3ELNS0_20block_scan_algorithmE0ELj4294967295EEENS1_25partition_config_selectorILNS1_17partition_subalgoE3EjNS0_10empty_typeEbEEZZNS1_14partition_implILS8_3ELb0ES6_jNS0_17counting_iteratorIjlEEPS9_SE_NS0_5tupleIJPjSE_EEENSF_IJSE_SE_EEES9_SG_JZNS1_25segmented_radix_sort_implINS0_14default_configELb1EPKiPiPKlPlN2at6native12_GLOBAL__N_18offset_tEEE10hipError_tPvRmT1_PNSt15iterator_traitsISY_E10value_typeET2_T3_PNSZ_IS14_E10value_typeET4_jRbjT5_S1A_jjP12ihipStream_tbEUljE_EEESV_SW_SX_S14_S18_S1A_T6_T7_T9_mT8_S1C_bDpT10_ENKUlT_T0_E_clISt17integral_constantIbLb1EES1P_EEDaS1K_S1L_EUlS1K_E_NS1_11comp_targetILNS1_3genE0ELNS1_11target_archE4294967295ELNS1_3gpuE0ELNS1_3repE0EEENS1_30default_config_static_selectorELNS0_4arch9wavefront6targetE0EEEvSY_,comdat
.Lfunc_end469:
	.size	_ZN7rocprim17ROCPRIM_400000_NS6detail17trampoline_kernelINS0_13select_configILj256ELj13ELNS0_17block_load_methodE3ELS4_3ELS4_3ELNS0_20block_scan_algorithmE0ELj4294967295EEENS1_25partition_config_selectorILNS1_17partition_subalgoE3EjNS0_10empty_typeEbEEZZNS1_14partition_implILS8_3ELb0ES6_jNS0_17counting_iteratorIjlEEPS9_SE_NS0_5tupleIJPjSE_EEENSF_IJSE_SE_EEES9_SG_JZNS1_25segmented_radix_sort_implINS0_14default_configELb1EPKiPiPKlPlN2at6native12_GLOBAL__N_18offset_tEEE10hipError_tPvRmT1_PNSt15iterator_traitsISY_E10value_typeET2_T3_PNSZ_IS14_E10value_typeET4_jRbjT5_S1A_jjP12ihipStream_tbEUljE_EEESV_SW_SX_S14_S18_S1A_T6_T7_T9_mT8_S1C_bDpT10_ENKUlT_T0_E_clISt17integral_constantIbLb1EES1P_EEDaS1K_S1L_EUlS1K_E_NS1_11comp_targetILNS1_3genE0ELNS1_11target_archE4294967295ELNS1_3gpuE0ELNS1_3repE0EEENS1_30default_config_static_selectorELNS0_4arch9wavefront6targetE0EEEvSY_, .Lfunc_end469-_ZN7rocprim17ROCPRIM_400000_NS6detail17trampoline_kernelINS0_13select_configILj256ELj13ELNS0_17block_load_methodE3ELS4_3ELS4_3ELNS0_20block_scan_algorithmE0ELj4294967295EEENS1_25partition_config_selectorILNS1_17partition_subalgoE3EjNS0_10empty_typeEbEEZZNS1_14partition_implILS8_3ELb0ES6_jNS0_17counting_iteratorIjlEEPS9_SE_NS0_5tupleIJPjSE_EEENSF_IJSE_SE_EEES9_SG_JZNS1_25segmented_radix_sort_implINS0_14default_configELb1EPKiPiPKlPlN2at6native12_GLOBAL__N_18offset_tEEE10hipError_tPvRmT1_PNSt15iterator_traitsISY_E10value_typeET2_T3_PNSZ_IS14_E10value_typeET4_jRbjT5_S1A_jjP12ihipStream_tbEUljE_EEESV_SW_SX_S14_S18_S1A_T6_T7_T9_mT8_S1C_bDpT10_ENKUlT_T0_E_clISt17integral_constantIbLb1EES1P_EEDaS1K_S1L_EUlS1K_E_NS1_11comp_targetILNS1_3genE0ELNS1_11target_archE4294967295ELNS1_3gpuE0ELNS1_3repE0EEENS1_30default_config_static_selectorELNS0_4arch9wavefront6targetE0EEEvSY_
                                        ; -- End function
	.set _ZN7rocprim17ROCPRIM_400000_NS6detail17trampoline_kernelINS0_13select_configILj256ELj13ELNS0_17block_load_methodE3ELS4_3ELS4_3ELNS0_20block_scan_algorithmE0ELj4294967295EEENS1_25partition_config_selectorILNS1_17partition_subalgoE3EjNS0_10empty_typeEbEEZZNS1_14partition_implILS8_3ELb0ES6_jNS0_17counting_iteratorIjlEEPS9_SE_NS0_5tupleIJPjSE_EEENSF_IJSE_SE_EEES9_SG_JZNS1_25segmented_radix_sort_implINS0_14default_configELb1EPKiPiPKlPlN2at6native12_GLOBAL__N_18offset_tEEE10hipError_tPvRmT1_PNSt15iterator_traitsISY_E10value_typeET2_T3_PNSZ_IS14_E10value_typeET4_jRbjT5_S1A_jjP12ihipStream_tbEUljE_EEESV_SW_SX_S14_S18_S1A_T6_T7_T9_mT8_S1C_bDpT10_ENKUlT_T0_E_clISt17integral_constantIbLb1EES1P_EEDaS1K_S1L_EUlS1K_E_NS1_11comp_targetILNS1_3genE0ELNS1_11target_archE4294967295ELNS1_3gpuE0ELNS1_3repE0EEENS1_30default_config_static_selectorELNS0_4arch9wavefront6targetE0EEEvSY_.num_vgpr, 0
	.set _ZN7rocprim17ROCPRIM_400000_NS6detail17trampoline_kernelINS0_13select_configILj256ELj13ELNS0_17block_load_methodE3ELS4_3ELS4_3ELNS0_20block_scan_algorithmE0ELj4294967295EEENS1_25partition_config_selectorILNS1_17partition_subalgoE3EjNS0_10empty_typeEbEEZZNS1_14partition_implILS8_3ELb0ES6_jNS0_17counting_iteratorIjlEEPS9_SE_NS0_5tupleIJPjSE_EEENSF_IJSE_SE_EEES9_SG_JZNS1_25segmented_radix_sort_implINS0_14default_configELb1EPKiPiPKlPlN2at6native12_GLOBAL__N_18offset_tEEE10hipError_tPvRmT1_PNSt15iterator_traitsISY_E10value_typeET2_T3_PNSZ_IS14_E10value_typeET4_jRbjT5_S1A_jjP12ihipStream_tbEUljE_EEESV_SW_SX_S14_S18_S1A_T6_T7_T9_mT8_S1C_bDpT10_ENKUlT_T0_E_clISt17integral_constantIbLb1EES1P_EEDaS1K_S1L_EUlS1K_E_NS1_11comp_targetILNS1_3genE0ELNS1_11target_archE4294967295ELNS1_3gpuE0ELNS1_3repE0EEENS1_30default_config_static_selectorELNS0_4arch9wavefront6targetE0EEEvSY_.num_agpr, 0
	.set _ZN7rocprim17ROCPRIM_400000_NS6detail17trampoline_kernelINS0_13select_configILj256ELj13ELNS0_17block_load_methodE3ELS4_3ELS4_3ELNS0_20block_scan_algorithmE0ELj4294967295EEENS1_25partition_config_selectorILNS1_17partition_subalgoE3EjNS0_10empty_typeEbEEZZNS1_14partition_implILS8_3ELb0ES6_jNS0_17counting_iteratorIjlEEPS9_SE_NS0_5tupleIJPjSE_EEENSF_IJSE_SE_EEES9_SG_JZNS1_25segmented_radix_sort_implINS0_14default_configELb1EPKiPiPKlPlN2at6native12_GLOBAL__N_18offset_tEEE10hipError_tPvRmT1_PNSt15iterator_traitsISY_E10value_typeET2_T3_PNSZ_IS14_E10value_typeET4_jRbjT5_S1A_jjP12ihipStream_tbEUljE_EEESV_SW_SX_S14_S18_S1A_T6_T7_T9_mT8_S1C_bDpT10_ENKUlT_T0_E_clISt17integral_constantIbLb1EES1P_EEDaS1K_S1L_EUlS1K_E_NS1_11comp_targetILNS1_3genE0ELNS1_11target_archE4294967295ELNS1_3gpuE0ELNS1_3repE0EEENS1_30default_config_static_selectorELNS0_4arch9wavefront6targetE0EEEvSY_.numbered_sgpr, 0
	.set _ZN7rocprim17ROCPRIM_400000_NS6detail17trampoline_kernelINS0_13select_configILj256ELj13ELNS0_17block_load_methodE3ELS4_3ELS4_3ELNS0_20block_scan_algorithmE0ELj4294967295EEENS1_25partition_config_selectorILNS1_17partition_subalgoE3EjNS0_10empty_typeEbEEZZNS1_14partition_implILS8_3ELb0ES6_jNS0_17counting_iteratorIjlEEPS9_SE_NS0_5tupleIJPjSE_EEENSF_IJSE_SE_EEES9_SG_JZNS1_25segmented_radix_sort_implINS0_14default_configELb1EPKiPiPKlPlN2at6native12_GLOBAL__N_18offset_tEEE10hipError_tPvRmT1_PNSt15iterator_traitsISY_E10value_typeET2_T3_PNSZ_IS14_E10value_typeET4_jRbjT5_S1A_jjP12ihipStream_tbEUljE_EEESV_SW_SX_S14_S18_S1A_T6_T7_T9_mT8_S1C_bDpT10_ENKUlT_T0_E_clISt17integral_constantIbLb1EES1P_EEDaS1K_S1L_EUlS1K_E_NS1_11comp_targetILNS1_3genE0ELNS1_11target_archE4294967295ELNS1_3gpuE0ELNS1_3repE0EEENS1_30default_config_static_selectorELNS0_4arch9wavefront6targetE0EEEvSY_.num_named_barrier, 0
	.set _ZN7rocprim17ROCPRIM_400000_NS6detail17trampoline_kernelINS0_13select_configILj256ELj13ELNS0_17block_load_methodE3ELS4_3ELS4_3ELNS0_20block_scan_algorithmE0ELj4294967295EEENS1_25partition_config_selectorILNS1_17partition_subalgoE3EjNS0_10empty_typeEbEEZZNS1_14partition_implILS8_3ELb0ES6_jNS0_17counting_iteratorIjlEEPS9_SE_NS0_5tupleIJPjSE_EEENSF_IJSE_SE_EEES9_SG_JZNS1_25segmented_radix_sort_implINS0_14default_configELb1EPKiPiPKlPlN2at6native12_GLOBAL__N_18offset_tEEE10hipError_tPvRmT1_PNSt15iterator_traitsISY_E10value_typeET2_T3_PNSZ_IS14_E10value_typeET4_jRbjT5_S1A_jjP12ihipStream_tbEUljE_EEESV_SW_SX_S14_S18_S1A_T6_T7_T9_mT8_S1C_bDpT10_ENKUlT_T0_E_clISt17integral_constantIbLb1EES1P_EEDaS1K_S1L_EUlS1K_E_NS1_11comp_targetILNS1_3genE0ELNS1_11target_archE4294967295ELNS1_3gpuE0ELNS1_3repE0EEENS1_30default_config_static_selectorELNS0_4arch9wavefront6targetE0EEEvSY_.private_seg_size, 0
	.set _ZN7rocprim17ROCPRIM_400000_NS6detail17trampoline_kernelINS0_13select_configILj256ELj13ELNS0_17block_load_methodE3ELS4_3ELS4_3ELNS0_20block_scan_algorithmE0ELj4294967295EEENS1_25partition_config_selectorILNS1_17partition_subalgoE3EjNS0_10empty_typeEbEEZZNS1_14partition_implILS8_3ELb0ES6_jNS0_17counting_iteratorIjlEEPS9_SE_NS0_5tupleIJPjSE_EEENSF_IJSE_SE_EEES9_SG_JZNS1_25segmented_radix_sort_implINS0_14default_configELb1EPKiPiPKlPlN2at6native12_GLOBAL__N_18offset_tEEE10hipError_tPvRmT1_PNSt15iterator_traitsISY_E10value_typeET2_T3_PNSZ_IS14_E10value_typeET4_jRbjT5_S1A_jjP12ihipStream_tbEUljE_EEESV_SW_SX_S14_S18_S1A_T6_T7_T9_mT8_S1C_bDpT10_ENKUlT_T0_E_clISt17integral_constantIbLb1EES1P_EEDaS1K_S1L_EUlS1K_E_NS1_11comp_targetILNS1_3genE0ELNS1_11target_archE4294967295ELNS1_3gpuE0ELNS1_3repE0EEENS1_30default_config_static_selectorELNS0_4arch9wavefront6targetE0EEEvSY_.uses_vcc, 0
	.set _ZN7rocprim17ROCPRIM_400000_NS6detail17trampoline_kernelINS0_13select_configILj256ELj13ELNS0_17block_load_methodE3ELS4_3ELS4_3ELNS0_20block_scan_algorithmE0ELj4294967295EEENS1_25partition_config_selectorILNS1_17partition_subalgoE3EjNS0_10empty_typeEbEEZZNS1_14partition_implILS8_3ELb0ES6_jNS0_17counting_iteratorIjlEEPS9_SE_NS0_5tupleIJPjSE_EEENSF_IJSE_SE_EEES9_SG_JZNS1_25segmented_radix_sort_implINS0_14default_configELb1EPKiPiPKlPlN2at6native12_GLOBAL__N_18offset_tEEE10hipError_tPvRmT1_PNSt15iterator_traitsISY_E10value_typeET2_T3_PNSZ_IS14_E10value_typeET4_jRbjT5_S1A_jjP12ihipStream_tbEUljE_EEESV_SW_SX_S14_S18_S1A_T6_T7_T9_mT8_S1C_bDpT10_ENKUlT_T0_E_clISt17integral_constantIbLb1EES1P_EEDaS1K_S1L_EUlS1K_E_NS1_11comp_targetILNS1_3genE0ELNS1_11target_archE4294967295ELNS1_3gpuE0ELNS1_3repE0EEENS1_30default_config_static_selectorELNS0_4arch9wavefront6targetE0EEEvSY_.uses_flat_scratch, 0
	.set _ZN7rocprim17ROCPRIM_400000_NS6detail17trampoline_kernelINS0_13select_configILj256ELj13ELNS0_17block_load_methodE3ELS4_3ELS4_3ELNS0_20block_scan_algorithmE0ELj4294967295EEENS1_25partition_config_selectorILNS1_17partition_subalgoE3EjNS0_10empty_typeEbEEZZNS1_14partition_implILS8_3ELb0ES6_jNS0_17counting_iteratorIjlEEPS9_SE_NS0_5tupleIJPjSE_EEENSF_IJSE_SE_EEES9_SG_JZNS1_25segmented_radix_sort_implINS0_14default_configELb1EPKiPiPKlPlN2at6native12_GLOBAL__N_18offset_tEEE10hipError_tPvRmT1_PNSt15iterator_traitsISY_E10value_typeET2_T3_PNSZ_IS14_E10value_typeET4_jRbjT5_S1A_jjP12ihipStream_tbEUljE_EEESV_SW_SX_S14_S18_S1A_T6_T7_T9_mT8_S1C_bDpT10_ENKUlT_T0_E_clISt17integral_constantIbLb1EES1P_EEDaS1K_S1L_EUlS1K_E_NS1_11comp_targetILNS1_3genE0ELNS1_11target_archE4294967295ELNS1_3gpuE0ELNS1_3repE0EEENS1_30default_config_static_selectorELNS0_4arch9wavefront6targetE0EEEvSY_.has_dyn_sized_stack, 0
	.set _ZN7rocprim17ROCPRIM_400000_NS6detail17trampoline_kernelINS0_13select_configILj256ELj13ELNS0_17block_load_methodE3ELS4_3ELS4_3ELNS0_20block_scan_algorithmE0ELj4294967295EEENS1_25partition_config_selectorILNS1_17partition_subalgoE3EjNS0_10empty_typeEbEEZZNS1_14partition_implILS8_3ELb0ES6_jNS0_17counting_iteratorIjlEEPS9_SE_NS0_5tupleIJPjSE_EEENSF_IJSE_SE_EEES9_SG_JZNS1_25segmented_radix_sort_implINS0_14default_configELb1EPKiPiPKlPlN2at6native12_GLOBAL__N_18offset_tEEE10hipError_tPvRmT1_PNSt15iterator_traitsISY_E10value_typeET2_T3_PNSZ_IS14_E10value_typeET4_jRbjT5_S1A_jjP12ihipStream_tbEUljE_EEESV_SW_SX_S14_S18_S1A_T6_T7_T9_mT8_S1C_bDpT10_ENKUlT_T0_E_clISt17integral_constantIbLb1EES1P_EEDaS1K_S1L_EUlS1K_E_NS1_11comp_targetILNS1_3genE0ELNS1_11target_archE4294967295ELNS1_3gpuE0ELNS1_3repE0EEENS1_30default_config_static_selectorELNS0_4arch9wavefront6targetE0EEEvSY_.has_recursion, 0
	.set _ZN7rocprim17ROCPRIM_400000_NS6detail17trampoline_kernelINS0_13select_configILj256ELj13ELNS0_17block_load_methodE3ELS4_3ELS4_3ELNS0_20block_scan_algorithmE0ELj4294967295EEENS1_25partition_config_selectorILNS1_17partition_subalgoE3EjNS0_10empty_typeEbEEZZNS1_14partition_implILS8_3ELb0ES6_jNS0_17counting_iteratorIjlEEPS9_SE_NS0_5tupleIJPjSE_EEENSF_IJSE_SE_EEES9_SG_JZNS1_25segmented_radix_sort_implINS0_14default_configELb1EPKiPiPKlPlN2at6native12_GLOBAL__N_18offset_tEEE10hipError_tPvRmT1_PNSt15iterator_traitsISY_E10value_typeET2_T3_PNSZ_IS14_E10value_typeET4_jRbjT5_S1A_jjP12ihipStream_tbEUljE_EEESV_SW_SX_S14_S18_S1A_T6_T7_T9_mT8_S1C_bDpT10_ENKUlT_T0_E_clISt17integral_constantIbLb1EES1P_EEDaS1K_S1L_EUlS1K_E_NS1_11comp_targetILNS1_3genE0ELNS1_11target_archE4294967295ELNS1_3gpuE0ELNS1_3repE0EEENS1_30default_config_static_selectorELNS0_4arch9wavefront6targetE0EEEvSY_.has_indirect_call, 0
	.section	.AMDGPU.csdata,"",@progbits
; Kernel info:
; codeLenInByte = 0
; TotalNumSgprs: 0
; NumVgprs: 0
; ScratchSize: 0
; MemoryBound: 0
; FloatMode: 240
; IeeeMode: 1
; LDSByteSize: 0 bytes/workgroup (compile time only)
; SGPRBlocks: 0
; VGPRBlocks: 0
; NumSGPRsForWavesPerEU: 1
; NumVGPRsForWavesPerEU: 1
; Occupancy: 16
; WaveLimiterHint : 0
; COMPUTE_PGM_RSRC2:SCRATCH_EN: 0
; COMPUTE_PGM_RSRC2:USER_SGPR: 6
; COMPUTE_PGM_RSRC2:TRAP_HANDLER: 0
; COMPUTE_PGM_RSRC2:TGID_X_EN: 1
; COMPUTE_PGM_RSRC2:TGID_Y_EN: 0
; COMPUTE_PGM_RSRC2:TGID_Z_EN: 0
; COMPUTE_PGM_RSRC2:TIDIG_COMP_CNT: 0
	.section	.text._ZN7rocprim17ROCPRIM_400000_NS6detail17trampoline_kernelINS0_13select_configILj256ELj13ELNS0_17block_load_methodE3ELS4_3ELS4_3ELNS0_20block_scan_algorithmE0ELj4294967295EEENS1_25partition_config_selectorILNS1_17partition_subalgoE3EjNS0_10empty_typeEbEEZZNS1_14partition_implILS8_3ELb0ES6_jNS0_17counting_iteratorIjlEEPS9_SE_NS0_5tupleIJPjSE_EEENSF_IJSE_SE_EEES9_SG_JZNS1_25segmented_radix_sort_implINS0_14default_configELb1EPKiPiPKlPlN2at6native12_GLOBAL__N_18offset_tEEE10hipError_tPvRmT1_PNSt15iterator_traitsISY_E10value_typeET2_T3_PNSZ_IS14_E10value_typeET4_jRbjT5_S1A_jjP12ihipStream_tbEUljE_EEESV_SW_SX_S14_S18_S1A_T6_T7_T9_mT8_S1C_bDpT10_ENKUlT_T0_E_clISt17integral_constantIbLb1EES1P_EEDaS1K_S1L_EUlS1K_E_NS1_11comp_targetILNS1_3genE5ELNS1_11target_archE942ELNS1_3gpuE9ELNS1_3repE0EEENS1_30default_config_static_selectorELNS0_4arch9wavefront6targetE0EEEvSY_,"axG",@progbits,_ZN7rocprim17ROCPRIM_400000_NS6detail17trampoline_kernelINS0_13select_configILj256ELj13ELNS0_17block_load_methodE3ELS4_3ELS4_3ELNS0_20block_scan_algorithmE0ELj4294967295EEENS1_25partition_config_selectorILNS1_17partition_subalgoE3EjNS0_10empty_typeEbEEZZNS1_14partition_implILS8_3ELb0ES6_jNS0_17counting_iteratorIjlEEPS9_SE_NS0_5tupleIJPjSE_EEENSF_IJSE_SE_EEES9_SG_JZNS1_25segmented_radix_sort_implINS0_14default_configELb1EPKiPiPKlPlN2at6native12_GLOBAL__N_18offset_tEEE10hipError_tPvRmT1_PNSt15iterator_traitsISY_E10value_typeET2_T3_PNSZ_IS14_E10value_typeET4_jRbjT5_S1A_jjP12ihipStream_tbEUljE_EEESV_SW_SX_S14_S18_S1A_T6_T7_T9_mT8_S1C_bDpT10_ENKUlT_T0_E_clISt17integral_constantIbLb1EES1P_EEDaS1K_S1L_EUlS1K_E_NS1_11comp_targetILNS1_3genE5ELNS1_11target_archE942ELNS1_3gpuE9ELNS1_3repE0EEENS1_30default_config_static_selectorELNS0_4arch9wavefront6targetE0EEEvSY_,comdat
	.globl	_ZN7rocprim17ROCPRIM_400000_NS6detail17trampoline_kernelINS0_13select_configILj256ELj13ELNS0_17block_load_methodE3ELS4_3ELS4_3ELNS0_20block_scan_algorithmE0ELj4294967295EEENS1_25partition_config_selectorILNS1_17partition_subalgoE3EjNS0_10empty_typeEbEEZZNS1_14partition_implILS8_3ELb0ES6_jNS0_17counting_iteratorIjlEEPS9_SE_NS0_5tupleIJPjSE_EEENSF_IJSE_SE_EEES9_SG_JZNS1_25segmented_radix_sort_implINS0_14default_configELb1EPKiPiPKlPlN2at6native12_GLOBAL__N_18offset_tEEE10hipError_tPvRmT1_PNSt15iterator_traitsISY_E10value_typeET2_T3_PNSZ_IS14_E10value_typeET4_jRbjT5_S1A_jjP12ihipStream_tbEUljE_EEESV_SW_SX_S14_S18_S1A_T6_T7_T9_mT8_S1C_bDpT10_ENKUlT_T0_E_clISt17integral_constantIbLb1EES1P_EEDaS1K_S1L_EUlS1K_E_NS1_11comp_targetILNS1_3genE5ELNS1_11target_archE942ELNS1_3gpuE9ELNS1_3repE0EEENS1_30default_config_static_selectorELNS0_4arch9wavefront6targetE0EEEvSY_ ; -- Begin function _ZN7rocprim17ROCPRIM_400000_NS6detail17trampoline_kernelINS0_13select_configILj256ELj13ELNS0_17block_load_methodE3ELS4_3ELS4_3ELNS0_20block_scan_algorithmE0ELj4294967295EEENS1_25partition_config_selectorILNS1_17partition_subalgoE3EjNS0_10empty_typeEbEEZZNS1_14partition_implILS8_3ELb0ES6_jNS0_17counting_iteratorIjlEEPS9_SE_NS0_5tupleIJPjSE_EEENSF_IJSE_SE_EEES9_SG_JZNS1_25segmented_radix_sort_implINS0_14default_configELb1EPKiPiPKlPlN2at6native12_GLOBAL__N_18offset_tEEE10hipError_tPvRmT1_PNSt15iterator_traitsISY_E10value_typeET2_T3_PNSZ_IS14_E10value_typeET4_jRbjT5_S1A_jjP12ihipStream_tbEUljE_EEESV_SW_SX_S14_S18_S1A_T6_T7_T9_mT8_S1C_bDpT10_ENKUlT_T0_E_clISt17integral_constantIbLb1EES1P_EEDaS1K_S1L_EUlS1K_E_NS1_11comp_targetILNS1_3genE5ELNS1_11target_archE942ELNS1_3gpuE9ELNS1_3repE0EEENS1_30default_config_static_selectorELNS0_4arch9wavefront6targetE0EEEvSY_
	.p2align	8
	.type	_ZN7rocprim17ROCPRIM_400000_NS6detail17trampoline_kernelINS0_13select_configILj256ELj13ELNS0_17block_load_methodE3ELS4_3ELS4_3ELNS0_20block_scan_algorithmE0ELj4294967295EEENS1_25partition_config_selectorILNS1_17partition_subalgoE3EjNS0_10empty_typeEbEEZZNS1_14partition_implILS8_3ELb0ES6_jNS0_17counting_iteratorIjlEEPS9_SE_NS0_5tupleIJPjSE_EEENSF_IJSE_SE_EEES9_SG_JZNS1_25segmented_radix_sort_implINS0_14default_configELb1EPKiPiPKlPlN2at6native12_GLOBAL__N_18offset_tEEE10hipError_tPvRmT1_PNSt15iterator_traitsISY_E10value_typeET2_T3_PNSZ_IS14_E10value_typeET4_jRbjT5_S1A_jjP12ihipStream_tbEUljE_EEESV_SW_SX_S14_S18_S1A_T6_T7_T9_mT8_S1C_bDpT10_ENKUlT_T0_E_clISt17integral_constantIbLb1EES1P_EEDaS1K_S1L_EUlS1K_E_NS1_11comp_targetILNS1_3genE5ELNS1_11target_archE942ELNS1_3gpuE9ELNS1_3repE0EEENS1_30default_config_static_selectorELNS0_4arch9wavefront6targetE0EEEvSY_,@function
_ZN7rocprim17ROCPRIM_400000_NS6detail17trampoline_kernelINS0_13select_configILj256ELj13ELNS0_17block_load_methodE3ELS4_3ELS4_3ELNS0_20block_scan_algorithmE0ELj4294967295EEENS1_25partition_config_selectorILNS1_17partition_subalgoE3EjNS0_10empty_typeEbEEZZNS1_14partition_implILS8_3ELb0ES6_jNS0_17counting_iteratorIjlEEPS9_SE_NS0_5tupleIJPjSE_EEENSF_IJSE_SE_EEES9_SG_JZNS1_25segmented_radix_sort_implINS0_14default_configELb1EPKiPiPKlPlN2at6native12_GLOBAL__N_18offset_tEEE10hipError_tPvRmT1_PNSt15iterator_traitsISY_E10value_typeET2_T3_PNSZ_IS14_E10value_typeET4_jRbjT5_S1A_jjP12ihipStream_tbEUljE_EEESV_SW_SX_S14_S18_S1A_T6_T7_T9_mT8_S1C_bDpT10_ENKUlT_T0_E_clISt17integral_constantIbLb1EES1P_EEDaS1K_S1L_EUlS1K_E_NS1_11comp_targetILNS1_3genE5ELNS1_11target_archE942ELNS1_3gpuE9ELNS1_3repE0EEENS1_30default_config_static_selectorELNS0_4arch9wavefront6targetE0EEEvSY_: ; @_ZN7rocprim17ROCPRIM_400000_NS6detail17trampoline_kernelINS0_13select_configILj256ELj13ELNS0_17block_load_methodE3ELS4_3ELS4_3ELNS0_20block_scan_algorithmE0ELj4294967295EEENS1_25partition_config_selectorILNS1_17partition_subalgoE3EjNS0_10empty_typeEbEEZZNS1_14partition_implILS8_3ELb0ES6_jNS0_17counting_iteratorIjlEEPS9_SE_NS0_5tupleIJPjSE_EEENSF_IJSE_SE_EEES9_SG_JZNS1_25segmented_radix_sort_implINS0_14default_configELb1EPKiPiPKlPlN2at6native12_GLOBAL__N_18offset_tEEE10hipError_tPvRmT1_PNSt15iterator_traitsISY_E10value_typeET2_T3_PNSZ_IS14_E10value_typeET4_jRbjT5_S1A_jjP12ihipStream_tbEUljE_EEESV_SW_SX_S14_S18_S1A_T6_T7_T9_mT8_S1C_bDpT10_ENKUlT_T0_E_clISt17integral_constantIbLb1EES1P_EEDaS1K_S1L_EUlS1K_E_NS1_11comp_targetILNS1_3genE5ELNS1_11target_archE942ELNS1_3gpuE9ELNS1_3repE0EEENS1_30default_config_static_selectorELNS0_4arch9wavefront6targetE0EEEvSY_
; %bb.0:
	.section	.rodata,"a",@progbits
	.p2align	6, 0x0
	.amdhsa_kernel _ZN7rocprim17ROCPRIM_400000_NS6detail17trampoline_kernelINS0_13select_configILj256ELj13ELNS0_17block_load_methodE3ELS4_3ELS4_3ELNS0_20block_scan_algorithmE0ELj4294967295EEENS1_25partition_config_selectorILNS1_17partition_subalgoE3EjNS0_10empty_typeEbEEZZNS1_14partition_implILS8_3ELb0ES6_jNS0_17counting_iteratorIjlEEPS9_SE_NS0_5tupleIJPjSE_EEENSF_IJSE_SE_EEES9_SG_JZNS1_25segmented_radix_sort_implINS0_14default_configELb1EPKiPiPKlPlN2at6native12_GLOBAL__N_18offset_tEEE10hipError_tPvRmT1_PNSt15iterator_traitsISY_E10value_typeET2_T3_PNSZ_IS14_E10value_typeET4_jRbjT5_S1A_jjP12ihipStream_tbEUljE_EEESV_SW_SX_S14_S18_S1A_T6_T7_T9_mT8_S1C_bDpT10_ENKUlT_T0_E_clISt17integral_constantIbLb1EES1P_EEDaS1K_S1L_EUlS1K_E_NS1_11comp_targetILNS1_3genE5ELNS1_11target_archE942ELNS1_3gpuE9ELNS1_3repE0EEENS1_30default_config_static_selectorELNS0_4arch9wavefront6targetE0EEEvSY_
		.amdhsa_group_segment_fixed_size 0
		.amdhsa_private_segment_fixed_size 0
		.amdhsa_kernarg_size 152
		.amdhsa_user_sgpr_count 6
		.amdhsa_user_sgpr_private_segment_buffer 1
		.amdhsa_user_sgpr_dispatch_ptr 0
		.amdhsa_user_sgpr_queue_ptr 0
		.amdhsa_user_sgpr_kernarg_segment_ptr 1
		.amdhsa_user_sgpr_dispatch_id 0
		.amdhsa_user_sgpr_flat_scratch_init 0
		.amdhsa_user_sgpr_private_segment_size 0
		.amdhsa_wavefront_size32 1
		.amdhsa_uses_dynamic_stack 0
		.amdhsa_system_sgpr_private_segment_wavefront_offset 0
		.amdhsa_system_sgpr_workgroup_id_x 1
		.amdhsa_system_sgpr_workgroup_id_y 0
		.amdhsa_system_sgpr_workgroup_id_z 0
		.amdhsa_system_sgpr_workgroup_info 0
		.amdhsa_system_vgpr_workitem_id 0
		.amdhsa_next_free_vgpr 1
		.amdhsa_next_free_sgpr 1
		.amdhsa_reserve_vcc 0
		.amdhsa_reserve_flat_scratch 0
		.amdhsa_float_round_mode_32 0
		.amdhsa_float_round_mode_16_64 0
		.amdhsa_float_denorm_mode_32 3
		.amdhsa_float_denorm_mode_16_64 3
		.amdhsa_dx10_clamp 1
		.amdhsa_ieee_mode 1
		.amdhsa_fp16_overflow 0
		.amdhsa_workgroup_processor_mode 1
		.amdhsa_memory_ordered 1
		.amdhsa_forward_progress 1
		.amdhsa_shared_vgpr_count 0
		.amdhsa_exception_fp_ieee_invalid_op 0
		.amdhsa_exception_fp_denorm_src 0
		.amdhsa_exception_fp_ieee_div_zero 0
		.amdhsa_exception_fp_ieee_overflow 0
		.amdhsa_exception_fp_ieee_underflow 0
		.amdhsa_exception_fp_ieee_inexact 0
		.amdhsa_exception_int_div_zero 0
	.end_amdhsa_kernel
	.section	.text._ZN7rocprim17ROCPRIM_400000_NS6detail17trampoline_kernelINS0_13select_configILj256ELj13ELNS0_17block_load_methodE3ELS4_3ELS4_3ELNS0_20block_scan_algorithmE0ELj4294967295EEENS1_25partition_config_selectorILNS1_17partition_subalgoE3EjNS0_10empty_typeEbEEZZNS1_14partition_implILS8_3ELb0ES6_jNS0_17counting_iteratorIjlEEPS9_SE_NS0_5tupleIJPjSE_EEENSF_IJSE_SE_EEES9_SG_JZNS1_25segmented_radix_sort_implINS0_14default_configELb1EPKiPiPKlPlN2at6native12_GLOBAL__N_18offset_tEEE10hipError_tPvRmT1_PNSt15iterator_traitsISY_E10value_typeET2_T3_PNSZ_IS14_E10value_typeET4_jRbjT5_S1A_jjP12ihipStream_tbEUljE_EEESV_SW_SX_S14_S18_S1A_T6_T7_T9_mT8_S1C_bDpT10_ENKUlT_T0_E_clISt17integral_constantIbLb1EES1P_EEDaS1K_S1L_EUlS1K_E_NS1_11comp_targetILNS1_3genE5ELNS1_11target_archE942ELNS1_3gpuE9ELNS1_3repE0EEENS1_30default_config_static_selectorELNS0_4arch9wavefront6targetE0EEEvSY_,"axG",@progbits,_ZN7rocprim17ROCPRIM_400000_NS6detail17trampoline_kernelINS0_13select_configILj256ELj13ELNS0_17block_load_methodE3ELS4_3ELS4_3ELNS0_20block_scan_algorithmE0ELj4294967295EEENS1_25partition_config_selectorILNS1_17partition_subalgoE3EjNS0_10empty_typeEbEEZZNS1_14partition_implILS8_3ELb0ES6_jNS0_17counting_iteratorIjlEEPS9_SE_NS0_5tupleIJPjSE_EEENSF_IJSE_SE_EEES9_SG_JZNS1_25segmented_radix_sort_implINS0_14default_configELb1EPKiPiPKlPlN2at6native12_GLOBAL__N_18offset_tEEE10hipError_tPvRmT1_PNSt15iterator_traitsISY_E10value_typeET2_T3_PNSZ_IS14_E10value_typeET4_jRbjT5_S1A_jjP12ihipStream_tbEUljE_EEESV_SW_SX_S14_S18_S1A_T6_T7_T9_mT8_S1C_bDpT10_ENKUlT_T0_E_clISt17integral_constantIbLb1EES1P_EEDaS1K_S1L_EUlS1K_E_NS1_11comp_targetILNS1_3genE5ELNS1_11target_archE942ELNS1_3gpuE9ELNS1_3repE0EEENS1_30default_config_static_selectorELNS0_4arch9wavefront6targetE0EEEvSY_,comdat
.Lfunc_end470:
	.size	_ZN7rocprim17ROCPRIM_400000_NS6detail17trampoline_kernelINS0_13select_configILj256ELj13ELNS0_17block_load_methodE3ELS4_3ELS4_3ELNS0_20block_scan_algorithmE0ELj4294967295EEENS1_25partition_config_selectorILNS1_17partition_subalgoE3EjNS0_10empty_typeEbEEZZNS1_14partition_implILS8_3ELb0ES6_jNS0_17counting_iteratorIjlEEPS9_SE_NS0_5tupleIJPjSE_EEENSF_IJSE_SE_EEES9_SG_JZNS1_25segmented_radix_sort_implINS0_14default_configELb1EPKiPiPKlPlN2at6native12_GLOBAL__N_18offset_tEEE10hipError_tPvRmT1_PNSt15iterator_traitsISY_E10value_typeET2_T3_PNSZ_IS14_E10value_typeET4_jRbjT5_S1A_jjP12ihipStream_tbEUljE_EEESV_SW_SX_S14_S18_S1A_T6_T7_T9_mT8_S1C_bDpT10_ENKUlT_T0_E_clISt17integral_constantIbLb1EES1P_EEDaS1K_S1L_EUlS1K_E_NS1_11comp_targetILNS1_3genE5ELNS1_11target_archE942ELNS1_3gpuE9ELNS1_3repE0EEENS1_30default_config_static_selectorELNS0_4arch9wavefront6targetE0EEEvSY_, .Lfunc_end470-_ZN7rocprim17ROCPRIM_400000_NS6detail17trampoline_kernelINS0_13select_configILj256ELj13ELNS0_17block_load_methodE3ELS4_3ELS4_3ELNS0_20block_scan_algorithmE0ELj4294967295EEENS1_25partition_config_selectorILNS1_17partition_subalgoE3EjNS0_10empty_typeEbEEZZNS1_14partition_implILS8_3ELb0ES6_jNS0_17counting_iteratorIjlEEPS9_SE_NS0_5tupleIJPjSE_EEENSF_IJSE_SE_EEES9_SG_JZNS1_25segmented_radix_sort_implINS0_14default_configELb1EPKiPiPKlPlN2at6native12_GLOBAL__N_18offset_tEEE10hipError_tPvRmT1_PNSt15iterator_traitsISY_E10value_typeET2_T3_PNSZ_IS14_E10value_typeET4_jRbjT5_S1A_jjP12ihipStream_tbEUljE_EEESV_SW_SX_S14_S18_S1A_T6_T7_T9_mT8_S1C_bDpT10_ENKUlT_T0_E_clISt17integral_constantIbLb1EES1P_EEDaS1K_S1L_EUlS1K_E_NS1_11comp_targetILNS1_3genE5ELNS1_11target_archE942ELNS1_3gpuE9ELNS1_3repE0EEENS1_30default_config_static_selectorELNS0_4arch9wavefront6targetE0EEEvSY_
                                        ; -- End function
	.set _ZN7rocprim17ROCPRIM_400000_NS6detail17trampoline_kernelINS0_13select_configILj256ELj13ELNS0_17block_load_methodE3ELS4_3ELS4_3ELNS0_20block_scan_algorithmE0ELj4294967295EEENS1_25partition_config_selectorILNS1_17partition_subalgoE3EjNS0_10empty_typeEbEEZZNS1_14partition_implILS8_3ELb0ES6_jNS0_17counting_iteratorIjlEEPS9_SE_NS0_5tupleIJPjSE_EEENSF_IJSE_SE_EEES9_SG_JZNS1_25segmented_radix_sort_implINS0_14default_configELb1EPKiPiPKlPlN2at6native12_GLOBAL__N_18offset_tEEE10hipError_tPvRmT1_PNSt15iterator_traitsISY_E10value_typeET2_T3_PNSZ_IS14_E10value_typeET4_jRbjT5_S1A_jjP12ihipStream_tbEUljE_EEESV_SW_SX_S14_S18_S1A_T6_T7_T9_mT8_S1C_bDpT10_ENKUlT_T0_E_clISt17integral_constantIbLb1EES1P_EEDaS1K_S1L_EUlS1K_E_NS1_11comp_targetILNS1_3genE5ELNS1_11target_archE942ELNS1_3gpuE9ELNS1_3repE0EEENS1_30default_config_static_selectorELNS0_4arch9wavefront6targetE0EEEvSY_.num_vgpr, 0
	.set _ZN7rocprim17ROCPRIM_400000_NS6detail17trampoline_kernelINS0_13select_configILj256ELj13ELNS0_17block_load_methodE3ELS4_3ELS4_3ELNS0_20block_scan_algorithmE0ELj4294967295EEENS1_25partition_config_selectorILNS1_17partition_subalgoE3EjNS0_10empty_typeEbEEZZNS1_14partition_implILS8_3ELb0ES6_jNS0_17counting_iteratorIjlEEPS9_SE_NS0_5tupleIJPjSE_EEENSF_IJSE_SE_EEES9_SG_JZNS1_25segmented_radix_sort_implINS0_14default_configELb1EPKiPiPKlPlN2at6native12_GLOBAL__N_18offset_tEEE10hipError_tPvRmT1_PNSt15iterator_traitsISY_E10value_typeET2_T3_PNSZ_IS14_E10value_typeET4_jRbjT5_S1A_jjP12ihipStream_tbEUljE_EEESV_SW_SX_S14_S18_S1A_T6_T7_T9_mT8_S1C_bDpT10_ENKUlT_T0_E_clISt17integral_constantIbLb1EES1P_EEDaS1K_S1L_EUlS1K_E_NS1_11comp_targetILNS1_3genE5ELNS1_11target_archE942ELNS1_3gpuE9ELNS1_3repE0EEENS1_30default_config_static_selectorELNS0_4arch9wavefront6targetE0EEEvSY_.num_agpr, 0
	.set _ZN7rocprim17ROCPRIM_400000_NS6detail17trampoline_kernelINS0_13select_configILj256ELj13ELNS0_17block_load_methodE3ELS4_3ELS4_3ELNS0_20block_scan_algorithmE0ELj4294967295EEENS1_25partition_config_selectorILNS1_17partition_subalgoE3EjNS0_10empty_typeEbEEZZNS1_14partition_implILS8_3ELb0ES6_jNS0_17counting_iteratorIjlEEPS9_SE_NS0_5tupleIJPjSE_EEENSF_IJSE_SE_EEES9_SG_JZNS1_25segmented_radix_sort_implINS0_14default_configELb1EPKiPiPKlPlN2at6native12_GLOBAL__N_18offset_tEEE10hipError_tPvRmT1_PNSt15iterator_traitsISY_E10value_typeET2_T3_PNSZ_IS14_E10value_typeET4_jRbjT5_S1A_jjP12ihipStream_tbEUljE_EEESV_SW_SX_S14_S18_S1A_T6_T7_T9_mT8_S1C_bDpT10_ENKUlT_T0_E_clISt17integral_constantIbLb1EES1P_EEDaS1K_S1L_EUlS1K_E_NS1_11comp_targetILNS1_3genE5ELNS1_11target_archE942ELNS1_3gpuE9ELNS1_3repE0EEENS1_30default_config_static_selectorELNS0_4arch9wavefront6targetE0EEEvSY_.numbered_sgpr, 0
	.set _ZN7rocprim17ROCPRIM_400000_NS6detail17trampoline_kernelINS0_13select_configILj256ELj13ELNS0_17block_load_methodE3ELS4_3ELS4_3ELNS0_20block_scan_algorithmE0ELj4294967295EEENS1_25partition_config_selectorILNS1_17partition_subalgoE3EjNS0_10empty_typeEbEEZZNS1_14partition_implILS8_3ELb0ES6_jNS0_17counting_iteratorIjlEEPS9_SE_NS0_5tupleIJPjSE_EEENSF_IJSE_SE_EEES9_SG_JZNS1_25segmented_radix_sort_implINS0_14default_configELb1EPKiPiPKlPlN2at6native12_GLOBAL__N_18offset_tEEE10hipError_tPvRmT1_PNSt15iterator_traitsISY_E10value_typeET2_T3_PNSZ_IS14_E10value_typeET4_jRbjT5_S1A_jjP12ihipStream_tbEUljE_EEESV_SW_SX_S14_S18_S1A_T6_T7_T9_mT8_S1C_bDpT10_ENKUlT_T0_E_clISt17integral_constantIbLb1EES1P_EEDaS1K_S1L_EUlS1K_E_NS1_11comp_targetILNS1_3genE5ELNS1_11target_archE942ELNS1_3gpuE9ELNS1_3repE0EEENS1_30default_config_static_selectorELNS0_4arch9wavefront6targetE0EEEvSY_.num_named_barrier, 0
	.set _ZN7rocprim17ROCPRIM_400000_NS6detail17trampoline_kernelINS0_13select_configILj256ELj13ELNS0_17block_load_methodE3ELS4_3ELS4_3ELNS0_20block_scan_algorithmE0ELj4294967295EEENS1_25partition_config_selectorILNS1_17partition_subalgoE3EjNS0_10empty_typeEbEEZZNS1_14partition_implILS8_3ELb0ES6_jNS0_17counting_iteratorIjlEEPS9_SE_NS0_5tupleIJPjSE_EEENSF_IJSE_SE_EEES9_SG_JZNS1_25segmented_radix_sort_implINS0_14default_configELb1EPKiPiPKlPlN2at6native12_GLOBAL__N_18offset_tEEE10hipError_tPvRmT1_PNSt15iterator_traitsISY_E10value_typeET2_T3_PNSZ_IS14_E10value_typeET4_jRbjT5_S1A_jjP12ihipStream_tbEUljE_EEESV_SW_SX_S14_S18_S1A_T6_T7_T9_mT8_S1C_bDpT10_ENKUlT_T0_E_clISt17integral_constantIbLb1EES1P_EEDaS1K_S1L_EUlS1K_E_NS1_11comp_targetILNS1_3genE5ELNS1_11target_archE942ELNS1_3gpuE9ELNS1_3repE0EEENS1_30default_config_static_selectorELNS0_4arch9wavefront6targetE0EEEvSY_.private_seg_size, 0
	.set _ZN7rocprim17ROCPRIM_400000_NS6detail17trampoline_kernelINS0_13select_configILj256ELj13ELNS0_17block_load_methodE3ELS4_3ELS4_3ELNS0_20block_scan_algorithmE0ELj4294967295EEENS1_25partition_config_selectorILNS1_17partition_subalgoE3EjNS0_10empty_typeEbEEZZNS1_14partition_implILS8_3ELb0ES6_jNS0_17counting_iteratorIjlEEPS9_SE_NS0_5tupleIJPjSE_EEENSF_IJSE_SE_EEES9_SG_JZNS1_25segmented_radix_sort_implINS0_14default_configELb1EPKiPiPKlPlN2at6native12_GLOBAL__N_18offset_tEEE10hipError_tPvRmT1_PNSt15iterator_traitsISY_E10value_typeET2_T3_PNSZ_IS14_E10value_typeET4_jRbjT5_S1A_jjP12ihipStream_tbEUljE_EEESV_SW_SX_S14_S18_S1A_T6_T7_T9_mT8_S1C_bDpT10_ENKUlT_T0_E_clISt17integral_constantIbLb1EES1P_EEDaS1K_S1L_EUlS1K_E_NS1_11comp_targetILNS1_3genE5ELNS1_11target_archE942ELNS1_3gpuE9ELNS1_3repE0EEENS1_30default_config_static_selectorELNS0_4arch9wavefront6targetE0EEEvSY_.uses_vcc, 0
	.set _ZN7rocprim17ROCPRIM_400000_NS6detail17trampoline_kernelINS0_13select_configILj256ELj13ELNS0_17block_load_methodE3ELS4_3ELS4_3ELNS0_20block_scan_algorithmE0ELj4294967295EEENS1_25partition_config_selectorILNS1_17partition_subalgoE3EjNS0_10empty_typeEbEEZZNS1_14partition_implILS8_3ELb0ES6_jNS0_17counting_iteratorIjlEEPS9_SE_NS0_5tupleIJPjSE_EEENSF_IJSE_SE_EEES9_SG_JZNS1_25segmented_radix_sort_implINS0_14default_configELb1EPKiPiPKlPlN2at6native12_GLOBAL__N_18offset_tEEE10hipError_tPvRmT1_PNSt15iterator_traitsISY_E10value_typeET2_T3_PNSZ_IS14_E10value_typeET4_jRbjT5_S1A_jjP12ihipStream_tbEUljE_EEESV_SW_SX_S14_S18_S1A_T6_T7_T9_mT8_S1C_bDpT10_ENKUlT_T0_E_clISt17integral_constantIbLb1EES1P_EEDaS1K_S1L_EUlS1K_E_NS1_11comp_targetILNS1_3genE5ELNS1_11target_archE942ELNS1_3gpuE9ELNS1_3repE0EEENS1_30default_config_static_selectorELNS0_4arch9wavefront6targetE0EEEvSY_.uses_flat_scratch, 0
	.set _ZN7rocprim17ROCPRIM_400000_NS6detail17trampoline_kernelINS0_13select_configILj256ELj13ELNS0_17block_load_methodE3ELS4_3ELS4_3ELNS0_20block_scan_algorithmE0ELj4294967295EEENS1_25partition_config_selectorILNS1_17partition_subalgoE3EjNS0_10empty_typeEbEEZZNS1_14partition_implILS8_3ELb0ES6_jNS0_17counting_iteratorIjlEEPS9_SE_NS0_5tupleIJPjSE_EEENSF_IJSE_SE_EEES9_SG_JZNS1_25segmented_radix_sort_implINS0_14default_configELb1EPKiPiPKlPlN2at6native12_GLOBAL__N_18offset_tEEE10hipError_tPvRmT1_PNSt15iterator_traitsISY_E10value_typeET2_T3_PNSZ_IS14_E10value_typeET4_jRbjT5_S1A_jjP12ihipStream_tbEUljE_EEESV_SW_SX_S14_S18_S1A_T6_T7_T9_mT8_S1C_bDpT10_ENKUlT_T0_E_clISt17integral_constantIbLb1EES1P_EEDaS1K_S1L_EUlS1K_E_NS1_11comp_targetILNS1_3genE5ELNS1_11target_archE942ELNS1_3gpuE9ELNS1_3repE0EEENS1_30default_config_static_selectorELNS0_4arch9wavefront6targetE0EEEvSY_.has_dyn_sized_stack, 0
	.set _ZN7rocprim17ROCPRIM_400000_NS6detail17trampoline_kernelINS0_13select_configILj256ELj13ELNS0_17block_load_methodE3ELS4_3ELS4_3ELNS0_20block_scan_algorithmE0ELj4294967295EEENS1_25partition_config_selectorILNS1_17partition_subalgoE3EjNS0_10empty_typeEbEEZZNS1_14partition_implILS8_3ELb0ES6_jNS0_17counting_iteratorIjlEEPS9_SE_NS0_5tupleIJPjSE_EEENSF_IJSE_SE_EEES9_SG_JZNS1_25segmented_radix_sort_implINS0_14default_configELb1EPKiPiPKlPlN2at6native12_GLOBAL__N_18offset_tEEE10hipError_tPvRmT1_PNSt15iterator_traitsISY_E10value_typeET2_T3_PNSZ_IS14_E10value_typeET4_jRbjT5_S1A_jjP12ihipStream_tbEUljE_EEESV_SW_SX_S14_S18_S1A_T6_T7_T9_mT8_S1C_bDpT10_ENKUlT_T0_E_clISt17integral_constantIbLb1EES1P_EEDaS1K_S1L_EUlS1K_E_NS1_11comp_targetILNS1_3genE5ELNS1_11target_archE942ELNS1_3gpuE9ELNS1_3repE0EEENS1_30default_config_static_selectorELNS0_4arch9wavefront6targetE0EEEvSY_.has_recursion, 0
	.set _ZN7rocprim17ROCPRIM_400000_NS6detail17trampoline_kernelINS0_13select_configILj256ELj13ELNS0_17block_load_methodE3ELS4_3ELS4_3ELNS0_20block_scan_algorithmE0ELj4294967295EEENS1_25partition_config_selectorILNS1_17partition_subalgoE3EjNS0_10empty_typeEbEEZZNS1_14partition_implILS8_3ELb0ES6_jNS0_17counting_iteratorIjlEEPS9_SE_NS0_5tupleIJPjSE_EEENSF_IJSE_SE_EEES9_SG_JZNS1_25segmented_radix_sort_implINS0_14default_configELb1EPKiPiPKlPlN2at6native12_GLOBAL__N_18offset_tEEE10hipError_tPvRmT1_PNSt15iterator_traitsISY_E10value_typeET2_T3_PNSZ_IS14_E10value_typeET4_jRbjT5_S1A_jjP12ihipStream_tbEUljE_EEESV_SW_SX_S14_S18_S1A_T6_T7_T9_mT8_S1C_bDpT10_ENKUlT_T0_E_clISt17integral_constantIbLb1EES1P_EEDaS1K_S1L_EUlS1K_E_NS1_11comp_targetILNS1_3genE5ELNS1_11target_archE942ELNS1_3gpuE9ELNS1_3repE0EEENS1_30default_config_static_selectorELNS0_4arch9wavefront6targetE0EEEvSY_.has_indirect_call, 0
	.section	.AMDGPU.csdata,"",@progbits
; Kernel info:
; codeLenInByte = 0
; TotalNumSgprs: 0
; NumVgprs: 0
; ScratchSize: 0
; MemoryBound: 0
; FloatMode: 240
; IeeeMode: 1
; LDSByteSize: 0 bytes/workgroup (compile time only)
; SGPRBlocks: 0
; VGPRBlocks: 0
; NumSGPRsForWavesPerEU: 1
; NumVGPRsForWavesPerEU: 1
; Occupancy: 16
; WaveLimiterHint : 0
; COMPUTE_PGM_RSRC2:SCRATCH_EN: 0
; COMPUTE_PGM_RSRC2:USER_SGPR: 6
; COMPUTE_PGM_RSRC2:TRAP_HANDLER: 0
; COMPUTE_PGM_RSRC2:TGID_X_EN: 1
; COMPUTE_PGM_RSRC2:TGID_Y_EN: 0
; COMPUTE_PGM_RSRC2:TGID_Z_EN: 0
; COMPUTE_PGM_RSRC2:TIDIG_COMP_CNT: 0
	.section	.text._ZN7rocprim17ROCPRIM_400000_NS6detail17trampoline_kernelINS0_13select_configILj256ELj13ELNS0_17block_load_methodE3ELS4_3ELS4_3ELNS0_20block_scan_algorithmE0ELj4294967295EEENS1_25partition_config_selectorILNS1_17partition_subalgoE3EjNS0_10empty_typeEbEEZZNS1_14partition_implILS8_3ELb0ES6_jNS0_17counting_iteratorIjlEEPS9_SE_NS0_5tupleIJPjSE_EEENSF_IJSE_SE_EEES9_SG_JZNS1_25segmented_radix_sort_implINS0_14default_configELb1EPKiPiPKlPlN2at6native12_GLOBAL__N_18offset_tEEE10hipError_tPvRmT1_PNSt15iterator_traitsISY_E10value_typeET2_T3_PNSZ_IS14_E10value_typeET4_jRbjT5_S1A_jjP12ihipStream_tbEUljE_EEESV_SW_SX_S14_S18_S1A_T6_T7_T9_mT8_S1C_bDpT10_ENKUlT_T0_E_clISt17integral_constantIbLb1EES1P_EEDaS1K_S1L_EUlS1K_E_NS1_11comp_targetILNS1_3genE4ELNS1_11target_archE910ELNS1_3gpuE8ELNS1_3repE0EEENS1_30default_config_static_selectorELNS0_4arch9wavefront6targetE0EEEvSY_,"axG",@progbits,_ZN7rocprim17ROCPRIM_400000_NS6detail17trampoline_kernelINS0_13select_configILj256ELj13ELNS0_17block_load_methodE3ELS4_3ELS4_3ELNS0_20block_scan_algorithmE0ELj4294967295EEENS1_25partition_config_selectorILNS1_17partition_subalgoE3EjNS0_10empty_typeEbEEZZNS1_14partition_implILS8_3ELb0ES6_jNS0_17counting_iteratorIjlEEPS9_SE_NS0_5tupleIJPjSE_EEENSF_IJSE_SE_EEES9_SG_JZNS1_25segmented_radix_sort_implINS0_14default_configELb1EPKiPiPKlPlN2at6native12_GLOBAL__N_18offset_tEEE10hipError_tPvRmT1_PNSt15iterator_traitsISY_E10value_typeET2_T3_PNSZ_IS14_E10value_typeET4_jRbjT5_S1A_jjP12ihipStream_tbEUljE_EEESV_SW_SX_S14_S18_S1A_T6_T7_T9_mT8_S1C_bDpT10_ENKUlT_T0_E_clISt17integral_constantIbLb1EES1P_EEDaS1K_S1L_EUlS1K_E_NS1_11comp_targetILNS1_3genE4ELNS1_11target_archE910ELNS1_3gpuE8ELNS1_3repE0EEENS1_30default_config_static_selectorELNS0_4arch9wavefront6targetE0EEEvSY_,comdat
	.globl	_ZN7rocprim17ROCPRIM_400000_NS6detail17trampoline_kernelINS0_13select_configILj256ELj13ELNS0_17block_load_methodE3ELS4_3ELS4_3ELNS0_20block_scan_algorithmE0ELj4294967295EEENS1_25partition_config_selectorILNS1_17partition_subalgoE3EjNS0_10empty_typeEbEEZZNS1_14partition_implILS8_3ELb0ES6_jNS0_17counting_iteratorIjlEEPS9_SE_NS0_5tupleIJPjSE_EEENSF_IJSE_SE_EEES9_SG_JZNS1_25segmented_radix_sort_implINS0_14default_configELb1EPKiPiPKlPlN2at6native12_GLOBAL__N_18offset_tEEE10hipError_tPvRmT1_PNSt15iterator_traitsISY_E10value_typeET2_T3_PNSZ_IS14_E10value_typeET4_jRbjT5_S1A_jjP12ihipStream_tbEUljE_EEESV_SW_SX_S14_S18_S1A_T6_T7_T9_mT8_S1C_bDpT10_ENKUlT_T0_E_clISt17integral_constantIbLb1EES1P_EEDaS1K_S1L_EUlS1K_E_NS1_11comp_targetILNS1_3genE4ELNS1_11target_archE910ELNS1_3gpuE8ELNS1_3repE0EEENS1_30default_config_static_selectorELNS0_4arch9wavefront6targetE0EEEvSY_ ; -- Begin function _ZN7rocprim17ROCPRIM_400000_NS6detail17trampoline_kernelINS0_13select_configILj256ELj13ELNS0_17block_load_methodE3ELS4_3ELS4_3ELNS0_20block_scan_algorithmE0ELj4294967295EEENS1_25partition_config_selectorILNS1_17partition_subalgoE3EjNS0_10empty_typeEbEEZZNS1_14partition_implILS8_3ELb0ES6_jNS0_17counting_iteratorIjlEEPS9_SE_NS0_5tupleIJPjSE_EEENSF_IJSE_SE_EEES9_SG_JZNS1_25segmented_radix_sort_implINS0_14default_configELb1EPKiPiPKlPlN2at6native12_GLOBAL__N_18offset_tEEE10hipError_tPvRmT1_PNSt15iterator_traitsISY_E10value_typeET2_T3_PNSZ_IS14_E10value_typeET4_jRbjT5_S1A_jjP12ihipStream_tbEUljE_EEESV_SW_SX_S14_S18_S1A_T6_T7_T9_mT8_S1C_bDpT10_ENKUlT_T0_E_clISt17integral_constantIbLb1EES1P_EEDaS1K_S1L_EUlS1K_E_NS1_11comp_targetILNS1_3genE4ELNS1_11target_archE910ELNS1_3gpuE8ELNS1_3repE0EEENS1_30default_config_static_selectorELNS0_4arch9wavefront6targetE0EEEvSY_
	.p2align	8
	.type	_ZN7rocprim17ROCPRIM_400000_NS6detail17trampoline_kernelINS0_13select_configILj256ELj13ELNS0_17block_load_methodE3ELS4_3ELS4_3ELNS0_20block_scan_algorithmE0ELj4294967295EEENS1_25partition_config_selectorILNS1_17partition_subalgoE3EjNS0_10empty_typeEbEEZZNS1_14partition_implILS8_3ELb0ES6_jNS0_17counting_iteratorIjlEEPS9_SE_NS0_5tupleIJPjSE_EEENSF_IJSE_SE_EEES9_SG_JZNS1_25segmented_radix_sort_implINS0_14default_configELb1EPKiPiPKlPlN2at6native12_GLOBAL__N_18offset_tEEE10hipError_tPvRmT1_PNSt15iterator_traitsISY_E10value_typeET2_T3_PNSZ_IS14_E10value_typeET4_jRbjT5_S1A_jjP12ihipStream_tbEUljE_EEESV_SW_SX_S14_S18_S1A_T6_T7_T9_mT8_S1C_bDpT10_ENKUlT_T0_E_clISt17integral_constantIbLb1EES1P_EEDaS1K_S1L_EUlS1K_E_NS1_11comp_targetILNS1_3genE4ELNS1_11target_archE910ELNS1_3gpuE8ELNS1_3repE0EEENS1_30default_config_static_selectorELNS0_4arch9wavefront6targetE0EEEvSY_,@function
_ZN7rocprim17ROCPRIM_400000_NS6detail17trampoline_kernelINS0_13select_configILj256ELj13ELNS0_17block_load_methodE3ELS4_3ELS4_3ELNS0_20block_scan_algorithmE0ELj4294967295EEENS1_25partition_config_selectorILNS1_17partition_subalgoE3EjNS0_10empty_typeEbEEZZNS1_14partition_implILS8_3ELb0ES6_jNS0_17counting_iteratorIjlEEPS9_SE_NS0_5tupleIJPjSE_EEENSF_IJSE_SE_EEES9_SG_JZNS1_25segmented_radix_sort_implINS0_14default_configELb1EPKiPiPKlPlN2at6native12_GLOBAL__N_18offset_tEEE10hipError_tPvRmT1_PNSt15iterator_traitsISY_E10value_typeET2_T3_PNSZ_IS14_E10value_typeET4_jRbjT5_S1A_jjP12ihipStream_tbEUljE_EEESV_SW_SX_S14_S18_S1A_T6_T7_T9_mT8_S1C_bDpT10_ENKUlT_T0_E_clISt17integral_constantIbLb1EES1P_EEDaS1K_S1L_EUlS1K_E_NS1_11comp_targetILNS1_3genE4ELNS1_11target_archE910ELNS1_3gpuE8ELNS1_3repE0EEENS1_30default_config_static_selectorELNS0_4arch9wavefront6targetE0EEEvSY_: ; @_ZN7rocprim17ROCPRIM_400000_NS6detail17trampoline_kernelINS0_13select_configILj256ELj13ELNS0_17block_load_methodE3ELS4_3ELS4_3ELNS0_20block_scan_algorithmE0ELj4294967295EEENS1_25partition_config_selectorILNS1_17partition_subalgoE3EjNS0_10empty_typeEbEEZZNS1_14partition_implILS8_3ELb0ES6_jNS0_17counting_iteratorIjlEEPS9_SE_NS0_5tupleIJPjSE_EEENSF_IJSE_SE_EEES9_SG_JZNS1_25segmented_radix_sort_implINS0_14default_configELb1EPKiPiPKlPlN2at6native12_GLOBAL__N_18offset_tEEE10hipError_tPvRmT1_PNSt15iterator_traitsISY_E10value_typeET2_T3_PNSZ_IS14_E10value_typeET4_jRbjT5_S1A_jjP12ihipStream_tbEUljE_EEESV_SW_SX_S14_S18_S1A_T6_T7_T9_mT8_S1C_bDpT10_ENKUlT_T0_E_clISt17integral_constantIbLb1EES1P_EEDaS1K_S1L_EUlS1K_E_NS1_11comp_targetILNS1_3genE4ELNS1_11target_archE910ELNS1_3gpuE8ELNS1_3repE0EEENS1_30default_config_static_selectorELNS0_4arch9wavefront6targetE0EEEvSY_
; %bb.0:
	.section	.rodata,"a",@progbits
	.p2align	6, 0x0
	.amdhsa_kernel _ZN7rocprim17ROCPRIM_400000_NS6detail17trampoline_kernelINS0_13select_configILj256ELj13ELNS0_17block_load_methodE3ELS4_3ELS4_3ELNS0_20block_scan_algorithmE0ELj4294967295EEENS1_25partition_config_selectorILNS1_17partition_subalgoE3EjNS0_10empty_typeEbEEZZNS1_14partition_implILS8_3ELb0ES6_jNS0_17counting_iteratorIjlEEPS9_SE_NS0_5tupleIJPjSE_EEENSF_IJSE_SE_EEES9_SG_JZNS1_25segmented_radix_sort_implINS0_14default_configELb1EPKiPiPKlPlN2at6native12_GLOBAL__N_18offset_tEEE10hipError_tPvRmT1_PNSt15iterator_traitsISY_E10value_typeET2_T3_PNSZ_IS14_E10value_typeET4_jRbjT5_S1A_jjP12ihipStream_tbEUljE_EEESV_SW_SX_S14_S18_S1A_T6_T7_T9_mT8_S1C_bDpT10_ENKUlT_T0_E_clISt17integral_constantIbLb1EES1P_EEDaS1K_S1L_EUlS1K_E_NS1_11comp_targetILNS1_3genE4ELNS1_11target_archE910ELNS1_3gpuE8ELNS1_3repE0EEENS1_30default_config_static_selectorELNS0_4arch9wavefront6targetE0EEEvSY_
		.amdhsa_group_segment_fixed_size 0
		.amdhsa_private_segment_fixed_size 0
		.amdhsa_kernarg_size 152
		.amdhsa_user_sgpr_count 6
		.amdhsa_user_sgpr_private_segment_buffer 1
		.amdhsa_user_sgpr_dispatch_ptr 0
		.amdhsa_user_sgpr_queue_ptr 0
		.amdhsa_user_sgpr_kernarg_segment_ptr 1
		.amdhsa_user_sgpr_dispatch_id 0
		.amdhsa_user_sgpr_flat_scratch_init 0
		.amdhsa_user_sgpr_private_segment_size 0
		.amdhsa_wavefront_size32 1
		.amdhsa_uses_dynamic_stack 0
		.amdhsa_system_sgpr_private_segment_wavefront_offset 0
		.amdhsa_system_sgpr_workgroup_id_x 1
		.amdhsa_system_sgpr_workgroup_id_y 0
		.amdhsa_system_sgpr_workgroup_id_z 0
		.amdhsa_system_sgpr_workgroup_info 0
		.amdhsa_system_vgpr_workitem_id 0
		.amdhsa_next_free_vgpr 1
		.amdhsa_next_free_sgpr 1
		.amdhsa_reserve_vcc 0
		.amdhsa_reserve_flat_scratch 0
		.amdhsa_float_round_mode_32 0
		.amdhsa_float_round_mode_16_64 0
		.amdhsa_float_denorm_mode_32 3
		.amdhsa_float_denorm_mode_16_64 3
		.amdhsa_dx10_clamp 1
		.amdhsa_ieee_mode 1
		.amdhsa_fp16_overflow 0
		.amdhsa_workgroup_processor_mode 1
		.amdhsa_memory_ordered 1
		.amdhsa_forward_progress 1
		.amdhsa_shared_vgpr_count 0
		.amdhsa_exception_fp_ieee_invalid_op 0
		.amdhsa_exception_fp_denorm_src 0
		.amdhsa_exception_fp_ieee_div_zero 0
		.amdhsa_exception_fp_ieee_overflow 0
		.amdhsa_exception_fp_ieee_underflow 0
		.amdhsa_exception_fp_ieee_inexact 0
		.amdhsa_exception_int_div_zero 0
	.end_amdhsa_kernel
	.section	.text._ZN7rocprim17ROCPRIM_400000_NS6detail17trampoline_kernelINS0_13select_configILj256ELj13ELNS0_17block_load_methodE3ELS4_3ELS4_3ELNS0_20block_scan_algorithmE0ELj4294967295EEENS1_25partition_config_selectorILNS1_17partition_subalgoE3EjNS0_10empty_typeEbEEZZNS1_14partition_implILS8_3ELb0ES6_jNS0_17counting_iteratorIjlEEPS9_SE_NS0_5tupleIJPjSE_EEENSF_IJSE_SE_EEES9_SG_JZNS1_25segmented_radix_sort_implINS0_14default_configELb1EPKiPiPKlPlN2at6native12_GLOBAL__N_18offset_tEEE10hipError_tPvRmT1_PNSt15iterator_traitsISY_E10value_typeET2_T3_PNSZ_IS14_E10value_typeET4_jRbjT5_S1A_jjP12ihipStream_tbEUljE_EEESV_SW_SX_S14_S18_S1A_T6_T7_T9_mT8_S1C_bDpT10_ENKUlT_T0_E_clISt17integral_constantIbLb1EES1P_EEDaS1K_S1L_EUlS1K_E_NS1_11comp_targetILNS1_3genE4ELNS1_11target_archE910ELNS1_3gpuE8ELNS1_3repE0EEENS1_30default_config_static_selectorELNS0_4arch9wavefront6targetE0EEEvSY_,"axG",@progbits,_ZN7rocprim17ROCPRIM_400000_NS6detail17trampoline_kernelINS0_13select_configILj256ELj13ELNS0_17block_load_methodE3ELS4_3ELS4_3ELNS0_20block_scan_algorithmE0ELj4294967295EEENS1_25partition_config_selectorILNS1_17partition_subalgoE3EjNS0_10empty_typeEbEEZZNS1_14partition_implILS8_3ELb0ES6_jNS0_17counting_iteratorIjlEEPS9_SE_NS0_5tupleIJPjSE_EEENSF_IJSE_SE_EEES9_SG_JZNS1_25segmented_radix_sort_implINS0_14default_configELb1EPKiPiPKlPlN2at6native12_GLOBAL__N_18offset_tEEE10hipError_tPvRmT1_PNSt15iterator_traitsISY_E10value_typeET2_T3_PNSZ_IS14_E10value_typeET4_jRbjT5_S1A_jjP12ihipStream_tbEUljE_EEESV_SW_SX_S14_S18_S1A_T6_T7_T9_mT8_S1C_bDpT10_ENKUlT_T0_E_clISt17integral_constantIbLb1EES1P_EEDaS1K_S1L_EUlS1K_E_NS1_11comp_targetILNS1_3genE4ELNS1_11target_archE910ELNS1_3gpuE8ELNS1_3repE0EEENS1_30default_config_static_selectorELNS0_4arch9wavefront6targetE0EEEvSY_,comdat
.Lfunc_end471:
	.size	_ZN7rocprim17ROCPRIM_400000_NS6detail17trampoline_kernelINS0_13select_configILj256ELj13ELNS0_17block_load_methodE3ELS4_3ELS4_3ELNS0_20block_scan_algorithmE0ELj4294967295EEENS1_25partition_config_selectorILNS1_17partition_subalgoE3EjNS0_10empty_typeEbEEZZNS1_14partition_implILS8_3ELb0ES6_jNS0_17counting_iteratorIjlEEPS9_SE_NS0_5tupleIJPjSE_EEENSF_IJSE_SE_EEES9_SG_JZNS1_25segmented_radix_sort_implINS0_14default_configELb1EPKiPiPKlPlN2at6native12_GLOBAL__N_18offset_tEEE10hipError_tPvRmT1_PNSt15iterator_traitsISY_E10value_typeET2_T3_PNSZ_IS14_E10value_typeET4_jRbjT5_S1A_jjP12ihipStream_tbEUljE_EEESV_SW_SX_S14_S18_S1A_T6_T7_T9_mT8_S1C_bDpT10_ENKUlT_T0_E_clISt17integral_constantIbLb1EES1P_EEDaS1K_S1L_EUlS1K_E_NS1_11comp_targetILNS1_3genE4ELNS1_11target_archE910ELNS1_3gpuE8ELNS1_3repE0EEENS1_30default_config_static_selectorELNS0_4arch9wavefront6targetE0EEEvSY_, .Lfunc_end471-_ZN7rocprim17ROCPRIM_400000_NS6detail17trampoline_kernelINS0_13select_configILj256ELj13ELNS0_17block_load_methodE3ELS4_3ELS4_3ELNS0_20block_scan_algorithmE0ELj4294967295EEENS1_25partition_config_selectorILNS1_17partition_subalgoE3EjNS0_10empty_typeEbEEZZNS1_14partition_implILS8_3ELb0ES6_jNS0_17counting_iteratorIjlEEPS9_SE_NS0_5tupleIJPjSE_EEENSF_IJSE_SE_EEES9_SG_JZNS1_25segmented_radix_sort_implINS0_14default_configELb1EPKiPiPKlPlN2at6native12_GLOBAL__N_18offset_tEEE10hipError_tPvRmT1_PNSt15iterator_traitsISY_E10value_typeET2_T3_PNSZ_IS14_E10value_typeET4_jRbjT5_S1A_jjP12ihipStream_tbEUljE_EEESV_SW_SX_S14_S18_S1A_T6_T7_T9_mT8_S1C_bDpT10_ENKUlT_T0_E_clISt17integral_constantIbLb1EES1P_EEDaS1K_S1L_EUlS1K_E_NS1_11comp_targetILNS1_3genE4ELNS1_11target_archE910ELNS1_3gpuE8ELNS1_3repE0EEENS1_30default_config_static_selectorELNS0_4arch9wavefront6targetE0EEEvSY_
                                        ; -- End function
	.set _ZN7rocprim17ROCPRIM_400000_NS6detail17trampoline_kernelINS0_13select_configILj256ELj13ELNS0_17block_load_methodE3ELS4_3ELS4_3ELNS0_20block_scan_algorithmE0ELj4294967295EEENS1_25partition_config_selectorILNS1_17partition_subalgoE3EjNS0_10empty_typeEbEEZZNS1_14partition_implILS8_3ELb0ES6_jNS0_17counting_iteratorIjlEEPS9_SE_NS0_5tupleIJPjSE_EEENSF_IJSE_SE_EEES9_SG_JZNS1_25segmented_radix_sort_implINS0_14default_configELb1EPKiPiPKlPlN2at6native12_GLOBAL__N_18offset_tEEE10hipError_tPvRmT1_PNSt15iterator_traitsISY_E10value_typeET2_T3_PNSZ_IS14_E10value_typeET4_jRbjT5_S1A_jjP12ihipStream_tbEUljE_EEESV_SW_SX_S14_S18_S1A_T6_T7_T9_mT8_S1C_bDpT10_ENKUlT_T0_E_clISt17integral_constantIbLb1EES1P_EEDaS1K_S1L_EUlS1K_E_NS1_11comp_targetILNS1_3genE4ELNS1_11target_archE910ELNS1_3gpuE8ELNS1_3repE0EEENS1_30default_config_static_selectorELNS0_4arch9wavefront6targetE0EEEvSY_.num_vgpr, 0
	.set _ZN7rocprim17ROCPRIM_400000_NS6detail17trampoline_kernelINS0_13select_configILj256ELj13ELNS0_17block_load_methodE3ELS4_3ELS4_3ELNS0_20block_scan_algorithmE0ELj4294967295EEENS1_25partition_config_selectorILNS1_17partition_subalgoE3EjNS0_10empty_typeEbEEZZNS1_14partition_implILS8_3ELb0ES6_jNS0_17counting_iteratorIjlEEPS9_SE_NS0_5tupleIJPjSE_EEENSF_IJSE_SE_EEES9_SG_JZNS1_25segmented_radix_sort_implINS0_14default_configELb1EPKiPiPKlPlN2at6native12_GLOBAL__N_18offset_tEEE10hipError_tPvRmT1_PNSt15iterator_traitsISY_E10value_typeET2_T3_PNSZ_IS14_E10value_typeET4_jRbjT5_S1A_jjP12ihipStream_tbEUljE_EEESV_SW_SX_S14_S18_S1A_T6_T7_T9_mT8_S1C_bDpT10_ENKUlT_T0_E_clISt17integral_constantIbLb1EES1P_EEDaS1K_S1L_EUlS1K_E_NS1_11comp_targetILNS1_3genE4ELNS1_11target_archE910ELNS1_3gpuE8ELNS1_3repE0EEENS1_30default_config_static_selectorELNS0_4arch9wavefront6targetE0EEEvSY_.num_agpr, 0
	.set _ZN7rocprim17ROCPRIM_400000_NS6detail17trampoline_kernelINS0_13select_configILj256ELj13ELNS0_17block_load_methodE3ELS4_3ELS4_3ELNS0_20block_scan_algorithmE0ELj4294967295EEENS1_25partition_config_selectorILNS1_17partition_subalgoE3EjNS0_10empty_typeEbEEZZNS1_14partition_implILS8_3ELb0ES6_jNS0_17counting_iteratorIjlEEPS9_SE_NS0_5tupleIJPjSE_EEENSF_IJSE_SE_EEES9_SG_JZNS1_25segmented_radix_sort_implINS0_14default_configELb1EPKiPiPKlPlN2at6native12_GLOBAL__N_18offset_tEEE10hipError_tPvRmT1_PNSt15iterator_traitsISY_E10value_typeET2_T3_PNSZ_IS14_E10value_typeET4_jRbjT5_S1A_jjP12ihipStream_tbEUljE_EEESV_SW_SX_S14_S18_S1A_T6_T7_T9_mT8_S1C_bDpT10_ENKUlT_T0_E_clISt17integral_constantIbLb1EES1P_EEDaS1K_S1L_EUlS1K_E_NS1_11comp_targetILNS1_3genE4ELNS1_11target_archE910ELNS1_3gpuE8ELNS1_3repE0EEENS1_30default_config_static_selectorELNS0_4arch9wavefront6targetE0EEEvSY_.numbered_sgpr, 0
	.set _ZN7rocprim17ROCPRIM_400000_NS6detail17trampoline_kernelINS0_13select_configILj256ELj13ELNS0_17block_load_methodE3ELS4_3ELS4_3ELNS0_20block_scan_algorithmE0ELj4294967295EEENS1_25partition_config_selectorILNS1_17partition_subalgoE3EjNS0_10empty_typeEbEEZZNS1_14partition_implILS8_3ELb0ES6_jNS0_17counting_iteratorIjlEEPS9_SE_NS0_5tupleIJPjSE_EEENSF_IJSE_SE_EEES9_SG_JZNS1_25segmented_radix_sort_implINS0_14default_configELb1EPKiPiPKlPlN2at6native12_GLOBAL__N_18offset_tEEE10hipError_tPvRmT1_PNSt15iterator_traitsISY_E10value_typeET2_T3_PNSZ_IS14_E10value_typeET4_jRbjT5_S1A_jjP12ihipStream_tbEUljE_EEESV_SW_SX_S14_S18_S1A_T6_T7_T9_mT8_S1C_bDpT10_ENKUlT_T0_E_clISt17integral_constantIbLb1EES1P_EEDaS1K_S1L_EUlS1K_E_NS1_11comp_targetILNS1_3genE4ELNS1_11target_archE910ELNS1_3gpuE8ELNS1_3repE0EEENS1_30default_config_static_selectorELNS0_4arch9wavefront6targetE0EEEvSY_.num_named_barrier, 0
	.set _ZN7rocprim17ROCPRIM_400000_NS6detail17trampoline_kernelINS0_13select_configILj256ELj13ELNS0_17block_load_methodE3ELS4_3ELS4_3ELNS0_20block_scan_algorithmE0ELj4294967295EEENS1_25partition_config_selectorILNS1_17partition_subalgoE3EjNS0_10empty_typeEbEEZZNS1_14partition_implILS8_3ELb0ES6_jNS0_17counting_iteratorIjlEEPS9_SE_NS0_5tupleIJPjSE_EEENSF_IJSE_SE_EEES9_SG_JZNS1_25segmented_radix_sort_implINS0_14default_configELb1EPKiPiPKlPlN2at6native12_GLOBAL__N_18offset_tEEE10hipError_tPvRmT1_PNSt15iterator_traitsISY_E10value_typeET2_T3_PNSZ_IS14_E10value_typeET4_jRbjT5_S1A_jjP12ihipStream_tbEUljE_EEESV_SW_SX_S14_S18_S1A_T6_T7_T9_mT8_S1C_bDpT10_ENKUlT_T0_E_clISt17integral_constantIbLb1EES1P_EEDaS1K_S1L_EUlS1K_E_NS1_11comp_targetILNS1_3genE4ELNS1_11target_archE910ELNS1_3gpuE8ELNS1_3repE0EEENS1_30default_config_static_selectorELNS0_4arch9wavefront6targetE0EEEvSY_.private_seg_size, 0
	.set _ZN7rocprim17ROCPRIM_400000_NS6detail17trampoline_kernelINS0_13select_configILj256ELj13ELNS0_17block_load_methodE3ELS4_3ELS4_3ELNS0_20block_scan_algorithmE0ELj4294967295EEENS1_25partition_config_selectorILNS1_17partition_subalgoE3EjNS0_10empty_typeEbEEZZNS1_14partition_implILS8_3ELb0ES6_jNS0_17counting_iteratorIjlEEPS9_SE_NS0_5tupleIJPjSE_EEENSF_IJSE_SE_EEES9_SG_JZNS1_25segmented_radix_sort_implINS0_14default_configELb1EPKiPiPKlPlN2at6native12_GLOBAL__N_18offset_tEEE10hipError_tPvRmT1_PNSt15iterator_traitsISY_E10value_typeET2_T3_PNSZ_IS14_E10value_typeET4_jRbjT5_S1A_jjP12ihipStream_tbEUljE_EEESV_SW_SX_S14_S18_S1A_T6_T7_T9_mT8_S1C_bDpT10_ENKUlT_T0_E_clISt17integral_constantIbLb1EES1P_EEDaS1K_S1L_EUlS1K_E_NS1_11comp_targetILNS1_3genE4ELNS1_11target_archE910ELNS1_3gpuE8ELNS1_3repE0EEENS1_30default_config_static_selectorELNS0_4arch9wavefront6targetE0EEEvSY_.uses_vcc, 0
	.set _ZN7rocprim17ROCPRIM_400000_NS6detail17trampoline_kernelINS0_13select_configILj256ELj13ELNS0_17block_load_methodE3ELS4_3ELS4_3ELNS0_20block_scan_algorithmE0ELj4294967295EEENS1_25partition_config_selectorILNS1_17partition_subalgoE3EjNS0_10empty_typeEbEEZZNS1_14partition_implILS8_3ELb0ES6_jNS0_17counting_iteratorIjlEEPS9_SE_NS0_5tupleIJPjSE_EEENSF_IJSE_SE_EEES9_SG_JZNS1_25segmented_radix_sort_implINS0_14default_configELb1EPKiPiPKlPlN2at6native12_GLOBAL__N_18offset_tEEE10hipError_tPvRmT1_PNSt15iterator_traitsISY_E10value_typeET2_T3_PNSZ_IS14_E10value_typeET4_jRbjT5_S1A_jjP12ihipStream_tbEUljE_EEESV_SW_SX_S14_S18_S1A_T6_T7_T9_mT8_S1C_bDpT10_ENKUlT_T0_E_clISt17integral_constantIbLb1EES1P_EEDaS1K_S1L_EUlS1K_E_NS1_11comp_targetILNS1_3genE4ELNS1_11target_archE910ELNS1_3gpuE8ELNS1_3repE0EEENS1_30default_config_static_selectorELNS0_4arch9wavefront6targetE0EEEvSY_.uses_flat_scratch, 0
	.set _ZN7rocprim17ROCPRIM_400000_NS6detail17trampoline_kernelINS0_13select_configILj256ELj13ELNS0_17block_load_methodE3ELS4_3ELS4_3ELNS0_20block_scan_algorithmE0ELj4294967295EEENS1_25partition_config_selectorILNS1_17partition_subalgoE3EjNS0_10empty_typeEbEEZZNS1_14partition_implILS8_3ELb0ES6_jNS0_17counting_iteratorIjlEEPS9_SE_NS0_5tupleIJPjSE_EEENSF_IJSE_SE_EEES9_SG_JZNS1_25segmented_radix_sort_implINS0_14default_configELb1EPKiPiPKlPlN2at6native12_GLOBAL__N_18offset_tEEE10hipError_tPvRmT1_PNSt15iterator_traitsISY_E10value_typeET2_T3_PNSZ_IS14_E10value_typeET4_jRbjT5_S1A_jjP12ihipStream_tbEUljE_EEESV_SW_SX_S14_S18_S1A_T6_T7_T9_mT8_S1C_bDpT10_ENKUlT_T0_E_clISt17integral_constantIbLb1EES1P_EEDaS1K_S1L_EUlS1K_E_NS1_11comp_targetILNS1_3genE4ELNS1_11target_archE910ELNS1_3gpuE8ELNS1_3repE0EEENS1_30default_config_static_selectorELNS0_4arch9wavefront6targetE0EEEvSY_.has_dyn_sized_stack, 0
	.set _ZN7rocprim17ROCPRIM_400000_NS6detail17trampoline_kernelINS0_13select_configILj256ELj13ELNS0_17block_load_methodE3ELS4_3ELS4_3ELNS0_20block_scan_algorithmE0ELj4294967295EEENS1_25partition_config_selectorILNS1_17partition_subalgoE3EjNS0_10empty_typeEbEEZZNS1_14partition_implILS8_3ELb0ES6_jNS0_17counting_iteratorIjlEEPS9_SE_NS0_5tupleIJPjSE_EEENSF_IJSE_SE_EEES9_SG_JZNS1_25segmented_radix_sort_implINS0_14default_configELb1EPKiPiPKlPlN2at6native12_GLOBAL__N_18offset_tEEE10hipError_tPvRmT1_PNSt15iterator_traitsISY_E10value_typeET2_T3_PNSZ_IS14_E10value_typeET4_jRbjT5_S1A_jjP12ihipStream_tbEUljE_EEESV_SW_SX_S14_S18_S1A_T6_T7_T9_mT8_S1C_bDpT10_ENKUlT_T0_E_clISt17integral_constantIbLb1EES1P_EEDaS1K_S1L_EUlS1K_E_NS1_11comp_targetILNS1_3genE4ELNS1_11target_archE910ELNS1_3gpuE8ELNS1_3repE0EEENS1_30default_config_static_selectorELNS0_4arch9wavefront6targetE0EEEvSY_.has_recursion, 0
	.set _ZN7rocprim17ROCPRIM_400000_NS6detail17trampoline_kernelINS0_13select_configILj256ELj13ELNS0_17block_load_methodE3ELS4_3ELS4_3ELNS0_20block_scan_algorithmE0ELj4294967295EEENS1_25partition_config_selectorILNS1_17partition_subalgoE3EjNS0_10empty_typeEbEEZZNS1_14partition_implILS8_3ELb0ES6_jNS0_17counting_iteratorIjlEEPS9_SE_NS0_5tupleIJPjSE_EEENSF_IJSE_SE_EEES9_SG_JZNS1_25segmented_radix_sort_implINS0_14default_configELb1EPKiPiPKlPlN2at6native12_GLOBAL__N_18offset_tEEE10hipError_tPvRmT1_PNSt15iterator_traitsISY_E10value_typeET2_T3_PNSZ_IS14_E10value_typeET4_jRbjT5_S1A_jjP12ihipStream_tbEUljE_EEESV_SW_SX_S14_S18_S1A_T6_T7_T9_mT8_S1C_bDpT10_ENKUlT_T0_E_clISt17integral_constantIbLb1EES1P_EEDaS1K_S1L_EUlS1K_E_NS1_11comp_targetILNS1_3genE4ELNS1_11target_archE910ELNS1_3gpuE8ELNS1_3repE0EEENS1_30default_config_static_selectorELNS0_4arch9wavefront6targetE0EEEvSY_.has_indirect_call, 0
	.section	.AMDGPU.csdata,"",@progbits
; Kernel info:
; codeLenInByte = 0
; TotalNumSgprs: 0
; NumVgprs: 0
; ScratchSize: 0
; MemoryBound: 0
; FloatMode: 240
; IeeeMode: 1
; LDSByteSize: 0 bytes/workgroup (compile time only)
; SGPRBlocks: 0
; VGPRBlocks: 0
; NumSGPRsForWavesPerEU: 1
; NumVGPRsForWavesPerEU: 1
; Occupancy: 16
; WaveLimiterHint : 0
; COMPUTE_PGM_RSRC2:SCRATCH_EN: 0
; COMPUTE_PGM_RSRC2:USER_SGPR: 6
; COMPUTE_PGM_RSRC2:TRAP_HANDLER: 0
; COMPUTE_PGM_RSRC2:TGID_X_EN: 1
; COMPUTE_PGM_RSRC2:TGID_Y_EN: 0
; COMPUTE_PGM_RSRC2:TGID_Z_EN: 0
; COMPUTE_PGM_RSRC2:TIDIG_COMP_CNT: 0
	.section	.text._ZN7rocprim17ROCPRIM_400000_NS6detail17trampoline_kernelINS0_13select_configILj256ELj13ELNS0_17block_load_methodE3ELS4_3ELS4_3ELNS0_20block_scan_algorithmE0ELj4294967295EEENS1_25partition_config_selectorILNS1_17partition_subalgoE3EjNS0_10empty_typeEbEEZZNS1_14partition_implILS8_3ELb0ES6_jNS0_17counting_iteratorIjlEEPS9_SE_NS0_5tupleIJPjSE_EEENSF_IJSE_SE_EEES9_SG_JZNS1_25segmented_radix_sort_implINS0_14default_configELb1EPKiPiPKlPlN2at6native12_GLOBAL__N_18offset_tEEE10hipError_tPvRmT1_PNSt15iterator_traitsISY_E10value_typeET2_T3_PNSZ_IS14_E10value_typeET4_jRbjT5_S1A_jjP12ihipStream_tbEUljE_EEESV_SW_SX_S14_S18_S1A_T6_T7_T9_mT8_S1C_bDpT10_ENKUlT_T0_E_clISt17integral_constantIbLb1EES1P_EEDaS1K_S1L_EUlS1K_E_NS1_11comp_targetILNS1_3genE3ELNS1_11target_archE908ELNS1_3gpuE7ELNS1_3repE0EEENS1_30default_config_static_selectorELNS0_4arch9wavefront6targetE0EEEvSY_,"axG",@progbits,_ZN7rocprim17ROCPRIM_400000_NS6detail17trampoline_kernelINS0_13select_configILj256ELj13ELNS0_17block_load_methodE3ELS4_3ELS4_3ELNS0_20block_scan_algorithmE0ELj4294967295EEENS1_25partition_config_selectorILNS1_17partition_subalgoE3EjNS0_10empty_typeEbEEZZNS1_14partition_implILS8_3ELb0ES6_jNS0_17counting_iteratorIjlEEPS9_SE_NS0_5tupleIJPjSE_EEENSF_IJSE_SE_EEES9_SG_JZNS1_25segmented_radix_sort_implINS0_14default_configELb1EPKiPiPKlPlN2at6native12_GLOBAL__N_18offset_tEEE10hipError_tPvRmT1_PNSt15iterator_traitsISY_E10value_typeET2_T3_PNSZ_IS14_E10value_typeET4_jRbjT5_S1A_jjP12ihipStream_tbEUljE_EEESV_SW_SX_S14_S18_S1A_T6_T7_T9_mT8_S1C_bDpT10_ENKUlT_T0_E_clISt17integral_constantIbLb1EES1P_EEDaS1K_S1L_EUlS1K_E_NS1_11comp_targetILNS1_3genE3ELNS1_11target_archE908ELNS1_3gpuE7ELNS1_3repE0EEENS1_30default_config_static_selectorELNS0_4arch9wavefront6targetE0EEEvSY_,comdat
	.globl	_ZN7rocprim17ROCPRIM_400000_NS6detail17trampoline_kernelINS0_13select_configILj256ELj13ELNS0_17block_load_methodE3ELS4_3ELS4_3ELNS0_20block_scan_algorithmE0ELj4294967295EEENS1_25partition_config_selectorILNS1_17partition_subalgoE3EjNS0_10empty_typeEbEEZZNS1_14partition_implILS8_3ELb0ES6_jNS0_17counting_iteratorIjlEEPS9_SE_NS0_5tupleIJPjSE_EEENSF_IJSE_SE_EEES9_SG_JZNS1_25segmented_radix_sort_implINS0_14default_configELb1EPKiPiPKlPlN2at6native12_GLOBAL__N_18offset_tEEE10hipError_tPvRmT1_PNSt15iterator_traitsISY_E10value_typeET2_T3_PNSZ_IS14_E10value_typeET4_jRbjT5_S1A_jjP12ihipStream_tbEUljE_EEESV_SW_SX_S14_S18_S1A_T6_T7_T9_mT8_S1C_bDpT10_ENKUlT_T0_E_clISt17integral_constantIbLb1EES1P_EEDaS1K_S1L_EUlS1K_E_NS1_11comp_targetILNS1_3genE3ELNS1_11target_archE908ELNS1_3gpuE7ELNS1_3repE0EEENS1_30default_config_static_selectorELNS0_4arch9wavefront6targetE0EEEvSY_ ; -- Begin function _ZN7rocprim17ROCPRIM_400000_NS6detail17trampoline_kernelINS0_13select_configILj256ELj13ELNS0_17block_load_methodE3ELS4_3ELS4_3ELNS0_20block_scan_algorithmE0ELj4294967295EEENS1_25partition_config_selectorILNS1_17partition_subalgoE3EjNS0_10empty_typeEbEEZZNS1_14partition_implILS8_3ELb0ES6_jNS0_17counting_iteratorIjlEEPS9_SE_NS0_5tupleIJPjSE_EEENSF_IJSE_SE_EEES9_SG_JZNS1_25segmented_radix_sort_implINS0_14default_configELb1EPKiPiPKlPlN2at6native12_GLOBAL__N_18offset_tEEE10hipError_tPvRmT1_PNSt15iterator_traitsISY_E10value_typeET2_T3_PNSZ_IS14_E10value_typeET4_jRbjT5_S1A_jjP12ihipStream_tbEUljE_EEESV_SW_SX_S14_S18_S1A_T6_T7_T9_mT8_S1C_bDpT10_ENKUlT_T0_E_clISt17integral_constantIbLb1EES1P_EEDaS1K_S1L_EUlS1K_E_NS1_11comp_targetILNS1_3genE3ELNS1_11target_archE908ELNS1_3gpuE7ELNS1_3repE0EEENS1_30default_config_static_selectorELNS0_4arch9wavefront6targetE0EEEvSY_
	.p2align	8
	.type	_ZN7rocprim17ROCPRIM_400000_NS6detail17trampoline_kernelINS0_13select_configILj256ELj13ELNS0_17block_load_methodE3ELS4_3ELS4_3ELNS0_20block_scan_algorithmE0ELj4294967295EEENS1_25partition_config_selectorILNS1_17partition_subalgoE3EjNS0_10empty_typeEbEEZZNS1_14partition_implILS8_3ELb0ES6_jNS0_17counting_iteratorIjlEEPS9_SE_NS0_5tupleIJPjSE_EEENSF_IJSE_SE_EEES9_SG_JZNS1_25segmented_radix_sort_implINS0_14default_configELb1EPKiPiPKlPlN2at6native12_GLOBAL__N_18offset_tEEE10hipError_tPvRmT1_PNSt15iterator_traitsISY_E10value_typeET2_T3_PNSZ_IS14_E10value_typeET4_jRbjT5_S1A_jjP12ihipStream_tbEUljE_EEESV_SW_SX_S14_S18_S1A_T6_T7_T9_mT8_S1C_bDpT10_ENKUlT_T0_E_clISt17integral_constantIbLb1EES1P_EEDaS1K_S1L_EUlS1K_E_NS1_11comp_targetILNS1_3genE3ELNS1_11target_archE908ELNS1_3gpuE7ELNS1_3repE0EEENS1_30default_config_static_selectorELNS0_4arch9wavefront6targetE0EEEvSY_,@function
_ZN7rocprim17ROCPRIM_400000_NS6detail17trampoline_kernelINS0_13select_configILj256ELj13ELNS0_17block_load_methodE3ELS4_3ELS4_3ELNS0_20block_scan_algorithmE0ELj4294967295EEENS1_25partition_config_selectorILNS1_17partition_subalgoE3EjNS0_10empty_typeEbEEZZNS1_14partition_implILS8_3ELb0ES6_jNS0_17counting_iteratorIjlEEPS9_SE_NS0_5tupleIJPjSE_EEENSF_IJSE_SE_EEES9_SG_JZNS1_25segmented_radix_sort_implINS0_14default_configELb1EPKiPiPKlPlN2at6native12_GLOBAL__N_18offset_tEEE10hipError_tPvRmT1_PNSt15iterator_traitsISY_E10value_typeET2_T3_PNSZ_IS14_E10value_typeET4_jRbjT5_S1A_jjP12ihipStream_tbEUljE_EEESV_SW_SX_S14_S18_S1A_T6_T7_T9_mT8_S1C_bDpT10_ENKUlT_T0_E_clISt17integral_constantIbLb1EES1P_EEDaS1K_S1L_EUlS1K_E_NS1_11comp_targetILNS1_3genE3ELNS1_11target_archE908ELNS1_3gpuE7ELNS1_3repE0EEENS1_30default_config_static_selectorELNS0_4arch9wavefront6targetE0EEEvSY_: ; @_ZN7rocprim17ROCPRIM_400000_NS6detail17trampoline_kernelINS0_13select_configILj256ELj13ELNS0_17block_load_methodE3ELS4_3ELS4_3ELNS0_20block_scan_algorithmE0ELj4294967295EEENS1_25partition_config_selectorILNS1_17partition_subalgoE3EjNS0_10empty_typeEbEEZZNS1_14partition_implILS8_3ELb0ES6_jNS0_17counting_iteratorIjlEEPS9_SE_NS0_5tupleIJPjSE_EEENSF_IJSE_SE_EEES9_SG_JZNS1_25segmented_radix_sort_implINS0_14default_configELb1EPKiPiPKlPlN2at6native12_GLOBAL__N_18offset_tEEE10hipError_tPvRmT1_PNSt15iterator_traitsISY_E10value_typeET2_T3_PNSZ_IS14_E10value_typeET4_jRbjT5_S1A_jjP12ihipStream_tbEUljE_EEESV_SW_SX_S14_S18_S1A_T6_T7_T9_mT8_S1C_bDpT10_ENKUlT_T0_E_clISt17integral_constantIbLb1EES1P_EEDaS1K_S1L_EUlS1K_E_NS1_11comp_targetILNS1_3genE3ELNS1_11target_archE908ELNS1_3gpuE7ELNS1_3repE0EEENS1_30default_config_static_selectorELNS0_4arch9wavefront6targetE0EEEvSY_
; %bb.0:
	.section	.rodata,"a",@progbits
	.p2align	6, 0x0
	.amdhsa_kernel _ZN7rocprim17ROCPRIM_400000_NS6detail17trampoline_kernelINS0_13select_configILj256ELj13ELNS0_17block_load_methodE3ELS4_3ELS4_3ELNS0_20block_scan_algorithmE0ELj4294967295EEENS1_25partition_config_selectorILNS1_17partition_subalgoE3EjNS0_10empty_typeEbEEZZNS1_14partition_implILS8_3ELb0ES6_jNS0_17counting_iteratorIjlEEPS9_SE_NS0_5tupleIJPjSE_EEENSF_IJSE_SE_EEES9_SG_JZNS1_25segmented_radix_sort_implINS0_14default_configELb1EPKiPiPKlPlN2at6native12_GLOBAL__N_18offset_tEEE10hipError_tPvRmT1_PNSt15iterator_traitsISY_E10value_typeET2_T3_PNSZ_IS14_E10value_typeET4_jRbjT5_S1A_jjP12ihipStream_tbEUljE_EEESV_SW_SX_S14_S18_S1A_T6_T7_T9_mT8_S1C_bDpT10_ENKUlT_T0_E_clISt17integral_constantIbLb1EES1P_EEDaS1K_S1L_EUlS1K_E_NS1_11comp_targetILNS1_3genE3ELNS1_11target_archE908ELNS1_3gpuE7ELNS1_3repE0EEENS1_30default_config_static_selectorELNS0_4arch9wavefront6targetE0EEEvSY_
		.amdhsa_group_segment_fixed_size 0
		.amdhsa_private_segment_fixed_size 0
		.amdhsa_kernarg_size 152
		.amdhsa_user_sgpr_count 6
		.amdhsa_user_sgpr_private_segment_buffer 1
		.amdhsa_user_sgpr_dispatch_ptr 0
		.amdhsa_user_sgpr_queue_ptr 0
		.amdhsa_user_sgpr_kernarg_segment_ptr 1
		.amdhsa_user_sgpr_dispatch_id 0
		.amdhsa_user_sgpr_flat_scratch_init 0
		.amdhsa_user_sgpr_private_segment_size 0
		.amdhsa_wavefront_size32 1
		.amdhsa_uses_dynamic_stack 0
		.amdhsa_system_sgpr_private_segment_wavefront_offset 0
		.amdhsa_system_sgpr_workgroup_id_x 1
		.amdhsa_system_sgpr_workgroup_id_y 0
		.amdhsa_system_sgpr_workgroup_id_z 0
		.amdhsa_system_sgpr_workgroup_info 0
		.amdhsa_system_vgpr_workitem_id 0
		.amdhsa_next_free_vgpr 1
		.amdhsa_next_free_sgpr 1
		.amdhsa_reserve_vcc 0
		.amdhsa_reserve_flat_scratch 0
		.amdhsa_float_round_mode_32 0
		.amdhsa_float_round_mode_16_64 0
		.amdhsa_float_denorm_mode_32 3
		.amdhsa_float_denorm_mode_16_64 3
		.amdhsa_dx10_clamp 1
		.amdhsa_ieee_mode 1
		.amdhsa_fp16_overflow 0
		.amdhsa_workgroup_processor_mode 1
		.amdhsa_memory_ordered 1
		.amdhsa_forward_progress 1
		.amdhsa_shared_vgpr_count 0
		.amdhsa_exception_fp_ieee_invalid_op 0
		.amdhsa_exception_fp_denorm_src 0
		.amdhsa_exception_fp_ieee_div_zero 0
		.amdhsa_exception_fp_ieee_overflow 0
		.amdhsa_exception_fp_ieee_underflow 0
		.amdhsa_exception_fp_ieee_inexact 0
		.amdhsa_exception_int_div_zero 0
	.end_amdhsa_kernel
	.section	.text._ZN7rocprim17ROCPRIM_400000_NS6detail17trampoline_kernelINS0_13select_configILj256ELj13ELNS0_17block_load_methodE3ELS4_3ELS4_3ELNS0_20block_scan_algorithmE0ELj4294967295EEENS1_25partition_config_selectorILNS1_17partition_subalgoE3EjNS0_10empty_typeEbEEZZNS1_14partition_implILS8_3ELb0ES6_jNS0_17counting_iteratorIjlEEPS9_SE_NS0_5tupleIJPjSE_EEENSF_IJSE_SE_EEES9_SG_JZNS1_25segmented_radix_sort_implINS0_14default_configELb1EPKiPiPKlPlN2at6native12_GLOBAL__N_18offset_tEEE10hipError_tPvRmT1_PNSt15iterator_traitsISY_E10value_typeET2_T3_PNSZ_IS14_E10value_typeET4_jRbjT5_S1A_jjP12ihipStream_tbEUljE_EEESV_SW_SX_S14_S18_S1A_T6_T7_T9_mT8_S1C_bDpT10_ENKUlT_T0_E_clISt17integral_constantIbLb1EES1P_EEDaS1K_S1L_EUlS1K_E_NS1_11comp_targetILNS1_3genE3ELNS1_11target_archE908ELNS1_3gpuE7ELNS1_3repE0EEENS1_30default_config_static_selectorELNS0_4arch9wavefront6targetE0EEEvSY_,"axG",@progbits,_ZN7rocprim17ROCPRIM_400000_NS6detail17trampoline_kernelINS0_13select_configILj256ELj13ELNS0_17block_load_methodE3ELS4_3ELS4_3ELNS0_20block_scan_algorithmE0ELj4294967295EEENS1_25partition_config_selectorILNS1_17partition_subalgoE3EjNS0_10empty_typeEbEEZZNS1_14partition_implILS8_3ELb0ES6_jNS0_17counting_iteratorIjlEEPS9_SE_NS0_5tupleIJPjSE_EEENSF_IJSE_SE_EEES9_SG_JZNS1_25segmented_radix_sort_implINS0_14default_configELb1EPKiPiPKlPlN2at6native12_GLOBAL__N_18offset_tEEE10hipError_tPvRmT1_PNSt15iterator_traitsISY_E10value_typeET2_T3_PNSZ_IS14_E10value_typeET4_jRbjT5_S1A_jjP12ihipStream_tbEUljE_EEESV_SW_SX_S14_S18_S1A_T6_T7_T9_mT8_S1C_bDpT10_ENKUlT_T0_E_clISt17integral_constantIbLb1EES1P_EEDaS1K_S1L_EUlS1K_E_NS1_11comp_targetILNS1_3genE3ELNS1_11target_archE908ELNS1_3gpuE7ELNS1_3repE0EEENS1_30default_config_static_selectorELNS0_4arch9wavefront6targetE0EEEvSY_,comdat
.Lfunc_end472:
	.size	_ZN7rocprim17ROCPRIM_400000_NS6detail17trampoline_kernelINS0_13select_configILj256ELj13ELNS0_17block_load_methodE3ELS4_3ELS4_3ELNS0_20block_scan_algorithmE0ELj4294967295EEENS1_25partition_config_selectorILNS1_17partition_subalgoE3EjNS0_10empty_typeEbEEZZNS1_14partition_implILS8_3ELb0ES6_jNS0_17counting_iteratorIjlEEPS9_SE_NS0_5tupleIJPjSE_EEENSF_IJSE_SE_EEES9_SG_JZNS1_25segmented_radix_sort_implINS0_14default_configELb1EPKiPiPKlPlN2at6native12_GLOBAL__N_18offset_tEEE10hipError_tPvRmT1_PNSt15iterator_traitsISY_E10value_typeET2_T3_PNSZ_IS14_E10value_typeET4_jRbjT5_S1A_jjP12ihipStream_tbEUljE_EEESV_SW_SX_S14_S18_S1A_T6_T7_T9_mT8_S1C_bDpT10_ENKUlT_T0_E_clISt17integral_constantIbLb1EES1P_EEDaS1K_S1L_EUlS1K_E_NS1_11comp_targetILNS1_3genE3ELNS1_11target_archE908ELNS1_3gpuE7ELNS1_3repE0EEENS1_30default_config_static_selectorELNS0_4arch9wavefront6targetE0EEEvSY_, .Lfunc_end472-_ZN7rocprim17ROCPRIM_400000_NS6detail17trampoline_kernelINS0_13select_configILj256ELj13ELNS0_17block_load_methodE3ELS4_3ELS4_3ELNS0_20block_scan_algorithmE0ELj4294967295EEENS1_25partition_config_selectorILNS1_17partition_subalgoE3EjNS0_10empty_typeEbEEZZNS1_14partition_implILS8_3ELb0ES6_jNS0_17counting_iteratorIjlEEPS9_SE_NS0_5tupleIJPjSE_EEENSF_IJSE_SE_EEES9_SG_JZNS1_25segmented_radix_sort_implINS0_14default_configELb1EPKiPiPKlPlN2at6native12_GLOBAL__N_18offset_tEEE10hipError_tPvRmT1_PNSt15iterator_traitsISY_E10value_typeET2_T3_PNSZ_IS14_E10value_typeET4_jRbjT5_S1A_jjP12ihipStream_tbEUljE_EEESV_SW_SX_S14_S18_S1A_T6_T7_T9_mT8_S1C_bDpT10_ENKUlT_T0_E_clISt17integral_constantIbLb1EES1P_EEDaS1K_S1L_EUlS1K_E_NS1_11comp_targetILNS1_3genE3ELNS1_11target_archE908ELNS1_3gpuE7ELNS1_3repE0EEENS1_30default_config_static_selectorELNS0_4arch9wavefront6targetE0EEEvSY_
                                        ; -- End function
	.set _ZN7rocprim17ROCPRIM_400000_NS6detail17trampoline_kernelINS0_13select_configILj256ELj13ELNS0_17block_load_methodE3ELS4_3ELS4_3ELNS0_20block_scan_algorithmE0ELj4294967295EEENS1_25partition_config_selectorILNS1_17partition_subalgoE3EjNS0_10empty_typeEbEEZZNS1_14partition_implILS8_3ELb0ES6_jNS0_17counting_iteratorIjlEEPS9_SE_NS0_5tupleIJPjSE_EEENSF_IJSE_SE_EEES9_SG_JZNS1_25segmented_radix_sort_implINS0_14default_configELb1EPKiPiPKlPlN2at6native12_GLOBAL__N_18offset_tEEE10hipError_tPvRmT1_PNSt15iterator_traitsISY_E10value_typeET2_T3_PNSZ_IS14_E10value_typeET4_jRbjT5_S1A_jjP12ihipStream_tbEUljE_EEESV_SW_SX_S14_S18_S1A_T6_T7_T9_mT8_S1C_bDpT10_ENKUlT_T0_E_clISt17integral_constantIbLb1EES1P_EEDaS1K_S1L_EUlS1K_E_NS1_11comp_targetILNS1_3genE3ELNS1_11target_archE908ELNS1_3gpuE7ELNS1_3repE0EEENS1_30default_config_static_selectorELNS0_4arch9wavefront6targetE0EEEvSY_.num_vgpr, 0
	.set _ZN7rocprim17ROCPRIM_400000_NS6detail17trampoline_kernelINS0_13select_configILj256ELj13ELNS0_17block_load_methodE3ELS4_3ELS4_3ELNS0_20block_scan_algorithmE0ELj4294967295EEENS1_25partition_config_selectorILNS1_17partition_subalgoE3EjNS0_10empty_typeEbEEZZNS1_14partition_implILS8_3ELb0ES6_jNS0_17counting_iteratorIjlEEPS9_SE_NS0_5tupleIJPjSE_EEENSF_IJSE_SE_EEES9_SG_JZNS1_25segmented_radix_sort_implINS0_14default_configELb1EPKiPiPKlPlN2at6native12_GLOBAL__N_18offset_tEEE10hipError_tPvRmT1_PNSt15iterator_traitsISY_E10value_typeET2_T3_PNSZ_IS14_E10value_typeET4_jRbjT5_S1A_jjP12ihipStream_tbEUljE_EEESV_SW_SX_S14_S18_S1A_T6_T7_T9_mT8_S1C_bDpT10_ENKUlT_T0_E_clISt17integral_constantIbLb1EES1P_EEDaS1K_S1L_EUlS1K_E_NS1_11comp_targetILNS1_3genE3ELNS1_11target_archE908ELNS1_3gpuE7ELNS1_3repE0EEENS1_30default_config_static_selectorELNS0_4arch9wavefront6targetE0EEEvSY_.num_agpr, 0
	.set _ZN7rocprim17ROCPRIM_400000_NS6detail17trampoline_kernelINS0_13select_configILj256ELj13ELNS0_17block_load_methodE3ELS4_3ELS4_3ELNS0_20block_scan_algorithmE0ELj4294967295EEENS1_25partition_config_selectorILNS1_17partition_subalgoE3EjNS0_10empty_typeEbEEZZNS1_14partition_implILS8_3ELb0ES6_jNS0_17counting_iteratorIjlEEPS9_SE_NS0_5tupleIJPjSE_EEENSF_IJSE_SE_EEES9_SG_JZNS1_25segmented_radix_sort_implINS0_14default_configELb1EPKiPiPKlPlN2at6native12_GLOBAL__N_18offset_tEEE10hipError_tPvRmT1_PNSt15iterator_traitsISY_E10value_typeET2_T3_PNSZ_IS14_E10value_typeET4_jRbjT5_S1A_jjP12ihipStream_tbEUljE_EEESV_SW_SX_S14_S18_S1A_T6_T7_T9_mT8_S1C_bDpT10_ENKUlT_T0_E_clISt17integral_constantIbLb1EES1P_EEDaS1K_S1L_EUlS1K_E_NS1_11comp_targetILNS1_3genE3ELNS1_11target_archE908ELNS1_3gpuE7ELNS1_3repE0EEENS1_30default_config_static_selectorELNS0_4arch9wavefront6targetE0EEEvSY_.numbered_sgpr, 0
	.set _ZN7rocprim17ROCPRIM_400000_NS6detail17trampoline_kernelINS0_13select_configILj256ELj13ELNS0_17block_load_methodE3ELS4_3ELS4_3ELNS0_20block_scan_algorithmE0ELj4294967295EEENS1_25partition_config_selectorILNS1_17partition_subalgoE3EjNS0_10empty_typeEbEEZZNS1_14partition_implILS8_3ELb0ES6_jNS0_17counting_iteratorIjlEEPS9_SE_NS0_5tupleIJPjSE_EEENSF_IJSE_SE_EEES9_SG_JZNS1_25segmented_radix_sort_implINS0_14default_configELb1EPKiPiPKlPlN2at6native12_GLOBAL__N_18offset_tEEE10hipError_tPvRmT1_PNSt15iterator_traitsISY_E10value_typeET2_T3_PNSZ_IS14_E10value_typeET4_jRbjT5_S1A_jjP12ihipStream_tbEUljE_EEESV_SW_SX_S14_S18_S1A_T6_T7_T9_mT8_S1C_bDpT10_ENKUlT_T0_E_clISt17integral_constantIbLb1EES1P_EEDaS1K_S1L_EUlS1K_E_NS1_11comp_targetILNS1_3genE3ELNS1_11target_archE908ELNS1_3gpuE7ELNS1_3repE0EEENS1_30default_config_static_selectorELNS0_4arch9wavefront6targetE0EEEvSY_.num_named_barrier, 0
	.set _ZN7rocprim17ROCPRIM_400000_NS6detail17trampoline_kernelINS0_13select_configILj256ELj13ELNS0_17block_load_methodE3ELS4_3ELS4_3ELNS0_20block_scan_algorithmE0ELj4294967295EEENS1_25partition_config_selectorILNS1_17partition_subalgoE3EjNS0_10empty_typeEbEEZZNS1_14partition_implILS8_3ELb0ES6_jNS0_17counting_iteratorIjlEEPS9_SE_NS0_5tupleIJPjSE_EEENSF_IJSE_SE_EEES9_SG_JZNS1_25segmented_radix_sort_implINS0_14default_configELb1EPKiPiPKlPlN2at6native12_GLOBAL__N_18offset_tEEE10hipError_tPvRmT1_PNSt15iterator_traitsISY_E10value_typeET2_T3_PNSZ_IS14_E10value_typeET4_jRbjT5_S1A_jjP12ihipStream_tbEUljE_EEESV_SW_SX_S14_S18_S1A_T6_T7_T9_mT8_S1C_bDpT10_ENKUlT_T0_E_clISt17integral_constantIbLb1EES1P_EEDaS1K_S1L_EUlS1K_E_NS1_11comp_targetILNS1_3genE3ELNS1_11target_archE908ELNS1_3gpuE7ELNS1_3repE0EEENS1_30default_config_static_selectorELNS0_4arch9wavefront6targetE0EEEvSY_.private_seg_size, 0
	.set _ZN7rocprim17ROCPRIM_400000_NS6detail17trampoline_kernelINS0_13select_configILj256ELj13ELNS0_17block_load_methodE3ELS4_3ELS4_3ELNS0_20block_scan_algorithmE0ELj4294967295EEENS1_25partition_config_selectorILNS1_17partition_subalgoE3EjNS0_10empty_typeEbEEZZNS1_14partition_implILS8_3ELb0ES6_jNS0_17counting_iteratorIjlEEPS9_SE_NS0_5tupleIJPjSE_EEENSF_IJSE_SE_EEES9_SG_JZNS1_25segmented_radix_sort_implINS0_14default_configELb1EPKiPiPKlPlN2at6native12_GLOBAL__N_18offset_tEEE10hipError_tPvRmT1_PNSt15iterator_traitsISY_E10value_typeET2_T3_PNSZ_IS14_E10value_typeET4_jRbjT5_S1A_jjP12ihipStream_tbEUljE_EEESV_SW_SX_S14_S18_S1A_T6_T7_T9_mT8_S1C_bDpT10_ENKUlT_T0_E_clISt17integral_constantIbLb1EES1P_EEDaS1K_S1L_EUlS1K_E_NS1_11comp_targetILNS1_3genE3ELNS1_11target_archE908ELNS1_3gpuE7ELNS1_3repE0EEENS1_30default_config_static_selectorELNS0_4arch9wavefront6targetE0EEEvSY_.uses_vcc, 0
	.set _ZN7rocprim17ROCPRIM_400000_NS6detail17trampoline_kernelINS0_13select_configILj256ELj13ELNS0_17block_load_methodE3ELS4_3ELS4_3ELNS0_20block_scan_algorithmE0ELj4294967295EEENS1_25partition_config_selectorILNS1_17partition_subalgoE3EjNS0_10empty_typeEbEEZZNS1_14partition_implILS8_3ELb0ES6_jNS0_17counting_iteratorIjlEEPS9_SE_NS0_5tupleIJPjSE_EEENSF_IJSE_SE_EEES9_SG_JZNS1_25segmented_radix_sort_implINS0_14default_configELb1EPKiPiPKlPlN2at6native12_GLOBAL__N_18offset_tEEE10hipError_tPvRmT1_PNSt15iterator_traitsISY_E10value_typeET2_T3_PNSZ_IS14_E10value_typeET4_jRbjT5_S1A_jjP12ihipStream_tbEUljE_EEESV_SW_SX_S14_S18_S1A_T6_T7_T9_mT8_S1C_bDpT10_ENKUlT_T0_E_clISt17integral_constantIbLb1EES1P_EEDaS1K_S1L_EUlS1K_E_NS1_11comp_targetILNS1_3genE3ELNS1_11target_archE908ELNS1_3gpuE7ELNS1_3repE0EEENS1_30default_config_static_selectorELNS0_4arch9wavefront6targetE0EEEvSY_.uses_flat_scratch, 0
	.set _ZN7rocprim17ROCPRIM_400000_NS6detail17trampoline_kernelINS0_13select_configILj256ELj13ELNS0_17block_load_methodE3ELS4_3ELS4_3ELNS0_20block_scan_algorithmE0ELj4294967295EEENS1_25partition_config_selectorILNS1_17partition_subalgoE3EjNS0_10empty_typeEbEEZZNS1_14partition_implILS8_3ELb0ES6_jNS0_17counting_iteratorIjlEEPS9_SE_NS0_5tupleIJPjSE_EEENSF_IJSE_SE_EEES9_SG_JZNS1_25segmented_radix_sort_implINS0_14default_configELb1EPKiPiPKlPlN2at6native12_GLOBAL__N_18offset_tEEE10hipError_tPvRmT1_PNSt15iterator_traitsISY_E10value_typeET2_T3_PNSZ_IS14_E10value_typeET4_jRbjT5_S1A_jjP12ihipStream_tbEUljE_EEESV_SW_SX_S14_S18_S1A_T6_T7_T9_mT8_S1C_bDpT10_ENKUlT_T0_E_clISt17integral_constantIbLb1EES1P_EEDaS1K_S1L_EUlS1K_E_NS1_11comp_targetILNS1_3genE3ELNS1_11target_archE908ELNS1_3gpuE7ELNS1_3repE0EEENS1_30default_config_static_selectorELNS0_4arch9wavefront6targetE0EEEvSY_.has_dyn_sized_stack, 0
	.set _ZN7rocprim17ROCPRIM_400000_NS6detail17trampoline_kernelINS0_13select_configILj256ELj13ELNS0_17block_load_methodE3ELS4_3ELS4_3ELNS0_20block_scan_algorithmE0ELj4294967295EEENS1_25partition_config_selectorILNS1_17partition_subalgoE3EjNS0_10empty_typeEbEEZZNS1_14partition_implILS8_3ELb0ES6_jNS0_17counting_iteratorIjlEEPS9_SE_NS0_5tupleIJPjSE_EEENSF_IJSE_SE_EEES9_SG_JZNS1_25segmented_radix_sort_implINS0_14default_configELb1EPKiPiPKlPlN2at6native12_GLOBAL__N_18offset_tEEE10hipError_tPvRmT1_PNSt15iterator_traitsISY_E10value_typeET2_T3_PNSZ_IS14_E10value_typeET4_jRbjT5_S1A_jjP12ihipStream_tbEUljE_EEESV_SW_SX_S14_S18_S1A_T6_T7_T9_mT8_S1C_bDpT10_ENKUlT_T0_E_clISt17integral_constantIbLb1EES1P_EEDaS1K_S1L_EUlS1K_E_NS1_11comp_targetILNS1_3genE3ELNS1_11target_archE908ELNS1_3gpuE7ELNS1_3repE0EEENS1_30default_config_static_selectorELNS0_4arch9wavefront6targetE0EEEvSY_.has_recursion, 0
	.set _ZN7rocprim17ROCPRIM_400000_NS6detail17trampoline_kernelINS0_13select_configILj256ELj13ELNS0_17block_load_methodE3ELS4_3ELS4_3ELNS0_20block_scan_algorithmE0ELj4294967295EEENS1_25partition_config_selectorILNS1_17partition_subalgoE3EjNS0_10empty_typeEbEEZZNS1_14partition_implILS8_3ELb0ES6_jNS0_17counting_iteratorIjlEEPS9_SE_NS0_5tupleIJPjSE_EEENSF_IJSE_SE_EEES9_SG_JZNS1_25segmented_radix_sort_implINS0_14default_configELb1EPKiPiPKlPlN2at6native12_GLOBAL__N_18offset_tEEE10hipError_tPvRmT1_PNSt15iterator_traitsISY_E10value_typeET2_T3_PNSZ_IS14_E10value_typeET4_jRbjT5_S1A_jjP12ihipStream_tbEUljE_EEESV_SW_SX_S14_S18_S1A_T6_T7_T9_mT8_S1C_bDpT10_ENKUlT_T0_E_clISt17integral_constantIbLb1EES1P_EEDaS1K_S1L_EUlS1K_E_NS1_11comp_targetILNS1_3genE3ELNS1_11target_archE908ELNS1_3gpuE7ELNS1_3repE0EEENS1_30default_config_static_selectorELNS0_4arch9wavefront6targetE0EEEvSY_.has_indirect_call, 0
	.section	.AMDGPU.csdata,"",@progbits
; Kernel info:
; codeLenInByte = 0
; TotalNumSgprs: 0
; NumVgprs: 0
; ScratchSize: 0
; MemoryBound: 0
; FloatMode: 240
; IeeeMode: 1
; LDSByteSize: 0 bytes/workgroup (compile time only)
; SGPRBlocks: 0
; VGPRBlocks: 0
; NumSGPRsForWavesPerEU: 1
; NumVGPRsForWavesPerEU: 1
; Occupancy: 16
; WaveLimiterHint : 0
; COMPUTE_PGM_RSRC2:SCRATCH_EN: 0
; COMPUTE_PGM_RSRC2:USER_SGPR: 6
; COMPUTE_PGM_RSRC2:TRAP_HANDLER: 0
; COMPUTE_PGM_RSRC2:TGID_X_EN: 1
; COMPUTE_PGM_RSRC2:TGID_Y_EN: 0
; COMPUTE_PGM_RSRC2:TGID_Z_EN: 0
; COMPUTE_PGM_RSRC2:TIDIG_COMP_CNT: 0
	.section	.text._ZN7rocprim17ROCPRIM_400000_NS6detail17trampoline_kernelINS0_13select_configILj256ELj13ELNS0_17block_load_methodE3ELS4_3ELS4_3ELNS0_20block_scan_algorithmE0ELj4294967295EEENS1_25partition_config_selectorILNS1_17partition_subalgoE3EjNS0_10empty_typeEbEEZZNS1_14partition_implILS8_3ELb0ES6_jNS0_17counting_iteratorIjlEEPS9_SE_NS0_5tupleIJPjSE_EEENSF_IJSE_SE_EEES9_SG_JZNS1_25segmented_radix_sort_implINS0_14default_configELb1EPKiPiPKlPlN2at6native12_GLOBAL__N_18offset_tEEE10hipError_tPvRmT1_PNSt15iterator_traitsISY_E10value_typeET2_T3_PNSZ_IS14_E10value_typeET4_jRbjT5_S1A_jjP12ihipStream_tbEUljE_EEESV_SW_SX_S14_S18_S1A_T6_T7_T9_mT8_S1C_bDpT10_ENKUlT_T0_E_clISt17integral_constantIbLb1EES1P_EEDaS1K_S1L_EUlS1K_E_NS1_11comp_targetILNS1_3genE2ELNS1_11target_archE906ELNS1_3gpuE6ELNS1_3repE0EEENS1_30default_config_static_selectorELNS0_4arch9wavefront6targetE0EEEvSY_,"axG",@progbits,_ZN7rocprim17ROCPRIM_400000_NS6detail17trampoline_kernelINS0_13select_configILj256ELj13ELNS0_17block_load_methodE3ELS4_3ELS4_3ELNS0_20block_scan_algorithmE0ELj4294967295EEENS1_25partition_config_selectorILNS1_17partition_subalgoE3EjNS0_10empty_typeEbEEZZNS1_14partition_implILS8_3ELb0ES6_jNS0_17counting_iteratorIjlEEPS9_SE_NS0_5tupleIJPjSE_EEENSF_IJSE_SE_EEES9_SG_JZNS1_25segmented_radix_sort_implINS0_14default_configELb1EPKiPiPKlPlN2at6native12_GLOBAL__N_18offset_tEEE10hipError_tPvRmT1_PNSt15iterator_traitsISY_E10value_typeET2_T3_PNSZ_IS14_E10value_typeET4_jRbjT5_S1A_jjP12ihipStream_tbEUljE_EEESV_SW_SX_S14_S18_S1A_T6_T7_T9_mT8_S1C_bDpT10_ENKUlT_T0_E_clISt17integral_constantIbLb1EES1P_EEDaS1K_S1L_EUlS1K_E_NS1_11comp_targetILNS1_3genE2ELNS1_11target_archE906ELNS1_3gpuE6ELNS1_3repE0EEENS1_30default_config_static_selectorELNS0_4arch9wavefront6targetE0EEEvSY_,comdat
	.globl	_ZN7rocprim17ROCPRIM_400000_NS6detail17trampoline_kernelINS0_13select_configILj256ELj13ELNS0_17block_load_methodE3ELS4_3ELS4_3ELNS0_20block_scan_algorithmE0ELj4294967295EEENS1_25partition_config_selectorILNS1_17partition_subalgoE3EjNS0_10empty_typeEbEEZZNS1_14partition_implILS8_3ELb0ES6_jNS0_17counting_iteratorIjlEEPS9_SE_NS0_5tupleIJPjSE_EEENSF_IJSE_SE_EEES9_SG_JZNS1_25segmented_radix_sort_implINS0_14default_configELb1EPKiPiPKlPlN2at6native12_GLOBAL__N_18offset_tEEE10hipError_tPvRmT1_PNSt15iterator_traitsISY_E10value_typeET2_T3_PNSZ_IS14_E10value_typeET4_jRbjT5_S1A_jjP12ihipStream_tbEUljE_EEESV_SW_SX_S14_S18_S1A_T6_T7_T9_mT8_S1C_bDpT10_ENKUlT_T0_E_clISt17integral_constantIbLb1EES1P_EEDaS1K_S1L_EUlS1K_E_NS1_11comp_targetILNS1_3genE2ELNS1_11target_archE906ELNS1_3gpuE6ELNS1_3repE0EEENS1_30default_config_static_selectorELNS0_4arch9wavefront6targetE0EEEvSY_ ; -- Begin function _ZN7rocprim17ROCPRIM_400000_NS6detail17trampoline_kernelINS0_13select_configILj256ELj13ELNS0_17block_load_methodE3ELS4_3ELS4_3ELNS0_20block_scan_algorithmE0ELj4294967295EEENS1_25partition_config_selectorILNS1_17partition_subalgoE3EjNS0_10empty_typeEbEEZZNS1_14partition_implILS8_3ELb0ES6_jNS0_17counting_iteratorIjlEEPS9_SE_NS0_5tupleIJPjSE_EEENSF_IJSE_SE_EEES9_SG_JZNS1_25segmented_radix_sort_implINS0_14default_configELb1EPKiPiPKlPlN2at6native12_GLOBAL__N_18offset_tEEE10hipError_tPvRmT1_PNSt15iterator_traitsISY_E10value_typeET2_T3_PNSZ_IS14_E10value_typeET4_jRbjT5_S1A_jjP12ihipStream_tbEUljE_EEESV_SW_SX_S14_S18_S1A_T6_T7_T9_mT8_S1C_bDpT10_ENKUlT_T0_E_clISt17integral_constantIbLb1EES1P_EEDaS1K_S1L_EUlS1K_E_NS1_11comp_targetILNS1_3genE2ELNS1_11target_archE906ELNS1_3gpuE6ELNS1_3repE0EEENS1_30default_config_static_selectorELNS0_4arch9wavefront6targetE0EEEvSY_
	.p2align	8
	.type	_ZN7rocprim17ROCPRIM_400000_NS6detail17trampoline_kernelINS0_13select_configILj256ELj13ELNS0_17block_load_methodE3ELS4_3ELS4_3ELNS0_20block_scan_algorithmE0ELj4294967295EEENS1_25partition_config_selectorILNS1_17partition_subalgoE3EjNS0_10empty_typeEbEEZZNS1_14partition_implILS8_3ELb0ES6_jNS0_17counting_iteratorIjlEEPS9_SE_NS0_5tupleIJPjSE_EEENSF_IJSE_SE_EEES9_SG_JZNS1_25segmented_radix_sort_implINS0_14default_configELb1EPKiPiPKlPlN2at6native12_GLOBAL__N_18offset_tEEE10hipError_tPvRmT1_PNSt15iterator_traitsISY_E10value_typeET2_T3_PNSZ_IS14_E10value_typeET4_jRbjT5_S1A_jjP12ihipStream_tbEUljE_EEESV_SW_SX_S14_S18_S1A_T6_T7_T9_mT8_S1C_bDpT10_ENKUlT_T0_E_clISt17integral_constantIbLb1EES1P_EEDaS1K_S1L_EUlS1K_E_NS1_11comp_targetILNS1_3genE2ELNS1_11target_archE906ELNS1_3gpuE6ELNS1_3repE0EEENS1_30default_config_static_selectorELNS0_4arch9wavefront6targetE0EEEvSY_,@function
_ZN7rocprim17ROCPRIM_400000_NS6detail17trampoline_kernelINS0_13select_configILj256ELj13ELNS0_17block_load_methodE3ELS4_3ELS4_3ELNS0_20block_scan_algorithmE0ELj4294967295EEENS1_25partition_config_selectorILNS1_17partition_subalgoE3EjNS0_10empty_typeEbEEZZNS1_14partition_implILS8_3ELb0ES6_jNS0_17counting_iteratorIjlEEPS9_SE_NS0_5tupleIJPjSE_EEENSF_IJSE_SE_EEES9_SG_JZNS1_25segmented_radix_sort_implINS0_14default_configELb1EPKiPiPKlPlN2at6native12_GLOBAL__N_18offset_tEEE10hipError_tPvRmT1_PNSt15iterator_traitsISY_E10value_typeET2_T3_PNSZ_IS14_E10value_typeET4_jRbjT5_S1A_jjP12ihipStream_tbEUljE_EEESV_SW_SX_S14_S18_S1A_T6_T7_T9_mT8_S1C_bDpT10_ENKUlT_T0_E_clISt17integral_constantIbLb1EES1P_EEDaS1K_S1L_EUlS1K_E_NS1_11comp_targetILNS1_3genE2ELNS1_11target_archE906ELNS1_3gpuE6ELNS1_3repE0EEENS1_30default_config_static_selectorELNS0_4arch9wavefront6targetE0EEEvSY_: ; @_ZN7rocprim17ROCPRIM_400000_NS6detail17trampoline_kernelINS0_13select_configILj256ELj13ELNS0_17block_load_methodE3ELS4_3ELS4_3ELNS0_20block_scan_algorithmE0ELj4294967295EEENS1_25partition_config_selectorILNS1_17partition_subalgoE3EjNS0_10empty_typeEbEEZZNS1_14partition_implILS8_3ELb0ES6_jNS0_17counting_iteratorIjlEEPS9_SE_NS0_5tupleIJPjSE_EEENSF_IJSE_SE_EEES9_SG_JZNS1_25segmented_radix_sort_implINS0_14default_configELb1EPKiPiPKlPlN2at6native12_GLOBAL__N_18offset_tEEE10hipError_tPvRmT1_PNSt15iterator_traitsISY_E10value_typeET2_T3_PNSZ_IS14_E10value_typeET4_jRbjT5_S1A_jjP12ihipStream_tbEUljE_EEESV_SW_SX_S14_S18_S1A_T6_T7_T9_mT8_S1C_bDpT10_ENKUlT_T0_E_clISt17integral_constantIbLb1EES1P_EEDaS1K_S1L_EUlS1K_E_NS1_11comp_targetILNS1_3genE2ELNS1_11target_archE906ELNS1_3gpuE6ELNS1_3repE0EEENS1_30default_config_static_selectorELNS0_4arch9wavefront6targetE0EEEvSY_
; %bb.0:
	.section	.rodata,"a",@progbits
	.p2align	6, 0x0
	.amdhsa_kernel _ZN7rocprim17ROCPRIM_400000_NS6detail17trampoline_kernelINS0_13select_configILj256ELj13ELNS0_17block_load_methodE3ELS4_3ELS4_3ELNS0_20block_scan_algorithmE0ELj4294967295EEENS1_25partition_config_selectorILNS1_17partition_subalgoE3EjNS0_10empty_typeEbEEZZNS1_14partition_implILS8_3ELb0ES6_jNS0_17counting_iteratorIjlEEPS9_SE_NS0_5tupleIJPjSE_EEENSF_IJSE_SE_EEES9_SG_JZNS1_25segmented_radix_sort_implINS0_14default_configELb1EPKiPiPKlPlN2at6native12_GLOBAL__N_18offset_tEEE10hipError_tPvRmT1_PNSt15iterator_traitsISY_E10value_typeET2_T3_PNSZ_IS14_E10value_typeET4_jRbjT5_S1A_jjP12ihipStream_tbEUljE_EEESV_SW_SX_S14_S18_S1A_T6_T7_T9_mT8_S1C_bDpT10_ENKUlT_T0_E_clISt17integral_constantIbLb1EES1P_EEDaS1K_S1L_EUlS1K_E_NS1_11comp_targetILNS1_3genE2ELNS1_11target_archE906ELNS1_3gpuE6ELNS1_3repE0EEENS1_30default_config_static_selectorELNS0_4arch9wavefront6targetE0EEEvSY_
		.amdhsa_group_segment_fixed_size 0
		.amdhsa_private_segment_fixed_size 0
		.amdhsa_kernarg_size 152
		.amdhsa_user_sgpr_count 6
		.amdhsa_user_sgpr_private_segment_buffer 1
		.amdhsa_user_sgpr_dispatch_ptr 0
		.amdhsa_user_sgpr_queue_ptr 0
		.amdhsa_user_sgpr_kernarg_segment_ptr 1
		.amdhsa_user_sgpr_dispatch_id 0
		.amdhsa_user_sgpr_flat_scratch_init 0
		.amdhsa_user_sgpr_private_segment_size 0
		.amdhsa_wavefront_size32 1
		.amdhsa_uses_dynamic_stack 0
		.amdhsa_system_sgpr_private_segment_wavefront_offset 0
		.amdhsa_system_sgpr_workgroup_id_x 1
		.amdhsa_system_sgpr_workgroup_id_y 0
		.amdhsa_system_sgpr_workgroup_id_z 0
		.amdhsa_system_sgpr_workgroup_info 0
		.amdhsa_system_vgpr_workitem_id 0
		.amdhsa_next_free_vgpr 1
		.amdhsa_next_free_sgpr 1
		.amdhsa_reserve_vcc 0
		.amdhsa_reserve_flat_scratch 0
		.amdhsa_float_round_mode_32 0
		.amdhsa_float_round_mode_16_64 0
		.amdhsa_float_denorm_mode_32 3
		.amdhsa_float_denorm_mode_16_64 3
		.amdhsa_dx10_clamp 1
		.amdhsa_ieee_mode 1
		.amdhsa_fp16_overflow 0
		.amdhsa_workgroup_processor_mode 1
		.amdhsa_memory_ordered 1
		.amdhsa_forward_progress 1
		.amdhsa_shared_vgpr_count 0
		.amdhsa_exception_fp_ieee_invalid_op 0
		.amdhsa_exception_fp_denorm_src 0
		.amdhsa_exception_fp_ieee_div_zero 0
		.amdhsa_exception_fp_ieee_overflow 0
		.amdhsa_exception_fp_ieee_underflow 0
		.amdhsa_exception_fp_ieee_inexact 0
		.amdhsa_exception_int_div_zero 0
	.end_amdhsa_kernel
	.section	.text._ZN7rocprim17ROCPRIM_400000_NS6detail17trampoline_kernelINS0_13select_configILj256ELj13ELNS0_17block_load_methodE3ELS4_3ELS4_3ELNS0_20block_scan_algorithmE0ELj4294967295EEENS1_25partition_config_selectorILNS1_17partition_subalgoE3EjNS0_10empty_typeEbEEZZNS1_14partition_implILS8_3ELb0ES6_jNS0_17counting_iteratorIjlEEPS9_SE_NS0_5tupleIJPjSE_EEENSF_IJSE_SE_EEES9_SG_JZNS1_25segmented_radix_sort_implINS0_14default_configELb1EPKiPiPKlPlN2at6native12_GLOBAL__N_18offset_tEEE10hipError_tPvRmT1_PNSt15iterator_traitsISY_E10value_typeET2_T3_PNSZ_IS14_E10value_typeET4_jRbjT5_S1A_jjP12ihipStream_tbEUljE_EEESV_SW_SX_S14_S18_S1A_T6_T7_T9_mT8_S1C_bDpT10_ENKUlT_T0_E_clISt17integral_constantIbLb1EES1P_EEDaS1K_S1L_EUlS1K_E_NS1_11comp_targetILNS1_3genE2ELNS1_11target_archE906ELNS1_3gpuE6ELNS1_3repE0EEENS1_30default_config_static_selectorELNS0_4arch9wavefront6targetE0EEEvSY_,"axG",@progbits,_ZN7rocprim17ROCPRIM_400000_NS6detail17trampoline_kernelINS0_13select_configILj256ELj13ELNS0_17block_load_methodE3ELS4_3ELS4_3ELNS0_20block_scan_algorithmE0ELj4294967295EEENS1_25partition_config_selectorILNS1_17partition_subalgoE3EjNS0_10empty_typeEbEEZZNS1_14partition_implILS8_3ELb0ES6_jNS0_17counting_iteratorIjlEEPS9_SE_NS0_5tupleIJPjSE_EEENSF_IJSE_SE_EEES9_SG_JZNS1_25segmented_radix_sort_implINS0_14default_configELb1EPKiPiPKlPlN2at6native12_GLOBAL__N_18offset_tEEE10hipError_tPvRmT1_PNSt15iterator_traitsISY_E10value_typeET2_T3_PNSZ_IS14_E10value_typeET4_jRbjT5_S1A_jjP12ihipStream_tbEUljE_EEESV_SW_SX_S14_S18_S1A_T6_T7_T9_mT8_S1C_bDpT10_ENKUlT_T0_E_clISt17integral_constantIbLb1EES1P_EEDaS1K_S1L_EUlS1K_E_NS1_11comp_targetILNS1_3genE2ELNS1_11target_archE906ELNS1_3gpuE6ELNS1_3repE0EEENS1_30default_config_static_selectorELNS0_4arch9wavefront6targetE0EEEvSY_,comdat
.Lfunc_end473:
	.size	_ZN7rocprim17ROCPRIM_400000_NS6detail17trampoline_kernelINS0_13select_configILj256ELj13ELNS0_17block_load_methodE3ELS4_3ELS4_3ELNS0_20block_scan_algorithmE0ELj4294967295EEENS1_25partition_config_selectorILNS1_17partition_subalgoE3EjNS0_10empty_typeEbEEZZNS1_14partition_implILS8_3ELb0ES6_jNS0_17counting_iteratorIjlEEPS9_SE_NS0_5tupleIJPjSE_EEENSF_IJSE_SE_EEES9_SG_JZNS1_25segmented_radix_sort_implINS0_14default_configELb1EPKiPiPKlPlN2at6native12_GLOBAL__N_18offset_tEEE10hipError_tPvRmT1_PNSt15iterator_traitsISY_E10value_typeET2_T3_PNSZ_IS14_E10value_typeET4_jRbjT5_S1A_jjP12ihipStream_tbEUljE_EEESV_SW_SX_S14_S18_S1A_T6_T7_T9_mT8_S1C_bDpT10_ENKUlT_T0_E_clISt17integral_constantIbLb1EES1P_EEDaS1K_S1L_EUlS1K_E_NS1_11comp_targetILNS1_3genE2ELNS1_11target_archE906ELNS1_3gpuE6ELNS1_3repE0EEENS1_30default_config_static_selectorELNS0_4arch9wavefront6targetE0EEEvSY_, .Lfunc_end473-_ZN7rocprim17ROCPRIM_400000_NS6detail17trampoline_kernelINS0_13select_configILj256ELj13ELNS0_17block_load_methodE3ELS4_3ELS4_3ELNS0_20block_scan_algorithmE0ELj4294967295EEENS1_25partition_config_selectorILNS1_17partition_subalgoE3EjNS0_10empty_typeEbEEZZNS1_14partition_implILS8_3ELb0ES6_jNS0_17counting_iteratorIjlEEPS9_SE_NS0_5tupleIJPjSE_EEENSF_IJSE_SE_EEES9_SG_JZNS1_25segmented_radix_sort_implINS0_14default_configELb1EPKiPiPKlPlN2at6native12_GLOBAL__N_18offset_tEEE10hipError_tPvRmT1_PNSt15iterator_traitsISY_E10value_typeET2_T3_PNSZ_IS14_E10value_typeET4_jRbjT5_S1A_jjP12ihipStream_tbEUljE_EEESV_SW_SX_S14_S18_S1A_T6_T7_T9_mT8_S1C_bDpT10_ENKUlT_T0_E_clISt17integral_constantIbLb1EES1P_EEDaS1K_S1L_EUlS1K_E_NS1_11comp_targetILNS1_3genE2ELNS1_11target_archE906ELNS1_3gpuE6ELNS1_3repE0EEENS1_30default_config_static_selectorELNS0_4arch9wavefront6targetE0EEEvSY_
                                        ; -- End function
	.set _ZN7rocprim17ROCPRIM_400000_NS6detail17trampoline_kernelINS0_13select_configILj256ELj13ELNS0_17block_load_methodE3ELS4_3ELS4_3ELNS0_20block_scan_algorithmE0ELj4294967295EEENS1_25partition_config_selectorILNS1_17partition_subalgoE3EjNS0_10empty_typeEbEEZZNS1_14partition_implILS8_3ELb0ES6_jNS0_17counting_iteratorIjlEEPS9_SE_NS0_5tupleIJPjSE_EEENSF_IJSE_SE_EEES9_SG_JZNS1_25segmented_radix_sort_implINS0_14default_configELb1EPKiPiPKlPlN2at6native12_GLOBAL__N_18offset_tEEE10hipError_tPvRmT1_PNSt15iterator_traitsISY_E10value_typeET2_T3_PNSZ_IS14_E10value_typeET4_jRbjT5_S1A_jjP12ihipStream_tbEUljE_EEESV_SW_SX_S14_S18_S1A_T6_T7_T9_mT8_S1C_bDpT10_ENKUlT_T0_E_clISt17integral_constantIbLb1EES1P_EEDaS1K_S1L_EUlS1K_E_NS1_11comp_targetILNS1_3genE2ELNS1_11target_archE906ELNS1_3gpuE6ELNS1_3repE0EEENS1_30default_config_static_selectorELNS0_4arch9wavefront6targetE0EEEvSY_.num_vgpr, 0
	.set _ZN7rocprim17ROCPRIM_400000_NS6detail17trampoline_kernelINS0_13select_configILj256ELj13ELNS0_17block_load_methodE3ELS4_3ELS4_3ELNS0_20block_scan_algorithmE0ELj4294967295EEENS1_25partition_config_selectorILNS1_17partition_subalgoE3EjNS0_10empty_typeEbEEZZNS1_14partition_implILS8_3ELb0ES6_jNS0_17counting_iteratorIjlEEPS9_SE_NS0_5tupleIJPjSE_EEENSF_IJSE_SE_EEES9_SG_JZNS1_25segmented_radix_sort_implINS0_14default_configELb1EPKiPiPKlPlN2at6native12_GLOBAL__N_18offset_tEEE10hipError_tPvRmT1_PNSt15iterator_traitsISY_E10value_typeET2_T3_PNSZ_IS14_E10value_typeET4_jRbjT5_S1A_jjP12ihipStream_tbEUljE_EEESV_SW_SX_S14_S18_S1A_T6_T7_T9_mT8_S1C_bDpT10_ENKUlT_T0_E_clISt17integral_constantIbLb1EES1P_EEDaS1K_S1L_EUlS1K_E_NS1_11comp_targetILNS1_3genE2ELNS1_11target_archE906ELNS1_3gpuE6ELNS1_3repE0EEENS1_30default_config_static_selectorELNS0_4arch9wavefront6targetE0EEEvSY_.num_agpr, 0
	.set _ZN7rocprim17ROCPRIM_400000_NS6detail17trampoline_kernelINS0_13select_configILj256ELj13ELNS0_17block_load_methodE3ELS4_3ELS4_3ELNS0_20block_scan_algorithmE0ELj4294967295EEENS1_25partition_config_selectorILNS1_17partition_subalgoE3EjNS0_10empty_typeEbEEZZNS1_14partition_implILS8_3ELb0ES6_jNS0_17counting_iteratorIjlEEPS9_SE_NS0_5tupleIJPjSE_EEENSF_IJSE_SE_EEES9_SG_JZNS1_25segmented_radix_sort_implINS0_14default_configELb1EPKiPiPKlPlN2at6native12_GLOBAL__N_18offset_tEEE10hipError_tPvRmT1_PNSt15iterator_traitsISY_E10value_typeET2_T3_PNSZ_IS14_E10value_typeET4_jRbjT5_S1A_jjP12ihipStream_tbEUljE_EEESV_SW_SX_S14_S18_S1A_T6_T7_T9_mT8_S1C_bDpT10_ENKUlT_T0_E_clISt17integral_constantIbLb1EES1P_EEDaS1K_S1L_EUlS1K_E_NS1_11comp_targetILNS1_3genE2ELNS1_11target_archE906ELNS1_3gpuE6ELNS1_3repE0EEENS1_30default_config_static_selectorELNS0_4arch9wavefront6targetE0EEEvSY_.numbered_sgpr, 0
	.set _ZN7rocprim17ROCPRIM_400000_NS6detail17trampoline_kernelINS0_13select_configILj256ELj13ELNS0_17block_load_methodE3ELS4_3ELS4_3ELNS0_20block_scan_algorithmE0ELj4294967295EEENS1_25partition_config_selectorILNS1_17partition_subalgoE3EjNS0_10empty_typeEbEEZZNS1_14partition_implILS8_3ELb0ES6_jNS0_17counting_iteratorIjlEEPS9_SE_NS0_5tupleIJPjSE_EEENSF_IJSE_SE_EEES9_SG_JZNS1_25segmented_radix_sort_implINS0_14default_configELb1EPKiPiPKlPlN2at6native12_GLOBAL__N_18offset_tEEE10hipError_tPvRmT1_PNSt15iterator_traitsISY_E10value_typeET2_T3_PNSZ_IS14_E10value_typeET4_jRbjT5_S1A_jjP12ihipStream_tbEUljE_EEESV_SW_SX_S14_S18_S1A_T6_T7_T9_mT8_S1C_bDpT10_ENKUlT_T0_E_clISt17integral_constantIbLb1EES1P_EEDaS1K_S1L_EUlS1K_E_NS1_11comp_targetILNS1_3genE2ELNS1_11target_archE906ELNS1_3gpuE6ELNS1_3repE0EEENS1_30default_config_static_selectorELNS0_4arch9wavefront6targetE0EEEvSY_.num_named_barrier, 0
	.set _ZN7rocprim17ROCPRIM_400000_NS6detail17trampoline_kernelINS0_13select_configILj256ELj13ELNS0_17block_load_methodE3ELS4_3ELS4_3ELNS0_20block_scan_algorithmE0ELj4294967295EEENS1_25partition_config_selectorILNS1_17partition_subalgoE3EjNS0_10empty_typeEbEEZZNS1_14partition_implILS8_3ELb0ES6_jNS0_17counting_iteratorIjlEEPS9_SE_NS0_5tupleIJPjSE_EEENSF_IJSE_SE_EEES9_SG_JZNS1_25segmented_radix_sort_implINS0_14default_configELb1EPKiPiPKlPlN2at6native12_GLOBAL__N_18offset_tEEE10hipError_tPvRmT1_PNSt15iterator_traitsISY_E10value_typeET2_T3_PNSZ_IS14_E10value_typeET4_jRbjT5_S1A_jjP12ihipStream_tbEUljE_EEESV_SW_SX_S14_S18_S1A_T6_T7_T9_mT8_S1C_bDpT10_ENKUlT_T0_E_clISt17integral_constantIbLb1EES1P_EEDaS1K_S1L_EUlS1K_E_NS1_11comp_targetILNS1_3genE2ELNS1_11target_archE906ELNS1_3gpuE6ELNS1_3repE0EEENS1_30default_config_static_selectorELNS0_4arch9wavefront6targetE0EEEvSY_.private_seg_size, 0
	.set _ZN7rocprim17ROCPRIM_400000_NS6detail17trampoline_kernelINS0_13select_configILj256ELj13ELNS0_17block_load_methodE3ELS4_3ELS4_3ELNS0_20block_scan_algorithmE0ELj4294967295EEENS1_25partition_config_selectorILNS1_17partition_subalgoE3EjNS0_10empty_typeEbEEZZNS1_14partition_implILS8_3ELb0ES6_jNS0_17counting_iteratorIjlEEPS9_SE_NS0_5tupleIJPjSE_EEENSF_IJSE_SE_EEES9_SG_JZNS1_25segmented_radix_sort_implINS0_14default_configELb1EPKiPiPKlPlN2at6native12_GLOBAL__N_18offset_tEEE10hipError_tPvRmT1_PNSt15iterator_traitsISY_E10value_typeET2_T3_PNSZ_IS14_E10value_typeET4_jRbjT5_S1A_jjP12ihipStream_tbEUljE_EEESV_SW_SX_S14_S18_S1A_T6_T7_T9_mT8_S1C_bDpT10_ENKUlT_T0_E_clISt17integral_constantIbLb1EES1P_EEDaS1K_S1L_EUlS1K_E_NS1_11comp_targetILNS1_3genE2ELNS1_11target_archE906ELNS1_3gpuE6ELNS1_3repE0EEENS1_30default_config_static_selectorELNS0_4arch9wavefront6targetE0EEEvSY_.uses_vcc, 0
	.set _ZN7rocprim17ROCPRIM_400000_NS6detail17trampoline_kernelINS0_13select_configILj256ELj13ELNS0_17block_load_methodE3ELS4_3ELS4_3ELNS0_20block_scan_algorithmE0ELj4294967295EEENS1_25partition_config_selectorILNS1_17partition_subalgoE3EjNS0_10empty_typeEbEEZZNS1_14partition_implILS8_3ELb0ES6_jNS0_17counting_iteratorIjlEEPS9_SE_NS0_5tupleIJPjSE_EEENSF_IJSE_SE_EEES9_SG_JZNS1_25segmented_radix_sort_implINS0_14default_configELb1EPKiPiPKlPlN2at6native12_GLOBAL__N_18offset_tEEE10hipError_tPvRmT1_PNSt15iterator_traitsISY_E10value_typeET2_T3_PNSZ_IS14_E10value_typeET4_jRbjT5_S1A_jjP12ihipStream_tbEUljE_EEESV_SW_SX_S14_S18_S1A_T6_T7_T9_mT8_S1C_bDpT10_ENKUlT_T0_E_clISt17integral_constantIbLb1EES1P_EEDaS1K_S1L_EUlS1K_E_NS1_11comp_targetILNS1_3genE2ELNS1_11target_archE906ELNS1_3gpuE6ELNS1_3repE0EEENS1_30default_config_static_selectorELNS0_4arch9wavefront6targetE0EEEvSY_.uses_flat_scratch, 0
	.set _ZN7rocprim17ROCPRIM_400000_NS6detail17trampoline_kernelINS0_13select_configILj256ELj13ELNS0_17block_load_methodE3ELS4_3ELS4_3ELNS0_20block_scan_algorithmE0ELj4294967295EEENS1_25partition_config_selectorILNS1_17partition_subalgoE3EjNS0_10empty_typeEbEEZZNS1_14partition_implILS8_3ELb0ES6_jNS0_17counting_iteratorIjlEEPS9_SE_NS0_5tupleIJPjSE_EEENSF_IJSE_SE_EEES9_SG_JZNS1_25segmented_radix_sort_implINS0_14default_configELb1EPKiPiPKlPlN2at6native12_GLOBAL__N_18offset_tEEE10hipError_tPvRmT1_PNSt15iterator_traitsISY_E10value_typeET2_T3_PNSZ_IS14_E10value_typeET4_jRbjT5_S1A_jjP12ihipStream_tbEUljE_EEESV_SW_SX_S14_S18_S1A_T6_T7_T9_mT8_S1C_bDpT10_ENKUlT_T0_E_clISt17integral_constantIbLb1EES1P_EEDaS1K_S1L_EUlS1K_E_NS1_11comp_targetILNS1_3genE2ELNS1_11target_archE906ELNS1_3gpuE6ELNS1_3repE0EEENS1_30default_config_static_selectorELNS0_4arch9wavefront6targetE0EEEvSY_.has_dyn_sized_stack, 0
	.set _ZN7rocprim17ROCPRIM_400000_NS6detail17trampoline_kernelINS0_13select_configILj256ELj13ELNS0_17block_load_methodE3ELS4_3ELS4_3ELNS0_20block_scan_algorithmE0ELj4294967295EEENS1_25partition_config_selectorILNS1_17partition_subalgoE3EjNS0_10empty_typeEbEEZZNS1_14partition_implILS8_3ELb0ES6_jNS0_17counting_iteratorIjlEEPS9_SE_NS0_5tupleIJPjSE_EEENSF_IJSE_SE_EEES9_SG_JZNS1_25segmented_radix_sort_implINS0_14default_configELb1EPKiPiPKlPlN2at6native12_GLOBAL__N_18offset_tEEE10hipError_tPvRmT1_PNSt15iterator_traitsISY_E10value_typeET2_T3_PNSZ_IS14_E10value_typeET4_jRbjT5_S1A_jjP12ihipStream_tbEUljE_EEESV_SW_SX_S14_S18_S1A_T6_T7_T9_mT8_S1C_bDpT10_ENKUlT_T0_E_clISt17integral_constantIbLb1EES1P_EEDaS1K_S1L_EUlS1K_E_NS1_11comp_targetILNS1_3genE2ELNS1_11target_archE906ELNS1_3gpuE6ELNS1_3repE0EEENS1_30default_config_static_selectorELNS0_4arch9wavefront6targetE0EEEvSY_.has_recursion, 0
	.set _ZN7rocprim17ROCPRIM_400000_NS6detail17trampoline_kernelINS0_13select_configILj256ELj13ELNS0_17block_load_methodE3ELS4_3ELS4_3ELNS0_20block_scan_algorithmE0ELj4294967295EEENS1_25partition_config_selectorILNS1_17partition_subalgoE3EjNS0_10empty_typeEbEEZZNS1_14partition_implILS8_3ELb0ES6_jNS0_17counting_iteratorIjlEEPS9_SE_NS0_5tupleIJPjSE_EEENSF_IJSE_SE_EEES9_SG_JZNS1_25segmented_radix_sort_implINS0_14default_configELb1EPKiPiPKlPlN2at6native12_GLOBAL__N_18offset_tEEE10hipError_tPvRmT1_PNSt15iterator_traitsISY_E10value_typeET2_T3_PNSZ_IS14_E10value_typeET4_jRbjT5_S1A_jjP12ihipStream_tbEUljE_EEESV_SW_SX_S14_S18_S1A_T6_T7_T9_mT8_S1C_bDpT10_ENKUlT_T0_E_clISt17integral_constantIbLb1EES1P_EEDaS1K_S1L_EUlS1K_E_NS1_11comp_targetILNS1_3genE2ELNS1_11target_archE906ELNS1_3gpuE6ELNS1_3repE0EEENS1_30default_config_static_selectorELNS0_4arch9wavefront6targetE0EEEvSY_.has_indirect_call, 0
	.section	.AMDGPU.csdata,"",@progbits
; Kernel info:
; codeLenInByte = 0
; TotalNumSgprs: 0
; NumVgprs: 0
; ScratchSize: 0
; MemoryBound: 0
; FloatMode: 240
; IeeeMode: 1
; LDSByteSize: 0 bytes/workgroup (compile time only)
; SGPRBlocks: 0
; VGPRBlocks: 0
; NumSGPRsForWavesPerEU: 1
; NumVGPRsForWavesPerEU: 1
; Occupancy: 16
; WaveLimiterHint : 0
; COMPUTE_PGM_RSRC2:SCRATCH_EN: 0
; COMPUTE_PGM_RSRC2:USER_SGPR: 6
; COMPUTE_PGM_RSRC2:TRAP_HANDLER: 0
; COMPUTE_PGM_RSRC2:TGID_X_EN: 1
; COMPUTE_PGM_RSRC2:TGID_Y_EN: 0
; COMPUTE_PGM_RSRC2:TGID_Z_EN: 0
; COMPUTE_PGM_RSRC2:TIDIG_COMP_CNT: 0
	.section	.text._ZN7rocprim17ROCPRIM_400000_NS6detail17trampoline_kernelINS0_13select_configILj256ELj13ELNS0_17block_load_methodE3ELS4_3ELS4_3ELNS0_20block_scan_algorithmE0ELj4294967295EEENS1_25partition_config_selectorILNS1_17partition_subalgoE3EjNS0_10empty_typeEbEEZZNS1_14partition_implILS8_3ELb0ES6_jNS0_17counting_iteratorIjlEEPS9_SE_NS0_5tupleIJPjSE_EEENSF_IJSE_SE_EEES9_SG_JZNS1_25segmented_radix_sort_implINS0_14default_configELb1EPKiPiPKlPlN2at6native12_GLOBAL__N_18offset_tEEE10hipError_tPvRmT1_PNSt15iterator_traitsISY_E10value_typeET2_T3_PNSZ_IS14_E10value_typeET4_jRbjT5_S1A_jjP12ihipStream_tbEUljE_EEESV_SW_SX_S14_S18_S1A_T6_T7_T9_mT8_S1C_bDpT10_ENKUlT_T0_E_clISt17integral_constantIbLb1EES1P_EEDaS1K_S1L_EUlS1K_E_NS1_11comp_targetILNS1_3genE10ELNS1_11target_archE1200ELNS1_3gpuE4ELNS1_3repE0EEENS1_30default_config_static_selectorELNS0_4arch9wavefront6targetE0EEEvSY_,"axG",@progbits,_ZN7rocprim17ROCPRIM_400000_NS6detail17trampoline_kernelINS0_13select_configILj256ELj13ELNS0_17block_load_methodE3ELS4_3ELS4_3ELNS0_20block_scan_algorithmE0ELj4294967295EEENS1_25partition_config_selectorILNS1_17partition_subalgoE3EjNS0_10empty_typeEbEEZZNS1_14partition_implILS8_3ELb0ES6_jNS0_17counting_iteratorIjlEEPS9_SE_NS0_5tupleIJPjSE_EEENSF_IJSE_SE_EEES9_SG_JZNS1_25segmented_radix_sort_implINS0_14default_configELb1EPKiPiPKlPlN2at6native12_GLOBAL__N_18offset_tEEE10hipError_tPvRmT1_PNSt15iterator_traitsISY_E10value_typeET2_T3_PNSZ_IS14_E10value_typeET4_jRbjT5_S1A_jjP12ihipStream_tbEUljE_EEESV_SW_SX_S14_S18_S1A_T6_T7_T9_mT8_S1C_bDpT10_ENKUlT_T0_E_clISt17integral_constantIbLb1EES1P_EEDaS1K_S1L_EUlS1K_E_NS1_11comp_targetILNS1_3genE10ELNS1_11target_archE1200ELNS1_3gpuE4ELNS1_3repE0EEENS1_30default_config_static_selectorELNS0_4arch9wavefront6targetE0EEEvSY_,comdat
	.globl	_ZN7rocprim17ROCPRIM_400000_NS6detail17trampoline_kernelINS0_13select_configILj256ELj13ELNS0_17block_load_methodE3ELS4_3ELS4_3ELNS0_20block_scan_algorithmE0ELj4294967295EEENS1_25partition_config_selectorILNS1_17partition_subalgoE3EjNS0_10empty_typeEbEEZZNS1_14partition_implILS8_3ELb0ES6_jNS0_17counting_iteratorIjlEEPS9_SE_NS0_5tupleIJPjSE_EEENSF_IJSE_SE_EEES9_SG_JZNS1_25segmented_radix_sort_implINS0_14default_configELb1EPKiPiPKlPlN2at6native12_GLOBAL__N_18offset_tEEE10hipError_tPvRmT1_PNSt15iterator_traitsISY_E10value_typeET2_T3_PNSZ_IS14_E10value_typeET4_jRbjT5_S1A_jjP12ihipStream_tbEUljE_EEESV_SW_SX_S14_S18_S1A_T6_T7_T9_mT8_S1C_bDpT10_ENKUlT_T0_E_clISt17integral_constantIbLb1EES1P_EEDaS1K_S1L_EUlS1K_E_NS1_11comp_targetILNS1_3genE10ELNS1_11target_archE1200ELNS1_3gpuE4ELNS1_3repE0EEENS1_30default_config_static_selectorELNS0_4arch9wavefront6targetE0EEEvSY_ ; -- Begin function _ZN7rocprim17ROCPRIM_400000_NS6detail17trampoline_kernelINS0_13select_configILj256ELj13ELNS0_17block_load_methodE3ELS4_3ELS4_3ELNS0_20block_scan_algorithmE0ELj4294967295EEENS1_25partition_config_selectorILNS1_17partition_subalgoE3EjNS0_10empty_typeEbEEZZNS1_14partition_implILS8_3ELb0ES6_jNS0_17counting_iteratorIjlEEPS9_SE_NS0_5tupleIJPjSE_EEENSF_IJSE_SE_EEES9_SG_JZNS1_25segmented_radix_sort_implINS0_14default_configELb1EPKiPiPKlPlN2at6native12_GLOBAL__N_18offset_tEEE10hipError_tPvRmT1_PNSt15iterator_traitsISY_E10value_typeET2_T3_PNSZ_IS14_E10value_typeET4_jRbjT5_S1A_jjP12ihipStream_tbEUljE_EEESV_SW_SX_S14_S18_S1A_T6_T7_T9_mT8_S1C_bDpT10_ENKUlT_T0_E_clISt17integral_constantIbLb1EES1P_EEDaS1K_S1L_EUlS1K_E_NS1_11comp_targetILNS1_3genE10ELNS1_11target_archE1200ELNS1_3gpuE4ELNS1_3repE0EEENS1_30default_config_static_selectorELNS0_4arch9wavefront6targetE0EEEvSY_
	.p2align	8
	.type	_ZN7rocprim17ROCPRIM_400000_NS6detail17trampoline_kernelINS0_13select_configILj256ELj13ELNS0_17block_load_methodE3ELS4_3ELS4_3ELNS0_20block_scan_algorithmE0ELj4294967295EEENS1_25partition_config_selectorILNS1_17partition_subalgoE3EjNS0_10empty_typeEbEEZZNS1_14partition_implILS8_3ELb0ES6_jNS0_17counting_iteratorIjlEEPS9_SE_NS0_5tupleIJPjSE_EEENSF_IJSE_SE_EEES9_SG_JZNS1_25segmented_radix_sort_implINS0_14default_configELb1EPKiPiPKlPlN2at6native12_GLOBAL__N_18offset_tEEE10hipError_tPvRmT1_PNSt15iterator_traitsISY_E10value_typeET2_T3_PNSZ_IS14_E10value_typeET4_jRbjT5_S1A_jjP12ihipStream_tbEUljE_EEESV_SW_SX_S14_S18_S1A_T6_T7_T9_mT8_S1C_bDpT10_ENKUlT_T0_E_clISt17integral_constantIbLb1EES1P_EEDaS1K_S1L_EUlS1K_E_NS1_11comp_targetILNS1_3genE10ELNS1_11target_archE1200ELNS1_3gpuE4ELNS1_3repE0EEENS1_30default_config_static_selectorELNS0_4arch9wavefront6targetE0EEEvSY_,@function
_ZN7rocprim17ROCPRIM_400000_NS6detail17trampoline_kernelINS0_13select_configILj256ELj13ELNS0_17block_load_methodE3ELS4_3ELS4_3ELNS0_20block_scan_algorithmE0ELj4294967295EEENS1_25partition_config_selectorILNS1_17partition_subalgoE3EjNS0_10empty_typeEbEEZZNS1_14partition_implILS8_3ELb0ES6_jNS0_17counting_iteratorIjlEEPS9_SE_NS0_5tupleIJPjSE_EEENSF_IJSE_SE_EEES9_SG_JZNS1_25segmented_radix_sort_implINS0_14default_configELb1EPKiPiPKlPlN2at6native12_GLOBAL__N_18offset_tEEE10hipError_tPvRmT1_PNSt15iterator_traitsISY_E10value_typeET2_T3_PNSZ_IS14_E10value_typeET4_jRbjT5_S1A_jjP12ihipStream_tbEUljE_EEESV_SW_SX_S14_S18_S1A_T6_T7_T9_mT8_S1C_bDpT10_ENKUlT_T0_E_clISt17integral_constantIbLb1EES1P_EEDaS1K_S1L_EUlS1K_E_NS1_11comp_targetILNS1_3genE10ELNS1_11target_archE1200ELNS1_3gpuE4ELNS1_3repE0EEENS1_30default_config_static_selectorELNS0_4arch9wavefront6targetE0EEEvSY_: ; @_ZN7rocprim17ROCPRIM_400000_NS6detail17trampoline_kernelINS0_13select_configILj256ELj13ELNS0_17block_load_methodE3ELS4_3ELS4_3ELNS0_20block_scan_algorithmE0ELj4294967295EEENS1_25partition_config_selectorILNS1_17partition_subalgoE3EjNS0_10empty_typeEbEEZZNS1_14partition_implILS8_3ELb0ES6_jNS0_17counting_iteratorIjlEEPS9_SE_NS0_5tupleIJPjSE_EEENSF_IJSE_SE_EEES9_SG_JZNS1_25segmented_radix_sort_implINS0_14default_configELb1EPKiPiPKlPlN2at6native12_GLOBAL__N_18offset_tEEE10hipError_tPvRmT1_PNSt15iterator_traitsISY_E10value_typeET2_T3_PNSZ_IS14_E10value_typeET4_jRbjT5_S1A_jjP12ihipStream_tbEUljE_EEESV_SW_SX_S14_S18_S1A_T6_T7_T9_mT8_S1C_bDpT10_ENKUlT_T0_E_clISt17integral_constantIbLb1EES1P_EEDaS1K_S1L_EUlS1K_E_NS1_11comp_targetILNS1_3genE10ELNS1_11target_archE1200ELNS1_3gpuE4ELNS1_3repE0EEENS1_30default_config_static_selectorELNS0_4arch9wavefront6targetE0EEEvSY_
; %bb.0:
	.section	.rodata,"a",@progbits
	.p2align	6, 0x0
	.amdhsa_kernel _ZN7rocprim17ROCPRIM_400000_NS6detail17trampoline_kernelINS0_13select_configILj256ELj13ELNS0_17block_load_methodE3ELS4_3ELS4_3ELNS0_20block_scan_algorithmE0ELj4294967295EEENS1_25partition_config_selectorILNS1_17partition_subalgoE3EjNS0_10empty_typeEbEEZZNS1_14partition_implILS8_3ELb0ES6_jNS0_17counting_iteratorIjlEEPS9_SE_NS0_5tupleIJPjSE_EEENSF_IJSE_SE_EEES9_SG_JZNS1_25segmented_radix_sort_implINS0_14default_configELb1EPKiPiPKlPlN2at6native12_GLOBAL__N_18offset_tEEE10hipError_tPvRmT1_PNSt15iterator_traitsISY_E10value_typeET2_T3_PNSZ_IS14_E10value_typeET4_jRbjT5_S1A_jjP12ihipStream_tbEUljE_EEESV_SW_SX_S14_S18_S1A_T6_T7_T9_mT8_S1C_bDpT10_ENKUlT_T0_E_clISt17integral_constantIbLb1EES1P_EEDaS1K_S1L_EUlS1K_E_NS1_11comp_targetILNS1_3genE10ELNS1_11target_archE1200ELNS1_3gpuE4ELNS1_3repE0EEENS1_30default_config_static_selectorELNS0_4arch9wavefront6targetE0EEEvSY_
		.amdhsa_group_segment_fixed_size 0
		.amdhsa_private_segment_fixed_size 0
		.amdhsa_kernarg_size 152
		.amdhsa_user_sgpr_count 6
		.amdhsa_user_sgpr_private_segment_buffer 1
		.amdhsa_user_sgpr_dispatch_ptr 0
		.amdhsa_user_sgpr_queue_ptr 0
		.amdhsa_user_sgpr_kernarg_segment_ptr 1
		.amdhsa_user_sgpr_dispatch_id 0
		.amdhsa_user_sgpr_flat_scratch_init 0
		.amdhsa_user_sgpr_private_segment_size 0
		.amdhsa_wavefront_size32 1
		.amdhsa_uses_dynamic_stack 0
		.amdhsa_system_sgpr_private_segment_wavefront_offset 0
		.amdhsa_system_sgpr_workgroup_id_x 1
		.amdhsa_system_sgpr_workgroup_id_y 0
		.amdhsa_system_sgpr_workgroup_id_z 0
		.amdhsa_system_sgpr_workgroup_info 0
		.amdhsa_system_vgpr_workitem_id 0
		.amdhsa_next_free_vgpr 1
		.amdhsa_next_free_sgpr 1
		.amdhsa_reserve_vcc 0
		.amdhsa_reserve_flat_scratch 0
		.amdhsa_float_round_mode_32 0
		.amdhsa_float_round_mode_16_64 0
		.amdhsa_float_denorm_mode_32 3
		.amdhsa_float_denorm_mode_16_64 3
		.amdhsa_dx10_clamp 1
		.amdhsa_ieee_mode 1
		.amdhsa_fp16_overflow 0
		.amdhsa_workgroup_processor_mode 1
		.amdhsa_memory_ordered 1
		.amdhsa_forward_progress 1
		.amdhsa_shared_vgpr_count 0
		.amdhsa_exception_fp_ieee_invalid_op 0
		.amdhsa_exception_fp_denorm_src 0
		.amdhsa_exception_fp_ieee_div_zero 0
		.amdhsa_exception_fp_ieee_overflow 0
		.amdhsa_exception_fp_ieee_underflow 0
		.amdhsa_exception_fp_ieee_inexact 0
		.amdhsa_exception_int_div_zero 0
	.end_amdhsa_kernel
	.section	.text._ZN7rocprim17ROCPRIM_400000_NS6detail17trampoline_kernelINS0_13select_configILj256ELj13ELNS0_17block_load_methodE3ELS4_3ELS4_3ELNS0_20block_scan_algorithmE0ELj4294967295EEENS1_25partition_config_selectorILNS1_17partition_subalgoE3EjNS0_10empty_typeEbEEZZNS1_14partition_implILS8_3ELb0ES6_jNS0_17counting_iteratorIjlEEPS9_SE_NS0_5tupleIJPjSE_EEENSF_IJSE_SE_EEES9_SG_JZNS1_25segmented_radix_sort_implINS0_14default_configELb1EPKiPiPKlPlN2at6native12_GLOBAL__N_18offset_tEEE10hipError_tPvRmT1_PNSt15iterator_traitsISY_E10value_typeET2_T3_PNSZ_IS14_E10value_typeET4_jRbjT5_S1A_jjP12ihipStream_tbEUljE_EEESV_SW_SX_S14_S18_S1A_T6_T7_T9_mT8_S1C_bDpT10_ENKUlT_T0_E_clISt17integral_constantIbLb1EES1P_EEDaS1K_S1L_EUlS1K_E_NS1_11comp_targetILNS1_3genE10ELNS1_11target_archE1200ELNS1_3gpuE4ELNS1_3repE0EEENS1_30default_config_static_selectorELNS0_4arch9wavefront6targetE0EEEvSY_,"axG",@progbits,_ZN7rocprim17ROCPRIM_400000_NS6detail17trampoline_kernelINS0_13select_configILj256ELj13ELNS0_17block_load_methodE3ELS4_3ELS4_3ELNS0_20block_scan_algorithmE0ELj4294967295EEENS1_25partition_config_selectorILNS1_17partition_subalgoE3EjNS0_10empty_typeEbEEZZNS1_14partition_implILS8_3ELb0ES6_jNS0_17counting_iteratorIjlEEPS9_SE_NS0_5tupleIJPjSE_EEENSF_IJSE_SE_EEES9_SG_JZNS1_25segmented_radix_sort_implINS0_14default_configELb1EPKiPiPKlPlN2at6native12_GLOBAL__N_18offset_tEEE10hipError_tPvRmT1_PNSt15iterator_traitsISY_E10value_typeET2_T3_PNSZ_IS14_E10value_typeET4_jRbjT5_S1A_jjP12ihipStream_tbEUljE_EEESV_SW_SX_S14_S18_S1A_T6_T7_T9_mT8_S1C_bDpT10_ENKUlT_T0_E_clISt17integral_constantIbLb1EES1P_EEDaS1K_S1L_EUlS1K_E_NS1_11comp_targetILNS1_3genE10ELNS1_11target_archE1200ELNS1_3gpuE4ELNS1_3repE0EEENS1_30default_config_static_selectorELNS0_4arch9wavefront6targetE0EEEvSY_,comdat
.Lfunc_end474:
	.size	_ZN7rocprim17ROCPRIM_400000_NS6detail17trampoline_kernelINS0_13select_configILj256ELj13ELNS0_17block_load_methodE3ELS4_3ELS4_3ELNS0_20block_scan_algorithmE0ELj4294967295EEENS1_25partition_config_selectorILNS1_17partition_subalgoE3EjNS0_10empty_typeEbEEZZNS1_14partition_implILS8_3ELb0ES6_jNS0_17counting_iteratorIjlEEPS9_SE_NS0_5tupleIJPjSE_EEENSF_IJSE_SE_EEES9_SG_JZNS1_25segmented_radix_sort_implINS0_14default_configELb1EPKiPiPKlPlN2at6native12_GLOBAL__N_18offset_tEEE10hipError_tPvRmT1_PNSt15iterator_traitsISY_E10value_typeET2_T3_PNSZ_IS14_E10value_typeET4_jRbjT5_S1A_jjP12ihipStream_tbEUljE_EEESV_SW_SX_S14_S18_S1A_T6_T7_T9_mT8_S1C_bDpT10_ENKUlT_T0_E_clISt17integral_constantIbLb1EES1P_EEDaS1K_S1L_EUlS1K_E_NS1_11comp_targetILNS1_3genE10ELNS1_11target_archE1200ELNS1_3gpuE4ELNS1_3repE0EEENS1_30default_config_static_selectorELNS0_4arch9wavefront6targetE0EEEvSY_, .Lfunc_end474-_ZN7rocprim17ROCPRIM_400000_NS6detail17trampoline_kernelINS0_13select_configILj256ELj13ELNS0_17block_load_methodE3ELS4_3ELS4_3ELNS0_20block_scan_algorithmE0ELj4294967295EEENS1_25partition_config_selectorILNS1_17partition_subalgoE3EjNS0_10empty_typeEbEEZZNS1_14partition_implILS8_3ELb0ES6_jNS0_17counting_iteratorIjlEEPS9_SE_NS0_5tupleIJPjSE_EEENSF_IJSE_SE_EEES9_SG_JZNS1_25segmented_radix_sort_implINS0_14default_configELb1EPKiPiPKlPlN2at6native12_GLOBAL__N_18offset_tEEE10hipError_tPvRmT1_PNSt15iterator_traitsISY_E10value_typeET2_T3_PNSZ_IS14_E10value_typeET4_jRbjT5_S1A_jjP12ihipStream_tbEUljE_EEESV_SW_SX_S14_S18_S1A_T6_T7_T9_mT8_S1C_bDpT10_ENKUlT_T0_E_clISt17integral_constantIbLb1EES1P_EEDaS1K_S1L_EUlS1K_E_NS1_11comp_targetILNS1_3genE10ELNS1_11target_archE1200ELNS1_3gpuE4ELNS1_3repE0EEENS1_30default_config_static_selectorELNS0_4arch9wavefront6targetE0EEEvSY_
                                        ; -- End function
	.set _ZN7rocprim17ROCPRIM_400000_NS6detail17trampoline_kernelINS0_13select_configILj256ELj13ELNS0_17block_load_methodE3ELS4_3ELS4_3ELNS0_20block_scan_algorithmE0ELj4294967295EEENS1_25partition_config_selectorILNS1_17partition_subalgoE3EjNS0_10empty_typeEbEEZZNS1_14partition_implILS8_3ELb0ES6_jNS0_17counting_iteratorIjlEEPS9_SE_NS0_5tupleIJPjSE_EEENSF_IJSE_SE_EEES9_SG_JZNS1_25segmented_radix_sort_implINS0_14default_configELb1EPKiPiPKlPlN2at6native12_GLOBAL__N_18offset_tEEE10hipError_tPvRmT1_PNSt15iterator_traitsISY_E10value_typeET2_T3_PNSZ_IS14_E10value_typeET4_jRbjT5_S1A_jjP12ihipStream_tbEUljE_EEESV_SW_SX_S14_S18_S1A_T6_T7_T9_mT8_S1C_bDpT10_ENKUlT_T0_E_clISt17integral_constantIbLb1EES1P_EEDaS1K_S1L_EUlS1K_E_NS1_11comp_targetILNS1_3genE10ELNS1_11target_archE1200ELNS1_3gpuE4ELNS1_3repE0EEENS1_30default_config_static_selectorELNS0_4arch9wavefront6targetE0EEEvSY_.num_vgpr, 0
	.set _ZN7rocprim17ROCPRIM_400000_NS6detail17trampoline_kernelINS0_13select_configILj256ELj13ELNS0_17block_load_methodE3ELS4_3ELS4_3ELNS0_20block_scan_algorithmE0ELj4294967295EEENS1_25partition_config_selectorILNS1_17partition_subalgoE3EjNS0_10empty_typeEbEEZZNS1_14partition_implILS8_3ELb0ES6_jNS0_17counting_iteratorIjlEEPS9_SE_NS0_5tupleIJPjSE_EEENSF_IJSE_SE_EEES9_SG_JZNS1_25segmented_radix_sort_implINS0_14default_configELb1EPKiPiPKlPlN2at6native12_GLOBAL__N_18offset_tEEE10hipError_tPvRmT1_PNSt15iterator_traitsISY_E10value_typeET2_T3_PNSZ_IS14_E10value_typeET4_jRbjT5_S1A_jjP12ihipStream_tbEUljE_EEESV_SW_SX_S14_S18_S1A_T6_T7_T9_mT8_S1C_bDpT10_ENKUlT_T0_E_clISt17integral_constantIbLb1EES1P_EEDaS1K_S1L_EUlS1K_E_NS1_11comp_targetILNS1_3genE10ELNS1_11target_archE1200ELNS1_3gpuE4ELNS1_3repE0EEENS1_30default_config_static_selectorELNS0_4arch9wavefront6targetE0EEEvSY_.num_agpr, 0
	.set _ZN7rocprim17ROCPRIM_400000_NS6detail17trampoline_kernelINS0_13select_configILj256ELj13ELNS0_17block_load_methodE3ELS4_3ELS4_3ELNS0_20block_scan_algorithmE0ELj4294967295EEENS1_25partition_config_selectorILNS1_17partition_subalgoE3EjNS0_10empty_typeEbEEZZNS1_14partition_implILS8_3ELb0ES6_jNS0_17counting_iteratorIjlEEPS9_SE_NS0_5tupleIJPjSE_EEENSF_IJSE_SE_EEES9_SG_JZNS1_25segmented_radix_sort_implINS0_14default_configELb1EPKiPiPKlPlN2at6native12_GLOBAL__N_18offset_tEEE10hipError_tPvRmT1_PNSt15iterator_traitsISY_E10value_typeET2_T3_PNSZ_IS14_E10value_typeET4_jRbjT5_S1A_jjP12ihipStream_tbEUljE_EEESV_SW_SX_S14_S18_S1A_T6_T7_T9_mT8_S1C_bDpT10_ENKUlT_T0_E_clISt17integral_constantIbLb1EES1P_EEDaS1K_S1L_EUlS1K_E_NS1_11comp_targetILNS1_3genE10ELNS1_11target_archE1200ELNS1_3gpuE4ELNS1_3repE0EEENS1_30default_config_static_selectorELNS0_4arch9wavefront6targetE0EEEvSY_.numbered_sgpr, 0
	.set _ZN7rocprim17ROCPRIM_400000_NS6detail17trampoline_kernelINS0_13select_configILj256ELj13ELNS0_17block_load_methodE3ELS4_3ELS4_3ELNS0_20block_scan_algorithmE0ELj4294967295EEENS1_25partition_config_selectorILNS1_17partition_subalgoE3EjNS0_10empty_typeEbEEZZNS1_14partition_implILS8_3ELb0ES6_jNS0_17counting_iteratorIjlEEPS9_SE_NS0_5tupleIJPjSE_EEENSF_IJSE_SE_EEES9_SG_JZNS1_25segmented_radix_sort_implINS0_14default_configELb1EPKiPiPKlPlN2at6native12_GLOBAL__N_18offset_tEEE10hipError_tPvRmT1_PNSt15iterator_traitsISY_E10value_typeET2_T3_PNSZ_IS14_E10value_typeET4_jRbjT5_S1A_jjP12ihipStream_tbEUljE_EEESV_SW_SX_S14_S18_S1A_T6_T7_T9_mT8_S1C_bDpT10_ENKUlT_T0_E_clISt17integral_constantIbLb1EES1P_EEDaS1K_S1L_EUlS1K_E_NS1_11comp_targetILNS1_3genE10ELNS1_11target_archE1200ELNS1_3gpuE4ELNS1_3repE0EEENS1_30default_config_static_selectorELNS0_4arch9wavefront6targetE0EEEvSY_.num_named_barrier, 0
	.set _ZN7rocprim17ROCPRIM_400000_NS6detail17trampoline_kernelINS0_13select_configILj256ELj13ELNS0_17block_load_methodE3ELS4_3ELS4_3ELNS0_20block_scan_algorithmE0ELj4294967295EEENS1_25partition_config_selectorILNS1_17partition_subalgoE3EjNS0_10empty_typeEbEEZZNS1_14partition_implILS8_3ELb0ES6_jNS0_17counting_iteratorIjlEEPS9_SE_NS0_5tupleIJPjSE_EEENSF_IJSE_SE_EEES9_SG_JZNS1_25segmented_radix_sort_implINS0_14default_configELb1EPKiPiPKlPlN2at6native12_GLOBAL__N_18offset_tEEE10hipError_tPvRmT1_PNSt15iterator_traitsISY_E10value_typeET2_T3_PNSZ_IS14_E10value_typeET4_jRbjT5_S1A_jjP12ihipStream_tbEUljE_EEESV_SW_SX_S14_S18_S1A_T6_T7_T9_mT8_S1C_bDpT10_ENKUlT_T0_E_clISt17integral_constantIbLb1EES1P_EEDaS1K_S1L_EUlS1K_E_NS1_11comp_targetILNS1_3genE10ELNS1_11target_archE1200ELNS1_3gpuE4ELNS1_3repE0EEENS1_30default_config_static_selectorELNS0_4arch9wavefront6targetE0EEEvSY_.private_seg_size, 0
	.set _ZN7rocprim17ROCPRIM_400000_NS6detail17trampoline_kernelINS0_13select_configILj256ELj13ELNS0_17block_load_methodE3ELS4_3ELS4_3ELNS0_20block_scan_algorithmE0ELj4294967295EEENS1_25partition_config_selectorILNS1_17partition_subalgoE3EjNS0_10empty_typeEbEEZZNS1_14partition_implILS8_3ELb0ES6_jNS0_17counting_iteratorIjlEEPS9_SE_NS0_5tupleIJPjSE_EEENSF_IJSE_SE_EEES9_SG_JZNS1_25segmented_radix_sort_implINS0_14default_configELb1EPKiPiPKlPlN2at6native12_GLOBAL__N_18offset_tEEE10hipError_tPvRmT1_PNSt15iterator_traitsISY_E10value_typeET2_T3_PNSZ_IS14_E10value_typeET4_jRbjT5_S1A_jjP12ihipStream_tbEUljE_EEESV_SW_SX_S14_S18_S1A_T6_T7_T9_mT8_S1C_bDpT10_ENKUlT_T0_E_clISt17integral_constantIbLb1EES1P_EEDaS1K_S1L_EUlS1K_E_NS1_11comp_targetILNS1_3genE10ELNS1_11target_archE1200ELNS1_3gpuE4ELNS1_3repE0EEENS1_30default_config_static_selectorELNS0_4arch9wavefront6targetE0EEEvSY_.uses_vcc, 0
	.set _ZN7rocprim17ROCPRIM_400000_NS6detail17trampoline_kernelINS0_13select_configILj256ELj13ELNS0_17block_load_methodE3ELS4_3ELS4_3ELNS0_20block_scan_algorithmE0ELj4294967295EEENS1_25partition_config_selectorILNS1_17partition_subalgoE3EjNS0_10empty_typeEbEEZZNS1_14partition_implILS8_3ELb0ES6_jNS0_17counting_iteratorIjlEEPS9_SE_NS0_5tupleIJPjSE_EEENSF_IJSE_SE_EEES9_SG_JZNS1_25segmented_radix_sort_implINS0_14default_configELb1EPKiPiPKlPlN2at6native12_GLOBAL__N_18offset_tEEE10hipError_tPvRmT1_PNSt15iterator_traitsISY_E10value_typeET2_T3_PNSZ_IS14_E10value_typeET4_jRbjT5_S1A_jjP12ihipStream_tbEUljE_EEESV_SW_SX_S14_S18_S1A_T6_T7_T9_mT8_S1C_bDpT10_ENKUlT_T0_E_clISt17integral_constantIbLb1EES1P_EEDaS1K_S1L_EUlS1K_E_NS1_11comp_targetILNS1_3genE10ELNS1_11target_archE1200ELNS1_3gpuE4ELNS1_3repE0EEENS1_30default_config_static_selectorELNS0_4arch9wavefront6targetE0EEEvSY_.uses_flat_scratch, 0
	.set _ZN7rocprim17ROCPRIM_400000_NS6detail17trampoline_kernelINS0_13select_configILj256ELj13ELNS0_17block_load_methodE3ELS4_3ELS4_3ELNS0_20block_scan_algorithmE0ELj4294967295EEENS1_25partition_config_selectorILNS1_17partition_subalgoE3EjNS0_10empty_typeEbEEZZNS1_14partition_implILS8_3ELb0ES6_jNS0_17counting_iteratorIjlEEPS9_SE_NS0_5tupleIJPjSE_EEENSF_IJSE_SE_EEES9_SG_JZNS1_25segmented_radix_sort_implINS0_14default_configELb1EPKiPiPKlPlN2at6native12_GLOBAL__N_18offset_tEEE10hipError_tPvRmT1_PNSt15iterator_traitsISY_E10value_typeET2_T3_PNSZ_IS14_E10value_typeET4_jRbjT5_S1A_jjP12ihipStream_tbEUljE_EEESV_SW_SX_S14_S18_S1A_T6_T7_T9_mT8_S1C_bDpT10_ENKUlT_T0_E_clISt17integral_constantIbLb1EES1P_EEDaS1K_S1L_EUlS1K_E_NS1_11comp_targetILNS1_3genE10ELNS1_11target_archE1200ELNS1_3gpuE4ELNS1_3repE0EEENS1_30default_config_static_selectorELNS0_4arch9wavefront6targetE0EEEvSY_.has_dyn_sized_stack, 0
	.set _ZN7rocprim17ROCPRIM_400000_NS6detail17trampoline_kernelINS0_13select_configILj256ELj13ELNS0_17block_load_methodE3ELS4_3ELS4_3ELNS0_20block_scan_algorithmE0ELj4294967295EEENS1_25partition_config_selectorILNS1_17partition_subalgoE3EjNS0_10empty_typeEbEEZZNS1_14partition_implILS8_3ELb0ES6_jNS0_17counting_iteratorIjlEEPS9_SE_NS0_5tupleIJPjSE_EEENSF_IJSE_SE_EEES9_SG_JZNS1_25segmented_radix_sort_implINS0_14default_configELb1EPKiPiPKlPlN2at6native12_GLOBAL__N_18offset_tEEE10hipError_tPvRmT1_PNSt15iterator_traitsISY_E10value_typeET2_T3_PNSZ_IS14_E10value_typeET4_jRbjT5_S1A_jjP12ihipStream_tbEUljE_EEESV_SW_SX_S14_S18_S1A_T6_T7_T9_mT8_S1C_bDpT10_ENKUlT_T0_E_clISt17integral_constantIbLb1EES1P_EEDaS1K_S1L_EUlS1K_E_NS1_11comp_targetILNS1_3genE10ELNS1_11target_archE1200ELNS1_3gpuE4ELNS1_3repE0EEENS1_30default_config_static_selectorELNS0_4arch9wavefront6targetE0EEEvSY_.has_recursion, 0
	.set _ZN7rocprim17ROCPRIM_400000_NS6detail17trampoline_kernelINS0_13select_configILj256ELj13ELNS0_17block_load_methodE3ELS4_3ELS4_3ELNS0_20block_scan_algorithmE0ELj4294967295EEENS1_25partition_config_selectorILNS1_17partition_subalgoE3EjNS0_10empty_typeEbEEZZNS1_14partition_implILS8_3ELb0ES6_jNS0_17counting_iteratorIjlEEPS9_SE_NS0_5tupleIJPjSE_EEENSF_IJSE_SE_EEES9_SG_JZNS1_25segmented_radix_sort_implINS0_14default_configELb1EPKiPiPKlPlN2at6native12_GLOBAL__N_18offset_tEEE10hipError_tPvRmT1_PNSt15iterator_traitsISY_E10value_typeET2_T3_PNSZ_IS14_E10value_typeET4_jRbjT5_S1A_jjP12ihipStream_tbEUljE_EEESV_SW_SX_S14_S18_S1A_T6_T7_T9_mT8_S1C_bDpT10_ENKUlT_T0_E_clISt17integral_constantIbLb1EES1P_EEDaS1K_S1L_EUlS1K_E_NS1_11comp_targetILNS1_3genE10ELNS1_11target_archE1200ELNS1_3gpuE4ELNS1_3repE0EEENS1_30default_config_static_selectorELNS0_4arch9wavefront6targetE0EEEvSY_.has_indirect_call, 0
	.section	.AMDGPU.csdata,"",@progbits
; Kernel info:
; codeLenInByte = 0
; TotalNumSgprs: 0
; NumVgprs: 0
; ScratchSize: 0
; MemoryBound: 0
; FloatMode: 240
; IeeeMode: 1
; LDSByteSize: 0 bytes/workgroup (compile time only)
; SGPRBlocks: 0
; VGPRBlocks: 0
; NumSGPRsForWavesPerEU: 1
; NumVGPRsForWavesPerEU: 1
; Occupancy: 16
; WaveLimiterHint : 0
; COMPUTE_PGM_RSRC2:SCRATCH_EN: 0
; COMPUTE_PGM_RSRC2:USER_SGPR: 6
; COMPUTE_PGM_RSRC2:TRAP_HANDLER: 0
; COMPUTE_PGM_RSRC2:TGID_X_EN: 1
; COMPUTE_PGM_RSRC2:TGID_Y_EN: 0
; COMPUTE_PGM_RSRC2:TGID_Z_EN: 0
; COMPUTE_PGM_RSRC2:TIDIG_COMP_CNT: 0
	.section	.text._ZN7rocprim17ROCPRIM_400000_NS6detail17trampoline_kernelINS0_13select_configILj256ELj13ELNS0_17block_load_methodE3ELS4_3ELS4_3ELNS0_20block_scan_algorithmE0ELj4294967295EEENS1_25partition_config_selectorILNS1_17partition_subalgoE3EjNS0_10empty_typeEbEEZZNS1_14partition_implILS8_3ELb0ES6_jNS0_17counting_iteratorIjlEEPS9_SE_NS0_5tupleIJPjSE_EEENSF_IJSE_SE_EEES9_SG_JZNS1_25segmented_radix_sort_implINS0_14default_configELb1EPKiPiPKlPlN2at6native12_GLOBAL__N_18offset_tEEE10hipError_tPvRmT1_PNSt15iterator_traitsISY_E10value_typeET2_T3_PNSZ_IS14_E10value_typeET4_jRbjT5_S1A_jjP12ihipStream_tbEUljE_EEESV_SW_SX_S14_S18_S1A_T6_T7_T9_mT8_S1C_bDpT10_ENKUlT_T0_E_clISt17integral_constantIbLb1EES1P_EEDaS1K_S1L_EUlS1K_E_NS1_11comp_targetILNS1_3genE9ELNS1_11target_archE1100ELNS1_3gpuE3ELNS1_3repE0EEENS1_30default_config_static_selectorELNS0_4arch9wavefront6targetE0EEEvSY_,"axG",@progbits,_ZN7rocprim17ROCPRIM_400000_NS6detail17trampoline_kernelINS0_13select_configILj256ELj13ELNS0_17block_load_methodE3ELS4_3ELS4_3ELNS0_20block_scan_algorithmE0ELj4294967295EEENS1_25partition_config_selectorILNS1_17partition_subalgoE3EjNS0_10empty_typeEbEEZZNS1_14partition_implILS8_3ELb0ES6_jNS0_17counting_iteratorIjlEEPS9_SE_NS0_5tupleIJPjSE_EEENSF_IJSE_SE_EEES9_SG_JZNS1_25segmented_radix_sort_implINS0_14default_configELb1EPKiPiPKlPlN2at6native12_GLOBAL__N_18offset_tEEE10hipError_tPvRmT1_PNSt15iterator_traitsISY_E10value_typeET2_T3_PNSZ_IS14_E10value_typeET4_jRbjT5_S1A_jjP12ihipStream_tbEUljE_EEESV_SW_SX_S14_S18_S1A_T6_T7_T9_mT8_S1C_bDpT10_ENKUlT_T0_E_clISt17integral_constantIbLb1EES1P_EEDaS1K_S1L_EUlS1K_E_NS1_11comp_targetILNS1_3genE9ELNS1_11target_archE1100ELNS1_3gpuE3ELNS1_3repE0EEENS1_30default_config_static_selectorELNS0_4arch9wavefront6targetE0EEEvSY_,comdat
	.globl	_ZN7rocprim17ROCPRIM_400000_NS6detail17trampoline_kernelINS0_13select_configILj256ELj13ELNS0_17block_load_methodE3ELS4_3ELS4_3ELNS0_20block_scan_algorithmE0ELj4294967295EEENS1_25partition_config_selectorILNS1_17partition_subalgoE3EjNS0_10empty_typeEbEEZZNS1_14partition_implILS8_3ELb0ES6_jNS0_17counting_iteratorIjlEEPS9_SE_NS0_5tupleIJPjSE_EEENSF_IJSE_SE_EEES9_SG_JZNS1_25segmented_radix_sort_implINS0_14default_configELb1EPKiPiPKlPlN2at6native12_GLOBAL__N_18offset_tEEE10hipError_tPvRmT1_PNSt15iterator_traitsISY_E10value_typeET2_T3_PNSZ_IS14_E10value_typeET4_jRbjT5_S1A_jjP12ihipStream_tbEUljE_EEESV_SW_SX_S14_S18_S1A_T6_T7_T9_mT8_S1C_bDpT10_ENKUlT_T0_E_clISt17integral_constantIbLb1EES1P_EEDaS1K_S1L_EUlS1K_E_NS1_11comp_targetILNS1_3genE9ELNS1_11target_archE1100ELNS1_3gpuE3ELNS1_3repE0EEENS1_30default_config_static_selectorELNS0_4arch9wavefront6targetE0EEEvSY_ ; -- Begin function _ZN7rocprim17ROCPRIM_400000_NS6detail17trampoline_kernelINS0_13select_configILj256ELj13ELNS0_17block_load_methodE3ELS4_3ELS4_3ELNS0_20block_scan_algorithmE0ELj4294967295EEENS1_25partition_config_selectorILNS1_17partition_subalgoE3EjNS0_10empty_typeEbEEZZNS1_14partition_implILS8_3ELb0ES6_jNS0_17counting_iteratorIjlEEPS9_SE_NS0_5tupleIJPjSE_EEENSF_IJSE_SE_EEES9_SG_JZNS1_25segmented_radix_sort_implINS0_14default_configELb1EPKiPiPKlPlN2at6native12_GLOBAL__N_18offset_tEEE10hipError_tPvRmT1_PNSt15iterator_traitsISY_E10value_typeET2_T3_PNSZ_IS14_E10value_typeET4_jRbjT5_S1A_jjP12ihipStream_tbEUljE_EEESV_SW_SX_S14_S18_S1A_T6_T7_T9_mT8_S1C_bDpT10_ENKUlT_T0_E_clISt17integral_constantIbLb1EES1P_EEDaS1K_S1L_EUlS1K_E_NS1_11comp_targetILNS1_3genE9ELNS1_11target_archE1100ELNS1_3gpuE3ELNS1_3repE0EEENS1_30default_config_static_selectorELNS0_4arch9wavefront6targetE0EEEvSY_
	.p2align	8
	.type	_ZN7rocprim17ROCPRIM_400000_NS6detail17trampoline_kernelINS0_13select_configILj256ELj13ELNS0_17block_load_methodE3ELS4_3ELS4_3ELNS0_20block_scan_algorithmE0ELj4294967295EEENS1_25partition_config_selectorILNS1_17partition_subalgoE3EjNS0_10empty_typeEbEEZZNS1_14partition_implILS8_3ELb0ES6_jNS0_17counting_iteratorIjlEEPS9_SE_NS0_5tupleIJPjSE_EEENSF_IJSE_SE_EEES9_SG_JZNS1_25segmented_radix_sort_implINS0_14default_configELb1EPKiPiPKlPlN2at6native12_GLOBAL__N_18offset_tEEE10hipError_tPvRmT1_PNSt15iterator_traitsISY_E10value_typeET2_T3_PNSZ_IS14_E10value_typeET4_jRbjT5_S1A_jjP12ihipStream_tbEUljE_EEESV_SW_SX_S14_S18_S1A_T6_T7_T9_mT8_S1C_bDpT10_ENKUlT_T0_E_clISt17integral_constantIbLb1EES1P_EEDaS1K_S1L_EUlS1K_E_NS1_11comp_targetILNS1_3genE9ELNS1_11target_archE1100ELNS1_3gpuE3ELNS1_3repE0EEENS1_30default_config_static_selectorELNS0_4arch9wavefront6targetE0EEEvSY_,@function
_ZN7rocprim17ROCPRIM_400000_NS6detail17trampoline_kernelINS0_13select_configILj256ELj13ELNS0_17block_load_methodE3ELS4_3ELS4_3ELNS0_20block_scan_algorithmE0ELj4294967295EEENS1_25partition_config_selectorILNS1_17partition_subalgoE3EjNS0_10empty_typeEbEEZZNS1_14partition_implILS8_3ELb0ES6_jNS0_17counting_iteratorIjlEEPS9_SE_NS0_5tupleIJPjSE_EEENSF_IJSE_SE_EEES9_SG_JZNS1_25segmented_radix_sort_implINS0_14default_configELb1EPKiPiPKlPlN2at6native12_GLOBAL__N_18offset_tEEE10hipError_tPvRmT1_PNSt15iterator_traitsISY_E10value_typeET2_T3_PNSZ_IS14_E10value_typeET4_jRbjT5_S1A_jjP12ihipStream_tbEUljE_EEESV_SW_SX_S14_S18_S1A_T6_T7_T9_mT8_S1C_bDpT10_ENKUlT_T0_E_clISt17integral_constantIbLb1EES1P_EEDaS1K_S1L_EUlS1K_E_NS1_11comp_targetILNS1_3genE9ELNS1_11target_archE1100ELNS1_3gpuE3ELNS1_3repE0EEENS1_30default_config_static_selectorELNS0_4arch9wavefront6targetE0EEEvSY_: ; @_ZN7rocprim17ROCPRIM_400000_NS6detail17trampoline_kernelINS0_13select_configILj256ELj13ELNS0_17block_load_methodE3ELS4_3ELS4_3ELNS0_20block_scan_algorithmE0ELj4294967295EEENS1_25partition_config_selectorILNS1_17partition_subalgoE3EjNS0_10empty_typeEbEEZZNS1_14partition_implILS8_3ELb0ES6_jNS0_17counting_iteratorIjlEEPS9_SE_NS0_5tupleIJPjSE_EEENSF_IJSE_SE_EEES9_SG_JZNS1_25segmented_radix_sort_implINS0_14default_configELb1EPKiPiPKlPlN2at6native12_GLOBAL__N_18offset_tEEE10hipError_tPvRmT1_PNSt15iterator_traitsISY_E10value_typeET2_T3_PNSZ_IS14_E10value_typeET4_jRbjT5_S1A_jjP12ihipStream_tbEUljE_EEESV_SW_SX_S14_S18_S1A_T6_T7_T9_mT8_S1C_bDpT10_ENKUlT_T0_E_clISt17integral_constantIbLb1EES1P_EEDaS1K_S1L_EUlS1K_E_NS1_11comp_targetILNS1_3genE9ELNS1_11target_archE1100ELNS1_3gpuE3ELNS1_3repE0EEENS1_30default_config_static_selectorELNS0_4arch9wavefront6targetE0EEEvSY_
; %bb.0:
	.section	.rodata,"a",@progbits
	.p2align	6, 0x0
	.amdhsa_kernel _ZN7rocprim17ROCPRIM_400000_NS6detail17trampoline_kernelINS0_13select_configILj256ELj13ELNS0_17block_load_methodE3ELS4_3ELS4_3ELNS0_20block_scan_algorithmE0ELj4294967295EEENS1_25partition_config_selectorILNS1_17partition_subalgoE3EjNS0_10empty_typeEbEEZZNS1_14partition_implILS8_3ELb0ES6_jNS0_17counting_iteratorIjlEEPS9_SE_NS0_5tupleIJPjSE_EEENSF_IJSE_SE_EEES9_SG_JZNS1_25segmented_radix_sort_implINS0_14default_configELb1EPKiPiPKlPlN2at6native12_GLOBAL__N_18offset_tEEE10hipError_tPvRmT1_PNSt15iterator_traitsISY_E10value_typeET2_T3_PNSZ_IS14_E10value_typeET4_jRbjT5_S1A_jjP12ihipStream_tbEUljE_EEESV_SW_SX_S14_S18_S1A_T6_T7_T9_mT8_S1C_bDpT10_ENKUlT_T0_E_clISt17integral_constantIbLb1EES1P_EEDaS1K_S1L_EUlS1K_E_NS1_11comp_targetILNS1_3genE9ELNS1_11target_archE1100ELNS1_3gpuE3ELNS1_3repE0EEENS1_30default_config_static_selectorELNS0_4arch9wavefront6targetE0EEEvSY_
		.amdhsa_group_segment_fixed_size 0
		.amdhsa_private_segment_fixed_size 0
		.amdhsa_kernarg_size 152
		.amdhsa_user_sgpr_count 6
		.amdhsa_user_sgpr_private_segment_buffer 1
		.amdhsa_user_sgpr_dispatch_ptr 0
		.amdhsa_user_sgpr_queue_ptr 0
		.amdhsa_user_sgpr_kernarg_segment_ptr 1
		.amdhsa_user_sgpr_dispatch_id 0
		.amdhsa_user_sgpr_flat_scratch_init 0
		.amdhsa_user_sgpr_private_segment_size 0
		.amdhsa_wavefront_size32 1
		.amdhsa_uses_dynamic_stack 0
		.amdhsa_system_sgpr_private_segment_wavefront_offset 0
		.amdhsa_system_sgpr_workgroup_id_x 1
		.amdhsa_system_sgpr_workgroup_id_y 0
		.amdhsa_system_sgpr_workgroup_id_z 0
		.amdhsa_system_sgpr_workgroup_info 0
		.amdhsa_system_vgpr_workitem_id 0
		.amdhsa_next_free_vgpr 1
		.amdhsa_next_free_sgpr 1
		.amdhsa_reserve_vcc 0
		.amdhsa_reserve_flat_scratch 0
		.amdhsa_float_round_mode_32 0
		.amdhsa_float_round_mode_16_64 0
		.amdhsa_float_denorm_mode_32 3
		.amdhsa_float_denorm_mode_16_64 3
		.amdhsa_dx10_clamp 1
		.amdhsa_ieee_mode 1
		.amdhsa_fp16_overflow 0
		.amdhsa_workgroup_processor_mode 1
		.amdhsa_memory_ordered 1
		.amdhsa_forward_progress 1
		.amdhsa_shared_vgpr_count 0
		.amdhsa_exception_fp_ieee_invalid_op 0
		.amdhsa_exception_fp_denorm_src 0
		.amdhsa_exception_fp_ieee_div_zero 0
		.amdhsa_exception_fp_ieee_overflow 0
		.amdhsa_exception_fp_ieee_underflow 0
		.amdhsa_exception_fp_ieee_inexact 0
		.amdhsa_exception_int_div_zero 0
	.end_amdhsa_kernel
	.section	.text._ZN7rocprim17ROCPRIM_400000_NS6detail17trampoline_kernelINS0_13select_configILj256ELj13ELNS0_17block_load_methodE3ELS4_3ELS4_3ELNS0_20block_scan_algorithmE0ELj4294967295EEENS1_25partition_config_selectorILNS1_17partition_subalgoE3EjNS0_10empty_typeEbEEZZNS1_14partition_implILS8_3ELb0ES6_jNS0_17counting_iteratorIjlEEPS9_SE_NS0_5tupleIJPjSE_EEENSF_IJSE_SE_EEES9_SG_JZNS1_25segmented_radix_sort_implINS0_14default_configELb1EPKiPiPKlPlN2at6native12_GLOBAL__N_18offset_tEEE10hipError_tPvRmT1_PNSt15iterator_traitsISY_E10value_typeET2_T3_PNSZ_IS14_E10value_typeET4_jRbjT5_S1A_jjP12ihipStream_tbEUljE_EEESV_SW_SX_S14_S18_S1A_T6_T7_T9_mT8_S1C_bDpT10_ENKUlT_T0_E_clISt17integral_constantIbLb1EES1P_EEDaS1K_S1L_EUlS1K_E_NS1_11comp_targetILNS1_3genE9ELNS1_11target_archE1100ELNS1_3gpuE3ELNS1_3repE0EEENS1_30default_config_static_selectorELNS0_4arch9wavefront6targetE0EEEvSY_,"axG",@progbits,_ZN7rocprim17ROCPRIM_400000_NS6detail17trampoline_kernelINS0_13select_configILj256ELj13ELNS0_17block_load_methodE3ELS4_3ELS4_3ELNS0_20block_scan_algorithmE0ELj4294967295EEENS1_25partition_config_selectorILNS1_17partition_subalgoE3EjNS0_10empty_typeEbEEZZNS1_14partition_implILS8_3ELb0ES6_jNS0_17counting_iteratorIjlEEPS9_SE_NS0_5tupleIJPjSE_EEENSF_IJSE_SE_EEES9_SG_JZNS1_25segmented_radix_sort_implINS0_14default_configELb1EPKiPiPKlPlN2at6native12_GLOBAL__N_18offset_tEEE10hipError_tPvRmT1_PNSt15iterator_traitsISY_E10value_typeET2_T3_PNSZ_IS14_E10value_typeET4_jRbjT5_S1A_jjP12ihipStream_tbEUljE_EEESV_SW_SX_S14_S18_S1A_T6_T7_T9_mT8_S1C_bDpT10_ENKUlT_T0_E_clISt17integral_constantIbLb1EES1P_EEDaS1K_S1L_EUlS1K_E_NS1_11comp_targetILNS1_3genE9ELNS1_11target_archE1100ELNS1_3gpuE3ELNS1_3repE0EEENS1_30default_config_static_selectorELNS0_4arch9wavefront6targetE0EEEvSY_,comdat
.Lfunc_end475:
	.size	_ZN7rocprim17ROCPRIM_400000_NS6detail17trampoline_kernelINS0_13select_configILj256ELj13ELNS0_17block_load_methodE3ELS4_3ELS4_3ELNS0_20block_scan_algorithmE0ELj4294967295EEENS1_25partition_config_selectorILNS1_17partition_subalgoE3EjNS0_10empty_typeEbEEZZNS1_14partition_implILS8_3ELb0ES6_jNS0_17counting_iteratorIjlEEPS9_SE_NS0_5tupleIJPjSE_EEENSF_IJSE_SE_EEES9_SG_JZNS1_25segmented_radix_sort_implINS0_14default_configELb1EPKiPiPKlPlN2at6native12_GLOBAL__N_18offset_tEEE10hipError_tPvRmT1_PNSt15iterator_traitsISY_E10value_typeET2_T3_PNSZ_IS14_E10value_typeET4_jRbjT5_S1A_jjP12ihipStream_tbEUljE_EEESV_SW_SX_S14_S18_S1A_T6_T7_T9_mT8_S1C_bDpT10_ENKUlT_T0_E_clISt17integral_constantIbLb1EES1P_EEDaS1K_S1L_EUlS1K_E_NS1_11comp_targetILNS1_3genE9ELNS1_11target_archE1100ELNS1_3gpuE3ELNS1_3repE0EEENS1_30default_config_static_selectorELNS0_4arch9wavefront6targetE0EEEvSY_, .Lfunc_end475-_ZN7rocprim17ROCPRIM_400000_NS6detail17trampoline_kernelINS0_13select_configILj256ELj13ELNS0_17block_load_methodE3ELS4_3ELS4_3ELNS0_20block_scan_algorithmE0ELj4294967295EEENS1_25partition_config_selectorILNS1_17partition_subalgoE3EjNS0_10empty_typeEbEEZZNS1_14partition_implILS8_3ELb0ES6_jNS0_17counting_iteratorIjlEEPS9_SE_NS0_5tupleIJPjSE_EEENSF_IJSE_SE_EEES9_SG_JZNS1_25segmented_radix_sort_implINS0_14default_configELb1EPKiPiPKlPlN2at6native12_GLOBAL__N_18offset_tEEE10hipError_tPvRmT1_PNSt15iterator_traitsISY_E10value_typeET2_T3_PNSZ_IS14_E10value_typeET4_jRbjT5_S1A_jjP12ihipStream_tbEUljE_EEESV_SW_SX_S14_S18_S1A_T6_T7_T9_mT8_S1C_bDpT10_ENKUlT_T0_E_clISt17integral_constantIbLb1EES1P_EEDaS1K_S1L_EUlS1K_E_NS1_11comp_targetILNS1_3genE9ELNS1_11target_archE1100ELNS1_3gpuE3ELNS1_3repE0EEENS1_30default_config_static_selectorELNS0_4arch9wavefront6targetE0EEEvSY_
                                        ; -- End function
	.set _ZN7rocprim17ROCPRIM_400000_NS6detail17trampoline_kernelINS0_13select_configILj256ELj13ELNS0_17block_load_methodE3ELS4_3ELS4_3ELNS0_20block_scan_algorithmE0ELj4294967295EEENS1_25partition_config_selectorILNS1_17partition_subalgoE3EjNS0_10empty_typeEbEEZZNS1_14partition_implILS8_3ELb0ES6_jNS0_17counting_iteratorIjlEEPS9_SE_NS0_5tupleIJPjSE_EEENSF_IJSE_SE_EEES9_SG_JZNS1_25segmented_radix_sort_implINS0_14default_configELb1EPKiPiPKlPlN2at6native12_GLOBAL__N_18offset_tEEE10hipError_tPvRmT1_PNSt15iterator_traitsISY_E10value_typeET2_T3_PNSZ_IS14_E10value_typeET4_jRbjT5_S1A_jjP12ihipStream_tbEUljE_EEESV_SW_SX_S14_S18_S1A_T6_T7_T9_mT8_S1C_bDpT10_ENKUlT_T0_E_clISt17integral_constantIbLb1EES1P_EEDaS1K_S1L_EUlS1K_E_NS1_11comp_targetILNS1_3genE9ELNS1_11target_archE1100ELNS1_3gpuE3ELNS1_3repE0EEENS1_30default_config_static_selectorELNS0_4arch9wavefront6targetE0EEEvSY_.num_vgpr, 0
	.set _ZN7rocprim17ROCPRIM_400000_NS6detail17trampoline_kernelINS0_13select_configILj256ELj13ELNS0_17block_load_methodE3ELS4_3ELS4_3ELNS0_20block_scan_algorithmE0ELj4294967295EEENS1_25partition_config_selectorILNS1_17partition_subalgoE3EjNS0_10empty_typeEbEEZZNS1_14partition_implILS8_3ELb0ES6_jNS0_17counting_iteratorIjlEEPS9_SE_NS0_5tupleIJPjSE_EEENSF_IJSE_SE_EEES9_SG_JZNS1_25segmented_radix_sort_implINS0_14default_configELb1EPKiPiPKlPlN2at6native12_GLOBAL__N_18offset_tEEE10hipError_tPvRmT1_PNSt15iterator_traitsISY_E10value_typeET2_T3_PNSZ_IS14_E10value_typeET4_jRbjT5_S1A_jjP12ihipStream_tbEUljE_EEESV_SW_SX_S14_S18_S1A_T6_T7_T9_mT8_S1C_bDpT10_ENKUlT_T0_E_clISt17integral_constantIbLb1EES1P_EEDaS1K_S1L_EUlS1K_E_NS1_11comp_targetILNS1_3genE9ELNS1_11target_archE1100ELNS1_3gpuE3ELNS1_3repE0EEENS1_30default_config_static_selectorELNS0_4arch9wavefront6targetE0EEEvSY_.num_agpr, 0
	.set _ZN7rocprim17ROCPRIM_400000_NS6detail17trampoline_kernelINS0_13select_configILj256ELj13ELNS0_17block_load_methodE3ELS4_3ELS4_3ELNS0_20block_scan_algorithmE0ELj4294967295EEENS1_25partition_config_selectorILNS1_17partition_subalgoE3EjNS0_10empty_typeEbEEZZNS1_14partition_implILS8_3ELb0ES6_jNS0_17counting_iteratorIjlEEPS9_SE_NS0_5tupleIJPjSE_EEENSF_IJSE_SE_EEES9_SG_JZNS1_25segmented_radix_sort_implINS0_14default_configELb1EPKiPiPKlPlN2at6native12_GLOBAL__N_18offset_tEEE10hipError_tPvRmT1_PNSt15iterator_traitsISY_E10value_typeET2_T3_PNSZ_IS14_E10value_typeET4_jRbjT5_S1A_jjP12ihipStream_tbEUljE_EEESV_SW_SX_S14_S18_S1A_T6_T7_T9_mT8_S1C_bDpT10_ENKUlT_T0_E_clISt17integral_constantIbLb1EES1P_EEDaS1K_S1L_EUlS1K_E_NS1_11comp_targetILNS1_3genE9ELNS1_11target_archE1100ELNS1_3gpuE3ELNS1_3repE0EEENS1_30default_config_static_selectorELNS0_4arch9wavefront6targetE0EEEvSY_.numbered_sgpr, 0
	.set _ZN7rocprim17ROCPRIM_400000_NS6detail17trampoline_kernelINS0_13select_configILj256ELj13ELNS0_17block_load_methodE3ELS4_3ELS4_3ELNS0_20block_scan_algorithmE0ELj4294967295EEENS1_25partition_config_selectorILNS1_17partition_subalgoE3EjNS0_10empty_typeEbEEZZNS1_14partition_implILS8_3ELb0ES6_jNS0_17counting_iteratorIjlEEPS9_SE_NS0_5tupleIJPjSE_EEENSF_IJSE_SE_EEES9_SG_JZNS1_25segmented_radix_sort_implINS0_14default_configELb1EPKiPiPKlPlN2at6native12_GLOBAL__N_18offset_tEEE10hipError_tPvRmT1_PNSt15iterator_traitsISY_E10value_typeET2_T3_PNSZ_IS14_E10value_typeET4_jRbjT5_S1A_jjP12ihipStream_tbEUljE_EEESV_SW_SX_S14_S18_S1A_T6_T7_T9_mT8_S1C_bDpT10_ENKUlT_T0_E_clISt17integral_constantIbLb1EES1P_EEDaS1K_S1L_EUlS1K_E_NS1_11comp_targetILNS1_3genE9ELNS1_11target_archE1100ELNS1_3gpuE3ELNS1_3repE0EEENS1_30default_config_static_selectorELNS0_4arch9wavefront6targetE0EEEvSY_.num_named_barrier, 0
	.set _ZN7rocprim17ROCPRIM_400000_NS6detail17trampoline_kernelINS0_13select_configILj256ELj13ELNS0_17block_load_methodE3ELS4_3ELS4_3ELNS0_20block_scan_algorithmE0ELj4294967295EEENS1_25partition_config_selectorILNS1_17partition_subalgoE3EjNS0_10empty_typeEbEEZZNS1_14partition_implILS8_3ELb0ES6_jNS0_17counting_iteratorIjlEEPS9_SE_NS0_5tupleIJPjSE_EEENSF_IJSE_SE_EEES9_SG_JZNS1_25segmented_radix_sort_implINS0_14default_configELb1EPKiPiPKlPlN2at6native12_GLOBAL__N_18offset_tEEE10hipError_tPvRmT1_PNSt15iterator_traitsISY_E10value_typeET2_T3_PNSZ_IS14_E10value_typeET4_jRbjT5_S1A_jjP12ihipStream_tbEUljE_EEESV_SW_SX_S14_S18_S1A_T6_T7_T9_mT8_S1C_bDpT10_ENKUlT_T0_E_clISt17integral_constantIbLb1EES1P_EEDaS1K_S1L_EUlS1K_E_NS1_11comp_targetILNS1_3genE9ELNS1_11target_archE1100ELNS1_3gpuE3ELNS1_3repE0EEENS1_30default_config_static_selectorELNS0_4arch9wavefront6targetE0EEEvSY_.private_seg_size, 0
	.set _ZN7rocprim17ROCPRIM_400000_NS6detail17trampoline_kernelINS0_13select_configILj256ELj13ELNS0_17block_load_methodE3ELS4_3ELS4_3ELNS0_20block_scan_algorithmE0ELj4294967295EEENS1_25partition_config_selectorILNS1_17partition_subalgoE3EjNS0_10empty_typeEbEEZZNS1_14partition_implILS8_3ELb0ES6_jNS0_17counting_iteratorIjlEEPS9_SE_NS0_5tupleIJPjSE_EEENSF_IJSE_SE_EEES9_SG_JZNS1_25segmented_radix_sort_implINS0_14default_configELb1EPKiPiPKlPlN2at6native12_GLOBAL__N_18offset_tEEE10hipError_tPvRmT1_PNSt15iterator_traitsISY_E10value_typeET2_T3_PNSZ_IS14_E10value_typeET4_jRbjT5_S1A_jjP12ihipStream_tbEUljE_EEESV_SW_SX_S14_S18_S1A_T6_T7_T9_mT8_S1C_bDpT10_ENKUlT_T0_E_clISt17integral_constantIbLb1EES1P_EEDaS1K_S1L_EUlS1K_E_NS1_11comp_targetILNS1_3genE9ELNS1_11target_archE1100ELNS1_3gpuE3ELNS1_3repE0EEENS1_30default_config_static_selectorELNS0_4arch9wavefront6targetE0EEEvSY_.uses_vcc, 0
	.set _ZN7rocprim17ROCPRIM_400000_NS6detail17trampoline_kernelINS0_13select_configILj256ELj13ELNS0_17block_load_methodE3ELS4_3ELS4_3ELNS0_20block_scan_algorithmE0ELj4294967295EEENS1_25partition_config_selectorILNS1_17partition_subalgoE3EjNS0_10empty_typeEbEEZZNS1_14partition_implILS8_3ELb0ES6_jNS0_17counting_iteratorIjlEEPS9_SE_NS0_5tupleIJPjSE_EEENSF_IJSE_SE_EEES9_SG_JZNS1_25segmented_radix_sort_implINS0_14default_configELb1EPKiPiPKlPlN2at6native12_GLOBAL__N_18offset_tEEE10hipError_tPvRmT1_PNSt15iterator_traitsISY_E10value_typeET2_T3_PNSZ_IS14_E10value_typeET4_jRbjT5_S1A_jjP12ihipStream_tbEUljE_EEESV_SW_SX_S14_S18_S1A_T6_T7_T9_mT8_S1C_bDpT10_ENKUlT_T0_E_clISt17integral_constantIbLb1EES1P_EEDaS1K_S1L_EUlS1K_E_NS1_11comp_targetILNS1_3genE9ELNS1_11target_archE1100ELNS1_3gpuE3ELNS1_3repE0EEENS1_30default_config_static_selectorELNS0_4arch9wavefront6targetE0EEEvSY_.uses_flat_scratch, 0
	.set _ZN7rocprim17ROCPRIM_400000_NS6detail17trampoline_kernelINS0_13select_configILj256ELj13ELNS0_17block_load_methodE3ELS4_3ELS4_3ELNS0_20block_scan_algorithmE0ELj4294967295EEENS1_25partition_config_selectorILNS1_17partition_subalgoE3EjNS0_10empty_typeEbEEZZNS1_14partition_implILS8_3ELb0ES6_jNS0_17counting_iteratorIjlEEPS9_SE_NS0_5tupleIJPjSE_EEENSF_IJSE_SE_EEES9_SG_JZNS1_25segmented_radix_sort_implINS0_14default_configELb1EPKiPiPKlPlN2at6native12_GLOBAL__N_18offset_tEEE10hipError_tPvRmT1_PNSt15iterator_traitsISY_E10value_typeET2_T3_PNSZ_IS14_E10value_typeET4_jRbjT5_S1A_jjP12ihipStream_tbEUljE_EEESV_SW_SX_S14_S18_S1A_T6_T7_T9_mT8_S1C_bDpT10_ENKUlT_T0_E_clISt17integral_constantIbLb1EES1P_EEDaS1K_S1L_EUlS1K_E_NS1_11comp_targetILNS1_3genE9ELNS1_11target_archE1100ELNS1_3gpuE3ELNS1_3repE0EEENS1_30default_config_static_selectorELNS0_4arch9wavefront6targetE0EEEvSY_.has_dyn_sized_stack, 0
	.set _ZN7rocprim17ROCPRIM_400000_NS6detail17trampoline_kernelINS0_13select_configILj256ELj13ELNS0_17block_load_methodE3ELS4_3ELS4_3ELNS0_20block_scan_algorithmE0ELj4294967295EEENS1_25partition_config_selectorILNS1_17partition_subalgoE3EjNS0_10empty_typeEbEEZZNS1_14partition_implILS8_3ELb0ES6_jNS0_17counting_iteratorIjlEEPS9_SE_NS0_5tupleIJPjSE_EEENSF_IJSE_SE_EEES9_SG_JZNS1_25segmented_radix_sort_implINS0_14default_configELb1EPKiPiPKlPlN2at6native12_GLOBAL__N_18offset_tEEE10hipError_tPvRmT1_PNSt15iterator_traitsISY_E10value_typeET2_T3_PNSZ_IS14_E10value_typeET4_jRbjT5_S1A_jjP12ihipStream_tbEUljE_EEESV_SW_SX_S14_S18_S1A_T6_T7_T9_mT8_S1C_bDpT10_ENKUlT_T0_E_clISt17integral_constantIbLb1EES1P_EEDaS1K_S1L_EUlS1K_E_NS1_11comp_targetILNS1_3genE9ELNS1_11target_archE1100ELNS1_3gpuE3ELNS1_3repE0EEENS1_30default_config_static_selectorELNS0_4arch9wavefront6targetE0EEEvSY_.has_recursion, 0
	.set _ZN7rocprim17ROCPRIM_400000_NS6detail17trampoline_kernelINS0_13select_configILj256ELj13ELNS0_17block_load_methodE3ELS4_3ELS4_3ELNS0_20block_scan_algorithmE0ELj4294967295EEENS1_25partition_config_selectorILNS1_17partition_subalgoE3EjNS0_10empty_typeEbEEZZNS1_14partition_implILS8_3ELb0ES6_jNS0_17counting_iteratorIjlEEPS9_SE_NS0_5tupleIJPjSE_EEENSF_IJSE_SE_EEES9_SG_JZNS1_25segmented_radix_sort_implINS0_14default_configELb1EPKiPiPKlPlN2at6native12_GLOBAL__N_18offset_tEEE10hipError_tPvRmT1_PNSt15iterator_traitsISY_E10value_typeET2_T3_PNSZ_IS14_E10value_typeET4_jRbjT5_S1A_jjP12ihipStream_tbEUljE_EEESV_SW_SX_S14_S18_S1A_T6_T7_T9_mT8_S1C_bDpT10_ENKUlT_T0_E_clISt17integral_constantIbLb1EES1P_EEDaS1K_S1L_EUlS1K_E_NS1_11comp_targetILNS1_3genE9ELNS1_11target_archE1100ELNS1_3gpuE3ELNS1_3repE0EEENS1_30default_config_static_selectorELNS0_4arch9wavefront6targetE0EEEvSY_.has_indirect_call, 0
	.section	.AMDGPU.csdata,"",@progbits
; Kernel info:
; codeLenInByte = 0
; TotalNumSgprs: 0
; NumVgprs: 0
; ScratchSize: 0
; MemoryBound: 0
; FloatMode: 240
; IeeeMode: 1
; LDSByteSize: 0 bytes/workgroup (compile time only)
; SGPRBlocks: 0
; VGPRBlocks: 0
; NumSGPRsForWavesPerEU: 1
; NumVGPRsForWavesPerEU: 1
; Occupancy: 16
; WaveLimiterHint : 0
; COMPUTE_PGM_RSRC2:SCRATCH_EN: 0
; COMPUTE_PGM_RSRC2:USER_SGPR: 6
; COMPUTE_PGM_RSRC2:TRAP_HANDLER: 0
; COMPUTE_PGM_RSRC2:TGID_X_EN: 1
; COMPUTE_PGM_RSRC2:TGID_Y_EN: 0
; COMPUTE_PGM_RSRC2:TGID_Z_EN: 0
; COMPUTE_PGM_RSRC2:TIDIG_COMP_CNT: 0
	.section	.text._ZN7rocprim17ROCPRIM_400000_NS6detail17trampoline_kernelINS0_13select_configILj256ELj13ELNS0_17block_load_methodE3ELS4_3ELS4_3ELNS0_20block_scan_algorithmE0ELj4294967295EEENS1_25partition_config_selectorILNS1_17partition_subalgoE3EjNS0_10empty_typeEbEEZZNS1_14partition_implILS8_3ELb0ES6_jNS0_17counting_iteratorIjlEEPS9_SE_NS0_5tupleIJPjSE_EEENSF_IJSE_SE_EEES9_SG_JZNS1_25segmented_radix_sort_implINS0_14default_configELb1EPKiPiPKlPlN2at6native12_GLOBAL__N_18offset_tEEE10hipError_tPvRmT1_PNSt15iterator_traitsISY_E10value_typeET2_T3_PNSZ_IS14_E10value_typeET4_jRbjT5_S1A_jjP12ihipStream_tbEUljE_EEESV_SW_SX_S14_S18_S1A_T6_T7_T9_mT8_S1C_bDpT10_ENKUlT_T0_E_clISt17integral_constantIbLb1EES1P_EEDaS1K_S1L_EUlS1K_E_NS1_11comp_targetILNS1_3genE8ELNS1_11target_archE1030ELNS1_3gpuE2ELNS1_3repE0EEENS1_30default_config_static_selectorELNS0_4arch9wavefront6targetE0EEEvSY_,"axG",@progbits,_ZN7rocprim17ROCPRIM_400000_NS6detail17trampoline_kernelINS0_13select_configILj256ELj13ELNS0_17block_load_methodE3ELS4_3ELS4_3ELNS0_20block_scan_algorithmE0ELj4294967295EEENS1_25partition_config_selectorILNS1_17partition_subalgoE3EjNS0_10empty_typeEbEEZZNS1_14partition_implILS8_3ELb0ES6_jNS0_17counting_iteratorIjlEEPS9_SE_NS0_5tupleIJPjSE_EEENSF_IJSE_SE_EEES9_SG_JZNS1_25segmented_radix_sort_implINS0_14default_configELb1EPKiPiPKlPlN2at6native12_GLOBAL__N_18offset_tEEE10hipError_tPvRmT1_PNSt15iterator_traitsISY_E10value_typeET2_T3_PNSZ_IS14_E10value_typeET4_jRbjT5_S1A_jjP12ihipStream_tbEUljE_EEESV_SW_SX_S14_S18_S1A_T6_T7_T9_mT8_S1C_bDpT10_ENKUlT_T0_E_clISt17integral_constantIbLb1EES1P_EEDaS1K_S1L_EUlS1K_E_NS1_11comp_targetILNS1_3genE8ELNS1_11target_archE1030ELNS1_3gpuE2ELNS1_3repE0EEENS1_30default_config_static_selectorELNS0_4arch9wavefront6targetE0EEEvSY_,comdat
	.globl	_ZN7rocprim17ROCPRIM_400000_NS6detail17trampoline_kernelINS0_13select_configILj256ELj13ELNS0_17block_load_methodE3ELS4_3ELS4_3ELNS0_20block_scan_algorithmE0ELj4294967295EEENS1_25partition_config_selectorILNS1_17partition_subalgoE3EjNS0_10empty_typeEbEEZZNS1_14partition_implILS8_3ELb0ES6_jNS0_17counting_iteratorIjlEEPS9_SE_NS0_5tupleIJPjSE_EEENSF_IJSE_SE_EEES9_SG_JZNS1_25segmented_radix_sort_implINS0_14default_configELb1EPKiPiPKlPlN2at6native12_GLOBAL__N_18offset_tEEE10hipError_tPvRmT1_PNSt15iterator_traitsISY_E10value_typeET2_T3_PNSZ_IS14_E10value_typeET4_jRbjT5_S1A_jjP12ihipStream_tbEUljE_EEESV_SW_SX_S14_S18_S1A_T6_T7_T9_mT8_S1C_bDpT10_ENKUlT_T0_E_clISt17integral_constantIbLb1EES1P_EEDaS1K_S1L_EUlS1K_E_NS1_11comp_targetILNS1_3genE8ELNS1_11target_archE1030ELNS1_3gpuE2ELNS1_3repE0EEENS1_30default_config_static_selectorELNS0_4arch9wavefront6targetE0EEEvSY_ ; -- Begin function _ZN7rocprim17ROCPRIM_400000_NS6detail17trampoline_kernelINS0_13select_configILj256ELj13ELNS0_17block_load_methodE3ELS4_3ELS4_3ELNS0_20block_scan_algorithmE0ELj4294967295EEENS1_25partition_config_selectorILNS1_17partition_subalgoE3EjNS0_10empty_typeEbEEZZNS1_14partition_implILS8_3ELb0ES6_jNS0_17counting_iteratorIjlEEPS9_SE_NS0_5tupleIJPjSE_EEENSF_IJSE_SE_EEES9_SG_JZNS1_25segmented_radix_sort_implINS0_14default_configELb1EPKiPiPKlPlN2at6native12_GLOBAL__N_18offset_tEEE10hipError_tPvRmT1_PNSt15iterator_traitsISY_E10value_typeET2_T3_PNSZ_IS14_E10value_typeET4_jRbjT5_S1A_jjP12ihipStream_tbEUljE_EEESV_SW_SX_S14_S18_S1A_T6_T7_T9_mT8_S1C_bDpT10_ENKUlT_T0_E_clISt17integral_constantIbLb1EES1P_EEDaS1K_S1L_EUlS1K_E_NS1_11comp_targetILNS1_3genE8ELNS1_11target_archE1030ELNS1_3gpuE2ELNS1_3repE0EEENS1_30default_config_static_selectorELNS0_4arch9wavefront6targetE0EEEvSY_
	.p2align	8
	.type	_ZN7rocprim17ROCPRIM_400000_NS6detail17trampoline_kernelINS0_13select_configILj256ELj13ELNS0_17block_load_methodE3ELS4_3ELS4_3ELNS0_20block_scan_algorithmE0ELj4294967295EEENS1_25partition_config_selectorILNS1_17partition_subalgoE3EjNS0_10empty_typeEbEEZZNS1_14partition_implILS8_3ELb0ES6_jNS0_17counting_iteratorIjlEEPS9_SE_NS0_5tupleIJPjSE_EEENSF_IJSE_SE_EEES9_SG_JZNS1_25segmented_radix_sort_implINS0_14default_configELb1EPKiPiPKlPlN2at6native12_GLOBAL__N_18offset_tEEE10hipError_tPvRmT1_PNSt15iterator_traitsISY_E10value_typeET2_T3_PNSZ_IS14_E10value_typeET4_jRbjT5_S1A_jjP12ihipStream_tbEUljE_EEESV_SW_SX_S14_S18_S1A_T6_T7_T9_mT8_S1C_bDpT10_ENKUlT_T0_E_clISt17integral_constantIbLb1EES1P_EEDaS1K_S1L_EUlS1K_E_NS1_11comp_targetILNS1_3genE8ELNS1_11target_archE1030ELNS1_3gpuE2ELNS1_3repE0EEENS1_30default_config_static_selectorELNS0_4arch9wavefront6targetE0EEEvSY_,@function
_ZN7rocprim17ROCPRIM_400000_NS6detail17trampoline_kernelINS0_13select_configILj256ELj13ELNS0_17block_load_methodE3ELS4_3ELS4_3ELNS0_20block_scan_algorithmE0ELj4294967295EEENS1_25partition_config_selectorILNS1_17partition_subalgoE3EjNS0_10empty_typeEbEEZZNS1_14partition_implILS8_3ELb0ES6_jNS0_17counting_iteratorIjlEEPS9_SE_NS0_5tupleIJPjSE_EEENSF_IJSE_SE_EEES9_SG_JZNS1_25segmented_radix_sort_implINS0_14default_configELb1EPKiPiPKlPlN2at6native12_GLOBAL__N_18offset_tEEE10hipError_tPvRmT1_PNSt15iterator_traitsISY_E10value_typeET2_T3_PNSZ_IS14_E10value_typeET4_jRbjT5_S1A_jjP12ihipStream_tbEUljE_EEESV_SW_SX_S14_S18_S1A_T6_T7_T9_mT8_S1C_bDpT10_ENKUlT_T0_E_clISt17integral_constantIbLb1EES1P_EEDaS1K_S1L_EUlS1K_E_NS1_11comp_targetILNS1_3genE8ELNS1_11target_archE1030ELNS1_3gpuE2ELNS1_3repE0EEENS1_30default_config_static_selectorELNS0_4arch9wavefront6targetE0EEEvSY_: ; @_ZN7rocprim17ROCPRIM_400000_NS6detail17trampoline_kernelINS0_13select_configILj256ELj13ELNS0_17block_load_methodE3ELS4_3ELS4_3ELNS0_20block_scan_algorithmE0ELj4294967295EEENS1_25partition_config_selectorILNS1_17partition_subalgoE3EjNS0_10empty_typeEbEEZZNS1_14partition_implILS8_3ELb0ES6_jNS0_17counting_iteratorIjlEEPS9_SE_NS0_5tupleIJPjSE_EEENSF_IJSE_SE_EEES9_SG_JZNS1_25segmented_radix_sort_implINS0_14default_configELb1EPKiPiPKlPlN2at6native12_GLOBAL__N_18offset_tEEE10hipError_tPvRmT1_PNSt15iterator_traitsISY_E10value_typeET2_T3_PNSZ_IS14_E10value_typeET4_jRbjT5_S1A_jjP12ihipStream_tbEUljE_EEESV_SW_SX_S14_S18_S1A_T6_T7_T9_mT8_S1C_bDpT10_ENKUlT_T0_E_clISt17integral_constantIbLb1EES1P_EEDaS1K_S1L_EUlS1K_E_NS1_11comp_targetILNS1_3genE8ELNS1_11target_archE1030ELNS1_3gpuE2ELNS1_3repE0EEENS1_30default_config_static_selectorELNS0_4arch9wavefront6targetE0EEEvSY_
; %bb.0:
	s_endpgm
	.section	.rodata,"a",@progbits
	.p2align	6, 0x0
	.amdhsa_kernel _ZN7rocprim17ROCPRIM_400000_NS6detail17trampoline_kernelINS0_13select_configILj256ELj13ELNS0_17block_load_methodE3ELS4_3ELS4_3ELNS0_20block_scan_algorithmE0ELj4294967295EEENS1_25partition_config_selectorILNS1_17partition_subalgoE3EjNS0_10empty_typeEbEEZZNS1_14partition_implILS8_3ELb0ES6_jNS0_17counting_iteratorIjlEEPS9_SE_NS0_5tupleIJPjSE_EEENSF_IJSE_SE_EEES9_SG_JZNS1_25segmented_radix_sort_implINS0_14default_configELb1EPKiPiPKlPlN2at6native12_GLOBAL__N_18offset_tEEE10hipError_tPvRmT1_PNSt15iterator_traitsISY_E10value_typeET2_T3_PNSZ_IS14_E10value_typeET4_jRbjT5_S1A_jjP12ihipStream_tbEUljE_EEESV_SW_SX_S14_S18_S1A_T6_T7_T9_mT8_S1C_bDpT10_ENKUlT_T0_E_clISt17integral_constantIbLb1EES1P_EEDaS1K_S1L_EUlS1K_E_NS1_11comp_targetILNS1_3genE8ELNS1_11target_archE1030ELNS1_3gpuE2ELNS1_3repE0EEENS1_30default_config_static_selectorELNS0_4arch9wavefront6targetE0EEEvSY_
		.amdhsa_group_segment_fixed_size 0
		.amdhsa_private_segment_fixed_size 0
		.amdhsa_kernarg_size 152
		.amdhsa_user_sgpr_count 6
		.amdhsa_user_sgpr_private_segment_buffer 1
		.amdhsa_user_sgpr_dispatch_ptr 0
		.amdhsa_user_sgpr_queue_ptr 0
		.amdhsa_user_sgpr_kernarg_segment_ptr 1
		.amdhsa_user_sgpr_dispatch_id 0
		.amdhsa_user_sgpr_flat_scratch_init 0
		.amdhsa_user_sgpr_private_segment_size 0
		.amdhsa_wavefront_size32 1
		.amdhsa_uses_dynamic_stack 0
		.amdhsa_system_sgpr_private_segment_wavefront_offset 0
		.amdhsa_system_sgpr_workgroup_id_x 1
		.amdhsa_system_sgpr_workgroup_id_y 0
		.amdhsa_system_sgpr_workgroup_id_z 0
		.amdhsa_system_sgpr_workgroup_info 0
		.amdhsa_system_vgpr_workitem_id 0
		.amdhsa_next_free_vgpr 1
		.amdhsa_next_free_sgpr 1
		.amdhsa_reserve_vcc 0
		.amdhsa_reserve_flat_scratch 0
		.amdhsa_float_round_mode_32 0
		.amdhsa_float_round_mode_16_64 0
		.amdhsa_float_denorm_mode_32 3
		.amdhsa_float_denorm_mode_16_64 3
		.amdhsa_dx10_clamp 1
		.amdhsa_ieee_mode 1
		.amdhsa_fp16_overflow 0
		.amdhsa_workgroup_processor_mode 1
		.amdhsa_memory_ordered 1
		.amdhsa_forward_progress 1
		.amdhsa_shared_vgpr_count 0
		.amdhsa_exception_fp_ieee_invalid_op 0
		.amdhsa_exception_fp_denorm_src 0
		.amdhsa_exception_fp_ieee_div_zero 0
		.amdhsa_exception_fp_ieee_overflow 0
		.amdhsa_exception_fp_ieee_underflow 0
		.amdhsa_exception_fp_ieee_inexact 0
		.amdhsa_exception_int_div_zero 0
	.end_amdhsa_kernel
	.section	.text._ZN7rocprim17ROCPRIM_400000_NS6detail17trampoline_kernelINS0_13select_configILj256ELj13ELNS0_17block_load_methodE3ELS4_3ELS4_3ELNS0_20block_scan_algorithmE0ELj4294967295EEENS1_25partition_config_selectorILNS1_17partition_subalgoE3EjNS0_10empty_typeEbEEZZNS1_14partition_implILS8_3ELb0ES6_jNS0_17counting_iteratorIjlEEPS9_SE_NS0_5tupleIJPjSE_EEENSF_IJSE_SE_EEES9_SG_JZNS1_25segmented_radix_sort_implINS0_14default_configELb1EPKiPiPKlPlN2at6native12_GLOBAL__N_18offset_tEEE10hipError_tPvRmT1_PNSt15iterator_traitsISY_E10value_typeET2_T3_PNSZ_IS14_E10value_typeET4_jRbjT5_S1A_jjP12ihipStream_tbEUljE_EEESV_SW_SX_S14_S18_S1A_T6_T7_T9_mT8_S1C_bDpT10_ENKUlT_T0_E_clISt17integral_constantIbLb1EES1P_EEDaS1K_S1L_EUlS1K_E_NS1_11comp_targetILNS1_3genE8ELNS1_11target_archE1030ELNS1_3gpuE2ELNS1_3repE0EEENS1_30default_config_static_selectorELNS0_4arch9wavefront6targetE0EEEvSY_,"axG",@progbits,_ZN7rocprim17ROCPRIM_400000_NS6detail17trampoline_kernelINS0_13select_configILj256ELj13ELNS0_17block_load_methodE3ELS4_3ELS4_3ELNS0_20block_scan_algorithmE0ELj4294967295EEENS1_25partition_config_selectorILNS1_17partition_subalgoE3EjNS0_10empty_typeEbEEZZNS1_14partition_implILS8_3ELb0ES6_jNS0_17counting_iteratorIjlEEPS9_SE_NS0_5tupleIJPjSE_EEENSF_IJSE_SE_EEES9_SG_JZNS1_25segmented_radix_sort_implINS0_14default_configELb1EPKiPiPKlPlN2at6native12_GLOBAL__N_18offset_tEEE10hipError_tPvRmT1_PNSt15iterator_traitsISY_E10value_typeET2_T3_PNSZ_IS14_E10value_typeET4_jRbjT5_S1A_jjP12ihipStream_tbEUljE_EEESV_SW_SX_S14_S18_S1A_T6_T7_T9_mT8_S1C_bDpT10_ENKUlT_T0_E_clISt17integral_constantIbLb1EES1P_EEDaS1K_S1L_EUlS1K_E_NS1_11comp_targetILNS1_3genE8ELNS1_11target_archE1030ELNS1_3gpuE2ELNS1_3repE0EEENS1_30default_config_static_selectorELNS0_4arch9wavefront6targetE0EEEvSY_,comdat
.Lfunc_end476:
	.size	_ZN7rocprim17ROCPRIM_400000_NS6detail17trampoline_kernelINS0_13select_configILj256ELj13ELNS0_17block_load_methodE3ELS4_3ELS4_3ELNS0_20block_scan_algorithmE0ELj4294967295EEENS1_25partition_config_selectorILNS1_17partition_subalgoE3EjNS0_10empty_typeEbEEZZNS1_14partition_implILS8_3ELb0ES6_jNS0_17counting_iteratorIjlEEPS9_SE_NS0_5tupleIJPjSE_EEENSF_IJSE_SE_EEES9_SG_JZNS1_25segmented_radix_sort_implINS0_14default_configELb1EPKiPiPKlPlN2at6native12_GLOBAL__N_18offset_tEEE10hipError_tPvRmT1_PNSt15iterator_traitsISY_E10value_typeET2_T3_PNSZ_IS14_E10value_typeET4_jRbjT5_S1A_jjP12ihipStream_tbEUljE_EEESV_SW_SX_S14_S18_S1A_T6_T7_T9_mT8_S1C_bDpT10_ENKUlT_T0_E_clISt17integral_constantIbLb1EES1P_EEDaS1K_S1L_EUlS1K_E_NS1_11comp_targetILNS1_3genE8ELNS1_11target_archE1030ELNS1_3gpuE2ELNS1_3repE0EEENS1_30default_config_static_selectorELNS0_4arch9wavefront6targetE0EEEvSY_, .Lfunc_end476-_ZN7rocprim17ROCPRIM_400000_NS6detail17trampoline_kernelINS0_13select_configILj256ELj13ELNS0_17block_load_methodE3ELS4_3ELS4_3ELNS0_20block_scan_algorithmE0ELj4294967295EEENS1_25partition_config_selectorILNS1_17partition_subalgoE3EjNS0_10empty_typeEbEEZZNS1_14partition_implILS8_3ELb0ES6_jNS0_17counting_iteratorIjlEEPS9_SE_NS0_5tupleIJPjSE_EEENSF_IJSE_SE_EEES9_SG_JZNS1_25segmented_radix_sort_implINS0_14default_configELb1EPKiPiPKlPlN2at6native12_GLOBAL__N_18offset_tEEE10hipError_tPvRmT1_PNSt15iterator_traitsISY_E10value_typeET2_T3_PNSZ_IS14_E10value_typeET4_jRbjT5_S1A_jjP12ihipStream_tbEUljE_EEESV_SW_SX_S14_S18_S1A_T6_T7_T9_mT8_S1C_bDpT10_ENKUlT_T0_E_clISt17integral_constantIbLb1EES1P_EEDaS1K_S1L_EUlS1K_E_NS1_11comp_targetILNS1_3genE8ELNS1_11target_archE1030ELNS1_3gpuE2ELNS1_3repE0EEENS1_30default_config_static_selectorELNS0_4arch9wavefront6targetE0EEEvSY_
                                        ; -- End function
	.set _ZN7rocprim17ROCPRIM_400000_NS6detail17trampoline_kernelINS0_13select_configILj256ELj13ELNS0_17block_load_methodE3ELS4_3ELS4_3ELNS0_20block_scan_algorithmE0ELj4294967295EEENS1_25partition_config_selectorILNS1_17partition_subalgoE3EjNS0_10empty_typeEbEEZZNS1_14partition_implILS8_3ELb0ES6_jNS0_17counting_iteratorIjlEEPS9_SE_NS0_5tupleIJPjSE_EEENSF_IJSE_SE_EEES9_SG_JZNS1_25segmented_radix_sort_implINS0_14default_configELb1EPKiPiPKlPlN2at6native12_GLOBAL__N_18offset_tEEE10hipError_tPvRmT1_PNSt15iterator_traitsISY_E10value_typeET2_T3_PNSZ_IS14_E10value_typeET4_jRbjT5_S1A_jjP12ihipStream_tbEUljE_EEESV_SW_SX_S14_S18_S1A_T6_T7_T9_mT8_S1C_bDpT10_ENKUlT_T0_E_clISt17integral_constantIbLb1EES1P_EEDaS1K_S1L_EUlS1K_E_NS1_11comp_targetILNS1_3genE8ELNS1_11target_archE1030ELNS1_3gpuE2ELNS1_3repE0EEENS1_30default_config_static_selectorELNS0_4arch9wavefront6targetE0EEEvSY_.num_vgpr, 0
	.set _ZN7rocprim17ROCPRIM_400000_NS6detail17trampoline_kernelINS0_13select_configILj256ELj13ELNS0_17block_load_methodE3ELS4_3ELS4_3ELNS0_20block_scan_algorithmE0ELj4294967295EEENS1_25partition_config_selectorILNS1_17partition_subalgoE3EjNS0_10empty_typeEbEEZZNS1_14partition_implILS8_3ELb0ES6_jNS0_17counting_iteratorIjlEEPS9_SE_NS0_5tupleIJPjSE_EEENSF_IJSE_SE_EEES9_SG_JZNS1_25segmented_radix_sort_implINS0_14default_configELb1EPKiPiPKlPlN2at6native12_GLOBAL__N_18offset_tEEE10hipError_tPvRmT1_PNSt15iterator_traitsISY_E10value_typeET2_T3_PNSZ_IS14_E10value_typeET4_jRbjT5_S1A_jjP12ihipStream_tbEUljE_EEESV_SW_SX_S14_S18_S1A_T6_T7_T9_mT8_S1C_bDpT10_ENKUlT_T0_E_clISt17integral_constantIbLb1EES1P_EEDaS1K_S1L_EUlS1K_E_NS1_11comp_targetILNS1_3genE8ELNS1_11target_archE1030ELNS1_3gpuE2ELNS1_3repE0EEENS1_30default_config_static_selectorELNS0_4arch9wavefront6targetE0EEEvSY_.num_agpr, 0
	.set _ZN7rocprim17ROCPRIM_400000_NS6detail17trampoline_kernelINS0_13select_configILj256ELj13ELNS0_17block_load_methodE3ELS4_3ELS4_3ELNS0_20block_scan_algorithmE0ELj4294967295EEENS1_25partition_config_selectorILNS1_17partition_subalgoE3EjNS0_10empty_typeEbEEZZNS1_14partition_implILS8_3ELb0ES6_jNS0_17counting_iteratorIjlEEPS9_SE_NS0_5tupleIJPjSE_EEENSF_IJSE_SE_EEES9_SG_JZNS1_25segmented_radix_sort_implINS0_14default_configELb1EPKiPiPKlPlN2at6native12_GLOBAL__N_18offset_tEEE10hipError_tPvRmT1_PNSt15iterator_traitsISY_E10value_typeET2_T3_PNSZ_IS14_E10value_typeET4_jRbjT5_S1A_jjP12ihipStream_tbEUljE_EEESV_SW_SX_S14_S18_S1A_T6_T7_T9_mT8_S1C_bDpT10_ENKUlT_T0_E_clISt17integral_constantIbLb1EES1P_EEDaS1K_S1L_EUlS1K_E_NS1_11comp_targetILNS1_3genE8ELNS1_11target_archE1030ELNS1_3gpuE2ELNS1_3repE0EEENS1_30default_config_static_selectorELNS0_4arch9wavefront6targetE0EEEvSY_.numbered_sgpr, 0
	.set _ZN7rocprim17ROCPRIM_400000_NS6detail17trampoline_kernelINS0_13select_configILj256ELj13ELNS0_17block_load_methodE3ELS4_3ELS4_3ELNS0_20block_scan_algorithmE0ELj4294967295EEENS1_25partition_config_selectorILNS1_17partition_subalgoE3EjNS0_10empty_typeEbEEZZNS1_14partition_implILS8_3ELb0ES6_jNS0_17counting_iteratorIjlEEPS9_SE_NS0_5tupleIJPjSE_EEENSF_IJSE_SE_EEES9_SG_JZNS1_25segmented_radix_sort_implINS0_14default_configELb1EPKiPiPKlPlN2at6native12_GLOBAL__N_18offset_tEEE10hipError_tPvRmT1_PNSt15iterator_traitsISY_E10value_typeET2_T3_PNSZ_IS14_E10value_typeET4_jRbjT5_S1A_jjP12ihipStream_tbEUljE_EEESV_SW_SX_S14_S18_S1A_T6_T7_T9_mT8_S1C_bDpT10_ENKUlT_T0_E_clISt17integral_constantIbLb1EES1P_EEDaS1K_S1L_EUlS1K_E_NS1_11comp_targetILNS1_3genE8ELNS1_11target_archE1030ELNS1_3gpuE2ELNS1_3repE0EEENS1_30default_config_static_selectorELNS0_4arch9wavefront6targetE0EEEvSY_.num_named_barrier, 0
	.set _ZN7rocprim17ROCPRIM_400000_NS6detail17trampoline_kernelINS0_13select_configILj256ELj13ELNS0_17block_load_methodE3ELS4_3ELS4_3ELNS0_20block_scan_algorithmE0ELj4294967295EEENS1_25partition_config_selectorILNS1_17partition_subalgoE3EjNS0_10empty_typeEbEEZZNS1_14partition_implILS8_3ELb0ES6_jNS0_17counting_iteratorIjlEEPS9_SE_NS0_5tupleIJPjSE_EEENSF_IJSE_SE_EEES9_SG_JZNS1_25segmented_radix_sort_implINS0_14default_configELb1EPKiPiPKlPlN2at6native12_GLOBAL__N_18offset_tEEE10hipError_tPvRmT1_PNSt15iterator_traitsISY_E10value_typeET2_T3_PNSZ_IS14_E10value_typeET4_jRbjT5_S1A_jjP12ihipStream_tbEUljE_EEESV_SW_SX_S14_S18_S1A_T6_T7_T9_mT8_S1C_bDpT10_ENKUlT_T0_E_clISt17integral_constantIbLb1EES1P_EEDaS1K_S1L_EUlS1K_E_NS1_11comp_targetILNS1_3genE8ELNS1_11target_archE1030ELNS1_3gpuE2ELNS1_3repE0EEENS1_30default_config_static_selectorELNS0_4arch9wavefront6targetE0EEEvSY_.private_seg_size, 0
	.set _ZN7rocprim17ROCPRIM_400000_NS6detail17trampoline_kernelINS0_13select_configILj256ELj13ELNS0_17block_load_methodE3ELS4_3ELS4_3ELNS0_20block_scan_algorithmE0ELj4294967295EEENS1_25partition_config_selectorILNS1_17partition_subalgoE3EjNS0_10empty_typeEbEEZZNS1_14partition_implILS8_3ELb0ES6_jNS0_17counting_iteratorIjlEEPS9_SE_NS0_5tupleIJPjSE_EEENSF_IJSE_SE_EEES9_SG_JZNS1_25segmented_radix_sort_implINS0_14default_configELb1EPKiPiPKlPlN2at6native12_GLOBAL__N_18offset_tEEE10hipError_tPvRmT1_PNSt15iterator_traitsISY_E10value_typeET2_T3_PNSZ_IS14_E10value_typeET4_jRbjT5_S1A_jjP12ihipStream_tbEUljE_EEESV_SW_SX_S14_S18_S1A_T6_T7_T9_mT8_S1C_bDpT10_ENKUlT_T0_E_clISt17integral_constantIbLb1EES1P_EEDaS1K_S1L_EUlS1K_E_NS1_11comp_targetILNS1_3genE8ELNS1_11target_archE1030ELNS1_3gpuE2ELNS1_3repE0EEENS1_30default_config_static_selectorELNS0_4arch9wavefront6targetE0EEEvSY_.uses_vcc, 0
	.set _ZN7rocprim17ROCPRIM_400000_NS6detail17trampoline_kernelINS0_13select_configILj256ELj13ELNS0_17block_load_methodE3ELS4_3ELS4_3ELNS0_20block_scan_algorithmE0ELj4294967295EEENS1_25partition_config_selectorILNS1_17partition_subalgoE3EjNS0_10empty_typeEbEEZZNS1_14partition_implILS8_3ELb0ES6_jNS0_17counting_iteratorIjlEEPS9_SE_NS0_5tupleIJPjSE_EEENSF_IJSE_SE_EEES9_SG_JZNS1_25segmented_radix_sort_implINS0_14default_configELb1EPKiPiPKlPlN2at6native12_GLOBAL__N_18offset_tEEE10hipError_tPvRmT1_PNSt15iterator_traitsISY_E10value_typeET2_T3_PNSZ_IS14_E10value_typeET4_jRbjT5_S1A_jjP12ihipStream_tbEUljE_EEESV_SW_SX_S14_S18_S1A_T6_T7_T9_mT8_S1C_bDpT10_ENKUlT_T0_E_clISt17integral_constantIbLb1EES1P_EEDaS1K_S1L_EUlS1K_E_NS1_11comp_targetILNS1_3genE8ELNS1_11target_archE1030ELNS1_3gpuE2ELNS1_3repE0EEENS1_30default_config_static_selectorELNS0_4arch9wavefront6targetE0EEEvSY_.uses_flat_scratch, 0
	.set _ZN7rocprim17ROCPRIM_400000_NS6detail17trampoline_kernelINS0_13select_configILj256ELj13ELNS0_17block_load_methodE3ELS4_3ELS4_3ELNS0_20block_scan_algorithmE0ELj4294967295EEENS1_25partition_config_selectorILNS1_17partition_subalgoE3EjNS0_10empty_typeEbEEZZNS1_14partition_implILS8_3ELb0ES6_jNS0_17counting_iteratorIjlEEPS9_SE_NS0_5tupleIJPjSE_EEENSF_IJSE_SE_EEES9_SG_JZNS1_25segmented_radix_sort_implINS0_14default_configELb1EPKiPiPKlPlN2at6native12_GLOBAL__N_18offset_tEEE10hipError_tPvRmT1_PNSt15iterator_traitsISY_E10value_typeET2_T3_PNSZ_IS14_E10value_typeET4_jRbjT5_S1A_jjP12ihipStream_tbEUljE_EEESV_SW_SX_S14_S18_S1A_T6_T7_T9_mT8_S1C_bDpT10_ENKUlT_T0_E_clISt17integral_constantIbLb1EES1P_EEDaS1K_S1L_EUlS1K_E_NS1_11comp_targetILNS1_3genE8ELNS1_11target_archE1030ELNS1_3gpuE2ELNS1_3repE0EEENS1_30default_config_static_selectorELNS0_4arch9wavefront6targetE0EEEvSY_.has_dyn_sized_stack, 0
	.set _ZN7rocprim17ROCPRIM_400000_NS6detail17trampoline_kernelINS0_13select_configILj256ELj13ELNS0_17block_load_methodE3ELS4_3ELS4_3ELNS0_20block_scan_algorithmE0ELj4294967295EEENS1_25partition_config_selectorILNS1_17partition_subalgoE3EjNS0_10empty_typeEbEEZZNS1_14partition_implILS8_3ELb0ES6_jNS0_17counting_iteratorIjlEEPS9_SE_NS0_5tupleIJPjSE_EEENSF_IJSE_SE_EEES9_SG_JZNS1_25segmented_radix_sort_implINS0_14default_configELb1EPKiPiPKlPlN2at6native12_GLOBAL__N_18offset_tEEE10hipError_tPvRmT1_PNSt15iterator_traitsISY_E10value_typeET2_T3_PNSZ_IS14_E10value_typeET4_jRbjT5_S1A_jjP12ihipStream_tbEUljE_EEESV_SW_SX_S14_S18_S1A_T6_T7_T9_mT8_S1C_bDpT10_ENKUlT_T0_E_clISt17integral_constantIbLb1EES1P_EEDaS1K_S1L_EUlS1K_E_NS1_11comp_targetILNS1_3genE8ELNS1_11target_archE1030ELNS1_3gpuE2ELNS1_3repE0EEENS1_30default_config_static_selectorELNS0_4arch9wavefront6targetE0EEEvSY_.has_recursion, 0
	.set _ZN7rocprim17ROCPRIM_400000_NS6detail17trampoline_kernelINS0_13select_configILj256ELj13ELNS0_17block_load_methodE3ELS4_3ELS4_3ELNS0_20block_scan_algorithmE0ELj4294967295EEENS1_25partition_config_selectorILNS1_17partition_subalgoE3EjNS0_10empty_typeEbEEZZNS1_14partition_implILS8_3ELb0ES6_jNS0_17counting_iteratorIjlEEPS9_SE_NS0_5tupleIJPjSE_EEENSF_IJSE_SE_EEES9_SG_JZNS1_25segmented_radix_sort_implINS0_14default_configELb1EPKiPiPKlPlN2at6native12_GLOBAL__N_18offset_tEEE10hipError_tPvRmT1_PNSt15iterator_traitsISY_E10value_typeET2_T3_PNSZ_IS14_E10value_typeET4_jRbjT5_S1A_jjP12ihipStream_tbEUljE_EEESV_SW_SX_S14_S18_S1A_T6_T7_T9_mT8_S1C_bDpT10_ENKUlT_T0_E_clISt17integral_constantIbLb1EES1P_EEDaS1K_S1L_EUlS1K_E_NS1_11comp_targetILNS1_3genE8ELNS1_11target_archE1030ELNS1_3gpuE2ELNS1_3repE0EEENS1_30default_config_static_selectorELNS0_4arch9wavefront6targetE0EEEvSY_.has_indirect_call, 0
	.section	.AMDGPU.csdata,"",@progbits
; Kernel info:
; codeLenInByte = 4
; TotalNumSgprs: 0
; NumVgprs: 0
; ScratchSize: 0
; MemoryBound: 0
; FloatMode: 240
; IeeeMode: 1
; LDSByteSize: 0 bytes/workgroup (compile time only)
; SGPRBlocks: 0
; VGPRBlocks: 0
; NumSGPRsForWavesPerEU: 1
; NumVGPRsForWavesPerEU: 1
; Occupancy: 16
; WaveLimiterHint : 0
; COMPUTE_PGM_RSRC2:SCRATCH_EN: 0
; COMPUTE_PGM_RSRC2:USER_SGPR: 6
; COMPUTE_PGM_RSRC2:TRAP_HANDLER: 0
; COMPUTE_PGM_RSRC2:TGID_X_EN: 1
; COMPUTE_PGM_RSRC2:TGID_Y_EN: 0
; COMPUTE_PGM_RSRC2:TGID_Z_EN: 0
; COMPUTE_PGM_RSRC2:TIDIG_COMP_CNT: 0
	.section	.text._ZN7rocprim17ROCPRIM_400000_NS6detail17trampoline_kernelINS0_13select_configILj256ELj13ELNS0_17block_load_methodE3ELS4_3ELS4_3ELNS0_20block_scan_algorithmE0ELj4294967295EEENS1_25partition_config_selectorILNS1_17partition_subalgoE3EjNS0_10empty_typeEbEEZZNS1_14partition_implILS8_3ELb0ES6_jNS0_17counting_iteratorIjlEEPS9_SE_NS0_5tupleIJPjSE_EEENSF_IJSE_SE_EEES9_SG_JZNS1_25segmented_radix_sort_implINS0_14default_configELb1EPKiPiPKlPlN2at6native12_GLOBAL__N_18offset_tEEE10hipError_tPvRmT1_PNSt15iterator_traitsISY_E10value_typeET2_T3_PNSZ_IS14_E10value_typeET4_jRbjT5_S1A_jjP12ihipStream_tbEUljE_EEESV_SW_SX_S14_S18_S1A_T6_T7_T9_mT8_S1C_bDpT10_ENKUlT_T0_E_clISt17integral_constantIbLb1EES1O_IbLb0EEEEDaS1K_S1L_EUlS1K_E_NS1_11comp_targetILNS1_3genE0ELNS1_11target_archE4294967295ELNS1_3gpuE0ELNS1_3repE0EEENS1_30default_config_static_selectorELNS0_4arch9wavefront6targetE0EEEvSY_,"axG",@progbits,_ZN7rocprim17ROCPRIM_400000_NS6detail17trampoline_kernelINS0_13select_configILj256ELj13ELNS0_17block_load_methodE3ELS4_3ELS4_3ELNS0_20block_scan_algorithmE0ELj4294967295EEENS1_25partition_config_selectorILNS1_17partition_subalgoE3EjNS0_10empty_typeEbEEZZNS1_14partition_implILS8_3ELb0ES6_jNS0_17counting_iteratorIjlEEPS9_SE_NS0_5tupleIJPjSE_EEENSF_IJSE_SE_EEES9_SG_JZNS1_25segmented_radix_sort_implINS0_14default_configELb1EPKiPiPKlPlN2at6native12_GLOBAL__N_18offset_tEEE10hipError_tPvRmT1_PNSt15iterator_traitsISY_E10value_typeET2_T3_PNSZ_IS14_E10value_typeET4_jRbjT5_S1A_jjP12ihipStream_tbEUljE_EEESV_SW_SX_S14_S18_S1A_T6_T7_T9_mT8_S1C_bDpT10_ENKUlT_T0_E_clISt17integral_constantIbLb1EES1O_IbLb0EEEEDaS1K_S1L_EUlS1K_E_NS1_11comp_targetILNS1_3genE0ELNS1_11target_archE4294967295ELNS1_3gpuE0ELNS1_3repE0EEENS1_30default_config_static_selectorELNS0_4arch9wavefront6targetE0EEEvSY_,comdat
	.globl	_ZN7rocprim17ROCPRIM_400000_NS6detail17trampoline_kernelINS0_13select_configILj256ELj13ELNS0_17block_load_methodE3ELS4_3ELS4_3ELNS0_20block_scan_algorithmE0ELj4294967295EEENS1_25partition_config_selectorILNS1_17partition_subalgoE3EjNS0_10empty_typeEbEEZZNS1_14partition_implILS8_3ELb0ES6_jNS0_17counting_iteratorIjlEEPS9_SE_NS0_5tupleIJPjSE_EEENSF_IJSE_SE_EEES9_SG_JZNS1_25segmented_radix_sort_implINS0_14default_configELb1EPKiPiPKlPlN2at6native12_GLOBAL__N_18offset_tEEE10hipError_tPvRmT1_PNSt15iterator_traitsISY_E10value_typeET2_T3_PNSZ_IS14_E10value_typeET4_jRbjT5_S1A_jjP12ihipStream_tbEUljE_EEESV_SW_SX_S14_S18_S1A_T6_T7_T9_mT8_S1C_bDpT10_ENKUlT_T0_E_clISt17integral_constantIbLb1EES1O_IbLb0EEEEDaS1K_S1L_EUlS1K_E_NS1_11comp_targetILNS1_3genE0ELNS1_11target_archE4294967295ELNS1_3gpuE0ELNS1_3repE0EEENS1_30default_config_static_selectorELNS0_4arch9wavefront6targetE0EEEvSY_ ; -- Begin function _ZN7rocprim17ROCPRIM_400000_NS6detail17trampoline_kernelINS0_13select_configILj256ELj13ELNS0_17block_load_methodE3ELS4_3ELS4_3ELNS0_20block_scan_algorithmE0ELj4294967295EEENS1_25partition_config_selectorILNS1_17partition_subalgoE3EjNS0_10empty_typeEbEEZZNS1_14partition_implILS8_3ELb0ES6_jNS0_17counting_iteratorIjlEEPS9_SE_NS0_5tupleIJPjSE_EEENSF_IJSE_SE_EEES9_SG_JZNS1_25segmented_radix_sort_implINS0_14default_configELb1EPKiPiPKlPlN2at6native12_GLOBAL__N_18offset_tEEE10hipError_tPvRmT1_PNSt15iterator_traitsISY_E10value_typeET2_T3_PNSZ_IS14_E10value_typeET4_jRbjT5_S1A_jjP12ihipStream_tbEUljE_EEESV_SW_SX_S14_S18_S1A_T6_T7_T9_mT8_S1C_bDpT10_ENKUlT_T0_E_clISt17integral_constantIbLb1EES1O_IbLb0EEEEDaS1K_S1L_EUlS1K_E_NS1_11comp_targetILNS1_3genE0ELNS1_11target_archE4294967295ELNS1_3gpuE0ELNS1_3repE0EEENS1_30default_config_static_selectorELNS0_4arch9wavefront6targetE0EEEvSY_
	.p2align	8
	.type	_ZN7rocprim17ROCPRIM_400000_NS6detail17trampoline_kernelINS0_13select_configILj256ELj13ELNS0_17block_load_methodE3ELS4_3ELS4_3ELNS0_20block_scan_algorithmE0ELj4294967295EEENS1_25partition_config_selectorILNS1_17partition_subalgoE3EjNS0_10empty_typeEbEEZZNS1_14partition_implILS8_3ELb0ES6_jNS0_17counting_iteratorIjlEEPS9_SE_NS0_5tupleIJPjSE_EEENSF_IJSE_SE_EEES9_SG_JZNS1_25segmented_radix_sort_implINS0_14default_configELb1EPKiPiPKlPlN2at6native12_GLOBAL__N_18offset_tEEE10hipError_tPvRmT1_PNSt15iterator_traitsISY_E10value_typeET2_T3_PNSZ_IS14_E10value_typeET4_jRbjT5_S1A_jjP12ihipStream_tbEUljE_EEESV_SW_SX_S14_S18_S1A_T6_T7_T9_mT8_S1C_bDpT10_ENKUlT_T0_E_clISt17integral_constantIbLb1EES1O_IbLb0EEEEDaS1K_S1L_EUlS1K_E_NS1_11comp_targetILNS1_3genE0ELNS1_11target_archE4294967295ELNS1_3gpuE0ELNS1_3repE0EEENS1_30default_config_static_selectorELNS0_4arch9wavefront6targetE0EEEvSY_,@function
_ZN7rocprim17ROCPRIM_400000_NS6detail17trampoline_kernelINS0_13select_configILj256ELj13ELNS0_17block_load_methodE3ELS4_3ELS4_3ELNS0_20block_scan_algorithmE0ELj4294967295EEENS1_25partition_config_selectorILNS1_17partition_subalgoE3EjNS0_10empty_typeEbEEZZNS1_14partition_implILS8_3ELb0ES6_jNS0_17counting_iteratorIjlEEPS9_SE_NS0_5tupleIJPjSE_EEENSF_IJSE_SE_EEES9_SG_JZNS1_25segmented_radix_sort_implINS0_14default_configELb1EPKiPiPKlPlN2at6native12_GLOBAL__N_18offset_tEEE10hipError_tPvRmT1_PNSt15iterator_traitsISY_E10value_typeET2_T3_PNSZ_IS14_E10value_typeET4_jRbjT5_S1A_jjP12ihipStream_tbEUljE_EEESV_SW_SX_S14_S18_S1A_T6_T7_T9_mT8_S1C_bDpT10_ENKUlT_T0_E_clISt17integral_constantIbLb1EES1O_IbLb0EEEEDaS1K_S1L_EUlS1K_E_NS1_11comp_targetILNS1_3genE0ELNS1_11target_archE4294967295ELNS1_3gpuE0ELNS1_3repE0EEENS1_30default_config_static_selectorELNS0_4arch9wavefront6targetE0EEEvSY_: ; @_ZN7rocprim17ROCPRIM_400000_NS6detail17trampoline_kernelINS0_13select_configILj256ELj13ELNS0_17block_load_methodE3ELS4_3ELS4_3ELNS0_20block_scan_algorithmE0ELj4294967295EEENS1_25partition_config_selectorILNS1_17partition_subalgoE3EjNS0_10empty_typeEbEEZZNS1_14partition_implILS8_3ELb0ES6_jNS0_17counting_iteratorIjlEEPS9_SE_NS0_5tupleIJPjSE_EEENSF_IJSE_SE_EEES9_SG_JZNS1_25segmented_radix_sort_implINS0_14default_configELb1EPKiPiPKlPlN2at6native12_GLOBAL__N_18offset_tEEE10hipError_tPvRmT1_PNSt15iterator_traitsISY_E10value_typeET2_T3_PNSZ_IS14_E10value_typeET4_jRbjT5_S1A_jjP12ihipStream_tbEUljE_EEESV_SW_SX_S14_S18_S1A_T6_T7_T9_mT8_S1C_bDpT10_ENKUlT_T0_E_clISt17integral_constantIbLb1EES1O_IbLb0EEEEDaS1K_S1L_EUlS1K_E_NS1_11comp_targetILNS1_3genE0ELNS1_11target_archE4294967295ELNS1_3gpuE0ELNS1_3repE0EEENS1_30default_config_static_selectorELNS0_4arch9wavefront6targetE0EEEvSY_
; %bb.0:
	.section	.rodata,"a",@progbits
	.p2align	6, 0x0
	.amdhsa_kernel _ZN7rocprim17ROCPRIM_400000_NS6detail17trampoline_kernelINS0_13select_configILj256ELj13ELNS0_17block_load_methodE3ELS4_3ELS4_3ELNS0_20block_scan_algorithmE0ELj4294967295EEENS1_25partition_config_selectorILNS1_17partition_subalgoE3EjNS0_10empty_typeEbEEZZNS1_14partition_implILS8_3ELb0ES6_jNS0_17counting_iteratorIjlEEPS9_SE_NS0_5tupleIJPjSE_EEENSF_IJSE_SE_EEES9_SG_JZNS1_25segmented_radix_sort_implINS0_14default_configELb1EPKiPiPKlPlN2at6native12_GLOBAL__N_18offset_tEEE10hipError_tPvRmT1_PNSt15iterator_traitsISY_E10value_typeET2_T3_PNSZ_IS14_E10value_typeET4_jRbjT5_S1A_jjP12ihipStream_tbEUljE_EEESV_SW_SX_S14_S18_S1A_T6_T7_T9_mT8_S1C_bDpT10_ENKUlT_T0_E_clISt17integral_constantIbLb1EES1O_IbLb0EEEEDaS1K_S1L_EUlS1K_E_NS1_11comp_targetILNS1_3genE0ELNS1_11target_archE4294967295ELNS1_3gpuE0ELNS1_3repE0EEENS1_30default_config_static_selectorELNS0_4arch9wavefront6targetE0EEEvSY_
		.amdhsa_group_segment_fixed_size 0
		.amdhsa_private_segment_fixed_size 0
		.amdhsa_kernarg_size 144
		.amdhsa_user_sgpr_count 6
		.amdhsa_user_sgpr_private_segment_buffer 1
		.amdhsa_user_sgpr_dispatch_ptr 0
		.amdhsa_user_sgpr_queue_ptr 0
		.amdhsa_user_sgpr_kernarg_segment_ptr 1
		.amdhsa_user_sgpr_dispatch_id 0
		.amdhsa_user_sgpr_flat_scratch_init 0
		.amdhsa_user_sgpr_private_segment_size 0
		.amdhsa_wavefront_size32 1
		.amdhsa_uses_dynamic_stack 0
		.amdhsa_system_sgpr_private_segment_wavefront_offset 0
		.amdhsa_system_sgpr_workgroup_id_x 1
		.amdhsa_system_sgpr_workgroup_id_y 0
		.amdhsa_system_sgpr_workgroup_id_z 0
		.amdhsa_system_sgpr_workgroup_info 0
		.amdhsa_system_vgpr_workitem_id 0
		.amdhsa_next_free_vgpr 1
		.amdhsa_next_free_sgpr 1
		.amdhsa_reserve_vcc 0
		.amdhsa_reserve_flat_scratch 0
		.amdhsa_float_round_mode_32 0
		.amdhsa_float_round_mode_16_64 0
		.amdhsa_float_denorm_mode_32 3
		.amdhsa_float_denorm_mode_16_64 3
		.amdhsa_dx10_clamp 1
		.amdhsa_ieee_mode 1
		.amdhsa_fp16_overflow 0
		.amdhsa_workgroup_processor_mode 1
		.amdhsa_memory_ordered 1
		.amdhsa_forward_progress 1
		.amdhsa_shared_vgpr_count 0
		.amdhsa_exception_fp_ieee_invalid_op 0
		.amdhsa_exception_fp_denorm_src 0
		.amdhsa_exception_fp_ieee_div_zero 0
		.amdhsa_exception_fp_ieee_overflow 0
		.amdhsa_exception_fp_ieee_underflow 0
		.amdhsa_exception_fp_ieee_inexact 0
		.amdhsa_exception_int_div_zero 0
	.end_amdhsa_kernel
	.section	.text._ZN7rocprim17ROCPRIM_400000_NS6detail17trampoline_kernelINS0_13select_configILj256ELj13ELNS0_17block_load_methodE3ELS4_3ELS4_3ELNS0_20block_scan_algorithmE0ELj4294967295EEENS1_25partition_config_selectorILNS1_17partition_subalgoE3EjNS0_10empty_typeEbEEZZNS1_14partition_implILS8_3ELb0ES6_jNS0_17counting_iteratorIjlEEPS9_SE_NS0_5tupleIJPjSE_EEENSF_IJSE_SE_EEES9_SG_JZNS1_25segmented_radix_sort_implINS0_14default_configELb1EPKiPiPKlPlN2at6native12_GLOBAL__N_18offset_tEEE10hipError_tPvRmT1_PNSt15iterator_traitsISY_E10value_typeET2_T3_PNSZ_IS14_E10value_typeET4_jRbjT5_S1A_jjP12ihipStream_tbEUljE_EEESV_SW_SX_S14_S18_S1A_T6_T7_T9_mT8_S1C_bDpT10_ENKUlT_T0_E_clISt17integral_constantIbLb1EES1O_IbLb0EEEEDaS1K_S1L_EUlS1K_E_NS1_11comp_targetILNS1_3genE0ELNS1_11target_archE4294967295ELNS1_3gpuE0ELNS1_3repE0EEENS1_30default_config_static_selectorELNS0_4arch9wavefront6targetE0EEEvSY_,"axG",@progbits,_ZN7rocprim17ROCPRIM_400000_NS6detail17trampoline_kernelINS0_13select_configILj256ELj13ELNS0_17block_load_methodE3ELS4_3ELS4_3ELNS0_20block_scan_algorithmE0ELj4294967295EEENS1_25partition_config_selectorILNS1_17partition_subalgoE3EjNS0_10empty_typeEbEEZZNS1_14partition_implILS8_3ELb0ES6_jNS0_17counting_iteratorIjlEEPS9_SE_NS0_5tupleIJPjSE_EEENSF_IJSE_SE_EEES9_SG_JZNS1_25segmented_radix_sort_implINS0_14default_configELb1EPKiPiPKlPlN2at6native12_GLOBAL__N_18offset_tEEE10hipError_tPvRmT1_PNSt15iterator_traitsISY_E10value_typeET2_T3_PNSZ_IS14_E10value_typeET4_jRbjT5_S1A_jjP12ihipStream_tbEUljE_EEESV_SW_SX_S14_S18_S1A_T6_T7_T9_mT8_S1C_bDpT10_ENKUlT_T0_E_clISt17integral_constantIbLb1EES1O_IbLb0EEEEDaS1K_S1L_EUlS1K_E_NS1_11comp_targetILNS1_3genE0ELNS1_11target_archE4294967295ELNS1_3gpuE0ELNS1_3repE0EEENS1_30default_config_static_selectorELNS0_4arch9wavefront6targetE0EEEvSY_,comdat
.Lfunc_end477:
	.size	_ZN7rocprim17ROCPRIM_400000_NS6detail17trampoline_kernelINS0_13select_configILj256ELj13ELNS0_17block_load_methodE3ELS4_3ELS4_3ELNS0_20block_scan_algorithmE0ELj4294967295EEENS1_25partition_config_selectorILNS1_17partition_subalgoE3EjNS0_10empty_typeEbEEZZNS1_14partition_implILS8_3ELb0ES6_jNS0_17counting_iteratorIjlEEPS9_SE_NS0_5tupleIJPjSE_EEENSF_IJSE_SE_EEES9_SG_JZNS1_25segmented_radix_sort_implINS0_14default_configELb1EPKiPiPKlPlN2at6native12_GLOBAL__N_18offset_tEEE10hipError_tPvRmT1_PNSt15iterator_traitsISY_E10value_typeET2_T3_PNSZ_IS14_E10value_typeET4_jRbjT5_S1A_jjP12ihipStream_tbEUljE_EEESV_SW_SX_S14_S18_S1A_T6_T7_T9_mT8_S1C_bDpT10_ENKUlT_T0_E_clISt17integral_constantIbLb1EES1O_IbLb0EEEEDaS1K_S1L_EUlS1K_E_NS1_11comp_targetILNS1_3genE0ELNS1_11target_archE4294967295ELNS1_3gpuE0ELNS1_3repE0EEENS1_30default_config_static_selectorELNS0_4arch9wavefront6targetE0EEEvSY_, .Lfunc_end477-_ZN7rocprim17ROCPRIM_400000_NS6detail17trampoline_kernelINS0_13select_configILj256ELj13ELNS0_17block_load_methodE3ELS4_3ELS4_3ELNS0_20block_scan_algorithmE0ELj4294967295EEENS1_25partition_config_selectorILNS1_17partition_subalgoE3EjNS0_10empty_typeEbEEZZNS1_14partition_implILS8_3ELb0ES6_jNS0_17counting_iteratorIjlEEPS9_SE_NS0_5tupleIJPjSE_EEENSF_IJSE_SE_EEES9_SG_JZNS1_25segmented_radix_sort_implINS0_14default_configELb1EPKiPiPKlPlN2at6native12_GLOBAL__N_18offset_tEEE10hipError_tPvRmT1_PNSt15iterator_traitsISY_E10value_typeET2_T3_PNSZ_IS14_E10value_typeET4_jRbjT5_S1A_jjP12ihipStream_tbEUljE_EEESV_SW_SX_S14_S18_S1A_T6_T7_T9_mT8_S1C_bDpT10_ENKUlT_T0_E_clISt17integral_constantIbLb1EES1O_IbLb0EEEEDaS1K_S1L_EUlS1K_E_NS1_11comp_targetILNS1_3genE0ELNS1_11target_archE4294967295ELNS1_3gpuE0ELNS1_3repE0EEENS1_30default_config_static_selectorELNS0_4arch9wavefront6targetE0EEEvSY_
                                        ; -- End function
	.set _ZN7rocprim17ROCPRIM_400000_NS6detail17trampoline_kernelINS0_13select_configILj256ELj13ELNS0_17block_load_methodE3ELS4_3ELS4_3ELNS0_20block_scan_algorithmE0ELj4294967295EEENS1_25partition_config_selectorILNS1_17partition_subalgoE3EjNS0_10empty_typeEbEEZZNS1_14partition_implILS8_3ELb0ES6_jNS0_17counting_iteratorIjlEEPS9_SE_NS0_5tupleIJPjSE_EEENSF_IJSE_SE_EEES9_SG_JZNS1_25segmented_radix_sort_implINS0_14default_configELb1EPKiPiPKlPlN2at6native12_GLOBAL__N_18offset_tEEE10hipError_tPvRmT1_PNSt15iterator_traitsISY_E10value_typeET2_T3_PNSZ_IS14_E10value_typeET4_jRbjT5_S1A_jjP12ihipStream_tbEUljE_EEESV_SW_SX_S14_S18_S1A_T6_T7_T9_mT8_S1C_bDpT10_ENKUlT_T0_E_clISt17integral_constantIbLb1EES1O_IbLb0EEEEDaS1K_S1L_EUlS1K_E_NS1_11comp_targetILNS1_3genE0ELNS1_11target_archE4294967295ELNS1_3gpuE0ELNS1_3repE0EEENS1_30default_config_static_selectorELNS0_4arch9wavefront6targetE0EEEvSY_.num_vgpr, 0
	.set _ZN7rocprim17ROCPRIM_400000_NS6detail17trampoline_kernelINS0_13select_configILj256ELj13ELNS0_17block_load_methodE3ELS4_3ELS4_3ELNS0_20block_scan_algorithmE0ELj4294967295EEENS1_25partition_config_selectorILNS1_17partition_subalgoE3EjNS0_10empty_typeEbEEZZNS1_14partition_implILS8_3ELb0ES6_jNS0_17counting_iteratorIjlEEPS9_SE_NS0_5tupleIJPjSE_EEENSF_IJSE_SE_EEES9_SG_JZNS1_25segmented_radix_sort_implINS0_14default_configELb1EPKiPiPKlPlN2at6native12_GLOBAL__N_18offset_tEEE10hipError_tPvRmT1_PNSt15iterator_traitsISY_E10value_typeET2_T3_PNSZ_IS14_E10value_typeET4_jRbjT5_S1A_jjP12ihipStream_tbEUljE_EEESV_SW_SX_S14_S18_S1A_T6_T7_T9_mT8_S1C_bDpT10_ENKUlT_T0_E_clISt17integral_constantIbLb1EES1O_IbLb0EEEEDaS1K_S1L_EUlS1K_E_NS1_11comp_targetILNS1_3genE0ELNS1_11target_archE4294967295ELNS1_3gpuE0ELNS1_3repE0EEENS1_30default_config_static_selectorELNS0_4arch9wavefront6targetE0EEEvSY_.num_agpr, 0
	.set _ZN7rocprim17ROCPRIM_400000_NS6detail17trampoline_kernelINS0_13select_configILj256ELj13ELNS0_17block_load_methodE3ELS4_3ELS4_3ELNS0_20block_scan_algorithmE0ELj4294967295EEENS1_25partition_config_selectorILNS1_17partition_subalgoE3EjNS0_10empty_typeEbEEZZNS1_14partition_implILS8_3ELb0ES6_jNS0_17counting_iteratorIjlEEPS9_SE_NS0_5tupleIJPjSE_EEENSF_IJSE_SE_EEES9_SG_JZNS1_25segmented_radix_sort_implINS0_14default_configELb1EPKiPiPKlPlN2at6native12_GLOBAL__N_18offset_tEEE10hipError_tPvRmT1_PNSt15iterator_traitsISY_E10value_typeET2_T3_PNSZ_IS14_E10value_typeET4_jRbjT5_S1A_jjP12ihipStream_tbEUljE_EEESV_SW_SX_S14_S18_S1A_T6_T7_T9_mT8_S1C_bDpT10_ENKUlT_T0_E_clISt17integral_constantIbLb1EES1O_IbLb0EEEEDaS1K_S1L_EUlS1K_E_NS1_11comp_targetILNS1_3genE0ELNS1_11target_archE4294967295ELNS1_3gpuE0ELNS1_3repE0EEENS1_30default_config_static_selectorELNS0_4arch9wavefront6targetE0EEEvSY_.numbered_sgpr, 0
	.set _ZN7rocprim17ROCPRIM_400000_NS6detail17trampoline_kernelINS0_13select_configILj256ELj13ELNS0_17block_load_methodE3ELS4_3ELS4_3ELNS0_20block_scan_algorithmE0ELj4294967295EEENS1_25partition_config_selectorILNS1_17partition_subalgoE3EjNS0_10empty_typeEbEEZZNS1_14partition_implILS8_3ELb0ES6_jNS0_17counting_iteratorIjlEEPS9_SE_NS0_5tupleIJPjSE_EEENSF_IJSE_SE_EEES9_SG_JZNS1_25segmented_radix_sort_implINS0_14default_configELb1EPKiPiPKlPlN2at6native12_GLOBAL__N_18offset_tEEE10hipError_tPvRmT1_PNSt15iterator_traitsISY_E10value_typeET2_T3_PNSZ_IS14_E10value_typeET4_jRbjT5_S1A_jjP12ihipStream_tbEUljE_EEESV_SW_SX_S14_S18_S1A_T6_T7_T9_mT8_S1C_bDpT10_ENKUlT_T0_E_clISt17integral_constantIbLb1EES1O_IbLb0EEEEDaS1K_S1L_EUlS1K_E_NS1_11comp_targetILNS1_3genE0ELNS1_11target_archE4294967295ELNS1_3gpuE0ELNS1_3repE0EEENS1_30default_config_static_selectorELNS0_4arch9wavefront6targetE0EEEvSY_.num_named_barrier, 0
	.set _ZN7rocprim17ROCPRIM_400000_NS6detail17trampoline_kernelINS0_13select_configILj256ELj13ELNS0_17block_load_methodE3ELS4_3ELS4_3ELNS0_20block_scan_algorithmE0ELj4294967295EEENS1_25partition_config_selectorILNS1_17partition_subalgoE3EjNS0_10empty_typeEbEEZZNS1_14partition_implILS8_3ELb0ES6_jNS0_17counting_iteratorIjlEEPS9_SE_NS0_5tupleIJPjSE_EEENSF_IJSE_SE_EEES9_SG_JZNS1_25segmented_radix_sort_implINS0_14default_configELb1EPKiPiPKlPlN2at6native12_GLOBAL__N_18offset_tEEE10hipError_tPvRmT1_PNSt15iterator_traitsISY_E10value_typeET2_T3_PNSZ_IS14_E10value_typeET4_jRbjT5_S1A_jjP12ihipStream_tbEUljE_EEESV_SW_SX_S14_S18_S1A_T6_T7_T9_mT8_S1C_bDpT10_ENKUlT_T0_E_clISt17integral_constantIbLb1EES1O_IbLb0EEEEDaS1K_S1L_EUlS1K_E_NS1_11comp_targetILNS1_3genE0ELNS1_11target_archE4294967295ELNS1_3gpuE0ELNS1_3repE0EEENS1_30default_config_static_selectorELNS0_4arch9wavefront6targetE0EEEvSY_.private_seg_size, 0
	.set _ZN7rocprim17ROCPRIM_400000_NS6detail17trampoline_kernelINS0_13select_configILj256ELj13ELNS0_17block_load_methodE3ELS4_3ELS4_3ELNS0_20block_scan_algorithmE0ELj4294967295EEENS1_25partition_config_selectorILNS1_17partition_subalgoE3EjNS0_10empty_typeEbEEZZNS1_14partition_implILS8_3ELb0ES6_jNS0_17counting_iteratorIjlEEPS9_SE_NS0_5tupleIJPjSE_EEENSF_IJSE_SE_EEES9_SG_JZNS1_25segmented_radix_sort_implINS0_14default_configELb1EPKiPiPKlPlN2at6native12_GLOBAL__N_18offset_tEEE10hipError_tPvRmT1_PNSt15iterator_traitsISY_E10value_typeET2_T3_PNSZ_IS14_E10value_typeET4_jRbjT5_S1A_jjP12ihipStream_tbEUljE_EEESV_SW_SX_S14_S18_S1A_T6_T7_T9_mT8_S1C_bDpT10_ENKUlT_T0_E_clISt17integral_constantIbLb1EES1O_IbLb0EEEEDaS1K_S1L_EUlS1K_E_NS1_11comp_targetILNS1_3genE0ELNS1_11target_archE4294967295ELNS1_3gpuE0ELNS1_3repE0EEENS1_30default_config_static_selectorELNS0_4arch9wavefront6targetE0EEEvSY_.uses_vcc, 0
	.set _ZN7rocprim17ROCPRIM_400000_NS6detail17trampoline_kernelINS0_13select_configILj256ELj13ELNS0_17block_load_methodE3ELS4_3ELS4_3ELNS0_20block_scan_algorithmE0ELj4294967295EEENS1_25partition_config_selectorILNS1_17partition_subalgoE3EjNS0_10empty_typeEbEEZZNS1_14partition_implILS8_3ELb0ES6_jNS0_17counting_iteratorIjlEEPS9_SE_NS0_5tupleIJPjSE_EEENSF_IJSE_SE_EEES9_SG_JZNS1_25segmented_radix_sort_implINS0_14default_configELb1EPKiPiPKlPlN2at6native12_GLOBAL__N_18offset_tEEE10hipError_tPvRmT1_PNSt15iterator_traitsISY_E10value_typeET2_T3_PNSZ_IS14_E10value_typeET4_jRbjT5_S1A_jjP12ihipStream_tbEUljE_EEESV_SW_SX_S14_S18_S1A_T6_T7_T9_mT8_S1C_bDpT10_ENKUlT_T0_E_clISt17integral_constantIbLb1EES1O_IbLb0EEEEDaS1K_S1L_EUlS1K_E_NS1_11comp_targetILNS1_3genE0ELNS1_11target_archE4294967295ELNS1_3gpuE0ELNS1_3repE0EEENS1_30default_config_static_selectorELNS0_4arch9wavefront6targetE0EEEvSY_.uses_flat_scratch, 0
	.set _ZN7rocprim17ROCPRIM_400000_NS6detail17trampoline_kernelINS0_13select_configILj256ELj13ELNS0_17block_load_methodE3ELS4_3ELS4_3ELNS0_20block_scan_algorithmE0ELj4294967295EEENS1_25partition_config_selectorILNS1_17partition_subalgoE3EjNS0_10empty_typeEbEEZZNS1_14partition_implILS8_3ELb0ES6_jNS0_17counting_iteratorIjlEEPS9_SE_NS0_5tupleIJPjSE_EEENSF_IJSE_SE_EEES9_SG_JZNS1_25segmented_radix_sort_implINS0_14default_configELb1EPKiPiPKlPlN2at6native12_GLOBAL__N_18offset_tEEE10hipError_tPvRmT1_PNSt15iterator_traitsISY_E10value_typeET2_T3_PNSZ_IS14_E10value_typeET4_jRbjT5_S1A_jjP12ihipStream_tbEUljE_EEESV_SW_SX_S14_S18_S1A_T6_T7_T9_mT8_S1C_bDpT10_ENKUlT_T0_E_clISt17integral_constantIbLb1EES1O_IbLb0EEEEDaS1K_S1L_EUlS1K_E_NS1_11comp_targetILNS1_3genE0ELNS1_11target_archE4294967295ELNS1_3gpuE0ELNS1_3repE0EEENS1_30default_config_static_selectorELNS0_4arch9wavefront6targetE0EEEvSY_.has_dyn_sized_stack, 0
	.set _ZN7rocprim17ROCPRIM_400000_NS6detail17trampoline_kernelINS0_13select_configILj256ELj13ELNS0_17block_load_methodE3ELS4_3ELS4_3ELNS0_20block_scan_algorithmE0ELj4294967295EEENS1_25partition_config_selectorILNS1_17partition_subalgoE3EjNS0_10empty_typeEbEEZZNS1_14partition_implILS8_3ELb0ES6_jNS0_17counting_iteratorIjlEEPS9_SE_NS0_5tupleIJPjSE_EEENSF_IJSE_SE_EEES9_SG_JZNS1_25segmented_radix_sort_implINS0_14default_configELb1EPKiPiPKlPlN2at6native12_GLOBAL__N_18offset_tEEE10hipError_tPvRmT1_PNSt15iterator_traitsISY_E10value_typeET2_T3_PNSZ_IS14_E10value_typeET4_jRbjT5_S1A_jjP12ihipStream_tbEUljE_EEESV_SW_SX_S14_S18_S1A_T6_T7_T9_mT8_S1C_bDpT10_ENKUlT_T0_E_clISt17integral_constantIbLb1EES1O_IbLb0EEEEDaS1K_S1L_EUlS1K_E_NS1_11comp_targetILNS1_3genE0ELNS1_11target_archE4294967295ELNS1_3gpuE0ELNS1_3repE0EEENS1_30default_config_static_selectorELNS0_4arch9wavefront6targetE0EEEvSY_.has_recursion, 0
	.set _ZN7rocprim17ROCPRIM_400000_NS6detail17trampoline_kernelINS0_13select_configILj256ELj13ELNS0_17block_load_methodE3ELS4_3ELS4_3ELNS0_20block_scan_algorithmE0ELj4294967295EEENS1_25partition_config_selectorILNS1_17partition_subalgoE3EjNS0_10empty_typeEbEEZZNS1_14partition_implILS8_3ELb0ES6_jNS0_17counting_iteratorIjlEEPS9_SE_NS0_5tupleIJPjSE_EEENSF_IJSE_SE_EEES9_SG_JZNS1_25segmented_radix_sort_implINS0_14default_configELb1EPKiPiPKlPlN2at6native12_GLOBAL__N_18offset_tEEE10hipError_tPvRmT1_PNSt15iterator_traitsISY_E10value_typeET2_T3_PNSZ_IS14_E10value_typeET4_jRbjT5_S1A_jjP12ihipStream_tbEUljE_EEESV_SW_SX_S14_S18_S1A_T6_T7_T9_mT8_S1C_bDpT10_ENKUlT_T0_E_clISt17integral_constantIbLb1EES1O_IbLb0EEEEDaS1K_S1L_EUlS1K_E_NS1_11comp_targetILNS1_3genE0ELNS1_11target_archE4294967295ELNS1_3gpuE0ELNS1_3repE0EEENS1_30default_config_static_selectorELNS0_4arch9wavefront6targetE0EEEvSY_.has_indirect_call, 0
	.section	.AMDGPU.csdata,"",@progbits
; Kernel info:
; codeLenInByte = 0
; TotalNumSgprs: 0
; NumVgprs: 0
; ScratchSize: 0
; MemoryBound: 0
; FloatMode: 240
; IeeeMode: 1
; LDSByteSize: 0 bytes/workgroup (compile time only)
; SGPRBlocks: 0
; VGPRBlocks: 0
; NumSGPRsForWavesPerEU: 1
; NumVGPRsForWavesPerEU: 1
; Occupancy: 16
; WaveLimiterHint : 0
; COMPUTE_PGM_RSRC2:SCRATCH_EN: 0
; COMPUTE_PGM_RSRC2:USER_SGPR: 6
; COMPUTE_PGM_RSRC2:TRAP_HANDLER: 0
; COMPUTE_PGM_RSRC2:TGID_X_EN: 1
; COMPUTE_PGM_RSRC2:TGID_Y_EN: 0
; COMPUTE_PGM_RSRC2:TGID_Z_EN: 0
; COMPUTE_PGM_RSRC2:TIDIG_COMP_CNT: 0
	.section	.text._ZN7rocprim17ROCPRIM_400000_NS6detail17trampoline_kernelINS0_13select_configILj256ELj13ELNS0_17block_load_methodE3ELS4_3ELS4_3ELNS0_20block_scan_algorithmE0ELj4294967295EEENS1_25partition_config_selectorILNS1_17partition_subalgoE3EjNS0_10empty_typeEbEEZZNS1_14partition_implILS8_3ELb0ES6_jNS0_17counting_iteratorIjlEEPS9_SE_NS0_5tupleIJPjSE_EEENSF_IJSE_SE_EEES9_SG_JZNS1_25segmented_radix_sort_implINS0_14default_configELb1EPKiPiPKlPlN2at6native12_GLOBAL__N_18offset_tEEE10hipError_tPvRmT1_PNSt15iterator_traitsISY_E10value_typeET2_T3_PNSZ_IS14_E10value_typeET4_jRbjT5_S1A_jjP12ihipStream_tbEUljE_EEESV_SW_SX_S14_S18_S1A_T6_T7_T9_mT8_S1C_bDpT10_ENKUlT_T0_E_clISt17integral_constantIbLb1EES1O_IbLb0EEEEDaS1K_S1L_EUlS1K_E_NS1_11comp_targetILNS1_3genE5ELNS1_11target_archE942ELNS1_3gpuE9ELNS1_3repE0EEENS1_30default_config_static_selectorELNS0_4arch9wavefront6targetE0EEEvSY_,"axG",@progbits,_ZN7rocprim17ROCPRIM_400000_NS6detail17trampoline_kernelINS0_13select_configILj256ELj13ELNS0_17block_load_methodE3ELS4_3ELS4_3ELNS0_20block_scan_algorithmE0ELj4294967295EEENS1_25partition_config_selectorILNS1_17partition_subalgoE3EjNS0_10empty_typeEbEEZZNS1_14partition_implILS8_3ELb0ES6_jNS0_17counting_iteratorIjlEEPS9_SE_NS0_5tupleIJPjSE_EEENSF_IJSE_SE_EEES9_SG_JZNS1_25segmented_radix_sort_implINS0_14default_configELb1EPKiPiPKlPlN2at6native12_GLOBAL__N_18offset_tEEE10hipError_tPvRmT1_PNSt15iterator_traitsISY_E10value_typeET2_T3_PNSZ_IS14_E10value_typeET4_jRbjT5_S1A_jjP12ihipStream_tbEUljE_EEESV_SW_SX_S14_S18_S1A_T6_T7_T9_mT8_S1C_bDpT10_ENKUlT_T0_E_clISt17integral_constantIbLb1EES1O_IbLb0EEEEDaS1K_S1L_EUlS1K_E_NS1_11comp_targetILNS1_3genE5ELNS1_11target_archE942ELNS1_3gpuE9ELNS1_3repE0EEENS1_30default_config_static_selectorELNS0_4arch9wavefront6targetE0EEEvSY_,comdat
	.globl	_ZN7rocprim17ROCPRIM_400000_NS6detail17trampoline_kernelINS0_13select_configILj256ELj13ELNS0_17block_load_methodE3ELS4_3ELS4_3ELNS0_20block_scan_algorithmE0ELj4294967295EEENS1_25partition_config_selectorILNS1_17partition_subalgoE3EjNS0_10empty_typeEbEEZZNS1_14partition_implILS8_3ELb0ES6_jNS0_17counting_iteratorIjlEEPS9_SE_NS0_5tupleIJPjSE_EEENSF_IJSE_SE_EEES9_SG_JZNS1_25segmented_radix_sort_implINS0_14default_configELb1EPKiPiPKlPlN2at6native12_GLOBAL__N_18offset_tEEE10hipError_tPvRmT1_PNSt15iterator_traitsISY_E10value_typeET2_T3_PNSZ_IS14_E10value_typeET4_jRbjT5_S1A_jjP12ihipStream_tbEUljE_EEESV_SW_SX_S14_S18_S1A_T6_T7_T9_mT8_S1C_bDpT10_ENKUlT_T0_E_clISt17integral_constantIbLb1EES1O_IbLb0EEEEDaS1K_S1L_EUlS1K_E_NS1_11comp_targetILNS1_3genE5ELNS1_11target_archE942ELNS1_3gpuE9ELNS1_3repE0EEENS1_30default_config_static_selectorELNS0_4arch9wavefront6targetE0EEEvSY_ ; -- Begin function _ZN7rocprim17ROCPRIM_400000_NS6detail17trampoline_kernelINS0_13select_configILj256ELj13ELNS0_17block_load_methodE3ELS4_3ELS4_3ELNS0_20block_scan_algorithmE0ELj4294967295EEENS1_25partition_config_selectorILNS1_17partition_subalgoE3EjNS0_10empty_typeEbEEZZNS1_14partition_implILS8_3ELb0ES6_jNS0_17counting_iteratorIjlEEPS9_SE_NS0_5tupleIJPjSE_EEENSF_IJSE_SE_EEES9_SG_JZNS1_25segmented_radix_sort_implINS0_14default_configELb1EPKiPiPKlPlN2at6native12_GLOBAL__N_18offset_tEEE10hipError_tPvRmT1_PNSt15iterator_traitsISY_E10value_typeET2_T3_PNSZ_IS14_E10value_typeET4_jRbjT5_S1A_jjP12ihipStream_tbEUljE_EEESV_SW_SX_S14_S18_S1A_T6_T7_T9_mT8_S1C_bDpT10_ENKUlT_T0_E_clISt17integral_constantIbLb1EES1O_IbLb0EEEEDaS1K_S1L_EUlS1K_E_NS1_11comp_targetILNS1_3genE5ELNS1_11target_archE942ELNS1_3gpuE9ELNS1_3repE0EEENS1_30default_config_static_selectorELNS0_4arch9wavefront6targetE0EEEvSY_
	.p2align	8
	.type	_ZN7rocprim17ROCPRIM_400000_NS6detail17trampoline_kernelINS0_13select_configILj256ELj13ELNS0_17block_load_methodE3ELS4_3ELS4_3ELNS0_20block_scan_algorithmE0ELj4294967295EEENS1_25partition_config_selectorILNS1_17partition_subalgoE3EjNS0_10empty_typeEbEEZZNS1_14partition_implILS8_3ELb0ES6_jNS0_17counting_iteratorIjlEEPS9_SE_NS0_5tupleIJPjSE_EEENSF_IJSE_SE_EEES9_SG_JZNS1_25segmented_radix_sort_implINS0_14default_configELb1EPKiPiPKlPlN2at6native12_GLOBAL__N_18offset_tEEE10hipError_tPvRmT1_PNSt15iterator_traitsISY_E10value_typeET2_T3_PNSZ_IS14_E10value_typeET4_jRbjT5_S1A_jjP12ihipStream_tbEUljE_EEESV_SW_SX_S14_S18_S1A_T6_T7_T9_mT8_S1C_bDpT10_ENKUlT_T0_E_clISt17integral_constantIbLb1EES1O_IbLb0EEEEDaS1K_S1L_EUlS1K_E_NS1_11comp_targetILNS1_3genE5ELNS1_11target_archE942ELNS1_3gpuE9ELNS1_3repE0EEENS1_30default_config_static_selectorELNS0_4arch9wavefront6targetE0EEEvSY_,@function
_ZN7rocprim17ROCPRIM_400000_NS6detail17trampoline_kernelINS0_13select_configILj256ELj13ELNS0_17block_load_methodE3ELS4_3ELS4_3ELNS0_20block_scan_algorithmE0ELj4294967295EEENS1_25partition_config_selectorILNS1_17partition_subalgoE3EjNS0_10empty_typeEbEEZZNS1_14partition_implILS8_3ELb0ES6_jNS0_17counting_iteratorIjlEEPS9_SE_NS0_5tupleIJPjSE_EEENSF_IJSE_SE_EEES9_SG_JZNS1_25segmented_radix_sort_implINS0_14default_configELb1EPKiPiPKlPlN2at6native12_GLOBAL__N_18offset_tEEE10hipError_tPvRmT1_PNSt15iterator_traitsISY_E10value_typeET2_T3_PNSZ_IS14_E10value_typeET4_jRbjT5_S1A_jjP12ihipStream_tbEUljE_EEESV_SW_SX_S14_S18_S1A_T6_T7_T9_mT8_S1C_bDpT10_ENKUlT_T0_E_clISt17integral_constantIbLb1EES1O_IbLb0EEEEDaS1K_S1L_EUlS1K_E_NS1_11comp_targetILNS1_3genE5ELNS1_11target_archE942ELNS1_3gpuE9ELNS1_3repE0EEENS1_30default_config_static_selectorELNS0_4arch9wavefront6targetE0EEEvSY_: ; @_ZN7rocprim17ROCPRIM_400000_NS6detail17trampoline_kernelINS0_13select_configILj256ELj13ELNS0_17block_load_methodE3ELS4_3ELS4_3ELNS0_20block_scan_algorithmE0ELj4294967295EEENS1_25partition_config_selectorILNS1_17partition_subalgoE3EjNS0_10empty_typeEbEEZZNS1_14partition_implILS8_3ELb0ES6_jNS0_17counting_iteratorIjlEEPS9_SE_NS0_5tupleIJPjSE_EEENSF_IJSE_SE_EEES9_SG_JZNS1_25segmented_radix_sort_implINS0_14default_configELb1EPKiPiPKlPlN2at6native12_GLOBAL__N_18offset_tEEE10hipError_tPvRmT1_PNSt15iterator_traitsISY_E10value_typeET2_T3_PNSZ_IS14_E10value_typeET4_jRbjT5_S1A_jjP12ihipStream_tbEUljE_EEESV_SW_SX_S14_S18_S1A_T6_T7_T9_mT8_S1C_bDpT10_ENKUlT_T0_E_clISt17integral_constantIbLb1EES1O_IbLb0EEEEDaS1K_S1L_EUlS1K_E_NS1_11comp_targetILNS1_3genE5ELNS1_11target_archE942ELNS1_3gpuE9ELNS1_3repE0EEENS1_30default_config_static_selectorELNS0_4arch9wavefront6targetE0EEEvSY_
; %bb.0:
	.section	.rodata,"a",@progbits
	.p2align	6, 0x0
	.amdhsa_kernel _ZN7rocprim17ROCPRIM_400000_NS6detail17trampoline_kernelINS0_13select_configILj256ELj13ELNS0_17block_load_methodE3ELS4_3ELS4_3ELNS0_20block_scan_algorithmE0ELj4294967295EEENS1_25partition_config_selectorILNS1_17partition_subalgoE3EjNS0_10empty_typeEbEEZZNS1_14partition_implILS8_3ELb0ES6_jNS0_17counting_iteratorIjlEEPS9_SE_NS0_5tupleIJPjSE_EEENSF_IJSE_SE_EEES9_SG_JZNS1_25segmented_radix_sort_implINS0_14default_configELb1EPKiPiPKlPlN2at6native12_GLOBAL__N_18offset_tEEE10hipError_tPvRmT1_PNSt15iterator_traitsISY_E10value_typeET2_T3_PNSZ_IS14_E10value_typeET4_jRbjT5_S1A_jjP12ihipStream_tbEUljE_EEESV_SW_SX_S14_S18_S1A_T6_T7_T9_mT8_S1C_bDpT10_ENKUlT_T0_E_clISt17integral_constantIbLb1EES1O_IbLb0EEEEDaS1K_S1L_EUlS1K_E_NS1_11comp_targetILNS1_3genE5ELNS1_11target_archE942ELNS1_3gpuE9ELNS1_3repE0EEENS1_30default_config_static_selectorELNS0_4arch9wavefront6targetE0EEEvSY_
		.amdhsa_group_segment_fixed_size 0
		.amdhsa_private_segment_fixed_size 0
		.amdhsa_kernarg_size 144
		.amdhsa_user_sgpr_count 6
		.amdhsa_user_sgpr_private_segment_buffer 1
		.amdhsa_user_sgpr_dispatch_ptr 0
		.amdhsa_user_sgpr_queue_ptr 0
		.amdhsa_user_sgpr_kernarg_segment_ptr 1
		.amdhsa_user_sgpr_dispatch_id 0
		.amdhsa_user_sgpr_flat_scratch_init 0
		.amdhsa_user_sgpr_private_segment_size 0
		.amdhsa_wavefront_size32 1
		.amdhsa_uses_dynamic_stack 0
		.amdhsa_system_sgpr_private_segment_wavefront_offset 0
		.amdhsa_system_sgpr_workgroup_id_x 1
		.amdhsa_system_sgpr_workgroup_id_y 0
		.amdhsa_system_sgpr_workgroup_id_z 0
		.amdhsa_system_sgpr_workgroup_info 0
		.amdhsa_system_vgpr_workitem_id 0
		.amdhsa_next_free_vgpr 1
		.amdhsa_next_free_sgpr 1
		.amdhsa_reserve_vcc 0
		.amdhsa_reserve_flat_scratch 0
		.amdhsa_float_round_mode_32 0
		.amdhsa_float_round_mode_16_64 0
		.amdhsa_float_denorm_mode_32 3
		.amdhsa_float_denorm_mode_16_64 3
		.amdhsa_dx10_clamp 1
		.amdhsa_ieee_mode 1
		.amdhsa_fp16_overflow 0
		.amdhsa_workgroup_processor_mode 1
		.amdhsa_memory_ordered 1
		.amdhsa_forward_progress 1
		.amdhsa_shared_vgpr_count 0
		.amdhsa_exception_fp_ieee_invalid_op 0
		.amdhsa_exception_fp_denorm_src 0
		.amdhsa_exception_fp_ieee_div_zero 0
		.amdhsa_exception_fp_ieee_overflow 0
		.amdhsa_exception_fp_ieee_underflow 0
		.amdhsa_exception_fp_ieee_inexact 0
		.amdhsa_exception_int_div_zero 0
	.end_amdhsa_kernel
	.section	.text._ZN7rocprim17ROCPRIM_400000_NS6detail17trampoline_kernelINS0_13select_configILj256ELj13ELNS0_17block_load_methodE3ELS4_3ELS4_3ELNS0_20block_scan_algorithmE0ELj4294967295EEENS1_25partition_config_selectorILNS1_17partition_subalgoE3EjNS0_10empty_typeEbEEZZNS1_14partition_implILS8_3ELb0ES6_jNS0_17counting_iteratorIjlEEPS9_SE_NS0_5tupleIJPjSE_EEENSF_IJSE_SE_EEES9_SG_JZNS1_25segmented_radix_sort_implINS0_14default_configELb1EPKiPiPKlPlN2at6native12_GLOBAL__N_18offset_tEEE10hipError_tPvRmT1_PNSt15iterator_traitsISY_E10value_typeET2_T3_PNSZ_IS14_E10value_typeET4_jRbjT5_S1A_jjP12ihipStream_tbEUljE_EEESV_SW_SX_S14_S18_S1A_T6_T7_T9_mT8_S1C_bDpT10_ENKUlT_T0_E_clISt17integral_constantIbLb1EES1O_IbLb0EEEEDaS1K_S1L_EUlS1K_E_NS1_11comp_targetILNS1_3genE5ELNS1_11target_archE942ELNS1_3gpuE9ELNS1_3repE0EEENS1_30default_config_static_selectorELNS0_4arch9wavefront6targetE0EEEvSY_,"axG",@progbits,_ZN7rocprim17ROCPRIM_400000_NS6detail17trampoline_kernelINS0_13select_configILj256ELj13ELNS0_17block_load_methodE3ELS4_3ELS4_3ELNS0_20block_scan_algorithmE0ELj4294967295EEENS1_25partition_config_selectorILNS1_17partition_subalgoE3EjNS0_10empty_typeEbEEZZNS1_14partition_implILS8_3ELb0ES6_jNS0_17counting_iteratorIjlEEPS9_SE_NS0_5tupleIJPjSE_EEENSF_IJSE_SE_EEES9_SG_JZNS1_25segmented_radix_sort_implINS0_14default_configELb1EPKiPiPKlPlN2at6native12_GLOBAL__N_18offset_tEEE10hipError_tPvRmT1_PNSt15iterator_traitsISY_E10value_typeET2_T3_PNSZ_IS14_E10value_typeET4_jRbjT5_S1A_jjP12ihipStream_tbEUljE_EEESV_SW_SX_S14_S18_S1A_T6_T7_T9_mT8_S1C_bDpT10_ENKUlT_T0_E_clISt17integral_constantIbLb1EES1O_IbLb0EEEEDaS1K_S1L_EUlS1K_E_NS1_11comp_targetILNS1_3genE5ELNS1_11target_archE942ELNS1_3gpuE9ELNS1_3repE0EEENS1_30default_config_static_selectorELNS0_4arch9wavefront6targetE0EEEvSY_,comdat
.Lfunc_end478:
	.size	_ZN7rocprim17ROCPRIM_400000_NS6detail17trampoline_kernelINS0_13select_configILj256ELj13ELNS0_17block_load_methodE3ELS4_3ELS4_3ELNS0_20block_scan_algorithmE0ELj4294967295EEENS1_25partition_config_selectorILNS1_17partition_subalgoE3EjNS0_10empty_typeEbEEZZNS1_14partition_implILS8_3ELb0ES6_jNS0_17counting_iteratorIjlEEPS9_SE_NS0_5tupleIJPjSE_EEENSF_IJSE_SE_EEES9_SG_JZNS1_25segmented_radix_sort_implINS0_14default_configELb1EPKiPiPKlPlN2at6native12_GLOBAL__N_18offset_tEEE10hipError_tPvRmT1_PNSt15iterator_traitsISY_E10value_typeET2_T3_PNSZ_IS14_E10value_typeET4_jRbjT5_S1A_jjP12ihipStream_tbEUljE_EEESV_SW_SX_S14_S18_S1A_T6_T7_T9_mT8_S1C_bDpT10_ENKUlT_T0_E_clISt17integral_constantIbLb1EES1O_IbLb0EEEEDaS1K_S1L_EUlS1K_E_NS1_11comp_targetILNS1_3genE5ELNS1_11target_archE942ELNS1_3gpuE9ELNS1_3repE0EEENS1_30default_config_static_selectorELNS0_4arch9wavefront6targetE0EEEvSY_, .Lfunc_end478-_ZN7rocprim17ROCPRIM_400000_NS6detail17trampoline_kernelINS0_13select_configILj256ELj13ELNS0_17block_load_methodE3ELS4_3ELS4_3ELNS0_20block_scan_algorithmE0ELj4294967295EEENS1_25partition_config_selectorILNS1_17partition_subalgoE3EjNS0_10empty_typeEbEEZZNS1_14partition_implILS8_3ELb0ES6_jNS0_17counting_iteratorIjlEEPS9_SE_NS0_5tupleIJPjSE_EEENSF_IJSE_SE_EEES9_SG_JZNS1_25segmented_radix_sort_implINS0_14default_configELb1EPKiPiPKlPlN2at6native12_GLOBAL__N_18offset_tEEE10hipError_tPvRmT1_PNSt15iterator_traitsISY_E10value_typeET2_T3_PNSZ_IS14_E10value_typeET4_jRbjT5_S1A_jjP12ihipStream_tbEUljE_EEESV_SW_SX_S14_S18_S1A_T6_T7_T9_mT8_S1C_bDpT10_ENKUlT_T0_E_clISt17integral_constantIbLb1EES1O_IbLb0EEEEDaS1K_S1L_EUlS1K_E_NS1_11comp_targetILNS1_3genE5ELNS1_11target_archE942ELNS1_3gpuE9ELNS1_3repE0EEENS1_30default_config_static_selectorELNS0_4arch9wavefront6targetE0EEEvSY_
                                        ; -- End function
	.set _ZN7rocprim17ROCPRIM_400000_NS6detail17trampoline_kernelINS0_13select_configILj256ELj13ELNS0_17block_load_methodE3ELS4_3ELS4_3ELNS0_20block_scan_algorithmE0ELj4294967295EEENS1_25partition_config_selectorILNS1_17partition_subalgoE3EjNS0_10empty_typeEbEEZZNS1_14partition_implILS8_3ELb0ES6_jNS0_17counting_iteratorIjlEEPS9_SE_NS0_5tupleIJPjSE_EEENSF_IJSE_SE_EEES9_SG_JZNS1_25segmented_radix_sort_implINS0_14default_configELb1EPKiPiPKlPlN2at6native12_GLOBAL__N_18offset_tEEE10hipError_tPvRmT1_PNSt15iterator_traitsISY_E10value_typeET2_T3_PNSZ_IS14_E10value_typeET4_jRbjT5_S1A_jjP12ihipStream_tbEUljE_EEESV_SW_SX_S14_S18_S1A_T6_T7_T9_mT8_S1C_bDpT10_ENKUlT_T0_E_clISt17integral_constantIbLb1EES1O_IbLb0EEEEDaS1K_S1L_EUlS1K_E_NS1_11comp_targetILNS1_3genE5ELNS1_11target_archE942ELNS1_3gpuE9ELNS1_3repE0EEENS1_30default_config_static_selectorELNS0_4arch9wavefront6targetE0EEEvSY_.num_vgpr, 0
	.set _ZN7rocprim17ROCPRIM_400000_NS6detail17trampoline_kernelINS0_13select_configILj256ELj13ELNS0_17block_load_methodE3ELS4_3ELS4_3ELNS0_20block_scan_algorithmE0ELj4294967295EEENS1_25partition_config_selectorILNS1_17partition_subalgoE3EjNS0_10empty_typeEbEEZZNS1_14partition_implILS8_3ELb0ES6_jNS0_17counting_iteratorIjlEEPS9_SE_NS0_5tupleIJPjSE_EEENSF_IJSE_SE_EEES9_SG_JZNS1_25segmented_radix_sort_implINS0_14default_configELb1EPKiPiPKlPlN2at6native12_GLOBAL__N_18offset_tEEE10hipError_tPvRmT1_PNSt15iterator_traitsISY_E10value_typeET2_T3_PNSZ_IS14_E10value_typeET4_jRbjT5_S1A_jjP12ihipStream_tbEUljE_EEESV_SW_SX_S14_S18_S1A_T6_T7_T9_mT8_S1C_bDpT10_ENKUlT_T0_E_clISt17integral_constantIbLb1EES1O_IbLb0EEEEDaS1K_S1L_EUlS1K_E_NS1_11comp_targetILNS1_3genE5ELNS1_11target_archE942ELNS1_3gpuE9ELNS1_3repE0EEENS1_30default_config_static_selectorELNS0_4arch9wavefront6targetE0EEEvSY_.num_agpr, 0
	.set _ZN7rocprim17ROCPRIM_400000_NS6detail17trampoline_kernelINS0_13select_configILj256ELj13ELNS0_17block_load_methodE3ELS4_3ELS4_3ELNS0_20block_scan_algorithmE0ELj4294967295EEENS1_25partition_config_selectorILNS1_17partition_subalgoE3EjNS0_10empty_typeEbEEZZNS1_14partition_implILS8_3ELb0ES6_jNS0_17counting_iteratorIjlEEPS9_SE_NS0_5tupleIJPjSE_EEENSF_IJSE_SE_EEES9_SG_JZNS1_25segmented_radix_sort_implINS0_14default_configELb1EPKiPiPKlPlN2at6native12_GLOBAL__N_18offset_tEEE10hipError_tPvRmT1_PNSt15iterator_traitsISY_E10value_typeET2_T3_PNSZ_IS14_E10value_typeET4_jRbjT5_S1A_jjP12ihipStream_tbEUljE_EEESV_SW_SX_S14_S18_S1A_T6_T7_T9_mT8_S1C_bDpT10_ENKUlT_T0_E_clISt17integral_constantIbLb1EES1O_IbLb0EEEEDaS1K_S1L_EUlS1K_E_NS1_11comp_targetILNS1_3genE5ELNS1_11target_archE942ELNS1_3gpuE9ELNS1_3repE0EEENS1_30default_config_static_selectorELNS0_4arch9wavefront6targetE0EEEvSY_.numbered_sgpr, 0
	.set _ZN7rocprim17ROCPRIM_400000_NS6detail17trampoline_kernelINS0_13select_configILj256ELj13ELNS0_17block_load_methodE3ELS4_3ELS4_3ELNS0_20block_scan_algorithmE0ELj4294967295EEENS1_25partition_config_selectorILNS1_17partition_subalgoE3EjNS0_10empty_typeEbEEZZNS1_14partition_implILS8_3ELb0ES6_jNS0_17counting_iteratorIjlEEPS9_SE_NS0_5tupleIJPjSE_EEENSF_IJSE_SE_EEES9_SG_JZNS1_25segmented_radix_sort_implINS0_14default_configELb1EPKiPiPKlPlN2at6native12_GLOBAL__N_18offset_tEEE10hipError_tPvRmT1_PNSt15iterator_traitsISY_E10value_typeET2_T3_PNSZ_IS14_E10value_typeET4_jRbjT5_S1A_jjP12ihipStream_tbEUljE_EEESV_SW_SX_S14_S18_S1A_T6_T7_T9_mT8_S1C_bDpT10_ENKUlT_T0_E_clISt17integral_constantIbLb1EES1O_IbLb0EEEEDaS1K_S1L_EUlS1K_E_NS1_11comp_targetILNS1_3genE5ELNS1_11target_archE942ELNS1_3gpuE9ELNS1_3repE0EEENS1_30default_config_static_selectorELNS0_4arch9wavefront6targetE0EEEvSY_.num_named_barrier, 0
	.set _ZN7rocprim17ROCPRIM_400000_NS6detail17trampoline_kernelINS0_13select_configILj256ELj13ELNS0_17block_load_methodE3ELS4_3ELS4_3ELNS0_20block_scan_algorithmE0ELj4294967295EEENS1_25partition_config_selectorILNS1_17partition_subalgoE3EjNS0_10empty_typeEbEEZZNS1_14partition_implILS8_3ELb0ES6_jNS0_17counting_iteratorIjlEEPS9_SE_NS0_5tupleIJPjSE_EEENSF_IJSE_SE_EEES9_SG_JZNS1_25segmented_radix_sort_implINS0_14default_configELb1EPKiPiPKlPlN2at6native12_GLOBAL__N_18offset_tEEE10hipError_tPvRmT1_PNSt15iterator_traitsISY_E10value_typeET2_T3_PNSZ_IS14_E10value_typeET4_jRbjT5_S1A_jjP12ihipStream_tbEUljE_EEESV_SW_SX_S14_S18_S1A_T6_T7_T9_mT8_S1C_bDpT10_ENKUlT_T0_E_clISt17integral_constantIbLb1EES1O_IbLb0EEEEDaS1K_S1L_EUlS1K_E_NS1_11comp_targetILNS1_3genE5ELNS1_11target_archE942ELNS1_3gpuE9ELNS1_3repE0EEENS1_30default_config_static_selectorELNS0_4arch9wavefront6targetE0EEEvSY_.private_seg_size, 0
	.set _ZN7rocprim17ROCPRIM_400000_NS6detail17trampoline_kernelINS0_13select_configILj256ELj13ELNS0_17block_load_methodE3ELS4_3ELS4_3ELNS0_20block_scan_algorithmE0ELj4294967295EEENS1_25partition_config_selectorILNS1_17partition_subalgoE3EjNS0_10empty_typeEbEEZZNS1_14partition_implILS8_3ELb0ES6_jNS0_17counting_iteratorIjlEEPS9_SE_NS0_5tupleIJPjSE_EEENSF_IJSE_SE_EEES9_SG_JZNS1_25segmented_radix_sort_implINS0_14default_configELb1EPKiPiPKlPlN2at6native12_GLOBAL__N_18offset_tEEE10hipError_tPvRmT1_PNSt15iterator_traitsISY_E10value_typeET2_T3_PNSZ_IS14_E10value_typeET4_jRbjT5_S1A_jjP12ihipStream_tbEUljE_EEESV_SW_SX_S14_S18_S1A_T6_T7_T9_mT8_S1C_bDpT10_ENKUlT_T0_E_clISt17integral_constantIbLb1EES1O_IbLb0EEEEDaS1K_S1L_EUlS1K_E_NS1_11comp_targetILNS1_3genE5ELNS1_11target_archE942ELNS1_3gpuE9ELNS1_3repE0EEENS1_30default_config_static_selectorELNS0_4arch9wavefront6targetE0EEEvSY_.uses_vcc, 0
	.set _ZN7rocprim17ROCPRIM_400000_NS6detail17trampoline_kernelINS0_13select_configILj256ELj13ELNS0_17block_load_methodE3ELS4_3ELS4_3ELNS0_20block_scan_algorithmE0ELj4294967295EEENS1_25partition_config_selectorILNS1_17partition_subalgoE3EjNS0_10empty_typeEbEEZZNS1_14partition_implILS8_3ELb0ES6_jNS0_17counting_iteratorIjlEEPS9_SE_NS0_5tupleIJPjSE_EEENSF_IJSE_SE_EEES9_SG_JZNS1_25segmented_radix_sort_implINS0_14default_configELb1EPKiPiPKlPlN2at6native12_GLOBAL__N_18offset_tEEE10hipError_tPvRmT1_PNSt15iterator_traitsISY_E10value_typeET2_T3_PNSZ_IS14_E10value_typeET4_jRbjT5_S1A_jjP12ihipStream_tbEUljE_EEESV_SW_SX_S14_S18_S1A_T6_T7_T9_mT8_S1C_bDpT10_ENKUlT_T0_E_clISt17integral_constantIbLb1EES1O_IbLb0EEEEDaS1K_S1L_EUlS1K_E_NS1_11comp_targetILNS1_3genE5ELNS1_11target_archE942ELNS1_3gpuE9ELNS1_3repE0EEENS1_30default_config_static_selectorELNS0_4arch9wavefront6targetE0EEEvSY_.uses_flat_scratch, 0
	.set _ZN7rocprim17ROCPRIM_400000_NS6detail17trampoline_kernelINS0_13select_configILj256ELj13ELNS0_17block_load_methodE3ELS4_3ELS4_3ELNS0_20block_scan_algorithmE0ELj4294967295EEENS1_25partition_config_selectorILNS1_17partition_subalgoE3EjNS0_10empty_typeEbEEZZNS1_14partition_implILS8_3ELb0ES6_jNS0_17counting_iteratorIjlEEPS9_SE_NS0_5tupleIJPjSE_EEENSF_IJSE_SE_EEES9_SG_JZNS1_25segmented_radix_sort_implINS0_14default_configELb1EPKiPiPKlPlN2at6native12_GLOBAL__N_18offset_tEEE10hipError_tPvRmT1_PNSt15iterator_traitsISY_E10value_typeET2_T3_PNSZ_IS14_E10value_typeET4_jRbjT5_S1A_jjP12ihipStream_tbEUljE_EEESV_SW_SX_S14_S18_S1A_T6_T7_T9_mT8_S1C_bDpT10_ENKUlT_T0_E_clISt17integral_constantIbLb1EES1O_IbLb0EEEEDaS1K_S1L_EUlS1K_E_NS1_11comp_targetILNS1_3genE5ELNS1_11target_archE942ELNS1_3gpuE9ELNS1_3repE0EEENS1_30default_config_static_selectorELNS0_4arch9wavefront6targetE0EEEvSY_.has_dyn_sized_stack, 0
	.set _ZN7rocprim17ROCPRIM_400000_NS6detail17trampoline_kernelINS0_13select_configILj256ELj13ELNS0_17block_load_methodE3ELS4_3ELS4_3ELNS0_20block_scan_algorithmE0ELj4294967295EEENS1_25partition_config_selectorILNS1_17partition_subalgoE3EjNS0_10empty_typeEbEEZZNS1_14partition_implILS8_3ELb0ES6_jNS0_17counting_iteratorIjlEEPS9_SE_NS0_5tupleIJPjSE_EEENSF_IJSE_SE_EEES9_SG_JZNS1_25segmented_radix_sort_implINS0_14default_configELb1EPKiPiPKlPlN2at6native12_GLOBAL__N_18offset_tEEE10hipError_tPvRmT1_PNSt15iterator_traitsISY_E10value_typeET2_T3_PNSZ_IS14_E10value_typeET4_jRbjT5_S1A_jjP12ihipStream_tbEUljE_EEESV_SW_SX_S14_S18_S1A_T6_T7_T9_mT8_S1C_bDpT10_ENKUlT_T0_E_clISt17integral_constantIbLb1EES1O_IbLb0EEEEDaS1K_S1L_EUlS1K_E_NS1_11comp_targetILNS1_3genE5ELNS1_11target_archE942ELNS1_3gpuE9ELNS1_3repE0EEENS1_30default_config_static_selectorELNS0_4arch9wavefront6targetE0EEEvSY_.has_recursion, 0
	.set _ZN7rocprim17ROCPRIM_400000_NS6detail17trampoline_kernelINS0_13select_configILj256ELj13ELNS0_17block_load_methodE3ELS4_3ELS4_3ELNS0_20block_scan_algorithmE0ELj4294967295EEENS1_25partition_config_selectorILNS1_17partition_subalgoE3EjNS0_10empty_typeEbEEZZNS1_14partition_implILS8_3ELb0ES6_jNS0_17counting_iteratorIjlEEPS9_SE_NS0_5tupleIJPjSE_EEENSF_IJSE_SE_EEES9_SG_JZNS1_25segmented_radix_sort_implINS0_14default_configELb1EPKiPiPKlPlN2at6native12_GLOBAL__N_18offset_tEEE10hipError_tPvRmT1_PNSt15iterator_traitsISY_E10value_typeET2_T3_PNSZ_IS14_E10value_typeET4_jRbjT5_S1A_jjP12ihipStream_tbEUljE_EEESV_SW_SX_S14_S18_S1A_T6_T7_T9_mT8_S1C_bDpT10_ENKUlT_T0_E_clISt17integral_constantIbLb1EES1O_IbLb0EEEEDaS1K_S1L_EUlS1K_E_NS1_11comp_targetILNS1_3genE5ELNS1_11target_archE942ELNS1_3gpuE9ELNS1_3repE0EEENS1_30default_config_static_selectorELNS0_4arch9wavefront6targetE0EEEvSY_.has_indirect_call, 0
	.section	.AMDGPU.csdata,"",@progbits
; Kernel info:
; codeLenInByte = 0
; TotalNumSgprs: 0
; NumVgprs: 0
; ScratchSize: 0
; MemoryBound: 0
; FloatMode: 240
; IeeeMode: 1
; LDSByteSize: 0 bytes/workgroup (compile time only)
; SGPRBlocks: 0
; VGPRBlocks: 0
; NumSGPRsForWavesPerEU: 1
; NumVGPRsForWavesPerEU: 1
; Occupancy: 16
; WaveLimiterHint : 0
; COMPUTE_PGM_RSRC2:SCRATCH_EN: 0
; COMPUTE_PGM_RSRC2:USER_SGPR: 6
; COMPUTE_PGM_RSRC2:TRAP_HANDLER: 0
; COMPUTE_PGM_RSRC2:TGID_X_EN: 1
; COMPUTE_PGM_RSRC2:TGID_Y_EN: 0
; COMPUTE_PGM_RSRC2:TGID_Z_EN: 0
; COMPUTE_PGM_RSRC2:TIDIG_COMP_CNT: 0
	.section	.text._ZN7rocprim17ROCPRIM_400000_NS6detail17trampoline_kernelINS0_13select_configILj256ELj13ELNS0_17block_load_methodE3ELS4_3ELS4_3ELNS0_20block_scan_algorithmE0ELj4294967295EEENS1_25partition_config_selectorILNS1_17partition_subalgoE3EjNS0_10empty_typeEbEEZZNS1_14partition_implILS8_3ELb0ES6_jNS0_17counting_iteratorIjlEEPS9_SE_NS0_5tupleIJPjSE_EEENSF_IJSE_SE_EEES9_SG_JZNS1_25segmented_radix_sort_implINS0_14default_configELb1EPKiPiPKlPlN2at6native12_GLOBAL__N_18offset_tEEE10hipError_tPvRmT1_PNSt15iterator_traitsISY_E10value_typeET2_T3_PNSZ_IS14_E10value_typeET4_jRbjT5_S1A_jjP12ihipStream_tbEUljE_EEESV_SW_SX_S14_S18_S1A_T6_T7_T9_mT8_S1C_bDpT10_ENKUlT_T0_E_clISt17integral_constantIbLb1EES1O_IbLb0EEEEDaS1K_S1L_EUlS1K_E_NS1_11comp_targetILNS1_3genE4ELNS1_11target_archE910ELNS1_3gpuE8ELNS1_3repE0EEENS1_30default_config_static_selectorELNS0_4arch9wavefront6targetE0EEEvSY_,"axG",@progbits,_ZN7rocprim17ROCPRIM_400000_NS6detail17trampoline_kernelINS0_13select_configILj256ELj13ELNS0_17block_load_methodE3ELS4_3ELS4_3ELNS0_20block_scan_algorithmE0ELj4294967295EEENS1_25partition_config_selectorILNS1_17partition_subalgoE3EjNS0_10empty_typeEbEEZZNS1_14partition_implILS8_3ELb0ES6_jNS0_17counting_iteratorIjlEEPS9_SE_NS0_5tupleIJPjSE_EEENSF_IJSE_SE_EEES9_SG_JZNS1_25segmented_radix_sort_implINS0_14default_configELb1EPKiPiPKlPlN2at6native12_GLOBAL__N_18offset_tEEE10hipError_tPvRmT1_PNSt15iterator_traitsISY_E10value_typeET2_T3_PNSZ_IS14_E10value_typeET4_jRbjT5_S1A_jjP12ihipStream_tbEUljE_EEESV_SW_SX_S14_S18_S1A_T6_T7_T9_mT8_S1C_bDpT10_ENKUlT_T0_E_clISt17integral_constantIbLb1EES1O_IbLb0EEEEDaS1K_S1L_EUlS1K_E_NS1_11comp_targetILNS1_3genE4ELNS1_11target_archE910ELNS1_3gpuE8ELNS1_3repE0EEENS1_30default_config_static_selectorELNS0_4arch9wavefront6targetE0EEEvSY_,comdat
	.globl	_ZN7rocprim17ROCPRIM_400000_NS6detail17trampoline_kernelINS0_13select_configILj256ELj13ELNS0_17block_load_methodE3ELS4_3ELS4_3ELNS0_20block_scan_algorithmE0ELj4294967295EEENS1_25partition_config_selectorILNS1_17partition_subalgoE3EjNS0_10empty_typeEbEEZZNS1_14partition_implILS8_3ELb0ES6_jNS0_17counting_iteratorIjlEEPS9_SE_NS0_5tupleIJPjSE_EEENSF_IJSE_SE_EEES9_SG_JZNS1_25segmented_radix_sort_implINS0_14default_configELb1EPKiPiPKlPlN2at6native12_GLOBAL__N_18offset_tEEE10hipError_tPvRmT1_PNSt15iterator_traitsISY_E10value_typeET2_T3_PNSZ_IS14_E10value_typeET4_jRbjT5_S1A_jjP12ihipStream_tbEUljE_EEESV_SW_SX_S14_S18_S1A_T6_T7_T9_mT8_S1C_bDpT10_ENKUlT_T0_E_clISt17integral_constantIbLb1EES1O_IbLb0EEEEDaS1K_S1L_EUlS1K_E_NS1_11comp_targetILNS1_3genE4ELNS1_11target_archE910ELNS1_3gpuE8ELNS1_3repE0EEENS1_30default_config_static_selectorELNS0_4arch9wavefront6targetE0EEEvSY_ ; -- Begin function _ZN7rocprim17ROCPRIM_400000_NS6detail17trampoline_kernelINS0_13select_configILj256ELj13ELNS0_17block_load_methodE3ELS4_3ELS4_3ELNS0_20block_scan_algorithmE0ELj4294967295EEENS1_25partition_config_selectorILNS1_17partition_subalgoE3EjNS0_10empty_typeEbEEZZNS1_14partition_implILS8_3ELb0ES6_jNS0_17counting_iteratorIjlEEPS9_SE_NS0_5tupleIJPjSE_EEENSF_IJSE_SE_EEES9_SG_JZNS1_25segmented_radix_sort_implINS0_14default_configELb1EPKiPiPKlPlN2at6native12_GLOBAL__N_18offset_tEEE10hipError_tPvRmT1_PNSt15iterator_traitsISY_E10value_typeET2_T3_PNSZ_IS14_E10value_typeET4_jRbjT5_S1A_jjP12ihipStream_tbEUljE_EEESV_SW_SX_S14_S18_S1A_T6_T7_T9_mT8_S1C_bDpT10_ENKUlT_T0_E_clISt17integral_constantIbLb1EES1O_IbLb0EEEEDaS1K_S1L_EUlS1K_E_NS1_11comp_targetILNS1_3genE4ELNS1_11target_archE910ELNS1_3gpuE8ELNS1_3repE0EEENS1_30default_config_static_selectorELNS0_4arch9wavefront6targetE0EEEvSY_
	.p2align	8
	.type	_ZN7rocprim17ROCPRIM_400000_NS6detail17trampoline_kernelINS0_13select_configILj256ELj13ELNS0_17block_load_methodE3ELS4_3ELS4_3ELNS0_20block_scan_algorithmE0ELj4294967295EEENS1_25partition_config_selectorILNS1_17partition_subalgoE3EjNS0_10empty_typeEbEEZZNS1_14partition_implILS8_3ELb0ES6_jNS0_17counting_iteratorIjlEEPS9_SE_NS0_5tupleIJPjSE_EEENSF_IJSE_SE_EEES9_SG_JZNS1_25segmented_radix_sort_implINS0_14default_configELb1EPKiPiPKlPlN2at6native12_GLOBAL__N_18offset_tEEE10hipError_tPvRmT1_PNSt15iterator_traitsISY_E10value_typeET2_T3_PNSZ_IS14_E10value_typeET4_jRbjT5_S1A_jjP12ihipStream_tbEUljE_EEESV_SW_SX_S14_S18_S1A_T6_T7_T9_mT8_S1C_bDpT10_ENKUlT_T0_E_clISt17integral_constantIbLb1EES1O_IbLb0EEEEDaS1K_S1L_EUlS1K_E_NS1_11comp_targetILNS1_3genE4ELNS1_11target_archE910ELNS1_3gpuE8ELNS1_3repE0EEENS1_30default_config_static_selectorELNS0_4arch9wavefront6targetE0EEEvSY_,@function
_ZN7rocprim17ROCPRIM_400000_NS6detail17trampoline_kernelINS0_13select_configILj256ELj13ELNS0_17block_load_methodE3ELS4_3ELS4_3ELNS0_20block_scan_algorithmE0ELj4294967295EEENS1_25partition_config_selectorILNS1_17partition_subalgoE3EjNS0_10empty_typeEbEEZZNS1_14partition_implILS8_3ELb0ES6_jNS0_17counting_iteratorIjlEEPS9_SE_NS0_5tupleIJPjSE_EEENSF_IJSE_SE_EEES9_SG_JZNS1_25segmented_radix_sort_implINS0_14default_configELb1EPKiPiPKlPlN2at6native12_GLOBAL__N_18offset_tEEE10hipError_tPvRmT1_PNSt15iterator_traitsISY_E10value_typeET2_T3_PNSZ_IS14_E10value_typeET4_jRbjT5_S1A_jjP12ihipStream_tbEUljE_EEESV_SW_SX_S14_S18_S1A_T6_T7_T9_mT8_S1C_bDpT10_ENKUlT_T0_E_clISt17integral_constantIbLb1EES1O_IbLb0EEEEDaS1K_S1L_EUlS1K_E_NS1_11comp_targetILNS1_3genE4ELNS1_11target_archE910ELNS1_3gpuE8ELNS1_3repE0EEENS1_30default_config_static_selectorELNS0_4arch9wavefront6targetE0EEEvSY_: ; @_ZN7rocprim17ROCPRIM_400000_NS6detail17trampoline_kernelINS0_13select_configILj256ELj13ELNS0_17block_load_methodE3ELS4_3ELS4_3ELNS0_20block_scan_algorithmE0ELj4294967295EEENS1_25partition_config_selectorILNS1_17partition_subalgoE3EjNS0_10empty_typeEbEEZZNS1_14partition_implILS8_3ELb0ES6_jNS0_17counting_iteratorIjlEEPS9_SE_NS0_5tupleIJPjSE_EEENSF_IJSE_SE_EEES9_SG_JZNS1_25segmented_radix_sort_implINS0_14default_configELb1EPKiPiPKlPlN2at6native12_GLOBAL__N_18offset_tEEE10hipError_tPvRmT1_PNSt15iterator_traitsISY_E10value_typeET2_T3_PNSZ_IS14_E10value_typeET4_jRbjT5_S1A_jjP12ihipStream_tbEUljE_EEESV_SW_SX_S14_S18_S1A_T6_T7_T9_mT8_S1C_bDpT10_ENKUlT_T0_E_clISt17integral_constantIbLb1EES1O_IbLb0EEEEDaS1K_S1L_EUlS1K_E_NS1_11comp_targetILNS1_3genE4ELNS1_11target_archE910ELNS1_3gpuE8ELNS1_3repE0EEENS1_30default_config_static_selectorELNS0_4arch9wavefront6targetE0EEEvSY_
; %bb.0:
	.section	.rodata,"a",@progbits
	.p2align	6, 0x0
	.amdhsa_kernel _ZN7rocprim17ROCPRIM_400000_NS6detail17trampoline_kernelINS0_13select_configILj256ELj13ELNS0_17block_load_methodE3ELS4_3ELS4_3ELNS0_20block_scan_algorithmE0ELj4294967295EEENS1_25partition_config_selectorILNS1_17partition_subalgoE3EjNS0_10empty_typeEbEEZZNS1_14partition_implILS8_3ELb0ES6_jNS0_17counting_iteratorIjlEEPS9_SE_NS0_5tupleIJPjSE_EEENSF_IJSE_SE_EEES9_SG_JZNS1_25segmented_radix_sort_implINS0_14default_configELb1EPKiPiPKlPlN2at6native12_GLOBAL__N_18offset_tEEE10hipError_tPvRmT1_PNSt15iterator_traitsISY_E10value_typeET2_T3_PNSZ_IS14_E10value_typeET4_jRbjT5_S1A_jjP12ihipStream_tbEUljE_EEESV_SW_SX_S14_S18_S1A_T6_T7_T9_mT8_S1C_bDpT10_ENKUlT_T0_E_clISt17integral_constantIbLb1EES1O_IbLb0EEEEDaS1K_S1L_EUlS1K_E_NS1_11comp_targetILNS1_3genE4ELNS1_11target_archE910ELNS1_3gpuE8ELNS1_3repE0EEENS1_30default_config_static_selectorELNS0_4arch9wavefront6targetE0EEEvSY_
		.amdhsa_group_segment_fixed_size 0
		.amdhsa_private_segment_fixed_size 0
		.amdhsa_kernarg_size 144
		.amdhsa_user_sgpr_count 6
		.amdhsa_user_sgpr_private_segment_buffer 1
		.amdhsa_user_sgpr_dispatch_ptr 0
		.amdhsa_user_sgpr_queue_ptr 0
		.amdhsa_user_sgpr_kernarg_segment_ptr 1
		.amdhsa_user_sgpr_dispatch_id 0
		.amdhsa_user_sgpr_flat_scratch_init 0
		.amdhsa_user_sgpr_private_segment_size 0
		.amdhsa_wavefront_size32 1
		.amdhsa_uses_dynamic_stack 0
		.amdhsa_system_sgpr_private_segment_wavefront_offset 0
		.amdhsa_system_sgpr_workgroup_id_x 1
		.amdhsa_system_sgpr_workgroup_id_y 0
		.amdhsa_system_sgpr_workgroup_id_z 0
		.amdhsa_system_sgpr_workgroup_info 0
		.amdhsa_system_vgpr_workitem_id 0
		.amdhsa_next_free_vgpr 1
		.amdhsa_next_free_sgpr 1
		.amdhsa_reserve_vcc 0
		.amdhsa_reserve_flat_scratch 0
		.amdhsa_float_round_mode_32 0
		.amdhsa_float_round_mode_16_64 0
		.amdhsa_float_denorm_mode_32 3
		.amdhsa_float_denorm_mode_16_64 3
		.amdhsa_dx10_clamp 1
		.amdhsa_ieee_mode 1
		.amdhsa_fp16_overflow 0
		.amdhsa_workgroup_processor_mode 1
		.amdhsa_memory_ordered 1
		.amdhsa_forward_progress 1
		.amdhsa_shared_vgpr_count 0
		.amdhsa_exception_fp_ieee_invalid_op 0
		.amdhsa_exception_fp_denorm_src 0
		.amdhsa_exception_fp_ieee_div_zero 0
		.amdhsa_exception_fp_ieee_overflow 0
		.amdhsa_exception_fp_ieee_underflow 0
		.amdhsa_exception_fp_ieee_inexact 0
		.amdhsa_exception_int_div_zero 0
	.end_amdhsa_kernel
	.section	.text._ZN7rocprim17ROCPRIM_400000_NS6detail17trampoline_kernelINS0_13select_configILj256ELj13ELNS0_17block_load_methodE3ELS4_3ELS4_3ELNS0_20block_scan_algorithmE0ELj4294967295EEENS1_25partition_config_selectorILNS1_17partition_subalgoE3EjNS0_10empty_typeEbEEZZNS1_14partition_implILS8_3ELb0ES6_jNS0_17counting_iteratorIjlEEPS9_SE_NS0_5tupleIJPjSE_EEENSF_IJSE_SE_EEES9_SG_JZNS1_25segmented_radix_sort_implINS0_14default_configELb1EPKiPiPKlPlN2at6native12_GLOBAL__N_18offset_tEEE10hipError_tPvRmT1_PNSt15iterator_traitsISY_E10value_typeET2_T3_PNSZ_IS14_E10value_typeET4_jRbjT5_S1A_jjP12ihipStream_tbEUljE_EEESV_SW_SX_S14_S18_S1A_T6_T7_T9_mT8_S1C_bDpT10_ENKUlT_T0_E_clISt17integral_constantIbLb1EES1O_IbLb0EEEEDaS1K_S1L_EUlS1K_E_NS1_11comp_targetILNS1_3genE4ELNS1_11target_archE910ELNS1_3gpuE8ELNS1_3repE0EEENS1_30default_config_static_selectorELNS0_4arch9wavefront6targetE0EEEvSY_,"axG",@progbits,_ZN7rocprim17ROCPRIM_400000_NS6detail17trampoline_kernelINS0_13select_configILj256ELj13ELNS0_17block_load_methodE3ELS4_3ELS4_3ELNS0_20block_scan_algorithmE0ELj4294967295EEENS1_25partition_config_selectorILNS1_17partition_subalgoE3EjNS0_10empty_typeEbEEZZNS1_14partition_implILS8_3ELb0ES6_jNS0_17counting_iteratorIjlEEPS9_SE_NS0_5tupleIJPjSE_EEENSF_IJSE_SE_EEES9_SG_JZNS1_25segmented_radix_sort_implINS0_14default_configELb1EPKiPiPKlPlN2at6native12_GLOBAL__N_18offset_tEEE10hipError_tPvRmT1_PNSt15iterator_traitsISY_E10value_typeET2_T3_PNSZ_IS14_E10value_typeET4_jRbjT5_S1A_jjP12ihipStream_tbEUljE_EEESV_SW_SX_S14_S18_S1A_T6_T7_T9_mT8_S1C_bDpT10_ENKUlT_T0_E_clISt17integral_constantIbLb1EES1O_IbLb0EEEEDaS1K_S1L_EUlS1K_E_NS1_11comp_targetILNS1_3genE4ELNS1_11target_archE910ELNS1_3gpuE8ELNS1_3repE0EEENS1_30default_config_static_selectorELNS0_4arch9wavefront6targetE0EEEvSY_,comdat
.Lfunc_end479:
	.size	_ZN7rocprim17ROCPRIM_400000_NS6detail17trampoline_kernelINS0_13select_configILj256ELj13ELNS0_17block_load_methodE3ELS4_3ELS4_3ELNS0_20block_scan_algorithmE0ELj4294967295EEENS1_25partition_config_selectorILNS1_17partition_subalgoE3EjNS0_10empty_typeEbEEZZNS1_14partition_implILS8_3ELb0ES6_jNS0_17counting_iteratorIjlEEPS9_SE_NS0_5tupleIJPjSE_EEENSF_IJSE_SE_EEES9_SG_JZNS1_25segmented_radix_sort_implINS0_14default_configELb1EPKiPiPKlPlN2at6native12_GLOBAL__N_18offset_tEEE10hipError_tPvRmT1_PNSt15iterator_traitsISY_E10value_typeET2_T3_PNSZ_IS14_E10value_typeET4_jRbjT5_S1A_jjP12ihipStream_tbEUljE_EEESV_SW_SX_S14_S18_S1A_T6_T7_T9_mT8_S1C_bDpT10_ENKUlT_T0_E_clISt17integral_constantIbLb1EES1O_IbLb0EEEEDaS1K_S1L_EUlS1K_E_NS1_11comp_targetILNS1_3genE4ELNS1_11target_archE910ELNS1_3gpuE8ELNS1_3repE0EEENS1_30default_config_static_selectorELNS0_4arch9wavefront6targetE0EEEvSY_, .Lfunc_end479-_ZN7rocprim17ROCPRIM_400000_NS6detail17trampoline_kernelINS0_13select_configILj256ELj13ELNS0_17block_load_methodE3ELS4_3ELS4_3ELNS0_20block_scan_algorithmE0ELj4294967295EEENS1_25partition_config_selectorILNS1_17partition_subalgoE3EjNS0_10empty_typeEbEEZZNS1_14partition_implILS8_3ELb0ES6_jNS0_17counting_iteratorIjlEEPS9_SE_NS0_5tupleIJPjSE_EEENSF_IJSE_SE_EEES9_SG_JZNS1_25segmented_radix_sort_implINS0_14default_configELb1EPKiPiPKlPlN2at6native12_GLOBAL__N_18offset_tEEE10hipError_tPvRmT1_PNSt15iterator_traitsISY_E10value_typeET2_T3_PNSZ_IS14_E10value_typeET4_jRbjT5_S1A_jjP12ihipStream_tbEUljE_EEESV_SW_SX_S14_S18_S1A_T6_T7_T9_mT8_S1C_bDpT10_ENKUlT_T0_E_clISt17integral_constantIbLb1EES1O_IbLb0EEEEDaS1K_S1L_EUlS1K_E_NS1_11comp_targetILNS1_3genE4ELNS1_11target_archE910ELNS1_3gpuE8ELNS1_3repE0EEENS1_30default_config_static_selectorELNS0_4arch9wavefront6targetE0EEEvSY_
                                        ; -- End function
	.set _ZN7rocprim17ROCPRIM_400000_NS6detail17trampoline_kernelINS0_13select_configILj256ELj13ELNS0_17block_load_methodE3ELS4_3ELS4_3ELNS0_20block_scan_algorithmE0ELj4294967295EEENS1_25partition_config_selectorILNS1_17partition_subalgoE3EjNS0_10empty_typeEbEEZZNS1_14partition_implILS8_3ELb0ES6_jNS0_17counting_iteratorIjlEEPS9_SE_NS0_5tupleIJPjSE_EEENSF_IJSE_SE_EEES9_SG_JZNS1_25segmented_radix_sort_implINS0_14default_configELb1EPKiPiPKlPlN2at6native12_GLOBAL__N_18offset_tEEE10hipError_tPvRmT1_PNSt15iterator_traitsISY_E10value_typeET2_T3_PNSZ_IS14_E10value_typeET4_jRbjT5_S1A_jjP12ihipStream_tbEUljE_EEESV_SW_SX_S14_S18_S1A_T6_T7_T9_mT8_S1C_bDpT10_ENKUlT_T0_E_clISt17integral_constantIbLb1EES1O_IbLb0EEEEDaS1K_S1L_EUlS1K_E_NS1_11comp_targetILNS1_3genE4ELNS1_11target_archE910ELNS1_3gpuE8ELNS1_3repE0EEENS1_30default_config_static_selectorELNS0_4arch9wavefront6targetE0EEEvSY_.num_vgpr, 0
	.set _ZN7rocprim17ROCPRIM_400000_NS6detail17trampoline_kernelINS0_13select_configILj256ELj13ELNS0_17block_load_methodE3ELS4_3ELS4_3ELNS0_20block_scan_algorithmE0ELj4294967295EEENS1_25partition_config_selectorILNS1_17partition_subalgoE3EjNS0_10empty_typeEbEEZZNS1_14partition_implILS8_3ELb0ES6_jNS0_17counting_iteratorIjlEEPS9_SE_NS0_5tupleIJPjSE_EEENSF_IJSE_SE_EEES9_SG_JZNS1_25segmented_radix_sort_implINS0_14default_configELb1EPKiPiPKlPlN2at6native12_GLOBAL__N_18offset_tEEE10hipError_tPvRmT1_PNSt15iterator_traitsISY_E10value_typeET2_T3_PNSZ_IS14_E10value_typeET4_jRbjT5_S1A_jjP12ihipStream_tbEUljE_EEESV_SW_SX_S14_S18_S1A_T6_T7_T9_mT8_S1C_bDpT10_ENKUlT_T0_E_clISt17integral_constantIbLb1EES1O_IbLb0EEEEDaS1K_S1L_EUlS1K_E_NS1_11comp_targetILNS1_3genE4ELNS1_11target_archE910ELNS1_3gpuE8ELNS1_3repE0EEENS1_30default_config_static_selectorELNS0_4arch9wavefront6targetE0EEEvSY_.num_agpr, 0
	.set _ZN7rocprim17ROCPRIM_400000_NS6detail17trampoline_kernelINS0_13select_configILj256ELj13ELNS0_17block_load_methodE3ELS4_3ELS4_3ELNS0_20block_scan_algorithmE0ELj4294967295EEENS1_25partition_config_selectorILNS1_17partition_subalgoE3EjNS0_10empty_typeEbEEZZNS1_14partition_implILS8_3ELb0ES6_jNS0_17counting_iteratorIjlEEPS9_SE_NS0_5tupleIJPjSE_EEENSF_IJSE_SE_EEES9_SG_JZNS1_25segmented_radix_sort_implINS0_14default_configELb1EPKiPiPKlPlN2at6native12_GLOBAL__N_18offset_tEEE10hipError_tPvRmT1_PNSt15iterator_traitsISY_E10value_typeET2_T3_PNSZ_IS14_E10value_typeET4_jRbjT5_S1A_jjP12ihipStream_tbEUljE_EEESV_SW_SX_S14_S18_S1A_T6_T7_T9_mT8_S1C_bDpT10_ENKUlT_T0_E_clISt17integral_constantIbLb1EES1O_IbLb0EEEEDaS1K_S1L_EUlS1K_E_NS1_11comp_targetILNS1_3genE4ELNS1_11target_archE910ELNS1_3gpuE8ELNS1_3repE0EEENS1_30default_config_static_selectorELNS0_4arch9wavefront6targetE0EEEvSY_.numbered_sgpr, 0
	.set _ZN7rocprim17ROCPRIM_400000_NS6detail17trampoline_kernelINS0_13select_configILj256ELj13ELNS0_17block_load_methodE3ELS4_3ELS4_3ELNS0_20block_scan_algorithmE0ELj4294967295EEENS1_25partition_config_selectorILNS1_17partition_subalgoE3EjNS0_10empty_typeEbEEZZNS1_14partition_implILS8_3ELb0ES6_jNS0_17counting_iteratorIjlEEPS9_SE_NS0_5tupleIJPjSE_EEENSF_IJSE_SE_EEES9_SG_JZNS1_25segmented_radix_sort_implINS0_14default_configELb1EPKiPiPKlPlN2at6native12_GLOBAL__N_18offset_tEEE10hipError_tPvRmT1_PNSt15iterator_traitsISY_E10value_typeET2_T3_PNSZ_IS14_E10value_typeET4_jRbjT5_S1A_jjP12ihipStream_tbEUljE_EEESV_SW_SX_S14_S18_S1A_T6_T7_T9_mT8_S1C_bDpT10_ENKUlT_T0_E_clISt17integral_constantIbLb1EES1O_IbLb0EEEEDaS1K_S1L_EUlS1K_E_NS1_11comp_targetILNS1_3genE4ELNS1_11target_archE910ELNS1_3gpuE8ELNS1_3repE0EEENS1_30default_config_static_selectorELNS0_4arch9wavefront6targetE0EEEvSY_.num_named_barrier, 0
	.set _ZN7rocprim17ROCPRIM_400000_NS6detail17trampoline_kernelINS0_13select_configILj256ELj13ELNS0_17block_load_methodE3ELS4_3ELS4_3ELNS0_20block_scan_algorithmE0ELj4294967295EEENS1_25partition_config_selectorILNS1_17partition_subalgoE3EjNS0_10empty_typeEbEEZZNS1_14partition_implILS8_3ELb0ES6_jNS0_17counting_iteratorIjlEEPS9_SE_NS0_5tupleIJPjSE_EEENSF_IJSE_SE_EEES9_SG_JZNS1_25segmented_radix_sort_implINS0_14default_configELb1EPKiPiPKlPlN2at6native12_GLOBAL__N_18offset_tEEE10hipError_tPvRmT1_PNSt15iterator_traitsISY_E10value_typeET2_T3_PNSZ_IS14_E10value_typeET4_jRbjT5_S1A_jjP12ihipStream_tbEUljE_EEESV_SW_SX_S14_S18_S1A_T6_T7_T9_mT8_S1C_bDpT10_ENKUlT_T0_E_clISt17integral_constantIbLb1EES1O_IbLb0EEEEDaS1K_S1L_EUlS1K_E_NS1_11comp_targetILNS1_3genE4ELNS1_11target_archE910ELNS1_3gpuE8ELNS1_3repE0EEENS1_30default_config_static_selectorELNS0_4arch9wavefront6targetE0EEEvSY_.private_seg_size, 0
	.set _ZN7rocprim17ROCPRIM_400000_NS6detail17trampoline_kernelINS0_13select_configILj256ELj13ELNS0_17block_load_methodE3ELS4_3ELS4_3ELNS0_20block_scan_algorithmE0ELj4294967295EEENS1_25partition_config_selectorILNS1_17partition_subalgoE3EjNS0_10empty_typeEbEEZZNS1_14partition_implILS8_3ELb0ES6_jNS0_17counting_iteratorIjlEEPS9_SE_NS0_5tupleIJPjSE_EEENSF_IJSE_SE_EEES9_SG_JZNS1_25segmented_radix_sort_implINS0_14default_configELb1EPKiPiPKlPlN2at6native12_GLOBAL__N_18offset_tEEE10hipError_tPvRmT1_PNSt15iterator_traitsISY_E10value_typeET2_T3_PNSZ_IS14_E10value_typeET4_jRbjT5_S1A_jjP12ihipStream_tbEUljE_EEESV_SW_SX_S14_S18_S1A_T6_T7_T9_mT8_S1C_bDpT10_ENKUlT_T0_E_clISt17integral_constantIbLb1EES1O_IbLb0EEEEDaS1K_S1L_EUlS1K_E_NS1_11comp_targetILNS1_3genE4ELNS1_11target_archE910ELNS1_3gpuE8ELNS1_3repE0EEENS1_30default_config_static_selectorELNS0_4arch9wavefront6targetE0EEEvSY_.uses_vcc, 0
	.set _ZN7rocprim17ROCPRIM_400000_NS6detail17trampoline_kernelINS0_13select_configILj256ELj13ELNS0_17block_load_methodE3ELS4_3ELS4_3ELNS0_20block_scan_algorithmE0ELj4294967295EEENS1_25partition_config_selectorILNS1_17partition_subalgoE3EjNS0_10empty_typeEbEEZZNS1_14partition_implILS8_3ELb0ES6_jNS0_17counting_iteratorIjlEEPS9_SE_NS0_5tupleIJPjSE_EEENSF_IJSE_SE_EEES9_SG_JZNS1_25segmented_radix_sort_implINS0_14default_configELb1EPKiPiPKlPlN2at6native12_GLOBAL__N_18offset_tEEE10hipError_tPvRmT1_PNSt15iterator_traitsISY_E10value_typeET2_T3_PNSZ_IS14_E10value_typeET4_jRbjT5_S1A_jjP12ihipStream_tbEUljE_EEESV_SW_SX_S14_S18_S1A_T6_T7_T9_mT8_S1C_bDpT10_ENKUlT_T0_E_clISt17integral_constantIbLb1EES1O_IbLb0EEEEDaS1K_S1L_EUlS1K_E_NS1_11comp_targetILNS1_3genE4ELNS1_11target_archE910ELNS1_3gpuE8ELNS1_3repE0EEENS1_30default_config_static_selectorELNS0_4arch9wavefront6targetE0EEEvSY_.uses_flat_scratch, 0
	.set _ZN7rocprim17ROCPRIM_400000_NS6detail17trampoline_kernelINS0_13select_configILj256ELj13ELNS0_17block_load_methodE3ELS4_3ELS4_3ELNS0_20block_scan_algorithmE0ELj4294967295EEENS1_25partition_config_selectorILNS1_17partition_subalgoE3EjNS0_10empty_typeEbEEZZNS1_14partition_implILS8_3ELb0ES6_jNS0_17counting_iteratorIjlEEPS9_SE_NS0_5tupleIJPjSE_EEENSF_IJSE_SE_EEES9_SG_JZNS1_25segmented_radix_sort_implINS0_14default_configELb1EPKiPiPKlPlN2at6native12_GLOBAL__N_18offset_tEEE10hipError_tPvRmT1_PNSt15iterator_traitsISY_E10value_typeET2_T3_PNSZ_IS14_E10value_typeET4_jRbjT5_S1A_jjP12ihipStream_tbEUljE_EEESV_SW_SX_S14_S18_S1A_T6_T7_T9_mT8_S1C_bDpT10_ENKUlT_T0_E_clISt17integral_constantIbLb1EES1O_IbLb0EEEEDaS1K_S1L_EUlS1K_E_NS1_11comp_targetILNS1_3genE4ELNS1_11target_archE910ELNS1_3gpuE8ELNS1_3repE0EEENS1_30default_config_static_selectorELNS0_4arch9wavefront6targetE0EEEvSY_.has_dyn_sized_stack, 0
	.set _ZN7rocprim17ROCPRIM_400000_NS6detail17trampoline_kernelINS0_13select_configILj256ELj13ELNS0_17block_load_methodE3ELS4_3ELS4_3ELNS0_20block_scan_algorithmE0ELj4294967295EEENS1_25partition_config_selectorILNS1_17partition_subalgoE3EjNS0_10empty_typeEbEEZZNS1_14partition_implILS8_3ELb0ES6_jNS0_17counting_iteratorIjlEEPS9_SE_NS0_5tupleIJPjSE_EEENSF_IJSE_SE_EEES9_SG_JZNS1_25segmented_radix_sort_implINS0_14default_configELb1EPKiPiPKlPlN2at6native12_GLOBAL__N_18offset_tEEE10hipError_tPvRmT1_PNSt15iterator_traitsISY_E10value_typeET2_T3_PNSZ_IS14_E10value_typeET4_jRbjT5_S1A_jjP12ihipStream_tbEUljE_EEESV_SW_SX_S14_S18_S1A_T6_T7_T9_mT8_S1C_bDpT10_ENKUlT_T0_E_clISt17integral_constantIbLb1EES1O_IbLb0EEEEDaS1K_S1L_EUlS1K_E_NS1_11comp_targetILNS1_3genE4ELNS1_11target_archE910ELNS1_3gpuE8ELNS1_3repE0EEENS1_30default_config_static_selectorELNS0_4arch9wavefront6targetE0EEEvSY_.has_recursion, 0
	.set _ZN7rocprim17ROCPRIM_400000_NS6detail17trampoline_kernelINS0_13select_configILj256ELj13ELNS0_17block_load_methodE3ELS4_3ELS4_3ELNS0_20block_scan_algorithmE0ELj4294967295EEENS1_25partition_config_selectorILNS1_17partition_subalgoE3EjNS0_10empty_typeEbEEZZNS1_14partition_implILS8_3ELb0ES6_jNS0_17counting_iteratorIjlEEPS9_SE_NS0_5tupleIJPjSE_EEENSF_IJSE_SE_EEES9_SG_JZNS1_25segmented_radix_sort_implINS0_14default_configELb1EPKiPiPKlPlN2at6native12_GLOBAL__N_18offset_tEEE10hipError_tPvRmT1_PNSt15iterator_traitsISY_E10value_typeET2_T3_PNSZ_IS14_E10value_typeET4_jRbjT5_S1A_jjP12ihipStream_tbEUljE_EEESV_SW_SX_S14_S18_S1A_T6_T7_T9_mT8_S1C_bDpT10_ENKUlT_T0_E_clISt17integral_constantIbLb1EES1O_IbLb0EEEEDaS1K_S1L_EUlS1K_E_NS1_11comp_targetILNS1_3genE4ELNS1_11target_archE910ELNS1_3gpuE8ELNS1_3repE0EEENS1_30default_config_static_selectorELNS0_4arch9wavefront6targetE0EEEvSY_.has_indirect_call, 0
	.section	.AMDGPU.csdata,"",@progbits
; Kernel info:
; codeLenInByte = 0
; TotalNumSgprs: 0
; NumVgprs: 0
; ScratchSize: 0
; MemoryBound: 0
; FloatMode: 240
; IeeeMode: 1
; LDSByteSize: 0 bytes/workgroup (compile time only)
; SGPRBlocks: 0
; VGPRBlocks: 0
; NumSGPRsForWavesPerEU: 1
; NumVGPRsForWavesPerEU: 1
; Occupancy: 16
; WaveLimiterHint : 0
; COMPUTE_PGM_RSRC2:SCRATCH_EN: 0
; COMPUTE_PGM_RSRC2:USER_SGPR: 6
; COMPUTE_PGM_RSRC2:TRAP_HANDLER: 0
; COMPUTE_PGM_RSRC2:TGID_X_EN: 1
; COMPUTE_PGM_RSRC2:TGID_Y_EN: 0
; COMPUTE_PGM_RSRC2:TGID_Z_EN: 0
; COMPUTE_PGM_RSRC2:TIDIG_COMP_CNT: 0
	.section	.text._ZN7rocprim17ROCPRIM_400000_NS6detail17trampoline_kernelINS0_13select_configILj256ELj13ELNS0_17block_load_methodE3ELS4_3ELS4_3ELNS0_20block_scan_algorithmE0ELj4294967295EEENS1_25partition_config_selectorILNS1_17partition_subalgoE3EjNS0_10empty_typeEbEEZZNS1_14partition_implILS8_3ELb0ES6_jNS0_17counting_iteratorIjlEEPS9_SE_NS0_5tupleIJPjSE_EEENSF_IJSE_SE_EEES9_SG_JZNS1_25segmented_radix_sort_implINS0_14default_configELb1EPKiPiPKlPlN2at6native12_GLOBAL__N_18offset_tEEE10hipError_tPvRmT1_PNSt15iterator_traitsISY_E10value_typeET2_T3_PNSZ_IS14_E10value_typeET4_jRbjT5_S1A_jjP12ihipStream_tbEUljE_EEESV_SW_SX_S14_S18_S1A_T6_T7_T9_mT8_S1C_bDpT10_ENKUlT_T0_E_clISt17integral_constantIbLb1EES1O_IbLb0EEEEDaS1K_S1L_EUlS1K_E_NS1_11comp_targetILNS1_3genE3ELNS1_11target_archE908ELNS1_3gpuE7ELNS1_3repE0EEENS1_30default_config_static_selectorELNS0_4arch9wavefront6targetE0EEEvSY_,"axG",@progbits,_ZN7rocprim17ROCPRIM_400000_NS6detail17trampoline_kernelINS0_13select_configILj256ELj13ELNS0_17block_load_methodE3ELS4_3ELS4_3ELNS0_20block_scan_algorithmE0ELj4294967295EEENS1_25partition_config_selectorILNS1_17partition_subalgoE3EjNS0_10empty_typeEbEEZZNS1_14partition_implILS8_3ELb0ES6_jNS0_17counting_iteratorIjlEEPS9_SE_NS0_5tupleIJPjSE_EEENSF_IJSE_SE_EEES9_SG_JZNS1_25segmented_radix_sort_implINS0_14default_configELb1EPKiPiPKlPlN2at6native12_GLOBAL__N_18offset_tEEE10hipError_tPvRmT1_PNSt15iterator_traitsISY_E10value_typeET2_T3_PNSZ_IS14_E10value_typeET4_jRbjT5_S1A_jjP12ihipStream_tbEUljE_EEESV_SW_SX_S14_S18_S1A_T6_T7_T9_mT8_S1C_bDpT10_ENKUlT_T0_E_clISt17integral_constantIbLb1EES1O_IbLb0EEEEDaS1K_S1L_EUlS1K_E_NS1_11comp_targetILNS1_3genE3ELNS1_11target_archE908ELNS1_3gpuE7ELNS1_3repE0EEENS1_30default_config_static_selectorELNS0_4arch9wavefront6targetE0EEEvSY_,comdat
	.globl	_ZN7rocprim17ROCPRIM_400000_NS6detail17trampoline_kernelINS0_13select_configILj256ELj13ELNS0_17block_load_methodE3ELS4_3ELS4_3ELNS0_20block_scan_algorithmE0ELj4294967295EEENS1_25partition_config_selectorILNS1_17partition_subalgoE3EjNS0_10empty_typeEbEEZZNS1_14partition_implILS8_3ELb0ES6_jNS0_17counting_iteratorIjlEEPS9_SE_NS0_5tupleIJPjSE_EEENSF_IJSE_SE_EEES9_SG_JZNS1_25segmented_radix_sort_implINS0_14default_configELb1EPKiPiPKlPlN2at6native12_GLOBAL__N_18offset_tEEE10hipError_tPvRmT1_PNSt15iterator_traitsISY_E10value_typeET2_T3_PNSZ_IS14_E10value_typeET4_jRbjT5_S1A_jjP12ihipStream_tbEUljE_EEESV_SW_SX_S14_S18_S1A_T6_T7_T9_mT8_S1C_bDpT10_ENKUlT_T0_E_clISt17integral_constantIbLb1EES1O_IbLb0EEEEDaS1K_S1L_EUlS1K_E_NS1_11comp_targetILNS1_3genE3ELNS1_11target_archE908ELNS1_3gpuE7ELNS1_3repE0EEENS1_30default_config_static_selectorELNS0_4arch9wavefront6targetE0EEEvSY_ ; -- Begin function _ZN7rocprim17ROCPRIM_400000_NS6detail17trampoline_kernelINS0_13select_configILj256ELj13ELNS0_17block_load_methodE3ELS4_3ELS4_3ELNS0_20block_scan_algorithmE0ELj4294967295EEENS1_25partition_config_selectorILNS1_17partition_subalgoE3EjNS0_10empty_typeEbEEZZNS1_14partition_implILS8_3ELb0ES6_jNS0_17counting_iteratorIjlEEPS9_SE_NS0_5tupleIJPjSE_EEENSF_IJSE_SE_EEES9_SG_JZNS1_25segmented_radix_sort_implINS0_14default_configELb1EPKiPiPKlPlN2at6native12_GLOBAL__N_18offset_tEEE10hipError_tPvRmT1_PNSt15iterator_traitsISY_E10value_typeET2_T3_PNSZ_IS14_E10value_typeET4_jRbjT5_S1A_jjP12ihipStream_tbEUljE_EEESV_SW_SX_S14_S18_S1A_T6_T7_T9_mT8_S1C_bDpT10_ENKUlT_T0_E_clISt17integral_constantIbLb1EES1O_IbLb0EEEEDaS1K_S1L_EUlS1K_E_NS1_11comp_targetILNS1_3genE3ELNS1_11target_archE908ELNS1_3gpuE7ELNS1_3repE0EEENS1_30default_config_static_selectorELNS0_4arch9wavefront6targetE0EEEvSY_
	.p2align	8
	.type	_ZN7rocprim17ROCPRIM_400000_NS6detail17trampoline_kernelINS0_13select_configILj256ELj13ELNS0_17block_load_methodE3ELS4_3ELS4_3ELNS0_20block_scan_algorithmE0ELj4294967295EEENS1_25partition_config_selectorILNS1_17partition_subalgoE3EjNS0_10empty_typeEbEEZZNS1_14partition_implILS8_3ELb0ES6_jNS0_17counting_iteratorIjlEEPS9_SE_NS0_5tupleIJPjSE_EEENSF_IJSE_SE_EEES9_SG_JZNS1_25segmented_radix_sort_implINS0_14default_configELb1EPKiPiPKlPlN2at6native12_GLOBAL__N_18offset_tEEE10hipError_tPvRmT1_PNSt15iterator_traitsISY_E10value_typeET2_T3_PNSZ_IS14_E10value_typeET4_jRbjT5_S1A_jjP12ihipStream_tbEUljE_EEESV_SW_SX_S14_S18_S1A_T6_T7_T9_mT8_S1C_bDpT10_ENKUlT_T0_E_clISt17integral_constantIbLb1EES1O_IbLb0EEEEDaS1K_S1L_EUlS1K_E_NS1_11comp_targetILNS1_3genE3ELNS1_11target_archE908ELNS1_3gpuE7ELNS1_3repE0EEENS1_30default_config_static_selectorELNS0_4arch9wavefront6targetE0EEEvSY_,@function
_ZN7rocprim17ROCPRIM_400000_NS6detail17trampoline_kernelINS0_13select_configILj256ELj13ELNS0_17block_load_methodE3ELS4_3ELS4_3ELNS0_20block_scan_algorithmE0ELj4294967295EEENS1_25partition_config_selectorILNS1_17partition_subalgoE3EjNS0_10empty_typeEbEEZZNS1_14partition_implILS8_3ELb0ES6_jNS0_17counting_iteratorIjlEEPS9_SE_NS0_5tupleIJPjSE_EEENSF_IJSE_SE_EEES9_SG_JZNS1_25segmented_radix_sort_implINS0_14default_configELb1EPKiPiPKlPlN2at6native12_GLOBAL__N_18offset_tEEE10hipError_tPvRmT1_PNSt15iterator_traitsISY_E10value_typeET2_T3_PNSZ_IS14_E10value_typeET4_jRbjT5_S1A_jjP12ihipStream_tbEUljE_EEESV_SW_SX_S14_S18_S1A_T6_T7_T9_mT8_S1C_bDpT10_ENKUlT_T0_E_clISt17integral_constantIbLb1EES1O_IbLb0EEEEDaS1K_S1L_EUlS1K_E_NS1_11comp_targetILNS1_3genE3ELNS1_11target_archE908ELNS1_3gpuE7ELNS1_3repE0EEENS1_30default_config_static_selectorELNS0_4arch9wavefront6targetE0EEEvSY_: ; @_ZN7rocprim17ROCPRIM_400000_NS6detail17trampoline_kernelINS0_13select_configILj256ELj13ELNS0_17block_load_methodE3ELS4_3ELS4_3ELNS0_20block_scan_algorithmE0ELj4294967295EEENS1_25partition_config_selectorILNS1_17partition_subalgoE3EjNS0_10empty_typeEbEEZZNS1_14partition_implILS8_3ELb0ES6_jNS0_17counting_iteratorIjlEEPS9_SE_NS0_5tupleIJPjSE_EEENSF_IJSE_SE_EEES9_SG_JZNS1_25segmented_radix_sort_implINS0_14default_configELb1EPKiPiPKlPlN2at6native12_GLOBAL__N_18offset_tEEE10hipError_tPvRmT1_PNSt15iterator_traitsISY_E10value_typeET2_T3_PNSZ_IS14_E10value_typeET4_jRbjT5_S1A_jjP12ihipStream_tbEUljE_EEESV_SW_SX_S14_S18_S1A_T6_T7_T9_mT8_S1C_bDpT10_ENKUlT_T0_E_clISt17integral_constantIbLb1EES1O_IbLb0EEEEDaS1K_S1L_EUlS1K_E_NS1_11comp_targetILNS1_3genE3ELNS1_11target_archE908ELNS1_3gpuE7ELNS1_3repE0EEENS1_30default_config_static_selectorELNS0_4arch9wavefront6targetE0EEEvSY_
; %bb.0:
	.section	.rodata,"a",@progbits
	.p2align	6, 0x0
	.amdhsa_kernel _ZN7rocprim17ROCPRIM_400000_NS6detail17trampoline_kernelINS0_13select_configILj256ELj13ELNS0_17block_load_methodE3ELS4_3ELS4_3ELNS0_20block_scan_algorithmE0ELj4294967295EEENS1_25partition_config_selectorILNS1_17partition_subalgoE3EjNS0_10empty_typeEbEEZZNS1_14partition_implILS8_3ELb0ES6_jNS0_17counting_iteratorIjlEEPS9_SE_NS0_5tupleIJPjSE_EEENSF_IJSE_SE_EEES9_SG_JZNS1_25segmented_radix_sort_implINS0_14default_configELb1EPKiPiPKlPlN2at6native12_GLOBAL__N_18offset_tEEE10hipError_tPvRmT1_PNSt15iterator_traitsISY_E10value_typeET2_T3_PNSZ_IS14_E10value_typeET4_jRbjT5_S1A_jjP12ihipStream_tbEUljE_EEESV_SW_SX_S14_S18_S1A_T6_T7_T9_mT8_S1C_bDpT10_ENKUlT_T0_E_clISt17integral_constantIbLb1EES1O_IbLb0EEEEDaS1K_S1L_EUlS1K_E_NS1_11comp_targetILNS1_3genE3ELNS1_11target_archE908ELNS1_3gpuE7ELNS1_3repE0EEENS1_30default_config_static_selectorELNS0_4arch9wavefront6targetE0EEEvSY_
		.amdhsa_group_segment_fixed_size 0
		.amdhsa_private_segment_fixed_size 0
		.amdhsa_kernarg_size 144
		.amdhsa_user_sgpr_count 6
		.amdhsa_user_sgpr_private_segment_buffer 1
		.amdhsa_user_sgpr_dispatch_ptr 0
		.amdhsa_user_sgpr_queue_ptr 0
		.amdhsa_user_sgpr_kernarg_segment_ptr 1
		.amdhsa_user_sgpr_dispatch_id 0
		.amdhsa_user_sgpr_flat_scratch_init 0
		.amdhsa_user_sgpr_private_segment_size 0
		.amdhsa_wavefront_size32 1
		.amdhsa_uses_dynamic_stack 0
		.amdhsa_system_sgpr_private_segment_wavefront_offset 0
		.amdhsa_system_sgpr_workgroup_id_x 1
		.amdhsa_system_sgpr_workgroup_id_y 0
		.amdhsa_system_sgpr_workgroup_id_z 0
		.amdhsa_system_sgpr_workgroup_info 0
		.amdhsa_system_vgpr_workitem_id 0
		.amdhsa_next_free_vgpr 1
		.amdhsa_next_free_sgpr 1
		.amdhsa_reserve_vcc 0
		.amdhsa_reserve_flat_scratch 0
		.amdhsa_float_round_mode_32 0
		.amdhsa_float_round_mode_16_64 0
		.amdhsa_float_denorm_mode_32 3
		.amdhsa_float_denorm_mode_16_64 3
		.amdhsa_dx10_clamp 1
		.amdhsa_ieee_mode 1
		.amdhsa_fp16_overflow 0
		.amdhsa_workgroup_processor_mode 1
		.amdhsa_memory_ordered 1
		.amdhsa_forward_progress 1
		.amdhsa_shared_vgpr_count 0
		.amdhsa_exception_fp_ieee_invalid_op 0
		.amdhsa_exception_fp_denorm_src 0
		.amdhsa_exception_fp_ieee_div_zero 0
		.amdhsa_exception_fp_ieee_overflow 0
		.amdhsa_exception_fp_ieee_underflow 0
		.amdhsa_exception_fp_ieee_inexact 0
		.amdhsa_exception_int_div_zero 0
	.end_amdhsa_kernel
	.section	.text._ZN7rocprim17ROCPRIM_400000_NS6detail17trampoline_kernelINS0_13select_configILj256ELj13ELNS0_17block_load_methodE3ELS4_3ELS4_3ELNS0_20block_scan_algorithmE0ELj4294967295EEENS1_25partition_config_selectorILNS1_17partition_subalgoE3EjNS0_10empty_typeEbEEZZNS1_14partition_implILS8_3ELb0ES6_jNS0_17counting_iteratorIjlEEPS9_SE_NS0_5tupleIJPjSE_EEENSF_IJSE_SE_EEES9_SG_JZNS1_25segmented_radix_sort_implINS0_14default_configELb1EPKiPiPKlPlN2at6native12_GLOBAL__N_18offset_tEEE10hipError_tPvRmT1_PNSt15iterator_traitsISY_E10value_typeET2_T3_PNSZ_IS14_E10value_typeET4_jRbjT5_S1A_jjP12ihipStream_tbEUljE_EEESV_SW_SX_S14_S18_S1A_T6_T7_T9_mT8_S1C_bDpT10_ENKUlT_T0_E_clISt17integral_constantIbLb1EES1O_IbLb0EEEEDaS1K_S1L_EUlS1K_E_NS1_11comp_targetILNS1_3genE3ELNS1_11target_archE908ELNS1_3gpuE7ELNS1_3repE0EEENS1_30default_config_static_selectorELNS0_4arch9wavefront6targetE0EEEvSY_,"axG",@progbits,_ZN7rocprim17ROCPRIM_400000_NS6detail17trampoline_kernelINS0_13select_configILj256ELj13ELNS0_17block_load_methodE3ELS4_3ELS4_3ELNS0_20block_scan_algorithmE0ELj4294967295EEENS1_25partition_config_selectorILNS1_17partition_subalgoE3EjNS0_10empty_typeEbEEZZNS1_14partition_implILS8_3ELb0ES6_jNS0_17counting_iteratorIjlEEPS9_SE_NS0_5tupleIJPjSE_EEENSF_IJSE_SE_EEES9_SG_JZNS1_25segmented_radix_sort_implINS0_14default_configELb1EPKiPiPKlPlN2at6native12_GLOBAL__N_18offset_tEEE10hipError_tPvRmT1_PNSt15iterator_traitsISY_E10value_typeET2_T3_PNSZ_IS14_E10value_typeET4_jRbjT5_S1A_jjP12ihipStream_tbEUljE_EEESV_SW_SX_S14_S18_S1A_T6_T7_T9_mT8_S1C_bDpT10_ENKUlT_T0_E_clISt17integral_constantIbLb1EES1O_IbLb0EEEEDaS1K_S1L_EUlS1K_E_NS1_11comp_targetILNS1_3genE3ELNS1_11target_archE908ELNS1_3gpuE7ELNS1_3repE0EEENS1_30default_config_static_selectorELNS0_4arch9wavefront6targetE0EEEvSY_,comdat
.Lfunc_end480:
	.size	_ZN7rocprim17ROCPRIM_400000_NS6detail17trampoline_kernelINS0_13select_configILj256ELj13ELNS0_17block_load_methodE3ELS4_3ELS4_3ELNS0_20block_scan_algorithmE0ELj4294967295EEENS1_25partition_config_selectorILNS1_17partition_subalgoE3EjNS0_10empty_typeEbEEZZNS1_14partition_implILS8_3ELb0ES6_jNS0_17counting_iteratorIjlEEPS9_SE_NS0_5tupleIJPjSE_EEENSF_IJSE_SE_EEES9_SG_JZNS1_25segmented_radix_sort_implINS0_14default_configELb1EPKiPiPKlPlN2at6native12_GLOBAL__N_18offset_tEEE10hipError_tPvRmT1_PNSt15iterator_traitsISY_E10value_typeET2_T3_PNSZ_IS14_E10value_typeET4_jRbjT5_S1A_jjP12ihipStream_tbEUljE_EEESV_SW_SX_S14_S18_S1A_T6_T7_T9_mT8_S1C_bDpT10_ENKUlT_T0_E_clISt17integral_constantIbLb1EES1O_IbLb0EEEEDaS1K_S1L_EUlS1K_E_NS1_11comp_targetILNS1_3genE3ELNS1_11target_archE908ELNS1_3gpuE7ELNS1_3repE0EEENS1_30default_config_static_selectorELNS0_4arch9wavefront6targetE0EEEvSY_, .Lfunc_end480-_ZN7rocprim17ROCPRIM_400000_NS6detail17trampoline_kernelINS0_13select_configILj256ELj13ELNS0_17block_load_methodE3ELS4_3ELS4_3ELNS0_20block_scan_algorithmE0ELj4294967295EEENS1_25partition_config_selectorILNS1_17partition_subalgoE3EjNS0_10empty_typeEbEEZZNS1_14partition_implILS8_3ELb0ES6_jNS0_17counting_iteratorIjlEEPS9_SE_NS0_5tupleIJPjSE_EEENSF_IJSE_SE_EEES9_SG_JZNS1_25segmented_radix_sort_implINS0_14default_configELb1EPKiPiPKlPlN2at6native12_GLOBAL__N_18offset_tEEE10hipError_tPvRmT1_PNSt15iterator_traitsISY_E10value_typeET2_T3_PNSZ_IS14_E10value_typeET4_jRbjT5_S1A_jjP12ihipStream_tbEUljE_EEESV_SW_SX_S14_S18_S1A_T6_T7_T9_mT8_S1C_bDpT10_ENKUlT_T0_E_clISt17integral_constantIbLb1EES1O_IbLb0EEEEDaS1K_S1L_EUlS1K_E_NS1_11comp_targetILNS1_3genE3ELNS1_11target_archE908ELNS1_3gpuE7ELNS1_3repE0EEENS1_30default_config_static_selectorELNS0_4arch9wavefront6targetE0EEEvSY_
                                        ; -- End function
	.set _ZN7rocprim17ROCPRIM_400000_NS6detail17trampoline_kernelINS0_13select_configILj256ELj13ELNS0_17block_load_methodE3ELS4_3ELS4_3ELNS0_20block_scan_algorithmE0ELj4294967295EEENS1_25partition_config_selectorILNS1_17partition_subalgoE3EjNS0_10empty_typeEbEEZZNS1_14partition_implILS8_3ELb0ES6_jNS0_17counting_iteratorIjlEEPS9_SE_NS0_5tupleIJPjSE_EEENSF_IJSE_SE_EEES9_SG_JZNS1_25segmented_radix_sort_implINS0_14default_configELb1EPKiPiPKlPlN2at6native12_GLOBAL__N_18offset_tEEE10hipError_tPvRmT1_PNSt15iterator_traitsISY_E10value_typeET2_T3_PNSZ_IS14_E10value_typeET4_jRbjT5_S1A_jjP12ihipStream_tbEUljE_EEESV_SW_SX_S14_S18_S1A_T6_T7_T9_mT8_S1C_bDpT10_ENKUlT_T0_E_clISt17integral_constantIbLb1EES1O_IbLb0EEEEDaS1K_S1L_EUlS1K_E_NS1_11comp_targetILNS1_3genE3ELNS1_11target_archE908ELNS1_3gpuE7ELNS1_3repE0EEENS1_30default_config_static_selectorELNS0_4arch9wavefront6targetE0EEEvSY_.num_vgpr, 0
	.set _ZN7rocprim17ROCPRIM_400000_NS6detail17trampoline_kernelINS0_13select_configILj256ELj13ELNS0_17block_load_methodE3ELS4_3ELS4_3ELNS0_20block_scan_algorithmE0ELj4294967295EEENS1_25partition_config_selectorILNS1_17partition_subalgoE3EjNS0_10empty_typeEbEEZZNS1_14partition_implILS8_3ELb0ES6_jNS0_17counting_iteratorIjlEEPS9_SE_NS0_5tupleIJPjSE_EEENSF_IJSE_SE_EEES9_SG_JZNS1_25segmented_radix_sort_implINS0_14default_configELb1EPKiPiPKlPlN2at6native12_GLOBAL__N_18offset_tEEE10hipError_tPvRmT1_PNSt15iterator_traitsISY_E10value_typeET2_T3_PNSZ_IS14_E10value_typeET4_jRbjT5_S1A_jjP12ihipStream_tbEUljE_EEESV_SW_SX_S14_S18_S1A_T6_T7_T9_mT8_S1C_bDpT10_ENKUlT_T0_E_clISt17integral_constantIbLb1EES1O_IbLb0EEEEDaS1K_S1L_EUlS1K_E_NS1_11comp_targetILNS1_3genE3ELNS1_11target_archE908ELNS1_3gpuE7ELNS1_3repE0EEENS1_30default_config_static_selectorELNS0_4arch9wavefront6targetE0EEEvSY_.num_agpr, 0
	.set _ZN7rocprim17ROCPRIM_400000_NS6detail17trampoline_kernelINS0_13select_configILj256ELj13ELNS0_17block_load_methodE3ELS4_3ELS4_3ELNS0_20block_scan_algorithmE0ELj4294967295EEENS1_25partition_config_selectorILNS1_17partition_subalgoE3EjNS0_10empty_typeEbEEZZNS1_14partition_implILS8_3ELb0ES6_jNS0_17counting_iteratorIjlEEPS9_SE_NS0_5tupleIJPjSE_EEENSF_IJSE_SE_EEES9_SG_JZNS1_25segmented_radix_sort_implINS0_14default_configELb1EPKiPiPKlPlN2at6native12_GLOBAL__N_18offset_tEEE10hipError_tPvRmT1_PNSt15iterator_traitsISY_E10value_typeET2_T3_PNSZ_IS14_E10value_typeET4_jRbjT5_S1A_jjP12ihipStream_tbEUljE_EEESV_SW_SX_S14_S18_S1A_T6_T7_T9_mT8_S1C_bDpT10_ENKUlT_T0_E_clISt17integral_constantIbLb1EES1O_IbLb0EEEEDaS1K_S1L_EUlS1K_E_NS1_11comp_targetILNS1_3genE3ELNS1_11target_archE908ELNS1_3gpuE7ELNS1_3repE0EEENS1_30default_config_static_selectorELNS0_4arch9wavefront6targetE0EEEvSY_.numbered_sgpr, 0
	.set _ZN7rocprim17ROCPRIM_400000_NS6detail17trampoline_kernelINS0_13select_configILj256ELj13ELNS0_17block_load_methodE3ELS4_3ELS4_3ELNS0_20block_scan_algorithmE0ELj4294967295EEENS1_25partition_config_selectorILNS1_17partition_subalgoE3EjNS0_10empty_typeEbEEZZNS1_14partition_implILS8_3ELb0ES6_jNS0_17counting_iteratorIjlEEPS9_SE_NS0_5tupleIJPjSE_EEENSF_IJSE_SE_EEES9_SG_JZNS1_25segmented_radix_sort_implINS0_14default_configELb1EPKiPiPKlPlN2at6native12_GLOBAL__N_18offset_tEEE10hipError_tPvRmT1_PNSt15iterator_traitsISY_E10value_typeET2_T3_PNSZ_IS14_E10value_typeET4_jRbjT5_S1A_jjP12ihipStream_tbEUljE_EEESV_SW_SX_S14_S18_S1A_T6_T7_T9_mT8_S1C_bDpT10_ENKUlT_T0_E_clISt17integral_constantIbLb1EES1O_IbLb0EEEEDaS1K_S1L_EUlS1K_E_NS1_11comp_targetILNS1_3genE3ELNS1_11target_archE908ELNS1_3gpuE7ELNS1_3repE0EEENS1_30default_config_static_selectorELNS0_4arch9wavefront6targetE0EEEvSY_.num_named_barrier, 0
	.set _ZN7rocprim17ROCPRIM_400000_NS6detail17trampoline_kernelINS0_13select_configILj256ELj13ELNS0_17block_load_methodE3ELS4_3ELS4_3ELNS0_20block_scan_algorithmE0ELj4294967295EEENS1_25partition_config_selectorILNS1_17partition_subalgoE3EjNS0_10empty_typeEbEEZZNS1_14partition_implILS8_3ELb0ES6_jNS0_17counting_iteratorIjlEEPS9_SE_NS0_5tupleIJPjSE_EEENSF_IJSE_SE_EEES9_SG_JZNS1_25segmented_radix_sort_implINS0_14default_configELb1EPKiPiPKlPlN2at6native12_GLOBAL__N_18offset_tEEE10hipError_tPvRmT1_PNSt15iterator_traitsISY_E10value_typeET2_T3_PNSZ_IS14_E10value_typeET4_jRbjT5_S1A_jjP12ihipStream_tbEUljE_EEESV_SW_SX_S14_S18_S1A_T6_T7_T9_mT8_S1C_bDpT10_ENKUlT_T0_E_clISt17integral_constantIbLb1EES1O_IbLb0EEEEDaS1K_S1L_EUlS1K_E_NS1_11comp_targetILNS1_3genE3ELNS1_11target_archE908ELNS1_3gpuE7ELNS1_3repE0EEENS1_30default_config_static_selectorELNS0_4arch9wavefront6targetE0EEEvSY_.private_seg_size, 0
	.set _ZN7rocprim17ROCPRIM_400000_NS6detail17trampoline_kernelINS0_13select_configILj256ELj13ELNS0_17block_load_methodE3ELS4_3ELS4_3ELNS0_20block_scan_algorithmE0ELj4294967295EEENS1_25partition_config_selectorILNS1_17partition_subalgoE3EjNS0_10empty_typeEbEEZZNS1_14partition_implILS8_3ELb0ES6_jNS0_17counting_iteratorIjlEEPS9_SE_NS0_5tupleIJPjSE_EEENSF_IJSE_SE_EEES9_SG_JZNS1_25segmented_radix_sort_implINS0_14default_configELb1EPKiPiPKlPlN2at6native12_GLOBAL__N_18offset_tEEE10hipError_tPvRmT1_PNSt15iterator_traitsISY_E10value_typeET2_T3_PNSZ_IS14_E10value_typeET4_jRbjT5_S1A_jjP12ihipStream_tbEUljE_EEESV_SW_SX_S14_S18_S1A_T6_T7_T9_mT8_S1C_bDpT10_ENKUlT_T0_E_clISt17integral_constantIbLb1EES1O_IbLb0EEEEDaS1K_S1L_EUlS1K_E_NS1_11comp_targetILNS1_3genE3ELNS1_11target_archE908ELNS1_3gpuE7ELNS1_3repE0EEENS1_30default_config_static_selectorELNS0_4arch9wavefront6targetE0EEEvSY_.uses_vcc, 0
	.set _ZN7rocprim17ROCPRIM_400000_NS6detail17trampoline_kernelINS0_13select_configILj256ELj13ELNS0_17block_load_methodE3ELS4_3ELS4_3ELNS0_20block_scan_algorithmE0ELj4294967295EEENS1_25partition_config_selectorILNS1_17partition_subalgoE3EjNS0_10empty_typeEbEEZZNS1_14partition_implILS8_3ELb0ES6_jNS0_17counting_iteratorIjlEEPS9_SE_NS0_5tupleIJPjSE_EEENSF_IJSE_SE_EEES9_SG_JZNS1_25segmented_radix_sort_implINS0_14default_configELb1EPKiPiPKlPlN2at6native12_GLOBAL__N_18offset_tEEE10hipError_tPvRmT1_PNSt15iterator_traitsISY_E10value_typeET2_T3_PNSZ_IS14_E10value_typeET4_jRbjT5_S1A_jjP12ihipStream_tbEUljE_EEESV_SW_SX_S14_S18_S1A_T6_T7_T9_mT8_S1C_bDpT10_ENKUlT_T0_E_clISt17integral_constantIbLb1EES1O_IbLb0EEEEDaS1K_S1L_EUlS1K_E_NS1_11comp_targetILNS1_3genE3ELNS1_11target_archE908ELNS1_3gpuE7ELNS1_3repE0EEENS1_30default_config_static_selectorELNS0_4arch9wavefront6targetE0EEEvSY_.uses_flat_scratch, 0
	.set _ZN7rocprim17ROCPRIM_400000_NS6detail17trampoline_kernelINS0_13select_configILj256ELj13ELNS0_17block_load_methodE3ELS4_3ELS4_3ELNS0_20block_scan_algorithmE0ELj4294967295EEENS1_25partition_config_selectorILNS1_17partition_subalgoE3EjNS0_10empty_typeEbEEZZNS1_14partition_implILS8_3ELb0ES6_jNS0_17counting_iteratorIjlEEPS9_SE_NS0_5tupleIJPjSE_EEENSF_IJSE_SE_EEES9_SG_JZNS1_25segmented_radix_sort_implINS0_14default_configELb1EPKiPiPKlPlN2at6native12_GLOBAL__N_18offset_tEEE10hipError_tPvRmT1_PNSt15iterator_traitsISY_E10value_typeET2_T3_PNSZ_IS14_E10value_typeET4_jRbjT5_S1A_jjP12ihipStream_tbEUljE_EEESV_SW_SX_S14_S18_S1A_T6_T7_T9_mT8_S1C_bDpT10_ENKUlT_T0_E_clISt17integral_constantIbLb1EES1O_IbLb0EEEEDaS1K_S1L_EUlS1K_E_NS1_11comp_targetILNS1_3genE3ELNS1_11target_archE908ELNS1_3gpuE7ELNS1_3repE0EEENS1_30default_config_static_selectorELNS0_4arch9wavefront6targetE0EEEvSY_.has_dyn_sized_stack, 0
	.set _ZN7rocprim17ROCPRIM_400000_NS6detail17trampoline_kernelINS0_13select_configILj256ELj13ELNS0_17block_load_methodE3ELS4_3ELS4_3ELNS0_20block_scan_algorithmE0ELj4294967295EEENS1_25partition_config_selectorILNS1_17partition_subalgoE3EjNS0_10empty_typeEbEEZZNS1_14partition_implILS8_3ELb0ES6_jNS0_17counting_iteratorIjlEEPS9_SE_NS0_5tupleIJPjSE_EEENSF_IJSE_SE_EEES9_SG_JZNS1_25segmented_radix_sort_implINS0_14default_configELb1EPKiPiPKlPlN2at6native12_GLOBAL__N_18offset_tEEE10hipError_tPvRmT1_PNSt15iterator_traitsISY_E10value_typeET2_T3_PNSZ_IS14_E10value_typeET4_jRbjT5_S1A_jjP12ihipStream_tbEUljE_EEESV_SW_SX_S14_S18_S1A_T6_T7_T9_mT8_S1C_bDpT10_ENKUlT_T0_E_clISt17integral_constantIbLb1EES1O_IbLb0EEEEDaS1K_S1L_EUlS1K_E_NS1_11comp_targetILNS1_3genE3ELNS1_11target_archE908ELNS1_3gpuE7ELNS1_3repE0EEENS1_30default_config_static_selectorELNS0_4arch9wavefront6targetE0EEEvSY_.has_recursion, 0
	.set _ZN7rocprim17ROCPRIM_400000_NS6detail17trampoline_kernelINS0_13select_configILj256ELj13ELNS0_17block_load_methodE3ELS4_3ELS4_3ELNS0_20block_scan_algorithmE0ELj4294967295EEENS1_25partition_config_selectorILNS1_17partition_subalgoE3EjNS0_10empty_typeEbEEZZNS1_14partition_implILS8_3ELb0ES6_jNS0_17counting_iteratorIjlEEPS9_SE_NS0_5tupleIJPjSE_EEENSF_IJSE_SE_EEES9_SG_JZNS1_25segmented_radix_sort_implINS0_14default_configELb1EPKiPiPKlPlN2at6native12_GLOBAL__N_18offset_tEEE10hipError_tPvRmT1_PNSt15iterator_traitsISY_E10value_typeET2_T3_PNSZ_IS14_E10value_typeET4_jRbjT5_S1A_jjP12ihipStream_tbEUljE_EEESV_SW_SX_S14_S18_S1A_T6_T7_T9_mT8_S1C_bDpT10_ENKUlT_T0_E_clISt17integral_constantIbLb1EES1O_IbLb0EEEEDaS1K_S1L_EUlS1K_E_NS1_11comp_targetILNS1_3genE3ELNS1_11target_archE908ELNS1_3gpuE7ELNS1_3repE0EEENS1_30default_config_static_selectorELNS0_4arch9wavefront6targetE0EEEvSY_.has_indirect_call, 0
	.section	.AMDGPU.csdata,"",@progbits
; Kernel info:
; codeLenInByte = 0
; TotalNumSgprs: 0
; NumVgprs: 0
; ScratchSize: 0
; MemoryBound: 0
; FloatMode: 240
; IeeeMode: 1
; LDSByteSize: 0 bytes/workgroup (compile time only)
; SGPRBlocks: 0
; VGPRBlocks: 0
; NumSGPRsForWavesPerEU: 1
; NumVGPRsForWavesPerEU: 1
; Occupancy: 16
; WaveLimiterHint : 0
; COMPUTE_PGM_RSRC2:SCRATCH_EN: 0
; COMPUTE_PGM_RSRC2:USER_SGPR: 6
; COMPUTE_PGM_RSRC2:TRAP_HANDLER: 0
; COMPUTE_PGM_RSRC2:TGID_X_EN: 1
; COMPUTE_PGM_RSRC2:TGID_Y_EN: 0
; COMPUTE_PGM_RSRC2:TGID_Z_EN: 0
; COMPUTE_PGM_RSRC2:TIDIG_COMP_CNT: 0
	.section	.text._ZN7rocprim17ROCPRIM_400000_NS6detail17trampoline_kernelINS0_13select_configILj256ELj13ELNS0_17block_load_methodE3ELS4_3ELS4_3ELNS0_20block_scan_algorithmE0ELj4294967295EEENS1_25partition_config_selectorILNS1_17partition_subalgoE3EjNS0_10empty_typeEbEEZZNS1_14partition_implILS8_3ELb0ES6_jNS0_17counting_iteratorIjlEEPS9_SE_NS0_5tupleIJPjSE_EEENSF_IJSE_SE_EEES9_SG_JZNS1_25segmented_radix_sort_implINS0_14default_configELb1EPKiPiPKlPlN2at6native12_GLOBAL__N_18offset_tEEE10hipError_tPvRmT1_PNSt15iterator_traitsISY_E10value_typeET2_T3_PNSZ_IS14_E10value_typeET4_jRbjT5_S1A_jjP12ihipStream_tbEUljE_EEESV_SW_SX_S14_S18_S1A_T6_T7_T9_mT8_S1C_bDpT10_ENKUlT_T0_E_clISt17integral_constantIbLb1EES1O_IbLb0EEEEDaS1K_S1L_EUlS1K_E_NS1_11comp_targetILNS1_3genE2ELNS1_11target_archE906ELNS1_3gpuE6ELNS1_3repE0EEENS1_30default_config_static_selectorELNS0_4arch9wavefront6targetE0EEEvSY_,"axG",@progbits,_ZN7rocprim17ROCPRIM_400000_NS6detail17trampoline_kernelINS0_13select_configILj256ELj13ELNS0_17block_load_methodE3ELS4_3ELS4_3ELNS0_20block_scan_algorithmE0ELj4294967295EEENS1_25partition_config_selectorILNS1_17partition_subalgoE3EjNS0_10empty_typeEbEEZZNS1_14partition_implILS8_3ELb0ES6_jNS0_17counting_iteratorIjlEEPS9_SE_NS0_5tupleIJPjSE_EEENSF_IJSE_SE_EEES9_SG_JZNS1_25segmented_radix_sort_implINS0_14default_configELb1EPKiPiPKlPlN2at6native12_GLOBAL__N_18offset_tEEE10hipError_tPvRmT1_PNSt15iterator_traitsISY_E10value_typeET2_T3_PNSZ_IS14_E10value_typeET4_jRbjT5_S1A_jjP12ihipStream_tbEUljE_EEESV_SW_SX_S14_S18_S1A_T6_T7_T9_mT8_S1C_bDpT10_ENKUlT_T0_E_clISt17integral_constantIbLb1EES1O_IbLb0EEEEDaS1K_S1L_EUlS1K_E_NS1_11comp_targetILNS1_3genE2ELNS1_11target_archE906ELNS1_3gpuE6ELNS1_3repE0EEENS1_30default_config_static_selectorELNS0_4arch9wavefront6targetE0EEEvSY_,comdat
	.globl	_ZN7rocprim17ROCPRIM_400000_NS6detail17trampoline_kernelINS0_13select_configILj256ELj13ELNS0_17block_load_methodE3ELS4_3ELS4_3ELNS0_20block_scan_algorithmE0ELj4294967295EEENS1_25partition_config_selectorILNS1_17partition_subalgoE3EjNS0_10empty_typeEbEEZZNS1_14partition_implILS8_3ELb0ES6_jNS0_17counting_iteratorIjlEEPS9_SE_NS0_5tupleIJPjSE_EEENSF_IJSE_SE_EEES9_SG_JZNS1_25segmented_radix_sort_implINS0_14default_configELb1EPKiPiPKlPlN2at6native12_GLOBAL__N_18offset_tEEE10hipError_tPvRmT1_PNSt15iterator_traitsISY_E10value_typeET2_T3_PNSZ_IS14_E10value_typeET4_jRbjT5_S1A_jjP12ihipStream_tbEUljE_EEESV_SW_SX_S14_S18_S1A_T6_T7_T9_mT8_S1C_bDpT10_ENKUlT_T0_E_clISt17integral_constantIbLb1EES1O_IbLb0EEEEDaS1K_S1L_EUlS1K_E_NS1_11comp_targetILNS1_3genE2ELNS1_11target_archE906ELNS1_3gpuE6ELNS1_3repE0EEENS1_30default_config_static_selectorELNS0_4arch9wavefront6targetE0EEEvSY_ ; -- Begin function _ZN7rocprim17ROCPRIM_400000_NS6detail17trampoline_kernelINS0_13select_configILj256ELj13ELNS0_17block_load_methodE3ELS4_3ELS4_3ELNS0_20block_scan_algorithmE0ELj4294967295EEENS1_25partition_config_selectorILNS1_17partition_subalgoE3EjNS0_10empty_typeEbEEZZNS1_14partition_implILS8_3ELb0ES6_jNS0_17counting_iteratorIjlEEPS9_SE_NS0_5tupleIJPjSE_EEENSF_IJSE_SE_EEES9_SG_JZNS1_25segmented_radix_sort_implINS0_14default_configELb1EPKiPiPKlPlN2at6native12_GLOBAL__N_18offset_tEEE10hipError_tPvRmT1_PNSt15iterator_traitsISY_E10value_typeET2_T3_PNSZ_IS14_E10value_typeET4_jRbjT5_S1A_jjP12ihipStream_tbEUljE_EEESV_SW_SX_S14_S18_S1A_T6_T7_T9_mT8_S1C_bDpT10_ENKUlT_T0_E_clISt17integral_constantIbLb1EES1O_IbLb0EEEEDaS1K_S1L_EUlS1K_E_NS1_11comp_targetILNS1_3genE2ELNS1_11target_archE906ELNS1_3gpuE6ELNS1_3repE0EEENS1_30default_config_static_selectorELNS0_4arch9wavefront6targetE0EEEvSY_
	.p2align	8
	.type	_ZN7rocprim17ROCPRIM_400000_NS6detail17trampoline_kernelINS0_13select_configILj256ELj13ELNS0_17block_load_methodE3ELS4_3ELS4_3ELNS0_20block_scan_algorithmE0ELj4294967295EEENS1_25partition_config_selectorILNS1_17partition_subalgoE3EjNS0_10empty_typeEbEEZZNS1_14partition_implILS8_3ELb0ES6_jNS0_17counting_iteratorIjlEEPS9_SE_NS0_5tupleIJPjSE_EEENSF_IJSE_SE_EEES9_SG_JZNS1_25segmented_radix_sort_implINS0_14default_configELb1EPKiPiPKlPlN2at6native12_GLOBAL__N_18offset_tEEE10hipError_tPvRmT1_PNSt15iterator_traitsISY_E10value_typeET2_T3_PNSZ_IS14_E10value_typeET4_jRbjT5_S1A_jjP12ihipStream_tbEUljE_EEESV_SW_SX_S14_S18_S1A_T6_T7_T9_mT8_S1C_bDpT10_ENKUlT_T0_E_clISt17integral_constantIbLb1EES1O_IbLb0EEEEDaS1K_S1L_EUlS1K_E_NS1_11comp_targetILNS1_3genE2ELNS1_11target_archE906ELNS1_3gpuE6ELNS1_3repE0EEENS1_30default_config_static_selectorELNS0_4arch9wavefront6targetE0EEEvSY_,@function
_ZN7rocprim17ROCPRIM_400000_NS6detail17trampoline_kernelINS0_13select_configILj256ELj13ELNS0_17block_load_methodE3ELS4_3ELS4_3ELNS0_20block_scan_algorithmE0ELj4294967295EEENS1_25partition_config_selectorILNS1_17partition_subalgoE3EjNS0_10empty_typeEbEEZZNS1_14partition_implILS8_3ELb0ES6_jNS0_17counting_iteratorIjlEEPS9_SE_NS0_5tupleIJPjSE_EEENSF_IJSE_SE_EEES9_SG_JZNS1_25segmented_radix_sort_implINS0_14default_configELb1EPKiPiPKlPlN2at6native12_GLOBAL__N_18offset_tEEE10hipError_tPvRmT1_PNSt15iterator_traitsISY_E10value_typeET2_T3_PNSZ_IS14_E10value_typeET4_jRbjT5_S1A_jjP12ihipStream_tbEUljE_EEESV_SW_SX_S14_S18_S1A_T6_T7_T9_mT8_S1C_bDpT10_ENKUlT_T0_E_clISt17integral_constantIbLb1EES1O_IbLb0EEEEDaS1K_S1L_EUlS1K_E_NS1_11comp_targetILNS1_3genE2ELNS1_11target_archE906ELNS1_3gpuE6ELNS1_3repE0EEENS1_30default_config_static_selectorELNS0_4arch9wavefront6targetE0EEEvSY_: ; @_ZN7rocprim17ROCPRIM_400000_NS6detail17trampoline_kernelINS0_13select_configILj256ELj13ELNS0_17block_load_methodE3ELS4_3ELS4_3ELNS0_20block_scan_algorithmE0ELj4294967295EEENS1_25partition_config_selectorILNS1_17partition_subalgoE3EjNS0_10empty_typeEbEEZZNS1_14partition_implILS8_3ELb0ES6_jNS0_17counting_iteratorIjlEEPS9_SE_NS0_5tupleIJPjSE_EEENSF_IJSE_SE_EEES9_SG_JZNS1_25segmented_radix_sort_implINS0_14default_configELb1EPKiPiPKlPlN2at6native12_GLOBAL__N_18offset_tEEE10hipError_tPvRmT1_PNSt15iterator_traitsISY_E10value_typeET2_T3_PNSZ_IS14_E10value_typeET4_jRbjT5_S1A_jjP12ihipStream_tbEUljE_EEESV_SW_SX_S14_S18_S1A_T6_T7_T9_mT8_S1C_bDpT10_ENKUlT_T0_E_clISt17integral_constantIbLb1EES1O_IbLb0EEEEDaS1K_S1L_EUlS1K_E_NS1_11comp_targetILNS1_3genE2ELNS1_11target_archE906ELNS1_3gpuE6ELNS1_3repE0EEENS1_30default_config_static_selectorELNS0_4arch9wavefront6targetE0EEEvSY_
; %bb.0:
	.section	.rodata,"a",@progbits
	.p2align	6, 0x0
	.amdhsa_kernel _ZN7rocprim17ROCPRIM_400000_NS6detail17trampoline_kernelINS0_13select_configILj256ELj13ELNS0_17block_load_methodE3ELS4_3ELS4_3ELNS0_20block_scan_algorithmE0ELj4294967295EEENS1_25partition_config_selectorILNS1_17partition_subalgoE3EjNS0_10empty_typeEbEEZZNS1_14partition_implILS8_3ELb0ES6_jNS0_17counting_iteratorIjlEEPS9_SE_NS0_5tupleIJPjSE_EEENSF_IJSE_SE_EEES9_SG_JZNS1_25segmented_radix_sort_implINS0_14default_configELb1EPKiPiPKlPlN2at6native12_GLOBAL__N_18offset_tEEE10hipError_tPvRmT1_PNSt15iterator_traitsISY_E10value_typeET2_T3_PNSZ_IS14_E10value_typeET4_jRbjT5_S1A_jjP12ihipStream_tbEUljE_EEESV_SW_SX_S14_S18_S1A_T6_T7_T9_mT8_S1C_bDpT10_ENKUlT_T0_E_clISt17integral_constantIbLb1EES1O_IbLb0EEEEDaS1K_S1L_EUlS1K_E_NS1_11comp_targetILNS1_3genE2ELNS1_11target_archE906ELNS1_3gpuE6ELNS1_3repE0EEENS1_30default_config_static_selectorELNS0_4arch9wavefront6targetE0EEEvSY_
		.amdhsa_group_segment_fixed_size 0
		.amdhsa_private_segment_fixed_size 0
		.amdhsa_kernarg_size 144
		.amdhsa_user_sgpr_count 6
		.amdhsa_user_sgpr_private_segment_buffer 1
		.amdhsa_user_sgpr_dispatch_ptr 0
		.amdhsa_user_sgpr_queue_ptr 0
		.amdhsa_user_sgpr_kernarg_segment_ptr 1
		.amdhsa_user_sgpr_dispatch_id 0
		.amdhsa_user_sgpr_flat_scratch_init 0
		.amdhsa_user_sgpr_private_segment_size 0
		.amdhsa_wavefront_size32 1
		.amdhsa_uses_dynamic_stack 0
		.amdhsa_system_sgpr_private_segment_wavefront_offset 0
		.amdhsa_system_sgpr_workgroup_id_x 1
		.amdhsa_system_sgpr_workgroup_id_y 0
		.amdhsa_system_sgpr_workgroup_id_z 0
		.amdhsa_system_sgpr_workgroup_info 0
		.amdhsa_system_vgpr_workitem_id 0
		.amdhsa_next_free_vgpr 1
		.amdhsa_next_free_sgpr 1
		.amdhsa_reserve_vcc 0
		.amdhsa_reserve_flat_scratch 0
		.amdhsa_float_round_mode_32 0
		.amdhsa_float_round_mode_16_64 0
		.amdhsa_float_denorm_mode_32 3
		.amdhsa_float_denorm_mode_16_64 3
		.amdhsa_dx10_clamp 1
		.amdhsa_ieee_mode 1
		.amdhsa_fp16_overflow 0
		.amdhsa_workgroup_processor_mode 1
		.amdhsa_memory_ordered 1
		.amdhsa_forward_progress 1
		.amdhsa_shared_vgpr_count 0
		.amdhsa_exception_fp_ieee_invalid_op 0
		.amdhsa_exception_fp_denorm_src 0
		.amdhsa_exception_fp_ieee_div_zero 0
		.amdhsa_exception_fp_ieee_overflow 0
		.amdhsa_exception_fp_ieee_underflow 0
		.amdhsa_exception_fp_ieee_inexact 0
		.amdhsa_exception_int_div_zero 0
	.end_amdhsa_kernel
	.section	.text._ZN7rocprim17ROCPRIM_400000_NS6detail17trampoline_kernelINS0_13select_configILj256ELj13ELNS0_17block_load_methodE3ELS4_3ELS4_3ELNS0_20block_scan_algorithmE0ELj4294967295EEENS1_25partition_config_selectorILNS1_17partition_subalgoE3EjNS0_10empty_typeEbEEZZNS1_14partition_implILS8_3ELb0ES6_jNS0_17counting_iteratorIjlEEPS9_SE_NS0_5tupleIJPjSE_EEENSF_IJSE_SE_EEES9_SG_JZNS1_25segmented_radix_sort_implINS0_14default_configELb1EPKiPiPKlPlN2at6native12_GLOBAL__N_18offset_tEEE10hipError_tPvRmT1_PNSt15iterator_traitsISY_E10value_typeET2_T3_PNSZ_IS14_E10value_typeET4_jRbjT5_S1A_jjP12ihipStream_tbEUljE_EEESV_SW_SX_S14_S18_S1A_T6_T7_T9_mT8_S1C_bDpT10_ENKUlT_T0_E_clISt17integral_constantIbLb1EES1O_IbLb0EEEEDaS1K_S1L_EUlS1K_E_NS1_11comp_targetILNS1_3genE2ELNS1_11target_archE906ELNS1_3gpuE6ELNS1_3repE0EEENS1_30default_config_static_selectorELNS0_4arch9wavefront6targetE0EEEvSY_,"axG",@progbits,_ZN7rocprim17ROCPRIM_400000_NS6detail17trampoline_kernelINS0_13select_configILj256ELj13ELNS0_17block_load_methodE3ELS4_3ELS4_3ELNS0_20block_scan_algorithmE0ELj4294967295EEENS1_25partition_config_selectorILNS1_17partition_subalgoE3EjNS0_10empty_typeEbEEZZNS1_14partition_implILS8_3ELb0ES6_jNS0_17counting_iteratorIjlEEPS9_SE_NS0_5tupleIJPjSE_EEENSF_IJSE_SE_EEES9_SG_JZNS1_25segmented_radix_sort_implINS0_14default_configELb1EPKiPiPKlPlN2at6native12_GLOBAL__N_18offset_tEEE10hipError_tPvRmT1_PNSt15iterator_traitsISY_E10value_typeET2_T3_PNSZ_IS14_E10value_typeET4_jRbjT5_S1A_jjP12ihipStream_tbEUljE_EEESV_SW_SX_S14_S18_S1A_T6_T7_T9_mT8_S1C_bDpT10_ENKUlT_T0_E_clISt17integral_constantIbLb1EES1O_IbLb0EEEEDaS1K_S1L_EUlS1K_E_NS1_11comp_targetILNS1_3genE2ELNS1_11target_archE906ELNS1_3gpuE6ELNS1_3repE0EEENS1_30default_config_static_selectorELNS0_4arch9wavefront6targetE0EEEvSY_,comdat
.Lfunc_end481:
	.size	_ZN7rocprim17ROCPRIM_400000_NS6detail17trampoline_kernelINS0_13select_configILj256ELj13ELNS0_17block_load_methodE3ELS4_3ELS4_3ELNS0_20block_scan_algorithmE0ELj4294967295EEENS1_25partition_config_selectorILNS1_17partition_subalgoE3EjNS0_10empty_typeEbEEZZNS1_14partition_implILS8_3ELb0ES6_jNS0_17counting_iteratorIjlEEPS9_SE_NS0_5tupleIJPjSE_EEENSF_IJSE_SE_EEES9_SG_JZNS1_25segmented_radix_sort_implINS0_14default_configELb1EPKiPiPKlPlN2at6native12_GLOBAL__N_18offset_tEEE10hipError_tPvRmT1_PNSt15iterator_traitsISY_E10value_typeET2_T3_PNSZ_IS14_E10value_typeET4_jRbjT5_S1A_jjP12ihipStream_tbEUljE_EEESV_SW_SX_S14_S18_S1A_T6_T7_T9_mT8_S1C_bDpT10_ENKUlT_T0_E_clISt17integral_constantIbLb1EES1O_IbLb0EEEEDaS1K_S1L_EUlS1K_E_NS1_11comp_targetILNS1_3genE2ELNS1_11target_archE906ELNS1_3gpuE6ELNS1_3repE0EEENS1_30default_config_static_selectorELNS0_4arch9wavefront6targetE0EEEvSY_, .Lfunc_end481-_ZN7rocprim17ROCPRIM_400000_NS6detail17trampoline_kernelINS0_13select_configILj256ELj13ELNS0_17block_load_methodE3ELS4_3ELS4_3ELNS0_20block_scan_algorithmE0ELj4294967295EEENS1_25partition_config_selectorILNS1_17partition_subalgoE3EjNS0_10empty_typeEbEEZZNS1_14partition_implILS8_3ELb0ES6_jNS0_17counting_iteratorIjlEEPS9_SE_NS0_5tupleIJPjSE_EEENSF_IJSE_SE_EEES9_SG_JZNS1_25segmented_radix_sort_implINS0_14default_configELb1EPKiPiPKlPlN2at6native12_GLOBAL__N_18offset_tEEE10hipError_tPvRmT1_PNSt15iterator_traitsISY_E10value_typeET2_T3_PNSZ_IS14_E10value_typeET4_jRbjT5_S1A_jjP12ihipStream_tbEUljE_EEESV_SW_SX_S14_S18_S1A_T6_T7_T9_mT8_S1C_bDpT10_ENKUlT_T0_E_clISt17integral_constantIbLb1EES1O_IbLb0EEEEDaS1K_S1L_EUlS1K_E_NS1_11comp_targetILNS1_3genE2ELNS1_11target_archE906ELNS1_3gpuE6ELNS1_3repE0EEENS1_30default_config_static_selectorELNS0_4arch9wavefront6targetE0EEEvSY_
                                        ; -- End function
	.set _ZN7rocprim17ROCPRIM_400000_NS6detail17trampoline_kernelINS0_13select_configILj256ELj13ELNS0_17block_load_methodE3ELS4_3ELS4_3ELNS0_20block_scan_algorithmE0ELj4294967295EEENS1_25partition_config_selectorILNS1_17partition_subalgoE3EjNS0_10empty_typeEbEEZZNS1_14partition_implILS8_3ELb0ES6_jNS0_17counting_iteratorIjlEEPS9_SE_NS0_5tupleIJPjSE_EEENSF_IJSE_SE_EEES9_SG_JZNS1_25segmented_radix_sort_implINS0_14default_configELb1EPKiPiPKlPlN2at6native12_GLOBAL__N_18offset_tEEE10hipError_tPvRmT1_PNSt15iterator_traitsISY_E10value_typeET2_T3_PNSZ_IS14_E10value_typeET4_jRbjT5_S1A_jjP12ihipStream_tbEUljE_EEESV_SW_SX_S14_S18_S1A_T6_T7_T9_mT8_S1C_bDpT10_ENKUlT_T0_E_clISt17integral_constantIbLb1EES1O_IbLb0EEEEDaS1K_S1L_EUlS1K_E_NS1_11comp_targetILNS1_3genE2ELNS1_11target_archE906ELNS1_3gpuE6ELNS1_3repE0EEENS1_30default_config_static_selectorELNS0_4arch9wavefront6targetE0EEEvSY_.num_vgpr, 0
	.set _ZN7rocprim17ROCPRIM_400000_NS6detail17trampoline_kernelINS0_13select_configILj256ELj13ELNS0_17block_load_methodE3ELS4_3ELS4_3ELNS0_20block_scan_algorithmE0ELj4294967295EEENS1_25partition_config_selectorILNS1_17partition_subalgoE3EjNS0_10empty_typeEbEEZZNS1_14partition_implILS8_3ELb0ES6_jNS0_17counting_iteratorIjlEEPS9_SE_NS0_5tupleIJPjSE_EEENSF_IJSE_SE_EEES9_SG_JZNS1_25segmented_radix_sort_implINS0_14default_configELb1EPKiPiPKlPlN2at6native12_GLOBAL__N_18offset_tEEE10hipError_tPvRmT1_PNSt15iterator_traitsISY_E10value_typeET2_T3_PNSZ_IS14_E10value_typeET4_jRbjT5_S1A_jjP12ihipStream_tbEUljE_EEESV_SW_SX_S14_S18_S1A_T6_T7_T9_mT8_S1C_bDpT10_ENKUlT_T0_E_clISt17integral_constantIbLb1EES1O_IbLb0EEEEDaS1K_S1L_EUlS1K_E_NS1_11comp_targetILNS1_3genE2ELNS1_11target_archE906ELNS1_3gpuE6ELNS1_3repE0EEENS1_30default_config_static_selectorELNS0_4arch9wavefront6targetE0EEEvSY_.num_agpr, 0
	.set _ZN7rocprim17ROCPRIM_400000_NS6detail17trampoline_kernelINS0_13select_configILj256ELj13ELNS0_17block_load_methodE3ELS4_3ELS4_3ELNS0_20block_scan_algorithmE0ELj4294967295EEENS1_25partition_config_selectorILNS1_17partition_subalgoE3EjNS0_10empty_typeEbEEZZNS1_14partition_implILS8_3ELb0ES6_jNS0_17counting_iteratorIjlEEPS9_SE_NS0_5tupleIJPjSE_EEENSF_IJSE_SE_EEES9_SG_JZNS1_25segmented_radix_sort_implINS0_14default_configELb1EPKiPiPKlPlN2at6native12_GLOBAL__N_18offset_tEEE10hipError_tPvRmT1_PNSt15iterator_traitsISY_E10value_typeET2_T3_PNSZ_IS14_E10value_typeET4_jRbjT5_S1A_jjP12ihipStream_tbEUljE_EEESV_SW_SX_S14_S18_S1A_T6_T7_T9_mT8_S1C_bDpT10_ENKUlT_T0_E_clISt17integral_constantIbLb1EES1O_IbLb0EEEEDaS1K_S1L_EUlS1K_E_NS1_11comp_targetILNS1_3genE2ELNS1_11target_archE906ELNS1_3gpuE6ELNS1_3repE0EEENS1_30default_config_static_selectorELNS0_4arch9wavefront6targetE0EEEvSY_.numbered_sgpr, 0
	.set _ZN7rocprim17ROCPRIM_400000_NS6detail17trampoline_kernelINS0_13select_configILj256ELj13ELNS0_17block_load_methodE3ELS4_3ELS4_3ELNS0_20block_scan_algorithmE0ELj4294967295EEENS1_25partition_config_selectorILNS1_17partition_subalgoE3EjNS0_10empty_typeEbEEZZNS1_14partition_implILS8_3ELb0ES6_jNS0_17counting_iteratorIjlEEPS9_SE_NS0_5tupleIJPjSE_EEENSF_IJSE_SE_EEES9_SG_JZNS1_25segmented_radix_sort_implINS0_14default_configELb1EPKiPiPKlPlN2at6native12_GLOBAL__N_18offset_tEEE10hipError_tPvRmT1_PNSt15iterator_traitsISY_E10value_typeET2_T3_PNSZ_IS14_E10value_typeET4_jRbjT5_S1A_jjP12ihipStream_tbEUljE_EEESV_SW_SX_S14_S18_S1A_T6_T7_T9_mT8_S1C_bDpT10_ENKUlT_T0_E_clISt17integral_constantIbLb1EES1O_IbLb0EEEEDaS1K_S1L_EUlS1K_E_NS1_11comp_targetILNS1_3genE2ELNS1_11target_archE906ELNS1_3gpuE6ELNS1_3repE0EEENS1_30default_config_static_selectorELNS0_4arch9wavefront6targetE0EEEvSY_.num_named_barrier, 0
	.set _ZN7rocprim17ROCPRIM_400000_NS6detail17trampoline_kernelINS0_13select_configILj256ELj13ELNS0_17block_load_methodE3ELS4_3ELS4_3ELNS0_20block_scan_algorithmE0ELj4294967295EEENS1_25partition_config_selectorILNS1_17partition_subalgoE3EjNS0_10empty_typeEbEEZZNS1_14partition_implILS8_3ELb0ES6_jNS0_17counting_iteratorIjlEEPS9_SE_NS0_5tupleIJPjSE_EEENSF_IJSE_SE_EEES9_SG_JZNS1_25segmented_radix_sort_implINS0_14default_configELb1EPKiPiPKlPlN2at6native12_GLOBAL__N_18offset_tEEE10hipError_tPvRmT1_PNSt15iterator_traitsISY_E10value_typeET2_T3_PNSZ_IS14_E10value_typeET4_jRbjT5_S1A_jjP12ihipStream_tbEUljE_EEESV_SW_SX_S14_S18_S1A_T6_T7_T9_mT8_S1C_bDpT10_ENKUlT_T0_E_clISt17integral_constantIbLb1EES1O_IbLb0EEEEDaS1K_S1L_EUlS1K_E_NS1_11comp_targetILNS1_3genE2ELNS1_11target_archE906ELNS1_3gpuE6ELNS1_3repE0EEENS1_30default_config_static_selectorELNS0_4arch9wavefront6targetE0EEEvSY_.private_seg_size, 0
	.set _ZN7rocprim17ROCPRIM_400000_NS6detail17trampoline_kernelINS0_13select_configILj256ELj13ELNS0_17block_load_methodE3ELS4_3ELS4_3ELNS0_20block_scan_algorithmE0ELj4294967295EEENS1_25partition_config_selectorILNS1_17partition_subalgoE3EjNS0_10empty_typeEbEEZZNS1_14partition_implILS8_3ELb0ES6_jNS0_17counting_iteratorIjlEEPS9_SE_NS0_5tupleIJPjSE_EEENSF_IJSE_SE_EEES9_SG_JZNS1_25segmented_radix_sort_implINS0_14default_configELb1EPKiPiPKlPlN2at6native12_GLOBAL__N_18offset_tEEE10hipError_tPvRmT1_PNSt15iterator_traitsISY_E10value_typeET2_T3_PNSZ_IS14_E10value_typeET4_jRbjT5_S1A_jjP12ihipStream_tbEUljE_EEESV_SW_SX_S14_S18_S1A_T6_T7_T9_mT8_S1C_bDpT10_ENKUlT_T0_E_clISt17integral_constantIbLb1EES1O_IbLb0EEEEDaS1K_S1L_EUlS1K_E_NS1_11comp_targetILNS1_3genE2ELNS1_11target_archE906ELNS1_3gpuE6ELNS1_3repE0EEENS1_30default_config_static_selectorELNS0_4arch9wavefront6targetE0EEEvSY_.uses_vcc, 0
	.set _ZN7rocprim17ROCPRIM_400000_NS6detail17trampoline_kernelINS0_13select_configILj256ELj13ELNS0_17block_load_methodE3ELS4_3ELS4_3ELNS0_20block_scan_algorithmE0ELj4294967295EEENS1_25partition_config_selectorILNS1_17partition_subalgoE3EjNS0_10empty_typeEbEEZZNS1_14partition_implILS8_3ELb0ES6_jNS0_17counting_iteratorIjlEEPS9_SE_NS0_5tupleIJPjSE_EEENSF_IJSE_SE_EEES9_SG_JZNS1_25segmented_radix_sort_implINS0_14default_configELb1EPKiPiPKlPlN2at6native12_GLOBAL__N_18offset_tEEE10hipError_tPvRmT1_PNSt15iterator_traitsISY_E10value_typeET2_T3_PNSZ_IS14_E10value_typeET4_jRbjT5_S1A_jjP12ihipStream_tbEUljE_EEESV_SW_SX_S14_S18_S1A_T6_T7_T9_mT8_S1C_bDpT10_ENKUlT_T0_E_clISt17integral_constantIbLb1EES1O_IbLb0EEEEDaS1K_S1L_EUlS1K_E_NS1_11comp_targetILNS1_3genE2ELNS1_11target_archE906ELNS1_3gpuE6ELNS1_3repE0EEENS1_30default_config_static_selectorELNS0_4arch9wavefront6targetE0EEEvSY_.uses_flat_scratch, 0
	.set _ZN7rocprim17ROCPRIM_400000_NS6detail17trampoline_kernelINS0_13select_configILj256ELj13ELNS0_17block_load_methodE3ELS4_3ELS4_3ELNS0_20block_scan_algorithmE0ELj4294967295EEENS1_25partition_config_selectorILNS1_17partition_subalgoE3EjNS0_10empty_typeEbEEZZNS1_14partition_implILS8_3ELb0ES6_jNS0_17counting_iteratorIjlEEPS9_SE_NS0_5tupleIJPjSE_EEENSF_IJSE_SE_EEES9_SG_JZNS1_25segmented_radix_sort_implINS0_14default_configELb1EPKiPiPKlPlN2at6native12_GLOBAL__N_18offset_tEEE10hipError_tPvRmT1_PNSt15iterator_traitsISY_E10value_typeET2_T3_PNSZ_IS14_E10value_typeET4_jRbjT5_S1A_jjP12ihipStream_tbEUljE_EEESV_SW_SX_S14_S18_S1A_T6_T7_T9_mT8_S1C_bDpT10_ENKUlT_T0_E_clISt17integral_constantIbLb1EES1O_IbLb0EEEEDaS1K_S1L_EUlS1K_E_NS1_11comp_targetILNS1_3genE2ELNS1_11target_archE906ELNS1_3gpuE6ELNS1_3repE0EEENS1_30default_config_static_selectorELNS0_4arch9wavefront6targetE0EEEvSY_.has_dyn_sized_stack, 0
	.set _ZN7rocprim17ROCPRIM_400000_NS6detail17trampoline_kernelINS0_13select_configILj256ELj13ELNS0_17block_load_methodE3ELS4_3ELS4_3ELNS0_20block_scan_algorithmE0ELj4294967295EEENS1_25partition_config_selectorILNS1_17partition_subalgoE3EjNS0_10empty_typeEbEEZZNS1_14partition_implILS8_3ELb0ES6_jNS0_17counting_iteratorIjlEEPS9_SE_NS0_5tupleIJPjSE_EEENSF_IJSE_SE_EEES9_SG_JZNS1_25segmented_radix_sort_implINS0_14default_configELb1EPKiPiPKlPlN2at6native12_GLOBAL__N_18offset_tEEE10hipError_tPvRmT1_PNSt15iterator_traitsISY_E10value_typeET2_T3_PNSZ_IS14_E10value_typeET4_jRbjT5_S1A_jjP12ihipStream_tbEUljE_EEESV_SW_SX_S14_S18_S1A_T6_T7_T9_mT8_S1C_bDpT10_ENKUlT_T0_E_clISt17integral_constantIbLb1EES1O_IbLb0EEEEDaS1K_S1L_EUlS1K_E_NS1_11comp_targetILNS1_3genE2ELNS1_11target_archE906ELNS1_3gpuE6ELNS1_3repE0EEENS1_30default_config_static_selectorELNS0_4arch9wavefront6targetE0EEEvSY_.has_recursion, 0
	.set _ZN7rocprim17ROCPRIM_400000_NS6detail17trampoline_kernelINS0_13select_configILj256ELj13ELNS0_17block_load_methodE3ELS4_3ELS4_3ELNS0_20block_scan_algorithmE0ELj4294967295EEENS1_25partition_config_selectorILNS1_17partition_subalgoE3EjNS0_10empty_typeEbEEZZNS1_14partition_implILS8_3ELb0ES6_jNS0_17counting_iteratorIjlEEPS9_SE_NS0_5tupleIJPjSE_EEENSF_IJSE_SE_EEES9_SG_JZNS1_25segmented_radix_sort_implINS0_14default_configELb1EPKiPiPKlPlN2at6native12_GLOBAL__N_18offset_tEEE10hipError_tPvRmT1_PNSt15iterator_traitsISY_E10value_typeET2_T3_PNSZ_IS14_E10value_typeET4_jRbjT5_S1A_jjP12ihipStream_tbEUljE_EEESV_SW_SX_S14_S18_S1A_T6_T7_T9_mT8_S1C_bDpT10_ENKUlT_T0_E_clISt17integral_constantIbLb1EES1O_IbLb0EEEEDaS1K_S1L_EUlS1K_E_NS1_11comp_targetILNS1_3genE2ELNS1_11target_archE906ELNS1_3gpuE6ELNS1_3repE0EEENS1_30default_config_static_selectorELNS0_4arch9wavefront6targetE0EEEvSY_.has_indirect_call, 0
	.section	.AMDGPU.csdata,"",@progbits
; Kernel info:
; codeLenInByte = 0
; TotalNumSgprs: 0
; NumVgprs: 0
; ScratchSize: 0
; MemoryBound: 0
; FloatMode: 240
; IeeeMode: 1
; LDSByteSize: 0 bytes/workgroup (compile time only)
; SGPRBlocks: 0
; VGPRBlocks: 0
; NumSGPRsForWavesPerEU: 1
; NumVGPRsForWavesPerEU: 1
; Occupancy: 16
; WaveLimiterHint : 0
; COMPUTE_PGM_RSRC2:SCRATCH_EN: 0
; COMPUTE_PGM_RSRC2:USER_SGPR: 6
; COMPUTE_PGM_RSRC2:TRAP_HANDLER: 0
; COMPUTE_PGM_RSRC2:TGID_X_EN: 1
; COMPUTE_PGM_RSRC2:TGID_Y_EN: 0
; COMPUTE_PGM_RSRC2:TGID_Z_EN: 0
; COMPUTE_PGM_RSRC2:TIDIG_COMP_CNT: 0
	.section	.text._ZN7rocprim17ROCPRIM_400000_NS6detail17trampoline_kernelINS0_13select_configILj256ELj13ELNS0_17block_load_methodE3ELS4_3ELS4_3ELNS0_20block_scan_algorithmE0ELj4294967295EEENS1_25partition_config_selectorILNS1_17partition_subalgoE3EjNS0_10empty_typeEbEEZZNS1_14partition_implILS8_3ELb0ES6_jNS0_17counting_iteratorIjlEEPS9_SE_NS0_5tupleIJPjSE_EEENSF_IJSE_SE_EEES9_SG_JZNS1_25segmented_radix_sort_implINS0_14default_configELb1EPKiPiPKlPlN2at6native12_GLOBAL__N_18offset_tEEE10hipError_tPvRmT1_PNSt15iterator_traitsISY_E10value_typeET2_T3_PNSZ_IS14_E10value_typeET4_jRbjT5_S1A_jjP12ihipStream_tbEUljE_EEESV_SW_SX_S14_S18_S1A_T6_T7_T9_mT8_S1C_bDpT10_ENKUlT_T0_E_clISt17integral_constantIbLb1EES1O_IbLb0EEEEDaS1K_S1L_EUlS1K_E_NS1_11comp_targetILNS1_3genE10ELNS1_11target_archE1200ELNS1_3gpuE4ELNS1_3repE0EEENS1_30default_config_static_selectorELNS0_4arch9wavefront6targetE0EEEvSY_,"axG",@progbits,_ZN7rocprim17ROCPRIM_400000_NS6detail17trampoline_kernelINS0_13select_configILj256ELj13ELNS0_17block_load_methodE3ELS4_3ELS4_3ELNS0_20block_scan_algorithmE0ELj4294967295EEENS1_25partition_config_selectorILNS1_17partition_subalgoE3EjNS0_10empty_typeEbEEZZNS1_14partition_implILS8_3ELb0ES6_jNS0_17counting_iteratorIjlEEPS9_SE_NS0_5tupleIJPjSE_EEENSF_IJSE_SE_EEES9_SG_JZNS1_25segmented_radix_sort_implINS0_14default_configELb1EPKiPiPKlPlN2at6native12_GLOBAL__N_18offset_tEEE10hipError_tPvRmT1_PNSt15iterator_traitsISY_E10value_typeET2_T3_PNSZ_IS14_E10value_typeET4_jRbjT5_S1A_jjP12ihipStream_tbEUljE_EEESV_SW_SX_S14_S18_S1A_T6_T7_T9_mT8_S1C_bDpT10_ENKUlT_T0_E_clISt17integral_constantIbLb1EES1O_IbLb0EEEEDaS1K_S1L_EUlS1K_E_NS1_11comp_targetILNS1_3genE10ELNS1_11target_archE1200ELNS1_3gpuE4ELNS1_3repE0EEENS1_30default_config_static_selectorELNS0_4arch9wavefront6targetE0EEEvSY_,comdat
	.globl	_ZN7rocprim17ROCPRIM_400000_NS6detail17trampoline_kernelINS0_13select_configILj256ELj13ELNS0_17block_load_methodE3ELS4_3ELS4_3ELNS0_20block_scan_algorithmE0ELj4294967295EEENS1_25partition_config_selectorILNS1_17partition_subalgoE3EjNS0_10empty_typeEbEEZZNS1_14partition_implILS8_3ELb0ES6_jNS0_17counting_iteratorIjlEEPS9_SE_NS0_5tupleIJPjSE_EEENSF_IJSE_SE_EEES9_SG_JZNS1_25segmented_radix_sort_implINS0_14default_configELb1EPKiPiPKlPlN2at6native12_GLOBAL__N_18offset_tEEE10hipError_tPvRmT1_PNSt15iterator_traitsISY_E10value_typeET2_T3_PNSZ_IS14_E10value_typeET4_jRbjT5_S1A_jjP12ihipStream_tbEUljE_EEESV_SW_SX_S14_S18_S1A_T6_T7_T9_mT8_S1C_bDpT10_ENKUlT_T0_E_clISt17integral_constantIbLb1EES1O_IbLb0EEEEDaS1K_S1L_EUlS1K_E_NS1_11comp_targetILNS1_3genE10ELNS1_11target_archE1200ELNS1_3gpuE4ELNS1_3repE0EEENS1_30default_config_static_selectorELNS0_4arch9wavefront6targetE0EEEvSY_ ; -- Begin function _ZN7rocprim17ROCPRIM_400000_NS6detail17trampoline_kernelINS0_13select_configILj256ELj13ELNS0_17block_load_methodE3ELS4_3ELS4_3ELNS0_20block_scan_algorithmE0ELj4294967295EEENS1_25partition_config_selectorILNS1_17partition_subalgoE3EjNS0_10empty_typeEbEEZZNS1_14partition_implILS8_3ELb0ES6_jNS0_17counting_iteratorIjlEEPS9_SE_NS0_5tupleIJPjSE_EEENSF_IJSE_SE_EEES9_SG_JZNS1_25segmented_radix_sort_implINS0_14default_configELb1EPKiPiPKlPlN2at6native12_GLOBAL__N_18offset_tEEE10hipError_tPvRmT1_PNSt15iterator_traitsISY_E10value_typeET2_T3_PNSZ_IS14_E10value_typeET4_jRbjT5_S1A_jjP12ihipStream_tbEUljE_EEESV_SW_SX_S14_S18_S1A_T6_T7_T9_mT8_S1C_bDpT10_ENKUlT_T0_E_clISt17integral_constantIbLb1EES1O_IbLb0EEEEDaS1K_S1L_EUlS1K_E_NS1_11comp_targetILNS1_3genE10ELNS1_11target_archE1200ELNS1_3gpuE4ELNS1_3repE0EEENS1_30default_config_static_selectorELNS0_4arch9wavefront6targetE0EEEvSY_
	.p2align	8
	.type	_ZN7rocprim17ROCPRIM_400000_NS6detail17trampoline_kernelINS0_13select_configILj256ELj13ELNS0_17block_load_methodE3ELS4_3ELS4_3ELNS0_20block_scan_algorithmE0ELj4294967295EEENS1_25partition_config_selectorILNS1_17partition_subalgoE3EjNS0_10empty_typeEbEEZZNS1_14partition_implILS8_3ELb0ES6_jNS0_17counting_iteratorIjlEEPS9_SE_NS0_5tupleIJPjSE_EEENSF_IJSE_SE_EEES9_SG_JZNS1_25segmented_radix_sort_implINS0_14default_configELb1EPKiPiPKlPlN2at6native12_GLOBAL__N_18offset_tEEE10hipError_tPvRmT1_PNSt15iterator_traitsISY_E10value_typeET2_T3_PNSZ_IS14_E10value_typeET4_jRbjT5_S1A_jjP12ihipStream_tbEUljE_EEESV_SW_SX_S14_S18_S1A_T6_T7_T9_mT8_S1C_bDpT10_ENKUlT_T0_E_clISt17integral_constantIbLb1EES1O_IbLb0EEEEDaS1K_S1L_EUlS1K_E_NS1_11comp_targetILNS1_3genE10ELNS1_11target_archE1200ELNS1_3gpuE4ELNS1_3repE0EEENS1_30default_config_static_selectorELNS0_4arch9wavefront6targetE0EEEvSY_,@function
_ZN7rocprim17ROCPRIM_400000_NS6detail17trampoline_kernelINS0_13select_configILj256ELj13ELNS0_17block_load_methodE3ELS4_3ELS4_3ELNS0_20block_scan_algorithmE0ELj4294967295EEENS1_25partition_config_selectorILNS1_17partition_subalgoE3EjNS0_10empty_typeEbEEZZNS1_14partition_implILS8_3ELb0ES6_jNS0_17counting_iteratorIjlEEPS9_SE_NS0_5tupleIJPjSE_EEENSF_IJSE_SE_EEES9_SG_JZNS1_25segmented_radix_sort_implINS0_14default_configELb1EPKiPiPKlPlN2at6native12_GLOBAL__N_18offset_tEEE10hipError_tPvRmT1_PNSt15iterator_traitsISY_E10value_typeET2_T3_PNSZ_IS14_E10value_typeET4_jRbjT5_S1A_jjP12ihipStream_tbEUljE_EEESV_SW_SX_S14_S18_S1A_T6_T7_T9_mT8_S1C_bDpT10_ENKUlT_T0_E_clISt17integral_constantIbLb1EES1O_IbLb0EEEEDaS1K_S1L_EUlS1K_E_NS1_11comp_targetILNS1_3genE10ELNS1_11target_archE1200ELNS1_3gpuE4ELNS1_3repE0EEENS1_30default_config_static_selectorELNS0_4arch9wavefront6targetE0EEEvSY_: ; @_ZN7rocprim17ROCPRIM_400000_NS6detail17trampoline_kernelINS0_13select_configILj256ELj13ELNS0_17block_load_methodE3ELS4_3ELS4_3ELNS0_20block_scan_algorithmE0ELj4294967295EEENS1_25partition_config_selectorILNS1_17partition_subalgoE3EjNS0_10empty_typeEbEEZZNS1_14partition_implILS8_3ELb0ES6_jNS0_17counting_iteratorIjlEEPS9_SE_NS0_5tupleIJPjSE_EEENSF_IJSE_SE_EEES9_SG_JZNS1_25segmented_radix_sort_implINS0_14default_configELb1EPKiPiPKlPlN2at6native12_GLOBAL__N_18offset_tEEE10hipError_tPvRmT1_PNSt15iterator_traitsISY_E10value_typeET2_T3_PNSZ_IS14_E10value_typeET4_jRbjT5_S1A_jjP12ihipStream_tbEUljE_EEESV_SW_SX_S14_S18_S1A_T6_T7_T9_mT8_S1C_bDpT10_ENKUlT_T0_E_clISt17integral_constantIbLb1EES1O_IbLb0EEEEDaS1K_S1L_EUlS1K_E_NS1_11comp_targetILNS1_3genE10ELNS1_11target_archE1200ELNS1_3gpuE4ELNS1_3repE0EEENS1_30default_config_static_selectorELNS0_4arch9wavefront6targetE0EEEvSY_
; %bb.0:
	.section	.rodata,"a",@progbits
	.p2align	6, 0x0
	.amdhsa_kernel _ZN7rocprim17ROCPRIM_400000_NS6detail17trampoline_kernelINS0_13select_configILj256ELj13ELNS0_17block_load_methodE3ELS4_3ELS4_3ELNS0_20block_scan_algorithmE0ELj4294967295EEENS1_25partition_config_selectorILNS1_17partition_subalgoE3EjNS0_10empty_typeEbEEZZNS1_14partition_implILS8_3ELb0ES6_jNS0_17counting_iteratorIjlEEPS9_SE_NS0_5tupleIJPjSE_EEENSF_IJSE_SE_EEES9_SG_JZNS1_25segmented_radix_sort_implINS0_14default_configELb1EPKiPiPKlPlN2at6native12_GLOBAL__N_18offset_tEEE10hipError_tPvRmT1_PNSt15iterator_traitsISY_E10value_typeET2_T3_PNSZ_IS14_E10value_typeET4_jRbjT5_S1A_jjP12ihipStream_tbEUljE_EEESV_SW_SX_S14_S18_S1A_T6_T7_T9_mT8_S1C_bDpT10_ENKUlT_T0_E_clISt17integral_constantIbLb1EES1O_IbLb0EEEEDaS1K_S1L_EUlS1K_E_NS1_11comp_targetILNS1_3genE10ELNS1_11target_archE1200ELNS1_3gpuE4ELNS1_3repE0EEENS1_30default_config_static_selectorELNS0_4arch9wavefront6targetE0EEEvSY_
		.amdhsa_group_segment_fixed_size 0
		.amdhsa_private_segment_fixed_size 0
		.amdhsa_kernarg_size 144
		.amdhsa_user_sgpr_count 6
		.amdhsa_user_sgpr_private_segment_buffer 1
		.amdhsa_user_sgpr_dispatch_ptr 0
		.amdhsa_user_sgpr_queue_ptr 0
		.amdhsa_user_sgpr_kernarg_segment_ptr 1
		.amdhsa_user_sgpr_dispatch_id 0
		.amdhsa_user_sgpr_flat_scratch_init 0
		.amdhsa_user_sgpr_private_segment_size 0
		.amdhsa_wavefront_size32 1
		.amdhsa_uses_dynamic_stack 0
		.amdhsa_system_sgpr_private_segment_wavefront_offset 0
		.amdhsa_system_sgpr_workgroup_id_x 1
		.amdhsa_system_sgpr_workgroup_id_y 0
		.amdhsa_system_sgpr_workgroup_id_z 0
		.amdhsa_system_sgpr_workgroup_info 0
		.amdhsa_system_vgpr_workitem_id 0
		.amdhsa_next_free_vgpr 1
		.amdhsa_next_free_sgpr 1
		.amdhsa_reserve_vcc 0
		.amdhsa_reserve_flat_scratch 0
		.amdhsa_float_round_mode_32 0
		.amdhsa_float_round_mode_16_64 0
		.amdhsa_float_denorm_mode_32 3
		.amdhsa_float_denorm_mode_16_64 3
		.amdhsa_dx10_clamp 1
		.amdhsa_ieee_mode 1
		.amdhsa_fp16_overflow 0
		.amdhsa_workgroup_processor_mode 1
		.amdhsa_memory_ordered 1
		.amdhsa_forward_progress 1
		.amdhsa_shared_vgpr_count 0
		.amdhsa_exception_fp_ieee_invalid_op 0
		.amdhsa_exception_fp_denorm_src 0
		.amdhsa_exception_fp_ieee_div_zero 0
		.amdhsa_exception_fp_ieee_overflow 0
		.amdhsa_exception_fp_ieee_underflow 0
		.amdhsa_exception_fp_ieee_inexact 0
		.amdhsa_exception_int_div_zero 0
	.end_amdhsa_kernel
	.section	.text._ZN7rocprim17ROCPRIM_400000_NS6detail17trampoline_kernelINS0_13select_configILj256ELj13ELNS0_17block_load_methodE3ELS4_3ELS4_3ELNS0_20block_scan_algorithmE0ELj4294967295EEENS1_25partition_config_selectorILNS1_17partition_subalgoE3EjNS0_10empty_typeEbEEZZNS1_14partition_implILS8_3ELb0ES6_jNS0_17counting_iteratorIjlEEPS9_SE_NS0_5tupleIJPjSE_EEENSF_IJSE_SE_EEES9_SG_JZNS1_25segmented_radix_sort_implINS0_14default_configELb1EPKiPiPKlPlN2at6native12_GLOBAL__N_18offset_tEEE10hipError_tPvRmT1_PNSt15iterator_traitsISY_E10value_typeET2_T3_PNSZ_IS14_E10value_typeET4_jRbjT5_S1A_jjP12ihipStream_tbEUljE_EEESV_SW_SX_S14_S18_S1A_T6_T7_T9_mT8_S1C_bDpT10_ENKUlT_T0_E_clISt17integral_constantIbLb1EES1O_IbLb0EEEEDaS1K_S1L_EUlS1K_E_NS1_11comp_targetILNS1_3genE10ELNS1_11target_archE1200ELNS1_3gpuE4ELNS1_3repE0EEENS1_30default_config_static_selectorELNS0_4arch9wavefront6targetE0EEEvSY_,"axG",@progbits,_ZN7rocprim17ROCPRIM_400000_NS6detail17trampoline_kernelINS0_13select_configILj256ELj13ELNS0_17block_load_methodE3ELS4_3ELS4_3ELNS0_20block_scan_algorithmE0ELj4294967295EEENS1_25partition_config_selectorILNS1_17partition_subalgoE3EjNS0_10empty_typeEbEEZZNS1_14partition_implILS8_3ELb0ES6_jNS0_17counting_iteratorIjlEEPS9_SE_NS0_5tupleIJPjSE_EEENSF_IJSE_SE_EEES9_SG_JZNS1_25segmented_radix_sort_implINS0_14default_configELb1EPKiPiPKlPlN2at6native12_GLOBAL__N_18offset_tEEE10hipError_tPvRmT1_PNSt15iterator_traitsISY_E10value_typeET2_T3_PNSZ_IS14_E10value_typeET4_jRbjT5_S1A_jjP12ihipStream_tbEUljE_EEESV_SW_SX_S14_S18_S1A_T6_T7_T9_mT8_S1C_bDpT10_ENKUlT_T0_E_clISt17integral_constantIbLb1EES1O_IbLb0EEEEDaS1K_S1L_EUlS1K_E_NS1_11comp_targetILNS1_3genE10ELNS1_11target_archE1200ELNS1_3gpuE4ELNS1_3repE0EEENS1_30default_config_static_selectorELNS0_4arch9wavefront6targetE0EEEvSY_,comdat
.Lfunc_end482:
	.size	_ZN7rocprim17ROCPRIM_400000_NS6detail17trampoline_kernelINS0_13select_configILj256ELj13ELNS0_17block_load_methodE3ELS4_3ELS4_3ELNS0_20block_scan_algorithmE0ELj4294967295EEENS1_25partition_config_selectorILNS1_17partition_subalgoE3EjNS0_10empty_typeEbEEZZNS1_14partition_implILS8_3ELb0ES6_jNS0_17counting_iteratorIjlEEPS9_SE_NS0_5tupleIJPjSE_EEENSF_IJSE_SE_EEES9_SG_JZNS1_25segmented_radix_sort_implINS0_14default_configELb1EPKiPiPKlPlN2at6native12_GLOBAL__N_18offset_tEEE10hipError_tPvRmT1_PNSt15iterator_traitsISY_E10value_typeET2_T3_PNSZ_IS14_E10value_typeET4_jRbjT5_S1A_jjP12ihipStream_tbEUljE_EEESV_SW_SX_S14_S18_S1A_T6_T7_T9_mT8_S1C_bDpT10_ENKUlT_T0_E_clISt17integral_constantIbLb1EES1O_IbLb0EEEEDaS1K_S1L_EUlS1K_E_NS1_11comp_targetILNS1_3genE10ELNS1_11target_archE1200ELNS1_3gpuE4ELNS1_3repE0EEENS1_30default_config_static_selectorELNS0_4arch9wavefront6targetE0EEEvSY_, .Lfunc_end482-_ZN7rocprim17ROCPRIM_400000_NS6detail17trampoline_kernelINS0_13select_configILj256ELj13ELNS0_17block_load_methodE3ELS4_3ELS4_3ELNS0_20block_scan_algorithmE0ELj4294967295EEENS1_25partition_config_selectorILNS1_17partition_subalgoE3EjNS0_10empty_typeEbEEZZNS1_14partition_implILS8_3ELb0ES6_jNS0_17counting_iteratorIjlEEPS9_SE_NS0_5tupleIJPjSE_EEENSF_IJSE_SE_EEES9_SG_JZNS1_25segmented_radix_sort_implINS0_14default_configELb1EPKiPiPKlPlN2at6native12_GLOBAL__N_18offset_tEEE10hipError_tPvRmT1_PNSt15iterator_traitsISY_E10value_typeET2_T3_PNSZ_IS14_E10value_typeET4_jRbjT5_S1A_jjP12ihipStream_tbEUljE_EEESV_SW_SX_S14_S18_S1A_T6_T7_T9_mT8_S1C_bDpT10_ENKUlT_T0_E_clISt17integral_constantIbLb1EES1O_IbLb0EEEEDaS1K_S1L_EUlS1K_E_NS1_11comp_targetILNS1_3genE10ELNS1_11target_archE1200ELNS1_3gpuE4ELNS1_3repE0EEENS1_30default_config_static_selectorELNS0_4arch9wavefront6targetE0EEEvSY_
                                        ; -- End function
	.set _ZN7rocprim17ROCPRIM_400000_NS6detail17trampoline_kernelINS0_13select_configILj256ELj13ELNS0_17block_load_methodE3ELS4_3ELS4_3ELNS0_20block_scan_algorithmE0ELj4294967295EEENS1_25partition_config_selectorILNS1_17partition_subalgoE3EjNS0_10empty_typeEbEEZZNS1_14partition_implILS8_3ELb0ES6_jNS0_17counting_iteratorIjlEEPS9_SE_NS0_5tupleIJPjSE_EEENSF_IJSE_SE_EEES9_SG_JZNS1_25segmented_radix_sort_implINS0_14default_configELb1EPKiPiPKlPlN2at6native12_GLOBAL__N_18offset_tEEE10hipError_tPvRmT1_PNSt15iterator_traitsISY_E10value_typeET2_T3_PNSZ_IS14_E10value_typeET4_jRbjT5_S1A_jjP12ihipStream_tbEUljE_EEESV_SW_SX_S14_S18_S1A_T6_T7_T9_mT8_S1C_bDpT10_ENKUlT_T0_E_clISt17integral_constantIbLb1EES1O_IbLb0EEEEDaS1K_S1L_EUlS1K_E_NS1_11comp_targetILNS1_3genE10ELNS1_11target_archE1200ELNS1_3gpuE4ELNS1_3repE0EEENS1_30default_config_static_selectorELNS0_4arch9wavefront6targetE0EEEvSY_.num_vgpr, 0
	.set _ZN7rocprim17ROCPRIM_400000_NS6detail17trampoline_kernelINS0_13select_configILj256ELj13ELNS0_17block_load_methodE3ELS4_3ELS4_3ELNS0_20block_scan_algorithmE0ELj4294967295EEENS1_25partition_config_selectorILNS1_17partition_subalgoE3EjNS0_10empty_typeEbEEZZNS1_14partition_implILS8_3ELb0ES6_jNS0_17counting_iteratorIjlEEPS9_SE_NS0_5tupleIJPjSE_EEENSF_IJSE_SE_EEES9_SG_JZNS1_25segmented_radix_sort_implINS0_14default_configELb1EPKiPiPKlPlN2at6native12_GLOBAL__N_18offset_tEEE10hipError_tPvRmT1_PNSt15iterator_traitsISY_E10value_typeET2_T3_PNSZ_IS14_E10value_typeET4_jRbjT5_S1A_jjP12ihipStream_tbEUljE_EEESV_SW_SX_S14_S18_S1A_T6_T7_T9_mT8_S1C_bDpT10_ENKUlT_T0_E_clISt17integral_constantIbLb1EES1O_IbLb0EEEEDaS1K_S1L_EUlS1K_E_NS1_11comp_targetILNS1_3genE10ELNS1_11target_archE1200ELNS1_3gpuE4ELNS1_3repE0EEENS1_30default_config_static_selectorELNS0_4arch9wavefront6targetE0EEEvSY_.num_agpr, 0
	.set _ZN7rocprim17ROCPRIM_400000_NS6detail17trampoline_kernelINS0_13select_configILj256ELj13ELNS0_17block_load_methodE3ELS4_3ELS4_3ELNS0_20block_scan_algorithmE0ELj4294967295EEENS1_25partition_config_selectorILNS1_17partition_subalgoE3EjNS0_10empty_typeEbEEZZNS1_14partition_implILS8_3ELb0ES6_jNS0_17counting_iteratorIjlEEPS9_SE_NS0_5tupleIJPjSE_EEENSF_IJSE_SE_EEES9_SG_JZNS1_25segmented_radix_sort_implINS0_14default_configELb1EPKiPiPKlPlN2at6native12_GLOBAL__N_18offset_tEEE10hipError_tPvRmT1_PNSt15iterator_traitsISY_E10value_typeET2_T3_PNSZ_IS14_E10value_typeET4_jRbjT5_S1A_jjP12ihipStream_tbEUljE_EEESV_SW_SX_S14_S18_S1A_T6_T7_T9_mT8_S1C_bDpT10_ENKUlT_T0_E_clISt17integral_constantIbLb1EES1O_IbLb0EEEEDaS1K_S1L_EUlS1K_E_NS1_11comp_targetILNS1_3genE10ELNS1_11target_archE1200ELNS1_3gpuE4ELNS1_3repE0EEENS1_30default_config_static_selectorELNS0_4arch9wavefront6targetE0EEEvSY_.numbered_sgpr, 0
	.set _ZN7rocprim17ROCPRIM_400000_NS6detail17trampoline_kernelINS0_13select_configILj256ELj13ELNS0_17block_load_methodE3ELS4_3ELS4_3ELNS0_20block_scan_algorithmE0ELj4294967295EEENS1_25partition_config_selectorILNS1_17partition_subalgoE3EjNS0_10empty_typeEbEEZZNS1_14partition_implILS8_3ELb0ES6_jNS0_17counting_iteratorIjlEEPS9_SE_NS0_5tupleIJPjSE_EEENSF_IJSE_SE_EEES9_SG_JZNS1_25segmented_radix_sort_implINS0_14default_configELb1EPKiPiPKlPlN2at6native12_GLOBAL__N_18offset_tEEE10hipError_tPvRmT1_PNSt15iterator_traitsISY_E10value_typeET2_T3_PNSZ_IS14_E10value_typeET4_jRbjT5_S1A_jjP12ihipStream_tbEUljE_EEESV_SW_SX_S14_S18_S1A_T6_T7_T9_mT8_S1C_bDpT10_ENKUlT_T0_E_clISt17integral_constantIbLb1EES1O_IbLb0EEEEDaS1K_S1L_EUlS1K_E_NS1_11comp_targetILNS1_3genE10ELNS1_11target_archE1200ELNS1_3gpuE4ELNS1_3repE0EEENS1_30default_config_static_selectorELNS0_4arch9wavefront6targetE0EEEvSY_.num_named_barrier, 0
	.set _ZN7rocprim17ROCPRIM_400000_NS6detail17trampoline_kernelINS0_13select_configILj256ELj13ELNS0_17block_load_methodE3ELS4_3ELS4_3ELNS0_20block_scan_algorithmE0ELj4294967295EEENS1_25partition_config_selectorILNS1_17partition_subalgoE3EjNS0_10empty_typeEbEEZZNS1_14partition_implILS8_3ELb0ES6_jNS0_17counting_iteratorIjlEEPS9_SE_NS0_5tupleIJPjSE_EEENSF_IJSE_SE_EEES9_SG_JZNS1_25segmented_radix_sort_implINS0_14default_configELb1EPKiPiPKlPlN2at6native12_GLOBAL__N_18offset_tEEE10hipError_tPvRmT1_PNSt15iterator_traitsISY_E10value_typeET2_T3_PNSZ_IS14_E10value_typeET4_jRbjT5_S1A_jjP12ihipStream_tbEUljE_EEESV_SW_SX_S14_S18_S1A_T6_T7_T9_mT8_S1C_bDpT10_ENKUlT_T0_E_clISt17integral_constantIbLb1EES1O_IbLb0EEEEDaS1K_S1L_EUlS1K_E_NS1_11comp_targetILNS1_3genE10ELNS1_11target_archE1200ELNS1_3gpuE4ELNS1_3repE0EEENS1_30default_config_static_selectorELNS0_4arch9wavefront6targetE0EEEvSY_.private_seg_size, 0
	.set _ZN7rocprim17ROCPRIM_400000_NS6detail17trampoline_kernelINS0_13select_configILj256ELj13ELNS0_17block_load_methodE3ELS4_3ELS4_3ELNS0_20block_scan_algorithmE0ELj4294967295EEENS1_25partition_config_selectorILNS1_17partition_subalgoE3EjNS0_10empty_typeEbEEZZNS1_14partition_implILS8_3ELb0ES6_jNS0_17counting_iteratorIjlEEPS9_SE_NS0_5tupleIJPjSE_EEENSF_IJSE_SE_EEES9_SG_JZNS1_25segmented_radix_sort_implINS0_14default_configELb1EPKiPiPKlPlN2at6native12_GLOBAL__N_18offset_tEEE10hipError_tPvRmT1_PNSt15iterator_traitsISY_E10value_typeET2_T3_PNSZ_IS14_E10value_typeET4_jRbjT5_S1A_jjP12ihipStream_tbEUljE_EEESV_SW_SX_S14_S18_S1A_T6_T7_T9_mT8_S1C_bDpT10_ENKUlT_T0_E_clISt17integral_constantIbLb1EES1O_IbLb0EEEEDaS1K_S1L_EUlS1K_E_NS1_11comp_targetILNS1_3genE10ELNS1_11target_archE1200ELNS1_3gpuE4ELNS1_3repE0EEENS1_30default_config_static_selectorELNS0_4arch9wavefront6targetE0EEEvSY_.uses_vcc, 0
	.set _ZN7rocprim17ROCPRIM_400000_NS6detail17trampoline_kernelINS0_13select_configILj256ELj13ELNS0_17block_load_methodE3ELS4_3ELS4_3ELNS0_20block_scan_algorithmE0ELj4294967295EEENS1_25partition_config_selectorILNS1_17partition_subalgoE3EjNS0_10empty_typeEbEEZZNS1_14partition_implILS8_3ELb0ES6_jNS0_17counting_iteratorIjlEEPS9_SE_NS0_5tupleIJPjSE_EEENSF_IJSE_SE_EEES9_SG_JZNS1_25segmented_radix_sort_implINS0_14default_configELb1EPKiPiPKlPlN2at6native12_GLOBAL__N_18offset_tEEE10hipError_tPvRmT1_PNSt15iterator_traitsISY_E10value_typeET2_T3_PNSZ_IS14_E10value_typeET4_jRbjT5_S1A_jjP12ihipStream_tbEUljE_EEESV_SW_SX_S14_S18_S1A_T6_T7_T9_mT8_S1C_bDpT10_ENKUlT_T0_E_clISt17integral_constantIbLb1EES1O_IbLb0EEEEDaS1K_S1L_EUlS1K_E_NS1_11comp_targetILNS1_3genE10ELNS1_11target_archE1200ELNS1_3gpuE4ELNS1_3repE0EEENS1_30default_config_static_selectorELNS0_4arch9wavefront6targetE0EEEvSY_.uses_flat_scratch, 0
	.set _ZN7rocprim17ROCPRIM_400000_NS6detail17trampoline_kernelINS0_13select_configILj256ELj13ELNS0_17block_load_methodE3ELS4_3ELS4_3ELNS0_20block_scan_algorithmE0ELj4294967295EEENS1_25partition_config_selectorILNS1_17partition_subalgoE3EjNS0_10empty_typeEbEEZZNS1_14partition_implILS8_3ELb0ES6_jNS0_17counting_iteratorIjlEEPS9_SE_NS0_5tupleIJPjSE_EEENSF_IJSE_SE_EEES9_SG_JZNS1_25segmented_radix_sort_implINS0_14default_configELb1EPKiPiPKlPlN2at6native12_GLOBAL__N_18offset_tEEE10hipError_tPvRmT1_PNSt15iterator_traitsISY_E10value_typeET2_T3_PNSZ_IS14_E10value_typeET4_jRbjT5_S1A_jjP12ihipStream_tbEUljE_EEESV_SW_SX_S14_S18_S1A_T6_T7_T9_mT8_S1C_bDpT10_ENKUlT_T0_E_clISt17integral_constantIbLb1EES1O_IbLb0EEEEDaS1K_S1L_EUlS1K_E_NS1_11comp_targetILNS1_3genE10ELNS1_11target_archE1200ELNS1_3gpuE4ELNS1_3repE0EEENS1_30default_config_static_selectorELNS0_4arch9wavefront6targetE0EEEvSY_.has_dyn_sized_stack, 0
	.set _ZN7rocprim17ROCPRIM_400000_NS6detail17trampoline_kernelINS0_13select_configILj256ELj13ELNS0_17block_load_methodE3ELS4_3ELS4_3ELNS0_20block_scan_algorithmE0ELj4294967295EEENS1_25partition_config_selectorILNS1_17partition_subalgoE3EjNS0_10empty_typeEbEEZZNS1_14partition_implILS8_3ELb0ES6_jNS0_17counting_iteratorIjlEEPS9_SE_NS0_5tupleIJPjSE_EEENSF_IJSE_SE_EEES9_SG_JZNS1_25segmented_radix_sort_implINS0_14default_configELb1EPKiPiPKlPlN2at6native12_GLOBAL__N_18offset_tEEE10hipError_tPvRmT1_PNSt15iterator_traitsISY_E10value_typeET2_T3_PNSZ_IS14_E10value_typeET4_jRbjT5_S1A_jjP12ihipStream_tbEUljE_EEESV_SW_SX_S14_S18_S1A_T6_T7_T9_mT8_S1C_bDpT10_ENKUlT_T0_E_clISt17integral_constantIbLb1EES1O_IbLb0EEEEDaS1K_S1L_EUlS1K_E_NS1_11comp_targetILNS1_3genE10ELNS1_11target_archE1200ELNS1_3gpuE4ELNS1_3repE0EEENS1_30default_config_static_selectorELNS0_4arch9wavefront6targetE0EEEvSY_.has_recursion, 0
	.set _ZN7rocprim17ROCPRIM_400000_NS6detail17trampoline_kernelINS0_13select_configILj256ELj13ELNS0_17block_load_methodE3ELS4_3ELS4_3ELNS0_20block_scan_algorithmE0ELj4294967295EEENS1_25partition_config_selectorILNS1_17partition_subalgoE3EjNS0_10empty_typeEbEEZZNS1_14partition_implILS8_3ELb0ES6_jNS0_17counting_iteratorIjlEEPS9_SE_NS0_5tupleIJPjSE_EEENSF_IJSE_SE_EEES9_SG_JZNS1_25segmented_radix_sort_implINS0_14default_configELb1EPKiPiPKlPlN2at6native12_GLOBAL__N_18offset_tEEE10hipError_tPvRmT1_PNSt15iterator_traitsISY_E10value_typeET2_T3_PNSZ_IS14_E10value_typeET4_jRbjT5_S1A_jjP12ihipStream_tbEUljE_EEESV_SW_SX_S14_S18_S1A_T6_T7_T9_mT8_S1C_bDpT10_ENKUlT_T0_E_clISt17integral_constantIbLb1EES1O_IbLb0EEEEDaS1K_S1L_EUlS1K_E_NS1_11comp_targetILNS1_3genE10ELNS1_11target_archE1200ELNS1_3gpuE4ELNS1_3repE0EEENS1_30default_config_static_selectorELNS0_4arch9wavefront6targetE0EEEvSY_.has_indirect_call, 0
	.section	.AMDGPU.csdata,"",@progbits
; Kernel info:
; codeLenInByte = 0
; TotalNumSgprs: 0
; NumVgprs: 0
; ScratchSize: 0
; MemoryBound: 0
; FloatMode: 240
; IeeeMode: 1
; LDSByteSize: 0 bytes/workgroup (compile time only)
; SGPRBlocks: 0
; VGPRBlocks: 0
; NumSGPRsForWavesPerEU: 1
; NumVGPRsForWavesPerEU: 1
; Occupancy: 16
; WaveLimiterHint : 0
; COMPUTE_PGM_RSRC2:SCRATCH_EN: 0
; COMPUTE_PGM_RSRC2:USER_SGPR: 6
; COMPUTE_PGM_RSRC2:TRAP_HANDLER: 0
; COMPUTE_PGM_RSRC2:TGID_X_EN: 1
; COMPUTE_PGM_RSRC2:TGID_Y_EN: 0
; COMPUTE_PGM_RSRC2:TGID_Z_EN: 0
; COMPUTE_PGM_RSRC2:TIDIG_COMP_CNT: 0
	.section	.text._ZN7rocprim17ROCPRIM_400000_NS6detail17trampoline_kernelINS0_13select_configILj256ELj13ELNS0_17block_load_methodE3ELS4_3ELS4_3ELNS0_20block_scan_algorithmE0ELj4294967295EEENS1_25partition_config_selectorILNS1_17partition_subalgoE3EjNS0_10empty_typeEbEEZZNS1_14partition_implILS8_3ELb0ES6_jNS0_17counting_iteratorIjlEEPS9_SE_NS0_5tupleIJPjSE_EEENSF_IJSE_SE_EEES9_SG_JZNS1_25segmented_radix_sort_implINS0_14default_configELb1EPKiPiPKlPlN2at6native12_GLOBAL__N_18offset_tEEE10hipError_tPvRmT1_PNSt15iterator_traitsISY_E10value_typeET2_T3_PNSZ_IS14_E10value_typeET4_jRbjT5_S1A_jjP12ihipStream_tbEUljE_EEESV_SW_SX_S14_S18_S1A_T6_T7_T9_mT8_S1C_bDpT10_ENKUlT_T0_E_clISt17integral_constantIbLb1EES1O_IbLb0EEEEDaS1K_S1L_EUlS1K_E_NS1_11comp_targetILNS1_3genE9ELNS1_11target_archE1100ELNS1_3gpuE3ELNS1_3repE0EEENS1_30default_config_static_selectorELNS0_4arch9wavefront6targetE0EEEvSY_,"axG",@progbits,_ZN7rocprim17ROCPRIM_400000_NS6detail17trampoline_kernelINS0_13select_configILj256ELj13ELNS0_17block_load_methodE3ELS4_3ELS4_3ELNS0_20block_scan_algorithmE0ELj4294967295EEENS1_25partition_config_selectorILNS1_17partition_subalgoE3EjNS0_10empty_typeEbEEZZNS1_14partition_implILS8_3ELb0ES6_jNS0_17counting_iteratorIjlEEPS9_SE_NS0_5tupleIJPjSE_EEENSF_IJSE_SE_EEES9_SG_JZNS1_25segmented_radix_sort_implINS0_14default_configELb1EPKiPiPKlPlN2at6native12_GLOBAL__N_18offset_tEEE10hipError_tPvRmT1_PNSt15iterator_traitsISY_E10value_typeET2_T3_PNSZ_IS14_E10value_typeET4_jRbjT5_S1A_jjP12ihipStream_tbEUljE_EEESV_SW_SX_S14_S18_S1A_T6_T7_T9_mT8_S1C_bDpT10_ENKUlT_T0_E_clISt17integral_constantIbLb1EES1O_IbLb0EEEEDaS1K_S1L_EUlS1K_E_NS1_11comp_targetILNS1_3genE9ELNS1_11target_archE1100ELNS1_3gpuE3ELNS1_3repE0EEENS1_30default_config_static_selectorELNS0_4arch9wavefront6targetE0EEEvSY_,comdat
	.globl	_ZN7rocprim17ROCPRIM_400000_NS6detail17trampoline_kernelINS0_13select_configILj256ELj13ELNS0_17block_load_methodE3ELS4_3ELS4_3ELNS0_20block_scan_algorithmE0ELj4294967295EEENS1_25partition_config_selectorILNS1_17partition_subalgoE3EjNS0_10empty_typeEbEEZZNS1_14partition_implILS8_3ELb0ES6_jNS0_17counting_iteratorIjlEEPS9_SE_NS0_5tupleIJPjSE_EEENSF_IJSE_SE_EEES9_SG_JZNS1_25segmented_radix_sort_implINS0_14default_configELb1EPKiPiPKlPlN2at6native12_GLOBAL__N_18offset_tEEE10hipError_tPvRmT1_PNSt15iterator_traitsISY_E10value_typeET2_T3_PNSZ_IS14_E10value_typeET4_jRbjT5_S1A_jjP12ihipStream_tbEUljE_EEESV_SW_SX_S14_S18_S1A_T6_T7_T9_mT8_S1C_bDpT10_ENKUlT_T0_E_clISt17integral_constantIbLb1EES1O_IbLb0EEEEDaS1K_S1L_EUlS1K_E_NS1_11comp_targetILNS1_3genE9ELNS1_11target_archE1100ELNS1_3gpuE3ELNS1_3repE0EEENS1_30default_config_static_selectorELNS0_4arch9wavefront6targetE0EEEvSY_ ; -- Begin function _ZN7rocprim17ROCPRIM_400000_NS6detail17trampoline_kernelINS0_13select_configILj256ELj13ELNS0_17block_load_methodE3ELS4_3ELS4_3ELNS0_20block_scan_algorithmE0ELj4294967295EEENS1_25partition_config_selectorILNS1_17partition_subalgoE3EjNS0_10empty_typeEbEEZZNS1_14partition_implILS8_3ELb0ES6_jNS0_17counting_iteratorIjlEEPS9_SE_NS0_5tupleIJPjSE_EEENSF_IJSE_SE_EEES9_SG_JZNS1_25segmented_radix_sort_implINS0_14default_configELb1EPKiPiPKlPlN2at6native12_GLOBAL__N_18offset_tEEE10hipError_tPvRmT1_PNSt15iterator_traitsISY_E10value_typeET2_T3_PNSZ_IS14_E10value_typeET4_jRbjT5_S1A_jjP12ihipStream_tbEUljE_EEESV_SW_SX_S14_S18_S1A_T6_T7_T9_mT8_S1C_bDpT10_ENKUlT_T0_E_clISt17integral_constantIbLb1EES1O_IbLb0EEEEDaS1K_S1L_EUlS1K_E_NS1_11comp_targetILNS1_3genE9ELNS1_11target_archE1100ELNS1_3gpuE3ELNS1_3repE0EEENS1_30default_config_static_selectorELNS0_4arch9wavefront6targetE0EEEvSY_
	.p2align	8
	.type	_ZN7rocprim17ROCPRIM_400000_NS6detail17trampoline_kernelINS0_13select_configILj256ELj13ELNS0_17block_load_methodE3ELS4_3ELS4_3ELNS0_20block_scan_algorithmE0ELj4294967295EEENS1_25partition_config_selectorILNS1_17partition_subalgoE3EjNS0_10empty_typeEbEEZZNS1_14partition_implILS8_3ELb0ES6_jNS0_17counting_iteratorIjlEEPS9_SE_NS0_5tupleIJPjSE_EEENSF_IJSE_SE_EEES9_SG_JZNS1_25segmented_radix_sort_implINS0_14default_configELb1EPKiPiPKlPlN2at6native12_GLOBAL__N_18offset_tEEE10hipError_tPvRmT1_PNSt15iterator_traitsISY_E10value_typeET2_T3_PNSZ_IS14_E10value_typeET4_jRbjT5_S1A_jjP12ihipStream_tbEUljE_EEESV_SW_SX_S14_S18_S1A_T6_T7_T9_mT8_S1C_bDpT10_ENKUlT_T0_E_clISt17integral_constantIbLb1EES1O_IbLb0EEEEDaS1K_S1L_EUlS1K_E_NS1_11comp_targetILNS1_3genE9ELNS1_11target_archE1100ELNS1_3gpuE3ELNS1_3repE0EEENS1_30default_config_static_selectorELNS0_4arch9wavefront6targetE0EEEvSY_,@function
_ZN7rocprim17ROCPRIM_400000_NS6detail17trampoline_kernelINS0_13select_configILj256ELj13ELNS0_17block_load_methodE3ELS4_3ELS4_3ELNS0_20block_scan_algorithmE0ELj4294967295EEENS1_25partition_config_selectorILNS1_17partition_subalgoE3EjNS0_10empty_typeEbEEZZNS1_14partition_implILS8_3ELb0ES6_jNS0_17counting_iteratorIjlEEPS9_SE_NS0_5tupleIJPjSE_EEENSF_IJSE_SE_EEES9_SG_JZNS1_25segmented_radix_sort_implINS0_14default_configELb1EPKiPiPKlPlN2at6native12_GLOBAL__N_18offset_tEEE10hipError_tPvRmT1_PNSt15iterator_traitsISY_E10value_typeET2_T3_PNSZ_IS14_E10value_typeET4_jRbjT5_S1A_jjP12ihipStream_tbEUljE_EEESV_SW_SX_S14_S18_S1A_T6_T7_T9_mT8_S1C_bDpT10_ENKUlT_T0_E_clISt17integral_constantIbLb1EES1O_IbLb0EEEEDaS1K_S1L_EUlS1K_E_NS1_11comp_targetILNS1_3genE9ELNS1_11target_archE1100ELNS1_3gpuE3ELNS1_3repE0EEENS1_30default_config_static_selectorELNS0_4arch9wavefront6targetE0EEEvSY_: ; @_ZN7rocprim17ROCPRIM_400000_NS6detail17trampoline_kernelINS0_13select_configILj256ELj13ELNS0_17block_load_methodE3ELS4_3ELS4_3ELNS0_20block_scan_algorithmE0ELj4294967295EEENS1_25partition_config_selectorILNS1_17partition_subalgoE3EjNS0_10empty_typeEbEEZZNS1_14partition_implILS8_3ELb0ES6_jNS0_17counting_iteratorIjlEEPS9_SE_NS0_5tupleIJPjSE_EEENSF_IJSE_SE_EEES9_SG_JZNS1_25segmented_radix_sort_implINS0_14default_configELb1EPKiPiPKlPlN2at6native12_GLOBAL__N_18offset_tEEE10hipError_tPvRmT1_PNSt15iterator_traitsISY_E10value_typeET2_T3_PNSZ_IS14_E10value_typeET4_jRbjT5_S1A_jjP12ihipStream_tbEUljE_EEESV_SW_SX_S14_S18_S1A_T6_T7_T9_mT8_S1C_bDpT10_ENKUlT_T0_E_clISt17integral_constantIbLb1EES1O_IbLb0EEEEDaS1K_S1L_EUlS1K_E_NS1_11comp_targetILNS1_3genE9ELNS1_11target_archE1100ELNS1_3gpuE3ELNS1_3repE0EEENS1_30default_config_static_selectorELNS0_4arch9wavefront6targetE0EEEvSY_
; %bb.0:
	.section	.rodata,"a",@progbits
	.p2align	6, 0x0
	.amdhsa_kernel _ZN7rocprim17ROCPRIM_400000_NS6detail17trampoline_kernelINS0_13select_configILj256ELj13ELNS0_17block_load_methodE3ELS4_3ELS4_3ELNS0_20block_scan_algorithmE0ELj4294967295EEENS1_25partition_config_selectorILNS1_17partition_subalgoE3EjNS0_10empty_typeEbEEZZNS1_14partition_implILS8_3ELb0ES6_jNS0_17counting_iteratorIjlEEPS9_SE_NS0_5tupleIJPjSE_EEENSF_IJSE_SE_EEES9_SG_JZNS1_25segmented_radix_sort_implINS0_14default_configELb1EPKiPiPKlPlN2at6native12_GLOBAL__N_18offset_tEEE10hipError_tPvRmT1_PNSt15iterator_traitsISY_E10value_typeET2_T3_PNSZ_IS14_E10value_typeET4_jRbjT5_S1A_jjP12ihipStream_tbEUljE_EEESV_SW_SX_S14_S18_S1A_T6_T7_T9_mT8_S1C_bDpT10_ENKUlT_T0_E_clISt17integral_constantIbLb1EES1O_IbLb0EEEEDaS1K_S1L_EUlS1K_E_NS1_11comp_targetILNS1_3genE9ELNS1_11target_archE1100ELNS1_3gpuE3ELNS1_3repE0EEENS1_30default_config_static_selectorELNS0_4arch9wavefront6targetE0EEEvSY_
		.amdhsa_group_segment_fixed_size 0
		.amdhsa_private_segment_fixed_size 0
		.amdhsa_kernarg_size 144
		.amdhsa_user_sgpr_count 6
		.amdhsa_user_sgpr_private_segment_buffer 1
		.amdhsa_user_sgpr_dispatch_ptr 0
		.amdhsa_user_sgpr_queue_ptr 0
		.amdhsa_user_sgpr_kernarg_segment_ptr 1
		.amdhsa_user_sgpr_dispatch_id 0
		.amdhsa_user_sgpr_flat_scratch_init 0
		.amdhsa_user_sgpr_private_segment_size 0
		.amdhsa_wavefront_size32 1
		.amdhsa_uses_dynamic_stack 0
		.amdhsa_system_sgpr_private_segment_wavefront_offset 0
		.amdhsa_system_sgpr_workgroup_id_x 1
		.amdhsa_system_sgpr_workgroup_id_y 0
		.amdhsa_system_sgpr_workgroup_id_z 0
		.amdhsa_system_sgpr_workgroup_info 0
		.amdhsa_system_vgpr_workitem_id 0
		.amdhsa_next_free_vgpr 1
		.amdhsa_next_free_sgpr 1
		.amdhsa_reserve_vcc 0
		.amdhsa_reserve_flat_scratch 0
		.amdhsa_float_round_mode_32 0
		.amdhsa_float_round_mode_16_64 0
		.amdhsa_float_denorm_mode_32 3
		.amdhsa_float_denorm_mode_16_64 3
		.amdhsa_dx10_clamp 1
		.amdhsa_ieee_mode 1
		.amdhsa_fp16_overflow 0
		.amdhsa_workgroup_processor_mode 1
		.amdhsa_memory_ordered 1
		.amdhsa_forward_progress 1
		.amdhsa_shared_vgpr_count 0
		.amdhsa_exception_fp_ieee_invalid_op 0
		.amdhsa_exception_fp_denorm_src 0
		.amdhsa_exception_fp_ieee_div_zero 0
		.amdhsa_exception_fp_ieee_overflow 0
		.amdhsa_exception_fp_ieee_underflow 0
		.amdhsa_exception_fp_ieee_inexact 0
		.amdhsa_exception_int_div_zero 0
	.end_amdhsa_kernel
	.section	.text._ZN7rocprim17ROCPRIM_400000_NS6detail17trampoline_kernelINS0_13select_configILj256ELj13ELNS0_17block_load_methodE3ELS4_3ELS4_3ELNS0_20block_scan_algorithmE0ELj4294967295EEENS1_25partition_config_selectorILNS1_17partition_subalgoE3EjNS0_10empty_typeEbEEZZNS1_14partition_implILS8_3ELb0ES6_jNS0_17counting_iteratorIjlEEPS9_SE_NS0_5tupleIJPjSE_EEENSF_IJSE_SE_EEES9_SG_JZNS1_25segmented_radix_sort_implINS0_14default_configELb1EPKiPiPKlPlN2at6native12_GLOBAL__N_18offset_tEEE10hipError_tPvRmT1_PNSt15iterator_traitsISY_E10value_typeET2_T3_PNSZ_IS14_E10value_typeET4_jRbjT5_S1A_jjP12ihipStream_tbEUljE_EEESV_SW_SX_S14_S18_S1A_T6_T7_T9_mT8_S1C_bDpT10_ENKUlT_T0_E_clISt17integral_constantIbLb1EES1O_IbLb0EEEEDaS1K_S1L_EUlS1K_E_NS1_11comp_targetILNS1_3genE9ELNS1_11target_archE1100ELNS1_3gpuE3ELNS1_3repE0EEENS1_30default_config_static_selectorELNS0_4arch9wavefront6targetE0EEEvSY_,"axG",@progbits,_ZN7rocprim17ROCPRIM_400000_NS6detail17trampoline_kernelINS0_13select_configILj256ELj13ELNS0_17block_load_methodE3ELS4_3ELS4_3ELNS0_20block_scan_algorithmE0ELj4294967295EEENS1_25partition_config_selectorILNS1_17partition_subalgoE3EjNS0_10empty_typeEbEEZZNS1_14partition_implILS8_3ELb0ES6_jNS0_17counting_iteratorIjlEEPS9_SE_NS0_5tupleIJPjSE_EEENSF_IJSE_SE_EEES9_SG_JZNS1_25segmented_radix_sort_implINS0_14default_configELb1EPKiPiPKlPlN2at6native12_GLOBAL__N_18offset_tEEE10hipError_tPvRmT1_PNSt15iterator_traitsISY_E10value_typeET2_T3_PNSZ_IS14_E10value_typeET4_jRbjT5_S1A_jjP12ihipStream_tbEUljE_EEESV_SW_SX_S14_S18_S1A_T6_T7_T9_mT8_S1C_bDpT10_ENKUlT_T0_E_clISt17integral_constantIbLb1EES1O_IbLb0EEEEDaS1K_S1L_EUlS1K_E_NS1_11comp_targetILNS1_3genE9ELNS1_11target_archE1100ELNS1_3gpuE3ELNS1_3repE0EEENS1_30default_config_static_selectorELNS0_4arch9wavefront6targetE0EEEvSY_,comdat
.Lfunc_end483:
	.size	_ZN7rocprim17ROCPRIM_400000_NS6detail17trampoline_kernelINS0_13select_configILj256ELj13ELNS0_17block_load_methodE3ELS4_3ELS4_3ELNS0_20block_scan_algorithmE0ELj4294967295EEENS1_25partition_config_selectorILNS1_17partition_subalgoE3EjNS0_10empty_typeEbEEZZNS1_14partition_implILS8_3ELb0ES6_jNS0_17counting_iteratorIjlEEPS9_SE_NS0_5tupleIJPjSE_EEENSF_IJSE_SE_EEES9_SG_JZNS1_25segmented_radix_sort_implINS0_14default_configELb1EPKiPiPKlPlN2at6native12_GLOBAL__N_18offset_tEEE10hipError_tPvRmT1_PNSt15iterator_traitsISY_E10value_typeET2_T3_PNSZ_IS14_E10value_typeET4_jRbjT5_S1A_jjP12ihipStream_tbEUljE_EEESV_SW_SX_S14_S18_S1A_T6_T7_T9_mT8_S1C_bDpT10_ENKUlT_T0_E_clISt17integral_constantIbLb1EES1O_IbLb0EEEEDaS1K_S1L_EUlS1K_E_NS1_11comp_targetILNS1_3genE9ELNS1_11target_archE1100ELNS1_3gpuE3ELNS1_3repE0EEENS1_30default_config_static_selectorELNS0_4arch9wavefront6targetE0EEEvSY_, .Lfunc_end483-_ZN7rocprim17ROCPRIM_400000_NS6detail17trampoline_kernelINS0_13select_configILj256ELj13ELNS0_17block_load_methodE3ELS4_3ELS4_3ELNS0_20block_scan_algorithmE0ELj4294967295EEENS1_25partition_config_selectorILNS1_17partition_subalgoE3EjNS0_10empty_typeEbEEZZNS1_14partition_implILS8_3ELb0ES6_jNS0_17counting_iteratorIjlEEPS9_SE_NS0_5tupleIJPjSE_EEENSF_IJSE_SE_EEES9_SG_JZNS1_25segmented_radix_sort_implINS0_14default_configELb1EPKiPiPKlPlN2at6native12_GLOBAL__N_18offset_tEEE10hipError_tPvRmT1_PNSt15iterator_traitsISY_E10value_typeET2_T3_PNSZ_IS14_E10value_typeET4_jRbjT5_S1A_jjP12ihipStream_tbEUljE_EEESV_SW_SX_S14_S18_S1A_T6_T7_T9_mT8_S1C_bDpT10_ENKUlT_T0_E_clISt17integral_constantIbLb1EES1O_IbLb0EEEEDaS1K_S1L_EUlS1K_E_NS1_11comp_targetILNS1_3genE9ELNS1_11target_archE1100ELNS1_3gpuE3ELNS1_3repE0EEENS1_30default_config_static_selectorELNS0_4arch9wavefront6targetE0EEEvSY_
                                        ; -- End function
	.set _ZN7rocprim17ROCPRIM_400000_NS6detail17trampoline_kernelINS0_13select_configILj256ELj13ELNS0_17block_load_methodE3ELS4_3ELS4_3ELNS0_20block_scan_algorithmE0ELj4294967295EEENS1_25partition_config_selectorILNS1_17partition_subalgoE3EjNS0_10empty_typeEbEEZZNS1_14partition_implILS8_3ELb0ES6_jNS0_17counting_iteratorIjlEEPS9_SE_NS0_5tupleIJPjSE_EEENSF_IJSE_SE_EEES9_SG_JZNS1_25segmented_radix_sort_implINS0_14default_configELb1EPKiPiPKlPlN2at6native12_GLOBAL__N_18offset_tEEE10hipError_tPvRmT1_PNSt15iterator_traitsISY_E10value_typeET2_T3_PNSZ_IS14_E10value_typeET4_jRbjT5_S1A_jjP12ihipStream_tbEUljE_EEESV_SW_SX_S14_S18_S1A_T6_T7_T9_mT8_S1C_bDpT10_ENKUlT_T0_E_clISt17integral_constantIbLb1EES1O_IbLb0EEEEDaS1K_S1L_EUlS1K_E_NS1_11comp_targetILNS1_3genE9ELNS1_11target_archE1100ELNS1_3gpuE3ELNS1_3repE0EEENS1_30default_config_static_selectorELNS0_4arch9wavefront6targetE0EEEvSY_.num_vgpr, 0
	.set _ZN7rocprim17ROCPRIM_400000_NS6detail17trampoline_kernelINS0_13select_configILj256ELj13ELNS0_17block_load_methodE3ELS4_3ELS4_3ELNS0_20block_scan_algorithmE0ELj4294967295EEENS1_25partition_config_selectorILNS1_17partition_subalgoE3EjNS0_10empty_typeEbEEZZNS1_14partition_implILS8_3ELb0ES6_jNS0_17counting_iteratorIjlEEPS9_SE_NS0_5tupleIJPjSE_EEENSF_IJSE_SE_EEES9_SG_JZNS1_25segmented_radix_sort_implINS0_14default_configELb1EPKiPiPKlPlN2at6native12_GLOBAL__N_18offset_tEEE10hipError_tPvRmT1_PNSt15iterator_traitsISY_E10value_typeET2_T3_PNSZ_IS14_E10value_typeET4_jRbjT5_S1A_jjP12ihipStream_tbEUljE_EEESV_SW_SX_S14_S18_S1A_T6_T7_T9_mT8_S1C_bDpT10_ENKUlT_T0_E_clISt17integral_constantIbLb1EES1O_IbLb0EEEEDaS1K_S1L_EUlS1K_E_NS1_11comp_targetILNS1_3genE9ELNS1_11target_archE1100ELNS1_3gpuE3ELNS1_3repE0EEENS1_30default_config_static_selectorELNS0_4arch9wavefront6targetE0EEEvSY_.num_agpr, 0
	.set _ZN7rocprim17ROCPRIM_400000_NS6detail17trampoline_kernelINS0_13select_configILj256ELj13ELNS0_17block_load_methodE3ELS4_3ELS4_3ELNS0_20block_scan_algorithmE0ELj4294967295EEENS1_25partition_config_selectorILNS1_17partition_subalgoE3EjNS0_10empty_typeEbEEZZNS1_14partition_implILS8_3ELb0ES6_jNS0_17counting_iteratorIjlEEPS9_SE_NS0_5tupleIJPjSE_EEENSF_IJSE_SE_EEES9_SG_JZNS1_25segmented_radix_sort_implINS0_14default_configELb1EPKiPiPKlPlN2at6native12_GLOBAL__N_18offset_tEEE10hipError_tPvRmT1_PNSt15iterator_traitsISY_E10value_typeET2_T3_PNSZ_IS14_E10value_typeET4_jRbjT5_S1A_jjP12ihipStream_tbEUljE_EEESV_SW_SX_S14_S18_S1A_T6_T7_T9_mT8_S1C_bDpT10_ENKUlT_T0_E_clISt17integral_constantIbLb1EES1O_IbLb0EEEEDaS1K_S1L_EUlS1K_E_NS1_11comp_targetILNS1_3genE9ELNS1_11target_archE1100ELNS1_3gpuE3ELNS1_3repE0EEENS1_30default_config_static_selectorELNS0_4arch9wavefront6targetE0EEEvSY_.numbered_sgpr, 0
	.set _ZN7rocprim17ROCPRIM_400000_NS6detail17trampoline_kernelINS0_13select_configILj256ELj13ELNS0_17block_load_methodE3ELS4_3ELS4_3ELNS0_20block_scan_algorithmE0ELj4294967295EEENS1_25partition_config_selectorILNS1_17partition_subalgoE3EjNS0_10empty_typeEbEEZZNS1_14partition_implILS8_3ELb0ES6_jNS0_17counting_iteratorIjlEEPS9_SE_NS0_5tupleIJPjSE_EEENSF_IJSE_SE_EEES9_SG_JZNS1_25segmented_radix_sort_implINS0_14default_configELb1EPKiPiPKlPlN2at6native12_GLOBAL__N_18offset_tEEE10hipError_tPvRmT1_PNSt15iterator_traitsISY_E10value_typeET2_T3_PNSZ_IS14_E10value_typeET4_jRbjT5_S1A_jjP12ihipStream_tbEUljE_EEESV_SW_SX_S14_S18_S1A_T6_T7_T9_mT8_S1C_bDpT10_ENKUlT_T0_E_clISt17integral_constantIbLb1EES1O_IbLb0EEEEDaS1K_S1L_EUlS1K_E_NS1_11comp_targetILNS1_3genE9ELNS1_11target_archE1100ELNS1_3gpuE3ELNS1_3repE0EEENS1_30default_config_static_selectorELNS0_4arch9wavefront6targetE0EEEvSY_.num_named_barrier, 0
	.set _ZN7rocprim17ROCPRIM_400000_NS6detail17trampoline_kernelINS0_13select_configILj256ELj13ELNS0_17block_load_methodE3ELS4_3ELS4_3ELNS0_20block_scan_algorithmE0ELj4294967295EEENS1_25partition_config_selectorILNS1_17partition_subalgoE3EjNS0_10empty_typeEbEEZZNS1_14partition_implILS8_3ELb0ES6_jNS0_17counting_iteratorIjlEEPS9_SE_NS0_5tupleIJPjSE_EEENSF_IJSE_SE_EEES9_SG_JZNS1_25segmented_radix_sort_implINS0_14default_configELb1EPKiPiPKlPlN2at6native12_GLOBAL__N_18offset_tEEE10hipError_tPvRmT1_PNSt15iterator_traitsISY_E10value_typeET2_T3_PNSZ_IS14_E10value_typeET4_jRbjT5_S1A_jjP12ihipStream_tbEUljE_EEESV_SW_SX_S14_S18_S1A_T6_T7_T9_mT8_S1C_bDpT10_ENKUlT_T0_E_clISt17integral_constantIbLb1EES1O_IbLb0EEEEDaS1K_S1L_EUlS1K_E_NS1_11comp_targetILNS1_3genE9ELNS1_11target_archE1100ELNS1_3gpuE3ELNS1_3repE0EEENS1_30default_config_static_selectorELNS0_4arch9wavefront6targetE0EEEvSY_.private_seg_size, 0
	.set _ZN7rocprim17ROCPRIM_400000_NS6detail17trampoline_kernelINS0_13select_configILj256ELj13ELNS0_17block_load_methodE3ELS4_3ELS4_3ELNS0_20block_scan_algorithmE0ELj4294967295EEENS1_25partition_config_selectorILNS1_17partition_subalgoE3EjNS0_10empty_typeEbEEZZNS1_14partition_implILS8_3ELb0ES6_jNS0_17counting_iteratorIjlEEPS9_SE_NS0_5tupleIJPjSE_EEENSF_IJSE_SE_EEES9_SG_JZNS1_25segmented_radix_sort_implINS0_14default_configELb1EPKiPiPKlPlN2at6native12_GLOBAL__N_18offset_tEEE10hipError_tPvRmT1_PNSt15iterator_traitsISY_E10value_typeET2_T3_PNSZ_IS14_E10value_typeET4_jRbjT5_S1A_jjP12ihipStream_tbEUljE_EEESV_SW_SX_S14_S18_S1A_T6_T7_T9_mT8_S1C_bDpT10_ENKUlT_T0_E_clISt17integral_constantIbLb1EES1O_IbLb0EEEEDaS1K_S1L_EUlS1K_E_NS1_11comp_targetILNS1_3genE9ELNS1_11target_archE1100ELNS1_3gpuE3ELNS1_3repE0EEENS1_30default_config_static_selectorELNS0_4arch9wavefront6targetE0EEEvSY_.uses_vcc, 0
	.set _ZN7rocprim17ROCPRIM_400000_NS6detail17trampoline_kernelINS0_13select_configILj256ELj13ELNS0_17block_load_methodE3ELS4_3ELS4_3ELNS0_20block_scan_algorithmE0ELj4294967295EEENS1_25partition_config_selectorILNS1_17partition_subalgoE3EjNS0_10empty_typeEbEEZZNS1_14partition_implILS8_3ELb0ES6_jNS0_17counting_iteratorIjlEEPS9_SE_NS0_5tupleIJPjSE_EEENSF_IJSE_SE_EEES9_SG_JZNS1_25segmented_radix_sort_implINS0_14default_configELb1EPKiPiPKlPlN2at6native12_GLOBAL__N_18offset_tEEE10hipError_tPvRmT1_PNSt15iterator_traitsISY_E10value_typeET2_T3_PNSZ_IS14_E10value_typeET4_jRbjT5_S1A_jjP12ihipStream_tbEUljE_EEESV_SW_SX_S14_S18_S1A_T6_T7_T9_mT8_S1C_bDpT10_ENKUlT_T0_E_clISt17integral_constantIbLb1EES1O_IbLb0EEEEDaS1K_S1L_EUlS1K_E_NS1_11comp_targetILNS1_3genE9ELNS1_11target_archE1100ELNS1_3gpuE3ELNS1_3repE0EEENS1_30default_config_static_selectorELNS0_4arch9wavefront6targetE0EEEvSY_.uses_flat_scratch, 0
	.set _ZN7rocprim17ROCPRIM_400000_NS6detail17trampoline_kernelINS0_13select_configILj256ELj13ELNS0_17block_load_methodE3ELS4_3ELS4_3ELNS0_20block_scan_algorithmE0ELj4294967295EEENS1_25partition_config_selectorILNS1_17partition_subalgoE3EjNS0_10empty_typeEbEEZZNS1_14partition_implILS8_3ELb0ES6_jNS0_17counting_iteratorIjlEEPS9_SE_NS0_5tupleIJPjSE_EEENSF_IJSE_SE_EEES9_SG_JZNS1_25segmented_radix_sort_implINS0_14default_configELb1EPKiPiPKlPlN2at6native12_GLOBAL__N_18offset_tEEE10hipError_tPvRmT1_PNSt15iterator_traitsISY_E10value_typeET2_T3_PNSZ_IS14_E10value_typeET4_jRbjT5_S1A_jjP12ihipStream_tbEUljE_EEESV_SW_SX_S14_S18_S1A_T6_T7_T9_mT8_S1C_bDpT10_ENKUlT_T0_E_clISt17integral_constantIbLb1EES1O_IbLb0EEEEDaS1K_S1L_EUlS1K_E_NS1_11comp_targetILNS1_3genE9ELNS1_11target_archE1100ELNS1_3gpuE3ELNS1_3repE0EEENS1_30default_config_static_selectorELNS0_4arch9wavefront6targetE0EEEvSY_.has_dyn_sized_stack, 0
	.set _ZN7rocprim17ROCPRIM_400000_NS6detail17trampoline_kernelINS0_13select_configILj256ELj13ELNS0_17block_load_methodE3ELS4_3ELS4_3ELNS0_20block_scan_algorithmE0ELj4294967295EEENS1_25partition_config_selectorILNS1_17partition_subalgoE3EjNS0_10empty_typeEbEEZZNS1_14partition_implILS8_3ELb0ES6_jNS0_17counting_iteratorIjlEEPS9_SE_NS0_5tupleIJPjSE_EEENSF_IJSE_SE_EEES9_SG_JZNS1_25segmented_radix_sort_implINS0_14default_configELb1EPKiPiPKlPlN2at6native12_GLOBAL__N_18offset_tEEE10hipError_tPvRmT1_PNSt15iterator_traitsISY_E10value_typeET2_T3_PNSZ_IS14_E10value_typeET4_jRbjT5_S1A_jjP12ihipStream_tbEUljE_EEESV_SW_SX_S14_S18_S1A_T6_T7_T9_mT8_S1C_bDpT10_ENKUlT_T0_E_clISt17integral_constantIbLb1EES1O_IbLb0EEEEDaS1K_S1L_EUlS1K_E_NS1_11comp_targetILNS1_3genE9ELNS1_11target_archE1100ELNS1_3gpuE3ELNS1_3repE0EEENS1_30default_config_static_selectorELNS0_4arch9wavefront6targetE0EEEvSY_.has_recursion, 0
	.set _ZN7rocprim17ROCPRIM_400000_NS6detail17trampoline_kernelINS0_13select_configILj256ELj13ELNS0_17block_load_methodE3ELS4_3ELS4_3ELNS0_20block_scan_algorithmE0ELj4294967295EEENS1_25partition_config_selectorILNS1_17partition_subalgoE3EjNS0_10empty_typeEbEEZZNS1_14partition_implILS8_3ELb0ES6_jNS0_17counting_iteratorIjlEEPS9_SE_NS0_5tupleIJPjSE_EEENSF_IJSE_SE_EEES9_SG_JZNS1_25segmented_radix_sort_implINS0_14default_configELb1EPKiPiPKlPlN2at6native12_GLOBAL__N_18offset_tEEE10hipError_tPvRmT1_PNSt15iterator_traitsISY_E10value_typeET2_T3_PNSZ_IS14_E10value_typeET4_jRbjT5_S1A_jjP12ihipStream_tbEUljE_EEESV_SW_SX_S14_S18_S1A_T6_T7_T9_mT8_S1C_bDpT10_ENKUlT_T0_E_clISt17integral_constantIbLb1EES1O_IbLb0EEEEDaS1K_S1L_EUlS1K_E_NS1_11comp_targetILNS1_3genE9ELNS1_11target_archE1100ELNS1_3gpuE3ELNS1_3repE0EEENS1_30default_config_static_selectorELNS0_4arch9wavefront6targetE0EEEvSY_.has_indirect_call, 0
	.section	.AMDGPU.csdata,"",@progbits
; Kernel info:
; codeLenInByte = 0
; TotalNumSgprs: 0
; NumVgprs: 0
; ScratchSize: 0
; MemoryBound: 0
; FloatMode: 240
; IeeeMode: 1
; LDSByteSize: 0 bytes/workgroup (compile time only)
; SGPRBlocks: 0
; VGPRBlocks: 0
; NumSGPRsForWavesPerEU: 1
; NumVGPRsForWavesPerEU: 1
; Occupancy: 16
; WaveLimiterHint : 0
; COMPUTE_PGM_RSRC2:SCRATCH_EN: 0
; COMPUTE_PGM_RSRC2:USER_SGPR: 6
; COMPUTE_PGM_RSRC2:TRAP_HANDLER: 0
; COMPUTE_PGM_RSRC2:TGID_X_EN: 1
; COMPUTE_PGM_RSRC2:TGID_Y_EN: 0
; COMPUTE_PGM_RSRC2:TGID_Z_EN: 0
; COMPUTE_PGM_RSRC2:TIDIG_COMP_CNT: 0
	.section	.text._ZN7rocprim17ROCPRIM_400000_NS6detail17trampoline_kernelINS0_13select_configILj256ELj13ELNS0_17block_load_methodE3ELS4_3ELS4_3ELNS0_20block_scan_algorithmE0ELj4294967295EEENS1_25partition_config_selectorILNS1_17partition_subalgoE3EjNS0_10empty_typeEbEEZZNS1_14partition_implILS8_3ELb0ES6_jNS0_17counting_iteratorIjlEEPS9_SE_NS0_5tupleIJPjSE_EEENSF_IJSE_SE_EEES9_SG_JZNS1_25segmented_radix_sort_implINS0_14default_configELb1EPKiPiPKlPlN2at6native12_GLOBAL__N_18offset_tEEE10hipError_tPvRmT1_PNSt15iterator_traitsISY_E10value_typeET2_T3_PNSZ_IS14_E10value_typeET4_jRbjT5_S1A_jjP12ihipStream_tbEUljE_EEESV_SW_SX_S14_S18_S1A_T6_T7_T9_mT8_S1C_bDpT10_ENKUlT_T0_E_clISt17integral_constantIbLb1EES1O_IbLb0EEEEDaS1K_S1L_EUlS1K_E_NS1_11comp_targetILNS1_3genE8ELNS1_11target_archE1030ELNS1_3gpuE2ELNS1_3repE0EEENS1_30default_config_static_selectorELNS0_4arch9wavefront6targetE0EEEvSY_,"axG",@progbits,_ZN7rocprim17ROCPRIM_400000_NS6detail17trampoline_kernelINS0_13select_configILj256ELj13ELNS0_17block_load_methodE3ELS4_3ELS4_3ELNS0_20block_scan_algorithmE0ELj4294967295EEENS1_25partition_config_selectorILNS1_17partition_subalgoE3EjNS0_10empty_typeEbEEZZNS1_14partition_implILS8_3ELb0ES6_jNS0_17counting_iteratorIjlEEPS9_SE_NS0_5tupleIJPjSE_EEENSF_IJSE_SE_EEES9_SG_JZNS1_25segmented_radix_sort_implINS0_14default_configELb1EPKiPiPKlPlN2at6native12_GLOBAL__N_18offset_tEEE10hipError_tPvRmT1_PNSt15iterator_traitsISY_E10value_typeET2_T3_PNSZ_IS14_E10value_typeET4_jRbjT5_S1A_jjP12ihipStream_tbEUljE_EEESV_SW_SX_S14_S18_S1A_T6_T7_T9_mT8_S1C_bDpT10_ENKUlT_T0_E_clISt17integral_constantIbLb1EES1O_IbLb0EEEEDaS1K_S1L_EUlS1K_E_NS1_11comp_targetILNS1_3genE8ELNS1_11target_archE1030ELNS1_3gpuE2ELNS1_3repE0EEENS1_30default_config_static_selectorELNS0_4arch9wavefront6targetE0EEEvSY_,comdat
	.globl	_ZN7rocprim17ROCPRIM_400000_NS6detail17trampoline_kernelINS0_13select_configILj256ELj13ELNS0_17block_load_methodE3ELS4_3ELS4_3ELNS0_20block_scan_algorithmE0ELj4294967295EEENS1_25partition_config_selectorILNS1_17partition_subalgoE3EjNS0_10empty_typeEbEEZZNS1_14partition_implILS8_3ELb0ES6_jNS0_17counting_iteratorIjlEEPS9_SE_NS0_5tupleIJPjSE_EEENSF_IJSE_SE_EEES9_SG_JZNS1_25segmented_radix_sort_implINS0_14default_configELb1EPKiPiPKlPlN2at6native12_GLOBAL__N_18offset_tEEE10hipError_tPvRmT1_PNSt15iterator_traitsISY_E10value_typeET2_T3_PNSZ_IS14_E10value_typeET4_jRbjT5_S1A_jjP12ihipStream_tbEUljE_EEESV_SW_SX_S14_S18_S1A_T6_T7_T9_mT8_S1C_bDpT10_ENKUlT_T0_E_clISt17integral_constantIbLb1EES1O_IbLb0EEEEDaS1K_S1L_EUlS1K_E_NS1_11comp_targetILNS1_3genE8ELNS1_11target_archE1030ELNS1_3gpuE2ELNS1_3repE0EEENS1_30default_config_static_selectorELNS0_4arch9wavefront6targetE0EEEvSY_ ; -- Begin function _ZN7rocprim17ROCPRIM_400000_NS6detail17trampoline_kernelINS0_13select_configILj256ELj13ELNS0_17block_load_methodE3ELS4_3ELS4_3ELNS0_20block_scan_algorithmE0ELj4294967295EEENS1_25partition_config_selectorILNS1_17partition_subalgoE3EjNS0_10empty_typeEbEEZZNS1_14partition_implILS8_3ELb0ES6_jNS0_17counting_iteratorIjlEEPS9_SE_NS0_5tupleIJPjSE_EEENSF_IJSE_SE_EEES9_SG_JZNS1_25segmented_radix_sort_implINS0_14default_configELb1EPKiPiPKlPlN2at6native12_GLOBAL__N_18offset_tEEE10hipError_tPvRmT1_PNSt15iterator_traitsISY_E10value_typeET2_T3_PNSZ_IS14_E10value_typeET4_jRbjT5_S1A_jjP12ihipStream_tbEUljE_EEESV_SW_SX_S14_S18_S1A_T6_T7_T9_mT8_S1C_bDpT10_ENKUlT_T0_E_clISt17integral_constantIbLb1EES1O_IbLb0EEEEDaS1K_S1L_EUlS1K_E_NS1_11comp_targetILNS1_3genE8ELNS1_11target_archE1030ELNS1_3gpuE2ELNS1_3repE0EEENS1_30default_config_static_selectorELNS0_4arch9wavefront6targetE0EEEvSY_
	.p2align	8
	.type	_ZN7rocprim17ROCPRIM_400000_NS6detail17trampoline_kernelINS0_13select_configILj256ELj13ELNS0_17block_load_methodE3ELS4_3ELS4_3ELNS0_20block_scan_algorithmE0ELj4294967295EEENS1_25partition_config_selectorILNS1_17partition_subalgoE3EjNS0_10empty_typeEbEEZZNS1_14partition_implILS8_3ELb0ES6_jNS0_17counting_iteratorIjlEEPS9_SE_NS0_5tupleIJPjSE_EEENSF_IJSE_SE_EEES9_SG_JZNS1_25segmented_radix_sort_implINS0_14default_configELb1EPKiPiPKlPlN2at6native12_GLOBAL__N_18offset_tEEE10hipError_tPvRmT1_PNSt15iterator_traitsISY_E10value_typeET2_T3_PNSZ_IS14_E10value_typeET4_jRbjT5_S1A_jjP12ihipStream_tbEUljE_EEESV_SW_SX_S14_S18_S1A_T6_T7_T9_mT8_S1C_bDpT10_ENKUlT_T0_E_clISt17integral_constantIbLb1EES1O_IbLb0EEEEDaS1K_S1L_EUlS1K_E_NS1_11comp_targetILNS1_3genE8ELNS1_11target_archE1030ELNS1_3gpuE2ELNS1_3repE0EEENS1_30default_config_static_selectorELNS0_4arch9wavefront6targetE0EEEvSY_,@function
_ZN7rocprim17ROCPRIM_400000_NS6detail17trampoline_kernelINS0_13select_configILj256ELj13ELNS0_17block_load_methodE3ELS4_3ELS4_3ELNS0_20block_scan_algorithmE0ELj4294967295EEENS1_25partition_config_selectorILNS1_17partition_subalgoE3EjNS0_10empty_typeEbEEZZNS1_14partition_implILS8_3ELb0ES6_jNS0_17counting_iteratorIjlEEPS9_SE_NS0_5tupleIJPjSE_EEENSF_IJSE_SE_EEES9_SG_JZNS1_25segmented_radix_sort_implINS0_14default_configELb1EPKiPiPKlPlN2at6native12_GLOBAL__N_18offset_tEEE10hipError_tPvRmT1_PNSt15iterator_traitsISY_E10value_typeET2_T3_PNSZ_IS14_E10value_typeET4_jRbjT5_S1A_jjP12ihipStream_tbEUljE_EEESV_SW_SX_S14_S18_S1A_T6_T7_T9_mT8_S1C_bDpT10_ENKUlT_T0_E_clISt17integral_constantIbLb1EES1O_IbLb0EEEEDaS1K_S1L_EUlS1K_E_NS1_11comp_targetILNS1_3genE8ELNS1_11target_archE1030ELNS1_3gpuE2ELNS1_3repE0EEENS1_30default_config_static_selectorELNS0_4arch9wavefront6targetE0EEEvSY_: ; @_ZN7rocprim17ROCPRIM_400000_NS6detail17trampoline_kernelINS0_13select_configILj256ELj13ELNS0_17block_load_methodE3ELS4_3ELS4_3ELNS0_20block_scan_algorithmE0ELj4294967295EEENS1_25partition_config_selectorILNS1_17partition_subalgoE3EjNS0_10empty_typeEbEEZZNS1_14partition_implILS8_3ELb0ES6_jNS0_17counting_iteratorIjlEEPS9_SE_NS0_5tupleIJPjSE_EEENSF_IJSE_SE_EEES9_SG_JZNS1_25segmented_radix_sort_implINS0_14default_configELb1EPKiPiPKlPlN2at6native12_GLOBAL__N_18offset_tEEE10hipError_tPvRmT1_PNSt15iterator_traitsISY_E10value_typeET2_T3_PNSZ_IS14_E10value_typeET4_jRbjT5_S1A_jjP12ihipStream_tbEUljE_EEESV_SW_SX_S14_S18_S1A_T6_T7_T9_mT8_S1C_bDpT10_ENKUlT_T0_E_clISt17integral_constantIbLb1EES1O_IbLb0EEEEDaS1K_S1L_EUlS1K_E_NS1_11comp_targetILNS1_3genE8ELNS1_11target_archE1030ELNS1_3gpuE2ELNS1_3repE0EEENS1_30default_config_static_selectorELNS0_4arch9wavefront6targetE0EEEvSY_
; %bb.0:
	s_endpgm
	.section	.rodata,"a",@progbits
	.p2align	6, 0x0
	.amdhsa_kernel _ZN7rocprim17ROCPRIM_400000_NS6detail17trampoline_kernelINS0_13select_configILj256ELj13ELNS0_17block_load_methodE3ELS4_3ELS4_3ELNS0_20block_scan_algorithmE0ELj4294967295EEENS1_25partition_config_selectorILNS1_17partition_subalgoE3EjNS0_10empty_typeEbEEZZNS1_14partition_implILS8_3ELb0ES6_jNS0_17counting_iteratorIjlEEPS9_SE_NS0_5tupleIJPjSE_EEENSF_IJSE_SE_EEES9_SG_JZNS1_25segmented_radix_sort_implINS0_14default_configELb1EPKiPiPKlPlN2at6native12_GLOBAL__N_18offset_tEEE10hipError_tPvRmT1_PNSt15iterator_traitsISY_E10value_typeET2_T3_PNSZ_IS14_E10value_typeET4_jRbjT5_S1A_jjP12ihipStream_tbEUljE_EEESV_SW_SX_S14_S18_S1A_T6_T7_T9_mT8_S1C_bDpT10_ENKUlT_T0_E_clISt17integral_constantIbLb1EES1O_IbLb0EEEEDaS1K_S1L_EUlS1K_E_NS1_11comp_targetILNS1_3genE8ELNS1_11target_archE1030ELNS1_3gpuE2ELNS1_3repE0EEENS1_30default_config_static_selectorELNS0_4arch9wavefront6targetE0EEEvSY_
		.amdhsa_group_segment_fixed_size 0
		.amdhsa_private_segment_fixed_size 0
		.amdhsa_kernarg_size 144
		.amdhsa_user_sgpr_count 6
		.amdhsa_user_sgpr_private_segment_buffer 1
		.amdhsa_user_sgpr_dispatch_ptr 0
		.amdhsa_user_sgpr_queue_ptr 0
		.amdhsa_user_sgpr_kernarg_segment_ptr 1
		.amdhsa_user_sgpr_dispatch_id 0
		.amdhsa_user_sgpr_flat_scratch_init 0
		.amdhsa_user_sgpr_private_segment_size 0
		.amdhsa_wavefront_size32 1
		.amdhsa_uses_dynamic_stack 0
		.amdhsa_system_sgpr_private_segment_wavefront_offset 0
		.amdhsa_system_sgpr_workgroup_id_x 1
		.amdhsa_system_sgpr_workgroup_id_y 0
		.amdhsa_system_sgpr_workgroup_id_z 0
		.amdhsa_system_sgpr_workgroup_info 0
		.amdhsa_system_vgpr_workitem_id 0
		.amdhsa_next_free_vgpr 1
		.amdhsa_next_free_sgpr 1
		.amdhsa_reserve_vcc 0
		.amdhsa_reserve_flat_scratch 0
		.amdhsa_float_round_mode_32 0
		.amdhsa_float_round_mode_16_64 0
		.amdhsa_float_denorm_mode_32 3
		.amdhsa_float_denorm_mode_16_64 3
		.amdhsa_dx10_clamp 1
		.amdhsa_ieee_mode 1
		.amdhsa_fp16_overflow 0
		.amdhsa_workgroup_processor_mode 1
		.amdhsa_memory_ordered 1
		.amdhsa_forward_progress 1
		.amdhsa_shared_vgpr_count 0
		.amdhsa_exception_fp_ieee_invalid_op 0
		.amdhsa_exception_fp_denorm_src 0
		.amdhsa_exception_fp_ieee_div_zero 0
		.amdhsa_exception_fp_ieee_overflow 0
		.amdhsa_exception_fp_ieee_underflow 0
		.amdhsa_exception_fp_ieee_inexact 0
		.amdhsa_exception_int_div_zero 0
	.end_amdhsa_kernel
	.section	.text._ZN7rocprim17ROCPRIM_400000_NS6detail17trampoline_kernelINS0_13select_configILj256ELj13ELNS0_17block_load_methodE3ELS4_3ELS4_3ELNS0_20block_scan_algorithmE0ELj4294967295EEENS1_25partition_config_selectorILNS1_17partition_subalgoE3EjNS0_10empty_typeEbEEZZNS1_14partition_implILS8_3ELb0ES6_jNS0_17counting_iteratorIjlEEPS9_SE_NS0_5tupleIJPjSE_EEENSF_IJSE_SE_EEES9_SG_JZNS1_25segmented_radix_sort_implINS0_14default_configELb1EPKiPiPKlPlN2at6native12_GLOBAL__N_18offset_tEEE10hipError_tPvRmT1_PNSt15iterator_traitsISY_E10value_typeET2_T3_PNSZ_IS14_E10value_typeET4_jRbjT5_S1A_jjP12ihipStream_tbEUljE_EEESV_SW_SX_S14_S18_S1A_T6_T7_T9_mT8_S1C_bDpT10_ENKUlT_T0_E_clISt17integral_constantIbLb1EES1O_IbLb0EEEEDaS1K_S1L_EUlS1K_E_NS1_11comp_targetILNS1_3genE8ELNS1_11target_archE1030ELNS1_3gpuE2ELNS1_3repE0EEENS1_30default_config_static_selectorELNS0_4arch9wavefront6targetE0EEEvSY_,"axG",@progbits,_ZN7rocprim17ROCPRIM_400000_NS6detail17trampoline_kernelINS0_13select_configILj256ELj13ELNS0_17block_load_methodE3ELS4_3ELS4_3ELNS0_20block_scan_algorithmE0ELj4294967295EEENS1_25partition_config_selectorILNS1_17partition_subalgoE3EjNS0_10empty_typeEbEEZZNS1_14partition_implILS8_3ELb0ES6_jNS0_17counting_iteratorIjlEEPS9_SE_NS0_5tupleIJPjSE_EEENSF_IJSE_SE_EEES9_SG_JZNS1_25segmented_radix_sort_implINS0_14default_configELb1EPKiPiPKlPlN2at6native12_GLOBAL__N_18offset_tEEE10hipError_tPvRmT1_PNSt15iterator_traitsISY_E10value_typeET2_T3_PNSZ_IS14_E10value_typeET4_jRbjT5_S1A_jjP12ihipStream_tbEUljE_EEESV_SW_SX_S14_S18_S1A_T6_T7_T9_mT8_S1C_bDpT10_ENKUlT_T0_E_clISt17integral_constantIbLb1EES1O_IbLb0EEEEDaS1K_S1L_EUlS1K_E_NS1_11comp_targetILNS1_3genE8ELNS1_11target_archE1030ELNS1_3gpuE2ELNS1_3repE0EEENS1_30default_config_static_selectorELNS0_4arch9wavefront6targetE0EEEvSY_,comdat
.Lfunc_end484:
	.size	_ZN7rocprim17ROCPRIM_400000_NS6detail17trampoline_kernelINS0_13select_configILj256ELj13ELNS0_17block_load_methodE3ELS4_3ELS4_3ELNS0_20block_scan_algorithmE0ELj4294967295EEENS1_25partition_config_selectorILNS1_17partition_subalgoE3EjNS0_10empty_typeEbEEZZNS1_14partition_implILS8_3ELb0ES6_jNS0_17counting_iteratorIjlEEPS9_SE_NS0_5tupleIJPjSE_EEENSF_IJSE_SE_EEES9_SG_JZNS1_25segmented_radix_sort_implINS0_14default_configELb1EPKiPiPKlPlN2at6native12_GLOBAL__N_18offset_tEEE10hipError_tPvRmT1_PNSt15iterator_traitsISY_E10value_typeET2_T3_PNSZ_IS14_E10value_typeET4_jRbjT5_S1A_jjP12ihipStream_tbEUljE_EEESV_SW_SX_S14_S18_S1A_T6_T7_T9_mT8_S1C_bDpT10_ENKUlT_T0_E_clISt17integral_constantIbLb1EES1O_IbLb0EEEEDaS1K_S1L_EUlS1K_E_NS1_11comp_targetILNS1_3genE8ELNS1_11target_archE1030ELNS1_3gpuE2ELNS1_3repE0EEENS1_30default_config_static_selectorELNS0_4arch9wavefront6targetE0EEEvSY_, .Lfunc_end484-_ZN7rocprim17ROCPRIM_400000_NS6detail17trampoline_kernelINS0_13select_configILj256ELj13ELNS0_17block_load_methodE3ELS4_3ELS4_3ELNS0_20block_scan_algorithmE0ELj4294967295EEENS1_25partition_config_selectorILNS1_17partition_subalgoE3EjNS0_10empty_typeEbEEZZNS1_14partition_implILS8_3ELb0ES6_jNS0_17counting_iteratorIjlEEPS9_SE_NS0_5tupleIJPjSE_EEENSF_IJSE_SE_EEES9_SG_JZNS1_25segmented_radix_sort_implINS0_14default_configELb1EPKiPiPKlPlN2at6native12_GLOBAL__N_18offset_tEEE10hipError_tPvRmT1_PNSt15iterator_traitsISY_E10value_typeET2_T3_PNSZ_IS14_E10value_typeET4_jRbjT5_S1A_jjP12ihipStream_tbEUljE_EEESV_SW_SX_S14_S18_S1A_T6_T7_T9_mT8_S1C_bDpT10_ENKUlT_T0_E_clISt17integral_constantIbLb1EES1O_IbLb0EEEEDaS1K_S1L_EUlS1K_E_NS1_11comp_targetILNS1_3genE8ELNS1_11target_archE1030ELNS1_3gpuE2ELNS1_3repE0EEENS1_30default_config_static_selectorELNS0_4arch9wavefront6targetE0EEEvSY_
                                        ; -- End function
	.set _ZN7rocprim17ROCPRIM_400000_NS6detail17trampoline_kernelINS0_13select_configILj256ELj13ELNS0_17block_load_methodE3ELS4_3ELS4_3ELNS0_20block_scan_algorithmE0ELj4294967295EEENS1_25partition_config_selectorILNS1_17partition_subalgoE3EjNS0_10empty_typeEbEEZZNS1_14partition_implILS8_3ELb0ES6_jNS0_17counting_iteratorIjlEEPS9_SE_NS0_5tupleIJPjSE_EEENSF_IJSE_SE_EEES9_SG_JZNS1_25segmented_radix_sort_implINS0_14default_configELb1EPKiPiPKlPlN2at6native12_GLOBAL__N_18offset_tEEE10hipError_tPvRmT1_PNSt15iterator_traitsISY_E10value_typeET2_T3_PNSZ_IS14_E10value_typeET4_jRbjT5_S1A_jjP12ihipStream_tbEUljE_EEESV_SW_SX_S14_S18_S1A_T6_T7_T9_mT8_S1C_bDpT10_ENKUlT_T0_E_clISt17integral_constantIbLb1EES1O_IbLb0EEEEDaS1K_S1L_EUlS1K_E_NS1_11comp_targetILNS1_3genE8ELNS1_11target_archE1030ELNS1_3gpuE2ELNS1_3repE0EEENS1_30default_config_static_selectorELNS0_4arch9wavefront6targetE0EEEvSY_.num_vgpr, 0
	.set _ZN7rocprim17ROCPRIM_400000_NS6detail17trampoline_kernelINS0_13select_configILj256ELj13ELNS0_17block_load_methodE3ELS4_3ELS4_3ELNS0_20block_scan_algorithmE0ELj4294967295EEENS1_25partition_config_selectorILNS1_17partition_subalgoE3EjNS0_10empty_typeEbEEZZNS1_14partition_implILS8_3ELb0ES6_jNS0_17counting_iteratorIjlEEPS9_SE_NS0_5tupleIJPjSE_EEENSF_IJSE_SE_EEES9_SG_JZNS1_25segmented_radix_sort_implINS0_14default_configELb1EPKiPiPKlPlN2at6native12_GLOBAL__N_18offset_tEEE10hipError_tPvRmT1_PNSt15iterator_traitsISY_E10value_typeET2_T3_PNSZ_IS14_E10value_typeET4_jRbjT5_S1A_jjP12ihipStream_tbEUljE_EEESV_SW_SX_S14_S18_S1A_T6_T7_T9_mT8_S1C_bDpT10_ENKUlT_T0_E_clISt17integral_constantIbLb1EES1O_IbLb0EEEEDaS1K_S1L_EUlS1K_E_NS1_11comp_targetILNS1_3genE8ELNS1_11target_archE1030ELNS1_3gpuE2ELNS1_3repE0EEENS1_30default_config_static_selectorELNS0_4arch9wavefront6targetE0EEEvSY_.num_agpr, 0
	.set _ZN7rocprim17ROCPRIM_400000_NS6detail17trampoline_kernelINS0_13select_configILj256ELj13ELNS0_17block_load_methodE3ELS4_3ELS4_3ELNS0_20block_scan_algorithmE0ELj4294967295EEENS1_25partition_config_selectorILNS1_17partition_subalgoE3EjNS0_10empty_typeEbEEZZNS1_14partition_implILS8_3ELb0ES6_jNS0_17counting_iteratorIjlEEPS9_SE_NS0_5tupleIJPjSE_EEENSF_IJSE_SE_EEES9_SG_JZNS1_25segmented_radix_sort_implINS0_14default_configELb1EPKiPiPKlPlN2at6native12_GLOBAL__N_18offset_tEEE10hipError_tPvRmT1_PNSt15iterator_traitsISY_E10value_typeET2_T3_PNSZ_IS14_E10value_typeET4_jRbjT5_S1A_jjP12ihipStream_tbEUljE_EEESV_SW_SX_S14_S18_S1A_T6_T7_T9_mT8_S1C_bDpT10_ENKUlT_T0_E_clISt17integral_constantIbLb1EES1O_IbLb0EEEEDaS1K_S1L_EUlS1K_E_NS1_11comp_targetILNS1_3genE8ELNS1_11target_archE1030ELNS1_3gpuE2ELNS1_3repE0EEENS1_30default_config_static_selectorELNS0_4arch9wavefront6targetE0EEEvSY_.numbered_sgpr, 0
	.set _ZN7rocprim17ROCPRIM_400000_NS6detail17trampoline_kernelINS0_13select_configILj256ELj13ELNS0_17block_load_methodE3ELS4_3ELS4_3ELNS0_20block_scan_algorithmE0ELj4294967295EEENS1_25partition_config_selectorILNS1_17partition_subalgoE3EjNS0_10empty_typeEbEEZZNS1_14partition_implILS8_3ELb0ES6_jNS0_17counting_iteratorIjlEEPS9_SE_NS0_5tupleIJPjSE_EEENSF_IJSE_SE_EEES9_SG_JZNS1_25segmented_radix_sort_implINS0_14default_configELb1EPKiPiPKlPlN2at6native12_GLOBAL__N_18offset_tEEE10hipError_tPvRmT1_PNSt15iterator_traitsISY_E10value_typeET2_T3_PNSZ_IS14_E10value_typeET4_jRbjT5_S1A_jjP12ihipStream_tbEUljE_EEESV_SW_SX_S14_S18_S1A_T6_T7_T9_mT8_S1C_bDpT10_ENKUlT_T0_E_clISt17integral_constantIbLb1EES1O_IbLb0EEEEDaS1K_S1L_EUlS1K_E_NS1_11comp_targetILNS1_3genE8ELNS1_11target_archE1030ELNS1_3gpuE2ELNS1_3repE0EEENS1_30default_config_static_selectorELNS0_4arch9wavefront6targetE0EEEvSY_.num_named_barrier, 0
	.set _ZN7rocprim17ROCPRIM_400000_NS6detail17trampoline_kernelINS0_13select_configILj256ELj13ELNS0_17block_load_methodE3ELS4_3ELS4_3ELNS0_20block_scan_algorithmE0ELj4294967295EEENS1_25partition_config_selectorILNS1_17partition_subalgoE3EjNS0_10empty_typeEbEEZZNS1_14partition_implILS8_3ELb0ES6_jNS0_17counting_iteratorIjlEEPS9_SE_NS0_5tupleIJPjSE_EEENSF_IJSE_SE_EEES9_SG_JZNS1_25segmented_radix_sort_implINS0_14default_configELb1EPKiPiPKlPlN2at6native12_GLOBAL__N_18offset_tEEE10hipError_tPvRmT1_PNSt15iterator_traitsISY_E10value_typeET2_T3_PNSZ_IS14_E10value_typeET4_jRbjT5_S1A_jjP12ihipStream_tbEUljE_EEESV_SW_SX_S14_S18_S1A_T6_T7_T9_mT8_S1C_bDpT10_ENKUlT_T0_E_clISt17integral_constantIbLb1EES1O_IbLb0EEEEDaS1K_S1L_EUlS1K_E_NS1_11comp_targetILNS1_3genE8ELNS1_11target_archE1030ELNS1_3gpuE2ELNS1_3repE0EEENS1_30default_config_static_selectorELNS0_4arch9wavefront6targetE0EEEvSY_.private_seg_size, 0
	.set _ZN7rocprim17ROCPRIM_400000_NS6detail17trampoline_kernelINS0_13select_configILj256ELj13ELNS0_17block_load_methodE3ELS4_3ELS4_3ELNS0_20block_scan_algorithmE0ELj4294967295EEENS1_25partition_config_selectorILNS1_17partition_subalgoE3EjNS0_10empty_typeEbEEZZNS1_14partition_implILS8_3ELb0ES6_jNS0_17counting_iteratorIjlEEPS9_SE_NS0_5tupleIJPjSE_EEENSF_IJSE_SE_EEES9_SG_JZNS1_25segmented_radix_sort_implINS0_14default_configELb1EPKiPiPKlPlN2at6native12_GLOBAL__N_18offset_tEEE10hipError_tPvRmT1_PNSt15iterator_traitsISY_E10value_typeET2_T3_PNSZ_IS14_E10value_typeET4_jRbjT5_S1A_jjP12ihipStream_tbEUljE_EEESV_SW_SX_S14_S18_S1A_T6_T7_T9_mT8_S1C_bDpT10_ENKUlT_T0_E_clISt17integral_constantIbLb1EES1O_IbLb0EEEEDaS1K_S1L_EUlS1K_E_NS1_11comp_targetILNS1_3genE8ELNS1_11target_archE1030ELNS1_3gpuE2ELNS1_3repE0EEENS1_30default_config_static_selectorELNS0_4arch9wavefront6targetE0EEEvSY_.uses_vcc, 0
	.set _ZN7rocprim17ROCPRIM_400000_NS6detail17trampoline_kernelINS0_13select_configILj256ELj13ELNS0_17block_load_methodE3ELS4_3ELS4_3ELNS0_20block_scan_algorithmE0ELj4294967295EEENS1_25partition_config_selectorILNS1_17partition_subalgoE3EjNS0_10empty_typeEbEEZZNS1_14partition_implILS8_3ELb0ES6_jNS0_17counting_iteratorIjlEEPS9_SE_NS0_5tupleIJPjSE_EEENSF_IJSE_SE_EEES9_SG_JZNS1_25segmented_radix_sort_implINS0_14default_configELb1EPKiPiPKlPlN2at6native12_GLOBAL__N_18offset_tEEE10hipError_tPvRmT1_PNSt15iterator_traitsISY_E10value_typeET2_T3_PNSZ_IS14_E10value_typeET4_jRbjT5_S1A_jjP12ihipStream_tbEUljE_EEESV_SW_SX_S14_S18_S1A_T6_T7_T9_mT8_S1C_bDpT10_ENKUlT_T0_E_clISt17integral_constantIbLb1EES1O_IbLb0EEEEDaS1K_S1L_EUlS1K_E_NS1_11comp_targetILNS1_3genE8ELNS1_11target_archE1030ELNS1_3gpuE2ELNS1_3repE0EEENS1_30default_config_static_selectorELNS0_4arch9wavefront6targetE0EEEvSY_.uses_flat_scratch, 0
	.set _ZN7rocprim17ROCPRIM_400000_NS6detail17trampoline_kernelINS0_13select_configILj256ELj13ELNS0_17block_load_methodE3ELS4_3ELS4_3ELNS0_20block_scan_algorithmE0ELj4294967295EEENS1_25partition_config_selectorILNS1_17partition_subalgoE3EjNS0_10empty_typeEbEEZZNS1_14partition_implILS8_3ELb0ES6_jNS0_17counting_iteratorIjlEEPS9_SE_NS0_5tupleIJPjSE_EEENSF_IJSE_SE_EEES9_SG_JZNS1_25segmented_radix_sort_implINS0_14default_configELb1EPKiPiPKlPlN2at6native12_GLOBAL__N_18offset_tEEE10hipError_tPvRmT1_PNSt15iterator_traitsISY_E10value_typeET2_T3_PNSZ_IS14_E10value_typeET4_jRbjT5_S1A_jjP12ihipStream_tbEUljE_EEESV_SW_SX_S14_S18_S1A_T6_T7_T9_mT8_S1C_bDpT10_ENKUlT_T0_E_clISt17integral_constantIbLb1EES1O_IbLb0EEEEDaS1K_S1L_EUlS1K_E_NS1_11comp_targetILNS1_3genE8ELNS1_11target_archE1030ELNS1_3gpuE2ELNS1_3repE0EEENS1_30default_config_static_selectorELNS0_4arch9wavefront6targetE0EEEvSY_.has_dyn_sized_stack, 0
	.set _ZN7rocprim17ROCPRIM_400000_NS6detail17trampoline_kernelINS0_13select_configILj256ELj13ELNS0_17block_load_methodE3ELS4_3ELS4_3ELNS0_20block_scan_algorithmE0ELj4294967295EEENS1_25partition_config_selectorILNS1_17partition_subalgoE3EjNS0_10empty_typeEbEEZZNS1_14partition_implILS8_3ELb0ES6_jNS0_17counting_iteratorIjlEEPS9_SE_NS0_5tupleIJPjSE_EEENSF_IJSE_SE_EEES9_SG_JZNS1_25segmented_radix_sort_implINS0_14default_configELb1EPKiPiPKlPlN2at6native12_GLOBAL__N_18offset_tEEE10hipError_tPvRmT1_PNSt15iterator_traitsISY_E10value_typeET2_T3_PNSZ_IS14_E10value_typeET4_jRbjT5_S1A_jjP12ihipStream_tbEUljE_EEESV_SW_SX_S14_S18_S1A_T6_T7_T9_mT8_S1C_bDpT10_ENKUlT_T0_E_clISt17integral_constantIbLb1EES1O_IbLb0EEEEDaS1K_S1L_EUlS1K_E_NS1_11comp_targetILNS1_3genE8ELNS1_11target_archE1030ELNS1_3gpuE2ELNS1_3repE0EEENS1_30default_config_static_selectorELNS0_4arch9wavefront6targetE0EEEvSY_.has_recursion, 0
	.set _ZN7rocprim17ROCPRIM_400000_NS6detail17trampoline_kernelINS0_13select_configILj256ELj13ELNS0_17block_load_methodE3ELS4_3ELS4_3ELNS0_20block_scan_algorithmE0ELj4294967295EEENS1_25partition_config_selectorILNS1_17partition_subalgoE3EjNS0_10empty_typeEbEEZZNS1_14partition_implILS8_3ELb0ES6_jNS0_17counting_iteratorIjlEEPS9_SE_NS0_5tupleIJPjSE_EEENSF_IJSE_SE_EEES9_SG_JZNS1_25segmented_radix_sort_implINS0_14default_configELb1EPKiPiPKlPlN2at6native12_GLOBAL__N_18offset_tEEE10hipError_tPvRmT1_PNSt15iterator_traitsISY_E10value_typeET2_T3_PNSZ_IS14_E10value_typeET4_jRbjT5_S1A_jjP12ihipStream_tbEUljE_EEESV_SW_SX_S14_S18_S1A_T6_T7_T9_mT8_S1C_bDpT10_ENKUlT_T0_E_clISt17integral_constantIbLb1EES1O_IbLb0EEEEDaS1K_S1L_EUlS1K_E_NS1_11comp_targetILNS1_3genE8ELNS1_11target_archE1030ELNS1_3gpuE2ELNS1_3repE0EEENS1_30default_config_static_selectorELNS0_4arch9wavefront6targetE0EEEvSY_.has_indirect_call, 0
	.section	.AMDGPU.csdata,"",@progbits
; Kernel info:
; codeLenInByte = 4
; TotalNumSgprs: 0
; NumVgprs: 0
; ScratchSize: 0
; MemoryBound: 0
; FloatMode: 240
; IeeeMode: 1
; LDSByteSize: 0 bytes/workgroup (compile time only)
; SGPRBlocks: 0
; VGPRBlocks: 0
; NumSGPRsForWavesPerEU: 1
; NumVGPRsForWavesPerEU: 1
; Occupancy: 16
; WaveLimiterHint : 0
; COMPUTE_PGM_RSRC2:SCRATCH_EN: 0
; COMPUTE_PGM_RSRC2:USER_SGPR: 6
; COMPUTE_PGM_RSRC2:TRAP_HANDLER: 0
; COMPUTE_PGM_RSRC2:TGID_X_EN: 1
; COMPUTE_PGM_RSRC2:TGID_Y_EN: 0
; COMPUTE_PGM_RSRC2:TGID_Z_EN: 0
; COMPUTE_PGM_RSRC2:TIDIG_COMP_CNT: 0
	.section	.text._ZN7rocprim17ROCPRIM_400000_NS6detail17trampoline_kernelINS0_13select_configILj256ELj13ELNS0_17block_load_methodE3ELS4_3ELS4_3ELNS0_20block_scan_algorithmE0ELj4294967295EEENS1_25partition_config_selectorILNS1_17partition_subalgoE3EjNS0_10empty_typeEbEEZZNS1_14partition_implILS8_3ELb0ES6_jNS0_17counting_iteratorIjlEEPS9_SE_NS0_5tupleIJPjSE_EEENSF_IJSE_SE_EEES9_SG_JZNS1_25segmented_radix_sort_implINS0_14default_configELb1EPKiPiPKlPlN2at6native12_GLOBAL__N_18offset_tEEE10hipError_tPvRmT1_PNSt15iterator_traitsISY_E10value_typeET2_T3_PNSZ_IS14_E10value_typeET4_jRbjT5_S1A_jjP12ihipStream_tbEUljE_EEESV_SW_SX_S14_S18_S1A_T6_T7_T9_mT8_S1C_bDpT10_ENKUlT_T0_E_clISt17integral_constantIbLb0EES1O_IbLb1EEEEDaS1K_S1L_EUlS1K_E_NS1_11comp_targetILNS1_3genE0ELNS1_11target_archE4294967295ELNS1_3gpuE0ELNS1_3repE0EEENS1_30default_config_static_selectorELNS0_4arch9wavefront6targetE0EEEvSY_,"axG",@progbits,_ZN7rocprim17ROCPRIM_400000_NS6detail17trampoline_kernelINS0_13select_configILj256ELj13ELNS0_17block_load_methodE3ELS4_3ELS4_3ELNS0_20block_scan_algorithmE0ELj4294967295EEENS1_25partition_config_selectorILNS1_17partition_subalgoE3EjNS0_10empty_typeEbEEZZNS1_14partition_implILS8_3ELb0ES6_jNS0_17counting_iteratorIjlEEPS9_SE_NS0_5tupleIJPjSE_EEENSF_IJSE_SE_EEES9_SG_JZNS1_25segmented_radix_sort_implINS0_14default_configELb1EPKiPiPKlPlN2at6native12_GLOBAL__N_18offset_tEEE10hipError_tPvRmT1_PNSt15iterator_traitsISY_E10value_typeET2_T3_PNSZ_IS14_E10value_typeET4_jRbjT5_S1A_jjP12ihipStream_tbEUljE_EEESV_SW_SX_S14_S18_S1A_T6_T7_T9_mT8_S1C_bDpT10_ENKUlT_T0_E_clISt17integral_constantIbLb0EES1O_IbLb1EEEEDaS1K_S1L_EUlS1K_E_NS1_11comp_targetILNS1_3genE0ELNS1_11target_archE4294967295ELNS1_3gpuE0ELNS1_3repE0EEENS1_30default_config_static_selectorELNS0_4arch9wavefront6targetE0EEEvSY_,comdat
	.globl	_ZN7rocprim17ROCPRIM_400000_NS6detail17trampoline_kernelINS0_13select_configILj256ELj13ELNS0_17block_load_methodE3ELS4_3ELS4_3ELNS0_20block_scan_algorithmE0ELj4294967295EEENS1_25partition_config_selectorILNS1_17partition_subalgoE3EjNS0_10empty_typeEbEEZZNS1_14partition_implILS8_3ELb0ES6_jNS0_17counting_iteratorIjlEEPS9_SE_NS0_5tupleIJPjSE_EEENSF_IJSE_SE_EEES9_SG_JZNS1_25segmented_radix_sort_implINS0_14default_configELb1EPKiPiPKlPlN2at6native12_GLOBAL__N_18offset_tEEE10hipError_tPvRmT1_PNSt15iterator_traitsISY_E10value_typeET2_T3_PNSZ_IS14_E10value_typeET4_jRbjT5_S1A_jjP12ihipStream_tbEUljE_EEESV_SW_SX_S14_S18_S1A_T6_T7_T9_mT8_S1C_bDpT10_ENKUlT_T0_E_clISt17integral_constantIbLb0EES1O_IbLb1EEEEDaS1K_S1L_EUlS1K_E_NS1_11comp_targetILNS1_3genE0ELNS1_11target_archE4294967295ELNS1_3gpuE0ELNS1_3repE0EEENS1_30default_config_static_selectorELNS0_4arch9wavefront6targetE0EEEvSY_ ; -- Begin function _ZN7rocprim17ROCPRIM_400000_NS6detail17trampoline_kernelINS0_13select_configILj256ELj13ELNS0_17block_load_methodE3ELS4_3ELS4_3ELNS0_20block_scan_algorithmE0ELj4294967295EEENS1_25partition_config_selectorILNS1_17partition_subalgoE3EjNS0_10empty_typeEbEEZZNS1_14partition_implILS8_3ELb0ES6_jNS0_17counting_iteratorIjlEEPS9_SE_NS0_5tupleIJPjSE_EEENSF_IJSE_SE_EEES9_SG_JZNS1_25segmented_radix_sort_implINS0_14default_configELb1EPKiPiPKlPlN2at6native12_GLOBAL__N_18offset_tEEE10hipError_tPvRmT1_PNSt15iterator_traitsISY_E10value_typeET2_T3_PNSZ_IS14_E10value_typeET4_jRbjT5_S1A_jjP12ihipStream_tbEUljE_EEESV_SW_SX_S14_S18_S1A_T6_T7_T9_mT8_S1C_bDpT10_ENKUlT_T0_E_clISt17integral_constantIbLb0EES1O_IbLb1EEEEDaS1K_S1L_EUlS1K_E_NS1_11comp_targetILNS1_3genE0ELNS1_11target_archE4294967295ELNS1_3gpuE0ELNS1_3repE0EEENS1_30default_config_static_selectorELNS0_4arch9wavefront6targetE0EEEvSY_
	.p2align	8
	.type	_ZN7rocprim17ROCPRIM_400000_NS6detail17trampoline_kernelINS0_13select_configILj256ELj13ELNS0_17block_load_methodE3ELS4_3ELS4_3ELNS0_20block_scan_algorithmE0ELj4294967295EEENS1_25partition_config_selectorILNS1_17partition_subalgoE3EjNS0_10empty_typeEbEEZZNS1_14partition_implILS8_3ELb0ES6_jNS0_17counting_iteratorIjlEEPS9_SE_NS0_5tupleIJPjSE_EEENSF_IJSE_SE_EEES9_SG_JZNS1_25segmented_radix_sort_implINS0_14default_configELb1EPKiPiPKlPlN2at6native12_GLOBAL__N_18offset_tEEE10hipError_tPvRmT1_PNSt15iterator_traitsISY_E10value_typeET2_T3_PNSZ_IS14_E10value_typeET4_jRbjT5_S1A_jjP12ihipStream_tbEUljE_EEESV_SW_SX_S14_S18_S1A_T6_T7_T9_mT8_S1C_bDpT10_ENKUlT_T0_E_clISt17integral_constantIbLb0EES1O_IbLb1EEEEDaS1K_S1L_EUlS1K_E_NS1_11comp_targetILNS1_3genE0ELNS1_11target_archE4294967295ELNS1_3gpuE0ELNS1_3repE0EEENS1_30default_config_static_selectorELNS0_4arch9wavefront6targetE0EEEvSY_,@function
_ZN7rocprim17ROCPRIM_400000_NS6detail17trampoline_kernelINS0_13select_configILj256ELj13ELNS0_17block_load_methodE3ELS4_3ELS4_3ELNS0_20block_scan_algorithmE0ELj4294967295EEENS1_25partition_config_selectorILNS1_17partition_subalgoE3EjNS0_10empty_typeEbEEZZNS1_14partition_implILS8_3ELb0ES6_jNS0_17counting_iteratorIjlEEPS9_SE_NS0_5tupleIJPjSE_EEENSF_IJSE_SE_EEES9_SG_JZNS1_25segmented_radix_sort_implINS0_14default_configELb1EPKiPiPKlPlN2at6native12_GLOBAL__N_18offset_tEEE10hipError_tPvRmT1_PNSt15iterator_traitsISY_E10value_typeET2_T3_PNSZ_IS14_E10value_typeET4_jRbjT5_S1A_jjP12ihipStream_tbEUljE_EEESV_SW_SX_S14_S18_S1A_T6_T7_T9_mT8_S1C_bDpT10_ENKUlT_T0_E_clISt17integral_constantIbLb0EES1O_IbLb1EEEEDaS1K_S1L_EUlS1K_E_NS1_11comp_targetILNS1_3genE0ELNS1_11target_archE4294967295ELNS1_3gpuE0ELNS1_3repE0EEENS1_30default_config_static_selectorELNS0_4arch9wavefront6targetE0EEEvSY_: ; @_ZN7rocprim17ROCPRIM_400000_NS6detail17trampoline_kernelINS0_13select_configILj256ELj13ELNS0_17block_load_methodE3ELS4_3ELS4_3ELNS0_20block_scan_algorithmE0ELj4294967295EEENS1_25partition_config_selectorILNS1_17partition_subalgoE3EjNS0_10empty_typeEbEEZZNS1_14partition_implILS8_3ELb0ES6_jNS0_17counting_iteratorIjlEEPS9_SE_NS0_5tupleIJPjSE_EEENSF_IJSE_SE_EEES9_SG_JZNS1_25segmented_radix_sort_implINS0_14default_configELb1EPKiPiPKlPlN2at6native12_GLOBAL__N_18offset_tEEE10hipError_tPvRmT1_PNSt15iterator_traitsISY_E10value_typeET2_T3_PNSZ_IS14_E10value_typeET4_jRbjT5_S1A_jjP12ihipStream_tbEUljE_EEESV_SW_SX_S14_S18_S1A_T6_T7_T9_mT8_S1C_bDpT10_ENKUlT_T0_E_clISt17integral_constantIbLb0EES1O_IbLb1EEEEDaS1K_S1L_EUlS1K_E_NS1_11comp_targetILNS1_3genE0ELNS1_11target_archE4294967295ELNS1_3gpuE0ELNS1_3repE0EEENS1_30default_config_static_selectorELNS0_4arch9wavefront6targetE0EEEvSY_
; %bb.0:
	.section	.rodata,"a",@progbits
	.p2align	6, 0x0
	.amdhsa_kernel _ZN7rocprim17ROCPRIM_400000_NS6detail17trampoline_kernelINS0_13select_configILj256ELj13ELNS0_17block_load_methodE3ELS4_3ELS4_3ELNS0_20block_scan_algorithmE0ELj4294967295EEENS1_25partition_config_selectorILNS1_17partition_subalgoE3EjNS0_10empty_typeEbEEZZNS1_14partition_implILS8_3ELb0ES6_jNS0_17counting_iteratorIjlEEPS9_SE_NS0_5tupleIJPjSE_EEENSF_IJSE_SE_EEES9_SG_JZNS1_25segmented_radix_sort_implINS0_14default_configELb1EPKiPiPKlPlN2at6native12_GLOBAL__N_18offset_tEEE10hipError_tPvRmT1_PNSt15iterator_traitsISY_E10value_typeET2_T3_PNSZ_IS14_E10value_typeET4_jRbjT5_S1A_jjP12ihipStream_tbEUljE_EEESV_SW_SX_S14_S18_S1A_T6_T7_T9_mT8_S1C_bDpT10_ENKUlT_T0_E_clISt17integral_constantIbLb0EES1O_IbLb1EEEEDaS1K_S1L_EUlS1K_E_NS1_11comp_targetILNS1_3genE0ELNS1_11target_archE4294967295ELNS1_3gpuE0ELNS1_3repE0EEENS1_30default_config_static_selectorELNS0_4arch9wavefront6targetE0EEEvSY_
		.amdhsa_group_segment_fixed_size 0
		.amdhsa_private_segment_fixed_size 0
		.amdhsa_kernarg_size 152
		.amdhsa_user_sgpr_count 6
		.amdhsa_user_sgpr_private_segment_buffer 1
		.amdhsa_user_sgpr_dispatch_ptr 0
		.amdhsa_user_sgpr_queue_ptr 0
		.amdhsa_user_sgpr_kernarg_segment_ptr 1
		.amdhsa_user_sgpr_dispatch_id 0
		.amdhsa_user_sgpr_flat_scratch_init 0
		.amdhsa_user_sgpr_private_segment_size 0
		.amdhsa_wavefront_size32 1
		.amdhsa_uses_dynamic_stack 0
		.amdhsa_system_sgpr_private_segment_wavefront_offset 0
		.amdhsa_system_sgpr_workgroup_id_x 1
		.amdhsa_system_sgpr_workgroup_id_y 0
		.amdhsa_system_sgpr_workgroup_id_z 0
		.amdhsa_system_sgpr_workgroup_info 0
		.amdhsa_system_vgpr_workitem_id 0
		.amdhsa_next_free_vgpr 1
		.amdhsa_next_free_sgpr 1
		.amdhsa_reserve_vcc 0
		.amdhsa_reserve_flat_scratch 0
		.amdhsa_float_round_mode_32 0
		.amdhsa_float_round_mode_16_64 0
		.amdhsa_float_denorm_mode_32 3
		.amdhsa_float_denorm_mode_16_64 3
		.amdhsa_dx10_clamp 1
		.amdhsa_ieee_mode 1
		.amdhsa_fp16_overflow 0
		.amdhsa_workgroup_processor_mode 1
		.amdhsa_memory_ordered 1
		.amdhsa_forward_progress 1
		.amdhsa_shared_vgpr_count 0
		.amdhsa_exception_fp_ieee_invalid_op 0
		.amdhsa_exception_fp_denorm_src 0
		.amdhsa_exception_fp_ieee_div_zero 0
		.amdhsa_exception_fp_ieee_overflow 0
		.amdhsa_exception_fp_ieee_underflow 0
		.amdhsa_exception_fp_ieee_inexact 0
		.amdhsa_exception_int_div_zero 0
	.end_amdhsa_kernel
	.section	.text._ZN7rocprim17ROCPRIM_400000_NS6detail17trampoline_kernelINS0_13select_configILj256ELj13ELNS0_17block_load_methodE3ELS4_3ELS4_3ELNS0_20block_scan_algorithmE0ELj4294967295EEENS1_25partition_config_selectorILNS1_17partition_subalgoE3EjNS0_10empty_typeEbEEZZNS1_14partition_implILS8_3ELb0ES6_jNS0_17counting_iteratorIjlEEPS9_SE_NS0_5tupleIJPjSE_EEENSF_IJSE_SE_EEES9_SG_JZNS1_25segmented_radix_sort_implINS0_14default_configELb1EPKiPiPKlPlN2at6native12_GLOBAL__N_18offset_tEEE10hipError_tPvRmT1_PNSt15iterator_traitsISY_E10value_typeET2_T3_PNSZ_IS14_E10value_typeET4_jRbjT5_S1A_jjP12ihipStream_tbEUljE_EEESV_SW_SX_S14_S18_S1A_T6_T7_T9_mT8_S1C_bDpT10_ENKUlT_T0_E_clISt17integral_constantIbLb0EES1O_IbLb1EEEEDaS1K_S1L_EUlS1K_E_NS1_11comp_targetILNS1_3genE0ELNS1_11target_archE4294967295ELNS1_3gpuE0ELNS1_3repE0EEENS1_30default_config_static_selectorELNS0_4arch9wavefront6targetE0EEEvSY_,"axG",@progbits,_ZN7rocprim17ROCPRIM_400000_NS6detail17trampoline_kernelINS0_13select_configILj256ELj13ELNS0_17block_load_methodE3ELS4_3ELS4_3ELNS0_20block_scan_algorithmE0ELj4294967295EEENS1_25partition_config_selectorILNS1_17partition_subalgoE3EjNS0_10empty_typeEbEEZZNS1_14partition_implILS8_3ELb0ES6_jNS0_17counting_iteratorIjlEEPS9_SE_NS0_5tupleIJPjSE_EEENSF_IJSE_SE_EEES9_SG_JZNS1_25segmented_radix_sort_implINS0_14default_configELb1EPKiPiPKlPlN2at6native12_GLOBAL__N_18offset_tEEE10hipError_tPvRmT1_PNSt15iterator_traitsISY_E10value_typeET2_T3_PNSZ_IS14_E10value_typeET4_jRbjT5_S1A_jjP12ihipStream_tbEUljE_EEESV_SW_SX_S14_S18_S1A_T6_T7_T9_mT8_S1C_bDpT10_ENKUlT_T0_E_clISt17integral_constantIbLb0EES1O_IbLb1EEEEDaS1K_S1L_EUlS1K_E_NS1_11comp_targetILNS1_3genE0ELNS1_11target_archE4294967295ELNS1_3gpuE0ELNS1_3repE0EEENS1_30default_config_static_selectorELNS0_4arch9wavefront6targetE0EEEvSY_,comdat
.Lfunc_end485:
	.size	_ZN7rocprim17ROCPRIM_400000_NS6detail17trampoline_kernelINS0_13select_configILj256ELj13ELNS0_17block_load_methodE3ELS4_3ELS4_3ELNS0_20block_scan_algorithmE0ELj4294967295EEENS1_25partition_config_selectorILNS1_17partition_subalgoE3EjNS0_10empty_typeEbEEZZNS1_14partition_implILS8_3ELb0ES6_jNS0_17counting_iteratorIjlEEPS9_SE_NS0_5tupleIJPjSE_EEENSF_IJSE_SE_EEES9_SG_JZNS1_25segmented_radix_sort_implINS0_14default_configELb1EPKiPiPKlPlN2at6native12_GLOBAL__N_18offset_tEEE10hipError_tPvRmT1_PNSt15iterator_traitsISY_E10value_typeET2_T3_PNSZ_IS14_E10value_typeET4_jRbjT5_S1A_jjP12ihipStream_tbEUljE_EEESV_SW_SX_S14_S18_S1A_T6_T7_T9_mT8_S1C_bDpT10_ENKUlT_T0_E_clISt17integral_constantIbLb0EES1O_IbLb1EEEEDaS1K_S1L_EUlS1K_E_NS1_11comp_targetILNS1_3genE0ELNS1_11target_archE4294967295ELNS1_3gpuE0ELNS1_3repE0EEENS1_30default_config_static_selectorELNS0_4arch9wavefront6targetE0EEEvSY_, .Lfunc_end485-_ZN7rocprim17ROCPRIM_400000_NS6detail17trampoline_kernelINS0_13select_configILj256ELj13ELNS0_17block_load_methodE3ELS4_3ELS4_3ELNS0_20block_scan_algorithmE0ELj4294967295EEENS1_25partition_config_selectorILNS1_17partition_subalgoE3EjNS0_10empty_typeEbEEZZNS1_14partition_implILS8_3ELb0ES6_jNS0_17counting_iteratorIjlEEPS9_SE_NS0_5tupleIJPjSE_EEENSF_IJSE_SE_EEES9_SG_JZNS1_25segmented_radix_sort_implINS0_14default_configELb1EPKiPiPKlPlN2at6native12_GLOBAL__N_18offset_tEEE10hipError_tPvRmT1_PNSt15iterator_traitsISY_E10value_typeET2_T3_PNSZ_IS14_E10value_typeET4_jRbjT5_S1A_jjP12ihipStream_tbEUljE_EEESV_SW_SX_S14_S18_S1A_T6_T7_T9_mT8_S1C_bDpT10_ENKUlT_T0_E_clISt17integral_constantIbLb0EES1O_IbLb1EEEEDaS1K_S1L_EUlS1K_E_NS1_11comp_targetILNS1_3genE0ELNS1_11target_archE4294967295ELNS1_3gpuE0ELNS1_3repE0EEENS1_30default_config_static_selectorELNS0_4arch9wavefront6targetE0EEEvSY_
                                        ; -- End function
	.set _ZN7rocprim17ROCPRIM_400000_NS6detail17trampoline_kernelINS0_13select_configILj256ELj13ELNS0_17block_load_methodE3ELS4_3ELS4_3ELNS0_20block_scan_algorithmE0ELj4294967295EEENS1_25partition_config_selectorILNS1_17partition_subalgoE3EjNS0_10empty_typeEbEEZZNS1_14partition_implILS8_3ELb0ES6_jNS0_17counting_iteratorIjlEEPS9_SE_NS0_5tupleIJPjSE_EEENSF_IJSE_SE_EEES9_SG_JZNS1_25segmented_radix_sort_implINS0_14default_configELb1EPKiPiPKlPlN2at6native12_GLOBAL__N_18offset_tEEE10hipError_tPvRmT1_PNSt15iterator_traitsISY_E10value_typeET2_T3_PNSZ_IS14_E10value_typeET4_jRbjT5_S1A_jjP12ihipStream_tbEUljE_EEESV_SW_SX_S14_S18_S1A_T6_T7_T9_mT8_S1C_bDpT10_ENKUlT_T0_E_clISt17integral_constantIbLb0EES1O_IbLb1EEEEDaS1K_S1L_EUlS1K_E_NS1_11comp_targetILNS1_3genE0ELNS1_11target_archE4294967295ELNS1_3gpuE0ELNS1_3repE0EEENS1_30default_config_static_selectorELNS0_4arch9wavefront6targetE0EEEvSY_.num_vgpr, 0
	.set _ZN7rocprim17ROCPRIM_400000_NS6detail17trampoline_kernelINS0_13select_configILj256ELj13ELNS0_17block_load_methodE3ELS4_3ELS4_3ELNS0_20block_scan_algorithmE0ELj4294967295EEENS1_25partition_config_selectorILNS1_17partition_subalgoE3EjNS0_10empty_typeEbEEZZNS1_14partition_implILS8_3ELb0ES6_jNS0_17counting_iteratorIjlEEPS9_SE_NS0_5tupleIJPjSE_EEENSF_IJSE_SE_EEES9_SG_JZNS1_25segmented_radix_sort_implINS0_14default_configELb1EPKiPiPKlPlN2at6native12_GLOBAL__N_18offset_tEEE10hipError_tPvRmT1_PNSt15iterator_traitsISY_E10value_typeET2_T3_PNSZ_IS14_E10value_typeET4_jRbjT5_S1A_jjP12ihipStream_tbEUljE_EEESV_SW_SX_S14_S18_S1A_T6_T7_T9_mT8_S1C_bDpT10_ENKUlT_T0_E_clISt17integral_constantIbLb0EES1O_IbLb1EEEEDaS1K_S1L_EUlS1K_E_NS1_11comp_targetILNS1_3genE0ELNS1_11target_archE4294967295ELNS1_3gpuE0ELNS1_3repE0EEENS1_30default_config_static_selectorELNS0_4arch9wavefront6targetE0EEEvSY_.num_agpr, 0
	.set _ZN7rocprim17ROCPRIM_400000_NS6detail17trampoline_kernelINS0_13select_configILj256ELj13ELNS0_17block_load_methodE3ELS4_3ELS4_3ELNS0_20block_scan_algorithmE0ELj4294967295EEENS1_25partition_config_selectorILNS1_17partition_subalgoE3EjNS0_10empty_typeEbEEZZNS1_14partition_implILS8_3ELb0ES6_jNS0_17counting_iteratorIjlEEPS9_SE_NS0_5tupleIJPjSE_EEENSF_IJSE_SE_EEES9_SG_JZNS1_25segmented_radix_sort_implINS0_14default_configELb1EPKiPiPKlPlN2at6native12_GLOBAL__N_18offset_tEEE10hipError_tPvRmT1_PNSt15iterator_traitsISY_E10value_typeET2_T3_PNSZ_IS14_E10value_typeET4_jRbjT5_S1A_jjP12ihipStream_tbEUljE_EEESV_SW_SX_S14_S18_S1A_T6_T7_T9_mT8_S1C_bDpT10_ENKUlT_T0_E_clISt17integral_constantIbLb0EES1O_IbLb1EEEEDaS1K_S1L_EUlS1K_E_NS1_11comp_targetILNS1_3genE0ELNS1_11target_archE4294967295ELNS1_3gpuE0ELNS1_3repE0EEENS1_30default_config_static_selectorELNS0_4arch9wavefront6targetE0EEEvSY_.numbered_sgpr, 0
	.set _ZN7rocprim17ROCPRIM_400000_NS6detail17trampoline_kernelINS0_13select_configILj256ELj13ELNS0_17block_load_methodE3ELS4_3ELS4_3ELNS0_20block_scan_algorithmE0ELj4294967295EEENS1_25partition_config_selectorILNS1_17partition_subalgoE3EjNS0_10empty_typeEbEEZZNS1_14partition_implILS8_3ELb0ES6_jNS0_17counting_iteratorIjlEEPS9_SE_NS0_5tupleIJPjSE_EEENSF_IJSE_SE_EEES9_SG_JZNS1_25segmented_radix_sort_implINS0_14default_configELb1EPKiPiPKlPlN2at6native12_GLOBAL__N_18offset_tEEE10hipError_tPvRmT1_PNSt15iterator_traitsISY_E10value_typeET2_T3_PNSZ_IS14_E10value_typeET4_jRbjT5_S1A_jjP12ihipStream_tbEUljE_EEESV_SW_SX_S14_S18_S1A_T6_T7_T9_mT8_S1C_bDpT10_ENKUlT_T0_E_clISt17integral_constantIbLb0EES1O_IbLb1EEEEDaS1K_S1L_EUlS1K_E_NS1_11comp_targetILNS1_3genE0ELNS1_11target_archE4294967295ELNS1_3gpuE0ELNS1_3repE0EEENS1_30default_config_static_selectorELNS0_4arch9wavefront6targetE0EEEvSY_.num_named_barrier, 0
	.set _ZN7rocprim17ROCPRIM_400000_NS6detail17trampoline_kernelINS0_13select_configILj256ELj13ELNS0_17block_load_methodE3ELS4_3ELS4_3ELNS0_20block_scan_algorithmE0ELj4294967295EEENS1_25partition_config_selectorILNS1_17partition_subalgoE3EjNS0_10empty_typeEbEEZZNS1_14partition_implILS8_3ELb0ES6_jNS0_17counting_iteratorIjlEEPS9_SE_NS0_5tupleIJPjSE_EEENSF_IJSE_SE_EEES9_SG_JZNS1_25segmented_radix_sort_implINS0_14default_configELb1EPKiPiPKlPlN2at6native12_GLOBAL__N_18offset_tEEE10hipError_tPvRmT1_PNSt15iterator_traitsISY_E10value_typeET2_T3_PNSZ_IS14_E10value_typeET4_jRbjT5_S1A_jjP12ihipStream_tbEUljE_EEESV_SW_SX_S14_S18_S1A_T6_T7_T9_mT8_S1C_bDpT10_ENKUlT_T0_E_clISt17integral_constantIbLb0EES1O_IbLb1EEEEDaS1K_S1L_EUlS1K_E_NS1_11comp_targetILNS1_3genE0ELNS1_11target_archE4294967295ELNS1_3gpuE0ELNS1_3repE0EEENS1_30default_config_static_selectorELNS0_4arch9wavefront6targetE0EEEvSY_.private_seg_size, 0
	.set _ZN7rocprim17ROCPRIM_400000_NS6detail17trampoline_kernelINS0_13select_configILj256ELj13ELNS0_17block_load_methodE3ELS4_3ELS4_3ELNS0_20block_scan_algorithmE0ELj4294967295EEENS1_25partition_config_selectorILNS1_17partition_subalgoE3EjNS0_10empty_typeEbEEZZNS1_14partition_implILS8_3ELb0ES6_jNS0_17counting_iteratorIjlEEPS9_SE_NS0_5tupleIJPjSE_EEENSF_IJSE_SE_EEES9_SG_JZNS1_25segmented_radix_sort_implINS0_14default_configELb1EPKiPiPKlPlN2at6native12_GLOBAL__N_18offset_tEEE10hipError_tPvRmT1_PNSt15iterator_traitsISY_E10value_typeET2_T3_PNSZ_IS14_E10value_typeET4_jRbjT5_S1A_jjP12ihipStream_tbEUljE_EEESV_SW_SX_S14_S18_S1A_T6_T7_T9_mT8_S1C_bDpT10_ENKUlT_T0_E_clISt17integral_constantIbLb0EES1O_IbLb1EEEEDaS1K_S1L_EUlS1K_E_NS1_11comp_targetILNS1_3genE0ELNS1_11target_archE4294967295ELNS1_3gpuE0ELNS1_3repE0EEENS1_30default_config_static_selectorELNS0_4arch9wavefront6targetE0EEEvSY_.uses_vcc, 0
	.set _ZN7rocprim17ROCPRIM_400000_NS6detail17trampoline_kernelINS0_13select_configILj256ELj13ELNS0_17block_load_methodE3ELS4_3ELS4_3ELNS0_20block_scan_algorithmE0ELj4294967295EEENS1_25partition_config_selectorILNS1_17partition_subalgoE3EjNS0_10empty_typeEbEEZZNS1_14partition_implILS8_3ELb0ES6_jNS0_17counting_iteratorIjlEEPS9_SE_NS0_5tupleIJPjSE_EEENSF_IJSE_SE_EEES9_SG_JZNS1_25segmented_radix_sort_implINS0_14default_configELb1EPKiPiPKlPlN2at6native12_GLOBAL__N_18offset_tEEE10hipError_tPvRmT1_PNSt15iterator_traitsISY_E10value_typeET2_T3_PNSZ_IS14_E10value_typeET4_jRbjT5_S1A_jjP12ihipStream_tbEUljE_EEESV_SW_SX_S14_S18_S1A_T6_T7_T9_mT8_S1C_bDpT10_ENKUlT_T0_E_clISt17integral_constantIbLb0EES1O_IbLb1EEEEDaS1K_S1L_EUlS1K_E_NS1_11comp_targetILNS1_3genE0ELNS1_11target_archE4294967295ELNS1_3gpuE0ELNS1_3repE0EEENS1_30default_config_static_selectorELNS0_4arch9wavefront6targetE0EEEvSY_.uses_flat_scratch, 0
	.set _ZN7rocprim17ROCPRIM_400000_NS6detail17trampoline_kernelINS0_13select_configILj256ELj13ELNS0_17block_load_methodE3ELS4_3ELS4_3ELNS0_20block_scan_algorithmE0ELj4294967295EEENS1_25partition_config_selectorILNS1_17partition_subalgoE3EjNS0_10empty_typeEbEEZZNS1_14partition_implILS8_3ELb0ES6_jNS0_17counting_iteratorIjlEEPS9_SE_NS0_5tupleIJPjSE_EEENSF_IJSE_SE_EEES9_SG_JZNS1_25segmented_radix_sort_implINS0_14default_configELb1EPKiPiPKlPlN2at6native12_GLOBAL__N_18offset_tEEE10hipError_tPvRmT1_PNSt15iterator_traitsISY_E10value_typeET2_T3_PNSZ_IS14_E10value_typeET4_jRbjT5_S1A_jjP12ihipStream_tbEUljE_EEESV_SW_SX_S14_S18_S1A_T6_T7_T9_mT8_S1C_bDpT10_ENKUlT_T0_E_clISt17integral_constantIbLb0EES1O_IbLb1EEEEDaS1K_S1L_EUlS1K_E_NS1_11comp_targetILNS1_3genE0ELNS1_11target_archE4294967295ELNS1_3gpuE0ELNS1_3repE0EEENS1_30default_config_static_selectorELNS0_4arch9wavefront6targetE0EEEvSY_.has_dyn_sized_stack, 0
	.set _ZN7rocprim17ROCPRIM_400000_NS6detail17trampoline_kernelINS0_13select_configILj256ELj13ELNS0_17block_load_methodE3ELS4_3ELS4_3ELNS0_20block_scan_algorithmE0ELj4294967295EEENS1_25partition_config_selectorILNS1_17partition_subalgoE3EjNS0_10empty_typeEbEEZZNS1_14partition_implILS8_3ELb0ES6_jNS0_17counting_iteratorIjlEEPS9_SE_NS0_5tupleIJPjSE_EEENSF_IJSE_SE_EEES9_SG_JZNS1_25segmented_radix_sort_implINS0_14default_configELb1EPKiPiPKlPlN2at6native12_GLOBAL__N_18offset_tEEE10hipError_tPvRmT1_PNSt15iterator_traitsISY_E10value_typeET2_T3_PNSZ_IS14_E10value_typeET4_jRbjT5_S1A_jjP12ihipStream_tbEUljE_EEESV_SW_SX_S14_S18_S1A_T6_T7_T9_mT8_S1C_bDpT10_ENKUlT_T0_E_clISt17integral_constantIbLb0EES1O_IbLb1EEEEDaS1K_S1L_EUlS1K_E_NS1_11comp_targetILNS1_3genE0ELNS1_11target_archE4294967295ELNS1_3gpuE0ELNS1_3repE0EEENS1_30default_config_static_selectorELNS0_4arch9wavefront6targetE0EEEvSY_.has_recursion, 0
	.set _ZN7rocprim17ROCPRIM_400000_NS6detail17trampoline_kernelINS0_13select_configILj256ELj13ELNS0_17block_load_methodE3ELS4_3ELS4_3ELNS0_20block_scan_algorithmE0ELj4294967295EEENS1_25partition_config_selectorILNS1_17partition_subalgoE3EjNS0_10empty_typeEbEEZZNS1_14partition_implILS8_3ELb0ES6_jNS0_17counting_iteratorIjlEEPS9_SE_NS0_5tupleIJPjSE_EEENSF_IJSE_SE_EEES9_SG_JZNS1_25segmented_radix_sort_implINS0_14default_configELb1EPKiPiPKlPlN2at6native12_GLOBAL__N_18offset_tEEE10hipError_tPvRmT1_PNSt15iterator_traitsISY_E10value_typeET2_T3_PNSZ_IS14_E10value_typeET4_jRbjT5_S1A_jjP12ihipStream_tbEUljE_EEESV_SW_SX_S14_S18_S1A_T6_T7_T9_mT8_S1C_bDpT10_ENKUlT_T0_E_clISt17integral_constantIbLb0EES1O_IbLb1EEEEDaS1K_S1L_EUlS1K_E_NS1_11comp_targetILNS1_3genE0ELNS1_11target_archE4294967295ELNS1_3gpuE0ELNS1_3repE0EEENS1_30default_config_static_selectorELNS0_4arch9wavefront6targetE0EEEvSY_.has_indirect_call, 0
	.section	.AMDGPU.csdata,"",@progbits
; Kernel info:
; codeLenInByte = 0
; TotalNumSgprs: 0
; NumVgprs: 0
; ScratchSize: 0
; MemoryBound: 0
; FloatMode: 240
; IeeeMode: 1
; LDSByteSize: 0 bytes/workgroup (compile time only)
; SGPRBlocks: 0
; VGPRBlocks: 0
; NumSGPRsForWavesPerEU: 1
; NumVGPRsForWavesPerEU: 1
; Occupancy: 16
; WaveLimiterHint : 0
; COMPUTE_PGM_RSRC2:SCRATCH_EN: 0
; COMPUTE_PGM_RSRC2:USER_SGPR: 6
; COMPUTE_PGM_RSRC2:TRAP_HANDLER: 0
; COMPUTE_PGM_RSRC2:TGID_X_EN: 1
; COMPUTE_PGM_RSRC2:TGID_Y_EN: 0
; COMPUTE_PGM_RSRC2:TGID_Z_EN: 0
; COMPUTE_PGM_RSRC2:TIDIG_COMP_CNT: 0
	.section	.text._ZN7rocprim17ROCPRIM_400000_NS6detail17trampoline_kernelINS0_13select_configILj256ELj13ELNS0_17block_load_methodE3ELS4_3ELS4_3ELNS0_20block_scan_algorithmE0ELj4294967295EEENS1_25partition_config_selectorILNS1_17partition_subalgoE3EjNS0_10empty_typeEbEEZZNS1_14partition_implILS8_3ELb0ES6_jNS0_17counting_iteratorIjlEEPS9_SE_NS0_5tupleIJPjSE_EEENSF_IJSE_SE_EEES9_SG_JZNS1_25segmented_radix_sort_implINS0_14default_configELb1EPKiPiPKlPlN2at6native12_GLOBAL__N_18offset_tEEE10hipError_tPvRmT1_PNSt15iterator_traitsISY_E10value_typeET2_T3_PNSZ_IS14_E10value_typeET4_jRbjT5_S1A_jjP12ihipStream_tbEUljE_EEESV_SW_SX_S14_S18_S1A_T6_T7_T9_mT8_S1C_bDpT10_ENKUlT_T0_E_clISt17integral_constantIbLb0EES1O_IbLb1EEEEDaS1K_S1L_EUlS1K_E_NS1_11comp_targetILNS1_3genE5ELNS1_11target_archE942ELNS1_3gpuE9ELNS1_3repE0EEENS1_30default_config_static_selectorELNS0_4arch9wavefront6targetE0EEEvSY_,"axG",@progbits,_ZN7rocprim17ROCPRIM_400000_NS6detail17trampoline_kernelINS0_13select_configILj256ELj13ELNS0_17block_load_methodE3ELS4_3ELS4_3ELNS0_20block_scan_algorithmE0ELj4294967295EEENS1_25partition_config_selectorILNS1_17partition_subalgoE3EjNS0_10empty_typeEbEEZZNS1_14partition_implILS8_3ELb0ES6_jNS0_17counting_iteratorIjlEEPS9_SE_NS0_5tupleIJPjSE_EEENSF_IJSE_SE_EEES9_SG_JZNS1_25segmented_radix_sort_implINS0_14default_configELb1EPKiPiPKlPlN2at6native12_GLOBAL__N_18offset_tEEE10hipError_tPvRmT1_PNSt15iterator_traitsISY_E10value_typeET2_T3_PNSZ_IS14_E10value_typeET4_jRbjT5_S1A_jjP12ihipStream_tbEUljE_EEESV_SW_SX_S14_S18_S1A_T6_T7_T9_mT8_S1C_bDpT10_ENKUlT_T0_E_clISt17integral_constantIbLb0EES1O_IbLb1EEEEDaS1K_S1L_EUlS1K_E_NS1_11comp_targetILNS1_3genE5ELNS1_11target_archE942ELNS1_3gpuE9ELNS1_3repE0EEENS1_30default_config_static_selectorELNS0_4arch9wavefront6targetE0EEEvSY_,comdat
	.globl	_ZN7rocprim17ROCPRIM_400000_NS6detail17trampoline_kernelINS0_13select_configILj256ELj13ELNS0_17block_load_methodE3ELS4_3ELS4_3ELNS0_20block_scan_algorithmE0ELj4294967295EEENS1_25partition_config_selectorILNS1_17partition_subalgoE3EjNS0_10empty_typeEbEEZZNS1_14partition_implILS8_3ELb0ES6_jNS0_17counting_iteratorIjlEEPS9_SE_NS0_5tupleIJPjSE_EEENSF_IJSE_SE_EEES9_SG_JZNS1_25segmented_radix_sort_implINS0_14default_configELb1EPKiPiPKlPlN2at6native12_GLOBAL__N_18offset_tEEE10hipError_tPvRmT1_PNSt15iterator_traitsISY_E10value_typeET2_T3_PNSZ_IS14_E10value_typeET4_jRbjT5_S1A_jjP12ihipStream_tbEUljE_EEESV_SW_SX_S14_S18_S1A_T6_T7_T9_mT8_S1C_bDpT10_ENKUlT_T0_E_clISt17integral_constantIbLb0EES1O_IbLb1EEEEDaS1K_S1L_EUlS1K_E_NS1_11comp_targetILNS1_3genE5ELNS1_11target_archE942ELNS1_3gpuE9ELNS1_3repE0EEENS1_30default_config_static_selectorELNS0_4arch9wavefront6targetE0EEEvSY_ ; -- Begin function _ZN7rocprim17ROCPRIM_400000_NS6detail17trampoline_kernelINS0_13select_configILj256ELj13ELNS0_17block_load_methodE3ELS4_3ELS4_3ELNS0_20block_scan_algorithmE0ELj4294967295EEENS1_25partition_config_selectorILNS1_17partition_subalgoE3EjNS0_10empty_typeEbEEZZNS1_14partition_implILS8_3ELb0ES6_jNS0_17counting_iteratorIjlEEPS9_SE_NS0_5tupleIJPjSE_EEENSF_IJSE_SE_EEES9_SG_JZNS1_25segmented_radix_sort_implINS0_14default_configELb1EPKiPiPKlPlN2at6native12_GLOBAL__N_18offset_tEEE10hipError_tPvRmT1_PNSt15iterator_traitsISY_E10value_typeET2_T3_PNSZ_IS14_E10value_typeET4_jRbjT5_S1A_jjP12ihipStream_tbEUljE_EEESV_SW_SX_S14_S18_S1A_T6_T7_T9_mT8_S1C_bDpT10_ENKUlT_T0_E_clISt17integral_constantIbLb0EES1O_IbLb1EEEEDaS1K_S1L_EUlS1K_E_NS1_11comp_targetILNS1_3genE5ELNS1_11target_archE942ELNS1_3gpuE9ELNS1_3repE0EEENS1_30default_config_static_selectorELNS0_4arch9wavefront6targetE0EEEvSY_
	.p2align	8
	.type	_ZN7rocprim17ROCPRIM_400000_NS6detail17trampoline_kernelINS0_13select_configILj256ELj13ELNS0_17block_load_methodE3ELS4_3ELS4_3ELNS0_20block_scan_algorithmE0ELj4294967295EEENS1_25partition_config_selectorILNS1_17partition_subalgoE3EjNS0_10empty_typeEbEEZZNS1_14partition_implILS8_3ELb0ES6_jNS0_17counting_iteratorIjlEEPS9_SE_NS0_5tupleIJPjSE_EEENSF_IJSE_SE_EEES9_SG_JZNS1_25segmented_radix_sort_implINS0_14default_configELb1EPKiPiPKlPlN2at6native12_GLOBAL__N_18offset_tEEE10hipError_tPvRmT1_PNSt15iterator_traitsISY_E10value_typeET2_T3_PNSZ_IS14_E10value_typeET4_jRbjT5_S1A_jjP12ihipStream_tbEUljE_EEESV_SW_SX_S14_S18_S1A_T6_T7_T9_mT8_S1C_bDpT10_ENKUlT_T0_E_clISt17integral_constantIbLb0EES1O_IbLb1EEEEDaS1K_S1L_EUlS1K_E_NS1_11comp_targetILNS1_3genE5ELNS1_11target_archE942ELNS1_3gpuE9ELNS1_3repE0EEENS1_30default_config_static_selectorELNS0_4arch9wavefront6targetE0EEEvSY_,@function
_ZN7rocprim17ROCPRIM_400000_NS6detail17trampoline_kernelINS0_13select_configILj256ELj13ELNS0_17block_load_methodE3ELS4_3ELS4_3ELNS0_20block_scan_algorithmE0ELj4294967295EEENS1_25partition_config_selectorILNS1_17partition_subalgoE3EjNS0_10empty_typeEbEEZZNS1_14partition_implILS8_3ELb0ES6_jNS0_17counting_iteratorIjlEEPS9_SE_NS0_5tupleIJPjSE_EEENSF_IJSE_SE_EEES9_SG_JZNS1_25segmented_radix_sort_implINS0_14default_configELb1EPKiPiPKlPlN2at6native12_GLOBAL__N_18offset_tEEE10hipError_tPvRmT1_PNSt15iterator_traitsISY_E10value_typeET2_T3_PNSZ_IS14_E10value_typeET4_jRbjT5_S1A_jjP12ihipStream_tbEUljE_EEESV_SW_SX_S14_S18_S1A_T6_T7_T9_mT8_S1C_bDpT10_ENKUlT_T0_E_clISt17integral_constantIbLb0EES1O_IbLb1EEEEDaS1K_S1L_EUlS1K_E_NS1_11comp_targetILNS1_3genE5ELNS1_11target_archE942ELNS1_3gpuE9ELNS1_3repE0EEENS1_30default_config_static_selectorELNS0_4arch9wavefront6targetE0EEEvSY_: ; @_ZN7rocprim17ROCPRIM_400000_NS6detail17trampoline_kernelINS0_13select_configILj256ELj13ELNS0_17block_load_methodE3ELS4_3ELS4_3ELNS0_20block_scan_algorithmE0ELj4294967295EEENS1_25partition_config_selectorILNS1_17partition_subalgoE3EjNS0_10empty_typeEbEEZZNS1_14partition_implILS8_3ELb0ES6_jNS0_17counting_iteratorIjlEEPS9_SE_NS0_5tupleIJPjSE_EEENSF_IJSE_SE_EEES9_SG_JZNS1_25segmented_radix_sort_implINS0_14default_configELb1EPKiPiPKlPlN2at6native12_GLOBAL__N_18offset_tEEE10hipError_tPvRmT1_PNSt15iterator_traitsISY_E10value_typeET2_T3_PNSZ_IS14_E10value_typeET4_jRbjT5_S1A_jjP12ihipStream_tbEUljE_EEESV_SW_SX_S14_S18_S1A_T6_T7_T9_mT8_S1C_bDpT10_ENKUlT_T0_E_clISt17integral_constantIbLb0EES1O_IbLb1EEEEDaS1K_S1L_EUlS1K_E_NS1_11comp_targetILNS1_3genE5ELNS1_11target_archE942ELNS1_3gpuE9ELNS1_3repE0EEENS1_30default_config_static_selectorELNS0_4arch9wavefront6targetE0EEEvSY_
; %bb.0:
	.section	.rodata,"a",@progbits
	.p2align	6, 0x0
	.amdhsa_kernel _ZN7rocprim17ROCPRIM_400000_NS6detail17trampoline_kernelINS0_13select_configILj256ELj13ELNS0_17block_load_methodE3ELS4_3ELS4_3ELNS0_20block_scan_algorithmE0ELj4294967295EEENS1_25partition_config_selectorILNS1_17partition_subalgoE3EjNS0_10empty_typeEbEEZZNS1_14partition_implILS8_3ELb0ES6_jNS0_17counting_iteratorIjlEEPS9_SE_NS0_5tupleIJPjSE_EEENSF_IJSE_SE_EEES9_SG_JZNS1_25segmented_radix_sort_implINS0_14default_configELb1EPKiPiPKlPlN2at6native12_GLOBAL__N_18offset_tEEE10hipError_tPvRmT1_PNSt15iterator_traitsISY_E10value_typeET2_T3_PNSZ_IS14_E10value_typeET4_jRbjT5_S1A_jjP12ihipStream_tbEUljE_EEESV_SW_SX_S14_S18_S1A_T6_T7_T9_mT8_S1C_bDpT10_ENKUlT_T0_E_clISt17integral_constantIbLb0EES1O_IbLb1EEEEDaS1K_S1L_EUlS1K_E_NS1_11comp_targetILNS1_3genE5ELNS1_11target_archE942ELNS1_3gpuE9ELNS1_3repE0EEENS1_30default_config_static_selectorELNS0_4arch9wavefront6targetE0EEEvSY_
		.amdhsa_group_segment_fixed_size 0
		.amdhsa_private_segment_fixed_size 0
		.amdhsa_kernarg_size 152
		.amdhsa_user_sgpr_count 6
		.amdhsa_user_sgpr_private_segment_buffer 1
		.amdhsa_user_sgpr_dispatch_ptr 0
		.amdhsa_user_sgpr_queue_ptr 0
		.amdhsa_user_sgpr_kernarg_segment_ptr 1
		.amdhsa_user_sgpr_dispatch_id 0
		.amdhsa_user_sgpr_flat_scratch_init 0
		.amdhsa_user_sgpr_private_segment_size 0
		.amdhsa_wavefront_size32 1
		.amdhsa_uses_dynamic_stack 0
		.amdhsa_system_sgpr_private_segment_wavefront_offset 0
		.amdhsa_system_sgpr_workgroup_id_x 1
		.amdhsa_system_sgpr_workgroup_id_y 0
		.amdhsa_system_sgpr_workgroup_id_z 0
		.amdhsa_system_sgpr_workgroup_info 0
		.amdhsa_system_vgpr_workitem_id 0
		.amdhsa_next_free_vgpr 1
		.amdhsa_next_free_sgpr 1
		.amdhsa_reserve_vcc 0
		.amdhsa_reserve_flat_scratch 0
		.amdhsa_float_round_mode_32 0
		.amdhsa_float_round_mode_16_64 0
		.amdhsa_float_denorm_mode_32 3
		.amdhsa_float_denorm_mode_16_64 3
		.amdhsa_dx10_clamp 1
		.amdhsa_ieee_mode 1
		.amdhsa_fp16_overflow 0
		.amdhsa_workgroup_processor_mode 1
		.amdhsa_memory_ordered 1
		.amdhsa_forward_progress 1
		.amdhsa_shared_vgpr_count 0
		.amdhsa_exception_fp_ieee_invalid_op 0
		.amdhsa_exception_fp_denorm_src 0
		.amdhsa_exception_fp_ieee_div_zero 0
		.amdhsa_exception_fp_ieee_overflow 0
		.amdhsa_exception_fp_ieee_underflow 0
		.amdhsa_exception_fp_ieee_inexact 0
		.amdhsa_exception_int_div_zero 0
	.end_amdhsa_kernel
	.section	.text._ZN7rocprim17ROCPRIM_400000_NS6detail17trampoline_kernelINS0_13select_configILj256ELj13ELNS0_17block_load_methodE3ELS4_3ELS4_3ELNS0_20block_scan_algorithmE0ELj4294967295EEENS1_25partition_config_selectorILNS1_17partition_subalgoE3EjNS0_10empty_typeEbEEZZNS1_14partition_implILS8_3ELb0ES6_jNS0_17counting_iteratorIjlEEPS9_SE_NS0_5tupleIJPjSE_EEENSF_IJSE_SE_EEES9_SG_JZNS1_25segmented_radix_sort_implINS0_14default_configELb1EPKiPiPKlPlN2at6native12_GLOBAL__N_18offset_tEEE10hipError_tPvRmT1_PNSt15iterator_traitsISY_E10value_typeET2_T3_PNSZ_IS14_E10value_typeET4_jRbjT5_S1A_jjP12ihipStream_tbEUljE_EEESV_SW_SX_S14_S18_S1A_T6_T7_T9_mT8_S1C_bDpT10_ENKUlT_T0_E_clISt17integral_constantIbLb0EES1O_IbLb1EEEEDaS1K_S1L_EUlS1K_E_NS1_11comp_targetILNS1_3genE5ELNS1_11target_archE942ELNS1_3gpuE9ELNS1_3repE0EEENS1_30default_config_static_selectorELNS0_4arch9wavefront6targetE0EEEvSY_,"axG",@progbits,_ZN7rocprim17ROCPRIM_400000_NS6detail17trampoline_kernelINS0_13select_configILj256ELj13ELNS0_17block_load_methodE3ELS4_3ELS4_3ELNS0_20block_scan_algorithmE0ELj4294967295EEENS1_25partition_config_selectorILNS1_17partition_subalgoE3EjNS0_10empty_typeEbEEZZNS1_14partition_implILS8_3ELb0ES6_jNS0_17counting_iteratorIjlEEPS9_SE_NS0_5tupleIJPjSE_EEENSF_IJSE_SE_EEES9_SG_JZNS1_25segmented_radix_sort_implINS0_14default_configELb1EPKiPiPKlPlN2at6native12_GLOBAL__N_18offset_tEEE10hipError_tPvRmT1_PNSt15iterator_traitsISY_E10value_typeET2_T3_PNSZ_IS14_E10value_typeET4_jRbjT5_S1A_jjP12ihipStream_tbEUljE_EEESV_SW_SX_S14_S18_S1A_T6_T7_T9_mT8_S1C_bDpT10_ENKUlT_T0_E_clISt17integral_constantIbLb0EES1O_IbLb1EEEEDaS1K_S1L_EUlS1K_E_NS1_11comp_targetILNS1_3genE5ELNS1_11target_archE942ELNS1_3gpuE9ELNS1_3repE0EEENS1_30default_config_static_selectorELNS0_4arch9wavefront6targetE0EEEvSY_,comdat
.Lfunc_end486:
	.size	_ZN7rocprim17ROCPRIM_400000_NS6detail17trampoline_kernelINS0_13select_configILj256ELj13ELNS0_17block_load_methodE3ELS4_3ELS4_3ELNS0_20block_scan_algorithmE0ELj4294967295EEENS1_25partition_config_selectorILNS1_17partition_subalgoE3EjNS0_10empty_typeEbEEZZNS1_14partition_implILS8_3ELb0ES6_jNS0_17counting_iteratorIjlEEPS9_SE_NS0_5tupleIJPjSE_EEENSF_IJSE_SE_EEES9_SG_JZNS1_25segmented_radix_sort_implINS0_14default_configELb1EPKiPiPKlPlN2at6native12_GLOBAL__N_18offset_tEEE10hipError_tPvRmT1_PNSt15iterator_traitsISY_E10value_typeET2_T3_PNSZ_IS14_E10value_typeET4_jRbjT5_S1A_jjP12ihipStream_tbEUljE_EEESV_SW_SX_S14_S18_S1A_T6_T7_T9_mT8_S1C_bDpT10_ENKUlT_T0_E_clISt17integral_constantIbLb0EES1O_IbLb1EEEEDaS1K_S1L_EUlS1K_E_NS1_11comp_targetILNS1_3genE5ELNS1_11target_archE942ELNS1_3gpuE9ELNS1_3repE0EEENS1_30default_config_static_selectorELNS0_4arch9wavefront6targetE0EEEvSY_, .Lfunc_end486-_ZN7rocprim17ROCPRIM_400000_NS6detail17trampoline_kernelINS0_13select_configILj256ELj13ELNS0_17block_load_methodE3ELS4_3ELS4_3ELNS0_20block_scan_algorithmE0ELj4294967295EEENS1_25partition_config_selectorILNS1_17partition_subalgoE3EjNS0_10empty_typeEbEEZZNS1_14partition_implILS8_3ELb0ES6_jNS0_17counting_iteratorIjlEEPS9_SE_NS0_5tupleIJPjSE_EEENSF_IJSE_SE_EEES9_SG_JZNS1_25segmented_radix_sort_implINS0_14default_configELb1EPKiPiPKlPlN2at6native12_GLOBAL__N_18offset_tEEE10hipError_tPvRmT1_PNSt15iterator_traitsISY_E10value_typeET2_T3_PNSZ_IS14_E10value_typeET4_jRbjT5_S1A_jjP12ihipStream_tbEUljE_EEESV_SW_SX_S14_S18_S1A_T6_T7_T9_mT8_S1C_bDpT10_ENKUlT_T0_E_clISt17integral_constantIbLb0EES1O_IbLb1EEEEDaS1K_S1L_EUlS1K_E_NS1_11comp_targetILNS1_3genE5ELNS1_11target_archE942ELNS1_3gpuE9ELNS1_3repE0EEENS1_30default_config_static_selectorELNS0_4arch9wavefront6targetE0EEEvSY_
                                        ; -- End function
	.set _ZN7rocprim17ROCPRIM_400000_NS6detail17trampoline_kernelINS0_13select_configILj256ELj13ELNS0_17block_load_methodE3ELS4_3ELS4_3ELNS0_20block_scan_algorithmE0ELj4294967295EEENS1_25partition_config_selectorILNS1_17partition_subalgoE3EjNS0_10empty_typeEbEEZZNS1_14partition_implILS8_3ELb0ES6_jNS0_17counting_iteratorIjlEEPS9_SE_NS0_5tupleIJPjSE_EEENSF_IJSE_SE_EEES9_SG_JZNS1_25segmented_radix_sort_implINS0_14default_configELb1EPKiPiPKlPlN2at6native12_GLOBAL__N_18offset_tEEE10hipError_tPvRmT1_PNSt15iterator_traitsISY_E10value_typeET2_T3_PNSZ_IS14_E10value_typeET4_jRbjT5_S1A_jjP12ihipStream_tbEUljE_EEESV_SW_SX_S14_S18_S1A_T6_T7_T9_mT8_S1C_bDpT10_ENKUlT_T0_E_clISt17integral_constantIbLb0EES1O_IbLb1EEEEDaS1K_S1L_EUlS1K_E_NS1_11comp_targetILNS1_3genE5ELNS1_11target_archE942ELNS1_3gpuE9ELNS1_3repE0EEENS1_30default_config_static_selectorELNS0_4arch9wavefront6targetE0EEEvSY_.num_vgpr, 0
	.set _ZN7rocprim17ROCPRIM_400000_NS6detail17trampoline_kernelINS0_13select_configILj256ELj13ELNS0_17block_load_methodE3ELS4_3ELS4_3ELNS0_20block_scan_algorithmE0ELj4294967295EEENS1_25partition_config_selectorILNS1_17partition_subalgoE3EjNS0_10empty_typeEbEEZZNS1_14partition_implILS8_3ELb0ES6_jNS0_17counting_iteratorIjlEEPS9_SE_NS0_5tupleIJPjSE_EEENSF_IJSE_SE_EEES9_SG_JZNS1_25segmented_radix_sort_implINS0_14default_configELb1EPKiPiPKlPlN2at6native12_GLOBAL__N_18offset_tEEE10hipError_tPvRmT1_PNSt15iterator_traitsISY_E10value_typeET2_T3_PNSZ_IS14_E10value_typeET4_jRbjT5_S1A_jjP12ihipStream_tbEUljE_EEESV_SW_SX_S14_S18_S1A_T6_T7_T9_mT8_S1C_bDpT10_ENKUlT_T0_E_clISt17integral_constantIbLb0EES1O_IbLb1EEEEDaS1K_S1L_EUlS1K_E_NS1_11comp_targetILNS1_3genE5ELNS1_11target_archE942ELNS1_3gpuE9ELNS1_3repE0EEENS1_30default_config_static_selectorELNS0_4arch9wavefront6targetE0EEEvSY_.num_agpr, 0
	.set _ZN7rocprim17ROCPRIM_400000_NS6detail17trampoline_kernelINS0_13select_configILj256ELj13ELNS0_17block_load_methodE3ELS4_3ELS4_3ELNS0_20block_scan_algorithmE0ELj4294967295EEENS1_25partition_config_selectorILNS1_17partition_subalgoE3EjNS0_10empty_typeEbEEZZNS1_14partition_implILS8_3ELb0ES6_jNS0_17counting_iteratorIjlEEPS9_SE_NS0_5tupleIJPjSE_EEENSF_IJSE_SE_EEES9_SG_JZNS1_25segmented_radix_sort_implINS0_14default_configELb1EPKiPiPKlPlN2at6native12_GLOBAL__N_18offset_tEEE10hipError_tPvRmT1_PNSt15iterator_traitsISY_E10value_typeET2_T3_PNSZ_IS14_E10value_typeET4_jRbjT5_S1A_jjP12ihipStream_tbEUljE_EEESV_SW_SX_S14_S18_S1A_T6_T7_T9_mT8_S1C_bDpT10_ENKUlT_T0_E_clISt17integral_constantIbLb0EES1O_IbLb1EEEEDaS1K_S1L_EUlS1K_E_NS1_11comp_targetILNS1_3genE5ELNS1_11target_archE942ELNS1_3gpuE9ELNS1_3repE0EEENS1_30default_config_static_selectorELNS0_4arch9wavefront6targetE0EEEvSY_.numbered_sgpr, 0
	.set _ZN7rocprim17ROCPRIM_400000_NS6detail17trampoline_kernelINS0_13select_configILj256ELj13ELNS0_17block_load_methodE3ELS4_3ELS4_3ELNS0_20block_scan_algorithmE0ELj4294967295EEENS1_25partition_config_selectorILNS1_17partition_subalgoE3EjNS0_10empty_typeEbEEZZNS1_14partition_implILS8_3ELb0ES6_jNS0_17counting_iteratorIjlEEPS9_SE_NS0_5tupleIJPjSE_EEENSF_IJSE_SE_EEES9_SG_JZNS1_25segmented_radix_sort_implINS0_14default_configELb1EPKiPiPKlPlN2at6native12_GLOBAL__N_18offset_tEEE10hipError_tPvRmT1_PNSt15iterator_traitsISY_E10value_typeET2_T3_PNSZ_IS14_E10value_typeET4_jRbjT5_S1A_jjP12ihipStream_tbEUljE_EEESV_SW_SX_S14_S18_S1A_T6_T7_T9_mT8_S1C_bDpT10_ENKUlT_T0_E_clISt17integral_constantIbLb0EES1O_IbLb1EEEEDaS1K_S1L_EUlS1K_E_NS1_11comp_targetILNS1_3genE5ELNS1_11target_archE942ELNS1_3gpuE9ELNS1_3repE0EEENS1_30default_config_static_selectorELNS0_4arch9wavefront6targetE0EEEvSY_.num_named_barrier, 0
	.set _ZN7rocprim17ROCPRIM_400000_NS6detail17trampoline_kernelINS0_13select_configILj256ELj13ELNS0_17block_load_methodE3ELS4_3ELS4_3ELNS0_20block_scan_algorithmE0ELj4294967295EEENS1_25partition_config_selectorILNS1_17partition_subalgoE3EjNS0_10empty_typeEbEEZZNS1_14partition_implILS8_3ELb0ES6_jNS0_17counting_iteratorIjlEEPS9_SE_NS0_5tupleIJPjSE_EEENSF_IJSE_SE_EEES9_SG_JZNS1_25segmented_radix_sort_implINS0_14default_configELb1EPKiPiPKlPlN2at6native12_GLOBAL__N_18offset_tEEE10hipError_tPvRmT1_PNSt15iterator_traitsISY_E10value_typeET2_T3_PNSZ_IS14_E10value_typeET4_jRbjT5_S1A_jjP12ihipStream_tbEUljE_EEESV_SW_SX_S14_S18_S1A_T6_T7_T9_mT8_S1C_bDpT10_ENKUlT_T0_E_clISt17integral_constantIbLb0EES1O_IbLb1EEEEDaS1K_S1L_EUlS1K_E_NS1_11comp_targetILNS1_3genE5ELNS1_11target_archE942ELNS1_3gpuE9ELNS1_3repE0EEENS1_30default_config_static_selectorELNS0_4arch9wavefront6targetE0EEEvSY_.private_seg_size, 0
	.set _ZN7rocprim17ROCPRIM_400000_NS6detail17trampoline_kernelINS0_13select_configILj256ELj13ELNS0_17block_load_methodE3ELS4_3ELS4_3ELNS0_20block_scan_algorithmE0ELj4294967295EEENS1_25partition_config_selectorILNS1_17partition_subalgoE3EjNS0_10empty_typeEbEEZZNS1_14partition_implILS8_3ELb0ES6_jNS0_17counting_iteratorIjlEEPS9_SE_NS0_5tupleIJPjSE_EEENSF_IJSE_SE_EEES9_SG_JZNS1_25segmented_radix_sort_implINS0_14default_configELb1EPKiPiPKlPlN2at6native12_GLOBAL__N_18offset_tEEE10hipError_tPvRmT1_PNSt15iterator_traitsISY_E10value_typeET2_T3_PNSZ_IS14_E10value_typeET4_jRbjT5_S1A_jjP12ihipStream_tbEUljE_EEESV_SW_SX_S14_S18_S1A_T6_T7_T9_mT8_S1C_bDpT10_ENKUlT_T0_E_clISt17integral_constantIbLb0EES1O_IbLb1EEEEDaS1K_S1L_EUlS1K_E_NS1_11comp_targetILNS1_3genE5ELNS1_11target_archE942ELNS1_3gpuE9ELNS1_3repE0EEENS1_30default_config_static_selectorELNS0_4arch9wavefront6targetE0EEEvSY_.uses_vcc, 0
	.set _ZN7rocprim17ROCPRIM_400000_NS6detail17trampoline_kernelINS0_13select_configILj256ELj13ELNS0_17block_load_methodE3ELS4_3ELS4_3ELNS0_20block_scan_algorithmE0ELj4294967295EEENS1_25partition_config_selectorILNS1_17partition_subalgoE3EjNS0_10empty_typeEbEEZZNS1_14partition_implILS8_3ELb0ES6_jNS0_17counting_iteratorIjlEEPS9_SE_NS0_5tupleIJPjSE_EEENSF_IJSE_SE_EEES9_SG_JZNS1_25segmented_radix_sort_implINS0_14default_configELb1EPKiPiPKlPlN2at6native12_GLOBAL__N_18offset_tEEE10hipError_tPvRmT1_PNSt15iterator_traitsISY_E10value_typeET2_T3_PNSZ_IS14_E10value_typeET4_jRbjT5_S1A_jjP12ihipStream_tbEUljE_EEESV_SW_SX_S14_S18_S1A_T6_T7_T9_mT8_S1C_bDpT10_ENKUlT_T0_E_clISt17integral_constantIbLb0EES1O_IbLb1EEEEDaS1K_S1L_EUlS1K_E_NS1_11comp_targetILNS1_3genE5ELNS1_11target_archE942ELNS1_3gpuE9ELNS1_3repE0EEENS1_30default_config_static_selectorELNS0_4arch9wavefront6targetE0EEEvSY_.uses_flat_scratch, 0
	.set _ZN7rocprim17ROCPRIM_400000_NS6detail17trampoline_kernelINS0_13select_configILj256ELj13ELNS0_17block_load_methodE3ELS4_3ELS4_3ELNS0_20block_scan_algorithmE0ELj4294967295EEENS1_25partition_config_selectorILNS1_17partition_subalgoE3EjNS0_10empty_typeEbEEZZNS1_14partition_implILS8_3ELb0ES6_jNS0_17counting_iteratorIjlEEPS9_SE_NS0_5tupleIJPjSE_EEENSF_IJSE_SE_EEES9_SG_JZNS1_25segmented_radix_sort_implINS0_14default_configELb1EPKiPiPKlPlN2at6native12_GLOBAL__N_18offset_tEEE10hipError_tPvRmT1_PNSt15iterator_traitsISY_E10value_typeET2_T3_PNSZ_IS14_E10value_typeET4_jRbjT5_S1A_jjP12ihipStream_tbEUljE_EEESV_SW_SX_S14_S18_S1A_T6_T7_T9_mT8_S1C_bDpT10_ENKUlT_T0_E_clISt17integral_constantIbLb0EES1O_IbLb1EEEEDaS1K_S1L_EUlS1K_E_NS1_11comp_targetILNS1_3genE5ELNS1_11target_archE942ELNS1_3gpuE9ELNS1_3repE0EEENS1_30default_config_static_selectorELNS0_4arch9wavefront6targetE0EEEvSY_.has_dyn_sized_stack, 0
	.set _ZN7rocprim17ROCPRIM_400000_NS6detail17trampoline_kernelINS0_13select_configILj256ELj13ELNS0_17block_load_methodE3ELS4_3ELS4_3ELNS0_20block_scan_algorithmE0ELj4294967295EEENS1_25partition_config_selectorILNS1_17partition_subalgoE3EjNS0_10empty_typeEbEEZZNS1_14partition_implILS8_3ELb0ES6_jNS0_17counting_iteratorIjlEEPS9_SE_NS0_5tupleIJPjSE_EEENSF_IJSE_SE_EEES9_SG_JZNS1_25segmented_radix_sort_implINS0_14default_configELb1EPKiPiPKlPlN2at6native12_GLOBAL__N_18offset_tEEE10hipError_tPvRmT1_PNSt15iterator_traitsISY_E10value_typeET2_T3_PNSZ_IS14_E10value_typeET4_jRbjT5_S1A_jjP12ihipStream_tbEUljE_EEESV_SW_SX_S14_S18_S1A_T6_T7_T9_mT8_S1C_bDpT10_ENKUlT_T0_E_clISt17integral_constantIbLb0EES1O_IbLb1EEEEDaS1K_S1L_EUlS1K_E_NS1_11comp_targetILNS1_3genE5ELNS1_11target_archE942ELNS1_3gpuE9ELNS1_3repE0EEENS1_30default_config_static_selectorELNS0_4arch9wavefront6targetE0EEEvSY_.has_recursion, 0
	.set _ZN7rocprim17ROCPRIM_400000_NS6detail17trampoline_kernelINS0_13select_configILj256ELj13ELNS0_17block_load_methodE3ELS4_3ELS4_3ELNS0_20block_scan_algorithmE0ELj4294967295EEENS1_25partition_config_selectorILNS1_17partition_subalgoE3EjNS0_10empty_typeEbEEZZNS1_14partition_implILS8_3ELb0ES6_jNS0_17counting_iteratorIjlEEPS9_SE_NS0_5tupleIJPjSE_EEENSF_IJSE_SE_EEES9_SG_JZNS1_25segmented_radix_sort_implINS0_14default_configELb1EPKiPiPKlPlN2at6native12_GLOBAL__N_18offset_tEEE10hipError_tPvRmT1_PNSt15iterator_traitsISY_E10value_typeET2_T3_PNSZ_IS14_E10value_typeET4_jRbjT5_S1A_jjP12ihipStream_tbEUljE_EEESV_SW_SX_S14_S18_S1A_T6_T7_T9_mT8_S1C_bDpT10_ENKUlT_T0_E_clISt17integral_constantIbLb0EES1O_IbLb1EEEEDaS1K_S1L_EUlS1K_E_NS1_11comp_targetILNS1_3genE5ELNS1_11target_archE942ELNS1_3gpuE9ELNS1_3repE0EEENS1_30default_config_static_selectorELNS0_4arch9wavefront6targetE0EEEvSY_.has_indirect_call, 0
	.section	.AMDGPU.csdata,"",@progbits
; Kernel info:
; codeLenInByte = 0
; TotalNumSgprs: 0
; NumVgprs: 0
; ScratchSize: 0
; MemoryBound: 0
; FloatMode: 240
; IeeeMode: 1
; LDSByteSize: 0 bytes/workgroup (compile time only)
; SGPRBlocks: 0
; VGPRBlocks: 0
; NumSGPRsForWavesPerEU: 1
; NumVGPRsForWavesPerEU: 1
; Occupancy: 16
; WaveLimiterHint : 0
; COMPUTE_PGM_RSRC2:SCRATCH_EN: 0
; COMPUTE_PGM_RSRC2:USER_SGPR: 6
; COMPUTE_PGM_RSRC2:TRAP_HANDLER: 0
; COMPUTE_PGM_RSRC2:TGID_X_EN: 1
; COMPUTE_PGM_RSRC2:TGID_Y_EN: 0
; COMPUTE_PGM_RSRC2:TGID_Z_EN: 0
; COMPUTE_PGM_RSRC2:TIDIG_COMP_CNT: 0
	.section	.text._ZN7rocprim17ROCPRIM_400000_NS6detail17trampoline_kernelINS0_13select_configILj256ELj13ELNS0_17block_load_methodE3ELS4_3ELS4_3ELNS0_20block_scan_algorithmE0ELj4294967295EEENS1_25partition_config_selectorILNS1_17partition_subalgoE3EjNS0_10empty_typeEbEEZZNS1_14partition_implILS8_3ELb0ES6_jNS0_17counting_iteratorIjlEEPS9_SE_NS0_5tupleIJPjSE_EEENSF_IJSE_SE_EEES9_SG_JZNS1_25segmented_radix_sort_implINS0_14default_configELb1EPKiPiPKlPlN2at6native12_GLOBAL__N_18offset_tEEE10hipError_tPvRmT1_PNSt15iterator_traitsISY_E10value_typeET2_T3_PNSZ_IS14_E10value_typeET4_jRbjT5_S1A_jjP12ihipStream_tbEUljE_EEESV_SW_SX_S14_S18_S1A_T6_T7_T9_mT8_S1C_bDpT10_ENKUlT_T0_E_clISt17integral_constantIbLb0EES1O_IbLb1EEEEDaS1K_S1L_EUlS1K_E_NS1_11comp_targetILNS1_3genE4ELNS1_11target_archE910ELNS1_3gpuE8ELNS1_3repE0EEENS1_30default_config_static_selectorELNS0_4arch9wavefront6targetE0EEEvSY_,"axG",@progbits,_ZN7rocprim17ROCPRIM_400000_NS6detail17trampoline_kernelINS0_13select_configILj256ELj13ELNS0_17block_load_methodE3ELS4_3ELS4_3ELNS0_20block_scan_algorithmE0ELj4294967295EEENS1_25partition_config_selectorILNS1_17partition_subalgoE3EjNS0_10empty_typeEbEEZZNS1_14partition_implILS8_3ELb0ES6_jNS0_17counting_iteratorIjlEEPS9_SE_NS0_5tupleIJPjSE_EEENSF_IJSE_SE_EEES9_SG_JZNS1_25segmented_radix_sort_implINS0_14default_configELb1EPKiPiPKlPlN2at6native12_GLOBAL__N_18offset_tEEE10hipError_tPvRmT1_PNSt15iterator_traitsISY_E10value_typeET2_T3_PNSZ_IS14_E10value_typeET4_jRbjT5_S1A_jjP12ihipStream_tbEUljE_EEESV_SW_SX_S14_S18_S1A_T6_T7_T9_mT8_S1C_bDpT10_ENKUlT_T0_E_clISt17integral_constantIbLb0EES1O_IbLb1EEEEDaS1K_S1L_EUlS1K_E_NS1_11comp_targetILNS1_3genE4ELNS1_11target_archE910ELNS1_3gpuE8ELNS1_3repE0EEENS1_30default_config_static_selectorELNS0_4arch9wavefront6targetE0EEEvSY_,comdat
	.globl	_ZN7rocprim17ROCPRIM_400000_NS6detail17trampoline_kernelINS0_13select_configILj256ELj13ELNS0_17block_load_methodE3ELS4_3ELS4_3ELNS0_20block_scan_algorithmE0ELj4294967295EEENS1_25partition_config_selectorILNS1_17partition_subalgoE3EjNS0_10empty_typeEbEEZZNS1_14partition_implILS8_3ELb0ES6_jNS0_17counting_iteratorIjlEEPS9_SE_NS0_5tupleIJPjSE_EEENSF_IJSE_SE_EEES9_SG_JZNS1_25segmented_radix_sort_implINS0_14default_configELb1EPKiPiPKlPlN2at6native12_GLOBAL__N_18offset_tEEE10hipError_tPvRmT1_PNSt15iterator_traitsISY_E10value_typeET2_T3_PNSZ_IS14_E10value_typeET4_jRbjT5_S1A_jjP12ihipStream_tbEUljE_EEESV_SW_SX_S14_S18_S1A_T6_T7_T9_mT8_S1C_bDpT10_ENKUlT_T0_E_clISt17integral_constantIbLb0EES1O_IbLb1EEEEDaS1K_S1L_EUlS1K_E_NS1_11comp_targetILNS1_3genE4ELNS1_11target_archE910ELNS1_3gpuE8ELNS1_3repE0EEENS1_30default_config_static_selectorELNS0_4arch9wavefront6targetE0EEEvSY_ ; -- Begin function _ZN7rocprim17ROCPRIM_400000_NS6detail17trampoline_kernelINS0_13select_configILj256ELj13ELNS0_17block_load_methodE3ELS4_3ELS4_3ELNS0_20block_scan_algorithmE0ELj4294967295EEENS1_25partition_config_selectorILNS1_17partition_subalgoE3EjNS0_10empty_typeEbEEZZNS1_14partition_implILS8_3ELb0ES6_jNS0_17counting_iteratorIjlEEPS9_SE_NS0_5tupleIJPjSE_EEENSF_IJSE_SE_EEES9_SG_JZNS1_25segmented_radix_sort_implINS0_14default_configELb1EPKiPiPKlPlN2at6native12_GLOBAL__N_18offset_tEEE10hipError_tPvRmT1_PNSt15iterator_traitsISY_E10value_typeET2_T3_PNSZ_IS14_E10value_typeET4_jRbjT5_S1A_jjP12ihipStream_tbEUljE_EEESV_SW_SX_S14_S18_S1A_T6_T7_T9_mT8_S1C_bDpT10_ENKUlT_T0_E_clISt17integral_constantIbLb0EES1O_IbLb1EEEEDaS1K_S1L_EUlS1K_E_NS1_11comp_targetILNS1_3genE4ELNS1_11target_archE910ELNS1_3gpuE8ELNS1_3repE0EEENS1_30default_config_static_selectorELNS0_4arch9wavefront6targetE0EEEvSY_
	.p2align	8
	.type	_ZN7rocprim17ROCPRIM_400000_NS6detail17trampoline_kernelINS0_13select_configILj256ELj13ELNS0_17block_load_methodE3ELS4_3ELS4_3ELNS0_20block_scan_algorithmE0ELj4294967295EEENS1_25partition_config_selectorILNS1_17partition_subalgoE3EjNS0_10empty_typeEbEEZZNS1_14partition_implILS8_3ELb0ES6_jNS0_17counting_iteratorIjlEEPS9_SE_NS0_5tupleIJPjSE_EEENSF_IJSE_SE_EEES9_SG_JZNS1_25segmented_radix_sort_implINS0_14default_configELb1EPKiPiPKlPlN2at6native12_GLOBAL__N_18offset_tEEE10hipError_tPvRmT1_PNSt15iterator_traitsISY_E10value_typeET2_T3_PNSZ_IS14_E10value_typeET4_jRbjT5_S1A_jjP12ihipStream_tbEUljE_EEESV_SW_SX_S14_S18_S1A_T6_T7_T9_mT8_S1C_bDpT10_ENKUlT_T0_E_clISt17integral_constantIbLb0EES1O_IbLb1EEEEDaS1K_S1L_EUlS1K_E_NS1_11comp_targetILNS1_3genE4ELNS1_11target_archE910ELNS1_3gpuE8ELNS1_3repE0EEENS1_30default_config_static_selectorELNS0_4arch9wavefront6targetE0EEEvSY_,@function
_ZN7rocprim17ROCPRIM_400000_NS6detail17trampoline_kernelINS0_13select_configILj256ELj13ELNS0_17block_load_methodE3ELS4_3ELS4_3ELNS0_20block_scan_algorithmE0ELj4294967295EEENS1_25partition_config_selectorILNS1_17partition_subalgoE3EjNS0_10empty_typeEbEEZZNS1_14partition_implILS8_3ELb0ES6_jNS0_17counting_iteratorIjlEEPS9_SE_NS0_5tupleIJPjSE_EEENSF_IJSE_SE_EEES9_SG_JZNS1_25segmented_radix_sort_implINS0_14default_configELb1EPKiPiPKlPlN2at6native12_GLOBAL__N_18offset_tEEE10hipError_tPvRmT1_PNSt15iterator_traitsISY_E10value_typeET2_T3_PNSZ_IS14_E10value_typeET4_jRbjT5_S1A_jjP12ihipStream_tbEUljE_EEESV_SW_SX_S14_S18_S1A_T6_T7_T9_mT8_S1C_bDpT10_ENKUlT_T0_E_clISt17integral_constantIbLb0EES1O_IbLb1EEEEDaS1K_S1L_EUlS1K_E_NS1_11comp_targetILNS1_3genE4ELNS1_11target_archE910ELNS1_3gpuE8ELNS1_3repE0EEENS1_30default_config_static_selectorELNS0_4arch9wavefront6targetE0EEEvSY_: ; @_ZN7rocprim17ROCPRIM_400000_NS6detail17trampoline_kernelINS0_13select_configILj256ELj13ELNS0_17block_load_methodE3ELS4_3ELS4_3ELNS0_20block_scan_algorithmE0ELj4294967295EEENS1_25partition_config_selectorILNS1_17partition_subalgoE3EjNS0_10empty_typeEbEEZZNS1_14partition_implILS8_3ELb0ES6_jNS0_17counting_iteratorIjlEEPS9_SE_NS0_5tupleIJPjSE_EEENSF_IJSE_SE_EEES9_SG_JZNS1_25segmented_radix_sort_implINS0_14default_configELb1EPKiPiPKlPlN2at6native12_GLOBAL__N_18offset_tEEE10hipError_tPvRmT1_PNSt15iterator_traitsISY_E10value_typeET2_T3_PNSZ_IS14_E10value_typeET4_jRbjT5_S1A_jjP12ihipStream_tbEUljE_EEESV_SW_SX_S14_S18_S1A_T6_T7_T9_mT8_S1C_bDpT10_ENKUlT_T0_E_clISt17integral_constantIbLb0EES1O_IbLb1EEEEDaS1K_S1L_EUlS1K_E_NS1_11comp_targetILNS1_3genE4ELNS1_11target_archE910ELNS1_3gpuE8ELNS1_3repE0EEENS1_30default_config_static_selectorELNS0_4arch9wavefront6targetE0EEEvSY_
; %bb.0:
	.section	.rodata,"a",@progbits
	.p2align	6, 0x0
	.amdhsa_kernel _ZN7rocprim17ROCPRIM_400000_NS6detail17trampoline_kernelINS0_13select_configILj256ELj13ELNS0_17block_load_methodE3ELS4_3ELS4_3ELNS0_20block_scan_algorithmE0ELj4294967295EEENS1_25partition_config_selectorILNS1_17partition_subalgoE3EjNS0_10empty_typeEbEEZZNS1_14partition_implILS8_3ELb0ES6_jNS0_17counting_iteratorIjlEEPS9_SE_NS0_5tupleIJPjSE_EEENSF_IJSE_SE_EEES9_SG_JZNS1_25segmented_radix_sort_implINS0_14default_configELb1EPKiPiPKlPlN2at6native12_GLOBAL__N_18offset_tEEE10hipError_tPvRmT1_PNSt15iterator_traitsISY_E10value_typeET2_T3_PNSZ_IS14_E10value_typeET4_jRbjT5_S1A_jjP12ihipStream_tbEUljE_EEESV_SW_SX_S14_S18_S1A_T6_T7_T9_mT8_S1C_bDpT10_ENKUlT_T0_E_clISt17integral_constantIbLb0EES1O_IbLb1EEEEDaS1K_S1L_EUlS1K_E_NS1_11comp_targetILNS1_3genE4ELNS1_11target_archE910ELNS1_3gpuE8ELNS1_3repE0EEENS1_30default_config_static_selectorELNS0_4arch9wavefront6targetE0EEEvSY_
		.amdhsa_group_segment_fixed_size 0
		.amdhsa_private_segment_fixed_size 0
		.amdhsa_kernarg_size 152
		.amdhsa_user_sgpr_count 6
		.amdhsa_user_sgpr_private_segment_buffer 1
		.amdhsa_user_sgpr_dispatch_ptr 0
		.amdhsa_user_sgpr_queue_ptr 0
		.amdhsa_user_sgpr_kernarg_segment_ptr 1
		.amdhsa_user_sgpr_dispatch_id 0
		.amdhsa_user_sgpr_flat_scratch_init 0
		.amdhsa_user_sgpr_private_segment_size 0
		.amdhsa_wavefront_size32 1
		.amdhsa_uses_dynamic_stack 0
		.amdhsa_system_sgpr_private_segment_wavefront_offset 0
		.amdhsa_system_sgpr_workgroup_id_x 1
		.amdhsa_system_sgpr_workgroup_id_y 0
		.amdhsa_system_sgpr_workgroup_id_z 0
		.amdhsa_system_sgpr_workgroup_info 0
		.amdhsa_system_vgpr_workitem_id 0
		.amdhsa_next_free_vgpr 1
		.amdhsa_next_free_sgpr 1
		.amdhsa_reserve_vcc 0
		.amdhsa_reserve_flat_scratch 0
		.amdhsa_float_round_mode_32 0
		.amdhsa_float_round_mode_16_64 0
		.amdhsa_float_denorm_mode_32 3
		.amdhsa_float_denorm_mode_16_64 3
		.amdhsa_dx10_clamp 1
		.amdhsa_ieee_mode 1
		.amdhsa_fp16_overflow 0
		.amdhsa_workgroup_processor_mode 1
		.amdhsa_memory_ordered 1
		.amdhsa_forward_progress 1
		.amdhsa_shared_vgpr_count 0
		.amdhsa_exception_fp_ieee_invalid_op 0
		.amdhsa_exception_fp_denorm_src 0
		.amdhsa_exception_fp_ieee_div_zero 0
		.amdhsa_exception_fp_ieee_overflow 0
		.amdhsa_exception_fp_ieee_underflow 0
		.amdhsa_exception_fp_ieee_inexact 0
		.amdhsa_exception_int_div_zero 0
	.end_amdhsa_kernel
	.section	.text._ZN7rocprim17ROCPRIM_400000_NS6detail17trampoline_kernelINS0_13select_configILj256ELj13ELNS0_17block_load_methodE3ELS4_3ELS4_3ELNS0_20block_scan_algorithmE0ELj4294967295EEENS1_25partition_config_selectorILNS1_17partition_subalgoE3EjNS0_10empty_typeEbEEZZNS1_14partition_implILS8_3ELb0ES6_jNS0_17counting_iteratorIjlEEPS9_SE_NS0_5tupleIJPjSE_EEENSF_IJSE_SE_EEES9_SG_JZNS1_25segmented_radix_sort_implINS0_14default_configELb1EPKiPiPKlPlN2at6native12_GLOBAL__N_18offset_tEEE10hipError_tPvRmT1_PNSt15iterator_traitsISY_E10value_typeET2_T3_PNSZ_IS14_E10value_typeET4_jRbjT5_S1A_jjP12ihipStream_tbEUljE_EEESV_SW_SX_S14_S18_S1A_T6_T7_T9_mT8_S1C_bDpT10_ENKUlT_T0_E_clISt17integral_constantIbLb0EES1O_IbLb1EEEEDaS1K_S1L_EUlS1K_E_NS1_11comp_targetILNS1_3genE4ELNS1_11target_archE910ELNS1_3gpuE8ELNS1_3repE0EEENS1_30default_config_static_selectorELNS0_4arch9wavefront6targetE0EEEvSY_,"axG",@progbits,_ZN7rocprim17ROCPRIM_400000_NS6detail17trampoline_kernelINS0_13select_configILj256ELj13ELNS0_17block_load_methodE3ELS4_3ELS4_3ELNS0_20block_scan_algorithmE0ELj4294967295EEENS1_25partition_config_selectorILNS1_17partition_subalgoE3EjNS0_10empty_typeEbEEZZNS1_14partition_implILS8_3ELb0ES6_jNS0_17counting_iteratorIjlEEPS9_SE_NS0_5tupleIJPjSE_EEENSF_IJSE_SE_EEES9_SG_JZNS1_25segmented_radix_sort_implINS0_14default_configELb1EPKiPiPKlPlN2at6native12_GLOBAL__N_18offset_tEEE10hipError_tPvRmT1_PNSt15iterator_traitsISY_E10value_typeET2_T3_PNSZ_IS14_E10value_typeET4_jRbjT5_S1A_jjP12ihipStream_tbEUljE_EEESV_SW_SX_S14_S18_S1A_T6_T7_T9_mT8_S1C_bDpT10_ENKUlT_T0_E_clISt17integral_constantIbLb0EES1O_IbLb1EEEEDaS1K_S1L_EUlS1K_E_NS1_11comp_targetILNS1_3genE4ELNS1_11target_archE910ELNS1_3gpuE8ELNS1_3repE0EEENS1_30default_config_static_selectorELNS0_4arch9wavefront6targetE0EEEvSY_,comdat
.Lfunc_end487:
	.size	_ZN7rocprim17ROCPRIM_400000_NS6detail17trampoline_kernelINS0_13select_configILj256ELj13ELNS0_17block_load_methodE3ELS4_3ELS4_3ELNS0_20block_scan_algorithmE0ELj4294967295EEENS1_25partition_config_selectorILNS1_17partition_subalgoE3EjNS0_10empty_typeEbEEZZNS1_14partition_implILS8_3ELb0ES6_jNS0_17counting_iteratorIjlEEPS9_SE_NS0_5tupleIJPjSE_EEENSF_IJSE_SE_EEES9_SG_JZNS1_25segmented_radix_sort_implINS0_14default_configELb1EPKiPiPKlPlN2at6native12_GLOBAL__N_18offset_tEEE10hipError_tPvRmT1_PNSt15iterator_traitsISY_E10value_typeET2_T3_PNSZ_IS14_E10value_typeET4_jRbjT5_S1A_jjP12ihipStream_tbEUljE_EEESV_SW_SX_S14_S18_S1A_T6_T7_T9_mT8_S1C_bDpT10_ENKUlT_T0_E_clISt17integral_constantIbLb0EES1O_IbLb1EEEEDaS1K_S1L_EUlS1K_E_NS1_11comp_targetILNS1_3genE4ELNS1_11target_archE910ELNS1_3gpuE8ELNS1_3repE0EEENS1_30default_config_static_selectorELNS0_4arch9wavefront6targetE0EEEvSY_, .Lfunc_end487-_ZN7rocprim17ROCPRIM_400000_NS6detail17trampoline_kernelINS0_13select_configILj256ELj13ELNS0_17block_load_methodE3ELS4_3ELS4_3ELNS0_20block_scan_algorithmE0ELj4294967295EEENS1_25partition_config_selectorILNS1_17partition_subalgoE3EjNS0_10empty_typeEbEEZZNS1_14partition_implILS8_3ELb0ES6_jNS0_17counting_iteratorIjlEEPS9_SE_NS0_5tupleIJPjSE_EEENSF_IJSE_SE_EEES9_SG_JZNS1_25segmented_radix_sort_implINS0_14default_configELb1EPKiPiPKlPlN2at6native12_GLOBAL__N_18offset_tEEE10hipError_tPvRmT1_PNSt15iterator_traitsISY_E10value_typeET2_T3_PNSZ_IS14_E10value_typeET4_jRbjT5_S1A_jjP12ihipStream_tbEUljE_EEESV_SW_SX_S14_S18_S1A_T6_T7_T9_mT8_S1C_bDpT10_ENKUlT_T0_E_clISt17integral_constantIbLb0EES1O_IbLb1EEEEDaS1K_S1L_EUlS1K_E_NS1_11comp_targetILNS1_3genE4ELNS1_11target_archE910ELNS1_3gpuE8ELNS1_3repE0EEENS1_30default_config_static_selectorELNS0_4arch9wavefront6targetE0EEEvSY_
                                        ; -- End function
	.set _ZN7rocprim17ROCPRIM_400000_NS6detail17trampoline_kernelINS0_13select_configILj256ELj13ELNS0_17block_load_methodE3ELS4_3ELS4_3ELNS0_20block_scan_algorithmE0ELj4294967295EEENS1_25partition_config_selectorILNS1_17partition_subalgoE3EjNS0_10empty_typeEbEEZZNS1_14partition_implILS8_3ELb0ES6_jNS0_17counting_iteratorIjlEEPS9_SE_NS0_5tupleIJPjSE_EEENSF_IJSE_SE_EEES9_SG_JZNS1_25segmented_radix_sort_implINS0_14default_configELb1EPKiPiPKlPlN2at6native12_GLOBAL__N_18offset_tEEE10hipError_tPvRmT1_PNSt15iterator_traitsISY_E10value_typeET2_T3_PNSZ_IS14_E10value_typeET4_jRbjT5_S1A_jjP12ihipStream_tbEUljE_EEESV_SW_SX_S14_S18_S1A_T6_T7_T9_mT8_S1C_bDpT10_ENKUlT_T0_E_clISt17integral_constantIbLb0EES1O_IbLb1EEEEDaS1K_S1L_EUlS1K_E_NS1_11comp_targetILNS1_3genE4ELNS1_11target_archE910ELNS1_3gpuE8ELNS1_3repE0EEENS1_30default_config_static_selectorELNS0_4arch9wavefront6targetE0EEEvSY_.num_vgpr, 0
	.set _ZN7rocprim17ROCPRIM_400000_NS6detail17trampoline_kernelINS0_13select_configILj256ELj13ELNS0_17block_load_methodE3ELS4_3ELS4_3ELNS0_20block_scan_algorithmE0ELj4294967295EEENS1_25partition_config_selectorILNS1_17partition_subalgoE3EjNS0_10empty_typeEbEEZZNS1_14partition_implILS8_3ELb0ES6_jNS0_17counting_iteratorIjlEEPS9_SE_NS0_5tupleIJPjSE_EEENSF_IJSE_SE_EEES9_SG_JZNS1_25segmented_radix_sort_implINS0_14default_configELb1EPKiPiPKlPlN2at6native12_GLOBAL__N_18offset_tEEE10hipError_tPvRmT1_PNSt15iterator_traitsISY_E10value_typeET2_T3_PNSZ_IS14_E10value_typeET4_jRbjT5_S1A_jjP12ihipStream_tbEUljE_EEESV_SW_SX_S14_S18_S1A_T6_T7_T9_mT8_S1C_bDpT10_ENKUlT_T0_E_clISt17integral_constantIbLb0EES1O_IbLb1EEEEDaS1K_S1L_EUlS1K_E_NS1_11comp_targetILNS1_3genE4ELNS1_11target_archE910ELNS1_3gpuE8ELNS1_3repE0EEENS1_30default_config_static_selectorELNS0_4arch9wavefront6targetE0EEEvSY_.num_agpr, 0
	.set _ZN7rocprim17ROCPRIM_400000_NS6detail17trampoline_kernelINS0_13select_configILj256ELj13ELNS0_17block_load_methodE3ELS4_3ELS4_3ELNS0_20block_scan_algorithmE0ELj4294967295EEENS1_25partition_config_selectorILNS1_17partition_subalgoE3EjNS0_10empty_typeEbEEZZNS1_14partition_implILS8_3ELb0ES6_jNS0_17counting_iteratorIjlEEPS9_SE_NS0_5tupleIJPjSE_EEENSF_IJSE_SE_EEES9_SG_JZNS1_25segmented_radix_sort_implINS0_14default_configELb1EPKiPiPKlPlN2at6native12_GLOBAL__N_18offset_tEEE10hipError_tPvRmT1_PNSt15iterator_traitsISY_E10value_typeET2_T3_PNSZ_IS14_E10value_typeET4_jRbjT5_S1A_jjP12ihipStream_tbEUljE_EEESV_SW_SX_S14_S18_S1A_T6_T7_T9_mT8_S1C_bDpT10_ENKUlT_T0_E_clISt17integral_constantIbLb0EES1O_IbLb1EEEEDaS1K_S1L_EUlS1K_E_NS1_11comp_targetILNS1_3genE4ELNS1_11target_archE910ELNS1_3gpuE8ELNS1_3repE0EEENS1_30default_config_static_selectorELNS0_4arch9wavefront6targetE0EEEvSY_.numbered_sgpr, 0
	.set _ZN7rocprim17ROCPRIM_400000_NS6detail17trampoline_kernelINS0_13select_configILj256ELj13ELNS0_17block_load_methodE3ELS4_3ELS4_3ELNS0_20block_scan_algorithmE0ELj4294967295EEENS1_25partition_config_selectorILNS1_17partition_subalgoE3EjNS0_10empty_typeEbEEZZNS1_14partition_implILS8_3ELb0ES6_jNS0_17counting_iteratorIjlEEPS9_SE_NS0_5tupleIJPjSE_EEENSF_IJSE_SE_EEES9_SG_JZNS1_25segmented_radix_sort_implINS0_14default_configELb1EPKiPiPKlPlN2at6native12_GLOBAL__N_18offset_tEEE10hipError_tPvRmT1_PNSt15iterator_traitsISY_E10value_typeET2_T3_PNSZ_IS14_E10value_typeET4_jRbjT5_S1A_jjP12ihipStream_tbEUljE_EEESV_SW_SX_S14_S18_S1A_T6_T7_T9_mT8_S1C_bDpT10_ENKUlT_T0_E_clISt17integral_constantIbLb0EES1O_IbLb1EEEEDaS1K_S1L_EUlS1K_E_NS1_11comp_targetILNS1_3genE4ELNS1_11target_archE910ELNS1_3gpuE8ELNS1_3repE0EEENS1_30default_config_static_selectorELNS0_4arch9wavefront6targetE0EEEvSY_.num_named_barrier, 0
	.set _ZN7rocprim17ROCPRIM_400000_NS6detail17trampoline_kernelINS0_13select_configILj256ELj13ELNS0_17block_load_methodE3ELS4_3ELS4_3ELNS0_20block_scan_algorithmE0ELj4294967295EEENS1_25partition_config_selectorILNS1_17partition_subalgoE3EjNS0_10empty_typeEbEEZZNS1_14partition_implILS8_3ELb0ES6_jNS0_17counting_iteratorIjlEEPS9_SE_NS0_5tupleIJPjSE_EEENSF_IJSE_SE_EEES9_SG_JZNS1_25segmented_radix_sort_implINS0_14default_configELb1EPKiPiPKlPlN2at6native12_GLOBAL__N_18offset_tEEE10hipError_tPvRmT1_PNSt15iterator_traitsISY_E10value_typeET2_T3_PNSZ_IS14_E10value_typeET4_jRbjT5_S1A_jjP12ihipStream_tbEUljE_EEESV_SW_SX_S14_S18_S1A_T6_T7_T9_mT8_S1C_bDpT10_ENKUlT_T0_E_clISt17integral_constantIbLb0EES1O_IbLb1EEEEDaS1K_S1L_EUlS1K_E_NS1_11comp_targetILNS1_3genE4ELNS1_11target_archE910ELNS1_3gpuE8ELNS1_3repE0EEENS1_30default_config_static_selectorELNS0_4arch9wavefront6targetE0EEEvSY_.private_seg_size, 0
	.set _ZN7rocprim17ROCPRIM_400000_NS6detail17trampoline_kernelINS0_13select_configILj256ELj13ELNS0_17block_load_methodE3ELS4_3ELS4_3ELNS0_20block_scan_algorithmE0ELj4294967295EEENS1_25partition_config_selectorILNS1_17partition_subalgoE3EjNS0_10empty_typeEbEEZZNS1_14partition_implILS8_3ELb0ES6_jNS0_17counting_iteratorIjlEEPS9_SE_NS0_5tupleIJPjSE_EEENSF_IJSE_SE_EEES9_SG_JZNS1_25segmented_radix_sort_implINS0_14default_configELb1EPKiPiPKlPlN2at6native12_GLOBAL__N_18offset_tEEE10hipError_tPvRmT1_PNSt15iterator_traitsISY_E10value_typeET2_T3_PNSZ_IS14_E10value_typeET4_jRbjT5_S1A_jjP12ihipStream_tbEUljE_EEESV_SW_SX_S14_S18_S1A_T6_T7_T9_mT8_S1C_bDpT10_ENKUlT_T0_E_clISt17integral_constantIbLb0EES1O_IbLb1EEEEDaS1K_S1L_EUlS1K_E_NS1_11comp_targetILNS1_3genE4ELNS1_11target_archE910ELNS1_3gpuE8ELNS1_3repE0EEENS1_30default_config_static_selectorELNS0_4arch9wavefront6targetE0EEEvSY_.uses_vcc, 0
	.set _ZN7rocprim17ROCPRIM_400000_NS6detail17trampoline_kernelINS0_13select_configILj256ELj13ELNS0_17block_load_methodE3ELS4_3ELS4_3ELNS0_20block_scan_algorithmE0ELj4294967295EEENS1_25partition_config_selectorILNS1_17partition_subalgoE3EjNS0_10empty_typeEbEEZZNS1_14partition_implILS8_3ELb0ES6_jNS0_17counting_iteratorIjlEEPS9_SE_NS0_5tupleIJPjSE_EEENSF_IJSE_SE_EEES9_SG_JZNS1_25segmented_radix_sort_implINS0_14default_configELb1EPKiPiPKlPlN2at6native12_GLOBAL__N_18offset_tEEE10hipError_tPvRmT1_PNSt15iterator_traitsISY_E10value_typeET2_T3_PNSZ_IS14_E10value_typeET4_jRbjT5_S1A_jjP12ihipStream_tbEUljE_EEESV_SW_SX_S14_S18_S1A_T6_T7_T9_mT8_S1C_bDpT10_ENKUlT_T0_E_clISt17integral_constantIbLb0EES1O_IbLb1EEEEDaS1K_S1L_EUlS1K_E_NS1_11comp_targetILNS1_3genE4ELNS1_11target_archE910ELNS1_3gpuE8ELNS1_3repE0EEENS1_30default_config_static_selectorELNS0_4arch9wavefront6targetE0EEEvSY_.uses_flat_scratch, 0
	.set _ZN7rocprim17ROCPRIM_400000_NS6detail17trampoline_kernelINS0_13select_configILj256ELj13ELNS0_17block_load_methodE3ELS4_3ELS4_3ELNS0_20block_scan_algorithmE0ELj4294967295EEENS1_25partition_config_selectorILNS1_17partition_subalgoE3EjNS0_10empty_typeEbEEZZNS1_14partition_implILS8_3ELb0ES6_jNS0_17counting_iteratorIjlEEPS9_SE_NS0_5tupleIJPjSE_EEENSF_IJSE_SE_EEES9_SG_JZNS1_25segmented_radix_sort_implINS0_14default_configELb1EPKiPiPKlPlN2at6native12_GLOBAL__N_18offset_tEEE10hipError_tPvRmT1_PNSt15iterator_traitsISY_E10value_typeET2_T3_PNSZ_IS14_E10value_typeET4_jRbjT5_S1A_jjP12ihipStream_tbEUljE_EEESV_SW_SX_S14_S18_S1A_T6_T7_T9_mT8_S1C_bDpT10_ENKUlT_T0_E_clISt17integral_constantIbLb0EES1O_IbLb1EEEEDaS1K_S1L_EUlS1K_E_NS1_11comp_targetILNS1_3genE4ELNS1_11target_archE910ELNS1_3gpuE8ELNS1_3repE0EEENS1_30default_config_static_selectorELNS0_4arch9wavefront6targetE0EEEvSY_.has_dyn_sized_stack, 0
	.set _ZN7rocprim17ROCPRIM_400000_NS6detail17trampoline_kernelINS0_13select_configILj256ELj13ELNS0_17block_load_methodE3ELS4_3ELS4_3ELNS0_20block_scan_algorithmE0ELj4294967295EEENS1_25partition_config_selectorILNS1_17partition_subalgoE3EjNS0_10empty_typeEbEEZZNS1_14partition_implILS8_3ELb0ES6_jNS0_17counting_iteratorIjlEEPS9_SE_NS0_5tupleIJPjSE_EEENSF_IJSE_SE_EEES9_SG_JZNS1_25segmented_radix_sort_implINS0_14default_configELb1EPKiPiPKlPlN2at6native12_GLOBAL__N_18offset_tEEE10hipError_tPvRmT1_PNSt15iterator_traitsISY_E10value_typeET2_T3_PNSZ_IS14_E10value_typeET4_jRbjT5_S1A_jjP12ihipStream_tbEUljE_EEESV_SW_SX_S14_S18_S1A_T6_T7_T9_mT8_S1C_bDpT10_ENKUlT_T0_E_clISt17integral_constantIbLb0EES1O_IbLb1EEEEDaS1K_S1L_EUlS1K_E_NS1_11comp_targetILNS1_3genE4ELNS1_11target_archE910ELNS1_3gpuE8ELNS1_3repE0EEENS1_30default_config_static_selectorELNS0_4arch9wavefront6targetE0EEEvSY_.has_recursion, 0
	.set _ZN7rocprim17ROCPRIM_400000_NS6detail17trampoline_kernelINS0_13select_configILj256ELj13ELNS0_17block_load_methodE3ELS4_3ELS4_3ELNS0_20block_scan_algorithmE0ELj4294967295EEENS1_25partition_config_selectorILNS1_17partition_subalgoE3EjNS0_10empty_typeEbEEZZNS1_14partition_implILS8_3ELb0ES6_jNS0_17counting_iteratorIjlEEPS9_SE_NS0_5tupleIJPjSE_EEENSF_IJSE_SE_EEES9_SG_JZNS1_25segmented_radix_sort_implINS0_14default_configELb1EPKiPiPKlPlN2at6native12_GLOBAL__N_18offset_tEEE10hipError_tPvRmT1_PNSt15iterator_traitsISY_E10value_typeET2_T3_PNSZ_IS14_E10value_typeET4_jRbjT5_S1A_jjP12ihipStream_tbEUljE_EEESV_SW_SX_S14_S18_S1A_T6_T7_T9_mT8_S1C_bDpT10_ENKUlT_T0_E_clISt17integral_constantIbLb0EES1O_IbLb1EEEEDaS1K_S1L_EUlS1K_E_NS1_11comp_targetILNS1_3genE4ELNS1_11target_archE910ELNS1_3gpuE8ELNS1_3repE0EEENS1_30default_config_static_selectorELNS0_4arch9wavefront6targetE0EEEvSY_.has_indirect_call, 0
	.section	.AMDGPU.csdata,"",@progbits
; Kernel info:
; codeLenInByte = 0
; TotalNumSgprs: 0
; NumVgprs: 0
; ScratchSize: 0
; MemoryBound: 0
; FloatMode: 240
; IeeeMode: 1
; LDSByteSize: 0 bytes/workgroup (compile time only)
; SGPRBlocks: 0
; VGPRBlocks: 0
; NumSGPRsForWavesPerEU: 1
; NumVGPRsForWavesPerEU: 1
; Occupancy: 16
; WaveLimiterHint : 0
; COMPUTE_PGM_RSRC2:SCRATCH_EN: 0
; COMPUTE_PGM_RSRC2:USER_SGPR: 6
; COMPUTE_PGM_RSRC2:TRAP_HANDLER: 0
; COMPUTE_PGM_RSRC2:TGID_X_EN: 1
; COMPUTE_PGM_RSRC2:TGID_Y_EN: 0
; COMPUTE_PGM_RSRC2:TGID_Z_EN: 0
; COMPUTE_PGM_RSRC2:TIDIG_COMP_CNT: 0
	.section	.text._ZN7rocprim17ROCPRIM_400000_NS6detail17trampoline_kernelINS0_13select_configILj256ELj13ELNS0_17block_load_methodE3ELS4_3ELS4_3ELNS0_20block_scan_algorithmE0ELj4294967295EEENS1_25partition_config_selectorILNS1_17partition_subalgoE3EjNS0_10empty_typeEbEEZZNS1_14partition_implILS8_3ELb0ES6_jNS0_17counting_iteratorIjlEEPS9_SE_NS0_5tupleIJPjSE_EEENSF_IJSE_SE_EEES9_SG_JZNS1_25segmented_radix_sort_implINS0_14default_configELb1EPKiPiPKlPlN2at6native12_GLOBAL__N_18offset_tEEE10hipError_tPvRmT1_PNSt15iterator_traitsISY_E10value_typeET2_T3_PNSZ_IS14_E10value_typeET4_jRbjT5_S1A_jjP12ihipStream_tbEUljE_EEESV_SW_SX_S14_S18_S1A_T6_T7_T9_mT8_S1C_bDpT10_ENKUlT_T0_E_clISt17integral_constantIbLb0EES1O_IbLb1EEEEDaS1K_S1L_EUlS1K_E_NS1_11comp_targetILNS1_3genE3ELNS1_11target_archE908ELNS1_3gpuE7ELNS1_3repE0EEENS1_30default_config_static_selectorELNS0_4arch9wavefront6targetE0EEEvSY_,"axG",@progbits,_ZN7rocprim17ROCPRIM_400000_NS6detail17trampoline_kernelINS0_13select_configILj256ELj13ELNS0_17block_load_methodE3ELS4_3ELS4_3ELNS0_20block_scan_algorithmE0ELj4294967295EEENS1_25partition_config_selectorILNS1_17partition_subalgoE3EjNS0_10empty_typeEbEEZZNS1_14partition_implILS8_3ELb0ES6_jNS0_17counting_iteratorIjlEEPS9_SE_NS0_5tupleIJPjSE_EEENSF_IJSE_SE_EEES9_SG_JZNS1_25segmented_radix_sort_implINS0_14default_configELb1EPKiPiPKlPlN2at6native12_GLOBAL__N_18offset_tEEE10hipError_tPvRmT1_PNSt15iterator_traitsISY_E10value_typeET2_T3_PNSZ_IS14_E10value_typeET4_jRbjT5_S1A_jjP12ihipStream_tbEUljE_EEESV_SW_SX_S14_S18_S1A_T6_T7_T9_mT8_S1C_bDpT10_ENKUlT_T0_E_clISt17integral_constantIbLb0EES1O_IbLb1EEEEDaS1K_S1L_EUlS1K_E_NS1_11comp_targetILNS1_3genE3ELNS1_11target_archE908ELNS1_3gpuE7ELNS1_3repE0EEENS1_30default_config_static_selectorELNS0_4arch9wavefront6targetE0EEEvSY_,comdat
	.globl	_ZN7rocprim17ROCPRIM_400000_NS6detail17trampoline_kernelINS0_13select_configILj256ELj13ELNS0_17block_load_methodE3ELS4_3ELS4_3ELNS0_20block_scan_algorithmE0ELj4294967295EEENS1_25partition_config_selectorILNS1_17partition_subalgoE3EjNS0_10empty_typeEbEEZZNS1_14partition_implILS8_3ELb0ES6_jNS0_17counting_iteratorIjlEEPS9_SE_NS0_5tupleIJPjSE_EEENSF_IJSE_SE_EEES9_SG_JZNS1_25segmented_radix_sort_implINS0_14default_configELb1EPKiPiPKlPlN2at6native12_GLOBAL__N_18offset_tEEE10hipError_tPvRmT1_PNSt15iterator_traitsISY_E10value_typeET2_T3_PNSZ_IS14_E10value_typeET4_jRbjT5_S1A_jjP12ihipStream_tbEUljE_EEESV_SW_SX_S14_S18_S1A_T6_T7_T9_mT8_S1C_bDpT10_ENKUlT_T0_E_clISt17integral_constantIbLb0EES1O_IbLb1EEEEDaS1K_S1L_EUlS1K_E_NS1_11comp_targetILNS1_3genE3ELNS1_11target_archE908ELNS1_3gpuE7ELNS1_3repE0EEENS1_30default_config_static_selectorELNS0_4arch9wavefront6targetE0EEEvSY_ ; -- Begin function _ZN7rocprim17ROCPRIM_400000_NS6detail17trampoline_kernelINS0_13select_configILj256ELj13ELNS0_17block_load_methodE3ELS4_3ELS4_3ELNS0_20block_scan_algorithmE0ELj4294967295EEENS1_25partition_config_selectorILNS1_17partition_subalgoE3EjNS0_10empty_typeEbEEZZNS1_14partition_implILS8_3ELb0ES6_jNS0_17counting_iteratorIjlEEPS9_SE_NS0_5tupleIJPjSE_EEENSF_IJSE_SE_EEES9_SG_JZNS1_25segmented_radix_sort_implINS0_14default_configELb1EPKiPiPKlPlN2at6native12_GLOBAL__N_18offset_tEEE10hipError_tPvRmT1_PNSt15iterator_traitsISY_E10value_typeET2_T3_PNSZ_IS14_E10value_typeET4_jRbjT5_S1A_jjP12ihipStream_tbEUljE_EEESV_SW_SX_S14_S18_S1A_T6_T7_T9_mT8_S1C_bDpT10_ENKUlT_T0_E_clISt17integral_constantIbLb0EES1O_IbLb1EEEEDaS1K_S1L_EUlS1K_E_NS1_11comp_targetILNS1_3genE3ELNS1_11target_archE908ELNS1_3gpuE7ELNS1_3repE0EEENS1_30default_config_static_selectorELNS0_4arch9wavefront6targetE0EEEvSY_
	.p2align	8
	.type	_ZN7rocprim17ROCPRIM_400000_NS6detail17trampoline_kernelINS0_13select_configILj256ELj13ELNS0_17block_load_methodE3ELS4_3ELS4_3ELNS0_20block_scan_algorithmE0ELj4294967295EEENS1_25partition_config_selectorILNS1_17partition_subalgoE3EjNS0_10empty_typeEbEEZZNS1_14partition_implILS8_3ELb0ES6_jNS0_17counting_iteratorIjlEEPS9_SE_NS0_5tupleIJPjSE_EEENSF_IJSE_SE_EEES9_SG_JZNS1_25segmented_radix_sort_implINS0_14default_configELb1EPKiPiPKlPlN2at6native12_GLOBAL__N_18offset_tEEE10hipError_tPvRmT1_PNSt15iterator_traitsISY_E10value_typeET2_T3_PNSZ_IS14_E10value_typeET4_jRbjT5_S1A_jjP12ihipStream_tbEUljE_EEESV_SW_SX_S14_S18_S1A_T6_T7_T9_mT8_S1C_bDpT10_ENKUlT_T0_E_clISt17integral_constantIbLb0EES1O_IbLb1EEEEDaS1K_S1L_EUlS1K_E_NS1_11comp_targetILNS1_3genE3ELNS1_11target_archE908ELNS1_3gpuE7ELNS1_3repE0EEENS1_30default_config_static_selectorELNS0_4arch9wavefront6targetE0EEEvSY_,@function
_ZN7rocprim17ROCPRIM_400000_NS6detail17trampoline_kernelINS0_13select_configILj256ELj13ELNS0_17block_load_methodE3ELS4_3ELS4_3ELNS0_20block_scan_algorithmE0ELj4294967295EEENS1_25partition_config_selectorILNS1_17partition_subalgoE3EjNS0_10empty_typeEbEEZZNS1_14partition_implILS8_3ELb0ES6_jNS0_17counting_iteratorIjlEEPS9_SE_NS0_5tupleIJPjSE_EEENSF_IJSE_SE_EEES9_SG_JZNS1_25segmented_radix_sort_implINS0_14default_configELb1EPKiPiPKlPlN2at6native12_GLOBAL__N_18offset_tEEE10hipError_tPvRmT1_PNSt15iterator_traitsISY_E10value_typeET2_T3_PNSZ_IS14_E10value_typeET4_jRbjT5_S1A_jjP12ihipStream_tbEUljE_EEESV_SW_SX_S14_S18_S1A_T6_T7_T9_mT8_S1C_bDpT10_ENKUlT_T0_E_clISt17integral_constantIbLb0EES1O_IbLb1EEEEDaS1K_S1L_EUlS1K_E_NS1_11comp_targetILNS1_3genE3ELNS1_11target_archE908ELNS1_3gpuE7ELNS1_3repE0EEENS1_30default_config_static_selectorELNS0_4arch9wavefront6targetE0EEEvSY_: ; @_ZN7rocprim17ROCPRIM_400000_NS6detail17trampoline_kernelINS0_13select_configILj256ELj13ELNS0_17block_load_methodE3ELS4_3ELS4_3ELNS0_20block_scan_algorithmE0ELj4294967295EEENS1_25partition_config_selectorILNS1_17partition_subalgoE3EjNS0_10empty_typeEbEEZZNS1_14partition_implILS8_3ELb0ES6_jNS0_17counting_iteratorIjlEEPS9_SE_NS0_5tupleIJPjSE_EEENSF_IJSE_SE_EEES9_SG_JZNS1_25segmented_radix_sort_implINS0_14default_configELb1EPKiPiPKlPlN2at6native12_GLOBAL__N_18offset_tEEE10hipError_tPvRmT1_PNSt15iterator_traitsISY_E10value_typeET2_T3_PNSZ_IS14_E10value_typeET4_jRbjT5_S1A_jjP12ihipStream_tbEUljE_EEESV_SW_SX_S14_S18_S1A_T6_T7_T9_mT8_S1C_bDpT10_ENKUlT_T0_E_clISt17integral_constantIbLb0EES1O_IbLb1EEEEDaS1K_S1L_EUlS1K_E_NS1_11comp_targetILNS1_3genE3ELNS1_11target_archE908ELNS1_3gpuE7ELNS1_3repE0EEENS1_30default_config_static_selectorELNS0_4arch9wavefront6targetE0EEEvSY_
; %bb.0:
	.section	.rodata,"a",@progbits
	.p2align	6, 0x0
	.amdhsa_kernel _ZN7rocprim17ROCPRIM_400000_NS6detail17trampoline_kernelINS0_13select_configILj256ELj13ELNS0_17block_load_methodE3ELS4_3ELS4_3ELNS0_20block_scan_algorithmE0ELj4294967295EEENS1_25partition_config_selectorILNS1_17partition_subalgoE3EjNS0_10empty_typeEbEEZZNS1_14partition_implILS8_3ELb0ES6_jNS0_17counting_iteratorIjlEEPS9_SE_NS0_5tupleIJPjSE_EEENSF_IJSE_SE_EEES9_SG_JZNS1_25segmented_radix_sort_implINS0_14default_configELb1EPKiPiPKlPlN2at6native12_GLOBAL__N_18offset_tEEE10hipError_tPvRmT1_PNSt15iterator_traitsISY_E10value_typeET2_T3_PNSZ_IS14_E10value_typeET4_jRbjT5_S1A_jjP12ihipStream_tbEUljE_EEESV_SW_SX_S14_S18_S1A_T6_T7_T9_mT8_S1C_bDpT10_ENKUlT_T0_E_clISt17integral_constantIbLb0EES1O_IbLb1EEEEDaS1K_S1L_EUlS1K_E_NS1_11comp_targetILNS1_3genE3ELNS1_11target_archE908ELNS1_3gpuE7ELNS1_3repE0EEENS1_30default_config_static_selectorELNS0_4arch9wavefront6targetE0EEEvSY_
		.amdhsa_group_segment_fixed_size 0
		.amdhsa_private_segment_fixed_size 0
		.amdhsa_kernarg_size 152
		.amdhsa_user_sgpr_count 6
		.amdhsa_user_sgpr_private_segment_buffer 1
		.amdhsa_user_sgpr_dispatch_ptr 0
		.amdhsa_user_sgpr_queue_ptr 0
		.amdhsa_user_sgpr_kernarg_segment_ptr 1
		.amdhsa_user_sgpr_dispatch_id 0
		.amdhsa_user_sgpr_flat_scratch_init 0
		.amdhsa_user_sgpr_private_segment_size 0
		.amdhsa_wavefront_size32 1
		.amdhsa_uses_dynamic_stack 0
		.amdhsa_system_sgpr_private_segment_wavefront_offset 0
		.amdhsa_system_sgpr_workgroup_id_x 1
		.amdhsa_system_sgpr_workgroup_id_y 0
		.amdhsa_system_sgpr_workgroup_id_z 0
		.amdhsa_system_sgpr_workgroup_info 0
		.amdhsa_system_vgpr_workitem_id 0
		.amdhsa_next_free_vgpr 1
		.amdhsa_next_free_sgpr 1
		.amdhsa_reserve_vcc 0
		.amdhsa_reserve_flat_scratch 0
		.amdhsa_float_round_mode_32 0
		.amdhsa_float_round_mode_16_64 0
		.amdhsa_float_denorm_mode_32 3
		.amdhsa_float_denorm_mode_16_64 3
		.amdhsa_dx10_clamp 1
		.amdhsa_ieee_mode 1
		.amdhsa_fp16_overflow 0
		.amdhsa_workgroup_processor_mode 1
		.amdhsa_memory_ordered 1
		.amdhsa_forward_progress 1
		.amdhsa_shared_vgpr_count 0
		.amdhsa_exception_fp_ieee_invalid_op 0
		.amdhsa_exception_fp_denorm_src 0
		.amdhsa_exception_fp_ieee_div_zero 0
		.amdhsa_exception_fp_ieee_overflow 0
		.amdhsa_exception_fp_ieee_underflow 0
		.amdhsa_exception_fp_ieee_inexact 0
		.amdhsa_exception_int_div_zero 0
	.end_amdhsa_kernel
	.section	.text._ZN7rocprim17ROCPRIM_400000_NS6detail17trampoline_kernelINS0_13select_configILj256ELj13ELNS0_17block_load_methodE3ELS4_3ELS4_3ELNS0_20block_scan_algorithmE0ELj4294967295EEENS1_25partition_config_selectorILNS1_17partition_subalgoE3EjNS0_10empty_typeEbEEZZNS1_14partition_implILS8_3ELb0ES6_jNS0_17counting_iteratorIjlEEPS9_SE_NS0_5tupleIJPjSE_EEENSF_IJSE_SE_EEES9_SG_JZNS1_25segmented_radix_sort_implINS0_14default_configELb1EPKiPiPKlPlN2at6native12_GLOBAL__N_18offset_tEEE10hipError_tPvRmT1_PNSt15iterator_traitsISY_E10value_typeET2_T3_PNSZ_IS14_E10value_typeET4_jRbjT5_S1A_jjP12ihipStream_tbEUljE_EEESV_SW_SX_S14_S18_S1A_T6_T7_T9_mT8_S1C_bDpT10_ENKUlT_T0_E_clISt17integral_constantIbLb0EES1O_IbLb1EEEEDaS1K_S1L_EUlS1K_E_NS1_11comp_targetILNS1_3genE3ELNS1_11target_archE908ELNS1_3gpuE7ELNS1_3repE0EEENS1_30default_config_static_selectorELNS0_4arch9wavefront6targetE0EEEvSY_,"axG",@progbits,_ZN7rocprim17ROCPRIM_400000_NS6detail17trampoline_kernelINS0_13select_configILj256ELj13ELNS0_17block_load_methodE3ELS4_3ELS4_3ELNS0_20block_scan_algorithmE0ELj4294967295EEENS1_25partition_config_selectorILNS1_17partition_subalgoE3EjNS0_10empty_typeEbEEZZNS1_14partition_implILS8_3ELb0ES6_jNS0_17counting_iteratorIjlEEPS9_SE_NS0_5tupleIJPjSE_EEENSF_IJSE_SE_EEES9_SG_JZNS1_25segmented_radix_sort_implINS0_14default_configELb1EPKiPiPKlPlN2at6native12_GLOBAL__N_18offset_tEEE10hipError_tPvRmT1_PNSt15iterator_traitsISY_E10value_typeET2_T3_PNSZ_IS14_E10value_typeET4_jRbjT5_S1A_jjP12ihipStream_tbEUljE_EEESV_SW_SX_S14_S18_S1A_T6_T7_T9_mT8_S1C_bDpT10_ENKUlT_T0_E_clISt17integral_constantIbLb0EES1O_IbLb1EEEEDaS1K_S1L_EUlS1K_E_NS1_11comp_targetILNS1_3genE3ELNS1_11target_archE908ELNS1_3gpuE7ELNS1_3repE0EEENS1_30default_config_static_selectorELNS0_4arch9wavefront6targetE0EEEvSY_,comdat
.Lfunc_end488:
	.size	_ZN7rocprim17ROCPRIM_400000_NS6detail17trampoline_kernelINS0_13select_configILj256ELj13ELNS0_17block_load_methodE3ELS4_3ELS4_3ELNS0_20block_scan_algorithmE0ELj4294967295EEENS1_25partition_config_selectorILNS1_17partition_subalgoE3EjNS0_10empty_typeEbEEZZNS1_14partition_implILS8_3ELb0ES6_jNS0_17counting_iteratorIjlEEPS9_SE_NS0_5tupleIJPjSE_EEENSF_IJSE_SE_EEES9_SG_JZNS1_25segmented_radix_sort_implINS0_14default_configELb1EPKiPiPKlPlN2at6native12_GLOBAL__N_18offset_tEEE10hipError_tPvRmT1_PNSt15iterator_traitsISY_E10value_typeET2_T3_PNSZ_IS14_E10value_typeET4_jRbjT5_S1A_jjP12ihipStream_tbEUljE_EEESV_SW_SX_S14_S18_S1A_T6_T7_T9_mT8_S1C_bDpT10_ENKUlT_T0_E_clISt17integral_constantIbLb0EES1O_IbLb1EEEEDaS1K_S1L_EUlS1K_E_NS1_11comp_targetILNS1_3genE3ELNS1_11target_archE908ELNS1_3gpuE7ELNS1_3repE0EEENS1_30default_config_static_selectorELNS0_4arch9wavefront6targetE0EEEvSY_, .Lfunc_end488-_ZN7rocprim17ROCPRIM_400000_NS6detail17trampoline_kernelINS0_13select_configILj256ELj13ELNS0_17block_load_methodE3ELS4_3ELS4_3ELNS0_20block_scan_algorithmE0ELj4294967295EEENS1_25partition_config_selectorILNS1_17partition_subalgoE3EjNS0_10empty_typeEbEEZZNS1_14partition_implILS8_3ELb0ES6_jNS0_17counting_iteratorIjlEEPS9_SE_NS0_5tupleIJPjSE_EEENSF_IJSE_SE_EEES9_SG_JZNS1_25segmented_radix_sort_implINS0_14default_configELb1EPKiPiPKlPlN2at6native12_GLOBAL__N_18offset_tEEE10hipError_tPvRmT1_PNSt15iterator_traitsISY_E10value_typeET2_T3_PNSZ_IS14_E10value_typeET4_jRbjT5_S1A_jjP12ihipStream_tbEUljE_EEESV_SW_SX_S14_S18_S1A_T6_T7_T9_mT8_S1C_bDpT10_ENKUlT_T0_E_clISt17integral_constantIbLb0EES1O_IbLb1EEEEDaS1K_S1L_EUlS1K_E_NS1_11comp_targetILNS1_3genE3ELNS1_11target_archE908ELNS1_3gpuE7ELNS1_3repE0EEENS1_30default_config_static_selectorELNS0_4arch9wavefront6targetE0EEEvSY_
                                        ; -- End function
	.set _ZN7rocprim17ROCPRIM_400000_NS6detail17trampoline_kernelINS0_13select_configILj256ELj13ELNS0_17block_load_methodE3ELS4_3ELS4_3ELNS0_20block_scan_algorithmE0ELj4294967295EEENS1_25partition_config_selectorILNS1_17partition_subalgoE3EjNS0_10empty_typeEbEEZZNS1_14partition_implILS8_3ELb0ES6_jNS0_17counting_iteratorIjlEEPS9_SE_NS0_5tupleIJPjSE_EEENSF_IJSE_SE_EEES9_SG_JZNS1_25segmented_radix_sort_implINS0_14default_configELb1EPKiPiPKlPlN2at6native12_GLOBAL__N_18offset_tEEE10hipError_tPvRmT1_PNSt15iterator_traitsISY_E10value_typeET2_T3_PNSZ_IS14_E10value_typeET4_jRbjT5_S1A_jjP12ihipStream_tbEUljE_EEESV_SW_SX_S14_S18_S1A_T6_T7_T9_mT8_S1C_bDpT10_ENKUlT_T0_E_clISt17integral_constantIbLb0EES1O_IbLb1EEEEDaS1K_S1L_EUlS1K_E_NS1_11comp_targetILNS1_3genE3ELNS1_11target_archE908ELNS1_3gpuE7ELNS1_3repE0EEENS1_30default_config_static_selectorELNS0_4arch9wavefront6targetE0EEEvSY_.num_vgpr, 0
	.set _ZN7rocprim17ROCPRIM_400000_NS6detail17trampoline_kernelINS0_13select_configILj256ELj13ELNS0_17block_load_methodE3ELS4_3ELS4_3ELNS0_20block_scan_algorithmE0ELj4294967295EEENS1_25partition_config_selectorILNS1_17partition_subalgoE3EjNS0_10empty_typeEbEEZZNS1_14partition_implILS8_3ELb0ES6_jNS0_17counting_iteratorIjlEEPS9_SE_NS0_5tupleIJPjSE_EEENSF_IJSE_SE_EEES9_SG_JZNS1_25segmented_radix_sort_implINS0_14default_configELb1EPKiPiPKlPlN2at6native12_GLOBAL__N_18offset_tEEE10hipError_tPvRmT1_PNSt15iterator_traitsISY_E10value_typeET2_T3_PNSZ_IS14_E10value_typeET4_jRbjT5_S1A_jjP12ihipStream_tbEUljE_EEESV_SW_SX_S14_S18_S1A_T6_T7_T9_mT8_S1C_bDpT10_ENKUlT_T0_E_clISt17integral_constantIbLb0EES1O_IbLb1EEEEDaS1K_S1L_EUlS1K_E_NS1_11comp_targetILNS1_3genE3ELNS1_11target_archE908ELNS1_3gpuE7ELNS1_3repE0EEENS1_30default_config_static_selectorELNS0_4arch9wavefront6targetE0EEEvSY_.num_agpr, 0
	.set _ZN7rocprim17ROCPRIM_400000_NS6detail17trampoline_kernelINS0_13select_configILj256ELj13ELNS0_17block_load_methodE3ELS4_3ELS4_3ELNS0_20block_scan_algorithmE0ELj4294967295EEENS1_25partition_config_selectorILNS1_17partition_subalgoE3EjNS0_10empty_typeEbEEZZNS1_14partition_implILS8_3ELb0ES6_jNS0_17counting_iteratorIjlEEPS9_SE_NS0_5tupleIJPjSE_EEENSF_IJSE_SE_EEES9_SG_JZNS1_25segmented_radix_sort_implINS0_14default_configELb1EPKiPiPKlPlN2at6native12_GLOBAL__N_18offset_tEEE10hipError_tPvRmT1_PNSt15iterator_traitsISY_E10value_typeET2_T3_PNSZ_IS14_E10value_typeET4_jRbjT5_S1A_jjP12ihipStream_tbEUljE_EEESV_SW_SX_S14_S18_S1A_T6_T7_T9_mT8_S1C_bDpT10_ENKUlT_T0_E_clISt17integral_constantIbLb0EES1O_IbLb1EEEEDaS1K_S1L_EUlS1K_E_NS1_11comp_targetILNS1_3genE3ELNS1_11target_archE908ELNS1_3gpuE7ELNS1_3repE0EEENS1_30default_config_static_selectorELNS0_4arch9wavefront6targetE0EEEvSY_.numbered_sgpr, 0
	.set _ZN7rocprim17ROCPRIM_400000_NS6detail17trampoline_kernelINS0_13select_configILj256ELj13ELNS0_17block_load_methodE3ELS4_3ELS4_3ELNS0_20block_scan_algorithmE0ELj4294967295EEENS1_25partition_config_selectorILNS1_17partition_subalgoE3EjNS0_10empty_typeEbEEZZNS1_14partition_implILS8_3ELb0ES6_jNS0_17counting_iteratorIjlEEPS9_SE_NS0_5tupleIJPjSE_EEENSF_IJSE_SE_EEES9_SG_JZNS1_25segmented_radix_sort_implINS0_14default_configELb1EPKiPiPKlPlN2at6native12_GLOBAL__N_18offset_tEEE10hipError_tPvRmT1_PNSt15iterator_traitsISY_E10value_typeET2_T3_PNSZ_IS14_E10value_typeET4_jRbjT5_S1A_jjP12ihipStream_tbEUljE_EEESV_SW_SX_S14_S18_S1A_T6_T7_T9_mT8_S1C_bDpT10_ENKUlT_T0_E_clISt17integral_constantIbLb0EES1O_IbLb1EEEEDaS1K_S1L_EUlS1K_E_NS1_11comp_targetILNS1_3genE3ELNS1_11target_archE908ELNS1_3gpuE7ELNS1_3repE0EEENS1_30default_config_static_selectorELNS0_4arch9wavefront6targetE0EEEvSY_.num_named_barrier, 0
	.set _ZN7rocprim17ROCPRIM_400000_NS6detail17trampoline_kernelINS0_13select_configILj256ELj13ELNS0_17block_load_methodE3ELS4_3ELS4_3ELNS0_20block_scan_algorithmE0ELj4294967295EEENS1_25partition_config_selectorILNS1_17partition_subalgoE3EjNS0_10empty_typeEbEEZZNS1_14partition_implILS8_3ELb0ES6_jNS0_17counting_iteratorIjlEEPS9_SE_NS0_5tupleIJPjSE_EEENSF_IJSE_SE_EEES9_SG_JZNS1_25segmented_radix_sort_implINS0_14default_configELb1EPKiPiPKlPlN2at6native12_GLOBAL__N_18offset_tEEE10hipError_tPvRmT1_PNSt15iterator_traitsISY_E10value_typeET2_T3_PNSZ_IS14_E10value_typeET4_jRbjT5_S1A_jjP12ihipStream_tbEUljE_EEESV_SW_SX_S14_S18_S1A_T6_T7_T9_mT8_S1C_bDpT10_ENKUlT_T0_E_clISt17integral_constantIbLb0EES1O_IbLb1EEEEDaS1K_S1L_EUlS1K_E_NS1_11comp_targetILNS1_3genE3ELNS1_11target_archE908ELNS1_3gpuE7ELNS1_3repE0EEENS1_30default_config_static_selectorELNS0_4arch9wavefront6targetE0EEEvSY_.private_seg_size, 0
	.set _ZN7rocprim17ROCPRIM_400000_NS6detail17trampoline_kernelINS0_13select_configILj256ELj13ELNS0_17block_load_methodE3ELS4_3ELS4_3ELNS0_20block_scan_algorithmE0ELj4294967295EEENS1_25partition_config_selectorILNS1_17partition_subalgoE3EjNS0_10empty_typeEbEEZZNS1_14partition_implILS8_3ELb0ES6_jNS0_17counting_iteratorIjlEEPS9_SE_NS0_5tupleIJPjSE_EEENSF_IJSE_SE_EEES9_SG_JZNS1_25segmented_radix_sort_implINS0_14default_configELb1EPKiPiPKlPlN2at6native12_GLOBAL__N_18offset_tEEE10hipError_tPvRmT1_PNSt15iterator_traitsISY_E10value_typeET2_T3_PNSZ_IS14_E10value_typeET4_jRbjT5_S1A_jjP12ihipStream_tbEUljE_EEESV_SW_SX_S14_S18_S1A_T6_T7_T9_mT8_S1C_bDpT10_ENKUlT_T0_E_clISt17integral_constantIbLb0EES1O_IbLb1EEEEDaS1K_S1L_EUlS1K_E_NS1_11comp_targetILNS1_3genE3ELNS1_11target_archE908ELNS1_3gpuE7ELNS1_3repE0EEENS1_30default_config_static_selectorELNS0_4arch9wavefront6targetE0EEEvSY_.uses_vcc, 0
	.set _ZN7rocprim17ROCPRIM_400000_NS6detail17trampoline_kernelINS0_13select_configILj256ELj13ELNS0_17block_load_methodE3ELS4_3ELS4_3ELNS0_20block_scan_algorithmE0ELj4294967295EEENS1_25partition_config_selectorILNS1_17partition_subalgoE3EjNS0_10empty_typeEbEEZZNS1_14partition_implILS8_3ELb0ES6_jNS0_17counting_iteratorIjlEEPS9_SE_NS0_5tupleIJPjSE_EEENSF_IJSE_SE_EEES9_SG_JZNS1_25segmented_radix_sort_implINS0_14default_configELb1EPKiPiPKlPlN2at6native12_GLOBAL__N_18offset_tEEE10hipError_tPvRmT1_PNSt15iterator_traitsISY_E10value_typeET2_T3_PNSZ_IS14_E10value_typeET4_jRbjT5_S1A_jjP12ihipStream_tbEUljE_EEESV_SW_SX_S14_S18_S1A_T6_T7_T9_mT8_S1C_bDpT10_ENKUlT_T0_E_clISt17integral_constantIbLb0EES1O_IbLb1EEEEDaS1K_S1L_EUlS1K_E_NS1_11comp_targetILNS1_3genE3ELNS1_11target_archE908ELNS1_3gpuE7ELNS1_3repE0EEENS1_30default_config_static_selectorELNS0_4arch9wavefront6targetE0EEEvSY_.uses_flat_scratch, 0
	.set _ZN7rocprim17ROCPRIM_400000_NS6detail17trampoline_kernelINS0_13select_configILj256ELj13ELNS0_17block_load_methodE3ELS4_3ELS4_3ELNS0_20block_scan_algorithmE0ELj4294967295EEENS1_25partition_config_selectorILNS1_17partition_subalgoE3EjNS0_10empty_typeEbEEZZNS1_14partition_implILS8_3ELb0ES6_jNS0_17counting_iteratorIjlEEPS9_SE_NS0_5tupleIJPjSE_EEENSF_IJSE_SE_EEES9_SG_JZNS1_25segmented_radix_sort_implINS0_14default_configELb1EPKiPiPKlPlN2at6native12_GLOBAL__N_18offset_tEEE10hipError_tPvRmT1_PNSt15iterator_traitsISY_E10value_typeET2_T3_PNSZ_IS14_E10value_typeET4_jRbjT5_S1A_jjP12ihipStream_tbEUljE_EEESV_SW_SX_S14_S18_S1A_T6_T7_T9_mT8_S1C_bDpT10_ENKUlT_T0_E_clISt17integral_constantIbLb0EES1O_IbLb1EEEEDaS1K_S1L_EUlS1K_E_NS1_11comp_targetILNS1_3genE3ELNS1_11target_archE908ELNS1_3gpuE7ELNS1_3repE0EEENS1_30default_config_static_selectorELNS0_4arch9wavefront6targetE0EEEvSY_.has_dyn_sized_stack, 0
	.set _ZN7rocprim17ROCPRIM_400000_NS6detail17trampoline_kernelINS0_13select_configILj256ELj13ELNS0_17block_load_methodE3ELS4_3ELS4_3ELNS0_20block_scan_algorithmE0ELj4294967295EEENS1_25partition_config_selectorILNS1_17partition_subalgoE3EjNS0_10empty_typeEbEEZZNS1_14partition_implILS8_3ELb0ES6_jNS0_17counting_iteratorIjlEEPS9_SE_NS0_5tupleIJPjSE_EEENSF_IJSE_SE_EEES9_SG_JZNS1_25segmented_radix_sort_implINS0_14default_configELb1EPKiPiPKlPlN2at6native12_GLOBAL__N_18offset_tEEE10hipError_tPvRmT1_PNSt15iterator_traitsISY_E10value_typeET2_T3_PNSZ_IS14_E10value_typeET4_jRbjT5_S1A_jjP12ihipStream_tbEUljE_EEESV_SW_SX_S14_S18_S1A_T6_T7_T9_mT8_S1C_bDpT10_ENKUlT_T0_E_clISt17integral_constantIbLb0EES1O_IbLb1EEEEDaS1K_S1L_EUlS1K_E_NS1_11comp_targetILNS1_3genE3ELNS1_11target_archE908ELNS1_3gpuE7ELNS1_3repE0EEENS1_30default_config_static_selectorELNS0_4arch9wavefront6targetE0EEEvSY_.has_recursion, 0
	.set _ZN7rocprim17ROCPRIM_400000_NS6detail17trampoline_kernelINS0_13select_configILj256ELj13ELNS0_17block_load_methodE3ELS4_3ELS4_3ELNS0_20block_scan_algorithmE0ELj4294967295EEENS1_25partition_config_selectorILNS1_17partition_subalgoE3EjNS0_10empty_typeEbEEZZNS1_14partition_implILS8_3ELb0ES6_jNS0_17counting_iteratorIjlEEPS9_SE_NS0_5tupleIJPjSE_EEENSF_IJSE_SE_EEES9_SG_JZNS1_25segmented_radix_sort_implINS0_14default_configELb1EPKiPiPKlPlN2at6native12_GLOBAL__N_18offset_tEEE10hipError_tPvRmT1_PNSt15iterator_traitsISY_E10value_typeET2_T3_PNSZ_IS14_E10value_typeET4_jRbjT5_S1A_jjP12ihipStream_tbEUljE_EEESV_SW_SX_S14_S18_S1A_T6_T7_T9_mT8_S1C_bDpT10_ENKUlT_T0_E_clISt17integral_constantIbLb0EES1O_IbLb1EEEEDaS1K_S1L_EUlS1K_E_NS1_11comp_targetILNS1_3genE3ELNS1_11target_archE908ELNS1_3gpuE7ELNS1_3repE0EEENS1_30default_config_static_selectorELNS0_4arch9wavefront6targetE0EEEvSY_.has_indirect_call, 0
	.section	.AMDGPU.csdata,"",@progbits
; Kernel info:
; codeLenInByte = 0
; TotalNumSgprs: 0
; NumVgprs: 0
; ScratchSize: 0
; MemoryBound: 0
; FloatMode: 240
; IeeeMode: 1
; LDSByteSize: 0 bytes/workgroup (compile time only)
; SGPRBlocks: 0
; VGPRBlocks: 0
; NumSGPRsForWavesPerEU: 1
; NumVGPRsForWavesPerEU: 1
; Occupancy: 16
; WaveLimiterHint : 0
; COMPUTE_PGM_RSRC2:SCRATCH_EN: 0
; COMPUTE_PGM_RSRC2:USER_SGPR: 6
; COMPUTE_PGM_RSRC2:TRAP_HANDLER: 0
; COMPUTE_PGM_RSRC2:TGID_X_EN: 1
; COMPUTE_PGM_RSRC2:TGID_Y_EN: 0
; COMPUTE_PGM_RSRC2:TGID_Z_EN: 0
; COMPUTE_PGM_RSRC2:TIDIG_COMP_CNT: 0
	.section	.text._ZN7rocprim17ROCPRIM_400000_NS6detail17trampoline_kernelINS0_13select_configILj256ELj13ELNS0_17block_load_methodE3ELS4_3ELS4_3ELNS0_20block_scan_algorithmE0ELj4294967295EEENS1_25partition_config_selectorILNS1_17partition_subalgoE3EjNS0_10empty_typeEbEEZZNS1_14partition_implILS8_3ELb0ES6_jNS0_17counting_iteratorIjlEEPS9_SE_NS0_5tupleIJPjSE_EEENSF_IJSE_SE_EEES9_SG_JZNS1_25segmented_radix_sort_implINS0_14default_configELb1EPKiPiPKlPlN2at6native12_GLOBAL__N_18offset_tEEE10hipError_tPvRmT1_PNSt15iterator_traitsISY_E10value_typeET2_T3_PNSZ_IS14_E10value_typeET4_jRbjT5_S1A_jjP12ihipStream_tbEUljE_EEESV_SW_SX_S14_S18_S1A_T6_T7_T9_mT8_S1C_bDpT10_ENKUlT_T0_E_clISt17integral_constantIbLb0EES1O_IbLb1EEEEDaS1K_S1L_EUlS1K_E_NS1_11comp_targetILNS1_3genE2ELNS1_11target_archE906ELNS1_3gpuE6ELNS1_3repE0EEENS1_30default_config_static_selectorELNS0_4arch9wavefront6targetE0EEEvSY_,"axG",@progbits,_ZN7rocprim17ROCPRIM_400000_NS6detail17trampoline_kernelINS0_13select_configILj256ELj13ELNS0_17block_load_methodE3ELS4_3ELS4_3ELNS0_20block_scan_algorithmE0ELj4294967295EEENS1_25partition_config_selectorILNS1_17partition_subalgoE3EjNS0_10empty_typeEbEEZZNS1_14partition_implILS8_3ELb0ES6_jNS0_17counting_iteratorIjlEEPS9_SE_NS0_5tupleIJPjSE_EEENSF_IJSE_SE_EEES9_SG_JZNS1_25segmented_radix_sort_implINS0_14default_configELb1EPKiPiPKlPlN2at6native12_GLOBAL__N_18offset_tEEE10hipError_tPvRmT1_PNSt15iterator_traitsISY_E10value_typeET2_T3_PNSZ_IS14_E10value_typeET4_jRbjT5_S1A_jjP12ihipStream_tbEUljE_EEESV_SW_SX_S14_S18_S1A_T6_T7_T9_mT8_S1C_bDpT10_ENKUlT_T0_E_clISt17integral_constantIbLb0EES1O_IbLb1EEEEDaS1K_S1L_EUlS1K_E_NS1_11comp_targetILNS1_3genE2ELNS1_11target_archE906ELNS1_3gpuE6ELNS1_3repE0EEENS1_30default_config_static_selectorELNS0_4arch9wavefront6targetE0EEEvSY_,comdat
	.globl	_ZN7rocprim17ROCPRIM_400000_NS6detail17trampoline_kernelINS0_13select_configILj256ELj13ELNS0_17block_load_methodE3ELS4_3ELS4_3ELNS0_20block_scan_algorithmE0ELj4294967295EEENS1_25partition_config_selectorILNS1_17partition_subalgoE3EjNS0_10empty_typeEbEEZZNS1_14partition_implILS8_3ELb0ES6_jNS0_17counting_iteratorIjlEEPS9_SE_NS0_5tupleIJPjSE_EEENSF_IJSE_SE_EEES9_SG_JZNS1_25segmented_radix_sort_implINS0_14default_configELb1EPKiPiPKlPlN2at6native12_GLOBAL__N_18offset_tEEE10hipError_tPvRmT1_PNSt15iterator_traitsISY_E10value_typeET2_T3_PNSZ_IS14_E10value_typeET4_jRbjT5_S1A_jjP12ihipStream_tbEUljE_EEESV_SW_SX_S14_S18_S1A_T6_T7_T9_mT8_S1C_bDpT10_ENKUlT_T0_E_clISt17integral_constantIbLb0EES1O_IbLb1EEEEDaS1K_S1L_EUlS1K_E_NS1_11comp_targetILNS1_3genE2ELNS1_11target_archE906ELNS1_3gpuE6ELNS1_3repE0EEENS1_30default_config_static_selectorELNS0_4arch9wavefront6targetE0EEEvSY_ ; -- Begin function _ZN7rocprim17ROCPRIM_400000_NS6detail17trampoline_kernelINS0_13select_configILj256ELj13ELNS0_17block_load_methodE3ELS4_3ELS4_3ELNS0_20block_scan_algorithmE0ELj4294967295EEENS1_25partition_config_selectorILNS1_17partition_subalgoE3EjNS0_10empty_typeEbEEZZNS1_14partition_implILS8_3ELb0ES6_jNS0_17counting_iteratorIjlEEPS9_SE_NS0_5tupleIJPjSE_EEENSF_IJSE_SE_EEES9_SG_JZNS1_25segmented_radix_sort_implINS0_14default_configELb1EPKiPiPKlPlN2at6native12_GLOBAL__N_18offset_tEEE10hipError_tPvRmT1_PNSt15iterator_traitsISY_E10value_typeET2_T3_PNSZ_IS14_E10value_typeET4_jRbjT5_S1A_jjP12ihipStream_tbEUljE_EEESV_SW_SX_S14_S18_S1A_T6_T7_T9_mT8_S1C_bDpT10_ENKUlT_T0_E_clISt17integral_constantIbLb0EES1O_IbLb1EEEEDaS1K_S1L_EUlS1K_E_NS1_11comp_targetILNS1_3genE2ELNS1_11target_archE906ELNS1_3gpuE6ELNS1_3repE0EEENS1_30default_config_static_selectorELNS0_4arch9wavefront6targetE0EEEvSY_
	.p2align	8
	.type	_ZN7rocprim17ROCPRIM_400000_NS6detail17trampoline_kernelINS0_13select_configILj256ELj13ELNS0_17block_load_methodE3ELS4_3ELS4_3ELNS0_20block_scan_algorithmE0ELj4294967295EEENS1_25partition_config_selectorILNS1_17partition_subalgoE3EjNS0_10empty_typeEbEEZZNS1_14partition_implILS8_3ELb0ES6_jNS0_17counting_iteratorIjlEEPS9_SE_NS0_5tupleIJPjSE_EEENSF_IJSE_SE_EEES9_SG_JZNS1_25segmented_radix_sort_implINS0_14default_configELb1EPKiPiPKlPlN2at6native12_GLOBAL__N_18offset_tEEE10hipError_tPvRmT1_PNSt15iterator_traitsISY_E10value_typeET2_T3_PNSZ_IS14_E10value_typeET4_jRbjT5_S1A_jjP12ihipStream_tbEUljE_EEESV_SW_SX_S14_S18_S1A_T6_T7_T9_mT8_S1C_bDpT10_ENKUlT_T0_E_clISt17integral_constantIbLb0EES1O_IbLb1EEEEDaS1K_S1L_EUlS1K_E_NS1_11comp_targetILNS1_3genE2ELNS1_11target_archE906ELNS1_3gpuE6ELNS1_3repE0EEENS1_30default_config_static_selectorELNS0_4arch9wavefront6targetE0EEEvSY_,@function
_ZN7rocprim17ROCPRIM_400000_NS6detail17trampoline_kernelINS0_13select_configILj256ELj13ELNS0_17block_load_methodE3ELS4_3ELS4_3ELNS0_20block_scan_algorithmE0ELj4294967295EEENS1_25partition_config_selectorILNS1_17partition_subalgoE3EjNS0_10empty_typeEbEEZZNS1_14partition_implILS8_3ELb0ES6_jNS0_17counting_iteratorIjlEEPS9_SE_NS0_5tupleIJPjSE_EEENSF_IJSE_SE_EEES9_SG_JZNS1_25segmented_radix_sort_implINS0_14default_configELb1EPKiPiPKlPlN2at6native12_GLOBAL__N_18offset_tEEE10hipError_tPvRmT1_PNSt15iterator_traitsISY_E10value_typeET2_T3_PNSZ_IS14_E10value_typeET4_jRbjT5_S1A_jjP12ihipStream_tbEUljE_EEESV_SW_SX_S14_S18_S1A_T6_T7_T9_mT8_S1C_bDpT10_ENKUlT_T0_E_clISt17integral_constantIbLb0EES1O_IbLb1EEEEDaS1K_S1L_EUlS1K_E_NS1_11comp_targetILNS1_3genE2ELNS1_11target_archE906ELNS1_3gpuE6ELNS1_3repE0EEENS1_30default_config_static_selectorELNS0_4arch9wavefront6targetE0EEEvSY_: ; @_ZN7rocprim17ROCPRIM_400000_NS6detail17trampoline_kernelINS0_13select_configILj256ELj13ELNS0_17block_load_methodE3ELS4_3ELS4_3ELNS0_20block_scan_algorithmE0ELj4294967295EEENS1_25partition_config_selectorILNS1_17partition_subalgoE3EjNS0_10empty_typeEbEEZZNS1_14partition_implILS8_3ELb0ES6_jNS0_17counting_iteratorIjlEEPS9_SE_NS0_5tupleIJPjSE_EEENSF_IJSE_SE_EEES9_SG_JZNS1_25segmented_radix_sort_implINS0_14default_configELb1EPKiPiPKlPlN2at6native12_GLOBAL__N_18offset_tEEE10hipError_tPvRmT1_PNSt15iterator_traitsISY_E10value_typeET2_T3_PNSZ_IS14_E10value_typeET4_jRbjT5_S1A_jjP12ihipStream_tbEUljE_EEESV_SW_SX_S14_S18_S1A_T6_T7_T9_mT8_S1C_bDpT10_ENKUlT_T0_E_clISt17integral_constantIbLb0EES1O_IbLb1EEEEDaS1K_S1L_EUlS1K_E_NS1_11comp_targetILNS1_3genE2ELNS1_11target_archE906ELNS1_3gpuE6ELNS1_3repE0EEENS1_30default_config_static_selectorELNS0_4arch9wavefront6targetE0EEEvSY_
; %bb.0:
	.section	.rodata,"a",@progbits
	.p2align	6, 0x0
	.amdhsa_kernel _ZN7rocprim17ROCPRIM_400000_NS6detail17trampoline_kernelINS0_13select_configILj256ELj13ELNS0_17block_load_methodE3ELS4_3ELS4_3ELNS0_20block_scan_algorithmE0ELj4294967295EEENS1_25partition_config_selectorILNS1_17partition_subalgoE3EjNS0_10empty_typeEbEEZZNS1_14partition_implILS8_3ELb0ES6_jNS0_17counting_iteratorIjlEEPS9_SE_NS0_5tupleIJPjSE_EEENSF_IJSE_SE_EEES9_SG_JZNS1_25segmented_radix_sort_implINS0_14default_configELb1EPKiPiPKlPlN2at6native12_GLOBAL__N_18offset_tEEE10hipError_tPvRmT1_PNSt15iterator_traitsISY_E10value_typeET2_T3_PNSZ_IS14_E10value_typeET4_jRbjT5_S1A_jjP12ihipStream_tbEUljE_EEESV_SW_SX_S14_S18_S1A_T6_T7_T9_mT8_S1C_bDpT10_ENKUlT_T0_E_clISt17integral_constantIbLb0EES1O_IbLb1EEEEDaS1K_S1L_EUlS1K_E_NS1_11comp_targetILNS1_3genE2ELNS1_11target_archE906ELNS1_3gpuE6ELNS1_3repE0EEENS1_30default_config_static_selectorELNS0_4arch9wavefront6targetE0EEEvSY_
		.amdhsa_group_segment_fixed_size 0
		.amdhsa_private_segment_fixed_size 0
		.amdhsa_kernarg_size 152
		.amdhsa_user_sgpr_count 6
		.amdhsa_user_sgpr_private_segment_buffer 1
		.amdhsa_user_sgpr_dispatch_ptr 0
		.amdhsa_user_sgpr_queue_ptr 0
		.amdhsa_user_sgpr_kernarg_segment_ptr 1
		.amdhsa_user_sgpr_dispatch_id 0
		.amdhsa_user_sgpr_flat_scratch_init 0
		.amdhsa_user_sgpr_private_segment_size 0
		.amdhsa_wavefront_size32 1
		.amdhsa_uses_dynamic_stack 0
		.amdhsa_system_sgpr_private_segment_wavefront_offset 0
		.amdhsa_system_sgpr_workgroup_id_x 1
		.amdhsa_system_sgpr_workgroup_id_y 0
		.amdhsa_system_sgpr_workgroup_id_z 0
		.amdhsa_system_sgpr_workgroup_info 0
		.amdhsa_system_vgpr_workitem_id 0
		.amdhsa_next_free_vgpr 1
		.amdhsa_next_free_sgpr 1
		.amdhsa_reserve_vcc 0
		.amdhsa_reserve_flat_scratch 0
		.amdhsa_float_round_mode_32 0
		.amdhsa_float_round_mode_16_64 0
		.amdhsa_float_denorm_mode_32 3
		.amdhsa_float_denorm_mode_16_64 3
		.amdhsa_dx10_clamp 1
		.amdhsa_ieee_mode 1
		.amdhsa_fp16_overflow 0
		.amdhsa_workgroup_processor_mode 1
		.amdhsa_memory_ordered 1
		.amdhsa_forward_progress 1
		.amdhsa_shared_vgpr_count 0
		.amdhsa_exception_fp_ieee_invalid_op 0
		.amdhsa_exception_fp_denorm_src 0
		.amdhsa_exception_fp_ieee_div_zero 0
		.amdhsa_exception_fp_ieee_overflow 0
		.amdhsa_exception_fp_ieee_underflow 0
		.amdhsa_exception_fp_ieee_inexact 0
		.amdhsa_exception_int_div_zero 0
	.end_amdhsa_kernel
	.section	.text._ZN7rocprim17ROCPRIM_400000_NS6detail17trampoline_kernelINS0_13select_configILj256ELj13ELNS0_17block_load_methodE3ELS4_3ELS4_3ELNS0_20block_scan_algorithmE0ELj4294967295EEENS1_25partition_config_selectorILNS1_17partition_subalgoE3EjNS0_10empty_typeEbEEZZNS1_14partition_implILS8_3ELb0ES6_jNS0_17counting_iteratorIjlEEPS9_SE_NS0_5tupleIJPjSE_EEENSF_IJSE_SE_EEES9_SG_JZNS1_25segmented_radix_sort_implINS0_14default_configELb1EPKiPiPKlPlN2at6native12_GLOBAL__N_18offset_tEEE10hipError_tPvRmT1_PNSt15iterator_traitsISY_E10value_typeET2_T3_PNSZ_IS14_E10value_typeET4_jRbjT5_S1A_jjP12ihipStream_tbEUljE_EEESV_SW_SX_S14_S18_S1A_T6_T7_T9_mT8_S1C_bDpT10_ENKUlT_T0_E_clISt17integral_constantIbLb0EES1O_IbLb1EEEEDaS1K_S1L_EUlS1K_E_NS1_11comp_targetILNS1_3genE2ELNS1_11target_archE906ELNS1_3gpuE6ELNS1_3repE0EEENS1_30default_config_static_selectorELNS0_4arch9wavefront6targetE0EEEvSY_,"axG",@progbits,_ZN7rocprim17ROCPRIM_400000_NS6detail17trampoline_kernelINS0_13select_configILj256ELj13ELNS0_17block_load_methodE3ELS4_3ELS4_3ELNS0_20block_scan_algorithmE0ELj4294967295EEENS1_25partition_config_selectorILNS1_17partition_subalgoE3EjNS0_10empty_typeEbEEZZNS1_14partition_implILS8_3ELb0ES6_jNS0_17counting_iteratorIjlEEPS9_SE_NS0_5tupleIJPjSE_EEENSF_IJSE_SE_EEES9_SG_JZNS1_25segmented_radix_sort_implINS0_14default_configELb1EPKiPiPKlPlN2at6native12_GLOBAL__N_18offset_tEEE10hipError_tPvRmT1_PNSt15iterator_traitsISY_E10value_typeET2_T3_PNSZ_IS14_E10value_typeET4_jRbjT5_S1A_jjP12ihipStream_tbEUljE_EEESV_SW_SX_S14_S18_S1A_T6_T7_T9_mT8_S1C_bDpT10_ENKUlT_T0_E_clISt17integral_constantIbLb0EES1O_IbLb1EEEEDaS1K_S1L_EUlS1K_E_NS1_11comp_targetILNS1_3genE2ELNS1_11target_archE906ELNS1_3gpuE6ELNS1_3repE0EEENS1_30default_config_static_selectorELNS0_4arch9wavefront6targetE0EEEvSY_,comdat
.Lfunc_end489:
	.size	_ZN7rocprim17ROCPRIM_400000_NS6detail17trampoline_kernelINS0_13select_configILj256ELj13ELNS0_17block_load_methodE3ELS4_3ELS4_3ELNS0_20block_scan_algorithmE0ELj4294967295EEENS1_25partition_config_selectorILNS1_17partition_subalgoE3EjNS0_10empty_typeEbEEZZNS1_14partition_implILS8_3ELb0ES6_jNS0_17counting_iteratorIjlEEPS9_SE_NS0_5tupleIJPjSE_EEENSF_IJSE_SE_EEES9_SG_JZNS1_25segmented_radix_sort_implINS0_14default_configELb1EPKiPiPKlPlN2at6native12_GLOBAL__N_18offset_tEEE10hipError_tPvRmT1_PNSt15iterator_traitsISY_E10value_typeET2_T3_PNSZ_IS14_E10value_typeET4_jRbjT5_S1A_jjP12ihipStream_tbEUljE_EEESV_SW_SX_S14_S18_S1A_T6_T7_T9_mT8_S1C_bDpT10_ENKUlT_T0_E_clISt17integral_constantIbLb0EES1O_IbLb1EEEEDaS1K_S1L_EUlS1K_E_NS1_11comp_targetILNS1_3genE2ELNS1_11target_archE906ELNS1_3gpuE6ELNS1_3repE0EEENS1_30default_config_static_selectorELNS0_4arch9wavefront6targetE0EEEvSY_, .Lfunc_end489-_ZN7rocprim17ROCPRIM_400000_NS6detail17trampoline_kernelINS0_13select_configILj256ELj13ELNS0_17block_load_methodE3ELS4_3ELS4_3ELNS0_20block_scan_algorithmE0ELj4294967295EEENS1_25partition_config_selectorILNS1_17partition_subalgoE3EjNS0_10empty_typeEbEEZZNS1_14partition_implILS8_3ELb0ES6_jNS0_17counting_iteratorIjlEEPS9_SE_NS0_5tupleIJPjSE_EEENSF_IJSE_SE_EEES9_SG_JZNS1_25segmented_radix_sort_implINS0_14default_configELb1EPKiPiPKlPlN2at6native12_GLOBAL__N_18offset_tEEE10hipError_tPvRmT1_PNSt15iterator_traitsISY_E10value_typeET2_T3_PNSZ_IS14_E10value_typeET4_jRbjT5_S1A_jjP12ihipStream_tbEUljE_EEESV_SW_SX_S14_S18_S1A_T6_T7_T9_mT8_S1C_bDpT10_ENKUlT_T0_E_clISt17integral_constantIbLb0EES1O_IbLb1EEEEDaS1K_S1L_EUlS1K_E_NS1_11comp_targetILNS1_3genE2ELNS1_11target_archE906ELNS1_3gpuE6ELNS1_3repE0EEENS1_30default_config_static_selectorELNS0_4arch9wavefront6targetE0EEEvSY_
                                        ; -- End function
	.set _ZN7rocprim17ROCPRIM_400000_NS6detail17trampoline_kernelINS0_13select_configILj256ELj13ELNS0_17block_load_methodE3ELS4_3ELS4_3ELNS0_20block_scan_algorithmE0ELj4294967295EEENS1_25partition_config_selectorILNS1_17partition_subalgoE3EjNS0_10empty_typeEbEEZZNS1_14partition_implILS8_3ELb0ES6_jNS0_17counting_iteratorIjlEEPS9_SE_NS0_5tupleIJPjSE_EEENSF_IJSE_SE_EEES9_SG_JZNS1_25segmented_radix_sort_implINS0_14default_configELb1EPKiPiPKlPlN2at6native12_GLOBAL__N_18offset_tEEE10hipError_tPvRmT1_PNSt15iterator_traitsISY_E10value_typeET2_T3_PNSZ_IS14_E10value_typeET4_jRbjT5_S1A_jjP12ihipStream_tbEUljE_EEESV_SW_SX_S14_S18_S1A_T6_T7_T9_mT8_S1C_bDpT10_ENKUlT_T0_E_clISt17integral_constantIbLb0EES1O_IbLb1EEEEDaS1K_S1L_EUlS1K_E_NS1_11comp_targetILNS1_3genE2ELNS1_11target_archE906ELNS1_3gpuE6ELNS1_3repE0EEENS1_30default_config_static_selectorELNS0_4arch9wavefront6targetE0EEEvSY_.num_vgpr, 0
	.set _ZN7rocprim17ROCPRIM_400000_NS6detail17trampoline_kernelINS0_13select_configILj256ELj13ELNS0_17block_load_methodE3ELS4_3ELS4_3ELNS0_20block_scan_algorithmE0ELj4294967295EEENS1_25partition_config_selectorILNS1_17partition_subalgoE3EjNS0_10empty_typeEbEEZZNS1_14partition_implILS8_3ELb0ES6_jNS0_17counting_iteratorIjlEEPS9_SE_NS0_5tupleIJPjSE_EEENSF_IJSE_SE_EEES9_SG_JZNS1_25segmented_radix_sort_implINS0_14default_configELb1EPKiPiPKlPlN2at6native12_GLOBAL__N_18offset_tEEE10hipError_tPvRmT1_PNSt15iterator_traitsISY_E10value_typeET2_T3_PNSZ_IS14_E10value_typeET4_jRbjT5_S1A_jjP12ihipStream_tbEUljE_EEESV_SW_SX_S14_S18_S1A_T6_T7_T9_mT8_S1C_bDpT10_ENKUlT_T0_E_clISt17integral_constantIbLb0EES1O_IbLb1EEEEDaS1K_S1L_EUlS1K_E_NS1_11comp_targetILNS1_3genE2ELNS1_11target_archE906ELNS1_3gpuE6ELNS1_3repE0EEENS1_30default_config_static_selectorELNS0_4arch9wavefront6targetE0EEEvSY_.num_agpr, 0
	.set _ZN7rocprim17ROCPRIM_400000_NS6detail17trampoline_kernelINS0_13select_configILj256ELj13ELNS0_17block_load_methodE3ELS4_3ELS4_3ELNS0_20block_scan_algorithmE0ELj4294967295EEENS1_25partition_config_selectorILNS1_17partition_subalgoE3EjNS0_10empty_typeEbEEZZNS1_14partition_implILS8_3ELb0ES6_jNS0_17counting_iteratorIjlEEPS9_SE_NS0_5tupleIJPjSE_EEENSF_IJSE_SE_EEES9_SG_JZNS1_25segmented_radix_sort_implINS0_14default_configELb1EPKiPiPKlPlN2at6native12_GLOBAL__N_18offset_tEEE10hipError_tPvRmT1_PNSt15iterator_traitsISY_E10value_typeET2_T3_PNSZ_IS14_E10value_typeET4_jRbjT5_S1A_jjP12ihipStream_tbEUljE_EEESV_SW_SX_S14_S18_S1A_T6_T7_T9_mT8_S1C_bDpT10_ENKUlT_T0_E_clISt17integral_constantIbLb0EES1O_IbLb1EEEEDaS1K_S1L_EUlS1K_E_NS1_11comp_targetILNS1_3genE2ELNS1_11target_archE906ELNS1_3gpuE6ELNS1_3repE0EEENS1_30default_config_static_selectorELNS0_4arch9wavefront6targetE0EEEvSY_.numbered_sgpr, 0
	.set _ZN7rocprim17ROCPRIM_400000_NS6detail17trampoline_kernelINS0_13select_configILj256ELj13ELNS0_17block_load_methodE3ELS4_3ELS4_3ELNS0_20block_scan_algorithmE0ELj4294967295EEENS1_25partition_config_selectorILNS1_17partition_subalgoE3EjNS0_10empty_typeEbEEZZNS1_14partition_implILS8_3ELb0ES6_jNS0_17counting_iteratorIjlEEPS9_SE_NS0_5tupleIJPjSE_EEENSF_IJSE_SE_EEES9_SG_JZNS1_25segmented_radix_sort_implINS0_14default_configELb1EPKiPiPKlPlN2at6native12_GLOBAL__N_18offset_tEEE10hipError_tPvRmT1_PNSt15iterator_traitsISY_E10value_typeET2_T3_PNSZ_IS14_E10value_typeET4_jRbjT5_S1A_jjP12ihipStream_tbEUljE_EEESV_SW_SX_S14_S18_S1A_T6_T7_T9_mT8_S1C_bDpT10_ENKUlT_T0_E_clISt17integral_constantIbLb0EES1O_IbLb1EEEEDaS1K_S1L_EUlS1K_E_NS1_11comp_targetILNS1_3genE2ELNS1_11target_archE906ELNS1_3gpuE6ELNS1_3repE0EEENS1_30default_config_static_selectorELNS0_4arch9wavefront6targetE0EEEvSY_.num_named_barrier, 0
	.set _ZN7rocprim17ROCPRIM_400000_NS6detail17trampoline_kernelINS0_13select_configILj256ELj13ELNS0_17block_load_methodE3ELS4_3ELS4_3ELNS0_20block_scan_algorithmE0ELj4294967295EEENS1_25partition_config_selectorILNS1_17partition_subalgoE3EjNS0_10empty_typeEbEEZZNS1_14partition_implILS8_3ELb0ES6_jNS0_17counting_iteratorIjlEEPS9_SE_NS0_5tupleIJPjSE_EEENSF_IJSE_SE_EEES9_SG_JZNS1_25segmented_radix_sort_implINS0_14default_configELb1EPKiPiPKlPlN2at6native12_GLOBAL__N_18offset_tEEE10hipError_tPvRmT1_PNSt15iterator_traitsISY_E10value_typeET2_T3_PNSZ_IS14_E10value_typeET4_jRbjT5_S1A_jjP12ihipStream_tbEUljE_EEESV_SW_SX_S14_S18_S1A_T6_T7_T9_mT8_S1C_bDpT10_ENKUlT_T0_E_clISt17integral_constantIbLb0EES1O_IbLb1EEEEDaS1K_S1L_EUlS1K_E_NS1_11comp_targetILNS1_3genE2ELNS1_11target_archE906ELNS1_3gpuE6ELNS1_3repE0EEENS1_30default_config_static_selectorELNS0_4arch9wavefront6targetE0EEEvSY_.private_seg_size, 0
	.set _ZN7rocprim17ROCPRIM_400000_NS6detail17trampoline_kernelINS0_13select_configILj256ELj13ELNS0_17block_load_methodE3ELS4_3ELS4_3ELNS0_20block_scan_algorithmE0ELj4294967295EEENS1_25partition_config_selectorILNS1_17partition_subalgoE3EjNS0_10empty_typeEbEEZZNS1_14partition_implILS8_3ELb0ES6_jNS0_17counting_iteratorIjlEEPS9_SE_NS0_5tupleIJPjSE_EEENSF_IJSE_SE_EEES9_SG_JZNS1_25segmented_radix_sort_implINS0_14default_configELb1EPKiPiPKlPlN2at6native12_GLOBAL__N_18offset_tEEE10hipError_tPvRmT1_PNSt15iterator_traitsISY_E10value_typeET2_T3_PNSZ_IS14_E10value_typeET4_jRbjT5_S1A_jjP12ihipStream_tbEUljE_EEESV_SW_SX_S14_S18_S1A_T6_T7_T9_mT8_S1C_bDpT10_ENKUlT_T0_E_clISt17integral_constantIbLb0EES1O_IbLb1EEEEDaS1K_S1L_EUlS1K_E_NS1_11comp_targetILNS1_3genE2ELNS1_11target_archE906ELNS1_3gpuE6ELNS1_3repE0EEENS1_30default_config_static_selectorELNS0_4arch9wavefront6targetE0EEEvSY_.uses_vcc, 0
	.set _ZN7rocprim17ROCPRIM_400000_NS6detail17trampoline_kernelINS0_13select_configILj256ELj13ELNS0_17block_load_methodE3ELS4_3ELS4_3ELNS0_20block_scan_algorithmE0ELj4294967295EEENS1_25partition_config_selectorILNS1_17partition_subalgoE3EjNS0_10empty_typeEbEEZZNS1_14partition_implILS8_3ELb0ES6_jNS0_17counting_iteratorIjlEEPS9_SE_NS0_5tupleIJPjSE_EEENSF_IJSE_SE_EEES9_SG_JZNS1_25segmented_radix_sort_implINS0_14default_configELb1EPKiPiPKlPlN2at6native12_GLOBAL__N_18offset_tEEE10hipError_tPvRmT1_PNSt15iterator_traitsISY_E10value_typeET2_T3_PNSZ_IS14_E10value_typeET4_jRbjT5_S1A_jjP12ihipStream_tbEUljE_EEESV_SW_SX_S14_S18_S1A_T6_T7_T9_mT8_S1C_bDpT10_ENKUlT_T0_E_clISt17integral_constantIbLb0EES1O_IbLb1EEEEDaS1K_S1L_EUlS1K_E_NS1_11comp_targetILNS1_3genE2ELNS1_11target_archE906ELNS1_3gpuE6ELNS1_3repE0EEENS1_30default_config_static_selectorELNS0_4arch9wavefront6targetE0EEEvSY_.uses_flat_scratch, 0
	.set _ZN7rocprim17ROCPRIM_400000_NS6detail17trampoline_kernelINS0_13select_configILj256ELj13ELNS0_17block_load_methodE3ELS4_3ELS4_3ELNS0_20block_scan_algorithmE0ELj4294967295EEENS1_25partition_config_selectorILNS1_17partition_subalgoE3EjNS0_10empty_typeEbEEZZNS1_14partition_implILS8_3ELb0ES6_jNS0_17counting_iteratorIjlEEPS9_SE_NS0_5tupleIJPjSE_EEENSF_IJSE_SE_EEES9_SG_JZNS1_25segmented_radix_sort_implINS0_14default_configELb1EPKiPiPKlPlN2at6native12_GLOBAL__N_18offset_tEEE10hipError_tPvRmT1_PNSt15iterator_traitsISY_E10value_typeET2_T3_PNSZ_IS14_E10value_typeET4_jRbjT5_S1A_jjP12ihipStream_tbEUljE_EEESV_SW_SX_S14_S18_S1A_T6_T7_T9_mT8_S1C_bDpT10_ENKUlT_T0_E_clISt17integral_constantIbLb0EES1O_IbLb1EEEEDaS1K_S1L_EUlS1K_E_NS1_11comp_targetILNS1_3genE2ELNS1_11target_archE906ELNS1_3gpuE6ELNS1_3repE0EEENS1_30default_config_static_selectorELNS0_4arch9wavefront6targetE0EEEvSY_.has_dyn_sized_stack, 0
	.set _ZN7rocprim17ROCPRIM_400000_NS6detail17trampoline_kernelINS0_13select_configILj256ELj13ELNS0_17block_load_methodE3ELS4_3ELS4_3ELNS0_20block_scan_algorithmE0ELj4294967295EEENS1_25partition_config_selectorILNS1_17partition_subalgoE3EjNS0_10empty_typeEbEEZZNS1_14partition_implILS8_3ELb0ES6_jNS0_17counting_iteratorIjlEEPS9_SE_NS0_5tupleIJPjSE_EEENSF_IJSE_SE_EEES9_SG_JZNS1_25segmented_radix_sort_implINS0_14default_configELb1EPKiPiPKlPlN2at6native12_GLOBAL__N_18offset_tEEE10hipError_tPvRmT1_PNSt15iterator_traitsISY_E10value_typeET2_T3_PNSZ_IS14_E10value_typeET4_jRbjT5_S1A_jjP12ihipStream_tbEUljE_EEESV_SW_SX_S14_S18_S1A_T6_T7_T9_mT8_S1C_bDpT10_ENKUlT_T0_E_clISt17integral_constantIbLb0EES1O_IbLb1EEEEDaS1K_S1L_EUlS1K_E_NS1_11comp_targetILNS1_3genE2ELNS1_11target_archE906ELNS1_3gpuE6ELNS1_3repE0EEENS1_30default_config_static_selectorELNS0_4arch9wavefront6targetE0EEEvSY_.has_recursion, 0
	.set _ZN7rocprim17ROCPRIM_400000_NS6detail17trampoline_kernelINS0_13select_configILj256ELj13ELNS0_17block_load_methodE3ELS4_3ELS4_3ELNS0_20block_scan_algorithmE0ELj4294967295EEENS1_25partition_config_selectorILNS1_17partition_subalgoE3EjNS0_10empty_typeEbEEZZNS1_14partition_implILS8_3ELb0ES6_jNS0_17counting_iteratorIjlEEPS9_SE_NS0_5tupleIJPjSE_EEENSF_IJSE_SE_EEES9_SG_JZNS1_25segmented_radix_sort_implINS0_14default_configELb1EPKiPiPKlPlN2at6native12_GLOBAL__N_18offset_tEEE10hipError_tPvRmT1_PNSt15iterator_traitsISY_E10value_typeET2_T3_PNSZ_IS14_E10value_typeET4_jRbjT5_S1A_jjP12ihipStream_tbEUljE_EEESV_SW_SX_S14_S18_S1A_T6_T7_T9_mT8_S1C_bDpT10_ENKUlT_T0_E_clISt17integral_constantIbLb0EES1O_IbLb1EEEEDaS1K_S1L_EUlS1K_E_NS1_11comp_targetILNS1_3genE2ELNS1_11target_archE906ELNS1_3gpuE6ELNS1_3repE0EEENS1_30default_config_static_selectorELNS0_4arch9wavefront6targetE0EEEvSY_.has_indirect_call, 0
	.section	.AMDGPU.csdata,"",@progbits
; Kernel info:
; codeLenInByte = 0
; TotalNumSgprs: 0
; NumVgprs: 0
; ScratchSize: 0
; MemoryBound: 0
; FloatMode: 240
; IeeeMode: 1
; LDSByteSize: 0 bytes/workgroup (compile time only)
; SGPRBlocks: 0
; VGPRBlocks: 0
; NumSGPRsForWavesPerEU: 1
; NumVGPRsForWavesPerEU: 1
; Occupancy: 16
; WaveLimiterHint : 0
; COMPUTE_PGM_RSRC2:SCRATCH_EN: 0
; COMPUTE_PGM_RSRC2:USER_SGPR: 6
; COMPUTE_PGM_RSRC2:TRAP_HANDLER: 0
; COMPUTE_PGM_RSRC2:TGID_X_EN: 1
; COMPUTE_PGM_RSRC2:TGID_Y_EN: 0
; COMPUTE_PGM_RSRC2:TGID_Z_EN: 0
; COMPUTE_PGM_RSRC2:TIDIG_COMP_CNT: 0
	.section	.text._ZN7rocprim17ROCPRIM_400000_NS6detail17trampoline_kernelINS0_13select_configILj256ELj13ELNS0_17block_load_methodE3ELS4_3ELS4_3ELNS0_20block_scan_algorithmE0ELj4294967295EEENS1_25partition_config_selectorILNS1_17partition_subalgoE3EjNS0_10empty_typeEbEEZZNS1_14partition_implILS8_3ELb0ES6_jNS0_17counting_iteratorIjlEEPS9_SE_NS0_5tupleIJPjSE_EEENSF_IJSE_SE_EEES9_SG_JZNS1_25segmented_radix_sort_implINS0_14default_configELb1EPKiPiPKlPlN2at6native12_GLOBAL__N_18offset_tEEE10hipError_tPvRmT1_PNSt15iterator_traitsISY_E10value_typeET2_T3_PNSZ_IS14_E10value_typeET4_jRbjT5_S1A_jjP12ihipStream_tbEUljE_EEESV_SW_SX_S14_S18_S1A_T6_T7_T9_mT8_S1C_bDpT10_ENKUlT_T0_E_clISt17integral_constantIbLb0EES1O_IbLb1EEEEDaS1K_S1L_EUlS1K_E_NS1_11comp_targetILNS1_3genE10ELNS1_11target_archE1200ELNS1_3gpuE4ELNS1_3repE0EEENS1_30default_config_static_selectorELNS0_4arch9wavefront6targetE0EEEvSY_,"axG",@progbits,_ZN7rocprim17ROCPRIM_400000_NS6detail17trampoline_kernelINS0_13select_configILj256ELj13ELNS0_17block_load_methodE3ELS4_3ELS4_3ELNS0_20block_scan_algorithmE0ELj4294967295EEENS1_25partition_config_selectorILNS1_17partition_subalgoE3EjNS0_10empty_typeEbEEZZNS1_14partition_implILS8_3ELb0ES6_jNS0_17counting_iteratorIjlEEPS9_SE_NS0_5tupleIJPjSE_EEENSF_IJSE_SE_EEES9_SG_JZNS1_25segmented_radix_sort_implINS0_14default_configELb1EPKiPiPKlPlN2at6native12_GLOBAL__N_18offset_tEEE10hipError_tPvRmT1_PNSt15iterator_traitsISY_E10value_typeET2_T3_PNSZ_IS14_E10value_typeET4_jRbjT5_S1A_jjP12ihipStream_tbEUljE_EEESV_SW_SX_S14_S18_S1A_T6_T7_T9_mT8_S1C_bDpT10_ENKUlT_T0_E_clISt17integral_constantIbLb0EES1O_IbLb1EEEEDaS1K_S1L_EUlS1K_E_NS1_11comp_targetILNS1_3genE10ELNS1_11target_archE1200ELNS1_3gpuE4ELNS1_3repE0EEENS1_30default_config_static_selectorELNS0_4arch9wavefront6targetE0EEEvSY_,comdat
	.globl	_ZN7rocprim17ROCPRIM_400000_NS6detail17trampoline_kernelINS0_13select_configILj256ELj13ELNS0_17block_load_methodE3ELS4_3ELS4_3ELNS0_20block_scan_algorithmE0ELj4294967295EEENS1_25partition_config_selectorILNS1_17partition_subalgoE3EjNS0_10empty_typeEbEEZZNS1_14partition_implILS8_3ELb0ES6_jNS0_17counting_iteratorIjlEEPS9_SE_NS0_5tupleIJPjSE_EEENSF_IJSE_SE_EEES9_SG_JZNS1_25segmented_radix_sort_implINS0_14default_configELb1EPKiPiPKlPlN2at6native12_GLOBAL__N_18offset_tEEE10hipError_tPvRmT1_PNSt15iterator_traitsISY_E10value_typeET2_T3_PNSZ_IS14_E10value_typeET4_jRbjT5_S1A_jjP12ihipStream_tbEUljE_EEESV_SW_SX_S14_S18_S1A_T6_T7_T9_mT8_S1C_bDpT10_ENKUlT_T0_E_clISt17integral_constantIbLb0EES1O_IbLb1EEEEDaS1K_S1L_EUlS1K_E_NS1_11comp_targetILNS1_3genE10ELNS1_11target_archE1200ELNS1_3gpuE4ELNS1_3repE0EEENS1_30default_config_static_selectorELNS0_4arch9wavefront6targetE0EEEvSY_ ; -- Begin function _ZN7rocprim17ROCPRIM_400000_NS6detail17trampoline_kernelINS0_13select_configILj256ELj13ELNS0_17block_load_methodE3ELS4_3ELS4_3ELNS0_20block_scan_algorithmE0ELj4294967295EEENS1_25partition_config_selectorILNS1_17partition_subalgoE3EjNS0_10empty_typeEbEEZZNS1_14partition_implILS8_3ELb0ES6_jNS0_17counting_iteratorIjlEEPS9_SE_NS0_5tupleIJPjSE_EEENSF_IJSE_SE_EEES9_SG_JZNS1_25segmented_radix_sort_implINS0_14default_configELb1EPKiPiPKlPlN2at6native12_GLOBAL__N_18offset_tEEE10hipError_tPvRmT1_PNSt15iterator_traitsISY_E10value_typeET2_T3_PNSZ_IS14_E10value_typeET4_jRbjT5_S1A_jjP12ihipStream_tbEUljE_EEESV_SW_SX_S14_S18_S1A_T6_T7_T9_mT8_S1C_bDpT10_ENKUlT_T0_E_clISt17integral_constantIbLb0EES1O_IbLb1EEEEDaS1K_S1L_EUlS1K_E_NS1_11comp_targetILNS1_3genE10ELNS1_11target_archE1200ELNS1_3gpuE4ELNS1_3repE0EEENS1_30default_config_static_selectorELNS0_4arch9wavefront6targetE0EEEvSY_
	.p2align	8
	.type	_ZN7rocprim17ROCPRIM_400000_NS6detail17trampoline_kernelINS0_13select_configILj256ELj13ELNS0_17block_load_methodE3ELS4_3ELS4_3ELNS0_20block_scan_algorithmE0ELj4294967295EEENS1_25partition_config_selectorILNS1_17partition_subalgoE3EjNS0_10empty_typeEbEEZZNS1_14partition_implILS8_3ELb0ES6_jNS0_17counting_iteratorIjlEEPS9_SE_NS0_5tupleIJPjSE_EEENSF_IJSE_SE_EEES9_SG_JZNS1_25segmented_radix_sort_implINS0_14default_configELb1EPKiPiPKlPlN2at6native12_GLOBAL__N_18offset_tEEE10hipError_tPvRmT1_PNSt15iterator_traitsISY_E10value_typeET2_T3_PNSZ_IS14_E10value_typeET4_jRbjT5_S1A_jjP12ihipStream_tbEUljE_EEESV_SW_SX_S14_S18_S1A_T6_T7_T9_mT8_S1C_bDpT10_ENKUlT_T0_E_clISt17integral_constantIbLb0EES1O_IbLb1EEEEDaS1K_S1L_EUlS1K_E_NS1_11comp_targetILNS1_3genE10ELNS1_11target_archE1200ELNS1_3gpuE4ELNS1_3repE0EEENS1_30default_config_static_selectorELNS0_4arch9wavefront6targetE0EEEvSY_,@function
_ZN7rocprim17ROCPRIM_400000_NS6detail17trampoline_kernelINS0_13select_configILj256ELj13ELNS0_17block_load_methodE3ELS4_3ELS4_3ELNS0_20block_scan_algorithmE0ELj4294967295EEENS1_25partition_config_selectorILNS1_17partition_subalgoE3EjNS0_10empty_typeEbEEZZNS1_14partition_implILS8_3ELb0ES6_jNS0_17counting_iteratorIjlEEPS9_SE_NS0_5tupleIJPjSE_EEENSF_IJSE_SE_EEES9_SG_JZNS1_25segmented_radix_sort_implINS0_14default_configELb1EPKiPiPKlPlN2at6native12_GLOBAL__N_18offset_tEEE10hipError_tPvRmT1_PNSt15iterator_traitsISY_E10value_typeET2_T3_PNSZ_IS14_E10value_typeET4_jRbjT5_S1A_jjP12ihipStream_tbEUljE_EEESV_SW_SX_S14_S18_S1A_T6_T7_T9_mT8_S1C_bDpT10_ENKUlT_T0_E_clISt17integral_constantIbLb0EES1O_IbLb1EEEEDaS1K_S1L_EUlS1K_E_NS1_11comp_targetILNS1_3genE10ELNS1_11target_archE1200ELNS1_3gpuE4ELNS1_3repE0EEENS1_30default_config_static_selectorELNS0_4arch9wavefront6targetE0EEEvSY_: ; @_ZN7rocprim17ROCPRIM_400000_NS6detail17trampoline_kernelINS0_13select_configILj256ELj13ELNS0_17block_load_methodE3ELS4_3ELS4_3ELNS0_20block_scan_algorithmE0ELj4294967295EEENS1_25partition_config_selectorILNS1_17partition_subalgoE3EjNS0_10empty_typeEbEEZZNS1_14partition_implILS8_3ELb0ES6_jNS0_17counting_iteratorIjlEEPS9_SE_NS0_5tupleIJPjSE_EEENSF_IJSE_SE_EEES9_SG_JZNS1_25segmented_radix_sort_implINS0_14default_configELb1EPKiPiPKlPlN2at6native12_GLOBAL__N_18offset_tEEE10hipError_tPvRmT1_PNSt15iterator_traitsISY_E10value_typeET2_T3_PNSZ_IS14_E10value_typeET4_jRbjT5_S1A_jjP12ihipStream_tbEUljE_EEESV_SW_SX_S14_S18_S1A_T6_T7_T9_mT8_S1C_bDpT10_ENKUlT_T0_E_clISt17integral_constantIbLb0EES1O_IbLb1EEEEDaS1K_S1L_EUlS1K_E_NS1_11comp_targetILNS1_3genE10ELNS1_11target_archE1200ELNS1_3gpuE4ELNS1_3repE0EEENS1_30default_config_static_selectorELNS0_4arch9wavefront6targetE0EEEvSY_
; %bb.0:
	.section	.rodata,"a",@progbits
	.p2align	6, 0x0
	.amdhsa_kernel _ZN7rocprim17ROCPRIM_400000_NS6detail17trampoline_kernelINS0_13select_configILj256ELj13ELNS0_17block_load_methodE3ELS4_3ELS4_3ELNS0_20block_scan_algorithmE0ELj4294967295EEENS1_25partition_config_selectorILNS1_17partition_subalgoE3EjNS0_10empty_typeEbEEZZNS1_14partition_implILS8_3ELb0ES6_jNS0_17counting_iteratorIjlEEPS9_SE_NS0_5tupleIJPjSE_EEENSF_IJSE_SE_EEES9_SG_JZNS1_25segmented_radix_sort_implINS0_14default_configELb1EPKiPiPKlPlN2at6native12_GLOBAL__N_18offset_tEEE10hipError_tPvRmT1_PNSt15iterator_traitsISY_E10value_typeET2_T3_PNSZ_IS14_E10value_typeET4_jRbjT5_S1A_jjP12ihipStream_tbEUljE_EEESV_SW_SX_S14_S18_S1A_T6_T7_T9_mT8_S1C_bDpT10_ENKUlT_T0_E_clISt17integral_constantIbLb0EES1O_IbLb1EEEEDaS1K_S1L_EUlS1K_E_NS1_11comp_targetILNS1_3genE10ELNS1_11target_archE1200ELNS1_3gpuE4ELNS1_3repE0EEENS1_30default_config_static_selectorELNS0_4arch9wavefront6targetE0EEEvSY_
		.amdhsa_group_segment_fixed_size 0
		.amdhsa_private_segment_fixed_size 0
		.amdhsa_kernarg_size 152
		.amdhsa_user_sgpr_count 6
		.amdhsa_user_sgpr_private_segment_buffer 1
		.amdhsa_user_sgpr_dispatch_ptr 0
		.amdhsa_user_sgpr_queue_ptr 0
		.amdhsa_user_sgpr_kernarg_segment_ptr 1
		.amdhsa_user_sgpr_dispatch_id 0
		.amdhsa_user_sgpr_flat_scratch_init 0
		.amdhsa_user_sgpr_private_segment_size 0
		.amdhsa_wavefront_size32 1
		.amdhsa_uses_dynamic_stack 0
		.amdhsa_system_sgpr_private_segment_wavefront_offset 0
		.amdhsa_system_sgpr_workgroup_id_x 1
		.amdhsa_system_sgpr_workgroup_id_y 0
		.amdhsa_system_sgpr_workgroup_id_z 0
		.amdhsa_system_sgpr_workgroup_info 0
		.amdhsa_system_vgpr_workitem_id 0
		.amdhsa_next_free_vgpr 1
		.amdhsa_next_free_sgpr 1
		.amdhsa_reserve_vcc 0
		.amdhsa_reserve_flat_scratch 0
		.amdhsa_float_round_mode_32 0
		.amdhsa_float_round_mode_16_64 0
		.amdhsa_float_denorm_mode_32 3
		.amdhsa_float_denorm_mode_16_64 3
		.amdhsa_dx10_clamp 1
		.amdhsa_ieee_mode 1
		.amdhsa_fp16_overflow 0
		.amdhsa_workgroup_processor_mode 1
		.amdhsa_memory_ordered 1
		.amdhsa_forward_progress 1
		.amdhsa_shared_vgpr_count 0
		.amdhsa_exception_fp_ieee_invalid_op 0
		.amdhsa_exception_fp_denorm_src 0
		.amdhsa_exception_fp_ieee_div_zero 0
		.amdhsa_exception_fp_ieee_overflow 0
		.amdhsa_exception_fp_ieee_underflow 0
		.amdhsa_exception_fp_ieee_inexact 0
		.amdhsa_exception_int_div_zero 0
	.end_amdhsa_kernel
	.section	.text._ZN7rocprim17ROCPRIM_400000_NS6detail17trampoline_kernelINS0_13select_configILj256ELj13ELNS0_17block_load_methodE3ELS4_3ELS4_3ELNS0_20block_scan_algorithmE0ELj4294967295EEENS1_25partition_config_selectorILNS1_17partition_subalgoE3EjNS0_10empty_typeEbEEZZNS1_14partition_implILS8_3ELb0ES6_jNS0_17counting_iteratorIjlEEPS9_SE_NS0_5tupleIJPjSE_EEENSF_IJSE_SE_EEES9_SG_JZNS1_25segmented_radix_sort_implINS0_14default_configELb1EPKiPiPKlPlN2at6native12_GLOBAL__N_18offset_tEEE10hipError_tPvRmT1_PNSt15iterator_traitsISY_E10value_typeET2_T3_PNSZ_IS14_E10value_typeET4_jRbjT5_S1A_jjP12ihipStream_tbEUljE_EEESV_SW_SX_S14_S18_S1A_T6_T7_T9_mT8_S1C_bDpT10_ENKUlT_T0_E_clISt17integral_constantIbLb0EES1O_IbLb1EEEEDaS1K_S1L_EUlS1K_E_NS1_11comp_targetILNS1_3genE10ELNS1_11target_archE1200ELNS1_3gpuE4ELNS1_3repE0EEENS1_30default_config_static_selectorELNS0_4arch9wavefront6targetE0EEEvSY_,"axG",@progbits,_ZN7rocprim17ROCPRIM_400000_NS6detail17trampoline_kernelINS0_13select_configILj256ELj13ELNS0_17block_load_methodE3ELS4_3ELS4_3ELNS0_20block_scan_algorithmE0ELj4294967295EEENS1_25partition_config_selectorILNS1_17partition_subalgoE3EjNS0_10empty_typeEbEEZZNS1_14partition_implILS8_3ELb0ES6_jNS0_17counting_iteratorIjlEEPS9_SE_NS0_5tupleIJPjSE_EEENSF_IJSE_SE_EEES9_SG_JZNS1_25segmented_radix_sort_implINS0_14default_configELb1EPKiPiPKlPlN2at6native12_GLOBAL__N_18offset_tEEE10hipError_tPvRmT1_PNSt15iterator_traitsISY_E10value_typeET2_T3_PNSZ_IS14_E10value_typeET4_jRbjT5_S1A_jjP12ihipStream_tbEUljE_EEESV_SW_SX_S14_S18_S1A_T6_T7_T9_mT8_S1C_bDpT10_ENKUlT_T0_E_clISt17integral_constantIbLb0EES1O_IbLb1EEEEDaS1K_S1L_EUlS1K_E_NS1_11comp_targetILNS1_3genE10ELNS1_11target_archE1200ELNS1_3gpuE4ELNS1_3repE0EEENS1_30default_config_static_selectorELNS0_4arch9wavefront6targetE0EEEvSY_,comdat
.Lfunc_end490:
	.size	_ZN7rocprim17ROCPRIM_400000_NS6detail17trampoline_kernelINS0_13select_configILj256ELj13ELNS0_17block_load_methodE3ELS4_3ELS4_3ELNS0_20block_scan_algorithmE0ELj4294967295EEENS1_25partition_config_selectorILNS1_17partition_subalgoE3EjNS0_10empty_typeEbEEZZNS1_14partition_implILS8_3ELb0ES6_jNS0_17counting_iteratorIjlEEPS9_SE_NS0_5tupleIJPjSE_EEENSF_IJSE_SE_EEES9_SG_JZNS1_25segmented_radix_sort_implINS0_14default_configELb1EPKiPiPKlPlN2at6native12_GLOBAL__N_18offset_tEEE10hipError_tPvRmT1_PNSt15iterator_traitsISY_E10value_typeET2_T3_PNSZ_IS14_E10value_typeET4_jRbjT5_S1A_jjP12ihipStream_tbEUljE_EEESV_SW_SX_S14_S18_S1A_T6_T7_T9_mT8_S1C_bDpT10_ENKUlT_T0_E_clISt17integral_constantIbLb0EES1O_IbLb1EEEEDaS1K_S1L_EUlS1K_E_NS1_11comp_targetILNS1_3genE10ELNS1_11target_archE1200ELNS1_3gpuE4ELNS1_3repE0EEENS1_30default_config_static_selectorELNS0_4arch9wavefront6targetE0EEEvSY_, .Lfunc_end490-_ZN7rocprim17ROCPRIM_400000_NS6detail17trampoline_kernelINS0_13select_configILj256ELj13ELNS0_17block_load_methodE3ELS4_3ELS4_3ELNS0_20block_scan_algorithmE0ELj4294967295EEENS1_25partition_config_selectorILNS1_17partition_subalgoE3EjNS0_10empty_typeEbEEZZNS1_14partition_implILS8_3ELb0ES6_jNS0_17counting_iteratorIjlEEPS9_SE_NS0_5tupleIJPjSE_EEENSF_IJSE_SE_EEES9_SG_JZNS1_25segmented_radix_sort_implINS0_14default_configELb1EPKiPiPKlPlN2at6native12_GLOBAL__N_18offset_tEEE10hipError_tPvRmT1_PNSt15iterator_traitsISY_E10value_typeET2_T3_PNSZ_IS14_E10value_typeET4_jRbjT5_S1A_jjP12ihipStream_tbEUljE_EEESV_SW_SX_S14_S18_S1A_T6_T7_T9_mT8_S1C_bDpT10_ENKUlT_T0_E_clISt17integral_constantIbLb0EES1O_IbLb1EEEEDaS1K_S1L_EUlS1K_E_NS1_11comp_targetILNS1_3genE10ELNS1_11target_archE1200ELNS1_3gpuE4ELNS1_3repE0EEENS1_30default_config_static_selectorELNS0_4arch9wavefront6targetE0EEEvSY_
                                        ; -- End function
	.set _ZN7rocprim17ROCPRIM_400000_NS6detail17trampoline_kernelINS0_13select_configILj256ELj13ELNS0_17block_load_methodE3ELS4_3ELS4_3ELNS0_20block_scan_algorithmE0ELj4294967295EEENS1_25partition_config_selectorILNS1_17partition_subalgoE3EjNS0_10empty_typeEbEEZZNS1_14partition_implILS8_3ELb0ES6_jNS0_17counting_iteratorIjlEEPS9_SE_NS0_5tupleIJPjSE_EEENSF_IJSE_SE_EEES9_SG_JZNS1_25segmented_radix_sort_implINS0_14default_configELb1EPKiPiPKlPlN2at6native12_GLOBAL__N_18offset_tEEE10hipError_tPvRmT1_PNSt15iterator_traitsISY_E10value_typeET2_T3_PNSZ_IS14_E10value_typeET4_jRbjT5_S1A_jjP12ihipStream_tbEUljE_EEESV_SW_SX_S14_S18_S1A_T6_T7_T9_mT8_S1C_bDpT10_ENKUlT_T0_E_clISt17integral_constantIbLb0EES1O_IbLb1EEEEDaS1K_S1L_EUlS1K_E_NS1_11comp_targetILNS1_3genE10ELNS1_11target_archE1200ELNS1_3gpuE4ELNS1_3repE0EEENS1_30default_config_static_selectorELNS0_4arch9wavefront6targetE0EEEvSY_.num_vgpr, 0
	.set _ZN7rocprim17ROCPRIM_400000_NS6detail17trampoline_kernelINS0_13select_configILj256ELj13ELNS0_17block_load_methodE3ELS4_3ELS4_3ELNS0_20block_scan_algorithmE0ELj4294967295EEENS1_25partition_config_selectorILNS1_17partition_subalgoE3EjNS0_10empty_typeEbEEZZNS1_14partition_implILS8_3ELb0ES6_jNS0_17counting_iteratorIjlEEPS9_SE_NS0_5tupleIJPjSE_EEENSF_IJSE_SE_EEES9_SG_JZNS1_25segmented_radix_sort_implINS0_14default_configELb1EPKiPiPKlPlN2at6native12_GLOBAL__N_18offset_tEEE10hipError_tPvRmT1_PNSt15iterator_traitsISY_E10value_typeET2_T3_PNSZ_IS14_E10value_typeET4_jRbjT5_S1A_jjP12ihipStream_tbEUljE_EEESV_SW_SX_S14_S18_S1A_T6_T7_T9_mT8_S1C_bDpT10_ENKUlT_T0_E_clISt17integral_constantIbLb0EES1O_IbLb1EEEEDaS1K_S1L_EUlS1K_E_NS1_11comp_targetILNS1_3genE10ELNS1_11target_archE1200ELNS1_3gpuE4ELNS1_3repE0EEENS1_30default_config_static_selectorELNS0_4arch9wavefront6targetE0EEEvSY_.num_agpr, 0
	.set _ZN7rocprim17ROCPRIM_400000_NS6detail17trampoline_kernelINS0_13select_configILj256ELj13ELNS0_17block_load_methodE3ELS4_3ELS4_3ELNS0_20block_scan_algorithmE0ELj4294967295EEENS1_25partition_config_selectorILNS1_17partition_subalgoE3EjNS0_10empty_typeEbEEZZNS1_14partition_implILS8_3ELb0ES6_jNS0_17counting_iteratorIjlEEPS9_SE_NS0_5tupleIJPjSE_EEENSF_IJSE_SE_EEES9_SG_JZNS1_25segmented_radix_sort_implINS0_14default_configELb1EPKiPiPKlPlN2at6native12_GLOBAL__N_18offset_tEEE10hipError_tPvRmT1_PNSt15iterator_traitsISY_E10value_typeET2_T3_PNSZ_IS14_E10value_typeET4_jRbjT5_S1A_jjP12ihipStream_tbEUljE_EEESV_SW_SX_S14_S18_S1A_T6_T7_T9_mT8_S1C_bDpT10_ENKUlT_T0_E_clISt17integral_constantIbLb0EES1O_IbLb1EEEEDaS1K_S1L_EUlS1K_E_NS1_11comp_targetILNS1_3genE10ELNS1_11target_archE1200ELNS1_3gpuE4ELNS1_3repE0EEENS1_30default_config_static_selectorELNS0_4arch9wavefront6targetE0EEEvSY_.numbered_sgpr, 0
	.set _ZN7rocprim17ROCPRIM_400000_NS6detail17trampoline_kernelINS0_13select_configILj256ELj13ELNS0_17block_load_methodE3ELS4_3ELS4_3ELNS0_20block_scan_algorithmE0ELj4294967295EEENS1_25partition_config_selectorILNS1_17partition_subalgoE3EjNS0_10empty_typeEbEEZZNS1_14partition_implILS8_3ELb0ES6_jNS0_17counting_iteratorIjlEEPS9_SE_NS0_5tupleIJPjSE_EEENSF_IJSE_SE_EEES9_SG_JZNS1_25segmented_radix_sort_implINS0_14default_configELb1EPKiPiPKlPlN2at6native12_GLOBAL__N_18offset_tEEE10hipError_tPvRmT1_PNSt15iterator_traitsISY_E10value_typeET2_T3_PNSZ_IS14_E10value_typeET4_jRbjT5_S1A_jjP12ihipStream_tbEUljE_EEESV_SW_SX_S14_S18_S1A_T6_T7_T9_mT8_S1C_bDpT10_ENKUlT_T0_E_clISt17integral_constantIbLb0EES1O_IbLb1EEEEDaS1K_S1L_EUlS1K_E_NS1_11comp_targetILNS1_3genE10ELNS1_11target_archE1200ELNS1_3gpuE4ELNS1_3repE0EEENS1_30default_config_static_selectorELNS0_4arch9wavefront6targetE0EEEvSY_.num_named_barrier, 0
	.set _ZN7rocprim17ROCPRIM_400000_NS6detail17trampoline_kernelINS0_13select_configILj256ELj13ELNS0_17block_load_methodE3ELS4_3ELS4_3ELNS0_20block_scan_algorithmE0ELj4294967295EEENS1_25partition_config_selectorILNS1_17partition_subalgoE3EjNS0_10empty_typeEbEEZZNS1_14partition_implILS8_3ELb0ES6_jNS0_17counting_iteratorIjlEEPS9_SE_NS0_5tupleIJPjSE_EEENSF_IJSE_SE_EEES9_SG_JZNS1_25segmented_radix_sort_implINS0_14default_configELb1EPKiPiPKlPlN2at6native12_GLOBAL__N_18offset_tEEE10hipError_tPvRmT1_PNSt15iterator_traitsISY_E10value_typeET2_T3_PNSZ_IS14_E10value_typeET4_jRbjT5_S1A_jjP12ihipStream_tbEUljE_EEESV_SW_SX_S14_S18_S1A_T6_T7_T9_mT8_S1C_bDpT10_ENKUlT_T0_E_clISt17integral_constantIbLb0EES1O_IbLb1EEEEDaS1K_S1L_EUlS1K_E_NS1_11comp_targetILNS1_3genE10ELNS1_11target_archE1200ELNS1_3gpuE4ELNS1_3repE0EEENS1_30default_config_static_selectorELNS0_4arch9wavefront6targetE0EEEvSY_.private_seg_size, 0
	.set _ZN7rocprim17ROCPRIM_400000_NS6detail17trampoline_kernelINS0_13select_configILj256ELj13ELNS0_17block_load_methodE3ELS4_3ELS4_3ELNS0_20block_scan_algorithmE0ELj4294967295EEENS1_25partition_config_selectorILNS1_17partition_subalgoE3EjNS0_10empty_typeEbEEZZNS1_14partition_implILS8_3ELb0ES6_jNS0_17counting_iteratorIjlEEPS9_SE_NS0_5tupleIJPjSE_EEENSF_IJSE_SE_EEES9_SG_JZNS1_25segmented_radix_sort_implINS0_14default_configELb1EPKiPiPKlPlN2at6native12_GLOBAL__N_18offset_tEEE10hipError_tPvRmT1_PNSt15iterator_traitsISY_E10value_typeET2_T3_PNSZ_IS14_E10value_typeET4_jRbjT5_S1A_jjP12ihipStream_tbEUljE_EEESV_SW_SX_S14_S18_S1A_T6_T7_T9_mT8_S1C_bDpT10_ENKUlT_T0_E_clISt17integral_constantIbLb0EES1O_IbLb1EEEEDaS1K_S1L_EUlS1K_E_NS1_11comp_targetILNS1_3genE10ELNS1_11target_archE1200ELNS1_3gpuE4ELNS1_3repE0EEENS1_30default_config_static_selectorELNS0_4arch9wavefront6targetE0EEEvSY_.uses_vcc, 0
	.set _ZN7rocprim17ROCPRIM_400000_NS6detail17trampoline_kernelINS0_13select_configILj256ELj13ELNS0_17block_load_methodE3ELS4_3ELS4_3ELNS0_20block_scan_algorithmE0ELj4294967295EEENS1_25partition_config_selectorILNS1_17partition_subalgoE3EjNS0_10empty_typeEbEEZZNS1_14partition_implILS8_3ELb0ES6_jNS0_17counting_iteratorIjlEEPS9_SE_NS0_5tupleIJPjSE_EEENSF_IJSE_SE_EEES9_SG_JZNS1_25segmented_radix_sort_implINS0_14default_configELb1EPKiPiPKlPlN2at6native12_GLOBAL__N_18offset_tEEE10hipError_tPvRmT1_PNSt15iterator_traitsISY_E10value_typeET2_T3_PNSZ_IS14_E10value_typeET4_jRbjT5_S1A_jjP12ihipStream_tbEUljE_EEESV_SW_SX_S14_S18_S1A_T6_T7_T9_mT8_S1C_bDpT10_ENKUlT_T0_E_clISt17integral_constantIbLb0EES1O_IbLb1EEEEDaS1K_S1L_EUlS1K_E_NS1_11comp_targetILNS1_3genE10ELNS1_11target_archE1200ELNS1_3gpuE4ELNS1_3repE0EEENS1_30default_config_static_selectorELNS0_4arch9wavefront6targetE0EEEvSY_.uses_flat_scratch, 0
	.set _ZN7rocprim17ROCPRIM_400000_NS6detail17trampoline_kernelINS0_13select_configILj256ELj13ELNS0_17block_load_methodE3ELS4_3ELS4_3ELNS0_20block_scan_algorithmE0ELj4294967295EEENS1_25partition_config_selectorILNS1_17partition_subalgoE3EjNS0_10empty_typeEbEEZZNS1_14partition_implILS8_3ELb0ES6_jNS0_17counting_iteratorIjlEEPS9_SE_NS0_5tupleIJPjSE_EEENSF_IJSE_SE_EEES9_SG_JZNS1_25segmented_radix_sort_implINS0_14default_configELb1EPKiPiPKlPlN2at6native12_GLOBAL__N_18offset_tEEE10hipError_tPvRmT1_PNSt15iterator_traitsISY_E10value_typeET2_T3_PNSZ_IS14_E10value_typeET4_jRbjT5_S1A_jjP12ihipStream_tbEUljE_EEESV_SW_SX_S14_S18_S1A_T6_T7_T9_mT8_S1C_bDpT10_ENKUlT_T0_E_clISt17integral_constantIbLb0EES1O_IbLb1EEEEDaS1K_S1L_EUlS1K_E_NS1_11comp_targetILNS1_3genE10ELNS1_11target_archE1200ELNS1_3gpuE4ELNS1_3repE0EEENS1_30default_config_static_selectorELNS0_4arch9wavefront6targetE0EEEvSY_.has_dyn_sized_stack, 0
	.set _ZN7rocprim17ROCPRIM_400000_NS6detail17trampoline_kernelINS0_13select_configILj256ELj13ELNS0_17block_load_methodE3ELS4_3ELS4_3ELNS0_20block_scan_algorithmE0ELj4294967295EEENS1_25partition_config_selectorILNS1_17partition_subalgoE3EjNS0_10empty_typeEbEEZZNS1_14partition_implILS8_3ELb0ES6_jNS0_17counting_iteratorIjlEEPS9_SE_NS0_5tupleIJPjSE_EEENSF_IJSE_SE_EEES9_SG_JZNS1_25segmented_radix_sort_implINS0_14default_configELb1EPKiPiPKlPlN2at6native12_GLOBAL__N_18offset_tEEE10hipError_tPvRmT1_PNSt15iterator_traitsISY_E10value_typeET2_T3_PNSZ_IS14_E10value_typeET4_jRbjT5_S1A_jjP12ihipStream_tbEUljE_EEESV_SW_SX_S14_S18_S1A_T6_T7_T9_mT8_S1C_bDpT10_ENKUlT_T0_E_clISt17integral_constantIbLb0EES1O_IbLb1EEEEDaS1K_S1L_EUlS1K_E_NS1_11comp_targetILNS1_3genE10ELNS1_11target_archE1200ELNS1_3gpuE4ELNS1_3repE0EEENS1_30default_config_static_selectorELNS0_4arch9wavefront6targetE0EEEvSY_.has_recursion, 0
	.set _ZN7rocprim17ROCPRIM_400000_NS6detail17trampoline_kernelINS0_13select_configILj256ELj13ELNS0_17block_load_methodE3ELS4_3ELS4_3ELNS0_20block_scan_algorithmE0ELj4294967295EEENS1_25partition_config_selectorILNS1_17partition_subalgoE3EjNS0_10empty_typeEbEEZZNS1_14partition_implILS8_3ELb0ES6_jNS0_17counting_iteratorIjlEEPS9_SE_NS0_5tupleIJPjSE_EEENSF_IJSE_SE_EEES9_SG_JZNS1_25segmented_radix_sort_implINS0_14default_configELb1EPKiPiPKlPlN2at6native12_GLOBAL__N_18offset_tEEE10hipError_tPvRmT1_PNSt15iterator_traitsISY_E10value_typeET2_T3_PNSZ_IS14_E10value_typeET4_jRbjT5_S1A_jjP12ihipStream_tbEUljE_EEESV_SW_SX_S14_S18_S1A_T6_T7_T9_mT8_S1C_bDpT10_ENKUlT_T0_E_clISt17integral_constantIbLb0EES1O_IbLb1EEEEDaS1K_S1L_EUlS1K_E_NS1_11comp_targetILNS1_3genE10ELNS1_11target_archE1200ELNS1_3gpuE4ELNS1_3repE0EEENS1_30default_config_static_selectorELNS0_4arch9wavefront6targetE0EEEvSY_.has_indirect_call, 0
	.section	.AMDGPU.csdata,"",@progbits
; Kernel info:
; codeLenInByte = 0
; TotalNumSgprs: 0
; NumVgprs: 0
; ScratchSize: 0
; MemoryBound: 0
; FloatMode: 240
; IeeeMode: 1
; LDSByteSize: 0 bytes/workgroup (compile time only)
; SGPRBlocks: 0
; VGPRBlocks: 0
; NumSGPRsForWavesPerEU: 1
; NumVGPRsForWavesPerEU: 1
; Occupancy: 16
; WaveLimiterHint : 0
; COMPUTE_PGM_RSRC2:SCRATCH_EN: 0
; COMPUTE_PGM_RSRC2:USER_SGPR: 6
; COMPUTE_PGM_RSRC2:TRAP_HANDLER: 0
; COMPUTE_PGM_RSRC2:TGID_X_EN: 1
; COMPUTE_PGM_RSRC2:TGID_Y_EN: 0
; COMPUTE_PGM_RSRC2:TGID_Z_EN: 0
; COMPUTE_PGM_RSRC2:TIDIG_COMP_CNT: 0
	.section	.text._ZN7rocprim17ROCPRIM_400000_NS6detail17trampoline_kernelINS0_13select_configILj256ELj13ELNS0_17block_load_methodE3ELS4_3ELS4_3ELNS0_20block_scan_algorithmE0ELj4294967295EEENS1_25partition_config_selectorILNS1_17partition_subalgoE3EjNS0_10empty_typeEbEEZZNS1_14partition_implILS8_3ELb0ES6_jNS0_17counting_iteratorIjlEEPS9_SE_NS0_5tupleIJPjSE_EEENSF_IJSE_SE_EEES9_SG_JZNS1_25segmented_radix_sort_implINS0_14default_configELb1EPKiPiPKlPlN2at6native12_GLOBAL__N_18offset_tEEE10hipError_tPvRmT1_PNSt15iterator_traitsISY_E10value_typeET2_T3_PNSZ_IS14_E10value_typeET4_jRbjT5_S1A_jjP12ihipStream_tbEUljE_EEESV_SW_SX_S14_S18_S1A_T6_T7_T9_mT8_S1C_bDpT10_ENKUlT_T0_E_clISt17integral_constantIbLb0EES1O_IbLb1EEEEDaS1K_S1L_EUlS1K_E_NS1_11comp_targetILNS1_3genE9ELNS1_11target_archE1100ELNS1_3gpuE3ELNS1_3repE0EEENS1_30default_config_static_selectorELNS0_4arch9wavefront6targetE0EEEvSY_,"axG",@progbits,_ZN7rocprim17ROCPRIM_400000_NS6detail17trampoline_kernelINS0_13select_configILj256ELj13ELNS0_17block_load_methodE3ELS4_3ELS4_3ELNS0_20block_scan_algorithmE0ELj4294967295EEENS1_25partition_config_selectorILNS1_17partition_subalgoE3EjNS0_10empty_typeEbEEZZNS1_14partition_implILS8_3ELb0ES6_jNS0_17counting_iteratorIjlEEPS9_SE_NS0_5tupleIJPjSE_EEENSF_IJSE_SE_EEES9_SG_JZNS1_25segmented_radix_sort_implINS0_14default_configELb1EPKiPiPKlPlN2at6native12_GLOBAL__N_18offset_tEEE10hipError_tPvRmT1_PNSt15iterator_traitsISY_E10value_typeET2_T3_PNSZ_IS14_E10value_typeET4_jRbjT5_S1A_jjP12ihipStream_tbEUljE_EEESV_SW_SX_S14_S18_S1A_T6_T7_T9_mT8_S1C_bDpT10_ENKUlT_T0_E_clISt17integral_constantIbLb0EES1O_IbLb1EEEEDaS1K_S1L_EUlS1K_E_NS1_11comp_targetILNS1_3genE9ELNS1_11target_archE1100ELNS1_3gpuE3ELNS1_3repE0EEENS1_30default_config_static_selectorELNS0_4arch9wavefront6targetE0EEEvSY_,comdat
	.globl	_ZN7rocprim17ROCPRIM_400000_NS6detail17trampoline_kernelINS0_13select_configILj256ELj13ELNS0_17block_load_methodE3ELS4_3ELS4_3ELNS0_20block_scan_algorithmE0ELj4294967295EEENS1_25partition_config_selectorILNS1_17partition_subalgoE3EjNS0_10empty_typeEbEEZZNS1_14partition_implILS8_3ELb0ES6_jNS0_17counting_iteratorIjlEEPS9_SE_NS0_5tupleIJPjSE_EEENSF_IJSE_SE_EEES9_SG_JZNS1_25segmented_radix_sort_implINS0_14default_configELb1EPKiPiPKlPlN2at6native12_GLOBAL__N_18offset_tEEE10hipError_tPvRmT1_PNSt15iterator_traitsISY_E10value_typeET2_T3_PNSZ_IS14_E10value_typeET4_jRbjT5_S1A_jjP12ihipStream_tbEUljE_EEESV_SW_SX_S14_S18_S1A_T6_T7_T9_mT8_S1C_bDpT10_ENKUlT_T0_E_clISt17integral_constantIbLb0EES1O_IbLb1EEEEDaS1K_S1L_EUlS1K_E_NS1_11comp_targetILNS1_3genE9ELNS1_11target_archE1100ELNS1_3gpuE3ELNS1_3repE0EEENS1_30default_config_static_selectorELNS0_4arch9wavefront6targetE0EEEvSY_ ; -- Begin function _ZN7rocprim17ROCPRIM_400000_NS6detail17trampoline_kernelINS0_13select_configILj256ELj13ELNS0_17block_load_methodE3ELS4_3ELS4_3ELNS0_20block_scan_algorithmE0ELj4294967295EEENS1_25partition_config_selectorILNS1_17partition_subalgoE3EjNS0_10empty_typeEbEEZZNS1_14partition_implILS8_3ELb0ES6_jNS0_17counting_iteratorIjlEEPS9_SE_NS0_5tupleIJPjSE_EEENSF_IJSE_SE_EEES9_SG_JZNS1_25segmented_radix_sort_implINS0_14default_configELb1EPKiPiPKlPlN2at6native12_GLOBAL__N_18offset_tEEE10hipError_tPvRmT1_PNSt15iterator_traitsISY_E10value_typeET2_T3_PNSZ_IS14_E10value_typeET4_jRbjT5_S1A_jjP12ihipStream_tbEUljE_EEESV_SW_SX_S14_S18_S1A_T6_T7_T9_mT8_S1C_bDpT10_ENKUlT_T0_E_clISt17integral_constantIbLb0EES1O_IbLb1EEEEDaS1K_S1L_EUlS1K_E_NS1_11comp_targetILNS1_3genE9ELNS1_11target_archE1100ELNS1_3gpuE3ELNS1_3repE0EEENS1_30default_config_static_selectorELNS0_4arch9wavefront6targetE0EEEvSY_
	.p2align	8
	.type	_ZN7rocprim17ROCPRIM_400000_NS6detail17trampoline_kernelINS0_13select_configILj256ELj13ELNS0_17block_load_methodE3ELS4_3ELS4_3ELNS0_20block_scan_algorithmE0ELj4294967295EEENS1_25partition_config_selectorILNS1_17partition_subalgoE3EjNS0_10empty_typeEbEEZZNS1_14partition_implILS8_3ELb0ES6_jNS0_17counting_iteratorIjlEEPS9_SE_NS0_5tupleIJPjSE_EEENSF_IJSE_SE_EEES9_SG_JZNS1_25segmented_radix_sort_implINS0_14default_configELb1EPKiPiPKlPlN2at6native12_GLOBAL__N_18offset_tEEE10hipError_tPvRmT1_PNSt15iterator_traitsISY_E10value_typeET2_T3_PNSZ_IS14_E10value_typeET4_jRbjT5_S1A_jjP12ihipStream_tbEUljE_EEESV_SW_SX_S14_S18_S1A_T6_T7_T9_mT8_S1C_bDpT10_ENKUlT_T0_E_clISt17integral_constantIbLb0EES1O_IbLb1EEEEDaS1K_S1L_EUlS1K_E_NS1_11comp_targetILNS1_3genE9ELNS1_11target_archE1100ELNS1_3gpuE3ELNS1_3repE0EEENS1_30default_config_static_selectorELNS0_4arch9wavefront6targetE0EEEvSY_,@function
_ZN7rocprim17ROCPRIM_400000_NS6detail17trampoline_kernelINS0_13select_configILj256ELj13ELNS0_17block_load_methodE3ELS4_3ELS4_3ELNS0_20block_scan_algorithmE0ELj4294967295EEENS1_25partition_config_selectorILNS1_17partition_subalgoE3EjNS0_10empty_typeEbEEZZNS1_14partition_implILS8_3ELb0ES6_jNS0_17counting_iteratorIjlEEPS9_SE_NS0_5tupleIJPjSE_EEENSF_IJSE_SE_EEES9_SG_JZNS1_25segmented_radix_sort_implINS0_14default_configELb1EPKiPiPKlPlN2at6native12_GLOBAL__N_18offset_tEEE10hipError_tPvRmT1_PNSt15iterator_traitsISY_E10value_typeET2_T3_PNSZ_IS14_E10value_typeET4_jRbjT5_S1A_jjP12ihipStream_tbEUljE_EEESV_SW_SX_S14_S18_S1A_T6_T7_T9_mT8_S1C_bDpT10_ENKUlT_T0_E_clISt17integral_constantIbLb0EES1O_IbLb1EEEEDaS1K_S1L_EUlS1K_E_NS1_11comp_targetILNS1_3genE9ELNS1_11target_archE1100ELNS1_3gpuE3ELNS1_3repE0EEENS1_30default_config_static_selectorELNS0_4arch9wavefront6targetE0EEEvSY_: ; @_ZN7rocprim17ROCPRIM_400000_NS6detail17trampoline_kernelINS0_13select_configILj256ELj13ELNS0_17block_load_methodE3ELS4_3ELS4_3ELNS0_20block_scan_algorithmE0ELj4294967295EEENS1_25partition_config_selectorILNS1_17partition_subalgoE3EjNS0_10empty_typeEbEEZZNS1_14partition_implILS8_3ELb0ES6_jNS0_17counting_iteratorIjlEEPS9_SE_NS0_5tupleIJPjSE_EEENSF_IJSE_SE_EEES9_SG_JZNS1_25segmented_radix_sort_implINS0_14default_configELb1EPKiPiPKlPlN2at6native12_GLOBAL__N_18offset_tEEE10hipError_tPvRmT1_PNSt15iterator_traitsISY_E10value_typeET2_T3_PNSZ_IS14_E10value_typeET4_jRbjT5_S1A_jjP12ihipStream_tbEUljE_EEESV_SW_SX_S14_S18_S1A_T6_T7_T9_mT8_S1C_bDpT10_ENKUlT_T0_E_clISt17integral_constantIbLb0EES1O_IbLb1EEEEDaS1K_S1L_EUlS1K_E_NS1_11comp_targetILNS1_3genE9ELNS1_11target_archE1100ELNS1_3gpuE3ELNS1_3repE0EEENS1_30default_config_static_selectorELNS0_4arch9wavefront6targetE0EEEvSY_
; %bb.0:
	.section	.rodata,"a",@progbits
	.p2align	6, 0x0
	.amdhsa_kernel _ZN7rocprim17ROCPRIM_400000_NS6detail17trampoline_kernelINS0_13select_configILj256ELj13ELNS0_17block_load_methodE3ELS4_3ELS4_3ELNS0_20block_scan_algorithmE0ELj4294967295EEENS1_25partition_config_selectorILNS1_17partition_subalgoE3EjNS0_10empty_typeEbEEZZNS1_14partition_implILS8_3ELb0ES6_jNS0_17counting_iteratorIjlEEPS9_SE_NS0_5tupleIJPjSE_EEENSF_IJSE_SE_EEES9_SG_JZNS1_25segmented_radix_sort_implINS0_14default_configELb1EPKiPiPKlPlN2at6native12_GLOBAL__N_18offset_tEEE10hipError_tPvRmT1_PNSt15iterator_traitsISY_E10value_typeET2_T3_PNSZ_IS14_E10value_typeET4_jRbjT5_S1A_jjP12ihipStream_tbEUljE_EEESV_SW_SX_S14_S18_S1A_T6_T7_T9_mT8_S1C_bDpT10_ENKUlT_T0_E_clISt17integral_constantIbLb0EES1O_IbLb1EEEEDaS1K_S1L_EUlS1K_E_NS1_11comp_targetILNS1_3genE9ELNS1_11target_archE1100ELNS1_3gpuE3ELNS1_3repE0EEENS1_30default_config_static_selectorELNS0_4arch9wavefront6targetE0EEEvSY_
		.amdhsa_group_segment_fixed_size 0
		.amdhsa_private_segment_fixed_size 0
		.amdhsa_kernarg_size 152
		.amdhsa_user_sgpr_count 6
		.amdhsa_user_sgpr_private_segment_buffer 1
		.amdhsa_user_sgpr_dispatch_ptr 0
		.amdhsa_user_sgpr_queue_ptr 0
		.amdhsa_user_sgpr_kernarg_segment_ptr 1
		.amdhsa_user_sgpr_dispatch_id 0
		.amdhsa_user_sgpr_flat_scratch_init 0
		.amdhsa_user_sgpr_private_segment_size 0
		.amdhsa_wavefront_size32 1
		.amdhsa_uses_dynamic_stack 0
		.amdhsa_system_sgpr_private_segment_wavefront_offset 0
		.amdhsa_system_sgpr_workgroup_id_x 1
		.amdhsa_system_sgpr_workgroup_id_y 0
		.amdhsa_system_sgpr_workgroup_id_z 0
		.amdhsa_system_sgpr_workgroup_info 0
		.amdhsa_system_vgpr_workitem_id 0
		.amdhsa_next_free_vgpr 1
		.amdhsa_next_free_sgpr 1
		.amdhsa_reserve_vcc 0
		.amdhsa_reserve_flat_scratch 0
		.amdhsa_float_round_mode_32 0
		.amdhsa_float_round_mode_16_64 0
		.amdhsa_float_denorm_mode_32 3
		.amdhsa_float_denorm_mode_16_64 3
		.amdhsa_dx10_clamp 1
		.amdhsa_ieee_mode 1
		.amdhsa_fp16_overflow 0
		.amdhsa_workgroup_processor_mode 1
		.amdhsa_memory_ordered 1
		.amdhsa_forward_progress 1
		.amdhsa_shared_vgpr_count 0
		.amdhsa_exception_fp_ieee_invalid_op 0
		.amdhsa_exception_fp_denorm_src 0
		.amdhsa_exception_fp_ieee_div_zero 0
		.amdhsa_exception_fp_ieee_overflow 0
		.amdhsa_exception_fp_ieee_underflow 0
		.amdhsa_exception_fp_ieee_inexact 0
		.amdhsa_exception_int_div_zero 0
	.end_amdhsa_kernel
	.section	.text._ZN7rocprim17ROCPRIM_400000_NS6detail17trampoline_kernelINS0_13select_configILj256ELj13ELNS0_17block_load_methodE3ELS4_3ELS4_3ELNS0_20block_scan_algorithmE0ELj4294967295EEENS1_25partition_config_selectorILNS1_17partition_subalgoE3EjNS0_10empty_typeEbEEZZNS1_14partition_implILS8_3ELb0ES6_jNS0_17counting_iteratorIjlEEPS9_SE_NS0_5tupleIJPjSE_EEENSF_IJSE_SE_EEES9_SG_JZNS1_25segmented_radix_sort_implINS0_14default_configELb1EPKiPiPKlPlN2at6native12_GLOBAL__N_18offset_tEEE10hipError_tPvRmT1_PNSt15iterator_traitsISY_E10value_typeET2_T3_PNSZ_IS14_E10value_typeET4_jRbjT5_S1A_jjP12ihipStream_tbEUljE_EEESV_SW_SX_S14_S18_S1A_T6_T7_T9_mT8_S1C_bDpT10_ENKUlT_T0_E_clISt17integral_constantIbLb0EES1O_IbLb1EEEEDaS1K_S1L_EUlS1K_E_NS1_11comp_targetILNS1_3genE9ELNS1_11target_archE1100ELNS1_3gpuE3ELNS1_3repE0EEENS1_30default_config_static_selectorELNS0_4arch9wavefront6targetE0EEEvSY_,"axG",@progbits,_ZN7rocprim17ROCPRIM_400000_NS6detail17trampoline_kernelINS0_13select_configILj256ELj13ELNS0_17block_load_methodE3ELS4_3ELS4_3ELNS0_20block_scan_algorithmE0ELj4294967295EEENS1_25partition_config_selectorILNS1_17partition_subalgoE3EjNS0_10empty_typeEbEEZZNS1_14partition_implILS8_3ELb0ES6_jNS0_17counting_iteratorIjlEEPS9_SE_NS0_5tupleIJPjSE_EEENSF_IJSE_SE_EEES9_SG_JZNS1_25segmented_radix_sort_implINS0_14default_configELb1EPKiPiPKlPlN2at6native12_GLOBAL__N_18offset_tEEE10hipError_tPvRmT1_PNSt15iterator_traitsISY_E10value_typeET2_T3_PNSZ_IS14_E10value_typeET4_jRbjT5_S1A_jjP12ihipStream_tbEUljE_EEESV_SW_SX_S14_S18_S1A_T6_T7_T9_mT8_S1C_bDpT10_ENKUlT_T0_E_clISt17integral_constantIbLb0EES1O_IbLb1EEEEDaS1K_S1L_EUlS1K_E_NS1_11comp_targetILNS1_3genE9ELNS1_11target_archE1100ELNS1_3gpuE3ELNS1_3repE0EEENS1_30default_config_static_selectorELNS0_4arch9wavefront6targetE0EEEvSY_,comdat
.Lfunc_end491:
	.size	_ZN7rocprim17ROCPRIM_400000_NS6detail17trampoline_kernelINS0_13select_configILj256ELj13ELNS0_17block_load_methodE3ELS4_3ELS4_3ELNS0_20block_scan_algorithmE0ELj4294967295EEENS1_25partition_config_selectorILNS1_17partition_subalgoE3EjNS0_10empty_typeEbEEZZNS1_14partition_implILS8_3ELb0ES6_jNS0_17counting_iteratorIjlEEPS9_SE_NS0_5tupleIJPjSE_EEENSF_IJSE_SE_EEES9_SG_JZNS1_25segmented_radix_sort_implINS0_14default_configELb1EPKiPiPKlPlN2at6native12_GLOBAL__N_18offset_tEEE10hipError_tPvRmT1_PNSt15iterator_traitsISY_E10value_typeET2_T3_PNSZ_IS14_E10value_typeET4_jRbjT5_S1A_jjP12ihipStream_tbEUljE_EEESV_SW_SX_S14_S18_S1A_T6_T7_T9_mT8_S1C_bDpT10_ENKUlT_T0_E_clISt17integral_constantIbLb0EES1O_IbLb1EEEEDaS1K_S1L_EUlS1K_E_NS1_11comp_targetILNS1_3genE9ELNS1_11target_archE1100ELNS1_3gpuE3ELNS1_3repE0EEENS1_30default_config_static_selectorELNS0_4arch9wavefront6targetE0EEEvSY_, .Lfunc_end491-_ZN7rocprim17ROCPRIM_400000_NS6detail17trampoline_kernelINS0_13select_configILj256ELj13ELNS0_17block_load_methodE3ELS4_3ELS4_3ELNS0_20block_scan_algorithmE0ELj4294967295EEENS1_25partition_config_selectorILNS1_17partition_subalgoE3EjNS0_10empty_typeEbEEZZNS1_14partition_implILS8_3ELb0ES6_jNS0_17counting_iteratorIjlEEPS9_SE_NS0_5tupleIJPjSE_EEENSF_IJSE_SE_EEES9_SG_JZNS1_25segmented_radix_sort_implINS0_14default_configELb1EPKiPiPKlPlN2at6native12_GLOBAL__N_18offset_tEEE10hipError_tPvRmT1_PNSt15iterator_traitsISY_E10value_typeET2_T3_PNSZ_IS14_E10value_typeET4_jRbjT5_S1A_jjP12ihipStream_tbEUljE_EEESV_SW_SX_S14_S18_S1A_T6_T7_T9_mT8_S1C_bDpT10_ENKUlT_T0_E_clISt17integral_constantIbLb0EES1O_IbLb1EEEEDaS1K_S1L_EUlS1K_E_NS1_11comp_targetILNS1_3genE9ELNS1_11target_archE1100ELNS1_3gpuE3ELNS1_3repE0EEENS1_30default_config_static_selectorELNS0_4arch9wavefront6targetE0EEEvSY_
                                        ; -- End function
	.set _ZN7rocprim17ROCPRIM_400000_NS6detail17trampoline_kernelINS0_13select_configILj256ELj13ELNS0_17block_load_methodE3ELS4_3ELS4_3ELNS0_20block_scan_algorithmE0ELj4294967295EEENS1_25partition_config_selectorILNS1_17partition_subalgoE3EjNS0_10empty_typeEbEEZZNS1_14partition_implILS8_3ELb0ES6_jNS0_17counting_iteratorIjlEEPS9_SE_NS0_5tupleIJPjSE_EEENSF_IJSE_SE_EEES9_SG_JZNS1_25segmented_radix_sort_implINS0_14default_configELb1EPKiPiPKlPlN2at6native12_GLOBAL__N_18offset_tEEE10hipError_tPvRmT1_PNSt15iterator_traitsISY_E10value_typeET2_T3_PNSZ_IS14_E10value_typeET4_jRbjT5_S1A_jjP12ihipStream_tbEUljE_EEESV_SW_SX_S14_S18_S1A_T6_T7_T9_mT8_S1C_bDpT10_ENKUlT_T0_E_clISt17integral_constantIbLb0EES1O_IbLb1EEEEDaS1K_S1L_EUlS1K_E_NS1_11comp_targetILNS1_3genE9ELNS1_11target_archE1100ELNS1_3gpuE3ELNS1_3repE0EEENS1_30default_config_static_selectorELNS0_4arch9wavefront6targetE0EEEvSY_.num_vgpr, 0
	.set _ZN7rocprim17ROCPRIM_400000_NS6detail17trampoline_kernelINS0_13select_configILj256ELj13ELNS0_17block_load_methodE3ELS4_3ELS4_3ELNS0_20block_scan_algorithmE0ELj4294967295EEENS1_25partition_config_selectorILNS1_17partition_subalgoE3EjNS0_10empty_typeEbEEZZNS1_14partition_implILS8_3ELb0ES6_jNS0_17counting_iteratorIjlEEPS9_SE_NS0_5tupleIJPjSE_EEENSF_IJSE_SE_EEES9_SG_JZNS1_25segmented_radix_sort_implINS0_14default_configELb1EPKiPiPKlPlN2at6native12_GLOBAL__N_18offset_tEEE10hipError_tPvRmT1_PNSt15iterator_traitsISY_E10value_typeET2_T3_PNSZ_IS14_E10value_typeET4_jRbjT5_S1A_jjP12ihipStream_tbEUljE_EEESV_SW_SX_S14_S18_S1A_T6_T7_T9_mT8_S1C_bDpT10_ENKUlT_T0_E_clISt17integral_constantIbLb0EES1O_IbLb1EEEEDaS1K_S1L_EUlS1K_E_NS1_11comp_targetILNS1_3genE9ELNS1_11target_archE1100ELNS1_3gpuE3ELNS1_3repE0EEENS1_30default_config_static_selectorELNS0_4arch9wavefront6targetE0EEEvSY_.num_agpr, 0
	.set _ZN7rocprim17ROCPRIM_400000_NS6detail17trampoline_kernelINS0_13select_configILj256ELj13ELNS0_17block_load_methodE3ELS4_3ELS4_3ELNS0_20block_scan_algorithmE0ELj4294967295EEENS1_25partition_config_selectorILNS1_17partition_subalgoE3EjNS0_10empty_typeEbEEZZNS1_14partition_implILS8_3ELb0ES6_jNS0_17counting_iteratorIjlEEPS9_SE_NS0_5tupleIJPjSE_EEENSF_IJSE_SE_EEES9_SG_JZNS1_25segmented_radix_sort_implINS0_14default_configELb1EPKiPiPKlPlN2at6native12_GLOBAL__N_18offset_tEEE10hipError_tPvRmT1_PNSt15iterator_traitsISY_E10value_typeET2_T3_PNSZ_IS14_E10value_typeET4_jRbjT5_S1A_jjP12ihipStream_tbEUljE_EEESV_SW_SX_S14_S18_S1A_T6_T7_T9_mT8_S1C_bDpT10_ENKUlT_T0_E_clISt17integral_constantIbLb0EES1O_IbLb1EEEEDaS1K_S1L_EUlS1K_E_NS1_11comp_targetILNS1_3genE9ELNS1_11target_archE1100ELNS1_3gpuE3ELNS1_3repE0EEENS1_30default_config_static_selectorELNS0_4arch9wavefront6targetE0EEEvSY_.numbered_sgpr, 0
	.set _ZN7rocprim17ROCPRIM_400000_NS6detail17trampoline_kernelINS0_13select_configILj256ELj13ELNS0_17block_load_methodE3ELS4_3ELS4_3ELNS0_20block_scan_algorithmE0ELj4294967295EEENS1_25partition_config_selectorILNS1_17partition_subalgoE3EjNS0_10empty_typeEbEEZZNS1_14partition_implILS8_3ELb0ES6_jNS0_17counting_iteratorIjlEEPS9_SE_NS0_5tupleIJPjSE_EEENSF_IJSE_SE_EEES9_SG_JZNS1_25segmented_radix_sort_implINS0_14default_configELb1EPKiPiPKlPlN2at6native12_GLOBAL__N_18offset_tEEE10hipError_tPvRmT1_PNSt15iterator_traitsISY_E10value_typeET2_T3_PNSZ_IS14_E10value_typeET4_jRbjT5_S1A_jjP12ihipStream_tbEUljE_EEESV_SW_SX_S14_S18_S1A_T6_T7_T9_mT8_S1C_bDpT10_ENKUlT_T0_E_clISt17integral_constantIbLb0EES1O_IbLb1EEEEDaS1K_S1L_EUlS1K_E_NS1_11comp_targetILNS1_3genE9ELNS1_11target_archE1100ELNS1_3gpuE3ELNS1_3repE0EEENS1_30default_config_static_selectorELNS0_4arch9wavefront6targetE0EEEvSY_.num_named_barrier, 0
	.set _ZN7rocprim17ROCPRIM_400000_NS6detail17trampoline_kernelINS0_13select_configILj256ELj13ELNS0_17block_load_methodE3ELS4_3ELS4_3ELNS0_20block_scan_algorithmE0ELj4294967295EEENS1_25partition_config_selectorILNS1_17partition_subalgoE3EjNS0_10empty_typeEbEEZZNS1_14partition_implILS8_3ELb0ES6_jNS0_17counting_iteratorIjlEEPS9_SE_NS0_5tupleIJPjSE_EEENSF_IJSE_SE_EEES9_SG_JZNS1_25segmented_radix_sort_implINS0_14default_configELb1EPKiPiPKlPlN2at6native12_GLOBAL__N_18offset_tEEE10hipError_tPvRmT1_PNSt15iterator_traitsISY_E10value_typeET2_T3_PNSZ_IS14_E10value_typeET4_jRbjT5_S1A_jjP12ihipStream_tbEUljE_EEESV_SW_SX_S14_S18_S1A_T6_T7_T9_mT8_S1C_bDpT10_ENKUlT_T0_E_clISt17integral_constantIbLb0EES1O_IbLb1EEEEDaS1K_S1L_EUlS1K_E_NS1_11comp_targetILNS1_3genE9ELNS1_11target_archE1100ELNS1_3gpuE3ELNS1_3repE0EEENS1_30default_config_static_selectorELNS0_4arch9wavefront6targetE0EEEvSY_.private_seg_size, 0
	.set _ZN7rocprim17ROCPRIM_400000_NS6detail17trampoline_kernelINS0_13select_configILj256ELj13ELNS0_17block_load_methodE3ELS4_3ELS4_3ELNS0_20block_scan_algorithmE0ELj4294967295EEENS1_25partition_config_selectorILNS1_17partition_subalgoE3EjNS0_10empty_typeEbEEZZNS1_14partition_implILS8_3ELb0ES6_jNS0_17counting_iteratorIjlEEPS9_SE_NS0_5tupleIJPjSE_EEENSF_IJSE_SE_EEES9_SG_JZNS1_25segmented_radix_sort_implINS0_14default_configELb1EPKiPiPKlPlN2at6native12_GLOBAL__N_18offset_tEEE10hipError_tPvRmT1_PNSt15iterator_traitsISY_E10value_typeET2_T3_PNSZ_IS14_E10value_typeET4_jRbjT5_S1A_jjP12ihipStream_tbEUljE_EEESV_SW_SX_S14_S18_S1A_T6_T7_T9_mT8_S1C_bDpT10_ENKUlT_T0_E_clISt17integral_constantIbLb0EES1O_IbLb1EEEEDaS1K_S1L_EUlS1K_E_NS1_11comp_targetILNS1_3genE9ELNS1_11target_archE1100ELNS1_3gpuE3ELNS1_3repE0EEENS1_30default_config_static_selectorELNS0_4arch9wavefront6targetE0EEEvSY_.uses_vcc, 0
	.set _ZN7rocprim17ROCPRIM_400000_NS6detail17trampoline_kernelINS0_13select_configILj256ELj13ELNS0_17block_load_methodE3ELS4_3ELS4_3ELNS0_20block_scan_algorithmE0ELj4294967295EEENS1_25partition_config_selectorILNS1_17partition_subalgoE3EjNS0_10empty_typeEbEEZZNS1_14partition_implILS8_3ELb0ES6_jNS0_17counting_iteratorIjlEEPS9_SE_NS0_5tupleIJPjSE_EEENSF_IJSE_SE_EEES9_SG_JZNS1_25segmented_radix_sort_implINS0_14default_configELb1EPKiPiPKlPlN2at6native12_GLOBAL__N_18offset_tEEE10hipError_tPvRmT1_PNSt15iterator_traitsISY_E10value_typeET2_T3_PNSZ_IS14_E10value_typeET4_jRbjT5_S1A_jjP12ihipStream_tbEUljE_EEESV_SW_SX_S14_S18_S1A_T6_T7_T9_mT8_S1C_bDpT10_ENKUlT_T0_E_clISt17integral_constantIbLb0EES1O_IbLb1EEEEDaS1K_S1L_EUlS1K_E_NS1_11comp_targetILNS1_3genE9ELNS1_11target_archE1100ELNS1_3gpuE3ELNS1_3repE0EEENS1_30default_config_static_selectorELNS0_4arch9wavefront6targetE0EEEvSY_.uses_flat_scratch, 0
	.set _ZN7rocprim17ROCPRIM_400000_NS6detail17trampoline_kernelINS0_13select_configILj256ELj13ELNS0_17block_load_methodE3ELS4_3ELS4_3ELNS0_20block_scan_algorithmE0ELj4294967295EEENS1_25partition_config_selectorILNS1_17partition_subalgoE3EjNS0_10empty_typeEbEEZZNS1_14partition_implILS8_3ELb0ES6_jNS0_17counting_iteratorIjlEEPS9_SE_NS0_5tupleIJPjSE_EEENSF_IJSE_SE_EEES9_SG_JZNS1_25segmented_radix_sort_implINS0_14default_configELb1EPKiPiPKlPlN2at6native12_GLOBAL__N_18offset_tEEE10hipError_tPvRmT1_PNSt15iterator_traitsISY_E10value_typeET2_T3_PNSZ_IS14_E10value_typeET4_jRbjT5_S1A_jjP12ihipStream_tbEUljE_EEESV_SW_SX_S14_S18_S1A_T6_T7_T9_mT8_S1C_bDpT10_ENKUlT_T0_E_clISt17integral_constantIbLb0EES1O_IbLb1EEEEDaS1K_S1L_EUlS1K_E_NS1_11comp_targetILNS1_3genE9ELNS1_11target_archE1100ELNS1_3gpuE3ELNS1_3repE0EEENS1_30default_config_static_selectorELNS0_4arch9wavefront6targetE0EEEvSY_.has_dyn_sized_stack, 0
	.set _ZN7rocprim17ROCPRIM_400000_NS6detail17trampoline_kernelINS0_13select_configILj256ELj13ELNS0_17block_load_methodE3ELS4_3ELS4_3ELNS0_20block_scan_algorithmE0ELj4294967295EEENS1_25partition_config_selectorILNS1_17partition_subalgoE3EjNS0_10empty_typeEbEEZZNS1_14partition_implILS8_3ELb0ES6_jNS0_17counting_iteratorIjlEEPS9_SE_NS0_5tupleIJPjSE_EEENSF_IJSE_SE_EEES9_SG_JZNS1_25segmented_radix_sort_implINS0_14default_configELb1EPKiPiPKlPlN2at6native12_GLOBAL__N_18offset_tEEE10hipError_tPvRmT1_PNSt15iterator_traitsISY_E10value_typeET2_T3_PNSZ_IS14_E10value_typeET4_jRbjT5_S1A_jjP12ihipStream_tbEUljE_EEESV_SW_SX_S14_S18_S1A_T6_T7_T9_mT8_S1C_bDpT10_ENKUlT_T0_E_clISt17integral_constantIbLb0EES1O_IbLb1EEEEDaS1K_S1L_EUlS1K_E_NS1_11comp_targetILNS1_3genE9ELNS1_11target_archE1100ELNS1_3gpuE3ELNS1_3repE0EEENS1_30default_config_static_selectorELNS0_4arch9wavefront6targetE0EEEvSY_.has_recursion, 0
	.set _ZN7rocprim17ROCPRIM_400000_NS6detail17trampoline_kernelINS0_13select_configILj256ELj13ELNS0_17block_load_methodE3ELS4_3ELS4_3ELNS0_20block_scan_algorithmE0ELj4294967295EEENS1_25partition_config_selectorILNS1_17partition_subalgoE3EjNS0_10empty_typeEbEEZZNS1_14partition_implILS8_3ELb0ES6_jNS0_17counting_iteratorIjlEEPS9_SE_NS0_5tupleIJPjSE_EEENSF_IJSE_SE_EEES9_SG_JZNS1_25segmented_radix_sort_implINS0_14default_configELb1EPKiPiPKlPlN2at6native12_GLOBAL__N_18offset_tEEE10hipError_tPvRmT1_PNSt15iterator_traitsISY_E10value_typeET2_T3_PNSZ_IS14_E10value_typeET4_jRbjT5_S1A_jjP12ihipStream_tbEUljE_EEESV_SW_SX_S14_S18_S1A_T6_T7_T9_mT8_S1C_bDpT10_ENKUlT_T0_E_clISt17integral_constantIbLb0EES1O_IbLb1EEEEDaS1K_S1L_EUlS1K_E_NS1_11comp_targetILNS1_3genE9ELNS1_11target_archE1100ELNS1_3gpuE3ELNS1_3repE0EEENS1_30default_config_static_selectorELNS0_4arch9wavefront6targetE0EEEvSY_.has_indirect_call, 0
	.section	.AMDGPU.csdata,"",@progbits
; Kernel info:
; codeLenInByte = 0
; TotalNumSgprs: 0
; NumVgprs: 0
; ScratchSize: 0
; MemoryBound: 0
; FloatMode: 240
; IeeeMode: 1
; LDSByteSize: 0 bytes/workgroup (compile time only)
; SGPRBlocks: 0
; VGPRBlocks: 0
; NumSGPRsForWavesPerEU: 1
; NumVGPRsForWavesPerEU: 1
; Occupancy: 16
; WaveLimiterHint : 0
; COMPUTE_PGM_RSRC2:SCRATCH_EN: 0
; COMPUTE_PGM_RSRC2:USER_SGPR: 6
; COMPUTE_PGM_RSRC2:TRAP_HANDLER: 0
; COMPUTE_PGM_RSRC2:TGID_X_EN: 1
; COMPUTE_PGM_RSRC2:TGID_Y_EN: 0
; COMPUTE_PGM_RSRC2:TGID_Z_EN: 0
; COMPUTE_PGM_RSRC2:TIDIG_COMP_CNT: 0
	.section	.text._ZN7rocprim17ROCPRIM_400000_NS6detail17trampoline_kernelINS0_13select_configILj256ELj13ELNS0_17block_load_methodE3ELS4_3ELS4_3ELNS0_20block_scan_algorithmE0ELj4294967295EEENS1_25partition_config_selectorILNS1_17partition_subalgoE3EjNS0_10empty_typeEbEEZZNS1_14partition_implILS8_3ELb0ES6_jNS0_17counting_iteratorIjlEEPS9_SE_NS0_5tupleIJPjSE_EEENSF_IJSE_SE_EEES9_SG_JZNS1_25segmented_radix_sort_implINS0_14default_configELb1EPKiPiPKlPlN2at6native12_GLOBAL__N_18offset_tEEE10hipError_tPvRmT1_PNSt15iterator_traitsISY_E10value_typeET2_T3_PNSZ_IS14_E10value_typeET4_jRbjT5_S1A_jjP12ihipStream_tbEUljE_EEESV_SW_SX_S14_S18_S1A_T6_T7_T9_mT8_S1C_bDpT10_ENKUlT_T0_E_clISt17integral_constantIbLb0EES1O_IbLb1EEEEDaS1K_S1L_EUlS1K_E_NS1_11comp_targetILNS1_3genE8ELNS1_11target_archE1030ELNS1_3gpuE2ELNS1_3repE0EEENS1_30default_config_static_selectorELNS0_4arch9wavefront6targetE0EEEvSY_,"axG",@progbits,_ZN7rocprim17ROCPRIM_400000_NS6detail17trampoline_kernelINS0_13select_configILj256ELj13ELNS0_17block_load_methodE3ELS4_3ELS4_3ELNS0_20block_scan_algorithmE0ELj4294967295EEENS1_25partition_config_selectorILNS1_17partition_subalgoE3EjNS0_10empty_typeEbEEZZNS1_14partition_implILS8_3ELb0ES6_jNS0_17counting_iteratorIjlEEPS9_SE_NS0_5tupleIJPjSE_EEENSF_IJSE_SE_EEES9_SG_JZNS1_25segmented_radix_sort_implINS0_14default_configELb1EPKiPiPKlPlN2at6native12_GLOBAL__N_18offset_tEEE10hipError_tPvRmT1_PNSt15iterator_traitsISY_E10value_typeET2_T3_PNSZ_IS14_E10value_typeET4_jRbjT5_S1A_jjP12ihipStream_tbEUljE_EEESV_SW_SX_S14_S18_S1A_T6_T7_T9_mT8_S1C_bDpT10_ENKUlT_T0_E_clISt17integral_constantIbLb0EES1O_IbLb1EEEEDaS1K_S1L_EUlS1K_E_NS1_11comp_targetILNS1_3genE8ELNS1_11target_archE1030ELNS1_3gpuE2ELNS1_3repE0EEENS1_30default_config_static_selectorELNS0_4arch9wavefront6targetE0EEEvSY_,comdat
	.globl	_ZN7rocprim17ROCPRIM_400000_NS6detail17trampoline_kernelINS0_13select_configILj256ELj13ELNS0_17block_load_methodE3ELS4_3ELS4_3ELNS0_20block_scan_algorithmE0ELj4294967295EEENS1_25partition_config_selectorILNS1_17partition_subalgoE3EjNS0_10empty_typeEbEEZZNS1_14partition_implILS8_3ELb0ES6_jNS0_17counting_iteratorIjlEEPS9_SE_NS0_5tupleIJPjSE_EEENSF_IJSE_SE_EEES9_SG_JZNS1_25segmented_radix_sort_implINS0_14default_configELb1EPKiPiPKlPlN2at6native12_GLOBAL__N_18offset_tEEE10hipError_tPvRmT1_PNSt15iterator_traitsISY_E10value_typeET2_T3_PNSZ_IS14_E10value_typeET4_jRbjT5_S1A_jjP12ihipStream_tbEUljE_EEESV_SW_SX_S14_S18_S1A_T6_T7_T9_mT8_S1C_bDpT10_ENKUlT_T0_E_clISt17integral_constantIbLb0EES1O_IbLb1EEEEDaS1K_S1L_EUlS1K_E_NS1_11comp_targetILNS1_3genE8ELNS1_11target_archE1030ELNS1_3gpuE2ELNS1_3repE0EEENS1_30default_config_static_selectorELNS0_4arch9wavefront6targetE0EEEvSY_ ; -- Begin function _ZN7rocprim17ROCPRIM_400000_NS6detail17trampoline_kernelINS0_13select_configILj256ELj13ELNS0_17block_load_methodE3ELS4_3ELS4_3ELNS0_20block_scan_algorithmE0ELj4294967295EEENS1_25partition_config_selectorILNS1_17partition_subalgoE3EjNS0_10empty_typeEbEEZZNS1_14partition_implILS8_3ELb0ES6_jNS0_17counting_iteratorIjlEEPS9_SE_NS0_5tupleIJPjSE_EEENSF_IJSE_SE_EEES9_SG_JZNS1_25segmented_radix_sort_implINS0_14default_configELb1EPKiPiPKlPlN2at6native12_GLOBAL__N_18offset_tEEE10hipError_tPvRmT1_PNSt15iterator_traitsISY_E10value_typeET2_T3_PNSZ_IS14_E10value_typeET4_jRbjT5_S1A_jjP12ihipStream_tbEUljE_EEESV_SW_SX_S14_S18_S1A_T6_T7_T9_mT8_S1C_bDpT10_ENKUlT_T0_E_clISt17integral_constantIbLb0EES1O_IbLb1EEEEDaS1K_S1L_EUlS1K_E_NS1_11comp_targetILNS1_3genE8ELNS1_11target_archE1030ELNS1_3gpuE2ELNS1_3repE0EEENS1_30default_config_static_selectorELNS0_4arch9wavefront6targetE0EEEvSY_
	.p2align	8
	.type	_ZN7rocprim17ROCPRIM_400000_NS6detail17trampoline_kernelINS0_13select_configILj256ELj13ELNS0_17block_load_methodE3ELS4_3ELS4_3ELNS0_20block_scan_algorithmE0ELj4294967295EEENS1_25partition_config_selectorILNS1_17partition_subalgoE3EjNS0_10empty_typeEbEEZZNS1_14partition_implILS8_3ELb0ES6_jNS0_17counting_iteratorIjlEEPS9_SE_NS0_5tupleIJPjSE_EEENSF_IJSE_SE_EEES9_SG_JZNS1_25segmented_radix_sort_implINS0_14default_configELb1EPKiPiPKlPlN2at6native12_GLOBAL__N_18offset_tEEE10hipError_tPvRmT1_PNSt15iterator_traitsISY_E10value_typeET2_T3_PNSZ_IS14_E10value_typeET4_jRbjT5_S1A_jjP12ihipStream_tbEUljE_EEESV_SW_SX_S14_S18_S1A_T6_T7_T9_mT8_S1C_bDpT10_ENKUlT_T0_E_clISt17integral_constantIbLb0EES1O_IbLb1EEEEDaS1K_S1L_EUlS1K_E_NS1_11comp_targetILNS1_3genE8ELNS1_11target_archE1030ELNS1_3gpuE2ELNS1_3repE0EEENS1_30default_config_static_selectorELNS0_4arch9wavefront6targetE0EEEvSY_,@function
_ZN7rocprim17ROCPRIM_400000_NS6detail17trampoline_kernelINS0_13select_configILj256ELj13ELNS0_17block_load_methodE3ELS4_3ELS4_3ELNS0_20block_scan_algorithmE0ELj4294967295EEENS1_25partition_config_selectorILNS1_17partition_subalgoE3EjNS0_10empty_typeEbEEZZNS1_14partition_implILS8_3ELb0ES6_jNS0_17counting_iteratorIjlEEPS9_SE_NS0_5tupleIJPjSE_EEENSF_IJSE_SE_EEES9_SG_JZNS1_25segmented_radix_sort_implINS0_14default_configELb1EPKiPiPKlPlN2at6native12_GLOBAL__N_18offset_tEEE10hipError_tPvRmT1_PNSt15iterator_traitsISY_E10value_typeET2_T3_PNSZ_IS14_E10value_typeET4_jRbjT5_S1A_jjP12ihipStream_tbEUljE_EEESV_SW_SX_S14_S18_S1A_T6_T7_T9_mT8_S1C_bDpT10_ENKUlT_T0_E_clISt17integral_constantIbLb0EES1O_IbLb1EEEEDaS1K_S1L_EUlS1K_E_NS1_11comp_targetILNS1_3genE8ELNS1_11target_archE1030ELNS1_3gpuE2ELNS1_3repE0EEENS1_30default_config_static_selectorELNS0_4arch9wavefront6targetE0EEEvSY_: ; @_ZN7rocprim17ROCPRIM_400000_NS6detail17trampoline_kernelINS0_13select_configILj256ELj13ELNS0_17block_load_methodE3ELS4_3ELS4_3ELNS0_20block_scan_algorithmE0ELj4294967295EEENS1_25partition_config_selectorILNS1_17partition_subalgoE3EjNS0_10empty_typeEbEEZZNS1_14partition_implILS8_3ELb0ES6_jNS0_17counting_iteratorIjlEEPS9_SE_NS0_5tupleIJPjSE_EEENSF_IJSE_SE_EEES9_SG_JZNS1_25segmented_radix_sort_implINS0_14default_configELb1EPKiPiPKlPlN2at6native12_GLOBAL__N_18offset_tEEE10hipError_tPvRmT1_PNSt15iterator_traitsISY_E10value_typeET2_T3_PNSZ_IS14_E10value_typeET4_jRbjT5_S1A_jjP12ihipStream_tbEUljE_EEESV_SW_SX_S14_S18_S1A_T6_T7_T9_mT8_S1C_bDpT10_ENKUlT_T0_E_clISt17integral_constantIbLb0EES1O_IbLb1EEEEDaS1K_S1L_EUlS1K_E_NS1_11comp_targetILNS1_3genE8ELNS1_11target_archE1030ELNS1_3gpuE2ELNS1_3repE0EEENS1_30default_config_static_selectorELNS0_4arch9wavefront6targetE0EEEvSY_
; %bb.0:
	s_clause 0x6
	s_load_dwordx2 s[18:19], s[4:5], 0x10
	s_load_dwordx2 s[16:17], s[4:5], 0x28
	;; [unrolled: 1-line block ×3, first 2 shown]
	s_load_dwordx4 s[12:15], s[4:5], 0x48
	s_load_dword s2, s[4:5], 0x90
	s_load_dwordx2 s[22:23], s[4:5], 0x68
	s_load_dwordx4 s[8:11], s[4:5], 0x80
	v_cmp_eq_u32_e64 s0, 0, v0
	s_and_saveexec_b32 s1, s0
	s_cbranch_execz .LBB492_4
; %bb.1:
	s_mov_b32 s6, exec_lo
	s_mov_b32 s3, exec_lo
	v_mbcnt_lo_u32_b32 v1, s6, 0
                                        ; implicit-def: $vgpr2
	v_cmpx_eq_u32_e32 0, v1
	s_cbranch_execz .LBB492_3
; %bb.2:
	s_load_dwordx2 s[24:25], s[4:5], 0x78
	s_bcnt1_i32_b32 s6, s6
	v_mov_b32_e32 v2, 0
	v_mov_b32_e32 v3, s6
	s_waitcnt lgkmcnt(0)
	global_atomic_add v2, v2, v3, s[24:25] glc
.LBB492_3:
	s_or_b32 exec_lo, exec_lo, s3
	s_waitcnt vmcnt(0)
	v_readfirstlane_b32 s3, v2
	v_mov_b32_e32 v2, 0
	v_add_nc_u32_e32 v1, s3, v1
	ds_write_b32 v2, v1
.LBB492_4:
	s_or_b32 exec_lo, exec_lo, s1
	v_mov_b32_e32 v1, 0
	s_clause 0x1
	s_load_dword s3, s[4:5], 0x8
	s_load_dword s1, s[4:5], 0x70
	s_waitcnt lgkmcnt(0)
	s_barrier
	buffer_gl0_inv
	ds_read_b32 v2, v1
	s_waitcnt lgkmcnt(0)
	s_barrier
	buffer_gl0_inv
	global_load_dwordx2 v[18:19], v1, s[14:15]
	v_lshlrev_b32_e32 v44, 2, v0
	s_add_i32 s4, s3, s18
	s_mul_i32 s5, s1, 0xd00
	s_add_i32 s1, s1, -1
	s_add_i32 s3, s5, s18
	s_sub_i32 s15, s20, s3
	v_readfirstlane_b32 s25, v2
	s_addk_i32 s15, 0xd00
	s_add_u32 s6, s18, s5
	s_addc_u32 s7, s19, 0
	v_cmp_ne_u32_e32 vcc_lo, s1, v2
	v_cmp_gt_u64_e64 s3, s[20:21], s[6:7]
	s_cmp_eq_u32 s25, s1
	s_mul_i32 s24, s25, 0xd00
	s_cselect_b32 s14, -1, 0
	s_mov_b32 s5, -1
	s_or_b32 s3, s3, vcc_lo
	s_and_b32 vcc_lo, exec_lo, s3
	s_cbranch_vccz .LBB492_6
; %bb.5:
	v_add3_u32 v1, s24, s4, v0
	s_mov_b32 s5, 0
	v_add_nc_u32_e32 v2, 0x100, v1
	v_add_nc_u32_e32 v3, 0x200, v1
	;; [unrolled: 1-line block ×12, first 2 shown]
	ds_write2st64_b32 v44, v1, v2 offset1:4
	ds_write2st64_b32 v44, v3, v4 offset0:8 offset1:12
	ds_write2st64_b32 v44, v5, v6 offset0:16 offset1:20
	;; [unrolled: 1-line block ×5, first 2 shown]
	ds_write_b32 v44, v13 offset:12288
	s_waitcnt vmcnt(0) lgkmcnt(0)
	s_barrier
.LBB492_6:
	v_cmp_gt_u32_e64 s1, s15, v0
	v_or_b32_e32 v43, 0x100, v0
	v_or_b32_e32 v42, 0x200, v0
	;; [unrolled: 1-line block ×12, first 2 shown]
	s_andn2_b32 vcc_lo, exec_lo, s5
	s_cbranch_vccnz .LBB492_8
; %bb.7:
	s_add_i32 s4, s24, s4
	v_cmp_gt_u32_e32 vcc_lo, s15, v43
	v_add_nc_u32_e32 v2, s4, v43
	v_add_nc_u32_e32 v3, s4, v42
	;; [unrolled: 1-line block ×5, first 2 shown]
	v_cndmask_b32_e32 v2, 0, v2, vcc_lo
	v_cmp_gt_u32_e32 vcc_lo, s15, v42
	v_add_nc_u32_e32 v7, s4, v38
	v_add_nc_u32_e32 v8, s4, v37
	;; [unrolled: 1-line block ×4, first 2 shown]
	v_cndmask_b32_e32 v3, 0, v3, vcc_lo
	v_cmp_gt_u32_e32 vcc_lo, s15, v41
	v_add_nc_u32_e32 v11, s4, v34
	v_add_nc_u32_e32 v1, s4, v0
	;; [unrolled: 1-line block ×4, first 2 shown]
	v_cndmask_b32_e32 v4, 0, v4, vcc_lo
	v_cmp_gt_u32_e32 vcc_lo, s15, v40
	v_cndmask_b32_e64 v1, 0, v1, s1
	v_cndmask_b32_e32 v5, 0, v5, vcc_lo
	v_cmp_gt_u32_e32 vcc_lo, s15, v39
	v_cndmask_b32_e32 v6, 0, v6, vcc_lo
	v_cmp_gt_u32_e32 vcc_lo, s15, v38
	;; [unrolled: 2-line block ×8, first 2 shown]
	v_cndmask_b32_e32 v13, 0, v13, vcc_lo
	ds_write2st64_b32 v44, v1, v2 offset1:4
	ds_write2st64_b32 v44, v3, v4 offset0:8 offset1:12
	ds_write2st64_b32 v44, v5, v6 offset0:16 offset1:20
	;; [unrolled: 1-line block ×5, first 2 shown]
	ds_write_b32 v44, v13 offset:12288
	s_waitcnt vmcnt(0) lgkmcnt(0)
	s_barrier
.LBB492_8:
	v_mul_u32_u24_e32 v47, 13, v0
	s_waitcnt vmcnt(0)
	buffer_gl0_inv
	v_cndmask_b32_e64 v45, 0, 1, s3
	s_andn2_b32 vcc_lo, exec_lo, s3
	v_lshlrev_b32_e32 v1, 2, v47
	ds_read2_b32 v[28:29], v1 offset0:2 offset1:3
	ds_read2_b32 v[24:25], v1 offset0:6 offset1:7
	;; [unrolled: 1-line block ×3, first 2 shown]
	ds_read2_b32 v[30:31], v1 offset1:1
	ds_read2_b32 v[20:21], v1 offset0:10 offset1:11
	ds_read_b32 v46, v1 offset:48
	ds_read2_b32 v[22:23], v1 offset0:8 offset1:9
	s_waitcnt lgkmcnt(0)
	s_barrier
	buffer_gl0_inv
	s_cbranch_vccnz .LBB492_10
; %bb.9:
	v_add_nc_u32_e32 v1, s9, v29
	v_add_nc_u32_e32 v4, s9, v28
	;; [unrolled: 1-line block ×6, first 2 shown]
	v_mul_lo_u32 v4, v4, s8
	v_mul_lo_u32 v1, v1, s8
	;; [unrolled: 1-line block ×4, first 2 shown]
	v_add_nc_u32_e32 v3, s9, v30
	v_add_nc_u32_e32 v7, s11, v30
	v_mul_lo_u32 v2, v2, s8
	v_mul_lo_u32 v6, v6, s10
	v_add_nc_u32_e32 v10, s11, v27
	v_mul_lo_u32 v3, v3, s8
	v_mul_lo_u32 v7, v7, s10
	v_sub_nc_u32_e32 v1, v1, v5
	v_sub_nc_u32_e32 v4, v4, v8
	v_add_nc_u32_e32 v5, s9, v25
	v_add_nc_u32_e32 v8, s11, v25
	v_sub_nc_u32_e32 v2, v2, v6
	v_add_nc_u32_e32 v6, s9, v27
	v_add_nc_u32_e32 v9, s9, v24
	v_mul_lo_u32 v5, v5, s8
	v_mul_lo_u32 v8, v8, s10
	v_sub_nc_u32_e32 v3, v3, v7
	v_add_nc_u32_e32 v7, s9, v26
	v_add_nc_u32_e32 v11, s11, v24
	v_mul_lo_u32 v6, v6, s8
	v_mul_lo_u32 v10, v10, s10
	v_add_nc_u32_e32 v12, s11, v26
	v_mul_lo_u32 v9, v9, s8
	v_mul_lo_u32 v7, v7, s8
	;; [unrolled: 1-line block ×3, first 2 shown]
	v_sub_nc_u32_e32 v5, v5, v8
	v_mul_lo_u32 v8, v12, s10
	v_cmp_lt_u32_e32 vcc_lo, s2, v1
	v_sub_nc_u32_e32 v6, v6, v10
	v_add_nc_u32_e32 v10, s9, v21
	v_add_nc_u32_e32 v14, s11, v21
	;; [unrolled: 1-line block ×3, first 2 shown]
	v_cndmask_b32_e64 v1, 0, 1, vcc_lo
	v_cmp_lt_u32_e32 vcc_lo, s2, v2
	v_sub_nc_u32_e32 v7, v7, v8
	v_sub_nc_u32_e32 v8, v9, v11
	v_add_nc_u32_e32 v11, s9, v23
	v_mul_lo_u32 v10, v10, s8
	v_mul_lo_u32 v14, v14, s10
	v_cndmask_b32_e64 v2, 0, 1, vcc_lo
	v_cmp_lt_u32_e32 vcc_lo, s2, v5
	v_mul_lo_u32 v11, v11, s8
	v_mul_lo_u32 v15, v15, s10
	v_mov_b32_e32 v9, 8
	v_lshlrev_b16 v2, 8, v2
	v_cndmask_b32_e64 v5, 0, 1, vcc_lo
	v_cmp_lt_u32_e32 vcc_lo, s2, v6
	v_sub_nc_u32_e32 v10, v10, v14
	v_add_nc_u32_e32 v12, s9, v22
	v_add_nc_u32_e32 v16, s11, v22
	v_sub_nc_u32_e32 v11, v11, v15
	v_cndmask_b32_e64 v6, 0, 1, vcc_lo
	v_cmp_lt_u32_e32 vcc_lo, s2, v10
	v_lshrrev_b32_sdwa v2, v9, v2 dst_sel:BYTE_1 dst_unused:UNUSED_PAD src0_sel:DWORD src1_sel:DWORD
	v_add_nc_u32_e32 v13, s9, v20
	v_add_nc_u32_e32 v17, s11, v20
	v_mul_lo_u32 v12, v12, s8
	v_cndmask_b32_e64 v10, 0, 1, vcc_lo
	v_cmp_lt_u32_e32 vcc_lo, s2, v11
	v_mul_lo_u32 v16, v16, s10
	v_mul_lo_u32 v13, v13, s8
	;; [unrolled: 1-line block ×3, first 2 shown]
	v_add_nc_u32_e32 v14, s9, v46
	v_cndmask_b32_e64 v11, 0, 1, vcc_lo
	v_cmp_lt_u32_e32 vcc_lo, s2, v3
	v_add_nc_u32_e32 v15, s11, v46
	v_lshlrev_b16 v1, 8, v1
	v_sub_nc_u32_e32 v12, v12, v16
	v_lshlrev_b16 v11, 8, v11
	v_cndmask_b32_e64 v3, 0, 1, vcc_lo
	v_cmp_lt_u32_e32 vcc_lo, s2, v4
	v_sub_nc_u32_e32 v13, v13, v17
	v_mul_lo_u32 v14, v14, s8
	v_mul_lo_u32 v15, v15, s10
	v_or_b32_e32 v2, v3, v2
	v_cndmask_b32_e64 v3, 0, 1, vcc_lo
	v_cmp_lt_u32_e32 vcc_lo, s2, v7
	v_lshlrev_b16 v6, 8, v6
	v_lshlrev_b16 v10, 8, v10
	;; [unrolled: 1-line block ×3, first 2 shown]
	v_lshrrev_b32_sdwa v1, v9, v1 dst_sel:BYTE_1 dst_unused:UNUSED_PAD src0_sel:DWORD src1_sel:DWORD
	v_cndmask_b32_e64 v4, 0, 1, vcc_lo
	v_cmp_lt_u32_e32 vcc_lo, s2, v8
	v_lshrrev_b32_sdwa v8, v9, v11 dst_sel:BYTE_1 dst_unused:UNUSED_PAD src0_sel:DWORD src1_sel:DWORD
	v_lshrrev_b32_sdwa v6, v9, v6 dst_sel:BYTE_1 dst_unused:UNUSED_PAD src0_sel:DWORD src1_sel:DWORD
	v_sub_nc_u32_e32 v14, v14, v15
	v_lshrrev_b32_sdwa v9, v9, v10 dst_sel:BYTE_1 dst_unused:UNUSED_PAD src0_sel:DWORD src1_sel:DWORD
	v_cndmask_b32_e64 v7, 0, 1, vcc_lo
	v_cmp_lt_u32_e32 vcc_lo, s2, v12
	v_or_b32_sdwa v1, v3, v1 dst_sel:WORD_1 dst_unused:UNUSED_PAD src0_sel:DWORD src1_sel:DWORD
	v_or_b32_e32 v3, v4, v6
	v_or_b32_sdwa v4, v7, v5 dst_sel:WORD_1 dst_unused:UNUSED_PAD src0_sel:DWORD src1_sel:DWORD
	v_cndmask_b32_e64 v11, 0, 1, vcc_lo
	v_cmp_lt_u32_e32 vcc_lo, s2, v13
	v_or_b32_sdwa v52, v2, v1 dst_sel:DWORD dst_unused:UNUSED_PAD src0_sel:WORD_0 src1_sel:DWORD
	v_or_b32_sdwa v50, v3, v4 dst_sel:DWORD dst_unused:UNUSED_PAD src0_sel:WORD_0 src1_sel:DWORD
	v_or_b32_e32 v5, v11, v8
	v_cndmask_b32_e64 v10, 0, 1, vcc_lo
	v_cmp_lt_u32_e32 vcc_lo, s2, v14
	v_or_b32_sdwa v6, v10, v9 dst_sel:WORD_1 dst_unused:UNUSED_PAD src0_sel:DWORD src1_sel:DWORD
	v_cndmask_b32_e64 v48, 0, 1, vcc_lo
	v_or_b32_sdwa v49, v5, v6 dst_sel:DWORD dst_unused:UNUSED_PAD src0_sel:WORD_0 src1_sel:DWORD
	s_cbranch_execz .LBB492_11
	s_branch .LBB492_38
.LBB492_10:
                                        ; implicit-def: $vgpr48
                                        ; implicit-def: $vgpr49
                                        ; implicit-def: $vgpr50
                                        ; implicit-def: $vgpr52
.LBB492_11:
	v_mov_b32_e32 v2, 0
	v_mov_b32_e32 v1, 0
	s_mov_b32 s1, exec_lo
	v_cmpx_gt_u32_e64 s15, v47
	s_cbranch_execz .LBB492_13
; %bb.12:
	v_add_nc_u32_e32 v1, s9, v30
	v_add_nc_u32_e32 v3, s11, v30
	v_mul_lo_u32 v1, v1, s8
	v_mul_lo_u32 v3, v3, s10
	v_sub_nc_u32_e32 v1, v1, v3
	v_cmp_lt_u32_e32 vcc_lo, s2, v1
	v_cndmask_b32_e64 v1, 0, 1, vcc_lo
.LBB492_13:
	s_or_b32 exec_lo, exec_lo, s1
	v_add_nc_u32_e32 v3, 1, v47
	s_mov_b32 s1, exec_lo
	v_cmpx_gt_u32_e64 s15, v3
	s_cbranch_execz .LBB492_15
; %bb.14:
	v_add_nc_u32_e32 v2, s9, v31
	v_add_nc_u32_e32 v3, s11, v31
	v_mul_lo_u32 v2, v2, s8
	v_mul_lo_u32 v3, v3, s10
	v_sub_nc_u32_e32 v2, v2, v3
	v_cmp_lt_u32_e32 vcc_lo, s2, v2
	v_cndmask_b32_e64 v2, 0, 1, vcc_lo
.LBB492_15:
	s_or_b32 exec_lo, exec_lo, s1
	v_add_nc_u32_e32 v3, 2, v47
	v_mov_b32_e32 v4, 0
	v_cmp_gt_u32_e32 vcc_lo, s15, v3
	v_mov_b32_e32 v3, 0
	s_and_saveexec_b32 s1, vcc_lo
	s_cbranch_execz .LBB492_17
; %bb.16:
	v_add_nc_u32_e32 v3, s9, v28
	v_add_nc_u32_e32 v5, s11, v28
	v_mul_lo_u32 v3, v3, s8
	v_mul_lo_u32 v5, v5, s10
	v_sub_nc_u32_e32 v3, v3, v5
	v_cmp_lt_u32_e32 vcc_lo, s2, v3
	v_cndmask_b32_e64 v3, 0, 1, vcc_lo
.LBB492_17:
	s_or_b32 exec_lo, exec_lo, s1
	v_add_nc_u32_e32 v5, 3, v47
	s_mov_b32 s1, exec_lo
	v_cmpx_gt_u32_e64 s15, v5
	s_cbranch_execz .LBB492_19
; %bb.18:
	v_add_nc_u32_e32 v4, s9, v29
	v_add_nc_u32_e32 v5, s11, v29
	v_mul_lo_u32 v4, v4, s8
	v_mul_lo_u32 v5, v5, s10
	v_sub_nc_u32_e32 v4, v4, v5
	v_cmp_lt_u32_e32 vcc_lo, s2, v4
	v_cndmask_b32_e64 v4, 0, 1, vcc_lo
.LBB492_19:
	s_or_b32 exec_lo, exec_lo, s1
	v_add_nc_u32_e32 v5, 4, v47
	v_mov_b32_e32 v6, 0
	v_cmp_gt_u32_e32 vcc_lo, s15, v5
	v_mov_b32_e32 v5, 0
	s_and_saveexec_b32 s1, vcc_lo
	;; [unrolled: 30-line block ×5, first 2 shown]
	s_cbranch_execz .LBB492_33
; %bb.32:
	v_add_nc_u32_e32 v11, s9, v20
	v_add_nc_u32_e32 v13, s11, v20
	v_mul_lo_u32 v11, v11, s8
	v_mul_lo_u32 v13, v13, s10
	v_sub_nc_u32_e32 v11, v11, v13
	v_cmp_lt_u32_e32 vcc_lo, s2, v11
	v_cndmask_b32_e64 v11, 0, 1, vcc_lo
.LBB492_33:
	s_or_b32 exec_lo, exec_lo, s1
	v_add_nc_u32_e32 v13, 11, v47
	s_mov_b32 s1, exec_lo
	v_cmpx_gt_u32_e64 s15, v13
	s_cbranch_execz .LBB492_35
; %bb.34:
	v_add_nc_u32_e32 v12, s9, v21
	v_add_nc_u32_e32 v13, s11, v21
	v_mul_lo_u32 v12, v12, s8
	v_mul_lo_u32 v13, v13, s10
	v_sub_nc_u32_e32 v12, v12, v13
	v_cmp_lt_u32_e32 vcc_lo, s2, v12
	v_cndmask_b32_e64 v12, 0, 1, vcc_lo
.LBB492_35:
	s_or_b32 exec_lo, exec_lo, s1
	v_add_nc_u32_e32 v13, 12, v47
	v_mov_b32_e32 v48, 0
	s_mov_b32 s1, exec_lo
	v_cmpx_gt_u32_e64 s15, v13
	s_cbranch_execz .LBB492_37
; %bb.36:
	v_add_nc_u32_e32 v13, s9, v46
	v_add_nc_u32_e32 v14, s11, v46
	v_mul_lo_u32 v13, v13, s8
	v_mul_lo_u32 v14, v14, s10
	v_sub_nc_u32_e32 v13, v13, v14
	v_cmp_lt_u32_e32 vcc_lo, s2, v13
	v_cndmask_b32_e64 v48, 0, 1, vcc_lo
.LBB492_37:
	s_or_b32 exec_lo, exec_lo, s1
	v_lshlrev_b16 v2, 8, v2
	v_lshlrev_b16 v4, 8, v4
	;; [unrolled: 1-line block ×5, first 2 shown]
	v_or_b32_e32 v1, v1, v2
	v_lshlrev_b16 v2, 8, v12
	v_or_b32_sdwa v3, v3, v4 dst_sel:WORD_1 dst_unused:UNUSED_PAD src0_sel:DWORD src1_sel:DWORD
	v_or_b32_e32 v4, v5, v6
	v_or_b32_sdwa v5, v7, v8 dst_sel:WORD_1 dst_unused:UNUSED_PAD src0_sel:DWORD src1_sel:DWORD
	v_or_b32_e32 v6, v9, v10
	v_or_b32_sdwa v2, v11, v2 dst_sel:WORD_1 dst_unused:UNUSED_PAD src0_sel:DWORD src1_sel:DWORD
	v_or_b32_sdwa v52, v1, v3 dst_sel:DWORD dst_unused:UNUSED_PAD src0_sel:WORD_0 src1_sel:DWORD
	v_or_b32_sdwa v50, v4, v5 dst_sel:DWORD dst_unused:UNUSED_PAD src0_sel:WORD_0 src1_sel:DWORD
	;; [unrolled: 1-line block ×3, first 2 shown]
.LBB492_38:
	v_and_b32_e32 v55, 0xff, v52
	v_bfe_u32 v56, v52, 8, 8
	v_bfe_u32 v57, v52, 16, 8
	v_lshrrev_b32_e32 v54, 24, v52
	v_and_b32_e32 v58, 0xff, v50
	v_bfe_u32 v59, v50, 8, 8
	v_bfe_u32 v60, v50, 16, 8
	v_add3_u32 v1, v56, v55, v57
	v_lshrrev_b32_e32 v53, 24, v50
	v_and_b32_e32 v61, 0xff, v49
	v_bfe_u32 v62, v49, 8, 8
	v_mbcnt_lo_u32_b32 v64, -1, 0
	v_add3_u32 v1, v1, v54, v58
	v_bfe_u32 v63, v49, 16, 8
	v_lshrrev_b32_e32 v51, 24, v49
	v_and_b32_e32 v2, 0xff, v48
	v_and_b32_e32 v3, 15, v64
	v_add3_u32 v1, v1, v59, v60
	v_or_b32_e32 v4, 31, v0
	v_and_b32_e32 v5, 16, v64
	v_lshrrev_b32_e32 v65, 5, v0
	v_cmp_eq_u32_e64 s6, 0, v3
	v_add3_u32 v1, v1, v53, v61
	v_cmp_lt_u32_e64 s5, 1, v3
	v_cmp_lt_u32_e64 s4, 3, v3
	;; [unrolled: 1-line block ×3, first 2 shown]
	v_cmp_eq_u32_e64 s2, 0, v5
	v_add3_u32 v1, v1, v62, v63
	v_cmp_eq_u32_e64 s1, v0, v4
	s_cmp_lg_u32 s25, 0
	s_mov_b32 s7, -1
	v_add3_u32 v66, v1, v51, v2
	s_cbranch_scc0 .LBB492_60
; %bb.39:
	v_mov_b32_dpp v1, v66 row_shr:1 row_mask:0xf bank_mask:0xf
	v_cndmask_b32_e64 v1, v1, 0, s6
	v_add_nc_u32_e32 v1, v1, v66
	v_mov_b32_dpp v2, v1 row_shr:2 row_mask:0xf bank_mask:0xf
	v_cndmask_b32_e64 v2, 0, v2, s5
	v_add_nc_u32_e32 v1, v1, v2
	;; [unrolled: 3-line block ×4, first 2 shown]
	ds_swizzle_b32 v2, v1 offset:swizzle(BROADCAST,32,15)
	s_waitcnt lgkmcnt(0)
	v_cndmask_b32_e64 v2, v2, 0, s2
	v_add_nc_u32_e32 v1, v1, v2
	s_and_saveexec_b32 s7, s1
; %bb.40:
	v_lshlrev_b32_e32 v2, 2, v65
	ds_write_b32 v2, v1
; %bb.41:
	s_or_b32 exec_lo, exec_lo, s7
	s_mov_b32 s7, exec_lo
	s_waitcnt lgkmcnt(0)
	s_barrier
	buffer_gl0_inv
	v_cmpx_gt_u32_e32 8, v0
	s_cbranch_execz .LBB492_43
; %bb.42:
	ds_read_b32 v2, v44
	v_and_b32_e32 v3, 7, v64
	v_cmp_ne_u32_e32 vcc_lo, 0, v3
	s_waitcnt lgkmcnt(0)
	v_mov_b32_dpp v4, v2 row_shr:1 row_mask:0xf bank_mask:0xf
	v_cndmask_b32_e32 v4, 0, v4, vcc_lo
	v_cmp_lt_u32_e32 vcc_lo, 1, v3
	v_add_nc_u32_e32 v2, v4, v2
	v_mov_b32_dpp v4, v2 row_shr:2 row_mask:0xf bank_mask:0xf
	v_cndmask_b32_e32 v4, 0, v4, vcc_lo
	v_cmp_lt_u32_e32 vcc_lo, 3, v3
	v_add_nc_u32_e32 v2, v2, v4
	v_mov_b32_dpp v4, v2 row_shr:4 row_mask:0xf bank_mask:0xf
	v_cndmask_b32_e32 v3, 0, v4, vcc_lo
	v_add_nc_u32_e32 v2, v2, v3
	ds_write_b32 v44, v2
.LBB492_43:
	s_or_b32 exec_lo, exec_lo, s7
	s_mov_b32 s8, exec_lo
	v_cmp_gt_u32_e32 vcc_lo, 32, v0
	s_waitcnt lgkmcnt(0)
	s_barrier
	buffer_gl0_inv
                                        ; implicit-def: $vgpr10
	v_cmpx_lt_u32_e32 31, v0
	s_cbranch_execz .LBB492_45
; %bb.44:
	v_lshl_add_u32 v2, v65, 2, -4
	ds_read_b32 v10, v2
	s_waitcnt lgkmcnt(0)
	v_add_nc_u32_e32 v1, v10, v1
.LBB492_45:
	s_or_b32 exec_lo, exec_lo, s8
	v_sub_co_u32 v2, s7, v64, 1
	v_cmp_gt_i32_e64 s8, 0, v2
	v_cndmask_b32_e64 v2, v2, v64, s8
	v_lshlrev_b32_e32 v2, 2, v2
	ds_bpermute_b32 v11, v2, v1
	s_and_saveexec_b32 s8, vcc_lo
	s_cbranch_execz .LBB492_65
; %bb.46:
	v_mov_b32_e32 v7, 0
	ds_read_b32 v1, v7 offset:28
	s_and_saveexec_b32 s9, s7
	s_cbranch_execz .LBB492_48
; %bb.47:
	s_add_i32 s10, s25, 32
	s_mov_b32 s11, 0
	v_mov_b32_e32 v2, 1
	s_lshl_b64 s[10:11], s[10:11], 3
	s_add_u32 s10, s22, s10
	s_addc_u32 s11, s23, s11
	s_waitcnt lgkmcnt(0)
	global_store_dwordx2 v7, v[1:2], s[10:11]
.LBB492_48:
	s_or_b32 exec_lo, exec_lo, s9
	v_xad_u32 v3, v64, -1, s25
	s_mov_b32 s10, 0
	v_add_nc_u32_e32 v6, 32, v3
	v_lshlrev_b64 v[4:5], 3, v[6:7]
	v_add_co_u32 v8, vcc_lo, s22, v4
	v_add_co_ci_u32_e64 v9, null, s23, v5, vcc_lo
	global_load_dwordx2 v[5:6], v[8:9], off glc dlc
	s_waitcnt vmcnt(0)
	v_cmp_eq_u16_sdwa s11, v6, v7 src0_sel:BYTE_0 src1_sel:DWORD
	s_and_saveexec_b32 s9, s11
	s_cbranch_execz .LBB492_52
; %bb.49:
	v_mov_b32_e32 v2, 0
.LBB492_50:                             ; =>This Inner Loop Header: Depth=1
	global_load_dwordx2 v[5:6], v[8:9], off glc dlc
	s_waitcnt vmcnt(0)
	v_cmp_ne_u16_sdwa s11, v6, v2 src0_sel:BYTE_0 src1_sel:DWORD
	s_or_b32 s10, s11, s10
	s_andn2_b32 exec_lo, exec_lo, s10
	s_cbranch_execnz .LBB492_50
; %bb.51:
	s_or_b32 exec_lo, exec_lo, s10
.LBB492_52:
	s_or_b32 exec_lo, exec_lo, s9
	v_cmp_ne_u32_e32 vcc_lo, 31, v64
	v_mov_b32_e32 v12, 2
	v_lshlrev_b32_e64 v13, v64, -1
	v_add_nc_u32_e32 v15, 2, v64
	v_add_nc_u32_e32 v17, 4, v64
	v_add_co_ci_u32_e64 v2, null, 0, v64, vcc_lo
	v_cmp_eq_u16_sdwa s9, v6, v12 src0_sel:BYTE_0 src1_sel:DWORD
	v_cmp_gt_u32_e32 vcc_lo, 30, v64
	v_add_nc_u32_e32 v68, 8, v64
	v_lshlrev_b32_e32 v9, 2, v2
	v_lshl_or_b32 v69, v64, 2, 64
	v_and_or_b32 v4, s9, v13, 0x80000000
	v_cndmask_b32_e64 v7, 0, 2, vcc_lo
	v_add_nc_u32_e32 v70, 16, v64
	ds_bpermute_b32 v2, v9, v5
	v_ffbl_b32_e32 v4, v4
	v_add_lshl_u32 v14, v7, v64, 2
	v_cmp_lt_u32_e32 vcc_lo, v64, v4
	s_waitcnt lgkmcnt(0)
	v_cndmask_b32_e32 v2, 0, v2, vcc_lo
	v_cmp_gt_u32_e32 vcc_lo, 28, v64
	v_add_nc_u32_e32 v2, v2, v5
	v_cndmask_b32_e64 v7, 0, 4, vcc_lo
	v_cmp_le_u32_e32 vcc_lo, v15, v4
	ds_bpermute_b32 v5, v14, v2
	v_add_lshl_u32 v16, v7, v64, 2
	s_waitcnt lgkmcnt(0)
	v_cndmask_b32_e32 v5, 0, v5, vcc_lo
	v_cmp_gt_u32_e32 vcc_lo, 24, v64
	v_add_nc_u32_e32 v2, v2, v5
	v_cndmask_b32_e64 v7, 0, 8, vcc_lo
	v_cmp_le_u32_e32 vcc_lo, v17, v4
	ds_bpermute_b32 v5, v16, v2
	v_add_lshl_u32 v67, v7, v64, 2
	s_waitcnt lgkmcnt(0)
	v_cndmask_b32_e32 v5, 0, v5, vcc_lo
	v_cmp_le_u32_e32 vcc_lo, v68, v4
	v_add_nc_u32_e32 v2, v2, v5
	ds_bpermute_b32 v5, v67, v2
	s_waitcnt lgkmcnt(0)
	v_cndmask_b32_e32 v5, 0, v5, vcc_lo
	v_cmp_le_u32_e32 vcc_lo, v70, v4
	v_add_nc_u32_e32 v2, v2, v5
	ds_bpermute_b32 v5, v69, v2
	s_waitcnt lgkmcnt(0)
	v_cndmask_b32_e32 v4, 0, v5, vcc_lo
	v_add_nc_u32_e32 v5, v2, v4
	v_mov_b32_e32 v4, 0
	s_branch .LBB492_56
.LBB492_53:                             ;   in Loop: Header=BB492_56 Depth=1
	s_or_b32 exec_lo, exec_lo, s10
.LBB492_54:                             ;   in Loop: Header=BB492_56 Depth=1
	s_or_b32 exec_lo, exec_lo, s9
	ds_bpermute_b32 v7, v9, v5
	v_cmp_eq_u16_sdwa s9, v6, v12 src0_sel:BYTE_0 src1_sel:DWORD
	v_subrev_nc_u32_e32 v3, 32, v3
	v_and_or_b32 v8, s9, v13, 0x80000000
	s_mov_b32 s9, 0
	v_ffbl_b32_e32 v8, v8
	v_cmp_lt_u32_e32 vcc_lo, v64, v8
	s_waitcnt lgkmcnt(0)
	v_cndmask_b32_e32 v7, 0, v7, vcc_lo
	v_cmp_le_u32_e32 vcc_lo, v15, v8
	v_add_nc_u32_e32 v5, v7, v5
	ds_bpermute_b32 v7, v14, v5
	s_waitcnt lgkmcnt(0)
	v_cndmask_b32_e32 v7, 0, v7, vcc_lo
	v_cmp_le_u32_e32 vcc_lo, v17, v8
	v_add_nc_u32_e32 v5, v5, v7
	ds_bpermute_b32 v7, v16, v5
	;; [unrolled: 5-line block ×4, first 2 shown]
	s_waitcnt lgkmcnt(0)
	v_cndmask_b32_e32 v7, 0, v7, vcc_lo
	v_add3_u32 v5, v7, v2, v5
.LBB492_55:                             ;   in Loop: Header=BB492_56 Depth=1
	s_and_b32 vcc_lo, exec_lo, s9
	s_cbranch_vccnz .LBB492_61
.LBB492_56:                             ; =>This Loop Header: Depth=1
                                        ;     Child Loop BB492_59 Depth 2
	v_cmp_ne_u16_sdwa s9, v6, v12 src0_sel:BYTE_0 src1_sel:DWORD
	v_mov_b32_e32 v2, v5
                                        ; implicit-def: $vgpr5
                                        ; implicit-def: $vgpr6
	s_cmp_lg_u32 s9, exec_lo
	s_mov_b32 s9, -1
	s_cbranch_scc1 .LBB492_55
; %bb.57:                               ;   in Loop: Header=BB492_56 Depth=1
	v_lshlrev_b64 v[5:6], 3, v[3:4]
	v_add_co_u32 v7, vcc_lo, s22, v5
	v_add_co_ci_u32_e64 v8, null, s23, v6, vcc_lo
	global_load_dwordx2 v[5:6], v[7:8], off glc dlc
	s_waitcnt vmcnt(0)
	v_cmp_eq_u16_sdwa s10, v6, v4 src0_sel:BYTE_0 src1_sel:DWORD
	s_and_saveexec_b32 s9, s10
	s_cbranch_execz .LBB492_54
; %bb.58:                               ;   in Loop: Header=BB492_56 Depth=1
	s_mov_b32 s10, 0
.LBB492_59:                             ;   Parent Loop BB492_56 Depth=1
                                        ; =>  This Inner Loop Header: Depth=2
	global_load_dwordx2 v[5:6], v[7:8], off glc dlc
	s_waitcnt vmcnt(0)
	v_cmp_ne_u16_sdwa s11, v6, v4 src0_sel:BYTE_0 src1_sel:DWORD
	s_or_b32 s10, s11, s10
	s_andn2_b32 exec_lo, exec_lo, s10
	s_cbranch_execnz .LBB492_59
	s_branch .LBB492_53
.LBB492_60:
                                        ; implicit-def: $vgpr17
                                        ; implicit-def: $vgpr1_vgpr2_vgpr3_vgpr4_vgpr5_vgpr6_vgpr7_vgpr8_vgpr9_vgpr10_vgpr11_vgpr12_vgpr13_vgpr14_vgpr15_vgpr16
	s_and_b32 vcc_lo, exec_lo, s7
	s_cbranch_vccnz .LBB492_66
	s_branch .LBB492_75
.LBB492_61:
	s_and_saveexec_b32 s9, s7
	s_cbranch_execz .LBB492_63
; %bb.62:
	s_add_i32 s10, s25, 32
	s_mov_b32 s11, 0
	v_add_nc_u32_e32 v3, v2, v1
	v_mov_b32_e32 v4, 2
	s_lshl_b64 s[10:11], s[10:11], 3
	v_mov_b32_e32 v5, 0
	s_add_u32 s10, s22, s10
	s_addc_u32 s11, s23, s11
	global_store_dwordx2 v5, v[3:4], s[10:11]
	ds_write_b64 v5, v[1:2] offset:13312
.LBB492_63:
	s_or_b32 exec_lo, exec_lo, s9
	s_and_b32 exec_lo, exec_lo, s0
; %bb.64:
	v_mov_b32_e32 v1, 0
	ds_write_b32 v1, v2 offset:28
.LBB492_65:
	s_or_b32 exec_lo, exec_lo, s8
	v_mov_b32_e32 v12, 0
	s_waitcnt lgkmcnt(0)
	s_waitcnt_vscnt null, 0x0
	s_barrier
	buffer_gl0_inv
	v_cndmask_b32_e64 v2, v11, v10, s7
	ds_read_b32 v1, v12 offset:28
	s_waitcnt lgkmcnt(0)
	s_barrier
	buffer_gl0_inv
	v_cndmask_b32_e64 v2, v2, 0, s0
	ds_read_b64 v[16:17], v12 offset:13312
	v_add_nc_u32_e32 v1, v1, v2
	v_add_nc_u32_e32 v2, v1, v55
	;; [unrolled: 1-line block ×13, first 2 shown]
	s_branch .LBB492_75
.LBB492_66:
	v_mov_b32_dpp v1, v66 row_shr:1 row_mask:0xf bank_mask:0xf
	v_cndmask_b32_e64 v1, v1, 0, s6
	v_add_nc_u32_e32 v1, v1, v66
	v_mov_b32_dpp v2, v1 row_shr:2 row_mask:0xf bank_mask:0xf
	v_cndmask_b32_e64 v2, 0, v2, s5
	v_add_nc_u32_e32 v1, v1, v2
	;; [unrolled: 3-line block ×4, first 2 shown]
	ds_swizzle_b32 v2, v1 offset:swizzle(BROADCAST,32,15)
	s_waitcnt lgkmcnt(0)
	v_cndmask_b32_e64 v2, v2, 0, s2
	v_add_nc_u32_e32 v1, v1, v2
	s_and_saveexec_b32 s2, s1
; %bb.67:
	v_lshlrev_b32_e32 v2, 2, v65
	ds_write_b32 v2, v1
; %bb.68:
	s_or_b32 exec_lo, exec_lo, s2
	s_mov_b32 s1, exec_lo
	s_waitcnt lgkmcnt(0)
	s_barrier
	buffer_gl0_inv
	v_cmpx_gt_u32_e32 8, v0
	s_cbranch_execz .LBB492_70
; %bb.69:
	ds_read_b32 v2, v44
	v_and_b32_e32 v3, 7, v64
	v_cmp_ne_u32_e32 vcc_lo, 0, v3
	s_waitcnt lgkmcnt(0)
	v_mov_b32_dpp v4, v2 row_shr:1 row_mask:0xf bank_mask:0xf
	v_cndmask_b32_e32 v4, 0, v4, vcc_lo
	v_cmp_lt_u32_e32 vcc_lo, 1, v3
	v_add_nc_u32_e32 v2, v4, v2
	v_mov_b32_dpp v4, v2 row_shr:2 row_mask:0xf bank_mask:0xf
	v_cndmask_b32_e32 v4, 0, v4, vcc_lo
	v_cmp_lt_u32_e32 vcc_lo, 3, v3
	v_add_nc_u32_e32 v2, v2, v4
	v_mov_b32_dpp v4, v2 row_shr:4 row_mask:0xf bank_mask:0xf
	v_cndmask_b32_e32 v3, 0, v4, vcc_lo
	v_add_nc_u32_e32 v2, v2, v3
	ds_write_b32 v44, v2
.LBB492_70:
	s_or_b32 exec_lo, exec_lo, s1
	v_mov_b32_e32 v3, 0
	v_mov_b32_e32 v2, 0
	s_mov_b32 s1, exec_lo
	s_waitcnt lgkmcnt(0)
	s_barrier
	buffer_gl0_inv
	v_cmpx_lt_u32_e32 31, v0
; %bb.71:
	v_lshl_add_u32 v2, v65, 2, -4
	ds_read_b32 v2, v2
; %bb.72:
	s_or_b32 exec_lo, exec_lo, s1
	v_sub_co_u32 v4, vcc_lo, v64, 1
	s_waitcnt lgkmcnt(0)
	v_add_nc_u32_e32 v1, v2, v1
	ds_read_b32 v16, v3 offset:28
	v_cmp_gt_i32_e64 s1, 0, v4
	v_cndmask_b32_e64 v4, v4, v64, s1
	v_lshlrev_b32_e32 v4, 2, v4
	ds_bpermute_b32 v1, v4, v1
	s_and_saveexec_b32 s1, s0
	s_cbranch_execz .LBB492_74
; %bb.73:
	v_mov_b32_e32 v3, 0
	v_mov_b32_e32 v17, 2
	s_waitcnt lgkmcnt(1)
	global_store_dwordx2 v3, v[16:17], s[22:23] offset:256
.LBB492_74:
	s_or_b32 exec_lo, exec_lo, s1
	s_waitcnt lgkmcnt(0)
	v_cndmask_b32_e32 v1, v1, v2, vcc_lo
	v_mov_b32_e32 v17, 0
	s_waitcnt_vscnt null, 0x0
	s_barrier
	buffer_gl0_inv
	v_cndmask_b32_e64 v1, v1, 0, s0
	v_add_nc_u32_e32 v2, v1, v55
	v_add_nc_u32_e32 v3, v2, v56
	;; [unrolled: 1-line block ×12, first 2 shown]
.LBB492_75:
	s_waitcnt lgkmcnt(0)
	v_add_nc_u32_e32 v47, v16, v47
	v_sub_nc_u32_e32 v1, v1, v17
	v_and_b32_e32 v56, 1, v52
	v_lshrrev_b32_e32 v55, 8, v52
	v_sub_nc_u32_e32 v2, v2, v17
	v_sub_nc_u32_e32 v3, v3, v17
	;; [unrolled: 1-line block ×3, first 2 shown]
	v_cmp_eq_u32_e32 vcc_lo, 1, v56
	v_and_b32_e32 v55, 1, v55
	v_mov_b32_e32 v58, 1
	v_sub_nc_u32_e32 v56, v47, v2
	v_sub_nc_u32_e32 v4, v4, v17
	v_cndmask_b32_e32 v1, v57, v1, vcc_lo
	v_sub_nc_u32_e32 v57, v47, v3
	v_and_b32_sdwa v52, v58, v52 dst_sel:DWORD dst_unused:UNUSED_PAD src0_sel:DWORD src1_sel:WORD_1
	v_add_nc_u32_e32 v56, 1, v56
	v_cmp_eq_u32_e32 vcc_lo, 1, v55
	v_lshlrev_b32_e32 v1, 2, v1
	v_and_b32_e32 v54, 1, v54
	v_sub_nc_u32_e32 v59, v47, v4
	v_add_nc_u32_e32 v57, 2, v57
	v_lshrrev_b32_e32 v15, 8, v50
	ds_write_b32 v1, v30
	v_cndmask_b32_e32 v1, v56, v2, vcc_lo
	v_cmp_eq_u32_e32 vcc_lo, 1, v52
	v_add_nc_u32_e32 v59, 3, v59
	v_lshrrev_b32_e32 v14, 8, v49
	v_lshlrev_b32_e32 v1, 2, v1
	v_cndmask_b32_e32 v2, v57, v3, vcc_lo
	v_cmp_eq_u32_e32 vcc_lo, 1, v54
	ds_write_b32 v1, v31
	v_lshlrev_b32_e32 v2, 2, v2
	v_cndmask_b32_e32 v3, v59, v4, vcc_lo
	v_sub_nc_u32_e32 v4, v5, v17
	v_sub_nc_u32_e32 v5, v6, v17
	v_lshlrev_b32_e32 v3, 2, v3
	v_sub_nc_u32_e32 v1, v47, v4
	v_sub_nc_u32_e32 v6, v47, v5
	ds_write_b32 v2, v28
	ds_write_b32 v3, v29
	v_and_b32_e32 v2, 1, v50
	v_add_nc_u32_e32 v1, 4, v1
	v_add_nc_u32_e32 v3, 5, v6
	v_sub_nc_u32_e32 v6, v7, v17
	v_and_b32_e32 v7, 1, v15
	v_cmp_eq_u32_e32 vcc_lo, 1, v2
	v_sub_nc_u32_e32 v2, v8, v17
	v_and_b32_e32 v8, 1, v53
	v_add_co_u32 v15, s1, v18, v17
	v_cndmask_b32_e32 v1, v1, v4, vcc_lo
	v_sub_nc_u32_e32 v4, v47, v6
	v_cmp_eq_u32_e32 vcc_lo, 1, v7
	v_and_b32_sdwa v7, v58, v50 dst_sel:DWORD dst_unused:UNUSED_PAD src0_sel:DWORD src1_sel:WORD_1
	v_lshlrev_b32_e32 v1, 2, v1
	v_add_nc_u32_e32 v4, 6, v4
	v_cndmask_b32_e32 v3, v3, v5, vcc_lo
	v_sub_nc_u32_e32 v5, v47, v2
	v_cmp_eq_u32_e32 vcc_lo, 1, v7
	v_sub_nc_u32_e32 v7, v13, v17
	v_lshlrev_b32_e32 v3, 2, v3
	v_add_nc_u32_e32 v5, 7, v5
	v_cndmask_b32_e32 v4, v4, v6, vcc_lo
	v_cmp_eq_u32_e32 vcc_lo, 1, v8
	v_sub_nc_u32_e32 v6, v9, v17
	ds_write_b32 v1, v26
	ds_write_b32 v3, v27
	v_lshlrev_b32_e32 v3, 2, v4
	v_cndmask_b32_e32 v2, v5, v2, vcc_lo
	v_sub_nc_u32_e32 v1, v47, v6
	v_and_b32_e32 v5, 1, v49
	v_sub_nc_u32_e32 v4, v10, v17
	v_and_b32_e32 v10, 1, v51
	v_lshlrev_b32_e32 v2, 2, v2
	v_add_nc_u32_e32 v1, 8, v1
	ds_write_b32 v3, v24
	ds_write_b32 v2, v25
	v_cmp_eq_u32_e32 vcc_lo, 1, v5
	v_sub_nc_u32_e32 v3, v11, v17
	v_sub_nc_u32_e32 v2, v47, v4
	;; [unrolled: 1-line block ×3, first 2 shown]
	v_and_b32_e32 v11, 1, v48
	v_cndmask_b32_e32 v1, v1, v6, vcc_lo
	v_and_b32_e32 v6, 1, v14
	v_sub_nc_u32_e32 v8, v47, v3
	v_add_nc_u32_e32 v2, 9, v2
	v_sub_nc_u32_e32 v9, v47, v5
	v_lshlrev_b32_e32 v1, 2, v1
	v_cmp_eq_u32_e32 vcc_lo, 1, v6
	v_add_nc_u32_e32 v6, 10, v8
	v_and_b32_sdwa v8, v58, v49 dst_sel:DWORD dst_unused:UNUSED_PAD src0_sel:DWORD src1_sel:WORD_1
	v_add_nc_u32_e32 v9, 11, v9
	v_add_co_ci_u32_e64 v17, null, 0, v19, s1
	v_cndmask_b32_e32 v2, v2, v4, vcc_lo
	v_cmp_eq_u32_e32 vcc_lo, 1, v8
	v_sub_nc_u32_e32 v4, v47, v7
	v_lshlrev_b32_e32 v2, 2, v2
	v_cndmask_b32_e32 v3, v6, v3, vcc_lo
	v_cmp_eq_u32_e32 vcc_lo, 1, v10
	v_add_nc_u32_e32 v4, 12, v4
	v_lshlrev_b32_e32 v3, 2, v3
	v_cndmask_b32_e32 v5, v9, v5, vcc_lo
	v_cmp_eq_u32_e32 vcc_lo, 1, v11
	v_lshlrev_b32_e32 v5, 2, v5
	v_cndmask_b32_e32 v4, v4, v7, vcc_lo
	v_cmp_ne_u32_e32 vcc_lo, 1, v45
	v_lshlrev_b32_e32 v4, 2, v4
	ds_write_b32 v1, v22
	ds_write_b32 v2, v23
	;; [unrolled: 1-line block ×5, first 2 shown]
	s_waitcnt lgkmcnt(0)
	s_barrier
	buffer_gl0_inv
	ds_read2st64_b32 v[11:12], v44 offset1:4
	ds_read2st64_b32 v[9:10], v44 offset0:8 offset1:12
	ds_read2st64_b32 v[7:8], v44 offset0:16 offset1:20
	;; [unrolled: 1-line block ×5, first 2 shown]
	ds_read_b32 v20, v44 offset:12288
	s_cbranch_vccnz .LBB492_132
; %bb.76:
	s_sub_u32 s1, s20, s24
	v_sub_co_u32 v13, vcc_lo, v15, s18
	s_subb_u32 s2, s21, 0
	v_add_co_u32 v18, s1, s1, v16
	v_subrev_co_ci_u32_e64 v14, null, s19, v17, vcc_lo
	v_add_co_ci_u32_e64 v19, null, s2, 0, s1
	v_add_co_u32 v18, vcc_lo, v18, v13
	s_mov_b32 s1, exec_lo
	v_add_co_ci_u32_e64 v19, null, v19, v14, vcc_lo
                                        ; implicit-def: $vgpr13_vgpr14
	v_cmpx_ge_u32_e64 v0, v16
	s_xor_b32 s1, exec_lo, s1
; %bb.77:
	v_not_b32_e32 v13, v0
	v_ashrrev_i32_e32 v14, 31, v13
	v_add_co_u32 v13, vcc_lo, v18, v13
	v_add_co_ci_u32_e64 v14, null, v19, v14, vcc_lo
; %bb.78:
	s_andn2_saveexec_b32 s1, s1
; %bb.79:
	v_add_co_u32 v13, vcc_lo, v15, v0
	v_add_co_ci_u32_e64 v14, null, 0, v17, vcc_lo
; %bb.80:
	s_or_b32 exec_lo, exec_lo, s1
	v_lshlrev_b64 v[13:14], 2, v[13:14]
	s_mov_b32 s1, exec_lo
	v_add_co_u32 v13, vcc_lo, s16, v13
	v_add_co_ci_u32_e64 v14, null, s17, v14, vcc_lo
	s_waitcnt lgkmcnt(6)
	global_store_dword v[13:14], v11, off
                                        ; implicit-def: $vgpr13_vgpr14
	v_cmpx_ge_u32_e64 v43, v16
	s_xor_b32 s1, exec_lo, s1
; %bb.81:
	v_xor_b32_e32 v13, 0xfffffeff, v0
	v_ashrrev_i32_e32 v14, 31, v13
	v_add_co_u32 v13, vcc_lo, v18, v13
	v_add_co_ci_u32_e64 v14, null, v19, v14, vcc_lo
; %bb.82:
	s_andn2_saveexec_b32 s1, s1
; %bb.83:
	v_add_co_u32 v13, vcc_lo, v15, v43
	v_add_co_ci_u32_e64 v14, null, 0, v17, vcc_lo
; %bb.84:
	s_or_b32 exec_lo, exec_lo, s1
	v_lshlrev_b64 v[13:14], 2, v[13:14]
	s_mov_b32 s1, exec_lo
	v_add_co_u32 v13, vcc_lo, s16, v13
	v_add_co_ci_u32_e64 v14, null, s17, v14, vcc_lo
	global_store_dword v[13:14], v12, off
                                        ; implicit-def: $vgpr13_vgpr14
	v_cmpx_ge_u32_e64 v42, v16
	s_xor_b32 s1, exec_lo, s1
; %bb.85:
	v_xor_b32_e32 v13, 0xfffffdff, v0
	v_ashrrev_i32_e32 v14, 31, v13
	v_add_co_u32 v13, vcc_lo, v18, v13
	v_add_co_ci_u32_e64 v14, null, v19, v14, vcc_lo
; %bb.86:
	s_andn2_saveexec_b32 s1, s1
; %bb.87:
	v_add_co_u32 v13, vcc_lo, v15, v42
	v_add_co_ci_u32_e64 v14, null, 0, v17, vcc_lo
; %bb.88:
	s_or_b32 exec_lo, exec_lo, s1
	v_lshlrev_b64 v[13:14], 2, v[13:14]
	s_mov_b32 s1, exec_lo
	v_add_co_u32 v13, vcc_lo, s16, v13
	v_add_co_ci_u32_e64 v14, null, s17, v14, vcc_lo
	s_waitcnt lgkmcnt(5)
	global_store_dword v[13:14], v9, off
                                        ; implicit-def: $vgpr13_vgpr14
	v_cmpx_ge_u32_e64 v41, v16
	s_xor_b32 s1, exec_lo, s1
; %bb.89:
	v_xor_b32_e32 v13, 0xfffffcff, v0
	v_ashrrev_i32_e32 v14, 31, v13
	v_add_co_u32 v13, vcc_lo, v18, v13
	v_add_co_ci_u32_e64 v14, null, v19, v14, vcc_lo
; %bb.90:
	s_andn2_saveexec_b32 s1, s1
; %bb.91:
	v_add_co_u32 v13, vcc_lo, v15, v41
	v_add_co_ci_u32_e64 v14, null, 0, v17, vcc_lo
; %bb.92:
	s_or_b32 exec_lo, exec_lo, s1
	v_lshlrev_b64 v[13:14], 2, v[13:14]
	s_mov_b32 s1, exec_lo
	v_add_co_u32 v13, vcc_lo, s16, v13
	v_add_co_ci_u32_e64 v14, null, s17, v14, vcc_lo
	global_store_dword v[13:14], v10, off
                                        ; implicit-def: $vgpr13_vgpr14
	v_cmpx_ge_u32_e64 v40, v16
	s_xor_b32 s1, exec_lo, s1
; %bb.93:
	v_xor_b32_e32 v13, 0xfffffbff, v0
	;; [unrolled: 41-line block ×6, first 2 shown]
	v_ashrrev_i32_e32 v14, 31, v13
	v_add_co_u32 v13, vcc_lo, v18, v13
	v_add_co_ci_u32_e64 v14, null, v19, v14, vcc_lo
; %bb.126:
	s_andn2_saveexec_b32 s1, s1
; %bb.127:
	v_add_co_u32 v13, vcc_lo, v15, v32
	v_add_co_ci_u32_e64 v14, null, 0, v17, vcc_lo
; %bb.128:
	s_or_b32 exec_lo, exec_lo, s1
	s_mov_b32 s1, -1
.LBB492_129:
	s_and_saveexec_b32 s2, s1
	s_cbranch_execz .LBB492_212
.LBB492_130:
	s_waitcnt lgkmcnt(1)
	v_lshlrev_b64 v[0:1], 2, v[13:14]
	v_add_co_u32 v0, vcc_lo, s16, v0
	v_add_co_ci_u32_e64 v1, null, s17, v1, vcc_lo
	s_waitcnt lgkmcnt(0)
	global_store_dword v[0:1], v20, off
	s_or_b32 exec_lo, exec_lo, s2
	s_and_b32 s0, s0, s14
	s_and_saveexec_b32 s1, s0
	s_cbranch_execnz .LBB492_213
.LBB492_131:
	s_endpgm
.LBB492_132:
	s_mov_b32 s1, 0
                                        ; implicit-def: $vgpr13_vgpr14
	s_cbranch_execz .LBB492_129
; %bb.133:
	s_add_u32 s2, s18, s24
	s_addc_u32 s3, s19, 0
	s_sub_u32 s2, s20, s2
	s_subb_u32 s3, s21, s3
	v_add_co_u32 v13, s2, s2, v16
	v_add_co_ci_u32_e64 v14, null, s3, 0, s2
	s_mov_b32 s2, exec_lo
	v_add_co_u32 v18, vcc_lo, v13, v15
	v_add_co_ci_u32_e64 v19, null, v14, v17, vcc_lo
	v_cmpx_gt_u32_e64 s15, v0
	s_cbranch_execz .LBB492_169
; %bb.134:
	s_mov_b32 s3, exec_lo
                                        ; implicit-def: $vgpr13_vgpr14
	v_cmpx_ge_u32_e64 v0, v16
	s_xor_b32 s3, exec_lo, s3
; %bb.135:
	v_not_b32_e32 v13, v0
	v_ashrrev_i32_e32 v14, 31, v13
	v_add_co_u32 v13, vcc_lo, v18, v13
	v_add_co_ci_u32_e64 v14, null, v19, v14, vcc_lo
; %bb.136:
	s_andn2_saveexec_b32 s3, s3
; %bb.137:
	v_add_co_u32 v13, vcc_lo, v15, v0
	v_add_co_ci_u32_e64 v14, null, 0, v17, vcc_lo
; %bb.138:
	s_or_b32 exec_lo, exec_lo, s3
	v_lshlrev_b64 v[13:14], 2, v[13:14]
	v_add_co_u32 v13, vcc_lo, s16, v13
	v_add_co_ci_u32_e64 v14, null, s17, v14, vcc_lo
	s_waitcnt lgkmcnt(6)
	global_store_dword v[13:14], v11, off
	s_or_b32 exec_lo, exec_lo, s2
	s_mov_b32 s2, exec_lo
	v_cmpx_gt_u32_e64 s15, v43
	s_cbranch_execnz .LBB492_170
.LBB492_139:
	s_or_b32 exec_lo, exec_lo, s2
	s_mov_b32 s2, exec_lo
	v_cmpx_gt_u32_e64 s15, v42
	s_cbranch_execz .LBB492_175
.LBB492_140:
	s_mov_b32 s3, exec_lo
                                        ; implicit-def: $vgpr11_vgpr12
	v_cmpx_ge_u32_e64 v42, v16
	s_xor_b32 s3, exec_lo, s3
	s_cbranch_execz .LBB492_142
; %bb.141:
	s_waitcnt lgkmcnt(6)
	v_xor_b32_e32 v11, 0xfffffdff, v0
                                        ; implicit-def: $vgpr42
	v_ashrrev_i32_e32 v12, 31, v11
	v_add_co_u32 v11, vcc_lo, v18, v11
	v_add_co_ci_u32_e64 v12, null, v19, v12, vcc_lo
.LBB492_142:
	s_andn2_saveexec_b32 s3, s3
	s_cbranch_execz .LBB492_144
; %bb.143:
	s_waitcnt lgkmcnt(6)
	v_add_co_u32 v11, vcc_lo, v15, v42
	v_add_co_ci_u32_e64 v12, null, 0, v17, vcc_lo
.LBB492_144:
	s_or_b32 exec_lo, exec_lo, s3
	s_waitcnt lgkmcnt(6)
	v_lshlrev_b64 v[11:12], 2, v[11:12]
	v_add_co_u32 v11, vcc_lo, s16, v11
	v_add_co_ci_u32_e64 v12, null, s17, v12, vcc_lo
	s_waitcnt lgkmcnt(5)
	global_store_dword v[11:12], v9, off
	s_or_b32 exec_lo, exec_lo, s2
	s_mov_b32 s2, exec_lo
	v_cmpx_gt_u32_e64 s15, v41
	s_cbranch_execnz .LBB492_176
.LBB492_145:
	s_or_b32 exec_lo, exec_lo, s2
	s_mov_b32 s2, exec_lo
	v_cmpx_gt_u32_e64 s15, v40
	s_cbranch_execz .LBB492_181
.LBB492_146:
	s_mov_b32 s3, exec_lo
                                        ; implicit-def: $vgpr9_vgpr10
	v_cmpx_ge_u32_e64 v40, v16
	s_xor_b32 s3, exec_lo, s3
	s_cbranch_execz .LBB492_148
; %bb.147:
	s_waitcnt lgkmcnt(5)
	v_xor_b32_e32 v9, 0xfffffbff, v0
                                        ; implicit-def: $vgpr40
	v_ashrrev_i32_e32 v10, 31, v9
	v_add_co_u32 v9, vcc_lo, v18, v9
	v_add_co_ci_u32_e64 v10, null, v19, v10, vcc_lo
.LBB492_148:
	s_andn2_saveexec_b32 s3, s3
	s_cbranch_execz .LBB492_150
; %bb.149:
	s_waitcnt lgkmcnt(5)
	v_add_co_u32 v9, vcc_lo, v15, v40
	v_add_co_ci_u32_e64 v10, null, 0, v17, vcc_lo
.LBB492_150:
	s_or_b32 exec_lo, exec_lo, s3
	s_waitcnt lgkmcnt(5)
	v_lshlrev_b64 v[9:10], 2, v[9:10]
	v_add_co_u32 v9, vcc_lo, s16, v9
	v_add_co_ci_u32_e64 v10, null, s17, v10, vcc_lo
	s_waitcnt lgkmcnt(4)
	global_store_dword v[9:10], v7, off
	s_or_b32 exec_lo, exec_lo, s2
	s_mov_b32 s2, exec_lo
	v_cmpx_gt_u32_e64 s15, v39
	s_cbranch_execnz .LBB492_182
.LBB492_151:
	s_or_b32 exec_lo, exec_lo, s2
	s_mov_b32 s2, exec_lo
	v_cmpx_gt_u32_e64 s15, v38
	s_cbranch_execz .LBB492_187
.LBB492_152:
	s_mov_b32 s3, exec_lo
                                        ; implicit-def: $vgpr7_vgpr8
	v_cmpx_ge_u32_e64 v38, v16
	s_xor_b32 s3, exec_lo, s3
	s_cbranch_execz .LBB492_154
; %bb.153:
	s_waitcnt lgkmcnt(4)
	v_xor_b32_e32 v7, 0xfffff9ff, v0
                                        ; implicit-def: $vgpr38
	v_ashrrev_i32_e32 v8, 31, v7
	v_add_co_u32 v7, vcc_lo, v18, v7
	v_add_co_ci_u32_e64 v8, null, v19, v8, vcc_lo
.LBB492_154:
	s_andn2_saveexec_b32 s3, s3
	s_cbranch_execz .LBB492_156
; %bb.155:
	s_waitcnt lgkmcnt(4)
	v_add_co_u32 v7, vcc_lo, v15, v38
	v_add_co_ci_u32_e64 v8, null, 0, v17, vcc_lo
.LBB492_156:
	s_or_b32 exec_lo, exec_lo, s3
	s_waitcnt lgkmcnt(4)
	v_lshlrev_b64 v[7:8], 2, v[7:8]
	v_add_co_u32 v7, vcc_lo, s16, v7
	v_add_co_ci_u32_e64 v8, null, s17, v8, vcc_lo
	s_waitcnt lgkmcnt(3)
	global_store_dword v[7:8], v5, off
	s_or_b32 exec_lo, exec_lo, s2
	s_mov_b32 s2, exec_lo
	v_cmpx_gt_u32_e64 s15, v37
	s_cbranch_execnz .LBB492_188
.LBB492_157:
	s_or_b32 exec_lo, exec_lo, s2
	s_mov_b32 s2, exec_lo
	v_cmpx_gt_u32_e64 s15, v36
	s_cbranch_execz .LBB492_193
.LBB492_158:
	s_mov_b32 s3, exec_lo
                                        ; implicit-def: $vgpr5_vgpr6
	v_cmpx_ge_u32_e64 v36, v16
	s_xor_b32 s3, exec_lo, s3
	s_cbranch_execz .LBB492_160
; %bb.159:
	s_waitcnt lgkmcnt(3)
	v_xor_b32_e32 v5, 0xfffff7ff, v0
                                        ; implicit-def: $vgpr36
	v_ashrrev_i32_e32 v6, 31, v5
	v_add_co_u32 v5, vcc_lo, v18, v5
	v_add_co_ci_u32_e64 v6, null, v19, v6, vcc_lo
.LBB492_160:
	s_andn2_saveexec_b32 s3, s3
	s_cbranch_execz .LBB492_162
; %bb.161:
	s_waitcnt lgkmcnt(3)
	v_add_co_u32 v5, vcc_lo, v15, v36
	v_add_co_ci_u32_e64 v6, null, 0, v17, vcc_lo
.LBB492_162:
	s_or_b32 exec_lo, exec_lo, s3
	s_waitcnt lgkmcnt(3)
	v_lshlrev_b64 v[5:6], 2, v[5:6]
	v_add_co_u32 v5, vcc_lo, s16, v5
	v_add_co_ci_u32_e64 v6, null, s17, v6, vcc_lo
	s_waitcnt lgkmcnt(2)
	global_store_dword v[5:6], v3, off
	s_or_b32 exec_lo, exec_lo, s2
	s_mov_b32 s2, exec_lo
	v_cmpx_gt_u32_e64 s15, v35
	s_cbranch_execnz .LBB492_194
.LBB492_163:
	s_or_b32 exec_lo, exec_lo, s2
	s_mov_b32 s2, exec_lo
	v_cmpx_gt_u32_e64 s15, v34
	s_cbranch_execz .LBB492_199
.LBB492_164:
	s_mov_b32 s3, exec_lo
                                        ; implicit-def: $vgpr3_vgpr4
	v_cmpx_ge_u32_e64 v34, v16
	s_xor_b32 s3, exec_lo, s3
	s_cbranch_execz .LBB492_166
; %bb.165:
	s_waitcnt lgkmcnt(2)
	v_xor_b32_e32 v3, 0xfffff5ff, v0
                                        ; implicit-def: $vgpr34
	v_ashrrev_i32_e32 v4, 31, v3
	v_add_co_u32 v3, vcc_lo, v18, v3
	v_add_co_ci_u32_e64 v4, null, v19, v4, vcc_lo
.LBB492_166:
	s_andn2_saveexec_b32 s3, s3
	s_cbranch_execz .LBB492_168
; %bb.167:
	s_waitcnt lgkmcnt(2)
	v_add_co_u32 v3, vcc_lo, v15, v34
	v_add_co_ci_u32_e64 v4, null, 0, v17, vcc_lo
.LBB492_168:
	s_or_b32 exec_lo, exec_lo, s3
	s_waitcnt lgkmcnt(2)
	v_lshlrev_b64 v[3:4], 2, v[3:4]
	v_add_co_u32 v3, vcc_lo, s16, v3
	v_add_co_ci_u32_e64 v4, null, s17, v4, vcc_lo
	s_waitcnt lgkmcnt(1)
	global_store_dword v[3:4], v1, off
	s_or_b32 exec_lo, exec_lo, s2
	s_mov_b32 s2, exec_lo
	v_cmpx_gt_u32_e64 s15, v33
	s_cbranch_execz .LBB492_205
	s_branch .LBB492_200
.LBB492_169:
	s_or_b32 exec_lo, exec_lo, s2
	s_mov_b32 s2, exec_lo
	v_cmpx_gt_u32_e64 s15, v43
	s_cbranch_execz .LBB492_139
.LBB492_170:
	s_mov_b32 s3, exec_lo
                                        ; implicit-def: $vgpr13_vgpr14
	v_cmpx_ge_u32_e64 v43, v16
	s_xor_b32 s3, exec_lo, s3
	s_cbranch_execz .LBB492_172
; %bb.171:
	s_waitcnt lgkmcnt(6)
	v_xor_b32_e32 v11, 0xfffffeff, v0
                                        ; implicit-def: $vgpr43
	v_ashrrev_i32_e32 v14, 31, v11
	v_add_co_u32 v13, vcc_lo, v18, v11
	v_add_co_ci_u32_e64 v14, null, v19, v14, vcc_lo
.LBB492_172:
	s_andn2_saveexec_b32 s3, s3
; %bb.173:
	v_add_co_u32 v13, vcc_lo, v15, v43
	v_add_co_ci_u32_e64 v14, null, 0, v17, vcc_lo
; %bb.174:
	s_or_b32 exec_lo, exec_lo, s3
	v_lshlrev_b64 v[13:14], 2, v[13:14]
	v_add_co_u32 v13, vcc_lo, s16, v13
	v_add_co_ci_u32_e64 v14, null, s17, v14, vcc_lo
	s_waitcnt lgkmcnt(6)
	global_store_dword v[13:14], v12, off
	s_or_b32 exec_lo, exec_lo, s2
	s_mov_b32 s2, exec_lo
	v_cmpx_gt_u32_e64 s15, v42
	s_cbranch_execnz .LBB492_140
.LBB492_175:
	s_or_b32 exec_lo, exec_lo, s2
	s_mov_b32 s2, exec_lo
	v_cmpx_gt_u32_e64 s15, v41
	s_cbranch_execz .LBB492_145
.LBB492_176:
	s_mov_b32 s3, exec_lo
                                        ; implicit-def: $vgpr11_vgpr12
	v_cmpx_ge_u32_e64 v41, v16
	s_xor_b32 s3, exec_lo, s3
	s_cbranch_execz .LBB492_178
; %bb.177:
	s_waitcnt lgkmcnt(5)
	v_xor_b32_e32 v9, 0xfffffcff, v0
                                        ; implicit-def: $vgpr41
	v_ashrrev_i32_e32 v12, 31, v9
	v_add_co_u32 v11, vcc_lo, v18, v9
	v_add_co_ci_u32_e64 v12, null, v19, v12, vcc_lo
.LBB492_178:
	s_andn2_saveexec_b32 s3, s3
	s_cbranch_execz .LBB492_180
; %bb.179:
	s_waitcnt lgkmcnt(6)
	v_add_co_u32 v11, vcc_lo, v15, v41
	v_add_co_ci_u32_e64 v12, null, 0, v17, vcc_lo
.LBB492_180:
	s_or_b32 exec_lo, exec_lo, s3
	s_waitcnt lgkmcnt(6)
	v_lshlrev_b64 v[11:12], 2, v[11:12]
	v_add_co_u32 v11, vcc_lo, s16, v11
	v_add_co_ci_u32_e64 v12, null, s17, v12, vcc_lo
	s_waitcnt lgkmcnt(5)
	global_store_dword v[11:12], v10, off
	s_or_b32 exec_lo, exec_lo, s2
	s_mov_b32 s2, exec_lo
	v_cmpx_gt_u32_e64 s15, v40
	s_cbranch_execnz .LBB492_146
.LBB492_181:
	s_or_b32 exec_lo, exec_lo, s2
	s_mov_b32 s2, exec_lo
	v_cmpx_gt_u32_e64 s15, v39
	s_cbranch_execz .LBB492_151
.LBB492_182:
	s_mov_b32 s3, exec_lo
                                        ; implicit-def: $vgpr9_vgpr10
	v_cmpx_ge_u32_e64 v39, v16
	s_xor_b32 s3, exec_lo, s3
	s_cbranch_execz .LBB492_184
; %bb.183:
	s_waitcnt lgkmcnt(4)
	v_xor_b32_e32 v7, 0xfffffaff, v0
                                        ; implicit-def: $vgpr39
	v_ashrrev_i32_e32 v10, 31, v7
	v_add_co_u32 v9, vcc_lo, v18, v7
	v_add_co_ci_u32_e64 v10, null, v19, v10, vcc_lo
.LBB492_184:
	s_andn2_saveexec_b32 s3, s3
	s_cbranch_execz .LBB492_186
; %bb.185:
	s_waitcnt lgkmcnt(5)
	v_add_co_u32 v9, vcc_lo, v15, v39
	v_add_co_ci_u32_e64 v10, null, 0, v17, vcc_lo
.LBB492_186:
	s_or_b32 exec_lo, exec_lo, s3
	s_waitcnt lgkmcnt(5)
	v_lshlrev_b64 v[9:10], 2, v[9:10]
	v_add_co_u32 v9, vcc_lo, s16, v9
	v_add_co_ci_u32_e64 v10, null, s17, v10, vcc_lo
	s_waitcnt lgkmcnt(4)
	global_store_dword v[9:10], v8, off
	s_or_b32 exec_lo, exec_lo, s2
	s_mov_b32 s2, exec_lo
	v_cmpx_gt_u32_e64 s15, v38
	s_cbranch_execnz .LBB492_152
.LBB492_187:
	s_or_b32 exec_lo, exec_lo, s2
	s_mov_b32 s2, exec_lo
	v_cmpx_gt_u32_e64 s15, v37
	s_cbranch_execz .LBB492_157
.LBB492_188:
	s_mov_b32 s3, exec_lo
                                        ; implicit-def: $vgpr7_vgpr8
	v_cmpx_ge_u32_e64 v37, v16
	s_xor_b32 s3, exec_lo, s3
	s_cbranch_execz .LBB492_190
; %bb.189:
	s_waitcnt lgkmcnt(3)
	v_xor_b32_e32 v5, 0xfffff8ff, v0
                                        ; implicit-def: $vgpr37
	v_ashrrev_i32_e32 v8, 31, v5
	v_add_co_u32 v7, vcc_lo, v18, v5
	v_add_co_ci_u32_e64 v8, null, v19, v8, vcc_lo
.LBB492_190:
	s_andn2_saveexec_b32 s3, s3
	s_cbranch_execz .LBB492_192
; %bb.191:
	s_waitcnt lgkmcnt(4)
	v_add_co_u32 v7, vcc_lo, v15, v37
	v_add_co_ci_u32_e64 v8, null, 0, v17, vcc_lo
.LBB492_192:
	s_or_b32 exec_lo, exec_lo, s3
	s_waitcnt lgkmcnt(4)
	v_lshlrev_b64 v[7:8], 2, v[7:8]
	v_add_co_u32 v7, vcc_lo, s16, v7
	v_add_co_ci_u32_e64 v8, null, s17, v8, vcc_lo
	s_waitcnt lgkmcnt(3)
	global_store_dword v[7:8], v6, off
	s_or_b32 exec_lo, exec_lo, s2
	s_mov_b32 s2, exec_lo
	v_cmpx_gt_u32_e64 s15, v36
	s_cbranch_execnz .LBB492_158
.LBB492_193:
	s_or_b32 exec_lo, exec_lo, s2
	s_mov_b32 s2, exec_lo
	v_cmpx_gt_u32_e64 s15, v35
	s_cbranch_execz .LBB492_163
.LBB492_194:
	s_mov_b32 s3, exec_lo
                                        ; implicit-def: $vgpr5_vgpr6
	v_cmpx_ge_u32_e64 v35, v16
	s_xor_b32 s3, exec_lo, s3
	s_cbranch_execz .LBB492_196
; %bb.195:
	s_waitcnt lgkmcnt(2)
	v_xor_b32_e32 v3, 0xfffff6ff, v0
                                        ; implicit-def: $vgpr35
	v_ashrrev_i32_e32 v6, 31, v3
	v_add_co_u32 v5, vcc_lo, v18, v3
	v_add_co_ci_u32_e64 v6, null, v19, v6, vcc_lo
.LBB492_196:
	s_andn2_saveexec_b32 s3, s3
	s_cbranch_execz .LBB492_198
; %bb.197:
	s_waitcnt lgkmcnt(3)
	v_add_co_u32 v5, vcc_lo, v15, v35
	v_add_co_ci_u32_e64 v6, null, 0, v17, vcc_lo
.LBB492_198:
	s_or_b32 exec_lo, exec_lo, s3
	s_waitcnt lgkmcnt(3)
	v_lshlrev_b64 v[5:6], 2, v[5:6]
	v_add_co_u32 v5, vcc_lo, s16, v5
	v_add_co_ci_u32_e64 v6, null, s17, v6, vcc_lo
	s_waitcnt lgkmcnt(2)
	global_store_dword v[5:6], v4, off
	s_or_b32 exec_lo, exec_lo, s2
	s_mov_b32 s2, exec_lo
	v_cmpx_gt_u32_e64 s15, v34
	s_cbranch_execnz .LBB492_164
.LBB492_199:
	s_or_b32 exec_lo, exec_lo, s2
	s_mov_b32 s2, exec_lo
	v_cmpx_gt_u32_e64 s15, v33
	s_cbranch_execz .LBB492_205
.LBB492_200:
	s_mov_b32 s3, exec_lo
                                        ; implicit-def: $vgpr3_vgpr4
	v_cmpx_ge_u32_e64 v33, v16
	s_xor_b32 s3, exec_lo, s3
	s_cbranch_execz .LBB492_202
; %bb.201:
	s_waitcnt lgkmcnt(1)
	v_xor_b32_e32 v1, 0xfffff4ff, v0
                                        ; implicit-def: $vgpr33
	v_ashrrev_i32_e32 v4, 31, v1
	v_add_co_u32 v3, vcc_lo, v18, v1
	v_add_co_ci_u32_e64 v4, null, v19, v4, vcc_lo
.LBB492_202:
	s_andn2_saveexec_b32 s3, s3
	s_cbranch_execz .LBB492_204
; %bb.203:
	s_waitcnt lgkmcnt(2)
	v_add_co_u32 v3, vcc_lo, v15, v33
	v_add_co_ci_u32_e64 v4, null, 0, v17, vcc_lo
.LBB492_204:
	s_or_b32 exec_lo, exec_lo, s3
	s_waitcnt lgkmcnt(2)
	v_lshlrev_b64 v[3:4], 2, v[3:4]
	v_add_co_u32 v3, vcc_lo, s16, v3
	v_add_co_ci_u32_e64 v4, null, s17, v4, vcc_lo
	s_waitcnt lgkmcnt(1)
	global_store_dword v[3:4], v2, off
.LBB492_205:
	s_or_b32 exec_lo, exec_lo, s2
	s_mov_b32 s2, exec_lo
                                        ; implicit-def: $vgpr13_vgpr14
	v_cmpx_gt_u32_e64 s15, v32
	s_cbranch_execz .LBB492_211
; %bb.206:
	s_mov_b32 s3, exec_lo
                                        ; implicit-def: $vgpr13_vgpr14
	v_cmpx_ge_u32_e64 v32, v16
	s_xor_b32 s3, exec_lo, s3
	s_cbranch_execz .LBB492_208
; %bb.207:
	v_xor_b32_e32 v0, 0xfffff3ff, v0
                                        ; implicit-def: $vgpr32
	s_waitcnt lgkmcnt(1)
	v_ashrrev_i32_e32 v1, 31, v0
	v_add_co_u32 v13, vcc_lo, v18, v0
	v_add_co_ci_u32_e64 v14, null, v19, v1, vcc_lo
.LBB492_208:
	s_andn2_saveexec_b32 s3, s3
; %bb.209:
	v_add_co_u32 v13, vcc_lo, v15, v32
	v_add_co_ci_u32_e64 v14, null, 0, v17, vcc_lo
; %bb.210:
	s_or_b32 exec_lo, exec_lo, s3
	s_or_b32 s1, s1, exec_lo
.LBB492_211:
	s_or_b32 exec_lo, exec_lo, s2
	s_and_saveexec_b32 s2, s1
	s_cbranch_execnz .LBB492_130
.LBB492_212:
	s_or_b32 exec_lo, exec_lo, s2
	s_and_b32 s0, s0, s14
	s_and_saveexec_b32 s1, s0
	s_cbranch_execz .LBB492_131
.LBB492_213:
	v_add_co_u32 v0, vcc_lo, v15, v16
	s_waitcnt lgkmcnt(1)
	v_mov_b32_e32 v2, 0
	v_add_co_ci_u32_e64 v1, null, 0, v17, vcc_lo
	global_store_dwordx2 v2, v[0:1], s[12:13]
	s_endpgm
	.section	.rodata,"a",@progbits
	.p2align	6, 0x0
	.amdhsa_kernel _ZN7rocprim17ROCPRIM_400000_NS6detail17trampoline_kernelINS0_13select_configILj256ELj13ELNS0_17block_load_methodE3ELS4_3ELS4_3ELNS0_20block_scan_algorithmE0ELj4294967295EEENS1_25partition_config_selectorILNS1_17partition_subalgoE3EjNS0_10empty_typeEbEEZZNS1_14partition_implILS8_3ELb0ES6_jNS0_17counting_iteratorIjlEEPS9_SE_NS0_5tupleIJPjSE_EEENSF_IJSE_SE_EEES9_SG_JZNS1_25segmented_radix_sort_implINS0_14default_configELb1EPKiPiPKlPlN2at6native12_GLOBAL__N_18offset_tEEE10hipError_tPvRmT1_PNSt15iterator_traitsISY_E10value_typeET2_T3_PNSZ_IS14_E10value_typeET4_jRbjT5_S1A_jjP12ihipStream_tbEUljE_EEESV_SW_SX_S14_S18_S1A_T6_T7_T9_mT8_S1C_bDpT10_ENKUlT_T0_E_clISt17integral_constantIbLb0EES1O_IbLb1EEEEDaS1K_S1L_EUlS1K_E_NS1_11comp_targetILNS1_3genE8ELNS1_11target_archE1030ELNS1_3gpuE2ELNS1_3repE0EEENS1_30default_config_static_selectorELNS0_4arch9wavefront6targetE0EEEvSY_
		.amdhsa_group_segment_fixed_size 13320
		.amdhsa_private_segment_fixed_size 0
		.amdhsa_kernarg_size 152
		.amdhsa_user_sgpr_count 6
		.amdhsa_user_sgpr_private_segment_buffer 1
		.amdhsa_user_sgpr_dispatch_ptr 0
		.amdhsa_user_sgpr_queue_ptr 0
		.amdhsa_user_sgpr_kernarg_segment_ptr 1
		.amdhsa_user_sgpr_dispatch_id 0
		.amdhsa_user_sgpr_flat_scratch_init 0
		.amdhsa_user_sgpr_private_segment_size 0
		.amdhsa_wavefront_size32 1
		.amdhsa_uses_dynamic_stack 0
		.amdhsa_system_sgpr_private_segment_wavefront_offset 0
		.amdhsa_system_sgpr_workgroup_id_x 1
		.amdhsa_system_sgpr_workgroup_id_y 0
		.amdhsa_system_sgpr_workgroup_id_z 0
		.amdhsa_system_sgpr_workgroup_info 0
		.amdhsa_system_vgpr_workitem_id 0
		.amdhsa_next_free_vgpr 71
		.amdhsa_next_free_sgpr 26
		.amdhsa_reserve_vcc 1
		.amdhsa_reserve_flat_scratch 0
		.amdhsa_float_round_mode_32 0
		.amdhsa_float_round_mode_16_64 0
		.amdhsa_float_denorm_mode_32 3
		.amdhsa_float_denorm_mode_16_64 3
		.amdhsa_dx10_clamp 1
		.amdhsa_ieee_mode 1
		.amdhsa_fp16_overflow 0
		.amdhsa_workgroup_processor_mode 1
		.amdhsa_memory_ordered 1
		.amdhsa_forward_progress 1
		.amdhsa_shared_vgpr_count 0
		.amdhsa_exception_fp_ieee_invalid_op 0
		.amdhsa_exception_fp_denorm_src 0
		.amdhsa_exception_fp_ieee_div_zero 0
		.amdhsa_exception_fp_ieee_overflow 0
		.amdhsa_exception_fp_ieee_underflow 0
		.amdhsa_exception_fp_ieee_inexact 0
		.amdhsa_exception_int_div_zero 0
	.end_amdhsa_kernel
	.section	.text._ZN7rocprim17ROCPRIM_400000_NS6detail17trampoline_kernelINS0_13select_configILj256ELj13ELNS0_17block_load_methodE3ELS4_3ELS4_3ELNS0_20block_scan_algorithmE0ELj4294967295EEENS1_25partition_config_selectorILNS1_17partition_subalgoE3EjNS0_10empty_typeEbEEZZNS1_14partition_implILS8_3ELb0ES6_jNS0_17counting_iteratorIjlEEPS9_SE_NS0_5tupleIJPjSE_EEENSF_IJSE_SE_EEES9_SG_JZNS1_25segmented_radix_sort_implINS0_14default_configELb1EPKiPiPKlPlN2at6native12_GLOBAL__N_18offset_tEEE10hipError_tPvRmT1_PNSt15iterator_traitsISY_E10value_typeET2_T3_PNSZ_IS14_E10value_typeET4_jRbjT5_S1A_jjP12ihipStream_tbEUljE_EEESV_SW_SX_S14_S18_S1A_T6_T7_T9_mT8_S1C_bDpT10_ENKUlT_T0_E_clISt17integral_constantIbLb0EES1O_IbLb1EEEEDaS1K_S1L_EUlS1K_E_NS1_11comp_targetILNS1_3genE8ELNS1_11target_archE1030ELNS1_3gpuE2ELNS1_3repE0EEENS1_30default_config_static_selectorELNS0_4arch9wavefront6targetE0EEEvSY_,"axG",@progbits,_ZN7rocprim17ROCPRIM_400000_NS6detail17trampoline_kernelINS0_13select_configILj256ELj13ELNS0_17block_load_methodE3ELS4_3ELS4_3ELNS0_20block_scan_algorithmE0ELj4294967295EEENS1_25partition_config_selectorILNS1_17partition_subalgoE3EjNS0_10empty_typeEbEEZZNS1_14partition_implILS8_3ELb0ES6_jNS0_17counting_iteratorIjlEEPS9_SE_NS0_5tupleIJPjSE_EEENSF_IJSE_SE_EEES9_SG_JZNS1_25segmented_radix_sort_implINS0_14default_configELb1EPKiPiPKlPlN2at6native12_GLOBAL__N_18offset_tEEE10hipError_tPvRmT1_PNSt15iterator_traitsISY_E10value_typeET2_T3_PNSZ_IS14_E10value_typeET4_jRbjT5_S1A_jjP12ihipStream_tbEUljE_EEESV_SW_SX_S14_S18_S1A_T6_T7_T9_mT8_S1C_bDpT10_ENKUlT_T0_E_clISt17integral_constantIbLb0EES1O_IbLb1EEEEDaS1K_S1L_EUlS1K_E_NS1_11comp_targetILNS1_3genE8ELNS1_11target_archE1030ELNS1_3gpuE2ELNS1_3repE0EEENS1_30default_config_static_selectorELNS0_4arch9wavefront6targetE0EEEvSY_,comdat
.Lfunc_end492:
	.size	_ZN7rocprim17ROCPRIM_400000_NS6detail17trampoline_kernelINS0_13select_configILj256ELj13ELNS0_17block_load_methodE3ELS4_3ELS4_3ELNS0_20block_scan_algorithmE0ELj4294967295EEENS1_25partition_config_selectorILNS1_17partition_subalgoE3EjNS0_10empty_typeEbEEZZNS1_14partition_implILS8_3ELb0ES6_jNS0_17counting_iteratorIjlEEPS9_SE_NS0_5tupleIJPjSE_EEENSF_IJSE_SE_EEES9_SG_JZNS1_25segmented_radix_sort_implINS0_14default_configELb1EPKiPiPKlPlN2at6native12_GLOBAL__N_18offset_tEEE10hipError_tPvRmT1_PNSt15iterator_traitsISY_E10value_typeET2_T3_PNSZ_IS14_E10value_typeET4_jRbjT5_S1A_jjP12ihipStream_tbEUljE_EEESV_SW_SX_S14_S18_S1A_T6_T7_T9_mT8_S1C_bDpT10_ENKUlT_T0_E_clISt17integral_constantIbLb0EES1O_IbLb1EEEEDaS1K_S1L_EUlS1K_E_NS1_11comp_targetILNS1_3genE8ELNS1_11target_archE1030ELNS1_3gpuE2ELNS1_3repE0EEENS1_30default_config_static_selectorELNS0_4arch9wavefront6targetE0EEEvSY_, .Lfunc_end492-_ZN7rocprim17ROCPRIM_400000_NS6detail17trampoline_kernelINS0_13select_configILj256ELj13ELNS0_17block_load_methodE3ELS4_3ELS4_3ELNS0_20block_scan_algorithmE0ELj4294967295EEENS1_25partition_config_selectorILNS1_17partition_subalgoE3EjNS0_10empty_typeEbEEZZNS1_14partition_implILS8_3ELb0ES6_jNS0_17counting_iteratorIjlEEPS9_SE_NS0_5tupleIJPjSE_EEENSF_IJSE_SE_EEES9_SG_JZNS1_25segmented_radix_sort_implINS0_14default_configELb1EPKiPiPKlPlN2at6native12_GLOBAL__N_18offset_tEEE10hipError_tPvRmT1_PNSt15iterator_traitsISY_E10value_typeET2_T3_PNSZ_IS14_E10value_typeET4_jRbjT5_S1A_jjP12ihipStream_tbEUljE_EEESV_SW_SX_S14_S18_S1A_T6_T7_T9_mT8_S1C_bDpT10_ENKUlT_T0_E_clISt17integral_constantIbLb0EES1O_IbLb1EEEEDaS1K_S1L_EUlS1K_E_NS1_11comp_targetILNS1_3genE8ELNS1_11target_archE1030ELNS1_3gpuE2ELNS1_3repE0EEENS1_30default_config_static_selectorELNS0_4arch9wavefront6targetE0EEEvSY_
                                        ; -- End function
	.set _ZN7rocprim17ROCPRIM_400000_NS6detail17trampoline_kernelINS0_13select_configILj256ELj13ELNS0_17block_load_methodE3ELS4_3ELS4_3ELNS0_20block_scan_algorithmE0ELj4294967295EEENS1_25partition_config_selectorILNS1_17partition_subalgoE3EjNS0_10empty_typeEbEEZZNS1_14partition_implILS8_3ELb0ES6_jNS0_17counting_iteratorIjlEEPS9_SE_NS0_5tupleIJPjSE_EEENSF_IJSE_SE_EEES9_SG_JZNS1_25segmented_radix_sort_implINS0_14default_configELb1EPKiPiPKlPlN2at6native12_GLOBAL__N_18offset_tEEE10hipError_tPvRmT1_PNSt15iterator_traitsISY_E10value_typeET2_T3_PNSZ_IS14_E10value_typeET4_jRbjT5_S1A_jjP12ihipStream_tbEUljE_EEESV_SW_SX_S14_S18_S1A_T6_T7_T9_mT8_S1C_bDpT10_ENKUlT_T0_E_clISt17integral_constantIbLb0EES1O_IbLb1EEEEDaS1K_S1L_EUlS1K_E_NS1_11comp_targetILNS1_3genE8ELNS1_11target_archE1030ELNS1_3gpuE2ELNS1_3repE0EEENS1_30default_config_static_selectorELNS0_4arch9wavefront6targetE0EEEvSY_.num_vgpr, 71
	.set _ZN7rocprim17ROCPRIM_400000_NS6detail17trampoline_kernelINS0_13select_configILj256ELj13ELNS0_17block_load_methodE3ELS4_3ELS4_3ELNS0_20block_scan_algorithmE0ELj4294967295EEENS1_25partition_config_selectorILNS1_17partition_subalgoE3EjNS0_10empty_typeEbEEZZNS1_14partition_implILS8_3ELb0ES6_jNS0_17counting_iteratorIjlEEPS9_SE_NS0_5tupleIJPjSE_EEENSF_IJSE_SE_EEES9_SG_JZNS1_25segmented_radix_sort_implINS0_14default_configELb1EPKiPiPKlPlN2at6native12_GLOBAL__N_18offset_tEEE10hipError_tPvRmT1_PNSt15iterator_traitsISY_E10value_typeET2_T3_PNSZ_IS14_E10value_typeET4_jRbjT5_S1A_jjP12ihipStream_tbEUljE_EEESV_SW_SX_S14_S18_S1A_T6_T7_T9_mT8_S1C_bDpT10_ENKUlT_T0_E_clISt17integral_constantIbLb0EES1O_IbLb1EEEEDaS1K_S1L_EUlS1K_E_NS1_11comp_targetILNS1_3genE8ELNS1_11target_archE1030ELNS1_3gpuE2ELNS1_3repE0EEENS1_30default_config_static_selectorELNS0_4arch9wavefront6targetE0EEEvSY_.num_agpr, 0
	.set _ZN7rocprim17ROCPRIM_400000_NS6detail17trampoline_kernelINS0_13select_configILj256ELj13ELNS0_17block_load_methodE3ELS4_3ELS4_3ELNS0_20block_scan_algorithmE0ELj4294967295EEENS1_25partition_config_selectorILNS1_17partition_subalgoE3EjNS0_10empty_typeEbEEZZNS1_14partition_implILS8_3ELb0ES6_jNS0_17counting_iteratorIjlEEPS9_SE_NS0_5tupleIJPjSE_EEENSF_IJSE_SE_EEES9_SG_JZNS1_25segmented_radix_sort_implINS0_14default_configELb1EPKiPiPKlPlN2at6native12_GLOBAL__N_18offset_tEEE10hipError_tPvRmT1_PNSt15iterator_traitsISY_E10value_typeET2_T3_PNSZ_IS14_E10value_typeET4_jRbjT5_S1A_jjP12ihipStream_tbEUljE_EEESV_SW_SX_S14_S18_S1A_T6_T7_T9_mT8_S1C_bDpT10_ENKUlT_T0_E_clISt17integral_constantIbLb0EES1O_IbLb1EEEEDaS1K_S1L_EUlS1K_E_NS1_11comp_targetILNS1_3genE8ELNS1_11target_archE1030ELNS1_3gpuE2ELNS1_3repE0EEENS1_30default_config_static_selectorELNS0_4arch9wavefront6targetE0EEEvSY_.numbered_sgpr, 26
	.set _ZN7rocprim17ROCPRIM_400000_NS6detail17trampoline_kernelINS0_13select_configILj256ELj13ELNS0_17block_load_methodE3ELS4_3ELS4_3ELNS0_20block_scan_algorithmE0ELj4294967295EEENS1_25partition_config_selectorILNS1_17partition_subalgoE3EjNS0_10empty_typeEbEEZZNS1_14partition_implILS8_3ELb0ES6_jNS0_17counting_iteratorIjlEEPS9_SE_NS0_5tupleIJPjSE_EEENSF_IJSE_SE_EEES9_SG_JZNS1_25segmented_radix_sort_implINS0_14default_configELb1EPKiPiPKlPlN2at6native12_GLOBAL__N_18offset_tEEE10hipError_tPvRmT1_PNSt15iterator_traitsISY_E10value_typeET2_T3_PNSZ_IS14_E10value_typeET4_jRbjT5_S1A_jjP12ihipStream_tbEUljE_EEESV_SW_SX_S14_S18_S1A_T6_T7_T9_mT8_S1C_bDpT10_ENKUlT_T0_E_clISt17integral_constantIbLb0EES1O_IbLb1EEEEDaS1K_S1L_EUlS1K_E_NS1_11comp_targetILNS1_3genE8ELNS1_11target_archE1030ELNS1_3gpuE2ELNS1_3repE0EEENS1_30default_config_static_selectorELNS0_4arch9wavefront6targetE0EEEvSY_.num_named_barrier, 0
	.set _ZN7rocprim17ROCPRIM_400000_NS6detail17trampoline_kernelINS0_13select_configILj256ELj13ELNS0_17block_load_methodE3ELS4_3ELS4_3ELNS0_20block_scan_algorithmE0ELj4294967295EEENS1_25partition_config_selectorILNS1_17partition_subalgoE3EjNS0_10empty_typeEbEEZZNS1_14partition_implILS8_3ELb0ES6_jNS0_17counting_iteratorIjlEEPS9_SE_NS0_5tupleIJPjSE_EEENSF_IJSE_SE_EEES9_SG_JZNS1_25segmented_radix_sort_implINS0_14default_configELb1EPKiPiPKlPlN2at6native12_GLOBAL__N_18offset_tEEE10hipError_tPvRmT1_PNSt15iterator_traitsISY_E10value_typeET2_T3_PNSZ_IS14_E10value_typeET4_jRbjT5_S1A_jjP12ihipStream_tbEUljE_EEESV_SW_SX_S14_S18_S1A_T6_T7_T9_mT8_S1C_bDpT10_ENKUlT_T0_E_clISt17integral_constantIbLb0EES1O_IbLb1EEEEDaS1K_S1L_EUlS1K_E_NS1_11comp_targetILNS1_3genE8ELNS1_11target_archE1030ELNS1_3gpuE2ELNS1_3repE0EEENS1_30default_config_static_selectorELNS0_4arch9wavefront6targetE0EEEvSY_.private_seg_size, 0
	.set _ZN7rocprim17ROCPRIM_400000_NS6detail17trampoline_kernelINS0_13select_configILj256ELj13ELNS0_17block_load_methodE3ELS4_3ELS4_3ELNS0_20block_scan_algorithmE0ELj4294967295EEENS1_25partition_config_selectorILNS1_17partition_subalgoE3EjNS0_10empty_typeEbEEZZNS1_14partition_implILS8_3ELb0ES6_jNS0_17counting_iteratorIjlEEPS9_SE_NS0_5tupleIJPjSE_EEENSF_IJSE_SE_EEES9_SG_JZNS1_25segmented_radix_sort_implINS0_14default_configELb1EPKiPiPKlPlN2at6native12_GLOBAL__N_18offset_tEEE10hipError_tPvRmT1_PNSt15iterator_traitsISY_E10value_typeET2_T3_PNSZ_IS14_E10value_typeET4_jRbjT5_S1A_jjP12ihipStream_tbEUljE_EEESV_SW_SX_S14_S18_S1A_T6_T7_T9_mT8_S1C_bDpT10_ENKUlT_T0_E_clISt17integral_constantIbLb0EES1O_IbLb1EEEEDaS1K_S1L_EUlS1K_E_NS1_11comp_targetILNS1_3genE8ELNS1_11target_archE1030ELNS1_3gpuE2ELNS1_3repE0EEENS1_30default_config_static_selectorELNS0_4arch9wavefront6targetE0EEEvSY_.uses_vcc, 1
	.set _ZN7rocprim17ROCPRIM_400000_NS6detail17trampoline_kernelINS0_13select_configILj256ELj13ELNS0_17block_load_methodE3ELS4_3ELS4_3ELNS0_20block_scan_algorithmE0ELj4294967295EEENS1_25partition_config_selectorILNS1_17partition_subalgoE3EjNS0_10empty_typeEbEEZZNS1_14partition_implILS8_3ELb0ES6_jNS0_17counting_iteratorIjlEEPS9_SE_NS0_5tupleIJPjSE_EEENSF_IJSE_SE_EEES9_SG_JZNS1_25segmented_radix_sort_implINS0_14default_configELb1EPKiPiPKlPlN2at6native12_GLOBAL__N_18offset_tEEE10hipError_tPvRmT1_PNSt15iterator_traitsISY_E10value_typeET2_T3_PNSZ_IS14_E10value_typeET4_jRbjT5_S1A_jjP12ihipStream_tbEUljE_EEESV_SW_SX_S14_S18_S1A_T6_T7_T9_mT8_S1C_bDpT10_ENKUlT_T0_E_clISt17integral_constantIbLb0EES1O_IbLb1EEEEDaS1K_S1L_EUlS1K_E_NS1_11comp_targetILNS1_3genE8ELNS1_11target_archE1030ELNS1_3gpuE2ELNS1_3repE0EEENS1_30default_config_static_selectorELNS0_4arch9wavefront6targetE0EEEvSY_.uses_flat_scratch, 0
	.set _ZN7rocprim17ROCPRIM_400000_NS6detail17trampoline_kernelINS0_13select_configILj256ELj13ELNS0_17block_load_methodE3ELS4_3ELS4_3ELNS0_20block_scan_algorithmE0ELj4294967295EEENS1_25partition_config_selectorILNS1_17partition_subalgoE3EjNS0_10empty_typeEbEEZZNS1_14partition_implILS8_3ELb0ES6_jNS0_17counting_iteratorIjlEEPS9_SE_NS0_5tupleIJPjSE_EEENSF_IJSE_SE_EEES9_SG_JZNS1_25segmented_radix_sort_implINS0_14default_configELb1EPKiPiPKlPlN2at6native12_GLOBAL__N_18offset_tEEE10hipError_tPvRmT1_PNSt15iterator_traitsISY_E10value_typeET2_T3_PNSZ_IS14_E10value_typeET4_jRbjT5_S1A_jjP12ihipStream_tbEUljE_EEESV_SW_SX_S14_S18_S1A_T6_T7_T9_mT8_S1C_bDpT10_ENKUlT_T0_E_clISt17integral_constantIbLb0EES1O_IbLb1EEEEDaS1K_S1L_EUlS1K_E_NS1_11comp_targetILNS1_3genE8ELNS1_11target_archE1030ELNS1_3gpuE2ELNS1_3repE0EEENS1_30default_config_static_selectorELNS0_4arch9wavefront6targetE0EEEvSY_.has_dyn_sized_stack, 0
	.set _ZN7rocprim17ROCPRIM_400000_NS6detail17trampoline_kernelINS0_13select_configILj256ELj13ELNS0_17block_load_methodE3ELS4_3ELS4_3ELNS0_20block_scan_algorithmE0ELj4294967295EEENS1_25partition_config_selectorILNS1_17partition_subalgoE3EjNS0_10empty_typeEbEEZZNS1_14partition_implILS8_3ELb0ES6_jNS0_17counting_iteratorIjlEEPS9_SE_NS0_5tupleIJPjSE_EEENSF_IJSE_SE_EEES9_SG_JZNS1_25segmented_radix_sort_implINS0_14default_configELb1EPKiPiPKlPlN2at6native12_GLOBAL__N_18offset_tEEE10hipError_tPvRmT1_PNSt15iterator_traitsISY_E10value_typeET2_T3_PNSZ_IS14_E10value_typeET4_jRbjT5_S1A_jjP12ihipStream_tbEUljE_EEESV_SW_SX_S14_S18_S1A_T6_T7_T9_mT8_S1C_bDpT10_ENKUlT_T0_E_clISt17integral_constantIbLb0EES1O_IbLb1EEEEDaS1K_S1L_EUlS1K_E_NS1_11comp_targetILNS1_3genE8ELNS1_11target_archE1030ELNS1_3gpuE2ELNS1_3repE0EEENS1_30default_config_static_selectorELNS0_4arch9wavefront6targetE0EEEvSY_.has_recursion, 0
	.set _ZN7rocprim17ROCPRIM_400000_NS6detail17trampoline_kernelINS0_13select_configILj256ELj13ELNS0_17block_load_methodE3ELS4_3ELS4_3ELNS0_20block_scan_algorithmE0ELj4294967295EEENS1_25partition_config_selectorILNS1_17partition_subalgoE3EjNS0_10empty_typeEbEEZZNS1_14partition_implILS8_3ELb0ES6_jNS0_17counting_iteratorIjlEEPS9_SE_NS0_5tupleIJPjSE_EEENSF_IJSE_SE_EEES9_SG_JZNS1_25segmented_radix_sort_implINS0_14default_configELb1EPKiPiPKlPlN2at6native12_GLOBAL__N_18offset_tEEE10hipError_tPvRmT1_PNSt15iterator_traitsISY_E10value_typeET2_T3_PNSZ_IS14_E10value_typeET4_jRbjT5_S1A_jjP12ihipStream_tbEUljE_EEESV_SW_SX_S14_S18_S1A_T6_T7_T9_mT8_S1C_bDpT10_ENKUlT_T0_E_clISt17integral_constantIbLb0EES1O_IbLb1EEEEDaS1K_S1L_EUlS1K_E_NS1_11comp_targetILNS1_3genE8ELNS1_11target_archE1030ELNS1_3gpuE2ELNS1_3repE0EEENS1_30default_config_static_selectorELNS0_4arch9wavefront6targetE0EEEvSY_.has_indirect_call, 0
	.section	.AMDGPU.csdata,"",@progbits
; Kernel info:
; codeLenInByte = 8704
; TotalNumSgprs: 28
; NumVgprs: 71
; ScratchSize: 0
; MemoryBound: 0
; FloatMode: 240
; IeeeMode: 1
; LDSByteSize: 13320 bytes/workgroup (compile time only)
; SGPRBlocks: 0
; VGPRBlocks: 8
; NumSGPRsForWavesPerEU: 28
; NumVGPRsForWavesPerEU: 71
; Occupancy: 12
; WaveLimiterHint : 0
; COMPUTE_PGM_RSRC2:SCRATCH_EN: 0
; COMPUTE_PGM_RSRC2:USER_SGPR: 6
; COMPUTE_PGM_RSRC2:TRAP_HANDLER: 0
; COMPUTE_PGM_RSRC2:TGID_X_EN: 1
; COMPUTE_PGM_RSRC2:TGID_Y_EN: 0
; COMPUTE_PGM_RSRC2:TGID_Z_EN: 0
; COMPUTE_PGM_RSRC2:TIDIG_COMP_CNT: 0
	.section	.text._ZN7rocprim17ROCPRIM_400000_NS6detail17trampoline_kernelINS0_14default_configENS1_36segmented_radix_sort_config_selectorIilEEZNS1_25segmented_radix_sort_implIS3_Lb1EPKiPiPKlPlN2at6native12_GLOBAL__N_18offset_tEEE10hipError_tPvRmT1_PNSt15iterator_traitsISK_E10value_typeET2_T3_PNSL_ISQ_E10value_typeET4_jRbjT5_SW_jjP12ihipStream_tbEUlT_E_NS1_11comp_targetILNS1_3genE0ELNS1_11target_archE4294967295ELNS1_3gpuE0ELNS1_3repE0EEENS1_30default_config_static_selectorELNS0_4arch9wavefront6targetE0EEEvSK_,"axG",@progbits,_ZN7rocprim17ROCPRIM_400000_NS6detail17trampoline_kernelINS0_14default_configENS1_36segmented_radix_sort_config_selectorIilEEZNS1_25segmented_radix_sort_implIS3_Lb1EPKiPiPKlPlN2at6native12_GLOBAL__N_18offset_tEEE10hipError_tPvRmT1_PNSt15iterator_traitsISK_E10value_typeET2_T3_PNSL_ISQ_E10value_typeET4_jRbjT5_SW_jjP12ihipStream_tbEUlT_E_NS1_11comp_targetILNS1_3genE0ELNS1_11target_archE4294967295ELNS1_3gpuE0ELNS1_3repE0EEENS1_30default_config_static_selectorELNS0_4arch9wavefront6targetE0EEEvSK_,comdat
	.globl	_ZN7rocprim17ROCPRIM_400000_NS6detail17trampoline_kernelINS0_14default_configENS1_36segmented_radix_sort_config_selectorIilEEZNS1_25segmented_radix_sort_implIS3_Lb1EPKiPiPKlPlN2at6native12_GLOBAL__N_18offset_tEEE10hipError_tPvRmT1_PNSt15iterator_traitsISK_E10value_typeET2_T3_PNSL_ISQ_E10value_typeET4_jRbjT5_SW_jjP12ihipStream_tbEUlT_E_NS1_11comp_targetILNS1_3genE0ELNS1_11target_archE4294967295ELNS1_3gpuE0ELNS1_3repE0EEENS1_30default_config_static_selectorELNS0_4arch9wavefront6targetE0EEEvSK_ ; -- Begin function _ZN7rocprim17ROCPRIM_400000_NS6detail17trampoline_kernelINS0_14default_configENS1_36segmented_radix_sort_config_selectorIilEEZNS1_25segmented_radix_sort_implIS3_Lb1EPKiPiPKlPlN2at6native12_GLOBAL__N_18offset_tEEE10hipError_tPvRmT1_PNSt15iterator_traitsISK_E10value_typeET2_T3_PNSL_ISQ_E10value_typeET4_jRbjT5_SW_jjP12ihipStream_tbEUlT_E_NS1_11comp_targetILNS1_3genE0ELNS1_11target_archE4294967295ELNS1_3gpuE0ELNS1_3repE0EEENS1_30default_config_static_selectorELNS0_4arch9wavefront6targetE0EEEvSK_
	.p2align	8
	.type	_ZN7rocprim17ROCPRIM_400000_NS6detail17trampoline_kernelINS0_14default_configENS1_36segmented_radix_sort_config_selectorIilEEZNS1_25segmented_radix_sort_implIS3_Lb1EPKiPiPKlPlN2at6native12_GLOBAL__N_18offset_tEEE10hipError_tPvRmT1_PNSt15iterator_traitsISK_E10value_typeET2_T3_PNSL_ISQ_E10value_typeET4_jRbjT5_SW_jjP12ihipStream_tbEUlT_E_NS1_11comp_targetILNS1_3genE0ELNS1_11target_archE4294967295ELNS1_3gpuE0ELNS1_3repE0EEENS1_30default_config_static_selectorELNS0_4arch9wavefront6targetE0EEEvSK_,@function
_ZN7rocprim17ROCPRIM_400000_NS6detail17trampoline_kernelINS0_14default_configENS1_36segmented_radix_sort_config_selectorIilEEZNS1_25segmented_radix_sort_implIS3_Lb1EPKiPiPKlPlN2at6native12_GLOBAL__N_18offset_tEEE10hipError_tPvRmT1_PNSt15iterator_traitsISK_E10value_typeET2_T3_PNSL_ISQ_E10value_typeET4_jRbjT5_SW_jjP12ihipStream_tbEUlT_E_NS1_11comp_targetILNS1_3genE0ELNS1_11target_archE4294967295ELNS1_3gpuE0ELNS1_3repE0EEENS1_30default_config_static_selectorELNS0_4arch9wavefront6targetE0EEEvSK_: ; @_ZN7rocprim17ROCPRIM_400000_NS6detail17trampoline_kernelINS0_14default_configENS1_36segmented_radix_sort_config_selectorIilEEZNS1_25segmented_radix_sort_implIS3_Lb1EPKiPiPKlPlN2at6native12_GLOBAL__N_18offset_tEEE10hipError_tPvRmT1_PNSt15iterator_traitsISK_E10value_typeET2_T3_PNSL_ISQ_E10value_typeET4_jRbjT5_SW_jjP12ihipStream_tbEUlT_E_NS1_11comp_targetILNS1_3genE0ELNS1_11target_archE4294967295ELNS1_3gpuE0ELNS1_3repE0EEENS1_30default_config_static_selectorELNS0_4arch9wavefront6targetE0EEEvSK_
; %bb.0:
	.section	.rodata,"a",@progbits
	.p2align	6, 0x0
	.amdhsa_kernel _ZN7rocprim17ROCPRIM_400000_NS6detail17trampoline_kernelINS0_14default_configENS1_36segmented_radix_sort_config_selectorIilEEZNS1_25segmented_radix_sort_implIS3_Lb1EPKiPiPKlPlN2at6native12_GLOBAL__N_18offset_tEEE10hipError_tPvRmT1_PNSt15iterator_traitsISK_E10value_typeET2_T3_PNSL_ISQ_E10value_typeET4_jRbjT5_SW_jjP12ihipStream_tbEUlT_E_NS1_11comp_targetILNS1_3genE0ELNS1_11target_archE4294967295ELNS1_3gpuE0ELNS1_3repE0EEENS1_30default_config_static_selectorELNS0_4arch9wavefront6targetE0EEEvSK_
		.amdhsa_group_segment_fixed_size 0
		.amdhsa_private_segment_fixed_size 0
		.amdhsa_kernarg_size 96
		.amdhsa_user_sgpr_count 6
		.amdhsa_user_sgpr_private_segment_buffer 1
		.amdhsa_user_sgpr_dispatch_ptr 0
		.amdhsa_user_sgpr_queue_ptr 0
		.amdhsa_user_sgpr_kernarg_segment_ptr 1
		.amdhsa_user_sgpr_dispatch_id 0
		.amdhsa_user_sgpr_flat_scratch_init 0
		.amdhsa_user_sgpr_private_segment_size 0
		.amdhsa_wavefront_size32 1
		.amdhsa_uses_dynamic_stack 0
		.amdhsa_system_sgpr_private_segment_wavefront_offset 0
		.amdhsa_system_sgpr_workgroup_id_x 1
		.amdhsa_system_sgpr_workgroup_id_y 0
		.amdhsa_system_sgpr_workgroup_id_z 0
		.amdhsa_system_sgpr_workgroup_info 0
		.amdhsa_system_vgpr_workitem_id 0
		.amdhsa_next_free_vgpr 1
		.amdhsa_next_free_sgpr 1
		.amdhsa_reserve_vcc 0
		.amdhsa_reserve_flat_scratch 0
		.amdhsa_float_round_mode_32 0
		.amdhsa_float_round_mode_16_64 0
		.amdhsa_float_denorm_mode_32 3
		.amdhsa_float_denorm_mode_16_64 3
		.amdhsa_dx10_clamp 1
		.amdhsa_ieee_mode 1
		.amdhsa_fp16_overflow 0
		.amdhsa_workgroup_processor_mode 1
		.amdhsa_memory_ordered 1
		.amdhsa_forward_progress 1
		.amdhsa_shared_vgpr_count 0
		.amdhsa_exception_fp_ieee_invalid_op 0
		.amdhsa_exception_fp_denorm_src 0
		.amdhsa_exception_fp_ieee_div_zero 0
		.amdhsa_exception_fp_ieee_overflow 0
		.amdhsa_exception_fp_ieee_underflow 0
		.amdhsa_exception_fp_ieee_inexact 0
		.amdhsa_exception_int_div_zero 0
	.end_amdhsa_kernel
	.section	.text._ZN7rocprim17ROCPRIM_400000_NS6detail17trampoline_kernelINS0_14default_configENS1_36segmented_radix_sort_config_selectorIilEEZNS1_25segmented_radix_sort_implIS3_Lb1EPKiPiPKlPlN2at6native12_GLOBAL__N_18offset_tEEE10hipError_tPvRmT1_PNSt15iterator_traitsISK_E10value_typeET2_T3_PNSL_ISQ_E10value_typeET4_jRbjT5_SW_jjP12ihipStream_tbEUlT_E_NS1_11comp_targetILNS1_3genE0ELNS1_11target_archE4294967295ELNS1_3gpuE0ELNS1_3repE0EEENS1_30default_config_static_selectorELNS0_4arch9wavefront6targetE0EEEvSK_,"axG",@progbits,_ZN7rocprim17ROCPRIM_400000_NS6detail17trampoline_kernelINS0_14default_configENS1_36segmented_radix_sort_config_selectorIilEEZNS1_25segmented_radix_sort_implIS3_Lb1EPKiPiPKlPlN2at6native12_GLOBAL__N_18offset_tEEE10hipError_tPvRmT1_PNSt15iterator_traitsISK_E10value_typeET2_T3_PNSL_ISQ_E10value_typeET4_jRbjT5_SW_jjP12ihipStream_tbEUlT_E_NS1_11comp_targetILNS1_3genE0ELNS1_11target_archE4294967295ELNS1_3gpuE0ELNS1_3repE0EEENS1_30default_config_static_selectorELNS0_4arch9wavefront6targetE0EEEvSK_,comdat
.Lfunc_end493:
	.size	_ZN7rocprim17ROCPRIM_400000_NS6detail17trampoline_kernelINS0_14default_configENS1_36segmented_radix_sort_config_selectorIilEEZNS1_25segmented_radix_sort_implIS3_Lb1EPKiPiPKlPlN2at6native12_GLOBAL__N_18offset_tEEE10hipError_tPvRmT1_PNSt15iterator_traitsISK_E10value_typeET2_T3_PNSL_ISQ_E10value_typeET4_jRbjT5_SW_jjP12ihipStream_tbEUlT_E_NS1_11comp_targetILNS1_3genE0ELNS1_11target_archE4294967295ELNS1_3gpuE0ELNS1_3repE0EEENS1_30default_config_static_selectorELNS0_4arch9wavefront6targetE0EEEvSK_, .Lfunc_end493-_ZN7rocprim17ROCPRIM_400000_NS6detail17trampoline_kernelINS0_14default_configENS1_36segmented_radix_sort_config_selectorIilEEZNS1_25segmented_radix_sort_implIS3_Lb1EPKiPiPKlPlN2at6native12_GLOBAL__N_18offset_tEEE10hipError_tPvRmT1_PNSt15iterator_traitsISK_E10value_typeET2_T3_PNSL_ISQ_E10value_typeET4_jRbjT5_SW_jjP12ihipStream_tbEUlT_E_NS1_11comp_targetILNS1_3genE0ELNS1_11target_archE4294967295ELNS1_3gpuE0ELNS1_3repE0EEENS1_30default_config_static_selectorELNS0_4arch9wavefront6targetE0EEEvSK_
                                        ; -- End function
	.set _ZN7rocprim17ROCPRIM_400000_NS6detail17trampoline_kernelINS0_14default_configENS1_36segmented_radix_sort_config_selectorIilEEZNS1_25segmented_radix_sort_implIS3_Lb1EPKiPiPKlPlN2at6native12_GLOBAL__N_18offset_tEEE10hipError_tPvRmT1_PNSt15iterator_traitsISK_E10value_typeET2_T3_PNSL_ISQ_E10value_typeET4_jRbjT5_SW_jjP12ihipStream_tbEUlT_E_NS1_11comp_targetILNS1_3genE0ELNS1_11target_archE4294967295ELNS1_3gpuE0ELNS1_3repE0EEENS1_30default_config_static_selectorELNS0_4arch9wavefront6targetE0EEEvSK_.num_vgpr, 0
	.set _ZN7rocprim17ROCPRIM_400000_NS6detail17trampoline_kernelINS0_14default_configENS1_36segmented_radix_sort_config_selectorIilEEZNS1_25segmented_radix_sort_implIS3_Lb1EPKiPiPKlPlN2at6native12_GLOBAL__N_18offset_tEEE10hipError_tPvRmT1_PNSt15iterator_traitsISK_E10value_typeET2_T3_PNSL_ISQ_E10value_typeET4_jRbjT5_SW_jjP12ihipStream_tbEUlT_E_NS1_11comp_targetILNS1_3genE0ELNS1_11target_archE4294967295ELNS1_3gpuE0ELNS1_3repE0EEENS1_30default_config_static_selectorELNS0_4arch9wavefront6targetE0EEEvSK_.num_agpr, 0
	.set _ZN7rocprim17ROCPRIM_400000_NS6detail17trampoline_kernelINS0_14default_configENS1_36segmented_radix_sort_config_selectorIilEEZNS1_25segmented_radix_sort_implIS3_Lb1EPKiPiPKlPlN2at6native12_GLOBAL__N_18offset_tEEE10hipError_tPvRmT1_PNSt15iterator_traitsISK_E10value_typeET2_T3_PNSL_ISQ_E10value_typeET4_jRbjT5_SW_jjP12ihipStream_tbEUlT_E_NS1_11comp_targetILNS1_3genE0ELNS1_11target_archE4294967295ELNS1_3gpuE0ELNS1_3repE0EEENS1_30default_config_static_selectorELNS0_4arch9wavefront6targetE0EEEvSK_.numbered_sgpr, 0
	.set _ZN7rocprim17ROCPRIM_400000_NS6detail17trampoline_kernelINS0_14default_configENS1_36segmented_radix_sort_config_selectorIilEEZNS1_25segmented_radix_sort_implIS3_Lb1EPKiPiPKlPlN2at6native12_GLOBAL__N_18offset_tEEE10hipError_tPvRmT1_PNSt15iterator_traitsISK_E10value_typeET2_T3_PNSL_ISQ_E10value_typeET4_jRbjT5_SW_jjP12ihipStream_tbEUlT_E_NS1_11comp_targetILNS1_3genE0ELNS1_11target_archE4294967295ELNS1_3gpuE0ELNS1_3repE0EEENS1_30default_config_static_selectorELNS0_4arch9wavefront6targetE0EEEvSK_.num_named_barrier, 0
	.set _ZN7rocprim17ROCPRIM_400000_NS6detail17trampoline_kernelINS0_14default_configENS1_36segmented_radix_sort_config_selectorIilEEZNS1_25segmented_radix_sort_implIS3_Lb1EPKiPiPKlPlN2at6native12_GLOBAL__N_18offset_tEEE10hipError_tPvRmT1_PNSt15iterator_traitsISK_E10value_typeET2_T3_PNSL_ISQ_E10value_typeET4_jRbjT5_SW_jjP12ihipStream_tbEUlT_E_NS1_11comp_targetILNS1_3genE0ELNS1_11target_archE4294967295ELNS1_3gpuE0ELNS1_3repE0EEENS1_30default_config_static_selectorELNS0_4arch9wavefront6targetE0EEEvSK_.private_seg_size, 0
	.set _ZN7rocprim17ROCPRIM_400000_NS6detail17trampoline_kernelINS0_14default_configENS1_36segmented_radix_sort_config_selectorIilEEZNS1_25segmented_radix_sort_implIS3_Lb1EPKiPiPKlPlN2at6native12_GLOBAL__N_18offset_tEEE10hipError_tPvRmT1_PNSt15iterator_traitsISK_E10value_typeET2_T3_PNSL_ISQ_E10value_typeET4_jRbjT5_SW_jjP12ihipStream_tbEUlT_E_NS1_11comp_targetILNS1_3genE0ELNS1_11target_archE4294967295ELNS1_3gpuE0ELNS1_3repE0EEENS1_30default_config_static_selectorELNS0_4arch9wavefront6targetE0EEEvSK_.uses_vcc, 0
	.set _ZN7rocprim17ROCPRIM_400000_NS6detail17trampoline_kernelINS0_14default_configENS1_36segmented_radix_sort_config_selectorIilEEZNS1_25segmented_radix_sort_implIS3_Lb1EPKiPiPKlPlN2at6native12_GLOBAL__N_18offset_tEEE10hipError_tPvRmT1_PNSt15iterator_traitsISK_E10value_typeET2_T3_PNSL_ISQ_E10value_typeET4_jRbjT5_SW_jjP12ihipStream_tbEUlT_E_NS1_11comp_targetILNS1_3genE0ELNS1_11target_archE4294967295ELNS1_3gpuE0ELNS1_3repE0EEENS1_30default_config_static_selectorELNS0_4arch9wavefront6targetE0EEEvSK_.uses_flat_scratch, 0
	.set _ZN7rocprim17ROCPRIM_400000_NS6detail17trampoline_kernelINS0_14default_configENS1_36segmented_radix_sort_config_selectorIilEEZNS1_25segmented_radix_sort_implIS3_Lb1EPKiPiPKlPlN2at6native12_GLOBAL__N_18offset_tEEE10hipError_tPvRmT1_PNSt15iterator_traitsISK_E10value_typeET2_T3_PNSL_ISQ_E10value_typeET4_jRbjT5_SW_jjP12ihipStream_tbEUlT_E_NS1_11comp_targetILNS1_3genE0ELNS1_11target_archE4294967295ELNS1_3gpuE0ELNS1_3repE0EEENS1_30default_config_static_selectorELNS0_4arch9wavefront6targetE0EEEvSK_.has_dyn_sized_stack, 0
	.set _ZN7rocprim17ROCPRIM_400000_NS6detail17trampoline_kernelINS0_14default_configENS1_36segmented_radix_sort_config_selectorIilEEZNS1_25segmented_radix_sort_implIS3_Lb1EPKiPiPKlPlN2at6native12_GLOBAL__N_18offset_tEEE10hipError_tPvRmT1_PNSt15iterator_traitsISK_E10value_typeET2_T3_PNSL_ISQ_E10value_typeET4_jRbjT5_SW_jjP12ihipStream_tbEUlT_E_NS1_11comp_targetILNS1_3genE0ELNS1_11target_archE4294967295ELNS1_3gpuE0ELNS1_3repE0EEENS1_30default_config_static_selectorELNS0_4arch9wavefront6targetE0EEEvSK_.has_recursion, 0
	.set _ZN7rocprim17ROCPRIM_400000_NS6detail17trampoline_kernelINS0_14default_configENS1_36segmented_radix_sort_config_selectorIilEEZNS1_25segmented_radix_sort_implIS3_Lb1EPKiPiPKlPlN2at6native12_GLOBAL__N_18offset_tEEE10hipError_tPvRmT1_PNSt15iterator_traitsISK_E10value_typeET2_T3_PNSL_ISQ_E10value_typeET4_jRbjT5_SW_jjP12ihipStream_tbEUlT_E_NS1_11comp_targetILNS1_3genE0ELNS1_11target_archE4294967295ELNS1_3gpuE0ELNS1_3repE0EEENS1_30default_config_static_selectorELNS0_4arch9wavefront6targetE0EEEvSK_.has_indirect_call, 0
	.section	.AMDGPU.csdata,"",@progbits
; Kernel info:
; codeLenInByte = 0
; TotalNumSgprs: 0
; NumVgprs: 0
; ScratchSize: 0
; MemoryBound: 0
; FloatMode: 240
; IeeeMode: 1
; LDSByteSize: 0 bytes/workgroup (compile time only)
; SGPRBlocks: 0
; VGPRBlocks: 0
; NumSGPRsForWavesPerEU: 1
; NumVGPRsForWavesPerEU: 1
; Occupancy: 16
; WaveLimiterHint : 0
; COMPUTE_PGM_RSRC2:SCRATCH_EN: 0
; COMPUTE_PGM_RSRC2:USER_SGPR: 6
; COMPUTE_PGM_RSRC2:TRAP_HANDLER: 0
; COMPUTE_PGM_RSRC2:TGID_X_EN: 1
; COMPUTE_PGM_RSRC2:TGID_Y_EN: 0
; COMPUTE_PGM_RSRC2:TGID_Z_EN: 0
; COMPUTE_PGM_RSRC2:TIDIG_COMP_CNT: 0
	.section	.text._ZN7rocprim17ROCPRIM_400000_NS6detail17trampoline_kernelINS0_14default_configENS1_36segmented_radix_sort_config_selectorIilEEZNS1_25segmented_radix_sort_implIS3_Lb1EPKiPiPKlPlN2at6native12_GLOBAL__N_18offset_tEEE10hipError_tPvRmT1_PNSt15iterator_traitsISK_E10value_typeET2_T3_PNSL_ISQ_E10value_typeET4_jRbjT5_SW_jjP12ihipStream_tbEUlT_E_NS1_11comp_targetILNS1_3genE5ELNS1_11target_archE942ELNS1_3gpuE9ELNS1_3repE0EEENS1_30default_config_static_selectorELNS0_4arch9wavefront6targetE0EEEvSK_,"axG",@progbits,_ZN7rocprim17ROCPRIM_400000_NS6detail17trampoline_kernelINS0_14default_configENS1_36segmented_radix_sort_config_selectorIilEEZNS1_25segmented_radix_sort_implIS3_Lb1EPKiPiPKlPlN2at6native12_GLOBAL__N_18offset_tEEE10hipError_tPvRmT1_PNSt15iterator_traitsISK_E10value_typeET2_T3_PNSL_ISQ_E10value_typeET4_jRbjT5_SW_jjP12ihipStream_tbEUlT_E_NS1_11comp_targetILNS1_3genE5ELNS1_11target_archE942ELNS1_3gpuE9ELNS1_3repE0EEENS1_30default_config_static_selectorELNS0_4arch9wavefront6targetE0EEEvSK_,comdat
	.globl	_ZN7rocprim17ROCPRIM_400000_NS6detail17trampoline_kernelINS0_14default_configENS1_36segmented_radix_sort_config_selectorIilEEZNS1_25segmented_radix_sort_implIS3_Lb1EPKiPiPKlPlN2at6native12_GLOBAL__N_18offset_tEEE10hipError_tPvRmT1_PNSt15iterator_traitsISK_E10value_typeET2_T3_PNSL_ISQ_E10value_typeET4_jRbjT5_SW_jjP12ihipStream_tbEUlT_E_NS1_11comp_targetILNS1_3genE5ELNS1_11target_archE942ELNS1_3gpuE9ELNS1_3repE0EEENS1_30default_config_static_selectorELNS0_4arch9wavefront6targetE0EEEvSK_ ; -- Begin function _ZN7rocprim17ROCPRIM_400000_NS6detail17trampoline_kernelINS0_14default_configENS1_36segmented_radix_sort_config_selectorIilEEZNS1_25segmented_radix_sort_implIS3_Lb1EPKiPiPKlPlN2at6native12_GLOBAL__N_18offset_tEEE10hipError_tPvRmT1_PNSt15iterator_traitsISK_E10value_typeET2_T3_PNSL_ISQ_E10value_typeET4_jRbjT5_SW_jjP12ihipStream_tbEUlT_E_NS1_11comp_targetILNS1_3genE5ELNS1_11target_archE942ELNS1_3gpuE9ELNS1_3repE0EEENS1_30default_config_static_selectorELNS0_4arch9wavefront6targetE0EEEvSK_
	.p2align	8
	.type	_ZN7rocprim17ROCPRIM_400000_NS6detail17trampoline_kernelINS0_14default_configENS1_36segmented_radix_sort_config_selectorIilEEZNS1_25segmented_radix_sort_implIS3_Lb1EPKiPiPKlPlN2at6native12_GLOBAL__N_18offset_tEEE10hipError_tPvRmT1_PNSt15iterator_traitsISK_E10value_typeET2_T3_PNSL_ISQ_E10value_typeET4_jRbjT5_SW_jjP12ihipStream_tbEUlT_E_NS1_11comp_targetILNS1_3genE5ELNS1_11target_archE942ELNS1_3gpuE9ELNS1_3repE0EEENS1_30default_config_static_selectorELNS0_4arch9wavefront6targetE0EEEvSK_,@function
_ZN7rocprim17ROCPRIM_400000_NS6detail17trampoline_kernelINS0_14default_configENS1_36segmented_radix_sort_config_selectorIilEEZNS1_25segmented_radix_sort_implIS3_Lb1EPKiPiPKlPlN2at6native12_GLOBAL__N_18offset_tEEE10hipError_tPvRmT1_PNSt15iterator_traitsISK_E10value_typeET2_T3_PNSL_ISQ_E10value_typeET4_jRbjT5_SW_jjP12ihipStream_tbEUlT_E_NS1_11comp_targetILNS1_3genE5ELNS1_11target_archE942ELNS1_3gpuE9ELNS1_3repE0EEENS1_30default_config_static_selectorELNS0_4arch9wavefront6targetE0EEEvSK_: ; @_ZN7rocprim17ROCPRIM_400000_NS6detail17trampoline_kernelINS0_14default_configENS1_36segmented_radix_sort_config_selectorIilEEZNS1_25segmented_radix_sort_implIS3_Lb1EPKiPiPKlPlN2at6native12_GLOBAL__N_18offset_tEEE10hipError_tPvRmT1_PNSt15iterator_traitsISK_E10value_typeET2_T3_PNSL_ISQ_E10value_typeET4_jRbjT5_SW_jjP12ihipStream_tbEUlT_E_NS1_11comp_targetILNS1_3genE5ELNS1_11target_archE942ELNS1_3gpuE9ELNS1_3repE0EEENS1_30default_config_static_selectorELNS0_4arch9wavefront6targetE0EEEvSK_
; %bb.0:
	.section	.rodata,"a",@progbits
	.p2align	6, 0x0
	.amdhsa_kernel _ZN7rocprim17ROCPRIM_400000_NS6detail17trampoline_kernelINS0_14default_configENS1_36segmented_radix_sort_config_selectorIilEEZNS1_25segmented_radix_sort_implIS3_Lb1EPKiPiPKlPlN2at6native12_GLOBAL__N_18offset_tEEE10hipError_tPvRmT1_PNSt15iterator_traitsISK_E10value_typeET2_T3_PNSL_ISQ_E10value_typeET4_jRbjT5_SW_jjP12ihipStream_tbEUlT_E_NS1_11comp_targetILNS1_3genE5ELNS1_11target_archE942ELNS1_3gpuE9ELNS1_3repE0EEENS1_30default_config_static_selectorELNS0_4arch9wavefront6targetE0EEEvSK_
		.amdhsa_group_segment_fixed_size 0
		.amdhsa_private_segment_fixed_size 0
		.amdhsa_kernarg_size 96
		.amdhsa_user_sgpr_count 6
		.amdhsa_user_sgpr_private_segment_buffer 1
		.amdhsa_user_sgpr_dispatch_ptr 0
		.amdhsa_user_sgpr_queue_ptr 0
		.amdhsa_user_sgpr_kernarg_segment_ptr 1
		.amdhsa_user_sgpr_dispatch_id 0
		.amdhsa_user_sgpr_flat_scratch_init 0
		.amdhsa_user_sgpr_private_segment_size 0
		.amdhsa_wavefront_size32 1
		.amdhsa_uses_dynamic_stack 0
		.amdhsa_system_sgpr_private_segment_wavefront_offset 0
		.amdhsa_system_sgpr_workgroup_id_x 1
		.amdhsa_system_sgpr_workgroup_id_y 0
		.amdhsa_system_sgpr_workgroup_id_z 0
		.amdhsa_system_sgpr_workgroup_info 0
		.amdhsa_system_vgpr_workitem_id 0
		.amdhsa_next_free_vgpr 1
		.amdhsa_next_free_sgpr 1
		.amdhsa_reserve_vcc 0
		.amdhsa_reserve_flat_scratch 0
		.amdhsa_float_round_mode_32 0
		.amdhsa_float_round_mode_16_64 0
		.amdhsa_float_denorm_mode_32 3
		.amdhsa_float_denorm_mode_16_64 3
		.amdhsa_dx10_clamp 1
		.amdhsa_ieee_mode 1
		.amdhsa_fp16_overflow 0
		.amdhsa_workgroup_processor_mode 1
		.amdhsa_memory_ordered 1
		.amdhsa_forward_progress 1
		.amdhsa_shared_vgpr_count 0
		.amdhsa_exception_fp_ieee_invalid_op 0
		.amdhsa_exception_fp_denorm_src 0
		.amdhsa_exception_fp_ieee_div_zero 0
		.amdhsa_exception_fp_ieee_overflow 0
		.amdhsa_exception_fp_ieee_underflow 0
		.amdhsa_exception_fp_ieee_inexact 0
		.amdhsa_exception_int_div_zero 0
	.end_amdhsa_kernel
	.section	.text._ZN7rocprim17ROCPRIM_400000_NS6detail17trampoline_kernelINS0_14default_configENS1_36segmented_radix_sort_config_selectorIilEEZNS1_25segmented_radix_sort_implIS3_Lb1EPKiPiPKlPlN2at6native12_GLOBAL__N_18offset_tEEE10hipError_tPvRmT1_PNSt15iterator_traitsISK_E10value_typeET2_T3_PNSL_ISQ_E10value_typeET4_jRbjT5_SW_jjP12ihipStream_tbEUlT_E_NS1_11comp_targetILNS1_3genE5ELNS1_11target_archE942ELNS1_3gpuE9ELNS1_3repE0EEENS1_30default_config_static_selectorELNS0_4arch9wavefront6targetE0EEEvSK_,"axG",@progbits,_ZN7rocprim17ROCPRIM_400000_NS6detail17trampoline_kernelINS0_14default_configENS1_36segmented_radix_sort_config_selectorIilEEZNS1_25segmented_radix_sort_implIS3_Lb1EPKiPiPKlPlN2at6native12_GLOBAL__N_18offset_tEEE10hipError_tPvRmT1_PNSt15iterator_traitsISK_E10value_typeET2_T3_PNSL_ISQ_E10value_typeET4_jRbjT5_SW_jjP12ihipStream_tbEUlT_E_NS1_11comp_targetILNS1_3genE5ELNS1_11target_archE942ELNS1_3gpuE9ELNS1_3repE0EEENS1_30default_config_static_selectorELNS0_4arch9wavefront6targetE0EEEvSK_,comdat
.Lfunc_end494:
	.size	_ZN7rocprim17ROCPRIM_400000_NS6detail17trampoline_kernelINS0_14default_configENS1_36segmented_radix_sort_config_selectorIilEEZNS1_25segmented_radix_sort_implIS3_Lb1EPKiPiPKlPlN2at6native12_GLOBAL__N_18offset_tEEE10hipError_tPvRmT1_PNSt15iterator_traitsISK_E10value_typeET2_T3_PNSL_ISQ_E10value_typeET4_jRbjT5_SW_jjP12ihipStream_tbEUlT_E_NS1_11comp_targetILNS1_3genE5ELNS1_11target_archE942ELNS1_3gpuE9ELNS1_3repE0EEENS1_30default_config_static_selectorELNS0_4arch9wavefront6targetE0EEEvSK_, .Lfunc_end494-_ZN7rocprim17ROCPRIM_400000_NS6detail17trampoline_kernelINS0_14default_configENS1_36segmented_radix_sort_config_selectorIilEEZNS1_25segmented_radix_sort_implIS3_Lb1EPKiPiPKlPlN2at6native12_GLOBAL__N_18offset_tEEE10hipError_tPvRmT1_PNSt15iterator_traitsISK_E10value_typeET2_T3_PNSL_ISQ_E10value_typeET4_jRbjT5_SW_jjP12ihipStream_tbEUlT_E_NS1_11comp_targetILNS1_3genE5ELNS1_11target_archE942ELNS1_3gpuE9ELNS1_3repE0EEENS1_30default_config_static_selectorELNS0_4arch9wavefront6targetE0EEEvSK_
                                        ; -- End function
	.set _ZN7rocprim17ROCPRIM_400000_NS6detail17trampoline_kernelINS0_14default_configENS1_36segmented_radix_sort_config_selectorIilEEZNS1_25segmented_radix_sort_implIS3_Lb1EPKiPiPKlPlN2at6native12_GLOBAL__N_18offset_tEEE10hipError_tPvRmT1_PNSt15iterator_traitsISK_E10value_typeET2_T3_PNSL_ISQ_E10value_typeET4_jRbjT5_SW_jjP12ihipStream_tbEUlT_E_NS1_11comp_targetILNS1_3genE5ELNS1_11target_archE942ELNS1_3gpuE9ELNS1_3repE0EEENS1_30default_config_static_selectorELNS0_4arch9wavefront6targetE0EEEvSK_.num_vgpr, 0
	.set _ZN7rocprim17ROCPRIM_400000_NS6detail17trampoline_kernelINS0_14default_configENS1_36segmented_radix_sort_config_selectorIilEEZNS1_25segmented_radix_sort_implIS3_Lb1EPKiPiPKlPlN2at6native12_GLOBAL__N_18offset_tEEE10hipError_tPvRmT1_PNSt15iterator_traitsISK_E10value_typeET2_T3_PNSL_ISQ_E10value_typeET4_jRbjT5_SW_jjP12ihipStream_tbEUlT_E_NS1_11comp_targetILNS1_3genE5ELNS1_11target_archE942ELNS1_3gpuE9ELNS1_3repE0EEENS1_30default_config_static_selectorELNS0_4arch9wavefront6targetE0EEEvSK_.num_agpr, 0
	.set _ZN7rocprim17ROCPRIM_400000_NS6detail17trampoline_kernelINS0_14default_configENS1_36segmented_radix_sort_config_selectorIilEEZNS1_25segmented_radix_sort_implIS3_Lb1EPKiPiPKlPlN2at6native12_GLOBAL__N_18offset_tEEE10hipError_tPvRmT1_PNSt15iterator_traitsISK_E10value_typeET2_T3_PNSL_ISQ_E10value_typeET4_jRbjT5_SW_jjP12ihipStream_tbEUlT_E_NS1_11comp_targetILNS1_3genE5ELNS1_11target_archE942ELNS1_3gpuE9ELNS1_3repE0EEENS1_30default_config_static_selectorELNS0_4arch9wavefront6targetE0EEEvSK_.numbered_sgpr, 0
	.set _ZN7rocprim17ROCPRIM_400000_NS6detail17trampoline_kernelINS0_14default_configENS1_36segmented_radix_sort_config_selectorIilEEZNS1_25segmented_radix_sort_implIS3_Lb1EPKiPiPKlPlN2at6native12_GLOBAL__N_18offset_tEEE10hipError_tPvRmT1_PNSt15iterator_traitsISK_E10value_typeET2_T3_PNSL_ISQ_E10value_typeET4_jRbjT5_SW_jjP12ihipStream_tbEUlT_E_NS1_11comp_targetILNS1_3genE5ELNS1_11target_archE942ELNS1_3gpuE9ELNS1_3repE0EEENS1_30default_config_static_selectorELNS0_4arch9wavefront6targetE0EEEvSK_.num_named_barrier, 0
	.set _ZN7rocprim17ROCPRIM_400000_NS6detail17trampoline_kernelINS0_14default_configENS1_36segmented_radix_sort_config_selectorIilEEZNS1_25segmented_radix_sort_implIS3_Lb1EPKiPiPKlPlN2at6native12_GLOBAL__N_18offset_tEEE10hipError_tPvRmT1_PNSt15iterator_traitsISK_E10value_typeET2_T3_PNSL_ISQ_E10value_typeET4_jRbjT5_SW_jjP12ihipStream_tbEUlT_E_NS1_11comp_targetILNS1_3genE5ELNS1_11target_archE942ELNS1_3gpuE9ELNS1_3repE0EEENS1_30default_config_static_selectorELNS0_4arch9wavefront6targetE0EEEvSK_.private_seg_size, 0
	.set _ZN7rocprim17ROCPRIM_400000_NS6detail17trampoline_kernelINS0_14default_configENS1_36segmented_radix_sort_config_selectorIilEEZNS1_25segmented_radix_sort_implIS3_Lb1EPKiPiPKlPlN2at6native12_GLOBAL__N_18offset_tEEE10hipError_tPvRmT1_PNSt15iterator_traitsISK_E10value_typeET2_T3_PNSL_ISQ_E10value_typeET4_jRbjT5_SW_jjP12ihipStream_tbEUlT_E_NS1_11comp_targetILNS1_3genE5ELNS1_11target_archE942ELNS1_3gpuE9ELNS1_3repE0EEENS1_30default_config_static_selectorELNS0_4arch9wavefront6targetE0EEEvSK_.uses_vcc, 0
	.set _ZN7rocprim17ROCPRIM_400000_NS6detail17trampoline_kernelINS0_14default_configENS1_36segmented_radix_sort_config_selectorIilEEZNS1_25segmented_radix_sort_implIS3_Lb1EPKiPiPKlPlN2at6native12_GLOBAL__N_18offset_tEEE10hipError_tPvRmT1_PNSt15iterator_traitsISK_E10value_typeET2_T3_PNSL_ISQ_E10value_typeET4_jRbjT5_SW_jjP12ihipStream_tbEUlT_E_NS1_11comp_targetILNS1_3genE5ELNS1_11target_archE942ELNS1_3gpuE9ELNS1_3repE0EEENS1_30default_config_static_selectorELNS0_4arch9wavefront6targetE0EEEvSK_.uses_flat_scratch, 0
	.set _ZN7rocprim17ROCPRIM_400000_NS6detail17trampoline_kernelINS0_14default_configENS1_36segmented_radix_sort_config_selectorIilEEZNS1_25segmented_radix_sort_implIS3_Lb1EPKiPiPKlPlN2at6native12_GLOBAL__N_18offset_tEEE10hipError_tPvRmT1_PNSt15iterator_traitsISK_E10value_typeET2_T3_PNSL_ISQ_E10value_typeET4_jRbjT5_SW_jjP12ihipStream_tbEUlT_E_NS1_11comp_targetILNS1_3genE5ELNS1_11target_archE942ELNS1_3gpuE9ELNS1_3repE0EEENS1_30default_config_static_selectorELNS0_4arch9wavefront6targetE0EEEvSK_.has_dyn_sized_stack, 0
	.set _ZN7rocprim17ROCPRIM_400000_NS6detail17trampoline_kernelINS0_14default_configENS1_36segmented_radix_sort_config_selectorIilEEZNS1_25segmented_radix_sort_implIS3_Lb1EPKiPiPKlPlN2at6native12_GLOBAL__N_18offset_tEEE10hipError_tPvRmT1_PNSt15iterator_traitsISK_E10value_typeET2_T3_PNSL_ISQ_E10value_typeET4_jRbjT5_SW_jjP12ihipStream_tbEUlT_E_NS1_11comp_targetILNS1_3genE5ELNS1_11target_archE942ELNS1_3gpuE9ELNS1_3repE0EEENS1_30default_config_static_selectorELNS0_4arch9wavefront6targetE0EEEvSK_.has_recursion, 0
	.set _ZN7rocprim17ROCPRIM_400000_NS6detail17trampoline_kernelINS0_14default_configENS1_36segmented_radix_sort_config_selectorIilEEZNS1_25segmented_radix_sort_implIS3_Lb1EPKiPiPKlPlN2at6native12_GLOBAL__N_18offset_tEEE10hipError_tPvRmT1_PNSt15iterator_traitsISK_E10value_typeET2_T3_PNSL_ISQ_E10value_typeET4_jRbjT5_SW_jjP12ihipStream_tbEUlT_E_NS1_11comp_targetILNS1_3genE5ELNS1_11target_archE942ELNS1_3gpuE9ELNS1_3repE0EEENS1_30default_config_static_selectorELNS0_4arch9wavefront6targetE0EEEvSK_.has_indirect_call, 0
	.section	.AMDGPU.csdata,"",@progbits
; Kernel info:
; codeLenInByte = 0
; TotalNumSgprs: 0
; NumVgprs: 0
; ScratchSize: 0
; MemoryBound: 0
; FloatMode: 240
; IeeeMode: 1
; LDSByteSize: 0 bytes/workgroup (compile time only)
; SGPRBlocks: 0
; VGPRBlocks: 0
; NumSGPRsForWavesPerEU: 1
; NumVGPRsForWavesPerEU: 1
; Occupancy: 16
; WaveLimiterHint : 0
; COMPUTE_PGM_RSRC2:SCRATCH_EN: 0
; COMPUTE_PGM_RSRC2:USER_SGPR: 6
; COMPUTE_PGM_RSRC2:TRAP_HANDLER: 0
; COMPUTE_PGM_RSRC2:TGID_X_EN: 1
; COMPUTE_PGM_RSRC2:TGID_Y_EN: 0
; COMPUTE_PGM_RSRC2:TGID_Z_EN: 0
; COMPUTE_PGM_RSRC2:TIDIG_COMP_CNT: 0
	.section	.text._ZN7rocprim17ROCPRIM_400000_NS6detail17trampoline_kernelINS0_14default_configENS1_36segmented_radix_sort_config_selectorIilEEZNS1_25segmented_radix_sort_implIS3_Lb1EPKiPiPKlPlN2at6native12_GLOBAL__N_18offset_tEEE10hipError_tPvRmT1_PNSt15iterator_traitsISK_E10value_typeET2_T3_PNSL_ISQ_E10value_typeET4_jRbjT5_SW_jjP12ihipStream_tbEUlT_E_NS1_11comp_targetILNS1_3genE4ELNS1_11target_archE910ELNS1_3gpuE8ELNS1_3repE0EEENS1_30default_config_static_selectorELNS0_4arch9wavefront6targetE0EEEvSK_,"axG",@progbits,_ZN7rocprim17ROCPRIM_400000_NS6detail17trampoline_kernelINS0_14default_configENS1_36segmented_radix_sort_config_selectorIilEEZNS1_25segmented_radix_sort_implIS3_Lb1EPKiPiPKlPlN2at6native12_GLOBAL__N_18offset_tEEE10hipError_tPvRmT1_PNSt15iterator_traitsISK_E10value_typeET2_T3_PNSL_ISQ_E10value_typeET4_jRbjT5_SW_jjP12ihipStream_tbEUlT_E_NS1_11comp_targetILNS1_3genE4ELNS1_11target_archE910ELNS1_3gpuE8ELNS1_3repE0EEENS1_30default_config_static_selectorELNS0_4arch9wavefront6targetE0EEEvSK_,comdat
	.globl	_ZN7rocprim17ROCPRIM_400000_NS6detail17trampoline_kernelINS0_14default_configENS1_36segmented_radix_sort_config_selectorIilEEZNS1_25segmented_radix_sort_implIS3_Lb1EPKiPiPKlPlN2at6native12_GLOBAL__N_18offset_tEEE10hipError_tPvRmT1_PNSt15iterator_traitsISK_E10value_typeET2_T3_PNSL_ISQ_E10value_typeET4_jRbjT5_SW_jjP12ihipStream_tbEUlT_E_NS1_11comp_targetILNS1_3genE4ELNS1_11target_archE910ELNS1_3gpuE8ELNS1_3repE0EEENS1_30default_config_static_selectorELNS0_4arch9wavefront6targetE0EEEvSK_ ; -- Begin function _ZN7rocprim17ROCPRIM_400000_NS6detail17trampoline_kernelINS0_14default_configENS1_36segmented_radix_sort_config_selectorIilEEZNS1_25segmented_radix_sort_implIS3_Lb1EPKiPiPKlPlN2at6native12_GLOBAL__N_18offset_tEEE10hipError_tPvRmT1_PNSt15iterator_traitsISK_E10value_typeET2_T3_PNSL_ISQ_E10value_typeET4_jRbjT5_SW_jjP12ihipStream_tbEUlT_E_NS1_11comp_targetILNS1_3genE4ELNS1_11target_archE910ELNS1_3gpuE8ELNS1_3repE0EEENS1_30default_config_static_selectorELNS0_4arch9wavefront6targetE0EEEvSK_
	.p2align	8
	.type	_ZN7rocprim17ROCPRIM_400000_NS6detail17trampoline_kernelINS0_14default_configENS1_36segmented_radix_sort_config_selectorIilEEZNS1_25segmented_radix_sort_implIS3_Lb1EPKiPiPKlPlN2at6native12_GLOBAL__N_18offset_tEEE10hipError_tPvRmT1_PNSt15iterator_traitsISK_E10value_typeET2_T3_PNSL_ISQ_E10value_typeET4_jRbjT5_SW_jjP12ihipStream_tbEUlT_E_NS1_11comp_targetILNS1_3genE4ELNS1_11target_archE910ELNS1_3gpuE8ELNS1_3repE0EEENS1_30default_config_static_selectorELNS0_4arch9wavefront6targetE0EEEvSK_,@function
_ZN7rocprim17ROCPRIM_400000_NS6detail17trampoline_kernelINS0_14default_configENS1_36segmented_radix_sort_config_selectorIilEEZNS1_25segmented_radix_sort_implIS3_Lb1EPKiPiPKlPlN2at6native12_GLOBAL__N_18offset_tEEE10hipError_tPvRmT1_PNSt15iterator_traitsISK_E10value_typeET2_T3_PNSL_ISQ_E10value_typeET4_jRbjT5_SW_jjP12ihipStream_tbEUlT_E_NS1_11comp_targetILNS1_3genE4ELNS1_11target_archE910ELNS1_3gpuE8ELNS1_3repE0EEENS1_30default_config_static_selectorELNS0_4arch9wavefront6targetE0EEEvSK_: ; @_ZN7rocprim17ROCPRIM_400000_NS6detail17trampoline_kernelINS0_14default_configENS1_36segmented_radix_sort_config_selectorIilEEZNS1_25segmented_radix_sort_implIS3_Lb1EPKiPiPKlPlN2at6native12_GLOBAL__N_18offset_tEEE10hipError_tPvRmT1_PNSt15iterator_traitsISK_E10value_typeET2_T3_PNSL_ISQ_E10value_typeET4_jRbjT5_SW_jjP12ihipStream_tbEUlT_E_NS1_11comp_targetILNS1_3genE4ELNS1_11target_archE910ELNS1_3gpuE8ELNS1_3repE0EEENS1_30default_config_static_selectorELNS0_4arch9wavefront6targetE0EEEvSK_
; %bb.0:
	.section	.rodata,"a",@progbits
	.p2align	6, 0x0
	.amdhsa_kernel _ZN7rocprim17ROCPRIM_400000_NS6detail17trampoline_kernelINS0_14default_configENS1_36segmented_radix_sort_config_selectorIilEEZNS1_25segmented_radix_sort_implIS3_Lb1EPKiPiPKlPlN2at6native12_GLOBAL__N_18offset_tEEE10hipError_tPvRmT1_PNSt15iterator_traitsISK_E10value_typeET2_T3_PNSL_ISQ_E10value_typeET4_jRbjT5_SW_jjP12ihipStream_tbEUlT_E_NS1_11comp_targetILNS1_3genE4ELNS1_11target_archE910ELNS1_3gpuE8ELNS1_3repE0EEENS1_30default_config_static_selectorELNS0_4arch9wavefront6targetE0EEEvSK_
		.amdhsa_group_segment_fixed_size 0
		.amdhsa_private_segment_fixed_size 0
		.amdhsa_kernarg_size 96
		.amdhsa_user_sgpr_count 6
		.amdhsa_user_sgpr_private_segment_buffer 1
		.amdhsa_user_sgpr_dispatch_ptr 0
		.amdhsa_user_sgpr_queue_ptr 0
		.amdhsa_user_sgpr_kernarg_segment_ptr 1
		.amdhsa_user_sgpr_dispatch_id 0
		.amdhsa_user_sgpr_flat_scratch_init 0
		.amdhsa_user_sgpr_private_segment_size 0
		.amdhsa_wavefront_size32 1
		.amdhsa_uses_dynamic_stack 0
		.amdhsa_system_sgpr_private_segment_wavefront_offset 0
		.amdhsa_system_sgpr_workgroup_id_x 1
		.amdhsa_system_sgpr_workgroup_id_y 0
		.amdhsa_system_sgpr_workgroup_id_z 0
		.amdhsa_system_sgpr_workgroup_info 0
		.amdhsa_system_vgpr_workitem_id 0
		.amdhsa_next_free_vgpr 1
		.amdhsa_next_free_sgpr 1
		.amdhsa_reserve_vcc 0
		.amdhsa_reserve_flat_scratch 0
		.amdhsa_float_round_mode_32 0
		.amdhsa_float_round_mode_16_64 0
		.amdhsa_float_denorm_mode_32 3
		.amdhsa_float_denorm_mode_16_64 3
		.amdhsa_dx10_clamp 1
		.amdhsa_ieee_mode 1
		.amdhsa_fp16_overflow 0
		.amdhsa_workgroup_processor_mode 1
		.amdhsa_memory_ordered 1
		.amdhsa_forward_progress 1
		.amdhsa_shared_vgpr_count 0
		.amdhsa_exception_fp_ieee_invalid_op 0
		.amdhsa_exception_fp_denorm_src 0
		.amdhsa_exception_fp_ieee_div_zero 0
		.amdhsa_exception_fp_ieee_overflow 0
		.amdhsa_exception_fp_ieee_underflow 0
		.amdhsa_exception_fp_ieee_inexact 0
		.amdhsa_exception_int_div_zero 0
	.end_amdhsa_kernel
	.section	.text._ZN7rocprim17ROCPRIM_400000_NS6detail17trampoline_kernelINS0_14default_configENS1_36segmented_radix_sort_config_selectorIilEEZNS1_25segmented_radix_sort_implIS3_Lb1EPKiPiPKlPlN2at6native12_GLOBAL__N_18offset_tEEE10hipError_tPvRmT1_PNSt15iterator_traitsISK_E10value_typeET2_T3_PNSL_ISQ_E10value_typeET4_jRbjT5_SW_jjP12ihipStream_tbEUlT_E_NS1_11comp_targetILNS1_3genE4ELNS1_11target_archE910ELNS1_3gpuE8ELNS1_3repE0EEENS1_30default_config_static_selectorELNS0_4arch9wavefront6targetE0EEEvSK_,"axG",@progbits,_ZN7rocprim17ROCPRIM_400000_NS6detail17trampoline_kernelINS0_14default_configENS1_36segmented_radix_sort_config_selectorIilEEZNS1_25segmented_radix_sort_implIS3_Lb1EPKiPiPKlPlN2at6native12_GLOBAL__N_18offset_tEEE10hipError_tPvRmT1_PNSt15iterator_traitsISK_E10value_typeET2_T3_PNSL_ISQ_E10value_typeET4_jRbjT5_SW_jjP12ihipStream_tbEUlT_E_NS1_11comp_targetILNS1_3genE4ELNS1_11target_archE910ELNS1_3gpuE8ELNS1_3repE0EEENS1_30default_config_static_selectorELNS0_4arch9wavefront6targetE0EEEvSK_,comdat
.Lfunc_end495:
	.size	_ZN7rocprim17ROCPRIM_400000_NS6detail17trampoline_kernelINS0_14default_configENS1_36segmented_radix_sort_config_selectorIilEEZNS1_25segmented_radix_sort_implIS3_Lb1EPKiPiPKlPlN2at6native12_GLOBAL__N_18offset_tEEE10hipError_tPvRmT1_PNSt15iterator_traitsISK_E10value_typeET2_T3_PNSL_ISQ_E10value_typeET4_jRbjT5_SW_jjP12ihipStream_tbEUlT_E_NS1_11comp_targetILNS1_3genE4ELNS1_11target_archE910ELNS1_3gpuE8ELNS1_3repE0EEENS1_30default_config_static_selectorELNS0_4arch9wavefront6targetE0EEEvSK_, .Lfunc_end495-_ZN7rocprim17ROCPRIM_400000_NS6detail17trampoline_kernelINS0_14default_configENS1_36segmented_radix_sort_config_selectorIilEEZNS1_25segmented_radix_sort_implIS3_Lb1EPKiPiPKlPlN2at6native12_GLOBAL__N_18offset_tEEE10hipError_tPvRmT1_PNSt15iterator_traitsISK_E10value_typeET2_T3_PNSL_ISQ_E10value_typeET4_jRbjT5_SW_jjP12ihipStream_tbEUlT_E_NS1_11comp_targetILNS1_3genE4ELNS1_11target_archE910ELNS1_3gpuE8ELNS1_3repE0EEENS1_30default_config_static_selectorELNS0_4arch9wavefront6targetE0EEEvSK_
                                        ; -- End function
	.set _ZN7rocprim17ROCPRIM_400000_NS6detail17trampoline_kernelINS0_14default_configENS1_36segmented_radix_sort_config_selectorIilEEZNS1_25segmented_radix_sort_implIS3_Lb1EPKiPiPKlPlN2at6native12_GLOBAL__N_18offset_tEEE10hipError_tPvRmT1_PNSt15iterator_traitsISK_E10value_typeET2_T3_PNSL_ISQ_E10value_typeET4_jRbjT5_SW_jjP12ihipStream_tbEUlT_E_NS1_11comp_targetILNS1_3genE4ELNS1_11target_archE910ELNS1_3gpuE8ELNS1_3repE0EEENS1_30default_config_static_selectorELNS0_4arch9wavefront6targetE0EEEvSK_.num_vgpr, 0
	.set _ZN7rocprim17ROCPRIM_400000_NS6detail17trampoline_kernelINS0_14default_configENS1_36segmented_radix_sort_config_selectorIilEEZNS1_25segmented_radix_sort_implIS3_Lb1EPKiPiPKlPlN2at6native12_GLOBAL__N_18offset_tEEE10hipError_tPvRmT1_PNSt15iterator_traitsISK_E10value_typeET2_T3_PNSL_ISQ_E10value_typeET4_jRbjT5_SW_jjP12ihipStream_tbEUlT_E_NS1_11comp_targetILNS1_3genE4ELNS1_11target_archE910ELNS1_3gpuE8ELNS1_3repE0EEENS1_30default_config_static_selectorELNS0_4arch9wavefront6targetE0EEEvSK_.num_agpr, 0
	.set _ZN7rocprim17ROCPRIM_400000_NS6detail17trampoline_kernelINS0_14default_configENS1_36segmented_radix_sort_config_selectorIilEEZNS1_25segmented_radix_sort_implIS3_Lb1EPKiPiPKlPlN2at6native12_GLOBAL__N_18offset_tEEE10hipError_tPvRmT1_PNSt15iterator_traitsISK_E10value_typeET2_T3_PNSL_ISQ_E10value_typeET4_jRbjT5_SW_jjP12ihipStream_tbEUlT_E_NS1_11comp_targetILNS1_3genE4ELNS1_11target_archE910ELNS1_3gpuE8ELNS1_3repE0EEENS1_30default_config_static_selectorELNS0_4arch9wavefront6targetE0EEEvSK_.numbered_sgpr, 0
	.set _ZN7rocprim17ROCPRIM_400000_NS6detail17trampoline_kernelINS0_14default_configENS1_36segmented_radix_sort_config_selectorIilEEZNS1_25segmented_radix_sort_implIS3_Lb1EPKiPiPKlPlN2at6native12_GLOBAL__N_18offset_tEEE10hipError_tPvRmT1_PNSt15iterator_traitsISK_E10value_typeET2_T3_PNSL_ISQ_E10value_typeET4_jRbjT5_SW_jjP12ihipStream_tbEUlT_E_NS1_11comp_targetILNS1_3genE4ELNS1_11target_archE910ELNS1_3gpuE8ELNS1_3repE0EEENS1_30default_config_static_selectorELNS0_4arch9wavefront6targetE0EEEvSK_.num_named_barrier, 0
	.set _ZN7rocprim17ROCPRIM_400000_NS6detail17trampoline_kernelINS0_14default_configENS1_36segmented_radix_sort_config_selectorIilEEZNS1_25segmented_radix_sort_implIS3_Lb1EPKiPiPKlPlN2at6native12_GLOBAL__N_18offset_tEEE10hipError_tPvRmT1_PNSt15iterator_traitsISK_E10value_typeET2_T3_PNSL_ISQ_E10value_typeET4_jRbjT5_SW_jjP12ihipStream_tbEUlT_E_NS1_11comp_targetILNS1_3genE4ELNS1_11target_archE910ELNS1_3gpuE8ELNS1_3repE0EEENS1_30default_config_static_selectorELNS0_4arch9wavefront6targetE0EEEvSK_.private_seg_size, 0
	.set _ZN7rocprim17ROCPRIM_400000_NS6detail17trampoline_kernelINS0_14default_configENS1_36segmented_radix_sort_config_selectorIilEEZNS1_25segmented_radix_sort_implIS3_Lb1EPKiPiPKlPlN2at6native12_GLOBAL__N_18offset_tEEE10hipError_tPvRmT1_PNSt15iterator_traitsISK_E10value_typeET2_T3_PNSL_ISQ_E10value_typeET4_jRbjT5_SW_jjP12ihipStream_tbEUlT_E_NS1_11comp_targetILNS1_3genE4ELNS1_11target_archE910ELNS1_3gpuE8ELNS1_3repE0EEENS1_30default_config_static_selectorELNS0_4arch9wavefront6targetE0EEEvSK_.uses_vcc, 0
	.set _ZN7rocprim17ROCPRIM_400000_NS6detail17trampoline_kernelINS0_14default_configENS1_36segmented_radix_sort_config_selectorIilEEZNS1_25segmented_radix_sort_implIS3_Lb1EPKiPiPKlPlN2at6native12_GLOBAL__N_18offset_tEEE10hipError_tPvRmT1_PNSt15iterator_traitsISK_E10value_typeET2_T3_PNSL_ISQ_E10value_typeET4_jRbjT5_SW_jjP12ihipStream_tbEUlT_E_NS1_11comp_targetILNS1_3genE4ELNS1_11target_archE910ELNS1_3gpuE8ELNS1_3repE0EEENS1_30default_config_static_selectorELNS0_4arch9wavefront6targetE0EEEvSK_.uses_flat_scratch, 0
	.set _ZN7rocprim17ROCPRIM_400000_NS6detail17trampoline_kernelINS0_14default_configENS1_36segmented_radix_sort_config_selectorIilEEZNS1_25segmented_radix_sort_implIS3_Lb1EPKiPiPKlPlN2at6native12_GLOBAL__N_18offset_tEEE10hipError_tPvRmT1_PNSt15iterator_traitsISK_E10value_typeET2_T3_PNSL_ISQ_E10value_typeET4_jRbjT5_SW_jjP12ihipStream_tbEUlT_E_NS1_11comp_targetILNS1_3genE4ELNS1_11target_archE910ELNS1_3gpuE8ELNS1_3repE0EEENS1_30default_config_static_selectorELNS0_4arch9wavefront6targetE0EEEvSK_.has_dyn_sized_stack, 0
	.set _ZN7rocprim17ROCPRIM_400000_NS6detail17trampoline_kernelINS0_14default_configENS1_36segmented_radix_sort_config_selectorIilEEZNS1_25segmented_radix_sort_implIS3_Lb1EPKiPiPKlPlN2at6native12_GLOBAL__N_18offset_tEEE10hipError_tPvRmT1_PNSt15iterator_traitsISK_E10value_typeET2_T3_PNSL_ISQ_E10value_typeET4_jRbjT5_SW_jjP12ihipStream_tbEUlT_E_NS1_11comp_targetILNS1_3genE4ELNS1_11target_archE910ELNS1_3gpuE8ELNS1_3repE0EEENS1_30default_config_static_selectorELNS0_4arch9wavefront6targetE0EEEvSK_.has_recursion, 0
	.set _ZN7rocprim17ROCPRIM_400000_NS6detail17trampoline_kernelINS0_14default_configENS1_36segmented_radix_sort_config_selectorIilEEZNS1_25segmented_radix_sort_implIS3_Lb1EPKiPiPKlPlN2at6native12_GLOBAL__N_18offset_tEEE10hipError_tPvRmT1_PNSt15iterator_traitsISK_E10value_typeET2_T3_PNSL_ISQ_E10value_typeET4_jRbjT5_SW_jjP12ihipStream_tbEUlT_E_NS1_11comp_targetILNS1_3genE4ELNS1_11target_archE910ELNS1_3gpuE8ELNS1_3repE0EEENS1_30default_config_static_selectorELNS0_4arch9wavefront6targetE0EEEvSK_.has_indirect_call, 0
	.section	.AMDGPU.csdata,"",@progbits
; Kernel info:
; codeLenInByte = 0
; TotalNumSgprs: 0
; NumVgprs: 0
; ScratchSize: 0
; MemoryBound: 0
; FloatMode: 240
; IeeeMode: 1
; LDSByteSize: 0 bytes/workgroup (compile time only)
; SGPRBlocks: 0
; VGPRBlocks: 0
; NumSGPRsForWavesPerEU: 1
; NumVGPRsForWavesPerEU: 1
; Occupancy: 16
; WaveLimiterHint : 0
; COMPUTE_PGM_RSRC2:SCRATCH_EN: 0
; COMPUTE_PGM_RSRC2:USER_SGPR: 6
; COMPUTE_PGM_RSRC2:TRAP_HANDLER: 0
; COMPUTE_PGM_RSRC2:TGID_X_EN: 1
; COMPUTE_PGM_RSRC2:TGID_Y_EN: 0
; COMPUTE_PGM_RSRC2:TGID_Z_EN: 0
; COMPUTE_PGM_RSRC2:TIDIG_COMP_CNT: 0
	.section	.text._ZN7rocprim17ROCPRIM_400000_NS6detail17trampoline_kernelINS0_14default_configENS1_36segmented_radix_sort_config_selectorIilEEZNS1_25segmented_radix_sort_implIS3_Lb1EPKiPiPKlPlN2at6native12_GLOBAL__N_18offset_tEEE10hipError_tPvRmT1_PNSt15iterator_traitsISK_E10value_typeET2_T3_PNSL_ISQ_E10value_typeET4_jRbjT5_SW_jjP12ihipStream_tbEUlT_E_NS1_11comp_targetILNS1_3genE3ELNS1_11target_archE908ELNS1_3gpuE7ELNS1_3repE0EEENS1_30default_config_static_selectorELNS0_4arch9wavefront6targetE0EEEvSK_,"axG",@progbits,_ZN7rocprim17ROCPRIM_400000_NS6detail17trampoline_kernelINS0_14default_configENS1_36segmented_radix_sort_config_selectorIilEEZNS1_25segmented_radix_sort_implIS3_Lb1EPKiPiPKlPlN2at6native12_GLOBAL__N_18offset_tEEE10hipError_tPvRmT1_PNSt15iterator_traitsISK_E10value_typeET2_T3_PNSL_ISQ_E10value_typeET4_jRbjT5_SW_jjP12ihipStream_tbEUlT_E_NS1_11comp_targetILNS1_3genE3ELNS1_11target_archE908ELNS1_3gpuE7ELNS1_3repE0EEENS1_30default_config_static_selectorELNS0_4arch9wavefront6targetE0EEEvSK_,comdat
	.globl	_ZN7rocprim17ROCPRIM_400000_NS6detail17trampoline_kernelINS0_14default_configENS1_36segmented_radix_sort_config_selectorIilEEZNS1_25segmented_radix_sort_implIS3_Lb1EPKiPiPKlPlN2at6native12_GLOBAL__N_18offset_tEEE10hipError_tPvRmT1_PNSt15iterator_traitsISK_E10value_typeET2_T3_PNSL_ISQ_E10value_typeET4_jRbjT5_SW_jjP12ihipStream_tbEUlT_E_NS1_11comp_targetILNS1_3genE3ELNS1_11target_archE908ELNS1_3gpuE7ELNS1_3repE0EEENS1_30default_config_static_selectorELNS0_4arch9wavefront6targetE0EEEvSK_ ; -- Begin function _ZN7rocprim17ROCPRIM_400000_NS6detail17trampoline_kernelINS0_14default_configENS1_36segmented_radix_sort_config_selectorIilEEZNS1_25segmented_radix_sort_implIS3_Lb1EPKiPiPKlPlN2at6native12_GLOBAL__N_18offset_tEEE10hipError_tPvRmT1_PNSt15iterator_traitsISK_E10value_typeET2_T3_PNSL_ISQ_E10value_typeET4_jRbjT5_SW_jjP12ihipStream_tbEUlT_E_NS1_11comp_targetILNS1_3genE3ELNS1_11target_archE908ELNS1_3gpuE7ELNS1_3repE0EEENS1_30default_config_static_selectorELNS0_4arch9wavefront6targetE0EEEvSK_
	.p2align	8
	.type	_ZN7rocprim17ROCPRIM_400000_NS6detail17trampoline_kernelINS0_14default_configENS1_36segmented_radix_sort_config_selectorIilEEZNS1_25segmented_radix_sort_implIS3_Lb1EPKiPiPKlPlN2at6native12_GLOBAL__N_18offset_tEEE10hipError_tPvRmT1_PNSt15iterator_traitsISK_E10value_typeET2_T3_PNSL_ISQ_E10value_typeET4_jRbjT5_SW_jjP12ihipStream_tbEUlT_E_NS1_11comp_targetILNS1_3genE3ELNS1_11target_archE908ELNS1_3gpuE7ELNS1_3repE0EEENS1_30default_config_static_selectorELNS0_4arch9wavefront6targetE0EEEvSK_,@function
_ZN7rocprim17ROCPRIM_400000_NS6detail17trampoline_kernelINS0_14default_configENS1_36segmented_radix_sort_config_selectorIilEEZNS1_25segmented_radix_sort_implIS3_Lb1EPKiPiPKlPlN2at6native12_GLOBAL__N_18offset_tEEE10hipError_tPvRmT1_PNSt15iterator_traitsISK_E10value_typeET2_T3_PNSL_ISQ_E10value_typeET4_jRbjT5_SW_jjP12ihipStream_tbEUlT_E_NS1_11comp_targetILNS1_3genE3ELNS1_11target_archE908ELNS1_3gpuE7ELNS1_3repE0EEENS1_30default_config_static_selectorELNS0_4arch9wavefront6targetE0EEEvSK_: ; @_ZN7rocprim17ROCPRIM_400000_NS6detail17trampoline_kernelINS0_14default_configENS1_36segmented_radix_sort_config_selectorIilEEZNS1_25segmented_radix_sort_implIS3_Lb1EPKiPiPKlPlN2at6native12_GLOBAL__N_18offset_tEEE10hipError_tPvRmT1_PNSt15iterator_traitsISK_E10value_typeET2_T3_PNSL_ISQ_E10value_typeET4_jRbjT5_SW_jjP12ihipStream_tbEUlT_E_NS1_11comp_targetILNS1_3genE3ELNS1_11target_archE908ELNS1_3gpuE7ELNS1_3repE0EEENS1_30default_config_static_selectorELNS0_4arch9wavefront6targetE0EEEvSK_
; %bb.0:
	.section	.rodata,"a",@progbits
	.p2align	6, 0x0
	.amdhsa_kernel _ZN7rocprim17ROCPRIM_400000_NS6detail17trampoline_kernelINS0_14default_configENS1_36segmented_radix_sort_config_selectorIilEEZNS1_25segmented_radix_sort_implIS3_Lb1EPKiPiPKlPlN2at6native12_GLOBAL__N_18offset_tEEE10hipError_tPvRmT1_PNSt15iterator_traitsISK_E10value_typeET2_T3_PNSL_ISQ_E10value_typeET4_jRbjT5_SW_jjP12ihipStream_tbEUlT_E_NS1_11comp_targetILNS1_3genE3ELNS1_11target_archE908ELNS1_3gpuE7ELNS1_3repE0EEENS1_30default_config_static_selectorELNS0_4arch9wavefront6targetE0EEEvSK_
		.amdhsa_group_segment_fixed_size 0
		.amdhsa_private_segment_fixed_size 0
		.amdhsa_kernarg_size 96
		.amdhsa_user_sgpr_count 6
		.amdhsa_user_sgpr_private_segment_buffer 1
		.amdhsa_user_sgpr_dispatch_ptr 0
		.amdhsa_user_sgpr_queue_ptr 0
		.amdhsa_user_sgpr_kernarg_segment_ptr 1
		.amdhsa_user_sgpr_dispatch_id 0
		.amdhsa_user_sgpr_flat_scratch_init 0
		.amdhsa_user_sgpr_private_segment_size 0
		.amdhsa_wavefront_size32 1
		.amdhsa_uses_dynamic_stack 0
		.amdhsa_system_sgpr_private_segment_wavefront_offset 0
		.amdhsa_system_sgpr_workgroup_id_x 1
		.amdhsa_system_sgpr_workgroup_id_y 0
		.amdhsa_system_sgpr_workgroup_id_z 0
		.amdhsa_system_sgpr_workgroup_info 0
		.amdhsa_system_vgpr_workitem_id 0
		.amdhsa_next_free_vgpr 1
		.amdhsa_next_free_sgpr 1
		.amdhsa_reserve_vcc 0
		.amdhsa_reserve_flat_scratch 0
		.amdhsa_float_round_mode_32 0
		.amdhsa_float_round_mode_16_64 0
		.amdhsa_float_denorm_mode_32 3
		.amdhsa_float_denorm_mode_16_64 3
		.amdhsa_dx10_clamp 1
		.amdhsa_ieee_mode 1
		.amdhsa_fp16_overflow 0
		.amdhsa_workgroup_processor_mode 1
		.amdhsa_memory_ordered 1
		.amdhsa_forward_progress 1
		.amdhsa_shared_vgpr_count 0
		.amdhsa_exception_fp_ieee_invalid_op 0
		.amdhsa_exception_fp_denorm_src 0
		.amdhsa_exception_fp_ieee_div_zero 0
		.amdhsa_exception_fp_ieee_overflow 0
		.amdhsa_exception_fp_ieee_underflow 0
		.amdhsa_exception_fp_ieee_inexact 0
		.amdhsa_exception_int_div_zero 0
	.end_amdhsa_kernel
	.section	.text._ZN7rocprim17ROCPRIM_400000_NS6detail17trampoline_kernelINS0_14default_configENS1_36segmented_radix_sort_config_selectorIilEEZNS1_25segmented_radix_sort_implIS3_Lb1EPKiPiPKlPlN2at6native12_GLOBAL__N_18offset_tEEE10hipError_tPvRmT1_PNSt15iterator_traitsISK_E10value_typeET2_T3_PNSL_ISQ_E10value_typeET4_jRbjT5_SW_jjP12ihipStream_tbEUlT_E_NS1_11comp_targetILNS1_3genE3ELNS1_11target_archE908ELNS1_3gpuE7ELNS1_3repE0EEENS1_30default_config_static_selectorELNS0_4arch9wavefront6targetE0EEEvSK_,"axG",@progbits,_ZN7rocprim17ROCPRIM_400000_NS6detail17trampoline_kernelINS0_14default_configENS1_36segmented_radix_sort_config_selectorIilEEZNS1_25segmented_radix_sort_implIS3_Lb1EPKiPiPKlPlN2at6native12_GLOBAL__N_18offset_tEEE10hipError_tPvRmT1_PNSt15iterator_traitsISK_E10value_typeET2_T3_PNSL_ISQ_E10value_typeET4_jRbjT5_SW_jjP12ihipStream_tbEUlT_E_NS1_11comp_targetILNS1_3genE3ELNS1_11target_archE908ELNS1_3gpuE7ELNS1_3repE0EEENS1_30default_config_static_selectorELNS0_4arch9wavefront6targetE0EEEvSK_,comdat
.Lfunc_end496:
	.size	_ZN7rocprim17ROCPRIM_400000_NS6detail17trampoline_kernelINS0_14default_configENS1_36segmented_radix_sort_config_selectorIilEEZNS1_25segmented_radix_sort_implIS3_Lb1EPKiPiPKlPlN2at6native12_GLOBAL__N_18offset_tEEE10hipError_tPvRmT1_PNSt15iterator_traitsISK_E10value_typeET2_T3_PNSL_ISQ_E10value_typeET4_jRbjT5_SW_jjP12ihipStream_tbEUlT_E_NS1_11comp_targetILNS1_3genE3ELNS1_11target_archE908ELNS1_3gpuE7ELNS1_3repE0EEENS1_30default_config_static_selectorELNS0_4arch9wavefront6targetE0EEEvSK_, .Lfunc_end496-_ZN7rocprim17ROCPRIM_400000_NS6detail17trampoline_kernelINS0_14default_configENS1_36segmented_radix_sort_config_selectorIilEEZNS1_25segmented_radix_sort_implIS3_Lb1EPKiPiPKlPlN2at6native12_GLOBAL__N_18offset_tEEE10hipError_tPvRmT1_PNSt15iterator_traitsISK_E10value_typeET2_T3_PNSL_ISQ_E10value_typeET4_jRbjT5_SW_jjP12ihipStream_tbEUlT_E_NS1_11comp_targetILNS1_3genE3ELNS1_11target_archE908ELNS1_3gpuE7ELNS1_3repE0EEENS1_30default_config_static_selectorELNS0_4arch9wavefront6targetE0EEEvSK_
                                        ; -- End function
	.set _ZN7rocprim17ROCPRIM_400000_NS6detail17trampoline_kernelINS0_14default_configENS1_36segmented_radix_sort_config_selectorIilEEZNS1_25segmented_radix_sort_implIS3_Lb1EPKiPiPKlPlN2at6native12_GLOBAL__N_18offset_tEEE10hipError_tPvRmT1_PNSt15iterator_traitsISK_E10value_typeET2_T3_PNSL_ISQ_E10value_typeET4_jRbjT5_SW_jjP12ihipStream_tbEUlT_E_NS1_11comp_targetILNS1_3genE3ELNS1_11target_archE908ELNS1_3gpuE7ELNS1_3repE0EEENS1_30default_config_static_selectorELNS0_4arch9wavefront6targetE0EEEvSK_.num_vgpr, 0
	.set _ZN7rocprim17ROCPRIM_400000_NS6detail17trampoline_kernelINS0_14default_configENS1_36segmented_radix_sort_config_selectorIilEEZNS1_25segmented_radix_sort_implIS3_Lb1EPKiPiPKlPlN2at6native12_GLOBAL__N_18offset_tEEE10hipError_tPvRmT1_PNSt15iterator_traitsISK_E10value_typeET2_T3_PNSL_ISQ_E10value_typeET4_jRbjT5_SW_jjP12ihipStream_tbEUlT_E_NS1_11comp_targetILNS1_3genE3ELNS1_11target_archE908ELNS1_3gpuE7ELNS1_3repE0EEENS1_30default_config_static_selectorELNS0_4arch9wavefront6targetE0EEEvSK_.num_agpr, 0
	.set _ZN7rocprim17ROCPRIM_400000_NS6detail17trampoline_kernelINS0_14default_configENS1_36segmented_radix_sort_config_selectorIilEEZNS1_25segmented_radix_sort_implIS3_Lb1EPKiPiPKlPlN2at6native12_GLOBAL__N_18offset_tEEE10hipError_tPvRmT1_PNSt15iterator_traitsISK_E10value_typeET2_T3_PNSL_ISQ_E10value_typeET4_jRbjT5_SW_jjP12ihipStream_tbEUlT_E_NS1_11comp_targetILNS1_3genE3ELNS1_11target_archE908ELNS1_3gpuE7ELNS1_3repE0EEENS1_30default_config_static_selectorELNS0_4arch9wavefront6targetE0EEEvSK_.numbered_sgpr, 0
	.set _ZN7rocprim17ROCPRIM_400000_NS6detail17trampoline_kernelINS0_14default_configENS1_36segmented_radix_sort_config_selectorIilEEZNS1_25segmented_radix_sort_implIS3_Lb1EPKiPiPKlPlN2at6native12_GLOBAL__N_18offset_tEEE10hipError_tPvRmT1_PNSt15iterator_traitsISK_E10value_typeET2_T3_PNSL_ISQ_E10value_typeET4_jRbjT5_SW_jjP12ihipStream_tbEUlT_E_NS1_11comp_targetILNS1_3genE3ELNS1_11target_archE908ELNS1_3gpuE7ELNS1_3repE0EEENS1_30default_config_static_selectorELNS0_4arch9wavefront6targetE0EEEvSK_.num_named_barrier, 0
	.set _ZN7rocprim17ROCPRIM_400000_NS6detail17trampoline_kernelINS0_14default_configENS1_36segmented_radix_sort_config_selectorIilEEZNS1_25segmented_radix_sort_implIS3_Lb1EPKiPiPKlPlN2at6native12_GLOBAL__N_18offset_tEEE10hipError_tPvRmT1_PNSt15iterator_traitsISK_E10value_typeET2_T3_PNSL_ISQ_E10value_typeET4_jRbjT5_SW_jjP12ihipStream_tbEUlT_E_NS1_11comp_targetILNS1_3genE3ELNS1_11target_archE908ELNS1_3gpuE7ELNS1_3repE0EEENS1_30default_config_static_selectorELNS0_4arch9wavefront6targetE0EEEvSK_.private_seg_size, 0
	.set _ZN7rocprim17ROCPRIM_400000_NS6detail17trampoline_kernelINS0_14default_configENS1_36segmented_radix_sort_config_selectorIilEEZNS1_25segmented_radix_sort_implIS3_Lb1EPKiPiPKlPlN2at6native12_GLOBAL__N_18offset_tEEE10hipError_tPvRmT1_PNSt15iterator_traitsISK_E10value_typeET2_T3_PNSL_ISQ_E10value_typeET4_jRbjT5_SW_jjP12ihipStream_tbEUlT_E_NS1_11comp_targetILNS1_3genE3ELNS1_11target_archE908ELNS1_3gpuE7ELNS1_3repE0EEENS1_30default_config_static_selectorELNS0_4arch9wavefront6targetE0EEEvSK_.uses_vcc, 0
	.set _ZN7rocprim17ROCPRIM_400000_NS6detail17trampoline_kernelINS0_14default_configENS1_36segmented_radix_sort_config_selectorIilEEZNS1_25segmented_radix_sort_implIS3_Lb1EPKiPiPKlPlN2at6native12_GLOBAL__N_18offset_tEEE10hipError_tPvRmT1_PNSt15iterator_traitsISK_E10value_typeET2_T3_PNSL_ISQ_E10value_typeET4_jRbjT5_SW_jjP12ihipStream_tbEUlT_E_NS1_11comp_targetILNS1_3genE3ELNS1_11target_archE908ELNS1_3gpuE7ELNS1_3repE0EEENS1_30default_config_static_selectorELNS0_4arch9wavefront6targetE0EEEvSK_.uses_flat_scratch, 0
	.set _ZN7rocprim17ROCPRIM_400000_NS6detail17trampoline_kernelINS0_14default_configENS1_36segmented_radix_sort_config_selectorIilEEZNS1_25segmented_radix_sort_implIS3_Lb1EPKiPiPKlPlN2at6native12_GLOBAL__N_18offset_tEEE10hipError_tPvRmT1_PNSt15iterator_traitsISK_E10value_typeET2_T3_PNSL_ISQ_E10value_typeET4_jRbjT5_SW_jjP12ihipStream_tbEUlT_E_NS1_11comp_targetILNS1_3genE3ELNS1_11target_archE908ELNS1_3gpuE7ELNS1_3repE0EEENS1_30default_config_static_selectorELNS0_4arch9wavefront6targetE0EEEvSK_.has_dyn_sized_stack, 0
	.set _ZN7rocprim17ROCPRIM_400000_NS6detail17trampoline_kernelINS0_14default_configENS1_36segmented_radix_sort_config_selectorIilEEZNS1_25segmented_radix_sort_implIS3_Lb1EPKiPiPKlPlN2at6native12_GLOBAL__N_18offset_tEEE10hipError_tPvRmT1_PNSt15iterator_traitsISK_E10value_typeET2_T3_PNSL_ISQ_E10value_typeET4_jRbjT5_SW_jjP12ihipStream_tbEUlT_E_NS1_11comp_targetILNS1_3genE3ELNS1_11target_archE908ELNS1_3gpuE7ELNS1_3repE0EEENS1_30default_config_static_selectorELNS0_4arch9wavefront6targetE0EEEvSK_.has_recursion, 0
	.set _ZN7rocprim17ROCPRIM_400000_NS6detail17trampoline_kernelINS0_14default_configENS1_36segmented_radix_sort_config_selectorIilEEZNS1_25segmented_radix_sort_implIS3_Lb1EPKiPiPKlPlN2at6native12_GLOBAL__N_18offset_tEEE10hipError_tPvRmT1_PNSt15iterator_traitsISK_E10value_typeET2_T3_PNSL_ISQ_E10value_typeET4_jRbjT5_SW_jjP12ihipStream_tbEUlT_E_NS1_11comp_targetILNS1_3genE3ELNS1_11target_archE908ELNS1_3gpuE7ELNS1_3repE0EEENS1_30default_config_static_selectorELNS0_4arch9wavefront6targetE0EEEvSK_.has_indirect_call, 0
	.section	.AMDGPU.csdata,"",@progbits
; Kernel info:
; codeLenInByte = 0
; TotalNumSgprs: 0
; NumVgprs: 0
; ScratchSize: 0
; MemoryBound: 0
; FloatMode: 240
; IeeeMode: 1
; LDSByteSize: 0 bytes/workgroup (compile time only)
; SGPRBlocks: 0
; VGPRBlocks: 0
; NumSGPRsForWavesPerEU: 1
; NumVGPRsForWavesPerEU: 1
; Occupancy: 16
; WaveLimiterHint : 0
; COMPUTE_PGM_RSRC2:SCRATCH_EN: 0
; COMPUTE_PGM_RSRC2:USER_SGPR: 6
; COMPUTE_PGM_RSRC2:TRAP_HANDLER: 0
; COMPUTE_PGM_RSRC2:TGID_X_EN: 1
; COMPUTE_PGM_RSRC2:TGID_Y_EN: 0
; COMPUTE_PGM_RSRC2:TGID_Z_EN: 0
; COMPUTE_PGM_RSRC2:TIDIG_COMP_CNT: 0
	.section	.text._ZN7rocprim17ROCPRIM_400000_NS6detail17trampoline_kernelINS0_14default_configENS1_36segmented_radix_sort_config_selectorIilEEZNS1_25segmented_radix_sort_implIS3_Lb1EPKiPiPKlPlN2at6native12_GLOBAL__N_18offset_tEEE10hipError_tPvRmT1_PNSt15iterator_traitsISK_E10value_typeET2_T3_PNSL_ISQ_E10value_typeET4_jRbjT5_SW_jjP12ihipStream_tbEUlT_E_NS1_11comp_targetILNS1_3genE2ELNS1_11target_archE906ELNS1_3gpuE6ELNS1_3repE0EEENS1_30default_config_static_selectorELNS0_4arch9wavefront6targetE0EEEvSK_,"axG",@progbits,_ZN7rocprim17ROCPRIM_400000_NS6detail17trampoline_kernelINS0_14default_configENS1_36segmented_radix_sort_config_selectorIilEEZNS1_25segmented_radix_sort_implIS3_Lb1EPKiPiPKlPlN2at6native12_GLOBAL__N_18offset_tEEE10hipError_tPvRmT1_PNSt15iterator_traitsISK_E10value_typeET2_T3_PNSL_ISQ_E10value_typeET4_jRbjT5_SW_jjP12ihipStream_tbEUlT_E_NS1_11comp_targetILNS1_3genE2ELNS1_11target_archE906ELNS1_3gpuE6ELNS1_3repE0EEENS1_30default_config_static_selectorELNS0_4arch9wavefront6targetE0EEEvSK_,comdat
	.globl	_ZN7rocprim17ROCPRIM_400000_NS6detail17trampoline_kernelINS0_14default_configENS1_36segmented_radix_sort_config_selectorIilEEZNS1_25segmented_radix_sort_implIS3_Lb1EPKiPiPKlPlN2at6native12_GLOBAL__N_18offset_tEEE10hipError_tPvRmT1_PNSt15iterator_traitsISK_E10value_typeET2_T3_PNSL_ISQ_E10value_typeET4_jRbjT5_SW_jjP12ihipStream_tbEUlT_E_NS1_11comp_targetILNS1_3genE2ELNS1_11target_archE906ELNS1_3gpuE6ELNS1_3repE0EEENS1_30default_config_static_selectorELNS0_4arch9wavefront6targetE0EEEvSK_ ; -- Begin function _ZN7rocprim17ROCPRIM_400000_NS6detail17trampoline_kernelINS0_14default_configENS1_36segmented_radix_sort_config_selectorIilEEZNS1_25segmented_radix_sort_implIS3_Lb1EPKiPiPKlPlN2at6native12_GLOBAL__N_18offset_tEEE10hipError_tPvRmT1_PNSt15iterator_traitsISK_E10value_typeET2_T3_PNSL_ISQ_E10value_typeET4_jRbjT5_SW_jjP12ihipStream_tbEUlT_E_NS1_11comp_targetILNS1_3genE2ELNS1_11target_archE906ELNS1_3gpuE6ELNS1_3repE0EEENS1_30default_config_static_selectorELNS0_4arch9wavefront6targetE0EEEvSK_
	.p2align	8
	.type	_ZN7rocprim17ROCPRIM_400000_NS6detail17trampoline_kernelINS0_14default_configENS1_36segmented_radix_sort_config_selectorIilEEZNS1_25segmented_radix_sort_implIS3_Lb1EPKiPiPKlPlN2at6native12_GLOBAL__N_18offset_tEEE10hipError_tPvRmT1_PNSt15iterator_traitsISK_E10value_typeET2_T3_PNSL_ISQ_E10value_typeET4_jRbjT5_SW_jjP12ihipStream_tbEUlT_E_NS1_11comp_targetILNS1_3genE2ELNS1_11target_archE906ELNS1_3gpuE6ELNS1_3repE0EEENS1_30default_config_static_selectorELNS0_4arch9wavefront6targetE0EEEvSK_,@function
_ZN7rocprim17ROCPRIM_400000_NS6detail17trampoline_kernelINS0_14default_configENS1_36segmented_radix_sort_config_selectorIilEEZNS1_25segmented_radix_sort_implIS3_Lb1EPKiPiPKlPlN2at6native12_GLOBAL__N_18offset_tEEE10hipError_tPvRmT1_PNSt15iterator_traitsISK_E10value_typeET2_T3_PNSL_ISQ_E10value_typeET4_jRbjT5_SW_jjP12ihipStream_tbEUlT_E_NS1_11comp_targetILNS1_3genE2ELNS1_11target_archE906ELNS1_3gpuE6ELNS1_3repE0EEENS1_30default_config_static_selectorELNS0_4arch9wavefront6targetE0EEEvSK_: ; @_ZN7rocprim17ROCPRIM_400000_NS6detail17trampoline_kernelINS0_14default_configENS1_36segmented_radix_sort_config_selectorIilEEZNS1_25segmented_radix_sort_implIS3_Lb1EPKiPiPKlPlN2at6native12_GLOBAL__N_18offset_tEEE10hipError_tPvRmT1_PNSt15iterator_traitsISK_E10value_typeET2_T3_PNSL_ISQ_E10value_typeET4_jRbjT5_SW_jjP12ihipStream_tbEUlT_E_NS1_11comp_targetILNS1_3genE2ELNS1_11target_archE906ELNS1_3gpuE6ELNS1_3repE0EEENS1_30default_config_static_selectorELNS0_4arch9wavefront6targetE0EEEvSK_
; %bb.0:
	.section	.rodata,"a",@progbits
	.p2align	6, 0x0
	.amdhsa_kernel _ZN7rocprim17ROCPRIM_400000_NS6detail17trampoline_kernelINS0_14default_configENS1_36segmented_radix_sort_config_selectorIilEEZNS1_25segmented_radix_sort_implIS3_Lb1EPKiPiPKlPlN2at6native12_GLOBAL__N_18offset_tEEE10hipError_tPvRmT1_PNSt15iterator_traitsISK_E10value_typeET2_T3_PNSL_ISQ_E10value_typeET4_jRbjT5_SW_jjP12ihipStream_tbEUlT_E_NS1_11comp_targetILNS1_3genE2ELNS1_11target_archE906ELNS1_3gpuE6ELNS1_3repE0EEENS1_30default_config_static_selectorELNS0_4arch9wavefront6targetE0EEEvSK_
		.amdhsa_group_segment_fixed_size 0
		.amdhsa_private_segment_fixed_size 0
		.amdhsa_kernarg_size 96
		.amdhsa_user_sgpr_count 6
		.amdhsa_user_sgpr_private_segment_buffer 1
		.amdhsa_user_sgpr_dispatch_ptr 0
		.amdhsa_user_sgpr_queue_ptr 0
		.amdhsa_user_sgpr_kernarg_segment_ptr 1
		.amdhsa_user_sgpr_dispatch_id 0
		.amdhsa_user_sgpr_flat_scratch_init 0
		.amdhsa_user_sgpr_private_segment_size 0
		.amdhsa_wavefront_size32 1
		.amdhsa_uses_dynamic_stack 0
		.amdhsa_system_sgpr_private_segment_wavefront_offset 0
		.amdhsa_system_sgpr_workgroup_id_x 1
		.amdhsa_system_sgpr_workgroup_id_y 0
		.amdhsa_system_sgpr_workgroup_id_z 0
		.amdhsa_system_sgpr_workgroup_info 0
		.amdhsa_system_vgpr_workitem_id 0
		.amdhsa_next_free_vgpr 1
		.amdhsa_next_free_sgpr 1
		.amdhsa_reserve_vcc 0
		.amdhsa_reserve_flat_scratch 0
		.amdhsa_float_round_mode_32 0
		.amdhsa_float_round_mode_16_64 0
		.amdhsa_float_denorm_mode_32 3
		.amdhsa_float_denorm_mode_16_64 3
		.amdhsa_dx10_clamp 1
		.amdhsa_ieee_mode 1
		.amdhsa_fp16_overflow 0
		.amdhsa_workgroup_processor_mode 1
		.amdhsa_memory_ordered 1
		.amdhsa_forward_progress 1
		.amdhsa_shared_vgpr_count 0
		.amdhsa_exception_fp_ieee_invalid_op 0
		.amdhsa_exception_fp_denorm_src 0
		.amdhsa_exception_fp_ieee_div_zero 0
		.amdhsa_exception_fp_ieee_overflow 0
		.amdhsa_exception_fp_ieee_underflow 0
		.amdhsa_exception_fp_ieee_inexact 0
		.amdhsa_exception_int_div_zero 0
	.end_amdhsa_kernel
	.section	.text._ZN7rocprim17ROCPRIM_400000_NS6detail17trampoline_kernelINS0_14default_configENS1_36segmented_radix_sort_config_selectorIilEEZNS1_25segmented_radix_sort_implIS3_Lb1EPKiPiPKlPlN2at6native12_GLOBAL__N_18offset_tEEE10hipError_tPvRmT1_PNSt15iterator_traitsISK_E10value_typeET2_T3_PNSL_ISQ_E10value_typeET4_jRbjT5_SW_jjP12ihipStream_tbEUlT_E_NS1_11comp_targetILNS1_3genE2ELNS1_11target_archE906ELNS1_3gpuE6ELNS1_3repE0EEENS1_30default_config_static_selectorELNS0_4arch9wavefront6targetE0EEEvSK_,"axG",@progbits,_ZN7rocprim17ROCPRIM_400000_NS6detail17trampoline_kernelINS0_14default_configENS1_36segmented_radix_sort_config_selectorIilEEZNS1_25segmented_radix_sort_implIS3_Lb1EPKiPiPKlPlN2at6native12_GLOBAL__N_18offset_tEEE10hipError_tPvRmT1_PNSt15iterator_traitsISK_E10value_typeET2_T3_PNSL_ISQ_E10value_typeET4_jRbjT5_SW_jjP12ihipStream_tbEUlT_E_NS1_11comp_targetILNS1_3genE2ELNS1_11target_archE906ELNS1_3gpuE6ELNS1_3repE0EEENS1_30default_config_static_selectorELNS0_4arch9wavefront6targetE0EEEvSK_,comdat
.Lfunc_end497:
	.size	_ZN7rocprim17ROCPRIM_400000_NS6detail17trampoline_kernelINS0_14default_configENS1_36segmented_radix_sort_config_selectorIilEEZNS1_25segmented_radix_sort_implIS3_Lb1EPKiPiPKlPlN2at6native12_GLOBAL__N_18offset_tEEE10hipError_tPvRmT1_PNSt15iterator_traitsISK_E10value_typeET2_T3_PNSL_ISQ_E10value_typeET4_jRbjT5_SW_jjP12ihipStream_tbEUlT_E_NS1_11comp_targetILNS1_3genE2ELNS1_11target_archE906ELNS1_3gpuE6ELNS1_3repE0EEENS1_30default_config_static_selectorELNS0_4arch9wavefront6targetE0EEEvSK_, .Lfunc_end497-_ZN7rocprim17ROCPRIM_400000_NS6detail17trampoline_kernelINS0_14default_configENS1_36segmented_radix_sort_config_selectorIilEEZNS1_25segmented_radix_sort_implIS3_Lb1EPKiPiPKlPlN2at6native12_GLOBAL__N_18offset_tEEE10hipError_tPvRmT1_PNSt15iterator_traitsISK_E10value_typeET2_T3_PNSL_ISQ_E10value_typeET4_jRbjT5_SW_jjP12ihipStream_tbEUlT_E_NS1_11comp_targetILNS1_3genE2ELNS1_11target_archE906ELNS1_3gpuE6ELNS1_3repE0EEENS1_30default_config_static_selectorELNS0_4arch9wavefront6targetE0EEEvSK_
                                        ; -- End function
	.set _ZN7rocprim17ROCPRIM_400000_NS6detail17trampoline_kernelINS0_14default_configENS1_36segmented_radix_sort_config_selectorIilEEZNS1_25segmented_radix_sort_implIS3_Lb1EPKiPiPKlPlN2at6native12_GLOBAL__N_18offset_tEEE10hipError_tPvRmT1_PNSt15iterator_traitsISK_E10value_typeET2_T3_PNSL_ISQ_E10value_typeET4_jRbjT5_SW_jjP12ihipStream_tbEUlT_E_NS1_11comp_targetILNS1_3genE2ELNS1_11target_archE906ELNS1_3gpuE6ELNS1_3repE0EEENS1_30default_config_static_selectorELNS0_4arch9wavefront6targetE0EEEvSK_.num_vgpr, 0
	.set _ZN7rocprim17ROCPRIM_400000_NS6detail17trampoline_kernelINS0_14default_configENS1_36segmented_radix_sort_config_selectorIilEEZNS1_25segmented_radix_sort_implIS3_Lb1EPKiPiPKlPlN2at6native12_GLOBAL__N_18offset_tEEE10hipError_tPvRmT1_PNSt15iterator_traitsISK_E10value_typeET2_T3_PNSL_ISQ_E10value_typeET4_jRbjT5_SW_jjP12ihipStream_tbEUlT_E_NS1_11comp_targetILNS1_3genE2ELNS1_11target_archE906ELNS1_3gpuE6ELNS1_3repE0EEENS1_30default_config_static_selectorELNS0_4arch9wavefront6targetE0EEEvSK_.num_agpr, 0
	.set _ZN7rocprim17ROCPRIM_400000_NS6detail17trampoline_kernelINS0_14default_configENS1_36segmented_radix_sort_config_selectorIilEEZNS1_25segmented_radix_sort_implIS3_Lb1EPKiPiPKlPlN2at6native12_GLOBAL__N_18offset_tEEE10hipError_tPvRmT1_PNSt15iterator_traitsISK_E10value_typeET2_T3_PNSL_ISQ_E10value_typeET4_jRbjT5_SW_jjP12ihipStream_tbEUlT_E_NS1_11comp_targetILNS1_3genE2ELNS1_11target_archE906ELNS1_3gpuE6ELNS1_3repE0EEENS1_30default_config_static_selectorELNS0_4arch9wavefront6targetE0EEEvSK_.numbered_sgpr, 0
	.set _ZN7rocprim17ROCPRIM_400000_NS6detail17trampoline_kernelINS0_14default_configENS1_36segmented_radix_sort_config_selectorIilEEZNS1_25segmented_radix_sort_implIS3_Lb1EPKiPiPKlPlN2at6native12_GLOBAL__N_18offset_tEEE10hipError_tPvRmT1_PNSt15iterator_traitsISK_E10value_typeET2_T3_PNSL_ISQ_E10value_typeET4_jRbjT5_SW_jjP12ihipStream_tbEUlT_E_NS1_11comp_targetILNS1_3genE2ELNS1_11target_archE906ELNS1_3gpuE6ELNS1_3repE0EEENS1_30default_config_static_selectorELNS0_4arch9wavefront6targetE0EEEvSK_.num_named_barrier, 0
	.set _ZN7rocprim17ROCPRIM_400000_NS6detail17trampoline_kernelINS0_14default_configENS1_36segmented_radix_sort_config_selectorIilEEZNS1_25segmented_radix_sort_implIS3_Lb1EPKiPiPKlPlN2at6native12_GLOBAL__N_18offset_tEEE10hipError_tPvRmT1_PNSt15iterator_traitsISK_E10value_typeET2_T3_PNSL_ISQ_E10value_typeET4_jRbjT5_SW_jjP12ihipStream_tbEUlT_E_NS1_11comp_targetILNS1_3genE2ELNS1_11target_archE906ELNS1_3gpuE6ELNS1_3repE0EEENS1_30default_config_static_selectorELNS0_4arch9wavefront6targetE0EEEvSK_.private_seg_size, 0
	.set _ZN7rocprim17ROCPRIM_400000_NS6detail17trampoline_kernelINS0_14default_configENS1_36segmented_radix_sort_config_selectorIilEEZNS1_25segmented_radix_sort_implIS3_Lb1EPKiPiPKlPlN2at6native12_GLOBAL__N_18offset_tEEE10hipError_tPvRmT1_PNSt15iterator_traitsISK_E10value_typeET2_T3_PNSL_ISQ_E10value_typeET4_jRbjT5_SW_jjP12ihipStream_tbEUlT_E_NS1_11comp_targetILNS1_3genE2ELNS1_11target_archE906ELNS1_3gpuE6ELNS1_3repE0EEENS1_30default_config_static_selectorELNS0_4arch9wavefront6targetE0EEEvSK_.uses_vcc, 0
	.set _ZN7rocprim17ROCPRIM_400000_NS6detail17trampoline_kernelINS0_14default_configENS1_36segmented_radix_sort_config_selectorIilEEZNS1_25segmented_radix_sort_implIS3_Lb1EPKiPiPKlPlN2at6native12_GLOBAL__N_18offset_tEEE10hipError_tPvRmT1_PNSt15iterator_traitsISK_E10value_typeET2_T3_PNSL_ISQ_E10value_typeET4_jRbjT5_SW_jjP12ihipStream_tbEUlT_E_NS1_11comp_targetILNS1_3genE2ELNS1_11target_archE906ELNS1_3gpuE6ELNS1_3repE0EEENS1_30default_config_static_selectorELNS0_4arch9wavefront6targetE0EEEvSK_.uses_flat_scratch, 0
	.set _ZN7rocprim17ROCPRIM_400000_NS6detail17trampoline_kernelINS0_14default_configENS1_36segmented_radix_sort_config_selectorIilEEZNS1_25segmented_radix_sort_implIS3_Lb1EPKiPiPKlPlN2at6native12_GLOBAL__N_18offset_tEEE10hipError_tPvRmT1_PNSt15iterator_traitsISK_E10value_typeET2_T3_PNSL_ISQ_E10value_typeET4_jRbjT5_SW_jjP12ihipStream_tbEUlT_E_NS1_11comp_targetILNS1_3genE2ELNS1_11target_archE906ELNS1_3gpuE6ELNS1_3repE0EEENS1_30default_config_static_selectorELNS0_4arch9wavefront6targetE0EEEvSK_.has_dyn_sized_stack, 0
	.set _ZN7rocprim17ROCPRIM_400000_NS6detail17trampoline_kernelINS0_14default_configENS1_36segmented_radix_sort_config_selectorIilEEZNS1_25segmented_radix_sort_implIS3_Lb1EPKiPiPKlPlN2at6native12_GLOBAL__N_18offset_tEEE10hipError_tPvRmT1_PNSt15iterator_traitsISK_E10value_typeET2_T3_PNSL_ISQ_E10value_typeET4_jRbjT5_SW_jjP12ihipStream_tbEUlT_E_NS1_11comp_targetILNS1_3genE2ELNS1_11target_archE906ELNS1_3gpuE6ELNS1_3repE0EEENS1_30default_config_static_selectorELNS0_4arch9wavefront6targetE0EEEvSK_.has_recursion, 0
	.set _ZN7rocprim17ROCPRIM_400000_NS6detail17trampoline_kernelINS0_14default_configENS1_36segmented_radix_sort_config_selectorIilEEZNS1_25segmented_radix_sort_implIS3_Lb1EPKiPiPKlPlN2at6native12_GLOBAL__N_18offset_tEEE10hipError_tPvRmT1_PNSt15iterator_traitsISK_E10value_typeET2_T3_PNSL_ISQ_E10value_typeET4_jRbjT5_SW_jjP12ihipStream_tbEUlT_E_NS1_11comp_targetILNS1_3genE2ELNS1_11target_archE906ELNS1_3gpuE6ELNS1_3repE0EEENS1_30default_config_static_selectorELNS0_4arch9wavefront6targetE0EEEvSK_.has_indirect_call, 0
	.section	.AMDGPU.csdata,"",@progbits
; Kernel info:
; codeLenInByte = 0
; TotalNumSgprs: 0
; NumVgprs: 0
; ScratchSize: 0
; MemoryBound: 0
; FloatMode: 240
; IeeeMode: 1
; LDSByteSize: 0 bytes/workgroup (compile time only)
; SGPRBlocks: 0
; VGPRBlocks: 0
; NumSGPRsForWavesPerEU: 1
; NumVGPRsForWavesPerEU: 1
; Occupancy: 16
; WaveLimiterHint : 0
; COMPUTE_PGM_RSRC2:SCRATCH_EN: 0
; COMPUTE_PGM_RSRC2:USER_SGPR: 6
; COMPUTE_PGM_RSRC2:TRAP_HANDLER: 0
; COMPUTE_PGM_RSRC2:TGID_X_EN: 1
; COMPUTE_PGM_RSRC2:TGID_Y_EN: 0
; COMPUTE_PGM_RSRC2:TGID_Z_EN: 0
; COMPUTE_PGM_RSRC2:TIDIG_COMP_CNT: 0
	.section	.text._ZN7rocprim17ROCPRIM_400000_NS6detail17trampoline_kernelINS0_14default_configENS1_36segmented_radix_sort_config_selectorIilEEZNS1_25segmented_radix_sort_implIS3_Lb1EPKiPiPKlPlN2at6native12_GLOBAL__N_18offset_tEEE10hipError_tPvRmT1_PNSt15iterator_traitsISK_E10value_typeET2_T3_PNSL_ISQ_E10value_typeET4_jRbjT5_SW_jjP12ihipStream_tbEUlT_E_NS1_11comp_targetILNS1_3genE10ELNS1_11target_archE1201ELNS1_3gpuE5ELNS1_3repE0EEENS1_30default_config_static_selectorELNS0_4arch9wavefront6targetE0EEEvSK_,"axG",@progbits,_ZN7rocprim17ROCPRIM_400000_NS6detail17trampoline_kernelINS0_14default_configENS1_36segmented_radix_sort_config_selectorIilEEZNS1_25segmented_radix_sort_implIS3_Lb1EPKiPiPKlPlN2at6native12_GLOBAL__N_18offset_tEEE10hipError_tPvRmT1_PNSt15iterator_traitsISK_E10value_typeET2_T3_PNSL_ISQ_E10value_typeET4_jRbjT5_SW_jjP12ihipStream_tbEUlT_E_NS1_11comp_targetILNS1_3genE10ELNS1_11target_archE1201ELNS1_3gpuE5ELNS1_3repE0EEENS1_30default_config_static_selectorELNS0_4arch9wavefront6targetE0EEEvSK_,comdat
	.globl	_ZN7rocprim17ROCPRIM_400000_NS6detail17trampoline_kernelINS0_14default_configENS1_36segmented_radix_sort_config_selectorIilEEZNS1_25segmented_radix_sort_implIS3_Lb1EPKiPiPKlPlN2at6native12_GLOBAL__N_18offset_tEEE10hipError_tPvRmT1_PNSt15iterator_traitsISK_E10value_typeET2_T3_PNSL_ISQ_E10value_typeET4_jRbjT5_SW_jjP12ihipStream_tbEUlT_E_NS1_11comp_targetILNS1_3genE10ELNS1_11target_archE1201ELNS1_3gpuE5ELNS1_3repE0EEENS1_30default_config_static_selectorELNS0_4arch9wavefront6targetE0EEEvSK_ ; -- Begin function _ZN7rocprim17ROCPRIM_400000_NS6detail17trampoline_kernelINS0_14default_configENS1_36segmented_radix_sort_config_selectorIilEEZNS1_25segmented_radix_sort_implIS3_Lb1EPKiPiPKlPlN2at6native12_GLOBAL__N_18offset_tEEE10hipError_tPvRmT1_PNSt15iterator_traitsISK_E10value_typeET2_T3_PNSL_ISQ_E10value_typeET4_jRbjT5_SW_jjP12ihipStream_tbEUlT_E_NS1_11comp_targetILNS1_3genE10ELNS1_11target_archE1201ELNS1_3gpuE5ELNS1_3repE0EEENS1_30default_config_static_selectorELNS0_4arch9wavefront6targetE0EEEvSK_
	.p2align	8
	.type	_ZN7rocprim17ROCPRIM_400000_NS6detail17trampoline_kernelINS0_14default_configENS1_36segmented_radix_sort_config_selectorIilEEZNS1_25segmented_radix_sort_implIS3_Lb1EPKiPiPKlPlN2at6native12_GLOBAL__N_18offset_tEEE10hipError_tPvRmT1_PNSt15iterator_traitsISK_E10value_typeET2_T3_PNSL_ISQ_E10value_typeET4_jRbjT5_SW_jjP12ihipStream_tbEUlT_E_NS1_11comp_targetILNS1_3genE10ELNS1_11target_archE1201ELNS1_3gpuE5ELNS1_3repE0EEENS1_30default_config_static_selectorELNS0_4arch9wavefront6targetE0EEEvSK_,@function
_ZN7rocprim17ROCPRIM_400000_NS6detail17trampoline_kernelINS0_14default_configENS1_36segmented_radix_sort_config_selectorIilEEZNS1_25segmented_radix_sort_implIS3_Lb1EPKiPiPKlPlN2at6native12_GLOBAL__N_18offset_tEEE10hipError_tPvRmT1_PNSt15iterator_traitsISK_E10value_typeET2_T3_PNSL_ISQ_E10value_typeET4_jRbjT5_SW_jjP12ihipStream_tbEUlT_E_NS1_11comp_targetILNS1_3genE10ELNS1_11target_archE1201ELNS1_3gpuE5ELNS1_3repE0EEENS1_30default_config_static_selectorELNS0_4arch9wavefront6targetE0EEEvSK_: ; @_ZN7rocprim17ROCPRIM_400000_NS6detail17trampoline_kernelINS0_14default_configENS1_36segmented_radix_sort_config_selectorIilEEZNS1_25segmented_radix_sort_implIS3_Lb1EPKiPiPKlPlN2at6native12_GLOBAL__N_18offset_tEEE10hipError_tPvRmT1_PNSt15iterator_traitsISK_E10value_typeET2_T3_PNSL_ISQ_E10value_typeET4_jRbjT5_SW_jjP12ihipStream_tbEUlT_E_NS1_11comp_targetILNS1_3genE10ELNS1_11target_archE1201ELNS1_3gpuE5ELNS1_3repE0EEENS1_30default_config_static_selectorELNS0_4arch9wavefront6targetE0EEEvSK_
; %bb.0:
	.section	.rodata,"a",@progbits
	.p2align	6, 0x0
	.amdhsa_kernel _ZN7rocprim17ROCPRIM_400000_NS6detail17trampoline_kernelINS0_14default_configENS1_36segmented_radix_sort_config_selectorIilEEZNS1_25segmented_radix_sort_implIS3_Lb1EPKiPiPKlPlN2at6native12_GLOBAL__N_18offset_tEEE10hipError_tPvRmT1_PNSt15iterator_traitsISK_E10value_typeET2_T3_PNSL_ISQ_E10value_typeET4_jRbjT5_SW_jjP12ihipStream_tbEUlT_E_NS1_11comp_targetILNS1_3genE10ELNS1_11target_archE1201ELNS1_3gpuE5ELNS1_3repE0EEENS1_30default_config_static_selectorELNS0_4arch9wavefront6targetE0EEEvSK_
		.amdhsa_group_segment_fixed_size 0
		.amdhsa_private_segment_fixed_size 0
		.amdhsa_kernarg_size 96
		.amdhsa_user_sgpr_count 6
		.amdhsa_user_sgpr_private_segment_buffer 1
		.amdhsa_user_sgpr_dispatch_ptr 0
		.amdhsa_user_sgpr_queue_ptr 0
		.amdhsa_user_sgpr_kernarg_segment_ptr 1
		.amdhsa_user_sgpr_dispatch_id 0
		.amdhsa_user_sgpr_flat_scratch_init 0
		.amdhsa_user_sgpr_private_segment_size 0
		.amdhsa_wavefront_size32 1
		.amdhsa_uses_dynamic_stack 0
		.amdhsa_system_sgpr_private_segment_wavefront_offset 0
		.amdhsa_system_sgpr_workgroup_id_x 1
		.amdhsa_system_sgpr_workgroup_id_y 0
		.amdhsa_system_sgpr_workgroup_id_z 0
		.amdhsa_system_sgpr_workgroup_info 0
		.amdhsa_system_vgpr_workitem_id 0
		.amdhsa_next_free_vgpr 1
		.amdhsa_next_free_sgpr 1
		.amdhsa_reserve_vcc 0
		.amdhsa_reserve_flat_scratch 0
		.amdhsa_float_round_mode_32 0
		.amdhsa_float_round_mode_16_64 0
		.amdhsa_float_denorm_mode_32 3
		.amdhsa_float_denorm_mode_16_64 3
		.amdhsa_dx10_clamp 1
		.amdhsa_ieee_mode 1
		.amdhsa_fp16_overflow 0
		.amdhsa_workgroup_processor_mode 1
		.amdhsa_memory_ordered 1
		.amdhsa_forward_progress 1
		.amdhsa_shared_vgpr_count 0
		.amdhsa_exception_fp_ieee_invalid_op 0
		.amdhsa_exception_fp_denorm_src 0
		.amdhsa_exception_fp_ieee_div_zero 0
		.amdhsa_exception_fp_ieee_overflow 0
		.amdhsa_exception_fp_ieee_underflow 0
		.amdhsa_exception_fp_ieee_inexact 0
		.amdhsa_exception_int_div_zero 0
	.end_amdhsa_kernel
	.section	.text._ZN7rocprim17ROCPRIM_400000_NS6detail17trampoline_kernelINS0_14default_configENS1_36segmented_radix_sort_config_selectorIilEEZNS1_25segmented_radix_sort_implIS3_Lb1EPKiPiPKlPlN2at6native12_GLOBAL__N_18offset_tEEE10hipError_tPvRmT1_PNSt15iterator_traitsISK_E10value_typeET2_T3_PNSL_ISQ_E10value_typeET4_jRbjT5_SW_jjP12ihipStream_tbEUlT_E_NS1_11comp_targetILNS1_3genE10ELNS1_11target_archE1201ELNS1_3gpuE5ELNS1_3repE0EEENS1_30default_config_static_selectorELNS0_4arch9wavefront6targetE0EEEvSK_,"axG",@progbits,_ZN7rocprim17ROCPRIM_400000_NS6detail17trampoline_kernelINS0_14default_configENS1_36segmented_radix_sort_config_selectorIilEEZNS1_25segmented_radix_sort_implIS3_Lb1EPKiPiPKlPlN2at6native12_GLOBAL__N_18offset_tEEE10hipError_tPvRmT1_PNSt15iterator_traitsISK_E10value_typeET2_T3_PNSL_ISQ_E10value_typeET4_jRbjT5_SW_jjP12ihipStream_tbEUlT_E_NS1_11comp_targetILNS1_3genE10ELNS1_11target_archE1201ELNS1_3gpuE5ELNS1_3repE0EEENS1_30default_config_static_selectorELNS0_4arch9wavefront6targetE0EEEvSK_,comdat
.Lfunc_end498:
	.size	_ZN7rocprim17ROCPRIM_400000_NS6detail17trampoline_kernelINS0_14default_configENS1_36segmented_radix_sort_config_selectorIilEEZNS1_25segmented_radix_sort_implIS3_Lb1EPKiPiPKlPlN2at6native12_GLOBAL__N_18offset_tEEE10hipError_tPvRmT1_PNSt15iterator_traitsISK_E10value_typeET2_T3_PNSL_ISQ_E10value_typeET4_jRbjT5_SW_jjP12ihipStream_tbEUlT_E_NS1_11comp_targetILNS1_3genE10ELNS1_11target_archE1201ELNS1_3gpuE5ELNS1_3repE0EEENS1_30default_config_static_selectorELNS0_4arch9wavefront6targetE0EEEvSK_, .Lfunc_end498-_ZN7rocprim17ROCPRIM_400000_NS6detail17trampoline_kernelINS0_14default_configENS1_36segmented_radix_sort_config_selectorIilEEZNS1_25segmented_radix_sort_implIS3_Lb1EPKiPiPKlPlN2at6native12_GLOBAL__N_18offset_tEEE10hipError_tPvRmT1_PNSt15iterator_traitsISK_E10value_typeET2_T3_PNSL_ISQ_E10value_typeET4_jRbjT5_SW_jjP12ihipStream_tbEUlT_E_NS1_11comp_targetILNS1_3genE10ELNS1_11target_archE1201ELNS1_3gpuE5ELNS1_3repE0EEENS1_30default_config_static_selectorELNS0_4arch9wavefront6targetE0EEEvSK_
                                        ; -- End function
	.set _ZN7rocprim17ROCPRIM_400000_NS6detail17trampoline_kernelINS0_14default_configENS1_36segmented_radix_sort_config_selectorIilEEZNS1_25segmented_radix_sort_implIS3_Lb1EPKiPiPKlPlN2at6native12_GLOBAL__N_18offset_tEEE10hipError_tPvRmT1_PNSt15iterator_traitsISK_E10value_typeET2_T3_PNSL_ISQ_E10value_typeET4_jRbjT5_SW_jjP12ihipStream_tbEUlT_E_NS1_11comp_targetILNS1_3genE10ELNS1_11target_archE1201ELNS1_3gpuE5ELNS1_3repE0EEENS1_30default_config_static_selectorELNS0_4arch9wavefront6targetE0EEEvSK_.num_vgpr, 0
	.set _ZN7rocprim17ROCPRIM_400000_NS6detail17trampoline_kernelINS0_14default_configENS1_36segmented_radix_sort_config_selectorIilEEZNS1_25segmented_radix_sort_implIS3_Lb1EPKiPiPKlPlN2at6native12_GLOBAL__N_18offset_tEEE10hipError_tPvRmT1_PNSt15iterator_traitsISK_E10value_typeET2_T3_PNSL_ISQ_E10value_typeET4_jRbjT5_SW_jjP12ihipStream_tbEUlT_E_NS1_11comp_targetILNS1_3genE10ELNS1_11target_archE1201ELNS1_3gpuE5ELNS1_3repE0EEENS1_30default_config_static_selectorELNS0_4arch9wavefront6targetE0EEEvSK_.num_agpr, 0
	.set _ZN7rocprim17ROCPRIM_400000_NS6detail17trampoline_kernelINS0_14default_configENS1_36segmented_radix_sort_config_selectorIilEEZNS1_25segmented_radix_sort_implIS3_Lb1EPKiPiPKlPlN2at6native12_GLOBAL__N_18offset_tEEE10hipError_tPvRmT1_PNSt15iterator_traitsISK_E10value_typeET2_T3_PNSL_ISQ_E10value_typeET4_jRbjT5_SW_jjP12ihipStream_tbEUlT_E_NS1_11comp_targetILNS1_3genE10ELNS1_11target_archE1201ELNS1_3gpuE5ELNS1_3repE0EEENS1_30default_config_static_selectorELNS0_4arch9wavefront6targetE0EEEvSK_.numbered_sgpr, 0
	.set _ZN7rocprim17ROCPRIM_400000_NS6detail17trampoline_kernelINS0_14default_configENS1_36segmented_radix_sort_config_selectorIilEEZNS1_25segmented_radix_sort_implIS3_Lb1EPKiPiPKlPlN2at6native12_GLOBAL__N_18offset_tEEE10hipError_tPvRmT1_PNSt15iterator_traitsISK_E10value_typeET2_T3_PNSL_ISQ_E10value_typeET4_jRbjT5_SW_jjP12ihipStream_tbEUlT_E_NS1_11comp_targetILNS1_3genE10ELNS1_11target_archE1201ELNS1_3gpuE5ELNS1_3repE0EEENS1_30default_config_static_selectorELNS0_4arch9wavefront6targetE0EEEvSK_.num_named_barrier, 0
	.set _ZN7rocprim17ROCPRIM_400000_NS6detail17trampoline_kernelINS0_14default_configENS1_36segmented_radix_sort_config_selectorIilEEZNS1_25segmented_radix_sort_implIS3_Lb1EPKiPiPKlPlN2at6native12_GLOBAL__N_18offset_tEEE10hipError_tPvRmT1_PNSt15iterator_traitsISK_E10value_typeET2_T3_PNSL_ISQ_E10value_typeET4_jRbjT5_SW_jjP12ihipStream_tbEUlT_E_NS1_11comp_targetILNS1_3genE10ELNS1_11target_archE1201ELNS1_3gpuE5ELNS1_3repE0EEENS1_30default_config_static_selectorELNS0_4arch9wavefront6targetE0EEEvSK_.private_seg_size, 0
	.set _ZN7rocprim17ROCPRIM_400000_NS6detail17trampoline_kernelINS0_14default_configENS1_36segmented_radix_sort_config_selectorIilEEZNS1_25segmented_radix_sort_implIS3_Lb1EPKiPiPKlPlN2at6native12_GLOBAL__N_18offset_tEEE10hipError_tPvRmT1_PNSt15iterator_traitsISK_E10value_typeET2_T3_PNSL_ISQ_E10value_typeET4_jRbjT5_SW_jjP12ihipStream_tbEUlT_E_NS1_11comp_targetILNS1_3genE10ELNS1_11target_archE1201ELNS1_3gpuE5ELNS1_3repE0EEENS1_30default_config_static_selectorELNS0_4arch9wavefront6targetE0EEEvSK_.uses_vcc, 0
	.set _ZN7rocprim17ROCPRIM_400000_NS6detail17trampoline_kernelINS0_14default_configENS1_36segmented_radix_sort_config_selectorIilEEZNS1_25segmented_radix_sort_implIS3_Lb1EPKiPiPKlPlN2at6native12_GLOBAL__N_18offset_tEEE10hipError_tPvRmT1_PNSt15iterator_traitsISK_E10value_typeET2_T3_PNSL_ISQ_E10value_typeET4_jRbjT5_SW_jjP12ihipStream_tbEUlT_E_NS1_11comp_targetILNS1_3genE10ELNS1_11target_archE1201ELNS1_3gpuE5ELNS1_3repE0EEENS1_30default_config_static_selectorELNS0_4arch9wavefront6targetE0EEEvSK_.uses_flat_scratch, 0
	.set _ZN7rocprim17ROCPRIM_400000_NS6detail17trampoline_kernelINS0_14default_configENS1_36segmented_radix_sort_config_selectorIilEEZNS1_25segmented_radix_sort_implIS3_Lb1EPKiPiPKlPlN2at6native12_GLOBAL__N_18offset_tEEE10hipError_tPvRmT1_PNSt15iterator_traitsISK_E10value_typeET2_T3_PNSL_ISQ_E10value_typeET4_jRbjT5_SW_jjP12ihipStream_tbEUlT_E_NS1_11comp_targetILNS1_3genE10ELNS1_11target_archE1201ELNS1_3gpuE5ELNS1_3repE0EEENS1_30default_config_static_selectorELNS0_4arch9wavefront6targetE0EEEvSK_.has_dyn_sized_stack, 0
	.set _ZN7rocprim17ROCPRIM_400000_NS6detail17trampoline_kernelINS0_14default_configENS1_36segmented_radix_sort_config_selectorIilEEZNS1_25segmented_radix_sort_implIS3_Lb1EPKiPiPKlPlN2at6native12_GLOBAL__N_18offset_tEEE10hipError_tPvRmT1_PNSt15iterator_traitsISK_E10value_typeET2_T3_PNSL_ISQ_E10value_typeET4_jRbjT5_SW_jjP12ihipStream_tbEUlT_E_NS1_11comp_targetILNS1_3genE10ELNS1_11target_archE1201ELNS1_3gpuE5ELNS1_3repE0EEENS1_30default_config_static_selectorELNS0_4arch9wavefront6targetE0EEEvSK_.has_recursion, 0
	.set _ZN7rocprim17ROCPRIM_400000_NS6detail17trampoline_kernelINS0_14default_configENS1_36segmented_radix_sort_config_selectorIilEEZNS1_25segmented_radix_sort_implIS3_Lb1EPKiPiPKlPlN2at6native12_GLOBAL__N_18offset_tEEE10hipError_tPvRmT1_PNSt15iterator_traitsISK_E10value_typeET2_T3_PNSL_ISQ_E10value_typeET4_jRbjT5_SW_jjP12ihipStream_tbEUlT_E_NS1_11comp_targetILNS1_3genE10ELNS1_11target_archE1201ELNS1_3gpuE5ELNS1_3repE0EEENS1_30default_config_static_selectorELNS0_4arch9wavefront6targetE0EEEvSK_.has_indirect_call, 0
	.section	.AMDGPU.csdata,"",@progbits
; Kernel info:
; codeLenInByte = 0
; TotalNumSgprs: 0
; NumVgprs: 0
; ScratchSize: 0
; MemoryBound: 0
; FloatMode: 240
; IeeeMode: 1
; LDSByteSize: 0 bytes/workgroup (compile time only)
; SGPRBlocks: 0
; VGPRBlocks: 0
; NumSGPRsForWavesPerEU: 1
; NumVGPRsForWavesPerEU: 1
; Occupancy: 16
; WaveLimiterHint : 0
; COMPUTE_PGM_RSRC2:SCRATCH_EN: 0
; COMPUTE_PGM_RSRC2:USER_SGPR: 6
; COMPUTE_PGM_RSRC2:TRAP_HANDLER: 0
; COMPUTE_PGM_RSRC2:TGID_X_EN: 1
; COMPUTE_PGM_RSRC2:TGID_Y_EN: 0
; COMPUTE_PGM_RSRC2:TGID_Z_EN: 0
; COMPUTE_PGM_RSRC2:TIDIG_COMP_CNT: 0
	.section	.text._ZN7rocprim17ROCPRIM_400000_NS6detail17trampoline_kernelINS0_14default_configENS1_36segmented_radix_sort_config_selectorIilEEZNS1_25segmented_radix_sort_implIS3_Lb1EPKiPiPKlPlN2at6native12_GLOBAL__N_18offset_tEEE10hipError_tPvRmT1_PNSt15iterator_traitsISK_E10value_typeET2_T3_PNSL_ISQ_E10value_typeET4_jRbjT5_SW_jjP12ihipStream_tbEUlT_E_NS1_11comp_targetILNS1_3genE10ELNS1_11target_archE1200ELNS1_3gpuE4ELNS1_3repE0EEENS1_30default_config_static_selectorELNS0_4arch9wavefront6targetE0EEEvSK_,"axG",@progbits,_ZN7rocprim17ROCPRIM_400000_NS6detail17trampoline_kernelINS0_14default_configENS1_36segmented_radix_sort_config_selectorIilEEZNS1_25segmented_radix_sort_implIS3_Lb1EPKiPiPKlPlN2at6native12_GLOBAL__N_18offset_tEEE10hipError_tPvRmT1_PNSt15iterator_traitsISK_E10value_typeET2_T3_PNSL_ISQ_E10value_typeET4_jRbjT5_SW_jjP12ihipStream_tbEUlT_E_NS1_11comp_targetILNS1_3genE10ELNS1_11target_archE1200ELNS1_3gpuE4ELNS1_3repE0EEENS1_30default_config_static_selectorELNS0_4arch9wavefront6targetE0EEEvSK_,comdat
	.globl	_ZN7rocprim17ROCPRIM_400000_NS6detail17trampoline_kernelINS0_14default_configENS1_36segmented_radix_sort_config_selectorIilEEZNS1_25segmented_radix_sort_implIS3_Lb1EPKiPiPKlPlN2at6native12_GLOBAL__N_18offset_tEEE10hipError_tPvRmT1_PNSt15iterator_traitsISK_E10value_typeET2_T3_PNSL_ISQ_E10value_typeET4_jRbjT5_SW_jjP12ihipStream_tbEUlT_E_NS1_11comp_targetILNS1_3genE10ELNS1_11target_archE1200ELNS1_3gpuE4ELNS1_3repE0EEENS1_30default_config_static_selectorELNS0_4arch9wavefront6targetE0EEEvSK_ ; -- Begin function _ZN7rocprim17ROCPRIM_400000_NS6detail17trampoline_kernelINS0_14default_configENS1_36segmented_radix_sort_config_selectorIilEEZNS1_25segmented_radix_sort_implIS3_Lb1EPKiPiPKlPlN2at6native12_GLOBAL__N_18offset_tEEE10hipError_tPvRmT1_PNSt15iterator_traitsISK_E10value_typeET2_T3_PNSL_ISQ_E10value_typeET4_jRbjT5_SW_jjP12ihipStream_tbEUlT_E_NS1_11comp_targetILNS1_3genE10ELNS1_11target_archE1200ELNS1_3gpuE4ELNS1_3repE0EEENS1_30default_config_static_selectorELNS0_4arch9wavefront6targetE0EEEvSK_
	.p2align	8
	.type	_ZN7rocprim17ROCPRIM_400000_NS6detail17trampoline_kernelINS0_14default_configENS1_36segmented_radix_sort_config_selectorIilEEZNS1_25segmented_radix_sort_implIS3_Lb1EPKiPiPKlPlN2at6native12_GLOBAL__N_18offset_tEEE10hipError_tPvRmT1_PNSt15iterator_traitsISK_E10value_typeET2_T3_PNSL_ISQ_E10value_typeET4_jRbjT5_SW_jjP12ihipStream_tbEUlT_E_NS1_11comp_targetILNS1_3genE10ELNS1_11target_archE1200ELNS1_3gpuE4ELNS1_3repE0EEENS1_30default_config_static_selectorELNS0_4arch9wavefront6targetE0EEEvSK_,@function
_ZN7rocprim17ROCPRIM_400000_NS6detail17trampoline_kernelINS0_14default_configENS1_36segmented_radix_sort_config_selectorIilEEZNS1_25segmented_radix_sort_implIS3_Lb1EPKiPiPKlPlN2at6native12_GLOBAL__N_18offset_tEEE10hipError_tPvRmT1_PNSt15iterator_traitsISK_E10value_typeET2_T3_PNSL_ISQ_E10value_typeET4_jRbjT5_SW_jjP12ihipStream_tbEUlT_E_NS1_11comp_targetILNS1_3genE10ELNS1_11target_archE1200ELNS1_3gpuE4ELNS1_3repE0EEENS1_30default_config_static_selectorELNS0_4arch9wavefront6targetE0EEEvSK_: ; @_ZN7rocprim17ROCPRIM_400000_NS6detail17trampoline_kernelINS0_14default_configENS1_36segmented_radix_sort_config_selectorIilEEZNS1_25segmented_radix_sort_implIS3_Lb1EPKiPiPKlPlN2at6native12_GLOBAL__N_18offset_tEEE10hipError_tPvRmT1_PNSt15iterator_traitsISK_E10value_typeET2_T3_PNSL_ISQ_E10value_typeET4_jRbjT5_SW_jjP12ihipStream_tbEUlT_E_NS1_11comp_targetILNS1_3genE10ELNS1_11target_archE1200ELNS1_3gpuE4ELNS1_3repE0EEENS1_30default_config_static_selectorELNS0_4arch9wavefront6targetE0EEEvSK_
; %bb.0:
	.section	.rodata,"a",@progbits
	.p2align	6, 0x0
	.amdhsa_kernel _ZN7rocprim17ROCPRIM_400000_NS6detail17trampoline_kernelINS0_14default_configENS1_36segmented_radix_sort_config_selectorIilEEZNS1_25segmented_radix_sort_implIS3_Lb1EPKiPiPKlPlN2at6native12_GLOBAL__N_18offset_tEEE10hipError_tPvRmT1_PNSt15iterator_traitsISK_E10value_typeET2_T3_PNSL_ISQ_E10value_typeET4_jRbjT5_SW_jjP12ihipStream_tbEUlT_E_NS1_11comp_targetILNS1_3genE10ELNS1_11target_archE1200ELNS1_3gpuE4ELNS1_3repE0EEENS1_30default_config_static_selectorELNS0_4arch9wavefront6targetE0EEEvSK_
		.amdhsa_group_segment_fixed_size 0
		.amdhsa_private_segment_fixed_size 0
		.amdhsa_kernarg_size 96
		.amdhsa_user_sgpr_count 6
		.amdhsa_user_sgpr_private_segment_buffer 1
		.amdhsa_user_sgpr_dispatch_ptr 0
		.amdhsa_user_sgpr_queue_ptr 0
		.amdhsa_user_sgpr_kernarg_segment_ptr 1
		.amdhsa_user_sgpr_dispatch_id 0
		.amdhsa_user_sgpr_flat_scratch_init 0
		.amdhsa_user_sgpr_private_segment_size 0
		.amdhsa_wavefront_size32 1
		.amdhsa_uses_dynamic_stack 0
		.amdhsa_system_sgpr_private_segment_wavefront_offset 0
		.amdhsa_system_sgpr_workgroup_id_x 1
		.amdhsa_system_sgpr_workgroup_id_y 0
		.amdhsa_system_sgpr_workgroup_id_z 0
		.amdhsa_system_sgpr_workgroup_info 0
		.amdhsa_system_vgpr_workitem_id 0
		.amdhsa_next_free_vgpr 1
		.amdhsa_next_free_sgpr 1
		.amdhsa_reserve_vcc 0
		.amdhsa_reserve_flat_scratch 0
		.amdhsa_float_round_mode_32 0
		.amdhsa_float_round_mode_16_64 0
		.amdhsa_float_denorm_mode_32 3
		.amdhsa_float_denorm_mode_16_64 3
		.amdhsa_dx10_clamp 1
		.amdhsa_ieee_mode 1
		.amdhsa_fp16_overflow 0
		.amdhsa_workgroup_processor_mode 1
		.amdhsa_memory_ordered 1
		.amdhsa_forward_progress 1
		.amdhsa_shared_vgpr_count 0
		.amdhsa_exception_fp_ieee_invalid_op 0
		.amdhsa_exception_fp_denorm_src 0
		.amdhsa_exception_fp_ieee_div_zero 0
		.amdhsa_exception_fp_ieee_overflow 0
		.amdhsa_exception_fp_ieee_underflow 0
		.amdhsa_exception_fp_ieee_inexact 0
		.amdhsa_exception_int_div_zero 0
	.end_amdhsa_kernel
	.section	.text._ZN7rocprim17ROCPRIM_400000_NS6detail17trampoline_kernelINS0_14default_configENS1_36segmented_radix_sort_config_selectorIilEEZNS1_25segmented_radix_sort_implIS3_Lb1EPKiPiPKlPlN2at6native12_GLOBAL__N_18offset_tEEE10hipError_tPvRmT1_PNSt15iterator_traitsISK_E10value_typeET2_T3_PNSL_ISQ_E10value_typeET4_jRbjT5_SW_jjP12ihipStream_tbEUlT_E_NS1_11comp_targetILNS1_3genE10ELNS1_11target_archE1200ELNS1_3gpuE4ELNS1_3repE0EEENS1_30default_config_static_selectorELNS0_4arch9wavefront6targetE0EEEvSK_,"axG",@progbits,_ZN7rocprim17ROCPRIM_400000_NS6detail17trampoline_kernelINS0_14default_configENS1_36segmented_radix_sort_config_selectorIilEEZNS1_25segmented_radix_sort_implIS3_Lb1EPKiPiPKlPlN2at6native12_GLOBAL__N_18offset_tEEE10hipError_tPvRmT1_PNSt15iterator_traitsISK_E10value_typeET2_T3_PNSL_ISQ_E10value_typeET4_jRbjT5_SW_jjP12ihipStream_tbEUlT_E_NS1_11comp_targetILNS1_3genE10ELNS1_11target_archE1200ELNS1_3gpuE4ELNS1_3repE0EEENS1_30default_config_static_selectorELNS0_4arch9wavefront6targetE0EEEvSK_,comdat
.Lfunc_end499:
	.size	_ZN7rocprim17ROCPRIM_400000_NS6detail17trampoline_kernelINS0_14default_configENS1_36segmented_radix_sort_config_selectorIilEEZNS1_25segmented_radix_sort_implIS3_Lb1EPKiPiPKlPlN2at6native12_GLOBAL__N_18offset_tEEE10hipError_tPvRmT1_PNSt15iterator_traitsISK_E10value_typeET2_T3_PNSL_ISQ_E10value_typeET4_jRbjT5_SW_jjP12ihipStream_tbEUlT_E_NS1_11comp_targetILNS1_3genE10ELNS1_11target_archE1200ELNS1_3gpuE4ELNS1_3repE0EEENS1_30default_config_static_selectorELNS0_4arch9wavefront6targetE0EEEvSK_, .Lfunc_end499-_ZN7rocprim17ROCPRIM_400000_NS6detail17trampoline_kernelINS0_14default_configENS1_36segmented_radix_sort_config_selectorIilEEZNS1_25segmented_radix_sort_implIS3_Lb1EPKiPiPKlPlN2at6native12_GLOBAL__N_18offset_tEEE10hipError_tPvRmT1_PNSt15iterator_traitsISK_E10value_typeET2_T3_PNSL_ISQ_E10value_typeET4_jRbjT5_SW_jjP12ihipStream_tbEUlT_E_NS1_11comp_targetILNS1_3genE10ELNS1_11target_archE1200ELNS1_3gpuE4ELNS1_3repE0EEENS1_30default_config_static_selectorELNS0_4arch9wavefront6targetE0EEEvSK_
                                        ; -- End function
	.set _ZN7rocprim17ROCPRIM_400000_NS6detail17trampoline_kernelINS0_14default_configENS1_36segmented_radix_sort_config_selectorIilEEZNS1_25segmented_radix_sort_implIS3_Lb1EPKiPiPKlPlN2at6native12_GLOBAL__N_18offset_tEEE10hipError_tPvRmT1_PNSt15iterator_traitsISK_E10value_typeET2_T3_PNSL_ISQ_E10value_typeET4_jRbjT5_SW_jjP12ihipStream_tbEUlT_E_NS1_11comp_targetILNS1_3genE10ELNS1_11target_archE1200ELNS1_3gpuE4ELNS1_3repE0EEENS1_30default_config_static_selectorELNS0_4arch9wavefront6targetE0EEEvSK_.num_vgpr, 0
	.set _ZN7rocprim17ROCPRIM_400000_NS6detail17trampoline_kernelINS0_14default_configENS1_36segmented_radix_sort_config_selectorIilEEZNS1_25segmented_radix_sort_implIS3_Lb1EPKiPiPKlPlN2at6native12_GLOBAL__N_18offset_tEEE10hipError_tPvRmT1_PNSt15iterator_traitsISK_E10value_typeET2_T3_PNSL_ISQ_E10value_typeET4_jRbjT5_SW_jjP12ihipStream_tbEUlT_E_NS1_11comp_targetILNS1_3genE10ELNS1_11target_archE1200ELNS1_3gpuE4ELNS1_3repE0EEENS1_30default_config_static_selectorELNS0_4arch9wavefront6targetE0EEEvSK_.num_agpr, 0
	.set _ZN7rocprim17ROCPRIM_400000_NS6detail17trampoline_kernelINS0_14default_configENS1_36segmented_radix_sort_config_selectorIilEEZNS1_25segmented_radix_sort_implIS3_Lb1EPKiPiPKlPlN2at6native12_GLOBAL__N_18offset_tEEE10hipError_tPvRmT1_PNSt15iterator_traitsISK_E10value_typeET2_T3_PNSL_ISQ_E10value_typeET4_jRbjT5_SW_jjP12ihipStream_tbEUlT_E_NS1_11comp_targetILNS1_3genE10ELNS1_11target_archE1200ELNS1_3gpuE4ELNS1_3repE0EEENS1_30default_config_static_selectorELNS0_4arch9wavefront6targetE0EEEvSK_.numbered_sgpr, 0
	.set _ZN7rocprim17ROCPRIM_400000_NS6detail17trampoline_kernelINS0_14default_configENS1_36segmented_radix_sort_config_selectorIilEEZNS1_25segmented_radix_sort_implIS3_Lb1EPKiPiPKlPlN2at6native12_GLOBAL__N_18offset_tEEE10hipError_tPvRmT1_PNSt15iterator_traitsISK_E10value_typeET2_T3_PNSL_ISQ_E10value_typeET4_jRbjT5_SW_jjP12ihipStream_tbEUlT_E_NS1_11comp_targetILNS1_3genE10ELNS1_11target_archE1200ELNS1_3gpuE4ELNS1_3repE0EEENS1_30default_config_static_selectorELNS0_4arch9wavefront6targetE0EEEvSK_.num_named_barrier, 0
	.set _ZN7rocprim17ROCPRIM_400000_NS6detail17trampoline_kernelINS0_14default_configENS1_36segmented_radix_sort_config_selectorIilEEZNS1_25segmented_radix_sort_implIS3_Lb1EPKiPiPKlPlN2at6native12_GLOBAL__N_18offset_tEEE10hipError_tPvRmT1_PNSt15iterator_traitsISK_E10value_typeET2_T3_PNSL_ISQ_E10value_typeET4_jRbjT5_SW_jjP12ihipStream_tbEUlT_E_NS1_11comp_targetILNS1_3genE10ELNS1_11target_archE1200ELNS1_3gpuE4ELNS1_3repE0EEENS1_30default_config_static_selectorELNS0_4arch9wavefront6targetE0EEEvSK_.private_seg_size, 0
	.set _ZN7rocprim17ROCPRIM_400000_NS6detail17trampoline_kernelINS0_14default_configENS1_36segmented_radix_sort_config_selectorIilEEZNS1_25segmented_radix_sort_implIS3_Lb1EPKiPiPKlPlN2at6native12_GLOBAL__N_18offset_tEEE10hipError_tPvRmT1_PNSt15iterator_traitsISK_E10value_typeET2_T3_PNSL_ISQ_E10value_typeET4_jRbjT5_SW_jjP12ihipStream_tbEUlT_E_NS1_11comp_targetILNS1_3genE10ELNS1_11target_archE1200ELNS1_3gpuE4ELNS1_3repE0EEENS1_30default_config_static_selectorELNS0_4arch9wavefront6targetE0EEEvSK_.uses_vcc, 0
	.set _ZN7rocprim17ROCPRIM_400000_NS6detail17trampoline_kernelINS0_14default_configENS1_36segmented_radix_sort_config_selectorIilEEZNS1_25segmented_radix_sort_implIS3_Lb1EPKiPiPKlPlN2at6native12_GLOBAL__N_18offset_tEEE10hipError_tPvRmT1_PNSt15iterator_traitsISK_E10value_typeET2_T3_PNSL_ISQ_E10value_typeET4_jRbjT5_SW_jjP12ihipStream_tbEUlT_E_NS1_11comp_targetILNS1_3genE10ELNS1_11target_archE1200ELNS1_3gpuE4ELNS1_3repE0EEENS1_30default_config_static_selectorELNS0_4arch9wavefront6targetE0EEEvSK_.uses_flat_scratch, 0
	.set _ZN7rocprim17ROCPRIM_400000_NS6detail17trampoline_kernelINS0_14default_configENS1_36segmented_radix_sort_config_selectorIilEEZNS1_25segmented_radix_sort_implIS3_Lb1EPKiPiPKlPlN2at6native12_GLOBAL__N_18offset_tEEE10hipError_tPvRmT1_PNSt15iterator_traitsISK_E10value_typeET2_T3_PNSL_ISQ_E10value_typeET4_jRbjT5_SW_jjP12ihipStream_tbEUlT_E_NS1_11comp_targetILNS1_3genE10ELNS1_11target_archE1200ELNS1_3gpuE4ELNS1_3repE0EEENS1_30default_config_static_selectorELNS0_4arch9wavefront6targetE0EEEvSK_.has_dyn_sized_stack, 0
	.set _ZN7rocprim17ROCPRIM_400000_NS6detail17trampoline_kernelINS0_14default_configENS1_36segmented_radix_sort_config_selectorIilEEZNS1_25segmented_radix_sort_implIS3_Lb1EPKiPiPKlPlN2at6native12_GLOBAL__N_18offset_tEEE10hipError_tPvRmT1_PNSt15iterator_traitsISK_E10value_typeET2_T3_PNSL_ISQ_E10value_typeET4_jRbjT5_SW_jjP12ihipStream_tbEUlT_E_NS1_11comp_targetILNS1_3genE10ELNS1_11target_archE1200ELNS1_3gpuE4ELNS1_3repE0EEENS1_30default_config_static_selectorELNS0_4arch9wavefront6targetE0EEEvSK_.has_recursion, 0
	.set _ZN7rocprim17ROCPRIM_400000_NS6detail17trampoline_kernelINS0_14default_configENS1_36segmented_radix_sort_config_selectorIilEEZNS1_25segmented_radix_sort_implIS3_Lb1EPKiPiPKlPlN2at6native12_GLOBAL__N_18offset_tEEE10hipError_tPvRmT1_PNSt15iterator_traitsISK_E10value_typeET2_T3_PNSL_ISQ_E10value_typeET4_jRbjT5_SW_jjP12ihipStream_tbEUlT_E_NS1_11comp_targetILNS1_3genE10ELNS1_11target_archE1200ELNS1_3gpuE4ELNS1_3repE0EEENS1_30default_config_static_selectorELNS0_4arch9wavefront6targetE0EEEvSK_.has_indirect_call, 0
	.section	.AMDGPU.csdata,"",@progbits
; Kernel info:
; codeLenInByte = 0
; TotalNumSgprs: 0
; NumVgprs: 0
; ScratchSize: 0
; MemoryBound: 0
; FloatMode: 240
; IeeeMode: 1
; LDSByteSize: 0 bytes/workgroup (compile time only)
; SGPRBlocks: 0
; VGPRBlocks: 0
; NumSGPRsForWavesPerEU: 1
; NumVGPRsForWavesPerEU: 1
; Occupancy: 16
; WaveLimiterHint : 0
; COMPUTE_PGM_RSRC2:SCRATCH_EN: 0
; COMPUTE_PGM_RSRC2:USER_SGPR: 6
; COMPUTE_PGM_RSRC2:TRAP_HANDLER: 0
; COMPUTE_PGM_RSRC2:TGID_X_EN: 1
; COMPUTE_PGM_RSRC2:TGID_Y_EN: 0
; COMPUTE_PGM_RSRC2:TGID_Z_EN: 0
; COMPUTE_PGM_RSRC2:TIDIG_COMP_CNT: 0
	.section	.text._ZN7rocprim17ROCPRIM_400000_NS6detail17trampoline_kernelINS0_14default_configENS1_36segmented_radix_sort_config_selectorIilEEZNS1_25segmented_radix_sort_implIS3_Lb1EPKiPiPKlPlN2at6native12_GLOBAL__N_18offset_tEEE10hipError_tPvRmT1_PNSt15iterator_traitsISK_E10value_typeET2_T3_PNSL_ISQ_E10value_typeET4_jRbjT5_SW_jjP12ihipStream_tbEUlT_E_NS1_11comp_targetILNS1_3genE9ELNS1_11target_archE1100ELNS1_3gpuE3ELNS1_3repE0EEENS1_30default_config_static_selectorELNS0_4arch9wavefront6targetE0EEEvSK_,"axG",@progbits,_ZN7rocprim17ROCPRIM_400000_NS6detail17trampoline_kernelINS0_14default_configENS1_36segmented_radix_sort_config_selectorIilEEZNS1_25segmented_radix_sort_implIS3_Lb1EPKiPiPKlPlN2at6native12_GLOBAL__N_18offset_tEEE10hipError_tPvRmT1_PNSt15iterator_traitsISK_E10value_typeET2_T3_PNSL_ISQ_E10value_typeET4_jRbjT5_SW_jjP12ihipStream_tbEUlT_E_NS1_11comp_targetILNS1_3genE9ELNS1_11target_archE1100ELNS1_3gpuE3ELNS1_3repE0EEENS1_30default_config_static_selectorELNS0_4arch9wavefront6targetE0EEEvSK_,comdat
	.globl	_ZN7rocprim17ROCPRIM_400000_NS6detail17trampoline_kernelINS0_14default_configENS1_36segmented_radix_sort_config_selectorIilEEZNS1_25segmented_radix_sort_implIS3_Lb1EPKiPiPKlPlN2at6native12_GLOBAL__N_18offset_tEEE10hipError_tPvRmT1_PNSt15iterator_traitsISK_E10value_typeET2_T3_PNSL_ISQ_E10value_typeET4_jRbjT5_SW_jjP12ihipStream_tbEUlT_E_NS1_11comp_targetILNS1_3genE9ELNS1_11target_archE1100ELNS1_3gpuE3ELNS1_3repE0EEENS1_30default_config_static_selectorELNS0_4arch9wavefront6targetE0EEEvSK_ ; -- Begin function _ZN7rocprim17ROCPRIM_400000_NS6detail17trampoline_kernelINS0_14default_configENS1_36segmented_radix_sort_config_selectorIilEEZNS1_25segmented_radix_sort_implIS3_Lb1EPKiPiPKlPlN2at6native12_GLOBAL__N_18offset_tEEE10hipError_tPvRmT1_PNSt15iterator_traitsISK_E10value_typeET2_T3_PNSL_ISQ_E10value_typeET4_jRbjT5_SW_jjP12ihipStream_tbEUlT_E_NS1_11comp_targetILNS1_3genE9ELNS1_11target_archE1100ELNS1_3gpuE3ELNS1_3repE0EEENS1_30default_config_static_selectorELNS0_4arch9wavefront6targetE0EEEvSK_
	.p2align	8
	.type	_ZN7rocprim17ROCPRIM_400000_NS6detail17trampoline_kernelINS0_14default_configENS1_36segmented_radix_sort_config_selectorIilEEZNS1_25segmented_radix_sort_implIS3_Lb1EPKiPiPKlPlN2at6native12_GLOBAL__N_18offset_tEEE10hipError_tPvRmT1_PNSt15iterator_traitsISK_E10value_typeET2_T3_PNSL_ISQ_E10value_typeET4_jRbjT5_SW_jjP12ihipStream_tbEUlT_E_NS1_11comp_targetILNS1_3genE9ELNS1_11target_archE1100ELNS1_3gpuE3ELNS1_3repE0EEENS1_30default_config_static_selectorELNS0_4arch9wavefront6targetE0EEEvSK_,@function
_ZN7rocprim17ROCPRIM_400000_NS6detail17trampoline_kernelINS0_14default_configENS1_36segmented_radix_sort_config_selectorIilEEZNS1_25segmented_radix_sort_implIS3_Lb1EPKiPiPKlPlN2at6native12_GLOBAL__N_18offset_tEEE10hipError_tPvRmT1_PNSt15iterator_traitsISK_E10value_typeET2_T3_PNSL_ISQ_E10value_typeET4_jRbjT5_SW_jjP12ihipStream_tbEUlT_E_NS1_11comp_targetILNS1_3genE9ELNS1_11target_archE1100ELNS1_3gpuE3ELNS1_3repE0EEENS1_30default_config_static_selectorELNS0_4arch9wavefront6targetE0EEEvSK_: ; @_ZN7rocprim17ROCPRIM_400000_NS6detail17trampoline_kernelINS0_14default_configENS1_36segmented_radix_sort_config_selectorIilEEZNS1_25segmented_radix_sort_implIS3_Lb1EPKiPiPKlPlN2at6native12_GLOBAL__N_18offset_tEEE10hipError_tPvRmT1_PNSt15iterator_traitsISK_E10value_typeET2_T3_PNSL_ISQ_E10value_typeET4_jRbjT5_SW_jjP12ihipStream_tbEUlT_E_NS1_11comp_targetILNS1_3genE9ELNS1_11target_archE1100ELNS1_3gpuE3ELNS1_3repE0EEENS1_30default_config_static_selectorELNS0_4arch9wavefront6targetE0EEEvSK_
; %bb.0:
	.section	.rodata,"a",@progbits
	.p2align	6, 0x0
	.amdhsa_kernel _ZN7rocprim17ROCPRIM_400000_NS6detail17trampoline_kernelINS0_14default_configENS1_36segmented_radix_sort_config_selectorIilEEZNS1_25segmented_radix_sort_implIS3_Lb1EPKiPiPKlPlN2at6native12_GLOBAL__N_18offset_tEEE10hipError_tPvRmT1_PNSt15iterator_traitsISK_E10value_typeET2_T3_PNSL_ISQ_E10value_typeET4_jRbjT5_SW_jjP12ihipStream_tbEUlT_E_NS1_11comp_targetILNS1_3genE9ELNS1_11target_archE1100ELNS1_3gpuE3ELNS1_3repE0EEENS1_30default_config_static_selectorELNS0_4arch9wavefront6targetE0EEEvSK_
		.amdhsa_group_segment_fixed_size 0
		.amdhsa_private_segment_fixed_size 0
		.amdhsa_kernarg_size 96
		.amdhsa_user_sgpr_count 6
		.amdhsa_user_sgpr_private_segment_buffer 1
		.amdhsa_user_sgpr_dispatch_ptr 0
		.amdhsa_user_sgpr_queue_ptr 0
		.amdhsa_user_sgpr_kernarg_segment_ptr 1
		.amdhsa_user_sgpr_dispatch_id 0
		.amdhsa_user_sgpr_flat_scratch_init 0
		.amdhsa_user_sgpr_private_segment_size 0
		.amdhsa_wavefront_size32 1
		.amdhsa_uses_dynamic_stack 0
		.amdhsa_system_sgpr_private_segment_wavefront_offset 0
		.amdhsa_system_sgpr_workgroup_id_x 1
		.amdhsa_system_sgpr_workgroup_id_y 0
		.amdhsa_system_sgpr_workgroup_id_z 0
		.amdhsa_system_sgpr_workgroup_info 0
		.amdhsa_system_vgpr_workitem_id 0
		.amdhsa_next_free_vgpr 1
		.amdhsa_next_free_sgpr 1
		.amdhsa_reserve_vcc 0
		.amdhsa_reserve_flat_scratch 0
		.amdhsa_float_round_mode_32 0
		.amdhsa_float_round_mode_16_64 0
		.amdhsa_float_denorm_mode_32 3
		.amdhsa_float_denorm_mode_16_64 3
		.amdhsa_dx10_clamp 1
		.amdhsa_ieee_mode 1
		.amdhsa_fp16_overflow 0
		.amdhsa_workgroup_processor_mode 1
		.amdhsa_memory_ordered 1
		.amdhsa_forward_progress 1
		.amdhsa_shared_vgpr_count 0
		.amdhsa_exception_fp_ieee_invalid_op 0
		.amdhsa_exception_fp_denorm_src 0
		.amdhsa_exception_fp_ieee_div_zero 0
		.amdhsa_exception_fp_ieee_overflow 0
		.amdhsa_exception_fp_ieee_underflow 0
		.amdhsa_exception_fp_ieee_inexact 0
		.amdhsa_exception_int_div_zero 0
	.end_amdhsa_kernel
	.section	.text._ZN7rocprim17ROCPRIM_400000_NS6detail17trampoline_kernelINS0_14default_configENS1_36segmented_radix_sort_config_selectorIilEEZNS1_25segmented_radix_sort_implIS3_Lb1EPKiPiPKlPlN2at6native12_GLOBAL__N_18offset_tEEE10hipError_tPvRmT1_PNSt15iterator_traitsISK_E10value_typeET2_T3_PNSL_ISQ_E10value_typeET4_jRbjT5_SW_jjP12ihipStream_tbEUlT_E_NS1_11comp_targetILNS1_3genE9ELNS1_11target_archE1100ELNS1_3gpuE3ELNS1_3repE0EEENS1_30default_config_static_selectorELNS0_4arch9wavefront6targetE0EEEvSK_,"axG",@progbits,_ZN7rocprim17ROCPRIM_400000_NS6detail17trampoline_kernelINS0_14default_configENS1_36segmented_radix_sort_config_selectorIilEEZNS1_25segmented_radix_sort_implIS3_Lb1EPKiPiPKlPlN2at6native12_GLOBAL__N_18offset_tEEE10hipError_tPvRmT1_PNSt15iterator_traitsISK_E10value_typeET2_T3_PNSL_ISQ_E10value_typeET4_jRbjT5_SW_jjP12ihipStream_tbEUlT_E_NS1_11comp_targetILNS1_3genE9ELNS1_11target_archE1100ELNS1_3gpuE3ELNS1_3repE0EEENS1_30default_config_static_selectorELNS0_4arch9wavefront6targetE0EEEvSK_,comdat
.Lfunc_end500:
	.size	_ZN7rocprim17ROCPRIM_400000_NS6detail17trampoline_kernelINS0_14default_configENS1_36segmented_radix_sort_config_selectorIilEEZNS1_25segmented_radix_sort_implIS3_Lb1EPKiPiPKlPlN2at6native12_GLOBAL__N_18offset_tEEE10hipError_tPvRmT1_PNSt15iterator_traitsISK_E10value_typeET2_T3_PNSL_ISQ_E10value_typeET4_jRbjT5_SW_jjP12ihipStream_tbEUlT_E_NS1_11comp_targetILNS1_3genE9ELNS1_11target_archE1100ELNS1_3gpuE3ELNS1_3repE0EEENS1_30default_config_static_selectorELNS0_4arch9wavefront6targetE0EEEvSK_, .Lfunc_end500-_ZN7rocprim17ROCPRIM_400000_NS6detail17trampoline_kernelINS0_14default_configENS1_36segmented_radix_sort_config_selectorIilEEZNS1_25segmented_radix_sort_implIS3_Lb1EPKiPiPKlPlN2at6native12_GLOBAL__N_18offset_tEEE10hipError_tPvRmT1_PNSt15iterator_traitsISK_E10value_typeET2_T3_PNSL_ISQ_E10value_typeET4_jRbjT5_SW_jjP12ihipStream_tbEUlT_E_NS1_11comp_targetILNS1_3genE9ELNS1_11target_archE1100ELNS1_3gpuE3ELNS1_3repE0EEENS1_30default_config_static_selectorELNS0_4arch9wavefront6targetE0EEEvSK_
                                        ; -- End function
	.set _ZN7rocprim17ROCPRIM_400000_NS6detail17trampoline_kernelINS0_14default_configENS1_36segmented_radix_sort_config_selectorIilEEZNS1_25segmented_radix_sort_implIS3_Lb1EPKiPiPKlPlN2at6native12_GLOBAL__N_18offset_tEEE10hipError_tPvRmT1_PNSt15iterator_traitsISK_E10value_typeET2_T3_PNSL_ISQ_E10value_typeET4_jRbjT5_SW_jjP12ihipStream_tbEUlT_E_NS1_11comp_targetILNS1_3genE9ELNS1_11target_archE1100ELNS1_3gpuE3ELNS1_3repE0EEENS1_30default_config_static_selectorELNS0_4arch9wavefront6targetE0EEEvSK_.num_vgpr, 0
	.set _ZN7rocprim17ROCPRIM_400000_NS6detail17trampoline_kernelINS0_14default_configENS1_36segmented_radix_sort_config_selectorIilEEZNS1_25segmented_radix_sort_implIS3_Lb1EPKiPiPKlPlN2at6native12_GLOBAL__N_18offset_tEEE10hipError_tPvRmT1_PNSt15iterator_traitsISK_E10value_typeET2_T3_PNSL_ISQ_E10value_typeET4_jRbjT5_SW_jjP12ihipStream_tbEUlT_E_NS1_11comp_targetILNS1_3genE9ELNS1_11target_archE1100ELNS1_3gpuE3ELNS1_3repE0EEENS1_30default_config_static_selectorELNS0_4arch9wavefront6targetE0EEEvSK_.num_agpr, 0
	.set _ZN7rocprim17ROCPRIM_400000_NS6detail17trampoline_kernelINS0_14default_configENS1_36segmented_radix_sort_config_selectorIilEEZNS1_25segmented_radix_sort_implIS3_Lb1EPKiPiPKlPlN2at6native12_GLOBAL__N_18offset_tEEE10hipError_tPvRmT1_PNSt15iterator_traitsISK_E10value_typeET2_T3_PNSL_ISQ_E10value_typeET4_jRbjT5_SW_jjP12ihipStream_tbEUlT_E_NS1_11comp_targetILNS1_3genE9ELNS1_11target_archE1100ELNS1_3gpuE3ELNS1_3repE0EEENS1_30default_config_static_selectorELNS0_4arch9wavefront6targetE0EEEvSK_.numbered_sgpr, 0
	.set _ZN7rocprim17ROCPRIM_400000_NS6detail17trampoline_kernelINS0_14default_configENS1_36segmented_radix_sort_config_selectorIilEEZNS1_25segmented_radix_sort_implIS3_Lb1EPKiPiPKlPlN2at6native12_GLOBAL__N_18offset_tEEE10hipError_tPvRmT1_PNSt15iterator_traitsISK_E10value_typeET2_T3_PNSL_ISQ_E10value_typeET4_jRbjT5_SW_jjP12ihipStream_tbEUlT_E_NS1_11comp_targetILNS1_3genE9ELNS1_11target_archE1100ELNS1_3gpuE3ELNS1_3repE0EEENS1_30default_config_static_selectorELNS0_4arch9wavefront6targetE0EEEvSK_.num_named_barrier, 0
	.set _ZN7rocprim17ROCPRIM_400000_NS6detail17trampoline_kernelINS0_14default_configENS1_36segmented_radix_sort_config_selectorIilEEZNS1_25segmented_radix_sort_implIS3_Lb1EPKiPiPKlPlN2at6native12_GLOBAL__N_18offset_tEEE10hipError_tPvRmT1_PNSt15iterator_traitsISK_E10value_typeET2_T3_PNSL_ISQ_E10value_typeET4_jRbjT5_SW_jjP12ihipStream_tbEUlT_E_NS1_11comp_targetILNS1_3genE9ELNS1_11target_archE1100ELNS1_3gpuE3ELNS1_3repE0EEENS1_30default_config_static_selectorELNS0_4arch9wavefront6targetE0EEEvSK_.private_seg_size, 0
	.set _ZN7rocprim17ROCPRIM_400000_NS6detail17trampoline_kernelINS0_14default_configENS1_36segmented_radix_sort_config_selectorIilEEZNS1_25segmented_radix_sort_implIS3_Lb1EPKiPiPKlPlN2at6native12_GLOBAL__N_18offset_tEEE10hipError_tPvRmT1_PNSt15iterator_traitsISK_E10value_typeET2_T3_PNSL_ISQ_E10value_typeET4_jRbjT5_SW_jjP12ihipStream_tbEUlT_E_NS1_11comp_targetILNS1_3genE9ELNS1_11target_archE1100ELNS1_3gpuE3ELNS1_3repE0EEENS1_30default_config_static_selectorELNS0_4arch9wavefront6targetE0EEEvSK_.uses_vcc, 0
	.set _ZN7rocprim17ROCPRIM_400000_NS6detail17trampoline_kernelINS0_14default_configENS1_36segmented_radix_sort_config_selectorIilEEZNS1_25segmented_radix_sort_implIS3_Lb1EPKiPiPKlPlN2at6native12_GLOBAL__N_18offset_tEEE10hipError_tPvRmT1_PNSt15iterator_traitsISK_E10value_typeET2_T3_PNSL_ISQ_E10value_typeET4_jRbjT5_SW_jjP12ihipStream_tbEUlT_E_NS1_11comp_targetILNS1_3genE9ELNS1_11target_archE1100ELNS1_3gpuE3ELNS1_3repE0EEENS1_30default_config_static_selectorELNS0_4arch9wavefront6targetE0EEEvSK_.uses_flat_scratch, 0
	.set _ZN7rocprim17ROCPRIM_400000_NS6detail17trampoline_kernelINS0_14default_configENS1_36segmented_radix_sort_config_selectorIilEEZNS1_25segmented_radix_sort_implIS3_Lb1EPKiPiPKlPlN2at6native12_GLOBAL__N_18offset_tEEE10hipError_tPvRmT1_PNSt15iterator_traitsISK_E10value_typeET2_T3_PNSL_ISQ_E10value_typeET4_jRbjT5_SW_jjP12ihipStream_tbEUlT_E_NS1_11comp_targetILNS1_3genE9ELNS1_11target_archE1100ELNS1_3gpuE3ELNS1_3repE0EEENS1_30default_config_static_selectorELNS0_4arch9wavefront6targetE0EEEvSK_.has_dyn_sized_stack, 0
	.set _ZN7rocprim17ROCPRIM_400000_NS6detail17trampoline_kernelINS0_14default_configENS1_36segmented_radix_sort_config_selectorIilEEZNS1_25segmented_radix_sort_implIS3_Lb1EPKiPiPKlPlN2at6native12_GLOBAL__N_18offset_tEEE10hipError_tPvRmT1_PNSt15iterator_traitsISK_E10value_typeET2_T3_PNSL_ISQ_E10value_typeET4_jRbjT5_SW_jjP12ihipStream_tbEUlT_E_NS1_11comp_targetILNS1_3genE9ELNS1_11target_archE1100ELNS1_3gpuE3ELNS1_3repE0EEENS1_30default_config_static_selectorELNS0_4arch9wavefront6targetE0EEEvSK_.has_recursion, 0
	.set _ZN7rocprim17ROCPRIM_400000_NS6detail17trampoline_kernelINS0_14default_configENS1_36segmented_radix_sort_config_selectorIilEEZNS1_25segmented_radix_sort_implIS3_Lb1EPKiPiPKlPlN2at6native12_GLOBAL__N_18offset_tEEE10hipError_tPvRmT1_PNSt15iterator_traitsISK_E10value_typeET2_T3_PNSL_ISQ_E10value_typeET4_jRbjT5_SW_jjP12ihipStream_tbEUlT_E_NS1_11comp_targetILNS1_3genE9ELNS1_11target_archE1100ELNS1_3gpuE3ELNS1_3repE0EEENS1_30default_config_static_selectorELNS0_4arch9wavefront6targetE0EEEvSK_.has_indirect_call, 0
	.section	.AMDGPU.csdata,"",@progbits
; Kernel info:
; codeLenInByte = 0
; TotalNumSgprs: 0
; NumVgprs: 0
; ScratchSize: 0
; MemoryBound: 0
; FloatMode: 240
; IeeeMode: 1
; LDSByteSize: 0 bytes/workgroup (compile time only)
; SGPRBlocks: 0
; VGPRBlocks: 0
; NumSGPRsForWavesPerEU: 1
; NumVGPRsForWavesPerEU: 1
; Occupancy: 16
; WaveLimiterHint : 0
; COMPUTE_PGM_RSRC2:SCRATCH_EN: 0
; COMPUTE_PGM_RSRC2:USER_SGPR: 6
; COMPUTE_PGM_RSRC2:TRAP_HANDLER: 0
; COMPUTE_PGM_RSRC2:TGID_X_EN: 1
; COMPUTE_PGM_RSRC2:TGID_Y_EN: 0
; COMPUTE_PGM_RSRC2:TGID_Z_EN: 0
; COMPUTE_PGM_RSRC2:TIDIG_COMP_CNT: 0
	.text
	.p2align	2                               ; -- Begin function _ZN7rocprim17ROCPRIM_400000_NS6detail40segmented_radix_sort_single_block_helperIilLj256ELj17ELb1EE4sortIPKiPiPKlPlEEbT_T0_T1_T2_jjjjRNS3_12storage_typeE
	.type	_ZN7rocprim17ROCPRIM_400000_NS6detail40segmented_radix_sort_single_block_helperIilLj256ELj17ELb1EE4sortIPKiPiPKlPlEEbT_T0_T1_T2_jjjjRNS3_12storage_typeE,@function
_ZN7rocprim17ROCPRIM_400000_NS6detail40segmented_radix_sort_single_block_helperIilLj256ELj17ELb1EE4sortIPKiPiPKlPlEEbT_T0_T1_T2_jjjjRNS3_12storage_typeE: ; @_ZN7rocprim17ROCPRIM_400000_NS6detail40segmented_radix_sort_single_block_helperIilLj256ELj17ELb1EE4sortIPKiPiPKlPlEEbT_T0_T1_T2_jjjjRNS3_12storage_typeE
; %bb.0:
	s_waitcnt vmcnt(0) expcnt(0) lgkmcnt(0)
	buffer_store_dword v40, off, s[0:3], s32 offset:188 ; 4-byte Folded Spill
	buffer_store_dword v41, off, s[0:3], s32 offset:184 ; 4-byte Folded Spill
	buffer_store_dword v42, off, s[0:3], s32 offset:180 ; 4-byte Folded Spill
	buffer_store_dword v43, off, s[0:3], s32 offset:176 ; 4-byte Folded Spill
	buffer_store_dword v44, off, s[0:3], s32 offset:172 ; 4-byte Folded Spill
	buffer_store_dword v45, off, s[0:3], s32 offset:168 ; 4-byte Folded Spill
	buffer_store_dword v46, off, s[0:3], s32 offset:164 ; 4-byte Folded Spill
	buffer_store_dword v47, off, s[0:3], s32 offset:160 ; 4-byte Folded Spill
	buffer_store_dword v56, off, s[0:3], s32 offset:156 ; 4-byte Folded Spill
	buffer_store_dword v57, off, s[0:3], s32 offset:152 ; 4-byte Folded Spill
	buffer_store_dword v58, off, s[0:3], s32 offset:148 ; 4-byte Folded Spill
	buffer_store_dword v59, off, s[0:3], s32 offset:144 ; 4-byte Folded Spill
	buffer_store_dword v60, off, s[0:3], s32 offset:140 ; 4-byte Folded Spill
	buffer_store_dword v61, off, s[0:3], s32 offset:136 ; 4-byte Folded Spill
	buffer_store_dword v62, off, s[0:3], s32 offset:132 ; 4-byte Folded Spill
	buffer_store_dword v63, off, s[0:3], s32 offset:128 ; 4-byte Folded Spill
	buffer_store_dword v72, off, s[0:3], s32 offset:124 ; 4-byte Folded Spill
	buffer_store_dword v73, off, s[0:3], s32 offset:120 ; 4-byte Folded Spill
	buffer_store_dword v74, off, s[0:3], s32 offset:116 ; 4-byte Folded Spill
	buffer_store_dword v75, off, s[0:3], s32 offset:112 ; 4-byte Folded Spill
	buffer_store_dword v76, off, s[0:3], s32 offset:108 ; 4-byte Folded Spill
	buffer_store_dword v77, off, s[0:3], s32 offset:104 ; 4-byte Folded Spill
	buffer_store_dword v78, off, s[0:3], s32 offset:100 ; 4-byte Folded Spill
	buffer_store_dword v79, off, s[0:3], s32 offset:96 ; 4-byte Folded Spill
	buffer_store_dword v88, off, s[0:3], s32 offset:92 ; 4-byte Folded Spill
	buffer_store_dword v89, off, s[0:3], s32 offset:88 ; 4-byte Folded Spill
	buffer_store_dword v90, off, s[0:3], s32 offset:84 ; 4-byte Folded Spill
	buffer_store_dword v91, off, s[0:3], s32 offset:80 ; 4-byte Folded Spill
	buffer_store_dword v92, off, s[0:3], s32 offset:76 ; 4-byte Folded Spill
	buffer_store_dword v93, off, s[0:3], s32 offset:72 ; 4-byte Folded Spill
	buffer_store_dword v94, off, s[0:3], s32 offset:68 ; 4-byte Folded Spill
	buffer_store_dword v95, off, s[0:3], s32 offset:64 ; 4-byte Folded Spill
	buffer_store_dword v104, off, s[0:3], s32 offset:60 ; 4-byte Folded Spill
	buffer_store_dword v105, off, s[0:3], s32 offset:56 ; 4-byte Folded Spill
	buffer_store_dword v106, off, s[0:3], s32 offset:52 ; 4-byte Folded Spill
	buffer_store_dword v107, off, s[0:3], s32 offset:48 ; 4-byte Folded Spill
	buffer_store_dword v108, off, s[0:3], s32 offset:44 ; 4-byte Folded Spill
	buffer_store_dword v109, off, s[0:3], s32 offset:40 ; 4-byte Folded Spill
	buffer_store_dword v110, off, s[0:3], s32 offset:36 ; 4-byte Folded Spill
	buffer_store_dword v111, off, s[0:3], s32 offset:32 ; 4-byte Folded Spill
	buffer_store_dword v120, off, s[0:3], s32 offset:28 ; 4-byte Folded Spill
	buffer_store_dword v121, off, s[0:3], s32 offset:24 ; 4-byte Folded Spill
	buffer_store_dword v122, off, s[0:3], s32 offset:20 ; 4-byte Folded Spill
	buffer_store_dword v123, off, s[0:3], s32 offset:16 ; 4-byte Folded Spill
	buffer_store_dword v124, off, s[0:3], s32 offset:12 ; 4-byte Folded Spill
	buffer_store_dword v125, off, s[0:3], s32 offset:8 ; 4-byte Folded Spill
	buffer_store_dword v126, off, s[0:3], s32 offset:4 ; 4-byte Folded Spill
	buffer_store_dword v127, off, s[0:3], s32 ; 4-byte Folded Spill
	v_sub_nc_u32_e32 v119, v9, v8
	s_mov_b32 s25, exec_lo
	v_cmpx_gt_u32_e32 0x1101, v119
	s_cbranch_execz .LBB501_382
; %bb.1:
	v_bfe_u32 v13, v31, 10, 10
	v_bfe_u32 v14, v31, 20, 10
	v_and_b32_e32 v21, 0x3ff, v31
	v_mbcnt_lo_u32_b32 v64, -1, 0
	s_mov_b32 s4, exec_lo
	v_cmpx_lt_u32_e32 0x800, v119
	s_xor_b32 s26, exec_lo, s4
	s_cbranch_execz .LBB501_151
; %bb.2:
	s_load_dwordx2 s[4:5], s[8:9], 0x0
	v_mov_b32_e32 v9, 0
	v_mov_b32_e32 v113, -1
	v_mov_b32_e32 v115, -1
	v_lshlrev_b64 v[50:51], 2, v[8:9]
	v_add_co_u32 v17, vcc_lo, v0, v50
	v_add_co_ci_u32_e64 v18, null, v1, v51, vcc_lo
	s_waitcnt lgkmcnt(0)
	s_cmp_lt_u32 s13, s5
	s_cselect_b32 s5, 14, 20
	s_add_u32 s6, s8, s5
	s_addc_u32 s7, s9, 0
	s_cmp_lt_u32 s12, s4
	global_load_ushort v15, v9, s[6:7]
	s_cselect_b32 s4, 12, 18
	s_add_u32 s4, s8, s4
	s_addc_u32 s5, s9, 0
	global_load_ushort v16, v9, s[4:5]
	s_waitcnt vmcnt(1)
	v_mad_u32_u24 v13, v14, v15, v13
	v_mov_b32_e32 v14, v9
	s_waitcnt vmcnt(0)
	v_mad_u64_u32 v[48:49], null, v13, v16, v[21:22]
	v_lshlrev_b32_e32 v16, 2, v64
	v_add_co_u32 v16, vcc_lo, v17, v16
	v_and_b32_e32 v13, 0xffffffe0, v48
	v_add_co_ci_u32_e64 v17, null, 0, v18, vcc_lo
	v_lshl_add_u32 v13, v13, 4, v13
	v_lshlrev_b64 v[0:1], 2, v[13:14]
	v_or_b32_e32 v15, v13, v64
	v_cmp_lt_u32_e32 vcc_lo, v15, v119
	v_add_co_u32 v0, s4, v16, v0
	v_add_co_ci_u32_e64 v1, null, v17, v1, s4
	s_and_saveexec_b32 s4, vcc_lo
	s_cbranch_execz .LBB501_4
; %bb.3:
	flat_load_dword v16, v[0:1]
	s_waitcnt vmcnt(0) lgkmcnt(0)
	v_xor_b32_e32 v115, 0x7fffffff, v16
.LBB501_4:
	s_or_b32 exec_lo, exec_lo, s4
	v_add_nc_u32_e32 v16, 32, v15
	v_cmp_lt_u32_e64 s4, v16, v119
	s_and_saveexec_b32 s5, s4
	s_cbranch_execz .LBB501_6
; %bb.5:
	flat_load_dword v16, v[0:1] offset:128
	s_waitcnt vmcnt(0) lgkmcnt(0)
	v_xor_b32_e32 v113, 0x7fffffff, v16
.LBB501_6:
	s_or_b32 exec_lo, exec_lo, s5
	v_add_nc_u32_e32 v16, 64, v15
	v_mov_b32_e32 v129, -1
	v_mov_b32_e32 v131, -1
	v_cmp_lt_u32_e64 s5, v16, v119
	s_and_saveexec_b32 s6, s5
	s_cbranch_execz .LBB501_8
; %bb.7:
	flat_load_dword v16, v[0:1] offset:256
	s_waitcnt vmcnt(0) lgkmcnt(0)
	v_xor_b32_e32 v131, 0x7fffffff, v16
.LBB501_8:
	s_or_b32 exec_lo, exec_lo, s6
	v_add_nc_u32_e32 v16, 0x60, v15
	v_cmp_lt_u32_e64 s6, v16, v119
	s_and_saveexec_b32 s7, s6
	s_cbranch_execz .LBB501_10
; %bb.9:
	flat_load_dword v16, v[0:1] offset:384
	s_waitcnt vmcnt(0) lgkmcnt(0)
	v_xor_b32_e32 v129, 0x7fffffff, v16
.LBB501_10:
	s_or_b32 exec_lo, exec_lo, s7
	v_add_nc_u32_e32 v16, 0x80, v15
	v_mov_b32_e32 v133, -1
	v_mov_b32_e32 v135, -1
	v_cmp_lt_u32_e64 s7, v16, v119
	s_and_saveexec_b32 s10, s7
	s_cbranch_execz .LBB501_12
; %bb.11:
	flat_load_dword v16, v[0:1] offset:512
	s_waitcnt vmcnt(0) lgkmcnt(0)
	v_xor_b32_e32 v135, 0x7fffffff, v16
.LBB501_12:
	;; [unrolled: 22-line block ×7, first 2 shown]
	s_or_b32 exec_lo, exec_lo, s15
	v_add_nc_u32_e32 v16, 0x1e0, v15
	v_cmp_lt_u32_e64 s19, v16, v119
	s_and_saveexec_b32 s15, s19
	s_cbranch_execz .LBB501_34
; %bb.33:
	flat_load_dword v16, v[0:1] offset:1920
	s_waitcnt vmcnt(0) lgkmcnt(0)
	v_xor_b32_e32 v92, 0x7fffffff, v16
.LBB501_34:
	s_or_b32 exec_lo, exec_lo, s15
	v_add_nc_u32_e32 v15, 0x200, v15
	v_mov_b32_e32 v94, -1
	v_cmp_lt_u32_e64 s15, v15, v119
	s_and_saveexec_b32 s27, s15
	s_cbranch_execz .LBB501_36
; %bb.35:
	v_add_co_u32 v0, s24, 0x800, v0
	v_add_co_ci_u32_e64 v1, null, 0, v1, s24
	flat_load_dword v0, v[0:1]
	s_waitcnt vmcnt(0) lgkmcnt(0)
	v_xor_b32_e32 v94, 0x7fffffff, v0
.LBB501_36:
	s_or_b32 exec_lo, exec_lo, s27
	v_lshlrev_b64 v[0:1], 3, v[8:9]
	v_lshlrev_b32_e32 v8, 3, v64
                                        ; implicit-def: $vgpr68_vgpr69
	v_add_co_u32 v9, s24, v4, v0
	v_add_co_ci_u32_e64 v15, null, v5, v1, s24
	v_lshlrev_b64 v[4:5], 3, v[13:14]
	v_add_co_u32 v8, s24, v9, v8
	v_add_co_ci_u32_e64 v9, null, 0, v15, s24
	v_add_co_u32 v4, s24, v8, v4
	v_add_co_ci_u32_e64 v5, null, v9, v5, s24
	s_and_saveexec_b32 s24, vcc_lo
	s_cbranch_execnz .LBB501_204
; %bb.37:
	s_or_b32 exec_lo, exec_lo, s24
                                        ; implicit-def: $vgpr80_vgpr81
	s_and_saveexec_b32 s24, s4
	s_cbranch_execnz .LBB501_205
.LBB501_38:
	s_or_b32 exec_lo, exec_lo, s24
                                        ; implicit-def: $vgpr66_vgpr67
	s_and_saveexec_b32 s4, s5
	s_cbranch_execnz .LBB501_206
.LBB501_39:
	s_or_b32 exec_lo, exec_lo, s4
                                        ; implicit-def: $vgpr70_vgpr71
	s_and_saveexec_b32 s4, s6
	s_cbranch_execnz .LBB501_207
.LBB501_40:
	s_or_b32 exec_lo, exec_lo, s4
                                        ; implicit-def: $vgpr82_vgpr83
	s_and_saveexec_b32 s4, s7
	s_cbranch_execnz .LBB501_208
.LBB501_41:
	s_or_b32 exec_lo, exec_lo, s4
                                        ; implicit-def: $vgpr86_vgpr87
	s_and_saveexec_b32 s4, s10
	s_cbranch_execnz .LBB501_209
.LBB501_42:
	s_or_b32 exec_lo, exec_lo, s4
                                        ; implicit-def: $vgpr84_vgpr85
	s_and_saveexec_b32 s4, s11
	s_cbranch_execnz .LBB501_210
.LBB501_43:
	s_or_b32 exec_lo, exec_lo, s4
                                        ; implicit-def: $vgpr96_vgpr97
	s_and_saveexec_b32 s4, s14
	s_cbranch_execnz .LBB501_211
.LBB501_44:
	s_or_b32 exec_lo, exec_lo, s4
                                        ; implicit-def: $vgpr98_vgpr99
	s_and_saveexec_b32 s4, s20
	s_cbranch_execnz .LBB501_212
.LBB501_45:
	s_or_b32 exec_lo, exec_lo, s4
                                        ; implicit-def: $vgpr100_vgpr101
	s_and_saveexec_b32 s4, s16
	s_cbranch_execnz .LBB501_213
.LBB501_46:
	s_or_b32 exec_lo, exec_lo, s4
                                        ; implicit-def: $vgpr102_vgpr103
	s_and_saveexec_b32 s4, s21
	s_cbranch_execnz .LBB501_214
.LBB501_47:
	s_or_b32 exec_lo, exec_lo, s4
                                        ; implicit-def: $vgpr117_vgpr118
	s_and_saveexec_b32 s4, s17
	s_cbranch_execnz .LBB501_215
.LBB501_48:
	s_or_b32 exec_lo, exec_lo, s4
                                        ; implicit-def: $vgpr149_vgpr150
	s_and_saveexec_b32 s4, s22
	s_cbranch_execnz .LBB501_216
.LBB501_49:
	s_or_b32 exec_lo, exec_lo, s4
                                        ; implicit-def: $vgpr160_vgpr161
	s_and_saveexec_b32 s4, s18
	s_cbranch_execnz .LBB501_217
.LBB501_50:
	s_or_b32 exec_lo, exec_lo, s4
                                        ; implicit-def: $vgpr177_vgpr178
	s_and_saveexec_b32 s4, s23
	s_cbranch_execnz .LBB501_218
.LBB501_51:
	s_or_b32 exec_lo, exec_lo, s4
                                        ; implicit-def: $vgpr182_vgpr183
	s_and_saveexec_b32 s4, s19
	s_cbranch_execnz .LBB501_219
.LBB501_52:
	s_or_b32 exec_lo, exec_lo, s4
                                        ; implicit-def: $vgpr192_vgpr193
	s_and_saveexec_b32 s4, s15
	s_cbranch_execz .LBB501_54
.LBB501_53:
	v_add_co_u32 v4, vcc_lo, 0x1000, v4
	v_add_co_ci_u32_e64 v5, null, 0, v5, vcc_lo
	flat_load_dwordx2 v[192:193], v[4:5]
.LBB501_54:
	s_or_b32 exec_lo, exec_lo, s4
	v_lshl_add_u32 v4, v21, 5, v12
	v_and_b32_e32 v5, 0x3e0, v21
	v_and_b32_e32 v8, 15, v64
	s_getpc_b64 s[4:5]
	s_add_u32 s4, s4, _ZN7rocprim17ROCPRIM_400000_NS16block_radix_sortIiLj256ELj17ElLj1ELj1ELj8ELNS0_26block_radix_rank_algorithmE2ELNS0_18block_padding_hintE2ELNS0_4arch9wavefront6targetE0EE19radix_bits_per_passE@rel32@lo+4
	s_addc_u32 s5, s5, _ZN7rocprim17ROCPRIM_400000_NS16block_radix_sortIiLj256ELj17ElLj1ELj1ELj8ELNS0_26block_radix_rank_algorithmE2ELNS0_18block_padding_hintE2ELNS0_4arch9wavefront6targetE0EE19radix_bits_per_passE@rel32@hi+12
	v_and_b32_e32 v9, 16, v64
	v_add_nc_u32_e32 v49, 32, v4
	v_add_nc_u32_e32 v151, 36, v4
	;; [unrolled: 1-line block ×8, first 2 shown]
	v_min_u32_e32 v4, 0xe0, v5
	s_load_dword s22, s[4:5], 0x0
	v_cmp_eq_u32_e32 vcc_lo, 0, v8
	v_cmp_lt_u32_e64 s4, 1, v8
	v_cmp_lt_u32_e64 s5, 3, v8
	v_or_b32_e32 v4, 31, v4
	v_cmp_lt_u32_e64 s6, 7, v8
	v_sub_co_u32 v8, s7, v64, 1
	v_cmp_eq_u32_e64 s10, 0, v9
	v_cmp_eq_u32_e64 s11, v21, v4
	v_mul_u32_u24_e32 v4, 17, v5
	v_cmp_gt_i32_e64 s14, 0, v8
	v_lshrrev_b32_e32 v5, 3, v21
	v_and_b32_e32 v9, 7, v64
	v_lshrrev_b32_e32 v208, 5, v48
	v_or_b32_e32 v4, v64, v4
	v_cndmask_b32_e64 v8, v8, v64, s14
	v_and_b32_e32 v5, 0x7c, v5
	v_cmp_gt_u32_e64 s14, 8, v21
	v_cmp_lt_u32_e64 s15, 31, v21
	v_lshlrev_b32_e32 v4, 2, v4
	v_lshlrev_b32_e32 v210, 2, v8
	;; [unrolled: 1-line block ×3, first 2 shown]
	v_cmp_eq_u32_e64 s16, 0, v21
	v_add_nc_u32_e32 v211, v12, v5
	v_add_nc_u32_e32 v212, v12, v4
	v_mov_b32_e32 v5, 0
	v_add_co_u32 v209, null, v12, v8
	v_cmp_eq_u32_e64 s17, 0, v9
	v_add_nc_u32_e32 v227, v212, v4
	v_cmp_lt_u32_e64 s18, 1, v9
	v_cmp_lt_u32_e64 s19, 3, v9
	v_add_nc_u32_e32 v213, 0x380, v212
	v_add_nc_u32_e32 v214, 0x400, v212
	;; [unrolled: 1-line block ×26, first 2 shown]
	v_sub_nc_u32_e32 v56, v11, v10
	s_mov_b32 s23, 0
	s_waitcnt vmcnt(0) lgkmcnt(0)
	s_waitcnt_vscnt null, 0x0
	s_barrier
	buffer_gl0_inv
	s_branch .LBB501_56
.LBB501_55:                             ;   in Loop: Header=BB501_56 Depth=1
	s_or_b32 exec_lo, exec_lo, s21
	s_and_b32 s20, exec_lo, s24
	s_or_b32 s23, s20, s23
	s_andn2_b32 exec_lo, exec_lo, s23
	s_cbranch_execz .LBB501_98
.LBB501_56:                             ; =>This Inner Loop Header: Depth=1
	v_min_u32_e32 v4, s22, v56
	v_mov_b32_e32 v57, v115
	v_mov_b32_e32 v30, v70
	;; [unrolled: 1-line block ×4, first 2 shown]
	v_lshlrev_b32_e64 v4, v4, -1
	v_mov_b32_e32 v33, v67
	v_mov_b32_e32 v13, v68
	;; [unrolled: 1-line block ×4, first 2 shown]
	v_not_b32_e32 v70, v4
	v_lshrrev_b32_e32 v4, v10, v57
	v_mov_b32_e32 v28, v82
	v_mov_b32_e32 v26, v86
	;; [unrolled: 1-line block ×4, first 2 shown]
	v_and_b32_e32 v4, v4, v70
	v_mov_b32_e32 v34, v98
	v_mov_b32_e32 v54, v100
	;; [unrolled: 1-line block ×4, first 2 shown]
	v_and_b32_e32 v66, 1, v4
	v_lshlrev_b32_e32 v68, 30, v4
	v_lshlrev_b32_e32 v69, 29, v4
	;; [unrolled: 1-line block ×3, first 2 shown]
	v_mov_b32_e32 v24, v149
	v_add_co_u32 v66, s20, v66, -1
	v_cndmask_b32_e64 v67, 0, 1, s20
	v_mov_b32_e32 v22, v160
	v_mov_b32_e32 v19, v177
	;; [unrolled: 1-line block ×4, first 2 shown]
	v_cmp_ne_u32_e64 s20, 0, v67
	v_not_b32_e32 v67, v68
	v_mov_b32_e32 v9, v81
	v_mov_b32_e32 v29, v83
	;; [unrolled: 1-line block ×3, first 2 shown]
	v_xor_b32_e32 v66, s20, v66
	v_cmp_gt_i32_e64 s20, 0, v68
	v_ashrrev_i32_e32 v67, 31, v67
	v_not_b32_e32 v68, v69
	v_mov_b32_e32 v65, v85
	v_and_b32_e32 v66, exec_lo, v66
	v_mov_b32_e32 v39, v97
	v_xor_b32_e32 v67, s20, v67
	v_cmp_gt_i32_e64 s20, 0, v69
	v_ashrrev_i32_e32 v68, 31, v68
	v_not_b32_e32 v69, v71
	v_mov_b32_e32 v35, v99
	v_and_b32_e32 v66, v66, v67
	v_lshlrev_b32_e32 v67, 27, v4
	v_xor_b32_e32 v68, s20, v68
	v_cmp_gt_i32_e64 s20, 0, v71
	v_ashrrev_i32_e32 v69, 31, v69
	v_mov_b32_e32 v55, v101
	v_not_b32_e32 v71, v67
	v_and_b32_e32 v66, v66, v68
	v_lshlrev_b32_e32 v68, 26, v4
	v_xor_b32_e32 v69, s20, v69
	v_cmp_gt_i32_e64 s20, 0, v67
	v_ashrrev_i32_e32 v67, 31, v71
	v_mov_b32_e32 v53, v103
	v_not_b32_e32 v71, v68
	;; [unrolled: 7-line block ×3, first 2 shown]
	v_and_b32_e32 v66, v66, v67
	v_lshlrev_b32_e32 v67, 24, v4
	v_xor_b32_e32 v68, s20, v68
	v_cmp_gt_i32_e64 s20, 0, v69
	v_ashrrev_i32_e32 v69, 31, v71
	v_lshl_add_u32 v4, v4, 3, v208
	v_not_b32_e32 v71, v67
	v_and_b32_e32 v66, v66, v68
	v_mov_b32_e32 v25, v150
	v_xor_b32_e32 v68, s20, v69
	v_cmp_gt_i32_e64 s20, 0, v67
	v_ashrrev_i32_e32 v67, 31, v71
	v_mov_b32_e32 v23, v161
	v_mov_b32_e32 v20, v178
	v_and_b32_e32 v66, v66, v68
	v_lshlrev_b64 v[68:69], 2, v[4:5]
	v_xor_b32_e32 v67, s20, v67
	v_mov_b32_e32 v18, v183
	v_mov_b32_e32 v16, v193
	;; [unrolled: 1-line block ×4, first 2 shown]
	v_and_b32_e32 v67, v66, v67
	v_add_co_u32 v66, null, v12, v68
	v_mov_b32_e32 v58, v129
	v_mov_b32_e32 v61, v135
	v_mbcnt_lo_u32_b32 v4, v67, 0
	v_cmp_ne_u32_e64 s21, 0, v67
	v_mov_b32_e32 v63, v133
	v_mov_b32_e32 v62, v147
	;; [unrolled: 1-line block ×3, first 2 shown]
	v_cmp_eq_u32_e64 s20, 0, v4
	v_mov_b32_e32 v73, v165
	v_mov_b32_e32 v74, v163
	;; [unrolled: 1-line block ×9, first 2 shown]
	v_add_co_u32 v66, null, v66, 32
	s_and_b32 s21, s21, s20
	ds_write_b32 v49, v5
	ds_write_b32 v151, v5
	;; [unrolled: 1-line block ×8, first 2 shown]
	s_waitcnt lgkmcnt(0)
	s_barrier
	buffer_gl0_inv
	; wave barrier
	s_and_saveexec_b32 s20, s21
; %bb.57:                               ;   in Loop: Header=BB501_56 Depth=1
	v_bcnt_u32_b32 v67, v67, 0
	ds_write_b32 v66, v67
; %bb.58:                               ;   in Loop: Header=BB501_56 Depth=1
	s_or_b32 exec_lo, exec_lo, s20
	v_lshrrev_b32_e32 v67, v10, v60
	; wave barrier
	v_and_b32_e32 v67, v67, v70
	v_and_b32_e32 v68, 1, v67
	v_lshlrev_b32_e32 v69, 30, v67
	v_lshlrev_b32_e32 v71, 29, v67
	;; [unrolled: 1-line block ×4, first 2 shown]
	v_add_co_u32 v68, s20, v68, -1
	v_cndmask_b32_e64 v81, 0, 1, s20
	v_not_b32_e32 v85, v69
	v_cmp_gt_i32_e64 s21, 0, v69
	v_not_b32_e32 v69, v71
	v_lshlrev_b32_e32 v83, 26, v67
	v_cmp_ne_u32_e64 s20, 0, v81
	v_ashrrev_i32_e32 v85, 31, v85
	v_lshlrev_b32_e32 v84, 25, v67
	v_ashrrev_i32_e32 v69, 31, v69
	v_lshlrev_b32_e32 v81, 24, v67
	v_xor_b32_e32 v68, s20, v68
	v_cmp_gt_i32_e64 s20, 0, v71
	v_not_b32_e32 v71, v80
	v_xor_b32_e32 v85, s21, v85
	v_cmp_gt_i32_e64 s21, 0, v80
	v_and_b32_e32 v68, exec_lo, v68
	v_not_b32_e32 v80, v82
	v_ashrrev_i32_e32 v71, 31, v71
	v_xor_b32_e32 v69, s20, v69
	v_cmp_gt_i32_e64 s20, 0, v82
	v_and_b32_e32 v68, v68, v85
	v_not_b32_e32 v82, v83
	v_ashrrev_i32_e32 v80, 31, v80
	v_xor_b32_e32 v71, s21, v71
	v_cmp_gt_i32_e64 s21, 0, v83
	v_and_b32_e32 v68, v68, v69
	;; [unrolled: 5-line block ×3, first 2 shown]
	v_not_b32_e32 v71, v81
	v_ashrrev_i32_e32 v69, 31, v69
	v_xor_b32_e32 v82, s21, v82
	v_lshl_add_u32 v67, v67, 3, v208
	v_and_b32_e32 v68, v68, v80
	v_cmp_gt_i32_e64 s21, 0, v81
	v_ashrrev_i32_e32 v71, 31, v71
	v_xor_b32_e32 v69, s20, v69
	v_lshl_add_u32 v80, v67, 2, v12
	v_and_b32_e32 v68, v68, v82
	v_xor_b32_e32 v71, s21, v71
	ds_read_b32 v67, v80 offset:32
	v_and_b32_e32 v68, v68, v69
	v_add_nc_u32_e32 v69, 32, v80
	; wave barrier
	v_and_b32_e32 v71, v68, v71
	v_mbcnt_lo_u32_b32 v68, v71, 0
	v_cmp_ne_u32_e64 s21, 0, v71
	v_cmp_eq_u32_e64 s20, 0, v68
	s_and_b32 s21, s21, s20
	s_and_saveexec_b32 s20, s21
	s_cbranch_execz .LBB501_60
; %bb.59:                               ;   in Loop: Header=BB501_56 Depth=1
	s_waitcnt lgkmcnt(0)
	v_bcnt_u32_b32 v71, v71, v67
	ds_write_b32 v69, v71
.LBB501_60:                             ;   in Loop: Header=BB501_56 Depth=1
	s_or_b32 exec_lo, exec_lo, s20
	v_lshrrev_b32_e32 v71, v10, v59
	; wave barrier
	v_and_b32_e32 v71, v71, v70
	v_and_b32_e32 v80, 1, v71
	v_lshlrev_b32_e32 v81, 30, v71
	v_lshlrev_b32_e32 v82, 29, v71
	;; [unrolled: 1-line block ×4, first 2 shown]
	v_add_co_u32 v80, s20, v80, -1
	v_cndmask_b32_e64 v84, 0, 1, s20
	v_not_b32_e32 v96, v81
	v_cmp_gt_i32_e64 s21, 0, v81
	v_not_b32_e32 v81, v82
	v_lshlrev_b32_e32 v86, 26, v71
	v_cmp_ne_u32_e64 s20, 0, v84
	v_ashrrev_i32_e32 v96, 31, v96
	v_lshlrev_b32_e32 v87, 25, v71
	v_ashrrev_i32_e32 v81, 31, v81
	v_lshlrev_b32_e32 v84, 24, v71
	v_xor_b32_e32 v80, s20, v80
	v_cmp_gt_i32_e64 s20, 0, v82
	v_not_b32_e32 v82, v83
	v_xor_b32_e32 v96, s21, v96
	v_cmp_gt_i32_e64 s21, 0, v83
	v_and_b32_e32 v80, exec_lo, v80
	v_not_b32_e32 v83, v85
	v_ashrrev_i32_e32 v82, 31, v82
	v_xor_b32_e32 v81, s20, v81
	v_cmp_gt_i32_e64 s20, 0, v85
	v_and_b32_e32 v80, v80, v96
	v_not_b32_e32 v85, v86
	v_ashrrev_i32_e32 v83, 31, v83
	v_xor_b32_e32 v82, s21, v82
	v_cmp_gt_i32_e64 s21, 0, v86
	v_and_b32_e32 v80, v80, v81
	;; [unrolled: 5-line block ×3, first 2 shown]
	v_not_b32_e32 v82, v84
	v_ashrrev_i32_e32 v81, 31, v81
	v_xor_b32_e32 v85, s21, v85
	v_lshl_add_u32 v71, v71, 3, v208
	v_and_b32_e32 v80, v80, v83
	v_cmp_gt_i32_e64 s21, 0, v84
	v_ashrrev_i32_e32 v82, 31, v82
	v_xor_b32_e32 v81, s20, v81
	v_lshl_add_u32 v83, v71, 2, v12
	v_and_b32_e32 v80, v80, v85
	v_xor_b32_e32 v82, s21, v82
	ds_read_b32 v71, v83 offset:32
	v_and_b32_e32 v80, v80, v81
	v_add_nc_u32_e32 v81, 32, v83
	; wave barrier
	v_and_b32_e32 v82, v80, v82
	v_mbcnt_lo_u32_b32 v80, v82, 0
	v_cmp_ne_u32_e64 s21, 0, v82
	v_cmp_eq_u32_e64 s20, 0, v80
	s_and_b32 s21, s21, s20
	s_and_saveexec_b32 s20, s21
	s_cbranch_execz .LBB501_62
; %bb.61:                               ;   in Loop: Header=BB501_56 Depth=1
	s_waitcnt lgkmcnt(0)
	v_bcnt_u32_b32 v82, v82, v71
	ds_write_b32 v81, v82
.LBB501_62:                             ;   in Loop: Header=BB501_56 Depth=1
	s_or_b32 exec_lo, exec_lo, s20
	v_lshrrev_b32_e32 v82, v10, v58
	; wave barrier
	v_and_b32_e32 v82, v82, v70
	v_and_b32_e32 v83, 1, v82
	v_lshlrev_b32_e32 v84, 30, v82
	v_lshlrev_b32_e32 v85, 29, v82
	;; [unrolled: 1-line block ×4, first 2 shown]
	v_add_co_u32 v83, s20, v83, -1
	v_cndmask_b32_e64 v87, 0, 1, s20
	v_not_b32_e32 v99, v84
	v_cmp_gt_i32_e64 s21, 0, v84
	v_not_b32_e32 v84, v85
	v_lshlrev_b32_e32 v97, 26, v82
	v_cmp_ne_u32_e64 s20, 0, v87
	v_ashrrev_i32_e32 v99, 31, v99
	v_lshlrev_b32_e32 v98, 25, v82
	v_ashrrev_i32_e32 v84, 31, v84
	v_lshlrev_b32_e32 v87, 24, v82
	v_xor_b32_e32 v83, s20, v83
	v_cmp_gt_i32_e64 s20, 0, v85
	v_not_b32_e32 v85, v86
	v_xor_b32_e32 v99, s21, v99
	v_cmp_gt_i32_e64 s21, 0, v86
	v_and_b32_e32 v83, exec_lo, v83
	v_not_b32_e32 v86, v96
	v_ashrrev_i32_e32 v85, 31, v85
	v_xor_b32_e32 v84, s20, v84
	v_cmp_gt_i32_e64 s20, 0, v96
	v_and_b32_e32 v83, v83, v99
	v_not_b32_e32 v96, v97
	v_ashrrev_i32_e32 v86, 31, v86
	v_xor_b32_e32 v85, s21, v85
	v_cmp_gt_i32_e64 s21, 0, v97
	v_and_b32_e32 v83, v83, v84
	;; [unrolled: 5-line block ×3, first 2 shown]
	v_not_b32_e32 v85, v87
	v_ashrrev_i32_e32 v84, 31, v84
	v_xor_b32_e32 v96, s21, v96
	v_lshl_add_u32 v82, v82, 3, v208
	v_and_b32_e32 v83, v83, v86
	v_cmp_gt_i32_e64 s21, 0, v87
	v_ashrrev_i32_e32 v85, 31, v85
	v_xor_b32_e32 v84, s20, v84
	v_lshl_add_u32 v86, v82, 2, v12
	v_and_b32_e32 v83, v83, v96
	v_xor_b32_e32 v85, s21, v85
	ds_read_b32 v82, v86 offset:32
	v_and_b32_e32 v83, v83, v84
	v_add_nc_u32_e32 v84, 32, v86
	; wave barrier
	v_and_b32_e32 v85, v83, v85
	v_mbcnt_lo_u32_b32 v83, v85, 0
	v_cmp_ne_u32_e64 s21, 0, v85
	v_cmp_eq_u32_e64 s20, 0, v83
	s_and_b32 s21, s21, s20
	s_and_saveexec_b32 s20, s21
	s_cbranch_execz .LBB501_64
; %bb.63:                               ;   in Loop: Header=BB501_56 Depth=1
	s_waitcnt lgkmcnt(0)
	v_bcnt_u32_b32 v85, v85, v82
	ds_write_b32 v84, v85
.LBB501_64:                             ;   in Loop: Header=BB501_56 Depth=1
	s_or_b32 exec_lo, exec_lo, s20
	v_lshrrev_b32_e32 v85, v10, v61
	; wave barrier
	v_and_b32_e32 v85, v85, v70
	v_and_b32_e32 v86, 1, v85
	v_lshlrev_b32_e32 v87, 30, v85
	v_lshlrev_b32_e32 v96, 29, v85
	;; [unrolled: 1-line block ×4, first 2 shown]
	v_add_co_u32 v86, s20, v86, -1
	v_cndmask_b32_e64 v98, 0, 1, s20
	v_not_b32_e32 v102, v87
	v_cmp_gt_i32_e64 s21, 0, v87
	v_not_b32_e32 v87, v96
	v_lshlrev_b32_e32 v100, 26, v85
	v_cmp_ne_u32_e64 s20, 0, v98
	v_ashrrev_i32_e32 v102, 31, v102
	v_lshlrev_b32_e32 v101, 25, v85
	v_ashrrev_i32_e32 v87, 31, v87
	v_lshlrev_b32_e32 v98, 24, v85
	v_xor_b32_e32 v86, s20, v86
	v_cmp_gt_i32_e64 s20, 0, v96
	v_not_b32_e32 v96, v97
	v_xor_b32_e32 v102, s21, v102
	v_cmp_gt_i32_e64 s21, 0, v97
	v_and_b32_e32 v86, exec_lo, v86
	v_not_b32_e32 v97, v99
	v_ashrrev_i32_e32 v96, 31, v96
	v_xor_b32_e32 v87, s20, v87
	v_cmp_gt_i32_e64 s20, 0, v99
	v_and_b32_e32 v86, v86, v102
	v_not_b32_e32 v99, v100
	v_ashrrev_i32_e32 v97, 31, v97
	v_xor_b32_e32 v96, s21, v96
	v_cmp_gt_i32_e64 s21, 0, v100
	v_and_b32_e32 v86, v86, v87
	;; [unrolled: 5-line block ×3, first 2 shown]
	v_not_b32_e32 v96, v98
	v_ashrrev_i32_e32 v87, 31, v87
	v_xor_b32_e32 v99, s21, v99
	v_lshl_add_u32 v85, v85, 3, v208
	v_and_b32_e32 v86, v86, v97
	v_cmp_gt_i32_e64 s21, 0, v98
	v_ashrrev_i32_e32 v96, 31, v96
	v_xor_b32_e32 v87, s20, v87
	v_lshl_add_u32 v97, v85, 2, v12
	v_and_b32_e32 v86, v86, v99
	v_xor_b32_e32 v96, s21, v96
	ds_read_b32 v85, v97 offset:32
	v_and_b32_e32 v86, v86, v87
	v_add_nc_u32_e32 v87, 32, v97
	; wave barrier
	v_and_b32_e32 v96, v86, v96
	v_mbcnt_lo_u32_b32 v86, v96, 0
	v_cmp_ne_u32_e64 s21, 0, v96
	v_cmp_eq_u32_e64 s20, 0, v86
	s_and_b32 s21, s21, s20
	s_and_saveexec_b32 s20, s21
	s_cbranch_execz .LBB501_66
; %bb.65:                               ;   in Loop: Header=BB501_56 Depth=1
	s_waitcnt lgkmcnt(0)
	v_bcnt_u32_b32 v96, v96, v85
	ds_write_b32 v87, v96
.LBB501_66:                             ;   in Loop: Header=BB501_56 Depth=1
	s_or_b32 exec_lo, exec_lo, s20
	v_lshrrev_b32_e32 v96, v10, v63
	; wave barrier
	v_and_b32_e32 v96, v96, v70
	v_and_b32_e32 v97, 1, v96
	v_lshlrev_b32_e32 v98, 30, v96
	v_lshlrev_b32_e32 v99, 29, v96
	;; [unrolled: 1-line block ×4, first 2 shown]
	v_add_co_u32 v97, s20, v97, -1
	v_cndmask_b32_e64 v101, 0, 1, s20
	v_not_b32_e32 v113, v98
	v_cmp_gt_i32_e64 s21, 0, v98
	v_not_b32_e32 v98, v99
	v_lshlrev_b32_e32 v103, 26, v96
	v_cmp_ne_u32_e64 s20, 0, v101
	v_ashrrev_i32_e32 v113, 31, v113
	v_lshlrev_b32_e32 v112, 25, v96
	v_ashrrev_i32_e32 v98, 31, v98
	v_lshlrev_b32_e32 v101, 24, v96
	v_xor_b32_e32 v97, s20, v97
	v_cmp_gt_i32_e64 s20, 0, v99
	v_not_b32_e32 v99, v100
	v_xor_b32_e32 v113, s21, v113
	v_cmp_gt_i32_e64 s21, 0, v100
	v_and_b32_e32 v97, exec_lo, v97
	v_not_b32_e32 v100, v102
	v_ashrrev_i32_e32 v99, 31, v99
	v_xor_b32_e32 v98, s20, v98
	v_cmp_gt_i32_e64 s20, 0, v102
	v_and_b32_e32 v97, v97, v113
	v_not_b32_e32 v102, v103
	v_ashrrev_i32_e32 v100, 31, v100
	v_xor_b32_e32 v99, s21, v99
	v_cmp_gt_i32_e64 s21, 0, v103
	v_and_b32_e32 v97, v97, v98
	;; [unrolled: 5-line block ×3, first 2 shown]
	v_not_b32_e32 v99, v101
	v_ashrrev_i32_e32 v98, 31, v98
	v_xor_b32_e32 v102, s21, v102
	v_lshl_add_u32 v96, v96, 3, v208
	v_and_b32_e32 v97, v97, v100
	v_cmp_gt_i32_e64 s21, 0, v101
	v_ashrrev_i32_e32 v99, 31, v99
	v_xor_b32_e32 v98, s20, v98
	v_lshl_add_u32 v100, v96, 2, v12
	v_and_b32_e32 v97, v97, v102
	v_xor_b32_e32 v99, s21, v99
	ds_read_b32 v96, v100 offset:32
	v_and_b32_e32 v97, v97, v98
	v_add_nc_u32_e32 v98, 32, v100
	; wave barrier
	v_and_b32_e32 v99, v97, v99
	v_mbcnt_lo_u32_b32 v97, v99, 0
	v_cmp_ne_u32_e64 s21, 0, v99
	v_cmp_eq_u32_e64 s20, 0, v97
	s_and_b32 s21, s21, s20
	s_and_saveexec_b32 s20, s21
	s_cbranch_execz .LBB501_68
; %bb.67:                               ;   in Loop: Header=BB501_56 Depth=1
	s_waitcnt lgkmcnt(0)
	v_bcnt_u32_b32 v99, v99, v96
	ds_write_b32 v98, v99
.LBB501_68:                             ;   in Loop: Header=BB501_56 Depth=1
	s_or_b32 exec_lo, exec_lo, s20
	v_lshrrev_b32_e32 v99, v10, v62
	; wave barrier
	v_and_b32_e32 v99, v99, v70
	v_and_b32_e32 v100, 1, v99
	v_lshlrev_b32_e32 v101, 30, v99
	v_lshlrev_b32_e32 v102, 29, v99
	;; [unrolled: 1-line block ×4, first 2 shown]
	v_add_co_u32 v100, s20, v100, -1
	v_cndmask_b32_e64 v112, 0, 1, s20
	v_not_b32_e32 v116, v101
	v_cmp_gt_i32_e64 s21, 0, v101
	v_not_b32_e32 v101, v102
	v_lshlrev_b32_e32 v114, 26, v99
	v_cmp_ne_u32_e64 s20, 0, v112
	v_ashrrev_i32_e32 v116, 31, v116
	v_lshlrev_b32_e32 v115, 25, v99
	v_ashrrev_i32_e32 v101, 31, v101
	v_lshlrev_b32_e32 v112, 24, v99
	v_xor_b32_e32 v100, s20, v100
	v_cmp_gt_i32_e64 s20, 0, v102
	v_not_b32_e32 v102, v103
	v_xor_b32_e32 v116, s21, v116
	v_cmp_gt_i32_e64 s21, 0, v103
	v_and_b32_e32 v100, exec_lo, v100
	v_not_b32_e32 v103, v113
	v_ashrrev_i32_e32 v102, 31, v102
	v_xor_b32_e32 v101, s20, v101
	v_cmp_gt_i32_e64 s20, 0, v113
	v_and_b32_e32 v100, v100, v116
	v_not_b32_e32 v113, v114
	v_ashrrev_i32_e32 v103, 31, v103
	v_xor_b32_e32 v102, s21, v102
	v_cmp_gt_i32_e64 s21, 0, v114
	v_and_b32_e32 v100, v100, v101
	;; [unrolled: 5-line block ×3, first 2 shown]
	v_not_b32_e32 v102, v112
	v_ashrrev_i32_e32 v101, 31, v101
	v_xor_b32_e32 v113, s21, v113
	v_lshl_add_u32 v99, v99, 3, v208
	v_and_b32_e32 v100, v100, v103
	v_cmp_gt_i32_e64 s21, 0, v112
	v_ashrrev_i32_e32 v102, 31, v102
	v_xor_b32_e32 v101, s20, v101
	v_lshl_add_u32 v103, v99, 2, v12
	v_and_b32_e32 v100, v100, v113
	v_xor_b32_e32 v102, s21, v102
	ds_read_b32 v99, v103 offset:32
	v_and_b32_e32 v100, v100, v101
	v_add_nc_u32_e32 v101, 32, v103
	; wave barrier
	v_and_b32_e32 v102, v100, v102
	v_mbcnt_lo_u32_b32 v100, v102, 0
	v_cmp_ne_u32_e64 s21, 0, v102
	v_cmp_eq_u32_e64 s20, 0, v100
	s_and_b32 s21, s21, s20
	s_and_saveexec_b32 s20, s21
	s_cbranch_execz .LBB501_70
; %bb.69:                               ;   in Loop: Header=BB501_56 Depth=1
	s_waitcnt lgkmcnt(0)
	v_bcnt_u32_b32 v102, v102, v99
	ds_write_b32 v101, v102
.LBB501_70:                             ;   in Loop: Header=BB501_56 Depth=1
	s_or_b32 exec_lo, exec_lo, s20
	v_lshrrev_b32_e32 v102, v10, v72
	; wave barrier
	v_and_b32_e32 v102, v102, v70
	v_and_b32_e32 v103, 1, v102
	v_lshlrev_b32_e32 v112, 30, v102
	v_lshlrev_b32_e32 v113, 29, v102
	;; [unrolled: 1-line block ×4, first 2 shown]
	v_add_co_u32 v103, s20, v103, -1
	v_cndmask_b32_e64 v115, 0, 1, s20
	v_not_b32_e32 v128, v112
	v_cmp_gt_i32_e64 s21, 0, v112
	v_not_b32_e32 v112, v113
	v_lshlrev_b32_e32 v117, 26, v102
	v_cmp_ne_u32_e64 s20, 0, v115
	v_ashrrev_i32_e32 v128, 31, v128
	v_lshlrev_b32_e32 v118, 25, v102
	v_ashrrev_i32_e32 v112, 31, v112
	v_lshlrev_b32_e32 v115, 24, v102
	v_xor_b32_e32 v103, s20, v103
	v_cmp_gt_i32_e64 s20, 0, v113
	v_not_b32_e32 v113, v114
	v_xor_b32_e32 v128, s21, v128
	v_cmp_gt_i32_e64 s21, 0, v114
	v_and_b32_e32 v103, exec_lo, v103
	v_not_b32_e32 v114, v116
	v_ashrrev_i32_e32 v113, 31, v113
	v_xor_b32_e32 v112, s20, v112
	v_cmp_gt_i32_e64 s20, 0, v116
	v_and_b32_e32 v103, v103, v128
	v_not_b32_e32 v116, v117
	v_ashrrev_i32_e32 v114, 31, v114
	v_xor_b32_e32 v113, s21, v113
	v_cmp_gt_i32_e64 s21, 0, v117
	v_and_b32_e32 v103, v103, v112
	;; [unrolled: 5-line block ×3, first 2 shown]
	v_not_b32_e32 v113, v115
	v_ashrrev_i32_e32 v112, 31, v112
	v_xor_b32_e32 v116, s21, v116
	v_lshl_add_u32 v102, v102, 3, v208
	v_and_b32_e32 v103, v103, v114
	v_cmp_gt_i32_e64 s21, 0, v115
	v_ashrrev_i32_e32 v113, 31, v113
	v_xor_b32_e32 v112, s20, v112
	v_lshl_add_u32 v114, v102, 2, v12
	v_and_b32_e32 v103, v103, v116
	v_xor_b32_e32 v113, s21, v113
	ds_read_b32 v102, v114 offset:32
	v_and_b32_e32 v103, v103, v112
	v_add_nc_u32_e32 v112, 32, v114
	; wave barrier
	v_and_b32_e32 v113, v103, v113
	v_mbcnt_lo_u32_b32 v103, v113, 0
	v_cmp_ne_u32_e64 s21, 0, v113
	v_cmp_eq_u32_e64 s20, 0, v103
	s_and_b32 s21, s21, s20
	s_and_saveexec_b32 s20, s21
	s_cbranch_execz .LBB501_72
; %bb.71:                               ;   in Loop: Header=BB501_56 Depth=1
	s_waitcnt lgkmcnt(0)
	v_bcnt_u32_b32 v113, v113, v102
	ds_write_b32 v112, v113
.LBB501_72:                             ;   in Loop: Header=BB501_56 Depth=1
	s_or_b32 exec_lo, exec_lo, s20
	v_lshrrev_b32_e32 v113, v10, v73
	; wave barrier
	v_and_b32_e32 v113, v113, v70
	v_and_b32_e32 v114, 1, v113
	v_lshlrev_b32_e32 v115, 30, v113
	v_lshlrev_b32_e32 v116, 29, v113
	;; [unrolled: 1-line block ×4, first 2 shown]
	v_add_co_u32 v114, s20, v114, -1
	v_cndmask_b32_e64 v118, 0, 1, s20
	v_not_b32_e32 v131, v115
	v_cmp_gt_i32_e64 s21, 0, v115
	v_not_b32_e32 v115, v116
	v_lshlrev_b32_e32 v129, 26, v113
	v_cmp_ne_u32_e64 s20, 0, v118
	v_ashrrev_i32_e32 v131, 31, v131
	v_lshlrev_b32_e32 v130, 25, v113
	v_ashrrev_i32_e32 v115, 31, v115
	v_lshlrev_b32_e32 v118, 24, v113
	v_xor_b32_e32 v114, s20, v114
	v_cmp_gt_i32_e64 s20, 0, v116
	v_not_b32_e32 v116, v117
	v_xor_b32_e32 v131, s21, v131
	v_cmp_gt_i32_e64 s21, 0, v117
	v_and_b32_e32 v114, exec_lo, v114
	v_not_b32_e32 v117, v128
	v_ashrrev_i32_e32 v116, 31, v116
	v_xor_b32_e32 v115, s20, v115
	v_cmp_gt_i32_e64 s20, 0, v128
	v_and_b32_e32 v114, v114, v131
	v_not_b32_e32 v128, v129
	v_ashrrev_i32_e32 v117, 31, v117
	v_xor_b32_e32 v116, s21, v116
	v_cmp_gt_i32_e64 s21, 0, v129
	v_and_b32_e32 v114, v114, v115
	;; [unrolled: 5-line block ×3, first 2 shown]
	v_not_b32_e32 v116, v118
	v_ashrrev_i32_e32 v115, 31, v115
	v_xor_b32_e32 v128, s21, v128
	v_lshl_add_u32 v113, v113, 3, v208
	v_and_b32_e32 v114, v114, v117
	v_cmp_gt_i32_e64 s21, 0, v118
	v_ashrrev_i32_e32 v116, 31, v116
	v_xor_b32_e32 v115, s20, v115
	v_lshl_add_u32 v117, v113, 2, v12
	v_and_b32_e32 v114, v114, v128
	v_xor_b32_e32 v113, s21, v116
	ds_read_b32 v118, v117 offset:32
	v_and_b32_e32 v114, v114, v115
	; wave barrier
	v_and_b32_e32 v113, v114, v113
	v_add_nc_u32_e32 v114, 32, v117
	v_mbcnt_lo_u32_b32 v134, v113, 0
	v_cmp_ne_u32_e64 s21, 0, v113
	v_cmp_eq_u32_e64 s20, 0, v134
	s_and_b32 s21, s21, s20
	s_and_saveexec_b32 s20, s21
	s_cbranch_execz .LBB501_74
; %bb.73:                               ;   in Loop: Header=BB501_56 Depth=1
	s_waitcnt lgkmcnt(0)
	v_bcnt_u32_b32 v113, v113, v118
	ds_write_b32 v114, v113
.LBB501_74:                             ;   in Loop: Header=BB501_56 Depth=1
	s_or_b32 exec_lo, exec_lo, s20
	v_lshrrev_b32_e32 v113, v10, v74
	; wave barrier
	v_and_b32_e32 v113, v113, v70
	v_and_b32_e32 v115, 1, v113
	v_lshlrev_b32_e32 v116, 30, v113
	v_lshlrev_b32_e32 v117, 29, v113
	v_lshlrev_b32_e32 v128, 28, v113
	v_lshlrev_b32_e32 v130, 27, v113
	v_add_co_u32 v115, s20, v115, -1
	v_cndmask_b32_e64 v129, 0, 1, s20
	v_not_b32_e32 v133, v116
	v_cmp_gt_i32_e64 s21, 0, v116
	v_not_b32_e32 v116, v117
	v_lshlrev_b32_e32 v131, 26, v113
	v_cmp_ne_u32_e64 s20, 0, v129
	v_ashrrev_i32_e32 v133, 31, v133
	v_lshlrev_b32_e32 v132, 25, v113
	v_ashrrev_i32_e32 v116, 31, v116
	v_lshlrev_b32_e32 v129, 24, v113
	v_xor_b32_e32 v115, s20, v115
	v_cmp_gt_i32_e64 s20, 0, v117
	v_not_b32_e32 v117, v128
	v_xor_b32_e32 v133, s21, v133
	v_cmp_gt_i32_e64 s21, 0, v128
	v_and_b32_e32 v115, exec_lo, v115
	v_not_b32_e32 v128, v130
	v_ashrrev_i32_e32 v117, 31, v117
	v_xor_b32_e32 v116, s20, v116
	v_cmp_gt_i32_e64 s20, 0, v130
	v_and_b32_e32 v115, v115, v133
	v_not_b32_e32 v130, v131
	v_ashrrev_i32_e32 v128, 31, v128
	v_xor_b32_e32 v117, s21, v117
	v_cmp_gt_i32_e64 s21, 0, v131
	v_and_b32_e32 v115, v115, v116
	;; [unrolled: 5-line block ×3, first 2 shown]
	v_not_b32_e32 v117, v129
	v_ashrrev_i32_e32 v116, 31, v116
	v_xor_b32_e32 v130, s21, v130
	v_lshl_add_u32 v113, v113, 3, v208
	v_and_b32_e32 v115, v115, v128
	v_cmp_gt_i32_e64 s21, 0, v129
	v_ashrrev_i32_e32 v117, 31, v117
	v_xor_b32_e32 v116, s20, v116
	v_lshl_add_u32 v128, v113, 2, v12
	v_and_b32_e32 v115, v115, v130
	v_xor_b32_e32 v113, s21, v117
	ds_read_b32 v146, v128 offset:32
	v_and_b32_e32 v115, v115, v116
	v_add_nc_u32_e32 v116, 32, v128
	; wave barrier
	v_and_b32_e32 v113, v115, v113
	v_mbcnt_lo_u32_b32 v148, v113, 0
	v_cmp_ne_u32_e64 s21, 0, v113
	v_cmp_eq_u32_e64 s20, 0, v148
	s_and_b32 s21, s21, s20
	s_and_saveexec_b32 s20, s21
	s_cbranch_execz .LBB501_76
; %bb.75:                               ;   in Loop: Header=BB501_56 Depth=1
	s_waitcnt lgkmcnt(0)
	v_bcnt_u32_b32 v113, v113, v146
	ds_write_b32 v116, v113
.LBB501_76:                             ;   in Loop: Header=BB501_56 Depth=1
	s_or_b32 exec_lo, exec_lo, s20
	v_lshrrev_b32_e32 v113, v10, v75
	; wave barrier
	v_and_b32_e32 v113, v113, v70
	v_and_b32_e32 v115, 1, v113
	v_lshlrev_b32_e32 v117, 30, v113
	v_lshlrev_b32_e32 v128, 29, v113
	;; [unrolled: 1-line block ×4, first 2 shown]
	v_add_co_u32 v115, s20, v115, -1
	v_cndmask_b32_e64 v130, 0, 1, s20
	v_not_b32_e32 v135, v117
	v_cmp_gt_i32_e64 s21, 0, v117
	v_not_b32_e32 v117, v128
	v_lshlrev_b32_e32 v132, 26, v113
	v_cmp_ne_u32_e64 s20, 0, v130
	v_ashrrev_i32_e32 v135, 31, v135
	v_lshlrev_b32_e32 v133, 25, v113
	v_ashrrev_i32_e32 v117, 31, v117
	v_lshlrev_b32_e32 v130, 24, v113
	v_xor_b32_e32 v115, s20, v115
	v_cmp_gt_i32_e64 s20, 0, v128
	v_not_b32_e32 v128, v129
	v_xor_b32_e32 v135, s21, v135
	v_cmp_gt_i32_e64 s21, 0, v129
	v_and_b32_e32 v115, exec_lo, v115
	v_not_b32_e32 v129, v131
	v_ashrrev_i32_e32 v128, 31, v128
	v_xor_b32_e32 v117, s20, v117
	v_cmp_gt_i32_e64 s20, 0, v131
	v_and_b32_e32 v115, v115, v135
	v_not_b32_e32 v131, v132
	v_ashrrev_i32_e32 v129, 31, v129
	v_xor_b32_e32 v128, s21, v128
	v_cmp_gt_i32_e64 s21, 0, v132
	v_and_b32_e32 v115, v115, v117
	;; [unrolled: 5-line block ×3, first 2 shown]
	v_not_b32_e32 v128, v130
	v_ashrrev_i32_e32 v117, 31, v117
	v_xor_b32_e32 v131, s21, v131
	v_lshl_add_u32 v113, v113, 3, v208
	v_and_b32_e32 v115, v115, v129
	v_cmp_gt_i32_e64 s21, 0, v130
	v_ashrrev_i32_e32 v128, 31, v128
	v_xor_b32_e32 v117, s20, v117
	v_lshl_add_u32 v129, v113, 2, v12
	v_and_b32_e32 v115, v115, v131
	v_xor_b32_e32 v113, s21, v128
	ds_read_b32 v150, v129 offset:32
	v_and_b32_e32 v115, v115, v117
	v_add_nc_u32_e32 v128, 32, v129
	; wave barrier
	v_and_b32_e32 v113, v115, v113
	v_mbcnt_lo_u32_b32 v160, v113, 0
	v_cmp_ne_u32_e64 s21, 0, v113
	v_cmp_eq_u32_e64 s20, 0, v160
	s_and_b32 s21, s21, s20
	s_and_saveexec_b32 s20, s21
	s_cbranch_execz .LBB501_78
; %bb.77:                               ;   in Loop: Header=BB501_56 Depth=1
	s_waitcnt lgkmcnt(0)
	v_bcnt_u32_b32 v113, v113, v150
	ds_write_b32 v128, v113
.LBB501_78:                             ;   in Loop: Header=BB501_56 Depth=1
	s_or_b32 exec_lo, exec_lo, s20
	v_lshrrev_b32_e32 v113, v10, v76
	; wave barrier
	v_and_b32_e32 v113, v113, v70
	v_and_b32_e32 v115, 1, v113
	v_lshlrev_b32_e32 v117, 30, v113
	v_lshlrev_b32_e32 v129, 29, v113
	;; [unrolled: 1-line block ×4, first 2 shown]
	v_add_co_u32 v115, s20, v115, -1
	v_cndmask_b32_e64 v131, 0, 1, s20
	v_not_b32_e32 v144, v117
	v_cmp_gt_i32_e64 s21, 0, v117
	v_not_b32_e32 v117, v129
	v_lshlrev_b32_e32 v133, 26, v113
	v_cmp_ne_u32_e64 s20, 0, v131
	v_ashrrev_i32_e32 v144, 31, v144
	v_lshlrev_b32_e32 v135, 25, v113
	v_ashrrev_i32_e32 v117, 31, v117
	v_lshlrev_b32_e32 v131, 24, v113
	v_xor_b32_e32 v115, s20, v115
	v_cmp_gt_i32_e64 s20, 0, v129
	v_not_b32_e32 v129, v130
	v_xor_b32_e32 v144, s21, v144
	v_cmp_gt_i32_e64 s21, 0, v130
	v_and_b32_e32 v115, exec_lo, v115
	v_not_b32_e32 v130, v132
	v_ashrrev_i32_e32 v129, 31, v129
	v_xor_b32_e32 v117, s20, v117
	v_cmp_gt_i32_e64 s20, 0, v132
	v_and_b32_e32 v115, v115, v144
	v_not_b32_e32 v132, v133
	v_ashrrev_i32_e32 v130, 31, v130
	v_xor_b32_e32 v129, s21, v129
	v_cmp_gt_i32_e64 s21, 0, v133
	v_and_b32_e32 v115, v115, v117
	;; [unrolled: 5-line block ×3, first 2 shown]
	v_not_b32_e32 v129, v131
	v_ashrrev_i32_e32 v117, 31, v117
	v_xor_b32_e32 v132, s21, v132
	v_lshl_add_u32 v113, v113, 3, v208
	v_and_b32_e32 v115, v115, v130
	v_cmp_gt_i32_e64 s21, 0, v131
	v_ashrrev_i32_e32 v129, 31, v129
	v_xor_b32_e32 v117, s20, v117
	v_lshl_add_u32 v130, v113, 2, v12
	v_and_b32_e32 v115, v115, v132
	v_xor_b32_e32 v113, s21, v129
	ds_read_b32 v161, v130 offset:32
	v_and_b32_e32 v115, v115, v117
	v_add_nc_u32_e32 v130, 32, v130
	; wave barrier
	v_and_b32_e32 v113, v115, v113
	v_mbcnt_lo_u32_b32 v162, v113, 0
	v_cmp_ne_u32_e64 s21, 0, v113
	v_cmp_eq_u32_e64 s20, 0, v162
	s_and_b32 s21, s21, s20
	s_and_saveexec_b32 s20, s21
	s_cbranch_execz .LBB501_80
; %bb.79:                               ;   in Loop: Header=BB501_56 Depth=1
	s_waitcnt lgkmcnt(0)
	v_bcnt_u32_b32 v113, v113, v161
	ds_write_b32 v130, v113
.LBB501_80:                             ;   in Loop: Header=BB501_56 Depth=1
	s_or_b32 exec_lo, exec_lo, s20
	v_lshrrev_b32_e32 v113, v10, v77
	; wave barrier
	v_and_b32_e32 v113, v113, v70
	v_and_b32_e32 v115, 1, v113
	v_lshlrev_b32_e32 v117, 30, v113
	v_lshlrev_b32_e32 v129, 29, v113
	;; [unrolled: 1-line block ×4, first 2 shown]
	v_add_co_u32 v115, s20, v115, -1
	v_cndmask_b32_e64 v132, 0, 1, s20
	v_not_b32_e32 v145, v117
	v_cmp_gt_i32_e64 s21, 0, v117
	v_not_b32_e32 v117, v129
	v_lshlrev_b32_e32 v135, 26, v113
	v_cmp_ne_u32_e64 s20, 0, v132
	v_ashrrev_i32_e32 v145, 31, v145
	v_lshlrev_b32_e32 v144, 25, v113
	v_ashrrev_i32_e32 v117, 31, v117
	v_lshlrev_b32_e32 v132, 24, v113
	v_xor_b32_e32 v115, s20, v115
	v_cmp_gt_i32_e64 s20, 0, v129
	v_not_b32_e32 v129, v131
	v_xor_b32_e32 v145, s21, v145
	v_cmp_gt_i32_e64 s21, 0, v131
	v_and_b32_e32 v115, exec_lo, v115
	v_not_b32_e32 v131, v133
	v_ashrrev_i32_e32 v129, 31, v129
	v_xor_b32_e32 v117, s20, v117
	v_cmp_gt_i32_e64 s20, 0, v133
	v_and_b32_e32 v115, v115, v145
	v_not_b32_e32 v133, v135
	v_ashrrev_i32_e32 v131, 31, v131
	v_xor_b32_e32 v129, s21, v129
	v_cmp_gt_i32_e64 s21, 0, v135
	v_and_b32_e32 v115, v115, v117
	;; [unrolled: 5-line block ×3, first 2 shown]
	v_not_b32_e32 v129, v132
	v_ashrrev_i32_e32 v117, 31, v117
	v_xor_b32_e32 v133, s21, v133
	v_lshl_add_u32 v113, v113, 3, v208
	v_and_b32_e32 v115, v115, v131
	v_cmp_gt_i32_e64 s21, 0, v132
	v_ashrrev_i32_e32 v129, 31, v129
	v_xor_b32_e32 v117, s20, v117
	v_lshl_add_u32 v131, v113, 2, v12
	v_and_b32_e32 v115, v115, v133
	v_xor_b32_e32 v113, s21, v129
	ds_read_b32 v166, v131 offset:32
	v_and_b32_e32 v115, v115, v117
	v_add_nc_u32_e32 v132, 32, v131
	; wave barrier
	v_and_b32_e32 v113, v115, v113
	v_mbcnt_lo_u32_b32 v167, v113, 0
	v_cmp_ne_u32_e64 s21, 0, v113
	v_cmp_eq_u32_e64 s20, 0, v167
	s_and_b32 s21, s21, s20
	s_and_saveexec_b32 s20, s21
	s_cbranch_execz .LBB501_82
; %bb.81:                               ;   in Loop: Header=BB501_56 Depth=1
	s_waitcnt lgkmcnt(0)
	v_bcnt_u32_b32 v113, v113, v166
	ds_write_b32 v132, v113
.LBB501_82:                             ;   in Loop: Header=BB501_56 Depth=1
	s_or_b32 exec_lo, exec_lo, s20
	v_lshrrev_b32_e32 v113, v10, v78
	; wave barrier
	v_and_b32_e32 v113, v113, v70
	v_and_b32_e32 v115, 1, v113
	v_lshlrev_b32_e32 v117, 30, v113
	v_lshlrev_b32_e32 v129, 29, v113
	;; [unrolled: 1-line block ×4, first 2 shown]
	v_add_co_u32 v115, s20, v115, -1
	v_cndmask_b32_e64 v133, 0, 1, s20
	v_not_b32_e32 v147, v117
	v_cmp_gt_i32_e64 s21, 0, v117
	v_not_b32_e32 v117, v129
	v_lshlrev_b32_e32 v144, 26, v113
	v_cmp_ne_u32_e64 s20, 0, v133
	v_ashrrev_i32_e32 v147, 31, v147
	v_lshlrev_b32_e32 v145, 25, v113
	v_ashrrev_i32_e32 v117, 31, v117
	v_lshlrev_b32_e32 v133, 24, v113
	v_xor_b32_e32 v115, s20, v115
	v_cmp_gt_i32_e64 s20, 0, v129
	v_not_b32_e32 v129, v131
	v_xor_b32_e32 v147, s21, v147
	v_cmp_gt_i32_e64 s21, 0, v131
	v_and_b32_e32 v115, exec_lo, v115
	v_not_b32_e32 v131, v135
	v_ashrrev_i32_e32 v129, 31, v129
	v_xor_b32_e32 v117, s20, v117
	v_cmp_gt_i32_e64 s20, 0, v135
	v_and_b32_e32 v115, v115, v147
	v_not_b32_e32 v135, v144
	v_ashrrev_i32_e32 v131, 31, v131
	v_xor_b32_e32 v129, s21, v129
	v_cmp_gt_i32_e64 s21, 0, v144
	v_and_b32_e32 v115, v115, v117
	;; [unrolled: 5-line block ×3, first 2 shown]
	v_not_b32_e32 v129, v133
	v_ashrrev_i32_e32 v117, 31, v117
	v_xor_b32_e32 v135, s21, v135
	v_lshl_add_u32 v113, v113, 3, v208
	v_and_b32_e32 v115, v115, v131
	v_cmp_gt_i32_e64 s21, 0, v133
	v_ashrrev_i32_e32 v129, 31, v129
	v_xor_b32_e32 v117, s20, v117
	v_lshl_add_u32 v131, v113, 2, v12
	v_and_b32_e32 v115, v115, v135
	v_xor_b32_e32 v113, s21, v129
	ds_read_b32 v176, v131 offset:32
	v_and_b32_e32 v115, v115, v117
	v_add_nc_u32_e32 v144, 32, v131
	; wave barrier
	v_and_b32_e32 v113, v115, v113
	v_mbcnt_lo_u32_b32 v177, v113, 0
	v_cmp_ne_u32_e64 s21, 0, v113
	v_cmp_eq_u32_e64 s20, 0, v177
	s_and_b32 s21, s21, s20
	s_and_saveexec_b32 s20, s21
	s_cbranch_execz .LBB501_84
; %bb.83:                               ;   in Loop: Header=BB501_56 Depth=1
	s_waitcnt lgkmcnt(0)
	v_bcnt_u32_b32 v113, v113, v176
	ds_write_b32 v144, v113
.LBB501_84:                             ;   in Loop: Header=BB501_56 Depth=1
	s_or_b32 exec_lo, exec_lo, s20
	v_lshrrev_b32_e32 v113, v10, v79
	; wave barrier
	v_and_b32_e32 v113, v113, v70
	v_and_b32_e32 v115, 1, v113
	v_lshlrev_b32_e32 v117, 30, v113
	v_lshlrev_b32_e32 v129, 29, v113
	;; [unrolled: 1-line block ×4, first 2 shown]
	v_add_co_u32 v115, s20, v115, -1
	v_cndmask_b32_e64 v133, 0, 1, s20
	v_not_b32_e32 v149, v117
	v_cmp_gt_i32_e64 s21, 0, v117
	v_not_b32_e32 v117, v129
	v_lshlrev_b32_e32 v145, 26, v113
	v_cmp_ne_u32_e64 s20, 0, v133
	v_ashrrev_i32_e32 v149, 31, v149
	v_lshlrev_b32_e32 v147, 25, v113
	v_ashrrev_i32_e32 v117, 31, v117
	v_lshlrev_b32_e32 v133, 24, v113
	v_xor_b32_e32 v115, s20, v115
	v_cmp_gt_i32_e64 s20, 0, v129
	v_not_b32_e32 v129, v131
	v_xor_b32_e32 v149, s21, v149
	v_cmp_gt_i32_e64 s21, 0, v131
	v_and_b32_e32 v115, exec_lo, v115
	v_not_b32_e32 v131, v135
	v_ashrrev_i32_e32 v129, 31, v129
	v_xor_b32_e32 v117, s20, v117
	v_cmp_gt_i32_e64 s20, 0, v135
	v_and_b32_e32 v115, v115, v149
	v_not_b32_e32 v135, v145
	v_ashrrev_i32_e32 v131, 31, v131
	v_xor_b32_e32 v129, s21, v129
	v_cmp_gt_i32_e64 s21, 0, v145
	v_and_b32_e32 v115, v115, v117
	;; [unrolled: 5-line block ×3, first 2 shown]
	v_not_b32_e32 v129, v133
	v_ashrrev_i32_e32 v117, 31, v117
	v_xor_b32_e32 v135, s21, v135
	v_lshl_add_u32 v113, v113, 3, v208
	v_and_b32_e32 v115, v115, v131
	v_cmp_gt_i32_e64 s21, 0, v133
	v_ashrrev_i32_e32 v129, 31, v129
	v_xor_b32_e32 v117, s20, v117
	v_lshl_add_u32 v131, v113, 2, v12
	v_and_b32_e32 v115, v115, v135
	v_xor_b32_e32 v113, s21, v129
	ds_read_b32 v178, v131 offset:32
	v_and_b32_e32 v115, v115, v117
	v_add_nc_u32_e32 v163, 32, v131
	; wave barrier
	v_and_b32_e32 v113, v115, v113
	v_mbcnt_lo_u32_b32 v179, v113, 0
	v_cmp_ne_u32_e64 s21, 0, v113
	v_cmp_eq_u32_e64 s20, 0, v179
	s_and_b32 s21, s21, s20
	s_and_saveexec_b32 s20, s21
	s_cbranch_execz .LBB501_86
; %bb.85:                               ;   in Loop: Header=BB501_56 Depth=1
	s_waitcnt lgkmcnt(0)
	v_bcnt_u32_b32 v113, v113, v178
	ds_write_b32 v163, v113
.LBB501_86:                             ;   in Loop: Header=BB501_56 Depth=1
	s_or_b32 exec_lo, exec_lo, s20
	v_lshrrev_b32_e32 v113, v10, v88
	; wave barrier
	v_and_b32_e32 v113, v113, v70
	v_and_b32_e32 v115, 1, v113
	v_lshlrev_b32_e32 v117, 30, v113
	v_lshlrev_b32_e32 v129, 29, v113
	;; [unrolled: 1-line block ×4, first 2 shown]
	v_add_co_u32 v115, s20, v115, -1
	v_cndmask_b32_e64 v133, 0, 1, s20
	v_not_b32_e32 v149, v117
	v_cmp_gt_i32_e64 s21, 0, v117
	v_not_b32_e32 v117, v129
	v_lshlrev_b32_e32 v145, 26, v113
	v_cmp_ne_u32_e64 s20, 0, v133
	v_ashrrev_i32_e32 v149, 31, v149
	v_lshlrev_b32_e32 v147, 25, v113
	v_ashrrev_i32_e32 v117, 31, v117
	v_lshlrev_b32_e32 v133, 24, v113
	v_xor_b32_e32 v115, s20, v115
	v_cmp_gt_i32_e64 s20, 0, v129
	v_not_b32_e32 v129, v131
	v_xor_b32_e32 v149, s21, v149
	v_cmp_gt_i32_e64 s21, 0, v131
	v_and_b32_e32 v115, exec_lo, v115
	v_not_b32_e32 v131, v135
	v_ashrrev_i32_e32 v129, 31, v129
	v_xor_b32_e32 v117, s20, v117
	v_cmp_gt_i32_e64 s20, 0, v135
	v_and_b32_e32 v115, v115, v149
	v_not_b32_e32 v135, v145
	v_ashrrev_i32_e32 v131, 31, v131
	v_xor_b32_e32 v129, s21, v129
	v_cmp_gt_i32_e64 s21, 0, v145
	v_and_b32_e32 v115, v115, v117
	;; [unrolled: 5-line block ×3, first 2 shown]
	v_not_b32_e32 v129, v133
	v_ashrrev_i32_e32 v117, 31, v117
	v_xor_b32_e32 v135, s21, v135
	v_lshl_add_u32 v113, v113, 3, v208
	v_and_b32_e32 v115, v115, v131
	v_cmp_gt_i32_e64 s21, 0, v133
	v_ashrrev_i32_e32 v129, 31, v129
	v_xor_b32_e32 v117, s20, v117
	v_lshl_add_u32 v131, v113, 2, v12
	v_and_b32_e32 v115, v115, v135
	v_xor_b32_e32 v113, s21, v129
	ds_read_b32 v180, v131 offset:32
	v_and_b32_e32 v115, v115, v117
	v_add_nc_u32_e32 v164, 32, v131
	; wave barrier
	v_and_b32_e32 v113, v115, v113
	v_mbcnt_lo_u32_b32 v182, v113, 0
	v_cmp_ne_u32_e64 s21, 0, v113
	v_cmp_eq_u32_e64 s20, 0, v182
	s_and_b32 s21, s21, s20
	s_and_saveexec_b32 s20, s21
	s_cbranch_execz .LBB501_88
; %bb.87:                               ;   in Loop: Header=BB501_56 Depth=1
	s_waitcnt lgkmcnt(0)
	v_bcnt_u32_b32 v113, v113, v180
	ds_write_b32 v164, v113
.LBB501_88:                             ;   in Loop: Header=BB501_56 Depth=1
	s_or_b32 exec_lo, exec_lo, s20
	v_lshrrev_b32_e32 v113, v10, v89
	; wave barrier
	v_and_b32_e32 v70, v113, v70
	v_and_b32_e32 v113, 1, v70
	v_lshlrev_b32_e32 v115, 30, v70
	v_lshlrev_b32_e32 v117, 29, v70
	;; [unrolled: 1-line block ×4, first 2 shown]
	v_add_co_u32 v113, s20, v113, -1
	v_cndmask_b32_e64 v131, 0, 1, s20
	v_not_b32_e32 v147, v115
	v_cmp_gt_i32_e64 s21, 0, v115
	v_not_b32_e32 v115, v117
	v_lshlrev_b32_e32 v135, 26, v70
	v_cmp_ne_u32_e64 s20, 0, v131
	v_ashrrev_i32_e32 v147, 31, v147
	v_lshlrev_b32_e32 v145, 25, v70
	v_ashrrev_i32_e32 v115, 31, v115
	v_lshlrev_b32_e32 v131, 24, v70
	v_xor_b32_e32 v113, s20, v113
	v_cmp_gt_i32_e64 s20, 0, v117
	v_not_b32_e32 v117, v129
	v_xor_b32_e32 v147, s21, v147
	v_cmp_gt_i32_e64 s21, 0, v129
	v_and_b32_e32 v113, exec_lo, v113
	v_not_b32_e32 v129, v133
	v_ashrrev_i32_e32 v117, 31, v117
	v_xor_b32_e32 v115, s20, v115
	v_cmp_gt_i32_e64 s20, 0, v133
	v_and_b32_e32 v113, v113, v147
	v_not_b32_e32 v133, v135
	v_ashrrev_i32_e32 v129, 31, v129
	v_xor_b32_e32 v117, s21, v117
	v_cmp_gt_i32_e64 s21, 0, v135
	v_and_b32_e32 v113, v113, v115
	;; [unrolled: 5-line block ×3, first 2 shown]
	v_not_b32_e32 v117, v131
	v_ashrrev_i32_e32 v115, 31, v115
	v_xor_b32_e32 v133, s21, v133
	v_lshl_add_u32 v70, v70, 3, v208
	v_and_b32_e32 v113, v113, v129
	v_cmp_gt_i32_e64 s21, 0, v131
	v_ashrrev_i32_e32 v117, 31, v117
	v_xor_b32_e32 v115, s20, v115
	v_lshl_add_u32 v129, v70, 2, v12
	v_and_b32_e32 v113, v113, v133
	v_xor_b32_e32 v117, s21, v117
	ds_read_b32 v70, v129 offset:32
	v_and_b32_e32 v113, v113, v115
	v_add_nc_u32_e32 v165, 32, v129
	; wave barrier
	v_and_b32_e32 v113, v113, v117
	v_mbcnt_lo_u32_b32 v183, v113, 0
	v_cmp_ne_u32_e64 s21, 0, v113
	v_cmp_eq_u32_e64 s20, 0, v183
	s_and_b32 s21, s21, s20
	s_and_saveexec_b32 s20, s21
	s_cbranch_execz .LBB501_90
; %bb.89:                               ;   in Loop: Header=BB501_56 Depth=1
	s_waitcnt lgkmcnt(0)
	v_bcnt_u32_b32 v113, v113, v70
	ds_write_b32 v165, v113
.LBB501_90:                             ;   in Loop: Header=BB501_56 Depth=1
	s_or_b32 exec_lo, exec_lo, s20
	; wave barrier
	s_waitcnt lgkmcnt(0)
	s_barrier
	buffer_gl0_inv
	ds_read_b32 v115, v49
	ds_read_b32 v117, v151
	;; [unrolled: 1-line block ×8, first 2 shown]
	s_waitcnt lgkmcnt(6)
	v_add_nc_u32_e32 v135, v117, v115
	s_waitcnt lgkmcnt(4)
	v_add3_u32 v135, v135, v129, v113
	s_waitcnt lgkmcnt(2)
	v_add3_u32 v135, v135, v133, v149
	;; [unrolled: 2-line block ×3, first 2 shown]
	v_mov_b32_dpp v135, v131 row_shr:1 row_mask:0xf bank_mask:0xf
	v_cndmask_b32_e64 v135, v135, 0, vcc_lo
	v_add_nc_u32_e32 v131, v135, v131
	v_mov_b32_dpp v135, v131 row_shr:2 row_mask:0xf bank_mask:0xf
	v_cndmask_b32_e64 v135, 0, v135, s4
	v_add_nc_u32_e32 v131, v131, v135
	v_mov_b32_dpp v135, v131 row_shr:4 row_mask:0xf bank_mask:0xf
	v_cndmask_b32_e64 v135, 0, v135, s5
	;; [unrolled: 3-line block ×3, first 2 shown]
	v_add_nc_u32_e32 v131, v131, v135
	ds_swizzle_b32 v135, v131 offset:swizzle(BROADCAST,32,15)
	s_waitcnt lgkmcnt(0)
	v_cndmask_b32_e64 v135, v135, 0, s10
	v_add_nc_u32_e32 v131, v131, v135
	s_and_saveexec_b32 s20, s11
; %bb.91:                               ;   in Loop: Header=BB501_56 Depth=1
	ds_write_b32 v211, v131
; %bb.92:                               ;   in Loop: Header=BB501_56 Depth=1
	s_or_b32 exec_lo, exec_lo, s20
	s_waitcnt lgkmcnt(0)
	s_barrier
	buffer_gl0_inv
	s_and_saveexec_b32 s20, s14
	s_cbranch_execz .LBB501_94
; %bb.93:                               ;   in Loop: Header=BB501_56 Depth=1
	ds_read_b32 v135, v209
	s_waitcnt lgkmcnt(0)
	v_mov_b32_dpp v145, v135 row_shr:1 row_mask:0xf bank_mask:0xf
	v_cndmask_b32_e64 v145, v145, 0, s17
	v_add_nc_u32_e32 v135, v145, v135
	v_mov_b32_dpp v145, v135 row_shr:2 row_mask:0xf bank_mask:0xf
	v_cndmask_b32_e64 v145, 0, v145, s18
	v_add_nc_u32_e32 v135, v135, v145
	;; [unrolled: 3-line block ×3, first 2 shown]
	ds_write_b32 v209, v135
.LBB501_94:                             ;   in Loop: Header=BB501_56 Depth=1
	s_or_b32 exec_lo, exec_lo, s20
	v_mov_b32_e32 v135, 0
	s_waitcnt lgkmcnt(0)
	s_barrier
	buffer_gl0_inv
	s_and_saveexec_b32 s20, s15
; %bb.95:                               ;   in Loop: Header=BB501_56 Depth=1
	v_add_nc_u32_e32 v135, -4, v211
	ds_read_b32 v135, v135
; %bb.96:                               ;   in Loop: Header=BB501_56 Depth=1
	s_or_b32 exec_lo, exec_lo, s20
	s_waitcnt lgkmcnt(0)
	v_add_nc_u32_e32 v131, v135, v131
	v_mov_b32_e32 v145, v5
	v_mov_b32_e32 v147, v5
	v_add_nc_u32_e32 v10, 8, v10
	s_mov_b32 s24, -1
	ds_bpermute_b32 v131, v210, v131
	v_cmp_lt_u32_e64 s20, v10, v11
	s_waitcnt lgkmcnt(0)
	v_cndmask_b32_e64 v131, v131, v135, s7
	v_mov_b32_e32 v135, v5
	v_cndmask_b32_e64 v192, v131, 0, s16
	v_mov_b32_e32 v131, v5
	v_add_nc_u32_e32 v193, v192, v115
	v_mov_b32_e32 v115, v5
	v_add_nc_u32_e32 v90, v193, v117
	v_mov_b32_e32 v117, v5
	ds_write_b32 v49, v192
	ds_write_b32 v151, v193
	;; [unrolled: 1-line block ×3, first 2 shown]
	v_add_nc_u32_e32 v91, v90, v129
	v_mov_b32_e32 v129, v5
	v_add_nc_u32_e32 v92, v91, v113
	v_mov_b32_e32 v113, v5
	;; [unrolled: 2-line block ×4, first 2 shown]
	v_add_nc_u32_e32 v181, v94, v181
	ds_write_b32 v195, v91
	ds_write_b32 v196, v92
	;; [unrolled: 1-line block ×5, first 2 shown]
	s_waitcnt lgkmcnt(0)
	s_barrier
	buffer_gl0_inv
	ds_read_b32 v66, v66
	ds_read_b32 v69, v69
	;; [unrolled: 1-line block ×17, first 2 shown]
	v_mov_b32_e32 v163, v5
	v_mov_b32_e32 v165, v5
	s_waitcnt lgkmcnt(0)
	v_add_nc_u32_e32 v4, v66, v4
	v_add3_u32 v114, v68, v67, v69
	v_add3_u32 v112, v80, v71, v81
	;; [unrolled: 1-line block ×4, first 2 shown]
	v_lshlrev_b64 v[66:67], 2, v[4:5]
	v_lshlrev_b64 v[67:68], 2, v[114:115]
	;; [unrolled: 1-line block ×3, first 2 shown]
	v_add3_u32 v130, v97, v96, v98
	v_add3_u32 v132, v103, v102, v181
	;; [unrolled: 1-line block ×8, first 2 shown]
	v_mov_b32_e32 v182, v5
	v_add3_u32 v146, v148, v146, v193
	v_add3_u32 v166, v183, v70, v104
	v_lshlrev_b64 v[69:70], 2, v[116:117]
	v_add_co_u32 v127, null, v12, v66
	v_add_co_u32 v126, null, v12, v67
	v_lshlrev_b64 v[66:67], 2, v[162:163]
	v_add3_u32 v148, v160, v150, v90
	v_add3_u32 v179, v179, v178, v94
	v_lshlrev_b64 v[70:71], 2, v[128:129]
	v_lshlrev_b64 v[80:81], 2, v[130:131]
	v_add_co_u32 v125, null, v12, v68
	v_lshlrev_b64 v[67:68], 2, v[181:182]
	v_mov_b32_e32 v180, v5
	v_lshlrev_b64 v[81:82], 2, v[144:145]
	v_mov_b32_e32 v177, v5
	v_mov_b32_e32 v167, v5
	v_lshlrev_b64 v[82:83], 2, v[132:133]
	v_lshlrev_b64 v[83:84], 2, v[134:135]
	;; [unrolled: 1-line block ×4, first 2 shown]
	v_add_co_u32 v124, null, v12, v69
	v_lshlrev_b64 v[68:69], 2, v[179:180]
	v_lshlrev_b64 v[86:87], 2, v[164:165]
	v_add_co_u32 v121, null, v12, v70
	v_add_co_u32 v108, null, v12, v66
	v_lshlrev_b64 v[69:70], 2, v[176:177]
	v_add_co_u32 v122, null, v12, v67
	v_lshlrev_b64 v[66:67], 2, v[166:167]
	v_add_co_u32 v111, null, v12, v80
	v_add_co_u32 v109, null, v12, v81
	;; [unrolled: 1-line block ×10, first 2 shown]
                                        ; implicit-def: $vgpr68_vgpr69
                                        ; implicit-def: $vgpr80_vgpr81
                                        ; implicit-def: $vgpr66_vgpr67
                                        ; implicit-def: $vgpr70_vgpr71
                                        ; implicit-def: $vgpr82_vgpr83
                                        ; implicit-def: $vgpr86_vgpr87
                                        ; implicit-def: $vgpr84_vgpr85
                                        ; implicit-def: $vgpr96_vgpr97
                                        ; implicit-def: $vgpr98_vgpr99
                                        ; implicit-def: $vgpr100_vgpr101
                                        ; implicit-def: $vgpr102_vgpr103
                                        ; implicit-def: $vgpr117_vgpr118
                                        ; implicit-def: $vgpr149_vgpr150
                                        ; implicit-def: $vgpr160_vgpr161
                                        ; implicit-def: $vgpr177_vgpr178
                                        ; implicit-def: $vgpr182_vgpr183
                                        ; implicit-def: $vgpr192_vgpr193
                                        ; implicit-def: $vgpr115
                                        ; implicit-def: $vgpr113
                                        ; implicit-def: $vgpr131
                                        ; implicit-def: $vgpr129
                                        ; implicit-def: $vgpr135
                                        ; implicit-def: $vgpr133
                                        ; implicit-def: $vgpr147
                                        ; implicit-def: $vgpr145
                                        ; implicit-def: $vgpr165
                                        ; implicit-def: $vgpr163
                                        ; implicit-def: $vgpr180
                                        ; implicit-def: $vgpr167
                                        ; implicit-def: $vgpr91
                                        ; implicit-def: $vgpr90
                                        ; implicit-def: $vgpr93
                                        ; implicit-def: $vgpr92
                                        ; implicit-def: $vgpr94
	s_and_saveexec_b32 s21, s20
	s_cbranch_execz .LBB501_55
; %bb.97:                               ;   in Loop: Header=BB501_56 Depth=1
	v_add_nc_u32_e32 v66, 0x80, v212
	s_barrier
	buffer_gl0_inv
	ds_write_b32 v127, v57
	ds_write_b32 v126, v60
	;; [unrolled: 1-line block ×17, first 2 shown]
	s_waitcnt lgkmcnt(0)
	s_barrier
	buffer_gl0_inv
	ds_read_b32 v115, v212
	ds_read_b32 v113, v66
	v_add_nc_u32_e32 v66, 0x100, v212
	v_add_nc_u32_e32 v67, 0x180, v212
	;; [unrolled: 1-line block ×5, first 2 shown]
	ds_read_b32 v131, v66
	ds_read_b32 v129, v67
	;; [unrolled: 1-line block ×15, first 2 shown]
	v_lshl_add_u32 v66, v4, 2, v127
	v_lshl_add_u32 v67, v114, 2, v126
	s_waitcnt lgkmcnt(0)
	s_barrier
	buffer_gl0_inv
	ds_write_b64 v66, v[13:14]
	ds_write_b64 v67, v[8:9]
	v_lshl_add_u32 v66, v112, 2, v125
	v_lshl_add_u32 v67, v116, 2, v124
	v_lshl_add_u32 v68, v128, 2, v121
	v_lshl_add_u32 v69, v130, 2, v111
	v_lshl_add_u32 v70, v144, 2, v109
	ds_write_b64 v66, v[32:33]
	ds_write_b64 v67, v[30:31]
	ds_write_b64 v68, v[28:29]
	ds_write_b64 v69, v[26:27]
	ds_write_b64 v70, v[64:65]
	v_lshl_add_u32 v66, v132, 2, v106
	v_lshl_add_u32 v67, v134, 2, v104
	v_lshl_add_u32 v68, v146, 2, v95
	v_lshl_add_u32 v69, v148, 2, v107
	v_lshl_add_u32 v70, v164, 2, v105
	ds_write_b64 v66, v[38:39]
	ds_write_b64 v67, v[34:35]
	ds_write_b64 v68, v[54:55]
	;; [unrolled: 10-line block ×3, first 2 shown]
	ds_write_b64 v69, v[17:18]
	ds_write_b64 v70, v[15:16]
	s_waitcnt lgkmcnt(0)
	s_barrier
	buffer_gl0_inv
	ds_read_b64 v[68:69], v227
	ds_read_b64 v[80:81], v240
	;; [unrolled: 1-line block ×17, first 2 shown]
	v_add_nc_u32_e32 v56, -8, v56
	s_xor_b32 s24, exec_lo, -1
	s_waitcnt lgkmcnt(0)
	s_barrier
	buffer_gl0_inv
	s_branch .LBB501_55
.LBB501_98:
	s_or_b32 exec_lo, exec_lo, s23
	v_lshl_add_u32 v4, v4, 2, v127
	v_lshl_add_u32 v5, v114, 2, v126
	s_barrier
	buffer_gl0_inv
	ds_write_b32 v127, v57
	ds_write_b32 v126, v60
	;; [unrolled: 1-line block ×17, first 2 shown]
	s_waitcnt lgkmcnt(0)
	s_barrier
	buffer_gl0_inv
	ds_read2st64_b32 v[96:97], v209 offset1:4
	ds_read2st64_b32 v[86:87], v209 offset0:8 offset1:12
	ds_read2st64_b32 v[84:85], v209 offset0:16 offset1:20
	ds_read2st64_b32 v[82:83], v209 offset0:24 offset1:28
	ds_read2st64_b32 v[80:81], v209 offset0:32 offset1:36
	ds_read2st64_b32 v[70:71], v209 offset0:40 offset1:44
	ds_read2st64_b32 v[68:69], v209 offset0:48 offset1:52
	ds_read2st64_b32 v[66:67], v209 offset0:56 offset1:60
	ds_read_b32 v98, v209 offset:16384
	s_waitcnt lgkmcnt(0)
	s_barrier
	buffer_gl0_inv
	ds_write_b64 v4, v[13:14]
	v_lshl_add_u32 v4, v112, 2, v125
	ds_write_b64 v5, v[8:9]
	v_lshl_add_u32 v5, v116, 2, v124
	v_lshl_add_u32 v8, v128, 2, v121
	;; [unrolled: 1-line block ×3, first 2 shown]
	ds_write_b64 v4, v[32:33]
	v_lshl_add_u32 v4, v144, 2, v109
	ds_write_b64 v5, v[30:31]
	ds_write_b64 v8, v[28:29]
	ds_write_b64 v9, v[26:27]
	v_lshl_add_u32 v5, v132, 2, v106
	v_lshl_add_u32 v8, v146, 2, v95
	v_lshl_add_u32 v9, v148, 2, v107
	ds_write_b64 v4, v[64:65]
	v_lshl_add_u32 v4, v134, 2, v104
	ds_write_b64 v5, v[38:39]
	v_lshl_add_u32 v5, v164, 2, v105
	ds_write_b64 v4, v[34:35]
	ds_write_b64 v8, v[54:55]
	;; [unrolled: 1-line block ×3, first 2 shown]
	v_lshl_add_u32 v4, v162, 2, v108
	ds_write_b64 v5, v[36:37]
	v_lshl_add_u32 v5, v181, 2, v122
	v_lshl_add_u32 v8, v179, 2, v123
	v_lshl_add_u32 v9, v176, 2, v120
	ds_write_b64 v4, v[24:25]
	v_lshl_add_u32 v4, v166, 2, v110
	ds_write_b64 v5, v[22:23]
	ds_write_b64 v8, v[19:20]
	;; [unrolled: 1-line block ×3, first 2 shown]
	v_lshl_add_u32 v5, v21, 3, v12
	v_mov_b32_e32 v49, 0
	v_add_co_u32 v2, vcc_lo, v2, v50
	ds_write_b64 v4, v[15:16]
	s_waitcnt lgkmcnt(0)
	s_barrier
	buffer_gl0_inv
	ds_read2st64_b64 v[36:39], v5 offset1:4
	ds_read2st64_b64 v[32:35], v5 offset0:8 offset1:12
	ds_read2st64_b64 v[28:31], v5 offset0:16 offset1:20
	;; [unrolled: 1-line block ×7, first 2 shown]
	ds_read_b64 v[4:5], v5 offset:32768
	v_lshlrev_b64 v[52:53], 2, v[48:49]
	v_add_co_ci_u32_e64 v3, null, v3, v51, vcc_lo
	s_waitcnt lgkmcnt(0)
	s_barrier
	buffer_gl0_inv
	v_add_co_u32 v2, vcc_lo, v2, v52
	v_add_co_ci_u32_e64 v3, null, v3, v53, vcc_lo
	v_cmp_lt_u32_e32 vcc_lo, v48, v119
	s_and_saveexec_b32 s4, vcc_lo
	s_cbranch_execz .LBB501_100
; %bb.99:
	v_xor_b32_e32 v50, 0x7fffffff, v96
	flat_store_dword v[2:3], v50
.LBB501_100:
	s_or_b32 exec_lo, exec_lo, s4
	v_add_nc_u32_e32 v50, 0x100, v48
	v_cmp_lt_u32_e64 s5, v50, v119
	s_and_saveexec_b32 s4, s5
	s_cbranch_execz .LBB501_102
; %bb.101:
	v_xor_b32_e32 v50, 0x7fffffff, v97
	flat_store_dword v[2:3], v50 offset:1024
.LBB501_102:
	s_or_b32 exec_lo, exec_lo, s4
	v_add_nc_u32_e32 v50, 0x200, v48
	v_cmp_lt_u32_e64 s4, v50, v119
	s_and_saveexec_b32 s7, s4
	s_cbranch_execz .LBB501_104
; %bb.103:
	v_add_co_u32 v50, s6, 0x800, v2
	v_xor_b32_e32 v52, 0x7fffffff, v86
	v_add_co_ci_u32_e64 v51, null, 0, v3, s6
	flat_store_dword v[50:51], v52
.LBB501_104:
	s_or_b32 exec_lo, exec_lo, s7
	v_add_nc_u32_e32 v50, 0x300, v48
	v_cmp_lt_u32_e64 s6, v50, v119
	s_and_saveexec_b32 s10, s6
	s_cbranch_execz .LBB501_106
; %bb.105:
	v_add_co_u32 v50, s7, 0x800, v2
	v_xor_b32_e32 v52, 0x7fffffff, v87
	v_add_co_ci_u32_e64 v51, null, 0, v3, s7
	flat_store_dword v[50:51], v52 offset:1024
.LBB501_106:
	s_or_b32 exec_lo, exec_lo, s10
	v_add_nc_u32_e32 v50, 0x400, v48
	v_cmp_lt_u32_e64 s7, v50, v119
	s_and_saveexec_b32 s11, s7
	s_cbranch_execz .LBB501_108
; %bb.107:
	v_add_co_u32 v50, s10, 0x1000, v2
	v_xor_b32_e32 v52, 0x7fffffff, v84
	v_add_co_ci_u32_e64 v51, null, 0, v3, s10
	flat_store_dword v[50:51], v52
.LBB501_108:
	s_or_b32 exec_lo, exec_lo, s11
	v_add_nc_u32_e32 v50, 0x500, v48
	v_cmp_lt_u32_e64 s10, v50, v119
	s_and_saveexec_b32 s14, s10
	s_cbranch_execz .LBB501_110
; %bb.109:
	v_add_co_u32 v50, s11, 0x1000, v2
	v_xor_b32_e32 v52, 0x7fffffff, v85
	v_add_co_ci_u32_e64 v51, null, 0, v3, s11
	flat_store_dword v[50:51], v52 offset:1024
.LBB501_110:
	;; [unrolled: 22-line block ×7, first 2 shown]
	s_or_b32 exec_lo, exec_lo, s24
	v_add_nc_u32_e32 v50, 0x1000, v48
	v_cmp_lt_u32_e64 s23, v50, v119
	s_and_saveexec_b32 s27, s23
	s_cbranch_execz .LBB501_132
; %bb.131:
	v_add_co_u32 v2, s24, 0x4000, v2
	v_xor_b32_e32 v50, 0x7fffffff, v98
	v_add_co_ci_u32_e64 v3, null, 0, v3, s24
	flat_store_dword v[2:3], v50
.LBB501_132:
	s_or_b32 exec_lo, exec_lo, s27
	v_lshlrev_b64 v[2:3], 3, v[48:49]
	v_add_co_u32 v0, s24, v6, v0
	v_add_co_ci_u32_e64 v1, null, v7, v1, s24
	v_add_co_u32 v0, s24, v0, v2
	v_add_co_ci_u32_e64 v1, null, v1, v3, s24
	s_and_saveexec_b32 s24, vcc_lo
	s_cbranch_execnz .LBB501_220
; %bb.133:
	s_or_b32 exec_lo, exec_lo, s24
	s_and_saveexec_b32 s24, s5
	s_cbranch_execnz .LBB501_221
.LBB501_134:
	s_or_b32 exec_lo, exec_lo, s24
	s_and_saveexec_b32 s5, s4
	s_cbranch_execnz .LBB501_222
.LBB501_135:
	s_or_b32 exec_lo, exec_lo, s5
	s_and_saveexec_b32 s4, s6
	s_cbranch_execnz .LBB501_223
.LBB501_136:
	s_or_b32 exec_lo, exec_lo, s4
	s_and_saveexec_b32 s4, s7
	s_cbranch_execnz .LBB501_224
.LBB501_137:
	s_or_b32 exec_lo, exec_lo, s4
	s_and_saveexec_b32 s4, s10
	s_cbranch_execnz .LBB501_225
.LBB501_138:
	s_or_b32 exec_lo, exec_lo, s4
	s_and_saveexec_b32 s4, s11
	s_cbranch_execnz .LBB501_226
.LBB501_139:
	s_or_b32 exec_lo, exec_lo, s4
	s_and_saveexec_b32 s4, s14
	s_cbranch_execnz .LBB501_227
.LBB501_140:
	s_or_b32 exec_lo, exec_lo, s4
	s_and_saveexec_b32 s4, s15
	s_cbranch_execnz .LBB501_228
.LBB501_141:
	s_or_b32 exec_lo, exec_lo, s4
	s_and_saveexec_b32 s4, s16
	s_cbranch_execnz .LBB501_229
.LBB501_142:
	s_or_b32 exec_lo, exec_lo, s4
	s_and_saveexec_b32 s4, s17
	s_cbranch_execnz .LBB501_230
.LBB501_143:
	s_or_b32 exec_lo, exec_lo, s4
	s_and_saveexec_b32 s4, s18
	s_cbranch_execnz .LBB501_231
.LBB501_144:
	s_or_b32 exec_lo, exec_lo, s4
	s_and_saveexec_b32 s4, s19
	s_cbranch_execnz .LBB501_232
.LBB501_145:
	s_or_b32 exec_lo, exec_lo, s4
	s_and_saveexec_b32 s4, s20
	s_cbranch_execnz .LBB501_233
.LBB501_146:
	s_or_b32 exec_lo, exec_lo, s4
	s_and_saveexec_b32 s4, s21
	s_cbranch_execnz .LBB501_234
.LBB501_147:
	s_or_b32 exec_lo, exec_lo, s4
	s_and_saveexec_b32 s4, s22
	s_cbranch_execnz .LBB501_235
.LBB501_148:
	s_or_b32 exec_lo, exec_lo, s4
	s_and_saveexec_b32 s4, s23
	s_cbranch_execz .LBB501_150
.LBB501_149:
	v_add_co_u32 v0, vcc_lo, 0x8000, v0
	v_add_co_ci_u32_e64 v1, null, 0, v1, vcc_lo
	flat_store_dwordx2 v[0:1], v[4:5]
.LBB501_150:
	s_or_b32 exec_lo, exec_lo, s4
                                        ; implicit-def: $vgpr119
                                        ; implicit-def: $vgpr0
                                        ; implicit-def: $vgpr1
                                        ; implicit-def: $vgpr2
                                        ; implicit-def: $vgpr3
                                        ; implicit-def: $vgpr4
                                        ; implicit-def: $vgpr5
                                        ; implicit-def: $vgpr6
                                        ; implicit-def: $vgpr7
                                        ; implicit-def: $vgpr8
                                        ; implicit-def: $vgpr10
                                        ; implicit-def: $vgpr11
                                        ; implicit-def: $vgpr12
                                        ; implicit-def: $vgpr13
                                        ; implicit-def: $vgpr14
                                        ; implicit-def: $vgpr21
                                        ; implicit-def: $vgpr64
.LBB501_151:
	s_andn2_saveexec_b32 s4, s26
	s_cbranch_execz .LBB501_382
; %bb.152:
	s_mov_b32 s4, exec_lo
	v_cmpx_lt_u32_e32 0x400, v119
	s_xor_b32 s22, exec_lo, s4
	s_cbranch_execz .LBB501_262
; %bb.153:
	s_load_dwordx2 s[4:5], s[8:9], 0x0
	v_mov_b32_e32 v9, 0
	v_lshlrev_b32_e32 v20, 2, v64
	v_lshlrev_b64 v[26:27], 2, v[8:9]
	v_mov_b32_e32 v23, v9
	v_add_co_u32 v28, vcc_lo, v0, v26
	v_add_co_ci_u32_e64 v29, null, v1, v27, vcc_lo
	v_add_co_u32 v20, vcc_lo, v28, v20
	v_add_co_ci_u32_e64 v28, null, 0, v29, vcc_lo
	s_waitcnt lgkmcnt(0)
	s_cmp_lt_u32 s13, s5
	s_cselect_b32 s5, 14, 20
	s_add_u32 s6, s8, s5
	s_addc_u32 s7, s9, 0
	s_cmp_lt_u32 s12, s4
	global_load_ushort v15, v9, s[6:7]
	s_cselect_b32 s4, 12, 18
	s_add_u32 s4, s8, s4
	s_addc_u32 s5, s9, 0
	global_load_ushort v16, v9, s[4:5]
	s_waitcnt vmcnt(1)
	v_mad_u32_u24 v13, v14, v15, v13
	s_waitcnt vmcnt(0)
	v_mad_u64_u32 v[24:25], null, v13, v16, v[21:22]
	v_bfrev_b32_e32 v13, 1
	v_mov_b32_e32 v14, v13
	v_lshlrev_b32_e32 v22, 3, v24
	v_mov_b32_e32 v15, v13
	v_mov_b32_e32 v16, v13
	;; [unrolled: 1-line block ×4, first 2 shown]
	v_and_b32_e32 v22, 0xffffff00, v22
	v_mov_b32_e32 v19, v13
	v_lshlrev_b64 v[0:1], 2, v[22:23]
	v_or_b32_e32 v25, v22, v64
	v_cmp_lt_u32_e32 vcc_lo, v25, v119
	v_add_co_u32 v0, s4, v20, v0
	v_add_co_ci_u32_e64 v1, null, v28, v1, s4
	v_mov_b32_e32 v20, v13
	s_and_saveexec_b32 s4, vcc_lo
	s_cbranch_execz .LBB501_155
; %bb.154:
	flat_load_dword v28, v[0:1]
	v_mov_b32_e32 v29, v13
	v_mov_b32_e32 v30, v13
	;; [unrolled: 1-line block ×7, first 2 shown]
	s_waitcnt vmcnt(0) lgkmcnt(0)
	v_mov_b32_e32 v13, v28
	v_mov_b32_e32 v14, v29
	;; [unrolled: 1-line block ×8, first 2 shown]
.LBB501_155:
	s_or_b32 exec_lo, exec_lo, s4
	v_or_b32_e32 v28, 32, v25
	v_cmp_lt_u32_e64 s4, v28, v119
	s_and_saveexec_b32 s5, s4
	s_cbranch_execz .LBB501_157
; %bb.156:
	flat_load_dword v14, v[0:1] offset:128
.LBB501_157:
	s_or_b32 exec_lo, exec_lo, s5
	v_or_b32_e32 v28, 64, v25
	v_cmp_lt_u32_e64 s5, v28, v119
	s_and_saveexec_b32 s6, s5
	s_cbranch_execz .LBB501_159
; %bb.158:
	flat_load_dword v15, v[0:1] offset:256
.LBB501_159:
	;; [unrolled: 8-line block ×7, first 2 shown]
	s_or_b32 exec_lo, exec_lo, s15
	v_lshlrev_b64 v[0:1], 3, v[8:9]
	v_lshlrev_b32_e32 v8, 3, v64
                                        ; implicit-def: $vgpr34_vgpr35
	v_add_co_u32 v9, s15, v4, v0
	v_add_co_ci_u32_e64 v25, null, v5, v1, s15
	v_lshlrev_b64 v[4:5], 3, v[22:23]
	v_add_co_u32 v8, s15, v9, v8
	v_add_co_ci_u32_e64 v9, null, 0, v25, s15
	v_add_co_u32 v4, s15, v8, v4
	v_add_co_ci_u32_e64 v5, null, v9, v5, s15
	s_and_saveexec_b32 s15, vcc_lo
	s_cbranch_execnz .LBB501_295
; %bb.170:
	s_or_b32 exec_lo, exec_lo, s15
                                        ; implicit-def: $vgpr38_vgpr39
	s_and_saveexec_b32 s15, s4
	s_cbranch_execnz .LBB501_296
.LBB501_171:
	s_or_b32 exec_lo, exec_lo, s15
                                        ; implicit-def: $vgpr48_vgpr49
	s_and_saveexec_b32 s4, s5
	s_cbranch_execnz .LBB501_297
.LBB501_172:
	s_or_b32 exec_lo, exec_lo, s4
                                        ; implicit-def: $vgpr50_vgpr51
	s_and_saveexec_b32 s4, s6
	s_cbranch_execnz .LBB501_298
.LBB501_173:
	s_or_b32 exec_lo, exec_lo, s4
                                        ; implicit-def: $vgpr52_vgpr53
	s_and_saveexec_b32 s4, s7
	s_cbranch_execnz .LBB501_299
.LBB501_174:
	s_or_b32 exec_lo, exec_lo, s4
                                        ; implicit-def: $vgpr54_vgpr55
	s_and_saveexec_b32 s4, s10
	s_cbranch_execnz .LBB501_300
.LBB501_175:
	s_or_b32 exec_lo, exec_lo, s4
                                        ; implicit-def: $vgpr32_vgpr33
	s_and_saveexec_b32 s4, s11
	s_cbranch_execnz .LBB501_301
.LBB501_176:
	s_or_b32 exec_lo, exec_lo, s4
                                        ; implicit-def: $vgpr36_vgpr37
	s_and_saveexec_b32 s4, s14
	s_cbranch_execz .LBB501_178
.LBB501_177:
	flat_load_dwordx2 v[36:37], v[4:5] offset:1792
.LBB501_178:
	s_or_b32 exec_lo, exec_lo, s4
	v_lshl_add_u32 v4, v21, 5, v12
	v_and_b32_e32 v8, 0x3e0, v21
	v_lshlrev_b32_e32 v5, 3, v21
	v_xor_b32_e32 v83, 0x7fffffff, v13
	v_sub_co_u32 v13, s6, v64, 1
	v_add_nc_u32_e32 v25, 32, v4
	v_add_nc_u32_e32 v86, 36, v4
	;; [unrolled: 1-line block ×8, first 2 shown]
	v_min_u32_e32 v4, 0xe0, v8
	v_and_b32_e32 v8, 16, v64
	v_and_or_b32 v5, 0x1f00, v5, v64
	s_getpc_b64 s[4:5]
	s_add_u32 s4, s4, _ZN7rocprim17ROCPRIM_400000_NS16block_radix_sortIiLj256ELj8ElLj1ELj1ELj8ELNS0_26block_radix_rank_algorithmE2ELNS0_18block_padding_hintE2ELNS0_4arch9wavefront6targetE0EE19radix_bits_per_passE@rel32@lo+4
	s_addc_u32 s5, s5, _ZN7rocprim17ROCPRIM_400000_NS16block_radix_sortIiLj256ELj8ElLj1ELj1ELj8ELNS0_26block_radix_rank_algorithmE2ELNS0_18block_padding_hintE2ELNS0_4arch9wavefront6targetE0EE19radix_bits_per_passE@rel32@hi+12
	v_cmp_gt_i32_e64 s14, 0, v13
	s_load_dword s23, s[4:5], 0x0
	v_cmp_eq_u32_e64 s10, 0, v8
	v_lshrrev_b32_e32 v8, 3, v21
	v_or_b32_e32 v4, 31, v4
	v_and_b32_e32 v9, 15, v64
	s_waitcnt vmcnt(0) lgkmcnt(0)
	v_xor_b32_e32 v65, 0x7fffffff, v14
	v_xor_b32_e32 v67, 0x7fffffff, v15
	v_and_b32_e32 v8, 0x7c, v8
	v_cmp_eq_u32_e64 s11, v21, v4
	v_cndmask_b32_e64 v4, v13, v64, s14
	v_cmp_eq_u32_e32 vcc_lo, 0, v9
	v_cmp_lt_u32_e64 s4, 1, v9
	v_add_nc_u32_e32 v112, v12, v8
	v_lshlrev_b32_e32 v8, 2, v5
	v_cmp_lt_u32_e64 s5, 3, v9
	v_cmp_lt_u32_e64 s7, 7, v9
	v_lshlrev_b32_e32 v103, 2, v4
	v_lshlrev_b32_e32 v4, 2, v21
	v_add_nc_u32_e32 v113, v12, v8
	v_and_b32_e32 v9, 7, v64
	v_xor_b32_e32 v69, 0x7fffffff, v16
	v_xor_b32_e32 v71, 0x7fffffff, v17
	;; [unrolled: 1-line block ×3, first 2 shown]
	v_add_nc_u32_e32 v118, v113, v8
	v_xor_b32_e32 v85, 0x7fffffff, v19
	v_xor_b32_e32 v164, 0x7fffffff, v20
	v_lshrrev_b32_e32 v101, 5, v24
	v_cmp_gt_u32_e64 s14, 8, v21
	v_cmp_lt_u32_e64 s15, 31, v21
	v_cmp_eq_u32_e64 s16, 0, v21
	v_mov_b32_e32 v5, 0
	v_add_co_u32 v102, null, v12, v4
	v_cmp_eq_u32_e64 s17, 0, v9
	v_cmp_lt_u32_e64 s18, 1, v9
	v_cmp_lt_u32_e64 s19, 3, v9
	v_add_nc_u32_e32 v114, -4, v112
	v_add_nc_u32_e32 v115, 0x80, v113
	v_add_nc_u32_e32 v116, 0x100, v113
	;; [unrolled: 1-line block ×14, first 2 shown]
	v_sub_nc_u32_e32 v147, v11, v10
	s_mov_b32 s24, 0
	s_waitcnt_vscnt null, 0x0
	s_barrier
	buffer_gl0_inv
	s_branch .LBB501_180
.LBB501_179:                            ;   in Loop: Header=BB501_180 Depth=1
	s_or_b32 exec_lo, exec_lo, s21
	s_and_b32 s20, exec_lo, s26
	s_or_b32 s24, s20, s24
	s_andn2_b32 exec_lo, exec_lo, s24
	s_cbranch_execz .LBB501_236
.LBB501_180:                            ; =>This Inner Loop Header: Depth=1
	v_min_u32_e32 v4, s23, v147
	v_mov_b32_e32 v150, v83
	v_mov_b32_e32 v22, v34
	;; [unrolled: 1-line block ×4, first 2 shown]
	v_lshlrev_b32_e64 v4, v4, -1
	v_lshrrev_b32_e32 v8, v10, v150
	v_mov_b32_e32 v18, v49
	v_mov_b32_e32 v19, v38
	;; [unrolled: 1-line block ×3, first 2 shown]
	v_not_b32_e32 v64, v4
	v_mov_b32_e32 v15, v50
	v_mov_b32_e32 v13, v52
	;; [unrolled: 1-line block ×4, first 2 shown]
	v_and_b32_e32 v4, v8, v64
	v_mov_b32_e32 v8, v54
	v_mov_b32_e32 v151, v81
	;; [unrolled: 1-line block ×4, first 2 shown]
	v_and_b32_e32 v28, 1, v4
	v_lshlrev_b32_e32 v29, 30, v4
	v_lshlrev_b32_e32 v30, 29, v4
	;; [unrolled: 1-line block ×4, first 2 shown]
	v_add_co_u32 v28, s20, v28, -1
	v_cndmask_b32_e64 v34, 0, 1, s20
	v_not_b32_e32 v48, v29
	v_cmp_gt_i32_e64 s21, 0, v29
	v_not_b32_e32 v29, v30
	v_lshlrev_b32_e32 v38, 26, v4
	v_cmp_ne_u32_e64 s20, 0, v34
	v_ashrrev_i32_e32 v48, 31, v48
	v_lshlrev_b32_e32 v39, 25, v4
	v_ashrrev_i32_e32 v29, 31, v29
	v_lshlrev_b32_e32 v34, 24, v4
	v_xor_b32_e32 v28, s20, v28
	v_cmp_gt_i32_e64 s20, 0, v30
	v_not_b32_e32 v30, v31
	v_xor_b32_e32 v48, s21, v48
	v_cmp_gt_i32_e64 s21, 0, v31
	v_and_b32_e32 v28, exec_lo, v28
	v_not_b32_e32 v31, v35
	v_ashrrev_i32_e32 v30, 31, v30
	v_xor_b32_e32 v29, s20, v29
	v_cmp_gt_i32_e64 s20, 0, v35
	v_and_b32_e32 v28, v28, v48
	v_not_b32_e32 v35, v38
	v_ashrrev_i32_e32 v31, 31, v31
	v_xor_b32_e32 v30, s21, v30
	v_cmp_gt_i32_e64 s21, 0, v38
	v_and_b32_e32 v28, v28, v29
	;; [unrolled: 5-line block ×4, first 2 shown]
	v_mov_b32_e32 v30, v32
	v_mov_b32_e32 v31, v33
	v_ashrrev_i32_e32 v32, 31, v38
	v_xor_b32_e32 v33, s20, v29
	v_and_b32_e32 v34, v28, v35
	v_lshl_add_u32 v4, v4, 3, v101
	v_mov_b32_e32 v28, v36
	v_xor_b32_e32 v32, s21, v32
	v_mov_b32_e32 v162, v67
	v_and_b32_e32 v33, v34, v33
	v_lshlrev_b64 v[34:35], 2, v[4:5]
	v_mov_b32_e32 v163, v65
	v_mov_b32_e32 v16, v51
	;; [unrolled: 1-line block ×3, first 2 shown]
	v_and_b32_e32 v33, v33, v32
	v_mov_b32_e32 v9, v55
	v_add_co_u32 v32, null, v12, v34
	v_mov_b32_e32 v29, v37
	v_mbcnt_lo_u32_b32 v4, v33, 0
	v_cmp_ne_u32_e64 s21, 0, v33
	v_add_co_u32 v32, null, v32, 32
	ds_write_b32 v25, v5
	ds_write_b32 v86, v5
	v_cmp_eq_u32_e64 s20, 0, v4
	ds_write_b32 v87, v5
	ds_write_b32 v96, v5
	;; [unrolled: 1-line block ×6, first 2 shown]
	s_and_b32 s21, s21, s20
	s_waitcnt lgkmcnt(0)
	s_barrier
	buffer_gl0_inv
	; wave barrier
	s_and_saveexec_b32 s20, s21
; %bb.181:                              ;   in Loop: Header=BB501_180 Depth=1
	v_bcnt_u32_b32 v33, v33, 0
	ds_write_b32 v32, v33
; %bb.182:                              ;   in Loop: Header=BB501_180 Depth=1
	s_or_b32 exec_lo, exec_lo, s20
	v_lshrrev_b32_e32 v33, v10, v163
	; wave barrier
	v_and_b32_e32 v33, v33, v64
	v_and_b32_e32 v34, 1, v33
	v_lshlrev_b32_e32 v35, 30, v33
	v_lshlrev_b32_e32 v36, 29, v33
	;; [unrolled: 1-line block ×4, first 2 shown]
	v_add_co_u32 v34, s20, v34, -1
	v_cndmask_b32_e64 v38, 0, 1, s20
	v_not_b32_e32 v50, v35
	v_cmp_gt_i32_e64 s21, 0, v35
	v_not_b32_e32 v35, v36
	v_lshlrev_b32_e32 v48, 26, v33
	v_cmp_ne_u32_e64 s20, 0, v38
	v_ashrrev_i32_e32 v50, 31, v50
	v_lshlrev_b32_e32 v49, 25, v33
	v_ashrrev_i32_e32 v35, 31, v35
	v_lshlrev_b32_e32 v38, 24, v33
	v_xor_b32_e32 v34, s20, v34
	v_cmp_gt_i32_e64 s20, 0, v36
	v_not_b32_e32 v36, v37
	v_xor_b32_e32 v50, s21, v50
	v_cmp_gt_i32_e64 s21, 0, v37
	v_and_b32_e32 v34, exec_lo, v34
	v_not_b32_e32 v37, v39
	v_ashrrev_i32_e32 v36, 31, v36
	v_xor_b32_e32 v35, s20, v35
	v_cmp_gt_i32_e64 s20, 0, v39
	v_and_b32_e32 v34, v34, v50
	v_not_b32_e32 v39, v48
	v_ashrrev_i32_e32 v37, 31, v37
	v_xor_b32_e32 v36, s21, v36
	v_cmp_gt_i32_e64 s21, 0, v48
	v_and_b32_e32 v34, v34, v35
	;; [unrolled: 5-line block ×3, first 2 shown]
	v_not_b32_e32 v36, v38
	v_ashrrev_i32_e32 v35, 31, v35
	v_xor_b32_e32 v39, s21, v39
	v_lshl_add_u32 v33, v33, 3, v101
	v_and_b32_e32 v34, v34, v37
	v_cmp_gt_i32_e64 s21, 0, v38
	v_ashrrev_i32_e32 v36, 31, v36
	v_xor_b32_e32 v35, s20, v35
	v_lshl_add_u32 v37, v33, 2, v12
	v_and_b32_e32 v34, v34, v39
	v_xor_b32_e32 v36, s21, v36
	ds_read_b32 v33, v37 offset:32
	v_and_b32_e32 v34, v34, v35
	v_add_nc_u32_e32 v35, 32, v37
	; wave barrier
	v_and_b32_e32 v36, v34, v36
	v_mbcnt_lo_u32_b32 v34, v36, 0
	v_cmp_ne_u32_e64 s21, 0, v36
	v_cmp_eq_u32_e64 s20, 0, v34
	s_and_b32 s21, s21, s20
	s_and_saveexec_b32 s20, s21
	s_cbranch_execz .LBB501_184
; %bb.183:                              ;   in Loop: Header=BB501_180 Depth=1
	s_waitcnt lgkmcnt(0)
	v_bcnt_u32_b32 v36, v36, v33
	ds_write_b32 v35, v36
.LBB501_184:                            ;   in Loop: Header=BB501_180 Depth=1
	s_or_b32 exec_lo, exec_lo, s20
	v_lshrrev_b32_e32 v36, v10, v162
	; wave barrier
	v_and_b32_e32 v36, v36, v64
	v_and_b32_e32 v37, 1, v36
	v_lshlrev_b32_e32 v38, 30, v36
	v_lshlrev_b32_e32 v39, 29, v36
	;; [unrolled: 1-line block ×4, first 2 shown]
	v_add_co_u32 v37, s20, v37, -1
	v_cndmask_b32_e64 v49, 0, 1, s20
	v_not_b32_e32 v53, v38
	v_cmp_gt_i32_e64 s21, 0, v38
	v_not_b32_e32 v38, v39
	v_lshlrev_b32_e32 v51, 26, v36
	v_cmp_ne_u32_e64 s20, 0, v49
	v_ashrrev_i32_e32 v53, 31, v53
	v_lshlrev_b32_e32 v52, 25, v36
	v_ashrrev_i32_e32 v38, 31, v38
	v_lshlrev_b32_e32 v49, 24, v36
	v_xor_b32_e32 v37, s20, v37
	v_cmp_gt_i32_e64 s20, 0, v39
	v_not_b32_e32 v39, v48
	v_xor_b32_e32 v53, s21, v53
	v_cmp_gt_i32_e64 s21, 0, v48
	v_and_b32_e32 v37, exec_lo, v37
	v_not_b32_e32 v48, v50
	v_ashrrev_i32_e32 v39, 31, v39
	v_xor_b32_e32 v38, s20, v38
	v_cmp_gt_i32_e64 s20, 0, v50
	v_and_b32_e32 v37, v37, v53
	v_not_b32_e32 v50, v51
	v_ashrrev_i32_e32 v48, 31, v48
	v_xor_b32_e32 v39, s21, v39
	v_cmp_gt_i32_e64 s21, 0, v51
	v_and_b32_e32 v37, v37, v38
	;; [unrolled: 5-line block ×3, first 2 shown]
	v_not_b32_e32 v39, v49
	v_ashrrev_i32_e32 v38, 31, v38
	v_xor_b32_e32 v50, s21, v50
	v_lshl_add_u32 v36, v36, 3, v101
	v_and_b32_e32 v37, v37, v48
	v_cmp_gt_i32_e64 s21, 0, v49
	v_ashrrev_i32_e32 v39, 31, v39
	v_xor_b32_e32 v38, s20, v38
	v_lshl_add_u32 v48, v36, 2, v12
	v_and_b32_e32 v37, v37, v50
	v_xor_b32_e32 v39, s21, v39
	ds_read_b32 v36, v48 offset:32
	v_and_b32_e32 v37, v37, v38
	v_add_nc_u32_e32 v38, 32, v48
	; wave barrier
	v_and_b32_e32 v39, v37, v39
	v_mbcnt_lo_u32_b32 v37, v39, 0
	v_cmp_ne_u32_e64 s21, 0, v39
	v_cmp_eq_u32_e64 s20, 0, v37
	s_and_b32 s21, s21, s20
	s_and_saveexec_b32 s20, s21
	s_cbranch_execz .LBB501_186
; %bb.185:                              ;   in Loop: Header=BB501_180 Depth=1
	s_waitcnt lgkmcnt(0)
	v_bcnt_u32_b32 v39, v39, v36
	ds_write_b32 v38, v39
.LBB501_186:                            ;   in Loop: Header=BB501_180 Depth=1
	s_or_b32 exec_lo, exec_lo, s20
	v_lshrrev_b32_e32 v39, v10, v161
	; wave barrier
	v_and_b32_e32 v39, v39, v64
	v_and_b32_e32 v48, 1, v39
	v_lshlrev_b32_e32 v49, 30, v39
	v_lshlrev_b32_e32 v50, 29, v39
	v_lshlrev_b32_e32 v51, 28, v39
	v_lshlrev_b32_e32 v53, 27, v39
	v_add_co_u32 v48, s20, v48, -1
	v_cndmask_b32_e64 v52, 0, 1, s20
	v_not_b32_e32 v65, v49
	v_cmp_gt_i32_e64 s21, 0, v49
	v_not_b32_e32 v49, v50
	v_lshlrev_b32_e32 v54, 26, v39
	v_cmp_ne_u32_e64 s20, 0, v52
	v_ashrrev_i32_e32 v65, 31, v65
	v_lshlrev_b32_e32 v55, 25, v39
	v_ashrrev_i32_e32 v49, 31, v49
	v_lshlrev_b32_e32 v52, 24, v39
	v_xor_b32_e32 v48, s20, v48
	v_cmp_gt_i32_e64 s20, 0, v50
	v_not_b32_e32 v50, v51
	v_xor_b32_e32 v65, s21, v65
	v_cmp_gt_i32_e64 s21, 0, v51
	v_and_b32_e32 v48, exec_lo, v48
	v_not_b32_e32 v51, v53
	v_ashrrev_i32_e32 v50, 31, v50
	v_xor_b32_e32 v49, s20, v49
	v_cmp_gt_i32_e64 s20, 0, v53
	v_and_b32_e32 v48, v48, v65
	v_not_b32_e32 v53, v54
	v_ashrrev_i32_e32 v51, 31, v51
	v_xor_b32_e32 v50, s21, v50
	v_cmp_gt_i32_e64 s21, 0, v54
	v_and_b32_e32 v48, v48, v49
	;; [unrolled: 5-line block ×3, first 2 shown]
	v_not_b32_e32 v50, v52
	v_ashrrev_i32_e32 v49, 31, v49
	v_xor_b32_e32 v53, s21, v53
	v_lshl_add_u32 v39, v39, 3, v101
	v_and_b32_e32 v48, v48, v51
	v_cmp_gt_i32_e64 s21, 0, v52
	v_ashrrev_i32_e32 v50, 31, v50
	v_xor_b32_e32 v49, s20, v49
	v_lshl_add_u32 v51, v39, 2, v12
	v_and_b32_e32 v48, v48, v53
	v_xor_b32_e32 v50, s21, v50
	ds_read_b32 v39, v51 offset:32
	v_and_b32_e32 v48, v48, v49
	v_add_nc_u32_e32 v49, 32, v51
	; wave barrier
	v_and_b32_e32 v50, v48, v50
	v_mbcnt_lo_u32_b32 v48, v50, 0
	v_cmp_ne_u32_e64 s21, 0, v50
	v_cmp_eq_u32_e64 s20, 0, v48
	s_and_b32 s21, s21, s20
	s_and_saveexec_b32 s20, s21
	s_cbranch_execz .LBB501_188
; %bb.187:                              ;   in Loop: Header=BB501_180 Depth=1
	s_waitcnt lgkmcnt(0)
	v_bcnt_u32_b32 v50, v50, v39
	ds_write_b32 v49, v50
.LBB501_188:                            ;   in Loop: Header=BB501_180 Depth=1
	s_or_b32 exec_lo, exec_lo, s20
	v_lshrrev_b32_e32 v50, v10, v160
	; wave barrier
	v_and_b32_e32 v50, v50, v64
	v_and_b32_e32 v51, 1, v50
	v_lshlrev_b32_e32 v52, 30, v50
	v_lshlrev_b32_e32 v53, 29, v50
	;; [unrolled: 1-line block ×4, first 2 shown]
	v_add_co_u32 v51, s20, v51, -1
	v_cndmask_b32_e64 v55, 0, 1, s20
	v_not_b32_e32 v68, v52
	v_cmp_gt_i32_e64 s21, 0, v52
	v_not_b32_e32 v52, v53
	v_lshlrev_b32_e32 v66, 26, v50
	v_cmp_ne_u32_e64 s20, 0, v55
	v_ashrrev_i32_e32 v68, 31, v68
	v_lshlrev_b32_e32 v67, 25, v50
	v_ashrrev_i32_e32 v52, 31, v52
	v_lshlrev_b32_e32 v55, 24, v50
	v_xor_b32_e32 v51, s20, v51
	v_cmp_gt_i32_e64 s20, 0, v53
	v_not_b32_e32 v53, v54
	v_xor_b32_e32 v68, s21, v68
	v_cmp_gt_i32_e64 s21, 0, v54
	v_and_b32_e32 v51, exec_lo, v51
	v_not_b32_e32 v54, v65
	v_ashrrev_i32_e32 v53, 31, v53
	v_xor_b32_e32 v52, s20, v52
	v_cmp_gt_i32_e64 s20, 0, v65
	v_and_b32_e32 v51, v51, v68
	v_not_b32_e32 v65, v66
	v_ashrrev_i32_e32 v54, 31, v54
	v_xor_b32_e32 v53, s21, v53
	v_cmp_gt_i32_e64 s21, 0, v66
	v_and_b32_e32 v51, v51, v52
	;; [unrolled: 5-line block ×3, first 2 shown]
	v_not_b32_e32 v53, v55
	v_ashrrev_i32_e32 v52, 31, v52
	v_xor_b32_e32 v65, s21, v65
	v_lshl_add_u32 v50, v50, 3, v101
	v_and_b32_e32 v51, v51, v54
	v_cmp_gt_i32_e64 s21, 0, v55
	v_ashrrev_i32_e32 v53, 31, v53
	v_xor_b32_e32 v52, s20, v52
	v_lshl_add_u32 v54, v50, 2, v12
	v_and_b32_e32 v51, v51, v65
	v_xor_b32_e32 v53, s21, v53
	ds_read_b32 v50, v54 offset:32
	v_and_b32_e32 v51, v51, v52
	v_add_nc_u32_e32 v52, 32, v54
	; wave barrier
	v_and_b32_e32 v53, v51, v53
	v_mbcnt_lo_u32_b32 v51, v53, 0
	v_cmp_ne_u32_e64 s21, 0, v53
	v_cmp_eq_u32_e64 s20, 0, v51
	s_and_b32 s21, s21, s20
	s_and_saveexec_b32 s20, s21
	s_cbranch_execz .LBB501_190
; %bb.189:                              ;   in Loop: Header=BB501_180 Depth=1
	s_waitcnt lgkmcnt(0)
	v_bcnt_u32_b32 v53, v53, v50
	ds_write_b32 v52, v53
.LBB501_190:                            ;   in Loop: Header=BB501_180 Depth=1
	s_or_b32 exec_lo, exec_lo, s20
	v_lshrrev_b32_e32 v53, v10, v151
	; wave barrier
	v_and_b32_e32 v53, v53, v64
	v_and_b32_e32 v54, 1, v53
	v_lshlrev_b32_e32 v55, 30, v53
	v_lshlrev_b32_e32 v65, 29, v53
	;; [unrolled: 1-line block ×4, first 2 shown]
	v_add_co_u32 v54, s20, v54, -1
	v_cndmask_b32_e64 v67, 0, 1, s20
	v_not_b32_e32 v71, v55
	v_cmp_gt_i32_e64 s21, 0, v55
	v_not_b32_e32 v55, v65
	v_lshlrev_b32_e32 v69, 26, v53
	v_cmp_ne_u32_e64 s20, 0, v67
	v_ashrrev_i32_e32 v71, 31, v71
	v_lshlrev_b32_e32 v70, 25, v53
	v_ashrrev_i32_e32 v55, 31, v55
	v_lshlrev_b32_e32 v67, 24, v53
	v_xor_b32_e32 v54, s20, v54
	v_cmp_gt_i32_e64 s20, 0, v65
	v_not_b32_e32 v65, v66
	v_xor_b32_e32 v71, s21, v71
	v_cmp_gt_i32_e64 s21, 0, v66
	v_and_b32_e32 v54, exec_lo, v54
	v_not_b32_e32 v66, v68
	v_ashrrev_i32_e32 v65, 31, v65
	v_xor_b32_e32 v55, s20, v55
	v_cmp_gt_i32_e64 s20, 0, v68
	v_and_b32_e32 v54, v54, v71
	v_not_b32_e32 v68, v69
	v_ashrrev_i32_e32 v66, 31, v66
	v_xor_b32_e32 v65, s21, v65
	v_cmp_gt_i32_e64 s21, 0, v69
	v_and_b32_e32 v54, v54, v55
	;; [unrolled: 5-line block ×3, first 2 shown]
	v_not_b32_e32 v65, v67
	v_ashrrev_i32_e32 v55, 31, v55
	v_xor_b32_e32 v68, s21, v68
	v_lshl_add_u32 v53, v53, 3, v101
	v_and_b32_e32 v54, v54, v66
	v_cmp_gt_i32_e64 s21, 0, v67
	v_ashrrev_i32_e32 v65, 31, v65
	v_xor_b32_e32 v55, s20, v55
	v_lshl_add_u32 v66, v53, 2, v12
	v_and_b32_e32 v54, v54, v68
	v_xor_b32_e32 v65, s21, v65
	ds_read_b32 v53, v66 offset:32
	v_and_b32_e32 v54, v54, v55
	v_add_nc_u32_e32 v55, 32, v66
	; wave barrier
	v_and_b32_e32 v65, v54, v65
	v_mbcnt_lo_u32_b32 v54, v65, 0
	v_cmp_ne_u32_e64 s21, 0, v65
	v_cmp_eq_u32_e64 s20, 0, v54
	s_and_b32 s21, s21, s20
	s_and_saveexec_b32 s20, s21
	s_cbranch_execz .LBB501_192
; %bb.191:                              ;   in Loop: Header=BB501_180 Depth=1
	s_waitcnt lgkmcnt(0)
	v_bcnt_u32_b32 v65, v65, v53
	ds_write_b32 v55, v65
.LBB501_192:                            ;   in Loop: Header=BB501_180 Depth=1
	s_or_b32 exec_lo, exec_lo, s20
	v_lshrrev_b32_e32 v65, v10, v149
	; wave barrier
	v_and_b32_e32 v65, v65, v64
	v_and_b32_e32 v66, 1, v65
	v_lshlrev_b32_e32 v67, 30, v65
	v_lshlrev_b32_e32 v68, 29, v65
	;; [unrolled: 1-line block ×4, first 2 shown]
	v_add_co_u32 v66, s20, v66, -1
	v_cndmask_b32_e64 v70, 0, 1, s20
	v_not_b32_e32 v82, v67
	v_cmp_gt_i32_e64 s21, 0, v67
	v_not_b32_e32 v67, v68
	v_lshlrev_b32_e32 v80, 26, v65
	v_cmp_ne_u32_e64 s20, 0, v70
	v_ashrrev_i32_e32 v82, 31, v82
	v_lshlrev_b32_e32 v81, 25, v65
	v_ashrrev_i32_e32 v67, 31, v67
	v_lshlrev_b32_e32 v70, 24, v65
	v_xor_b32_e32 v66, s20, v66
	v_cmp_gt_i32_e64 s20, 0, v68
	v_not_b32_e32 v68, v69
	v_xor_b32_e32 v82, s21, v82
	v_cmp_gt_i32_e64 s21, 0, v69
	v_and_b32_e32 v66, exec_lo, v66
	v_not_b32_e32 v69, v71
	v_ashrrev_i32_e32 v68, 31, v68
	v_xor_b32_e32 v67, s20, v67
	v_cmp_gt_i32_e64 s20, 0, v71
	v_and_b32_e32 v66, v66, v82
	v_not_b32_e32 v71, v80
	v_ashrrev_i32_e32 v69, 31, v69
	v_xor_b32_e32 v68, s21, v68
	v_cmp_gt_i32_e64 s21, 0, v80
	v_and_b32_e32 v66, v66, v67
	;; [unrolled: 5-line block ×3, first 2 shown]
	v_not_b32_e32 v68, v70
	v_ashrrev_i32_e32 v67, 31, v67
	v_xor_b32_e32 v71, s21, v71
	v_lshl_add_u32 v65, v65, 3, v101
	v_and_b32_e32 v66, v66, v69
	v_cmp_gt_i32_e64 s21, 0, v70
	v_ashrrev_i32_e32 v68, 31, v68
	v_xor_b32_e32 v67, s20, v67
	v_lshl_add_u32 v65, v65, 2, v12
	v_and_b32_e32 v66, v66, v71
	v_xor_b32_e32 v68, s21, v68
	ds_read_b32 v82, v65 offset:32
	v_and_b32_e32 v66, v66, v67
	v_add_nc_u32_e32 v65, 32, v65
	; wave barrier
	v_and_b32_e32 v66, v66, v68
	v_mbcnt_lo_u32_b32 v84, v66, 0
	v_cmp_ne_u32_e64 s21, 0, v66
	v_cmp_eq_u32_e64 s20, 0, v84
	s_and_b32 s21, s21, s20
	s_and_saveexec_b32 s20, s21
	s_cbranch_execz .LBB501_194
; %bb.193:                              ;   in Loop: Header=BB501_180 Depth=1
	s_waitcnt lgkmcnt(0)
	v_bcnt_u32_b32 v66, v66, v82
	ds_write_b32 v65, v66
.LBB501_194:                            ;   in Loop: Header=BB501_180 Depth=1
	s_or_b32 exec_lo, exec_lo, s20
	v_lshrrev_b32_e32 v66, v10, v148
	; wave barrier
	v_and_b32_e32 v64, v66, v64
	v_and_b32_e32 v66, 1, v64
	v_lshlrev_b32_e32 v67, 30, v64
	v_lshlrev_b32_e32 v68, 29, v64
	;; [unrolled: 1-line block ×4, first 2 shown]
	v_add_co_u32 v66, s20, v66, -1
	v_cndmask_b32_e64 v70, 0, 1, s20
	v_not_b32_e32 v83, v67
	v_cmp_gt_i32_e64 s21, 0, v67
	v_not_b32_e32 v67, v68
	v_lshlrev_b32_e32 v80, 26, v64
	v_cmp_ne_u32_e64 s20, 0, v70
	v_ashrrev_i32_e32 v83, 31, v83
	v_lshlrev_b32_e32 v81, 25, v64
	v_ashrrev_i32_e32 v67, 31, v67
	v_lshlrev_b32_e32 v70, 24, v64
	v_xor_b32_e32 v66, s20, v66
	v_cmp_gt_i32_e64 s20, 0, v68
	v_not_b32_e32 v68, v69
	v_xor_b32_e32 v83, s21, v83
	v_cmp_gt_i32_e64 s21, 0, v69
	v_and_b32_e32 v66, exec_lo, v66
	v_not_b32_e32 v69, v71
	v_ashrrev_i32_e32 v68, 31, v68
	v_xor_b32_e32 v67, s20, v67
	v_cmp_gt_i32_e64 s20, 0, v71
	v_and_b32_e32 v66, v66, v83
	v_not_b32_e32 v71, v80
	v_ashrrev_i32_e32 v69, 31, v69
	v_xor_b32_e32 v68, s21, v68
	v_cmp_gt_i32_e64 s21, 0, v80
	v_and_b32_e32 v66, v66, v67
	;; [unrolled: 5-line block ×3, first 2 shown]
	v_not_b32_e32 v68, v70
	v_ashrrev_i32_e32 v67, 31, v67
	v_xor_b32_e32 v71, s21, v71
	v_lshl_add_u32 v64, v64, 3, v101
	v_and_b32_e32 v66, v66, v69
	v_cmp_gt_i32_e64 s21, 0, v70
	v_ashrrev_i32_e32 v68, 31, v68
	v_xor_b32_e32 v67, s20, v67
	v_lshl_add_u32 v64, v64, 2, v12
	v_and_b32_e32 v66, v66, v71
	v_xor_b32_e32 v68, s21, v68
	ds_read_b32 v164, v64 offset:32
	v_and_b32_e32 v66, v66, v67
	v_add_nc_u32_e32 v64, 32, v64
	; wave barrier
	v_and_b32_e32 v66, v66, v68
	v_mbcnt_lo_u32_b32 v165, v66, 0
	v_cmp_ne_u32_e64 s21, 0, v66
	v_cmp_eq_u32_e64 s20, 0, v165
	s_and_b32 s21, s21, s20
	s_and_saveexec_b32 s20, s21
	s_cbranch_execz .LBB501_196
; %bb.195:                              ;   in Loop: Header=BB501_180 Depth=1
	s_waitcnt lgkmcnt(0)
	v_bcnt_u32_b32 v66, v66, v164
	ds_write_b32 v64, v66
.LBB501_196:                            ;   in Loop: Header=BB501_180 Depth=1
	s_or_b32 exec_lo, exec_lo, s20
	; wave barrier
	s_waitcnt lgkmcnt(0)
	s_barrier
	buffer_gl0_inv
	ds_read_b32 v67, v25
	ds_read_b32 v68, v86
	;; [unrolled: 1-line block ×8, first 2 shown]
	s_waitcnt lgkmcnt(6)
	v_add_nc_u32_e32 v83, v68, v67
	s_waitcnt lgkmcnt(4)
	v_add3_u32 v83, v83, v69, v70
	s_waitcnt lgkmcnt(2)
	v_add3_u32 v83, v83, v71, v80
	;; [unrolled: 2-line block ×3, first 2 shown]
	v_mov_b32_dpp v83, v81 row_shr:1 row_mask:0xf bank_mask:0xf
	v_cndmask_b32_e64 v83, v83, 0, vcc_lo
	v_add_nc_u32_e32 v81, v83, v81
	v_mov_b32_dpp v83, v81 row_shr:2 row_mask:0xf bank_mask:0xf
	v_cndmask_b32_e64 v83, 0, v83, s4
	v_add_nc_u32_e32 v81, v81, v83
	v_mov_b32_dpp v83, v81 row_shr:4 row_mask:0xf bank_mask:0xf
	v_cndmask_b32_e64 v83, 0, v83, s5
	;; [unrolled: 3-line block ×3, first 2 shown]
	v_add_nc_u32_e32 v81, v81, v83
	ds_swizzle_b32 v83, v81 offset:swizzle(BROADCAST,32,15)
	s_waitcnt lgkmcnt(0)
	v_cndmask_b32_e64 v83, v83, 0, s10
	v_add_nc_u32_e32 v81, v81, v83
	s_and_saveexec_b32 s20, s11
; %bb.197:                              ;   in Loop: Header=BB501_180 Depth=1
	ds_write_b32 v112, v81
; %bb.198:                              ;   in Loop: Header=BB501_180 Depth=1
	s_or_b32 exec_lo, exec_lo, s20
	s_waitcnt lgkmcnt(0)
	s_barrier
	buffer_gl0_inv
	s_and_saveexec_b32 s20, s14
	s_cbranch_execz .LBB501_200
; %bb.199:                              ;   in Loop: Header=BB501_180 Depth=1
	ds_read_b32 v83, v102
	s_waitcnt lgkmcnt(0)
	v_mov_b32_dpp v85, v83 row_shr:1 row_mask:0xf bank_mask:0xf
	v_cndmask_b32_e64 v85, v85, 0, s17
	v_add_nc_u32_e32 v83, v85, v83
	v_mov_b32_dpp v85, v83 row_shr:2 row_mask:0xf bank_mask:0xf
	v_cndmask_b32_e64 v85, 0, v85, s18
	v_add_nc_u32_e32 v83, v83, v85
	v_mov_b32_dpp v85, v83 row_shr:4 row_mask:0xf bank_mask:0xf
	v_cndmask_b32_e64 v85, 0, v85, s19
	v_add_nc_u32_e32 v83, v83, v85
	ds_write_b32 v102, v83
.LBB501_200:                            ;   in Loop: Header=BB501_180 Depth=1
	s_or_b32 exec_lo, exec_lo, s20
	v_mov_b32_e32 v83, 0
	s_waitcnt lgkmcnt(0)
	s_barrier
	buffer_gl0_inv
	s_and_saveexec_b32 s20, s15
; %bb.201:                              ;   in Loop: Header=BB501_180 Depth=1
	ds_read_b32 v83, v114
; %bb.202:                              ;   in Loop: Header=BB501_180 Depth=1
	s_or_b32 exec_lo, exec_lo, s20
	s_waitcnt lgkmcnt(0)
	v_add_nc_u32_e32 v81, v83, v81
	v_mov_b32_e32 v85, v5
	v_add_nc_u32_e32 v10, 8, v10
	s_mov_b32 s26, -1
	ds_bpermute_b32 v81, v103, v81
	v_cmp_lt_u32_e64 s20, v10, v11
	s_waitcnt lgkmcnt(0)
	v_cndmask_b32_e64 v81, v81, v83, s6
	v_mov_b32_e32 v83, v5
	v_cndmask_b32_e64 v81, v81, 0, s16
	v_add_nc_u32_e32 v67, v81, v67
	v_add_nc_u32_e32 v68, v67, v68
	ds_write_b32 v25, v81
	ds_write_b32 v86, v67
	;; [unrolled: 1-line block ×3, first 2 shown]
	v_mov_b32_e32 v67, v5
	v_add_nc_u32_e32 v69, v68, v69
	v_mov_b32_e32 v81, v5
	v_add_nc_u32_e32 v70, v69, v70
	v_add_nc_u32_e32 v71, v70, v71
	;; [unrolled: 1-line block ×4, first 2 shown]
	ds_write_b32 v96, v69
	ds_write_b32 v97, v70
	;; [unrolled: 1-line block ×5, first 2 shown]
	s_waitcnt lgkmcnt(0)
	s_barrier
	buffer_gl0_inv
	ds_read_b32 v32, v32
	ds_read_b32 v35, v35
	;; [unrolled: 1-line block ×8, first 2 shown]
	v_mov_b32_e32 v71, v5
	v_mov_b32_e32 v65, v5
	;; [unrolled: 1-line block ×3, first 2 shown]
	s_waitcnt lgkmcnt(0)
	v_add_nc_u32_e32 v4, v32, v4
	v_add3_u32 v66, v34, v33, v35
	v_add3_u32 v70, v37, v36, v38
	v_add3_u32 v64, v48, v39, v49
	v_add3_u32 v68, v51, v50, v52
	v_add3_u32 v80, v54, v53, v55
	v_lshlrev_b64 v[32:33], 2, v[4:5]
	v_add3_u32 v82, v84, v82, v166
	v_add3_u32 v84, v165, v164, v167
	v_lshlrev_b64 v[33:34], 2, v[66:67]
	v_lshlrev_b64 v[34:35], 2, v[70:71]
	;; [unrolled: 1-line block ×7, first 2 shown]
	v_add_co_u32 v180, null, v12, v32
	v_add_co_u32 v179, null, v12, v33
	;; [unrolled: 1-line block ×8, first 2 shown]
                                        ; implicit-def: $vgpr164
                                        ; implicit-def: $vgpr85
                                        ; implicit-def: $vgpr81
                                        ; implicit-def: $vgpr71
                                        ; implicit-def: $vgpr69
                                        ; implicit-def: $vgpr67
                                        ; implicit-def: $vgpr65
                                        ; implicit-def: $vgpr83
                                        ; implicit-def: $vgpr34_vgpr35
                                        ; implicit-def: $vgpr38_vgpr39
                                        ; implicit-def: $vgpr48_vgpr49
                                        ; implicit-def: $vgpr50_vgpr51
                                        ; implicit-def: $vgpr52_vgpr53
                                        ; implicit-def: $vgpr54_vgpr55
                                        ; implicit-def: $vgpr32_vgpr33
                                        ; implicit-def: $vgpr36_vgpr37
	s_and_saveexec_b32 s21, s20
	s_cbranch_execz .LBB501_179
; %bb.203:                              ;   in Loop: Header=BB501_180 Depth=1
	v_lshl_add_u32 v32, v4, 2, v180
	v_lshl_add_u32 v33, v66, 2, v179
	;; [unrolled: 1-line block ×3, first 2 shown]
	s_barrier
	buffer_gl0_inv
	ds_write_b32 v180, v150
	ds_write_b32 v179, v163
	;; [unrolled: 1-line block ×8, first 2 shown]
	s_waitcnt lgkmcnt(0)
	s_barrier
	buffer_gl0_inv
	ds_read_b32 v83, v113
	ds_read_b32 v65, v115
	;; [unrolled: 1-line block ×8, first 2 shown]
	s_waitcnt lgkmcnt(0)
	s_barrier
	buffer_gl0_inv
	ds_write_b64 v32, v[22:23]
	ds_write_b64 v33, v[19:20]
	;; [unrolled: 1-line block ×3, first 2 shown]
	v_lshl_add_u32 v32, v64, 2, v177
	v_lshl_add_u32 v33, v68, 2, v176
	;; [unrolled: 1-line block ×5, first 2 shown]
	ds_write_b64 v32, v[15:16]
	ds_write_b64 v33, v[13:14]
	;; [unrolled: 1-line block ×5, first 2 shown]
	s_waitcnt lgkmcnt(0)
	s_barrier
	buffer_gl0_inv
	ds_read_b64 v[34:35], v118
	ds_read_b64 v[38:39], v132
	;; [unrolled: 1-line block ×8, first 2 shown]
	v_add_nc_u32_e32 v147, -8, v147
	s_xor_b32 s26, exec_lo, -1
	s_waitcnt lgkmcnt(0)
	s_barrier
	buffer_gl0_inv
	s_branch .LBB501_179
.LBB501_204:
	flat_load_dwordx2 v[68:69], v[4:5]
	s_or_b32 exec_lo, exec_lo, s24
                                        ; implicit-def: $vgpr80_vgpr81
	s_and_saveexec_b32 s24, s4
	s_cbranch_execz .LBB501_38
.LBB501_205:
	flat_load_dwordx2 v[80:81], v[4:5] offset:256
	s_or_b32 exec_lo, exec_lo, s24
                                        ; implicit-def: $vgpr66_vgpr67
	s_and_saveexec_b32 s4, s5
	s_cbranch_execz .LBB501_39
.LBB501_206:
	flat_load_dwordx2 v[66:67], v[4:5] offset:512
	s_or_b32 exec_lo, exec_lo, s4
                                        ; implicit-def: $vgpr70_vgpr71
	s_and_saveexec_b32 s4, s6
	s_cbranch_execz .LBB501_40
.LBB501_207:
	flat_load_dwordx2 v[70:71], v[4:5] offset:768
	s_or_b32 exec_lo, exec_lo, s4
                                        ; implicit-def: $vgpr82_vgpr83
	s_and_saveexec_b32 s4, s7
	s_cbranch_execz .LBB501_41
.LBB501_208:
	flat_load_dwordx2 v[82:83], v[4:5] offset:1024
	s_or_b32 exec_lo, exec_lo, s4
                                        ; implicit-def: $vgpr86_vgpr87
	s_and_saveexec_b32 s4, s10
	s_cbranch_execz .LBB501_42
.LBB501_209:
	flat_load_dwordx2 v[86:87], v[4:5] offset:1280
	s_or_b32 exec_lo, exec_lo, s4
                                        ; implicit-def: $vgpr84_vgpr85
	s_and_saveexec_b32 s4, s11
	s_cbranch_execz .LBB501_43
.LBB501_210:
	flat_load_dwordx2 v[84:85], v[4:5] offset:1536
	s_or_b32 exec_lo, exec_lo, s4
                                        ; implicit-def: $vgpr96_vgpr97
	s_and_saveexec_b32 s4, s14
	s_cbranch_execz .LBB501_44
.LBB501_211:
	flat_load_dwordx2 v[96:97], v[4:5] offset:1792
	s_or_b32 exec_lo, exec_lo, s4
                                        ; implicit-def: $vgpr98_vgpr99
	s_and_saveexec_b32 s4, s20
	s_cbranch_execz .LBB501_45
.LBB501_212:
	v_add_co_u32 v8, vcc_lo, 0x800, v4
	v_add_co_ci_u32_e64 v9, null, 0, v5, vcc_lo
	flat_load_dwordx2 v[98:99], v[8:9]
	s_or_b32 exec_lo, exec_lo, s4
                                        ; implicit-def: $vgpr100_vgpr101
	s_and_saveexec_b32 s4, s16
	s_cbranch_execz .LBB501_46
.LBB501_213:
	v_add_co_u32 v8, vcc_lo, 0x800, v4
	v_add_co_ci_u32_e64 v9, null, 0, v5, vcc_lo
	flat_load_dwordx2 v[100:101], v[8:9] offset:256
	s_or_b32 exec_lo, exec_lo, s4
                                        ; implicit-def: $vgpr102_vgpr103
	s_and_saveexec_b32 s4, s21
	s_cbranch_execz .LBB501_47
.LBB501_214:
	v_add_co_u32 v8, vcc_lo, 0x800, v4
	v_add_co_ci_u32_e64 v9, null, 0, v5, vcc_lo
	flat_load_dwordx2 v[102:103], v[8:9] offset:512
	s_or_b32 exec_lo, exec_lo, s4
                                        ; implicit-def: $vgpr117_vgpr118
	s_and_saveexec_b32 s4, s17
	s_cbranch_execz .LBB501_48
.LBB501_215:
	v_add_co_u32 v8, vcc_lo, 0x800, v4
	v_add_co_ci_u32_e64 v9, null, 0, v5, vcc_lo
	flat_load_dwordx2 v[117:118], v[8:9] offset:768
	s_or_b32 exec_lo, exec_lo, s4
                                        ; implicit-def: $vgpr149_vgpr150
	s_and_saveexec_b32 s4, s22
	s_cbranch_execz .LBB501_49
.LBB501_216:
	v_add_co_u32 v8, vcc_lo, 0x800, v4
	v_add_co_ci_u32_e64 v9, null, 0, v5, vcc_lo
	flat_load_dwordx2 v[149:150], v[8:9] offset:1024
	s_or_b32 exec_lo, exec_lo, s4
                                        ; implicit-def: $vgpr160_vgpr161
	s_and_saveexec_b32 s4, s18
	s_cbranch_execz .LBB501_50
.LBB501_217:
	v_add_co_u32 v8, vcc_lo, 0x800, v4
	v_add_co_ci_u32_e64 v9, null, 0, v5, vcc_lo
	flat_load_dwordx2 v[160:161], v[8:9] offset:1280
	s_or_b32 exec_lo, exec_lo, s4
                                        ; implicit-def: $vgpr177_vgpr178
	s_and_saveexec_b32 s4, s23
	s_cbranch_execz .LBB501_51
.LBB501_218:
	v_add_co_u32 v8, vcc_lo, 0x800, v4
	v_add_co_ci_u32_e64 v9, null, 0, v5, vcc_lo
	flat_load_dwordx2 v[177:178], v[8:9] offset:1536
	s_or_b32 exec_lo, exec_lo, s4
                                        ; implicit-def: $vgpr182_vgpr183
	s_and_saveexec_b32 s4, s19
	s_cbranch_execz .LBB501_52
.LBB501_219:
	v_add_co_u32 v8, vcc_lo, 0x800, v4
	v_add_co_ci_u32_e64 v9, null, 0, v5, vcc_lo
	flat_load_dwordx2 v[182:183], v[8:9] offset:1792
	s_or_b32 exec_lo, exec_lo, s4
                                        ; implicit-def: $vgpr192_vgpr193
	s_and_saveexec_b32 s4, s15
	s_cbranch_execnz .LBB501_53
	s_branch .LBB501_54
.LBB501_220:
	flat_store_dwordx2 v[0:1], v[36:37]
	s_or_b32 exec_lo, exec_lo, s24
	s_and_saveexec_b32 s24, s5
	s_cbranch_execz .LBB501_134
.LBB501_221:
	v_add_co_u32 v2, vcc_lo, 0x800, v0
	v_add_co_ci_u32_e64 v3, null, 0, v1, vcc_lo
	flat_store_dwordx2 v[2:3], v[38:39]
	s_or_b32 exec_lo, exec_lo, s24
	s_and_saveexec_b32 s5, s4
	s_cbranch_execz .LBB501_135
.LBB501_222:
	v_add_co_u32 v2, vcc_lo, 0x1000, v0
	v_add_co_ci_u32_e64 v3, null, 0, v1, vcc_lo
	flat_store_dwordx2 v[2:3], v[32:33]
	s_or_b32 exec_lo, exec_lo, s5
	s_and_saveexec_b32 s4, s6
	s_cbranch_execz .LBB501_136
.LBB501_223:
	v_add_co_u32 v2, vcc_lo, 0x1800, v0
	v_add_co_ci_u32_e64 v3, null, 0, v1, vcc_lo
	flat_store_dwordx2 v[2:3], v[34:35]
	s_or_b32 exec_lo, exec_lo, s4
	s_and_saveexec_b32 s4, s7
	s_cbranch_execz .LBB501_137
.LBB501_224:
	v_add_co_u32 v2, vcc_lo, 0x2000, v0
	v_add_co_ci_u32_e64 v3, null, 0, v1, vcc_lo
	flat_store_dwordx2 v[2:3], v[28:29]
	s_or_b32 exec_lo, exec_lo, s4
	s_and_saveexec_b32 s4, s10
	s_cbranch_execz .LBB501_138
.LBB501_225:
	v_add_co_u32 v2, vcc_lo, 0x2800, v0
	v_add_co_ci_u32_e64 v3, null, 0, v1, vcc_lo
	flat_store_dwordx2 v[2:3], v[30:31]
	s_or_b32 exec_lo, exec_lo, s4
	s_and_saveexec_b32 s4, s11
	s_cbranch_execz .LBB501_139
.LBB501_226:
	v_add_co_u32 v2, vcc_lo, 0x3000, v0
	v_add_co_ci_u32_e64 v3, null, 0, v1, vcc_lo
	flat_store_dwordx2 v[2:3], v[24:25]
	s_or_b32 exec_lo, exec_lo, s4
	s_and_saveexec_b32 s4, s14
	s_cbranch_execz .LBB501_140
.LBB501_227:
	v_add_co_u32 v2, vcc_lo, 0x3800, v0
	v_add_co_ci_u32_e64 v3, null, 0, v1, vcc_lo
	flat_store_dwordx2 v[2:3], v[26:27]
	s_or_b32 exec_lo, exec_lo, s4
	s_and_saveexec_b32 s4, s15
	s_cbranch_execz .LBB501_141
.LBB501_228:
	v_add_co_u32 v2, vcc_lo, 0x4000, v0
	v_add_co_ci_u32_e64 v3, null, 0, v1, vcc_lo
	flat_store_dwordx2 v[2:3], v[20:21]
	s_or_b32 exec_lo, exec_lo, s4
	s_and_saveexec_b32 s4, s16
	s_cbranch_execz .LBB501_142
.LBB501_229:
	v_add_co_u32 v2, vcc_lo, 0x4800, v0
	v_add_co_ci_u32_e64 v3, null, 0, v1, vcc_lo
	flat_store_dwordx2 v[2:3], v[22:23]
	s_or_b32 exec_lo, exec_lo, s4
	s_and_saveexec_b32 s4, s17
	s_cbranch_execz .LBB501_143
.LBB501_230:
	v_add_co_u32 v2, vcc_lo, 0x5000, v0
	v_add_co_ci_u32_e64 v3, null, 0, v1, vcc_lo
	flat_store_dwordx2 v[2:3], v[16:17]
	s_or_b32 exec_lo, exec_lo, s4
	s_and_saveexec_b32 s4, s18
	s_cbranch_execz .LBB501_144
.LBB501_231:
	v_add_co_u32 v2, vcc_lo, 0x5800, v0
	v_add_co_ci_u32_e64 v3, null, 0, v1, vcc_lo
	flat_store_dwordx2 v[2:3], v[18:19]
	s_or_b32 exec_lo, exec_lo, s4
	s_and_saveexec_b32 s4, s19
	s_cbranch_execz .LBB501_145
.LBB501_232:
	v_add_co_u32 v2, vcc_lo, 0x6000, v0
	v_add_co_ci_u32_e64 v3, null, 0, v1, vcc_lo
	flat_store_dwordx2 v[2:3], v[12:13]
	s_or_b32 exec_lo, exec_lo, s4
	s_and_saveexec_b32 s4, s20
	s_cbranch_execz .LBB501_146
.LBB501_233:
	v_add_co_u32 v2, vcc_lo, 0x6800, v0
	v_add_co_ci_u32_e64 v3, null, 0, v1, vcc_lo
	flat_store_dwordx2 v[2:3], v[14:15]
	s_or_b32 exec_lo, exec_lo, s4
	s_and_saveexec_b32 s4, s21
	s_cbranch_execz .LBB501_147
.LBB501_234:
	v_add_co_u32 v2, vcc_lo, 0x7000, v0
	v_add_co_ci_u32_e64 v3, null, 0, v1, vcc_lo
	flat_store_dwordx2 v[2:3], v[8:9]
	s_or_b32 exec_lo, exec_lo, s4
	s_and_saveexec_b32 s4, s22
	s_cbranch_execz .LBB501_148
.LBB501_235:
	v_add_co_u32 v2, vcc_lo, 0x7800, v0
	v_add_co_ci_u32_e64 v3, null, 0, v1, vcc_lo
	flat_store_dwordx2 v[2:3], v[10:11]
	s_or_b32 exec_lo, exec_lo, s4
	s_and_saveexec_b32 s4, s23
	s_cbranch_execnz .LBB501_149
	s_branch .LBB501_150
.LBB501_236:
	s_or_b32 exec_lo, exec_lo, s24
	v_lshl_add_u32 v4, v4, 2, v180
	v_lshl_add_u32 v5, v66, 2, v179
	;; [unrolled: 1-line block ×3, first 2 shown]
	s_barrier
	buffer_gl0_inv
	ds_write_b32 v180, v150
	ds_write_b32 v179, v163
	;; [unrolled: 1-line block ×8, first 2 shown]
	s_waitcnt lgkmcnt(0)
	s_barrier
	buffer_gl0_inv
	ds_read2st64_b32 v[38:39], v102 offset1:4
	ds_read2st64_b32 v[36:37], v102 offset0:8 offset1:12
	ds_read2st64_b32 v[34:35], v102 offset0:16 offset1:20
	;; [unrolled: 1-line block ×3, first 2 shown]
	s_waitcnt lgkmcnt(0)
	s_barrier
	buffer_gl0_inv
	ds_write_b64 v4, v[22:23]
	ds_write_b64 v5, v[19:20]
	v_lshl_add_u32 v4, v64, 2, v177
	v_lshl_add_u32 v5, v68, 2, v176
	ds_write_b64 v10, v[17:18]
	v_lshl_add_u32 v10, v80, 2, v167
	v_lshl_add_u32 v11, v82, 2, v166
	ds_write_b64 v4, v[15:16]
	v_lshl_add_u32 v4, v84, 2, v165
	ds_write_b64 v5, v[13:14]
	ds_write_b64 v10, v[8:9]
	;; [unrolled: 1-line block ×3, first 2 shown]
	v_lshl_add_u32 v5, v21, 3, v12
	v_mov_b32_e32 v25, 0
	v_add_co_u32 v2, vcc_lo, v2, v26
	ds_write_b64 v4, v[28:29]
	s_waitcnt lgkmcnt(0)
	s_barrier
	buffer_gl0_inv
	ds_read2st64_b64 v[20:23], v5 offset1:4
	ds_read2st64_b64 v[16:19], v5 offset0:8 offset1:12
	ds_read2st64_b64 v[12:15], v5 offset0:16 offset1:20
	;; [unrolled: 1-line block ×3, first 2 shown]
	v_lshlrev_b64 v[4:5], 2, v[24:25]
	v_add_co_ci_u32_e64 v3, null, v3, v27, vcc_lo
	s_waitcnt lgkmcnt(0)
	s_barrier
	buffer_gl0_inv
	v_add_co_u32 v2, vcc_lo, v2, v4
	v_add_co_ci_u32_e64 v3, null, v3, v5, vcc_lo
	v_cmp_lt_u32_e32 vcc_lo, v24, v119
	s_and_saveexec_b32 s4, vcc_lo
	s_cbranch_execz .LBB501_238
; %bb.237:
	v_xor_b32_e32 v4, 0x7fffffff, v38
	flat_store_dword v[2:3], v4
.LBB501_238:
	s_or_b32 exec_lo, exec_lo, s4
	v_add_nc_u32_e32 v4, 0x100, v24
	v_cmp_lt_u32_e64 s5, v4, v119
	s_and_saveexec_b32 s4, s5
	s_cbranch_execz .LBB501_240
; %bb.239:
	v_xor_b32_e32 v4, 0x7fffffff, v39
	flat_store_dword v[2:3], v4 offset:1024
.LBB501_240:
	s_or_b32 exec_lo, exec_lo, s4
	v_add_nc_u32_e32 v4, 0x200, v24
	v_cmp_lt_u32_e64 s4, v4, v119
	s_and_saveexec_b32 s7, s4
	s_cbranch_execz .LBB501_242
; %bb.241:
	v_add_co_u32 v4, s6, 0x800, v2
	v_xor_b32_e32 v26, 0x7fffffff, v36
	v_add_co_ci_u32_e64 v5, null, 0, v3, s6
	flat_store_dword v[4:5], v26
.LBB501_242:
	s_or_b32 exec_lo, exec_lo, s7
	v_add_nc_u32_e32 v4, 0x300, v24
	v_cmp_lt_u32_e64 s6, v4, v119
	s_and_saveexec_b32 s10, s6
	s_cbranch_execz .LBB501_244
; %bb.243:
	v_add_co_u32 v4, s7, 0x800, v2
	v_xor_b32_e32 v26, 0x7fffffff, v37
	v_add_co_ci_u32_e64 v5, null, 0, v3, s7
	flat_store_dword v[4:5], v26 offset:1024
.LBB501_244:
	s_or_b32 exec_lo, exec_lo, s10
	v_add_nc_u32_e32 v4, 0x400, v24
	v_cmp_lt_u32_e64 s7, v4, v119
	s_and_saveexec_b32 s11, s7
	s_cbranch_execz .LBB501_246
; %bb.245:
	v_add_co_u32 v4, s10, 0x1000, v2
	v_xor_b32_e32 v26, 0x7fffffff, v34
	v_add_co_ci_u32_e64 v5, null, 0, v3, s10
	flat_store_dword v[4:5], v26
.LBB501_246:
	s_or_b32 exec_lo, exec_lo, s11
	v_add_nc_u32_e32 v4, 0x500, v24
	v_cmp_lt_u32_e64 s10, v4, v119
	s_and_saveexec_b32 s14, s10
	s_cbranch_execz .LBB501_248
; %bb.247:
	v_add_co_u32 v4, s11, 0x1000, v2
	v_xor_b32_e32 v26, 0x7fffffff, v35
	v_add_co_ci_u32_e64 v5, null, 0, v3, s11
	flat_store_dword v[4:5], v26 offset:1024
.LBB501_248:
	;; [unrolled: 22-line block ×3, first 2 shown]
	s_or_b32 exec_lo, exec_lo, s16
	v_lshlrev_b64 v[2:3], 3, v[24:25]
	v_add_co_u32 v0, s15, v6, v0
	v_add_co_ci_u32_e64 v1, null, v7, v1, s15
	v_add_co_u32 v0, s15, v0, v2
	v_add_co_ci_u32_e64 v1, null, v1, v3, s15
	s_and_saveexec_b32 s15, vcc_lo
	s_cbranch_execnz .LBB501_302
; %bb.253:
	s_or_b32 exec_lo, exec_lo, s15
	s_and_saveexec_b32 s15, s5
	s_cbranch_execnz .LBB501_303
.LBB501_254:
	s_or_b32 exec_lo, exec_lo, s15
	s_and_saveexec_b32 s5, s4
	s_cbranch_execnz .LBB501_304
.LBB501_255:
	s_or_b32 exec_lo, exec_lo, s5
	s_and_saveexec_b32 s4, s6
	s_cbranch_execnz .LBB501_305
.LBB501_256:
	s_or_b32 exec_lo, exec_lo, s4
	s_and_saveexec_b32 s4, s7
	s_cbranch_execnz .LBB501_306
.LBB501_257:
	s_or_b32 exec_lo, exec_lo, s4
	s_and_saveexec_b32 s4, s10
	s_cbranch_execnz .LBB501_307
.LBB501_258:
	s_or_b32 exec_lo, exec_lo, s4
	s_and_saveexec_b32 s4, s11
	s_cbranch_execnz .LBB501_308
.LBB501_259:
	s_or_b32 exec_lo, exec_lo, s4
	s_and_saveexec_b32 s4, s14
	s_cbranch_execz .LBB501_261
.LBB501_260:
	v_add_co_u32 v0, vcc_lo, 0x3800, v0
	v_add_co_ci_u32_e64 v1, null, 0, v1, vcc_lo
	flat_store_dwordx2 v[0:1], v[10:11]
.LBB501_261:
	s_or_b32 exec_lo, exec_lo, s4
                                        ; implicit-def: $vgpr119
                                        ; implicit-def: $vgpr0
                                        ; implicit-def: $vgpr1
                                        ; implicit-def: $vgpr2
                                        ; implicit-def: $vgpr3
                                        ; implicit-def: $vgpr4
                                        ; implicit-def: $vgpr5
                                        ; implicit-def: $vgpr6
                                        ; implicit-def: $vgpr7
                                        ; implicit-def: $vgpr8
                                        ; implicit-def: $vgpr10
                                        ; implicit-def: $vgpr11
                                        ; implicit-def: $vgpr12
                                        ; implicit-def: $vgpr13
                                        ; implicit-def: $vgpr14
                                        ; implicit-def: $vgpr21
                                        ; implicit-def: $vgpr64
.LBB501_262:
	s_andn2_saveexec_b32 s4, s22
	s_cbranch_execz .LBB501_382
; %bb.263:
	s_mov_b32 s4, exec_lo
	v_cmpx_lt_u32_e32 0x200, v119
	s_xor_b32 s22, exec_lo, s4
	s_cbranch_execz .LBB501_323
; %bb.264:
	s_load_dwordx2 s[4:5], s[8:9], 0x0
	v_mov_b32_e32 v9, 0
	v_lshlrev_b64 v[19:20], 2, v[8:9]
	v_mov_b32_e32 v23, v9
	v_add_co_u32 v24, vcc_lo, v0, v19
	v_add_co_ci_u32_e64 v25, null, v1, v20, vcc_lo
	s_waitcnt lgkmcnt(0)
	s_cmp_lt_u32 s13, s5
	s_cselect_b32 s5, 14, 20
	s_add_u32 s6, s8, s5
	s_addc_u32 s7, s9, 0
	s_cmp_lt_u32 s12, s4
	global_load_ushort v15, v9, s[6:7]
	s_cselect_b32 s4, 12, 18
	s_add_u32 s4, s8, s4
	s_addc_u32 s5, s9, 0
	global_load_ushort v16, v9, s[4:5]
	s_waitcnt vmcnt(1)
	v_mad_u32_u24 v13, v14, v15, v13
	s_waitcnt vmcnt(0)
	v_mad_u64_u32 v[17:18], null, v13, v16, v[21:22]
	v_lshlrev_b32_e32 v16, 2, v64
	v_bfrev_b32_e32 v13, 1
	v_add_co_u32 v16, vcc_lo, v24, v16
	v_lshlrev_b32_e32 v18, 2, v17
	v_add_co_ci_u32_e64 v24, null, 0, v25, vcc_lo
	v_mov_b32_e32 v14, v13
	v_mov_b32_e32 v15, v13
	v_and_b32_e32 v22, 0xffffff80, v18
	v_lshlrev_b64 v[0:1], 2, v[22:23]
	v_or_b32_e32 v18, v22, v64
	v_cmp_lt_u32_e32 vcc_lo, v18, v119
	v_add_co_u32 v0, s4, v16, v0
	v_add_co_ci_u32_e64 v1, null, v24, v1, s4
	v_mov_b32_e32 v16, v13
	s_and_saveexec_b32 s4, vcc_lo
	s_cbranch_execz .LBB501_266
; %bb.265:
	flat_load_dword v24, v[0:1]
	v_mov_b32_e32 v25, v13
	v_mov_b32_e32 v26, v13
	;; [unrolled: 1-line block ×3, first 2 shown]
	s_waitcnt vmcnt(0) lgkmcnt(0)
	v_mov_b32_e32 v13, v24
	v_mov_b32_e32 v14, v25
	;; [unrolled: 1-line block ×4, first 2 shown]
.LBB501_266:
	s_or_b32 exec_lo, exec_lo, s4
	v_or_b32_e32 v24, 32, v18
	v_cmp_lt_u32_e64 s4, v24, v119
	s_and_saveexec_b32 s5, s4
	s_cbranch_execz .LBB501_268
; %bb.267:
	flat_load_dword v14, v[0:1] offset:128
.LBB501_268:
	s_or_b32 exec_lo, exec_lo, s5
	v_or_b32_e32 v24, 64, v18
	v_cmp_lt_u32_e64 s5, v24, v119
	s_and_saveexec_b32 s6, s5
	s_cbranch_execz .LBB501_270
; %bb.269:
	flat_load_dword v15, v[0:1] offset:256
.LBB501_270:
	;; [unrolled: 8-line block ×3, first 2 shown]
	s_or_b32 exec_lo, exec_lo, s7
	v_lshlrev_b64 v[0:1], 3, v[8:9]
	v_lshlrev_b32_e32 v8, 3, v64
                                        ; implicit-def: $vgpr28_vgpr29
	v_add_co_u32 v9, s7, v4, v0
	v_add_co_ci_u32_e64 v18, null, v5, v1, s7
	v_lshlrev_b64 v[4:5], 3, v[22:23]
	v_add_co_u32 v8, s7, v9, v8
	v_add_co_ci_u32_e64 v9, null, 0, v18, s7
	v_add_co_u32 v4, s7, v8, v4
	v_add_co_ci_u32_e64 v5, null, v9, v5, s7
	s_and_saveexec_b32 s7, vcc_lo
	s_cbranch_execnz .LBB501_347
; %bb.273:
	s_or_b32 exec_lo, exec_lo, s7
                                        ; implicit-def: $vgpr30_vgpr31
	s_and_saveexec_b32 s7, s4
	s_cbranch_execnz .LBB501_348
.LBB501_274:
	s_or_b32 exec_lo, exec_lo, s7
                                        ; implicit-def: $vgpr24_vgpr25
	s_and_saveexec_b32 s4, s5
	s_cbranch_execnz .LBB501_349
.LBB501_275:
	s_or_b32 exec_lo, exec_lo, s4
                                        ; implicit-def: $vgpr26_vgpr27
	s_and_saveexec_b32 s4, s6
	s_cbranch_execz .LBB501_277
.LBB501_276:
	flat_load_dwordx2 v[26:27], v[4:5] offset:768
.LBB501_277:
	s_or_b32 exec_lo, exec_lo, s4
	v_lshl_add_u32 v4, v21, 5, v12
	v_and_b32_e32 v8, 0x3e0, v21
	v_and_b32_e32 v5, 15, v64
	s_getpc_b64 s[4:5]
	s_add_u32 s4, s4, _ZN7rocprim17ROCPRIM_400000_NS16block_radix_sortIiLj256ELj4ElLj1ELj1ELj8ELNS0_26block_radix_rank_algorithmE2ELNS0_18block_padding_hintE2ELNS0_4arch9wavefront6targetE0EE19radix_bits_per_passE@rel32@lo+4
	s_addc_u32 s5, s5, _ZN7rocprim17ROCPRIM_400000_NS16block_radix_sortIiLj256ELj4ElLj1ELj1ELj8ELNS0_26block_radix_rank_algorithmE2ELNS0_18block_padding_hintE2ELNS0_4arch9wavefront6targetE0EE19radix_bits_per_passE@rel32@hi+12
	v_xor_b32_e32 v87, 0x7fffffff, v13
	v_add_nc_u32_e32 v18, 32, v4
	v_add_nc_u32_e32 v38, 36, v4
	;; [unrolled: 1-line block ×8, first 2 shown]
	v_min_u32_e32 v4, 0xe0, v8
	v_and_b32_e32 v8, 16, v64
	s_load_dword s23, s[4:5], 0x0
	v_cmp_eq_u32_e32 vcc_lo, 0, v5
	v_cmp_lt_u32_e64 s4, 1, v5
	v_or_b32_e32 v4, 31, v4
	v_cmp_eq_u32_e64 s10, 0, v8
	v_lshlrev_b32_e32 v8, 2, v21
	v_cmp_lt_u32_e64 s5, 3, v5
	v_cmp_lt_u32_e64 s6, 7, v5
	v_sub_co_u32 v5, s7, v64, 1
	v_cmp_eq_u32_e64 s11, v21, v4
	v_lshrrev_b32_e32 v4, 3, v21
	v_and_or_b32 v9, 0xf80, v8, v64
	v_cmp_gt_i32_e64 s14, 0, v5
	s_waitcnt vmcnt(0) lgkmcnt(0)
	v_xor_b32_e32 v33, 0x7fffffff, v14
	v_xor_b32_e32 v35, 0x7fffffff, v15
	v_and_b32_e32 v4, 0x7c, v4
	v_lshlrev_b32_e32 v9, 2, v9
	v_cndmask_b32_e64 v5, v5, v64, s14
	v_xor_b32_e32 v37, 0x7fffffff, v16
	v_lshrrev_b32_e32 v53, 5, v17
	v_add_nc_u32_e32 v65, v12, v4
	v_and_b32_e32 v4, 7, v64
	v_add_nc_u32_e32 v64, v12, v9
	v_cmp_gt_u32_e64 s14, 8, v21
	v_cmp_lt_u32_e64 s15, 31, v21
	v_lshlrev_b32_e32 v55, 2, v5
	v_cmp_eq_u32_e64 s16, 0, v21
	v_add_nc_u32_e32 v66, v64, v9
	v_mov_b32_e32 v5, 0
	v_add_co_u32 v54, null, v12, v8
	v_cmp_eq_u32_e64 s17, 0, v4
	v_cmp_lt_u32_e64 s18, 1, v4
	v_cmp_lt_u32_e64 s19, 3, v4
	v_add_nc_u32_e32 v67, -4, v65
	v_add_nc_u32_e32 v68, 0x80, v64
	v_add_nc_u32_e32 v69, 0x100, v64
	;; [unrolled: 1-line block ×6, first 2 shown]
	v_sub_nc_u32_e32 v82, v11, v10
	s_mov_b32 s24, 0
	s_waitcnt_vscnt null, 0x0
	s_barrier
	buffer_gl0_inv
	s_branch .LBB501_279
.LBB501_278:                            ;   in Loop: Header=BB501_279 Depth=1
	s_or_b32 exec_lo, exec_lo, s21
	s_and_b32 s20, exec_lo, s26
	s_or_b32 s24, s20, s24
	s_andn2_b32 exec_lo, exec_lo, s24
	s_cbranch_execz .LBB501_309
.LBB501_279:                            ; =>This Inner Loop Header: Depth=1
	v_min_u32_e32 v4, s23, v82
	v_mov_b32_e32 v83, v87
	v_mov_b32_e32 v13, v28
	;; [unrolled: 1-line block ×4, first 2 shown]
	v_lshlrev_b32_e64 v4, v4, -1
	v_lshrrev_b32_e32 v8, v10, v83
	v_mov_b32_e32 v84, v37
	v_mov_b32_e32 v85, v35
	ds_write_b32 v18, v5
	ds_write_b32 v38, v5
	v_not_b32_e32 v32, v4
	ds_write_b32 v39, v5
	ds_write_b32 v48, v5
	ds_write_b32 v49, v5
	ds_write_b32 v50, v5
	ds_write_b32 v51, v5
	ds_write_b32 v52, v5
	v_and_b32_e32 v4, v8, v32
	v_mov_b32_e32 v8, v30
	v_mov_b32_e32 v9, v31
	s_waitcnt lgkmcnt(0)
	s_barrier
	v_and_b32_e32 v15, 1, v4
	v_lshlrev_b32_e32 v16, 30, v4
	v_lshlrev_b32_e32 v22, 29, v4
	v_lshlrev_b32_e32 v23, 28, v4
	v_lshlrev_b32_e32 v29, 27, v4
	v_add_co_u32 v15, s20, v15, -1
	v_cndmask_b32_e64 v28, 0, 1, s20
	v_not_b32_e32 v33, v16
	v_cmp_gt_i32_e64 s21, 0, v16
	v_not_b32_e32 v16, v22
	v_lshlrev_b32_e32 v30, 26, v4
	v_cmp_ne_u32_e64 s20, 0, v28
	v_ashrrev_i32_e32 v33, 31, v33
	v_lshlrev_b32_e32 v31, 25, v4
	v_ashrrev_i32_e32 v16, 31, v16
	v_lshlrev_b32_e32 v28, 24, v4
	v_xor_b32_e32 v15, s20, v15
	v_cmp_gt_i32_e64 s20, 0, v22
	v_not_b32_e32 v22, v23
	v_xor_b32_e32 v33, s21, v33
	v_cmp_gt_i32_e64 s21, 0, v23
	v_and_b32_e32 v15, exec_lo, v15
	v_not_b32_e32 v23, v29
	v_ashrrev_i32_e32 v22, 31, v22
	v_xor_b32_e32 v16, s20, v16
	v_cmp_gt_i32_e64 s20, 0, v29
	v_and_b32_e32 v15, v15, v33
	v_not_b32_e32 v29, v30
	v_ashrrev_i32_e32 v23, 31, v23
	v_xor_b32_e32 v22, s21, v22
	v_cmp_gt_i32_e64 s21, 0, v30
	v_and_b32_e32 v15, v15, v16
	v_not_b32_e32 v16, v31
	v_ashrrev_i32_e32 v29, 31, v29
	v_xor_b32_e32 v23, s20, v23
	v_cmp_gt_i32_e64 s20, 0, v31
	v_and_b32_e32 v15, v15, v22
	v_not_b32_e32 v30, v28
	v_ashrrev_i32_e32 v16, 31, v16
	v_xor_b32_e32 v29, s21, v29
	v_cmp_gt_i32_e64 s21, 0, v28
	v_and_b32_e32 v15, v15, v23
	v_mov_b32_e32 v22, v24
	v_mov_b32_e32 v23, v25
	v_ashrrev_i32_e32 v24, 31, v30
	v_xor_b32_e32 v25, s20, v16
	v_and_b32_e32 v28, v15, v29
	v_lshl_add_u32 v4, v4, 3, v53
	v_mov_b32_e32 v15, v26
	v_xor_b32_e32 v24, s21, v24
	v_mov_b32_e32 v16, v27
	v_and_b32_e32 v25, v28, v25
	v_lshlrev_b64 v[26:27], 2, v[4:5]
	buffer_gl0_inv
	; wave barrier
	v_and_b32_e32 v25, v25, v24
	v_add_co_u32 v24, null, v12, v26
	v_mbcnt_lo_u32_b32 v4, v25, 0
	v_cmp_ne_u32_e64 s21, 0, v25
	v_add_co_u32 v24, null, v24, 32
	v_cmp_eq_u32_e64 s20, 0, v4
	s_and_b32 s21, s21, s20
	s_and_saveexec_b32 s20, s21
; %bb.280:                              ;   in Loop: Header=BB501_279 Depth=1
	v_bcnt_u32_b32 v25, v25, 0
	ds_write_b32 v24, v25
; %bb.281:                              ;   in Loop: Header=BB501_279 Depth=1
	s_or_b32 exec_lo, exec_lo, s20
	v_lshrrev_b32_e32 v25, v10, v86
	; wave barrier
	v_and_b32_e32 v25, v25, v32
	v_and_b32_e32 v26, 1, v25
	v_lshlrev_b32_e32 v27, 30, v25
	v_lshlrev_b32_e32 v28, 29, v25
	;; [unrolled: 1-line block ×4, first 2 shown]
	v_add_co_u32 v26, s20, v26, -1
	v_cndmask_b32_e64 v30, 0, 1, s20
	v_not_b32_e32 v35, v27
	v_cmp_gt_i32_e64 s21, 0, v27
	v_not_b32_e32 v27, v28
	v_lshlrev_b32_e32 v33, 26, v25
	v_cmp_ne_u32_e64 s20, 0, v30
	v_ashrrev_i32_e32 v35, 31, v35
	v_lshlrev_b32_e32 v34, 25, v25
	v_ashrrev_i32_e32 v27, 31, v27
	v_lshlrev_b32_e32 v30, 24, v25
	v_xor_b32_e32 v26, s20, v26
	v_cmp_gt_i32_e64 s20, 0, v28
	v_not_b32_e32 v28, v29
	v_xor_b32_e32 v35, s21, v35
	v_cmp_gt_i32_e64 s21, 0, v29
	v_and_b32_e32 v26, exec_lo, v26
	v_not_b32_e32 v29, v31
	v_ashrrev_i32_e32 v28, 31, v28
	v_xor_b32_e32 v27, s20, v27
	v_cmp_gt_i32_e64 s20, 0, v31
	v_and_b32_e32 v26, v26, v35
	v_not_b32_e32 v31, v33
	v_ashrrev_i32_e32 v29, 31, v29
	v_xor_b32_e32 v28, s21, v28
	v_cmp_gt_i32_e64 s21, 0, v33
	v_and_b32_e32 v26, v26, v27
	;; [unrolled: 5-line block ×3, first 2 shown]
	v_not_b32_e32 v28, v30
	v_ashrrev_i32_e32 v27, 31, v27
	v_xor_b32_e32 v31, s21, v31
	v_lshl_add_u32 v25, v25, 3, v53
	v_and_b32_e32 v26, v26, v29
	v_cmp_gt_i32_e64 s21, 0, v30
	v_ashrrev_i32_e32 v28, 31, v28
	v_xor_b32_e32 v27, s20, v27
	v_lshl_add_u32 v29, v25, 2, v12
	v_and_b32_e32 v26, v26, v31
	v_xor_b32_e32 v28, s21, v28
	ds_read_b32 v25, v29 offset:32
	v_and_b32_e32 v26, v26, v27
	v_add_nc_u32_e32 v27, 32, v29
	; wave barrier
	v_and_b32_e32 v28, v26, v28
	v_mbcnt_lo_u32_b32 v26, v28, 0
	v_cmp_ne_u32_e64 s21, 0, v28
	v_cmp_eq_u32_e64 s20, 0, v26
	s_and_b32 s21, s21, s20
	s_and_saveexec_b32 s20, s21
	s_cbranch_execz .LBB501_283
; %bb.282:                              ;   in Loop: Header=BB501_279 Depth=1
	s_waitcnt lgkmcnt(0)
	v_bcnt_u32_b32 v28, v28, v25
	ds_write_b32 v27, v28
.LBB501_283:                            ;   in Loop: Header=BB501_279 Depth=1
	s_or_b32 exec_lo, exec_lo, s20
	v_lshrrev_b32_e32 v28, v10, v85
	; wave barrier
	v_and_b32_e32 v28, v28, v32
	v_and_b32_e32 v29, 1, v28
	v_lshlrev_b32_e32 v30, 30, v28
	v_lshlrev_b32_e32 v31, 29, v28
	;; [unrolled: 1-line block ×4, first 2 shown]
	v_add_co_u32 v29, s20, v29, -1
	v_cndmask_b32_e64 v34, 0, 1, s20
	v_not_b32_e32 v87, v30
	v_cmp_gt_i32_e64 s21, 0, v30
	v_not_b32_e32 v30, v31
	v_lshlrev_b32_e32 v36, 26, v28
	v_cmp_ne_u32_e64 s20, 0, v34
	v_ashrrev_i32_e32 v87, 31, v87
	v_lshlrev_b32_e32 v37, 25, v28
	v_ashrrev_i32_e32 v30, 31, v30
	v_lshlrev_b32_e32 v34, 24, v28
	v_xor_b32_e32 v29, s20, v29
	v_cmp_gt_i32_e64 s20, 0, v31
	v_not_b32_e32 v31, v33
	v_xor_b32_e32 v87, s21, v87
	v_cmp_gt_i32_e64 s21, 0, v33
	v_and_b32_e32 v29, exec_lo, v29
	v_not_b32_e32 v33, v35
	v_ashrrev_i32_e32 v31, 31, v31
	v_xor_b32_e32 v30, s20, v30
	v_cmp_gt_i32_e64 s20, 0, v35
	v_and_b32_e32 v29, v29, v87
	v_not_b32_e32 v35, v36
	v_ashrrev_i32_e32 v33, 31, v33
	v_xor_b32_e32 v31, s21, v31
	v_cmp_gt_i32_e64 s21, 0, v36
	v_and_b32_e32 v29, v29, v30
	;; [unrolled: 5-line block ×3, first 2 shown]
	v_not_b32_e32 v31, v34
	v_ashrrev_i32_e32 v30, 31, v30
	v_xor_b32_e32 v35, s21, v35
	v_lshl_add_u32 v28, v28, 3, v53
	v_and_b32_e32 v29, v29, v33
	v_cmp_gt_i32_e64 s21, 0, v34
	v_ashrrev_i32_e32 v31, 31, v31
	v_xor_b32_e32 v30, s20, v30
	v_lshl_add_u32 v33, v28, 2, v12
	v_and_b32_e32 v29, v29, v35
	v_xor_b32_e32 v31, s21, v31
	ds_read_b32 v28, v33 offset:32
	v_and_b32_e32 v29, v29, v30
	v_add_nc_u32_e32 v30, 32, v33
	; wave barrier
	v_and_b32_e32 v31, v29, v31
	v_mbcnt_lo_u32_b32 v29, v31, 0
	v_cmp_ne_u32_e64 s21, 0, v31
	v_cmp_eq_u32_e64 s20, 0, v29
	s_and_b32 s21, s21, s20
	s_and_saveexec_b32 s20, s21
	s_cbranch_execz .LBB501_285
; %bb.284:                              ;   in Loop: Header=BB501_279 Depth=1
	s_waitcnt lgkmcnt(0)
	v_bcnt_u32_b32 v31, v31, v28
	ds_write_b32 v30, v31
.LBB501_285:                            ;   in Loop: Header=BB501_279 Depth=1
	s_or_b32 exec_lo, exec_lo, s20
	v_lshrrev_b32_e32 v31, v10, v84
	; wave barrier
	v_and_b32_e32 v31, v31, v32
	v_and_b32_e32 v32, 1, v31
	v_lshlrev_b32_e32 v33, 30, v31
	v_lshlrev_b32_e32 v34, 29, v31
	;; [unrolled: 1-line block ×4, first 2 shown]
	v_add_co_u32 v32, s20, v32, -1
	v_cndmask_b32_e64 v36, 0, 1, s20
	v_not_b32_e32 v97, v33
	v_cmp_gt_i32_e64 s21, 0, v33
	v_not_b32_e32 v33, v34
	v_lshlrev_b32_e32 v87, 26, v31
	v_cmp_ne_u32_e64 s20, 0, v36
	v_ashrrev_i32_e32 v97, 31, v97
	v_lshlrev_b32_e32 v96, 25, v31
	v_ashrrev_i32_e32 v33, 31, v33
	v_lshlrev_b32_e32 v36, 24, v31
	v_xor_b32_e32 v32, s20, v32
	v_cmp_gt_i32_e64 s20, 0, v34
	v_not_b32_e32 v34, v35
	v_xor_b32_e32 v97, s21, v97
	v_cmp_gt_i32_e64 s21, 0, v35
	v_and_b32_e32 v32, exec_lo, v32
	v_not_b32_e32 v35, v37
	v_ashrrev_i32_e32 v34, 31, v34
	v_xor_b32_e32 v33, s20, v33
	v_cmp_gt_i32_e64 s20, 0, v37
	v_and_b32_e32 v32, v32, v97
	v_not_b32_e32 v37, v87
	v_ashrrev_i32_e32 v35, 31, v35
	v_xor_b32_e32 v34, s21, v34
	v_cmp_gt_i32_e64 s21, 0, v87
	v_and_b32_e32 v32, v32, v33
	v_not_b32_e32 v33, v96
	v_ashrrev_i32_e32 v37, 31, v37
	v_xor_b32_e32 v35, s20, v35
	v_cmp_gt_i32_e64 s20, 0, v96
	v_and_b32_e32 v32, v32, v34
	v_not_b32_e32 v34, v36
	v_ashrrev_i32_e32 v33, 31, v33
	v_xor_b32_e32 v37, s21, v37
	v_lshl_add_u32 v31, v31, 3, v53
	v_and_b32_e32 v32, v32, v35
	v_cmp_gt_i32_e64 s21, 0, v36
	v_ashrrev_i32_e32 v34, 31, v34
	v_xor_b32_e32 v33, s20, v33
	v_lshl_add_u32 v35, v31, 2, v12
	v_and_b32_e32 v32, v32, v37
	v_xor_b32_e32 v34, s21, v34
	ds_read_b32 v31, v35 offset:32
	v_and_b32_e32 v32, v32, v33
	; wave barrier
	v_and_b32_e32 v33, v32, v34
	v_add_nc_u32_e32 v32, 32, v35
	v_mbcnt_lo_u32_b32 v36, v33, 0
	v_cmp_ne_u32_e64 s21, 0, v33
	v_cmp_eq_u32_e64 s20, 0, v36
	s_and_b32 s21, s21, s20
	s_and_saveexec_b32 s20, s21
	s_cbranch_execz .LBB501_287
; %bb.286:                              ;   in Loop: Header=BB501_279 Depth=1
	s_waitcnt lgkmcnt(0)
	v_bcnt_u32_b32 v33, v33, v31
	ds_write_b32 v32, v33
.LBB501_287:                            ;   in Loop: Header=BB501_279 Depth=1
	s_or_b32 exec_lo, exec_lo, s20
	; wave barrier
	s_waitcnt lgkmcnt(0)
	s_barrier
	buffer_gl0_inv
	ds_read_b32 v34, v18
	ds_read_b32 v35, v38
	;; [unrolled: 1-line block ×8, first 2 shown]
	s_waitcnt lgkmcnt(6)
	v_add_nc_u32_e32 v99, v35, v34
	s_waitcnt lgkmcnt(4)
	v_add3_u32 v99, v99, v37, v87
	s_waitcnt lgkmcnt(2)
	v_add3_u32 v99, v99, v96, v97
	;; [unrolled: 2-line block ×3, first 2 shown]
	v_mov_b32_dpp v99, v98 row_shr:1 row_mask:0xf bank_mask:0xf
	v_cndmask_b32_e64 v99, v99, 0, vcc_lo
	v_add_nc_u32_e32 v98, v99, v98
	v_mov_b32_dpp v99, v98 row_shr:2 row_mask:0xf bank_mask:0xf
	v_cndmask_b32_e64 v99, 0, v99, s4
	v_add_nc_u32_e32 v98, v98, v99
	v_mov_b32_dpp v99, v98 row_shr:4 row_mask:0xf bank_mask:0xf
	v_cndmask_b32_e64 v99, 0, v99, s5
	;; [unrolled: 3-line block ×3, first 2 shown]
	v_add_nc_u32_e32 v98, v98, v99
	ds_swizzle_b32 v99, v98 offset:swizzle(BROADCAST,32,15)
	s_waitcnt lgkmcnt(0)
	v_cndmask_b32_e64 v99, v99, 0, s10
	v_add_nc_u32_e32 v98, v98, v99
	s_and_saveexec_b32 s20, s11
; %bb.288:                              ;   in Loop: Header=BB501_279 Depth=1
	ds_write_b32 v65, v98
; %bb.289:                              ;   in Loop: Header=BB501_279 Depth=1
	s_or_b32 exec_lo, exec_lo, s20
	s_waitcnt lgkmcnt(0)
	s_barrier
	buffer_gl0_inv
	s_and_saveexec_b32 s20, s14
	s_cbranch_execz .LBB501_291
; %bb.290:                              ;   in Loop: Header=BB501_279 Depth=1
	ds_read_b32 v99, v54
	s_waitcnt lgkmcnt(0)
	v_mov_b32_dpp v100, v99 row_shr:1 row_mask:0xf bank_mask:0xf
	v_cndmask_b32_e64 v100, v100, 0, s17
	v_add_nc_u32_e32 v99, v100, v99
	v_mov_b32_dpp v100, v99 row_shr:2 row_mask:0xf bank_mask:0xf
	v_cndmask_b32_e64 v100, 0, v100, s18
	v_add_nc_u32_e32 v99, v99, v100
	v_mov_b32_dpp v100, v99 row_shr:4 row_mask:0xf bank_mask:0xf
	v_cndmask_b32_e64 v100, 0, v100, s19
	v_add_nc_u32_e32 v99, v99, v100
	ds_write_b32 v54, v99
.LBB501_291:                            ;   in Loop: Header=BB501_279 Depth=1
	s_or_b32 exec_lo, exec_lo, s20
	v_mov_b32_e32 v99, 0
	s_waitcnt lgkmcnt(0)
	s_barrier
	buffer_gl0_inv
	s_and_saveexec_b32 s20, s15
; %bb.292:                              ;   in Loop: Header=BB501_279 Depth=1
	ds_read_b32 v99, v67
; %bb.293:                              ;   in Loop: Header=BB501_279 Depth=1
	s_or_b32 exec_lo, exec_lo, s20
	s_waitcnt lgkmcnt(0)
	v_add_nc_u32_e32 v98, v99, v98
	v_add_nc_u32_e32 v10, 8, v10
	s_mov_b32 s26, -1
	s_mov_b32 s21, exec_lo
	ds_bpermute_b32 v98, v55, v98
	s_waitcnt lgkmcnt(0)
	v_cndmask_b32_e64 v98, v98, v99, s7
	v_cndmask_b32_e64 v98, v98, 0, s16
	v_add_nc_u32_e32 v34, v98, v34
	v_add_nc_u32_e32 v35, v34, v35
	ds_write_b32 v18, v98
	ds_write_b32 v38, v34
	;; [unrolled: 1-line block ×3, first 2 shown]
	v_add_nc_u32_e32 v37, v35, v37
	v_mov_b32_e32 v35, v5
	v_add_nc_u32_e32 v87, v37, v87
	v_add_nc_u32_e32 v96, v87, v96
	;; [unrolled: 1-line block ×4, first 2 shown]
	ds_write_b32 v48, v37
	ds_write_b32 v49, v87
	;; [unrolled: 1-line block ×5, first 2 shown]
	s_waitcnt lgkmcnt(0)
	s_barrier
	buffer_gl0_inv
	ds_read_b32 v24, v24
	ds_read_b32 v27, v27
	;; [unrolled: 1-line block ×4, first 2 shown]
	v_mov_b32_e32 v33, v5
	v_mov_b32_e32 v37, v5
	s_waitcnt lgkmcnt(0)
	v_add_nc_u32_e32 v4, v24, v4
	v_add3_u32 v32, v26, v25, v27
	v_add3_u32 v34, v29, v28, v30
	;; [unrolled: 1-line block ×3, first 2 shown]
                                        ; implicit-def: $vgpr87
                                        ; implicit-def: $vgpr30_vgpr31
	v_lshlrev_b64 v[24:25], 2, v[4:5]
	v_lshlrev_b64 v[25:26], 2, v[32:33]
	;; [unrolled: 1-line block ×4, first 2 shown]
                                        ; implicit-def: $vgpr37
                                        ; implicit-def: $vgpr35
                                        ; implicit-def: $vgpr33
                                        ; implicit-def: $vgpr28_vgpr29
	v_add_co_u32 v99, null, v12, v24
	v_add_co_u32 v98, null, v12, v25
	;; [unrolled: 1-line block ×4, first 2 shown]
                                        ; implicit-def: $vgpr24_vgpr25
                                        ; implicit-def: $vgpr26_vgpr27
	v_cmpx_lt_u32_e64 v10, v11
	s_cbranch_execz .LBB501_278
; %bb.294:                              ;   in Loop: Header=BB501_279 Depth=1
	v_lshl_add_u32 v24, v4, 2, v99
	v_lshl_add_u32 v25, v32, 2, v98
	;; [unrolled: 1-line block ×4, first 2 shown]
	s_barrier
	buffer_gl0_inv
	ds_write_b32 v99, v83
	ds_write_b32 v98, v86
	;; [unrolled: 1-line block ×4, first 2 shown]
	s_waitcnt lgkmcnt(0)
	s_barrier
	buffer_gl0_inv
	ds_read_b32 v87, v64
	ds_read_b32 v33, v68
	;; [unrolled: 1-line block ×4, first 2 shown]
	s_waitcnt lgkmcnt(0)
	s_barrier
	buffer_gl0_inv
	ds_write_b64 v24, v[13:14]
	ds_write_b64 v25, v[8:9]
	;; [unrolled: 1-line block ×4, first 2 shown]
	s_waitcnt lgkmcnt(0)
	s_barrier
	buffer_gl0_inv
	ds_read_b64 v[28:29], v66
	ds_read_b64 v[30:31], v71
	;; [unrolled: 1-line block ×4, first 2 shown]
	v_add_nc_u32_e32 v82, -8, v82
	s_xor_b32 s26, exec_lo, -1
	s_waitcnt lgkmcnt(0)
	s_barrier
	buffer_gl0_inv
	s_branch .LBB501_278
.LBB501_295:
	flat_load_dwordx2 v[34:35], v[4:5]
	s_or_b32 exec_lo, exec_lo, s15
                                        ; implicit-def: $vgpr38_vgpr39
	s_and_saveexec_b32 s15, s4
	s_cbranch_execz .LBB501_171
.LBB501_296:
	flat_load_dwordx2 v[38:39], v[4:5] offset:256
	s_or_b32 exec_lo, exec_lo, s15
                                        ; implicit-def: $vgpr48_vgpr49
	s_and_saveexec_b32 s4, s5
	s_cbranch_execz .LBB501_172
.LBB501_297:
	flat_load_dwordx2 v[48:49], v[4:5] offset:512
	s_or_b32 exec_lo, exec_lo, s4
                                        ; implicit-def: $vgpr50_vgpr51
	s_and_saveexec_b32 s4, s6
	s_cbranch_execz .LBB501_173
.LBB501_298:
	flat_load_dwordx2 v[50:51], v[4:5] offset:768
	s_or_b32 exec_lo, exec_lo, s4
                                        ; implicit-def: $vgpr52_vgpr53
	s_and_saveexec_b32 s4, s7
	s_cbranch_execz .LBB501_174
.LBB501_299:
	flat_load_dwordx2 v[52:53], v[4:5] offset:1024
	s_or_b32 exec_lo, exec_lo, s4
                                        ; implicit-def: $vgpr54_vgpr55
	s_and_saveexec_b32 s4, s10
	s_cbranch_execz .LBB501_175
.LBB501_300:
	flat_load_dwordx2 v[54:55], v[4:5] offset:1280
	s_or_b32 exec_lo, exec_lo, s4
                                        ; implicit-def: $vgpr32_vgpr33
	s_and_saveexec_b32 s4, s11
	s_cbranch_execz .LBB501_176
.LBB501_301:
	flat_load_dwordx2 v[32:33], v[4:5] offset:1536
	s_or_b32 exec_lo, exec_lo, s4
                                        ; implicit-def: $vgpr36_vgpr37
	s_and_saveexec_b32 s4, s14
	s_cbranch_execnz .LBB501_177
	s_branch .LBB501_178
.LBB501_302:
	flat_store_dwordx2 v[0:1], v[20:21]
	s_or_b32 exec_lo, exec_lo, s15
	s_and_saveexec_b32 s15, s5
	s_cbranch_execz .LBB501_254
.LBB501_303:
	v_add_co_u32 v2, vcc_lo, 0x800, v0
	v_add_co_ci_u32_e64 v3, null, 0, v1, vcc_lo
	flat_store_dwordx2 v[2:3], v[22:23]
	s_or_b32 exec_lo, exec_lo, s15
	s_and_saveexec_b32 s5, s4
	s_cbranch_execz .LBB501_255
.LBB501_304:
	v_add_co_u32 v2, vcc_lo, 0x1000, v0
	v_add_co_ci_u32_e64 v3, null, 0, v1, vcc_lo
	flat_store_dwordx2 v[2:3], v[16:17]
	s_or_b32 exec_lo, exec_lo, s5
	s_and_saveexec_b32 s4, s6
	s_cbranch_execz .LBB501_256
.LBB501_305:
	v_add_co_u32 v2, vcc_lo, 0x1800, v0
	v_add_co_ci_u32_e64 v3, null, 0, v1, vcc_lo
	flat_store_dwordx2 v[2:3], v[18:19]
	s_or_b32 exec_lo, exec_lo, s4
	s_and_saveexec_b32 s4, s7
	s_cbranch_execz .LBB501_257
.LBB501_306:
	v_add_co_u32 v2, vcc_lo, 0x2000, v0
	v_add_co_ci_u32_e64 v3, null, 0, v1, vcc_lo
	flat_store_dwordx2 v[2:3], v[12:13]
	s_or_b32 exec_lo, exec_lo, s4
	s_and_saveexec_b32 s4, s10
	s_cbranch_execz .LBB501_258
.LBB501_307:
	v_add_co_u32 v2, vcc_lo, 0x2800, v0
	v_add_co_ci_u32_e64 v3, null, 0, v1, vcc_lo
	flat_store_dwordx2 v[2:3], v[14:15]
	s_or_b32 exec_lo, exec_lo, s4
	s_and_saveexec_b32 s4, s11
	s_cbranch_execz .LBB501_259
.LBB501_308:
	v_add_co_u32 v2, vcc_lo, 0x3000, v0
	v_add_co_ci_u32_e64 v3, null, 0, v1, vcc_lo
	flat_store_dwordx2 v[2:3], v[8:9]
	s_or_b32 exec_lo, exec_lo, s4
	s_and_saveexec_b32 s4, s14
	s_cbranch_execnz .LBB501_260
	s_branch .LBB501_261
.LBB501_309:
	s_or_b32 exec_lo, exec_lo, s24
	v_lshl_add_u32 v4, v4, 2, v99
	v_lshl_add_u32 v5, v32, 2, v98
	;; [unrolled: 1-line block ×3, first 2 shown]
	s_barrier
	buffer_gl0_inv
	ds_write_b32 v99, v83
	ds_write_b32 v98, v86
	;; [unrolled: 1-line block ×4, first 2 shown]
	s_waitcnt lgkmcnt(0)
	s_barrier
	buffer_gl0_inv
	ds_read2st64_b32 v[26:27], v54 offset1:4
	ds_read2st64_b32 v[24:25], v54 offset0:8 offset1:12
	s_waitcnt lgkmcnt(0)
	s_barrier
	buffer_gl0_inv
	v_lshl_add_u32 v11, v36, 2, v96
	ds_write_b64 v4, v[13:14]
	ds_write_b64 v5, v[8:9]
	;; [unrolled: 1-line block ×3, first 2 shown]
	v_lshl_add_u32 v4, v21, 3, v12
	v_mov_b32_e32 v18, 0
	v_add_co_u32 v2, vcc_lo, v2, v19
	ds_write_b64 v11, v[15:16]
	s_waitcnt lgkmcnt(0)
	s_barrier
	buffer_gl0_inv
	ds_read2st64_b64 v[12:15], v4 offset1:4
	ds_read2st64_b64 v[8:11], v4 offset0:8 offset1:12
	v_lshlrev_b64 v[4:5], 2, v[17:18]
	v_add_co_ci_u32_e64 v3, null, v3, v20, vcc_lo
	s_waitcnt lgkmcnt(0)
	s_barrier
	buffer_gl0_inv
	v_add_co_u32 v2, vcc_lo, v2, v4
	v_add_co_ci_u32_e64 v3, null, v3, v5, vcc_lo
	v_cmp_lt_u32_e32 vcc_lo, v17, v119
	s_and_saveexec_b32 s4, vcc_lo
	s_cbranch_execz .LBB501_311
; %bb.310:
	v_xor_b32_e32 v4, 0x7fffffff, v26
	flat_store_dword v[2:3], v4
.LBB501_311:
	s_or_b32 exec_lo, exec_lo, s4
	v_add_nc_u32_e32 v4, 0x100, v17
	v_cmp_lt_u32_e64 s5, v4, v119
	s_and_saveexec_b32 s4, s5
	s_cbranch_execz .LBB501_313
; %bb.312:
	v_xor_b32_e32 v4, 0x7fffffff, v27
	flat_store_dword v[2:3], v4 offset:1024
.LBB501_313:
	s_or_b32 exec_lo, exec_lo, s4
	v_add_nc_u32_e32 v4, 0x200, v17
	v_cmp_lt_u32_e64 s4, v4, v119
	s_and_saveexec_b32 s7, s4
	s_cbranch_execz .LBB501_315
; %bb.314:
	v_add_co_u32 v4, s6, 0x800, v2
	v_xor_b32_e32 v16, 0x7fffffff, v24
	v_add_co_ci_u32_e64 v5, null, 0, v3, s6
	flat_store_dword v[4:5], v16
.LBB501_315:
	s_or_b32 exec_lo, exec_lo, s7
	v_add_nc_u32_e32 v4, 0x300, v17
	v_cmp_lt_u32_e64 s6, v4, v119
	s_and_saveexec_b32 s10, s6
	s_cbranch_execz .LBB501_317
; %bb.316:
	v_add_co_u32 v2, s7, 0x800, v2
	v_xor_b32_e32 v4, 0x7fffffff, v25
	v_add_co_ci_u32_e64 v3, null, 0, v3, s7
	flat_store_dword v[2:3], v4 offset:1024
.LBB501_317:
	s_or_b32 exec_lo, exec_lo, s10
	v_lshlrev_b64 v[2:3], 3, v[17:18]
	v_add_co_u32 v0, s7, v6, v0
	v_add_co_ci_u32_e64 v1, null, v7, v1, s7
	v_add_co_u32 v0, s7, v0, v2
	v_add_co_ci_u32_e64 v1, null, v1, v3, s7
	s_and_saveexec_b32 s7, vcc_lo
	s_cbranch_execnz .LBB501_350
; %bb.318:
	s_or_b32 exec_lo, exec_lo, s7
	s_and_saveexec_b32 s7, s5
	s_cbranch_execnz .LBB501_351
.LBB501_319:
	s_or_b32 exec_lo, exec_lo, s7
	s_and_saveexec_b32 s5, s4
	s_cbranch_execnz .LBB501_352
.LBB501_320:
	s_or_b32 exec_lo, exec_lo, s5
	s_and_saveexec_b32 s4, s6
	s_cbranch_execz .LBB501_322
.LBB501_321:
	v_add_co_u32 v0, vcc_lo, 0x1800, v0
	v_add_co_ci_u32_e64 v1, null, 0, v1, vcc_lo
	flat_store_dwordx2 v[0:1], v[10:11]
.LBB501_322:
	s_or_b32 exec_lo, exec_lo, s4
                                        ; implicit-def: $vgpr119
                                        ; implicit-def: $vgpr0
                                        ; implicit-def: $vgpr1
                                        ; implicit-def: $vgpr2
                                        ; implicit-def: $vgpr3
                                        ; implicit-def: $vgpr4
                                        ; implicit-def: $vgpr5
                                        ; implicit-def: $vgpr6
                                        ; implicit-def: $vgpr7
                                        ; implicit-def: $vgpr8
                                        ; implicit-def: $vgpr10
                                        ; implicit-def: $vgpr11
                                        ; implicit-def: $vgpr12
                                        ; implicit-def: $vgpr13
                                        ; implicit-def: $vgpr14
                                        ; implicit-def: $vgpr21
                                        ; implicit-def: $vgpr64
.LBB501_323:
	s_andn2_saveexec_b32 s4, s22
	s_cbranch_execz .LBB501_382
; %bb.324:
	s_load_dwordx2 s[4:5], s[8:9], 0x0
	v_mov_b32_e32 v9, 0
	s_waitcnt lgkmcnt(0)
	s_cmp_lt_u32 s13, s5
	s_cselect_b32 s5, 14, 20
	s_add_u32 s6, s8, s5
	s_addc_u32 s7, s9, 0
	s_cmp_lt_u32 s12, s4
	global_load_ushort v15, v9, s[6:7]
	s_cselect_b32 s4, 12, 18
	s_add_u32 s4, s8, s4
	s_addc_u32 s5, s9, 0
	global_load_ushort v16, v9, s[4:5]
	s_mov_b32 s4, exec_lo
	s_waitcnt vmcnt(1)
	v_mad_u32_u24 v13, v14, v15, v13
	s_waitcnt vmcnt(0)
	v_mad_u64_u32 v[13:14], null, v13, v16, v[21:22]
	v_lshlrev_b64 v[15:16], 2, v[8:9]
	v_cmpx_lt_u32_e32 0x100, v119
	s_xor_b32 s18, exec_lo, s4
	s_cbranch_execz .LBB501_362
; %bb.325:
	v_lshlrev_b32_e32 v14, 1, v13
	v_mov_b32_e32 v20, v9
	v_lshlrev_b32_e32 v18, 2, v64
	v_bfrev_b32_e32 v17, 1
	v_and_b32_e32 v19, 0xffffffc0, v14
	v_add_co_u32 v14, vcc_lo, v0, v15
	v_add_co_ci_u32_e64 v22, null, v1, v16, vcc_lo
	v_lshlrev_b64 v[0:1], 2, v[19:20]
	v_add_co_u32 v18, vcc_lo, v14, v18
	v_add_co_ci_u32_e64 v22, null, 0, v22, vcc_lo
	v_or_b32_e32 v14, v64, v19
	v_add_co_u32 v0, vcc_lo, v18, v0
	v_add_co_ci_u32_e64 v1, null, v22, v1, vcc_lo
	v_cmp_lt_u32_e32 vcc_lo, v14, v119
	v_mov_b32_e32 v18, v17
	s_and_saveexec_b32 s4, vcc_lo
	s_cbranch_execz .LBB501_327
; %bb.326:
	flat_load_dword v22, v[0:1]
	v_mov_b32_e32 v23, v17
	s_waitcnt vmcnt(0) lgkmcnt(0)
	v_mov_b32_e32 v17, v22
	v_mov_b32_e32 v18, v23
.LBB501_327:
	s_or_b32 exec_lo, exec_lo, s4
	v_or_b32_e32 v14, 32, v14
	v_cmp_lt_u32_e64 s4, v14, v119
	s_and_saveexec_b32 s5, s4
	s_cbranch_execz .LBB501_329
; %bb.328:
	flat_load_dword v18, v[0:1] offset:128
.LBB501_329:
	s_or_b32 exec_lo, exec_lo, s5
	v_lshlrev_b64 v[0:1], 3, v[8:9]
	v_lshlrev_b32_e32 v14, 3, v64
	v_lshlrev_b64 v[8:9], 3, v[19:20]
	v_mov_b32_e32 v22, 0
	v_mov_b32_e32 v19, 0
	;; [unrolled: 1-line block ×3, first 2 shown]
	v_add_co_u32 v4, s5, v4, v0
	v_add_co_ci_u32_e64 v5, null, v5, v1, s5
	v_mov_b32_e32 v20, 0
	v_add_co_u32 v4, s5, v4, v14
	v_add_co_ci_u32_e64 v5, null, 0, v5, s5
	v_add_co_u32 v4, s5, v4, v8
	v_add_co_ci_u32_e64 v5, null, v5, v9, s5
	s_and_saveexec_b32 s5, vcc_lo
	s_cbranch_execz .LBB501_331
; %bb.330:
	flat_load_dwordx2 v[19:20], v[4:5]
.LBB501_331:
	s_or_b32 exec_lo, exec_lo, s5
	s_and_saveexec_b32 s5, s4
	s_cbranch_execz .LBB501_333
; %bb.332:
	flat_load_dwordx2 v[22:23], v[4:5] offset:256
.LBB501_333:
	s_or_b32 exec_lo, exec_lo, s5
	v_lshl_add_u32 v4, v21, 5, v12
	v_and_b32_e32 v8, 0x3e0, v21
	v_and_b32_e32 v5, 15, v64
	s_getpc_b64 s[4:5]
	s_add_u32 s4, s4, _ZN7rocprim17ROCPRIM_400000_NS16block_radix_sortIiLj256ELj2ElLj1ELj1ELj8ELNS0_26block_radix_rank_algorithmE2ELNS0_18block_padding_hintE2ELNS0_4arch9wavefront6targetE0EE19radix_bits_per_passE@rel32@lo+4
	s_addc_u32 s5, s5, _ZN7rocprim17ROCPRIM_400000_NS16block_radix_sortIiLj256ELj2ElLj1ELj1ELj8ELNS0_26block_radix_rank_algorithmE2ELNS0_18block_padding_hintE2ELNS0_4arch9wavefront6targetE0EE19radix_bits_per_passE@rel32@hi+12
	v_and_b32_e32 v9, 7, v64
	v_add_nc_u32_e32 v14, 32, v4
	v_add_nc_u32_e32 v26, 36, v4
	;; [unrolled: 1-line block ×8, first 2 shown]
	v_min_u32_e32 v4, 0xe0, v8
	v_and_b32_e32 v8, 16, v64
	s_load_dword s19, s[4:5], 0x0
	v_cmp_eq_u32_e32 vcc_lo, 0, v5
	v_cmp_lt_u32_e64 s4, 1, v5
	v_or_b32_e32 v4, 31, v4
	v_cmp_eq_u32_e64 s8, 0, v8
	v_lshlrev_b32_e32 v8, 1, v21
	v_cmp_lt_u32_e64 s5, 3, v5
	v_cmp_lt_u32_e64 s6, 7, v5
	v_sub_co_u32 v5, s7, v64, 1
	v_and_or_b32 v8, 0x7c0, v8, v64
	v_cmp_eq_u32_e64 s9, v21, v4
	v_lshrrev_b32_e32 v4, 3, v21
	v_cmp_gt_i32_e64 s10, 0, v5
	v_xor_b32_e32 v53, 0x7fffffff, v17
	v_lshlrev_b32_e32 v8, 2, v8
	s_waitcnt vmcnt(0) lgkmcnt(0)
	v_xor_b32_e32 v25, 0x7fffffff, v18
	v_and_b32_e32 v4, 0x7c, v4
	v_cndmask_b32_e64 v5, v5, v64, s10
	v_lshrrev_b32_e32 v33, 5, v13
	v_add_nc_u32_e32 v37, v12, v8
	v_cmp_gt_u32_e64 s10, 8, v21
	v_add_nc_u32_e32 v36, v12, v4
	v_lshlrev_b32_e32 v4, 2, v21
	v_cmp_lt_u32_e64 s11, 31, v21
	v_add_nc_u32_e32 v38, v37, v8
	v_lshlrev_b32_e32 v35, 2, v5
	v_cmp_eq_u32_e64 s12, 0, v21
	v_mov_b32_e32 v5, 0
	v_add_co_u32 v34, null, v12, v4
	v_cmp_eq_u32_e64 s13, 0, v9
	v_cmp_lt_u32_e64 s14, 1, v9
	v_cmp_lt_u32_e64 s15, 3, v9
	v_add_nc_u32_e32 v39, -4, v36
	v_add_nc_u32_e32 v48, 0x80, v37
	v_add_nc_u32_e32 v49, 0x100, v38
	v_sub_nc_u32_e32 v50, v11, v10
	s_mov_b32 s20, 0
	s_waitcnt_vscnt null, 0x0
	s_barrier
	buffer_gl0_inv
	s_branch .LBB501_335
.LBB501_334:                            ;   in Loop: Header=BB501_335 Depth=1
	s_or_b32 exec_lo, exec_lo, s17
	s_and_b32 s16, exec_lo, s21
	s_or_b32 s20, s16, s20
	s_andn2_b32 exec_lo, exec_lo, s20
	s_cbranch_execz .LBB501_353
.LBB501_335:                            ; =>This Inner Loop Header: Depth=1
	v_min_u32_e32 v4, s19, v50
	v_mov_b32_e32 v51, v53
	v_mov_b32_e32 v52, v25
	ds_write_b32 v14, v5
	ds_write_b32 v26, v5
	ds_write_b32 v27, v5
	v_lshlrev_b32_e64 v4, v4, -1
	v_lshrrev_b32_e32 v8, v10, v51
	ds_write_b32 v28, v5
	ds_write_b32 v29, v5
	;; [unrolled: 1-line block ×5, first 2 shown]
	v_not_b32_e32 v24, v4
	s_waitcnt lgkmcnt(0)
	s_barrier
	buffer_gl0_inv
	v_and_b32_e32 v4, v8, v24
	; wave barrier
	v_and_b32_e32 v8, 1, v4
	v_lshlrev_b32_e32 v9, 30, v4
	v_lshlrev_b32_e32 v17, 29, v4
	;; [unrolled: 1-line block ×4, first 2 shown]
	v_add_co_u32 v8, s16, v8, -1
	v_cndmask_b32_e64 v25, 0, 1, s16
	v_not_b32_e32 v64, v9
	v_cmp_gt_i32_e64 s17, 0, v9
	v_not_b32_e32 v9, v17
	v_lshlrev_b32_e32 v54, 26, v4
	v_cmp_ne_u32_e64 s16, 0, v25
	v_ashrrev_i32_e32 v64, 31, v64
	v_lshlrev_b32_e32 v55, 25, v4
	v_ashrrev_i32_e32 v9, 31, v9
	v_lshlrev_b32_e32 v25, 24, v4
	v_xor_b32_e32 v8, s16, v8
	v_cmp_gt_i32_e64 s16, 0, v17
	v_not_b32_e32 v17, v18
	v_xor_b32_e32 v64, s17, v64
	v_cmp_gt_i32_e64 s17, 0, v18
	v_and_b32_e32 v8, exec_lo, v8
	v_not_b32_e32 v18, v53
	v_ashrrev_i32_e32 v17, 31, v17
	v_xor_b32_e32 v9, s16, v9
	v_cmp_gt_i32_e64 s16, 0, v53
	v_and_b32_e32 v8, v8, v64
	v_not_b32_e32 v53, v54
	v_ashrrev_i32_e32 v18, 31, v18
	v_xor_b32_e32 v17, s17, v17
	v_cmp_gt_i32_e64 s17, 0, v54
	v_and_b32_e32 v8, v8, v9
	;; [unrolled: 5-line block ×4, first 2 shown]
	v_mov_b32_e32 v8, v22
	v_mov_b32_e32 v9, v23
	v_ashrrev_i32_e32 v22, 31, v17
	v_xor_b32_e32 v23, s16, v54
	v_and_b32_e32 v25, v18, v53
	v_mov_b32_e32 v17, v19
	v_mov_b32_e32 v18, v20
	v_xor_b32_e32 v19, s17, v22
	v_lshl_add_u32 v4, v4, 3, v33
	v_and_b32_e32 v20, v25, v23
	v_lshlrev_b64 v[22:23], 2, v[4:5]
	v_and_b32_e32 v20, v20, v19
	v_add_co_u32 v19, null, v12, v22
	v_mbcnt_lo_u32_b32 v4, v20, 0
	v_cmp_ne_u32_e64 s17, 0, v20
	v_add_co_u32 v19, null, v19, 32
	v_cmp_eq_u32_e64 s16, 0, v4
	s_and_b32 s17, s17, s16
	s_and_saveexec_b32 s16, s17
; %bb.336:                              ;   in Loop: Header=BB501_335 Depth=1
	v_bcnt_u32_b32 v20, v20, 0
	ds_write_b32 v19, v20
; %bb.337:                              ;   in Loop: Header=BB501_335 Depth=1
	s_or_b32 exec_lo, exec_lo, s16
	v_lshrrev_b32_e32 v20, v10, v52
	; wave barrier
	v_and_b32_e32 v20, v20, v24
	v_and_b32_e32 v22, 1, v20
	v_lshlrev_b32_e32 v23, 30, v20
	v_lshlrev_b32_e32 v24, 29, v20
	;; [unrolled: 1-line block ×4, first 2 shown]
	v_add_co_u32 v22, s16, v22, -1
	v_cndmask_b32_e64 v53, 0, 1, s16
	v_not_b32_e32 v65, v23
	v_cmp_gt_i32_e64 s17, 0, v23
	v_not_b32_e32 v23, v24
	v_lshlrev_b32_e32 v55, 26, v20
	v_cmp_ne_u32_e64 s16, 0, v53
	v_ashrrev_i32_e32 v65, 31, v65
	v_lshlrev_b32_e32 v64, 25, v20
	v_ashrrev_i32_e32 v23, 31, v23
	v_lshlrev_b32_e32 v53, 24, v20
	v_xor_b32_e32 v22, s16, v22
	v_cmp_gt_i32_e64 s16, 0, v24
	v_not_b32_e32 v24, v25
	v_xor_b32_e32 v65, s17, v65
	v_cmp_gt_i32_e64 s17, 0, v25
	v_and_b32_e32 v22, exec_lo, v22
	v_not_b32_e32 v25, v54
	v_ashrrev_i32_e32 v24, 31, v24
	v_xor_b32_e32 v23, s16, v23
	v_cmp_gt_i32_e64 s16, 0, v54
	v_and_b32_e32 v22, v22, v65
	v_not_b32_e32 v54, v55
	v_ashrrev_i32_e32 v25, 31, v25
	v_xor_b32_e32 v24, s17, v24
	v_cmp_gt_i32_e64 s17, 0, v55
	v_and_b32_e32 v22, v22, v23
	v_not_b32_e32 v23, v64
	v_ashrrev_i32_e32 v54, 31, v54
	v_xor_b32_e32 v25, s16, v25
	v_cmp_gt_i32_e64 s16, 0, v64
	v_and_b32_e32 v22, v22, v24
	v_not_b32_e32 v24, v53
	v_ashrrev_i32_e32 v23, 31, v23
	v_xor_b32_e32 v54, s17, v54
	v_lshl_add_u32 v20, v20, 3, v33
	v_and_b32_e32 v22, v22, v25
	v_cmp_gt_i32_e64 s17, 0, v53
	v_ashrrev_i32_e32 v24, 31, v24
	v_xor_b32_e32 v23, s16, v23
	v_lshl_add_u32 v25, v20, 2, v12
	v_and_b32_e32 v22, v22, v54
	v_xor_b32_e32 v24, s17, v24
	ds_read_b32 v20, v25 offset:32
	v_and_b32_e32 v22, v22, v23
	v_add_nc_u32_e32 v23, 32, v25
	; wave barrier
	v_and_b32_e32 v24, v22, v24
	v_mbcnt_lo_u32_b32 v22, v24, 0
	v_cmp_ne_u32_e64 s17, 0, v24
	v_cmp_eq_u32_e64 s16, 0, v22
	s_and_b32 s17, s17, s16
	s_and_saveexec_b32 s16, s17
	s_cbranch_execz .LBB501_339
; %bb.338:                              ;   in Loop: Header=BB501_335 Depth=1
	s_waitcnt lgkmcnt(0)
	v_bcnt_u32_b32 v24, v24, v20
	ds_write_b32 v23, v24
.LBB501_339:                            ;   in Loop: Header=BB501_335 Depth=1
	s_or_b32 exec_lo, exec_lo, s16
	; wave barrier
	s_waitcnt lgkmcnt(0)
	s_barrier
	buffer_gl0_inv
	ds_read_b32 v25, v14
	ds_read_b32 v53, v26
	;; [unrolled: 1-line block ×8, first 2 shown]
	s_waitcnt lgkmcnt(6)
	v_add_nc_u32_e32 v67, v53, v25
	s_waitcnt lgkmcnt(4)
	v_add3_u32 v67, v67, v54, v55
	s_waitcnt lgkmcnt(2)
	v_add3_u32 v67, v67, v64, v65
	;; [unrolled: 2-line block ×3, first 2 shown]
	v_mov_b32_dpp v67, v66 row_shr:1 row_mask:0xf bank_mask:0xf
	v_cndmask_b32_e64 v67, v67, 0, vcc_lo
	v_add_nc_u32_e32 v66, v67, v66
	v_mov_b32_dpp v67, v66 row_shr:2 row_mask:0xf bank_mask:0xf
	v_cndmask_b32_e64 v67, 0, v67, s4
	v_add_nc_u32_e32 v66, v66, v67
	v_mov_b32_dpp v67, v66 row_shr:4 row_mask:0xf bank_mask:0xf
	v_cndmask_b32_e64 v67, 0, v67, s5
	;; [unrolled: 3-line block ×3, first 2 shown]
	v_add_nc_u32_e32 v66, v66, v67
	ds_swizzle_b32 v67, v66 offset:swizzle(BROADCAST,32,15)
	s_waitcnt lgkmcnt(0)
	v_cndmask_b32_e64 v67, v67, 0, s8
	v_add_nc_u32_e32 v66, v66, v67
	s_and_saveexec_b32 s16, s9
; %bb.340:                              ;   in Loop: Header=BB501_335 Depth=1
	ds_write_b32 v36, v66
; %bb.341:                              ;   in Loop: Header=BB501_335 Depth=1
	s_or_b32 exec_lo, exec_lo, s16
	s_waitcnt lgkmcnt(0)
	s_barrier
	buffer_gl0_inv
	s_and_saveexec_b32 s16, s10
	s_cbranch_execz .LBB501_343
; %bb.342:                              ;   in Loop: Header=BB501_335 Depth=1
	ds_read_b32 v67, v34
	s_waitcnt lgkmcnt(0)
	v_mov_b32_dpp v68, v67 row_shr:1 row_mask:0xf bank_mask:0xf
	v_cndmask_b32_e64 v68, v68, 0, s13
	v_add_nc_u32_e32 v67, v68, v67
	v_mov_b32_dpp v68, v67 row_shr:2 row_mask:0xf bank_mask:0xf
	v_cndmask_b32_e64 v68, 0, v68, s14
	v_add_nc_u32_e32 v67, v67, v68
	;; [unrolled: 3-line block ×3, first 2 shown]
	ds_write_b32 v34, v67
.LBB501_343:                            ;   in Loop: Header=BB501_335 Depth=1
	s_or_b32 exec_lo, exec_lo, s16
	v_mov_b32_e32 v67, 0
	s_waitcnt lgkmcnt(0)
	s_barrier
	buffer_gl0_inv
	s_and_saveexec_b32 s16, s11
; %bb.344:                              ;   in Loop: Header=BB501_335 Depth=1
	ds_read_b32 v67, v39
; %bb.345:                              ;   in Loop: Header=BB501_335 Depth=1
	s_or_b32 exec_lo, exec_lo, s16
	s_waitcnt lgkmcnt(0)
	v_add_nc_u32_e32 v66, v67, v66
	v_add_nc_u32_e32 v10, 8, v10
	s_mov_b32 s21, -1
	s_mov_b32 s17, exec_lo
	ds_bpermute_b32 v66, v35, v66
	s_waitcnt lgkmcnt(0)
	v_cndmask_b32_e64 v66, v66, v67, s7
	v_cndmask_b32_e64 v66, v66, 0, s12
	v_add_nc_u32_e32 v25, v66, v25
	v_add_nc_u32_e32 v53, v25, v53
	ds_write_b32 v14, v66
	ds_write_b32 v26, v25
	;; [unrolled: 1-line block ×3, first 2 shown]
	v_mov_b32_e32 v25, v5
	v_add_nc_u32_e32 v54, v53, v54
                                        ; implicit-def: $vgpr53
	v_add_nc_u32_e32 v55, v54, v55
	v_add_nc_u32_e32 v64, v55, v64
	;; [unrolled: 1-line block ×4, first 2 shown]
	ds_write_b32 v28, v54
	ds_write_b32 v29, v55
	ds_write_b32 v30, v64
	ds_write_b32 v31, v65
	ds_write_b32 v32, v24
	s_waitcnt lgkmcnt(0)
	s_barrier
	buffer_gl0_inv
	ds_read_b32 v19, v19
	ds_read_b32 v23, v23
	s_waitcnt lgkmcnt(0)
	v_add_nc_u32_e32 v4, v19, v4
	v_add3_u32 v24, v22, v20, v23
	v_lshlrev_b64 v[19:20], 2, v[4:5]
	v_lshlrev_b64 v[22:23], 2, v[24:25]
                                        ; implicit-def: $vgpr25
	v_add_co_u32 v55, null, v12, v19
	v_add_co_u32 v54, null, v12, v22
                                        ; implicit-def: $vgpr22_vgpr23
                                        ; implicit-def: $vgpr19_vgpr20
	v_cmpx_lt_u32_e64 v10, v11
	s_cbranch_execz .LBB501_334
; %bb.346:                              ;   in Loop: Header=BB501_335 Depth=1
	v_lshl_add_u32 v19, v4, 2, v55
	v_lshl_add_u32 v20, v24, 2, v54
	s_barrier
	buffer_gl0_inv
	ds_write_b32 v55, v51
	ds_write_b32 v54, v52
	s_waitcnt lgkmcnt(0)
	s_barrier
	buffer_gl0_inv
	ds_read_b32 v53, v37
	ds_read_b32 v25, v48
	s_waitcnt lgkmcnt(0)
	s_barrier
	buffer_gl0_inv
	ds_write_b64 v19, v[17:18]
	ds_write_b64 v20, v[8:9]
	s_waitcnt lgkmcnt(0)
	s_barrier
	buffer_gl0_inv
	ds_read_b64 v[19:20], v38
	ds_read_b64 v[22:23], v49
	v_add_nc_u32_e32 v50, -8, v50
	s_xor_b32 s21, exec_lo, -1
	s_waitcnt lgkmcnt(0)
	s_barrier
	buffer_gl0_inv
	s_branch .LBB501_334
.LBB501_347:
	flat_load_dwordx2 v[28:29], v[4:5]
	s_or_b32 exec_lo, exec_lo, s7
                                        ; implicit-def: $vgpr30_vgpr31
	s_and_saveexec_b32 s7, s4
	s_cbranch_execz .LBB501_274
.LBB501_348:
	flat_load_dwordx2 v[30:31], v[4:5] offset:256
	s_or_b32 exec_lo, exec_lo, s7
                                        ; implicit-def: $vgpr24_vgpr25
	s_and_saveexec_b32 s4, s5
	s_cbranch_execz .LBB501_275
.LBB501_349:
	flat_load_dwordx2 v[24:25], v[4:5] offset:512
	s_or_b32 exec_lo, exec_lo, s4
                                        ; implicit-def: $vgpr26_vgpr27
	s_and_saveexec_b32 s4, s6
	s_cbranch_execnz .LBB501_276
	s_branch .LBB501_277
.LBB501_350:
	flat_store_dwordx2 v[0:1], v[12:13]
	s_or_b32 exec_lo, exec_lo, s7
	s_and_saveexec_b32 s7, s5
	s_cbranch_execz .LBB501_319
.LBB501_351:
	v_add_co_u32 v2, vcc_lo, 0x800, v0
	v_add_co_ci_u32_e64 v3, null, 0, v1, vcc_lo
	flat_store_dwordx2 v[2:3], v[14:15]
	s_or_b32 exec_lo, exec_lo, s7
	s_and_saveexec_b32 s5, s4
	s_cbranch_execz .LBB501_320
.LBB501_352:
	v_add_co_u32 v2, vcc_lo, 0x1000, v0
	v_add_co_ci_u32_e64 v3, null, 0, v1, vcc_lo
	flat_store_dwordx2 v[2:3], v[8:9]
	s_or_b32 exec_lo, exec_lo, s5
	s_and_saveexec_b32 s4, s6
	s_cbranch_execnz .LBB501_321
	s_branch .LBB501_322
.LBB501_353:
	s_or_b32 exec_lo, exec_lo, s20
	v_lshl_add_u32 v4, v4, 2, v55
	s_barrier
	buffer_gl0_inv
	ds_write_b32 v55, v51
	ds_write_b32 v54, v52
	s_waitcnt lgkmcnt(0)
	s_barrier
	buffer_gl0_inv
	ds_read2st64_b32 v[19:20], v34 offset1:4
	s_waitcnt lgkmcnt(0)
	v_lshl_add_u32 v5, v24, 2, v54
	s_barrier
	buffer_gl0_inv
	ds_write_b64 v4, v[17:18]
	v_lshl_add_u32 v4, v21, 3, v12
	ds_write_b64 v5, v[8:9]
	s_waitcnt lgkmcnt(0)
	s_barrier
	buffer_gl0_inv
	ds_read2st64_b64 v[8:11], v4 offset1:4
	v_mov_b32_e32 v14, 0
	v_add_co_u32 v2, vcc_lo, v2, v15
	v_add_co_ci_u32_e64 v3, null, v3, v16, vcc_lo
	v_lshlrev_b64 v[4:5], 2, v[13:14]
	s_waitcnt lgkmcnt(0)
	s_barrier
	buffer_gl0_inv
	v_add_co_u32 v2, vcc_lo, v2, v4
	v_add_co_ci_u32_e64 v3, null, v3, v5, vcc_lo
	v_cmp_lt_u32_e32 vcc_lo, v13, v119
	s_and_saveexec_b32 s4, vcc_lo
	s_cbranch_execz .LBB501_355
; %bb.354:
	v_xor_b32_e32 v4, 0x7fffffff, v19
	flat_store_dword v[2:3], v4
.LBB501_355:
	s_or_b32 exec_lo, exec_lo, s4
	v_add_nc_u32_e32 v4, 0x100, v13
	v_cmp_lt_u32_e64 s4, v4, v119
	s_and_saveexec_b32 s5, s4
	s_cbranch_execz .LBB501_357
; %bb.356:
	v_xor_b32_e32 v4, 0x7fffffff, v20
	flat_store_dword v[2:3], v4 offset:1024
.LBB501_357:
	s_or_b32 exec_lo, exec_lo, s5
	v_lshlrev_b64 v[2:3], 3, v[13:14]
	v_add_co_u32 v0, s5, v6, v0
	v_add_co_ci_u32_e64 v1, null, v7, v1, s5
	v_add_co_u32 v0, s5, v0, v2
	v_add_co_ci_u32_e64 v1, null, v1, v3, s5
	s_and_saveexec_b32 s5, vcc_lo
	s_cbranch_execz .LBB501_359
; %bb.358:
	flat_store_dwordx2 v[0:1], v[8:9]
.LBB501_359:
	s_or_b32 exec_lo, exec_lo, s5
	s_and_saveexec_b32 s5, s4
	s_cbranch_execz .LBB501_361
; %bb.360:
	v_add_co_u32 v0, vcc_lo, 0x800, v0
	v_add_co_ci_u32_e64 v1, null, 0, v1, vcc_lo
	flat_store_dwordx2 v[0:1], v[10:11]
.LBB501_361:
	s_or_b32 exec_lo, exec_lo, s5
                                        ; implicit-def: $vgpr13_vgpr14
                                        ; implicit-def: $vgpr8_vgpr9
                                        ; implicit-def: $vgpr15_vgpr16
                                        ; implicit-def: $vgpr119
                                        ; implicit-def: $vgpr0
                                        ; implicit-def: $vgpr1
                                        ; implicit-def: $vgpr2
                                        ; implicit-def: $vgpr3
                                        ; implicit-def: $vgpr4
                                        ; implicit-def: $vgpr5
                                        ; implicit-def: $vgpr6
                                        ; implicit-def: $vgpr7
                                        ; implicit-def: $vgpr10
                                        ; implicit-def: $vgpr11
                                        ; implicit-def: $vgpr12
                                        ; implicit-def: $vgpr21
                                        ; implicit-def: $vgpr64
.LBB501_362:
	s_andn2_saveexec_b32 s4, s18
	s_cbranch_execz .LBB501_382
; %bb.363:
	v_and_b32_e32 v17, 0xffffffe0, v13
	v_mov_b32_e32 v36, -1
	v_or_b32_e32 v14, v64, v17
	v_cmp_lt_u32_e32 vcc_lo, v14, v119
	s_and_saveexec_b32 s5, vcc_lo
	s_cbranch_execz .LBB501_365
; %bb.364:
	v_mov_b32_e32 v18, 0
	v_lshlrev_b32_e32 v14, 2, v64
	v_add_co_u32 v19, s4, v0, v15
	v_add_co_ci_u32_e64 v20, null, v1, v16, s4
	v_lshlrev_b64 v[0:1], 2, v[17:18]
	v_add_co_u32 v14, s4, v19, v14
	v_add_co_ci_u32_e64 v18, null, 0, v20, s4
	v_add_co_u32 v0, s4, v14, v0
	v_add_co_ci_u32_e64 v1, null, v18, v1, s4
	flat_load_dword v0, v[0:1]
	s_waitcnt vmcnt(0) lgkmcnt(0)
	v_xor_b32_e32 v36, 0x7fffffff, v0
.LBB501_365:
	s_or_b32 exec_lo, exec_lo, s5
	v_lshlrev_b64 v[0:1], 3, v[8:9]
                                        ; implicit-def: $vgpr8_vgpr9
	s_and_saveexec_b32 s4, vcc_lo
	s_cbranch_execz .LBB501_367
; %bb.366:
	v_mov_b32_e32 v18, 0
	v_lshlrev_b32_e32 v8, 3, v64
	v_add_co_u32 v9, vcc_lo, v4, v0
	v_add_co_ci_u32_e64 v14, null, v5, v1, vcc_lo
	v_lshlrev_b64 v[4:5], 3, v[17:18]
	v_add_co_u32 v8, vcc_lo, v9, v8
	v_add_co_ci_u32_e64 v9, null, 0, v14, vcc_lo
	v_add_co_u32 v4, vcc_lo, v8, v4
	v_add_co_ci_u32_e64 v5, null, v9, v5, vcc_lo
	flat_load_dwordx2 v[8:9], v[4:5]
.LBB501_367:
	s_or_b32 exec_lo, exec_lo, s4
	v_lshl_add_u32 v4, v21, 5, v12
	v_and_b32_e32 v5, 0x3e0, v21
	v_sub_co_u32 v28, s6, v64, 1
	v_and_b32_e32 v17, 15, v64
	v_add_nc_u32_e32 v14, 32, v4
	v_add_nc_u32_e32 v19, 36, v4
	v_add_nc_u32_e32 v20, 40, v4
	v_add_nc_u32_e32 v22, 44, v4
	v_add_nc_u32_e32 v23, 48, v4
	v_add_nc_u32_e32 v24, 52, v4
	v_add_nc_u32_e32 v25, 56, v4
	v_add_nc_u32_e32 v26, 60, v4
	v_min_u32_e32 v4, 0xe0, v5
	v_cmp_gt_i32_e64 s10, 0, v28
	s_getpc_b64 s[4:5]
	s_add_u32 s4, s4, _ZN7rocprim17ROCPRIM_400000_NS16block_radix_sortIiLj256ELj1ElLj1ELj1ELj8ELNS0_26block_radix_rank_algorithmE2ELNS0_18block_padding_hintE2ELNS0_4arch9wavefront6targetE0EE19radix_bits_per_passE@rel32@lo+4
	s_addc_u32 s5, s5, _ZN7rocprim17ROCPRIM_400000_NS16block_radix_sortIiLj256ELj1ElLj1ELj1ELj8ELNS0_26block_radix_rank_algorithmE2ELNS0_18block_padding_hintE2ELNS0_4arch9wavefront6targetE0EE19radix_bits_per_passE@rel32@hi+12
	v_cmp_eq_u32_e32 vcc_lo, 0, v17
	s_load_dword s18, s[4:5], 0x0
	v_or_b32_e32 v4, 31, v4
	v_cmp_lt_u32_e64 s4, 1, v17
	v_cmp_lt_u32_e64 s5, 3, v17
	;; [unrolled: 1-line block ×3, first 2 shown]
	v_cndmask_b32_e64 v17, v28, v64, s10
	v_cmp_eq_u32_e64 s9, v21, v4
	v_lshrrev_b32_e32 v4, 3, v21
	v_or_b32_e32 v5, v64, v5
	v_and_b32_e32 v18, 16, v64
	v_lshlrev_b32_e32 v29, 2, v17
	v_lshrrev_b32_e32 v27, 5, v13
	v_and_b32_e32 v4, 0x7c, v4
	v_lshlrev_b32_e32 v17, 2, v5
	v_cmp_eq_u32_e64 s8, 0, v18
	v_and_b32_e32 v18, 7, v64
	v_cmp_gt_u32_e64 s10, 8, v21
	v_add_nc_u32_e32 v30, v12, v4
	v_add_nc_u32_e32 v31, v12, v17
	v_cmp_lt_u32_e64 s11, 31, v21
	v_cmp_eq_u32_e64 s12, 0, v21
	v_mov_b32_e32 v5, 0
	v_lshl_add_u32 v28, v21, 2, v12
	v_cmp_eq_u32_e64 s13, 0, v18
	v_cmp_lt_u32_e64 s14, 1, v18
	v_cmp_lt_u32_e64 s15, 3, v18
	v_add_nc_u32_e32 v32, -4, v30
	v_add_nc_u32_e32 v33, v31, v17
	v_sub_nc_u32_e32 v34, v11, v10
	s_mov_b32 s19, 0
	s_waitcnt vmcnt(0) lgkmcnt(0)
	s_waitcnt_vscnt null, 0x0
	s_barrier
	buffer_gl0_inv
	s_branch .LBB501_369
.LBB501_368:                            ;   in Loop: Header=BB501_369 Depth=1
	s_or_b32 exec_lo, exec_lo, s17
	s_and_b32 s16, exec_lo, s20
	s_or_b32 s19, s16, s19
	s_andn2_b32 exec_lo, exec_lo, s19
	s_cbranch_execz .LBB501_379
.LBB501_369:                            ; =>This Inner Loop Header: Depth=1
	v_mov_b32_e32 v35, v36
	v_min_u32_e32 v4, s18, v34
	ds_write_b32 v14, v5
	ds_write_b32 v19, v5
	;; [unrolled: 1-line block ×5, first 2 shown]
	v_lshrrev_b32_e32 v17, v10, v35
	ds_write_b32 v24, v5
	ds_write_b32 v25, v5
	;; [unrolled: 1-line block ×3, first 2 shown]
	s_waitcnt lgkmcnt(0)
	s_barrier
	v_bfe_u32 v4, v17, 0, v4
	buffer_gl0_inv
	; wave barrier
	v_and_b32_e32 v17, 1, v4
	v_lshlrev_b32_e32 v18, 30, v4
	v_lshlrev_b32_e32 v36, 29, v4
	;; [unrolled: 1-line block ×4, first 2 shown]
	v_add_co_u32 v17, s16, v17, -1
	v_cndmask_b32_e64 v38, 0, 1, s16
	v_not_b32_e32 v50, v18
	v_cmp_gt_i32_e64 s17, 0, v18
	v_not_b32_e32 v18, v36
	v_lshlrev_b32_e32 v48, 26, v4
	v_cmp_ne_u32_e64 s16, 0, v38
	v_ashrrev_i32_e32 v50, 31, v50
	v_lshlrev_b32_e32 v49, 25, v4
	v_ashrrev_i32_e32 v18, 31, v18
	v_lshlrev_b32_e32 v38, 24, v4
	v_xor_b32_e32 v17, s16, v17
	v_cmp_gt_i32_e64 s16, 0, v36
	v_not_b32_e32 v36, v37
	v_xor_b32_e32 v50, s17, v50
	v_cmp_gt_i32_e64 s17, 0, v37
	v_and_b32_e32 v17, exec_lo, v17
	v_not_b32_e32 v37, v39
	v_ashrrev_i32_e32 v36, 31, v36
	v_xor_b32_e32 v18, s16, v18
	v_cmp_gt_i32_e64 s16, 0, v39
	v_and_b32_e32 v17, v17, v50
	v_not_b32_e32 v39, v48
	v_ashrrev_i32_e32 v37, 31, v37
	v_xor_b32_e32 v36, s17, v36
	v_cmp_gt_i32_e64 s17, 0, v48
	v_and_b32_e32 v17, v17, v18
	;; [unrolled: 5-line block ×4, first 2 shown]
	v_ashrrev_i32_e32 v36, 31, v36
	v_xor_b32_e32 v37, s16, v18
	v_lshl_add_u32 v4, v4, 3, v27
	v_and_b32_e32 v38, v17, v39
	v_mov_b32_e32 v18, v9
	v_mov_b32_e32 v17, v8
	v_xor_b32_e32 v8, s17, v36
	v_and_b32_e32 v9, v38, v37
	v_lshlrev_b64 v[36:37], 2, v[4:5]
	v_and_b32_e32 v9, v9, v8
	v_add_co_u32 v8, null, v12, v36
	v_mbcnt_lo_u32_b32 v4, v9, 0
	v_cmp_ne_u32_e64 s17, 0, v9
	v_add_co_u32 v8, null, v8, 32
	v_cmp_eq_u32_e64 s16, 0, v4
	s_and_b32 s17, s17, s16
	s_and_saveexec_b32 s16, s17
; %bb.370:                              ;   in Loop: Header=BB501_369 Depth=1
	v_bcnt_u32_b32 v9, v9, 0
	ds_write_b32 v8, v9
; %bb.371:                              ;   in Loop: Header=BB501_369 Depth=1
	s_or_b32 exec_lo, exec_lo, s16
	; wave barrier
	s_waitcnt lgkmcnt(0)
	s_barrier
	buffer_gl0_inv
	ds_read_b32 v36, v14
	ds_read_b32 v37, v19
	;; [unrolled: 1-line block ×8, first 2 shown]
	s_waitcnt lgkmcnt(6)
	v_add_nc_u32_e32 v51, v37, v36
	s_waitcnt lgkmcnt(4)
	v_add3_u32 v51, v51, v38, v39
	s_waitcnt lgkmcnt(2)
	v_add3_u32 v51, v51, v48, v49
	;; [unrolled: 2-line block ×3, first 2 shown]
	v_mov_b32_dpp v51, v50 row_shr:1 row_mask:0xf bank_mask:0xf
	v_cndmask_b32_e64 v51, v51, 0, vcc_lo
	v_add_nc_u32_e32 v50, v51, v50
	v_mov_b32_dpp v51, v50 row_shr:2 row_mask:0xf bank_mask:0xf
	v_cndmask_b32_e64 v51, 0, v51, s4
	v_add_nc_u32_e32 v50, v50, v51
	v_mov_b32_dpp v51, v50 row_shr:4 row_mask:0xf bank_mask:0xf
	v_cndmask_b32_e64 v51, 0, v51, s5
	v_add_nc_u32_e32 v50, v50, v51
	v_mov_b32_dpp v51, v50 row_shr:8 row_mask:0xf bank_mask:0xf
	v_cndmask_b32_e64 v51, 0, v51, s7
	v_add_nc_u32_e32 v50, v50, v51
	ds_swizzle_b32 v51, v50 offset:swizzle(BROADCAST,32,15)
	s_waitcnt lgkmcnt(0)
	v_cndmask_b32_e64 v51, v51, 0, s8
	v_add_nc_u32_e32 v50, v50, v51
	s_and_saveexec_b32 s16, s9
; %bb.372:                              ;   in Loop: Header=BB501_369 Depth=1
	ds_write_b32 v30, v50
; %bb.373:                              ;   in Loop: Header=BB501_369 Depth=1
	s_or_b32 exec_lo, exec_lo, s16
	s_waitcnt lgkmcnt(0)
	s_barrier
	buffer_gl0_inv
	s_and_saveexec_b32 s16, s10
	s_cbranch_execz .LBB501_375
; %bb.374:                              ;   in Loop: Header=BB501_369 Depth=1
	ds_read_b32 v51, v28
	s_waitcnt lgkmcnt(0)
	v_mov_b32_dpp v52, v51 row_shr:1 row_mask:0xf bank_mask:0xf
	v_cndmask_b32_e64 v52, v52, 0, s13
	v_add_nc_u32_e32 v51, v52, v51
	v_mov_b32_dpp v52, v51 row_shr:2 row_mask:0xf bank_mask:0xf
	v_cndmask_b32_e64 v52, 0, v52, s14
	v_add_nc_u32_e32 v51, v51, v52
	;; [unrolled: 3-line block ×3, first 2 shown]
	ds_write_b32 v28, v51
.LBB501_375:                            ;   in Loop: Header=BB501_369 Depth=1
	s_or_b32 exec_lo, exec_lo, s16
	v_mov_b32_e32 v51, 0
	s_waitcnt lgkmcnt(0)
	s_barrier
	buffer_gl0_inv
	s_and_saveexec_b32 s16, s11
; %bb.376:                              ;   in Loop: Header=BB501_369 Depth=1
	ds_read_b32 v51, v32
; %bb.377:                              ;   in Loop: Header=BB501_369 Depth=1
	s_or_b32 exec_lo, exec_lo, s16
	s_waitcnt lgkmcnt(0)
	v_add_nc_u32_e32 v50, v51, v50
	v_add_nc_u32_e32 v10, 8, v10
	s_mov_b32 s20, -1
	s_mov_b32 s17, exec_lo
	ds_bpermute_b32 v50, v29, v50
	s_waitcnt lgkmcnt(0)
	v_cndmask_b32_e64 v50, v50, v51, s6
	v_cndmask_b32_e64 v50, v50, 0, s12
	v_add_nc_u32_e32 v36, v50, v36
	v_add_nc_u32_e32 v37, v36, v37
	ds_write_b32 v14, v50
	ds_write_b32 v19, v36
	ds_write_b32 v20, v37
                                        ; implicit-def: $vgpr36
	v_add_nc_u32_e32 v38, v37, v38
	v_add_nc_u32_e32 v39, v38, v39
	;; [unrolled: 1-line block ×5, first 2 shown]
	ds_write_b32 v22, v38
	ds_write_b32 v23, v39
	;; [unrolled: 1-line block ×5, first 2 shown]
	s_waitcnt lgkmcnt(0)
	s_barrier
	buffer_gl0_inv
	ds_read_b32 v8, v8
	s_waitcnt lgkmcnt(0)
	v_add_nc_u32_e32 v4, v8, v4
	v_lshlrev_b64 v[8:9], 2, v[4:5]
	v_add_co_u32 v37, null, v12, v8
	v_add_co_u32 v4, null, v37, v8
                                        ; implicit-def: $vgpr8_vgpr9
	v_cmpx_lt_u32_e64 v10, v11
	s_cbranch_execz .LBB501_368
; %bb.378:                              ;   in Loop: Header=BB501_369 Depth=1
	s_barrier
	buffer_gl0_inv
	ds_write_b32 v37, v35
	s_waitcnt lgkmcnt(0)
	s_barrier
	buffer_gl0_inv
	ds_read_b32 v36, v31
	s_waitcnt lgkmcnt(0)
	s_barrier
	buffer_gl0_inv
	ds_write_b64 v4, v[17:18]
	s_waitcnt lgkmcnt(0)
	s_barrier
	buffer_gl0_inv
	ds_read_b64 v[8:9], v33
	v_add_nc_u32_e32 v34, -8, v34
	s_xor_b32 s20, exec_lo, -1
	s_waitcnt lgkmcnt(0)
	s_barrier
	buffer_gl0_inv
	s_branch .LBB501_368
.LBB501_379:
	s_or_b32 exec_lo, exec_lo, s19
	v_lshl_add_u32 v5, v21, 3, v12
	s_barrier
	buffer_gl0_inv
	ds_write_b32 v37, v35
	s_waitcnt lgkmcnt(0)
	s_barrier
	buffer_gl0_inv
	ds_read_b32 v8, v28
	s_waitcnt lgkmcnt(0)
	s_barrier
	buffer_gl0_inv
	ds_write_b64 v4, v[17:18]
	s_waitcnt lgkmcnt(0)
	s_barrier
	buffer_gl0_inv
	ds_read_b64 v[4:5], v5
	s_mov_b32 s4, exec_lo
	s_waitcnt lgkmcnt(0)
	s_barrier
	buffer_gl0_inv
	v_cmpx_lt_u32_e64 v13, v119
	s_cbranch_execz .LBB501_381
; %bb.380:
	v_mov_b32_e32 v14, 0
	v_add_co_u32 v11, vcc_lo, v2, v15
	v_add_co_ci_u32_e64 v12, null, v3, v16, vcc_lo
	v_lshlrev_b64 v[9:10], 2, v[13:14]
	v_lshlrev_b64 v[2:3], 3, v[13:14]
	v_add_co_u32 v9, vcc_lo, v11, v9
	v_add_co_ci_u32_e64 v10, null, v12, v10, vcc_lo
	v_add_co_u32 v0, vcc_lo, v6, v0
	v_add_co_ci_u32_e64 v1, null, v7, v1, vcc_lo
	v_xor_b32_e32 v6, 0x7fffffff, v8
	v_add_co_u32 v0, vcc_lo, v0, v2
	v_add_co_ci_u32_e64 v1, null, v1, v3, vcc_lo
	flat_store_dword v[9:10], v6
	flat_store_dwordx2 v[0:1], v[4:5]
.LBB501_381:
	s_or_b32 exec_lo, exec_lo, s4
.LBB501_382:
	s_or_b32 exec_lo, exec_lo, s25
	s_clause 0x2f
	buffer_load_dword v127, off, s[0:3], s32
	buffer_load_dword v126, off, s[0:3], s32 offset:4
	buffer_load_dword v125, off, s[0:3], s32 offset:8
	;; [unrolled: 1-line block ×47, first 2 shown]
	s_waitcnt vmcnt(0) lgkmcnt(0)
	s_setpc_b64 s[30:31]
.Lfunc_end501:
	.size	_ZN7rocprim17ROCPRIM_400000_NS6detail40segmented_radix_sort_single_block_helperIilLj256ELj17ELb1EE4sortIPKiPiPKlPlEEbT_T0_T1_T2_jjjjRNS3_12storage_typeE, .Lfunc_end501-_ZN7rocprim17ROCPRIM_400000_NS6detail40segmented_radix_sort_single_block_helperIilLj256ELj17ELb1EE4sortIPKiPiPKlPlEEbT_T0_T1_T2_jjjjRNS3_12storage_typeE
                                        ; -- End function
	.set .L_ZN7rocprim17ROCPRIM_400000_NS6detail40segmented_radix_sort_single_block_helperIilLj256ELj17ELb1EE4sortIPKiPiPKlPlEEbT_T0_T1_T2_jjjjRNS3_12storage_typeE.num_vgpr, 248
	.set .L_ZN7rocprim17ROCPRIM_400000_NS6detail40segmented_radix_sort_single_block_helperIilLj256ELj17ELb1EE4sortIPKiPiPKlPlEEbT_T0_T1_T2_jjjjRNS3_12storage_typeE.num_agpr, 0
	.set .L_ZN7rocprim17ROCPRIM_400000_NS6detail40segmented_radix_sort_single_block_helperIilLj256ELj17ELb1EE4sortIPKiPiPKlPlEEbT_T0_T1_T2_jjjjRNS3_12storage_typeE.numbered_sgpr, 33
	.set .L_ZN7rocprim17ROCPRIM_400000_NS6detail40segmented_radix_sort_single_block_helperIilLj256ELj17ELb1EE4sortIPKiPiPKlPlEEbT_T0_T1_T2_jjjjRNS3_12storage_typeE.num_named_barrier, 0
	.set .L_ZN7rocprim17ROCPRIM_400000_NS6detail40segmented_radix_sort_single_block_helperIilLj256ELj17ELb1EE4sortIPKiPiPKlPlEEbT_T0_T1_T2_jjjjRNS3_12storage_typeE.private_seg_size, 196
	.set .L_ZN7rocprim17ROCPRIM_400000_NS6detail40segmented_radix_sort_single_block_helperIilLj256ELj17ELb1EE4sortIPKiPiPKlPlEEbT_T0_T1_T2_jjjjRNS3_12storage_typeE.uses_vcc, 1
	.set .L_ZN7rocprim17ROCPRIM_400000_NS6detail40segmented_radix_sort_single_block_helperIilLj256ELj17ELb1EE4sortIPKiPiPKlPlEEbT_T0_T1_T2_jjjjRNS3_12storage_typeE.uses_flat_scratch, 0
	.set .L_ZN7rocprim17ROCPRIM_400000_NS6detail40segmented_radix_sort_single_block_helperIilLj256ELj17ELb1EE4sortIPKiPiPKlPlEEbT_T0_T1_T2_jjjjRNS3_12storage_typeE.has_dyn_sized_stack, 0
	.set .L_ZN7rocprim17ROCPRIM_400000_NS6detail40segmented_radix_sort_single_block_helperIilLj256ELj17ELb1EE4sortIPKiPiPKlPlEEbT_T0_T1_T2_jjjjRNS3_12storage_typeE.has_recursion, 0
	.set .L_ZN7rocprim17ROCPRIM_400000_NS6detail40segmented_radix_sort_single_block_helperIilLj256ELj17ELb1EE4sortIPKiPiPKlPlEEbT_T0_T1_T2_jjjjRNS3_12storage_typeE.has_indirect_call, 0
	.section	.AMDGPU.csdata,"",@progbits
; Function info:
; codeLenInByte = 29156
; TotalNumSgprs: 35
; NumVgprs: 248
; ScratchSize: 196
; MemoryBound: 1
	.section	.text._ZN7rocprim17ROCPRIM_400000_NS6detail17trampoline_kernelINS0_14default_configENS1_36segmented_radix_sort_config_selectorIilEEZNS1_25segmented_radix_sort_implIS3_Lb1EPKiPiPKlPlN2at6native12_GLOBAL__N_18offset_tEEE10hipError_tPvRmT1_PNSt15iterator_traitsISK_E10value_typeET2_T3_PNSL_ISQ_E10value_typeET4_jRbjT5_SW_jjP12ihipStream_tbEUlT_E_NS1_11comp_targetILNS1_3genE8ELNS1_11target_archE1030ELNS1_3gpuE2ELNS1_3repE0EEENS1_30default_config_static_selectorELNS0_4arch9wavefront6targetE0EEEvSK_,"axG",@progbits,_ZN7rocprim17ROCPRIM_400000_NS6detail17trampoline_kernelINS0_14default_configENS1_36segmented_radix_sort_config_selectorIilEEZNS1_25segmented_radix_sort_implIS3_Lb1EPKiPiPKlPlN2at6native12_GLOBAL__N_18offset_tEEE10hipError_tPvRmT1_PNSt15iterator_traitsISK_E10value_typeET2_T3_PNSL_ISQ_E10value_typeET4_jRbjT5_SW_jjP12ihipStream_tbEUlT_E_NS1_11comp_targetILNS1_3genE8ELNS1_11target_archE1030ELNS1_3gpuE2ELNS1_3repE0EEENS1_30default_config_static_selectorELNS0_4arch9wavefront6targetE0EEEvSK_,comdat
	.globl	_ZN7rocprim17ROCPRIM_400000_NS6detail17trampoline_kernelINS0_14default_configENS1_36segmented_radix_sort_config_selectorIilEEZNS1_25segmented_radix_sort_implIS3_Lb1EPKiPiPKlPlN2at6native12_GLOBAL__N_18offset_tEEE10hipError_tPvRmT1_PNSt15iterator_traitsISK_E10value_typeET2_T3_PNSL_ISQ_E10value_typeET4_jRbjT5_SW_jjP12ihipStream_tbEUlT_E_NS1_11comp_targetILNS1_3genE8ELNS1_11target_archE1030ELNS1_3gpuE2ELNS1_3repE0EEENS1_30default_config_static_selectorELNS0_4arch9wavefront6targetE0EEEvSK_ ; -- Begin function _ZN7rocprim17ROCPRIM_400000_NS6detail17trampoline_kernelINS0_14default_configENS1_36segmented_radix_sort_config_selectorIilEEZNS1_25segmented_radix_sort_implIS3_Lb1EPKiPiPKlPlN2at6native12_GLOBAL__N_18offset_tEEE10hipError_tPvRmT1_PNSt15iterator_traitsISK_E10value_typeET2_T3_PNSL_ISQ_E10value_typeET4_jRbjT5_SW_jjP12ihipStream_tbEUlT_E_NS1_11comp_targetILNS1_3genE8ELNS1_11target_archE1030ELNS1_3gpuE2ELNS1_3repE0EEENS1_30default_config_static_selectorELNS0_4arch9wavefront6targetE0EEEvSK_
	.p2align	8
	.type	_ZN7rocprim17ROCPRIM_400000_NS6detail17trampoline_kernelINS0_14default_configENS1_36segmented_radix_sort_config_selectorIilEEZNS1_25segmented_radix_sort_implIS3_Lb1EPKiPiPKlPlN2at6native12_GLOBAL__N_18offset_tEEE10hipError_tPvRmT1_PNSt15iterator_traitsISK_E10value_typeET2_T3_PNSL_ISQ_E10value_typeET4_jRbjT5_SW_jjP12ihipStream_tbEUlT_E_NS1_11comp_targetILNS1_3genE8ELNS1_11target_archE1030ELNS1_3gpuE2ELNS1_3repE0EEENS1_30default_config_static_selectorELNS0_4arch9wavefront6targetE0EEEvSK_,@function
_ZN7rocprim17ROCPRIM_400000_NS6detail17trampoline_kernelINS0_14default_configENS1_36segmented_radix_sort_config_selectorIilEEZNS1_25segmented_radix_sort_implIS3_Lb1EPKiPiPKlPlN2at6native12_GLOBAL__N_18offset_tEEE10hipError_tPvRmT1_PNSt15iterator_traitsISK_E10value_typeET2_T3_PNSL_ISQ_E10value_typeET4_jRbjT5_SW_jjP12ihipStream_tbEUlT_E_NS1_11comp_targetILNS1_3genE8ELNS1_11target_archE1030ELNS1_3gpuE2ELNS1_3repE0EEENS1_30default_config_static_selectorELNS0_4arch9wavefront6targetE0EEEvSK_: ; @_ZN7rocprim17ROCPRIM_400000_NS6detail17trampoline_kernelINS0_14default_configENS1_36segmented_radix_sort_config_selectorIilEEZNS1_25segmented_radix_sort_implIS3_Lb1EPKiPiPKlPlN2at6native12_GLOBAL__N_18offset_tEEE10hipError_tPvRmT1_PNSt15iterator_traitsISK_E10value_typeET2_T3_PNSL_ISQ_E10value_typeET4_jRbjT5_SW_jjP12ihipStream_tbEUlT_E_NS1_11comp_targetILNS1_3genE8ELNS1_11target_archE1030ELNS1_3gpuE2ELNS1_3repE0EEENS1_30default_config_static_selectorELNS0_4arch9wavefront6targetE0EEEvSK_
; %bb.0:
	s_load_dwordx2 s[12:13], s[4:5], 0x38
	s_mov_b32 s28, s7
	s_mov_b32 s7, 0
	s_add_u32 s0, s0, s8
	s_addc_u32 s1, s1, 0
	s_lshl_b64 s[14:15], s[6:7], 2
	s_load_dwordx4 s[8:11], s[4:5], 0x40
	s_mov_b32 s32, 0
	s_waitcnt lgkmcnt(0)
	s_add_u32 s12, s12, s14
	s_addc_u32 s13, s13, s15
	s_load_dword s7, s[12:13], 0x0
	s_waitcnt lgkmcnt(0)
	s_add_i32 s58, s7, s9
	s_add_i32 s59, s7, s11
	s_mul_i32 s58, s58, s8
	s_mul_i32 s59, s59, s10
	s_cmp_le_u32 s59, s58
	s_cbranch_scc1 .LBB502_1254
; %bb.1:
	s_clause 0x3
	s_load_dword s7, s[4:5], 0x30
	s_load_dwordx4 s[52:55], s[4:5], 0x20
	s_load_dwordx4 s[40:43], s[4:5], 0x50
	s_load_dwordx8 s[44:51], s[4:5], 0x0
	s_waitcnt lgkmcnt(0)
	s_bitcmp1_b32 s7, 0
	s_mov_b32 s7, -1
	s_cselect_b32 s43, -1, 0
	s_sub_i32 s60, s59, s58
	s_cmpk_lt_u32 s60, 0x1101
	s_cbranch_scc0 .LBB502_7
; %bb.2:
	v_cndmask_b32_e64 v3, 0, 1, s43
	s_and_b32 s7, s40, 1
	v_lshlrev_b32_e32 v41, 20, v2
	v_lshlrev_b32_e32 v42, 10, v1
	v_cmp_ne_u32_e32 vcc_lo, s7, v3
	s_mov_b32 s7, -1
	s_cbranch_vccnz .LBB502_4
; %bb.3:
	s_mov_b64 s[10:11], src_shared_base
	v_or3_b32 v31, v0, v42, v41
	v_mov_b32_e32 v40, v0
	v_mov_b32_e32 v0, s44
	;; [unrolled: 1-line block ×17, first 2 shown]
	s_add_u32 s8, s4, 0x60
	s_addc_u32 s9, s5, 0
	s_getpc_b64 s[14:15]
	s_add_u32 s14, s14, _ZN7rocprim17ROCPRIM_400000_NS6detail40segmented_radix_sort_single_block_helperIilLj256ELj17ELb1EE4sortIPKiPiPKlPlEEbT_T0_T1_T2_jjjjRNS3_12storage_typeE@rel32@lo+4
	s_addc_u32 s15, s15, _ZN7rocprim17ROCPRIM_400000_NS6detail40segmented_radix_sort_single_block_helperIilLj256ELj17ELb1EE4sortIPKiPiPKlPlEEbT_T0_T1_T2_jjjjRNS3_12storage_typeE@rel32@hi+12
	s_mov_b32 s12, s6
	s_mov_b32 s13, s28
	;; [unrolled: 1-line block ×3, first 2 shown]
	s_mov_b64 s[36:37], s[4:5]
	s_swappc_b64 s[30:31], s[14:15]
	v_mov_b32_e32 v1, v43
	v_mov_b32_e32 v2, v44
	;; [unrolled: 1-line block ×3, first 2 shown]
	s_mov_b64 s[4:5], s[36:37]
	s_mov_b32 s6, s34
	s_mov_b32 s7, 0
.LBB502_4:
	s_andn2_b32 vcc_lo, exec_lo, s7
	s_cbranch_vccnz .LBB502_6
; %bb.5:
	s_mov_b64 s[10:11], src_shared_base
	v_or3_b32 v31, v0, v42, v41
	v_mov_b32_e32 v40, v0
	v_mov_b32_e32 v0, s44
	v_mov_b32_e32 v41, v1
	v_mov_b32_e32 v1, s45
	v_mov_b32_e32 v42, v2
	v_mov_b32_e32 v2, s46
	v_mov_b32_e32 v3, s47
	v_mov_b32_e32 v4, s50
	v_mov_b32_e32 v5, s51
	v_mov_b32_e32 v6, s52
	v_mov_b32_e32 v7, s53
	v_mov_b32_e32 v8, s58
	v_mov_b32_e32 v9, s59
	v_mov_b32_e32 v10, s41
	v_mov_b32_e32 v11, s42
	v_mov_b32_e32 v12, 0
	v_mov_b32_e32 v13, s11
	s_add_u32 s8, s4, 0x60
	s_addc_u32 s9, s5, 0
	s_getpc_b64 s[14:15]
	s_add_u32 s14, s14, _ZN7rocprim17ROCPRIM_400000_NS6detail40segmented_radix_sort_single_block_helperIilLj256ELj17ELb1EE4sortIPKiPiPKlPlEEbT_T0_T1_T2_jjjjRNS3_12storage_typeE@rel32@lo+4
	s_addc_u32 s15, s15, _ZN7rocprim17ROCPRIM_400000_NS6detail40segmented_radix_sort_single_block_helperIilLj256ELj17ELb1EE4sortIPKiPiPKlPlEEbT_T0_T1_T2_jjjjRNS3_12storage_typeE@rel32@hi+12
	s_mov_b32 s12, s6
	s_mov_b32 s13, s28
	s_mov_b32 s34, s6
	s_mov_b64 s[36:37], s[4:5]
	s_swappc_b64 s[30:31], s[14:15]
	v_mov_b32_e32 v1, v41
	v_mov_b32_e32 v2, v42
	;; [unrolled: 1-line block ×3, first 2 shown]
	s_mov_b64 s[4:5], s[36:37]
	s_mov_b32 s6, s34
.LBB502_6:
	s_mov_b32 s7, 0
.LBB502_7:
	s_andn2_b32 vcc_lo, exec_lo, s7
	s_cbranch_vccnz .LBB502_1254
; %bb.8:
	s_cmp_ge_u32 s41, s42
	s_cbranch_scc1 .LBB502_1254
; %bb.9:
	v_and_b32_e32 v5, 0xe0, v0
	v_lshlrev_b32_e32 v43, 2, v0
	v_and_b32_e32 v3, 3, v0
	v_lshrrev_b32_e32 v7, 3, v0
	s_add_u32 s56, s4, 0x60
	v_min_u32_e32 v6, 0x60, v5
	v_mad_u32_u24 v64, v0, 12, v43
	v_lshlrev_b32_e32 v63, 2, v3
	v_mul_u32_u24_e32 v3, 17, v5
	v_or_b32_e32 v5, 31, v5
	v_or_b32_e32 v6, 31, v6
	v_add_nc_u32_e32 v68, v64, v43
	v_and_b32_e32 v62, 28, v7
	v_add_nc_u32_e32 v7, 1, v0
	v_cmp_eq_u32_e64 s4, v0, v5
	v_cmp_eq_u32_e64 s8, v0, v6
	v_lshlrev_b32_e32 v6, 4, v0
	v_lshlrev_b32_e32 v5, 3, v3
	v_mul_u32_u24_e32 v70, 36, v7
	v_cmp_ne_u32_e64 s13, 0x80, v7
	v_mbcnt_lo_u32_b32 v82, -1, 0
	v_sub_nc_u32_e32 v69, v68, v6
	v_lshlrev_b32_e32 v6, 2, v3
	v_add_co_u32 v7, s14, s54, v5
	v_add_co_ci_u32_e64 v8, null, s55, 0, s14
	v_add_co_u32 v9, s14, s48, v6
	v_add_co_ci_u32_e64 v10, null, s49, 0, s14
	;; [unrolled: 2-line block ×3, first 2 shown]
	v_add_co_u32 v74, s14, s52, v5
	v_lshlrev_b32_e32 v106, 3, v82
	v_add_co_ci_u32_e64 v75, null, s53, 0, s14
	v_add_co_u32 v76, s14, s46, v6
	v_lshlrev_b32_e32 v125, 2, v82
	v_add_co_ci_u32_e64 v77, null, s47, 0, s14
	v_add_co_u32 v78, s14, s44, v43
	v_or_b32_e32 v47, 0x200, v0
	v_or_b32_e32 v48, 0x300, v0
	;; [unrolled: 1-line block ×16, first 2 shown]
	v_add_co_ci_u32_e64 v79, null, s45, 0, s14
	v_add_co_u32 v80, s14, s50, v5
	v_add_co_u32 v110, vcc_lo, v7, v106
	v_add_co_u32 v45, s7, s48, v43
	v_add_co_ci_u32_e64 v81, null, s51, 0, s14
	v_add_co_u32 v83, s14, s44, v6
	v_add_co_ci_u32_e64 v111, null, 0, v8, vcc_lo
	v_add_co_u32 v129, vcc_lo, v9, v125
	v_mov_b32_e32 v4, 0
	v_or_b32_e32 v44, 0x100, v0
	v_add_co_ci_u32_e64 v46, null, s49, 0, s7
	v_cmp_gt_u32_e64 s7, 0x80, v0
	v_or_b32_e32 v65, 0x8a00, v62
	v_cmp_gt_u32_e64 s9, 4, v0
	v_add_nc_u32_e32 v66, 0x8a00, v43
	v_cmp_lt_u32_e64 s10, 31, v0
	v_add_nc_u32_e32 v67, 0x89fc, v62
	v_cmp_gt_u32_e64 s11, 8, v0
	v_cmp_eq_u32_e64 s12, 0, v0
	v_lshl_add_u32 v71, v0, 5, v69
	v_add_co_ci_u32_e64 v84, null, s45, 0, s14
	v_mov_b32_e32 v85, 1
	v_and_b32_e32 v86, 15, v82
	v_bfe_i32 v87, v82, 4, 1
	v_and_b32_e32 v88, 16, v82
	v_and_b32_e32 v89, 3, v82
	v_sub_co_u32 v90, s14, v82, 1
	v_lshlrev_b32_e32 v91, 2, v0
	v_lshlrev_b32_e32 v92, 2, v47
	;; [unrolled: 1-line block ×16, first 2 shown]
	v_and_b32_e32 v108, 7, v82
	v_add_nc_u32_e32 v112, 32, v109
	v_add_nc_u32_e32 v113, 64, v109
	;; [unrolled: 1-line block ×16, first 2 shown]
	v_add_co_ci_u32_e64 v130, null, 0, v10, vcc_lo
	s_addc_u32 s57, s5, 0
	s_mov_b32 s51, 0
	s_mov_b32 s61, s41
	s_branch .LBB502_12
.LBB502_10:                             ;   in Loop: Header=BB502_12 Depth=1
	s_waitcnt lgkmcnt(0)
	s_barrier
.LBB502_11:                             ;   in Loop: Header=BB502_12 Depth=1
	s_add_i32 s61, s61, 7
	buffer_gl0_inv
	s_cmp_ge_u32 s61, s42
	s_cbranch_scc1 .LBB502_1254
.LBB502_12:                             ; =>This Loop Header: Depth=1
                                        ;     Child Loop BB502_16 Depth 2
                                        ;     Child Loop BB502_100 Depth 2
	;; [unrolled: 1-line block ×8, first 2 shown]
	s_sub_i32 s5, s42, s61
	s_xor_b32 s43, s43, -1
	s_min_u32 s5, s5, 7
	ds_write2st64_b32 v43, v4, v4 offset1:4
	s_lshl_b32 s5, -1, s5
	s_waitcnt lgkmcnt(0)
	s_waitcnt_vscnt null, 0x0
	s_not_b32 s62, s5
	s_cmp_lg_u32 s61, s41
	s_mov_b32 s5, -1
	s_cbranch_scc0 .LBB502_634
; %bb.13:                               ;   in Loop: Header=BB502_12 Depth=1
	s_and_b32 vcc_lo, exec_lo, s43
	s_cbranch_vccz .LBB502_323
; %bb.14:                               ;   in Loop: Header=BB502_12 Depth=1
	s_mov_b32 s5, s60
	s_mov_b32 s50, s58
	s_barrier
	buffer_gl0_inv
                                        ; implicit-def: $vgpr3
                                        ; implicit-def: $vgpr5
                                        ; implicit-def: $vgpr6
                                        ; implicit-def: $vgpr7
                                        ; implicit-def: $vgpr8
                                        ; implicit-def: $vgpr9
                                        ; implicit-def: $vgpr10
                                        ; implicit-def: $vgpr11
                                        ; implicit-def: $vgpr12
                                        ; implicit-def: $vgpr13
                                        ; implicit-def: $vgpr14
                                        ; implicit-def: $vgpr15
                                        ; implicit-def: $vgpr16
                                        ; implicit-def: $vgpr17
                                        ; implicit-def: $vgpr18
                                        ; implicit-def: $vgpr19
                                        ; implicit-def: $vgpr20
	s_branch .LBB502_16
.LBB502_15:                             ;   in Loop: Header=BB502_16 Depth=2
	s_or_b32 exec_lo, exec_lo, s16
	s_addk_i32 s5, 0xef00
	s_cmp_ge_u32 s15, s59
	s_mov_b32 s50, s15
	s_cbranch_scc1 .LBB502_88
.LBB502_16:                             ;   Parent Loop BB502_12 Depth=1
                                        ; =>  This Inner Loop Header: Depth=2
	s_add_i32 s15, s50, 0x1100
	s_mov_b32 s16, -1
	s_cmp_gt_u32 s15, s59
                                        ; implicit-def: $vgpr21
                                        ; implicit-def: $vgpr22
                                        ; implicit-def: $vgpr25
                                        ; implicit-def: $vgpr23
                                        ; implicit-def: $vgpr27
                                        ; implicit-def: $vgpr24
                                        ; implicit-def: $vgpr29
                                        ; implicit-def: $vgpr26
                                        ; implicit-def: $vgpr31
                                        ; implicit-def: $vgpr28
                                        ; implicit-def: $vgpr33
                                        ; implicit-def: $vgpr30
                                        ; implicit-def: $vgpr34
                                        ; implicit-def: $vgpr32
                                        ; implicit-def: $vgpr35
                                        ; implicit-def: $vgpr36
                                        ; implicit-def: $vgpr37
	s_cbranch_scc1 .LBB502_18
; %bb.17:                               ;   in Loop: Header=BB502_16 Depth=2
	s_lshl_b64 s[16:17], s[50:51], 2
	v_add_co_u32 v33, vcc_lo, v45, s16
	v_add_co_ci_u32_e64 v34, null, s17, v46, vcc_lo
	s_mov_b32 s16, 0
	v_add_co_u32 v23, vcc_lo, 0x800, v33
	v_add_co_ci_u32_e64 v24, null, 0, v34, vcc_lo
	v_add_co_u32 v35, vcc_lo, v33, 0x1000
	v_add_co_ci_u32_e64 v36, null, 0, v34, vcc_lo
	v_add_co_u32 v25, vcc_lo, 0x1000, v33
	v_add_co_ci_u32_e64 v26, null, 0, v34, vcc_lo
	v_add_co_u32 v27, vcc_lo, 0x1800, v33
	v_add_co_ci_u32_e64 v28, null, 0, v34, vcc_lo
	v_add_co_u32 v37, vcc_lo, v33, 0x2000
	v_add_co_ci_u32_e64 v38, null, 0, v34, vcc_lo
	v_add_co_u32 v29, vcc_lo, 0x2000, v33
	v_add_co_ci_u32_e64 v30, null, 0, v34, vcc_lo
	v_add_co_u32 v31, vcc_lo, 0x2800, v33
	v_add_co_ci_u32_e64 v32, null, 0, v34, vcc_lo
	v_add_co_u32 v39, vcc_lo, v33, 0x3000
	v_add_co_ci_u32_e64 v40, null, 0, v34, vcc_lo
	v_add_co_u32 v41, vcc_lo, 0x3000, v33
	v_add_co_ci_u32_e64 v42, null, 0, v34, vcc_lo
	s_clause 0x7
	global_load_dword v21, v[33:34], off
	global_load_dword v22, v[33:34], off offset:1024
	global_load_dword v23, v[23:24], off offset:1024
	;; [unrolled: 1-line block ×7, first 2 shown]
	v_add_co_u32 v41, vcc_lo, 0x3800, v33
	v_add_co_ci_u32_e64 v42, null, 0, v34, vcc_lo
	v_add_co_u32 v131, vcc_lo, v33, 0x4000
	v_add_co_ci_u32_e64 v132, null, 0, v34, vcc_lo
	s_clause 0x8
	global_load_dword v25, v[35:36], off offset:-2048
	global_load_dword v27, v[35:36], off
	global_load_dword v29, v[37:38], off offset:-2048
	global_load_dword v31, v[37:38], off
	;; [unrolled: 2-line block ×3, first 2 shown]
	global_load_dword v35, v[131:132], off offset:-2048
	global_load_dword v36, v[41:42], off offset:1024
	global_load_dword v37, v[131:132], off
.LBB502_18:                             ;   in Loop: Header=BB502_16 Depth=2
	s_andn2_b32 vcc_lo, exec_lo, s16
	s_movk_i32 s16, 0x1100
	s_cbranch_vccnz .LBB502_38
; %bb.19:                               ;   in Loop: Header=BB502_16 Depth=2
	s_lshl_b64 s[16:17], s[50:51], 2
	s_mov_b32 s18, exec_lo
	s_add_u32 s16, s48, s16
	s_addc_u32 s17, s49, s17
	v_cmpx_gt_u32_e64 s5, v0
	s_cbranch_execnz .LBB502_72
; %bb.20:                               ;   in Loop: Header=BB502_16 Depth=2
	s_or_b32 exec_lo, exec_lo, s18
	s_mov_b32 s18, exec_lo
	v_cmpx_gt_u32_e64 s5, v44
	s_cbranch_execnz .LBB502_73
.LBB502_21:                             ;   in Loop: Header=BB502_16 Depth=2
	s_or_b32 exec_lo, exec_lo, s18
	s_mov_b32 s18, exec_lo
	v_cmpx_gt_u32_e64 s5, v47
	s_cbranch_execnz .LBB502_74
.LBB502_22:                             ;   in Loop: Header=BB502_16 Depth=2
	s_or_b32 exec_lo, exec_lo, s18
	s_mov_b32 s18, exec_lo
	v_cmpx_gt_u32_e64 s5, v48
	s_cbranch_execnz .LBB502_75
.LBB502_23:                             ;   in Loop: Header=BB502_16 Depth=2
	s_or_b32 exec_lo, exec_lo, s18
	s_mov_b32 s18, exec_lo
	v_cmpx_gt_u32_e64 s5, v49
	s_cbranch_execnz .LBB502_76
.LBB502_24:                             ;   in Loop: Header=BB502_16 Depth=2
	s_or_b32 exec_lo, exec_lo, s18
	s_mov_b32 s18, exec_lo
	v_cmpx_gt_u32_e64 s5, v50
	s_cbranch_execnz .LBB502_77
.LBB502_25:                             ;   in Loop: Header=BB502_16 Depth=2
	s_or_b32 exec_lo, exec_lo, s18
	s_mov_b32 s18, exec_lo
	v_cmpx_gt_u32_e64 s5, v51
	s_cbranch_execnz .LBB502_78
.LBB502_26:                             ;   in Loop: Header=BB502_16 Depth=2
	s_or_b32 exec_lo, exec_lo, s18
	s_mov_b32 s18, exec_lo
	v_cmpx_gt_u32_e64 s5, v52
	s_cbranch_execnz .LBB502_79
.LBB502_27:                             ;   in Loop: Header=BB502_16 Depth=2
	s_or_b32 exec_lo, exec_lo, s18
	s_mov_b32 s18, exec_lo
	v_cmpx_gt_u32_e64 s5, v53
	s_cbranch_execnz .LBB502_80
.LBB502_28:                             ;   in Loop: Header=BB502_16 Depth=2
	s_or_b32 exec_lo, exec_lo, s18
	s_mov_b32 s18, exec_lo
	v_cmpx_gt_u32_e64 s5, v54
	s_cbranch_execnz .LBB502_81
.LBB502_29:                             ;   in Loop: Header=BB502_16 Depth=2
	s_or_b32 exec_lo, exec_lo, s18
	s_mov_b32 s18, exec_lo
	v_cmpx_gt_u32_e64 s5, v55
	s_cbranch_execnz .LBB502_82
.LBB502_30:                             ;   in Loop: Header=BB502_16 Depth=2
	s_or_b32 exec_lo, exec_lo, s18
	s_mov_b32 s18, exec_lo
	v_cmpx_gt_u32_e64 s5, v56
	s_cbranch_execnz .LBB502_83
.LBB502_31:                             ;   in Loop: Header=BB502_16 Depth=2
	s_or_b32 exec_lo, exec_lo, s18
	s_mov_b32 s18, exec_lo
	v_cmpx_gt_u32_e64 s5, v57
	s_cbranch_execnz .LBB502_84
.LBB502_32:                             ;   in Loop: Header=BB502_16 Depth=2
	s_or_b32 exec_lo, exec_lo, s18
	s_mov_b32 s18, exec_lo
	v_cmpx_gt_u32_e64 s5, v58
	s_cbranch_execnz .LBB502_85
.LBB502_33:                             ;   in Loop: Header=BB502_16 Depth=2
	s_or_b32 exec_lo, exec_lo, s18
	s_mov_b32 s18, exec_lo
	v_cmpx_gt_u32_e64 s5, v59
	s_cbranch_execnz .LBB502_86
.LBB502_34:                             ;   in Loop: Header=BB502_16 Depth=2
	s_or_b32 exec_lo, exec_lo, s18
	s_mov_b32 s18, exec_lo
	v_cmpx_gt_u32_e64 s5, v60
	s_cbranch_execnz .LBB502_87
.LBB502_35:                             ;   in Loop: Header=BB502_16 Depth=2
	s_or_b32 exec_lo, exec_lo, s18
	s_mov_b32 s18, exec_lo
	v_cmpx_gt_u32_e64 s5, v61
	s_cbranch_execz .LBB502_37
.LBB502_36:                             ;   in Loop: Header=BB502_16 Depth=2
	global_load_dword v3, v107, s[16:17]
.LBB502_37:                             ;   in Loop: Header=BB502_16 Depth=2
	s_or_b32 exec_lo, exec_lo, s18
	s_waitcnt vmcnt(0)
	v_mov_b32_e32 v21, v20
	v_mov_b32_e32 v22, v19
	;; [unrolled: 1-line block ×17, first 2 shown]
	s_mov_b32 s16, s5
.LBB502_38:                             ;   in Loop: Header=BB502_16 Depth=2
	s_waitcnt vmcnt(0)
	v_mov_b32_e32 v3, v37
	v_mov_b32_e32 v5, v36
	v_mov_b32_e32 v6, v35
	v_mov_b32_e32 v7, v32
	v_mov_b32_e32 v8, v34
	v_mov_b32_e32 v9, v30
	v_mov_b32_e32 v10, v33
	v_mov_b32_e32 v11, v28
	v_mov_b32_e32 v12, v31
	v_mov_b32_e32 v13, v26
	v_mov_b32_e32 v14, v29
	v_mov_b32_e32 v15, v24
	v_mov_b32_e32 v16, v27
	v_mov_b32_e32 v17, v23
	v_mov_b32_e32 v18, v25
	v_mov_b32_e32 v19, v22
	v_mov_b32_e32 v20, v21
	s_mov_b32 s17, exec_lo
	v_cmpx_gt_u32_e64 s16, v0
	s_cbranch_execnz .LBB502_55
; %bb.39:                               ;   in Loop: Header=BB502_16 Depth=2
	s_or_b32 exec_lo, exec_lo, s17
	s_mov_b32 s17, exec_lo
	v_cmpx_gt_u32_e64 s16, v44
	s_cbranch_execnz .LBB502_56
.LBB502_40:                             ;   in Loop: Header=BB502_16 Depth=2
	s_or_b32 exec_lo, exec_lo, s17
	s_mov_b32 s17, exec_lo
	v_cmpx_gt_u32_e64 s16, v47
	s_cbranch_execnz .LBB502_57
.LBB502_41:                             ;   in Loop: Header=BB502_16 Depth=2
	s_or_b32 exec_lo, exec_lo, s17
	s_mov_b32 s17, exec_lo
	v_cmpx_gt_u32_e64 s16, v48
	s_cbranch_execnz .LBB502_58
.LBB502_42:                             ;   in Loop: Header=BB502_16 Depth=2
	s_or_b32 exec_lo, exec_lo, s17
	s_mov_b32 s17, exec_lo
	v_cmpx_gt_u32_e64 s16, v49
	s_cbranch_execnz .LBB502_59
.LBB502_43:                             ;   in Loop: Header=BB502_16 Depth=2
	s_or_b32 exec_lo, exec_lo, s17
	s_mov_b32 s17, exec_lo
	v_cmpx_gt_u32_e64 s16, v50
	s_cbranch_execnz .LBB502_60
.LBB502_44:                             ;   in Loop: Header=BB502_16 Depth=2
	s_or_b32 exec_lo, exec_lo, s17
	s_mov_b32 s17, exec_lo
	v_cmpx_gt_u32_e64 s16, v51
	s_cbranch_execnz .LBB502_61
.LBB502_45:                             ;   in Loop: Header=BB502_16 Depth=2
	s_or_b32 exec_lo, exec_lo, s17
	s_mov_b32 s17, exec_lo
	v_cmpx_gt_u32_e64 s16, v52
	s_cbranch_execnz .LBB502_62
.LBB502_46:                             ;   in Loop: Header=BB502_16 Depth=2
	s_or_b32 exec_lo, exec_lo, s17
	s_mov_b32 s17, exec_lo
	v_cmpx_gt_u32_e64 s16, v53
	s_cbranch_execnz .LBB502_63
.LBB502_47:                             ;   in Loop: Header=BB502_16 Depth=2
	s_or_b32 exec_lo, exec_lo, s17
	s_mov_b32 s17, exec_lo
	v_cmpx_gt_u32_e64 s16, v54
	s_cbranch_execnz .LBB502_64
.LBB502_48:                             ;   in Loop: Header=BB502_16 Depth=2
	s_or_b32 exec_lo, exec_lo, s17
	s_mov_b32 s17, exec_lo
	v_cmpx_gt_u32_e64 s16, v55
	s_cbranch_execnz .LBB502_65
.LBB502_49:                             ;   in Loop: Header=BB502_16 Depth=2
	s_or_b32 exec_lo, exec_lo, s17
	s_mov_b32 s17, exec_lo
	v_cmpx_gt_u32_e64 s16, v56
	s_cbranch_execnz .LBB502_66
.LBB502_50:                             ;   in Loop: Header=BB502_16 Depth=2
	s_or_b32 exec_lo, exec_lo, s17
	s_mov_b32 s17, exec_lo
	v_cmpx_gt_u32_e64 s16, v57
	s_cbranch_execnz .LBB502_67
.LBB502_51:                             ;   in Loop: Header=BB502_16 Depth=2
	s_or_b32 exec_lo, exec_lo, s17
	s_mov_b32 s17, exec_lo
	v_cmpx_gt_u32_e64 s16, v58
	s_cbranch_execnz .LBB502_68
.LBB502_52:                             ;   in Loop: Header=BB502_16 Depth=2
	s_or_b32 exec_lo, exec_lo, s17
	s_mov_b32 s17, exec_lo
	v_cmpx_gt_u32_e64 s16, v59
	s_cbranch_execnz .LBB502_69
.LBB502_53:                             ;   in Loop: Header=BB502_16 Depth=2
	s_or_b32 exec_lo, exec_lo, s17
	s_mov_b32 s17, exec_lo
	v_cmpx_gt_u32_e64 s16, v60
	s_cbranch_execnz .LBB502_70
.LBB502_54:                             ;   in Loop: Header=BB502_16 Depth=2
	s_or_b32 exec_lo, exec_lo, s17
	v_cmp_gt_u32_e32 vcc_lo, s16, v61
	s_and_saveexec_b32 s16, vcc_lo
	s_cbranch_execz .LBB502_15
	s_branch .LBB502_71
.LBB502_55:                             ;   in Loop: Header=BB502_16 Depth=2
	v_xor_b32_e32 v21, 0x7fffffff, v20
	v_lshrrev_b32_e32 v21, s61, v21
	v_and_b32_e32 v21, s62, v21
	v_lshl_or_b32 v21, v21, 4, v63
	ds_add_u32 v21, v85
	s_or_b32 exec_lo, exec_lo, s17
	s_mov_b32 s17, exec_lo
	v_cmpx_gt_u32_e64 s16, v44
	s_cbranch_execz .LBB502_40
.LBB502_56:                             ;   in Loop: Header=BB502_16 Depth=2
	v_xor_b32_e32 v21, 0x7fffffff, v19
	v_lshrrev_b32_e32 v21, s61, v21
	v_and_b32_e32 v21, s62, v21
	v_lshl_or_b32 v21, v21, 4, v63
	ds_add_u32 v21, v85
	s_or_b32 exec_lo, exec_lo, s17
	s_mov_b32 s17, exec_lo
	v_cmpx_gt_u32_e64 s16, v47
	s_cbranch_execz .LBB502_41
.LBB502_57:                             ;   in Loop: Header=BB502_16 Depth=2
	v_xor_b32_e32 v21, 0x7fffffff, v18
	v_lshrrev_b32_e32 v21, s61, v21
	v_and_b32_e32 v21, s62, v21
	v_lshl_or_b32 v21, v21, 4, v63
	ds_add_u32 v21, v85
	s_or_b32 exec_lo, exec_lo, s17
	s_mov_b32 s17, exec_lo
	v_cmpx_gt_u32_e64 s16, v48
	s_cbranch_execz .LBB502_42
.LBB502_58:                             ;   in Loop: Header=BB502_16 Depth=2
	v_xor_b32_e32 v21, 0x7fffffff, v17
	v_lshrrev_b32_e32 v21, s61, v21
	v_and_b32_e32 v21, s62, v21
	v_lshl_or_b32 v21, v21, 4, v63
	ds_add_u32 v21, v85
	s_or_b32 exec_lo, exec_lo, s17
	s_mov_b32 s17, exec_lo
	v_cmpx_gt_u32_e64 s16, v49
	s_cbranch_execz .LBB502_43
.LBB502_59:                             ;   in Loop: Header=BB502_16 Depth=2
	v_xor_b32_e32 v21, 0x7fffffff, v16
	v_lshrrev_b32_e32 v21, s61, v21
	v_and_b32_e32 v21, s62, v21
	v_lshl_or_b32 v21, v21, 4, v63
	ds_add_u32 v21, v85
	s_or_b32 exec_lo, exec_lo, s17
	s_mov_b32 s17, exec_lo
	v_cmpx_gt_u32_e64 s16, v50
	s_cbranch_execz .LBB502_44
.LBB502_60:                             ;   in Loop: Header=BB502_16 Depth=2
	v_xor_b32_e32 v21, 0x7fffffff, v15
	v_lshrrev_b32_e32 v21, s61, v21
	v_and_b32_e32 v21, s62, v21
	v_lshl_or_b32 v21, v21, 4, v63
	ds_add_u32 v21, v85
	s_or_b32 exec_lo, exec_lo, s17
	s_mov_b32 s17, exec_lo
	v_cmpx_gt_u32_e64 s16, v51
	s_cbranch_execz .LBB502_45
.LBB502_61:                             ;   in Loop: Header=BB502_16 Depth=2
	v_xor_b32_e32 v21, 0x7fffffff, v14
	v_lshrrev_b32_e32 v21, s61, v21
	v_and_b32_e32 v21, s62, v21
	v_lshl_or_b32 v21, v21, 4, v63
	ds_add_u32 v21, v85
	s_or_b32 exec_lo, exec_lo, s17
	s_mov_b32 s17, exec_lo
	v_cmpx_gt_u32_e64 s16, v52
	s_cbranch_execz .LBB502_46
.LBB502_62:                             ;   in Loop: Header=BB502_16 Depth=2
	v_xor_b32_e32 v21, 0x7fffffff, v13
	v_lshrrev_b32_e32 v21, s61, v21
	v_and_b32_e32 v21, s62, v21
	v_lshl_or_b32 v21, v21, 4, v63
	ds_add_u32 v21, v85
	s_or_b32 exec_lo, exec_lo, s17
	s_mov_b32 s17, exec_lo
	v_cmpx_gt_u32_e64 s16, v53
	s_cbranch_execz .LBB502_47
.LBB502_63:                             ;   in Loop: Header=BB502_16 Depth=2
	v_xor_b32_e32 v21, 0x7fffffff, v12
	v_lshrrev_b32_e32 v21, s61, v21
	v_and_b32_e32 v21, s62, v21
	v_lshl_or_b32 v21, v21, 4, v63
	ds_add_u32 v21, v85
	s_or_b32 exec_lo, exec_lo, s17
	s_mov_b32 s17, exec_lo
	v_cmpx_gt_u32_e64 s16, v54
	s_cbranch_execz .LBB502_48
.LBB502_64:                             ;   in Loop: Header=BB502_16 Depth=2
	v_xor_b32_e32 v21, 0x7fffffff, v11
	v_lshrrev_b32_e32 v21, s61, v21
	v_and_b32_e32 v21, s62, v21
	v_lshl_or_b32 v21, v21, 4, v63
	ds_add_u32 v21, v85
	s_or_b32 exec_lo, exec_lo, s17
	s_mov_b32 s17, exec_lo
	v_cmpx_gt_u32_e64 s16, v55
	s_cbranch_execz .LBB502_49
.LBB502_65:                             ;   in Loop: Header=BB502_16 Depth=2
	v_xor_b32_e32 v21, 0x7fffffff, v10
	v_lshrrev_b32_e32 v21, s61, v21
	v_and_b32_e32 v21, s62, v21
	v_lshl_or_b32 v21, v21, 4, v63
	ds_add_u32 v21, v85
	s_or_b32 exec_lo, exec_lo, s17
	s_mov_b32 s17, exec_lo
	v_cmpx_gt_u32_e64 s16, v56
	s_cbranch_execz .LBB502_50
.LBB502_66:                             ;   in Loop: Header=BB502_16 Depth=2
	v_xor_b32_e32 v21, 0x7fffffff, v9
	v_lshrrev_b32_e32 v21, s61, v21
	v_and_b32_e32 v21, s62, v21
	v_lshl_or_b32 v21, v21, 4, v63
	ds_add_u32 v21, v85
	s_or_b32 exec_lo, exec_lo, s17
	s_mov_b32 s17, exec_lo
	v_cmpx_gt_u32_e64 s16, v57
	s_cbranch_execz .LBB502_51
.LBB502_67:                             ;   in Loop: Header=BB502_16 Depth=2
	v_xor_b32_e32 v21, 0x7fffffff, v8
	v_lshrrev_b32_e32 v21, s61, v21
	v_and_b32_e32 v21, s62, v21
	v_lshl_or_b32 v21, v21, 4, v63
	ds_add_u32 v21, v85
	s_or_b32 exec_lo, exec_lo, s17
	s_mov_b32 s17, exec_lo
	v_cmpx_gt_u32_e64 s16, v58
	s_cbranch_execz .LBB502_52
.LBB502_68:                             ;   in Loop: Header=BB502_16 Depth=2
	v_xor_b32_e32 v21, 0x7fffffff, v7
	v_lshrrev_b32_e32 v21, s61, v21
	v_and_b32_e32 v21, s62, v21
	v_lshl_or_b32 v21, v21, 4, v63
	ds_add_u32 v21, v85
	s_or_b32 exec_lo, exec_lo, s17
	s_mov_b32 s17, exec_lo
	v_cmpx_gt_u32_e64 s16, v59
	s_cbranch_execz .LBB502_53
.LBB502_69:                             ;   in Loop: Header=BB502_16 Depth=2
	v_xor_b32_e32 v21, 0x7fffffff, v6
	v_lshrrev_b32_e32 v21, s61, v21
	v_and_b32_e32 v21, s62, v21
	v_lshl_or_b32 v21, v21, 4, v63
	ds_add_u32 v21, v85
	s_or_b32 exec_lo, exec_lo, s17
	s_mov_b32 s17, exec_lo
	v_cmpx_gt_u32_e64 s16, v60
	s_cbranch_execz .LBB502_54
.LBB502_70:                             ;   in Loop: Header=BB502_16 Depth=2
	v_xor_b32_e32 v21, 0x7fffffff, v5
	v_lshrrev_b32_e32 v21, s61, v21
	v_and_b32_e32 v21, s62, v21
	v_lshl_or_b32 v21, v21, 4, v63
	ds_add_u32 v21, v85
	s_or_b32 exec_lo, exec_lo, s17
	v_cmp_gt_u32_e32 vcc_lo, s16, v61
	s_and_saveexec_b32 s16, vcc_lo
	s_cbranch_execz .LBB502_15
.LBB502_71:                             ;   in Loop: Header=BB502_16 Depth=2
	v_xor_b32_e32 v21, 0x7fffffff, v3
	v_lshrrev_b32_e32 v21, s61, v21
	v_and_b32_e32 v21, s62, v21
	v_lshl_or_b32 v21, v21, 4, v63
	ds_add_u32 v21, v85
	s_branch .LBB502_15
.LBB502_72:                             ;   in Loop: Header=BB502_16 Depth=2
	global_load_dword v20, v91, s[16:17]
	s_or_b32 exec_lo, exec_lo, s18
	s_mov_b32 s18, exec_lo
	v_cmpx_gt_u32_e64 s5, v44
	s_cbranch_execz .LBB502_21
.LBB502_73:                             ;   in Loop: Header=BB502_16 Depth=2
	global_load_dword v19, v91, s[16:17] offset:1024
	s_or_b32 exec_lo, exec_lo, s18
	s_mov_b32 s18, exec_lo
	v_cmpx_gt_u32_e64 s5, v47
	s_cbranch_execz .LBB502_22
.LBB502_74:                             ;   in Loop: Header=BB502_16 Depth=2
	global_load_dword v18, v92, s[16:17]
	s_or_b32 exec_lo, exec_lo, s18
	s_mov_b32 s18, exec_lo
	v_cmpx_gt_u32_e64 s5, v48
	s_cbranch_execz .LBB502_23
.LBB502_75:                             ;   in Loop: Header=BB502_16 Depth=2
	global_load_dword v17, v93, s[16:17]
	s_or_b32 exec_lo, exec_lo, s18
	s_mov_b32 s18, exec_lo
	v_cmpx_gt_u32_e64 s5, v49
	s_cbranch_execz .LBB502_24
.LBB502_76:                             ;   in Loop: Header=BB502_16 Depth=2
	global_load_dword v16, v94, s[16:17]
	s_or_b32 exec_lo, exec_lo, s18
	s_mov_b32 s18, exec_lo
	v_cmpx_gt_u32_e64 s5, v50
	s_cbranch_execz .LBB502_25
.LBB502_77:                             ;   in Loop: Header=BB502_16 Depth=2
	global_load_dword v15, v95, s[16:17]
	s_or_b32 exec_lo, exec_lo, s18
	s_mov_b32 s18, exec_lo
	v_cmpx_gt_u32_e64 s5, v51
	s_cbranch_execz .LBB502_26
.LBB502_78:                             ;   in Loop: Header=BB502_16 Depth=2
	global_load_dword v14, v96, s[16:17]
	s_or_b32 exec_lo, exec_lo, s18
	s_mov_b32 s18, exec_lo
	v_cmpx_gt_u32_e64 s5, v52
	s_cbranch_execz .LBB502_27
.LBB502_79:                             ;   in Loop: Header=BB502_16 Depth=2
	global_load_dword v13, v97, s[16:17]
	s_or_b32 exec_lo, exec_lo, s18
	s_mov_b32 s18, exec_lo
	v_cmpx_gt_u32_e64 s5, v53
	s_cbranch_execz .LBB502_28
.LBB502_80:                             ;   in Loop: Header=BB502_16 Depth=2
	global_load_dword v12, v98, s[16:17]
	s_or_b32 exec_lo, exec_lo, s18
	s_mov_b32 s18, exec_lo
	v_cmpx_gt_u32_e64 s5, v54
	s_cbranch_execz .LBB502_29
.LBB502_81:                             ;   in Loop: Header=BB502_16 Depth=2
	global_load_dword v11, v99, s[16:17]
	s_or_b32 exec_lo, exec_lo, s18
	s_mov_b32 s18, exec_lo
	v_cmpx_gt_u32_e64 s5, v55
	s_cbranch_execz .LBB502_30
.LBB502_82:                             ;   in Loop: Header=BB502_16 Depth=2
	global_load_dword v10, v100, s[16:17]
	s_or_b32 exec_lo, exec_lo, s18
	s_mov_b32 s18, exec_lo
	v_cmpx_gt_u32_e64 s5, v56
	s_cbranch_execz .LBB502_31
.LBB502_83:                             ;   in Loop: Header=BB502_16 Depth=2
	global_load_dword v9, v101, s[16:17]
	s_or_b32 exec_lo, exec_lo, s18
	s_mov_b32 s18, exec_lo
	v_cmpx_gt_u32_e64 s5, v57
	s_cbranch_execz .LBB502_32
.LBB502_84:                             ;   in Loop: Header=BB502_16 Depth=2
	global_load_dword v8, v102, s[16:17]
	s_or_b32 exec_lo, exec_lo, s18
	s_mov_b32 s18, exec_lo
	v_cmpx_gt_u32_e64 s5, v58
	s_cbranch_execz .LBB502_33
.LBB502_85:                             ;   in Loop: Header=BB502_16 Depth=2
	global_load_dword v7, v103, s[16:17]
	s_or_b32 exec_lo, exec_lo, s18
	s_mov_b32 s18, exec_lo
	v_cmpx_gt_u32_e64 s5, v59
	s_cbranch_execz .LBB502_34
.LBB502_86:                             ;   in Loop: Header=BB502_16 Depth=2
	global_load_dword v6, v104, s[16:17]
	s_or_b32 exec_lo, exec_lo, s18
	s_mov_b32 s18, exec_lo
	v_cmpx_gt_u32_e64 s5, v60
	s_cbranch_execz .LBB502_35
.LBB502_87:                             ;   in Loop: Header=BB502_16 Depth=2
	global_load_dword v5, v105, s[16:17]
	s_or_b32 exec_lo, exec_lo, s18
	s_mov_b32 s18, exec_lo
	v_cmpx_gt_u32_e64 s5, v61
	s_cbranch_execnz .LBB502_36
	s_branch .LBB502_37
.LBB502_88:                             ;   in Loop: Header=BB502_12 Depth=1
	v_mov_b32_e32 v3, 0
	s_waitcnt lgkmcnt(0)
	s_barrier
	buffer_gl0_inv
	s_and_saveexec_b32 s5, s7
	s_cbranch_execz .LBB502_90
; %bb.89:                               ;   in Loop: Header=BB502_12 Depth=1
	ds_read2_b64 v[5:8], v64 offset1:1
	s_waitcnt lgkmcnt(0)
	v_add_nc_u32_e32 v3, v6, v5
	v_add3_u32 v3, v3, v7, v8
.LBB502_90:                             ;   in Loop: Header=BB502_12 Depth=1
	s_or_b32 exec_lo, exec_lo, s5
	v_mov_b32_dpp v5, v3 row_shr:1 row_mask:0xf bank_mask:0xf
	v_cmp_eq_u32_e64 s5, 0, v86
	v_cmp_lt_u32_e64 s15, 1, v86
	v_cmp_lt_u32_e64 s16, 3, v86
	;; [unrolled: 1-line block ×3, first 2 shown]
	v_cmp_eq_u32_e64 s18, 0, v88
	v_cndmask_b32_e64 v5, v5, 0, s5
	v_add_nc_u32_e32 v3, v5, v3
	v_mov_b32_dpp v5, v3 row_shr:2 row_mask:0xf bank_mask:0xf
	v_cndmask_b32_e64 v5, 0, v5, s15
	v_add_nc_u32_e32 v3, v3, v5
	v_mov_b32_dpp v5, v3 row_shr:4 row_mask:0xf bank_mask:0xf
	;; [unrolled: 3-line block ×3, first 2 shown]
	v_cndmask_b32_e64 v5, 0, v5, s17
	v_add_nc_u32_e32 v3, v3, v5
	ds_swizzle_b32 v5, v3 offset:swizzle(BROADCAST,32,15)
	s_waitcnt lgkmcnt(0)
	v_and_b32_e32 v5, v87, v5
	v_add_nc_u32_e32 v3, v3, v5
	s_and_saveexec_b32 s19, s8
; %bb.91:                               ;   in Loop: Header=BB502_12 Depth=1
	ds_write_b32 v65, v3
; %bb.92:                               ;   in Loop: Header=BB502_12 Depth=1
	s_or_b32 exec_lo, exec_lo, s19
	s_waitcnt lgkmcnt(0)
	s_barrier
	buffer_gl0_inv
	s_and_saveexec_b32 s19, s9
	s_cbranch_execz .LBB502_94
; %bb.93:                               ;   in Loop: Header=BB502_12 Depth=1
	ds_read_b32 v5, v66
	v_cmp_ne_u32_e32 vcc_lo, 0, v89
	s_waitcnt lgkmcnt(0)
	v_mov_b32_dpp v6, v5 row_shr:1 row_mask:0xf bank_mask:0xf
	v_cndmask_b32_e32 v6, 0, v6, vcc_lo
	v_cmp_lt_u32_e32 vcc_lo, 1, v89
	v_add_nc_u32_e32 v5, v6, v5
	v_mov_b32_dpp v6, v5 row_shr:2 row_mask:0xf bank_mask:0xf
	v_cndmask_b32_e32 v6, 0, v6, vcc_lo
	v_add_nc_u32_e32 v5, v5, v6
	ds_write_b32 v66, v5
.LBB502_94:                             ;   in Loop: Header=BB502_12 Depth=1
	s_or_b32 exec_lo, exec_lo, s19
	v_mov_b32_e32 v5, 0
	s_waitcnt lgkmcnt(0)
	s_barrier
	buffer_gl0_inv
	s_and_saveexec_b32 s19, s10
; %bb.95:                               ;   in Loop: Header=BB502_12 Depth=1
	ds_read_b32 v5, v67
; %bb.96:                               ;   in Loop: Header=BB502_12 Depth=1
	s_or_b32 exec_lo, exec_lo, s19
	v_cmp_gt_i32_e32 vcc_lo, 0, v90
	s_waitcnt lgkmcnt(0)
	v_add_nc_u32_e32 v3, v5, v3
	s_barrier
	buffer_gl0_inv
	v_cndmask_b32_e32 v6, v90, v82, vcc_lo
	v_lshlrev_b32_e32 v131, 2, v6
	ds_bpermute_b32 v3, v131, v3
	s_and_saveexec_b32 s19, s7
	s_cbranch_execz .LBB502_98
; %bb.97:                               ;   in Loop: Header=BB502_12 Depth=1
	s_waitcnt lgkmcnt(0)
	v_cndmask_b32_e64 v3, v3, v5, s14
	v_add_nc_u32_e32 v3, s58, v3
	ds_write_b32 v43, v3
.LBB502_98:                             ;   in Loop: Header=BB502_12 Depth=1
	s_or_b32 exec_lo, exec_lo, s19
	s_clause 0x1
	s_load_dword s19, s[56:57], 0x4
	s_load_dword s22, s[56:57], 0xc
	s_mov_b32 s63, s60
	s_mov_b32 s50, s58
                                        ; implicit-def: $vgpr7_vgpr8
                                        ; implicit-def: $vgpr9_vgpr10
                                        ; implicit-def: $vgpr11_vgpr12
                                        ; implicit-def: $vgpr13_vgpr14
                                        ; implicit-def: $vgpr15_vgpr16
                                        ; implicit-def: $vgpr19_vgpr20
                                        ; implicit-def: $vgpr23_vgpr24
                                        ; implicit-def: $vgpr27_vgpr28
                                        ; implicit-def: $vgpr17_vgpr18
                                        ; implicit-def: $vgpr21_vgpr22
                                        ; implicit-def: $vgpr25_vgpr26
                                        ; implicit-def: $vgpr29_vgpr30
                                        ; implicit-def: $vgpr31_vgpr32
                                        ; implicit-def: $vgpr33_vgpr34
                                        ; implicit-def: $vgpr35_vgpr36
                                        ; implicit-def: $vgpr37_vgpr38
                                        ; implicit-def: $vgpr133
                                        ; implicit-def: $vgpr134
                                        ; implicit-def: $vgpr135
                                        ; implicit-def: $vgpr136
                                        ; implicit-def: $vgpr137
                                        ; implicit-def: $vgpr138
                                        ; implicit-def: $vgpr139
                                        ; implicit-def: $vgpr140
                                        ; implicit-def: $vgpr141
                                        ; implicit-def: $vgpr142
                                        ; implicit-def: $vgpr143
                                        ; implicit-def: $vgpr144
                                        ; implicit-def: $vgpr145
                                        ; implicit-def: $vgpr146
                                        ; implicit-def: $vgpr147
                                        ; implicit-def: $vgpr149
                                        ; implicit-def: $vgpr150
                                        ; implicit-def: $vgpr148
                                        ; implicit-def: $vgpr151
	s_waitcnt lgkmcnt(0)
	s_cmp_lt_u32 s28, s19
	s_cselect_b32 s19, 14, 20
	s_add_u32 s20, s56, s19
	s_addc_u32 s21, s57, 0
	s_and_b32 s19, s22, 0xffff
	global_load_ushort v3, v4, s[20:21]
	v_cmp_lt_u32_e64 s20, 1, v108
	v_cmp_lt_u32_e64 s21, 3, v108
	s_waitcnt vmcnt(0)
	v_mad_u32_u24 v3, v2, v3, v1
	v_mad_u64_u32 v[5:6], null, v3, s19, v[0:1]
	v_cmp_eq_u32_e64 s19, 0, v108
	v_lshrrev_b32_e32 v3, 3, v5
                                        ; implicit-def: $vgpr5_vgpr6
	v_and_b32_e32 v132, 0x1ffffffc, v3
	s_branch .LBB502_100
.LBB502_99:                             ;   in Loop: Header=BB502_100 Depth=2
	s_or_b32 exec_lo, exec_lo, s22
	s_addk_i32 s63, 0xef00
	s_cmp_lt_u32 s64, s59
	s_mov_b32 s50, s64
	s_cbranch_scc0 .LBB502_322
.LBB502_100:                            ;   Parent Loop BB502_12 Depth=1
                                        ; =>  This Inner Loop Header: Depth=2
	s_add_i32 s64, s50, 0x1100
	s_cmp_gt_u32 s64, s59
	s_cbranch_scc1 .LBB502_102
; %bb.101:                              ;   in Loop: Header=BB502_100 Depth=2
	s_lshl_b64 s[22:23], s[50:51], 2
	v_add_co_u32 v39, vcc_lo, v129, s22
	v_add_co_ci_u32_e64 v40, null, s23, v130, vcc_lo
	s_mov_b32 s22, -1
	s_clause 0xf
	global_load_dword v153, v[39:40], off
	global_load_dword v154, v[39:40], off offset:128
	global_load_dword v157, v[39:40], off offset:256
	;; [unrolled: 1-line block ×15, first 2 shown]
	s_movk_i32 s23, 0x1100
	s_cbranch_execz .LBB502_103
	s_branch .LBB502_136
.LBB502_102:                            ;   in Loop: Header=BB502_100 Depth=2
	s_mov_b32 s22, 0
                                        ; implicit-def: $vgpr153
                                        ; implicit-def: $vgpr154
                                        ; implicit-def: $vgpr157
                                        ; implicit-def: $vgpr161
                                        ; implicit-def: $vgpr166
                                        ; implicit-def: $vgpr171
                                        ; implicit-def: $vgpr176
                                        ; implicit-def: $vgpr181
                                        ; implicit-def: $vgpr186
                                        ; implicit-def: $vgpr184
                                        ; implicit-def: $vgpr179
                                        ; implicit-def: $vgpr174
                                        ; implicit-def: $vgpr170
                                        ; implicit-def: $vgpr165
                                        ; implicit-def: $vgpr42
                                        ; implicit-def: $vgpr41
	s_movk_i32 s23, 0x1100
.LBB502_103:                            ;   in Loop: Header=BB502_100 Depth=2
	s_lshl_b64 s[22:23], s[50:51], 2
	s_waitcnt vmcnt(14)
	v_bfrev_b32_e32 v154, 1
	v_add_co_u32 v39, vcc_lo, v129, s22
	v_add_co_ci_u32_e64 v40, null, s23, v130, vcc_lo
	v_bfrev_b32_e32 v153, 1
	s_mov_b32 s22, exec_lo
	v_cmpx_gt_u32_e64 s63, v109
	s_cbranch_execz .LBB502_105
; %bb.104:                              ;   in Loop: Header=BB502_100 Depth=2
	global_load_dword v153, v[39:40], off
.LBB502_105:                            ;   in Loop: Header=BB502_100 Depth=2
	s_or_b32 exec_lo, exec_lo, s22
	s_mov_b32 s22, exec_lo
	v_cmpx_gt_u32_e64 s63, v112
	s_cbranch_execz .LBB502_107
; %bb.106:                              ;   in Loop: Header=BB502_100 Depth=2
	global_load_dword v154, v[39:40], off offset:128
.LBB502_107:                            ;   in Loop: Header=BB502_100 Depth=2
	s_or_b32 exec_lo, exec_lo, s22
	s_waitcnt vmcnt(12)
	v_bfrev_b32_e32 v161, 1
	v_bfrev_b32_e32 v157, 1
	s_mov_b32 s22, exec_lo
	v_cmpx_gt_u32_e64 s63, v113
	s_cbranch_execz .LBB502_109
; %bb.108:                              ;   in Loop: Header=BB502_100 Depth=2
	global_load_dword v157, v[39:40], off offset:256
.LBB502_109:                            ;   in Loop: Header=BB502_100 Depth=2
	s_or_b32 exec_lo, exec_lo, s22
	s_mov_b32 s22, exec_lo
	v_cmpx_gt_u32_e64 s63, v114
	s_cbranch_execz .LBB502_111
; %bb.110:                              ;   in Loop: Header=BB502_100 Depth=2
	global_load_dword v161, v[39:40], off offset:384
.LBB502_111:                            ;   in Loop: Header=BB502_100 Depth=2
	s_or_b32 exec_lo, exec_lo, s22
	s_waitcnt vmcnt(10)
	v_bfrev_b32_e32 v171, 1
	v_bfrev_b32_e32 v166, 1
	s_mov_b32 s22, exec_lo
	v_cmpx_gt_u32_e64 s63, v115
	s_cbranch_execz .LBB502_113
; %bb.112:                              ;   in Loop: Header=BB502_100 Depth=2
	global_load_dword v166, v[39:40], off offset:512
.LBB502_113:                            ;   in Loop: Header=BB502_100 Depth=2
	s_or_b32 exec_lo, exec_lo, s22
	s_mov_b32 s22, exec_lo
	v_cmpx_gt_u32_e64 s63, v116
	s_cbranch_execz .LBB502_115
; %bb.114:                              ;   in Loop: Header=BB502_100 Depth=2
	global_load_dword v171, v[39:40], off offset:640
.LBB502_115:                            ;   in Loop: Header=BB502_100 Depth=2
	s_or_b32 exec_lo, exec_lo, s22
	s_waitcnt vmcnt(8)
	v_bfrev_b32_e32 v181, 1
	v_bfrev_b32_e32 v176, 1
	s_mov_b32 s22, exec_lo
	v_cmpx_gt_u32_e64 s63, v117
	s_cbranch_execz .LBB502_117
; %bb.116:                              ;   in Loop: Header=BB502_100 Depth=2
	global_load_dword v176, v[39:40], off offset:768
.LBB502_117:                            ;   in Loop: Header=BB502_100 Depth=2
	s_or_b32 exec_lo, exec_lo, s22
	s_mov_b32 s22, exec_lo
	v_cmpx_gt_u32_e64 s63, v118
	s_cbranch_execz .LBB502_119
; %bb.118:                              ;   in Loop: Header=BB502_100 Depth=2
	global_load_dword v181, v[39:40], off offset:896
.LBB502_119:                            ;   in Loop: Header=BB502_100 Depth=2
	s_or_b32 exec_lo, exec_lo, s22
	s_waitcnt vmcnt(6)
	v_bfrev_b32_e32 v184, 1
	v_bfrev_b32_e32 v186, 1
	s_mov_b32 s22, exec_lo
	v_cmpx_gt_u32_e64 s63, v119
	s_cbranch_execz .LBB502_121
; %bb.120:                              ;   in Loop: Header=BB502_100 Depth=2
	global_load_dword v186, v[39:40], off offset:1024
.LBB502_121:                            ;   in Loop: Header=BB502_100 Depth=2
	s_or_b32 exec_lo, exec_lo, s22
	s_mov_b32 s22, exec_lo
	v_cmpx_gt_u32_e64 s63, v120
	s_cbranch_execz .LBB502_123
; %bb.122:                              ;   in Loop: Header=BB502_100 Depth=2
	global_load_dword v184, v[39:40], off offset:1152
.LBB502_123:                            ;   in Loop: Header=BB502_100 Depth=2
	s_or_b32 exec_lo, exec_lo, s22
	s_waitcnt vmcnt(4)
	v_bfrev_b32_e32 v174, 1
	v_bfrev_b32_e32 v179, 1
	s_mov_b32 s22, exec_lo
	v_cmpx_gt_u32_e64 s63, v121
	s_cbranch_execz .LBB502_125
; %bb.124:                              ;   in Loop: Header=BB502_100 Depth=2
	global_load_dword v179, v[39:40], off offset:1280
.LBB502_125:                            ;   in Loop: Header=BB502_100 Depth=2
	s_or_b32 exec_lo, exec_lo, s22
	s_mov_b32 s22, exec_lo
	v_cmpx_gt_u32_e64 s63, v122
	s_cbranch_execz .LBB502_127
; %bb.126:                              ;   in Loop: Header=BB502_100 Depth=2
	global_load_dword v174, v[39:40], off offset:1408
.LBB502_127:                            ;   in Loop: Header=BB502_100 Depth=2
	s_or_b32 exec_lo, exec_lo, s22
	s_waitcnt vmcnt(2)
	v_bfrev_b32_e32 v165, 1
	v_bfrev_b32_e32 v170, 1
	s_mov_b32 s22, exec_lo
	v_cmpx_gt_u32_e64 s63, v123
	s_cbranch_execz .LBB502_129
; %bb.128:                              ;   in Loop: Header=BB502_100 Depth=2
	global_load_dword v170, v[39:40], off offset:1536
.LBB502_129:                            ;   in Loop: Header=BB502_100 Depth=2
	s_or_b32 exec_lo, exec_lo, s22
	s_mov_b32 s22, exec_lo
	v_cmpx_gt_u32_e64 s63, v124
	s_cbranch_execz .LBB502_131
; %bb.130:                              ;   in Loop: Header=BB502_100 Depth=2
	global_load_dword v165, v[39:40], off offset:1664
.LBB502_131:                            ;   in Loop: Header=BB502_100 Depth=2
	s_or_b32 exec_lo, exec_lo, s22
	s_waitcnt vmcnt(0)
	v_bfrev_b32_e32 v41, 1
	v_bfrev_b32_e32 v42, 1
	s_mov_b32 s22, exec_lo
	v_cmpx_gt_u32_e64 s63, v126
	s_cbranch_execz .LBB502_133
; %bb.132:                              ;   in Loop: Header=BB502_100 Depth=2
	global_load_dword v42, v[39:40], off offset:1792
.LBB502_133:                            ;   in Loop: Header=BB502_100 Depth=2
	s_or_b32 exec_lo, exec_lo, s22
	s_mov_b32 s22, exec_lo
	v_cmpx_gt_u32_e64 s63, v127
	s_cbranch_execz .LBB502_135
; %bb.134:                              ;   in Loop: Header=BB502_100 Depth=2
	global_load_dword v41, v[39:40], off offset:1920
.LBB502_135:                            ;   in Loop: Header=BB502_100 Depth=2
	s_or_b32 exec_lo, exec_lo, s22
	v_cmp_gt_u32_e64 s22, s63, v128
	s_sub_i32 s23, s59, s50
.LBB502_136:                            ;   in Loop: Header=BB502_100 Depth=2
	v_mov_b32_e32 v3, -1
	v_mov_b32_e32 v152, s63
	s_and_saveexec_b32 s24, s22
	s_cbranch_execz .LBB502_138
; %bb.137:                              ;   in Loop: Header=BB502_100 Depth=2
	s_lshl_b64 s[26:27], s[50:51], 2
	v_mov_b32_e32 v152, s23
	v_add_co_u32 v3, vcc_lo, v129, s26
	v_add_co_ci_u32_e64 v40, null, s27, v130, vcc_lo
	v_add_co_u32 v39, vcc_lo, 0x800, v3
	v_add_co_ci_u32_e64 v40, null, 0, v40, vcc_lo
	global_load_dword v3, v[39:40], off
	s_waitcnt vmcnt(0)
	v_xor_b32_e32 v3, 0x7fffffff, v3
.LBB502_138:                            ;   in Loop: Header=BB502_100 Depth=2
	s_or_b32 exec_lo, exec_lo, s24
	s_waitcnt vmcnt(15)
	v_xor_b32_e32 v153, 0x7fffffff, v153
	ds_write2_b32 v68, v4, v4 offset0:136 offset1:137
	ds_write2_b32 v68, v4, v4 offset0:138 offset1:139
	ds_write_b32 v68, v4 offset:560
	s_waitcnt vmcnt(0) lgkmcnt(0)
	s_barrier
	v_lshrrev_b32_e32 v39, s61, v153
	buffer_gl0_inv
	; wave barrier
	v_and_b32_e32 v40, s62, v39
	v_and_b32_e32 v39, 1, v40
	v_lshlrev_b32_e32 v155, 30, v40
	v_lshlrev_b32_e32 v156, 29, v40
	;; [unrolled: 1-line block ×4, first 2 shown]
	v_add_co_u32 v39, s22, v39, -1
	v_cndmask_b32_e64 v158, 0, 1, s22
	v_not_b32_e32 v163, v155
	v_cmp_gt_i32_e64 s22, 0, v155
	v_not_b32_e32 v155, v156
	v_lshlrev_b32_e32 v162, 26, v40
	v_cmp_ne_u32_e32 vcc_lo, 0, v158
	v_ashrrev_i32_e32 v163, 31, v163
	v_lshlrev_b32_e32 v158, 25, v40
	v_ashrrev_i32_e32 v155, 31, v155
	v_mul_u32_u24_e32 v40, 36, v40
	v_xor_b32_e32 v39, vcc_lo, v39
	v_cmp_gt_i32_e32 vcc_lo, 0, v156
	v_not_b32_e32 v156, v159
	v_xor_b32_e32 v163, s22, v163
	v_cmp_gt_i32_e64 s22, 0, v159
	v_and_b32_e32 v39, exec_lo, v39
	v_not_b32_e32 v159, v160
	v_ashrrev_i32_e32 v156, 31, v156
	v_xor_b32_e32 v155, vcc_lo, v155
	v_cmp_gt_i32_e32 vcc_lo, 0, v160
	v_and_b32_e32 v39, v39, v163
	v_not_b32_e32 v160, v162
	v_ashrrev_i32_e32 v159, 31, v159
	v_xor_b32_e32 v156, s22, v156
	v_cmp_gt_i32_e64 s22, 0, v162
	v_and_b32_e32 v39, v39, v155
	v_not_b32_e32 v155, v158
	v_ashrrev_i32_e32 v160, 31, v160
	v_xor_b32_e32 v159, vcc_lo, v159
	v_cmp_gt_i32_e32 vcc_lo, 0, v158
	v_and_b32_e32 v39, v39, v156
	v_ashrrev_i32_e32 v155, 31, v155
	v_xor_b32_e32 v156, s22, v160
	v_and_b32_e32 v39, v39, v159
	v_xor_b32_e32 v155, vcc_lo, v155
	v_and_b32_e32 v39, v39, v156
	v_add_nc_u32_e32 v156, v132, v40
	v_and_b32_e32 v39, v39, v155
	v_mbcnt_lo_u32_b32 v155, v39, 0
	v_cmp_ne_u32_e64 s22, 0, v39
	v_cmp_eq_u32_e32 vcc_lo, 0, v155
	s_and_b32 s23, s22, vcc_lo
	s_and_saveexec_b32 s22, s23
; %bb.139:                              ;   in Loop: Header=BB502_100 Depth=2
	v_bcnt_u32_b32 v39, v39, 0
	ds_write_b32 v156, v39 offset:544
; %bb.140:                              ;   in Loop: Header=BB502_100 Depth=2
	s_or_b32 exec_lo, exec_lo, s22
	v_xor_b32_e32 v154, 0x7fffffff, v154
	; wave barrier
	v_lshrrev_b32_e32 v39, s61, v154
	v_and_b32_e32 v40, s62, v39
	v_and_b32_e32 v39, 1, v40
	v_lshlrev_b32_e32 v158, 30, v40
	v_lshlrev_b32_e32 v159, 29, v40
	v_lshlrev_b32_e32 v162, 28, v40
	v_lshlrev_b32_e32 v163, 27, v40
	v_add_co_u32 v39, s22, v39, -1
	v_cndmask_b32_e64 v160, 0, 1, s22
	v_not_b32_e32 v167, v158
	v_cmp_gt_i32_e64 s22, 0, v158
	v_not_b32_e32 v158, v159
	v_lshlrev_b32_e32 v164, 26, v40
	v_cmp_ne_u32_e32 vcc_lo, 0, v160
	v_ashrrev_i32_e32 v167, 31, v167
	v_lshlrev_b32_e32 v160, 25, v40
	v_ashrrev_i32_e32 v158, 31, v158
	v_xor_b32_e32 v39, vcc_lo, v39
	v_cmp_gt_i32_e32 vcc_lo, 0, v159
	v_not_b32_e32 v159, v162
	v_xor_b32_e32 v167, s22, v167
	v_cmp_gt_i32_e64 s22, 0, v162
	v_and_b32_e32 v39, exec_lo, v39
	v_not_b32_e32 v162, v163
	v_ashrrev_i32_e32 v159, 31, v159
	v_xor_b32_e32 v158, vcc_lo, v158
	v_cmp_gt_i32_e32 vcc_lo, 0, v163
	v_and_b32_e32 v39, v39, v167
	v_not_b32_e32 v163, v164
	v_ashrrev_i32_e32 v162, 31, v162
	v_xor_b32_e32 v159, s22, v159
	v_cmp_gt_i32_e64 s22, 0, v164
	v_and_b32_e32 v39, v39, v158
	v_not_b32_e32 v158, v160
	v_ashrrev_i32_e32 v163, 31, v163
	v_xor_b32_e32 v162, vcc_lo, v162
	v_cmp_gt_i32_e32 vcc_lo, 0, v160
	v_and_b32_e32 v39, v39, v159
	v_ashrrev_i32_e32 v158, 31, v158
	v_xor_b32_e32 v159, s22, v163
	v_mad_u32_u24 v160, v40, 36, v132
	v_mul_u32_u24_e32 v40, 36, v40
	v_and_b32_e32 v39, v39, v162
	v_xor_b32_e32 v162, vcc_lo, v158
	ds_read_b32 v158, v160 offset:544
	v_add_nc_u32_e32 v160, v132, v40
	v_and_b32_e32 v39, v39, v159
	; wave barrier
	v_and_b32_e32 v39, v39, v162
	v_mbcnt_lo_u32_b32 v159, v39, 0
	v_cmp_ne_u32_e64 s22, 0, v39
	v_cmp_eq_u32_e32 vcc_lo, 0, v159
	s_and_b32 s23, s22, vcc_lo
	s_and_saveexec_b32 s22, s23
	s_cbranch_execz .LBB502_142
; %bb.141:                              ;   in Loop: Header=BB502_100 Depth=2
	s_waitcnt lgkmcnt(0)
	v_bcnt_u32_b32 v39, v39, v158
	ds_write_b32 v160, v39 offset:544
.LBB502_142:                            ;   in Loop: Header=BB502_100 Depth=2
	s_or_b32 exec_lo, exec_lo, s22
	v_xor_b32_e32 v157, 0x7fffffff, v157
	; wave barrier
	v_lshrrev_b32_e32 v39, s61, v157
	v_and_b32_e32 v40, s62, v39
	v_and_b32_e32 v39, 1, v40
	v_lshlrev_b32_e32 v162, 30, v40
	v_lshlrev_b32_e32 v163, 29, v40
	v_lshlrev_b32_e32 v167, 28, v40
	v_lshlrev_b32_e32 v168, 27, v40
	v_add_co_u32 v39, s22, v39, -1
	v_cndmask_b32_e64 v164, 0, 1, s22
	v_not_b32_e32 v172, v162
	v_cmp_gt_i32_e64 s22, 0, v162
	v_not_b32_e32 v162, v163
	v_lshlrev_b32_e32 v169, 26, v40
	v_cmp_ne_u32_e32 vcc_lo, 0, v164
	v_ashrrev_i32_e32 v172, 31, v172
	v_lshlrev_b32_e32 v164, 25, v40
	v_ashrrev_i32_e32 v162, 31, v162
	v_xor_b32_e32 v39, vcc_lo, v39
	v_cmp_gt_i32_e32 vcc_lo, 0, v163
	v_not_b32_e32 v163, v167
	v_xor_b32_e32 v172, s22, v172
	v_cmp_gt_i32_e64 s22, 0, v167
	v_and_b32_e32 v39, exec_lo, v39
	v_not_b32_e32 v167, v168
	v_ashrrev_i32_e32 v163, 31, v163
	v_xor_b32_e32 v162, vcc_lo, v162
	v_cmp_gt_i32_e32 vcc_lo, 0, v168
	v_and_b32_e32 v39, v39, v172
	v_not_b32_e32 v168, v169
	v_ashrrev_i32_e32 v167, 31, v167
	v_xor_b32_e32 v163, s22, v163
	v_cmp_gt_i32_e64 s22, 0, v169
	v_and_b32_e32 v39, v39, v162
	v_not_b32_e32 v162, v164
	v_ashrrev_i32_e32 v168, 31, v168
	v_xor_b32_e32 v167, vcc_lo, v167
	v_cmp_gt_i32_e32 vcc_lo, 0, v164
	v_and_b32_e32 v39, v39, v163
	v_ashrrev_i32_e32 v162, 31, v162
	v_xor_b32_e32 v163, s22, v168
	v_mad_u32_u24 v164, v40, 36, v132
	v_mul_u32_u24_e32 v40, 36, v40
	v_and_b32_e32 v39, v39, v167
	v_xor_b32_e32 v167, vcc_lo, v162
	ds_read_b32 v162, v164 offset:544
	v_add_nc_u32_e32 v164, v132, v40
	v_and_b32_e32 v39, v39, v163
	; wave barrier
	v_and_b32_e32 v39, v39, v167
	v_mbcnt_lo_u32_b32 v163, v39, 0
	v_cmp_ne_u32_e64 s22, 0, v39
	v_cmp_eq_u32_e32 vcc_lo, 0, v163
	s_and_b32 s23, s22, vcc_lo
	s_and_saveexec_b32 s22, s23
	s_cbranch_execz .LBB502_144
; %bb.143:                              ;   in Loop: Header=BB502_100 Depth=2
	s_waitcnt lgkmcnt(0)
	v_bcnt_u32_b32 v39, v39, v162
	ds_write_b32 v164, v39 offset:544
.LBB502_144:                            ;   in Loop: Header=BB502_100 Depth=2
	;; [unrolled: 63-line block ×9, first 2 shown]
	s_or_b32 exec_lo, exec_lo, s22
	v_xor_b32_e32 v179, 0x7fffffff, v179
	; wave barrier
	v_lshrrev_b32_e32 v39, s61, v179
	v_and_b32_e32 v40, s62, v39
	v_and_b32_e32 v39, 1, v40
	v_lshlrev_b32_e32 v196, 30, v40
	v_lshlrev_b32_e32 v197, 29, v40
	;; [unrolled: 1-line block ×4, first 2 shown]
	v_add_co_u32 v39, s22, v39, -1
	v_cndmask_b32_e64 v198, 0, 1, s22
	v_not_b32_e32 v202, v196
	v_cmp_gt_i32_e64 s22, 0, v196
	v_not_b32_e32 v196, v197
	v_lshlrev_b32_e32 v201, 26, v40
	v_cmp_ne_u32_e32 vcc_lo, 0, v198
	v_ashrrev_i32_e32 v202, 31, v202
	v_lshlrev_b32_e32 v198, 25, v40
	v_ashrrev_i32_e32 v196, 31, v196
	v_xor_b32_e32 v39, vcc_lo, v39
	v_cmp_gt_i32_e32 vcc_lo, 0, v197
	v_not_b32_e32 v197, v199
	v_xor_b32_e32 v202, s22, v202
	v_cmp_gt_i32_e64 s22, 0, v199
	v_and_b32_e32 v39, exec_lo, v39
	v_not_b32_e32 v199, v200
	v_ashrrev_i32_e32 v197, 31, v197
	v_xor_b32_e32 v196, vcc_lo, v196
	v_cmp_gt_i32_e32 vcc_lo, 0, v200
	v_and_b32_e32 v39, v39, v202
	v_not_b32_e32 v200, v201
	v_ashrrev_i32_e32 v199, 31, v199
	v_xor_b32_e32 v197, s22, v197
	v_cmp_gt_i32_e64 s22, 0, v201
	v_and_b32_e32 v39, v39, v196
	v_not_b32_e32 v196, v198
	v_ashrrev_i32_e32 v200, 31, v200
	v_xor_b32_e32 v199, vcc_lo, v199
	v_cmp_gt_i32_e32 vcc_lo, 0, v198
	v_and_b32_e32 v39, v39, v197
	v_ashrrev_i32_e32 v196, 31, v196
	v_xor_b32_e32 v197, s22, v200
	v_mad_u32_u24 v198, v40, 36, v132
	v_mul_u32_u24_e32 v40, 36, v40
	v_and_b32_e32 v39, v39, v199
	v_xor_b32_e32 v196, vcc_lo, v196
	v_add_nc_u32_e32 v199, v132, v40
	v_and_b32_e32 v39, v39, v197
	ds_read_b32 v197, v198 offset:544
	; wave barrier
	v_and_b32_e32 v39, v39, v196
	v_mbcnt_lo_u32_b32 v198, v39, 0
	v_cmp_ne_u32_e64 s22, 0, v39
	v_cmp_eq_u32_e32 vcc_lo, 0, v198
	s_and_b32 s23, s22, vcc_lo
	s_and_saveexec_b32 s22, s23
	s_cbranch_execz .LBB502_160
; %bb.159:                              ;   in Loop: Header=BB502_100 Depth=2
	s_waitcnt lgkmcnt(0)
	v_bcnt_u32_b32 v39, v39, v197
	ds_write_b32 v199, v39 offset:544
.LBB502_160:                            ;   in Loop: Header=BB502_100 Depth=2
	s_or_b32 exec_lo, exec_lo, s22
	v_xor_b32_e32 v196, 0x7fffffff, v174
	; wave barrier
	v_lshrrev_b32_e32 v39, s61, v196
	v_and_b32_e32 v40, s62, v39
	v_and_b32_e32 v39, 1, v40
	v_lshlrev_b32_e32 v174, 30, v40
	v_lshlrev_b32_e32 v200, 29, v40
	v_lshlrev_b32_e32 v202, 28, v40
	v_lshlrev_b32_e32 v203, 27, v40
	v_add_co_u32 v39, s22, v39, -1
	v_cndmask_b32_e64 v201, 0, 1, s22
	v_not_b32_e32 v205, v174
	v_cmp_gt_i32_e64 s22, 0, v174
	v_not_b32_e32 v174, v200
	v_lshlrev_b32_e32 v204, 26, v40
	v_cmp_ne_u32_e32 vcc_lo, 0, v201
	v_ashrrev_i32_e32 v205, 31, v205
	v_lshlrev_b32_e32 v201, 25, v40
	v_ashrrev_i32_e32 v174, 31, v174
	v_xor_b32_e32 v39, vcc_lo, v39
	v_cmp_gt_i32_e32 vcc_lo, 0, v200
	v_not_b32_e32 v200, v202
	v_xor_b32_e32 v205, s22, v205
	v_cmp_gt_i32_e64 s22, 0, v202
	v_and_b32_e32 v39, exec_lo, v39
	v_not_b32_e32 v202, v203
	v_ashrrev_i32_e32 v200, 31, v200
	v_xor_b32_e32 v174, vcc_lo, v174
	v_cmp_gt_i32_e32 vcc_lo, 0, v203
	v_and_b32_e32 v39, v39, v205
	v_not_b32_e32 v203, v204
	v_ashrrev_i32_e32 v202, 31, v202
	v_xor_b32_e32 v200, s22, v200
	v_cmp_gt_i32_e64 s22, 0, v204
	v_and_b32_e32 v39, v39, v174
	v_not_b32_e32 v174, v201
	v_ashrrev_i32_e32 v203, 31, v203
	v_xor_b32_e32 v202, vcc_lo, v202
	v_cmp_gt_i32_e32 vcc_lo, 0, v201
	v_and_b32_e32 v39, v39, v200
	v_ashrrev_i32_e32 v174, 31, v174
	v_xor_b32_e32 v200, s22, v203
	v_mad_u32_u24 v201, v40, 36, v132
	v_mul_u32_u24_e32 v40, 36, v40
	v_and_b32_e32 v39, v39, v202
	v_xor_b32_e32 v174, vcc_lo, v174
	ds_read_b32 v201, v201 offset:544
	v_and_b32_e32 v39, v39, v200
	; wave barrier
	v_and_b32_e32 v39, v39, v174
	v_add_nc_u32_e32 v174, v132, v40
	v_mbcnt_lo_u32_b32 v202, v39, 0
	v_cmp_ne_u32_e64 s22, 0, v39
	v_cmp_eq_u32_e32 vcc_lo, 0, v202
	s_and_b32 s23, s22, vcc_lo
	s_and_saveexec_b32 s22, s23
	s_cbranch_execz .LBB502_162
; %bb.161:                              ;   in Loop: Header=BB502_100 Depth=2
	s_waitcnt lgkmcnt(0)
	v_bcnt_u32_b32 v39, v39, v201
	ds_write_b32 v174, v39 offset:544
.LBB502_162:                            ;   in Loop: Header=BB502_100 Depth=2
	s_or_b32 exec_lo, exec_lo, s22
	v_xor_b32_e32 v200, 0x7fffffff, v170
	; wave barrier
	v_lshrrev_b32_e32 v39, s61, v200
	v_and_b32_e32 v40, s62, v39
	v_and_b32_e32 v39, 1, v40
	v_lshlrev_b32_e32 v170, 30, v40
	v_lshlrev_b32_e32 v203, 29, v40
	v_lshlrev_b32_e32 v205, 28, v40
	v_lshlrev_b32_e32 v206, 27, v40
	v_add_co_u32 v39, s22, v39, -1
	v_cndmask_b32_e64 v204, 0, 1, s22
	v_not_b32_e32 v208, v170
	v_cmp_gt_i32_e64 s22, 0, v170
	v_not_b32_e32 v170, v203
	v_lshlrev_b32_e32 v207, 26, v40
	v_cmp_ne_u32_e32 vcc_lo, 0, v204
	v_ashrrev_i32_e32 v208, 31, v208
	v_lshlrev_b32_e32 v204, 25, v40
	v_ashrrev_i32_e32 v170, 31, v170
	v_xor_b32_e32 v39, vcc_lo, v39
	v_cmp_gt_i32_e32 vcc_lo, 0, v203
	v_not_b32_e32 v203, v205
	v_xor_b32_e32 v208, s22, v208
	v_cmp_gt_i32_e64 s22, 0, v205
	v_and_b32_e32 v39, exec_lo, v39
	v_not_b32_e32 v205, v206
	v_ashrrev_i32_e32 v203, 31, v203
	v_xor_b32_e32 v170, vcc_lo, v170
	v_cmp_gt_i32_e32 vcc_lo, 0, v206
	v_and_b32_e32 v39, v39, v208
	v_not_b32_e32 v206, v207
	v_ashrrev_i32_e32 v205, 31, v205
	v_xor_b32_e32 v203, s22, v203
	v_cmp_gt_i32_e64 s22, 0, v207
	v_and_b32_e32 v39, v39, v170
	v_not_b32_e32 v170, v204
	v_ashrrev_i32_e32 v206, 31, v206
	v_xor_b32_e32 v205, vcc_lo, v205
	v_cmp_gt_i32_e32 vcc_lo, 0, v204
	v_and_b32_e32 v39, v39, v203
	v_ashrrev_i32_e32 v170, 31, v170
	v_xor_b32_e32 v203, s22, v206
	v_mad_u32_u24 v204, v40, 36, v132
	v_mul_u32_u24_e32 v40, 36, v40
	v_and_b32_e32 v39, v39, v205
	v_xor_b32_e32 v170, vcc_lo, v170
	ds_read_b32 v204, v204 offset:544
	v_and_b32_e32 v39, v39, v203
	; wave barrier
	v_and_b32_e32 v39, v39, v170
	v_add_nc_u32_e32 v170, v132, v40
	;; [unrolled: 63-line block ×3, first 2 shown]
	v_mbcnt_lo_u32_b32 v208, v39, 0
	v_cmp_ne_u32_e64 s22, 0, v39
	v_cmp_eq_u32_e32 vcc_lo, 0, v208
	s_and_b32 s23, s22, vcc_lo
	s_and_saveexec_b32 s22, s23
	s_cbranch_execz .LBB502_166
; %bb.165:                              ;   in Loop: Header=BB502_100 Depth=2
	s_waitcnt lgkmcnt(0)
	v_bcnt_u32_b32 v39, v39, v207
	ds_write_b32 v165, v39 offset:544
.LBB502_166:                            ;   in Loop: Header=BB502_100 Depth=2
	s_or_b32 exec_lo, exec_lo, s22
	v_xor_b32_e32 v206, 0x7fffffff, v42
	; wave barrier
	v_lshrrev_b32_e32 v39, s61, v206
	v_and_b32_e32 v40, s62, v39
	v_and_b32_e32 v39, 1, v40
	v_lshlrev_b32_e32 v42, 30, v40
	v_lshlrev_b32_e32 v209, 29, v40
	;; [unrolled: 1-line block ×4, first 2 shown]
	v_add_co_u32 v39, s22, v39, -1
	v_cndmask_b32_e64 v210, 0, 1, s22
	v_not_b32_e32 v214, v42
	v_cmp_gt_i32_e64 s22, 0, v42
	v_not_b32_e32 v42, v209
	v_lshlrev_b32_e32 v213, 26, v40
	v_cmp_ne_u32_e32 vcc_lo, 0, v210
	v_ashrrev_i32_e32 v214, 31, v214
	v_lshlrev_b32_e32 v210, 25, v40
	v_ashrrev_i32_e32 v42, 31, v42
	v_xor_b32_e32 v39, vcc_lo, v39
	v_cmp_gt_i32_e32 vcc_lo, 0, v209
	v_not_b32_e32 v209, v211
	v_xor_b32_e32 v214, s22, v214
	v_cmp_gt_i32_e64 s22, 0, v211
	v_and_b32_e32 v39, exec_lo, v39
	v_not_b32_e32 v211, v212
	v_ashrrev_i32_e32 v209, 31, v209
	v_xor_b32_e32 v42, vcc_lo, v42
	v_cmp_gt_i32_e32 vcc_lo, 0, v212
	v_and_b32_e32 v39, v39, v214
	v_not_b32_e32 v212, v213
	v_ashrrev_i32_e32 v211, 31, v211
	v_xor_b32_e32 v209, s22, v209
	v_cmp_gt_i32_e64 s22, 0, v213
	v_and_b32_e32 v39, v39, v42
	v_not_b32_e32 v42, v210
	v_ashrrev_i32_e32 v212, 31, v212
	v_xor_b32_e32 v211, vcc_lo, v211
	v_cmp_gt_i32_e32 vcc_lo, 0, v210
	v_and_b32_e32 v39, v39, v209
	v_ashrrev_i32_e32 v42, 31, v42
	v_xor_b32_e32 v209, s22, v212
	v_mad_u32_u24 v210, v40, 36, v132
	v_mul_u32_u24_e32 v40, 36, v40
	v_and_b32_e32 v39, v39, v211
	v_xor_b32_e32 v42, vcc_lo, v42
	ds_read_b32 v210, v210 offset:544
	v_add_nc_u32_e32 v212, v132, v40
	v_and_b32_e32 v39, v39, v209
	; wave barrier
	v_and_b32_e32 v39, v39, v42
	v_mbcnt_lo_u32_b32 v211, v39, 0
	v_cmp_ne_u32_e64 s22, 0, v39
	v_cmp_eq_u32_e32 vcc_lo, 0, v211
	s_and_b32 s23, s22, vcc_lo
	s_and_saveexec_b32 s22, s23
	s_cbranch_execz .LBB502_168
; %bb.167:                              ;   in Loop: Header=BB502_100 Depth=2
	s_waitcnt lgkmcnt(0)
	v_bcnt_u32_b32 v39, v39, v210
	ds_write_b32 v212, v39 offset:544
.LBB502_168:                            ;   in Loop: Header=BB502_100 Depth=2
	s_or_b32 exec_lo, exec_lo, s22
	v_xor_b32_e32 v209, 0x7fffffff, v41
	; wave barrier
	v_lshrrev_b32_e32 v39, s61, v209
	v_and_b32_e32 v40, s62, v39
	v_and_b32_e32 v39, 1, v40
	v_lshlrev_b32_e32 v41, 30, v40
	v_lshlrev_b32_e32 v42, 29, v40
	;; [unrolled: 1-line block ×4, first 2 shown]
	v_add_co_u32 v39, s22, v39, -1
	v_cndmask_b32_e64 v213, 0, 1, s22
	v_not_b32_e32 v217, v41
	v_cmp_gt_i32_e64 s22, 0, v41
	v_not_b32_e32 v41, v42
	v_lshlrev_b32_e32 v216, 26, v40
	v_cmp_ne_u32_e32 vcc_lo, 0, v213
	v_ashrrev_i32_e32 v217, 31, v217
	v_lshlrev_b32_e32 v213, 25, v40
	v_ashrrev_i32_e32 v41, 31, v41
	v_xor_b32_e32 v39, vcc_lo, v39
	v_cmp_gt_i32_e32 vcc_lo, 0, v42
	v_not_b32_e32 v42, v214
	v_xor_b32_e32 v217, s22, v217
	v_cmp_gt_i32_e64 s22, 0, v214
	v_and_b32_e32 v39, exec_lo, v39
	v_not_b32_e32 v214, v215
	v_ashrrev_i32_e32 v42, 31, v42
	v_xor_b32_e32 v41, vcc_lo, v41
	v_cmp_gt_i32_e32 vcc_lo, 0, v215
	v_and_b32_e32 v39, v39, v217
	v_not_b32_e32 v215, v216
	v_ashrrev_i32_e32 v214, 31, v214
	v_xor_b32_e32 v42, s22, v42
	v_cmp_gt_i32_e64 s22, 0, v216
	v_and_b32_e32 v39, v39, v41
	v_not_b32_e32 v41, v213
	v_ashrrev_i32_e32 v215, 31, v215
	v_xor_b32_e32 v214, vcc_lo, v214
	v_cmp_gt_i32_e32 vcc_lo, 0, v213
	v_and_b32_e32 v39, v39, v42
	v_ashrrev_i32_e32 v41, 31, v41
	v_xor_b32_e32 v42, s22, v215
	v_mad_u32_u24 v213, v40, 36, v132
	v_mul_u32_u24_e32 v40, 36, v40
	v_and_b32_e32 v39, v39, v214
	v_xor_b32_e32 v41, vcc_lo, v41
	ds_read_b32 v213, v213 offset:544
	v_add_nc_u32_e32 v215, v132, v40
	v_and_b32_e32 v39, v39, v42
	; wave barrier
	v_and_b32_e32 v39, v39, v41
	v_mbcnt_lo_u32_b32 v214, v39, 0
	v_cmp_ne_u32_e64 s22, 0, v39
	v_cmp_eq_u32_e32 vcc_lo, 0, v214
	s_and_b32 s23, s22, vcc_lo
	s_and_saveexec_b32 s22, s23
	s_cbranch_execz .LBB502_170
; %bb.169:                              ;   in Loop: Header=BB502_100 Depth=2
	s_waitcnt lgkmcnt(0)
	v_bcnt_u32_b32 v39, v39, v213
	ds_write_b32 v215, v39 offset:544
.LBB502_170:                            ;   in Loop: Header=BB502_100 Depth=2
	s_or_b32 exec_lo, exec_lo, s22
	v_lshrrev_b32_e32 v39, s61, v3
	; wave barrier
	v_and_b32_e32 v40, s62, v39
	v_and_b32_e32 v39, 1, v40
	v_lshlrev_b32_e32 v41, 30, v40
	v_lshlrev_b32_e32 v42, 29, v40
	;; [unrolled: 1-line block ×4, first 2 shown]
	v_add_co_u32 v39, s22, v39, -1
	v_cndmask_b32_e64 v216, 0, 1, s22
	v_not_b32_e32 v220, v41
	v_cmp_gt_i32_e64 s22, 0, v41
	v_not_b32_e32 v41, v42
	v_lshlrev_b32_e32 v219, 26, v40
	v_cmp_ne_u32_e32 vcc_lo, 0, v216
	v_ashrrev_i32_e32 v220, 31, v220
	v_lshlrev_b32_e32 v216, 25, v40
	v_ashrrev_i32_e32 v41, 31, v41
	v_xor_b32_e32 v39, vcc_lo, v39
	v_cmp_gt_i32_e32 vcc_lo, 0, v42
	v_not_b32_e32 v42, v217
	v_xor_b32_e32 v220, s22, v220
	v_cmp_gt_i32_e64 s22, 0, v217
	v_and_b32_e32 v39, exec_lo, v39
	v_not_b32_e32 v217, v218
	v_ashrrev_i32_e32 v42, 31, v42
	v_xor_b32_e32 v41, vcc_lo, v41
	v_cmp_gt_i32_e32 vcc_lo, 0, v218
	v_and_b32_e32 v39, v39, v220
	v_not_b32_e32 v218, v219
	v_ashrrev_i32_e32 v217, 31, v217
	v_xor_b32_e32 v42, s22, v42
	v_cmp_gt_i32_e64 s22, 0, v219
	v_and_b32_e32 v39, v39, v41
	v_not_b32_e32 v41, v216
	v_ashrrev_i32_e32 v218, 31, v218
	v_xor_b32_e32 v217, vcc_lo, v217
	v_cmp_gt_i32_e32 vcc_lo, 0, v216
	v_and_b32_e32 v39, v39, v42
	v_ashrrev_i32_e32 v41, 31, v41
	v_xor_b32_e32 v42, s22, v218
	v_mad_u32_u24 v216, v40, 36, v132
	v_mul_u32_u24_e32 v40, 36, v40
	v_and_b32_e32 v39, v39, v217
	v_xor_b32_e32 v41, vcc_lo, v41
	ds_read_b32 v216, v216 offset:544
	v_add_nc_u32_e32 v218, v132, v40
	v_and_b32_e32 v39, v39, v42
	; wave barrier
	v_and_b32_e32 v39, v39, v41
	v_mbcnt_lo_u32_b32 v217, v39, 0
	v_cmp_ne_u32_e64 s22, 0, v39
	v_cmp_eq_u32_e32 vcc_lo, 0, v217
	s_and_b32 s23, s22, vcc_lo
	s_and_saveexec_b32 s22, s23
	s_cbranch_execz .LBB502_172
; %bb.171:                              ;   in Loop: Header=BB502_100 Depth=2
	s_waitcnt lgkmcnt(0)
	v_bcnt_u32_b32 v39, v39, v216
	ds_write_b32 v218, v39 offset:544
.LBB502_172:                            ;   in Loop: Header=BB502_100 Depth=2
	s_or_b32 exec_lo, exec_lo, s22
	; wave barrier
	s_waitcnt lgkmcnt(0)
	s_barrier
	buffer_gl0_inv
	ds_read2_b32 v[41:42], v68 offset0:136 offset1:137
	ds_read2_b32 v[39:40], v68 offset0:138 offset1:139
	ds_read_b32 v219, v68 offset:560
	s_waitcnt lgkmcnt(1)
	v_add3_u32 v220, v42, v41, v39
	s_waitcnt lgkmcnt(0)
	v_add3_u32 v219, v220, v40, v219
	v_mov_b32_dpp v220, v219 row_shr:1 row_mask:0xf bank_mask:0xf
	v_cndmask_b32_e64 v220, v220, 0, s5
	v_add_nc_u32_e32 v219, v220, v219
	v_mov_b32_dpp v220, v219 row_shr:2 row_mask:0xf bank_mask:0xf
	v_cndmask_b32_e64 v220, 0, v220, s15
	v_add_nc_u32_e32 v219, v219, v220
	v_mov_b32_dpp v220, v219 row_shr:4 row_mask:0xf bank_mask:0xf
	v_cndmask_b32_e64 v220, 0, v220, s16
	v_add_nc_u32_e32 v219, v219, v220
	v_mov_b32_dpp v220, v219 row_shr:8 row_mask:0xf bank_mask:0xf
	v_cndmask_b32_e64 v220, 0, v220, s17
	v_add_nc_u32_e32 v219, v219, v220
	ds_swizzle_b32 v220, v219 offset:swizzle(BROADCAST,32,15)
	s_waitcnt lgkmcnt(0)
	v_cndmask_b32_e64 v220, v220, 0, s18
	v_add_nc_u32_e32 v219, v219, v220
	s_and_saveexec_b32 s22, s4
; %bb.173:                              ;   in Loop: Header=BB502_100 Depth=2
	ds_write_b32 v62, v219 offset:512
; %bb.174:                              ;   in Loop: Header=BB502_100 Depth=2
	s_or_b32 exec_lo, exec_lo, s22
	s_waitcnt lgkmcnt(0)
	s_barrier
	buffer_gl0_inv
	s_and_saveexec_b32 s22, s11
	s_cbranch_execz .LBB502_176
; %bb.175:                              ;   in Loop: Header=BB502_100 Depth=2
	ds_read_b32 v220, v69 offset:512
	s_waitcnt lgkmcnt(0)
	v_mov_b32_dpp v221, v220 row_shr:1 row_mask:0xf bank_mask:0xf
	v_cndmask_b32_e64 v221, v221, 0, s19
	v_add_nc_u32_e32 v220, v221, v220
	v_mov_b32_dpp v221, v220 row_shr:2 row_mask:0xf bank_mask:0xf
	v_cndmask_b32_e64 v221, 0, v221, s20
	v_add_nc_u32_e32 v220, v220, v221
	;; [unrolled: 3-line block ×3, first 2 shown]
	ds_write_b32 v69, v220 offset:512
.LBB502_176:                            ;   in Loop: Header=BB502_100 Depth=2
	s_or_b32 exec_lo, exec_lo, s22
	v_mov_b32_e32 v220, 0
	s_waitcnt lgkmcnt(0)
	s_barrier
	buffer_gl0_inv
	s_and_saveexec_b32 s22, s10
; %bb.177:                              ;   in Loop: Header=BB502_100 Depth=2
	ds_read_b32 v220, v62 offset:508
; %bb.178:                              ;   in Loop: Header=BB502_100 Depth=2
	s_or_b32 exec_lo, exec_lo, s22
	s_waitcnt lgkmcnt(0)
	v_add_nc_u32_e32 v219, v220, v219
	ds_bpermute_b32 v219, v131, v219
	s_waitcnt lgkmcnt(0)
	v_cndmask_b32_e64 v219, v219, v220, s14
	v_cndmask_b32_e64 v219, v219, 0, s12
	v_add_nc_u32_e32 v41, v219, v41
	v_add_nc_u32_e32 v42, v41, v42
	;; [unrolled: 1-line block ×4, first 2 shown]
	ds_write2_b32 v68, v219, v41 offset0:136 offset1:137
	ds_write2_b32 v68, v42, v39 offset0:138 offset1:139
	ds_write_b32 v68, v40 offset:560
	s_waitcnt lgkmcnt(0)
	s_barrier
	buffer_gl0_inv
	ds_read_b32 v41, v156 offset:544
	ds_read_b32 v42, v160 offset:544
	;; [unrolled: 1-line block ×17, first 2 shown]
	s_and_saveexec_b32 s22, s7
	s_cbranch_execz .LBB502_182
; %bb.179:                              ;   in Loop: Header=BB502_100 Depth=2
	ds_read_b32 v148, v71 offset:544
	v_mov_b32_e32 v151, 0x1100
	s_and_saveexec_b32 s23, s13
; %bb.180:                              ;   in Loop: Header=BB502_100 Depth=2
	ds_read_b32 v151, v70 offset:544
; %bb.181:                              ;   in Loop: Header=BB502_100 Depth=2
	s_or_b32 exec_lo, exec_lo, s23
	s_waitcnt lgkmcnt(0)
	v_sub_nc_u32_e32 v151, v151, v148
.LBB502_182:                            ;   in Loop: Header=BB502_100 Depth=2
	s_or_b32 exec_lo, exec_lo, s22
	s_waitcnt lgkmcnt(0)
	s_barrier
	buffer_gl0_inv
	s_and_saveexec_b32 s22, s7
	s_cbranch_execz .LBB502_184
; %bb.183:                              ;   in Loop: Header=BB502_100 Depth=2
	ds_read_b32 v165, v43
	s_waitcnt lgkmcnt(0)
	v_sub_nc_u32_e32 v165, v165, v148
	ds_write_b32 v43, v165
.LBB502_184:                            ;   in Loop: Header=BB502_100 Depth=2
	s_or_b32 exec_lo, exec_lo, s22
	v_add_nc_u32_e32 v175, v41, v155
	v_add3_u32 v174, v159, v158, v42
	v_add3_u32 v170, v163, v162, v160
	;; [unrolled: 1-line block ×5, first 2 shown]
	v_lshlrev_b32_e32 v172, 2, v175
	v_lshlrev_b32_e32 v173, 2, v174
	v_add3_u32 v158, v214, v213, v39
	v_lshlrev_b32_e32 v39, 2, v170
	v_add3_u32 v167, v178, v177, v180
	v_add3_u32 v164, v188, v187, v189
	;; [unrolled: 1-line block ×5, first 2 shown]
	ds_write_b32 v172, v153 offset:512
	ds_write_b32 v173, v154 offset:512
	v_lshlrev_b32_e32 v40, 2, v169
	ds_write_b32 v39, v157 offset:512
	v_lshlrev_b32_e32 v39, 2, v165
	v_add3_u32 v162, v194, v193, v195
	v_lshlrev_b32_e32 v153, 2, v168
	v_add3_u32 v160, v198, v197, v199
	;; [unrolled: 2-line block ×3, first 2 shown]
	v_add3_u32 v42, v205, v204, v221
	ds_write_b32 v40, v161 offset:512
	ds_write_b32 v153, v166 offset:512
	;; [unrolled: 1-line block ×3, first 2 shown]
	v_lshlrev_b32_e32 v40, 2, v164
	ds_write_b32 v39, v176 offset:512
	v_lshlrev_b32_e32 v39, 2, v163
	v_lshlrev_b32_e32 v153, 2, v162
	;; [unrolled: 1-line block ×3, first 2 shown]
	v_add3_u32 v41, v208, v207, v222
	ds_write_b32 v40, v181 offset:512
	v_lshlrev_b32_e32 v40, 2, v159
	ds_write_b32 v39, v186 offset:512
	ds_write_b32 v153, v184 offset:512
	;; [unrolled: 1-line block ×3, first 2 shown]
	v_lshlrev_b32_e32 v39, 2, v42
	v_cmp_lt_u32_e32 vcc_lo, v0, v152
	v_lshlrev_b32_e32 v153, 2, v155
	ds_write_b32 v40, v196 offset:512
	v_lshlrev_b32_e32 v40, 2, v41
	ds_write_b32 v39, v200 offset:512
	v_lshlrev_b32_e32 v39, 2, v156
	v_lshlrev_b32_e32 v154, 2, v158
	ds_write_b32 v40, v203 offset:512
	ds_write_b32 v153, v206 offset:512
	;; [unrolled: 1-line block ×4, first 2 shown]
	s_waitcnt lgkmcnt(0)
	s_barrier
	buffer_gl0_inv
	s_and_saveexec_b32 s23, vcc_lo
	s_cbranch_execnz .LBB502_257
; %bb.185:                              ;   in Loop: Header=BB502_100 Depth=2
	s_or_b32 exec_lo, exec_lo, s23
	v_cmp_lt_u32_e64 s22, v44, v152
	s_and_saveexec_b32 s24, s22
	s_cbranch_execnz .LBB502_258
.LBB502_186:                            ;   in Loop: Header=BB502_100 Depth=2
	s_or_b32 exec_lo, exec_lo, s24
	v_cmp_lt_u32_e64 s23, v47, v152
	s_and_saveexec_b32 s25, s23
	s_cbranch_execnz .LBB502_259
.LBB502_187:                            ;   in Loop: Header=BB502_100 Depth=2
	s_or_b32 exec_lo, exec_lo, s25
	v_cmp_lt_u32_e64 s24, v48, v152
	s_and_saveexec_b32 s26, s24
	s_cbranch_execnz .LBB502_260
.LBB502_188:                            ;   in Loop: Header=BB502_100 Depth=2
	s_or_b32 exec_lo, exec_lo, s26
	v_cmp_lt_u32_e64 s25, v49, v152
	s_and_saveexec_b32 s27, s25
	s_cbranch_execnz .LBB502_261
.LBB502_189:                            ;   in Loop: Header=BB502_100 Depth=2
	s_or_b32 exec_lo, exec_lo, s27
	v_cmp_lt_u32_e64 s26, v50, v152
	s_and_saveexec_b32 s29, s26
	s_cbranch_execnz .LBB502_262
.LBB502_190:                            ;   in Loop: Header=BB502_100 Depth=2
	s_or_b32 exec_lo, exec_lo, s29
	v_cmp_lt_u32_e64 s27, v51, v152
	s_and_saveexec_b32 s30, s27
	s_cbranch_execnz .LBB502_263
.LBB502_191:                            ;   in Loop: Header=BB502_100 Depth=2
	s_or_b32 exec_lo, exec_lo, s30
	v_cmp_lt_u32_e64 s29, v52, v152
	s_and_saveexec_b32 s31, s29
	s_cbranch_execnz .LBB502_264
.LBB502_192:                            ;   in Loop: Header=BB502_100 Depth=2
	s_or_b32 exec_lo, exec_lo, s31
	v_cmp_lt_u32_e64 s30, v53, v152
	s_and_saveexec_b32 s33, s30
	s_cbranch_execnz .LBB502_265
.LBB502_193:                            ;   in Loop: Header=BB502_100 Depth=2
	s_or_b32 exec_lo, exec_lo, s33
	v_cmp_lt_u32_e64 s31, v54, v152
	s_and_saveexec_b32 s34, s31
	s_cbranch_execnz .LBB502_266
.LBB502_194:                            ;   in Loop: Header=BB502_100 Depth=2
	s_or_b32 exec_lo, exec_lo, s34
	v_cmp_lt_u32_e64 s33, v55, v152
	s_and_saveexec_b32 s35, s33
	s_cbranch_execnz .LBB502_267
.LBB502_195:                            ;   in Loop: Header=BB502_100 Depth=2
	s_or_b32 exec_lo, exec_lo, s35
	v_cmp_lt_u32_e64 s34, v56, v152
	s_and_saveexec_b32 s36, s34
	s_cbranch_execnz .LBB502_268
.LBB502_196:                            ;   in Loop: Header=BB502_100 Depth=2
	s_or_b32 exec_lo, exec_lo, s36
	v_cmp_lt_u32_e64 s35, v57, v152
	s_and_saveexec_b32 s37, s35
	s_cbranch_execnz .LBB502_269
.LBB502_197:                            ;   in Loop: Header=BB502_100 Depth=2
	s_or_b32 exec_lo, exec_lo, s37
	v_cmp_lt_u32_e64 s36, v58, v152
	s_and_saveexec_b32 s38, s36
	s_cbranch_execnz .LBB502_270
.LBB502_198:                            ;   in Loop: Header=BB502_100 Depth=2
	s_or_b32 exec_lo, exec_lo, s38
	v_cmp_lt_u32_e64 s37, v59, v152
	s_and_saveexec_b32 s39, s37
	s_cbranch_execnz .LBB502_271
.LBB502_199:                            ;   in Loop: Header=BB502_100 Depth=2
	s_or_b32 exec_lo, exec_lo, s39
	v_cmp_lt_u32_e64 s38, v60, v152
	s_and_saveexec_b32 s40, s38
	s_cbranch_execnz .LBB502_272
.LBB502_200:                            ;   in Loop: Header=BB502_100 Depth=2
	s_or_b32 exec_lo, exec_lo, s40
	v_cmp_lt_u32_e64 s39, v61, v152
	s_and_saveexec_b32 s65, s39
	s_cbranch_execz .LBB502_202
.LBB502_201:                            ;   in Loop: Header=BB502_100 Depth=2
	ds_read_b32 v153, v69 offset:16896
	s_waitcnt lgkmcnt(0)
	v_lshrrev_b32_e32 v3, s61, v153
	v_and_b32_e32 v3, s62, v3
	v_lshlrev_b32_e32 v3, 2, v3
	ds_read_b32 v3, v3
	s_waitcnt lgkmcnt(0)
	v_add_nc_u32_e32 v3, v3, v61
	v_lshlrev_b64 v[39:40], 2, v[3:4]
	v_xor_b32_e32 v3, 0x7fffffff, v153
	v_add_co_u32 v39, s40, s46, v39
	v_add_co_ci_u32_e64 v40, null, s47, v40, s40
	global_store_dword v[39:40], v3, off
.LBB502_202:                            ;   in Loop: Header=BB502_100 Depth=2
	s_or_b32 exec_lo, exec_lo, s65
	s_lshl_b64 s[66:67], s[50:51], 3
	v_add_co_u32 v39, s40, v110, s66
	v_add_co_ci_u32_e64 v40, null, s67, v111, s40
	v_cmp_lt_u32_e64 s40, v109, v152
	s_and_saveexec_b32 s50, s40
	s_xor_b32 s40, exec_lo, s50
	s_cbranch_execnz .LBB502_273
; %bb.203:                              ;   in Loop: Header=BB502_100 Depth=2
	s_or_b32 exec_lo, exec_lo, s40
	s_mov_b32 s50, exec_lo
	v_cmpx_lt_u32_e64 v112, v152
	s_cbranch_execnz .LBB502_274
.LBB502_204:                            ;   in Loop: Header=BB502_100 Depth=2
	s_or_b32 exec_lo, exec_lo, s50
	s_mov_b32 s50, exec_lo
	v_cmpx_lt_u32_e64 v113, v152
	s_cbranch_execnz .LBB502_275
.LBB502_205:                            ;   in Loop: Header=BB502_100 Depth=2
	s_or_b32 exec_lo, exec_lo, s50
	s_mov_b32 s50, exec_lo
	v_cmpx_lt_u32_e64 v114, v152
	s_cbranch_execnz .LBB502_276
.LBB502_206:                            ;   in Loop: Header=BB502_100 Depth=2
	s_or_b32 exec_lo, exec_lo, s50
	s_mov_b32 s50, exec_lo
	v_cmpx_lt_u32_e64 v115, v152
	s_cbranch_execnz .LBB502_277
.LBB502_207:                            ;   in Loop: Header=BB502_100 Depth=2
	s_or_b32 exec_lo, exec_lo, s50
	s_mov_b32 s50, exec_lo
	v_cmpx_lt_u32_e64 v116, v152
	s_cbranch_execnz .LBB502_278
.LBB502_208:                            ;   in Loop: Header=BB502_100 Depth=2
	s_or_b32 exec_lo, exec_lo, s50
	s_mov_b32 s50, exec_lo
	v_cmpx_lt_u32_e64 v117, v152
	s_cbranch_execnz .LBB502_279
.LBB502_209:                            ;   in Loop: Header=BB502_100 Depth=2
	s_or_b32 exec_lo, exec_lo, s50
	s_mov_b32 s50, exec_lo
	v_cmpx_lt_u32_e64 v118, v152
	s_cbranch_execnz .LBB502_280
.LBB502_210:                            ;   in Loop: Header=BB502_100 Depth=2
	s_or_b32 exec_lo, exec_lo, s50
	s_mov_b32 s50, exec_lo
	v_cmpx_lt_u32_e64 v119, v152
	s_cbranch_execnz .LBB502_281
.LBB502_211:                            ;   in Loop: Header=BB502_100 Depth=2
	s_or_b32 exec_lo, exec_lo, s50
	s_mov_b32 s50, exec_lo
	v_cmpx_lt_u32_e64 v120, v152
	s_cbranch_execnz .LBB502_282
.LBB502_212:                            ;   in Loop: Header=BB502_100 Depth=2
	s_or_b32 exec_lo, exec_lo, s50
	s_mov_b32 s50, exec_lo
	v_cmpx_lt_u32_e64 v121, v152
	s_cbranch_execnz .LBB502_283
.LBB502_213:                            ;   in Loop: Header=BB502_100 Depth=2
	s_or_b32 exec_lo, exec_lo, s50
	s_mov_b32 s50, exec_lo
	v_cmpx_lt_u32_e64 v122, v152
	s_cbranch_execnz .LBB502_284
.LBB502_214:                            ;   in Loop: Header=BB502_100 Depth=2
	s_or_b32 exec_lo, exec_lo, s50
	s_mov_b32 s50, exec_lo
	v_cmpx_lt_u32_e64 v123, v152
	s_cbranch_execnz .LBB502_285
.LBB502_215:                            ;   in Loop: Header=BB502_100 Depth=2
	s_or_b32 exec_lo, exec_lo, s50
	s_mov_b32 s50, exec_lo
	v_cmpx_lt_u32_e64 v124, v152
	s_cbranch_execnz .LBB502_286
.LBB502_216:                            ;   in Loop: Header=BB502_100 Depth=2
	s_or_b32 exec_lo, exec_lo, s50
	s_mov_b32 s50, exec_lo
	v_cmpx_lt_u32_e64 v126, v152
	s_cbranch_execnz .LBB502_287
.LBB502_217:                            ;   in Loop: Header=BB502_100 Depth=2
	s_or_b32 exec_lo, exec_lo, s50
	s_mov_b32 s50, exec_lo
	v_cmpx_lt_u32_e64 v127, v152
	s_cbranch_execnz .LBB502_288
.LBB502_218:                            ;   in Loop: Header=BB502_100 Depth=2
	s_or_b32 exec_lo, exec_lo, s50
	s_mov_b32 s50, exec_lo
	v_cmpx_lt_u32_e64 v128, v152
	s_cbranch_execnz .LBB502_289
.LBB502_219:                            ;   in Loop: Header=BB502_100 Depth=2
	s_or_b32 exec_lo, exec_lo, s50
	s_and_saveexec_b32 s40, vcc_lo
	s_cbranch_execnz .LBB502_290
.LBB502_220:                            ;   in Loop: Header=BB502_100 Depth=2
	s_or_b32 exec_lo, exec_lo, s40
	s_and_saveexec_b32 s40, s22
	s_cbranch_execnz .LBB502_291
.LBB502_221:                            ;   in Loop: Header=BB502_100 Depth=2
	s_or_b32 exec_lo, exec_lo, s40
	s_and_saveexec_b32 s40, s23
	s_cbranch_execnz .LBB502_292
.LBB502_222:                            ;   in Loop: Header=BB502_100 Depth=2
	s_or_b32 exec_lo, exec_lo, s40
	s_and_saveexec_b32 s40, s24
	s_cbranch_execnz .LBB502_293
.LBB502_223:                            ;   in Loop: Header=BB502_100 Depth=2
	s_or_b32 exec_lo, exec_lo, s40
	s_and_saveexec_b32 s40, s25
	s_cbranch_execnz .LBB502_294
.LBB502_224:                            ;   in Loop: Header=BB502_100 Depth=2
	s_or_b32 exec_lo, exec_lo, s40
	s_and_saveexec_b32 s40, s26
	s_cbranch_execnz .LBB502_295
.LBB502_225:                            ;   in Loop: Header=BB502_100 Depth=2
	s_or_b32 exec_lo, exec_lo, s40
	s_and_saveexec_b32 s40, s27
	s_cbranch_execnz .LBB502_296
.LBB502_226:                            ;   in Loop: Header=BB502_100 Depth=2
	s_or_b32 exec_lo, exec_lo, s40
	s_and_saveexec_b32 s40, s29
	s_cbranch_execnz .LBB502_297
.LBB502_227:                            ;   in Loop: Header=BB502_100 Depth=2
	s_or_b32 exec_lo, exec_lo, s40
	s_and_saveexec_b32 s40, s30
	s_cbranch_execnz .LBB502_298
.LBB502_228:                            ;   in Loop: Header=BB502_100 Depth=2
	s_or_b32 exec_lo, exec_lo, s40
	s_and_saveexec_b32 s40, s31
	s_cbranch_execnz .LBB502_299
.LBB502_229:                            ;   in Loop: Header=BB502_100 Depth=2
	s_or_b32 exec_lo, exec_lo, s40
	s_and_saveexec_b32 s40, s33
	s_cbranch_execnz .LBB502_300
.LBB502_230:                            ;   in Loop: Header=BB502_100 Depth=2
	s_or_b32 exec_lo, exec_lo, s40
	s_and_saveexec_b32 s40, s34
	s_cbranch_execnz .LBB502_301
.LBB502_231:                            ;   in Loop: Header=BB502_100 Depth=2
	s_or_b32 exec_lo, exec_lo, s40
	s_and_saveexec_b32 s40, s35
	s_cbranch_execnz .LBB502_302
.LBB502_232:                            ;   in Loop: Header=BB502_100 Depth=2
	s_or_b32 exec_lo, exec_lo, s40
	s_and_saveexec_b32 s40, s36
	s_cbranch_execnz .LBB502_303
.LBB502_233:                            ;   in Loop: Header=BB502_100 Depth=2
	s_or_b32 exec_lo, exec_lo, s40
	s_and_saveexec_b32 s40, s37
	s_cbranch_execnz .LBB502_304
.LBB502_234:                            ;   in Loop: Header=BB502_100 Depth=2
	s_or_b32 exec_lo, exec_lo, s40
	s_and_saveexec_b32 s40, s38
	s_cbranch_execnz .LBB502_305
.LBB502_235:                            ;   in Loop: Header=BB502_100 Depth=2
	s_or_b32 exec_lo, exec_lo, s40
	s_and_saveexec_b32 s40, s39
	s_cbranch_execz .LBB502_237
.LBB502_236:                            ;   in Loop: Header=BB502_100 Depth=2
	ds_read_b32 v3, v69 offset:16896
	s_waitcnt lgkmcnt(0)
	v_lshrrev_b32_e32 v3, s61, v3
	v_and_b32_e32 v133, s62, v3
.LBB502_237:                            ;   in Loop: Header=BB502_100 Depth=2
	s_or_b32 exec_lo, exec_lo, s40
	v_lshlrev_b32_e32 v3, 3, v175
	v_lshlrev_b32_e32 v39, 3, v174
	s_waitcnt vmcnt(0)
	s_waitcnt_vscnt null, 0x0
	s_barrier
	buffer_gl0_inv
	ds_write_b64 v3, v[37:38] offset:512
	ds_write_b64 v39, v[35:36] offset:512
	v_lshlrev_b32_e32 v3, 3, v170
	v_lshlrev_b32_e32 v39, 3, v169
	v_lshlrev_b32_e32 v40, 3, v168
	v_lshlrev_b32_e32 v152, 3, v167
	v_lshlrev_b32_e32 v153, 3, v165
	ds_write_b64 v3, v[33:34] offset:512
	ds_write_b64 v39, v[31:32] offset:512
	ds_write_b64 v40, v[29:30] offset:512
	ds_write_b64 v152, v[25:26] offset:512
	ds_write_b64 v153, v[21:22] offset:512
	v_lshlrev_b32_e32 v3, 3, v164
	v_lshlrev_b32_e32 v39, 3, v163
	v_lshlrev_b32_e32 v40, 3, v162
	v_lshlrev_b32_e32 v152, 3, v160
	v_lshlrev_b32_e32 v153, 3, v159
	ds_write_b64 v3, v[17:18] offset:512
	ds_write_b64 v39, v[27:28] offset:512
	ds_write_b64 v40, v[23:24] offset:512
	;; [unrolled: 10-line block ×3, first 2 shown]
	ds_write_b64 v41, v[7:8] offset:512
	ds_write_b64 v42, v[5:6] offset:512
	s_waitcnt lgkmcnt(0)
	s_barrier
	buffer_gl0_inv
	s_and_saveexec_b32 s40, vcc_lo
	s_cbranch_execnz .LBB502_306
; %bb.238:                              ;   in Loop: Header=BB502_100 Depth=2
	s_or_b32 exec_lo, exec_lo, s40
	s_and_saveexec_b32 s40, s22
	s_cbranch_execnz .LBB502_307
.LBB502_239:                            ;   in Loop: Header=BB502_100 Depth=2
	s_or_b32 exec_lo, exec_lo, s40
	s_and_saveexec_b32 s22, s23
	s_cbranch_execnz .LBB502_308
.LBB502_240:                            ;   in Loop: Header=BB502_100 Depth=2
	s_or_b32 exec_lo, exec_lo, s22
	s_and_saveexec_b32 s22, s24
	s_cbranch_execnz .LBB502_309
.LBB502_241:                            ;   in Loop: Header=BB502_100 Depth=2
	s_or_b32 exec_lo, exec_lo, s22
	s_and_saveexec_b32 s22, s25
	s_cbranch_execnz .LBB502_310
.LBB502_242:                            ;   in Loop: Header=BB502_100 Depth=2
	s_or_b32 exec_lo, exec_lo, s22
	s_and_saveexec_b32 s22, s26
	s_cbranch_execnz .LBB502_311
.LBB502_243:                            ;   in Loop: Header=BB502_100 Depth=2
	s_or_b32 exec_lo, exec_lo, s22
	s_and_saveexec_b32 s22, s27
	s_cbranch_execnz .LBB502_312
.LBB502_244:                            ;   in Loop: Header=BB502_100 Depth=2
	s_or_b32 exec_lo, exec_lo, s22
	s_and_saveexec_b32 s22, s29
	s_cbranch_execnz .LBB502_313
.LBB502_245:                            ;   in Loop: Header=BB502_100 Depth=2
	s_or_b32 exec_lo, exec_lo, s22
	s_and_saveexec_b32 s22, s30
	s_cbranch_execnz .LBB502_314
.LBB502_246:                            ;   in Loop: Header=BB502_100 Depth=2
	s_or_b32 exec_lo, exec_lo, s22
	s_and_saveexec_b32 s22, s31
	s_cbranch_execnz .LBB502_315
.LBB502_247:                            ;   in Loop: Header=BB502_100 Depth=2
	s_or_b32 exec_lo, exec_lo, s22
	s_and_saveexec_b32 s22, s33
	s_cbranch_execnz .LBB502_316
.LBB502_248:                            ;   in Loop: Header=BB502_100 Depth=2
	s_or_b32 exec_lo, exec_lo, s22
	s_and_saveexec_b32 s22, s34
	s_cbranch_execnz .LBB502_317
.LBB502_249:                            ;   in Loop: Header=BB502_100 Depth=2
	s_or_b32 exec_lo, exec_lo, s22
	s_and_saveexec_b32 s22, s35
	s_cbranch_execnz .LBB502_318
.LBB502_250:                            ;   in Loop: Header=BB502_100 Depth=2
	s_or_b32 exec_lo, exec_lo, s22
	s_and_saveexec_b32 s22, s36
	s_cbranch_execnz .LBB502_319
.LBB502_251:                            ;   in Loop: Header=BB502_100 Depth=2
	s_or_b32 exec_lo, exec_lo, s22
	s_and_saveexec_b32 s22, s37
	s_cbranch_execnz .LBB502_320
.LBB502_252:                            ;   in Loop: Header=BB502_100 Depth=2
	s_or_b32 exec_lo, exec_lo, s22
	s_and_saveexec_b32 s22, s38
	s_cbranch_execnz .LBB502_321
.LBB502_253:                            ;   in Loop: Header=BB502_100 Depth=2
	s_or_b32 exec_lo, exec_lo, s22
	s_and_saveexec_b32 s22, s39
	s_cbranch_execz .LBB502_255
.LBB502_254:                            ;   in Loop: Header=BB502_100 Depth=2
	v_lshlrev_b32_e32 v3, 2, v133
	v_add_nc_u32_e32 v39, v69, v43
	ds_read_b32 v3, v3
	ds_read_b64 v[39:40], v39 offset:33280
	s_waitcnt lgkmcnt(1)
	v_add_nc_u32_e32 v3, v3, v61
	v_lshlrev_b64 v[41:42], 3, v[3:4]
	v_add_co_u32 v41, vcc_lo, s52, v41
	v_add_co_ci_u32_e64 v42, null, s53, v42, vcc_lo
	s_waitcnt lgkmcnt(0)
	global_store_dwordx2 v[41:42], v[39:40], off
.LBB502_255:                            ;   in Loop: Header=BB502_100 Depth=2
	s_or_b32 exec_lo, exec_lo, s22
	s_waitcnt_vscnt null, 0x0
	s_barrier
	buffer_gl0_inv
	s_and_saveexec_b32 s22, s7
	s_cbranch_execz .LBB502_99
; %bb.256:                              ;   in Loop: Header=BB502_100 Depth=2
	ds_read_b32 v3, v43
	s_waitcnt lgkmcnt(0)
	v_add3_u32 v3, v148, v151, v3
	ds_write_b32 v43, v3
	s_branch .LBB502_99
.LBB502_257:                            ;   in Loop: Header=BB502_100 Depth=2
	ds_read_b32 v153, v69 offset:512
	s_waitcnt lgkmcnt(0)
	v_lshrrev_b32_e32 v3, s61, v153
	v_and_b32_e32 v3, s62, v3
	v_lshlrev_b32_e32 v3, 2, v3
	ds_read_b32 v3, v3
	s_waitcnt lgkmcnt(0)
	v_add_nc_u32_e32 v3, v3, v0
	v_lshlrev_b64 v[39:40], 2, v[3:4]
	v_xor_b32_e32 v3, 0x7fffffff, v153
	v_add_co_u32 v39, s22, s46, v39
	v_add_co_ci_u32_e64 v40, null, s47, v40, s22
	global_store_dword v[39:40], v3, off
	s_or_b32 exec_lo, exec_lo, s23
	v_cmp_lt_u32_e64 s22, v44, v152
	s_and_saveexec_b32 s24, s22
	s_cbranch_execz .LBB502_186
.LBB502_258:                            ;   in Loop: Header=BB502_100 Depth=2
	ds_read_b32 v153, v69 offset:1536
	s_waitcnt lgkmcnt(0)
	v_lshrrev_b32_e32 v3, s61, v153
	v_and_b32_e32 v3, s62, v3
	v_lshlrev_b32_e32 v3, 2, v3
	ds_read_b32 v3, v3
	s_waitcnt lgkmcnt(0)
	v_add_nc_u32_e32 v3, v3, v44
	v_lshlrev_b64 v[39:40], 2, v[3:4]
	v_xor_b32_e32 v3, 0x7fffffff, v153
	v_add_co_u32 v39, s23, s46, v39
	v_add_co_ci_u32_e64 v40, null, s47, v40, s23
	global_store_dword v[39:40], v3, off
	s_or_b32 exec_lo, exec_lo, s24
	v_cmp_lt_u32_e64 s23, v47, v152
	s_and_saveexec_b32 s25, s23
	s_cbranch_execz .LBB502_187
.LBB502_259:                            ;   in Loop: Header=BB502_100 Depth=2
	ds_read_b32 v153, v69 offset:2560
	s_waitcnt lgkmcnt(0)
	v_lshrrev_b32_e32 v3, s61, v153
	v_and_b32_e32 v3, s62, v3
	v_lshlrev_b32_e32 v3, 2, v3
	ds_read_b32 v3, v3
	s_waitcnt lgkmcnt(0)
	v_add_nc_u32_e32 v3, v3, v47
	v_lshlrev_b64 v[39:40], 2, v[3:4]
	v_xor_b32_e32 v3, 0x7fffffff, v153
	v_add_co_u32 v39, s24, s46, v39
	v_add_co_ci_u32_e64 v40, null, s47, v40, s24
	global_store_dword v[39:40], v3, off
	s_or_b32 exec_lo, exec_lo, s25
	v_cmp_lt_u32_e64 s24, v48, v152
	s_and_saveexec_b32 s26, s24
	s_cbranch_execz .LBB502_188
.LBB502_260:                            ;   in Loop: Header=BB502_100 Depth=2
	ds_read_b32 v153, v69 offset:3584
	s_waitcnt lgkmcnt(0)
	v_lshrrev_b32_e32 v3, s61, v153
	v_and_b32_e32 v3, s62, v3
	v_lshlrev_b32_e32 v3, 2, v3
	ds_read_b32 v3, v3
	s_waitcnt lgkmcnt(0)
	v_add_nc_u32_e32 v3, v3, v48
	v_lshlrev_b64 v[39:40], 2, v[3:4]
	v_xor_b32_e32 v3, 0x7fffffff, v153
	v_add_co_u32 v39, s25, s46, v39
	v_add_co_ci_u32_e64 v40, null, s47, v40, s25
	global_store_dword v[39:40], v3, off
	s_or_b32 exec_lo, exec_lo, s26
	v_cmp_lt_u32_e64 s25, v49, v152
	s_and_saveexec_b32 s27, s25
	s_cbranch_execz .LBB502_189
.LBB502_261:                            ;   in Loop: Header=BB502_100 Depth=2
	ds_read_b32 v153, v69 offset:4608
	s_waitcnt lgkmcnt(0)
	v_lshrrev_b32_e32 v3, s61, v153
	v_and_b32_e32 v3, s62, v3
	v_lshlrev_b32_e32 v3, 2, v3
	ds_read_b32 v3, v3
	s_waitcnt lgkmcnt(0)
	v_add_nc_u32_e32 v3, v3, v49
	v_lshlrev_b64 v[39:40], 2, v[3:4]
	v_xor_b32_e32 v3, 0x7fffffff, v153
	v_add_co_u32 v39, s26, s46, v39
	v_add_co_ci_u32_e64 v40, null, s47, v40, s26
	global_store_dword v[39:40], v3, off
	s_or_b32 exec_lo, exec_lo, s27
	v_cmp_lt_u32_e64 s26, v50, v152
	s_and_saveexec_b32 s29, s26
	s_cbranch_execz .LBB502_190
.LBB502_262:                            ;   in Loop: Header=BB502_100 Depth=2
	ds_read_b32 v153, v69 offset:5632
	s_waitcnt lgkmcnt(0)
	v_lshrrev_b32_e32 v3, s61, v153
	v_and_b32_e32 v3, s62, v3
	v_lshlrev_b32_e32 v3, 2, v3
	ds_read_b32 v3, v3
	s_waitcnt lgkmcnt(0)
	v_add_nc_u32_e32 v3, v3, v50
	v_lshlrev_b64 v[39:40], 2, v[3:4]
	v_xor_b32_e32 v3, 0x7fffffff, v153
	v_add_co_u32 v39, s27, s46, v39
	v_add_co_ci_u32_e64 v40, null, s47, v40, s27
	global_store_dword v[39:40], v3, off
	s_or_b32 exec_lo, exec_lo, s29
	v_cmp_lt_u32_e64 s27, v51, v152
	s_and_saveexec_b32 s30, s27
	s_cbranch_execz .LBB502_191
.LBB502_263:                            ;   in Loop: Header=BB502_100 Depth=2
	ds_read_b32 v153, v69 offset:6656
	s_waitcnt lgkmcnt(0)
	v_lshrrev_b32_e32 v3, s61, v153
	v_and_b32_e32 v3, s62, v3
	v_lshlrev_b32_e32 v3, 2, v3
	ds_read_b32 v3, v3
	s_waitcnt lgkmcnt(0)
	v_add_nc_u32_e32 v3, v3, v51
	v_lshlrev_b64 v[39:40], 2, v[3:4]
	v_xor_b32_e32 v3, 0x7fffffff, v153
	v_add_co_u32 v39, s29, s46, v39
	v_add_co_ci_u32_e64 v40, null, s47, v40, s29
	global_store_dword v[39:40], v3, off
	s_or_b32 exec_lo, exec_lo, s30
	v_cmp_lt_u32_e64 s29, v52, v152
	s_and_saveexec_b32 s31, s29
	s_cbranch_execz .LBB502_192
.LBB502_264:                            ;   in Loop: Header=BB502_100 Depth=2
	ds_read_b32 v153, v69 offset:7680
	s_waitcnt lgkmcnt(0)
	v_lshrrev_b32_e32 v3, s61, v153
	v_and_b32_e32 v3, s62, v3
	v_lshlrev_b32_e32 v3, 2, v3
	ds_read_b32 v3, v3
	s_waitcnt lgkmcnt(0)
	v_add_nc_u32_e32 v3, v3, v52
	v_lshlrev_b64 v[39:40], 2, v[3:4]
	v_xor_b32_e32 v3, 0x7fffffff, v153
	v_add_co_u32 v39, s30, s46, v39
	v_add_co_ci_u32_e64 v40, null, s47, v40, s30
	global_store_dword v[39:40], v3, off
	s_or_b32 exec_lo, exec_lo, s31
	v_cmp_lt_u32_e64 s30, v53, v152
	s_and_saveexec_b32 s33, s30
	s_cbranch_execz .LBB502_193
.LBB502_265:                            ;   in Loop: Header=BB502_100 Depth=2
	ds_read_b32 v153, v69 offset:8704
	s_waitcnt lgkmcnt(0)
	v_lshrrev_b32_e32 v3, s61, v153
	v_and_b32_e32 v3, s62, v3
	v_lshlrev_b32_e32 v3, 2, v3
	ds_read_b32 v3, v3
	s_waitcnt lgkmcnt(0)
	v_add_nc_u32_e32 v3, v3, v53
	v_lshlrev_b64 v[39:40], 2, v[3:4]
	v_xor_b32_e32 v3, 0x7fffffff, v153
	v_add_co_u32 v39, s31, s46, v39
	v_add_co_ci_u32_e64 v40, null, s47, v40, s31
	global_store_dword v[39:40], v3, off
	s_or_b32 exec_lo, exec_lo, s33
	v_cmp_lt_u32_e64 s31, v54, v152
	s_and_saveexec_b32 s34, s31
	s_cbranch_execz .LBB502_194
.LBB502_266:                            ;   in Loop: Header=BB502_100 Depth=2
	ds_read_b32 v153, v69 offset:9728
	s_waitcnt lgkmcnt(0)
	v_lshrrev_b32_e32 v3, s61, v153
	v_and_b32_e32 v3, s62, v3
	v_lshlrev_b32_e32 v3, 2, v3
	ds_read_b32 v3, v3
	s_waitcnt lgkmcnt(0)
	v_add_nc_u32_e32 v3, v3, v54
	v_lshlrev_b64 v[39:40], 2, v[3:4]
	v_xor_b32_e32 v3, 0x7fffffff, v153
	v_add_co_u32 v39, s33, s46, v39
	v_add_co_ci_u32_e64 v40, null, s47, v40, s33
	global_store_dword v[39:40], v3, off
	s_or_b32 exec_lo, exec_lo, s34
	v_cmp_lt_u32_e64 s33, v55, v152
	s_and_saveexec_b32 s35, s33
	s_cbranch_execz .LBB502_195
.LBB502_267:                            ;   in Loop: Header=BB502_100 Depth=2
	ds_read_b32 v153, v69 offset:10752
	s_waitcnt lgkmcnt(0)
	v_lshrrev_b32_e32 v3, s61, v153
	v_and_b32_e32 v3, s62, v3
	v_lshlrev_b32_e32 v3, 2, v3
	ds_read_b32 v3, v3
	s_waitcnt lgkmcnt(0)
	v_add_nc_u32_e32 v3, v3, v55
	v_lshlrev_b64 v[39:40], 2, v[3:4]
	v_xor_b32_e32 v3, 0x7fffffff, v153
	v_add_co_u32 v39, s34, s46, v39
	v_add_co_ci_u32_e64 v40, null, s47, v40, s34
	global_store_dword v[39:40], v3, off
	s_or_b32 exec_lo, exec_lo, s35
	v_cmp_lt_u32_e64 s34, v56, v152
	s_and_saveexec_b32 s36, s34
	s_cbranch_execz .LBB502_196
.LBB502_268:                            ;   in Loop: Header=BB502_100 Depth=2
	ds_read_b32 v153, v69 offset:11776
	s_waitcnt lgkmcnt(0)
	v_lshrrev_b32_e32 v3, s61, v153
	v_and_b32_e32 v3, s62, v3
	v_lshlrev_b32_e32 v3, 2, v3
	ds_read_b32 v3, v3
	s_waitcnt lgkmcnt(0)
	v_add_nc_u32_e32 v3, v3, v56
	v_lshlrev_b64 v[39:40], 2, v[3:4]
	v_xor_b32_e32 v3, 0x7fffffff, v153
	v_add_co_u32 v39, s35, s46, v39
	v_add_co_ci_u32_e64 v40, null, s47, v40, s35
	global_store_dword v[39:40], v3, off
	s_or_b32 exec_lo, exec_lo, s36
	v_cmp_lt_u32_e64 s35, v57, v152
	s_and_saveexec_b32 s37, s35
	s_cbranch_execz .LBB502_197
.LBB502_269:                            ;   in Loop: Header=BB502_100 Depth=2
	ds_read_b32 v153, v69 offset:12800
	s_waitcnt lgkmcnt(0)
	v_lshrrev_b32_e32 v3, s61, v153
	v_and_b32_e32 v3, s62, v3
	v_lshlrev_b32_e32 v3, 2, v3
	ds_read_b32 v3, v3
	s_waitcnt lgkmcnt(0)
	v_add_nc_u32_e32 v3, v3, v57
	v_lshlrev_b64 v[39:40], 2, v[3:4]
	v_xor_b32_e32 v3, 0x7fffffff, v153
	v_add_co_u32 v39, s36, s46, v39
	v_add_co_ci_u32_e64 v40, null, s47, v40, s36
	global_store_dword v[39:40], v3, off
	s_or_b32 exec_lo, exec_lo, s37
	v_cmp_lt_u32_e64 s36, v58, v152
	s_and_saveexec_b32 s38, s36
	s_cbranch_execz .LBB502_198
.LBB502_270:                            ;   in Loop: Header=BB502_100 Depth=2
	ds_read_b32 v153, v69 offset:13824
	s_waitcnt lgkmcnt(0)
	v_lshrrev_b32_e32 v3, s61, v153
	v_and_b32_e32 v3, s62, v3
	v_lshlrev_b32_e32 v3, 2, v3
	ds_read_b32 v3, v3
	s_waitcnt lgkmcnt(0)
	v_add_nc_u32_e32 v3, v3, v58
	v_lshlrev_b64 v[39:40], 2, v[3:4]
	v_xor_b32_e32 v3, 0x7fffffff, v153
	v_add_co_u32 v39, s37, s46, v39
	v_add_co_ci_u32_e64 v40, null, s47, v40, s37
	global_store_dword v[39:40], v3, off
	s_or_b32 exec_lo, exec_lo, s38
	v_cmp_lt_u32_e64 s37, v59, v152
	s_and_saveexec_b32 s39, s37
	s_cbranch_execz .LBB502_199
.LBB502_271:                            ;   in Loop: Header=BB502_100 Depth=2
	ds_read_b32 v153, v69 offset:14848
	s_waitcnt lgkmcnt(0)
	v_lshrrev_b32_e32 v3, s61, v153
	v_and_b32_e32 v3, s62, v3
	v_lshlrev_b32_e32 v3, 2, v3
	ds_read_b32 v3, v3
	s_waitcnt lgkmcnt(0)
	v_add_nc_u32_e32 v3, v3, v59
	v_lshlrev_b64 v[39:40], 2, v[3:4]
	v_xor_b32_e32 v3, 0x7fffffff, v153
	v_add_co_u32 v39, s38, s46, v39
	v_add_co_ci_u32_e64 v40, null, s47, v40, s38
	global_store_dword v[39:40], v3, off
	s_or_b32 exec_lo, exec_lo, s39
	v_cmp_lt_u32_e64 s38, v60, v152
	s_and_saveexec_b32 s40, s38
	s_cbranch_execz .LBB502_200
.LBB502_272:                            ;   in Loop: Header=BB502_100 Depth=2
	ds_read_b32 v153, v69 offset:15872
	s_waitcnt lgkmcnt(0)
	v_lshrrev_b32_e32 v3, s61, v153
	v_and_b32_e32 v3, s62, v3
	v_lshlrev_b32_e32 v3, 2, v3
	ds_read_b32 v3, v3
	s_waitcnt lgkmcnt(0)
	v_add_nc_u32_e32 v3, v3, v60
	v_lshlrev_b64 v[39:40], 2, v[3:4]
	v_xor_b32_e32 v3, 0x7fffffff, v153
	v_add_co_u32 v39, s39, s46, v39
	v_add_co_ci_u32_e64 v40, null, s47, v40, s39
	global_store_dword v[39:40], v3, off
	s_or_b32 exec_lo, exec_lo, s40
	v_cmp_lt_u32_e64 s39, v61, v152
	s_and_saveexec_b32 s65, s39
	s_cbranch_execnz .LBB502_201
	s_branch .LBB502_202
.LBB502_273:                            ;   in Loop: Header=BB502_100 Depth=2
	global_load_dwordx2 v[37:38], v[39:40], off
	s_or_b32 exec_lo, exec_lo, s40
	s_mov_b32 s50, exec_lo
	v_cmpx_lt_u32_e64 v112, v152
	s_cbranch_execz .LBB502_204
.LBB502_274:                            ;   in Loop: Header=BB502_100 Depth=2
	global_load_dwordx2 v[35:36], v[39:40], off offset:256
	s_or_b32 exec_lo, exec_lo, s50
	s_mov_b32 s50, exec_lo
	v_cmpx_lt_u32_e64 v113, v152
	s_cbranch_execz .LBB502_205
.LBB502_275:                            ;   in Loop: Header=BB502_100 Depth=2
	global_load_dwordx2 v[33:34], v[39:40], off offset:512
	s_or_b32 exec_lo, exec_lo, s50
	s_mov_b32 s50, exec_lo
	v_cmpx_lt_u32_e64 v114, v152
	s_cbranch_execz .LBB502_206
.LBB502_276:                            ;   in Loop: Header=BB502_100 Depth=2
	global_load_dwordx2 v[31:32], v[39:40], off offset:768
	s_or_b32 exec_lo, exec_lo, s50
	s_mov_b32 s50, exec_lo
	v_cmpx_lt_u32_e64 v115, v152
	s_cbranch_execz .LBB502_207
.LBB502_277:                            ;   in Loop: Header=BB502_100 Depth=2
	global_load_dwordx2 v[29:30], v[39:40], off offset:1024
	s_or_b32 exec_lo, exec_lo, s50
	s_mov_b32 s50, exec_lo
	v_cmpx_lt_u32_e64 v116, v152
	s_cbranch_execz .LBB502_208
.LBB502_278:                            ;   in Loop: Header=BB502_100 Depth=2
	global_load_dwordx2 v[25:26], v[39:40], off offset:1280
	s_or_b32 exec_lo, exec_lo, s50
	s_mov_b32 s50, exec_lo
	v_cmpx_lt_u32_e64 v117, v152
	s_cbranch_execz .LBB502_209
.LBB502_279:                            ;   in Loop: Header=BB502_100 Depth=2
	global_load_dwordx2 v[21:22], v[39:40], off offset:1536
	s_or_b32 exec_lo, exec_lo, s50
	s_mov_b32 s50, exec_lo
	v_cmpx_lt_u32_e64 v118, v152
	s_cbranch_execz .LBB502_210
.LBB502_280:                            ;   in Loop: Header=BB502_100 Depth=2
	global_load_dwordx2 v[17:18], v[39:40], off offset:1792
	s_or_b32 exec_lo, exec_lo, s50
	s_mov_b32 s50, exec_lo
	v_cmpx_lt_u32_e64 v119, v152
	s_cbranch_execz .LBB502_211
.LBB502_281:                            ;   in Loop: Header=BB502_100 Depth=2
	v_add_co_u32 v27, s40, 0x800, v39
	v_add_co_ci_u32_e64 v28, null, 0, v40, s40
	global_load_dwordx2 v[27:28], v[27:28], off
	s_or_b32 exec_lo, exec_lo, s50
	s_mov_b32 s50, exec_lo
	v_cmpx_lt_u32_e64 v120, v152
	s_cbranch_execz .LBB502_212
.LBB502_282:                            ;   in Loop: Header=BB502_100 Depth=2
	v_add_co_u32 v23, s40, 0x800, v39
	v_add_co_ci_u32_e64 v24, null, 0, v40, s40
	global_load_dwordx2 v[23:24], v[23:24], off offset:256
	s_or_b32 exec_lo, exec_lo, s50
	s_mov_b32 s50, exec_lo
	v_cmpx_lt_u32_e64 v121, v152
	s_cbranch_execz .LBB502_213
.LBB502_283:                            ;   in Loop: Header=BB502_100 Depth=2
	v_add_co_u32 v19, s40, 0x800, v39
	v_add_co_ci_u32_e64 v20, null, 0, v40, s40
	global_load_dwordx2 v[19:20], v[19:20], off offset:512
	s_or_b32 exec_lo, exec_lo, s50
	s_mov_b32 s50, exec_lo
	v_cmpx_lt_u32_e64 v122, v152
	s_cbranch_execz .LBB502_214
.LBB502_284:                            ;   in Loop: Header=BB502_100 Depth=2
	v_add_co_u32 v15, s40, 0x800, v39
	v_add_co_ci_u32_e64 v16, null, 0, v40, s40
	global_load_dwordx2 v[15:16], v[15:16], off offset:768
	s_or_b32 exec_lo, exec_lo, s50
	s_mov_b32 s50, exec_lo
	v_cmpx_lt_u32_e64 v123, v152
	s_cbranch_execz .LBB502_215
.LBB502_285:                            ;   in Loop: Header=BB502_100 Depth=2
	v_add_co_u32 v13, s40, 0x800, v39
	v_add_co_ci_u32_e64 v14, null, 0, v40, s40
	global_load_dwordx2 v[13:14], v[13:14], off offset:1024
	s_or_b32 exec_lo, exec_lo, s50
	s_mov_b32 s50, exec_lo
	v_cmpx_lt_u32_e64 v124, v152
	s_cbranch_execz .LBB502_216
.LBB502_286:                            ;   in Loop: Header=BB502_100 Depth=2
	v_add_co_u32 v11, s40, 0x800, v39
	v_add_co_ci_u32_e64 v12, null, 0, v40, s40
	global_load_dwordx2 v[11:12], v[11:12], off offset:1280
	s_or_b32 exec_lo, exec_lo, s50
	s_mov_b32 s50, exec_lo
	v_cmpx_lt_u32_e64 v126, v152
	s_cbranch_execz .LBB502_217
.LBB502_287:                            ;   in Loop: Header=BB502_100 Depth=2
	v_add_co_u32 v9, s40, 0x800, v39
	v_add_co_ci_u32_e64 v10, null, 0, v40, s40
	global_load_dwordx2 v[9:10], v[9:10], off offset:1536
	s_or_b32 exec_lo, exec_lo, s50
	s_mov_b32 s50, exec_lo
	v_cmpx_lt_u32_e64 v127, v152
	s_cbranch_execz .LBB502_218
.LBB502_288:                            ;   in Loop: Header=BB502_100 Depth=2
	v_add_co_u32 v7, s40, 0x800, v39
	v_add_co_ci_u32_e64 v8, null, 0, v40, s40
	global_load_dwordx2 v[7:8], v[7:8], off offset:1792
	s_or_b32 exec_lo, exec_lo, s50
	s_mov_b32 s50, exec_lo
	v_cmpx_lt_u32_e64 v128, v152
	s_cbranch_execz .LBB502_219
.LBB502_289:                            ;   in Loop: Header=BB502_100 Depth=2
	v_add_co_u32 v5, s40, 0x1000, v39
	v_add_co_ci_u32_e64 v6, null, 0, v40, s40
	global_load_dwordx2 v[5:6], v[5:6], off
	s_or_b32 exec_lo, exec_lo, s50
	s_and_saveexec_b32 s40, vcc_lo
	s_cbranch_execz .LBB502_220
.LBB502_290:                            ;   in Loop: Header=BB502_100 Depth=2
	ds_read_b32 v3, v69 offset:512
	s_waitcnt lgkmcnt(0)
	v_lshrrev_b32_e32 v3, s61, v3
	v_and_b32_e32 v150, s62, v3
	s_or_b32 exec_lo, exec_lo, s40
	s_and_saveexec_b32 s40, s22
	s_cbranch_execz .LBB502_221
.LBB502_291:                            ;   in Loop: Header=BB502_100 Depth=2
	ds_read_b32 v3, v69 offset:1536
	s_waitcnt lgkmcnt(0)
	v_lshrrev_b32_e32 v3, s61, v3
	v_and_b32_e32 v149, s62, v3
	s_or_b32 exec_lo, exec_lo, s40
	s_and_saveexec_b32 s40, s23
	s_cbranch_execz .LBB502_222
.LBB502_292:                            ;   in Loop: Header=BB502_100 Depth=2
	ds_read_b32 v3, v69 offset:2560
	s_waitcnt lgkmcnt(0)
	v_lshrrev_b32_e32 v3, s61, v3
	v_and_b32_e32 v147, s62, v3
	s_or_b32 exec_lo, exec_lo, s40
	s_and_saveexec_b32 s40, s24
	s_cbranch_execz .LBB502_223
.LBB502_293:                            ;   in Loop: Header=BB502_100 Depth=2
	ds_read_b32 v3, v69 offset:3584
	s_waitcnt lgkmcnt(0)
	v_lshrrev_b32_e32 v3, s61, v3
	v_and_b32_e32 v146, s62, v3
	s_or_b32 exec_lo, exec_lo, s40
	s_and_saveexec_b32 s40, s25
	s_cbranch_execz .LBB502_224
.LBB502_294:                            ;   in Loop: Header=BB502_100 Depth=2
	ds_read_b32 v3, v69 offset:4608
	s_waitcnt lgkmcnt(0)
	v_lshrrev_b32_e32 v3, s61, v3
	v_and_b32_e32 v145, s62, v3
	s_or_b32 exec_lo, exec_lo, s40
	s_and_saveexec_b32 s40, s26
	s_cbranch_execz .LBB502_225
.LBB502_295:                            ;   in Loop: Header=BB502_100 Depth=2
	ds_read_b32 v3, v69 offset:5632
	s_waitcnt lgkmcnt(0)
	v_lshrrev_b32_e32 v3, s61, v3
	v_and_b32_e32 v144, s62, v3
	s_or_b32 exec_lo, exec_lo, s40
	s_and_saveexec_b32 s40, s27
	s_cbranch_execz .LBB502_226
.LBB502_296:                            ;   in Loop: Header=BB502_100 Depth=2
	ds_read_b32 v3, v69 offset:6656
	s_waitcnt lgkmcnt(0)
	v_lshrrev_b32_e32 v3, s61, v3
	v_and_b32_e32 v143, s62, v3
	s_or_b32 exec_lo, exec_lo, s40
	s_and_saveexec_b32 s40, s29
	s_cbranch_execz .LBB502_227
.LBB502_297:                            ;   in Loop: Header=BB502_100 Depth=2
	ds_read_b32 v3, v69 offset:7680
	s_waitcnt lgkmcnt(0)
	v_lshrrev_b32_e32 v3, s61, v3
	v_and_b32_e32 v142, s62, v3
	s_or_b32 exec_lo, exec_lo, s40
	s_and_saveexec_b32 s40, s30
	s_cbranch_execz .LBB502_228
.LBB502_298:                            ;   in Loop: Header=BB502_100 Depth=2
	ds_read_b32 v3, v69 offset:8704
	s_waitcnt lgkmcnt(0)
	v_lshrrev_b32_e32 v3, s61, v3
	v_and_b32_e32 v141, s62, v3
	s_or_b32 exec_lo, exec_lo, s40
	s_and_saveexec_b32 s40, s31
	s_cbranch_execz .LBB502_229
.LBB502_299:                            ;   in Loop: Header=BB502_100 Depth=2
	ds_read_b32 v3, v69 offset:9728
	s_waitcnt lgkmcnt(0)
	v_lshrrev_b32_e32 v3, s61, v3
	v_and_b32_e32 v140, s62, v3
	s_or_b32 exec_lo, exec_lo, s40
	s_and_saveexec_b32 s40, s33
	s_cbranch_execz .LBB502_230
.LBB502_300:                            ;   in Loop: Header=BB502_100 Depth=2
	ds_read_b32 v3, v69 offset:10752
	s_waitcnt lgkmcnt(0)
	v_lshrrev_b32_e32 v3, s61, v3
	v_and_b32_e32 v139, s62, v3
	s_or_b32 exec_lo, exec_lo, s40
	s_and_saveexec_b32 s40, s34
	s_cbranch_execz .LBB502_231
.LBB502_301:                            ;   in Loop: Header=BB502_100 Depth=2
	ds_read_b32 v3, v69 offset:11776
	s_waitcnt lgkmcnt(0)
	v_lshrrev_b32_e32 v3, s61, v3
	v_and_b32_e32 v138, s62, v3
	s_or_b32 exec_lo, exec_lo, s40
	s_and_saveexec_b32 s40, s35
	s_cbranch_execz .LBB502_232
.LBB502_302:                            ;   in Loop: Header=BB502_100 Depth=2
	ds_read_b32 v3, v69 offset:12800
	s_waitcnt lgkmcnt(0)
	v_lshrrev_b32_e32 v3, s61, v3
	v_and_b32_e32 v137, s62, v3
	s_or_b32 exec_lo, exec_lo, s40
	s_and_saveexec_b32 s40, s36
	s_cbranch_execz .LBB502_233
.LBB502_303:                            ;   in Loop: Header=BB502_100 Depth=2
	ds_read_b32 v3, v69 offset:13824
	s_waitcnt lgkmcnt(0)
	v_lshrrev_b32_e32 v3, s61, v3
	v_and_b32_e32 v136, s62, v3
	s_or_b32 exec_lo, exec_lo, s40
	s_and_saveexec_b32 s40, s37
	s_cbranch_execz .LBB502_234
.LBB502_304:                            ;   in Loop: Header=BB502_100 Depth=2
	ds_read_b32 v3, v69 offset:14848
	s_waitcnt lgkmcnt(0)
	v_lshrrev_b32_e32 v3, s61, v3
	v_and_b32_e32 v135, s62, v3
	s_or_b32 exec_lo, exec_lo, s40
	s_and_saveexec_b32 s40, s38
	s_cbranch_execz .LBB502_235
.LBB502_305:                            ;   in Loop: Header=BB502_100 Depth=2
	ds_read_b32 v3, v69 offset:15872
	s_waitcnt lgkmcnt(0)
	v_lshrrev_b32_e32 v3, s61, v3
	v_and_b32_e32 v134, s62, v3
	s_or_b32 exec_lo, exec_lo, s40
	s_and_saveexec_b32 s40, s39
	s_cbranch_execnz .LBB502_236
	s_branch .LBB502_237
.LBB502_306:                            ;   in Loop: Header=BB502_100 Depth=2
	v_lshlrev_b32_e32 v3, 2, v150
	v_add_nc_u32_e32 v39, v69, v43
	ds_read_b32 v3, v3
	ds_read_b64 v[39:40], v39 offset:512
	s_waitcnt lgkmcnt(1)
	v_add_nc_u32_e32 v3, v3, v0
	v_lshlrev_b64 v[41:42], 3, v[3:4]
	v_add_co_u32 v41, vcc_lo, s52, v41
	v_add_co_ci_u32_e64 v42, null, s53, v42, vcc_lo
	s_waitcnt lgkmcnt(0)
	global_store_dwordx2 v[41:42], v[39:40], off
	s_or_b32 exec_lo, exec_lo, s40
	s_and_saveexec_b32 s40, s22
	s_cbranch_execz .LBB502_239
.LBB502_307:                            ;   in Loop: Header=BB502_100 Depth=2
	v_lshlrev_b32_e32 v3, 2, v149
	v_add_nc_u32_e32 v39, v69, v43
	ds_read_b32 v3, v3
	ds_read_b64 v[39:40], v39 offset:2560
	s_waitcnt lgkmcnt(1)
	v_add_nc_u32_e32 v3, v3, v44
	v_lshlrev_b64 v[41:42], 3, v[3:4]
	v_add_co_u32 v41, vcc_lo, s52, v41
	v_add_co_ci_u32_e64 v42, null, s53, v42, vcc_lo
	s_waitcnt lgkmcnt(0)
	global_store_dwordx2 v[41:42], v[39:40], off
	s_or_b32 exec_lo, exec_lo, s40
	s_and_saveexec_b32 s22, s23
	s_cbranch_execz .LBB502_240
.LBB502_308:                            ;   in Loop: Header=BB502_100 Depth=2
	v_lshlrev_b32_e32 v3, 2, v147
	v_add_nc_u32_e32 v39, v69, v43
	ds_read_b32 v3, v3
	ds_read_b64 v[39:40], v39 offset:4608
	s_waitcnt lgkmcnt(1)
	v_add_nc_u32_e32 v3, v3, v47
	v_lshlrev_b64 v[41:42], 3, v[3:4]
	v_add_co_u32 v41, vcc_lo, s52, v41
	v_add_co_ci_u32_e64 v42, null, s53, v42, vcc_lo
	s_waitcnt lgkmcnt(0)
	global_store_dwordx2 v[41:42], v[39:40], off
	s_or_b32 exec_lo, exec_lo, s22
	s_and_saveexec_b32 s22, s24
	s_cbranch_execz .LBB502_241
.LBB502_309:                            ;   in Loop: Header=BB502_100 Depth=2
	v_lshlrev_b32_e32 v3, 2, v146
	v_add_nc_u32_e32 v39, v69, v43
	ds_read_b32 v3, v3
	ds_read_b64 v[39:40], v39 offset:6656
	s_waitcnt lgkmcnt(1)
	v_add_nc_u32_e32 v3, v3, v48
	v_lshlrev_b64 v[41:42], 3, v[3:4]
	v_add_co_u32 v41, vcc_lo, s52, v41
	v_add_co_ci_u32_e64 v42, null, s53, v42, vcc_lo
	s_waitcnt lgkmcnt(0)
	global_store_dwordx2 v[41:42], v[39:40], off
	s_or_b32 exec_lo, exec_lo, s22
	s_and_saveexec_b32 s22, s25
	s_cbranch_execz .LBB502_242
.LBB502_310:                            ;   in Loop: Header=BB502_100 Depth=2
	v_lshlrev_b32_e32 v3, 2, v145
	v_add_nc_u32_e32 v39, v69, v43
	ds_read_b32 v3, v3
	ds_read_b64 v[39:40], v39 offset:8704
	s_waitcnt lgkmcnt(1)
	v_add_nc_u32_e32 v3, v3, v49
	v_lshlrev_b64 v[41:42], 3, v[3:4]
	v_add_co_u32 v41, vcc_lo, s52, v41
	v_add_co_ci_u32_e64 v42, null, s53, v42, vcc_lo
	s_waitcnt lgkmcnt(0)
	global_store_dwordx2 v[41:42], v[39:40], off
	s_or_b32 exec_lo, exec_lo, s22
	s_and_saveexec_b32 s22, s26
	s_cbranch_execz .LBB502_243
.LBB502_311:                            ;   in Loop: Header=BB502_100 Depth=2
	v_lshlrev_b32_e32 v3, 2, v144
	v_add_nc_u32_e32 v39, v69, v43
	ds_read_b32 v3, v3
	ds_read_b64 v[39:40], v39 offset:10752
	s_waitcnt lgkmcnt(1)
	v_add_nc_u32_e32 v3, v3, v50
	v_lshlrev_b64 v[41:42], 3, v[3:4]
	v_add_co_u32 v41, vcc_lo, s52, v41
	v_add_co_ci_u32_e64 v42, null, s53, v42, vcc_lo
	s_waitcnt lgkmcnt(0)
	global_store_dwordx2 v[41:42], v[39:40], off
	s_or_b32 exec_lo, exec_lo, s22
	s_and_saveexec_b32 s22, s27
	s_cbranch_execz .LBB502_244
.LBB502_312:                            ;   in Loop: Header=BB502_100 Depth=2
	v_lshlrev_b32_e32 v3, 2, v143
	v_add_nc_u32_e32 v39, v69, v43
	ds_read_b32 v3, v3
	ds_read_b64 v[39:40], v39 offset:12800
	s_waitcnt lgkmcnt(1)
	v_add_nc_u32_e32 v3, v3, v51
	v_lshlrev_b64 v[41:42], 3, v[3:4]
	v_add_co_u32 v41, vcc_lo, s52, v41
	v_add_co_ci_u32_e64 v42, null, s53, v42, vcc_lo
	s_waitcnt lgkmcnt(0)
	global_store_dwordx2 v[41:42], v[39:40], off
	s_or_b32 exec_lo, exec_lo, s22
	s_and_saveexec_b32 s22, s29
	s_cbranch_execz .LBB502_245
.LBB502_313:                            ;   in Loop: Header=BB502_100 Depth=2
	v_lshlrev_b32_e32 v3, 2, v142
	v_add_nc_u32_e32 v39, v69, v43
	ds_read_b32 v3, v3
	ds_read_b64 v[39:40], v39 offset:14848
	s_waitcnt lgkmcnt(1)
	v_add_nc_u32_e32 v3, v3, v52
	v_lshlrev_b64 v[41:42], 3, v[3:4]
	v_add_co_u32 v41, vcc_lo, s52, v41
	v_add_co_ci_u32_e64 v42, null, s53, v42, vcc_lo
	s_waitcnt lgkmcnt(0)
	global_store_dwordx2 v[41:42], v[39:40], off
	s_or_b32 exec_lo, exec_lo, s22
	s_and_saveexec_b32 s22, s30
	s_cbranch_execz .LBB502_246
.LBB502_314:                            ;   in Loop: Header=BB502_100 Depth=2
	v_lshlrev_b32_e32 v3, 2, v141
	v_add_nc_u32_e32 v39, v69, v43
	ds_read_b32 v3, v3
	ds_read_b64 v[39:40], v39 offset:16896
	s_waitcnt lgkmcnt(1)
	v_add_nc_u32_e32 v3, v3, v53
	v_lshlrev_b64 v[41:42], 3, v[3:4]
	v_add_co_u32 v41, vcc_lo, s52, v41
	v_add_co_ci_u32_e64 v42, null, s53, v42, vcc_lo
	s_waitcnt lgkmcnt(0)
	global_store_dwordx2 v[41:42], v[39:40], off
	s_or_b32 exec_lo, exec_lo, s22
	s_and_saveexec_b32 s22, s31
	s_cbranch_execz .LBB502_247
.LBB502_315:                            ;   in Loop: Header=BB502_100 Depth=2
	v_lshlrev_b32_e32 v3, 2, v140
	v_add_nc_u32_e32 v39, v69, v43
	ds_read_b32 v3, v3
	ds_read_b64 v[39:40], v39 offset:18944
	s_waitcnt lgkmcnt(1)
	v_add_nc_u32_e32 v3, v3, v54
	v_lshlrev_b64 v[41:42], 3, v[3:4]
	v_add_co_u32 v41, vcc_lo, s52, v41
	v_add_co_ci_u32_e64 v42, null, s53, v42, vcc_lo
	s_waitcnt lgkmcnt(0)
	global_store_dwordx2 v[41:42], v[39:40], off
	s_or_b32 exec_lo, exec_lo, s22
	s_and_saveexec_b32 s22, s33
	s_cbranch_execz .LBB502_248
.LBB502_316:                            ;   in Loop: Header=BB502_100 Depth=2
	v_lshlrev_b32_e32 v3, 2, v139
	v_add_nc_u32_e32 v39, v69, v43
	ds_read_b32 v3, v3
	ds_read_b64 v[39:40], v39 offset:20992
	s_waitcnt lgkmcnt(1)
	v_add_nc_u32_e32 v3, v3, v55
	v_lshlrev_b64 v[41:42], 3, v[3:4]
	v_add_co_u32 v41, vcc_lo, s52, v41
	v_add_co_ci_u32_e64 v42, null, s53, v42, vcc_lo
	s_waitcnt lgkmcnt(0)
	global_store_dwordx2 v[41:42], v[39:40], off
	s_or_b32 exec_lo, exec_lo, s22
	s_and_saveexec_b32 s22, s34
	s_cbranch_execz .LBB502_249
.LBB502_317:                            ;   in Loop: Header=BB502_100 Depth=2
	v_lshlrev_b32_e32 v3, 2, v138
	v_add_nc_u32_e32 v39, v69, v43
	ds_read_b32 v3, v3
	ds_read_b64 v[39:40], v39 offset:23040
	s_waitcnt lgkmcnt(1)
	v_add_nc_u32_e32 v3, v3, v56
	v_lshlrev_b64 v[41:42], 3, v[3:4]
	v_add_co_u32 v41, vcc_lo, s52, v41
	v_add_co_ci_u32_e64 v42, null, s53, v42, vcc_lo
	s_waitcnt lgkmcnt(0)
	global_store_dwordx2 v[41:42], v[39:40], off
	s_or_b32 exec_lo, exec_lo, s22
	s_and_saveexec_b32 s22, s35
	s_cbranch_execz .LBB502_250
.LBB502_318:                            ;   in Loop: Header=BB502_100 Depth=2
	v_lshlrev_b32_e32 v3, 2, v137
	v_add_nc_u32_e32 v39, v69, v43
	ds_read_b32 v3, v3
	ds_read_b64 v[39:40], v39 offset:25088
	s_waitcnt lgkmcnt(1)
	v_add_nc_u32_e32 v3, v3, v57
	v_lshlrev_b64 v[41:42], 3, v[3:4]
	v_add_co_u32 v41, vcc_lo, s52, v41
	v_add_co_ci_u32_e64 v42, null, s53, v42, vcc_lo
	s_waitcnt lgkmcnt(0)
	global_store_dwordx2 v[41:42], v[39:40], off
	s_or_b32 exec_lo, exec_lo, s22
	s_and_saveexec_b32 s22, s36
	s_cbranch_execz .LBB502_251
.LBB502_319:                            ;   in Loop: Header=BB502_100 Depth=2
	v_lshlrev_b32_e32 v3, 2, v136
	v_add_nc_u32_e32 v39, v69, v43
	ds_read_b32 v3, v3
	ds_read_b64 v[39:40], v39 offset:27136
	s_waitcnt lgkmcnt(1)
	v_add_nc_u32_e32 v3, v3, v58
	v_lshlrev_b64 v[41:42], 3, v[3:4]
	v_add_co_u32 v41, vcc_lo, s52, v41
	v_add_co_ci_u32_e64 v42, null, s53, v42, vcc_lo
	s_waitcnt lgkmcnt(0)
	global_store_dwordx2 v[41:42], v[39:40], off
	s_or_b32 exec_lo, exec_lo, s22
	s_and_saveexec_b32 s22, s37
	s_cbranch_execz .LBB502_252
.LBB502_320:                            ;   in Loop: Header=BB502_100 Depth=2
	v_lshlrev_b32_e32 v3, 2, v135
	v_add_nc_u32_e32 v39, v69, v43
	ds_read_b32 v3, v3
	ds_read_b64 v[39:40], v39 offset:29184
	s_waitcnt lgkmcnt(1)
	v_add_nc_u32_e32 v3, v3, v59
	v_lshlrev_b64 v[41:42], 3, v[3:4]
	v_add_co_u32 v41, vcc_lo, s52, v41
	v_add_co_ci_u32_e64 v42, null, s53, v42, vcc_lo
	s_waitcnt lgkmcnt(0)
	global_store_dwordx2 v[41:42], v[39:40], off
	s_or_b32 exec_lo, exec_lo, s22
	s_and_saveexec_b32 s22, s38
	s_cbranch_execz .LBB502_253
.LBB502_321:                            ;   in Loop: Header=BB502_100 Depth=2
	v_lshlrev_b32_e32 v3, 2, v134
	v_add_nc_u32_e32 v39, v69, v43
	ds_read_b32 v3, v3
	ds_read_b64 v[39:40], v39 offset:31232
	s_waitcnt lgkmcnt(1)
	v_add_nc_u32_e32 v3, v3, v60
	v_lshlrev_b64 v[41:42], 3, v[3:4]
	v_add_co_u32 v41, vcc_lo, s52, v41
	v_add_co_ci_u32_e64 v42, null, s53, v42, vcc_lo
	s_waitcnt lgkmcnt(0)
	global_store_dwordx2 v[41:42], v[39:40], off
	s_or_b32 exec_lo, exec_lo, s22
	s_and_saveexec_b32 s22, s39
	s_cbranch_execnz .LBB502_254
	s_branch .LBB502_255
.LBB502_322:                            ;   in Loop: Header=BB502_12 Depth=1
	s_waitcnt lgkmcnt(0)
	s_mov_b32 s5, 0
	s_barrier
.LBB502_323:                            ;   in Loop: Header=BB502_12 Depth=1
	s_and_b32 vcc_lo, exec_lo, s5
	s_cbranch_vccz .LBB502_633
; %bb.324:                              ;   in Loop: Header=BB502_12 Depth=1
	s_mov_b32 s5, s60
	s_mov_b32 s50, s58
	s_barrier
	buffer_gl0_inv
                                        ; implicit-def: $vgpr3
                                        ; implicit-def: $vgpr5
                                        ; implicit-def: $vgpr6
                                        ; implicit-def: $vgpr7
                                        ; implicit-def: $vgpr8
                                        ; implicit-def: $vgpr9
                                        ; implicit-def: $vgpr10
                                        ; implicit-def: $vgpr11
                                        ; implicit-def: $vgpr12
                                        ; implicit-def: $vgpr13
                                        ; implicit-def: $vgpr14
                                        ; implicit-def: $vgpr15
                                        ; implicit-def: $vgpr16
                                        ; implicit-def: $vgpr17
                                        ; implicit-def: $vgpr18
                                        ; implicit-def: $vgpr19
                                        ; implicit-def: $vgpr20
	s_branch .LBB502_326
.LBB502_325:                            ;   in Loop: Header=BB502_326 Depth=2
	s_or_b32 exec_lo, exec_lo, s16
	s_addk_i32 s5, 0xef00
	s_cmp_ge_u32 s15, s59
	s_mov_b32 s50, s15
	s_cbranch_scc1 .LBB502_398
.LBB502_326:                            ;   Parent Loop BB502_12 Depth=1
                                        ; =>  This Inner Loop Header: Depth=2
	s_add_i32 s15, s50, 0x1100
	s_mov_b32 s16, -1
	s_cmp_gt_u32 s15, s59
                                        ; implicit-def: $vgpr21
                                        ; implicit-def: $vgpr22
                                        ; implicit-def: $vgpr25
                                        ; implicit-def: $vgpr23
                                        ; implicit-def: $vgpr27
                                        ; implicit-def: $vgpr24
                                        ; implicit-def: $vgpr29
                                        ; implicit-def: $vgpr26
                                        ; implicit-def: $vgpr31
                                        ; implicit-def: $vgpr28
                                        ; implicit-def: $vgpr33
                                        ; implicit-def: $vgpr30
                                        ; implicit-def: $vgpr34
                                        ; implicit-def: $vgpr32
                                        ; implicit-def: $vgpr35
                                        ; implicit-def: $vgpr36
                                        ; implicit-def: $vgpr37
	s_cbranch_scc1 .LBB502_328
; %bb.327:                              ;   in Loop: Header=BB502_326 Depth=2
	s_lshl_b64 s[16:17], s[50:51], 2
	v_add_co_u32 v33, vcc_lo, v72, s16
	v_add_co_ci_u32_e64 v34, null, s17, v73, vcc_lo
	s_mov_b32 s16, 0
	v_add_co_u32 v23, vcc_lo, 0x800, v33
	v_add_co_ci_u32_e64 v24, null, 0, v34, vcc_lo
	v_add_co_u32 v35, vcc_lo, v33, 0x1000
	v_add_co_ci_u32_e64 v36, null, 0, v34, vcc_lo
	;; [unrolled: 2-line block ×9, first 2 shown]
	s_clause 0x7
	global_load_dword v21, v[33:34], off
	global_load_dword v22, v[33:34], off offset:1024
	global_load_dword v23, v[23:24], off offset:1024
	;; [unrolled: 1-line block ×7, first 2 shown]
	v_add_co_u32 v41, vcc_lo, 0x3800, v33
	v_add_co_ci_u32_e64 v42, null, 0, v34, vcc_lo
	v_add_co_u32 v131, vcc_lo, v33, 0x4000
	v_add_co_ci_u32_e64 v132, null, 0, v34, vcc_lo
	s_clause 0x8
	global_load_dword v25, v[35:36], off offset:-2048
	global_load_dword v27, v[35:36], off
	global_load_dword v29, v[37:38], off offset:-2048
	global_load_dword v31, v[37:38], off
	;; [unrolled: 2-line block ×3, first 2 shown]
	global_load_dword v35, v[131:132], off offset:-2048
	global_load_dword v36, v[41:42], off offset:1024
	global_load_dword v37, v[131:132], off
.LBB502_328:                            ;   in Loop: Header=BB502_326 Depth=2
	s_andn2_b32 vcc_lo, exec_lo, s16
	s_movk_i32 s16, 0x1100
	s_cbranch_vccnz .LBB502_348
; %bb.329:                              ;   in Loop: Header=BB502_326 Depth=2
	s_lshl_b64 s[16:17], s[50:51], 2
	s_mov_b32 s18, exec_lo
	s_add_u32 s16, s46, s16
	s_addc_u32 s17, s47, s17
	v_cmpx_gt_u32_e64 s5, v0
	s_cbranch_execnz .LBB502_382
; %bb.330:                              ;   in Loop: Header=BB502_326 Depth=2
	s_or_b32 exec_lo, exec_lo, s18
	s_mov_b32 s18, exec_lo
	v_cmpx_gt_u32_e64 s5, v44
	s_cbranch_execnz .LBB502_383
.LBB502_331:                            ;   in Loop: Header=BB502_326 Depth=2
	s_or_b32 exec_lo, exec_lo, s18
	s_mov_b32 s18, exec_lo
	v_cmpx_gt_u32_e64 s5, v47
	s_cbranch_execnz .LBB502_384
.LBB502_332:                            ;   in Loop: Header=BB502_326 Depth=2
	s_or_b32 exec_lo, exec_lo, s18
	s_mov_b32 s18, exec_lo
	v_cmpx_gt_u32_e64 s5, v48
	s_cbranch_execnz .LBB502_385
.LBB502_333:                            ;   in Loop: Header=BB502_326 Depth=2
	s_or_b32 exec_lo, exec_lo, s18
	s_mov_b32 s18, exec_lo
	v_cmpx_gt_u32_e64 s5, v49
	s_cbranch_execnz .LBB502_386
.LBB502_334:                            ;   in Loop: Header=BB502_326 Depth=2
	s_or_b32 exec_lo, exec_lo, s18
	s_mov_b32 s18, exec_lo
	v_cmpx_gt_u32_e64 s5, v50
	s_cbranch_execnz .LBB502_387
.LBB502_335:                            ;   in Loop: Header=BB502_326 Depth=2
	s_or_b32 exec_lo, exec_lo, s18
	s_mov_b32 s18, exec_lo
	v_cmpx_gt_u32_e64 s5, v51
	s_cbranch_execnz .LBB502_388
.LBB502_336:                            ;   in Loop: Header=BB502_326 Depth=2
	s_or_b32 exec_lo, exec_lo, s18
	s_mov_b32 s18, exec_lo
	v_cmpx_gt_u32_e64 s5, v52
	s_cbranch_execnz .LBB502_389
.LBB502_337:                            ;   in Loop: Header=BB502_326 Depth=2
	s_or_b32 exec_lo, exec_lo, s18
	s_mov_b32 s18, exec_lo
	v_cmpx_gt_u32_e64 s5, v53
	s_cbranch_execnz .LBB502_390
.LBB502_338:                            ;   in Loop: Header=BB502_326 Depth=2
	s_or_b32 exec_lo, exec_lo, s18
	s_mov_b32 s18, exec_lo
	v_cmpx_gt_u32_e64 s5, v54
	s_cbranch_execnz .LBB502_391
.LBB502_339:                            ;   in Loop: Header=BB502_326 Depth=2
	s_or_b32 exec_lo, exec_lo, s18
	s_mov_b32 s18, exec_lo
	v_cmpx_gt_u32_e64 s5, v55
	s_cbranch_execnz .LBB502_392
.LBB502_340:                            ;   in Loop: Header=BB502_326 Depth=2
	s_or_b32 exec_lo, exec_lo, s18
	s_mov_b32 s18, exec_lo
	v_cmpx_gt_u32_e64 s5, v56
	s_cbranch_execnz .LBB502_393
.LBB502_341:                            ;   in Loop: Header=BB502_326 Depth=2
	s_or_b32 exec_lo, exec_lo, s18
	s_mov_b32 s18, exec_lo
	v_cmpx_gt_u32_e64 s5, v57
	s_cbranch_execnz .LBB502_394
.LBB502_342:                            ;   in Loop: Header=BB502_326 Depth=2
	s_or_b32 exec_lo, exec_lo, s18
	s_mov_b32 s18, exec_lo
	v_cmpx_gt_u32_e64 s5, v58
	s_cbranch_execnz .LBB502_395
.LBB502_343:                            ;   in Loop: Header=BB502_326 Depth=2
	s_or_b32 exec_lo, exec_lo, s18
	s_mov_b32 s18, exec_lo
	v_cmpx_gt_u32_e64 s5, v59
	s_cbranch_execnz .LBB502_396
.LBB502_344:                            ;   in Loop: Header=BB502_326 Depth=2
	s_or_b32 exec_lo, exec_lo, s18
	s_mov_b32 s18, exec_lo
	v_cmpx_gt_u32_e64 s5, v60
	s_cbranch_execnz .LBB502_397
.LBB502_345:                            ;   in Loop: Header=BB502_326 Depth=2
	s_or_b32 exec_lo, exec_lo, s18
	s_mov_b32 s18, exec_lo
	v_cmpx_gt_u32_e64 s5, v61
	s_cbranch_execz .LBB502_347
.LBB502_346:                            ;   in Loop: Header=BB502_326 Depth=2
	global_load_dword v3, v107, s[16:17]
.LBB502_347:                            ;   in Loop: Header=BB502_326 Depth=2
	s_or_b32 exec_lo, exec_lo, s18
	s_waitcnt vmcnt(0)
	v_mov_b32_e32 v21, v20
	v_mov_b32_e32 v22, v19
	;; [unrolled: 1-line block ×17, first 2 shown]
	s_mov_b32 s16, s5
.LBB502_348:                            ;   in Loop: Header=BB502_326 Depth=2
	s_waitcnt vmcnt(0)
	v_mov_b32_e32 v3, v37
	v_mov_b32_e32 v5, v36
	;; [unrolled: 1-line block ×17, first 2 shown]
	s_mov_b32 s17, exec_lo
	v_cmpx_gt_u32_e64 s16, v0
	s_cbranch_execnz .LBB502_365
; %bb.349:                              ;   in Loop: Header=BB502_326 Depth=2
	s_or_b32 exec_lo, exec_lo, s17
	s_mov_b32 s17, exec_lo
	v_cmpx_gt_u32_e64 s16, v44
	s_cbranch_execnz .LBB502_366
.LBB502_350:                            ;   in Loop: Header=BB502_326 Depth=2
	s_or_b32 exec_lo, exec_lo, s17
	s_mov_b32 s17, exec_lo
	v_cmpx_gt_u32_e64 s16, v47
	s_cbranch_execnz .LBB502_367
.LBB502_351:                            ;   in Loop: Header=BB502_326 Depth=2
	s_or_b32 exec_lo, exec_lo, s17
	s_mov_b32 s17, exec_lo
	v_cmpx_gt_u32_e64 s16, v48
	s_cbranch_execnz .LBB502_368
.LBB502_352:                            ;   in Loop: Header=BB502_326 Depth=2
	s_or_b32 exec_lo, exec_lo, s17
	s_mov_b32 s17, exec_lo
	v_cmpx_gt_u32_e64 s16, v49
	s_cbranch_execnz .LBB502_369
.LBB502_353:                            ;   in Loop: Header=BB502_326 Depth=2
	s_or_b32 exec_lo, exec_lo, s17
	s_mov_b32 s17, exec_lo
	v_cmpx_gt_u32_e64 s16, v50
	s_cbranch_execnz .LBB502_370
.LBB502_354:                            ;   in Loop: Header=BB502_326 Depth=2
	s_or_b32 exec_lo, exec_lo, s17
	s_mov_b32 s17, exec_lo
	v_cmpx_gt_u32_e64 s16, v51
	s_cbranch_execnz .LBB502_371
.LBB502_355:                            ;   in Loop: Header=BB502_326 Depth=2
	s_or_b32 exec_lo, exec_lo, s17
	s_mov_b32 s17, exec_lo
	v_cmpx_gt_u32_e64 s16, v52
	s_cbranch_execnz .LBB502_372
.LBB502_356:                            ;   in Loop: Header=BB502_326 Depth=2
	s_or_b32 exec_lo, exec_lo, s17
	s_mov_b32 s17, exec_lo
	v_cmpx_gt_u32_e64 s16, v53
	s_cbranch_execnz .LBB502_373
.LBB502_357:                            ;   in Loop: Header=BB502_326 Depth=2
	s_or_b32 exec_lo, exec_lo, s17
	s_mov_b32 s17, exec_lo
	v_cmpx_gt_u32_e64 s16, v54
	s_cbranch_execnz .LBB502_374
.LBB502_358:                            ;   in Loop: Header=BB502_326 Depth=2
	s_or_b32 exec_lo, exec_lo, s17
	s_mov_b32 s17, exec_lo
	v_cmpx_gt_u32_e64 s16, v55
	s_cbranch_execnz .LBB502_375
.LBB502_359:                            ;   in Loop: Header=BB502_326 Depth=2
	s_or_b32 exec_lo, exec_lo, s17
	s_mov_b32 s17, exec_lo
	v_cmpx_gt_u32_e64 s16, v56
	s_cbranch_execnz .LBB502_376
.LBB502_360:                            ;   in Loop: Header=BB502_326 Depth=2
	s_or_b32 exec_lo, exec_lo, s17
	s_mov_b32 s17, exec_lo
	v_cmpx_gt_u32_e64 s16, v57
	s_cbranch_execnz .LBB502_377
.LBB502_361:                            ;   in Loop: Header=BB502_326 Depth=2
	s_or_b32 exec_lo, exec_lo, s17
	s_mov_b32 s17, exec_lo
	v_cmpx_gt_u32_e64 s16, v58
	s_cbranch_execnz .LBB502_378
.LBB502_362:                            ;   in Loop: Header=BB502_326 Depth=2
	s_or_b32 exec_lo, exec_lo, s17
	s_mov_b32 s17, exec_lo
	v_cmpx_gt_u32_e64 s16, v59
	s_cbranch_execnz .LBB502_379
.LBB502_363:                            ;   in Loop: Header=BB502_326 Depth=2
	s_or_b32 exec_lo, exec_lo, s17
	s_mov_b32 s17, exec_lo
	v_cmpx_gt_u32_e64 s16, v60
	s_cbranch_execnz .LBB502_380
.LBB502_364:                            ;   in Loop: Header=BB502_326 Depth=2
	s_or_b32 exec_lo, exec_lo, s17
	v_cmp_gt_u32_e32 vcc_lo, s16, v61
	s_and_saveexec_b32 s16, vcc_lo
	s_cbranch_execz .LBB502_325
	s_branch .LBB502_381
.LBB502_365:                            ;   in Loop: Header=BB502_326 Depth=2
	v_xor_b32_e32 v21, 0x7fffffff, v20
	v_lshrrev_b32_e32 v21, s61, v21
	v_and_b32_e32 v21, s62, v21
	v_lshl_or_b32 v21, v21, 4, v63
	ds_add_u32 v21, v85
	s_or_b32 exec_lo, exec_lo, s17
	s_mov_b32 s17, exec_lo
	v_cmpx_gt_u32_e64 s16, v44
	s_cbranch_execz .LBB502_350
.LBB502_366:                            ;   in Loop: Header=BB502_326 Depth=2
	v_xor_b32_e32 v21, 0x7fffffff, v19
	v_lshrrev_b32_e32 v21, s61, v21
	v_and_b32_e32 v21, s62, v21
	v_lshl_or_b32 v21, v21, 4, v63
	ds_add_u32 v21, v85
	s_or_b32 exec_lo, exec_lo, s17
	s_mov_b32 s17, exec_lo
	v_cmpx_gt_u32_e64 s16, v47
	s_cbranch_execz .LBB502_351
.LBB502_367:                            ;   in Loop: Header=BB502_326 Depth=2
	v_xor_b32_e32 v21, 0x7fffffff, v18
	v_lshrrev_b32_e32 v21, s61, v21
	v_and_b32_e32 v21, s62, v21
	v_lshl_or_b32 v21, v21, 4, v63
	ds_add_u32 v21, v85
	s_or_b32 exec_lo, exec_lo, s17
	s_mov_b32 s17, exec_lo
	v_cmpx_gt_u32_e64 s16, v48
	s_cbranch_execz .LBB502_352
.LBB502_368:                            ;   in Loop: Header=BB502_326 Depth=2
	v_xor_b32_e32 v21, 0x7fffffff, v17
	v_lshrrev_b32_e32 v21, s61, v21
	v_and_b32_e32 v21, s62, v21
	v_lshl_or_b32 v21, v21, 4, v63
	ds_add_u32 v21, v85
	s_or_b32 exec_lo, exec_lo, s17
	s_mov_b32 s17, exec_lo
	v_cmpx_gt_u32_e64 s16, v49
	s_cbranch_execz .LBB502_353
.LBB502_369:                            ;   in Loop: Header=BB502_326 Depth=2
	v_xor_b32_e32 v21, 0x7fffffff, v16
	v_lshrrev_b32_e32 v21, s61, v21
	v_and_b32_e32 v21, s62, v21
	v_lshl_or_b32 v21, v21, 4, v63
	ds_add_u32 v21, v85
	s_or_b32 exec_lo, exec_lo, s17
	s_mov_b32 s17, exec_lo
	v_cmpx_gt_u32_e64 s16, v50
	s_cbranch_execz .LBB502_354
.LBB502_370:                            ;   in Loop: Header=BB502_326 Depth=2
	v_xor_b32_e32 v21, 0x7fffffff, v15
	v_lshrrev_b32_e32 v21, s61, v21
	v_and_b32_e32 v21, s62, v21
	v_lshl_or_b32 v21, v21, 4, v63
	ds_add_u32 v21, v85
	s_or_b32 exec_lo, exec_lo, s17
	s_mov_b32 s17, exec_lo
	v_cmpx_gt_u32_e64 s16, v51
	s_cbranch_execz .LBB502_355
.LBB502_371:                            ;   in Loop: Header=BB502_326 Depth=2
	v_xor_b32_e32 v21, 0x7fffffff, v14
	v_lshrrev_b32_e32 v21, s61, v21
	v_and_b32_e32 v21, s62, v21
	v_lshl_or_b32 v21, v21, 4, v63
	ds_add_u32 v21, v85
	s_or_b32 exec_lo, exec_lo, s17
	s_mov_b32 s17, exec_lo
	v_cmpx_gt_u32_e64 s16, v52
	s_cbranch_execz .LBB502_356
.LBB502_372:                            ;   in Loop: Header=BB502_326 Depth=2
	v_xor_b32_e32 v21, 0x7fffffff, v13
	v_lshrrev_b32_e32 v21, s61, v21
	v_and_b32_e32 v21, s62, v21
	v_lshl_or_b32 v21, v21, 4, v63
	ds_add_u32 v21, v85
	s_or_b32 exec_lo, exec_lo, s17
	s_mov_b32 s17, exec_lo
	v_cmpx_gt_u32_e64 s16, v53
	s_cbranch_execz .LBB502_357
.LBB502_373:                            ;   in Loop: Header=BB502_326 Depth=2
	v_xor_b32_e32 v21, 0x7fffffff, v12
	v_lshrrev_b32_e32 v21, s61, v21
	v_and_b32_e32 v21, s62, v21
	v_lshl_or_b32 v21, v21, 4, v63
	ds_add_u32 v21, v85
	s_or_b32 exec_lo, exec_lo, s17
	s_mov_b32 s17, exec_lo
	v_cmpx_gt_u32_e64 s16, v54
	s_cbranch_execz .LBB502_358
.LBB502_374:                            ;   in Loop: Header=BB502_326 Depth=2
	v_xor_b32_e32 v21, 0x7fffffff, v11
	v_lshrrev_b32_e32 v21, s61, v21
	v_and_b32_e32 v21, s62, v21
	v_lshl_or_b32 v21, v21, 4, v63
	ds_add_u32 v21, v85
	s_or_b32 exec_lo, exec_lo, s17
	s_mov_b32 s17, exec_lo
	v_cmpx_gt_u32_e64 s16, v55
	s_cbranch_execz .LBB502_359
.LBB502_375:                            ;   in Loop: Header=BB502_326 Depth=2
	v_xor_b32_e32 v21, 0x7fffffff, v10
	v_lshrrev_b32_e32 v21, s61, v21
	v_and_b32_e32 v21, s62, v21
	v_lshl_or_b32 v21, v21, 4, v63
	ds_add_u32 v21, v85
	s_or_b32 exec_lo, exec_lo, s17
	s_mov_b32 s17, exec_lo
	v_cmpx_gt_u32_e64 s16, v56
	s_cbranch_execz .LBB502_360
.LBB502_376:                            ;   in Loop: Header=BB502_326 Depth=2
	v_xor_b32_e32 v21, 0x7fffffff, v9
	v_lshrrev_b32_e32 v21, s61, v21
	v_and_b32_e32 v21, s62, v21
	v_lshl_or_b32 v21, v21, 4, v63
	ds_add_u32 v21, v85
	s_or_b32 exec_lo, exec_lo, s17
	s_mov_b32 s17, exec_lo
	v_cmpx_gt_u32_e64 s16, v57
	s_cbranch_execz .LBB502_361
.LBB502_377:                            ;   in Loop: Header=BB502_326 Depth=2
	v_xor_b32_e32 v21, 0x7fffffff, v8
	v_lshrrev_b32_e32 v21, s61, v21
	v_and_b32_e32 v21, s62, v21
	v_lshl_or_b32 v21, v21, 4, v63
	ds_add_u32 v21, v85
	s_or_b32 exec_lo, exec_lo, s17
	s_mov_b32 s17, exec_lo
	v_cmpx_gt_u32_e64 s16, v58
	s_cbranch_execz .LBB502_362
.LBB502_378:                            ;   in Loop: Header=BB502_326 Depth=2
	v_xor_b32_e32 v21, 0x7fffffff, v7
	v_lshrrev_b32_e32 v21, s61, v21
	v_and_b32_e32 v21, s62, v21
	v_lshl_or_b32 v21, v21, 4, v63
	ds_add_u32 v21, v85
	s_or_b32 exec_lo, exec_lo, s17
	s_mov_b32 s17, exec_lo
	v_cmpx_gt_u32_e64 s16, v59
	s_cbranch_execz .LBB502_363
.LBB502_379:                            ;   in Loop: Header=BB502_326 Depth=2
	v_xor_b32_e32 v21, 0x7fffffff, v6
	v_lshrrev_b32_e32 v21, s61, v21
	v_and_b32_e32 v21, s62, v21
	v_lshl_or_b32 v21, v21, 4, v63
	ds_add_u32 v21, v85
	s_or_b32 exec_lo, exec_lo, s17
	s_mov_b32 s17, exec_lo
	v_cmpx_gt_u32_e64 s16, v60
	s_cbranch_execz .LBB502_364
.LBB502_380:                            ;   in Loop: Header=BB502_326 Depth=2
	v_xor_b32_e32 v21, 0x7fffffff, v5
	v_lshrrev_b32_e32 v21, s61, v21
	v_and_b32_e32 v21, s62, v21
	v_lshl_or_b32 v21, v21, 4, v63
	ds_add_u32 v21, v85
	s_or_b32 exec_lo, exec_lo, s17
	v_cmp_gt_u32_e32 vcc_lo, s16, v61
	s_and_saveexec_b32 s16, vcc_lo
	s_cbranch_execz .LBB502_325
.LBB502_381:                            ;   in Loop: Header=BB502_326 Depth=2
	v_xor_b32_e32 v21, 0x7fffffff, v3
	v_lshrrev_b32_e32 v21, s61, v21
	v_and_b32_e32 v21, s62, v21
	v_lshl_or_b32 v21, v21, 4, v63
	ds_add_u32 v21, v85
	s_branch .LBB502_325
.LBB502_382:                            ;   in Loop: Header=BB502_326 Depth=2
	global_load_dword v20, v91, s[16:17]
	s_or_b32 exec_lo, exec_lo, s18
	s_mov_b32 s18, exec_lo
	v_cmpx_gt_u32_e64 s5, v44
	s_cbranch_execz .LBB502_331
.LBB502_383:                            ;   in Loop: Header=BB502_326 Depth=2
	global_load_dword v19, v91, s[16:17] offset:1024
	s_or_b32 exec_lo, exec_lo, s18
	s_mov_b32 s18, exec_lo
	v_cmpx_gt_u32_e64 s5, v47
	s_cbranch_execz .LBB502_332
.LBB502_384:                            ;   in Loop: Header=BB502_326 Depth=2
	global_load_dword v18, v92, s[16:17]
	s_or_b32 exec_lo, exec_lo, s18
	s_mov_b32 s18, exec_lo
	v_cmpx_gt_u32_e64 s5, v48
	s_cbranch_execz .LBB502_333
.LBB502_385:                            ;   in Loop: Header=BB502_326 Depth=2
	global_load_dword v17, v93, s[16:17]
	s_or_b32 exec_lo, exec_lo, s18
	s_mov_b32 s18, exec_lo
	v_cmpx_gt_u32_e64 s5, v49
	s_cbranch_execz .LBB502_334
.LBB502_386:                            ;   in Loop: Header=BB502_326 Depth=2
	global_load_dword v16, v94, s[16:17]
	s_or_b32 exec_lo, exec_lo, s18
	s_mov_b32 s18, exec_lo
	v_cmpx_gt_u32_e64 s5, v50
	s_cbranch_execz .LBB502_335
.LBB502_387:                            ;   in Loop: Header=BB502_326 Depth=2
	global_load_dword v15, v95, s[16:17]
	s_or_b32 exec_lo, exec_lo, s18
	s_mov_b32 s18, exec_lo
	v_cmpx_gt_u32_e64 s5, v51
	s_cbranch_execz .LBB502_336
.LBB502_388:                            ;   in Loop: Header=BB502_326 Depth=2
	global_load_dword v14, v96, s[16:17]
	s_or_b32 exec_lo, exec_lo, s18
	s_mov_b32 s18, exec_lo
	v_cmpx_gt_u32_e64 s5, v52
	s_cbranch_execz .LBB502_337
.LBB502_389:                            ;   in Loop: Header=BB502_326 Depth=2
	global_load_dword v13, v97, s[16:17]
	s_or_b32 exec_lo, exec_lo, s18
	s_mov_b32 s18, exec_lo
	v_cmpx_gt_u32_e64 s5, v53
	s_cbranch_execz .LBB502_338
.LBB502_390:                            ;   in Loop: Header=BB502_326 Depth=2
	global_load_dword v12, v98, s[16:17]
	s_or_b32 exec_lo, exec_lo, s18
	s_mov_b32 s18, exec_lo
	v_cmpx_gt_u32_e64 s5, v54
	s_cbranch_execz .LBB502_339
.LBB502_391:                            ;   in Loop: Header=BB502_326 Depth=2
	global_load_dword v11, v99, s[16:17]
	s_or_b32 exec_lo, exec_lo, s18
	s_mov_b32 s18, exec_lo
	v_cmpx_gt_u32_e64 s5, v55
	s_cbranch_execz .LBB502_340
.LBB502_392:                            ;   in Loop: Header=BB502_326 Depth=2
	global_load_dword v10, v100, s[16:17]
	s_or_b32 exec_lo, exec_lo, s18
	s_mov_b32 s18, exec_lo
	v_cmpx_gt_u32_e64 s5, v56
	s_cbranch_execz .LBB502_341
.LBB502_393:                            ;   in Loop: Header=BB502_326 Depth=2
	global_load_dword v9, v101, s[16:17]
	s_or_b32 exec_lo, exec_lo, s18
	s_mov_b32 s18, exec_lo
	v_cmpx_gt_u32_e64 s5, v57
	s_cbranch_execz .LBB502_342
.LBB502_394:                            ;   in Loop: Header=BB502_326 Depth=2
	global_load_dword v8, v102, s[16:17]
	s_or_b32 exec_lo, exec_lo, s18
	s_mov_b32 s18, exec_lo
	v_cmpx_gt_u32_e64 s5, v58
	s_cbranch_execz .LBB502_343
.LBB502_395:                            ;   in Loop: Header=BB502_326 Depth=2
	global_load_dword v7, v103, s[16:17]
	s_or_b32 exec_lo, exec_lo, s18
	s_mov_b32 s18, exec_lo
	v_cmpx_gt_u32_e64 s5, v59
	s_cbranch_execz .LBB502_344
.LBB502_396:                            ;   in Loop: Header=BB502_326 Depth=2
	global_load_dword v6, v104, s[16:17]
	s_or_b32 exec_lo, exec_lo, s18
	s_mov_b32 s18, exec_lo
	v_cmpx_gt_u32_e64 s5, v60
	s_cbranch_execz .LBB502_345
.LBB502_397:                            ;   in Loop: Header=BB502_326 Depth=2
	global_load_dword v5, v105, s[16:17]
	s_or_b32 exec_lo, exec_lo, s18
	s_mov_b32 s18, exec_lo
	v_cmpx_gt_u32_e64 s5, v61
	s_cbranch_execnz .LBB502_346
	s_branch .LBB502_347
.LBB502_398:                            ;   in Loop: Header=BB502_12 Depth=1
	v_mov_b32_e32 v3, 0
	s_waitcnt lgkmcnt(0)
	s_barrier
	buffer_gl0_inv
	s_and_saveexec_b32 s5, s7
	s_cbranch_execz .LBB502_400
; %bb.399:                              ;   in Loop: Header=BB502_12 Depth=1
	ds_read2_b64 v[5:8], v64 offset1:1
	s_waitcnt lgkmcnt(0)
	v_add_nc_u32_e32 v3, v6, v5
	v_add3_u32 v3, v3, v7, v8
.LBB502_400:                            ;   in Loop: Header=BB502_12 Depth=1
	s_or_b32 exec_lo, exec_lo, s5
	v_mov_b32_dpp v5, v3 row_shr:1 row_mask:0xf bank_mask:0xf
	v_cmp_eq_u32_e64 s5, 0, v86
	v_cmp_lt_u32_e64 s15, 1, v86
	v_cmp_lt_u32_e64 s16, 3, v86
	;; [unrolled: 1-line block ×3, first 2 shown]
	v_cmp_eq_u32_e64 s18, 0, v88
	v_cndmask_b32_e64 v5, v5, 0, s5
	v_add_nc_u32_e32 v3, v5, v3
	v_mov_b32_dpp v5, v3 row_shr:2 row_mask:0xf bank_mask:0xf
	v_cndmask_b32_e64 v5, 0, v5, s15
	v_add_nc_u32_e32 v3, v3, v5
	v_mov_b32_dpp v5, v3 row_shr:4 row_mask:0xf bank_mask:0xf
	;; [unrolled: 3-line block ×3, first 2 shown]
	v_cndmask_b32_e64 v5, 0, v5, s17
	v_add_nc_u32_e32 v3, v3, v5
	ds_swizzle_b32 v5, v3 offset:swizzle(BROADCAST,32,15)
	s_waitcnt lgkmcnt(0)
	v_and_b32_e32 v5, v87, v5
	v_add_nc_u32_e32 v3, v3, v5
	s_and_saveexec_b32 s19, s8
; %bb.401:                              ;   in Loop: Header=BB502_12 Depth=1
	ds_write_b32 v65, v3
; %bb.402:                              ;   in Loop: Header=BB502_12 Depth=1
	s_or_b32 exec_lo, exec_lo, s19
	s_waitcnt lgkmcnt(0)
	s_barrier
	buffer_gl0_inv
	s_and_saveexec_b32 s19, s9
	s_cbranch_execz .LBB502_404
; %bb.403:                              ;   in Loop: Header=BB502_12 Depth=1
	ds_read_b32 v5, v66
	v_cmp_ne_u32_e32 vcc_lo, 0, v89
	s_waitcnt lgkmcnt(0)
	v_mov_b32_dpp v6, v5 row_shr:1 row_mask:0xf bank_mask:0xf
	v_cndmask_b32_e32 v6, 0, v6, vcc_lo
	v_cmp_lt_u32_e32 vcc_lo, 1, v89
	v_add_nc_u32_e32 v5, v6, v5
	v_mov_b32_dpp v6, v5 row_shr:2 row_mask:0xf bank_mask:0xf
	v_cndmask_b32_e32 v6, 0, v6, vcc_lo
	v_add_nc_u32_e32 v5, v5, v6
	ds_write_b32 v66, v5
.LBB502_404:                            ;   in Loop: Header=BB502_12 Depth=1
	s_or_b32 exec_lo, exec_lo, s19
	v_mov_b32_e32 v5, 0
	s_waitcnt lgkmcnt(0)
	s_barrier
	buffer_gl0_inv
	s_and_saveexec_b32 s19, s10
; %bb.405:                              ;   in Loop: Header=BB502_12 Depth=1
	ds_read_b32 v5, v67
; %bb.406:                              ;   in Loop: Header=BB502_12 Depth=1
	s_or_b32 exec_lo, exec_lo, s19
	v_cmp_gt_i32_e32 vcc_lo, 0, v90
	s_waitcnt lgkmcnt(0)
	v_add_nc_u32_e32 v3, v5, v3
	s_barrier
	buffer_gl0_inv
	v_cndmask_b32_e32 v6, v90, v82, vcc_lo
	v_lshlrev_b32_e32 v131, 2, v6
	ds_bpermute_b32 v3, v131, v3
	s_and_saveexec_b32 s19, s7
	s_cbranch_execz .LBB502_408
; %bb.407:                              ;   in Loop: Header=BB502_12 Depth=1
	s_waitcnt lgkmcnt(0)
	v_cndmask_b32_e64 v3, v3, v5, s14
	v_add_nc_u32_e32 v3, s58, v3
	ds_write_b32 v43, v3
.LBB502_408:                            ;   in Loop: Header=BB502_12 Depth=1
	s_or_b32 exec_lo, exec_lo, s19
	s_load_dwordx2 s[20:21], s[56:57], 0x0
	v_add_co_u32 v132, vcc_lo, v74, v106
	v_add_co_ci_u32_e64 v133, null, 0, v75, vcc_lo
	v_add_co_u32 v134, vcc_lo, v76, v125
	v_add_co_ci_u32_e64 v135, null, 0, v77, vcc_lo
	s_mov_b32 s63, s60
	s_mov_b32 s50, s58
                                        ; implicit-def: $vgpr7_vgpr8
                                        ; implicit-def: $vgpr9_vgpr10
                                        ; implicit-def: $vgpr11_vgpr12
                                        ; implicit-def: $vgpr13_vgpr14
                                        ; implicit-def: $vgpr15_vgpr16
                                        ; implicit-def: $vgpr19_vgpr20
                                        ; implicit-def: $vgpr23_vgpr24
                                        ; implicit-def: $vgpr27_vgpr28
                                        ; implicit-def: $vgpr17_vgpr18
                                        ; implicit-def: $vgpr21_vgpr22
                                        ; implicit-def: $vgpr25_vgpr26
                                        ; implicit-def: $vgpr29_vgpr30
                                        ; implicit-def: $vgpr31_vgpr32
                                        ; implicit-def: $vgpr33_vgpr34
                                        ; implicit-def: $vgpr35_vgpr36
                                        ; implicit-def: $vgpr37_vgpr38
                                        ; implicit-def: $vgpr137
                                        ; implicit-def: $vgpr138
                                        ; implicit-def: $vgpr139
                                        ; implicit-def: $vgpr140
                                        ; implicit-def: $vgpr141
                                        ; implicit-def: $vgpr142
                                        ; implicit-def: $vgpr143
                                        ; implicit-def: $vgpr144
                                        ; implicit-def: $vgpr145
                                        ; implicit-def: $vgpr146
                                        ; implicit-def: $vgpr147
                                        ; implicit-def: $vgpr148
                                        ; implicit-def: $vgpr149
                                        ; implicit-def: $vgpr150
                                        ; implicit-def: $vgpr151
                                        ; implicit-def: $vgpr153
                                        ; implicit-def: $vgpr154
                                        ; implicit-def: $vgpr152
                                        ; implicit-def: $vgpr155
	s_waitcnt lgkmcnt(0)
	s_cmp_lt_u32 s28, s21
	s_cselect_b32 s19, 14, 20
	s_add_u32 s22, s56, s19
	s_addc_u32 s23, s57, 0
	s_cmp_lt_u32 s6, s20
	global_load_ushort v3, v4, s[22:23]
	s_cselect_b32 s19, 12, 18
	s_add_u32 s20, s56, s19
	s_addc_u32 s21, s57, 0
	v_cmp_eq_u32_e64 s19, 0, v108
	global_load_ushort v5, v4, s[20:21]
	v_cmp_lt_u32_e64 s20, 1, v108
	v_cmp_lt_u32_e64 s21, 3, v108
	s_waitcnt vmcnt(1)
	v_mad_u32_u24 v3, v2, v3, v1
	s_waitcnt vmcnt(0)
	v_mad_u64_u32 v[5:6], null, v3, v5, v[0:1]
	v_lshrrev_b32_e32 v3, 3, v5
                                        ; implicit-def: $vgpr5_vgpr6
	v_and_b32_e32 v136, 0x1ffffffc, v3
	s_branch .LBB502_410
.LBB502_409:                            ;   in Loop: Header=BB502_410 Depth=2
	s_or_b32 exec_lo, exec_lo, s22
	s_addk_i32 s63, 0xef00
	s_cmp_lt_u32 s64, s59
	s_mov_b32 s50, s64
	s_cbranch_scc0 .LBB502_632
.LBB502_410:                            ;   Parent Loop BB502_12 Depth=1
                                        ; =>  This Inner Loop Header: Depth=2
	s_add_i32 s64, s50, 0x1100
	s_cmp_gt_u32 s64, s59
	s_cbranch_scc1 .LBB502_412
; %bb.411:                              ;   in Loop: Header=BB502_410 Depth=2
	s_lshl_b64 s[22:23], s[50:51], 2
	v_add_co_u32 v39, vcc_lo, v134, s22
	v_add_co_ci_u32_e64 v40, null, s23, v135, vcc_lo
	s_mov_b32 s22, -1
	s_clause 0xf
	global_load_dword v157, v[39:40], off
	global_load_dword v158, v[39:40], off offset:128
	global_load_dword v161, v[39:40], off offset:256
	;; [unrolled: 1-line block ×15, first 2 shown]
	s_movk_i32 s23, 0x1100
	s_cbranch_execz .LBB502_413
	s_branch .LBB502_446
.LBB502_412:                            ;   in Loop: Header=BB502_410 Depth=2
	s_mov_b32 s22, 0
                                        ; implicit-def: $vgpr157
                                        ; implicit-def: $vgpr158
                                        ; implicit-def: $vgpr161
                                        ; implicit-def: $vgpr165
                                        ; implicit-def: $vgpr170
                                        ; implicit-def: $vgpr175
                                        ; implicit-def: $vgpr180
                                        ; implicit-def: $vgpr185
                                        ; implicit-def: $vgpr190
                                        ; implicit-def: $vgpr188
                                        ; implicit-def: $vgpr183
                                        ; implicit-def: $vgpr178
                                        ; implicit-def: $vgpr174
                                        ; implicit-def: $vgpr169
                                        ; implicit-def: $vgpr42
                                        ; implicit-def: $vgpr41
	s_movk_i32 s23, 0x1100
.LBB502_413:                            ;   in Loop: Header=BB502_410 Depth=2
	s_lshl_b64 s[22:23], s[50:51], 2
	s_waitcnt vmcnt(14)
	v_bfrev_b32_e32 v158, 1
	v_add_co_u32 v39, vcc_lo, v134, s22
	v_add_co_ci_u32_e64 v40, null, s23, v135, vcc_lo
	v_bfrev_b32_e32 v157, 1
	s_mov_b32 s22, exec_lo
	v_cmpx_gt_u32_e64 s63, v109
	s_cbranch_execz .LBB502_415
; %bb.414:                              ;   in Loop: Header=BB502_410 Depth=2
	global_load_dword v157, v[39:40], off
.LBB502_415:                            ;   in Loop: Header=BB502_410 Depth=2
	s_or_b32 exec_lo, exec_lo, s22
	s_mov_b32 s22, exec_lo
	v_cmpx_gt_u32_e64 s63, v112
	s_cbranch_execz .LBB502_417
; %bb.416:                              ;   in Loop: Header=BB502_410 Depth=2
	global_load_dword v158, v[39:40], off offset:128
.LBB502_417:                            ;   in Loop: Header=BB502_410 Depth=2
	s_or_b32 exec_lo, exec_lo, s22
	s_waitcnt vmcnt(12)
	v_bfrev_b32_e32 v165, 1
	v_bfrev_b32_e32 v161, 1
	s_mov_b32 s22, exec_lo
	v_cmpx_gt_u32_e64 s63, v113
	s_cbranch_execz .LBB502_419
; %bb.418:                              ;   in Loop: Header=BB502_410 Depth=2
	global_load_dword v161, v[39:40], off offset:256
.LBB502_419:                            ;   in Loop: Header=BB502_410 Depth=2
	s_or_b32 exec_lo, exec_lo, s22
	s_mov_b32 s22, exec_lo
	v_cmpx_gt_u32_e64 s63, v114
	s_cbranch_execz .LBB502_421
; %bb.420:                              ;   in Loop: Header=BB502_410 Depth=2
	global_load_dword v165, v[39:40], off offset:384
.LBB502_421:                            ;   in Loop: Header=BB502_410 Depth=2
	s_or_b32 exec_lo, exec_lo, s22
	s_waitcnt vmcnt(10)
	v_bfrev_b32_e32 v175, 1
	v_bfrev_b32_e32 v170, 1
	s_mov_b32 s22, exec_lo
	v_cmpx_gt_u32_e64 s63, v115
	s_cbranch_execz .LBB502_423
; %bb.422:                              ;   in Loop: Header=BB502_410 Depth=2
	global_load_dword v170, v[39:40], off offset:512
.LBB502_423:                            ;   in Loop: Header=BB502_410 Depth=2
	;; [unrolled: 17-line block ×7, first 2 shown]
	s_or_b32 exec_lo, exec_lo, s22
	s_mov_b32 s22, exec_lo
	v_cmpx_gt_u32_e64 s63, v127
	s_cbranch_execz .LBB502_445
; %bb.444:                              ;   in Loop: Header=BB502_410 Depth=2
	global_load_dword v41, v[39:40], off offset:1920
.LBB502_445:                            ;   in Loop: Header=BB502_410 Depth=2
	s_or_b32 exec_lo, exec_lo, s22
	v_cmp_gt_u32_e64 s22, s63, v128
	s_sub_i32 s23, s59, s50
.LBB502_446:                            ;   in Loop: Header=BB502_410 Depth=2
	v_mov_b32_e32 v3, -1
	v_mov_b32_e32 v156, s63
	s_and_saveexec_b32 s24, s22
	s_cbranch_execz .LBB502_448
; %bb.447:                              ;   in Loop: Header=BB502_410 Depth=2
	s_lshl_b64 s[26:27], s[50:51], 2
	v_mov_b32_e32 v156, s23
	v_add_co_u32 v3, vcc_lo, v134, s26
	v_add_co_ci_u32_e64 v40, null, s27, v135, vcc_lo
	v_add_co_u32 v39, vcc_lo, 0x800, v3
	v_add_co_ci_u32_e64 v40, null, 0, v40, vcc_lo
	global_load_dword v3, v[39:40], off
	s_waitcnt vmcnt(0)
	v_xor_b32_e32 v3, 0x7fffffff, v3
.LBB502_448:                            ;   in Loop: Header=BB502_410 Depth=2
	s_or_b32 exec_lo, exec_lo, s24
	s_waitcnt vmcnt(15)
	v_xor_b32_e32 v157, 0x7fffffff, v157
	ds_write2_b32 v68, v4, v4 offset0:136 offset1:137
	ds_write2_b32 v68, v4, v4 offset0:138 offset1:139
	ds_write_b32 v68, v4 offset:560
	s_waitcnt vmcnt(0) lgkmcnt(0)
	s_barrier
	v_lshrrev_b32_e32 v39, s61, v157
	buffer_gl0_inv
	; wave barrier
	v_and_b32_e32 v40, s62, v39
	v_and_b32_e32 v39, 1, v40
	v_lshlrev_b32_e32 v159, 30, v40
	v_lshlrev_b32_e32 v160, 29, v40
	;; [unrolled: 1-line block ×4, first 2 shown]
	v_add_co_u32 v39, s22, v39, -1
	v_cndmask_b32_e64 v162, 0, 1, s22
	v_not_b32_e32 v167, v159
	v_cmp_gt_i32_e64 s22, 0, v159
	v_not_b32_e32 v159, v160
	v_lshlrev_b32_e32 v166, 26, v40
	v_cmp_ne_u32_e32 vcc_lo, 0, v162
	v_ashrrev_i32_e32 v167, 31, v167
	v_lshlrev_b32_e32 v162, 25, v40
	v_ashrrev_i32_e32 v159, 31, v159
	v_mul_u32_u24_e32 v40, 36, v40
	v_xor_b32_e32 v39, vcc_lo, v39
	v_cmp_gt_i32_e32 vcc_lo, 0, v160
	v_not_b32_e32 v160, v163
	v_xor_b32_e32 v167, s22, v167
	v_cmp_gt_i32_e64 s22, 0, v163
	v_and_b32_e32 v39, exec_lo, v39
	v_not_b32_e32 v163, v164
	v_ashrrev_i32_e32 v160, 31, v160
	v_xor_b32_e32 v159, vcc_lo, v159
	v_cmp_gt_i32_e32 vcc_lo, 0, v164
	v_and_b32_e32 v39, v39, v167
	v_not_b32_e32 v164, v166
	v_ashrrev_i32_e32 v163, 31, v163
	v_xor_b32_e32 v160, s22, v160
	v_cmp_gt_i32_e64 s22, 0, v166
	v_and_b32_e32 v39, v39, v159
	v_not_b32_e32 v159, v162
	v_ashrrev_i32_e32 v164, 31, v164
	v_xor_b32_e32 v163, vcc_lo, v163
	v_cmp_gt_i32_e32 vcc_lo, 0, v162
	v_and_b32_e32 v39, v39, v160
	v_ashrrev_i32_e32 v159, 31, v159
	v_xor_b32_e32 v160, s22, v164
	v_and_b32_e32 v39, v39, v163
	v_xor_b32_e32 v159, vcc_lo, v159
	v_and_b32_e32 v39, v39, v160
	v_add_nc_u32_e32 v160, v136, v40
	v_and_b32_e32 v39, v39, v159
	v_mbcnt_lo_u32_b32 v159, v39, 0
	v_cmp_ne_u32_e64 s22, 0, v39
	v_cmp_eq_u32_e32 vcc_lo, 0, v159
	s_and_b32 s23, s22, vcc_lo
	s_and_saveexec_b32 s22, s23
; %bb.449:                              ;   in Loop: Header=BB502_410 Depth=2
	v_bcnt_u32_b32 v39, v39, 0
	ds_write_b32 v160, v39 offset:544
; %bb.450:                              ;   in Loop: Header=BB502_410 Depth=2
	s_or_b32 exec_lo, exec_lo, s22
	v_xor_b32_e32 v158, 0x7fffffff, v158
	; wave barrier
	v_lshrrev_b32_e32 v39, s61, v158
	v_and_b32_e32 v40, s62, v39
	v_and_b32_e32 v39, 1, v40
	v_lshlrev_b32_e32 v162, 30, v40
	v_lshlrev_b32_e32 v163, 29, v40
	v_lshlrev_b32_e32 v166, 28, v40
	v_lshlrev_b32_e32 v167, 27, v40
	v_add_co_u32 v39, s22, v39, -1
	v_cndmask_b32_e64 v164, 0, 1, s22
	v_not_b32_e32 v171, v162
	v_cmp_gt_i32_e64 s22, 0, v162
	v_not_b32_e32 v162, v163
	v_lshlrev_b32_e32 v168, 26, v40
	v_cmp_ne_u32_e32 vcc_lo, 0, v164
	v_ashrrev_i32_e32 v171, 31, v171
	v_lshlrev_b32_e32 v164, 25, v40
	v_ashrrev_i32_e32 v162, 31, v162
	v_xor_b32_e32 v39, vcc_lo, v39
	v_cmp_gt_i32_e32 vcc_lo, 0, v163
	v_not_b32_e32 v163, v166
	v_xor_b32_e32 v171, s22, v171
	v_cmp_gt_i32_e64 s22, 0, v166
	v_and_b32_e32 v39, exec_lo, v39
	v_not_b32_e32 v166, v167
	v_ashrrev_i32_e32 v163, 31, v163
	v_xor_b32_e32 v162, vcc_lo, v162
	v_cmp_gt_i32_e32 vcc_lo, 0, v167
	v_and_b32_e32 v39, v39, v171
	v_not_b32_e32 v167, v168
	v_ashrrev_i32_e32 v166, 31, v166
	v_xor_b32_e32 v163, s22, v163
	v_cmp_gt_i32_e64 s22, 0, v168
	v_and_b32_e32 v39, v39, v162
	v_not_b32_e32 v162, v164
	v_ashrrev_i32_e32 v167, 31, v167
	v_xor_b32_e32 v166, vcc_lo, v166
	v_cmp_gt_i32_e32 vcc_lo, 0, v164
	v_and_b32_e32 v39, v39, v163
	v_ashrrev_i32_e32 v162, 31, v162
	v_xor_b32_e32 v163, s22, v167
	v_mad_u32_u24 v164, v40, 36, v136
	v_mul_u32_u24_e32 v40, 36, v40
	v_and_b32_e32 v39, v39, v166
	v_xor_b32_e32 v166, vcc_lo, v162
	ds_read_b32 v162, v164 offset:544
	v_add_nc_u32_e32 v164, v136, v40
	v_and_b32_e32 v39, v39, v163
	; wave barrier
	v_and_b32_e32 v39, v39, v166
	v_mbcnt_lo_u32_b32 v163, v39, 0
	v_cmp_ne_u32_e64 s22, 0, v39
	v_cmp_eq_u32_e32 vcc_lo, 0, v163
	s_and_b32 s23, s22, vcc_lo
	s_and_saveexec_b32 s22, s23
	s_cbranch_execz .LBB502_452
; %bb.451:                              ;   in Loop: Header=BB502_410 Depth=2
	s_waitcnt lgkmcnt(0)
	v_bcnt_u32_b32 v39, v39, v162
	ds_write_b32 v164, v39 offset:544
.LBB502_452:                            ;   in Loop: Header=BB502_410 Depth=2
	s_or_b32 exec_lo, exec_lo, s22
	v_xor_b32_e32 v161, 0x7fffffff, v161
	; wave barrier
	v_lshrrev_b32_e32 v39, s61, v161
	v_and_b32_e32 v40, s62, v39
	v_and_b32_e32 v39, 1, v40
	v_lshlrev_b32_e32 v166, 30, v40
	v_lshlrev_b32_e32 v167, 29, v40
	v_lshlrev_b32_e32 v171, 28, v40
	v_lshlrev_b32_e32 v172, 27, v40
	v_add_co_u32 v39, s22, v39, -1
	v_cndmask_b32_e64 v168, 0, 1, s22
	v_not_b32_e32 v176, v166
	v_cmp_gt_i32_e64 s22, 0, v166
	v_not_b32_e32 v166, v167
	v_lshlrev_b32_e32 v173, 26, v40
	v_cmp_ne_u32_e32 vcc_lo, 0, v168
	v_ashrrev_i32_e32 v176, 31, v176
	v_lshlrev_b32_e32 v168, 25, v40
	v_ashrrev_i32_e32 v166, 31, v166
	v_xor_b32_e32 v39, vcc_lo, v39
	v_cmp_gt_i32_e32 vcc_lo, 0, v167
	v_not_b32_e32 v167, v171
	v_xor_b32_e32 v176, s22, v176
	v_cmp_gt_i32_e64 s22, 0, v171
	v_and_b32_e32 v39, exec_lo, v39
	v_not_b32_e32 v171, v172
	v_ashrrev_i32_e32 v167, 31, v167
	v_xor_b32_e32 v166, vcc_lo, v166
	v_cmp_gt_i32_e32 vcc_lo, 0, v172
	v_and_b32_e32 v39, v39, v176
	v_not_b32_e32 v172, v173
	v_ashrrev_i32_e32 v171, 31, v171
	v_xor_b32_e32 v167, s22, v167
	v_cmp_gt_i32_e64 s22, 0, v173
	v_and_b32_e32 v39, v39, v166
	v_not_b32_e32 v166, v168
	v_ashrrev_i32_e32 v172, 31, v172
	v_xor_b32_e32 v171, vcc_lo, v171
	v_cmp_gt_i32_e32 vcc_lo, 0, v168
	v_and_b32_e32 v39, v39, v167
	v_ashrrev_i32_e32 v166, 31, v166
	v_xor_b32_e32 v167, s22, v172
	v_mad_u32_u24 v168, v40, 36, v136
	v_mul_u32_u24_e32 v40, 36, v40
	v_and_b32_e32 v39, v39, v171
	v_xor_b32_e32 v171, vcc_lo, v166
	ds_read_b32 v166, v168 offset:544
	v_add_nc_u32_e32 v168, v136, v40
	v_and_b32_e32 v39, v39, v167
	; wave barrier
	v_and_b32_e32 v39, v39, v171
	v_mbcnt_lo_u32_b32 v167, v39, 0
	v_cmp_ne_u32_e64 s22, 0, v39
	v_cmp_eq_u32_e32 vcc_lo, 0, v167
	s_and_b32 s23, s22, vcc_lo
	s_and_saveexec_b32 s22, s23
	s_cbranch_execz .LBB502_454
; %bb.453:                              ;   in Loop: Header=BB502_410 Depth=2
	s_waitcnt lgkmcnt(0)
	v_bcnt_u32_b32 v39, v39, v166
	ds_write_b32 v168, v39 offset:544
.LBB502_454:                            ;   in Loop: Header=BB502_410 Depth=2
	;; [unrolled: 63-line block ×9, first 2 shown]
	s_or_b32 exec_lo, exec_lo, s22
	v_xor_b32_e32 v183, 0x7fffffff, v183
	; wave barrier
	v_lshrrev_b32_e32 v39, s61, v183
	v_and_b32_e32 v40, s62, v39
	v_and_b32_e32 v39, 1, v40
	v_lshlrev_b32_e32 v200, 30, v40
	v_lshlrev_b32_e32 v201, 29, v40
	;; [unrolled: 1-line block ×4, first 2 shown]
	v_add_co_u32 v39, s22, v39, -1
	v_cndmask_b32_e64 v202, 0, 1, s22
	v_not_b32_e32 v206, v200
	v_cmp_gt_i32_e64 s22, 0, v200
	v_not_b32_e32 v200, v201
	v_lshlrev_b32_e32 v205, 26, v40
	v_cmp_ne_u32_e32 vcc_lo, 0, v202
	v_ashrrev_i32_e32 v206, 31, v206
	v_lshlrev_b32_e32 v202, 25, v40
	v_ashrrev_i32_e32 v200, 31, v200
	v_xor_b32_e32 v39, vcc_lo, v39
	v_cmp_gt_i32_e32 vcc_lo, 0, v201
	v_not_b32_e32 v201, v203
	v_xor_b32_e32 v206, s22, v206
	v_cmp_gt_i32_e64 s22, 0, v203
	v_and_b32_e32 v39, exec_lo, v39
	v_not_b32_e32 v203, v204
	v_ashrrev_i32_e32 v201, 31, v201
	v_xor_b32_e32 v200, vcc_lo, v200
	v_cmp_gt_i32_e32 vcc_lo, 0, v204
	v_and_b32_e32 v39, v39, v206
	v_not_b32_e32 v204, v205
	v_ashrrev_i32_e32 v203, 31, v203
	v_xor_b32_e32 v201, s22, v201
	v_cmp_gt_i32_e64 s22, 0, v205
	v_and_b32_e32 v39, v39, v200
	v_not_b32_e32 v200, v202
	v_ashrrev_i32_e32 v204, 31, v204
	v_xor_b32_e32 v203, vcc_lo, v203
	v_cmp_gt_i32_e32 vcc_lo, 0, v202
	v_and_b32_e32 v39, v39, v201
	v_ashrrev_i32_e32 v200, 31, v200
	v_xor_b32_e32 v201, s22, v204
	v_mad_u32_u24 v202, v40, 36, v136
	v_mul_u32_u24_e32 v40, 36, v40
	v_and_b32_e32 v39, v39, v203
	v_xor_b32_e32 v200, vcc_lo, v200
	v_add_nc_u32_e32 v203, v136, v40
	v_and_b32_e32 v39, v39, v201
	ds_read_b32 v201, v202 offset:544
	; wave barrier
	v_and_b32_e32 v39, v39, v200
	v_mbcnt_lo_u32_b32 v202, v39, 0
	v_cmp_ne_u32_e64 s22, 0, v39
	v_cmp_eq_u32_e32 vcc_lo, 0, v202
	s_and_b32 s23, s22, vcc_lo
	s_and_saveexec_b32 s22, s23
	s_cbranch_execz .LBB502_470
; %bb.469:                              ;   in Loop: Header=BB502_410 Depth=2
	s_waitcnt lgkmcnt(0)
	v_bcnt_u32_b32 v39, v39, v201
	ds_write_b32 v203, v39 offset:544
.LBB502_470:                            ;   in Loop: Header=BB502_410 Depth=2
	s_or_b32 exec_lo, exec_lo, s22
	v_xor_b32_e32 v200, 0x7fffffff, v178
	; wave barrier
	v_lshrrev_b32_e32 v39, s61, v200
	v_and_b32_e32 v40, s62, v39
	v_and_b32_e32 v39, 1, v40
	v_lshlrev_b32_e32 v178, 30, v40
	v_lshlrev_b32_e32 v204, 29, v40
	v_lshlrev_b32_e32 v206, 28, v40
	v_lshlrev_b32_e32 v207, 27, v40
	v_add_co_u32 v39, s22, v39, -1
	v_cndmask_b32_e64 v205, 0, 1, s22
	v_not_b32_e32 v209, v178
	v_cmp_gt_i32_e64 s22, 0, v178
	v_not_b32_e32 v178, v204
	v_lshlrev_b32_e32 v208, 26, v40
	v_cmp_ne_u32_e32 vcc_lo, 0, v205
	v_ashrrev_i32_e32 v209, 31, v209
	v_lshlrev_b32_e32 v205, 25, v40
	v_ashrrev_i32_e32 v178, 31, v178
	v_xor_b32_e32 v39, vcc_lo, v39
	v_cmp_gt_i32_e32 vcc_lo, 0, v204
	v_not_b32_e32 v204, v206
	v_xor_b32_e32 v209, s22, v209
	v_cmp_gt_i32_e64 s22, 0, v206
	v_and_b32_e32 v39, exec_lo, v39
	v_not_b32_e32 v206, v207
	v_ashrrev_i32_e32 v204, 31, v204
	v_xor_b32_e32 v178, vcc_lo, v178
	v_cmp_gt_i32_e32 vcc_lo, 0, v207
	v_and_b32_e32 v39, v39, v209
	v_not_b32_e32 v207, v208
	v_ashrrev_i32_e32 v206, 31, v206
	v_xor_b32_e32 v204, s22, v204
	v_cmp_gt_i32_e64 s22, 0, v208
	v_and_b32_e32 v39, v39, v178
	v_not_b32_e32 v178, v205
	v_ashrrev_i32_e32 v207, 31, v207
	v_xor_b32_e32 v206, vcc_lo, v206
	v_cmp_gt_i32_e32 vcc_lo, 0, v205
	v_and_b32_e32 v39, v39, v204
	v_ashrrev_i32_e32 v178, 31, v178
	v_xor_b32_e32 v204, s22, v207
	v_mad_u32_u24 v205, v40, 36, v136
	v_mul_u32_u24_e32 v40, 36, v40
	v_and_b32_e32 v39, v39, v206
	v_xor_b32_e32 v178, vcc_lo, v178
	ds_read_b32 v205, v205 offset:544
	v_and_b32_e32 v39, v39, v204
	; wave barrier
	v_and_b32_e32 v39, v39, v178
	v_add_nc_u32_e32 v178, v136, v40
	v_mbcnt_lo_u32_b32 v206, v39, 0
	v_cmp_ne_u32_e64 s22, 0, v39
	v_cmp_eq_u32_e32 vcc_lo, 0, v206
	s_and_b32 s23, s22, vcc_lo
	s_and_saveexec_b32 s22, s23
	s_cbranch_execz .LBB502_472
; %bb.471:                              ;   in Loop: Header=BB502_410 Depth=2
	s_waitcnt lgkmcnt(0)
	v_bcnt_u32_b32 v39, v39, v205
	ds_write_b32 v178, v39 offset:544
.LBB502_472:                            ;   in Loop: Header=BB502_410 Depth=2
	s_or_b32 exec_lo, exec_lo, s22
	v_xor_b32_e32 v204, 0x7fffffff, v174
	; wave barrier
	v_lshrrev_b32_e32 v39, s61, v204
	v_and_b32_e32 v40, s62, v39
	v_and_b32_e32 v39, 1, v40
	v_lshlrev_b32_e32 v174, 30, v40
	v_lshlrev_b32_e32 v207, 29, v40
	v_lshlrev_b32_e32 v209, 28, v40
	v_lshlrev_b32_e32 v210, 27, v40
	v_add_co_u32 v39, s22, v39, -1
	v_cndmask_b32_e64 v208, 0, 1, s22
	v_not_b32_e32 v212, v174
	v_cmp_gt_i32_e64 s22, 0, v174
	v_not_b32_e32 v174, v207
	v_lshlrev_b32_e32 v211, 26, v40
	v_cmp_ne_u32_e32 vcc_lo, 0, v208
	v_ashrrev_i32_e32 v212, 31, v212
	v_lshlrev_b32_e32 v208, 25, v40
	v_ashrrev_i32_e32 v174, 31, v174
	v_xor_b32_e32 v39, vcc_lo, v39
	v_cmp_gt_i32_e32 vcc_lo, 0, v207
	v_not_b32_e32 v207, v209
	v_xor_b32_e32 v212, s22, v212
	v_cmp_gt_i32_e64 s22, 0, v209
	v_and_b32_e32 v39, exec_lo, v39
	v_not_b32_e32 v209, v210
	v_ashrrev_i32_e32 v207, 31, v207
	v_xor_b32_e32 v174, vcc_lo, v174
	v_cmp_gt_i32_e32 vcc_lo, 0, v210
	v_and_b32_e32 v39, v39, v212
	v_not_b32_e32 v210, v211
	v_ashrrev_i32_e32 v209, 31, v209
	v_xor_b32_e32 v207, s22, v207
	v_cmp_gt_i32_e64 s22, 0, v211
	v_and_b32_e32 v39, v39, v174
	v_not_b32_e32 v174, v208
	v_ashrrev_i32_e32 v210, 31, v210
	v_xor_b32_e32 v209, vcc_lo, v209
	v_cmp_gt_i32_e32 vcc_lo, 0, v208
	v_and_b32_e32 v39, v39, v207
	v_ashrrev_i32_e32 v174, 31, v174
	v_xor_b32_e32 v207, s22, v210
	v_mad_u32_u24 v208, v40, 36, v136
	v_mul_u32_u24_e32 v40, 36, v40
	v_and_b32_e32 v39, v39, v209
	v_xor_b32_e32 v174, vcc_lo, v174
	ds_read_b32 v208, v208 offset:544
	v_and_b32_e32 v39, v39, v207
	; wave barrier
	v_and_b32_e32 v39, v39, v174
	v_add_nc_u32_e32 v174, v136, v40
	;; [unrolled: 63-line block ×3, first 2 shown]
	v_mbcnt_lo_u32_b32 v212, v39, 0
	v_cmp_ne_u32_e64 s22, 0, v39
	v_cmp_eq_u32_e32 vcc_lo, 0, v212
	s_and_b32 s23, s22, vcc_lo
	s_and_saveexec_b32 s22, s23
	s_cbranch_execz .LBB502_476
; %bb.475:                              ;   in Loop: Header=BB502_410 Depth=2
	s_waitcnt lgkmcnt(0)
	v_bcnt_u32_b32 v39, v39, v211
	ds_write_b32 v169, v39 offset:544
.LBB502_476:                            ;   in Loop: Header=BB502_410 Depth=2
	s_or_b32 exec_lo, exec_lo, s22
	v_xor_b32_e32 v210, 0x7fffffff, v42
	; wave barrier
	v_lshrrev_b32_e32 v39, s61, v210
	v_and_b32_e32 v40, s62, v39
	v_and_b32_e32 v39, 1, v40
	v_lshlrev_b32_e32 v42, 30, v40
	v_lshlrev_b32_e32 v213, 29, v40
	;; [unrolled: 1-line block ×4, first 2 shown]
	v_add_co_u32 v39, s22, v39, -1
	v_cndmask_b32_e64 v214, 0, 1, s22
	v_not_b32_e32 v218, v42
	v_cmp_gt_i32_e64 s22, 0, v42
	v_not_b32_e32 v42, v213
	v_lshlrev_b32_e32 v217, 26, v40
	v_cmp_ne_u32_e32 vcc_lo, 0, v214
	v_ashrrev_i32_e32 v218, 31, v218
	v_lshlrev_b32_e32 v214, 25, v40
	v_ashrrev_i32_e32 v42, 31, v42
	v_xor_b32_e32 v39, vcc_lo, v39
	v_cmp_gt_i32_e32 vcc_lo, 0, v213
	v_not_b32_e32 v213, v215
	v_xor_b32_e32 v218, s22, v218
	v_cmp_gt_i32_e64 s22, 0, v215
	v_and_b32_e32 v39, exec_lo, v39
	v_not_b32_e32 v215, v216
	v_ashrrev_i32_e32 v213, 31, v213
	v_xor_b32_e32 v42, vcc_lo, v42
	v_cmp_gt_i32_e32 vcc_lo, 0, v216
	v_and_b32_e32 v39, v39, v218
	v_not_b32_e32 v216, v217
	v_ashrrev_i32_e32 v215, 31, v215
	v_xor_b32_e32 v213, s22, v213
	v_cmp_gt_i32_e64 s22, 0, v217
	v_and_b32_e32 v39, v39, v42
	v_not_b32_e32 v42, v214
	v_ashrrev_i32_e32 v216, 31, v216
	v_xor_b32_e32 v215, vcc_lo, v215
	v_cmp_gt_i32_e32 vcc_lo, 0, v214
	v_and_b32_e32 v39, v39, v213
	v_ashrrev_i32_e32 v42, 31, v42
	v_xor_b32_e32 v213, s22, v216
	v_mad_u32_u24 v214, v40, 36, v136
	v_mul_u32_u24_e32 v40, 36, v40
	v_and_b32_e32 v39, v39, v215
	v_xor_b32_e32 v42, vcc_lo, v42
	ds_read_b32 v214, v214 offset:544
	v_add_nc_u32_e32 v216, v136, v40
	v_and_b32_e32 v39, v39, v213
	; wave barrier
	v_and_b32_e32 v39, v39, v42
	v_mbcnt_lo_u32_b32 v215, v39, 0
	v_cmp_ne_u32_e64 s22, 0, v39
	v_cmp_eq_u32_e32 vcc_lo, 0, v215
	s_and_b32 s23, s22, vcc_lo
	s_and_saveexec_b32 s22, s23
	s_cbranch_execz .LBB502_478
; %bb.477:                              ;   in Loop: Header=BB502_410 Depth=2
	s_waitcnt lgkmcnt(0)
	v_bcnt_u32_b32 v39, v39, v214
	ds_write_b32 v216, v39 offset:544
.LBB502_478:                            ;   in Loop: Header=BB502_410 Depth=2
	s_or_b32 exec_lo, exec_lo, s22
	v_xor_b32_e32 v213, 0x7fffffff, v41
	; wave barrier
	v_lshrrev_b32_e32 v39, s61, v213
	v_and_b32_e32 v40, s62, v39
	v_and_b32_e32 v39, 1, v40
	v_lshlrev_b32_e32 v41, 30, v40
	v_lshlrev_b32_e32 v42, 29, v40
	;; [unrolled: 1-line block ×4, first 2 shown]
	v_add_co_u32 v39, s22, v39, -1
	v_cndmask_b32_e64 v217, 0, 1, s22
	v_not_b32_e32 v221, v41
	v_cmp_gt_i32_e64 s22, 0, v41
	v_not_b32_e32 v41, v42
	v_lshlrev_b32_e32 v220, 26, v40
	v_cmp_ne_u32_e32 vcc_lo, 0, v217
	v_ashrrev_i32_e32 v221, 31, v221
	v_lshlrev_b32_e32 v217, 25, v40
	v_ashrrev_i32_e32 v41, 31, v41
	v_xor_b32_e32 v39, vcc_lo, v39
	v_cmp_gt_i32_e32 vcc_lo, 0, v42
	v_not_b32_e32 v42, v218
	v_xor_b32_e32 v221, s22, v221
	v_cmp_gt_i32_e64 s22, 0, v218
	v_and_b32_e32 v39, exec_lo, v39
	v_not_b32_e32 v218, v219
	v_ashrrev_i32_e32 v42, 31, v42
	v_xor_b32_e32 v41, vcc_lo, v41
	v_cmp_gt_i32_e32 vcc_lo, 0, v219
	v_and_b32_e32 v39, v39, v221
	v_not_b32_e32 v219, v220
	v_ashrrev_i32_e32 v218, 31, v218
	v_xor_b32_e32 v42, s22, v42
	v_cmp_gt_i32_e64 s22, 0, v220
	v_and_b32_e32 v39, v39, v41
	v_not_b32_e32 v41, v217
	v_ashrrev_i32_e32 v219, 31, v219
	v_xor_b32_e32 v218, vcc_lo, v218
	v_cmp_gt_i32_e32 vcc_lo, 0, v217
	v_and_b32_e32 v39, v39, v42
	v_ashrrev_i32_e32 v41, 31, v41
	v_xor_b32_e32 v42, s22, v219
	v_mad_u32_u24 v217, v40, 36, v136
	v_mul_u32_u24_e32 v40, 36, v40
	v_and_b32_e32 v39, v39, v218
	v_xor_b32_e32 v41, vcc_lo, v41
	ds_read_b32 v217, v217 offset:544
	v_add_nc_u32_e32 v219, v136, v40
	v_and_b32_e32 v39, v39, v42
	; wave barrier
	v_and_b32_e32 v39, v39, v41
	v_mbcnt_lo_u32_b32 v218, v39, 0
	v_cmp_ne_u32_e64 s22, 0, v39
	v_cmp_eq_u32_e32 vcc_lo, 0, v218
	s_and_b32 s23, s22, vcc_lo
	s_and_saveexec_b32 s22, s23
	s_cbranch_execz .LBB502_480
; %bb.479:                              ;   in Loop: Header=BB502_410 Depth=2
	s_waitcnt lgkmcnt(0)
	v_bcnt_u32_b32 v39, v39, v217
	ds_write_b32 v219, v39 offset:544
.LBB502_480:                            ;   in Loop: Header=BB502_410 Depth=2
	s_or_b32 exec_lo, exec_lo, s22
	v_lshrrev_b32_e32 v39, s61, v3
	; wave barrier
	v_and_b32_e32 v40, s62, v39
	v_and_b32_e32 v39, 1, v40
	v_lshlrev_b32_e32 v41, 30, v40
	v_lshlrev_b32_e32 v42, 29, v40
	;; [unrolled: 1-line block ×4, first 2 shown]
	v_add_co_u32 v39, s22, v39, -1
	v_cndmask_b32_e64 v220, 0, 1, s22
	v_not_b32_e32 v224, v41
	v_cmp_gt_i32_e64 s22, 0, v41
	v_not_b32_e32 v41, v42
	v_lshlrev_b32_e32 v223, 26, v40
	v_cmp_ne_u32_e32 vcc_lo, 0, v220
	v_ashrrev_i32_e32 v224, 31, v224
	v_lshlrev_b32_e32 v220, 25, v40
	v_ashrrev_i32_e32 v41, 31, v41
	v_xor_b32_e32 v39, vcc_lo, v39
	v_cmp_gt_i32_e32 vcc_lo, 0, v42
	v_not_b32_e32 v42, v221
	v_xor_b32_e32 v224, s22, v224
	v_cmp_gt_i32_e64 s22, 0, v221
	v_and_b32_e32 v39, exec_lo, v39
	v_not_b32_e32 v221, v222
	v_ashrrev_i32_e32 v42, 31, v42
	v_xor_b32_e32 v41, vcc_lo, v41
	v_cmp_gt_i32_e32 vcc_lo, 0, v222
	v_and_b32_e32 v39, v39, v224
	v_not_b32_e32 v222, v223
	v_ashrrev_i32_e32 v221, 31, v221
	v_xor_b32_e32 v42, s22, v42
	v_cmp_gt_i32_e64 s22, 0, v223
	v_and_b32_e32 v39, v39, v41
	v_not_b32_e32 v41, v220
	v_ashrrev_i32_e32 v222, 31, v222
	v_xor_b32_e32 v221, vcc_lo, v221
	v_cmp_gt_i32_e32 vcc_lo, 0, v220
	v_and_b32_e32 v39, v39, v42
	v_ashrrev_i32_e32 v41, 31, v41
	v_xor_b32_e32 v42, s22, v222
	v_mad_u32_u24 v220, v40, 36, v136
	v_mul_u32_u24_e32 v40, 36, v40
	v_and_b32_e32 v39, v39, v221
	v_xor_b32_e32 v41, vcc_lo, v41
	ds_read_b32 v220, v220 offset:544
	v_add_nc_u32_e32 v222, v136, v40
	v_and_b32_e32 v39, v39, v42
	; wave barrier
	v_and_b32_e32 v39, v39, v41
	v_mbcnt_lo_u32_b32 v221, v39, 0
	v_cmp_ne_u32_e64 s22, 0, v39
	v_cmp_eq_u32_e32 vcc_lo, 0, v221
	s_and_b32 s23, s22, vcc_lo
	s_and_saveexec_b32 s22, s23
	s_cbranch_execz .LBB502_482
; %bb.481:                              ;   in Loop: Header=BB502_410 Depth=2
	s_waitcnt lgkmcnt(0)
	v_bcnt_u32_b32 v39, v39, v220
	ds_write_b32 v222, v39 offset:544
.LBB502_482:                            ;   in Loop: Header=BB502_410 Depth=2
	s_or_b32 exec_lo, exec_lo, s22
	; wave barrier
	s_waitcnt lgkmcnt(0)
	s_barrier
	buffer_gl0_inv
	ds_read2_b32 v[41:42], v68 offset0:136 offset1:137
	ds_read2_b32 v[39:40], v68 offset0:138 offset1:139
	ds_read_b32 v223, v68 offset:560
	s_waitcnt lgkmcnt(1)
	v_add3_u32 v224, v42, v41, v39
	s_waitcnt lgkmcnt(0)
	v_add3_u32 v223, v224, v40, v223
	v_mov_b32_dpp v224, v223 row_shr:1 row_mask:0xf bank_mask:0xf
	v_cndmask_b32_e64 v224, v224, 0, s5
	v_add_nc_u32_e32 v223, v224, v223
	v_mov_b32_dpp v224, v223 row_shr:2 row_mask:0xf bank_mask:0xf
	v_cndmask_b32_e64 v224, 0, v224, s15
	v_add_nc_u32_e32 v223, v223, v224
	;; [unrolled: 3-line block ×4, first 2 shown]
	ds_swizzle_b32 v224, v223 offset:swizzle(BROADCAST,32,15)
	s_waitcnt lgkmcnt(0)
	v_cndmask_b32_e64 v224, v224, 0, s18
	v_add_nc_u32_e32 v223, v223, v224
	s_and_saveexec_b32 s22, s4
; %bb.483:                              ;   in Loop: Header=BB502_410 Depth=2
	ds_write_b32 v62, v223 offset:512
; %bb.484:                              ;   in Loop: Header=BB502_410 Depth=2
	s_or_b32 exec_lo, exec_lo, s22
	s_waitcnt lgkmcnt(0)
	s_barrier
	buffer_gl0_inv
	s_and_saveexec_b32 s22, s11
	s_cbranch_execz .LBB502_486
; %bb.485:                              ;   in Loop: Header=BB502_410 Depth=2
	ds_read_b32 v224, v69 offset:512
	s_waitcnt lgkmcnt(0)
	v_mov_b32_dpp v225, v224 row_shr:1 row_mask:0xf bank_mask:0xf
	v_cndmask_b32_e64 v225, v225, 0, s19
	v_add_nc_u32_e32 v224, v225, v224
	v_mov_b32_dpp v225, v224 row_shr:2 row_mask:0xf bank_mask:0xf
	v_cndmask_b32_e64 v225, 0, v225, s20
	v_add_nc_u32_e32 v224, v224, v225
	;; [unrolled: 3-line block ×3, first 2 shown]
	ds_write_b32 v69, v224 offset:512
.LBB502_486:                            ;   in Loop: Header=BB502_410 Depth=2
	s_or_b32 exec_lo, exec_lo, s22
	v_mov_b32_e32 v224, 0
	s_waitcnt lgkmcnt(0)
	s_barrier
	buffer_gl0_inv
	s_and_saveexec_b32 s22, s10
; %bb.487:                              ;   in Loop: Header=BB502_410 Depth=2
	ds_read_b32 v224, v62 offset:508
; %bb.488:                              ;   in Loop: Header=BB502_410 Depth=2
	s_or_b32 exec_lo, exec_lo, s22
	s_waitcnt lgkmcnt(0)
	v_add_nc_u32_e32 v223, v224, v223
	ds_bpermute_b32 v223, v131, v223
	s_waitcnt lgkmcnt(0)
	v_cndmask_b32_e64 v223, v223, v224, s14
	v_cndmask_b32_e64 v223, v223, 0, s12
	v_add_nc_u32_e32 v41, v223, v41
	v_add_nc_u32_e32 v42, v41, v42
	;; [unrolled: 1-line block ×4, first 2 shown]
	ds_write2_b32 v68, v223, v41 offset0:136 offset1:137
	ds_write2_b32 v68, v42, v39 offset0:138 offset1:139
	ds_write_b32 v68, v40 offset:560
	s_waitcnt lgkmcnt(0)
	s_barrier
	buffer_gl0_inv
	ds_read_b32 v41, v160 offset:544
	ds_read_b32 v42, v164 offset:544
	;; [unrolled: 1-line block ×17, first 2 shown]
	s_and_saveexec_b32 s22, s7
	s_cbranch_execz .LBB502_492
; %bb.489:                              ;   in Loop: Header=BB502_410 Depth=2
	ds_read_b32 v152, v71 offset:544
	v_mov_b32_e32 v155, 0x1100
	s_and_saveexec_b32 s23, s13
; %bb.490:                              ;   in Loop: Header=BB502_410 Depth=2
	ds_read_b32 v155, v70 offset:544
; %bb.491:                              ;   in Loop: Header=BB502_410 Depth=2
	s_or_b32 exec_lo, exec_lo, s23
	s_waitcnt lgkmcnt(0)
	v_sub_nc_u32_e32 v155, v155, v152
.LBB502_492:                            ;   in Loop: Header=BB502_410 Depth=2
	s_or_b32 exec_lo, exec_lo, s22
	s_waitcnt lgkmcnt(0)
	s_barrier
	buffer_gl0_inv
	s_and_saveexec_b32 s22, s7
	s_cbranch_execz .LBB502_494
; %bb.493:                              ;   in Loop: Header=BB502_410 Depth=2
	ds_read_b32 v169, v43
	s_waitcnt lgkmcnt(0)
	v_sub_nc_u32_e32 v169, v169, v152
	ds_write_b32 v43, v169
.LBB502_494:                            ;   in Loop: Header=BB502_410 Depth=2
	s_or_b32 exec_lo, exec_lo, s22
	v_add_nc_u32_e32 v179, v41, v159
	v_add3_u32 v178, v163, v162, v42
	v_add3_u32 v174, v167, v166, v164
	;; [unrolled: 1-line block ×5, first 2 shown]
	v_lshlrev_b32_e32 v176, 2, v179
	v_lshlrev_b32_e32 v177, 2, v178
	v_add3_u32 v162, v218, v217, v39
	v_lshlrev_b32_e32 v39, 2, v174
	v_add3_u32 v171, v182, v181, v184
	v_add3_u32 v168, v192, v191, v193
	;; [unrolled: 1-line block ×5, first 2 shown]
	ds_write_b32 v176, v157 offset:512
	ds_write_b32 v177, v158 offset:512
	v_lshlrev_b32_e32 v40, 2, v173
	ds_write_b32 v39, v161 offset:512
	v_lshlrev_b32_e32 v39, 2, v169
	v_add3_u32 v166, v198, v197, v199
	v_lshlrev_b32_e32 v157, 2, v172
	v_add3_u32 v164, v202, v201, v203
	;; [unrolled: 2-line block ×3, first 2 shown]
	v_add3_u32 v42, v209, v208, v225
	ds_write_b32 v40, v165 offset:512
	ds_write_b32 v157, v170 offset:512
	ds_write_b32 v158, v175 offset:512
	v_lshlrev_b32_e32 v40, 2, v168
	ds_write_b32 v39, v180 offset:512
	v_lshlrev_b32_e32 v39, 2, v167
	v_lshlrev_b32_e32 v157, 2, v166
	;; [unrolled: 1-line block ×3, first 2 shown]
	v_add3_u32 v41, v212, v211, v226
	ds_write_b32 v40, v185 offset:512
	v_lshlrev_b32_e32 v40, 2, v163
	ds_write_b32 v39, v190 offset:512
	ds_write_b32 v157, v188 offset:512
	;; [unrolled: 1-line block ×3, first 2 shown]
	v_lshlrev_b32_e32 v39, 2, v42
	v_cmp_lt_u32_e32 vcc_lo, v0, v156
	v_lshlrev_b32_e32 v157, 2, v159
	ds_write_b32 v40, v200 offset:512
	v_lshlrev_b32_e32 v40, 2, v41
	ds_write_b32 v39, v204 offset:512
	v_lshlrev_b32_e32 v39, 2, v160
	v_lshlrev_b32_e32 v158, 2, v162
	ds_write_b32 v40, v207 offset:512
	ds_write_b32 v157, v210 offset:512
	;; [unrolled: 1-line block ×4, first 2 shown]
	s_waitcnt lgkmcnt(0)
	s_barrier
	buffer_gl0_inv
	s_and_saveexec_b32 s23, vcc_lo
	s_cbranch_execnz .LBB502_567
; %bb.495:                              ;   in Loop: Header=BB502_410 Depth=2
	s_or_b32 exec_lo, exec_lo, s23
	v_cmp_lt_u32_e64 s22, v44, v156
	s_and_saveexec_b32 s24, s22
	s_cbranch_execnz .LBB502_568
.LBB502_496:                            ;   in Loop: Header=BB502_410 Depth=2
	s_or_b32 exec_lo, exec_lo, s24
	v_cmp_lt_u32_e64 s23, v47, v156
	s_and_saveexec_b32 s25, s23
	s_cbranch_execnz .LBB502_569
.LBB502_497:                            ;   in Loop: Header=BB502_410 Depth=2
	s_or_b32 exec_lo, exec_lo, s25
	v_cmp_lt_u32_e64 s24, v48, v156
	s_and_saveexec_b32 s26, s24
	s_cbranch_execnz .LBB502_570
.LBB502_498:                            ;   in Loop: Header=BB502_410 Depth=2
	s_or_b32 exec_lo, exec_lo, s26
	v_cmp_lt_u32_e64 s25, v49, v156
	s_and_saveexec_b32 s27, s25
	s_cbranch_execnz .LBB502_571
.LBB502_499:                            ;   in Loop: Header=BB502_410 Depth=2
	s_or_b32 exec_lo, exec_lo, s27
	v_cmp_lt_u32_e64 s26, v50, v156
	s_and_saveexec_b32 s29, s26
	s_cbranch_execnz .LBB502_572
.LBB502_500:                            ;   in Loop: Header=BB502_410 Depth=2
	s_or_b32 exec_lo, exec_lo, s29
	v_cmp_lt_u32_e64 s27, v51, v156
	s_and_saveexec_b32 s30, s27
	s_cbranch_execnz .LBB502_573
.LBB502_501:                            ;   in Loop: Header=BB502_410 Depth=2
	s_or_b32 exec_lo, exec_lo, s30
	v_cmp_lt_u32_e64 s29, v52, v156
	s_and_saveexec_b32 s31, s29
	s_cbranch_execnz .LBB502_574
.LBB502_502:                            ;   in Loop: Header=BB502_410 Depth=2
	s_or_b32 exec_lo, exec_lo, s31
	v_cmp_lt_u32_e64 s30, v53, v156
	s_and_saveexec_b32 s33, s30
	s_cbranch_execnz .LBB502_575
.LBB502_503:                            ;   in Loop: Header=BB502_410 Depth=2
	s_or_b32 exec_lo, exec_lo, s33
	v_cmp_lt_u32_e64 s31, v54, v156
	s_and_saveexec_b32 s34, s31
	s_cbranch_execnz .LBB502_576
.LBB502_504:                            ;   in Loop: Header=BB502_410 Depth=2
	s_or_b32 exec_lo, exec_lo, s34
	v_cmp_lt_u32_e64 s33, v55, v156
	s_and_saveexec_b32 s35, s33
	s_cbranch_execnz .LBB502_577
.LBB502_505:                            ;   in Loop: Header=BB502_410 Depth=2
	s_or_b32 exec_lo, exec_lo, s35
	v_cmp_lt_u32_e64 s34, v56, v156
	s_and_saveexec_b32 s36, s34
	s_cbranch_execnz .LBB502_578
.LBB502_506:                            ;   in Loop: Header=BB502_410 Depth=2
	s_or_b32 exec_lo, exec_lo, s36
	v_cmp_lt_u32_e64 s35, v57, v156
	s_and_saveexec_b32 s37, s35
	s_cbranch_execnz .LBB502_579
.LBB502_507:                            ;   in Loop: Header=BB502_410 Depth=2
	s_or_b32 exec_lo, exec_lo, s37
	v_cmp_lt_u32_e64 s36, v58, v156
	s_and_saveexec_b32 s38, s36
	s_cbranch_execnz .LBB502_580
.LBB502_508:                            ;   in Loop: Header=BB502_410 Depth=2
	s_or_b32 exec_lo, exec_lo, s38
	v_cmp_lt_u32_e64 s37, v59, v156
	s_and_saveexec_b32 s39, s37
	s_cbranch_execnz .LBB502_581
.LBB502_509:                            ;   in Loop: Header=BB502_410 Depth=2
	s_or_b32 exec_lo, exec_lo, s39
	v_cmp_lt_u32_e64 s38, v60, v156
	s_and_saveexec_b32 s40, s38
	s_cbranch_execnz .LBB502_582
.LBB502_510:                            ;   in Loop: Header=BB502_410 Depth=2
	s_or_b32 exec_lo, exec_lo, s40
	v_cmp_lt_u32_e64 s39, v61, v156
	s_and_saveexec_b32 s65, s39
	s_cbranch_execz .LBB502_512
.LBB502_511:                            ;   in Loop: Header=BB502_410 Depth=2
	ds_read_b32 v157, v69 offset:16896
	s_waitcnt lgkmcnt(0)
	v_lshrrev_b32_e32 v3, s61, v157
	v_and_b32_e32 v3, s62, v3
	v_lshlrev_b32_e32 v3, 2, v3
	ds_read_b32 v3, v3
	s_waitcnt lgkmcnt(0)
	v_add_nc_u32_e32 v3, v3, v61
	v_lshlrev_b64 v[39:40], 2, v[3:4]
	v_xor_b32_e32 v3, 0x7fffffff, v157
	v_add_co_u32 v39, s40, s48, v39
	v_add_co_ci_u32_e64 v40, null, s49, v40, s40
	global_store_dword v[39:40], v3, off
.LBB502_512:                            ;   in Loop: Header=BB502_410 Depth=2
	s_or_b32 exec_lo, exec_lo, s65
	s_lshl_b64 s[66:67], s[50:51], 3
	v_add_co_u32 v39, s40, v132, s66
	v_add_co_ci_u32_e64 v40, null, s67, v133, s40
	v_cmp_lt_u32_e64 s40, v109, v156
	s_and_saveexec_b32 s50, s40
	s_xor_b32 s40, exec_lo, s50
	s_cbranch_execnz .LBB502_583
; %bb.513:                              ;   in Loop: Header=BB502_410 Depth=2
	s_or_b32 exec_lo, exec_lo, s40
	s_mov_b32 s50, exec_lo
	v_cmpx_lt_u32_e64 v112, v156
	s_cbranch_execnz .LBB502_584
.LBB502_514:                            ;   in Loop: Header=BB502_410 Depth=2
	s_or_b32 exec_lo, exec_lo, s50
	s_mov_b32 s50, exec_lo
	v_cmpx_lt_u32_e64 v113, v156
	s_cbranch_execnz .LBB502_585
.LBB502_515:                            ;   in Loop: Header=BB502_410 Depth=2
	s_or_b32 exec_lo, exec_lo, s50
	s_mov_b32 s50, exec_lo
	v_cmpx_lt_u32_e64 v114, v156
	s_cbranch_execnz .LBB502_586
.LBB502_516:                            ;   in Loop: Header=BB502_410 Depth=2
	s_or_b32 exec_lo, exec_lo, s50
	s_mov_b32 s50, exec_lo
	v_cmpx_lt_u32_e64 v115, v156
	s_cbranch_execnz .LBB502_587
.LBB502_517:                            ;   in Loop: Header=BB502_410 Depth=2
	s_or_b32 exec_lo, exec_lo, s50
	s_mov_b32 s50, exec_lo
	v_cmpx_lt_u32_e64 v116, v156
	s_cbranch_execnz .LBB502_588
.LBB502_518:                            ;   in Loop: Header=BB502_410 Depth=2
	s_or_b32 exec_lo, exec_lo, s50
	s_mov_b32 s50, exec_lo
	v_cmpx_lt_u32_e64 v117, v156
	s_cbranch_execnz .LBB502_589
.LBB502_519:                            ;   in Loop: Header=BB502_410 Depth=2
	s_or_b32 exec_lo, exec_lo, s50
	s_mov_b32 s50, exec_lo
	v_cmpx_lt_u32_e64 v118, v156
	s_cbranch_execnz .LBB502_590
.LBB502_520:                            ;   in Loop: Header=BB502_410 Depth=2
	s_or_b32 exec_lo, exec_lo, s50
	s_mov_b32 s50, exec_lo
	v_cmpx_lt_u32_e64 v119, v156
	s_cbranch_execnz .LBB502_591
.LBB502_521:                            ;   in Loop: Header=BB502_410 Depth=2
	s_or_b32 exec_lo, exec_lo, s50
	s_mov_b32 s50, exec_lo
	v_cmpx_lt_u32_e64 v120, v156
	s_cbranch_execnz .LBB502_592
.LBB502_522:                            ;   in Loop: Header=BB502_410 Depth=2
	s_or_b32 exec_lo, exec_lo, s50
	s_mov_b32 s50, exec_lo
	v_cmpx_lt_u32_e64 v121, v156
	s_cbranch_execnz .LBB502_593
.LBB502_523:                            ;   in Loop: Header=BB502_410 Depth=2
	s_or_b32 exec_lo, exec_lo, s50
	s_mov_b32 s50, exec_lo
	v_cmpx_lt_u32_e64 v122, v156
	s_cbranch_execnz .LBB502_594
.LBB502_524:                            ;   in Loop: Header=BB502_410 Depth=2
	s_or_b32 exec_lo, exec_lo, s50
	s_mov_b32 s50, exec_lo
	v_cmpx_lt_u32_e64 v123, v156
	s_cbranch_execnz .LBB502_595
.LBB502_525:                            ;   in Loop: Header=BB502_410 Depth=2
	s_or_b32 exec_lo, exec_lo, s50
	s_mov_b32 s50, exec_lo
	v_cmpx_lt_u32_e64 v124, v156
	s_cbranch_execnz .LBB502_596
.LBB502_526:                            ;   in Loop: Header=BB502_410 Depth=2
	s_or_b32 exec_lo, exec_lo, s50
	s_mov_b32 s50, exec_lo
	v_cmpx_lt_u32_e64 v126, v156
	s_cbranch_execnz .LBB502_597
.LBB502_527:                            ;   in Loop: Header=BB502_410 Depth=2
	s_or_b32 exec_lo, exec_lo, s50
	s_mov_b32 s50, exec_lo
	v_cmpx_lt_u32_e64 v127, v156
	s_cbranch_execnz .LBB502_598
.LBB502_528:                            ;   in Loop: Header=BB502_410 Depth=2
	s_or_b32 exec_lo, exec_lo, s50
	s_mov_b32 s50, exec_lo
	v_cmpx_lt_u32_e64 v128, v156
	s_cbranch_execnz .LBB502_599
.LBB502_529:                            ;   in Loop: Header=BB502_410 Depth=2
	s_or_b32 exec_lo, exec_lo, s50
	s_and_saveexec_b32 s40, vcc_lo
	s_cbranch_execnz .LBB502_600
.LBB502_530:                            ;   in Loop: Header=BB502_410 Depth=2
	s_or_b32 exec_lo, exec_lo, s40
	s_and_saveexec_b32 s40, s22
	s_cbranch_execnz .LBB502_601
.LBB502_531:                            ;   in Loop: Header=BB502_410 Depth=2
	s_or_b32 exec_lo, exec_lo, s40
	s_and_saveexec_b32 s40, s23
	s_cbranch_execnz .LBB502_602
.LBB502_532:                            ;   in Loop: Header=BB502_410 Depth=2
	s_or_b32 exec_lo, exec_lo, s40
	s_and_saveexec_b32 s40, s24
	s_cbranch_execnz .LBB502_603
.LBB502_533:                            ;   in Loop: Header=BB502_410 Depth=2
	s_or_b32 exec_lo, exec_lo, s40
	s_and_saveexec_b32 s40, s25
	s_cbranch_execnz .LBB502_604
.LBB502_534:                            ;   in Loop: Header=BB502_410 Depth=2
	s_or_b32 exec_lo, exec_lo, s40
	s_and_saveexec_b32 s40, s26
	s_cbranch_execnz .LBB502_605
.LBB502_535:                            ;   in Loop: Header=BB502_410 Depth=2
	s_or_b32 exec_lo, exec_lo, s40
	s_and_saveexec_b32 s40, s27
	s_cbranch_execnz .LBB502_606
.LBB502_536:                            ;   in Loop: Header=BB502_410 Depth=2
	s_or_b32 exec_lo, exec_lo, s40
	s_and_saveexec_b32 s40, s29
	s_cbranch_execnz .LBB502_607
.LBB502_537:                            ;   in Loop: Header=BB502_410 Depth=2
	s_or_b32 exec_lo, exec_lo, s40
	s_and_saveexec_b32 s40, s30
	s_cbranch_execnz .LBB502_608
.LBB502_538:                            ;   in Loop: Header=BB502_410 Depth=2
	s_or_b32 exec_lo, exec_lo, s40
	s_and_saveexec_b32 s40, s31
	s_cbranch_execnz .LBB502_609
.LBB502_539:                            ;   in Loop: Header=BB502_410 Depth=2
	s_or_b32 exec_lo, exec_lo, s40
	s_and_saveexec_b32 s40, s33
	s_cbranch_execnz .LBB502_610
.LBB502_540:                            ;   in Loop: Header=BB502_410 Depth=2
	s_or_b32 exec_lo, exec_lo, s40
	s_and_saveexec_b32 s40, s34
	s_cbranch_execnz .LBB502_611
.LBB502_541:                            ;   in Loop: Header=BB502_410 Depth=2
	s_or_b32 exec_lo, exec_lo, s40
	s_and_saveexec_b32 s40, s35
	s_cbranch_execnz .LBB502_612
.LBB502_542:                            ;   in Loop: Header=BB502_410 Depth=2
	s_or_b32 exec_lo, exec_lo, s40
	s_and_saveexec_b32 s40, s36
	s_cbranch_execnz .LBB502_613
.LBB502_543:                            ;   in Loop: Header=BB502_410 Depth=2
	s_or_b32 exec_lo, exec_lo, s40
	s_and_saveexec_b32 s40, s37
	s_cbranch_execnz .LBB502_614
.LBB502_544:                            ;   in Loop: Header=BB502_410 Depth=2
	s_or_b32 exec_lo, exec_lo, s40
	s_and_saveexec_b32 s40, s38
	s_cbranch_execnz .LBB502_615
.LBB502_545:                            ;   in Loop: Header=BB502_410 Depth=2
	s_or_b32 exec_lo, exec_lo, s40
	s_and_saveexec_b32 s40, s39
	s_cbranch_execz .LBB502_547
.LBB502_546:                            ;   in Loop: Header=BB502_410 Depth=2
	ds_read_b32 v3, v69 offset:16896
	s_waitcnt lgkmcnt(0)
	v_lshrrev_b32_e32 v3, s61, v3
	v_and_b32_e32 v137, s62, v3
.LBB502_547:                            ;   in Loop: Header=BB502_410 Depth=2
	s_or_b32 exec_lo, exec_lo, s40
	v_lshlrev_b32_e32 v3, 3, v179
	v_lshlrev_b32_e32 v39, 3, v178
	s_waitcnt vmcnt(0)
	s_waitcnt_vscnt null, 0x0
	s_barrier
	buffer_gl0_inv
	ds_write_b64 v3, v[37:38] offset:512
	ds_write_b64 v39, v[35:36] offset:512
	v_lshlrev_b32_e32 v3, 3, v174
	v_lshlrev_b32_e32 v39, 3, v173
	v_lshlrev_b32_e32 v40, 3, v172
	v_lshlrev_b32_e32 v156, 3, v171
	v_lshlrev_b32_e32 v157, 3, v169
	ds_write_b64 v3, v[33:34] offset:512
	ds_write_b64 v39, v[31:32] offset:512
	ds_write_b64 v40, v[29:30] offset:512
	ds_write_b64 v156, v[25:26] offset:512
	ds_write_b64 v157, v[21:22] offset:512
	v_lshlrev_b32_e32 v3, 3, v168
	v_lshlrev_b32_e32 v39, 3, v167
	v_lshlrev_b32_e32 v40, 3, v166
	v_lshlrev_b32_e32 v156, 3, v164
	v_lshlrev_b32_e32 v157, 3, v163
	ds_write_b64 v3, v[17:18] offset:512
	ds_write_b64 v39, v[27:28] offset:512
	ds_write_b64 v40, v[23:24] offset:512
	;; [unrolled: 10-line block ×3, first 2 shown]
	ds_write_b64 v41, v[7:8] offset:512
	ds_write_b64 v42, v[5:6] offset:512
	s_waitcnt lgkmcnt(0)
	s_barrier
	buffer_gl0_inv
	s_and_saveexec_b32 s40, vcc_lo
	s_cbranch_execnz .LBB502_616
; %bb.548:                              ;   in Loop: Header=BB502_410 Depth=2
	s_or_b32 exec_lo, exec_lo, s40
	s_and_saveexec_b32 s40, s22
	s_cbranch_execnz .LBB502_617
.LBB502_549:                            ;   in Loop: Header=BB502_410 Depth=2
	s_or_b32 exec_lo, exec_lo, s40
	s_and_saveexec_b32 s22, s23
	s_cbranch_execnz .LBB502_618
.LBB502_550:                            ;   in Loop: Header=BB502_410 Depth=2
	s_or_b32 exec_lo, exec_lo, s22
	s_and_saveexec_b32 s22, s24
	s_cbranch_execnz .LBB502_619
.LBB502_551:                            ;   in Loop: Header=BB502_410 Depth=2
	s_or_b32 exec_lo, exec_lo, s22
	s_and_saveexec_b32 s22, s25
	s_cbranch_execnz .LBB502_620
.LBB502_552:                            ;   in Loop: Header=BB502_410 Depth=2
	s_or_b32 exec_lo, exec_lo, s22
	s_and_saveexec_b32 s22, s26
	s_cbranch_execnz .LBB502_621
.LBB502_553:                            ;   in Loop: Header=BB502_410 Depth=2
	s_or_b32 exec_lo, exec_lo, s22
	s_and_saveexec_b32 s22, s27
	s_cbranch_execnz .LBB502_622
.LBB502_554:                            ;   in Loop: Header=BB502_410 Depth=2
	s_or_b32 exec_lo, exec_lo, s22
	s_and_saveexec_b32 s22, s29
	s_cbranch_execnz .LBB502_623
.LBB502_555:                            ;   in Loop: Header=BB502_410 Depth=2
	s_or_b32 exec_lo, exec_lo, s22
	s_and_saveexec_b32 s22, s30
	s_cbranch_execnz .LBB502_624
.LBB502_556:                            ;   in Loop: Header=BB502_410 Depth=2
	s_or_b32 exec_lo, exec_lo, s22
	s_and_saveexec_b32 s22, s31
	s_cbranch_execnz .LBB502_625
.LBB502_557:                            ;   in Loop: Header=BB502_410 Depth=2
	s_or_b32 exec_lo, exec_lo, s22
	s_and_saveexec_b32 s22, s33
	s_cbranch_execnz .LBB502_626
.LBB502_558:                            ;   in Loop: Header=BB502_410 Depth=2
	s_or_b32 exec_lo, exec_lo, s22
	s_and_saveexec_b32 s22, s34
	s_cbranch_execnz .LBB502_627
.LBB502_559:                            ;   in Loop: Header=BB502_410 Depth=2
	s_or_b32 exec_lo, exec_lo, s22
	s_and_saveexec_b32 s22, s35
	s_cbranch_execnz .LBB502_628
.LBB502_560:                            ;   in Loop: Header=BB502_410 Depth=2
	s_or_b32 exec_lo, exec_lo, s22
	s_and_saveexec_b32 s22, s36
	s_cbranch_execnz .LBB502_629
.LBB502_561:                            ;   in Loop: Header=BB502_410 Depth=2
	s_or_b32 exec_lo, exec_lo, s22
	s_and_saveexec_b32 s22, s37
	s_cbranch_execnz .LBB502_630
.LBB502_562:                            ;   in Loop: Header=BB502_410 Depth=2
	s_or_b32 exec_lo, exec_lo, s22
	s_and_saveexec_b32 s22, s38
	s_cbranch_execnz .LBB502_631
.LBB502_563:                            ;   in Loop: Header=BB502_410 Depth=2
	s_or_b32 exec_lo, exec_lo, s22
	s_and_saveexec_b32 s22, s39
	s_cbranch_execz .LBB502_565
.LBB502_564:                            ;   in Loop: Header=BB502_410 Depth=2
	v_lshlrev_b32_e32 v3, 2, v137
	v_add_nc_u32_e32 v39, v69, v43
	ds_read_b32 v3, v3
	ds_read_b64 v[39:40], v39 offset:33280
	s_waitcnt lgkmcnt(1)
	v_add_nc_u32_e32 v3, v3, v61
	v_lshlrev_b64 v[41:42], 3, v[3:4]
	v_add_co_u32 v41, vcc_lo, s54, v41
	v_add_co_ci_u32_e64 v42, null, s55, v42, vcc_lo
	s_waitcnt lgkmcnt(0)
	global_store_dwordx2 v[41:42], v[39:40], off
.LBB502_565:                            ;   in Loop: Header=BB502_410 Depth=2
	s_or_b32 exec_lo, exec_lo, s22
	s_waitcnt_vscnt null, 0x0
	s_barrier
	buffer_gl0_inv
	s_and_saveexec_b32 s22, s7
	s_cbranch_execz .LBB502_409
; %bb.566:                              ;   in Loop: Header=BB502_410 Depth=2
	ds_read_b32 v3, v43
	s_waitcnt lgkmcnt(0)
	v_add3_u32 v3, v152, v155, v3
	ds_write_b32 v43, v3
	s_branch .LBB502_409
.LBB502_567:                            ;   in Loop: Header=BB502_410 Depth=2
	ds_read_b32 v157, v69 offset:512
	s_waitcnt lgkmcnt(0)
	v_lshrrev_b32_e32 v3, s61, v157
	v_and_b32_e32 v3, s62, v3
	v_lshlrev_b32_e32 v3, 2, v3
	ds_read_b32 v3, v3
	s_waitcnt lgkmcnt(0)
	v_add_nc_u32_e32 v3, v3, v0
	v_lshlrev_b64 v[39:40], 2, v[3:4]
	v_xor_b32_e32 v3, 0x7fffffff, v157
	v_add_co_u32 v39, s22, s48, v39
	v_add_co_ci_u32_e64 v40, null, s49, v40, s22
	global_store_dword v[39:40], v3, off
	s_or_b32 exec_lo, exec_lo, s23
	v_cmp_lt_u32_e64 s22, v44, v156
	s_and_saveexec_b32 s24, s22
	s_cbranch_execz .LBB502_496
.LBB502_568:                            ;   in Loop: Header=BB502_410 Depth=2
	ds_read_b32 v157, v69 offset:1536
	s_waitcnt lgkmcnt(0)
	v_lshrrev_b32_e32 v3, s61, v157
	v_and_b32_e32 v3, s62, v3
	v_lshlrev_b32_e32 v3, 2, v3
	ds_read_b32 v3, v3
	s_waitcnt lgkmcnt(0)
	v_add_nc_u32_e32 v3, v3, v44
	v_lshlrev_b64 v[39:40], 2, v[3:4]
	v_xor_b32_e32 v3, 0x7fffffff, v157
	v_add_co_u32 v39, s23, s48, v39
	v_add_co_ci_u32_e64 v40, null, s49, v40, s23
	global_store_dword v[39:40], v3, off
	s_or_b32 exec_lo, exec_lo, s24
	v_cmp_lt_u32_e64 s23, v47, v156
	s_and_saveexec_b32 s25, s23
	s_cbranch_execz .LBB502_497
.LBB502_569:                            ;   in Loop: Header=BB502_410 Depth=2
	ds_read_b32 v157, v69 offset:2560
	s_waitcnt lgkmcnt(0)
	v_lshrrev_b32_e32 v3, s61, v157
	v_and_b32_e32 v3, s62, v3
	v_lshlrev_b32_e32 v3, 2, v3
	ds_read_b32 v3, v3
	s_waitcnt lgkmcnt(0)
	v_add_nc_u32_e32 v3, v3, v47
	v_lshlrev_b64 v[39:40], 2, v[3:4]
	v_xor_b32_e32 v3, 0x7fffffff, v157
	v_add_co_u32 v39, s24, s48, v39
	v_add_co_ci_u32_e64 v40, null, s49, v40, s24
	global_store_dword v[39:40], v3, off
	s_or_b32 exec_lo, exec_lo, s25
	v_cmp_lt_u32_e64 s24, v48, v156
	s_and_saveexec_b32 s26, s24
	s_cbranch_execz .LBB502_498
.LBB502_570:                            ;   in Loop: Header=BB502_410 Depth=2
	ds_read_b32 v157, v69 offset:3584
	s_waitcnt lgkmcnt(0)
	v_lshrrev_b32_e32 v3, s61, v157
	v_and_b32_e32 v3, s62, v3
	v_lshlrev_b32_e32 v3, 2, v3
	ds_read_b32 v3, v3
	s_waitcnt lgkmcnt(0)
	v_add_nc_u32_e32 v3, v3, v48
	v_lshlrev_b64 v[39:40], 2, v[3:4]
	v_xor_b32_e32 v3, 0x7fffffff, v157
	v_add_co_u32 v39, s25, s48, v39
	v_add_co_ci_u32_e64 v40, null, s49, v40, s25
	global_store_dword v[39:40], v3, off
	s_or_b32 exec_lo, exec_lo, s26
	v_cmp_lt_u32_e64 s25, v49, v156
	s_and_saveexec_b32 s27, s25
	s_cbranch_execz .LBB502_499
.LBB502_571:                            ;   in Loop: Header=BB502_410 Depth=2
	ds_read_b32 v157, v69 offset:4608
	s_waitcnt lgkmcnt(0)
	v_lshrrev_b32_e32 v3, s61, v157
	v_and_b32_e32 v3, s62, v3
	v_lshlrev_b32_e32 v3, 2, v3
	ds_read_b32 v3, v3
	s_waitcnt lgkmcnt(0)
	v_add_nc_u32_e32 v3, v3, v49
	v_lshlrev_b64 v[39:40], 2, v[3:4]
	v_xor_b32_e32 v3, 0x7fffffff, v157
	v_add_co_u32 v39, s26, s48, v39
	v_add_co_ci_u32_e64 v40, null, s49, v40, s26
	global_store_dword v[39:40], v3, off
	s_or_b32 exec_lo, exec_lo, s27
	v_cmp_lt_u32_e64 s26, v50, v156
	s_and_saveexec_b32 s29, s26
	s_cbranch_execz .LBB502_500
.LBB502_572:                            ;   in Loop: Header=BB502_410 Depth=2
	ds_read_b32 v157, v69 offset:5632
	s_waitcnt lgkmcnt(0)
	v_lshrrev_b32_e32 v3, s61, v157
	v_and_b32_e32 v3, s62, v3
	v_lshlrev_b32_e32 v3, 2, v3
	ds_read_b32 v3, v3
	s_waitcnt lgkmcnt(0)
	v_add_nc_u32_e32 v3, v3, v50
	v_lshlrev_b64 v[39:40], 2, v[3:4]
	v_xor_b32_e32 v3, 0x7fffffff, v157
	v_add_co_u32 v39, s27, s48, v39
	v_add_co_ci_u32_e64 v40, null, s49, v40, s27
	global_store_dword v[39:40], v3, off
	s_or_b32 exec_lo, exec_lo, s29
	v_cmp_lt_u32_e64 s27, v51, v156
	s_and_saveexec_b32 s30, s27
	s_cbranch_execz .LBB502_501
.LBB502_573:                            ;   in Loop: Header=BB502_410 Depth=2
	ds_read_b32 v157, v69 offset:6656
	s_waitcnt lgkmcnt(0)
	v_lshrrev_b32_e32 v3, s61, v157
	v_and_b32_e32 v3, s62, v3
	v_lshlrev_b32_e32 v3, 2, v3
	ds_read_b32 v3, v3
	s_waitcnt lgkmcnt(0)
	v_add_nc_u32_e32 v3, v3, v51
	v_lshlrev_b64 v[39:40], 2, v[3:4]
	v_xor_b32_e32 v3, 0x7fffffff, v157
	v_add_co_u32 v39, s29, s48, v39
	v_add_co_ci_u32_e64 v40, null, s49, v40, s29
	global_store_dword v[39:40], v3, off
	s_or_b32 exec_lo, exec_lo, s30
	v_cmp_lt_u32_e64 s29, v52, v156
	s_and_saveexec_b32 s31, s29
	s_cbranch_execz .LBB502_502
.LBB502_574:                            ;   in Loop: Header=BB502_410 Depth=2
	ds_read_b32 v157, v69 offset:7680
	s_waitcnt lgkmcnt(0)
	v_lshrrev_b32_e32 v3, s61, v157
	v_and_b32_e32 v3, s62, v3
	v_lshlrev_b32_e32 v3, 2, v3
	ds_read_b32 v3, v3
	s_waitcnt lgkmcnt(0)
	v_add_nc_u32_e32 v3, v3, v52
	v_lshlrev_b64 v[39:40], 2, v[3:4]
	v_xor_b32_e32 v3, 0x7fffffff, v157
	v_add_co_u32 v39, s30, s48, v39
	v_add_co_ci_u32_e64 v40, null, s49, v40, s30
	global_store_dword v[39:40], v3, off
	s_or_b32 exec_lo, exec_lo, s31
	v_cmp_lt_u32_e64 s30, v53, v156
	s_and_saveexec_b32 s33, s30
	s_cbranch_execz .LBB502_503
.LBB502_575:                            ;   in Loop: Header=BB502_410 Depth=2
	ds_read_b32 v157, v69 offset:8704
	s_waitcnt lgkmcnt(0)
	v_lshrrev_b32_e32 v3, s61, v157
	v_and_b32_e32 v3, s62, v3
	v_lshlrev_b32_e32 v3, 2, v3
	ds_read_b32 v3, v3
	s_waitcnt lgkmcnt(0)
	v_add_nc_u32_e32 v3, v3, v53
	v_lshlrev_b64 v[39:40], 2, v[3:4]
	v_xor_b32_e32 v3, 0x7fffffff, v157
	v_add_co_u32 v39, s31, s48, v39
	v_add_co_ci_u32_e64 v40, null, s49, v40, s31
	global_store_dword v[39:40], v3, off
	s_or_b32 exec_lo, exec_lo, s33
	v_cmp_lt_u32_e64 s31, v54, v156
	s_and_saveexec_b32 s34, s31
	s_cbranch_execz .LBB502_504
.LBB502_576:                            ;   in Loop: Header=BB502_410 Depth=2
	ds_read_b32 v157, v69 offset:9728
	s_waitcnt lgkmcnt(0)
	v_lshrrev_b32_e32 v3, s61, v157
	v_and_b32_e32 v3, s62, v3
	v_lshlrev_b32_e32 v3, 2, v3
	ds_read_b32 v3, v3
	s_waitcnt lgkmcnt(0)
	v_add_nc_u32_e32 v3, v3, v54
	v_lshlrev_b64 v[39:40], 2, v[3:4]
	v_xor_b32_e32 v3, 0x7fffffff, v157
	v_add_co_u32 v39, s33, s48, v39
	v_add_co_ci_u32_e64 v40, null, s49, v40, s33
	global_store_dword v[39:40], v3, off
	s_or_b32 exec_lo, exec_lo, s34
	v_cmp_lt_u32_e64 s33, v55, v156
	s_and_saveexec_b32 s35, s33
	s_cbranch_execz .LBB502_505
.LBB502_577:                            ;   in Loop: Header=BB502_410 Depth=2
	ds_read_b32 v157, v69 offset:10752
	s_waitcnt lgkmcnt(0)
	v_lshrrev_b32_e32 v3, s61, v157
	v_and_b32_e32 v3, s62, v3
	v_lshlrev_b32_e32 v3, 2, v3
	ds_read_b32 v3, v3
	s_waitcnt lgkmcnt(0)
	v_add_nc_u32_e32 v3, v3, v55
	v_lshlrev_b64 v[39:40], 2, v[3:4]
	v_xor_b32_e32 v3, 0x7fffffff, v157
	v_add_co_u32 v39, s34, s48, v39
	v_add_co_ci_u32_e64 v40, null, s49, v40, s34
	global_store_dword v[39:40], v3, off
	s_or_b32 exec_lo, exec_lo, s35
	v_cmp_lt_u32_e64 s34, v56, v156
	s_and_saveexec_b32 s36, s34
	s_cbranch_execz .LBB502_506
.LBB502_578:                            ;   in Loop: Header=BB502_410 Depth=2
	ds_read_b32 v157, v69 offset:11776
	s_waitcnt lgkmcnt(0)
	v_lshrrev_b32_e32 v3, s61, v157
	v_and_b32_e32 v3, s62, v3
	v_lshlrev_b32_e32 v3, 2, v3
	ds_read_b32 v3, v3
	s_waitcnt lgkmcnt(0)
	v_add_nc_u32_e32 v3, v3, v56
	v_lshlrev_b64 v[39:40], 2, v[3:4]
	v_xor_b32_e32 v3, 0x7fffffff, v157
	v_add_co_u32 v39, s35, s48, v39
	v_add_co_ci_u32_e64 v40, null, s49, v40, s35
	global_store_dword v[39:40], v3, off
	s_or_b32 exec_lo, exec_lo, s36
	v_cmp_lt_u32_e64 s35, v57, v156
	s_and_saveexec_b32 s37, s35
	s_cbranch_execz .LBB502_507
.LBB502_579:                            ;   in Loop: Header=BB502_410 Depth=2
	ds_read_b32 v157, v69 offset:12800
	s_waitcnt lgkmcnt(0)
	v_lshrrev_b32_e32 v3, s61, v157
	v_and_b32_e32 v3, s62, v3
	v_lshlrev_b32_e32 v3, 2, v3
	ds_read_b32 v3, v3
	s_waitcnt lgkmcnt(0)
	v_add_nc_u32_e32 v3, v3, v57
	v_lshlrev_b64 v[39:40], 2, v[3:4]
	v_xor_b32_e32 v3, 0x7fffffff, v157
	v_add_co_u32 v39, s36, s48, v39
	v_add_co_ci_u32_e64 v40, null, s49, v40, s36
	global_store_dword v[39:40], v3, off
	s_or_b32 exec_lo, exec_lo, s37
	v_cmp_lt_u32_e64 s36, v58, v156
	s_and_saveexec_b32 s38, s36
	s_cbranch_execz .LBB502_508
.LBB502_580:                            ;   in Loop: Header=BB502_410 Depth=2
	ds_read_b32 v157, v69 offset:13824
	s_waitcnt lgkmcnt(0)
	v_lshrrev_b32_e32 v3, s61, v157
	v_and_b32_e32 v3, s62, v3
	v_lshlrev_b32_e32 v3, 2, v3
	ds_read_b32 v3, v3
	s_waitcnt lgkmcnt(0)
	v_add_nc_u32_e32 v3, v3, v58
	v_lshlrev_b64 v[39:40], 2, v[3:4]
	v_xor_b32_e32 v3, 0x7fffffff, v157
	v_add_co_u32 v39, s37, s48, v39
	v_add_co_ci_u32_e64 v40, null, s49, v40, s37
	global_store_dword v[39:40], v3, off
	s_or_b32 exec_lo, exec_lo, s38
	v_cmp_lt_u32_e64 s37, v59, v156
	s_and_saveexec_b32 s39, s37
	s_cbranch_execz .LBB502_509
.LBB502_581:                            ;   in Loop: Header=BB502_410 Depth=2
	ds_read_b32 v157, v69 offset:14848
	s_waitcnt lgkmcnt(0)
	v_lshrrev_b32_e32 v3, s61, v157
	v_and_b32_e32 v3, s62, v3
	v_lshlrev_b32_e32 v3, 2, v3
	ds_read_b32 v3, v3
	s_waitcnt lgkmcnt(0)
	v_add_nc_u32_e32 v3, v3, v59
	v_lshlrev_b64 v[39:40], 2, v[3:4]
	v_xor_b32_e32 v3, 0x7fffffff, v157
	v_add_co_u32 v39, s38, s48, v39
	v_add_co_ci_u32_e64 v40, null, s49, v40, s38
	global_store_dword v[39:40], v3, off
	s_or_b32 exec_lo, exec_lo, s39
	v_cmp_lt_u32_e64 s38, v60, v156
	s_and_saveexec_b32 s40, s38
	s_cbranch_execz .LBB502_510
.LBB502_582:                            ;   in Loop: Header=BB502_410 Depth=2
	ds_read_b32 v157, v69 offset:15872
	s_waitcnt lgkmcnt(0)
	v_lshrrev_b32_e32 v3, s61, v157
	v_and_b32_e32 v3, s62, v3
	v_lshlrev_b32_e32 v3, 2, v3
	ds_read_b32 v3, v3
	s_waitcnt lgkmcnt(0)
	v_add_nc_u32_e32 v3, v3, v60
	v_lshlrev_b64 v[39:40], 2, v[3:4]
	v_xor_b32_e32 v3, 0x7fffffff, v157
	v_add_co_u32 v39, s39, s48, v39
	v_add_co_ci_u32_e64 v40, null, s49, v40, s39
	global_store_dword v[39:40], v3, off
	s_or_b32 exec_lo, exec_lo, s40
	v_cmp_lt_u32_e64 s39, v61, v156
	s_and_saveexec_b32 s65, s39
	s_cbranch_execnz .LBB502_511
	s_branch .LBB502_512
.LBB502_583:                            ;   in Loop: Header=BB502_410 Depth=2
	global_load_dwordx2 v[37:38], v[39:40], off
	s_or_b32 exec_lo, exec_lo, s40
	s_mov_b32 s50, exec_lo
	v_cmpx_lt_u32_e64 v112, v156
	s_cbranch_execz .LBB502_514
.LBB502_584:                            ;   in Loop: Header=BB502_410 Depth=2
	global_load_dwordx2 v[35:36], v[39:40], off offset:256
	s_or_b32 exec_lo, exec_lo, s50
	s_mov_b32 s50, exec_lo
	v_cmpx_lt_u32_e64 v113, v156
	s_cbranch_execz .LBB502_515
.LBB502_585:                            ;   in Loop: Header=BB502_410 Depth=2
	global_load_dwordx2 v[33:34], v[39:40], off offset:512
	s_or_b32 exec_lo, exec_lo, s50
	s_mov_b32 s50, exec_lo
	v_cmpx_lt_u32_e64 v114, v156
	s_cbranch_execz .LBB502_516
.LBB502_586:                            ;   in Loop: Header=BB502_410 Depth=2
	global_load_dwordx2 v[31:32], v[39:40], off offset:768
	s_or_b32 exec_lo, exec_lo, s50
	s_mov_b32 s50, exec_lo
	v_cmpx_lt_u32_e64 v115, v156
	s_cbranch_execz .LBB502_517
.LBB502_587:                            ;   in Loop: Header=BB502_410 Depth=2
	global_load_dwordx2 v[29:30], v[39:40], off offset:1024
	s_or_b32 exec_lo, exec_lo, s50
	s_mov_b32 s50, exec_lo
	v_cmpx_lt_u32_e64 v116, v156
	s_cbranch_execz .LBB502_518
.LBB502_588:                            ;   in Loop: Header=BB502_410 Depth=2
	global_load_dwordx2 v[25:26], v[39:40], off offset:1280
	s_or_b32 exec_lo, exec_lo, s50
	s_mov_b32 s50, exec_lo
	v_cmpx_lt_u32_e64 v117, v156
	s_cbranch_execz .LBB502_519
.LBB502_589:                            ;   in Loop: Header=BB502_410 Depth=2
	global_load_dwordx2 v[21:22], v[39:40], off offset:1536
	s_or_b32 exec_lo, exec_lo, s50
	s_mov_b32 s50, exec_lo
	v_cmpx_lt_u32_e64 v118, v156
	s_cbranch_execz .LBB502_520
.LBB502_590:                            ;   in Loop: Header=BB502_410 Depth=2
	global_load_dwordx2 v[17:18], v[39:40], off offset:1792
	s_or_b32 exec_lo, exec_lo, s50
	s_mov_b32 s50, exec_lo
	v_cmpx_lt_u32_e64 v119, v156
	s_cbranch_execz .LBB502_521
.LBB502_591:                            ;   in Loop: Header=BB502_410 Depth=2
	v_add_co_u32 v27, s40, 0x800, v39
	v_add_co_ci_u32_e64 v28, null, 0, v40, s40
	global_load_dwordx2 v[27:28], v[27:28], off
	s_or_b32 exec_lo, exec_lo, s50
	s_mov_b32 s50, exec_lo
	v_cmpx_lt_u32_e64 v120, v156
	s_cbranch_execz .LBB502_522
.LBB502_592:                            ;   in Loop: Header=BB502_410 Depth=2
	v_add_co_u32 v23, s40, 0x800, v39
	v_add_co_ci_u32_e64 v24, null, 0, v40, s40
	global_load_dwordx2 v[23:24], v[23:24], off offset:256
	s_or_b32 exec_lo, exec_lo, s50
	s_mov_b32 s50, exec_lo
	v_cmpx_lt_u32_e64 v121, v156
	s_cbranch_execz .LBB502_523
.LBB502_593:                            ;   in Loop: Header=BB502_410 Depth=2
	v_add_co_u32 v19, s40, 0x800, v39
	v_add_co_ci_u32_e64 v20, null, 0, v40, s40
	global_load_dwordx2 v[19:20], v[19:20], off offset:512
	s_or_b32 exec_lo, exec_lo, s50
	s_mov_b32 s50, exec_lo
	v_cmpx_lt_u32_e64 v122, v156
	s_cbranch_execz .LBB502_524
.LBB502_594:                            ;   in Loop: Header=BB502_410 Depth=2
	v_add_co_u32 v15, s40, 0x800, v39
	v_add_co_ci_u32_e64 v16, null, 0, v40, s40
	global_load_dwordx2 v[15:16], v[15:16], off offset:768
	s_or_b32 exec_lo, exec_lo, s50
	s_mov_b32 s50, exec_lo
	v_cmpx_lt_u32_e64 v123, v156
	s_cbranch_execz .LBB502_525
.LBB502_595:                            ;   in Loop: Header=BB502_410 Depth=2
	v_add_co_u32 v13, s40, 0x800, v39
	v_add_co_ci_u32_e64 v14, null, 0, v40, s40
	global_load_dwordx2 v[13:14], v[13:14], off offset:1024
	s_or_b32 exec_lo, exec_lo, s50
	s_mov_b32 s50, exec_lo
	v_cmpx_lt_u32_e64 v124, v156
	s_cbranch_execz .LBB502_526
.LBB502_596:                            ;   in Loop: Header=BB502_410 Depth=2
	v_add_co_u32 v11, s40, 0x800, v39
	v_add_co_ci_u32_e64 v12, null, 0, v40, s40
	global_load_dwordx2 v[11:12], v[11:12], off offset:1280
	s_or_b32 exec_lo, exec_lo, s50
	s_mov_b32 s50, exec_lo
	v_cmpx_lt_u32_e64 v126, v156
	s_cbranch_execz .LBB502_527
.LBB502_597:                            ;   in Loop: Header=BB502_410 Depth=2
	v_add_co_u32 v9, s40, 0x800, v39
	v_add_co_ci_u32_e64 v10, null, 0, v40, s40
	global_load_dwordx2 v[9:10], v[9:10], off offset:1536
	s_or_b32 exec_lo, exec_lo, s50
	s_mov_b32 s50, exec_lo
	v_cmpx_lt_u32_e64 v127, v156
	s_cbranch_execz .LBB502_528
.LBB502_598:                            ;   in Loop: Header=BB502_410 Depth=2
	v_add_co_u32 v7, s40, 0x800, v39
	v_add_co_ci_u32_e64 v8, null, 0, v40, s40
	global_load_dwordx2 v[7:8], v[7:8], off offset:1792
	s_or_b32 exec_lo, exec_lo, s50
	s_mov_b32 s50, exec_lo
	v_cmpx_lt_u32_e64 v128, v156
	s_cbranch_execz .LBB502_529
.LBB502_599:                            ;   in Loop: Header=BB502_410 Depth=2
	v_add_co_u32 v5, s40, 0x1000, v39
	v_add_co_ci_u32_e64 v6, null, 0, v40, s40
	global_load_dwordx2 v[5:6], v[5:6], off
	s_or_b32 exec_lo, exec_lo, s50
	s_and_saveexec_b32 s40, vcc_lo
	s_cbranch_execz .LBB502_530
.LBB502_600:                            ;   in Loop: Header=BB502_410 Depth=2
	ds_read_b32 v3, v69 offset:512
	s_waitcnt lgkmcnt(0)
	v_lshrrev_b32_e32 v3, s61, v3
	v_and_b32_e32 v154, s62, v3
	s_or_b32 exec_lo, exec_lo, s40
	s_and_saveexec_b32 s40, s22
	s_cbranch_execz .LBB502_531
.LBB502_601:                            ;   in Loop: Header=BB502_410 Depth=2
	ds_read_b32 v3, v69 offset:1536
	s_waitcnt lgkmcnt(0)
	v_lshrrev_b32_e32 v3, s61, v3
	v_and_b32_e32 v153, s62, v3
	s_or_b32 exec_lo, exec_lo, s40
	s_and_saveexec_b32 s40, s23
	s_cbranch_execz .LBB502_532
.LBB502_602:                            ;   in Loop: Header=BB502_410 Depth=2
	ds_read_b32 v3, v69 offset:2560
	s_waitcnt lgkmcnt(0)
	v_lshrrev_b32_e32 v3, s61, v3
	v_and_b32_e32 v151, s62, v3
	s_or_b32 exec_lo, exec_lo, s40
	s_and_saveexec_b32 s40, s24
	s_cbranch_execz .LBB502_533
.LBB502_603:                            ;   in Loop: Header=BB502_410 Depth=2
	ds_read_b32 v3, v69 offset:3584
	s_waitcnt lgkmcnt(0)
	v_lshrrev_b32_e32 v3, s61, v3
	v_and_b32_e32 v150, s62, v3
	s_or_b32 exec_lo, exec_lo, s40
	s_and_saveexec_b32 s40, s25
	s_cbranch_execz .LBB502_534
.LBB502_604:                            ;   in Loop: Header=BB502_410 Depth=2
	ds_read_b32 v3, v69 offset:4608
	s_waitcnt lgkmcnt(0)
	v_lshrrev_b32_e32 v3, s61, v3
	v_and_b32_e32 v149, s62, v3
	s_or_b32 exec_lo, exec_lo, s40
	s_and_saveexec_b32 s40, s26
	s_cbranch_execz .LBB502_535
.LBB502_605:                            ;   in Loop: Header=BB502_410 Depth=2
	ds_read_b32 v3, v69 offset:5632
	s_waitcnt lgkmcnt(0)
	v_lshrrev_b32_e32 v3, s61, v3
	v_and_b32_e32 v148, s62, v3
	s_or_b32 exec_lo, exec_lo, s40
	s_and_saveexec_b32 s40, s27
	s_cbranch_execz .LBB502_536
.LBB502_606:                            ;   in Loop: Header=BB502_410 Depth=2
	ds_read_b32 v3, v69 offset:6656
	s_waitcnt lgkmcnt(0)
	v_lshrrev_b32_e32 v3, s61, v3
	v_and_b32_e32 v147, s62, v3
	s_or_b32 exec_lo, exec_lo, s40
	s_and_saveexec_b32 s40, s29
	s_cbranch_execz .LBB502_537
.LBB502_607:                            ;   in Loop: Header=BB502_410 Depth=2
	ds_read_b32 v3, v69 offset:7680
	s_waitcnt lgkmcnt(0)
	v_lshrrev_b32_e32 v3, s61, v3
	v_and_b32_e32 v146, s62, v3
	s_or_b32 exec_lo, exec_lo, s40
	s_and_saveexec_b32 s40, s30
	s_cbranch_execz .LBB502_538
.LBB502_608:                            ;   in Loop: Header=BB502_410 Depth=2
	ds_read_b32 v3, v69 offset:8704
	s_waitcnt lgkmcnt(0)
	v_lshrrev_b32_e32 v3, s61, v3
	v_and_b32_e32 v145, s62, v3
	s_or_b32 exec_lo, exec_lo, s40
	s_and_saveexec_b32 s40, s31
	s_cbranch_execz .LBB502_539
.LBB502_609:                            ;   in Loop: Header=BB502_410 Depth=2
	ds_read_b32 v3, v69 offset:9728
	s_waitcnt lgkmcnt(0)
	v_lshrrev_b32_e32 v3, s61, v3
	v_and_b32_e32 v144, s62, v3
	s_or_b32 exec_lo, exec_lo, s40
	s_and_saveexec_b32 s40, s33
	s_cbranch_execz .LBB502_540
.LBB502_610:                            ;   in Loop: Header=BB502_410 Depth=2
	ds_read_b32 v3, v69 offset:10752
	s_waitcnt lgkmcnt(0)
	v_lshrrev_b32_e32 v3, s61, v3
	v_and_b32_e32 v143, s62, v3
	s_or_b32 exec_lo, exec_lo, s40
	s_and_saveexec_b32 s40, s34
	s_cbranch_execz .LBB502_541
.LBB502_611:                            ;   in Loop: Header=BB502_410 Depth=2
	ds_read_b32 v3, v69 offset:11776
	s_waitcnt lgkmcnt(0)
	v_lshrrev_b32_e32 v3, s61, v3
	v_and_b32_e32 v142, s62, v3
	s_or_b32 exec_lo, exec_lo, s40
	s_and_saveexec_b32 s40, s35
	s_cbranch_execz .LBB502_542
.LBB502_612:                            ;   in Loop: Header=BB502_410 Depth=2
	ds_read_b32 v3, v69 offset:12800
	s_waitcnt lgkmcnt(0)
	v_lshrrev_b32_e32 v3, s61, v3
	v_and_b32_e32 v141, s62, v3
	s_or_b32 exec_lo, exec_lo, s40
	s_and_saveexec_b32 s40, s36
	s_cbranch_execz .LBB502_543
.LBB502_613:                            ;   in Loop: Header=BB502_410 Depth=2
	ds_read_b32 v3, v69 offset:13824
	s_waitcnt lgkmcnt(0)
	v_lshrrev_b32_e32 v3, s61, v3
	v_and_b32_e32 v140, s62, v3
	s_or_b32 exec_lo, exec_lo, s40
	s_and_saveexec_b32 s40, s37
	s_cbranch_execz .LBB502_544
.LBB502_614:                            ;   in Loop: Header=BB502_410 Depth=2
	ds_read_b32 v3, v69 offset:14848
	s_waitcnt lgkmcnt(0)
	v_lshrrev_b32_e32 v3, s61, v3
	v_and_b32_e32 v139, s62, v3
	s_or_b32 exec_lo, exec_lo, s40
	s_and_saveexec_b32 s40, s38
	s_cbranch_execz .LBB502_545
.LBB502_615:                            ;   in Loop: Header=BB502_410 Depth=2
	ds_read_b32 v3, v69 offset:15872
	s_waitcnt lgkmcnt(0)
	v_lshrrev_b32_e32 v3, s61, v3
	v_and_b32_e32 v138, s62, v3
	s_or_b32 exec_lo, exec_lo, s40
	s_and_saveexec_b32 s40, s39
	s_cbranch_execnz .LBB502_546
	s_branch .LBB502_547
.LBB502_616:                            ;   in Loop: Header=BB502_410 Depth=2
	v_lshlrev_b32_e32 v3, 2, v154
	v_add_nc_u32_e32 v39, v69, v43
	ds_read_b32 v3, v3
	ds_read_b64 v[39:40], v39 offset:512
	s_waitcnt lgkmcnt(1)
	v_add_nc_u32_e32 v3, v3, v0
	v_lshlrev_b64 v[41:42], 3, v[3:4]
	v_add_co_u32 v41, vcc_lo, s54, v41
	v_add_co_ci_u32_e64 v42, null, s55, v42, vcc_lo
	s_waitcnt lgkmcnt(0)
	global_store_dwordx2 v[41:42], v[39:40], off
	s_or_b32 exec_lo, exec_lo, s40
	s_and_saveexec_b32 s40, s22
	s_cbranch_execz .LBB502_549
.LBB502_617:                            ;   in Loop: Header=BB502_410 Depth=2
	v_lshlrev_b32_e32 v3, 2, v153
	v_add_nc_u32_e32 v39, v69, v43
	ds_read_b32 v3, v3
	ds_read_b64 v[39:40], v39 offset:2560
	s_waitcnt lgkmcnt(1)
	v_add_nc_u32_e32 v3, v3, v44
	v_lshlrev_b64 v[41:42], 3, v[3:4]
	v_add_co_u32 v41, vcc_lo, s54, v41
	v_add_co_ci_u32_e64 v42, null, s55, v42, vcc_lo
	s_waitcnt lgkmcnt(0)
	global_store_dwordx2 v[41:42], v[39:40], off
	s_or_b32 exec_lo, exec_lo, s40
	s_and_saveexec_b32 s22, s23
	s_cbranch_execz .LBB502_550
.LBB502_618:                            ;   in Loop: Header=BB502_410 Depth=2
	v_lshlrev_b32_e32 v3, 2, v151
	v_add_nc_u32_e32 v39, v69, v43
	ds_read_b32 v3, v3
	ds_read_b64 v[39:40], v39 offset:4608
	s_waitcnt lgkmcnt(1)
	v_add_nc_u32_e32 v3, v3, v47
	v_lshlrev_b64 v[41:42], 3, v[3:4]
	v_add_co_u32 v41, vcc_lo, s54, v41
	v_add_co_ci_u32_e64 v42, null, s55, v42, vcc_lo
	s_waitcnt lgkmcnt(0)
	global_store_dwordx2 v[41:42], v[39:40], off
	s_or_b32 exec_lo, exec_lo, s22
	s_and_saveexec_b32 s22, s24
	s_cbranch_execz .LBB502_551
.LBB502_619:                            ;   in Loop: Header=BB502_410 Depth=2
	v_lshlrev_b32_e32 v3, 2, v150
	v_add_nc_u32_e32 v39, v69, v43
	ds_read_b32 v3, v3
	ds_read_b64 v[39:40], v39 offset:6656
	s_waitcnt lgkmcnt(1)
	v_add_nc_u32_e32 v3, v3, v48
	v_lshlrev_b64 v[41:42], 3, v[3:4]
	v_add_co_u32 v41, vcc_lo, s54, v41
	v_add_co_ci_u32_e64 v42, null, s55, v42, vcc_lo
	s_waitcnt lgkmcnt(0)
	global_store_dwordx2 v[41:42], v[39:40], off
	s_or_b32 exec_lo, exec_lo, s22
	s_and_saveexec_b32 s22, s25
	s_cbranch_execz .LBB502_552
.LBB502_620:                            ;   in Loop: Header=BB502_410 Depth=2
	v_lshlrev_b32_e32 v3, 2, v149
	v_add_nc_u32_e32 v39, v69, v43
	ds_read_b32 v3, v3
	ds_read_b64 v[39:40], v39 offset:8704
	s_waitcnt lgkmcnt(1)
	v_add_nc_u32_e32 v3, v3, v49
	v_lshlrev_b64 v[41:42], 3, v[3:4]
	v_add_co_u32 v41, vcc_lo, s54, v41
	v_add_co_ci_u32_e64 v42, null, s55, v42, vcc_lo
	s_waitcnt lgkmcnt(0)
	global_store_dwordx2 v[41:42], v[39:40], off
	s_or_b32 exec_lo, exec_lo, s22
	s_and_saveexec_b32 s22, s26
	s_cbranch_execz .LBB502_553
.LBB502_621:                            ;   in Loop: Header=BB502_410 Depth=2
	v_lshlrev_b32_e32 v3, 2, v148
	v_add_nc_u32_e32 v39, v69, v43
	ds_read_b32 v3, v3
	ds_read_b64 v[39:40], v39 offset:10752
	s_waitcnt lgkmcnt(1)
	v_add_nc_u32_e32 v3, v3, v50
	v_lshlrev_b64 v[41:42], 3, v[3:4]
	v_add_co_u32 v41, vcc_lo, s54, v41
	v_add_co_ci_u32_e64 v42, null, s55, v42, vcc_lo
	s_waitcnt lgkmcnt(0)
	global_store_dwordx2 v[41:42], v[39:40], off
	s_or_b32 exec_lo, exec_lo, s22
	s_and_saveexec_b32 s22, s27
	s_cbranch_execz .LBB502_554
.LBB502_622:                            ;   in Loop: Header=BB502_410 Depth=2
	v_lshlrev_b32_e32 v3, 2, v147
	v_add_nc_u32_e32 v39, v69, v43
	ds_read_b32 v3, v3
	ds_read_b64 v[39:40], v39 offset:12800
	s_waitcnt lgkmcnt(1)
	v_add_nc_u32_e32 v3, v3, v51
	v_lshlrev_b64 v[41:42], 3, v[3:4]
	v_add_co_u32 v41, vcc_lo, s54, v41
	v_add_co_ci_u32_e64 v42, null, s55, v42, vcc_lo
	s_waitcnt lgkmcnt(0)
	global_store_dwordx2 v[41:42], v[39:40], off
	s_or_b32 exec_lo, exec_lo, s22
	s_and_saveexec_b32 s22, s29
	s_cbranch_execz .LBB502_555
.LBB502_623:                            ;   in Loop: Header=BB502_410 Depth=2
	v_lshlrev_b32_e32 v3, 2, v146
	v_add_nc_u32_e32 v39, v69, v43
	ds_read_b32 v3, v3
	ds_read_b64 v[39:40], v39 offset:14848
	s_waitcnt lgkmcnt(1)
	v_add_nc_u32_e32 v3, v3, v52
	v_lshlrev_b64 v[41:42], 3, v[3:4]
	v_add_co_u32 v41, vcc_lo, s54, v41
	v_add_co_ci_u32_e64 v42, null, s55, v42, vcc_lo
	s_waitcnt lgkmcnt(0)
	global_store_dwordx2 v[41:42], v[39:40], off
	s_or_b32 exec_lo, exec_lo, s22
	s_and_saveexec_b32 s22, s30
	s_cbranch_execz .LBB502_556
.LBB502_624:                            ;   in Loop: Header=BB502_410 Depth=2
	v_lshlrev_b32_e32 v3, 2, v145
	v_add_nc_u32_e32 v39, v69, v43
	ds_read_b32 v3, v3
	ds_read_b64 v[39:40], v39 offset:16896
	s_waitcnt lgkmcnt(1)
	v_add_nc_u32_e32 v3, v3, v53
	v_lshlrev_b64 v[41:42], 3, v[3:4]
	v_add_co_u32 v41, vcc_lo, s54, v41
	v_add_co_ci_u32_e64 v42, null, s55, v42, vcc_lo
	s_waitcnt lgkmcnt(0)
	global_store_dwordx2 v[41:42], v[39:40], off
	s_or_b32 exec_lo, exec_lo, s22
	s_and_saveexec_b32 s22, s31
	s_cbranch_execz .LBB502_557
.LBB502_625:                            ;   in Loop: Header=BB502_410 Depth=2
	v_lshlrev_b32_e32 v3, 2, v144
	v_add_nc_u32_e32 v39, v69, v43
	ds_read_b32 v3, v3
	ds_read_b64 v[39:40], v39 offset:18944
	s_waitcnt lgkmcnt(1)
	v_add_nc_u32_e32 v3, v3, v54
	v_lshlrev_b64 v[41:42], 3, v[3:4]
	v_add_co_u32 v41, vcc_lo, s54, v41
	v_add_co_ci_u32_e64 v42, null, s55, v42, vcc_lo
	s_waitcnt lgkmcnt(0)
	global_store_dwordx2 v[41:42], v[39:40], off
	s_or_b32 exec_lo, exec_lo, s22
	s_and_saveexec_b32 s22, s33
	s_cbranch_execz .LBB502_558
.LBB502_626:                            ;   in Loop: Header=BB502_410 Depth=2
	v_lshlrev_b32_e32 v3, 2, v143
	v_add_nc_u32_e32 v39, v69, v43
	ds_read_b32 v3, v3
	ds_read_b64 v[39:40], v39 offset:20992
	s_waitcnt lgkmcnt(1)
	v_add_nc_u32_e32 v3, v3, v55
	v_lshlrev_b64 v[41:42], 3, v[3:4]
	v_add_co_u32 v41, vcc_lo, s54, v41
	v_add_co_ci_u32_e64 v42, null, s55, v42, vcc_lo
	s_waitcnt lgkmcnt(0)
	global_store_dwordx2 v[41:42], v[39:40], off
	s_or_b32 exec_lo, exec_lo, s22
	s_and_saveexec_b32 s22, s34
	s_cbranch_execz .LBB502_559
.LBB502_627:                            ;   in Loop: Header=BB502_410 Depth=2
	v_lshlrev_b32_e32 v3, 2, v142
	v_add_nc_u32_e32 v39, v69, v43
	ds_read_b32 v3, v3
	ds_read_b64 v[39:40], v39 offset:23040
	s_waitcnt lgkmcnt(1)
	v_add_nc_u32_e32 v3, v3, v56
	v_lshlrev_b64 v[41:42], 3, v[3:4]
	v_add_co_u32 v41, vcc_lo, s54, v41
	v_add_co_ci_u32_e64 v42, null, s55, v42, vcc_lo
	s_waitcnt lgkmcnt(0)
	global_store_dwordx2 v[41:42], v[39:40], off
	s_or_b32 exec_lo, exec_lo, s22
	s_and_saveexec_b32 s22, s35
	s_cbranch_execz .LBB502_560
.LBB502_628:                            ;   in Loop: Header=BB502_410 Depth=2
	v_lshlrev_b32_e32 v3, 2, v141
	v_add_nc_u32_e32 v39, v69, v43
	ds_read_b32 v3, v3
	ds_read_b64 v[39:40], v39 offset:25088
	s_waitcnt lgkmcnt(1)
	v_add_nc_u32_e32 v3, v3, v57
	v_lshlrev_b64 v[41:42], 3, v[3:4]
	v_add_co_u32 v41, vcc_lo, s54, v41
	v_add_co_ci_u32_e64 v42, null, s55, v42, vcc_lo
	s_waitcnt lgkmcnt(0)
	global_store_dwordx2 v[41:42], v[39:40], off
	s_or_b32 exec_lo, exec_lo, s22
	s_and_saveexec_b32 s22, s36
	s_cbranch_execz .LBB502_561
.LBB502_629:                            ;   in Loop: Header=BB502_410 Depth=2
	v_lshlrev_b32_e32 v3, 2, v140
	v_add_nc_u32_e32 v39, v69, v43
	ds_read_b32 v3, v3
	ds_read_b64 v[39:40], v39 offset:27136
	s_waitcnt lgkmcnt(1)
	v_add_nc_u32_e32 v3, v3, v58
	v_lshlrev_b64 v[41:42], 3, v[3:4]
	v_add_co_u32 v41, vcc_lo, s54, v41
	v_add_co_ci_u32_e64 v42, null, s55, v42, vcc_lo
	s_waitcnt lgkmcnt(0)
	global_store_dwordx2 v[41:42], v[39:40], off
	s_or_b32 exec_lo, exec_lo, s22
	s_and_saveexec_b32 s22, s37
	s_cbranch_execz .LBB502_562
.LBB502_630:                            ;   in Loop: Header=BB502_410 Depth=2
	v_lshlrev_b32_e32 v3, 2, v139
	v_add_nc_u32_e32 v39, v69, v43
	ds_read_b32 v3, v3
	ds_read_b64 v[39:40], v39 offset:29184
	s_waitcnt lgkmcnt(1)
	v_add_nc_u32_e32 v3, v3, v59
	v_lshlrev_b64 v[41:42], 3, v[3:4]
	v_add_co_u32 v41, vcc_lo, s54, v41
	v_add_co_ci_u32_e64 v42, null, s55, v42, vcc_lo
	s_waitcnt lgkmcnt(0)
	global_store_dwordx2 v[41:42], v[39:40], off
	s_or_b32 exec_lo, exec_lo, s22
	s_and_saveexec_b32 s22, s38
	s_cbranch_execz .LBB502_563
.LBB502_631:                            ;   in Loop: Header=BB502_410 Depth=2
	v_lshlrev_b32_e32 v3, 2, v138
	v_add_nc_u32_e32 v39, v69, v43
	ds_read_b32 v3, v3
	ds_read_b64 v[39:40], v39 offset:31232
	s_waitcnt lgkmcnt(1)
	v_add_nc_u32_e32 v3, v3, v60
	v_lshlrev_b64 v[41:42], 3, v[3:4]
	v_add_co_u32 v41, vcc_lo, s54, v41
	v_add_co_ci_u32_e64 v42, null, s55, v42, vcc_lo
	s_waitcnt lgkmcnt(0)
	global_store_dwordx2 v[41:42], v[39:40], off
	s_or_b32 exec_lo, exec_lo, s22
	s_and_saveexec_b32 s22, s39
	s_cbranch_execnz .LBB502_564
	s_branch .LBB502_565
.LBB502_632:                            ;   in Loop: Header=BB502_12 Depth=1
	s_waitcnt lgkmcnt(0)
	s_barrier
.LBB502_633:                            ;   in Loop: Header=BB502_12 Depth=1
	s_mov_b32 s5, 0
.LBB502_634:                            ;   in Loop: Header=BB502_12 Depth=1
	s_andn2_b32 vcc_lo, exec_lo, s5
	s_cbranch_vccnz .LBB502_11
; %bb.635:                              ;   in Loop: Header=BB502_12 Depth=1
	s_and_b32 vcc_lo, exec_lo, s43
	s_mov_b32 s5, -1
	s_cbranch_vccz .LBB502_945
; %bb.636:                              ;   in Loop: Header=BB502_12 Depth=1
	s_mov_b32 s5, s60
	s_mov_b32 s50, s58
	s_barrier
	buffer_gl0_inv
                                        ; implicit-def: $vgpr3
                                        ; implicit-def: $vgpr5
                                        ; implicit-def: $vgpr6
                                        ; implicit-def: $vgpr7
                                        ; implicit-def: $vgpr8
                                        ; implicit-def: $vgpr9
                                        ; implicit-def: $vgpr10
                                        ; implicit-def: $vgpr11
                                        ; implicit-def: $vgpr12
                                        ; implicit-def: $vgpr13
                                        ; implicit-def: $vgpr14
                                        ; implicit-def: $vgpr15
                                        ; implicit-def: $vgpr16
                                        ; implicit-def: $vgpr17
                                        ; implicit-def: $vgpr18
                                        ; implicit-def: $vgpr19
                                        ; implicit-def: $vgpr20
	s_branch .LBB502_638
.LBB502_637:                            ;   in Loop: Header=BB502_638 Depth=2
	s_or_b32 exec_lo, exec_lo, s16
	s_addk_i32 s5, 0xef00
	s_cmp_ge_u32 s15, s59
	s_mov_b32 s50, s15
	s_cbranch_scc1 .LBB502_710
.LBB502_638:                            ;   Parent Loop BB502_12 Depth=1
                                        ; =>  This Inner Loop Header: Depth=2
	s_add_i32 s15, s50, 0x1100
	s_mov_b32 s16, -1
	s_cmp_gt_u32 s15, s59
                                        ; implicit-def: $vgpr21
                                        ; implicit-def: $vgpr22
                                        ; implicit-def: $vgpr25
                                        ; implicit-def: $vgpr23
                                        ; implicit-def: $vgpr27
                                        ; implicit-def: $vgpr24
                                        ; implicit-def: $vgpr29
                                        ; implicit-def: $vgpr26
                                        ; implicit-def: $vgpr31
                                        ; implicit-def: $vgpr28
                                        ; implicit-def: $vgpr33
                                        ; implicit-def: $vgpr30
                                        ; implicit-def: $vgpr34
                                        ; implicit-def: $vgpr32
                                        ; implicit-def: $vgpr35
                                        ; implicit-def: $vgpr36
                                        ; implicit-def: $vgpr37
	s_cbranch_scc1 .LBB502_640
; %bb.639:                              ;   in Loop: Header=BB502_638 Depth=2
	s_lshl_b64 s[16:17], s[50:51], 2
	v_add_co_u32 v33, vcc_lo, v78, s16
	v_add_co_ci_u32_e64 v34, null, s17, v79, vcc_lo
	s_mov_b32 s16, 0
	v_add_co_u32 v23, vcc_lo, 0x800, v33
	v_add_co_ci_u32_e64 v24, null, 0, v34, vcc_lo
	v_add_co_u32 v35, vcc_lo, v33, 0x1000
	v_add_co_ci_u32_e64 v36, null, 0, v34, vcc_lo
	;; [unrolled: 2-line block ×9, first 2 shown]
	s_clause 0x7
	global_load_dword v21, v[33:34], off
	global_load_dword v22, v[33:34], off offset:1024
	global_load_dword v23, v[23:24], off offset:1024
	;; [unrolled: 1-line block ×7, first 2 shown]
	v_add_co_u32 v41, vcc_lo, 0x3800, v33
	v_add_co_ci_u32_e64 v42, null, 0, v34, vcc_lo
	v_add_co_u32 v131, vcc_lo, v33, 0x4000
	v_add_co_ci_u32_e64 v132, null, 0, v34, vcc_lo
	s_clause 0x8
	global_load_dword v25, v[35:36], off offset:-2048
	global_load_dword v27, v[35:36], off
	global_load_dword v29, v[37:38], off offset:-2048
	global_load_dword v31, v[37:38], off
	;; [unrolled: 2-line block ×3, first 2 shown]
	global_load_dword v35, v[131:132], off offset:-2048
	global_load_dword v36, v[41:42], off offset:1024
	global_load_dword v37, v[131:132], off
.LBB502_640:                            ;   in Loop: Header=BB502_638 Depth=2
	s_andn2_b32 vcc_lo, exec_lo, s16
	s_movk_i32 s16, 0x1100
	s_cbranch_vccnz .LBB502_660
; %bb.641:                              ;   in Loop: Header=BB502_638 Depth=2
	s_lshl_b64 s[16:17], s[50:51], 2
	s_mov_b32 s18, exec_lo
	s_add_u32 s16, s44, s16
	s_addc_u32 s17, s45, s17
	v_cmpx_gt_u32_e64 s5, v0
	s_cbranch_execnz .LBB502_694
; %bb.642:                              ;   in Loop: Header=BB502_638 Depth=2
	s_or_b32 exec_lo, exec_lo, s18
	s_mov_b32 s18, exec_lo
	v_cmpx_gt_u32_e64 s5, v44
	s_cbranch_execnz .LBB502_695
.LBB502_643:                            ;   in Loop: Header=BB502_638 Depth=2
	s_or_b32 exec_lo, exec_lo, s18
	s_mov_b32 s18, exec_lo
	v_cmpx_gt_u32_e64 s5, v47
	s_cbranch_execnz .LBB502_696
.LBB502_644:                            ;   in Loop: Header=BB502_638 Depth=2
	s_or_b32 exec_lo, exec_lo, s18
	s_mov_b32 s18, exec_lo
	v_cmpx_gt_u32_e64 s5, v48
	s_cbranch_execnz .LBB502_697
.LBB502_645:                            ;   in Loop: Header=BB502_638 Depth=2
	s_or_b32 exec_lo, exec_lo, s18
	s_mov_b32 s18, exec_lo
	v_cmpx_gt_u32_e64 s5, v49
	s_cbranch_execnz .LBB502_698
.LBB502_646:                            ;   in Loop: Header=BB502_638 Depth=2
	s_or_b32 exec_lo, exec_lo, s18
	s_mov_b32 s18, exec_lo
	v_cmpx_gt_u32_e64 s5, v50
	s_cbranch_execnz .LBB502_699
.LBB502_647:                            ;   in Loop: Header=BB502_638 Depth=2
	s_or_b32 exec_lo, exec_lo, s18
	s_mov_b32 s18, exec_lo
	v_cmpx_gt_u32_e64 s5, v51
	s_cbranch_execnz .LBB502_700
.LBB502_648:                            ;   in Loop: Header=BB502_638 Depth=2
	s_or_b32 exec_lo, exec_lo, s18
	s_mov_b32 s18, exec_lo
	v_cmpx_gt_u32_e64 s5, v52
	s_cbranch_execnz .LBB502_701
.LBB502_649:                            ;   in Loop: Header=BB502_638 Depth=2
	s_or_b32 exec_lo, exec_lo, s18
	s_mov_b32 s18, exec_lo
	v_cmpx_gt_u32_e64 s5, v53
	s_cbranch_execnz .LBB502_702
.LBB502_650:                            ;   in Loop: Header=BB502_638 Depth=2
	s_or_b32 exec_lo, exec_lo, s18
	s_mov_b32 s18, exec_lo
	v_cmpx_gt_u32_e64 s5, v54
	s_cbranch_execnz .LBB502_703
.LBB502_651:                            ;   in Loop: Header=BB502_638 Depth=2
	s_or_b32 exec_lo, exec_lo, s18
	s_mov_b32 s18, exec_lo
	v_cmpx_gt_u32_e64 s5, v55
	s_cbranch_execnz .LBB502_704
.LBB502_652:                            ;   in Loop: Header=BB502_638 Depth=2
	s_or_b32 exec_lo, exec_lo, s18
	s_mov_b32 s18, exec_lo
	v_cmpx_gt_u32_e64 s5, v56
	s_cbranch_execnz .LBB502_705
.LBB502_653:                            ;   in Loop: Header=BB502_638 Depth=2
	s_or_b32 exec_lo, exec_lo, s18
	s_mov_b32 s18, exec_lo
	v_cmpx_gt_u32_e64 s5, v57
	s_cbranch_execnz .LBB502_706
.LBB502_654:                            ;   in Loop: Header=BB502_638 Depth=2
	s_or_b32 exec_lo, exec_lo, s18
	s_mov_b32 s18, exec_lo
	v_cmpx_gt_u32_e64 s5, v58
	s_cbranch_execnz .LBB502_707
.LBB502_655:                            ;   in Loop: Header=BB502_638 Depth=2
	s_or_b32 exec_lo, exec_lo, s18
	s_mov_b32 s18, exec_lo
	v_cmpx_gt_u32_e64 s5, v59
	s_cbranch_execnz .LBB502_708
.LBB502_656:                            ;   in Loop: Header=BB502_638 Depth=2
	s_or_b32 exec_lo, exec_lo, s18
	s_mov_b32 s18, exec_lo
	v_cmpx_gt_u32_e64 s5, v60
	s_cbranch_execnz .LBB502_709
.LBB502_657:                            ;   in Loop: Header=BB502_638 Depth=2
	s_or_b32 exec_lo, exec_lo, s18
	s_mov_b32 s18, exec_lo
	v_cmpx_gt_u32_e64 s5, v61
	s_cbranch_execz .LBB502_659
.LBB502_658:                            ;   in Loop: Header=BB502_638 Depth=2
	global_load_dword v3, v107, s[16:17]
.LBB502_659:                            ;   in Loop: Header=BB502_638 Depth=2
	s_or_b32 exec_lo, exec_lo, s18
	s_waitcnt vmcnt(0)
	v_mov_b32_e32 v21, v20
	v_mov_b32_e32 v22, v19
	;; [unrolled: 1-line block ×17, first 2 shown]
	s_mov_b32 s16, s5
.LBB502_660:                            ;   in Loop: Header=BB502_638 Depth=2
	s_waitcnt vmcnt(0)
	v_mov_b32_e32 v3, v37
	v_mov_b32_e32 v5, v36
	;; [unrolled: 1-line block ×17, first 2 shown]
	s_mov_b32 s17, exec_lo
	v_cmpx_gt_u32_e64 s16, v0
	s_cbranch_execnz .LBB502_677
; %bb.661:                              ;   in Loop: Header=BB502_638 Depth=2
	s_or_b32 exec_lo, exec_lo, s17
	s_mov_b32 s17, exec_lo
	v_cmpx_gt_u32_e64 s16, v44
	s_cbranch_execnz .LBB502_678
.LBB502_662:                            ;   in Loop: Header=BB502_638 Depth=2
	s_or_b32 exec_lo, exec_lo, s17
	s_mov_b32 s17, exec_lo
	v_cmpx_gt_u32_e64 s16, v47
	s_cbranch_execnz .LBB502_679
.LBB502_663:                            ;   in Loop: Header=BB502_638 Depth=2
	s_or_b32 exec_lo, exec_lo, s17
	s_mov_b32 s17, exec_lo
	v_cmpx_gt_u32_e64 s16, v48
	s_cbranch_execnz .LBB502_680
.LBB502_664:                            ;   in Loop: Header=BB502_638 Depth=2
	s_or_b32 exec_lo, exec_lo, s17
	s_mov_b32 s17, exec_lo
	v_cmpx_gt_u32_e64 s16, v49
	s_cbranch_execnz .LBB502_681
.LBB502_665:                            ;   in Loop: Header=BB502_638 Depth=2
	s_or_b32 exec_lo, exec_lo, s17
	s_mov_b32 s17, exec_lo
	v_cmpx_gt_u32_e64 s16, v50
	s_cbranch_execnz .LBB502_682
.LBB502_666:                            ;   in Loop: Header=BB502_638 Depth=2
	s_or_b32 exec_lo, exec_lo, s17
	s_mov_b32 s17, exec_lo
	v_cmpx_gt_u32_e64 s16, v51
	s_cbranch_execnz .LBB502_683
.LBB502_667:                            ;   in Loop: Header=BB502_638 Depth=2
	s_or_b32 exec_lo, exec_lo, s17
	s_mov_b32 s17, exec_lo
	v_cmpx_gt_u32_e64 s16, v52
	s_cbranch_execnz .LBB502_684
.LBB502_668:                            ;   in Loop: Header=BB502_638 Depth=2
	s_or_b32 exec_lo, exec_lo, s17
	s_mov_b32 s17, exec_lo
	v_cmpx_gt_u32_e64 s16, v53
	s_cbranch_execnz .LBB502_685
.LBB502_669:                            ;   in Loop: Header=BB502_638 Depth=2
	s_or_b32 exec_lo, exec_lo, s17
	s_mov_b32 s17, exec_lo
	v_cmpx_gt_u32_e64 s16, v54
	s_cbranch_execnz .LBB502_686
.LBB502_670:                            ;   in Loop: Header=BB502_638 Depth=2
	s_or_b32 exec_lo, exec_lo, s17
	s_mov_b32 s17, exec_lo
	v_cmpx_gt_u32_e64 s16, v55
	s_cbranch_execnz .LBB502_687
.LBB502_671:                            ;   in Loop: Header=BB502_638 Depth=2
	s_or_b32 exec_lo, exec_lo, s17
	s_mov_b32 s17, exec_lo
	v_cmpx_gt_u32_e64 s16, v56
	s_cbranch_execnz .LBB502_688
.LBB502_672:                            ;   in Loop: Header=BB502_638 Depth=2
	s_or_b32 exec_lo, exec_lo, s17
	s_mov_b32 s17, exec_lo
	v_cmpx_gt_u32_e64 s16, v57
	s_cbranch_execnz .LBB502_689
.LBB502_673:                            ;   in Loop: Header=BB502_638 Depth=2
	s_or_b32 exec_lo, exec_lo, s17
	s_mov_b32 s17, exec_lo
	v_cmpx_gt_u32_e64 s16, v58
	s_cbranch_execnz .LBB502_690
.LBB502_674:                            ;   in Loop: Header=BB502_638 Depth=2
	s_or_b32 exec_lo, exec_lo, s17
	s_mov_b32 s17, exec_lo
	v_cmpx_gt_u32_e64 s16, v59
	s_cbranch_execnz .LBB502_691
.LBB502_675:                            ;   in Loop: Header=BB502_638 Depth=2
	s_or_b32 exec_lo, exec_lo, s17
	s_mov_b32 s17, exec_lo
	v_cmpx_gt_u32_e64 s16, v60
	s_cbranch_execnz .LBB502_692
.LBB502_676:                            ;   in Loop: Header=BB502_638 Depth=2
	s_or_b32 exec_lo, exec_lo, s17
	v_cmp_gt_u32_e32 vcc_lo, s16, v61
	s_and_saveexec_b32 s16, vcc_lo
	s_cbranch_execz .LBB502_637
	s_branch .LBB502_693
.LBB502_677:                            ;   in Loop: Header=BB502_638 Depth=2
	v_xor_b32_e32 v21, 0x7fffffff, v20
	v_lshrrev_b32_e32 v21, s41, v21
	v_and_b32_e32 v21, s62, v21
	v_lshl_or_b32 v21, v21, 4, v63
	ds_add_u32 v21, v85
	s_or_b32 exec_lo, exec_lo, s17
	s_mov_b32 s17, exec_lo
	v_cmpx_gt_u32_e64 s16, v44
	s_cbranch_execz .LBB502_662
.LBB502_678:                            ;   in Loop: Header=BB502_638 Depth=2
	v_xor_b32_e32 v21, 0x7fffffff, v19
	v_lshrrev_b32_e32 v21, s41, v21
	v_and_b32_e32 v21, s62, v21
	v_lshl_or_b32 v21, v21, 4, v63
	ds_add_u32 v21, v85
	s_or_b32 exec_lo, exec_lo, s17
	s_mov_b32 s17, exec_lo
	v_cmpx_gt_u32_e64 s16, v47
	s_cbranch_execz .LBB502_663
.LBB502_679:                            ;   in Loop: Header=BB502_638 Depth=2
	v_xor_b32_e32 v21, 0x7fffffff, v18
	v_lshrrev_b32_e32 v21, s41, v21
	v_and_b32_e32 v21, s62, v21
	v_lshl_or_b32 v21, v21, 4, v63
	ds_add_u32 v21, v85
	s_or_b32 exec_lo, exec_lo, s17
	s_mov_b32 s17, exec_lo
	v_cmpx_gt_u32_e64 s16, v48
	s_cbranch_execz .LBB502_664
.LBB502_680:                            ;   in Loop: Header=BB502_638 Depth=2
	v_xor_b32_e32 v21, 0x7fffffff, v17
	v_lshrrev_b32_e32 v21, s41, v21
	v_and_b32_e32 v21, s62, v21
	v_lshl_or_b32 v21, v21, 4, v63
	ds_add_u32 v21, v85
	s_or_b32 exec_lo, exec_lo, s17
	s_mov_b32 s17, exec_lo
	v_cmpx_gt_u32_e64 s16, v49
	s_cbranch_execz .LBB502_665
.LBB502_681:                            ;   in Loop: Header=BB502_638 Depth=2
	v_xor_b32_e32 v21, 0x7fffffff, v16
	v_lshrrev_b32_e32 v21, s41, v21
	v_and_b32_e32 v21, s62, v21
	v_lshl_or_b32 v21, v21, 4, v63
	ds_add_u32 v21, v85
	s_or_b32 exec_lo, exec_lo, s17
	s_mov_b32 s17, exec_lo
	v_cmpx_gt_u32_e64 s16, v50
	s_cbranch_execz .LBB502_666
.LBB502_682:                            ;   in Loop: Header=BB502_638 Depth=2
	v_xor_b32_e32 v21, 0x7fffffff, v15
	v_lshrrev_b32_e32 v21, s41, v21
	v_and_b32_e32 v21, s62, v21
	v_lshl_or_b32 v21, v21, 4, v63
	ds_add_u32 v21, v85
	s_or_b32 exec_lo, exec_lo, s17
	s_mov_b32 s17, exec_lo
	v_cmpx_gt_u32_e64 s16, v51
	s_cbranch_execz .LBB502_667
.LBB502_683:                            ;   in Loop: Header=BB502_638 Depth=2
	v_xor_b32_e32 v21, 0x7fffffff, v14
	v_lshrrev_b32_e32 v21, s41, v21
	v_and_b32_e32 v21, s62, v21
	v_lshl_or_b32 v21, v21, 4, v63
	ds_add_u32 v21, v85
	s_or_b32 exec_lo, exec_lo, s17
	s_mov_b32 s17, exec_lo
	v_cmpx_gt_u32_e64 s16, v52
	s_cbranch_execz .LBB502_668
.LBB502_684:                            ;   in Loop: Header=BB502_638 Depth=2
	v_xor_b32_e32 v21, 0x7fffffff, v13
	v_lshrrev_b32_e32 v21, s41, v21
	v_and_b32_e32 v21, s62, v21
	v_lshl_or_b32 v21, v21, 4, v63
	ds_add_u32 v21, v85
	s_or_b32 exec_lo, exec_lo, s17
	s_mov_b32 s17, exec_lo
	v_cmpx_gt_u32_e64 s16, v53
	s_cbranch_execz .LBB502_669
.LBB502_685:                            ;   in Loop: Header=BB502_638 Depth=2
	v_xor_b32_e32 v21, 0x7fffffff, v12
	v_lshrrev_b32_e32 v21, s41, v21
	v_and_b32_e32 v21, s62, v21
	v_lshl_or_b32 v21, v21, 4, v63
	ds_add_u32 v21, v85
	s_or_b32 exec_lo, exec_lo, s17
	s_mov_b32 s17, exec_lo
	v_cmpx_gt_u32_e64 s16, v54
	s_cbranch_execz .LBB502_670
.LBB502_686:                            ;   in Loop: Header=BB502_638 Depth=2
	v_xor_b32_e32 v21, 0x7fffffff, v11
	v_lshrrev_b32_e32 v21, s41, v21
	v_and_b32_e32 v21, s62, v21
	v_lshl_or_b32 v21, v21, 4, v63
	ds_add_u32 v21, v85
	s_or_b32 exec_lo, exec_lo, s17
	s_mov_b32 s17, exec_lo
	v_cmpx_gt_u32_e64 s16, v55
	s_cbranch_execz .LBB502_671
.LBB502_687:                            ;   in Loop: Header=BB502_638 Depth=2
	v_xor_b32_e32 v21, 0x7fffffff, v10
	v_lshrrev_b32_e32 v21, s41, v21
	v_and_b32_e32 v21, s62, v21
	v_lshl_or_b32 v21, v21, 4, v63
	ds_add_u32 v21, v85
	s_or_b32 exec_lo, exec_lo, s17
	s_mov_b32 s17, exec_lo
	v_cmpx_gt_u32_e64 s16, v56
	s_cbranch_execz .LBB502_672
.LBB502_688:                            ;   in Loop: Header=BB502_638 Depth=2
	v_xor_b32_e32 v21, 0x7fffffff, v9
	v_lshrrev_b32_e32 v21, s41, v21
	v_and_b32_e32 v21, s62, v21
	v_lshl_or_b32 v21, v21, 4, v63
	ds_add_u32 v21, v85
	s_or_b32 exec_lo, exec_lo, s17
	s_mov_b32 s17, exec_lo
	v_cmpx_gt_u32_e64 s16, v57
	s_cbranch_execz .LBB502_673
.LBB502_689:                            ;   in Loop: Header=BB502_638 Depth=2
	v_xor_b32_e32 v21, 0x7fffffff, v8
	v_lshrrev_b32_e32 v21, s41, v21
	v_and_b32_e32 v21, s62, v21
	v_lshl_or_b32 v21, v21, 4, v63
	ds_add_u32 v21, v85
	s_or_b32 exec_lo, exec_lo, s17
	s_mov_b32 s17, exec_lo
	v_cmpx_gt_u32_e64 s16, v58
	s_cbranch_execz .LBB502_674
.LBB502_690:                            ;   in Loop: Header=BB502_638 Depth=2
	v_xor_b32_e32 v21, 0x7fffffff, v7
	v_lshrrev_b32_e32 v21, s41, v21
	v_and_b32_e32 v21, s62, v21
	v_lshl_or_b32 v21, v21, 4, v63
	ds_add_u32 v21, v85
	s_or_b32 exec_lo, exec_lo, s17
	s_mov_b32 s17, exec_lo
	v_cmpx_gt_u32_e64 s16, v59
	s_cbranch_execz .LBB502_675
.LBB502_691:                            ;   in Loop: Header=BB502_638 Depth=2
	v_xor_b32_e32 v21, 0x7fffffff, v6
	v_lshrrev_b32_e32 v21, s41, v21
	v_and_b32_e32 v21, s62, v21
	v_lshl_or_b32 v21, v21, 4, v63
	ds_add_u32 v21, v85
	s_or_b32 exec_lo, exec_lo, s17
	s_mov_b32 s17, exec_lo
	v_cmpx_gt_u32_e64 s16, v60
	s_cbranch_execz .LBB502_676
.LBB502_692:                            ;   in Loop: Header=BB502_638 Depth=2
	v_xor_b32_e32 v21, 0x7fffffff, v5
	v_lshrrev_b32_e32 v21, s41, v21
	v_and_b32_e32 v21, s62, v21
	v_lshl_or_b32 v21, v21, 4, v63
	ds_add_u32 v21, v85
	s_or_b32 exec_lo, exec_lo, s17
	v_cmp_gt_u32_e32 vcc_lo, s16, v61
	s_and_saveexec_b32 s16, vcc_lo
	s_cbranch_execz .LBB502_637
.LBB502_693:                            ;   in Loop: Header=BB502_638 Depth=2
	v_xor_b32_e32 v21, 0x7fffffff, v3
	v_lshrrev_b32_e32 v21, s41, v21
	v_and_b32_e32 v21, s62, v21
	v_lshl_or_b32 v21, v21, 4, v63
	ds_add_u32 v21, v85
	s_branch .LBB502_637
.LBB502_694:                            ;   in Loop: Header=BB502_638 Depth=2
	global_load_dword v20, v91, s[16:17]
	s_or_b32 exec_lo, exec_lo, s18
	s_mov_b32 s18, exec_lo
	v_cmpx_gt_u32_e64 s5, v44
	s_cbranch_execz .LBB502_643
.LBB502_695:                            ;   in Loop: Header=BB502_638 Depth=2
	global_load_dword v19, v91, s[16:17] offset:1024
	s_or_b32 exec_lo, exec_lo, s18
	s_mov_b32 s18, exec_lo
	v_cmpx_gt_u32_e64 s5, v47
	s_cbranch_execz .LBB502_644
.LBB502_696:                            ;   in Loop: Header=BB502_638 Depth=2
	global_load_dword v18, v92, s[16:17]
	s_or_b32 exec_lo, exec_lo, s18
	s_mov_b32 s18, exec_lo
	v_cmpx_gt_u32_e64 s5, v48
	s_cbranch_execz .LBB502_645
.LBB502_697:                            ;   in Loop: Header=BB502_638 Depth=2
	global_load_dword v17, v93, s[16:17]
	s_or_b32 exec_lo, exec_lo, s18
	s_mov_b32 s18, exec_lo
	v_cmpx_gt_u32_e64 s5, v49
	s_cbranch_execz .LBB502_646
.LBB502_698:                            ;   in Loop: Header=BB502_638 Depth=2
	global_load_dword v16, v94, s[16:17]
	s_or_b32 exec_lo, exec_lo, s18
	s_mov_b32 s18, exec_lo
	v_cmpx_gt_u32_e64 s5, v50
	s_cbranch_execz .LBB502_647
.LBB502_699:                            ;   in Loop: Header=BB502_638 Depth=2
	global_load_dword v15, v95, s[16:17]
	s_or_b32 exec_lo, exec_lo, s18
	s_mov_b32 s18, exec_lo
	v_cmpx_gt_u32_e64 s5, v51
	s_cbranch_execz .LBB502_648
.LBB502_700:                            ;   in Loop: Header=BB502_638 Depth=2
	global_load_dword v14, v96, s[16:17]
	s_or_b32 exec_lo, exec_lo, s18
	s_mov_b32 s18, exec_lo
	v_cmpx_gt_u32_e64 s5, v52
	s_cbranch_execz .LBB502_649
.LBB502_701:                            ;   in Loop: Header=BB502_638 Depth=2
	global_load_dword v13, v97, s[16:17]
	s_or_b32 exec_lo, exec_lo, s18
	s_mov_b32 s18, exec_lo
	v_cmpx_gt_u32_e64 s5, v53
	s_cbranch_execz .LBB502_650
.LBB502_702:                            ;   in Loop: Header=BB502_638 Depth=2
	global_load_dword v12, v98, s[16:17]
	s_or_b32 exec_lo, exec_lo, s18
	s_mov_b32 s18, exec_lo
	v_cmpx_gt_u32_e64 s5, v54
	s_cbranch_execz .LBB502_651
.LBB502_703:                            ;   in Loop: Header=BB502_638 Depth=2
	global_load_dword v11, v99, s[16:17]
	s_or_b32 exec_lo, exec_lo, s18
	s_mov_b32 s18, exec_lo
	v_cmpx_gt_u32_e64 s5, v55
	s_cbranch_execz .LBB502_652
.LBB502_704:                            ;   in Loop: Header=BB502_638 Depth=2
	global_load_dword v10, v100, s[16:17]
	s_or_b32 exec_lo, exec_lo, s18
	s_mov_b32 s18, exec_lo
	v_cmpx_gt_u32_e64 s5, v56
	s_cbranch_execz .LBB502_653
.LBB502_705:                            ;   in Loop: Header=BB502_638 Depth=2
	global_load_dword v9, v101, s[16:17]
	s_or_b32 exec_lo, exec_lo, s18
	s_mov_b32 s18, exec_lo
	v_cmpx_gt_u32_e64 s5, v57
	s_cbranch_execz .LBB502_654
.LBB502_706:                            ;   in Loop: Header=BB502_638 Depth=2
	global_load_dword v8, v102, s[16:17]
	s_or_b32 exec_lo, exec_lo, s18
	s_mov_b32 s18, exec_lo
	v_cmpx_gt_u32_e64 s5, v58
	s_cbranch_execz .LBB502_655
.LBB502_707:                            ;   in Loop: Header=BB502_638 Depth=2
	global_load_dword v7, v103, s[16:17]
	s_or_b32 exec_lo, exec_lo, s18
	s_mov_b32 s18, exec_lo
	v_cmpx_gt_u32_e64 s5, v59
	s_cbranch_execz .LBB502_656
.LBB502_708:                            ;   in Loop: Header=BB502_638 Depth=2
	global_load_dword v6, v104, s[16:17]
	s_or_b32 exec_lo, exec_lo, s18
	s_mov_b32 s18, exec_lo
	v_cmpx_gt_u32_e64 s5, v60
	s_cbranch_execz .LBB502_657
.LBB502_709:                            ;   in Loop: Header=BB502_638 Depth=2
	global_load_dword v5, v105, s[16:17]
	s_or_b32 exec_lo, exec_lo, s18
	s_mov_b32 s18, exec_lo
	v_cmpx_gt_u32_e64 s5, v61
	s_cbranch_execnz .LBB502_658
	s_branch .LBB502_659
.LBB502_710:                            ;   in Loop: Header=BB502_12 Depth=1
	v_mov_b32_e32 v3, 0
	s_waitcnt lgkmcnt(0)
	s_barrier
	buffer_gl0_inv
	s_and_saveexec_b32 s5, s7
	s_cbranch_execz .LBB502_712
; %bb.711:                              ;   in Loop: Header=BB502_12 Depth=1
	ds_read2_b64 v[5:8], v64 offset1:1
	s_waitcnt lgkmcnt(0)
	v_add_nc_u32_e32 v3, v6, v5
	v_add3_u32 v3, v3, v7, v8
.LBB502_712:                            ;   in Loop: Header=BB502_12 Depth=1
	s_or_b32 exec_lo, exec_lo, s5
	v_mov_b32_dpp v5, v3 row_shr:1 row_mask:0xf bank_mask:0xf
	v_cmp_eq_u32_e64 s5, 0, v86
	v_cmp_lt_u32_e64 s15, 1, v86
	v_cmp_lt_u32_e64 s16, 3, v86
	;; [unrolled: 1-line block ×3, first 2 shown]
	v_cmp_eq_u32_e64 s18, 0, v88
	v_cndmask_b32_e64 v5, v5, 0, s5
	v_add_nc_u32_e32 v3, v5, v3
	v_mov_b32_dpp v5, v3 row_shr:2 row_mask:0xf bank_mask:0xf
	v_cndmask_b32_e64 v5, 0, v5, s15
	v_add_nc_u32_e32 v3, v3, v5
	v_mov_b32_dpp v5, v3 row_shr:4 row_mask:0xf bank_mask:0xf
	;; [unrolled: 3-line block ×3, first 2 shown]
	v_cndmask_b32_e64 v5, 0, v5, s17
	v_add_nc_u32_e32 v3, v3, v5
	ds_swizzle_b32 v5, v3 offset:swizzle(BROADCAST,32,15)
	s_waitcnt lgkmcnt(0)
	v_and_b32_e32 v5, v87, v5
	v_add_nc_u32_e32 v3, v3, v5
	s_and_saveexec_b32 s19, s8
; %bb.713:                              ;   in Loop: Header=BB502_12 Depth=1
	ds_write_b32 v65, v3
; %bb.714:                              ;   in Loop: Header=BB502_12 Depth=1
	s_or_b32 exec_lo, exec_lo, s19
	s_waitcnt lgkmcnt(0)
	s_barrier
	buffer_gl0_inv
	s_and_saveexec_b32 s19, s9
	s_cbranch_execz .LBB502_716
; %bb.715:                              ;   in Loop: Header=BB502_12 Depth=1
	ds_read_b32 v5, v66
	v_cmp_ne_u32_e32 vcc_lo, 0, v89
	s_waitcnt lgkmcnt(0)
	v_mov_b32_dpp v6, v5 row_shr:1 row_mask:0xf bank_mask:0xf
	v_cndmask_b32_e32 v6, 0, v6, vcc_lo
	v_cmp_lt_u32_e32 vcc_lo, 1, v89
	v_add_nc_u32_e32 v5, v6, v5
	v_mov_b32_dpp v6, v5 row_shr:2 row_mask:0xf bank_mask:0xf
	v_cndmask_b32_e32 v6, 0, v6, vcc_lo
	v_add_nc_u32_e32 v5, v5, v6
	ds_write_b32 v66, v5
.LBB502_716:                            ;   in Loop: Header=BB502_12 Depth=1
	s_or_b32 exec_lo, exec_lo, s19
	v_mov_b32_e32 v5, 0
	s_waitcnt lgkmcnt(0)
	s_barrier
	buffer_gl0_inv
	s_and_saveexec_b32 s19, s10
; %bb.717:                              ;   in Loop: Header=BB502_12 Depth=1
	ds_read_b32 v5, v67
; %bb.718:                              ;   in Loop: Header=BB502_12 Depth=1
	s_or_b32 exec_lo, exec_lo, s19
	v_cmp_gt_i32_e32 vcc_lo, 0, v90
	s_waitcnt lgkmcnt(0)
	v_add_nc_u32_e32 v3, v5, v3
	s_barrier
	buffer_gl0_inv
	v_cndmask_b32_e32 v6, v90, v82, vcc_lo
	v_lshlrev_b32_e32 v131, 2, v6
	ds_bpermute_b32 v3, v131, v3
	s_and_saveexec_b32 s19, s7
	s_cbranch_execz .LBB502_720
; %bb.719:                              ;   in Loop: Header=BB502_12 Depth=1
	s_waitcnt lgkmcnt(0)
	v_cndmask_b32_e64 v3, v3, v5, s14
	v_add_nc_u32_e32 v3, s58, v3
	ds_write_b32 v43, v3
.LBB502_720:                            ;   in Loop: Header=BB502_12 Depth=1
	s_or_b32 exec_lo, exec_lo, s19
	s_load_dwordx2 s[20:21], s[56:57], 0x0
	v_add_co_u32 v132, vcc_lo, v80, v106
	v_add_co_ci_u32_e64 v133, null, 0, v81, vcc_lo
	v_add_co_u32 v134, vcc_lo, v83, v125
	v_add_co_ci_u32_e64 v135, null, 0, v84, vcc_lo
	s_mov_b32 s63, s60
	s_mov_b32 s50, s58
                                        ; implicit-def: $vgpr7_vgpr8
                                        ; implicit-def: $vgpr9_vgpr10
                                        ; implicit-def: $vgpr11_vgpr12
                                        ; implicit-def: $vgpr13_vgpr14
                                        ; implicit-def: $vgpr15_vgpr16
                                        ; implicit-def: $vgpr19_vgpr20
                                        ; implicit-def: $vgpr23_vgpr24
                                        ; implicit-def: $vgpr27_vgpr28
                                        ; implicit-def: $vgpr17_vgpr18
                                        ; implicit-def: $vgpr21_vgpr22
                                        ; implicit-def: $vgpr25_vgpr26
                                        ; implicit-def: $vgpr29_vgpr30
                                        ; implicit-def: $vgpr31_vgpr32
                                        ; implicit-def: $vgpr33_vgpr34
                                        ; implicit-def: $vgpr35_vgpr36
                                        ; implicit-def: $vgpr37_vgpr38
                                        ; implicit-def: $vgpr137
                                        ; implicit-def: $vgpr138
                                        ; implicit-def: $vgpr139
                                        ; implicit-def: $vgpr140
                                        ; implicit-def: $vgpr141
                                        ; implicit-def: $vgpr142
                                        ; implicit-def: $vgpr143
                                        ; implicit-def: $vgpr144
                                        ; implicit-def: $vgpr145
                                        ; implicit-def: $vgpr146
                                        ; implicit-def: $vgpr147
                                        ; implicit-def: $vgpr148
                                        ; implicit-def: $vgpr149
                                        ; implicit-def: $vgpr150
                                        ; implicit-def: $vgpr151
                                        ; implicit-def: $vgpr153
                                        ; implicit-def: $vgpr154
                                        ; implicit-def: $vgpr152
                                        ; implicit-def: $vgpr155
	s_waitcnt lgkmcnt(0)
	s_cmp_lt_u32 s28, s21
	s_cselect_b32 s19, 14, 20
	s_add_u32 s22, s56, s19
	s_addc_u32 s23, s57, 0
	s_cmp_lt_u32 s6, s20
	global_load_ushort v3, v4, s[22:23]
	s_cselect_b32 s19, 12, 18
	s_add_u32 s20, s56, s19
	s_addc_u32 s21, s57, 0
	v_cmp_eq_u32_e64 s19, 0, v108
	global_load_ushort v5, v4, s[20:21]
	v_cmp_lt_u32_e64 s20, 1, v108
	v_cmp_lt_u32_e64 s21, 3, v108
	s_waitcnt vmcnt(1)
	v_mad_u32_u24 v3, v2, v3, v1
	s_waitcnt vmcnt(0)
	v_mad_u64_u32 v[5:6], null, v3, v5, v[0:1]
	v_lshrrev_b32_e32 v3, 3, v5
                                        ; implicit-def: $vgpr5_vgpr6
	v_and_b32_e32 v136, 0x1ffffffc, v3
	s_branch .LBB502_722
.LBB502_721:                            ;   in Loop: Header=BB502_722 Depth=2
	s_or_b32 exec_lo, exec_lo, s22
	s_addk_i32 s63, 0xef00
	s_cmp_lt_u32 s64, s59
	s_mov_b32 s50, s64
	s_cbranch_scc0 .LBB502_944
.LBB502_722:                            ;   Parent Loop BB502_12 Depth=1
                                        ; =>  This Inner Loop Header: Depth=2
	s_add_i32 s64, s50, 0x1100
	s_cmp_gt_u32 s64, s59
	s_cbranch_scc1 .LBB502_724
; %bb.723:                              ;   in Loop: Header=BB502_722 Depth=2
	s_lshl_b64 s[22:23], s[50:51], 2
	v_add_co_u32 v39, vcc_lo, v134, s22
	v_add_co_ci_u32_e64 v40, null, s23, v135, vcc_lo
	s_mov_b32 s22, -1
	s_clause 0xf
	global_load_dword v157, v[39:40], off
	global_load_dword v158, v[39:40], off offset:128
	global_load_dword v161, v[39:40], off offset:256
	;; [unrolled: 1-line block ×15, first 2 shown]
	s_movk_i32 s23, 0x1100
	s_cbranch_execz .LBB502_725
	s_branch .LBB502_758
.LBB502_724:                            ;   in Loop: Header=BB502_722 Depth=2
	s_mov_b32 s22, 0
                                        ; implicit-def: $vgpr157
                                        ; implicit-def: $vgpr158
                                        ; implicit-def: $vgpr161
                                        ; implicit-def: $vgpr165
                                        ; implicit-def: $vgpr170
                                        ; implicit-def: $vgpr175
                                        ; implicit-def: $vgpr180
                                        ; implicit-def: $vgpr185
                                        ; implicit-def: $vgpr190
                                        ; implicit-def: $vgpr188
                                        ; implicit-def: $vgpr183
                                        ; implicit-def: $vgpr178
                                        ; implicit-def: $vgpr174
                                        ; implicit-def: $vgpr169
                                        ; implicit-def: $vgpr42
                                        ; implicit-def: $vgpr41
	s_movk_i32 s23, 0x1100
.LBB502_725:                            ;   in Loop: Header=BB502_722 Depth=2
	s_lshl_b64 s[22:23], s[50:51], 2
	s_waitcnt vmcnt(14)
	v_bfrev_b32_e32 v158, 1
	v_add_co_u32 v39, vcc_lo, v134, s22
	v_add_co_ci_u32_e64 v40, null, s23, v135, vcc_lo
	v_bfrev_b32_e32 v157, 1
	s_mov_b32 s22, exec_lo
	v_cmpx_gt_u32_e64 s63, v109
	s_cbranch_execz .LBB502_727
; %bb.726:                              ;   in Loop: Header=BB502_722 Depth=2
	global_load_dword v157, v[39:40], off
.LBB502_727:                            ;   in Loop: Header=BB502_722 Depth=2
	s_or_b32 exec_lo, exec_lo, s22
	s_mov_b32 s22, exec_lo
	v_cmpx_gt_u32_e64 s63, v112
	s_cbranch_execz .LBB502_729
; %bb.728:                              ;   in Loop: Header=BB502_722 Depth=2
	global_load_dword v158, v[39:40], off offset:128
.LBB502_729:                            ;   in Loop: Header=BB502_722 Depth=2
	s_or_b32 exec_lo, exec_lo, s22
	s_waitcnt vmcnt(12)
	v_bfrev_b32_e32 v165, 1
	v_bfrev_b32_e32 v161, 1
	s_mov_b32 s22, exec_lo
	v_cmpx_gt_u32_e64 s63, v113
	s_cbranch_execz .LBB502_731
; %bb.730:                              ;   in Loop: Header=BB502_722 Depth=2
	global_load_dword v161, v[39:40], off offset:256
.LBB502_731:                            ;   in Loop: Header=BB502_722 Depth=2
	s_or_b32 exec_lo, exec_lo, s22
	s_mov_b32 s22, exec_lo
	v_cmpx_gt_u32_e64 s63, v114
	s_cbranch_execz .LBB502_733
; %bb.732:                              ;   in Loop: Header=BB502_722 Depth=2
	global_load_dword v165, v[39:40], off offset:384
.LBB502_733:                            ;   in Loop: Header=BB502_722 Depth=2
	s_or_b32 exec_lo, exec_lo, s22
	s_waitcnt vmcnt(10)
	v_bfrev_b32_e32 v175, 1
	v_bfrev_b32_e32 v170, 1
	s_mov_b32 s22, exec_lo
	v_cmpx_gt_u32_e64 s63, v115
	s_cbranch_execz .LBB502_735
; %bb.734:                              ;   in Loop: Header=BB502_722 Depth=2
	global_load_dword v170, v[39:40], off offset:512
.LBB502_735:                            ;   in Loop: Header=BB502_722 Depth=2
	;; [unrolled: 17-line block ×7, first 2 shown]
	s_or_b32 exec_lo, exec_lo, s22
	s_mov_b32 s22, exec_lo
	v_cmpx_gt_u32_e64 s63, v127
	s_cbranch_execz .LBB502_757
; %bb.756:                              ;   in Loop: Header=BB502_722 Depth=2
	global_load_dword v41, v[39:40], off offset:1920
.LBB502_757:                            ;   in Loop: Header=BB502_722 Depth=2
	s_or_b32 exec_lo, exec_lo, s22
	v_cmp_gt_u32_e64 s22, s63, v128
	s_sub_i32 s23, s59, s50
.LBB502_758:                            ;   in Loop: Header=BB502_722 Depth=2
	v_mov_b32_e32 v3, -1
	v_mov_b32_e32 v156, s63
	s_and_saveexec_b32 s24, s22
	s_cbranch_execz .LBB502_760
; %bb.759:                              ;   in Loop: Header=BB502_722 Depth=2
	s_lshl_b64 s[26:27], s[50:51], 2
	v_mov_b32_e32 v156, s23
	v_add_co_u32 v3, vcc_lo, v134, s26
	v_add_co_ci_u32_e64 v40, null, s27, v135, vcc_lo
	v_add_co_u32 v39, vcc_lo, 0x800, v3
	v_add_co_ci_u32_e64 v40, null, 0, v40, vcc_lo
	global_load_dword v3, v[39:40], off
	s_waitcnt vmcnt(0)
	v_xor_b32_e32 v3, 0x7fffffff, v3
.LBB502_760:                            ;   in Loop: Header=BB502_722 Depth=2
	s_or_b32 exec_lo, exec_lo, s24
	s_waitcnt vmcnt(15)
	v_xor_b32_e32 v157, 0x7fffffff, v157
	ds_write2_b32 v68, v4, v4 offset0:136 offset1:137
	ds_write2_b32 v68, v4, v4 offset0:138 offset1:139
	ds_write_b32 v68, v4 offset:560
	s_waitcnt vmcnt(0) lgkmcnt(0)
	s_barrier
	v_lshrrev_b32_e32 v39, s41, v157
	buffer_gl0_inv
	; wave barrier
	v_and_b32_e32 v40, s62, v39
	v_and_b32_e32 v39, 1, v40
	v_lshlrev_b32_e32 v159, 30, v40
	v_lshlrev_b32_e32 v160, 29, v40
	;; [unrolled: 1-line block ×4, first 2 shown]
	v_add_co_u32 v39, s22, v39, -1
	v_cndmask_b32_e64 v162, 0, 1, s22
	v_not_b32_e32 v167, v159
	v_cmp_gt_i32_e64 s22, 0, v159
	v_not_b32_e32 v159, v160
	v_lshlrev_b32_e32 v166, 26, v40
	v_cmp_ne_u32_e32 vcc_lo, 0, v162
	v_ashrrev_i32_e32 v167, 31, v167
	v_lshlrev_b32_e32 v162, 25, v40
	v_ashrrev_i32_e32 v159, 31, v159
	v_mul_u32_u24_e32 v40, 36, v40
	v_xor_b32_e32 v39, vcc_lo, v39
	v_cmp_gt_i32_e32 vcc_lo, 0, v160
	v_not_b32_e32 v160, v163
	v_xor_b32_e32 v167, s22, v167
	v_cmp_gt_i32_e64 s22, 0, v163
	v_and_b32_e32 v39, exec_lo, v39
	v_not_b32_e32 v163, v164
	v_ashrrev_i32_e32 v160, 31, v160
	v_xor_b32_e32 v159, vcc_lo, v159
	v_cmp_gt_i32_e32 vcc_lo, 0, v164
	v_and_b32_e32 v39, v39, v167
	v_not_b32_e32 v164, v166
	v_ashrrev_i32_e32 v163, 31, v163
	v_xor_b32_e32 v160, s22, v160
	v_cmp_gt_i32_e64 s22, 0, v166
	v_and_b32_e32 v39, v39, v159
	v_not_b32_e32 v159, v162
	v_ashrrev_i32_e32 v164, 31, v164
	v_xor_b32_e32 v163, vcc_lo, v163
	v_cmp_gt_i32_e32 vcc_lo, 0, v162
	v_and_b32_e32 v39, v39, v160
	v_ashrrev_i32_e32 v159, 31, v159
	v_xor_b32_e32 v160, s22, v164
	v_and_b32_e32 v39, v39, v163
	v_xor_b32_e32 v159, vcc_lo, v159
	v_and_b32_e32 v39, v39, v160
	v_add_nc_u32_e32 v160, v136, v40
	v_and_b32_e32 v39, v39, v159
	v_mbcnt_lo_u32_b32 v159, v39, 0
	v_cmp_ne_u32_e64 s22, 0, v39
	v_cmp_eq_u32_e32 vcc_lo, 0, v159
	s_and_b32 s23, s22, vcc_lo
	s_and_saveexec_b32 s22, s23
; %bb.761:                              ;   in Loop: Header=BB502_722 Depth=2
	v_bcnt_u32_b32 v39, v39, 0
	ds_write_b32 v160, v39 offset:544
; %bb.762:                              ;   in Loop: Header=BB502_722 Depth=2
	s_or_b32 exec_lo, exec_lo, s22
	v_xor_b32_e32 v158, 0x7fffffff, v158
	; wave barrier
	v_lshrrev_b32_e32 v39, s41, v158
	v_and_b32_e32 v40, s62, v39
	v_and_b32_e32 v39, 1, v40
	v_lshlrev_b32_e32 v162, 30, v40
	v_lshlrev_b32_e32 v163, 29, v40
	v_lshlrev_b32_e32 v166, 28, v40
	v_lshlrev_b32_e32 v167, 27, v40
	v_add_co_u32 v39, s22, v39, -1
	v_cndmask_b32_e64 v164, 0, 1, s22
	v_not_b32_e32 v171, v162
	v_cmp_gt_i32_e64 s22, 0, v162
	v_not_b32_e32 v162, v163
	v_lshlrev_b32_e32 v168, 26, v40
	v_cmp_ne_u32_e32 vcc_lo, 0, v164
	v_ashrrev_i32_e32 v171, 31, v171
	v_lshlrev_b32_e32 v164, 25, v40
	v_ashrrev_i32_e32 v162, 31, v162
	v_xor_b32_e32 v39, vcc_lo, v39
	v_cmp_gt_i32_e32 vcc_lo, 0, v163
	v_not_b32_e32 v163, v166
	v_xor_b32_e32 v171, s22, v171
	v_cmp_gt_i32_e64 s22, 0, v166
	v_and_b32_e32 v39, exec_lo, v39
	v_not_b32_e32 v166, v167
	v_ashrrev_i32_e32 v163, 31, v163
	v_xor_b32_e32 v162, vcc_lo, v162
	v_cmp_gt_i32_e32 vcc_lo, 0, v167
	v_and_b32_e32 v39, v39, v171
	v_not_b32_e32 v167, v168
	v_ashrrev_i32_e32 v166, 31, v166
	v_xor_b32_e32 v163, s22, v163
	v_cmp_gt_i32_e64 s22, 0, v168
	v_and_b32_e32 v39, v39, v162
	v_not_b32_e32 v162, v164
	v_ashrrev_i32_e32 v167, 31, v167
	v_xor_b32_e32 v166, vcc_lo, v166
	v_cmp_gt_i32_e32 vcc_lo, 0, v164
	v_and_b32_e32 v39, v39, v163
	v_ashrrev_i32_e32 v162, 31, v162
	v_xor_b32_e32 v163, s22, v167
	v_mad_u32_u24 v164, v40, 36, v136
	v_mul_u32_u24_e32 v40, 36, v40
	v_and_b32_e32 v39, v39, v166
	v_xor_b32_e32 v166, vcc_lo, v162
	ds_read_b32 v162, v164 offset:544
	v_add_nc_u32_e32 v164, v136, v40
	v_and_b32_e32 v39, v39, v163
	; wave barrier
	v_and_b32_e32 v39, v39, v166
	v_mbcnt_lo_u32_b32 v163, v39, 0
	v_cmp_ne_u32_e64 s22, 0, v39
	v_cmp_eq_u32_e32 vcc_lo, 0, v163
	s_and_b32 s23, s22, vcc_lo
	s_and_saveexec_b32 s22, s23
	s_cbranch_execz .LBB502_764
; %bb.763:                              ;   in Loop: Header=BB502_722 Depth=2
	s_waitcnt lgkmcnt(0)
	v_bcnt_u32_b32 v39, v39, v162
	ds_write_b32 v164, v39 offset:544
.LBB502_764:                            ;   in Loop: Header=BB502_722 Depth=2
	s_or_b32 exec_lo, exec_lo, s22
	v_xor_b32_e32 v161, 0x7fffffff, v161
	; wave barrier
	v_lshrrev_b32_e32 v39, s41, v161
	v_and_b32_e32 v40, s62, v39
	v_and_b32_e32 v39, 1, v40
	v_lshlrev_b32_e32 v166, 30, v40
	v_lshlrev_b32_e32 v167, 29, v40
	v_lshlrev_b32_e32 v171, 28, v40
	v_lshlrev_b32_e32 v172, 27, v40
	v_add_co_u32 v39, s22, v39, -1
	v_cndmask_b32_e64 v168, 0, 1, s22
	v_not_b32_e32 v176, v166
	v_cmp_gt_i32_e64 s22, 0, v166
	v_not_b32_e32 v166, v167
	v_lshlrev_b32_e32 v173, 26, v40
	v_cmp_ne_u32_e32 vcc_lo, 0, v168
	v_ashrrev_i32_e32 v176, 31, v176
	v_lshlrev_b32_e32 v168, 25, v40
	v_ashrrev_i32_e32 v166, 31, v166
	v_xor_b32_e32 v39, vcc_lo, v39
	v_cmp_gt_i32_e32 vcc_lo, 0, v167
	v_not_b32_e32 v167, v171
	v_xor_b32_e32 v176, s22, v176
	v_cmp_gt_i32_e64 s22, 0, v171
	v_and_b32_e32 v39, exec_lo, v39
	v_not_b32_e32 v171, v172
	v_ashrrev_i32_e32 v167, 31, v167
	v_xor_b32_e32 v166, vcc_lo, v166
	v_cmp_gt_i32_e32 vcc_lo, 0, v172
	v_and_b32_e32 v39, v39, v176
	v_not_b32_e32 v172, v173
	v_ashrrev_i32_e32 v171, 31, v171
	v_xor_b32_e32 v167, s22, v167
	v_cmp_gt_i32_e64 s22, 0, v173
	v_and_b32_e32 v39, v39, v166
	v_not_b32_e32 v166, v168
	v_ashrrev_i32_e32 v172, 31, v172
	v_xor_b32_e32 v171, vcc_lo, v171
	v_cmp_gt_i32_e32 vcc_lo, 0, v168
	v_and_b32_e32 v39, v39, v167
	v_ashrrev_i32_e32 v166, 31, v166
	v_xor_b32_e32 v167, s22, v172
	v_mad_u32_u24 v168, v40, 36, v136
	v_mul_u32_u24_e32 v40, 36, v40
	v_and_b32_e32 v39, v39, v171
	v_xor_b32_e32 v171, vcc_lo, v166
	ds_read_b32 v166, v168 offset:544
	v_add_nc_u32_e32 v168, v136, v40
	v_and_b32_e32 v39, v39, v167
	; wave barrier
	v_and_b32_e32 v39, v39, v171
	v_mbcnt_lo_u32_b32 v167, v39, 0
	v_cmp_ne_u32_e64 s22, 0, v39
	v_cmp_eq_u32_e32 vcc_lo, 0, v167
	s_and_b32 s23, s22, vcc_lo
	s_and_saveexec_b32 s22, s23
	s_cbranch_execz .LBB502_766
; %bb.765:                              ;   in Loop: Header=BB502_722 Depth=2
	s_waitcnt lgkmcnt(0)
	v_bcnt_u32_b32 v39, v39, v166
	ds_write_b32 v168, v39 offset:544
.LBB502_766:                            ;   in Loop: Header=BB502_722 Depth=2
	;; [unrolled: 63-line block ×9, first 2 shown]
	s_or_b32 exec_lo, exec_lo, s22
	v_xor_b32_e32 v183, 0x7fffffff, v183
	; wave barrier
	v_lshrrev_b32_e32 v39, s41, v183
	v_and_b32_e32 v40, s62, v39
	v_and_b32_e32 v39, 1, v40
	v_lshlrev_b32_e32 v200, 30, v40
	v_lshlrev_b32_e32 v201, 29, v40
	;; [unrolled: 1-line block ×4, first 2 shown]
	v_add_co_u32 v39, s22, v39, -1
	v_cndmask_b32_e64 v202, 0, 1, s22
	v_not_b32_e32 v206, v200
	v_cmp_gt_i32_e64 s22, 0, v200
	v_not_b32_e32 v200, v201
	v_lshlrev_b32_e32 v205, 26, v40
	v_cmp_ne_u32_e32 vcc_lo, 0, v202
	v_ashrrev_i32_e32 v206, 31, v206
	v_lshlrev_b32_e32 v202, 25, v40
	v_ashrrev_i32_e32 v200, 31, v200
	v_xor_b32_e32 v39, vcc_lo, v39
	v_cmp_gt_i32_e32 vcc_lo, 0, v201
	v_not_b32_e32 v201, v203
	v_xor_b32_e32 v206, s22, v206
	v_cmp_gt_i32_e64 s22, 0, v203
	v_and_b32_e32 v39, exec_lo, v39
	v_not_b32_e32 v203, v204
	v_ashrrev_i32_e32 v201, 31, v201
	v_xor_b32_e32 v200, vcc_lo, v200
	v_cmp_gt_i32_e32 vcc_lo, 0, v204
	v_and_b32_e32 v39, v39, v206
	v_not_b32_e32 v204, v205
	v_ashrrev_i32_e32 v203, 31, v203
	v_xor_b32_e32 v201, s22, v201
	v_cmp_gt_i32_e64 s22, 0, v205
	v_and_b32_e32 v39, v39, v200
	v_not_b32_e32 v200, v202
	v_ashrrev_i32_e32 v204, 31, v204
	v_xor_b32_e32 v203, vcc_lo, v203
	v_cmp_gt_i32_e32 vcc_lo, 0, v202
	v_and_b32_e32 v39, v39, v201
	v_ashrrev_i32_e32 v200, 31, v200
	v_xor_b32_e32 v201, s22, v204
	v_mad_u32_u24 v202, v40, 36, v136
	v_mul_u32_u24_e32 v40, 36, v40
	v_and_b32_e32 v39, v39, v203
	v_xor_b32_e32 v200, vcc_lo, v200
	v_add_nc_u32_e32 v203, v136, v40
	v_and_b32_e32 v39, v39, v201
	ds_read_b32 v201, v202 offset:544
	; wave barrier
	v_and_b32_e32 v39, v39, v200
	v_mbcnt_lo_u32_b32 v202, v39, 0
	v_cmp_ne_u32_e64 s22, 0, v39
	v_cmp_eq_u32_e32 vcc_lo, 0, v202
	s_and_b32 s23, s22, vcc_lo
	s_and_saveexec_b32 s22, s23
	s_cbranch_execz .LBB502_782
; %bb.781:                              ;   in Loop: Header=BB502_722 Depth=2
	s_waitcnt lgkmcnt(0)
	v_bcnt_u32_b32 v39, v39, v201
	ds_write_b32 v203, v39 offset:544
.LBB502_782:                            ;   in Loop: Header=BB502_722 Depth=2
	s_or_b32 exec_lo, exec_lo, s22
	v_xor_b32_e32 v200, 0x7fffffff, v178
	; wave barrier
	v_lshrrev_b32_e32 v39, s41, v200
	v_and_b32_e32 v40, s62, v39
	v_and_b32_e32 v39, 1, v40
	v_lshlrev_b32_e32 v178, 30, v40
	v_lshlrev_b32_e32 v204, 29, v40
	v_lshlrev_b32_e32 v206, 28, v40
	v_lshlrev_b32_e32 v207, 27, v40
	v_add_co_u32 v39, s22, v39, -1
	v_cndmask_b32_e64 v205, 0, 1, s22
	v_not_b32_e32 v209, v178
	v_cmp_gt_i32_e64 s22, 0, v178
	v_not_b32_e32 v178, v204
	v_lshlrev_b32_e32 v208, 26, v40
	v_cmp_ne_u32_e32 vcc_lo, 0, v205
	v_ashrrev_i32_e32 v209, 31, v209
	v_lshlrev_b32_e32 v205, 25, v40
	v_ashrrev_i32_e32 v178, 31, v178
	v_xor_b32_e32 v39, vcc_lo, v39
	v_cmp_gt_i32_e32 vcc_lo, 0, v204
	v_not_b32_e32 v204, v206
	v_xor_b32_e32 v209, s22, v209
	v_cmp_gt_i32_e64 s22, 0, v206
	v_and_b32_e32 v39, exec_lo, v39
	v_not_b32_e32 v206, v207
	v_ashrrev_i32_e32 v204, 31, v204
	v_xor_b32_e32 v178, vcc_lo, v178
	v_cmp_gt_i32_e32 vcc_lo, 0, v207
	v_and_b32_e32 v39, v39, v209
	v_not_b32_e32 v207, v208
	v_ashrrev_i32_e32 v206, 31, v206
	v_xor_b32_e32 v204, s22, v204
	v_cmp_gt_i32_e64 s22, 0, v208
	v_and_b32_e32 v39, v39, v178
	v_not_b32_e32 v178, v205
	v_ashrrev_i32_e32 v207, 31, v207
	v_xor_b32_e32 v206, vcc_lo, v206
	v_cmp_gt_i32_e32 vcc_lo, 0, v205
	v_and_b32_e32 v39, v39, v204
	v_ashrrev_i32_e32 v178, 31, v178
	v_xor_b32_e32 v204, s22, v207
	v_mad_u32_u24 v205, v40, 36, v136
	v_mul_u32_u24_e32 v40, 36, v40
	v_and_b32_e32 v39, v39, v206
	v_xor_b32_e32 v178, vcc_lo, v178
	ds_read_b32 v205, v205 offset:544
	v_and_b32_e32 v39, v39, v204
	; wave barrier
	v_and_b32_e32 v39, v39, v178
	v_add_nc_u32_e32 v178, v136, v40
	v_mbcnt_lo_u32_b32 v206, v39, 0
	v_cmp_ne_u32_e64 s22, 0, v39
	v_cmp_eq_u32_e32 vcc_lo, 0, v206
	s_and_b32 s23, s22, vcc_lo
	s_and_saveexec_b32 s22, s23
	s_cbranch_execz .LBB502_784
; %bb.783:                              ;   in Loop: Header=BB502_722 Depth=2
	s_waitcnt lgkmcnt(0)
	v_bcnt_u32_b32 v39, v39, v205
	ds_write_b32 v178, v39 offset:544
.LBB502_784:                            ;   in Loop: Header=BB502_722 Depth=2
	s_or_b32 exec_lo, exec_lo, s22
	v_xor_b32_e32 v204, 0x7fffffff, v174
	; wave barrier
	v_lshrrev_b32_e32 v39, s41, v204
	v_and_b32_e32 v40, s62, v39
	v_and_b32_e32 v39, 1, v40
	v_lshlrev_b32_e32 v174, 30, v40
	v_lshlrev_b32_e32 v207, 29, v40
	v_lshlrev_b32_e32 v209, 28, v40
	v_lshlrev_b32_e32 v210, 27, v40
	v_add_co_u32 v39, s22, v39, -1
	v_cndmask_b32_e64 v208, 0, 1, s22
	v_not_b32_e32 v212, v174
	v_cmp_gt_i32_e64 s22, 0, v174
	v_not_b32_e32 v174, v207
	v_lshlrev_b32_e32 v211, 26, v40
	v_cmp_ne_u32_e32 vcc_lo, 0, v208
	v_ashrrev_i32_e32 v212, 31, v212
	v_lshlrev_b32_e32 v208, 25, v40
	v_ashrrev_i32_e32 v174, 31, v174
	v_xor_b32_e32 v39, vcc_lo, v39
	v_cmp_gt_i32_e32 vcc_lo, 0, v207
	v_not_b32_e32 v207, v209
	v_xor_b32_e32 v212, s22, v212
	v_cmp_gt_i32_e64 s22, 0, v209
	v_and_b32_e32 v39, exec_lo, v39
	v_not_b32_e32 v209, v210
	v_ashrrev_i32_e32 v207, 31, v207
	v_xor_b32_e32 v174, vcc_lo, v174
	v_cmp_gt_i32_e32 vcc_lo, 0, v210
	v_and_b32_e32 v39, v39, v212
	v_not_b32_e32 v210, v211
	v_ashrrev_i32_e32 v209, 31, v209
	v_xor_b32_e32 v207, s22, v207
	v_cmp_gt_i32_e64 s22, 0, v211
	v_and_b32_e32 v39, v39, v174
	v_not_b32_e32 v174, v208
	v_ashrrev_i32_e32 v210, 31, v210
	v_xor_b32_e32 v209, vcc_lo, v209
	v_cmp_gt_i32_e32 vcc_lo, 0, v208
	v_and_b32_e32 v39, v39, v207
	v_ashrrev_i32_e32 v174, 31, v174
	v_xor_b32_e32 v207, s22, v210
	v_mad_u32_u24 v208, v40, 36, v136
	v_mul_u32_u24_e32 v40, 36, v40
	v_and_b32_e32 v39, v39, v209
	v_xor_b32_e32 v174, vcc_lo, v174
	ds_read_b32 v208, v208 offset:544
	v_and_b32_e32 v39, v39, v207
	; wave barrier
	v_and_b32_e32 v39, v39, v174
	v_add_nc_u32_e32 v174, v136, v40
	;; [unrolled: 63-line block ×3, first 2 shown]
	v_mbcnt_lo_u32_b32 v212, v39, 0
	v_cmp_ne_u32_e64 s22, 0, v39
	v_cmp_eq_u32_e32 vcc_lo, 0, v212
	s_and_b32 s23, s22, vcc_lo
	s_and_saveexec_b32 s22, s23
	s_cbranch_execz .LBB502_788
; %bb.787:                              ;   in Loop: Header=BB502_722 Depth=2
	s_waitcnt lgkmcnt(0)
	v_bcnt_u32_b32 v39, v39, v211
	ds_write_b32 v169, v39 offset:544
.LBB502_788:                            ;   in Loop: Header=BB502_722 Depth=2
	s_or_b32 exec_lo, exec_lo, s22
	v_xor_b32_e32 v210, 0x7fffffff, v42
	; wave barrier
	v_lshrrev_b32_e32 v39, s41, v210
	v_and_b32_e32 v40, s62, v39
	v_and_b32_e32 v39, 1, v40
	v_lshlrev_b32_e32 v42, 30, v40
	v_lshlrev_b32_e32 v213, 29, v40
	;; [unrolled: 1-line block ×4, first 2 shown]
	v_add_co_u32 v39, s22, v39, -1
	v_cndmask_b32_e64 v214, 0, 1, s22
	v_not_b32_e32 v218, v42
	v_cmp_gt_i32_e64 s22, 0, v42
	v_not_b32_e32 v42, v213
	v_lshlrev_b32_e32 v217, 26, v40
	v_cmp_ne_u32_e32 vcc_lo, 0, v214
	v_ashrrev_i32_e32 v218, 31, v218
	v_lshlrev_b32_e32 v214, 25, v40
	v_ashrrev_i32_e32 v42, 31, v42
	v_xor_b32_e32 v39, vcc_lo, v39
	v_cmp_gt_i32_e32 vcc_lo, 0, v213
	v_not_b32_e32 v213, v215
	v_xor_b32_e32 v218, s22, v218
	v_cmp_gt_i32_e64 s22, 0, v215
	v_and_b32_e32 v39, exec_lo, v39
	v_not_b32_e32 v215, v216
	v_ashrrev_i32_e32 v213, 31, v213
	v_xor_b32_e32 v42, vcc_lo, v42
	v_cmp_gt_i32_e32 vcc_lo, 0, v216
	v_and_b32_e32 v39, v39, v218
	v_not_b32_e32 v216, v217
	v_ashrrev_i32_e32 v215, 31, v215
	v_xor_b32_e32 v213, s22, v213
	v_cmp_gt_i32_e64 s22, 0, v217
	v_and_b32_e32 v39, v39, v42
	v_not_b32_e32 v42, v214
	v_ashrrev_i32_e32 v216, 31, v216
	v_xor_b32_e32 v215, vcc_lo, v215
	v_cmp_gt_i32_e32 vcc_lo, 0, v214
	v_and_b32_e32 v39, v39, v213
	v_ashrrev_i32_e32 v42, 31, v42
	v_xor_b32_e32 v213, s22, v216
	v_mad_u32_u24 v214, v40, 36, v136
	v_mul_u32_u24_e32 v40, 36, v40
	v_and_b32_e32 v39, v39, v215
	v_xor_b32_e32 v42, vcc_lo, v42
	ds_read_b32 v214, v214 offset:544
	v_add_nc_u32_e32 v216, v136, v40
	v_and_b32_e32 v39, v39, v213
	; wave barrier
	v_and_b32_e32 v39, v39, v42
	v_mbcnt_lo_u32_b32 v215, v39, 0
	v_cmp_ne_u32_e64 s22, 0, v39
	v_cmp_eq_u32_e32 vcc_lo, 0, v215
	s_and_b32 s23, s22, vcc_lo
	s_and_saveexec_b32 s22, s23
	s_cbranch_execz .LBB502_790
; %bb.789:                              ;   in Loop: Header=BB502_722 Depth=2
	s_waitcnt lgkmcnt(0)
	v_bcnt_u32_b32 v39, v39, v214
	ds_write_b32 v216, v39 offset:544
.LBB502_790:                            ;   in Loop: Header=BB502_722 Depth=2
	s_or_b32 exec_lo, exec_lo, s22
	v_xor_b32_e32 v213, 0x7fffffff, v41
	; wave barrier
	v_lshrrev_b32_e32 v39, s41, v213
	v_and_b32_e32 v40, s62, v39
	v_and_b32_e32 v39, 1, v40
	v_lshlrev_b32_e32 v41, 30, v40
	v_lshlrev_b32_e32 v42, 29, v40
	;; [unrolled: 1-line block ×4, first 2 shown]
	v_add_co_u32 v39, s22, v39, -1
	v_cndmask_b32_e64 v217, 0, 1, s22
	v_not_b32_e32 v221, v41
	v_cmp_gt_i32_e64 s22, 0, v41
	v_not_b32_e32 v41, v42
	v_lshlrev_b32_e32 v220, 26, v40
	v_cmp_ne_u32_e32 vcc_lo, 0, v217
	v_ashrrev_i32_e32 v221, 31, v221
	v_lshlrev_b32_e32 v217, 25, v40
	v_ashrrev_i32_e32 v41, 31, v41
	v_xor_b32_e32 v39, vcc_lo, v39
	v_cmp_gt_i32_e32 vcc_lo, 0, v42
	v_not_b32_e32 v42, v218
	v_xor_b32_e32 v221, s22, v221
	v_cmp_gt_i32_e64 s22, 0, v218
	v_and_b32_e32 v39, exec_lo, v39
	v_not_b32_e32 v218, v219
	v_ashrrev_i32_e32 v42, 31, v42
	v_xor_b32_e32 v41, vcc_lo, v41
	v_cmp_gt_i32_e32 vcc_lo, 0, v219
	v_and_b32_e32 v39, v39, v221
	v_not_b32_e32 v219, v220
	v_ashrrev_i32_e32 v218, 31, v218
	v_xor_b32_e32 v42, s22, v42
	v_cmp_gt_i32_e64 s22, 0, v220
	v_and_b32_e32 v39, v39, v41
	v_not_b32_e32 v41, v217
	v_ashrrev_i32_e32 v219, 31, v219
	v_xor_b32_e32 v218, vcc_lo, v218
	v_cmp_gt_i32_e32 vcc_lo, 0, v217
	v_and_b32_e32 v39, v39, v42
	v_ashrrev_i32_e32 v41, 31, v41
	v_xor_b32_e32 v42, s22, v219
	v_mad_u32_u24 v217, v40, 36, v136
	v_mul_u32_u24_e32 v40, 36, v40
	v_and_b32_e32 v39, v39, v218
	v_xor_b32_e32 v41, vcc_lo, v41
	ds_read_b32 v217, v217 offset:544
	v_add_nc_u32_e32 v219, v136, v40
	v_and_b32_e32 v39, v39, v42
	; wave barrier
	v_and_b32_e32 v39, v39, v41
	v_mbcnt_lo_u32_b32 v218, v39, 0
	v_cmp_ne_u32_e64 s22, 0, v39
	v_cmp_eq_u32_e32 vcc_lo, 0, v218
	s_and_b32 s23, s22, vcc_lo
	s_and_saveexec_b32 s22, s23
	s_cbranch_execz .LBB502_792
; %bb.791:                              ;   in Loop: Header=BB502_722 Depth=2
	s_waitcnt lgkmcnt(0)
	v_bcnt_u32_b32 v39, v39, v217
	ds_write_b32 v219, v39 offset:544
.LBB502_792:                            ;   in Loop: Header=BB502_722 Depth=2
	s_or_b32 exec_lo, exec_lo, s22
	v_lshrrev_b32_e32 v39, s41, v3
	; wave barrier
	v_and_b32_e32 v40, s62, v39
	v_and_b32_e32 v39, 1, v40
	v_lshlrev_b32_e32 v41, 30, v40
	v_lshlrev_b32_e32 v42, 29, v40
	;; [unrolled: 1-line block ×4, first 2 shown]
	v_add_co_u32 v39, s22, v39, -1
	v_cndmask_b32_e64 v220, 0, 1, s22
	v_not_b32_e32 v224, v41
	v_cmp_gt_i32_e64 s22, 0, v41
	v_not_b32_e32 v41, v42
	v_lshlrev_b32_e32 v223, 26, v40
	v_cmp_ne_u32_e32 vcc_lo, 0, v220
	v_ashrrev_i32_e32 v224, 31, v224
	v_lshlrev_b32_e32 v220, 25, v40
	v_ashrrev_i32_e32 v41, 31, v41
	v_xor_b32_e32 v39, vcc_lo, v39
	v_cmp_gt_i32_e32 vcc_lo, 0, v42
	v_not_b32_e32 v42, v221
	v_xor_b32_e32 v224, s22, v224
	v_cmp_gt_i32_e64 s22, 0, v221
	v_and_b32_e32 v39, exec_lo, v39
	v_not_b32_e32 v221, v222
	v_ashrrev_i32_e32 v42, 31, v42
	v_xor_b32_e32 v41, vcc_lo, v41
	v_cmp_gt_i32_e32 vcc_lo, 0, v222
	v_and_b32_e32 v39, v39, v224
	v_not_b32_e32 v222, v223
	v_ashrrev_i32_e32 v221, 31, v221
	v_xor_b32_e32 v42, s22, v42
	v_cmp_gt_i32_e64 s22, 0, v223
	v_and_b32_e32 v39, v39, v41
	v_not_b32_e32 v41, v220
	v_ashrrev_i32_e32 v222, 31, v222
	v_xor_b32_e32 v221, vcc_lo, v221
	v_cmp_gt_i32_e32 vcc_lo, 0, v220
	v_and_b32_e32 v39, v39, v42
	v_ashrrev_i32_e32 v41, 31, v41
	v_xor_b32_e32 v42, s22, v222
	v_mad_u32_u24 v220, v40, 36, v136
	v_mul_u32_u24_e32 v40, 36, v40
	v_and_b32_e32 v39, v39, v221
	v_xor_b32_e32 v41, vcc_lo, v41
	ds_read_b32 v220, v220 offset:544
	v_add_nc_u32_e32 v222, v136, v40
	v_and_b32_e32 v39, v39, v42
	; wave barrier
	v_and_b32_e32 v39, v39, v41
	v_mbcnt_lo_u32_b32 v221, v39, 0
	v_cmp_ne_u32_e64 s22, 0, v39
	v_cmp_eq_u32_e32 vcc_lo, 0, v221
	s_and_b32 s23, s22, vcc_lo
	s_and_saveexec_b32 s22, s23
	s_cbranch_execz .LBB502_794
; %bb.793:                              ;   in Loop: Header=BB502_722 Depth=2
	s_waitcnt lgkmcnt(0)
	v_bcnt_u32_b32 v39, v39, v220
	ds_write_b32 v222, v39 offset:544
.LBB502_794:                            ;   in Loop: Header=BB502_722 Depth=2
	s_or_b32 exec_lo, exec_lo, s22
	; wave barrier
	s_waitcnt lgkmcnt(0)
	s_barrier
	buffer_gl0_inv
	ds_read2_b32 v[41:42], v68 offset0:136 offset1:137
	ds_read2_b32 v[39:40], v68 offset0:138 offset1:139
	ds_read_b32 v223, v68 offset:560
	s_waitcnt lgkmcnt(1)
	v_add3_u32 v224, v42, v41, v39
	s_waitcnt lgkmcnt(0)
	v_add3_u32 v223, v224, v40, v223
	v_mov_b32_dpp v224, v223 row_shr:1 row_mask:0xf bank_mask:0xf
	v_cndmask_b32_e64 v224, v224, 0, s5
	v_add_nc_u32_e32 v223, v224, v223
	v_mov_b32_dpp v224, v223 row_shr:2 row_mask:0xf bank_mask:0xf
	v_cndmask_b32_e64 v224, 0, v224, s15
	v_add_nc_u32_e32 v223, v223, v224
	;; [unrolled: 3-line block ×4, first 2 shown]
	ds_swizzle_b32 v224, v223 offset:swizzle(BROADCAST,32,15)
	s_waitcnt lgkmcnt(0)
	v_cndmask_b32_e64 v224, v224, 0, s18
	v_add_nc_u32_e32 v223, v223, v224
	s_and_saveexec_b32 s22, s4
; %bb.795:                              ;   in Loop: Header=BB502_722 Depth=2
	ds_write_b32 v62, v223 offset:512
; %bb.796:                              ;   in Loop: Header=BB502_722 Depth=2
	s_or_b32 exec_lo, exec_lo, s22
	s_waitcnt lgkmcnt(0)
	s_barrier
	buffer_gl0_inv
	s_and_saveexec_b32 s22, s11
	s_cbranch_execz .LBB502_798
; %bb.797:                              ;   in Loop: Header=BB502_722 Depth=2
	ds_read_b32 v224, v69 offset:512
	s_waitcnt lgkmcnt(0)
	v_mov_b32_dpp v225, v224 row_shr:1 row_mask:0xf bank_mask:0xf
	v_cndmask_b32_e64 v225, v225, 0, s19
	v_add_nc_u32_e32 v224, v225, v224
	v_mov_b32_dpp v225, v224 row_shr:2 row_mask:0xf bank_mask:0xf
	v_cndmask_b32_e64 v225, 0, v225, s20
	v_add_nc_u32_e32 v224, v224, v225
	;; [unrolled: 3-line block ×3, first 2 shown]
	ds_write_b32 v69, v224 offset:512
.LBB502_798:                            ;   in Loop: Header=BB502_722 Depth=2
	s_or_b32 exec_lo, exec_lo, s22
	v_mov_b32_e32 v224, 0
	s_waitcnt lgkmcnt(0)
	s_barrier
	buffer_gl0_inv
	s_and_saveexec_b32 s22, s10
; %bb.799:                              ;   in Loop: Header=BB502_722 Depth=2
	ds_read_b32 v224, v62 offset:508
; %bb.800:                              ;   in Loop: Header=BB502_722 Depth=2
	s_or_b32 exec_lo, exec_lo, s22
	s_waitcnt lgkmcnt(0)
	v_add_nc_u32_e32 v223, v224, v223
	ds_bpermute_b32 v223, v131, v223
	s_waitcnt lgkmcnt(0)
	v_cndmask_b32_e64 v223, v223, v224, s14
	v_cndmask_b32_e64 v223, v223, 0, s12
	v_add_nc_u32_e32 v41, v223, v41
	v_add_nc_u32_e32 v42, v41, v42
	;; [unrolled: 1-line block ×4, first 2 shown]
	ds_write2_b32 v68, v223, v41 offset0:136 offset1:137
	ds_write2_b32 v68, v42, v39 offset0:138 offset1:139
	ds_write_b32 v68, v40 offset:560
	s_waitcnt lgkmcnt(0)
	s_barrier
	buffer_gl0_inv
	ds_read_b32 v41, v160 offset:544
	ds_read_b32 v42, v164 offset:544
	;; [unrolled: 1-line block ×17, first 2 shown]
	s_and_saveexec_b32 s22, s7
	s_cbranch_execz .LBB502_804
; %bb.801:                              ;   in Loop: Header=BB502_722 Depth=2
	ds_read_b32 v152, v71 offset:544
	v_mov_b32_e32 v155, 0x1100
	s_and_saveexec_b32 s23, s13
; %bb.802:                              ;   in Loop: Header=BB502_722 Depth=2
	ds_read_b32 v155, v70 offset:544
; %bb.803:                              ;   in Loop: Header=BB502_722 Depth=2
	s_or_b32 exec_lo, exec_lo, s23
	s_waitcnt lgkmcnt(0)
	v_sub_nc_u32_e32 v155, v155, v152
.LBB502_804:                            ;   in Loop: Header=BB502_722 Depth=2
	s_or_b32 exec_lo, exec_lo, s22
	s_waitcnt lgkmcnt(0)
	s_barrier
	buffer_gl0_inv
	s_and_saveexec_b32 s22, s7
	s_cbranch_execz .LBB502_806
; %bb.805:                              ;   in Loop: Header=BB502_722 Depth=2
	ds_read_b32 v169, v43
	s_waitcnt lgkmcnt(0)
	v_sub_nc_u32_e32 v169, v169, v152
	ds_write_b32 v43, v169
.LBB502_806:                            ;   in Loop: Header=BB502_722 Depth=2
	s_or_b32 exec_lo, exec_lo, s22
	v_add_nc_u32_e32 v179, v41, v159
	v_add3_u32 v178, v163, v162, v42
	v_add3_u32 v174, v167, v166, v164
	;; [unrolled: 1-line block ×5, first 2 shown]
	v_lshlrev_b32_e32 v176, 2, v179
	v_lshlrev_b32_e32 v177, 2, v178
	v_add3_u32 v162, v218, v217, v39
	v_lshlrev_b32_e32 v39, 2, v174
	v_add3_u32 v171, v182, v181, v184
	v_add3_u32 v168, v192, v191, v193
	v_add3_u32 v167, v195, v194, v196
	v_add3_u32 v159, v215, v214, v160
	v_add3_u32 v160, v221, v220, v40
	ds_write_b32 v176, v157 offset:512
	ds_write_b32 v177, v158 offset:512
	v_lshlrev_b32_e32 v40, 2, v173
	ds_write_b32 v39, v161 offset:512
	v_lshlrev_b32_e32 v39, 2, v169
	v_add3_u32 v166, v198, v197, v199
	v_lshlrev_b32_e32 v157, 2, v172
	v_add3_u32 v164, v202, v201, v203
	;; [unrolled: 2-line block ×3, first 2 shown]
	v_add3_u32 v42, v209, v208, v225
	ds_write_b32 v40, v165 offset:512
	ds_write_b32 v157, v170 offset:512
	;; [unrolled: 1-line block ×3, first 2 shown]
	v_lshlrev_b32_e32 v40, 2, v168
	ds_write_b32 v39, v180 offset:512
	v_lshlrev_b32_e32 v39, 2, v167
	v_lshlrev_b32_e32 v157, 2, v166
	;; [unrolled: 1-line block ×3, first 2 shown]
	v_add3_u32 v41, v212, v211, v226
	ds_write_b32 v40, v185 offset:512
	v_lshlrev_b32_e32 v40, 2, v163
	ds_write_b32 v39, v190 offset:512
	ds_write_b32 v157, v188 offset:512
	ds_write_b32 v158, v183 offset:512
	v_lshlrev_b32_e32 v39, 2, v42
	v_cmp_lt_u32_e32 vcc_lo, v0, v156
	v_lshlrev_b32_e32 v157, 2, v159
	ds_write_b32 v40, v200 offset:512
	v_lshlrev_b32_e32 v40, 2, v41
	ds_write_b32 v39, v204 offset:512
	v_lshlrev_b32_e32 v39, 2, v160
	v_lshlrev_b32_e32 v158, 2, v162
	ds_write_b32 v40, v207 offset:512
	ds_write_b32 v157, v210 offset:512
	ds_write_b32 v158, v213 offset:512
	ds_write_b32 v39, v3 offset:512
	s_waitcnt lgkmcnt(0)
	s_barrier
	buffer_gl0_inv
	s_and_saveexec_b32 s23, vcc_lo
	s_cbranch_execnz .LBB502_879
; %bb.807:                              ;   in Loop: Header=BB502_722 Depth=2
	s_or_b32 exec_lo, exec_lo, s23
	v_cmp_lt_u32_e64 s22, v44, v156
	s_and_saveexec_b32 s24, s22
	s_cbranch_execnz .LBB502_880
.LBB502_808:                            ;   in Loop: Header=BB502_722 Depth=2
	s_or_b32 exec_lo, exec_lo, s24
	v_cmp_lt_u32_e64 s23, v47, v156
	s_and_saveexec_b32 s25, s23
	s_cbranch_execnz .LBB502_881
.LBB502_809:                            ;   in Loop: Header=BB502_722 Depth=2
	s_or_b32 exec_lo, exec_lo, s25
	v_cmp_lt_u32_e64 s24, v48, v156
	s_and_saveexec_b32 s26, s24
	s_cbranch_execnz .LBB502_882
.LBB502_810:                            ;   in Loop: Header=BB502_722 Depth=2
	s_or_b32 exec_lo, exec_lo, s26
	v_cmp_lt_u32_e64 s25, v49, v156
	s_and_saveexec_b32 s27, s25
	s_cbranch_execnz .LBB502_883
.LBB502_811:                            ;   in Loop: Header=BB502_722 Depth=2
	s_or_b32 exec_lo, exec_lo, s27
	v_cmp_lt_u32_e64 s26, v50, v156
	s_and_saveexec_b32 s29, s26
	s_cbranch_execnz .LBB502_884
.LBB502_812:                            ;   in Loop: Header=BB502_722 Depth=2
	s_or_b32 exec_lo, exec_lo, s29
	v_cmp_lt_u32_e64 s27, v51, v156
	s_and_saveexec_b32 s30, s27
	s_cbranch_execnz .LBB502_885
.LBB502_813:                            ;   in Loop: Header=BB502_722 Depth=2
	s_or_b32 exec_lo, exec_lo, s30
	v_cmp_lt_u32_e64 s29, v52, v156
	s_and_saveexec_b32 s31, s29
	s_cbranch_execnz .LBB502_886
.LBB502_814:                            ;   in Loop: Header=BB502_722 Depth=2
	s_or_b32 exec_lo, exec_lo, s31
	v_cmp_lt_u32_e64 s30, v53, v156
	s_and_saveexec_b32 s33, s30
	s_cbranch_execnz .LBB502_887
.LBB502_815:                            ;   in Loop: Header=BB502_722 Depth=2
	s_or_b32 exec_lo, exec_lo, s33
	v_cmp_lt_u32_e64 s31, v54, v156
	s_and_saveexec_b32 s34, s31
	s_cbranch_execnz .LBB502_888
.LBB502_816:                            ;   in Loop: Header=BB502_722 Depth=2
	s_or_b32 exec_lo, exec_lo, s34
	v_cmp_lt_u32_e64 s33, v55, v156
	s_and_saveexec_b32 s35, s33
	s_cbranch_execnz .LBB502_889
.LBB502_817:                            ;   in Loop: Header=BB502_722 Depth=2
	s_or_b32 exec_lo, exec_lo, s35
	v_cmp_lt_u32_e64 s34, v56, v156
	s_and_saveexec_b32 s36, s34
	s_cbranch_execnz .LBB502_890
.LBB502_818:                            ;   in Loop: Header=BB502_722 Depth=2
	s_or_b32 exec_lo, exec_lo, s36
	v_cmp_lt_u32_e64 s35, v57, v156
	s_and_saveexec_b32 s37, s35
	s_cbranch_execnz .LBB502_891
.LBB502_819:                            ;   in Loop: Header=BB502_722 Depth=2
	s_or_b32 exec_lo, exec_lo, s37
	v_cmp_lt_u32_e64 s36, v58, v156
	s_and_saveexec_b32 s38, s36
	s_cbranch_execnz .LBB502_892
.LBB502_820:                            ;   in Loop: Header=BB502_722 Depth=2
	s_or_b32 exec_lo, exec_lo, s38
	v_cmp_lt_u32_e64 s37, v59, v156
	s_and_saveexec_b32 s39, s37
	s_cbranch_execnz .LBB502_893
.LBB502_821:                            ;   in Loop: Header=BB502_722 Depth=2
	s_or_b32 exec_lo, exec_lo, s39
	v_cmp_lt_u32_e64 s38, v60, v156
	s_and_saveexec_b32 s40, s38
	s_cbranch_execnz .LBB502_894
.LBB502_822:                            ;   in Loop: Header=BB502_722 Depth=2
	s_or_b32 exec_lo, exec_lo, s40
	v_cmp_lt_u32_e64 s39, v61, v156
	s_and_saveexec_b32 s65, s39
	s_cbranch_execz .LBB502_824
.LBB502_823:                            ;   in Loop: Header=BB502_722 Depth=2
	ds_read_b32 v157, v69 offset:16896
	s_waitcnt lgkmcnt(0)
	v_lshrrev_b32_e32 v3, s41, v157
	v_and_b32_e32 v3, s62, v3
	v_lshlrev_b32_e32 v3, 2, v3
	ds_read_b32 v3, v3
	s_waitcnt lgkmcnt(0)
	v_add_nc_u32_e32 v3, v3, v61
	v_lshlrev_b64 v[39:40], 2, v[3:4]
	v_xor_b32_e32 v3, 0x7fffffff, v157
	v_add_co_u32 v39, s40, s46, v39
	v_add_co_ci_u32_e64 v40, null, s47, v40, s40
	global_store_dword v[39:40], v3, off
.LBB502_824:                            ;   in Loop: Header=BB502_722 Depth=2
	s_or_b32 exec_lo, exec_lo, s65
	s_lshl_b64 s[66:67], s[50:51], 3
	v_add_co_u32 v39, s40, v132, s66
	v_add_co_ci_u32_e64 v40, null, s67, v133, s40
	v_cmp_lt_u32_e64 s40, v109, v156
	s_and_saveexec_b32 s50, s40
	s_xor_b32 s40, exec_lo, s50
	s_cbranch_execnz .LBB502_895
; %bb.825:                              ;   in Loop: Header=BB502_722 Depth=2
	s_or_b32 exec_lo, exec_lo, s40
	s_mov_b32 s50, exec_lo
	v_cmpx_lt_u32_e64 v112, v156
	s_cbranch_execnz .LBB502_896
.LBB502_826:                            ;   in Loop: Header=BB502_722 Depth=2
	s_or_b32 exec_lo, exec_lo, s50
	s_mov_b32 s50, exec_lo
	v_cmpx_lt_u32_e64 v113, v156
	s_cbranch_execnz .LBB502_897
.LBB502_827:                            ;   in Loop: Header=BB502_722 Depth=2
	s_or_b32 exec_lo, exec_lo, s50
	s_mov_b32 s50, exec_lo
	v_cmpx_lt_u32_e64 v114, v156
	s_cbranch_execnz .LBB502_898
.LBB502_828:                            ;   in Loop: Header=BB502_722 Depth=2
	s_or_b32 exec_lo, exec_lo, s50
	s_mov_b32 s50, exec_lo
	v_cmpx_lt_u32_e64 v115, v156
	s_cbranch_execnz .LBB502_899
.LBB502_829:                            ;   in Loop: Header=BB502_722 Depth=2
	s_or_b32 exec_lo, exec_lo, s50
	s_mov_b32 s50, exec_lo
	v_cmpx_lt_u32_e64 v116, v156
	s_cbranch_execnz .LBB502_900
.LBB502_830:                            ;   in Loop: Header=BB502_722 Depth=2
	s_or_b32 exec_lo, exec_lo, s50
	s_mov_b32 s50, exec_lo
	v_cmpx_lt_u32_e64 v117, v156
	s_cbranch_execnz .LBB502_901
.LBB502_831:                            ;   in Loop: Header=BB502_722 Depth=2
	s_or_b32 exec_lo, exec_lo, s50
	s_mov_b32 s50, exec_lo
	v_cmpx_lt_u32_e64 v118, v156
	s_cbranch_execnz .LBB502_902
.LBB502_832:                            ;   in Loop: Header=BB502_722 Depth=2
	s_or_b32 exec_lo, exec_lo, s50
	s_mov_b32 s50, exec_lo
	v_cmpx_lt_u32_e64 v119, v156
	s_cbranch_execnz .LBB502_903
.LBB502_833:                            ;   in Loop: Header=BB502_722 Depth=2
	s_or_b32 exec_lo, exec_lo, s50
	s_mov_b32 s50, exec_lo
	v_cmpx_lt_u32_e64 v120, v156
	s_cbranch_execnz .LBB502_904
.LBB502_834:                            ;   in Loop: Header=BB502_722 Depth=2
	s_or_b32 exec_lo, exec_lo, s50
	s_mov_b32 s50, exec_lo
	v_cmpx_lt_u32_e64 v121, v156
	s_cbranch_execnz .LBB502_905
.LBB502_835:                            ;   in Loop: Header=BB502_722 Depth=2
	s_or_b32 exec_lo, exec_lo, s50
	s_mov_b32 s50, exec_lo
	v_cmpx_lt_u32_e64 v122, v156
	s_cbranch_execnz .LBB502_906
.LBB502_836:                            ;   in Loop: Header=BB502_722 Depth=2
	s_or_b32 exec_lo, exec_lo, s50
	s_mov_b32 s50, exec_lo
	v_cmpx_lt_u32_e64 v123, v156
	s_cbranch_execnz .LBB502_907
.LBB502_837:                            ;   in Loop: Header=BB502_722 Depth=2
	s_or_b32 exec_lo, exec_lo, s50
	s_mov_b32 s50, exec_lo
	v_cmpx_lt_u32_e64 v124, v156
	s_cbranch_execnz .LBB502_908
.LBB502_838:                            ;   in Loop: Header=BB502_722 Depth=2
	s_or_b32 exec_lo, exec_lo, s50
	s_mov_b32 s50, exec_lo
	v_cmpx_lt_u32_e64 v126, v156
	s_cbranch_execnz .LBB502_909
.LBB502_839:                            ;   in Loop: Header=BB502_722 Depth=2
	s_or_b32 exec_lo, exec_lo, s50
	s_mov_b32 s50, exec_lo
	v_cmpx_lt_u32_e64 v127, v156
	s_cbranch_execnz .LBB502_910
.LBB502_840:                            ;   in Loop: Header=BB502_722 Depth=2
	s_or_b32 exec_lo, exec_lo, s50
	s_mov_b32 s50, exec_lo
	v_cmpx_lt_u32_e64 v128, v156
	s_cbranch_execnz .LBB502_911
.LBB502_841:                            ;   in Loop: Header=BB502_722 Depth=2
	s_or_b32 exec_lo, exec_lo, s50
	s_and_saveexec_b32 s40, vcc_lo
	s_cbranch_execnz .LBB502_912
.LBB502_842:                            ;   in Loop: Header=BB502_722 Depth=2
	s_or_b32 exec_lo, exec_lo, s40
	s_and_saveexec_b32 s40, s22
	s_cbranch_execnz .LBB502_913
.LBB502_843:                            ;   in Loop: Header=BB502_722 Depth=2
	s_or_b32 exec_lo, exec_lo, s40
	s_and_saveexec_b32 s40, s23
	s_cbranch_execnz .LBB502_914
.LBB502_844:                            ;   in Loop: Header=BB502_722 Depth=2
	s_or_b32 exec_lo, exec_lo, s40
	s_and_saveexec_b32 s40, s24
	s_cbranch_execnz .LBB502_915
.LBB502_845:                            ;   in Loop: Header=BB502_722 Depth=2
	s_or_b32 exec_lo, exec_lo, s40
	s_and_saveexec_b32 s40, s25
	s_cbranch_execnz .LBB502_916
.LBB502_846:                            ;   in Loop: Header=BB502_722 Depth=2
	s_or_b32 exec_lo, exec_lo, s40
	s_and_saveexec_b32 s40, s26
	s_cbranch_execnz .LBB502_917
.LBB502_847:                            ;   in Loop: Header=BB502_722 Depth=2
	s_or_b32 exec_lo, exec_lo, s40
	s_and_saveexec_b32 s40, s27
	s_cbranch_execnz .LBB502_918
.LBB502_848:                            ;   in Loop: Header=BB502_722 Depth=2
	s_or_b32 exec_lo, exec_lo, s40
	s_and_saveexec_b32 s40, s29
	s_cbranch_execnz .LBB502_919
.LBB502_849:                            ;   in Loop: Header=BB502_722 Depth=2
	s_or_b32 exec_lo, exec_lo, s40
	s_and_saveexec_b32 s40, s30
	s_cbranch_execnz .LBB502_920
.LBB502_850:                            ;   in Loop: Header=BB502_722 Depth=2
	s_or_b32 exec_lo, exec_lo, s40
	s_and_saveexec_b32 s40, s31
	s_cbranch_execnz .LBB502_921
.LBB502_851:                            ;   in Loop: Header=BB502_722 Depth=2
	s_or_b32 exec_lo, exec_lo, s40
	s_and_saveexec_b32 s40, s33
	s_cbranch_execnz .LBB502_922
.LBB502_852:                            ;   in Loop: Header=BB502_722 Depth=2
	s_or_b32 exec_lo, exec_lo, s40
	s_and_saveexec_b32 s40, s34
	s_cbranch_execnz .LBB502_923
.LBB502_853:                            ;   in Loop: Header=BB502_722 Depth=2
	s_or_b32 exec_lo, exec_lo, s40
	s_and_saveexec_b32 s40, s35
	s_cbranch_execnz .LBB502_924
.LBB502_854:                            ;   in Loop: Header=BB502_722 Depth=2
	s_or_b32 exec_lo, exec_lo, s40
	s_and_saveexec_b32 s40, s36
	s_cbranch_execnz .LBB502_925
.LBB502_855:                            ;   in Loop: Header=BB502_722 Depth=2
	s_or_b32 exec_lo, exec_lo, s40
	s_and_saveexec_b32 s40, s37
	s_cbranch_execnz .LBB502_926
.LBB502_856:                            ;   in Loop: Header=BB502_722 Depth=2
	s_or_b32 exec_lo, exec_lo, s40
	s_and_saveexec_b32 s40, s38
	s_cbranch_execnz .LBB502_927
.LBB502_857:                            ;   in Loop: Header=BB502_722 Depth=2
	s_or_b32 exec_lo, exec_lo, s40
	s_and_saveexec_b32 s40, s39
	s_cbranch_execz .LBB502_859
.LBB502_858:                            ;   in Loop: Header=BB502_722 Depth=2
	ds_read_b32 v3, v69 offset:16896
	s_waitcnt lgkmcnt(0)
	v_lshrrev_b32_e32 v3, s41, v3
	v_and_b32_e32 v137, s62, v3
.LBB502_859:                            ;   in Loop: Header=BB502_722 Depth=2
	s_or_b32 exec_lo, exec_lo, s40
	v_lshlrev_b32_e32 v3, 3, v179
	v_lshlrev_b32_e32 v39, 3, v178
	s_waitcnt vmcnt(0)
	s_waitcnt_vscnt null, 0x0
	s_barrier
	buffer_gl0_inv
	ds_write_b64 v3, v[37:38] offset:512
	ds_write_b64 v39, v[35:36] offset:512
	v_lshlrev_b32_e32 v3, 3, v174
	v_lshlrev_b32_e32 v39, 3, v173
	v_lshlrev_b32_e32 v40, 3, v172
	v_lshlrev_b32_e32 v156, 3, v171
	v_lshlrev_b32_e32 v157, 3, v169
	ds_write_b64 v3, v[33:34] offset:512
	ds_write_b64 v39, v[31:32] offset:512
	ds_write_b64 v40, v[29:30] offset:512
	ds_write_b64 v156, v[25:26] offset:512
	ds_write_b64 v157, v[21:22] offset:512
	v_lshlrev_b32_e32 v3, 3, v168
	v_lshlrev_b32_e32 v39, 3, v167
	v_lshlrev_b32_e32 v40, 3, v166
	v_lshlrev_b32_e32 v156, 3, v164
	v_lshlrev_b32_e32 v157, 3, v163
	ds_write_b64 v3, v[17:18] offset:512
	ds_write_b64 v39, v[27:28] offset:512
	ds_write_b64 v40, v[23:24] offset:512
	;; [unrolled: 10-line block ×3, first 2 shown]
	ds_write_b64 v41, v[7:8] offset:512
	ds_write_b64 v42, v[5:6] offset:512
	s_waitcnt lgkmcnt(0)
	s_barrier
	buffer_gl0_inv
	s_and_saveexec_b32 s40, vcc_lo
	s_cbranch_execnz .LBB502_928
; %bb.860:                              ;   in Loop: Header=BB502_722 Depth=2
	s_or_b32 exec_lo, exec_lo, s40
	s_and_saveexec_b32 s40, s22
	s_cbranch_execnz .LBB502_929
.LBB502_861:                            ;   in Loop: Header=BB502_722 Depth=2
	s_or_b32 exec_lo, exec_lo, s40
	s_and_saveexec_b32 s22, s23
	s_cbranch_execnz .LBB502_930
.LBB502_862:                            ;   in Loop: Header=BB502_722 Depth=2
	s_or_b32 exec_lo, exec_lo, s22
	s_and_saveexec_b32 s22, s24
	s_cbranch_execnz .LBB502_931
.LBB502_863:                            ;   in Loop: Header=BB502_722 Depth=2
	s_or_b32 exec_lo, exec_lo, s22
	s_and_saveexec_b32 s22, s25
	s_cbranch_execnz .LBB502_932
.LBB502_864:                            ;   in Loop: Header=BB502_722 Depth=2
	s_or_b32 exec_lo, exec_lo, s22
	s_and_saveexec_b32 s22, s26
	s_cbranch_execnz .LBB502_933
.LBB502_865:                            ;   in Loop: Header=BB502_722 Depth=2
	s_or_b32 exec_lo, exec_lo, s22
	s_and_saveexec_b32 s22, s27
	s_cbranch_execnz .LBB502_934
.LBB502_866:                            ;   in Loop: Header=BB502_722 Depth=2
	s_or_b32 exec_lo, exec_lo, s22
	s_and_saveexec_b32 s22, s29
	s_cbranch_execnz .LBB502_935
.LBB502_867:                            ;   in Loop: Header=BB502_722 Depth=2
	s_or_b32 exec_lo, exec_lo, s22
	s_and_saveexec_b32 s22, s30
	s_cbranch_execnz .LBB502_936
.LBB502_868:                            ;   in Loop: Header=BB502_722 Depth=2
	s_or_b32 exec_lo, exec_lo, s22
	s_and_saveexec_b32 s22, s31
	s_cbranch_execnz .LBB502_937
.LBB502_869:                            ;   in Loop: Header=BB502_722 Depth=2
	s_or_b32 exec_lo, exec_lo, s22
	s_and_saveexec_b32 s22, s33
	s_cbranch_execnz .LBB502_938
.LBB502_870:                            ;   in Loop: Header=BB502_722 Depth=2
	s_or_b32 exec_lo, exec_lo, s22
	s_and_saveexec_b32 s22, s34
	s_cbranch_execnz .LBB502_939
.LBB502_871:                            ;   in Loop: Header=BB502_722 Depth=2
	s_or_b32 exec_lo, exec_lo, s22
	s_and_saveexec_b32 s22, s35
	s_cbranch_execnz .LBB502_940
.LBB502_872:                            ;   in Loop: Header=BB502_722 Depth=2
	s_or_b32 exec_lo, exec_lo, s22
	s_and_saveexec_b32 s22, s36
	s_cbranch_execnz .LBB502_941
.LBB502_873:                            ;   in Loop: Header=BB502_722 Depth=2
	s_or_b32 exec_lo, exec_lo, s22
	s_and_saveexec_b32 s22, s37
	s_cbranch_execnz .LBB502_942
.LBB502_874:                            ;   in Loop: Header=BB502_722 Depth=2
	s_or_b32 exec_lo, exec_lo, s22
	s_and_saveexec_b32 s22, s38
	s_cbranch_execnz .LBB502_943
.LBB502_875:                            ;   in Loop: Header=BB502_722 Depth=2
	s_or_b32 exec_lo, exec_lo, s22
	s_and_saveexec_b32 s22, s39
	s_cbranch_execz .LBB502_877
.LBB502_876:                            ;   in Loop: Header=BB502_722 Depth=2
	v_lshlrev_b32_e32 v3, 2, v137
	v_add_nc_u32_e32 v39, v69, v43
	ds_read_b32 v3, v3
	ds_read_b64 v[39:40], v39 offset:33280
	s_waitcnt lgkmcnt(1)
	v_add_nc_u32_e32 v3, v3, v61
	v_lshlrev_b64 v[41:42], 3, v[3:4]
	v_add_co_u32 v41, vcc_lo, s52, v41
	v_add_co_ci_u32_e64 v42, null, s53, v42, vcc_lo
	s_waitcnt lgkmcnt(0)
	global_store_dwordx2 v[41:42], v[39:40], off
.LBB502_877:                            ;   in Loop: Header=BB502_722 Depth=2
	s_or_b32 exec_lo, exec_lo, s22
	s_waitcnt_vscnt null, 0x0
	s_barrier
	buffer_gl0_inv
	s_and_saveexec_b32 s22, s7
	s_cbranch_execz .LBB502_721
; %bb.878:                              ;   in Loop: Header=BB502_722 Depth=2
	ds_read_b32 v3, v43
	s_waitcnt lgkmcnt(0)
	v_add3_u32 v3, v152, v155, v3
	ds_write_b32 v43, v3
	s_branch .LBB502_721
.LBB502_879:                            ;   in Loop: Header=BB502_722 Depth=2
	ds_read_b32 v157, v69 offset:512
	s_waitcnt lgkmcnt(0)
	v_lshrrev_b32_e32 v3, s41, v157
	v_and_b32_e32 v3, s62, v3
	v_lshlrev_b32_e32 v3, 2, v3
	ds_read_b32 v3, v3
	s_waitcnt lgkmcnt(0)
	v_add_nc_u32_e32 v3, v3, v0
	v_lshlrev_b64 v[39:40], 2, v[3:4]
	v_xor_b32_e32 v3, 0x7fffffff, v157
	v_add_co_u32 v39, s22, s46, v39
	v_add_co_ci_u32_e64 v40, null, s47, v40, s22
	global_store_dword v[39:40], v3, off
	s_or_b32 exec_lo, exec_lo, s23
	v_cmp_lt_u32_e64 s22, v44, v156
	s_and_saveexec_b32 s24, s22
	s_cbranch_execz .LBB502_808
.LBB502_880:                            ;   in Loop: Header=BB502_722 Depth=2
	ds_read_b32 v157, v69 offset:1536
	s_waitcnt lgkmcnt(0)
	v_lshrrev_b32_e32 v3, s41, v157
	v_and_b32_e32 v3, s62, v3
	v_lshlrev_b32_e32 v3, 2, v3
	ds_read_b32 v3, v3
	s_waitcnt lgkmcnt(0)
	v_add_nc_u32_e32 v3, v3, v44
	v_lshlrev_b64 v[39:40], 2, v[3:4]
	v_xor_b32_e32 v3, 0x7fffffff, v157
	v_add_co_u32 v39, s23, s46, v39
	v_add_co_ci_u32_e64 v40, null, s47, v40, s23
	global_store_dword v[39:40], v3, off
	s_or_b32 exec_lo, exec_lo, s24
	v_cmp_lt_u32_e64 s23, v47, v156
	s_and_saveexec_b32 s25, s23
	s_cbranch_execz .LBB502_809
.LBB502_881:                            ;   in Loop: Header=BB502_722 Depth=2
	ds_read_b32 v157, v69 offset:2560
	s_waitcnt lgkmcnt(0)
	v_lshrrev_b32_e32 v3, s41, v157
	v_and_b32_e32 v3, s62, v3
	v_lshlrev_b32_e32 v3, 2, v3
	ds_read_b32 v3, v3
	s_waitcnt lgkmcnt(0)
	v_add_nc_u32_e32 v3, v3, v47
	v_lshlrev_b64 v[39:40], 2, v[3:4]
	v_xor_b32_e32 v3, 0x7fffffff, v157
	v_add_co_u32 v39, s24, s46, v39
	v_add_co_ci_u32_e64 v40, null, s47, v40, s24
	global_store_dword v[39:40], v3, off
	s_or_b32 exec_lo, exec_lo, s25
	v_cmp_lt_u32_e64 s24, v48, v156
	s_and_saveexec_b32 s26, s24
	s_cbranch_execz .LBB502_810
.LBB502_882:                            ;   in Loop: Header=BB502_722 Depth=2
	ds_read_b32 v157, v69 offset:3584
	s_waitcnt lgkmcnt(0)
	v_lshrrev_b32_e32 v3, s41, v157
	v_and_b32_e32 v3, s62, v3
	v_lshlrev_b32_e32 v3, 2, v3
	ds_read_b32 v3, v3
	s_waitcnt lgkmcnt(0)
	v_add_nc_u32_e32 v3, v3, v48
	v_lshlrev_b64 v[39:40], 2, v[3:4]
	v_xor_b32_e32 v3, 0x7fffffff, v157
	v_add_co_u32 v39, s25, s46, v39
	v_add_co_ci_u32_e64 v40, null, s47, v40, s25
	global_store_dword v[39:40], v3, off
	s_or_b32 exec_lo, exec_lo, s26
	v_cmp_lt_u32_e64 s25, v49, v156
	s_and_saveexec_b32 s27, s25
	s_cbranch_execz .LBB502_811
.LBB502_883:                            ;   in Loop: Header=BB502_722 Depth=2
	ds_read_b32 v157, v69 offset:4608
	s_waitcnt lgkmcnt(0)
	v_lshrrev_b32_e32 v3, s41, v157
	v_and_b32_e32 v3, s62, v3
	v_lshlrev_b32_e32 v3, 2, v3
	ds_read_b32 v3, v3
	s_waitcnt lgkmcnt(0)
	v_add_nc_u32_e32 v3, v3, v49
	v_lshlrev_b64 v[39:40], 2, v[3:4]
	v_xor_b32_e32 v3, 0x7fffffff, v157
	v_add_co_u32 v39, s26, s46, v39
	v_add_co_ci_u32_e64 v40, null, s47, v40, s26
	global_store_dword v[39:40], v3, off
	s_or_b32 exec_lo, exec_lo, s27
	v_cmp_lt_u32_e64 s26, v50, v156
	s_and_saveexec_b32 s29, s26
	s_cbranch_execz .LBB502_812
.LBB502_884:                            ;   in Loop: Header=BB502_722 Depth=2
	ds_read_b32 v157, v69 offset:5632
	s_waitcnt lgkmcnt(0)
	v_lshrrev_b32_e32 v3, s41, v157
	v_and_b32_e32 v3, s62, v3
	v_lshlrev_b32_e32 v3, 2, v3
	ds_read_b32 v3, v3
	s_waitcnt lgkmcnt(0)
	v_add_nc_u32_e32 v3, v3, v50
	v_lshlrev_b64 v[39:40], 2, v[3:4]
	v_xor_b32_e32 v3, 0x7fffffff, v157
	v_add_co_u32 v39, s27, s46, v39
	v_add_co_ci_u32_e64 v40, null, s47, v40, s27
	global_store_dword v[39:40], v3, off
	s_or_b32 exec_lo, exec_lo, s29
	v_cmp_lt_u32_e64 s27, v51, v156
	s_and_saveexec_b32 s30, s27
	s_cbranch_execz .LBB502_813
.LBB502_885:                            ;   in Loop: Header=BB502_722 Depth=2
	ds_read_b32 v157, v69 offset:6656
	s_waitcnt lgkmcnt(0)
	v_lshrrev_b32_e32 v3, s41, v157
	v_and_b32_e32 v3, s62, v3
	v_lshlrev_b32_e32 v3, 2, v3
	ds_read_b32 v3, v3
	s_waitcnt lgkmcnt(0)
	v_add_nc_u32_e32 v3, v3, v51
	v_lshlrev_b64 v[39:40], 2, v[3:4]
	v_xor_b32_e32 v3, 0x7fffffff, v157
	v_add_co_u32 v39, s29, s46, v39
	v_add_co_ci_u32_e64 v40, null, s47, v40, s29
	global_store_dword v[39:40], v3, off
	s_or_b32 exec_lo, exec_lo, s30
	v_cmp_lt_u32_e64 s29, v52, v156
	s_and_saveexec_b32 s31, s29
	s_cbranch_execz .LBB502_814
.LBB502_886:                            ;   in Loop: Header=BB502_722 Depth=2
	ds_read_b32 v157, v69 offset:7680
	s_waitcnt lgkmcnt(0)
	v_lshrrev_b32_e32 v3, s41, v157
	v_and_b32_e32 v3, s62, v3
	v_lshlrev_b32_e32 v3, 2, v3
	ds_read_b32 v3, v3
	s_waitcnt lgkmcnt(0)
	v_add_nc_u32_e32 v3, v3, v52
	v_lshlrev_b64 v[39:40], 2, v[3:4]
	v_xor_b32_e32 v3, 0x7fffffff, v157
	v_add_co_u32 v39, s30, s46, v39
	v_add_co_ci_u32_e64 v40, null, s47, v40, s30
	global_store_dword v[39:40], v3, off
	s_or_b32 exec_lo, exec_lo, s31
	v_cmp_lt_u32_e64 s30, v53, v156
	s_and_saveexec_b32 s33, s30
	s_cbranch_execz .LBB502_815
.LBB502_887:                            ;   in Loop: Header=BB502_722 Depth=2
	ds_read_b32 v157, v69 offset:8704
	s_waitcnt lgkmcnt(0)
	v_lshrrev_b32_e32 v3, s41, v157
	v_and_b32_e32 v3, s62, v3
	v_lshlrev_b32_e32 v3, 2, v3
	ds_read_b32 v3, v3
	s_waitcnt lgkmcnt(0)
	v_add_nc_u32_e32 v3, v3, v53
	v_lshlrev_b64 v[39:40], 2, v[3:4]
	v_xor_b32_e32 v3, 0x7fffffff, v157
	v_add_co_u32 v39, s31, s46, v39
	v_add_co_ci_u32_e64 v40, null, s47, v40, s31
	global_store_dword v[39:40], v3, off
	s_or_b32 exec_lo, exec_lo, s33
	v_cmp_lt_u32_e64 s31, v54, v156
	s_and_saveexec_b32 s34, s31
	s_cbranch_execz .LBB502_816
.LBB502_888:                            ;   in Loop: Header=BB502_722 Depth=2
	ds_read_b32 v157, v69 offset:9728
	s_waitcnt lgkmcnt(0)
	v_lshrrev_b32_e32 v3, s41, v157
	v_and_b32_e32 v3, s62, v3
	v_lshlrev_b32_e32 v3, 2, v3
	ds_read_b32 v3, v3
	s_waitcnt lgkmcnt(0)
	v_add_nc_u32_e32 v3, v3, v54
	v_lshlrev_b64 v[39:40], 2, v[3:4]
	v_xor_b32_e32 v3, 0x7fffffff, v157
	v_add_co_u32 v39, s33, s46, v39
	v_add_co_ci_u32_e64 v40, null, s47, v40, s33
	global_store_dword v[39:40], v3, off
	s_or_b32 exec_lo, exec_lo, s34
	v_cmp_lt_u32_e64 s33, v55, v156
	s_and_saveexec_b32 s35, s33
	s_cbranch_execz .LBB502_817
.LBB502_889:                            ;   in Loop: Header=BB502_722 Depth=2
	ds_read_b32 v157, v69 offset:10752
	s_waitcnt lgkmcnt(0)
	v_lshrrev_b32_e32 v3, s41, v157
	v_and_b32_e32 v3, s62, v3
	v_lshlrev_b32_e32 v3, 2, v3
	ds_read_b32 v3, v3
	s_waitcnt lgkmcnt(0)
	v_add_nc_u32_e32 v3, v3, v55
	v_lshlrev_b64 v[39:40], 2, v[3:4]
	v_xor_b32_e32 v3, 0x7fffffff, v157
	v_add_co_u32 v39, s34, s46, v39
	v_add_co_ci_u32_e64 v40, null, s47, v40, s34
	global_store_dword v[39:40], v3, off
	s_or_b32 exec_lo, exec_lo, s35
	v_cmp_lt_u32_e64 s34, v56, v156
	s_and_saveexec_b32 s36, s34
	s_cbranch_execz .LBB502_818
.LBB502_890:                            ;   in Loop: Header=BB502_722 Depth=2
	ds_read_b32 v157, v69 offset:11776
	s_waitcnt lgkmcnt(0)
	v_lshrrev_b32_e32 v3, s41, v157
	v_and_b32_e32 v3, s62, v3
	v_lshlrev_b32_e32 v3, 2, v3
	ds_read_b32 v3, v3
	s_waitcnt lgkmcnt(0)
	v_add_nc_u32_e32 v3, v3, v56
	v_lshlrev_b64 v[39:40], 2, v[3:4]
	v_xor_b32_e32 v3, 0x7fffffff, v157
	v_add_co_u32 v39, s35, s46, v39
	v_add_co_ci_u32_e64 v40, null, s47, v40, s35
	global_store_dword v[39:40], v3, off
	s_or_b32 exec_lo, exec_lo, s36
	v_cmp_lt_u32_e64 s35, v57, v156
	s_and_saveexec_b32 s37, s35
	s_cbranch_execz .LBB502_819
.LBB502_891:                            ;   in Loop: Header=BB502_722 Depth=2
	ds_read_b32 v157, v69 offset:12800
	s_waitcnt lgkmcnt(0)
	v_lshrrev_b32_e32 v3, s41, v157
	v_and_b32_e32 v3, s62, v3
	v_lshlrev_b32_e32 v3, 2, v3
	ds_read_b32 v3, v3
	s_waitcnt lgkmcnt(0)
	v_add_nc_u32_e32 v3, v3, v57
	v_lshlrev_b64 v[39:40], 2, v[3:4]
	v_xor_b32_e32 v3, 0x7fffffff, v157
	v_add_co_u32 v39, s36, s46, v39
	v_add_co_ci_u32_e64 v40, null, s47, v40, s36
	global_store_dword v[39:40], v3, off
	s_or_b32 exec_lo, exec_lo, s37
	v_cmp_lt_u32_e64 s36, v58, v156
	s_and_saveexec_b32 s38, s36
	s_cbranch_execz .LBB502_820
.LBB502_892:                            ;   in Loop: Header=BB502_722 Depth=2
	ds_read_b32 v157, v69 offset:13824
	s_waitcnt lgkmcnt(0)
	v_lshrrev_b32_e32 v3, s41, v157
	v_and_b32_e32 v3, s62, v3
	v_lshlrev_b32_e32 v3, 2, v3
	ds_read_b32 v3, v3
	s_waitcnt lgkmcnt(0)
	v_add_nc_u32_e32 v3, v3, v58
	v_lshlrev_b64 v[39:40], 2, v[3:4]
	v_xor_b32_e32 v3, 0x7fffffff, v157
	v_add_co_u32 v39, s37, s46, v39
	v_add_co_ci_u32_e64 v40, null, s47, v40, s37
	global_store_dword v[39:40], v3, off
	s_or_b32 exec_lo, exec_lo, s38
	v_cmp_lt_u32_e64 s37, v59, v156
	s_and_saveexec_b32 s39, s37
	s_cbranch_execz .LBB502_821
.LBB502_893:                            ;   in Loop: Header=BB502_722 Depth=2
	ds_read_b32 v157, v69 offset:14848
	s_waitcnt lgkmcnt(0)
	v_lshrrev_b32_e32 v3, s41, v157
	v_and_b32_e32 v3, s62, v3
	v_lshlrev_b32_e32 v3, 2, v3
	ds_read_b32 v3, v3
	s_waitcnt lgkmcnt(0)
	v_add_nc_u32_e32 v3, v3, v59
	v_lshlrev_b64 v[39:40], 2, v[3:4]
	v_xor_b32_e32 v3, 0x7fffffff, v157
	v_add_co_u32 v39, s38, s46, v39
	v_add_co_ci_u32_e64 v40, null, s47, v40, s38
	global_store_dword v[39:40], v3, off
	s_or_b32 exec_lo, exec_lo, s39
	v_cmp_lt_u32_e64 s38, v60, v156
	s_and_saveexec_b32 s40, s38
	s_cbranch_execz .LBB502_822
.LBB502_894:                            ;   in Loop: Header=BB502_722 Depth=2
	ds_read_b32 v157, v69 offset:15872
	s_waitcnt lgkmcnt(0)
	v_lshrrev_b32_e32 v3, s41, v157
	v_and_b32_e32 v3, s62, v3
	v_lshlrev_b32_e32 v3, 2, v3
	ds_read_b32 v3, v3
	s_waitcnt lgkmcnt(0)
	v_add_nc_u32_e32 v3, v3, v60
	v_lshlrev_b64 v[39:40], 2, v[3:4]
	v_xor_b32_e32 v3, 0x7fffffff, v157
	v_add_co_u32 v39, s39, s46, v39
	v_add_co_ci_u32_e64 v40, null, s47, v40, s39
	global_store_dword v[39:40], v3, off
	s_or_b32 exec_lo, exec_lo, s40
	v_cmp_lt_u32_e64 s39, v61, v156
	s_and_saveexec_b32 s65, s39
	s_cbranch_execnz .LBB502_823
	s_branch .LBB502_824
.LBB502_895:                            ;   in Loop: Header=BB502_722 Depth=2
	global_load_dwordx2 v[37:38], v[39:40], off
	s_or_b32 exec_lo, exec_lo, s40
	s_mov_b32 s50, exec_lo
	v_cmpx_lt_u32_e64 v112, v156
	s_cbranch_execz .LBB502_826
.LBB502_896:                            ;   in Loop: Header=BB502_722 Depth=2
	global_load_dwordx2 v[35:36], v[39:40], off offset:256
	s_or_b32 exec_lo, exec_lo, s50
	s_mov_b32 s50, exec_lo
	v_cmpx_lt_u32_e64 v113, v156
	s_cbranch_execz .LBB502_827
.LBB502_897:                            ;   in Loop: Header=BB502_722 Depth=2
	global_load_dwordx2 v[33:34], v[39:40], off offset:512
	s_or_b32 exec_lo, exec_lo, s50
	s_mov_b32 s50, exec_lo
	v_cmpx_lt_u32_e64 v114, v156
	s_cbranch_execz .LBB502_828
.LBB502_898:                            ;   in Loop: Header=BB502_722 Depth=2
	global_load_dwordx2 v[31:32], v[39:40], off offset:768
	s_or_b32 exec_lo, exec_lo, s50
	s_mov_b32 s50, exec_lo
	v_cmpx_lt_u32_e64 v115, v156
	s_cbranch_execz .LBB502_829
.LBB502_899:                            ;   in Loop: Header=BB502_722 Depth=2
	global_load_dwordx2 v[29:30], v[39:40], off offset:1024
	s_or_b32 exec_lo, exec_lo, s50
	s_mov_b32 s50, exec_lo
	v_cmpx_lt_u32_e64 v116, v156
	s_cbranch_execz .LBB502_830
.LBB502_900:                            ;   in Loop: Header=BB502_722 Depth=2
	global_load_dwordx2 v[25:26], v[39:40], off offset:1280
	s_or_b32 exec_lo, exec_lo, s50
	s_mov_b32 s50, exec_lo
	v_cmpx_lt_u32_e64 v117, v156
	s_cbranch_execz .LBB502_831
.LBB502_901:                            ;   in Loop: Header=BB502_722 Depth=2
	global_load_dwordx2 v[21:22], v[39:40], off offset:1536
	s_or_b32 exec_lo, exec_lo, s50
	s_mov_b32 s50, exec_lo
	v_cmpx_lt_u32_e64 v118, v156
	s_cbranch_execz .LBB502_832
.LBB502_902:                            ;   in Loop: Header=BB502_722 Depth=2
	global_load_dwordx2 v[17:18], v[39:40], off offset:1792
	s_or_b32 exec_lo, exec_lo, s50
	s_mov_b32 s50, exec_lo
	v_cmpx_lt_u32_e64 v119, v156
	s_cbranch_execz .LBB502_833
.LBB502_903:                            ;   in Loop: Header=BB502_722 Depth=2
	v_add_co_u32 v27, s40, 0x800, v39
	v_add_co_ci_u32_e64 v28, null, 0, v40, s40
	global_load_dwordx2 v[27:28], v[27:28], off
	s_or_b32 exec_lo, exec_lo, s50
	s_mov_b32 s50, exec_lo
	v_cmpx_lt_u32_e64 v120, v156
	s_cbranch_execz .LBB502_834
.LBB502_904:                            ;   in Loop: Header=BB502_722 Depth=2
	v_add_co_u32 v23, s40, 0x800, v39
	v_add_co_ci_u32_e64 v24, null, 0, v40, s40
	global_load_dwordx2 v[23:24], v[23:24], off offset:256
	s_or_b32 exec_lo, exec_lo, s50
	s_mov_b32 s50, exec_lo
	v_cmpx_lt_u32_e64 v121, v156
	s_cbranch_execz .LBB502_835
.LBB502_905:                            ;   in Loop: Header=BB502_722 Depth=2
	v_add_co_u32 v19, s40, 0x800, v39
	v_add_co_ci_u32_e64 v20, null, 0, v40, s40
	global_load_dwordx2 v[19:20], v[19:20], off offset:512
	s_or_b32 exec_lo, exec_lo, s50
	s_mov_b32 s50, exec_lo
	v_cmpx_lt_u32_e64 v122, v156
	s_cbranch_execz .LBB502_836
.LBB502_906:                            ;   in Loop: Header=BB502_722 Depth=2
	v_add_co_u32 v15, s40, 0x800, v39
	v_add_co_ci_u32_e64 v16, null, 0, v40, s40
	global_load_dwordx2 v[15:16], v[15:16], off offset:768
	s_or_b32 exec_lo, exec_lo, s50
	s_mov_b32 s50, exec_lo
	v_cmpx_lt_u32_e64 v123, v156
	s_cbranch_execz .LBB502_837
.LBB502_907:                            ;   in Loop: Header=BB502_722 Depth=2
	v_add_co_u32 v13, s40, 0x800, v39
	v_add_co_ci_u32_e64 v14, null, 0, v40, s40
	global_load_dwordx2 v[13:14], v[13:14], off offset:1024
	s_or_b32 exec_lo, exec_lo, s50
	s_mov_b32 s50, exec_lo
	v_cmpx_lt_u32_e64 v124, v156
	s_cbranch_execz .LBB502_838
.LBB502_908:                            ;   in Loop: Header=BB502_722 Depth=2
	v_add_co_u32 v11, s40, 0x800, v39
	v_add_co_ci_u32_e64 v12, null, 0, v40, s40
	global_load_dwordx2 v[11:12], v[11:12], off offset:1280
	s_or_b32 exec_lo, exec_lo, s50
	s_mov_b32 s50, exec_lo
	v_cmpx_lt_u32_e64 v126, v156
	s_cbranch_execz .LBB502_839
.LBB502_909:                            ;   in Loop: Header=BB502_722 Depth=2
	v_add_co_u32 v9, s40, 0x800, v39
	v_add_co_ci_u32_e64 v10, null, 0, v40, s40
	global_load_dwordx2 v[9:10], v[9:10], off offset:1536
	s_or_b32 exec_lo, exec_lo, s50
	s_mov_b32 s50, exec_lo
	v_cmpx_lt_u32_e64 v127, v156
	s_cbranch_execz .LBB502_840
.LBB502_910:                            ;   in Loop: Header=BB502_722 Depth=2
	v_add_co_u32 v7, s40, 0x800, v39
	v_add_co_ci_u32_e64 v8, null, 0, v40, s40
	global_load_dwordx2 v[7:8], v[7:8], off offset:1792
	s_or_b32 exec_lo, exec_lo, s50
	s_mov_b32 s50, exec_lo
	v_cmpx_lt_u32_e64 v128, v156
	s_cbranch_execz .LBB502_841
.LBB502_911:                            ;   in Loop: Header=BB502_722 Depth=2
	v_add_co_u32 v5, s40, 0x1000, v39
	v_add_co_ci_u32_e64 v6, null, 0, v40, s40
	global_load_dwordx2 v[5:6], v[5:6], off
	s_or_b32 exec_lo, exec_lo, s50
	s_and_saveexec_b32 s40, vcc_lo
	s_cbranch_execz .LBB502_842
.LBB502_912:                            ;   in Loop: Header=BB502_722 Depth=2
	ds_read_b32 v3, v69 offset:512
	s_waitcnt lgkmcnt(0)
	v_lshrrev_b32_e32 v3, s41, v3
	v_and_b32_e32 v154, s62, v3
	s_or_b32 exec_lo, exec_lo, s40
	s_and_saveexec_b32 s40, s22
	s_cbranch_execz .LBB502_843
.LBB502_913:                            ;   in Loop: Header=BB502_722 Depth=2
	ds_read_b32 v3, v69 offset:1536
	s_waitcnt lgkmcnt(0)
	v_lshrrev_b32_e32 v3, s41, v3
	v_and_b32_e32 v153, s62, v3
	s_or_b32 exec_lo, exec_lo, s40
	s_and_saveexec_b32 s40, s23
	s_cbranch_execz .LBB502_844
.LBB502_914:                            ;   in Loop: Header=BB502_722 Depth=2
	ds_read_b32 v3, v69 offset:2560
	s_waitcnt lgkmcnt(0)
	v_lshrrev_b32_e32 v3, s41, v3
	v_and_b32_e32 v151, s62, v3
	s_or_b32 exec_lo, exec_lo, s40
	s_and_saveexec_b32 s40, s24
	s_cbranch_execz .LBB502_845
.LBB502_915:                            ;   in Loop: Header=BB502_722 Depth=2
	ds_read_b32 v3, v69 offset:3584
	s_waitcnt lgkmcnt(0)
	v_lshrrev_b32_e32 v3, s41, v3
	v_and_b32_e32 v150, s62, v3
	s_or_b32 exec_lo, exec_lo, s40
	s_and_saveexec_b32 s40, s25
	s_cbranch_execz .LBB502_846
.LBB502_916:                            ;   in Loop: Header=BB502_722 Depth=2
	ds_read_b32 v3, v69 offset:4608
	s_waitcnt lgkmcnt(0)
	v_lshrrev_b32_e32 v3, s41, v3
	v_and_b32_e32 v149, s62, v3
	s_or_b32 exec_lo, exec_lo, s40
	s_and_saveexec_b32 s40, s26
	s_cbranch_execz .LBB502_847
.LBB502_917:                            ;   in Loop: Header=BB502_722 Depth=2
	ds_read_b32 v3, v69 offset:5632
	s_waitcnt lgkmcnt(0)
	v_lshrrev_b32_e32 v3, s41, v3
	v_and_b32_e32 v148, s62, v3
	s_or_b32 exec_lo, exec_lo, s40
	s_and_saveexec_b32 s40, s27
	s_cbranch_execz .LBB502_848
.LBB502_918:                            ;   in Loop: Header=BB502_722 Depth=2
	ds_read_b32 v3, v69 offset:6656
	s_waitcnt lgkmcnt(0)
	v_lshrrev_b32_e32 v3, s41, v3
	v_and_b32_e32 v147, s62, v3
	s_or_b32 exec_lo, exec_lo, s40
	s_and_saveexec_b32 s40, s29
	s_cbranch_execz .LBB502_849
.LBB502_919:                            ;   in Loop: Header=BB502_722 Depth=2
	ds_read_b32 v3, v69 offset:7680
	s_waitcnt lgkmcnt(0)
	v_lshrrev_b32_e32 v3, s41, v3
	v_and_b32_e32 v146, s62, v3
	s_or_b32 exec_lo, exec_lo, s40
	s_and_saveexec_b32 s40, s30
	s_cbranch_execz .LBB502_850
.LBB502_920:                            ;   in Loop: Header=BB502_722 Depth=2
	ds_read_b32 v3, v69 offset:8704
	s_waitcnt lgkmcnt(0)
	v_lshrrev_b32_e32 v3, s41, v3
	v_and_b32_e32 v145, s62, v3
	s_or_b32 exec_lo, exec_lo, s40
	s_and_saveexec_b32 s40, s31
	s_cbranch_execz .LBB502_851
.LBB502_921:                            ;   in Loop: Header=BB502_722 Depth=2
	ds_read_b32 v3, v69 offset:9728
	s_waitcnt lgkmcnt(0)
	v_lshrrev_b32_e32 v3, s41, v3
	v_and_b32_e32 v144, s62, v3
	s_or_b32 exec_lo, exec_lo, s40
	s_and_saveexec_b32 s40, s33
	s_cbranch_execz .LBB502_852
.LBB502_922:                            ;   in Loop: Header=BB502_722 Depth=2
	ds_read_b32 v3, v69 offset:10752
	s_waitcnt lgkmcnt(0)
	v_lshrrev_b32_e32 v3, s41, v3
	v_and_b32_e32 v143, s62, v3
	s_or_b32 exec_lo, exec_lo, s40
	s_and_saveexec_b32 s40, s34
	s_cbranch_execz .LBB502_853
.LBB502_923:                            ;   in Loop: Header=BB502_722 Depth=2
	ds_read_b32 v3, v69 offset:11776
	s_waitcnt lgkmcnt(0)
	v_lshrrev_b32_e32 v3, s41, v3
	v_and_b32_e32 v142, s62, v3
	s_or_b32 exec_lo, exec_lo, s40
	s_and_saveexec_b32 s40, s35
	s_cbranch_execz .LBB502_854
.LBB502_924:                            ;   in Loop: Header=BB502_722 Depth=2
	ds_read_b32 v3, v69 offset:12800
	s_waitcnt lgkmcnt(0)
	v_lshrrev_b32_e32 v3, s41, v3
	v_and_b32_e32 v141, s62, v3
	s_or_b32 exec_lo, exec_lo, s40
	s_and_saveexec_b32 s40, s36
	s_cbranch_execz .LBB502_855
.LBB502_925:                            ;   in Loop: Header=BB502_722 Depth=2
	ds_read_b32 v3, v69 offset:13824
	s_waitcnt lgkmcnt(0)
	v_lshrrev_b32_e32 v3, s41, v3
	v_and_b32_e32 v140, s62, v3
	s_or_b32 exec_lo, exec_lo, s40
	s_and_saveexec_b32 s40, s37
	s_cbranch_execz .LBB502_856
.LBB502_926:                            ;   in Loop: Header=BB502_722 Depth=2
	ds_read_b32 v3, v69 offset:14848
	s_waitcnt lgkmcnt(0)
	v_lshrrev_b32_e32 v3, s41, v3
	v_and_b32_e32 v139, s62, v3
	s_or_b32 exec_lo, exec_lo, s40
	s_and_saveexec_b32 s40, s38
	s_cbranch_execz .LBB502_857
.LBB502_927:                            ;   in Loop: Header=BB502_722 Depth=2
	ds_read_b32 v3, v69 offset:15872
	s_waitcnt lgkmcnt(0)
	v_lshrrev_b32_e32 v3, s41, v3
	v_and_b32_e32 v138, s62, v3
	s_or_b32 exec_lo, exec_lo, s40
	s_and_saveexec_b32 s40, s39
	s_cbranch_execnz .LBB502_858
	s_branch .LBB502_859
.LBB502_928:                            ;   in Loop: Header=BB502_722 Depth=2
	v_lshlrev_b32_e32 v3, 2, v154
	v_add_nc_u32_e32 v39, v69, v43
	ds_read_b32 v3, v3
	ds_read_b64 v[39:40], v39 offset:512
	s_waitcnt lgkmcnt(1)
	v_add_nc_u32_e32 v3, v3, v0
	v_lshlrev_b64 v[41:42], 3, v[3:4]
	v_add_co_u32 v41, vcc_lo, s52, v41
	v_add_co_ci_u32_e64 v42, null, s53, v42, vcc_lo
	s_waitcnt lgkmcnt(0)
	global_store_dwordx2 v[41:42], v[39:40], off
	s_or_b32 exec_lo, exec_lo, s40
	s_and_saveexec_b32 s40, s22
	s_cbranch_execz .LBB502_861
.LBB502_929:                            ;   in Loop: Header=BB502_722 Depth=2
	v_lshlrev_b32_e32 v3, 2, v153
	v_add_nc_u32_e32 v39, v69, v43
	ds_read_b32 v3, v3
	ds_read_b64 v[39:40], v39 offset:2560
	s_waitcnt lgkmcnt(1)
	v_add_nc_u32_e32 v3, v3, v44
	v_lshlrev_b64 v[41:42], 3, v[3:4]
	v_add_co_u32 v41, vcc_lo, s52, v41
	v_add_co_ci_u32_e64 v42, null, s53, v42, vcc_lo
	s_waitcnt lgkmcnt(0)
	global_store_dwordx2 v[41:42], v[39:40], off
	s_or_b32 exec_lo, exec_lo, s40
	s_and_saveexec_b32 s22, s23
	s_cbranch_execz .LBB502_862
.LBB502_930:                            ;   in Loop: Header=BB502_722 Depth=2
	v_lshlrev_b32_e32 v3, 2, v151
	v_add_nc_u32_e32 v39, v69, v43
	ds_read_b32 v3, v3
	ds_read_b64 v[39:40], v39 offset:4608
	s_waitcnt lgkmcnt(1)
	v_add_nc_u32_e32 v3, v3, v47
	v_lshlrev_b64 v[41:42], 3, v[3:4]
	v_add_co_u32 v41, vcc_lo, s52, v41
	v_add_co_ci_u32_e64 v42, null, s53, v42, vcc_lo
	s_waitcnt lgkmcnt(0)
	global_store_dwordx2 v[41:42], v[39:40], off
	s_or_b32 exec_lo, exec_lo, s22
	s_and_saveexec_b32 s22, s24
	s_cbranch_execz .LBB502_863
.LBB502_931:                            ;   in Loop: Header=BB502_722 Depth=2
	v_lshlrev_b32_e32 v3, 2, v150
	v_add_nc_u32_e32 v39, v69, v43
	ds_read_b32 v3, v3
	ds_read_b64 v[39:40], v39 offset:6656
	s_waitcnt lgkmcnt(1)
	v_add_nc_u32_e32 v3, v3, v48
	v_lshlrev_b64 v[41:42], 3, v[3:4]
	v_add_co_u32 v41, vcc_lo, s52, v41
	v_add_co_ci_u32_e64 v42, null, s53, v42, vcc_lo
	s_waitcnt lgkmcnt(0)
	global_store_dwordx2 v[41:42], v[39:40], off
	s_or_b32 exec_lo, exec_lo, s22
	s_and_saveexec_b32 s22, s25
	s_cbranch_execz .LBB502_864
.LBB502_932:                            ;   in Loop: Header=BB502_722 Depth=2
	v_lshlrev_b32_e32 v3, 2, v149
	v_add_nc_u32_e32 v39, v69, v43
	ds_read_b32 v3, v3
	ds_read_b64 v[39:40], v39 offset:8704
	s_waitcnt lgkmcnt(1)
	v_add_nc_u32_e32 v3, v3, v49
	v_lshlrev_b64 v[41:42], 3, v[3:4]
	v_add_co_u32 v41, vcc_lo, s52, v41
	v_add_co_ci_u32_e64 v42, null, s53, v42, vcc_lo
	s_waitcnt lgkmcnt(0)
	global_store_dwordx2 v[41:42], v[39:40], off
	s_or_b32 exec_lo, exec_lo, s22
	s_and_saveexec_b32 s22, s26
	s_cbranch_execz .LBB502_865
.LBB502_933:                            ;   in Loop: Header=BB502_722 Depth=2
	v_lshlrev_b32_e32 v3, 2, v148
	v_add_nc_u32_e32 v39, v69, v43
	ds_read_b32 v3, v3
	ds_read_b64 v[39:40], v39 offset:10752
	s_waitcnt lgkmcnt(1)
	v_add_nc_u32_e32 v3, v3, v50
	v_lshlrev_b64 v[41:42], 3, v[3:4]
	v_add_co_u32 v41, vcc_lo, s52, v41
	v_add_co_ci_u32_e64 v42, null, s53, v42, vcc_lo
	s_waitcnt lgkmcnt(0)
	global_store_dwordx2 v[41:42], v[39:40], off
	s_or_b32 exec_lo, exec_lo, s22
	s_and_saveexec_b32 s22, s27
	s_cbranch_execz .LBB502_866
.LBB502_934:                            ;   in Loop: Header=BB502_722 Depth=2
	v_lshlrev_b32_e32 v3, 2, v147
	v_add_nc_u32_e32 v39, v69, v43
	ds_read_b32 v3, v3
	ds_read_b64 v[39:40], v39 offset:12800
	s_waitcnt lgkmcnt(1)
	v_add_nc_u32_e32 v3, v3, v51
	v_lshlrev_b64 v[41:42], 3, v[3:4]
	v_add_co_u32 v41, vcc_lo, s52, v41
	v_add_co_ci_u32_e64 v42, null, s53, v42, vcc_lo
	s_waitcnt lgkmcnt(0)
	global_store_dwordx2 v[41:42], v[39:40], off
	s_or_b32 exec_lo, exec_lo, s22
	s_and_saveexec_b32 s22, s29
	s_cbranch_execz .LBB502_867
.LBB502_935:                            ;   in Loop: Header=BB502_722 Depth=2
	v_lshlrev_b32_e32 v3, 2, v146
	v_add_nc_u32_e32 v39, v69, v43
	ds_read_b32 v3, v3
	ds_read_b64 v[39:40], v39 offset:14848
	s_waitcnt lgkmcnt(1)
	v_add_nc_u32_e32 v3, v3, v52
	v_lshlrev_b64 v[41:42], 3, v[3:4]
	v_add_co_u32 v41, vcc_lo, s52, v41
	v_add_co_ci_u32_e64 v42, null, s53, v42, vcc_lo
	s_waitcnt lgkmcnt(0)
	global_store_dwordx2 v[41:42], v[39:40], off
	s_or_b32 exec_lo, exec_lo, s22
	s_and_saveexec_b32 s22, s30
	s_cbranch_execz .LBB502_868
.LBB502_936:                            ;   in Loop: Header=BB502_722 Depth=2
	v_lshlrev_b32_e32 v3, 2, v145
	v_add_nc_u32_e32 v39, v69, v43
	ds_read_b32 v3, v3
	ds_read_b64 v[39:40], v39 offset:16896
	s_waitcnt lgkmcnt(1)
	v_add_nc_u32_e32 v3, v3, v53
	v_lshlrev_b64 v[41:42], 3, v[3:4]
	v_add_co_u32 v41, vcc_lo, s52, v41
	v_add_co_ci_u32_e64 v42, null, s53, v42, vcc_lo
	s_waitcnt lgkmcnt(0)
	global_store_dwordx2 v[41:42], v[39:40], off
	s_or_b32 exec_lo, exec_lo, s22
	s_and_saveexec_b32 s22, s31
	s_cbranch_execz .LBB502_869
.LBB502_937:                            ;   in Loop: Header=BB502_722 Depth=2
	v_lshlrev_b32_e32 v3, 2, v144
	v_add_nc_u32_e32 v39, v69, v43
	ds_read_b32 v3, v3
	ds_read_b64 v[39:40], v39 offset:18944
	s_waitcnt lgkmcnt(1)
	v_add_nc_u32_e32 v3, v3, v54
	v_lshlrev_b64 v[41:42], 3, v[3:4]
	v_add_co_u32 v41, vcc_lo, s52, v41
	v_add_co_ci_u32_e64 v42, null, s53, v42, vcc_lo
	s_waitcnt lgkmcnt(0)
	global_store_dwordx2 v[41:42], v[39:40], off
	s_or_b32 exec_lo, exec_lo, s22
	s_and_saveexec_b32 s22, s33
	s_cbranch_execz .LBB502_870
.LBB502_938:                            ;   in Loop: Header=BB502_722 Depth=2
	v_lshlrev_b32_e32 v3, 2, v143
	v_add_nc_u32_e32 v39, v69, v43
	ds_read_b32 v3, v3
	ds_read_b64 v[39:40], v39 offset:20992
	s_waitcnt lgkmcnt(1)
	v_add_nc_u32_e32 v3, v3, v55
	v_lshlrev_b64 v[41:42], 3, v[3:4]
	v_add_co_u32 v41, vcc_lo, s52, v41
	v_add_co_ci_u32_e64 v42, null, s53, v42, vcc_lo
	s_waitcnt lgkmcnt(0)
	global_store_dwordx2 v[41:42], v[39:40], off
	s_or_b32 exec_lo, exec_lo, s22
	s_and_saveexec_b32 s22, s34
	s_cbranch_execz .LBB502_871
.LBB502_939:                            ;   in Loop: Header=BB502_722 Depth=2
	v_lshlrev_b32_e32 v3, 2, v142
	v_add_nc_u32_e32 v39, v69, v43
	ds_read_b32 v3, v3
	ds_read_b64 v[39:40], v39 offset:23040
	s_waitcnt lgkmcnt(1)
	v_add_nc_u32_e32 v3, v3, v56
	v_lshlrev_b64 v[41:42], 3, v[3:4]
	v_add_co_u32 v41, vcc_lo, s52, v41
	v_add_co_ci_u32_e64 v42, null, s53, v42, vcc_lo
	s_waitcnt lgkmcnt(0)
	global_store_dwordx2 v[41:42], v[39:40], off
	s_or_b32 exec_lo, exec_lo, s22
	s_and_saveexec_b32 s22, s35
	s_cbranch_execz .LBB502_872
.LBB502_940:                            ;   in Loop: Header=BB502_722 Depth=2
	v_lshlrev_b32_e32 v3, 2, v141
	v_add_nc_u32_e32 v39, v69, v43
	ds_read_b32 v3, v3
	ds_read_b64 v[39:40], v39 offset:25088
	s_waitcnt lgkmcnt(1)
	v_add_nc_u32_e32 v3, v3, v57
	v_lshlrev_b64 v[41:42], 3, v[3:4]
	v_add_co_u32 v41, vcc_lo, s52, v41
	v_add_co_ci_u32_e64 v42, null, s53, v42, vcc_lo
	s_waitcnt lgkmcnt(0)
	global_store_dwordx2 v[41:42], v[39:40], off
	s_or_b32 exec_lo, exec_lo, s22
	s_and_saveexec_b32 s22, s36
	s_cbranch_execz .LBB502_873
.LBB502_941:                            ;   in Loop: Header=BB502_722 Depth=2
	v_lshlrev_b32_e32 v3, 2, v140
	v_add_nc_u32_e32 v39, v69, v43
	ds_read_b32 v3, v3
	ds_read_b64 v[39:40], v39 offset:27136
	s_waitcnt lgkmcnt(1)
	v_add_nc_u32_e32 v3, v3, v58
	v_lshlrev_b64 v[41:42], 3, v[3:4]
	v_add_co_u32 v41, vcc_lo, s52, v41
	v_add_co_ci_u32_e64 v42, null, s53, v42, vcc_lo
	s_waitcnt lgkmcnt(0)
	global_store_dwordx2 v[41:42], v[39:40], off
	s_or_b32 exec_lo, exec_lo, s22
	s_and_saveexec_b32 s22, s37
	s_cbranch_execz .LBB502_874
.LBB502_942:                            ;   in Loop: Header=BB502_722 Depth=2
	v_lshlrev_b32_e32 v3, 2, v139
	v_add_nc_u32_e32 v39, v69, v43
	ds_read_b32 v3, v3
	ds_read_b64 v[39:40], v39 offset:29184
	s_waitcnt lgkmcnt(1)
	v_add_nc_u32_e32 v3, v3, v59
	v_lshlrev_b64 v[41:42], 3, v[3:4]
	v_add_co_u32 v41, vcc_lo, s52, v41
	v_add_co_ci_u32_e64 v42, null, s53, v42, vcc_lo
	s_waitcnt lgkmcnt(0)
	global_store_dwordx2 v[41:42], v[39:40], off
	s_or_b32 exec_lo, exec_lo, s22
	s_and_saveexec_b32 s22, s38
	s_cbranch_execz .LBB502_875
.LBB502_943:                            ;   in Loop: Header=BB502_722 Depth=2
	v_lshlrev_b32_e32 v3, 2, v138
	v_add_nc_u32_e32 v39, v69, v43
	ds_read_b32 v3, v3
	ds_read_b64 v[39:40], v39 offset:31232
	s_waitcnt lgkmcnt(1)
	v_add_nc_u32_e32 v3, v3, v60
	v_lshlrev_b64 v[41:42], 3, v[3:4]
	v_add_co_u32 v41, vcc_lo, s52, v41
	v_add_co_ci_u32_e64 v42, null, s53, v42, vcc_lo
	s_waitcnt lgkmcnt(0)
	global_store_dwordx2 v[41:42], v[39:40], off
	s_or_b32 exec_lo, exec_lo, s22
	s_and_saveexec_b32 s22, s39
	s_cbranch_execnz .LBB502_876
	s_branch .LBB502_877
.LBB502_944:                            ;   in Loop: Header=BB502_12 Depth=1
	s_waitcnt lgkmcnt(0)
	s_mov_b32 s5, 0
	s_barrier
.LBB502_945:                            ;   in Loop: Header=BB502_12 Depth=1
	s_and_b32 vcc_lo, exec_lo, s5
	s_cbranch_vccz .LBB502_11
; %bb.946:                              ;   in Loop: Header=BB502_12 Depth=1
	s_mov_b32 s5, s60
	s_mov_b32 s50, s58
	s_barrier
	buffer_gl0_inv
                                        ; implicit-def: $vgpr3
                                        ; implicit-def: $vgpr5
                                        ; implicit-def: $vgpr6
                                        ; implicit-def: $vgpr7
                                        ; implicit-def: $vgpr8
                                        ; implicit-def: $vgpr9
                                        ; implicit-def: $vgpr10
                                        ; implicit-def: $vgpr11
                                        ; implicit-def: $vgpr12
                                        ; implicit-def: $vgpr13
                                        ; implicit-def: $vgpr14
                                        ; implicit-def: $vgpr15
                                        ; implicit-def: $vgpr16
                                        ; implicit-def: $vgpr17
                                        ; implicit-def: $vgpr18
                                        ; implicit-def: $vgpr19
                                        ; implicit-def: $vgpr20
	s_branch .LBB502_948
.LBB502_947:                            ;   in Loop: Header=BB502_948 Depth=2
	s_or_b32 exec_lo, exec_lo, s16
	s_addk_i32 s5, 0xef00
	s_cmp_ge_u32 s15, s59
	s_mov_b32 s50, s15
	s_cbranch_scc1 .LBB502_1020
.LBB502_948:                            ;   Parent Loop BB502_12 Depth=1
                                        ; =>  This Inner Loop Header: Depth=2
	s_add_i32 s15, s50, 0x1100
	s_mov_b32 s16, -1
	s_cmp_gt_u32 s15, s59
                                        ; implicit-def: $vgpr21
                                        ; implicit-def: $vgpr22
                                        ; implicit-def: $vgpr25
                                        ; implicit-def: $vgpr23
                                        ; implicit-def: $vgpr27
                                        ; implicit-def: $vgpr24
                                        ; implicit-def: $vgpr29
                                        ; implicit-def: $vgpr26
                                        ; implicit-def: $vgpr31
                                        ; implicit-def: $vgpr28
                                        ; implicit-def: $vgpr33
                                        ; implicit-def: $vgpr30
                                        ; implicit-def: $vgpr34
                                        ; implicit-def: $vgpr32
                                        ; implicit-def: $vgpr35
                                        ; implicit-def: $vgpr36
                                        ; implicit-def: $vgpr37
	s_cbranch_scc1 .LBB502_950
; %bb.949:                              ;   in Loop: Header=BB502_948 Depth=2
	s_lshl_b64 s[16:17], s[50:51], 2
	v_add_co_u32 v33, vcc_lo, v78, s16
	v_add_co_ci_u32_e64 v34, null, s17, v79, vcc_lo
	s_mov_b32 s16, 0
	v_add_co_u32 v23, vcc_lo, 0x800, v33
	v_add_co_ci_u32_e64 v24, null, 0, v34, vcc_lo
	v_add_co_u32 v35, vcc_lo, v33, 0x1000
	v_add_co_ci_u32_e64 v36, null, 0, v34, vcc_lo
	;; [unrolled: 2-line block ×9, first 2 shown]
	s_clause 0x7
	global_load_dword v21, v[33:34], off
	global_load_dword v22, v[33:34], off offset:1024
	global_load_dword v23, v[23:24], off offset:1024
	;; [unrolled: 1-line block ×7, first 2 shown]
	v_add_co_u32 v41, vcc_lo, 0x3800, v33
	v_add_co_ci_u32_e64 v42, null, 0, v34, vcc_lo
	v_add_co_u32 v131, vcc_lo, v33, 0x4000
	v_add_co_ci_u32_e64 v132, null, 0, v34, vcc_lo
	s_clause 0x8
	global_load_dword v25, v[35:36], off offset:-2048
	global_load_dword v27, v[35:36], off
	global_load_dword v29, v[37:38], off offset:-2048
	global_load_dword v31, v[37:38], off
	;; [unrolled: 2-line block ×3, first 2 shown]
	global_load_dword v35, v[131:132], off offset:-2048
	global_load_dword v36, v[41:42], off offset:1024
	global_load_dword v37, v[131:132], off
.LBB502_950:                            ;   in Loop: Header=BB502_948 Depth=2
	s_andn2_b32 vcc_lo, exec_lo, s16
	s_movk_i32 s16, 0x1100
	s_cbranch_vccnz .LBB502_970
; %bb.951:                              ;   in Loop: Header=BB502_948 Depth=2
	s_lshl_b64 s[16:17], s[50:51], 2
	s_mov_b32 s18, exec_lo
	s_add_u32 s16, s44, s16
	s_addc_u32 s17, s45, s17
	v_cmpx_gt_u32_e64 s5, v0
	s_cbranch_execnz .LBB502_1004
; %bb.952:                              ;   in Loop: Header=BB502_948 Depth=2
	s_or_b32 exec_lo, exec_lo, s18
	s_mov_b32 s18, exec_lo
	v_cmpx_gt_u32_e64 s5, v44
	s_cbranch_execnz .LBB502_1005
.LBB502_953:                            ;   in Loop: Header=BB502_948 Depth=2
	s_or_b32 exec_lo, exec_lo, s18
	s_mov_b32 s18, exec_lo
	v_cmpx_gt_u32_e64 s5, v47
	s_cbranch_execnz .LBB502_1006
.LBB502_954:                            ;   in Loop: Header=BB502_948 Depth=2
	s_or_b32 exec_lo, exec_lo, s18
	s_mov_b32 s18, exec_lo
	v_cmpx_gt_u32_e64 s5, v48
	s_cbranch_execnz .LBB502_1007
.LBB502_955:                            ;   in Loop: Header=BB502_948 Depth=2
	s_or_b32 exec_lo, exec_lo, s18
	s_mov_b32 s18, exec_lo
	v_cmpx_gt_u32_e64 s5, v49
	s_cbranch_execnz .LBB502_1008
.LBB502_956:                            ;   in Loop: Header=BB502_948 Depth=2
	s_or_b32 exec_lo, exec_lo, s18
	s_mov_b32 s18, exec_lo
	v_cmpx_gt_u32_e64 s5, v50
	s_cbranch_execnz .LBB502_1009
.LBB502_957:                            ;   in Loop: Header=BB502_948 Depth=2
	s_or_b32 exec_lo, exec_lo, s18
	s_mov_b32 s18, exec_lo
	v_cmpx_gt_u32_e64 s5, v51
	s_cbranch_execnz .LBB502_1010
.LBB502_958:                            ;   in Loop: Header=BB502_948 Depth=2
	s_or_b32 exec_lo, exec_lo, s18
	s_mov_b32 s18, exec_lo
	v_cmpx_gt_u32_e64 s5, v52
	s_cbranch_execnz .LBB502_1011
.LBB502_959:                            ;   in Loop: Header=BB502_948 Depth=2
	s_or_b32 exec_lo, exec_lo, s18
	s_mov_b32 s18, exec_lo
	v_cmpx_gt_u32_e64 s5, v53
	s_cbranch_execnz .LBB502_1012
.LBB502_960:                            ;   in Loop: Header=BB502_948 Depth=2
	s_or_b32 exec_lo, exec_lo, s18
	s_mov_b32 s18, exec_lo
	v_cmpx_gt_u32_e64 s5, v54
	s_cbranch_execnz .LBB502_1013
.LBB502_961:                            ;   in Loop: Header=BB502_948 Depth=2
	s_or_b32 exec_lo, exec_lo, s18
	s_mov_b32 s18, exec_lo
	v_cmpx_gt_u32_e64 s5, v55
	s_cbranch_execnz .LBB502_1014
.LBB502_962:                            ;   in Loop: Header=BB502_948 Depth=2
	s_or_b32 exec_lo, exec_lo, s18
	s_mov_b32 s18, exec_lo
	v_cmpx_gt_u32_e64 s5, v56
	s_cbranch_execnz .LBB502_1015
.LBB502_963:                            ;   in Loop: Header=BB502_948 Depth=2
	s_or_b32 exec_lo, exec_lo, s18
	s_mov_b32 s18, exec_lo
	v_cmpx_gt_u32_e64 s5, v57
	s_cbranch_execnz .LBB502_1016
.LBB502_964:                            ;   in Loop: Header=BB502_948 Depth=2
	s_or_b32 exec_lo, exec_lo, s18
	s_mov_b32 s18, exec_lo
	v_cmpx_gt_u32_e64 s5, v58
	s_cbranch_execnz .LBB502_1017
.LBB502_965:                            ;   in Loop: Header=BB502_948 Depth=2
	s_or_b32 exec_lo, exec_lo, s18
	s_mov_b32 s18, exec_lo
	v_cmpx_gt_u32_e64 s5, v59
	s_cbranch_execnz .LBB502_1018
.LBB502_966:                            ;   in Loop: Header=BB502_948 Depth=2
	s_or_b32 exec_lo, exec_lo, s18
	s_mov_b32 s18, exec_lo
	v_cmpx_gt_u32_e64 s5, v60
	s_cbranch_execnz .LBB502_1019
.LBB502_967:                            ;   in Loop: Header=BB502_948 Depth=2
	s_or_b32 exec_lo, exec_lo, s18
	s_mov_b32 s18, exec_lo
	v_cmpx_gt_u32_e64 s5, v61
	s_cbranch_execz .LBB502_969
.LBB502_968:                            ;   in Loop: Header=BB502_948 Depth=2
	global_load_dword v3, v107, s[16:17]
.LBB502_969:                            ;   in Loop: Header=BB502_948 Depth=2
	s_or_b32 exec_lo, exec_lo, s18
	s_waitcnt vmcnt(0)
	v_mov_b32_e32 v21, v20
	v_mov_b32_e32 v22, v19
	;; [unrolled: 1-line block ×17, first 2 shown]
	s_mov_b32 s16, s5
.LBB502_970:                            ;   in Loop: Header=BB502_948 Depth=2
	s_waitcnt vmcnt(0)
	v_mov_b32_e32 v3, v37
	v_mov_b32_e32 v5, v36
	;; [unrolled: 1-line block ×17, first 2 shown]
	s_mov_b32 s17, exec_lo
	v_cmpx_gt_u32_e64 s16, v0
	s_cbranch_execnz .LBB502_987
; %bb.971:                              ;   in Loop: Header=BB502_948 Depth=2
	s_or_b32 exec_lo, exec_lo, s17
	s_mov_b32 s17, exec_lo
	v_cmpx_gt_u32_e64 s16, v44
	s_cbranch_execnz .LBB502_988
.LBB502_972:                            ;   in Loop: Header=BB502_948 Depth=2
	s_or_b32 exec_lo, exec_lo, s17
	s_mov_b32 s17, exec_lo
	v_cmpx_gt_u32_e64 s16, v47
	s_cbranch_execnz .LBB502_989
.LBB502_973:                            ;   in Loop: Header=BB502_948 Depth=2
	s_or_b32 exec_lo, exec_lo, s17
	s_mov_b32 s17, exec_lo
	v_cmpx_gt_u32_e64 s16, v48
	s_cbranch_execnz .LBB502_990
.LBB502_974:                            ;   in Loop: Header=BB502_948 Depth=2
	s_or_b32 exec_lo, exec_lo, s17
	s_mov_b32 s17, exec_lo
	v_cmpx_gt_u32_e64 s16, v49
	s_cbranch_execnz .LBB502_991
.LBB502_975:                            ;   in Loop: Header=BB502_948 Depth=2
	s_or_b32 exec_lo, exec_lo, s17
	s_mov_b32 s17, exec_lo
	v_cmpx_gt_u32_e64 s16, v50
	s_cbranch_execnz .LBB502_992
.LBB502_976:                            ;   in Loop: Header=BB502_948 Depth=2
	s_or_b32 exec_lo, exec_lo, s17
	s_mov_b32 s17, exec_lo
	v_cmpx_gt_u32_e64 s16, v51
	s_cbranch_execnz .LBB502_993
.LBB502_977:                            ;   in Loop: Header=BB502_948 Depth=2
	s_or_b32 exec_lo, exec_lo, s17
	s_mov_b32 s17, exec_lo
	v_cmpx_gt_u32_e64 s16, v52
	s_cbranch_execnz .LBB502_994
.LBB502_978:                            ;   in Loop: Header=BB502_948 Depth=2
	s_or_b32 exec_lo, exec_lo, s17
	s_mov_b32 s17, exec_lo
	v_cmpx_gt_u32_e64 s16, v53
	s_cbranch_execnz .LBB502_995
.LBB502_979:                            ;   in Loop: Header=BB502_948 Depth=2
	s_or_b32 exec_lo, exec_lo, s17
	s_mov_b32 s17, exec_lo
	v_cmpx_gt_u32_e64 s16, v54
	s_cbranch_execnz .LBB502_996
.LBB502_980:                            ;   in Loop: Header=BB502_948 Depth=2
	s_or_b32 exec_lo, exec_lo, s17
	s_mov_b32 s17, exec_lo
	v_cmpx_gt_u32_e64 s16, v55
	s_cbranch_execnz .LBB502_997
.LBB502_981:                            ;   in Loop: Header=BB502_948 Depth=2
	s_or_b32 exec_lo, exec_lo, s17
	s_mov_b32 s17, exec_lo
	v_cmpx_gt_u32_e64 s16, v56
	s_cbranch_execnz .LBB502_998
.LBB502_982:                            ;   in Loop: Header=BB502_948 Depth=2
	s_or_b32 exec_lo, exec_lo, s17
	s_mov_b32 s17, exec_lo
	v_cmpx_gt_u32_e64 s16, v57
	s_cbranch_execnz .LBB502_999
.LBB502_983:                            ;   in Loop: Header=BB502_948 Depth=2
	s_or_b32 exec_lo, exec_lo, s17
	s_mov_b32 s17, exec_lo
	v_cmpx_gt_u32_e64 s16, v58
	s_cbranch_execnz .LBB502_1000
.LBB502_984:                            ;   in Loop: Header=BB502_948 Depth=2
	s_or_b32 exec_lo, exec_lo, s17
	s_mov_b32 s17, exec_lo
	v_cmpx_gt_u32_e64 s16, v59
	s_cbranch_execnz .LBB502_1001
.LBB502_985:                            ;   in Loop: Header=BB502_948 Depth=2
	s_or_b32 exec_lo, exec_lo, s17
	s_mov_b32 s17, exec_lo
	v_cmpx_gt_u32_e64 s16, v60
	s_cbranch_execnz .LBB502_1002
.LBB502_986:                            ;   in Loop: Header=BB502_948 Depth=2
	s_or_b32 exec_lo, exec_lo, s17
	v_cmp_gt_u32_e32 vcc_lo, s16, v61
	s_and_saveexec_b32 s16, vcc_lo
	s_cbranch_execz .LBB502_947
	s_branch .LBB502_1003
.LBB502_987:                            ;   in Loop: Header=BB502_948 Depth=2
	v_xor_b32_e32 v21, 0x7fffffff, v20
	v_lshrrev_b32_e32 v21, s41, v21
	v_and_b32_e32 v21, s62, v21
	v_lshl_or_b32 v21, v21, 4, v63
	ds_add_u32 v21, v85
	s_or_b32 exec_lo, exec_lo, s17
	s_mov_b32 s17, exec_lo
	v_cmpx_gt_u32_e64 s16, v44
	s_cbranch_execz .LBB502_972
.LBB502_988:                            ;   in Loop: Header=BB502_948 Depth=2
	v_xor_b32_e32 v21, 0x7fffffff, v19
	v_lshrrev_b32_e32 v21, s41, v21
	v_and_b32_e32 v21, s62, v21
	v_lshl_or_b32 v21, v21, 4, v63
	ds_add_u32 v21, v85
	s_or_b32 exec_lo, exec_lo, s17
	s_mov_b32 s17, exec_lo
	v_cmpx_gt_u32_e64 s16, v47
	s_cbranch_execz .LBB502_973
.LBB502_989:                            ;   in Loop: Header=BB502_948 Depth=2
	v_xor_b32_e32 v21, 0x7fffffff, v18
	v_lshrrev_b32_e32 v21, s41, v21
	v_and_b32_e32 v21, s62, v21
	v_lshl_or_b32 v21, v21, 4, v63
	ds_add_u32 v21, v85
	s_or_b32 exec_lo, exec_lo, s17
	s_mov_b32 s17, exec_lo
	v_cmpx_gt_u32_e64 s16, v48
	s_cbranch_execz .LBB502_974
.LBB502_990:                            ;   in Loop: Header=BB502_948 Depth=2
	v_xor_b32_e32 v21, 0x7fffffff, v17
	v_lshrrev_b32_e32 v21, s41, v21
	v_and_b32_e32 v21, s62, v21
	v_lshl_or_b32 v21, v21, 4, v63
	ds_add_u32 v21, v85
	s_or_b32 exec_lo, exec_lo, s17
	s_mov_b32 s17, exec_lo
	v_cmpx_gt_u32_e64 s16, v49
	s_cbranch_execz .LBB502_975
.LBB502_991:                            ;   in Loop: Header=BB502_948 Depth=2
	v_xor_b32_e32 v21, 0x7fffffff, v16
	v_lshrrev_b32_e32 v21, s41, v21
	v_and_b32_e32 v21, s62, v21
	v_lshl_or_b32 v21, v21, 4, v63
	ds_add_u32 v21, v85
	s_or_b32 exec_lo, exec_lo, s17
	s_mov_b32 s17, exec_lo
	v_cmpx_gt_u32_e64 s16, v50
	s_cbranch_execz .LBB502_976
.LBB502_992:                            ;   in Loop: Header=BB502_948 Depth=2
	v_xor_b32_e32 v21, 0x7fffffff, v15
	v_lshrrev_b32_e32 v21, s41, v21
	v_and_b32_e32 v21, s62, v21
	v_lshl_or_b32 v21, v21, 4, v63
	ds_add_u32 v21, v85
	s_or_b32 exec_lo, exec_lo, s17
	s_mov_b32 s17, exec_lo
	v_cmpx_gt_u32_e64 s16, v51
	s_cbranch_execz .LBB502_977
.LBB502_993:                            ;   in Loop: Header=BB502_948 Depth=2
	v_xor_b32_e32 v21, 0x7fffffff, v14
	v_lshrrev_b32_e32 v21, s41, v21
	v_and_b32_e32 v21, s62, v21
	v_lshl_or_b32 v21, v21, 4, v63
	ds_add_u32 v21, v85
	s_or_b32 exec_lo, exec_lo, s17
	s_mov_b32 s17, exec_lo
	v_cmpx_gt_u32_e64 s16, v52
	s_cbranch_execz .LBB502_978
.LBB502_994:                            ;   in Loop: Header=BB502_948 Depth=2
	v_xor_b32_e32 v21, 0x7fffffff, v13
	v_lshrrev_b32_e32 v21, s41, v21
	v_and_b32_e32 v21, s62, v21
	v_lshl_or_b32 v21, v21, 4, v63
	ds_add_u32 v21, v85
	s_or_b32 exec_lo, exec_lo, s17
	s_mov_b32 s17, exec_lo
	v_cmpx_gt_u32_e64 s16, v53
	s_cbranch_execz .LBB502_979
.LBB502_995:                            ;   in Loop: Header=BB502_948 Depth=2
	v_xor_b32_e32 v21, 0x7fffffff, v12
	v_lshrrev_b32_e32 v21, s41, v21
	v_and_b32_e32 v21, s62, v21
	v_lshl_or_b32 v21, v21, 4, v63
	ds_add_u32 v21, v85
	s_or_b32 exec_lo, exec_lo, s17
	s_mov_b32 s17, exec_lo
	v_cmpx_gt_u32_e64 s16, v54
	s_cbranch_execz .LBB502_980
.LBB502_996:                            ;   in Loop: Header=BB502_948 Depth=2
	v_xor_b32_e32 v21, 0x7fffffff, v11
	v_lshrrev_b32_e32 v21, s41, v21
	v_and_b32_e32 v21, s62, v21
	v_lshl_or_b32 v21, v21, 4, v63
	ds_add_u32 v21, v85
	s_or_b32 exec_lo, exec_lo, s17
	s_mov_b32 s17, exec_lo
	v_cmpx_gt_u32_e64 s16, v55
	s_cbranch_execz .LBB502_981
.LBB502_997:                            ;   in Loop: Header=BB502_948 Depth=2
	v_xor_b32_e32 v21, 0x7fffffff, v10
	v_lshrrev_b32_e32 v21, s41, v21
	v_and_b32_e32 v21, s62, v21
	v_lshl_or_b32 v21, v21, 4, v63
	ds_add_u32 v21, v85
	s_or_b32 exec_lo, exec_lo, s17
	s_mov_b32 s17, exec_lo
	v_cmpx_gt_u32_e64 s16, v56
	s_cbranch_execz .LBB502_982
.LBB502_998:                            ;   in Loop: Header=BB502_948 Depth=2
	v_xor_b32_e32 v21, 0x7fffffff, v9
	v_lshrrev_b32_e32 v21, s41, v21
	v_and_b32_e32 v21, s62, v21
	v_lshl_or_b32 v21, v21, 4, v63
	ds_add_u32 v21, v85
	s_or_b32 exec_lo, exec_lo, s17
	s_mov_b32 s17, exec_lo
	v_cmpx_gt_u32_e64 s16, v57
	s_cbranch_execz .LBB502_983
.LBB502_999:                            ;   in Loop: Header=BB502_948 Depth=2
	v_xor_b32_e32 v21, 0x7fffffff, v8
	v_lshrrev_b32_e32 v21, s41, v21
	v_and_b32_e32 v21, s62, v21
	v_lshl_or_b32 v21, v21, 4, v63
	ds_add_u32 v21, v85
	s_or_b32 exec_lo, exec_lo, s17
	s_mov_b32 s17, exec_lo
	v_cmpx_gt_u32_e64 s16, v58
	s_cbranch_execz .LBB502_984
.LBB502_1000:                           ;   in Loop: Header=BB502_948 Depth=2
	v_xor_b32_e32 v21, 0x7fffffff, v7
	v_lshrrev_b32_e32 v21, s41, v21
	v_and_b32_e32 v21, s62, v21
	v_lshl_or_b32 v21, v21, 4, v63
	ds_add_u32 v21, v85
	s_or_b32 exec_lo, exec_lo, s17
	s_mov_b32 s17, exec_lo
	v_cmpx_gt_u32_e64 s16, v59
	s_cbranch_execz .LBB502_985
.LBB502_1001:                           ;   in Loop: Header=BB502_948 Depth=2
	v_xor_b32_e32 v21, 0x7fffffff, v6
	v_lshrrev_b32_e32 v21, s41, v21
	v_and_b32_e32 v21, s62, v21
	v_lshl_or_b32 v21, v21, 4, v63
	ds_add_u32 v21, v85
	s_or_b32 exec_lo, exec_lo, s17
	s_mov_b32 s17, exec_lo
	v_cmpx_gt_u32_e64 s16, v60
	s_cbranch_execz .LBB502_986
.LBB502_1002:                           ;   in Loop: Header=BB502_948 Depth=2
	v_xor_b32_e32 v21, 0x7fffffff, v5
	v_lshrrev_b32_e32 v21, s41, v21
	v_and_b32_e32 v21, s62, v21
	v_lshl_or_b32 v21, v21, 4, v63
	ds_add_u32 v21, v85
	s_or_b32 exec_lo, exec_lo, s17
	v_cmp_gt_u32_e32 vcc_lo, s16, v61
	s_and_saveexec_b32 s16, vcc_lo
	s_cbranch_execz .LBB502_947
.LBB502_1003:                           ;   in Loop: Header=BB502_948 Depth=2
	v_xor_b32_e32 v21, 0x7fffffff, v3
	v_lshrrev_b32_e32 v21, s41, v21
	v_and_b32_e32 v21, s62, v21
	v_lshl_or_b32 v21, v21, 4, v63
	ds_add_u32 v21, v85
	s_branch .LBB502_947
.LBB502_1004:                           ;   in Loop: Header=BB502_948 Depth=2
	global_load_dword v20, v91, s[16:17]
	s_or_b32 exec_lo, exec_lo, s18
	s_mov_b32 s18, exec_lo
	v_cmpx_gt_u32_e64 s5, v44
	s_cbranch_execz .LBB502_953
.LBB502_1005:                           ;   in Loop: Header=BB502_948 Depth=2
	global_load_dword v19, v91, s[16:17] offset:1024
	s_or_b32 exec_lo, exec_lo, s18
	s_mov_b32 s18, exec_lo
	v_cmpx_gt_u32_e64 s5, v47
	s_cbranch_execz .LBB502_954
.LBB502_1006:                           ;   in Loop: Header=BB502_948 Depth=2
	global_load_dword v18, v92, s[16:17]
	s_or_b32 exec_lo, exec_lo, s18
	s_mov_b32 s18, exec_lo
	v_cmpx_gt_u32_e64 s5, v48
	s_cbranch_execz .LBB502_955
.LBB502_1007:                           ;   in Loop: Header=BB502_948 Depth=2
	global_load_dword v17, v93, s[16:17]
	s_or_b32 exec_lo, exec_lo, s18
	s_mov_b32 s18, exec_lo
	v_cmpx_gt_u32_e64 s5, v49
	s_cbranch_execz .LBB502_956
.LBB502_1008:                           ;   in Loop: Header=BB502_948 Depth=2
	global_load_dword v16, v94, s[16:17]
	s_or_b32 exec_lo, exec_lo, s18
	s_mov_b32 s18, exec_lo
	v_cmpx_gt_u32_e64 s5, v50
	s_cbranch_execz .LBB502_957
.LBB502_1009:                           ;   in Loop: Header=BB502_948 Depth=2
	global_load_dword v15, v95, s[16:17]
	s_or_b32 exec_lo, exec_lo, s18
	s_mov_b32 s18, exec_lo
	v_cmpx_gt_u32_e64 s5, v51
	s_cbranch_execz .LBB502_958
.LBB502_1010:                           ;   in Loop: Header=BB502_948 Depth=2
	global_load_dword v14, v96, s[16:17]
	s_or_b32 exec_lo, exec_lo, s18
	s_mov_b32 s18, exec_lo
	v_cmpx_gt_u32_e64 s5, v52
	s_cbranch_execz .LBB502_959
.LBB502_1011:                           ;   in Loop: Header=BB502_948 Depth=2
	global_load_dword v13, v97, s[16:17]
	s_or_b32 exec_lo, exec_lo, s18
	s_mov_b32 s18, exec_lo
	v_cmpx_gt_u32_e64 s5, v53
	s_cbranch_execz .LBB502_960
.LBB502_1012:                           ;   in Loop: Header=BB502_948 Depth=2
	global_load_dword v12, v98, s[16:17]
	s_or_b32 exec_lo, exec_lo, s18
	s_mov_b32 s18, exec_lo
	v_cmpx_gt_u32_e64 s5, v54
	s_cbranch_execz .LBB502_961
.LBB502_1013:                           ;   in Loop: Header=BB502_948 Depth=2
	global_load_dword v11, v99, s[16:17]
	s_or_b32 exec_lo, exec_lo, s18
	s_mov_b32 s18, exec_lo
	v_cmpx_gt_u32_e64 s5, v55
	s_cbranch_execz .LBB502_962
.LBB502_1014:                           ;   in Loop: Header=BB502_948 Depth=2
	global_load_dword v10, v100, s[16:17]
	s_or_b32 exec_lo, exec_lo, s18
	s_mov_b32 s18, exec_lo
	v_cmpx_gt_u32_e64 s5, v56
	s_cbranch_execz .LBB502_963
.LBB502_1015:                           ;   in Loop: Header=BB502_948 Depth=2
	global_load_dword v9, v101, s[16:17]
	s_or_b32 exec_lo, exec_lo, s18
	s_mov_b32 s18, exec_lo
	v_cmpx_gt_u32_e64 s5, v57
	s_cbranch_execz .LBB502_964
.LBB502_1016:                           ;   in Loop: Header=BB502_948 Depth=2
	global_load_dword v8, v102, s[16:17]
	s_or_b32 exec_lo, exec_lo, s18
	s_mov_b32 s18, exec_lo
	v_cmpx_gt_u32_e64 s5, v58
	s_cbranch_execz .LBB502_965
.LBB502_1017:                           ;   in Loop: Header=BB502_948 Depth=2
	global_load_dword v7, v103, s[16:17]
	s_or_b32 exec_lo, exec_lo, s18
	s_mov_b32 s18, exec_lo
	v_cmpx_gt_u32_e64 s5, v59
	s_cbranch_execz .LBB502_966
.LBB502_1018:                           ;   in Loop: Header=BB502_948 Depth=2
	global_load_dword v6, v104, s[16:17]
	s_or_b32 exec_lo, exec_lo, s18
	s_mov_b32 s18, exec_lo
	v_cmpx_gt_u32_e64 s5, v60
	s_cbranch_execz .LBB502_967
.LBB502_1019:                           ;   in Loop: Header=BB502_948 Depth=2
	global_load_dword v5, v105, s[16:17]
	s_or_b32 exec_lo, exec_lo, s18
	s_mov_b32 s18, exec_lo
	v_cmpx_gt_u32_e64 s5, v61
	s_cbranch_execnz .LBB502_968
	s_branch .LBB502_969
.LBB502_1020:                           ;   in Loop: Header=BB502_12 Depth=1
	v_mov_b32_e32 v3, 0
	s_waitcnt lgkmcnt(0)
	s_barrier
	buffer_gl0_inv
	s_and_saveexec_b32 s5, s7
	s_cbranch_execz .LBB502_1022
; %bb.1021:                             ;   in Loop: Header=BB502_12 Depth=1
	ds_read2_b64 v[5:8], v64 offset1:1
	s_waitcnt lgkmcnt(0)
	v_add_nc_u32_e32 v3, v6, v5
	v_add3_u32 v3, v3, v7, v8
.LBB502_1022:                           ;   in Loop: Header=BB502_12 Depth=1
	s_or_b32 exec_lo, exec_lo, s5
	v_mov_b32_dpp v5, v3 row_shr:1 row_mask:0xf bank_mask:0xf
	v_cmp_eq_u32_e64 s5, 0, v86
	v_cmp_lt_u32_e64 s15, 1, v86
	v_cmp_lt_u32_e64 s16, 3, v86
	;; [unrolled: 1-line block ×3, first 2 shown]
	v_cmp_eq_u32_e64 s18, 0, v88
	v_cndmask_b32_e64 v5, v5, 0, s5
	v_add_nc_u32_e32 v3, v5, v3
	v_mov_b32_dpp v5, v3 row_shr:2 row_mask:0xf bank_mask:0xf
	v_cndmask_b32_e64 v5, 0, v5, s15
	v_add_nc_u32_e32 v3, v3, v5
	v_mov_b32_dpp v5, v3 row_shr:4 row_mask:0xf bank_mask:0xf
	;; [unrolled: 3-line block ×3, first 2 shown]
	v_cndmask_b32_e64 v5, 0, v5, s17
	v_add_nc_u32_e32 v3, v3, v5
	ds_swizzle_b32 v5, v3 offset:swizzle(BROADCAST,32,15)
	s_waitcnt lgkmcnt(0)
	v_and_b32_e32 v5, v87, v5
	v_add_nc_u32_e32 v3, v3, v5
	s_and_saveexec_b32 s19, s8
; %bb.1023:                             ;   in Loop: Header=BB502_12 Depth=1
	ds_write_b32 v65, v3
; %bb.1024:                             ;   in Loop: Header=BB502_12 Depth=1
	s_or_b32 exec_lo, exec_lo, s19
	s_waitcnt lgkmcnt(0)
	s_barrier
	buffer_gl0_inv
	s_and_saveexec_b32 s19, s9
	s_cbranch_execz .LBB502_1026
; %bb.1025:                             ;   in Loop: Header=BB502_12 Depth=1
	ds_read_b32 v5, v66
	v_cmp_ne_u32_e32 vcc_lo, 0, v89
	s_waitcnt lgkmcnt(0)
	v_mov_b32_dpp v6, v5 row_shr:1 row_mask:0xf bank_mask:0xf
	v_cndmask_b32_e32 v6, 0, v6, vcc_lo
	v_cmp_lt_u32_e32 vcc_lo, 1, v89
	v_add_nc_u32_e32 v5, v6, v5
	v_mov_b32_dpp v6, v5 row_shr:2 row_mask:0xf bank_mask:0xf
	v_cndmask_b32_e32 v6, 0, v6, vcc_lo
	v_add_nc_u32_e32 v5, v5, v6
	ds_write_b32 v66, v5
.LBB502_1026:                           ;   in Loop: Header=BB502_12 Depth=1
	s_or_b32 exec_lo, exec_lo, s19
	v_mov_b32_e32 v5, 0
	s_waitcnt lgkmcnt(0)
	s_barrier
	buffer_gl0_inv
	s_and_saveexec_b32 s19, s10
; %bb.1027:                             ;   in Loop: Header=BB502_12 Depth=1
	ds_read_b32 v5, v67
; %bb.1028:                             ;   in Loop: Header=BB502_12 Depth=1
	s_or_b32 exec_lo, exec_lo, s19
	v_cmp_gt_i32_e32 vcc_lo, 0, v90
	s_waitcnt lgkmcnt(0)
	v_add_nc_u32_e32 v3, v5, v3
	s_barrier
	buffer_gl0_inv
	v_cndmask_b32_e32 v6, v90, v82, vcc_lo
	v_lshlrev_b32_e32 v131, 2, v6
	ds_bpermute_b32 v3, v131, v3
	s_and_saveexec_b32 s19, s7
	s_cbranch_execz .LBB502_1030
; %bb.1029:                             ;   in Loop: Header=BB502_12 Depth=1
	s_waitcnt lgkmcnt(0)
	v_cndmask_b32_e64 v3, v3, v5, s14
	v_add_nc_u32_e32 v3, s58, v3
	ds_write_b32 v43, v3
.LBB502_1030:                           ;   in Loop: Header=BB502_12 Depth=1
	s_or_b32 exec_lo, exec_lo, s19
	s_load_dwordx2 s[20:21], s[56:57], 0x0
	v_add_co_u32 v132, vcc_lo, v80, v106
	v_add_co_ci_u32_e64 v133, null, 0, v81, vcc_lo
	v_add_co_u32 v134, vcc_lo, v83, v125
	v_add_co_ci_u32_e64 v135, null, 0, v84, vcc_lo
	s_mov_b32 s63, s60
	s_mov_b32 s50, s58
                                        ; implicit-def: $vgpr7_vgpr8
                                        ; implicit-def: $vgpr9_vgpr10
                                        ; implicit-def: $vgpr11_vgpr12
                                        ; implicit-def: $vgpr13_vgpr14
                                        ; implicit-def: $vgpr15_vgpr16
                                        ; implicit-def: $vgpr19_vgpr20
                                        ; implicit-def: $vgpr23_vgpr24
                                        ; implicit-def: $vgpr27_vgpr28
                                        ; implicit-def: $vgpr17_vgpr18
                                        ; implicit-def: $vgpr21_vgpr22
                                        ; implicit-def: $vgpr25_vgpr26
                                        ; implicit-def: $vgpr29_vgpr30
                                        ; implicit-def: $vgpr31_vgpr32
                                        ; implicit-def: $vgpr33_vgpr34
                                        ; implicit-def: $vgpr35_vgpr36
                                        ; implicit-def: $vgpr37_vgpr38
                                        ; implicit-def: $vgpr137
                                        ; implicit-def: $vgpr138
                                        ; implicit-def: $vgpr139
                                        ; implicit-def: $vgpr140
                                        ; implicit-def: $vgpr141
                                        ; implicit-def: $vgpr142
                                        ; implicit-def: $vgpr143
                                        ; implicit-def: $vgpr144
                                        ; implicit-def: $vgpr145
                                        ; implicit-def: $vgpr146
                                        ; implicit-def: $vgpr147
                                        ; implicit-def: $vgpr148
                                        ; implicit-def: $vgpr149
                                        ; implicit-def: $vgpr150
                                        ; implicit-def: $vgpr151
                                        ; implicit-def: $vgpr153
                                        ; implicit-def: $vgpr154
                                        ; implicit-def: $vgpr152
                                        ; implicit-def: $vgpr155
	s_waitcnt lgkmcnt(0)
	s_cmp_lt_u32 s28, s21
	s_cselect_b32 s19, 14, 20
	s_add_u32 s22, s56, s19
	s_addc_u32 s23, s57, 0
	s_cmp_lt_u32 s6, s20
	global_load_ushort v3, v4, s[22:23]
	s_cselect_b32 s19, 12, 18
	s_add_u32 s20, s56, s19
	s_addc_u32 s21, s57, 0
	v_cmp_eq_u32_e64 s19, 0, v108
	global_load_ushort v5, v4, s[20:21]
	v_cmp_lt_u32_e64 s20, 1, v108
	v_cmp_lt_u32_e64 s21, 3, v108
	s_waitcnt vmcnt(1)
	v_mad_u32_u24 v3, v2, v3, v1
	s_waitcnt vmcnt(0)
	v_mad_u64_u32 v[5:6], null, v3, v5, v[0:1]
	v_lshrrev_b32_e32 v3, 3, v5
                                        ; implicit-def: $vgpr5_vgpr6
	v_and_b32_e32 v136, 0x1ffffffc, v3
	s_branch .LBB502_1032
.LBB502_1031:                           ;   in Loop: Header=BB502_1032 Depth=2
	s_or_b32 exec_lo, exec_lo, s22
	s_addk_i32 s63, 0xef00
	s_cmp_lt_u32 s64, s59
	s_mov_b32 s50, s64
	s_cbranch_scc0 .LBB502_10
.LBB502_1032:                           ;   Parent Loop BB502_12 Depth=1
                                        ; =>  This Inner Loop Header: Depth=2
	s_add_i32 s64, s50, 0x1100
	s_cmp_gt_u32 s64, s59
	s_cbranch_scc1 .LBB502_1034
; %bb.1033:                             ;   in Loop: Header=BB502_1032 Depth=2
	s_lshl_b64 s[22:23], s[50:51], 2
	v_add_co_u32 v39, vcc_lo, v134, s22
	v_add_co_ci_u32_e64 v40, null, s23, v135, vcc_lo
	s_mov_b32 s22, -1
	s_clause 0xf
	global_load_dword v157, v[39:40], off
	global_load_dword v158, v[39:40], off offset:128
	global_load_dword v161, v[39:40], off offset:256
	;; [unrolled: 1-line block ×15, first 2 shown]
	s_movk_i32 s23, 0x1100
	s_cbranch_execz .LBB502_1035
	s_branch .LBB502_1068
.LBB502_1034:                           ;   in Loop: Header=BB502_1032 Depth=2
	s_mov_b32 s22, 0
                                        ; implicit-def: $vgpr157
                                        ; implicit-def: $vgpr158
                                        ; implicit-def: $vgpr161
                                        ; implicit-def: $vgpr165
                                        ; implicit-def: $vgpr170
                                        ; implicit-def: $vgpr175
                                        ; implicit-def: $vgpr180
                                        ; implicit-def: $vgpr185
                                        ; implicit-def: $vgpr190
                                        ; implicit-def: $vgpr188
                                        ; implicit-def: $vgpr183
                                        ; implicit-def: $vgpr178
                                        ; implicit-def: $vgpr174
                                        ; implicit-def: $vgpr169
                                        ; implicit-def: $vgpr42
                                        ; implicit-def: $vgpr41
	s_movk_i32 s23, 0x1100
.LBB502_1035:                           ;   in Loop: Header=BB502_1032 Depth=2
	s_lshl_b64 s[22:23], s[50:51], 2
	s_waitcnt vmcnt(14)
	v_bfrev_b32_e32 v158, 1
	v_add_co_u32 v39, vcc_lo, v134, s22
	v_add_co_ci_u32_e64 v40, null, s23, v135, vcc_lo
	v_bfrev_b32_e32 v157, 1
	s_mov_b32 s22, exec_lo
	v_cmpx_gt_u32_e64 s63, v109
	s_cbranch_execz .LBB502_1037
; %bb.1036:                             ;   in Loop: Header=BB502_1032 Depth=2
	global_load_dword v157, v[39:40], off
.LBB502_1037:                           ;   in Loop: Header=BB502_1032 Depth=2
	s_or_b32 exec_lo, exec_lo, s22
	s_mov_b32 s22, exec_lo
	v_cmpx_gt_u32_e64 s63, v112
	s_cbranch_execz .LBB502_1039
; %bb.1038:                             ;   in Loop: Header=BB502_1032 Depth=2
	global_load_dword v158, v[39:40], off offset:128
.LBB502_1039:                           ;   in Loop: Header=BB502_1032 Depth=2
	s_or_b32 exec_lo, exec_lo, s22
	s_waitcnt vmcnt(12)
	v_bfrev_b32_e32 v165, 1
	v_bfrev_b32_e32 v161, 1
	s_mov_b32 s22, exec_lo
	v_cmpx_gt_u32_e64 s63, v113
	s_cbranch_execz .LBB502_1041
; %bb.1040:                             ;   in Loop: Header=BB502_1032 Depth=2
	global_load_dword v161, v[39:40], off offset:256
.LBB502_1041:                           ;   in Loop: Header=BB502_1032 Depth=2
	s_or_b32 exec_lo, exec_lo, s22
	s_mov_b32 s22, exec_lo
	v_cmpx_gt_u32_e64 s63, v114
	s_cbranch_execz .LBB502_1043
; %bb.1042:                             ;   in Loop: Header=BB502_1032 Depth=2
	global_load_dword v165, v[39:40], off offset:384
.LBB502_1043:                           ;   in Loop: Header=BB502_1032 Depth=2
	s_or_b32 exec_lo, exec_lo, s22
	s_waitcnt vmcnt(10)
	v_bfrev_b32_e32 v175, 1
	v_bfrev_b32_e32 v170, 1
	s_mov_b32 s22, exec_lo
	v_cmpx_gt_u32_e64 s63, v115
	s_cbranch_execz .LBB502_1045
; %bb.1044:                             ;   in Loop: Header=BB502_1032 Depth=2
	global_load_dword v170, v[39:40], off offset:512
.LBB502_1045:                           ;   in Loop: Header=BB502_1032 Depth=2
	;; [unrolled: 17-line block ×7, first 2 shown]
	s_or_b32 exec_lo, exec_lo, s22
	s_mov_b32 s22, exec_lo
	v_cmpx_gt_u32_e64 s63, v127
	s_cbranch_execz .LBB502_1067
; %bb.1066:                             ;   in Loop: Header=BB502_1032 Depth=2
	global_load_dword v41, v[39:40], off offset:1920
.LBB502_1067:                           ;   in Loop: Header=BB502_1032 Depth=2
	s_or_b32 exec_lo, exec_lo, s22
	v_cmp_gt_u32_e64 s22, s63, v128
	s_sub_i32 s23, s59, s50
.LBB502_1068:                           ;   in Loop: Header=BB502_1032 Depth=2
	v_mov_b32_e32 v3, -1
	v_mov_b32_e32 v156, s63
	s_and_saveexec_b32 s24, s22
	s_cbranch_execz .LBB502_1070
; %bb.1069:                             ;   in Loop: Header=BB502_1032 Depth=2
	s_lshl_b64 s[26:27], s[50:51], 2
	v_mov_b32_e32 v156, s23
	v_add_co_u32 v3, vcc_lo, v134, s26
	v_add_co_ci_u32_e64 v40, null, s27, v135, vcc_lo
	v_add_co_u32 v39, vcc_lo, 0x800, v3
	v_add_co_ci_u32_e64 v40, null, 0, v40, vcc_lo
	global_load_dword v3, v[39:40], off
	s_waitcnt vmcnt(0)
	v_xor_b32_e32 v3, 0x7fffffff, v3
.LBB502_1070:                           ;   in Loop: Header=BB502_1032 Depth=2
	s_or_b32 exec_lo, exec_lo, s24
	s_waitcnt vmcnt(15)
	v_xor_b32_e32 v157, 0x7fffffff, v157
	ds_write2_b32 v68, v4, v4 offset0:136 offset1:137
	ds_write2_b32 v68, v4, v4 offset0:138 offset1:139
	ds_write_b32 v68, v4 offset:560
	s_waitcnt vmcnt(0) lgkmcnt(0)
	s_barrier
	v_lshrrev_b32_e32 v39, s41, v157
	buffer_gl0_inv
	; wave barrier
	v_and_b32_e32 v40, s62, v39
	v_and_b32_e32 v39, 1, v40
	v_lshlrev_b32_e32 v159, 30, v40
	v_lshlrev_b32_e32 v160, 29, v40
	v_lshlrev_b32_e32 v163, 28, v40
	v_lshlrev_b32_e32 v164, 27, v40
	v_add_co_u32 v39, s22, v39, -1
	v_cndmask_b32_e64 v162, 0, 1, s22
	v_not_b32_e32 v167, v159
	v_cmp_gt_i32_e64 s22, 0, v159
	v_not_b32_e32 v159, v160
	v_lshlrev_b32_e32 v166, 26, v40
	v_cmp_ne_u32_e32 vcc_lo, 0, v162
	v_ashrrev_i32_e32 v167, 31, v167
	v_lshlrev_b32_e32 v162, 25, v40
	v_ashrrev_i32_e32 v159, 31, v159
	v_mul_u32_u24_e32 v40, 36, v40
	v_xor_b32_e32 v39, vcc_lo, v39
	v_cmp_gt_i32_e32 vcc_lo, 0, v160
	v_not_b32_e32 v160, v163
	v_xor_b32_e32 v167, s22, v167
	v_cmp_gt_i32_e64 s22, 0, v163
	v_and_b32_e32 v39, exec_lo, v39
	v_not_b32_e32 v163, v164
	v_ashrrev_i32_e32 v160, 31, v160
	v_xor_b32_e32 v159, vcc_lo, v159
	v_cmp_gt_i32_e32 vcc_lo, 0, v164
	v_and_b32_e32 v39, v39, v167
	v_not_b32_e32 v164, v166
	v_ashrrev_i32_e32 v163, 31, v163
	v_xor_b32_e32 v160, s22, v160
	v_cmp_gt_i32_e64 s22, 0, v166
	v_and_b32_e32 v39, v39, v159
	v_not_b32_e32 v159, v162
	v_ashrrev_i32_e32 v164, 31, v164
	v_xor_b32_e32 v163, vcc_lo, v163
	v_cmp_gt_i32_e32 vcc_lo, 0, v162
	v_and_b32_e32 v39, v39, v160
	v_ashrrev_i32_e32 v159, 31, v159
	v_xor_b32_e32 v160, s22, v164
	v_and_b32_e32 v39, v39, v163
	v_xor_b32_e32 v159, vcc_lo, v159
	v_and_b32_e32 v39, v39, v160
	v_add_nc_u32_e32 v160, v136, v40
	v_and_b32_e32 v39, v39, v159
	v_mbcnt_lo_u32_b32 v159, v39, 0
	v_cmp_ne_u32_e64 s22, 0, v39
	v_cmp_eq_u32_e32 vcc_lo, 0, v159
	s_and_b32 s23, s22, vcc_lo
	s_and_saveexec_b32 s22, s23
; %bb.1071:                             ;   in Loop: Header=BB502_1032 Depth=2
	v_bcnt_u32_b32 v39, v39, 0
	ds_write_b32 v160, v39 offset:544
; %bb.1072:                             ;   in Loop: Header=BB502_1032 Depth=2
	s_or_b32 exec_lo, exec_lo, s22
	v_xor_b32_e32 v158, 0x7fffffff, v158
	; wave barrier
	v_lshrrev_b32_e32 v39, s41, v158
	v_and_b32_e32 v40, s62, v39
	v_and_b32_e32 v39, 1, v40
	v_lshlrev_b32_e32 v162, 30, v40
	v_lshlrev_b32_e32 v163, 29, v40
	v_lshlrev_b32_e32 v166, 28, v40
	v_lshlrev_b32_e32 v167, 27, v40
	v_add_co_u32 v39, s22, v39, -1
	v_cndmask_b32_e64 v164, 0, 1, s22
	v_not_b32_e32 v171, v162
	v_cmp_gt_i32_e64 s22, 0, v162
	v_not_b32_e32 v162, v163
	v_lshlrev_b32_e32 v168, 26, v40
	v_cmp_ne_u32_e32 vcc_lo, 0, v164
	v_ashrrev_i32_e32 v171, 31, v171
	v_lshlrev_b32_e32 v164, 25, v40
	v_ashrrev_i32_e32 v162, 31, v162
	v_xor_b32_e32 v39, vcc_lo, v39
	v_cmp_gt_i32_e32 vcc_lo, 0, v163
	v_not_b32_e32 v163, v166
	v_xor_b32_e32 v171, s22, v171
	v_cmp_gt_i32_e64 s22, 0, v166
	v_and_b32_e32 v39, exec_lo, v39
	v_not_b32_e32 v166, v167
	v_ashrrev_i32_e32 v163, 31, v163
	v_xor_b32_e32 v162, vcc_lo, v162
	v_cmp_gt_i32_e32 vcc_lo, 0, v167
	v_and_b32_e32 v39, v39, v171
	v_not_b32_e32 v167, v168
	v_ashrrev_i32_e32 v166, 31, v166
	v_xor_b32_e32 v163, s22, v163
	v_cmp_gt_i32_e64 s22, 0, v168
	v_and_b32_e32 v39, v39, v162
	v_not_b32_e32 v162, v164
	v_ashrrev_i32_e32 v167, 31, v167
	v_xor_b32_e32 v166, vcc_lo, v166
	v_cmp_gt_i32_e32 vcc_lo, 0, v164
	v_and_b32_e32 v39, v39, v163
	v_ashrrev_i32_e32 v162, 31, v162
	v_xor_b32_e32 v163, s22, v167
	v_mad_u32_u24 v164, v40, 36, v136
	v_mul_u32_u24_e32 v40, 36, v40
	v_and_b32_e32 v39, v39, v166
	v_xor_b32_e32 v166, vcc_lo, v162
	ds_read_b32 v162, v164 offset:544
	v_add_nc_u32_e32 v164, v136, v40
	v_and_b32_e32 v39, v39, v163
	; wave barrier
	v_and_b32_e32 v39, v39, v166
	v_mbcnt_lo_u32_b32 v163, v39, 0
	v_cmp_ne_u32_e64 s22, 0, v39
	v_cmp_eq_u32_e32 vcc_lo, 0, v163
	s_and_b32 s23, s22, vcc_lo
	s_and_saveexec_b32 s22, s23
	s_cbranch_execz .LBB502_1074
; %bb.1073:                             ;   in Loop: Header=BB502_1032 Depth=2
	s_waitcnt lgkmcnt(0)
	v_bcnt_u32_b32 v39, v39, v162
	ds_write_b32 v164, v39 offset:544
.LBB502_1074:                           ;   in Loop: Header=BB502_1032 Depth=2
	s_or_b32 exec_lo, exec_lo, s22
	v_xor_b32_e32 v161, 0x7fffffff, v161
	; wave barrier
	v_lshrrev_b32_e32 v39, s41, v161
	v_and_b32_e32 v40, s62, v39
	v_and_b32_e32 v39, 1, v40
	v_lshlrev_b32_e32 v166, 30, v40
	v_lshlrev_b32_e32 v167, 29, v40
	v_lshlrev_b32_e32 v171, 28, v40
	v_lshlrev_b32_e32 v172, 27, v40
	v_add_co_u32 v39, s22, v39, -1
	v_cndmask_b32_e64 v168, 0, 1, s22
	v_not_b32_e32 v176, v166
	v_cmp_gt_i32_e64 s22, 0, v166
	v_not_b32_e32 v166, v167
	v_lshlrev_b32_e32 v173, 26, v40
	v_cmp_ne_u32_e32 vcc_lo, 0, v168
	v_ashrrev_i32_e32 v176, 31, v176
	v_lshlrev_b32_e32 v168, 25, v40
	v_ashrrev_i32_e32 v166, 31, v166
	v_xor_b32_e32 v39, vcc_lo, v39
	v_cmp_gt_i32_e32 vcc_lo, 0, v167
	v_not_b32_e32 v167, v171
	v_xor_b32_e32 v176, s22, v176
	v_cmp_gt_i32_e64 s22, 0, v171
	v_and_b32_e32 v39, exec_lo, v39
	v_not_b32_e32 v171, v172
	v_ashrrev_i32_e32 v167, 31, v167
	v_xor_b32_e32 v166, vcc_lo, v166
	v_cmp_gt_i32_e32 vcc_lo, 0, v172
	v_and_b32_e32 v39, v39, v176
	v_not_b32_e32 v172, v173
	v_ashrrev_i32_e32 v171, 31, v171
	v_xor_b32_e32 v167, s22, v167
	v_cmp_gt_i32_e64 s22, 0, v173
	v_and_b32_e32 v39, v39, v166
	v_not_b32_e32 v166, v168
	v_ashrrev_i32_e32 v172, 31, v172
	v_xor_b32_e32 v171, vcc_lo, v171
	v_cmp_gt_i32_e32 vcc_lo, 0, v168
	v_and_b32_e32 v39, v39, v167
	v_ashrrev_i32_e32 v166, 31, v166
	v_xor_b32_e32 v167, s22, v172
	v_mad_u32_u24 v168, v40, 36, v136
	v_mul_u32_u24_e32 v40, 36, v40
	v_and_b32_e32 v39, v39, v171
	v_xor_b32_e32 v171, vcc_lo, v166
	ds_read_b32 v166, v168 offset:544
	v_add_nc_u32_e32 v168, v136, v40
	v_and_b32_e32 v39, v39, v167
	; wave barrier
	v_and_b32_e32 v39, v39, v171
	v_mbcnt_lo_u32_b32 v167, v39, 0
	v_cmp_ne_u32_e64 s22, 0, v39
	v_cmp_eq_u32_e32 vcc_lo, 0, v167
	s_and_b32 s23, s22, vcc_lo
	s_and_saveexec_b32 s22, s23
	s_cbranch_execz .LBB502_1076
; %bb.1075:                             ;   in Loop: Header=BB502_1032 Depth=2
	s_waitcnt lgkmcnt(0)
	v_bcnt_u32_b32 v39, v39, v166
	ds_write_b32 v168, v39 offset:544
.LBB502_1076:                           ;   in Loop: Header=BB502_1032 Depth=2
	;; [unrolled: 63-line block ×9, first 2 shown]
	s_or_b32 exec_lo, exec_lo, s22
	v_xor_b32_e32 v183, 0x7fffffff, v183
	; wave barrier
	v_lshrrev_b32_e32 v39, s41, v183
	v_and_b32_e32 v40, s62, v39
	v_and_b32_e32 v39, 1, v40
	v_lshlrev_b32_e32 v200, 30, v40
	v_lshlrev_b32_e32 v201, 29, v40
	;; [unrolled: 1-line block ×4, first 2 shown]
	v_add_co_u32 v39, s22, v39, -1
	v_cndmask_b32_e64 v202, 0, 1, s22
	v_not_b32_e32 v206, v200
	v_cmp_gt_i32_e64 s22, 0, v200
	v_not_b32_e32 v200, v201
	v_lshlrev_b32_e32 v205, 26, v40
	v_cmp_ne_u32_e32 vcc_lo, 0, v202
	v_ashrrev_i32_e32 v206, 31, v206
	v_lshlrev_b32_e32 v202, 25, v40
	v_ashrrev_i32_e32 v200, 31, v200
	v_xor_b32_e32 v39, vcc_lo, v39
	v_cmp_gt_i32_e32 vcc_lo, 0, v201
	v_not_b32_e32 v201, v203
	v_xor_b32_e32 v206, s22, v206
	v_cmp_gt_i32_e64 s22, 0, v203
	v_and_b32_e32 v39, exec_lo, v39
	v_not_b32_e32 v203, v204
	v_ashrrev_i32_e32 v201, 31, v201
	v_xor_b32_e32 v200, vcc_lo, v200
	v_cmp_gt_i32_e32 vcc_lo, 0, v204
	v_and_b32_e32 v39, v39, v206
	v_not_b32_e32 v204, v205
	v_ashrrev_i32_e32 v203, 31, v203
	v_xor_b32_e32 v201, s22, v201
	v_cmp_gt_i32_e64 s22, 0, v205
	v_and_b32_e32 v39, v39, v200
	v_not_b32_e32 v200, v202
	v_ashrrev_i32_e32 v204, 31, v204
	v_xor_b32_e32 v203, vcc_lo, v203
	v_cmp_gt_i32_e32 vcc_lo, 0, v202
	v_and_b32_e32 v39, v39, v201
	v_ashrrev_i32_e32 v200, 31, v200
	v_xor_b32_e32 v201, s22, v204
	v_mad_u32_u24 v202, v40, 36, v136
	v_mul_u32_u24_e32 v40, 36, v40
	v_and_b32_e32 v39, v39, v203
	v_xor_b32_e32 v200, vcc_lo, v200
	v_add_nc_u32_e32 v203, v136, v40
	v_and_b32_e32 v39, v39, v201
	ds_read_b32 v201, v202 offset:544
	; wave barrier
	v_and_b32_e32 v39, v39, v200
	v_mbcnt_lo_u32_b32 v202, v39, 0
	v_cmp_ne_u32_e64 s22, 0, v39
	v_cmp_eq_u32_e32 vcc_lo, 0, v202
	s_and_b32 s23, s22, vcc_lo
	s_and_saveexec_b32 s22, s23
	s_cbranch_execz .LBB502_1092
; %bb.1091:                             ;   in Loop: Header=BB502_1032 Depth=2
	s_waitcnt lgkmcnt(0)
	v_bcnt_u32_b32 v39, v39, v201
	ds_write_b32 v203, v39 offset:544
.LBB502_1092:                           ;   in Loop: Header=BB502_1032 Depth=2
	s_or_b32 exec_lo, exec_lo, s22
	v_xor_b32_e32 v200, 0x7fffffff, v178
	; wave barrier
	v_lshrrev_b32_e32 v39, s41, v200
	v_and_b32_e32 v40, s62, v39
	v_and_b32_e32 v39, 1, v40
	v_lshlrev_b32_e32 v178, 30, v40
	v_lshlrev_b32_e32 v204, 29, v40
	v_lshlrev_b32_e32 v206, 28, v40
	v_lshlrev_b32_e32 v207, 27, v40
	v_add_co_u32 v39, s22, v39, -1
	v_cndmask_b32_e64 v205, 0, 1, s22
	v_not_b32_e32 v209, v178
	v_cmp_gt_i32_e64 s22, 0, v178
	v_not_b32_e32 v178, v204
	v_lshlrev_b32_e32 v208, 26, v40
	v_cmp_ne_u32_e32 vcc_lo, 0, v205
	v_ashrrev_i32_e32 v209, 31, v209
	v_lshlrev_b32_e32 v205, 25, v40
	v_ashrrev_i32_e32 v178, 31, v178
	v_xor_b32_e32 v39, vcc_lo, v39
	v_cmp_gt_i32_e32 vcc_lo, 0, v204
	v_not_b32_e32 v204, v206
	v_xor_b32_e32 v209, s22, v209
	v_cmp_gt_i32_e64 s22, 0, v206
	v_and_b32_e32 v39, exec_lo, v39
	v_not_b32_e32 v206, v207
	v_ashrrev_i32_e32 v204, 31, v204
	v_xor_b32_e32 v178, vcc_lo, v178
	v_cmp_gt_i32_e32 vcc_lo, 0, v207
	v_and_b32_e32 v39, v39, v209
	v_not_b32_e32 v207, v208
	v_ashrrev_i32_e32 v206, 31, v206
	v_xor_b32_e32 v204, s22, v204
	v_cmp_gt_i32_e64 s22, 0, v208
	v_and_b32_e32 v39, v39, v178
	v_not_b32_e32 v178, v205
	v_ashrrev_i32_e32 v207, 31, v207
	v_xor_b32_e32 v206, vcc_lo, v206
	v_cmp_gt_i32_e32 vcc_lo, 0, v205
	v_and_b32_e32 v39, v39, v204
	v_ashrrev_i32_e32 v178, 31, v178
	v_xor_b32_e32 v204, s22, v207
	v_mad_u32_u24 v205, v40, 36, v136
	v_mul_u32_u24_e32 v40, 36, v40
	v_and_b32_e32 v39, v39, v206
	v_xor_b32_e32 v178, vcc_lo, v178
	ds_read_b32 v205, v205 offset:544
	v_and_b32_e32 v39, v39, v204
	; wave barrier
	v_and_b32_e32 v39, v39, v178
	v_add_nc_u32_e32 v178, v136, v40
	v_mbcnt_lo_u32_b32 v206, v39, 0
	v_cmp_ne_u32_e64 s22, 0, v39
	v_cmp_eq_u32_e32 vcc_lo, 0, v206
	s_and_b32 s23, s22, vcc_lo
	s_and_saveexec_b32 s22, s23
	s_cbranch_execz .LBB502_1094
; %bb.1093:                             ;   in Loop: Header=BB502_1032 Depth=2
	s_waitcnt lgkmcnt(0)
	v_bcnt_u32_b32 v39, v39, v205
	ds_write_b32 v178, v39 offset:544
.LBB502_1094:                           ;   in Loop: Header=BB502_1032 Depth=2
	s_or_b32 exec_lo, exec_lo, s22
	v_xor_b32_e32 v204, 0x7fffffff, v174
	; wave barrier
	v_lshrrev_b32_e32 v39, s41, v204
	v_and_b32_e32 v40, s62, v39
	v_and_b32_e32 v39, 1, v40
	v_lshlrev_b32_e32 v174, 30, v40
	v_lshlrev_b32_e32 v207, 29, v40
	v_lshlrev_b32_e32 v209, 28, v40
	v_lshlrev_b32_e32 v210, 27, v40
	v_add_co_u32 v39, s22, v39, -1
	v_cndmask_b32_e64 v208, 0, 1, s22
	v_not_b32_e32 v212, v174
	v_cmp_gt_i32_e64 s22, 0, v174
	v_not_b32_e32 v174, v207
	v_lshlrev_b32_e32 v211, 26, v40
	v_cmp_ne_u32_e32 vcc_lo, 0, v208
	v_ashrrev_i32_e32 v212, 31, v212
	v_lshlrev_b32_e32 v208, 25, v40
	v_ashrrev_i32_e32 v174, 31, v174
	v_xor_b32_e32 v39, vcc_lo, v39
	v_cmp_gt_i32_e32 vcc_lo, 0, v207
	v_not_b32_e32 v207, v209
	v_xor_b32_e32 v212, s22, v212
	v_cmp_gt_i32_e64 s22, 0, v209
	v_and_b32_e32 v39, exec_lo, v39
	v_not_b32_e32 v209, v210
	v_ashrrev_i32_e32 v207, 31, v207
	v_xor_b32_e32 v174, vcc_lo, v174
	v_cmp_gt_i32_e32 vcc_lo, 0, v210
	v_and_b32_e32 v39, v39, v212
	v_not_b32_e32 v210, v211
	v_ashrrev_i32_e32 v209, 31, v209
	v_xor_b32_e32 v207, s22, v207
	v_cmp_gt_i32_e64 s22, 0, v211
	v_and_b32_e32 v39, v39, v174
	v_not_b32_e32 v174, v208
	v_ashrrev_i32_e32 v210, 31, v210
	v_xor_b32_e32 v209, vcc_lo, v209
	v_cmp_gt_i32_e32 vcc_lo, 0, v208
	v_and_b32_e32 v39, v39, v207
	v_ashrrev_i32_e32 v174, 31, v174
	v_xor_b32_e32 v207, s22, v210
	v_mad_u32_u24 v208, v40, 36, v136
	v_mul_u32_u24_e32 v40, 36, v40
	v_and_b32_e32 v39, v39, v209
	v_xor_b32_e32 v174, vcc_lo, v174
	ds_read_b32 v208, v208 offset:544
	v_and_b32_e32 v39, v39, v207
	; wave barrier
	v_and_b32_e32 v39, v39, v174
	v_add_nc_u32_e32 v174, v136, v40
	;; [unrolled: 63-line block ×3, first 2 shown]
	v_mbcnt_lo_u32_b32 v212, v39, 0
	v_cmp_ne_u32_e64 s22, 0, v39
	v_cmp_eq_u32_e32 vcc_lo, 0, v212
	s_and_b32 s23, s22, vcc_lo
	s_and_saveexec_b32 s22, s23
	s_cbranch_execz .LBB502_1098
; %bb.1097:                             ;   in Loop: Header=BB502_1032 Depth=2
	s_waitcnt lgkmcnt(0)
	v_bcnt_u32_b32 v39, v39, v211
	ds_write_b32 v169, v39 offset:544
.LBB502_1098:                           ;   in Loop: Header=BB502_1032 Depth=2
	s_or_b32 exec_lo, exec_lo, s22
	v_xor_b32_e32 v210, 0x7fffffff, v42
	; wave barrier
	v_lshrrev_b32_e32 v39, s41, v210
	v_and_b32_e32 v40, s62, v39
	v_and_b32_e32 v39, 1, v40
	v_lshlrev_b32_e32 v42, 30, v40
	v_lshlrev_b32_e32 v213, 29, v40
	;; [unrolled: 1-line block ×4, first 2 shown]
	v_add_co_u32 v39, s22, v39, -1
	v_cndmask_b32_e64 v214, 0, 1, s22
	v_not_b32_e32 v218, v42
	v_cmp_gt_i32_e64 s22, 0, v42
	v_not_b32_e32 v42, v213
	v_lshlrev_b32_e32 v217, 26, v40
	v_cmp_ne_u32_e32 vcc_lo, 0, v214
	v_ashrrev_i32_e32 v218, 31, v218
	v_lshlrev_b32_e32 v214, 25, v40
	v_ashrrev_i32_e32 v42, 31, v42
	v_xor_b32_e32 v39, vcc_lo, v39
	v_cmp_gt_i32_e32 vcc_lo, 0, v213
	v_not_b32_e32 v213, v215
	v_xor_b32_e32 v218, s22, v218
	v_cmp_gt_i32_e64 s22, 0, v215
	v_and_b32_e32 v39, exec_lo, v39
	v_not_b32_e32 v215, v216
	v_ashrrev_i32_e32 v213, 31, v213
	v_xor_b32_e32 v42, vcc_lo, v42
	v_cmp_gt_i32_e32 vcc_lo, 0, v216
	v_and_b32_e32 v39, v39, v218
	v_not_b32_e32 v216, v217
	v_ashrrev_i32_e32 v215, 31, v215
	v_xor_b32_e32 v213, s22, v213
	v_cmp_gt_i32_e64 s22, 0, v217
	v_and_b32_e32 v39, v39, v42
	v_not_b32_e32 v42, v214
	v_ashrrev_i32_e32 v216, 31, v216
	v_xor_b32_e32 v215, vcc_lo, v215
	v_cmp_gt_i32_e32 vcc_lo, 0, v214
	v_and_b32_e32 v39, v39, v213
	v_ashrrev_i32_e32 v42, 31, v42
	v_xor_b32_e32 v213, s22, v216
	v_mad_u32_u24 v214, v40, 36, v136
	v_mul_u32_u24_e32 v40, 36, v40
	v_and_b32_e32 v39, v39, v215
	v_xor_b32_e32 v42, vcc_lo, v42
	ds_read_b32 v214, v214 offset:544
	v_add_nc_u32_e32 v216, v136, v40
	v_and_b32_e32 v39, v39, v213
	; wave barrier
	v_and_b32_e32 v39, v39, v42
	v_mbcnt_lo_u32_b32 v215, v39, 0
	v_cmp_ne_u32_e64 s22, 0, v39
	v_cmp_eq_u32_e32 vcc_lo, 0, v215
	s_and_b32 s23, s22, vcc_lo
	s_and_saveexec_b32 s22, s23
	s_cbranch_execz .LBB502_1100
; %bb.1099:                             ;   in Loop: Header=BB502_1032 Depth=2
	s_waitcnt lgkmcnt(0)
	v_bcnt_u32_b32 v39, v39, v214
	ds_write_b32 v216, v39 offset:544
.LBB502_1100:                           ;   in Loop: Header=BB502_1032 Depth=2
	s_or_b32 exec_lo, exec_lo, s22
	v_xor_b32_e32 v213, 0x7fffffff, v41
	; wave barrier
	v_lshrrev_b32_e32 v39, s41, v213
	v_and_b32_e32 v40, s62, v39
	v_and_b32_e32 v39, 1, v40
	v_lshlrev_b32_e32 v41, 30, v40
	v_lshlrev_b32_e32 v42, 29, v40
	;; [unrolled: 1-line block ×4, first 2 shown]
	v_add_co_u32 v39, s22, v39, -1
	v_cndmask_b32_e64 v217, 0, 1, s22
	v_not_b32_e32 v221, v41
	v_cmp_gt_i32_e64 s22, 0, v41
	v_not_b32_e32 v41, v42
	v_lshlrev_b32_e32 v220, 26, v40
	v_cmp_ne_u32_e32 vcc_lo, 0, v217
	v_ashrrev_i32_e32 v221, 31, v221
	v_lshlrev_b32_e32 v217, 25, v40
	v_ashrrev_i32_e32 v41, 31, v41
	v_xor_b32_e32 v39, vcc_lo, v39
	v_cmp_gt_i32_e32 vcc_lo, 0, v42
	v_not_b32_e32 v42, v218
	v_xor_b32_e32 v221, s22, v221
	v_cmp_gt_i32_e64 s22, 0, v218
	v_and_b32_e32 v39, exec_lo, v39
	v_not_b32_e32 v218, v219
	v_ashrrev_i32_e32 v42, 31, v42
	v_xor_b32_e32 v41, vcc_lo, v41
	v_cmp_gt_i32_e32 vcc_lo, 0, v219
	v_and_b32_e32 v39, v39, v221
	v_not_b32_e32 v219, v220
	v_ashrrev_i32_e32 v218, 31, v218
	v_xor_b32_e32 v42, s22, v42
	v_cmp_gt_i32_e64 s22, 0, v220
	v_and_b32_e32 v39, v39, v41
	v_not_b32_e32 v41, v217
	v_ashrrev_i32_e32 v219, 31, v219
	v_xor_b32_e32 v218, vcc_lo, v218
	v_cmp_gt_i32_e32 vcc_lo, 0, v217
	v_and_b32_e32 v39, v39, v42
	v_ashrrev_i32_e32 v41, 31, v41
	v_xor_b32_e32 v42, s22, v219
	v_mad_u32_u24 v217, v40, 36, v136
	v_mul_u32_u24_e32 v40, 36, v40
	v_and_b32_e32 v39, v39, v218
	v_xor_b32_e32 v41, vcc_lo, v41
	ds_read_b32 v217, v217 offset:544
	v_add_nc_u32_e32 v219, v136, v40
	v_and_b32_e32 v39, v39, v42
	; wave barrier
	v_and_b32_e32 v39, v39, v41
	v_mbcnt_lo_u32_b32 v218, v39, 0
	v_cmp_ne_u32_e64 s22, 0, v39
	v_cmp_eq_u32_e32 vcc_lo, 0, v218
	s_and_b32 s23, s22, vcc_lo
	s_and_saveexec_b32 s22, s23
	s_cbranch_execz .LBB502_1102
; %bb.1101:                             ;   in Loop: Header=BB502_1032 Depth=2
	s_waitcnt lgkmcnt(0)
	v_bcnt_u32_b32 v39, v39, v217
	ds_write_b32 v219, v39 offset:544
.LBB502_1102:                           ;   in Loop: Header=BB502_1032 Depth=2
	s_or_b32 exec_lo, exec_lo, s22
	v_lshrrev_b32_e32 v39, s41, v3
	; wave barrier
	v_and_b32_e32 v40, s62, v39
	v_and_b32_e32 v39, 1, v40
	v_lshlrev_b32_e32 v41, 30, v40
	v_lshlrev_b32_e32 v42, 29, v40
	;; [unrolled: 1-line block ×4, first 2 shown]
	v_add_co_u32 v39, s22, v39, -1
	v_cndmask_b32_e64 v220, 0, 1, s22
	v_not_b32_e32 v224, v41
	v_cmp_gt_i32_e64 s22, 0, v41
	v_not_b32_e32 v41, v42
	v_lshlrev_b32_e32 v223, 26, v40
	v_cmp_ne_u32_e32 vcc_lo, 0, v220
	v_ashrrev_i32_e32 v224, 31, v224
	v_lshlrev_b32_e32 v220, 25, v40
	v_ashrrev_i32_e32 v41, 31, v41
	v_xor_b32_e32 v39, vcc_lo, v39
	v_cmp_gt_i32_e32 vcc_lo, 0, v42
	v_not_b32_e32 v42, v221
	v_xor_b32_e32 v224, s22, v224
	v_cmp_gt_i32_e64 s22, 0, v221
	v_and_b32_e32 v39, exec_lo, v39
	v_not_b32_e32 v221, v222
	v_ashrrev_i32_e32 v42, 31, v42
	v_xor_b32_e32 v41, vcc_lo, v41
	v_cmp_gt_i32_e32 vcc_lo, 0, v222
	v_and_b32_e32 v39, v39, v224
	v_not_b32_e32 v222, v223
	v_ashrrev_i32_e32 v221, 31, v221
	v_xor_b32_e32 v42, s22, v42
	v_cmp_gt_i32_e64 s22, 0, v223
	v_and_b32_e32 v39, v39, v41
	v_not_b32_e32 v41, v220
	v_ashrrev_i32_e32 v222, 31, v222
	v_xor_b32_e32 v221, vcc_lo, v221
	v_cmp_gt_i32_e32 vcc_lo, 0, v220
	v_and_b32_e32 v39, v39, v42
	v_ashrrev_i32_e32 v41, 31, v41
	v_xor_b32_e32 v42, s22, v222
	v_mad_u32_u24 v220, v40, 36, v136
	v_mul_u32_u24_e32 v40, 36, v40
	v_and_b32_e32 v39, v39, v221
	v_xor_b32_e32 v41, vcc_lo, v41
	ds_read_b32 v220, v220 offset:544
	v_add_nc_u32_e32 v222, v136, v40
	v_and_b32_e32 v39, v39, v42
	; wave barrier
	v_and_b32_e32 v39, v39, v41
	v_mbcnt_lo_u32_b32 v221, v39, 0
	v_cmp_ne_u32_e64 s22, 0, v39
	v_cmp_eq_u32_e32 vcc_lo, 0, v221
	s_and_b32 s23, s22, vcc_lo
	s_and_saveexec_b32 s22, s23
	s_cbranch_execz .LBB502_1104
; %bb.1103:                             ;   in Loop: Header=BB502_1032 Depth=2
	s_waitcnt lgkmcnt(0)
	v_bcnt_u32_b32 v39, v39, v220
	ds_write_b32 v222, v39 offset:544
.LBB502_1104:                           ;   in Loop: Header=BB502_1032 Depth=2
	s_or_b32 exec_lo, exec_lo, s22
	; wave barrier
	s_waitcnt lgkmcnt(0)
	s_barrier
	buffer_gl0_inv
	ds_read2_b32 v[41:42], v68 offset0:136 offset1:137
	ds_read2_b32 v[39:40], v68 offset0:138 offset1:139
	ds_read_b32 v223, v68 offset:560
	s_waitcnt lgkmcnt(1)
	v_add3_u32 v224, v42, v41, v39
	s_waitcnt lgkmcnt(0)
	v_add3_u32 v223, v224, v40, v223
	v_mov_b32_dpp v224, v223 row_shr:1 row_mask:0xf bank_mask:0xf
	v_cndmask_b32_e64 v224, v224, 0, s5
	v_add_nc_u32_e32 v223, v224, v223
	v_mov_b32_dpp v224, v223 row_shr:2 row_mask:0xf bank_mask:0xf
	v_cndmask_b32_e64 v224, 0, v224, s15
	v_add_nc_u32_e32 v223, v223, v224
	;; [unrolled: 3-line block ×4, first 2 shown]
	ds_swizzle_b32 v224, v223 offset:swizzle(BROADCAST,32,15)
	s_waitcnt lgkmcnt(0)
	v_cndmask_b32_e64 v224, v224, 0, s18
	v_add_nc_u32_e32 v223, v223, v224
	s_and_saveexec_b32 s22, s4
; %bb.1105:                             ;   in Loop: Header=BB502_1032 Depth=2
	ds_write_b32 v62, v223 offset:512
; %bb.1106:                             ;   in Loop: Header=BB502_1032 Depth=2
	s_or_b32 exec_lo, exec_lo, s22
	s_waitcnt lgkmcnt(0)
	s_barrier
	buffer_gl0_inv
	s_and_saveexec_b32 s22, s11
	s_cbranch_execz .LBB502_1108
; %bb.1107:                             ;   in Loop: Header=BB502_1032 Depth=2
	ds_read_b32 v224, v69 offset:512
	s_waitcnt lgkmcnt(0)
	v_mov_b32_dpp v225, v224 row_shr:1 row_mask:0xf bank_mask:0xf
	v_cndmask_b32_e64 v225, v225, 0, s19
	v_add_nc_u32_e32 v224, v225, v224
	v_mov_b32_dpp v225, v224 row_shr:2 row_mask:0xf bank_mask:0xf
	v_cndmask_b32_e64 v225, 0, v225, s20
	v_add_nc_u32_e32 v224, v224, v225
	v_mov_b32_dpp v225, v224 row_shr:4 row_mask:0xf bank_mask:0xf
	v_cndmask_b32_e64 v225, 0, v225, s21
	v_add_nc_u32_e32 v224, v224, v225
	ds_write_b32 v69, v224 offset:512
.LBB502_1108:                           ;   in Loop: Header=BB502_1032 Depth=2
	s_or_b32 exec_lo, exec_lo, s22
	v_mov_b32_e32 v224, 0
	s_waitcnt lgkmcnt(0)
	s_barrier
	buffer_gl0_inv
	s_and_saveexec_b32 s22, s10
; %bb.1109:                             ;   in Loop: Header=BB502_1032 Depth=2
	ds_read_b32 v224, v62 offset:508
; %bb.1110:                             ;   in Loop: Header=BB502_1032 Depth=2
	s_or_b32 exec_lo, exec_lo, s22
	s_waitcnt lgkmcnt(0)
	v_add_nc_u32_e32 v223, v224, v223
	ds_bpermute_b32 v223, v131, v223
	s_waitcnt lgkmcnt(0)
	v_cndmask_b32_e64 v223, v223, v224, s14
	v_cndmask_b32_e64 v223, v223, 0, s12
	v_add_nc_u32_e32 v41, v223, v41
	v_add_nc_u32_e32 v42, v41, v42
	;; [unrolled: 1-line block ×4, first 2 shown]
	ds_write2_b32 v68, v223, v41 offset0:136 offset1:137
	ds_write2_b32 v68, v42, v39 offset0:138 offset1:139
	ds_write_b32 v68, v40 offset:560
	s_waitcnt lgkmcnt(0)
	s_barrier
	buffer_gl0_inv
	ds_read_b32 v41, v160 offset:544
	ds_read_b32 v42, v164 offset:544
	;; [unrolled: 1-line block ×17, first 2 shown]
	s_and_saveexec_b32 s22, s7
	s_cbranch_execz .LBB502_1114
; %bb.1111:                             ;   in Loop: Header=BB502_1032 Depth=2
	ds_read_b32 v152, v71 offset:544
	v_mov_b32_e32 v155, 0x1100
	s_and_saveexec_b32 s23, s13
; %bb.1112:                             ;   in Loop: Header=BB502_1032 Depth=2
	ds_read_b32 v155, v70 offset:544
; %bb.1113:                             ;   in Loop: Header=BB502_1032 Depth=2
	s_or_b32 exec_lo, exec_lo, s23
	s_waitcnt lgkmcnt(0)
	v_sub_nc_u32_e32 v155, v155, v152
.LBB502_1114:                           ;   in Loop: Header=BB502_1032 Depth=2
	s_or_b32 exec_lo, exec_lo, s22
	s_waitcnt lgkmcnt(0)
	s_barrier
	buffer_gl0_inv
	s_and_saveexec_b32 s22, s7
	s_cbranch_execz .LBB502_1116
; %bb.1115:                             ;   in Loop: Header=BB502_1032 Depth=2
	ds_read_b32 v169, v43
	s_waitcnt lgkmcnt(0)
	v_sub_nc_u32_e32 v169, v169, v152
	ds_write_b32 v43, v169
.LBB502_1116:                           ;   in Loop: Header=BB502_1032 Depth=2
	s_or_b32 exec_lo, exec_lo, s22
	v_add_nc_u32_e32 v179, v41, v159
	v_add3_u32 v178, v163, v162, v42
	v_add3_u32 v174, v167, v166, v164
	;; [unrolled: 1-line block ×5, first 2 shown]
	v_lshlrev_b32_e32 v176, 2, v179
	v_lshlrev_b32_e32 v177, 2, v178
	v_add3_u32 v162, v218, v217, v39
	v_lshlrev_b32_e32 v39, 2, v174
	v_add3_u32 v171, v182, v181, v184
	v_add3_u32 v168, v192, v191, v193
	;; [unrolled: 1-line block ×4, first 2 shown]
	ds_write_b32 v176, v157 offset:512
	ds_write_b32 v177, v158 offset:512
	v_lshlrev_b32_e32 v40, 2, v173
	ds_write_b32 v39, v161 offset:512
	v_lshlrev_b32_e32 v39, 2, v169
	v_add3_u32 v166, v198, v197, v199
	v_lshlrev_b32_e32 v157, 2, v172
	v_add3_u32 v164, v202, v201, v203
	;; [unrolled: 2-line block ×3, first 2 shown]
	v_add3_u32 v42, v209, v208, v225
	ds_write_b32 v40, v165 offset:512
	ds_write_b32 v157, v170 offset:512
	;; [unrolled: 1-line block ×3, first 2 shown]
	v_lshlrev_b32_e32 v40, 2, v168
	ds_write_b32 v39, v180 offset:512
	v_lshlrev_b32_e32 v39, 2, v167
	v_lshlrev_b32_e32 v157, 2, v166
	;; [unrolled: 1-line block ×3, first 2 shown]
	v_add3_u32 v41, v212, v211, v226
	ds_write_b32 v40, v185 offset:512
	v_lshlrev_b32_e32 v40, 2, v163
	ds_write_b32 v39, v190 offset:512
	ds_write_b32 v157, v188 offset:512
	;; [unrolled: 1-line block ×3, first 2 shown]
	v_lshlrev_b32_e32 v39, 2, v42
	v_add3_u32 v160, v215, v214, v160
	v_cmp_lt_u32_e32 vcc_lo, v0, v156
	ds_write_b32 v40, v200 offset:512
	v_lshlrev_b32_e32 v40, 2, v41
	ds_write_b32 v39, v204 offset:512
	v_lshlrev_b32_e32 v39, 2, v159
	v_lshlrev_b32_e32 v157, 2, v160
	;; [unrolled: 1-line block ×3, first 2 shown]
	ds_write_b32 v40, v207 offset:512
	ds_write_b32 v157, v210 offset:512
	ds_write_b32 v158, v213 offset:512
	ds_write_b32 v39, v3 offset:512
	s_waitcnt lgkmcnt(0)
	s_barrier
	buffer_gl0_inv
	s_and_saveexec_b32 s23, vcc_lo
	s_cbranch_execnz .LBB502_1189
; %bb.1117:                             ;   in Loop: Header=BB502_1032 Depth=2
	s_or_b32 exec_lo, exec_lo, s23
	v_cmp_lt_u32_e64 s22, v44, v156
	s_and_saveexec_b32 s24, s22
	s_cbranch_execnz .LBB502_1190
.LBB502_1118:                           ;   in Loop: Header=BB502_1032 Depth=2
	s_or_b32 exec_lo, exec_lo, s24
	v_cmp_lt_u32_e64 s23, v47, v156
	s_and_saveexec_b32 s25, s23
	s_cbranch_execnz .LBB502_1191
.LBB502_1119:                           ;   in Loop: Header=BB502_1032 Depth=2
	s_or_b32 exec_lo, exec_lo, s25
	v_cmp_lt_u32_e64 s24, v48, v156
	s_and_saveexec_b32 s26, s24
	s_cbranch_execnz .LBB502_1192
.LBB502_1120:                           ;   in Loop: Header=BB502_1032 Depth=2
	s_or_b32 exec_lo, exec_lo, s26
	v_cmp_lt_u32_e64 s25, v49, v156
	s_and_saveexec_b32 s27, s25
	s_cbranch_execnz .LBB502_1193
.LBB502_1121:                           ;   in Loop: Header=BB502_1032 Depth=2
	s_or_b32 exec_lo, exec_lo, s27
	v_cmp_lt_u32_e64 s26, v50, v156
	s_and_saveexec_b32 s29, s26
	s_cbranch_execnz .LBB502_1194
.LBB502_1122:                           ;   in Loop: Header=BB502_1032 Depth=2
	s_or_b32 exec_lo, exec_lo, s29
	v_cmp_lt_u32_e64 s27, v51, v156
	s_and_saveexec_b32 s30, s27
	s_cbranch_execnz .LBB502_1195
.LBB502_1123:                           ;   in Loop: Header=BB502_1032 Depth=2
	s_or_b32 exec_lo, exec_lo, s30
	v_cmp_lt_u32_e64 s29, v52, v156
	s_and_saveexec_b32 s31, s29
	s_cbranch_execnz .LBB502_1196
.LBB502_1124:                           ;   in Loop: Header=BB502_1032 Depth=2
	s_or_b32 exec_lo, exec_lo, s31
	v_cmp_lt_u32_e64 s30, v53, v156
	s_and_saveexec_b32 s33, s30
	s_cbranch_execnz .LBB502_1197
.LBB502_1125:                           ;   in Loop: Header=BB502_1032 Depth=2
	s_or_b32 exec_lo, exec_lo, s33
	v_cmp_lt_u32_e64 s31, v54, v156
	s_and_saveexec_b32 s34, s31
	s_cbranch_execnz .LBB502_1198
.LBB502_1126:                           ;   in Loop: Header=BB502_1032 Depth=2
	s_or_b32 exec_lo, exec_lo, s34
	v_cmp_lt_u32_e64 s33, v55, v156
	s_and_saveexec_b32 s35, s33
	s_cbranch_execnz .LBB502_1199
.LBB502_1127:                           ;   in Loop: Header=BB502_1032 Depth=2
	s_or_b32 exec_lo, exec_lo, s35
	v_cmp_lt_u32_e64 s34, v56, v156
	s_and_saveexec_b32 s36, s34
	s_cbranch_execnz .LBB502_1200
.LBB502_1128:                           ;   in Loop: Header=BB502_1032 Depth=2
	s_or_b32 exec_lo, exec_lo, s36
	v_cmp_lt_u32_e64 s35, v57, v156
	s_and_saveexec_b32 s37, s35
	s_cbranch_execnz .LBB502_1201
.LBB502_1129:                           ;   in Loop: Header=BB502_1032 Depth=2
	s_or_b32 exec_lo, exec_lo, s37
	v_cmp_lt_u32_e64 s36, v58, v156
	s_and_saveexec_b32 s38, s36
	s_cbranch_execnz .LBB502_1202
.LBB502_1130:                           ;   in Loop: Header=BB502_1032 Depth=2
	s_or_b32 exec_lo, exec_lo, s38
	v_cmp_lt_u32_e64 s37, v59, v156
	s_and_saveexec_b32 s39, s37
	s_cbranch_execnz .LBB502_1203
.LBB502_1131:                           ;   in Loop: Header=BB502_1032 Depth=2
	s_or_b32 exec_lo, exec_lo, s39
	v_cmp_lt_u32_e64 s38, v60, v156
	s_and_saveexec_b32 s40, s38
	s_cbranch_execnz .LBB502_1204
.LBB502_1132:                           ;   in Loop: Header=BB502_1032 Depth=2
	s_or_b32 exec_lo, exec_lo, s40
	v_cmp_lt_u32_e64 s39, v61, v156
	s_and_saveexec_b32 s65, s39
	s_cbranch_execz .LBB502_1134
.LBB502_1133:                           ;   in Loop: Header=BB502_1032 Depth=2
	ds_read_b32 v157, v69 offset:16896
	s_waitcnt lgkmcnt(0)
	v_lshrrev_b32_e32 v3, s41, v157
	v_and_b32_e32 v3, s62, v3
	v_lshlrev_b32_e32 v3, 2, v3
	ds_read_b32 v3, v3
	s_waitcnt lgkmcnt(0)
	v_add_nc_u32_e32 v3, v3, v61
	v_lshlrev_b64 v[39:40], 2, v[3:4]
	v_xor_b32_e32 v3, 0x7fffffff, v157
	v_add_co_u32 v39, s40, s48, v39
	v_add_co_ci_u32_e64 v40, null, s49, v40, s40
	global_store_dword v[39:40], v3, off
.LBB502_1134:                           ;   in Loop: Header=BB502_1032 Depth=2
	s_or_b32 exec_lo, exec_lo, s65
	s_lshl_b64 s[66:67], s[50:51], 3
	v_add_co_u32 v39, s40, v132, s66
	v_add_co_ci_u32_e64 v40, null, s67, v133, s40
	v_cmp_lt_u32_e64 s40, v109, v156
	s_and_saveexec_b32 s50, s40
	s_xor_b32 s40, exec_lo, s50
	s_cbranch_execnz .LBB502_1205
; %bb.1135:                             ;   in Loop: Header=BB502_1032 Depth=2
	s_or_b32 exec_lo, exec_lo, s40
	s_mov_b32 s50, exec_lo
	v_cmpx_lt_u32_e64 v112, v156
	s_cbranch_execnz .LBB502_1206
.LBB502_1136:                           ;   in Loop: Header=BB502_1032 Depth=2
	s_or_b32 exec_lo, exec_lo, s50
	s_mov_b32 s50, exec_lo
	v_cmpx_lt_u32_e64 v113, v156
	s_cbranch_execnz .LBB502_1207
.LBB502_1137:                           ;   in Loop: Header=BB502_1032 Depth=2
	s_or_b32 exec_lo, exec_lo, s50
	s_mov_b32 s50, exec_lo
	v_cmpx_lt_u32_e64 v114, v156
	s_cbranch_execnz .LBB502_1208
.LBB502_1138:                           ;   in Loop: Header=BB502_1032 Depth=2
	s_or_b32 exec_lo, exec_lo, s50
	s_mov_b32 s50, exec_lo
	v_cmpx_lt_u32_e64 v115, v156
	s_cbranch_execnz .LBB502_1209
.LBB502_1139:                           ;   in Loop: Header=BB502_1032 Depth=2
	s_or_b32 exec_lo, exec_lo, s50
	s_mov_b32 s50, exec_lo
	v_cmpx_lt_u32_e64 v116, v156
	s_cbranch_execnz .LBB502_1210
.LBB502_1140:                           ;   in Loop: Header=BB502_1032 Depth=2
	s_or_b32 exec_lo, exec_lo, s50
	s_mov_b32 s50, exec_lo
	v_cmpx_lt_u32_e64 v117, v156
	s_cbranch_execnz .LBB502_1211
.LBB502_1141:                           ;   in Loop: Header=BB502_1032 Depth=2
	s_or_b32 exec_lo, exec_lo, s50
	s_mov_b32 s50, exec_lo
	v_cmpx_lt_u32_e64 v118, v156
	s_cbranch_execnz .LBB502_1212
.LBB502_1142:                           ;   in Loop: Header=BB502_1032 Depth=2
	s_or_b32 exec_lo, exec_lo, s50
	s_mov_b32 s50, exec_lo
	v_cmpx_lt_u32_e64 v119, v156
	s_cbranch_execnz .LBB502_1213
.LBB502_1143:                           ;   in Loop: Header=BB502_1032 Depth=2
	s_or_b32 exec_lo, exec_lo, s50
	s_mov_b32 s50, exec_lo
	v_cmpx_lt_u32_e64 v120, v156
	s_cbranch_execnz .LBB502_1214
.LBB502_1144:                           ;   in Loop: Header=BB502_1032 Depth=2
	s_or_b32 exec_lo, exec_lo, s50
	s_mov_b32 s50, exec_lo
	v_cmpx_lt_u32_e64 v121, v156
	s_cbranch_execnz .LBB502_1215
.LBB502_1145:                           ;   in Loop: Header=BB502_1032 Depth=2
	s_or_b32 exec_lo, exec_lo, s50
	s_mov_b32 s50, exec_lo
	v_cmpx_lt_u32_e64 v122, v156
	s_cbranch_execnz .LBB502_1216
.LBB502_1146:                           ;   in Loop: Header=BB502_1032 Depth=2
	s_or_b32 exec_lo, exec_lo, s50
	s_mov_b32 s50, exec_lo
	v_cmpx_lt_u32_e64 v123, v156
	s_cbranch_execnz .LBB502_1217
.LBB502_1147:                           ;   in Loop: Header=BB502_1032 Depth=2
	s_or_b32 exec_lo, exec_lo, s50
	s_mov_b32 s50, exec_lo
	v_cmpx_lt_u32_e64 v124, v156
	s_cbranch_execnz .LBB502_1218
.LBB502_1148:                           ;   in Loop: Header=BB502_1032 Depth=2
	s_or_b32 exec_lo, exec_lo, s50
	s_mov_b32 s50, exec_lo
	v_cmpx_lt_u32_e64 v126, v156
	s_cbranch_execnz .LBB502_1219
.LBB502_1149:                           ;   in Loop: Header=BB502_1032 Depth=2
	s_or_b32 exec_lo, exec_lo, s50
	s_mov_b32 s50, exec_lo
	v_cmpx_lt_u32_e64 v127, v156
	s_cbranch_execnz .LBB502_1220
.LBB502_1150:                           ;   in Loop: Header=BB502_1032 Depth=2
	s_or_b32 exec_lo, exec_lo, s50
	s_mov_b32 s50, exec_lo
	v_cmpx_lt_u32_e64 v128, v156
	s_cbranch_execnz .LBB502_1221
.LBB502_1151:                           ;   in Loop: Header=BB502_1032 Depth=2
	s_or_b32 exec_lo, exec_lo, s50
	s_and_saveexec_b32 s40, vcc_lo
	s_cbranch_execnz .LBB502_1222
.LBB502_1152:                           ;   in Loop: Header=BB502_1032 Depth=2
	s_or_b32 exec_lo, exec_lo, s40
	s_and_saveexec_b32 s40, s22
	s_cbranch_execnz .LBB502_1223
.LBB502_1153:                           ;   in Loop: Header=BB502_1032 Depth=2
	s_or_b32 exec_lo, exec_lo, s40
	s_and_saveexec_b32 s40, s23
	s_cbranch_execnz .LBB502_1224
.LBB502_1154:                           ;   in Loop: Header=BB502_1032 Depth=2
	s_or_b32 exec_lo, exec_lo, s40
	s_and_saveexec_b32 s40, s24
	s_cbranch_execnz .LBB502_1225
.LBB502_1155:                           ;   in Loop: Header=BB502_1032 Depth=2
	s_or_b32 exec_lo, exec_lo, s40
	s_and_saveexec_b32 s40, s25
	s_cbranch_execnz .LBB502_1226
.LBB502_1156:                           ;   in Loop: Header=BB502_1032 Depth=2
	s_or_b32 exec_lo, exec_lo, s40
	s_and_saveexec_b32 s40, s26
	s_cbranch_execnz .LBB502_1227
.LBB502_1157:                           ;   in Loop: Header=BB502_1032 Depth=2
	s_or_b32 exec_lo, exec_lo, s40
	s_and_saveexec_b32 s40, s27
	s_cbranch_execnz .LBB502_1228
.LBB502_1158:                           ;   in Loop: Header=BB502_1032 Depth=2
	s_or_b32 exec_lo, exec_lo, s40
	s_and_saveexec_b32 s40, s29
	s_cbranch_execnz .LBB502_1229
.LBB502_1159:                           ;   in Loop: Header=BB502_1032 Depth=2
	s_or_b32 exec_lo, exec_lo, s40
	s_and_saveexec_b32 s40, s30
	s_cbranch_execnz .LBB502_1230
.LBB502_1160:                           ;   in Loop: Header=BB502_1032 Depth=2
	s_or_b32 exec_lo, exec_lo, s40
	s_and_saveexec_b32 s40, s31
	s_cbranch_execnz .LBB502_1231
.LBB502_1161:                           ;   in Loop: Header=BB502_1032 Depth=2
	s_or_b32 exec_lo, exec_lo, s40
	s_and_saveexec_b32 s40, s33
	s_cbranch_execnz .LBB502_1232
.LBB502_1162:                           ;   in Loop: Header=BB502_1032 Depth=2
	s_or_b32 exec_lo, exec_lo, s40
	s_and_saveexec_b32 s40, s34
	s_cbranch_execnz .LBB502_1233
.LBB502_1163:                           ;   in Loop: Header=BB502_1032 Depth=2
	s_or_b32 exec_lo, exec_lo, s40
	s_and_saveexec_b32 s40, s35
	s_cbranch_execnz .LBB502_1234
.LBB502_1164:                           ;   in Loop: Header=BB502_1032 Depth=2
	s_or_b32 exec_lo, exec_lo, s40
	s_and_saveexec_b32 s40, s36
	s_cbranch_execnz .LBB502_1235
.LBB502_1165:                           ;   in Loop: Header=BB502_1032 Depth=2
	s_or_b32 exec_lo, exec_lo, s40
	s_and_saveexec_b32 s40, s37
	s_cbranch_execnz .LBB502_1236
.LBB502_1166:                           ;   in Loop: Header=BB502_1032 Depth=2
	s_or_b32 exec_lo, exec_lo, s40
	s_and_saveexec_b32 s40, s38
	s_cbranch_execnz .LBB502_1237
.LBB502_1167:                           ;   in Loop: Header=BB502_1032 Depth=2
	s_or_b32 exec_lo, exec_lo, s40
	s_and_saveexec_b32 s40, s39
	s_cbranch_execz .LBB502_1169
.LBB502_1168:                           ;   in Loop: Header=BB502_1032 Depth=2
	ds_read_b32 v3, v69 offset:16896
	s_waitcnt lgkmcnt(0)
	v_lshrrev_b32_e32 v3, s41, v3
	v_and_b32_e32 v137, s62, v3
.LBB502_1169:                           ;   in Loop: Header=BB502_1032 Depth=2
	s_or_b32 exec_lo, exec_lo, s40
	v_lshlrev_b32_e32 v3, 3, v179
	v_lshlrev_b32_e32 v39, 3, v178
	s_waitcnt vmcnt(0)
	s_waitcnt_vscnt null, 0x0
	s_barrier
	buffer_gl0_inv
	ds_write_b64 v3, v[37:38] offset:512
	v_lshlrev_b32_e32 v3, 3, v174
	ds_write_b64 v39, v[35:36] offset:512
	v_lshlrev_b32_e32 v39, 3, v173
	v_lshlrev_b32_e32 v40, 3, v172
	;; [unrolled: 1-line block ×3, first 2 shown]
	ds_write_b64 v3, v[33:34] offset:512
	v_lshlrev_b32_e32 v3, 3, v169
	ds_write_b64 v39, v[31:32] offset:512
	ds_write_b64 v40, v[29:30] offset:512
	;; [unrolled: 1-line block ×3, first 2 shown]
	v_lshlrev_b32_e32 v39, 3, v168
	v_lshlrev_b32_e32 v40, 3, v166
	;; [unrolled: 1-line block ×3, first 2 shown]
	ds_write_b64 v3, v[21:22] offset:512
	v_lshlrev_b32_e32 v3, 3, v167
	ds_write_b64 v39, v[17:18] offset:512
	v_lshlrev_b32_e32 v39, 3, v163
	ds_write_b64 v3, v[27:28] offset:512
	ds_write_b64 v40, v[23:24] offset:512
	;; [unrolled: 1-line block ×3, first 2 shown]
	v_lshlrev_b32_e32 v3, 3, v42
	ds_write_b64 v39, v[15:16] offset:512
	v_lshlrev_b32_e32 v39, 3, v41
	v_lshlrev_b32_e32 v40, 3, v160
	;; [unrolled: 1-line block ×3, first 2 shown]
	ds_write_b64 v3, v[13:14] offset:512
	v_lshlrev_b32_e32 v3, 3, v159
	ds_write_b64 v39, v[11:12] offset:512
	ds_write_b64 v40, v[9:10] offset:512
	;; [unrolled: 1-line block ×3, first 2 shown]
	v_add_nc_u32_e32 v39, v69, v43
	ds_write_b64 v3, v[5:6] offset:512
	s_waitcnt lgkmcnt(0)
	s_barrier
	buffer_gl0_inv
	s_and_saveexec_b32 s40, vcc_lo
	s_cbranch_execnz .LBB502_1238
; %bb.1170:                             ;   in Loop: Header=BB502_1032 Depth=2
	s_or_b32 exec_lo, exec_lo, s40
	s_and_saveexec_b32 s40, s22
	s_cbranch_execnz .LBB502_1239
.LBB502_1171:                           ;   in Loop: Header=BB502_1032 Depth=2
	s_or_b32 exec_lo, exec_lo, s40
	s_and_saveexec_b32 s22, s23
	s_cbranch_execnz .LBB502_1240
.LBB502_1172:                           ;   in Loop: Header=BB502_1032 Depth=2
	s_or_b32 exec_lo, exec_lo, s22
	s_and_saveexec_b32 s22, s24
	s_cbranch_execnz .LBB502_1241
.LBB502_1173:                           ;   in Loop: Header=BB502_1032 Depth=2
	s_or_b32 exec_lo, exec_lo, s22
	s_and_saveexec_b32 s22, s25
	s_cbranch_execnz .LBB502_1242
.LBB502_1174:                           ;   in Loop: Header=BB502_1032 Depth=2
	s_or_b32 exec_lo, exec_lo, s22
	s_and_saveexec_b32 s22, s26
	s_cbranch_execnz .LBB502_1243
.LBB502_1175:                           ;   in Loop: Header=BB502_1032 Depth=2
	s_or_b32 exec_lo, exec_lo, s22
	s_and_saveexec_b32 s22, s27
	s_cbranch_execnz .LBB502_1244
.LBB502_1176:                           ;   in Loop: Header=BB502_1032 Depth=2
	s_or_b32 exec_lo, exec_lo, s22
	s_and_saveexec_b32 s22, s29
	s_cbranch_execnz .LBB502_1245
.LBB502_1177:                           ;   in Loop: Header=BB502_1032 Depth=2
	s_or_b32 exec_lo, exec_lo, s22
	s_and_saveexec_b32 s22, s30
	s_cbranch_execnz .LBB502_1246
.LBB502_1178:                           ;   in Loop: Header=BB502_1032 Depth=2
	s_or_b32 exec_lo, exec_lo, s22
	s_and_saveexec_b32 s22, s31
	s_cbranch_execnz .LBB502_1247
.LBB502_1179:                           ;   in Loop: Header=BB502_1032 Depth=2
	s_or_b32 exec_lo, exec_lo, s22
	s_and_saveexec_b32 s22, s33
	s_cbranch_execnz .LBB502_1248
.LBB502_1180:                           ;   in Loop: Header=BB502_1032 Depth=2
	s_or_b32 exec_lo, exec_lo, s22
	s_and_saveexec_b32 s22, s34
	s_cbranch_execnz .LBB502_1249
.LBB502_1181:                           ;   in Loop: Header=BB502_1032 Depth=2
	s_or_b32 exec_lo, exec_lo, s22
	s_and_saveexec_b32 s22, s35
	s_cbranch_execnz .LBB502_1250
.LBB502_1182:                           ;   in Loop: Header=BB502_1032 Depth=2
	s_or_b32 exec_lo, exec_lo, s22
	s_and_saveexec_b32 s22, s36
	s_cbranch_execnz .LBB502_1251
.LBB502_1183:                           ;   in Loop: Header=BB502_1032 Depth=2
	s_or_b32 exec_lo, exec_lo, s22
	s_and_saveexec_b32 s22, s37
	s_cbranch_execnz .LBB502_1252
.LBB502_1184:                           ;   in Loop: Header=BB502_1032 Depth=2
	s_or_b32 exec_lo, exec_lo, s22
	s_and_saveexec_b32 s22, s38
	s_cbranch_execnz .LBB502_1253
.LBB502_1185:                           ;   in Loop: Header=BB502_1032 Depth=2
	s_or_b32 exec_lo, exec_lo, s22
	s_and_saveexec_b32 s22, s39
	s_cbranch_execz .LBB502_1187
.LBB502_1186:                           ;   in Loop: Header=BB502_1032 Depth=2
	v_lshlrev_b32_e32 v3, 2, v137
	ds_read_b32 v3, v3
	ds_read_b64 v[39:40], v39 offset:33280
	s_waitcnt lgkmcnt(1)
	v_add_nc_u32_e32 v3, v3, v61
	v_lshlrev_b64 v[41:42], 3, v[3:4]
	v_add_co_u32 v41, vcc_lo, s54, v41
	v_add_co_ci_u32_e64 v42, null, s55, v42, vcc_lo
	s_waitcnt lgkmcnt(0)
	global_store_dwordx2 v[41:42], v[39:40], off
.LBB502_1187:                           ;   in Loop: Header=BB502_1032 Depth=2
	s_or_b32 exec_lo, exec_lo, s22
	s_waitcnt_vscnt null, 0x0
	s_barrier
	buffer_gl0_inv
	s_and_saveexec_b32 s22, s7
	s_cbranch_execz .LBB502_1031
; %bb.1188:                             ;   in Loop: Header=BB502_1032 Depth=2
	ds_read_b32 v3, v43
	s_waitcnt lgkmcnt(0)
	v_add3_u32 v3, v152, v155, v3
	ds_write_b32 v43, v3
	s_branch .LBB502_1031
.LBB502_1189:                           ;   in Loop: Header=BB502_1032 Depth=2
	ds_read_b32 v157, v69 offset:512
	s_waitcnt lgkmcnt(0)
	v_lshrrev_b32_e32 v3, s41, v157
	v_and_b32_e32 v3, s62, v3
	v_lshlrev_b32_e32 v3, 2, v3
	ds_read_b32 v3, v3
	s_waitcnt lgkmcnt(0)
	v_add_nc_u32_e32 v3, v3, v0
	v_lshlrev_b64 v[39:40], 2, v[3:4]
	v_xor_b32_e32 v3, 0x7fffffff, v157
	v_add_co_u32 v39, s22, s48, v39
	v_add_co_ci_u32_e64 v40, null, s49, v40, s22
	global_store_dword v[39:40], v3, off
	s_or_b32 exec_lo, exec_lo, s23
	v_cmp_lt_u32_e64 s22, v44, v156
	s_and_saveexec_b32 s24, s22
	s_cbranch_execz .LBB502_1118
.LBB502_1190:                           ;   in Loop: Header=BB502_1032 Depth=2
	ds_read_b32 v157, v69 offset:1536
	s_waitcnt lgkmcnt(0)
	v_lshrrev_b32_e32 v3, s41, v157
	v_and_b32_e32 v3, s62, v3
	v_lshlrev_b32_e32 v3, 2, v3
	ds_read_b32 v3, v3
	s_waitcnt lgkmcnt(0)
	v_add_nc_u32_e32 v3, v3, v44
	v_lshlrev_b64 v[39:40], 2, v[3:4]
	v_xor_b32_e32 v3, 0x7fffffff, v157
	v_add_co_u32 v39, s23, s48, v39
	v_add_co_ci_u32_e64 v40, null, s49, v40, s23
	global_store_dword v[39:40], v3, off
	s_or_b32 exec_lo, exec_lo, s24
	v_cmp_lt_u32_e64 s23, v47, v156
	s_and_saveexec_b32 s25, s23
	s_cbranch_execz .LBB502_1119
.LBB502_1191:                           ;   in Loop: Header=BB502_1032 Depth=2
	ds_read_b32 v157, v69 offset:2560
	s_waitcnt lgkmcnt(0)
	v_lshrrev_b32_e32 v3, s41, v157
	v_and_b32_e32 v3, s62, v3
	v_lshlrev_b32_e32 v3, 2, v3
	ds_read_b32 v3, v3
	s_waitcnt lgkmcnt(0)
	v_add_nc_u32_e32 v3, v3, v47
	v_lshlrev_b64 v[39:40], 2, v[3:4]
	v_xor_b32_e32 v3, 0x7fffffff, v157
	v_add_co_u32 v39, s24, s48, v39
	v_add_co_ci_u32_e64 v40, null, s49, v40, s24
	global_store_dword v[39:40], v3, off
	s_or_b32 exec_lo, exec_lo, s25
	v_cmp_lt_u32_e64 s24, v48, v156
	s_and_saveexec_b32 s26, s24
	s_cbranch_execz .LBB502_1120
.LBB502_1192:                           ;   in Loop: Header=BB502_1032 Depth=2
	ds_read_b32 v157, v69 offset:3584
	s_waitcnt lgkmcnt(0)
	v_lshrrev_b32_e32 v3, s41, v157
	v_and_b32_e32 v3, s62, v3
	v_lshlrev_b32_e32 v3, 2, v3
	ds_read_b32 v3, v3
	s_waitcnt lgkmcnt(0)
	v_add_nc_u32_e32 v3, v3, v48
	v_lshlrev_b64 v[39:40], 2, v[3:4]
	v_xor_b32_e32 v3, 0x7fffffff, v157
	v_add_co_u32 v39, s25, s48, v39
	v_add_co_ci_u32_e64 v40, null, s49, v40, s25
	global_store_dword v[39:40], v3, off
	s_or_b32 exec_lo, exec_lo, s26
	v_cmp_lt_u32_e64 s25, v49, v156
	s_and_saveexec_b32 s27, s25
	s_cbranch_execz .LBB502_1121
.LBB502_1193:                           ;   in Loop: Header=BB502_1032 Depth=2
	ds_read_b32 v157, v69 offset:4608
	s_waitcnt lgkmcnt(0)
	v_lshrrev_b32_e32 v3, s41, v157
	v_and_b32_e32 v3, s62, v3
	v_lshlrev_b32_e32 v3, 2, v3
	ds_read_b32 v3, v3
	s_waitcnt lgkmcnt(0)
	v_add_nc_u32_e32 v3, v3, v49
	v_lshlrev_b64 v[39:40], 2, v[3:4]
	v_xor_b32_e32 v3, 0x7fffffff, v157
	v_add_co_u32 v39, s26, s48, v39
	v_add_co_ci_u32_e64 v40, null, s49, v40, s26
	global_store_dword v[39:40], v3, off
	s_or_b32 exec_lo, exec_lo, s27
	v_cmp_lt_u32_e64 s26, v50, v156
	s_and_saveexec_b32 s29, s26
	s_cbranch_execz .LBB502_1122
.LBB502_1194:                           ;   in Loop: Header=BB502_1032 Depth=2
	ds_read_b32 v157, v69 offset:5632
	s_waitcnt lgkmcnt(0)
	v_lshrrev_b32_e32 v3, s41, v157
	v_and_b32_e32 v3, s62, v3
	v_lshlrev_b32_e32 v3, 2, v3
	ds_read_b32 v3, v3
	s_waitcnt lgkmcnt(0)
	v_add_nc_u32_e32 v3, v3, v50
	v_lshlrev_b64 v[39:40], 2, v[3:4]
	v_xor_b32_e32 v3, 0x7fffffff, v157
	v_add_co_u32 v39, s27, s48, v39
	v_add_co_ci_u32_e64 v40, null, s49, v40, s27
	global_store_dword v[39:40], v3, off
	s_or_b32 exec_lo, exec_lo, s29
	v_cmp_lt_u32_e64 s27, v51, v156
	s_and_saveexec_b32 s30, s27
	s_cbranch_execz .LBB502_1123
.LBB502_1195:                           ;   in Loop: Header=BB502_1032 Depth=2
	ds_read_b32 v157, v69 offset:6656
	s_waitcnt lgkmcnt(0)
	v_lshrrev_b32_e32 v3, s41, v157
	v_and_b32_e32 v3, s62, v3
	v_lshlrev_b32_e32 v3, 2, v3
	ds_read_b32 v3, v3
	s_waitcnt lgkmcnt(0)
	v_add_nc_u32_e32 v3, v3, v51
	v_lshlrev_b64 v[39:40], 2, v[3:4]
	v_xor_b32_e32 v3, 0x7fffffff, v157
	v_add_co_u32 v39, s29, s48, v39
	v_add_co_ci_u32_e64 v40, null, s49, v40, s29
	global_store_dword v[39:40], v3, off
	s_or_b32 exec_lo, exec_lo, s30
	v_cmp_lt_u32_e64 s29, v52, v156
	s_and_saveexec_b32 s31, s29
	s_cbranch_execz .LBB502_1124
.LBB502_1196:                           ;   in Loop: Header=BB502_1032 Depth=2
	ds_read_b32 v157, v69 offset:7680
	s_waitcnt lgkmcnt(0)
	v_lshrrev_b32_e32 v3, s41, v157
	v_and_b32_e32 v3, s62, v3
	v_lshlrev_b32_e32 v3, 2, v3
	ds_read_b32 v3, v3
	s_waitcnt lgkmcnt(0)
	v_add_nc_u32_e32 v3, v3, v52
	v_lshlrev_b64 v[39:40], 2, v[3:4]
	v_xor_b32_e32 v3, 0x7fffffff, v157
	v_add_co_u32 v39, s30, s48, v39
	v_add_co_ci_u32_e64 v40, null, s49, v40, s30
	global_store_dword v[39:40], v3, off
	s_or_b32 exec_lo, exec_lo, s31
	v_cmp_lt_u32_e64 s30, v53, v156
	s_and_saveexec_b32 s33, s30
	s_cbranch_execz .LBB502_1125
.LBB502_1197:                           ;   in Loop: Header=BB502_1032 Depth=2
	ds_read_b32 v157, v69 offset:8704
	s_waitcnt lgkmcnt(0)
	v_lshrrev_b32_e32 v3, s41, v157
	v_and_b32_e32 v3, s62, v3
	v_lshlrev_b32_e32 v3, 2, v3
	ds_read_b32 v3, v3
	s_waitcnt lgkmcnt(0)
	v_add_nc_u32_e32 v3, v3, v53
	v_lshlrev_b64 v[39:40], 2, v[3:4]
	v_xor_b32_e32 v3, 0x7fffffff, v157
	v_add_co_u32 v39, s31, s48, v39
	v_add_co_ci_u32_e64 v40, null, s49, v40, s31
	global_store_dword v[39:40], v3, off
	s_or_b32 exec_lo, exec_lo, s33
	v_cmp_lt_u32_e64 s31, v54, v156
	s_and_saveexec_b32 s34, s31
	s_cbranch_execz .LBB502_1126
.LBB502_1198:                           ;   in Loop: Header=BB502_1032 Depth=2
	ds_read_b32 v157, v69 offset:9728
	s_waitcnt lgkmcnt(0)
	v_lshrrev_b32_e32 v3, s41, v157
	v_and_b32_e32 v3, s62, v3
	v_lshlrev_b32_e32 v3, 2, v3
	ds_read_b32 v3, v3
	s_waitcnt lgkmcnt(0)
	v_add_nc_u32_e32 v3, v3, v54
	v_lshlrev_b64 v[39:40], 2, v[3:4]
	v_xor_b32_e32 v3, 0x7fffffff, v157
	v_add_co_u32 v39, s33, s48, v39
	v_add_co_ci_u32_e64 v40, null, s49, v40, s33
	global_store_dword v[39:40], v3, off
	s_or_b32 exec_lo, exec_lo, s34
	v_cmp_lt_u32_e64 s33, v55, v156
	s_and_saveexec_b32 s35, s33
	s_cbranch_execz .LBB502_1127
.LBB502_1199:                           ;   in Loop: Header=BB502_1032 Depth=2
	ds_read_b32 v157, v69 offset:10752
	s_waitcnt lgkmcnt(0)
	v_lshrrev_b32_e32 v3, s41, v157
	v_and_b32_e32 v3, s62, v3
	v_lshlrev_b32_e32 v3, 2, v3
	ds_read_b32 v3, v3
	s_waitcnt lgkmcnt(0)
	v_add_nc_u32_e32 v3, v3, v55
	v_lshlrev_b64 v[39:40], 2, v[3:4]
	v_xor_b32_e32 v3, 0x7fffffff, v157
	v_add_co_u32 v39, s34, s48, v39
	v_add_co_ci_u32_e64 v40, null, s49, v40, s34
	global_store_dword v[39:40], v3, off
	s_or_b32 exec_lo, exec_lo, s35
	v_cmp_lt_u32_e64 s34, v56, v156
	s_and_saveexec_b32 s36, s34
	s_cbranch_execz .LBB502_1128
.LBB502_1200:                           ;   in Loop: Header=BB502_1032 Depth=2
	ds_read_b32 v157, v69 offset:11776
	s_waitcnt lgkmcnt(0)
	v_lshrrev_b32_e32 v3, s41, v157
	v_and_b32_e32 v3, s62, v3
	v_lshlrev_b32_e32 v3, 2, v3
	ds_read_b32 v3, v3
	s_waitcnt lgkmcnt(0)
	v_add_nc_u32_e32 v3, v3, v56
	v_lshlrev_b64 v[39:40], 2, v[3:4]
	v_xor_b32_e32 v3, 0x7fffffff, v157
	v_add_co_u32 v39, s35, s48, v39
	v_add_co_ci_u32_e64 v40, null, s49, v40, s35
	global_store_dword v[39:40], v3, off
	s_or_b32 exec_lo, exec_lo, s36
	v_cmp_lt_u32_e64 s35, v57, v156
	s_and_saveexec_b32 s37, s35
	s_cbranch_execz .LBB502_1129
.LBB502_1201:                           ;   in Loop: Header=BB502_1032 Depth=2
	ds_read_b32 v157, v69 offset:12800
	s_waitcnt lgkmcnt(0)
	v_lshrrev_b32_e32 v3, s41, v157
	v_and_b32_e32 v3, s62, v3
	v_lshlrev_b32_e32 v3, 2, v3
	ds_read_b32 v3, v3
	s_waitcnt lgkmcnt(0)
	v_add_nc_u32_e32 v3, v3, v57
	v_lshlrev_b64 v[39:40], 2, v[3:4]
	v_xor_b32_e32 v3, 0x7fffffff, v157
	v_add_co_u32 v39, s36, s48, v39
	v_add_co_ci_u32_e64 v40, null, s49, v40, s36
	global_store_dword v[39:40], v3, off
	s_or_b32 exec_lo, exec_lo, s37
	v_cmp_lt_u32_e64 s36, v58, v156
	s_and_saveexec_b32 s38, s36
	s_cbranch_execz .LBB502_1130
.LBB502_1202:                           ;   in Loop: Header=BB502_1032 Depth=2
	ds_read_b32 v157, v69 offset:13824
	s_waitcnt lgkmcnt(0)
	v_lshrrev_b32_e32 v3, s41, v157
	v_and_b32_e32 v3, s62, v3
	v_lshlrev_b32_e32 v3, 2, v3
	ds_read_b32 v3, v3
	s_waitcnt lgkmcnt(0)
	v_add_nc_u32_e32 v3, v3, v58
	v_lshlrev_b64 v[39:40], 2, v[3:4]
	v_xor_b32_e32 v3, 0x7fffffff, v157
	v_add_co_u32 v39, s37, s48, v39
	v_add_co_ci_u32_e64 v40, null, s49, v40, s37
	global_store_dword v[39:40], v3, off
	s_or_b32 exec_lo, exec_lo, s38
	v_cmp_lt_u32_e64 s37, v59, v156
	s_and_saveexec_b32 s39, s37
	s_cbranch_execz .LBB502_1131
.LBB502_1203:                           ;   in Loop: Header=BB502_1032 Depth=2
	ds_read_b32 v157, v69 offset:14848
	s_waitcnt lgkmcnt(0)
	v_lshrrev_b32_e32 v3, s41, v157
	v_and_b32_e32 v3, s62, v3
	v_lshlrev_b32_e32 v3, 2, v3
	ds_read_b32 v3, v3
	s_waitcnt lgkmcnt(0)
	v_add_nc_u32_e32 v3, v3, v59
	v_lshlrev_b64 v[39:40], 2, v[3:4]
	v_xor_b32_e32 v3, 0x7fffffff, v157
	v_add_co_u32 v39, s38, s48, v39
	v_add_co_ci_u32_e64 v40, null, s49, v40, s38
	global_store_dword v[39:40], v3, off
	s_or_b32 exec_lo, exec_lo, s39
	v_cmp_lt_u32_e64 s38, v60, v156
	s_and_saveexec_b32 s40, s38
	s_cbranch_execz .LBB502_1132
.LBB502_1204:                           ;   in Loop: Header=BB502_1032 Depth=2
	ds_read_b32 v157, v69 offset:15872
	s_waitcnt lgkmcnt(0)
	v_lshrrev_b32_e32 v3, s41, v157
	v_and_b32_e32 v3, s62, v3
	v_lshlrev_b32_e32 v3, 2, v3
	ds_read_b32 v3, v3
	s_waitcnt lgkmcnt(0)
	v_add_nc_u32_e32 v3, v3, v60
	v_lshlrev_b64 v[39:40], 2, v[3:4]
	v_xor_b32_e32 v3, 0x7fffffff, v157
	v_add_co_u32 v39, s39, s48, v39
	v_add_co_ci_u32_e64 v40, null, s49, v40, s39
	global_store_dword v[39:40], v3, off
	s_or_b32 exec_lo, exec_lo, s40
	v_cmp_lt_u32_e64 s39, v61, v156
	s_and_saveexec_b32 s65, s39
	s_cbranch_execnz .LBB502_1133
	s_branch .LBB502_1134
.LBB502_1205:                           ;   in Loop: Header=BB502_1032 Depth=2
	global_load_dwordx2 v[37:38], v[39:40], off
	s_or_b32 exec_lo, exec_lo, s40
	s_mov_b32 s50, exec_lo
	v_cmpx_lt_u32_e64 v112, v156
	s_cbranch_execz .LBB502_1136
.LBB502_1206:                           ;   in Loop: Header=BB502_1032 Depth=2
	global_load_dwordx2 v[35:36], v[39:40], off offset:256
	s_or_b32 exec_lo, exec_lo, s50
	s_mov_b32 s50, exec_lo
	v_cmpx_lt_u32_e64 v113, v156
	s_cbranch_execz .LBB502_1137
.LBB502_1207:                           ;   in Loop: Header=BB502_1032 Depth=2
	global_load_dwordx2 v[33:34], v[39:40], off offset:512
	s_or_b32 exec_lo, exec_lo, s50
	s_mov_b32 s50, exec_lo
	v_cmpx_lt_u32_e64 v114, v156
	s_cbranch_execz .LBB502_1138
.LBB502_1208:                           ;   in Loop: Header=BB502_1032 Depth=2
	global_load_dwordx2 v[31:32], v[39:40], off offset:768
	s_or_b32 exec_lo, exec_lo, s50
	s_mov_b32 s50, exec_lo
	v_cmpx_lt_u32_e64 v115, v156
	s_cbranch_execz .LBB502_1139
.LBB502_1209:                           ;   in Loop: Header=BB502_1032 Depth=2
	global_load_dwordx2 v[29:30], v[39:40], off offset:1024
	s_or_b32 exec_lo, exec_lo, s50
	s_mov_b32 s50, exec_lo
	v_cmpx_lt_u32_e64 v116, v156
	s_cbranch_execz .LBB502_1140
.LBB502_1210:                           ;   in Loop: Header=BB502_1032 Depth=2
	global_load_dwordx2 v[25:26], v[39:40], off offset:1280
	s_or_b32 exec_lo, exec_lo, s50
	s_mov_b32 s50, exec_lo
	v_cmpx_lt_u32_e64 v117, v156
	s_cbranch_execz .LBB502_1141
.LBB502_1211:                           ;   in Loop: Header=BB502_1032 Depth=2
	global_load_dwordx2 v[21:22], v[39:40], off offset:1536
	s_or_b32 exec_lo, exec_lo, s50
	s_mov_b32 s50, exec_lo
	v_cmpx_lt_u32_e64 v118, v156
	s_cbranch_execz .LBB502_1142
.LBB502_1212:                           ;   in Loop: Header=BB502_1032 Depth=2
	global_load_dwordx2 v[17:18], v[39:40], off offset:1792
	s_or_b32 exec_lo, exec_lo, s50
	s_mov_b32 s50, exec_lo
	v_cmpx_lt_u32_e64 v119, v156
	s_cbranch_execz .LBB502_1143
.LBB502_1213:                           ;   in Loop: Header=BB502_1032 Depth=2
	v_add_co_u32 v27, s40, 0x800, v39
	v_add_co_ci_u32_e64 v28, null, 0, v40, s40
	global_load_dwordx2 v[27:28], v[27:28], off
	s_or_b32 exec_lo, exec_lo, s50
	s_mov_b32 s50, exec_lo
	v_cmpx_lt_u32_e64 v120, v156
	s_cbranch_execz .LBB502_1144
.LBB502_1214:                           ;   in Loop: Header=BB502_1032 Depth=2
	v_add_co_u32 v23, s40, 0x800, v39
	v_add_co_ci_u32_e64 v24, null, 0, v40, s40
	global_load_dwordx2 v[23:24], v[23:24], off offset:256
	s_or_b32 exec_lo, exec_lo, s50
	s_mov_b32 s50, exec_lo
	v_cmpx_lt_u32_e64 v121, v156
	s_cbranch_execz .LBB502_1145
.LBB502_1215:                           ;   in Loop: Header=BB502_1032 Depth=2
	v_add_co_u32 v19, s40, 0x800, v39
	v_add_co_ci_u32_e64 v20, null, 0, v40, s40
	global_load_dwordx2 v[19:20], v[19:20], off offset:512
	s_or_b32 exec_lo, exec_lo, s50
	s_mov_b32 s50, exec_lo
	v_cmpx_lt_u32_e64 v122, v156
	s_cbranch_execz .LBB502_1146
.LBB502_1216:                           ;   in Loop: Header=BB502_1032 Depth=2
	v_add_co_u32 v15, s40, 0x800, v39
	v_add_co_ci_u32_e64 v16, null, 0, v40, s40
	global_load_dwordx2 v[15:16], v[15:16], off offset:768
	s_or_b32 exec_lo, exec_lo, s50
	s_mov_b32 s50, exec_lo
	v_cmpx_lt_u32_e64 v123, v156
	s_cbranch_execz .LBB502_1147
.LBB502_1217:                           ;   in Loop: Header=BB502_1032 Depth=2
	v_add_co_u32 v13, s40, 0x800, v39
	v_add_co_ci_u32_e64 v14, null, 0, v40, s40
	global_load_dwordx2 v[13:14], v[13:14], off offset:1024
	s_or_b32 exec_lo, exec_lo, s50
	s_mov_b32 s50, exec_lo
	v_cmpx_lt_u32_e64 v124, v156
	s_cbranch_execz .LBB502_1148
.LBB502_1218:                           ;   in Loop: Header=BB502_1032 Depth=2
	v_add_co_u32 v11, s40, 0x800, v39
	v_add_co_ci_u32_e64 v12, null, 0, v40, s40
	global_load_dwordx2 v[11:12], v[11:12], off offset:1280
	s_or_b32 exec_lo, exec_lo, s50
	s_mov_b32 s50, exec_lo
	v_cmpx_lt_u32_e64 v126, v156
	s_cbranch_execz .LBB502_1149
.LBB502_1219:                           ;   in Loop: Header=BB502_1032 Depth=2
	v_add_co_u32 v9, s40, 0x800, v39
	v_add_co_ci_u32_e64 v10, null, 0, v40, s40
	global_load_dwordx2 v[9:10], v[9:10], off offset:1536
	s_or_b32 exec_lo, exec_lo, s50
	s_mov_b32 s50, exec_lo
	v_cmpx_lt_u32_e64 v127, v156
	s_cbranch_execz .LBB502_1150
.LBB502_1220:                           ;   in Loop: Header=BB502_1032 Depth=2
	v_add_co_u32 v7, s40, 0x800, v39
	v_add_co_ci_u32_e64 v8, null, 0, v40, s40
	global_load_dwordx2 v[7:8], v[7:8], off offset:1792
	s_or_b32 exec_lo, exec_lo, s50
	s_mov_b32 s50, exec_lo
	v_cmpx_lt_u32_e64 v128, v156
	s_cbranch_execz .LBB502_1151
.LBB502_1221:                           ;   in Loop: Header=BB502_1032 Depth=2
	v_add_co_u32 v5, s40, 0x1000, v39
	v_add_co_ci_u32_e64 v6, null, 0, v40, s40
	global_load_dwordx2 v[5:6], v[5:6], off
	s_or_b32 exec_lo, exec_lo, s50
	s_and_saveexec_b32 s40, vcc_lo
	s_cbranch_execz .LBB502_1152
.LBB502_1222:                           ;   in Loop: Header=BB502_1032 Depth=2
	ds_read_b32 v3, v69 offset:512
	s_waitcnt lgkmcnt(0)
	v_lshrrev_b32_e32 v3, s41, v3
	v_and_b32_e32 v154, s62, v3
	s_or_b32 exec_lo, exec_lo, s40
	s_and_saveexec_b32 s40, s22
	s_cbranch_execz .LBB502_1153
.LBB502_1223:                           ;   in Loop: Header=BB502_1032 Depth=2
	ds_read_b32 v3, v69 offset:1536
	s_waitcnt lgkmcnt(0)
	v_lshrrev_b32_e32 v3, s41, v3
	v_and_b32_e32 v153, s62, v3
	s_or_b32 exec_lo, exec_lo, s40
	s_and_saveexec_b32 s40, s23
	s_cbranch_execz .LBB502_1154
.LBB502_1224:                           ;   in Loop: Header=BB502_1032 Depth=2
	ds_read_b32 v3, v69 offset:2560
	s_waitcnt lgkmcnt(0)
	v_lshrrev_b32_e32 v3, s41, v3
	v_and_b32_e32 v151, s62, v3
	s_or_b32 exec_lo, exec_lo, s40
	s_and_saveexec_b32 s40, s24
	s_cbranch_execz .LBB502_1155
.LBB502_1225:                           ;   in Loop: Header=BB502_1032 Depth=2
	ds_read_b32 v3, v69 offset:3584
	s_waitcnt lgkmcnt(0)
	v_lshrrev_b32_e32 v3, s41, v3
	v_and_b32_e32 v150, s62, v3
	s_or_b32 exec_lo, exec_lo, s40
	s_and_saveexec_b32 s40, s25
	s_cbranch_execz .LBB502_1156
.LBB502_1226:                           ;   in Loop: Header=BB502_1032 Depth=2
	ds_read_b32 v3, v69 offset:4608
	s_waitcnt lgkmcnt(0)
	v_lshrrev_b32_e32 v3, s41, v3
	v_and_b32_e32 v149, s62, v3
	s_or_b32 exec_lo, exec_lo, s40
	s_and_saveexec_b32 s40, s26
	s_cbranch_execz .LBB502_1157
.LBB502_1227:                           ;   in Loop: Header=BB502_1032 Depth=2
	ds_read_b32 v3, v69 offset:5632
	s_waitcnt lgkmcnt(0)
	v_lshrrev_b32_e32 v3, s41, v3
	v_and_b32_e32 v148, s62, v3
	s_or_b32 exec_lo, exec_lo, s40
	s_and_saveexec_b32 s40, s27
	s_cbranch_execz .LBB502_1158
.LBB502_1228:                           ;   in Loop: Header=BB502_1032 Depth=2
	ds_read_b32 v3, v69 offset:6656
	s_waitcnt lgkmcnt(0)
	v_lshrrev_b32_e32 v3, s41, v3
	v_and_b32_e32 v147, s62, v3
	s_or_b32 exec_lo, exec_lo, s40
	s_and_saveexec_b32 s40, s29
	s_cbranch_execz .LBB502_1159
.LBB502_1229:                           ;   in Loop: Header=BB502_1032 Depth=2
	ds_read_b32 v3, v69 offset:7680
	s_waitcnt lgkmcnt(0)
	v_lshrrev_b32_e32 v3, s41, v3
	v_and_b32_e32 v146, s62, v3
	s_or_b32 exec_lo, exec_lo, s40
	s_and_saveexec_b32 s40, s30
	s_cbranch_execz .LBB502_1160
.LBB502_1230:                           ;   in Loop: Header=BB502_1032 Depth=2
	ds_read_b32 v3, v69 offset:8704
	s_waitcnt lgkmcnt(0)
	v_lshrrev_b32_e32 v3, s41, v3
	v_and_b32_e32 v145, s62, v3
	s_or_b32 exec_lo, exec_lo, s40
	s_and_saveexec_b32 s40, s31
	s_cbranch_execz .LBB502_1161
.LBB502_1231:                           ;   in Loop: Header=BB502_1032 Depth=2
	ds_read_b32 v3, v69 offset:9728
	s_waitcnt lgkmcnt(0)
	v_lshrrev_b32_e32 v3, s41, v3
	v_and_b32_e32 v144, s62, v3
	s_or_b32 exec_lo, exec_lo, s40
	s_and_saveexec_b32 s40, s33
	s_cbranch_execz .LBB502_1162
.LBB502_1232:                           ;   in Loop: Header=BB502_1032 Depth=2
	ds_read_b32 v3, v69 offset:10752
	s_waitcnt lgkmcnt(0)
	v_lshrrev_b32_e32 v3, s41, v3
	v_and_b32_e32 v143, s62, v3
	s_or_b32 exec_lo, exec_lo, s40
	s_and_saveexec_b32 s40, s34
	s_cbranch_execz .LBB502_1163
.LBB502_1233:                           ;   in Loop: Header=BB502_1032 Depth=2
	ds_read_b32 v3, v69 offset:11776
	s_waitcnt lgkmcnt(0)
	v_lshrrev_b32_e32 v3, s41, v3
	v_and_b32_e32 v142, s62, v3
	s_or_b32 exec_lo, exec_lo, s40
	s_and_saveexec_b32 s40, s35
	s_cbranch_execz .LBB502_1164
.LBB502_1234:                           ;   in Loop: Header=BB502_1032 Depth=2
	ds_read_b32 v3, v69 offset:12800
	s_waitcnt lgkmcnt(0)
	v_lshrrev_b32_e32 v3, s41, v3
	v_and_b32_e32 v141, s62, v3
	s_or_b32 exec_lo, exec_lo, s40
	s_and_saveexec_b32 s40, s36
	s_cbranch_execz .LBB502_1165
.LBB502_1235:                           ;   in Loop: Header=BB502_1032 Depth=2
	ds_read_b32 v3, v69 offset:13824
	s_waitcnt lgkmcnt(0)
	v_lshrrev_b32_e32 v3, s41, v3
	v_and_b32_e32 v140, s62, v3
	s_or_b32 exec_lo, exec_lo, s40
	s_and_saveexec_b32 s40, s37
	s_cbranch_execz .LBB502_1166
.LBB502_1236:                           ;   in Loop: Header=BB502_1032 Depth=2
	ds_read_b32 v3, v69 offset:14848
	s_waitcnt lgkmcnt(0)
	v_lshrrev_b32_e32 v3, s41, v3
	v_and_b32_e32 v139, s62, v3
	s_or_b32 exec_lo, exec_lo, s40
	s_and_saveexec_b32 s40, s38
	s_cbranch_execz .LBB502_1167
.LBB502_1237:                           ;   in Loop: Header=BB502_1032 Depth=2
	ds_read_b32 v3, v69 offset:15872
	s_waitcnt lgkmcnt(0)
	v_lshrrev_b32_e32 v3, s41, v3
	v_and_b32_e32 v138, s62, v3
	s_or_b32 exec_lo, exec_lo, s40
	s_and_saveexec_b32 s40, s39
	s_cbranch_execnz .LBB502_1168
	s_branch .LBB502_1169
.LBB502_1238:                           ;   in Loop: Header=BB502_1032 Depth=2
	v_lshlrev_b32_e32 v3, 2, v154
	ds_read_b32 v3, v3
	ds_read_b64 v[40:41], v39 offset:512
	s_waitcnt lgkmcnt(1)
	v_add_nc_u32_e32 v3, v3, v0
	v_lshlrev_b64 v[156:157], 3, v[3:4]
	v_add_co_u32 v156, vcc_lo, s54, v156
	v_add_co_ci_u32_e64 v157, null, s55, v157, vcc_lo
	s_waitcnt lgkmcnt(0)
	global_store_dwordx2 v[156:157], v[40:41], off
	s_or_b32 exec_lo, exec_lo, s40
	s_and_saveexec_b32 s40, s22
	s_cbranch_execz .LBB502_1171
.LBB502_1239:                           ;   in Loop: Header=BB502_1032 Depth=2
	v_lshlrev_b32_e32 v3, 2, v153
	ds_read_b32 v3, v3
	ds_read_b64 v[40:41], v39 offset:2560
	s_waitcnt lgkmcnt(1)
	v_add_nc_u32_e32 v3, v3, v44
	v_lshlrev_b64 v[156:157], 3, v[3:4]
	v_add_co_u32 v156, vcc_lo, s54, v156
	v_add_co_ci_u32_e64 v157, null, s55, v157, vcc_lo
	s_waitcnt lgkmcnt(0)
	global_store_dwordx2 v[156:157], v[40:41], off
	s_or_b32 exec_lo, exec_lo, s40
	s_and_saveexec_b32 s22, s23
	s_cbranch_execz .LBB502_1172
.LBB502_1240:                           ;   in Loop: Header=BB502_1032 Depth=2
	v_lshlrev_b32_e32 v3, 2, v151
	ds_read_b32 v3, v3
	ds_read_b64 v[40:41], v39 offset:4608
	s_waitcnt lgkmcnt(1)
	v_add_nc_u32_e32 v3, v3, v47
	v_lshlrev_b64 v[156:157], 3, v[3:4]
	v_add_co_u32 v156, vcc_lo, s54, v156
	v_add_co_ci_u32_e64 v157, null, s55, v157, vcc_lo
	s_waitcnt lgkmcnt(0)
	global_store_dwordx2 v[156:157], v[40:41], off
	s_or_b32 exec_lo, exec_lo, s22
	s_and_saveexec_b32 s22, s24
	s_cbranch_execz .LBB502_1173
.LBB502_1241:                           ;   in Loop: Header=BB502_1032 Depth=2
	v_lshlrev_b32_e32 v3, 2, v150
	ds_read_b32 v3, v3
	ds_read_b64 v[40:41], v39 offset:6656
	s_waitcnt lgkmcnt(1)
	v_add_nc_u32_e32 v3, v3, v48
	v_lshlrev_b64 v[156:157], 3, v[3:4]
	v_add_co_u32 v156, vcc_lo, s54, v156
	v_add_co_ci_u32_e64 v157, null, s55, v157, vcc_lo
	s_waitcnt lgkmcnt(0)
	global_store_dwordx2 v[156:157], v[40:41], off
	s_or_b32 exec_lo, exec_lo, s22
	s_and_saveexec_b32 s22, s25
	s_cbranch_execz .LBB502_1174
.LBB502_1242:                           ;   in Loop: Header=BB502_1032 Depth=2
	v_lshlrev_b32_e32 v3, 2, v149
	ds_read_b32 v3, v3
	ds_read_b64 v[40:41], v39 offset:8704
	s_waitcnt lgkmcnt(1)
	v_add_nc_u32_e32 v3, v3, v49
	v_lshlrev_b64 v[156:157], 3, v[3:4]
	v_add_co_u32 v156, vcc_lo, s54, v156
	v_add_co_ci_u32_e64 v157, null, s55, v157, vcc_lo
	s_waitcnt lgkmcnt(0)
	global_store_dwordx2 v[156:157], v[40:41], off
	s_or_b32 exec_lo, exec_lo, s22
	s_and_saveexec_b32 s22, s26
	s_cbranch_execz .LBB502_1175
.LBB502_1243:                           ;   in Loop: Header=BB502_1032 Depth=2
	v_lshlrev_b32_e32 v3, 2, v148
	ds_read_b32 v3, v3
	ds_read_b64 v[40:41], v39 offset:10752
	s_waitcnt lgkmcnt(1)
	v_add_nc_u32_e32 v3, v3, v50
	v_lshlrev_b64 v[156:157], 3, v[3:4]
	v_add_co_u32 v156, vcc_lo, s54, v156
	v_add_co_ci_u32_e64 v157, null, s55, v157, vcc_lo
	s_waitcnt lgkmcnt(0)
	global_store_dwordx2 v[156:157], v[40:41], off
	s_or_b32 exec_lo, exec_lo, s22
	s_and_saveexec_b32 s22, s27
	s_cbranch_execz .LBB502_1176
.LBB502_1244:                           ;   in Loop: Header=BB502_1032 Depth=2
	v_lshlrev_b32_e32 v3, 2, v147
	ds_read_b32 v3, v3
	ds_read_b64 v[40:41], v39 offset:12800
	s_waitcnt lgkmcnt(1)
	v_add_nc_u32_e32 v3, v3, v51
	v_lshlrev_b64 v[156:157], 3, v[3:4]
	v_add_co_u32 v156, vcc_lo, s54, v156
	v_add_co_ci_u32_e64 v157, null, s55, v157, vcc_lo
	s_waitcnt lgkmcnt(0)
	global_store_dwordx2 v[156:157], v[40:41], off
	s_or_b32 exec_lo, exec_lo, s22
	s_and_saveexec_b32 s22, s29
	s_cbranch_execz .LBB502_1177
.LBB502_1245:                           ;   in Loop: Header=BB502_1032 Depth=2
	v_lshlrev_b32_e32 v3, 2, v146
	ds_read_b32 v3, v3
	ds_read_b64 v[40:41], v39 offset:14848
	s_waitcnt lgkmcnt(1)
	v_add_nc_u32_e32 v3, v3, v52
	v_lshlrev_b64 v[156:157], 3, v[3:4]
	v_add_co_u32 v156, vcc_lo, s54, v156
	v_add_co_ci_u32_e64 v157, null, s55, v157, vcc_lo
	s_waitcnt lgkmcnt(0)
	global_store_dwordx2 v[156:157], v[40:41], off
	s_or_b32 exec_lo, exec_lo, s22
	s_and_saveexec_b32 s22, s30
	s_cbranch_execz .LBB502_1178
.LBB502_1246:                           ;   in Loop: Header=BB502_1032 Depth=2
	v_lshlrev_b32_e32 v3, 2, v145
	ds_read_b32 v3, v3
	ds_read_b64 v[40:41], v39 offset:16896
	s_waitcnt lgkmcnt(1)
	v_add_nc_u32_e32 v3, v3, v53
	v_lshlrev_b64 v[156:157], 3, v[3:4]
	v_add_co_u32 v156, vcc_lo, s54, v156
	v_add_co_ci_u32_e64 v157, null, s55, v157, vcc_lo
	s_waitcnt lgkmcnt(0)
	global_store_dwordx2 v[156:157], v[40:41], off
	s_or_b32 exec_lo, exec_lo, s22
	s_and_saveexec_b32 s22, s31
	s_cbranch_execz .LBB502_1179
.LBB502_1247:                           ;   in Loop: Header=BB502_1032 Depth=2
	v_lshlrev_b32_e32 v3, 2, v144
	ds_read_b32 v3, v3
	ds_read_b64 v[40:41], v39 offset:18944
	s_waitcnt lgkmcnt(1)
	v_add_nc_u32_e32 v3, v3, v54
	v_lshlrev_b64 v[156:157], 3, v[3:4]
	v_add_co_u32 v156, vcc_lo, s54, v156
	v_add_co_ci_u32_e64 v157, null, s55, v157, vcc_lo
	s_waitcnt lgkmcnt(0)
	global_store_dwordx2 v[156:157], v[40:41], off
	s_or_b32 exec_lo, exec_lo, s22
	s_and_saveexec_b32 s22, s33
	s_cbranch_execz .LBB502_1180
.LBB502_1248:                           ;   in Loop: Header=BB502_1032 Depth=2
	v_lshlrev_b32_e32 v3, 2, v143
	ds_read_b32 v3, v3
	ds_read_b64 v[40:41], v39 offset:20992
	s_waitcnt lgkmcnt(1)
	v_add_nc_u32_e32 v3, v3, v55
	v_lshlrev_b64 v[156:157], 3, v[3:4]
	v_add_co_u32 v156, vcc_lo, s54, v156
	v_add_co_ci_u32_e64 v157, null, s55, v157, vcc_lo
	s_waitcnt lgkmcnt(0)
	global_store_dwordx2 v[156:157], v[40:41], off
	s_or_b32 exec_lo, exec_lo, s22
	s_and_saveexec_b32 s22, s34
	s_cbranch_execz .LBB502_1181
.LBB502_1249:                           ;   in Loop: Header=BB502_1032 Depth=2
	v_lshlrev_b32_e32 v3, 2, v142
	ds_read_b32 v3, v3
	ds_read_b64 v[40:41], v39 offset:23040
	s_waitcnt lgkmcnt(1)
	v_add_nc_u32_e32 v3, v3, v56
	v_lshlrev_b64 v[156:157], 3, v[3:4]
	v_add_co_u32 v156, vcc_lo, s54, v156
	v_add_co_ci_u32_e64 v157, null, s55, v157, vcc_lo
	s_waitcnt lgkmcnt(0)
	global_store_dwordx2 v[156:157], v[40:41], off
	s_or_b32 exec_lo, exec_lo, s22
	s_and_saveexec_b32 s22, s35
	s_cbranch_execz .LBB502_1182
.LBB502_1250:                           ;   in Loop: Header=BB502_1032 Depth=2
	v_lshlrev_b32_e32 v3, 2, v141
	ds_read_b32 v3, v3
	ds_read_b64 v[40:41], v39 offset:25088
	s_waitcnt lgkmcnt(1)
	v_add_nc_u32_e32 v3, v3, v57
	v_lshlrev_b64 v[156:157], 3, v[3:4]
	v_add_co_u32 v156, vcc_lo, s54, v156
	v_add_co_ci_u32_e64 v157, null, s55, v157, vcc_lo
	s_waitcnt lgkmcnt(0)
	global_store_dwordx2 v[156:157], v[40:41], off
	s_or_b32 exec_lo, exec_lo, s22
	s_and_saveexec_b32 s22, s36
	s_cbranch_execz .LBB502_1183
.LBB502_1251:                           ;   in Loop: Header=BB502_1032 Depth=2
	v_lshlrev_b32_e32 v3, 2, v140
	ds_read_b32 v3, v3
	ds_read_b64 v[40:41], v39 offset:27136
	s_waitcnt lgkmcnt(1)
	v_add_nc_u32_e32 v3, v3, v58
	v_lshlrev_b64 v[156:157], 3, v[3:4]
	v_add_co_u32 v156, vcc_lo, s54, v156
	v_add_co_ci_u32_e64 v157, null, s55, v157, vcc_lo
	s_waitcnt lgkmcnt(0)
	global_store_dwordx2 v[156:157], v[40:41], off
	s_or_b32 exec_lo, exec_lo, s22
	s_and_saveexec_b32 s22, s37
	s_cbranch_execz .LBB502_1184
.LBB502_1252:                           ;   in Loop: Header=BB502_1032 Depth=2
	v_lshlrev_b32_e32 v3, 2, v139
	ds_read_b32 v3, v3
	ds_read_b64 v[40:41], v39 offset:29184
	s_waitcnt lgkmcnt(1)
	v_add_nc_u32_e32 v3, v3, v59
	v_lshlrev_b64 v[156:157], 3, v[3:4]
	v_add_co_u32 v156, vcc_lo, s54, v156
	v_add_co_ci_u32_e64 v157, null, s55, v157, vcc_lo
	s_waitcnt lgkmcnt(0)
	global_store_dwordx2 v[156:157], v[40:41], off
	s_or_b32 exec_lo, exec_lo, s22
	s_and_saveexec_b32 s22, s38
	s_cbranch_execz .LBB502_1185
.LBB502_1253:                           ;   in Loop: Header=BB502_1032 Depth=2
	v_lshlrev_b32_e32 v3, 2, v138
	ds_read_b32 v3, v3
	ds_read_b64 v[40:41], v39 offset:31232
	s_waitcnt lgkmcnt(1)
	v_add_nc_u32_e32 v3, v3, v60
	v_lshlrev_b64 v[156:157], 3, v[3:4]
	v_add_co_u32 v156, vcc_lo, s54, v156
	v_add_co_ci_u32_e64 v157, null, s55, v157, vcc_lo
	s_waitcnt lgkmcnt(0)
	global_store_dwordx2 v[156:157], v[40:41], off
	s_or_b32 exec_lo, exec_lo, s22
	s_and_saveexec_b32 s22, s39
	s_cbranch_execnz .LBB502_1186
	s_branch .LBB502_1187
.LBB502_1254:
	s_endpgm
	.section	.rodata,"a",@progbits
	.p2align	6, 0x0
	.amdhsa_kernel _ZN7rocprim17ROCPRIM_400000_NS6detail17trampoline_kernelINS0_14default_configENS1_36segmented_radix_sort_config_selectorIilEEZNS1_25segmented_radix_sort_implIS3_Lb1EPKiPiPKlPlN2at6native12_GLOBAL__N_18offset_tEEE10hipError_tPvRmT1_PNSt15iterator_traitsISK_E10value_typeET2_T3_PNSL_ISQ_E10value_typeET4_jRbjT5_SW_jjP12ihipStream_tbEUlT_E_NS1_11comp_targetILNS1_3genE8ELNS1_11target_archE1030ELNS1_3gpuE2ELNS1_3repE0EEENS1_30default_config_static_selectorELNS0_4arch9wavefront6targetE0EEEvSK_
		.amdhsa_group_segment_fixed_size 35344
		.amdhsa_private_segment_fixed_size 196
		.amdhsa_kernarg_size 352
		.amdhsa_user_sgpr_count 6
		.amdhsa_user_sgpr_private_segment_buffer 1
		.amdhsa_user_sgpr_dispatch_ptr 0
		.amdhsa_user_sgpr_queue_ptr 0
		.amdhsa_user_sgpr_kernarg_segment_ptr 1
		.amdhsa_user_sgpr_dispatch_id 0
		.amdhsa_user_sgpr_flat_scratch_init 0
		.amdhsa_user_sgpr_private_segment_size 0
		.amdhsa_wavefront_size32 1
		.amdhsa_uses_dynamic_stack 0
		.amdhsa_system_sgpr_private_segment_wavefront_offset 1
		.amdhsa_system_sgpr_workgroup_id_x 1
		.amdhsa_system_sgpr_workgroup_id_y 1
		.amdhsa_system_sgpr_workgroup_id_z 0
		.amdhsa_system_sgpr_workgroup_info 0
		.amdhsa_system_vgpr_workitem_id 2
		.amdhsa_next_free_vgpr 248
		.amdhsa_next_free_sgpr 68
		.amdhsa_reserve_vcc 1
		.amdhsa_reserve_flat_scratch 0
		.amdhsa_float_round_mode_32 0
		.amdhsa_float_round_mode_16_64 0
		.amdhsa_float_denorm_mode_32 3
		.amdhsa_float_denorm_mode_16_64 3
		.amdhsa_dx10_clamp 1
		.amdhsa_ieee_mode 1
		.amdhsa_fp16_overflow 0
		.amdhsa_workgroup_processor_mode 1
		.amdhsa_memory_ordered 1
		.amdhsa_forward_progress 1
		.amdhsa_shared_vgpr_count 0
		.amdhsa_exception_fp_ieee_invalid_op 0
		.amdhsa_exception_fp_denorm_src 0
		.amdhsa_exception_fp_ieee_div_zero 0
		.amdhsa_exception_fp_ieee_overflow 0
		.amdhsa_exception_fp_ieee_underflow 0
		.amdhsa_exception_fp_ieee_inexact 0
		.amdhsa_exception_int_div_zero 0
	.end_amdhsa_kernel
	.section	.text._ZN7rocprim17ROCPRIM_400000_NS6detail17trampoline_kernelINS0_14default_configENS1_36segmented_radix_sort_config_selectorIilEEZNS1_25segmented_radix_sort_implIS3_Lb1EPKiPiPKlPlN2at6native12_GLOBAL__N_18offset_tEEE10hipError_tPvRmT1_PNSt15iterator_traitsISK_E10value_typeET2_T3_PNSL_ISQ_E10value_typeET4_jRbjT5_SW_jjP12ihipStream_tbEUlT_E_NS1_11comp_targetILNS1_3genE8ELNS1_11target_archE1030ELNS1_3gpuE2ELNS1_3repE0EEENS1_30default_config_static_selectorELNS0_4arch9wavefront6targetE0EEEvSK_,"axG",@progbits,_ZN7rocprim17ROCPRIM_400000_NS6detail17trampoline_kernelINS0_14default_configENS1_36segmented_radix_sort_config_selectorIilEEZNS1_25segmented_radix_sort_implIS3_Lb1EPKiPiPKlPlN2at6native12_GLOBAL__N_18offset_tEEE10hipError_tPvRmT1_PNSt15iterator_traitsISK_E10value_typeET2_T3_PNSL_ISQ_E10value_typeET4_jRbjT5_SW_jjP12ihipStream_tbEUlT_E_NS1_11comp_targetILNS1_3genE8ELNS1_11target_archE1030ELNS1_3gpuE2ELNS1_3repE0EEENS1_30default_config_static_selectorELNS0_4arch9wavefront6targetE0EEEvSK_,comdat
.Lfunc_end502:
	.size	_ZN7rocprim17ROCPRIM_400000_NS6detail17trampoline_kernelINS0_14default_configENS1_36segmented_radix_sort_config_selectorIilEEZNS1_25segmented_radix_sort_implIS3_Lb1EPKiPiPKlPlN2at6native12_GLOBAL__N_18offset_tEEE10hipError_tPvRmT1_PNSt15iterator_traitsISK_E10value_typeET2_T3_PNSL_ISQ_E10value_typeET4_jRbjT5_SW_jjP12ihipStream_tbEUlT_E_NS1_11comp_targetILNS1_3genE8ELNS1_11target_archE1030ELNS1_3gpuE2ELNS1_3repE0EEENS1_30default_config_static_selectorELNS0_4arch9wavefront6targetE0EEEvSK_, .Lfunc_end502-_ZN7rocprim17ROCPRIM_400000_NS6detail17trampoline_kernelINS0_14default_configENS1_36segmented_radix_sort_config_selectorIilEEZNS1_25segmented_radix_sort_implIS3_Lb1EPKiPiPKlPlN2at6native12_GLOBAL__N_18offset_tEEE10hipError_tPvRmT1_PNSt15iterator_traitsISK_E10value_typeET2_T3_PNSL_ISQ_E10value_typeET4_jRbjT5_SW_jjP12ihipStream_tbEUlT_E_NS1_11comp_targetILNS1_3genE8ELNS1_11target_archE1030ELNS1_3gpuE2ELNS1_3repE0EEENS1_30default_config_static_selectorELNS0_4arch9wavefront6targetE0EEEvSK_
                                        ; -- End function
	.set _ZN7rocprim17ROCPRIM_400000_NS6detail17trampoline_kernelINS0_14default_configENS1_36segmented_radix_sort_config_selectorIilEEZNS1_25segmented_radix_sort_implIS3_Lb1EPKiPiPKlPlN2at6native12_GLOBAL__N_18offset_tEEE10hipError_tPvRmT1_PNSt15iterator_traitsISK_E10value_typeET2_T3_PNSL_ISQ_E10value_typeET4_jRbjT5_SW_jjP12ihipStream_tbEUlT_E_NS1_11comp_targetILNS1_3genE8ELNS1_11target_archE1030ELNS1_3gpuE2ELNS1_3repE0EEENS1_30default_config_static_selectorELNS0_4arch9wavefront6targetE0EEEvSK_.num_vgpr, max(227, .L_ZN7rocprim17ROCPRIM_400000_NS6detail40segmented_radix_sort_single_block_helperIilLj256ELj17ELb1EE4sortIPKiPiPKlPlEEbT_T0_T1_T2_jjjjRNS3_12storage_typeE.num_vgpr)
	.set _ZN7rocprim17ROCPRIM_400000_NS6detail17trampoline_kernelINS0_14default_configENS1_36segmented_radix_sort_config_selectorIilEEZNS1_25segmented_radix_sort_implIS3_Lb1EPKiPiPKlPlN2at6native12_GLOBAL__N_18offset_tEEE10hipError_tPvRmT1_PNSt15iterator_traitsISK_E10value_typeET2_T3_PNSL_ISQ_E10value_typeET4_jRbjT5_SW_jjP12ihipStream_tbEUlT_E_NS1_11comp_targetILNS1_3genE8ELNS1_11target_archE1030ELNS1_3gpuE2ELNS1_3repE0EEENS1_30default_config_static_selectorELNS0_4arch9wavefront6targetE0EEEvSK_.num_agpr, max(0, .L_ZN7rocprim17ROCPRIM_400000_NS6detail40segmented_radix_sort_single_block_helperIilLj256ELj17ELb1EE4sortIPKiPiPKlPlEEbT_T0_T1_T2_jjjjRNS3_12storage_typeE.num_agpr)
	.set _ZN7rocprim17ROCPRIM_400000_NS6detail17trampoline_kernelINS0_14default_configENS1_36segmented_radix_sort_config_selectorIilEEZNS1_25segmented_radix_sort_implIS3_Lb1EPKiPiPKlPlN2at6native12_GLOBAL__N_18offset_tEEE10hipError_tPvRmT1_PNSt15iterator_traitsISK_E10value_typeET2_T3_PNSL_ISQ_E10value_typeET4_jRbjT5_SW_jjP12ihipStream_tbEUlT_E_NS1_11comp_targetILNS1_3genE8ELNS1_11target_archE1030ELNS1_3gpuE2ELNS1_3repE0EEENS1_30default_config_static_selectorELNS0_4arch9wavefront6targetE0EEEvSK_.numbered_sgpr, max(68, .L_ZN7rocprim17ROCPRIM_400000_NS6detail40segmented_radix_sort_single_block_helperIilLj256ELj17ELb1EE4sortIPKiPiPKlPlEEbT_T0_T1_T2_jjjjRNS3_12storage_typeE.numbered_sgpr)
	.set _ZN7rocprim17ROCPRIM_400000_NS6detail17trampoline_kernelINS0_14default_configENS1_36segmented_radix_sort_config_selectorIilEEZNS1_25segmented_radix_sort_implIS3_Lb1EPKiPiPKlPlN2at6native12_GLOBAL__N_18offset_tEEE10hipError_tPvRmT1_PNSt15iterator_traitsISK_E10value_typeET2_T3_PNSL_ISQ_E10value_typeET4_jRbjT5_SW_jjP12ihipStream_tbEUlT_E_NS1_11comp_targetILNS1_3genE8ELNS1_11target_archE1030ELNS1_3gpuE2ELNS1_3repE0EEENS1_30default_config_static_selectorELNS0_4arch9wavefront6targetE0EEEvSK_.num_named_barrier, max(0, .L_ZN7rocprim17ROCPRIM_400000_NS6detail40segmented_radix_sort_single_block_helperIilLj256ELj17ELb1EE4sortIPKiPiPKlPlEEbT_T0_T1_T2_jjjjRNS3_12storage_typeE.num_named_barrier)
	.set _ZN7rocprim17ROCPRIM_400000_NS6detail17trampoline_kernelINS0_14default_configENS1_36segmented_radix_sort_config_selectorIilEEZNS1_25segmented_radix_sort_implIS3_Lb1EPKiPiPKlPlN2at6native12_GLOBAL__N_18offset_tEEE10hipError_tPvRmT1_PNSt15iterator_traitsISK_E10value_typeET2_T3_PNSL_ISQ_E10value_typeET4_jRbjT5_SW_jjP12ihipStream_tbEUlT_E_NS1_11comp_targetILNS1_3genE8ELNS1_11target_archE1030ELNS1_3gpuE2ELNS1_3repE0EEENS1_30default_config_static_selectorELNS0_4arch9wavefront6targetE0EEEvSK_.private_seg_size, 0+max(.L_ZN7rocprim17ROCPRIM_400000_NS6detail40segmented_radix_sort_single_block_helperIilLj256ELj17ELb1EE4sortIPKiPiPKlPlEEbT_T0_T1_T2_jjjjRNS3_12storage_typeE.private_seg_size)
	.set _ZN7rocprim17ROCPRIM_400000_NS6detail17trampoline_kernelINS0_14default_configENS1_36segmented_radix_sort_config_selectorIilEEZNS1_25segmented_radix_sort_implIS3_Lb1EPKiPiPKlPlN2at6native12_GLOBAL__N_18offset_tEEE10hipError_tPvRmT1_PNSt15iterator_traitsISK_E10value_typeET2_T3_PNSL_ISQ_E10value_typeET4_jRbjT5_SW_jjP12ihipStream_tbEUlT_E_NS1_11comp_targetILNS1_3genE8ELNS1_11target_archE1030ELNS1_3gpuE2ELNS1_3repE0EEENS1_30default_config_static_selectorELNS0_4arch9wavefront6targetE0EEEvSK_.uses_vcc, or(1, .L_ZN7rocprim17ROCPRIM_400000_NS6detail40segmented_radix_sort_single_block_helperIilLj256ELj17ELb1EE4sortIPKiPiPKlPlEEbT_T0_T1_T2_jjjjRNS3_12storage_typeE.uses_vcc)
	.set _ZN7rocprim17ROCPRIM_400000_NS6detail17trampoline_kernelINS0_14default_configENS1_36segmented_radix_sort_config_selectorIilEEZNS1_25segmented_radix_sort_implIS3_Lb1EPKiPiPKlPlN2at6native12_GLOBAL__N_18offset_tEEE10hipError_tPvRmT1_PNSt15iterator_traitsISK_E10value_typeET2_T3_PNSL_ISQ_E10value_typeET4_jRbjT5_SW_jjP12ihipStream_tbEUlT_E_NS1_11comp_targetILNS1_3genE8ELNS1_11target_archE1030ELNS1_3gpuE2ELNS1_3repE0EEENS1_30default_config_static_selectorELNS0_4arch9wavefront6targetE0EEEvSK_.uses_flat_scratch, or(0, .L_ZN7rocprim17ROCPRIM_400000_NS6detail40segmented_radix_sort_single_block_helperIilLj256ELj17ELb1EE4sortIPKiPiPKlPlEEbT_T0_T1_T2_jjjjRNS3_12storage_typeE.uses_flat_scratch)
	.set _ZN7rocprim17ROCPRIM_400000_NS6detail17trampoline_kernelINS0_14default_configENS1_36segmented_radix_sort_config_selectorIilEEZNS1_25segmented_radix_sort_implIS3_Lb1EPKiPiPKlPlN2at6native12_GLOBAL__N_18offset_tEEE10hipError_tPvRmT1_PNSt15iterator_traitsISK_E10value_typeET2_T3_PNSL_ISQ_E10value_typeET4_jRbjT5_SW_jjP12ihipStream_tbEUlT_E_NS1_11comp_targetILNS1_3genE8ELNS1_11target_archE1030ELNS1_3gpuE2ELNS1_3repE0EEENS1_30default_config_static_selectorELNS0_4arch9wavefront6targetE0EEEvSK_.has_dyn_sized_stack, or(0, .L_ZN7rocprim17ROCPRIM_400000_NS6detail40segmented_radix_sort_single_block_helperIilLj256ELj17ELb1EE4sortIPKiPiPKlPlEEbT_T0_T1_T2_jjjjRNS3_12storage_typeE.has_dyn_sized_stack)
	.set _ZN7rocprim17ROCPRIM_400000_NS6detail17trampoline_kernelINS0_14default_configENS1_36segmented_radix_sort_config_selectorIilEEZNS1_25segmented_radix_sort_implIS3_Lb1EPKiPiPKlPlN2at6native12_GLOBAL__N_18offset_tEEE10hipError_tPvRmT1_PNSt15iterator_traitsISK_E10value_typeET2_T3_PNSL_ISQ_E10value_typeET4_jRbjT5_SW_jjP12ihipStream_tbEUlT_E_NS1_11comp_targetILNS1_3genE8ELNS1_11target_archE1030ELNS1_3gpuE2ELNS1_3repE0EEENS1_30default_config_static_selectorELNS0_4arch9wavefront6targetE0EEEvSK_.has_recursion, or(0, .L_ZN7rocprim17ROCPRIM_400000_NS6detail40segmented_radix_sort_single_block_helperIilLj256ELj17ELb1EE4sortIPKiPiPKlPlEEbT_T0_T1_T2_jjjjRNS3_12storage_typeE.has_recursion)
	.set _ZN7rocprim17ROCPRIM_400000_NS6detail17trampoline_kernelINS0_14default_configENS1_36segmented_radix_sort_config_selectorIilEEZNS1_25segmented_radix_sort_implIS3_Lb1EPKiPiPKlPlN2at6native12_GLOBAL__N_18offset_tEEE10hipError_tPvRmT1_PNSt15iterator_traitsISK_E10value_typeET2_T3_PNSL_ISQ_E10value_typeET4_jRbjT5_SW_jjP12ihipStream_tbEUlT_E_NS1_11comp_targetILNS1_3genE8ELNS1_11target_archE1030ELNS1_3gpuE2ELNS1_3repE0EEENS1_30default_config_static_selectorELNS0_4arch9wavefront6targetE0EEEvSK_.has_indirect_call, or(0, .L_ZN7rocprim17ROCPRIM_400000_NS6detail40segmented_radix_sort_single_block_helperIilLj256ELj17ELb1EE4sortIPKiPiPKlPlEEbT_T0_T1_T2_jjjjRNS3_12storage_typeE.has_indirect_call)
	.section	.AMDGPU.csdata,"",@progbits
; Kernel info:
; codeLenInByte = 63528
; TotalNumSgprs: 70
; NumVgprs: 248
; ScratchSize: 196
; MemoryBound: 0
; FloatMode: 240
; IeeeMode: 1
; LDSByteSize: 35344 bytes/workgroup (compile time only)
; SGPRBlocks: 0
; VGPRBlocks: 30
; NumSGPRsForWavesPerEU: 70
; NumVGPRsForWavesPerEU: 248
; Occupancy: 4
; WaveLimiterHint : 1
; COMPUTE_PGM_RSRC2:SCRATCH_EN: 1
; COMPUTE_PGM_RSRC2:USER_SGPR: 6
; COMPUTE_PGM_RSRC2:TRAP_HANDLER: 0
; COMPUTE_PGM_RSRC2:TGID_X_EN: 1
; COMPUTE_PGM_RSRC2:TGID_Y_EN: 1
; COMPUTE_PGM_RSRC2:TGID_Z_EN: 0
; COMPUTE_PGM_RSRC2:TIDIG_COMP_CNT: 2
	.section	.text._ZN7rocprim17ROCPRIM_400000_NS6detail17trampoline_kernelINS0_14default_configENS1_36segmented_radix_sort_config_selectorIilEEZNS1_25segmented_radix_sort_implIS3_Lb1EPKiPiPKlPlN2at6native12_GLOBAL__N_18offset_tEEE10hipError_tPvRmT1_PNSt15iterator_traitsISK_E10value_typeET2_T3_PNSL_ISQ_E10value_typeET4_jRbjT5_SW_jjP12ihipStream_tbEUlT_E0_NS1_11comp_targetILNS1_3genE0ELNS1_11target_archE4294967295ELNS1_3gpuE0ELNS1_3repE0EEENS1_60segmented_radix_sort_warp_sort_medium_config_static_selectorELNS0_4arch9wavefront6targetE0EEEvSK_,"axG",@progbits,_ZN7rocprim17ROCPRIM_400000_NS6detail17trampoline_kernelINS0_14default_configENS1_36segmented_radix_sort_config_selectorIilEEZNS1_25segmented_radix_sort_implIS3_Lb1EPKiPiPKlPlN2at6native12_GLOBAL__N_18offset_tEEE10hipError_tPvRmT1_PNSt15iterator_traitsISK_E10value_typeET2_T3_PNSL_ISQ_E10value_typeET4_jRbjT5_SW_jjP12ihipStream_tbEUlT_E0_NS1_11comp_targetILNS1_3genE0ELNS1_11target_archE4294967295ELNS1_3gpuE0ELNS1_3repE0EEENS1_60segmented_radix_sort_warp_sort_medium_config_static_selectorELNS0_4arch9wavefront6targetE0EEEvSK_,comdat
	.globl	_ZN7rocprim17ROCPRIM_400000_NS6detail17trampoline_kernelINS0_14default_configENS1_36segmented_radix_sort_config_selectorIilEEZNS1_25segmented_radix_sort_implIS3_Lb1EPKiPiPKlPlN2at6native12_GLOBAL__N_18offset_tEEE10hipError_tPvRmT1_PNSt15iterator_traitsISK_E10value_typeET2_T3_PNSL_ISQ_E10value_typeET4_jRbjT5_SW_jjP12ihipStream_tbEUlT_E0_NS1_11comp_targetILNS1_3genE0ELNS1_11target_archE4294967295ELNS1_3gpuE0ELNS1_3repE0EEENS1_60segmented_radix_sort_warp_sort_medium_config_static_selectorELNS0_4arch9wavefront6targetE0EEEvSK_ ; -- Begin function _ZN7rocprim17ROCPRIM_400000_NS6detail17trampoline_kernelINS0_14default_configENS1_36segmented_radix_sort_config_selectorIilEEZNS1_25segmented_radix_sort_implIS3_Lb1EPKiPiPKlPlN2at6native12_GLOBAL__N_18offset_tEEE10hipError_tPvRmT1_PNSt15iterator_traitsISK_E10value_typeET2_T3_PNSL_ISQ_E10value_typeET4_jRbjT5_SW_jjP12ihipStream_tbEUlT_E0_NS1_11comp_targetILNS1_3genE0ELNS1_11target_archE4294967295ELNS1_3gpuE0ELNS1_3repE0EEENS1_60segmented_radix_sort_warp_sort_medium_config_static_selectorELNS0_4arch9wavefront6targetE0EEEvSK_
	.p2align	8
	.type	_ZN7rocprim17ROCPRIM_400000_NS6detail17trampoline_kernelINS0_14default_configENS1_36segmented_radix_sort_config_selectorIilEEZNS1_25segmented_radix_sort_implIS3_Lb1EPKiPiPKlPlN2at6native12_GLOBAL__N_18offset_tEEE10hipError_tPvRmT1_PNSt15iterator_traitsISK_E10value_typeET2_T3_PNSL_ISQ_E10value_typeET4_jRbjT5_SW_jjP12ihipStream_tbEUlT_E0_NS1_11comp_targetILNS1_3genE0ELNS1_11target_archE4294967295ELNS1_3gpuE0ELNS1_3repE0EEENS1_60segmented_radix_sort_warp_sort_medium_config_static_selectorELNS0_4arch9wavefront6targetE0EEEvSK_,@function
_ZN7rocprim17ROCPRIM_400000_NS6detail17trampoline_kernelINS0_14default_configENS1_36segmented_radix_sort_config_selectorIilEEZNS1_25segmented_radix_sort_implIS3_Lb1EPKiPiPKlPlN2at6native12_GLOBAL__N_18offset_tEEE10hipError_tPvRmT1_PNSt15iterator_traitsISK_E10value_typeET2_T3_PNSL_ISQ_E10value_typeET4_jRbjT5_SW_jjP12ihipStream_tbEUlT_E0_NS1_11comp_targetILNS1_3genE0ELNS1_11target_archE4294967295ELNS1_3gpuE0ELNS1_3repE0EEENS1_60segmented_radix_sort_warp_sort_medium_config_static_selectorELNS0_4arch9wavefront6targetE0EEEvSK_: ; @_ZN7rocprim17ROCPRIM_400000_NS6detail17trampoline_kernelINS0_14default_configENS1_36segmented_radix_sort_config_selectorIilEEZNS1_25segmented_radix_sort_implIS3_Lb1EPKiPiPKlPlN2at6native12_GLOBAL__N_18offset_tEEE10hipError_tPvRmT1_PNSt15iterator_traitsISK_E10value_typeET2_T3_PNSL_ISQ_E10value_typeET4_jRbjT5_SW_jjP12ihipStream_tbEUlT_E0_NS1_11comp_targetILNS1_3genE0ELNS1_11target_archE4294967295ELNS1_3gpuE0ELNS1_3repE0EEENS1_60segmented_radix_sort_warp_sort_medium_config_static_selectorELNS0_4arch9wavefront6targetE0EEEvSK_
; %bb.0:
	.section	.rodata,"a",@progbits
	.p2align	6, 0x0
	.amdhsa_kernel _ZN7rocprim17ROCPRIM_400000_NS6detail17trampoline_kernelINS0_14default_configENS1_36segmented_radix_sort_config_selectorIilEEZNS1_25segmented_radix_sort_implIS3_Lb1EPKiPiPKlPlN2at6native12_GLOBAL__N_18offset_tEEE10hipError_tPvRmT1_PNSt15iterator_traitsISK_E10value_typeET2_T3_PNSL_ISQ_E10value_typeET4_jRbjT5_SW_jjP12ihipStream_tbEUlT_E0_NS1_11comp_targetILNS1_3genE0ELNS1_11target_archE4294967295ELNS1_3gpuE0ELNS1_3repE0EEENS1_60segmented_radix_sort_warp_sort_medium_config_static_selectorELNS0_4arch9wavefront6targetE0EEEvSK_
		.amdhsa_group_segment_fixed_size 0
		.amdhsa_private_segment_fixed_size 0
		.amdhsa_kernarg_size 88
		.amdhsa_user_sgpr_count 6
		.amdhsa_user_sgpr_private_segment_buffer 1
		.amdhsa_user_sgpr_dispatch_ptr 0
		.amdhsa_user_sgpr_queue_ptr 0
		.amdhsa_user_sgpr_kernarg_segment_ptr 1
		.amdhsa_user_sgpr_dispatch_id 0
		.amdhsa_user_sgpr_flat_scratch_init 0
		.amdhsa_user_sgpr_private_segment_size 0
		.amdhsa_wavefront_size32 1
		.amdhsa_uses_dynamic_stack 0
		.amdhsa_system_sgpr_private_segment_wavefront_offset 0
		.amdhsa_system_sgpr_workgroup_id_x 1
		.amdhsa_system_sgpr_workgroup_id_y 0
		.amdhsa_system_sgpr_workgroup_id_z 0
		.amdhsa_system_sgpr_workgroup_info 0
		.amdhsa_system_vgpr_workitem_id 0
		.amdhsa_next_free_vgpr 1
		.amdhsa_next_free_sgpr 1
		.amdhsa_reserve_vcc 0
		.amdhsa_reserve_flat_scratch 0
		.amdhsa_float_round_mode_32 0
		.amdhsa_float_round_mode_16_64 0
		.amdhsa_float_denorm_mode_32 3
		.amdhsa_float_denorm_mode_16_64 3
		.amdhsa_dx10_clamp 1
		.amdhsa_ieee_mode 1
		.amdhsa_fp16_overflow 0
		.amdhsa_workgroup_processor_mode 1
		.amdhsa_memory_ordered 1
		.amdhsa_forward_progress 1
		.amdhsa_shared_vgpr_count 0
		.amdhsa_exception_fp_ieee_invalid_op 0
		.amdhsa_exception_fp_denorm_src 0
		.amdhsa_exception_fp_ieee_div_zero 0
		.amdhsa_exception_fp_ieee_overflow 0
		.amdhsa_exception_fp_ieee_underflow 0
		.amdhsa_exception_fp_ieee_inexact 0
		.amdhsa_exception_int_div_zero 0
	.end_amdhsa_kernel
	.section	.text._ZN7rocprim17ROCPRIM_400000_NS6detail17trampoline_kernelINS0_14default_configENS1_36segmented_radix_sort_config_selectorIilEEZNS1_25segmented_radix_sort_implIS3_Lb1EPKiPiPKlPlN2at6native12_GLOBAL__N_18offset_tEEE10hipError_tPvRmT1_PNSt15iterator_traitsISK_E10value_typeET2_T3_PNSL_ISQ_E10value_typeET4_jRbjT5_SW_jjP12ihipStream_tbEUlT_E0_NS1_11comp_targetILNS1_3genE0ELNS1_11target_archE4294967295ELNS1_3gpuE0ELNS1_3repE0EEENS1_60segmented_radix_sort_warp_sort_medium_config_static_selectorELNS0_4arch9wavefront6targetE0EEEvSK_,"axG",@progbits,_ZN7rocprim17ROCPRIM_400000_NS6detail17trampoline_kernelINS0_14default_configENS1_36segmented_radix_sort_config_selectorIilEEZNS1_25segmented_radix_sort_implIS3_Lb1EPKiPiPKlPlN2at6native12_GLOBAL__N_18offset_tEEE10hipError_tPvRmT1_PNSt15iterator_traitsISK_E10value_typeET2_T3_PNSL_ISQ_E10value_typeET4_jRbjT5_SW_jjP12ihipStream_tbEUlT_E0_NS1_11comp_targetILNS1_3genE0ELNS1_11target_archE4294967295ELNS1_3gpuE0ELNS1_3repE0EEENS1_60segmented_radix_sort_warp_sort_medium_config_static_selectorELNS0_4arch9wavefront6targetE0EEEvSK_,comdat
.Lfunc_end503:
	.size	_ZN7rocprim17ROCPRIM_400000_NS6detail17trampoline_kernelINS0_14default_configENS1_36segmented_radix_sort_config_selectorIilEEZNS1_25segmented_radix_sort_implIS3_Lb1EPKiPiPKlPlN2at6native12_GLOBAL__N_18offset_tEEE10hipError_tPvRmT1_PNSt15iterator_traitsISK_E10value_typeET2_T3_PNSL_ISQ_E10value_typeET4_jRbjT5_SW_jjP12ihipStream_tbEUlT_E0_NS1_11comp_targetILNS1_3genE0ELNS1_11target_archE4294967295ELNS1_3gpuE0ELNS1_3repE0EEENS1_60segmented_radix_sort_warp_sort_medium_config_static_selectorELNS0_4arch9wavefront6targetE0EEEvSK_, .Lfunc_end503-_ZN7rocprim17ROCPRIM_400000_NS6detail17trampoline_kernelINS0_14default_configENS1_36segmented_radix_sort_config_selectorIilEEZNS1_25segmented_radix_sort_implIS3_Lb1EPKiPiPKlPlN2at6native12_GLOBAL__N_18offset_tEEE10hipError_tPvRmT1_PNSt15iterator_traitsISK_E10value_typeET2_T3_PNSL_ISQ_E10value_typeET4_jRbjT5_SW_jjP12ihipStream_tbEUlT_E0_NS1_11comp_targetILNS1_3genE0ELNS1_11target_archE4294967295ELNS1_3gpuE0ELNS1_3repE0EEENS1_60segmented_radix_sort_warp_sort_medium_config_static_selectorELNS0_4arch9wavefront6targetE0EEEvSK_
                                        ; -- End function
	.set _ZN7rocprim17ROCPRIM_400000_NS6detail17trampoline_kernelINS0_14default_configENS1_36segmented_radix_sort_config_selectorIilEEZNS1_25segmented_radix_sort_implIS3_Lb1EPKiPiPKlPlN2at6native12_GLOBAL__N_18offset_tEEE10hipError_tPvRmT1_PNSt15iterator_traitsISK_E10value_typeET2_T3_PNSL_ISQ_E10value_typeET4_jRbjT5_SW_jjP12ihipStream_tbEUlT_E0_NS1_11comp_targetILNS1_3genE0ELNS1_11target_archE4294967295ELNS1_3gpuE0ELNS1_3repE0EEENS1_60segmented_radix_sort_warp_sort_medium_config_static_selectorELNS0_4arch9wavefront6targetE0EEEvSK_.num_vgpr, 0
	.set _ZN7rocprim17ROCPRIM_400000_NS6detail17trampoline_kernelINS0_14default_configENS1_36segmented_radix_sort_config_selectorIilEEZNS1_25segmented_radix_sort_implIS3_Lb1EPKiPiPKlPlN2at6native12_GLOBAL__N_18offset_tEEE10hipError_tPvRmT1_PNSt15iterator_traitsISK_E10value_typeET2_T3_PNSL_ISQ_E10value_typeET4_jRbjT5_SW_jjP12ihipStream_tbEUlT_E0_NS1_11comp_targetILNS1_3genE0ELNS1_11target_archE4294967295ELNS1_3gpuE0ELNS1_3repE0EEENS1_60segmented_radix_sort_warp_sort_medium_config_static_selectorELNS0_4arch9wavefront6targetE0EEEvSK_.num_agpr, 0
	.set _ZN7rocprim17ROCPRIM_400000_NS6detail17trampoline_kernelINS0_14default_configENS1_36segmented_radix_sort_config_selectorIilEEZNS1_25segmented_radix_sort_implIS3_Lb1EPKiPiPKlPlN2at6native12_GLOBAL__N_18offset_tEEE10hipError_tPvRmT1_PNSt15iterator_traitsISK_E10value_typeET2_T3_PNSL_ISQ_E10value_typeET4_jRbjT5_SW_jjP12ihipStream_tbEUlT_E0_NS1_11comp_targetILNS1_3genE0ELNS1_11target_archE4294967295ELNS1_3gpuE0ELNS1_3repE0EEENS1_60segmented_radix_sort_warp_sort_medium_config_static_selectorELNS0_4arch9wavefront6targetE0EEEvSK_.numbered_sgpr, 0
	.set _ZN7rocprim17ROCPRIM_400000_NS6detail17trampoline_kernelINS0_14default_configENS1_36segmented_radix_sort_config_selectorIilEEZNS1_25segmented_radix_sort_implIS3_Lb1EPKiPiPKlPlN2at6native12_GLOBAL__N_18offset_tEEE10hipError_tPvRmT1_PNSt15iterator_traitsISK_E10value_typeET2_T3_PNSL_ISQ_E10value_typeET4_jRbjT5_SW_jjP12ihipStream_tbEUlT_E0_NS1_11comp_targetILNS1_3genE0ELNS1_11target_archE4294967295ELNS1_3gpuE0ELNS1_3repE0EEENS1_60segmented_radix_sort_warp_sort_medium_config_static_selectorELNS0_4arch9wavefront6targetE0EEEvSK_.num_named_barrier, 0
	.set _ZN7rocprim17ROCPRIM_400000_NS6detail17trampoline_kernelINS0_14default_configENS1_36segmented_radix_sort_config_selectorIilEEZNS1_25segmented_radix_sort_implIS3_Lb1EPKiPiPKlPlN2at6native12_GLOBAL__N_18offset_tEEE10hipError_tPvRmT1_PNSt15iterator_traitsISK_E10value_typeET2_T3_PNSL_ISQ_E10value_typeET4_jRbjT5_SW_jjP12ihipStream_tbEUlT_E0_NS1_11comp_targetILNS1_3genE0ELNS1_11target_archE4294967295ELNS1_3gpuE0ELNS1_3repE0EEENS1_60segmented_radix_sort_warp_sort_medium_config_static_selectorELNS0_4arch9wavefront6targetE0EEEvSK_.private_seg_size, 0
	.set _ZN7rocprim17ROCPRIM_400000_NS6detail17trampoline_kernelINS0_14default_configENS1_36segmented_radix_sort_config_selectorIilEEZNS1_25segmented_radix_sort_implIS3_Lb1EPKiPiPKlPlN2at6native12_GLOBAL__N_18offset_tEEE10hipError_tPvRmT1_PNSt15iterator_traitsISK_E10value_typeET2_T3_PNSL_ISQ_E10value_typeET4_jRbjT5_SW_jjP12ihipStream_tbEUlT_E0_NS1_11comp_targetILNS1_3genE0ELNS1_11target_archE4294967295ELNS1_3gpuE0ELNS1_3repE0EEENS1_60segmented_radix_sort_warp_sort_medium_config_static_selectorELNS0_4arch9wavefront6targetE0EEEvSK_.uses_vcc, 0
	.set _ZN7rocprim17ROCPRIM_400000_NS6detail17trampoline_kernelINS0_14default_configENS1_36segmented_radix_sort_config_selectorIilEEZNS1_25segmented_radix_sort_implIS3_Lb1EPKiPiPKlPlN2at6native12_GLOBAL__N_18offset_tEEE10hipError_tPvRmT1_PNSt15iterator_traitsISK_E10value_typeET2_T3_PNSL_ISQ_E10value_typeET4_jRbjT5_SW_jjP12ihipStream_tbEUlT_E0_NS1_11comp_targetILNS1_3genE0ELNS1_11target_archE4294967295ELNS1_3gpuE0ELNS1_3repE0EEENS1_60segmented_radix_sort_warp_sort_medium_config_static_selectorELNS0_4arch9wavefront6targetE0EEEvSK_.uses_flat_scratch, 0
	.set _ZN7rocprim17ROCPRIM_400000_NS6detail17trampoline_kernelINS0_14default_configENS1_36segmented_radix_sort_config_selectorIilEEZNS1_25segmented_radix_sort_implIS3_Lb1EPKiPiPKlPlN2at6native12_GLOBAL__N_18offset_tEEE10hipError_tPvRmT1_PNSt15iterator_traitsISK_E10value_typeET2_T3_PNSL_ISQ_E10value_typeET4_jRbjT5_SW_jjP12ihipStream_tbEUlT_E0_NS1_11comp_targetILNS1_3genE0ELNS1_11target_archE4294967295ELNS1_3gpuE0ELNS1_3repE0EEENS1_60segmented_radix_sort_warp_sort_medium_config_static_selectorELNS0_4arch9wavefront6targetE0EEEvSK_.has_dyn_sized_stack, 0
	.set _ZN7rocprim17ROCPRIM_400000_NS6detail17trampoline_kernelINS0_14default_configENS1_36segmented_radix_sort_config_selectorIilEEZNS1_25segmented_radix_sort_implIS3_Lb1EPKiPiPKlPlN2at6native12_GLOBAL__N_18offset_tEEE10hipError_tPvRmT1_PNSt15iterator_traitsISK_E10value_typeET2_T3_PNSL_ISQ_E10value_typeET4_jRbjT5_SW_jjP12ihipStream_tbEUlT_E0_NS1_11comp_targetILNS1_3genE0ELNS1_11target_archE4294967295ELNS1_3gpuE0ELNS1_3repE0EEENS1_60segmented_radix_sort_warp_sort_medium_config_static_selectorELNS0_4arch9wavefront6targetE0EEEvSK_.has_recursion, 0
	.set _ZN7rocprim17ROCPRIM_400000_NS6detail17trampoline_kernelINS0_14default_configENS1_36segmented_radix_sort_config_selectorIilEEZNS1_25segmented_radix_sort_implIS3_Lb1EPKiPiPKlPlN2at6native12_GLOBAL__N_18offset_tEEE10hipError_tPvRmT1_PNSt15iterator_traitsISK_E10value_typeET2_T3_PNSL_ISQ_E10value_typeET4_jRbjT5_SW_jjP12ihipStream_tbEUlT_E0_NS1_11comp_targetILNS1_3genE0ELNS1_11target_archE4294967295ELNS1_3gpuE0ELNS1_3repE0EEENS1_60segmented_radix_sort_warp_sort_medium_config_static_selectorELNS0_4arch9wavefront6targetE0EEEvSK_.has_indirect_call, 0
	.section	.AMDGPU.csdata,"",@progbits
; Kernel info:
; codeLenInByte = 0
; TotalNumSgprs: 0
; NumVgprs: 0
; ScratchSize: 0
; MemoryBound: 0
; FloatMode: 240
; IeeeMode: 1
; LDSByteSize: 0 bytes/workgroup (compile time only)
; SGPRBlocks: 0
; VGPRBlocks: 0
; NumSGPRsForWavesPerEU: 1
; NumVGPRsForWavesPerEU: 1
; Occupancy: 16
; WaveLimiterHint : 0
; COMPUTE_PGM_RSRC2:SCRATCH_EN: 0
; COMPUTE_PGM_RSRC2:USER_SGPR: 6
; COMPUTE_PGM_RSRC2:TRAP_HANDLER: 0
; COMPUTE_PGM_RSRC2:TGID_X_EN: 1
; COMPUTE_PGM_RSRC2:TGID_Y_EN: 0
; COMPUTE_PGM_RSRC2:TGID_Z_EN: 0
; COMPUTE_PGM_RSRC2:TIDIG_COMP_CNT: 0
	.section	.text._ZN7rocprim17ROCPRIM_400000_NS6detail17trampoline_kernelINS0_14default_configENS1_36segmented_radix_sort_config_selectorIilEEZNS1_25segmented_radix_sort_implIS3_Lb1EPKiPiPKlPlN2at6native12_GLOBAL__N_18offset_tEEE10hipError_tPvRmT1_PNSt15iterator_traitsISK_E10value_typeET2_T3_PNSL_ISQ_E10value_typeET4_jRbjT5_SW_jjP12ihipStream_tbEUlT_E0_NS1_11comp_targetILNS1_3genE5ELNS1_11target_archE942ELNS1_3gpuE9ELNS1_3repE0EEENS1_60segmented_radix_sort_warp_sort_medium_config_static_selectorELNS0_4arch9wavefront6targetE0EEEvSK_,"axG",@progbits,_ZN7rocprim17ROCPRIM_400000_NS6detail17trampoline_kernelINS0_14default_configENS1_36segmented_radix_sort_config_selectorIilEEZNS1_25segmented_radix_sort_implIS3_Lb1EPKiPiPKlPlN2at6native12_GLOBAL__N_18offset_tEEE10hipError_tPvRmT1_PNSt15iterator_traitsISK_E10value_typeET2_T3_PNSL_ISQ_E10value_typeET4_jRbjT5_SW_jjP12ihipStream_tbEUlT_E0_NS1_11comp_targetILNS1_3genE5ELNS1_11target_archE942ELNS1_3gpuE9ELNS1_3repE0EEENS1_60segmented_radix_sort_warp_sort_medium_config_static_selectorELNS0_4arch9wavefront6targetE0EEEvSK_,comdat
	.globl	_ZN7rocprim17ROCPRIM_400000_NS6detail17trampoline_kernelINS0_14default_configENS1_36segmented_radix_sort_config_selectorIilEEZNS1_25segmented_radix_sort_implIS3_Lb1EPKiPiPKlPlN2at6native12_GLOBAL__N_18offset_tEEE10hipError_tPvRmT1_PNSt15iterator_traitsISK_E10value_typeET2_T3_PNSL_ISQ_E10value_typeET4_jRbjT5_SW_jjP12ihipStream_tbEUlT_E0_NS1_11comp_targetILNS1_3genE5ELNS1_11target_archE942ELNS1_3gpuE9ELNS1_3repE0EEENS1_60segmented_radix_sort_warp_sort_medium_config_static_selectorELNS0_4arch9wavefront6targetE0EEEvSK_ ; -- Begin function _ZN7rocprim17ROCPRIM_400000_NS6detail17trampoline_kernelINS0_14default_configENS1_36segmented_radix_sort_config_selectorIilEEZNS1_25segmented_radix_sort_implIS3_Lb1EPKiPiPKlPlN2at6native12_GLOBAL__N_18offset_tEEE10hipError_tPvRmT1_PNSt15iterator_traitsISK_E10value_typeET2_T3_PNSL_ISQ_E10value_typeET4_jRbjT5_SW_jjP12ihipStream_tbEUlT_E0_NS1_11comp_targetILNS1_3genE5ELNS1_11target_archE942ELNS1_3gpuE9ELNS1_3repE0EEENS1_60segmented_radix_sort_warp_sort_medium_config_static_selectorELNS0_4arch9wavefront6targetE0EEEvSK_
	.p2align	8
	.type	_ZN7rocprim17ROCPRIM_400000_NS6detail17trampoline_kernelINS0_14default_configENS1_36segmented_radix_sort_config_selectorIilEEZNS1_25segmented_radix_sort_implIS3_Lb1EPKiPiPKlPlN2at6native12_GLOBAL__N_18offset_tEEE10hipError_tPvRmT1_PNSt15iterator_traitsISK_E10value_typeET2_T3_PNSL_ISQ_E10value_typeET4_jRbjT5_SW_jjP12ihipStream_tbEUlT_E0_NS1_11comp_targetILNS1_3genE5ELNS1_11target_archE942ELNS1_3gpuE9ELNS1_3repE0EEENS1_60segmented_radix_sort_warp_sort_medium_config_static_selectorELNS0_4arch9wavefront6targetE0EEEvSK_,@function
_ZN7rocprim17ROCPRIM_400000_NS6detail17trampoline_kernelINS0_14default_configENS1_36segmented_radix_sort_config_selectorIilEEZNS1_25segmented_radix_sort_implIS3_Lb1EPKiPiPKlPlN2at6native12_GLOBAL__N_18offset_tEEE10hipError_tPvRmT1_PNSt15iterator_traitsISK_E10value_typeET2_T3_PNSL_ISQ_E10value_typeET4_jRbjT5_SW_jjP12ihipStream_tbEUlT_E0_NS1_11comp_targetILNS1_3genE5ELNS1_11target_archE942ELNS1_3gpuE9ELNS1_3repE0EEENS1_60segmented_radix_sort_warp_sort_medium_config_static_selectorELNS0_4arch9wavefront6targetE0EEEvSK_: ; @_ZN7rocprim17ROCPRIM_400000_NS6detail17trampoline_kernelINS0_14default_configENS1_36segmented_radix_sort_config_selectorIilEEZNS1_25segmented_radix_sort_implIS3_Lb1EPKiPiPKlPlN2at6native12_GLOBAL__N_18offset_tEEE10hipError_tPvRmT1_PNSt15iterator_traitsISK_E10value_typeET2_T3_PNSL_ISQ_E10value_typeET4_jRbjT5_SW_jjP12ihipStream_tbEUlT_E0_NS1_11comp_targetILNS1_3genE5ELNS1_11target_archE942ELNS1_3gpuE9ELNS1_3repE0EEENS1_60segmented_radix_sort_warp_sort_medium_config_static_selectorELNS0_4arch9wavefront6targetE0EEEvSK_
; %bb.0:
	.section	.rodata,"a",@progbits
	.p2align	6, 0x0
	.amdhsa_kernel _ZN7rocprim17ROCPRIM_400000_NS6detail17trampoline_kernelINS0_14default_configENS1_36segmented_radix_sort_config_selectorIilEEZNS1_25segmented_radix_sort_implIS3_Lb1EPKiPiPKlPlN2at6native12_GLOBAL__N_18offset_tEEE10hipError_tPvRmT1_PNSt15iterator_traitsISK_E10value_typeET2_T3_PNSL_ISQ_E10value_typeET4_jRbjT5_SW_jjP12ihipStream_tbEUlT_E0_NS1_11comp_targetILNS1_3genE5ELNS1_11target_archE942ELNS1_3gpuE9ELNS1_3repE0EEENS1_60segmented_radix_sort_warp_sort_medium_config_static_selectorELNS0_4arch9wavefront6targetE0EEEvSK_
		.amdhsa_group_segment_fixed_size 0
		.amdhsa_private_segment_fixed_size 0
		.amdhsa_kernarg_size 88
		.amdhsa_user_sgpr_count 6
		.amdhsa_user_sgpr_private_segment_buffer 1
		.amdhsa_user_sgpr_dispatch_ptr 0
		.amdhsa_user_sgpr_queue_ptr 0
		.amdhsa_user_sgpr_kernarg_segment_ptr 1
		.amdhsa_user_sgpr_dispatch_id 0
		.amdhsa_user_sgpr_flat_scratch_init 0
		.amdhsa_user_sgpr_private_segment_size 0
		.amdhsa_wavefront_size32 1
		.amdhsa_uses_dynamic_stack 0
		.amdhsa_system_sgpr_private_segment_wavefront_offset 0
		.amdhsa_system_sgpr_workgroup_id_x 1
		.amdhsa_system_sgpr_workgroup_id_y 0
		.amdhsa_system_sgpr_workgroup_id_z 0
		.amdhsa_system_sgpr_workgroup_info 0
		.amdhsa_system_vgpr_workitem_id 0
		.amdhsa_next_free_vgpr 1
		.amdhsa_next_free_sgpr 1
		.amdhsa_reserve_vcc 0
		.amdhsa_reserve_flat_scratch 0
		.amdhsa_float_round_mode_32 0
		.amdhsa_float_round_mode_16_64 0
		.amdhsa_float_denorm_mode_32 3
		.amdhsa_float_denorm_mode_16_64 3
		.amdhsa_dx10_clamp 1
		.amdhsa_ieee_mode 1
		.amdhsa_fp16_overflow 0
		.amdhsa_workgroup_processor_mode 1
		.amdhsa_memory_ordered 1
		.amdhsa_forward_progress 1
		.amdhsa_shared_vgpr_count 0
		.amdhsa_exception_fp_ieee_invalid_op 0
		.amdhsa_exception_fp_denorm_src 0
		.amdhsa_exception_fp_ieee_div_zero 0
		.amdhsa_exception_fp_ieee_overflow 0
		.amdhsa_exception_fp_ieee_underflow 0
		.amdhsa_exception_fp_ieee_inexact 0
		.amdhsa_exception_int_div_zero 0
	.end_amdhsa_kernel
	.section	.text._ZN7rocprim17ROCPRIM_400000_NS6detail17trampoline_kernelINS0_14default_configENS1_36segmented_radix_sort_config_selectorIilEEZNS1_25segmented_radix_sort_implIS3_Lb1EPKiPiPKlPlN2at6native12_GLOBAL__N_18offset_tEEE10hipError_tPvRmT1_PNSt15iterator_traitsISK_E10value_typeET2_T3_PNSL_ISQ_E10value_typeET4_jRbjT5_SW_jjP12ihipStream_tbEUlT_E0_NS1_11comp_targetILNS1_3genE5ELNS1_11target_archE942ELNS1_3gpuE9ELNS1_3repE0EEENS1_60segmented_radix_sort_warp_sort_medium_config_static_selectorELNS0_4arch9wavefront6targetE0EEEvSK_,"axG",@progbits,_ZN7rocprim17ROCPRIM_400000_NS6detail17trampoline_kernelINS0_14default_configENS1_36segmented_radix_sort_config_selectorIilEEZNS1_25segmented_radix_sort_implIS3_Lb1EPKiPiPKlPlN2at6native12_GLOBAL__N_18offset_tEEE10hipError_tPvRmT1_PNSt15iterator_traitsISK_E10value_typeET2_T3_PNSL_ISQ_E10value_typeET4_jRbjT5_SW_jjP12ihipStream_tbEUlT_E0_NS1_11comp_targetILNS1_3genE5ELNS1_11target_archE942ELNS1_3gpuE9ELNS1_3repE0EEENS1_60segmented_radix_sort_warp_sort_medium_config_static_selectorELNS0_4arch9wavefront6targetE0EEEvSK_,comdat
.Lfunc_end504:
	.size	_ZN7rocprim17ROCPRIM_400000_NS6detail17trampoline_kernelINS0_14default_configENS1_36segmented_radix_sort_config_selectorIilEEZNS1_25segmented_radix_sort_implIS3_Lb1EPKiPiPKlPlN2at6native12_GLOBAL__N_18offset_tEEE10hipError_tPvRmT1_PNSt15iterator_traitsISK_E10value_typeET2_T3_PNSL_ISQ_E10value_typeET4_jRbjT5_SW_jjP12ihipStream_tbEUlT_E0_NS1_11comp_targetILNS1_3genE5ELNS1_11target_archE942ELNS1_3gpuE9ELNS1_3repE0EEENS1_60segmented_radix_sort_warp_sort_medium_config_static_selectorELNS0_4arch9wavefront6targetE0EEEvSK_, .Lfunc_end504-_ZN7rocprim17ROCPRIM_400000_NS6detail17trampoline_kernelINS0_14default_configENS1_36segmented_radix_sort_config_selectorIilEEZNS1_25segmented_radix_sort_implIS3_Lb1EPKiPiPKlPlN2at6native12_GLOBAL__N_18offset_tEEE10hipError_tPvRmT1_PNSt15iterator_traitsISK_E10value_typeET2_T3_PNSL_ISQ_E10value_typeET4_jRbjT5_SW_jjP12ihipStream_tbEUlT_E0_NS1_11comp_targetILNS1_3genE5ELNS1_11target_archE942ELNS1_3gpuE9ELNS1_3repE0EEENS1_60segmented_radix_sort_warp_sort_medium_config_static_selectorELNS0_4arch9wavefront6targetE0EEEvSK_
                                        ; -- End function
	.set _ZN7rocprim17ROCPRIM_400000_NS6detail17trampoline_kernelINS0_14default_configENS1_36segmented_radix_sort_config_selectorIilEEZNS1_25segmented_radix_sort_implIS3_Lb1EPKiPiPKlPlN2at6native12_GLOBAL__N_18offset_tEEE10hipError_tPvRmT1_PNSt15iterator_traitsISK_E10value_typeET2_T3_PNSL_ISQ_E10value_typeET4_jRbjT5_SW_jjP12ihipStream_tbEUlT_E0_NS1_11comp_targetILNS1_3genE5ELNS1_11target_archE942ELNS1_3gpuE9ELNS1_3repE0EEENS1_60segmented_radix_sort_warp_sort_medium_config_static_selectorELNS0_4arch9wavefront6targetE0EEEvSK_.num_vgpr, 0
	.set _ZN7rocprim17ROCPRIM_400000_NS6detail17trampoline_kernelINS0_14default_configENS1_36segmented_radix_sort_config_selectorIilEEZNS1_25segmented_radix_sort_implIS3_Lb1EPKiPiPKlPlN2at6native12_GLOBAL__N_18offset_tEEE10hipError_tPvRmT1_PNSt15iterator_traitsISK_E10value_typeET2_T3_PNSL_ISQ_E10value_typeET4_jRbjT5_SW_jjP12ihipStream_tbEUlT_E0_NS1_11comp_targetILNS1_3genE5ELNS1_11target_archE942ELNS1_3gpuE9ELNS1_3repE0EEENS1_60segmented_radix_sort_warp_sort_medium_config_static_selectorELNS0_4arch9wavefront6targetE0EEEvSK_.num_agpr, 0
	.set _ZN7rocprim17ROCPRIM_400000_NS6detail17trampoline_kernelINS0_14default_configENS1_36segmented_radix_sort_config_selectorIilEEZNS1_25segmented_radix_sort_implIS3_Lb1EPKiPiPKlPlN2at6native12_GLOBAL__N_18offset_tEEE10hipError_tPvRmT1_PNSt15iterator_traitsISK_E10value_typeET2_T3_PNSL_ISQ_E10value_typeET4_jRbjT5_SW_jjP12ihipStream_tbEUlT_E0_NS1_11comp_targetILNS1_3genE5ELNS1_11target_archE942ELNS1_3gpuE9ELNS1_3repE0EEENS1_60segmented_radix_sort_warp_sort_medium_config_static_selectorELNS0_4arch9wavefront6targetE0EEEvSK_.numbered_sgpr, 0
	.set _ZN7rocprim17ROCPRIM_400000_NS6detail17trampoline_kernelINS0_14default_configENS1_36segmented_radix_sort_config_selectorIilEEZNS1_25segmented_radix_sort_implIS3_Lb1EPKiPiPKlPlN2at6native12_GLOBAL__N_18offset_tEEE10hipError_tPvRmT1_PNSt15iterator_traitsISK_E10value_typeET2_T3_PNSL_ISQ_E10value_typeET4_jRbjT5_SW_jjP12ihipStream_tbEUlT_E0_NS1_11comp_targetILNS1_3genE5ELNS1_11target_archE942ELNS1_3gpuE9ELNS1_3repE0EEENS1_60segmented_radix_sort_warp_sort_medium_config_static_selectorELNS0_4arch9wavefront6targetE0EEEvSK_.num_named_barrier, 0
	.set _ZN7rocprim17ROCPRIM_400000_NS6detail17trampoline_kernelINS0_14default_configENS1_36segmented_radix_sort_config_selectorIilEEZNS1_25segmented_radix_sort_implIS3_Lb1EPKiPiPKlPlN2at6native12_GLOBAL__N_18offset_tEEE10hipError_tPvRmT1_PNSt15iterator_traitsISK_E10value_typeET2_T3_PNSL_ISQ_E10value_typeET4_jRbjT5_SW_jjP12ihipStream_tbEUlT_E0_NS1_11comp_targetILNS1_3genE5ELNS1_11target_archE942ELNS1_3gpuE9ELNS1_3repE0EEENS1_60segmented_radix_sort_warp_sort_medium_config_static_selectorELNS0_4arch9wavefront6targetE0EEEvSK_.private_seg_size, 0
	.set _ZN7rocprim17ROCPRIM_400000_NS6detail17trampoline_kernelINS0_14default_configENS1_36segmented_radix_sort_config_selectorIilEEZNS1_25segmented_radix_sort_implIS3_Lb1EPKiPiPKlPlN2at6native12_GLOBAL__N_18offset_tEEE10hipError_tPvRmT1_PNSt15iterator_traitsISK_E10value_typeET2_T3_PNSL_ISQ_E10value_typeET4_jRbjT5_SW_jjP12ihipStream_tbEUlT_E0_NS1_11comp_targetILNS1_3genE5ELNS1_11target_archE942ELNS1_3gpuE9ELNS1_3repE0EEENS1_60segmented_radix_sort_warp_sort_medium_config_static_selectorELNS0_4arch9wavefront6targetE0EEEvSK_.uses_vcc, 0
	.set _ZN7rocprim17ROCPRIM_400000_NS6detail17trampoline_kernelINS0_14default_configENS1_36segmented_radix_sort_config_selectorIilEEZNS1_25segmented_radix_sort_implIS3_Lb1EPKiPiPKlPlN2at6native12_GLOBAL__N_18offset_tEEE10hipError_tPvRmT1_PNSt15iterator_traitsISK_E10value_typeET2_T3_PNSL_ISQ_E10value_typeET4_jRbjT5_SW_jjP12ihipStream_tbEUlT_E0_NS1_11comp_targetILNS1_3genE5ELNS1_11target_archE942ELNS1_3gpuE9ELNS1_3repE0EEENS1_60segmented_radix_sort_warp_sort_medium_config_static_selectorELNS0_4arch9wavefront6targetE0EEEvSK_.uses_flat_scratch, 0
	.set _ZN7rocprim17ROCPRIM_400000_NS6detail17trampoline_kernelINS0_14default_configENS1_36segmented_radix_sort_config_selectorIilEEZNS1_25segmented_radix_sort_implIS3_Lb1EPKiPiPKlPlN2at6native12_GLOBAL__N_18offset_tEEE10hipError_tPvRmT1_PNSt15iterator_traitsISK_E10value_typeET2_T3_PNSL_ISQ_E10value_typeET4_jRbjT5_SW_jjP12ihipStream_tbEUlT_E0_NS1_11comp_targetILNS1_3genE5ELNS1_11target_archE942ELNS1_3gpuE9ELNS1_3repE0EEENS1_60segmented_radix_sort_warp_sort_medium_config_static_selectorELNS0_4arch9wavefront6targetE0EEEvSK_.has_dyn_sized_stack, 0
	.set _ZN7rocprim17ROCPRIM_400000_NS6detail17trampoline_kernelINS0_14default_configENS1_36segmented_radix_sort_config_selectorIilEEZNS1_25segmented_radix_sort_implIS3_Lb1EPKiPiPKlPlN2at6native12_GLOBAL__N_18offset_tEEE10hipError_tPvRmT1_PNSt15iterator_traitsISK_E10value_typeET2_T3_PNSL_ISQ_E10value_typeET4_jRbjT5_SW_jjP12ihipStream_tbEUlT_E0_NS1_11comp_targetILNS1_3genE5ELNS1_11target_archE942ELNS1_3gpuE9ELNS1_3repE0EEENS1_60segmented_radix_sort_warp_sort_medium_config_static_selectorELNS0_4arch9wavefront6targetE0EEEvSK_.has_recursion, 0
	.set _ZN7rocprim17ROCPRIM_400000_NS6detail17trampoline_kernelINS0_14default_configENS1_36segmented_radix_sort_config_selectorIilEEZNS1_25segmented_radix_sort_implIS3_Lb1EPKiPiPKlPlN2at6native12_GLOBAL__N_18offset_tEEE10hipError_tPvRmT1_PNSt15iterator_traitsISK_E10value_typeET2_T3_PNSL_ISQ_E10value_typeET4_jRbjT5_SW_jjP12ihipStream_tbEUlT_E0_NS1_11comp_targetILNS1_3genE5ELNS1_11target_archE942ELNS1_3gpuE9ELNS1_3repE0EEENS1_60segmented_radix_sort_warp_sort_medium_config_static_selectorELNS0_4arch9wavefront6targetE0EEEvSK_.has_indirect_call, 0
	.section	.AMDGPU.csdata,"",@progbits
; Kernel info:
; codeLenInByte = 0
; TotalNumSgprs: 0
; NumVgprs: 0
; ScratchSize: 0
; MemoryBound: 0
; FloatMode: 240
; IeeeMode: 1
; LDSByteSize: 0 bytes/workgroup (compile time only)
; SGPRBlocks: 0
; VGPRBlocks: 0
; NumSGPRsForWavesPerEU: 1
; NumVGPRsForWavesPerEU: 1
; Occupancy: 16
; WaveLimiterHint : 0
; COMPUTE_PGM_RSRC2:SCRATCH_EN: 0
; COMPUTE_PGM_RSRC2:USER_SGPR: 6
; COMPUTE_PGM_RSRC2:TRAP_HANDLER: 0
; COMPUTE_PGM_RSRC2:TGID_X_EN: 1
; COMPUTE_PGM_RSRC2:TGID_Y_EN: 0
; COMPUTE_PGM_RSRC2:TGID_Z_EN: 0
; COMPUTE_PGM_RSRC2:TIDIG_COMP_CNT: 0
	.section	.text._ZN7rocprim17ROCPRIM_400000_NS6detail17trampoline_kernelINS0_14default_configENS1_36segmented_radix_sort_config_selectorIilEEZNS1_25segmented_radix_sort_implIS3_Lb1EPKiPiPKlPlN2at6native12_GLOBAL__N_18offset_tEEE10hipError_tPvRmT1_PNSt15iterator_traitsISK_E10value_typeET2_T3_PNSL_ISQ_E10value_typeET4_jRbjT5_SW_jjP12ihipStream_tbEUlT_E0_NS1_11comp_targetILNS1_3genE4ELNS1_11target_archE910ELNS1_3gpuE8ELNS1_3repE0EEENS1_60segmented_radix_sort_warp_sort_medium_config_static_selectorELNS0_4arch9wavefront6targetE0EEEvSK_,"axG",@progbits,_ZN7rocprim17ROCPRIM_400000_NS6detail17trampoline_kernelINS0_14default_configENS1_36segmented_radix_sort_config_selectorIilEEZNS1_25segmented_radix_sort_implIS3_Lb1EPKiPiPKlPlN2at6native12_GLOBAL__N_18offset_tEEE10hipError_tPvRmT1_PNSt15iterator_traitsISK_E10value_typeET2_T3_PNSL_ISQ_E10value_typeET4_jRbjT5_SW_jjP12ihipStream_tbEUlT_E0_NS1_11comp_targetILNS1_3genE4ELNS1_11target_archE910ELNS1_3gpuE8ELNS1_3repE0EEENS1_60segmented_radix_sort_warp_sort_medium_config_static_selectorELNS0_4arch9wavefront6targetE0EEEvSK_,comdat
	.globl	_ZN7rocprim17ROCPRIM_400000_NS6detail17trampoline_kernelINS0_14default_configENS1_36segmented_radix_sort_config_selectorIilEEZNS1_25segmented_radix_sort_implIS3_Lb1EPKiPiPKlPlN2at6native12_GLOBAL__N_18offset_tEEE10hipError_tPvRmT1_PNSt15iterator_traitsISK_E10value_typeET2_T3_PNSL_ISQ_E10value_typeET4_jRbjT5_SW_jjP12ihipStream_tbEUlT_E0_NS1_11comp_targetILNS1_3genE4ELNS1_11target_archE910ELNS1_3gpuE8ELNS1_3repE0EEENS1_60segmented_radix_sort_warp_sort_medium_config_static_selectorELNS0_4arch9wavefront6targetE0EEEvSK_ ; -- Begin function _ZN7rocprim17ROCPRIM_400000_NS6detail17trampoline_kernelINS0_14default_configENS1_36segmented_radix_sort_config_selectorIilEEZNS1_25segmented_radix_sort_implIS3_Lb1EPKiPiPKlPlN2at6native12_GLOBAL__N_18offset_tEEE10hipError_tPvRmT1_PNSt15iterator_traitsISK_E10value_typeET2_T3_PNSL_ISQ_E10value_typeET4_jRbjT5_SW_jjP12ihipStream_tbEUlT_E0_NS1_11comp_targetILNS1_3genE4ELNS1_11target_archE910ELNS1_3gpuE8ELNS1_3repE0EEENS1_60segmented_radix_sort_warp_sort_medium_config_static_selectorELNS0_4arch9wavefront6targetE0EEEvSK_
	.p2align	8
	.type	_ZN7rocprim17ROCPRIM_400000_NS6detail17trampoline_kernelINS0_14default_configENS1_36segmented_radix_sort_config_selectorIilEEZNS1_25segmented_radix_sort_implIS3_Lb1EPKiPiPKlPlN2at6native12_GLOBAL__N_18offset_tEEE10hipError_tPvRmT1_PNSt15iterator_traitsISK_E10value_typeET2_T3_PNSL_ISQ_E10value_typeET4_jRbjT5_SW_jjP12ihipStream_tbEUlT_E0_NS1_11comp_targetILNS1_3genE4ELNS1_11target_archE910ELNS1_3gpuE8ELNS1_3repE0EEENS1_60segmented_radix_sort_warp_sort_medium_config_static_selectorELNS0_4arch9wavefront6targetE0EEEvSK_,@function
_ZN7rocprim17ROCPRIM_400000_NS6detail17trampoline_kernelINS0_14default_configENS1_36segmented_radix_sort_config_selectorIilEEZNS1_25segmented_radix_sort_implIS3_Lb1EPKiPiPKlPlN2at6native12_GLOBAL__N_18offset_tEEE10hipError_tPvRmT1_PNSt15iterator_traitsISK_E10value_typeET2_T3_PNSL_ISQ_E10value_typeET4_jRbjT5_SW_jjP12ihipStream_tbEUlT_E0_NS1_11comp_targetILNS1_3genE4ELNS1_11target_archE910ELNS1_3gpuE8ELNS1_3repE0EEENS1_60segmented_radix_sort_warp_sort_medium_config_static_selectorELNS0_4arch9wavefront6targetE0EEEvSK_: ; @_ZN7rocprim17ROCPRIM_400000_NS6detail17trampoline_kernelINS0_14default_configENS1_36segmented_radix_sort_config_selectorIilEEZNS1_25segmented_radix_sort_implIS3_Lb1EPKiPiPKlPlN2at6native12_GLOBAL__N_18offset_tEEE10hipError_tPvRmT1_PNSt15iterator_traitsISK_E10value_typeET2_T3_PNSL_ISQ_E10value_typeET4_jRbjT5_SW_jjP12ihipStream_tbEUlT_E0_NS1_11comp_targetILNS1_3genE4ELNS1_11target_archE910ELNS1_3gpuE8ELNS1_3repE0EEENS1_60segmented_radix_sort_warp_sort_medium_config_static_selectorELNS0_4arch9wavefront6targetE0EEEvSK_
; %bb.0:
	.section	.rodata,"a",@progbits
	.p2align	6, 0x0
	.amdhsa_kernel _ZN7rocprim17ROCPRIM_400000_NS6detail17trampoline_kernelINS0_14default_configENS1_36segmented_radix_sort_config_selectorIilEEZNS1_25segmented_radix_sort_implIS3_Lb1EPKiPiPKlPlN2at6native12_GLOBAL__N_18offset_tEEE10hipError_tPvRmT1_PNSt15iterator_traitsISK_E10value_typeET2_T3_PNSL_ISQ_E10value_typeET4_jRbjT5_SW_jjP12ihipStream_tbEUlT_E0_NS1_11comp_targetILNS1_3genE4ELNS1_11target_archE910ELNS1_3gpuE8ELNS1_3repE0EEENS1_60segmented_radix_sort_warp_sort_medium_config_static_selectorELNS0_4arch9wavefront6targetE0EEEvSK_
		.amdhsa_group_segment_fixed_size 0
		.amdhsa_private_segment_fixed_size 0
		.amdhsa_kernarg_size 88
		.amdhsa_user_sgpr_count 6
		.amdhsa_user_sgpr_private_segment_buffer 1
		.amdhsa_user_sgpr_dispatch_ptr 0
		.amdhsa_user_sgpr_queue_ptr 0
		.amdhsa_user_sgpr_kernarg_segment_ptr 1
		.amdhsa_user_sgpr_dispatch_id 0
		.amdhsa_user_sgpr_flat_scratch_init 0
		.amdhsa_user_sgpr_private_segment_size 0
		.amdhsa_wavefront_size32 1
		.amdhsa_uses_dynamic_stack 0
		.amdhsa_system_sgpr_private_segment_wavefront_offset 0
		.amdhsa_system_sgpr_workgroup_id_x 1
		.amdhsa_system_sgpr_workgroup_id_y 0
		.amdhsa_system_sgpr_workgroup_id_z 0
		.amdhsa_system_sgpr_workgroup_info 0
		.amdhsa_system_vgpr_workitem_id 0
		.amdhsa_next_free_vgpr 1
		.amdhsa_next_free_sgpr 1
		.amdhsa_reserve_vcc 0
		.amdhsa_reserve_flat_scratch 0
		.amdhsa_float_round_mode_32 0
		.amdhsa_float_round_mode_16_64 0
		.amdhsa_float_denorm_mode_32 3
		.amdhsa_float_denorm_mode_16_64 3
		.amdhsa_dx10_clamp 1
		.amdhsa_ieee_mode 1
		.amdhsa_fp16_overflow 0
		.amdhsa_workgroup_processor_mode 1
		.amdhsa_memory_ordered 1
		.amdhsa_forward_progress 1
		.amdhsa_shared_vgpr_count 0
		.amdhsa_exception_fp_ieee_invalid_op 0
		.amdhsa_exception_fp_denorm_src 0
		.amdhsa_exception_fp_ieee_div_zero 0
		.amdhsa_exception_fp_ieee_overflow 0
		.amdhsa_exception_fp_ieee_underflow 0
		.amdhsa_exception_fp_ieee_inexact 0
		.amdhsa_exception_int_div_zero 0
	.end_amdhsa_kernel
	.section	.text._ZN7rocprim17ROCPRIM_400000_NS6detail17trampoline_kernelINS0_14default_configENS1_36segmented_radix_sort_config_selectorIilEEZNS1_25segmented_radix_sort_implIS3_Lb1EPKiPiPKlPlN2at6native12_GLOBAL__N_18offset_tEEE10hipError_tPvRmT1_PNSt15iterator_traitsISK_E10value_typeET2_T3_PNSL_ISQ_E10value_typeET4_jRbjT5_SW_jjP12ihipStream_tbEUlT_E0_NS1_11comp_targetILNS1_3genE4ELNS1_11target_archE910ELNS1_3gpuE8ELNS1_3repE0EEENS1_60segmented_radix_sort_warp_sort_medium_config_static_selectorELNS0_4arch9wavefront6targetE0EEEvSK_,"axG",@progbits,_ZN7rocprim17ROCPRIM_400000_NS6detail17trampoline_kernelINS0_14default_configENS1_36segmented_radix_sort_config_selectorIilEEZNS1_25segmented_radix_sort_implIS3_Lb1EPKiPiPKlPlN2at6native12_GLOBAL__N_18offset_tEEE10hipError_tPvRmT1_PNSt15iterator_traitsISK_E10value_typeET2_T3_PNSL_ISQ_E10value_typeET4_jRbjT5_SW_jjP12ihipStream_tbEUlT_E0_NS1_11comp_targetILNS1_3genE4ELNS1_11target_archE910ELNS1_3gpuE8ELNS1_3repE0EEENS1_60segmented_radix_sort_warp_sort_medium_config_static_selectorELNS0_4arch9wavefront6targetE0EEEvSK_,comdat
.Lfunc_end505:
	.size	_ZN7rocprim17ROCPRIM_400000_NS6detail17trampoline_kernelINS0_14default_configENS1_36segmented_radix_sort_config_selectorIilEEZNS1_25segmented_radix_sort_implIS3_Lb1EPKiPiPKlPlN2at6native12_GLOBAL__N_18offset_tEEE10hipError_tPvRmT1_PNSt15iterator_traitsISK_E10value_typeET2_T3_PNSL_ISQ_E10value_typeET4_jRbjT5_SW_jjP12ihipStream_tbEUlT_E0_NS1_11comp_targetILNS1_3genE4ELNS1_11target_archE910ELNS1_3gpuE8ELNS1_3repE0EEENS1_60segmented_radix_sort_warp_sort_medium_config_static_selectorELNS0_4arch9wavefront6targetE0EEEvSK_, .Lfunc_end505-_ZN7rocprim17ROCPRIM_400000_NS6detail17trampoline_kernelINS0_14default_configENS1_36segmented_radix_sort_config_selectorIilEEZNS1_25segmented_radix_sort_implIS3_Lb1EPKiPiPKlPlN2at6native12_GLOBAL__N_18offset_tEEE10hipError_tPvRmT1_PNSt15iterator_traitsISK_E10value_typeET2_T3_PNSL_ISQ_E10value_typeET4_jRbjT5_SW_jjP12ihipStream_tbEUlT_E0_NS1_11comp_targetILNS1_3genE4ELNS1_11target_archE910ELNS1_3gpuE8ELNS1_3repE0EEENS1_60segmented_radix_sort_warp_sort_medium_config_static_selectorELNS0_4arch9wavefront6targetE0EEEvSK_
                                        ; -- End function
	.set _ZN7rocprim17ROCPRIM_400000_NS6detail17trampoline_kernelINS0_14default_configENS1_36segmented_radix_sort_config_selectorIilEEZNS1_25segmented_radix_sort_implIS3_Lb1EPKiPiPKlPlN2at6native12_GLOBAL__N_18offset_tEEE10hipError_tPvRmT1_PNSt15iterator_traitsISK_E10value_typeET2_T3_PNSL_ISQ_E10value_typeET4_jRbjT5_SW_jjP12ihipStream_tbEUlT_E0_NS1_11comp_targetILNS1_3genE4ELNS1_11target_archE910ELNS1_3gpuE8ELNS1_3repE0EEENS1_60segmented_radix_sort_warp_sort_medium_config_static_selectorELNS0_4arch9wavefront6targetE0EEEvSK_.num_vgpr, 0
	.set _ZN7rocprim17ROCPRIM_400000_NS6detail17trampoline_kernelINS0_14default_configENS1_36segmented_radix_sort_config_selectorIilEEZNS1_25segmented_radix_sort_implIS3_Lb1EPKiPiPKlPlN2at6native12_GLOBAL__N_18offset_tEEE10hipError_tPvRmT1_PNSt15iterator_traitsISK_E10value_typeET2_T3_PNSL_ISQ_E10value_typeET4_jRbjT5_SW_jjP12ihipStream_tbEUlT_E0_NS1_11comp_targetILNS1_3genE4ELNS1_11target_archE910ELNS1_3gpuE8ELNS1_3repE0EEENS1_60segmented_radix_sort_warp_sort_medium_config_static_selectorELNS0_4arch9wavefront6targetE0EEEvSK_.num_agpr, 0
	.set _ZN7rocprim17ROCPRIM_400000_NS6detail17trampoline_kernelINS0_14default_configENS1_36segmented_radix_sort_config_selectorIilEEZNS1_25segmented_radix_sort_implIS3_Lb1EPKiPiPKlPlN2at6native12_GLOBAL__N_18offset_tEEE10hipError_tPvRmT1_PNSt15iterator_traitsISK_E10value_typeET2_T3_PNSL_ISQ_E10value_typeET4_jRbjT5_SW_jjP12ihipStream_tbEUlT_E0_NS1_11comp_targetILNS1_3genE4ELNS1_11target_archE910ELNS1_3gpuE8ELNS1_3repE0EEENS1_60segmented_radix_sort_warp_sort_medium_config_static_selectorELNS0_4arch9wavefront6targetE0EEEvSK_.numbered_sgpr, 0
	.set _ZN7rocprim17ROCPRIM_400000_NS6detail17trampoline_kernelINS0_14default_configENS1_36segmented_radix_sort_config_selectorIilEEZNS1_25segmented_radix_sort_implIS3_Lb1EPKiPiPKlPlN2at6native12_GLOBAL__N_18offset_tEEE10hipError_tPvRmT1_PNSt15iterator_traitsISK_E10value_typeET2_T3_PNSL_ISQ_E10value_typeET4_jRbjT5_SW_jjP12ihipStream_tbEUlT_E0_NS1_11comp_targetILNS1_3genE4ELNS1_11target_archE910ELNS1_3gpuE8ELNS1_3repE0EEENS1_60segmented_radix_sort_warp_sort_medium_config_static_selectorELNS0_4arch9wavefront6targetE0EEEvSK_.num_named_barrier, 0
	.set _ZN7rocprim17ROCPRIM_400000_NS6detail17trampoline_kernelINS0_14default_configENS1_36segmented_radix_sort_config_selectorIilEEZNS1_25segmented_radix_sort_implIS3_Lb1EPKiPiPKlPlN2at6native12_GLOBAL__N_18offset_tEEE10hipError_tPvRmT1_PNSt15iterator_traitsISK_E10value_typeET2_T3_PNSL_ISQ_E10value_typeET4_jRbjT5_SW_jjP12ihipStream_tbEUlT_E0_NS1_11comp_targetILNS1_3genE4ELNS1_11target_archE910ELNS1_3gpuE8ELNS1_3repE0EEENS1_60segmented_radix_sort_warp_sort_medium_config_static_selectorELNS0_4arch9wavefront6targetE0EEEvSK_.private_seg_size, 0
	.set _ZN7rocprim17ROCPRIM_400000_NS6detail17trampoline_kernelINS0_14default_configENS1_36segmented_radix_sort_config_selectorIilEEZNS1_25segmented_radix_sort_implIS3_Lb1EPKiPiPKlPlN2at6native12_GLOBAL__N_18offset_tEEE10hipError_tPvRmT1_PNSt15iterator_traitsISK_E10value_typeET2_T3_PNSL_ISQ_E10value_typeET4_jRbjT5_SW_jjP12ihipStream_tbEUlT_E0_NS1_11comp_targetILNS1_3genE4ELNS1_11target_archE910ELNS1_3gpuE8ELNS1_3repE0EEENS1_60segmented_radix_sort_warp_sort_medium_config_static_selectorELNS0_4arch9wavefront6targetE0EEEvSK_.uses_vcc, 0
	.set _ZN7rocprim17ROCPRIM_400000_NS6detail17trampoline_kernelINS0_14default_configENS1_36segmented_radix_sort_config_selectorIilEEZNS1_25segmented_radix_sort_implIS3_Lb1EPKiPiPKlPlN2at6native12_GLOBAL__N_18offset_tEEE10hipError_tPvRmT1_PNSt15iterator_traitsISK_E10value_typeET2_T3_PNSL_ISQ_E10value_typeET4_jRbjT5_SW_jjP12ihipStream_tbEUlT_E0_NS1_11comp_targetILNS1_3genE4ELNS1_11target_archE910ELNS1_3gpuE8ELNS1_3repE0EEENS1_60segmented_radix_sort_warp_sort_medium_config_static_selectorELNS0_4arch9wavefront6targetE0EEEvSK_.uses_flat_scratch, 0
	.set _ZN7rocprim17ROCPRIM_400000_NS6detail17trampoline_kernelINS0_14default_configENS1_36segmented_radix_sort_config_selectorIilEEZNS1_25segmented_radix_sort_implIS3_Lb1EPKiPiPKlPlN2at6native12_GLOBAL__N_18offset_tEEE10hipError_tPvRmT1_PNSt15iterator_traitsISK_E10value_typeET2_T3_PNSL_ISQ_E10value_typeET4_jRbjT5_SW_jjP12ihipStream_tbEUlT_E0_NS1_11comp_targetILNS1_3genE4ELNS1_11target_archE910ELNS1_3gpuE8ELNS1_3repE0EEENS1_60segmented_radix_sort_warp_sort_medium_config_static_selectorELNS0_4arch9wavefront6targetE0EEEvSK_.has_dyn_sized_stack, 0
	.set _ZN7rocprim17ROCPRIM_400000_NS6detail17trampoline_kernelINS0_14default_configENS1_36segmented_radix_sort_config_selectorIilEEZNS1_25segmented_radix_sort_implIS3_Lb1EPKiPiPKlPlN2at6native12_GLOBAL__N_18offset_tEEE10hipError_tPvRmT1_PNSt15iterator_traitsISK_E10value_typeET2_T3_PNSL_ISQ_E10value_typeET4_jRbjT5_SW_jjP12ihipStream_tbEUlT_E0_NS1_11comp_targetILNS1_3genE4ELNS1_11target_archE910ELNS1_3gpuE8ELNS1_3repE0EEENS1_60segmented_radix_sort_warp_sort_medium_config_static_selectorELNS0_4arch9wavefront6targetE0EEEvSK_.has_recursion, 0
	.set _ZN7rocprim17ROCPRIM_400000_NS6detail17trampoline_kernelINS0_14default_configENS1_36segmented_radix_sort_config_selectorIilEEZNS1_25segmented_radix_sort_implIS3_Lb1EPKiPiPKlPlN2at6native12_GLOBAL__N_18offset_tEEE10hipError_tPvRmT1_PNSt15iterator_traitsISK_E10value_typeET2_T3_PNSL_ISQ_E10value_typeET4_jRbjT5_SW_jjP12ihipStream_tbEUlT_E0_NS1_11comp_targetILNS1_3genE4ELNS1_11target_archE910ELNS1_3gpuE8ELNS1_3repE0EEENS1_60segmented_radix_sort_warp_sort_medium_config_static_selectorELNS0_4arch9wavefront6targetE0EEEvSK_.has_indirect_call, 0
	.section	.AMDGPU.csdata,"",@progbits
; Kernel info:
; codeLenInByte = 0
; TotalNumSgprs: 0
; NumVgprs: 0
; ScratchSize: 0
; MemoryBound: 0
; FloatMode: 240
; IeeeMode: 1
; LDSByteSize: 0 bytes/workgroup (compile time only)
; SGPRBlocks: 0
; VGPRBlocks: 0
; NumSGPRsForWavesPerEU: 1
; NumVGPRsForWavesPerEU: 1
; Occupancy: 16
; WaveLimiterHint : 0
; COMPUTE_PGM_RSRC2:SCRATCH_EN: 0
; COMPUTE_PGM_RSRC2:USER_SGPR: 6
; COMPUTE_PGM_RSRC2:TRAP_HANDLER: 0
; COMPUTE_PGM_RSRC2:TGID_X_EN: 1
; COMPUTE_PGM_RSRC2:TGID_Y_EN: 0
; COMPUTE_PGM_RSRC2:TGID_Z_EN: 0
; COMPUTE_PGM_RSRC2:TIDIG_COMP_CNT: 0
	.section	.text._ZN7rocprim17ROCPRIM_400000_NS6detail17trampoline_kernelINS0_14default_configENS1_36segmented_radix_sort_config_selectorIilEEZNS1_25segmented_radix_sort_implIS3_Lb1EPKiPiPKlPlN2at6native12_GLOBAL__N_18offset_tEEE10hipError_tPvRmT1_PNSt15iterator_traitsISK_E10value_typeET2_T3_PNSL_ISQ_E10value_typeET4_jRbjT5_SW_jjP12ihipStream_tbEUlT_E0_NS1_11comp_targetILNS1_3genE3ELNS1_11target_archE908ELNS1_3gpuE7ELNS1_3repE0EEENS1_60segmented_radix_sort_warp_sort_medium_config_static_selectorELNS0_4arch9wavefront6targetE0EEEvSK_,"axG",@progbits,_ZN7rocprim17ROCPRIM_400000_NS6detail17trampoline_kernelINS0_14default_configENS1_36segmented_radix_sort_config_selectorIilEEZNS1_25segmented_radix_sort_implIS3_Lb1EPKiPiPKlPlN2at6native12_GLOBAL__N_18offset_tEEE10hipError_tPvRmT1_PNSt15iterator_traitsISK_E10value_typeET2_T3_PNSL_ISQ_E10value_typeET4_jRbjT5_SW_jjP12ihipStream_tbEUlT_E0_NS1_11comp_targetILNS1_3genE3ELNS1_11target_archE908ELNS1_3gpuE7ELNS1_3repE0EEENS1_60segmented_radix_sort_warp_sort_medium_config_static_selectorELNS0_4arch9wavefront6targetE0EEEvSK_,comdat
	.globl	_ZN7rocprim17ROCPRIM_400000_NS6detail17trampoline_kernelINS0_14default_configENS1_36segmented_radix_sort_config_selectorIilEEZNS1_25segmented_radix_sort_implIS3_Lb1EPKiPiPKlPlN2at6native12_GLOBAL__N_18offset_tEEE10hipError_tPvRmT1_PNSt15iterator_traitsISK_E10value_typeET2_T3_PNSL_ISQ_E10value_typeET4_jRbjT5_SW_jjP12ihipStream_tbEUlT_E0_NS1_11comp_targetILNS1_3genE3ELNS1_11target_archE908ELNS1_3gpuE7ELNS1_3repE0EEENS1_60segmented_radix_sort_warp_sort_medium_config_static_selectorELNS0_4arch9wavefront6targetE0EEEvSK_ ; -- Begin function _ZN7rocprim17ROCPRIM_400000_NS6detail17trampoline_kernelINS0_14default_configENS1_36segmented_radix_sort_config_selectorIilEEZNS1_25segmented_radix_sort_implIS3_Lb1EPKiPiPKlPlN2at6native12_GLOBAL__N_18offset_tEEE10hipError_tPvRmT1_PNSt15iterator_traitsISK_E10value_typeET2_T3_PNSL_ISQ_E10value_typeET4_jRbjT5_SW_jjP12ihipStream_tbEUlT_E0_NS1_11comp_targetILNS1_3genE3ELNS1_11target_archE908ELNS1_3gpuE7ELNS1_3repE0EEENS1_60segmented_radix_sort_warp_sort_medium_config_static_selectorELNS0_4arch9wavefront6targetE0EEEvSK_
	.p2align	8
	.type	_ZN7rocprim17ROCPRIM_400000_NS6detail17trampoline_kernelINS0_14default_configENS1_36segmented_radix_sort_config_selectorIilEEZNS1_25segmented_radix_sort_implIS3_Lb1EPKiPiPKlPlN2at6native12_GLOBAL__N_18offset_tEEE10hipError_tPvRmT1_PNSt15iterator_traitsISK_E10value_typeET2_T3_PNSL_ISQ_E10value_typeET4_jRbjT5_SW_jjP12ihipStream_tbEUlT_E0_NS1_11comp_targetILNS1_3genE3ELNS1_11target_archE908ELNS1_3gpuE7ELNS1_3repE0EEENS1_60segmented_radix_sort_warp_sort_medium_config_static_selectorELNS0_4arch9wavefront6targetE0EEEvSK_,@function
_ZN7rocprim17ROCPRIM_400000_NS6detail17trampoline_kernelINS0_14default_configENS1_36segmented_radix_sort_config_selectorIilEEZNS1_25segmented_radix_sort_implIS3_Lb1EPKiPiPKlPlN2at6native12_GLOBAL__N_18offset_tEEE10hipError_tPvRmT1_PNSt15iterator_traitsISK_E10value_typeET2_T3_PNSL_ISQ_E10value_typeET4_jRbjT5_SW_jjP12ihipStream_tbEUlT_E0_NS1_11comp_targetILNS1_3genE3ELNS1_11target_archE908ELNS1_3gpuE7ELNS1_3repE0EEENS1_60segmented_radix_sort_warp_sort_medium_config_static_selectorELNS0_4arch9wavefront6targetE0EEEvSK_: ; @_ZN7rocprim17ROCPRIM_400000_NS6detail17trampoline_kernelINS0_14default_configENS1_36segmented_radix_sort_config_selectorIilEEZNS1_25segmented_radix_sort_implIS3_Lb1EPKiPiPKlPlN2at6native12_GLOBAL__N_18offset_tEEE10hipError_tPvRmT1_PNSt15iterator_traitsISK_E10value_typeET2_T3_PNSL_ISQ_E10value_typeET4_jRbjT5_SW_jjP12ihipStream_tbEUlT_E0_NS1_11comp_targetILNS1_3genE3ELNS1_11target_archE908ELNS1_3gpuE7ELNS1_3repE0EEENS1_60segmented_radix_sort_warp_sort_medium_config_static_selectorELNS0_4arch9wavefront6targetE0EEEvSK_
; %bb.0:
	.section	.rodata,"a",@progbits
	.p2align	6, 0x0
	.amdhsa_kernel _ZN7rocprim17ROCPRIM_400000_NS6detail17trampoline_kernelINS0_14default_configENS1_36segmented_radix_sort_config_selectorIilEEZNS1_25segmented_radix_sort_implIS3_Lb1EPKiPiPKlPlN2at6native12_GLOBAL__N_18offset_tEEE10hipError_tPvRmT1_PNSt15iterator_traitsISK_E10value_typeET2_T3_PNSL_ISQ_E10value_typeET4_jRbjT5_SW_jjP12ihipStream_tbEUlT_E0_NS1_11comp_targetILNS1_3genE3ELNS1_11target_archE908ELNS1_3gpuE7ELNS1_3repE0EEENS1_60segmented_radix_sort_warp_sort_medium_config_static_selectorELNS0_4arch9wavefront6targetE0EEEvSK_
		.amdhsa_group_segment_fixed_size 0
		.amdhsa_private_segment_fixed_size 0
		.amdhsa_kernarg_size 88
		.amdhsa_user_sgpr_count 6
		.amdhsa_user_sgpr_private_segment_buffer 1
		.amdhsa_user_sgpr_dispatch_ptr 0
		.amdhsa_user_sgpr_queue_ptr 0
		.amdhsa_user_sgpr_kernarg_segment_ptr 1
		.amdhsa_user_sgpr_dispatch_id 0
		.amdhsa_user_sgpr_flat_scratch_init 0
		.amdhsa_user_sgpr_private_segment_size 0
		.amdhsa_wavefront_size32 1
		.amdhsa_uses_dynamic_stack 0
		.amdhsa_system_sgpr_private_segment_wavefront_offset 0
		.amdhsa_system_sgpr_workgroup_id_x 1
		.amdhsa_system_sgpr_workgroup_id_y 0
		.amdhsa_system_sgpr_workgroup_id_z 0
		.amdhsa_system_sgpr_workgroup_info 0
		.amdhsa_system_vgpr_workitem_id 0
		.amdhsa_next_free_vgpr 1
		.amdhsa_next_free_sgpr 1
		.amdhsa_reserve_vcc 0
		.amdhsa_reserve_flat_scratch 0
		.amdhsa_float_round_mode_32 0
		.amdhsa_float_round_mode_16_64 0
		.amdhsa_float_denorm_mode_32 3
		.amdhsa_float_denorm_mode_16_64 3
		.amdhsa_dx10_clamp 1
		.amdhsa_ieee_mode 1
		.amdhsa_fp16_overflow 0
		.amdhsa_workgroup_processor_mode 1
		.amdhsa_memory_ordered 1
		.amdhsa_forward_progress 1
		.amdhsa_shared_vgpr_count 0
		.amdhsa_exception_fp_ieee_invalid_op 0
		.amdhsa_exception_fp_denorm_src 0
		.amdhsa_exception_fp_ieee_div_zero 0
		.amdhsa_exception_fp_ieee_overflow 0
		.amdhsa_exception_fp_ieee_underflow 0
		.amdhsa_exception_fp_ieee_inexact 0
		.amdhsa_exception_int_div_zero 0
	.end_amdhsa_kernel
	.section	.text._ZN7rocprim17ROCPRIM_400000_NS6detail17trampoline_kernelINS0_14default_configENS1_36segmented_radix_sort_config_selectorIilEEZNS1_25segmented_radix_sort_implIS3_Lb1EPKiPiPKlPlN2at6native12_GLOBAL__N_18offset_tEEE10hipError_tPvRmT1_PNSt15iterator_traitsISK_E10value_typeET2_T3_PNSL_ISQ_E10value_typeET4_jRbjT5_SW_jjP12ihipStream_tbEUlT_E0_NS1_11comp_targetILNS1_3genE3ELNS1_11target_archE908ELNS1_3gpuE7ELNS1_3repE0EEENS1_60segmented_radix_sort_warp_sort_medium_config_static_selectorELNS0_4arch9wavefront6targetE0EEEvSK_,"axG",@progbits,_ZN7rocprim17ROCPRIM_400000_NS6detail17trampoline_kernelINS0_14default_configENS1_36segmented_radix_sort_config_selectorIilEEZNS1_25segmented_radix_sort_implIS3_Lb1EPKiPiPKlPlN2at6native12_GLOBAL__N_18offset_tEEE10hipError_tPvRmT1_PNSt15iterator_traitsISK_E10value_typeET2_T3_PNSL_ISQ_E10value_typeET4_jRbjT5_SW_jjP12ihipStream_tbEUlT_E0_NS1_11comp_targetILNS1_3genE3ELNS1_11target_archE908ELNS1_3gpuE7ELNS1_3repE0EEENS1_60segmented_radix_sort_warp_sort_medium_config_static_selectorELNS0_4arch9wavefront6targetE0EEEvSK_,comdat
.Lfunc_end506:
	.size	_ZN7rocprim17ROCPRIM_400000_NS6detail17trampoline_kernelINS0_14default_configENS1_36segmented_radix_sort_config_selectorIilEEZNS1_25segmented_radix_sort_implIS3_Lb1EPKiPiPKlPlN2at6native12_GLOBAL__N_18offset_tEEE10hipError_tPvRmT1_PNSt15iterator_traitsISK_E10value_typeET2_T3_PNSL_ISQ_E10value_typeET4_jRbjT5_SW_jjP12ihipStream_tbEUlT_E0_NS1_11comp_targetILNS1_3genE3ELNS1_11target_archE908ELNS1_3gpuE7ELNS1_3repE0EEENS1_60segmented_radix_sort_warp_sort_medium_config_static_selectorELNS0_4arch9wavefront6targetE0EEEvSK_, .Lfunc_end506-_ZN7rocprim17ROCPRIM_400000_NS6detail17trampoline_kernelINS0_14default_configENS1_36segmented_radix_sort_config_selectorIilEEZNS1_25segmented_radix_sort_implIS3_Lb1EPKiPiPKlPlN2at6native12_GLOBAL__N_18offset_tEEE10hipError_tPvRmT1_PNSt15iterator_traitsISK_E10value_typeET2_T3_PNSL_ISQ_E10value_typeET4_jRbjT5_SW_jjP12ihipStream_tbEUlT_E0_NS1_11comp_targetILNS1_3genE3ELNS1_11target_archE908ELNS1_3gpuE7ELNS1_3repE0EEENS1_60segmented_radix_sort_warp_sort_medium_config_static_selectorELNS0_4arch9wavefront6targetE0EEEvSK_
                                        ; -- End function
	.set _ZN7rocprim17ROCPRIM_400000_NS6detail17trampoline_kernelINS0_14default_configENS1_36segmented_radix_sort_config_selectorIilEEZNS1_25segmented_radix_sort_implIS3_Lb1EPKiPiPKlPlN2at6native12_GLOBAL__N_18offset_tEEE10hipError_tPvRmT1_PNSt15iterator_traitsISK_E10value_typeET2_T3_PNSL_ISQ_E10value_typeET4_jRbjT5_SW_jjP12ihipStream_tbEUlT_E0_NS1_11comp_targetILNS1_3genE3ELNS1_11target_archE908ELNS1_3gpuE7ELNS1_3repE0EEENS1_60segmented_radix_sort_warp_sort_medium_config_static_selectorELNS0_4arch9wavefront6targetE0EEEvSK_.num_vgpr, 0
	.set _ZN7rocprim17ROCPRIM_400000_NS6detail17trampoline_kernelINS0_14default_configENS1_36segmented_radix_sort_config_selectorIilEEZNS1_25segmented_radix_sort_implIS3_Lb1EPKiPiPKlPlN2at6native12_GLOBAL__N_18offset_tEEE10hipError_tPvRmT1_PNSt15iterator_traitsISK_E10value_typeET2_T3_PNSL_ISQ_E10value_typeET4_jRbjT5_SW_jjP12ihipStream_tbEUlT_E0_NS1_11comp_targetILNS1_3genE3ELNS1_11target_archE908ELNS1_3gpuE7ELNS1_3repE0EEENS1_60segmented_radix_sort_warp_sort_medium_config_static_selectorELNS0_4arch9wavefront6targetE0EEEvSK_.num_agpr, 0
	.set _ZN7rocprim17ROCPRIM_400000_NS6detail17trampoline_kernelINS0_14default_configENS1_36segmented_radix_sort_config_selectorIilEEZNS1_25segmented_radix_sort_implIS3_Lb1EPKiPiPKlPlN2at6native12_GLOBAL__N_18offset_tEEE10hipError_tPvRmT1_PNSt15iterator_traitsISK_E10value_typeET2_T3_PNSL_ISQ_E10value_typeET4_jRbjT5_SW_jjP12ihipStream_tbEUlT_E0_NS1_11comp_targetILNS1_3genE3ELNS1_11target_archE908ELNS1_3gpuE7ELNS1_3repE0EEENS1_60segmented_radix_sort_warp_sort_medium_config_static_selectorELNS0_4arch9wavefront6targetE0EEEvSK_.numbered_sgpr, 0
	.set _ZN7rocprim17ROCPRIM_400000_NS6detail17trampoline_kernelINS0_14default_configENS1_36segmented_radix_sort_config_selectorIilEEZNS1_25segmented_radix_sort_implIS3_Lb1EPKiPiPKlPlN2at6native12_GLOBAL__N_18offset_tEEE10hipError_tPvRmT1_PNSt15iterator_traitsISK_E10value_typeET2_T3_PNSL_ISQ_E10value_typeET4_jRbjT5_SW_jjP12ihipStream_tbEUlT_E0_NS1_11comp_targetILNS1_3genE3ELNS1_11target_archE908ELNS1_3gpuE7ELNS1_3repE0EEENS1_60segmented_radix_sort_warp_sort_medium_config_static_selectorELNS0_4arch9wavefront6targetE0EEEvSK_.num_named_barrier, 0
	.set _ZN7rocprim17ROCPRIM_400000_NS6detail17trampoline_kernelINS0_14default_configENS1_36segmented_radix_sort_config_selectorIilEEZNS1_25segmented_radix_sort_implIS3_Lb1EPKiPiPKlPlN2at6native12_GLOBAL__N_18offset_tEEE10hipError_tPvRmT1_PNSt15iterator_traitsISK_E10value_typeET2_T3_PNSL_ISQ_E10value_typeET4_jRbjT5_SW_jjP12ihipStream_tbEUlT_E0_NS1_11comp_targetILNS1_3genE3ELNS1_11target_archE908ELNS1_3gpuE7ELNS1_3repE0EEENS1_60segmented_radix_sort_warp_sort_medium_config_static_selectorELNS0_4arch9wavefront6targetE0EEEvSK_.private_seg_size, 0
	.set _ZN7rocprim17ROCPRIM_400000_NS6detail17trampoline_kernelINS0_14default_configENS1_36segmented_radix_sort_config_selectorIilEEZNS1_25segmented_radix_sort_implIS3_Lb1EPKiPiPKlPlN2at6native12_GLOBAL__N_18offset_tEEE10hipError_tPvRmT1_PNSt15iterator_traitsISK_E10value_typeET2_T3_PNSL_ISQ_E10value_typeET4_jRbjT5_SW_jjP12ihipStream_tbEUlT_E0_NS1_11comp_targetILNS1_3genE3ELNS1_11target_archE908ELNS1_3gpuE7ELNS1_3repE0EEENS1_60segmented_radix_sort_warp_sort_medium_config_static_selectorELNS0_4arch9wavefront6targetE0EEEvSK_.uses_vcc, 0
	.set _ZN7rocprim17ROCPRIM_400000_NS6detail17trampoline_kernelINS0_14default_configENS1_36segmented_radix_sort_config_selectorIilEEZNS1_25segmented_radix_sort_implIS3_Lb1EPKiPiPKlPlN2at6native12_GLOBAL__N_18offset_tEEE10hipError_tPvRmT1_PNSt15iterator_traitsISK_E10value_typeET2_T3_PNSL_ISQ_E10value_typeET4_jRbjT5_SW_jjP12ihipStream_tbEUlT_E0_NS1_11comp_targetILNS1_3genE3ELNS1_11target_archE908ELNS1_3gpuE7ELNS1_3repE0EEENS1_60segmented_radix_sort_warp_sort_medium_config_static_selectorELNS0_4arch9wavefront6targetE0EEEvSK_.uses_flat_scratch, 0
	.set _ZN7rocprim17ROCPRIM_400000_NS6detail17trampoline_kernelINS0_14default_configENS1_36segmented_radix_sort_config_selectorIilEEZNS1_25segmented_radix_sort_implIS3_Lb1EPKiPiPKlPlN2at6native12_GLOBAL__N_18offset_tEEE10hipError_tPvRmT1_PNSt15iterator_traitsISK_E10value_typeET2_T3_PNSL_ISQ_E10value_typeET4_jRbjT5_SW_jjP12ihipStream_tbEUlT_E0_NS1_11comp_targetILNS1_3genE3ELNS1_11target_archE908ELNS1_3gpuE7ELNS1_3repE0EEENS1_60segmented_radix_sort_warp_sort_medium_config_static_selectorELNS0_4arch9wavefront6targetE0EEEvSK_.has_dyn_sized_stack, 0
	.set _ZN7rocprim17ROCPRIM_400000_NS6detail17trampoline_kernelINS0_14default_configENS1_36segmented_radix_sort_config_selectorIilEEZNS1_25segmented_radix_sort_implIS3_Lb1EPKiPiPKlPlN2at6native12_GLOBAL__N_18offset_tEEE10hipError_tPvRmT1_PNSt15iterator_traitsISK_E10value_typeET2_T3_PNSL_ISQ_E10value_typeET4_jRbjT5_SW_jjP12ihipStream_tbEUlT_E0_NS1_11comp_targetILNS1_3genE3ELNS1_11target_archE908ELNS1_3gpuE7ELNS1_3repE0EEENS1_60segmented_radix_sort_warp_sort_medium_config_static_selectorELNS0_4arch9wavefront6targetE0EEEvSK_.has_recursion, 0
	.set _ZN7rocprim17ROCPRIM_400000_NS6detail17trampoline_kernelINS0_14default_configENS1_36segmented_radix_sort_config_selectorIilEEZNS1_25segmented_radix_sort_implIS3_Lb1EPKiPiPKlPlN2at6native12_GLOBAL__N_18offset_tEEE10hipError_tPvRmT1_PNSt15iterator_traitsISK_E10value_typeET2_T3_PNSL_ISQ_E10value_typeET4_jRbjT5_SW_jjP12ihipStream_tbEUlT_E0_NS1_11comp_targetILNS1_3genE3ELNS1_11target_archE908ELNS1_3gpuE7ELNS1_3repE0EEENS1_60segmented_radix_sort_warp_sort_medium_config_static_selectorELNS0_4arch9wavefront6targetE0EEEvSK_.has_indirect_call, 0
	.section	.AMDGPU.csdata,"",@progbits
; Kernel info:
; codeLenInByte = 0
; TotalNumSgprs: 0
; NumVgprs: 0
; ScratchSize: 0
; MemoryBound: 0
; FloatMode: 240
; IeeeMode: 1
; LDSByteSize: 0 bytes/workgroup (compile time only)
; SGPRBlocks: 0
; VGPRBlocks: 0
; NumSGPRsForWavesPerEU: 1
; NumVGPRsForWavesPerEU: 1
; Occupancy: 16
; WaveLimiterHint : 0
; COMPUTE_PGM_RSRC2:SCRATCH_EN: 0
; COMPUTE_PGM_RSRC2:USER_SGPR: 6
; COMPUTE_PGM_RSRC2:TRAP_HANDLER: 0
; COMPUTE_PGM_RSRC2:TGID_X_EN: 1
; COMPUTE_PGM_RSRC2:TGID_Y_EN: 0
; COMPUTE_PGM_RSRC2:TGID_Z_EN: 0
; COMPUTE_PGM_RSRC2:TIDIG_COMP_CNT: 0
	.section	.text._ZN7rocprim17ROCPRIM_400000_NS6detail17trampoline_kernelINS0_14default_configENS1_36segmented_radix_sort_config_selectorIilEEZNS1_25segmented_radix_sort_implIS3_Lb1EPKiPiPKlPlN2at6native12_GLOBAL__N_18offset_tEEE10hipError_tPvRmT1_PNSt15iterator_traitsISK_E10value_typeET2_T3_PNSL_ISQ_E10value_typeET4_jRbjT5_SW_jjP12ihipStream_tbEUlT_E0_NS1_11comp_targetILNS1_3genE2ELNS1_11target_archE906ELNS1_3gpuE6ELNS1_3repE0EEENS1_60segmented_radix_sort_warp_sort_medium_config_static_selectorELNS0_4arch9wavefront6targetE0EEEvSK_,"axG",@progbits,_ZN7rocprim17ROCPRIM_400000_NS6detail17trampoline_kernelINS0_14default_configENS1_36segmented_radix_sort_config_selectorIilEEZNS1_25segmented_radix_sort_implIS3_Lb1EPKiPiPKlPlN2at6native12_GLOBAL__N_18offset_tEEE10hipError_tPvRmT1_PNSt15iterator_traitsISK_E10value_typeET2_T3_PNSL_ISQ_E10value_typeET4_jRbjT5_SW_jjP12ihipStream_tbEUlT_E0_NS1_11comp_targetILNS1_3genE2ELNS1_11target_archE906ELNS1_3gpuE6ELNS1_3repE0EEENS1_60segmented_radix_sort_warp_sort_medium_config_static_selectorELNS0_4arch9wavefront6targetE0EEEvSK_,comdat
	.globl	_ZN7rocprim17ROCPRIM_400000_NS6detail17trampoline_kernelINS0_14default_configENS1_36segmented_radix_sort_config_selectorIilEEZNS1_25segmented_radix_sort_implIS3_Lb1EPKiPiPKlPlN2at6native12_GLOBAL__N_18offset_tEEE10hipError_tPvRmT1_PNSt15iterator_traitsISK_E10value_typeET2_T3_PNSL_ISQ_E10value_typeET4_jRbjT5_SW_jjP12ihipStream_tbEUlT_E0_NS1_11comp_targetILNS1_3genE2ELNS1_11target_archE906ELNS1_3gpuE6ELNS1_3repE0EEENS1_60segmented_radix_sort_warp_sort_medium_config_static_selectorELNS0_4arch9wavefront6targetE0EEEvSK_ ; -- Begin function _ZN7rocprim17ROCPRIM_400000_NS6detail17trampoline_kernelINS0_14default_configENS1_36segmented_radix_sort_config_selectorIilEEZNS1_25segmented_radix_sort_implIS3_Lb1EPKiPiPKlPlN2at6native12_GLOBAL__N_18offset_tEEE10hipError_tPvRmT1_PNSt15iterator_traitsISK_E10value_typeET2_T3_PNSL_ISQ_E10value_typeET4_jRbjT5_SW_jjP12ihipStream_tbEUlT_E0_NS1_11comp_targetILNS1_3genE2ELNS1_11target_archE906ELNS1_3gpuE6ELNS1_3repE0EEENS1_60segmented_radix_sort_warp_sort_medium_config_static_selectorELNS0_4arch9wavefront6targetE0EEEvSK_
	.p2align	8
	.type	_ZN7rocprim17ROCPRIM_400000_NS6detail17trampoline_kernelINS0_14default_configENS1_36segmented_radix_sort_config_selectorIilEEZNS1_25segmented_radix_sort_implIS3_Lb1EPKiPiPKlPlN2at6native12_GLOBAL__N_18offset_tEEE10hipError_tPvRmT1_PNSt15iterator_traitsISK_E10value_typeET2_T3_PNSL_ISQ_E10value_typeET4_jRbjT5_SW_jjP12ihipStream_tbEUlT_E0_NS1_11comp_targetILNS1_3genE2ELNS1_11target_archE906ELNS1_3gpuE6ELNS1_3repE0EEENS1_60segmented_radix_sort_warp_sort_medium_config_static_selectorELNS0_4arch9wavefront6targetE0EEEvSK_,@function
_ZN7rocprim17ROCPRIM_400000_NS6detail17trampoline_kernelINS0_14default_configENS1_36segmented_radix_sort_config_selectorIilEEZNS1_25segmented_radix_sort_implIS3_Lb1EPKiPiPKlPlN2at6native12_GLOBAL__N_18offset_tEEE10hipError_tPvRmT1_PNSt15iterator_traitsISK_E10value_typeET2_T3_PNSL_ISQ_E10value_typeET4_jRbjT5_SW_jjP12ihipStream_tbEUlT_E0_NS1_11comp_targetILNS1_3genE2ELNS1_11target_archE906ELNS1_3gpuE6ELNS1_3repE0EEENS1_60segmented_radix_sort_warp_sort_medium_config_static_selectorELNS0_4arch9wavefront6targetE0EEEvSK_: ; @_ZN7rocprim17ROCPRIM_400000_NS6detail17trampoline_kernelINS0_14default_configENS1_36segmented_radix_sort_config_selectorIilEEZNS1_25segmented_radix_sort_implIS3_Lb1EPKiPiPKlPlN2at6native12_GLOBAL__N_18offset_tEEE10hipError_tPvRmT1_PNSt15iterator_traitsISK_E10value_typeET2_T3_PNSL_ISQ_E10value_typeET4_jRbjT5_SW_jjP12ihipStream_tbEUlT_E0_NS1_11comp_targetILNS1_3genE2ELNS1_11target_archE906ELNS1_3gpuE6ELNS1_3repE0EEENS1_60segmented_radix_sort_warp_sort_medium_config_static_selectorELNS0_4arch9wavefront6targetE0EEEvSK_
; %bb.0:
	.section	.rodata,"a",@progbits
	.p2align	6, 0x0
	.amdhsa_kernel _ZN7rocprim17ROCPRIM_400000_NS6detail17trampoline_kernelINS0_14default_configENS1_36segmented_radix_sort_config_selectorIilEEZNS1_25segmented_radix_sort_implIS3_Lb1EPKiPiPKlPlN2at6native12_GLOBAL__N_18offset_tEEE10hipError_tPvRmT1_PNSt15iterator_traitsISK_E10value_typeET2_T3_PNSL_ISQ_E10value_typeET4_jRbjT5_SW_jjP12ihipStream_tbEUlT_E0_NS1_11comp_targetILNS1_3genE2ELNS1_11target_archE906ELNS1_3gpuE6ELNS1_3repE0EEENS1_60segmented_radix_sort_warp_sort_medium_config_static_selectorELNS0_4arch9wavefront6targetE0EEEvSK_
		.amdhsa_group_segment_fixed_size 0
		.amdhsa_private_segment_fixed_size 0
		.amdhsa_kernarg_size 88
		.amdhsa_user_sgpr_count 6
		.amdhsa_user_sgpr_private_segment_buffer 1
		.amdhsa_user_sgpr_dispatch_ptr 0
		.amdhsa_user_sgpr_queue_ptr 0
		.amdhsa_user_sgpr_kernarg_segment_ptr 1
		.amdhsa_user_sgpr_dispatch_id 0
		.amdhsa_user_sgpr_flat_scratch_init 0
		.amdhsa_user_sgpr_private_segment_size 0
		.amdhsa_wavefront_size32 1
		.amdhsa_uses_dynamic_stack 0
		.amdhsa_system_sgpr_private_segment_wavefront_offset 0
		.amdhsa_system_sgpr_workgroup_id_x 1
		.amdhsa_system_sgpr_workgroup_id_y 0
		.amdhsa_system_sgpr_workgroup_id_z 0
		.amdhsa_system_sgpr_workgroup_info 0
		.amdhsa_system_vgpr_workitem_id 0
		.amdhsa_next_free_vgpr 1
		.amdhsa_next_free_sgpr 1
		.amdhsa_reserve_vcc 0
		.amdhsa_reserve_flat_scratch 0
		.amdhsa_float_round_mode_32 0
		.amdhsa_float_round_mode_16_64 0
		.amdhsa_float_denorm_mode_32 3
		.amdhsa_float_denorm_mode_16_64 3
		.amdhsa_dx10_clamp 1
		.amdhsa_ieee_mode 1
		.amdhsa_fp16_overflow 0
		.amdhsa_workgroup_processor_mode 1
		.amdhsa_memory_ordered 1
		.amdhsa_forward_progress 1
		.amdhsa_shared_vgpr_count 0
		.amdhsa_exception_fp_ieee_invalid_op 0
		.amdhsa_exception_fp_denorm_src 0
		.amdhsa_exception_fp_ieee_div_zero 0
		.amdhsa_exception_fp_ieee_overflow 0
		.amdhsa_exception_fp_ieee_underflow 0
		.amdhsa_exception_fp_ieee_inexact 0
		.amdhsa_exception_int_div_zero 0
	.end_amdhsa_kernel
	.section	.text._ZN7rocprim17ROCPRIM_400000_NS6detail17trampoline_kernelINS0_14default_configENS1_36segmented_radix_sort_config_selectorIilEEZNS1_25segmented_radix_sort_implIS3_Lb1EPKiPiPKlPlN2at6native12_GLOBAL__N_18offset_tEEE10hipError_tPvRmT1_PNSt15iterator_traitsISK_E10value_typeET2_T3_PNSL_ISQ_E10value_typeET4_jRbjT5_SW_jjP12ihipStream_tbEUlT_E0_NS1_11comp_targetILNS1_3genE2ELNS1_11target_archE906ELNS1_3gpuE6ELNS1_3repE0EEENS1_60segmented_radix_sort_warp_sort_medium_config_static_selectorELNS0_4arch9wavefront6targetE0EEEvSK_,"axG",@progbits,_ZN7rocprim17ROCPRIM_400000_NS6detail17trampoline_kernelINS0_14default_configENS1_36segmented_radix_sort_config_selectorIilEEZNS1_25segmented_radix_sort_implIS3_Lb1EPKiPiPKlPlN2at6native12_GLOBAL__N_18offset_tEEE10hipError_tPvRmT1_PNSt15iterator_traitsISK_E10value_typeET2_T3_PNSL_ISQ_E10value_typeET4_jRbjT5_SW_jjP12ihipStream_tbEUlT_E0_NS1_11comp_targetILNS1_3genE2ELNS1_11target_archE906ELNS1_3gpuE6ELNS1_3repE0EEENS1_60segmented_radix_sort_warp_sort_medium_config_static_selectorELNS0_4arch9wavefront6targetE0EEEvSK_,comdat
.Lfunc_end507:
	.size	_ZN7rocprim17ROCPRIM_400000_NS6detail17trampoline_kernelINS0_14default_configENS1_36segmented_radix_sort_config_selectorIilEEZNS1_25segmented_radix_sort_implIS3_Lb1EPKiPiPKlPlN2at6native12_GLOBAL__N_18offset_tEEE10hipError_tPvRmT1_PNSt15iterator_traitsISK_E10value_typeET2_T3_PNSL_ISQ_E10value_typeET4_jRbjT5_SW_jjP12ihipStream_tbEUlT_E0_NS1_11comp_targetILNS1_3genE2ELNS1_11target_archE906ELNS1_3gpuE6ELNS1_3repE0EEENS1_60segmented_radix_sort_warp_sort_medium_config_static_selectorELNS0_4arch9wavefront6targetE0EEEvSK_, .Lfunc_end507-_ZN7rocprim17ROCPRIM_400000_NS6detail17trampoline_kernelINS0_14default_configENS1_36segmented_radix_sort_config_selectorIilEEZNS1_25segmented_radix_sort_implIS3_Lb1EPKiPiPKlPlN2at6native12_GLOBAL__N_18offset_tEEE10hipError_tPvRmT1_PNSt15iterator_traitsISK_E10value_typeET2_T3_PNSL_ISQ_E10value_typeET4_jRbjT5_SW_jjP12ihipStream_tbEUlT_E0_NS1_11comp_targetILNS1_3genE2ELNS1_11target_archE906ELNS1_3gpuE6ELNS1_3repE0EEENS1_60segmented_radix_sort_warp_sort_medium_config_static_selectorELNS0_4arch9wavefront6targetE0EEEvSK_
                                        ; -- End function
	.set _ZN7rocprim17ROCPRIM_400000_NS6detail17trampoline_kernelINS0_14default_configENS1_36segmented_radix_sort_config_selectorIilEEZNS1_25segmented_radix_sort_implIS3_Lb1EPKiPiPKlPlN2at6native12_GLOBAL__N_18offset_tEEE10hipError_tPvRmT1_PNSt15iterator_traitsISK_E10value_typeET2_T3_PNSL_ISQ_E10value_typeET4_jRbjT5_SW_jjP12ihipStream_tbEUlT_E0_NS1_11comp_targetILNS1_3genE2ELNS1_11target_archE906ELNS1_3gpuE6ELNS1_3repE0EEENS1_60segmented_radix_sort_warp_sort_medium_config_static_selectorELNS0_4arch9wavefront6targetE0EEEvSK_.num_vgpr, 0
	.set _ZN7rocprim17ROCPRIM_400000_NS6detail17trampoline_kernelINS0_14default_configENS1_36segmented_radix_sort_config_selectorIilEEZNS1_25segmented_radix_sort_implIS3_Lb1EPKiPiPKlPlN2at6native12_GLOBAL__N_18offset_tEEE10hipError_tPvRmT1_PNSt15iterator_traitsISK_E10value_typeET2_T3_PNSL_ISQ_E10value_typeET4_jRbjT5_SW_jjP12ihipStream_tbEUlT_E0_NS1_11comp_targetILNS1_3genE2ELNS1_11target_archE906ELNS1_3gpuE6ELNS1_3repE0EEENS1_60segmented_radix_sort_warp_sort_medium_config_static_selectorELNS0_4arch9wavefront6targetE0EEEvSK_.num_agpr, 0
	.set _ZN7rocprim17ROCPRIM_400000_NS6detail17trampoline_kernelINS0_14default_configENS1_36segmented_radix_sort_config_selectorIilEEZNS1_25segmented_radix_sort_implIS3_Lb1EPKiPiPKlPlN2at6native12_GLOBAL__N_18offset_tEEE10hipError_tPvRmT1_PNSt15iterator_traitsISK_E10value_typeET2_T3_PNSL_ISQ_E10value_typeET4_jRbjT5_SW_jjP12ihipStream_tbEUlT_E0_NS1_11comp_targetILNS1_3genE2ELNS1_11target_archE906ELNS1_3gpuE6ELNS1_3repE0EEENS1_60segmented_radix_sort_warp_sort_medium_config_static_selectorELNS0_4arch9wavefront6targetE0EEEvSK_.numbered_sgpr, 0
	.set _ZN7rocprim17ROCPRIM_400000_NS6detail17trampoline_kernelINS0_14default_configENS1_36segmented_radix_sort_config_selectorIilEEZNS1_25segmented_radix_sort_implIS3_Lb1EPKiPiPKlPlN2at6native12_GLOBAL__N_18offset_tEEE10hipError_tPvRmT1_PNSt15iterator_traitsISK_E10value_typeET2_T3_PNSL_ISQ_E10value_typeET4_jRbjT5_SW_jjP12ihipStream_tbEUlT_E0_NS1_11comp_targetILNS1_3genE2ELNS1_11target_archE906ELNS1_3gpuE6ELNS1_3repE0EEENS1_60segmented_radix_sort_warp_sort_medium_config_static_selectorELNS0_4arch9wavefront6targetE0EEEvSK_.num_named_barrier, 0
	.set _ZN7rocprim17ROCPRIM_400000_NS6detail17trampoline_kernelINS0_14default_configENS1_36segmented_radix_sort_config_selectorIilEEZNS1_25segmented_radix_sort_implIS3_Lb1EPKiPiPKlPlN2at6native12_GLOBAL__N_18offset_tEEE10hipError_tPvRmT1_PNSt15iterator_traitsISK_E10value_typeET2_T3_PNSL_ISQ_E10value_typeET4_jRbjT5_SW_jjP12ihipStream_tbEUlT_E0_NS1_11comp_targetILNS1_3genE2ELNS1_11target_archE906ELNS1_3gpuE6ELNS1_3repE0EEENS1_60segmented_radix_sort_warp_sort_medium_config_static_selectorELNS0_4arch9wavefront6targetE0EEEvSK_.private_seg_size, 0
	.set _ZN7rocprim17ROCPRIM_400000_NS6detail17trampoline_kernelINS0_14default_configENS1_36segmented_radix_sort_config_selectorIilEEZNS1_25segmented_radix_sort_implIS3_Lb1EPKiPiPKlPlN2at6native12_GLOBAL__N_18offset_tEEE10hipError_tPvRmT1_PNSt15iterator_traitsISK_E10value_typeET2_T3_PNSL_ISQ_E10value_typeET4_jRbjT5_SW_jjP12ihipStream_tbEUlT_E0_NS1_11comp_targetILNS1_3genE2ELNS1_11target_archE906ELNS1_3gpuE6ELNS1_3repE0EEENS1_60segmented_radix_sort_warp_sort_medium_config_static_selectorELNS0_4arch9wavefront6targetE0EEEvSK_.uses_vcc, 0
	.set _ZN7rocprim17ROCPRIM_400000_NS6detail17trampoline_kernelINS0_14default_configENS1_36segmented_radix_sort_config_selectorIilEEZNS1_25segmented_radix_sort_implIS3_Lb1EPKiPiPKlPlN2at6native12_GLOBAL__N_18offset_tEEE10hipError_tPvRmT1_PNSt15iterator_traitsISK_E10value_typeET2_T3_PNSL_ISQ_E10value_typeET4_jRbjT5_SW_jjP12ihipStream_tbEUlT_E0_NS1_11comp_targetILNS1_3genE2ELNS1_11target_archE906ELNS1_3gpuE6ELNS1_3repE0EEENS1_60segmented_radix_sort_warp_sort_medium_config_static_selectorELNS0_4arch9wavefront6targetE0EEEvSK_.uses_flat_scratch, 0
	.set _ZN7rocprim17ROCPRIM_400000_NS6detail17trampoline_kernelINS0_14default_configENS1_36segmented_radix_sort_config_selectorIilEEZNS1_25segmented_radix_sort_implIS3_Lb1EPKiPiPKlPlN2at6native12_GLOBAL__N_18offset_tEEE10hipError_tPvRmT1_PNSt15iterator_traitsISK_E10value_typeET2_T3_PNSL_ISQ_E10value_typeET4_jRbjT5_SW_jjP12ihipStream_tbEUlT_E0_NS1_11comp_targetILNS1_3genE2ELNS1_11target_archE906ELNS1_3gpuE6ELNS1_3repE0EEENS1_60segmented_radix_sort_warp_sort_medium_config_static_selectorELNS0_4arch9wavefront6targetE0EEEvSK_.has_dyn_sized_stack, 0
	.set _ZN7rocprim17ROCPRIM_400000_NS6detail17trampoline_kernelINS0_14default_configENS1_36segmented_radix_sort_config_selectorIilEEZNS1_25segmented_radix_sort_implIS3_Lb1EPKiPiPKlPlN2at6native12_GLOBAL__N_18offset_tEEE10hipError_tPvRmT1_PNSt15iterator_traitsISK_E10value_typeET2_T3_PNSL_ISQ_E10value_typeET4_jRbjT5_SW_jjP12ihipStream_tbEUlT_E0_NS1_11comp_targetILNS1_3genE2ELNS1_11target_archE906ELNS1_3gpuE6ELNS1_3repE0EEENS1_60segmented_radix_sort_warp_sort_medium_config_static_selectorELNS0_4arch9wavefront6targetE0EEEvSK_.has_recursion, 0
	.set _ZN7rocprim17ROCPRIM_400000_NS6detail17trampoline_kernelINS0_14default_configENS1_36segmented_radix_sort_config_selectorIilEEZNS1_25segmented_radix_sort_implIS3_Lb1EPKiPiPKlPlN2at6native12_GLOBAL__N_18offset_tEEE10hipError_tPvRmT1_PNSt15iterator_traitsISK_E10value_typeET2_T3_PNSL_ISQ_E10value_typeET4_jRbjT5_SW_jjP12ihipStream_tbEUlT_E0_NS1_11comp_targetILNS1_3genE2ELNS1_11target_archE906ELNS1_3gpuE6ELNS1_3repE0EEENS1_60segmented_radix_sort_warp_sort_medium_config_static_selectorELNS0_4arch9wavefront6targetE0EEEvSK_.has_indirect_call, 0
	.section	.AMDGPU.csdata,"",@progbits
; Kernel info:
; codeLenInByte = 0
; TotalNumSgprs: 0
; NumVgprs: 0
; ScratchSize: 0
; MemoryBound: 0
; FloatMode: 240
; IeeeMode: 1
; LDSByteSize: 0 bytes/workgroup (compile time only)
; SGPRBlocks: 0
; VGPRBlocks: 0
; NumSGPRsForWavesPerEU: 1
; NumVGPRsForWavesPerEU: 1
; Occupancy: 16
; WaveLimiterHint : 0
; COMPUTE_PGM_RSRC2:SCRATCH_EN: 0
; COMPUTE_PGM_RSRC2:USER_SGPR: 6
; COMPUTE_PGM_RSRC2:TRAP_HANDLER: 0
; COMPUTE_PGM_RSRC2:TGID_X_EN: 1
; COMPUTE_PGM_RSRC2:TGID_Y_EN: 0
; COMPUTE_PGM_RSRC2:TGID_Z_EN: 0
; COMPUTE_PGM_RSRC2:TIDIG_COMP_CNT: 0
	.section	.text._ZN7rocprim17ROCPRIM_400000_NS6detail17trampoline_kernelINS0_14default_configENS1_36segmented_radix_sort_config_selectorIilEEZNS1_25segmented_radix_sort_implIS3_Lb1EPKiPiPKlPlN2at6native12_GLOBAL__N_18offset_tEEE10hipError_tPvRmT1_PNSt15iterator_traitsISK_E10value_typeET2_T3_PNSL_ISQ_E10value_typeET4_jRbjT5_SW_jjP12ihipStream_tbEUlT_E0_NS1_11comp_targetILNS1_3genE10ELNS1_11target_archE1201ELNS1_3gpuE5ELNS1_3repE0EEENS1_60segmented_radix_sort_warp_sort_medium_config_static_selectorELNS0_4arch9wavefront6targetE0EEEvSK_,"axG",@progbits,_ZN7rocprim17ROCPRIM_400000_NS6detail17trampoline_kernelINS0_14default_configENS1_36segmented_radix_sort_config_selectorIilEEZNS1_25segmented_radix_sort_implIS3_Lb1EPKiPiPKlPlN2at6native12_GLOBAL__N_18offset_tEEE10hipError_tPvRmT1_PNSt15iterator_traitsISK_E10value_typeET2_T3_PNSL_ISQ_E10value_typeET4_jRbjT5_SW_jjP12ihipStream_tbEUlT_E0_NS1_11comp_targetILNS1_3genE10ELNS1_11target_archE1201ELNS1_3gpuE5ELNS1_3repE0EEENS1_60segmented_radix_sort_warp_sort_medium_config_static_selectorELNS0_4arch9wavefront6targetE0EEEvSK_,comdat
	.globl	_ZN7rocprim17ROCPRIM_400000_NS6detail17trampoline_kernelINS0_14default_configENS1_36segmented_radix_sort_config_selectorIilEEZNS1_25segmented_radix_sort_implIS3_Lb1EPKiPiPKlPlN2at6native12_GLOBAL__N_18offset_tEEE10hipError_tPvRmT1_PNSt15iterator_traitsISK_E10value_typeET2_T3_PNSL_ISQ_E10value_typeET4_jRbjT5_SW_jjP12ihipStream_tbEUlT_E0_NS1_11comp_targetILNS1_3genE10ELNS1_11target_archE1201ELNS1_3gpuE5ELNS1_3repE0EEENS1_60segmented_radix_sort_warp_sort_medium_config_static_selectorELNS0_4arch9wavefront6targetE0EEEvSK_ ; -- Begin function _ZN7rocprim17ROCPRIM_400000_NS6detail17trampoline_kernelINS0_14default_configENS1_36segmented_radix_sort_config_selectorIilEEZNS1_25segmented_radix_sort_implIS3_Lb1EPKiPiPKlPlN2at6native12_GLOBAL__N_18offset_tEEE10hipError_tPvRmT1_PNSt15iterator_traitsISK_E10value_typeET2_T3_PNSL_ISQ_E10value_typeET4_jRbjT5_SW_jjP12ihipStream_tbEUlT_E0_NS1_11comp_targetILNS1_3genE10ELNS1_11target_archE1201ELNS1_3gpuE5ELNS1_3repE0EEENS1_60segmented_radix_sort_warp_sort_medium_config_static_selectorELNS0_4arch9wavefront6targetE0EEEvSK_
	.p2align	8
	.type	_ZN7rocprim17ROCPRIM_400000_NS6detail17trampoline_kernelINS0_14default_configENS1_36segmented_radix_sort_config_selectorIilEEZNS1_25segmented_radix_sort_implIS3_Lb1EPKiPiPKlPlN2at6native12_GLOBAL__N_18offset_tEEE10hipError_tPvRmT1_PNSt15iterator_traitsISK_E10value_typeET2_T3_PNSL_ISQ_E10value_typeET4_jRbjT5_SW_jjP12ihipStream_tbEUlT_E0_NS1_11comp_targetILNS1_3genE10ELNS1_11target_archE1201ELNS1_3gpuE5ELNS1_3repE0EEENS1_60segmented_radix_sort_warp_sort_medium_config_static_selectorELNS0_4arch9wavefront6targetE0EEEvSK_,@function
_ZN7rocprim17ROCPRIM_400000_NS6detail17trampoline_kernelINS0_14default_configENS1_36segmented_radix_sort_config_selectorIilEEZNS1_25segmented_radix_sort_implIS3_Lb1EPKiPiPKlPlN2at6native12_GLOBAL__N_18offset_tEEE10hipError_tPvRmT1_PNSt15iterator_traitsISK_E10value_typeET2_T3_PNSL_ISQ_E10value_typeET4_jRbjT5_SW_jjP12ihipStream_tbEUlT_E0_NS1_11comp_targetILNS1_3genE10ELNS1_11target_archE1201ELNS1_3gpuE5ELNS1_3repE0EEENS1_60segmented_radix_sort_warp_sort_medium_config_static_selectorELNS0_4arch9wavefront6targetE0EEEvSK_: ; @_ZN7rocprim17ROCPRIM_400000_NS6detail17trampoline_kernelINS0_14default_configENS1_36segmented_radix_sort_config_selectorIilEEZNS1_25segmented_radix_sort_implIS3_Lb1EPKiPiPKlPlN2at6native12_GLOBAL__N_18offset_tEEE10hipError_tPvRmT1_PNSt15iterator_traitsISK_E10value_typeET2_T3_PNSL_ISQ_E10value_typeET4_jRbjT5_SW_jjP12ihipStream_tbEUlT_E0_NS1_11comp_targetILNS1_3genE10ELNS1_11target_archE1201ELNS1_3gpuE5ELNS1_3repE0EEENS1_60segmented_radix_sort_warp_sort_medium_config_static_selectorELNS0_4arch9wavefront6targetE0EEEvSK_
; %bb.0:
	.section	.rodata,"a",@progbits
	.p2align	6, 0x0
	.amdhsa_kernel _ZN7rocprim17ROCPRIM_400000_NS6detail17trampoline_kernelINS0_14default_configENS1_36segmented_radix_sort_config_selectorIilEEZNS1_25segmented_radix_sort_implIS3_Lb1EPKiPiPKlPlN2at6native12_GLOBAL__N_18offset_tEEE10hipError_tPvRmT1_PNSt15iterator_traitsISK_E10value_typeET2_T3_PNSL_ISQ_E10value_typeET4_jRbjT5_SW_jjP12ihipStream_tbEUlT_E0_NS1_11comp_targetILNS1_3genE10ELNS1_11target_archE1201ELNS1_3gpuE5ELNS1_3repE0EEENS1_60segmented_radix_sort_warp_sort_medium_config_static_selectorELNS0_4arch9wavefront6targetE0EEEvSK_
		.amdhsa_group_segment_fixed_size 0
		.amdhsa_private_segment_fixed_size 0
		.amdhsa_kernarg_size 88
		.amdhsa_user_sgpr_count 6
		.amdhsa_user_sgpr_private_segment_buffer 1
		.amdhsa_user_sgpr_dispatch_ptr 0
		.amdhsa_user_sgpr_queue_ptr 0
		.amdhsa_user_sgpr_kernarg_segment_ptr 1
		.amdhsa_user_sgpr_dispatch_id 0
		.amdhsa_user_sgpr_flat_scratch_init 0
		.amdhsa_user_sgpr_private_segment_size 0
		.amdhsa_wavefront_size32 1
		.amdhsa_uses_dynamic_stack 0
		.amdhsa_system_sgpr_private_segment_wavefront_offset 0
		.amdhsa_system_sgpr_workgroup_id_x 1
		.amdhsa_system_sgpr_workgroup_id_y 0
		.amdhsa_system_sgpr_workgroup_id_z 0
		.amdhsa_system_sgpr_workgroup_info 0
		.amdhsa_system_vgpr_workitem_id 0
		.amdhsa_next_free_vgpr 1
		.amdhsa_next_free_sgpr 1
		.amdhsa_reserve_vcc 0
		.amdhsa_reserve_flat_scratch 0
		.amdhsa_float_round_mode_32 0
		.amdhsa_float_round_mode_16_64 0
		.amdhsa_float_denorm_mode_32 3
		.amdhsa_float_denorm_mode_16_64 3
		.amdhsa_dx10_clamp 1
		.amdhsa_ieee_mode 1
		.amdhsa_fp16_overflow 0
		.amdhsa_workgroup_processor_mode 1
		.amdhsa_memory_ordered 1
		.amdhsa_forward_progress 1
		.amdhsa_shared_vgpr_count 0
		.amdhsa_exception_fp_ieee_invalid_op 0
		.amdhsa_exception_fp_denorm_src 0
		.amdhsa_exception_fp_ieee_div_zero 0
		.amdhsa_exception_fp_ieee_overflow 0
		.amdhsa_exception_fp_ieee_underflow 0
		.amdhsa_exception_fp_ieee_inexact 0
		.amdhsa_exception_int_div_zero 0
	.end_amdhsa_kernel
	.section	.text._ZN7rocprim17ROCPRIM_400000_NS6detail17trampoline_kernelINS0_14default_configENS1_36segmented_radix_sort_config_selectorIilEEZNS1_25segmented_radix_sort_implIS3_Lb1EPKiPiPKlPlN2at6native12_GLOBAL__N_18offset_tEEE10hipError_tPvRmT1_PNSt15iterator_traitsISK_E10value_typeET2_T3_PNSL_ISQ_E10value_typeET4_jRbjT5_SW_jjP12ihipStream_tbEUlT_E0_NS1_11comp_targetILNS1_3genE10ELNS1_11target_archE1201ELNS1_3gpuE5ELNS1_3repE0EEENS1_60segmented_radix_sort_warp_sort_medium_config_static_selectorELNS0_4arch9wavefront6targetE0EEEvSK_,"axG",@progbits,_ZN7rocprim17ROCPRIM_400000_NS6detail17trampoline_kernelINS0_14default_configENS1_36segmented_radix_sort_config_selectorIilEEZNS1_25segmented_radix_sort_implIS3_Lb1EPKiPiPKlPlN2at6native12_GLOBAL__N_18offset_tEEE10hipError_tPvRmT1_PNSt15iterator_traitsISK_E10value_typeET2_T3_PNSL_ISQ_E10value_typeET4_jRbjT5_SW_jjP12ihipStream_tbEUlT_E0_NS1_11comp_targetILNS1_3genE10ELNS1_11target_archE1201ELNS1_3gpuE5ELNS1_3repE0EEENS1_60segmented_radix_sort_warp_sort_medium_config_static_selectorELNS0_4arch9wavefront6targetE0EEEvSK_,comdat
.Lfunc_end508:
	.size	_ZN7rocprim17ROCPRIM_400000_NS6detail17trampoline_kernelINS0_14default_configENS1_36segmented_radix_sort_config_selectorIilEEZNS1_25segmented_radix_sort_implIS3_Lb1EPKiPiPKlPlN2at6native12_GLOBAL__N_18offset_tEEE10hipError_tPvRmT1_PNSt15iterator_traitsISK_E10value_typeET2_T3_PNSL_ISQ_E10value_typeET4_jRbjT5_SW_jjP12ihipStream_tbEUlT_E0_NS1_11comp_targetILNS1_3genE10ELNS1_11target_archE1201ELNS1_3gpuE5ELNS1_3repE0EEENS1_60segmented_radix_sort_warp_sort_medium_config_static_selectorELNS0_4arch9wavefront6targetE0EEEvSK_, .Lfunc_end508-_ZN7rocprim17ROCPRIM_400000_NS6detail17trampoline_kernelINS0_14default_configENS1_36segmented_radix_sort_config_selectorIilEEZNS1_25segmented_radix_sort_implIS3_Lb1EPKiPiPKlPlN2at6native12_GLOBAL__N_18offset_tEEE10hipError_tPvRmT1_PNSt15iterator_traitsISK_E10value_typeET2_T3_PNSL_ISQ_E10value_typeET4_jRbjT5_SW_jjP12ihipStream_tbEUlT_E0_NS1_11comp_targetILNS1_3genE10ELNS1_11target_archE1201ELNS1_3gpuE5ELNS1_3repE0EEENS1_60segmented_radix_sort_warp_sort_medium_config_static_selectorELNS0_4arch9wavefront6targetE0EEEvSK_
                                        ; -- End function
	.set _ZN7rocprim17ROCPRIM_400000_NS6detail17trampoline_kernelINS0_14default_configENS1_36segmented_radix_sort_config_selectorIilEEZNS1_25segmented_radix_sort_implIS3_Lb1EPKiPiPKlPlN2at6native12_GLOBAL__N_18offset_tEEE10hipError_tPvRmT1_PNSt15iterator_traitsISK_E10value_typeET2_T3_PNSL_ISQ_E10value_typeET4_jRbjT5_SW_jjP12ihipStream_tbEUlT_E0_NS1_11comp_targetILNS1_3genE10ELNS1_11target_archE1201ELNS1_3gpuE5ELNS1_3repE0EEENS1_60segmented_radix_sort_warp_sort_medium_config_static_selectorELNS0_4arch9wavefront6targetE0EEEvSK_.num_vgpr, 0
	.set _ZN7rocprim17ROCPRIM_400000_NS6detail17trampoline_kernelINS0_14default_configENS1_36segmented_radix_sort_config_selectorIilEEZNS1_25segmented_radix_sort_implIS3_Lb1EPKiPiPKlPlN2at6native12_GLOBAL__N_18offset_tEEE10hipError_tPvRmT1_PNSt15iterator_traitsISK_E10value_typeET2_T3_PNSL_ISQ_E10value_typeET4_jRbjT5_SW_jjP12ihipStream_tbEUlT_E0_NS1_11comp_targetILNS1_3genE10ELNS1_11target_archE1201ELNS1_3gpuE5ELNS1_3repE0EEENS1_60segmented_radix_sort_warp_sort_medium_config_static_selectorELNS0_4arch9wavefront6targetE0EEEvSK_.num_agpr, 0
	.set _ZN7rocprim17ROCPRIM_400000_NS6detail17trampoline_kernelINS0_14default_configENS1_36segmented_radix_sort_config_selectorIilEEZNS1_25segmented_radix_sort_implIS3_Lb1EPKiPiPKlPlN2at6native12_GLOBAL__N_18offset_tEEE10hipError_tPvRmT1_PNSt15iterator_traitsISK_E10value_typeET2_T3_PNSL_ISQ_E10value_typeET4_jRbjT5_SW_jjP12ihipStream_tbEUlT_E0_NS1_11comp_targetILNS1_3genE10ELNS1_11target_archE1201ELNS1_3gpuE5ELNS1_3repE0EEENS1_60segmented_radix_sort_warp_sort_medium_config_static_selectorELNS0_4arch9wavefront6targetE0EEEvSK_.numbered_sgpr, 0
	.set _ZN7rocprim17ROCPRIM_400000_NS6detail17trampoline_kernelINS0_14default_configENS1_36segmented_radix_sort_config_selectorIilEEZNS1_25segmented_radix_sort_implIS3_Lb1EPKiPiPKlPlN2at6native12_GLOBAL__N_18offset_tEEE10hipError_tPvRmT1_PNSt15iterator_traitsISK_E10value_typeET2_T3_PNSL_ISQ_E10value_typeET4_jRbjT5_SW_jjP12ihipStream_tbEUlT_E0_NS1_11comp_targetILNS1_3genE10ELNS1_11target_archE1201ELNS1_3gpuE5ELNS1_3repE0EEENS1_60segmented_radix_sort_warp_sort_medium_config_static_selectorELNS0_4arch9wavefront6targetE0EEEvSK_.num_named_barrier, 0
	.set _ZN7rocprim17ROCPRIM_400000_NS6detail17trampoline_kernelINS0_14default_configENS1_36segmented_radix_sort_config_selectorIilEEZNS1_25segmented_radix_sort_implIS3_Lb1EPKiPiPKlPlN2at6native12_GLOBAL__N_18offset_tEEE10hipError_tPvRmT1_PNSt15iterator_traitsISK_E10value_typeET2_T3_PNSL_ISQ_E10value_typeET4_jRbjT5_SW_jjP12ihipStream_tbEUlT_E0_NS1_11comp_targetILNS1_3genE10ELNS1_11target_archE1201ELNS1_3gpuE5ELNS1_3repE0EEENS1_60segmented_radix_sort_warp_sort_medium_config_static_selectorELNS0_4arch9wavefront6targetE0EEEvSK_.private_seg_size, 0
	.set _ZN7rocprim17ROCPRIM_400000_NS6detail17trampoline_kernelINS0_14default_configENS1_36segmented_radix_sort_config_selectorIilEEZNS1_25segmented_radix_sort_implIS3_Lb1EPKiPiPKlPlN2at6native12_GLOBAL__N_18offset_tEEE10hipError_tPvRmT1_PNSt15iterator_traitsISK_E10value_typeET2_T3_PNSL_ISQ_E10value_typeET4_jRbjT5_SW_jjP12ihipStream_tbEUlT_E0_NS1_11comp_targetILNS1_3genE10ELNS1_11target_archE1201ELNS1_3gpuE5ELNS1_3repE0EEENS1_60segmented_radix_sort_warp_sort_medium_config_static_selectorELNS0_4arch9wavefront6targetE0EEEvSK_.uses_vcc, 0
	.set _ZN7rocprim17ROCPRIM_400000_NS6detail17trampoline_kernelINS0_14default_configENS1_36segmented_radix_sort_config_selectorIilEEZNS1_25segmented_radix_sort_implIS3_Lb1EPKiPiPKlPlN2at6native12_GLOBAL__N_18offset_tEEE10hipError_tPvRmT1_PNSt15iterator_traitsISK_E10value_typeET2_T3_PNSL_ISQ_E10value_typeET4_jRbjT5_SW_jjP12ihipStream_tbEUlT_E0_NS1_11comp_targetILNS1_3genE10ELNS1_11target_archE1201ELNS1_3gpuE5ELNS1_3repE0EEENS1_60segmented_radix_sort_warp_sort_medium_config_static_selectorELNS0_4arch9wavefront6targetE0EEEvSK_.uses_flat_scratch, 0
	.set _ZN7rocprim17ROCPRIM_400000_NS6detail17trampoline_kernelINS0_14default_configENS1_36segmented_radix_sort_config_selectorIilEEZNS1_25segmented_radix_sort_implIS3_Lb1EPKiPiPKlPlN2at6native12_GLOBAL__N_18offset_tEEE10hipError_tPvRmT1_PNSt15iterator_traitsISK_E10value_typeET2_T3_PNSL_ISQ_E10value_typeET4_jRbjT5_SW_jjP12ihipStream_tbEUlT_E0_NS1_11comp_targetILNS1_3genE10ELNS1_11target_archE1201ELNS1_3gpuE5ELNS1_3repE0EEENS1_60segmented_radix_sort_warp_sort_medium_config_static_selectorELNS0_4arch9wavefront6targetE0EEEvSK_.has_dyn_sized_stack, 0
	.set _ZN7rocprim17ROCPRIM_400000_NS6detail17trampoline_kernelINS0_14default_configENS1_36segmented_radix_sort_config_selectorIilEEZNS1_25segmented_radix_sort_implIS3_Lb1EPKiPiPKlPlN2at6native12_GLOBAL__N_18offset_tEEE10hipError_tPvRmT1_PNSt15iterator_traitsISK_E10value_typeET2_T3_PNSL_ISQ_E10value_typeET4_jRbjT5_SW_jjP12ihipStream_tbEUlT_E0_NS1_11comp_targetILNS1_3genE10ELNS1_11target_archE1201ELNS1_3gpuE5ELNS1_3repE0EEENS1_60segmented_radix_sort_warp_sort_medium_config_static_selectorELNS0_4arch9wavefront6targetE0EEEvSK_.has_recursion, 0
	.set _ZN7rocprim17ROCPRIM_400000_NS6detail17trampoline_kernelINS0_14default_configENS1_36segmented_radix_sort_config_selectorIilEEZNS1_25segmented_radix_sort_implIS3_Lb1EPKiPiPKlPlN2at6native12_GLOBAL__N_18offset_tEEE10hipError_tPvRmT1_PNSt15iterator_traitsISK_E10value_typeET2_T3_PNSL_ISQ_E10value_typeET4_jRbjT5_SW_jjP12ihipStream_tbEUlT_E0_NS1_11comp_targetILNS1_3genE10ELNS1_11target_archE1201ELNS1_3gpuE5ELNS1_3repE0EEENS1_60segmented_radix_sort_warp_sort_medium_config_static_selectorELNS0_4arch9wavefront6targetE0EEEvSK_.has_indirect_call, 0
	.section	.AMDGPU.csdata,"",@progbits
; Kernel info:
; codeLenInByte = 0
; TotalNumSgprs: 0
; NumVgprs: 0
; ScratchSize: 0
; MemoryBound: 0
; FloatMode: 240
; IeeeMode: 1
; LDSByteSize: 0 bytes/workgroup (compile time only)
; SGPRBlocks: 0
; VGPRBlocks: 0
; NumSGPRsForWavesPerEU: 1
; NumVGPRsForWavesPerEU: 1
; Occupancy: 16
; WaveLimiterHint : 0
; COMPUTE_PGM_RSRC2:SCRATCH_EN: 0
; COMPUTE_PGM_RSRC2:USER_SGPR: 6
; COMPUTE_PGM_RSRC2:TRAP_HANDLER: 0
; COMPUTE_PGM_RSRC2:TGID_X_EN: 1
; COMPUTE_PGM_RSRC2:TGID_Y_EN: 0
; COMPUTE_PGM_RSRC2:TGID_Z_EN: 0
; COMPUTE_PGM_RSRC2:TIDIG_COMP_CNT: 0
	.section	.text._ZN7rocprim17ROCPRIM_400000_NS6detail17trampoline_kernelINS0_14default_configENS1_36segmented_radix_sort_config_selectorIilEEZNS1_25segmented_radix_sort_implIS3_Lb1EPKiPiPKlPlN2at6native12_GLOBAL__N_18offset_tEEE10hipError_tPvRmT1_PNSt15iterator_traitsISK_E10value_typeET2_T3_PNSL_ISQ_E10value_typeET4_jRbjT5_SW_jjP12ihipStream_tbEUlT_E0_NS1_11comp_targetILNS1_3genE10ELNS1_11target_archE1200ELNS1_3gpuE4ELNS1_3repE0EEENS1_60segmented_radix_sort_warp_sort_medium_config_static_selectorELNS0_4arch9wavefront6targetE0EEEvSK_,"axG",@progbits,_ZN7rocprim17ROCPRIM_400000_NS6detail17trampoline_kernelINS0_14default_configENS1_36segmented_radix_sort_config_selectorIilEEZNS1_25segmented_radix_sort_implIS3_Lb1EPKiPiPKlPlN2at6native12_GLOBAL__N_18offset_tEEE10hipError_tPvRmT1_PNSt15iterator_traitsISK_E10value_typeET2_T3_PNSL_ISQ_E10value_typeET4_jRbjT5_SW_jjP12ihipStream_tbEUlT_E0_NS1_11comp_targetILNS1_3genE10ELNS1_11target_archE1200ELNS1_3gpuE4ELNS1_3repE0EEENS1_60segmented_radix_sort_warp_sort_medium_config_static_selectorELNS0_4arch9wavefront6targetE0EEEvSK_,comdat
	.globl	_ZN7rocprim17ROCPRIM_400000_NS6detail17trampoline_kernelINS0_14default_configENS1_36segmented_radix_sort_config_selectorIilEEZNS1_25segmented_radix_sort_implIS3_Lb1EPKiPiPKlPlN2at6native12_GLOBAL__N_18offset_tEEE10hipError_tPvRmT1_PNSt15iterator_traitsISK_E10value_typeET2_T3_PNSL_ISQ_E10value_typeET4_jRbjT5_SW_jjP12ihipStream_tbEUlT_E0_NS1_11comp_targetILNS1_3genE10ELNS1_11target_archE1200ELNS1_3gpuE4ELNS1_3repE0EEENS1_60segmented_radix_sort_warp_sort_medium_config_static_selectorELNS0_4arch9wavefront6targetE0EEEvSK_ ; -- Begin function _ZN7rocprim17ROCPRIM_400000_NS6detail17trampoline_kernelINS0_14default_configENS1_36segmented_radix_sort_config_selectorIilEEZNS1_25segmented_radix_sort_implIS3_Lb1EPKiPiPKlPlN2at6native12_GLOBAL__N_18offset_tEEE10hipError_tPvRmT1_PNSt15iterator_traitsISK_E10value_typeET2_T3_PNSL_ISQ_E10value_typeET4_jRbjT5_SW_jjP12ihipStream_tbEUlT_E0_NS1_11comp_targetILNS1_3genE10ELNS1_11target_archE1200ELNS1_3gpuE4ELNS1_3repE0EEENS1_60segmented_radix_sort_warp_sort_medium_config_static_selectorELNS0_4arch9wavefront6targetE0EEEvSK_
	.p2align	8
	.type	_ZN7rocprim17ROCPRIM_400000_NS6detail17trampoline_kernelINS0_14default_configENS1_36segmented_radix_sort_config_selectorIilEEZNS1_25segmented_radix_sort_implIS3_Lb1EPKiPiPKlPlN2at6native12_GLOBAL__N_18offset_tEEE10hipError_tPvRmT1_PNSt15iterator_traitsISK_E10value_typeET2_T3_PNSL_ISQ_E10value_typeET4_jRbjT5_SW_jjP12ihipStream_tbEUlT_E0_NS1_11comp_targetILNS1_3genE10ELNS1_11target_archE1200ELNS1_3gpuE4ELNS1_3repE0EEENS1_60segmented_radix_sort_warp_sort_medium_config_static_selectorELNS0_4arch9wavefront6targetE0EEEvSK_,@function
_ZN7rocprim17ROCPRIM_400000_NS6detail17trampoline_kernelINS0_14default_configENS1_36segmented_radix_sort_config_selectorIilEEZNS1_25segmented_radix_sort_implIS3_Lb1EPKiPiPKlPlN2at6native12_GLOBAL__N_18offset_tEEE10hipError_tPvRmT1_PNSt15iterator_traitsISK_E10value_typeET2_T3_PNSL_ISQ_E10value_typeET4_jRbjT5_SW_jjP12ihipStream_tbEUlT_E0_NS1_11comp_targetILNS1_3genE10ELNS1_11target_archE1200ELNS1_3gpuE4ELNS1_3repE0EEENS1_60segmented_radix_sort_warp_sort_medium_config_static_selectorELNS0_4arch9wavefront6targetE0EEEvSK_: ; @_ZN7rocprim17ROCPRIM_400000_NS6detail17trampoline_kernelINS0_14default_configENS1_36segmented_radix_sort_config_selectorIilEEZNS1_25segmented_radix_sort_implIS3_Lb1EPKiPiPKlPlN2at6native12_GLOBAL__N_18offset_tEEE10hipError_tPvRmT1_PNSt15iterator_traitsISK_E10value_typeET2_T3_PNSL_ISQ_E10value_typeET4_jRbjT5_SW_jjP12ihipStream_tbEUlT_E0_NS1_11comp_targetILNS1_3genE10ELNS1_11target_archE1200ELNS1_3gpuE4ELNS1_3repE0EEENS1_60segmented_radix_sort_warp_sort_medium_config_static_selectorELNS0_4arch9wavefront6targetE0EEEvSK_
; %bb.0:
	.section	.rodata,"a",@progbits
	.p2align	6, 0x0
	.amdhsa_kernel _ZN7rocprim17ROCPRIM_400000_NS6detail17trampoline_kernelINS0_14default_configENS1_36segmented_radix_sort_config_selectorIilEEZNS1_25segmented_radix_sort_implIS3_Lb1EPKiPiPKlPlN2at6native12_GLOBAL__N_18offset_tEEE10hipError_tPvRmT1_PNSt15iterator_traitsISK_E10value_typeET2_T3_PNSL_ISQ_E10value_typeET4_jRbjT5_SW_jjP12ihipStream_tbEUlT_E0_NS1_11comp_targetILNS1_3genE10ELNS1_11target_archE1200ELNS1_3gpuE4ELNS1_3repE0EEENS1_60segmented_radix_sort_warp_sort_medium_config_static_selectorELNS0_4arch9wavefront6targetE0EEEvSK_
		.amdhsa_group_segment_fixed_size 0
		.amdhsa_private_segment_fixed_size 0
		.amdhsa_kernarg_size 88
		.amdhsa_user_sgpr_count 6
		.amdhsa_user_sgpr_private_segment_buffer 1
		.amdhsa_user_sgpr_dispatch_ptr 0
		.amdhsa_user_sgpr_queue_ptr 0
		.amdhsa_user_sgpr_kernarg_segment_ptr 1
		.amdhsa_user_sgpr_dispatch_id 0
		.amdhsa_user_sgpr_flat_scratch_init 0
		.amdhsa_user_sgpr_private_segment_size 0
		.amdhsa_wavefront_size32 1
		.amdhsa_uses_dynamic_stack 0
		.amdhsa_system_sgpr_private_segment_wavefront_offset 0
		.amdhsa_system_sgpr_workgroup_id_x 1
		.amdhsa_system_sgpr_workgroup_id_y 0
		.amdhsa_system_sgpr_workgroup_id_z 0
		.amdhsa_system_sgpr_workgroup_info 0
		.amdhsa_system_vgpr_workitem_id 0
		.amdhsa_next_free_vgpr 1
		.amdhsa_next_free_sgpr 1
		.amdhsa_reserve_vcc 0
		.amdhsa_reserve_flat_scratch 0
		.amdhsa_float_round_mode_32 0
		.amdhsa_float_round_mode_16_64 0
		.amdhsa_float_denorm_mode_32 3
		.amdhsa_float_denorm_mode_16_64 3
		.amdhsa_dx10_clamp 1
		.amdhsa_ieee_mode 1
		.amdhsa_fp16_overflow 0
		.amdhsa_workgroup_processor_mode 1
		.amdhsa_memory_ordered 1
		.amdhsa_forward_progress 1
		.amdhsa_shared_vgpr_count 0
		.amdhsa_exception_fp_ieee_invalid_op 0
		.amdhsa_exception_fp_denorm_src 0
		.amdhsa_exception_fp_ieee_div_zero 0
		.amdhsa_exception_fp_ieee_overflow 0
		.amdhsa_exception_fp_ieee_underflow 0
		.amdhsa_exception_fp_ieee_inexact 0
		.amdhsa_exception_int_div_zero 0
	.end_amdhsa_kernel
	.section	.text._ZN7rocprim17ROCPRIM_400000_NS6detail17trampoline_kernelINS0_14default_configENS1_36segmented_radix_sort_config_selectorIilEEZNS1_25segmented_radix_sort_implIS3_Lb1EPKiPiPKlPlN2at6native12_GLOBAL__N_18offset_tEEE10hipError_tPvRmT1_PNSt15iterator_traitsISK_E10value_typeET2_T3_PNSL_ISQ_E10value_typeET4_jRbjT5_SW_jjP12ihipStream_tbEUlT_E0_NS1_11comp_targetILNS1_3genE10ELNS1_11target_archE1200ELNS1_3gpuE4ELNS1_3repE0EEENS1_60segmented_radix_sort_warp_sort_medium_config_static_selectorELNS0_4arch9wavefront6targetE0EEEvSK_,"axG",@progbits,_ZN7rocprim17ROCPRIM_400000_NS6detail17trampoline_kernelINS0_14default_configENS1_36segmented_radix_sort_config_selectorIilEEZNS1_25segmented_radix_sort_implIS3_Lb1EPKiPiPKlPlN2at6native12_GLOBAL__N_18offset_tEEE10hipError_tPvRmT1_PNSt15iterator_traitsISK_E10value_typeET2_T3_PNSL_ISQ_E10value_typeET4_jRbjT5_SW_jjP12ihipStream_tbEUlT_E0_NS1_11comp_targetILNS1_3genE10ELNS1_11target_archE1200ELNS1_3gpuE4ELNS1_3repE0EEENS1_60segmented_radix_sort_warp_sort_medium_config_static_selectorELNS0_4arch9wavefront6targetE0EEEvSK_,comdat
.Lfunc_end509:
	.size	_ZN7rocprim17ROCPRIM_400000_NS6detail17trampoline_kernelINS0_14default_configENS1_36segmented_radix_sort_config_selectorIilEEZNS1_25segmented_radix_sort_implIS3_Lb1EPKiPiPKlPlN2at6native12_GLOBAL__N_18offset_tEEE10hipError_tPvRmT1_PNSt15iterator_traitsISK_E10value_typeET2_T3_PNSL_ISQ_E10value_typeET4_jRbjT5_SW_jjP12ihipStream_tbEUlT_E0_NS1_11comp_targetILNS1_3genE10ELNS1_11target_archE1200ELNS1_3gpuE4ELNS1_3repE0EEENS1_60segmented_radix_sort_warp_sort_medium_config_static_selectorELNS0_4arch9wavefront6targetE0EEEvSK_, .Lfunc_end509-_ZN7rocprim17ROCPRIM_400000_NS6detail17trampoline_kernelINS0_14default_configENS1_36segmented_radix_sort_config_selectorIilEEZNS1_25segmented_radix_sort_implIS3_Lb1EPKiPiPKlPlN2at6native12_GLOBAL__N_18offset_tEEE10hipError_tPvRmT1_PNSt15iterator_traitsISK_E10value_typeET2_T3_PNSL_ISQ_E10value_typeET4_jRbjT5_SW_jjP12ihipStream_tbEUlT_E0_NS1_11comp_targetILNS1_3genE10ELNS1_11target_archE1200ELNS1_3gpuE4ELNS1_3repE0EEENS1_60segmented_radix_sort_warp_sort_medium_config_static_selectorELNS0_4arch9wavefront6targetE0EEEvSK_
                                        ; -- End function
	.set _ZN7rocprim17ROCPRIM_400000_NS6detail17trampoline_kernelINS0_14default_configENS1_36segmented_radix_sort_config_selectorIilEEZNS1_25segmented_radix_sort_implIS3_Lb1EPKiPiPKlPlN2at6native12_GLOBAL__N_18offset_tEEE10hipError_tPvRmT1_PNSt15iterator_traitsISK_E10value_typeET2_T3_PNSL_ISQ_E10value_typeET4_jRbjT5_SW_jjP12ihipStream_tbEUlT_E0_NS1_11comp_targetILNS1_3genE10ELNS1_11target_archE1200ELNS1_3gpuE4ELNS1_3repE0EEENS1_60segmented_radix_sort_warp_sort_medium_config_static_selectorELNS0_4arch9wavefront6targetE0EEEvSK_.num_vgpr, 0
	.set _ZN7rocprim17ROCPRIM_400000_NS6detail17trampoline_kernelINS0_14default_configENS1_36segmented_radix_sort_config_selectorIilEEZNS1_25segmented_radix_sort_implIS3_Lb1EPKiPiPKlPlN2at6native12_GLOBAL__N_18offset_tEEE10hipError_tPvRmT1_PNSt15iterator_traitsISK_E10value_typeET2_T3_PNSL_ISQ_E10value_typeET4_jRbjT5_SW_jjP12ihipStream_tbEUlT_E0_NS1_11comp_targetILNS1_3genE10ELNS1_11target_archE1200ELNS1_3gpuE4ELNS1_3repE0EEENS1_60segmented_radix_sort_warp_sort_medium_config_static_selectorELNS0_4arch9wavefront6targetE0EEEvSK_.num_agpr, 0
	.set _ZN7rocprim17ROCPRIM_400000_NS6detail17trampoline_kernelINS0_14default_configENS1_36segmented_radix_sort_config_selectorIilEEZNS1_25segmented_radix_sort_implIS3_Lb1EPKiPiPKlPlN2at6native12_GLOBAL__N_18offset_tEEE10hipError_tPvRmT1_PNSt15iterator_traitsISK_E10value_typeET2_T3_PNSL_ISQ_E10value_typeET4_jRbjT5_SW_jjP12ihipStream_tbEUlT_E0_NS1_11comp_targetILNS1_3genE10ELNS1_11target_archE1200ELNS1_3gpuE4ELNS1_3repE0EEENS1_60segmented_radix_sort_warp_sort_medium_config_static_selectorELNS0_4arch9wavefront6targetE0EEEvSK_.numbered_sgpr, 0
	.set _ZN7rocprim17ROCPRIM_400000_NS6detail17trampoline_kernelINS0_14default_configENS1_36segmented_radix_sort_config_selectorIilEEZNS1_25segmented_radix_sort_implIS3_Lb1EPKiPiPKlPlN2at6native12_GLOBAL__N_18offset_tEEE10hipError_tPvRmT1_PNSt15iterator_traitsISK_E10value_typeET2_T3_PNSL_ISQ_E10value_typeET4_jRbjT5_SW_jjP12ihipStream_tbEUlT_E0_NS1_11comp_targetILNS1_3genE10ELNS1_11target_archE1200ELNS1_3gpuE4ELNS1_3repE0EEENS1_60segmented_radix_sort_warp_sort_medium_config_static_selectorELNS0_4arch9wavefront6targetE0EEEvSK_.num_named_barrier, 0
	.set _ZN7rocprim17ROCPRIM_400000_NS6detail17trampoline_kernelINS0_14default_configENS1_36segmented_radix_sort_config_selectorIilEEZNS1_25segmented_radix_sort_implIS3_Lb1EPKiPiPKlPlN2at6native12_GLOBAL__N_18offset_tEEE10hipError_tPvRmT1_PNSt15iterator_traitsISK_E10value_typeET2_T3_PNSL_ISQ_E10value_typeET4_jRbjT5_SW_jjP12ihipStream_tbEUlT_E0_NS1_11comp_targetILNS1_3genE10ELNS1_11target_archE1200ELNS1_3gpuE4ELNS1_3repE0EEENS1_60segmented_radix_sort_warp_sort_medium_config_static_selectorELNS0_4arch9wavefront6targetE0EEEvSK_.private_seg_size, 0
	.set _ZN7rocprim17ROCPRIM_400000_NS6detail17trampoline_kernelINS0_14default_configENS1_36segmented_radix_sort_config_selectorIilEEZNS1_25segmented_radix_sort_implIS3_Lb1EPKiPiPKlPlN2at6native12_GLOBAL__N_18offset_tEEE10hipError_tPvRmT1_PNSt15iterator_traitsISK_E10value_typeET2_T3_PNSL_ISQ_E10value_typeET4_jRbjT5_SW_jjP12ihipStream_tbEUlT_E0_NS1_11comp_targetILNS1_3genE10ELNS1_11target_archE1200ELNS1_3gpuE4ELNS1_3repE0EEENS1_60segmented_radix_sort_warp_sort_medium_config_static_selectorELNS0_4arch9wavefront6targetE0EEEvSK_.uses_vcc, 0
	.set _ZN7rocprim17ROCPRIM_400000_NS6detail17trampoline_kernelINS0_14default_configENS1_36segmented_radix_sort_config_selectorIilEEZNS1_25segmented_radix_sort_implIS3_Lb1EPKiPiPKlPlN2at6native12_GLOBAL__N_18offset_tEEE10hipError_tPvRmT1_PNSt15iterator_traitsISK_E10value_typeET2_T3_PNSL_ISQ_E10value_typeET4_jRbjT5_SW_jjP12ihipStream_tbEUlT_E0_NS1_11comp_targetILNS1_3genE10ELNS1_11target_archE1200ELNS1_3gpuE4ELNS1_3repE0EEENS1_60segmented_radix_sort_warp_sort_medium_config_static_selectorELNS0_4arch9wavefront6targetE0EEEvSK_.uses_flat_scratch, 0
	.set _ZN7rocprim17ROCPRIM_400000_NS6detail17trampoline_kernelINS0_14default_configENS1_36segmented_radix_sort_config_selectorIilEEZNS1_25segmented_radix_sort_implIS3_Lb1EPKiPiPKlPlN2at6native12_GLOBAL__N_18offset_tEEE10hipError_tPvRmT1_PNSt15iterator_traitsISK_E10value_typeET2_T3_PNSL_ISQ_E10value_typeET4_jRbjT5_SW_jjP12ihipStream_tbEUlT_E0_NS1_11comp_targetILNS1_3genE10ELNS1_11target_archE1200ELNS1_3gpuE4ELNS1_3repE0EEENS1_60segmented_radix_sort_warp_sort_medium_config_static_selectorELNS0_4arch9wavefront6targetE0EEEvSK_.has_dyn_sized_stack, 0
	.set _ZN7rocprim17ROCPRIM_400000_NS6detail17trampoline_kernelINS0_14default_configENS1_36segmented_radix_sort_config_selectorIilEEZNS1_25segmented_radix_sort_implIS3_Lb1EPKiPiPKlPlN2at6native12_GLOBAL__N_18offset_tEEE10hipError_tPvRmT1_PNSt15iterator_traitsISK_E10value_typeET2_T3_PNSL_ISQ_E10value_typeET4_jRbjT5_SW_jjP12ihipStream_tbEUlT_E0_NS1_11comp_targetILNS1_3genE10ELNS1_11target_archE1200ELNS1_3gpuE4ELNS1_3repE0EEENS1_60segmented_radix_sort_warp_sort_medium_config_static_selectorELNS0_4arch9wavefront6targetE0EEEvSK_.has_recursion, 0
	.set _ZN7rocprim17ROCPRIM_400000_NS6detail17trampoline_kernelINS0_14default_configENS1_36segmented_radix_sort_config_selectorIilEEZNS1_25segmented_radix_sort_implIS3_Lb1EPKiPiPKlPlN2at6native12_GLOBAL__N_18offset_tEEE10hipError_tPvRmT1_PNSt15iterator_traitsISK_E10value_typeET2_T3_PNSL_ISQ_E10value_typeET4_jRbjT5_SW_jjP12ihipStream_tbEUlT_E0_NS1_11comp_targetILNS1_3genE10ELNS1_11target_archE1200ELNS1_3gpuE4ELNS1_3repE0EEENS1_60segmented_radix_sort_warp_sort_medium_config_static_selectorELNS0_4arch9wavefront6targetE0EEEvSK_.has_indirect_call, 0
	.section	.AMDGPU.csdata,"",@progbits
; Kernel info:
; codeLenInByte = 0
; TotalNumSgprs: 0
; NumVgprs: 0
; ScratchSize: 0
; MemoryBound: 0
; FloatMode: 240
; IeeeMode: 1
; LDSByteSize: 0 bytes/workgroup (compile time only)
; SGPRBlocks: 0
; VGPRBlocks: 0
; NumSGPRsForWavesPerEU: 1
; NumVGPRsForWavesPerEU: 1
; Occupancy: 16
; WaveLimiterHint : 0
; COMPUTE_PGM_RSRC2:SCRATCH_EN: 0
; COMPUTE_PGM_RSRC2:USER_SGPR: 6
; COMPUTE_PGM_RSRC2:TRAP_HANDLER: 0
; COMPUTE_PGM_RSRC2:TGID_X_EN: 1
; COMPUTE_PGM_RSRC2:TGID_Y_EN: 0
; COMPUTE_PGM_RSRC2:TGID_Z_EN: 0
; COMPUTE_PGM_RSRC2:TIDIG_COMP_CNT: 0
	.section	.text._ZN7rocprim17ROCPRIM_400000_NS6detail17trampoline_kernelINS0_14default_configENS1_36segmented_radix_sort_config_selectorIilEEZNS1_25segmented_radix_sort_implIS3_Lb1EPKiPiPKlPlN2at6native12_GLOBAL__N_18offset_tEEE10hipError_tPvRmT1_PNSt15iterator_traitsISK_E10value_typeET2_T3_PNSL_ISQ_E10value_typeET4_jRbjT5_SW_jjP12ihipStream_tbEUlT_E0_NS1_11comp_targetILNS1_3genE9ELNS1_11target_archE1100ELNS1_3gpuE3ELNS1_3repE0EEENS1_60segmented_radix_sort_warp_sort_medium_config_static_selectorELNS0_4arch9wavefront6targetE0EEEvSK_,"axG",@progbits,_ZN7rocprim17ROCPRIM_400000_NS6detail17trampoline_kernelINS0_14default_configENS1_36segmented_radix_sort_config_selectorIilEEZNS1_25segmented_radix_sort_implIS3_Lb1EPKiPiPKlPlN2at6native12_GLOBAL__N_18offset_tEEE10hipError_tPvRmT1_PNSt15iterator_traitsISK_E10value_typeET2_T3_PNSL_ISQ_E10value_typeET4_jRbjT5_SW_jjP12ihipStream_tbEUlT_E0_NS1_11comp_targetILNS1_3genE9ELNS1_11target_archE1100ELNS1_3gpuE3ELNS1_3repE0EEENS1_60segmented_radix_sort_warp_sort_medium_config_static_selectorELNS0_4arch9wavefront6targetE0EEEvSK_,comdat
	.globl	_ZN7rocprim17ROCPRIM_400000_NS6detail17trampoline_kernelINS0_14default_configENS1_36segmented_radix_sort_config_selectorIilEEZNS1_25segmented_radix_sort_implIS3_Lb1EPKiPiPKlPlN2at6native12_GLOBAL__N_18offset_tEEE10hipError_tPvRmT1_PNSt15iterator_traitsISK_E10value_typeET2_T3_PNSL_ISQ_E10value_typeET4_jRbjT5_SW_jjP12ihipStream_tbEUlT_E0_NS1_11comp_targetILNS1_3genE9ELNS1_11target_archE1100ELNS1_3gpuE3ELNS1_3repE0EEENS1_60segmented_radix_sort_warp_sort_medium_config_static_selectorELNS0_4arch9wavefront6targetE0EEEvSK_ ; -- Begin function _ZN7rocprim17ROCPRIM_400000_NS6detail17trampoline_kernelINS0_14default_configENS1_36segmented_radix_sort_config_selectorIilEEZNS1_25segmented_radix_sort_implIS3_Lb1EPKiPiPKlPlN2at6native12_GLOBAL__N_18offset_tEEE10hipError_tPvRmT1_PNSt15iterator_traitsISK_E10value_typeET2_T3_PNSL_ISQ_E10value_typeET4_jRbjT5_SW_jjP12ihipStream_tbEUlT_E0_NS1_11comp_targetILNS1_3genE9ELNS1_11target_archE1100ELNS1_3gpuE3ELNS1_3repE0EEENS1_60segmented_radix_sort_warp_sort_medium_config_static_selectorELNS0_4arch9wavefront6targetE0EEEvSK_
	.p2align	8
	.type	_ZN7rocprim17ROCPRIM_400000_NS6detail17trampoline_kernelINS0_14default_configENS1_36segmented_radix_sort_config_selectorIilEEZNS1_25segmented_radix_sort_implIS3_Lb1EPKiPiPKlPlN2at6native12_GLOBAL__N_18offset_tEEE10hipError_tPvRmT1_PNSt15iterator_traitsISK_E10value_typeET2_T3_PNSL_ISQ_E10value_typeET4_jRbjT5_SW_jjP12ihipStream_tbEUlT_E0_NS1_11comp_targetILNS1_3genE9ELNS1_11target_archE1100ELNS1_3gpuE3ELNS1_3repE0EEENS1_60segmented_radix_sort_warp_sort_medium_config_static_selectorELNS0_4arch9wavefront6targetE0EEEvSK_,@function
_ZN7rocprim17ROCPRIM_400000_NS6detail17trampoline_kernelINS0_14default_configENS1_36segmented_radix_sort_config_selectorIilEEZNS1_25segmented_radix_sort_implIS3_Lb1EPKiPiPKlPlN2at6native12_GLOBAL__N_18offset_tEEE10hipError_tPvRmT1_PNSt15iterator_traitsISK_E10value_typeET2_T3_PNSL_ISQ_E10value_typeET4_jRbjT5_SW_jjP12ihipStream_tbEUlT_E0_NS1_11comp_targetILNS1_3genE9ELNS1_11target_archE1100ELNS1_3gpuE3ELNS1_3repE0EEENS1_60segmented_radix_sort_warp_sort_medium_config_static_selectorELNS0_4arch9wavefront6targetE0EEEvSK_: ; @_ZN7rocprim17ROCPRIM_400000_NS6detail17trampoline_kernelINS0_14default_configENS1_36segmented_radix_sort_config_selectorIilEEZNS1_25segmented_radix_sort_implIS3_Lb1EPKiPiPKlPlN2at6native12_GLOBAL__N_18offset_tEEE10hipError_tPvRmT1_PNSt15iterator_traitsISK_E10value_typeET2_T3_PNSL_ISQ_E10value_typeET4_jRbjT5_SW_jjP12ihipStream_tbEUlT_E0_NS1_11comp_targetILNS1_3genE9ELNS1_11target_archE1100ELNS1_3gpuE3ELNS1_3repE0EEENS1_60segmented_radix_sort_warp_sort_medium_config_static_selectorELNS0_4arch9wavefront6targetE0EEEvSK_
; %bb.0:
	.section	.rodata,"a",@progbits
	.p2align	6, 0x0
	.amdhsa_kernel _ZN7rocprim17ROCPRIM_400000_NS6detail17trampoline_kernelINS0_14default_configENS1_36segmented_radix_sort_config_selectorIilEEZNS1_25segmented_radix_sort_implIS3_Lb1EPKiPiPKlPlN2at6native12_GLOBAL__N_18offset_tEEE10hipError_tPvRmT1_PNSt15iterator_traitsISK_E10value_typeET2_T3_PNSL_ISQ_E10value_typeET4_jRbjT5_SW_jjP12ihipStream_tbEUlT_E0_NS1_11comp_targetILNS1_3genE9ELNS1_11target_archE1100ELNS1_3gpuE3ELNS1_3repE0EEENS1_60segmented_radix_sort_warp_sort_medium_config_static_selectorELNS0_4arch9wavefront6targetE0EEEvSK_
		.amdhsa_group_segment_fixed_size 0
		.amdhsa_private_segment_fixed_size 0
		.amdhsa_kernarg_size 88
		.amdhsa_user_sgpr_count 6
		.amdhsa_user_sgpr_private_segment_buffer 1
		.amdhsa_user_sgpr_dispatch_ptr 0
		.amdhsa_user_sgpr_queue_ptr 0
		.amdhsa_user_sgpr_kernarg_segment_ptr 1
		.amdhsa_user_sgpr_dispatch_id 0
		.amdhsa_user_sgpr_flat_scratch_init 0
		.amdhsa_user_sgpr_private_segment_size 0
		.amdhsa_wavefront_size32 1
		.amdhsa_uses_dynamic_stack 0
		.amdhsa_system_sgpr_private_segment_wavefront_offset 0
		.amdhsa_system_sgpr_workgroup_id_x 1
		.amdhsa_system_sgpr_workgroup_id_y 0
		.amdhsa_system_sgpr_workgroup_id_z 0
		.amdhsa_system_sgpr_workgroup_info 0
		.amdhsa_system_vgpr_workitem_id 0
		.amdhsa_next_free_vgpr 1
		.amdhsa_next_free_sgpr 1
		.amdhsa_reserve_vcc 0
		.amdhsa_reserve_flat_scratch 0
		.amdhsa_float_round_mode_32 0
		.amdhsa_float_round_mode_16_64 0
		.amdhsa_float_denorm_mode_32 3
		.amdhsa_float_denorm_mode_16_64 3
		.amdhsa_dx10_clamp 1
		.amdhsa_ieee_mode 1
		.amdhsa_fp16_overflow 0
		.amdhsa_workgroup_processor_mode 1
		.amdhsa_memory_ordered 1
		.amdhsa_forward_progress 1
		.amdhsa_shared_vgpr_count 0
		.amdhsa_exception_fp_ieee_invalid_op 0
		.amdhsa_exception_fp_denorm_src 0
		.amdhsa_exception_fp_ieee_div_zero 0
		.amdhsa_exception_fp_ieee_overflow 0
		.amdhsa_exception_fp_ieee_underflow 0
		.amdhsa_exception_fp_ieee_inexact 0
		.amdhsa_exception_int_div_zero 0
	.end_amdhsa_kernel
	.section	.text._ZN7rocprim17ROCPRIM_400000_NS6detail17trampoline_kernelINS0_14default_configENS1_36segmented_radix_sort_config_selectorIilEEZNS1_25segmented_radix_sort_implIS3_Lb1EPKiPiPKlPlN2at6native12_GLOBAL__N_18offset_tEEE10hipError_tPvRmT1_PNSt15iterator_traitsISK_E10value_typeET2_T3_PNSL_ISQ_E10value_typeET4_jRbjT5_SW_jjP12ihipStream_tbEUlT_E0_NS1_11comp_targetILNS1_3genE9ELNS1_11target_archE1100ELNS1_3gpuE3ELNS1_3repE0EEENS1_60segmented_radix_sort_warp_sort_medium_config_static_selectorELNS0_4arch9wavefront6targetE0EEEvSK_,"axG",@progbits,_ZN7rocprim17ROCPRIM_400000_NS6detail17trampoline_kernelINS0_14default_configENS1_36segmented_radix_sort_config_selectorIilEEZNS1_25segmented_radix_sort_implIS3_Lb1EPKiPiPKlPlN2at6native12_GLOBAL__N_18offset_tEEE10hipError_tPvRmT1_PNSt15iterator_traitsISK_E10value_typeET2_T3_PNSL_ISQ_E10value_typeET4_jRbjT5_SW_jjP12ihipStream_tbEUlT_E0_NS1_11comp_targetILNS1_3genE9ELNS1_11target_archE1100ELNS1_3gpuE3ELNS1_3repE0EEENS1_60segmented_radix_sort_warp_sort_medium_config_static_selectorELNS0_4arch9wavefront6targetE0EEEvSK_,comdat
.Lfunc_end510:
	.size	_ZN7rocprim17ROCPRIM_400000_NS6detail17trampoline_kernelINS0_14default_configENS1_36segmented_radix_sort_config_selectorIilEEZNS1_25segmented_radix_sort_implIS3_Lb1EPKiPiPKlPlN2at6native12_GLOBAL__N_18offset_tEEE10hipError_tPvRmT1_PNSt15iterator_traitsISK_E10value_typeET2_T3_PNSL_ISQ_E10value_typeET4_jRbjT5_SW_jjP12ihipStream_tbEUlT_E0_NS1_11comp_targetILNS1_3genE9ELNS1_11target_archE1100ELNS1_3gpuE3ELNS1_3repE0EEENS1_60segmented_radix_sort_warp_sort_medium_config_static_selectorELNS0_4arch9wavefront6targetE0EEEvSK_, .Lfunc_end510-_ZN7rocprim17ROCPRIM_400000_NS6detail17trampoline_kernelINS0_14default_configENS1_36segmented_radix_sort_config_selectorIilEEZNS1_25segmented_radix_sort_implIS3_Lb1EPKiPiPKlPlN2at6native12_GLOBAL__N_18offset_tEEE10hipError_tPvRmT1_PNSt15iterator_traitsISK_E10value_typeET2_T3_PNSL_ISQ_E10value_typeET4_jRbjT5_SW_jjP12ihipStream_tbEUlT_E0_NS1_11comp_targetILNS1_3genE9ELNS1_11target_archE1100ELNS1_3gpuE3ELNS1_3repE0EEENS1_60segmented_radix_sort_warp_sort_medium_config_static_selectorELNS0_4arch9wavefront6targetE0EEEvSK_
                                        ; -- End function
	.set _ZN7rocprim17ROCPRIM_400000_NS6detail17trampoline_kernelINS0_14default_configENS1_36segmented_radix_sort_config_selectorIilEEZNS1_25segmented_radix_sort_implIS3_Lb1EPKiPiPKlPlN2at6native12_GLOBAL__N_18offset_tEEE10hipError_tPvRmT1_PNSt15iterator_traitsISK_E10value_typeET2_T3_PNSL_ISQ_E10value_typeET4_jRbjT5_SW_jjP12ihipStream_tbEUlT_E0_NS1_11comp_targetILNS1_3genE9ELNS1_11target_archE1100ELNS1_3gpuE3ELNS1_3repE0EEENS1_60segmented_radix_sort_warp_sort_medium_config_static_selectorELNS0_4arch9wavefront6targetE0EEEvSK_.num_vgpr, 0
	.set _ZN7rocprim17ROCPRIM_400000_NS6detail17trampoline_kernelINS0_14default_configENS1_36segmented_radix_sort_config_selectorIilEEZNS1_25segmented_radix_sort_implIS3_Lb1EPKiPiPKlPlN2at6native12_GLOBAL__N_18offset_tEEE10hipError_tPvRmT1_PNSt15iterator_traitsISK_E10value_typeET2_T3_PNSL_ISQ_E10value_typeET4_jRbjT5_SW_jjP12ihipStream_tbEUlT_E0_NS1_11comp_targetILNS1_3genE9ELNS1_11target_archE1100ELNS1_3gpuE3ELNS1_3repE0EEENS1_60segmented_radix_sort_warp_sort_medium_config_static_selectorELNS0_4arch9wavefront6targetE0EEEvSK_.num_agpr, 0
	.set _ZN7rocprim17ROCPRIM_400000_NS6detail17trampoline_kernelINS0_14default_configENS1_36segmented_radix_sort_config_selectorIilEEZNS1_25segmented_radix_sort_implIS3_Lb1EPKiPiPKlPlN2at6native12_GLOBAL__N_18offset_tEEE10hipError_tPvRmT1_PNSt15iterator_traitsISK_E10value_typeET2_T3_PNSL_ISQ_E10value_typeET4_jRbjT5_SW_jjP12ihipStream_tbEUlT_E0_NS1_11comp_targetILNS1_3genE9ELNS1_11target_archE1100ELNS1_3gpuE3ELNS1_3repE0EEENS1_60segmented_radix_sort_warp_sort_medium_config_static_selectorELNS0_4arch9wavefront6targetE0EEEvSK_.numbered_sgpr, 0
	.set _ZN7rocprim17ROCPRIM_400000_NS6detail17trampoline_kernelINS0_14default_configENS1_36segmented_radix_sort_config_selectorIilEEZNS1_25segmented_radix_sort_implIS3_Lb1EPKiPiPKlPlN2at6native12_GLOBAL__N_18offset_tEEE10hipError_tPvRmT1_PNSt15iterator_traitsISK_E10value_typeET2_T3_PNSL_ISQ_E10value_typeET4_jRbjT5_SW_jjP12ihipStream_tbEUlT_E0_NS1_11comp_targetILNS1_3genE9ELNS1_11target_archE1100ELNS1_3gpuE3ELNS1_3repE0EEENS1_60segmented_radix_sort_warp_sort_medium_config_static_selectorELNS0_4arch9wavefront6targetE0EEEvSK_.num_named_barrier, 0
	.set _ZN7rocprim17ROCPRIM_400000_NS6detail17trampoline_kernelINS0_14default_configENS1_36segmented_radix_sort_config_selectorIilEEZNS1_25segmented_radix_sort_implIS3_Lb1EPKiPiPKlPlN2at6native12_GLOBAL__N_18offset_tEEE10hipError_tPvRmT1_PNSt15iterator_traitsISK_E10value_typeET2_T3_PNSL_ISQ_E10value_typeET4_jRbjT5_SW_jjP12ihipStream_tbEUlT_E0_NS1_11comp_targetILNS1_3genE9ELNS1_11target_archE1100ELNS1_3gpuE3ELNS1_3repE0EEENS1_60segmented_radix_sort_warp_sort_medium_config_static_selectorELNS0_4arch9wavefront6targetE0EEEvSK_.private_seg_size, 0
	.set _ZN7rocprim17ROCPRIM_400000_NS6detail17trampoline_kernelINS0_14default_configENS1_36segmented_radix_sort_config_selectorIilEEZNS1_25segmented_radix_sort_implIS3_Lb1EPKiPiPKlPlN2at6native12_GLOBAL__N_18offset_tEEE10hipError_tPvRmT1_PNSt15iterator_traitsISK_E10value_typeET2_T3_PNSL_ISQ_E10value_typeET4_jRbjT5_SW_jjP12ihipStream_tbEUlT_E0_NS1_11comp_targetILNS1_3genE9ELNS1_11target_archE1100ELNS1_3gpuE3ELNS1_3repE0EEENS1_60segmented_radix_sort_warp_sort_medium_config_static_selectorELNS0_4arch9wavefront6targetE0EEEvSK_.uses_vcc, 0
	.set _ZN7rocprim17ROCPRIM_400000_NS6detail17trampoline_kernelINS0_14default_configENS1_36segmented_radix_sort_config_selectorIilEEZNS1_25segmented_radix_sort_implIS3_Lb1EPKiPiPKlPlN2at6native12_GLOBAL__N_18offset_tEEE10hipError_tPvRmT1_PNSt15iterator_traitsISK_E10value_typeET2_T3_PNSL_ISQ_E10value_typeET4_jRbjT5_SW_jjP12ihipStream_tbEUlT_E0_NS1_11comp_targetILNS1_3genE9ELNS1_11target_archE1100ELNS1_3gpuE3ELNS1_3repE0EEENS1_60segmented_radix_sort_warp_sort_medium_config_static_selectorELNS0_4arch9wavefront6targetE0EEEvSK_.uses_flat_scratch, 0
	.set _ZN7rocprim17ROCPRIM_400000_NS6detail17trampoline_kernelINS0_14default_configENS1_36segmented_radix_sort_config_selectorIilEEZNS1_25segmented_radix_sort_implIS3_Lb1EPKiPiPKlPlN2at6native12_GLOBAL__N_18offset_tEEE10hipError_tPvRmT1_PNSt15iterator_traitsISK_E10value_typeET2_T3_PNSL_ISQ_E10value_typeET4_jRbjT5_SW_jjP12ihipStream_tbEUlT_E0_NS1_11comp_targetILNS1_3genE9ELNS1_11target_archE1100ELNS1_3gpuE3ELNS1_3repE0EEENS1_60segmented_radix_sort_warp_sort_medium_config_static_selectorELNS0_4arch9wavefront6targetE0EEEvSK_.has_dyn_sized_stack, 0
	.set _ZN7rocprim17ROCPRIM_400000_NS6detail17trampoline_kernelINS0_14default_configENS1_36segmented_radix_sort_config_selectorIilEEZNS1_25segmented_radix_sort_implIS3_Lb1EPKiPiPKlPlN2at6native12_GLOBAL__N_18offset_tEEE10hipError_tPvRmT1_PNSt15iterator_traitsISK_E10value_typeET2_T3_PNSL_ISQ_E10value_typeET4_jRbjT5_SW_jjP12ihipStream_tbEUlT_E0_NS1_11comp_targetILNS1_3genE9ELNS1_11target_archE1100ELNS1_3gpuE3ELNS1_3repE0EEENS1_60segmented_radix_sort_warp_sort_medium_config_static_selectorELNS0_4arch9wavefront6targetE0EEEvSK_.has_recursion, 0
	.set _ZN7rocprim17ROCPRIM_400000_NS6detail17trampoline_kernelINS0_14default_configENS1_36segmented_radix_sort_config_selectorIilEEZNS1_25segmented_radix_sort_implIS3_Lb1EPKiPiPKlPlN2at6native12_GLOBAL__N_18offset_tEEE10hipError_tPvRmT1_PNSt15iterator_traitsISK_E10value_typeET2_T3_PNSL_ISQ_E10value_typeET4_jRbjT5_SW_jjP12ihipStream_tbEUlT_E0_NS1_11comp_targetILNS1_3genE9ELNS1_11target_archE1100ELNS1_3gpuE3ELNS1_3repE0EEENS1_60segmented_radix_sort_warp_sort_medium_config_static_selectorELNS0_4arch9wavefront6targetE0EEEvSK_.has_indirect_call, 0
	.section	.AMDGPU.csdata,"",@progbits
; Kernel info:
; codeLenInByte = 0
; TotalNumSgprs: 0
; NumVgprs: 0
; ScratchSize: 0
; MemoryBound: 0
; FloatMode: 240
; IeeeMode: 1
; LDSByteSize: 0 bytes/workgroup (compile time only)
; SGPRBlocks: 0
; VGPRBlocks: 0
; NumSGPRsForWavesPerEU: 1
; NumVGPRsForWavesPerEU: 1
; Occupancy: 16
; WaveLimiterHint : 0
; COMPUTE_PGM_RSRC2:SCRATCH_EN: 0
; COMPUTE_PGM_RSRC2:USER_SGPR: 6
; COMPUTE_PGM_RSRC2:TRAP_HANDLER: 0
; COMPUTE_PGM_RSRC2:TGID_X_EN: 1
; COMPUTE_PGM_RSRC2:TGID_Y_EN: 0
; COMPUTE_PGM_RSRC2:TGID_Z_EN: 0
; COMPUTE_PGM_RSRC2:TIDIG_COMP_CNT: 0
	.text
	.p2align	2                               ; -- Begin function _ZN7rocprim17ROCPRIM_400000_NS6detail26segmented_warp_sort_helperINS1_20WarpSortHelperConfigILj32ELj4ELj256EEEilLi256ELb1EvE4sortIPKiPiPKlPlEEvT_T0_T1_T2_jjjjRNS5_12storage_typeE
	.type	_ZN7rocprim17ROCPRIM_400000_NS6detail26segmented_warp_sort_helperINS1_20WarpSortHelperConfigILj32ELj4ELj256EEEilLi256ELb1EvE4sortIPKiPiPKlPlEEvT_T0_T1_T2_jjjjRNS5_12storage_typeE,@function
_ZN7rocprim17ROCPRIM_400000_NS6detail26segmented_warp_sort_helperINS1_20WarpSortHelperConfigILj32ELj4ELj256EEEilLi256ELb1EvE4sortIPKiPiPKlPlEEvT_T0_T1_T2_jjjjRNS5_12storage_typeE: ; @_ZN7rocprim17ROCPRIM_400000_NS6detail26segmented_warp_sort_helperINS1_20WarpSortHelperConfigILj32ELj4ELj256EEEilLi256ELb1EvE4sortIPKiPiPKlPlEEvT_T0_T1_T2_jjjjRNS5_12storage_typeE
; %bb.0:
	s_waitcnt vmcnt(0) expcnt(0) lgkmcnt(0)
	v_mov_b32_e32 v14, v9
	v_mov_b32_e32 v9, 0
	v_mbcnt_lo_u32_b32 v15, -1, 0
	v_bfrev_b32_e32 v37, 1
	v_bfrev_b32_e32 v39, 1
	v_sub_nc_u32_e32 v14, v14, v8
	v_lshlrev_b64 v[32:33], 2, v[8:9]
	v_lshlrev_b32_e32 v16, 4, v15
	v_lshlrev_b32_e32 v30, 2, v15
	v_add_co_u32 v0, vcc_lo, v0, v32
	v_add_co_ci_u32_e64 v1, null, v1, v33, vcc_lo
	v_add_co_u32 v0, vcc_lo, v0, v16
	v_add_co_ci_u32_e64 v1, null, 0, v1, vcc_lo
	v_cmp_lt_u32_e32 vcc_lo, v30, v14
	s_and_saveexec_b32 s4, vcc_lo
	s_cbranch_execz .LBB511_2
; %bb.1:
	flat_load_dword v39, v[0:1]
.LBB511_2:
	s_or_b32 exec_lo, exec_lo, s4
	v_or_b32_e32 v15, 1, v30
	v_cmp_lt_u32_e64 s4, v15, v14
	s_and_saveexec_b32 s5, s4
	s_cbranch_execz .LBB511_4
; %bb.3:
	flat_load_dword v37, v[0:1] offset:4
.LBB511_4:
	s_or_b32 exec_lo, exec_lo, s5
	v_or_b32_e32 v15, 2, v30
	v_bfrev_b32_e32 v38, 1
	v_bfrev_b32_e32 v24, 1
	v_cmp_lt_u32_e64 s5, v15, v14
	s_and_saveexec_b32 s6, s5
	s_cbranch_execz .LBB511_6
; %bb.5:
	flat_load_dword v24, v[0:1] offset:8
.LBB511_6:
	s_or_b32 exec_lo, exec_lo, s6
	v_or_b32_e32 v15, 3, v30
	v_cmp_lt_u32_e64 s6, v15, v14
	s_and_saveexec_b32 s7, s6
	s_cbranch_execz .LBB511_8
; %bb.7:
	flat_load_dword v38, v[0:1] offset:12
.LBB511_8:
	s_or_b32 exec_lo, exec_lo, s7
	v_lshlrev_b64 v[0:1], 3, v[8:9]
	v_lshlrev_b32_e32 v36, 3, v30
	v_mov_b32_e32 v8, 0
	v_mov_b32_e32 v9, 0
	; wave barrier
	v_add_co_u32 v14, s7, v4, v0
	v_add_co_ci_u32_e64 v15, null, v5, v1, s7
	v_mov_b32_e32 v4, 0
	v_add_co_u32 v16, s7, v14, v36
	v_mov_b32_e32 v5, 0
	v_add_co_ci_u32_e64 v17, null, 0, v15, s7
	s_and_saveexec_b32 s7, vcc_lo
	s_cbranch_execz .LBB511_10
; %bb.9:
	flat_load_dwordx2 v[4:5], v[16:17]
.LBB511_10:
	s_or_b32 exec_lo, exec_lo, s7
	s_mov_b32 s7, 0
	v_mov_b32_e32 v18, s7
	v_mov_b32_e32 v19, s7
	;; [unrolled: 1-line block ×6, first 2 shown]
	s_and_saveexec_b32 s10, s4
	s_cbranch_execz .LBB511_12
; %bb.11:
	flat_load_dwordx2 v[18:19], v[16:17] offset:8
	v_mov_b32_e32 v22, s7
	v_mov_b32_e32 v23, s7
	;; [unrolled: 1-line block ×4, first 2 shown]
	s_waitcnt vmcnt(0) lgkmcnt(0)
	v_mov_b32_e32 v8, v18
	v_mov_b32_e32 v9, v19
.LBB511_12:
	s_or_b32 exec_lo, exec_lo, s10
	v_mov_b32_e32 v20, 0
	v_mov_b32_e32 v14, 0
	;; [unrolled: 1-line block ×4, first 2 shown]
	s_and_saveexec_b32 s7, s5
	s_cbranch_execz .LBB511_14
; %bb.13:
	flat_load_dwordx2 v[22:23], v[16:17] offset:16
	s_mov_b32 s10, 0
	v_mov_b32_e32 v34, s10
	v_mov_b32_e32 v35, s10
	s_waitcnt vmcnt(0) lgkmcnt(0)
	v_mov_b32_e32 v14, v22
	v_mov_b32_e32 v15, v23
.LBB511_14:
	s_or_b32 exec_lo, exec_lo, s7
	s_and_saveexec_b32 s7, s6
	s_cbranch_execz .LBB511_16
; %bb.15:
	flat_load_dwordx2 v[34:35], v[16:17] offset:24
	s_waitcnt vmcnt(0) lgkmcnt(0)
	v_mov_b32_e32 v20, v34
	v_mov_b32_e32 v21, v35
.LBB511_16:
	s_or_b32 exec_lo, exec_lo, s7
	v_cmp_ne_u32_e64 s7, 0, v10
	v_cmp_ne_u32_e64 s10, 32, v11
	v_bfe_u32 v17, v31, 10, 10
	v_bfe_u32 v25, v31, 20, 10
	v_and_b32_e32 v16, 0x3ff, v31
	s_or_b32 s7, s7, s10
	; wave barrier
	s_and_saveexec_b32 s10, s7
	s_xor_b32 s17, exec_lo, s10
	s_cbranch_execz .LBB511_80
; %bb.17:
	s_load_dwordx2 s[10:11], s[8:9], 0x0
	v_mov_b32_e32 v26, 0
	v_lshlrev_b32_e64 v10, v10, -1
	s_waitcnt lgkmcnt(0)
	s_cmp_lt_u32 s13, s11
	s_cselect_b32 s7, 14, 20
	s_add_u32 s14, s8, s7
	s_addc_u32 s15, s9, 0
	s_cmp_lt_u32 s12, s10
	global_load_ushort v27, v26, s[14:15]
	s_cselect_b32 s7, 12, 18
	s_add_u32 s10, s8, s7
	s_addc_u32 s11, s9, 0
	global_load_ushort v26, v26, s[10:11]
	s_mov_b32 s11, exec_lo
	s_waitcnt vmcnt(1)
	v_mad_u32_u24 v17, v25, v27, v17
	v_lshlrev_b32_e64 v25, v11, -1
	v_xor_b32_e32 v10, v25, v10
	s_waitcnt vmcnt(0)
	v_mul_lo_u32 v17, v17, v26
	v_add_lshl_u32 v11, v17, v16, 2
	v_cmpx_gt_u32_e32 0x400, v11
	s_cbranch_execz .LBB511_29
; %bb.18:
	v_and_b32_e32 v14, v37, v10
	v_and_b32_e32 v15, v39, v10
	;; [unrolled: 1-line block ×4, first 2 shown]
	v_mov_b32_e32 v31, v24
	s_mov_b32 s14, exec_lo
	v_cmp_gt_u32_e64 s7, v14, v15
	v_cndmask_b32_e64 v17, v19, v5, s7
	v_cndmask_b32_e64 v16, v18, v4, s7
	;; [unrolled: 1-line block ×4, first 2 shown]
	v_mov_b32_e32 v18, v22
	v_mov_b32_e32 v19, v23
	v_cmpx_gt_u32_e64 v9, v8
	s_cbranch_execz .LBB511_20
; %bb.19:
	v_mov_b32_e32 v18, v34
	v_mov_b32_e32 v19, v35
	;; [unrolled: 1-line block ×7, first 2 shown]
.LBB511_20:
	s_or_b32 exec_lo, exec_lo, s14
	v_cndmask_b32_e64 v5, v37, v39, s7
	v_mov_b32_e32 v20, v34
	v_mov_b32_e32 v29, v21
	;; [unrolled: 1-line block ×4, first 2 shown]
	v_and_b32_e32 v4, v5, v10
	v_mov_b32_e32 v28, v20
	v_mov_b32_e32 v27, v19
	;; [unrolled: 1-line block ×4, first 2 shown]
	v_cmp_le_u32_e64 s10, v8, v4
	v_mov_b32_e32 v24, v16
                                        ; implicit-def: $vgpr48
	s_and_saveexec_b32 s14, s10
	s_xor_b32 s10, exec_lo, s14
; %bb.21:
	v_and_b32_e32 v48, v31, v10
                                        ; implicit-def: $vgpr22_vgpr23_vgpr24_vgpr25_vgpr26_vgpr27_vgpr28_vgpr29
                                        ; implicit-def: $vgpr8
; %bb.22:
	s_or_saveexec_b32 s10, s10
	v_mov_b32_e32 v21, v35
	v_mov_b32_e32 v25, v5
	s_xor_b32 exec_lo, exec_lo, s10
	s_cbranch_execz .LBB511_24
; %bb.23:
	v_mov_b32_e32 v24, v18
	v_mov_b32_e32 v25, v19
	;; [unrolled: 1-line block ×18, first 2 shown]
.LBB511_24:
	s_or_b32 exec_lo, exec_lo, s10
	v_cndmask_b32_e64 v22, v39, v37, s7
	v_and_b32_e32 v23, v38, v10
	s_mov_b32 s14, exec_lo
	v_and_b32_e32 v5, v22, v10
	v_cmp_gt_u32_e64 s7, v4, v5
	v_cndmask_b32_e64 v9, v17, v15, s7
	v_cndmask_b32_e64 v8, v16, v14, s7
	;; [unrolled: 1-line block ×4, first 2 shown]
	v_mov_b32_e32 v16, v31
	v_cmpx_gt_u32_e64 v23, v48
	s_cbranch_execz .LBB511_26
; %bb.25:
	v_mov_b32_e32 v14, v18
	v_mov_b32_e32 v15, v19
	;; [unrolled: 1-line block ×9, first 2 shown]
.LBB511_26:
	s_or_b32 exec_lo, exec_lo, s14
	v_cndmask_b32_e64 v37, v25, v22, s7
	v_mov_b32_e32 v14, v18
	v_mov_b32_e32 v15, v19
	;; [unrolled: 1-line block ×3, first 2 shown]
	s_mov_b32 s14, exec_lo
	v_and_b32_e32 v17, v37, v10
	v_cmpx_gt_u32_e64 v48, v17
; %bb.27:
	v_mov_b32_e32 v15, v9
	v_mov_b32_e32 v14, v8
	;; [unrolled: 1-line block ×6, first 2 shown]
; %bb.28:
	s_or_b32 exec_lo, exec_lo, s14
	v_cndmask_b32_e64 v39, v22, v25, s7
.LBB511_29:
	s_or_b32 exec_lo, exec_lo, s11
	v_and_b32_e32 v17, 0xffffff80, v11
	v_or_b32_e32 v11, 4, v30
	v_mov_b32_e32 v18, 0
	v_and_b32_e32 v29, 0x78, v30
	s_mov_b32 s10, exec_lo
	v_sub_nc_u32_e64 v16, 0x400, v17 clamp
	v_lshlrev_b64 v[22:23], 3, v[17:18]
	v_lshlrev_b64 v[17:18], 2, v[17:18]
	v_min_u32_e32 v27, v16, v11
	v_and_b32_e32 v11, 4, v30
	v_add_nc_u32_e32 v19, 4, v27
	v_min_u32_e32 v31, v16, v11
	v_add_co_u32 v11, null, v12, v22
	v_add_co_u32 v12, s7, v12, v17
	v_min_u32_e32 v28, v16, v19
	v_sub_nc_u32_e32 v19, v27, v29
	v_add_co_u32 v11, null, 0x1000, v11
	v_add_co_ci_u32_e64 v13, null, v13, v18, s7
	v_sub_nc_u32_e32 v22, v28, v27
	v_lshl_add_u32 v13, v30, 2, v12
	v_lshl_add_u32 v17, v30, 3, v11
	v_min_u32_e32 v18, v31, v19
	ds_write2_b32 v13, v39, v37 offset1:1
	ds_write2_b64 v17, v[4:5], v[8:9] offset1:1
	ds_write2_b32 v13, v24, v38 offset0:2 offset1:3
	ds_write2_b64 v17, v[14:15], v[20:21] offset0:2 offset1:3
	v_sub_nc_u32_e64 v34, v31, v22 clamp
	; wave barrier
	v_cmpx_lt_u32_e64 v34, v18
	s_cbranch_execz .LBB511_33
; %bb.30:
	v_lshlrev_b32_e32 v19, 2, v29
	v_lshlrev_b32_e32 v22, 2, v27
	s_mov_b32 s11, 0
	v_add_co_u32 v19, null, v12, v19
	v_add_co_u32 v22, null, v12, v22
	.p2align	6
.LBB511_31:                             ; =>This Inner Loop Header: Depth=1
	v_add_nc_u32_e32 v23, v18, v34
	v_lshrrev_b32_e32 v23, 1, v23
	v_xad_u32 v25, v23, -1, v31
	v_lshl_add_u32 v26, v23, 2, v19
	v_add_nc_u32_e32 v35, 1, v23
	v_lshl_add_u32 v25, v25, 2, v22
	ds_read_b32 v26, v26
	ds_read_b32 v25, v25
	s_waitcnt lgkmcnt(1)
	v_and_b32_e32 v26, v26, v10
	s_waitcnt lgkmcnt(0)
	v_and_b32_e32 v25, v25, v10
	v_cmp_gt_u32_e64 s7, v25, v26
	v_cndmask_b32_e64 v18, v18, v23, s7
	v_cndmask_b32_e64 v34, v35, v34, s7
	v_cmp_ge_u32_e64 s7, v34, v18
	s_or_b32 s11, s7, s11
	s_andn2_b32 exec_lo, exec_lo, s11
	s_cbranch_execnz .LBB511_31
; %bb.32:
	s_or_b32 exec_lo, exec_lo, s11
.LBB511_33:
	s_or_b32 exec_lo, exec_lo, s10
	v_add_nc_u32_e32 v31, v27, v31
	v_add_nc_u32_e32 v35, v34, v29
	;; [unrolled: 1-line block ×5, first 2 shown]
	v_sub_nc_u32_e32 v31, v31, v34
	v_cmp_le_u32_e64 s7, v35, v27
	v_add_nc_u32_e32 v26, 16, v17
	v_add_nc_u32_e32 v18, 12, v13
	;; [unrolled: 1-line block ×3, first 2 shown]
	v_cmp_le_u32_e64 s10, v31, v28
	s_or_b32 s7, s7, s10
	s_and_saveexec_b32 s18, s7
	s_cbranch_execz .LBB511_39
; %bb.34:
	v_cmp_lt_u32_e64 s7, v35, v27
                                        ; implicit-def: $vgpr24
	s_and_saveexec_b32 s10, s7
; %bb.35:
	v_lshl_add_u32 v4, v35, 2, v12
	ds_read_b32 v24, v4
; %bb.36:
	s_or_b32 exec_lo, exec_lo, s10
	v_cmp_ge_u32_e64 s10, v31, v28
	s_mov_b32 s14, exec_lo
                                        ; implicit-def: $vgpr29
	v_cmpx_lt_u32_e64 v31, v28
; %bb.37:
	v_lshl_add_u32 v4, v31, 2, v12
	ds_read_b32 v29, v4
; %bb.38:
	s_or_b32 exec_lo, exec_lo, s14
	s_waitcnt lgkmcnt(0)
	v_and_b32_e32 v4, v29, v10
	v_and_b32_e32 v5, v24, v10
	v_cmp_le_u32_e64 s11, v4, v5
	s_and_b32 s7, s7, s11
	s_or_b32 s7, s10, s7
	v_cndmask_b32_e64 v4, v31, v35, s7
	v_cndmask_b32_e64 v5, v28, v27, s7
	;; [unrolled: 1-line block ×3, first 2 shown]
	v_add_nc_u32_e32 v8, 1, v4
	v_add_nc_u32_e32 v5, -1, v5
	v_lshl_add_u32 v4, v4, 3, v11
	v_min_u32_e32 v5, v8, v5
	v_lshl_add_u32 v5, v5, 2, v12
	ds_read_b32 v5, v5
	s_waitcnt lgkmcnt(0)
	v_cndmask_b32_e64 v34, v5, v29, s7
	v_cndmask_b32_e64 v37, v24, v5, s7
	;; [unrolled: 1-line block ×4, first 2 shown]
	v_and_b32_e32 v9, v34, v10
	v_and_b32_e32 v14, v37, v10
	v_cmp_lt_u32_e64 s10, v5, v27
	v_cmp_ge_u32_e64 s14, v8, v28
	v_cmp_le_u32_e64 s11, v9, v14
	s_and_b32 s10, s10, s11
	s_or_b32 s10, s14, s10
	v_cndmask_b32_e64 v9, v8, v5, s10
	v_cndmask_b32_e64 v14, v28, v27, s10
	v_add_nc_u32_e32 v15, 1, v9
	v_add_nc_u32_e32 v14, -1, v14
	v_cndmask_b32_e64 v5, v5, v15, s10
	v_min_u32_e32 v14, v15, v14
	v_cndmask_b32_e64 v8, v15, v8, s10
	v_cmp_lt_u32_e64 s11, v5, v27
	v_lshl_add_u32 v14, v14, 2, v12
	v_cmp_ge_u32_e64 s15, v8, v28
	ds_read_b32 v14, v14
	s_waitcnt lgkmcnt(0)
	v_cndmask_b32_e64 v31, v14, v34, s10
	v_cndmask_b32_e64 v35, v37, v14, s10
	;; [unrolled: 1-line block ×3, first 2 shown]
	v_and_b32_e32 v14, v31, v10
	v_and_b32_e32 v20, v35, v10
	v_cmp_le_u32_e64 s14, v14, v20
	s_and_b32 s11, s11, s14
	s_or_b32 s11, s15, s11
	v_cndmask_b32_e64 v14, v8, v5, s11
	v_cndmask_b32_e64 v15, v28, v27, s11
	;; [unrolled: 1-line block ×3, first 2 shown]
	v_add_nc_u32_e32 v20, 1, v14
	v_add_nc_u32_e32 v15, -1, v15
	v_lshl_add_u32 v14, v14, 3, v11
	v_cndmask_b32_e64 v5, v5, v20, s11
	v_min_u32_e32 v15, v20, v15
	v_cndmask_b32_e64 v8, v20, v8, s11
	v_cmp_lt_u32_e64 s14, v5, v27
	v_lshl_add_u32 v15, v15, 2, v12
	v_cmp_ge_u32_e64 s16, v8, v28
	ds_read_b32 v15, v15
	s_waitcnt lgkmcnt(0)
	v_cndmask_b32_e64 v38, v15, v31, s11
	v_cndmask_b32_e64 v48, v35, v15, s11
	v_and_b32_e32 v15, v38, v10
	v_and_b32_e32 v21, v48, v10
	v_cmp_le_u32_e64 s15, v15, v21
	s_and_b32 s14, s14, s15
	s_or_b32 s14, s16, s14
	v_cndmask_b32_e64 v5, v8, v5, s14
	v_lshl_add_u32 v8, v9, 3, v11
	v_cndmask_b32_e64 v38, v38, v48, s14
	v_lshl_add_u32 v20, v5, 3, v11
	ds_read_b64 v[4:5], v4
	ds_read_b64 v[8:9], v8
	;; [unrolled: 1-line block ×4, first 2 shown]
.LBB511_39:
	s_or_b32 exec_lo, exec_lo, s18
	v_and_b32_e32 v29, 0x70, v30
	v_and_b32_e32 v31, 12, v30
	s_mov_b32 s10, exec_lo
	; wave barrier
	v_or_b32_e32 v27, 8, v29
	v_min_u32_e32 v31, v16, v31
	ds_write_b32 v13, v39
	s_waitcnt lgkmcnt(4)
	ds_write_b64 v17, v[4:5]
	ds_write_b32 v22, v37
	s_waitcnt lgkmcnt(5)
	ds_write_b64 v23, v[8:9]
	;; [unrolled: 3-line block ×4, first 2 shown]
	v_min_u32_e32 v27, v16, v27
	; wave barrier
	v_add_nc_u32_e32 v28, 8, v27
	v_sub_nc_u32_e32 v35, v27, v29
	v_min_u32_e32 v28, v16, v28
	v_min_u32_e32 v35, v31, v35
	v_sub_nc_u32_e32 v34, v28, v27
	v_sub_nc_u32_e64 v34, v31, v34 clamp
	v_cmpx_lt_u32_e64 v34, v35
	s_cbranch_execz .LBB511_43
; %bb.40:
	v_lshlrev_b32_e32 v48, 2, v29
	v_lshlrev_b32_e32 v49, 2, v27
	s_mov_b32 s11, 0
	v_add_co_u32 v48, null, v12, v48
	v_add_co_u32 v49, null, v12, v49
	.p2align	6
.LBB511_41:                             ; =>This Inner Loop Header: Depth=1
	v_add_nc_u32_e32 v50, v35, v34
	v_lshrrev_b32_e32 v50, 1, v50
	v_xad_u32 v51, v50, -1, v31
	v_lshl_add_u32 v52, v50, 2, v48
	v_add_nc_u32_e32 v53, 1, v50
	v_lshl_add_u32 v51, v51, 2, v49
	ds_read_b32 v52, v52
	ds_read_b32 v51, v51
	s_waitcnt lgkmcnt(1)
	v_and_b32_e32 v52, v52, v10
	s_waitcnt lgkmcnt(0)
	v_and_b32_e32 v51, v51, v10
	v_cmp_gt_u32_e64 s7, v51, v52
	v_cndmask_b32_e64 v35, v35, v50, s7
	v_cndmask_b32_e64 v34, v53, v34, s7
	v_cmp_ge_u32_e64 s7, v34, v35
	s_or_b32 s11, s7, s11
	s_andn2_b32 exec_lo, exec_lo, s11
	s_cbranch_execnz .LBB511_41
; %bb.42:
	s_or_b32 exec_lo, exec_lo, s11
.LBB511_43:
	s_or_b32 exec_lo, exec_lo, s10
	v_add_nc_u32_e32 v31, v27, v31
	v_add_nc_u32_e32 v35, v34, v29
	v_sub_nc_u32_e32 v31, v31, v34
	v_cmp_le_u32_e64 s7, v35, v27
	v_cmp_le_u32_e64 s10, v31, v28
	s_or_b32 s7, s7, s10
	s_and_saveexec_b32 s18, s7
	s_cbranch_execz .LBB511_49
; %bb.44:
	v_cmp_lt_u32_e64 s7, v35, v27
                                        ; implicit-def: $vgpr24
	s_and_saveexec_b32 s10, s7
; %bb.45:
	v_lshl_add_u32 v4, v35, 2, v12
	ds_read_b32 v24, v4
; %bb.46:
	s_or_b32 exec_lo, exec_lo, s10
	v_cmp_ge_u32_e64 s10, v31, v28
	s_mov_b32 s14, exec_lo
                                        ; implicit-def: $vgpr29
	v_cmpx_lt_u32_e64 v31, v28
; %bb.47:
	v_lshl_add_u32 v4, v31, 2, v12
	ds_read_b32 v29, v4
; %bb.48:
	s_or_b32 exec_lo, exec_lo, s14
	s_waitcnt lgkmcnt(0)
	v_and_b32_e32 v4, v29, v10
	v_and_b32_e32 v5, v24, v10
	v_cmp_le_u32_e64 s11, v4, v5
	s_and_b32 s7, s7, s11
	s_or_b32 s7, s10, s7
	v_cndmask_b32_e64 v4, v31, v35, s7
	v_cndmask_b32_e64 v5, v28, v27, s7
	;; [unrolled: 1-line block ×3, first 2 shown]
	v_add_nc_u32_e32 v8, 1, v4
	v_add_nc_u32_e32 v5, -1, v5
	v_lshl_add_u32 v4, v4, 3, v11
	v_min_u32_e32 v5, v8, v5
	v_lshl_add_u32 v5, v5, 2, v12
	ds_read_b32 v5, v5
	s_waitcnt lgkmcnt(0)
	v_cndmask_b32_e64 v34, v5, v29, s7
	v_cndmask_b32_e64 v37, v24, v5, s7
	;; [unrolled: 1-line block ×4, first 2 shown]
	v_and_b32_e32 v9, v34, v10
	v_and_b32_e32 v14, v37, v10
	v_cmp_lt_u32_e64 s10, v5, v27
	v_cmp_ge_u32_e64 s14, v8, v28
	v_cmp_le_u32_e64 s11, v9, v14
	s_and_b32 s10, s10, s11
	s_or_b32 s10, s14, s10
	v_cndmask_b32_e64 v9, v8, v5, s10
	v_cndmask_b32_e64 v14, v28, v27, s10
	v_add_nc_u32_e32 v15, 1, v9
	v_add_nc_u32_e32 v14, -1, v14
	v_cndmask_b32_e64 v5, v5, v15, s10
	v_min_u32_e32 v14, v15, v14
	v_cndmask_b32_e64 v8, v15, v8, s10
	v_cmp_lt_u32_e64 s11, v5, v27
	v_lshl_add_u32 v14, v14, 2, v12
	v_cmp_ge_u32_e64 s15, v8, v28
	ds_read_b32 v14, v14
	s_waitcnt lgkmcnt(0)
	v_cndmask_b32_e64 v31, v14, v34, s10
	v_cndmask_b32_e64 v35, v37, v14, s10
	;; [unrolled: 1-line block ×3, first 2 shown]
	v_and_b32_e32 v14, v31, v10
	v_and_b32_e32 v20, v35, v10
	v_cmp_le_u32_e64 s14, v14, v20
	s_and_b32 s11, s11, s14
	s_or_b32 s11, s15, s11
	v_cndmask_b32_e64 v14, v8, v5, s11
	v_cndmask_b32_e64 v15, v28, v27, s11
	;; [unrolled: 1-line block ×3, first 2 shown]
	v_add_nc_u32_e32 v20, 1, v14
	v_add_nc_u32_e32 v15, -1, v15
	v_lshl_add_u32 v14, v14, 3, v11
	v_cndmask_b32_e64 v5, v5, v20, s11
	v_min_u32_e32 v15, v20, v15
	v_cndmask_b32_e64 v8, v20, v8, s11
	v_cmp_lt_u32_e64 s14, v5, v27
	v_lshl_add_u32 v15, v15, 2, v12
	v_cmp_ge_u32_e64 s16, v8, v28
	ds_read_b32 v15, v15
	s_waitcnt lgkmcnt(0)
	v_cndmask_b32_e64 v38, v15, v31, s11
	v_cndmask_b32_e64 v48, v35, v15, s11
	v_and_b32_e32 v15, v38, v10
	v_and_b32_e32 v21, v48, v10
	v_cmp_le_u32_e64 s15, v15, v21
	s_and_b32 s14, s14, s15
	s_or_b32 s14, s16, s14
	v_cndmask_b32_e64 v5, v8, v5, s14
	v_lshl_add_u32 v8, v9, 3, v11
	v_cndmask_b32_e64 v38, v38, v48, s14
	v_lshl_add_u32 v20, v5, 3, v11
	ds_read_b64 v[4:5], v4
	ds_read_b64 v[8:9], v8
	;; [unrolled: 1-line block ×4, first 2 shown]
.LBB511_49:
	s_or_b32 exec_lo, exec_lo, s18
	v_and_b32_e32 v29, 0x60, v30
	v_and_b32_e32 v31, 28, v30
	s_mov_b32 s10, exec_lo
	; wave barrier
	v_or_b32_e32 v27, 16, v29
	v_min_u32_e32 v31, v16, v31
	ds_write_b32 v13, v39
	s_waitcnt lgkmcnt(4)
	ds_write_b64 v17, v[4:5]
	ds_write_b32 v22, v37
	s_waitcnt lgkmcnt(5)
	ds_write_b64 v23, v[8:9]
	;; [unrolled: 3-line block ×4, first 2 shown]
	v_min_u32_e32 v27, v16, v27
	; wave barrier
	v_add_nc_u32_e32 v28, 16, v27
	v_sub_nc_u32_e32 v35, v27, v29
	v_min_u32_e32 v28, v16, v28
	v_min_u32_e32 v35, v31, v35
	v_sub_nc_u32_e32 v34, v28, v27
	v_sub_nc_u32_e64 v34, v31, v34 clamp
	v_cmpx_lt_u32_e64 v34, v35
	s_cbranch_execz .LBB511_53
; %bb.50:
	v_lshlrev_b32_e32 v48, 2, v29
	v_lshlrev_b32_e32 v49, 2, v27
	s_mov_b32 s11, 0
	v_add_co_u32 v48, null, v12, v48
	v_add_co_u32 v49, null, v12, v49
	.p2align	6
.LBB511_51:                             ; =>This Inner Loop Header: Depth=1
	v_add_nc_u32_e32 v50, v35, v34
	v_lshrrev_b32_e32 v50, 1, v50
	v_xad_u32 v51, v50, -1, v31
	v_lshl_add_u32 v52, v50, 2, v48
	v_add_nc_u32_e32 v53, 1, v50
	v_lshl_add_u32 v51, v51, 2, v49
	ds_read_b32 v52, v52
	ds_read_b32 v51, v51
	s_waitcnt lgkmcnt(1)
	v_and_b32_e32 v52, v52, v10
	s_waitcnt lgkmcnt(0)
	v_and_b32_e32 v51, v51, v10
	v_cmp_gt_u32_e64 s7, v51, v52
	v_cndmask_b32_e64 v35, v35, v50, s7
	v_cndmask_b32_e64 v34, v53, v34, s7
	v_cmp_ge_u32_e64 s7, v34, v35
	s_or_b32 s11, s7, s11
	s_andn2_b32 exec_lo, exec_lo, s11
	s_cbranch_execnz .LBB511_51
; %bb.52:
	s_or_b32 exec_lo, exec_lo, s11
.LBB511_53:
	s_or_b32 exec_lo, exec_lo, s10
	v_add_nc_u32_e32 v31, v27, v31
	v_add_nc_u32_e32 v35, v34, v29
	v_sub_nc_u32_e32 v31, v31, v34
	v_cmp_le_u32_e64 s7, v35, v27
	v_cmp_le_u32_e64 s10, v31, v28
	s_or_b32 s7, s7, s10
	s_and_saveexec_b32 s18, s7
	s_cbranch_execz .LBB511_59
; %bb.54:
	v_cmp_lt_u32_e64 s7, v35, v27
                                        ; implicit-def: $vgpr24
	s_and_saveexec_b32 s10, s7
; %bb.55:
	v_lshl_add_u32 v4, v35, 2, v12
	ds_read_b32 v24, v4
; %bb.56:
	s_or_b32 exec_lo, exec_lo, s10
	v_cmp_ge_u32_e64 s10, v31, v28
	s_mov_b32 s14, exec_lo
                                        ; implicit-def: $vgpr29
	v_cmpx_lt_u32_e64 v31, v28
; %bb.57:
	v_lshl_add_u32 v4, v31, 2, v12
	ds_read_b32 v29, v4
; %bb.58:
	s_or_b32 exec_lo, exec_lo, s14
	s_waitcnt lgkmcnt(0)
	v_and_b32_e32 v4, v29, v10
	v_and_b32_e32 v5, v24, v10
	v_cmp_le_u32_e64 s11, v4, v5
	s_and_b32 s7, s7, s11
	s_or_b32 s7, s10, s7
	v_cndmask_b32_e64 v4, v31, v35, s7
	v_cndmask_b32_e64 v5, v28, v27, s7
	;; [unrolled: 1-line block ×3, first 2 shown]
	v_add_nc_u32_e32 v8, 1, v4
	v_add_nc_u32_e32 v5, -1, v5
	v_lshl_add_u32 v4, v4, 3, v11
	v_min_u32_e32 v5, v8, v5
	v_lshl_add_u32 v5, v5, 2, v12
	ds_read_b32 v5, v5
	s_waitcnt lgkmcnt(0)
	v_cndmask_b32_e64 v34, v5, v29, s7
	v_cndmask_b32_e64 v37, v24, v5, s7
	v_cndmask_b32_e64 v5, v35, v8, s7
	v_cndmask_b32_e64 v8, v8, v31, s7
	v_and_b32_e32 v9, v34, v10
	v_and_b32_e32 v14, v37, v10
	v_cmp_lt_u32_e64 s10, v5, v27
	v_cmp_ge_u32_e64 s14, v8, v28
	v_cmp_le_u32_e64 s11, v9, v14
	s_and_b32 s10, s10, s11
	s_or_b32 s10, s14, s10
	v_cndmask_b32_e64 v9, v8, v5, s10
	v_cndmask_b32_e64 v14, v28, v27, s10
	v_add_nc_u32_e32 v15, 1, v9
	v_add_nc_u32_e32 v14, -1, v14
	v_cndmask_b32_e64 v5, v5, v15, s10
	v_min_u32_e32 v14, v15, v14
	v_cndmask_b32_e64 v8, v15, v8, s10
	v_cmp_lt_u32_e64 s11, v5, v27
	v_lshl_add_u32 v14, v14, 2, v12
	v_cmp_ge_u32_e64 s15, v8, v28
	ds_read_b32 v14, v14
	s_waitcnt lgkmcnt(0)
	v_cndmask_b32_e64 v31, v14, v34, s10
	v_cndmask_b32_e64 v35, v37, v14, s10
	;; [unrolled: 1-line block ×3, first 2 shown]
	v_and_b32_e32 v14, v31, v10
	v_and_b32_e32 v20, v35, v10
	v_cmp_le_u32_e64 s14, v14, v20
	s_and_b32 s11, s11, s14
	s_or_b32 s11, s15, s11
	v_cndmask_b32_e64 v14, v8, v5, s11
	v_cndmask_b32_e64 v15, v28, v27, s11
	;; [unrolled: 1-line block ×3, first 2 shown]
	v_add_nc_u32_e32 v20, 1, v14
	v_add_nc_u32_e32 v15, -1, v15
	v_lshl_add_u32 v14, v14, 3, v11
	v_cndmask_b32_e64 v5, v5, v20, s11
	v_min_u32_e32 v15, v20, v15
	v_cndmask_b32_e64 v8, v20, v8, s11
	v_cmp_lt_u32_e64 s14, v5, v27
	v_lshl_add_u32 v15, v15, 2, v12
	v_cmp_ge_u32_e64 s16, v8, v28
	ds_read_b32 v15, v15
	s_waitcnt lgkmcnt(0)
	v_cndmask_b32_e64 v38, v15, v31, s11
	v_cndmask_b32_e64 v48, v35, v15, s11
	v_and_b32_e32 v15, v38, v10
	v_and_b32_e32 v21, v48, v10
	v_cmp_le_u32_e64 s15, v15, v21
	s_and_b32 s14, s14, s15
	s_or_b32 s14, s16, s14
	v_cndmask_b32_e64 v5, v8, v5, s14
	v_lshl_add_u32 v8, v9, 3, v11
	v_cndmask_b32_e64 v38, v38, v48, s14
	v_lshl_add_u32 v20, v5, 3, v11
	ds_read_b64 v[4:5], v4
	ds_read_b64 v[8:9], v8
	;; [unrolled: 1-line block ×4, first 2 shown]
.LBB511_59:
	s_or_b32 exec_lo, exec_lo, s18
	v_and_b32_e32 v29, 64, v30
	v_and_b32_e32 v31, 60, v30
	s_mov_b32 s10, exec_lo
	; wave barrier
	v_or_b32_e32 v27, 32, v29
	v_min_u32_e32 v31, v16, v31
	ds_write_b32 v13, v39
	s_waitcnt lgkmcnt(4)
	ds_write_b64 v17, v[4:5]
	ds_write_b32 v22, v37
	s_waitcnt lgkmcnt(5)
	ds_write_b64 v23, v[8:9]
	;; [unrolled: 3-line block ×4, first 2 shown]
	v_min_u32_e32 v27, v16, v27
	; wave barrier
	v_add_nc_u32_e32 v28, 32, v27
	v_sub_nc_u32_e32 v35, v27, v29
	v_min_u32_e32 v28, v16, v28
	v_min_u32_e32 v35, v31, v35
	v_sub_nc_u32_e32 v34, v28, v27
	v_sub_nc_u32_e64 v34, v31, v34 clamp
	v_cmpx_lt_u32_e64 v34, v35
	s_cbranch_execz .LBB511_63
; %bb.60:
	v_lshlrev_b32_e32 v48, 2, v29
	v_lshlrev_b32_e32 v49, 2, v27
	s_mov_b32 s11, 0
	v_add_co_u32 v48, null, v12, v48
	v_add_co_u32 v49, null, v12, v49
	.p2align	6
.LBB511_61:                             ; =>This Inner Loop Header: Depth=1
	v_add_nc_u32_e32 v50, v35, v34
	v_lshrrev_b32_e32 v50, 1, v50
	v_xad_u32 v51, v50, -1, v31
	v_lshl_add_u32 v52, v50, 2, v48
	v_add_nc_u32_e32 v53, 1, v50
	v_lshl_add_u32 v51, v51, 2, v49
	ds_read_b32 v52, v52
	ds_read_b32 v51, v51
	s_waitcnt lgkmcnt(1)
	v_and_b32_e32 v52, v52, v10
	s_waitcnt lgkmcnt(0)
	v_and_b32_e32 v51, v51, v10
	v_cmp_gt_u32_e64 s7, v51, v52
	v_cndmask_b32_e64 v35, v35, v50, s7
	v_cndmask_b32_e64 v34, v53, v34, s7
	v_cmp_ge_u32_e64 s7, v34, v35
	s_or_b32 s11, s7, s11
	s_andn2_b32 exec_lo, exec_lo, s11
	s_cbranch_execnz .LBB511_61
; %bb.62:
	s_or_b32 exec_lo, exec_lo, s11
.LBB511_63:
	s_or_b32 exec_lo, exec_lo, s10
	v_add_nc_u32_e32 v31, v27, v31
	v_add_nc_u32_e32 v35, v34, v29
	v_sub_nc_u32_e32 v31, v31, v34
	v_cmp_le_u32_e64 s7, v35, v27
	v_cmp_le_u32_e64 s10, v31, v28
	s_or_b32 s7, s7, s10
	s_and_saveexec_b32 s18, s7
	s_cbranch_execz .LBB511_69
; %bb.64:
	v_cmp_lt_u32_e64 s7, v35, v27
                                        ; implicit-def: $vgpr24
	s_and_saveexec_b32 s10, s7
; %bb.65:
	v_lshl_add_u32 v4, v35, 2, v12
	ds_read_b32 v24, v4
; %bb.66:
	s_or_b32 exec_lo, exec_lo, s10
	v_cmp_ge_u32_e64 s10, v31, v28
	s_mov_b32 s14, exec_lo
                                        ; implicit-def: $vgpr29
	v_cmpx_lt_u32_e64 v31, v28
; %bb.67:
	v_lshl_add_u32 v4, v31, 2, v12
	ds_read_b32 v29, v4
; %bb.68:
	s_or_b32 exec_lo, exec_lo, s14
	s_waitcnt lgkmcnt(0)
	v_and_b32_e32 v4, v29, v10
	v_and_b32_e32 v5, v24, v10
	v_cmp_le_u32_e64 s11, v4, v5
	s_and_b32 s7, s7, s11
	s_or_b32 s7, s10, s7
	v_cndmask_b32_e64 v4, v31, v35, s7
	v_cndmask_b32_e64 v5, v28, v27, s7
	;; [unrolled: 1-line block ×3, first 2 shown]
	v_add_nc_u32_e32 v8, 1, v4
	v_add_nc_u32_e32 v5, -1, v5
	v_lshl_add_u32 v4, v4, 3, v11
	v_min_u32_e32 v5, v8, v5
	v_lshl_add_u32 v5, v5, 2, v12
	ds_read_b32 v5, v5
	s_waitcnt lgkmcnt(0)
	v_cndmask_b32_e64 v34, v5, v29, s7
	v_cndmask_b32_e64 v37, v24, v5, s7
	;; [unrolled: 1-line block ×4, first 2 shown]
	v_and_b32_e32 v9, v34, v10
	v_and_b32_e32 v14, v37, v10
	v_cmp_lt_u32_e64 s10, v5, v27
	v_cmp_ge_u32_e64 s14, v8, v28
	v_cmp_le_u32_e64 s11, v9, v14
	s_and_b32 s10, s10, s11
	s_or_b32 s10, s14, s10
	v_cndmask_b32_e64 v9, v8, v5, s10
	v_cndmask_b32_e64 v14, v28, v27, s10
	v_add_nc_u32_e32 v15, 1, v9
	v_add_nc_u32_e32 v14, -1, v14
	v_cndmask_b32_e64 v5, v5, v15, s10
	v_min_u32_e32 v14, v15, v14
	v_cndmask_b32_e64 v8, v15, v8, s10
	v_cmp_lt_u32_e64 s11, v5, v27
	v_lshl_add_u32 v14, v14, 2, v12
	v_cmp_ge_u32_e64 s15, v8, v28
	ds_read_b32 v14, v14
	s_waitcnt lgkmcnt(0)
	v_cndmask_b32_e64 v31, v14, v34, s10
	v_cndmask_b32_e64 v35, v37, v14, s10
	;; [unrolled: 1-line block ×3, first 2 shown]
	v_and_b32_e32 v14, v31, v10
	v_and_b32_e32 v20, v35, v10
	v_cmp_le_u32_e64 s14, v14, v20
	s_and_b32 s11, s11, s14
	s_or_b32 s11, s15, s11
	v_cndmask_b32_e64 v14, v8, v5, s11
	v_cndmask_b32_e64 v15, v28, v27, s11
	v_cndmask_b32_e64 v24, v31, v35, s11
	v_add_nc_u32_e32 v20, 1, v14
	v_add_nc_u32_e32 v15, -1, v15
	v_lshl_add_u32 v14, v14, 3, v11
	v_cndmask_b32_e64 v5, v5, v20, s11
	v_min_u32_e32 v15, v20, v15
	v_cndmask_b32_e64 v8, v20, v8, s11
	v_cmp_lt_u32_e64 s14, v5, v27
	v_lshl_add_u32 v15, v15, 2, v12
	v_cmp_ge_u32_e64 s16, v8, v28
	ds_read_b32 v15, v15
	s_waitcnt lgkmcnt(0)
	v_cndmask_b32_e64 v38, v15, v31, s11
	v_cndmask_b32_e64 v48, v35, v15, s11
	v_and_b32_e32 v15, v38, v10
	v_and_b32_e32 v21, v48, v10
	v_cmp_le_u32_e64 s15, v15, v21
	s_and_b32 s14, s14, s15
	s_or_b32 s14, s16, s14
	v_cndmask_b32_e64 v5, v8, v5, s14
	v_lshl_add_u32 v8, v9, 3, v11
	v_cndmask_b32_e64 v38, v38, v48, s14
	v_lshl_add_u32 v20, v5, 3, v11
	ds_read_b64 v[4:5], v4
	ds_read_b64 v[8:9], v8
	;; [unrolled: 1-line block ×4, first 2 shown]
.LBB511_69:
	s_or_b32 exec_lo, exec_lo, s18
	v_min_u32_e32 v27, 64, v16
	; wave barrier
	ds_write_b32 v13, v39
	s_waitcnt lgkmcnt(4)
	ds_write_b64 v17, v[4:5]
	s_mov_b32 s10, exec_lo
	v_add_nc_u32_e32 v28, 64, v27
	ds_write_b32 v22, v37
	s_waitcnt lgkmcnt(5)
	ds_write_b64 v23, v[8:9]
	ds_write_b32 v25, v24
	s_waitcnt lgkmcnt(6)
	ds_write_b64 v26, v[14:15]
	;; [unrolled: 3-line block ×3, first 2 shown]
	; wave barrier
	v_min_u32_e32 v28, v16, v28
	v_min_u32_e32 v16, v16, v30
	v_sub_nc_u32_e32 v29, v28, v27
	v_min_u32_e32 v17, v16, v27
	v_sub_nc_u32_e64 v13, v16, v29 clamp
	v_cmpx_lt_u32_e64 v13, v17
	s_cbranch_execz .LBB511_73
; %bb.70:
	v_lshlrev_b32_e32 v18, 2, v27
	s_mov_b32 s11, 0
	v_add_co_u32 v18, null, v12, v18
	.p2align	6
.LBB511_71:                             ; =>This Inner Loop Header: Depth=1
	v_add_nc_u32_e32 v19, v17, v13
	v_lshrrev_b32_e32 v19, 1, v19
	v_xad_u32 v22, v19, -1, v16
	v_lshl_add_u32 v23, v19, 2, v12
	v_add_nc_u32_e32 v25, 1, v19
	v_lshl_add_u32 v22, v22, 2, v18
	ds_read_b32 v23, v23
	ds_read_b32 v22, v22
	s_waitcnt lgkmcnt(1)
	v_and_b32_e32 v23, v23, v10
	s_waitcnt lgkmcnt(0)
	v_and_b32_e32 v22, v22, v10
	v_cmp_gt_u32_e64 s7, v22, v23
	v_cndmask_b32_e64 v17, v17, v19, s7
	v_cndmask_b32_e64 v13, v25, v13, s7
	v_cmp_ge_u32_e64 s7, v13, v17
	s_or_b32 s11, s7, s11
	s_andn2_b32 exec_lo, exec_lo, s11
	s_cbranch_execnz .LBB511_71
; %bb.72:
	s_or_b32 exec_lo, exec_lo, s11
.LBB511_73:
	s_or_b32 exec_lo, exec_lo, s10
	v_add_nc_u32_e32 v16, v27, v16
	v_cmp_le_u32_e64 s7, v13, v27
	v_sub_nc_u32_e32 v18, v16, v13
	v_cmp_le_u32_e64 s10, v18, v28
	s_or_b32 s7, s7, s10
	s_and_saveexec_b32 s18, s7
	s_cbranch_execz .LBB511_79
; %bb.74:
	v_cmp_lt_u32_e64 s7, v13, v27
                                        ; implicit-def: $vgpr16
	s_and_saveexec_b32 s10, s7
; %bb.75:
	v_lshl_add_u32 v4, v13, 2, v12
	ds_read_b32 v16, v4
; %bb.76:
	s_or_b32 exec_lo, exec_lo, s10
	v_cmp_ge_u32_e64 s10, v18, v28
	s_mov_b32 s14, exec_lo
                                        ; implicit-def: $vgpr17
	v_cmpx_lt_u32_e64 v18, v28
; %bb.77:
	v_lshl_add_u32 v4, v18, 2, v12
	ds_read_b32 v17, v4
; %bb.78:
	s_or_b32 exec_lo, exec_lo, s14
	s_waitcnt lgkmcnt(0)
	v_and_b32_e32 v4, v17, v10
	v_and_b32_e32 v5, v16, v10
	v_cmp_le_u32_e64 s11, v4, v5
	s_and_b32 s7, s7, s11
	s_or_b32 s7, s10, s7
	v_cndmask_b32_e64 v4, v18, v13, s7
	v_cndmask_b32_e64 v5, v28, v27, s7
	;; [unrolled: 1-line block ×3, first 2 shown]
	v_add_nc_u32_e32 v8, 1, v4
	v_add_nc_u32_e32 v5, -1, v5
	v_lshl_add_u32 v4, v4, 3, v11
	v_min_u32_e32 v5, v8, v5
	v_lshl_add_u32 v5, v5, 2, v12
	ds_read_b32 v5, v5
	s_waitcnt lgkmcnt(0)
	v_cndmask_b32_e64 v19, v5, v17, s7
	v_cndmask_b32_e64 v22, v16, v5, s7
	;; [unrolled: 1-line block ×4, first 2 shown]
	v_and_b32_e32 v9, v19, v10
	v_and_b32_e32 v13, v22, v10
	v_cmp_lt_u32_e64 s10, v5, v27
	v_cmp_ge_u32_e64 s14, v8, v28
	v_cmp_le_u32_e64 s11, v9, v13
	s_and_b32 s10, s10, s11
	s_or_b32 s10, s14, s10
	v_cndmask_b32_e64 v9, v8, v5, s10
	v_cndmask_b32_e64 v13, v28, v27, s10
	;; [unrolled: 1-line block ×3, first 2 shown]
	v_add_nc_u32_e32 v14, 1, v9
	v_add_nc_u32_e32 v13, -1, v13
	v_cndmask_b32_e64 v5, v5, v14, s10
	v_min_u32_e32 v13, v14, v13
	v_cndmask_b32_e64 v8, v14, v8, s10
	v_cmp_lt_u32_e64 s11, v5, v27
	v_lshl_add_u32 v13, v13, 2, v12
	v_cmp_ge_u32_e64 s15, v8, v28
	ds_read_b32 v13, v13
	s_waitcnt lgkmcnt(0)
	v_cndmask_b32_e64 v18, v13, v19, s10
	v_cndmask_b32_e64 v13, v22, v13, s10
	v_and_b32_e32 v15, v18, v10
	v_and_b32_e32 v20, v13, v10
	v_cmp_le_u32_e64 s14, v15, v20
	s_and_b32 s11, s11, s14
	s_or_b32 s11, s15, s11
	v_cndmask_b32_e64 v14, v8, v5, s11
	v_cndmask_b32_e64 v15, v28, v27, s11
	v_cndmask_b32_e64 v24, v18, v13, s11
	v_add_nc_u32_e32 v20, 1, v14
	v_add_nc_u32_e32 v15, -1, v15
	v_cndmask_b32_e64 v5, v5, v20, s11
	v_min_u32_e32 v15, v20, v15
	v_cndmask_b32_e64 v8, v20, v8, s11
	v_cmp_lt_u32_e64 s14, v5, v27
	v_lshl_add_u32 v12, v15, 2, v12
	v_cmp_ge_u32_e64 s16, v8, v28
	ds_read_b32 v12, v12
	s_waitcnt lgkmcnt(0)
	v_cndmask_b32_e64 v23, v12, v18, s11
	v_cndmask_b32_e64 v12, v13, v12, s11
	v_and_b32_e32 v15, v23, v10
	v_and_b32_e32 v10, v12, v10
	v_cmp_le_u32_e64 s15, v15, v10
	v_lshl_add_u32 v10, v14, 3, v11
	s_and_b32 s14, s14, s15
	s_or_b32 s14, s16, s14
	v_cndmask_b32_e64 v5, v8, v5, s14
	v_lshl_add_u32 v8, v9, 3, v11
	v_cndmask_b32_e64 v38, v23, v12, s14
	v_lshl_add_u32 v11, v5, 3, v11
	ds_read_b64 v[4:5], v4
	ds_read_b64 v[8:9], v8
	;; [unrolled: 1-line block ×4, first 2 shown]
.LBB511_79:
	s_or_b32 exec_lo, exec_lo, s18
	; wave barrier
	s_waitcnt lgkmcnt(0)
	s_waitcnt_vscnt null, 0x0
	s_barrier
                                        ; implicit-def: $vgpr12
                                        ; implicit-def: $vgpr13
                                        ; implicit-def: $vgpr17
                                        ; implicit-def: $vgpr25
                                        ; implicit-def: $vgpr16
                                        ; implicit-def: $vgpr34_vgpr35
                                        ; implicit-def: $vgpr22_vgpr23
                                        ; implicit-def: $vgpr18_vgpr19
.LBB511_80:
	s_andn2_saveexec_b32 s14, s17
	s_cbranch_execz .LBB511_136
; %bb.81:
	s_load_dwordx2 s[10:11], s[8:9], 0x0
	v_mov_b32_e32 v11, 0
	s_waitcnt lgkmcnt(0)
	s_cmp_lt_u32 s13, s11
	s_cselect_b32 s7, 14, 20
	s_add_u32 s16, s8, s7
	s_addc_u32 s17, s9, 0
	s_cmp_lt_u32 s12, s10
	global_load_ushort v10, v11, s[16:17]
	s_cselect_b32 s7, 12, 18
	s_mov_b32 s10, exec_lo
	s_add_u32 s8, s8, s7
	s_addc_u32 s9, s9, 0
	global_load_ushort v26, v11, s[8:9]
	s_waitcnt vmcnt(1)
	v_mad_u32_u24 v10, v25, v10, v17
	s_waitcnt vmcnt(0)
	v_mul_lo_u32 v10, v10, v26
	v_add_lshl_u32 v10, v10, v16, 2
	v_cmpx_gt_u32_e32 0x400, v10
	s_cbranch_execz .LBB511_85
; %bb.82:
	v_cmp_gt_i32_e64 s7, v37, v39
	v_min_i32_e32 v8, v37, v39
	v_cmp_gt_i32_e64 s8, v38, v24
	v_max_i32_e32 v15, v38, v24
	v_max_i32_e32 v16, v37, v39
	v_cndmask_b32_e64 v9, v5, v19, s7
	v_cndmask_b32_e64 v5, v19, v5, s7
	;; [unrolled: 1-line block ×3, first 2 shown]
	v_cmp_gt_i32_e64 s9, v15, v8
	v_min_i32_e32 v17, v38, v24
	v_cndmask_b32_e64 v14, v4, v18, s7
	v_cndmask_b32_e64 v4, v18, v4, s7
	;; [unrolled: 1-line block ×6, first 2 shown]
	v_cmp_gt_i32_e64 s7, v15, v16
	v_min_i32_e32 v19, v15, v8
	v_cmp_lt_i32_e64 s8, v8, v17
	v_max_i32_e32 v18, v15, v8
	v_cndmask_b32_e64 v24, v21, v4, s9
	v_cndmask_b32_e64 v15, v4, v21, s9
	;; [unrolled: 1-line block ×13, first 2 shown]
	v_mov_b32_e32 v24, v22
	s_mov_b32 s11, exec_lo
	v_cmpx_gt_i32_e64 v22, v37
	s_cbranch_execz .LBB511_84
; %bb.83:
	v_mov_b32_e32 v26, v15
	v_mov_b32_e32 v25, v14
	;; [unrolled: 1-line block ×8, first 2 shown]
.LBB511_84:
	s_or_b32 exec_lo, exec_lo, s11
	v_cndmask_b32_e64 v39, v16, v18, s7
	v_cndmask_b32_e64 v38, v17, v19, s8
.LBB511_85:
	s_or_b32 exec_lo, exec_lo, s10
	v_and_b32_e32 v10, 0xffffff80, v10
	v_or_b32_e32 v17, 4, v30
	v_and_b32_e32 v22, 4, v30
	v_and_b32_e32 v28, 0x78, v30
	s_mov_b32 s8, exec_lo
	v_sub_nc_u32_e64 v16, 0x400, v10 clamp
	v_min_u32_e32 v26, v16, v17
	v_lshlrev_b64 v[17:18], 3, v[10:11]
	v_lshlrev_b64 v[18:19], 2, v[10:11]
	v_min_u32_e32 v29, v16, v22
	v_add_nc_u32_e32 v23, 4, v26
	v_add_co_u32 v10, null, v12, v17
	v_add_co_u32 v11, s7, v12, v18
	v_min_u32_e32 v27, v16, v23
	v_sub_nc_u32_e32 v17, v26, v28
	v_add_co_u32 v10, null, 0x1000, v10
	v_add_co_ci_u32_e64 v12, null, v13, v19, s7
	v_sub_nc_u32_e32 v18, v27, v26
	v_lshl_add_u32 v12, v30, 2, v11
	v_lshl_add_u32 v13, v30, 3, v10
	v_min_u32_e32 v17, v29, v17
	ds_write2_b32 v12, v39, v37 offset1:1
	ds_write2_b64 v13, v[4:5], v[8:9] offset1:1
	ds_write2_b32 v12, v24, v38 offset0:2 offset1:3
	ds_write2_b64 v13, v[14:15], v[20:21] offset0:2 offset1:3
	v_sub_nc_u32_e64 v31, v29, v18 clamp
	; wave barrier
	v_cmpx_lt_u32_e64 v31, v17
	s_cbranch_execz .LBB511_89
; %bb.86:
	v_lshlrev_b32_e32 v18, 2, v28
	v_lshlrev_b32_e32 v19, 2, v26
	s_mov_b32 s9, 0
	v_add_co_u32 v18, null, v11, v18
	v_add_co_u32 v19, null, v11, v19
	.p2align	6
.LBB511_87:                             ; =>This Inner Loop Header: Depth=1
	v_add_nc_u32_e32 v22, v17, v31
	v_lshrrev_b32_e32 v22, 1, v22
	v_xad_u32 v23, v22, -1, v29
	v_lshl_add_u32 v25, v22, 2, v18
	v_add_nc_u32_e32 v34, 1, v22
	v_lshl_add_u32 v23, v23, 2, v19
	ds_read_b32 v25, v25
	ds_read_b32 v23, v23
	s_waitcnt lgkmcnt(0)
	v_cmp_gt_i32_e64 s7, v23, v25
	v_cndmask_b32_e64 v17, v17, v22, s7
	v_cndmask_b32_e64 v31, v34, v31, s7
	v_cmp_ge_u32_e64 s7, v31, v17
	s_or_b32 s9, s7, s9
	s_andn2_b32 exec_lo, exec_lo, s9
	s_cbranch_execnz .LBB511_87
; %bb.88:
	s_or_b32 exec_lo, exec_lo, s9
.LBB511_89:
	s_or_b32 exec_lo, exec_lo, s8
	v_add_nc_u32_e32 v29, v26, v29
	v_add_nc_u32_e32 v34, v31, v28
	;; [unrolled: 1-line block ×5, first 2 shown]
	v_sub_nc_u32_e32 v29, v29, v31
	v_cmp_le_u32_e64 s7, v34, v26
	v_add_nc_u32_e32 v25, 16, v13
	v_add_nc_u32_e32 v17, 12, v12
	;; [unrolled: 1-line block ×3, first 2 shown]
	v_cmp_le_u32_e64 s8, v29, v27
	s_or_b32 s7, s7, s8
	s_and_saveexec_b32 s13, s7
	s_cbranch_execz .LBB511_95
; %bb.90:
	v_cmp_lt_u32_e64 s7, v34, v26
                                        ; implicit-def: $vgpr24
	s_and_saveexec_b32 s8, s7
; %bb.91:
	v_lshl_add_u32 v4, v34, 2, v11
	ds_read_b32 v24, v4
; %bb.92:
	s_or_b32 exec_lo, exec_lo, s8
	v_cmp_ge_u32_e64 s8, v29, v27
	s_mov_b32 s10, exec_lo
                                        ; implicit-def: $vgpr28
	v_cmpx_lt_u32_e64 v29, v27
; %bb.93:
	v_lshl_add_u32 v4, v29, 2, v11
	ds_read_b32 v28, v4
; %bb.94:
	s_or_b32 exec_lo, exec_lo, s10
	s_waitcnt lgkmcnt(0)
	v_cmp_le_i32_e64 s9, v28, v24
	s_and_b32 s7, s7, s9
	s_or_b32 s7, s8, s7
	v_cndmask_b32_e64 v4, v29, v34, s7
	v_cndmask_b32_e64 v5, v27, v26, s7
	;; [unrolled: 1-line block ×3, first 2 shown]
	v_add_nc_u32_e32 v8, 1, v4
	v_add_nc_u32_e32 v5, -1, v5
	v_lshl_add_u32 v4, v4, 3, v10
	v_cndmask_b32_e64 v9, v34, v8, s7
	v_min_u32_e32 v5, v8, v5
	v_cmp_lt_u32_e64 s8, v9, v26
	v_lshl_add_u32 v5, v5, 2, v11
	ds_read_b32 v5, v5
	s_waitcnt lgkmcnt(0)
	v_cndmask_b32_e64 v31, v5, v28, s7
	v_cndmask_b32_e64 v34, v24, v5, s7
	;; [unrolled: 1-line block ×3, first 2 shown]
	v_cmp_le_i32_e64 s9, v31, v34
	v_cmp_ge_u32_e64 s10, v5, v27
	s_and_b32 s8, s8, s9
	s_or_b32 s8, s10, s8
	v_cndmask_b32_e64 v8, v5, v9, s8
	v_cndmask_b32_e64 v14, v27, v26, s8
	;; [unrolled: 1-line block ×3, first 2 shown]
	v_add_nc_u32_e32 v15, 1, v8
	v_add_nc_u32_e32 v14, -1, v14
	v_lshl_add_u32 v8, v8, 3, v10
	v_cndmask_b32_e64 v9, v9, v15, s8
	v_min_u32_e32 v14, v15, v14
	v_cndmask_b32_e64 v5, v15, v5, s8
	v_cmp_lt_u32_e64 s9, v9, v26
	v_lshl_add_u32 v14, v14, 2, v11
	v_cmp_ge_u32_e64 s11, v5, v27
	ds_read_b32 v14, v14
	s_waitcnt lgkmcnt(0)
	v_cndmask_b32_e64 v29, v14, v31, s8
	v_cndmask_b32_e64 v35, v34, v14, s8
	v_cmp_le_i32_e64 s10, v29, v35
	s_and_b32 s9, s9, s10
	s_or_b32 s9, s11, s9
	v_cndmask_b32_e64 v14, v5, v9, s9
	v_cndmask_b32_e64 v15, v27, v26, s9
	v_cndmask_b32_e64 v24, v29, v35, s9
	v_add_nc_u32_e32 v20, 1, v14
	v_add_nc_u32_e32 v15, -1, v15
	v_lshl_add_u32 v14, v14, 3, v10
	v_cndmask_b32_e64 v9, v9, v20, s9
	v_min_u32_e32 v15, v20, v15
	v_cndmask_b32_e64 v5, v20, v5, s9
	v_cmp_lt_u32_e64 s10, v9, v26
	v_lshl_add_u32 v15, v15, 2, v11
	v_cmp_ge_u32_e64 s12, v5, v27
	ds_read_b32 v15, v15
	s_waitcnt lgkmcnt(0)
	v_cndmask_b32_e64 v38, v15, v29, s9
	v_cndmask_b32_e64 v48, v35, v15, s9
	v_cmp_le_i32_e64 s11, v38, v48
	s_and_b32 s10, s10, s11
	s_or_b32 s10, s12, s10
	v_cndmask_b32_e64 v5, v5, v9, s10
	v_cndmask_b32_e64 v38, v38, v48, s10
	v_lshl_add_u32 v20, v5, 3, v10
	ds_read_b64 v[4:5], v4
	ds_read_b64 v[8:9], v8
	;; [unrolled: 1-line block ×4, first 2 shown]
.LBB511_95:
	s_or_b32 exec_lo, exec_lo, s13
	v_and_b32_e32 v28, 0x70, v30
	v_and_b32_e32 v29, 12, v30
	s_mov_b32 s8, exec_lo
	; wave barrier
	v_or_b32_e32 v26, 8, v28
	v_min_u32_e32 v29, v16, v29
	ds_write_b32 v12, v39
	s_waitcnt lgkmcnt(4)
	ds_write_b64 v13, v[4:5]
	ds_write_b32 v19, v37
	s_waitcnt lgkmcnt(5)
	ds_write_b64 v22, v[8:9]
	ds_write_b32 v23, v24
	s_waitcnt lgkmcnt(6)
	ds_write_b64 v25, v[14:15]
	ds_write_b32 v17, v38
	s_waitcnt lgkmcnt(7)
	ds_write_b64 v18, v[20:21]
	v_min_u32_e32 v26, v16, v26
	; wave barrier
	v_add_nc_u32_e32 v27, 8, v26
	v_sub_nc_u32_e32 v34, v26, v28
	v_min_u32_e32 v27, v16, v27
	v_min_u32_e32 v34, v29, v34
	v_sub_nc_u32_e32 v31, v27, v26
	v_sub_nc_u32_e64 v31, v29, v31 clamp
	v_cmpx_lt_u32_e64 v31, v34
	s_cbranch_execz .LBB511_99
; %bb.96:
	v_lshlrev_b32_e32 v35, 2, v28
	v_lshlrev_b32_e32 v48, 2, v26
	s_mov_b32 s9, 0
	v_add_co_u32 v35, null, v11, v35
	v_add_co_u32 v48, null, v11, v48
	.p2align	6
.LBB511_97:                             ; =>This Inner Loop Header: Depth=1
	v_add_nc_u32_e32 v49, v34, v31
	v_lshrrev_b32_e32 v49, 1, v49
	v_xad_u32 v50, v49, -1, v29
	v_lshl_add_u32 v51, v49, 2, v35
	v_add_nc_u32_e32 v52, 1, v49
	v_lshl_add_u32 v50, v50, 2, v48
	ds_read_b32 v51, v51
	ds_read_b32 v50, v50
	s_waitcnt lgkmcnt(0)
	v_cmp_gt_i32_e64 s7, v50, v51
	v_cndmask_b32_e64 v34, v34, v49, s7
	v_cndmask_b32_e64 v31, v52, v31, s7
	v_cmp_ge_u32_e64 s7, v31, v34
	s_or_b32 s9, s7, s9
	s_andn2_b32 exec_lo, exec_lo, s9
	s_cbranch_execnz .LBB511_97
; %bb.98:
	s_or_b32 exec_lo, exec_lo, s9
.LBB511_99:
	s_or_b32 exec_lo, exec_lo, s8
	v_add_nc_u32_e32 v29, v26, v29
	v_add_nc_u32_e32 v34, v31, v28
	v_sub_nc_u32_e32 v29, v29, v31
	v_cmp_le_u32_e64 s7, v34, v26
	v_cmp_le_u32_e64 s8, v29, v27
	s_or_b32 s7, s7, s8
	s_and_saveexec_b32 s13, s7
	s_cbranch_execz .LBB511_105
; %bb.100:
	v_cmp_lt_u32_e64 s7, v34, v26
                                        ; implicit-def: $vgpr24
	s_and_saveexec_b32 s8, s7
; %bb.101:
	v_lshl_add_u32 v4, v34, 2, v11
	ds_read_b32 v24, v4
; %bb.102:
	s_or_b32 exec_lo, exec_lo, s8
	v_cmp_ge_u32_e64 s8, v29, v27
	s_mov_b32 s10, exec_lo
                                        ; implicit-def: $vgpr28
	v_cmpx_lt_u32_e64 v29, v27
; %bb.103:
	v_lshl_add_u32 v4, v29, 2, v11
	ds_read_b32 v28, v4
; %bb.104:
	s_or_b32 exec_lo, exec_lo, s10
	s_waitcnt lgkmcnt(0)
	v_cmp_le_i32_e64 s9, v28, v24
	s_and_b32 s7, s7, s9
	s_or_b32 s7, s8, s7
	v_cndmask_b32_e64 v4, v29, v34, s7
	v_cndmask_b32_e64 v5, v27, v26, s7
	;; [unrolled: 1-line block ×3, first 2 shown]
	v_add_nc_u32_e32 v8, 1, v4
	v_add_nc_u32_e32 v5, -1, v5
	v_lshl_add_u32 v4, v4, 3, v10
	v_cndmask_b32_e64 v9, v34, v8, s7
	v_min_u32_e32 v5, v8, v5
	v_cmp_lt_u32_e64 s8, v9, v26
	v_lshl_add_u32 v5, v5, 2, v11
	ds_read_b32 v5, v5
	s_waitcnt lgkmcnt(0)
	v_cndmask_b32_e64 v31, v5, v28, s7
	v_cndmask_b32_e64 v34, v24, v5, s7
	;; [unrolled: 1-line block ×3, first 2 shown]
	v_cmp_le_i32_e64 s9, v31, v34
	v_cmp_ge_u32_e64 s10, v5, v27
	s_and_b32 s8, s8, s9
	s_or_b32 s8, s10, s8
	v_cndmask_b32_e64 v8, v5, v9, s8
	v_cndmask_b32_e64 v14, v27, v26, s8
	;; [unrolled: 1-line block ×3, first 2 shown]
	v_add_nc_u32_e32 v15, 1, v8
	v_add_nc_u32_e32 v14, -1, v14
	v_lshl_add_u32 v8, v8, 3, v10
	v_cndmask_b32_e64 v9, v9, v15, s8
	v_min_u32_e32 v14, v15, v14
	v_cndmask_b32_e64 v5, v15, v5, s8
	v_cmp_lt_u32_e64 s9, v9, v26
	v_lshl_add_u32 v14, v14, 2, v11
	v_cmp_ge_u32_e64 s11, v5, v27
	ds_read_b32 v14, v14
	s_waitcnt lgkmcnt(0)
	v_cndmask_b32_e64 v29, v14, v31, s8
	v_cndmask_b32_e64 v35, v34, v14, s8
	v_cmp_le_i32_e64 s10, v29, v35
	s_and_b32 s9, s9, s10
	s_or_b32 s9, s11, s9
	v_cndmask_b32_e64 v14, v5, v9, s9
	v_cndmask_b32_e64 v15, v27, v26, s9
	;; [unrolled: 1-line block ×3, first 2 shown]
	v_add_nc_u32_e32 v20, 1, v14
	v_add_nc_u32_e32 v15, -1, v15
	v_lshl_add_u32 v14, v14, 3, v10
	v_cndmask_b32_e64 v9, v9, v20, s9
	v_min_u32_e32 v15, v20, v15
	v_cndmask_b32_e64 v5, v20, v5, s9
	v_cmp_lt_u32_e64 s10, v9, v26
	v_lshl_add_u32 v15, v15, 2, v11
	v_cmp_ge_u32_e64 s12, v5, v27
	ds_read_b32 v15, v15
	s_waitcnt lgkmcnt(0)
	v_cndmask_b32_e64 v38, v15, v29, s9
	v_cndmask_b32_e64 v48, v35, v15, s9
	v_cmp_le_i32_e64 s11, v38, v48
	s_and_b32 s10, s10, s11
	s_or_b32 s10, s12, s10
	v_cndmask_b32_e64 v5, v5, v9, s10
	v_cndmask_b32_e64 v38, v38, v48, s10
	v_lshl_add_u32 v20, v5, 3, v10
	ds_read_b64 v[4:5], v4
	ds_read_b64 v[8:9], v8
	;; [unrolled: 1-line block ×4, first 2 shown]
.LBB511_105:
	s_or_b32 exec_lo, exec_lo, s13
	v_and_b32_e32 v28, 0x60, v30
	v_and_b32_e32 v29, 28, v30
	s_mov_b32 s8, exec_lo
	; wave barrier
	v_or_b32_e32 v26, 16, v28
	v_min_u32_e32 v29, v16, v29
	ds_write_b32 v12, v39
	s_waitcnt lgkmcnt(4)
	ds_write_b64 v13, v[4:5]
	ds_write_b32 v19, v37
	s_waitcnt lgkmcnt(5)
	ds_write_b64 v22, v[8:9]
	;; [unrolled: 3-line block ×4, first 2 shown]
	v_min_u32_e32 v26, v16, v26
	; wave barrier
	v_add_nc_u32_e32 v27, 16, v26
	v_sub_nc_u32_e32 v34, v26, v28
	v_min_u32_e32 v27, v16, v27
	v_min_u32_e32 v34, v29, v34
	v_sub_nc_u32_e32 v31, v27, v26
	v_sub_nc_u32_e64 v31, v29, v31 clamp
	v_cmpx_lt_u32_e64 v31, v34
	s_cbranch_execz .LBB511_109
; %bb.106:
	v_lshlrev_b32_e32 v35, 2, v28
	v_lshlrev_b32_e32 v48, 2, v26
	s_mov_b32 s9, 0
	v_add_co_u32 v35, null, v11, v35
	v_add_co_u32 v48, null, v11, v48
	.p2align	6
.LBB511_107:                            ; =>This Inner Loop Header: Depth=1
	v_add_nc_u32_e32 v49, v34, v31
	v_lshrrev_b32_e32 v49, 1, v49
	v_xad_u32 v50, v49, -1, v29
	v_lshl_add_u32 v51, v49, 2, v35
	v_add_nc_u32_e32 v52, 1, v49
	v_lshl_add_u32 v50, v50, 2, v48
	ds_read_b32 v51, v51
	ds_read_b32 v50, v50
	s_waitcnt lgkmcnt(0)
	v_cmp_gt_i32_e64 s7, v50, v51
	v_cndmask_b32_e64 v34, v34, v49, s7
	v_cndmask_b32_e64 v31, v52, v31, s7
	v_cmp_ge_u32_e64 s7, v31, v34
	s_or_b32 s9, s7, s9
	s_andn2_b32 exec_lo, exec_lo, s9
	s_cbranch_execnz .LBB511_107
; %bb.108:
	s_or_b32 exec_lo, exec_lo, s9
.LBB511_109:
	s_or_b32 exec_lo, exec_lo, s8
	v_add_nc_u32_e32 v29, v26, v29
	v_add_nc_u32_e32 v34, v31, v28
	v_sub_nc_u32_e32 v29, v29, v31
	v_cmp_le_u32_e64 s7, v34, v26
	v_cmp_le_u32_e64 s8, v29, v27
	s_or_b32 s7, s7, s8
	s_and_saveexec_b32 s13, s7
	s_cbranch_execz .LBB511_115
; %bb.110:
	v_cmp_lt_u32_e64 s7, v34, v26
                                        ; implicit-def: $vgpr24
	s_and_saveexec_b32 s8, s7
; %bb.111:
	v_lshl_add_u32 v4, v34, 2, v11
	ds_read_b32 v24, v4
; %bb.112:
	s_or_b32 exec_lo, exec_lo, s8
	v_cmp_ge_u32_e64 s8, v29, v27
	s_mov_b32 s10, exec_lo
                                        ; implicit-def: $vgpr28
	v_cmpx_lt_u32_e64 v29, v27
; %bb.113:
	v_lshl_add_u32 v4, v29, 2, v11
	ds_read_b32 v28, v4
; %bb.114:
	s_or_b32 exec_lo, exec_lo, s10
	s_waitcnt lgkmcnt(0)
	v_cmp_le_i32_e64 s9, v28, v24
	s_and_b32 s7, s7, s9
	s_or_b32 s7, s8, s7
	v_cndmask_b32_e64 v4, v29, v34, s7
	v_cndmask_b32_e64 v5, v27, v26, s7
	;; [unrolled: 1-line block ×3, first 2 shown]
	v_add_nc_u32_e32 v8, 1, v4
	v_add_nc_u32_e32 v5, -1, v5
	v_lshl_add_u32 v4, v4, 3, v10
	v_cndmask_b32_e64 v9, v34, v8, s7
	v_min_u32_e32 v5, v8, v5
	v_cmp_lt_u32_e64 s8, v9, v26
	v_lshl_add_u32 v5, v5, 2, v11
	ds_read_b32 v5, v5
	s_waitcnt lgkmcnt(0)
	v_cndmask_b32_e64 v31, v5, v28, s7
	v_cndmask_b32_e64 v34, v24, v5, s7
	;; [unrolled: 1-line block ×3, first 2 shown]
	v_cmp_le_i32_e64 s9, v31, v34
	v_cmp_ge_u32_e64 s10, v5, v27
	s_and_b32 s8, s8, s9
	s_or_b32 s8, s10, s8
	v_cndmask_b32_e64 v8, v5, v9, s8
	v_cndmask_b32_e64 v14, v27, v26, s8
	;; [unrolled: 1-line block ×3, first 2 shown]
	v_add_nc_u32_e32 v15, 1, v8
	v_add_nc_u32_e32 v14, -1, v14
	v_lshl_add_u32 v8, v8, 3, v10
	v_cndmask_b32_e64 v9, v9, v15, s8
	v_min_u32_e32 v14, v15, v14
	v_cndmask_b32_e64 v5, v15, v5, s8
	v_cmp_lt_u32_e64 s9, v9, v26
	v_lshl_add_u32 v14, v14, 2, v11
	v_cmp_ge_u32_e64 s11, v5, v27
	ds_read_b32 v14, v14
	s_waitcnt lgkmcnt(0)
	v_cndmask_b32_e64 v29, v14, v31, s8
	v_cndmask_b32_e64 v35, v34, v14, s8
	v_cmp_le_i32_e64 s10, v29, v35
	s_and_b32 s9, s9, s10
	s_or_b32 s9, s11, s9
	v_cndmask_b32_e64 v14, v5, v9, s9
	v_cndmask_b32_e64 v15, v27, v26, s9
	v_cndmask_b32_e64 v24, v29, v35, s9
	v_add_nc_u32_e32 v20, 1, v14
	v_add_nc_u32_e32 v15, -1, v15
	v_lshl_add_u32 v14, v14, 3, v10
	v_cndmask_b32_e64 v9, v9, v20, s9
	v_min_u32_e32 v15, v20, v15
	v_cndmask_b32_e64 v5, v20, v5, s9
	v_cmp_lt_u32_e64 s10, v9, v26
	v_lshl_add_u32 v15, v15, 2, v11
	v_cmp_ge_u32_e64 s12, v5, v27
	ds_read_b32 v15, v15
	s_waitcnt lgkmcnt(0)
	v_cndmask_b32_e64 v38, v15, v29, s9
	v_cndmask_b32_e64 v48, v35, v15, s9
	v_cmp_le_i32_e64 s11, v38, v48
	s_and_b32 s10, s10, s11
	s_or_b32 s10, s12, s10
	v_cndmask_b32_e64 v5, v5, v9, s10
	v_cndmask_b32_e64 v38, v38, v48, s10
	v_lshl_add_u32 v20, v5, 3, v10
	ds_read_b64 v[4:5], v4
	ds_read_b64 v[8:9], v8
	;; [unrolled: 1-line block ×4, first 2 shown]
.LBB511_115:
	s_or_b32 exec_lo, exec_lo, s13
	v_and_b32_e32 v28, 64, v30
	v_and_b32_e32 v29, 60, v30
	s_mov_b32 s8, exec_lo
	; wave barrier
	v_or_b32_e32 v26, 32, v28
	v_min_u32_e32 v29, v16, v29
	ds_write_b32 v12, v39
	s_waitcnt lgkmcnt(4)
	ds_write_b64 v13, v[4:5]
	ds_write_b32 v19, v37
	s_waitcnt lgkmcnt(5)
	ds_write_b64 v22, v[8:9]
	;; [unrolled: 3-line block ×4, first 2 shown]
	v_min_u32_e32 v26, v16, v26
	; wave barrier
	v_add_nc_u32_e32 v27, 32, v26
	v_sub_nc_u32_e32 v34, v26, v28
	v_min_u32_e32 v27, v16, v27
	v_min_u32_e32 v34, v29, v34
	v_sub_nc_u32_e32 v31, v27, v26
	v_sub_nc_u32_e64 v31, v29, v31 clamp
	v_cmpx_lt_u32_e64 v31, v34
	s_cbranch_execz .LBB511_119
; %bb.116:
	v_lshlrev_b32_e32 v35, 2, v28
	v_lshlrev_b32_e32 v48, 2, v26
	s_mov_b32 s9, 0
	v_add_co_u32 v35, null, v11, v35
	v_add_co_u32 v48, null, v11, v48
	.p2align	6
.LBB511_117:                            ; =>This Inner Loop Header: Depth=1
	v_add_nc_u32_e32 v49, v34, v31
	v_lshrrev_b32_e32 v49, 1, v49
	v_xad_u32 v50, v49, -1, v29
	v_lshl_add_u32 v51, v49, 2, v35
	v_add_nc_u32_e32 v52, 1, v49
	v_lshl_add_u32 v50, v50, 2, v48
	ds_read_b32 v51, v51
	ds_read_b32 v50, v50
	s_waitcnt lgkmcnt(0)
	v_cmp_gt_i32_e64 s7, v50, v51
	v_cndmask_b32_e64 v34, v34, v49, s7
	v_cndmask_b32_e64 v31, v52, v31, s7
	v_cmp_ge_u32_e64 s7, v31, v34
	s_or_b32 s9, s7, s9
	s_andn2_b32 exec_lo, exec_lo, s9
	s_cbranch_execnz .LBB511_117
; %bb.118:
	s_or_b32 exec_lo, exec_lo, s9
.LBB511_119:
	s_or_b32 exec_lo, exec_lo, s8
	v_add_nc_u32_e32 v29, v26, v29
	v_add_nc_u32_e32 v34, v31, v28
	v_sub_nc_u32_e32 v29, v29, v31
	v_cmp_le_u32_e64 s7, v34, v26
	v_cmp_le_u32_e64 s8, v29, v27
	s_or_b32 s7, s7, s8
	s_and_saveexec_b32 s13, s7
	s_cbranch_execz .LBB511_125
; %bb.120:
	v_cmp_lt_u32_e64 s7, v34, v26
                                        ; implicit-def: $vgpr24
	s_and_saveexec_b32 s8, s7
; %bb.121:
	v_lshl_add_u32 v4, v34, 2, v11
	ds_read_b32 v24, v4
; %bb.122:
	s_or_b32 exec_lo, exec_lo, s8
	v_cmp_ge_u32_e64 s8, v29, v27
	s_mov_b32 s10, exec_lo
                                        ; implicit-def: $vgpr28
	v_cmpx_lt_u32_e64 v29, v27
; %bb.123:
	v_lshl_add_u32 v4, v29, 2, v11
	ds_read_b32 v28, v4
; %bb.124:
	s_or_b32 exec_lo, exec_lo, s10
	s_waitcnt lgkmcnt(0)
	v_cmp_le_i32_e64 s9, v28, v24
	s_and_b32 s7, s7, s9
	s_or_b32 s7, s8, s7
	v_cndmask_b32_e64 v4, v29, v34, s7
	v_cndmask_b32_e64 v5, v27, v26, s7
	;; [unrolled: 1-line block ×3, first 2 shown]
	v_add_nc_u32_e32 v8, 1, v4
	v_add_nc_u32_e32 v5, -1, v5
	v_lshl_add_u32 v4, v4, 3, v10
	v_cndmask_b32_e64 v9, v34, v8, s7
	v_min_u32_e32 v5, v8, v5
	v_cmp_lt_u32_e64 s8, v9, v26
	v_lshl_add_u32 v5, v5, 2, v11
	ds_read_b32 v5, v5
	s_waitcnt lgkmcnt(0)
	v_cndmask_b32_e64 v31, v5, v28, s7
	v_cndmask_b32_e64 v34, v24, v5, s7
	;; [unrolled: 1-line block ×3, first 2 shown]
	v_cmp_le_i32_e64 s9, v31, v34
	v_cmp_ge_u32_e64 s10, v5, v27
	s_and_b32 s8, s8, s9
	s_or_b32 s8, s10, s8
	v_cndmask_b32_e64 v8, v5, v9, s8
	v_cndmask_b32_e64 v14, v27, v26, s8
	;; [unrolled: 1-line block ×3, first 2 shown]
	v_add_nc_u32_e32 v15, 1, v8
	v_add_nc_u32_e32 v14, -1, v14
	v_lshl_add_u32 v8, v8, 3, v10
	v_cndmask_b32_e64 v9, v9, v15, s8
	v_min_u32_e32 v14, v15, v14
	v_cndmask_b32_e64 v5, v15, v5, s8
	v_cmp_lt_u32_e64 s9, v9, v26
	v_lshl_add_u32 v14, v14, 2, v11
	v_cmp_ge_u32_e64 s11, v5, v27
	ds_read_b32 v14, v14
	s_waitcnt lgkmcnt(0)
	v_cndmask_b32_e64 v29, v14, v31, s8
	v_cndmask_b32_e64 v35, v34, v14, s8
	v_cmp_le_i32_e64 s10, v29, v35
	s_and_b32 s9, s9, s10
	s_or_b32 s9, s11, s9
	v_cndmask_b32_e64 v14, v5, v9, s9
	v_cndmask_b32_e64 v15, v27, v26, s9
	;; [unrolled: 1-line block ×3, first 2 shown]
	v_add_nc_u32_e32 v20, 1, v14
	v_add_nc_u32_e32 v15, -1, v15
	v_lshl_add_u32 v14, v14, 3, v10
	v_cndmask_b32_e64 v9, v9, v20, s9
	v_min_u32_e32 v15, v20, v15
	v_cndmask_b32_e64 v5, v20, v5, s9
	v_cmp_lt_u32_e64 s10, v9, v26
	v_lshl_add_u32 v15, v15, 2, v11
	v_cmp_ge_u32_e64 s12, v5, v27
	ds_read_b32 v15, v15
	s_waitcnt lgkmcnt(0)
	v_cndmask_b32_e64 v38, v15, v29, s9
	v_cndmask_b32_e64 v48, v35, v15, s9
	v_cmp_le_i32_e64 s11, v38, v48
	s_and_b32 s10, s10, s11
	s_or_b32 s10, s12, s10
	v_cndmask_b32_e64 v5, v5, v9, s10
	v_cndmask_b32_e64 v38, v38, v48, s10
	v_lshl_add_u32 v20, v5, 3, v10
	ds_read_b64 v[4:5], v4
	ds_read_b64 v[8:9], v8
	;; [unrolled: 1-line block ×4, first 2 shown]
.LBB511_125:
	s_or_b32 exec_lo, exec_lo, s13
	v_min_u32_e32 v26, 64, v16
	; wave barrier
	ds_write_b32 v12, v39
	s_waitcnt lgkmcnt(4)
	ds_write_b64 v13, v[4:5]
	s_mov_b32 s8, exec_lo
	v_add_nc_u32_e32 v27, 64, v26
	ds_write_b32 v19, v37
	s_waitcnt lgkmcnt(5)
	ds_write_b64 v22, v[8:9]
	ds_write_b32 v23, v24
	s_waitcnt lgkmcnt(6)
	ds_write_b64 v25, v[14:15]
	;; [unrolled: 3-line block ×3, first 2 shown]
	; wave barrier
	v_min_u32_e32 v27, v16, v27
	v_min_u32_e32 v16, v16, v30
	v_sub_nc_u32_e32 v28, v27, v26
	v_min_u32_e32 v13, v16, v26
	v_sub_nc_u32_e64 v12, v16, v28 clamp
	v_cmpx_lt_u32_e64 v12, v13
	s_cbranch_execz .LBB511_129
; %bb.126:
	v_lshlrev_b32_e32 v17, 2, v26
	s_mov_b32 s9, 0
	v_add_co_u32 v17, null, v11, v17
	.p2align	6
.LBB511_127:                            ; =>This Inner Loop Header: Depth=1
	v_add_nc_u32_e32 v18, v13, v12
	v_lshrrev_b32_e32 v18, 1, v18
	v_xad_u32 v19, v18, -1, v16
	v_lshl_add_u32 v22, v18, 2, v11
	v_add_nc_u32_e32 v23, 1, v18
	v_lshl_add_u32 v19, v19, 2, v17
	ds_read_b32 v22, v22
	ds_read_b32 v19, v19
	s_waitcnt lgkmcnt(0)
	v_cmp_gt_i32_e64 s7, v19, v22
	v_cndmask_b32_e64 v13, v13, v18, s7
	v_cndmask_b32_e64 v12, v23, v12, s7
	v_cmp_ge_u32_e64 s7, v12, v13
	s_or_b32 s9, s7, s9
	s_andn2_b32 exec_lo, exec_lo, s9
	s_cbranch_execnz .LBB511_127
; %bb.128:
	s_or_b32 exec_lo, exec_lo, s9
.LBB511_129:
	s_or_b32 exec_lo, exec_lo, s8
	v_add_nc_u32_e32 v13, v26, v16
	v_cmp_le_u32_e64 s7, v12, v26
	v_sub_nc_u32_e32 v17, v13, v12
	v_cmp_le_u32_e64 s8, v17, v27
	s_or_b32 s7, s7, s8
	s_and_saveexec_b32 s13, s7
	s_cbranch_execz .LBB511_135
; %bb.130:
	v_cmp_lt_u32_e64 s7, v12, v26
                                        ; implicit-def: $vgpr13
	s_and_saveexec_b32 s8, s7
; %bb.131:
	v_lshl_add_u32 v4, v12, 2, v11
	ds_read_b32 v13, v4
; %bb.132:
	s_or_b32 exec_lo, exec_lo, s8
	v_cmp_ge_u32_e64 s8, v17, v27
	s_mov_b32 s10, exec_lo
                                        ; implicit-def: $vgpr16
	v_cmpx_lt_u32_e64 v17, v27
; %bb.133:
	v_lshl_add_u32 v4, v17, 2, v11
	ds_read_b32 v16, v4
; %bb.134:
	s_or_b32 exec_lo, exec_lo, s10
	s_waitcnt lgkmcnt(0)
	v_cmp_le_i32_e64 s9, v16, v13
	s_and_b32 s7, s7, s9
	s_or_b32 s7, s8, s7
	v_cndmask_b32_e64 v4, v17, v12, s7
	v_cndmask_b32_e64 v5, v27, v26, s7
	v_cndmask_b32_e64 v39, v16, v13, s7
	v_add_nc_u32_e32 v8, 1, v4
	v_add_nc_u32_e32 v5, -1, v5
	v_lshl_add_u32 v4, v4, 3, v10
	v_cndmask_b32_e64 v9, v12, v8, s7
	v_min_u32_e32 v5, v8, v5
	v_cmp_lt_u32_e64 s8, v9, v26
	v_lshl_add_u32 v5, v5, 2, v11
	ds_read_b32 v5, v5
	s_waitcnt lgkmcnt(0)
	v_cndmask_b32_e64 v12, v5, v16, s7
	v_cndmask_b32_e64 v18, v13, v5, s7
	;; [unrolled: 1-line block ×3, first 2 shown]
	v_cmp_le_i32_e64 s9, v12, v18
	v_cmp_ge_u32_e64 s10, v5, v27
	s_and_b32 s8, s8, s9
	s_or_b32 s8, s10, s8
	v_cndmask_b32_e64 v8, v5, v9, s8
	v_cndmask_b32_e64 v14, v27, v26, s8
	;; [unrolled: 1-line block ×3, first 2 shown]
	v_add_nc_u32_e32 v15, 1, v8
	v_add_nc_u32_e32 v14, -1, v14
	v_lshl_add_u32 v8, v8, 3, v10
	v_cndmask_b32_e64 v9, v9, v15, s8
	v_min_u32_e32 v14, v15, v14
	v_cndmask_b32_e64 v5, v15, v5, s8
	v_cmp_lt_u32_e64 s9, v9, v26
	v_lshl_add_u32 v14, v14, 2, v11
	v_cmp_ge_u32_e64 s11, v5, v27
	ds_read_b32 v14, v14
	s_waitcnt lgkmcnt(0)
	v_cndmask_b32_e64 v17, v14, v12, s8
	v_cndmask_b32_e64 v19, v18, v14, s8
	v_cmp_le_i32_e64 s10, v17, v19
	s_and_b32 s9, s9, s10
	s_or_b32 s9, s11, s9
	v_cndmask_b32_e64 v14, v5, v9, s9
	v_cndmask_b32_e64 v15, v27, v26, s9
	;; [unrolled: 1-line block ×3, first 2 shown]
	v_add_nc_u32_e32 v20, 1, v14
	v_add_nc_u32_e32 v15, -1, v15
	v_lshl_add_u32 v14, v14, 3, v10
	v_cndmask_b32_e64 v9, v9, v20, s9
	v_min_u32_e32 v15, v20, v15
	v_cndmask_b32_e64 v5, v20, v5, s9
	v_cmp_lt_u32_e64 s10, v9, v26
	v_lshl_add_u32 v11, v15, 2, v11
	v_cmp_ge_u32_e64 s12, v5, v27
	ds_read_b32 v11, v11
	s_waitcnt lgkmcnt(0)
	v_cndmask_b32_e64 v22, v11, v17, s9
	v_cndmask_b32_e64 v11, v19, v11, s9
	v_cmp_le_i32_e64 s11, v22, v11
	s_and_b32 s10, s10, s11
	s_or_b32 s10, s12, s10
	v_cndmask_b32_e64 v5, v5, v9, s10
	v_cndmask_b32_e64 v38, v22, v11, s10
	v_lshl_add_u32 v10, v5, 3, v10
	ds_read_b64 v[4:5], v4
	ds_read_b64 v[8:9], v8
	ds_read_b64 v[14:15], v14
	ds_read_b64 v[20:21], v10
.LBB511_135:
	s_or_b32 exec_lo, exec_lo, s13
	; wave barrier
	s_waitcnt lgkmcnt(0)
	s_waitcnt_vscnt null, 0x0
	s_barrier
.LBB511_136:
	s_or_b32 exec_lo, exec_lo, s14
	v_lshlrev_b32_e32 v10, 2, v30
	v_add_co_u32 v2, s7, v2, v32
	v_add_co_ci_u32_e64 v3, null, v3, v33, s7
	s_waitcnt vmcnt(0) lgkmcnt(0)
	s_waitcnt_vscnt null, 0x0
	buffer_gl0_inv
	v_add_co_u32 v2, s7, v2, v10
	v_add_co_ci_u32_e64 v3, null, 0, v3, s7
	; wave barrier
	s_and_saveexec_b32 s7, vcc_lo
	s_cbranch_execnz .LBB511_146
; %bb.137:
	s_or_b32 exec_lo, exec_lo, s7
	s_and_saveexec_b32 s7, s4
	s_cbranch_execnz .LBB511_147
.LBB511_138:
	s_or_b32 exec_lo, exec_lo, s7
	s_and_saveexec_b32 s7, s5
	s_cbranch_execnz .LBB511_148
.LBB511_139:
	s_or_b32 exec_lo, exec_lo, s7
	s_and_saveexec_b32 s7, s6
	s_cbranch_execz .LBB511_141
.LBB511_140:
	flat_store_dword v[2:3], v38 offset:12
.LBB511_141:
	s_or_b32 exec_lo, exec_lo, s7
	v_add_co_u32 v0, s7, v6, v0
	v_add_co_ci_u32_e64 v1, null, v7, v1, s7
	v_add_co_u32 v0, s7, v0, v36
	v_add_co_ci_u32_e64 v1, null, 0, v1, s7
	; wave barrier
	s_and_saveexec_b32 s7, vcc_lo
	s_cbranch_execnz .LBB511_149
; %bb.142:
	s_or_b32 exec_lo, exec_lo, s7
	s_and_saveexec_b32 s7, s4
	s_cbranch_execnz .LBB511_150
.LBB511_143:
	s_or_b32 exec_lo, exec_lo, s7
	s_and_saveexec_b32 s4, s5
	s_cbranch_execnz .LBB511_151
.LBB511_144:
	s_or_b32 exec_lo, exec_lo, s4
	s_and_saveexec_b32 s4, s6
	s_cbranch_execnz .LBB511_152
.LBB511_145:
	s_or_b32 exec_lo, exec_lo, s4
	s_waitcnt lgkmcnt(0)
	s_setpc_b64 s[30:31]
.LBB511_146:
	flat_store_dword v[2:3], v39
	s_or_b32 exec_lo, exec_lo, s7
	s_and_saveexec_b32 s7, s4
	s_cbranch_execz .LBB511_138
.LBB511_147:
	flat_store_dword v[2:3], v37 offset:4
	s_or_b32 exec_lo, exec_lo, s7
	s_and_saveexec_b32 s7, s5
	s_cbranch_execz .LBB511_139
.LBB511_148:
	flat_store_dword v[2:3], v24 offset:8
	s_or_b32 exec_lo, exec_lo, s7
	s_and_saveexec_b32 s7, s6
	s_cbranch_execnz .LBB511_140
	s_branch .LBB511_141
.LBB511_149:
	flat_store_dwordx2 v[0:1], v[4:5]
	s_or_b32 exec_lo, exec_lo, s7
	s_and_saveexec_b32 s7, s4
	s_cbranch_execz .LBB511_143
.LBB511_150:
	flat_store_dwordx2 v[0:1], v[8:9] offset:8
	s_or_b32 exec_lo, exec_lo, s7
	s_and_saveexec_b32 s4, s5
	s_cbranch_execz .LBB511_144
.LBB511_151:
	flat_store_dwordx2 v[0:1], v[14:15] offset:16
	s_or_b32 exec_lo, exec_lo, s4
	s_and_saveexec_b32 s4, s6
	s_cbranch_execz .LBB511_145
.LBB511_152:
	flat_store_dwordx2 v[0:1], v[20:21] offset:24
	s_or_b32 exec_lo, exec_lo, s4
	s_waitcnt lgkmcnt(0)
	s_setpc_b64 s[30:31]
.Lfunc_end511:
	.size	_ZN7rocprim17ROCPRIM_400000_NS6detail26segmented_warp_sort_helperINS1_20WarpSortHelperConfigILj32ELj4ELj256EEEilLi256ELb1EvE4sortIPKiPiPKlPlEEvT_T0_T1_T2_jjjjRNS5_12storage_typeE, .Lfunc_end511-_ZN7rocprim17ROCPRIM_400000_NS6detail26segmented_warp_sort_helperINS1_20WarpSortHelperConfigILj32ELj4ELj256EEEilLi256ELb1EvE4sortIPKiPiPKlPlEEvT_T0_T1_T2_jjjjRNS5_12storage_typeE
                                        ; -- End function
	.set .L_ZN7rocprim17ROCPRIM_400000_NS6detail26segmented_warp_sort_helperINS1_20WarpSortHelperConfigILj32ELj4ELj256EEEilLi256ELb1EvE4sortIPKiPiPKlPlEEvT_T0_T1_T2_jjjjRNS5_12storage_typeE.num_vgpr, 54
	.set .L_ZN7rocprim17ROCPRIM_400000_NS6detail26segmented_warp_sort_helperINS1_20WarpSortHelperConfigILj32ELj4ELj256EEEilLi256ELb1EvE4sortIPKiPiPKlPlEEvT_T0_T1_T2_jjjjRNS5_12storage_typeE.num_agpr, 0
	.set .L_ZN7rocprim17ROCPRIM_400000_NS6detail26segmented_warp_sort_helperINS1_20WarpSortHelperConfigILj32ELj4ELj256EEEilLi256ELb1EvE4sortIPKiPiPKlPlEEvT_T0_T1_T2_jjjjRNS5_12storage_typeE.numbered_sgpr, 32
	.set .L_ZN7rocprim17ROCPRIM_400000_NS6detail26segmented_warp_sort_helperINS1_20WarpSortHelperConfigILj32ELj4ELj256EEEilLi256ELb1EvE4sortIPKiPiPKlPlEEvT_T0_T1_T2_jjjjRNS5_12storage_typeE.num_named_barrier, 0
	.set .L_ZN7rocprim17ROCPRIM_400000_NS6detail26segmented_warp_sort_helperINS1_20WarpSortHelperConfigILj32ELj4ELj256EEEilLi256ELb1EvE4sortIPKiPiPKlPlEEvT_T0_T1_T2_jjjjRNS5_12storage_typeE.private_seg_size, 0
	.set .L_ZN7rocprim17ROCPRIM_400000_NS6detail26segmented_warp_sort_helperINS1_20WarpSortHelperConfigILj32ELj4ELj256EEEilLi256ELb1EvE4sortIPKiPiPKlPlEEvT_T0_T1_T2_jjjjRNS5_12storage_typeE.uses_vcc, 1
	.set .L_ZN7rocprim17ROCPRIM_400000_NS6detail26segmented_warp_sort_helperINS1_20WarpSortHelperConfigILj32ELj4ELj256EEEilLi256ELb1EvE4sortIPKiPiPKlPlEEvT_T0_T1_T2_jjjjRNS5_12storage_typeE.uses_flat_scratch, 0
	.set .L_ZN7rocprim17ROCPRIM_400000_NS6detail26segmented_warp_sort_helperINS1_20WarpSortHelperConfigILj32ELj4ELj256EEEilLi256ELb1EvE4sortIPKiPiPKlPlEEvT_T0_T1_T2_jjjjRNS5_12storage_typeE.has_dyn_sized_stack, 0
	.set .L_ZN7rocprim17ROCPRIM_400000_NS6detail26segmented_warp_sort_helperINS1_20WarpSortHelperConfigILj32ELj4ELj256EEEilLi256ELb1EvE4sortIPKiPiPKlPlEEvT_T0_T1_T2_jjjjRNS5_12storage_typeE.has_recursion, 0
	.set .L_ZN7rocprim17ROCPRIM_400000_NS6detail26segmented_warp_sort_helperINS1_20WarpSortHelperConfigILj32ELj4ELj256EEEilLi256ELb1EvE4sortIPKiPiPKlPlEEvT_T0_T1_T2_jjjjRNS5_12storage_typeE.has_indirect_call, 0
	.section	.AMDGPU.csdata,"",@progbits
; Function info:
; codeLenInByte = 11084
; TotalNumSgprs: 34
; NumVgprs: 54
; ScratchSize: 0
; MemoryBound: 1
	.section	.text._ZN7rocprim17ROCPRIM_400000_NS6detail17trampoline_kernelINS0_14default_configENS1_36segmented_radix_sort_config_selectorIilEEZNS1_25segmented_radix_sort_implIS3_Lb1EPKiPiPKlPlN2at6native12_GLOBAL__N_18offset_tEEE10hipError_tPvRmT1_PNSt15iterator_traitsISK_E10value_typeET2_T3_PNSL_ISQ_E10value_typeET4_jRbjT5_SW_jjP12ihipStream_tbEUlT_E0_NS1_11comp_targetILNS1_3genE8ELNS1_11target_archE1030ELNS1_3gpuE2ELNS1_3repE0EEENS1_60segmented_radix_sort_warp_sort_medium_config_static_selectorELNS0_4arch9wavefront6targetE0EEEvSK_,"axG",@progbits,_ZN7rocprim17ROCPRIM_400000_NS6detail17trampoline_kernelINS0_14default_configENS1_36segmented_radix_sort_config_selectorIilEEZNS1_25segmented_radix_sort_implIS3_Lb1EPKiPiPKlPlN2at6native12_GLOBAL__N_18offset_tEEE10hipError_tPvRmT1_PNSt15iterator_traitsISK_E10value_typeET2_T3_PNSL_ISQ_E10value_typeET4_jRbjT5_SW_jjP12ihipStream_tbEUlT_E0_NS1_11comp_targetILNS1_3genE8ELNS1_11target_archE1030ELNS1_3gpuE2ELNS1_3repE0EEENS1_60segmented_radix_sort_warp_sort_medium_config_static_selectorELNS0_4arch9wavefront6targetE0EEEvSK_,comdat
	.globl	_ZN7rocprim17ROCPRIM_400000_NS6detail17trampoline_kernelINS0_14default_configENS1_36segmented_radix_sort_config_selectorIilEEZNS1_25segmented_radix_sort_implIS3_Lb1EPKiPiPKlPlN2at6native12_GLOBAL__N_18offset_tEEE10hipError_tPvRmT1_PNSt15iterator_traitsISK_E10value_typeET2_T3_PNSL_ISQ_E10value_typeET4_jRbjT5_SW_jjP12ihipStream_tbEUlT_E0_NS1_11comp_targetILNS1_3genE8ELNS1_11target_archE1030ELNS1_3gpuE2ELNS1_3repE0EEENS1_60segmented_radix_sort_warp_sort_medium_config_static_selectorELNS0_4arch9wavefront6targetE0EEEvSK_ ; -- Begin function _ZN7rocprim17ROCPRIM_400000_NS6detail17trampoline_kernelINS0_14default_configENS1_36segmented_radix_sort_config_selectorIilEEZNS1_25segmented_radix_sort_implIS3_Lb1EPKiPiPKlPlN2at6native12_GLOBAL__N_18offset_tEEE10hipError_tPvRmT1_PNSt15iterator_traitsISK_E10value_typeET2_T3_PNSL_ISQ_E10value_typeET4_jRbjT5_SW_jjP12ihipStream_tbEUlT_E0_NS1_11comp_targetILNS1_3genE8ELNS1_11target_archE1030ELNS1_3gpuE2ELNS1_3repE0EEENS1_60segmented_radix_sort_warp_sort_medium_config_static_selectorELNS0_4arch9wavefront6targetE0EEEvSK_
	.p2align	8
	.type	_ZN7rocprim17ROCPRIM_400000_NS6detail17trampoline_kernelINS0_14default_configENS1_36segmented_radix_sort_config_selectorIilEEZNS1_25segmented_radix_sort_implIS3_Lb1EPKiPiPKlPlN2at6native12_GLOBAL__N_18offset_tEEE10hipError_tPvRmT1_PNSt15iterator_traitsISK_E10value_typeET2_T3_PNSL_ISQ_E10value_typeET4_jRbjT5_SW_jjP12ihipStream_tbEUlT_E0_NS1_11comp_targetILNS1_3genE8ELNS1_11target_archE1030ELNS1_3gpuE2ELNS1_3repE0EEENS1_60segmented_radix_sort_warp_sort_medium_config_static_selectorELNS0_4arch9wavefront6targetE0EEEvSK_,@function
_ZN7rocprim17ROCPRIM_400000_NS6detail17trampoline_kernelINS0_14default_configENS1_36segmented_radix_sort_config_selectorIilEEZNS1_25segmented_radix_sort_implIS3_Lb1EPKiPiPKlPlN2at6native12_GLOBAL__N_18offset_tEEE10hipError_tPvRmT1_PNSt15iterator_traitsISK_E10value_typeET2_T3_PNSL_ISQ_E10value_typeET4_jRbjT5_SW_jjP12ihipStream_tbEUlT_E0_NS1_11comp_targetILNS1_3genE8ELNS1_11target_archE1030ELNS1_3gpuE2ELNS1_3repE0EEENS1_60segmented_radix_sort_warp_sort_medium_config_static_selectorELNS0_4arch9wavefront6targetE0EEEvSK_: ; @_ZN7rocprim17ROCPRIM_400000_NS6detail17trampoline_kernelINS0_14default_configENS1_36segmented_radix_sort_config_selectorIilEEZNS1_25segmented_radix_sort_implIS3_Lb1EPKiPiPKlPlN2at6native12_GLOBAL__N_18offset_tEEE10hipError_tPvRmT1_PNSt15iterator_traitsISK_E10value_typeET2_T3_PNSL_ISQ_E10value_typeET4_jRbjT5_SW_jjP12ihipStream_tbEUlT_E0_NS1_11comp_targetILNS1_3genE8ELNS1_11target_archE1030ELNS1_3gpuE2ELNS1_3repE0EEENS1_60segmented_radix_sort_warp_sort_medium_config_static_selectorELNS0_4arch9wavefront6targetE0EEEvSK_
; %bb.0:
	s_add_u32 s0, s0, s8
	s_load_dword s8, s[4:5], 0x64
	s_addc_u32 s1, s1, 0
	s_mov_b32 s32, 0
	s_waitcnt lgkmcnt(0)
	s_lshr_b32 s9, s8, 16
	s_and_b32 s8, s8, 0xffff
	v_mad_u32_u24 v3, v2, s9, v1
	s_load_dword s9, s[4:5], 0x34
	v_mad_u64_u32 v[3:4], null, v3, s8, v[0:1]
	s_mov_b32 s8, exec_lo
	v_lshrrev_b32_e32 v3, 5, v3
	v_lshl_add_u32 v3, s6, 3, v3
	s_waitcnt lgkmcnt(0)
	v_cmpx_gt_u32_e64 s9, v3
	s_cbranch_execz .LBB512_6
; %bb.1:
	s_clause 0x1
	s_load_dwordx2 s[12:13], s[4:5], 0x38
	s_load_dwordx4 s[8:11], s[4:5], 0x40
	v_mov_b32_e32 v4, 0
	v_lshlrev_b64 v[3:4], 2, v[3:4]
	s_waitcnt lgkmcnt(0)
	v_add_co_u32 v3, vcc_lo, s12, v3
	v_add_co_ci_u32_e64 v4, null, s13, v4, vcc_lo
	global_load_dword v3, v[3:4], off
	s_waitcnt vmcnt(0)
	v_add_nc_u32_e32 v4, s9, v3
	v_add_nc_u32_e32 v3, s11, v3
	v_mul_lo_u32 v40, v4, s8
	v_mul_lo_u32 v41, v3, s10
	v_cmp_gt_u32_e32 vcc_lo, v41, v40
	s_and_b32 exec_lo, exec_lo, vcc_lo
	s_cbranch_execz .LBB512_6
; %bb.2:
	s_clause 0x3
	s_load_dword s8, s[4:5], 0x30
	s_load_dwordx4 s[36:39], s[4:5], 0x20
	s_load_dwordx8 s[20:27], s[4:5], 0x0
	s_load_dwordx2 s[28:29], s[4:5], 0x50
	v_lshlrev_b32_e32 v43, 20, v2
	v_lshlrev_b32_e32 v44, 10, v1
	s_waitcnt lgkmcnt(0)
	s_bitcmp0_b32 s8, 0
	s_mov_b32 s8, -1
	s_cbranch_scc0 .LBB512_4
; %bb.3:
	s_mov_b64 s[10:11], src_shared_base
	v_or3_b32 v31, v0, v44, v43
	v_mov_b32_e32 v42, v0
	v_mov_b32_e32 v0, s20
	;; [unrolled: 1-line block ×15, first 2 shown]
	s_add_u32 s8, s4, 0x58
	s_addc_u32 s9, s5, 0
	s_getpc_b64 s[14:15]
	s_add_u32 s14, s14, _ZN7rocprim17ROCPRIM_400000_NS6detail26segmented_warp_sort_helperINS1_20WarpSortHelperConfigILj32ELj4ELj256EEEilLi256ELb1EvE4sortIPKiPiPKlPlEEvT_T0_T1_T2_jjjjRNS5_12storage_typeE@rel32@lo+4
	s_addc_u32 s15, s15, _ZN7rocprim17ROCPRIM_400000_NS6detail26segmented_warp_sort_helperINS1_20WarpSortHelperConfigILj32ELj4ELj256EEEilLi256ELb1EvE4sortIPKiPiPKlPlEEvT_T0_T1_T2_jjjjRNS5_12storage_typeE@rel32@hi+12
	s_mov_b32 s12, s6
	s_mov_b32 s13, s7
	s_mov_b64 s[22:23], s[4:5]
	s_mov_b32 s19, s7
	s_mov_b32 s33, s6
	s_swappc_b64 s[30:31], s[14:15]
	v_mov_b32_e32 v0, v42
	s_mov_b32 s6, s33
	s_mov_b32 s7, s19
	s_mov_b64 s[4:5], s[22:23]
	s_mov_b32 s8, 0
.LBB512_4:
	s_andn2_b32 vcc_lo, exec_lo, s8
	s_cbranch_vccnz .LBB512_6
; %bb.5:
	s_mov_b64 s[10:11], src_shared_base
	v_or3_b32 v31, v0, v44, v43
	v_mov_b32_e32 v0, s20
	v_mov_b32_e32 v1, s21
	;; [unrolled: 1-line block ×14, first 2 shown]
	s_add_u32 s8, s4, 0x58
	s_addc_u32 s9, s5, 0
	s_getpc_b64 s[4:5]
	s_add_u32 s4, s4, _ZN7rocprim17ROCPRIM_400000_NS6detail26segmented_warp_sort_helperINS1_20WarpSortHelperConfigILj32ELj4ELj256EEEilLi256ELb1EvE4sortIPKiPiPKlPlEEvT_T0_T1_T2_jjjjRNS5_12storage_typeE@rel32@lo+4
	s_addc_u32 s5, s5, _ZN7rocprim17ROCPRIM_400000_NS6detail26segmented_warp_sort_helperINS1_20WarpSortHelperConfigILj32ELj4ELj256EEEilLi256ELb1EvE4sortIPKiPiPKlPlEEvT_T0_T1_T2_jjjjRNS5_12storage_typeE@rel32@hi+12
	s_mov_b32 s12, s6
	s_mov_b32 s13, s7
	s_swappc_b64 s[30:31], s[4:5]
.LBB512_6:
	s_endpgm
	.section	.rodata,"a",@progbits
	.p2align	6, 0x0
	.amdhsa_kernel _ZN7rocprim17ROCPRIM_400000_NS6detail17trampoline_kernelINS0_14default_configENS1_36segmented_radix_sort_config_selectorIilEEZNS1_25segmented_radix_sort_implIS3_Lb1EPKiPiPKlPlN2at6native12_GLOBAL__N_18offset_tEEE10hipError_tPvRmT1_PNSt15iterator_traitsISK_E10value_typeET2_T3_PNSL_ISQ_E10value_typeET4_jRbjT5_SW_jjP12ihipStream_tbEUlT_E0_NS1_11comp_targetILNS1_3genE8ELNS1_11target_archE1030ELNS1_3gpuE2ELNS1_3repE0EEENS1_60segmented_radix_sort_warp_sort_medium_config_static_selectorELNS0_4arch9wavefront6targetE0EEEvSK_
		.amdhsa_group_segment_fixed_size 12288
		.amdhsa_private_segment_fixed_size 0
		.amdhsa_kernarg_size 344
		.amdhsa_user_sgpr_count 6
		.amdhsa_user_sgpr_private_segment_buffer 1
		.amdhsa_user_sgpr_dispatch_ptr 0
		.amdhsa_user_sgpr_queue_ptr 0
		.amdhsa_user_sgpr_kernarg_segment_ptr 1
		.amdhsa_user_sgpr_dispatch_id 0
		.amdhsa_user_sgpr_flat_scratch_init 0
		.amdhsa_user_sgpr_private_segment_size 0
		.amdhsa_wavefront_size32 1
		.amdhsa_uses_dynamic_stack 0
		.amdhsa_system_sgpr_private_segment_wavefront_offset 0
		.amdhsa_system_sgpr_workgroup_id_x 1
		.amdhsa_system_sgpr_workgroup_id_y 1
		.amdhsa_system_sgpr_workgroup_id_z 0
		.amdhsa_system_sgpr_workgroup_info 0
		.amdhsa_system_vgpr_workitem_id 2
		.amdhsa_next_free_vgpr 54
		.amdhsa_next_free_sgpr 40
		.amdhsa_reserve_vcc 1
		.amdhsa_reserve_flat_scratch 0
		.amdhsa_float_round_mode_32 0
		.amdhsa_float_round_mode_16_64 0
		.amdhsa_float_denorm_mode_32 3
		.amdhsa_float_denorm_mode_16_64 3
		.amdhsa_dx10_clamp 1
		.amdhsa_ieee_mode 1
		.amdhsa_fp16_overflow 0
		.amdhsa_workgroup_processor_mode 1
		.amdhsa_memory_ordered 1
		.amdhsa_forward_progress 1
		.amdhsa_shared_vgpr_count 0
		.amdhsa_exception_fp_ieee_invalid_op 0
		.amdhsa_exception_fp_denorm_src 0
		.amdhsa_exception_fp_ieee_div_zero 0
		.amdhsa_exception_fp_ieee_overflow 0
		.amdhsa_exception_fp_ieee_underflow 0
		.amdhsa_exception_fp_ieee_inexact 0
		.amdhsa_exception_int_div_zero 0
	.end_amdhsa_kernel
	.section	.text._ZN7rocprim17ROCPRIM_400000_NS6detail17trampoline_kernelINS0_14default_configENS1_36segmented_radix_sort_config_selectorIilEEZNS1_25segmented_radix_sort_implIS3_Lb1EPKiPiPKlPlN2at6native12_GLOBAL__N_18offset_tEEE10hipError_tPvRmT1_PNSt15iterator_traitsISK_E10value_typeET2_T3_PNSL_ISQ_E10value_typeET4_jRbjT5_SW_jjP12ihipStream_tbEUlT_E0_NS1_11comp_targetILNS1_3genE8ELNS1_11target_archE1030ELNS1_3gpuE2ELNS1_3repE0EEENS1_60segmented_radix_sort_warp_sort_medium_config_static_selectorELNS0_4arch9wavefront6targetE0EEEvSK_,"axG",@progbits,_ZN7rocprim17ROCPRIM_400000_NS6detail17trampoline_kernelINS0_14default_configENS1_36segmented_radix_sort_config_selectorIilEEZNS1_25segmented_radix_sort_implIS3_Lb1EPKiPiPKlPlN2at6native12_GLOBAL__N_18offset_tEEE10hipError_tPvRmT1_PNSt15iterator_traitsISK_E10value_typeET2_T3_PNSL_ISQ_E10value_typeET4_jRbjT5_SW_jjP12ihipStream_tbEUlT_E0_NS1_11comp_targetILNS1_3genE8ELNS1_11target_archE1030ELNS1_3gpuE2ELNS1_3repE0EEENS1_60segmented_radix_sort_warp_sort_medium_config_static_selectorELNS0_4arch9wavefront6targetE0EEEvSK_,comdat
.Lfunc_end512:
	.size	_ZN7rocprim17ROCPRIM_400000_NS6detail17trampoline_kernelINS0_14default_configENS1_36segmented_radix_sort_config_selectorIilEEZNS1_25segmented_radix_sort_implIS3_Lb1EPKiPiPKlPlN2at6native12_GLOBAL__N_18offset_tEEE10hipError_tPvRmT1_PNSt15iterator_traitsISK_E10value_typeET2_T3_PNSL_ISQ_E10value_typeET4_jRbjT5_SW_jjP12ihipStream_tbEUlT_E0_NS1_11comp_targetILNS1_3genE8ELNS1_11target_archE1030ELNS1_3gpuE2ELNS1_3repE0EEENS1_60segmented_radix_sort_warp_sort_medium_config_static_selectorELNS0_4arch9wavefront6targetE0EEEvSK_, .Lfunc_end512-_ZN7rocprim17ROCPRIM_400000_NS6detail17trampoline_kernelINS0_14default_configENS1_36segmented_radix_sort_config_selectorIilEEZNS1_25segmented_radix_sort_implIS3_Lb1EPKiPiPKlPlN2at6native12_GLOBAL__N_18offset_tEEE10hipError_tPvRmT1_PNSt15iterator_traitsISK_E10value_typeET2_T3_PNSL_ISQ_E10value_typeET4_jRbjT5_SW_jjP12ihipStream_tbEUlT_E0_NS1_11comp_targetILNS1_3genE8ELNS1_11target_archE1030ELNS1_3gpuE2ELNS1_3repE0EEENS1_60segmented_radix_sort_warp_sort_medium_config_static_selectorELNS0_4arch9wavefront6targetE0EEEvSK_
                                        ; -- End function
	.set _ZN7rocprim17ROCPRIM_400000_NS6detail17trampoline_kernelINS0_14default_configENS1_36segmented_radix_sort_config_selectorIilEEZNS1_25segmented_radix_sort_implIS3_Lb1EPKiPiPKlPlN2at6native12_GLOBAL__N_18offset_tEEE10hipError_tPvRmT1_PNSt15iterator_traitsISK_E10value_typeET2_T3_PNSL_ISQ_E10value_typeET4_jRbjT5_SW_jjP12ihipStream_tbEUlT_E0_NS1_11comp_targetILNS1_3genE8ELNS1_11target_archE1030ELNS1_3gpuE2ELNS1_3repE0EEENS1_60segmented_radix_sort_warp_sort_medium_config_static_selectorELNS0_4arch9wavefront6targetE0EEEvSK_.num_vgpr, max(45, .L_ZN7rocprim17ROCPRIM_400000_NS6detail26segmented_warp_sort_helperINS1_20WarpSortHelperConfigILj32ELj4ELj256EEEilLi256ELb1EvE4sortIPKiPiPKlPlEEvT_T0_T1_T2_jjjjRNS5_12storage_typeE.num_vgpr)
	.set _ZN7rocprim17ROCPRIM_400000_NS6detail17trampoline_kernelINS0_14default_configENS1_36segmented_radix_sort_config_selectorIilEEZNS1_25segmented_radix_sort_implIS3_Lb1EPKiPiPKlPlN2at6native12_GLOBAL__N_18offset_tEEE10hipError_tPvRmT1_PNSt15iterator_traitsISK_E10value_typeET2_T3_PNSL_ISQ_E10value_typeET4_jRbjT5_SW_jjP12ihipStream_tbEUlT_E0_NS1_11comp_targetILNS1_3genE8ELNS1_11target_archE1030ELNS1_3gpuE2ELNS1_3repE0EEENS1_60segmented_radix_sort_warp_sort_medium_config_static_selectorELNS0_4arch9wavefront6targetE0EEEvSK_.num_agpr, max(0, .L_ZN7rocprim17ROCPRIM_400000_NS6detail26segmented_warp_sort_helperINS1_20WarpSortHelperConfigILj32ELj4ELj256EEEilLi256ELb1EvE4sortIPKiPiPKlPlEEvT_T0_T1_T2_jjjjRNS5_12storage_typeE.num_agpr)
	.set _ZN7rocprim17ROCPRIM_400000_NS6detail17trampoline_kernelINS0_14default_configENS1_36segmented_radix_sort_config_selectorIilEEZNS1_25segmented_radix_sort_implIS3_Lb1EPKiPiPKlPlN2at6native12_GLOBAL__N_18offset_tEEE10hipError_tPvRmT1_PNSt15iterator_traitsISK_E10value_typeET2_T3_PNSL_ISQ_E10value_typeET4_jRbjT5_SW_jjP12ihipStream_tbEUlT_E0_NS1_11comp_targetILNS1_3genE8ELNS1_11target_archE1030ELNS1_3gpuE2ELNS1_3repE0EEENS1_60segmented_radix_sort_warp_sort_medium_config_static_selectorELNS0_4arch9wavefront6targetE0EEEvSK_.numbered_sgpr, max(40, .L_ZN7rocprim17ROCPRIM_400000_NS6detail26segmented_warp_sort_helperINS1_20WarpSortHelperConfigILj32ELj4ELj256EEEilLi256ELb1EvE4sortIPKiPiPKlPlEEvT_T0_T1_T2_jjjjRNS5_12storage_typeE.numbered_sgpr)
	.set _ZN7rocprim17ROCPRIM_400000_NS6detail17trampoline_kernelINS0_14default_configENS1_36segmented_radix_sort_config_selectorIilEEZNS1_25segmented_radix_sort_implIS3_Lb1EPKiPiPKlPlN2at6native12_GLOBAL__N_18offset_tEEE10hipError_tPvRmT1_PNSt15iterator_traitsISK_E10value_typeET2_T3_PNSL_ISQ_E10value_typeET4_jRbjT5_SW_jjP12ihipStream_tbEUlT_E0_NS1_11comp_targetILNS1_3genE8ELNS1_11target_archE1030ELNS1_3gpuE2ELNS1_3repE0EEENS1_60segmented_radix_sort_warp_sort_medium_config_static_selectorELNS0_4arch9wavefront6targetE0EEEvSK_.num_named_barrier, max(0, .L_ZN7rocprim17ROCPRIM_400000_NS6detail26segmented_warp_sort_helperINS1_20WarpSortHelperConfigILj32ELj4ELj256EEEilLi256ELb1EvE4sortIPKiPiPKlPlEEvT_T0_T1_T2_jjjjRNS5_12storage_typeE.num_named_barrier)
	.set _ZN7rocprim17ROCPRIM_400000_NS6detail17trampoline_kernelINS0_14default_configENS1_36segmented_radix_sort_config_selectorIilEEZNS1_25segmented_radix_sort_implIS3_Lb1EPKiPiPKlPlN2at6native12_GLOBAL__N_18offset_tEEE10hipError_tPvRmT1_PNSt15iterator_traitsISK_E10value_typeET2_T3_PNSL_ISQ_E10value_typeET4_jRbjT5_SW_jjP12ihipStream_tbEUlT_E0_NS1_11comp_targetILNS1_3genE8ELNS1_11target_archE1030ELNS1_3gpuE2ELNS1_3repE0EEENS1_60segmented_radix_sort_warp_sort_medium_config_static_selectorELNS0_4arch9wavefront6targetE0EEEvSK_.private_seg_size, 0+max(.L_ZN7rocprim17ROCPRIM_400000_NS6detail26segmented_warp_sort_helperINS1_20WarpSortHelperConfigILj32ELj4ELj256EEEilLi256ELb1EvE4sortIPKiPiPKlPlEEvT_T0_T1_T2_jjjjRNS5_12storage_typeE.private_seg_size)
	.set _ZN7rocprim17ROCPRIM_400000_NS6detail17trampoline_kernelINS0_14default_configENS1_36segmented_radix_sort_config_selectorIilEEZNS1_25segmented_radix_sort_implIS3_Lb1EPKiPiPKlPlN2at6native12_GLOBAL__N_18offset_tEEE10hipError_tPvRmT1_PNSt15iterator_traitsISK_E10value_typeET2_T3_PNSL_ISQ_E10value_typeET4_jRbjT5_SW_jjP12ihipStream_tbEUlT_E0_NS1_11comp_targetILNS1_3genE8ELNS1_11target_archE1030ELNS1_3gpuE2ELNS1_3repE0EEENS1_60segmented_radix_sort_warp_sort_medium_config_static_selectorELNS0_4arch9wavefront6targetE0EEEvSK_.uses_vcc, or(1, .L_ZN7rocprim17ROCPRIM_400000_NS6detail26segmented_warp_sort_helperINS1_20WarpSortHelperConfigILj32ELj4ELj256EEEilLi256ELb1EvE4sortIPKiPiPKlPlEEvT_T0_T1_T2_jjjjRNS5_12storage_typeE.uses_vcc)
	.set _ZN7rocprim17ROCPRIM_400000_NS6detail17trampoline_kernelINS0_14default_configENS1_36segmented_radix_sort_config_selectorIilEEZNS1_25segmented_radix_sort_implIS3_Lb1EPKiPiPKlPlN2at6native12_GLOBAL__N_18offset_tEEE10hipError_tPvRmT1_PNSt15iterator_traitsISK_E10value_typeET2_T3_PNSL_ISQ_E10value_typeET4_jRbjT5_SW_jjP12ihipStream_tbEUlT_E0_NS1_11comp_targetILNS1_3genE8ELNS1_11target_archE1030ELNS1_3gpuE2ELNS1_3repE0EEENS1_60segmented_radix_sort_warp_sort_medium_config_static_selectorELNS0_4arch9wavefront6targetE0EEEvSK_.uses_flat_scratch, or(0, .L_ZN7rocprim17ROCPRIM_400000_NS6detail26segmented_warp_sort_helperINS1_20WarpSortHelperConfigILj32ELj4ELj256EEEilLi256ELb1EvE4sortIPKiPiPKlPlEEvT_T0_T1_T2_jjjjRNS5_12storage_typeE.uses_flat_scratch)
	.set _ZN7rocprim17ROCPRIM_400000_NS6detail17trampoline_kernelINS0_14default_configENS1_36segmented_radix_sort_config_selectorIilEEZNS1_25segmented_radix_sort_implIS3_Lb1EPKiPiPKlPlN2at6native12_GLOBAL__N_18offset_tEEE10hipError_tPvRmT1_PNSt15iterator_traitsISK_E10value_typeET2_T3_PNSL_ISQ_E10value_typeET4_jRbjT5_SW_jjP12ihipStream_tbEUlT_E0_NS1_11comp_targetILNS1_3genE8ELNS1_11target_archE1030ELNS1_3gpuE2ELNS1_3repE0EEENS1_60segmented_radix_sort_warp_sort_medium_config_static_selectorELNS0_4arch9wavefront6targetE0EEEvSK_.has_dyn_sized_stack, or(0, .L_ZN7rocprim17ROCPRIM_400000_NS6detail26segmented_warp_sort_helperINS1_20WarpSortHelperConfigILj32ELj4ELj256EEEilLi256ELb1EvE4sortIPKiPiPKlPlEEvT_T0_T1_T2_jjjjRNS5_12storage_typeE.has_dyn_sized_stack)
	.set _ZN7rocprim17ROCPRIM_400000_NS6detail17trampoline_kernelINS0_14default_configENS1_36segmented_radix_sort_config_selectorIilEEZNS1_25segmented_radix_sort_implIS3_Lb1EPKiPiPKlPlN2at6native12_GLOBAL__N_18offset_tEEE10hipError_tPvRmT1_PNSt15iterator_traitsISK_E10value_typeET2_T3_PNSL_ISQ_E10value_typeET4_jRbjT5_SW_jjP12ihipStream_tbEUlT_E0_NS1_11comp_targetILNS1_3genE8ELNS1_11target_archE1030ELNS1_3gpuE2ELNS1_3repE0EEENS1_60segmented_radix_sort_warp_sort_medium_config_static_selectorELNS0_4arch9wavefront6targetE0EEEvSK_.has_recursion, or(0, .L_ZN7rocprim17ROCPRIM_400000_NS6detail26segmented_warp_sort_helperINS1_20WarpSortHelperConfigILj32ELj4ELj256EEEilLi256ELb1EvE4sortIPKiPiPKlPlEEvT_T0_T1_T2_jjjjRNS5_12storage_typeE.has_recursion)
	.set _ZN7rocprim17ROCPRIM_400000_NS6detail17trampoline_kernelINS0_14default_configENS1_36segmented_radix_sort_config_selectorIilEEZNS1_25segmented_radix_sort_implIS3_Lb1EPKiPiPKlPlN2at6native12_GLOBAL__N_18offset_tEEE10hipError_tPvRmT1_PNSt15iterator_traitsISK_E10value_typeET2_T3_PNSL_ISQ_E10value_typeET4_jRbjT5_SW_jjP12ihipStream_tbEUlT_E0_NS1_11comp_targetILNS1_3genE8ELNS1_11target_archE1030ELNS1_3gpuE2ELNS1_3repE0EEENS1_60segmented_radix_sort_warp_sort_medium_config_static_selectorELNS0_4arch9wavefront6targetE0EEEvSK_.has_indirect_call, or(0, .L_ZN7rocprim17ROCPRIM_400000_NS6detail26segmented_warp_sort_helperINS1_20WarpSortHelperConfigILj32ELj4ELj256EEEilLi256ELb1EvE4sortIPKiPiPKlPlEEvT_T0_T1_T2_jjjjRNS5_12storage_typeE.has_indirect_call)
	.section	.AMDGPU.csdata,"",@progbits
; Kernel info:
; codeLenInByte = 524
; TotalNumSgprs: 42
; NumVgprs: 54
; ScratchSize: 0
; MemoryBound: 0
; FloatMode: 240
; IeeeMode: 1
; LDSByteSize: 12288 bytes/workgroup (compile time only)
; SGPRBlocks: 0
; VGPRBlocks: 6
; NumSGPRsForWavesPerEU: 42
; NumVGPRsForWavesPerEU: 54
; Occupancy: 16
; WaveLimiterHint : 0
; COMPUTE_PGM_RSRC2:SCRATCH_EN: 0
; COMPUTE_PGM_RSRC2:USER_SGPR: 6
; COMPUTE_PGM_RSRC2:TRAP_HANDLER: 0
; COMPUTE_PGM_RSRC2:TGID_X_EN: 1
; COMPUTE_PGM_RSRC2:TGID_Y_EN: 1
; COMPUTE_PGM_RSRC2:TGID_Z_EN: 0
; COMPUTE_PGM_RSRC2:TIDIG_COMP_CNT: 2
	.section	.text._ZN7rocprim17ROCPRIM_400000_NS6detail17trampoline_kernelINS0_14default_configENS1_36segmented_radix_sort_config_selectorIilEEZNS1_25segmented_radix_sort_implIS3_Lb1EPKiPiPKlPlN2at6native12_GLOBAL__N_18offset_tEEE10hipError_tPvRmT1_PNSt15iterator_traitsISK_E10value_typeET2_T3_PNSL_ISQ_E10value_typeET4_jRbjT5_SW_jjP12ihipStream_tbEUlT_E1_NS1_11comp_targetILNS1_3genE0ELNS1_11target_archE4294967295ELNS1_3gpuE0ELNS1_3repE0EEENS1_59segmented_radix_sort_warp_sort_small_config_static_selectorELNS0_4arch9wavefront6targetE0EEEvSK_,"axG",@progbits,_ZN7rocprim17ROCPRIM_400000_NS6detail17trampoline_kernelINS0_14default_configENS1_36segmented_radix_sort_config_selectorIilEEZNS1_25segmented_radix_sort_implIS3_Lb1EPKiPiPKlPlN2at6native12_GLOBAL__N_18offset_tEEE10hipError_tPvRmT1_PNSt15iterator_traitsISK_E10value_typeET2_T3_PNSL_ISQ_E10value_typeET4_jRbjT5_SW_jjP12ihipStream_tbEUlT_E1_NS1_11comp_targetILNS1_3genE0ELNS1_11target_archE4294967295ELNS1_3gpuE0ELNS1_3repE0EEENS1_59segmented_radix_sort_warp_sort_small_config_static_selectorELNS0_4arch9wavefront6targetE0EEEvSK_,comdat
	.globl	_ZN7rocprim17ROCPRIM_400000_NS6detail17trampoline_kernelINS0_14default_configENS1_36segmented_radix_sort_config_selectorIilEEZNS1_25segmented_radix_sort_implIS3_Lb1EPKiPiPKlPlN2at6native12_GLOBAL__N_18offset_tEEE10hipError_tPvRmT1_PNSt15iterator_traitsISK_E10value_typeET2_T3_PNSL_ISQ_E10value_typeET4_jRbjT5_SW_jjP12ihipStream_tbEUlT_E1_NS1_11comp_targetILNS1_3genE0ELNS1_11target_archE4294967295ELNS1_3gpuE0ELNS1_3repE0EEENS1_59segmented_radix_sort_warp_sort_small_config_static_selectorELNS0_4arch9wavefront6targetE0EEEvSK_ ; -- Begin function _ZN7rocprim17ROCPRIM_400000_NS6detail17trampoline_kernelINS0_14default_configENS1_36segmented_radix_sort_config_selectorIilEEZNS1_25segmented_radix_sort_implIS3_Lb1EPKiPiPKlPlN2at6native12_GLOBAL__N_18offset_tEEE10hipError_tPvRmT1_PNSt15iterator_traitsISK_E10value_typeET2_T3_PNSL_ISQ_E10value_typeET4_jRbjT5_SW_jjP12ihipStream_tbEUlT_E1_NS1_11comp_targetILNS1_3genE0ELNS1_11target_archE4294967295ELNS1_3gpuE0ELNS1_3repE0EEENS1_59segmented_radix_sort_warp_sort_small_config_static_selectorELNS0_4arch9wavefront6targetE0EEEvSK_
	.p2align	8
	.type	_ZN7rocprim17ROCPRIM_400000_NS6detail17trampoline_kernelINS0_14default_configENS1_36segmented_radix_sort_config_selectorIilEEZNS1_25segmented_radix_sort_implIS3_Lb1EPKiPiPKlPlN2at6native12_GLOBAL__N_18offset_tEEE10hipError_tPvRmT1_PNSt15iterator_traitsISK_E10value_typeET2_T3_PNSL_ISQ_E10value_typeET4_jRbjT5_SW_jjP12ihipStream_tbEUlT_E1_NS1_11comp_targetILNS1_3genE0ELNS1_11target_archE4294967295ELNS1_3gpuE0ELNS1_3repE0EEENS1_59segmented_radix_sort_warp_sort_small_config_static_selectorELNS0_4arch9wavefront6targetE0EEEvSK_,@function
_ZN7rocprim17ROCPRIM_400000_NS6detail17trampoline_kernelINS0_14default_configENS1_36segmented_radix_sort_config_selectorIilEEZNS1_25segmented_radix_sort_implIS3_Lb1EPKiPiPKlPlN2at6native12_GLOBAL__N_18offset_tEEE10hipError_tPvRmT1_PNSt15iterator_traitsISK_E10value_typeET2_T3_PNSL_ISQ_E10value_typeET4_jRbjT5_SW_jjP12ihipStream_tbEUlT_E1_NS1_11comp_targetILNS1_3genE0ELNS1_11target_archE4294967295ELNS1_3gpuE0ELNS1_3repE0EEENS1_59segmented_radix_sort_warp_sort_small_config_static_selectorELNS0_4arch9wavefront6targetE0EEEvSK_: ; @_ZN7rocprim17ROCPRIM_400000_NS6detail17trampoline_kernelINS0_14default_configENS1_36segmented_radix_sort_config_selectorIilEEZNS1_25segmented_radix_sort_implIS3_Lb1EPKiPiPKlPlN2at6native12_GLOBAL__N_18offset_tEEE10hipError_tPvRmT1_PNSt15iterator_traitsISK_E10value_typeET2_T3_PNSL_ISQ_E10value_typeET4_jRbjT5_SW_jjP12ihipStream_tbEUlT_E1_NS1_11comp_targetILNS1_3genE0ELNS1_11target_archE4294967295ELNS1_3gpuE0ELNS1_3repE0EEENS1_59segmented_radix_sort_warp_sort_small_config_static_selectorELNS0_4arch9wavefront6targetE0EEEvSK_
; %bb.0:
	.section	.rodata,"a",@progbits
	.p2align	6, 0x0
	.amdhsa_kernel _ZN7rocprim17ROCPRIM_400000_NS6detail17trampoline_kernelINS0_14default_configENS1_36segmented_radix_sort_config_selectorIilEEZNS1_25segmented_radix_sort_implIS3_Lb1EPKiPiPKlPlN2at6native12_GLOBAL__N_18offset_tEEE10hipError_tPvRmT1_PNSt15iterator_traitsISK_E10value_typeET2_T3_PNSL_ISQ_E10value_typeET4_jRbjT5_SW_jjP12ihipStream_tbEUlT_E1_NS1_11comp_targetILNS1_3genE0ELNS1_11target_archE4294967295ELNS1_3gpuE0ELNS1_3repE0EEENS1_59segmented_radix_sort_warp_sort_small_config_static_selectorELNS0_4arch9wavefront6targetE0EEEvSK_
		.amdhsa_group_segment_fixed_size 0
		.amdhsa_private_segment_fixed_size 0
		.amdhsa_kernarg_size 88
		.amdhsa_user_sgpr_count 6
		.amdhsa_user_sgpr_private_segment_buffer 1
		.amdhsa_user_sgpr_dispatch_ptr 0
		.amdhsa_user_sgpr_queue_ptr 0
		.amdhsa_user_sgpr_kernarg_segment_ptr 1
		.amdhsa_user_sgpr_dispatch_id 0
		.amdhsa_user_sgpr_flat_scratch_init 0
		.amdhsa_user_sgpr_private_segment_size 0
		.amdhsa_wavefront_size32 1
		.amdhsa_uses_dynamic_stack 0
		.amdhsa_system_sgpr_private_segment_wavefront_offset 0
		.amdhsa_system_sgpr_workgroup_id_x 1
		.amdhsa_system_sgpr_workgroup_id_y 0
		.amdhsa_system_sgpr_workgroup_id_z 0
		.amdhsa_system_sgpr_workgroup_info 0
		.amdhsa_system_vgpr_workitem_id 0
		.amdhsa_next_free_vgpr 1
		.amdhsa_next_free_sgpr 1
		.amdhsa_reserve_vcc 0
		.amdhsa_reserve_flat_scratch 0
		.amdhsa_float_round_mode_32 0
		.amdhsa_float_round_mode_16_64 0
		.amdhsa_float_denorm_mode_32 3
		.amdhsa_float_denorm_mode_16_64 3
		.amdhsa_dx10_clamp 1
		.amdhsa_ieee_mode 1
		.amdhsa_fp16_overflow 0
		.amdhsa_workgroup_processor_mode 1
		.amdhsa_memory_ordered 1
		.amdhsa_forward_progress 1
		.amdhsa_shared_vgpr_count 0
		.amdhsa_exception_fp_ieee_invalid_op 0
		.amdhsa_exception_fp_denorm_src 0
		.amdhsa_exception_fp_ieee_div_zero 0
		.amdhsa_exception_fp_ieee_overflow 0
		.amdhsa_exception_fp_ieee_underflow 0
		.amdhsa_exception_fp_ieee_inexact 0
		.amdhsa_exception_int_div_zero 0
	.end_amdhsa_kernel
	.section	.text._ZN7rocprim17ROCPRIM_400000_NS6detail17trampoline_kernelINS0_14default_configENS1_36segmented_radix_sort_config_selectorIilEEZNS1_25segmented_radix_sort_implIS3_Lb1EPKiPiPKlPlN2at6native12_GLOBAL__N_18offset_tEEE10hipError_tPvRmT1_PNSt15iterator_traitsISK_E10value_typeET2_T3_PNSL_ISQ_E10value_typeET4_jRbjT5_SW_jjP12ihipStream_tbEUlT_E1_NS1_11comp_targetILNS1_3genE0ELNS1_11target_archE4294967295ELNS1_3gpuE0ELNS1_3repE0EEENS1_59segmented_radix_sort_warp_sort_small_config_static_selectorELNS0_4arch9wavefront6targetE0EEEvSK_,"axG",@progbits,_ZN7rocprim17ROCPRIM_400000_NS6detail17trampoline_kernelINS0_14default_configENS1_36segmented_radix_sort_config_selectorIilEEZNS1_25segmented_radix_sort_implIS3_Lb1EPKiPiPKlPlN2at6native12_GLOBAL__N_18offset_tEEE10hipError_tPvRmT1_PNSt15iterator_traitsISK_E10value_typeET2_T3_PNSL_ISQ_E10value_typeET4_jRbjT5_SW_jjP12ihipStream_tbEUlT_E1_NS1_11comp_targetILNS1_3genE0ELNS1_11target_archE4294967295ELNS1_3gpuE0ELNS1_3repE0EEENS1_59segmented_radix_sort_warp_sort_small_config_static_selectorELNS0_4arch9wavefront6targetE0EEEvSK_,comdat
.Lfunc_end513:
	.size	_ZN7rocprim17ROCPRIM_400000_NS6detail17trampoline_kernelINS0_14default_configENS1_36segmented_radix_sort_config_selectorIilEEZNS1_25segmented_radix_sort_implIS3_Lb1EPKiPiPKlPlN2at6native12_GLOBAL__N_18offset_tEEE10hipError_tPvRmT1_PNSt15iterator_traitsISK_E10value_typeET2_T3_PNSL_ISQ_E10value_typeET4_jRbjT5_SW_jjP12ihipStream_tbEUlT_E1_NS1_11comp_targetILNS1_3genE0ELNS1_11target_archE4294967295ELNS1_3gpuE0ELNS1_3repE0EEENS1_59segmented_radix_sort_warp_sort_small_config_static_selectorELNS0_4arch9wavefront6targetE0EEEvSK_, .Lfunc_end513-_ZN7rocprim17ROCPRIM_400000_NS6detail17trampoline_kernelINS0_14default_configENS1_36segmented_radix_sort_config_selectorIilEEZNS1_25segmented_radix_sort_implIS3_Lb1EPKiPiPKlPlN2at6native12_GLOBAL__N_18offset_tEEE10hipError_tPvRmT1_PNSt15iterator_traitsISK_E10value_typeET2_T3_PNSL_ISQ_E10value_typeET4_jRbjT5_SW_jjP12ihipStream_tbEUlT_E1_NS1_11comp_targetILNS1_3genE0ELNS1_11target_archE4294967295ELNS1_3gpuE0ELNS1_3repE0EEENS1_59segmented_radix_sort_warp_sort_small_config_static_selectorELNS0_4arch9wavefront6targetE0EEEvSK_
                                        ; -- End function
	.set _ZN7rocprim17ROCPRIM_400000_NS6detail17trampoline_kernelINS0_14default_configENS1_36segmented_radix_sort_config_selectorIilEEZNS1_25segmented_radix_sort_implIS3_Lb1EPKiPiPKlPlN2at6native12_GLOBAL__N_18offset_tEEE10hipError_tPvRmT1_PNSt15iterator_traitsISK_E10value_typeET2_T3_PNSL_ISQ_E10value_typeET4_jRbjT5_SW_jjP12ihipStream_tbEUlT_E1_NS1_11comp_targetILNS1_3genE0ELNS1_11target_archE4294967295ELNS1_3gpuE0ELNS1_3repE0EEENS1_59segmented_radix_sort_warp_sort_small_config_static_selectorELNS0_4arch9wavefront6targetE0EEEvSK_.num_vgpr, 0
	.set _ZN7rocprim17ROCPRIM_400000_NS6detail17trampoline_kernelINS0_14default_configENS1_36segmented_radix_sort_config_selectorIilEEZNS1_25segmented_radix_sort_implIS3_Lb1EPKiPiPKlPlN2at6native12_GLOBAL__N_18offset_tEEE10hipError_tPvRmT1_PNSt15iterator_traitsISK_E10value_typeET2_T3_PNSL_ISQ_E10value_typeET4_jRbjT5_SW_jjP12ihipStream_tbEUlT_E1_NS1_11comp_targetILNS1_3genE0ELNS1_11target_archE4294967295ELNS1_3gpuE0ELNS1_3repE0EEENS1_59segmented_radix_sort_warp_sort_small_config_static_selectorELNS0_4arch9wavefront6targetE0EEEvSK_.num_agpr, 0
	.set _ZN7rocprim17ROCPRIM_400000_NS6detail17trampoline_kernelINS0_14default_configENS1_36segmented_radix_sort_config_selectorIilEEZNS1_25segmented_radix_sort_implIS3_Lb1EPKiPiPKlPlN2at6native12_GLOBAL__N_18offset_tEEE10hipError_tPvRmT1_PNSt15iterator_traitsISK_E10value_typeET2_T3_PNSL_ISQ_E10value_typeET4_jRbjT5_SW_jjP12ihipStream_tbEUlT_E1_NS1_11comp_targetILNS1_3genE0ELNS1_11target_archE4294967295ELNS1_3gpuE0ELNS1_3repE0EEENS1_59segmented_radix_sort_warp_sort_small_config_static_selectorELNS0_4arch9wavefront6targetE0EEEvSK_.numbered_sgpr, 0
	.set _ZN7rocprim17ROCPRIM_400000_NS6detail17trampoline_kernelINS0_14default_configENS1_36segmented_radix_sort_config_selectorIilEEZNS1_25segmented_radix_sort_implIS3_Lb1EPKiPiPKlPlN2at6native12_GLOBAL__N_18offset_tEEE10hipError_tPvRmT1_PNSt15iterator_traitsISK_E10value_typeET2_T3_PNSL_ISQ_E10value_typeET4_jRbjT5_SW_jjP12ihipStream_tbEUlT_E1_NS1_11comp_targetILNS1_3genE0ELNS1_11target_archE4294967295ELNS1_3gpuE0ELNS1_3repE0EEENS1_59segmented_radix_sort_warp_sort_small_config_static_selectorELNS0_4arch9wavefront6targetE0EEEvSK_.num_named_barrier, 0
	.set _ZN7rocprim17ROCPRIM_400000_NS6detail17trampoline_kernelINS0_14default_configENS1_36segmented_radix_sort_config_selectorIilEEZNS1_25segmented_radix_sort_implIS3_Lb1EPKiPiPKlPlN2at6native12_GLOBAL__N_18offset_tEEE10hipError_tPvRmT1_PNSt15iterator_traitsISK_E10value_typeET2_T3_PNSL_ISQ_E10value_typeET4_jRbjT5_SW_jjP12ihipStream_tbEUlT_E1_NS1_11comp_targetILNS1_3genE0ELNS1_11target_archE4294967295ELNS1_3gpuE0ELNS1_3repE0EEENS1_59segmented_radix_sort_warp_sort_small_config_static_selectorELNS0_4arch9wavefront6targetE0EEEvSK_.private_seg_size, 0
	.set _ZN7rocprim17ROCPRIM_400000_NS6detail17trampoline_kernelINS0_14default_configENS1_36segmented_radix_sort_config_selectorIilEEZNS1_25segmented_radix_sort_implIS3_Lb1EPKiPiPKlPlN2at6native12_GLOBAL__N_18offset_tEEE10hipError_tPvRmT1_PNSt15iterator_traitsISK_E10value_typeET2_T3_PNSL_ISQ_E10value_typeET4_jRbjT5_SW_jjP12ihipStream_tbEUlT_E1_NS1_11comp_targetILNS1_3genE0ELNS1_11target_archE4294967295ELNS1_3gpuE0ELNS1_3repE0EEENS1_59segmented_radix_sort_warp_sort_small_config_static_selectorELNS0_4arch9wavefront6targetE0EEEvSK_.uses_vcc, 0
	.set _ZN7rocprim17ROCPRIM_400000_NS6detail17trampoline_kernelINS0_14default_configENS1_36segmented_radix_sort_config_selectorIilEEZNS1_25segmented_radix_sort_implIS3_Lb1EPKiPiPKlPlN2at6native12_GLOBAL__N_18offset_tEEE10hipError_tPvRmT1_PNSt15iterator_traitsISK_E10value_typeET2_T3_PNSL_ISQ_E10value_typeET4_jRbjT5_SW_jjP12ihipStream_tbEUlT_E1_NS1_11comp_targetILNS1_3genE0ELNS1_11target_archE4294967295ELNS1_3gpuE0ELNS1_3repE0EEENS1_59segmented_radix_sort_warp_sort_small_config_static_selectorELNS0_4arch9wavefront6targetE0EEEvSK_.uses_flat_scratch, 0
	.set _ZN7rocprim17ROCPRIM_400000_NS6detail17trampoline_kernelINS0_14default_configENS1_36segmented_radix_sort_config_selectorIilEEZNS1_25segmented_radix_sort_implIS3_Lb1EPKiPiPKlPlN2at6native12_GLOBAL__N_18offset_tEEE10hipError_tPvRmT1_PNSt15iterator_traitsISK_E10value_typeET2_T3_PNSL_ISQ_E10value_typeET4_jRbjT5_SW_jjP12ihipStream_tbEUlT_E1_NS1_11comp_targetILNS1_3genE0ELNS1_11target_archE4294967295ELNS1_3gpuE0ELNS1_3repE0EEENS1_59segmented_radix_sort_warp_sort_small_config_static_selectorELNS0_4arch9wavefront6targetE0EEEvSK_.has_dyn_sized_stack, 0
	.set _ZN7rocprim17ROCPRIM_400000_NS6detail17trampoline_kernelINS0_14default_configENS1_36segmented_radix_sort_config_selectorIilEEZNS1_25segmented_radix_sort_implIS3_Lb1EPKiPiPKlPlN2at6native12_GLOBAL__N_18offset_tEEE10hipError_tPvRmT1_PNSt15iterator_traitsISK_E10value_typeET2_T3_PNSL_ISQ_E10value_typeET4_jRbjT5_SW_jjP12ihipStream_tbEUlT_E1_NS1_11comp_targetILNS1_3genE0ELNS1_11target_archE4294967295ELNS1_3gpuE0ELNS1_3repE0EEENS1_59segmented_radix_sort_warp_sort_small_config_static_selectorELNS0_4arch9wavefront6targetE0EEEvSK_.has_recursion, 0
	.set _ZN7rocprim17ROCPRIM_400000_NS6detail17trampoline_kernelINS0_14default_configENS1_36segmented_radix_sort_config_selectorIilEEZNS1_25segmented_radix_sort_implIS3_Lb1EPKiPiPKlPlN2at6native12_GLOBAL__N_18offset_tEEE10hipError_tPvRmT1_PNSt15iterator_traitsISK_E10value_typeET2_T3_PNSL_ISQ_E10value_typeET4_jRbjT5_SW_jjP12ihipStream_tbEUlT_E1_NS1_11comp_targetILNS1_3genE0ELNS1_11target_archE4294967295ELNS1_3gpuE0ELNS1_3repE0EEENS1_59segmented_radix_sort_warp_sort_small_config_static_selectorELNS0_4arch9wavefront6targetE0EEEvSK_.has_indirect_call, 0
	.section	.AMDGPU.csdata,"",@progbits
; Kernel info:
; codeLenInByte = 0
; TotalNumSgprs: 0
; NumVgprs: 0
; ScratchSize: 0
; MemoryBound: 0
; FloatMode: 240
; IeeeMode: 1
; LDSByteSize: 0 bytes/workgroup (compile time only)
; SGPRBlocks: 0
; VGPRBlocks: 0
; NumSGPRsForWavesPerEU: 1
; NumVGPRsForWavesPerEU: 1
; Occupancy: 16
; WaveLimiterHint : 0
; COMPUTE_PGM_RSRC2:SCRATCH_EN: 0
; COMPUTE_PGM_RSRC2:USER_SGPR: 6
; COMPUTE_PGM_RSRC2:TRAP_HANDLER: 0
; COMPUTE_PGM_RSRC2:TGID_X_EN: 1
; COMPUTE_PGM_RSRC2:TGID_Y_EN: 0
; COMPUTE_PGM_RSRC2:TGID_Z_EN: 0
; COMPUTE_PGM_RSRC2:TIDIG_COMP_CNT: 0
	.section	.text._ZN7rocprim17ROCPRIM_400000_NS6detail17trampoline_kernelINS0_14default_configENS1_36segmented_radix_sort_config_selectorIilEEZNS1_25segmented_radix_sort_implIS3_Lb1EPKiPiPKlPlN2at6native12_GLOBAL__N_18offset_tEEE10hipError_tPvRmT1_PNSt15iterator_traitsISK_E10value_typeET2_T3_PNSL_ISQ_E10value_typeET4_jRbjT5_SW_jjP12ihipStream_tbEUlT_E1_NS1_11comp_targetILNS1_3genE5ELNS1_11target_archE942ELNS1_3gpuE9ELNS1_3repE0EEENS1_59segmented_radix_sort_warp_sort_small_config_static_selectorELNS0_4arch9wavefront6targetE0EEEvSK_,"axG",@progbits,_ZN7rocprim17ROCPRIM_400000_NS6detail17trampoline_kernelINS0_14default_configENS1_36segmented_radix_sort_config_selectorIilEEZNS1_25segmented_radix_sort_implIS3_Lb1EPKiPiPKlPlN2at6native12_GLOBAL__N_18offset_tEEE10hipError_tPvRmT1_PNSt15iterator_traitsISK_E10value_typeET2_T3_PNSL_ISQ_E10value_typeET4_jRbjT5_SW_jjP12ihipStream_tbEUlT_E1_NS1_11comp_targetILNS1_3genE5ELNS1_11target_archE942ELNS1_3gpuE9ELNS1_3repE0EEENS1_59segmented_radix_sort_warp_sort_small_config_static_selectorELNS0_4arch9wavefront6targetE0EEEvSK_,comdat
	.globl	_ZN7rocprim17ROCPRIM_400000_NS6detail17trampoline_kernelINS0_14default_configENS1_36segmented_radix_sort_config_selectorIilEEZNS1_25segmented_radix_sort_implIS3_Lb1EPKiPiPKlPlN2at6native12_GLOBAL__N_18offset_tEEE10hipError_tPvRmT1_PNSt15iterator_traitsISK_E10value_typeET2_T3_PNSL_ISQ_E10value_typeET4_jRbjT5_SW_jjP12ihipStream_tbEUlT_E1_NS1_11comp_targetILNS1_3genE5ELNS1_11target_archE942ELNS1_3gpuE9ELNS1_3repE0EEENS1_59segmented_radix_sort_warp_sort_small_config_static_selectorELNS0_4arch9wavefront6targetE0EEEvSK_ ; -- Begin function _ZN7rocprim17ROCPRIM_400000_NS6detail17trampoline_kernelINS0_14default_configENS1_36segmented_radix_sort_config_selectorIilEEZNS1_25segmented_radix_sort_implIS3_Lb1EPKiPiPKlPlN2at6native12_GLOBAL__N_18offset_tEEE10hipError_tPvRmT1_PNSt15iterator_traitsISK_E10value_typeET2_T3_PNSL_ISQ_E10value_typeET4_jRbjT5_SW_jjP12ihipStream_tbEUlT_E1_NS1_11comp_targetILNS1_3genE5ELNS1_11target_archE942ELNS1_3gpuE9ELNS1_3repE0EEENS1_59segmented_radix_sort_warp_sort_small_config_static_selectorELNS0_4arch9wavefront6targetE0EEEvSK_
	.p2align	8
	.type	_ZN7rocprim17ROCPRIM_400000_NS6detail17trampoline_kernelINS0_14default_configENS1_36segmented_radix_sort_config_selectorIilEEZNS1_25segmented_radix_sort_implIS3_Lb1EPKiPiPKlPlN2at6native12_GLOBAL__N_18offset_tEEE10hipError_tPvRmT1_PNSt15iterator_traitsISK_E10value_typeET2_T3_PNSL_ISQ_E10value_typeET4_jRbjT5_SW_jjP12ihipStream_tbEUlT_E1_NS1_11comp_targetILNS1_3genE5ELNS1_11target_archE942ELNS1_3gpuE9ELNS1_3repE0EEENS1_59segmented_radix_sort_warp_sort_small_config_static_selectorELNS0_4arch9wavefront6targetE0EEEvSK_,@function
_ZN7rocprim17ROCPRIM_400000_NS6detail17trampoline_kernelINS0_14default_configENS1_36segmented_radix_sort_config_selectorIilEEZNS1_25segmented_radix_sort_implIS3_Lb1EPKiPiPKlPlN2at6native12_GLOBAL__N_18offset_tEEE10hipError_tPvRmT1_PNSt15iterator_traitsISK_E10value_typeET2_T3_PNSL_ISQ_E10value_typeET4_jRbjT5_SW_jjP12ihipStream_tbEUlT_E1_NS1_11comp_targetILNS1_3genE5ELNS1_11target_archE942ELNS1_3gpuE9ELNS1_3repE0EEENS1_59segmented_radix_sort_warp_sort_small_config_static_selectorELNS0_4arch9wavefront6targetE0EEEvSK_: ; @_ZN7rocprim17ROCPRIM_400000_NS6detail17trampoline_kernelINS0_14default_configENS1_36segmented_radix_sort_config_selectorIilEEZNS1_25segmented_radix_sort_implIS3_Lb1EPKiPiPKlPlN2at6native12_GLOBAL__N_18offset_tEEE10hipError_tPvRmT1_PNSt15iterator_traitsISK_E10value_typeET2_T3_PNSL_ISQ_E10value_typeET4_jRbjT5_SW_jjP12ihipStream_tbEUlT_E1_NS1_11comp_targetILNS1_3genE5ELNS1_11target_archE942ELNS1_3gpuE9ELNS1_3repE0EEENS1_59segmented_radix_sort_warp_sort_small_config_static_selectorELNS0_4arch9wavefront6targetE0EEEvSK_
; %bb.0:
	.section	.rodata,"a",@progbits
	.p2align	6, 0x0
	.amdhsa_kernel _ZN7rocprim17ROCPRIM_400000_NS6detail17trampoline_kernelINS0_14default_configENS1_36segmented_radix_sort_config_selectorIilEEZNS1_25segmented_radix_sort_implIS3_Lb1EPKiPiPKlPlN2at6native12_GLOBAL__N_18offset_tEEE10hipError_tPvRmT1_PNSt15iterator_traitsISK_E10value_typeET2_T3_PNSL_ISQ_E10value_typeET4_jRbjT5_SW_jjP12ihipStream_tbEUlT_E1_NS1_11comp_targetILNS1_3genE5ELNS1_11target_archE942ELNS1_3gpuE9ELNS1_3repE0EEENS1_59segmented_radix_sort_warp_sort_small_config_static_selectorELNS0_4arch9wavefront6targetE0EEEvSK_
		.amdhsa_group_segment_fixed_size 0
		.amdhsa_private_segment_fixed_size 0
		.amdhsa_kernarg_size 88
		.amdhsa_user_sgpr_count 6
		.amdhsa_user_sgpr_private_segment_buffer 1
		.amdhsa_user_sgpr_dispatch_ptr 0
		.amdhsa_user_sgpr_queue_ptr 0
		.amdhsa_user_sgpr_kernarg_segment_ptr 1
		.amdhsa_user_sgpr_dispatch_id 0
		.amdhsa_user_sgpr_flat_scratch_init 0
		.amdhsa_user_sgpr_private_segment_size 0
		.amdhsa_wavefront_size32 1
		.amdhsa_uses_dynamic_stack 0
		.amdhsa_system_sgpr_private_segment_wavefront_offset 0
		.amdhsa_system_sgpr_workgroup_id_x 1
		.amdhsa_system_sgpr_workgroup_id_y 0
		.amdhsa_system_sgpr_workgroup_id_z 0
		.amdhsa_system_sgpr_workgroup_info 0
		.amdhsa_system_vgpr_workitem_id 0
		.amdhsa_next_free_vgpr 1
		.amdhsa_next_free_sgpr 1
		.amdhsa_reserve_vcc 0
		.amdhsa_reserve_flat_scratch 0
		.amdhsa_float_round_mode_32 0
		.amdhsa_float_round_mode_16_64 0
		.amdhsa_float_denorm_mode_32 3
		.amdhsa_float_denorm_mode_16_64 3
		.amdhsa_dx10_clamp 1
		.amdhsa_ieee_mode 1
		.amdhsa_fp16_overflow 0
		.amdhsa_workgroup_processor_mode 1
		.amdhsa_memory_ordered 1
		.amdhsa_forward_progress 1
		.amdhsa_shared_vgpr_count 0
		.amdhsa_exception_fp_ieee_invalid_op 0
		.amdhsa_exception_fp_denorm_src 0
		.amdhsa_exception_fp_ieee_div_zero 0
		.amdhsa_exception_fp_ieee_overflow 0
		.amdhsa_exception_fp_ieee_underflow 0
		.amdhsa_exception_fp_ieee_inexact 0
		.amdhsa_exception_int_div_zero 0
	.end_amdhsa_kernel
	.section	.text._ZN7rocprim17ROCPRIM_400000_NS6detail17trampoline_kernelINS0_14default_configENS1_36segmented_radix_sort_config_selectorIilEEZNS1_25segmented_radix_sort_implIS3_Lb1EPKiPiPKlPlN2at6native12_GLOBAL__N_18offset_tEEE10hipError_tPvRmT1_PNSt15iterator_traitsISK_E10value_typeET2_T3_PNSL_ISQ_E10value_typeET4_jRbjT5_SW_jjP12ihipStream_tbEUlT_E1_NS1_11comp_targetILNS1_3genE5ELNS1_11target_archE942ELNS1_3gpuE9ELNS1_3repE0EEENS1_59segmented_radix_sort_warp_sort_small_config_static_selectorELNS0_4arch9wavefront6targetE0EEEvSK_,"axG",@progbits,_ZN7rocprim17ROCPRIM_400000_NS6detail17trampoline_kernelINS0_14default_configENS1_36segmented_radix_sort_config_selectorIilEEZNS1_25segmented_radix_sort_implIS3_Lb1EPKiPiPKlPlN2at6native12_GLOBAL__N_18offset_tEEE10hipError_tPvRmT1_PNSt15iterator_traitsISK_E10value_typeET2_T3_PNSL_ISQ_E10value_typeET4_jRbjT5_SW_jjP12ihipStream_tbEUlT_E1_NS1_11comp_targetILNS1_3genE5ELNS1_11target_archE942ELNS1_3gpuE9ELNS1_3repE0EEENS1_59segmented_radix_sort_warp_sort_small_config_static_selectorELNS0_4arch9wavefront6targetE0EEEvSK_,comdat
.Lfunc_end514:
	.size	_ZN7rocprim17ROCPRIM_400000_NS6detail17trampoline_kernelINS0_14default_configENS1_36segmented_radix_sort_config_selectorIilEEZNS1_25segmented_radix_sort_implIS3_Lb1EPKiPiPKlPlN2at6native12_GLOBAL__N_18offset_tEEE10hipError_tPvRmT1_PNSt15iterator_traitsISK_E10value_typeET2_T3_PNSL_ISQ_E10value_typeET4_jRbjT5_SW_jjP12ihipStream_tbEUlT_E1_NS1_11comp_targetILNS1_3genE5ELNS1_11target_archE942ELNS1_3gpuE9ELNS1_3repE0EEENS1_59segmented_radix_sort_warp_sort_small_config_static_selectorELNS0_4arch9wavefront6targetE0EEEvSK_, .Lfunc_end514-_ZN7rocprim17ROCPRIM_400000_NS6detail17trampoline_kernelINS0_14default_configENS1_36segmented_radix_sort_config_selectorIilEEZNS1_25segmented_radix_sort_implIS3_Lb1EPKiPiPKlPlN2at6native12_GLOBAL__N_18offset_tEEE10hipError_tPvRmT1_PNSt15iterator_traitsISK_E10value_typeET2_T3_PNSL_ISQ_E10value_typeET4_jRbjT5_SW_jjP12ihipStream_tbEUlT_E1_NS1_11comp_targetILNS1_3genE5ELNS1_11target_archE942ELNS1_3gpuE9ELNS1_3repE0EEENS1_59segmented_radix_sort_warp_sort_small_config_static_selectorELNS0_4arch9wavefront6targetE0EEEvSK_
                                        ; -- End function
	.set _ZN7rocprim17ROCPRIM_400000_NS6detail17trampoline_kernelINS0_14default_configENS1_36segmented_radix_sort_config_selectorIilEEZNS1_25segmented_radix_sort_implIS3_Lb1EPKiPiPKlPlN2at6native12_GLOBAL__N_18offset_tEEE10hipError_tPvRmT1_PNSt15iterator_traitsISK_E10value_typeET2_T3_PNSL_ISQ_E10value_typeET4_jRbjT5_SW_jjP12ihipStream_tbEUlT_E1_NS1_11comp_targetILNS1_3genE5ELNS1_11target_archE942ELNS1_3gpuE9ELNS1_3repE0EEENS1_59segmented_radix_sort_warp_sort_small_config_static_selectorELNS0_4arch9wavefront6targetE0EEEvSK_.num_vgpr, 0
	.set _ZN7rocprim17ROCPRIM_400000_NS6detail17trampoline_kernelINS0_14default_configENS1_36segmented_radix_sort_config_selectorIilEEZNS1_25segmented_radix_sort_implIS3_Lb1EPKiPiPKlPlN2at6native12_GLOBAL__N_18offset_tEEE10hipError_tPvRmT1_PNSt15iterator_traitsISK_E10value_typeET2_T3_PNSL_ISQ_E10value_typeET4_jRbjT5_SW_jjP12ihipStream_tbEUlT_E1_NS1_11comp_targetILNS1_3genE5ELNS1_11target_archE942ELNS1_3gpuE9ELNS1_3repE0EEENS1_59segmented_radix_sort_warp_sort_small_config_static_selectorELNS0_4arch9wavefront6targetE0EEEvSK_.num_agpr, 0
	.set _ZN7rocprim17ROCPRIM_400000_NS6detail17trampoline_kernelINS0_14default_configENS1_36segmented_radix_sort_config_selectorIilEEZNS1_25segmented_radix_sort_implIS3_Lb1EPKiPiPKlPlN2at6native12_GLOBAL__N_18offset_tEEE10hipError_tPvRmT1_PNSt15iterator_traitsISK_E10value_typeET2_T3_PNSL_ISQ_E10value_typeET4_jRbjT5_SW_jjP12ihipStream_tbEUlT_E1_NS1_11comp_targetILNS1_3genE5ELNS1_11target_archE942ELNS1_3gpuE9ELNS1_3repE0EEENS1_59segmented_radix_sort_warp_sort_small_config_static_selectorELNS0_4arch9wavefront6targetE0EEEvSK_.numbered_sgpr, 0
	.set _ZN7rocprim17ROCPRIM_400000_NS6detail17trampoline_kernelINS0_14default_configENS1_36segmented_radix_sort_config_selectorIilEEZNS1_25segmented_radix_sort_implIS3_Lb1EPKiPiPKlPlN2at6native12_GLOBAL__N_18offset_tEEE10hipError_tPvRmT1_PNSt15iterator_traitsISK_E10value_typeET2_T3_PNSL_ISQ_E10value_typeET4_jRbjT5_SW_jjP12ihipStream_tbEUlT_E1_NS1_11comp_targetILNS1_3genE5ELNS1_11target_archE942ELNS1_3gpuE9ELNS1_3repE0EEENS1_59segmented_radix_sort_warp_sort_small_config_static_selectorELNS0_4arch9wavefront6targetE0EEEvSK_.num_named_barrier, 0
	.set _ZN7rocprim17ROCPRIM_400000_NS6detail17trampoline_kernelINS0_14default_configENS1_36segmented_radix_sort_config_selectorIilEEZNS1_25segmented_radix_sort_implIS3_Lb1EPKiPiPKlPlN2at6native12_GLOBAL__N_18offset_tEEE10hipError_tPvRmT1_PNSt15iterator_traitsISK_E10value_typeET2_T3_PNSL_ISQ_E10value_typeET4_jRbjT5_SW_jjP12ihipStream_tbEUlT_E1_NS1_11comp_targetILNS1_3genE5ELNS1_11target_archE942ELNS1_3gpuE9ELNS1_3repE0EEENS1_59segmented_radix_sort_warp_sort_small_config_static_selectorELNS0_4arch9wavefront6targetE0EEEvSK_.private_seg_size, 0
	.set _ZN7rocprim17ROCPRIM_400000_NS6detail17trampoline_kernelINS0_14default_configENS1_36segmented_radix_sort_config_selectorIilEEZNS1_25segmented_radix_sort_implIS3_Lb1EPKiPiPKlPlN2at6native12_GLOBAL__N_18offset_tEEE10hipError_tPvRmT1_PNSt15iterator_traitsISK_E10value_typeET2_T3_PNSL_ISQ_E10value_typeET4_jRbjT5_SW_jjP12ihipStream_tbEUlT_E1_NS1_11comp_targetILNS1_3genE5ELNS1_11target_archE942ELNS1_3gpuE9ELNS1_3repE0EEENS1_59segmented_radix_sort_warp_sort_small_config_static_selectorELNS0_4arch9wavefront6targetE0EEEvSK_.uses_vcc, 0
	.set _ZN7rocprim17ROCPRIM_400000_NS6detail17trampoline_kernelINS0_14default_configENS1_36segmented_radix_sort_config_selectorIilEEZNS1_25segmented_radix_sort_implIS3_Lb1EPKiPiPKlPlN2at6native12_GLOBAL__N_18offset_tEEE10hipError_tPvRmT1_PNSt15iterator_traitsISK_E10value_typeET2_T3_PNSL_ISQ_E10value_typeET4_jRbjT5_SW_jjP12ihipStream_tbEUlT_E1_NS1_11comp_targetILNS1_3genE5ELNS1_11target_archE942ELNS1_3gpuE9ELNS1_3repE0EEENS1_59segmented_radix_sort_warp_sort_small_config_static_selectorELNS0_4arch9wavefront6targetE0EEEvSK_.uses_flat_scratch, 0
	.set _ZN7rocprim17ROCPRIM_400000_NS6detail17trampoline_kernelINS0_14default_configENS1_36segmented_radix_sort_config_selectorIilEEZNS1_25segmented_radix_sort_implIS3_Lb1EPKiPiPKlPlN2at6native12_GLOBAL__N_18offset_tEEE10hipError_tPvRmT1_PNSt15iterator_traitsISK_E10value_typeET2_T3_PNSL_ISQ_E10value_typeET4_jRbjT5_SW_jjP12ihipStream_tbEUlT_E1_NS1_11comp_targetILNS1_3genE5ELNS1_11target_archE942ELNS1_3gpuE9ELNS1_3repE0EEENS1_59segmented_radix_sort_warp_sort_small_config_static_selectorELNS0_4arch9wavefront6targetE0EEEvSK_.has_dyn_sized_stack, 0
	.set _ZN7rocprim17ROCPRIM_400000_NS6detail17trampoline_kernelINS0_14default_configENS1_36segmented_radix_sort_config_selectorIilEEZNS1_25segmented_radix_sort_implIS3_Lb1EPKiPiPKlPlN2at6native12_GLOBAL__N_18offset_tEEE10hipError_tPvRmT1_PNSt15iterator_traitsISK_E10value_typeET2_T3_PNSL_ISQ_E10value_typeET4_jRbjT5_SW_jjP12ihipStream_tbEUlT_E1_NS1_11comp_targetILNS1_3genE5ELNS1_11target_archE942ELNS1_3gpuE9ELNS1_3repE0EEENS1_59segmented_radix_sort_warp_sort_small_config_static_selectorELNS0_4arch9wavefront6targetE0EEEvSK_.has_recursion, 0
	.set _ZN7rocprim17ROCPRIM_400000_NS6detail17trampoline_kernelINS0_14default_configENS1_36segmented_radix_sort_config_selectorIilEEZNS1_25segmented_radix_sort_implIS3_Lb1EPKiPiPKlPlN2at6native12_GLOBAL__N_18offset_tEEE10hipError_tPvRmT1_PNSt15iterator_traitsISK_E10value_typeET2_T3_PNSL_ISQ_E10value_typeET4_jRbjT5_SW_jjP12ihipStream_tbEUlT_E1_NS1_11comp_targetILNS1_3genE5ELNS1_11target_archE942ELNS1_3gpuE9ELNS1_3repE0EEENS1_59segmented_radix_sort_warp_sort_small_config_static_selectorELNS0_4arch9wavefront6targetE0EEEvSK_.has_indirect_call, 0
	.section	.AMDGPU.csdata,"",@progbits
; Kernel info:
; codeLenInByte = 0
; TotalNumSgprs: 0
; NumVgprs: 0
; ScratchSize: 0
; MemoryBound: 0
; FloatMode: 240
; IeeeMode: 1
; LDSByteSize: 0 bytes/workgroup (compile time only)
; SGPRBlocks: 0
; VGPRBlocks: 0
; NumSGPRsForWavesPerEU: 1
; NumVGPRsForWavesPerEU: 1
; Occupancy: 16
; WaveLimiterHint : 0
; COMPUTE_PGM_RSRC2:SCRATCH_EN: 0
; COMPUTE_PGM_RSRC2:USER_SGPR: 6
; COMPUTE_PGM_RSRC2:TRAP_HANDLER: 0
; COMPUTE_PGM_RSRC2:TGID_X_EN: 1
; COMPUTE_PGM_RSRC2:TGID_Y_EN: 0
; COMPUTE_PGM_RSRC2:TGID_Z_EN: 0
; COMPUTE_PGM_RSRC2:TIDIG_COMP_CNT: 0
	.section	.text._ZN7rocprim17ROCPRIM_400000_NS6detail17trampoline_kernelINS0_14default_configENS1_36segmented_radix_sort_config_selectorIilEEZNS1_25segmented_radix_sort_implIS3_Lb1EPKiPiPKlPlN2at6native12_GLOBAL__N_18offset_tEEE10hipError_tPvRmT1_PNSt15iterator_traitsISK_E10value_typeET2_T3_PNSL_ISQ_E10value_typeET4_jRbjT5_SW_jjP12ihipStream_tbEUlT_E1_NS1_11comp_targetILNS1_3genE4ELNS1_11target_archE910ELNS1_3gpuE8ELNS1_3repE0EEENS1_59segmented_radix_sort_warp_sort_small_config_static_selectorELNS0_4arch9wavefront6targetE0EEEvSK_,"axG",@progbits,_ZN7rocprim17ROCPRIM_400000_NS6detail17trampoline_kernelINS0_14default_configENS1_36segmented_radix_sort_config_selectorIilEEZNS1_25segmented_radix_sort_implIS3_Lb1EPKiPiPKlPlN2at6native12_GLOBAL__N_18offset_tEEE10hipError_tPvRmT1_PNSt15iterator_traitsISK_E10value_typeET2_T3_PNSL_ISQ_E10value_typeET4_jRbjT5_SW_jjP12ihipStream_tbEUlT_E1_NS1_11comp_targetILNS1_3genE4ELNS1_11target_archE910ELNS1_3gpuE8ELNS1_3repE0EEENS1_59segmented_radix_sort_warp_sort_small_config_static_selectorELNS0_4arch9wavefront6targetE0EEEvSK_,comdat
	.globl	_ZN7rocprim17ROCPRIM_400000_NS6detail17trampoline_kernelINS0_14default_configENS1_36segmented_radix_sort_config_selectorIilEEZNS1_25segmented_radix_sort_implIS3_Lb1EPKiPiPKlPlN2at6native12_GLOBAL__N_18offset_tEEE10hipError_tPvRmT1_PNSt15iterator_traitsISK_E10value_typeET2_T3_PNSL_ISQ_E10value_typeET4_jRbjT5_SW_jjP12ihipStream_tbEUlT_E1_NS1_11comp_targetILNS1_3genE4ELNS1_11target_archE910ELNS1_3gpuE8ELNS1_3repE0EEENS1_59segmented_radix_sort_warp_sort_small_config_static_selectorELNS0_4arch9wavefront6targetE0EEEvSK_ ; -- Begin function _ZN7rocprim17ROCPRIM_400000_NS6detail17trampoline_kernelINS0_14default_configENS1_36segmented_radix_sort_config_selectorIilEEZNS1_25segmented_radix_sort_implIS3_Lb1EPKiPiPKlPlN2at6native12_GLOBAL__N_18offset_tEEE10hipError_tPvRmT1_PNSt15iterator_traitsISK_E10value_typeET2_T3_PNSL_ISQ_E10value_typeET4_jRbjT5_SW_jjP12ihipStream_tbEUlT_E1_NS1_11comp_targetILNS1_3genE4ELNS1_11target_archE910ELNS1_3gpuE8ELNS1_3repE0EEENS1_59segmented_radix_sort_warp_sort_small_config_static_selectorELNS0_4arch9wavefront6targetE0EEEvSK_
	.p2align	8
	.type	_ZN7rocprim17ROCPRIM_400000_NS6detail17trampoline_kernelINS0_14default_configENS1_36segmented_radix_sort_config_selectorIilEEZNS1_25segmented_radix_sort_implIS3_Lb1EPKiPiPKlPlN2at6native12_GLOBAL__N_18offset_tEEE10hipError_tPvRmT1_PNSt15iterator_traitsISK_E10value_typeET2_T3_PNSL_ISQ_E10value_typeET4_jRbjT5_SW_jjP12ihipStream_tbEUlT_E1_NS1_11comp_targetILNS1_3genE4ELNS1_11target_archE910ELNS1_3gpuE8ELNS1_3repE0EEENS1_59segmented_radix_sort_warp_sort_small_config_static_selectorELNS0_4arch9wavefront6targetE0EEEvSK_,@function
_ZN7rocprim17ROCPRIM_400000_NS6detail17trampoline_kernelINS0_14default_configENS1_36segmented_radix_sort_config_selectorIilEEZNS1_25segmented_radix_sort_implIS3_Lb1EPKiPiPKlPlN2at6native12_GLOBAL__N_18offset_tEEE10hipError_tPvRmT1_PNSt15iterator_traitsISK_E10value_typeET2_T3_PNSL_ISQ_E10value_typeET4_jRbjT5_SW_jjP12ihipStream_tbEUlT_E1_NS1_11comp_targetILNS1_3genE4ELNS1_11target_archE910ELNS1_3gpuE8ELNS1_3repE0EEENS1_59segmented_radix_sort_warp_sort_small_config_static_selectorELNS0_4arch9wavefront6targetE0EEEvSK_: ; @_ZN7rocprim17ROCPRIM_400000_NS6detail17trampoline_kernelINS0_14default_configENS1_36segmented_radix_sort_config_selectorIilEEZNS1_25segmented_radix_sort_implIS3_Lb1EPKiPiPKlPlN2at6native12_GLOBAL__N_18offset_tEEE10hipError_tPvRmT1_PNSt15iterator_traitsISK_E10value_typeET2_T3_PNSL_ISQ_E10value_typeET4_jRbjT5_SW_jjP12ihipStream_tbEUlT_E1_NS1_11comp_targetILNS1_3genE4ELNS1_11target_archE910ELNS1_3gpuE8ELNS1_3repE0EEENS1_59segmented_radix_sort_warp_sort_small_config_static_selectorELNS0_4arch9wavefront6targetE0EEEvSK_
; %bb.0:
	.section	.rodata,"a",@progbits
	.p2align	6, 0x0
	.amdhsa_kernel _ZN7rocprim17ROCPRIM_400000_NS6detail17trampoline_kernelINS0_14default_configENS1_36segmented_radix_sort_config_selectorIilEEZNS1_25segmented_radix_sort_implIS3_Lb1EPKiPiPKlPlN2at6native12_GLOBAL__N_18offset_tEEE10hipError_tPvRmT1_PNSt15iterator_traitsISK_E10value_typeET2_T3_PNSL_ISQ_E10value_typeET4_jRbjT5_SW_jjP12ihipStream_tbEUlT_E1_NS1_11comp_targetILNS1_3genE4ELNS1_11target_archE910ELNS1_3gpuE8ELNS1_3repE0EEENS1_59segmented_radix_sort_warp_sort_small_config_static_selectorELNS0_4arch9wavefront6targetE0EEEvSK_
		.amdhsa_group_segment_fixed_size 0
		.amdhsa_private_segment_fixed_size 0
		.amdhsa_kernarg_size 88
		.amdhsa_user_sgpr_count 6
		.amdhsa_user_sgpr_private_segment_buffer 1
		.amdhsa_user_sgpr_dispatch_ptr 0
		.amdhsa_user_sgpr_queue_ptr 0
		.amdhsa_user_sgpr_kernarg_segment_ptr 1
		.amdhsa_user_sgpr_dispatch_id 0
		.amdhsa_user_sgpr_flat_scratch_init 0
		.amdhsa_user_sgpr_private_segment_size 0
		.amdhsa_wavefront_size32 1
		.amdhsa_uses_dynamic_stack 0
		.amdhsa_system_sgpr_private_segment_wavefront_offset 0
		.amdhsa_system_sgpr_workgroup_id_x 1
		.amdhsa_system_sgpr_workgroup_id_y 0
		.amdhsa_system_sgpr_workgroup_id_z 0
		.amdhsa_system_sgpr_workgroup_info 0
		.amdhsa_system_vgpr_workitem_id 0
		.amdhsa_next_free_vgpr 1
		.amdhsa_next_free_sgpr 1
		.amdhsa_reserve_vcc 0
		.amdhsa_reserve_flat_scratch 0
		.amdhsa_float_round_mode_32 0
		.amdhsa_float_round_mode_16_64 0
		.amdhsa_float_denorm_mode_32 3
		.amdhsa_float_denorm_mode_16_64 3
		.amdhsa_dx10_clamp 1
		.amdhsa_ieee_mode 1
		.amdhsa_fp16_overflow 0
		.amdhsa_workgroup_processor_mode 1
		.amdhsa_memory_ordered 1
		.amdhsa_forward_progress 1
		.amdhsa_shared_vgpr_count 0
		.amdhsa_exception_fp_ieee_invalid_op 0
		.amdhsa_exception_fp_denorm_src 0
		.amdhsa_exception_fp_ieee_div_zero 0
		.amdhsa_exception_fp_ieee_overflow 0
		.amdhsa_exception_fp_ieee_underflow 0
		.amdhsa_exception_fp_ieee_inexact 0
		.amdhsa_exception_int_div_zero 0
	.end_amdhsa_kernel
	.section	.text._ZN7rocprim17ROCPRIM_400000_NS6detail17trampoline_kernelINS0_14default_configENS1_36segmented_radix_sort_config_selectorIilEEZNS1_25segmented_radix_sort_implIS3_Lb1EPKiPiPKlPlN2at6native12_GLOBAL__N_18offset_tEEE10hipError_tPvRmT1_PNSt15iterator_traitsISK_E10value_typeET2_T3_PNSL_ISQ_E10value_typeET4_jRbjT5_SW_jjP12ihipStream_tbEUlT_E1_NS1_11comp_targetILNS1_3genE4ELNS1_11target_archE910ELNS1_3gpuE8ELNS1_3repE0EEENS1_59segmented_radix_sort_warp_sort_small_config_static_selectorELNS0_4arch9wavefront6targetE0EEEvSK_,"axG",@progbits,_ZN7rocprim17ROCPRIM_400000_NS6detail17trampoline_kernelINS0_14default_configENS1_36segmented_radix_sort_config_selectorIilEEZNS1_25segmented_radix_sort_implIS3_Lb1EPKiPiPKlPlN2at6native12_GLOBAL__N_18offset_tEEE10hipError_tPvRmT1_PNSt15iterator_traitsISK_E10value_typeET2_T3_PNSL_ISQ_E10value_typeET4_jRbjT5_SW_jjP12ihipStream_tbEUlT_E1_NS1_11comp_targetILNS1_3genE4ELNS1_11target_archE910ELNS1_3gpuE8ELNS1_3repE0EEENS1_59segmented_radix_sort_warp_sort_small_config_static_selectorELNS0_4arch9wavefront6targetE0EEEvSK_,comdat
.Lfunc_end515:
	.size	_ZN7rocprim17ROCPRIM_400000_NS6detail17trampoline_kernelINS0_14default_configENS1_36segmented_radix_sort_config_selectorIilEEZNS1_25segmented_radix_sort_implIS3_Lb1EPKiPiPKlPlN2at6native12_GLOBAL__N_18offset_tEEE10hipError_tPvRmT1_PNSt15iterator_traitsISK_E10value_typeET2_T3_PNSL_ISQ_E10value_typeET4_jRbjT5_SW_jjP12ihipStream_tbEUlT_E1_NS1_11comp_targetILNS1_3genE4ELNS1_11target_archE910ELNS1_3gpuE8ELNS1_3repE0EEENS1_59segmented_radix_sort_warp_sort_small_config_static_selectorELNS0_4arch9wavefront6targetE0EEEvSK_, .Lfunc_end515-_ZN7rocprim17ROCPRIM_400000_NS6detail17trampoline_kernelINS0_14default_configENS1_36segmented_radix_sort_config_selectorIilEEZNS1_25segmented_radix_sort_implIS3_Lb1EPKiPiPKlPlN2at6native12_GLOBAL__N_18offset_tEEE10hipError_tPvRmT1_PNSt15iterator_traitsISK_E10value_typeET2_T3_PNSL_ISQ_E10value_typeET4_jRbjT5_SW_jjP12ihipStream_tbEUlT_E1_NS1_11comp_targetILNS1_3genE4ELNS1_11target_archE910ELNS1_3gpuE8ELNS1_3repE0EEENS1_59segmented_radix_sort_warp_sort_small_config_static_selectorELNS0_4arch9wavefront6targetE0EEEvSK_
                                        ; -- End function
	.set _ZN7rocprim17ROCPRIM_400000_NS6detail17trampoline_kernelINS0_14default_configENS1_36segmented_radix_sort_config_selectorIilEEZNS1_25segmented_radix_sort_implIS3_Lb1EPKiPiPKlPlN2at6native12_GLOBAL__N_18offset_tEEE10hipError_tPvRmT1_PNSt15iterator_traitsISK_E10value_typeET2_T3_PNSL_ISQ_E10value_typeET4_jRbjT5_SW_jjP12ihipStream_tbEUlT_E1_NS1_11comp_targetILNS1_3genE4ELNS1_11target_archE910ELNS1_3gpuE8ELNS1_3repE0EEENS1_59segmented_radix_sort_warp_sort_small_config_static_selectorELNS0_4arch9wavefront6targetE0EEEvSK_.num_vgpr, 0
	.set _ZN7rocprim17ROCPRIM_400000_NS6detail17trampoline_kernelINS0_14default_configENS1_36segmented_radix_sort_config_selectorIilEEZNS1_25segmented_radix_sort_implIS3_Lb1EPKiPiPKlPlN2at6native12_GLOBAL__N_18offset_tEEE10hipError_tPvRmT1_PNSt15iterator_traitsISK_E10value_typeET2_T3_PNSL_ISQ_E10value_typeET4_jRbjT5_SW_jjP12ihipStream_tbEUlT_E1_NS1_11comp_targetILNS1_3genE4ELNS1_11target_archE910ELNS1_3gpuE8ELNS1_3repE0EEENS1_59segmented_radix_sort_warp_sort_small_config_static_selectorELNS0_4arch9wavefront6targetE0EEEvSK_.num_agpr, 0
	.set _ZN7rocprim17ROCPRIM_400000_NS6detail17trampoline_kernelINS0_14default_configENS1_36segmented_radix_sort_config_selectorIilEEZNS1_25segmented_radix_sort_implIS3_Lb1EPKiPiPKlPlN2at6native12_GLOBAL__N_18offset_tEEE10hipError_tPvRmT1_PNSt15iterator_traitsISK_E10value_typeET2_T3_PNSL_ISQ_E10value_typeET4_jRbjT5_SW_jjP12ihipStream_tbEUlT_E1_NS1_11comp_targetILNS1_3genE4ELNS1_11target_archE910ELNS1_3gpuE8ELNS1_3repE0EEENS1_59segmented_radix_sort_warp_sort_small_config_static_selectorELNS0_4arch9wavefront6targetE0EEEvSK_.numbered_sgpr, 0
	.set _ZN7rocprim17ROCPRIM_400000_NS6detail17trampoline_kernelINS0_14default_configENS1_36segmented_radix_sort_config_selectorIilEEZNS1_25segmented_radix_sort_implIS3_Lb1EPKiPiPKlPlN2at6native12_GLOBAL__N_18offset_tEEE10hipError_tPvRmT1_PNSt15iterator_traitsISK_E10value_typeET2_T3_PNSL_ISQ_E10value_typeET4_jRbjT5_SW_jjP12ihipStream_tbEUlT_E1_NS1_11comp_targetILNS1_3genE4ELNS1_11target_archE910ELNS1_3gpuE8ELNS1_3repE0EEENS1_59segmented_radix_sort_warp_sort_small_config_static_selectorELNS0_4arch9wavefront6targetE0EEEvSK_.num_named_barrier, 0
	.set _ZN7rocprim17ROCPRIM_400000_NS6detail17trampoline_kernelINS0_14default_configENS1_36segmented_radix_sort_config_selectorIilEEZNS1_25segmented_radix_sort_implIS3_Lb1EPKiPiPKlPlN2at6native12_GLOBAL__N_18offset_tEEE10hipError_tPvRmT1_PNSt15iterator_traitsISK_E10value_typeET2_T3_PNSL_ISQ_E10value_typeET4_jRbjT5_SW_jjP12ihipStream_tbEUlT_E1_NS1_11comp_targetILNS1_3genE4ELNS1_11target_archE910ELNS1_3gpuE8ELNS1_3repE0EEENS1_59segmented_radix_sort_warp_sort_small_config_static_selectorELNS0_4arch9wavefront6targetE0EEEvSK_.private_seg_size, 0
	.set _ZN7rocprim17ROCPRIM_400000_NS6detail17trampoline_kernelINS0_14default_configENS1_36segmented_radix_sort_config_selectorIilEEZNS1_25segmented_radix_sort_implIS3_Lb1EPKiPiPKlPlN2at6native12_GLOBAL__N_18offset_tEEE10hipError_tPvRmT1_PNSt15iterator_traitsISK_E10value_typeET2_T3_PNSL_ISQ_E10value_typeET4_jRbjT5_SW_jjP12ihipStream_tbEUlT_E1_NS1_11comp_targetILNS1_3genE4ELNS1_11target_archE910ELNS1_3gpuE8ELNS1_3repE0EEENS1_59segmented_radix_sort_warp_sort_small_config_static_selectorELNS0_4arch9wavefront6targetE0EEEvSK_.uses_vcc, 0
	.set _ZN7rocprim17ROCPRIM_400000_NS6detail17trampoline_kernelINS0_14default_configENS1_36segmented_radix_sort_config_selectorIilEEZNS1_25segmented_radix_sort_implIS3_Lb1EPKiPiPKlPlN2at6native12_GLOBAL__N_18offset_tEEE10hipError_tPvRmT1_PNSt15iterator_traitsISK_E10value_typeET2_T3_PNSL_ISQ_E10value_typeET4_jRbjT5_SW_jjP12ihipStream_tbEUlT_E1_NS1_11comp_targetILNS1_3genE4ELNS1_11target_archE910ELNS1_3gpuE8ELNS1_3repE0EEENS1_59segmented_radix_sort_warp_sort_small_config_static_selectorELNS0_4arch9wavefront6targetE0EEEvSK_.uses_flat_scratch, 0
	.set _ZN7rocprim17ROCPRIM_400000_NS6detail17trampoline_kernelINS0_14default_configENS1_36segmented_radix_sort_config_selectorIilEEZNS1_25segmented_radix_sort_implIS3_Lb1EPKiPiPKlPlN2at6native12_GLOBAL__N_18offset_tEEE10hipError_tPvRmT1_PNSt15iterator_traitsISK_E10value_typeET2_T3_PNSL_ISQ_E10value_typeET4_jRbjT5_SW_jjP12ihipStream_tbEUlT_E1_NS1_11comp_targetILNS1_3genE4ELNS1_11target_archE910ELNS1_3gpuE8ELNS1_3repE0EEENS1_59segmented_radix_sort_warp_sort_small_config_static_selectorELNS0_4arch9wavefront6targetE0EEEvSK_.has_dyn_sized_stack, 0
	.set _ZN7rocprim17ROCPRIM_400000_NS6detail17trampoline_kernelINS0_14default_configENS1_36segmented_radix_sort_config_selectorIilEEZNS1_25segmented_radix_sort_implIS3_Lb1EPKiPiPKlPlN2at6native12_GLOBAL__N_18offset_tEEE10hipError_tPvRmT1_PNSt15iterator_traitsISK_E10value_typeET2_T3_PNSL_ISQ_E10value_typeET4_jRbjT5_SW_jjP12ihipStream_tbEUlT_E1_NS1_11comp_targetILNS1_3genE4ELNS1_11target_archE910ELNS1_3gpuE8ELNS1_3repE0EEENS1_59segmented_radix_sort_warp_sort_small_config_static_selectorELNS0_4arch9wavefront6targetE0EEEvSK_.has_recursion, 0
	.set _ZN7rocprim17ROCPRIM_400000_NS6detail17trampoline_kernelINS0_14default_configENS1_36segmented_radix_sort_config_selectorIilEEZNS1_25segmented_radix_sort_implIS3_Lb1EPKiPiPKlPlN2at6native12_GLOBAL__N_18offset_tEEE10hipError_tPvRmT1_PNSt15iterator_traitsISK_E10value_typeET2_T3_PNSL_ISQ_E10value_typeET4_jRbjT5_SW_jjP12ihipStream_tbEUlT_E1_NS1_11comp_targetILNS1_3genE4ELNS1_11target_archE910ELNS1_3gpuE8ELNS1_3repE0EEENS1_59segmented_radix_sort_warp_sort_small_config_static_selectorELNS0_4arch9wavefront6targetE0EEEvSK_.has_indirect_call, 0
	.section	.AMDGPU.csdata,"",@progbits
; Kernel info:
; codeLenInByte = 0
; TotalNumSgprs: 0
; NumVgprs: 0
; ScratchSize: 0
; MemoryBound: 0
; FloatMode: 240
; IeeeMode: 1
; LDSByteSize: 0 bytes/workgroup (compile time only)
; SGPRBlocks: 0
; VGPRBlocks: 0
; NumSGPRsForWavesPerEU: 1
; NumVGPRsForWavesPerEU: 1
; Occupancy: 16
; WaveLimiterHint : 0
; COMPUTE_PGM_RSRC2:SCRATCH_EN: 0
; COMPUTE_PGM_RSRC2:USER_SGPR: 6
; COMPUTE_PGM_RSRC2:TRAP_HANDLER: 0
; COMPUTE_PGM_RSRC2:TGID_X_EN: 1
; COMPUTE_PGM_RSRC2:TGID_Y_EN: 0
; COMPUTE_PGM_RSRC2:TGID_Z_EN: 0
; COMPUTE_PGM_RSRC2:TIDIG_COMP_CNT: 0
	.section	.text._ZN7rocprim17ROCPRIM_400000_NS6detail17trampoline_kernelINS0_14default_configENS1_36segmented_radix_sort_config_selectorIilEEZNS1_25segmented_radix_sort_implIS3_Lb1EPKiPiPKlPlN2at6native12_GLOBAL__N_18offset_tEEE10hipError_tPvRmT1_PNSt15iterator_traitsISK_E10value_typeET2_T3_PNSL_ISQ_E10value_typeET4_jRbjT5_SW_jjP12ihipStream_tbEUlT_E1_NS1_11comp_targetILNS1_3genE3ELNS1_11target_archE908ELNS1_3gpuE7ELNS1_3repE0EEENS1_59segmented_radix_sort_warp_sort_small_config_static_selectorELNS0_4arch9wavefront6targetE0EEEvSK_,"axG",@progbits,_ZN7rocprim17ROCPRIM_400000_NS6detail17trampoline_kernelINS0_14default_configENS1_36segmented_radix_sort_config_selectorIilEEZNS1_25segmented_radix_sort_implIS3_Lb1EPKiPiPKlPlN2at6native12_GLOBAL__N_18offset_tEEE10hipError_tPvRmT1_PNSt15iterator_traitsISK_E10value_typeET2_T3_PNSL_ISQ_E10value_typeET4_jRbjT5_SW_jjP12ihipStream_tbEUlT_E1_NS1_11comp_targetILNS1_3genE3ELNS1_11target_archE908ELNS1_3gpuE7ELNS1_3repE0EEENS1_59segmented_radix_sort_warp_sort_small_config_static_selectorELNS0_4arch9wavefront6targetE0EEEvSK_,comdat
	.globl	_ZN7rocprim17ROCPRIM_400000_NS6detail17trampoline_kernelINS0_14default_configENS1_36segmented_radix_sort_config_selectorIilEEZNS1_25segmented_radix_sort_implIS3_Lb1EPKiPiPKlPlN2at6native12_GLOBAL__N_18offset_tEEE10hipError_tPvRmT1_PNSt15iterator_traitsISK_E10value_typeET2_T3_PNSL_ISQ_E10value_typeET4_jRbjT5_SW_jjP12ihipStream_tbEUlT_E1_NS1_11comp_targetILNS1_3genE3ELNS1_11target_archE908ELNS1_3gpuE7ELNS1_3repE0EEENS1_59segmented_radix_sort_warp_sort_small_config_static_selectorELNS0_4arch9wavefront6targetE0EEEvSK_ ; -- Begin function _ZN7rocprim17ROCPRIM_400000_NS6detail17trampoline_kernelINS0_14default_configENS1_36segmented_radix_sort_config_selectorIilEEZNS1_25segmented_radix_sort_implIS3_Lb1EPKiPiPKlPlN2at6native12_GLOBAL__N_18offset_tEEE10hipError_tPvRmT1_PNSt15iterator_traitsISK_E10value_typeET2_T3_PNSL_ISQ_E10value_typeET4_jRbjT5_SW_jjP12ihipStream_tbEUlT_E1_NS1_11comp_targetILNS1_3genE3ELNS1_11target_archE908ELNS1_3gpuE7ELNS1_3repE0EEENS1_59segmented_radix_sort_warp_sort_small_config_static_selectorELNS0_4arch9wavefront6targetE0EEEvSK_
	.p2align	8
	.type	_ZN7rocprim17ROCPRIM_400000_NS6detail17trampoline_kernelINS0_14default_configENS1_36segmented_radix_sort_config_selectorIilEEZNS1_25segmented_radix_sort_implIS3_Lb1EPKiPiPKlPlN2at6native12_GLOBAL__N_18offset_tEEE10hipError_tPvRmT1_PNSt15iterator_traitsISK_E10value_typeET2_T3_PNSL_ISQ_E10value_typeET4_jRbjT5_SW_jjP12ihipStream_tbEUlT_E1_NS1_11comp_targetILNS1_3genE3ELNS1_11target_archE908ELNS1_3gpuE7ELNS1_3repE0EEENS1_59segmented_radix_sort_warp_sort_small_config_static_selectorELNS0_4arch9wavefront6targetE0EEEvSK_,@function
_ZN7rocprim17ROCPRIM_400000_NS6detail17trampoline_kernelINS0_14default_configENS1_36segmented_radix_sort_config_selectorIilEEZNS1_25segmented_radix_sort_implIS3_Lb1EPKiPiPKlPlN2at6native12_GLOBAL__N_18offset_tEEE10hipError_tPvRmT1_PNSt15iterator_traitsISK_E10value_typeET2_T3_PNSL_ISQ_E10value_typeET4_jRbjT5_SW_jjP12ihipStream_tbEUlT_E1_NS1_11comp_targetILNS1_3genE3ELNS1_11target_archE908ELNS1_3gpuE7ELNS1_3repE0EEENS1_59segmented_radix_sort_warp_sort_small_config_static_selectorELNS0_4arch9wavefront6targetE0EEEvSK_: ; @_ZN7rocprim17ROCPRIM_400000_NS6detail17trampoline_kernelINS0_14default_configENS1_36segmented_radix_sort_config_selectorIilEEZNS1_25segmented_radix_sort_implIS3_Lb1EPKiPiPKlPlN2at6native12_GLOBAL__N_18offset_tEEE10hipError_tPvRmT1_PNSt15iterator_traitsISK_E10value_typeET2_T3_PNSL_ISQ_E10value_typeET4_jRbjT5_SW_jjP12ihipStream_tbEUlT_E1_NS1_11comp_targetILNS1_3genE3ELNS1_11target_archE908ELNS1_3gpuE7ELNS1_3repE0EEENS1_59segmented_radix_sort_warp_sort_small_config_static_selectorELNS0_4arch9wavefront6targetE0EEEvSK_
; %bb.0:
	.section	.rodata,"a",@progbits
	.p2align	6, 0x0
	.amdhsa_kernel _ZN7rocprim17ROCPRIM_400000_NS6detail17trampoline_kernelINS0_14default_configENS1_36segmented_radix_sort_config_selectorIilEEZNS1_25segmented_radix_sort_implIS3_Lb1EPKiPiPKlPlN2at6native12_GLOBAL__N_18offset_tEEE10hipError_tPvRmT1_PNSt15iterator_traitsISK_E10value_typeET2_T3_PNSL_ISQ_E10value_typeET4_jRbjT5_SW_jjP12ihipStream_tbEUlT_E1_NS1_11comp_targetILNS1_3genE3ELNS1_11target_archE908ELNS1_3gpuE7ELNS1_3repE0EEENS1_59segmented_radix_sort_warp_sort_small_config_static_selectorELNS0_4arch9wavefront6targetE0EEEvSK_
		.amdhsa_group_segment_fixed_size 0
		.amdhsa_private_segment_fixed_size 0
		.amdhsa_kernarg_size 88
		.amdhsa_user_sgpr_count 6
		.amdhsa_user_sgpr_private_segment_buffer 1
		.amdhsa_user_sgpr_dispatch_ptr 0
		.amdhsa_user_sgpr_queue_ptr 0
		.amdhsa_user_sgpr_kernarg_segment_ptr 1
		.amdhsa_user_sgpr_dispatch_id 0
		.amdhsa_user_sgpr_flat_scratch_init 0
		.amdhsa_user_sgpr_private_segment_size 0
		.amdhsa_wavefront_size32 1
		.amdhsa_uses_dynamic_stack 0
		.amdhsa_system_sgpr_private_segment_wavefront_offset 0
		.amdhsa_system_sgpr_workgroup_id_x 1
		.amdhsa_system_sgpr_workgroup_id_y 0
		.amdhsa_system_sgpr_workgroup_id_z 0
		.amdhsa_system_sgpr_workgroup_info 0
		.amdhsa_system_vgpr_workitem_id 0
		.amdhsa_next_free_vgpr 1
		.amdhsa_next_free_sgpr 1
		.amdhsa_reserve_vcc 0
		.amdhsa_reserve_flat_scratch 0
		.amdhsa_float_round_mode_32 0
		.amdhsa_float_round_mode_16_64 0
		.amdhsa_float_denorm_mode_32 3
		.amdhsa_float_denorm_mode_16_64 3
		.amdhsa_dx10_clamp 1
		.amdhsa_ieee_mode 1
		.amdhsa_fp16_overflow 0
		.amdhsa_workgroup_processor_mode 1
		.amdhsa_memory_ordered 1
		.amdhsa_forward_progress 1
		.amdhsa_shared_vgpr_count 0
		.amdhsa_exception_fp_ieee_invalid_op 0
		.amdhsa_exception_fp_denorm_src 0
		.amdhsa_exception_fp_ieee_div_zero 0
		.amdhsa_exception_fp_ieee_overflow 0
		.amdhsa_exception_fp_ieee_underflow 0
		.amdhsa_exception_fp_ieee_inexact 0
		.amdhsa_exception_int_div_zero 0
	.end_amdhsa_kernel
	.section	.text._ZN7rocprim17ROCPRIM_400000_NS6detail17trampoline_kernelINS0_14default_configENS1_36segmented_radix_sort_config_selectorIilEEZNS1_25segmented_radix_sort_implIS3_Lb1EPKiPiPKlPlN2at6native12_GLOBAL__N_18offset_tEEE10hipError_tPvRmT1_PNSt15iterator_traitsISK_E10value_typeET2_T3_PNSL_ISQ_E10value_typeET4_jRbjT5_SW_jjP12ihipStream_tbEUlT_E1_NS1_11comp_targetILNS1_3genE3ELNS1_11target_archE908ELNS1_3gpuE7ELNS1_3repE0EEENS1_59segmented_radix_sort_warp_sort_small_config_static_selectorELNS0_4arch9wavefront6targetE0EEEvSK_,"axG",@progbits,_ZN7rocprim17ROCPRIM_400000_NS6detail17trampoline_kernelINS0_14default_configENS1_36segmented_radix_sort_config_selectorIilEEZNS1_25segmented_radix_sort_implIS3_Lb1EPKiPiPKlPlN2at6native12_GLOBAL__N_18offset_tEEE10hipError_tPvRmT1_PNSt15iterator_traitsISK_E10value_typeET2_T3_PNSL_ISQ_E10value_typeET4_jRbjT5_SW_jjP12ihipStream_tbEUlT_E1_NS1_11comp_targetILNS1_3genE3ELNS1_11target_archE908ELNS1_3gpuE7ELNS1_3repE0EEENS1_59segmented_radix_sort_warp_sort_small_config_static_selectorELNS0_4arch9wavefront6targetE0EEEvSK_,comdat
.Lfunc_end516:
	.size	_ZN7rocprim17ROCPRIM_400000_NS6detail17trampoline_kernelINS0_14default_configENS1_36segmented_radix_sort_config_selectorIilEEZNS1_25segmented_radix_sort_implIS3_Lb1EPKiPiPKlPlN2at6native12_GLOBAL__N_18offset_tEEE10hipError_tPvRmT1_PNSt15iterator_traitsISK_E10value_typeET2_T3_PNSL_ISQ_E10value_typeET4_jRbjT5_SW_jjP12ihipStream_tbEUlT_E1_NS1_11comp_targetILNS1_3genE3ELNS1_11target_archE908ELNS1_3gpuE7ELNS1_3repE0EEENS1_59segmented_radix_sort_warp_sort_small_config_static_selectorELNS0_4arch9wavefront6targetE0EEEvSK_, .Lfunc_end516-_ZN7rocprim17ROCPRIM_400000_NS6detail17trampoline_kernelINS0_14default_configENS1_36segmented_radix_sort_config_selectorIilEEZNS1_25segmented_radix_sort_implIS3_Lb1EPKiPiPKlPlN2at6native12_GLOBAL__N_18offset_tEEE10hipError_tPvRmT1_PNSt15iterator_traitsISK_E10value_typeET2_T3_PNSL_ISQ_E10value_typeET4_jRbjT5_SW_jjP12ihipStream_tbEUlT_E1_NS1_11comp_targetILNS1_3genE3ELNS1_11target_archE908ELNS1_3gpuE7ELNS1_3repE0EEENS1_59segmented_radix_sort_warp_sort_small_config_static_selectorELNS0_4arch9wavefront6targetE0EEEvSK_
                                        ; -- End function
	.set _ZN7rocprim17ROCPRIM_400000_NS6detail17trampoline_kernelINS0_14default_configENS1_36segmented_radix_sort_config_selectorIilEEZNS1_25segmented_radix_sort_implIS3_Lb1EPKiPiPKlPlN2at6native12_GLOBAL__N_18offset_tEEE10hipError_tPvRmT1_PNSt15iterator_traitsISK_E10value_typeET2_T3_PNSL_ISQ_E10value_typeET4_jRbjT5_SW_jjP12ihipStream_tbEUlT_E1_NS1_11comp_targetILNS1_3genE3ELNS1_11target_archE908ELNS1_3gpuE7ELNS1_3repE0EEENS1_59segmented_radix_sort_warp_sort_small_config_static_selectorELNS0_4arch9wavefront6targetE0EEEvSK_.num_vgpr, 0
	.set _ZN7rocprim17ROCPRIM_400000_NS6detail17trampoline_kernelINS0_14default_configENS1_36segmented_radix_sort_config_selectorIilEEZNS1_25segmented_radix_sort_implIS3_Lb1EPKiPiPKlPlN2at6native12_GLOBAL__N_18offset_tEEE10hipError_tPvRmT1_PNSt15iterator_traitsISK_E10value_typeET2_T3_PNSL_ISQ_E10value_typeET4_jRbjT5_SW_jjP12ihipStream_tbEUlT_E1_NS1_11comp_targetILNS1_3genE3ELNS1_11target_archE908ELNS1_3gpuE7ELNS1_3repE0EEENS1_59segmented_radix_sort_warp_sort_small_config_static_selectorELNS0_4arch9wavefront6targetE0EEEvSK_.num_agpr, 0
	.set _ZN7rocprim17ROCPRIM_400000_NS6detail17trampoline_kernelINS0_14default_configENS1_36segmented_radix_sort_config_selectorIilEEZNS1_25segmented_radix_sort_implIS3_Lb1EPKiPiPKlPlN2at6native12_GLOBAL__N_18offset_tEEE10hipError_tPvRmT1_PNSt15iterator_traitsISK_E10value_typeET2_T3_PNSL_ISQ_E10value_typeET4_jRbjT5_SW_jjP12ihipStream_tbEUlT_E1_NS1_11comp_targetILNS1_3genE3ELNS1_11target_archE908ELNS1_3gpuE7ELNS1_3repE0EEENS1_59segmented_radix_sort_warp_sort_small_config_static_selectorELNS0_4arch9wavefront6targetE0EEEvSK_.numbered_sgpr, 0
	.set _ZN7rocprim17ROCPRIM_400000_NS6detail17trampoline_kernelINS0_14default_configENS1_36segmented_radix_sort_config_selectorIilEEZNS1_25segmented_radix_sort_implIS3_Lb1EPKiPiPKlPlN2at6native12_GLOBAL__N_18offset_tEEE10hipError_tPvRmT1_PNSt15iterator_traitsISK_E10value_typeET2_T3_PNSL_ISQ_E10value_typeET4_jRbjT5_SW_jjP12ihipStream_tbEUlT_E1_NS1_11comp_targetILNS1_3genE3ELNS1_11target_archE908ELNS1_3gpuE7ELNS1_3repE0EEENS1_59segmented_radix_sort_warp_sort_small_config_static_selectorELNS0_4arch9wavefront6targetE0EEEvSK_.num_named_barrier, 0
	.set _ZN7rocprim17ROCPRIM_400000_NS6detail17trampoline_kernelINS0_14default_configENS1_36segmented_radix_sort_config_selectorIilEEZNS1_25segmented_radix_sort_implIS3_Lb1EPKiPiPKlPlN2at6native12_GLOBAL__N_18offset_tEEE10hipError_tPvRmT1_PNSt15iterator_traitsISK_E10value_typeET2_T3_PNSL_ISQ_E10value_typeET4_jRbjT5_SW_jjP12ihipStream_tbEUlT_E1_NS1_11comp_targetILNS1_3genE3ELNS1_11target_archE908ELNS1_3gpuE7ELNS1_3repE0EEENS1_59segmented_radix_sort_warp_sort_small_config_static_selectorELNS0_4arch9wavefront6targetE0EEEvSK_.private_seg_size, 0
	.set _ZN7rocprim17ROCPRIM_400000_NS6detail17trampoline_kernelINS0_14default_configENS1_36segmented_radix_sort_config_selectorIilEEZNS1_25segmented_radix_sort_implIS3_Lb1EPKiPiPKlPlN2at6native12_GLOBAL__N_18offset_tEEE10hipError_tPvRmT1_PNSt15iterator_traitsISK_E10value_typeET2_T3_PNSL_ISQ_E10value_typeET4_jRbjT5_SW_jjP12ihipStream_tbEUlT_E1_NS1_11comp_targetILNS1_3genE3ELNS1_11target_archE908ELNS1_3gpuE7ELNS1_3repE0EEENS1_59segmented_radix_sort_warp_sort_small_config_static_selectorELNS0_4arch9wavefront6targetE0EEEvSK_.uses_vcc, 0
	.set _ZN7rocprim17ROCPRIM_400000_NS6detail17trampoline_kernelINS0_14default_configENS1_36segmented_radix_sort_config_selectorIilEEZNS1_25segmented_radix_sort_implIS3_Lb1EPKiPiPKlPlN2at6native12_GLOBAL__N_18offset_tEEE10hipError_tPvRmT1_PNSt15iterator_traitsISK_E10value_typeET2_T3_PNSL_ISQ_E10value_typeET4_jRbjT5_SW_jjP12ihipStream_tbEUlT_E1_NS1_11comp_targetILNS1_3genE3ELNS1_11target_archE908ELNS1_3gpuE7ELNS1_3repE0EEENS1_59segmented_radix_sort_warp_sort_small_config_static_selectorELNS0_4arch9wavefront6targetE0EEEvSK_.uses_flat_scratch, 0
	.set _ZN7rocprim17ROCPRIM_400000_NS6detail17trampoline_kernelINS0_14default_configENS1_36segmented_radix_sort_config_selectorIilEEZNS1_25segmented_radix_sort_implIS3_Lb1EPKiPiPKlPlN2at6native12_GLOBAL__N_18offset_tEEE10hipError_tPvRmT1_PNSt15iterator_traitsISK_E10value_typeET2_T3_PNSL_ISQ_E10value_typeET4_jRbjT5_SW_jjP12ihipStream_tbEUlT_E1_NS1_11comp_targetILNS1_3genE3ELNS1_11target_archE908ELNS1_3gpuE7ELNS1_3repE0EEENS1_59segmented_radix_sort_warp_sort_small_config_static_selectorELNS0_4arch9wavefront6targetE0EEEvSK_.has_dyn_sized_stack, 0
	.set _ZN7rocprim17ROCPRIM_400000_NS6detail17trampoline_kernelINS0_14default_configENS1_36segmented_radix_sort_config_selectorIilEEZNS1_25segmented_radix_sort_implIS3_Lb1EPKiPiPKlPlN2at6native12_GLOBAL__N_18offset_tEEE10hipError_tPvRmT1_PNSt15iterator_traitsISK_E10value_typeET2_T3_PNSL_ISQ_E10value_typeET4_jRbjT5_SW_jjP12ihipStream_tbEUlT_E1_NS1_11comp_targetILNS1_3genE3ELNS1_11target_archE908ELNS1_3gpuE7ELNS1_3repE0EEENS1_59segmented_radix_sort_warp_sort_small_config_static_selectorELNS0_4arch9wavefront6targetE0EEEvSK_.has_recursion, 0
	.set _ZN7rocprim17ROCPRIM_400000_NS6detail17trampoline_kernelINS0_14default_configENS1_36segmented_radix_sort_config_selectorIilEEZNS1_25segmented_radix_sort_implIS3_Lb1EPKiPiPKlPlN2at6native12_GLOBAL__N_18offset_tEEE10hipError_tPvRmT1_PNSt15iterator_traitsISK_E10value_typeET2_T3_PNSL_ISQ_E10value_typeET4_jRbjT5_SW_jjP12ihipStream_tbEUlT_E1_NS1_11comp_targetILNS1_3genE3ELNS1_11target_archE908ELNS1_3gpuE7ELNS1_3repE0EEENS1_59segmented_radix_sort_warp_sort_small_config_static_selectorELNS0_4arch9wavefront6targetE0EEEvSK_.has_indirect_call, 0
	.section	.AMDGPU.csdata,"",@progbits
; Kernel info:
; codeLenInByte = 0
; TotalNumSgprs: 0
; NumVgprs: 0
; ScratchSize: 0
; MemoryBound: 0
; FloatMode: 240
; IeeeMode: 1
; LDSByteSize: 0 bytes/workgroup (compile time only)
; SGPRBlocks: 0
; VGPRBlocks: 0
; NumSGPRsForWavesPerEU: 1
; NumVGPRsForWavesPerEU: 1
; Occupancy: 16
; WaveLimiterHint : 0
; COMPUTE_PGM_RSRC2:SCRATCH_EN: 0
; COMPUTE_PGM_RSRC2:USER_SGPR: 6
; COMPUTE_PGM_RSRC2:TRAP_HANDLER: 0
; COMPUTE_PGM_RSRC2:TGID_X_EN: 1
; COMPUTE_PGM_RSRC2:TGID_Y_EN: 0
; COMPUTE_PGM_RSRC2:TGID_Z_EN: 0
; COMPUTE_PGM_RSRC2:TIDIG_COMP_CNT: 0
	.section	.text._ZN7rocprim17ROCPRIM_400000_NS6detail17trampoline_kernelINS0_14default_configENS1_36segmented_radix_sort_config_selectorIilEEZNS1_25segmented_radix_sort_implIS3_Lb1EPKiPiPKlPlN2at6native12_GLOBAL__N_18offset_tEEE10hipError_tPvRmT1_PNSt15iterator_traitsISK_E10value_typeET2_T3_PNSL_ISQ_E10value_typeET4_jRbjT5_SW_jjP12ihipStream_tbEUlT_E1_NS1_11comp_targetILNS1_3genE2ELNS1_11target_archE906ELNS1_3gpuE6ELNS1_3repE0EEENS1_59segmented_radix_sort_warp_sort_small_config_static_selectorELNS0_4arch9wavefront6targetE0EEEvSK_,"axG",@progbits,_ZN7rocprim17ROCPRIM_400000_NS6detail17trampoline_kernelINS0_14default_configENS1_36segmented_radix_sort_config_selectorIilEEZNS1_25segmented_radix_sort_implIS3_Lb1EPKiPiPKlPlN2at6native12_GLOBAL__N_18offset_tEEE10hipError_tPvRmT1_PNSt15iterator_traitsISK_E10value_typeET2_T3_PNSL_ISQ_E10value_typeET4_jRbjT5_SW_jjP12ihipStream_tbEUlT_E1_NS1_11comp_targetILNS1_3genE2ELNS1_11target_archE906ELNS1_3gpuE6ELNS1_3repE0EEENS1_59segmented_radix_sort_warp_sort_small_config_static_selectorELNS0_4arch9wavefront6targetE0EEEvSK_,comdat
	.globl	_ZN7rocprim17ROCPRIM_400000_NS6detail17trampoline_kernelINS0_14default_configENS1_36segmented_radix_sort_config_selectorIilEEZNS1_25segmented_radix_sort_implIS3_Lb1EPKiPiPKlPlN2at6native12_GLOBAL__N_18offset_tEEE10hipError_tPvRmT1_PNSt15iterator_traitsISK_E10value_typeET2_T3_PNSL_ISQ_E10value_typeET4_jRbjT5_SW_jjP12ihipStream_tbEUlT_E1_NS1_11comp_targetILNS1_3genE2ELNS1_11target_archE906ELNS1_3gpuE6ELNS1_3repE0EEENS1_59segmented_radix_sort_warp_sort_small_config_static_selectorELNS0_4arch9wavefront6targetE0EEEvSK_ ; -- Begin function _ZN7rocprim17ROCPRIM_400000_NS6detail17trampoline_kernelINS0_14default_configENS1_36segmented_radix_sort_config_selectorIilEEZNS1_25segmented_radix_sort_implIS3_Lb1EPKiPiPKlPlN2at6native12_GLOBAL__N_18offset_tEEE10hipError_tPvRmT1_PNSt15iterator_traitsISK_E10value_typeET2_T3_PNSL_ISQ_E10value_typeET4_jRbjT5_SW_jjP12ihipStream_tbEUlT_E1_NS1_11comp_targetILNS1_3genE2ELNS1_11target_archE906ELNS1_3gpuE6ELNS1_3repE0EEENS1_59segmented_radix_sort_warp_sort_small_config_static_selectorELNS0_4arch9wavefront6targetE0EEEvSK_
	.p2align	8
	.type	_ZN7rocprim17ROCPRIM_400000_NS6detail17trampoline_kernelINS0_14default_configENS1_36segmented_radix_sort_config_selectorIilEEZNS1_25segmented_radix_sort_implIS3_Lb1EPKiPiPKlPlN2at6native12_GLOBAL__N_18offset_tEEE10hipError_tPvRmT1_PNSt15iterator_traitsISK_E10value_typeET2_T3_PNSL_ISQ_E10value_typeET4_jRbjT5_SW_jjP12ihipStream_tbEUlT_E1_NS1_11comp_targetILNS1_3genE2ELNS1_11target_archE906ELNS1_3gpuE6ELNS1_3repE0EEENS1_59segmented_radix_sort_warp_sort_small_config_static_selectorELNS0_4arch9wavefront6targetE0EEEvSK_,@function
_ZN7rocprim17ROCPRIM_400000_NS6detail17trampoline_kernelINS0_14default_configENS1_36segmented_radix_sort_config_selectorIilEEZNS1_25segmented_radix_sort_implIS3_Lb1EPKiPiPKlPlN2at6native12_GLOBAL__N_18offset_tEEE10hipError_tPvRmT1_PNSt15iterator_traitsISK_E10value_typeET2_T3_PNSL_ISQ_E10value_typeET4_jRbjT5_SW_jjP12ihipStream_tbEUlT_E1_NS1_11comp_targetILNS1_3genE2ELNS1_11target_archE906ELNS1_3gpuE6ELNS1_3repE0EEENS1_59segmented_radix_sort_warp_sort_small_config_static_selectorELNS0_4arch9wavefront6targetE0EEEvSK_: ; @_ZN7rocprim17ROCPRIM_400000_NS6detail17trampoline_kernelINS0_14default_configENS1_36segmented_radix_sort_config_selectorIilEEZNS1_25segmented_radix_sort_implIS3_Lb1EPKiPiPKlPlN2at6native12_GLOBAL__N_18offset_tEEE10hipError_tPvRmT1_PNSt15iterator_traitsISK_E10value_typeET2_T3_PNSL_ISQ_E10value_typeET4_jRbjT5_SW_jjP12ihipStream_tbEUlT_E1_NS1_11comp_targetILNS1_3genE2ELNS1_11target_archE906ELNS1_3gpuE6ELNS1_3repE0EEENS1_59segmented_radix_sort_warp_sort_small_config_static_selectorELNS0_4arch9wavefront6targetE0EEEvSK_
; %bb.0:
	.section	.rodata,"a",@progbits
	.p2align	6, 0x0
	.amdhsa_kernel _ZN7rocprim17ROCPRIM_400000_NS6detail17trampoline_kernelINS0_14default_configENS1_36segmented_radix_sort_config_selectorIilEEZNS1_25segmented_radix_sort_implIS3_Lb1EPKiPiPKlPlN2at6native12_GLOBAL__N_18offset_tEEE10hipError_tPvRmT1_PNSt15iterator_traitsISK_E10value_typeET2_T3_PNSL_ISQ_E10value_typeET4_jRbjT5_SW_jjP12ihipStream_tbEUlT_E1_NS1_11comp_targetILNS1_3genE2ELNS1_11target_archE906ELNS1_3gpuE6ELNS1_3repE0EEENS1_59segmented_radix_sort_warp_sort_small_config_static_selectorELNS0_4arch9wavefront6targetE0EEEvSK_
		.amdhsa_group_segment_fixed_size 0
		.amdhsa_private_segment_fixed_size 0
		.amdhsa_kernarg_size 88
		.amdhsa_user_sgpr_count 6
		.amdhsa_user_sgpr_private_segment_buffer 1
		.amdhsa_user_sgpr_dispatch_ptr 0
		.amdhsa_user_sgpr_queue_ptr 0
		.amdhsa_user_sgpr_kernarg_segment_ptr 1
		.amdhsa_user_sgpr_dispatch_id 0
		.amdhsa_user_sgpr_flat_scratch_init 0
		.amdhsa_user_sgpr_private_segment_size 0
		.amdhsa_wavefront_size32 1
		.amdhsa_uses_dynamic_stack 0
		.amdhsa_system_sgpr_private_segment_wavefront_offset 0
		.amdhsa_system_sgpr_workgroup_id_x 1
		.amdhsa_system_sgpr_workgroup_id_y 0
		.amdhsa_system_sgpr_workgroup_id_z 0
		.amdhsa_system_sgpr_workgroup_info 0
		.amdhsa_system_vgpr_workitem_id 0
		.amdhsa_next_free_vgpr 1
		.amdhsa_next_free_sgpr 1
		.amdhsa_reserve_vcc 0
		.amdhsa_reserve_flat_scratch 0
		.amdhsa_float_round_mode_32 0
		.amdhsa_float_round_mode_16_64 0
		.amdhsa_float_denorm_mode_32 3
		.amdhsa_float_denorm_mode_16_64 3
		.amdhsa_dx10_clamp 1
		.amdhsa_ieee_mode 1
		.amdhsa_fp16_overflow 0
		.amdhsa_workgroup_processor_mode 1
		.amdhsa_memory_ordered 1
		.amdhsa_forward_progress 1
		.amdhsa_shared_vgpr_count 0
		.amdhsa_exception_fp_ieee_invalid_op 0
		.amdhsa_exception_fp_denorm_src 0
		.amdhsa_exception_fp_ieee_div_zero 0
		.amdhsa_exception_fp_ieee_overflow 0
		.amdhsa_exception_fp_ieee_underflow 0
		.amdhsa_exception_fp_ieee_inexact 0
		.amdhsa_exception_int_div_zero 0
	.end_amdhsa_kernel
	.section	.text._ZN7rocprim17ROCPRIM_400000_NS6detail17trampoline_kernelINS0_14default_configENS1_36segmented_radix_sort_config_selectorIilEEZNS1_25segmented_radix_sort_implIS3_Lb1EPKiPiPKlPlN2at6native12_GLOBAL__N_18offset_tEEE10hipError_tPvRmT1_PNSt15iterator_traitsISK_E10value_typeET2_T3_PNSL_ISQ_E10value_typeET4_jRbjT5_SW_jjP12ihipStream_tbEUlT_E1_NS1_11comp_targetILNS1_3genE2ELNS1_11target_archE906ELNS1_3gpuE6ELNS1_3repE0EEENS1_59segmented_radix_sort_warp_sort_small_config_static_selectorELNS0_4arch9wavefront6targetE0EEEvSK_,"axG",@progbits,_ZN7rocprim17ROCPRIM_400000_NS6detail17trampoline_kernelINS0_14default_configENS1_36segmented_radix_sort_config_selectorIilEEZNS1_25segmented_radix_sort_implIS3_Lb1EPKiPiPKlPlN2at6native12_GLOBAL__N_18offset_tEEE10hipError_tPvRmT1_PNSt15iterator_traitsISK_E10value_typeET2_T3_PNSL_ISQ_E10value_typeET4_jRbjT5_SW_jjP12ihipStream_tbEUlT_E1_NS1_11comp_targetILNS1_3genE2ELNS1_11target_archE906ELNS1_3gpuE6ELNS1_3repE0EEENS1_59segmented_radix_sort_warp_sort_small_config_static_selectorELNS0_4arch9wavefront6targetE0EEEvSK_,comdat
.Lfunc_end517:
	.size	_ZN7rocprim17ROCPRIM_400000_NS6detail17trampoline_kernelINS0_14default_configENS1_36segmented_radix_sort_config_selectorIilEEZNS1_25segmented_radix_sort_implIS3_Lb1EPKiPiPKlPlN2at6native12_GLOBAL__N_18offset_tEEE10hipError_tPvRmT1_PNSt15iterator_traitsISK_E10value_typeET2_T3_PNSL_ISQ_E10value_typeET4_jRbjT5_SW_jjP12ihipStream_tbEUlT_E1_NS1_11comp_targetILNS1_3genE2ELNS1_11target_archE906ELNS1_3gpuE6ELNS1_3repE0EEENS1_59segmented_radix_sort_warp_sort_small_config_static_selectorELNS0_4arch9wavefront6targetE0EEEvSK_, .Lfunc_end517-_ZN7rocprim17ROCPRIM_400000_NS6detail17trampoline_kernelINS0_14default_configENS1_36segmented_radix_sort_config_selectorIilEEZNS1_25segmented_radix_sort_implIS3_Lb1EPKiPiPKlPlN2at6native12_GLOBAL__N_18offset_tEEE10hipError_tPvRmT1_PNSt15iterator_traitsISK_E10value_typeET2_T3_PNSL_ISQ_E10value_typeET4_jRbjT5_SW_jjP12ihipStream_tbEUlT_E1_NS1_11comp_targetILNS1_3genE2ELNS1_11target_archE906ELNS1_3gpuE6ELNS1_3repE0EEENS1_59segmented_radix_sort_warp_sort_small_config_static_selectorELNS0_4arch9wavefront6targetE0EEEvSK_
                                        ; -- End function
	.set _ZN7rocprim17ROCPRIM_400000_NS6detail17trampoline_kernelINS0_14default_configENS1_36segmented_radix_sort_config_selectorIilEEZNS1_25segmented_radix_sort_implIS3_Lb1EPKiPiPKlPlN2at6native12_GLOBAL__N_18offset_tEEE10hipError_tPvRmT1_PNSt15iterator_traitsISK_E10value_typeET2_T3_PNSL_ISQ_E10value_typeET4_jRbjT5_SW_jjP12ihipStream_tbEUlT_E1_NS1_11comp_targetILNS1_3genE2ELNS1_11target_archE906ELNS1_3gpuE6ELNS1_3repE0EEENS1_59segmented_radix_sort_warp_sort_small_config_static_selectorELNS0_4arch9wavefront6targetE0EEEvSK_.num_vgpr, 0
	.set _ZN7rocprim17ROCPRIM_400000_NS6detail17trampoline_kernelINS0_14default_configENS1_36segmented_radix_sort_config_selectorIilEEZNS1_25segmented_radix_sort_implIS3_Lb1EPKiPiPKlPlN2at6native12_GLOBAL__N_18offset_tEEE10hipError_tPvRmT1_PNSt15iterator_traitsISK_E10value_typeET2_T3_PNSL_ISQ_E10value_typeET4_jRbjT5_SW_jjP12ihipStream_tbEUlT_E1_NS1_11comp_targetILNS1_3genE2ELNS1_11target_archE906ELNS1_3gpuE6ELNS1_3repE0EEENS1_59segmented_radix_sort_warp_sort_small_config_static_selectorELNS0_4arch9wavefront6targetE0EEEvSK_.num_agpr, 0
	.set _ZN7rocprim17ROCPRIM_400000_NS6detail17trampoline_kernelINS0_14default_configENS1_36segmented_radix_sort_config_selectorIilEEZNS1_25segmented_radix_sort_implIS3_Lb1EPKiPiPKlPlN2at6native12_GLOBAL__N_18offset_tEEE10hipError_tPvRmT1_PNSt15iterator_traitsISK_E10value_typeET2_T3_PNSL_ISQ_E10value_typeET4_jRbjT5_SW_jjP12ihipStream_tbEUlT_E1_NS1_11comp_targetILNS1_3genE2ELNS1_11target_archE906ELNS1_3gpuE6ELNS1_3repE0EEENS1_59segmented_radix_sort_warp_sort_small_config_static_selectorELNS0_4arch9wavefront6targetE0EEEvSK_.numbered_sgpr, 0
	.set _ZN7rocprim17ROCPRIM_400000_NS6detail17trampoline_kernelINS0_14default_configENS1_36segmented_radix_sort_config_selectorIilEEZNS1_25segmented_radix_sort_implIS3_Lb1EPKiPiPKlPlN2at6native12_GLOBAL__N_18offset_tEEE10hipError_tPvRmT1_PNSt15iterator_traitsISK_E10value_typeET2_T3_PNSL_ISQ_E10value_typeET4_jRbjT5_SW_jjP12ihipStream_tbEUlT_E1_NS1_11comp_targetILNS1_3genE2ELNS1_11target_archE906ELNS1_3gpuE6ELNS1_3repE0EEENS1_59segmented_radix_sort_warp_sort_small_config_static_selectorELNS0_4arch9wavefront6targetE0EEEvSK_.num_named_barrier, 0
	.set _ZN7rocprim17ROCPRIM_400000_NS6detail17trampoline_kernelINS0_14default_configENS1_36segmented_radix_sort_config_selectorIilEEZNS1_25segmented_radix_sort_implIS3_Lb1EPKiPiPKlPlN2at6native12_GLOBAL__N_18offset_tEEE10hipError_tPvRmT1_PNSt15iterator_traitsISK_E10value_typeET2_T3_PNSL_ISQ_E10value_typeET4_jRbjT5_SW_jjP12ihipStream_tbEUlT_E1_NS1_11comp_targetILNS1_3genE2ELNS1_11target_archE906ELNS1_3gpuE6ELNS1_3repE0EEENS1_59segmented_radix_sort_warp_sort_small_config_static_selectorELNS0_4arch9wavefront6targetE0EEEvSK_.private_seg_size, 0
	.set _ZN7rocprim17ROCPRIM_400000_NS6detail17trampoline_kernelINS0_14default_configENS1_36segmented_radix_sort_config_selectorIilEEZNS1_25segmented_radix_sort_implIS3_Lb1EPKiPiPKlPlN2at6native12_GLOBAL__N_18offset_tEEE10hipError_tPvRmT1_PNSt15iterator_traitsISK_E10value_typeET2_T3_PNSL_ISQ_E10value_typeET4_jRbjT5_SW_jjP12ihipStream_tbEUlT_E1_NS1_11comp_targetILNS1_3genE2ELNS1_11target_archE906ELNS1_3gpuE6ELNS1_3repE0EEENS1_59segmented_radix_sort_warp_sort_small_config_static_selectorELNS0_4arch9wavefront6targetE0EEEvSK_.uses_vcc, 0
	.set _ZN7rocprim17ROCPRIM_400000_NS6detail17trampoline_kernelINS0_14default_configENS1_36segmented_radix_sort_config_selectorIilEEZNS1_25segmented_radix_sort_implIS3_Lb1EPKiPiPKlPlN2at6native12_GLOBAL__N_18offset_tEEE10hipError_tPvRmT1_PNSt15iterator_traitsISK_E10value_typeET2_T3_PNSL_ISQ_E10value_typeET4_jRbjT5_SW_jjP12ihipStream_tbEUlT_E1_NS1_11comp_targetILNS1_3genE2ELNS1_11target_archE906ELNS1_3gpuE6ELNS1_3repE0EEENS1_59segmented_radix_sort_warp_sort_small_config_static_selectorELNS0_4arch9wavefront6targetE0EEEvSK_.uses_flat_scratch, 0
	.set _ZN7rocprim17ROCPRIM_400000_NS6detail17trampoline_kernelINS0_14default_configENS1_36segmented_radix_sort_config_selectorIilEEZNS1_25segmented_radix_sort_implIS3_Lb1EPKiPiPKlPlN2at6native12_GLOBAL__N_18offset_tEEE10hipError_tPvRmT1_PNSt15iterator_traitsISK_E10value_typeET2_T3_PNSL_ISQ_E10value_typeET4_jRbjT5_SW_jjP12ihipStream_tbEUlT_E1_NS1_11comp_targetILNS1_3genE2ELNS1_11target_archE906ELNS1_3gpuE6ELNS1_3repE0EEENS1_59segmented_radix_sort_warp_sort_small_config_static_selectorELNS0_4arch9wavefront6targetE0EEEvSK_.has_dyn_sized_stack, 0
	.set _ZN7rocprim17ROCPRIM_400000_NS6detail17trampoline_kernelINS0_14default_configENS1_36segmented_radix_sort_config_selectorIilEEZNS1_25segmented_radix_sort_implIS3_Lb1EPKiPiPKlPlN2at6native12_GLOBAL__N_18offset_tEEE10hipError_tPvRmT1_PNSt15iterator_traitsISK_E10value_typeET2_T3_PNSL_ISQ_E10value_typeET4_jRbjT5_SW_jjP12ihipStream_tbEUlT_E1_NS1_11comp_targetILNS1_3genE2ELNS1_11target_archE906ELNS1_3gpuE6ELNS1_3repE0EEENS1_59segmented_radix_sort_warp_sort_small_config_static_selectorELNS0_4arch9wavefront6targetE0EEEvSK_.has_recursion, 0
	.set _ZN7rocprim17ROCPRIM_400000_NS6detail17trampoline_kernelINS0_14default_configENS1_36segmented_radix_sort_config_selectorIilEEZNS1_25segmented_radix_sort_implIS3_Lb1EPKiPiPKlPlN2at6native12_GLOBAL__N_18offset_tEEE10hipError_tPvRmT1_PNSt15iterator_traitsISK_E10value_typeET2_T3_PNSL_ISQ_E10value_typeET4_jRbjT5_SW_jjP12ihipStream_tbEUlT_E1_NS1_11comp_targetILNS1_3genE2ELNS1_11target_archE906ELNS1_3gpuE6ELNS1_3repE0EEENS1_59segmented_radix_sort_warp_sort_small_config_static_selectorELNS0_4arch9wavefront6targetE0EEEvSK_.has_indirect_call, 0
	.section	.AMDGPU.csdata,"",@progbits
; Kernel info:
; codeLenInByte = 0
; TotalNumSgprs: 0
; NumVgprs: 0
; ScratchSize: 0
; MemoryBound: 0
; FloatMode: 240
; IeeeMode: 1
; LDSByteSize: 0 bytes/workgroup (compile time only)
; SGPRBlocks: 0
; VGPRBlocks: 0
; NumSGPRsForWavesPerEU: 1
; NumVGPRsForWavesPerEU: 1
; Occupancy: 16
; WaveLimiterHint : 0
; COMPUTE_PGM_RSRC2:SCRATCH_EN: 0
; COMPUTE_PGM_RSRC2:USER_SGPR: 6
; COMPUTE_PGM_RSRC2:TRAP_HANDLER: 0
; COMPUTE_PGM_RSRC2:TGID_X_EN: 1
; COMPUTE_PGM_RSRC2:TGID_Y_EN: 0
; COMPUTE_PGM_RSRC2:TGID_Z_EN: 0
; COMPUTE_PGM_RSRC2:TIDIG_COMP_CNT: 0
	.section	.text._ZN7rocprim17ROCPRIM_400000_NS6detail17trampoline_kernelINS0_14default_configENS1_36segmented_radix_sort_config_selectorIilEEZNS1_25segmented_radix_sort_implIS3_Lb1EPKiPiPKlPlN2at6native12_GLOBAL__N_18offset_tEEE10hipError_tPvRmT1_PNSt15iterator_traitsISK_E10value_typeET2_T3_PNSL_ISQ_E10value_typeET4_jRbjT5_SW_jjP12ihipStream_tbEUlT_E1_NS1_11comp_targetILNS1_3genE10ELNS1_11target_archE1201ELNS1_3gpuE5ELNS1_3repE0EEENS1_59segmented_radix_sort_warp_sort_small_config_static_selectorELNS0_4arch9wavefront6targetE0EEEvSK_,"axG",@progbits,_ZN7rocprim17ROCPRIM_400000_NS6detail17trampoline_kernelINS0_14default_configENS1_36segmented_radix_sort_config_selectorIilEEZNS1_25segmented_radix_sort_implIS3_Lb1EPKiPiPKlPlN2at6native12_GLOBAL__N_18offset_tEEE10hipError_tPvRmT1_PNSt15iterator_traitsISK_E10value_typeET2_T3_PNSL_ISQ_E10value_typeET4_jRbjT5_SW_jjP12ihipStream_tbEUlT_E1_NS1_11comp_targetILNS1_3genE10ELNS1_11target_archE1201ELNS1_3gpuE5ELNS1_3repE0EEENS1_59segmented_radix_sort_warp_sort_small_config_static_selectorELNS0_4arch9wavefront6targetE0EEEvSK_,comdat
	.globl	_ZN7rocprim17ROCPRIM_400000_NS6detail17trampoline_kernelINS0_14default_configENS1_36segmented_radix_sort_config_selectorIilEEZNS1_25segmented_radix_sort_implIS3_Lb1EPKiPiPKlPlN2at6native12_GLOBAL__N_18offset_tEEE10hipError_tPvRmT1_PNSt15iterator_traitsISK_E10value_typeET2_T3_PNSL_ISQ_E10value_typeET4_jRbjT5_SW_jjP12ihipStream_tbEUlT_E1_NS1_11comp_targetILNS1_3genE10ELNS1_11target_archE1201ELNS1_3gpuE5ELNS1_3repE0EEENS1_59segmented_radix_sort_warp_sort_small_config_static_selectorELNS0_4arch9wavefront6targetE0EEEvSK_ ; -- Begin function _ZN7rocprim17ROCPRIM_400000_NS6detail17trampoline_kernelINS0_14default_configENS1_36segmented_radix_sort_config_selectorIilEEZNS1_25segmented_radix_sort_implIS3_Lb1EPKiPiPKlPlN2at6native12_GLOBAL__N_18offset_tEEE10hipError_tPvRmT1_PNSt15iterator_traitsISK_E10value_typeET2_T3_PNSL_ISQ_E10value_typeET4_jRbjT5_SW_jjP12ihipStream_tbEUlT_E1_NS1_11comp_targetILNS1_3genE10ELNS1_11target_archE1201ELNS1_3gpuE5ELNS1_3repE0EEENS1_59segmented_radix_sort_warp_sort_small_config_static_selectorELNS0_4arch9wavefront6targetE0EEEvSK_
	.p2align	8
	.type	_ZN7rocprim17ROCPRIM_400000_NS6detail17trampoline_kernelINS0_14default_configENS1_36segmented_radix_sort_config_selectorIilEEZNS1_25segmented_radix_sort_implIS3_Lb1EPKiPiPKlPlN2at6native12_GLOBAL__N_18offset_tEEE10hipError_tPvRmT1_PNSt15iterator_traitsISK_E10value_typeET2_T3_PNSL_ISQ_E10value_typeET4_jRbjT5_SW_jjP12ihipStream_tbEUlT_E1_NS1_11comp_targetILNS1_3genE10ELNS1_11target_archE1201ELNS1_3gpuE5ELNS1_3repE0EEENS1_59segmented_radix_sort_warp_sort_small_config_static_selectorELNS0_4arch9wavefront6targetE0EEEvSK_,@function
_ZN7rocprim17ROCPRIM_400000_NS6detail17trampoline_kernelINS0_14default_configENS1_36segmented_radix_sort_config_selectorIilEEZNS1_25segmented_radix_sort_implIS3_Lb1EPKiPiPKlPlN2at6native12_GLOBAL__N_18offset_tEEE10hipError_tPvRmT1_PNSt15iterator_traitsISK_E10value_typeET2_T3_PNSL_ISQ_E10value_typeET4_jRbjT5_SW_jjP12ihipStream_tbEUlT_E1_NS1_11comp_targetILNS1_3genE10ELNS1_11target_archE1201ELNS1_3gpuE5ELNS1_3repE0EEENS1_59segmented_radix_sort_warp_sort_small_config_static_selectorELNS0_4arch9wavefront6targetE0EEEvSK_: ; @_ZN7rocprim17ROCPRIM_400000_NS6detail17trampoline_kernelINS0_14default_configENS1_36segmented_radix_sort_config_selectorIilEEZNS1_25segmented_radix_sort_implIS3_Lb1EPKiPiPKlPlN2at6native12_GLOBAL__N_18offset_tEEE10hipError_tPvRmT1_PNSt15iterator_traitsISK_E10value_typeET2_T3_PNSL_ISQ_E10value_typeET4_jRbjT5_SW_jjP12ihipStream_tbEUlT_E1_NS1_11comp_targetILNS1_3genE10ELNS1_11target_archE1201ELNS1_3gpuE5ELNS1_3repE0EEENS1_59segmented_radix_sort_warp_sort_small_config_static_selectorELNS0_4arch9wavefront6targetE0EEEvSK_
; %bb.0:
	.section	.rodata,"a",@progbits
	.p2align	6, 0x0
	.amdhsa_kernel _ZN7rocprim17ROCPRIM_400000_NS6detail17trampoline_kernelINS0_14default_configENS1_36segmented_radix_sort_config_selectorIilEEZNS1_25segmented_radix_sort_implIS3_Lb1EPKiPiPKlPlN2at6native12_GLOBAL__N_18offset_tEEE10hipError_tPvRmT1_PNSt15iterator_traitsISK_E10value_typeET2_T3_PNSL_ISQ_E10value_typeET4_jRbjT5_SW_jjP12ihipStream_tbEUlT_E1_NS1_11comp_targetILNS1_3genE10ELNS1_11target_archE1201ELNS1_3gpuE5ELNS1_3repE0EEENS1_59segmented_radix_sort_warp_sort_small_config_static_selectorELNS0_4arch9wavefront6targetE0EEEvSK_
		.amdhsa_group_segment_fixed_size 0
		.amdhsa_private_segment_fixed_size 0
		.amdhsa_kernarg_size 88
		.amdhsa_user_sgpr_count 6
		.amdhsa_user_sgpr_private_segment_buffer 1
		.amdhsa_user_sgpr_dispatch_ptr 0
		.amdhsa_user_sgpr_queue_ptr 0
		.amdhsa_user_sgpr_kernarg_segment_ptr 1
		.amdhsa_user_sgpr_dispatch_id 0
		.amdhsa_user_sgpr_flat_scratch_init 0
		.amdhsa_user_sgpr_private_segment_size 0
		.amdhsa_wavefront_size32 1
		.amdhsa_uses_dynamic_stack 0
		.amdhsa_system_sgpr_private_segment_wavefront_offset 0
		.amdhsa_system_sgpr_workgroup_id_x 1
		.amdhsa_system_sgpr_workgroup_id_y 0
		.amdhsa_system_sgpr_workgroup_id_z 0
		.amdhsa_system_sgpr_workgroup_info 0
		.amdhsa_system_vgpr_workitem_id 0
		.amdhsa_next_free_vgpr 1
		.amdhsa_next_free_sgpr 1
		.amdhsa_reserve_vcc 0
		.amdhsa_reserve_flat_scratch 0
		.amdhsa_float_round_mode_32 0
		.amdhsa_float_round_mode_16_64 0
		.amdhsa_float_denorm_mode_32 3
		.amdhsa_float_denorm_mode_16_64 3
		.amdhsa_dx10_clamp 1
		.amdhsa_ieee_mode 1
		.amdhsa_fp16_overflow 0
		.amdhsa_workgroup_processor_mode 1
		.amdhsa_memory_ordered 1
		.amdhsa_forward_progress 1
		.amdhsa_shared_vgpr_count 0
		.amdhsa_exception_fp_ieee_invalid_op 0
		.amdhsa_exception_fp_denorm_src 0
		.amdhsa_exception_fp_ieee_div_zero 0
		.amdhsa_exception_fp_ieee_overflow 0
		.amdhsa_exception_fp_ieee_underflow 0
		.amdhsa_exception_fp_ieee_inexact 0
		.amdhsa_exception_int_div_zero 0
	.end_amdhsa_kernel
	.section	.text._ZN7rocprim17ROCPRIM_400000_NS6detail17trampoline_kernelINS0_14default_configENS1_36segmented_radix_sort_config_selectorIilEEZNS1_25segmented_radix_sort_implIS3_Lb1EPKiPiPKlPlN2at6native12_GLOBAL__N_18offset_tEEE10hipError_tPvRmT1_PNSt15iterator_traitsISK_E10value_typeET2_T3_PNSL_ISQ_E10value_typeET4_jRbjT5_SW_jjP12ihipStream_tbEUlT_E1_NS1_11comp_targetILNS1_3genE10ELNS1_11target_archE1201ELNS1_3gpuE5ELNS1_3repE0EEENS1_59segmented_radix_sort_warp_sort_small_config_static_selectorELNS0_4arch9wavefront6targetE0EEEvSK_,"axG",@progbits,_ZN7rocprim17ROCPRIM_400000_NS6detail17trampoline_kernelINS0_14default_configENS1_36segmented_radix_sort_config_selectorIilEEZNS1_25segmented_radix_sort_implIS3_Lb1EPKiPiPKlPlN2at6native12_GLOBAL__N_18offset_tEEE10hipError_tPvRmT1_PNSt15iterator_traitsISK_E10value_typeET2_T3_PNSL_ISQ_E10value_typeET4_jRbjT5_SW_jjP12ihipStream_tbEUlT_E1_NS1_11comp_targetILNS1_3genE10ELNS1_11target_archE1201ELNS1_3gpuE5ELNS1_3repE0EEENS1_59segmented_radix_sort_warp_sort_small_config_static_selectorELNS0_4arch9wavefront6targetE0EEEvSK_,comdat
.Lfunc_end518:
	.size	_ZN7rocprim17ROCPRIM_400000_NS6detail17trampoline_kernelINS0_14default_configENS1_36segmented_radix_sort_config_selectorIilEEZNS1_25segmented_radix_sort_implIS3_Lb1EPKiPiPKlPlN2at6native12_GLOBAL__N_18offset_tEEE10hipError_tPvRmT1_PNSt15iterator_traitsISK_E10value_typeET2_T3_PNSL_ISQ_E10value_typeET4_jRbjT5_SW_jjP12ihipStream_tbEUlT_E1_NS1_11comp_targetILNS1_3genE10ELNS1_11target_archE1201ELNS1_3gpuE5ELNS1_3repE0EEENS1_59segmented_radix_sort_warp_sort_small_config_static_selectorELNS0_4arch9wavefront6targetE0EEEvSK_, .Lfunc_end518-_ZN7rocprim17ROCPRIM_400000_NS6detail17trampoline_kernelINS0_14default_configENS1_36segmented_radix_sort_config_selectorIilEEZNS1_25segmented_radix_sort_implIS3_Lb1EPKiPiPKlPlN2at6native12_GLOBAL__N_18offset_tEEE10hipError_tPvRmT1_PNSt15iterator_traitsISK_E10value_typeET2_T3_PNSL_ISQ_E10value_typeET4_jRbjT5_SW_jjP12ihipStream_tbEUlT_E1_NS1_11comp_targetILNS1_3genE10ELNS1_11target_archE1201ELNS1_3gpuE5ELNS1_3repE0EEENS1_59segmented_radix_sort_warp_sort_small_config_static_selectorELNS0_4arch9wavefront6targetE0EEEvSK_
                                        ; -- End function
	.set _ZN7rocprim17ROCPRIM_400000_NS6detail17trampoline_kernelINS0_14default_configENS1_36segmented_radix_sort_config_selectorIilEEZNS1_25segmented_radix_sort_implIS3_Lb1EPKiPiPKlPlN2at6native12_GLOBAL__N_18offset_tEEE10hipError_tPvRmT1_PNSt15iterator_traitsISK_E10value_typeET2_T3_PNSL_ISQ_E10value_typeET4_jRbjT5_SW_jjP12ihipStream_tbEUlT_E1_NS1_11comp_targetILNS1_3genE10ELNS1_11target_archE1201ELNS1_3gpuE5ELNS1_3repE0EEENS1_59segmented_radix_sort_warp_sort_small_config_static_selectorELNS0_4arch9wavefront6targetE0EEEvSK_.num_vgpr, 0
	.set _ZN7rocprim17ROCPRIM_400000_NS6detail17trampoline_kernelINS0_14default_configENS1_36segmented_radix_sort_config_selectorIilEEZNS1_25segmented_radix_sort_implIS3_Lb1EPKiPiPKlPlN2at6native12_GLOBAL__N_18offset_tEEE10hipError_tPvRmT1_PNSt15iterator_traitsISK_E10value_typeET2_T3_PNSL_ISQ_E10value_typeET4_jRbjT5_SW_jjP12ihipStream_tbEUlT_E1_NS1_11comp_targetILNS1_3genE10ELNS1_11target_archE1201ELNS1_3gpuE5ELNS1_3repE0EEENS1_59segmented_radix_sort_warp_sort_small_config_static_selectorELNS0_4arch9wavefront6targetE0EEEvSK_.num_agpr, 0
	.set _ZN7rocprim17ROCPRIM_400000_NS6detail17trampoline_kernelINS0_14default_configENS1_36segmented_radix_sort_config_selectorIilEEZNS1_25segmented_radix_sort_implIS3_Lb1EPKiPiPKlPlN2at6native12_GLOBAL__N_18offset_tEEE10hipError_tPvRmT1_PNSt15iterator_traitsISK_E10value_typeET2_T3_PNSL_ISQ_E10value_typeET4_jRbjT5_SW_jjP12ihipStream_tbEUlT_E1_NS1_11comp_targetILNS1_3genE10ELNS1_11target_archE1201ELNS1_3gpuE5ELNS1_3repE0EEENS1_59segmented_radix_sort_warp_sort_small_config_static_selectorELNS0_4arch9wavefront6targetE0EEEvSK_.numbered_sgpr, 0
	.set _ZN7rocprim17ROCPRIM_400000_NS6detail17trampoline_kernelINS0_14default_configENS1_36segmented_radix_sort_config_selectorIilEEZNS1_25segmented_radix_sort_implIS3_Lb1EPKiPiPKlPlN2at6native12_GLOBAL__N_18offset_tEEE10hipError_tPvRmT1_PNSt15iterator_traitsISK_E10value_typeET2_T3_PNSL_ISQ_E10value_typeET4_jRbjT5_SW_jjP12ihipStream_tbEUlT_E1_NS1_11comp_targetILNS1_3genE10ELNS1_11target_archE1201ELNS1_3gpuE5ELNS1_3repE0EEENS1_59segmented_radix_sort_warp_sort_small_config_static_selectorELNS0_4arch9wavefront6targetE0EEEvSK_.num_named_barrier, 0
	.set _ZN7rocprim17ROCPRIM_400000_NS6detail17trampoline_kernelINS0_14default_configENS1_36segmented_radix_sort_config_selectorIilEEZNS1_25segmented_radix_sort_implIS3_Lb1EPKiPiPKlPlN2at6native12_GLOBAL__N_18offset_tEEE10hipError_tPvRmT1_PNSt15iterator_traitsISK_E10value_typeET2_T3_PNSL_ISQ_E10value_typeET4_jRbjT5_SW_jjP12ihipStream_tbEUlT_E1_NS1_11comp_targetILNS1_3genE10ELNS1_11target_archE1201ELNS1_3gpuE5ELNS1_3repE0EEENS1_59segmented_radix_sort_warp_sort_small_config_static_selectorELNS0_4arch9wavefront6targetE0EEEvSK_.private_seg_size, 0
	.set _ZN7rocprim17ROCPRIM_400000_NS6detail17trampoline_kernelINS0_14default_configENS1_36segmented_radix_sort_config_selectorIilEEZNS1_25segmented_radix_sort_implIS3_Lb1EPKiPiPKlPlN2at6native12_GLOBAL__N_18offset_tEEE10hipError_tPvRmT1_PNSt15iterator_traitsISK_E10value_typeET2_T3_PNSL_ISQ_E10value_typeET4_jRbjT5_SW_jjP12ihipStream_tbEUlT_E1_NS1_11comp_targetILNS1_3genE10ELNS1_11target_archE1201ELNS1_3gpuE5ELNS1_3repE0EEENS1_59segmented_radix_sort_warp_sort_small_config_static_selectorELNS0_4arch9wavefront6targetE0EEEvSK_.uses_vcc, 0
	.set _ZN7rocprim17ROCPRIM_400000_NS6detail17trampoline_kernelINS0_14default_configENS1_36segmented_radix_sort_config_selectorIilEEZNS1_25segmented_radix_sort_implIS3_Lb1EPKiPiPKlPlN2at6native12_GLOBAL__N_18offset_tEEE10hipError_tPvRmT1_PNSt15iterator_traitsISK_E10value_typeET2_T3_PNSL_ISQ_E10value_typeET4_jRbjT5_SW_jjP12ihipStream_tbEUlT_E1_NS1_11comp_targetILNS1_3genE10ELNS1_11target_archE1201ELNS1_3gpuE5ELNS1_3repE0EEENS1_59segmented_radix_sort_warp_sort_small_config_static_selectorELNS0_4arch9wavefront6targetE0EEEvSK_.uses_flat_scratch, 0
	.set _ZN7rocprim17ROCPRIM_400000_NS6detail17trampoline_kernelINS0_14default_configENS1_36segmented_radix_sort_config_selectorIilEEZNS1_25segmented_radix_sort_implIS3_Lb1EPKiPiPKlPlN2at6native12_GLOBAL__N_18offset_tEEE10hipError_tPvRmT1_PNSt15iterator_traitsISK_E10value_typeET2_T3_PNSL_ISQ_E10value_typeET4_jRbjT5_SW_jjP12ihipStream_tbEUlT_E1_NS1_11comp_targetILNS1_3genE10ELNS1_11target_archE1201ELNS1_3gpuE5ELNS1_3repE0EEENS1_59segmented_radix_sort_warp_sort_small_config_static_selectorELNS0_4arch9wavefront6targetE0EEEvSK_.has_dyn_sized_stack, 0
	.set _ZN7rocprim17ROCPRIM_400000_NS6detail17trampoline_kernelINS0_14default_configENS1_36segmented_radix_sort_config_selectorIilEEZNS1_25segmented_radix_sort_implIS3_Lb1EPKiPiPKlPlN2at6native12_GLOBAL__N_18offset_tEEE10hipError_tPvRmT1_PNSt15iterator_traitsISK_E10value_typeET2_T3_PNSL_ISQ_E10value_typeET4_jRbjT5_SW_jjP12ihipStream_tbEUlT_E1_NS1_11comp_targetILNS1_3genE10ELNS1_11target_archE1201ELNS1_3gpuE5ELNS1_3repE0EEENS1_59segmented_radix_sort_warp_sort_small_config_static_selectorELNS0_4arch9wavefront6targetE0EEEvSK_.has_recursion, 0
	.set _ZN7rocprim17ROCPRIM_400000_NS6detail17trampoline_kernelINS0_14default_configENS1_36segmented_radix_sort_config_selectorIilEEZNS1_25segmented_radix_sort_implIS3_Lb1EPKiPiPKlPlN2at6native12_GLOBAL__N_18offset_tEEE10hipError_tPvRmT1_PNSt15iterator_traitsISK_E10value_typeET2_T3_PNSL_ISQ_E10value_typeET4_jRbjT5_SW_jjP12ihipStream_tbEUlT_E1_NS1_11comp_targetILNS1_3genE10ELNS1_11target_archE1201ELNS1_3gpuE5ELNS1_3repE0EEENS1_59segmented_radix_sort_warp_sort_small_config_static_selectorELNS0_4arch9wavefront6targetE0EEEvSK_.has_indirect_call, 0
	.section	.AMDGPU.csdata,"",@progbits
; Kernel info:
; codeLenInByte = 0
; TotalNumSgprs: 0
; NumVgprs: 0
; ScratchSize: 0
; MemoryBound: 0
; FloatMode: 240
; IeeeMode: 1
; LDSByteSize: 0 bytes/workgroup (compile time only)
; SGPRBlocks: 0
; VGPRBlocks: 0
; NumSGPRsForWavesPerEU: 1
; NumVGPRsForWavesPerEU: 1
; Occupancy: 16
; WaveLimiterHint : 0
; COMPUTE_PGM_RSRC2:SCRATCH_EN: 0
; COMPUTE_PGM_RSRC2:USER_SGPR: 6
; COMPUTE_PGM_RSRC2:TRAP_HANDLER: 0
; COMPUTE_PGM_RSRC2:TGID_X_EN: 1
; COMPUTE_PGM_RSRC2:TGID_Y_EN: 0
; COMPUTE_PGM_RSRC2:TGID_Z_EN: 0
; COMPUTE_PGM_RSRC2:TIDIG_COMP_CNT: 0
	.section	.text._ZN7rocprim17ROCPRIM_400000_NS6detail17trampoline_kernelINS0_14default_configENS1_36segmented_radix_sort_config_selectorIilEEZNS1_25segmented_radix_sort_implIS3_Lb1EPKiPiPKlPlN2at6native12_GLOBAL__N_18offset_tEEE10hipError_tPvRmT1_PNSt15iterator_traitsISK_E10value_typeET2_T3_PNSL_ISQ_E10value_typeET4_jRbjT5_SW_jjP12ihipStream_tbEUlT_E1_NS1_11comp_targetILNS1_3genE10ELNS1_11target_archE1200ELNS1_3gpuE4ELNS1_3repE0EEENS1_59segmented_radix_sort_warp_sort_small_config_static_selectorELNS0_4arch9wavefront6targetE0EEEvSK_,"axG",@progbits,_ZN7rocprim17ROCPRIM_400000_NS6detail17trampoline_kernelINS0_14default_configENS1_36segmented_radix_sort_config_selectorIilEEZNS1_25segmented_radix_sort_implIS3_Lb1EPKiPiPKlPlN2at6native12_GLOBAL__N_18offset_tEEE10hipError_tPvRmT1_PNSt15iterator_traitsISK_E10value_typeET2_T3_PNSL_ISQ_E10value_typeET4_jRbjT5_SW_jjP12ihipStream_tbEUlT_E1_NS1_11comp_targetILNS1_3genE10ELNS1_11target_archE1200ELNS1_3gpuE4ELNS1_3repE0EEENS1_59segmented_radix_sort_warp_sort_small_config_static_selectorELNS0_4arch9wavefront6targetE0EEEvSK_,comdat
	.globl	_ZN7rocprim17ROCPRIM_400000_NS6detail17trampoline_kernelINS0_14default_configENS1_36segmented_radix_sort_config_selectorIilEEZNS1_25segmented_radix_sort_implIS3_Lb1EPKiPiPKlPlN2at6native12_GLOBAL__N_18offset_tEEE10hipError_tPvRmT1_PNSt15iterator_traitsISK_E10value_typeET2_T3_PNSL_ISQ_E10value_typeET4_jRbjT5_SW_jjP12ihipStream_tbEUlT_E1_NS1_11comp_targetILNS1_3genE10ELNS1_11target_archE1200ELNS1_3gpuE4ELNS1_3repE0EEENS1_59segmented_radix_sort_warp_sort_small_config_static_selectorELNS0_4arch9wavefront6targetE0EEEvSK_ ; -- Begin function _ZN7rocprim17ROCPRIM_400000_NS6detail17trampoline_kernelINS0_14default_configENS1_36segmented_radix_sort_config_selectorIilEEZNS1_25segmented_radix_sort_implIS3_Lb1EPKiPiPKlPlN2at6native12_GLOBAL__N_18offset_tEEE10hipError_tPvRmT1_PNSt15iterator_traitsISK_E10value_typeET2_T3_PNSL_ISQ_E10value_typeET4_jRbjT5_SW_jjP12ihipStream_tbEUlT_E1_NS1_11comp_targetILNS1_3genE10ELNS1_11target_archE1200ELNS1_3gpuE4ELNS1_3repE0EEENS1_59segmented_radix_sort_warp_sort_small_config_static_selectorELNS0_4arch9wavefront6targetE0EEEvSK_
	.p2align	8
	.type	_ZN7rocprim17ROCPRIM_400000_NS6detail17trampoline_kernelINS0_14default_configENS1_36segmented_radix_sort_config_selectorIilEEZNS1_25segmented_radix_sort_implIS3_Lb1EPKiPiPKlPlN2at6native12_GLOBAL__N_18offset_tEEE10hipError_tPvRmT1_PNSt15iterator_traitsISK_E10value_typeET2_T3_PNSL_ISQ_E10value_typeET4_jRbjT5_SW_jjP12ihipStream_tbEUlT_E1_NS1_11comp_targetILNS1_3genE10ELNS1_11target_archE1200ELNS1_3gpuE4ELNS1_3repE0EEENS1_59segmented_radix_sort_warp_sort_small_config_static_selectorELNS0_4arch9wavefront6targetE0EEEvSK_,@function
_ZN7rocprim17ROCPRIM_400000_NS6detail17trampoline_kernelINS0_14default_configENS1_36segmented_radix_sort_config_selectorIilEEZNS1_25segmented_radix_sort_implIS3_Lb1EPKiPiPKlPlN2at6native12_GLOBAL__N_18offset_tEEE10hipError_tPvRmT1_PNSt15iterator_traitsISK_E10value_typeET2_T3_PNSL_ISQ_E10value_typeET4_jRbjT5_SW_jjP12ihipStream_tbEUlT_E1_NS1_11comp_targetILNS1_3genE10ELNS1_11target_archE1200ELNS1_3gpuE4ELNS1_3repE0EEENS1_59segmented_radix_sort_warp_sort_small_config_static_selectorELNS0_4arch9wavefront6targetE0EEEvSK_: ; @_ZN7rocprim17ROCPRIM_400000_NS6detail17trampoline_kernelINS0_14default_configENS1_36segmented_radix_sort_config_selectorIilEEZNS1_25segmented_radix_sort_implIS3_Lb1EPKiPiPKlPlN2at6native12_GLOBAL__N_18offset_tEEE10hipError_tPvRmT1_PNSt15iterator_traitsISK_E10value_typeET2_T3_PNSL_ISQ_E10value_typeET4_jRbjT5_SW_jjP12ihipStream_tbEUlT_E1_NS1_11comp_targetILNS1_3genE10ELNS1_11target_archE1200ELNS1_3gpuE4ELNS1_3repE0EEENS1_59segmented_radix_sort_warp_sort_small_config_static_selectorELNS0_4arch9wavefront6targetE0EEEvSK_
; %bb.0:
	.section	.rodata,"a",@progbits
	.p2align	6, 0x0
	.amdhsa_kernel _ZN7rocprim17ROCPRIM_400000_NS6detail17trampoline_kernelINS0_14default_configENS1_36segmented_radix_sort_config_selectorIilEEZNS1_25segmented_radix_sort_implIS3_Lb1EPKiPiPKlPlN2at6native12_GLOBAL__N_18offset_tEEE10hipError_tPvRmT1_PNSt15iterator_traitsISK_E10value_typeET2_T3_PNSL_ISQ_E10value_typeET4_jRbjT5_SW_jjP12ihipStream_tbEUlT_E1_NS1_11comp_targetILNS1_3genE10ELNS1_11target_archE1200ELNS1_3gpuE4ELNS1_3repE0EEENS1_59segmented_radix_sort_warp_sort_small_config_static_selectorELNS0_4arch9wavefront6targetE0EEEvSK_
		.amdhsa_group_segment_fixed_size 0
		.amdhsa_private_segment_fixed_size 0
		.amdhsa_kernarg_size 88
		.amdhsa_user_sgpr_count 6
		.amdhsa_user_sgpr_private_segment_buffer 1
		.amdhsa_user_sgpr_dispatch_ptr 0
		.amdhsa_user_sgpr_queue_ptr 0
		.amdhsa_user_sgpr_kernarg_segment_ptr 1
		.amdhsa_user_sgpr_dispatch_id 0
		.amdhsa_user_sgpr_flat_scratch_init 0
		.amdhsa_user_sgpr_private_segment_size 0
		.amdhsa_wavefront_size32 1
		.amdhsa_uses_dynamic_stack 0
		.amdhsa_system_sgpr_private_segment_wavefront_offset 0
		.amdhsa_system_sgpr_workgroup_id_x 1
		.amdhsa_system_sgpr_workgroup_id_y 0
		.amdhsa_system_sgpr_workgroup_id_z 0
		.amdhsa_system_sgpr_workgroup_info 0
		.amdhsa_system_vgpr_workitem_id 0
		.amdhsa_next_free_vgpr 1
		.amdhsa_next_free_sgpr 1
		.amdhsa_reserve_vcc 0
		.amdhsa_reserve_flat_scratch 0
		.amdhsa_float_round_mode_32 0
		.amdhsa_float_round_mode_16_64 0
		.amdhsa_float_denorm_mode_32 3
		.amdhsa_float_denorm_mode_16_64 3
		.amdhsa_dx10_clamp 1
		.amdhsa_ieee_mode 1
		.amdhsa_fp16_overflow 0
		.amdhsa_workgroup_processor_mode 1
		.amdhsa_memory_ordered 1
		.amdhsa_forward_progress 1
		.amdhsa_shared_vgpr_count 0
		.amdhsa_exception_fp_ieee_invalid_op 0
		.amdhsa_exception_fp_denorm_src 0
		.amdhsa_exception_fp_ieee_div_zero 0
		.amdhsa_exception_fp_ieee_overflow 0
		.amdhsa_exception_fp_ieee_underflow 0
		.amdhsa_exception_fp_ieee_inexact 0
		.amdhsa_exception_int_div_zero 0
	.end_amdhsa_kernel
	.section	.text._ZN7rocprim17ROCPRIM_400000_NS6detail17trampoline_kernelINS0_14default_configENS1_36segmented_radix_sort_config_selectorIilEEZNS1_25segmented_radix_sort_implIS3_Lb1EPKiPiPKlPlN2at6native12_GLOBAL__N_18offset_tEEE10hipError_tPvRmT1_PNSt15iterator_traitsISK_E10value_typeET2_T3_PNSL_ISQ_E10value_typeET4_jRbjT5_SW_jjP12ihipStream_tbEUlT_E1_NS1_11comp_targetILNS1_3genE10ELNS1_11target_archE1200ELNS1_3gpuE4ELNS1_3repE0EEENS1_59segmented_radix_sort_warp_sort_small_config_static_selectorELNS0_4arch9wavefront6targetE0EEEvSK_,"axG",@progbits,_ZN7rocprim17ROCPRIM_400000_NS6detail17trampoline_kernelINS0_14default_configENS1_36segmented_radix_sort_config_selectorIilEEZNS1_25segmented_radix_sort_implIS3_Lb1EPKiPiPKlPlN2at6native12_GLOBAL__N_18offset_tEEE10hipError_tPvRmT1_PNSt15iterator_traitsISK_E10value_typeET2_T3_PNSL_ISQ_E10value_typeET4_jRbjT5_SW_jjP12ihipStream_tbEUlT_E1_NS1_11comp_targetILNS1_3genE10ELNS1_11target_archE1200ELNS1_3gpuE4ELNS1_3repE0EEENS1_59segmented_radix_sort_warp_sort_small_config_static_selectorELNS0_4arch9wavefront6targetE0EEEvSK_,comdat
.Lfunc_end519:
	.size	_ZN7rocprim17ROCPRIM_400000_NS6detail17trampoline_kernelINS0_14default_configENS1_36segmented_radix_sort_config_selectorIilEEZNS1_25segmented_radix_sort_implIS3_Lb1EPKiPiPKlPlN2at6native12_GLOBAL__N_18offset_tEEE10hipError_tPvRmT1_PNSt15iterator_traitsISK_E10value_typeET2_T3_PNSL_ISQ_E10value_typeET4_jRbjT5_SW_jjP12ihipStream_tbEUlT_E1_NS1_11comp_targetILNS1_3genE10ELNS1_11target_archE1200ELNS1_3gpuE4ELNS1_3repE0EEENS1_59segmented_radix_sort_warp_sort_small_config_static_selectorELNS0_4arch9wavefront6targetE0EEEvSK_, .Lfunc_end519-_ZN7rocprim17ROCPRIM_400000_NS6detail17trampoline_kernelINS0_14default_configENS1_36segmented_radix_sort_config_selectorIilEEZNS1_25segmented_radix_sort_implIS3_Lb1EPKiPiPKlPlN2at6native12_GLOBAL__N_18offset_tEEE10hipError_tPvRmT1_PNSt15iterator_traitsISK_E10value_typeET2_T3_PNSL_ISQ_E10value_typeET4_jRbjT5_SW_jjP12ihipStream_tbEUlT_E1_NS1_11comp_targetILNS1_3genE10ELNS1_11target_archE1200ELNS1_3gpuE4ELNS1_3repE0EEENS1_59segmented_radix_sort_warp_sort_small_config_static_selectorELNS0_4arch9wavefront6targetE0EEEvSK_
                                        ; -- End function
	.set _ZN7rocprim17ROCPRIM_400000_NS6detail17trampoline_kernelINS0_14default_configENS1_36segmented_radix_sort_config_selectorIilEEZNS1_25segmented_radix_sort_implIS3_Lb1EPKiPiPKlPlN2at6native12_GLOBAL__N_18offset_tEEE10hipError_tPvRmT1_PNSt15iterator_traitsISK_E10value_typeET2_T3_PNSL_ISQ_E10value_typeET4_jRbjT5_SW_jjP12ihipStream_tbEUlT_E1_NS1_11comp_targetILNS1_3genE10ELNS1_11target_archE1200ELNS1_3gpuE4ELNS1_3repE0EEENS1_59segmented_radix_sort_warp_sort_small_config_static_selectorELNS0_4arch9wavefront6targetE0EEEvSK_.num_vgpr, 0
	.set _ZN7rocprim17ROCPRIM_400000_NS6detail17trampoline_kernelINS0_14default_configENS1_36segmented_radix_sort_config_selectorIilEEZNS1_25segmented_radix_sort_implIS3_Lb1EPKiPiPKlPlN2at6native12_GLOBAL__N_18offset_tEEE10hipError_tPvRmT1_PNSt15iterator_traitsISK_E10value_typeET2_T3_PNSL_ISQ_E10value_typeET4_jRbjT5_SW_jjP12ihipStream_tbEUlT_E1_NS1_11comp_targetILNS1_3genE10ELNS1_11target_archE1200ELNS1_3gpuE4ELNS1_3repE0EEENS1_59segmented_radix_sort_warp_sort_small_config_static_selectorELNS0_4arch9wavefront6targetE0EEEvSK_.num_agpr, 0
	.set _ZN7rocprim17ROCPRIM_400000_NS6detail17trampoline_kernelINS0_14default_configENS1_36segmented_radix_sort_config_selectorIilEEZNS1_25segmented_radix_sort_implIS3_Lb1EPKiPiPKlPlN2at6native12_GLOBAL__N_18offset_tEEE10hipError_tPvRmT1_PNSt15iterator_traitsISK_E10value_typeET2_T3_PNSL_ISQ_E10value_typeET4_jRbjT5_SW_jjP12ihipStream_tbEUlT_E1_NS1_11comp_targetILNS1_3genE10ELNS1_11target_archE1200ELNS1_3gpuE4ELNS1_3repE0EEENS1_59segmented_radix_sort_warp_sort_small_config_static_selectorELNS0_4arch9wavefront6targetE0EEEvSK_.numbered_sgpr, 0
	.set _ZN7rocprim17ROCPRIM_400000_NS6detail17trampoline_kernelINS0_14default_configENS1_36segmented_radix_sort_config_selectorIilEEZNS1_25segmented_radix_sort_implIS3_Lb1EPKiPiPKlPlN2at6native12_GLOBAL__N_18offset_tEEE10hipError_tPvRmT1_PNSt15iterator_traitsISK_E10value_typeET2_T3_PNSL_ISQ_E10value_typeET4_jRbjT5_SW_jjP12ihipStream_tbEUlT_E1_NS1_11comp_targetILNS1_3genE10ELNS1_11target_archE1200ELNS1_3gpuE4ELNS1_3repE0EEENS1_59segmented_radix_sort_warp_sort_small_config_static_selectorELNS0_4arch9wavefront6targetE0EEEvSK_.num_named_barrier, 0
	.set _ZN7rocprim17ROCPRIM_400000_NS6detail17trampoline_kernelINS0_14default_configENS1_36segmented_radix_sort_config_selectorIilEEZNS1_25segmented_radix_sort_implIS3_Lb1EPKiPiPKlPlN2at6native12_GLOBAL__N_18offset_tEEE10hipError_tPvRmT1_PNSt15iterator_traitsISK_E10value_typeET2_T3_PNSL_ISQ_E10value_typeET4_jRbjT5_SW_jjP12ihipStream_tbEUlT_E1_NS1_11comp_targetILNS1_3genE10ELNS1_11target_archE1200ELNS1_3gpuE4ELNS1_3repE0EEENS1_59segmented_radix_sort_warp_sort_small_config_static_selectorELNS0_4arch9wavefront6targetE0EEEvSK_.private_seg_size, 0
	.set _ZN7rocprim17ROCPRIM_400000_NS6detail17trampoline_kernelINS0_14default_configENS1_36segmented_radix_sort_config_selectorIilEEZNS1_25segmented_radix_sort_implIS3_Lb1EPKiPiPKlPlN2at6native12_GLOBAL__N_18offset_tEEE10hipError_tPvRmT1_PNSt15iterator_traitsISK_E10value_typeET2_T3_PNSL_ISQ_E10value_typeET4_jRbjT5_SW_jjP12ihipStream_tbEUlT_E1_NS1_11comp_targetILNS1_3genE10ELNS1_11target_archE1200ELNS1_3gpuE4ELNS1_3repE0EEENS1_59segmented_radix_sort_warp_sort_small_config_static_selectorELNS0_4arch9wavefront6targetE0EEEvSK_.uses_vcc, 0
	.set _ZN7rocprim17ROCPRIM_400000_NS6detail17trampoline_kernelINS0_14default_configENS1_36segmented_radix_sort_config_selectorIilEEZNS1_25segmented_radix_sort_implIS3_Lb1EPKiPiPKlPlN2at6native12_GLOBAL__N_18offset_tEEE10hipError_tPvRmT1_PNSt15iterator_traitsISK_E10value_typeET2_T3_PNSL_ISQ_E10value_typeET4_jRbjT5_SW_jjP12ihipStream_tbEUlT_E1_NS1_11comp_targetILNS1_3genE10ELNS1_11target_archE1200ELNS1_3gpuE4ELNS1_3repE0EEENS1_59segmented_radix_sort_warp_sort_small_config_static_selectorELNS0_4arch9wavefront6targetE0EEEvSK_.uses_flat_scratch, 0
	.set _ZN7rocprim17ROCPRIM_400000_NS6detail17trampoline_kernelINS0_14default_configENS1_36segmented_radix_sort_config_selectorIilEEZNS1_25segmented_radix_sort_implIS3_Lb1EPKiPiPKlPlN2at6native12_GLOBAL__N_18offset_tEEE10hipError_tPvRmT1_PNSt15iterator_traitsISK_E10value_typeET2_T3_PNSL_ISQ_E10value_typeET4_jRbjT5_SW_jjP12ihipStream_tbEUlT_E1_NS1_11comp_targetILNS1_3genE10ELNS1_11target_archE1200ELNS1_3gpuE4ELNS1_3repE0EEENS1_59segmented_radix_sort_warp_sort_small_config_static_selectorELNS0_4arch9wavefront6targetE0EEEvSK_.has_dyn_sized_stack, 0
	.set _ZN7rocprim17ROCPRIM_400000_NS6detail17trampoline_kernelINS0_14default_configENS1_36segmented_radix_sort_config_selectorIilEEZNS1_25segmented_radix_sort_implIS3_Lb1EPKiPiPKlPlN2at6native12_GLOBAL__N_18offset_tEEE10hipError_tPvRmT1_PNSt15iterator_traitsISK_E10value_typeET2_T3_PNSL_ISQ_E10value_typeET4_jRbjT5_SW_jjP12ihipStream_tbEUlT_E1_NS1_11comp_targetILNS1_3genE10ELNS1_11target_archE1200ELNS1_3gpuE4ELNS1_3repE0EEENS1_59segmented_radix_sort_warp_sort_small_config_static_selectorELNS0_4arch9wavefront6targetE0EEEvSK_.has_recursion, 0
	.set _ZN7rocprim17ROCPRIM_400000_NS6detail17trampoline_kernelINS0_14default_configENS1_36segmented_radix_sort_config_selectorIilEEZNS1_25segmented_radix_sort_implIS3_Lb1EPKiPiPKlPlN2at6native12_GLOBAL__N_18offset_tEEE10hipError_tPvRmT1_PNSt15iterator_traitsISK_E10value_typeET2_T3_PNSL_ISQ_E10value_typeET4_jRbjT5_SW_jjP12ihipStream_tbEUlT_E1_NS1_11comp_targetILNS1_3genE10ELNS1_11target_archE1200ELNS1_3gpuE4ELNS1_3repE0EEENS1_59segmented_radix_sort_warp_sort_small_config_static_selectorELNS0_4arch9wavefront6targetE0EEEvSK_.has_indirect_call, 0
	.section	.AMDGPU.csdata,"",@progbits
; Kernel info:
; codeLenInByte = 0
; TotalNumSgprs: 0
; NumVgprs: 0
; ScratchSize: 0
; MemoryBound: 0
; FloatMode: 240
; IeeeMode: 1
; LDSByteSize: 0 bytes/workgroup (compile time only)
; SGPRBlocks: 0
; VGPRBlocks: 0
; NumSGPRsForWavesPerEU: 1
; NumVGPRsForWavesPerEU: 1
; Occupancy: 16
; WaveLimiterHint : 0
; COMPUTE_PGM_RSRC2:SCRATCH_EN: 0
; COMPUTE_PGM_RSRC2:USER_SGPR: 6
; COMPUTE_PGM_RSRC2:TRAP_HANDLER: 0
; COMPUTE_PGM_RSRC2:TGID_X_EN: 1
; COMPUTE_PGM_RSRC2:TGID_Y_EN: 0
; COMPUTE_PGM_RSRC2:TGID_Z_EN: 0
; COMPUTE_PGM_RSRC2:TIDIG_COMP_CNT: 0
	.section	.text._ZN7rocprim17ROCPRIM_400000_NS6detail17trampoline_kernelINS0_14default_configENS1_36segmented_radix_sort_config_selectorIilEEZNS1_25segmented_radix_sort_implIS3_Lb1EPKiPiPKlPlN2at6native12_GLOBAL__N_18offset_tEEE10hipError_tPvRmT1_PNSt15iterator_traitsISK_E10value_typeET2_T3_PNSL_ISQ_E10value_typeET4_jRbjT5_SW_jjP12ihipStream_tbEUlT_E1_NS1_11comp_targetILNS1_3genE9ELNS1_11target_archE1100ELNS1_3gpuE3ELNS1_3repE0EEENS1_59segmented_radix_sort_warp_sort_small_config_static_selectorELNS0_4arch9wavefront6targetE0EEEvSK_,"axG",@progbits,_ZN7rocprim17ROCPRIM_400000_NS6detail17trampoline_kernelINS0_14default_configENS1_36segmented_radix_sort_config_selectorIilEEZNS1_25segmented_radix_sort_implIS3_Lb1EPKiPiPKlPlN2at6native12_GLOBAL__N_18offset_tEEE10hipError_tPvRmT1_PNSt15iterator_traitsISK_E10value_typeET2_T3_PNSL_ISQ_E10value_typeET4_jRbjT5_SW_jjP12ihipStream_tbEUlT_E1_NS1_11comp_targetILNS1_3genE9ELNS1_11target_archE1100ELNS1_3gpuE3ELNS1_3repE0EEENS1_59segmented_radix_sort_warp_sort_small_config_static_selectorELNS0_4arch9wavefront6targetE0EEEvSK_,comdat
	.globl	_ZN7rocprim17ROCPRIM_400000_NS6detail17trampoline_kernelINS0_14default_configENS1_36segmented_radix_sort_config_selectorIilEEZNS1_25segmented_radix_sort_implIS3_Lb1EPKiPiPKlPlN2at6native12_GLOBAL__N_18offset_tEEE10hipError_tPvRmT1_PNSt15iterator_traitsISK_E10value_typeET2_T3_PNSL_ISQ_E10value_typeET4_jRbjT5_SW_jjP12ihipStream_tbEUlT_E1_NS1_11comp_targetILNS1_3genE9ELNS1_11target_archE1100ELNS1_3gpuE3ELNS1_3repE0EEENS1_59segmented_radix_sort_warp_sort_small_config_static_selectorELNS0_4arch9wavefront6targetE0EEEvSK_ ; -- Begin function _ZN7rocprim17ROCPRIM_400000_NS6detail17trampoline_kernelINS0_14default_configENS1_36segmented_radix_sort_config_selectorIilEEZNS1_25segmented_radix_sort_implIS3_Lb1EPKiPiPKlPlN2at6native12_GLOBAL__N_18offset_tEEE10hipError_tPvRmT1_PNSt15iterator_traitsISK_E10value_typeET2_T3_PNSL_ISQ_E10value_typeET4_jRbjT5_SW_jjP12ihipStream_tbEUlT_E1_NS1_11comp_targetILNS1_3genE9ELNS1_11target_archE1100ELNS1_3gpuE3ELNS1_3repE0EEENS1_59segmented_radix_sort_warp_sort_small_config_static_selectorELNS0_4arch9wavefront6targetE0EEEvSK_
	.p2align	8
	.type	_ZN7rocprim17ROCPRIM_400000_NS6detail17trampoline_kernelINS0_14default_configENS1_36segmented_radix_sort_config_selectorIilEEZNS1_25segmented_radix_sort_implIS3_Lb1EPKiPiPKlPlN2at6native12_GLOBAL__N_18offset_tEEE10hipError_tPvRmT1_PNSt15iterator_traitsISK_E10value_typeET2_T3_PNSL_ISQ_E10value_typeET4_jRbjT5_SW_jjP12ihipStream_tbEUlT_E1_NS1_11comp_targetILNS1_3genE9ELNS1_11target_archE1100ELNS1_3gpuE3ELNS1_3repE0EEENS1_59segmented_radix_sort_warp_sort_small_config_static_selectorELNS0_4arch9wavefront6targetE0EEEvSK_,@function
_ZN7rocprim17ROCPRIM_400000_NS6detail17trampoline_kernelINS0_14default_configENS1_36segmented_radix_sort_config_selectorIilEEZNS1_25segmented_radix_sort_implIS3_Lb1EPKiPiPKlPlN2at6native12_GLOBAL__N_18offset_tEEE10hipError_tPvRmT1_PNSt15iterator_traitsISK_E10value_typeET2_T3_PNSL_ISQ_E10value_typeET4_jRbjT5_SW_jjP12ihipStream_tbEUlT_E1_NS1_11comp_targetILNS1_3genE9ELNS1_11target_archE1100ELNS1_3gpuE3ELNS1_3repE0EEENS1_59segmented_radix_sort_warp_sort_small_config_static_selectorELNS0_4arch9wavefront6targetE0EEEvSK_: ; @_ZN7rocprim17ROCPRIM_400000_NS6detail17trampoline_kernelINS0_14default_configENS1_36segmented_radix_sort_config_selectorIilEEZNS1_25segmented_radix_sort_implIS3_Lb1EPKiPiPKlPlN2at6native12_GLOBAL__N_18offset_tEEE10hipError_tPvRmT1_PNSt15iterator_traitsISK_E10value_typeET2_T3_PNSL_ISQ_E10value_typeET4_jRbjT5_SW_jjP12ihipStream_tbEUlT_E1_NS1_11comp_targetILNS1_3genE9ELNS1_11target_archE1100ELNS1_3gpuE3ELNS1_3repE0EEENS1_59segmented_radix_sort_warp_sort_small_config_static_selectorELNS0_4arch9wavefront6targetE0EEEvSK_
; %bb.0:
	.section	.rodata,"a",@progbits
	.p2align	6, 0x0
	.amdhsa_kernel _ZN7rocprim17ROCPRIM_400000_NS6detail17trampoline_kernelINS0_14default_configENS1_36segmented_radix_sort_config_selectorIilEEZNS1_25segmented_radix_sort_implIS3_Lb1EPKiPiPKlPlN2at6native12_GLOBAL__N_18offset_tEEE10hipError_tPvRmT1_PNSt15iterator_traitsISK_E10value_typeET2_T3_PNSL_ISQ_E10value_typeET4_jRbjT5_SW_jjP12ihipStream_tbEUlT_E1_NS1_11comp_targetILNS1_3genE9ELNS1_11target_archE1100ELNS1_3gpuE3ELNS1_3repE0EEENS1_59segmented_radix_sort_warp_sort_small_config_static_selectorELNS0_4arch9wavefront6targetE0EEEvSK_
		.amdhsa_group_segment_fixed_size 0
		.amdhsa_private_segment_fixed_size 0
		.amdhsa_kernarg_size 88
		.amdhsa_user_sgpr_count 6
		.amdhsa_user_sgpr_private_segment_buffer 1
		.amdhsa_user_sgpr_dispatch_ptr 0
		.amdhsa_user_sgpr_queue_ptr 0
		.amdhsa_user_sgpr_kernarg_segment_ptr 1
		.amdhsa_user_sgpr_dispatch_id 0
		.amdhsa_user_sgpr_flat_scratch_init 0
		.amdhsa_user_sgpr_private_segment_size 0
		.amdhsa_wavefront_size32 1
		.amdhsa_uses_dynamic_stack 0
		.amdhsa_system_sgpr_private_segment_wavefront_offset 0
		.amdhsa_system_sgpr_workgroup_id_x 1
		.amdhsa_system_sgpr_workgroup_id_y 0
		.amdhsa_system_sgpr_workgroup_id_z 0
		.amdhsa_system_sgpr_workgroup_info 0
		.amdhsa_system_vgpr_workitem_id 0
		.amdhsa_next_free_vgpr 1
		.amdhsa_next_free_sgpr 1
		.amdhsa_reserve_vcc 0
		.amdhsa_reserve_flat_scratch 0
		.amdhsa_float_round_mode_32 0
		.amdhsa_float_round_mode_16_64 0
		.amdhsa_float_denorm_mode_32 3
		.amdhsa_float_denorm_mode_16_64 3
		.amdhsa_dx10_clamp 1
		.amdhsa_ieee_mode 1
		.amdhsa_fp16_overflow 0
		.amdhsa_workgroup_processor_mode 1
		.amdhsa_memory_ordered 1
		.amdhsa_forward_progress 1
		.amdhsa_shared_vgpr_count 0
		.amdhsa_exception_fp_ieee_invalid_op 0
		.amdhsa_exception_fp_denorm_src 0
		.amdhsa_exception_fp_ieee_div_zero 0
		.amdhsa_exception_fp_ieee_overflow 0
		.amdhsa_exception_fp_ieee_underflow 0
		.amdhsa_exception_fp_ieee_inexact 0
		.amdhsa_exception_int_div_zero 0
	.end_amdhsa_kernel
	.section	.text._ZN7rocprim17ROCPRIM_400000_NS6detail17trampoline_kernelINS0_14default_configENS1_36segmented_radix_sort_config_selectorIilEEZNS1_25segmented_radix_sort_implIS3_Lb1EPKiPiPKlPlN2at6native12_GLOBAL__N_18offset_tEEE10hipError_tPvRmT1_PNSt15iterator_traitsISK_E10value_typeET2_T3_PNSL_ISQ_E10value_typeET4_jRbjT5_SW_jjP12ihipStream_tbEUlT_E1_NS1_11comp_targetILNS1_3genE9ELNS1_11target_archE1100ELNS1_3gpuE3ELNS1_3repE0EEENS1_59segmented_radix_sort_warp_sort_small_config_static_selectorELNS0_4arch9wavefront6targetE0EEEvSK_,"axG",@progbits,_ZN7rocprim17ROCPRIM_400000_NS6detail17trampoline_kernelINS0_14default_configENS1_36segmented_radix_sort_config_selectorIilEEZNS1_25segmented_radix_sort_implIS3_Lb1EPKiPiPKlPlN2at6native12_GLOBAL__N_18offset_tEEE10hipError_tPvRmT1_PNSt15iterator_traitsISK_E10value_typeET2_T3_PNSL_ISQ_E10value_typeET4_jRbjT5_SW_jjP12ihipStream_tbEUlT_E1_NS1_11comp_targetILNS1_3genE9ELNS1_11target_archE1100ELNS1_3gpuE3ELNS1_3repE0EEENS1_59segmented_radix_sort_warp_sort_small_config_static_selectorELNS0_4arch9wavefront6targetE0EEEvSK_,comdat
.Lfunc_end520:
	.size	_ZN7rocprim17ROCPRIM_400000_NS6detail17trampoline_kernelINS0_14default_configENS1_36segmented_radix_sort_config_selectorIilEEZNS1_25segmented_radix_sort_implIS3_Lb1EPKiPiPKlPlN2at6native12_GLOBAL__N_18offset_tEEE10hipError_tPvRmT1_PNSt15iterator_traitsISK_E10value_typeET2_T3_PNSL_ISQ_E10value_typeET4_jRbjT5_SW_jjP12ihipStream_tbEUlT_E1_NS1_11comp_targetILNS1_3genE9ELNS1_11target_archE1100ELNS1_3gpuE3ELNS1_3repE0EEENS1_59segmented_radix_sort_warp_sort_small_config_static_selectorELNS0_4arch9wavefront6targetE0EEEvSK_, .Lfunc_end520-_ZN7rocprim17ROCPRIM_400000_NS6detail17trampoline_kernelINS0_14default_configENS1_36segmented_radix_sort_config_selectorIilEEZNS1_25segmented_radix_sort_implIS3_Lb1EPKiPiPKlPlN2at6native12_GLOBAL__N_18offset_tEEE10hipError_tPvRmT1_PNSt15iterator_traitsISK_E10value_typeET2_T3_PNSL_ISQ_E10value_typeET4_jRbjT5_SW_jjP12ihipStream_tbEUlT_E1_NS1_11comp_targetILNS1_3genE9ELNS1_11target_archE1100ELNS1_3gpuE3ELNS1_3repE0EEENS1_59segmented_radix_sort_warp_sort_small_config_static_selectorELNS0_4arch9wavefront6targetE0EEEvSK_
                                        ; -- End function
	.set _ZN7rocprim17ROCPRIM_400000_NS6detail17trampoline_kernelINS0_14default_configENS1_36segmented_radix_sort_config_selectorIilEEZNS1_25segmented_radix_sort_implIS3_Lb1EPKiPiPKlPlN2at6native12_GLOBAL__N_18offset_tEEE10hipError_tPvRmT1_PNSt15iterator_traitsISK_E10value_typeET2_T3_PNSL_ISQ_E10value_typeET4_jRbjT5_SW_jjP12ihipStream_tbEUlT_E1_NS1_11comp_targetILNS1_3genE9ELNS1_11target_archE1100ELNS1_3gpuE3ELNS1_3repE0EEENS1_59segmented_radix_sort_warp_sort_small_config_static_selectorELNS0_4arch9wavefront6targetE0EEEvSK_.num_vgpr, 0
	.set _ZN7rocprim17ROCPRIM_400000_NS6detail17trampoline_kernelINS0_14default_configENS1_36segmented_radix_sort_config_selectorIilEEZNS1_25segmented_radix_sort_implIS3_Lb1EPKiPiPKlPlN2at6native12_GLOBAL__N_18offset_tEEE10hipError_tPvRmT1_PNSt15iterator_traitsISK_E10value_typeET2_T3_PNSL_ISQ_E10value_typeET4_jRbjT5_SW_jjP12ihipStream_tbEUlT_E1_NS1_11comp_targetILNS1_3genE9ELNS1_11target_archE1100ELNS1_3gpuE3ELNS1_3repE0EEENS1_59segmented_radix_sort_warp_sort_small_config_static_selectorELNS0_4arch9wavefront6targetE0EEEvSK_.num_agpr, 0
	.set _ZN7rocprim17ROCPRIM_400000_NS6detail17trampoline_kernelINS0_14default_configENS1_36segmented_radix_sort_config_selectorIilEEZNS1_25segmented_radix_sort_implIS3_Lb1EPKiPiPKlPlN2at6native12_GLOBAL__N_18offset_tEEE10hipError_tPvRmT1_PNSt15iterator_traitsISK_E10value_typeET2_T3_PNSL_ISQ_E10value_typeET4_jRbjT5_SW_jjP12ihipStream_tbEUlT_E1_NS1_11comp_targetILNS1_3genE9ELNS1_11target_archE1100ELNS1_3gpuE3ELNS1_3repE0EEENS1_59segmented_radix_sort_warp_sort_small_config_static_selectorELNS0_4arch9wavefront6targetE0EEEvSK_.numbered_sgpr, 0
	.set _ZN7rocprim17ROCPRIM_400000_NS6detail17trampoline_kernelINS0_14default_configENS1_36segmented_radix_sort_config_selectorIilEEZNS1_25segmented_radix_sort_implIS3_Lb1EPKiPiPKlPlN2at6native12_GLOBAL__N_18offset_tEEE10hipError_tPvRmT1_PNSt15iterator_traitsISK_E10value_typeET2_T3_PNSL_ISQ_E10value_typeET4_jRbjT5_SW_jjP12ihipStream_tbEUlT_E1_NS1_11comp_targetILNS1_3genE9ELNS1_11target_archE1100ELNS1_3gpuE3ELNS1_3repE0EEENS1_59segmented_radix_sort_warp_sort_small_config_static_selectorELNS0_4arch9wavefront6targetE0EEEvSK_.num_named_barrier, 0
	.set _ZN7rocprim17ROCPRIM_400000_NS6detail17trampoline_kernelINS0_14default_configENS1_36segmented_radix_sort_config_selectorIilEEZNS1_25segmented_radix_sort_implIS3_Lb1EPKiPiPKlPlN2at6native12_GLOBAL__N_18offset_tEEE10hipError_tPvRmT1_PNSt15iterator_traitsISK_E10value_typeET2_T3_PNSL_ISQ_E10value_typeET4_jRbjT5_SW_jjP12ihipStream_tbEUlT_E1_NS1_11comp_targetILNS1_3genE9ELNS1_11target_archE1100ELNS1_3gpuE3ELNS1_3repE0EEENS1_59segmented_radix_sort_warp_sort_small_config_static_selectorELNS0_4arch9wavefront6targetE0EEEvSK_.private_seg_size, 0
	.set _ZN7rocprim17ROCPRIM_400000_NS6detail17trampoline_kernelINS0_14default_configENS1_36segmented_radix_sort_config_selectorIilEEZNS1_25segmented_radix_sort_implIS3_Lb1EPKiPiPKlPlN2at6native12_GLOBAL__N_18offset_tEEE10hipError_tPvRmT1_PNSt15iterator_traitsISK_E10value_typeET2_T3_PNSL_ISQ_E10value_typeET4_jRbjT5_SW_jjP12ihipStream_tbEUlT_E1_NS1_11comp_targetILNS1_3genE9ELNS1_11target_archE1100ELNS1_3gpuE3ELNS1_3repE0EEENS1_59segmented_radix_sort_warp_sort_small_config_static_selectorELNS0_4arch9wavefront6targetE0EEEvSK_.uses_vcc, 0
	.set _ZN7rocprim17ROCPRIM_400000_NS6detail17trampoline_kernelINS0_14default_configENS1_36segmented_radix_sort_config_selectorIilEEZNS1_25segmented_radix_sort_implIS3_Lb1EPKiPiPKlPlN2at6native12_GLOBAL__N_18offset_tEEE10hipError_tPvRmT1_PNSt15iterator_traitsISK_E10value_typeET2_T3_PNSL_ISQ_E10value_typeET4_jRbjT5_SW_jjP12ihipStream_tbEUlT_E1_NS1_11comp_targetILNS1_3genE9ELNS1_11target_archE1100ELNS1_3gpuE3ELNS1_3repE0EEENS1_59segmented_radix_sort_warp_sort_small_config_static_selectorELNS0_4arch9wavefront6targetE0EEEvSK_.uses_flat_scratch, 0
	.set _ZN7rocprim17ROCPRIM_400000_NS6detail17trampoline_kernelINS0_14default_configENS1_36segmented_radix_sort_config_selectorIilEEZNS1_25segmented_radix_sort_implIS3_Lb1EPKiPiPKlPlN2at6native12_GLOBAL__N_18offset_tEEE10hipError_tPvRmT1_PNSt15iterator_traitsISK_E10value_typeET2_T3_PNSL_ISQ_E10value_typeET4_jRbjT5_SW_jjP12ihipStream_tbEUlT_E1_NS1_11comp_targetILNS1_3genE9ELNS1_11target_archE1100ELNS1_3gpuE3ELNS1_3repE0EEENS1_59segmented_radix_sort_warp_sort_small_config_static_selectorELNS0_4arch9wavefront6targetE0EEEvSK_.has_dyn_sized_stack, 0
	.set _ZN7rocprim17ROCPRIM_400000_NS6detail17trampoline_kernelINS0_14default_configENS1_36segmented_radix_sort_config_selectorIilEEZNS1_25segmented_radix_sort_implIS3_Lb1EPKiPiPKlPlN2at6native12_GLOBAL__N_18offset_tEEE10hipError_tPvRmT1_PNSt15iterator_traitsISK_E10value_typeET2_T3_PNSL_ISQ_E10value_typeET4_jRbjT5_SW_jjP12ihipStream_tbEUlT_E1_NS1_11comp_targetILNS1_3genE9ELNS1_11target_archE1100ELNS1_3gpuE3ELNS1_3repE0EEENS1_59segmented_radix_sort_warp_sort_small_config_static_selectorELNS0_4arch9wavefront6targetE0EEEvSK_.has_recursion, 0
	.set _ZN7rocprim17ROCPRIM_400000_NS6detail17trampoline_kernelINS0_14default_configENS1_36segmented_radix_sort_config_selectorIilEEZNS1_25segmented_radix_sort_implIS3_Lb1EPKiPiPKlPlN2at6native12_GLOBAL__N_18offset_tEEE10hipError_tPvRmT1_PNSt15iterator_traitsISK_E10value_typeET2_T3_PNSL_ISQ_E10value_typeET4_jRbjT5_SW_jjP12ihipStream_tbEUlT_E1_NS1_11comp_targetILNS1_3genE9ELNS1_11target_archE1100ELNS1_3gpuE3ELNS1_3repE0EEENS1_59segmented_radix_sort_warp_sort_small_config_static_selectorELNS0_4arch9wavefront6targetE0EEEvSK_.has_indirect_call, 0
	.section	.AMDGPU.csdata,"",@progbits
; Kernel info:
; codeLenInByte = 0
; TotalNumSgprs: 0
; NumVgprs: 0
; ScratchSize: 0
; MemoryBound: 0
; FloatMode: 240
; IeeeMode: 1
; LDSByteSize: 0 bytes/workgroup (compile time only)
; SGPRBlocks: 0
; VGPRBlocks: 0
; NumSGPRsForWavesPerEU: 1
; NumVGPRsForWavesPerEU: 1
; Occupancy: 16
; WaveLimiterHint : 0
; COMPUTE_PGM_RSRC2:SCRATCH_EN: 0
; COMPUTE_PGM_RSRC2:USER_SGPR: 6
; COMPUTE_PGM_RSRC2:TRAP_HANDLER: 0
; COMPUTE_PGM_RSRC2:TGID_X_EN: 1
; COMPUTE_PGM_RSRC2:TGID_Y_EN: 0
; COMPUTE_PGM_RSRC2:TGID_Z_EN: 0
; COMPUTE_PGM_RSRC2:TIDIG_COMP_CNT: 0
	.section	.text._ZN7rocprim17ROCPRIM_400000_NS6detail17trampoline_kernelINS0_14default_configENS1_36segmented_radix_sort_config_selectorIilEEZNS1_25segmented_radix_sort_implIS3_Lb1EPKiPiPKlPlN2at6native12_GLOBAL__N_18offset_tEEE10hipError_tPvRmT1_PNSt15iterator_traitsISK_E10value_typeET2_T3_PNSL_ISQ_E10value_typeET4_jRbjT5_SW_jjP12ihipStream_tbEUlT_E1_NS1_11comp_targetILNS1_3genE8ELNS1_11target_archE1030ELNS1_3gpuE2ELNS1_3repE0EEENS1_59segmented_radix_sort_warp_sort_small_config_static_selectorELNS0_4arch9wavefront6targetE0EEEvSK_,"axG",@progbits,_ZN7rocprim17ROCPRIM_400000_NS6detail17trampoline_kernelINS0_14default_configENS1_36segmented_radix_sort_config_selectorIilEEZNS1_25segmented_radix_sort_implIS3_Lb1EPKiPiPKlPlN2at6native12_GLOBAL__N_18offset_tEEE10hipError_tPvRmT1_PNSt15iterator_traitsISK_E10value_typeET2_T3_PNSL_ISQ_E10value_typeET4_jRbjT5_SW_jjP12ihipStream_tbEUlT_E1_NS1_11comp_targetILNS1_3genE8ELNS1_11target_archE1030ELNS1_3gpuE2ELNS1_3repE0EEENS1_59segmented_radix_sort_warp_sort_small_config_static_selectorELNS0_4arch9wavefront6targetE0EEEvSK_,comdat
	.globl	_ZN7rocprim17ROCPRIM_400000_NS6detail17trampoline_kernelINS0_14default_configENS1_36segmented_radix_sort_config_selectorIilEEZNS1_25segmented_radix_sort_implIS3_Lb1EPKiPiPKlPlN2at6native12_GLOBAL__N_18offset_tEEE10hipError_tPvRmT1_PNSt15iterator_traitsISK_E10value_typeET2_T3_PNSL_ISQ_E10value_typeET4_jRbjT5_SW_jjP12ihipStream_tbEUlT_E1_NS1_11comp_targetILNS1_3genE8ELNS1_11target_archE1030ELNS1_3gpuE2ELNS1_3repE0EEENS1_59segmented_radix_sort_warp_sort_small_config_static_selectorELNS0_4arch9wavefront6targetE0EEEvSK_ ; -- Begin function _ZN7rocprim17ROCPRIM_400000_NS6detail17trampoline_kernelINS0_14default_configENS1_36segmented_radix_sort_config_selectorIilEEZNS1_25segmented_radix_sort_implIS3_Lb1EPKiPiPKlPlN2at6native12_GLOBAL__N_18offset_tEEE10hipError_tPvRmT1_PNSt15iterator_traitsISK_E10value_typeET2_T3_PNSL_ISQ_E10value_typeET4_jRbjT5_SW_jjP12ihipStream_tbEUlT_E1_NS1_11comp_targetILNS1_3genE8ELNS1_11target_archE1030ELNS1_3gpuE2ELNS1_3repE0EEENS1_59segmented_radix_sort_warp_sort_small_config_static_selectorELNS0_4arch9wavefront6targetE0EEEvSK_
	.p2align	8
	.type	_ZN7rocprim17ROCPRIM_400000_NS6detail17trampoline_kernelINS0_14default_configENS1_36segmented_radix_sort_config_selectorIilEEZNS1_25segmented_radix_sort_implIS3_Lb1EPKiPiPKlPlN2at6native12_GLOBAL__N_18offset_tEEE10hipError_tPvRmT1_PNSt15iterator_traitsISK_E10value_typeET2_T3_PNSL_ISQ_E10value_typeET4_jRbjT5_SW_jjP12ihipStream_tbEUlT_E1_NS1_11comp_targetILNS1_3genE8ELNS1_11target_archE1030ELNS1_3gpuE2ELNS1_3repE0EEENS1_59segmented_radix_sort_warp_sort_small_config_static_selectorELNS0_4arch9wavefront6targetE0EEEvSK_,@function
_ZN7rocprim17ROCPRIM_400000_NS6detail17trampoline_kernelINS0_14default_configENS1_36segmented_radix_sort_config_selectorIilEEZNS1_25segmented_radix_sort_implIS3_Lb1EPKiPiPKlPlN2at6native12_GLOBAL__N_18offset_tEEE10hipError_tPvRmT1_PNSt15iterator_traitsISK_E10value_typeET2_T3_PNSL_ISQ_E10value_typeET4_jRbjT5_SW_jjP12ihipStream_tbEUlT_E1_NS1_11comp_targetILNS1_3genE8ELNS1_11target_archE1030ELNS1_3gpuE2ELNS1_3repE0EEENS1_59segmented_radix_sort_warp_sort_small_config_static_selectorELNS0_4arch9wavefront6targetE0EEEvSK_: ; @_ZN7rocprim17ROCPRIM_400000_NS6detail17trampoline_kernelINS0_14default_configENS1_36segmented_radix_sort_config_selectorIilEEZNS1_25segmented_radix_sort_implIS3_Lb1EPKiPiPKlPlN2at6native12_GLOBAL__N_18offset_tEEE10hipError_tPvRmT1_PNSt15iterator_traitsISK_E10value_typeET2_T3_PNSL_ISQ_E10value_typeET4_jRbjT5_SW_jjP12ihipStream_tbEUlT_E1_NS1_11comp_targetILNS1_3genE8ELNS1_11target_archE1030ELNS1_3gpuE2ELNS1_3repE0EEENS1_59segmented_radix_sort_warp_sort_small_config_static_selectorELNS0_4arch9wavefront6targetE0EEEvSK_
; %bb.0:
	s_add_u32 s0, s0, s8
	s_load_dword s8, s[4:5], 0x64
	s_addc_u32 s1, s1, 0
	s_mov_b32 s32, 0
	s_waitcnt lgkmcnt(0)
	s_lshr_b32 s9, s8, 16
	s_and_b32 s8, s8, 0xffff
	v_mad_u32_u24 v3, v2, s9, v1
	s_load_dword s9, s[4:5], 0x34
	v_mad_u64_u32 v[3:4], null, v3, s8, v[0:1]
	s_mov_b32 s8, exec_lo
	v_lshrrev_b32_e32 v3, 5, v3
	v_lshl_add_u32 v3, s6, 3, v3
	s_waitcnt lgkmcnt(0)
	v_cmpx_gt_u32_e64 s9, v3
	s_cbranch_execz .LBB521_6
; %bb.1:
	s_clause 0x1
	s_load_dwordx2 s[12:13], s[4:5], 0x38
	s_load_dwordx4 s[8:11], s[4:5], 0x40
	v_mov_b32_e32 v4, 0
	v_lshlrev_b64 v[3:4], 2, v[3:4]
	s_waitcnt lgkmcnt(0)
	v_sub_co_u32 v3, vcc_lo, s12, v3
	v_sub_co_ci_u32_e64 v4, null, s13, v4, vcc_lo
	global_load_dword v3, v[3:4], off offset:-4
	s_waitcnt vmcnt(0)
	v_add_nc_u32_e32 v4, s9, v3
	v_add_nc_u32_e32 v3, s11, v3
	v_mul_lo_u32 v40, v4, s8
	v_mul_lo_u32 v41, v3, s10
	v_cmp_gt_u32_e32 vcc_lo, v41, v40
	s_and_b32 exec_lo, exec_lo, vcc_lo
	s_cbranch_execz .LBB521_6
; %bb.2:
	s_clause 0x3
	s_load_dword s8, s[4:5], 0x30
	s_load_dwordx4 s[36:39], s[4:5], 0x20
	s_load_dwordx8 s[20:27], s[4:5], 0x0
	s_load_dwordx2 s[28:29], s[4:5], 0x50
	v_lshlrev_b32_e32 v43, 20, v2
	v_lshlrev_b32_e32 v44, 10, v1
	s_waitcnt lgkmcnt(0)
	s_bitcmp0_b32 s8, 0
	s_mov_b32 s8, -1
	s_cbranch_scc0 .LBB521_4
; %bb.3:
	s_mov_b64 s[10:11], src_shared_base
	v_or3_b32 v31, v0, v44, v43
	v_mov_b32_e32 v42, v0
	v_mov_b32_e32 v0, s20
	;; [unrolled: 1-line block ×15, first 2 shown]
	s_add_u32 s8, s4, 0x58
	s_addc_u32 s9, s5, 0
	s_getpc_b64 s[14:15]
	s_add_u32 s14, s14, _ZN7rocprim17ROCPRIM_400000_NS6detail26segmented_warp_sort_helperINS1_20WarpSortHelperConfigILj32ELj4ELj256EEEilLi256ELb1EvE4sortIPKiPiPKlPlEEvT_T0_T1_T2_jjjjRNS5_12storage_typeE@rel32@lo+4
	s_addc_u32 s15, s15, _ZN7rocprim17ROCPRIM_400000_NS6detail26segmented_warp_sort_helperINS1_20WarpSortHelperConfigILj32ELj4ELj256EEEilLi256ELb1EvE4sortIPKiPiPKlPlEEvT_T0_T1_T2_jjjjRNS5_12storage_typeE@rel32@hi+12
	s_mov_b32 s12, s6
	s_mov_b32 s13, s7
	s_mov_b64 s[22:23], s[4:5]
	s_mov_b32 s19, s7
	s_mov_b32 s33, s6
	s_swappc_b64 s[30:31], s[14:15]
	v_mov_b32_e32 v0, v42
	s_mov_b32 s6, s33
	s_mov_b32 s7, s19
	s_mov_b64 s[4:5], s[22:23]
	s_mov_b32 s8, 0
.LBB521_4:
	s_andn2_b32 vcc_lo, exec_lo, s8
	s_cbranch_vccnz .LBB521_6
; %bb.5:
	s_mov_b64 s[10:11], src_shared_base
	v_or3_b32 v31, v0, v44, v43
	v_mov_b32_e32 v0, s20
	v_mov_b32_e32 v1, s21
	;; [unrolled: 1-line block ×14, first 2 shown]
	s_add_u32 s8, s4, 0x58
	s_addc_u32 s9, s5, 0
	s_getpc_b64 s[4:5]
	s_add_u32 s4, s4, _ZN7rocprim17ROCPRIM_400000_NS6detail26segmented_warp_sort_helperINS1_20WarpSortHelperConfigILj32ELj4ELj256EEEilLi256ELb1EvE4sortIPKiPiPKlPlEEvT_T0_T1_T2_jjjjRNS5_12storage_typeE@rel32@lo+4
	s_addc_u32 s5, s5, _ZN7rocprim17ROCPRIM_400000_NS6detail26segmented_warp_sort_helperINS1_20WarpSortHelperConfigILj32ELj4ELj256EEEilLi256ELb1EvE4sortIPKiPiPKlPlEEvT_T0_T1_T2_jjjjRNS5_12storage_typeE@rel32@hi+12
	s_mov_b32 s12, s6
	s_mov_b32 s13, s7
	s_swappc_b64 s[30:31], s[4:5]
.LBB521_6:
	s_endpgm
	.section	.rodata,"a",@progbits
	.p2align	6, 0x0
	.amdhsa_kernel _ZN7rocprim17ROCPRIM_400000_NS6detail17trampoline_kernelINS0_14default_configENS1_36segmented_radix_sort_config_selectorIilEEZNS1_25segmented_radix_sort_implIS3_Lb1EPKiPiPKlPlN2at6native12_GLOBAL__N_18offset_tEEE10hipError_tPvRmT1_PNSt15iterator_traitsISK_E10value_typeET2_T3_PNSL_ISQ_E10value_typeET4_jRbjT5_SW_jjP12ihipStream_tbEUlT_E1_NS1_11comp_targetILNS1_3genE8ELNS1_11target_archE1030ELNS1_3gpuE2ELNS1_3repE0EEENS1_59segmented_radix_sort_warp_sort_small_config_static_selectorELNS0_4arch9wavefront6targetE0EEEvSK_
		.amdhsa_group_segment_fixed_size 12288
		.amdhsa_private_segment_fixed_size 0
		.amdhsa_kernarg_size 344
		.amdhsa_user_sgpr_count 6
		.amdhsa_user_sgpr_private_segment_buffer 1
		.amdhsa_user_sgpr_dispatch_ptr 0
		.amdhsa_user_sgpr_queue_ptr 0
		.amdhsa_user_sgpr_kernarg_segment_ptr 1
		.amdhsa_user_sgpr_dispatch_id 0
		.amdhsa_user_sgpr_flat_scratch_init 0
		.amdhsa_user_sgpr_private_segment_size 0
		.amdhsa_wavefront_size32 1
		.amdhsa_uses_dynamic_stack 0
		.amdhsa_system_sgpr_private_segment_wavefront_offset 0
		.amdhsa_system_sgpr_workgroup_id_x 1
		.amdhsa_system_sgpr_workgroup_id_y 1
		.amdhsa_system_sgpr_workgroup_id_z 0
		.amdhsa_system_sgpr_workgroup_info 0
		.amdhsa_system_vgpr_workitem_id 2
		.amdhsa_next_free_vgpr 54
		.amdhsa_next_free_sgpr 40
		.amdhsa_reserve_vcc 1
		.amdhsa_reserve_flat_scratch 0
		.amdhsa_float_round_mode_32 0
		.amdhsa_float_round_mode_16_64 0
		.amdhsa_float_denorm_mode_32 3
		.amdhsa_float_denorm_mode_16_64 3
		.amdhsa_dx10_clamp 1
		.amdhsa_ieee_mode 1
		.amdhsa_fp16_overflow 0
		.amdhsa_workgroup_processor_mode 1
		.amdhsa_memory_ordered 1
		.amdhsa_forward_progress 1
		.amdhsa_shared_vgpr_count 0
		.amdhsa_exception_fp_ieee_invalid_op 0
		.amdhsa_exception_fp_denorm_src 0
		.amdhsa_exception_fp_ieee_div_zero 0
		.amdhsa_exception_fp_ieee_overflow 0
		.amdhsa_exception_fp_ieee_underflow 0
		.amdhsa_exception_fp_ieee_inexact 0
		.amdhsa_exception_int_div_zero 0
	.end_amdhsa_kernel
	.section	.text._ZN7rocprim17ROCPRIM_400000_NS6detail17trampoline_kernelINS0_14default_configENS1_36segmented_radix_sort_config_selectorIilEEZNS1_25segmented_radix_sort_implIS3_Lb1EPKiPiPKlPlN2at6native12_GLOBAL__N_18offset_tEEE10hipError_tPvRmT1_PNSt15iterator_traitsISK_E10value_typeET2_T3_PNSL_ISQ_E10value_typeET4_jRbjT5_SW_jjP12ihipStream_tbEUlT_E1_NS1_11comp_targetILNS1_3genE8ELNS1_11target_archE1030ELNS1_3gpuE2ELNS1_3repE0EEENS1_59segmented_radix_sort_warp_sort_small_config_static_selectorELNS0_4arch9wavefront6targetE0EEEvSK_,"axG",@progbits,_ZN7rocprim17ROCPRIM_400000_NS6detail17trampoline_kernelINS0_14default_configENS1_36segmented_radix_sort_config_selectorIilEEZNS1_25segmented_radix_sort_implIS3_Lb1EPKiPiPKlPlN2at6native12_GLOBAL__N_18offset_tEEE10hipError_tPvRmT1_PNSt15iterator_traitsISK_E10value_typeET2_T3_PNSL_ISQ_E10value_typeET4_jRbjT5_SW_jjP12ihipStream_tbEUlT_E1_NS1_11comp_targetILNS1_3genE8ELNS1_11target_archE1030ELNS1_3gpuE2ELNS1_3repE0EEENS1_59segmented_radix_sort_warp_sort_small_config_static_selectorELNS0_4arch9wavefront6targetE0EEEvSK_,comdat
.Lfunc_end521:
	.size	_ZN7rocprim17ROCPRIM_400000_NS6detail17trampoline_kernelINS0_14default_configENS1_36segmented_radix_sort_config_selectorIilEEZNS1_25segmented_radix_sort_implIS3_Lb1EPKiPiPKlPlN2at6native12_GLOBAL__N_18offset_tEEE10hipError_tPvRmT1_PNSt15iterator_traitsISK_E10value_typeET2_T3_PNSL_ISQ_E10value_typeET4_jRbjT5_SW_jjP12ihipStream_tbEUlT_E1_NS1_11comp_targetILNS1_3genE8ELNS1_11target_archE1030ELNS1_3gpuE2ELNS1_3repE0EEENS1_59segmented_radix_sort_warp_sort_small_config_static_selectorELNS0_4arch9wavefront6targetE0EEEvSK_, .Lfunc_end521-_ZN7rocprim17ROCPRIM_400000_NS6detail17trampoline_kernelINS0_14default_configENS1_36segmented_radix_sort_config_selectorIilEEZNS1_25segmented_radix_sort_implIS3_Lb1EPKiPiPKlPlN2at6native12_GLOBAL__N_18offset_tEEE10hipError_tPvRmT1_PNSt15iterator_traitsISK_E10value_typeET2_T3_PNSL_ISQ_E10value_typeET4_jRbjT5_SW_jjP12ihipStream_tbEUlT_E1_NS1_11comp_targetILNS1_3genE8ELNS1_11target_archE1030ELNS1_3gpuE2ELNS1_3repE0EEENS1_59segmented_radix_sort_warp_sort_small_config_static_selectorELNS0_4arch9wavefront6targetE0EEEvSK_
                                        ; -- End function
	.set _ZN7rocprim17ROCPRIM_400000_NS6detail17trampoline_kernelINS0_14default_configENS1_36segmented_radix_sort_config_selectorIilEEZNS1_25segmented_radix_sort_implIS3_Lb1EPKiPiPKlPlN2at6native12_GLOBAL__N_18offset_tEEE10hipError_tPvRmT1_PNSt15iterator_traitsISK_E10value_typeET2_T3_PNSL_ISQ_E10value_typeET4_jRbjT5_SW_jjP12ihipStream_tbEUlT_E1_NS1_11comp_targetILNS1_3genE8ELNS1_11target_archE1030ELNS1_3gpuE2ELNS1_3repE0EEENS1_59segmented_radix_sort_warp_sort_small_config_static_selectorELNS0_4arch9wavefront6targetE0EEEvSK_.num_vgpr, max(45, .L_ZN7rocprim17ROCPRIM_400000_NS6detail26segmented_warp_sort_helperINS1_20WarpSortHelperConfigILj32ELj4ELj256EEEilLi256ELb1EvE4sortIPKiPiPKlPlEEvT_T0_T1_T2_jjjjRNS5_12storage_typeE.num_vgpr)
	.set _ZN7rocprim17ROCPRIM_400000_NS6detail17trampoline_kernelINS0_14default_configENS1_36segmented_radix_sort_config_selectorIilEEZNS1_25segmented_radix_sort_implIS3_Lb1EPKiPiPKlPlN2at6native12_GLOBAL__N_18offset_tEEE10hipError_tPvRmT1_PNSt15iterator_traitsISK_E10value_typeET2_T3_PNSL_ISQ_E10value_typeET4_jRbjT5_SW_jjP12ihipStream_tbEUlT_E1_NS1_11comp_targetILNS1_3genE8ELNS1_11target_archE1030ELNS1_3gpuE2ELNS1_3repE0EEENS1_59segmented_radix_sort_warp_sort_small_config_static_selectorELNS0_4arch9wavefront6targetE0EEEvSK_.num_agpr, max(0, .L_ZN7rocprim17ROCPRIM_400000_NS6detail26segmented_warp_sort_helperINS1_20WarpSortHelperConfigILj32ELj4ELj256EEEilLi256ELb1EvE4sortIPKiPiPKlPlEEvT_T0_T1_T2_jjjjRNS5_12storage_typeE.num_agpr)
	.set _ZN7rocprim17ROCPRIM_400000_NS6detail17trampoline_kernelINS0_14default_configENS1_36segmented_radix_sort_config_selectorIilEEZNS1_25segmented_radix_sort_implIS3_Lb1EPKiPiPKlPlN2at6native12_GLOBAL__N_18offset_tEEE10hipError_tPvRmT1_PNSt15iterator_traitsISK_E10value_typeET2_T3_PNSL_ISQ_E10value_typeET4_jRbjT5_SW_jjP12ihipStream_tbEUlT_E1_NS1_11comp_targetILNS1_3genE8ELNS1_11target_archE1030ELNS1_3gpuE2ELNS1_3repE0EEENS1_59segmented_radix_sort_warp_sort_small_config_static_selectorELNS0_4arch9wavefront6targetE0EEEvSK_.numbered_sgpr, max(40, .L_ZN7rocprim17ROCPRIM_400000_NS6detail26segmented_warp_sort_helperINS1_20WarpSortHelperConfigILj32ELj4ELj256EEEilLi256ELb1EvE4sortIPKiPiPKlPlEEvT_T0_T1_T2_jjjjRNS5_12storage_typeE.numbered_sgpr)
	.set _ZN7rocprim17ROCPRIM_400000_NS6detail17trampoline_kernelINS0_14default_configENS1_36segmented_radix_sort_config_selectorIilEEZNS1_25segmented_radix_sort_implIS3_Lb1EPKiPiPKlPlN2at6native12_GLOBAL__N_18offset_tEEE10hipError_tPvRmT1_PNSt15iterator_traitsISK_E10value_typeET2_T3_PNSL_ISQ_E10value_typeET4_jRbjT5_SW_jjP12ihipStream_tbEUlT_E1_NS1_11comp_targetILNS1_3genE8ELNS1_11target_archE1030ELNS1_3gpuE2ELNS1_3repE0EEENS1_59segmented_radix_sort_warp_sort_small_config_static_selectorELNS0_4arch9wavefront6targetE0EEEvSK_.num_named_barrier, max(0, .L_ZN7rocprim17ROCPRIM_400000_NS6detail26segmented_warp_sort_helperINS1_20WarpSortHelperConfigILj32ELj4ELj256EEEilLi256ELb1EvE4sortIPKiPiPKlPlEEvT_T0_T1_T2_jjjjRNS5_12storage_typeE.num_named_barrier)
	.set _ZN7rocprim17ROCPRIM_400000_NS6detail17trampoline_kernelINS0_14default_configENS1_36segmented_radix_sort_config_selectorIilEEZNS1_25segmented_radix_sort_implIS3_Lb1EPKiPiPKlPlN2at6native12_GLOBAL__N_18offset_tEEE10hipError_tPvRmT1_PNSt15iterator_traitsISK_E10value_typeET2_T3_PNSL_ISQ_E10value_typeET4_jRbjT5_SW_jjP12ihipStream_tbEUlT_E1_NS1_11comp_targetILNS1_3genE8ELNS1_11target_archE1030ELNS1_3gpuE2ELNS1_3repE0EEENS1_59segmented_radix_sort_warp_sort_small_config_static_selectorELNS0_4arch9wavefront6targetE0EEEvSK_.private_seg_size, 0+max(.L_ZN7rocprim17ROCPRIM_400000_NS6detail26segmented_warp_sort_helperINS1_20WarpSortHelperConfigILj32ELj4ELj256EEEilLi256ELb1EvE4sortIPKiPiPKlPlEEvT_T0_T1_T2_jjjjRNS5_12storage_typeE.private_seg_size)
	.set _ZN7rocprim17ROCPRIM_400000_NS6detail17trampoline_kernelINS0_14default_configENS1_36segmented_radix_sort_config_selectorIilEEZNS1_25segmented_radix_sort_implIS3_Lb1EPKiPiPKlPlN2at6native12_GLOBAL__N_18offset_tEEE10hipError_tPvRmT1_PNSt15iterator_traitsISK_E10value_typeET2_T3_PNSL_ISQ_E10value_typeET4_jRbjT5_SW_jjP12ihipStream_tbEUlT_E1_NS1_11comp_targetILNS1_3genE8ELNS1_11target_archE1030ELNS1_3gpuE2ELNS1_3repE0EEENS1_59segmented_radix_sort_warp_sort_small_config_static_selectorELNS0_4arch9wavefront6targetE0EEEvSK_.uses_vcc, or(1, .L_ZN7rocprim17ROCPRIM_400000_NS6detail26segmented_warp_sort_helperINS1_20WarpSortHelperConfigILj32ELj4ELj256EEEilLi256ELb1EvE4sortIPKiPiPKlPlEEvT_T0_T1_T2_jjjjRNS5_12storage_typeE.uses_vcc)
	.set _ZN7rocprim17ROCPRIM_400000_NS6detail17trampoline_kernelINS0_14default_configENS1_36segmented_radix_sort_config_selectorIilEEZNS1_25segmented_radix_sort_implIS3_Lb1EPKiPiPKlPlN2at6native12_GLOBAL__N_18offset_tEEE10hipError_tPvRmT1_PNSt15iterator_traitsISK_E10value_typeET2_T3_PNSL_ISQ_E10value_typeET4_jRbjT5_SW_jjP12ihipStream_tbEUlT_E1_NS1_11comp_targetILNS1_3genE8ELNS1_11target_archE1030ELNS1_3gpuE2ELNS1_3repE0EEENS1_59segmented_radix_sort_warp_sort_small_config_static_selectorELNS0_4arch9wavefront6targetE0EEEvSK_.uses_flat_scratch, or(0, .L_ZN7rocprim17ROCPRIM_400000_NS6detail26segmented_warp_sort_helperINS1_20WarpSortHelperConfigILj32ELj4ELj256EEEilLi256ELb1EvE4sortIPKiPiPKlPlEEvT_T0_T1_T2_jjjjRNS5_12storage_typeE.uses_flat_scratch)
	.set _ZN7rocprim17ROCPRIM_400000_NS6detail17trampoline_kernelINS0_14default_configENS1_36segmented_radix_sort_config_selectorIilEEZNS1_25segmented_radix_sort_implIS3_Lb1EPKiPiPKlPlN2at6native12_GLOBAL__N_18offset_tEEE10hipError_tPvRmT1_PNSt15iterator_traitsISK_E10value_typeET2_T3_PNSL_ISQ_E10value_typeET4_jRbjT5_SW_jjP12ihipStream_tbEUlT_E1_NS1_11comp_targetILNS1_3genE8ELNS1_11target_archE1030ELNS1_3gpuE2ELNS1_3repE0EEENS1_59segmented_radix_sort_warp_sort_small_config_static_selectorELNS0_4arch9wavefront6targetE0EEEvSK_.has_dyn_sized_stack, or(0, .L_ZN7rocprim17ROCPRIM_400000_NS6detail26segmented_warp_sort_helperINS1_20WarpSortHelperConfigILj32ELj4ELj256EEEilLi256ELb1EvE4sortIPKiPiPKlPlEEvT_T0_T1_T2_jjjjRNS5_12storage_typeE.has_dyn_sized_stack)
	.set _ZN7rocprim17ROCPRIM_400000_NS6detail17trampoline_kernelINS0_14default_configENS1_36segmented_radix_sort_config_selectorIilEEZNS1_25segmented_radix_sort_implIS3_Lb1EPKiPiPKlPlN2at6native12_GLOBAL__N_18offset_tEEE10hipError_tPvRmT1_PNSt15iterator_traitsISK_E10value_typeET2_T3_PNSL_ISQ_E10value_typeET4_jRbjT5_SW_jjP12ihipStream_tbEUlT_E1_NS1_11comp_targetILNS1_3genE8ELNS1_11target_archE1030ELNS1_3gpuE2ELNS1_3repE0EEENS1_59segmented_radix_sort_warp_sort_small_config_static_selectorELNS0_4arch9wavefront6targetE0EEEvSK_.has_recursion, or(0, .L_ZN7rocprim17ROCPRIM_400000_NS6detail26segmented_warp_sort_helperINS1_20WarpSortHelperConfigILj32ELj4ELj256EEEilLi256ELb1EvE4sortIPKiPiPKlPlEEvT_T0_T1_T2_jjjjRNS5_12storage_typeE.has_recursion)
	.set _ZN7rocprim17ROCPRIM_400000_NS6detail17trampoline_kernelINS0_14default_configENS1_36segmented_radix_sort_config_selectorIilEEZNS1_25segmented_radix_sort_implIS3_Lb1EPKiPiPKlPlN2at6native12_GLOBAL__N_18offset_tEEE10hipError_tPvRmT1_PNSt15iterator_traitsISK_E10value_typeET2_T3_PNSL_ISQ_E10value_typeET4_jRbjT5_SW_jjP12ihipStream_tbEUlT_E1_NS1_11comp_targetILNS1_3genE8ELNS1_11target_archE1030ELNS1_3gpuE2ELNS1_3repE0EEENS1_59segmented_radix_sort_warp_sort_small_config_static_selectorELNS0_4arch9wavefront6targetE0EEEvSK_.has_indirect_call, or(0, .L_ZN7rocprim17ROCPRIM_400000_NS6detail26segmented_warp_sort_helperINS1_20WarpSortHelperConfigILj32ELj4ELj256EEEilLi256ELb1EvE4sortIPKiPiPKlPlEEvT_T0_T1_T2_jjjjRNS5_12storage_typeE.has_indirect_call)
	.section	.AMDGPU.csdata,"",@progbits
; Kernel info:
; codeLenInByte = 524
; TotalNumSgprs: 42
; NumVgprs: 54
; ScratchSize: 0
; MemoryBound: 0
; FloatMode: 240
; IeeeMode: 1
; LDSByteSize: 12288 bytes/workgroup (compile time only)
; SGPRBlocks: 0
; VGPRBlocks: 6
; NumSGPRsForWavesPerEU: 42
; NumVGPRsForWavesPerEU: 54
; Occupancy: 16
; WaveLimiterHint : 0
; COMPUTE_PGM_RSRC2:SCRATCH_EN: 0
; COMPUTE_PGM_RSRC2:USER_SGPR: 6
; COMPUTE_PGM_RSRC2:TRAP_HANDLER: 0
; COMPUTE_PGM_RSRC2:TGID_X_EN: 1
; COMPUTE_PGM_RSRC2:TGID_Y_EN: 1
; COMPUTE_PGM_RSRC2:TGID_Z_EN: 0
; COMPUTE_PGM_RSRC2:TIDIG_COMP_CNT: 2
	.section	.text._ZN7rocprim17ROCPRIM_400000_NS6detail17trampoline_kernelINS0_14default_configENS1_36segmented_radix_sort_config_selectorIilEEZNS1_25segmented_radix_sort_implIS3_Lb1EPKiPiPKlPlN2at6native12_GLOBAL__N_18offset_tEEE10hipError_tPvRmT1_PNSt15iterator_traitsISK_E10value_typeET2_T3_PNSL_ISQ_E10value_typeET4_jRbjT5_SW_jjP12ihipStream_tbEUlT_E2_NS1_11comp_targetILNS1_3genE0ELNS1_11target_archE4294967295ELNS1_3gpuE0ELNS1_3repE0EEENS1_30default_config_static_selectorELNS0_4arch9wavefront6targetE0EEEvSK_,"axG",@progbits,_ZN7rocprim17ROCPRIM_400000_NS6detail17trampoline_kernelINS0_14default_configENS1_36segmented_radix_sort_config_selectorIilEEZNS1_25segmented_radix_sort_implIS3_Lb1EPKiPiPKlPlN2at6native12_GLOBAL__N_18offset_tEEE10hipError_tPvRmT1_PNSt15iterator_traitsISK_E10value_typeET2_T3_PNSL_ISQ_E10value_typeET4_jRbjT5_SW_jjP12ihipStream_tbEUlT_E2_NS1_11comp_targetILNS1_3genE0ELNS1_11target_archE4294967295ELNS1_3gpuE0ELNS1_3repE0EEENS1_30default_config_static_selectorELNS0_4arch9wavefront6targetE0EEEvSK_,comdat
	.globl	_ZN7rocprim17ROCPRIM_400000_NS6detail17trampoline_kernelINS0_14default_configENS1_36segmented_radix_sort_config_selectorIilEEZNS1_25segmented_radix_sort_implIS3_Lb1EPKiPiPKlPlN2at6native12_GLOBAL__N_18offset_tEEE10hipError_tPvRmT1_PNSt15iterator_traitsISK_E10value_typeET2_T3_PNSL_ISQ_E10value_typeET4_jRbjT5_SW_jjP12ihipStream_tbEUlT_E2_NS1_11comp_targetILNS1_3genE0ELNS1_11target_archE4294967295ELNS1_3gpuE0ELNS1_3repE0EEENS1_30default_config_static_selectorELNS0_4arch9wavefront6targetE0EEEvSK_ ; -- Begin function _ZN7rocprim17ROCPRIM_400000_NS6detail17trampoline_kernelINS0_14default_configENS1_36segmented_radix_sort_config_selectorIilEEZNS1_25segmented_radix_sort_implIS3_Lb1EPKiPiPKlPlN2at6native12_GLOBAL__N_18offset_tEEE10hipError_tPvRmT1_PNSt15iterator_traitsISK_E10value_typeET2_T3_PNSL_ISQ_E10value_typeET4_jRbjT5_SW_jjP12ihipStream_tbEUlT_E2_NS1_11comp_targetILNS1_3genE0ELNS1_11target_archE4294967295ELNS1_3gpuE0ELNS1_3repE0EEENS1_30default_config_static_selectorELNS0_4arch9wavefront6targetE0EEEvSK_
	.p2align	8
	.type	_ZN7rocprim17ROCPRIM_400000_NS6detail17trampoline_kernelINS0_14default_configENS1_36segmented_radix_sort_config_selectorIilEEZNS1_25segmented_radix_sort_implIS3_Lb1EPKiPiPKlPlN2at6native12_GLOBAL__N_18offset_tEEE10hipError_tPvRmT1_PNSt15iterator_traitsISK_E10value_typeET2_T3_PNSL_ISQ_E10value_typeET4_jRbjT5_SW_jjP12ihipStream_tbEUlT_E2_NS1_11comp_targetILNS1_3genE0ELNS1_11target_archE4294967295ELNS1_3gpuE0ELNS1_3repE0EEENS1_30default_config_static_selectorELNS0_4arch9wavefront6targetE0EEEvSK_,@function
_ZN7rocprim17ROCPRIM_400000_NS6detail17trampoline_kernelINS0_14default_configENS1_36segmented_radix_sort_config_selectorIilEEZNS1_25segmented_radix_sort_implIS3_Lb1EPKiPiPKlPlN2at6native12_GLOBAL__N_18offset_tEEE10hipError_tPvRmT1_PNSt15iterator_traitsISK_E10value_typeET2_T3_PNSL_ISQ_E10value_typeET4_jRbjT5_SW_jjP12ihipStream_tbEUlT_E2_NS1_11comp_targetILNS1_3genE0ELNS1_11target_archE4294967295ELNS1_3gpuE0ELNS1_3repE0EEENS1_30default_config_static_selectorELNS0_4arch9wavefront6targetE0EEEvSK_: ; @_ZN7rocprim17ROCPRIM_400000_NS6detail17trampoline_kernelINS0_14default_configENS1_36segmented_radix_sort_config_selectorIilEEZNS1_25segmented_radix_sort_implIS3_Lb1EPKiPiPKlPlN2at6native12_GLOBAL__N_18offset_tEEE10hipError_tPvRmT1_PNSt15iterator_traitsISK_E10value_typeET2_T3_PNSL_ISQ_E10value_typeET4_jRbjT5_SW_jjP12ihipStream_tbEUlT_E2_NS1_11comp_targetILNS1_3genE0ELNS1_11target_archE4294967295ELNS1_3gpuE0ELNS1_3repE0EEENS1_30default_config_static_selectorELNS0_4arch9wavefront6targetE0EEEvSK_
; %bb.0:
	.section	.rodata,"a",@progbits
	.p2align	6, 0x0
	.amdhsa_kernel _ZN7rocprim17ROCPRIM_400000_NS6detail17trampoline_kernelINS0_14default_configENS1_36segmented_radix_sort_config_selectorIilEEZNS1_25segmented_radix_sort_implIS3_Lb1EPKiPiPKlPlN2at6native12_GLOBAL__N_18offset_tEEE10hipError_tPvRmT1_PNSt15iterator_traitsISK_E10value_typeET2_T3_PNSL_ISQ_E10value_typeET4_jRbjT5_SW_jjP12ihipStream_tbEUlT_E2_NS1_11comp_targetILNS1_3genE0ELNS1_11target_archE4294967295ELNS1_3gpuE0ELNS1_3repE0EEENS1_30default_config_static_selectorELNS0_4arch9wavefront6targetE0EEEvSK_
		.amdhsa_group_segment_fixed_size 0
		.amdhsa_private_segment_fixed_size 0
		.amdhsa_kernarg_size 80
		.amdhsa_user_sgpr_count 6
		.amdhsa_user_sgpr_private_segment_buffer 1
		.amdhsa_user_sgpr_dispatch_ptr 0
		.amdhsa_user_sgpr_queue_ptr 0
		.amdhsa_user_sgpr_kernarg_segment_ptr 1
		.amdhsa_user_sgpr_dispatch_id 0
		.amdhsa_user_sgpr_flat_scratch_init 0
		.amdhsa_user_sgpr_private_segment_size 0
		.amdhsa_wavefront_size32 1
		.amdhsa_uses_dynamic_stack 0
		.amdhsa_system_sgpr_private_segment_wavefront_offset 0
		.amdhsa_system_sgpr_workgroup_id_x 1
		.amdhsa_system_sgpr_workgroup_id_y 0
		.amdhsa_system_sgpr_workgroup_id_z 0
		.amdhsa_system_sgpr_workgroup_info 0
		.amdhsa_system_vgpr_workitem_id 0
		.amdhsa_next_free_vgpr 1
		.amdhsa_next_free_sgpr 1
		.amdhsa_reserve_vcc 0
		.amdhsa_reserve_flat_scratch 0
		.amdhsa_float_round_mode_32 0
		.amdhsa_float_round_mode_16_64 0
		.amdhsa_float_denorm_mode_32 3
		.amdhsa_float_denorm_mode_16_64 3
		.amdhsa_dx10_clamp 1
		.amdhsa_ieee_mode 1
		.amdhsa_fp16_overflow 0
		.amdhsa_workgroup_processor_mode 1
		.amdhsa_memory_ordered 1
		.amdhsa_forward_progress 1
		.amdhsa_shared_vgpr_count 0
		.amdhsa_exception_fp_ieee_invalid_op 0
		.amdhsa_exception_fp_denorm_src 0
		.amdhsa_exception_fp_ieee_div_zero 0
		.amdhsa_exception_fp_ieee_overflow 0
		.amdhsa_exception_fp_ieee_underflow 0
		.amdhsa_exception_fp_ieee_inexact 0
		.amdhsa_exception_int_div_zero 0
	.end_amdhsa_kernel
	.section	.text._ZN7rocprim17ROCPRIM_400000_NS6detail17trampoline_kernelINS0_14default_configENS1_36segmented_radix_sort_config_selectorIilEEZNS1_25segmented_radix_sort_implIS3_Lb1EPKiPiPKlPlN2at6native12_GLOBAL__N_18offset_tEEE10hipError_tPvRmT1_PNSt15iterator_traitsISK_E10value_typeET2_T3_PNSL_ISQ_E10value_typeET4_jRbjT5_SW_jjP12ihipStream_tbEUlT_E2_NS1_11comp_targetILNS1_3genE0ELNS1_11target_archE4294967295ELNS1_3gpuE0ELNS1_3repE0EEENS1_30default_config_static_selectorELNS0_4arch9wavefront6targetE0EEEvSK_,"axG",@progbits,_ZN7rocprim17ROCPRIM_400000_NS6detail17trampoline_kernelINS0_14default_configENS1_36segmented_radix_sort_config_selectorIilEEZNS1_25segmented_radix_sort_implIS3_Lb1EPKiPiPKlPlN2at6native12_GLOBAL__N_18offset_tEEE10hipError_tPvRmT1_PNSt15iterator_traitsISK_E10value_typeET2_T3_PNSL_ISQ_E10value_typeET4_jRbjT5_SW_jjP12ihipStream_tbEUlT_E2_NS1_11comp_targetILNS1_3genE0ELNS1_11target_archE4294967295ELNS1_3gpuE0ELNS1_3repE0EEENS1_30default_config_static_selectorELNS0_4arch9wavefront6targetE0EEEvSK_,comdat
.Lfunc_end522:
	.size	_ZN7rocprim17ROCPRIM_400000_NS6detail17trampoline_kernelINS0_14default_configENS1_36segmented_radix_sort_config_selectorIilEEZNS1_25segmented_radix_sort_implIS3_Lb1EPKiPiPKlPlN2at6native12_GLOBAL__N_18offset_tEEE10hipError_tPvRmT1_PNSt15iterator_traitsISK_E10value_typeET2_T3_PNSL_ISQ_E10value_typeET4_jRbjT5_SW_jjP12ihipStream_tbEUlT_E2_NS1_11comp_targetILNS1_3genE0ELNS1_11target_archE4294967295ELNS1_3gpuE0ELNS1_3repE0EEENS1_30default_config_static_selectorELNS0_4arch9wavefront6targetE0EEEvSK_, .Lfunc_end522-_ZN7rocprim17ROCPRIM_400000_NS6detail17trampoline_kernelINS0_14default_configENS1_36segmented_radix_sort_config_selectorIilEEZNS1_25segmented_radix_sort_implIS3_Lb1EPKiPiPKlPlN2at6native12_GLOBAL__N_18offset_tEEE10hipError_tPvRmT1_PNSt15iterator_traitsISK_E10value_typeET2_T3_PNSL_ISQ_E10value_typeET4_jRbjT5_SW_jjP12ihipStream_tbEUlT_E2_NS1_11comp_targetILNS1_3genE0ELNS1_11target_archE4294967295ELNS1_3gpuE0ELNS1_3repE0EEENS1_30default_config_static_selectorELNS0_4arch9wavefront6targetE0EEEvSK_
                                        ; -- End function
	.set _ZN7rocprim17ROCPRIM_400000_NS6detail17trampoline_kernelINS0_14default_configENS1_36segmented_radix_sort_config_selectorIilEEZNS1_25segmented_radix_sort_implIS3_Lb1EPKiPiPKlPlN2at6native12_GLOBAL__N_18offset_tEEE10hipError_tPvRmT1_PNSt15iterator_traitsISK_E10value_typeET2_T3_PNSL_ISQ_E10value_typeET4_jRbjT5_SW_jjP12ihipStream_tbEUlT_E2_NS1_11comp_targetILNS1_3genE0ELNS1_11target_archE4294967295ELNS1_3gpuE0ELNS1_3repE0EEENS1_30default_config_static_selectorELNS0_4arch9wavefront6targetE0EEEvSK_.num_vgpr, 0
	.set _ZN7rocprim17ROCPRIM_400000_NS6detail17trampoline_kernelINS0_14default_configENS1_36segmented_radix_sort_config_selectorIilEEZNS1_25segmented_radix_sort_implIS3_Lb1EPKiPiPKlPlN2at6native12_GLOBAL__N_18offset_tEEE10hipError_tPvRmT1_PNSt15iterator_traitsISK_E10value_typeET2_T3_PNSL_ISQ_E10value_typeET4_jRbjT5_SW_jjP12ihipStream_tbEUlT_E2_NS1_11comp_targetILNS1_3genE0ELNS1_11target_archE4294967295ELNS1_3gpuE0ELNS1_3repE0EEENS1_30default_config_static_selectorELNS0_4arch9wavefront6targetE0EEEvSK_.num_agpr, 0
	.set _ZN7rocprim17ROCPRIM_400000_NS6detail17trampoline_kernelINS0_14default_configENS1_36segmented_radix_sort_config_selectorIilEEZNS1_25segmented_radix_sort_implIS3_Lb1EPKiPiPKlPlN2at6native12_GLOBAL__N_18offset_tEEE10hipError_tPvRmT1_PNSt15iterator_traitsISK_E10value_typeET2_T3_PNSL_ISQ_E10value_typeET4_jRbjT5_SW_jjP12ihipStream_tbEUlT_E2_NS1_11comp_targetILNS1_3genE0ELNS1_11target_archE4294967295ELNS1_3gpuE0ELNS1_3repE0EEENS1_30default_config_static_selectorELNS0_4arch9wavefront6targetE0EEEvSK_.numbered_sgpr, 0
	.set _ZN7rocprim17ROCPRIM_400000_NS6detail17trampoline_kernelINS0_14default_configENS1_36segmented_radix_sort_config_selectorIilEEZNS1_25segmented_radix_sort_implIS3_Lb1EPKiPiPKlPlN2at6native12_GLOBAL__N_18offset_tEEE10hipError_tPvRmT1_PNSt15iterator_traitsISK_E10value_typeET2_T3_PNSL_ISQ_E10value_typeET4_jRbjT5_SW_jjP12ihipStream_tbEUlT_E2_NS1_11comp_targetILNS1_3genE0ELNS1_11target_archE4294967295ELNS1_3gpuE0ELNS1_3repE0EEENS1_30default_config_static_selectorELNS0_4arch9wavefront6targetE0EEEvSK_.num_named_barrier, 0
	.set _ZN7rocprim17ROCPRIM_400000_NS6detail17trampoline_kernelINS0_14default_configENS1_36segmented_radix_sort_config_selectorIilEEZNS1_25segmented_radix_sort_implIS3_Lb1EPKiPiPKlPlN2at6native12_GLOBAL__N_18offset_tEEE10hipError_tPvRmT1_PNSt15iterator_traitsISK_E10value_typeET2_T3_PNSL_ISQ_E10value_typeET4_jRbjT5_SW_jjP12ihipStream_tbEUlT_E2_NS1_11comp_targetILNS1_3genE0ELNS1_11target_archE4294967295ELNS1_3gpuE0ELNS1_3repE0EEENS1_30default_config_static_selectorELNS0_4arch9wavefront6targetE0EEEvSK_.private_seg_size, 0
	.set _ZN7rocprim17ROCPRIM_400000_NS6detail17trampoline_kernelINS0_14default_configENS1_36segmented_radix_sort_config_selectorIilEEZNS1_25segmented_radix_sort_implIS3_Lb1EPKiPiPKlPlN2at6native12_GLOBAL__N_18offset_tEEE10hipError_tPvRmT1_PNSt15iterator_traitsISK_E10value_typeET2_T3_PNSL_ISQ_E10value_typeET4_jRbjT5_SW_jjP12ihipStream_tbEUlT_E2_NS1_11comp_targetILNS1_3genE0ELNS1_11target_archE4294967295ELNS1_3gpuE0ELNS1_3repE0EEENS1_30default_config_static_selectorELNS0_4arch9wavefront6targetE0EEEvSK_.uses_vcc, 0
	.set _ZN7rocprim17ROCPRIM_400000_NS6detail17trampoline_kernelINS0_14default_configENS1_36segmented_radix_sort_config_selectorIilEEZNS1_25segmented_radix_sort_implIS3_Lb1EPKiPiPKlPlN2at6native12_GLOBAL__N_18offset_tEEE10hipError_tPvRmT1_PNSt15iterator_traitsISK_E10value_typeET2_T3_PNSL_ISQ_E10value_typeET4_jRbjT5_SW_jjP12ihipStream_tbEUlT_E2_NS1_11comp_targetILNS1_3genE0ELNS1_11target_archE4294967295ELNS1_3gpuE0ELNS1_3repE0EEENS1_30default_config_static_selectorELNS0_4arch9wavefront6targetE0EEEvSK_.uses_flat_scratch, 0
	.set _ZN7rocprim17ROCPRIM_400000_NS6detail17trampoline_kernelINS0_14default_configENS1_36segmented_radix_sort_config_selectorIilEEZNS1_25segmented_radix_sort_implIS3_Lb1EPKiPiPKlPlN2at6native12_GLOBAL__N_18offset_tEEE10hipError_tPvRmT1_PNSt15iterator_traitsISK_E10value_typeET2_T3_PNSL_ISQ_E10value_typeET4_jRbjT5_SW_jjP12ihipStream_tbEUlT_E2_NS1_11comp_targetILNS1_3genE0ELNS1_11target_archE4294967295ELNS1_3gpuE0ELNS1_3repE0EEENS1_30default_config_static_selectorELNS0_4arch9wavefront6targetE0EEEvSK_.has_dyn_sized_stack, 0
	.set _ZN7rocprim17ROCPRIM_400000_NS6detail17trampoline_kernelINS0_14default_configENS1_36segmented_radix_sort_config_selectorIilEEZNS1_25segmented_radix_sort_implIS3_Lb1EPKiPiPKlPlN2at6native12_GLOBAL__N_18offset_tEEE10hipError_tPvRmT1_PNSt15iterator_traitsISK_E10value_typeET2_T3_PNSL_ISQ_E10value_typeET4_jRbjT5_SW_jjP12ihipStream_tbEUlT_E2_NS1_11comp_targetILNS1_3genE0ELNS1_11target_archE4294967295ELNS1_3gpuE0ELNS1_3repE0EEENS1_30default_config_static_selectorELNS0_4arch9wavefront6targetE0EEEvSK_.has_recursion, 0
	.set _ZN7rocprim17ROCPRIM_400000_NS6detail17trampoline_kernelINS0_14default_configENS1_36segmented_radix_sort_config_selectorIilEEZNS1_25segmented_radix_sort_implIS3_Lb1EPKiPiPKlPlN2at6native12_GLOBAL__N_18offset_tEEE10hipError_tPvRmT1_PNSt15iterator_traitsISK_E10value_typeET2_T3_PNSL_ISQ_E10value_typeET4_jRbjT5_SW_jjP12ihipStream_tbEUlT_E2_NS1_11comp_targetILNS1_3genE0ELNS1_11target_archE4294967295ELNS1_3gpuE0ELNS1_3repE0EEENS1_30default_config_static_selectorELNS0_4arch9wavefront6targetE0EEEvSK_.has_indirect_call, 0
	.section	.AMDGPU.csdata,"",@progbits
; Kernel info:
; codeLenInByte = 0
; TotalNumSgprs: 0
; NumVgprs: 0
; ScratchSize: 0
; MemoryBound: 0
; FloatMode: 240
; IeeeMode: 1
; LDSByteSize: 0 bytes/workgroup (compile time only)
; SGPRBlocks: 0
; VGPRBlocks: 0
; NumSGPRsForWavesPerEU: 1
; NumVGPRsForWavesPerEU: 1
; Occupancy: 16
; WaveLimiterHint : 0
; COMPUTE_PGM_RSRC2:SCRATCH_EN: 0
; COMPUTE_PGM_RSRC2:USER_SGPR: 6
; COMPUTE_PGM_RSRC2:TRAP_HANDLER: 0
; COMPUTE_PGM_RSRC2:TGID_X_EN: 1
; COMPUTE_PGM_RSRC2:TGID_Y_EN: 0
; COMPUTE_PGM_RSRC2:TGID_Z_EN: 0
; COMPUTE_PGM_RSRC2:TIDIG_COMP_CNT: 0
	.section	.text._ZN7rocprim17ROCPRIM_400000_NS6detail17trampoline_kernelINS0_14default_configENS1_36segmented_radix_sort_config_selectorIilEEZNS1_25segmented_radix_sort_implIS3_Lb1EPKiPiPKlPlN2at6native12_GLOBAL__N_18offset_tEEE10hipError_tPvRmT1_PNSt15iterator_traitsISK_E10value_typeET2_T3_PNSL_ISQ_E10value_typeET4_jRbjT5_SW_jjP12ihipStream_tbEUlT_E2_NS1_11comp_targetILNS1_3genE5ELNS1_11target_archE942ELNS1_3gpuE9ELNS1_3repE0EEENS1_30default_config_static_selectorELNS0_4arch9wavefront6targetE0EEEvSK_,"axG",@progbits,_ZN7rocprim17ROCPRIM_400000_NS6detail17trampoline_kernelINS0_14default_configENS1_36segmented_radix_sort_config_selectorIilEEZNS1_25segmented_radix_sort_implIS3_Lb1EPKiPiPKlPlN2at6native12_GLOBAL__N_18offset_tEEE10hipError_tPvRmT1_PNSt15iterator_traitsISK_E10value_typeET2_T3_PNSL_ISQ_E10value_typeET4_jRbjT5_SW_jjP12ihipStream_tbEUlT_E2_NS1_11comp_targetILNS1_3genE5ELNS1_11target_archE942ELNS1_3gpuE9ELNS1_3repE0EEENS1_30default_config_static_selectorELNS0_4arch9wavefront6targetE0EEEvSK_,comdat
	.globl	_ZN7rocprim17ROCPRIM_400000_NS6detail17trampoline_kernelINS0_14default_configENS1_36segmented_radix_sort_config_selectorIilEEZNS1_25segmented_radix_sort_implIS3_Lb1EPKiPiPKlPlN2at6native12_GLOBAL__N_18offset_tEEE10hipError_tPvRmT1_PNSt15iterator_traitsISK_E10value_typeET2_T3_PNSL_ISQ_E10value_typeET4_jRbjT5_SW_jjP12ihipStream_tbEUlT_E2_NS1_11comp_targetILNS1_3genE5ELNS1_11target_archE942ELNS1_3gpuE9ELNS1_3repE0EEENS1_30default_config_static_selectorELNS0_4arch9wavefront6targetE0EEEvSK_ ; -- Begin function _ZN7rocprim17ROCPRIM_400000_NS6detail17trampoline_kernelINS0_14default_configENS1_36segmented_radix_sort_config_selectorIilEEZNS1_25segmented_radix_sort_implIS3_Lb1EPKiPiPKlPlN2at6native12_GLOBAL__N_18offset_tEEE10hipError_tPvRmT1_PNSt15iterator_traitsISK_E10value_typeET2_T3_PNSL_ISQ_E10value_typeET4_jRbjT5_SW_jjP12ihipStream_tbEUlT_E2_NS1_11comp_targetILNS1_3genE5ELNS1_11target_archE942ELNS1_3gpuE9ELNS1_3repE0EEENS1_30default_config_static_selectorELNS0_4arch9wavefront6targetE0EEEvSK_
	.p2align	8
	.type	_ZN7rocprim17ROCPRIM_400000_NS6detail17trampoline_kernelINS0_14default_configENS1_36segmented_radix_sort_config_selectorIilEEZNS1_25segmented_radix_sort_implIS3_Lb1EPKiPiPKlPlN2at6native12_GLOBAL__N_18offset_tEEE10hipError_tPvRmT1_PNSt15iterator_traitsISK_E10value_typeET2_T3_PNSL_ISQ_E10value_typeET4_jRbjT5_SW_jjP12ihipStream_tbEUlT_E2_NS1_11comp_targetILNS1_3genE5ELNS1_11target_archE942ELNS1_3gpuE9ELNS1_3repE0EEENS1_30default_config_static_selectorELNS0_4arch9wavefront6targetE0EEEvSK_,@function
_ZN7rocprim17ROCPRIM_400000_NS6detail17trampoline_kernelINS0_14default_configENS1_36segmented_radix_sort_config_selectorIilEEZNS1_25segmented_radix_sort_implIS3_Lb1EPKiPiPKlPlN2at6native12_GLOBAL__N_18offset_tEEE10hipError_tPvRmT1_PNSt15iterator_traitsISK_E10value_typeET2_T3_PNSL_ISQ_E10value_typeET4_jRbjT5_SW_jjP12ihipStream_tbEUlT_E2_NS1_11comp_targetILNS1_3genE5ELNS1_11target_archE942ELNS1_3gpuE9ELNS1_3repE0EEENS1_30default_config_static_selectorELNS0_4arch9wavefront6targetE0EEEvSK_: ; @_ZN7rocprim17ROCPRIM_400000_NS6detail17trampoline_kernelINS0_14default_configENS1_36segmented_radix_sort_config_selectorIilEEZNS1_25segmented_radix_sort_implIS3_Lb1EPKiPiPKlPlN2at6native12_GLOBAL__N_18offset_tEEE10hipError_tPvRmT1_PNSt15iterator_traitsISK_E10value_typeET2_T3_PNSL_ISQ_E10value_typeET4_jRbjT5_SW_jjP12ihipStream_tbEUlT_E2_NS1_11comp_targetILNS1_3genE5ELNS1_11target_archE942ELNS1_3gpuE9ELNS1_3repE0EEENS1_30default_config_static_selectorELNS0_4arch9wavefront6targetE0EEEvSK_
; %bb.0:
	.section	.rodata,"a",@progbits
	.p2align	6, 0x0
	.amdhsa_kernel _ZN7rocprim17ROCPRIM_400000_NS6detail17trampoline_kernelINS0_14default_configENS1_36segmented_radix_sort_config_selectorIilEEZNS1_25segmented_radix_sort_implIS3_Lb1EPKiPiPKlPlN2at6native12_GLOBAL__N_18offset_tEEE10hipError_tPvRmT1_PNSt15iterator_traitsISK_E10value_typeET2_T3_PNSL_ISQ_E10value_typeET4_jRbjT5_SW_jjP12ihipStream_tbEUlT_E2_NS1_11comp_targetILNS1_3genE5ELNS1_11target_archE942ELNS1_3gpuE9ELNS1_3repE0EEENS1_30default_config_static_selectorELNS0_4arch9wavefront6targetE0EEEvSK_
		.amdhsa_group_segment_fixed_size 0
		.amdhsa_private_segment_fixed_size 0
		.amdhsa_kernarg_size 80
		.amdhsa_user_sgpr_count 6
		.amdhsa_user_sgpr_private_segment_buffer 1
		.amdhsa_user_sgpr_dispatch_ptr 0
		.amdhsa_user_sgpr_queue_ptr 0
		.amdhsa_user_sgpr_kernarg_segment_ptr 1
		.amdhsa_user_sgpr_dispatch_id 0
		.amdhsa_user_sgpr_flat_scratch_init 0
		.amdhsa_user_sgpr_private_segment_size 0
		.amdhsa_wavefront_size32 1
		.amdhsa_uses_dynamic_stack 0
		.amdhsa_system_sgpr_private_segment_wavefront_offset 0
		.amdhsa_system_sgpr_workgroup_id_x 1
		.amdhsa_system_sgpr_workgroup_id_y 0
		.amdhsa_system_sgpr_workgroup_id_z 0
		.amdhsa_system_sgpr_workgroup_info 0
		.amdhsa_system_vgpr_workitem_id 0
		.amdhsa_next_free_vgpr 1
		.amdhsa_next_free_sgpr 1
		.amdhsa_reserve_vcc 0
		.amdhsa_reserve_flat_scratch 0
		.amdhsa_float_round_mode_32 0
		.amdhsa_float_round_mode_16_64 0
		.amdhsa_float_denorm_mode_32 3
		.amdhsa_float_denorm_mode_16_64 3
		.amdhsa_dx10_clamp 1
		.amdhsa_ieee_mode 1
		.amdhsa_fp16_overflow 0
		.amdhsa_workgroup_processor_mode 1
		.amdhsa_memory_ordered 1
		.amdhsa_forward_progress 1
		.amdhsa_shared_vgpr_count 0
		.amdhsa_exception_fp_ieee_invalid_op 0
		.amdhsa_exception_fp_denorm_src 0
		.amdhsa_exception_fp_ieee_div_zero 0
		.amdhsa_exception_fp_ieee_overflow 0
		.amdhsa_exception_fp_ieee_underflow 0
		.amdhsa_exception_fp_ieee_inexact 0
		.amdhsa_exception_int_div_zero 0
	.end_amdhsa_kernel
	.section	.text._ZN7rocprim17ROCPRIM_400000_NS6detail17trampoline_kernelINS0_14default_configENS1_36segmented_radix_sort_config_selectorIilEEZNS1_25segmented_radix_sort_implIS3_Lb1EPKiPiPKlPlN2at6native12_GLOBAL__N_18offset_tEEE10hipError_tPvRmT1_PNSt15iterator_traitsISK_E10value_typeET2_T3_PNSL_ISQ_E10value_typeET4_jRbjT5_SW_jjP12ihipStream_tbEUlT_E2_NS1_11comp_targetILNS1_3genE5ELNS1_11target_archE942ELNS1_3gpuE9ELNS1_3repE0EEENS1_30default_config_static_selectorELNS0_4arch9wavefront6targetE0EEEvSK_,"axG",@progbits,_ZN7rocprim17ROCPRIM_400000_NS6detail17trampoline_kernelINS0_14default_configENS1_36segmented_radix_sort_config_selectorIilEEZNS1_25segmented_radix_sort_implIS3_Lb1EPKiPiPKlPlN2at6native12_GLOBAL__N_18offset_tEEE10hipError_tPvRmT1_PNSt15iterator_traitsISK_E10value_typeET2_T3_PNSL_ISQ_E10value_typeET4_jRbjT5_SW_jjP12ihipStream_tbEUlT_E2_NS1_11comp_targetILNS1_3genE5ELNS1_11target_archE942ELNS1_3gpuE9ELNS1_3repE0EEENS1_30default_config_static_selectorELNS0_4arch9wavefront6targetE0EEEvSK_,comdat
.Lfunc_end523:
	.size	_ZN7rocprim17ROCPRIM_400000_NS6detail17trampoline_kernelINS0_14default_configENS1_36segmented_radix_sort_config_selectorIilEEZNS1_25segmented_radix_sort_implIS3_Lb1EPKiPiPKlPlN2at6native12_GLOBAL__N_18offset_tEEE10hipError_tPvRmT1_PNSt15iterator_traitsISK_E10value_typeET2_T3_PNSL_ISQ_E10value_typeET4_jRbjT5_SW_jjP12ihipStream_tbEUlT_E2_NS1_11comp_targetILNS1_3genE5ELNS1_11target_archE942ELNS1_3gpuE9ELNS1_3repE0EEENS1_30default_config_static_selectorELNS0_4arch9wavefront6targetE0EEEvSK_, .Lfunc_end523-_ZN7rocprim17ROCPRIM_400000_NS6detail17trampoline_kernelINS0_14default_configENS1_36segmented_radix_sort_config_selectorIilEEZNS1_25segmented_radix_sort_implIS3_Lb1EPKiPiPKlPlN2at6native12_GLOBAL__N_18offset_tEEE10hipError_tPvRmT1_PNSt15iterator_traitsISK_E10value_typeET2_T3_PNSL_ISQ_E10value_typeET4_jRbjT5_SW_jjP12ihipStream_tbEUlT_E2_NS1_11comp_targetILNS1_3genE5ELNS1_11target_archE942ELNS1_3gpuE9ELNS1_3repE0EEENS1_30default_config_static_selectorELNS0_4arch9wavefront6targetE0EEEvSK_
                                        ; -- End function
	.set _ZN7rocprim17ROCPRIM_400000_NS6detail17trampoline_kernelINS0_14default_configENS1_36segmented_radix_sort_config_selectorIilEEZNS1_25segmented_radix_sort_implIS3_Lb1EPKiPiPKlPlN2at6native12_GLOBAL__N_18offset_tEEE10hipError_tPvRmT1_PNSt15iterator_traitsISK_E10value_typeET2_T3_PNSL_ISQ_E10value_typeET4_jRbjT5_SW_jjP12ihipStream_tbEUlT_E2_NS1_11comp_targetILNS1_3genE5ELNS1_11target_archE942ELNS1_3gpuE9ELNS1_3repE0EEENS1_30default_config_static_selectorELNS0_4arch9wavefront6targetE0EEEvSK_.num_vgpr, 0
	.set _ZN7rocprim17ROCPRIM_400000_NS6detail17trampoline_kernelINS0_14default_configENS1_36segmented_radix_sort_config_selectorIilEEZNS1_25segmented_radix_sort_implIS3_Lb1EPKiPiPKlPlN2at6native12_GLOBAL__N_18offset_tEEE10hipError_tPvRmT1_PNSt15iterator_traitsISK_E10value_typeET2_T3_PNSL_ISQ_E10value_typeET4_jRbjT5_SW_jjP12ihipStream_tbEUlT_E2_NS1_11comp_targetILNS1_3genE5ELNS1_11target_archE942ELNS1_3gpuE9ELNS1_3repE0EEENS1_30default_config_static_selectorELNS0_4arch9wavefront6targetE0EEEvSK_.num_agpr, 0
	.set _ZN7rocprim17ROCPRIM_400000_NS6detail17trampoline_kernelINS0_14default_configENS1_36segmented_radix_sort_config_selectorIilEEZNS1_25segmented_radix_sort_implIS3_Lb1EPKiPiPKlPlN2at6native12_GLOBAL__N_18offset_tEEE10hipError_tPvRmT1_PNSt15iterator_traitsISK_E10value_typeET2_T3_PNSL_ISQ_E10value_typeET4_jRbjT5_SW_jjP12ihipStream_tbEUlT_E2_NS1_11comp_targetILNS1_3genE5ELNS1_11target_archE942ELNS1_3gpuE9ELNS1_3repE0EEENS1_30default_config_static_selectorELNS0_4arch9wavefront6targetE0EEEvSK_.numbered_sgpr, 0
	.set _ZN7rocprim17ROCPRIM_400000_NS6detail17trampoline_kernelINS0_14default_configENS1_36segmented_radix_sort_config_selectorIilEEZNS1_25segmented_radix_sort_implIS3_Lb1EPKiPiPKlPlN2at6native12_GLOBAL__N_18offset_tEEE10hipError_tPvRmT1_PNSt15iterator_traitsISK_E10value_typeET2_T3_PNSL_ISQ_E10value_typeET4_jRbjT5_SW_jjP12ihipStream_tbEUlT_E2_NS1_11comp_targetILNS1_3genE5ELNS1_11target_archE942ELNS1_3gpuE9ELNS1_3repE0EEENS1_30default_config_static_selectorELNS0_4arch9wavefront6targetE0EEEvSK_.num_named_barrier, 0
	.set _ZN7rocprim17ROCPRIM_400000_NS6detail17trampoline_kernelINS0_14default_configENS1_36segmented_radix_sort_config_selectorIilEEZNS1_25segmented_radix_sort_implIS3_Lb1EPKiPiPKlPlN2at6native12_GLOBAL__N_18offset_tEEE10hipError_tPvRmT1_PNSt15iterator_traitsISK_E10value_typeET2_T3_PNSL_ISQ_E10value_typeET4_jRbjT5_SW_jjP12ihipStream_tbEUlT_E2_NS1_11comp_targetILNS1_3genE5ELNS1_11target_archE942ELNS1_3gpuE9ELNS1_3repE0EEENS1_30default_config_static_selectorELNS0_4arch9wavefront6targetE0EEEvSK_.private_seg_size, 0
	.set _ZN7rocprim17ROCPRIM_400000_NS6detail17trampoline_kernelINS0_14default_configENS1_36segmented_radix_sort_config_selectorIilEEZNS1_25segmented_radix_sort_implIS3_Lb1EPKiPiPKlPlN2at6native12_GLOBAL__N_18offset_tEEE10hipError_tPvRmT1_PNSt15iterator_traitsISK_E10value_typeET2_T3_PNSL_ISQ_E10value_typeET4_jRbjT5_SW_jjP12ihipStream_tbEUlT_E2_NS1_11comp_targetILNS1_3genE5ELNS1_11target_archE942ELNS1_3gpuE9ELNS1_3repE0EEENS1_30default_config_static_selectorELNS0_4arch9wavefront6targetE0EEEvSK_.uses_vcc, 0
	.set _ZN7rocprim17ROCPRIM_400000_NS6detail17trampoline_kernelINS0_14default_configENS1_36segmented_radix_sort_config_selectorIilEEZNS1_25segmented_radix_sort_implIS3_Lb1EPKiPiPKlPlN2at6native12_GLOBAL__N_18offset_tEEE10hipError_tPvRmT1_PNSt15iterator_traitsISK_E10value_typeET2_T3_PNSL_ISQ_E10value_typeET4_jRbjT5_SW_jjP12ihipStream_tbEUlT_E2_NS1_11comp_targetILNS1_3genE5ELNS1_11target_archE942ELNS1_3gpuE9ELNS1_3repE0EEENS1_30default_config_static_selectorELNS0_4arch9wavefront6targetE0EEEvSK_.uses_flat_scratch, 0
	.set _ZN7rocprim17ROCPRIM_400000_NS6detail17trampoline_kernelINS0_14default_configENS1_36segmented_radix_sort_config_selectorIilEEZNS1_25segmented_radix_sort_implIS3_Lb1EPKiPiPKlPlN2at6native12_GLOBAL__N_18offset_tEEE10hipError_tPvRmT1_PNSt15iterator_traitsISK_E10value_typeET2_T3_PNSL_ISQ_E10value_typeET4_jRbjT5_SW_jjP12ihipStream_tbEUlT_E2_NS1_11comp_targetILNS1_3genE5ELNS1_11target_archE942ELNS1_3gpuE9ELNS1_3repE0EEENS1_30default_config_static_selectorELNS0_4arch9wavefront6targetE0EEEvSK_.has_dyn_sized_stack, 0
	.set _ZN7rocprim17ROCPRIM_400000_NS6detail17trampoline_kernelINS0_14default_configENS1_36segmented_radix_sort_config_selectorIilEEZNS1_25segmented_radix_sort_implIS3_Lb1EPKiPiPKlPlN2at6native12_GLOBAL__N_18offset_tEEE10hipError_tPvRmT1_PNSt15iterator_traitsISK_E10value_typeET2_T3_PNSL_ISQ_E10value_typeET4_jRbjT5_SW_jjP12ihipStream_tbEUlT_E2_NS1_11comp_targetILNS1_3genE5ELNS1_11target_archE942ELNS1_3gpuE9ELNS1_3repE0EEENS1_30default_config_static_selectorELNS0_4arch9wavefront6targetE0EEEvSK_.has_recursion, 0
	.set _ZN7rocprim17ROCPRIM_400000_NS6detail17trampoline_kernelINS0_14default_configENS1_36segmented_radix_sort_config_selectorIilEEZNS1_25segmented_radix_sort_implIS3_Lb1EPKiPiPKlPlN2at6native12_GLOBAL__N_18offset_tEEE10hipError_tPvRmT1_PNSt15iterator_traitsISK_E10value_typeET2_T3_PNSL_ISQ_E10value_typeET4_jRbjT5_SW_jjP12ihipStream_tbEUlT_E2_NS1_11comp_targetILNS1_3genE5ELNS1_11target_archE942ELNS1_3gpuE9ELNS1_3repE0EEENS1_30default_config_static_selectorELNS0_4arch9wavefront6targetE0EEEvSK_.has_indirect_call, 0
	.section	.AMDGPU.csdata,"",@progbits
; Kernel info:
; codeLenInByte = 0
; TotalNumSgprs: 0
; NumVgprs: 0
; ScratchSize: 0
; MemoryBound: 0
; FloatMode: 240
; IeeeMode: 1
; LDSByteSize: 0 bytes/workgroup (compile time only)
; SGPRBlocks: 0
; VGPRBlocks: 0
; NumSGPRsForWavesPerEU: 1
; NumVGPRsForWavesPerEU: 1
; Occupancy: 16
; WaveLimiterHint : 0
; COMPUTE_PGM_RSRC2:SCRATCH_EN: 0
; COMPUTE_PGM_RSRC2:USER_SGPR: 6
; COMPUTE_PGM_RSRC2:TRAP_HANDLER: 0
; COMPUTE_PGM_RSRC2:TGID_X_EN: 1
; COMPUTE_PGM_RSRC2:TGID_Y_EN: 0
; COMPUTE_PGM_RSRC2:TGID_Z_EN: 0
; COMPUTE_PGM_RSRC2:TIDIG_COMP_CNT: 0
	.section	.text._ZN7rocprim17ROCPRIM_400000_NS6detail17trampoline_kernelINS0_14default_configENS1_36segmented_radix_sort_config_selectorIilEEZNS1_25segmented_radix_sort_implIS3_Lb1EPKiPiPKlPlN2at6native12_GLOBAL__N_18offset_tEEE10hipError_tPvRmT1_PNSt15iterator_traitsISK_E10value_typeET2_T3_PNSL_ISQ_E10value_typeET4_jRbjT5_SW_jjP12ihipStream_tbEUlT_E2_NS1_11comp_targetILNS1_3genE4ELNS1_11target_archE910ELNS1_3gpuE8ELNS1_3repE0EEENS1_30default_config_static_selectorELNS0_4arch9wavefront6targetE0EEEvSK_,"axG",@progbits,_ZN7rocprim17ROCPRIM_400000_NS6detail17trampoline_kernelINS0_14default_configENS1_36segmented_radix_sort_config_selectorIilEEZNS1_25segmented_radix_sort_implIS3_Lb1EPKiPiPKlPlN2at6native12_GLOBAL__N_18offset_tEEE10hipError_tPvRmT1_PNSt15iterator_traitsISK_E10value_typeET2_T3_PNSL_ISQ_E10value_typeET4_jRbjT5_SW_jjP12ihipStream_tbEUlT_E2_NS1_11comp_targetILNS1_3genE4ELNS1_11target_archE910ELNS1_3gpuE8ELNS1_3repE0EEENS1_30default_config_static_selectorELNS0_4arch9wavefront6targetE0EEEvSK_,comdat
	.globl	_ZN7rocprim17ROCPRIM_400000_NS6detail17trampoline_kernelINS0_14default_configENS1_36segmented_radix_sort_config_selectorIilEEZNS1_25segmented_radix_sort_implIS3_Lb1EPKiPiPKlPlN2at6native12_GLOBAL__N_18offset_tEEE10hipError_tPvRmT1_PNSt15iterator_traitsISK_E10value_typeET2_T3_PNSL_ISQ_E10value_typeET4_jRbjT5_SW_jjP12ihipStream_tbEUlT_E2_NS1_11comp_targetILNS1_3genE4ELNS1_11target_archE910ELNS1_3gpuE8ELNS1_3repE0EEENS1_30default_config_static_selectorELNS0_4arch9wavefront6targetE0EEEvSK_ ; -- Begin function _ZN7rocprim17ROCPRIM_400000_NS6detail17trampoline_kernelINS0_14default_configENS1_36segmented_radix_sort_config_selectorIilEEZNS1_25segmented_radix_sort_implIS3_Lb1EPKiPiPKlPlN2at6native12_GLOBAL__N_18offset_tEEE10hipError_tPvRmT1_PNSt15iterator_traitsISK_E10value_typeET2_T3_PNSL_ISQ_E10value_typeET4_jRbjT5_SW_jjP12ihipStream_tbEUlT_E2_NS1_11comp_targetILNS1_3genE4ELNS1_11target_archE910ELNS1_3gpuE8ELNS1_3repE0EEENS1_30default_config_static_selectorELNS0_4arch9wavefront6targetE0EEEvSK_
	.p2align	8
	.type	_ZN7rocprim17ROCPRIM_400000_NS6detail17trampoline_kernelINS0_14default_configENS1_36segmented_radix_sort_config_selectorIilEEZNS1_25segmented_radix_sort_implIS3_Lb1EPKiPiPKlPlN2at6native12_GLOBAL__N_18offset_tEEE10hipError_tPvRmT1_PNSt15iterator_traitsISK_E10value_typeET2_T3_PNSL_ISQ_E10value_typeET4_jRbjT5_SW_jjP12ihipStream_tbEUlT_E2_NS1_11comp_targetILNS1_3genE4ELNS1_11target_archE910ELNS1_3gpuE8ELNS1_3repE0EEENS1_30default_config_static_selectorELNS0_4arch9wavefront6targetE0EEEvSK_,@function
_ZN7rocprim17ROCPRIM_400000_NS6detail17trampoline_kernelINS0_14default_configENS1_36segmented_radix_sort_config_selectorIilEEZNS1_25segmented_radix_sort_implIS3_Lb1EPKiPiPKlPlN2at6native12_GLOBAL__N_18offset_tEEE10hipError_tPvRmT1_PNSt15iterator_traitsISK_E10value_typeET2_T3_PNSL_ISQ_E10value_typeET4_jRbjT5_SW_jjP12ihipStream_tbEUlT_E2_NS1_11comp_targetILNS1_3genE4ELNS1_11target_archE910ELNS1_3gpuE8ELNS1_3repE0EEENS1_30default_config_static_selectorELNS0_4arch9wavefront6targetE0EEEvSK_: ; @_ZN7rocprim17ROCPRIM_400000_NS6detail17trampoline_kernelINS0_14default_configENS1_36segmented_radix_sort_config_selectorIilEEZNS1_25segmented_radix_sort_implIS3_Lb1EPKiPiPKlPlN2at6native12_GLOBAL__N_18offset_tEEE10hipError_tPvRmT1_PNSt15iterator_traitsISK_E10value_typeET2_T3_PNSL_ISQ_E10value_typeET4_jRbjT5_SW_jjP12ihipStream_tbEUlT_E2_NS1_11comp_targetILNS1_3genE4ELNS1_11target_archE910ELNS1_3gpuE8ELNS1_3repE0EEENS1_30default_config_static_selectorELNS0_4arch9wavefront6targetE0EEEvSK_
; %bb.0:
	.section	.rodata,"a",@progbits
	.p2align	6, 0x0
	.amdhsa_kernel _ZN7rocprim17ROCPRIM_400000_NS6detail17trampoline_kernelINS0_14default_configENS1_36segmented_radix_sort_config_selectorIilEEZNS1_25segmented_radix_sort_implIS3_Lb1EPKiPiPKlPlN2at6native12_GLOBAL__N_18offset_tEEE10hipError_tPvRmT1_PNSt15iterator_traitsISK_E10value_typeET2_T3_PNSL_ISQ_E10value_typeET4_jRbjT5_SW_jjP12ihipStream_tbEUlT_E2_NS1_11comp_targetILNS1_3genE4ELNS1_11target_archE910ELNS1_3gpuE8ELNS1_3repE0EEENS1_30default_config_static_selectorELNS0_4arch9wavefront6targetE0EEEvSK_
		.amdhsa_group_segment_fixed_size 0
		.amdhsa_private_segment_fixed_size 0
		.amdhsa_kernarg_size 80
		.amdhsa_user_sgpr_count 6
		.amdhsa_user_sgpr_private_segment_buffer 1
		.amdhsa_user_sgpr_dispatch_ptr 0
		.amdhsa_user_sgpr_queue_ptr 0
		.amdhsa_user_sgpr_kernarg_segment_ptr 1
		.amdhsa_user_sgpr_dispatch_id 0
		.amdhsa_user_sgpr_flat_scratch_init 0
		.amdhsa_user_sgpr_private_segment_size 0
		.amdhsa_wavefront_size32 1
		.amdhsa_uses_dynamic_stack 0
		.amdhsa_system_sgpr_private_segment_wavefront_offset 0
		.amdhsa_system_sgpr_workgroup_id_x 1
		.amdhsa_system_sgpr_workgroup_id_y 0
		.amdhsa_system_sgpr_workgroup_id_z 0
		.amdhsa_system_sgpr_workgroup_info 0
		.amdhsa_system_vgpr_workitem_id 0
		.amdhsa_next_free_vgpr 1
		.amdhsa_next_free_sgpr 1
		.amdhsa_reserve_vcc 0
		.amdhsa_reserve_flat_scratch 0
		.amdhsa_float_round_mode_32 0
		.amdhsa_float_round_mode_16_64 0
		.amdhsa_float_denorm_mode_32 3
		.amdhsa_float_denorm_mode_16_64 3
		.amdhsa_dx10_clamp 1
		.amdhsa_ieee_mode 1
		.amdhsa_fp16_overflow 0
		.amdhsa_workgroup_processor_mode 1
		.amdhsa_memory_ordered 1
		.amdhsa_forward_progress 1
		.amdhsa_shared_vgpr_count 0
		.amdhsa_exception_fp_ieee_invalid_op 0
		.amdhsa_exception_fp_denorm_src 0
		.amdhsa_exception_fp_ieee_div_zero 0
		.amdhsa_exception_fp_ieee_overflow 0
		.amdhsa_exception_fp_ieee_underflow 0
		.amdhsa_exception_fp_ieee_inexact 0
		.amdhsa_exception_int_div_zero 0
	.end_amdhsa_kernel
	.section	.text._ZN7rocprim17ROCPRIM_400000_NS6detail17trampoline_kernelINS0_14default_configENS1_36segmented_radix_sort_config_selectorIilEEZNS1_25segmented_radix_sort_implIS3_Lb1EPKiPiPKlPlN2at6native12_GLOBAL__N_18offset_tEEE10hipError_tPvRmT1_PNSt15iterator_traitsISK_E10value_typeET2_T3_PNSL_ISQ_E10value_typeET4_jRbjT5_SW_jjP12ihipStream_tbEUlT_E2_NS1_11comp_targetILNS1_3genE4ELNS1_11target_archE910ELNS1_3gpuE8ELNS1_3repE0EEENS1_30default_config_static_selectorELNS0_4arch9wavefront6targetE0EEEvSK_,"axG",@progbits,_ZN7rocprim17ROCPRIM_400000_NS6detail17trampoline_kernelINS0_14default_configENS1_36segmented_radix_sort_config_selectorIilEEZNS1_25segmented_radix_sort_implIS3_Lb1EPKiPiPKlPlN2at6native12_GLOBAL__N_18offset_tEEE10hipError_tPvRmT1_PNSt15iterator_traitsISK_E10value_typeET2_T3_PNSL_ISQ_E10value_typeET4_jRbjT5_SW_jjP12ihipStream_tbEUlT_E2_NS1_11comp_targetILNS1_3genE4ELNS1_11target_archE910ELNS1_3gpuE8ELNS1_3repE0EEENS1_30default_config_static_selectorELNS0_4arch9wavefront6targetE0EEEvSK_,comdat
.Lfunc_end524:
	.size	_ZN7rocprim17ROCPRIM_400000_NS6detail17trampoline_kernelINS0_14default_configENS1_36segmented_radix_sort_config_selectorIilEEZNS1_25segmented_radix_sort_implIS3_Lb1EPKiPiPKlPlN2at6native12_GLOBAL__N_18offset_tEEE10hipError_tPvRmT1_PNSt15iterator_traitsISK_E10value_typeET2_T3_PNSL_ISQ_E10value_typeET4_jRbjT5_SW_jjP12ihipStream_tbEUlT_E2_NS1_11comp_targetILNS1_3genE4ELNS1_11target_archE910ELNS1_3gpuE8ELNS1_3repE0EEENS1_30default_config_static_selectorELNS0_4arch9wavefront6targetE0EEEvSK_, .Lfunc_end524-_ZN7rocprim17ROCPRIM_400000_NS6detail17trampoline_kernelINS0_14default_configENS1_36segmented_radix_sort_config_selectorIilEEZNS1_25segmented_radix_sort_implIS3_Lb1EPKiPiPKlPlN2at6native12_GLOBAL__N_18offset_tEEE10hipError_tPvRmT1_PNSt15iterator_traitsISK_E10value_typeET2_T3_PNSL_ISQ_E10value_typeET4_jRbjT5_SW_jjP12ihipStream_tbEUlT_E2_NS1_11comp_targetILNS1_3genE4ELNS1_11target_archE910ELNS1_3gpuE8ELNS1_3repE0EEENS1_30default_config_static_selectorELNS0_4arch9wavefront6targetE0EEEvSK_
                                        ; -- End function
	.set _ZN7rocprim17ROCPRIM_400000_NS6detail17trampoline_kernelINS0_14default_configENS1_36segmented_radix_sort_config_selectorIilEEZNS1_25segmented_radix_sort_implIS3_Lb1EPKiPiPKlPlN2at6native12_GLOBAL__N_18offset_tEEE10hipError_tPvRmT1_PNSt15iterator_traitsISK_E10value_typeET2_T3_PNSL_ISQ_E10value_typeET4_jRbjT5_SW_jjP12ihipStream_tbEUlT_E2_NS1_11comp_targetILNS1_3genE4ELNS1_11target_archE910ELNS1_3gpuE8ELNS1_3repE0EEENS1_30default_config_static_selectorELNS0_4arch9wavefront6targetE0EEEvSK_.num_vgpr, 0
	.set _ZN7rocprim17ROCPRIM_400000_NS6detail17trampoline_kernelINS0_14default_configENS1_36segmented_radix_sort_config_selectorIilEEZNS1_25segmented_radix_sort_implIS3_Lb1EPKiPiPKlPlN2at6native12_GLOBAL__N_18offset_tEEE10hipError_tPvRmT1_PNSt15iterator_traitsISK_E10value_typeET2_T3_PNSL_ISQ_E10value_typeET4_jRbjT5_SW_jjP12ihipStream_tbEUlT_E2_NS1_11comp_targetILNS1_3genE4ELNS1_11target_archE910ELNS1_3gpuE8ELNS1_3repE0EEENS1_30default_config_static_selectorELNS0_4arch9wavefront6targetE0EEEvSK_.num_agpr, 0
	.set _ZN7rocprim17ROCPRIM_400000_NS6detail17trampoline_kernelINS0_14default_configENS1_36segmented_radix_sort_config_selectorIilEEZNS1_25segmented_radix_sort_implIS3_Lb1EPKiPiPKlPlN2at6native12_GLOBAL__N_18offset_tEEE10hipError_tPvRmT1_PNSt15iterator_traitsISK_E10value_typeET2_T3_PNSL_ISQ_E10value_typeET4_jRbjT5_SW_jjP12ihipStream_tbEUlT_E2_NS1_11comp_targetILNS1_3genE4ELNS1_11target_archE910ELNS1_3gpuE8ELNS1_3repE0EEENS1_30default_config_static_selectorELNS0_4arch9wavefront6targetE0EEEvSK_.numbered_sgpr, 0
	.set _ZN7rocprim17ROCPRIM_400000_NS6detail17trampoline_kernelINS0_14default_configENS1_36segmented_radix_sort_config_selectorIilEEZNS1_25segmented_radix_sort_implIS3_Lb1EPKiPiPKlPlN2at6native12_GLOBAL__N_18offset_tEEE10hipError_tPvRmT1_PNSt15iterator_traitsISK_E10value_typeET2_T3_PNSL_ISQ_E10value_typeET4_jRbjT5_SW_jjP12ihipStream_tbEUlT_E2_NS1_11comp_targetILNS1_3genE4ELNS1_11target_archE910ELNS1_3gpuE8ELNS1_3repE0EEENS1_30default_config_static_selectorELNS0_4arch9wavefront6targetE0EEEvSK_.num_named_barrier, 0
	.set _ZN7rocprim17ROCPRIM_400000_NS6detail17trampoline_kernelINS0_14default_configENS1_36segmented_radix_sort_config_selectorIilEEZNS1_25segmented_radix_sort_implIS3_Lb1EPKiPiPKlPlN2at6native12_GLOBAL__N_18offset_tEEE10hipError_tPvRmT1_PNSt15iterator_traitsISK_E10value_typeET2_T3_PNSL_ISQ_E10value_typeET4_jRbjT5_SW_jjP12ihipStream_tbEUlT_E2_NS1_11comp_targetILNS1_3genE4ELNS1_11target_archE910ELNS1_3gpuE8ELNS1_3repE0EEENS1_30default_config_static_selectorELNS0_4arch9wavefront6targetE0EEEvSK_.private_seg_size, 0
	.set _ZN7rocprim17ROCPRIM_400000_NS6detail17trampoline_kernelINS0_14default_configENS1_36segmented_radix_sort_config_selectorIilEEZNS1_25segmented_radix_sort_implIS3_Lb1EPKiPiPKlPlN2at6native12_GLOBAL__N_18offset_tEEE10hipError_tPvRmT1_PNSt15iterator_traitsISK_E10value_typeET2_T3_PNSL_ISQ_E10value_typeET4_jRbjT5_SW_jjP12ihipStream_tbEUlT_E2_NS1_11comp_targetILNS1_3genE4ELNS1_11target_archE910ELNS1_3gpuE8ELNS1_3repE0EEENS1_30default_config_static_selectorELNS0_4arch9wavefront6targetE0EEEvSK_.uses_vcc, 0
	.set _ZN7rocprim17ROCPRIM_400000_NS6detail17trampoline_kernelINS0_14default_configENS1_36segmented_radix_sort_config_selectorIilEEZNS1_25segmented_radix_sort_implIS3_Lb1EPKiPiPKlPlN2at6native12_GLOBAL__N_18offset_tEEE10hipError_tPvRmT1_PNSt15iterator_traitsISK_E10value_typeET2_T3_PNSL_ISQ_E10value_typeET4_jRbjT5_SW_jjP12ihipStream_tbEUlT_E2_NS1_11comp_targetILNS1_3genE4ELNS1_11target_archE910ELNS1_3gpuE8ELNS1_3repE0EEENS1_30default_config_static_selectorELNS0_4arch9wavefront6targetE0EEEvSK_.uses_flat_scratch, 0
	.set _ZN7rocprim17ROCPRIM_400000_NS6detail17trampoline_kernelINS0_14default_configENS1_36segmented_radix_sort_config_selectorIilEEZNS1_25segmented_radix_sort_implIS3_Lb1EPKiPiPKlPlN2at6native12_GLOBAL__N_18offset_tEEE10hipError_tPvRmT1_PNSt15iterator_traitsISK_E10value_typeET2_T3_PNSL_ISQ_E10value_typeET4_jRbjT5_SW_jjP12ihipStream_tbEUlT_E2_NS1_11comp_targetILNS1_3genE4ELNS1_11target_archE910ELNS1_3gpuE8ELNS1_3repE0EEENS1_30default_config_static_selectorELNS0_4arch9wavefront6targetE0EEEvSK_.has_dyn_sized_stack, 0
	.set _ZN7rocprim17ROCPRIM_400000_NS6detail17trampoline_kernelINS0_14default_configENS1_36segmented_radix_sort_config_selectorIilEEZNS1_25segmented_radix_sort_implIS3_Lb1EPKiPiPKlPlN2at6native12_GLOBAL__N_18offset_tEEE10hipError_tPvRmT1_PNSt15iterator_traitsISK_E10value_typeET2_T3_PNSL_ISQ_E10value_typeET4_jRbjT5_SW_jjP12ihipStream_tbEUlT_E2_NS1_11comp_targetILNS1_3genE4ELNS1_11target_archE910ELNS1_3gpuE8ELNS1_3repE0EEENS1_30default_config_static_selectorELNS0_4arch9wavefront6targetE0EEEvSK_.has_recursion, 0
	.set _ZN7rocprim17ROCPRIM_400000_NS6detail17trampoline_kernelINS0_14default_configENS1_36segmented_radix_sort_config_selectorIilEEZNS1_25segmented_radix_sort_implIS3_Lb1EPKiPiPKlPlN2at6native12_GLOBAL__N_18offset_tEEE10hipError_tPvRmT1_PNSt15iterator_traitsISK_E10value_typeET2_T3_PNSL_ISQ_E10value_typeET4_jRbjT5_SW_jjP12ihipStream_tbEUlT_E2_NS1_11comp_targetILNS1_3genE4ELNS1_11target_archE910ELNS1_3gpuE8ELNS1_3repE0EEENS1_30default_config_static_selectorELNS0_4arch9wavefront6targetE0EEEvSK_.has_indirect_call, 0
	.section	.AMDGPU.csdata,"",@progbits
; Kernel info:
; codeLenInByte = 0
; TotalNumSgprs: 0
; NumVgprs: 0
; ScratchSize: 0
; MemoryBound: 0
; FloatMode: 240
; IeeeMode: 1
; LDSByteSize: 0 bytes/workgroup (compile time only)
; SGPRBlocks: 0
; VGPRBlocks: 0
; NumSGPRsForWavesPerEU: 1
; NumVGPRsForWavesPerEU: 1
; Occupancy: 16
; WaveLimiterHint : 0
; COMPUTE_PGM_RSRC2:SCRATCH_EN: 0
; COMPUTE_PGM_RSRC2:USER_SGPR: 6
; COMPUTE_PGM_RSRC2:TRAP_HANDLER: 0
; COMPUTE_PGM_RSRC2:TGID_X_EN: 1
; COMPUTE_PGM_RSRC2:TGID_Y_EN: 0
; COMPUTE_PGM_RSRC2:TGID_Z_EN: 0
; COMPUTE_PGM_RSRC2:TIDIG_COMP_CNT: 0
	.section	.text._ZN7rocprim17ROCPRIM_400000_NS6detail17trampoline_kernelINS0_14default_configENS1_36segmented_radix_sort_config_selectorIilEEZNS1_25segmented_radix_sort_implIS3_Lb1EPKiPiPKlPlN2at6native12_GLOBAL__N_18offset_tEEE10hipError_tPvRmT1_PNSt15iterator_traitsISK_E10value_typeET2_T3_PNSL_ISQ_E10value_typeET4_jRbjT5_SW_jjP12ihipStream_tbEUlT_E2_NS1_11comp_targetILNS1_3genE3ELNS1_11target_archE908ELNS1_3gpuE7ELNS1_3repE0EEENS1_30default_config_static_selectorELNS0_4arch9wavefront6targetE0EEEvSK_,"axG",@progbits,_ZN7rocprim17ROCPRIM_400000_NS6detail17trampoline_kernelINS0_14default_configENS1_36segmented_radix_sort_config_selectorIilEEZNS1_25segmented_radix_sort_implIS3_Lb1EPKiPiPKlPlN2at6native12_GLOBAL__N_18offset_tEEE10hipError_tPvRmT1_PNSt15iterator_traitsISK_E10value_typeET2_T3_PNSL_ISQ_E10value_typeET4_jRbjT5_SW_jjP12ihipStream_tbEUlT_E2_NS1_11comp_targetILNS1_3genE3ELNS1_11target_archE908ELNS1_3gpuE7ELNS1_3repE0EEENS1_30default_config_static_selectorELNS0_4arch9wavefront6targetE0EEEvSK_,comdat
	.globl	_ZN7rocprim17ROCPRIM_400000_NS6detail17trampoline_kernelINS0_14default_configENS1_36segmented_radix_sort_config_selectorIilEEZNS1_25segmented_radix_sort_implIS3_Lb1EPKiPiPKlPlN2at6native12_GLOBAL__N_18offset_tEEE10hipError_tPvRmT1_PNSt15iterator_traitsISK_E10value_typeET2_T3_PNSL_ISQ_E10value_typeET4_jRbjT5_SW_jjP12ihipStream_tbEUlT_E2_NS1_11comp_targetILNS1_3genE3ELNS1_11target_archE908ELNS1_3gpuE7ELNS1_3repE0EEENS1_30default_config_static_selectorELNS0_4arch9wavefront6targetE0EEEvSK_ ; -- Begin function _ZN7rocprim17ROCPRIM_400000_NS6detail17trampoline_kernelINS0_14default_configENS1_36segmented_radix_sort_config_selectorIilEEZNS1_25segmented_radix_sort_implIS3_Lb1EPKiPiPKlPlN2at6native12_GLOBAL__N_18offset_tEEE10hipError_tPvRmT1_PNSt15iterator_traitsISK_E10value_typeET2_T3_PNSL_ISQ_E10value_typeET4_jRbjT5_SW_jjP12ihipStream_tbEUlT_E2_NS1_11comp_targetILNS1_3genE3ELNS1_11target_archE908ELNS1_3gpuE7ELNS1_3repE0EEENS1_30default_config_static_selectorELNS0_4arch9wavefront6targetE0EEEvSK_
	.p2align	8
	.type	_ZN7rocprim17ROCPRIM_400000_NS6detail17trampoline_kernelINS0_14default_configENS1_36segmented_radix_sort_config_selectorIilEEZNS1_25segmented_radix_sort_implIS3_Lb1EPKiPiPKlPlN2at6native12_GLOBAL__N_18offset_tEEE10hipError_tPvRmT1_PNSt15iterator_traitsISK_E10value_typeET2_T3_PNSL_ISQ_E10value_typeET4_jRbjT5_SW_jjP12ihipStream_tbEUlT_E2_NS1_11comp_targetILNS1_3genE3ELNS1_11target_archE908ELNS1_3gpuE7ELNS1_3repE0EEENS1_30default_config_static_selectorELNS0_4arch9wavefront6targetE0EEEvSK_,@function
_ZN7rocprim17ROCPRIM_400000_NS6detail17trampoline_kernelINS0_14default_configENS1_36segmented_radix_sort_config_selectorIilEEZNS1_25segmented_radix_sort_implIS3_Lb1EPKiPiPKlPlN2at6native12_GLOBAL__N_18offset_tEEE10hipError_tPvRmT1_PNSt15iterator_traitsISK_E10value_typeET2_T3_PNSL_ISQ_E10value_typeET4_jRbjT5_SW_jjP12ihipStream_tbEUlT_E2_NS1_11comp_targetILNS1_3genE3ELNS1_11target_archE908ELNS1_3gpuE7ELNS1_3repE0EEENS1_30default_config_static_selectorELNS0_4arch9wavefront6targetE0EEEvSK_: ; @_ZN7rocprim17ROCPRIM_400000_NS6detail17trampoline_kernelINS0_14default_configENS1_36segmented_radix_sort_config_selectorIilEEZNS1_25segmented_radix_sort_implIS3_Lb1EPKiPiPKlPlN2at6native12_GLOBAL__N_18offset_tEEE10hipError_tPvRmT1_PNSt15iterator_traitsISK_E10value_typeET2_T3_PNSL_ISQ_E10value_typeET4_jRbjT5_SW_jjP12ihipStream_tbEUlT_E2_NS1_11comp_targetILNS1_3genE3ELNS1_11target_archE908ELNS1_3gpuE7ELNS1_3repE0EEENS1_30default_config_static_selectorELNS0_4arch9wavefront6targetE0EEEvSK_
; %bb.0:
	.section	.rodata,"a",@progbits
	.p2align	6, 0x0
	.amdhsa_kernel _ZN7rocprim17ROCPRIM_400000_NS6detail17trampoline_kernelINS0_14default_configENS1_36segmented_radix_sort_config_selectorIilEEZNS1_25segmented_radix_sort_implIS3_Lb1EPKiPiPKlPlN2at6native12_GLOBAL__N_18offset_tEEE10hipError_tPvRmT1_PNSt15iterator_traitsISK_E10value_typeET2_T3_PNSL_ISQ_E10value_typeET4_jRbjT5_SW_jjP12ihipStream_tbEUlT_E2_NS1_11comp_targetILNS1_3genE3ELNS1_11target_archE908ELNS1_3gpuE7ELNS1_3repE0EEENS1_30default_config_static_selectorELNS0_4arch9wavefront6targetE0EEEvSK_
		.amdhsa_group_segment_fixed_size 0
		.amdhsa_private_segment_fixed_size 0
		.amdhsa_kernarg_size 80
		.amdhsa_user_sgpr_count 6
		.amdhsa_user_sgpr_private_segment_buffer 1
		.amdhsa_user_sgpr_dispatch_ptr 0
		.amdhsa_user_sgpr_queue_ptr 0
		.amdhsa_user_sgpr_kernarg_segment_ptr 1
		.amdhsa_user_sgpr_dispatch_id 0
		.amdhsa_user_sgpr_flat_scratch_init 0
		.amdhsa_user_sgpr_private_segment_size 0
		.amdhsa_wavefront_size32 1
		.amdhsa_uses_dynamic_stack 0
		.amdhsa_system_sgpr_private_segment_wavefront_offset 0
		.amdhsa_system_sgpr_workgroup_id_x 1
		.amdhsa_system_sgpr_workgroup_id_y 0
		.amdhsa_system_sgpr_workgroup_id_z 0
		.amdhsa_system_sgpr_workgroup_info 0
		.amdhsa_system_vgpr_workitem_id 0
		.amdhsa_next_free_vgpr 1
		.amdhsa_next_free_sgpr 1
		.amdhsa_reserve_vcc 0
		.amdhsa_reserve_flat_scratch 0
		.amdhsa_float_round_mode_32 0
		.amdhsa_float_round_mode_16_64 0
		.amdhsa_float_denorm_mode_32 3
		.amdhsa_float_denorm_mode_16_64 3
		.amdhsa_dx10_clamp 1
		.amdhsa_ieee_mode 1
		.amdhsa_fp16_overflow 0
		.amdhsa_workgroup_processor_mode 1
		.amdhsa_memory_ordered 1
		.amdhsa_forward_progress 1
		.amdhsa_shared_vgpr_count 0
		.amdhsa_exception_fp_ieee_invalid_op 0
		.amdhsa_exception_fp_denorm_src 0
		.amdhsa_exception_fp_ieee_div_zero 0
		.amdhsa_exception_fp_ieee_overflow 0
		.amdhsa_exception_fp_ieee_underflow 0
		.amdhsa_exception_fp_ieee_inexact 0
		.amdhsa_exception_int_div_zero 0
	.end_amdhsa_kernel
	.section	.text._ZN7rocprim17ROCPRIM_400000_NS6detail17trampoline_kernelINS0_14default_configENS1_36segmented_radix_sort_config_selectorIilEEZNS1_25segmented_radix_sort_implIS3_Lb1EPKiPiPKlPlN2at6native12_GLOBAL__N_18offset_tEEE10hipError_tPvRmT1_PNSt15iterator_traitsISK_E10value_typeET2_T3_PNSL_ISQ_E10value_typeET4_jRbjT5_SW_jjP12ihipStream_tbEUlT_E2_NS1_11comp_targetILNS1_3genE3ELNS1_11target_archE908ELNS1_3gpuE7ELNS1_3repE0EEENS1_30default_config_static_selectorELNS0_4arch9wavefront6targetE0EEEvSK_,"axG",@progbits,_ZN7rocprim17ROCPRIM_400000_NS6detail17trampoline_kernelINS0_14default_configENS1_36segmented_radix_sort_config_selectorIilEEZNS1_25segmented_radix_sort_implIS3_Lb1EPKiPiPKlPlN2at6native12_GLOBAL__N_18offset_tEEE10hipError_tPvRmT1_PNSt15iterator_traitsISK_E10value_typeET2_T3_PNSL_ISQ_E10value_typeET4_jRbjT5_SW_jjP12ihipStream_tbEUlT_E2_NS1_11comp_targetILNS1_3genE3ELNS1_11target_archE908ELNS1_3gpuE7ELNS1_3repE0EEENS1_30default_config_static_selectorELNS0_4arch9wavefront6targetE0EEEvSK_,comdat
.Lfunc_end525:
	.size	_ZN7rocprim17ROCPRIM_400000_NS6detail17trampoline_kernelINS0_14default_configENS1_36segmented_radix_sort_config_selectorIilEEZNS1_25segmented_radix_sort_implIS3_Lb1EPKiPiPKlPlN2at6native12_GLOBAL__N_18offset_tEEE10hipError_tPvRmT1_PNSt15iterator_traitsISK_E10value_typeET2_T3_PNSL_ISQ_E10value_typeET4_jRbjT5_SW_jjP12ihipStream_tbEUlT_E2_NS1_11comp_targetILNS1_3genE3ELNS1_11target_archE908ELNS1_3gpuE7ELNS1_3repE0EEENS1_30default_config_static_selectorELNS0_4arch9wavefront6targetE0EEEvSK_, .Lfunc_end525-_ZN7rocprim17ROCPRIM_400000_NS6detail17trampoline_kernelINS0_14default_configENS1_36segmented_radix_sort_config_selectorIilEEZNS1_25segmented_radix_sort_implIS3_Lb1EPKiPiPKlPlN2at6native12_GLOBAL__N_18offset_tEEE10hipError_tPvRmT1_PNSt15iterator_traitsISK_E10value_typeET2_T3_PNSL_ISQ_E10value_typeET4_jRbjT5_SW_jjP12ihipStream_tbEUlT_E2_NS1_11comp_targetILNS1_3genE3ELNS1_11target_archE908ELNS1_3gpuE7ELNS1_3repE0EEENS1_30default_config_static_selectorELNS0_4arch9wavefront6targetE0EEEvSK_
                                        ; -- End function
	.set _ZN7rocprim17ROCPRIM_400000_NS6detail17trampoline_kernelINS0_14default_configENS1_36segmented_radix_sort_config_selectorIilEEZNS1_25segmented_radix_sort_implIS3_Lb1EPKiPiPKlPlN2at6native12_GLOBAL__N_18offset_tEEE10hipError_tPvRmT1_PNSt15iterator_traitsISK_E10value_typeET2_T3_PNSL_ISQ_E10value_typeET4_jRbjT5_SW_jjP12ihipStream_tbEUlT_E2_NS1_11comp_targetILNS1_3genE3ELNS1_11target_archE908ELNS1_3gpuE7ELNS1_3repE0EEENS1_30default_config_static_selectorELNS0_4arch9wavefront6targetE0EEEvSK_.num_vgpr, 0
	.set _ZN7rocprim17ROCPRIM_400000_NS6detail17trampoline_kernelINS0_14default_configENS1_36segmented_radix_sort_config_selectorIilEEZNS1_25segmented_radix_sort_implIS3_Lb1EPKiPiPKlPlN2at6native12_GLOBAL__N_18offset_tEEE10hipError_tPvRmT1_PNSt15iterator_traitsISK_E10value_typeET2_T3_PNSL_ISQ_E10value_typeET4_jRbjT5_SW_jjP12ihipStream_tbEUlT_E2_NS1_11comp_targetILNS1_3genE3ELNS1_11target_archE908ELNS1_3gpuE7ELNS1_3repE0EEENS1_30default_config_static_selectorELNS0_4arch9wavefront6targetE0EEEvSK_.num_agpr, 0
	.set _ZN7rocprim17ROCPRIM_400000_NS6detail17trampoline_kernelINS0_14default_configENS1_36segmented_radix_sort_config_selectorIilEEZNS1_25segmented_radix_sort_implIS3_Lb1EPKiPiPKlPlN2at6native12_GLOBAL__N_18offset_tEEE10hipError_tPvRmT1_PNSt15iterator_traitsISK_E10value_typeET2_T3_PNSL_ISQ_E10value_typeET4_jRbjT5_SW_jjP12ihipStream_tbEUlT_E2_NS1_11comp_targetILNS1_3genE3ELNS1_11target_archE908ELNS1_3gpuE7ELNS1_3repE0EEENS1_30default_config_static_selectorELNS0_4arch9wavefront6targetE0EEEvSK_.numbered_sgpr, 0
	.set _ZN7rocprim17ROCPRIM_400000_NS6detail17trampoline_kernelINS0_14default_configENS1_36segmented_radix_sort_config_selectorIilEEZNS1_25segmented_radix_sort_implIS3_Lb1EPKiPiPKlPlN2at6native12_GLOBAL__N_18offset_tEEE10hipError_tPvRmT1_PNSt15iterator_traitsISK_E10value_typeET2_T3_PNSL_ISQ_E10value_typeET4_jRbjT5_SW_jjP12ihipStream_tbEUlT_E2_NS1_11comp_targetILNS1_3genE3ELNS1_11target_archE908ELNS1_3gpuE7ELNS1_3repE0EEENS1_30default_config_static_selectorELNS0_4arch9wavefront6targetE0EEEvSK_.num_named_barrier, 0
	.set _ZN7rocprim17ROCPRIM_400000_NS6detail17trampoline_kernelINS0_14default_configENS1_36segmented_radix_sort_config_selectorIilEEZNS1_25segmented_radix_sort_implIS3_Lb1EPKiPiPKlPlN2at6native12_GLOBAL__N_18offset_tEEE10hipError_tPvRmT1_PNSt15iterator_traitsISK_E10value_typeET2_T3_PNSL_ISQ_E10value_typeET4_jRbjT5_SW_jjP12ihipStream_tbEUlT_E2_NS1_11comp_targetILNS1_3genE3ELNS1_11target_archE908ELNS1_3gpuE7ELNS1_3repE0EEENS1_30default_config_static_selectorELNS0_4arch9wavefront6targetE0EEEvSK_.private_seg_size, 0
	.set _ZN7rocprim17ROCPRIM_400000_NS6detail17trampoline_kernelINS0_14default_configENS1_36segmented_radix_sort_config_selectorIilEEZNS1_25segmented_radix_sort_implIS3_Lb1EPKiPiPKlPlN2at6native12_GLOBAL__N_18offset_tEEE10hipError_tPvRmT1_PNSt15iterator_traitsISK_E10value_typeET2_T3_PNSL_ISQ_E10value_typeET4_jRbjT5_SW_jjP12ihipStream_tbEUlT_E2_NS1_11comp_targetILNS1_3genE3ELNS1_11target_archE908ELNS1_3gpuE7ELNS1_3repE0EEENS1_30default_config_static_selectorELNS0_4arch9wavefront6targetE0EEEvSK_.uses_vcc, 0
	.set _ZN7rocprim17ROCPRIM_400000_NS6detail17trampoline_kernelINS0_14default_configENS1_36segmented_radix_sort_config_selectorIilEEZNS1_25segmented_radix_sort_implIS3_Lb1EPKiPiPKlPlN2at6native12_GLOBAL__N_18offset_tEEE10hipError_tPvRmT1_PNSt15iterator_traitsISK_E10value_typeET2_T3_PNSL_ISQ_E10value_typeET4_jRbjT5_SW_jjP12ihipStream_tbEUlT_E2_NS1_11comp_targetILNS1_3genE3ELNS1_11target_archE908ELNS1_3gpuE7ELNS1_3repE0EEENS1_30default_config_static_selectorELNS0_4arch9wavefront6targetE0EEEvSK_.uses_flat_scratch, 0
	.set _ZN7rocprim17ROCPRIM_400000_NS6detail17trampoline_kernelINS0_14default_configENS1_36segmented_radix_sort_config_selectorIilEEZNS1_25segmented_radix_sort_implIS3_Lb1EPKiPiPKlPlN2at6native12_GLOBAL__N_18offset_tEEE10hipError_tPvRmT1_PNSt15iterator_traitsISK_E10value_typeET2_T3_PNSL_ISQ_E10value_typeET4_jRbjT5_SW_jjP12ihipStream_tbEUlT_E2_NS1_11comp_targetILNS1_3genE3ELNS1_11target_archE908ELNS1_3gpuE7ELNS1_3repE0EEENS1_30default_config_static_selectorELNS0_4arch9wavefront6targetE0EEEvSK_.has_dyn_sized_stack, 0
	.set _ZN7rocprim17ROCPRIM_400000_NS6detail17trampoline_kernelINS0_14default_configENS1_36segmented_radix_sort_config_selectorIilEEZNS1_25segmented_radix_sort_implIS3_Lb1EPKiPiPKlPlN2at6native12_GLOBAL__N_18offset_tEEE10hipError_tPvRmT1_PNSt15iterator_traitsISK_E10value_typeET2_T3_PNSL_ISQ_E10value_typeET4_jRbjT5_SW_jjP12ihipStream_tbEUlT_E2_NS1_11comp_targetILNS1_3genE3ELNS1_11target_archE908ELNS1_3gpuE7ELNS1_3repE0EEENS1_30default_config_static_selectorELNS0_4arch9wavefront6targetE0EEEvSK_.has_recursion, 0
	.set _ZN7rocprim17ROCPRIM_400000_NS6detail17trampoline_kernelINS0_14default_configENS1_36segmented_radix_sort_config_selectorIilEEZNS1_25segmented_radix_sort_implIS3_Lb1EPKiPiPKlPlN2at6native12_GLOBAL__N_18offset_tEEE10hipError_tPvRmT1_PNSt15iterator_traitsISK_E10value_typeET2_T3_PNSL_ISQ_E10value_typeET4_jRbjT5_SW_jjP12ihipStream_tbEUlT_E2_NS1_11comp_targetILNS1_3genE3ELNS1_11target_archE908ELNS1_3gpuE7ELNS1_3repE0EEENS1_30default_config_static_selectorELNS0_4arch9wavefront6targetE0EEEvSK_.has_indirect_call, 0
	.section	.AMDGPU.csdata,"",@progbits
; Kernel info:
; codeLenInByte = 0
; TotalNumSgprs: 0
; NumVgprs: 0
; ScratchSize: 0
; MemoryBound: 0
; FloatMode: 240
; IeeeMode: 1
; LDSByteSize: 0 bytes/workgroup (compile time only)
; SGPRBlocks: 0
; VGPRBlocks: 0
; NumSGPRsForWavesPerEU: 1
; NumVGPRsForWavesPerEU: 1
; Occupancy: 16
; WaveLimiterHint : 0
; COMPUTE_PGM_RSRC2:SCRATCH_EN: 0
; COMPUTE_PGM_RSRC2:USER_SGPR: 6
; COMPUTE_PGM_RSRC2:TRAP_HANDLER: 0
; COMPUTE_PGM_RSRC2:TGID_X_EN: 1
; COMPUTE_PGM_RSRC2:TGID_Y_EN: 0
; COMPUTE_PGM_RSRC2:TGID_Z_EN: 0
; COMPUTE_PGM_RSRC2:TIDIG_COMP_CNT: 0
	.section	.text._ZN7rocprim17ROCPRIM_400000_NS6detail17trampoline_kernelINS0_14default_configENS1_36segmented_radix_sort_config_selectorIilEEZNS1_25segmented_radix_sort_implIS3_Lb1EPKiPiPKlPlN2at6native12_GLOBAL__N_18offset_tEEE10hipError_tPvRmT1_PNSt15iterator_traitsISK_E10value_typeET2_T3_PNSL_ISQ_E10value_typeET4_jRbjT5_SW_jjP12ihipStream_tbEUlT_E2_NS1_11comp_targetILNS1_3genE2ELNS1_11target_archE906ELNS1_3gpuE6ELNS1_3repE0EEENS1_30default_config_static_selectorELNS0_4arch9wavefront6targetE0EEEvSK_,"axG",@progbits,_ZN7rocprim17ROCPRIM_400000_NS6detail17trampoline_kernelINS0_14default_configENS1_36segmented_radix_sort_config_selectorIilEEZNS1_25segmented_radix_sort_implIS3_Lb1EPKiPiPKlPlN2at6native12_GLOBAL__N_18offset_tEEE10hipError_tPvRmT1_PNSt15iterator_traitsISK_E10value_typeET2_T3_PNSL_ISQ_E10value_typeET4_jRbjT5_SW_jjP12ihipStream_tbEUlT_E2_NS1_11comp_targetILNS1_3genE2ELNS1_11target_archE906ELNS1_3gpuE6ELNS1_3repE0EEENS1_30default_config_static_selectorELNS0_4arch9wavefront6targetE0EEEvSK_,comdat
	.globl	_ZN7rocprim17ROCPRIM_400000_NS6detail17trampoline_kernelINS0_14default_configENS1_36segmented_radix_sort_config_selectorIilEEZNS1_25segmented_radix_sort_implIS3_Lb1EPKiPiPKlPlN2at6native12_GLOBAL__N_18offset_tEEE10hipError_tPvRmT1_PNSt15iterator_traitsISK_E10value_typeET2_T3_PNSL_ISQ_E10value_typeET4_jRbjT5_SW_jjP12ihipStream_tbEUlT_E2_NS1_11comp_targetILNS1_3genE2ELNS1_11target_archE906ELNS1_3gpuE6ELNS1_3repE0EEENS1_30default_config_static_selectorELNS0_4arch9wavefront6targetE0EEEvSK_ ; -- Begin function _ZN7rocprim17ROCPRIM_400000_NS6detail17trampoline_kernelINS0_14default_configENS1_36segmented_radix_sort_config_selectorIilEEZNS1_25segmented_radix_sort_implIS3_Lb1EPKiPiPKlPlN2at6native12_GLOBAL__N_18offset_tEEE10hipError_tPvRmT1_PNSt15iterator_traitsISK_E10value_typeET2_T3_PNSL_ISQ_E10value_typeET4_jRbjT5_SW_jjP12ihipStream_tbEUlT_E2_NS1_11comp_targetILNS1_3genE2ELNS1_11target_archE906ELNS1_3gpuE6ELNS1_3repE0EEENS1_30default_config_static_selectorELNS0_4arch9wavefront6targetE0EEEvSK_
	.p2align	8
	.type	_ZN7rocprim17ROCPRIM_400000_NS6detail17trampoline_kernelINS0_14default_configENS1_36segmented_radix_sort_config_selectorIilEEZNS1_25segmented_radix_sort_implIS3_Lb1EPKiPiPKlPlN2at6native12_GLOBAL__N_18offset_tEEE10hipError_tPvRmT1_PNSt15iterator_traitsISK_E10value_typeET2_T3_PNSL_ISQ_E10value_typeET4_jRbjT5_SW_jjP12ihipStream_tbEUlT_E2_NS1_11comp_targetILNS1_3genE2ELNS1_11target_archE906ELNS1_3gpuE6ELNS1_3repE0EEENS1_30default_config_static_selectorELNS0_4arch9wavefront6targetE0EEEvSK_,@function
_ZN7rocprim17ROCPRIM_400000_NS6detail17trampoline_kernelINS0_14default_configENS1_36segmented_radix_sort_config_selectorIilEEZNS1_25segmented_radix_sort_implIS3_Lb1EPKiPiPKlPlN2at6native12_GLOBAL__N_18offset_tEEE10hipError_tPvRmT1_PNSt15iterator_traitsISK_E10value_typeET2_T3_PNSL_ISQ_E10value_typeET4_jRbjT5_SW_jjP12ihipStream_tbEUlT_E2_NS1_11comp_targetILNS1_3genE2ELNS1_11target_archE906ELNS1_3gpuE6ELNS1_3repE0EEENS1_30default_config_static_selectorELNS0_4arch9wavefront6targetE0EEEvSK_: ; @_ZN7rocprim17ROCPRIM_400000_NS6detail17trampoline_kernelINS0_14default_configENS1_36segmented_radix_sort_config_selectorIilEEZNS1_25segmented_radix_sort_implIS3_Lb1EPKiPiPKlPlN2at6native12_GLOBAL__N_18offset_tEEE10hipError_tPvRmT1_PNSt15iterator_traitsISK_E10value_typeET2_T3_PNSL_ISQ_E10value_typeET4_jRbjT5_SW_jjP12ihipStream_tbEUlT_E2_NS1_11comp_targetILNS1_3genE2ELNS1_11target_archE906ELNS1_3gpuE6ELNS1_3repE0EEENS1_30default_config_static_selectorELNS0_4arch9wavefront6targetE0EEEvSK_
; %bb.0:
	.section	.rodata,"a",@progbits
	.p2align	6, 0x0
	.amdhsa_kernel _ZN7rocprim17ROCPRIM_400000_NS6detail17trampoline_kernelINS0_14default_configENS1_36segmented_radix_sort_config_selectorIilEEZNS1_25segmented_radix_sort_implIS3_Lb1EPKiPiPKlPlN2at6native12_GLOBAL__N_18offset_tEEE10hipError_tPvRmT1_PNSt15iterator_traitsISK_E10value_typeET2_T3_PNSL_ISQ_E10value_typeET4_jRbjT5_SW_jjP12ihipStream_tbEUlT_E2_NS1_11comp_targetILNS1_3genE2ELNS1_11target_archE906ELNS1_3gpuE6ELNS1_3repE0EEENS1_30default_config_static_selectorELNS0_4arch9wavefront6targetE0EEEvSK_
		.amdhsa_group_segment_fixed_size 0
		.amdhsa_private_segment_fixed_size 0
		.amdhsa_kernarg_size 80
		.amdhsa_user_sgpr_count 6
		.amdhsa_user_sgpr_private_segment_buffer 1
		.amdhsa_user_sgpr_dispatch_ptr 0
		.amdhsa_user_sgpr_queue_ptr 0
		.amdhsa_user_sgpr_kernarg_segment_ptr 1
		.amdhsa_user_sgpr_dispatch_id 0
		.amdhsa_user_sgpr_flat_scratch_init 0
		.amdhsa_user_sgpr_private_segment_size 0
		.amdhsa_wavefront_size32 1
		.amdhsa_uses_dynamic_stack 0
		.amdhsa_system_sgpr_private_segment_wavefront_offset 0
		.amdhsa_system_sgpr_workgroup_id_x 1
		.amdhsa_system_sgpr_workgroup_id_y 0
		.amdhsa_system_sgpr_workgroup_id_z 0
		.amdhsa_system_sgpr_workgroup_info 0
		.amdhsa_system_vgpr_workitem_id 0
		.amdhsa_next_free_vgpr 1
		.amdhsa_next_free_sgpr 1
		.amdhsa_reserve_vcc 0
		.amdhsa_reserve_flat_scratch 0
		.amdhsa_float_round_mode_32 0
		.amdhsa_float_round_mode_16_64 0
		.amdhsa_float_denorm_mode_32 3
		.amdhsa_float_denorm_mode_16_64 3
		.amdhsa_dx10_clamp 1
		.amdhsa_ieee_mode 1
		.amdhsa_fp16_overflow 0
		.amdhsa_workgroup_processor_mode 1
		.amdhsa_memory_ordered 1
		.amdhsa_forward_progress 1
		.amdhsa_shared_vgpr_count 0
		.amdhsa_exception_fp_ieee_invalid_op 0
		.amdhsa_exception_fp_denorm_src 0
		.amdhsa_exception_fp_ieee_div_zero 0
		.amdhsa_exception_fp_ieee_overflow 0
		.amdhsa_exception_fp_ieee_underflow 0
		.amdhsa_exception_fp_ieee_inexact 0
		.amdhsa_exception_int_div_zero 0
	.end_amdhsa_kernel
	.section	.text._ZN7rocprim17ROCPRIM_400000_NS6detail17trampoline_kernelINS0_14default_configENS1_36segmented_radix_sort_config_selectorIilEEZNS1_25segmented_radix_sort_implIS3_Lb1EPKiPiPKlPlN2at6native12_GLOBAL__N_18offset_tEEE10hipError_tPvRmT1_PNSt15iterator_traitsISK_E10value_typeET2_T3_PNSL_ISQ_E10value_typeET4_jRbjT5_SW_jjP12ihipStream_tbEUlT_E2_NS1_11comp_targetILNS1_3genE2ELNS1_11target_archE906ELNS1_3gpuE6ELNS1_3repE0EEENS1_30default_config_static_selectorELNS0_4arch9wavefront6targetE0EEEvSK_,"axG",@progbits,_ZN7rocprim17ROCPRIM_400000_NS6detail17trampoline_kernelINS0_14default_configENS1_36segmented_radix_sort_config_selectorIilEEZNS1_25segmented_radix_sort_implIS3_Lb1EPKiPiPKlPlN2at6native12_GLOBAL__N_18offset_tEEE10hipError_tPvRmT1_PNSt15iterator_traitsISK_E10value_typeET2_T3_PNSL_ISQ_E10value_typeET4_jRbjT5_SW_jjP12ihipStream_tbEUlT_E2_NS1_11comp_targetILNS1_3genE2ELNS1_11target_archE906ELNS1_3gpuE6ELNS1_3repE0EEENS1_30default_config_static_selectorELNS0_4arch9wavefront6targetE0EEEvSK_,comdat
.Lfunc_end526:
	.size	_ZN7rocprim17ROCPRIM_400000_NS6detail17trampoline_kernelINS0_14default_configENS1_36segmented_radix_sort_config_selectorIilEEZNS1_25segmented_radix_sort_implIS3_Lb1EPKiPiPKlPlN2at6native12_GLOBAL__N_18offset_tEEE10hipError_tPvRmT1_PNSt15iterator_traitsISK_E10value_typeET2_T3_PNSL_ISQ_E10value_typeET4_jRbjT5_SW_jjP12ihipStream_tbEUlT_E2_NS1_11comp_targetILNS1_3genE2ELNS1_11target_archE906ELNS1_3gpuE6ELNS1_3repE0EEENS1_30default_config_static_selectorELNS0_4arch9wavefront6targetE0EEEvSK_, .Lfunc_end526-_ZN7rocprim17ROCPRIM_400000_NS6detail17trampoline_kernelINS0_14default_configENS1_36segmented_radix_sort_config_selectorIilEEZNS1_25segmented_radix_sort_implIS3_Lb1EPKiPiPKlPlN2at6native12_GLOBAL__N_18offset_tEEE10hipError_tPvRmT1_PNSt15iterator_traitsISK_E10value_typeET2_T3_PNSL_ISQ_E10value_typeET4_jRbjT5_SW_jjP12ihipStream_tbEUlT_E2_NS1_11comp_targetILNS1_3genE2ELNS1_11target_archE906ELNS1_3gpuE6ELNS1_3repE0EEENS1_30default_config_static_selectorELNS0_4arch9wavefront6targetE0EEEvSK_
                                        ; -- End function
	.set _ZN7rocprim17ROCPRIM_400000_NS6detail17trampoline_kernelINS0_14default_configENS1_36segmented_radix_sort_config_selectorIilEEZNS1_25segmented_radix_sort_implIS3_Lb1EPKiPiPKlPlN2at6native12_GLOBAL__N_18offset_tEEE10hipError_tPvRmT1_PNSt15iterator_traitsISK_E10value_typeET2_T3_PNSL_ISQ_E10value_typeET4_jRbjT5_SW_jjP12ihipStream_tbEUlT_E2_NS1_11comp_targetILNS1_3genE2ELNS1_11target_archE906ELNS1_3gpuE6ELNS1_3repE0EEENS1_30default_config_static_selectorELNS0_4arch9wavefront6targetE0EEEvSK_.num_vgpr, 0
	.set _ZN7rocprim17ROCPRIM_400000_NS6detail17trampoline_kernelINS0_14default_configENS1_36segmented_radix_sort_config_selectorIilEEZNS1_25segmented_radix_sort_implIS3_Lb1EPKiPiPKlPlN2at6native12_GLOBAL__N_18offset_tEEE10hipError_tPvRmT1_PNSt15iterator_traitsISK_E10value_typeET2_T3_PNSL_ISQ_E10value_typeET4_jRbjT5_SW_jjP12ihipStream_tbEUlT_E2_NS1_11comp_targetILNS1_3genE2ELNS1_11target_archE906ELNS1_3gpuE6ELNS1_3repE0EEENS1_30default_config_static_selectorELNS0_4arch9wavefront6targetE0EEEvSK_.num_agpr, 0
	.set _ZN7rocprim17ROCPRIM_400000_NS6detail17trampoline_kernelINS0_14default_configENS1_36segmented_radix_sort_config_selectorIilEEZNS1_25segmented_radix_sort_implIS3_Lb1EPKiPiPKlPlN2at6native12_GLOBAL__N_18offset_tEEE10hipError_tPvRmT1_PNSt15iterator_traitsISK_E10value_typeET2_T3_PNSL_ISQ_E10value_typeET4_jRbjT5_SW_jjP12ihipStream_tbEUlT_E2_NS1_11comp_targetILNS1_3genE2ELNS1_11target_archE906ELNS1_3gpuE6ELNS1_3repE0EEENS1_30default_config_static_selectorELNS0_4arch9wavefront6targetE0EEEvSK_.numbered_sgpr, 0
	.set _ZN7rocprim17ROCPRIM_400000_NS6detail17trampoline_kernelINS0_14default_configENS1_36segmented_radix_sort_config_selectorIilEEZNS1_25segmented_radix_sort_implIS3_Lb1EPKiPiPKlPlN2at6native12_GLOBAL__N_18offset_tEEE10hipError_tPvRmT1_PNSt15iterator_traitsISK_E10value_typeET2_T3_PNSL_ISQ_E10value_typeET4_jRbjT5_SW_jjP12ihipStream_tbEUlT_E2_NS1_11comp_targetILNS1_3genE2ELNS1_11target_archE906ELNS1_3gpuE6ELNS1_3repE0EEENS1_30default_config_static_selectorELNS0_4arch9wavefront6targetE0EEEvSK_.num_named_barrier, 0
	.set _ZN7rocprim17ROCPRIM_400000_NS6detail17trampoline_kernelINS0_14default_configENS1_36segmented_radix_sort_config_selectorIilEEZNS1_25segmented_radix_sort_implIS3_Lb1EPKiPiPKlPlN2at6native12_GLOBAL__N_18offset_tEEE10hipError_tPvRmT1_PNSt15iterator_traitsISK_E10value_typeET2_T3_PNSL_ISQ_E10value_typeET4_jRbjT5_SW_jjP12ihipStream_tbEUlT_E2_NS1_11comp_targetILNS1_3genE2ELNS1_11target_archE906ELNS1_3gpuE6ELNS1_3repE0EEENS1_30default_config_static_selectorELNS0_4arch9wavefront6targetE0EEEvSK_.private_seg_size, 0
	.set _ZN7rocprim17ROCPRIM_400000_NS6detail17trampoline_kernelINS0_14default_configENS1_36segmented_radix_sort_config_selectorIilEEZNS1_25segmented_radix_sort_implIS3_Lb1EPKiPiPKlPlN2at6native12_GLOBAL__N_18offset_tEEE10hipError_tPvRmT1_PNSt15iterator_traitsISK_E10value_typeET2_T3_PNSL_ISQ_E10value_typeET4_jRbjT5_SW_jjP12ihipStream_tbEUlT_E2_NS1_11comp_targetILNS1_3genE2ELNS1_11target_archE906ELNS1_3gpuE6ELNS1_3repE0EEENS1_30default_config_static_selectorELNS0_4arch9wavefront6targetE0EEEvSK_.uses_vcc, 0
	.set _ZN7rocprim17ROCPRIM_400000_NS6detail17trampoline_kernelINS0_14default_configENS1_36segmented_radix_sort_config_selectorIilEEZNS1_25segmented_radix_sort_implIS3_Lb1EPKiPiPKlPlN2at6native12_GLOBAL__N_18offset_tEEE10hipError_tPvRmT1_PNSt15iterator_traitsISK_E10value_typeET2_T3_PNSL_ISQ_E10value_typeET4_jRbjT5_SW_jjP12ihipStream_tbEUlT_E2_NS1_11comp_targetILNS1_3genE2ELNS1_11target_archE906ELNS1_3gpuE6ELNS1_3repE0EEENS1_30default_config_static_selectorELNS0_4arch9wavefront6targetE0EEEvSK_.uses_flat_scratch, 0
	.set _ZN7rocprim17ROCPRIM_400000_NS6detail17trampoline_kernelINS0_14default_configENS1_36segmented_radix_sort_config_selectorIilEEZNS1_25segmented_radix_sort_implIS3_Lb1EPKiPiPKlPlN2at6native12_GLOBAL__N_18offset_tEEE10hipError_tPvRmT1_PNSt15iterator_traitsISK_E10value_typeET2_T3_PNSL_ISQ_E10value_typeET4_jRbjT5_SW_jjP12ihipStream_tbEUlT_E2_NS1_11comp_targetILNS1_3genE2ELNS1_11target_archE906ELNS1_3gpuE6ELNS1_3repE0EEENS1_30default_config_static_selectorELNS0_4arch9wavefront6targetE0EEEvSK_.has_dyn_sized_stack, 0
	.set _ZN7rocprim17ROCPRIM_400000_NS6detail17trampoline_kernelINS0_14default_configENS1_36segmented_radix_sort_config_selectorIilEEZNS1_25segmented_radix_sort_implIS3_Lb1EPKiPiPKlPlN2at6native12_GLOBAL__N_18offset_tEEE10hipError_tPvRmT1_PNSt15iterator_traitsISK_E10value_typeET2_T3_PNSL_ISQ_E10value_typeET4_jRbjT5_SW_jjP12ihipStream_tbEUlT_E2_NS1_11comp_targetILNS1_3genE2ELNS1_11target_archE906ELNS1_3gpuE6ELNS1_3repE0EEENS1_30default_config_static_selectorELNS0_4arch9wavefront6targetE0EEEvSK_.has_recursion, 0
	.set _ZN7rocprim17ROCPRIM_400000_NS6detail17trampoline_kernelINS0_14default_configENS1_36segmented_radix_sort_config_selectorIilEEZNS1_25segmented_radix_sort_implIS3_Lb1EPKiPiPKlPlN2at6native12_GLOBAL__N_18offset_tEEE10hipError_tPvRmT1_PNSt15iterator_traitsISK_E10value_typeET2_T3_PNSL_ISQ_E10value_typeET4_jRbjT5_SW_jjP12ihipStream_tbEUlT_E2_NS1_11comp_targetILNS1_3genE2ELNS1_11target_archE906ELNS1_3gpuE6ELNS1_3repE0EEENS1_30default_config_static_selectorELNS0_4arch9wavefront6targetE0EEEvSK_.has_indirect_call, 0
	.section	.AMDGPU.csdata,"",@progbits
; Kernel info:
; codeLenInByte = 0
; TotalNumSgprs: 0
; NumVgprs: 0
; ScratchSize: 0
; MemoryBound: 0
; FloatMode: 240
; IeeeMode: 1
; LDSByteSize: 0 bytes/workgroup (compile time only)
; SGPRBlocks: 0
; VGPRBlocks: 0
; NumSGPRsForWavesPerEU: 1
; NumVGPRsForWavesPerEU: 1
; Occupancy: 16
; WaveLimiterHint : 0
; COMPUTE_PGM_RSRC2:SCRATCH_EN: 0
; COMPUTE_PGM_RSRC2:USER_SGPR: 6
; COMPUTE_PGM_RSRC2:TRAP_HANDLER: 0
; COMPUTE_PGM_RSRC2:TGID_X_EN: 1
; COMPUTE_PGM_RSRC2:TGID_Y_EN: 0
; COMPUTE_PGM_RSRC2:TGID_Z_EN: 0
; COMPUTE_PGM_RSRC2:TIDIG_COMP_CNT: 0
	.section	.text._ZN7rocprim17ROCPRIM_400000_NS6detail17trampoline_kernelINS0_14default_configENS1_36segmented_radix_sort_config_selectorIilEEZNS1_25segmented_radix_sort_implIS3_Lb1EPKiPiPKlPlN2at6native12_GLOBAL__N_18offset_tEEE10hipError_tPvRmT1_PNSt15iterator_traitsISK_E10value_typeET2_T3_PNSL_ISQ_E10value_typeET4_jRbjT5_SW_jjP12ihipStream_tbEUlT_E2_NS1_11comp_targetILNS1_3genE10ELNS1_11target_archE1201ELNS1_3gpuE5ELNS1_3repE0EEENS1_30default_config_static_selectorELNS0_4arch9wavefront6targetE0EEEvSK_,"axG",@progbits,_ZN7rocprim17ROCPRIM_400000_NS6detail17trampoline_kernelINS0_14default_configENS1_36segmented_radix_sort_config_selectorIilEEZNS1_25segmented_radix_sort_implIS3_Lb1EPKiPiPKlPlN2at6native12_GLOBAL__N_18offset_tEEE10hipError_tPvRmT1_PNSt15iterator_traitsISK_E10value_typeET2_T3_PNSL_ISQ_E10value_typeET4_jRbjT5_SW_jjP12ihipStream_tbEUlT_E2_NS1_11comp_targetILNS1_3genE10ELNS1_11target_archE1201ELNS1_3gpuE5ELNS1_3repE0EEENS1_30default_config_static_selectorELNS0_4arch9wavefront6targetE0EEEvSK_,comdat
	.globl	_ZN7rocprim17ROCPRIM_400000_NS6detail17trampoline_kernelINS0_14default_configENS1_36segmented_radix_sort_config_selectorIilEEZNS1_25segmented_radix_sort_implIS3_Lb1EPKiPiPKlPlN2at6native12_GLOBAL__N_18offset_tEEE10hipError_tPvRmT1_PNSt15iterator_traitsISK_E10value_typeET2_T3_PNSL_ISQ_E10value_typeET4_jRbjT5_SW_jjP12ihipStream_tbEUlT_E2_NS1_11comp_targetILNS1_3genE10ELNS1_11target_archE1201ELNS1_3gpuE5ELNS1_3repE0EEENS1_30default_config_static_selectorELNS0_4arch9wavefront6targetE0EEEvSK_ ; -- Begin function _ZN7rocprim17ROCPRIM_400000_NS6detail17trampoline_kernelINS0_14default_configENS1_36segmented_radix_sort_config_selectorIilEEZNS1_25segmented_radix_sort_implIS3_Lb1EPKiPiPKlPlN2at6native12_GLOBAL__N_18offset_tEEE10hipError_tPvRmT1_PNSt15iterator_traitsISK_E10value_typeET2_T3_PNSL_ISQ_E10value_typeET4_jRbjT5_SW_jjP12ihipStream_tbEUlT_E2_NS1_11comp_targetILNS1_3genE10ELNS1_11target_archE1201ELNS1_3gpuE5ELNS1_3repE0EEENS1_30default_config_static_selectorELNS0_4arch9wavefront6targetE0EEEvSK_
	.p2align	8
	.type	_ZN7rocprim17ROCPRIM_400000_NS6detail17trampoline_kernelINS0_14default_configENS1_36segmented_radix_sort_config_selectorIilEEZNS1_25segmented_radix_sort_implIS3_Lb1EPKiPiPKlPlN2at6native12_GLOBAL__N_18offset_tEEE10hipError_tPvRmT1_PNSt15iterator_traitsISK_E10value_typeET2_T3_PNSL_ISQ_E10value_typeET4_jRbjT5_SW_jjP12ihipStream_tbEUlT_E2_NS1_11comp_targetILNS1_3genE10ELNS1_11target_archE1201ELNS1_3gpuE5ELNS1_3repE0EEENS1_30default_config_static_selectorELNS0_4arch9wavefront6targetE0EEEvSK_,@function
_ZN7rocprim17ROCPRIM_400000_NS6detail17trampoline_kernelINS0_14default_configENS1_36segmented_radix_sort_config_selectorIilEEZNS1_25segmented_radix_sort_implIS3_Lb1EPKiPiPKlPlN2at6native12_GLOBAL__N_18offset_tEEE10hipError_tPvRmT1_PNSt15iterator_traitsISK_E10value_typeET2_T3_PNSL_ISQ_E10value_typeET4_jRbjT5_SW_jjP12ihipStream_tbEUlT_E2_NS1_11comp_targetILNS1_3genE10ELNS1_11target_archE1201ELNS1_3gpuE5ELNS1_3repE0EEENS1_30default_config_static_selectorELNS0_4arch9wavefront6targetE0EEEvSK_: ; @_ZN7rocprim17ROCPRIM_400000_NS6detail17trampoline_kernelINS0_14default_configENS1_36segmented_radix_sort_config_selectorIilEEZNS1_25segmented_radix_sort_implIS3_Lb1EPKiPiPKlPlN2at6native12_GLOBAL__N_18offset_tEEE10hipError_tPvRmT1_PNSt15iterator_traitsISK_E10value_typeET2_T3_PNSL_ISQ_E10value_typeET4_jRbjT5_SW_jjP12ihipStream_tbEUlT_E2_NS1_11comp_targetILNS1_3genE10ELNS1_11target_archE1201ELNS1_3gpuE5ELNS1_3repE0EEENS1_30default_config_static_selectorELNS0_4arch9wavefront6targetE0EEEvSK_
; %bb.0:
	.section	.rodata,"a",@progbits
	.p2align	6, 0x0
	.amdhsa_kernel _ZN7rocprim17ROCPRIM_400000_NS6detail17trampoline_kernelINS0_14default_configENS1_36segmented_radix_sort_config_selectorIilEEZNS1_25segmented_radix_sort_implIS3_Lb1EPKiPiPKlPlN2at6native12_GLOBAL__N_18offset_tEEE10hipError_tPvRmT1_PNSt15iterator_traitsISK_E10value_typeET2_T3_PNSL_ISQ_E10value_typeET4_jRbjT5_SW_jjP12ihipStream_tbEUlT_E2_NS1_11comp_targetILNS1_3genE10ELNS1_11target_archE1201ELNS1_3gpuE5ELNS1_3repE0EEENS1_30default_config_static_selectorELNS0_4arch9wavefront6targetE0EEEvSK_
		.amdhsa_group_segment_fixed_size 0
		.amdhsa_private_segment_fixed_size 0
		.amdhsa_kernarg_size 80
		.amdhsa_user_sgpr_count 6
		.amdhsa_user_sgpr_private_segment_buffer 1
		.amdhsa_user_sgpr_dispatch_ptr 0
		.amdhsa_user_sgpr_queue_ptr 0
		.amdhsa_user_sgpr_kernarg_segment_ptr 1
		.amdhsa_user_sgpr_dispatch_id 0
		.amdhsa_user_sgpr_flat_scratch_init 0
		.amdhsa_user_sgpr_private_segment_size 0
		.amdhsa_wavefront_size32 1
		.amdhsa_uses_dynamic_stack 0
		.amdhsa_system_sgpr_private_segment_wavefront_offset 0
		.amdhsa_system_sgpr_workgroup_id_x 1
		.amdhsa_system_sgpr_workgroup_id_y 0
		.amdhsa_system_sgpr_workgroup_id_z 0
		.amdhsa_system_sgpr_workgroup_info 0
		.amdhsa_system_vgpr_workitem_id 0
		.amdhsa_next_free_vgpr 1
		.amdhsa_next_free_sgpr 1
		.amdhsa_reserve_vcc 0
		.amdhsa_reserve_flat_scratch 0
		.amdhsa_float_round_mode_32 0
		.amdhsa_float_round_mode_16_64 0
		.amdhsa_float_denorm_mode_32 3
		.amdhsa_float_denorm_mode_16_64 3
		.amdhsa_dx10_clamp 1
		.amdhsa_ieee_mode 1
		.amdhsa_fp16_overflow 0
		.amdhsa_workgroup_processor_mode 1
		.amdhsa_memory_ordered 1
		.amdhsa_forward_progress 1
		.amdhsa_shared_vgpr_count 0
		.amdhsa_exception_fp_ieee_invalid_op 0
		.amdhsa_exception_fp_denorm_src 0
		.amdhsa_exception_fp_ieee_div_zero 0
		.amdhsa_exception_fp_ieee_overflow 0
		.amdhsa_exception_fp_ieee_underflow 0
		.amdhsa_exception_fp_ieee_inexact 0
		.amdhsa_exception_int_div_zero 0
	.end_amdhsa_kernel
	.section	.text._ZN7rocprim17ROCPRIM_400000_NS6detail17trampoline_kernelINS0_14default_configENS1_36segmented_radix_sort_config_selectorIilEEZNS1_25segmented_radix_sort_implIS3_Lb1EPKiPiPKlPlN2at6native12_GLOBAL__N_18offset_tEEE10hipError_tPvRmT1_PNSt15iterator_traitsISK_E10value_typeET2_T3_PNSL_ISQ_E10value_typeET4_jRbjT5_SW_jjP12ihipStream_tbEUlT_E2_NS1_11comp_targetILNS1_3genE10ELNS1_11target_archE1201ELNS1_3gpuE5ELNS1_3repE0EEENS1_30default_config_static_selectorELNS0_4arch9wavefront6targetE0EEEvSK_,"axG",@progbits,_ZN7rocprim17ROCPRIM_400000_NS6detail17trampoline_kernelINS0_14default_configENS1_36segmented_radix_sort_config_selectorIilEEZNS1_25segmented_radix_sort_implIS3_Lb1EPKiPiPKlPlN2at6native12_GLOBAL__N_18offset_tEEE10hipError_tPvRmT1_PNSt15iterator_traitsISK_E10value_typeET2_T3_PNSL_ISQ_E10value_typeET4_jRbjT5_SW_jjP12ihipStream_tbEUlT_E2_NS1_11comp_targetILNS1_3genE10ELNS1_11target_archE1201ELNS1_3gpuE5ELNS1_3repE0EEENS1_30default_config_static_selectorELNS0_4arch9wavefront6targetE0EEEvSK_,comdat
.Lfunc_end527:
	.size	_ZN7rocprim17ROCPRIM_400000_NS6detail17trampoline_kernelINS0_14default_configENS1_36segmented_radix_sort_config_selectorIilEEZNS1_25segmented_radix_sort_implIS3_Lb1EPKiPiPKlPlN2at6native12_GLOBAL__N_18offset_tEEE10hipError_tPvRmT1_PNSt15iterator_traitsISK_E10value_typeET2_T3_PNSL_ISQ_E10value_typeET4_jRbjT5_SW_jjP12ihipStream_tbEUlT_E2_NS1_11comp_targetILNS1_3genE10ELNS1_11target_archE1201ELNS1_3gpuE5ELNS1_3repE0EEENS1_30default_config_static_selectorELNS0_4arch9wavefront6targetE0EEEvSK_, .Lfunc_end527-_ZN7rocprim17ROCPRIM_400000_NS6detail17trampoline_kernelINS0_14default_configENS1_36segmented_radix_sort_config_selectorIilEEZNS1_25segmented_radix_sort_implIS3_Lb1EPKiPiPKlPlN2at6native12_GLOBAL__N_18offset_tEEE10hipError_tPvRmT1_PNSt15iterator_traitsISK_E10value_typeET2_T3_PNSL_ISQ_E10value_typeET4_jRbjT5_SW_jjP12ihipStream_tbEUlT_E2_NS1_11comp_targetILNS1_3genE10ELNS1_11target_archE1201ELNS1_3gpuE5ELNS1_3repE0EEENS1_30default_config_static_selectorELNS0_4arch9wavefront6targetE0EEEvSK_
                                        ; -- End function
	.set _ZN7rocprim17ROCPRIM_400000_NS6detail17trampoline_kernelINS0_14default_configENS1_36segmented_radix_sort_config_selectorIilEEZNS1_25segmented_radix_sort_implIS3_Lb1EPKiPiPKlPlN2at6native12_GLOBAL__N_18offset_tEEE10hipError_tPvRmT1_PNSt15iterator_traitsISK_E10value_typeET2_T3_PNSL_ISQ_E10value_typeET4_jRbjT5_SW_jjP12ihipStream_tbEUlT_E2_NS1_11comp_targetILNS1_3genE10ELNS1_11target_archE1201ELNS1_3gpuE5ELNS1_3repE0EEENS1_30default_config_static_selectorELNS0_4arch9wavefront6targetE0EEEvSK_.num_vgpr, 0
	.set _ZN7rocprim17ROCPRIM_400000_NS6detail17trampoline_kernelINS0_14default_configENS1_36segmented_radix_sort_config_selectorIilEEZNS1_25segmented_radix_sort_implIS3_Lb1EPKiPiPKlPlN2at6native12_GLOBAL__N_18offset_tEEE10hipError_tPvRmT1_PNSt15iterator_traitsISK_E10value_typeET2_T3_PNSL_ISQ_E10value_typeET4_jRbjT5_SW_jjP12ihipStream_tbEUlT_E2_NS1_11comp_targetILNS1_3genE10ELNS1_11target_archE1201ELNS1_3gpuE5ELNS1_3repE0EEENS1_30default_config_static_selectorELNS0_4arch9wavefront6targetE0EEEvSK_.num_agpr, 0
	.set _ZN7rocprim17ROCPRIM_400000_NS6detail17trampoline_kernelINS0_14default_configENS1_36segmented_radix_sort_config_selectorIilEEZNS1_25segmented_radix_sort_implIS3_Lb1EPKiPiPKlPlN2at6native12_GLOBAL__N_18offset_tEEE10hipError_tPvRmT1_PNSt15iterator_traitsISK_E10value_typeET2_T3_PNSL_ISQ_E10value_typeET4_jRbjT5_SW_jjP12ihipStream_tbEUlT_E2_NS1_11comp_targetILNS1_3genE10ELNS1_11target_archE1201ELNS1_3gpuE5ELNS1_3repE0EEENS1_30default_config_static_selectorELNS0_4arch9wavefront6targetE0EEEvSK_.numbered_sgpr, 0
	.set _ZN7rocprim17ROCPRIM_400000_NS6detail17trampoline_kernelINS0_14default_configENS1_36segmented_radix_sort_config_selectorIilEEZNS1_25segmented_radix_sort_implIS3_Lb1EPKiPiPKlPlN2at6native12_GLOBAL__N_18offset_tEEE10hipError_tPvRmT1_PNSt15iterator_traitsISK_E10value_typeET2_T3_PNSL_ISQ_E10value_typeET4_jRbjT5_SW_jjP12ihipStream_tbEUlT_E2_NS1_11comp_targetILNS1_3genE10ELNS1_11target_archE1201ELNS1_3gpuE5ELNS1_3repE0EEENS1_30default_config_static_selectorELNS0_4arch9wavefront6targetE0EEEvSK_.num_named_barrier, 0
	.set _ZN7rocprim17ROCPRIM_400000_NS6detail17trampoline_kernelINS0_14default_configENS1_36segmented_radix_sort_config_selectorIilEEZNS1_25segmented_radix_sort_implIS3_Lb1EPKiPiPKlPlN2at6native12_GLOBAL__N_18offset_tEEE10hipError_tPvRmT1_PNSt15iterator_traitsISK_E10value_typeET2_T3_PNSL_ISQ_E10value_typeET4_jRbjT5_SW_jjP12ihipStream_tbEUlT_E2_NS1_11comp_targetILNS1_3genE10ELNS1_11target_archE1201ELNS1_3gpuE5ELNS1_3repE0EEENS1_30default_config_static_selectorELNS0_4arch9wavefront6targetE0EEEvSK_.private_seg_size, 0
	.set _ZN7rocprim17ROCPRIM_400000_NS6detail17trampoline_kernelINS0_14default_configENS1_36segmented_radix_sort_config_selectorIilEEZNS1_25segmented_radix_sort_implIS3_Lb1EPKiPiPKlPlN2at6native12_GLOBAL__N_18offset_tEEE10hipError_tPvRmT1_PNSt15iterator_traitsISK_E10value_typeET2_T3_PNSL_ISQ_E10value_typeET4_jRbjT5_SW_jjP12ihipStream_tbEUlT_E2_NS1_11comp_targetILNS1_3genE10ELNS1_11target_archE1201ELNS1_3gpuE5ELNS1_3repE0EEENS1_30default_config_static_selectorELNS0_4arch9wavefront6targetE0EEEvSK_.uses_vcc, 0
	.set _ZN7rocprim17ROCPRIM_400000_NS6detail17trampoline_kernelINS0_14default_configENS1_36segmented_radix_sort_config_selectorIilEEZNS1_25segmented_radix_sort_implIS3_Lb1EPKiPiPKlPlN2at6native12_GLOBAL__N_18offset_tEEE10hipError_tPvRmT1_PNSt15iterator_traitsISK_E10value_typeET2_T3_PNSL_ISQ_E10value_typeET4_jRbjT5_SW_jjP12ihipStream_tbEUlT_E2_NS1_11comp_targetILNS1_3genE10ELNS1_11target_archE1201ELNS1_3gpuE5ELNS1_3repE0EEENS1_30default_config_static_selectorELNS0_4arch9wavefront6targetE0EEEvSK_.uses_flat_scratch, 0
	.set _ZN7rocprim17ROCPRIM_400000_NS6detail17trampoline_kernelINS0_14default_configENS1_36segmented_radix_sort_config_selectorIilEEZNS1_25segmented_radix_sort_implIS3_Lb1EPKiPiPKlPlN2at6native12_GLOBAL__N_18offset_tEEE10hipError_tPvRmT1_PNSt15iterator_traitsISK_E10value_typeET2_T3_PNSL_ISQ_E10value_typeET4_jRbjT5_SW_jjP12ihipStream_tbEUlT_E2_NS1_11comp_targetILNS1_3genE10ELNS1_11target_archE1201ELNS1_3gpuE5ELNS1_3repE0EEENS1_30default_config_static_selectorELNS0_4arch9wavefront6targetE0EEEvSK_.has_dyn_sized_stack, 0
	.set _ZN7rocprim17ROCPRIM_400000_NS6detail17trampoline_kernelINS0_14default_configENS1_36segmented_radix_sort_config_selectorIilEEZNS1_25segmented_radix_sort_implIS3_Lb1EPKiPiPKlPlN2at6native12_GLOBAL__N_18offset_tEEE10hipError_tPvRmT1_PNSt15iterator_traitsISK_E10value_typeET2_T3_PNSL_ISQ_E10value_typeET4_jRbjT5_SW_jjP12ihipStream_tbEUlT_E2_NS1_11comp_targetILNS1_3genE10ELNS1_11target_archE1201ELNS1_3gpuE5ELNS1_3repE0EEENS1_30default_config_static_selectorELNS0_4arch9wavefront6targetE0EEEvSK_.has_recursion, 0
	.set _ZN7rocprim17ROCPRIM_400000_NS6detail17trampoline_kernelINS0_14default_configENS1_36segmented_radix_sort_config_selectorIilEEZNS1_25segmented_radix_sort_implIS3_Lb1EPKiPiPKlPlN2at6native12_GLOBAL__N_18offset_tEEE10hipError_tPvRmT1_PNSt15iterator_traitsISK_E10value_typeET2_T3_PNSL_ISQ_E10value_typeET4_jRbjT5_SW_jjP12ihipStream_tbEUlT_E2_NS1_11comp_targetILNS1_3genE10ELNS1_11target_archE1201ELNS1_3gpuE5ELNS1_3repE0EEENS1_30default_config_static_selectorELNS0_4arch9wavefront6targetE0EEEvSK_.has_indirect_call, 0
	.section	.AMDGPU.csdata,"",@progbits
; Kernel info:
; codeLenInByte = 0
; TotalNumSgprs: 0
; NumVgprs: 0
; ScratchSize: 0
; MemoryBound: 0
; FloatMode: 240
; IeeeMode: 1
; LDSByteSize: 0 bytes/workgroup (compile time only)
; SGPRBlocks: 0
; VGPRBlocks: 0
; NumSGPRsForWavesPerEU: 1
; NumVGPRsForWavesPerEU: 1
; Occupancy: 16
; WaveLimiterHint : 0
; COMPUTE_PGM_RSRC2:SCRATCH_EN: 0
; COMPUTE_PGM_RSRC2:USER_SGPR: 6
; COMPUTE_PGM_RSRC2:TRAP_HANDLER: 0
; COMPUTE_PGM_RSRC2:TGID_X_EN: 1
; COMPUTE_PGM_RSRC2:TGID_Y_EN: 0
; COMPUTE_PGM_RSRC2:TGID_Z_EN: 0
; COMPUTE_PGM_RSRC2:TIDIG_COMP_CNT: 0
	.section	.text._ZN7rocprim17ROCPRIM_400000_NS6detail17trampoline_kernelINS0_14default_configENS1_36segmented_radix_sort_config_selectorIilEEZNS1_25segmented_radix_sort_implIS3_Lb1EPKiPiPKlPlN2at6native12_GLOBAL__N_18offset_tEEE10hipError_tPvRmT1_PNSt15iterator_traitsISK_E10value_typeET2_T3_PNSL_ISQ_E10value_typeET4_jRbjT5_SW_jjP12ihipStream_tbEUlT_E2_NS1_11comp_targetILNS1_3genE10ELNS1_11target_archE1200ELNS1_3gpuE4ELNS1_3repE0EEENS1_30default_config_static_selectorELNS0_4arch9wavefront6targetE0EEEvSK_,"axG",@progbits,_ZN7rocprim17ROCPRIM_400000_NS6detail17trampoline_kernelINS0_14default_configENS1_36segmented_radix_sort_config_selectorIilEEZNS1_25segmented_radix_sort_implIS3_Lb1EPKiPiPKlPlN2at6native12_GLOBAL__N_18offset_tEEE10hipError_tPvRmT1_PNSt15iterator_traitsISK_E10value_typeET2_T3_PNSL_ISQ_E10value_typeET4_jRbjT5_SW_jjP12ihipStream_tbEUlT_E2_NS1_11comp_targetILNS1_3genE10ELNS1_11target_archE1200ELNS1_3gpuE4ELNS1_3repE0EEENS1_30default_config_static_selectorELNS0_4arch9wavefront6targetE0EEEvSK_,comdat
	.globl	_ZN7rocprim17ROCPRIM_400000_NS6detail17trampoline_kernelINS0_14default_configENS1_36segmented_radix_sort_config_selectorIilEEZNS1_25segmented_radix_sort_implIS3_Lb1EPKiPiPKlPlN2at6native12_GLOBAL__N_18offset_tEEE10hipError_tPvRmT1_PNSt15iterator_traitsISK_E10value_typeET2_T3_PNSL_ISQ_E10value_typeET4_jRbjT5_SW_jjP12ihipStream_tbEUlT_E2_NS1_11comp_targetILNS1_3genE10ELNS1_11target_archE1200ELNS1_3gpuE4ELNS1_3repE0EEENS1_30default_config_static_selectorELNS0_4arch9wavefront6targetE0EEEvSK_ ; -- Begin function _ZN7rocprim17ROCPRIM_400000_NS6detail17trampoline_kernelINS0_14default_configENS1_36segmented_radix_sort_config_selectorIilEEZNS1_25segmented_radix_sort_implIS3_Lb1EPKiPiPKlPlN2at6native12_GLOBAL__N_18offset_tEEE10hipError_tPvRmT1_PNSt15iterator_traitsISK_E10value_typeET2_T3_PNSL_ISQ_E10value_typeET4_jRbjT5_SW_jjP12ihipStream_tbEUlT_E2_NS1_11comp_targetILNS1_3genE10ELNS1_11target_archE1200ELNS1_3gpuE4ELNS1_3repE0EEENS1_30default_config_static_selectorELNS0_4arch9wavefront6targetE0EEEvSK_
	.p2align	8
	.type	_ZN7rocprim17ROCPRIM_400000_NS6detail17trampoline_kernelINS0_14default_configENS1_36segmented_radix_sort_config_selectorIilEEZNS1_25segmented_radix_sort_implIS3_Lb1EPKiPiPKlPlN2at6native12_GLOBAL__N_18offset_tEEE10hipError_tPvRmT1_PNSt15iterator_traitsISK_E10value_typeET2_T3_PNSL_ISQ_E10value_typeET4_jRbjT5_SW_jjP12ihipStream_tbEUlT_E2_NS1_11comp_targetILNS1_3genE10ELNS1_11target_archE1200ELNS1_3gpuE4ELNS1_3repE0EEENS1_30default_config_static_selectorELNS0_4arch9wavefront6targetE0EEEvSK_,@function
_ZN7rocprim17ROCPRIM_400000_NS6detail17trampoline_kernelINS0_14default_configENS1_36segmented_radix_sort_config_selectorIilEEZNS1_25segmented_radix_sort_implIS3_Lb1EPKiPiPKlPlN2at6native12_GLOBAL__N_18offset_tEEE10hipError_tPvRmT1_PNSt15iterator_traitsISK_E10value_typeET2_T3_PNSL_ISQ_E10value_typeET4_jRbjT5_SW_jjP12ihipStream_tbEUlT_E2_NS1_11comp_targetILNS1_3genE10ELNS1_11target_archE1200ELNS1_3gpuE4ELNS1_3repE0EEENS1_30default_config_static_selectorELNS0_4arch9wavefront6targetE0EEEvSK_: ; @_ZN7rocprim17ROCPRIM_400000_NS6detail17trampoline_kernelINS0_14default_configENS1_36segmented_radix_sort_config_selectorIilEEZNS1_25segmented_radix_sort_implIS3_Lb1EPKiPiPKlPlN2at6native12_GLOBAL__N_18offset_tEEE10hipError_tPvRmT1_PNSt15iterator_traitsISK_E10value_typeET2_T3_PNSL_ISQ_E10value_typeET4_jRbjT5_SW_jjP12ihipStream_tbEUlT_E2_NS1_11comp_targetILNS1_3genE10ELNS1_11target_archE1200ELNS1_3gpuE4ELNS1_3repE0EEENS1_30default_config_static_selectorELNS0_4arch9wavefront6targetE0EEEvSK_
; %bb.0:
	.section	.rodata,"a",@progbits
	.p2align	6, 0x0
	.amdhsa_kernel _ZN7rocprim17ROCPRIM_400000_NS6detail17trampoline_kernelINS0_14default_configENS1_36segmented_radix_sort_config_selectorIilEEZNS1_25segmented_radix_sort_implIS3_Lb1EPKiPiPKlPlN2at6native12_GLOBAL__N_18offset_tEEE10hipError_tPvRmT1_PNSt15iterator_traitsISK_E10value_typeET2_T3_PNSL_ISQ_E10value_typeET4_jRbjT5_SW_jjP12ihipStream_tbEUlT_E2_NS1_11comp_targetILNS1_3genE10ELNS1_11target_archE1200ELNS1_3gpuE4ELNS1_3repE0EEENS1_30default_config_static_selectorELNS0_4arch9wavefront6targetE0EEEvSK_
		.amdhsa_group_segment_fixed_size 0
		.amdhsa_private_segment_fixed_size 0
		.amdhsa_kernarg_size 80
		.amdhsa_user_sgpr_count 6
		.amdhsa_user_sgpr_private_segment_buffer 1
		.amdhsa_user_sgpr_dispatch_ptr 0
		.amdhsa_user_sgpr_queue_ptr 0
		.amdhsa_user_sgpr_kernarg_segment_ptr 1
		.amdhsa_user_sgpr_dispatch_id 0
		.amdhsa_user_sgpr_flat_scratch_init 0
		.amdhsa_user_sgpr_private_segment_size 0
		.amdhsa_wavefront_size32 1
		.amdhsa_uses_dynamic_stack 0
		.amdhsa_system_sgpr_private_segment_wavefront_offset 0
		.amdhsa_system_sgpr_workgroup_id_x 1
		.amdhsa_system_sgpr_workgroup_id_y 0
		.amdhsa_system_sgpr_workgroup_id_z 0
		.amdhsa_system_sgpr_workgroup_info 0
		.amdhsa_system_vgpr_workitem_id 0
		.amdhsa_next_free_vgpr 1
		.amdhsa_next_free_sgpr 1
		.amdhsa_reserve_vcc 0
		.amdhsa_reserve_flat_scratch 0
		.amdhsa_float_round_mode_32 0
		.amdhsa_float_round_mode_16_64 0
		.amdhsa_float_denorm_mode_32 3
		.amdhsa_float_denorm_mode_16_64 3
		.amdhsa_dx10_clamp 1
		.amdhsa_ieee_mode 1
		.amdhsa_fp16_overflow 0
		.amdhsa_workgroup_processor_mode 1
		.amdhsa_memory_ordered 1
		.amdhsa_forward_progress 1
		.amdhsa_shared_vgpr_count 0
		.amdhsa_exception_fp_ieee_invalid_op 0
		.amdhsa_exception_fp_denorm_src 0
		.amdhsa_exception_fp_ieee_div_zero 0
		.amdhsa_exception_fp_ieee_overflow 0
		.amdhsa_exception_fp_ieee_underflow 0
		.amdhsa_exception_fp_ieee_inexact 0
		.amdhsa_exception_int_div_zero 0
	.end_amdhsa_kernel
	.section	.text._ZN7rocprim17ROCPRIM_400000_NS6detail17trampoline_kernelINS0_14default_configENS1_36segmented_radix_sort_config_selectorIilEEZNS1_25segmented_radix_sort_implIS3_Lb1EPKiPiPKlPlN2at6native12_GLOBAL__N_18offset_tEEE10hipError_tPvRmT1_PNSt15iterator_traitsISK_E10value_typeET2_T3_PNSL_ISQ_E10value_typeET4_jRbjT5_SW_jjP12ihipStream_tbEUlT_E2_NS1_11comp_targetILNS1_3genE10ELNS1_11target_archE1200ELNS1_3gpuE4ELNS1_3repE0EEENS1_30default_config_static_selectorELNS0_4arch9wavefront6targetE0EEEvSK_,"axG",@progbits,_ZN7rocprim17ROCPRIM_400000_NS6detail17trampoline_kernelINS0_14default_configENS1_36segmented_radix_sort_config_selectorIilEEZNS1_25segmented_radix_sort_implIS3_Lb1EPKiPiPKlPlN2at6native12_GLOBAL__N_18offset_tEEE10hipError_tPvRmT1_PNSt15iterator_traitsISK_E10value_typeET2_T3_PNSL_ISQ_E10value_typeET4_jRbjT5_SW_jjP12ihipStream_tbEUlT_E2_NS1_11comp_targetILNS1_3genE10ELNS1_11target_archE1200ELNS1_3gpuE4ELNS1_3repE0EEENS1_30default_config_static_selectorELNS0_4arch9wavefront6targetE0EEEvSK_,comdat
.Lfunc_end528:
	.size	_ZN7rocprim17ROCPRIM_400000_NS6detail17trampoline_kernelINS0_14default_configENS1_36segmented_radix_sort_config_selectorIilEEZNS1_25segmented_radix_sort_implIS3_Lb1EPKiPiPKlPlN2at6native12_GLOBAL__N_18offset_tEEE10hipError_tPvRmT1_PNSt15iterator_traitsISK_E10value_typeET2_T3_PNSL_ISQ_E10value_typeET4_jRbjT5_SW_jjP12ihipStream_tbEUlT_E2_NS1_11comp_targetILNS1_3genE10ELNS1_11target_archE1200ELNS1_3gpuE4ELNS1_3repE0EEENS1_30default_config_static_selectorELNS0_4arch9wavefront6targetE0EEEvSK_, .Lfunc_end528-_ZN7rocprim17ROCPRIM_400000_NS6detail17trampoline_kernelINS0_14default_configENS1_36segmented_radix_sort_config_selectorIilEEZNS1_25segmented_radix_sort_implIS3_Lb1EPKiPiPKlPlN2at6native12_GLOBAL__N_18offset_tEEE10hipError_tPvRmT1_PNSt15iterator_traitsISK_E10value_typeET2_T3_PNSL_ISQ_E10value_typeET4_jRbjT5_SW_jjP12ihipStream_tbEUlT_E2_NS1_11comp_targetILNS1_3genE10ELNS1_11target_archE1200ELNS1_3gpuE4ELNS1_3repE0EEENS1_30default_config_static_selectorELNS0_4arch9wavefront6targetE0EEEvSK_
                                        ; -- End function
	.set _ZN7rocprim17ROCPRIM_400000_NS6detail17trampoline_kernelINS0_14default_configENS1_36segmented_radix_sort_config_selectorIilEEZNS1_25segmented_radix_sort_implIS3_Lb1EPKiPiPKlPlN2at6native12_GLOBAL__N_18offset_tEEE10hipError_tPvRmT1_PNSt15iterator_traitsISK_E10value_typeET2_T3_PNSL_ISQ_E10value_typeET4_jRbjT5_SW_jjP12ihipStream_tbEUlT_E2_NS1_11comp_targetILNS1_3genE10ELNS1_11target_archE1200ELNS1_3gpuE4ELNS1_3repE0EEENS1_30default_config_static_selectorELNS0_4arch9wavefront6targetE0EEEvSK_.num_vgpr, 0
	.set _ZN7rocprim17ROCPRIM_400000_NS6detail17trampoline_kernelINS0_14default_configENS1_36segmented_radix_sort_config_selectorIilEEZNS1_25segmented_radix_sort_implIS3_Lb1EPKiPiPKlPlN2at6native12_GLOBAL__N_18offset_tEEE10hipError_tPvRmT1_PNSt15iterator_traitsISK_E10value_typeET2_T3_PNSL_ISQ_E10value_typeET4_jRbjT5_SW_jjP12ihipStream_tbEUlT_E2_NS1_11comp_targetILNS1_3genE10ELNS1_11target_archE1200ELNS1_3gpuE4ELNS1_3repE0EEENS1_30default_config_static_selectorELNS0_4arch9wavefront6targetE0EEEvSK_.num_agpr, 0
	.set _ZN7rocprim17ROCPRIM_400000_NS6detail17trampoline_kernelINS0_14default_configENS1_36segmented_radix_sort_config_selectorIilEEZNS1_25segmented_radix_sort_implIS3_Lb1EPKiPiPKlPlN2at6native12_GLOBAL__N_18offset_tEEE10hipError_tPvRmT1_PNSt15iterator_traitsISK_E10value_typeET2_T3_PNSL_ISQ_E10value_typeET4_jRbjT5_SW_jjP12ihipStream_tbEUlT_E2_NS1_11comp_targetILNS1_3genE10ELNS1_11target_archE1200ELNS1_3gpuE4ELNS1_3repE0EEENS1_30default_config_static_selectorELNS0_4arch9wavefront6targetE0EEEvSK_.numbered_sgpr, 0
	.set _ZN7rocprim17ROCPRIM_400000_NS6detail17trampoline_kernelINS0_14default_configENS1_36segmented_radix_sort_config_selectorIilEEZNS1_25segmented_radix_sort_implIS3_Lb1EPKiPiPKlPlN2at6native12_GLOBAL__N_18offset_tEEE10hipError_tPvRmT1_PNSt15iterator_traitsISK_E10value_typeET2_T3_PNSL_ISQ_E10value_typeET4_jRbjT5_SW_jjP12ihipStream_tbEUlT_E2_NS1_11comp_targetILNS1_3genE10ELNS1_11target_archE1200ELNS1_3gpuE4ELNS1_3repE0EEENS1_30default_config_static_selectorELNS0_4arch9wavefront6targetE0EEEvSK_.num_named_barrier, 0
	.set _ZN7rocprim17ROCPRIM_400000_NS6detail17trampoline_kernelINS0_14default_configENS1_36segmented_radix_sort_config_selectorIilEEZNS1_25segmented_radix_sort_implIS3_Lb1EPKiPiPKlPlN2at6native12_GLOBAL__N_18offset_tEEE10hipError_tPvRmT1_PNSt15iterator_traitsISK_E10value_typeET2_T3_PNSL_ISQ_E10value_typeET4_jRbjT5_SW_jjP12ihipStream_tbEUlT_E2_NS1_11comp_targetILNS1_3genE10ELNS1_11target_archE1200ELNS1_3gpuE4ELNS1_3repE0EEENS1_30default_config_static_selectorELNS0_4arch9wavefront6targetE0EEEvSK_.private_seg_size, 0
	.set _ZN7rocprim17ROCPRIM_400000_NS6detail17trampoline_kernelINS0_14default_configENS1_36segmented_radix_sort_config_selectorIilEEZNS1_25segmented_radix_sort_implIS3_Lb1EPKiPiPKlPlN2at6native12_GLOBAL__N_18offset_tEEE10hipError_tPvRmT1_PNSt15iterator_traitsISK_E10value_typeET2_T3_PNSL_ISQ_E10value_typeET4_jRbjT5_SW_jjP12ihipStream_tbEUlT_E2_NS1_11comp_targetILNS1_3genE10ELNS1_11target_archE1200ELNS1_3gpuE4ELNS1_3repE0EEENS1_30default_config_static_selectorELNS0_4arch9wavefront6targetE0EEEvSK_.uses_vcc, 0
	.set _ZN7rocprim17ROCPRIM_400000_NS6detail17trampoline_kernelINS0_14default_configENS1_36segmented_radix_sort_config_selectorIilEEZNS1_25segmented_radix_sort_implIS3_Lb1EPKiPiPKlPlN2at6native12_GLOBAL__N_18offset_tEEE10hipError_tPvRmT1_PNSt15iterator_traitsISK_E10value_typeET2_T3_PNSL_ISQ_E10value_typeET4_jRbjT5_SW_jjP12ihipStream_tbEUlT_E2_NS1_11comp_targetILNS1_3genE10ELNS1_11target_archE1200ELNS1_3gpuE4ELNS1_3repE0EEENS1_30default_config_static_selectorELNS0_4arch9wavefront6targetE0EEEvSK_.uses_flat_scratch, 0
	.set _ZN7rocprim17ROCPRIM_400000_NS6detail17trampoline_kernelINS0_14default_configENS1_36segmented_radix_sort_config_selectorIilEEZNS1_25segmented_radix_sort_implIS3_Lb1EPKiPiPKlPlN2at6native12_GLOBAL__N_18offset_tEEE10hipError_tPvRmT1_PNSt15iterator_traitsISK_E10value_typeET2_T3_PNSL_ISQ_E10value_typeET4_jRbjT5_SW_jjP12ihipStream_tbEUlT_E2_NS1_11comp_targetILNS1_3genE10ELNS1_11target_archE1200ELNS1_3gpuE4ELNS1_3repE0EEENS1_30default_config_static_selectorELNS0_4arch9wavefront6targetE0EEEvSK_.has_dyn_sized_stack, 0
	.set _ZN7rocprim17ROCPRIM_400000_NS6detail17trampoline_kernelINS0_14default_configENS1_36segmented_radix_sort_config_selectorIilEEZNS1_25segmented_radix_sort_implIS3_Lb1EPKiPiPKlPlN2at6native12_GLOBAL__N_18offset_tEEE10hipError_tPvRmT1_PNSt15iterator_traitsISK_E10value_typeET2_T3_PNSL_ISQ_E10value_typeET4_jRbjT5_SW_jjP12ihipStream_tbEUlT_E2_NS1_11comp_targetILNS1_3genE10ELNS1_11target_archE1200ELNS1_3gpuE4ELNS1_3repE0EEENS1_30default_config_static_selectorELNS0_4arch9wavefront6targetE0EEEvSK_.has_recursion, 0
	.set _ZN7rocprim17ROCPRIM_400000_NS6detail17trampoline_kernelINS0_14default_configENS1_36segmented_radix_sort_config_selectorIilEEZNS1_25segmented_radix_sort_implIS3_Lb1EPKiPiPKlPlN2at6native12_GLOBAL__N_18offset_tEEE10hipError_tPvRmT1_PNSt15iterator_traitsISK_E10value_typeET2_T3_PNSL_ISQ_E10value_typeET4_jRbjT5_SW_jjP12ihipStream_tbEUlT_E2_NS1_11comp_targetILNS1_3genE10ELNS1_11target_archE1200ELNS1_3gpuE4ELNS1_3repE0EEENS1_30default_config_static_selectorELNS0_4arch9wavefront6targetE0EEEvSK_.has_indirect_call, 0
	.section	.AMDGPU.csdata,"",@progbits
; Kernel info:
; codeLenInByte = 0
; TotalNumSgprs: 0
; NumVgprs: 0
; ScratchSize: 0
; MemoryBound: 0
; FloatMode: 240
; IeeeMode: 1
; LDSByteSize: 0 bytes/workgroup (compile time only)
; SGPRBlocks: 0
; VGPRBlocks: 0
; NumSGPRsForWavesPerEU: 1
; NumVGPRsForWavesPerEU: 1
; Occupancy: 16
; WaveLimiterHint : 0
; COMPUTE_PGM_RSRC2:SCRATCH_EN: 0
; COMPUTE_PGM_RSRC2:USER_SGPR: 6
; COMPUTE_PGM_RSRC2:TRAP_HANDLER: 0
; COMPUTE_PGM_RSRC2:TGID_X_EN: 1
; COMPUTE_PGM_RSRC2:TGID_Y_EN: 0
; COMPUTE_PGM_RSRC2:TGID_Z_EN: 0
; COMPUTE_PGM_RSRC2:TIDIG_COMP_CNT: 0
	.section	.text._ZN7rocprim17ROCPRIM_400000_NS6detail17trampoline_kernelINS0_14default_configENS1_36segmented_radix_sort_config_selectorIilEEZNS1_25segmented_radix_sort_implIS3_Lb1EPKiPiPKlPlN2at6native12_GLOBAL__N_18offset_tEEE10hipError_tPvRmT1_PNSt15iterator_traitsISK_E10value_typeET2_T3_PNSL_ISQ_E10value_typeET4_jRbjT5_SW_jjP12ihipStream_tbEUlT_E2_NS1_11comp_targetILNS1_3genE9ELNS1_11target_archE1100ELNS1_3gpuE3ELNS1_3repE0EEENS1_30default_config_static_selectorELNS0_4arch9wavefront6targetE0EEEvSK_,"axG",@progbits,_ZN7rocprim17ROCPRIM_400000_NS6detail17trampoline_kernelINS0_14default_configENS1_36segmented_radix_sort_config_selectorIilEEZNS1_25segmented_radix_sort_implIS3_Lb1EPKiPiPKlPlN2at6native12_GLOBAL__N_18offset_tEEE10hipError_tPvRmT1_PNSt15iterator_traitsISK_E10value_typeET2_T3_PNSL_ISQ_E10value_typeET4_jRbjT5_SW_jjP12ihipStream_tbEUlT_E2_NS1_11comp_targetILNS1_3genE9ELNS1_11target_archE1100ELNS1_3gpuE3ELNS1_3repE0EEENS1_30default_config_static_selectorELNS0_4arch9wavefront6targetE0EEEvSK_,comdat
	.globl	_ZN7rocprim17ROCPRIM_400000_NS6detail17trampoline_kernelINS0_14default_configENS1_36segmented_radix_sort_config_selectorIilEEZNS1_25segmented_radix_sort_implIS3_Lb1EPKiPiPKlPlN2at6native12_GLOBAL__N_18offset_tEEE10hipError_tPvRmT1_PNSt15iterator_traitsISK_E10value_typeET2_T3_PNSL_ISQ_E10value_typeET4_jRbjT5_SW_jjP12ihipStream_tbEUlT_E2_NS1_11comp_targetILNS1_3genE9ELNS1_11target_archE1100ELNS1_3gpuE3ELNS1_3repE0EEENS1_30default_config_static_selectorELNS0_4arch9wavefront6targetE0EEEvSK_ ; -- Begin function _ZN7rocprim17ROCPRIM_400000_NS6detail17trampoline_kernelINS0_14default_configENS1_36segmented_radix_sort_config_selectorIilEEZNS1_25segmented_radix_sort_implIS3_Lb1EPKiPiPKlPlN2at6native12_GLOBAL__N_18offset_tEEE10hipError_tPvRmT1_PNSt15iterator_traitsISK_E10value_typeET2_T3_PNSL_ISQ_E10value_typeET4_jRbjT5_SW_jjP12ihipStream_tbEUlT_E2_NS1_11comp_targetILNS1_3genE9ELNS1_11target_archE1100ELNS1_3gpuE3ELNS1_3repE0EEENS1_30default_config_static_selectorELNS0_4arch9wavefront6targetE0EEEvSK_
	.p2align	8
	.type	_ZN7rocprim17ROCPRIM_400000_NS6detail17trampoline_kernelINS0_14default_configENS1_36segmented_radix_sort_config_selectorIilEEZNS1_25segmented_radix_sort_implIS3_Lb1EPKiPiPKlPlN2at6native12_GLOBAL__N_18offset_tEEE10hipError_tPvRmT1_PNSt15iterator_traitsISK_E10value_typeET2_T3_PNSL_ISQ_E10value_typeET4_jRbjT5_SW_jjP12ihipStream_tbEUlT_E2_NS1_11comp_targetILNS1_3genE9ELNS1_11target_archE1100ELNS1_3gpuE3ELNS1_3repE0EEENS1_30default_config_static_selectorELNS0_4arch9wavefront6targetE0EEEvSK_,@function
_ZN7rocprim17ROCPRIM_400000_NS6detail17trampoline_kernelINS0_14default_configENS1_36segmented_radix_sort_config_selectorIilEEZNS1_25segmented_radix_sort_implIS3_Lb1EPKiPiPKlPlN2at6native12_GLOBAL__N_18offset_tEEE10hipError_tPvRmT1_PNSt15iterator_traitsISK_E10value_typeET2_T3_PNSL_ISQ_E10value_typeET4_jRbjT5_SW_jjP12ihipStream_tbEUlT_E2_NS1_11comp_targetILNS1_3genE9ELNS1_11target_archE1100ELNS1_3gpuE3ELNS1_3repE0EEENS1_30default_config_static_selectorELNS0_4arch9wavefront6targetE0EEEvSK_: ; @_ZN7rocprim17ROCPRIM_400000_NS6detail17trampoline_kernelINS0_14default_configENS1_36segmented_radix_sort_config_selectorIilEEZNS1_25segmented_radix_sort_implIS3_Lb1EPKiPiPKlPlN2at6native12_GLOBAL__N_18offset_tEEE10hipError_tPvRmT1_PNSt15iterator_traitsISK_E10value_typeET2_T3_PNSL_ISQ_E10value_typeET4_jRbjT5_SW_jjP12ihipStream_tbEUlT_E2_NS1_11comp_targetILNS1_3genE9ELNS1_11target_archE1100ELNS1_3gpuE3ELNS1_3repE0EEENS1_30default_config_static_selectorELNS0_4arch9wavefront6targetE0EEEvSK_
; %bb.0:
	.section	.rodata,"a",@progbits
	.p2align	6, 0x0
	.amdhsa_kernel _ZN7rocprim17ROCPRIM_400000_NS6detail17trampoline_kernelINS0_14default_configENS1_36segmented_radix_sort_config_selectorIilEEZNS1_25segmented_radix_sort_implIS3_Lb1EPKiPiPKlPlN2at6native12_GLOBAL__N_18offset_tEEE10hipError_tPvRmT1_PNSt15iterator_traitsISK_E10value_typeET2_T3_PNSL_ISQ_E10value_typeET4_jRbjT5_SW_jjP12ihipStream_tbEUlT_E2_NS1_11comp_targetILNS1_3genE9ELNS1_11target_archE1100ELNS1_3gpuE3ELNS1_3repE0EEENS1_30default_config_static_selectorELNS0_4arch9wavefront6targetE0EEEvSK_
		.amdhsa_group_segment_fixed_size 0
		.amdhsa_private_segment_fixed_size 0
		.amdhsa_kernarg_size 80
		.amdhsa_user_sgpr_count 6
		.amdhsa_user_sgpr_private_segment_buffer 1
		.amdhsa_user_sgpr_dispatch_ptr 0
		.amdhsa_user_sgpr_queue_ptr 0
		.amdhsa_user_sgpr_kernarg_segment_ptr 1
		.amdhsa_user_sgpr_dispatch_id 0
		.amdhsa_user_sgpr_flat_scratch_init 0
		.amdhsa_user_sgpr_private_segment_size 0
		.amdhsa_wavefront_size32 1
		.amdhsa_uses_dynamic_stack 0
		.amdhsa_system_sgpr_private_segment_wavefront_offset 0
		.amdhsa_system_sgpr_workgroup_id_x 1
		.amdhsa_system_sgpr_workgroup_id_y 0
		.amdhsa_system_sgpr_workgroup_id_z 0
		.amdhsa_system_sgpr_workgroup_info 0
		.amdhsa_system_vgpr_workitem_id 0
		.amdhsa_next_free_vgpr 1
		.amdhsa_next_free_sgpr 1
		.amdhsa_reserve_vcc 0
		.amdhsa_reserve_flat_scratch 0
		.amdhsa_float_round_mode_32 0
		.amdhsa_float_round_mode_16_64 0
		.amdhsa_float_denorm_mode_32 3
		.amdhsa_float_denorm_mode_16_64 3
		.amdhsa_dx10_clamp 1
		.amdhsa_ieee_mode 1
		.amdhsa_fp16_overflow 0
		.amdhsa_workgroup_processor_mode 1
		.amdhsa_memory_ordered 1
		.amdhsa_forward_progress 1
		.amdhsa_shared_vgpr_count 0
		.amdhsa_exception_fp_ieee_invalid_op 0
		.amdhsa_exception_fp_denorm_src 0
		.amdhsa_exception_fp_ieee_div_zero 0
		.amdhsa_exception_fp_ieee_overflow 0
		.amdhsa_exception_fp_ieee_underflow 0
		.amdhsa_exception_fp_ieee_inexact 0
		.amdhsa_exception_int_div_zero 0
	.end_amdhsa_kernel
	.section	.text._ZN7rocprim17ROCPRIM_400000_NS6detail17trampoline_kernelINS0_14default_configENS1_36segmented_radix_sort_config_selectorIilEEZNS1_25segmented_radix_sort_implIS3_Lb1EPKiPiPKlPlN2at6native12_GLOBAL__N_18offset_tEEE10hipError_tPvRmT1_PNSt15iterator_traitsISK_E10value_typeET2_T3_PNSL_ISQ_E10value_typeET4_jRbjT5_SW_jjP12ihipStream_tbEUlT_E2_NS1_11comp_targetILNS1_3genE9ELNS1_11target_archE1100ELNS1_3gpuE3ELNS1_3repE0EEENS1_30default_config_static_selectorELNS0_4arch9wavefront6targetE0EEEvSK_,"axG",@progbits,_ZN7rocprim17ROCPRIM_400000_NS6detail17trampoline_kernelINS0_14default_configENS1_36segmented_radix_sort_config_selectorIilEEZNS1_25segmented_radix_sort_implIS3_Lb1EPKiPiPKlPlN2at6native12_GLOBAL__N_18offset_tEEE10hipError_tPvRmT1_PNSt15iterator_traitsISK_E10value_typeET2_T3_PNSL_ISQ_E10value_typeET4_jRbjT5_SW_jjP12ihipStream_tbEUlT_E2_NS1_11comp_targetILNS1_3genE9ELNS1_11target_archE1100ELNS1_3gpuE3ELNS1_3repE0EEENS1_30default_config_static_selectorELNS0_4arch9wavefront6targetE0EEEvSK_,comdat
.Lfunc_end529:
	.size	_ZN7rocprim17ROCPRIM_400000_NS6detail17trampoline_kernelINS0_14default_configENS1_36segmented_radix_sort_config_selectorIilEEZNS1_25segmented_radix_sort_implIS3_Lb1EPKiPiPKlPlN2at6native12_GLOBAL__N_18offset_tEEE10hipError_tPvRmT1_PNSt15iterator_traitsISK_E10value_typeET2_T3_PNSL_ISQ_E10value_typeET4_jRbjT5_SW_jjP12ihipStream_tbEUlT_E2_NS1_11comp_targetILNS1_3genE9ELNS1_11target_archE1100ELNS1_3gpuE3ELNS1_3repE0EEENS1_30default_config_static_selectorELNS0_4arch9wavefront6targetE0EEEvSK_, .Lfunc_end529-_ZN7rocprim17ROCPRIM_400000_NS6detail17trampoline_kernelINS0_14default_configENS1_36segmented_radix_sort_config_selectorIilEEZNS1_25segmented_radix_sort_implIS3_Lb1EPKiPiPKlPlN2at6native12_GLOBAL__N_18offset_tEEE10hipError_tPvRmT1_PNSt15iterator_traitsISK_E10value_typeET2_T3_PNSL_ISQ_E10value_typeET4_jRbjT5_SW_jjP12ihipStream_tbEUlT_E2_NS1_11comp_targetILNS1_3genE9ELNS1_11target_archE1100ELNS1_3gpuE3ELNS1_3repE0EEENS1_30default_config_static_selectorELNS0_4arch9wavefront6targetE0EEEvSK_
                                        ; -- End function
	.set _ZN7rocprim17ROCPRIM_400000_NS6detail17trampoline_kernelINS0_14default_configENS1_36segmented_radix_sort_config_selectorIilEEZNS1_25segmented_radix_sort_implIS3_Lb1EPKiPiPKlPlN2at6native12_GLOBAL__N_18offset_tEEE10hipError_tPvRmT1_PNSt15iterator_traitsISK_E10value_typeET2_T3_PNSL_ISQ_E10value_typeET4_jRbjT5_SW_jjP12ihipStream_tbEUlT_E2_NS1_11comp_targetILNS1_3genE9ELNS1_11target_archE1100ELNS1_3gpuE3ELNS1_3repE0EEENS1_30default_config_static_selectorELNS0_4arch9wavefront6targetE0EEEvSK_.num_vgpr, 0
	.set _ZN7rocprim17ROCPRIM_400000_NS6detail17trampoline_kernelINS0_14default_configENS1_36segmented_radix_sort_config_selectorIilEEZNS1_25segmented_radix_sort_implIS3_Lb1EPKiPiPKlPlN2at6native12_GLOBAL__N_18offset_tEEE10hipError_tPvRmT1_PNSt15iterator_traitsISK_E10value_typeET2_T3_PNSL_ISQ_E10value_typeET4_jRbjT5_SW_jjP12ihipStream_tbEUlT_E2_NS1_11comp_targetILNS1_3genE9ELNS1_11target_archE1100ELNS1_3gpuE3ELNS1_3repE0EEENS1_30default_config_static_selectorELNS0_4arch9wavefront6targetE0EEEvSK_.num_agpr, 0
	.set _ZN7rocprim17ROCPRIM_400000_NS6detail17trampoline_kernelINS0_14default_configENS1_36segmented_radix_sort_config_selectorIilEEZNS1_25segmented_radix_sort_implIS3_Lb1EPKiPiPKlPlN2at6native12_GLOBAL__N_18offset_tEEE10hipError_tPvRmT1_PNSt15iterator_traitsISK_E10value_typeET2_T3_PNSL_ISQ_E10value_typeET4_jRbjT5_SW_jjP12ihipStream_tbEUlT_E2_NS1_11comp_targetILNS1_3genE9ELNS1_11target_archE1100ELNS1_3gpuE3ELNS1_3repE0EEENS1_30default_config_static_selectorELNS0_4arch9wavefront6targetE0EEEvSK_.numbered_sgpr, 0
	.set _ZN7rocprim17ROCPRIM_400000_NS6detail17trampoline_kernelINS0_14default_configENS1_36segmented_radix_sort_config_selectorIilEEZNS1_25segmented_radix_sort_implIS3_Lb1EPKiPiPKlPlN2at6native12_GLOBAL__N_18offset_tEEE10hipError_tPvRmT1_PNSt15iterator_traitsISK_E10value_typeET2_T3_PNSL_ISQ_E10value_typeET4_jRbjT5_SW_jjP12ihipStream_tbEUlT_E2_NS1_11comp_targetILNS1_3genE9ELNS1_11target_archE1100ELNS1_3gpuE3ELNS1_3repE0EEENS1_30default_config_static_selectorELNS0_4arch9wavefront6targetE0EEEvSK_.num_named_barrier, 0
	.set _ZN7rocprim17ROCPRIM_400000_NS6detail17trampoline_kernelINS0_14default_configENS1_36segmented_radix_sort_config_selectorIilEEZNS1_25segmented_radix_sort_implIS3_Lb1EPKiPiPKlPlN2at6native12_GLOBAL__N_18offset_tEEE10hipError_tPvRmT1_PNSt15iterator_traitsISK_E10value_typeET2_T3_PNSL_ISQ_E10value_typeET4_jRbjT5_SW_jjP12ihipStream_tbEUlT_E2_NS1_11comp_targetILNS1_3genE9ELNS1_11target_archE1100ELNS1_3gpuE3ELNS1_3repE0EEENS1_30default_config_static_selectorELNS0_4arch9wavefront6targetE0EEEvSK_.private_seg_size, 0
	.set _ZN7rocprim17ROCPRIM_400000_NS6detail17trampoline_kernelINS0_14default_configENS1_36segmented_radix_sort_config_selectorIilEEZNS1_25segmented_radix_sort_implIS3_Lb1EPKiPiPKlPlN2at6native12_GLOBAL__N_18offset_tEEE10hipError_tPvRmT1_PNSt15iterator_traitsISK_E10value_typeET2_T3_PNSL_ISQ_E10value_typeET4_jRbjT5_SW_jjP12ihipStream_tbEUlT_E2_NS1_11comp_targetILNS1_3genE9ELNS1_11target_archE1100ELNS1_3gpuE3ELNS1_3repE0EEENS1_30default_config_static_selectorELNS0_4arch9wavefront6targetE0EEEvSK_.uses_vcc, 0
	.set _ZN7rocprim17ROCPRIM_400000_NS6detail17trampoline_kernelINS0_14default_configENS1_36segmented_radix_sort_config_selectorIilEEZNS1_25segmented_radix_sort_implIS3_Lb1EPKiPiPKlPlN2at6native12_GLOBAL__N_18offset_tEEE10hipError_tPvRmT1_PNSt15iterator_traitsISK_E10value_typeET2_T3_PNSL_ISQ_E10value_typeET4_jRbjT5_SW_jjP12ihipStream_tbEUlT_E2_NS1_11comp_targetILNS1_3genE9ELNS1_11target_archE1100ELNS1_3gpuE3ELNS1_3repE0EEENS1_30default_config_static_selectorELNS0_4arch9wavefront6targetE0EEEvSK_.uses_flat_scratch, 0
	.set _ZN7rocprim17ROCPRIM_400000_NS6detail17trampoline_kernelINS0_14default_configENS1_36segmented_radix_sort_config_selectorIilEEZNS1_25segmented_radix_sort_implIS3_Lb1EPKiPiPKlPlN2at6native12_GLOBAL__N_18offset_tEEE10hipError_tPvRmT1_PNSt15iterator_traitsISK_E10value_typeET2_T3_PNSL_ISQ_E10value_typeET4_jRbjT5_SW_jjP12ihipStream_tbEUlT_E2_NS1_11comp_targetILNS1_3genE9ELNS1_11target_archE1100ELNS1_3gpuE3ELNS1_3repE0EEENS1_30default_config_static_selectorELNS0_4arch9wavefront6targetE0EEEvSK_.has_dyn_sized_stack, 0
	.set _ZN7rocprim17ROCPRIM_400000_NS6detail17trampoline_kernelINS0_14default_configENS1_36segmented_radix_sort_config_selectorIilEEZNS1_25segmented_radix_sort_implIS3_Lb1EPKiPiPKlPlN2at6native12_GLOBAL__N_18offset_tEEE10hipError_tPvRmT1_PNSt15iterator_traitsISK_E10value_typeET2_T3_PNSL_ISQ_E10value_typeET4_jRbjT5_SW_jjP12ihipStream_tbEUlT_E2_NS1_11comp_targetILNS1_3genE9ELNS1_11target_archE1100ELNS1_3gpuE3ELNS1_3repE0EEENS1_30default_config_static_selectorELNS0_4arch9wavefront6targetE0EEEvSK_.has_recursion, 0
	.set _ZN7rocprim17ROCPRIM_400000_NS6detail17trampoline_kernelINS0_14default_configENS1_36segmented_radix_sort_config_selectorIilEEZNS1_25segmented_radix_sort_implIS3_Lb1EPKiPiPKlPlN2at6native12_GLOBAL__N_18offset_tEEE10hipError_tPvRmT1_PNSt15iterator_traitsISK_E10value_typeET2_T3_PNSL_ISQ_E10value_typeET4_jRbjT5_SW_jjP12ihipStream_tbEUlT_E2_NS1_11comp_targetILNS1_3genE9ELNS1_11target_archE1100ELNS1_3gpuE3ELNS1_3repE0EEENS1_30default_config_static_selectorELNS0_4arch9wavefront6targetE0EEEvSK_.has_indirect_call, 0
	.section	.AMDGPU.csdata,"",@progbits
; Kernel info:
; codeLenInByte = 0
; TotalNumSgprs: 0
; NumVgprs: 0
; ScratchSize: 0
; MemoryBound: 0
; FloatMode: 240
; IeeeMode: 1
; LDSByteSize: 0 bytes/workgroup (compile time only)
; SGPRBlocks: 0
; VGPRBlocks: 0
; NumSGPRsForWavesPerEU: 1
; NumVGPRsForWavesPerEU: 1
; Occupancy: 16
; WaveLimiterHint : 0
; COMPUTE_PGM_RSRC2:SCRATCH_EN: 0
; COMPUTE_PGM_RSRC2:USER_SGPR: 6
; COMPUTE_PGM_RSRC2:TRAP_HANDLER: 0
; COMPUTE_PGM_RSRC2:TGID_X_EN: 1
; COMPUTE_PGM_RSRC2:TGID_Y_EN: 0
; COMPUTE_PGM_RSRC2:TGID_Z_EN: 0
; COMPUTE_PGM_RSRC2:TIDIG_COMP_CNT: 0
	.section	.text._ZN7rocprim17ROCPRIM_400000_NS6detail17trampoline_kernelINS0_14default_configENS1_36segmented_radix_sort_config_selectorIilEEZNS1_25segmented_radix_sort_implIS3_Lb1EPKiPiPKlPlN2at6native12_GLOBAL__N_18offset_tEEE10hipError_tPvRmT1_PNSt15iterator_traitsISK_E10value_typeET2_T3_PNSL_ISQ_E10value_typeET4_jRbjT5_SW_jjP12ihipStream_tbEUlT_E2_NS1_11comp_targetILNS1_3genE8ELNS1_11target_archE1030ELNS1_3gpuE2ELNS1_3repE0EEENS1_30default_config_static_selectorELNS0_4arch9wavefront6targetE0EEEvSK_,"axG",@progbits,_ZN7rocprim17ROCPRIM_400000_NS6detail17trampoline_kernelINS0_14default_configENS1_36segmented_radix_sort_config_selectorIilEEZNS1_25segmented_radix_sort_implIS3_Lb1EPKiPiPKlPlN2at6native12_GLOBAL__N_18offset_tEEE10hipError_tPvRmT1_PNSt15iterator_traitsISK_E10value_typeET2_T3_PNSL_ISQ_E10value_typeET4_jRbjT5_SW_jjP12ihipStream_tbEUlT_E2_NS1_11comp_targetILNS1_3genE8ELNS1_11target_archE1030ELNS1_3gpuE2ELNS1_3repE0EEENS1_30default_config_static_selectorELNS0_4arch9wavefront6targetE0EEEvSK_,comdat
	.globl	_ZN7rocprim17ROCPRIM_400000_NS6detail17trampoline_kernelINS0_14default_configENS1_36segmented_radix_sort_config_selectorIilEEZNS1_25segmented_radix_sort_implIS3_Lb1EPKiPiPKlPlN2at6native12_GLOBAL__N_18offset_tEEE10hipError_tPvRmT1_PNSt15iterator_traitsISK_E10value_typeET2_T3_PNSL_ISQ_E10value_typeET4_jRbjT5_SW_jjP12ihipStream_tbEUlT_E2_NS1_11comp_targetILNS1_3genE8ELNS1_11target_archE1030ELNS1_3gpuE2ELNS1_3repE0EEENS1_30default_config_static_selectorELNS0_4arch9wavefront6targetE0EEEvSK_ ; -- Begin function _ZN7rocprim17ROCPRIM_400000_NS6detail17trampoline_kernelINS0_14default_configENS1_36segmented_radix_sort_config_selectorIilEEZNS1_25segmented_radix_sort_implIS3_Lb1EPKiPiPKlPlN2at6native12_GLOBAL__N_18offset_tEEE10hipError_tPvRmT1_PNSt15iterator_traitsISK_E10value_typeET2_T3_PNSL_ISQ_E10value_typeET4_jRbjT5_SW_jjP12ihipStream_tbEUlT_E2_NS1_11comp_targetILNS1_3genE8ELNS1_11target_archE1030ELNS1_3gpuE2ELNS1_3repE0EEENS1_30default_config_static_selectorELNS0_4arch9wavefront6targetE0EEEvSK_
	.p2align	8
	.type	_ZN7rocprim17ROCPRIM_400000_NS6detail17trampoline_kernelINS0_14default_configENS1_36segmented_radix_sort_config_selectorIilEEZNS1_25segmented_radix_sort_implIS3_Lb1EPKiPiPKlPlN2at6native12_GLOBAL__N_18offset_tEEE10hipError_tPvRmT1_PNSt15iterator_traitsISK_E10value_typeET2_T3_PNSL_ISQ_E10value_typeET4_jRbjT5_SW_jjP12ihipStream_tbEUlT_E2_NS1_11comp_targetILNS1_3genE8ELNS1_11target_archE1030ELNS1_3gpuE2ELNS1_3repE0EEENS1_30default_config_static_selectorELNS0_4arch9wavefront6targetE0EEEvSK_,@function
_ZN7rocprim17ROCPRIM_400000_NS6detail17trampoline_kernelINS0_14default_configENS1_36segmented_radix_sort_config_selectorIilEEZNS1_25segmented_radix_sort_implIS3_Lb1EPKiPiPKlPlN2at6native12_GLOBAL__N_18offset_tEEE10hipError_tPvRmT1_PNSt15iterator_traitsISK_E10value_typeET2_T3_PNSL_ISQ_E10value_typeET4_jRbjT5_SW_jjP12ihipStream_tbEUlT_E2_NS1_11comp_targetILNS1_3genE8ELNS1_11target_archE1030ELNS1_3gpuE2ELNS1_3repE0EEENS1_30default_config_static_selectorELNS0_4arch9wavefront6targetE0EEEvSK_: ; @_ZN7rocprim17ROCPRIM_400000_NS6detail17trampoline_kernelINS0_14default_configENS1_36segmented_radix_sort_config_selectorIilEEZNS1_25segmented_radix_sort_implIS3_Lb1EPKiPiPKlPlN2at6native12_GLOBAL__N_18offset_tEEE10hipError_tPvRmT1_PNSt15iterator_traitsISK_E10value_typeET2_T3_PNSL_ISQ_E10value_typeET4_jRbjT5_SW_jjP12ihipStream_tbEUlT_E2_NS1_11comp_targetILNS1_3genE8ELNS1_11target_archE1030ELNS1_3gpuE2ELNS1_3repE0EEENS1_30default_config_static_selectorELNS0_4arch9wavefront6targetE0EEEvSK_
; %bb.0:
	s_add_u32 s0, s0, s8
	s_load_dwordx4 s[8:11], s[4:5], 0x34
	s_addc_u32 s1, s1, 0
	s_mov_b32 s32, 0
	s_waitcnt lgkmcnt(0)
	s_add_i32 s58, s9, s6
	s_add_i32 s59, s11, s6
	s_mul_i32 s58, s58, s8
	s_mul_i32 s59, s59, s10
	s_cmp_le_u32 s59, s58
	s_cbranch_scc1 .LBB530_1262
; %bb.1:
	s_clause 0x3
	s_load_dword s8, s[4:5], 0x30
	s_load_dwordx4 s[52:55], s[4:5], 0x20
	s_load_dwordx4 s[40:43], s[4:5], 0x44
	s_load_dwordx8 s[44:51], s[4:5], 0x0
	s_waitcnt lgkmcnt(0)
	s_bitcmp1_b32 s8, 0
	s_mov_b32 s8, -1
	s_cselect_b32 s43, -1, 0
	s_sub_i32 s60, s59, s58
	s_cmpk_lt_u32 s60, 0x1101
	s_cbranch_scc0 .LBB530_15
; %bb.2:
	s_cmpk_lt_u32 s60, 0x81
	s_cbranch_scc0 .LBB530_9
; %bb.3:
	s_load_dword s8, s[4:5], 0x5c
	s_mov_b32 s19, exec_lo
	s_waitcnt lgkmcnt(0)
	s_lshr_b32 s9, s8, 16
	s_and_b32 s8, s8, 0xffff
	v_mad_u32_u24 v3, v2, s9, v1
	v_mad_u64_u32 v[3:4], null, v3, s8, v[0:1]
	v_cmpx_gt_u32_e32 32, v3
	s_cbranch_execz .LBB530_8
; %bb.4:
	v_cndmask_b32_e64 v3, 0, 1, s43
	s_and_b32 s8, s40, 1
	v_cmp_ne_u32_e32 vcc_lo, s8, v3
	s_mov_b32 s8, -1
	s_cbranch_vccnz .LBB530_6
; %bb.5:
	v_lshlrev_b32_e32 v3, 20, v2
	v_lshlrev_b32_e32 v4, 10, v1
	s_mov_b64 s[10:11], src_shared_base
	v_mov_b32_e32 v40, v0
	v_mov_b32_e32 v41, v1
	;; [unrolled: 1-line block ×3, first 2 shown]
	v_or3_b32 v31, v0, v4, v3
	v_mov_b32_e32 v0, s44
	v_mov_b32_e32 v42, v2
	;; [unrolled: 1-line block ×14, first 2 shown]
	s_add_u32 s8, s4, 0x50
	s_addc_u32 s9, s5, 0
	s_getpc_b64 s[14:15]
	s_add_u32 s14, s14, _ZN7rocprim17ROCPRIM_400000_NS6detail26segmented_warp_sort_helperINS1_20WarpSortHelperConfigILj32ELj4ELj256EEEilLi256ELb1EvE4sortIPKiPiPKlPlEEvT_T0_T1_T2_jjjjRNS5_12storage_typeE@rel32@lo+4
	s_addc_u32 s15, s15, _ZN7rocprim17ROCPRIM_400000_NS6detail26segmented_warp_sort_helperINS1_20WarpSortHelperConfigILj32ELj4ELj256EEEilLi256ELb1EvE4sortIPKiPiPKlPlEEvT_T0_T1_T2_jjjjRNS5_12storage_typeE@rel32@hi+12
	s_mov_b32 s12, s6
	s_mov_b32 s13, s7
	s_mov_b64 s[20:21], s[4:5]
	s_mov_b32 s22, s7
	s_mov_b32 s23, s6
	s_swappc_b64 s[30:31], s[14:15]
	v_mov_b32_e32 v1, v41
	v_mov_b32_e32 v2, v42
	;; [unrolled: 1-line block ×3, first 2 shown]
	s_mov_b32 s6, s23
	s_mov_b32 s7, s22
	s_mov_b64 s[4:5], s[20:21]
	s_mov_b32 s8, 0
.LBB530_6:
	s_andn2_b32 vcc_lo, exec_lo, s8
	s_cbranch_vccnz .LBB530_8
; %bb.7:
	v_lshlrev_b32_e32 v3, 20, v2
	v_lshlrev_b32_e32 v4, 10, v1
	s_mov_b64 s[10:11], src_shared_base
	v_mov_b32_e32 v40, v0
	v_mov_b32_e32 v41, v1
	;; [unrolled: 1-line block ×3, first 2 shown]
	v_or3_b32 v31, v0, v4, v3
	v_mov_b32_e32 v0, s44
	v_mov_b32_e32 v42, v2
	;; [unrolled: 1-line block ×14, first 2 shown]
	s_add_u32 s8, s4, 0x50
	s_addc_u32 s9, s5, 0
	s_getpc_b64 s[14:15]
	s_add_u32 s14, s14, _ZN7rocprim17ROCPRIM_400000_NS6detail26segmented_warp_sort_helperINS1_20WarpSortHelperConfigILj32ELj4ELj256EEEilLi256ELb1EvE4sortIPKiPiPKlPlEEvT_T0_T1_T2_jjjjRNS5_12storage_typeE@rel32@lo+4
	s_addc_u32 s15, s15, _ZN7rocprim17ROCPRIM_400000_NS6detail26segmented_warp_sort_helperINS1_20WarpSortHelperConfigILj32ELj4ELj256EEEilLi256ELb1EvE4sortIPKiPiPKlPlEEvT_T0_T1_T2_jjjjRNS5_12storage_typeE@rel32@hi+12
	s_mov_b32 s12, s6
	s_mov_b32 s13, s7
	s_mov_b64 s[20:21], s[4:5]
	s_mov_b32 s23, s7
	s_mov_b32 s22, s6
	s_swappc_b64 s[30:31], s[14:15]
	v_mov_b32_e32 v1, v41
	v_mov_b32_e32 v2, v42
	;; [unrolled: 1-line block ×3, first 2 shown]
	s_mov_b32 s6, s22
	s_mov_b32 s7, s23
	s_mov_b64 s[4:5], s[20:21]
.LBB530_8:
	s_or_b32 exec_lo, exec_lo, s19
	s_mov_b32 s8, 0
.LBB530_9:
	s_andn2_b32 vcc_lo, exec_lo, s8
	s_cbranch_vccnz .LBB530_14
; %bb.10:
	v_cndmask_b32_e64 v3, 0, 1, s43
	s_and_b32 s8, s40, 1
	v_lshlrev_b32_e32 v41, 20, v2
	v_lshlrev_b32_e32 v42, 10, v1
	v_cmp_ne_u32_e32 vcc_lo, s8, v3
	s_mov_b32 s8, -1
	s_cbranch_vccnz .LBB530_12
; %bb.11:
	s_mov_b64 s[10:11], src_shared_base
	v_or3_b32 v31, v0, v42, v41
	v_mov_b32_e32 v40, v0
	v_mov_b32_e32 v0, s44
	;; [unrolled: 1-line block ×17, first 2 shown]
	s_add_u32 s8, s4, 0x50
	s_addc_u32 s9, s5, 0
	s_getpc_b64 s[14:15]
	s_add_u32 s14, s14, _ZN7rocprim17ROCPRIM_400000_NS6detail40segmented_radix_sort_single_block_helperIilLj256ELj17ELb1EE4sortIPKiPiPKlPlEEbT_T0_T1_T2_jjjjRNS3_12storage_typeE@rel32@lo+4
	s_addc_u32 s15, s15, _ZN7rocprim17ROCPRIM_400000_NS6detail40segmented_radix_sort_single_block_helperIilLj256ELj17ELb1EE4sortIPKiPiPKlPlEEbT_T0_T1_T2_jjjjRNS3_12storage_typeE@rel32@hi+12
	s_mov_b32 s12, s6
	s_mov_b32 s13, s7
	s_mov_b64 s[28:29], s[4:5]
	s_mov_b32 s33, s7
	s_mov_b32 s34, s6
	s_swappc_b64 s[30:31], s[14:15]
	v_mov_b32_e32 v1, v43
	v_mov_b32_e32 v2, v44
	;; [unrolled: 1-line block ×3, first 2 shown]
	s_mov_b32 s6, s34
	s_mov_b32 s7, s33
	s_mov_b64 s[4:5], s[28:29]
	s_mov_b32 s8, 0
.LBB530_12:
	s_andn2_b32 vcc_lo, exec_lo, s8
	s_cbranch_vccnz .LBB530_14
; %bb.13:
	s_mov_b64 s[10:11], src_shared_base
	v_or3_b32 v31, v0, v42, v41
	v_mov_b32_e32 v40, v0
	v_mov_b32_e32 v0, s44
	;; [unrolled: 1-line block ×17, first 2 shown]
	s_add_u32 s8, s4, 0x50
	s_addc_u32 s9, s5, 0
	s_getpc_b64 s[14:15]
	s_add_u32 s14, s14, _ZN7rocprim17ROCPRIM_400000_NS6detail40segmented_radix_sort_single_block_helperIilLj256ELj17ELb1EE4sortIPKiPiPKlPlEEbT_T0_T1_T2_jjjjRNS3_12storage_typeE@rel32@lo+4
	s_addc_u32 s15, s15, _ZN7rocprim17ROCPRIM_400000_NS6detail40segmented_radix_sort_single_block_helperIilLj256ELj17ELb1EE4sortIPKiPiPKlPlEEbT_T0_T1_T2_jjjjRNS3_12storage_typeE@rel32@hi+12
	s_mov_b32 s12, s6
	s_mov_b32 s13, s7
	s_mov_b64 s[28:29], s[4:5]
	s_mov_b32 s34, s7
	s_mov_b32 s33, s6
	s_swappc_b64 s[30:31], s[14:15]
	v_mov_b32_e32 v1, v41
	v_mov_b32_e32 v2, v42
	v_mov_b32_e32 v0, v40
	s_mov_b32 s6, s33
	s_mov_b32 s7, s34
	s_mov_b64 s[4:5], s[28:29]
.LBB530_14:
	s_mov_b32 s8, 0
.LBB530_15:
	s_andn2_b32 vcc_lo, exec_lo, s8
	s_cbranch_vccnz .LBB530_1262
; %bb.16:
	s_cmp_ge_u32 s41, s42
	s_cbranch_scc1 .LBB530_1262
; %bb.17:
	v_and_b32_e32 v5, 0xe0, v0
	v_lshlrev_b32_e32 v43, 2, v0
	v_and_b32_e32 v3, 3, v0
	v_lshrrev_b32_e32 v7, 3, v0
	s_add_u32 s56, s4, 0x50
	v_min_u32_e32 v6, 0x60, v5
	v_mad_u32_u24 v64, v0, 12, v43
	v_lshlrev_b32_e32 v63, 2, v3
	v_mul_u32_u24_e32 v3, 17, v5
	v_or_b32_e32 v5, 31, v5
	v_or_b32_e32 v6, 31, v6
	v_add_nc_u32_e32 v68, v64, v43
	v_and_b32_e32 v62, 28, v7
	v_add_nc_u32_e32 v7, 1, v0
	v_cmp_eq_u32_e64 s4, v0, v5
	v_cmp_eq_u32_e64 s9, v0, v6
	v_lshlrev_b32_e32 v6, 4, v0
	v_lshlrev_b32_e32 v5, 3, v3
	v_mul_u32_u24_e32 v70, 36, v7
	v_cmp_ne_u32_e64 s14, 0x80, v7
	v_mbcnt_lo_u32_b32 v82, -1, 0
	v_sub_nc_u32_e32 v69, v68, v6
	v_lshlrev_b32_e32 v6, 2, v3
	v_add_co_u32 v7, s15, s54, v5
	v_add_co_ci_u32_e64 v8, null, s55, 0, s15
	v_add_co_u32 v9, s15, s48, v6
	v_add_co_ci_u32_e64 v10, null, s49, 0, s15
	;; [unrolled: 2-line block ×3, first 2 shown]
	v_add_co_u32 v74, s15, s52, v5
	v_lshlrev_b32_e32 v106, 3, v82
	v_add_co_ci_u32_e64 v75, null, s53, 0, s15
	v_add_co_u32 v76, s15, s46, v6
	v_lshlrev_b32_e32 v125, 2, v82
	v_add_co_ci_u32_e64 v77, null, s47, 0, s15
	v_add_co_u32 v78, s15, s44, v43
	v_or_b32_e32 v47, 0x200, v0
	v_or_b32_e32 v48, 0x300, v0
	;; [unrolled: 1-line block ×16, first 2 shown]
	v_add_co_ci_u32_e64 v79, null, s45, 0, s15
	v_add_co_u32 v80, s15, s50, v5
	v_add_co_u32 v110, vcc_lo, v7, v106
	v_add_co_u32 v45, s8, s48, v43
	v_add_co_ci_u32_e64 v81, null, s51, 0, s15
	v_add_co_u32 v83, s15, s44, v6
	v_add_co_ci_u32_e64 v111, null, 0, v8, vcc_lo
	v_add_co_u32 v129, vcc_lo, v9, v125
	v_mov_b32_e32 v4, 0
	v_or_b32_e32 v44, 0x100, v0
	v_add_co_ci_u32_e64 v46, null, s49, 0, s8
	v_cmp_gt_u32_e64 s8, 0x80, v0
	v_or_b32_e32 v65, 0x8a00, v62
	v_cmp_gt_u32_e64 s10, 4, v0
	v_add_nc_u32_e32 v66, 0x8a00, v43
	v_cmp_lt_u32_e64 s11, 31, v0
	v_add_nc_u32_e32 v67, 0x89fc, v62
	v_cmp_gt_u32_e64 s12, 8, v0
	v_cmp_eq_u32_e64 s13, 0, v0
	v_lshl_add_u32 v71, v0, 5, v69
	v_add_co_ci_u32_e64 v84, null, s45, 0, s15
	v_mov_b32_e32 v85, 1
	v_and_b32_e32 v86, 15, v82
	v_bfe_i32 v87, v82, 4, 1
	v_and_b32_e32 v88, 16, v82
	v_and_b32_e32 v89, 3, v82
	v_sub_co_u32 v90, s15, v82, 1
	v_lshlrev_b32_e32 v91, 2, v0
	v_lshlrev_b32_e32 v92, 2, v47
	;; [unrolled: 1-line block ×16, first 2 shown]
	v_and_b32_e32 v108, 7, v82
	v_add_nc_u32_e32 v112, 32, v109
	v_add_nc_u32_e32 v113, 64, v109
	v_add_nc_u32_e32 v114, 0x60, v109
	v_add_nc_u32_e32 v115, 0x80, v109
	v_add_nc_u32_e32 v116, 0xa0, v109
	v_add_nc_u32_e32 v117, 0xc0, v109
	v_add_nc_u32_e32 v118, 0xe0, v109
	v_add_nc_u32_e32 v119, 0x100, v109
	v_add_nc_u32_e32 v120, 0x120, v109
	v_add_nc_u32_e32 v121, 0x140, v109
	v_add_nc_u32_e32 v122, 0x160, v109
	v_add_nc_u32_e32 v123, 0x180, v109
	v_add_nc_u32_e32 v124, 0x1a0, v109
	v_add_nc_u32_e32 v126, 0x1c0, v109
	v_add_nc_u32_e32 v127, 0x1e0, v109
	v_add_nc_u32_e32 v128, 0x200, v109
	v_add_co_ci_u32_e64 v130, null, 0, v10, vcc_lo
	s_addc_u32 s57, s5, 0
	s_mov_b32 s51, 0
	s_mov_b32 s61, s41
	s_branch .LBB530_20
.LBB530_18:                             ;   in Loop: Header=BB530_20 Depth=1
	s_waitcnt lgkmcnt(0)
	s_barrier
.LBB530_19:                             ;   in Loop: Header=BB530_20 Depth=1
	s_add_i32 s61, s61, 7
	buffer_gl0_inv
	s_cmp_ge_u32 s61, s42
	s_cbranch_scc1 .LBB530_1262
.LBB530_20:                             ; =>This Loop Header: Depth=1
                                        ;     Child Loop BB530_24 Depth 2
                                        ;     Child Loop BB530_108 Depth 2
	;; [unrolled: 1-line block ×8, first 2 shown]
	s_sub_i32 s5, s42, s61
	s_xor_b32 s43, s43, -1
	s_min_u32 s5, s5, 7
	ds_write2st64_b32 v43, v4, v4 offset1:4
	s_lshl_b32 s5, -1, s5
	s_waitcnt lgkmcnt(0)
	s_waitcnt_vscnt null, 0x0
	s_not_b32 s62, s5
	s_cmp_lg_u32 s61, s41
	s_mov_b32 s5, -1
	s_cbranch_scc0 .LBB530_642
; %bb.21:                               ;   in Loop: Header=BB530_20 Depth=1
	s_and_b32 vcc_lo, exec_lo, s43
	s_cbranch_vccz .LBB530_331
; %bb.22:                               ;   in Loop: Header=BB530_20 Depth=1
	s_mov_b32 s5, s60
	s_mov_b32 s50, s58
	s_barrier
	buffer_gl0_inv
                                        ; implicit-def: $vgpr3
                                        ; implicit-def: $vgpr5
                                        ; implicit-def: $vgpr6
                                        ; implicit-def: $vgpr7
                                        ; implicit-def: $vgpr8
                                        ; implicit-def: $vgpr9
                                        ; implicit-def: $vgpr10
                                        ; implicit-def: $vgpr11
                                        ; implicit-def: $vgpr12
                                        ; implicit-def: $vgpr13
                                        ; implicit-def: $vgpr14
                                        ; implicit-def: $vgpr15
                                        ; implicit-def: $vgpr16
                                        ; implicit-def: $vgpr17
                                        ; implicit-def: $vgpr18
                                        ; implicit-def: $vgpr19
                                        ; implicit-def: $vgpr20
	s_branch .LBB530_24
.LBB530_23:                             ;   in Loop: Header=BB530_24 Depth=2
	s_or_b32 exec_lo, exec_lo, s16
	s_addk_i32 s5, 0xef00
	s_cmp_ge_u32 s18, s59
	s_mov_b32 s50, s18
	s_cbranch_scc1 .LBB530_96
.LBB530_24:                             ;   Parent Loop BB530_20 Depth=1
                                        ; =>  This Inner Loop Header: Depth=2
	s_add_i32 s18, s50, 0x1100
	s_mov_b32 s16, -1
	s_cmp_gt_u32 s18, s59
                                        ; implicit-def: $vgpr21
                                        ; implicit-def: $vgpr22
                                        ; implicit-def: $vgpr25
                                        ; implicit-def: $vgpr23
                                        ; implicit-def: $vgpr27
                                        ; implicit-def: $vgpr24
                                        ; implicit-def: $vgpr29
                                        ; implicit-def: $vgpr26
                                        ; implicit-def: $vgpr31
                                        ; implicit-def: $vgpr28
                                        ; implicit-def: $vgpr33
                                        ; implicit-def: $vgpr30
                                        ; implicit-def: $vgpr34
                                        ; implicit-def: $vgpr32
                                        ; implicit-def: $vgpr35
                                        ; implicit-def: $vgpr36
                                        ; implicit-def: $vgpr37
	s_cbranch_scc1 .LBB530_26
; %bb.25:                               ;   in Loop: Header=BB530_24 Depth=2
	s_lshl_b64 s[16:17], s[50:51], 2
	v_add_co_u32 v33, vcc_lo, v45, s16
	v_add_co_ci_u32_e64 v34, null, s17, v46, vcc_lo
	s_mov_b32 s16, 0
	v_add_co_u32 v23, vcc_lo, 0x800, v33
	v_add_co_ci_u32_e64 v24, null, 0, v34, vcc_lo
	v_add_co_u32 v35, vcc_lo, v33, 0x1000
	v_add_co_ci_u32_e64 v36, null, 0, v34, vcc_lo
	;; [unrolled: 2-line block ×9, first 2 shown]
	s_clause 0x7
	global_load_dword v21, v[33:34], off
	global_load_dword v22, v[33:34], off offset:1024
	global_load_dword v23, v[23:24], off offset:1024
	;; [unrolled: 1-line block ×7, first 2 shown]
	v_add_co_u32 v41, vcc_lo, 0x3800, v33
	v_add_co_ci_u32_e64 v42, null, 0, v34, vcc_lo
	v_add_co_u32 v131, vcc_lo, v33, 0x4000
	v_add_co_ci_u32_e64 v132, null, 0, v34, vcc_lo
	s_clause 0x8
	global_load_dword v25, v[35:36], off offset:-2048
	global_load_dword v27, v[35:36], off
	global_load_dword v29, v[37:38], off offset:-2048
	global_load_dword v31, v[37:38], off
	;; [unrolled: 2-line block ×3, first 2 shown]
	global_load_dword v35, v[131:132], off offset:-2048
	global_load_dword v36, v[41:42], off offset:1024
	global_load_dword v37, v[131:132], off
.LBB530_26:                             ;   in Loop: Header=BB530_24 Depth=2
	s_andn2_b32 vcc_lo, exec_lo, s16
	s_movk_i32 s16, 0x1100
	s_cbranch_vccnz .LBB530_46
; %bb.27:                               ;   in Loop: Header=BB530_24 Depth=2
	s_lshl_b64 s[16:17], s[50:51], 2
	s_mov_b32 s19, exec_lo
	s_add_u32 s16, s48, s16
	s_addc_u32 s17, s49, s17
	v_cmpx_gt_u32_e64 s5, v0
	s_cbranch_execnz .LBB530_80
; %bb.28:                               ;   in Loop: Header=BB530_24 Depth=2
	s_or_b32 exec_lo, exec_lo, s19
	s_mov_b32 s19, exec_lo
	v_cmpx_gt_u32_e64 s5, v44
	s_cbranch_execnz .LBB530_81
.LBB530_29:                             ;   in Loop: Header=BB530_24 Depth=2
	s_or_b32 exec_lo, exec_lo, s19
	s_mov_b32 s19, exec_lo
	v_cmpx_gt_u32_e64 s5, v47
	s_cbranch_execnz .LBB530_82
.LBB530_30:                             ;   in Loop: Header=BB530_24 Depth=2
	s_or_b32 exec_lo, exec_lo, s19
	s_mov_b32 s19, exec_lo
	v_cmpx_gt_u32_e64 s5, v48
	s_cbranch_execnz .LBB530_83
.LBB530_31:                             ;   in Loop: Header=BB530_24 Depth=2
	s_or_b32 exec_lo, exec_lo, s19
	s_mov_b32 s19, exec_lo
	v_cmpx_gt_u32_e64 s5, v49
	s_cbranch_execnz .LBB530_84
.LBB530_32:                             ;   in Loop: Header=BB530_24 Depth=2
	s_or_b32 exec_lo, exec_lo, s19
	s_mov_b32 s19, exec_lo
	v_cmpx_gt_u32_e64 s5, v50
	s_cbranch_execnz .LBB530_85
.LBB530_33:                             ;   in Loop: Header=BB530_24 Depth=2
	s_or_b32 exec_lo, exec_lo, s19
	s_mov_b32 s19, exec_lo
	v_cmpx_gt_u32_e64 s5, v51
	s_cbranch_execnz .LBB530_86
.LBB530_34:                             ;   in Loop: Header=BB530_24 Depth=2
	s_or_b32 exec_lo, exec_lo, s19
	s_mov_b32 s19, exec_lo
	v_cmpx_gt_u32_e64 s5, v52
	s_cbranch_execnz .LBB530_87
.LBB530_35:                             ;   in Loop: Header=BB530_24 Depth=2
	s_or_b32 exec_lo, exec_lo, s19
	s_mov_b32 s19, exec_lo
	v_cmpx_gt_u32_e64 s5, v53
	s_cbranch_execnz .LBB530_88
.LBB530_36:                             ;   in Loop: Header=BB530_24 Depth=2
	s_or_b32 exec_lo, exec_lo, s19
	s_mov_b32 s19, exec_lo
	v_cmpx_gt_u32_e64 s5, v54
	s_cbranch_execnz .LBB530_89
.LBB530_37:                             ;   in Loop: Header=BB530_24 Depth=2
	s_or_b32 exec_lo, exec_lo, s19
	s_mov_b32 s19, exec_lo
	v_cmpx_gt_u32_e64 s5, v55
	s_cbranch_execnz .LBB530_90
.LBB530_38:                             ;   in Loop: Header=BB530_24 Depth=2
	s_or_b32 exec_lo, exec_lo, s19
	s_mov_b32 s19, exec_lo
	v_cmpx_gt_u32_e64 s5, v56
	s_cbranch_execnz .LBB530_91
.LBB530_39:                             ;   in Loop: Header=BB530_24 Depth=2
	s_or_b32 exec_lo, exec_lo, s19
	s_mov_b32 s19, exec_lo
	v_cmpx_gt_u32_e64 s5, v57
	s_cbranch_execnz .LBB530_92
.LBB530_40:                             ;   in Loop: Header=BB530_24 Depth=2
	s_or_b32 exec_lo, exec_lo, s19
	s_mov_b32 s19, exec_lo
	v_cmpx_gt_u32_e64 s5, v58
	s_cbranch_execnz .LBB530_93
.LBB530_41:                             ;   in Loop: Header=BB530_24 Depth=2
	s_or_b32 exec_lo, exec_lo, s19
	s_mov_b32 s19, exec_lo
	v_cmpx_gt_u32_e64 s5, v59
	s_cbranch_execnz .LBB530_94
.LBB530_42:                             ;   in Loop: Header=BB530_24 Depth=2
	s_or_b32 exec_lo, exec_lo, s19
	s_mov_b32 s19, exec_lo
	v_cmpx_gt_u32_e64 s5, v60
	s_cbranch_execnz .LBB530_95
.LBB530_43:                             ;   in Loop: Header=BB530_24 Depth=2
	s_or_b32 exec_lo, exec_lo, s19
	s_mov_b32 s19, exec_lo
	v_cmpx_gt_u32_e64 s5, v61
	s_cbranch_execz .LBB530_45
.LBB530_44:                             ;   in Loop: Header=BB530_24 Depth=2
	global_load_dword v3, v107, s[16:17]
.LBB530_45:                             ;   in Loop: Header=BB530_24 Depth=2
	s_or_b32 exec_lo, exec_lo, s19
	s_waitcnt vmcnt(0)
	v_mov_b32_e32 v21, v20
	v_mov_b32_e32 v22, v19
	;; [unrolled: 1-line block ×17, first 2 shown]
	s_mov_b32 s16, s5
.LBB530_46:                             ;   in Loop: Header=BB530_24 Depth=2
	s_waitcnt vmcnt(0)
	v_mov_b32_e32 v3, v37
	v_mov_b32_e32 v5, v36
	;; [unrolled: 1-line block ×17, first 2 shown]
	s_mov_b32 s17, exec_lo
	v_cmpx_gt_u32_e64 s16, v0
	s_cbranch_execnz .LBB530_63
; %bb.47:                               ;   in Loop: Header=BB530_24 Depth=2
	s_or_b32 exec_lo, exec_lo, s17
	s_mov_b32 s17, exec_lo
	v_cmpx_gt_u32_e64 s16, v44
	s_cbranch_execnz .LBB530_64
.LBB530_48:                             ;   in Loop: Header=BB530_24 Depth=2
	s_or_b32 exec_lo, exec_lo, s17
	s_mov_b32 s17, exec_lo
	v_cmpx_gt_u32_e64 s16, v47
	s_cbranch_execnz .LBB530_65
.LBB530_49:                             ;   in Loop: Header=BB530_24 Depth=2
	s_or_b32 exec_lo, exec_lo, s17
	s_mov_b32 s17, exec_lo
	v_cmpx_gt_u32_e64 s16, v48
	s_cbranch_execnz .LBB530_66
.LBB530_50:                             ;   in Loop: Header=BB530_24 Depth=2
	s_or_b32 exec_lo, exec_lo, s17
	s_mov_b32 s17, exec_lo
	v_cmpx_gt_u32_e64 s16, v49
	s_cbranch_execnz .LBB530_67
.LBB530_51:                             ;   in Loop: Header=BB530_24 Depth=2
	s_or_b32 exec_lo, exec_lo, s17
	s_mov_b32 s17, exec_lo
	v_cmpx_gt_u32_e64 s16, v50
	s_cbranch_execnz .LBB530_68
.LBB530_52:                             ;   in Loop: Header=BB530_24 Depth=2
	s_or_b32 exec_lo, exec_lo, s17
	s_mov_b32 s17, exec_lo
	v_cmpx_gt_u32_e64 s16, v51
	s_cbranch_execnz .LBB530_69
.LBB530_53:                             ;   in Loop: Header=BB530_24 Depth=2
	s_or_b32 exec_lo, exec_lo, s17
	s_mov_b32 s17, exec_lo
	v_cmpx_gt_u32_e64 s16, v52
	s_cbranch_execnz .LBB530_70
.LBB530_54:                             ;   in Loop: Header=BB530_24 Depth=2
	s_or_b32 exec_lo, exec_lo, s17
	s_mov_b32 s17, exec_lo
	v_cmpx_gt_u32_e64 s16, v53
	s_cbranch_execnz .LBB530_71
.LBB530_55:                             ;   in Loop: Header=BB530_24 Depth=2
	s_or_b32 exec_lo, exec_lo, s17
	s_mov_b32 s17, exec_lo
	v_cmpx_gt_u32_e64 s16, v54
	s_cbranch_execnz .LBB530_72
.LBB530_56:                             ;   in Loop: Header=BB530_24 Depth=2
	s_or_b32 exec_lo, exec_lo, s17
	s_mov_b32 s17, exec_lo
	v_cmpx_gt_u32_e64 s16, v55
	s_cbranch_execnz .LBB530_73
.LBB530_57:                             ;   in Loop: Header=BB530_24 Depth=2
	s_or_b32 exec_lo, exec_lo, s17
	s_mov_b32 s17, exec_lo
	v_cmpx_gt_u32_e64 s16, v56
	s_cbranch_execnz .LBB530_74
.LBB530_58:                             ;   in Loop: Header=BB530_24 Depth=2
	s_or_b32 exec_lo, exec_lo, s17
	s_mov_b32 s17, exec_lo
	v_cmpx_gt_u32_e64 s16, v57
	s_cbranch_execnz .LBB530_75
.LBB530_59:                             ;   in Loop: Header=BB530_24 Depth=2
	s_or_b32 exec_lo, exec_lo, s17
	s_mov_b32 s17, exec_lo
	v_cmpx_gt_u32_e64 s16, v58
	s_cbranch_execnz .LBB530_76
.LBB530_60:                             ;   in Loop: Header=BB530_24 Depth=2
	s_or_b32 exec_lo, exec_lo, s17
	s_mov_b32 s17, exec_lo
	v_cmpx_gt_u32_e64 s16, v59
	s_cbranch_execnz .LBB530_77
.LBB530_61:                             ;   in Loop: Header=BB530_24 Depth=2
	s_or_b32 exec_lo, exec_lo, s17
	s_mov_b32 s17, exec_lo
	v_cmpx_gt_u32_e64 s16, v60
	s_cbranch_execnz .LBB530_78
.LBB530_62:                             ;   in Loop: Header=BB530_24 Depth=2
	s_or_b32 exec_lo, exec_lo, s17
	v_cmp_gt_u32_e32 vcc_lo, s16, v61
	s_and_saveexec_b32 s16, vcc_lo
	s_cbranch_execz .LBB530_23
	s_branch .LBB530_79
.LBB530_63:                             ;   in Loop: Header=BB530_24 Depth=2
	v_xor_b32_e32 v21, 0x7fffffff, v20
	v_lshrrev_b32_e32 v21, s61, v21
	v_and_b32_e32 v21, s62, v21
	v_lshl_or_b32 v21, v21, 4, v63
	ds_add_u32 v21, v85
	s_or_b32 exec_lo, exec_lo, s17
	s_mov_b32 s17, exec_lo
	v_cmpx_gt_u32_e64 s16, v44
	s_cbranch_execz .LBB530_48
.LBB530_64:                             ;   in Loop: Header=BB530_24 Depth=2
	v_xor_b32_e32 v21, 0x7fffffff, v19
	v_lshrrev_b32_e32 v21, s61, v21
	v_and_b32_e32 v21, s62, v21
	v_lshl_or_b32 v21, v21, 4, v63
	ds_add_u32 v21, v85
	s_or_b32 exec_lo, exec_lo, s17
	s_mov_b32 s17, exec_lo
	v_cmpx_gt_u32_e64 s16, v47
	s_cbranch_execz .LBB530_49
.LBB530_65:                             ;   in Loop: Header=BB530_24 Depth=2
	v_xor_b32_e32 v21, 0x7fffffff, v18
	v_lshrrev_b32_e32 v21, s61, v21
	v_and_b32_e32 v21, s62, v21
	v_lshl_or_b32 v21, v21, 4, v63
	ds_add_u32 v21, v85
	s_or_b32 exec_lo, exec_lo, s17
	s_mov_b32 s17, exec_lo
	v_cmpx_gt_u32_e64 s16, v48
	s_cbranch_execz .LBB530_50
.LBB530_66:                             ;   in Loop: Header=BB530_24 Depth=2
	v_xor_b32_e32 v21, 0x7fffffff, v17
	v_lshrrev_b32_e32 v21, s61, v21
	v_and_b32_e32 v21, s62, v21
	v_lshl_or_b32 v21, v21, 4, v63
	ds_add_u32 v21, v85
	s_or_b32 exec_lo, exec_lo, s17
	s_mov_b32 s17, exec_lo
	v_cmpx_gt_u32_e64 s16, v49
	s_cbranch_execz .LBB530_51
.LBB530_67:                             ;   in Loop: Header=BB530_24 Depth=2
	v_xor_b32_e32 v21, 0x7fffffff, v16
	v_lshrrev_b32_e32 v21, s61, v21
	v_and_b32_e32 v21, s62, v21
	v_lshl_or_b32 v21, v21, 4, v63
	ds_add_u32 v21, v85
	s_or_b32 exec_lo, exec_lo, s17
	s_mov_b32 s17, exec_lo
	v_cmpx_gt_u32_e64 s16, v50
	s_cbranch_execz .LBB530_52
.LBB530_68:                             ;   in Loop: Header=BB530_24 Depth=2
	v_xor_b32_e32 v21, 0x7fffffff, v15
	v_lshrrev_b32_e32 v21, s61, v21
	v_and_b32_e32 v21, s62, v21
	v_lshl_or_b32 v21, v21, 4, v63
	ds_add_u32 v21, v85
	s_or_b32 exec_lo, exec_lo, s17
	s_mov_b32 s17, exec_lo
	v_cmpx_gt_u32_e64 s16, v51
	s_cbranch_execz .LBB530_53
.LBB530_69:                             ;   in Loop: Header=BB530_24 Depth=2
	v_xor_b32_e32 v21, 0x7fffffff, v14
	v_lshrrev_b32_e32 v21, s61, v21
	v_and_b32_e32 v21, s62, v21
	v_lshl_or_b32 v21, v21, 4, v63
	ds_add_u32 v21, v85
	s_or_b32 exec_lo, exec_lo, s17
	s_mov_b32 s17, exec_lo
	v_cmpx_gt_u32_e64 s16, v52
	s_cbranch_execz .LBB530_54
.LBB530_70:                             ;   in Loop: Header=BB530_24 Depth=2
	v_xor_b32_e32 v21, 0x7fffffff, v13
	v_lshrrev_b32_e32 v21, s61, v21
	v_and_b32_e32 v21, s62, v21
	v_lshl_or_b32 v21, v21, 4, v63
	ds_add_u32 v21, v85
	s_or_b32 exec_lo, exec_lo, s17
	s_mov_b32 s17, exec_lo
	v_cmpx_gt_u32_e64 s16, v53
	s_cbranch_execz .LBB530_55
.LBB530_71:                             ;   in Loop: Header=BB530_24 Depth=2
	v_xor_b32_e32 v21, 0x7fffffff, v12
	v_lshrrev_b32_e32 v21, s61, v21
	v_and_b32_e32 v21, s62, v21
	v_lshl_or_b32 v21, v21, 4, v63
	ds_add_u32 v21, v85
	s_or_b32 exec_lo, exec_lo, s17
	s_mov_b32 s17, exec_lo
	v_cmpx_gt_u32_e64 s16, v54
	s_cbranch_execz .LBB530_56
.LBB530_72:                             ;   in Loop: Header=BB530_24 Depth=2
	v_xor_b32_e32 v21, 0x7fffffff, v11
	v_lshrrev_b32_e32 v21, s61, v21
	v_and_b32_e32 v21, s62, v21
	v_lshl_or_b32 v21, v21, 4, v63
	ds_add_u32 v21, v85
	s_or_b32 exec_lo, exec_lo, s17
	s_mov_b32 s17, exec_lo
	v_cmpx_gt_u32_e64 s16, v55
	s_cbranch_execz .LBB530_57
.LBB530_73:                             ;   in Loop: Header=BB530_24 Depth=2
	v_xor_b32_e32 v21, 0x7fffffff, v10
	v_lshrrev_b32_e32 v21, s61, v21
	v_and_b32_e32 v21, s62, v21
	v_lshl_or_b32 v21, v21, 4, v63
	ds_add_u32 v21, v85
	s_or_b32 exec_lo, exec_lo, s17
	s_mov_b32 s17, exec_lo
	v_cmpx_gt_u32_e64 s16, v56
	s_cbranch_execz .LBB530_58
.LBB530_74:                             ;   in Loop: Header=BB530_24 Depth=2
	v_xor_b32_e32 v21, 0x7fffffff, v9
	v_lshrrev_b32_e32 v21, s61, v21
	v_and_b32_e32 v21, s62, v21
	v_lshl_or_b32 v21, v21, 4, v63
	ds_add_u32 v21, v85
	s_or_b32 exec_lo, exec_lo, s17
	s_mov_b32 s17, exec_lo
	v_cmpx_gt_u32_e64 s16, v57
	s_cbranch_execz .LBB530_59
.LBB530_75:                             ;   in Loop: Header=BB530_24 Depth=2
	v_xor_b32_e32 v21, 0x7fffffff, v8
	v_lshrrev_b32_e32 v21, s61, v21
	v_and_b32_e32 v21, s62, v21
	v_lshl_or_b32 v21, v21, 4, v63
	ds_add_u32 v21, v85
	s_or_b32 exec_lo, exec_lo, s17
	s_mov_b32 s17, exec_lo
	v_cmpx_gt_u32_e64 s16, v58
	s_cbranch_execz .LBB530_60
.LBB530_76:                             ;   in Loop: Header=BB530_24 Depth=2
	v_xor_b32_e32 v21, 0x7fffffff, v7
	v_lshrrev_b32_e32 v21, s61, v21
	v_and_b32_e32 v21, s62, v21
	v_lshl_or_b32 v21, v21, 4, v63
	ds_add_u32 v21, v85
	s_or_b32 exec_lo, exec_lo, s17
	s_mov_b32 s17, exec_lo
	v_cmpx_gt_u32_e64 s16, v59
	s_cbranch_execz .LBB530_61
.LBB530_77:                             ;   in Loop: Header=BB530_24 Depth=2
	v_xor_b32_e32 v21, 0x7fffffff, v6
	v_lshrrev_b32_e32 v21, s61, v21
	v_and_b32_e32 v21, s62, v21
	v_lshl_or_b32 v21, v21, 4, v63
	ds_add_u32 v21, v85
	s_or_b32 exec_lo, exec_lo, s17
	s_mov_b32 s17, exec_lo
	v_cmpx_gt_u32_e64 s16, v60
	s_cbranch_execz .LBB530_62
.LBB530_78:                             ;   in Loop: Header=BB530_24 Depth=2
	v_xor_b32_e32 v21, 0x7fffffff, v5
	v_lshrrev_b32_e32 v21, s61, v21
	v_and_b32_e32 v21, s62, v21
	v_lshl_or_b32 v21, v21, 4, v63
	ds_add_u32 v21, v85
	s_or_b32 exec_lo, exec_lo, s17
	v_cmp_gt_u32_e32 vcc_lo, s16, v61
	s_and_saveexec_b32 s16, vcc_lo
	s_cbranch_execz .LBB530_23
.LBB530_79:                             ;   in Loop: Header=BB530_24 Depth=2
	v_xor_b32_e32 v21, 0x7fffffff, v3
	v_lshrrev_b32_e32 v21, s61, v21
	v_and_b32_e32 v21, s62, v21
	v_lshl_or_b32 v21, v21, 4, v63
	ds_add_u32 v21, v85
	s_branch .LBB530_23
.LBB530_80:                             ;   in Loop: Header=BB530_24 Depth=2
	global_load_dword v20, v91, s[16:17]
	s_or_b32 exec_lo, exec_lo, s19
	s_mov_b32 s19, exec_lo
	v_cmpx_gt_u32_e64 s5, v44
	s_cbranch_execz .LBB530_29
.LBB530_81:                             ;   in Loop: Header=BB530_24 Depth=2
	global_load_dword v19, v91, s[16:17] offset:1024
	s_or_b32 exec_lo, exec_lo, s19
	s_mov_b32 s19, exec_lo
	v_cmpx_gt_u32_e64 s5, v47
	s_cbranch_execz .LBB530_30
.LBB530_82:                             ;   in Loop: Header=BB530_24 Depth=2
	global_load_dword v18, v92, s[16:17]
	s_or_b32 exec_lo, exec_lo, s19
	s_mov_b32 s19, exec_lo
	v_cmpx_gt_u32_e64 s5, v48
	s_cbranch_execz .LBB530_31
.LBB530_83:                             ;   in Loop: Header=BB530_24 Depth=2
	global_load_dword v17, v93, s[16:17]
	s_or_b32 exec_lo, exec_lo, s19
	s_mov_b32 s19, exec_lo
	v_cmpx_gt_u32_e64 s5, v49
	s_cbranch_execz .LBB530_32
.LBB530_84:                             ;   in Loop: Header=BB530_24 Depth=2
	global_load_dword v16, v94, s[16:17]
	s_or_b32 exec_lo, exec_lo, s19
	s_mov_b32 s19, exec_lo
	v_cmpx_gt_u32_e64 s5, v50
	s_cbranch_execz .LBB530_33
.LBB530_85:                             ;   in Loop: Header=BB530_24 Depth=2
	global_load_dword v15, v95, s[16:17]
	s_or_b32 exec_lo, exec_lo, s19
	s_mov_b32 s19, exec_lo
	v_cmpx_gt_u32_e64 s5, v51
	s_cbranch_execz .LBB530_34
.LBB530_86:                             ;   in Loop: Header=BB530_24 Depth=2
	global_load_dword v14, v96, s[16:17]
	s_or_b32 exec_lo, exec_lo, s19
	s_mov_b32 s19, exec_lo
	v_cmpx_gt_u32_e64 s5, v52
	s_cbranch_execz .LBB530_35
.LBB530_87:                             ;   in Loop: Header=BB530_24 Depth=2
	global_load_dword v13, v97, s[16:17]
	s_or_b32 exec_lo, exec_lo, s19
	s_mov_b32 s19, exec_lo
	v_cmpx_gt_u32_e64 s5, v53
	s_cbranch_execz .LBB530_36
.LBB530_88:                             ;   in Loop: Header=BB530_24 Depth=2
	global_load_dword v12, v98, s[16:17]
	s_or_b32 exec_lo, exec_lo, s19
	s_mov_b32 s19, exec_lo
	v_cmpx_gt_u32_e64 s5, v54
	s_cbranch_execz .LBB530_37
.LBB530_89:                             ;   in Loop: Header=BB530_24 Depth=2
	global_load_dword v11, v99, s[16:17]
	s_or_b32 exec_lo, exec_lo, s19
	s_mov_b32 s19, exec_lo
	v_cmpx_gt_u32_e64 s5, v55
	s_cbranch_execz .LBB530_38
.LBB530_90:                             ;   in Loop: Header=BB530_24 Depth=2
	global_load_dword v10, v100, s[16:17]
	s_or_b32 exec_lo, exec_lo, s19
	s_mov_b32 s19, exec_lo
	v_cmpx_gt_u32_e64 s5, v56
	s_cbranch_execz .LBB530_39
.LBB530_91:                             ;   in Loop: Header=BB530_24 Depth=2
	global_load_dword v9, v101, s[16:17]
	s_or_b32 exec_lo, exec_lo, s19
	s_mov_b32 s19, exec_lo
	v_cmpx_gt_u32_e64 s5, v57
	s_cbranch_execz .LBB530_40
.LBB530_92:                             ;   in Loop: Header=BB530_24 Depth=2
	global_load_dword v8, v102, s[16:17]
	s_or_b32 exec_lo, exec_lo, s19
	s_mov_b32 s19, exec_lo
	v_cmpx_gt_u32_e64 s5, v58
	s_cbranch_execz .LBB530_41
.LBB530_93:                             ;   in Loop: Header=BB530_24 Depth=2
	global_load_dword v7, v103, s[16:17]
	s_or_b32 exec_lo, exec_lo, s19
	s_mov_b32 s19, exec_lo
	v_cmpx_gt_u32_e64 s5, v59
	s_cbranch_execz .LBB530_42
.LBB530_94:                             ;   in Loop: Header=BB530_24 Depth=2
	global_load_dword v6, v104, s[16:17]
	s_or_b32 exec_lo, exec_lo, s19
	s_mov_b32 s19, exec_lo
	v_cmpx_gt_u32_e64 s5, v60
	s_cbranch_execz .LBB530_43
.LBB530_95:                             ;   in Loop: Header=BB530_24 Depth=2
	global_load_dword v5, v105, s[16:17]
	s_or_b32 exec_lo, exec_lo, s19
	s_mov_b32 s19, exec_lo
	v_cmpx_gt_u32_e64 s5, v61
	s_cbranch_execnz .LBB530_44
	s_branch .LBB530_45
.LBB530_96:                             ;   in Loop: Header=BB530_20 Depth=1
	v_mov_b32_e32 v3, 0
	s_waitcnt lgkmcnt(0)
	s_barrier
	buffer_gl0_inv
	s_and_saveexec_b32 s5, s8
	s_cbranch_execz .LBB530_98
; %bb.97:                               ;   in Loop: Header=BB530_20 Depth=1
	ds_read2_b64 v[5:8], v64 offset1:1
	s_waitcnt lgkmcnt(0)
	v_add_nc_u32_e32 v3, v6, v5
	v_add3_u32 v3, v3, v7, v8
.LBB530_98:                             ;   in Loop: Header=BB530_20 Depth=1
	s_or_b32 exec_lo, exec_lo, s5
	v_mov_b32_dpp v5, v3 row_shr:1 row_mask:0xf bank_mask:0xf
	v_cmp_eq_u32_e64 s5, 0, v86
	v_cmp_lt_u32_e64 s16, 1, v86
	v_cmp_lt_u32_e64 s17, 3, v86
	;; [unrolled: 1-line block ×3, first 2 shown]
	v_cmp_eq_u32_e64 s19, 0, v88
	v_cndmask_b32_e64 v5, v5, 0, s5
	v_add_nc_u32_e32 v3, v5, v3
	v_mov_b32_dpp v5, v3 row_shr:2 row_mask:0xf bank_mask:0xf
	v_cndmask_b32_e64 v5, 0, v5, s16
	v_add_nc_u32_e32 v3, v3, v5
	v_mov_b32_dpp v5, v3 row_shr:4 row_mask:0xf bank_mask:0xf
	;; [unrolled: 3-line block ×3, first 2 shown]
	v_cndmask_b32_e64 v5, 0, v5, s18
	v_add_nc_u32_e32 v3, v3, v5
	ds_swizzle_b32 v5, v3 offset:swizzle(BROADCAST,32,15)
	s_waitcnt lgkmcnt(0)
	v_and_b32_e32 v5, v87, v5
	v_add_nc_u32_e32 v3, v3, v5
	s_and_saveexec_b32 s20, s9
; %bb.99:                               ;   in Loop: Header=BB530_20 Depth=1
	ds_write_b32 v65, v3
; %bb.100:                              ;   in Loop: Header=BB530_20 Depth=1
	s_or_b32 exec_lo, exec_lo, s20
	s_waitcnt lgkmcnt(0)
	s_barrier
	buffer_gl0_inv
	s_and_saveexec_b32 s20, s10
	s_cbranch_execz .LBB530_102
; %bb.101:                              ;   in Loop: Header=BB530_20 Depth=1
	ds_read_b32 v5, v66
	v_cmp_ne_u32_e32 vcc_lo, 0, v89
	s_waitcnt lgkmcnt(0)
	v_mov_b32_dpp v6, v5 row_shr:1 row_mask:0xf bank_mask:0xf
	v_cndmask_b32_e32 v6, 0, v6, vcc_lo
	v_cmp_lt_u32_e32 vcc_lo, 1, v89
	v_add_nc_u32_e32 v5, v6, v5
	v_mov_b32_dpp v6, v5 row_shr:2 row_mask:0xf bank_mask:0xf
	v_cndmask_b32_e32 v6, 0, v6, vcc_lo
	v_add_nc_u32_e32 v5, v5, v6
	ds_write_b32 v66, v5
.LBB530_102:                            ;   in Loop: Header=BB530_20 Depth=1
	s_or_b32 exec_lo, exec_lo, s20
	v_mov_b32_e32 v5, 0
	s_waitcnt lgkmcnt(0)
	s_barrier
	buffer_gl0_inv
	s_and_saveexec_b32 s20, s11
; %bb.103:                              ;   in Loop: Header=BB530_20 Depth=1
	ds_read_b32 v5, v67
; %bb.104:                              ;   in Loop: Header=BB530_20 Depth=1
	s_or_b32 exec_lo, exec_lo, s20
	v_cmp_gt_i32_e32 vcc_lo, 0, v90
	s_waitcnt lgkmcnt(0)
	v_add_nc_u32_e32 v3, v5, v3
	s_barrier
	buffer_gl0_inv
	v_cndmask_b32_e32 v6, v90, v82, vcc_lo
	v_lshlrev_b32_e32 v131, 2, v6
	ds_bpermute_b32 v3, v131, v3
	s_and_saveexec_b32 s20, s8
	s_cbranch_execz .LBB530_106
; %bb.105:                              ;   in Loop: Header=BB530_20 Depth=1
	s_waitcnt lgkmcnt(0)
	v_cndmask_b32_e64 v3, v3, v5, s15
	v_add_nc_u32_e32 v3, s58, v3
	ds_write_b32 v43, v3
.LBB530_106:                            ;   in Loop: Header=BB530_20 Depth=1
	s_or_b32 exec_lo, exec_lo, s20
	s_clause 0x1
	s_load_dword s20, s[56:57], 0x4
	s_load_dword s22, s[56:57], 0xc
	s_mov_b32 s63, s60
	s_mov_b32 s50, s58
                                        ; implicit-def: $vgpr7_vgpr8
                                        ; implicit-def: $vgpr9_vgpr10
                                        ; implicit-def: $vgpr11_vgpr12
                                        ; implicit-def: $vgpr13_vgpr14
                                        ; implicit-def: $vgpr15_vgpr16
                                        ; implicit-def: $vgpr19_vgpr20
                                        ; implicit-def: $vgpr23_vgpr24
                                        ; implicit-def: $vgpr27_vgpr28
                                        ; implicit-def: $vgpr17_vgpr18
                                        ; implicit-def: $vgpr21_vgpr22
                                        ; implicit-def: $vgpr25_vgpr26
                                        ; implicit-def: $vgpr29_vgpr30
                                        ; implicit-def: $vgpr31_vgpr32
                                        ; implicit-def: $vgpr33_vgpr34
                                        ; implicit-def: $vgpr35_vgpr36
                                        ; implicit-def: $vgpr37_vgpr38
                                        ; implicit-def: $vgpr133
                                        ; implicit-def: $vgpr134
                                        ; implicit-def: $vgpr135
                                        ; implicit-def: $vgpr136
                                        ; implicit-def: $vgpr137
                                        ; implicit-def: $vgpr138
                                        ; implicit-def: $vgpr139
                                        ; implicit-def: $vgpr140
                                        ; implicit-def: $vgpr141
                                        ; implicit-def: $vgpr142
                                        ; implicit-def: $vgpr143
                                        ; implicit-def: $vgpr144
                                        ; implicit-def: $vgpr145
                                        ; implicit-def: $vgpr146
                                        ; implicit-def: $vgpr147
                                        ; implicit-def: $vgpr149
                                        ; implicit-def: $vgpr150
                                        ; implicit-def: $vgpr148
                                        ; implicit-def: $vgpr151
	s_waitcnt lgkmcnt(0)
	s_cmp_lt_u32 s7, s20
	s_cselect_b32 s20, 14, 20
	s_add_u32 s20, s56, s20
	s_addc_u32 s21, s57, 0
	global_load_ushort v3, v4, s[20:21]
	s_and_b32 s20, s22, 0xffff
	v_cmp_lt_u32_e64 s21, 1, v108
	v_cmp_lt_u32_e64 s22, 3, v108
	s_waitcnt vmcnt(0)
	v_mad_u32_u24 v3, v2, v3, v1
	v_mad_u64_u32 v[5:6], null, v3, s20, v[0:1]
	v_cmp_eq_u32_e64 s20, 0, v108
	v_lshrrev_b32_e32 v3, 3, v5
                                        ; implicit-def: $vgpr5_vgpr6
	v_and_b32_e32 v132, 0x1ffffffc, v3
	s_branch .LBB530_108
.LBB530_107:                            ;   in Loop: Header=BB530_108 Depth=2
	s_or_b32 exec_lo, exec_lo, s23
	s_addk_i32 s63, 0xef00
	s_cmp_lt_u32 s64, s59
	s_mov_b32 s50, s64
	s_cbranch_scc0 .LBB530_330
.LBB530_108:                            ;   Parent Loop BB530_20 Depth=1
                                        ; =>  This Inner Loop Header: Depth=2
	s_add_i32 s64, s50, 0x1100
	s_cmp_gt_u32 s64, s59
	s_cbranch_scc1 .LBB530_110
; %bb.109:                              ;   in Loop: Header=BB530_108 Depth=2
	s_lshl_b64 s[24:25], s[50:51], 2
	s_mov_b32 s23, -1
	v_add_co_u32 v39, vcc_lo, v129, s24
	v_add_co_ci_u32_e64 v40, null, s25, v130, vcc_lo
	s_clause 0xf
	global_load_dword v153, v[39:40], off
	global_load_dword v154, v[39:40], off offset:128
	global_load_dword v157, v[39:40], off offset:256
	;; [unrolled: 1-line block ×15, first 2 shown]
	s_movk_i32 s24, 0x1100
	s_cbranch_execz .LBB530_111
	s_branch .LBB530_144
.LBB530_110:                            ;   in Loop: Header=BB530_108 Depth=2
	s_mov_b32 s23, 0
                                        ; implicit-def: $vgpr153
                                        ; implicit-def: $vgpr154
                                        ; implicit-def: $vgpr157
                                        ; implicit-def: $vgpr161
                                        ; implicit-def: $vgpr166
                                        ; implicit-def: $vgpr171
                                        ; implicit-def: $vgpr176
                                        ; implicit-def: $vgpr181
                                        ; implicit-def: $vgpr186
                                        ; implicit-def: $vgpr184
                                        ; implicit-def: $vgpr179
                                        ; implicit-def: $vgpr174
                                        ; implicit-def: $vgpr170
                                        ; implicit-def: $vgpr165
                                        ; implicit-def: $vgpr42
                                        ; implicit-def: $vgpr41
	s_movk_i32 s24, 0x1100
.LBB530_111:                            ;   in Loop: Header=BB530_108 Depth=2
	s_lshl_b64 s[24:25], s[50:51], 2
	s_waitcnt vmcnt(14)
	v_bfrev_b32_e32 v154, 1
	v_add_co_u32 v39, vcc_lo, v129, s24
	v_add_co_ci_u32_e64 v40, null, s25, v130, vcc_lo
	v_bfrev_b32_e32 v153, 1
	s_mov_b32 s23, exec_lo
	v_cmpx_gt_u32_e64 s63, v109
	s_cbranch_execz .LBB530_113
; %bb.112:                              ;   in Loop: Header=BB530_108 Depth=2
	global_load_dword v153, v[39:40], off
.LBB530_113:                            ;   in Loop: Header=BB530_108 Depth=2
	s_or_b32 exec_lo, exec_lo, s23
	s_mov_b32 s23, exec_lo
	v_cmpx_gt_u32_e64 s63, v112
	s_cbranch_execz .LBB530_115
; %bb.114:                              ;   in Loop: Header=BB530_108 Depth=2
	global_load_dword v154, v[39:40], off offset:128
.LBB530_115:                            ;   in Loop: Header=BB530_108 Depth=2
	s_or_b32 exec_lo, exec_lo, s23
	s_waitcnt vmcnt(12)
	v_bfrev_b32_e32 v161, 1
	v_bfrev_b32_e32 v157, 1
	s_mov_b32 s23, exec_lo
	v_cmpx_gt_u32_e64 s63, v113
	s_cbranch_execz .LBB530_117
; %bb.116:                              ;   in Loop: Header=BB530_108 Depth=2
	global_load_dword v157, v[39:40], off offset:256
.LBB530_117:                            ;   in Loop: Header=BB530_108 Depth=2
	s_or_b32 exec_lo, exec_lo, s23
	s_mov_b32 s23, exec_lo
	v_cmpx_gt_u32_e64 s63, v114
	s_cbranch_execz .LBB530_119
; %bb.118:                              ;   in Loop: Header=BB530_108 Depth=2
	global_load_dword v161, v[39:40], off offset:384
.LBB530_119:                            ;   in Loop: Header=BB530_108 Depth=2
	s_or_b32 exec_lo, exec_lo, s23
	s_waitcnt vmcnt(10)
	v_bfrev_b32_e32 v171, 1
	v_bfrev_b32_e32 v166, 1
	s_mov_b32 s23, exec_lo
	v_cmpx_gt_u32_e64 s63, v115
	s_cbranch_execz .LBB530_121
; %bb.120:                              ;   in Loop: Header=BB530_108 Depth=2
	global_load_dword v166, v[39:40], off offset:512
.LBB530_121:                            ;   in Loop: Header=BB530_108 Depth=2
	;; [unrolled: 17-line block ×7, first 2 shown]
	s_or_b32 exec_lo, exec_lo, s23
	s_mov_b32 s23, exec_lo
	v_cmpx_gt_u32_e64 s63, v127
	s_cbranch_execz .LBB530_143
; %bb.142:                              ;   in Loop: Header=BB530_108 Depth=2
	global_load_dword v41, v[39:40], off offset:1920
.LBB530_143:                            ;   in Loop: Header=BB530_108 Depth=2
	s_or_b32 exec_lo, exec_lo, s23
	v_cmp_gt_u32_e64 s23, s63, v128
	s_sub_i32 s24, s59, s50
.LBB530_144:                            ;   in Loop: Header=BB530_108 Depth=2
	v_mov_b32_e32 v3, -1
	v_mov_b32_e32 v152, s63
	s_and_saveexec_b32 s25, s23
	s_cbranch_execz .LBB530_146
; %bb.145:                              ;   in Loop: Header=BB530_108 Depth=2
	s_lshl_b64 s[26:27], s[50:51], 2
	v_mov_b32_e32 v152, s24
	v_add_co_u32 v3, vcc_lo, v129, s26
	v_add_co_ci_u32_e64 v40, null, s27, v130, vcc_lo
	v_add_co_u32 v39, vcc_lo, 0x800, v3
	v_add_co_ci_u32_e64 v40, null, 0, v40, vcc_lo
	global_load_dword v3, v[39:40], off
	s_waitcnt vmcnt(0)
	v_xor_b32_e32 v3, 0x7fffffff, v3
.LBB530_146:                            ;   in Loop: Header=BB530_108 Depth=2
	s_or_b32 exec_lo, exec_lo, s25
	s_waitcnt vmcnt(15)
	v_xor_b32_e32 v153, 0x7fffffff, v153
	ds_write2_b32 v68, v4, v4 offset0:136 offset1:137
	ds_write2_b32 v68, v4, v4 offset0:138 offset1:139
	ds_write_b32 v68, v4 offset:560
	s_waitcnt vmcnt(0) lgkmcnt(0)
	s_barrier
	v_lshrrev_b32_e32 v39, s61, v153
	buffer_gl0_inv
	; wave barrier
	v_and_b32_e32 v40, s62, v39
	v_and_b32_e32 v39, 1, v40
	v_lshlrev_b32_e32 v155, 30, v40
	v_lshlrev_b32_e32 v156, 29, v40
	;; [unrolled: 1-line block ×4, first 2 shown]
	v_add_co_u32 v39, s23, v39, -1
	v_cndmask_b32_e64 v158, 0, 1, s23
	v_not_b32_e32 v163, v155
	v_cmp_gt_i32_e64 s23, 0, v155
	v_not_b32_e32 v155, v156
	v_lshlrev_b32_e32 v162, 26, v40
	v_cmp_ne_u32_e32 vcc_lo, 0, v158
	v_ashrrev_i32_e32 v163, 31, v163
	v_lshlrev_b32_e32 v158, 25, v40
	v_ashrrev_i32_e32 v155, 31, v155
	v_mul_u32_u24_e32 v40, 36, v40
	v_xor_b32_e32 v39, vcc_lo, v39
	v_cmp_gt_i32_e32 vcc_lo, 0, v156
	v_not_b32_e32 v156, v159
	v_xor_b32_e32 v163, s23, v163
	v_cmp_gt_i32_e64 s23, 0, v159
	v_and_b32_e32 v39, exec_lo, v39
	v_not_b32_e32 v159, v160
	v_ashrrev_i32_e32 v156, 31, v156
	v_xor_b32_e32 v155, vcc_lo, v155
	v_cmp_gt_i32_e32 vcc_lo, 0, v160
	v_and_b32_e32 v39, v39, v163
	v_not_b32_e32 v160, v162
	v_ashrrev_i32_e32 v159, 31, v159
	v_xor_b32_e32 v156, s23, v156
	v_cmp_gt_i32_e64 s23, 0, v162
	v_and_b32_e32 v39, v39, v155
	v_not_b32_e32 v155, v158
	v_ashrrev_i32_e32 v160, 31, v160
	v_xor_b32_e32 v159, vcc_lo, v159
	v_cmp_gt_i32_e32 vcc_lo, 0, v158
	v_and_b32_e32 v39, v39, v156
	v_ashrrev_i32_e32 v155, 31, v155
	v_xor_b32_e32 v156, s23, v160
	v_and_b32_e32 v39, v39, v159
	v_xor_b32_e32 v155, vcc_lo, v155
	v_and_b32_e32 v39, v39, v156
	v_add_nc_u32_e32 v156, v132, v40
	v_and_b32_e32 v39, v39, v155
	v_mbcnt_lo_u32_b32 v155, v39, 0
	v_cmp_ne_u32_e64 s23, 0, v39
	v_cmp_eq_u32_e32 vcc_lo, 0, v155
	s_and_b32 s24, s23, vcc_lo
	s_and_saveexec_b32 s23, s24
; %bb.147:                              ;   in Loop: Header=BB530_108 Depth=2
	v_bcnt_u32_b32 v39, v39, 0
	ds_write_b32 v156, v39 offset:544
; %bb.148:                              ;   in Loop: Header=BB530_108 Depth=2
	s_or_b32 exec_lo, exec_lo, s23
	v_xor_b32_e32 v154, 0x7fffffff, v154
	; wave barrier
	v_lshrrev_b32_e32 v39, s61, v154
	v_and_b32_e32 v40, s62, v39
	v_and_b32_e32 v39, 1, v40
	v_lshlrev_b32_e32 v158, 30, v40
	v_lshlrev_b32_e32 v159, 29, v40
	v_lshlrev_b32_e32 v162, 28, v40
	v_lshlrev_b32_e32 v163, 27, v40
	v_add_co_u32 v39, s23, v39, -1
	v_cndmask_b32_e64 v160, 0, 1, s23
	v_not_b32_e32 v167, v158
	v_cmp_gt_i32_e64 s23, 0, v158
	v_not_b32_e32 v158, v159
	v_lshlrev_b32_e32 v164, 26, v40
	v_cmp_ne_u32_e32 vcc_lo, 0, v160
	v_ashrrev_i32_e32 v167, 31, v167
	v_lshlrev_b32_e32 v160, 25, v40
	v_ashrrev_i32_e32 v158, 31, v158
	v_xor_b32_e32 v39, vcc_lo, v39
	v_cmp_gt_i32_e32 vcc_lo, 0, v159
	v_not_b32_e32 v159, v162
	v_xor_b32_e32 v167, s23, v167
	v_cmp_gt_i32_e64 s23, 0, v162
	v_and_b32_e32 v39, exec_lo, v39
	v_not_b32_e32 v162, v163
	v_ashrrev_i32_e32 v159, 31, v159
	v_xor_b32_e32 v158, vcc_lo, v158
	v_cmp_gt_i32_e32 vcc_lo, 0, v163
	v_and_b32_e32 v39, v39, v167
	v_not_b32_e32 v163, v164
	v_ashrrev_i32_e32 v162, 31, v162
	v_xor_b32_e32 v159, s23, v159
	v_cmp_gt_i32_e64 s23, 0, v164
	v_and_b32_e32 v39, v39, v158
	v_not_b32_e32 v158, v160
	v_ashrrev_i32_e32 v163, 31, v163
	v_xor_b32_e32 v162, vcc_lo, v162
	v_cmp_gt_i32_e32 vcc_lo, 0, v160
	v_and_b32_e32 v39, v39, v159
	v_ashrrev_i32_e32 v158, 31, v158
	v_xor_b32_e32 v159, s23, v163
	v_mad_u32_u24 v160, v40, 36, v132
	v_mul_u32_u24_e32 v40, 36, v40
	v_and_b32_e32 v39, v39, v162
	v_xor_b32_e32 v162, vcc_lo, v158
	ds_read_b32 v158, v160 offset:544
	v_add_nc_u32_e32 v160, v132, v40
	v_and_b32_e32 v39, v39, v159
	; wave barrier
	v_and_b32_e32 v39, v39, v162
	v_mbcnt_lo_u32_b32 v159, v39, 0
	v_cmp_ne_u32_e64 s23, 0, v39
	v_cmp_eq_u32_e32 vcc_lo, 0, v159
	s_and_b32 s24, s23, vcc_lo
	s_and_saveexec_b32 s23, s24
	s_cbranch_execz .LBB530_150
; %bb.149:                              ;   in Loop: Header=BB530_108 Depth=2
	s_waitcnt lgkmcnt(0)
	v_bcnt_u32_b32 v39, v39, v158
	ds_write_b32 v160, v39 offset:544
.LBB530_150:                            ;   in Loop: Header=BB530_108 Depth=2
	s_or_b32 exec_lo, exec_lo, s23
	v_xor_b32_e32 v157, 0x7fffffff, v157
	; wave barrier
	v_lshrrev_b32_e32 v39, s61, v157
	v_and_b32_e32 v40, s62, v39
	v_and_b32_e32 v39, 1, v40
	v_lshlrev_b32_e32 v162, 30, v40
	v_lshlrev_b32_e32 v163, 29, v40
	v_lshlrev_b32_e32 v167, 28, v40
	v_lshlrev_b32_e32 v168, 27, v40
	v_add_co_u32 v39, s23, v39, -1
	v_cndmask_b32_e64 v164, 0, 1, s23
	v_not_b32_e32 v172, v162
	v_cmp_gt_i32_e64 s23, 0, v162
	v_not_b32_e32 v162, v163
	v_lshlrev_b32_e32 v169, 26, v40
	v_cmp_ne_u32_e32 vcc_lo, 0, v164
	v_ashrrev_i32_e32 v172, 31, v172
	v_lshlrev_b32_e32 v164, 25, v40
	v_ashrrev_i32_e32 v162, 31, v162
	v_xor_b32_e32 v39, vcc_lo, v39
	v_cmp_gt_i32_e32 vcc_lo, 0, v163
	v_not_b32_e32 v163, v167
	v_xor_b32_e32 v172, s23, v172
	v_cmp_gt_i32_e64 s23, 0, v167
	v_and_b32_e32 v39, exec_lo, v39
	v_not_b32_e32 v167, v168
	v_ashrrev_i32_e32 v163, 31, v163
	v_xor_b32_e32 v162, vcc_lo, v162
	v_cmp_gt_i32_e32 vcc_lo, 0, v168
	v_and_b32_e32 v39, v39, v172
	v_not_b32_e32 v168, v169
	v_ashrrev_i32_e32 v167, 31, v167
	v_xor_b32_e32 v163, s23, v163
	v_cmp_gt_i32_e64 s23, 0, v169
	v_and_b32_e32 v39, v39, v162
	v_not_b32_e32 v162, v164
	v_ashrrev_i32_e32 v168, 31, v168
	v_xor_b32_e32 v167, vcc_lo, v167
	v_cmp_gt_i32_e32 vcc_lo, 0, v164
	v_and_b32_e32 v39, v39, v163
	v_ashrrev_i32_e32 v162, 31, v162
	v_xor_b32_e32 v163, s23, v168
	v_mad_u32_u24 v164, v40, 36, v132
	v_mul_u32_u24_e32 v40, 36, v40
	v_and_b32_e32 v39, v39, v167
	v_xor_b32_e32 v167, vcc_lo, v162
	ds_read_b32 v162, v164 offset:544
	v_add_nc_u32_e32 v164, v132, v40
	v_and_b32_e32 v39, v39, v163
	; wave barrier
	v_and_b32_e32 v39, v39, v167
	v_mbcnt_lo_u32_b32 v163, v39, 0
	v_cmp_ne_u32_e64 s23, 0, v39
	v_cmp_eq_u32_e32 vcc_lo, 0, v163
	s_and_b32 s24, s23, vcc_lo
	s_and_saveexec_b32 s23, s24
	s_cbranch_execz .LBB530_152
; %bb.151:                              ;   in Loop: Header=BB530_108 Depth=2
	s_waitcnt lgkmcnt(0)
	v_bcnt_u32_b32 v39, v39, v162
	ds_write_b32 v164, v39 offset:544
.LBB530_152:                            ;   in Loop: Header=BB530_108 Depth=2
	s_or_b32 exec_lo, exec_lo, s23
	v_xor_b32_e32 v161, 0x7fffffff, v161
	; wave barrier
	v_lshrrev_b32_e32 v39, s61, v161
	v_and_b32_e32 v40, s62, v39
	v_and_b32_e32 v39, 1, v40
	v_lshlrev_b32_e32 v167, 30, v40
	v_lshlrev_b32_e32 v168, 29, v40
	v_lshlrev_b32_e32 v172, 28, v40
	v_lshlrev_b32_e32 v173, 27, v40
	v_add_co_u32 v39, s23, v39, -1
	v_cndmask_b32_e64 v169, 0, 1, s23
	v_not_b32_e32 v177, v167
	v_cmp_gt_i32_e64 s23, 0, v167
	v_not_b32_e32 v167, v168
	v_lshlrev_b32_e32 v175, 26, v40
	v_cmp_ne_u32_e32 vcc_lo, 0, v169
	v_ashrrev_i32_e32 v177, 31, v177
	v_lshlrev_b32_e32 v169, 25, v40
	v_ashrrev_i32_e32 v167, 31, v167
	v_xor_b32_e32 v39, vcc_lo, v39
	v_cmp_gt_i32_e32 vcc_lo, 0, v168
	v_not_b32_e32 v168, v172
	v_xor_b32_e32 v177, s23, v177
	v_cmp_gt_i32_e64 s23, 0, v172
	v_and_b32_e32 v39, exec_lo, v39
	v_not_b32_e32 v172, v173
	v_ashrrev_i32_e32 v168, 31, v168
	v_xor_b32_e32 v167, vcc_lo, v167
	v_cmp_gt_i32_e32 vcc_lo, 0, v173
	v_and_b32_e32 v39, v39, v177
	v_not_b32_e32 v173, v175
	v_ashrrev_i32_e32 v172, 31, v172
	v_xor_b32_e32 v168, s23, v168
	v_cmp_gt_i32_e64 s23, 0, v175
	v_and_b32_e32 v39, v39, v167
	v_not_b32_e32 v167, v169
	v_ashrrev_i32_e32 v173, 31, v173
	v_xor_b32_e32 v172, vcc_lo, v172
	v_cmp_gt_i32_e32 vcc_lo, 0, v169
	v_and_b32_e32 v39, v39, v168
	v_ashrrev_i32_e32 v167, 31, v167
	v_xor_b32_e32 v168, s23, v173
	v_mad_u32_u24 v169, v40, 36, v132
	v_mul_u32_u24_e32 v40, 36, v40
	v_and_b32_e32 v39, v39, v172
	v_xor_b32_e32 v172, vcc_lo, v167
	ds_read_b32 v167, v169 offset:544
	v_add_nc_u32_e32 v169, v132, v40
	v_and_b32_e32 v39, v39, v168
	; wave barrier
	v_and_b32_e32 v39, v39, v172
	v_mbcnt_lo_u32_b32 v168, v39, 0
	v_cmp_ne_u32_e64 s23, 0, v39
	v_cmp_eq_u32_e32 vcc_lo, 0, v168
	s_and_b32 s24, s23, vcc_lo
	s_and_saveexec_b32 s23, s24
	s_cbranch_execz .LBB530_154
; %bb.153:                              ;   in Loop: Header=BB530_108 Depth=2
	s_waitcnt lgkmcnt(0)
	v_bcnt_u32_b32 v39, v39, v167
	ds_write_b32 v169, v39 offset:544
.LBB530_154:                            ;   in Loop: Header=BB530_108 Depth=2
	s_or_b32 exec_lo, exec_lo, s23
	v_xor_b32_e32 v166, 0x7fffffff, v166
	; wave barrier
	v_lshrrev_b32_e32 v39, s61, v166
	v_and_b32_e32 v40, s62, v39
	v_and_b32_e32 v39, 1, v40
	v_lshlrev_b32_e32 v172, 30, v40
	v_lshlrev_b32_e32 v173, 29, v40
	v_lshlrev_b32_e32 v177, 28, v40
	v_lshlrev_b32_e32 v178, 27, v40
	v_add_co_u32 v39, s23, v39, -1
	v_cndmask_b32_e64 v175, 0, 1, s23
	v_not_b32_e32 v182, v172
	v_cmp_gt_i32_e64 s23, 0, v172
	v_not_b32_e32 v172, v173
	v_lshlrev_b32_e32 v180, 26, v40
	v_cmp_ne_u32_e32 vcc_lo, 0, v175
	v_ashrrev_i32_e32 v182, 31, v182
	v_lshlrev_b32_e32 v175, 25, v40
	v_ashrrev_i32_e32 v172, 31, v172
	v_xor_b32_e32 v39, vcc_lo, v39
	v_cmp_gt_i32_e32 vcc_lo, 0, v173
	v_not_b32_e32 v173, v177
	v_xor_b32_e32 v182, s23, v182
	v_cmp_gt_i32_e64 s23, 0, v177
	v_and_b32_e32 v39, exec_lo, v39
	v_not_b32_e32 v177, v178
	v_ashrrev_i32_e32 v173, 31, v173
	v_xor_b32_e32 v172, vcc_lo, v172
	v_cmp_gt_i32_e32 vcc_lo, 0, v178
	v_and_b32_e32 v39, v39, v182
	v_not_b32_e32 v178, v180
	v_ashrrev_i32_e32 v177, 31, v177
	v_xor_b32_e32 v173, s23, v173
	v_cmp_gt_i32_e64 s23, 0, v180
	v_and_b32_e32 v39, v39, v172
	v_not_b32_e32 v172, v175
	v_ashrrev_i32_e32 v178, 31, v178
	v_xor_b32_e32 v177, vcc_lo, v177
	v_cmp_gt_i32_e32 vcc_lo, 0, v175
	v_and_b32_e32 v39, v39, v173
	v_ashrrev_i32_e32 v172, 31, v172
	v_xor_b32_e32 v173, s23, v178
	v_mad_u32_u24 v175, v40, 36, v132
	v_mul_u32_u24_e32 v40, 36, v40
	v_and_b32_e32 v39, v39, v177
	v_xor_b32_e32 v177, vcc_lo, v172
	ds_read_b32 v172, v175 offset:544
	v_add_nc_u32_e32 v175, v132, v40
	v_and_b32_e32 v39, v39, v173
	; wave barrier
	v_and_b32_e32 v39, v39, v177
	v_mbcnt_lo_u32_b32 v173, v39, 0
	v_cmp_ne_u32_e64 s23, 0, v39
	v_cmp_eq_u32_e32 vcc_lo, 0, v173
	s_and_b32 s24, s23, vcc_lo
	s_and_saveexec_b32 s23, s24
	s_cbranch_execz .LBB530_156
; %bb.155:                              ;   in Loop: Header=BB530_108 Depth=2
	s_waitcnt lgkmcnt(0)
	v_bcnt_u32_b32 v39, v39, v172
	ds_write_b32 v175, v39 offset:544
.LBB530_156:                            ;   in Loop: Header=BB530_108 Depth=2
	s_or_b32 exec_lo, exec_lo, s23
	v_xor_b32_e32 v171, 0x7fffffff, v171
	; wave barrier
	v_lshrrev_b32_e32 v39, s61, v171
	v_and_b32_e32 v40, s62, v39
	v_and_b32_e32 v39, 1, v40
	v_lshlrev_b32_e32 v177, 30, v40
	v_lshlrev_b32_e32 v178, 29, v40
	v_lshlrev_b32_e32 v182, 28, v40
	v_lshlrev_b32_e32 v183, 27, v40
	v_add_co_u32 v39, s23, v39, -1
	v_cndmask_b32_e64 v180, 0, 1, s23
	v_not_b32_e32 v187, v177
	v_cmp_gt_i32_e64 s23, 0, v177
	v_not_b32_e32 v177, v178
	v_lshlrev_b32_e32 v185, 26, v40
	v_cmp_ne_u32_e32 vcc_lo, 0, v180
	v_ashrrev_i32_e32 v187, 31, v187
	v_lshlrev_b32_e32 v180, 25, v40
	v_ashrrev_i32_e32 v177, 31, v177
	v_xor_b32_e32 v39, vcc_lo, v39
	v_cmp_gt_i32_e32 vcc_lo, 0, v178
	v_not_b32_e32 v178, v182
	v_xor_b32_e32 v187, s23, v187
	v_cmp_gt_i32_e64 s23, 0, v182
	v_and_b32_e32 v39, exec_lo, v39
	v_not_b32_e32 v182, v183
	v_ashrrev_i32_e32 v178, 31, v178
	v_xor_b32_e32 v177, vcc_lo, v177
	v_cmp_gt_i32_e32 vcc_lo, 0, v183
	v_and_b32_e32 v39, v39, v187
	v_not_b32_e32 v183, v185
	v_ashrrev_i32_e32 v182, 31, v182
	v_xor_b32_e32 v178, s23, v178
	v_cmp_gt_i32_e64 s23, 0, v185
	v_and_b32_e32 v39, v39, v177
	v_not_b32_e32 v177, v180
	v_ashrrev_i32_e32 v183, 31, v183
	v_xor_b32_e32 v182, vcc_lo, v182
	v_cmp_gt_i32_e32 vcc_lo, 0, v180
	v_and_b32_e32 v39, v39, v178
	v_ashrrev_i32_e32 v177, 31, v177
	v_xor_b32_e32 v178, s23, v183
	v_mad_u32_u24 v180, v40, 36, v132
	v_mul_u32_u24_e32 v40, 36, v40
	v_and_b32_e32 v39, v39, v182
	v_xor_b32_e32 v182, vcc_lo, v177
	ds_read_b32 v177, v180 offset:544
	v_add_nc_u32_e32 v180, v132, v40
	v_and_b32_e32 v39, v39, v178
	; wave barrier
	v_and_b32_e32 v39, v39, v182
	v_mbcnt_lo_u32_b32 v178, v39, 0
	v_cmp_ne_u32_e64 s23, 0, v39
	v_cmp_eq_u32_e32 vcc_lo, 0, v178
	s_and_b32 s24, s23, vcc_lo
	s_and_saveexec_b32 s23, s24
	s_cbranch_execz .LBB530_158
; %bb.157:                              ;   in Loop: Header=BB530_108 Depth=2
	s_waitcnt lgkmcnt(0)
	v_bcnt_u32_b32 v39, v39, v177
	ds_write_b32 v180, v39 offset:544
.LBB530_158:                            ;   in Loop: Header=BB530_108 Depth=2
	s_or_b32 exec_lo, exec_lo, s23
	v_xor_b32_e32 v176, 0x7fffffff, v176
	; wave barrier
	v_lshrrev_b32_e32 v39, s61, v176
	v_and_b32_e32 v40, s62, v39
	v_and_b32_e32 v39, 1, v40
	v_lshlrev_b32_e32 v182, 30, v40
	v_lshlrev_b32_e32 v183, 29, v40
	v_lshlrev_b32_e32 v187, 28, v40
	v_lshlrev_b32_e32 v188, 27, v40
	v_add_co_u32 v39, s23, v39, -1
	v_cndmask_b32_e64 v185, 0, 1, s23
	v_not_b32_e32 v190, v182
	v_cmp_gt_i32_e64 s23, 0, v182
	v_not_b32_e32 v182, v183
	v_lshlrev_b32_e32 v189, 26, v40
	v_cmp_ne_u32_e32 vcc_lo, 0, v185
	v_ashrrev_i32_e32 v190, 31, v190
	v_lshlrev_b32_e32 v185, 25, v40
	v_ashrrev_i32_e32 v182, 31, v182
	v_xor_b32_e32 v39, vcc_lo, v39
	v_cmp_gt_i32_e32 vcc_lo, 0, v183
	v_not_b32_e32 v183, v187
	v_xor_b32_e32 v190, s23, v190
	v_cmp_gt_i32_e64 s23, 0, v187
	v_and_b32_e32 v39, exec_lo, v39
	v_not_b32_e32 v187, v188
	v_ashrrev_i32_e32 v183, 31, v183
	v_xor_b32_e32 v182, vcc_lo, v182
	v_cmp_gt_i32_e32 vcc_lo, 0, v188
	v_and_b32_e32 v39, v39, v190
	v_not_b32_e32 v188, v189
	v_ashrrev_i32_e32 v187, 31, v187
	v_xor_b32_e32 v183, s23, v183
	v_cmp_gt_i32_e64 s23, 0, v189
	v_and_b32_e32 v39, v39, v182
	v_not_b32_e32 v182, v185
	v_ashrrev_i32_e32 v188, 31, v188
	v_xor_b32_e32 v187, vcc_lo, v187
	v_cmp_gt_i32_e32 vcc_lo, 0, v185
	v_and_b32_e32 v39, v39, v183
	v_ashrrev_i32_e32 v182, 31, v182
	v_xor_b32_e32 v183, s23, v188
	v_mad_u32_u24 v185, v40, 36, v132
	v_mul_u32_u24_e32 v40, 36, v40
	v_and_b32_e32 v39, v39, v187
	v_xor_b32_e32 v187, vcc_lo, v182
	ds_read_b32 v182, v185 offset:544
	v_add_nc_u32_e32 v185, v132, v40
	v_and_b32_e32 v39, v39, v183
	; wave barrier
	v_and_b32_e32 v39, v39, v187
	v_mbcnt_lo_u32_b32 v183, v39, 0
	v_cmp_ne_u32_e64 s23, 0, v39
	v_cmp_eq_u32_e32 vcc_lo, 0, v183
	s_and_b32 s24, s23, vcc_lo
	s_and_saveexec_b32 s23, s24
	s_cbranch_execz .LBB530_160
; %bb.159:                              ;   in Loop: Header=BB530_108 Depth=2
	s_waitcnt lgkmcnt(0)
	v_bcnt_u32_b32 v39, v39, v182
	ds_write_b32 v185, v39 offset:544
.LBB530_160:                            ;   in Loop: Header=BB530_108 Depth=2
	s_or_b32 exec_lo, exec_lo, s23
	v_xor_b32_e32 v181, 0x7fffffff, v181
	; wave barrier
	v_lshrrev_b32_e32 v39, s61, v181
	v_and_b32_e32 v40, s62, v39
	v_and_b32_e32 v39, 1, v40
	v_lshlrev_b32_e32 v187, 30, v40
	v_lshlrev_b32_e32 v188, 29, v40
	v_lshlrev_b32_e32 v190, 28, v40
	v_lshlrev_b32_e32 v191, 27, v40
	v_add_co_u32 v39, s23, v39, -1
	v_cndmask_b32_e64 v189, 0, 1, s23
	v_not_b32_e32 v193, v187
	v_cmp_gt_i32_e64 s23, 0, v187
	v_not_b32_e32 v187, v188
	v_lshlrev_b32_e32 v192, 26, v40
	v_cmp_ne_u32_e32 vcc_lo, 0, v189
	v_ashrrev_i32_e32 v193, 31, v193
	v_lshlrev_b32_e32 v189, 25, v40
	v_ashrrev_i32_e32 v187, 31, v187
	v_xor_b32_e32 v39, vcc_lo, v39
	v_cmp_gt_i32_e32 vcc_lo, 0, v188
	v_not_b32_e32 v188, v190
	v_xor_b32_e32 v193, s23, v193
	v_cmp_gt_i32_e64 s23, 0, v190
	v_and_b32_e32 v39, exec_lo, v39
	v_not_b32_e32 v190, v191
	v_ashrrev_i32_e32 v188, 31, v188
	v_xor_b32_e32 v187, vcc_lo, v187
	v_cmp_gt_i32_e32 vcc_lo, 0, v191
	v_and_b32_e32 v39, v39, v193
	v_not_b32_e32 v191, v192
	v_ashrrev_i32_e32 v190, 31, v190
	v_xor_b32_e32 v188, s23, v188
	v_cmp_gt_i32_e64 s23, 0, v192
	v_and_b32_e32 v39, v39, v187
	v_not_b32_e32 v187, v189
	v_ashrrev_i32_e32 v191, 31, v191
	v_xor_b32_e32 v190, vcc_lo, v190
	v_cmp_gt_i32_e32 vcc_lo, 0, v189
	v_and_b32_e32 v39, v39, v188
	v_ashrrev_i32_e32 v187, 31, v187
	v_xor_b32_e32 v188, s23, v191
	v_mad_u32_u24 v189, v40, 36, v132
	v_mul_u32_u24_e32 v40, 36, v40
	v_and_b32_e32 v39, v39, v190
	v_xor_b32_e32 v190, vcc_lo, v187
	ds_read_b32 v187, v189 offset:544
	v_add_nc_u32_e32 v189, v132, v40
	v_and_b32_e32 v39, v39, v188
	; wave barrier
	v_and_b32_e32 v39, v39, v190
	v_mbcnt_lo_u32_b32 v188, v39, 0
	v_cmp_ne_u32_e64 s23, 0, v39
	v_cmp_eq_u32_e32 vcc_lo, 0, v188
	s_and_b32 s24, s23, vcc_lo
	s_and_saveexec_b32 s23, s24
	s_cbranch_execz .LBB530_162
; %bb.161:                              ;   in Loop: Header=BB530_108 Depth=2
	s_waitcnt lgkmcnt(0)
	v_bcnt_u32_b32 v39, v39, v187
	ds_write_b32 v189, v39 offset:544
.LBB530_162:                            ;   in Loop: Header=BB530_108 Depth=2
	s_or_b32 exec_lo, exec_lo, s23
	v_xor_b32_e32 v186, 0x7fffffff, v186
	; wave barrier
	v_lshrrev_b32_e32 v39, s61, v186
	v_and_b32_e32 v40, s62, v39
	v_and_b32_e32 v39, 1, v40
	v_lshlrev_b32_e32 v190, 30, v40
	v_lshlrev_b32_e32 v191, 29, v40
	v_lshlrev_b32_e32 v193, 28, v40
	v_lshlrev_b32_e32 v194, 27, v40
	v_add_co_u32 v39, s23, v39, -1
	v_cndmask_b32_e64 v192, 0, 1, s23
	v_not_b32_e32 v196, v190
	v_cmp_gt_i32_e64 s23, 0, v190
	v_not_b32_e32 v190, v191
	v_lshlrev_b32_e32 v195, 26, v40
	v_cmp_ne_u32_e32 vcc_lo, 0, v192
	v_ashrrev_i32_e32 v196, 31, v196
	v_lshlrev_b32_e32 v192, 25, v40
	v_ashrrev_i32_e32 v190, 31, v190
	v_xor_b32_e32 v39, vcc_lo, v39
	v_cmp_gt_i32_e32 vcc_lo, 0, v191
	v_not_b32_e32 v191, v193
	v_xor_b32_e32 v196, s23, v196
	v_cmp_gt_i32_e64 s23, 0, v193
	v_and_b32_e32 v39, exec_lo, v39
	v_not_b32_e32 v193, v194
	v_ashrrev_i32_e32 v191, 31, v191
	v_xor_b32_e32 v190, vcc_lo, v190
	v_cmp_gt_i32_e32 vcc_lo, 0, v194
	v_and_b32_e32 v39, v39, v196
	v_not_b32_e32 v194, v195
	v_ashrrev_i32_e32 v193, 31, v193
	v_xor_b32_e32 v191, s23, v191
	v_cmp_gt_i32_e64 s23, 0, v195
	v_and_b32_e32 v39, v39, v190
	v_not_b32_e32 v190, v192
	v_ashrrev_i32_e32 v194, 31, v194
	v_xor_b32_e32 v193, vcc_lo, v193
	v_cmp_gt_i32_e32 vcc_lo, 0, v192
	v_and_b32_e32 v39, v39, v191
	v_ashrrev_i32_e32 v190, 31, v190
	v_xor_b32_e32 v191, s23, v194
	v_mad_u32_u24 v192, v40, 36, v132
	v_mul_u32_u24_e32 v40, 36, v40
	v_and_b32_e32 v39, v39, v193
	v_xor_b32_e32 v193, vcc_lo, v190
	ds_read_b32 v190, v192 offset:544
	v_add_nc_u32_e32 v192, v132, v40
	v_and_b32_e32 v39, v39, v191
	; wave barrier
	v_and_b32_e32 v39, v39, v193
	v_mbcnt_lo_u32_b32 v191, v39, 0
	v_cmp_ne_u32_e64 s23, 0, v39
	v_cmp_eq_u32_e32 vcc_lo, 0, v191
	s_and_b32 s24, s23, vcc_lo
	s_and_saveexec_b32 s23, s24
	s_cbranch_execz .LBB530_164
; %bb.163:                              ;   in Loop: Header=BB530_108 Depth=2
	s_waitcnt lgkmcnt(0)
	v_bcnt_u32_b32 v39, v39, v190
	ds_write_b32 v192, v39 offset:544
.LBB530_164:                            ;   in Loop: Header=BB530_108 Depth=2
	s_or_b32 exec_lo, exec_lo, s23
	v_xor_b32_e32 v184, 0x7fffffff, v184
	; wave barrier
	v_lshrrev_b32_e32 v39, s61, v184
	v_and_b32_e32 v40, s62, v39
	v_and_b32_e32 v39, 1, v40
	v_lshlrev_b32_e32 v193, 30, v40
	v_lshlrev_b32_e32 v194, 29, v40
	v_lshlrev_b32_e32 v196, 28, v40
	v_lshlrev_b32_e32 v197, 27, v40
	v_add_co_u32 v39, s23, v39, -1
	v_cndmask_b32_e64 v195, 0, 1, s23
	v_not_b32_e32 v199, v193
	v_cmp_gt_i32_e64 s23, 0, v193
	v_not_b32_e32 v193, v194
	v_lshlrev_b32_e32 v198, 26, v40
	v_cmp_ne_u32_e32 vcc_lo, 0, v195
	v_ashrrev_i32_e32 v199, 31, v199
	v_lshlrev_b32_e32 v195, 25, v40
	v_ashrrev_i32_e32 v193, 31, v193
	v_xor_b32_e32 v39, vcc_lo, v39
	v_cmp_gt_i32_e32 vcc_lo, 0, v194
	v_not_b32_e32 v194, v196
	v_xor_b32_e32 v199, s23, v199
	v_cmp_gt_i32_e64 s23, 0, v196
	v_and_b32_e32 v39, exec_lo, v39
	v_not_b32_e32 v196, v197
	v_ashrrev_i32_e32 v194, 31, v194
	v_xor_b32_e32 v193, vcc_lo, v193
	v_cmp_gt_i32_e32 vcc_lo, 0, v197
	v_and_b32_e32 v39, v39, v199
	v_not_b32_e32 v197, v198
	v_ashrrev_i32_e32 v196, 31, v196
	v_xor_b32_e32 v194, s23, v194
	v_cmp_gt_i32_e64 s23, 0, v198
	v_and_b32_e32 v39, v39, v193
	v_not_b32_e32 v193, v195
	v_ashrrev_i32_e32 v197, 31, v197
	v_xor_b32_e32 v196, vcc_lo, v196
	v_cmp_gt_i32_e32 vcc_lo, 0, v195
	v_and_b32_e32 v39, v39, v194
	v_ashrrev_i32_e32 v193, 31, v193
	v_xor_b32_e32 v194, s23, v197
	v_mad_u32_u24 v195, v40, 36, v132
	v_mul_u32_u24_e32 v40, 36, v40
	v_and_b32_e32 v39, v39, v196
	v_xor_b32_e32 v196, vcc_lo, v193
	ds_read_b32 v193, v195 offset:544
	v_add_nc_u32_e32 v195, v132, v40
	v_and_b32_e32 v39, v39, v194
	; wave barrier
	v_and_b32_e32 v39, v39, v196
	v_mbcnt_lo_u32_b32 v194, v39, 0
	v_cmp_ne_u32_e64 s23, 0, v39
	v_cmp_eq_u32_e32 vcc_lo, 0, v194
	s_and_b32 s24, s23, vcc_lo
	s_and_saveexec_b32 s23, s24
	s_cbranch_execz .LBB530_166
; %bb.165:                              ;   in Loop: Header=BB530_108 Depth=2
	s_waitcnt lgkmcnt(0)
	v_bcnt_u32_b32 v39, v39, v193
	ds_write_b32 v195, v39 offset:544
.LBB530_166:                            ;   in Loop: Header=BB530_108 Depth=2
	s_or_b32 exec_lo, exec_lo, s23
	v_xor_b32_e32 v179, 0x7fffffff, v179
	; wave barrier
	v_lshrrev_b32_e32 v39, s61, v179
	v_and_b32_e32 v40, s62, v39
	v_and_b32_e32 v39, 1, v40
	v_lshlrev_b32_e32 v196, 30, v40
	v_lshlrev_b32_e32 v197, 29, v40
	;; [unrolled: 1-line block ×4, first 2 shown]
	v_add_co_u32 v39, s23, v39, -1
	v_cndmask_b32_e64 v198, 0, 1, s23
	v_not_b32_e32 v202, v196
	v_cmp_gt_i32_e64 s23, 0, v196
	v_not_b32_e32 v196, v197
	v_lshlrev_b32_e32 v201, 26, v40
	v_cmp_ne_u32_e32 vcc_lo, 0, v198
	v_ashrrev_i32_e32 v202, 31, v202
	v_lshlrev_b32_e32 v198, 25, v40
	v_ashrrev_i32_e32 v196, 31, v196
	v_xor_b32_e32 v39, vcc_lo, v39
	v_cmp_gt_i32_e32 vcc_lo, 0, v197
	v_not_b32_e32 v197, v199
	v_xor_b32_e32 v202, s23, v202
	v_cmp_gt_i32_e64 s23, 0, v199
	v_and_b32_e32 v39, exec_lo, v39
	v_not_b32_e32 v199, v200
	v_ashrrev_i32_e32 v197, 31, v197
	v_xor_b32_e32 v196, vcc_lo, v196
	v_cmp_gt_i32_e32 vcc_lo, 0, v200
	v_and_b32_e32 v39, v39, v202
	v_not_b32_e32 v200, v201
	v_ashrrev_i32_e32 v199, 31, v199
	v_xor_b32_e32 v197, s23, v197
	v_cmp_gt_i32_e64 s23, 0, v201
	v_and_b32_e32 v39, v39, v196
	v_not_b32_e32 v196, v198
	v_ashrrev_i32_e32 v200, 31, v200
	v_xor_b32_e32 v199, vcc_lo, v199
	v_cmp_gt_i32_e32 vcc_lo, 0, v198
	v_and_b32_e32 v39, v39, v197
	v_ashrrev_i32_e32 v196, 31, v196
	v_xor_b32_e32 v197, s23, v200
	v_mad_u32_u24 v198, v40, 36, v132
	v_mul_u32_u24_e32 v40, 36, v40
	v_and_b32_e32 v39, v39, v199
	v_xor_b32_e32 v196, vcc_lo, v196
	v_add_nc_u32_e32 v199, v132, v40
	v_and_b32_e32 v39, v39, v197
	ds_read_b32 v197, v198 offset:544
	; wave barrier
	v_and_b32_e32 v39, v39, v196
	v_mbcnt_lo_u32_b32 v198, v39, 0
	v_cmp_ne_u32_e64 s23, 0, v39
	v_cmp_eq_u32_e32 vcc_lo, 0, v198
	s_and_b32 s24, s23, vcc_lo
	s_and_saveexec_b32 s23, s24
	s_cbranch_execz .LBB530_168
; %bb.167:                              ;   in Loop: Header=BB530_108 Depth=2
	s_waitcnt lgkmcnt(0)
	v_bcnt_u32_b32 v39, v39, v197
	ds_write_b32 v199, v39 offset:544
.LBB530_168:                            ;   in Loop: Header=BB530_108 Depth=2
	s_or_b32 exec_lo, exec_lo, s23
	v_xor_b32_e32 v196, 0x7fffffff, v174
	; wave barrier
	v_lshrrev_b32_e32 v39, s61, v196
	v_and_b32_e32 v40, s62, v39
	v_and_b32_e32 v39, 1, v40
	v_lshlrev_b32_e32 v174, 30, v40
	v_lshlrev_b32_e32 v200, 29, v40
	v_lshlrev_b32_e32 v202, 28, v40
	v_lshlrev_b32_e32 v203, 27, v40
	v_add_co_u32 v39, s23, v39, -1
	v_cndmask_b32_e64 v201, 0, 1, s23
	v_not_b32_e32 v205, v174
	v_cmp_gt_i32_e64 s23, 0, v174
	v_not_b32_e32 v174, v200
	v_lshlrev_b32_e32 v204, 26, v40
	v_cmp_ne_u32_e32 vcc_lo, 0, v201
	v_ashrrev_i32_e32 v205, 31, v205
	v_lshlrev_b32_e32 v201, 25, v40
	v_ashrrev_i32_e32 v174, 31, v174
	v_xor_b32_e32 v39, vcc_lo, v39
	v_cmp_gt_i32_e32 vcc_lo, 0, v200
	v_not_b32_e32 v200, v202
	v_xor_b32_e32 v205, s23, v205
	v_cmp_gt_i32_e64 s23, 0, v202
	v_and_b32_e32 v39, exec_lo, v39
	v_not_b32_e32 v202, v203
	v_ashrrev_i32_e32 v200, 31, v200
	v_xor_b32_e32 v174, vcc_lo, v174
	v_cmp_gt_i32_e32 vcc_lo, 0, v203
	v_and_b32_e32 v39, v39, v205
	v_not_b32_e32 v203, v204
	v_ashrrev_i32_e32 v202, 31, v202
	v_xor_b32_e32 v200, s23, v200
	v_cmp_gt_i32_e64 s23, 0, v204
	v_and_b32_e32 v39, v39, v174
	v_not_b32_e32 v174, v201
	v_ashrrev_i32_e32 v203, 31, v203
	v_xor_b32_e32 v202, vcc_lo, v202
	v_cmp_gt_i32_e32 vcc_lo, 0, v201
	v_and_b32_e32 v39, v39, v200
	v_ashrrev_i32_e32 v174, 31, v174
	v_xor_b32_e32 v200, s23, v203
	v_mad_u32_u24 v201, v40, 36, v132
	v_mul_u32_u24_e32 v40, 36, v40
	v_and_b32_e32 v39, v39, v202
	v_xor_b32_e32 v174, vcc_lo, v174
	ds_read_b32 v201, v201 offset:544
	v_and_b32_e32 v39, v39, v200
	; wave barrier
	v_and_b32_e32 v39, v39, v174
	v_add_nc_u32_e32 v174, v132, v40
	v_mbcnt_lo_u32_b32 v202, v39, 0
	v_cmp_ne_u32_e64 s23, 0, v39
	v_cmp_eq_u32_e32 vcc_lo, 0, v202
	s_and_b32 s24, s23, vcc_lo
	s_and_saveexec_b32 s23, s24
	s_cbranch_execz .LBB530_170
; %bb.169:                              ;   in Loop: Header=BB530_108 Depth=2
	s_waitcnt lgkmcnt(0)
	v_bcnt_u32_b32 v39, v39, v201
	ds_write_b32 v174, v39 offset:544
.LBB530_170:                            ;   in Loop: Header=BB530_108 Depth=2
	s_or_b32 exec_lo, exec_lo, s23
	v_xor_b32_e32 v200, 0x7fffffff, v170
	; wave barrier
	v_lshrrev_b32_e32 v39, s61, v200
	v_and_b32_e32 v40, s62, v39
	v_and_b32_e32 v39, 1, v40
	v_lshlrev_b32_e32 v170, 30, v40
	v_lshlrev_b32_e32 v203, 29, v40
	v_lshlrev_b32_e32 v205, 28, v40
	v_lshlrev_b32_e32 v206, 27, v40
	v_add_co_u32 v39, s23, v39, -1
	v_cndmask_b32_e64 v204, 0, 1, s23
	v_not_b32_e32 v208, v170
	v_cmp_gt_i32_e64 s23, 0, v170
	v_not_b32_e32 v170, v203
	v_lshlrev_b32_e32 v207, 26, v40
	v_cmp_ne_u32_e32 vcc_lo, 0, v204
	v_ashrrev_i32_e32 v208, 31, v208
	v_lshlrev_b32_e32 v204, 25, v40
	v_ashrrev_i32_e32 v170, 31, v170
	v_xor_b32_e32 v39, vcc_lo, v39
	v_cmp_gt_i32_e32 vcc_lo, 0, v203
	v_not_b32_e32 v203, v205
	v_xor_b32_e32 v208, s23, v208
	v_cmp_gt_i32_e64 s23, 0, v205
	v_and_b32_e32 v39, exec_lo, v39
	v_not_b32_e32 v205, v206
	v_ashrrev_i32_e32 v203, 31, v203
	v_xor_b32_e32 v170, vcc_lo, v170
	v_cmp_gt_i32_e32 vcc_lo, 0, v206
	v_and_b32_e32 v39, v39, v208
	v_not_b32_e32 v206, v207
	v_ashrrev_i32_e32 v205, 31, v205
	v_xor_b32_e32 v203, s23, v203
	v_cmp_gt_i32_e64 s23, 0, v207
	v_and_b32_e32 v39, v39, v170
	v_not_b32_e32 v170, v204
	v_ashrrev_i32_e32 v206, 31, v206
	v_xor_b32_e32 v205, vcc_lo, v205
	v_cmp_gt_i32_e32 vcc_lo, 0, v204
	v_and_b32_e32 v39, v39, v203
	v_ashrrev_i32_e32 v170, 31, v170
	v_xor_b32_e32 v203, s23, v206
	v_mad_u32_u24 v204, v40, 36, v132
	v_mul_u32_u24_e32 v40, 36, v40
	v_and_b32_e32 v39, v39, v205
	v_xor_b32_e32 v170, vcc_lo, v170
	ds_read_b32 v204, v204 offset:544
	v_and_b32_e32 v39, v39, v203
	; wave barrier
	v_and_b32_e32 v39, v39, v170
	v_add_nc_u32_e32 v170, v132, v40
	;; [unrolled: 63-line block ×3, first 2 shown]
	v_mbcnt_lo_u32_b32 v208, v39, 0
	v_cmp_ne_u32_e64 s23, 0, v39
	v_cmp_eq_u32_e32 vcc_lo, 0, v208
	s_and_b32 s24, s23, vcc_lo
	s_and_saveexec_b32 s23, s24
	s_cbranch_execz .LBB530_174
; %bb.173:                              ;   in Loop: Header=BB530_108 Depth=2
	s_waitcnt lgkmcnt(0)
	v_bcnt_u32_b32 v39, v39, v207
	ds_write_b32 v165, v39 offset:544
.LBB530_174:                            ;   in Loop: Header=BB530_108 Depth=2
	s_or_b32 exec_lo, exec_lo, s23
	v_xor_b32_e32 v206, 0x7fffffff, v42
	; wave barrier
	v_lshrrev_b32_e32 v39, s61, v206
	v_and_b32_e32 v40, s62, v39
	v_and_b32_e32 v39, 1, v40
	v_lshlrev_b32_e32 v42, 30, v40
	v_lshlrev_b32_e32 v209, 29, v40
	;; [unrolled: 1-line block ×4, first 2 shown]
	v_add_co_u32 v39, s23, v39, -1
	v_cndmask_b32_e64 v210, 0, 1, s23
	v_not_b32_e32 v214, v42
	v_cmp_gt_i32_e64 s23, 0, v42
	v_not_b32_e32 v42, v209
	v_lshlrev_b32_e32 v213, 26, v40
	v_cmp_ne_u32_e32 vcc_lo, 0, v210
	v_ashrrev_i32_e32 v214, 31, v214
	v_lshlrev_b32_e32 v210, 25, v40
	v_ashrrev_i32_e32 v42, 31, v42
	v_xor_b32_e32 v39, vcc_lo, v39
	v_cmp_gt_i32_e32 vcc_lo, 0, v209
	v_not_b32_e32 v209, v211
	v_xor_b32_e32 v214, s23, v214
	v_cmp_gt_i32_e64 s23, 0, v211
	v_and_b32_e32 v39, exec_lo, v39
	v_not_b32_e32 v211, v212
	v_ashrrev_i32_e32 v209, 31, v209
	v_xor_b32_e32 v42, vcc_lo, v42
	v_cmp_gt_i32_e32 vcc_lo, 0, v212
	v_and_b32_e32 v39, v39, v214
	v_not_b32_e32 v212, v213
	v_ashrrev_i32_e32 v211, 31, v211
	v_xor_b32_e32 v209, s23, v209
	v_cmp_gt_i32_e64 s23, 0, v213
	v_and_b32_e32 v39, v39, v42
	v_not_b32_e32 v42, v210
	v_ashrrev_i32_e32 v212, 31, v212
	v_xor_b32_e32 v211, vcc_lo, v211
	v_cmp_gt_i32_e32 vcc_lo, 0, v210
	v_and_b32_e32 v39, v39, v209
	v_ashrrev_i32_e32 v42, 31, v42
	v_xor_b32_e32 v209, s23, v212
	v_mad_u32_u24 v210, v40, 36, v132
	v_mul_u32_u24_e32 v40, 36, v40
	v_and_b32_e32 v39, v39, v211
	v_xor_b32_e32 v42, vcc_lo, v42
	ds_read_b32 v210, v210 offset:544
	v_add_nc_u32_e32 v212, v132, v40
	v_and_b32_e32 v39, v39, v209
	; wave barrier
	v_and_b32_e32 v39, v39, v42
	v_mbcnt_lo_u32_b32 v211, v39, 0
	v_cmp_ne_u32_e64 s23, 0, v39
	v_cmp_eq_u32_e32 vcc_lo, 0, v211
	s_and_b32 s24, s23, vcc_lo
	s_and_saveexec_b32 s23, s24
	s_cbranch_execz .LBB530_176
; %bb.175:                              ;   in Loop: Header=BB530_108 Depth=2
	s_waitcnt lgkmcnt(0)
	v_bcnt_u32_b32 v39, v39, v210
	ds_write_b32 v212, v39 offset:544
.LBB530_176:                            ;   in Loop: Header=BB530_108 Depth=2
	s_or_b32 exec_lo, exec_lo, s23
	v_xor_b32_e32 v209, 0x7fffffff, v41
	; wave barrier
	v_lshrrev_b32_e32 v39, s61, v209
	v_and_b32_e32 v40, s62, v39
	v_and_b32_e32 v39, 1, v40
	v_lshlrev_b32_e32 v41, 30, v40
	v_lshlrev_b32_e32 v42, 29, v40
	;; [unrolled: 1-line block ×4, first 2 shown]
	v_add_co_u32 v39, s23, v39, -1
	v_cndmask_b32_e64 v213, 0, 1, s23
	v_not_b32_e32 v217, v41
	v_cmp_gt_i32_e64 s23, 0, v41
	v_not_b32_e32 v41, v42
	v_lshlrev_b32_e32 v216, 26, v40
	v_cmp_ne_u32_e32 vcc_lo, 0, v213
	v_ashrrev_i32_e32 v217, 31, v217
	v_lshlrev_b32_e32 v213, 25, v40
	v_ashrrev_i32_e32 v41, 31, v41
	v_xor_b32_e32 v39, vcc_lo, v39
	v_cmp_gt_i32_e32 vcc_lo, 0, v42
	v_not_b32_e32 v42, v214
	v_xor_b32_e32 v217, s23, v217
	v_cmp_gt_i32_e64 s23, 0, v214
	v_and_b32_e32 v39, exec_lo, v39
	v_not_b32_e32 v214, v215
	v_ashrrev_i32_e32 v42, 31, v42
	v_xor_b32_e32 v41, vcc_lo, v41
	v_cmp_gt_i32_e32 vcc_lo, 0, v215
	v_and_b32_e32 v39, v39, v217
	v_not_b32_e32 v215, v216
	v_ashrrev_i32_e32 v214, 31, v214
	v_xor_b32_e32 v42, s23, v42
	v_cmp_gt_i32_e64 s23, 0, v216
	v_and_b32_e32 v39, v39, v41
	v_not_b32_e32 v41, v213
	v_ashrrev_i32_e32 v215, 31, v215
	v_xor_b32_e32 v214, vcc_lo, v214
	v_cmp_gt_i32_e32 vcc_lo, 0, v213
	v_and_b32_e32 v39, v39, v42
	v_ashrrev_i32_e32 v41, 31, v41
	v_xor_b32_e32 v42, s23, v215
	v_mad_u32_u24 v213, v40, 36, v132
	v_mul_u32_u24_e32 v40, 36, v40
	v_and_b32_e32 v39, v39, v214
	v_xor_b32_e32 v41, vcc_lo, v41
	ds_read_b32 v213, v213 offset:544
	v_add_nc_u32_e32 v215, v132, v40
	v_and_b32_e32 v39, v39, v42
	; wave barrier
	v_and_b32_e32 v39, v39, v41
	v_mbcnt_lo_u32_b32 v214, v39, 0
	v_cmp_ne_u32_e64 s23, 0, v39
	v_cmp_eq_u32_e32 vcc_lo, 0, v214
	s_and_b32 s24, s23, vcc_lo
	s_and_saveexec_b32 s23, s24
	s_cbranch_execz .LBB530_178
; %bb.177:                              ;   in Loop: Header=BB530_108 Depth=2
	s_waitcnt lgkmcnt(0)
	v_bcnt_u32_b32 v39, v39, v213
	ds_write_b32 v215, v39 offset:544
.LBB530_178:                            ;   in Loop: Header=BB530_108 Depth=2
	s_or_b32 exec_lo, exec_lo, s23
	v_lshrrev_b32_e32 v39, s61, v3
	; wave barrier
	v_and_b32_e32 v40, s62, v39
	v_and_b32_e32 v39, 1, v40
	v_lshlrev_b32_e32 v41, 30, v40
	v_lshlrev_b32_e32 v42, 29, v40
	;; [unrolled: 1-line block ×4, first 2 shown]
	v_add_co_u32 v39, s23, v39, -1
	v_cndmask_b32_e64 v216, 0, 1, s23
	v_not_b32_e32 v220, v41
	v_cmp_gt_i32_e64 s23, 0, v41
	v_not_b32_e32 v41, v42
	v_lshlrev_b32_e32 v219, 26, v40
	v_cmp_ne_u32_e32 vcc_lo, 0, v216
	v_ashrrev_i32_e32 v220, 31, v220
	v_lshlrev_b32_e32 v216, 25, v40
	v_ashrrev_i32_e32 v41, 31, v41
	v_xor_b32_e32 v39, vcc_lo, v39
	v_cmp_gt_i32_e32 vcc_lo, 0, v42
	v_not_b32_e32 v42, v217
	v_xor_b32_e32 v220, s23, v220
	v_cmp_gt_i32_e64 s23, 0, v217
	v_and_b32_e32 v39, exec_lo, v39
	v_not_b32_e32 v217, v218
	v_ashrrev_i32_e32 v42, 31, v42
	v_xor_b32_e32 v41, vcc_lo, v41
	v_cmp_gt_i32_e32 vcc_lo, 0, v218
	v_and_b32_e32 v39, v39, v220
	v_not_b32_e32 v218, v219
	v_ashrrev_i32_e32 v217, 31, v217
	v_xor_b32_e32 v42, s23, v42
	v_cmp_gt_i32_e64 s23, 0, v219
	v_and_b32_e32 v39, v39, v41
	v_not_b32_e32 v41, v216
	v_ashrrev_i32_e32 v218, 31, v218
	v_xor_b32_e32 v217, vcc_lo, v217
	v_cmp_gt_i32_e32 vcc_lo, 0, v216
	v_and_b32_e32 v39, v39, v42
	v_ashrrev_i32_e32 v41, 31, v41
	v_xor_b32_e32 v42, s23, v218
	v_mad_u32_u24 v216, v40, 36, v132
	v_mul_u32_u24_e32 v40, 36, v40
	v_and_b32_e32 v39, v39, v217
	v_xor_b32_e32 v41, vcc_lo, v41
	ds_read_b32 v216, v216 offset:544
	v_add_nc_u32_e32 v218, v132, v40
	v_and_b32_e32 v39, v39, v42
	; wave barrier
	v_and_b32_e32 v39, v39, v41
	v_mbcnt_lo_u32_b32 v217, v39, 0
	v_cmp_ne_u32_e64 s23, 0, v39
	v_cmp_eq_u32_e32 vcc_lo, 0, v217
	s_and_b32 s24, s23, vcc_lo
	s_and_saveexec_b32 s23, s24
	s_cbranch_execz .LBB530_180
; %bb.179:                              ;   in Loop: Header=BB530_108 Depth=2
	s_waitcnt lgkmcnt(0)
	v_bcnt_u32_b32 v39, v39, v216
	ds_write_b32 v218, v39 offset:544
.LBB530_180:                            ;   in Loop: Header=BB530_108 Depth=2
	s_or_b32 exec_lo, exec_lo, s23
	; wave barrier
	s_waitcnt lgkmcnt(0)
	s_barrier
	buffer_gl0_inv
	ds_read2_b32 v[41:42], v68 offset0:136 offset1:137
	ds_read2_b32 v[39:40], v68 offset0:138 offset1:139
	ds_read_b32 v219, v68 offset:560
	s_waitcnt lgkmcnt(1)
	v_add3_u32 v220, v42, v41, v39
	s_waitcnt lgkmcnt(0)
	v_add3_u32 v219, v220, v40, v219
	v_mov_b32_dpp v220, v219 row_shr:1 row_mask:0xf bank_mask:0xf
	v_cndmask_b32_e64 v220, v220, 0, s5
	v_add_nc_u32_e32 v219, v220, v219
	v_mov_b32_dpp v220, v219 row_shr:2 row_mask:0xf bank_mask:0xf
	v_cndmask_b32_e64 v220, 0, v220, s16
	v_add_nc_u32_e32 v219, v219, v220
	;; [unrolled: 3-line block ×4, first 2 shown]
	ds_swizzle_b32 v220, v219 offset:swizzle(BROADCAST,32,15)
	s_waitcnt lgkmcnt(0)
	v_cndmask_b32_e64 v220, v220, 0, s19
	v_add_nc_u32_e32 v219, v219, v220
	s_and_saveexec_b32 s23, s4
; %bb.181:                              ;   in Loop: Header=BB530_108 Depth=2
	ds_write_b32 v62, v219 offset:512
; %bb.182:                              ;   in Loop: Header=BB530_108 Depth=2
	s_or_b32 exec_lo, exec_lo, s23
	s_waitcnt lgkmcnt(0)
	s_barrier
	buffer_gl0_inv
	s_and_saveexec_b32 s23, s12
	s_cbranch_execz .LBB530_184
; %bb.183:                              ;   in Loop: Header=BB530_108 Depth=2
	ds_read_b32 v220, v69 offset:512
	s_waitcnt lgkmcnt(0)
	v_mov_b32_dpp v221, v220 row_shr:1 row_mask:0xf bank_mask:0xf
	v_cndmask_b32_e64 v221, v221, 0, s20
	v_add_nc_u32_e32 v220, v221, v220
	v_mov_b32_dpp v221, v220 row_shr:2 row_mask:0xf bank_mask:0xf
	v_cndmask_b32_e64 v221, 0, v221, s21
	v_add_nc_u32_e32 v220, v220, v221
	;; [unrolled: 3-line block ×3, first 2 shown]
	ds_write_b32 v69, v220 offset:512
.LBB530_184:                            ;   in Loop: Header=BB530_108 Depth=2
	s_or_b32 exec_lo, exec_lo, s23
	v_mov_b32_e32 v220, 0
	s_waitcnt lgkmcnt(0)
	s_barrier
	buffer_gl0_inv
	s_and_saveexec_b32 s23, s11
; %bb.185:                              ;   in Loop: Header=BB530_108 Depth=2
	ds_read_b32 v220, v62 offset:508
; %bb.186:                              ;   in Loop: Header=BB530_108 Depth=2
	s_or_b32 exec_lo, exec_lo, s23
	s_waitcnt lgkmcnt(0)
	v_add_nc_u32_e32 v219, v220, v219
	ds_bpermute_b32 v219, v131, v219
	s_waitcnt lgkmcnt(0)
	v_cndmask_b32_e64 v219, v219, v220, s15
	v_cndmask_b32_e64 v219, v219, 0, s13
	v_add_nc_u32_e32 v41, v219, v41
	v_add_nc_u32_e32 v42, v41, v42
	v_add_nc_u32_e32 v39, v42, v39
	v_add_nc_u32_e32 v40, v39, v40
	ds_write2_b32 v68, v219, v41 offset0:136 offset1:137
	ds_write2_b32 v68, v42, v39 offset0:138 offset1:139
	ds_write_b32 v68, v40 offset:560
	s_waitcnt lgkmcnt(0)
	s_barrier
	buffer_gl0_inv
	ds_read_b32 v41, v156 offset:544
	ds_read_b32 v42, v160 offset:544
	;; [unrolled: 1-line block ×17, first 2 shown]
	s_and_saveexec_b32 s23, s8
	s_cbranch_execz .LBB530_190
; %bb.187:                              ;   in Loop: Header=BB530_108 Depth=2
	ds_read_b32 v148, v71 offset:544
	v_mov_b32_e32 v151, 0x1100
	s_and_saveexec_b32 s24, s14
; %bb.188:                              ;   in Loop: Header=BB530_108 Depth=2
	ds_read_b32 v151, v70 offset:544
; %bb.189:                              ;   in Loop: Header=BB530_108 Depth=2
	s_or_b32 exec_lo, exec_lo, s24
	s_waitcnt lgkmcnt(0)
	v_sub_nc_u32_e32 v151, v151, v148
.LBB530_190:                            ;   in Loop: Header=BB530_108 Depth=2
	s_or_b32 exec_lo, exec_lo, s23
	s_waitcnt lgkmcnt(0)
	s_barrier
	buffer_gl0_inv
	s_and_saveexec_b32 s23, s8
	s_cbranch_execz .LBB530_192
; %bb.191:                              ;   in Loop: Header=BB530_108 Depth=2
	ds_read_b32 v165, v43
	s_waitcnt lgkmcnt(0)
	v_sub_nc_u32_e32 v165, v165, v148
	ds_write_b32 v43, v165
.LBB530_192:                            ;   in Loop: Header=BB530_108 Depth=2
	s_or_b32 exec_lo, exec_lo, s23
	v_add_nc_u32_e32 v175, v41, v155
	v_add3_u32 v174, v159, v158, v42
	v_add3_u32 v170, v163, v162, v160
	;; [unrolled: 1-line block ×5, first 2 shown]
	v_lshlrev_b32_e32 v172, 2, v175
	v_lshlrev_b32_e32 v173, 2, v174
	v_add3_u32 v158, v214, v213, v39
	v_lshlrev_b32_e32 v39, 2, v170
	v_add3_u32 v167, v178, v177, v180
	v_add3_u32 v164, v188, v187, v189
	;; [unrolled: 1-line block ×5, first 2 shown]
	ds_write_b32 v172, v153 offset:512
	ds_write_b32 v173, v154 offset:512
	v_lshlrev_b32_e32 v40, 2, v169
	ds_write_b32 v39, v157 offset:512
	v_lshlrev_b32_e32 v39, 2, v165
	v_add3_u32 v162, v194, v193, v195
	v_lshlrev_b32_e32 v153, 2, v168
	v_add3_u32 v160, v198, v197, v199
	;; [unrolled: 2-line block ×3, first 2 shown]
	v_add3_u32 v42, v205, v204, v221
	ds_write_b32 v40, v161 offset:512
	ds_write_b32 v153, v166 offset:512
	;; [unrolled: 1-line block ×3, first 2 shown]
	v_lshlrev_b32_e32 v40, 2, v164
	ds_write_b32 v39, v176 offset:512
	v_lshlrev_b32_e32 v39, 2, v163
	v_lshlrev_b32_e32 v153, 2, v162
	;; [unrolled: 1-line block ×3, first 2 shown]
	v_add3_u32 v41, v208, v207, v222
	ds_write_b32 v40, v181 offset:512
	v_lshlrev_b32_e32 v40, 2, v159
	ds_write_b32 v39, v186 offset:512
	ds_write_b32 v153, v184 offset:512
	;; [unrolled: 1-line block ×3, first 2 shown]
	v_lshlrev_b32_e32 v39, 2, v42
	v_cmp_lt_u32_e32 vcc_lo, v0, v152
	v_lshlrev_b32_e32 v153, 2, v155
	ds_write_b32 v40, v196 offset:512
	v_lshlrev_b32_e32 v40, 2, v41
	ds_write_b32 v39, v200 offset:512
	v_lshlrev_b32_e32 v39, 2, v156
	v_lshlrev_b32_e32 v154, 2, v158
	ds_write_b32 v40, v203 offset:512
	ds_write_b32 v153, v206 offset:512
	;; [unrolled: 1-line block ×4, first 2 shown]
	s_waitcnt lgkmcnt(0)
	s_barrier
	buffer_gl0_inv
	s_and_saveexec_b32 s24, vcc_lo
	s_cbranch_execnz .LBB530_265
; %bb.193:                              ;   in Loop: Header=BB530_108 Depth=2
	s_or_b32 exec_lo, exec_lo, s24
	v_cmp_lt_u32_e64 s23, v44, v152
	s_and_saveexec_b32 s25, s23
	s_cbranch_execnz .LBB530_266
.LBB530_194:                            ;   in Loop: Header=BB530_108 Depth=2
	s_or_b32 exec_lo, exec_lo, s25
	v_cmp_lt_u32_e64 s24, v47, v152
	s_and_saveexec_b32 s26, s24
	s_cbranch_execnz .LBB530_267
.LBB530_195:                            ;   in Loop: Header=BB530_108 Depth=2
	s_or_b32 exec_lo, exec_lo, s26
	v_cmp_lt_u32_e64 s25, v48, v152
	s_and_saveexec_b32 s27, s25
	s_cbranch_execnz .LBB530_268
.LBB530_196:                            ;   in Loop: Header=BB530_108 Depth=2
	s_or_b32 exec_lo, exec_lo, s27
	v_cmp_lt_u32_e64 s26, v49, v152
	s_and_saveexec_b32 s28, s26
	s_cbranch_execnz .LBB530_269
.LBB530_197:                            ;   in Loop: Header=BB530_108 Depth=2
	s_or_b32 exec_lo, exec_lo, s28
	v_cmp_lt_u32_e64 s27, v50, v152
	s_and_saveexec_b32 s29, s27
	s_cbranch_execnz .LBB530_270
.LBB530_198:                            ;   in Loop: Header=BB530_108 Depth=2
	s_or_b32 exec_lo, exec_lo, s29
	v_cmp_lt_u32_e64 s28, v51, v152
	s_and_saveexec_b32 s30, s28
	s_cbranch_execnz .LBB530_271
.LBB530_199:                            ;   in Loop: Header=BB530_108 Depth=2
	s_or_b32 exec_lo, exec_lo, s30
	v_cmp_lt_u32_e64 s29, v52, v152
	s_and_saveexec_b32 s31, s29
	s_cbranch_execnz .LBB530_272
.LBB530_200:                            ;   in Loop: Header=BB530_108 Depth=2
	s_or_b32 exec_lo, exec_lo, s31
	v_cmp_lt_u32_e64 s30, v53, v152
	s_and_saveexec_b32 s33, s30
	s_cbranch_execnz .LBB530_273
.LBB530_201:                            ;   in Loop: Header=BB530_108 Depth=2
	s_or_b32 exec_lo, exec_lo, s33
	v_cmp_lt_u32_e64 s31, v54, v152
	s_and_saveexec_b32 s34, s31
	s_cbranch_execnz .LBB530_274
.LBB530_202:                            ;   in Loop: Header=BB530_108 Depth=2
	s_or_b32 exec_lo, exec_lo, s34
	v_cmp_lt_u32_e64 s33, v55, v152
	s_and_saveexec_b32 s35, s33
	s_cbranch_execnz .LBB530_275
.LBB530_203:                            ;   in Loop: Header=BB530_108 Depth=2
	s_or_b32 exec_lo, exec_lo, s35
	v_cmp_lt_u32_e64 s34, v56, v152
	s_and_saveexec_b32 s36, s34
	s_cbranch_execnz .LBB530_276
.LBB530_204:                            ;   in Loop: Header=BB530_108 Depth=2
	s_or_b32 exec_lo, exec_lo, s36
	v_cmp_lt_u32_e64 s35, v57, v152
	s_and_saveexec_b32 s37, s35
	s_cbranch_execnz .LBB530_277
.LBB530_205:                            ;   in Loop: Header=BB530_108 Depth=2
	s_or_b32 exec_lo, exec_lo, s37
	v_cmp_lt_u32_e64 s36, v58, v152
	s_and_saveexec_b32 s38, s36
	s_cbranch_execnz .LBB530_278
.LBB530_206:                            ;   in Loop: Header=BB530_108 Depth=2
	s_or_b32 exec_lo, exec_lo, s38
	v_cmp_lt_u32_e64 s37, v59, v152
	s_and_saveexec_b32 s39, s37
	s_cbranch_execnz .LBB530_279
.LBB530_207:                            ;   in Loop: Header=BB530_108 Depth=2
	s_or_b32 exec_lo, exec_lo, s39
	v_cmp_lt_u32_e64 s38, v60, v152
	s_and_saveexec_b32 s40, s38
	s_cbranch_execnz .LBB530_280
.LBB530_208:                            ;   in Loop: Header=BB530_108 Depth=2
	s_or_b32 exec_lo, exec_lo, s40
	v_cmp_lt_u32_e64 s39, v61, v152
	s_and_saveexec_b32 s65, s39
	s_cbranch_execz .LBB530_210
.LBB530_209:                            ;   in Loop: Header=BB530_108 Depth=2
	ds_read_b32 v153, v69 offset:16896
	s_waitcnt lgkmcnt(0)
	v_lshrrev_b32_e32 v3, s61, v153
	v_and_b32_e32 v3, s62, v3
	v_lshlrev_b32_e32 v3, 2, v3
	ds_read_b32 v3, v3
	s_waitcnt lgkmcnt(0)
	v_add_nc_u32_e32 v3, v3, v61
	v_lshlrev_b64 v[39:40], 2, v[3:4]
	v_xor_b32_e32 v3, 0x7fffffff, v153
	v_add_co_u32 v39, s40, s46, v39
	v_add_co_ci_u32_e64 v40, null, s47, v40, s40
	global_store_dword v[39:40], v3, off
.LBB530_210:                            ;   in Loop: Header=BB530_108 Depth=2
	s_or_b32 exec_lo, exec_lo, s65
	s_lshl_b64 s[66:67], s[50:51], 3
	v_add_co_u32 v39, s40, v110, s66
	v_add_co_ci_u32_e64 v40, null, s67, v111, s40
	v_cmp_lt_u32_e64 s40, v109, v152
	s_and_saveexec_b32 s50, s40
	s_xor_b32 s40, exec_lo, s50
	s_cbranch_execnz .LBB530_281
; %bb.211:                              ;   in Loop: Header=BB530_108 Depth=2
	s_or_b32 exec_lo, exec_lo, s40
	s_mov_b32 s50, exec_lo
	v_cmpx_lt_u32_e64 v112, v152
	s_cbranch_execnz .LBB530_282
.LBB530_212:                            ;   in Loop: Header=BB530_108 Depth=2
	s_or_b32 exec_lo, exec_lo, s50
	s_mov_b32 s50, exec_lo
	v_cmpx_lt_u32_e64 v113, v152
	s_cbranch_execnz .LBB530_283
.LBB530_213:                            ;   in Loop: Header=BB530_108 Depth=2
	s_or_b32 exec_lo, exec_lo, s50
	s_mov_b32 s50, exec_lo
	v_cmpx_lt_u32_e64 v114, v152
	s_cbranch_execnz .LBB530_284
.LBB530_214:                            ;   in Loop: Header=BB530_108 Depth=2
	s_or_b32 exec_lo, exec_lo, s50
	s_mov_b32 s50, exec_lo
	v_cmpx_lt_u32_e64 v115, v152
	s_cbranch_execnz .LBB530_285
.LBB530_215:                            ;   in Loop: Header=BB530_108 Depth=2
	s_or_b32 exec_lo, exec_lo, s50
	s_mov_b32 s50, exec_lo
	v_cmpx_lt_u32_e64 v116, v152
	s_cbranch_execnz .LBB530_286
.LBB530_216:                            ;   in Loop: Header=BB530_108 Depth=2
	s_or_b32 exec_lo, exec_lo, s50
	s_mov_b32 s50, exec_lo
	v_cmpx_lt_u32_e64 v117, v152
	s_cbranch_execnz .LBB530_287
.LBB530_217:                            ;   in Loop: Header=BB530_108 Depth=2
	s_or_b32 exec_lo, exec_lo, s50
	s_mov_b32 s50, exec_lo
	v_cmpx_lt_u32_e64 v118, v152
	s_cbranch_execnz .LBB530_288
.LBB530_218:                            ;   in Loop: Header=BB530_108 Depth=2
	s_or_b32 exec_lo, exec_lo, s50
	s_mov_b32 s50, exec_lo
	v_cmpx_lt_u32_e64 v119, v152
	s_cbranch_execnz .LBB530_289
.LBB530_219:                            ;   in Loop: Header=BB530_108 Depth=2
	s_or_b32 exec_lo, exec_lo, s50
	s_mov_b32 s50, exec_lo
	v_cmpx_lt_u32_e64 v120, v152
	s_cbranch_execnz .LBB530_290
.LBB530_220:                            ;   in Loop: Header=BB530_108 Depth=2
	s_or_b32 exec_lo, exec_lo, s50
	s_mov_b32 s50, exec_lo
	v_cmpx_lt_u32_e64 v121, v152
	s_cbranch_execnz .LBB530_291
.LBB530_221:                            ;   in Loop: Header=BB530_108 Depth=2
	s_or_b32 exec_lo, exec_lo, s50
	s_mov_b32 s50, exec_lo
	v_cmpx_lt_u32_e64 v122, v152
	s_cbranch_execnz .LBB530_292
.LBB530_222:                            ;   in Loop: Header=BB530_108 Depth=2
	s_or_b32 exec_lo, exec_lo, s50
	s_mov_b32 s50, exec_lo
	v_cmpx_lt_u32_e64 v123, v152
	s_cbranch_execnz .LBB530_293
.LBB530_223:                            ;   in Loop: Header=BB530_108 Depth=2
	s_or_b32 exec_lo, exec_lo, s50
	s_mov_b32 s50, exec_lo
	v_cmpx_lt_u32_e64 v124, v152
	s_cbranch_execnz .LBB530_294
.LBB530_224:                            ;   in Loop: Header=BB530_108 Depth=2
	s_or_b32 exec_lo, exec_lo, s50
	s_mov_b32 s50, exec_lo
	v_cmpx_lt_u32_e64 v126, v152
	s_cbranch_execnz .LBB530_295
.LBB530_225:                            ;   in Loop: Header=BB530_108 Depth=2
	s_or_b32 exec_lo, exec_lo, s50
	s_mov_b32 s50, exec_lo
	v_cmpx_lt_u32_e64 v127, v152
	s_cbranch_execnz .LBB530_296
.LBB530_226:                            ;   in Loop: Header=BB530_108 Depth=2
	s_or_b32 exec_lo, exec_lo, s50
	s_mov_b32 s50, exec_lo
	v_cmpx_lt_u32_e64 v128, v152
	s_cbranch_execnz .LBB530_297
.LBB530_227:                            ;   in Loop: Header=BB530_108 Depth=2
	s_or_b32 exec_lo, exec_lo, s50
	s_and_saveexec_b32 s40, vcc_lo
	s_cbranch_execnz .LBB530_298
.LBB530_228:                            ;   in Loop: Header=BB530_108 Depth=2
	s_or_b32 exec_lo, exec_lo, s40
	s_and_saveexec_b32 s40, s23
	s_cbranch_execnz .LBB530_299
.LBB530_229:                            ;   in Loop: Header=BB530_108 Depth=2
	s_or_b32 exec_lo, exec_lo, s40
	s_and_saveexec_b32 s40, s24
	s_cbranch_execnz .LBB530_300
.LBB530_230:                            ;   in Loop: Header=BB530_108 Depth=2
	s_or_b32 exec_lo, exec_lo, s40
	s_and_saveexec_b32 s40, s25
	s_cbranch_execnz .LBB530_301
.LBB530_231:                            ;   in Loop: Header=BB530_108 Depth=2
	s_or_b32 exec_lo, exec_lo, s40
	s_and_saveexec_b32 s40, s26
	s_cbranch_execnz .LBB530_302
.LBB530_232:                            ;   in Loop: Header=BB530_108 Depth=2
	s_or_b32 exec_lo, exec_lo, s40
	s_and_saveexec_b32 s40, s27
	s_cbranch_execnz .LBB530_303
.LBB530_233:                            ;   in Loop: Header=BB530_108 Depth=2
	s_or_b32 exec_lo, exec_lo, s40
	s_and_saveexec_b32 s40, s28
	s_cbranch_execnz .LBB530_304
.LBB530_234:                            ;   in Loop: Header=BB530_108 Depth=2
	s_or_b32 exec_lo, exec_lo, s40
	s_and_saveexec_b32 s40, s29
	s_cbranch_execnz .LBB530_305
.LBB530_235:                            ;   in Loop: Header=BB530_108 Depth=2
	s_or_b32 exec_lo, exec_lo, s40
	s_and_saveexec_b32 s40, s30
	s_cbranch_execnz .LBB530_306
.LBB530_236:                            ;   in Loop: Header=BB530_108 Depth=2
	s_or_b32 exec_lo, exec_lo, s40
	s_and_saveexec_b32 s40, s31
	s_cbranch_execnz .LBB530_307
.LBB530_237:                            ;   in Loop: Header=BB530_108 Depth=2
	s_or_b32 exec_lo, exec_lo, s40
	s_and_saveexec_b32 s40, s33
	s_cbranch_execnz .LBB530_308
.LBB530_238:                            ;   in Loop: Header=BB530_108 Depth=2
	s_or_b32 exec_lo, exec_lo, s40
	s_and_saveexec_b32 s40, s34
	s_cbranch_execnz .LBB530_309
.LBB530_239:                            ;   in Loop: Header=BB530_108 Depth=2
	s_or_b32 exec_lo, exec_lo, s40
	s_and_saveexec_b32 s40, s35
	s_cbranch_execnz .LBB530_310
.LBB530_240:                            ;   in Loop: Header=BB530_108 Depth=2
	s_or_b32 exec_lo, exec_lo, s40
	s_and_saveexec_b32 s40, s36
	s_cbranch_execnz .LBB530_311
.LBB530_241:                            ;   in Loop: Header=BB530_108 Depth=2
	s_or_b32 exec_lo, exec_lo, s40
	s_and_saveexec_b32 s40, s37
	s_cbranch_execnz .LBB530_312
.LBB530_242:                            ;   in Loop: Header=BB530_108 Depth=2
	s_or_b32 exec_lo, exec_lo, s40
	s_and_saveexec_b32 s40, s38
	s_cbranch_execnz .LBB530_313
.LBB530_243:                            ;   in Loop: Header=BB530_108 Depth=2
	s_or_b32 exec_lo, exec_lo, s40
	s_and_saveexec_b32 s40, s39
	s_cbranch_execz .LBB530_245
.LBB530_244:                            ;   in Loop: Header=BB530_108 Depth=2
	ds_read_b32 v3, v69 offset:16896
	s_waitcnt lgkmcnt(0)
	v_lshrrev_b32_e32 v3, s61, v3
	v_and_b32_e32 v133, s62, v3
.LBB530_245:                            ;   in Loop: Header=BB530_108 Depth=2
	s_or_b32 exec_lo, exec_lo, s40
	v_lshlrev_b32_e32 v3, 3, v175
	v_lshlrev_b32_e32 v39, 3, v174
	s_waitcnt vmcnt(0)
	s_waitcnt_vscnt null, 0x0
	s_barrier
	buffer_gl0_inv
	ds_write_b64 v3, v[37:38] offset:512
	ds_write_b64 v39, v[35:36] offset:512
	v_lshlrev_b32_e32 v3, 3, v170
	v_lshlrev_b32_e32 v39, 3, v169
	v_lshlrev_b32_e32 v40, 3, v168
	v_lshlrev_b32_e32 v152, 3, v167
	v_lshlrev_b32_e32 v153, 3, v165
	ds_write_b64 v3, v[33:34] offset:512
	ds_write_b64 v39, v[31:32] offset:512
	ds_write_b64 v40, v[29:30] offset:512
	ds_write_b64 v152, v[25:26] offset:512
	ds_write_b64 v153, v[21:22] offset:512
	v_lshlrev_b32_e32 v3, 3, v164
	v_lshlrev_b32_e32 v39, 3, v163
	v_lshlrev_b32_e32 v40, 3, v162
	v_lshlrev_b32_e32 v152, 3, v160
	v_lshlrev_b32_e32 v153, 3, v159
	ds_write_b64 v3, v[17:18] offset:512
	ds_write_b64 v39, v[27:28] offset:512
	ds_write_b64 v40, v[23:24] offset:512
	;; [unrolled: 10-line block ×3, first 2 shown]
	ds_write_b64 v41, v[7:8] offset:512
	ds_write_b64 v42, v[5:6] offset:512
	s_waitcnt lgkmcnt(0)
	s_barrier
	buffer_gl0_inv
	s_and_saveexec_b32 s40, vcc_lo
	s_cbranch_execnz .LBB530_314
; %bb.246:                              ;   in Loop: Header=BB530_108 Depth=2
	s_or_b32 exec_lo, exec_lo, s40
	s_and_saveexec_b32 s40, s23
	s_cbranch_execnz .LBB530_315
.LBB530_247:                            ;   in Loop: Header=BB530_108 Depth=2
	s_or_b32 exec_lo, exec_lo, s40
	s_and_saveexec_b32 s23, s24
	s_cbranch_execnz .LBB530_316
.LBB530_248:                            ;   in Loop: Header=BB530_108 Depth=2
	s_or_b32 exec_lo, exec_lo, s23
	s_and_saveexec_b32 s23, s25
	s_cbranch_execnz .LBB530_317
.LBB530_249:                            ;   in Loop: Header=BB530_108 Depth=2
	s_or_b32 exec_lo, exec_lo, s23
	s_and_saveexec_b32 s23, s26
	s_cbranch_execnz .LBB530_318
.LBB530_250:                            ;   in Loop: Header=BB530_108 Depth=2
	s_or_b32 exec_lo, exec_lo, s23
	s_and_saveexec_b32 s23, s27
	s_cbranch_execnz .LBB530_319
.LBB530_251:                            ;   in Loop: Header=BB530_108 Depth=2
	s_or_b32 exec_lo, exec_lo, s23
	s_and_saveexec_b32 s23, s28
	s_cbranch_execnz .LBB530_320
.LBB530_252:                            ;   in Loop: Header=BB530_108 Depth=2
	s_or_b32 exec_lo, exec_lo, s23
	s_and_saveexec_b32 s23, s29
	s_cbranch_execnz .LBB530_321
.LBB530_253:                            ;   in Loop: Header=BB530_108 Depth=2
	s_or_b32 exec_lo, exec_lo, s23
	s_and_saveexec_b32 s23, s30
	s_cbranch_execnz .LBB530_322
.LBB530_254:                            ;   in Loop: Header=BB530_108 Depth=2
	s_or_b32 exec_lo, exec_lo, s23
	s_and_saveexec_b32 s23, s31
	s_cbranch_execnz .LBB530_323
.LBB530_255:                            ;   in Loop: Header=BB530_108 Depth=2
	s_or_b32 exec_lo, exec_lo, s23
	s_and_saveexec_b32 s23, s33
	s_cbranch_execnz .LBB530_324
.LBB530_256:                            ;   in Loop: Header=BB530_108 Depth=2
	s_or_b32 exec_lo, exec_lo, s23
	s_and_saveexec_b32 s23, s34
	s_cbranch_execnz .LBB530_325
.LBB530_257:                            ;   in Loop: Header=BB530_108 Depth=2
	s_or_b32 exec_lo, exec_lo, s23
	s_and_saveexec_b32 s23, s35
	s_cbranch_execnz .LBB530_326
.LBB530_258:                            ;   in Loop: Header=BB530_108 Depth=2
	s_or_b32 exec_lo, exec_lo, s23
	s_and_saveexec_b32 s23, s36
	s_cbranch_execnz .LBB530_327
.LBB530_259:                            ;   in Loop: Header=BB530_108 Depth=2
	s_or_b32 exec_lo, exec_lo, s23
	s_and_saveexec_b32 s23, s37
	s_cbranch_execnz .LBB530_328
.LBB530_260:                            ;   in Loop: Header=BB530_108 Depth=2
	s_or_b32 exec_lo, exec_lo, s23
	s_and_saveexec_b32 s23, s38
	s_cbranch_execnz .LBB530_329
.LBB530_261:                            ;   in Loop: Header=BB530_108 Depth=2
	s_or_b32 exec_lo, exec_lo, s23
	s_and_saveexec_b32 s23, s39
	s_cbranch_execz .LBB530_263
.LBB530_262:                            ;   in Loop: Header=BB530_108 Depth=2
	v_lshlrev_b32_e32 v3, 2, v133
	v_add_nc_u32_e32 v39, v69, v43
	ds_read_b32 v3, v3
	ds_read_b64 v[39:40], v39 offset:33280
	s_waitcnt lgkmcnt(1)
	v_add_nc_u32_e32 v3, v3, v61
	v_lshlrev_b64 v[41:42], 3, v[3:4]
	v_add_co_u32 v41, vcc_lo, s52, v41
	v_add_co_ci_u32_e64 v42, null, s53, v42, vcc_lo
	s_waitcnt lgkmcnt(0)
	global_store_dwordx2 v[41:42], v[39:40], off
.LBB530_263:                            ;   in Loop: Header=BB530_108 Depth=2
	s_or_b32 exec_lo, exec_lo, s23
	s_waitcnt_vscnt null, 0x0
	s_barrier
	buffer_gl0_inv
	s_and_saveexec_b32 s23, s8
	s_cbranch_execz .LBB530_107
; %bb.264:                              ;   in Loop: Header=BB530_108 Depth=2
	ds_read_b32 v3, v43
	s_waitcnt lgkmcnt(0)
	v_add3_u32 v3, v148, v151, v3
	ds_write_b32 v43, v3
	s_branch .LBB530_107
.LBB530_265:                            ;   in Loop: Header=BB530_108 Depth=2
	ds_read_b32 v153, v69 offset:512
	s_waitcnt lgkmcnt(0)
	v_lshrrev_b32_e32 v3, s61, v153
	v_and_b32_e32 v3, s62, v3
	v_lshlrev_b32_e32 v3, 2, v3
	ds_read_b32 v3, v3
	s_waitcnt lgkmcnt(0)
	v_add_nc_u32_e32 v3, v3, v0
	v_lshlrev_b64 v[39:40], 2, v[3:4]
	v_xor_b32_e32 v3, 0x7fffffff, v153
	v_add_co_u32 v39, s23, s46, v39
	v_add_co_ci_u32_e64 v40, null, s47, v40, s23
	global_store_dword v[39:40], v3, off
	s_or_b32 exec_lo, exec_lo, s24
	v_cmp_lt_u32_e64 s23, v44, v152
	s_and_saveexec_b32 s25, s23
	s_cbranch_execz .LBB530_194
.LBB530_266:                            ;   in Loop: Header=BB530_108 Depth=2
	ds_read_b32 v153, v69 offset:1536
	s_waitcnt lgkmcnt(0)
	v_lshrrev_b32_e32 v3, s61, v153
	v_and_b32_e32 v3, s62, v3
	v_lshlrev_b32_e32 v3, 2, v3
	ds_read_b32 v3, v3
	s_waitcnt lgkmcnt(0)
	v_add_nc_u32_e32 v3, v3, v44
	v_lshlrev_b64 v[39:40], 2, v[3:4]
	v_xor_b32_e32 v3, 0x7fffffff, v153
	v_add_co_u32 v39, s24, s46, v39
	v_add_co_ci_u32_e64 v40, null, s47, v40, s24
	global_store_dword v[39:40], v3, off
	s_or_b32 exec_lo, exec_lo, s25
	v_cmp_lt_u32_e64 s24, v47, v152
	s_and_saveexec_b32 s26, s24
	s_cbranch_execz .LBB530_195
.LBB530_267:                            ;   in Loop: Header=BB530_108 Depth=2
	ds_read_b32 v153, v69 offset:2560
	s_waitcnt lgkmcnt(0)
	v_lshrrev_b32_e32 v3, s61, v153
	v_and_b32_e32 v3, s62, v3
	v_lshlrev_b32_e32 v3, 2, v3
	ds_read_b32 v3, v3
	s_waitcnt lgkmcnt(0)
	v_add_nc_u32_e32 v3, v3, v47
	v_lshlrev_b64 v[39:40], 2, v[3:4]
	v_xor_b32_e32 v3, 0x7fffffff, v153
	v_add_co_u32 v39, s25, s46, v39
	v_add_co_ci_u32_e64 v40, null, s47, v40, s25
	global_store_dword v[39:40], v3, off
	s_or_b32 exec_lo, exec_lo, s26
	v_cmp_lt_u32_e64 s25, v48, v152
	s_and_saveexec_b32 s27, s25
	s_cbranch_execz .LBB530_196
.LBB530_268:                            ;   in Loop: Header=BB530_108 Depth=2
	ds_read_b32 v153, v69 offset:3584
	s_waitcnt lgkmcnt(0)
	v_lshrrev_b32_e32 v3, s61, v153
	v_and_b32_e32 v3, s62, v3
	v_lshlrev_b32_e32 v3, 2, v3
	ds_read_b32 v3, v3
	s_waitcnt lgkmcnt(0)
	v_add_nc_u32_e32 v3, v3, v48
	v_lshlrev_b64 v[39:40], 2, v[3:4]
	v_xor_b32_e32 v3, 0x7fffffff, v153
	v_add_co_u32 v39, s26, s46, v39
	v_add_co_ci_u32_e64 v40, null, s47, v40, s26
	global_store_dword v[39:40], v3, off
	s_or_b32 exec_lo, exec_lo, s27
	v_cmp_lt_u32_e64 s26, v49, v152
	s_and_saveexec_b32 s28, s26
	s_cbranch_execz .LBB530_197
.LBB530_269:                            ;   in Loop: Header=BB530_108 Depth=2
	ds_read_b32 v153, v69 offset:4608
	s_waitcnt lgkmcnt(0)
	v_lshrrev_b32_e32 v3, s61, v153
	v_and_b32_e32 v3, s62, v3
	v_lshlrev_b32_e32 v3, 2, v3
	ds_read_b32 v3, v3
	s_waitcnt lgkmcnt(0)
	v_add_nc_u32_e32 v3, v3, v49
	v_lshlrev_b64 v[39:40], 2, v[3:4]
	v_xor_b32_e32 v3, 0x7fffffff, v153
	v_add_co_u32 v39, s27, s46, v39
	v_add_co_ci_u32_e64 v40, null, s47, v40, s27
	global_store_dword v[39:40], v3, off
	s_or_b32 exec_lo, exec_lo, s28
	v_cmp_lt_u32_e64 s27, v50, v152
	s_and_saveexec_b32 s29, s27
	s_cbranch_execz .LBB530_198
.LBB530_270:                            ;   in Loop: Header=BB530_108 Depth=2
	ds_read_b32 v153, v69 offset:5632
	s_waitcnt lgkmcnt(0)
	v_lshrrev_b32_e32 v3, s61, v153
	v_and_b32_e32 v3, s62, v3
	v_lshlrev_b32_e32 v3, 2, v3
	ds_read_b32 v3, v3
	s_waitcnt lgkmcnt(0)
	v_add_nc_u32_e32 v3, v3, v50
	v_lshlrev_b64 v[39:40], 2, v[3:4]
	v_xor_b32_e32 v3, 0x7fffffff, v153
	v_add_co_u32 v39, s28, s46, v39
	v_add_co_ci_u32_e64 v40, null, s47, v40, s28
	global_store_dword v[39:40], v3, off
	s_or_b32 exec_lo, exec_lo, s29
	v_cmp_lt_u32_e64 s28, v51, v152
	s_and_saveexec_b32 s30, s28
	s_cbranch_execz .LBB530_199
.LBB530_271:                            ;   in Loop: Header=BB530_108 Depth=2
	ds_read_b32 v153, v69 offset:6656
	s_waitcnt lgkmcnt(0)
	v_lshrrev_b32_e32 v3, s61, v153
	v_and_b32_e32 v3, s62, v3
	v_lshlrev_b32_e32 v3, 2, v3
	ds_read_b32 v3, v3
	s_waitcnt lgkmcnt(0)
	v_add_nc_u32_e32 v3, v3, v51
	v_lshlrev_b64 v[39:40], 2, v[3:4]
	v_xor_b32_e32 v3, 0x7fffffff, v153
	v_add_co_u32 v39, s29, s46, v39
	v_add_co_ci_u32_e64 v40, null, s47, v40, s29
	global_store_dword v[39:40], v3, off
	s_or_b32 exec_lo, exec_lo, s30
	v_cmp_lt_u32_e64 s29, v52, v152
	s_and_saveexec_b32 s31, s29
	s_cbranch_execz .LBB530_200
.LBB530_272:                            ;   in Loop: Header=BB530_108 Depth=2
	ds_read_b32 v153, v69 offset:7680
	s_waitcnt lgkmcnt(0)
	v_lshrrev_b32_e32 v3, s61, v153
	v_and_b32_e32 v3, s62, v3
	v_lshlrev_b32_e32 v3, 2, v3
	ds_read_b32 v3, v3
	s_waitcnt lgkmcnt(0)
	v_add_nc_u32_e32 v3, v3, v52
	v_lshlrev_b64 v[39:40], 2, v[3:4]
	v_xor_b32_e32 v3, 0x7fffffff, v153
	v_add_co_u32 v39, s30, s46, v39
	v_add_co_ci_u32_e64 v40, null, s47, v40, s30
	global_store_dword v[39:40], v3, off
	s_or_b32 exec_lo, exec_lo, s31
	v_cmp_lt_u32_e64 s30, v53, v152
	s_and_saveexec_b32 s33, s30
	s_cbranch_execz .LBB530_201
.LBB530_273:                            ;   in Loop: Header=BB530_108 Depth=2
	ds_read_b32 v153, v69 offset:8704
	s_waitcnt lgkmcnt(0)
	v_lshrrev_b32_e32 v3, s61, v153
	v_and_b32_e32 v3, s62, v3
	v_lshlrev_b32_e32 v3, 2, v3
	ds_read_b32 v3, v3
	s_waitcnt lgkmcnt(0)
	v_add_nc_u32_e32 v3, v3, v53
	v_lshlrev_b64 v[39:40], 2, v[3:4]
	v_xor_b32_e32 v3, 0x7fffffff, v153
	v_add_co_u32 v39, s31, s46, v39
	v_add_co_ci_u32_e64 v40, null, s47, v40, s31
	global_store_dword v[39:40], v3, off
	s_or_b32 exec_lo, exec_lo, s33
	v_cmp_lt_u32_e64 s31, v54, v152
	s_and_saveexec_b32 s34, s31
	s_cbranch_execz .LBB530_202
.LBB530_274:                            ;   in Loop: Header=BB530_108 Depth=2
	ds_read_b32 v153, v69 offset:9728
	s_waitcnt lgkmcnt(0)
	v_lshrrev_b32_e32 v3, s61, v153
	v_and_b32_e32 v3, s62, v3
	v_lshlrev_b32_e32 v3, 2, v3
	ds_read_b32 v3, v3
	s_waitcnt lgkmcnt(0)
	v_add_nc_u32_e32 v3, v3, v54
	v_lshlrev_b64 v[39:40], 2, v[3:4]
	v_xor_b32_e32 v3, 0x7fffffff, v153
	v_add_co_u32 v39, s33, s46, v39
	v_add_co_ci_u32_e64 v40, null, s47, v40, s33
	global_store_dword v[39:40], v3, off
	s_or_b32 exec_lo, exec_lo, s34
	v_cmp_lt_u32_e64 s33, v55, v152
	s_and_saveexec_b32 s35, s33
	s_cbranch_execz .LBB530_203
.LBB530_275:                            ;   in Loop: Header=BB530_108 Depth=2
	ds_read_b32 v153, v69 offset:10752
	s_waitcnt lgkmcnt(0)
	v_lshrrev_b32_e32 v3, s61, v153
	v_and_b32_e32 v3, s62, v3
	v_lshlrev_b32_e32 v3, 2, v3
	ds_read_b32 v3, v3
	s_waitcnt lgkmcnt(0)
	v_add_nc_u32_e32 v3, v3, v55
	v_lshlrev_b64 v[39:40], 2, v[3:4]
	v_xor_b32_e32 v3, 0x7fffffff, v153
	v_add_co_u32 v39, s34, s46, v39
	v_add_co_ci_u32_e64 v40, null, s47, v40, s34
	global_store_dword v[39:40], v3, off
	s_or_b32 exec_lo, exec_lo, s35
	v_cmp_lt_u32_e64 s34, v56, v152
	s_and_saveexec_b32 s36, s34
	s_cbranch_execz .LBB530_204
.LBB530_276:                            ;   in Loop: Header=BB530_108 Depth=2
	ds_read_b32 v153, v69 offset:11776
	s_waitcnt lgkmcnt(0)
	v_lshrrev_b32_e32 v3, s61, v153
	v_and_b32_e32 v3, s62, v3
	v_lshlrev_b32_e32 v3, 2, v3
	ds_read_b32 v3, v3
	s_waitcnt lgkmcnt(0)
	v_add_nc_u32_e32 v3, v3, v56
	v_lshlrev_b64 v[39:40], 2, v[3:4]
	v_xor_b32_e32 v3, 0x7fffffff, v153
	v_add_co_u32 v39, s35, s46, v39
	v_add_co_ci_u32_e64 v40, null, s47, v40, s35
	global_store_dword v[39:40], v3, off
	s_or_b32 exec_lo, exec_lo, s36
	v_cmp_lt_u32_e64 s35, v57, v152
	s_and_saveexec_b32 s37, s35
	s_cbranch_execz .LBB530_205
.LBB530_277:                            ;   in Loop: Header=BB530_108 Depth=2
	ds_read_b32 v153, v69 offset:12800
	s_waitcnt lgkmcnt(0)
	v_lshrrev_b32_e32 v3, s61, v153
	v_and_b32_e32 v3, s62, v3
	v_lshlrev_b32_e32 v3, 2, v3
	ds_read_b32 v3, v3
	s_waitcnt lgkmcnt(0)
	v_add_nc_u32_e32 v3, v3, v57
	v_lshlrev_b64 v[39:40], 2, v[3:4]
	v_xor_b32_e32 v3, 0x7fffffff, v153
	v_add_co_u32 v39, s36, s46, v39
	v_add_co_ci_u32_e64 v40, null, s47, v40, s36
	global_store_dword v[39:40], v3, off
	s_or_b32 exec_lo, exec_lo, s37
	v_cmp_lt_u32_e64 s36, v58, v152
	s_and_saveexec_b32 s38, s36
	s_cbranch_execz .LBB530_206
.LBB530_278:                            ;   in Loop: Header=BB530_108 Depth=2
	ds_read_b32 v153, v69 offset:13824
	s_waitcnt lgkmcnt(0)
	v_lshrrev_b32_e32 v3, s61, v153
	v_and_b32_e32 v3, s62, v3
	v_lshlrev_b32_e32 v3, 2, v3
	ds_read_b32 v3, v3
	s_waitcnt lgkmcnt(0)
	v_add_nc_u32_e32 v3, v3, v58
	v_lshlrev_b64 v[39:40], 2, v[3:4]
	v_xor_b32_e32 v3, 0x7fffffff, v153
	v_add_co_u32 v39, s37, s46, v39
	v_add_co_ci_u32_e64 v40, null, s47, v40, s37
	global_store_dword v[39:40], v3, off
	s_or_b32 exec_lo, exec_lo, s38
	v_cmp_lt_u32_e64 s37, v59, v152
	s_and_saveexec_b32 s39, s37
	s_cbranch_execz .LBB530_207
.LBB530_279:                            ;   in Loop: Header=BB530_108 Depth=2
	ds_read_b32 v153, v69 offset:14848
	s_waitcnt lgkmcnt(0)
	v_lshrrev_b32_e32 v3, s61, v153
	v_and_b32_e32 v3, s62, v3
	v_lshlrev_b32_e32 v3, 2, v3
	ds_read_b32 v3, v3
	s_waitcnt lgkmcnt(0)
	v_add_nc_u32_e32 v3, v3, v59
	v_lshlrev_b64 v[39:40], 2, v[3:4]
	v_xor_b32_e32 v3, 0x7fffffff, v153
	v_add_co_u32 v39, s38, s46, v39
	v_add_co_ci_u32_e64 v40, null, s47, v40, s38
	global_store_dword v[39:40], v3, off
	s_or_b32 exec_lo, exec_lo, s39
	v_cmp_lt_u32_e64 s38, v60, v152
	s_and_saveexec_b32 s40, s38
	s_cbranch_execz .LBB530_208
.LBB530_280:                            ;   in Loop: Header=BB530_108 Depth=2
	ds_read_b32 v153, v69 offset:15872
	s_waitcnt lgkmcnt(0)
	v_lshrrev_b32_e32 v3, s61, v153
	v_and_b32_e32 v3, s62, v3
	v_lshlrev_b32_e32 v3, 2, v3
	ds_read_b32 v3, v3
	s_waitcnt lgkmcnt(0)
	v_add_nc_u32_e32 v3, v3, v60
	v_lshlrev_b64 v[39:40], 2, v[3:4]
	v_xor_b32_e32 v3, 0x7fffffff, v153
	v_add_co_u32 v39, s39, s46, v39
	v_add_co_ci_u32_e64 v40, null, s47, v40, s39
	global_store_dword v[39:40], v3, off
	s_or_b32 exec_lo, exec_lo, s40
	v_cmp_lt_u32_e64 s39, v61, v152
	s_and_saveexec_b32 s65, s39
	s_cbranch_execnz .LBB530_209
	s_branch .LBB530_210
.LBB530_281:                            ;   in Loop: Header=BB530_108 Depth=2
	global_load_dwordx2 v[37:38], v[39:40], off
	s_or_b32 exec_lo, exec_lo, s40
	s_mov_b32 s50, exec_lo
	v_cmpx_lt_u32_e64 v112, v152
	s_cbranch_execz .LBB530_212
.LBB530_282:                            ;   in Loop: Header=BB530_108 Depth=2
	global_load_dwordx2 v[35:36], v[39:40], off offset:256
	s_or_b32 exec_lo, exec_lo, s50
	s_mov_b32 s50, exec_lo
	v_cmpx_lt_u32_e64 v113, v152
	s_cbranch_execz .LBB530_213
.LBB530_283:                            ;   in Loop: Header=BB530_108 Depth=2
	global_load_dwordx2 v[33:34], v[39:40], off offset:512
	s_or_b32 exec_lo, exec_lo, s50
	s_mov_b32 s50, exec_lo
	v_cmpx_lt_u32_e64 v114, v152
	s_cbranch_execz .LBB530_214
.LBB530_284:                            ;   in Loop: Header=BB530_108 Depth=2
	global_load_dwordx2 v[31:32], v[39:40], off offset:768
	s_or_b32 exec_lo, exec_lo, s50
	s_mov_b32 s50, exec_lo
	v_cmpx_lt_u32_e64 v115, v152
	s_cbranch_execz .LBB530_215
.LBB530_285:                            ;   in Loop: Header=BB530_108 Depth=2
	global_load_dwordx2 v[29:30], v[39:40], off offset:1024
	s_or_b32 exec_lo, exec_lo, s50
	s_mov_b32 s50, exec_lo
	v_cmpx_lt_u32_e64 v116, v152
	s_cbranch_execz .LBB530_216
.LBB530_286:                            ;   in Loop: Header=BB530_108 Depth=2
	global_load_dwordx2 v[25:26], v[39:40], off offset:1280
	s_or_b32 exec_lo, exec_lo, s50
	s_mov_b32 s50, exec_lo
	v_cmpx_lt_u32_e64 v117, v152
	s_cbranch_execz .LBB530_217
.LBB530_287:                            ;   in Loop: Header=BB530_108 Depth=2
	global_load_dwordx2 v[21:22], v[39:40], off offset:1536
	s_or_b32 exec_lo, exec_lo, s50
	s_mov_b32 s50, exec_lo
	v_cmpx_lt_u32_e64 v118, v152
	s_cbranch_execz .LBB530_218
.LBB530_288:                            ;   in Loop: Header=BB530_108 Depth=2
	global_load_dwordx2 v[17:18], v[39:40], off offset:1792
	s_or_b32 exec_lo, exec_lo, s50
	s_mov_b32 s50, exec_lo
	v_cmpx_lt_u32_e64 v119, v152
	s_cbranch_execz .LBB530_219
.LBB530_289:                            ;   in Loop: Header=BB530_108 Depth=2
	v_add_co_u32 v27, s40, 0x800, v39
	v_add_co_ci_u32_e64 v28, null, 0, v40, s40
	global_load_dwordx2 v[27:28], v[27:28], off
	s_or_b32 exec_lo, exec_lo, s50
	s_mov_b32 s50, exec_lo
	v_cmpx_lt_u32_e64 v120, v152
	s_cbranch_execz .LBB530_220
.LBB530_290:                            ;   in Loop: Header=BB530_108 Depth=2
	v_add_co_u32 v23, s40, 0x800, v39
	v_add_co_ci_u32_e64 v24, null, 0, v40, s40
	global_load_dwordx2 v[23:24], v[23:24], off offset:256
	s_or_b32 exec_lo, exec_lo, s50
	s_mov_b32 s50, exec_lo
	v_cmpx_lt_u32_e64 v121, v152
	s_cbranch_execz .LBB530_221
.LBB530_291:                            ;   in Loop: Header=BB530_108 Depth=2
	v_add_co_u32 v19, s40, 0x800, v39
	v_add_co_ci_u32_e64 v20, null, 0, v40, s40
	global_load_dwordx2 v[19:20], v[19:20], off offset:512
	s_or_b32 exec_lo, exec_lo, s50
	s_mov_b32 s50, exec_lo
	v_cmpx_lt_u32_e64 v122, v152
	s_cbranch_execz .LBB530_222
.LBB530_292:                            ;   in Loop: Header=BB530_108 Depth=2
	v_add_co_u32 v15, s40, 0x800, v39
	v_add_co_ci_u32_e64 v16, null, 0, v40, s40
	global_load_dwordx2 v[15:16], v[15:16], off offset:768
	s_or_b32 exec_lo, exec_lo, s50
	s_mov_b32 s50, exec_lo
	v_cmpx_lt_u32_e64 v123, v152
	s_cbranch_execz .LBB530_223
.LBB530_293:                            ;   in Loop: Header=BB530_108 Depth=2
	v_add_co_u32 v13, s40, 0x800, v39
	v_add_co_ci_u32_e64 v14, null, 0, v40, s40
	global_load_dwordx2 v[13:14], v[13:14], off offset:1024
	s_or_b32 exec_lo, exec_lo, s50
	s_mov_b32 s50, exec_lo
	v_cmpx_lt_u32_e64 v124, v152
	s_cbranch_execz .LBB530_224
.LBB530_294:                            ;   in Loop: Header=BB530_108 Depth=2
	v_add_co_u32 v11, s40, 0x800, v39
	v_add_co_ci_u32_e64 v12, null, 0, v40, s40
	global_load_dwordx2 v[11:12], v[11:12], off offset:1280
	s_or_b32 exec_lo, exec_lo, s50
	s_mov_b32 s50, exec_lo
	v_cmpx_lt_u32_e64 v126, v152
	s_cbranch_execz .LBB530_225
.LBB530_295:                            ;   in Loop: Header=BB530_108 Depth=2
	v_add_co_u32 v9, s40, 0x800, v39
	v_add_co_ci_u32_e64 v10, null, 0, v40, s40
	global_load_dwordx2 v[9:10], v[9:10], off offset:1536
	s_or_b32 exec_lo, exec_lo, s50
	s_mov_b32 s50, exec_lo
	v_cmpx_lt_u32_e64 v127, v152
	s_cbranch_execz .LBB530_226
.LBB530_296:                            ;   in Loop: Header=BB530_108 Depth=2
	v_add_co_u32 v7, s40, 0x800, v39
	v_add_co_ci_u32_e64 v8, null, 0, v40, s40
	global_load_dwordx2 v[7:8], v[7:8], off offset:1792
	s_or_b32 exec_lo, exec_lo, s50
	s_mov_b32 s50, exec_lo
	v_cmpx_lt_u32_e64 v128, v152
	s_cbranch_execz .LBB530_227
.LBB530_297:                            ;   in Loop: Header=BB530_108 Depth=2
	v_add_co_u32 v5, s40, 0x1000, v39
	v_add_co_ci_u32_e64 v6, null, 0, v40, s40
	global_load_dwordx2 v[5:6], v[5:6], off
	s_or_b32 exec_lo, exec_lo, s50
	s_and_saveexec_b32 s40, vcc_lo
	s_cbranch_execz .LBB530_228
.LBB530_298:                            ;   in Loop: Header=BB530_108 Depth=2
	ds_read_b32 v3, v69 offset:512
	s_waitcnt lgkmcnt(0)
	v_lshrrev_b32_e32 v3, s61, v3
	v_and_b32_e32 v150, s62, v3
	s_or_b32 exec_lo, exec_lo, s40
	s_and_saveexec_b32 s40, s23
	s_cbranch_execz .LBB530_229
.LBB530_299:                            ;   in Loop: Header=BB530_108 Depth=2
	ds_read_b32 v3, v69 offset:1536
	s_waitcnt lgkmcnt(0)
	v_lshrrev_b32_e32 v3, s61, v3
	v_and_b32_e32 v149, s62, v3
	s_or_b32 exec_lo, exec_lo, s40
	s_and_saveexec_b32 s40, s24
	s_cbranch_execz .LBB530_230
.LBB530_300:                            ;   in Loop: Header=BB530_108 Depth=2
	ds_read_b32 v3, v69 offset:2560
	s_waitcnt lgkmcnt(0)
	v_lshrrev_b32_e32 v3, s61, v3
	v_and_b32_e32 v147, s62, v3
	s_or_b32 exec_lo, exec_lo, s40
	s_and_saveexec_b32 s40, s25
	s_cbranch_execz .LBB530_231
.LBB530_301:                            ;   in Loop: Header=BB530_108 Depth=2
	ds_read_b32 v3, v69 offset:3584
	s_waitcnt lgkmcnt(0)
	v_lshrrev_b32_e32 v3, s61, v3
	v_and_b32_e32 v146, s62, v3
	s_or_b32 exec_lo, exec_lo, s40
	s_and_saveexec_b32 s40, s26
	s_cbranch_execz .LBB530_232
.LBB530_302:                            ;   in Loop: Header=BB530_108 Depth=2
	ds_read_b32 v3, v69 offset:4608
	s_waitcnt lgkmcnt(0)
	v_lshrrev_b32_e32 v3, s61, v3
	v_and_b32_e32 v145, s62, v3
	s_or_b32 exec_lo, exec_lo, s40
	s_and_saveexec_b32 s40, s27
	s_cbranch_execz .LBB530_233
.LBB530_303:                            ;   in Loop: Header=BB530_108 Depth=2
	ds_read_b32 v3, v69 offset:5632
	s_waitcnt lgkmcnt(0)
	v_lshrrev_b32_e32 v3, s61, v3
	v_and_b32_e32 v144, s62, v3
	s_or_b32 exec_lo, exec_lo, s40
	s_and_saveexec_b32 s40, s28
	s_cbranch_execz .LBB530_234
.LBB530_304:                            ;   in Loop: Header=BB530_108 Depth=2
	ds_read_b32 v3, v69 offset:6656
	s_waitcnt lgkmcnt(0)
	v_lshrrev_b32_e32 v3, s61, v3
	v_and_b32_e32 v143, s62, v3
	s_or_b32 exec_lo, exec_lo, s40
	s_and_saveexec_b32 s40, s29
	s_cbranch_execz .LBB530_235
.LBB530_305:                            ;   in Loop: Header=BB530_108 Depth=2
	ds_read_b32 v3, v69 offset:7680
	s_waitcnt lgkmcnt(0)
	v_lshrrev_b32_e32 v3, s61, v3
	v_and_b32_e32 v142, s62, v3
	s_or_b32 exec_lo, exec_lo, s40
	s_and_saveexec_b32 s40, s30
	s_cbranch_execz .LBB530_236
.LBB530_306:                            ;   in Loop: Header=BB530_108 Depth=2
	ds_read_b32 v3, v69 offset:8704
	s_waitcnt lgkmcnt(0)
	v_lshrrev_b32_e32 v3, s61, v3
	v_and_b32_e32 v141, s62, v3
	s_or_b32 exec_lo, exec_lo, s40
	s_and_saveexec_b32 s40, s31
	s_cbranch_execz .LBB530_237
.LBB530_307:                            ;   in Loop: Header=BB530_108 Depth=2
	ds_read_b32 v3, v69 offset:9728
	s_waitcnt lgkmcnt(0)
	v_lshrrev_b32_e32 v3, s61, v3
	v_and_b32_e32 v140, s62, v3
	s_or_b32 exec_lo, exec_lo, s40
	s_and_saveexec_b32 s40, s33
	s_cbranch_execz .LBB530_238
.LBB530_308:                            ;   in Loop: Header=BB530_108 Depth=2
	ds_read_b32 v3, v69 offset:10752
	s_waitcnt lgkmcnt(0)
	v_lshrrev_b32_e32 v3, s61, v3
	v_and_b32_e32 v139, s62, v3
	s_or_b32 exec_lo, exec_lo, s40
	s_and_saveexec_b32 s40, s34
	s_cbranch_execz .LBB530_239
.LBB530_309:                            ;   in Loop: Header=BB530_108 Depth=2
	ds_read_b32 v3, v69 offset:11776
	s_waitcnt lgkmcnt(0)
	v_lshrrev_b32_e32 v3, s61, v3
	v_and_b32_e32 v138, s62, v3
	s_or_b32 exec_lo, exec_lo, s40
	s_and_saveexec_b32 s40, s35
	s_cbranch_execz .LBB530_240
.LBB530_310:                            ;   in Loop: Header=BB530_108 Depth=2
	ds_read_b32 v3, v69 offset:12800
	s_waitcnt lgkmcnt(0)
	v_lshrrev_b32_e32 v3, s61, v3
	v_and_b32_e32 v137, s62, v3
	s_or_b32 exec_lo, exec_lo, s40
	s_and_saveexec_b32 s40, s36
	s_cbranch_execz .LBB530_241
.LBB530_311:                            ;   in Loop: Header=BB530_108 Depth=2
	ds_read_b32 v3, v69 offset:13824
	s_waitcnt lgkmcnt(0)
	v_lshrrev_b32_e32 v3, s61, v3
	v_and_b32_e32 v136, s62, v3
	s_or_b32 exec_lo, exec_lo, s40
	s_and_saveexec_b32 s40, s37
	s_cbranch_execz .LBB530_242
.LBB530_312:                            ;   in Loop: Header=BB530_108 Depth=2
	ds_read_b32 v3, v69 offset:14848
	s_waitcnt lgkmcnt(0)
	v_lshrrev_b32_e32 v3, s61, v3
	v_and_b32_e32 v135, s62, v3
	s_or_b32 exec_lo, exec_lo, s40
	s_and_saveexec_b32 s40, s38
	s_cbranch_execz .LBB530_243
.LBB530_313:                            ;   in Loop: Header=BB530_108 Depth=2
	ds_read_b32 v3, v69 offset:15872
	s_waitcnt lgkmcnt(0)
	v_lshrrev_b32_e32 v3, s61, v3
	v_and_b32_e32 v134, s62, v3
	s_or_b32 exec_lo, exec_lo, s40
	s_and_saveexec_b32 s40, s39
	s_cbranch_execnz .LBB530_244
	s_branch .LBB530_245
.LBB530_314:                            ;   in Loop: Header=BB530_108 Depth=2
	v_lshlrev_b32_e32 v3, 2, v150
	v_add_nc_u32_e32 v39, v69, v43
	ds_read_b32 v3, v3
	ds_read_b64 v[39:40], v39 offset:512
	s_waitcnt lgkmcnt(1)
	v_add_nc_u32_e32 v3, v3, v0
	v_lshlrev_b64 v[41:42], 3, v[3:4]
	v_add_co_u32 v41, vcc_lo, s52, v41
	v_add_co_ci_u32_e64 v42, null, s53, v42, vcc_lo
	s_waitcnt lgkmcnt(0)
	global_store_dwordx2 v[41:42], v[39:40], off
	s_or_b32 exec_lo, exec_lo, s40
	s_and_saveexec_b32 s40, s23
	s_cbranch_execz .LBB530_247
.LBB530_315:                            ;   in Loop: Header=BB530_108 Depth=2
	v_lshlrev_b32_e32 v3, 2, v149
	v_add_nc_u32_e32 v39, v69, v43
	ds_read_b32 v3, v3
	ds_read_b64 v[39:40], v39 offset:2560
	s_waitcnt lgkmcnt(1)
	v_add_nc_u32_e32 v3, v3, v44
	v_lshlrev_b64 v[41:42], 3, v[3:4]
	v_add_co_u32 v41, vcc_lo, s52, v41
	v_add_co_ci_u32_e64 v42, null, s53, v42, vcc_lo
	s_waitcnt lgkmcnt(0)
	global_store_dwordx2 v[41:42], v[39:40], off
	s_or_b32 exec_lo, exec_lo, s40
	s_and_saveexec_b32 s23, s24
	s_cbranch_execz .LBB530_248
.LBB530_316:                            ;   in Loop: Header=BB530_108 Depth=2
	v_lshlrev_b32_e32 v3, 2, v147
	v_add_nc_u32_e32 v39, v69, v43
	ds_read_b32 v3, v3
	ds_read_b64 v[39:40], v39 offset:4608
	s_waitcnt lgkmcnt(1)
	v_add_nc_u32_e32 v3, v3, v47
	v_lshlrev_b64 v[41:42], 3, v[3:4]
	v_add_co_u32 v41, vcc_lo, s52, v41
	v_add_co_ci_u32_e64 v42, null, s53, v42, vcc_lo
	s_waitcnt lgkmcnt(0)
	global_store_dwordx2 v[41:42], v[39:40], off
	s_or_b32 exec_lo, exec_lo, s23
	s_and_saveexec_b32 s23, s25
	s_cbranch_execz .LBB530_249
.LBB530_317:                            ;   in Loop: Header=BB530_108 Depth=2
	v_lshlrev_b32_e32 v3, 2, v146
	v_add_nc_u32_e32 v39, v69, v43
	ds_read_b32 v3, v3
	ds_read_b64 v[39:40], v39 offset:6656
	s_waitcnt lgkmcnt(1)
	v_add_nc_u32_e32 v3, v3, v48
	v_lshlrev_b64 v[41:42], 3, v[3:4]
	v_add_co_u32 v41, vcc_lo, s52, v41
	v_add_co_ci_u32_e64 v42, null, s53, v42, vcc_lo
	s_waitcnt lgkmcnt(0)
	global_store_dwordx2 v[41:42], v[39:40], off
	s_or_b32 exec_lo, exec_lo, s23
	s_and_saveexec_b32 s23, s26
	s_cbranch_execz .LBB530_250
.LBB530_318:                            ;   in Loop: Header=BB530_108 Depth=2
	v_lshlrev_b32_e32 v3, 2, v145
	v_add_nc_u32_e32 v39, v69, v43
	ds_read_b32 v3, v3
	ds_read_b64 v[39:40], v39 offset:8704
	s_waitcnt lgkmcnt(1)
	v_add_nc_u32_e32 v3, v3, v49
	v_lshlrev_b64 v[41:42], 3, v[3:4]
	v_add_co_u32 v41, vcc_lo, s52, v41
	v_add_co_ci_u32_e64 v42, null, s53, v42, vcc_lo
	s_waitcnt lgkmcnt(0)
	global_store_dwordx2 v[41:42], v[39:40], off
	s_or_b32 exec_lo, exec_lo, s23
	s_and_saveexec_b32 s23, s27
	s_cbranch_execz .LBB530_251
.LBB530_319:                            ;   in Loop: Header=BB530_108 Depth=2
	v_lshlrev_b32_e32 v3, 2, v144
	v_add_nc_u32_e32 v39, v69, v43
	ds_read_b32 v3, v3
	ds_read_b64 v[39:40], v39 offset:10752
	s_waitcnt lgkmcnt(1)
	v_add_nc_u32_e32 v3, v3, v50
	v_lshlrev_b64 v[41:42], 3, v[3:4]
	v_add_co_u32 v41, vcc_lo, s52, v41
	v_add_co_ci_u32_e64 v42, null, s53, v42, vcc_lo
	s_waitcnt lgkmcnt(0)
	global_store_dwordx2 v[41:42], v[39:40], off
	s_or_b32 exec_lo, exec_lo, s23
	s_and_saveexec_b32 s23, s28
	s_cbranch_execz .LBB530_252
.LBB530_320:                            ;   in Loop: Header=BB530_108 Depth=2
	v_lshlrev_b32_e32 v3, 2, v143
	v_add_nc_u32_e32 v39, v69, v43
	ds_read_b32 v3, v3
	ds_read_b64 v[39:40], v39 offset:12800
	s_waitcnt lgkmcnt(1)
	v_add_nc_u32_e32 v3, v3, v51
	v_lshlrev_b64 v[41:42], 3, v[3:4]
	v_add_co_u32 v41, vcc_lo, s52, v41
	v_add_co_ci_u32_e64 v42, null, s53, v42, vcc_lo
	s_waitcnt lgkmcnt(0)
	global_store_dwordx2 v[41:42], v[39:40], off
	s_or_b32 exec_lo, exec_lo, s23
	s_and_saveexec_b32 s23, s29
	s_cbranch_execz .LBB530_253
.LBB530_321:                            ;   in Loop: Header=BB530_108 Depth=2
	v_lshlrev_b32_e32 v3, 2, v142
	v_add_nc_u32_e32 v39, v69, v43
	ds_read_b32 v3, v3
	ds_read_b64 v[39:40], v39 offset:14848
	s_waitcnt lgkmcnt(1)
	v_add_nc_u32_e32 v3, v3, v52
	v_lshlrev_b64 v[41:42], 3, v[3:4]
	v_add_co_u32 v41, vcc_lo, s52, v41
	v_add_co_ci_u32_e64 v42, null, s53, v42, vcc_lo
	s_waitcnt lgkmcnt(0)
	global_store_dwordx2 v[41:42], v[39:40], off
	s_or_b32 exec_lo, exec_lo, s23
	s_and_saveexec_b32 s23, s30
	s_cbranch_execz .LBB530_254
.LBB530_322:                            ;   in Loop: Header=BB530_108 Depth=2
	v_lshlrev_b32_e32 v3, 2, v141
	v_add_nc_u32_e32 v39, v69, v43
	ds_read_b32 v3, v3
	ds_read_b64 v[39:40], v39 offset:16896
	s_waitcnt lgkmcnt(1)
	v_add_nc_u32_e32 v3, v3, v53
	v_lshlrev_b64 v[41:42], 3, v[3:4]
	v_add_co_u32 v41, vcc_lo, s52, v41
	v_add_co_ci_u32_e64 v42, null, s53, v42, vcc_lo
	s_waitcnt lgkmcnt(0)
	global_store_dwordx2 v[41:42], v[39:40], off
	s_or_b32 exec_lo, exec_lo, s23
	s_and_saveexec_b32 s23, s31
	s_cbranch_execz .LBB530_255
.LBB530_323:                            ;   in Loop: Header=BB530_108 Depth=2
	v_lshlrev_b32_e32 v3, 2, v140
	v_add_nc_u32_e32 v39, v69, v43
	ds_read_b32 v3, v3
	ds_read_b64 v[39:40], v39 offset:18944
	s_waitcnt lgkmcnt(1)
	v_add_nc_u32_e32 v3, v3, v54
	v_lshlrev_b64 v[41:42], 3, v[3:4]
	v_add_co_u32 v41, vcc_lo, s52, v41
	v_add_co_ci_u32_e64 v42, null, s53, v42, vcc_lo
	s_waitcnt lgkmcnt(0)
	global_store_dwordx2 v[41:42], v[39:40], off
	s_or_b32 exec_lo, exec_lo, s23
	s_and_saveexec_b32 s23, s33
	s_cbranch_execz .LBB530_256
.LBB530_324:                            ;   in Loop: Header=BB530_108 Depth=2
	v_lshlrev_b32_e32 v3, 2, v139
	v_add_nc_u32_e32 v39, v69, v43
	ds_read_b32 v3, v3
	ds_read_b64 v[39:40], v39 offset:20992
	s_waitcnt lgkmcnt(1)
	v_add_nc_u32_e32 v3, v3, v55
	v_lshlrev_b64 v[41:42], 3, v[3:4]
	v_add_co_u32 v41, vcc_lo, s52, v41
	v_add_co_ci_u32_e64 v42, null, s53, v42, vcc_lo
	s_waitcnt lgkmcnt(0)
	global_store_dwordx2 v[41:42], v[39:40], off
	s_or_b32 exec_lo, exec_lo, s23
	s_and_saveexec_b32 s23, s34
	s_cbranch_execz .LBB530_257
.LBB530_325:                            ;   in Loop: Header=BB530_108 Depth=2
	v_lshlrev_b32_e32 v3, 2, v138
	v_add_nc_u32_e32 v39, v69, v43
	ds_read_b32 v3, v3
	ds_read_b64 v[39:40], v39 offset:23040
	s_waitcnt lgkmcnt(1)
	v_add_nc_u32_e32 v3, v3, v56
	v_lshlrev_b64 v[41:42], 3, v[3:4]
	v_add_co_u32 v41, vcc_lo, s52, v41
	v_add_co_ci_u32_e64 v42, null, s53, v42, vcc_lo
	s_waitcnt lgkmcnt(0)
	global_store_dwordx2 v[41:42], v[39:40], off
	s_or_b32 exec_lo, exec_lo, s23
	s_and_saveexec_b32 s23, s35
	s_cbranch_execz .LBB530_258
.LBB530_326:                            ;   in Loop: Header=BB530_108 Depth=2
	v_lshlrev_b32_e32 v3, 2, v137
	v_add_nc_u32_e32 v39, v69, v43
	ds_read_b32 v3, v3
	ds_read_b64 v[39:40], v39 offset:25088
	s_waitcnt lgkmcnt(1)
	v_add_nc_u32_e32 v3, v3, v57
	v_lshlrev_b64 v[41:42], 3, v[3:4]
	v_add_co_u32 v41, vcc_lo, s52, v41
	v_add_co_ci_u32_e64 v42, null, s53, v42, vcc_lo
	s_waitcnt lgkmcnt(0)
	global_store_dwordx2 v[41:42], v[39:40], off
	s_or_b32 exec_lo, exec_lo, s23
	s_and_saveexec_b32 s23, s36
	s_cbranch_execz .LBB530_259
.LBB530_327:                            ;   in Loop: Header=BB530_108 Depth=2
	v_lshlrev_b32_e32 v3, 2, v136
	v_add_nc_u32_e32 v39, v69, v43
	ds_read_b32 v3, v3
	ds_read_b64 v[39:40], v39 offset:27136
	s_waitcnt lgkmcnt(1)
	v_add_nc_u32_e32 v3, v3, v58
	v_lshlrev_b64 v[41:42], 3, v[3:4]
	v_add_co_u32 v41, vcc_lo, s52, v41
	v_add_co_ci_u32_e64 v42, null, s53, v42, vcc_lo
	s_waitcnt lgkmcnt(0)
	global_store_dwordx2 v[41:42], v[39:40], off
	s_or_b32 exec_lo, exec_lo, s23
	s_and_saveexec_b32 s23, s37
	s_cbranch_execz .LBB530_260
.LBB530_328:                            ;   in Loop: Header=BB530_108 Depth=2
	v_lshlrev_b32_e32 v3, 2, v135
	v_add_nc_u32_e32 v39, v69, v43
	ds_read_b32 v3, v3
	ds_read_b64 v[39:40], v39 offset:29184
	s_waitcnt lgkmcnt(1)
	v_add_nc_u32_e32 v3, v3, v59
	v_lshlrev_b64 v[41:42], 3, v[3:4]
	v_add_co_u32 v41, vcc_lo, s52, v41
	v_add_co_ci_u32_e64 v42, null, s53, v42, vcc_lo
	s_waitcnt lgkmcnt(0)
	global_store_dwordx2 v[41:42], v[39:40], off
	s_or_b32 exec_lo, exec_lo, s23
	s_and_saveexec_b32 s23, s38
	s_cbranch_execz .LBB530_261
.LBB530_329:                            ;   in Loop: Header=BB530_108 Depth=2
	v_lshlrev_b32_e32 v3, 2, v134
	v_add_nc_u32_e32 v39, v69, v43
	ds_read_b32 v3, v3
	ds_read_b64 v[39:40], v39 offset:31232
	s_waitcnt lgkmcnt(1)
	v_add_nc_u32_e32 v3, v3, v60
	v_lshlrev_b64 v[41:42], 3, v[3:4]
	v_add_co_u32 v41, vcc_lo, s52, v41
	v_add_co_ci_u32_e64 v42, null, s53, v42, vcc_lo
	s_waitcnt lgkmcnt(0)
	global_store_dwordx2 v[41:42], v[39:40], off
	s_or_b32 exec_lo, exec_lo, s23
	s_and_saveexec_b32 s23, s39
	s_cbranch_execnz .LBB530_262
	s_branch .LBB530_263
.LBB530_330:                            ;   in Loop: Header=BB530_20 Depth=1
	s_waitcnt lgkmcnt(0)
	s_mov_b32 s5, 0
	s_barrier
.LBB530_331:                            ;   in Loop: Header=BB530_20 Depth=1
	s_and_b32 vcc_lo, exec_lo, s5
	s_cbranch_vccz .LBB530_641
; %bb.332:                              ;   in Loop: Header=BB530_20 Depth=1
	s_mov_b32 s5, s60
	s_mov_b32 s50, s58
	s_barrier
	buffer_gl0_inv
                                        ; implicit-def: $vgpr3
                                        ; implicit-def: $vgpr5
                                        ; implicit-def: $vgpr6
                                        ; implicit-def: $vgpr7
                                        ; implicit-def: $vgpr8
                                        ; implicit-def: $vgpr9
                                        ; implicit-def: $vgpr10
                                        ; implicit-def: $vgpr11
                                        ; implicit-def: $vgpr12
                                        ; implicit-def: $vgpr13
                                        ; implicit-def: $vgpr14
                                        ; implicit-def: $vgpr15
                                        ; implicit-def: $vgpr16
                                        ; implicit-def: $vgpr17
                                        ; implicit-def: $vgpr18
                                        ; implicit-def: $vgpr19
                                        ; implicit-def: $vgpr20
	s_branch .LBB530_334
.LBB530_333:                            ;   in Loop: Header=BB530_334 Depth=2
	s_or_b32 exec_lo, exec_lo, s16
	s_addk_i32 s5, 0xef00
	s_cmp_ge_u32 s18, s59
	s_mov_b32 s50, s18
	s_cbranch_scc1 .LBB530_406
.LBB530_334:                            ;   Parent Loop BB530_20 Depth=1
                                        ; =>  This Inner Loop Header: Depth=2
	s_add_i32 s18, s50, 0x1100
	s_mov_b32 s16, -1
	s_cmp_gt_u32 s18, s59
                                        ; implicit-def: $vgpr21
                                        ; implicit-def: $vgpr22
                                        ; implicit-def: $vgpr25
                                        ; implicit-def: $vgpr23
                                        ; implicit-def: $vgpr27
                                        ; implicit-def: $vgpr24
                                        ; implicit-def: $vgpr29
                                        ; implicit-def: $vgpr26
                                        ; implicit-def: $vgpr31
                                        ; implicit-def: $vgpr28
                                        ; implicit-def: $vgpr33
                                        ; implicit-def: $vgpr30
                                        ; implicit-def: $vgpr34
                                        ; implicit-def: $vgpr32
                                        ; implicit-def: $vgpr35
                                        ; implicit-def: $vgpr36
                                        ; implicit-def: $vgpr37
	s_cbranch_scc1 .LBB530_336
; %bb.335:                              ;   in Loop: Header=BB530_334 Depth=2
	s_lshl_b64 s[16:17], s[50:51], 2
	v_add_co_u32 v33, vcc_lo, v72, s16
	v_add_co_ci_u32_e64 v34, null, s17, v73, vcc_lo
	s_mov_b32 s16, 0
	v_add_co_u32 v23, vcc_lo, 0x800, v33
	v_add_co_ci_u32_e64 v24, null, 0, v34, vcc_lo
	v_add_co_u32 v35, vcc_lo, v33, 0x1000
	v_add_co_ci_u32_e64 v36, null, 0, v34, vcc_lo
	;; [unrolled: 2-line block ×9, first 2 shown]
	s_clause 0x7
	global_load_dword v21, v[33:34], off
	global_load_dword v22, v[33:34], off offset:1024
	global_load_dword v23, v[23:24], off offset:1024
	;; [unrolled: 1-line block ×7, first 2 shown]
	v_add_co_u32 v41, vcc_lo, 0x3800, v33
	v_add_co_ci_u32_e64 v42, null, 0, v34, vcc_lo
	v_add_co_u32 v131, vcc_lo, v33, 0x4000
	v_add_co_ci_u32_e64 v132, null, 0, v34, vcc_lo
	s_clause 0x8
	global_load_dword v25, v[35:36], off offset:-2048
	global_load_dword v27, v[35:36], off
	global_load_dword v29, v[37:38], off offset:-2048
	global_load_dword v31, v[37:38], off
	;; [unrolled: 2-line block ×3, first 2 shown]
	global_load_dword v35, v[131:132], off offset:-2048
	global_load_dword v36, v[41:42], off offset:1024
	global_load_dword v37, v[131:132], off
.LBB530_336:                            ;   in Loop: Header=BB530_334 Depth=2
	s_andn2_b32 vcc_lo, exec_lo, s16
	s_movk_i32 s16, 0x1100
	s_cbranch_vccnz .LBB530_356
; %bb.337:                              ;   in Loop: Header=BB530_334 Depth=2
	s_lshl_b64 s[16:17], s[50:51], 2
	s_mov_b32 s19, exec_lo
	s_add_u32 s16, s46, s16
	s_addc_u32 s17, s47, s17
	v_cmpx_gt_u32_e64 s5, v0
	s_cbranch_execnz .LBB530_390
; %bb.338:                              ;   in Loop: Header=BB530_334 Depth=2
	s_or_b32 exec_lo, exec_lo, s19
	s_mov_b32 s19, exec_lo
	v_cmpx_gt_u32_e64 s5, v44
	s_cbranch_execnz .LBB530_391
.LBB530_339:                            ;   in Loop: Header=BB530_334 Depth=2
	s_or_b32 exec_lo, exec_lo, s19
	s_mov_b32 s19, exec_lo
	v_cmpx_gt_u32_e64 s5, v47
	s_cbranch_execnz .LBB530_392
.LBB530_340:                            ;   in Loop: Header=BB530_334 Depth=2
	s_or_b32 exec_lo, exec_lo, s19
	s_mov_b32 s19, exec_lo
	v_cmpx_gt_u32_e64 s5, v48
	s_cbranch_execnz .LBB530_393
.LBB530_341:                            ;   in Loop: Header=BB530_334 Depth=2
	s_or_b32 exec_lo, exec_lo, s19
	s_mov_b32 s19, exec_lo
	v_cmpx_gt_u32_e64 s5, v49
	s_cbranch_execnz .LBB530_394
.LBB530_342:                            ;   in Loop: Header=BB530_334 Depth=2
	s_or_b32 exec_lo, exec_lo, s19
	s_mov_b32 s19, exec_lo
	v_cmpx_gt_u32_e64 s5, v50
	s_cbranch_execnz .LBB530_395
.LBB530_343:                            ;   in Loop: Header=BB530_334 Depth=2
	s_or_b32 exec_lo, exec_lo, s19
	s_mov_b32 s19, exec_lo
	v_cmpx_gt_u32_e64 s5, v51
	s_cbranch_execnz .LBB530_396
.LBB530_344:                            ;   in Loop: Header=BB530_334 Depth=2
	s_or_b32 exec_lo, exec_lo, s19
	s_mov_b32 s19, exec_lo
	v_cmpx_gt_u32_e64 s5, v52
	s_cbranch_execnz .LBB530_397
.LBB530_345:                            ;   in Loop: Header=BB530_334 Depth=2
	s_or_b32 exec_lo, exec_lo, s19
	s_mov_b32 s19, exec_lo
	v_cmpx_gt_u32_e64 s5, v53
	s_cbranch_execnz .LBB530_398
.LBB530_346:                            ;   in Loop: Header=BB530_334 Depth=2
	s_or_b32 exec_lo, exec_lo, s19
	s_mov_b32 s19, exec_lo
	v_cmpx_gt_u32_e64 s5, v54
	s_cbranch_execnz .LBB530_399
.LBB530_347:                            ;   in Loop: Header=BB530_334 Depth=2
	s_or_b32 exec_lo, exec_lo, s19
	s_mov_b32 s19, exec_lo
	v_cmpx_gt_u32_e64 s5, v55
	s_cbranch_execnz .LBB530_400
.LBB530_348:                            ;   in Loop: Header=BB530_334 Depth=2
	s_or_b32 exec_lo, exec_lo, s19
	s_mov_b32 s19, exec_lo
	v_cmpx_gt_u32_e64 s5, v56
	s_cbranch_execnz .LBB530_401
.LBB530_349:                            ;   in Loop: Header=BB530_334 Depth=2
	s_or_b32 exec_lo, exec_lo, s19
	s_mov_b32 s19, exec_lo
	v_cmpx_gt_u32_e64 s5, v57
	s_cbranch_execnz .LBB530_402
.LBB530_350:                            ;   in Loop: Header=BB530_334 Depth=2
	s_or_b32 exec_lo, exec_lo, s19
	s_mov_b32 s19, exec_lo
	v_cmpx_gt_u32_e64 s5, v58
	s_cbranch_execnz .LBB530_403
.LBB530_351:                            ;   in Loop: Header=BB530_334 Depth=2
	s_or_b32 exec_lo, exec_lo, s19
	s_mov_b32 s19, exec_lo
	v_cmpx_gt_u32_e64 s5, v59
	s_cbranch_execnz .LBB530_404
.LBB530_352:                            ;   in Loop: Header=BB530_334 Depth=2
	s_or_b32 exec_lo, exec_lo, s19
	s_mov_b32 s19, exec_lo
	v_cmpx_gt_u32_e64 s5, v60
	s_cbranch_execnz .LBB530_405
.LBB530_353:                            ;   in Loop: Header=BB530_334 Depth=2
	s_or_b32 exec_lo, exec_lo, s19
	s_mov_b32 s19, exec_lo
	v_cmpx_gt_u32_e64 s5, v61
	s_cbranch_execz .LBB530_355
.LBB530_354:                            ;   in Loop: Header=BB530_334 Depth=2
	global_load_dword v3, v107, s[16:17]
.LBB530_355:                            ;   in Loop: Header=BB530_334 Depth=2
	s_or_b32 exec_lo, exec_lo, s19
	s_waitcnt vmcnt(0)
	v_mov_b32_e32 v21, v20
	v_mov_b32_e32 v22, v19
	v_mov_b32_e32 v25, v18
	v_mov_b32_e32 v23, v17
	v_mov_b32_e32 v27, v16
	v_mov_b32_e32 v24, v15
	v_mov_b32_e32 v29, v14
	v_mov_b32_e32 v26, v13
	v_mov_b32_e32 v31, v12
	v_mov_b32_e32 v28, v11
	v_mov_b32_e32 v33, v10
	v_mov_b32_e32 v30, v9
	v_mov_b32_e32 v34, v8
	v_mov_b32_e32 v32, v7
	v_mov_b32_e32 v35, v6
	v_mov_b32_e32 v36, v5
	v_mov_b32_e32 v37, v3
	s_mov_b32 s16, s5
.LBB530_356:                            ;   in Loop: Header=BB530_334 Depth=2
	s_waitcnt vmcnt(0)
	v_mov_b32_e32 v3, v37
	v_mov_b32_e32 v5, v36
	;; [unrolled: 1-line block ×17, first 2 shown]
	s_mov_b32 s17, exec_lo
	v_cmpx_gt_u32_e64 s16, v0
	s_cbranch_execnz .LBB530_373
; %bb.357:                              ;   in Loop: Header=BB530_334 Depth=2
	s_or_b32 exec_lo, exec_lo, s17
	s_mov_b32 s17, exec_lo
	v_cmpx_gt_u32_e64 s16, v44
	s_cbranch_execnz .LBB530_374
.LBB530_358:                            ;   in Loop: Header=BB530_334 Depth=2
	s_or_b32 exec_lo, exec_lo, s17
	s_mov_b32 s17, exec_lo
	v_cmpx_gt_u32_e64 s16, v47
	s_cbranch_execnz .LBB530_375
.LBB530_359:                            ;   in Loop: Header=BB530_334 Depth=2
	s_or_b32 exec_lo, exec_lo, s17
	s_mov_b32 s17, exec_lo
	v_cmpx_gt_u32_e64 s16, v48
	s_cbranch_execnz .LBB530_376
.LBB530_360:                            ;   in Loop: Header=BB530_334 Depth=2
	s_or_b32 exec_lo, exec_lo, s17
	s_mov_b32 s17, exec_lo
	v_cmpx_gt_u32_e64 s16, v49
	s_cbranch_execnz .LBB530_377
.LBB530_361:                            ;   in Loop: Header=BB530_334 Depth=2
	s_or_b32 exec_lo, exec_lo, s17
	s_mov_b32 s17, exec_lo
	v_cmpx_gt_u32_e64 s16, v50
	s_cbranch_execnz .LBB530_378
.LBB530_362:                            ;   in Loop: Header=BB530_334 Depth=2
	s_or_b32 exec_lo, exec_lo, s17
	s_mov_b32 s17, exec_lo
	v_cmpx_gt_u32_e64 s16, v51
	s_cbranch_execnz .LBB530_379
.LBB530_363:                            ;   in Loop: Header=BB530_334 Depth=2
	s_or_b32 exec_lo, exec_lo, s17
	s_mov_b32 s17, exec_lo
	v_cmpx_gt_u32_e64 s16, v52
	s_cbranch_execnz .LBB530_380
.LBB530_364:                            ;   in Loop: Header=BB530_334 Depth=2
	s_or_b32 exec_lo, exec_lo, s17
	s_mov_b32 s17, exec_lo
	v_cmpx_gt_u32_e64 s16, v53
	s_cbranch_execnz .LBB530_381
.LBB530_365:                            ;   in Loop: Header=BB530_334 Depth=2
	s_or_b32 exec_lo, exec_lo, s17
	s_mov_b32 s17, exec_lo
	v_cmpx_gt_u32_e64 s16, v54
	s_cbranch_execnz .LBB530_382
.LBB530_366:                            ;   in Loop: Header=BB530_334 Depth=2
	s_or_b32 exec_lo, exec_lo, s17
	s_mov_b32 s17, exec_lo
	v_cmpx_gt_u32_e64 s16, v55
	s_cbranch_execnz .LBB530_383
.LBB530_367:                            ;   in Loop: Header=BB530_334 Depth=2
	s_or_b32 exec_lo, exec_lo, s17
	s_mov_b32 s17, exec_lo
	v_cmpx_gt_u32_e64 s16, v56
	s_cbranch_execnz .LBB530_384
.LBB530_368:                            ;   in Loop: Header=BB530_334 Depth=2
	s_or_b32 exec_lo, exec_lo, s17
	s_mov_b32 s17, exec_lo
	v_cmpx_gt_u32_e64 s16, v57
	s_cbranch_execnz .LBB530_385
.LBB530_369:                            ;   in Loop: Header=BB530_334 Depth=2
	s_or_b32 exec_lo, exec_lo, s17
	s_mov_b32 s17, exec_lo
	v_cmpx_gt_u32_e64 s16, v58
	s_cbranch_execnz .LBB530_386
.LBB530_370:                            ;   in Loop: Header=BB530_334 Depth=2
	s_or_b32 exec_lo, exec_lo, s17
	s_mov_b32 s17, exec_lo
	v_cmpx_gt_u32_e64 s16, v59
	s_cbranch_execnz .LBB530_387
.LBB530_371:                            ;   in Loop: Header=BB530_334 Depth=2
	s_or_b32 exec_lo, exec_lo, s17
	s_mov_b32 s17, exec_lo
	v_cmpx_gt_u32_e64 s16, v60
	s_cbranch_execnz .LBB530_388
.LBB530_372:                            ;   in Loop: Header=BB530_334 Depth=2
	s_or_b32 exec_lo, exec_lo, s17
	v_cmp_gt_u32_e32 vcc_lo, s16, v61
	s_and_saveexec_b32 s16, vcc_lo
	s_cbranch_execz .LBB530_333
	s_branch .LBB530_389
.LBB530_373:                            ;   in Loop: Header=BB530_334 Depth=2
	v_xor_b32_e32 v21, 0x7fffffff, v20
	v_lshrrev_b32_e32 v21, s61, v21
	v_and_b32_e32 v21, s62, v21
	v_lshl_or_b32 v21, v21, 4, v63
	ds_add_u32 v21, v85
	s_or_b32 exec_lo, exec_lo, s17
	s_mov_b32 s17, exec_lo
	v_cmpx_gt_u32_e64 s16, v44
	s_cbranch_execz .LBB530_358
.LBB530_374:                            ;   in Loop: Header=BB530_334 Depth=2
	v_xor_b32_e32 v21, 0x7fffffff, v19
	v_lshrrev_b32_e32 v21, s61, v21
	v_and_b32_e32 v21, s62, v21
	v_lshl_or_b32 v21, v21, 4, v63
	ds_add_u32 v21, v85
	s_or_b32 exec_lo, exec_lo, s17
	s_mov_b32 s17, exec_lo
	v_cmpx_gt_u32_e64 s16, v47
	s_cbranch_execz .LBB530_359
.LBB530_375:                            ;   in Loop: Header=BB530_334 Depth=2
	v_xor_b32_e32 v21, 0x7fffffff, v18
	v_lshrrev_b32_e32 v21, s61, v21
	v_and_b32_e32 v21, s62, v21
	v_lshl_or_b32 v21, v21, 4, v63
	ds_add_u32 v21, v85
	s_or_b32 exec_lo, exec_lo, s17
	s_mov_b32 s17, exec_lo
	v_cmpx_gt_u32_e64 s16, v48
	s_cbranch_execz .LBB530_360
.LBB530_376:                            ;   in Loop: Header=BB530_334 Depth=2
	v_xor_b32_e32 v21, 0x7fffffff, v17
	v_lshrrev_b32_e32 v21, s61, v21
	v_and_b32_e32 v21, s62, v21
	v_lshl_or_b32 v21, v21, 4, v63
	ds_add_u32 v21, v85
	s_or_b32 exec_lo, exec_lo, s17
	s_mov_b32 s17, exec_lo
	v_cmpx_gt_u32_e64 s16, v49
	s_cbranch_execz .LBB530_361
.LBB530_377:                            ;   in Loop: Header=BB530_334 Depth=2
	v_xor_b32_e32 v21, 0x7fffffff, v16
	v_lshrrev_b32_e32 v21, s61, v21
	v_and_b32_e32 v21, s62, v21
	v_lshl_or_b32 v21, v21, 4, v63
	ds_add_u32 v21, v85
	s_or_b32 exec_lo, exec_lo, s17
	s_mov_b32 s17, exec_lo
	v_cmpx_gt_u32_e64 s16, v50
	s_cbranch_execz .LBB530_362
.LBB530_378:                            ;   in Loop: Header=BB530_334 Depth=2
	v_xor_b32_e32 v21, 0x7fffffff, v15
	v_lshrrev_b32_e32 v21, s61, v21
	v_and_b32_e32 v21, s62, v21
	v_lshl_or_b32 v21, v21, 4, v63
	ds_add_u32 v21, v85
	s_or_b32 exec_lo, exec_lo, s17
	s_mov_b32 s17, exec_lo
	v_cmpx_gt_u32_e64 s16, v51
	s_cbranch_execz .LBB530_363
.LBB530_379:                            ;   in Loop: Header=BB530_334 Depth=2
	v_xor_b32_e32 v21, 0x7fffffff, v14
	v_lshrrev_b32_e32 v21, s61, v21
	v_and_b32_e32 v21, s62, v21
	v_lshl_or_b32 v21, v21, 4, v63
	ds_add_u32 v21, v85
	s_or_b32 exec_lo, exec_lo, s17
	s_mov_b32 s17, exec_lo
	v_cmpx_gt_u32_e64 s16, v52
	s_cbranch_execz .LBB530_364
.LBB530_380:                            ;   in Loop: Header=BB530_334 Depth=2
	v_xor_b32_e32 v21, 0x7fffffff, v13
	v_lshrrev_b32_e32 v21, s61, v21
	v_and_b32_e32 v21, s62, v21
	v_lshl_or_b32 v21, v21, 4, v63
	ds_add_u32 v21, v85
	s_or_b32 exec_lo, exec_lo, s17
	s_mov_b32 s17, exec_lo
	v_cmpx_gt_u32_e64 s16, v53
	s_cbranch_execz .LBB530_365
.LBB530_381:                            ;   in Loop: Header=BB530_334 Depth=2
	v_xor_b32_e32 v21, 0x7fffffff, v12
	v_lshrrev_b32_e32 v21, s61, v21
	v_and_b32_e32 v21, s62, v21
	v_lshl_or_b32 v21, v21, 4, v63
	ds_add_u32 v21, v85
	s_or_b32 exec_lo, exec_lo, s17
	s_mov_b32 s17, exec_lo
	v_cmpx_gt_u32_e64 s16, v54
	s_cbranch_execz .LBB530_366
.LBB530_382:                            ;   in Loop: Header=BB530_334 Depth=2
	v_xor_b32_e32 v21, 0x7fffffff, v11
	v_lshrrev_b32_e32 v21, s61, v21
	v_and_b32_e32 v21, s62, v21
	v_lshl_or_b32 v21, v21, 4, v63
	ds_add_u32 v21, v85
	s_or_b32 exec_lo, exec_lo, s17
	s_mov_b32 s17, exec_lo
	v_cmpx_gt_u32_e64 s16, v55
	s_cbranch_execz .LBB530_367
.LBB530_383:                            ;   in Loop: Header=BB530_334 Depth=2
	v_xor_b32_e32 v21, 0x7fffffff, v10
	v_lshrrev_b32_e32 v21, s61, v21
	v_and_b32_e32 v21, s62, v21
	v_lshl_or_b32 v21, v21, 4, v63
	ds_add_u32 v21, v85
	s_or_b32 exec_lo, exec_lo, s17
	s_mov_b32 s17, exec_lo
	v_cmpx_gt_u32_e64 s16, v56
	s_cbranch_execz .LBB530_368
.LBB530_384:                            ;   in Loop: Header=BB530_334 Depth=2
	v_xor_b32_e32 v21, 0x7fffffff, v9
	v_lshrrev_b32_e32 v21, s61, v21
	v_and_b32_e32 v21, s62, v21
	v_lshl_or_b32 v21, v21, 4, v63
	ds_add_u32 v21, v85
	s_or_b32 exec_lo, exec_lo, s17
	s_mov_b32 s17, exec_lo
	v_cmpx_gt_u32_e64 s16, v57
	s_cbranch_execz .LBB530_369
.LBB530_385:                            ;   in Loop: Header=BB530_334 Depth=2
	v_xor_b32_e32 v21, 0x7fffffff, v8
	v_lshrrev_b32_e32 v21, s61, v21
	v_and_b32_e32 v21, s62, v21
	v_lshl_or_b32 v21, v21, 4, v63
	ds_add_u32 v21, v85
	s_or_b32 exec_lo, exec_lo, s17
	s_mov_b32 s17, exec_lo
	v_cmpx_gt_u32_e64 s16, v58
	s_cbranch_execz .LBB530_370
.LBB530_386:                            ;   in Loop: Header=BB530_334 Depth=2
	v_xor_b32_e32 v21, 0x7fffffff, v7
	v_lshrrev_b32_e32 v21, s61, v21
	v_and_b32_e32 v21, s62, v21
	v_lshl_or_b32 v21, v21, 4, v63
	ds_add_u32 v21, v85
	s_or_b32 exec_lo, exec_lo, s17
	s_mov_b32 s17, exec_lo
	v_cmpx_gt_u32_e64 s16, v59
	s_cbranch_execz .LBB530_371
.LBB530_387:                            ;   in Loop: Header=BB530_334 Depth=2
	v_xor_b32_e32 v21, 0x7fffffff, v6
	v_lshrrev_b32_e32 v21, s61, v21
	v_and_b32_e32 v21, s62, v21
	v_lshl_or_b32 v21, v21, 4, v63
	ds_add_u32 v21, v85
	s_or_b32 exec_lo, exec_lo, s17
	s_mov_b32 s17, exec_lo
	v_cmpx_gt_u32_e64 s16, v60
	s_cbranch_execz .LBB530_372
.LBB530_388:                            ;   in Loop: Header=BB530_334 Depth=2
	v_xor_b32_e32 v21, 0x7fffffff, v5
	v_lshrrev_b32_e32 v21, s61, v21
	v_and_b32_e32 v21, s62, v21
	v_lshl_or_b32 v21, v21, 4, v63
	ds_add_u32 v21, v85
	s_or_b32 exec_lo, exec_lo, s17
	v_cmp_gt_u32_e32 vcc_lo, s16, v61
	s_and_saveexec_b32 s16, vcc_lo
	s_cbranch_execz .LBB530_333
.LBB530_389:                            ;   in Loop: Header=BB530_334 Depth=2
	v_xor_b32_e32 v21, 0x7fffffff, v3
	v_lshrrev_b32_e32 v21, s61, v21
	v_and_b32_e32 v21, s62, v21
	v_lshl_or_b32 v21, v21, 4, v63
	ds_add_u32 v21, v85
	s_branch .LBB530_333
.LBB530_390:                            ;   in Loop: Header=BB530_334 Depth=2
	global_load_dword v20, v91, s[16:17]
	s_or_b32 exec_lo, exec_lo, s19
	s_mov_b32 s19, exec_lo
	v_cmpx_gt_u32_e64 s5, v44
	s_cbranch_execz .LBB530_339
.LBB530_391:                            ;   in Loop: Header=BB530_334 Depth=2
	global_load_dword v19, v91, s[16:17] offset:1024
	s_or_b32 exec_lo, exec_lo, s19
	s_mov_b32 s19, exec_lo
	v_cmpx_gt_u32_e64 s5, v47
	s_cbranch_execz .LBB530_340
.LBB530_392:                            ;   in Loop: Header=BB530_334 Depth=2
	global_load_dword v18, v92, s[16:17]
	s_or_b32 exec_lo, exec_lo, s19
	s_mov_b32 s19, exec_lo
	v_cmpx_gt_u32_e64 s5, v48
	s_cbranch_execz .LBB530_341
.LBB530_393:                            ;   in Loop: Header=BB530_334 Depth=2
	global_load_dword v17, v93, s[16:17]
	s_or_b32 exec_lo, exec_lo, s19
	s_mov_b32 s19, exec_lo
	v_cmpx_gt_u32_e64 s5, v49
	s_cbranch_execz .LBB530_342
.LBB530_394:                            ;   in Loop: Header=BB530_334 Depth=2
	global_load_dword v16, v94, s[16:17]
	s_or_b32 exec_lo, exec_lo, s19
	s_mov_b32 s19, exec_lo
	v_cmpx_gt_u32_e64 s5, v50
	s_cbranch_execz .LBB530_343
.LBB530_395:                            ;   in Loop: Header=BB530_334 Depth=2
	global_load_dword v15, v95, s[16:17]
	s_or_b32 exec_lo, exec_lo, s19
	s_mov_b32 s19, exec_lo
	v_cmpx_gt_u32_e64 s5, v51
	s_cbranch_execz .LBB530_344
.LBB530_396:                            ;   in Loop: Header=BB530_334 Depth=2
	global_load_dword v14, v96, s[16:17]
	s_or_b32 exec_lo, exec_lo, s19
	s_mov_b32 s19, exec_lo
	v_cmpx_gt_u32_e64 s5, v52
	s_cbranch_execz .LBB530_345
.LBB530_397:                            ;   in Loop: Header=BB530_334 Depth=2
	global_load_dword v13, v97, s[16:17]
	s_or_b32 exec_lo, exec_lo, s19
	s_mov_b32 s19, exec_lo
	v_cmpx_gt_u32_e64 s5, v53
	s_cbranch_execz .LBB530_346
.LBB530_398:                            ;   in Loop: Header=BB530_334 Depth=2
	global_load_dword v12, v98, s[16:17]
	s_or_b32 exec_lo, exec_lo, s19
	s_mov_b32 s19, exec_lo
	v_cmpx_gt_u32_e64 s5, v54
	s_cbranch_execz .LBB530_347
.LBB530_399:                            ;   in Loop: Header=BB530_334 Depth=2
	global_load_dword v11, v99, s[16:17]
	s_or_b32 exec_lo, exec_lo, s19
	s_mov_b32 s19, exec_lo
	v_cmpx_gt_u32_e64 s5, v55
	s_cbranch_execz .LBB530_348
.LBB530_400:                            ;   in Loop: Header=BB530_334 Depth=2
	global_load_dword v10, v100, s[16:17]
	s_or_b32 exec_lo, exec_lo, s19
	s_mov_b32 s19, exec_lo
	v_cmpx_gt_u32_e64 s5, v56
	s_cbranch_execz .LBB530_349
.LBB530_401:                            ;   in Loop: Header=BB530_334 Depth=2
	global_load_dword v9, v101, s[16:17]
	s_or_b32 exec_lo, exec_lo, s19
	s_mov_b32 s19, exec_lo
	v_cmpx_gt_u32_e64 s5, v57
	s_cbranch_execz .LBB530_350
.LBB530_402:                            ;   in Loop: Header=BB530_334 Depth=2
	global_load_dword v8, v102, s[16:17]
	s_or_b32 exec_lo, exec_lo, s19
	s_mov_b32 s19, exec_lo
	v_cmpx_gt_u32_e64 s5, v58
	s_cbranch_execz .LBB530_351
.LBB530_403:                            ;   in Loop: Header=BB530_334 Depth=2
	global_load_dword v7, v103, s[16:17]
	s_or_b32 exec_lo, exec_lo, s19
	s_mov_b32 s19, exec_lo
	v_cmpx_gt_u32_e64 s5, v59
	s_cbranch_execz .LBB530_352
.LBB530_404:                            ;   in Loop: Header=BB530_334 Depth=2
	global_load_dword v6, v104, s[16:17]
	s_or_b32 exec_lo, exec_lo, s19
	s_mov_b32 s19, exec_lo
	v_cmpx_gt_u32_e64 s5, v60
	s_cbranch_execz .LBB530_353
.LBB530_405:                            ;   in Loop: Header=BB530_334 Depth=2
	global_load_dword v5, v105, s[16:17]
	s_or_b32 exec_lo, exec_lo, s19
	s_mov_b32 s19, exec_lo
	v_cmpx_gt_u32_e64 s5, v61
	s_cbranch_execnz .LBB530_354
	s_branch .LBB530_355
.LBB530_406:                            ;   in Loop: Header=BB530_20 Depth=1
	v_mov_b32_e32 v3, 0
	s_waitcnt lgkmcnt(0)
	s_barrier
	buffer_gl0_inv
	s_and_saveexec_b32 s5, s8
	s_cbranch_execz .LBB530_408
; %bb.407:                              ;   in Loop: Header=BB530_20 Depth=1
	ds_read2_b64 v[5:8], v64 offset1:1
	s_waitcnt lgkmcnt(0)
	v_add_nc_u32_e32 v3, v6, v5
	v_add3_u32 v3, v3, v7, v8
.LBB530_408:                            ;   in Loop: Header=BB530_20 Depth=1
	s_or_b32 exec_lo, exec_lo, s5
	v_mov_b32_dpp v5, v3 row_shr:1 row_mask:0xf bank_mask:0xf
	v_cmp_eq_u32_e64 s5, 0, v86
	v_cmp_lt_u32_e64 s16, 1, v86
	v_cmp_lt_u32_e64 s17, 3, v86
	;; [unrolled: 1-line block ×3, first 2 shown]
	v_cmp_eq_u32_e64 s19, 0, v88
	v_cndmask_b32_e64 v5, v5, 0, s5
	v_add_nc_u32_e32 v3, v5, v3
	v_mov_b32_dpp v5, v3 row_shr:2 row_mask:0xf bank_mask:0xf
	v_cndmask_b32_e64 v5, 0, v5, s16
	v_add_nc_u32_e32 v3, v3, v5
	v_mov_b32_dpp v5, v3 row_shr:4 row_mask:0xf bank_mask:0xf
	;; [unrolled: 3-line block ×3, first 2 shown]
	v_cndmask_b32_e64 v5, 0, v5, s18
	v_add_nc_u32_e32 v3, v3, v5
	ds_swizzle_b32 v5, v3 offset:swizzle(BROADCAST,32,15)
	s_waitcnt lgkmcnt(0)
	v_and_b32_e32 v5, v87, v5
	v_add_nc_u32_e32 v3, v3, v5
	s_and_saveexec_b32 s20, s9
; %bb.409:                              ;   in Loop: Header=BB530_20 Depth=1
	ds_write_b32 v65, v3
; %bb.410:                              ;   in Loop: Header=BB530_20 Depth=1
	s_or_b32 exec_lo, exec_lo, s20
	s_waitcnt lgkmcnt(0)
	s_barrier
	buffer_gl0_inv
	s_and_saveexec_b32 s20, s10
	s_cbranch_execz .LBB530_412
; %bb.411:                              ;   in Loop: Header=BB530_20 Depth=1
	ds_read_b32 v5, v66
	v_cmp_ne_u32_e32 vcc_lo, 0, v89
	s_waitcnt lgkmcnt(0)
	v_mov_b32_dpp v6, v5 row_shr:1 row_mask:0xf bank_mask:0xf
	v_cndmask_b32_e32 v6, 0, v6, vcc_lo
	v_cmp_lt_u32_e32 vcc_lo, 1, v89
	v_add_nc_u32_e32 v5, v6, v5
	v_mov_b32_dpp v6, v5 row_shr:2 row_mask:0xf bank_mask:0xf
	v_cndmask_b32_e32 v6, 0, v6, vcc_lo
	v_add_nc_u32_e32 v5, v5, v6
	ds_write_b32 v66, v5
.LBB530_412:                            ;   in Loop: Header=BB530_20 Depth=1
	s_or_b32 exec_lo, exec_lo, s20
	v_mov_b32_e32 v5, 0
	s_waitcnt lgkmcnt(0)
	s_barrier
	buffer_gl0_inv
	s_and_saveexec_b32 s20, s11
; %bb.413:                              ;   in Loop: Header=BB530_20 Depth=1
	ds_read_b32 v5, v67
; %bb.414:                              ;   in Loop: Header=BB530_20 Depth=1
	s_or_b32 exec_lo, exec_lo, s20
	v_cmp_gt_i32_e32 vcc_lo, 0, v90
	s_waitcnt lgkmcnt(0)
	v_add_nc_u32_e32 v3, v5, v3
	s_barrier
	buffer_gl0_inv
	v_cndmask_b32_e32 v6, v90, v82, vcc_lo
	v_lshlrev_b32_e32 v131, 2, v6
	ds_bpermute_b32 v3, v131, v3
	s_and_saveexec_b32 s20, s8
	s_cbranch_execz .LBB530_416
; %bb.415:                              ;   in Loop: Header=BB530_20 Depth=1
	s_waitcnt lgkmcnt(0)
	v_cndmask_b32_e64 v3, v3, v5, s15
	v_add_nc_u32_e32 v3, s58, v3
	ds_write_b32 v43, v3
.LBB530_416:                            ;   in Loop: Header=BB530_20 Depth=1
	s_or_b32 exec_lo, exec_lo, s20
	s_load_dwordx2 s[20:21], s[56:57], 0x0
	v_add_co_u32 v132, vcc_lo, v74, v106
	v_add_co_ci_u32_e64 v133, null, 0, v75, vcc_lo
	v_add_co_u32 v134, vcc_lo, v76, v125
	v_add_co_ci_u32_e64 v135, null, 0, v77, vcc_lo
	s_mov_b32 s63, s60
	s_mov_b32 s50, s58
                                        ; implicit-def: $vgpr7_vgpr8
                                        ; implicit-def: $vgpr9_vgpr10
                                        ; implicit-def: $vgpr11_vgpr12
                                        ; implicit-def: $vgpr13_vgpr14
                                        ; implicit-def: $vgpr15_vgpr16
                                        ; implicit-def: $vgpr19_vgpr20
                                        ; implicit-def: $vgpr23_vgpr24
                                        ; implicit-def: $vgpr27_vgpr28
                                        ; implicit-def: $vgpr17_vgpr18
                                        ; implicit-def: $vgpr21_vgpr22
                                        ; implicit-def: $vgpr25_vgpr26
                                        ; implicit-def: $vgpr29_vgpr30
                                        ; implicit-def: $vgpr31_vgpr32
                                        ; implicit-def: $vgpr33_vgpr34
                                        ; implicit-def: $vgpr35_vgpr36
                                        ; implicit-def: $vgpr37_vgpr38
                                        ; implicit-def: $vgpr137
                                        ; implicit-def: $vgpr138
                                        ; implicit-def: $vgpr139
                                        ; implicit-def: $vgpr140
                                        ; implicit-def: $vgpr141
                                        ; implicit-def: $vgpr142
                                        ; implicit-def: $vgpr143
                                        ; implicit-def: $vgpr144
                                        ; implicit-def: $vgpr145
                                        ; implicit-def: $vgpr146
                                        ; implicit-def: $vgpr147
                                        ; implicit-def: $vgpr148
                                        ; implicit-def: $vgpr149
                                        ; implicit-def: $vgpr150
                                        ; implicit-def: $vgpr151
                                        ; implicit-def: $vgpr153
                                        ; implicit-def: $vgpr154
                                        ; implicit-def: $vgpr152
                                        ; implicit-def: $vgpr155
	s_waitcnt lgkmcnt(0)
	s_cmp_lt_u32 s7, s21
	s_cselect_b32 s21, 14, 20
	s_add_u32 s22, s56, s21
	s_addc_u32 s23, s57, 0
	s_cmp_lt_u32 s6, s20
	global_load_ushort v3, v4, s[22:23]
	s_cselect_b32 s20, 12, 18
	s_add_u32 s20, s56, s20
	s_addc_u32 s21, s57, 0
	global_load_ushort v5, v4, s[20:21]
	v_cmp_eq_u32_e64 s20, 0, v108
	v_cmp_lt_u32_e64 s21, 1, v108
	v_cmp_lt_u32_e64 s22, 3, v108
	s_waitcnt vmcnt(1)
	v_mad_u32_u24 v3, v2, v3, v1
	s_waitcnt vmcnt(0)
	v_mad_u64_u32 v[5:6], null, v3, v5, v[0:1]
	v_lshrrev_b32_e32 v3, 3, v5
                                        ; implicit-def: $vgpr5_vgpr6
	v_and_b32_e32 v136, 0x1ffffffc, v3
	s_branch .LBB530_418
.LBB530_417:                            ;   in Loop: Header=BB530_418 Depth=2
	s_or_b32 exec_lo, exec_lo, s23
	s_addk_i32 s63, 0xef00
	s_cmp_lt_u32 s64, s59
	s_mov_b32 s50, s64
	s_cbranch_scc0 .LBB530_640
.LBB530_418:                            ;   Parent Loop BB530_20 Depth=1
                                        ; =>  This Inner Loop Header: Depth=2
	s_add_i32 s64, s50, 0x1100
	s_cmp_gt_u32 s64, s59
	s_cbranch_scc1 .LBB530_420
; %bb.419:                              ;   in Loop: Header=BB530_418 Depth=2
	s_lshl_b64 s[24:25], s[50:51], 2
	s_mov_b32 s23, -1
	v_add_co_u32 v39, vcc_lo, v134, s24
	v_add_co_ci_u32_e64 v40, null, s25, v135, vcc_lo
	s_clause 0xf
	global_load_dword v157, v[39:40], off
	global_load_dword v158, v[39:40], off offset:128
	global_load_dword v161, v[39:40], off offset:256
	;; [unrolled: 1-line block ×15, first 2 shown]
	s_movk_i32 s24, 0x1100
	s_cbranch_execz .LBB530_421
	s_branch .LBB530_454
.LBB530_420:                            ;   in Loop: Header=BB530_418 Depth=2
	s_mov_b32 s23, 0
                                        ; implicit-def: $vgpr157
                                        ; implicit-def: $vgpr158
                                        ; implicit-def: $vgpr161
                                        ; implicit-def: $vgpr165
                                        ; implicit-def: $vgpr170
                                        ; implicit-def: $vgpr175
                                        ; implicit-def: $vgpr180
                                        ; implicit-def: $vgpr185
                                        ; implicit-def: $vgpr190
                                        ; implicit-def: $vgpr188
                                        ; implicit-def: $vgpr183
                                        ; implicit-def: $vgpr178
                                        ; implicit-def: $vgpr174
                                        ; implicit-def: $vgpr169
                                        ; implicit-def: $vgpr42
                                        ; implicit-def: $vgpr41
	s_movk_i32 s24, 0x1100
.LBB530_421:                            ;   in Loop: Header=BB530_418 Depth=2
	s_lshl_b64 s[24:25], s[50:51], 2
	s_waitcnt vmcnt(14)
	v_bfrev_b32_e32 v158, 1
	v_add_co_u32 v39, vcc_lo, v134, s24
	v_add_co_ci_u32_e64 v40, null, s25, v135, vcc_lo
	v_bfrev_b32_e32 v157, 1
	s_mov_b32 s23, exec_lo
	v_cmpx_gt_u32_e64 s63, v109
	s_cbranch_execz .LBB530_423
; %bb.422:                              ;   in Loop: Header=BB530_418 Depth=2
	global_load_dword v157, v[39:40], off
.LBB530_423:                            ;   in Loop: Header=BB530_418 Depth=2
	s_or_b32 exec_lo, exec_lo, s23
	s_mov_b32 s23, exec_lo
	v_cmpx_gt_u32_e64 s63, v112
	s_cbranch_execz .LBB530_425
; %bb.424:                              ;   in Loop: Header=BB530_418 Depth=2
	global_load_dword v158, v[39:40], off offset:128
.LBB530_425:                            ;   in Loop: Header=BB530_418 Depth=2
	s_or_b32 exec_lo, exec_lo, s23
	s_waitcnt vmcnt(12)
	v_bfrev_b32_e32 v165, 1
	v_bfrev_b32_e32 v161, 1
	s_mov_b32 s23, exec_lo
	v_cmpx_gt_u32_e64 s63, v113
	s_cbranch_execz .LBB530_427
; %bb.426:                              ;   in Loop: Header=BB530_418 Depth=2
	global_load_dword v161, v[39:40], off offset:256
.LBB530_427:                            ;   in Loop: Header=BB530_418 Depth=2
	s_or_b32 exec_lo, exec_lo, s23
	s_mov_b32 s23, exec_lo
	v_cmpx_gt_u32_e64 s63, v114
	s_cbranch_execz .LBB530_429
; %bb.428:                              ;   in Loop: Header=BB530_418 Depth=2
	global_load_dword v165, v[39:40], off offset:384
.LBB530_429:                            ;   in Loop: Header=BB530_418 Depth=2
	s_or_b32 exec_lo, exec_lo, s23
	s_waitcnt vmcnt(10)
	v_bfrev_b32_e32 v175, 1
	v_bfrev_b32_e32 v170, 1
	s_mov_b32 s23, exec_lo
	v_cmpx_gt_u32_e64 s63, v115
	s_cbranch_execz .LBB530_431
; %bb.430:                              ;   in Loop: Header=BB530_418 Depth=2
	global_load_dword v170, v[39:40], off offset:512
.LBB530_431:                            ;   in Loop: Header=BB530_418 Depth=2
	;; [unrolled: 17-line block ×7, first 2 shown]
	s_or_b32 exec_lo, exec_lo, s23
	s_mov_b32 s23, exec_lo
	v_cmpx_gt_u32_e64 s63, v127
	s_cbranch_execz .LBB530_453
; %bb.452:                              ;   in Loop: Header=BB530_418 Depth=2
	global_load_dword v41, v[39:40], off offset:1920
.LBB530_453:                            ;   in Loop: Header=BB530_418 Depth=2
	s_or_b32 exec_lo, exec_lo, s23
	v_cmp_gt_u32_e64 s23, s63, v128
	s_sub_i32 s24, s59, s50
.LBB530_454:                            ;   in Loop: Header=BB530_418 Depth=2
	v_mov_b32_e32 v3, -1
	v_mov_b32_e32 v156, s63
	s_and_saveexec_b32 s25, s23
	s_cbranch_execz .LBB530_456
; %bb.455:                              ;   in Loop: Header=BB530_418 Depth=2
	s_lshl_b64 s[26:27], s[50:51], 2
	v_mov_b32_e32 v156, s24
	v_add_co_u32 v3, vcc_lo, v134, s26
	v_add_co_ci_u32_e64 v40, null, s27, v135, vcc_lo
	v_add_co_u32 v39, vcc_lo, 0x800, v3
	v_add_co_ci_u32_e64 v40, null, 0, v40, vcc_lo
	global_load_dword v3, v[39:40], off
	s_waitcnt vmcnt(0)
	v_xor_b32_e32 v3, 0x7fffffff, v3
.LBB530_456:                            ;   in Loop: Header=BB530_418 Depth=2
	s_or_b32 exec_lo, exec_lo, s25
	s_waitcnt vmcnt(15)
	v_xor_b32_e32 v157, 0x7fffffff, v157
	ds_write2_b32 v68, v4, v4 offset0:136 offset1:137
	ds_write2_b32 v68, v4, v4 offset0:138 offset1:139
	ds_write_b32 v68, v4 offset:560
	s_waitcnt vmcnt(0) lgkmcnt(0)
	s_barrier
	v_lshrrev_b32_e32 v39, s61, v157
	buffer_gl0_inv
	; wave barrier
	v_and_b32_e32 v40, s62, v39
	v_and_b32_e32 v39, 1, v40
	v_lshlrev_b32_e32 v159, 30, v40
	v_lshlrev_b32_e32 v160, 29, v40
	;; [unrolled: 1-line block ×4, first 2 shown]
	v_add_co_u32 v39, s23, v39, -1
	v_cndmask_b32_e64 v162, 0, 1, s23
	v_not_b32_e32 v167, v159
	v_cmp_gt_i32_e64 s23, 0, v159
	v_not_b32_e32 v159, v160
	v_lshlrev_b32_e32 v166, 26, v40
	v_cmp_ne_u32_e32 vcc_lo, 0, v162
	v_ashrrev_i32_e32 v167, 31, v167
	v_lshlrev_b32_e32 v162, 25, v40
	v_ashrrev_i32_e32 v159, 31, v159
	v_mul_u32_u24_e32 v40, 36, v40
	v_xor_b32_e32 v39, vcc_lo, v39
	v_cmp_gt_i32_e32 vcc_lo, 0, v160
	v_not_b32_e32 v160, v163
	v_xor_b32_e32 v167, s23, v167
	v_cmp_gt_i32_e64 s23, 0, v163
	v_and_b32_e32 v39, exec_lo, v39
	v_not_b32_e32 v163, v164
	v_ashrrev_i32_e32 v160, 31, v160
	v_xor_b32_e32 v159, vcc_lo, v159
	v_cmp_gt_i32_e32 vcc_lo, 0, v164
	v_and_b32_e32 v39, v39, v167
	v_not_b32_e32 v164, v166
	v_ashrrev_i32_e32 v163, 31, v163
	v_xor_b32_e32 v160, s23, v160
	v_cmp_gt_i32_e64 s23, 0, v166
	v_and_b32_e32 v39, v39, v159
	v_not_b32_e32 v159, v162
	v_ashrrev_i32_e32 v164, 31, v164
	v_xor_b32_e32 v163, vcc_lo, v163
	v_cmp_gt_i32_e32 vcc_lo, 0, v162
	v_and_b32_e32 v39, v39, v160
	v_ashrrev_i32_e32 v159, 31, v159
	v_xor_b32_e32 v160, s23, v164
	v_and_b32_e32 v39, v39, v163
	v_xor_b32_e32 v159, vcc_lo, v159
	v_and_b32_e32 v39, v39, v160
	v_add_nc_u32_e32 v160, v136, v40
	v_and_b32_e32 v39, v39, v159
	v_mbcnt_lo_u32_b32 v159, v39, 0
	v_cmp_ne_u32_e64 s23, 0, v39
	v_cmp_eq_u32_e32 vcc_lo, 0, v159
	s_and_b32 s24, s23, vcc_lo
	s_and_saveexec_b32 s23, s24
; %bb.457:                              ;   in Loop: Header=BB530_418 Depth=2
	v_bcnt_u32_b32 v39, v39, 0
	ds_write_b32 v160, v39 offset:544
; %bb.458:                              ;   in Loop: Header=BB530_418 Depth=2
	s_or_b32 exec_lo, exec_lo, s23
	v_xor_b32_e32 v158, 0x7fffffff, v158
	; wave barrier
	v_lshrrev_b32_e32 v39, s61, v158
	v_and_b32_e32 v40, s62, v39
	v_and_b32_e32 v39, 1, v40
	v_lshlrev_b32_e32 v162, 30, v40
	v_lshlrev_b32_e32 v163, 29, v40
	v_lshlrev_b32_e32 v166, 28, v40
	v_lshlrev_b32_e32 v167, 27, v40
	v_add_co_u32 v39, s23, v39, -1
	v_cndmask_b32_e64 v164, 0, 1, s23
	v_not_b32_e32 v171, v162
	v_cmp_gt_i32_e64 s23, 0, v162
	v_not_b32_e32 v162, v163
	v_lshlrev_b32_e32 v168, 26, v40
	v_cmp_ne_u32_e32 vcc_lo, 0, v164
	v_ashrrev_i32_e32 v171, 31, v171
	v_lshlrev_b32_e32 v164, 25, v40
	v_ashrrev_i32_e32 v162, 31, v162
	v_xor_b32_e32 v39, vcc_lo, v39
	v_cmp_gt_i32_e32 vcc_lo, 0, v163
	v_not_b32_e32 v163, v166
	v_xor_b32_e32 v171, s23, v171
	v_cmp_gt_i32_e64 s23, 0, v166
	v_and_b32_e32 v39, exec_lo, v39
	v_not_b32_e32 v166, v167
	v_ashrrev_i32_e32 v163, 31, v163
	v_xor_b32_e32 v162, vcc_lo, v162
	v_cmp_gt_i32_e32 vcc_lo, 0, v167
	v_and_b32_e32 v39, v39, v171
	v_not_b32_e32 v167, v168
	v_ashrrev_i32_e32 v166, 31, v166
	v_xor_b32_e32 v163, s23, v163
	v_cmp_gt_i32_e64 s23, 0, v168
	v_and_b32_e32 v39, v39, v162
	v_not_b32_e32 v162, v164
	v_ashrrev_i32_e32 v167, 31, v167
	v_xor_b32_e32 v166, vcc_lo, v166
	v_cmp_gt_i32_e32 vcc_lo, 0, v164
	v_and_b32_e32 v39, v39, v163
	v_ashrrev_i32_e32 v162, 31, v162
	v_xor_b32_e32 v163, s23, v167
	v_mad_u32_u24 v164, v40, 36, v136
	v_mul_u32_u24_e32 v40, 36, v40
	v_and_b32_e32 v39, v39, v166
	v_xor_b32_e32 v166, vcc_lo, v162
	ds_read_b32 v162, v164 offset:544
	v_add_nc_u32_e32 v164, v136, v40
	v_and_b32_e32 v39, v39, v163
	; wave barrier
	v_and_b32_e32 v39, v39, v166
	v_mbcnt_lo_u32_b32 v163, v39, 0
	v_cmp_ne_u32_e64 s23, 0, v39
	v_cmp_eq_u32_e32 vcc_lo, 0, v163
	s_and_b32 s24, s23, vcc_lo
	s_and_saveexec_b32 s23, s24
	s_cbranch_execz .LBB530_460
; %bb.459:                              ;   in Loop: Header=BB530_418 Depth=2
	s_waitcnt lgkmcnt(0)
	v_bcnt_u32_b32 v39, v39, v162
	ds_write_b32 v164, v39 offset:544
.LBB530_460:                            ;   in Loop: Header=BB530_418 Depth=2
	s_or_b32 exec_lo, exec_lo, s23
	v_xor_b32_e32 v161, 0x7fffffff, v161
	; wave barrier
	v_lshrrev_b32_e32 v39, s61, v161
	v_and_b32_e32 v40, s62, v39
	v_and_b32_e32 v39, 1, v40
	v_lshlrev_b32_e32 v166, 30, v40
	v_lshlrev_b32_e32 v167, 29, v40
	v_lshlrev_b32_e32 v171, 28, v40
	v_lshlrev_b32_e32 v172, 27, v40
	v_add_co_u32 v39, s23, v39, -1
	v_cndmask_b32_e64 v168, 0, 1, s23
	v_not_b32_e32 v176, v166
	v_cmp_gt_i32_e64 s23, 0, v166
	v_not_b32_e32 v166, v167
	v_lshlrev_b32_e32 v173, 26, v40
	v_cmp_ne_u32_e32 vcc_lo, 0, v168
	v_ashrrev_i32_e32 v176, 31, v176
	v_lshlrev_b32_e32 v168, 25, v40
	v_ashrrev_i32_e32 v166, 31, v166
	v_xor_b32_e32 v39, vcc_lo, v39
	v_cmp_gt_i32_e32 vcc_lo, 0, v167
	v_not_b32_e32 v167, v171
	v_xor_b32_e32 v176, s23, v176
	v_cmp_gt_i32_e64 s23, 0, v171
	v_and_b32_e32 v39, exec_lo, v39
	v_not_b32_e32 v171, v172
	v_ashrrev_i32_e32 v167, 31, v167
	v_xor_b32_e32 v166, vcc_lo, v166
	v_cmp_gt_i32_e32 vcc_lo, 0, v172
	v_and_b32_e32 v39, v39, v176
	v_not_b32_e32 v172, v173
	v_ashrrev_i32_e32 v171, 31, v171
	v_xor_b32_e32 v167, s23, v167
	v_cmp_gt_i32_e64 s23, 0, v173
	v_and_b32_e32 v39, v39, v166
	v_not_b32_e32 v166, v168
	v_ashrrev_i32_e32 v172, 31, v172
	v_xor_b32_e32 v171, vcc_lo, v171
	v_cmp_gt_i32_e32 vcc_lo, 0, v168
	v_and_b32_e32 v39, v39, v167
	v_ashrrev_i32_e32 v166, 31, v166
	v_xor_b32_e32 v167, s23, v172
	v_mad_u32_u24 v168, v40, 36, v136
	v_mul_u32_u24_e32 v40, 36, v40
	v_and_b32_e32 v39, v39, v171
	v_xor_b32_e32 v171, vcc_lo, v166
	ds_read_b32 v166, v168 offset:544
	v_add_nc_u32_e32 v168, v136, v40
	v_and_b32_e32 v39, v39, v167
	; wave barrier
	v_and_b32_e32 v39, v39, v171
	v_mbcnt_lo_u32_b32 v167, v39, 0
	v_cmp_ne_u32_e64 s23, 0, v39
	v_cmp_eq_u32_e32 vcc_lo, 0, v167
	s_and_b32 s24, s23, vcc_lo
	s_and_saveexec_b32 s23, s24
	s_cbranch_execz .LBB530_462
; %bb.461:                              ;   in Loop: Header=BB530_418 Depth=2
	s_waitcnt lgkmcnt(0)
	v_bcnt_u32_b32 v39, v39, v166
	ds_write_b32 v168, v39 offset:544
.LBB530_462:                            ;   in Loop: Header=BB530_418 Depth=2
	;; [unrolled: 63-line block ×9, first 2 shown]
	s_or_b32 exec_lo, exec_lo, s23
	v_xor_b32_e32 v183, 0x7fffffff, v183
	; wave barrier
	v_lshrrev_b32_e32 v39, s61, v183
	v_and_b32_e32 v40, s62, v39
	v_and_b32_e32 v39, 1, v40
	v_lshlrev_b32_e32 v200, 30, v40
	v_lshlrev_b32_e32 v201, 29, v40
	;; [unrolled: 1-line block ×4, first 2 shown]
	v_add_co_u32 v39, s23, v39, -1
	v_cndmask_b32_e64 v202, 0, 1, s23
	v_not_b32_e32 v206, v200
	v_cmp_gt_i32_e64 s23, 0, v200
	v_not_b32_e32 v200, v201
	v_lshlrev_b32_e32 v205, 26, v40
	v_cmp_ne_u32_e32 vcc_lo, 0, v202
	v_ashrrev_i32_e32 v206, 31, v206
	v_lshlrev_b32_e32 v202, 25, v40
	v_ashrrev_i32_e32 v200, 31, v200
	v_xor_b32_e32 v39, vcc_lo, v39
	v_cmp_gt_i32_e32 vcc_lo, 0, v201
	v_not_b32_e32 v201, v203
	v_xor_b32_e32 v206, s23, v206
	v_cmp_gt_i32_e64 s23, 0, v203
	v_and_b32_e32 v39, exec_lo, v39
	v_not_b32_e32 v203, v204
	v_ashrrev_i32_e32 v201, 31, v201
	v_xor_b32_e32 v200, vcc_lo, v200
	v_cmp_gt_i32_e32 vcc_lo, 0, v204
	v_and_b32_e32 v39, v39, v206
	v_not_b32_e32 v204, v205
	v_ashrrev_i32_e32 v203, 31, v203
	v_xor_b32_e32 v201, s23, v201
	v_cmp_gt_i32_e64 s23, 0, v205
	v_and_b32_e32 v39, v39, v200
	v_not_b32_e32 v200, v202
	v_ashrrev_i32_e32 v204, 31, v204
	v_xor_b32_e32 v203, vcc_lo, v203
	v_cmp_gt_i32_e32 vcc_lo, 0, v202
	v_and_b32_e32 v39, v39, v201
	v_ashrrev_i32_e32 v200, 31, v200
	v_xor_b32_e32 v201, s23, v204
	v_mad_u32_u24 v202, v40, 36, v136
	v_mul_u32_u24_e32 v40, 36, v40
	v_and_b32_e32 v39, v39, v203
	v_xor_b32_e32 v200, vcc_lo, v200
	v_add_nc_u32_e32 v203, v136, v40
	v_and_b32_e32 v39, v39, v201
	ds_read_b32 v201, v202 offset:544
	; wave barrier
	v_and_b32_e32 v39, v39, v200
	v_mbcnt_lo_u32_b32 v202, v39, 0
	v_cmp_ne_u32_e64 s23, 0, v39
	v_cmp_eq_u32_e32 vcc_lo, 0, v202
	s_and_b32 s24, s23, vcc_lo
	s_and_saveexec_b32 s23, s24
	s_cbranch_execz .LBB530_478
; %bb.477:                              ;   in Loop: Header=BB530_418 Depth=2
	s_waitcnt lgkmcnt(0)
	v_bcnt_u32_b32 v39, v39, v201
	ds_write_b32 v203, v39 offset:544
.LBB530_478:                            ;   in Loop: Header=BB530_418 Depth=2
	s_or_b32 exec_lo, exec_lo, s23
	v_xor_b32_e32 v200, 0x7fffffff, v178
	; wave barrier
	v_lshrrev_b32_e32 v39, s61, v200
	v_and_b32_e32 v40, s62, v39
	v_and_b32_e32 v39, 1, v40
	v_lshlrev_b32_e32 v178, 30, v40
	v_lshlrev_b32_e32 v204, 29, v40
	v_lshlrev_b32_e32 v206, 28, v40
	v_lshlrev_b32_e32 v207, 27, v40
	v_add_co_u32 v39, s23, v39, -1
	v_cndmask_b32_e64 v205, 0, 1, s23
	v_not_b32_e32 v209, v178
	v_cmp_gt_i32_e64 s23, 0, v178
	v_not_b32_e32 v178, v204
	v_lshlrev_b32_e32 v208, 26, v40
	v_cmp_ne_u32_e32 vcc_lo, 0, v205
	v_ashrrev_i32_e32 v209, 31, v209
	v_lshlrev_b32_e32 v205, 25, v40
	v_ashrrev_i32_e32 v178, 31, v178
	v_xor_b32_e32 v39, vcc_lo, v39
	v_cmp_gt_i32_e32 vcc_lo, 0, v204
	v_not_b32_e32 v204, v206
	v_xor_b32_e32 v209, s23, v209
	v_cmp_gt_i32_e64 s23, 0, v206
	v_and_b32_e32 v39, exec_lo, v39
	v_not_b32_e32 v206, v207
	v_ashrrev_i32_e32 v204, 31, v204
	v_xor_b32_e32 v178, vcc_lo, v178
	v_cmp_gt_i32_e32 vcc_lo, 0, v207
	v_and_b32_e32 v39, v39, v209
	v_not_b32_e32 v207, v208
	v_ashrrev_i32_e32 v206, 31, v206
	v_xor_b32_e32 v204, s23, v204
	v_cmp_gt_i32_e64 s23, 0, v208
	v_and_b32_e32 v39, v39, v178
	v_not_b32_e32 v178, v205
	v_ashrrev_i32_e32 v207, 31, v207
	v_xor_b32_e32 v206, vcc_lo, v206
	v_cmp_gt_i32_e32 vcc_lo, 0, v205
	v_and_b32_e32 v39, v39, v204
	v_ashrrev_i32_e32 v178, 31, v178
	v_xor_b32_e32 v204, s23, v207
	v_mad_u32_u24 v205, v40, 36, v136
	v_mul_u32_u24_e32 v40, 36, v40
	v_and_b32_e32 v39, v39, v206
	v_xor_b32_e32 v178, vcc_lo, v178
	ds_read_b32 v205, v205 offset:544
	v_and_b32_e32 v39, v39, v204
	; wave barrier
	v_and_b32_e32 v39, v39, v178
	v_add_nc_u32_e32 v178, v136, v40
	v_mbcnt_lo_u32_b32 v206, v39, 0
	v_cmp_ne_u32_e64 s23, 0, v39
	v_cmp_eq_u32_e32 vcc_lo, 0, v206
	s_and_b32 s24, s23, vcc_lo
	s_and_saveexec_b32 s23, s24
	s_cbranch_execz .LBB530_480
; %bb.479:                              ;   in Loop: Header=BB530_418 Depth=2
	s_waitcnt lgkmcnt(0)
	v_bcnt_u32_b32 v39, v39, v205
	ds_write_b32 v178, v39 offset:544
.LBB530_480:                            ;   in Loop: Header=BB530_418 Depth=2
	s_or_b32 exec_lo, exec_lo, s23
	v_xor_b32_e32 v204, 0x7fffffff, v174
	; wave barrier
	v_lshrrev_b32_e32 v39, s61, v204
	v_and_b32_e32 v40, s62, v39
	v_and_b32_e32 v39, 1, v40
	v_lshlrev_b32_e32 v174, 30, v40
	v_lshlrev_b32_e32 v207, 29, v40
	v_lshlrev_b32_e32 v209, 28, v40
	v_lshlrev_b32_e32 v210, 27, v40
	v_add_co_u32 v39, s23, v39, -1
	v_cndmask_b32_e64 v208, 0, 1, s23
	v_not_b32_e32 v212, v174
	v_cmp_gt_i32_e64 s23, 0, v174
	v_not_b32_e32 v174, v207
	v_lshlrev_b32_e32 v211, 26, v40
	v_cmp_ne_u32_e32 vcc_lo, 0, v208
	v_ashrrev_i32_e32 v212, 31, v212
	v_lshlrev_b32_e32 v208, 25, v40
	v_ashrrev_i32_e32 v174, 31, v174
	v_xor_b32_e32 v39, vcc_lo, v39
	v_cmp_gt_i32_e32 vcc_lo, 0, v207
	v_not_b32_e32 v207, v209
	v_xor_b32_e32 v212, s23, v212
	v_cmp_gt_i32_e64 s23, 0, v209
	v_and_b32_e32 v39, exec_lo, v39
	v_not_b32_e32 v209, v210
	v_ashrrev_i32_e32 v207, 31, v207
	v_xor_b32_e32 v174, vcc_lo, v174
	v_cmp_gt_i32_e32 vcc_lo, 0, v210
	v_and_b32_e32 v39, v39, v212
	v_not_b32_e32 v210, v211
	v_ashrrev_i32_e32 v209, 31, v209
	v_xor_b32_e32 v207, s23, v207
	v_cmp_gt_i32_e64 s23, 0, v211
	v_and_b32_e32 v39, v39, v174
	v_not_b32_e32 v174, v208
	v_ashrrev_i32_e32 v210, 31, v210
	v_xor_b32_e32 v209, vcc_lo, v209
	v_cmp_gt_i32_e32 vcc_lo, 0, v208
	v_and_b32_e32 v39, v39, v207
	v_ashrrev_i32_e32 v174, 31, v174
	v_xor_b32_e32 v207, s23, v210
	v_mad_u32_u24 v208, v40, 36, v136
	v_mul_u32_u24_e32 v40, 36, v40
	v_and_b32_e32 v39, v39, v209
	v_xor_b32_e32 v174, vcc_lo, v174
	ds_read_b32 v208, v208 offset:544
	v_and_b32_e32 v39, v39, v207
	; wave barrier
	v_and_b32_e32 v39, v39, v174
	v_add_nc_u32_e32 v174, v136, v40
	;; [unrolled: 63-line block ×3, first 2 shown]
	v_mbcnt_lo_u32_b32 v212, v39, 0
	v_cmp_ne_u32_e64 s23, 0, v39
	v_cmp_eq_u32_e32 vcc_lo, 0, v212
	s_and_b32 s24, s23, vcc_lo
	s_and_saveexec_b32 s23, s24
	s_cbranch_execz .LBB530_484
; %bb.483:                              ;   in Loop: Header=BB530_418 Depth=2
	s_waitcnt lgkmcnt(0)
	v_bcnt_u32_b32 v39, v39, v211
	ds_write_b32 v169, v39 offset:544
.LBB530_484:                            ;   in Loop: Header=BB530_418 Depth=2
	s_or_b32 exec_lo, exec_lo, s23
	v_xor_b32_e32 v210, 0x7fffffff, v42
	; wave barrier
	v_lshrrev_b32_e32 v39, s61, v210
	v_and_b32_e32 v40, s62, v39
	v_and_b32_e32 v39, 1, v40
	v_lshlrev_b32_e32 v42, 30, v40
	v_lshlrev_b32_e32 v213, 29, v40
	;; [unrolled: 1-line block ×4, first 2 shown]
	v_add_co_u32 v39, s23, v39, -1
	v_cndmask_b32_e64 v214, 0, 1, s23
	v_not_b32_e32 v218, v42
	v_cmp_gt_i32_e64 s23, 0, v42
	v_not_b32_e32 v42, v213
	v_lshlrev_b32_e32 v217, 26, v40
	v_cmp_ne_u32_e32 vcc_lo, 0, v214
	v_ashrrev_i32_e32 v218, 31, v218
	v_lshlrev_b32_e32 v214, 25, v40
	v_ashrrev_i32_e32 v42, 31, v42
	v_xor_b32_e32 v39, vcc_lo, v39
	v_cmp_gt_i32_e32 vcc_lo, 0, v213
	v_not_b32_e32 v213, v215
	v_xor_b32_e32 v218, s23, v218
	v_cmp_gt_i32_e64 s23, 0, v215
	v_and_b32_e32 v39, exec_lo, v39
	v_not_b32_e32 v215, v216
	v_ashrrev_i32_e32 v213, 31, v213
	v_xor_b32_e32 v42, vcc_lo, v42
	v_cmp_gt_i32_e32 vcc_lo, 0, v216
	v_and_b32_e32 v39, v39, v218
	v_not_b32_e32 v216, v217
	v_ashrrev_i32_e32 v215, 31, v215
	v_xor_b32_e32 v213, s23, v213
	v_cmp_gt_i32_e64 s23, 0, v217
	v_and_b32_e32 v39, v39, v42
	v_not_b32_e32 v42, v214
	v_ashrrev_i32_e32 v216, 31, v216
	v_xor_b32_e32 v215, vcc_lo, v215
	v_cmp_gt_i32_e32 vcc_lo, 0, v214
	v_and_b32_e32 v39, v39, v213
	v_ashrrev_i32_e32 v42, 31, v42
	v_xor_b32_e32 v213, s23, v216
	v_mad_u32_u24 v214, v40, 36, v136
	v_mul_u32_u24_e32 v40, 36, v40
	v_and_b32_e32 v39, v39, v215
	v_xor_b32_e32 v42, vcc_lo, v42
	ds_read_b32 v214, v214 offset:544
	v_add_nc_u32_e32 v216, v136, v40
	v_and_b32_e32 v39, v39, v213
	; wave barrier
	v_and_b32_e32 v39, v39, v42
	v_mbcnt_lo_u32_b32 v215, v39, 0
	v_cmp_ne_u32_e64 s23, 0, v39
	v_cmp_eq_u32_e32 vcc_lo, 0, v215
	s_and_b32 s24, s23, vcc_lo
	s_and_saveexec_b32 s23, s24
	s_cbranch_execz .LBB530_486
; %bb.485:                              ;   in Loop: Header=BB530_418 Depth=2
	s_waitcnt lgkmcnt(0)
	v_bcnt_u32_b32 v39, v39, v214
	ds_write_b32 v216, v39 offset:544
.LBB530_486:                            ;   in Loop: Header=BB530_418 Depth=2
	s_or_b32 exec_lo, exec_lo, s23
	v_xor_b32_e32 v213, 0x7fffffff, v41
	; wave barrier
	v_lshrrev_b32_e32 v39, s61, v213
	v_and_b32_e32 v40, s62, v39
	v_and_b32_e32 v39, 1, v40
	v_lshlrev_b32_e32 v41, 30, v40
	v_lshlrev_b32_e32 v42, 29, v40
	;; [unrolled: 1-line block ×4, first 2 shown]
	v_add_co_u32 v39, s23, v39, -1
	v_cndmask_b32_e64 v217, 0, 1, s23
	v_not_b32_e32 v221, v41
	v_cmp_gt_i32_e64 s23, 0, v41
	v_not_b32_e32 v41, v42
	v_lshlrev_b32_e32 v220, 26, v40
	v_cmp_ne_u32_e32 vcc_lo, 0, v217
	v_ashrrev_i32_e32 v221, 31, v221
	v_lshlrev_b32_e32 v217, 25, v40
	v_ashrrev_i32_e32 v41, 31, v41
	v_xor_b32_e32 v39, vcc_lo, v39
	v_cmp_gt_i32_e32 vcc_lo, 0, v42
	v_not_b32_e32 v42, v218
	v_xor_b32_e32 v221, s23, v221
	v_cmp_gt_i32_e64 s23, 0, v218
	v_and_b32_e32 v39, exec_lo, v39
	v_not_b32_e32 v218, v219
	v_ashrrev_i32_e32 v42, 31, v42
	v_xor_b32_e32 v41, vcc_lo, v41
	v_cmp_gt_i32_e32 vcc_lo, 0, v219
	v_and_b32_e32 v39, v39, v221
	v_not_b32_e32 v219, v220
	v_ashrrev_i32_e32 v218, 31, v218
	v_xor_b32_e32 v42, s23, v42
	v_cmp_gt_i32_e64 s23, 0, v220
	v_and_b32_e32 v39, v39, v41
	v_not_b32_e32 v41, v217
	v_ashrrev_i32_e32 v219, 31, v219
	v_xor_b32_e32 v218, vcc_lo, v218
	v_cmp_gt_i32_e32 vcc_lo, 0, v217
	v_and_b32_e32 v39, v39, v42
	v_ashrrev_i32_e32 v41, 31, v41
	v_xor_b32_e32 v42, s23, v219
	v_mad_u32_u24 v217, v40, 36, v136
	v_mul_u32_u24_e32 v40, 36, v40
	v_and_b32_e32 v39, v39, v218
	v_xor_b32_e32 v41, vcc_lo, v41
	ds_read_b32 v217, v217 offset:544
	v_add_nc_u32_e32 v219, v136, v40
	v_and_b32_e32 v39, v39, v42
	; wave barrier
	v_and_b32_e32 v39, v39, v41
	v_mbcnt_lo_u32_b32 v218, v39, 0
	v_cmp_ne_u32_e64 s23, 0, v39
	v_cmp_eq_u32_e32 vcc_lo, 0, v218
	s_and_b32 s24, s23, vcc_lo
	s_and_saveexec_b32 s23, s24
	s_cbranch_execz .LBB530_488
; %bb.487:                              ;   in Loop: Header=BB530_418 Depth=2
	s_waitcnt lgkmcnt(0)
	v_bcnt_u32_b32 v39, v39, v217
	ds_write_b32 v219, v39 offset:544
.LBB530_488:                            ;   in Loop: Header=BB530_418 Depth=2
	s_or_b32 exec_lo, exec_lo, s23
	v_lshrrev_b32_e32 v39, s61, v3
	; wave barrier
	v_and_b32_e32 v40, s62, v39
	v_and_b32_e32 v39, 1, v40
	v_lshlrev_b32_e32 v41, 30, v40
	v_lshlrev_b32_e32 v42, 29, v40
	;; [unrolled: 1-line block ×4, first 2 shown]
	v_add_co_u32 v39, s23, v39, -1
	v_cndmask_b32_e64 v220, 0, 1, s23
	v_not_b32_e32 v224, v41
	v_cmp_gt_i32_e64 s23, 0, v41
	v_not_b32_e32 v41, v42
	v_lshlrev_b32_e32 v223, 26, v40
	v_cmp_ne_u32_e32 vcc_lo, 0, v220
	v_ashrrev_i32_e32 v224, 31, v224
	v_lshlrev_b32_e32 v220, 25, v40
	v_ashrrev_i32_e32 v41, 31, v41
	v_xor_b32_e32 v39, vcc_lo, v39
	v_cmp_gt_i32_e32 vcc_lo, 0, v42
	v_not_b32_e32 v42, v221
	v_xor_b32_e32 v224, s23, v224
	v_cmp_gt_i32_e64 s23, 0, v221
	v_and_b32_e32 v39, exec_lo, v39
	v_not_b32_e32 v221, v222
	v_ashrrev_i32_e32 v42, 31, v42
	v_xor_b32_e32 v41, vcc_lo, v41
	v_cmp_gt_i32_e32 vcc_lo, 0, v222
	v_and_b32_e32 v39, v39, v224
	v_not_b32_e32 v222, v223
	v_ashrrev_i32_e32 v221, 31, v221
	v_xor_b32_e32 v42, s23, v42
	v_cmp_gt_i32_e64 s23, 0, v223
	v_and_b32_e32 v39, v39, v41
	v_not_b32_e32 v41, v220
	v_ashrrev_i32_e32 v222, 31, v222
	v_xor_b32_e32 v221, vcc_lo, v221
	v_cmp_gt_i32_e32 vcc_lo, 0, v220
	v_and_b32_e32 v39, v39, v42
	v_ashrrev_i32_e32 v41, 31, v41
	v_xor_b32_e32 v42, s23, v222
	v_mad_u32_u24 v220, v40, 36, v136
	v_mul_u32_u24_e32 v40, 36, v40
	v_and_b32_e32 v39, v39, v221
	v_xor_b32_e32 v41, vcc_lo, v41
	ds_read_b32 v220, v220 offset:544
	v_add_nc_u32_e32 v222, v136, v40
	v_and_b32_e32 v39, v39, v42
	; wave barrier
	v_and_b32_e32 v39, v39, v41
	v_mbcnt_lo_u32_b32 v221, v39, 0
	v_cmp_ne_u32_e64 s23, 0, v39
	v_cmp_eq_u32_e32 vcc_lo, 0, v221
	s_and_b32 s24, s23, vcc_lo
	s_and_saveexec_b32 s23, s24
	s_cbranch_execz .LBB530_490
; %bb.489:                              ;   in Loop: Header=BB530_418 Depth=2
	s_waitcnt lgkmcnt(0)
	v_bcnt_u32_b32 v39, v39, v220
	ds_write_b32 v222, v39 offset:544
.LBB530_490:                            ;   in Loop: Header=BB530_418 Depth=2
	s_or_b32 exec_lo, exec_lo, s23
	; wave barrier
	s_waitcnt lgkmcnt(0)
	s_barrier
	buffer_gl0_inv
	ds_read2_b32 v[41:42], v68 offset0:136 offset1:137
	ds_read2_b32 v[39:40], v68 offset0:138 offset1:139
	ds_read_b32 v223, v68 offset:560
	s_waitcnt lgkmcnt(1)
	v_add3_u32 v224, v42, v41, v39
	s_waitcnt lgkmcnt(0)
	v_add3_u32 v223, v224, v40, v223
	v_mov_b32_dpp v224, v223 row_shr:1 row_mask:0xf bank_mask:0xf
	v_cndmask_b32_e64 v224, v224, 0, s5
	v_add_nc_u32_e32 v223, v224, v223
	v_mov_b32_dpp v224, v223 row_shr:2 row_mask:0xf bank_mask:0xf
	v_cndmask_b32_e64 v224, 0, v224, s16
	v_add_nc_u32_e32 v223, v223, v224
	;; [unrolled: 3-line block ×4, first 2 shown]
	ds_swizzle_b32 v224, v223 offset:swizzle(BROADCAST,32,15)
	s_waitcnt lgkmcnt(0)
	v_cndmask_b32_e64 v224, v224, 0, s19
	v_add_nc_u32_e32 v223, v223, v224
	s_and_saveexec_b32 s23, s4
; %bb.491:                              ;   in Loop: Header=BB530_418 Depth=2
	ds_write_b32 v62, v223 offset:512
; %bb.492:                              ;   in Loop: Header=BB530_418 Depth=2
	s_or_b32 exec_lo, exec_lo, s23
	s_waitcnt lgkmcnt(0)
	s_barrier
	buffer_gl0_inv
	s_and_saveexec_b32 s23, s12
	s_cbranch_execz .LBB530_494
; %bb.493:                              ;   in Loop: Header=BB530_418 Depth=2
	ds_read_b32 v224, v69 offset:512
	s_waitcnt lgkmcnt(0)
	v_mov_b32_dpp v225, v224 row_shr:1 row_mask:0xf bank_mask:0xf
	v_cndmask_b32_e64 v225, v225, 0, s20
	v_add_nc_u32_e32 v224, v225, v224
	v_mov_b32_dpp v225, v224 row_shr:2 row_mask:0xf bank_mask:0xf
	v_cndmask_b32_e64 v225, 0, v225, s21
	v_add_nc_u32_e32 v224, v224, v225
	;; [unrolled: 3-line block ×3, first 2 shown]
	ds_write_b32 v69, v224 offset:512
.LBB530_494:                            ;   in Loop: Header=BB530_418 Depth=2
	s_or_b32 exec_lo, exec_lo, s23
	v_mov_b32_e32 v224, 0
	s_waitcnt lgkmcnt(0)
	s_barrier
	buffer_gl0_inv
	s_and_saveexec_b32 s23, s11
; %bb.495:                              ;   in Loop: Header=BB530_418 Depth=2
	ds_read_b32 v224, v62 offset:508
; %bb.496:                              ;   in Loop: Header=BB530_418 Depth=2
	s_or_b32 exec_lo, exec_lo, s23
	s_waitcnt lgkmcnt(0)
	v_add_nc_u32_e32 v223, v224, v223
	ds_bpermute_b32 v223, v131, v223
	s_waitcnt lgkmcnt(0)
	v_cndmask_b32_e64 v223, v223, v224, s15
	v_cndmask_b32_e64 v223, v223, 0, s13
	v_add_nc_u32_e32 v41, v223, v41
	v_add_nc_u32_e32 v42, v41, v42
	;; [unrolled: 1-line block ×4, first 2 shown]
	ds_write2_b32 v68, v223, v41 offset0:136 offset1:137
	ds_write2_b32 v68, v42, v39 offset0:138 offset1:139
	ds_write_b32 v68, v40 offset:560
	s_waitcnt lgkmcnt(0)
	s_barrier
	buffer_gl0_inv
	ds_read_b32 v41, v160 offset:544
	ds_read_b32 v42, v164 offset:544
	;; [unrolled: 1-line block ×17, first 2 shown]
	s_and_saveexec_b32 s23, s8
	s_cbranch_execz .LBB530_500
; %bb.497:                              ;   in Loop: Header=BB530_418 Depth=2
	ds_read_b32 v152, v71 offset:544
	v_mov_b32_e32 v155, 0x1100
	s_and_saveexec_b32 s24, s14
; %bb.498:                              ;   in Loop: Header=BB530_418 Depth=2
	ds_read_b32 v155, v70 offset:544
; %bb.499:                              ;   in Loop: Header=BB530_418 Depth=2
	s_or_b32 exec_lo, exec_lo, s24
	s_waitcnt lgkmcnt(0)
	v_sub_nc_u32_e32 v155, v155, v152
.LBB530_500:                            ;   in Loop: Header=BB530_418 Depth=2
	s_or_b32 exec_lo, exec_lo, s23
	s_waitcnt lgkmcnt(0)
	s_barrier
	buffer_gl0_inv
	s_and_saveexec_b32 s23, s8
	s_cbranch_execz .LBB530_502
; %bb.501:                              ;   in Loop: Header=BB530_418 Depth=2
	ds_read_b32 v169, v43
	s_waitcnt lgkmcnt(0)
	v_sub_nc_u32_e32 v169, v169, v152
	ds_write_b32 v43, v169
.LBB530_502:                            ;   in Loop: Header=BB530_418 Depth=2
	s_or_b32 exec_lo, exec_lo, s23
	v_add_nc_u32_e32 v179, v41, v159
	v_add3_u32 v178, v163, v162, v42
	v_add3_u32 v174, v167, v166, v164
	;; [unrolled: 1-line block ×5, first 2 shown]
	v_lshlrev_b32_e32 v176, 2, v179
	v_lshlrev_b32_e32 v177, 2, v178
	v_add3_u32 v162, v218, v217, v39
	v_lshlrev_b32_e32 v39, 2, v174
	v_add3_u32 v171, v182, v181, v184
	v_add3_u32 v168, v192, v191, v193
	;; [unrolled: 1-line block ×5, first 2 shown]
	ds_write_b32 v176, v157 offset:512
	ds_write_b32 v177, v158 offset:512
	v_lshlrev_b32_e32 v40, 2, v173
	ds_write_b32 v39, v161 offset:512
	v_lshlrev_b32_e32 v39, 2, v169
	v_add3_u32 v166, v198, v197, v199
	v_lshlrev_b32_e32 v157, 2, v172
	v_add3_u32 v164, v202, v201, v203
	;; [unrolled: 2-line block ×3, first 2 shown]
	v_add3_u32 v42, v209, v208, v225
	ds_write_b32 v40, v165 offset:512
	ds_write_b32 v157, v170 offset:512
	;; [unrolled: 1-line block ×3, first 2 shown]
	v_lshlrev_b32_e32 v40, 2, v168
	ds_write_b32 v39, v180 offset:512
	v_lshlrev_b32_e32 v39, 2, v167
	v_lshlrev_b32_e32 v157, 2, v166
	;; [unrolled: 1-line block ×3, first 2 shown]
	v_add3_u32 v41, v212, v211, v226
	ds_write_b32 v40, v185 offset:512
	v_lshlrev_b32_e32 v40, 2, v163
	ds_write_b32 v39, v190 offset:512
	ds_write_b32 v157, v188 offset:512
	;; [unrolled: 1-line block ×3, first 2 shown]
	v_lshlrev_b32_e32 v39, 2, v42
	v_cmp_lt_u32_e32 vcc_lo, v0, v156
	v_lshlrev_b32_e32 v157, 2, v159
	ds_write_b32 v40, v200 offset:512
	v_lshlrev_b32_e32 v40, 2, v41
	ds_write_b32 v39, v204 offset:512
	v_lshlrev_b32_e32 v39, 2, v160
	v_lshlrev_b32_e32 v158, 2, v162
	ds_write_b32 v40, v207 offset:512
	ds_write_b32 v157, v210 offset:512
	;; [unrolled: 1-line block ×4, first 2 shown]
	s_waitcnt lgkmcnt(0)
	s_barrier
	buffer_gl0_inv
	s_and_saveexec_b32 s24, vcc_lo
	s_cbranch_execnz .LBB530_575
; %bb.503:                              ;   in Loop: Header=BB530_418 Depth=2
	s_or_b32 exec_lo, exec_lo, s24
	v_cmp_lt_u32_e64 s23, v44, v156
	s_and_saveexec_b32 s25, s23
	s_cbranch_execnz .LBB530_576
.LBB530_504:                            ;   in Loop: Header=BB530_418 Depth=2
	s_or_b32 exec_lo, exec_lo, s25
	v_cmp_lt_u32_e64 s24, v47, v156
	s_and_saveexec_b32 s26, s24
	s_cbranch_execnz .LBB530_577
.LBB530_505:                            ;   in Loop: Header=BB530_418 Depth=2
	s_or_b32 exec_lo, exec_lo, s26
	v_cmp_lt_u32_e64 s25, v48, v156
	s_and_saveexec_b32 s27, s25
	s_cbranch_execnz .LBB530_578
.LBB530_506:                            ;   in Loop: Header=BB530_418 Depth=2
	s_or_b32 exec_lo, exec_lo, s27
	v_cmp_lt_u32_e64 s26, v49, v156
	s_and_saveexec_b32 s28, s26
	s_cbranch_execnz .LBB530_579
.LBB530_507:                            ;   in Loop: Header=BB530_418 Depth=2
	s_or_b32 exec_lo, exec_lo, s28
	v_cmp_lt_u32_e64 s27, v50, v156
	s_and_saveexec_b32 s29, s27
	s_cbranch_execnz .LBB530_580
.LBB530_508:                            ;   in Loop: Header=BB530_418 Depth=2
	s_or_b32 exec_lo, exec_lo, s29
	v_cmp_lt_u32_e64 s28, v51, v156
	s_and_saveexec_b32 s30, s28
	s_cbranch_execnz .LBB530_581
.LBB530_509:                            ;   in Loop: Header=BB530_418 Depth=2
	s_or_b32 exec_lo, exec_lo, s30
	v_cmp_lt_u32_e64 s29, v52, v156
	s_and_saveexec_b32 s31, s29
	s_cbranch_execnz .LBB530_582
.LBB530_510:                            ;   in Loop: Header=BB530_418 Depth=2
	s_or_b32 exec_lo, exec_lo, s31
	v_cmp_lt_u32_e64 s30, v53, v156
	s_and_saveexec_b32 s33, s30
	s_cbranch_execnz .LBB530_583
.LBB530_511:                            ;   in Loop: Header=BB530_418 Depth=2
	s_or_b32 exec_lo, exec_lo, s33
	v_cmp_lt_u32_e64 s31, v54, v156
	s_and_saveexec_b32 s34, s31
	s_cbranch_execnz .LBB530_584
.LBB530_512:                            ;   in Loop: Header=BB530_418 Depth=2
	s_or_b32 exec_lo, exec_lo, s34
	v_cmp_lt_u32_e64 s33, v55, v156
	s_and_saveexec_b32 s35, s33
	s_cbranch_execnz .LBB530_585
.LBB530_513:                            ;   in Loop: Header=BB530_418 Depth=2
	s_or_b32 exec_lo, exec_lo, s35
	v_cmp_lt_u32_e64 s34, v56, v156
	s_and_saveexec_b32 s36, s34
	s_cbranch_execnz .LBB530_586
.LBB530_514:                            ;   in Loop: Header=BB530_418 Depth=2
	s_or_b32 exec_lo, exec_lo, s36
	v_cmp_lt_u32_e64 s35, v57, v156
	s_and_saveexec_b32 s37, s35
	s_cbranch_execnz .LBB530_587
.LBB530_515:                            ;   in Loop: Header=BB530_418 Depth=2
	s_or_b32 exec_lo, exec_lo, s37
	v_cmp_lt_u32_e64 s36, v58, v156
	s_and_saveexec_b32 s38, s36
	s_cbranch_execnz .LBB530_588
.LBB530_516:                            ;   in Loop: Header=BB530_418 Depth=2
	s_or_b32 exec_lo, exec_lo, s38
	v_cmp_lt_u32_e64 s37, v59, v156
	s_and_saveexec_b32 s39, s37
	s_cbranch_execnz .LBB530_589
.LBB530_517:                            ;   in Loop: Header=BB530_418 Depth=2
	s_or_b32 exec_lo, exec_lo, s39
	v_cmp_lt_u32_e64 s38, v60, v156
	s_and_saveexec_b32 s40, s38
	s_cbranch_execnz .LBB530_590
.LBB530_518:                            ;   in Loop: Header=BB530_418 Depth=2
	s_or_b32 exec_lo, exec_lo, s40
	v_cmp_lt_u32_e64 s39, v61, v156
	s_and_saveexec_b32 s65, s39
	s_cbranch_execz .LBB530_520
.LBB530_519:                            ;   in Loop: Header=BB530_418 Depth=2
	ds_read_b32 v157, v69 offset:16896
	s_waitcnt lgkmcnt(0)
	v_lshrrev_b32_e32 v3, s61, v157
	v_and_b32_e32 v3, s62, v3
	v_lshlrev_b32_e32 v3, 2, v3
	ds_read_b32 v3, v3
	s_waitcnt lgkmcnt(0)
	v_add_nc_u32_e32 v3, v3, v61
	v_lshlrev_b64 v[39:40], 2, v[3:4]
	v_xor_b32_e32 v3, 0x7fffffff, v157
	v_add_co_u32 v39, s40, s48, v39
	v_add_co_ci_u32_e64 v40, null, s49, v40, s40
	global_store_dword v[39:40], v3, off
.LBB530_520:                            ;   in Loop: Header=BB530_418 Depth=2
	s_or_b32 exec_lo, exec_lo, s65
	s_lshl_b64 s[66:67], s[50:51], 3
	v_add_co_u32 v39, s40, v132, s66
	v_add_co_ci_u32_e64 v40, null, s67, v133, s40
	v_cmp_lt_u32_e64 s40, v109, v156
	s_and_saveexec_b32 s50, s40
	s_xor_b32 s40, exec_lo, s50
	s_cbranch_execnz .LBB530_591
; %bb.521:                              ;   in Loop: Header=BB530_418 Depth=2
	s_or_b32 exec_lo, exec_lo, s40
	s_mov_b32 s50, exec_lo
	v_cmpx_lt_u32_e64 v112, v156
	s_cbranch_execnz .LBB530_592
.LBB530_522:                            ;   in Loop: Header=BB530_418 Depth=2
	s_or_b32 exec_lo, exec_lo, s50
	s_mov_b32 s50, exec_lo
	v_cmpx_lt_u32_e64 v113, v156
	s_cbranch_execnz .LBB530_593
.LBB530_523:                            ;   in Loop: Header=BB530_418 Depth=2
	s_or_b32 exec_lo, exec_lo, s50
	s_mov_b32 s50, exec_lo
	v_cmpx_lt_u32_e64 v114, v156
	s_cbranch_execnz .LBB530_594
.LBB530_524:                            ;   in Loop: Header=BB530_418 Depth=2
	s_or_b32 exec_lo, exec_lo, s50
	s_mov_b32 s50, exec_lo
	v_cmpx_lt_u32_e64 v115, v156
	s_cbranch_execnz .LBB530_595
.LBB530_525:                            ;   in Loop: Header=BB530_418 Depth=2
	s_or_b32 exec_lo, exec_lo, s50
	s_mov_b32 s50, exec_lo
	v_cmpx_lt_u32_e64 v116, v156
	s_cbranch_execnz .LBB530_596
.LBB530_526:                            ;   in Loop: Header=BB530_418 Depth=2
	s_or_b32 exec_lo, exec_lo, s50
	s_mov_b32 s50, exec_lo
	v_cmpx_lt_u32_e64 v117, v156
	s_cbranch_execnz .LBB530_597
.LBB530_527:                            ;   in Loop: Header=BB530_418 Depth=2
	s_or_b32 exec_lo, exec_lo, s50
	s_mov_b32 s50, exec_lo
	v_cmpx_lt_u32_e64 v118, v156
	s_cbranch_execnz .LBB530_598
.LBB530_528:                            ;   in Loop: Header=BB530_418 Depth=2
	s_or_b32 exec_lo, exec_lo, s50
	s_mov_b32 s50, exec_lo
	v_cmpx_lt_u32_e64 v119, v156
	s_cbranch_execnz .LBB530_599
.LBB530_529:                            ;   in Loop: Header=BB530_418 Depth=2
	s_or_b32 exec_lo, exec_lo, s50
	s_mov_b32 s50, exec_lo
	v_cmpx_lt_u32_e64 v120, v156
	s_cbranch_execnz .LBB530_600
.LBB530_530:                            ;   in Loop: Header=BB530_418 Depth=2
	s_or_b32 exec_lo, exec_lo, s50
	s_mov_b32 s50, exec_lo
	v_cmpx_lt_u32_e64 v121, v156
	s_cbranch_execnz .LBB530_601
.LBB530_531:                            ;   in Loop: Header=BB530_418 Depth=2
	s_or_b32 exec_lo, exec_lo, s50
	s_mov_b32 s50, exec_lo
	v_cmpx_lt_u32_e64 v122, v156
	s_cbranch_execnz .LBB530_602
.LBB530_532:                            ;   in Loop: Header=BB530_418 Depth=2
	s_or_b32 exec_lo, exec_lo, s50
	s_mov_b32 s50, exec_lo
	v_cmpx_lt_u32_e64 v123, v156
	s_cbranch_execnz .LBB530_603
.LBB530_533:                            ;   in Loop: Header=BB530_418 Depth=2
	s_or_b32 exec_lo, exec_lo, s50
	s_mov_b32 s50, exec_lo
	v_cmpx_lt_u32_e64 v124, v156
	s_cbranch_execnz .LBB530_604
.LBB530_534:                            ;   in Loop: Header=BB530_418 Depth=2
	s_or_b32 exec_lo, exec_lo, s50
	s_mov_b32 s50, exec_lo
	v_cmpx_lt_u32_e64 v126, v156
	s_cbranch_execnz .LBB530_605
.LBB530_535:                            ;   in Loop: Header=BB530_418 Depth=2
	s_or_b32 exec_lo, exec_lo, s50
	s_mov_b32 s50, exec_lo
	v_cmpx_lt_u32_e64 v127, v156
	s_cbranch_execnz .LBB530_606
.LBB530_536:                            ;   in Loop: Header=BB530_418 Depth=2
	s_or_b32 exec_lo, exec_lo, s50
	s_mov_b32 s50, exec_lo
	v_cmpx_lt_u32_e64 v128, v156
	s_cbranch_execnz .LBB530_607
.LBB530_537:                            ;   in Loop: Header=BB530_418 Depth=2
	s_or_b32 exec_lo, exec_lo, s50
	s_and_saveexec_b32 s40, vcc_lo
	s_cbranch_execnz .LBB530_608
.LBB530_538:                            ;   in Loop: Header=BB530_418 Depth=2
	s_or_b32 exec_lo, exec_lo, s40
	s_and_saveexec_b32 s40, s23
	s_cbranch_execnz .LBB530_609
.LBB530_539:                            ;   in Loop: Header=BB530_418 Depth=2
	s_or_b32 exec_lo, exec_lo, s40
	s_and_saveexec_b32 s40, s24
	s_cbranch_execnz .LBB530_610
.LBB530_540:                            ;   in Loop: Header=BB530_418 Depth=2
	s_or_b32 exec_lo, exec_lo, s40
	s_and_saveexec_b32 s40, s25
	s_cbranch_execnz .LBB530_611
.LBB530_541:                            ;   in Loop: Header=BB530_418 Depth=2
	s_or_b32 exec_lo, exec_lo, s40
	s_and_saveexec_b32 s40, s26
	s_cbranch_execnz .LBB530_612
.LBB530_542:                            ;   in Loop: Header=BB530_418 Depth=2
	s_or_b32 exec_lo, exec_lo, s40
	s_and_saveexec_b32 s40, s27
	s_cbranch_execnz .LBB530_613
.LBB530_543:                            ;   in Loop: Header=BB530_418 Depth=2
	s_or_b32 exec_lo, exec_lo, s40
	s_and_saveexec_b32 s40, s28
	s_cbranch_execnz .LBB530_614
.LBB530_544:                            ;   in Loop: Header=BB530_418 Depth=2
	s_or_b32 exec_lo, exec_lo, s40
	s_and_saveexec_b32 s40, s29
	s_cbranch_execnz .LBB530_615
.LBB530_545:                            ;   in Loop: Header=BB530_418 Depth=2
	s_or_b32 exec_lo, exec_lo, s40
	s_and_saveexec_b32 s40, s30
	s_cbranch_execnz .LBB530_616
.LBB530_546:                            ;   in Loop: Header=BB530_418 Depth=2
	s_or_b32 exec_lo, exec_lo, s40
	s_and_saveexec_b32 s40, s31
	s_cbranch_execnz .LBB530_617
.LBB530_547:                            ;   in Loop: Header=BB530_418 Depth=2
	s_or_b32 exec_lo, exec_lo, s40
	s_and_saveexec_b32 s40, s33
	s_cbranch_execnz .LBB530_618
.LBB530_548:                            ;   in Loop: Header=BB530_418 Depth=2
	s_or_b32 exec_lo, exec_lo, s40
	s_and_saveexec_b32 s40, s34
	s_cbranch_execnz .LBB530_619
.LBB530_549:                            ;   in Loop: Header=BB530_418 Depth=2
	s_or_b32 exec_lo, exec_lo, s40
	s_and_saveexec_b32 s40, s35
	s_cbranch_execnz .LBB530_620
.LBB530_550:                            ;   in Loop: Header=BB530_418 Depth=2
	s_or_b32 exec_lo, exec_lo, s40
	s_and_saveexec_b32 s40, s36
	s_cbranch_execnz .LBB530_621
.LBB530_551:                            ;   in Loop: Header=BB530_418 Depth=2
	s_or_b32 exec_lo, exec_lo, s40
	s_and_saveexec_b32 s40, s37
	s_cbranch_execnz .LBB530_622
.LBB530_552:                            ;   in Loop: Header=BB530_418 Depth=2
	s_or_b32 exec_lo, exec_lo, s40
	s_and_saveexec_b32 s40, s38
	s_cbranch_execnz .LBB530_623
.LBB530_553:                            ;   in Loop: Header=BB530_418 Depth=2
	s_or_b32 exec_lo, exec_lo, s40
	s_and_saveexec_b32 s40, s39
	s_cbranch_execz .LBB530_555
.LBB530_554:                            ;   in Loop: Header=BB530_418 Depth=2
	ds_read_b32 v3, v69 offset:16896
	s_waitcnt lgkmcnt(0)
	v_lshrrev_b32_e32 v3, s61, v3
	v_and_b32_e32 v137, s62, v3
.LBB530_555:                            ;   in Loop: Header=BB530_418 Depth=2
	s_or_b32 exec_lo, exec_lo, s40
	v_lshlrev_b32_e32 v3, 3, v179
	v_lshlrev_b32_e32 v39, 3, v178
	s_waitcnt vmcnt(0)
	s_waitcnt_vscnt null, 0x0
	s_barrier
	buffer_gl0_inv
	ds_write_b64 v3, v[37:38] offset:512
	ds_write_b64 v39, v[35:36] offset:512
	v_lshlrev_b32_e32 v3, 3, v174
	v_lshlrev_b32_e32 v39, 3, v173
	v_lshlrev_b32_e32 v40, 3, v172
	v_lshlrev_b32_e32 v156, 3, v171
	v_lshlrev_b32_e32 v157, 3, v169
	ds_write_b64 v3, v[33:34] offset:512
	ds_write_b64 v39, v[31:32] offset:512
	ds_write_b64 v40, v[29:30] offset:512
	ds_write_b64 v156, v[25:26] offset:512
	ds_write_b64 v157, v[21:22] offset:512
	v_lshlrev_b32_e32 v3, 3, v168
	v_lshlrev_b32_e32 v39, 3, v167
	v_lshlrev_b32_e32 v40, 3, v166
	v_lshlrev_b32_e32 v156, 3, v164
	v_lshlrev_b32_e32 v157, 3, v163
	ds_write_b64 v3, v[17:18] offset:512
	ds_write_b64 v39, v[27:28] offset:512
	ds_write_b64 v40, v[23:24] offset:512
	;; [unrolled: 10-line block ×3, first 2 shown]
	ds_write_b64 v41, v[7:8] offset:512
	ds_write_b64 v42, v[5:6] offset:512
	s_waitcnt lgkmcnt(0)
	s_barrier
	buffer_gl0_inv
	s_and_saveexec_b32 s40, vcc_lo
	s_cbranch_execnz .LBB530_624
; %bb.556:                              ;   in Loop: Header=BB530_418 Depth=2
	s_or_b32 exec_lo, exec_lo, s40
	s_and_saveexec_b32 s40, s23
	s_cbranch_execnz .LBB530_625
.LBB530_557:                            ;   in Loop: Header=BB530_418 Depth=2
	s_or_b32 exec_lo, exec_lo, s40
	s_and_saveexec_b32 s23, s24
	s_cbranch_execnz .LBB530_626
.LBB530_558:                            ;   in Loop: Header=BB530_418 Depth=2
	s_or_b32 exec_lo, exec_lo, s23
	s_and_saveexec_b32 s23, s25
	s_cbranch_execnz .LBB530_627
.LBB530_559:                            ;   in Loop: Header=BB530_418 Depth=2
	s_or_b32 exec_lo, exec_lo, s23
	s_and_saveexec_b32 s23, s26
	s_cbranch_execnz .LBB530_628
.LBB530_560:                            ;   in Loop: Header=BB530_418 Depth=2
	s_or_b32 exec_lo, exec_lo, s23
	s_and_saveexec_b32 s23, s27
	s_cbranch_execnz .LBB530_629
.LBB530_561:                            ;   in Loop: Header=BB530_418 Depth=2
	s_or_b32 exec_lo, exec_lo, s23
	s_and_saveexec_b32 s23, s28
	s_cbranch_execnz .LBB530_630
.LBB530_562:                            ;   in Loop: Header=BB530_418 Depth=2
	s_or_b32 exec_lo, exec_lo, s23
	s_and_saveexec_b32 s23, s29
	s_cbranch_execnz .LBB530_631
.LBB530_563:                            ;   in Loop: Header=BB530_418 Depth=2
	s_or_b32 exec_lo, exec_lo, s23
	s_and_saveexec_b32 s23, s30
	s_cbranch_execnz .LBB530_632
.LBB530_564:                            ;   in Loop: Header=BB530_418 Depth=2
	s_or_b32 exec_lo, exec_lo, s23
	s_and_saveexec_b32 s23, s31
	s_cbranch_execnz .LBB530_633
.LBB530_565:                            ;   in Loop: Header=BB530_418 Depth=2
	s_or_b32 exec_lo, exec_lo, s23
	s_and_saveexec_b32 s23, s33
	s_cbranch_execnz .LBB530_634
.LBB530_566:                            ;   in Loop: Header=BB530_418 Depth=2
	s_or_b32 exec_lo, exec_lo, s23
	s_and_saveexec_b32 s23, s34
	s_cbranch_execnz .LBB530_635
.LBB530_567:                            ;   in Loop: Header=BB530_418 Depth=2
	s_or_b32 exec_lo, exec_lo, s23
	s_and_saveexec_b32 s23, s35
	s_cbranch_execnz .LBB530_636
.LBB530_568:                            ;   in Loop: Header=BB530_418 Depth=2
	s_or_b32 exec_lo, exec_lo, s23
	s_and_saveexec_b32 s23, s36
	s_cbranch_execnz .LBB530_637
.LBB530_569:                            ;   in Loop: Header=BB530_418 Depth=2
	s_or_b32 exec_lo, exec_lo, s23
	s_and_saveexec_b32 s23, s37
	s_cbranch_execnz .LBB530_638
.LBB530_570:                            ;   in Loop: Header=BB530_418 Depth=2
	s_or_b32 exec_lo, exec_lo, s23
	s_and_saveexec_b32 s23, s38
	s_cbranch_execnz .LBB530_639
.LBB530_571:                            ;   in Loop: Header=BB530_418 Depth=2
	s_or_b32 exec_lo, exec_lo, s23
	s_and_saveexec_b32 s23, s39
	s_cbranch_execz .LBB530_573
.LBB530_572:                            ;   in Loop: Header=BB530_418 Depth=2
	v_lshlrev_b32_e32 v3, 2, v137
	v_add_nc_u32_e32 v39, v69, v43
	ds_read_b32 v3, v3
	ds_read_b64 v[39:40], v39 offset:33280
	s_waitcnt lgkmcnt(1)
	v_add_nc_u32_e32 v3, v3, v61
	v_lshlrev_b64 v[41:42], 3, v[3:4]
	v_add_co_u32 v41, vcc_lo, s54, v41
	v_add_co_ci_u32_e64 v42, null, s55, v42, vcc_lo
	s_waitcnt lgkmcnt(0)
	global_store_dwordx2 v[41:42], v[39:40], off
.LBB530_573:                            ;   in Loop: Header=BB530_418 Depth=2
	s_or_b32 exec_lo, exec_lo, s23
	s_waitcnt_vscnt null, 0x0
	s_barrier
	buffer_gl0_inv
	s_and_saveexec_b32 s23, s8
	s_cbranch_execz .LBB530_417
; %bb.574:                              ;   in Loop: Header=BB530_418 Depth=2
	ds_read_b32 v3, v43
	s_waitcnt lgkmcnt(0)
	v_add3_u32 v3, v152, v155, v3
	ds_write_b32 v43, v3
	s_branch .LBB530_417
.LBB530_575:                            ;   in Loop: Header=BB530_418 Depth=2
	ds_read_b32 v157, v69 offset:512
	s_waitcnt lgkmcnt(0)
	v_lshrrev_b32_e32 v3, s61, v157
	v_and_b32_e32 v3, s62, v3
	v_lshlrev_b32_e32 v3, 2, v3
	ds_read_b32 v3, v3
	s_waitcnt lgkmcnt(0)
	v_add_nc_u32_e32 v3, v3, v0
	v_lshlrev_b64 v[39:40], 2, v[3:4]
	v_xor_b32_e32 v3, 0x7fffffff, v157
	v_add_co_u32 v39, s23, s48, v39
	v_add_co_ci_u32_e64 v40, null, s49, v40, s23
	global_store_dword v[39:40], v3, off
	s_or_b32 exec_lo, exec_lo, s24
	v_cmp_lt_u32_e64 s23, v44, v156
	s_and_saveexec_b32 s25, s23
	s_cbranch_execz .LBB530_504
.LBB530_576:                            ;   in Loop: Header=BB530_418 Depth=2
	ds_read_b32 v157, v69 offset:1536
	s_waitcnt lgkmcnt(0)
	v_lshrrev_b32_e32 v3, s61, v157
	v_and_b32_e32 v3, s62, v3
	v_lshlrev_b32_e32 v3, 2, v3
	ds_read_b32 v3, v3
	s_waitcnt lgkmcnt(0)
	v_add_nc_u32_e32 v3, v3, v44
	v_lshlrev_b64 v[39:40], 2, v[3:4]
	v_xor_b32_e32 v3, 0x7fffffff, v157
	v_add_co_u32 v39, s24, s48, v39
	v_add_co_ci_u32_e64 v40, null, s49, v40, s24
	global_store_dword v[39:40], v3, off
	s_or_b32 exec_lo, exec_lo, s25
	v_cmp_lt_u32_e64 s24, v47, v156
	s_and_saveexec_b32 s26, s24
	s_cbranch_execz .LBB530_505
.LBB530_577:                            ;   in Loop: Header=BB530_418 Depth=2
	ds_read_b32 v157, v69 offset:2560
	s_waitcnt lgkmcnt(0)
	v_lshrrev_b32_e32 v3, s61, v157
	v_and_b32_e32 v3, s62, v3
	v_lshlrev_b32_e32 v3, 2, v3
	ds_read_b32 v3, v3
	s_waitcnt lgkmcnt(0)
	v_add_nc_u32_e32 v3, v3, v47
	v_lshlrev_b64 v[39:40], 2, v[3:4]
	v_xor_b32_e32 v3, 0x7fffffff, v157
	v_add_co_u32 v39, s25, s48, v39
	v_add_co_ci_u32_e64 v40, null, s49, v40, s25
	global_store_dword v[39:40], v3, off
	s_or_b32 exec_lo, exec_lo, s26
	v_cmp_lt_u32_e64 s25, v48, v156
	s_and_saveexec_b32 s27, s25
	s_cbranch_execz .LBB530_506
.LBB530_578:                            ;   in Loop: Header=BB530_418 Depth=2
	ds_read_b32 v157, v69 offset:3584
	s_waitcnt lgkmcnt(0)
	v_lshrrev_b32_e32 v3, s61, v157
	v_and_b32_e32 v3, s62, v3
	v_lshlrev_b32_e32 v3, 2, v3
	ds_read_b32 v3, v3
	s_waitcnt lgkmcnt(0)
	v_add_nc_u32_e32 v3, v3, v48
	v_lshlrev_b64 v[39:40], 2, v[3:4]
	v_xor_b32_e32 v3, 0x7fffffff, v157
	v_add_co_u32 v39, s26, s48, v39
	v_add_co_ci_u32_e64 v40, null, s49, v40, s26
	global_store_dword v[39:40], v3, off
	s_or_b32 exec_lo, exec_lo, s27
	v_cmp_lt_u32_e64 s26, v49, v156
	s_and_saveexec_b32 s28, s26
	s_cbranch_execz .LBB530_507
.LBB530_579:                            ;   in Loop: Header=BB530_418 Depth=2
	ds_read_b32 v157, v69 offset:4608
	s_waitcnt lgkmcnt(0)
	v_lshrrev_b32_e32 v3, s61, v157
	v_and_b32_e32 v3, s62, v3
	v_lshlrev_b32_e32 v3, 2, v3
	ds_read_b32 v3, v3
	s_waitcnt lgkmcnt(0)
	v_add_nc_u32_e32 v3, v3, v49
	v_lshlrev_b64 v[39:40], 2, v[3:4]
	v_xor_b32_e32 v3, 0x7fffffff, v157
	v_add_co_u32 v39, s27, s48, v39
	v_add_co_ci_u32_e64 v40, null, s49, v40, s27
	global_store_dword v[39:40], v3, off
	s_or_b32 exec_lo, exec_lo, s28
	v_cmp_lt_u32_e64 s27, v50, v156
	s_and_saveexec_b32 s29, s27
	s_cbranch_execz .LBB530_508
.LBB530_580:                            ;   in Loop: Header=BB530_418 Depth=2
	ds_read_b32 v157, v69 offset:5632
	s_waitcnt lgkmcnt(0)
	v_lshrrev_b32_e32 v3, s61, v157
	v_and_b32_e32 v3, s62, v3
	v_lshlrev_b32_e32 v3, 2, v3
	ds_read_b32 v3, v3
	s_waitcnt lgkmcnt(0)
	v_add_nc_u32_e32 v3, v3, v50
	v_lshlrev_b64 v[39:40], 2, v[3:4]
	v_xor_b32_e32 v3, 0x7fffffff, v157
	v_add_co_u32 v39, s28, s48, v39
	v_add_co_ci_u32_e64 v40, null, s49, v40, s28
	global_store_dword v[39:40], v3, off
	s_or_b32 exec_lo, exec_lo, s29
	v_cmp_lt_u32_e64 s28, v51, v156
	s_and_saveexec_b32 s30, s28
	s_cbranch_execz .LBB530_509
.LBB530_581:                            ;   in Loop: Header=BB530_418 Depth=2
	ds_read_b32 v157, v69 offset:6656
	s_waitcnt lgkmcnt(0)
	v_lshrrev_b32_e32 v3, s61, v157
	v_and_b32_e32 v3, s62, v3
	v_lshlrev_b32_e32 v3, 2, v3
	ds_read_b32 v3, v3
	s_waitcnt lgkmcnt(0)
	v_add_nc_u32_e32 v3, v3, v51
	v_lshlrev_b64 v[39:40], 2, v[3:4]
	v_xor_b32_e32 v3, 0x7fffffff, v157
	v_add_co_u32 v39, s29, s48, v39
	v_add_co_ci_u32_e64 v40, null, s49, v40, s29
	global_store_dword v[39:40], v3, off
	s_or_b32 exec_lo, exec_lo, s30
	v_cmp_lt_u32_e64 s29, v52, v156
	s_and_saveexec_b32 s31, s29
	s_cbranch_execz .LBB530_510
.LBB530_582:                            ;   in Loop: Header=BB530_418 Depth=2
	ds_read_b32 v157, v69 offset:7680
	s_waitcnt lgkmcnt(0)
	v_lshrrev_b32_e32 v3, s61, v157
	v_and_b32_e32 v3, s62, v3
	v_lshlrev_b32_e32 v3, 2, v3
	ds_read_b32 v3, v3
	s_waitcnt lgkmcnt(0)
	v_add_nc_u32_e32 v3, v3, v52
	v_lshlrev_b64 v[39:40], 2, v[3:4]
	v_xor_b32_e32 v3, 0x7fffffff, v157
	v_add_co_u32 v39, s30, s48, v39
	v_add_co_ci_u32_e64 v40, null, s49, v40, s30
	global_store_dword v[39:40], v3, off
	s_or_b32 exec_lo, exec_lo, s31
	v_cmp_lt_u32_e64 s30, v53, v156
	s_and_saveexec_b32 s33, s30
	s_cbranch_execz .LBB530_511
.LBB530_583:                            ;   in Loop: Header=BB530_418 Depth=2
	ds_read_b32 v157, v69 offset:8704
	s_waitcnt lgkmcnt(0)
	v_lshrrev_b32_e32 v3, s61, v157
	v_and_b32_e32 v3, s62, v3
	v_lshlrev_b32_e32 v3, 2, v3
	ds_read_b32 v3, v3
	s_waitcnt lgkmcnt(0)
	v_add_nc_u32_e32 v3, v3, v53
	v_lshlrev_b64 v[39:40], 2, v[3:4]
	v_xor_b32_e32 v3, 0x7fffffff, v157
	v_add_co_u32 v39, s31, s48, v39
	v_add_co_ci_u32_e64 v40, null, s49, v40, s31
	global_store_dword v[39:40], v3, off
	s_or_b32 exec_lo, exec_lo, s33
	v_cmp_lt_u32_e64 s31, v54, v156
	s_and_saveexec_b32 s34, s31
	s_cbranch_execz .LBB530_512
.LBB530_584:                            ;   in Loop: Header=BB530_418 Depth=2
	ds_read_b32 v157, v69 offset:9728
	s_waitcnt lgkmcnt(0)
	v_lshrrev_b32_e32 v3, s61, v157
	v_and_b32_e32 v3, s62, v3
	v_lshlrev_b32_e32 v3, 2, v3
	ds_read_b32 v3, v3
	s_waitcnt lgkmcnt(0)
	v_add_nc_u32_e32 v3, v3, v54
	v_lshlrev_b64 v[39:40], 2, v[3:4]
	v_xor_b32_e32 v3, 0x7fffffff, v157
	v_add_co_u32 v39, s33, s48, v39
	v_add_co_ci_u32_e64 v40, null, s49, v40, s33
	global_store_dword v[39:40], v3, off
	s_or_b32 exec_lo, exec_lo, s34
	v_cmp_lt_u32_e64 s33, v55, v156
	s_and_saveexec_b32 s35, s33
	s_cbranch_execz .LBB530_513
.LBB530_585:                            ;   in Loop: Header=BB530_418 Depth=2
	ds_read_b32 v157, v69 offset:10752
	s_waitcnt lgkmcnt(0)
	v_lshrrev_b32_e32 v3, s61, v157
	v_and_b32_e32 v3, s62, v3
	v_lshlrev_b32_e32 v3, 2, v3
	ds_read_b32 v3, v3
	s_waitcnt lgkmcnt(0)
	v_add_nc_u32_e32 v3, v3, v55
	v_lshlrev_b64 v[39:40], 2, v[3:4]
	v_xor_b32_e32 v3, 0x7fffffff, v157
	v_add_co_u32 v39, s34, s48, v39
	v_add_co_ci_u32_e64 v40, null, s49, v40, s34
	global_store_dword v[39:40], v3, off
	s_or_b32 exec_lo, exec_lo, s35
	v_cmp_lt_u32_e64 s34, v56, v156
	s_and_saveexec_b32 s36, s34
	s_cbranch_execz .LBB530_514
.LBB530_586:                            ;   in Loop: Header=BB530_418 Depth=2
	ds_read_b32 v157, v69 offset:11776
	s_waitcnt lgkmcnt(0)
	v_lshrrev_b32_e32 v3, s61, v157
	v_and_b32_e32 v3, s62, v3
	v_lshlrev_b32_e32 v3, 2, v3
	ds_read_b32 v3, v3
	s_waitcnt lgkmcnt(0)
	v_add_nc_u32_e32 v3, v3, v56
	v_lshlrev_b64 v[39:40], 2, v[3:4]
	v_xor_b32_e32 v3, 0x7fffffff, v157
	v_add_co_u32 v39, s35, s48, v39
	v_add_co_ci_u32_e64 v40, null, s49, v40, s35
	global_store_dword v[39:40], v3, off
	s_or_b32 exec_lo, exec_lo, s36
	v_cmp_lt_u32_e64 s35, v57, v156
	s_and_saveexec_b32 s37, s35
	s_cbranch_execz .LBB530_515
.LBB530_587:                            ;   in Loop: Header=BB530_418 Depth=2
	ds_read_b32 v157, v69 offset:12800
	s_waitcnt lgkmcnt(0)
	v_lshrrev_b32_e32 v3, s61, v157
	v_and_b32_e32 v3, s62, v3
	v_lshlrev_b32_e32 v3, 2, v3
	ds_read_b32 v3, v3
	s_waitcnt lgkmcnt(0)
	v_add_nc_u32_e32 v3, v3, v57
	v_lshlrev_b64 v[39:40], 2, v[3:4]
	v_xor_b32_e32 v3, 0x7fffffff, v157
	v_add_co_u32 v39, s36, s48, v39
	v_add_co_ci_u32_e64 v40, null, s49, v40, s36
	global_store_dword v[39:40], v3, off
	s_or_b32 exec_lo, exec_lo, s37
	v_cmp_lt_u32_e64 s36, v58, v156
	s_and_saveexec_b32 s38, s36
	s_cbranch_execz .LBB530_516
.LBB530_588:                            ;   in Loop: Header=BB530_418 Depth=2
	ds_read_b32 v157, v69 offset:13824
	s_waitcnt lgkmcnt(0)
	v_lshrrev_b32_e32 v3, s61, v157
	v_and_b32_e32 v3, s62, v3
	v_lshlrev_b32_e32 v3, 2, v3
	ds_read_b32 v3, v3
	s_waitcnt lgkmcnt(0)
	v_add_nc_u32_e32 v3, v3, v58
	v_lshlrev_b64 v[39:40], 2, v[3:4]
	v_xor_b32_e32 v3, 0x7fffffff, v157
	v_add_co_u32 v39, s37, s48, v39
	v_add_co_ci_u32_e64 v40, null, s49, v40, s37
	global_store_dword v[39:40], v3, off
	s_or_b32 exec_lo, exec_lo, s38
	v_cmp_lt_u32_e64 s37, v59, v156
	s_and_saveexec_b32 s39, s37
	s_cbranch_execz .LBB530_517
.LBB530_589:                            ;   in Loop: Header=BB530_418 Depth=2
	ds_read_b32 v157, v69 offset:14848
	s_waitcnt lgkmcnt(0)
	v_lshrrev_b32_e32 v3, s61, v157
	v_and_b32_e32 v3, s62, v3
	v_lshlrev_b32_e32 v3, 2, v3
	ds_read_b32 v3, v3
	s_waitcnt lgkmcnt(0)
	v_add_nc_u32_e32 v3, v3, v59
	v_lshlrev_b64 v[39:40], 2, v[3:4]
	v_xor_b32_e32 v3, 0x7fffffff, v157
	v_add_co_u32 v39, s38, s48, v39
	v_add_co_ci_u32_e64 v40, null, s49, v40, s38
	global_store_dword v[39:40], v3, off
	s_or_b32 exec_lo, exec_lo, s39
	v_cmp_lt_u32_e64 s38, v60, v156
	s_and_saveexec_b32 s40, s38
	s_cbranch_execz .LBB530_518
.LBB530_590:                            ;   in Loop: Header=BB530_418 Depth=2
	ds_read_b32 v157, v69 offset:15872
	s_waitcnt lgkmcnt(0)
	v_lshrrev_b32_e32 v3, s61, v157
	v_and_b32_e32 v3, s62, v3
	v_lshlrev_b32_e32 v3, 2, v3
	ds_read_b32 v3, v3
	s_waitcnt lgkmcnt(0)
	v_add_nc_u32_e32 v3, v3, v60
	v_lshlrev_b64 v[39:40], 2, v[3:4]
	v_xor_b32_e32 v3, 0x7fffffff, v157
	v_add_co_u32 v39, s39, s48, v39
	v_add_co_ci_u32_e64 v40, null, s49, v40, s39
	global_store_dword v[39:40], v3, off
	s_or_b32 exec_lo, exec_lo, s40
	v_cmp_lt_u32_e64 s39, v61, v156
	s_and_saveexec_b32 s65, s39
	s_cbranch_execnz .LBB530_519
	s_branch .LBB530_520
.LBB530_591:                            ;   in Loop: Header=BB530_418 Depth=2
	global_load_dwordx2 v[37:38], v[39:40], off
	s_or_b32 exec_lo, exec_lo, s40
	s_mov_b32 s50, exec_lo
	v_cmpx_lt_u32_e64 v112, v156
	s_cbranch_execz .LBB530_522
.LBB530_592:                            ;   in Loop: Header=BB530_418 Depth=2
	global_load_dwordx2 v[35:36], v[39:40], off offset:256
	s_or_b32 exec_lo, exec_lo, s50
	s_mov_b32 s50, exec_lo
	v_cmpx_lt_u32_e64 v113, v156
	s_cbranch_execz .LBB530_523
.LBB530_593:                            ;   in Loop: Header=BB530_418 Depth=2
	global_load_dwordx2 v[33:34], v[39:40], off offset:512
	s_or_b32 exec_lo, exec_lo, s50
	s_mov_b32 s50, exec_lo
	v_cmpx_lt_u32_e64 v114, v156
	s_cbranch_execz .LBB530_524
.LBB530_594:                            ;   in Loop: Header=BB530_418 Depth=2
	global_load_dwordx2 v[31:32], v[39:40], off offset:768
	s_or_b32 exec_lo, exec_lo, s50
	s_mov_b32 s50, exec_lo
	v_cmpx_lt_u32_e64 v115, v156
	s_cbranch_execz .LBB530_525
.LBB530_595:                            ;   in Loop: Header=BB530_418 Depth=2
	global_load_dwordx2 v[29:30], v[39:40], off offset:1024
	s_or_b32 exec_lo, exec_lo, s50
	s_mov_b32 s50, exec_lo
	v_cmpx_lt_u32_e64 v116, v156
	s_cbranch_execz .LBB530_526
.LBB530_596:                            ;   in Loop: Header=BB530_418 Depth=2
	global_load_dwordx2 v[25:26], v[39:40], off offset:1280
	s_or_b32 exec_lo, exec_lo, s50
	s_mov_b32 s50, exec_lo
	v_cmpx_lt_u32_e64 v117, v156
	s_cbranch_execz .LBB530_527
.LBB530_597:                            ;   in Loop: Header=BB530_418 Depth=2
	global_load_dwordx2 v[21:22], v[39:40], off offset:1536
	s_or_b32 exec_lo, exec_lo, s50
	s_mov_b32 s50, exec_lo
	v_cmpx_lt_u32_e64 v118, v156
	s_cbranch_execz .LBB530_528
.LBB530_598:                            ;   in Loop: Header=BB530_418 Depth=2
	global_load_dwordx2 v[17:18], v[39:40], off offset:1792
	s_or_b32 exec_lo, exec_lo, s50
	s_mov_b32 s50, exec_lo
	v_cmpx_lt_u32_e64 v119, v156
	s_cbranch_execz .LBB530_529
.LBB530_599:                            ;   in Loop: Header=BB530_418 Depth=2
	v_add_co_u32 v27, s40, 0x800, v39
	v_add_co_ci_u32_e64 v28, null, 0, v40, s40
	global_load_dwordx2 v[27:28], v[27:28], off
	s_or_b32 exec_lo, exec_lo, s50
	s_mov_b32 s50, exec_lo
	v_cmpx_lt_u32_e64 v120, v156
	s_cbranch_execz .LBB530_530
.LBB530_600:                            ;   in Loop: Header=BB530_418 Depth=2
	v_add_co_u32 v23, s40, 0x800, v39
	v_add_co_ci_u32_e64 v24, null, 0, v40, s40
	global_load_dwordx2 v[23:24], v[23:24], off offset:256
	s_or_b32 exec_lo, exec_lo, s50
	s_mov_b32 s50, exec_lo
	v_cmpx_lt_u32_e64 v121, v156
	s_cbranch_execz .LBB530_531
.LBB530_601:                            ;   in Loop: Header=BB530_418 Depth=2
	v_add_co_u32 v19, s40, 0x800, v39
	v_add_co_ci_u32_e64 v20, null, 0, v40, s40
	global_load_dwordx2 v[19:20], v[19:20], off offset:512
	s_or_b32 exec_lo, exec_lo, s50
	s_mov_b32 s50, exec_lo
	v_cmpx_lt_u32_e64 v122, v156
	s_cbranch_execz .LBB530_532
.LBB530_602:                            ;   in Loop: Header=BB530_418 Depth=2
	v_add_co_u32 v15, s40, 0x800, v39
	v_add_co_ci_u32_e64 v16, null, 0, v40, s40
	global_load_dwordx2 v[15:16], v[15:16], off offset:768
	s_or_b32 exec_lo, exec_lo, s50
	s_mov_b32 s50, exec_lo
	v_cmpx_lt_u32_e64 v123, v156
	s_cbranch_execz .LBB530_533
.LBB530_603:                            ;   in Loop: Header=BB530_418 Depth=2
	v_add_co_u32 v13, s40, 0x800, v39
	v_add_co_ci_u32_e64 v14, null, 0, v40, s40
	global_load_dwordx2 v[13:14], v[13:14], off offset:1024
	s_or_b32 exec_lo, exec_lo, s50
	s_mov_b32 s50, exec_lo
	v_cmpx_lt_u32_e64 v124, v156
	s_cbranch_execz .LBB530_534
.LBB530_604:                            ;   in Loop: Header=BB530_418 Depth=2
	v_add_co_u32 v11, s40, 0x800, v39
	v_add_co_ci_u32_e64 v12, null, 0, v40, s40
	global_load_dwordx2 v[11:12], v[11:12], off offset:1280
	s_or_b32 exec_lo, exec_lo, s50
	s_mov_b32 s50, exec_lo
	v_cmpx_lt_u32_e64 v126, v156
	s_cbranch_execz .LBB530_535
.LBB530_605:                            ;   in Loop: Header=BB530_418 Depth=2
	v_add_co_u32 v9, s40, 0x800, v39
	v_add_co_ci_u32_e64 v10, null, 0, v40, s40
	global_load_dwordx2 v[9:10], v[9:10], off offset:1536
	s_or_b32 exec_lo, exec_lo, s50
	s_mov_b32 s50, exec_lo
	v_cmpx_lt_u32_e64 v127, v156
	s_cbranch_execz .LBB530_536
.LBB530_606:                            ;   in Loop: Header=BB530_418 Depth=2
	v_add_co_u32 v7, s40, 0x800, v39
	v_add_co_ci_u32_e64 v8, null, 0, v40, s40
	global_load_dwordx2 v[7:8], v[7:8], off offset:1792
	s_or_b32 exec_lo, exec_lo, s50
	s_mov_b32 s50, exec_lo
	v_cmpx_lt_u32_e64 v128, v156
	s_cbranch_execz .LBB530_537
.LBB530_607:                            ;   in Loop: Header=BB530_418 Depth=2
	v_add_co_u32 v5, s40, 0x1000, v39
	v_add_co_ci_u32_e64 v6, null, 0, v40, s40
	global_load_dwordx2 v[5:6], v[5:6], off
	s_or_b32 exec_lo, exec_lo, s50
	s_and_saveexec_b32 s40, vcc_lo
	s_cbranch_execz .LBB530_538
.LBB530_608:                            ;   in Loop: Header=BB530_418 Depth=2
	ds_read_b32 v3, v69 offset:512
	s_waitcnt lgkmcnt(0)
	v_lshrrev_b32_e32 v3, s61, v3
	v_and_b32_e32 v154, s62, v3
	s_or_b32 exec_lo, exec_lo, s40
	s_and_saveexec_b32 s40, s23
	s_cbranch_execz .LBB530_539
.LBB530_609:                            ;   in Loop: Header=BB530_418 Depth=2
	ds_read_b32 v3, v69 offset:1536
	s_waitcnt lgkmcnt(0)
	v_lshrrev_b32_e32 v3, s61, v3
	v_and_b32_e32 v153, s62, v3
	s_or_b32 exec_lo, exec_lo, s40
	s_and_saveexec_b32 s40, s24
	s_cbranch_execz .LBB530_540
.LBB530_610:                            ;   in Loop: Header=BB530_418 Depth=2
	ds_read_b32 v3, v69 offset:2560
	s_waitcnt lgkmcnt(0)
	v_lshrrev_b32_e32 v3, s61, v3
	v_and_b32_e32 v151, s62, v3
	s_or_b32 exec_lo, exec_lo, s40
	s_and_saveexec_b32 s40, s25
	s_cbranch_execz .LBB530_541
.LBB530_611:                            ;   in Loop: Header=BB530_418 Depth=2
	ds_read_b32 v3, v69 offset:3584
	s_waitcnt lgkmcnt(0)
	v_lshrrev_b32_e32 v3, s61, v3
	v_and_b32_e32 v150, s62, v3
	s_or_b32 exec_lo, exec_lo, s40
	s_and_saveexec_b32 s40, s26
	s_cbranch_execz .LBB530_542
.LBB530_612:                            ;   in Loop: Header=BB530_418 Depth=2
	ds_read_b32 v3, v69 offset:4608
	s_waitcnt lgkmcnt(0)
	v_lshrrev_b32_e32 v3, s61, v3
	v_and_b32_e32 v149, s62, v3
	s_or_b32 exec_lo, exec_lo, s40
	s_and_saveexec_b32 s40, s27
	s_cbranch_execz .LBB530_543
.LBB530_613:                            ;   in Loop: Header=BB530_418 Depth=2
	ds_read_b32 v3, v69 offset:5632
	s_waitcnt lgkmcnt(0)
	v_lshrrev_b32_e32 v3, s61, v3
	v_and_b32_e32 v148, s62, v3
	s_or_b32 exec_lo, exec_lo, s40
	s_and_saveexec_b32 s40, s28
	s_cbranch_execz .LBB530_544
.LBB530_614:                            ;   in Loop: Header=BB530_418 Depth=2
	ds_read_b32 v3, v69 offset:6656
	s_waitcnt lgkmcnt(0)
	v_lshrrev_b32_e32 v3, s61, v3
	v_and_b32_e32 v147, s62, v3
	s_or_b32 exec_lo, exec_lo, s40
	s_and_saveexec_b32 s40, s29
	s_cbranch_execz .LBB530_545
.LBB530_615:                            ;   in Loop: Header=BB530_418 Depth=2
	ds_read_b32 v3, v69 offset:7680
	s_waitcnt lgkmcnt(0)
	v_lshrrev_b32_e32 v3, s61, v3
	v_and_b32_e32 v146, s62, v3
	s_or_b32 exec_lo, exec_lo, s40
	s_and_saveexec_b32 s40, s30
	s_cbranch_execz .LBB530_546
.LBB530_616:                            ;   in Loop: Header=BB530_418 Depth=2
	ds_read_b32 v3, v69 offset:8704
	s_waitcnt lgkmcnt(0)
	v_lshrrev_b32_e32 v3, s61, v3
	v_and_b32_e32 v145, s62, v3
	s_or_b32 exec_lo, exec_lo, s40
	s_and_saveexec_b32 s40, s31
	s_cbranch_execz .LBB530_547
.LBB530_617:                            ;   in Loop: Header=BB530_418 Depth=2
	ds_read_b32 v3, v69 offset:9728
	s_waitcnt lgkmcnt(0)
	v_lshrrev_b32_e32 v3, s61, v3
	v_and_b32_e32 v144, s62, v3
	s_or_b32 exec_lo, exec_lo, s40
	s_and_saveexec_b32 s40, s33
	s_cbranch_execz .LBB530_548
.LBB530_618:                            ;   in Loop: Header=BB530_418 Depth=2
	ds_read_b32 v3, v69 offset:10752
	s_waitcnt lgkmcnt(0)
	v_lshrrev_b32_e32 v3, s61, v3
	v_and_b32_e32 v143, s62, v3
	s_or_b32 exec_lo, exec_lo, s40
	s_and_saveexec_b32 s40, s34
	s_cbranch_execz .LBB530_549
.LBB530_619:                            ;   in Loop: Header=BB530_418 Depth=2
	ds_read_b32 v3, v69 offset:11776
	s_waitcnt lgkmcnt(0)
	v_lshrrev_b32_e32 v3, s61, v3
	v_and_b32_e32 v142, s62, v3
	s_or_b32 exec_lo, exec_lo, s40
	s_and_saveexec_b32 s40, s35
	s_cbranch_execz .LBB530_550
.LBB530_620:                            ;   in Loop: Header=BB530_418 Depth=2
	ds_read_b32 v3, v69 offset:12800
	s_waitcnt lgkmcnt(0)
	v_lshrrev_b32_e32 v3, s61, v3
	v_and_b32_e32 v141, s62, v3
	s_or_b32 exec_lo, exec_lo, s40
	s_and_saveexec_b32 s40, s36
	s_cbranch_execz .LBB530_551
.LBB530_621:                            ;   in Loop: Header=BB530_418 Depth=2
	ds_read_b32 v3, v69 offset:13824
	s_waitcnt lgkmcnt(0)
	v_lshrrev_b32_e32 v3, s61, v3
	v_and_b32_e32 v140, s62, v3
	s_or_b32 exec_lo, exec_lo, s40
	s_and_saveexec_b32 s40, s37
	s_cbranch_execz .LBB530_552
.LBB530_622:                            ;   in Loop: Header=BB530_418 Depth=2
	ds_read_b32 v3, v69 offset:14848
	s_waitcnt lgkmcnt(0)
	v_lshrrev_b32_e32 v3, s61, v3
	v_and_b32_e32 v139, s62, v3
	s_or_b32 exec_lo, exec_lo, s40
	s_and_saveexec_b32 s40, s38
	s_cbranch_execz .LBB530_553
.LBB530_623:                            ;   in Loop: Header=BB530_418 Depth=2
	ds_read_b32 v3, v69 offset:15872
	s_waitcnt lgkmcnt(0)
	v_lshrrev_b32_e32 v3, s61, v3
	v_and_b32_e32 v138, s62, v3
	s_or_b32 exec_lo, exec_lo, s40
	s_and_saveexec_b32 s40, s39
	s_cbranch_execnz .LBB530_554
	s_branch .LBB530_555
.LBB530_624:                            ;   in Loop: Header=BB530_418 Depth=2
	v_lshlrev_b32_e32 v3, 2, v154
	v_add_nc_u32_e32 v39, v69, v43
	ds_read_b32 v3, v3
	ds_read_b64 v[39:40], v39 offset:512
	s_waitcnt lgkmcnt(1)
	v_add_nc_u32_e32 v3, v3, v0
	v_lshlrev_b64 v[41:42], 3, v[3:4]
	v_add_co_u32 v41, vcc_lo, s54, v41
	v_add_co_ci_u32_e64 v42, null, s55, v42, vcc_lo
	s_waitcnt lgkmcnt(0)
	global_store_dwordx2 v[41:42], v[39:40], off
	s_or_b32 exec_lo, exec_lo, s40
	s_and_saveexec_b32 s40, s23
	s_cbranch_execz .LBB530_557
.LBB530_625:                            ;   in Loop: Header=BB530_418 Depth=2
	v_lshlrev_b32_e32 v3, 2, v153
	v_add_nc_u32_e32 v39, v69, v43
	ds_read_b32 v3, v3
	ds_read_b64 v[39:40], v39 offset:2560
	s_waitcnt lgkmcnt(1)
	v_add_nc_u32_e32 v3, v3, v44
	v_lshlrev_b64 v[41:42], 3, v[3:4]
	v_add_co_u32 v41, vcc_lo, s54, v41
	v_add_co_ci_u32_e64 v42, null, s55, v42, vcc_lo
	s_waitcnt lgkmcnt(0)
	global_store_dwordx2 v[41:42], v[39:40], off
	s_or_b32 exec_lo, exec_lo, s40
	s_and_saveexec_b32 s23, s24
	s_cbranch_execz .LBB530_558
.LBB530_626:                            ;   in Loop: Header=BB530_418 Depth=2
	v_lshlrev_b32_e32 v3, 2, v151
	v_add_nc_u32_e32 v39, v69, v43
	ds_read_b32 v3, v3
	ds_read_b64 v[39:40], v39 offset:4608
	s_waitcnt lgkmcnt(1)
	v_add_nc_u32_e32 v3, v3, v47
	v_lshlrev_b64 v[41:42], 3, v[3:4]
	v_add_co_u32 v41, vcc_lo, s54, v41
	v_add_co_ci_u32_e64 v42, null, s55, v42, vcc_lo
	s_waitcnt lgkmcnt(0)
	global_store_dwordx2 v[41:42], v[39:40], off
	s_or_b32 exec_lo, exec_lo, s23
	s_and_saveexec_b32 s23, s25
	s_cbranch_execz .LBB530_559
.LBB530_627:                            ;   in Loop: Header=BB530_418 Depth=2
	v_lshlrev_b32_e32 v3, 2, v150
	v_add_nc_u32_e32 v39, v69, v43
	ds_read_b32 v3, v3
	ds_read_b64 v[39:40], v39 offset:6656
	s_waitcnt lgkmcnt(1)
	v_add_nc_u32_e32 v3, v3, v48
	v_lshlrev_b64 v[41:42], 3, v[3:4]
	v_add_co_u32 v41, vcc_lo, s54, v41
	v_add_co_ci_u32_e64 v42, null, s55, v42, vcc_lo
	s_waitcnt lgkmcnt(0)
	global_store_dwordx2 v[41:42], v[39:40], off
	s_or_b32 exec_lo, exec_lo, s23
	s_and_saveexec_b32 s23, s26
	s_cbranch_execz .LBB530_560
.LBB530_628:                            ;   in Loop: Header=BB530_418 Depth=2
	v_lshlrev_b32_e32 v3, 2, v149
	v_add_nc_u32_e32 v39, v69, v43
	ds_read_b32 v3, v3
	ds_read_b64 v[39:40], v39 offset:8704
	s_waitcnt lgkmcnt(1)
	v_add_nc_u32_e32 v3, v3, v49
	v_lshlrev_b64 v[41:42], 3, v[3:4]
	v_add_co_u32 v41, vcc_lo, s54, v41
	v_add_co_ci_u32_e64 v42, null, s55, v42, vcc_lo
	s_waitcnt lgkmcnt(0)
	global_store_dwordx2 v[41:42], v[39:40], off
	s_or_b32 exec_lo, exec_lo, s23
	s_and_saveexec_b32 s23, s27
	s_cbranch_execz .LBB530_561
.LBB530_629:                            ;   in Loop: Header=BB530_418 Depth=2
	v_lshlrev_b32_e32 v3, 2, v148
	v_add_nc_u32_e32 v39, v69, v43
	ds_read_b32 v3, v3
	ds_read_b64 v[39:40], v39 offset:10752
	s_waitcnt lgkmcnt(1)
	v_add_nc_u32_e32 v3, v3, v50
	v_lshlrev_b64 v[41:42], 3, v[3:4]
	v_add_co_u32 v41, vcc_lo, s54, v41
	v_add_co_ci_u32_e64 v42, null, s55, v42, vcc_lo
	s_waitcnt lgkmcnt(0)
	global_store_dwordx2 v[41:42], v[39:40], off
	s_or_b32 exec_lo, exec_lo, s23
	s_and_saveexec_b32 s23, s28
	s_cbranch_execz .LBB530_562
.LBB530_630:                            ;   in Loop: Header=BB530_418 Depth=2
	v_lshlrev_b32_e32 v3, 2, v147
	v_add_nc_u32_e32 v39, v69, v43
	ds_read_b32 v3, v3
	ds_read_b64 v[39:40], v39 offset:12800
	s_waitcnt lgkmcnt(1)
	v_add_nc_u32_e32 v3, v3, v51
	v_lshlrev_b64 v[41:42], 3, v[3:4]
	v_add_co_u32 v41, vcc_lo, s54, v41
	v_add_co_ci_u32_e64 v42, null, s55, v42, vcc_lo
	s_waitcnt lgkmcnt(0)
	global_store_dwordx2 v[41:42], v[39:40], off
	s_or_b32 exec_lo, exec_lo, s23
	s_and_saveexec_b32 s23, s29
	s_cbranch_execz .LBB530_563
.LBB530_631:                            ;   in Loop: Header=BB530_418 Depth=2
	v_lshlrev_b32_e32 v3, 2, v146
	v_add_nc_u32_e32 v39, v69, v43
	ds_read_b32 v3, v3
	ds_read_b64 v[39:40], v39 offset:14848
	s_waitcnt lgkmcnt(1)
	v_add_nc_u32_e32 v3, v3, v52
	v_lshlrev_b64 v[41:42], 3, v[3:4]
	v_add_co_u32 v41, vcc_lo, s54, v41
	v_add_co_ci_u32_e64 v42, null, s55, v42, vcc_lo
	s_waitcnt lgkmcnt(0)
	global_store_dwordx2 v[41:42], v[39:40], off
	s_or_b32 exec_lo, exec_lo, s23
	s_and_saveexec_b32 s23, s30
	s_cbranch_execz .LBB530_564
.LBB530_632:                            ;   in Loop: Header=BB530_418 Depth=2
	v_lshlrev_b32_e32 v3, 2, v145
	v_add_nc_u32_e32 v39, v69, v43
	ds_read_b32 v3, v3
	ds_read_b64 v[39:40], v39 offset:16896
	s_waitcnt lgkmcnt(1)
	v_add_nc_u32_e32 v3, v3, v53
	v_lshlrev_b64 v[41:42], 3, v[3:4]
	v_add_co_u32 v41, vcc_lo, s54, v41
	v_add_co_ci_u32_e64 v42, null, s55, v42, vcc_lo
	s_waitcnt lgkmcnt(0)
	global_store_dwordx2 v[41:42], v[39:40], off
	s_or_b32 exec_lo, exec_lo, s23
	s_and_saveexec_b32 s23, s31
	s_cbranch_execz .LBB530_565
.LBB530_633:                            ;   in Loop: Header=BB530_418 Depth=2
	v_lshlrev_b32_e32 v3, 2, v144
	v_add_nc_u32_e32 v39, v69, v43
	ds_read_b32 v3, v3
	ds_read_b64 v[39:40], v39 offset:18944
	s_waitcnt lgkmcnt(1)
	v_add_nc_u32_e32 v3, v3, v54
	v_lshlrev_b64 v[41:42], 3, v[3:4]
	v_add_co_u32 v41, vcc_lo, s54, v41
	v_add_co_ci_u32_e64 v42, null, s55, v42, vcc_lo
	s_waitcnt lgkmcnt(0)
	global_store_dwordx2 v[41:42], v[39:40], off
	s_or_b32 exec_lo, exec_lo, s23
	s_and_saveexec_b32 s23, s33
	s_cbranch_execz .LBB530_566
.LBB530_634:                            ;   in Loop: Header=BB530_418 Depth=2
	v_lshlrev_b32_e32 v3, 2, v143
	v_add_nc_u32_e32 v39, v69, v43
	ds_read_b32 v3, v3
	ds_read_b64 v[39:40], v39 offset:20992
	s_waitcnt lgkmcnt(1)
	v_add_nc_u32_e32 v3, v3, v55
	v_lshlrev_b64 v[41:42], 3, v[3:4]
	v_add_co_u32 v41, vcc_lo, s54, v41
	v_add_co_ci_u32_e64 v42, null, s55, v42, vcc_lo
	s_waitcnt lgkmcnt(0)
	global_store_dwordx2 v[41:42], v[39:40], off
	s_or_b32 exec_lo, exec_lo, s23
	s_and_saveexec_b32 s23, s34
	s_cbranch_execz .LBB530_567
.LBB530_635:                            ;   in Loop: Header=BB530_418 Depth=2
	v_lshlrev_b32_e32 v3, 2, v142
	v_add_nc_u32_e32 v39, v69, v43
	ds_read_b32 v3, v3
	ds_read_b64 v[39:40], v39 offset:23040
	s_waitcnt lgkmcnt(1)
	v_add_nc_u32_e32 v3, v3, v56
	v_lshlrev_b64 v[41:42], 3, v[3:4]
	v_add_co_u32 v41, vcc_lo, s54, v41
	v_add_co_ci_u32_e64 v42, null, s55, v42, vcc_lo
	s_waitcnt lgkmcnt(0)
	global_store_dwordx2 v[41:42], v[39:40], off
	s_or_b32 exec_lo, exec_lo, s23
	s_and_saveexec_b32 s23, s35
	s_cbranch_execz .LBB530_568
.LBB530_636:                            ;   in Loop: Header=BB530_418 Depth=2
	v_lshlrev_b32_e32 v3, 2, v141
	v_add_nc_u32_e32 v39, v69, v43
	ds_read_b32 v3, v3
	ds_read_b64 v[39:40], v39 offset:25088
	s_waitcnt lgkmcnt(1)
	v_add_nc_u32_e32 v3, v3, v57
	v_lshlrev_b64 v[41:42], 3, v[3:4]
	v_add_co_u32 v41, vcc_lo, s54, v41
	v_add_co_ci_u32_e64 v42, null, s55, v42, vcc_lo
	s_waitcnt lgkmcnt(0)
	global_store_dwordx2 v[41:42], v[39:40], off
	s_or_b32 exec_lo, exec_lo, s23
	s_and_saveexec_b32 s23, s36
	s_cbranch_execz .LBB530_569
.LBB530_637:                            ;   in Loop: Header=BB530_418 Depth=2
	v_lshlrev_b32_e32 v3, 2, v140
	v_add_nc_u32_e32 v39, v69, v43
	ds_read_b32 v3, v3
	ds_read_b64 v[39:40], v39 offset:27136
	s_waitcnt lgkmcnt(1)
	v_add_nc_u32_e32 v3, v3, v58
	v_lshlrev_b64 v[41:42], 3, v[3:4]
	v_add_co_u32 v41, vcc_lo, s54, v41
	v_add_co_ci_u32_e64 v42, null, s55, v42, vcc_lo
	s_waitcnt lgkmcnt(0)
	global_store_dwordx2 v[41:42], v[39:40], off
	s_or_b32 exec_lo, exec_lo, s23
	s_and_saveexec_b32 s23, s37
	s_cbranch_execz .LBB530_570
.LBB530_638:                            ;   in Loop: Header=BB530_418 Depth=2
	v_lshlrev_b32_e32 v3, 2, v139
	v_add_nc_u32_e32 v39, v69, v43
	ds_read_b32 v3, v3
	ds_read_b64 v[39:40], v39 offset:29184
	s_waitcnt lgkmcnt(1)
	v_add_nc_u32_e32 v3, v3, v59
	v_lshlrev_b64 v[41:42], 3, v[3:4]
	v_add_co_u32 v41, vcc_lo, s54, v41
	v_add_co_ci_u32_e64 v42, null, s55, v42, vcc_lo
	s_waitcnt lgkmcnt(0)
	global_store_dwordx2 v[41:42], v[39:40], off
	s_or_b32 exec_lo, exec_lo, s23
	s_and_saveexec_b32 s23, s38
	s_cbranch_execz .LBB530_571
.LBB530_639:                            ;   in Loop: Header=BB530_418 Depth=2
	v_lshlrev_b32_e32 v3, 2, v138
	v_add_nc_u32_e32 v39, v69, v43
	ds_read_b32 v3, v3
	ds_read_b64 v[39:40], v39 offset:31232
	s_waitcnt lgkmcnt(1)
	v_add_nc_u32_e32 v3, v3, v60
	v_lshlrev_b64 v[41:42], 3, v[3:4]
	v_add_co_u32 v41, vcc_lo, s54, v41
	v_add_co_ci_u32_e64 v42, null, s55, v42, vcc_lo
	s_waitcnt lgkmcnt(0)
	global_store_dwordx2 v[41:42], v[39:40], off
	s_or_b32 exec_lo, exec_lo, s23
	s_and_saveexec_b32 s23, s39
	s_cbranch_execnz .LBB530_572
	s_branch .LBB530_573
.LBB530_640:                            ;   in Loop: Header=BB530_20 Depth=1
	s_waitcnt lgkmcnt(0)
	s_barrier
.LBB530_641:                            ;   in Loop: Header=BB530_20 Depth=1
	s_mov_b32 s5, 0
.LBB530_642:                            ;   in Loop: Header=BB530_20 Depth=1
	s_andn2_b32 vcc_lo, exec_lo, s5
	s_cbranch_vccnz .LBB530_19
; %bb.643:                              ;   in Loop: Header=BB530_20 Depth=1
	s_and_b32 vcc_lo, exec_lo, s43
	s_mov_b32 s5, -1
	s_cbranch_vccz .LBB530_953
; %bb.644:                              ;   in Loop: Header=BB530_20 Depth=1
	s_mov_b32 s5, s60
	s_mov_b32 s50, s58
	s_barrier
	buffer_gl0_inv
                                        ; implicit-def: $vgpr3
                                        ; implicit-def: $vgpr5
                                        ; implicit-def: $vgpr6
                                        ; implicit-def: $vgpr7
                                        ; implicit-def: $vgpr8
                                        ; implicit-def: $vgpr9
                                        ; implicit-def: $vgpr10
                                        ; implicit-def: $vgpr11
                                        ; implicit-def: $vgpr12
                                        ; implicit-def: $vgpr13
                                        ; implicit-def: $vgpr14
                                        ; implicit-def: $vgpr15
                                        ; implicit-def: $vgpr16
                                        ; implicit-def: $vgpr17
                                        ; implicit-def: $vgpr18
                                        ; implicit-def: $vgpr19
                                        ; implicit-def: $vgpr20
	s_branch .LBB530_646
.LBB530_645:                            ;   in Loop: Header=BB530_646 Depth=2
	s_or_b32 exec_lo, exec_lo, s16
	s_addk_i32 s5, 0xef00
	s_cmp_ge_u32 s18, s59
	s_mov_b32 s50, s18
	s_cbranch_scc1 .LBB530_718
.LBB530_646:                            ;   Parent Loop BB530_20 Depth=1
                                        ; =>  This Inner Loop Header: Depth=2
	s_add_i32 s18, s50, 0x1100
	s_mov_b32 s16, -1
	s_cmp_gt_u32 s18, s59
                                        ; implicit-def: $vgpr21
                                        ; implicit-def: $vgpr22
                                        ; implicit-def: $vgpr25
                                        ; implicit-def: $vgpr23
                                        ; implicit-def: $vgpr27
                                        ; implicit-def: $vgpr24
                                        ; implicit-def: $vgpr29
                                        ; implicit-def: $vgpr26
                                        ; implicit-def: $vgpr31
                                        ; implicit-def: $vgpr28
                                        ; implicit-def: $vgpr33
                                        ; implicit-def: $vgpr30
                                        ; implicit-def: $vgpr34
                                        ; implicit-def: $vgpr32
                                        ; implicit-def: $vgpr35
                                        ; implicit-def: $vgpr36
                                        ; implicit-def: $vgpr37
	s_cbranch_scc1 .LBB530_648
; %bb.647:                              ;   in Loop: Header=BB530_646 Depth=2
	s_lshl_b64 s[16:17], s[50:51], 2
	v_add_co_u32 v33, vcc_lo, v78, s16
	v_add_co_ci_u32_e64 v34, null, s17, v79, vcc_lo
	s_mov_b32 s16, 0
	v_add_co_u32 v23, vcc_lo, 0x800, v33
	v_add_co_ci_u32_e64 v24, null, 0, v34, vcc_lo
	v_add_co_u32 v35, vcc_lo, v33, 0x1000
	v_add_co_ci_u32_e64 v36, null, 0, v34, vcc_lo
	;; [unrolled: 2-line block ×9, first 2 shown]
	s_clause 0x7
	global_load_dword v21, v[33:34], off
	global_load_dword v22, v[33:34], off offset:1024
	global_load_dword v23, v[23:24], off offset:1024
	;; [unrolled: 1-line block ×7, first 2 shown]
	v_add_co_u32 v41, vcc_lo, 0x3800, v33
	v_add_co_ci_u32_e64 v42, null, 0, v34, vcc_lo
	v_add_co_u32 v131, vcc_lo, v33, 0x4000
	v_add_co_ci_u32_e64 v132, null, 0, v34, vcc_lo
	s_clause 0x8
	global_load_dword v25, v[35:36], off offset:-2048
	global_load_dword v27, v[35:36], off
	global_load_dword v29, v[37:38], off offset:-2048
	global_load_dword v31, v[37:38], off
	;; [unrolled: 2-line block ×3, first 2 shown]
	global_load_dword v35, v[131:132], off offset:-2048
	global_load_dword v36, v[41:42], off offset:1024
	global_load_dword v37, v[131:132], off
.LBB530_648:                            ;   in Loop: Header=BB530_646 Depth=2
	s_andn2_b32 vcc_lo, exec_lo, s16
	s_movk_i32 s16, 0x1100
	s_cbranch_vccnz .LBB530_668
; %bb.649:                              ;   in Loop: Header=BB530_646 Depth=2
	s_lshl_b64 s[16:17], s[50:51], 2
	s_mov_b32 s19, exec_lo
	s_add_u32 s16, s44, s16
	s_addc_u32 s17, s45, s17
	v_cmpx_gt_u32_e64 s5, v0
	s_cbranch_execnz .LBB530_702
; %bb.650:                              ;   in Loop: Header=BB530_646 Depth=2
	s_or_b32 exec_lo, exec_lo, s19
	s_mov_b32 s19, exec_lo
	v_cmpx_gt_u32_e64 s5, v44
	s_cbranch_execnz .LBB530_703
.LBB530_651:                            ;   in Loop: Header=BB530_646 Depth=2
	s_or_b32 exec_lo, exec_lo, s19
	s_mov_b32 s19, exec_lo
	v_cmpx_gt_u32_e64 s5, v47
	s_cbranch_execnz .LBB530_704
.LBB530_652:                            ;   in Loop: Header=BB530_646 Depth=2
	s_or_b32 exec_lo, exec_lo, s19
	s_mov_b32 s19, exec_lo
	v_cmpx_gt_u32_e64 s5, v48
	s_cbranch_execnz .LBB530_705
.LBB530_653:                            ;   in Loop: Header=BB530_646 Depth=2
	s_or_b32 exec_lo, exec_lo, s19
	s_mov_b32 s19, exec_lo
	v_cmpx_gt_u32_e64 s5, v49
	s_cbranch_execnz .LBB530_706
.LBB530_654:                            ;   in Loop: Header=BB530_646 Depth=2
	s_or_b32 exec_lo, exec_lo, s19
	s_mov_b32 s19, exec_lo
	v_cmpx_gt_u32_e64 s5, v50
	s_cbranch_execnz .LBB530_707
.LBB530_655:                            ;   in Loop: Header=BB530_646 Depth=2
	s_or_b32 exec_lo, exec_lo, s19
	s_mov_b32 s19, exec_lo
	v_cmpx_gt_u32_e64 s5, v51
	s_cbranch_execnz .LBB530_708
.LBB530_656:                            ;   in Loop: Header=BB530_646 Depth=2
	s_or_b32 exec_lo, exec_lo, s19
	s_mov_b32 s19, exec_lo
	v_cmpx_gt_u32_e64 s5, v52
	s_cbranch_execnz .LBB530_709
.LBB530_657:                            ;   in Loop: Header=BB530_646 Depth=2
	s_or_b32 exec_lo, exec_lo, s19
	s_mov_b32 s19, exec_lo
	v_cmpx_gt_u32_e64 s5, v53
	s_cbranch_execnz .LBB530_710
.LBB530_658:                            ;   in Loop: Header=BB530_646 Depth=2
	s_or_b32 exec_lo, exec_lo, s19
	s_mov_b32 s19, exec_lo
	v_cmpx_gt_u32_e64 s5, v54
	s_cbranch_execnz .LBB530_711
.LBB530_659:                            ;   in Loop: Header=BB530_646 Depth=2
	s_or_b32 exec_lo, exec_lo, s19
	s_mov_b32 s19, exec_lo
	v_cmpx_gt_u32_e64 s5, v55
	s_cbranch_execnz .LBB530_712
.LBB530_660:                            ;   in Loop: Header=BB530_646 Depth=2
	s_or_b32 exec_lo, exec_lo, s19
	s_mov_b32 s19, exec_lo
	v_cmpx_gt_u32_e64 s5, v56
	s_cbranch_execnz .LBB530_713
.LBB530_661:                            ;   in Loop: Header=BB530_646 Depth=2
	s_or_b32 exec_lo, exec_lo, s19
	s_mov_b32 s19, exec_lo
	v_cmpx_gt_u32_e64 s5, v57
	s_cbranch_execnz .LBB530_714
.LBB530_662:                            ;   in Loop: Header=BB530_646 Depth=2
	s_or_b32 exec_lo, exec_lo, s19
	s_mov_b32 s19, exec_lo
	v_cmpx_gt_u32_e64 s5, v58
	s_cbranch_execnz .LBB530_715
.LBB530_663:                            ;   in Loop: Header=BB530_646 Depth=2
	s_or_b32 exec_lo, exec_lo, s19
	s_mov_b32 s19, exec_lo
	v_cmpx_gt_u32_e64 s5, v59
	s_cbranch_execnz .LBB530_716
.LBB530_664:                            ;   in Loop: Header=BB530_646 Depth=2
	s_or_b32 exec_lo, exec_lo, s19
	s_mov_b32 s19, exec_lo
	v_cmpx_gt_u32_e64 s5, v60
	s_cbranch_execnz .LBB530_717
.LBB530_665:                            ;   in Loop: Header=BB530_646 Depth=2
	s_or_b32 exec_lo, exec_lo, s19
	s_mov_b32 s19, exec_lo
	v_cmpx_gt_u32_e64 s5, v61
	s_cbranch_execz .LBB530_667
.LBB530_666:                            ;   in Loop: Header=BB530_646 Depth=2
	global_load_dword v3, v107, s[16:17]
.LBB530_667:                            ;   in Loop: Header=BB530_646 Depth=2
	s_or_b32 exec_lo, exec_lo, s19
	s_waitcnt vmcnt(0)
	v_mov_b32_e32 v21, v20
	v_mov_b32_e32 v22, v19
	;; [unrolled: 1-line block ×17, first 2 shown]
	s_mov_b32 s16, s5
.LBB530_668:                            ;   in Loop: Header=BB530_646 Depth=2
	s_waitcnt vmcnt(0)
	v_mov_b32_e32 v3, v37
	v_mov_b32_e32 v5, v36
	;; [unrolled: 1-line block ×17, first 2 shown]
	s_mov_b32 s17, exec_lo
	v_cmpx_gt_u32_e64 s16, v0
	s_cbranch_execnz .LBB530_685
; %bb.669:                              ;   in Loop: Header=BB530_646 Depth=2
	s_or_b32 exec_lo, exec_lo, s17
	s_mov_b32 s17, exec_lo
	v_cmpx_gt_u32_e64 s16, v44
	s_cbranch_execnz .LBB530_686
.LBB530_670:                            ;   in Loop: Header=BB530_646 Depth=2
	s_or_b32 exec_lo, exec_lo, s17
	s_mov_b32 s17, exec_lo
	v_cmpx_gt_u32_e64 s16, v47
	s_cbranch_execnz .LBB530_687
.LBB530_671:                            ;   in Loop: Header=BB530_646 Depth=2
	s_or_b32 exec_lo, exec_lo, s17
	s_mov_b32 s17, exec_lo
	v_cmpx_gt_u32_e64 s16, v48
	s_cbranch_execnz .LBB530_688
.LBB530_672:                            ;   in Loop: Header=BB530_646 Depth=2
	s_or_b32 exec_lo, exec_lo, s17
	s_mov_b32 s17, exec_lo
	v_cmpx_gt_u32_e64 s16, v49
	s_cbranch_execnz .LBB530_689
.LBB530_673:                            ;   in Loop: Header=BB530_646 Depth=2
	s_or_b32 exec_lo, exec_lo, s17
	s_mov_b32 s17, exec_lo
	v_cmpx_gt_u32_e64 s16, v50
	s_cbranch_execnz .LBB530_690
.LBB530_674:                            ;   in Loop: Header=BB530_646 Depth=2
	s_or_b32 exec_lo, exec_lo, s17
	s_mov_b32 s17, exec_lo
	v_cmpx_gt_u32_e64 s16, v51
	s_cbranch_execnz .LBB530_691
.LBB530_675:                            ;   in Loop: Header=BB530_646 Depth=2
	s_or_b32 exec_lo, exec_lo, s17
	s_mov_b32 s17, exec_lo
	v_cmpx_gt_u32_e64 s16, v52
	s_cbranch_execnz .LBB530_692
.LBB530_676:                            ;   in Loop: Header=BB530_646 Depth=2
	s_or_b32 exec_lo, exec_lo, s17
	s_mov_b32 s17, exec_lo
	v_cmpx_gt_u32_e64 s16, v53
	s_cbranch_execnz .LBB530_693
.LBB530_677:                            ;   in Loop: Header=BB530_646 Depth=2
	s_or_b32 exec_lo, exec_lo, s17
	s_mov_b32 s17, exec_lo
	v_cmpx_gt_u32_e64 s16, v54
	s_cbranch_execnz .LBB530_694
.LBB530_678:                            ;   in Loop: Header=BB530_646 Depth=2
	s_or_b32 exec_lo, exec_lo, s17
	s_mov_b32 s17, exec_lo
	v_cmpx_gt_u32_e64 s16, v55
	s_cbranch_execnz .LBB530_695
.LBB530_679:                            ;   in Loop: Header=BB530_646 Depth=2
	s_or_b32 exec_lo, exec_lo, s17
	s_mov_b32 s17, exec_lo
	v_cmpx_gt_u32_e64 s16, v56
	s_cbranch_execnz .LBB530_696
.LBB530_680:                            ;   in Loop: Header=BB530_646 Depth=2
	s_or_b32 exec_lo, exec_lo, s17
	s_mov_b32 s17, exec_lo
	v_cmpx_gt_u32_e64 s16, v57
	s_cbranch_execnz .LBB530_697
.LBB530_681:                            ;   in Loop: Header=BB530_646 Depth=2
	s_or_b32 exec_lo, exec_lo, s17
	s_mov_b32 s17, exec_lo
	v_cmpx_gt_u32_e64 s16, v58
	s_cbranch_execnz .LBB530_698
.LBB530_682:                            ;   in Loop: Header=BB530_646 Depth=2
	s_or_b32 exec_lo, exec_lo, s17
	s_mov_b32 s17, exec_lo
	v_cmpx_gt_u32_e64 s16, v59
	s_cbranch_execnz .LBB530_699
.LBB530_683:                            ;   in Loop: Header=BB530_646 Depth=2
	s_or_b32 exec_lo, exec_lo, s17
	s_mov_b32 s17, exec_lo
	v_cmpx_gt_u32_e64 s16, v60
	s_cbranch_execnz .LBB530_700
.LBB530_684:                            ;   in Loop: Header=BB530_646 Depth=2
	s_or_b32 exec_lo, exec_lo, s17
	v_cmp_gt_u32_e32 vcc_lo, s16, v61
	s_and_saveexec_b32 s16, vcc_lo
	s_cbranch_execz .LBB530_645
	s_branch .LBB530_701
.LBB530_685:                            ;   in Loop: Header=BB530_646 Depth=2
	v_xor_b32_e32 v21, 0x7fffffff, v20
	v_lshrrev_b32_e32 v21, s41, v21
	v_and_b32_e32 v21, s62, v21
	v_lshl_or_b32 v21, v21, 4, v63
	ds_add_u32 v21, v85
	s_or_b32 exec_lo, exec_lo, s17
	s_mov_b32 s17, exec_lo
	v_cmpx_gt_u32_e64 s16, v44
	s_cbranch_execz .LBB530_670
.LBB530_686:                            ;   in Loop: Header=BB530_646 Depth=2
	v_xor_b32_e32 v21, 0x7fffffff, v19
	v_lshrrev_b32_e32 v21, s41, v21
	v_and_b32_e32 v21, s62, v21
	v_lshl_or_b32 v21, v21, 4, v63
	ds_add_u32 v21, v85
	s_or_b32 exec_lo, exec_lo, s17
	s_mov_b32 s17, exec_lo
	v_cmpx_gt_u32_e64 s16, v47
	s_cbranch_execz .LBB530_671
.LBB530_687:                            ;   in Loop: Header=BB530_646 Depth=2
	v_xor_b32_e32 v21, 0x7fffffff, v18
	v_lshrrev_b32_e32 v21, s41, v21
	v_and_b32_e32 v21, s62, v21
	v_lshl_or_b32 v21, v21, 4, v63
	ds_add_u32 v21, v85
	s_or_b32 exec_lo, exec_lo, s17
	s_mov_b32 s17, exec_lo
	v_cmpx_gt_u32_e64 s16, v48
	s_cbranch_execz .LBB530_672
.LBB530_688:                            ;   in Loop: Header=BB530_646 Depth=2
	v_xor_b32_e32 v21, 0x7fffffff, v17
	v_lshrrev_b32_e32 v21, s41, v21
	v_and_b32_e32 v21, s62, v21
	v_lshl_or_b32 v21, v21, 4, v63
	ds_add_u32 v21, v85
	s_or_b32 exec_lo, exec_lo, s17
	s_mov_b32 s17, exec_lo
	v_cmpx_gt_u32_e64 s16, v49
	s_cbranch_execz .LBB530_673
.LBB530_689:                            ;   in Loop: Header=BB530_646 Depth=2
	v_xor_b32_e32 v21, 0x7fffffff, v16
	v_lshrrev_b32_e32 v21, s41, v21
	v_and_b32_e32 v21, s62, v21
	v_lshl_or_b32 v21, v21, 4, v63
	ds_add_u32 v21, v85
	s_or_b32 exec_lo, exec_lo, s17
	s_mov_b32 s17, exec_lo
	v_cmpx_gt_u32_e64 s16, v50
	s_cbranch_execz .LBB530_674
.LBB530_690:                            ;   in Loop: Header=BB530_646 Depth=2
	v_xor_b32_e32 v21, 0x7fffffff, v15
	v_lshrrev_b32_e32 v21, s41, v21
	v_and_b32_e32 v21, s62, v21
	v_lshl_or_b32 v21, v21, 4, v63
	ds_add_u32 v21, v85
	s_or_b32 exec_lo, exec_lo, s17
	s_mov_b32 s17, exec_lo
	v_cmpx_gt_u32_e64 s16, v51
	s_cbranch_execz .LBB530_675
.LBB530_691:                            ;   in Loop: Header=BB530_646 Depth=2
	v_xor_b32_e32 v21, 0x7fffffff, v14
	v_lshrrev_b32_e32 v21, s41, v21
	v_and_b32_e32 v21, s62, v21
	v_lshl_or_b32 v21, v21, 4, v63
	ds_add_u32 v21, v85
	s_or_b32 exec_lo, exec_lo, s17
	s_mov_b32 s17, exec_lo
	v_cmpx_gt_u32_e64 s16, v52
	s_cbranch_execz .LBB530_676
.LBB530_692:                            ;   in Loop: Header=BB530_646 Depth=2
	v_xor_b32_e32 v21, 0x7fffffff, v13
	v_lshrrev_b32_e32 v21, s41, v21
	v_and_b32_e32 v21, s62, v21
	v_lshl_or_b32 v21, v21, 4, v63
	ds_add_u32 v21, v85
	s_or_b32 exec_lo, exec_lo, s17
	s_mov_b32 s17, exec_lo
	v_cmpx_gt_u32_e64 s16, v53
	s_cbranch_execz .LBB530_677
.LBB530_693:                            ;   in Loop: Header=BB530_646 Depth=2
	v_xor_b32_e32 v21, 0x7fffffff, v12
	v_lshrrev_b32_e32 v21, s41, v21
	v_and_b32_e32 v21, s62, v21
	v_lshl_or_b32 v21, v21, 4, v63
	ds_add_u32 v21, v85
	s_or_b32 exec_lo, exec_lo, s17
	s_mov_b32 s17, exec_lo
	v_cmpx_gt_u32_e64 s16, v54
	s_cbranch_execz .LBB530_678
.LBB530_694:                            ;   in Loop: Header=BB530_646 Depth=2
	v_xor_b32_e32 v21, 0x7fffffff, v11
	v_lshrrev_b32_e32 v21, s41, v21
	v_and_b32_e32 v21, s62, v21
	v_lshl_or_b32 v21, v21, 4, v63
	ds_add_u32 v21, v85
	s_or_b32 exec_lo, exec_lo, s17
	s_mov_b32 s17, exec_lo
	v_cmpx_gt_u32_e64 s16, v55
	s_cbranch_execz .LBB530_679
.LBB530_695:                            ;   in Loop: Header=BB530_646 Depth=2
	v_xor_b32_e32 v21, 0x7fffffff, v10
	v_lshrrev_b32_e32 v21, s41, v21
	v_and_b32_e32 v21, s62, v21
	v_lshl_or_b32 v21, v21, 4, v63
	ds_add_u32 v21, v85
	s_or_b32 exec_lo, exec_lo, s17
	s_mov_b32 s17, exec_lo
	v_cmpx_gt_u32_e64 s16, v56
	s_cbranch_execz .LBB530_680
.LBB530_696:                            ;   in Loop: Header=BB530_646 Depth=2
	v_xor_b32_e32 v21, 0x7fffffff, v9
	v_lshrrev_b32_e32 v21, s41, v21
	v_and_b32_e32 v21, s62, v21
	v_lshl_or_b32 v21, v21, 4, v63
	ds_add_u32 v21, v85
	s_or_b32 exec_lo, exec_lo, s17
	s_mov_b32 s17, exec_lo
	v_cmpx_gt_u32_e64 s16, v57
	s_cbranch_execz .LBB530_681
.LBB530_697:                            ;   in Loop: Header=BB530_646 Depth=2
	v_xor_b32_e32 v21, 0x7fffffff, v8
	v_lshrrev_b32_e32 v21, s41, v21
	v_and_b32_e32 v21, s62, v21
	v_lshl_or_b32 v21, v21, 4, v63
	ds_add_u32 v21, v85
	s_or_b32 exec_lo, exec_lo, s17
	s_mov_b32 s17, exec_lo
	v_cmpx_gt_u32_e64 s16, v58
	s_cbranch_execz .LBB530_682
.LBB530_698:                            ;   in Loop: Header=BB530_646 Depth=2
	v_xor_b32_e32 v21, 0x7fffffff, v7
	v_lshrrev_b32_e32 v21, s41, v21
	v_and_b32_e32 v21, s62, v21
	v_lshl_or_b32 v21, v21, 4, v63
	ds_add_u32 v21, v85
	s_or_b32 exec_lo, exec_lo, s17
	s_mov_b32 s17, exec_lo
	v_cmpx_gt_u32_e64 s16, v59
	s_cbranch_execz .LBB530_683
.LBB530_699:                            ;   in Loop: Header=BB530_646 Depth=2
	v_xor_b32_e32 v21, 0x7fffffff, v6
	v_lshrrev_b32_e32 v21, s41, v21
	v_and_b32_e32 v21, s62, v21
	v_lshl_or_b32 v21, v21, 4, v63
	ds_add_u32 v21, v85
	s_or_b32 exec_lo, exec_lo, s17
	s_mov_b32 s17, exec_lo
	v_cmpx_gt_u32_e64 s16, v60
	s_cbranch_execz .LBB530_684
.LBB530_700:                            ;   in Loop: Header=BB530_646 Depth=2
	v_xor_b32_e32 v21, 0x7fffffff, v5
	v_lshrrev_b32_e32 v21, s41, v21
	v_and_b32_e32 v21, s62, v21
	v_lshl_or_b32 v21, v21, 4, v63
	ds_add_u32 v21, v85
	s_or_b32 exec_lo, exec_lo, s17
	v_cmp_gt_u32_e32 vcc_lo, s16, v61
	s_and_saveexec_b32 s16, vcc_lo
	s_cbranch_execz .LBB530_645
.LBB530_701:                            ;   in Loop: Header=BB530_646 Depth=2
	v_xor_b32_e32 v21, 0x7fffffff, v3
	v_lshrrev_b32_e32 v21, s41, v21
	v_and_b32_e32 v21, s62, v21
	v_lshl_or_b32 v21, v21, 4, v63
	ds_add_u32 v21, v85
	s_branch .LBB530_645
.LBB530_702:                            ;   in Loop: Header=BB530_646 Depth=2
	global_load_dword v20, v91, s[16:17]
	s_or_b32 exec_lo, exec_lo, s19
	s_mov_b32 s19, exec_lo
	v_cmpx_gt_u32_e64 s5, v44
	s_cbranch_execz .LBB530_651
.LBB530_703:                            ;   in Loop: Header=BB530_646 Depth=2
	global_load_dword v19, v91, s[16:17] offset:1024
	s_or_b32 exec_lo, exec_lo, s19
	s_mov_b32 s19, exec_lo
	v_cmpx_gt_u32_e64 s5, v47
	s_cbranch_execz .LBB530_652
.LBB530_704:                            ;   in Loop: Header=BB530_646 Depth=2
	global_load_dword v18, v92, s[16:17]
	s_or_b32 exec_lo, exec_lo, s19
	s_mov_b32 s19, exec_lo
	v_cmpx_gt_u32_e64 s5, v48
	s_cbranch_execz .LBB530_653
.LBB530_705:                            ;   in Loop: Header=BB530_646 Depth=2
	global_load_dword v17, v93, s[16:17]
	s_or_b32 exec_lo, exec_lo, s19
	s_mov_b32 s19, exec_lo
	v_cmpx_gt_u32_e64 s5, v49
	s_cbranch_execz .LBB530_654
.LBB530_706:                            ;   in Loop: Header=BB530_646 Depth=2
	global_load_dword v16, v94, s[16:17]
	s_or_b32 exec_lo, exec_lo, s19
	s_mov_b32 s19, exec_lo
	v_cmpx_gt_u32_e64 s5, v50
	s_cbranch_execz .LBB530_655
.LBB530_707:                            ;   in Loop: Header=BB530_646 Depth=2
	global_load_dword v15, v95, s[16:17]
	s_or_b32 exec_lo, exec_lo, s19
	s_mov_b32 s19, exec_lo
	v_cmpx_gt_u32_e64 s5, v51
	s_cbranch_execz .LBB530_656
.LBB530_708:                            ;   in Loop: Header=BB530_646 Depth=2
	global_load_dword v14, v96, s[16:17]
	s_or_b32 exec_lo, exec_lo, s19
	s_mov_b32 s19, exec_lo
	v_cmpx_gt_u32_e64 s5, v52
	s_cbranch_execz .LBB530_657
.LBB530_709:                            ;   in Loop: Header=BB530_646 Depth=2
	global_load_dword v13, v97, s[16:17]
	s_or_b32 exec_lo, exec_lo, s19
	s_mov_b32 s19, exec_lo
	v_cmpx_gt_u32_e64 s5, v53
	s_cbranch_execz .LBB530_658
.LBB530_710:                            ;   in Loop: Header=BB530_646 Depth=2
	global_load_dword v12, v98, s[16:17]
	s_or_b32 exec_lo, exec_lo, s19
	s_mov_b32 s19, exec_lo
	v_cmpx_gt_u32_e64 s5, v54
	s_cbranch_execz .LBB530_659
.LBB530_711:                            ;   in Loop: Header=BB530_646 Depth=2
	global_load_dword v11, v99, s[16:17]
	s_or_b32 exec_lo, exec_lo, s19
	s_mov_b32 s19, exec_lo
	v_cmpx_gt_u32_e64 s5, v55
	s_cbranch_execz .LBB530_660
.LBB530_712:                            ;   in Loop: Header=BB530_646 Depth=2
	global_load_dword v10, v100, s[16:17]
	s_or_b32 exec_lo, exec_lo, s19
	s_mov_b32 s19, exec_lo
	v_cmpx_gt_u32_e64 s5, v56
	s_cbranch_execz .LBB530_661
.LBB530_713:                            ;   in Loop: Header=BB530_646 Depth=2
	global_load_dword v9, v101, s[16:17]
	s_or_b32 exec_lo, exec_lo, s19
	s_mov_b32 s19, exec_lo
	v_cmpx_gt_u32_e64 s5, v57
	s_cbranch_execz .LBB530_662
.LBB530_714:                            ;   in Loop: Header=BB530_646 Depth=2
	global_load_dword v8, v102, s[16:17]
	s_or_b32 exec_lo, exec_lo, s19
	s_mov_b32 s19, exec_lo
	v_cmpx_gt_u32_e64 s5, v58
	s_cbranch_execz .LBB530_663
.LBB530_715:                            ;   in Loop: Header=BB530_646 Depth=2
	global_load_dword v7, v103, s[16:17]
	s_or_b32 exec_lo, exec_lo, s19
	s_mov_b32 s19, exec_lo
	v_cmpx_gt_u32_e64 s5, v59
	s_cbranch_execz .LBB530_664
.LBB530_716:                            ;   in Loop: Header=BB530_646 Depth=2
	global_load_dword v6, v104, s[16:17]
	s_or_b32 exec_lo, exec_lo, s19
	s_mov_b32 s19, exec_lo
	v_cmpx_gt_u32_e64 s5, v60
	s_cbranch_execz .LBB530_665
.LBB530_717:                            ;   in Loop: Header=BB530_646 Depth=2
	global_load_dword v5, v105, s[16:17]
	s_or_b32 exec_lo, exec_lo, s19
	s_mov_b32 s19, exec_lo
	v_cmpx_gt_u32_e64 s5, v61
	s_cbranch_execnz .LBB530_666
	s_branch .LBB530_667
.LBB530_718:                            ;   in Loop: Header=BB530_20 Depth=1
	v_mov_b32_e32 v3, 0
	s_waitcnt lgkmcnt(0)
	s_barrier
	buffer_gl0_inv
	s_and_saveexec_b32 s5, s8
	s_cbranch_execz .LBB530_720
; %bb.719:                              ;   in Loop: Header=BB530_20 Depth=1
	ds_read2_b64 v[5:8], v64 offset1:1
	s_waitcnt lgkmcnt(0)
	v_add_nc_u32_e32 v3, v6, v5
	v_add3_u32 v3, v3, v7, v8
.LBB530_720:                            ;   in Loop: Header=BB530_20 Depth=1
	s_or_b32 exec_lo, exec_lo, s5
	v_mov_b32_dpp v5, v3 row_shr:1 row_mask:0xf bank_mask:0xf
	v_cmp_eq_u32_e64 s5, 0, v86
	v_cmp_lt_u32_e64 s16, 1, v86
	v_cmp_lt_u32_e64 s17, 3, v86
	;; [unrolled: 1-line block ×3, first 2 shown]
	v_cmp_eq_u32_e64 s19, 0, v88
	v_cndmask_b32_e64 v5, v5, 0, s5
	v_add_nc_u32_e32 v3, v5, v3
	v_mov_b32_dpp v5, v3 row_shr:2 row_mask:0xf bank_mask:0xf
	v_cndmask_b32_e64 v5, 0, v5, s16
	v_add_nc_u32_e32 v3, v3, v5
	v_mov_b32_dpp v5, v3 row_shr:4 row_mask:0xf bank_mask:0xf
	;; [unrolled: 3-line block ×3, first 2 shown]
	v_cndmask_b32_e64 v5, 0, v5, s18
	v_add_nc_u32_e32 v3, v3, v5
	ds_swizzle_b32 v5, v3 offset:swizzle(BROADCAST,32,15)
	s_waitcnt lgkmcnt(0)
	v_and_b32_e32 v5, v87, v5
	v_add_nc_u32_e32 v3, v3, v5
	s_and_saveexec_b32 s20, s9
; %bb.721:                              ;   in Loop: Header=BB530_20 Depth=1
	ds_write_b32 v65, v3
; %bb.722:                              ;   in Loop: Header=BB530_20 Depth=1
	s_or_b32 exec_lo, exec_lo, s20
	s_waitcnt lgkmcnt(0)
	s_barrier
	buffer_gl0_inv
	s_and_saveexec_b32 s20, s10
	s_cbranch_execz .LBB530_724
; %bb.723:                              ;   in Loop: Header=BB530_20 Depth=1
	ds_read_b32 v5, v66
	v_cmp_ne_u32_e32 vcc_lo, 0, v89
	s_waitcnt lgkmcnt(0)
	v_mov_b32_dpp v6, v5 row_shr:1 row_mask:0xf bank_mask:0xf
	v_cndmask_b32_e32 v6, 0, v6, vcc_lo
	v_cmp_lt_u32_e32 vcc_lo, 1, v89
	v_add_nc_u32_e32 v5, v6, v5
	v_mov_b32_dpp v6, v5 row_shr:2 row_mask:0xf bank_mask:0xf
	v_cndmask_b32_e32 v6, 0, v6, vcc_lo
	v_add_nc_u32_e32 v5, v5, v6
	ds_write_b32 v66, v5
.LBB530_724:                            ;   in Loop: Header=BB530_20 Depth=1
	s_or_b32 exec_lo, exec_lo, s20
	v_mov_b32_e32 v5, 0
	s_waitcnt lgkmcnt(0)
	s_barrier
	buffer_gl0_inv
	s_and_saveexec_b32 s20, s11
; %bb.725:                              ;   in Loop: Header=BB530_20 Depth=1
	ds_read_b32 v5, v67
; %bb.726:                              ;   in Loop: Header=BB530_20 Depth=1
	s_or_b32 exec_lo, exec_lo, s20
	v_cmp_gt_i32_e32 vcc_lo, 0, v90
	s_waitcnt lgkmcnt(0)
	v_add_nc_u32_e32 v3, v5, v3
	s_barrier
	buffer_gl0_inv
	v_cndmask_b32_e32 v6, v90, v82, vcc_lo
	v_lshlrev_b32_e32 v131, 2, v6
	ds_bpermute_b32 v3, v131, v3
	s_and_saveexec_b32 s20, s8
	s_cbranch_execz .LBB530_728
; %bb.727:                              ;   in Loop: Header=BB530_20 Depth=1
	s_waitcnt lgkmcnt(0)
	v_cndmask_b32_e64 v3, v3, v5, s15
	v_add_nc_u32_e32 v3, s58, v3
	ds_write_b32 v43, v3
.LBB530_728:                            ;   in Loop: Header=BB530_20 Depth=1
	s_or_b32 exec_lo, exec_lo, s20
	s_load_dwordx2 s[20:21], s[56:57], 0x0
	v_add_co_u32 v132, vcc_lo, v80, v106
	v_add_co_ci_u32_e64 v133, null, 0, v81, vcc_lo
	v_add_co_u32 v134, vcc_lo, v83, v125
	v_add_co_ci_u32_e64 v135, null, 0, v84, vcc_lo
	s_mov_b32 s63, s60
	s_mov_b32 s50, s58
                                        ; implicit-def: $vgpr7_vgpr8
                                        ; implicit-def: $vgpr9_vgpr10
                                        ; implicit-def: $vgpr11_vgpr12
                                        ; implicit-def: $vgpr13_vgpr14
                                        ; implicit-def: $vgpr15_vgpr16
                                        ; implicit-def: $vgpr19_vgpr20
                                        ; implicit-def: $vgpr23_vgpr24
                                        ; implicit-def: $vgpr27_vgpr28
                                        ; implicit-def: $vgpr17_vgpr18
                                        ; implicit-def: $vgpr21_vgpr22
                                        ; implicit-def: $vgpr25_vgpr26
                                        ; implicit-def: $vgpr29_vgpr30
                                        ; implicit-def: $vgpr31_vgpr32
                                        ; implicit-def: $vgpr33_vgpr34
                                        ; implicit-def: $vgpr35_vgpr36
                                        ; implicit-def: $vgpr37_vgpr38
                                        ; implicit-def: $vgpr137
                                        ; implicit-def: $vgpr138
                                        ; implicit-def: $vgpr139
                                        ; implicit-def: $vgpr140
                                        ; implicit-def: $vgpr141
                                        ; implicit-def: $vgpr142
                                        ; implicit-def: $vgpr143
                                        ; implicit-def: $vgpr144
                                        ; implicit-def: $vgpr145
                                        ; implicit-def: $vgpr146
                                        ; implicit-def: $vgpr147
                                        ; implicit-def: $vgpr148
                                        ; implicit-def: $vgpr149
                                        ; implicit-def: $vgpr150
                                        ; implicit-def: $vgpr151
                                        ; implicit-def: $vgpr153
                                        ; implicit-def: $vgpr154
                                        ; implicit-def: $vgpr152
                                        ; implicit-def: $vgpr155
	s_waitcnt lgkmcnt(0)
	s_cmp_lt_u32 s7, s21
	s_cselect_b32 s21, 14, 20
	s_add_u32 s22, s56, s21
	s_addc_u32 s23, s57, 0
	s_cmp_lt_u32 s6, s20
	global_load_ushort v3, v4, s[22:23]
	s_cselect_b32 s20, 12, 18
	s_add_u32 s20, s56, s20
	s_addc_u32 s21, s57, 0
	global_load_ushort v5, v4, s[20:21]
	v_cmp_eq_u32_e64 s20, 0, v108
	v_cmp_lt_u32_e64 s21, 1, v108
	v_cmp_lt_u32_e64 s22, 3, v108
	s_waitcnt vmcnt(1)
	v_mad_u32_u24 v3, v2, v3, v1
	s_waitcnt vmcnt(0)
	v_mad_u64_u32 v[5:6], null, v3, v5, v[0:1]
	v_lshrrev_b32_e32 v3, 3, v5
                                        ; implicit-def: $vgpr5_vgpr6
	v_and_b32_e32 v136, 0x1ffffffc, v3
	s_branch .LBB530_730
.LBB530_729:                            ;   in Loop: Header=BB530_730 Depth=2
	s_or_b32 exec_lo, exec_lo, s23
	s_addk_i32 s63, 0xef00
	s_cmp_lt_u32 s64, s59
	s_mov_b32 s50, s64
	s_cbranch_scc0 .LBB530_952
.LBB530_730:                            ;   Parent Loop BB530_20 Depth=1
                                        ; =>  This Inner Loop Header: Depth=2
	s_add_i32 s64, s50, 0x1100
	s_cmp_gt_u32 s64, s59
	s_cbranch_scc1 .LBB530_732
; %bb.731:                              ;   in Loop: Header=BB530_730 Depth=2
	s_lshl_b64 s[24:25], s[50:51], 2
	s_mov_b32 s23, -1
	v_add_co_u32 v39, vcc_lo, v134, s24
	v_add_co_ci_u32_e64 v40, null, s25, v135, vcc_lo
	s_clause 0xf
	global_load_dword v157, v[39:40], off
	global_load_dword v158, v[39:40], off offset:128
	global_load_dword v161, v[39:40], off offset:256
	;; [unrolled: 1-line block ×15, first 2 shown]
	s_movk_i32 s24, 0x1100
	s_cbranch_execz .LBB530_733
	s_branch .LBB530_766
.LBB530_732:                            ;   in Loop: Header=BB530_730 Depth=2
	s_mov_b32 s23, 0
                                        ; implicit-def: $vgpr157
                                        ; implicit-def: $vgpr158
                                        ; implicit-def: $vgpr161
                                        ; implicit-def: $vgpr165
                                        ; implicit-def: $vgpr170
                                        ; implicit-def: $vgpr175
                                        ; implicit-def: $vgpr180
                                        ; implicit-def: $vgpr185
                                        ; implicit-def: $vgpr190
                                        ; implicit-def: $vgpr188
                                        ; implicit-def: $vgpr183
                                        ; implicit-def: $vgpr178
                                        ; implicit-def: $vgpr174
                                        ; implicit-def: $vgpr169
                                        ; implicit-def: $vgpr42
                                        ; implicit-def: $vgpr41
	s_movk_i32 s24, 0x1100
.LBB530_733:                            ;   in Loop: Header=BB530_730 Depth=2
	s_lshl_b64 s[24:25], s[50:51], 2
	s_waitcnt vmcnt(14)
	v_bfrev_b32_e32 v158, 1
	v_add_co_u32 v39, vcc_lo, v134, s24
	v_add_co_ci_u32_e64 v40, null, s25, v135, vcc_lo
	v_bfrev_b32_e32 v157, 1
	s_mov_b32 s23, exec_lo
	v_cmpx_gt_u32_e64 s63, v109
	s_cbranch_execz .LBB530_735
; %bb.734:                              ;   in Loop: Header=BB530_730 Depth=2
	global_load_dword v157, v[39:40], off
.LBB530_735:                            ;   in Loop: Header=BB530_730 Depth=2
	s_or_b32 exec_lo, exec_lo, s23
	s_mov_b32 s23, exec_lo
	v_cmpx_gt_u32_e64 s63, v112
	s_cbranch_execz .LBB530_737
; %bb.736:                              ;   in Loop: Header=BB530_730 Depth=2
	global_load_dword v158, v[39:40], off offset:128
.LBB530_737:                            ;   in Loop: Header=BB530_730 Depth=2
	s_or_b32 exec_lo, exec_lo, s23
	s_waitcnt vmcnt(12)
	v_bfrev_b32_e32 v165, 1
	v_bfrev_b32_e32 v161, 1
	s_mov_b32 s23, exec_lo
	v_cmpx_gt_u32_e64 s63, v113
	s_cbranch_execz .LBB530_739
; %bb.738:                              ;   in Loop: Header=BB530_730 Depth=2
	global_load_dword v161, v[39:40], off offset:256
.LBB530_739:                            ;   in Loop: Header=BB530_730 Depth=2
	s_or_b32 exec_lo, exec_lo, s23
	s_mov_b32 s23, exec_lo
	v_cmpx_gt_u32_e64 s63, v114
	s_cbranch_execz .LBB530_741
; %bb.740:                              ;   in Loop: Header=BB530_730 Depth=2
	global_load_dword v165, v[39:40], off offset:384
.LBB530_741:                            ;   in Loop: Header=BB530_730 Depth=2
	s_or_b32 exec_lo, exec_lo, s23
	s_waitcnt vmcnt(10)
	v_bfrev_b32_e32 v175, 1
	v_bfrev_b32_e32 v170, 1
	s_mov_b32 s23, exec_lo
	v_cmpx_gt_u32_e64 s63, v115
	s_cbranch_execz .LBB530_743
; %bb.742:                              ;   in Loop: Header=BB530_730 Depth=2
	global_load_dword v170, v[39:40], off offset:512
.LBB530_743:                            ;   in Loop: Header=BB530_730 Depth=2
	;; [unrolled: 17-line block ×7, first 2 shown]
	s_or_b32 exec_lo, exec_lo, s23
	s_mov_b32 s23, exec_lo
	v_cmpx_gt_u32_e64 s63, v127
	s_cbranch_execz .LBB530_765
; %bb.764:                              ;   in Loop: Header=BB530_730 Depth=2
	global_load_dword v41, v[39:40], off offset:1920
.LBB530_765:                            ;   in Loop: Header=BB530_730 Depth=2
	s_or_b32 exec_lo, exec_lo, s23
	v_cmp_gt_u32_e64 s23, s63, v128
	s_sub_i32 s24, s59, s50
.LBB530_766:                            ;   in Loop: Header=BB530_730 Depth=2
	v_mov_b32_e32 v3, -1
	v_mov_b32_e32 v156, s63
	s_and_saveexec_b32 s25, s23
	s_cbranch_execz .LBB530_768
; %bb.767:                              ;   in Loop: Header=BB530_730 Depth=2
	s_lshl_b64 s[26:27], s[50:51], 2
	v_mov_b32_e32 v156, s24
	v_add_co_u32 v3, vcc_lo, v134, s26
	v_add_co_ci_u32_e64 v40, null, s27, v135, vcc_lo
	v_add_co_u32 v39, vcc_lo, 0x800, v3
	v_add_co_ci_u32_e64 v40, null, 0, v40, vcc_lo
	global_load_dword v3, v[39:40], off
	s_waitcnt vmcnt(0)
	v_xor_b32_e32 v3, 0x7fffffff, v3
.LBB530_768:                            ;   in Loop: Header=BB530_730 Depth=2
	s_or_b32 exec_lo, exec_lo, s25
	s_waitcnt vmcnt(15)
	v_xor_b32_e32 v157, 0x7fffffff, v157
	ds_write2_b32 v68, v4, v4 offset0:136 offset1:137
	ds_write2_b32 v68, v4, v4 offset0:138 offset1:139
	ds_write_b32 v68, v4 offset:560
	s_waitcnt vmcnt(0) lgkmcnt(0)
	s_barrier
	v_lshrrev_b32_e32 v39, s41, v157
	buffer_gl0_inv
	; wave barrier
	v_and_b32_e32 v40, s62, v39
	v_and_b32_e32 v39, 1, v40
	v_lshlrev_b32_e32 v159, 30, v40
	v_lshlrev_b32_e32 v160, 29, v40
	;; [unrolled: 1-line block ×4, first 2 shown]
	v_add_co_u32 v39, s23, v39, -1
	v_cndmask_b32_e64 v162, 0, 1, s23
	v_not_b32_e32 v167, v159
	v_cmp_gt_i32_e64 s23, 0, v159
	v_not_b32_e32 v159, v160
	v_lshlrev_b32_e32 v166, 26, v40
	v_cmp_ne_u32_e32 vcc_lo, 0, v162
	v_ashrrev_i32_e32 v167, 31, v167
	v_lshlrev_b32_e32 v162, 25, v40
	v_ashrrev_i32_e32 v159, 31, v159
	v_mul_u32_u24_e32 v40, 36, v40
	v_xor_b32_e32 v39, vcc_lo, v39
	v_cmp_gt_i32_e32 vcc_lo, 0, v160
	v_not_b32_e32 v160, v163
	v_xor_b32_e32 v167, s23, v167
	v_cmp_gt_i32_e64 s23, 0, v163
	v_and_b32_e32 v39, exec_lo, v39
	v_not_b32_e32 v163, v164
	v_ashrrev_i32_e32 v160, 31, v160
	v_xor_b32_e32 v159, vcc_lo, v159
	v_cmp_gt_i32_e32 vcc_lo, 0, v164
	v_and_b32_e32 v39, v39, v167
	v_not_b32_e32 v164, v166
	v_ashrrev_i32_e32 v163, 31, v163
	v_xor_b32_e32 v160, s23, v160
	v_cmp_gt_i32_e64 s23, 0, v166
	v_and_b32_e32 v39, v39, v159
	v_not_b32_e32 v159, v162
	v_ashrrev_i32_e32 v164, 31, v164
	v_xor_b32_e32 v163, vcc_lo, v163
	v_cmp_gt_i32_e32 vcc_lo, 0, v162
	v_and_b32_e32 v39, v39, v160
	v_ashrrev_i32_e32 v159, 31, v159
	v_xor_b32_e32 v160, s23, v164
	v_and_b32_e32 v39, v39, v163
	v_xor_b32_e32 v159, vcc_lo, v159
	v_and_b32_e32 v39, v39, v160
	v_add_nc_u32_e32 v160, v136, v40
	v_and_b32_e32 v39, v39, v159
	v_mbcnt_lo_u32_b32 v159, v39, 0
	v_cmp_ne_u32_e64 s23, 0, v39
	v_cmp_eq_u32_e32 vcc_lo, 0, v159
	s_and_b32 s24, s23, vcc_lo
	s_and_saveexec_b32 s23, s24
; %bb.769:                              ;   in Loop: Header=BB530_730 Depth=2
	v_bcnt_u32_b32 v39, v39, 0
	ds_write_b32 v160, v39 offset:544
; %bb.770:                              ;   in Loop: Header=BB530_730 Depth=2
	s_or_b32 exec_lo, exec_lo, s23
	v_xor_b32_e32 v158, 0x7fffffff, v158
	; wave barrier
	v_lshrrev_b32_e32 v39, s41, v158
	v_and_b32_e32 v40, s62, v39
	v_and_b32_e32 v39, 1, v40
	v_lshlrev_b32_e32 v162, 30, v40
	v_lshlrev_b32_e32 v163, 29, v40
	v_lshlrev_b32_e32 v166, 28, v40
	v_lshlrev_b32_e32 v167, 27, v40
	v_add_co_u32 v39, s23, v39, -1
	v_cndmask_b32_e64 v164, 0, 1, s23
	v_not_b32_e32 v171, v162
	v_cmp_gt_i32_e64 s23, 0, v162
	v_not_b32_e32 v162, v163
	v_lshlrev_b32_e32 v168, 26, v40
	v_cmp_ne_u32_e32 vcc_lo, 0, v164
	v_ashrrev_i32_e32 v171, 31, v171
	v_lshlrev_b32_e32 v164, 25, v40
	v_ashrrev_i32_e32 v162, 31, v162
	v_xor_b32_e32 v39, vcc_lo, v39
	v_cmp_gt_i32_e32 vcc_lo, 0, v163
	v_not_b32_e32 v163, v166
	v_xor_b32_e32 v171, s23, v171
	v_cmp_gt_i32_e64 s23, 0, v166
	v_and_b32_e32 v39, exec_lo, v39
	v_not_b32_e32 v166, v167
	v_ashrrev_i32_e32 v163, 31, v163
	v_xor_b32_e32 v162, vcc_lo, v162
	v_cmp_gt_i32_e32 vcc_lo, 0, v167
	v_and_b32_e32 v39, v39, v171
	v_not_b32_e32 v167, v168
	v_ashrrev_i32_e32 v166, 31, v166
	v_xor_b32_e32 v163, s23, v163
	v_cmp_gt_i32_e64 s23, 0, v168
	v_and_b32_e32 v39, v39, v162
	v_not_b32_e32 v162, v164
	v_ashrrev_i32_e32 v167, 31, v167
	v_xor_b32_e32 v166, vcc_lo, v166
	v_cmp_gt_i32_e32 vcc_lo, 0, v164
	v_and_b32_e32 v39, v39, v163
	v_ashrrev_i32_e32 v162, 31, v162
	v_xor_b32_e32 v163, s23, v167
	v_mad_u32_u24 v164, v40, 36, v136
	v_mul_u32_u24_e32 v40, 36, v40
	v_and_b32_e32 v39, v39, v166
	v_xor_b32_e32 v166, vcc_lo, v162
	ds_read_b32 v162, v164 offset:544
	v_add_nc_u32_e32 v164, v136, v40
	v_and_b32_e32 v39, v39, v163
	; wave barrier
	v_and_b32_e32 v39, v39, v166
	v_mbcnt_lo_u32_b32 v163, v39, 0
	v_cmp_ne_u32_e64 s23, 0, v39
	v_cmp_eq_u32_e32 vcc_lo, 0, v163
	s_and_b32 s24, s23, vcc_lo
	s_and_saveexec_b32 s23, s24
	s_cbranch_execz .LBB530_772
; %bb.771:                              ;   in Loop: Header=BB530_730 Depth=2
	s_waitcnt lgkmcnt(0)
	v_bcnt_u32_b32 v39, v39, v162
	ds_write_b32 v164, v39 offset:544
.LBB530_772:                            ;   in Loop: Header=BB530_730 Depth=2
	s_or_b32 exec_lo, exec_lo, s23
	v_xor_b32_e32 v161, 0x7fffffff, v161
	; wave barrier
	v_lshrrev_b32_e32 v39, s41, v161
	v_and_b32_e32 v40, s62, v39
	v_and_b32_e32 v39, 1, v40
	v_lshlrev_b32_e32 v166, 30, v40
	v_lshlrev_b32_e32 v167, 29, v40
	v_lshlrev_b32_e32 v171, 28, v40
	v_lshlrev_b32_e32 v172, 27, v40
	v_add_co_u32 v39, s23, v39, -1
	v_cndmask_b32_e64 v168, 0, 1, s23
	v_not_b32_e32 v176, v166
	v_cmp_gt_i32_e64 s23, 0, v166
	v_not_b32_e32 v166, v167
	v_lshlrev_b32_e32 v173, 26, v40
	v_cmp_ne_u32_e32 vcc_lo, 0, v168
	v_ashrrev_i32_e32 v176, 31, v176
	v_lshlrev_b32_e32 v168, 25, v40
	v_ashrrev_i32_e32 v166, 31, v166
	v_xor_b32_e32 v39, vcc_lo, v39
	v_cmp_gt_i32_e32 vcc_lo, 0, v167
	v_not_b32_e32 v167, v171
	v_xor_b32_e32 v176, s23, v176
	v_cmp_gt_i32_e64 s23, 0, v171
	v_and_b32_e32 v39, exec_lo, v39
	v_not_b32_e32 v171, v172
	v_ashrrev_i32_e32 v167, 31, v167
	v_xor_b32_e32 v166, vcc_lo, v166
	v_cmp_gt_i32_e32 vcc_lo, 0, v172
	v_and_b32_e32 v39, v39, v176
	v_not_b32_e32 v172, v173
	v_ashrrev_i32_e32 v171, 31, v171
	v_xor_b32_e32 v167, s23, v167
	v_cmp_gt_i32_e64 s23, 0, v173
	v_and_b32_e32 v39, v39, v166
	v_not_b32_e32 v166, v168
	v_ashrrev_i32_e32 v172, 31, v172
	v_xor_b32_e32 v171, vcc_lo, v171
	v_cmp_gt_i32_e32 vcc_lo, 0, v168
	v_and_b32_e32 v39, v39, v167
	v_ashrrev_i32_e32 v166, 31, v166
	v_xor_b32_e32 v167, s23, v172
	v_mad_u32_u24 v168, v40, 36, v136
	v_mul_u32_u24_e32 v40, 36, v40
	v_and_b32_e32 v39, v39, v171
	v_xor_b32_e32 v171, vcc_lo, v166
	ds_read_b32 v166, v168 offset:544
	v_add_nc_u32_e32 v168, v136, v40
	v_and_b32_e32 v39, v39, v167
	; wave barrier
	v_and_b32_e32 v39, v39, v171
	v_mbcnt_lo_u32_b32 v167, v39, 0
	v_cmp_ne_u32_e64 s23, 0, v39
	v_cmp_eq_u32_e32 vcc_lo, 0, v167
	s_and_b32 s24, s23, vcc_lo
	s_and_saveexec_b32 s23, s24
	s_cbranch_execz .LBB530_774
; %bb.773:                              ;   in Loop: Header=BB530_730 Depth=2
	s_waitcnt lgkmcnt(0)
	v_bcnt_u32_b32 v39, v39, v166
	ds_write_b32 v168, v39 offset:544
.LBB530_774:                            ;   in Loop: Header=BB530_730 Depth=2
	;; [unrolled: 63-line block ×9, first 2 shown]
	s_or_b32 exec_lo, exec_lo, s23
	v_xor_b32_e32 v183, 0x7fffffff, v183
	; wave barrier
	v_lshrrev_b32_e32 v39, s41, v183
	v_and_b32_e32 v40, s62, v39
	v_and_b32_e32 v39, 1, v40
	v_lshlrev_b32_e32 v200, 30, v40
	v_lshlrev_b32_e32 v201, 29, v40
	;; [unrolled: 1-line block ×4, first 2 shown]
	v_add_co_u32 v39, s23, v39, -1
	v_cndmask_b32_e64 v202, 0, 1, s23
	v_not_b32_e32 v206, v200
	v_cmp_gt_i32_e64 s23, 0, v200
	v_not_b32_e32 v200, v201
	v_lshlrev_b32_e32 v205, 26, v40
	v_cmp_ne_u32_e32 vcc_lo, 0, v202
	v_ashrrev_i32_e32 v206, 31, v206
	v_lshlrev_b32_e32 v202, 25, v40
	v_ashrrev_i32_e32 v200, 31, v200
	v_xor_b32_e32 v39, vcc_lo, v39
	v_cmp_gt_i32_e32 vcc_lo, 0, v201
	v_not_b32_e32 v201, v203
	v_xor_b32_e32 v206, s23, v206
	v_cmp_gt_i32_e64 s23, 0, v203
	v_and_b32_e32 v39, exec_lo, v39
	v_not_b32_e32 v203, v204
	v_ashrrev_i32_e32 v201, 31, v201
	v_xor_b32_e32 v200, vcc_lo, v200
	v_cmp_gt_i32_e32 vcc_lo, 0, v204
	v_and_b32_e32 v39, v39, v206
	v_not_b32_e32 v204, v205
	v_ashrrev_i32_e32 v203, 31, v203
	v_xor_b32_e32 v201, s23, v201
	v_cmp_gt_i32_e64 s23, 0, v205
	v_and_b32_e32 v39, v39, v200
	v_not_b32_e32 v200, v202
	v_ashrrev_i32_e32 v204, 31, v204
	v_xor_b32_e32 v203, vcc_lo, v203
	v_cmp_gt_i32_e32 vcc_lo, 0, v202
	v_and_b32_e32 v39, v39, v201
	v_ashrrev_i32_e32 v200, 31, v200
	v_xor_b32_e32 v201, s23, v204
	v_mad_u32_u24 v202, v40, 36, v136
	v_mul_u32_u24_e32 v40, 36, v40
	v_and_b32_e32 v39, v39, v203
	v_xor_b32_e32 v200, vcc_lo, v200
	v_add_nc_u32_e32 v203, v136, v40
	v_and_b32_e32 v39, v39, v201
	ds_read_b32 v201, v202 offset:544
	; wave barrier
	v_and_b32_e32 v39, v39, v200
	v_mbcnt_lo_u32_b32 v202, v39, 0
	v_cmp_ne_u32_e64 s23, 0, v39
	v_cmp_eq_u32_e32 vcc_lo, 0, v202
	s_and_b32 s24, s23, vcc_lo
	s_and_saveexec_b32 s23, s24
	s_cbranch_execz .LBB530_790
; %bb.789:                              ;   in Loop: Header=BB530_730 Depth=2
	s_waitcnt lgkmcnt(0)
	v_bcnt_u32_b32 v39, v39, v201
	ds_write_b32 v203, v39 offset:544
.LBB530_790:                            ;   in Loop: Header=BB530_730 Depth=2
	s_or_b32 exec_lo, exec_lo, s23
	v_xor_b32_e32 v200, 0x7fffffff, v178
	; wave barrier
	v_lshrrev_b32_e32 v39, s41, v200
	v_and_b32_e32 v40, s62, v39
	v_and_b32_e32 v39, 1, v40
	v_lshlrev_b32_e32 v178, 30, v40
	v_lshlrev_b32_e32 v204, 29, v40
	v_lshlrev_b32_e32 v206, 28, v40
	v_lshlrev_b32_e32 v207, 27, v40
	v_add_co_u32 v39, s23, v39, -1
	v_cndmask_b32_e64 v205, 0, 1, s23
	v_not_b32_e32 v209, v178
	v_cmp_gt_i32_e64 s23, 0, v178
	v_not_b32_e32 v178, v204
	v_lshlrev_b32_e32 v208, 26, v40
	v_cmp_ne_u32_e32 vcc_lo, 0, v205
	v_ashrrev_i32_e32 v209, 31, v209
	v_lshlrev_b32_e32 v205, 25, v40
	v_ashrrev_i32_e32 v178, 31, v178
	v_xor_b32_e32 v39, vcc_lo, v39
	v_cmp_gt_i32_e32 vcc_lo, 0, v204
	v_not_b32_e32 v204, v206
	v_xor_b32_e32 v209, s23, v209
	v_cmp_gt_i32_e64 s23, 0, v206
	v_and_b32_e32 v39, exec_lo, v39
	v_not_b32_e32 v206, v207
	v_ashrrev_i32_e32 v204, 31, v204
	v_xor_b32_e32 v178, vcc_lo, v178
	v_cmp_gt_i32_e32 vcc_lo, 0, v207
	v_and_b32_e32 v39, v39, v209
	v_not_b32_e32 v207, v208
	v_ashrrev_i32_e32 v206, 31, v206
	v_xor_b32_e32 v204, s23, v204
	v_cmp_gt_i32_e64 s23, 0, v208
	v_and_b32_e32 v39, v39, v178
	v_not_b32_e32 v178, v205
	v_ashrrev_i32_e32 v207, 31, v207
	v_xor_b32_e32 v206, vcc_lo, v206
	v_cmp_gt_i32_e32 vcc_lo, 0, v205
	v_and_b32_e32 v39, v39, v204
	v_ashrrev_i32_e32 v178, 31, v178
	v_xor_b32_e32 v204, s23, v207
	v_mad_u32_u24 v205, v40, 36, v136
	v_mul_u32_u24_e32 v40, 36, v40
	v_and_b32_e32 v39, v39, v206
	v_xor_b32_e32 v178, vcc_lo, v178
	ds_read_b32 v205, v205 offset:544
	v_and_b32_e32 v39, v39, v204
	; wave barrier
	v_and_b32_e32 v39, v39, v178
	v_add_nc_u32_e32 v178, v136, v40
	v_mbcnt_lo_u32_b32 v206, v39, 0
	v_cmp_ne_u32_e64 s23, 0, v39
	v_cmp_eq_u32_e32 vcc_lo, 0, v206
	s_and_b32 s24, s23, vcc_lo
	s_and_saveexec_b32 s23, s24
	s_cbranch_execz .LBB530_792
; %bb.791:                              ;   in Loop: Header=BB530_730 Depth=2
	s_waitcnt lgkmcnt(0)
	v_bcnt_u32_b32 v39, v39, v205
	ds_write_b32 v178, v39 offset:544
.LBB530_792:                            ;   in Loop: Header=BB530_730 Depth=2
	s_or_b32 exec_lo, exec_lo, s23
	v_xor_b32_e32 v204, 0x7fffffff, v174
	; wave barrier
	v_lshrrev_b32_e32 v39, s41, v204
	v_and_b32_e32 v40, s62, v39
	v_and_b32_e32 v39, 1, v40
	v_lshlrev_b32_e32 v174, 30, v40
	v_lshlrev_b32_e32 v207, 29, v40
	v_lshlrev_b32_e32 v209, 28, v40
	v_lshlrev_b32_e32 v210, 27, v40
	v_add_co_u32 v39, s23, v39, -1
	v_cndmask_b32_e64 v208, 0, 1, s23
	v_not_b32_e32 v212, v174
	v_cmp_gt_i32_e64 s23, 0, v174
	v_not_b32_e32 v174, v207
	v_lshlrev_b32_e32 v211, 26, v40
	v_cmp_ne_u32_e32 vcc_lo, 0, v208
	v_ashrrev_i32_e32 v212, 31, v212
	v_lshlrev_b32_e32 v208, 25, v40
	v_ashrrev_i32_e32 v174, 31, v174
	v_xor_b32_e32 v39, vcc_lo, v39
	v_cmp_gt_i32_e32 vcc_lo, 0, v207
	v_not_b32_e32 v207, v209
	v_xor_b32_e32 v212, s23, v212
	v_cmp_gt_i32_e64 s23, 0, v209
	v_and_b32_e32 v39, exec_lo, v39
	v_not_b32_e32 v209, v210
	v_ashrrev_i32_e32 v207, 31, v207
	v_xor_b32_e32 v174, vcc_lo, v174
	v_cmp_gt_i32_e32 vcc_lo, 0, v210
	v_and_b32_e32 v39, v39, v212
	v_not_b32_e32 v210, v211
	v_ashrrev_i32_e32 v209, 31, v209
	v_xor_b32_e32 v207, s23, v207
	v_cmp_gt_i32_e64 s23, 0, v211
	v_and_b32_e32 v39, v39, v174
	v_not_b32_e32 v174, v208
	v_ashrrev_i32_e32 v210, 31, v210
	v_xor_b32_e32 v209, vcc_lo, v209
	v_cmp_gt_i32_e32 vcc_lo, 0, v208
	v_and_b32_e32 v39, v39, v207
	v_ashrrev_i32_e32 v174, 31, v174
	v_xor_b32_e32 v207, s23, v210
	v_mad_u32_u24 v208, v40, 36, v136
	v_mul_u32_u24_e32 v40, 36, v40
	v_and_b32_e32 v39, v39, v209
	v_xor_b32_e32 v174, vcc_lo, v174
	ds_read_b32 v208, v208 offset:544
	v_and_b32_e32 v39, v39, v207
	; wave barrier
	v_and_b32_e32 v39, v39, v174
	v_add_nc_u32_e32 v174, v136, v40
	;; [unrolled: 63-line block ×3, first 2 shown]
	v_mbcnt_lo_u32_b32 v212, v39, 0
	v_cmp_ne_u32_e64 s23, 0, v39
	v_cmp_eq_u32_e32 vcc_lo, 0, v212
	s_and_b32 s24, s23, vcc_lo
	s_and_saveexec_b32 s23, s24
	s_cbranch_execz .LBB530_796
; %bb.795:                              ;   in Loop: Header=BB530_730 Depth=2
	s_waitcnt lgkmcnt(0)
	v_bcnt_u32_b32 v39, v39, v211
	ds_write_b32 v169, v39 offset:544
.LBB530_796:                            ;   in Loop: Header=BB530_730 Depth=2
	s_or_b32 exec_lo, exec_lo, s23
	v_xor_b32_e32 v210, 0x7fffffff, v42
	; wave barrier
	v_lshrrev_b32_e32 v39, s41, v210
	v_and_b32_e32 v40, s62, v39
	v_and_b32_e32 v39, 1, v40
	v_lshlrev_b32_e32 v42, 30, v40
	v_lshlrev_b32_e32 v213, 29, v40
	;; [unrolled: 1-line block ×4, first 2 shown]
	v_add_co_u32 v39, s23, v39, -1
	v_cndmask_b32_e64 v214, 0, 1, s23
	v_not_b32_e32 v218, v42
	v_cmp_gt_i32_e64 s23, 0, v42
	v_not_b32_e32 v42, v213
	v_lshlrev_b32_e32 v217, 26, v40
	v_cmp_ne_u32_e32 vcc_lo, 0, v214
	v_ashrrev_i32_e32 v218, 31, v218
	v_lshlrev_b32_e32 v214, 25, v40
	v_ashrrev_i32_e32 v42, 31, v42
	v_xor_b32_e32 v39, vcc_lo, v39
	v_cmp_gt_i32_e32 vcc_lo, 0, v213
	v_not_b32_e32 v213, v215
	v_xor_b32_e32 v218, s23, v218
	v_cmp_gt_i32_e64 s23, 0, v215
	v_and_b32_e32 v39, exec_lo, v39
	v_not_b32_e32 v215, v216
	v_ashrrev_i32_e32 v213, 31, v213
	v_xor_b32_e32 v42, vcc_lo, v42
	v_cmp_gt_i32_e32 vcc_lo, 0, v216
	v_and_b32_e32 v39, v39, v218
	v_not_b32_e32 v216, v217
	v_ashrrev_i32_e32 v215, 31, v215
	v_xor_b32_e32 v213, s23, v213
	v_cmp_gt_i32_e64 s23, 0, v217
	v_and_b32_e32 v39, v39, v42
	v_not_b32_e32 v42, v214
	v_ashrrev_i32_e32 v216, 31, v216
	v_xor_b32_e32 v215, vcc_lo, v215
	v_cmp_gt_i32_e32 vcc_lo, 0, v214
	v_and_b32_e32 v39, v39, v213
	v_ashrrev_i32_e32 v42, 31, v42
	v_xor_b32_e32 v213, s23, v216
	v_mad_u32_u24 v214, v40, 36, v136
	v_mul_u32_u24_e32 v40, 36, v40
	v_and_b32_e32 v39, v39, v215
	v_xor_b32_e32 v42, vcc_lo, v42
	ds_read_b32 v214, v214 offset:544
	v_add_nc_u32_e32 v216, v136, v40
	v_and_b32_e32 v39, v39, v213
	; wave barrier
	v_and_b32_e32 v39, v39, v42
	v_mbcnt_lo_u32_b32 v215, v39, 0
	v_cmp_ne_u32_e64 s23, 0, v39
	v_cmp_eq_u32_e32 vcc_lo, 0, v215
	s_and_b32 s24, s23, vcc_lo
	s_and_saveexec_b32 s23, s24
	s_cbranch_execz .LBB530_798
; %bb.797:                              ;   in Loop: Header=BB530_730 Depth=2
	s_waitcnt lgkmcnt(0)
	v_bcnt_u32_b32 v39, v39, v214
	ds_write_b32 v216, v39 offset:544
.LBB530_798:                            ;   in Loop: Header=BB530_730 Depth=2
	s_or_b32 exec_lo, exec_lo, s23
	v_xor_b32_e32 v213, 0x7fffffff, v41
	; wave barrier
	v_lshrrev_b32_e32 v39, s41, v213
	v_and_b32_e32 v40, s62, v39
	v_and_b32_e32 v39, 1, v40
	v_lshlrev_b32_e32 v41, 30, v40
	v_lshlrev_b32_e32 v42, 29, v40
	;; [unrolled: 1-line block ×4, first 2 shown]
	v_add_co_u32 v39, s23, v39, -1
	v_cndmask_b32_e64 v217, 0, 1, s23
	v_not_b32_e32 v221, v41
	v_cmp_gt_i32_e64 s23, 0, v41
	v_not_b32_e32 v41, v42
	v_lshlrev_b32_e32 v220, 26, v40
	v_cmp_ne_u32_e32 vcc_lo, 0, v217
	v_ashrrev_i32_e32 v221, 31, v221
	v_lshlrev_b32_e32 v217, 25, v40
	v_ashrrev_i32_e32 v41, 31, v41
	v_xor_b32_e32 v39, vcc_lo, v39
	v_cmp_gt_i32_e32 vcc_lo, 0, v42
	v_not_b32_e32 v42, v218
	v_xor_b32_e32 v221, s23, v221
	v_cmp_gt_i32_e64 s23, 0, v218
	v_and_b32_e32 v39, exec_lo, v39
	v_not_b32_e32 v218, v219
	v_ashrrev_i32_e32 v42, 31, v42
	v_xor_b32_e32 v41, vcc_lo, v41
	v_cmp_gt_i32_e32 vcc_lo, 0, v219
	v_and_b32_e32 v39, v39, v221
	v_not_b32_e32 v219, v220
	v_ashrrev_i32_e32 v218, 31, v218
	v_xor_b32_e32 v42, s23, v42
	v_cmp_gt_i32_e64 s23, 0, v220
	v_and_b32_e32 v39, v39, v41
	v_not_b32_e32 v41, v217
	v_ashrrev_i32_e32 v219, 31, v219
	v_xor_b32_e32 v218, vcc_lo, v218
	v_cmp_gt_i32_e32 vcc_lo, 0, v217
	v_and_b32_e32 v39, v39, v42
	v_ashrrev_i32_e32 v41, 31, v41
	v_xor_b32_e32 v42, s23, v219
	v_mad_u32_u24 v217, v40, 36, v136
	v_mul_u32_u24_e32 v40, 36, v40
	v_and_b32_e32 v39, v39, v218
	v_xor_b32_e32 v41, vcc_lo, v41
	ds_read_b32 v217, v217 offset:544
	v_add_nc_u32_e32 v219, v136, v40
	v_and_b32_e32 v39, v39, v42
	; wave barrier
	v_and_b32_e32 v39, v39, v41
	v_mbcnt_lo_u32_b32 v218, v39, 0
	v_cmp_ne_u32_e64 s23, 0, v39
	v_cmp_eq_u32_e32 vcc_lo, 0, v218
	s_and_b32 s24, s23, vcc_lo
	s_and_saveexec_b32 s23, s24
	s_cbranch_execz .LBB530_800
; %bb.799:                              ;   in Loop: Header=BB530_730 Depth=2
	s_waitcnt lgkmcnt(0)
	v_bcnt_u32_b32 v39, v39, v217
	ds_write_b32 v219, v39 offset:544
.LBB530_800:                            ;   in Loop: Header=BB530_730 Depth=2
	s_or_b32 exec_lo, exec_lo, s23
	v_lshrrev_b32_e32 v39, s41, v3
	; wave barrier
	v_and_b32_e32 v40, s62, v39
	v_and_b32_e32 v39, 1, v40
	v_lshlrev_b32_e32 v41, 30, v40
	v_lshlrev_b32_e32 v42, 29, v40
	;; [unrolled: 1-line block ×4, first 2 shown]
	v_add_co_u32 v39, s23, v39, -1
	v_cndmask_b32_e64 v220, 0, 1, s23
	v_not_b32_e32 v224, v41
	v_cmp_gt_i32_e64 s23, 0, v41
	v_not_b32_e32 v41, v42
	v_lshlrev_b32_e32 v223, 26, v40
	v_cmp_ne_u32_e32 vcc_lo, 0, v220
	v_ashrrev_i32_e32 v224, 31, v224
	v_lshlrev_b32_e32 v220, 25, v40
	v_ashrrev_i32_e32 v41, 31, v41
	v_xor_b32_e32 v39, vcc_lo, v39
	v_cmp_gt_i32_e32 vcc_lo, 0, v42
	v_not_b32_e32 v42, v221
	v_xor_b32_e32 v224, s23, v224
	v_cmp_gt_i32_e64 s23, 0, v221
	v_and_b32_e32 v39, exec_lo, v39
	v_not_b32_e32 v221, v222
	v_ashrrev_i32_e32 v42, 31, v42
	v_xor_b32_e32 v41, vcc_lo, v41
	v_cmp_gt_i32_e32 vcc_lo, 0, v222
	v_and_b32_e32 v39, v39, v224
	v_not_b32_e32 v222, v223
	v_ashrrev_i32_e32 v221, 31, v221
	v_xor_b32_e32 v42, s23, v42
	v_cmp_gt_i32_e64 s23, 0, v223
	v_and_b32_e32 v39, v39, v41
	v_not_b32_e32 v41, v220
	v_ashrrev_i32_e32 v222, 31, v222
	v_xor_b32_e32 v221, vcc_lo, v221
	v_cmp_gt_i32_e32 vcc_lo, 0, v220
	v_and_b32_e32 v39, v39, v42
	v_ashrrev_i32_e32 v41, 31, v41
	v_xor_b32_e32 v42, s23, v222
	v_mad_u32_u24 v220, v40, 36, v136
	v_mul_u32_u24_e32 v40, 36, v40
	v_and_b32_e32 v39, v39, v221
	v_xor_b32_e32 v41, vcc_lo, v41
	ds_read_b32 v220, v220 offset:544
	v_add_nc_u32_e32 v222, v136, v40
	v_and_b32_e32 v39, v39, v42
	; wave barrier
	v_and_b32_e32 v39, v39, v41
	v_mbcnt_lo_u32_b32 v221, v39, 0
	v_cmp_ne_u32_e64 s23, 0, v39
	v_cmp_eq_u32_e32 vcc_lo, 0, v221
	s_and_b32 s24, s23, vcc_lo
	s_and_saveexec_b32 s23, s24
	s_cbranch_execz .LBB530_802
; %bb.801:                              ;   in Loop: Header=BB530_730 Depth=2
	s_waitcnt lgkmcnt(0)
	v_bcnt_u32_b32 v39, v39, v220
	ds_write_b32 v222, v39 offset:544
.LBB530_802:                            ;   in Loop: Header=BB530_730 Depth=2
	s_or_b32 exec_lo, exec_lo, s23
	; wave barrier
	s_waitcnt lgkmcnt(0)
	s_barrier
	buffer_gl0_inv
	ds_read2_b32 v[41:42], v68 offset0:136 offset1:137
	ds_read2_b32 v[39:40], v68 offset0:138 offset1:139
	ds_read_b32 v223, v68 offset:560
	s_waitcnt lgkmcnt(1)
	v_add3_u32 v224, v42, v41, v39
	s_waitcnt lgkmcnt(0)
	v_add3_u32 v223, v224, v40, v223
	v_mov_b32_dpp v224, v223 row_shr:1 row_mask:0xf bank_mask:0xf
	v_cndmask_b32_e64 v224, v224, 0, s5
	v_add_nc_u32_e32 v223, v224, v223
	v_mov_b32_dpp v224, v223 row_shr:2 row_mask:0xf bank_mask:0xf
	v_cndmask_b32_e64 v224, 0, v224, s16
	v_add_nc_u32_e32 v223, v223, v224
	;; [unrolled: 3-line block ×4, first 2 shown]
	ds_swizzle_b32 v224, v223 offset:swizzle(BROADCAST,32,15)
	s_waitcnt lgkmcnt(0)
	v_cndmask_b32_e64 v224, v224, 0, s19
	v_add_nc_u32_e32 v223, v223, v224
	s_and_saveexec_b32 s23, s4
; %bb.803:                              ;   in Loop: Header=BB530_730 Depth=2
	ds_write_b32 v62, v223 offset:512
; %bb.804:                              ;   in Loop: Header=BB530_730 Depth=2
	s_or_b32 exec_lo, exec_lo, s23
	s_waitcnt lgkmcnt(0)
	s_barrier
	buffer_gl0_inv
	s_and_saveexec_b32 s23, s12
	s_cbranch_execz .LBB530_806
; %bb.805:                              ;   in Loop: Header=BB530_730 Depth=2
	ds_read_b32 v224, v69 offset:512
	s_waitcnt lgkmcnt(0)
	v_mov_b32_dpp v225, v224 row_shr:1 row_mask:0xf bank_mask:0xf
	v_cndmask_b32_e64 v225, v225, 0, s20
	v_add_nc_u32_e32 v224, v225, v224
	v_mov_b32_dpp v225, v224 row_shr:2 row_mask:0xf bank_mask:0xf
	v_cndmask_b32_e64 v225, 0, v225, s21
	v_add_nc_u32_e32 v224, v224, v225
	;; [unrolled: 3-line block ×3, first 2 shown]
	ds_write_b32 v69, v224 offset:512
.LBB530_806:                            ;   in Loop: Header=BB530_730 Depth=2
	s_or_b32 exec_lo, exec_lo, s23
	v_mov_b32_e32 v224, 0
	s_waitcnt lgkmcnt(0)
	s_barrier
	buffer_gl0_inv
	s_and_saveexec_b32 s23, s11
; %bb.807:                              ;   in Loop: Header=BB530_730 Depth=2
	ds_read_b32 v224, v62 offset:508
; %bb.808:                              ;   in Loop: Header=BB530_730 Depth=2
	s_or_b32 exec_lo, exec_lo, s23
	s_waitcnt lgkmcnt(0)
	v_add_nc_u32_e32 v223, v224, v223
	ds_bpermute_b32 v223, v131, v223
	s_waitcnt lgkmcnt(0)
	v_cndmask_b32_e64 v223, v223, v224, s15
	v_cndmask_b32_e64 v223, v223, 0, s13
	v_add_nc_u32_e32 v41, v223, v41
	v_add_nc_u32_e32 v42, v41, v42
	;; [unrolled: 1-line block ×4, first 2 shown]
	ds_write2_b32 v68, v223, v41 offset0:136 offset1:137
	ds_write2_b32 v68, v42, v39 offset0:138 offset1:139
	ds_write_b32 v68, v40 offset:560
	s_waitcnt lgkmcnt(0)
	s_barrier
	buffer_gl0_inv
	ds_read_b32 v41, v160 offset:544
	ds_read_b32 v42, v164 offset:544
	;; [unrolled: 1-line block ×17, first 2 shown]
	s_and_saveexec_b32 s23, s8
	s_cbranch_execz .LBB530_812
; %bb.809:                              ;   in Loop: Header=BB530_730 Depth=2
	ds_read_b32 v152, v71 offset:544
	v_mov_b32_e32 v155, 0x1100
	s_and_saveexec_b32 s24, s14
; %bb.810:                              ;   in Loop: Header=BB530_730 Depth=2
	ds_read_b32 v155, v70 offset:544
; %bb.811:                              ;   in Loop: Header=BB530_730 Depth=2
	s_or_b32 exec_lo, exec_lo, s24
	s_waitcnt lgkmcnt(0)
	v_sub_nc_u32_e32 v155, v155, v152
.LBB530_812:                            ;   in Loop: Header=BB530_730 Depth=2
	s_or_b32 exec_lo, exec_lo, s23
	s_waitcnt lgkmcnt(0)
	s_barrier
	buffer_gl0_inv
	s_and_saveexec_b32 s23, s8
	s_cbranch_execz .LBB530_814
; %bb.813:                              ;   in Loop: Header=BB530_730 Depth=2
	ds_read_b32 v169, v43
	s_waitcnt lgkmcnt(0)
	v_sub_nc_u32_e32 v169, v169, v152
	ds_write_b32 v43, v169
.LBB530_814:                            ;   in Loop: Header=BB530_730 Depth=2
	s_or_b32 exec_lo, exec_lo, s23
	v_add_nc_u32_e32 v179, v41, v159
	v_add3_u32 v178, v163, v162, v42
	v_add3_u32 v174, v167, v166, v164
	;; [unrolled: 1-line block ×5, first 2 shown]
	v_lshlrev_b32_e32 v176, 2, v179
	v_lshlrev_b32_e32 v177, 2, v178
	v_add3_u32 v162, v218, v217, v39
	v_lshlrev_b32_e32 v39, 2, v174
	v_add3_u32 v171, v182, v181, v184
	v_add3_u32 v168, v192, v191, v193
	;; [unrolled: 1-line block ×5, first 2 shown]
	ds_write_b32 v176, v157 offset:512
	ds_write_b32 v177, v158 offset:512
	v_lshlrev_b32_e32 v40, 2, v173
	ds_write_b32 v39, v161 offset:512
	v_lshlrev_b32_e32 v39, 2, v169
	v_add3_u32 v166, v198, v197, v199
	v_lshlrev_b32_e32 v157, 2, v172
	v_add3_u32 v164, v202, v201, v203
	;; [unrolled: 2-line block ×3, first 2 shown]
	v_add3_u32 v42, v209, v208, v225
	ds_write_b32 v40, v165 offset:512
	ds_write_b32 v157, v170 offset:512
	;; [unrolled: 1-line block ×3, first 2 shown]
	v_lshlrev_b32_e32 v40, 2, v168
	ds_write_b32 v39, v180 offset:512
	v_lshlrev_b32_e32 v39, 2, v167
	v_lshlrev_b32_e32 v157, 2, v166
	;; [unrolled: 1-line block ×3, first 2 shown]
	v_add3_u32 v41, v212, v211, v226
	ds_write_b32 v40, v185 offset:512
	v_lshlrev_b32_e32 v40, 2, v163
	ds_write_b32 v39, v190 offset:512
	ds_write_b32 v157, v188 offset:512
	;; [unrolled: 1-line block ×3, first 2 shown]
	v_lshlrev_b32_e32 v39, 2, v42
	v_cmp_lt_u32_e32 vcc_lo, v0, v156
	v_lshlrev_b32_e32 v157, 2, v159
	ds_write_b32 v40, v200 offset:512
	v_lshlrev_b32_e32 v40, 2, v41
	ds_write_b32 v39, v204 offset:512
	v_lshlrev_b32_e32 v39, 2, v160
	v_lshlrev_b32_e32 v158, 2, v162
	ds_write_b32 v40, v207 offset:512
	ds_write_b32 v157, v210 offset:512
	ds_write_b32 v158, v213 offset:512
	ds_write_b32 v39, v3 offset:512
	s_waitcnt lgkmcnt(0)
	s_barrier
	buffer_gl0_inv
	s_and_saveexec_b32 s24, vcc_lo
	s_cbranch_execnz .LBB530_887
; %bb.815:                              ;   in Loop: Header=BB530_730 Depth=2
	s_or_b32 exec_lo, exec_lo, s24
	v_cmp_lt_u32_e64 s23, v44, v156
	s_and_saveexec_b32 s25, s23
	s_cbranch_execnz .LBB530_888
.LBB530_816:                            ;   in Loop: Header=BB530_730 Depth=2
	s_or_b32 exec_lo, exec_lo, s25
	v_cmp_lt_u32_e64 s24, v47, v156
	s_and_saveexec_b32 s26, s24
	s_cbranch_execnz .LBB530_889
.LBB530_817:                            ;   in Loop: Header=BB530_730 Depth=2
	s_or_b32 exec_lo, exec_lo, s26
	v_cmp_lt_u32_e64 s25, v48, v156
	s_and_saveexec_b32 s27, s25
	s_cbranch_execnz .LBB530_890
.LBB530_818:                            ;   in Loop: Header=BB530_730 Depth=2
	s_or_b32 exec_lo, exec_lo, s27
	v_cmp_lt_u32_e64 s26, v49, v156
	s_and_saveexec_b32 s28, s26
	s_cbranch_execnz .LBB530_891
.LBB530_819:                            ;   in Loop: Header=BB530_730 Depth=2
	s_or_b32 exec_lo, exec_lo, s28
	v_cmp_lt_u32_e64 s27, v50, v156
	s_and_saveexec_b32 s29, s27
	s_cbranch_execnz .LBB530_892
.LBB530_820:                            ;   in Loop: Header=BB530_730 Depth=2
	s_or_b32 exec_lo, exec_lo, s29
	v_cmp_lt_u32_e64 s28, v51, v156
	s_and_saveexec_b32 s30, s28
	s_cbranch_execnz .LBB530_893
.LBB530_821:                            ;   in Loop: Header=BB530_730 Depth=2
	s_or_b32 exec_lo, exec_lo, s30
	v_cmp_lt_u32_e64 s29, v52, v156
	s_and_saveexec_b32 s31, s29
	s_cbranch_execnz .LBB530_894
.LBB530_822:                            ;   in Loop: Header=BB530_730 Depth=2
	s_or_b32 exec_lo, exec_lo, s31
	v_cmp_lt_u32_e64 s30, v53, v156
	s_and_saveexec_b32 s33, s30
	s_cbranch_execnz .LBB530_895
.LBB530_823:                            ;   in Loop: Header=BB530_730 Depth=2
	s_or_b32 exec_lo, exec_lo, s33
	v_cmp_lt_u32_e64 s31, v54, v156
	s_and_saveexec_b32 s34, s31
	s_cbranch_execnz .LBB530_896
.LBB530_824:                            ;   in Loop: Header=BB530_730 Depth=2
	s_or_b32 exec_lo, exec_lo, s34
	v_cmp_lt_u32_e64 s33, v55, v156
	s_and_saveexec_b32 s35, s33
	s_cbranch_execnz .LBB530_897
.LBB530_825:                            ;   in Loop: Header=BB530_730 Depth=2
	s_or_b32 exec_lo, exec_lo, s35
	v_cmp_lt_u32_e64 s34, v56, v156
	s_and_saveexec_b32 s36, s34
	s_cbranch_execnz .LBB530_898
.LBB530_826:                            ;   in Loop: Header=BB530_730 Depth=2
	s_or_b32 exec_lo, exec_lo, s36
	v_cmp_lt_u32_e64 s35, v57, v156
	s_and_saveexec_b32 s37, s35
	s_cbranch_execnz .LBB530_899
.LBB530_827:                            ;   in Loop: Header=BB530_730 Depth=2
	s_or_b32 exec_lo, exec_lo, s37
	v_cmp_lt_u32_e64 s36, v58, v156
	s_and_saveexec_b32 s38, s36
	s_cbranch_execnz .LBB530_900
.LBB530_828:                            ;   in Loop: Header=BB530_730 Depth=2
	s_or_b32 exec_lo, exec_lo, s38
	v_cmp_lt_u32_e64 s37, v59, v156
	s_and_saveexec_b32 s39, s37
	s_cbranch_execnz .LBB530_901
.LBB530_829:                            ;   in Loop: Header=BB530_730 Depth=2
	s_or_b32 exec_lo, exec_lo, s39
	v_cmp_lt_u32_e64 s38, v60, v156
	s_and_saveexec_b32 s40, s38
	s_cbranch_execnz .LBB530_902
.LBB530_830:                            ;   in Loop: Header=BB530_730 Depth=2
	s_or_b32 exec_lo, exec_lo, s40
	v_cmp_lt_u32_e64 s39, v61, v156
	s_and_saveexec_b32 s65, s39
	s_cbranch_execz .LBB530_832
.LBB530_831:                            ;   in Loop: Header=BB530_730 Depth=2
	ds_read_b32 v157, v69 offset:16896
	s_waitcnt lgkmcnt(0)
	v_lshrrev_b32_e32 v3, s41, v157
	v_and_b32_e32 v3, s62, v3
	v_lshlrev_b32_e32 v3, 2, v3
	ds_read_b32 v3, v3
	s_waitcnt lgkmcnt(0)
	v_add_nc_u32_e32 v3, v3, v61
	v_lshlrev_b64 v[39:40], 2, v[3:4]
	v_xor_b32_e32 v3, 0x7fffffff, v157
	v_add_co_u32 v39, s40, s46, v39
	v_add_co_ci_u32_e64 v40, null, s47, v40, s40
	global_store_dword v[39:40], v3, off
.LBB530_832:                            ;   in Loop: Header=BB530_730 Depth=2
	s_or_b32 exec_lo, exec_lo, s65
	s_lshl_b64 s[66:67], s[50:51], 3
	v_add_co_u32 v39, s40, v132, s66
	v_add_co_ci_u32_e64 v40, null, s67, v133, s40
	v_cmp_lt_u32_e64 s40, v109, v156
	s_and_saveexec_b32 s50, s40
	s_xor_b32 s40, exec_lo, s50
	s_cbranch_execnz .LBB530_903
; %bb.833:                              ;   in Loop: Header=BB530_730 Depth=2
	s_or_b32 exec_lo, exec_lo, s40
	s_mov_b32 s50, exec_lo
	v_cmpx_lt_u32_e64 v112, v156
	s_cbranch_execnz .LBB530_904
.LBB530_834:                            ;   in Loop: Header=BB530_730 Depth=2
	s_or_b32 exec_lo, exec_lo, s50
	s_mov_b32 s50, exec_lo
	v_cmpx_lt_u32_e64 v113, v156
	s_cbranch_execnz .LBB530_905
.LBB530_835:                            ;   in Loop: Header=BB530_730 Depth=2
	s_or_b32 exec_lo, exec_lo, s50
	s_mov_b32 s50, exec_lo
	v_cmpx_lt_u32_e64 v114, v156
	s_cbranch_execnz .LBB530_906
.LBB530_836:                            ;   in Loop: Header=BB530_730 Depth=2
	s_or_b32 exec_lo, exec_lo, s50
	s_mov_b32 s50, exec_lo
	v_cmpx_lt_u32_e64 v115, v156
	s_cbranch_execnz .LBB530_907
.LBB530_837:                            ;   in Loop: Header=BB530_730 Depth=2
	s_or_b32 exec_lo, exec_lo, s50
	s_mov_b32 s50, exec_lo
	v_cmpx_lt_u32_e64 v116, v156
	s_cbranch_execnz .LBB530_908
.LBB530_838:                            ;   in Loop: Header=BB530_730 Depth=2
	s_or_b32 exec_lo, exec_lo, s50
	s_mov_b32 s50, exec_lo
	v_cmpx_lt_u32_e64 v117, v156
	s_cbranch_execnz .LBB530_909
.LBB530_839:                            ;   in Loop: Header=BB530_730 Depth=2
	s_or_b32 exec_lo, exec_lo, s50
	s_mov_b32 s50, exec_lo
	v_cmpx_lt_u32_e64 v118, v156
	s_cbranch_execnz .LBB530_910
.LBB530_840:                            ;   in Loop: Header=BB530_730 Depth=2
	s_or_b32 exec_lo, exec_lo, s50
	s_mov_b32 s50, exec_lo
	v_cmpx_lt_u32_e64 v119, v156
	s_cbranch_execnz .LBB530_911
.LBB530_841:                            ;   in Loop: Header=BB530_730 Depth=2
	s_or_b32 exec_lo, exec_lo, s50
	s_mov_b32 s50, exec_lo
	v_cmpx_lt_u32_e64 v120, v156
	s_cbranch_execnz .LBB530_912
.LBB530_842:                            ;   in Loop: Header=BB530_730 Depth=2
	s_or_b32 exec_lo, exec_lo, s50
	s_mov_b32 s50, exec_lo
	v_cmpx_lt_u32_e64 v121, v156
	s_cbranch_execnz .LBB530_913
.LBB530_843:                            ;   in Loop: Header=BB530_730 Depth=2
	s_or_b32 exec_lo, exec_lo, s50
	s_mov_b32 s50, exec_lo
	v_cmpx_lt_u32_e64 v122, v156
	s_cbranch_execnz .LBB530_914
.LBB530_844:                            ;   in Loop: Header=BB530_730 Depth=2
	s_or_b32 exec_lo, exec_lo, s50
	s_mov_b32 s50, exec_lo
	v_cmpx_lt_u32_e64 v123, v156
	s_cbranch_execnz .LBB530_915
.LBB530_845:                            ;   in Loop: Header=BB530_730 Depth=2
	s_or_b32 exec_lo, exec_lo, s50
	s_mov_b32 s50, exec_lo
	v_cmpx_lt_u32_e64 v124, v156
	s_cbranch_execnz .LBB530_916
.LBB530_846:                            ;   in Loop: Header=BB530_730 Depth=2
	s_or_b32 exec_lo, exec_lo, s50
	s_mov_b32 s50, exec_lo
	v_cmpx_lt_u32_e64 v126, v156
	s_cbranch_execnz .LBB530_917
.LBB530_847:                            ;   in Loop: Header=BB530_730 Depth=2
	s_or_b32 exec_lo, exec_lo, s50
	s_mov_b32 s50, exec_lo
	v_cmpx_lt_u32_e64 v127, v156
	s_cbranch_execnz .LBB530_918
.LBB530_848:                            ;   in Loop: Header=BB530_730 Depth=2
	s_or_b32 exec_lo, exec_lo, s50
	s_mov_b32 s50, exec_lo
	v_cmpx_lt_u32_e64 v128, v156
	s_cbranch_execnz .LBB530_919
.LBB530_849:                            ;   in Loop: Header=BB530_730 Depth=2
	s_or_b32 exec_lo, exec_lo, s50
	s_and_saveexec_b32 s40, vcc_lo
	s_cbranch_execnz .LBB530_920
.LBB530_850:                            ;   in Loop: Header=BB530_730 Depth=2
	s_or_b32 exec_lo, exec_lo, s40
	s_and_saveexec_b32 s40, s23
	s_cbranch_execnz .LBB530_921
.LBB530_851:                            ;   in Loop: Header=BB530_730 Depth=2
	s_or_b32 exec_lo, exec_lo, s40
	s_and_saveexec_b32 s40, s24
	s_cbranch_execnz .LBB530_922
.LBB530_852:                            ;   in Loop: Header=BB530_730 Depth=2
	s_or_b32 exec_lo, exec_lo, s40
	s_and_saveexec_b32 s40, s25
	s_cbranch_execnz .LBB530_923
.LBB530_853:                            ;   in Loop: Header=BB530_730 Depth=2
	s_or_b32 exec_lo, exec_lo, s40
	s_and_saveexec_b32 s40, s26
	s_cbranch_execnz .LBB530_924
.LBB530_854:                            ;   in Loop: Header=BB530_730 Depth=2
	s_or_b32 exec_lo, exec_lo, s40
	s_and_saveexec_b32 s40, s27
	s_cbranch_execnz .LBB530_925
.LBB530_855:                            ;   in Loop: Header=BB530_730 Depth=2
	s_or_b32 exec_lo, exec_lo, s40
	s_and_saveexec_b32 s40, s28
	s_cbranch_execnz .LBB530_926
.LBB530_856:                            ;   in Loop: Header=BB530_730 Depth=2
	s_or_b32 exec_lo, exec_lo, s40
	s_and_saveexec_b32 s40, s29
	s_cbranch_execnz .LBB530_927
.LBB530_857:                            ;   in Loop: Header=BB530_730 Depth=2
	s_or_b32 exec_lo, exec_lo, s40
	s_and_saveexec_b32 s40, s30
	s_cbranch_execnz .LBB530_928
.LBB530_858:                            ;   in Loop: Header=BB530_730 Depth=2
	s_or_b32 exec_lo, exec_lo, s40
	s_and_saveexec_b32 s40, s31
	s_cbranch_execnz .LBB530_929
.LBB530_859:                            ;   in Loop: Header=BB530_730 Depth=2
	s_or_b32 exec_lo, exec_lo, s40
	s_and_saveexec_b32 s40, s33
	s_cbranch_execnz .LBB530_930
.LBB530_860:                            ;   in Loop: Header=BB530_730 Depth=2
	s_or_b32 exec_lo, exec_lo, s40
	s_and_saveexec_b32 s40, s34
	s_cbranch_execnz .LBB530_931
.LBB530_861:                            ;   in Loop: Header=BB530_730 Depth=2
	s_or_b32 exec_lo, exec_lo, s40
	s_and_saveexec_b32 s40, s35
	s_cbranch_execnz .LBB530_932
.LBB530_862:                            ;   in Loop: Header=BB530_730 Depth=2
	s_or_b32 exec_lo, exec_lo, s40
	s_and_saveexec_b32 s40, s36
	s_cbranch_execnz .LBB530_933
.LBB530_863:                            ;   in Loop: Header=BB530_730 Depth=2
	s_or_b32 exec_lo, exec_lo, s40
	s_and_saveexec_b32 s40, s37
	s_cbranch_execnz .LBB530_934
.LBB530_864:                            ;   in Loop: Header=BB530_730 Depth=2
	s_or_b32 exec_lo, exec_lo, s40
	s_and_saveexec_b32 s40, s38
	s_cbranch_execnz .LBB530_935
.LBB530_865:                            ;   in Loop: Header=BB530_730 Depth=2
	s_or_b32 exec_lo, exec_lo, s40
	s_and_saveexec_b32 s40, s39
	s_cbranch_execz .LBB530_867
.LBB530_866:                            ;   in Loop: Header=BB530_730 Depth=2
	ds_read_b32 v3, v69 offset:16896
	s_waitcnt lgkmcnt(0)
	v_lshrrev_b32_e32 v3, s41, v3
	v_and_b32_e32 v137, s62, v3
.LBB530_867:                            ;   in Loop: Header=BB530_730 Depth=2
	s_or_b32 exec_lo, exec_lo, s40
	v_lshlrev_b32_e32 v3, 3, v179
	v_lshlrev_b32_e32 v39, 3, v178
	s_waitcnt vmcnt(0)
	s_waitcnt_vscnt null, 0x0
	s_barrier
	buffer_gl0_inv
	ds_write_b64 v3, v[37:38] offset:512
	ds_write_b64 v39, v[35:36] offset:512
	v_lshlrev_b32_e32 v3, 3, v174
	v_lshlrev_b32_e32 v39, 3, v173
	v_lshlrev_b32_e32 v40, 3, v172
	v_lshlrev_b32_e32 v156, 3, v171
	v_lshlrev_b32_e32 v157, 3, v169
	ds_write_b64 v3, v[33:34] offset:512
	ds_write_b64 v39, v[31:32] offset:512
	ds_write_b64 v40, v[29:30] offset:512
	ds_write_b64 v156, v[25:26] offset:512
	ds_write_b64 v157, v[21:22] offset:512
	v_lshlrev_b32_e32 v3, 3, v168
	v_lshlrev_b32_e32 v39, 3, v167
	v_lshlrev_b32_e32 v40, 3, v166
	v_lshlrev_b32_e32 v156, 3, v164
	v_lshlrev_b32_e32 v157, 3, v163
	ds_write_b64 v3, v[17:18] offset:512
	ds_write_b64 v39, v[27:28] offset:512
	ds_write_b64 v40, v[23:24] offset:512
	;; [unrolled: 10-line block ×3, first 2 shown]
	ds_write_b64 v41, v[7:8] offset:512
	ds_write_b64 v42, v[5:6] offset:512
	s_waitcnt lgkmcnt(0)
	s_barrier
	buffer_gl0_inv
	s_and_saveexec_b32 s40, vcc_lo
	s_cbranch_execnz .LBB530_936
; %bb.868:                              ;   in Loop: Header=BB530_730 Depth=2
	s_or_b32 exec_lo, exec_lo, s40
	s_and_saveexec_b32 s40, s23
	s_cbranch_execnz .LBB530_937
.LBB530_869:                            ;   in Loop: Header=BB530_730 Depth=2
	s_or_b32 exec_lo, exec_lo, s40
	s_and_saveexec_b32 s23, s24
	s_cbranch_execnz .LBB530_938
.LBB530_870:                            ;   in Loop: Header=BB530_730 Depth=2
	s_or_b32 exec_lo, exec_lo, s23
	s_and_saveexec_b32 s23, s25
	s_cbranch_execnz .LBB530_939
.LBB530_871:                            ;   in Loop: Header=BB530_730 Depth=2
	s_or_b32 exec_lo, exec_lo, s23
	s_and_saveexec_b32 s23, s26
	s_cbranch_execnz .LBB530_940
.LBB530_872:                            ;   in Loop: Header=BB530_730 Depth=2
	s_or_b32 exec_lo, exec_lo, s23
	s_and_saveexec_b32 s23, s27
	s_cbranch_execnz .LBB530_941
.LBB530_873:                            ;   in Loop: Header=BB530_730 Depth=2
	s_or_b32 exec_lo, exec_lo, s23
	s_and_saveexec_b32 s23, s28
	s_cbranch_execnz .LBB530_942
.LBB530_874:                            ;   in Loop: Header=BB530_730 Depth=2
	s_or_b32 exec_lo, exec_lo, s23
	s_and_saveexec_b32 s23, s29
	s_cbranch_execnz .LBB530_943
.LBB530_875:                            ;   in Loop: Header=BB530_730 Depth=2
	s_or_b32 exec_lo, exec_lo, s23
	s_and_saveexec_b32 s23, s30
	s_cbranch_execnz .LBB530_944
.LBB530_876:                            ;   in Loop: Header=BB530_730 Depth=2
	s_or_b32 exec_lo, exec_lo, s23
	s_and_saveexec_b32 s23, s31
	s_cbranch_execnz .LBB530_945
.LBB530_877:                            ;   in Loop: Header=BB530_730 Depth=2
	s_or_b32 exec_lo, exec_lo, s23
	s_and_saveexec_b32 s23, s33
	s_cbranch_execnz .LBB530_946
.LBB530_878:                            ;   in Loop: Header=BB530_730 Depth=2
	s_or_b32 exec_lo, exec_lo, s23
	s_and_saveexec_b32 s23, s34
	s_cbranch_execnz .LBB530_947
.LBB530_879:                            ;   in Loop: Header=BB530_730 Depth=2
	s_or_b32 exec_lo, exec_lo, s23
	s_and_saveexec_b32 s23, s35
	s_cbranch_execnz .LBB530_948
.LBB530_880:                            ;   in Loop: Header=BB530_730 Depth=2
	s_or_b32 exec_lo, exec_lo, s23
	s_and_saveexec_b32 s23, s36
	s_cbranch_execnz .LBB530_949
.LBB530_881:                            ;   in Loop: Header=BB530_730 Depth=2
	s_or_b32 exec_lo, exec_lo, s23
	s_and_saveexec_b32 s23, s37
	s_cbranch_execnz .LBB530_950
.LBB530_882:                            ;   in Loop: Header=BB530_730 Depth=2
	s_or_b32 exec_lo, exec_lo, s23
	s_and_saveexec_b32 s23, s38
	s_cbranch_execnz .LBB530_951
.LBB530_883:                            ;   in Loop: Header=BB530_730 Depth=2
	s_or_b32 exec_lo, exec_lo, s23
	s_and_saveexec_b32 s23, s39
	s_cbranch_execz .LBB530_885
.LBB530_884:                            ;   in Loop: Header=BB530_730 Depth=2
	v_lshlrev_b32_e32 v3, 2, v137
	v_add_nc_u32_e32 v39, v69, v43
	ds_read_b32 v3, v3
	ds_read_b64 v[39:40], v39 offset:33280
	s_waitcnt lgkmcnt(1)
	v_add_nc_u32_e32 v3, v3, v61
	v_lshlrev_b64 v[41:42], 3, v[3:4]
	v_add_co_u32 v41, vcc_lo, s52, v41
	v_add_co_ci_u32_e64 v42, null, s53, v42, vcc_lo
	s_waitcnt lgkmcnt(0)
	global_store_dwordx2 v[41:42], v[39:40], off
.LBB530_885:                            ;   in Loop: Header=BB530_730 Depth=2
	s_or_b32 exec_lo, exec_lo, s23
	s_waitcnt_vscnt null, 0x0
	s_barrier
	buffer_gl0_inv
	s_and_saveexec_b32 s23, s8
	s_cbranch_execz .LBB530_729
; %bb.886:                              ;   in Loop: Header=BB530_730 Depth=2
	ds_read_b32 v3, v43
	s_waitcnt lgkmcnt(0)
	v_add3_u32 v3, v152, v155, v3
	ds_write_b32 v43, v3
	s_branch .LBB530_729
.LBB530_887:                            ;   in Loop: Header=BB530_730 Depth=2
	ds_read_b32 v157, v69 offset:512
	s_waitcnt lgkmcnt(0)
	v_lshrrev_b32_e32 v3, s41, v157
	v_and_b32_e32 v3, s62, v3
	v_lshlrev_b32_e32 v3, 2, v3
	ds_read_b32 v3, v3
	s_waitcnt lgkmcnt(0)
	v_add_nc_u32_e32 v3, v3, v0
	v_lshlrev_b64 v[39:40], 2, v[3:4]
	v_xor_b32_e32 v3, 0x7fffffff, v157
	v_add_co_u32 v39, s23, s46, v39
	v_add_co_ci_u32_e64 v40, null, s47, v40, s23
	global_store_dword v[39:40], v3, off
	s_or_b32 exec_lo, exec_lo, s24
	v_cmp_lt_u32_e64 s23, v44, v156
	s_and_saveexec_b32 s25, s23
	s_cbranch_execz .LBB530_816
.LBB530_888:                            ;   in Loop: Header=BB530_730 Depth=2
	ds_read_b32 v157, v69 offset:1536
	s_waitcnt lgkmcnt(0)
	v_lshrrev_b32_e32 v3, s41, v157
	v_and_b32_e32 v3, s62, v3
	v_lshlrev_b32_e32 v3, 2, v3
	ds_read_b32 v3, v3
	s_waitcnt lgkmcnt(0)
	v_add_nc_u32_e32 v3, v3, v44
	v_lshlrev_b64 v[39:40], 2, v[3:4]
	v_xor_b32_e32 v3, 0x7fffffff, v157
	v_add_co_u32 v39, s24, s46, v39
	v_add_co_ci_u32_e64 v40, null, s47, v40, s24
	global_store_dword v[39:40], v3, off
	s_or_b32 exec_lo, exec_lo, s25
	v_cmp_lt_u32_e64 s24, v47, v156
	s_and_saveexec_b32 s26, s24
	s_cbranch_execz .LBB530_817
.LBB530_889:                            ;   in Loop: Header=BB530_730 Depth=2
	ds_read_b32 v157, v69 offset:2560
	s_waitcnt lgkmcnt(0)
	v_lshrrev_b32_e32 v3, s41, v157
	v_and_b32_e32 v3, s62, v3
	v_lshlrev_b32_e32 v3, 2, v3
	ds_read_b32 v3, v3
	s_waitcnt lgkmcnt(0)
	v_add_nc_u32_e32 v3, v3, v47
	v_lshlrev_b64 v[39:40], 2, v[3:4]
	v_xor_b32_e32 v3, 0x7fffffff, v157
	v_add_co_u32 v39, s25, s46, v39
	v_add_co_ci_u32_e64 v40, null, s47, v40, s25
	global_store_dword v[39:40], v3, off
	s_or_b32 exec_lo, exec_lo, s26
	v_cmp_lt_u32_e64 s25, v48, v156
	s_and_saveexec_b32 s27, s25
	s_cbranch_execz .LBB530_818
.LBB530_890:                            ;   in Loop: Header=BB530_730 Depth=2
	ds_read_b32 v157, v69 offset:3584
	s_waitcnt lgkmcnt(0)
	v_lshrrev_b32_e32 v3, s41, v157
	v_and_b32_e32 v3, s62, v3
	v_lshlrev_b32_e32 v3, 2, v3
	ds_read_b32 v3, v3
	s_waitcnt lgkmcnt(0)
	v_add_nc_u32_e32 v3, v3, v48
	v_lshlrev_b64 v[39:40], 2, v[3:4]
	v_xor_b32_e32 v3, 0x7fffffff, v157
	v_add_co_u32 v39, s26, s46, v39
	v_add_co_ci_u32_e64 v40, null, s47, v40, s26
	global_store_dword v[39:40], v3, off
	s_or_b32 exec_lo, exec_lo, s27
	v_cmp_lt_u32_e64 s26, v49, v156
	s_and_saveexec_b32 s28, s26
	s_cbranch_execz .LBB530_819
.LBB530_891:                            ;   in Loop: Header=BB530_730 Depth=2
	ds_read_b32 v157, v69 offset:4608
	s_waitcnt lgkmcnt(0)
	v_lshrrev_b32_e32 v3, s41, v157
	v_and_b32_e32 v3, s62, v3
	v_lshlrev_b32_e32 v3, 2, v3
	ds_read_b32 v3, v3
	s_waitcnt lgkmcnt(0)
	v_add_nc_u32_e32 v3, v3, v49
	v_lshlrev_b64 v[39:40], 2, v[3:4]
	v_xor_b32_e32 v3, 0x7fffffff, v157
	v_add_co_u32 v39, s27, s46, v39
	v_add_co_ci_u32_e64 v40, null, s47, v40, s27
	global_store_dword v[39:40], v3, off
	s_or_b32 exec_lo, exec_lo, s28
	v_cmp_lt_u32_e64 s27, v50, v156
	s_and_saveexec_b32 s29, s27
	s_cbranch_execz .LBB530_820
.LBB530_892:                            ;   in Loop: Header=BB530_730 Depth=2
	ds_read_b32 v157, v69 offset:5632
	s_waitcnt lgkmcnt(0)
	v_lshrrev_b32_e32 v3, s41, v157
	v_and_b32_e32 v3, s62, v3
	v_lshlrev_b32_e32 v3, 2, v3
	ds_read_b32 v3, v3
	s_waitcnt lgkmcnt(0)
	v_add_nc_u32_e32 v3, v3, v50
	v_lshlrev_b64 v[39:40], 2, v[3:4]
	v_xor_b32_e32 v3, 0x7fffffff, v157
	v_add_co_u32 v39, s28, s46, v39
	v_add_co_ci_u32_e64 v40, null, s47, v40, s28
	global_store_dword v[39:40], v3, off
	s_or_b32 exec_lo, exec_lo, s29
	v_cmp_lt_u32_e64 s28, v51, v156
	s_and_saveexec_b32 s30, s28
	s_cbranch_execz .LBB530_821
.LBB530_893:                            ;   in Loop: Header=BB530_730 Depth=2
	ds_read_b32 v157, v69 offset:6656
	s_waitcnt lgkmcnt(0)
	v_lshrrev_b32_e32 v3, s41, v157
	v_and_b32_e32 v3, s62, v3
	v_lshlrev_b32_e32 v3, 2, v3
	ds_read_b32 v3, v3
	s_waitcnt lgkmcnt(0)
	v_add_nc_u32_e32 v3, v3, v51
	v_lshlrev_b64 v[39:40], 2, v[3:4]
	v_xor_b32_e32 v3, 0x7fffffff, v157
	v_add_co_u32 v39, s29, s46, v39
	v_add_co_ci_u32_e64 v40, null, s47, v40, s29
	global_store_dword v[39:40], v3, off
	s_or_b32 exec_lo, exec_lo, s30
	v_cmp_lt_u32_e64 s29, v52, v156
	s_and_saveexec_b32 s31, s29
	s_cbranch_execz .LBB530_822
.LBB530_894:                            ;   in Loop: Header=BB530_730 Depth=2
	ds_read_b32 v157, v69 offset:7680
	s_waitcnt lgkmcnt(0)
	v_lshrrev_b32_e32 v3, s41, v157
	v_and_b32_e32 v3, s62, v3
	v_lshlrev_b32_e32 v3, 2, v3
	ds_read_b32 v3, v3
	s_waitcnt lgkmcnt(0)
	v_add_nc_u32_e32 v3, v3, v52
	v_lshlrev_b64 v[39:40], 2, v[3:4]
	v_xor_b32_e32 v3, 0x7fffffff, v157
	v_add_co_u32 v39, s30, s46, v39
	v_add_co_ci_u32_e64 v40, null, s47, v40, s30
	global_store_dword v[39:40], v3, off
	s_or_b32 exec_lo, exec_lo, s31
	v_cmp_lt_u32_e64 s30, v53, v156
	s_and_saveexec_b32 s33, s30
	s_cbranch_execz .LBB530_823
.LBB530_895:                            ;   in Loop: Header=BB530_730 Depth=2
	ds_read_b32 v157, v69 offset:8704
	s_waitcnt lgkmcnt(0)
	v_lshrrev_b32_e32 v3, s41, v157
	v_and_b32_e32 v3, s62, v3
	v_lshlrev_b32_e32 v3, 2, v3
	ds_read_b32 v3, v3
	s_waitcnt lgkmcnt(0)
	v_add_nc_u32_e32 v3, v3, v53
	v_lshlrev_b64 v[39:40], 2, v[3:4]
	v_xor_b32_e32 v3, 0x7fffffff, v157
	v_add_co_u32 v39, s31, s46, v39
	v_add_co_ci_u32_e64 v40, null, s47, v40, s31
	global_store_dword v[39:40], v3, off
	s_or_b32 exec_lo, exec_lo, s33
	v_cmp_lt_u32_e64 s31, v54, v156
	s_and_saveexec_b32 s34, s31
	s_cbranch_execz .LBB530_824
.LBB530_896:                            ;   in Loop: Header=BB530_730 Depth=2
	ds_read_b32 v157, v69 offset:9728
	s_waitcnt lgkmcnt(0)
	v_lshrrev_b32_e32 v3, s41, v157
	v_and_b32_e32 v3, s62, v3
	v_lshlrev_b32_e32 v3, 2, v3
	ds_read_b32 v3, v3
	s_waitcnt lgkmcnt(0)
	v_add_nc_u32_e32 v3, v3, v54
	v_lshlrev_b64 v[39:40], 2, v[3:4]
	v_xor_b32_e32 v3, 0x7fffffff, v157
	v_add_co_u32 v39, s33, s46, v39
	v_add_co_ci_u32_e64 v40, null, s47, v40, s33
	global_store_dword v[39:40], v3, off
	s_or_b32 exec_lo, exec_lo, s34
	v_cmp_lt_u32_e64 s33, v55, v156
	s_and_saveexec_b32 s35, s33
	s_cbranch_execz .LBB530_825
.LBB530_897:                            ;   in Loop: Header=BB530_730 Depth=2
	ds_read_b32 v157, v69 offset:10752
	s_waitcnt lgkmcnt(0)
	v_lshrrev_b32_e32 v3, s41, v157
	v_and_b32_e32 v3, s62, v3
	v_lshlrev_b32_e32 v3, 2, v3
	ds_read_b32 v3, v3
	s_waitcnt lgkmcnt(0)
	v_add_nc_u32_e32 v3, v3, v55
	v_lshlrev_b64 v[39:40], 2, v[3:4]
	v_xor_b32_e32 v3, 0x7fffffff, v157
	v_add_co_u32 v39, s34, s46, v39
	v_add_co_ci_u32_e64 v40, null, s47, v40, s34
	global_store_dword v[39:40], v3, off
	s_or_b32 exec_lo, exec_lo, s35
	v_cmp_lt_u32_e64 s34, v56, v156
	s_and_saveexec_b32 s36, s34
	s_cbranch_execz .LBB530_826
.LBB530_898:                            ;   in Loop: Header=BB530_730 Depth=2
	ds_read_b32 v157, v69 offset:11776
	s_waitcnt lgkmcnt(0)
	v_lshrrev_b32_e32 v3, s41, v157
	v_and_b32_e32 v3, s62, v3
	v_lshlrev_b32_e32 v3, 2, v3
	ds_read_b32 v3, v3
	s_waitcnt lgkmcnt(0)
	v_add_nc_u32_e32 v3, v3, v56
	v_lshlrev_b64 v[39:40], 2, v[3:4]
	v_xor_b32_e32 v3, 0x7fffffff, v157
	v_add_co_u32 v39, s35, s46, v39
	v_add_co_ci_u32_e64 v40, null, s47, v40, s35
	global_store_dword v[39:40], v3, off
	s_or_b32 exec_lo, exec_lo, s36
	v_cmp_lt_u32_e64 s35, v57, v156
	s_and_saveexec_b32 s37, s35
	s_cbranch_execz .LBB530_827
.LBB530_899:                            ;   in Loop: Header=BB530_730 Depth=2
	ds_read_b32 v157, v69 offset:12800
	s_waitcnt lgkmcnt(0)
	v_lshrrev_b32_e32 v3, s41, v157
	v_and_b32_e32 v3, s62, v3
	v_lshlrev_b32_e32 v3, 2, v3
	ds_read_b32 v3, v3
	s_waitcnt lgkmcnt(0)
	v_add_nc_u32_e32 v3, v3, v57
	v_lshlrev_b64 v[39:40], 2, v[3:4]
	v_xor_b32_e32 v3, 0x7fffffff, v157
	v_add_co_u32 v39, s36, s46, v39
	v_add_co_ci_u32_e64 v40, null, s47, v40, s36
	global_store_dword v[39:40], v3, off
	s_or_b32 exec_lo, exec_lo, s37
	v_cmp_lt_u32_e64 s36, v58, v156
	s_and_saveexec_b32 s38, s36
	s_cbranch_execz .LBB530_828
.LBB530_900:                            ;   in Loop: Header=BB530_730 Depth=2
	ds_read_b32 v157, v69 offset:13824
	s_waitcnt lgkmcnt(0)
	v_lshrrev_b32_e32 v3, s41, v157
	v_and_b32_e32 v3, s62, v3
	v_lshlrev_b32_e32 v3, 2, v3
	ds_read_b32 v3, v3
	s_waitcnt lgkmcnt(0)
	v_add_nc_u32_e32 v3, v3, v58
	v_lshlrev_b64 v[39:40], 2, v[3:4]
	v_xor_b32_e32 v3, 0x7fffffff, v157
	v_add_co_u32 v39, s37, s46, v39
	v_add_co_ci_u32_e64 v40, null, s47, v40, s37
	global_store_dword v[39:40], v3, off
	s_or_b32 exec_lo, exec_lo, s38
	v_cmp_lt_u32_e64 s37, v59, v156
	s_and_saveexec_b32 s39, s37
	s_cbranch_execz .LBB530_829
.LBB530_901:                            ;   in Loop: Header=BB530_730 Depth=2
	ds_read_b32 v157, v69 offset:14848
	s_waitcnt lgkmcnt(0)
	v_lshrrev_b32_e32 v3, s41, v157
	v_and_b32_e32 v3, s62, v3
	v_lshlrev_b32_e32 v3, 2, v3
	ds_read_b32 v3, v3
	s_waitcnt lgkmcnt(0)
	v_add_nc_u32_e32 v3, v3, v59
	v_lshlrev_b64 v[39:40], 2, v[3:4]
	v_xor_b32_e32 v3, 0x7fffffff, v157
	v_add_co_u32 v39, s38, s46, v39
	v_add_co_ci_u32_e64 v40, null, s47, v40, s38
	global_store_dword v[39:40], v3, off
	s_or_b32 exec_lo, exec_lo, s39
	v_cmp_lt_u32_e64 s38, v60, v156
	s_and_saveexec_b32 s40, s38
	s_cbranch_execz .LBB530_830
.LBB530_902:                            ;   in Loop: Header=BB530_730 Depth=2
	ds_read_b32 v157, v69 offset:15872
	s_waitcnt lgkmcnt(0)
	v_lshrrev_b32_e32 v3, s41, v157
	v_and_b32_e32 v3, s62, v3
	v_lshlrev_b32_e32 v3, 2, v3
	ds_read_b32 v3, v3
	s_waitcnt lgkmcnt(0)
	v_add_nc_u32_e32 v3, v3, v60
	v_lshlrev_b64 v[39:40], 2, v[3:4]
	v_xor_b32_e32 v3, 0x7fffffff, v157
	v_add_co_u32 v39, s39, s46, v39
	v_add_co_ci_u32_e64 v40, null, s47, v40, s39
	global_store_dword v[39:40], v3, off
	s_or_b32 exec_lo, exec_lo, s40
	v_cmp_lt_u32_e64 s39, v61, v156
	s_and_saveexec_b32 s65, s39
	s_cbranch_execnz .LBB530_831
	s_branch .LBB530_832
.LBB530_903:                            ;   in Loop: Header=BB530_730 Depth=2
	global_load_dwordx2 v[37:38], v[39:40], off
	s_or_b32 exec_lo, exec_lo, s40
	s_mov_b32 s50, exec_lo
	v_cmpx_lt_u32_e64 v112, v156
	s_cbranch_execz .LBB530_834
.LBB530_904:                            ;   in Loop: Header=BB530_730 Depth=2
	global_load_dwordx2 v[35:36], v[39:40], off offset:256
	s_or_b32 exec_lo, exec_lo, s50
	s_mov_b32 s50, exec_lo
	v_cmpx_lt_u32_e64 v113, v156
	s_cbranch_execz .LBB530_835
.LBB530_905:                            ;   in Loop: Header=BB530_730 Depth=2
	global_load_dwordx2 v[33:34], v[39:40], off offset:512
	s_or_b32 exec_lo, exec_lo, s50
	s_mov_b32 s50, exec_lo
	v_cmpx_lt_u32_e64 v114, v156
	s_cbranch_execz .LBB530_836
.LBB530_906:                            ;   in Loop: Header=BB530_730 Depth=2
	global_load_dwordx2 v[31:32], v[39:40], off offset:768
	s_or_b32 exec_lo, exec_lo, s50
	s_mov_b32 s50, exec_lo
	v_cmpx_lt_u32_e64 v115, v156
	s_cbranch_execz .LBB530_837
.LBB530_907:                            ;   in Loop: Header=BB530_730 Depth=2
	global_load_dwordx2 v[29:30], v[39:40], off offset:1024
	s_or_b32 exec_lo, exec_lo, s50
	s_mov_b32 s50, exec_lo
	v_cmpx_lt_u32_e64 v116, v156
	s_cbranch_execz .LBB530_838
.LBB530_908:                            ;   in Loop: Header=BB530_730 Depth=2
	global_load_dwordx2 v[25:26], v[39:40], off offset:1280
	s_or_b32 exec_lo, exec_lo, s50
	s_mov_b32 s50, exec_lo
	v_cmpx_lt_u32_e64 v117, v156
	s_cbranch_execz .LBB530_839
.LBB530_909:                            ;   in Loop: Header=BB530_730 Depth=2
	global_load_dwordx2 v[21:22], v[39:40], off offset:1536
	s_or_b32 exec_lo, exec_lo, s50
	s_mov_b32 s50, exec_lo
	v_cmpx_lt_u32_e64 v118, v156
	s_cbranch_execz .LBB530_840
.LBB530_910:                            ;   in Loop: Header=BB530_730 Depth=2
	global_load_dwordx2 v[17:18], v[39:40], off offset:1792
	s_or_b32 exec_lo, exec_lo, s50
	s_mov_b32 s50, exec_lo
	v_cmpx_lt_u32_e64 v119, v156
	s_cbranch_execz .LBB530_841
.LBB530_911:                            ;   in Loop: Header=BB530_730 Depth=2
	v_add_co_u32 v27, s40, 0x800, v39
	v_add_co_ci_u32_e64 v28, null, 0, v40, s40
	global_load_dwordx2 v[27:28], v[27:28], off
	s_or_b32 exec_lo, exec_lo, s50
	s_mov_b32 s50, exec_lo
	v_cmpx_lt_u32_e64 v120, v156
	s_cbranch_execz .LBB530_842
.LBB530_912:                            ;   in Loop: Header=BB530_730 Depth=2
	v_add_co_u32 v23, s40, 0x800, v39
	v_add_co_ci_u32_e64 v24, null, 0, v40, s40
	global_load_dwordx2 v[23:24], v[23:24], off offset:256
	s_or_b32 exec_lo, exec_lo, s50
	s_mov_b32 s50, exec_lo
	v_cmpx_lt_u32_e64 v121, v156
	s_cbranch_execz .LBB530_843
.LBB530_913:                            ;   in Loop: Header=BB530_730 Depth=2
	v_add_co_u32 v19, s40, 0x800, v39
	v_add_co_ci_u32_e64 v20, null, 0, v40, s40
	global_load_dwordx2 v[19:20], v[19:20], off offset:512
	s_or_b32 exec_lo, exec_lo, s50
	s_mov_b32 s50, exec_lo
	v_cmpx_lt_u32_e64 v122, v156
	s_cbranch_execz .LBB530_844
.LBB530_914:                            ;   in Loop: Header=BB530_730 Depth=2
	v_add_co_u32 v15, s40, 0x800, v39
	v_add_co_ci_u32_e64 v16, null, 0, v40, s40
	global_load_dwordx2 v[15:16], v[15:16], off offset:768
	s_or_b32 exec_lo, exec_lo, s50
	s_mov_b32 s50, exec_lo
	v_cmpx_lt_u32_e64 v123, v156
	s_cbranch_execz .LBB530_845
.LBB530_915:                            ;   in Loop: Header=BB530_730 Depth=2
	v_add_co_u32 v13, s40, 0x800, v39
	v_add_co_ci_u32_e64 v14, null, 0, v40, s40
	global_load_dwordx2 v[13:14], v[13:14], off offset:1024
	s_or_b32 exec_lo, exec_lo, s50
	s_mov_b32 s50, exec_lo
	v_cmpx_lt_u32_e64 v124, v156
	s_cbranch_execz .LBB530_846
.LBB530_916:                            ;   in Loop: Header=BB530_730 Depth=2
	v_add_co_u32 v11, s40, 0x800, v39
	v_add_co_ci_u32_e64 v12, null, 0, v40, s40
	global_load_dwordx2 v[11:12], v[11:12], off offset:1280
	s_or_b32 exec_lo, exec_lo, s50
	s_mov_b32 s50, exec_lo
	v_cmpx_lt_u32_e64 v126, v156
	s_cbranch_execz .LBB530_847
.LBB530_917:                            ;   in Loop: Header=BB530_730 Depth=2
	v_add_co_u32 v9, s40, 0x800, v39
	v_add_co_ci_u32_e64 v10, null, 0, v40, s40
	global_load_dwordx2 v[9:10], v[9:10], off offset:1536
	s_or_b32 exec_lo, exec_lo, s50
	s_mov_b32 s50, exec_lo
	v_cmpx_lt_u32_e64 v127, v156
	s_cbranch_execz .LBB530_848
.LBB530_918:                            ;   in Loop: Header=BB530_730 Depth=2
	v_add_co_u32 v7, s40, 0x800, v39
	v_add_co_ci_u32_e64 v8, null, 0, v40, s40
	global_load_dwordx2 v[7:8], v[7:8], off offset:1792
	s_or_b32 exec_lo, exec_lo, s50
	s_mov_b32 s50, exec_lo
	v_cmpx_lt_u32_e64 v128, v156
	s_cbranch_execz .LBB530_849
.LBB530_919:                            ;   in Loop: Header=BB530_730 Depth=2
	v_add_co_u32 v5, s40, 0x1000, v39
	v_add_co_ci_u32_e64 v6, null, 0, v40, s40
	global_load_dwordx2 v[5:6], v[5:6], off
	s_or_b32 exec_lo, exec_lo, s50
	s_and_saveexec_b32 s40, vcc_lo
	s_cbranch_execz .LBB530_850
.LBB530_920:                            ;   in Loop: Header=BB530_730 Depth=2
	ds_read_b32 v3, v69 offset:512
	s_waitcnt lgkmcnt(0)
	v_lshrrev_b32_e32 v3, s41, v3
	v_and_b32_e32 v154, s62, v3
	s_or_b32 exec_lo, exec_lo, s40
	s_and_saveexec_b32 s40, s23
	s_cbranch_execz .LBB530_851
.LBB530_921:                            ;   in Loop: Header=BB530_730 Depth=2
	ds_read_b32 v3, v69 offset:1536
	s_waitcnt lgkmcnt(0)
	v_lshrrev_b32_e32 v3, s41, v3
	v_and_b32_e32 v153, s62, v3
	s_or_b32 exec_lo, exec_lo, s40
	s_and_saveexec_b32 s40, s24
	s_cbranch_execz .LBB530_852
.LBB530_922:                            ;   in Loop: Header=BB530_730 Depth=2
	ds_read_b32 v3, v69 offset:2560
	s_waitcnt lgkmcnt(0)
	v_lshrrev_b32_e32 v3, s41, v3
	v_and_b32_e32 v151, s62, v3
	s_or_b32 exec_lo, exec_lo, s40
	s_and_saveexec_b32 s40, s25
	s_cbranch_execz .LBB530_853
.LBB530_923:                            ;   in Loop: Header=BB530_730 Depth=2
	ds_read_b32 v3, v69 offset:3584
	s_waitcnt lgkmcnt(0)
	v_lshrrev_b32_e32 v3, s41, v3
	v_and_b32_e32 v150, s62, v3
	s_or_b32 exec_lo, exec_lo, s40
	s_and_saveexec_b32 s40, s26
	s_cbranch_execz .LBB530_854
.LBB530_924:                            ;   in Loop: Header=BB530_730 Depth=2
	ds_read_b32 v3, v69 offset:4608
	s_waitcnt lgkmcnt(0)
	v_lshrrev_b32_e32 v3, s41, v3
	v_and_b32_e32 v149, s62, v3
	s_or_b32 exec_lo, exec_lo, s40
	s_and_saveexec_b32 s40, s27
	s_cbranch_execz .LBB530_855
.LBB530_925:                            ;   in Loop: Header=BB530_730 Depth=2
	ds_read_b32 v3, v69 offset:5632
	s_waitcnt lgkmcnt(0)
	v_lshrrev_b32_e32 v3, s41, v3
	v_and_b32_e32 v148, s62, v3
	s_or_b32 exec_lo, exec_lo, s40
	s_and_saveexec_b32 s40, s28
	s_cbranch_execz .LBB530_856
.LBB530_926:                            ;   in Loop: Header=BB530_730 Depth=2
	ds_read_b32 v3, v69 offset:6656
	s_waitcnt lgkmcnt(0)
	v_lshrrev_b32_e32 v3, s41, v3
	v_and_b32_e32 v147, s62, v3
	s_or_b32 exec_lo, exec_lo, s40
	s_and_saveexec_b32 s40, s29
	s_cbranch_execz .LBB530_857
.LBB530_927:                            ;   in Loop: Header=BB530_730 Depth=2
	ds_read_b32 v3, v69 offset:7680
	s_waitcnt lgkmcnt(0)
	v_lshrrev_b32_e32 v3, s41, v3
	v_and_b32_e32 v146, s62, v3
	s_or_b32 exec_lo, exec_lo, s40
	s_and_saveexec_b32 s40, s30
	s_cbranch_execz .LBB530_858
.LBB530_928:                            ;   in Loop: Header=BB530_730 Depth=2
	ds_read_b32 v3, v69 offset:8704
	s_waitcnt lgkmcnt(0)
	v_lshrrev_b32_e32 v3, s41, v3
	v_and_b32_e32 v145, s62, v3
	s_or_b32 exec_lo, exec_lo, s40
	s_and_saveexec_b32 s40, s31
	s_cbranch_execz .LBB530_859
.LBB530_929:                            ;   in Loop: Header=BB530_730 Depth=2
	ds_read_b32 v3, v69 offset:9728
	s_waitcnt lgkmcnt(0)
	v_lshrrev_b32_e32 v3, s41, v3
	v_and_b32_e32 v144, s62, v3
	s_or_b32 exec_lo, exec_lo, s40
	s_and_saveexec_b32 s40, s33
	s_cbranch_execz .LBB530_860
.LBB530_930:                            ;   in Loop: Header=BB530_730 Depth=2
	ds_read_b32 v3, v69 offset:10752
	s_waitcnt lgkmcnt(0)
	v_lshrrev_b32_e32 v3, s41, v3
	v_and_b32_e32 v143, s62, v3
	s_or_b32 exec_lo, exec_lo, s40
	s_and_saveexec_b32 s40, s34
	s_cbranch_execz .LBB530_861
.LBB530_931:                            ;   in Loop: Header=BB530_730 Depth=2
	ds_read_b32 v3, v69 offset:11776
	s_waitcnt lgkmcnt(0)
	v_lshrrev_b32_e32 v3, s41, v3
	v_and_b32_e32 v142, s62, v3
	s_or_b32 exec_lo, exec_lo, s40
	s_and_saveexec_b32 s40, s35
	s_cbranch_execz .LBB530_862
.LBB530_932:                            ;   in Loop: Header=BB530_730 Depth=2
	ds_read_b32 v3, v69 offset:12800
	s_waitcnt lgkmcnt(0)
	v_lshrrev_b32_e32 v3, s41, v3
	v_and_b32_e32 v141, s62, v3
	s_or_b32 exec_lo, exec_lo, s40
	s_and_saveexec_b32 s40, s36
	s_cbranch_execz .LBB530_863
.LBB530_933:                            ;   in Loop: Header=BB530_730 Depth=2
	ds_read_b32 v3, v69 offset:13824
	s_waitcnt lgkmcnt(0)
	v_lshrrev_b32_e32 v3, s41, v3
	v_and_b32_e32 v140, s62, v3
	s_or_b32 exec_lo, exec_lo, s40
	s_and_saveexec_b32 s40, s37
	s_cbranch_execz .LBB530_864
.LBB530_934:                            ;   in Loop: Header=BB530_730 Depth=2
	ds_read_b32 v3, v69 offset:14848
	s_waitcnt lgkmcnt(0)
	v_lshrrev_b32_e32 v3, s41, v3
	v_and_b32_e32 v139, s62, v3
	s_or_b32 exec_lo, exec_lo, s40
	s_and_saveexec_b32 s40, s38
	s_cbranch_execz .LBB530_865
.LBB530_935:                            ;   in Loop: Header=BB530_730 Depth=2
	ds_read_b32 v3, v69 offset:15872
	s_waitcnt lgkmcnt(0)
	v_lshrrev_b32_e32 v3, s41, v3
	v_and_b32_e32 v138, s62, v3
	s_or_b32 exec_lo, exec_lo, s40
	s_and_saveexec_b32 s40, s39
	s_cbranch_execnz .LBB530_866
	s_branch .LBB530_867
.LBB530_936:                            ;   in Loop: Header=BB530_730 Depth=2
	v_lshlrev_b32_e32 v3, 2, v154
	v_add_nc_u32_e32 v39, v69, v43
	ds_read_b32 v3, v3
	ds_read_b64 v[39:40], v39 offset:512
	s_waitcnt lgkmcnt(1)
	v_add_nc_u32_e32 v3, v3, v0
	v_lshlrev_b64 v[41:42], 3, v[3:4]
	v_add_co_u32 v41, vcc_lo, s52, v41
	v_add_co_ci_u32_e64 v42, null, s53, v42, vcc_lo
	s_waitcnt lgkmcnt(0)
	global_store_dwordx2 v[41:42], v[39:40], off
	s_or_b32 exec_lo, exec_lo, s40
	s_and_saveexec_b32 s40, s23
	s_cbranch_execz .LBB530_869
.LBB530_937:                            ;   in Loop: Header=BB530_730 Depth=2
	v_lshlrev_b32_e32 v3, 2, v153
	v_add_nc_u32_e32 v39, v69, v43
	ds_read_b32 v3, v3
	ds_read_b64 v[39:40], v39 offset:2560
	s_waitcnt lgkmcnt(1)
	v_add_nc_u32_e32 v3, v3, v44
	v_lshlrev_b64 v[41:42], 3, v[3:4]
	v_add_co_u32 v41, vcc_lo, s52, v41
	v_add_co_ci_u32_e64 v42, null, s53, v42, vcc_lo
	s_waitcnt lgkmcnt(0)
	global_store_dwordx2 v[41:42], v[39:40], off
	s_or_b32 exec_lo, exec_lo, s40
	s_and_saveexec_b32 s23, s24
	s_cbranch_execz .LBB530_870
.LBB530_938:                            ;   in Loop: Header=BB530_730 Depth=2
	v_lshlrev_b32_e32 v3, 2, v151
	v_add_nc_u32_e32 v39, v69, v43
	ds_read_b32 v3, v3
	ds_read_b64 v[39:40], v39 offset:4608
	s_waitcnt lgkmcnt(1)
	v_add_nc_u32_e32 v3, v3, v47
	v_lshlrev_b64 v[41:42], 3, v[3:4]
	v_add_co_u32 v41, vcc_lo, s52, v41
	v_add_co_ci_u32_e64 v42, null, s53, v42, vcc_lo
	s_waitcnt lgkmcnt(0)
	global_store_dwordx2 v[41:42], v[39:40], off
	s_or_b32 exec_lo, exec_lo, s23
	s_and_saveexec_b32 s23, s25
	s_cbranch_execz .LBB530_871
.LBB530_939:                            ;   in Loop: Header=BB530_730 Depth=2
	v_lshlrev_b32_e32 v3, 2, v150
	v_add_nc_u32_e32 v39, v69, v43
	ds_read_b32 v3, v3
	ds_read_b64 v[39:40], v39 offset:6656
	s_waitcnt lgkmcnt(1)
	v_add_nc_u32_e32 v3, v3, v48
	v_lshlrev_b64 v[41:42], 3, v[3:4]
	v_add_co_u32 v41, vcc_lo, s52, v41
	v_add_co_ci_u32_e64 v42, null, s53, v42, vcc_lo
	s_waitcnt lgkmcnt(0)
	global_store_dwordx2 v[41:42], v[39:40], off
	s_or_b32 exec_lo, exec_lo, s23
	s_and_saveexec_b32 s23, s26
	s_cbranch_execz .LBB530_872
.LBB530_940:                            ;   in Loop: Header=BB530_730 Depth=2
	v_lshlrev_b32_e32 v3, 2, v149
	v_add_nc_u32_e32 v39, v69, v43
	ds_read_b32 v3, v3
	ds_read_b64 v[39:40], v39 offset:8704
	s_waitcnt lgkmcnt(1)
	v_add_nc_u32_e32 v3, v3, v49
	v_lshlrev_b64 v[41:42], 3, v[3:4]
	v_add_co_u32 v41, vcc_lo, s52, v41
	v_add_co_ci_u32_e64 v42, null, s53, v42, vcc_lo
	s_waitcnt lgkmcnt(0)
	global_store_dwordx2 v[41:42], v[39:40], off
	s_or_b32 exec_lo, exec_lo, s23
	s_and_saveexec_b32 s23, s27
	s_cbranch_execz .LBB530_873
.LBB530_941:                            ;   in Loop: Header=BB530_730 Depth=2
	v_lshlrev_b32_e32 v3, 2, v148
	v_add_nc_u32_e32 v39, v69, v43
	ds_read_b32 v3, v3
	ds_read_b64 v[39:40], v39 offset:10752
	s_waitcnt lgkmcnt(1)
	v_add_nc_u32_e32 v3, v3, v50
	v_lshlrev_b64 v[41:42], 3, v[3:4]
	v_add_co_u32 v41, vcc_lo, s52, v41
	v_add_co_ci_u32_e64 v42, null, s53, v42, vcc_lo
	s_waitcnt lgkmcnt(0)
	global_store_dwordx2 v[41:42], v[39:40], off
	s_or_b32 exec_lo, exec_lo, s23
	s_and_saveexec_b32 s23, s28
	s_cbranch_execz .LBB530_874
.LBB530_942:                            ;   in Loop: Header=BB530_730 Depth=2
	v_lshlrev_b32_e32 v3, 2, v147
	v_add_nc_u32_e32 v39, v69, v43
	ds_read_b32 v3, v3
	ds_read_b64 v[39:40], v39 offset:12800
	s_waitcnt lgkmcnt(1)
	v_add_nc_u32_e32 v3, v3, v51
	v_lshlrev_b64 v[41:42], 3, v[3:4]
	v_add_co_u32 v41, vcc_lo, s52, v41
	v_add_co_ci_u32_e64 v42, null, s53, v42, vcc_lo
	s_waitcnt lgkmcnt(0)
	global_store_dwordx2 v[41:42], v[39:40], off
	s_or_b32 exec_lo, exec_lo, s23
	s_and_saveexec_b32 s23, s29
	s_cbranch_execz .LBB530_875
.LBB530_943:                            ;   in Loop: Header=BB530_730 Depth=2
	v_lshlrev_b32_e32 v3, 2, v146
	v_add_nc_u32_e32 v39, v69, v43
	ds_read_b32 v3, v3
	ds_read_b64 v[39:40], v39 offset:14848
	s_waitcnt lgkmcnt(1)
	v_add_nc_u32_e32 v3, v3, v52
	v_lshlrev_b64 v[41:42], 3, v[3:4]
	v_add_co_u32 v41, vcc_lo, s52, v41
	v_add_co_ci_u32_e64 v42, null, s53, v42, vcc_lo
	s_waitcnt lgkmcnt(0)
	global_store_dwordx2 v[41:42], v[39:40], off
	s_or_b32 exec_lo, exec_lo, s23
	s_and_saveexec_b32 s23, s30
	s_cbranch_execz .LBB530_876
.LBB530_944:                            ;   in Loop: Header=BB530_730 Depth=2
	v_lshlrev_b32_e32 v3, 2, v145
	v_add_nc_u32_e32 v39, v69, v43
	ds_read_b32 v3, v3
	ds_read_b64 v[39:40], v39 offset:16896
	s_waitcnt lgkmcnt(1)
	v_add_nc_u32_e32 v3, v3, v53
	v_lshlrev_b64 v[41:42], 3, v[3:4]
	v_add_co_u32 v41, vcc_lo, s52, v41
	v_add_co_ci_u32_e64 v42, null, s53, v42, vcc_lo
	s_waitcnt lgkmcnt(0)
	global_store_dwordx2 v[41:42], v[39:40], off
	s_or_b32 exec_lo, exec_lo, s23
	s_and_saveexec_b32 s23, s31
	s_cbranch_execz .LBB530_877
.LBB530_945:                            ;   in Loop: Header=BB530_730 Depth=2
	v_lshlrev_b32_e32 v3, 2, v144
	v_add_nc_u32_e32 v39, v69, v43
	ds_read_b32 v3, v3
	ds_read_b64 v[39:40], v39 offset:18944
	s_waitcnt lgkmcnt(1)
	v_add_nc_u32_e32 v3, v3, v54
	v_lshlrev_b64 v[41:42], 3, v[3:4]
	v_add_co_u32 v41, vcc_lo, s52, v41
	v_add_co_ci_u32_e64 v42, null, s53, v42, vcc_lo
	s_waitcnt lgkmcnt(0)
	global_store_dwordx2 v[41:42], v[39:40], off
	s_or_b32 exec_lo, exec_lo, s23
	s_and_saveexec_b32 s23, s33
	s_cbranch_execz .LBB530_878
.LBB530_946:                            ;   in Loop: Header=BB530_730 Depth=2
	v_lshlrev_b32_e32 v3, 2, v143
	v_add_nc_u32_e32 v39, v69, v43
	ds_read_b32 v3, v3
	ds_read_b64 v[39:40], v39 offset:20992
	s_waitcnt lgkmcnt(1)
	v_add_nc_u32_e32 v3, v3, v55
	v_lshlrev_b64 v[41:42], 3, v[3:4]
	v_add_co_u32 v41, vcc_lo, s52, v41
	v_add_co_ci_u32_e64 v42, null, s53, v42, vcc_lo
	s_waitcnt lgkmcnt(0)
	global_store_dwordx2 v[41:42], v[39:40], off
	s_or_b32 exec_lo, exec_lo, s23
	s_and_saveexec_b32 s23, s34
	s_cbranch_execz .LBB530_879
.LBB530_947:                            ;   in Loop: Header=BB530_730 Depth=2
	v_lshlrev_b32_e32 v3, 2, v142
	v_add_nc_u32_e32 v39, v69, v43
	ds_read_b32 v3, v3
	ds_read_b64 v[39:40], v39 offset:23040
	s_waitcnt lgkmcnt(1)
	v_add_nc_u32_e32 v3, v3, v56
	v_lshlrev_b64 v[41:42], 3, v[3:4]
	v_add_co_u32 v41, vcc_lo, s52, v41
	v_add_co_ci_u32_e64 v42, null, s53, v42, vcc_lo
	s_waitcnt lgkmcnt(0)
	global_store_dwordx2 v[41:42], v[39:40], off
	s_or_b32 exec_lo, exec_lo, s23
	s_and_saveexec_b32 s23, s35
	s_cbranch_execz .LBB530_880
.LBB530_948:                            ;   in Loop: Header=BB530_730 Depth=2
	v_lshlrev_b32_e32 v3, 2, v141
	v_add_nc_u32_e32 v39, v69, v43
	ds_read_b32 v3, v3
	ds_read_b64 v[39:40], v39 offset:25088
	s_waitcnt lgkmcnt(1)
	v_add_nc_u32_e32 v3, v3, v57
	v_lshlrev_b64 v[41:42], 3, v[3:4]
	v_add_co_u32 v41, vcc_lo, s52, v41
	v_add_co_ci_u32_e64 v42, null, s53, v42, vcc_lo
	s_waitcnt lgkmcnt(0)
	global_store_dwordx2 v[41:42], v[39:40], off
	s_or_b32 exec_lo, exec_lo, s23
	s_and_saveexec_b32 s23, s36
	s_cbranch_execz .LBB530_881
.LBB530_949:                            ;   in Loop: Header=BB530_730 Depth=2
	v_lshlrev_b32_e32 v3, 2, v140
	v_add_nc_u32_e32 v39, v69, v43
	ds_read_b32 v3, v3
	ds_read_b64 v[39:40], v39 offset:27136
	s_waitcnt lgkmcnt(1)
	v_add_nc_u32_e32 v3, v3, v58
	v_lshlrev_b64 v[41:42], 3, v[3:4]
	v_add_co_u32 v41, vcc_lo, s52, v41
	v_add_co_ci_u32_e64 v42, null, s53, v42, vcc_lo
	s_waitcnt lgkmcnt(0)
	global_store_dwordx2 v[41:42], v[39:40], off
	s_or_b32 exec_lo, exec_lo, s23
	s_and_saveexec_b32 s23, s37
	s_cbranch_execz .LBB530_882
.LBB530_950:                            ;   in Loop: Header=BB530_730 Depth=2
	v_lshlrev_b32_e32 v3, 2, v139
	v_add_nc_u32_e32 v39, v69, v43
	ds_read_b32 v3, v3
	ds_read_b64 v[39:40], v39 offset:29184
	s_waitcnt lgkmcnt(1)
	v_add_nc_u32_e32 v3, v3, v59
	v_lshlrev_b64 v[41:42], 3, v[3:4]
	v_add_co_u32 v41, vcc_lo, s52, v41
	v_add_co_ci_u32_e64 v42, null, s53, v42, vcc_lo
	s_waitcnt lgkmcnt(0)
	global_store_dwordx2 v[41:42], v[39:40], off
	s_or_b32 exec_lo, exec_lo, s23
	s_and_saveexec_b32 s23, s38
	s_cbranch_execz .LBB530_883
.LBB530_951:                            ;   in Loop: Header=BB530_730 Depth=2
	v_lshlrev_b32_e32 v3, 2, v138
	v_add_nc_u32_e32 v39, v69, v43
	ds_read_b32 v3, v3
	ds_read_b64 v[39:40], v39 offset:31232
	s_waitcnt lgkmcnt(1)
	v_add_nc_u32_e32 v3, v3, v60
	v_lshlrev_b64 v[41:42], 3, v[3:4]
	v_add_co_u32 v41, vcc_lo, s52, v41
	v_add_co_ci_u32_e64 v42, null, s53, v42, vcc_lo
	s_waitcnt lgkmcnt(0)
	global_store_dwordx2 v[41:42], v[39:40], off
	s_or_b32 exec_lo, exec_lo, s23
	s_and_saveexec_b32 s23, s39
	s_cbranch_execnz .LBB530_884
	s_branch .LBB530_885
.LBB530_952:                            ;   in Loop: Header=BB530_20 Depth=1
	s_waitcnt lgkmcnt(0)
	s_mov_b32 s5, 0
	s_barrier
.LBB530_953:                            ;   in Loop: Header=BB530_20 Depth=1
	s_and_b32 vcc_lo, exec_lo, s5
	s_cbranch_vccz .LBB530_19
; %bb.954:                              ;   in Loop: Header=BB530_20 Depth=1
	s_mov_b32 s5, s60
	s_mov_b32 s50, s58
	s_barrier
	buffer_gl0_inv
                                        ; implicit-def: $vgpr3
                                        ; implicit-def: $vgpr5
                                        ; implicit-def: $vgpr6
                                        ; implicit-def: $vgpr7
                                        ; implicit-def: $vgpr8
                                        ; implicit-def: $vgpr9
                                        ; implicit-def: $vgpr10
                                        ; implicit-def: $vgpr11
                                        ; implicit-def: $vgpr12
                                        ; implicit-def: $vgpr13
                                        ; implicit-def: $vgpr14
                                        ; implicit-def: $vgpr15
                                        ; implicit-def: $vgpr16
                                        ; implicit-def: $vgpr17
                                        ; implicit-def: $vgpr18
                                        ; implicit-def: $vgpr19
                                        ; implicit-def: $vgpr20
	s_branch .LBB530_956
.LBB530_955:                            ;   in Loop: Header=BB530_956 Depth=2
	s_or_b32 exec_lo, exec_lo, s16
	s_addk_i32 s5, 0xef00
	s_cmp_ge_u32 s18, s59
	s_mov_b32 s50, s18
	s_cbranch_scc1 .LBB530_1028
.LBB530_956:                            ;   Parent Loop BB530_20 Depth=1
                                        ; =>  This Inner Loop Header: Depth=2
	s_add_i32 s18, s50, 0x1100
	s_mov_b32 s16, -1
	s_cmp_gt_u32 s18, s59
                                        ; implicit-def: $vgpr21
                                        ; implicit-def: $vgpr22
                                        ; implicit-def: $vgpr25
                                        ; implicit-def: $vgpr23
                                        ; implicit-def: $vgpr27
                                        ; implicit-def: $vgpr24
                                        ; implicit-def: $vgpr29
                                        ; implicit-def: $vgpr26
                                        ; implicit-def: $vgpr31
                                        ; implicit-def: $vgpr28
                                        ; implicit-def: $vgpr33
                                        ; implicit-def: $vgpr30
                                        ; implicit-def: $vgpr34
                                        ; implicit-def: $vgpr32
                                        ; implicit-def: $vgpr35
                                        ; implicit-def: $vgpr36
                                        ; implicit-def: $vgpr37
	s_cbranch_scc1 .LBB530_958
; %bb.957:                              ;   in Loop: Header=BB530_956 Depth=2
	s_lshl_b64 s[16:17], s[50:51], 2
	v_add_co_u32 v33, vcc_lo, v78, s16
	v_add_co_ci_u32_e64 v34, null, s17, v79, vcc_lo
	s_mov_b32 s16, 0
	v_add_co_u32 v23, vcc_lo, 0x800, v33
	v_add_co_ci_u32_e64 v24, null, 0, v34, vcc_lo
	v_add_co_u32 v35, vcc_lo, v33, 0x1000
	v_add_co_ci_u32_e64 v36, null, 0, v34, vcc_lo
	v_add_co_u32 v25, vcc_lo, 0x1000, v33
	v_add_co_ci_u32_e64 v26, null, 0, v34, vcc_lo
	v_add_co_u32 v27, vcc_lo, 0x1800, v33
	v_add_co_ci_u32_e64 v28, null, 0, v34, vcc_lo
	v_add_co_u32 v37, vcc_lo, v33, 0x2000
	v_add_co_ci_u32_e64 v38, null, 0, v34, vcc_lo
	v_add_co_u32 v29, vcc_lo, 0x2000, v33
	v_add_co_ci_u32_e64 v30, null, 0, v34, vcc_lo
	v_add_co_u32 v31, vcc_lo, 0x2800, v33
	v_add_co_ci_u32_e64 v32, null, 0, v34, vcc_lo
	v_add_co_u32 v39, vcc_lo, v33, 0x3000
	v_add_co_ci_u32_e64 v40, null, 0, v34, vcc_lo
	v_add_co_u32 v41, vcc_lo, 0x3000, v33
	v_add_co_ci_u32_e64 v42, null, 0, v34, vcc_lo
	s_clause 0x7
	global_load_dword v21, v[33:34], off
	global_load_dword v22, v[33:34], off offset:1024
	global_load_dword v23, v[23:24], off offset:1024
	;; [unrolled: 1-line block ×7, first 2 shown]
	v_add_co_u32 v41, vcc_lo, 0x3800, v33
	v_add_co_ci_u32_e64 v42, null, 0, v34, vcc_lo
	v_add_co_u32 v131, vcc_lo, v33, 0x4000
	v_add_co_ci_u32_e64 v132, null, 0, v34, vcc_lo
	s_clause 0x8
	global_load_dword v25, v[35:36], off offset:-2048
	global_load_dword v27, v[35:36], off
	global_load_dword v29, v[37:38], off offset:-2048
	global_load_dword v31, v[37:38], off
	;; [unrolled: 2-line block ×3, first 2 shown]
	global_load_dword v35, v[131:132], off offset:-2048
	global_load_dword v36, v[41:42], off offset:1024
	global_load_dword v37, v[131:132], off
.LBB530_958:                            ;   in Loop: Header=BB530_956 Depth=2
	s_andn2_b32 vcc_lo, exec_lo, s16
	s_movk_i32 s16, 0x1100
	s_cbranch_vccnz .LBB530_978
; %bb.959:                              ;   in Loop: Header=BB530_956 Depth=2
	s_lshl_b64 s[16:17], s[50:51], 2
	s_mov_b32 s19, exec_lo
	s_add_u32 s16, s44, s16
	s_addc_u32 s17, s45, s17
	v_cmpx_gt_u32_e64 s5, v0
	s_cbranch_execnz .LBB530_1012
; %bb.960:                              ;   in Loop: Header=BB530_956 Depth=2
	s_or_b32 exec_lo, exec_lo, s19
	s_mov_b32 s19, exec_lo
	v_cmpx_gt_u32_e64 s5, v44
	s_cbranch_execnz .LBB530_1013
.LBB530_961:                            ;   in Loop: Header=BB530_956 Depth=2
	s_or_b32 exec_lo, exec_lo, s19
	s_mov_b32 s19, exec_lo
	v_cmpx_gt_u32_e64 s5, v47
	s_cbranch_execnz .LBB530_1014
.LBB530_962:                            ;   in Loop: Header=BB530_956 Depth=2
	s_or_b32 exec_lo, exec_lo, s19
	s_mov_b32 s19, exec_lo
	v_cmpx_gt_u32_e64 s5, v48
	s_cbranch_execnz .LBB530_1015
.LBB530_963:                            ;   in Loop: Header=BB530_956 Depth=2
	s_or_b32 exec_lo, exec_lo, s19
	s_mov_b32 s19, exec_lo
	v_cmpx_gt_u32_e64 s5, v49
	s_cbranch_execnz .LBB530_1016
.LBB530_964:                            ;   in Loop: Header=BB530_956 Depth=2
	s_or_b32 exec_lo, exec_lo, s19
	s_mov_b32 s19, exec_lo
	v_cmpx_gt_u32_e64 s5, v50
	s_cbranch_execnz .LBB530_1017
.LBB530_965:                            ;   in Loop: Header=BB530_956 Depth=2
	s_or_b32 exec_lo, exec_lo, s19
	s_mov_b32 s19, exec_lo
	v_cmpx_gt_u32_e64 s5, v51
	s_cbranch_execnz .LBB530_1018
.LBB530_966:                            ;   in Loop: Header=BB530_956 Depth=2
	s_or_b32 exec_lo, exec_lo, s19
	s_mov_b32 s19, exec_lo
	v_cmpx_gt_u32_e64 s5, v52
	s_cbranch_execnz .LBB530_1019
.LBB530_967:                            ;   in Loop: Header=BB530_956 Depth=2
	s_or_b32 exec_lo, exec_lo, s19
	s_mov_b32 s19, exec_lo
	v_cmpx_gt_u32_e64 s5, v53
	s_cbranch_execnz .LBB530_1020
.LBB530_968:                            ;   in Loop: Header=BB530_956 Depth=2
	s_or_b32 exec_lo, exec_lo, s19
	s_mov_b32 s19, exec_lo
	v_cmpx_gt_u32_e64 s5, v54
	s_cbranch_execnz .LBB530_1021
.LBB530_969:                            ;   in Loop: Header=BB530_956 Depth=2
	s_or_b32 exec_lo, exec_lo, s19
	s_mov_b32 s19, exec_lo
	v_cmpx_gt_u32_e64 s5, v55
	s_cbranch_execnz .LBB530_1022
.LBB530_970:                            ;   in Loop: Header=BB530_956 Depth=2
	s_or_b32 exec_lo, exec_lo, s19
	s_mov_b32 s19, exec_lo
	v_cmpx_gt_u32_e64 s5, v56
	s_cbranch_execnz .LBB530_1023
.LBB530_971:                            ;   in Loop: Header=BB530_956 Depth=2
	s_or_b32 exec_lo, exec_lo, s19
	s_mov_b32 s19, exec_lo
	v_cmpx_gt_u32_e64 s5, v57
	s_cbranch_execnz .LBB530_1024
.LBB530_972:                            ;   in Loop: Header=BB530_956 Depth=2
	s_or_b32 exec_lo, exec_lo, s19
	s_mov_b32 s19, exec_lo
	v_cmpx_gt_u32_e64 s5, v58
	s_cbranch_execnz .LBB530_1025
.LBB530_973:                            ;   in Loop: Header=BB530_956 Depth=2
	s_or_b32 exec_lo, exec_lo, s19
	s_mov_b32 s19, exec_lo
	v_cmpx_gt_u32_e64 s5, v59
	s_cbranch_execnz .LBB530_1026
.LBB530_974:                            ;   in Loop: Header=BB530_956 Depth=2
	s_or_b32 exec_lo, exec_lo, s19
	s_mov_b32 s19, exec_lo
	v_cmpx_gt_u32_e64 s5, v60
	s_cbranch_execnz .LBB530_1027
.LBB530_975:                            ;   in Loop: Header=BB530_956 Depth=2
	s_or_b32 exec_lo, exec_lo, s19
	s_mov_b32 s19, exec_lo
	v_cmpx_gt_u32_e64 s5, v61
	s_cbranch_execz .LBB530_977
.LBB530_976:                            ;   in Loop: Header=BB530_956 Depth=2
	global_load_dword v3, v107, s[16:17]
.LBB530_977:                            ;   in Loop: Header=BB530_956 Depth=2
	s_or_b32 exec_lo, exec_lo, s19
	s_waitcnt vmcnt(0)
	v_mov_b32_e32 v21, v20
	v_mov_b32_e32 v22, v19
	;; [unrolled: 1-line block ×17, first 2 shown]
	s_mov_b32 s16, s5
.LBB530_978:                            ;   in Loop: Header=BB530_956 Depth=2
	s_waitcnt vmcnt(0)
	v_mov_b32_e32 v3, v37
	v_mov_b32_e32 v5, v36
	;; [unrolled: 1-line block ×17, first 2 shown]
	s_mov_b32 s17, exec_lo
	v_cmpx_gt_u32_e64 s16, v0
	s_cbranch_execnz .LBB530_995
; %bb.979:                              ;   in Loop: Header=BB530_956 Depth=2
	s_or_b32 exec_lo, exec_lo, s17
	s_mov_b32 s17, exec_lo
	v_cmpx_gt_u32_e64 s16, v44
	s_cbranch_execnz .LBB530_996
.LBB530_980:                            ;   in Loop: Header=BB530_956 Depth=2
	s_or_b32 exec_lo, exec_lo, s17
	s_mov_b32 s17, exec_lo
	v_cmpx_gt_u32_e64 s16, v47
	s_cbranch_execnz .LBB530_997
.LBB530_981:                            ;   in Loop: Header=BB530_956 Depth=2
	s_or_b32 exec_lo, exec_lo, s17
	s_mov_b32 s17, exec_lo
	v_cmpx_gt_u32_e64 s16, v48
	s_cbranch_execnz .LBB530_998
.LBB530_982:                            ;   in Loop: Header=BB530_956 Depth=2
	s_or_b32 exec_lo, exec_lo, s17
	s_mov_b32 s17, exec_lo
	v_cmpx_gt_u32_e64 s16, v49
	s_cbranch_execnz .LBB530_999
.LBB530_983:                            ;   in Loop: Header=BB530_956 Depth=2
	s_or_b32 exec_lo, exec_lo, s17
	s_mov_b32 s17, exec_lo
	v_cmpx_gt_u32_e64 s16, v50
	s_cbranch_execnz .LBB530_1000
.LBB530_984:                            ;   in Loop: Header=BB530_956 Depth=2
	s_or_b32 exec_lo, exec_lo, s17
	s_mov_b32 s17, exec_lo
	v_cmpx_gt_u32_e64 s16, v51
	s_cbranch_execnz .LBB530_1001
.LBB530_985:                            ;   in Loop: Header=BB530_956 Depth=2
	s_or_b32 exec_lo, exec_lo, s17
	s_mov_b32 s17, exec_lo
	v_cmpx_gt_u32_e64 s16, v52
	s_cbranch_execnz .LBB530_1002
.LBB530_986:                            ;   in Loop: Header=BB530_956 Depth=2
	s_or_b32 exec_lo, exec_lo, s17
	s_mov_b32 s17, exec_lo
	v_cmpx_gt_u32_e64 s16, v53
	s_cbranch_execnz .LBB530_1003
.LBB530_987:                            ;   in Loop: Header=BB530_956 Depth=2
	s_or_b32 exec_lo, exec_lo, s17
	s_mov_b32 s17, exec_lo
	v_cmpx_gt_u32_e64 s16, v54
	s_cbranch_execnz .LBB530_1004
.LBB530_988:                            ;   in Loop: Header=BB530_956 Depth=2
	s_or_b32 exec_lo, exec_lo, s17
	s_mov_b32 s17, exec_lo
	v_cmpx_gt_u32_e64 s16, v55
	s_cbranch_execnz .LBB530_1005
.LBB530_989:                            ;   in Loop: Header=BB530_956 Depth=2
	s_or_b32 exec_lo, exec_lo, s17
	s_mov_b32 s17, exec_lo
	v_cmpx_gt_u32_e64 s16, v56
	s_cbranch_execnz .LBB530_1006
.LBB530_990:                            ;   in Loop: Header=BB530_956 Depth=2
	s_or_b32 exec_lo, exec_lo, s17
	s_mov_b32 s17, exec_lo
	v_cmpx_gt_u32_e64 s16, v57
	s_cbranch_execnz .LBB530_1007
.LBB530_991:                            ;   in Loop: Header=BB530_956 Depth=2
	s_or_b32 exec_lo, exec_lo, s17
	s_mov_b32 s17, exec_lo
	v_cmpx_gt_u32_e64 s16, v58
	s_cbranch_execnz .LBB530_1008
.LBB530_992:                            ;   in Loop: Header=BB530_956 Depth=2
	s_or_b32 exec_lo, exec_lo, s17
	s_mov_b32 s17, exec_lo
	v_cmpx_gt_u32_e64 s16, v59
	s_cbranch_execnz .LBB530_1009
.LBB530_993:                            ;   in Loop: Header=BB530_956 Depth=2
	s_or_b32 exec_lo, exec_lo, s17
	s_mov_b32 s17, exec_lo
	v_cmpx_gt_u32_e64 s16, v60
	s_cbranch_execnz .LBB530_1010
.LBB530_994:                            ;   in Loop: Header=BB530_956 Depth=2
	s_or_b32 exec_lo, exec_lo, s17
	v_cmp_gt_u32_e32 vcc_lo, s16, v61
	s_and_saveexec_b32 s16, vcc_lo
	s_cbranch_execz .LBB530_955
	s_branch .LBB530_1011
.LBB530_995:                            ;   in Loop: Header=BB530_956 Depth=2
	v_xor_b32_e32 v21, 0x7fffffff, v20
	v_lshrrev_b32_e32 v21, s41, v21
	v_and_b32_e32 v21, s62, v21
	v_lshl_or_b32 v21, v21, 4, v63
	ds_add_u32 v21, v85
	s_or_b32 exec_lo, exec_lo, s17
	s_mov_b32 s17, exec_lo
	v_cmpx_gt_u32_e64 s16, v44
	s_cbranch_execz .LBB530_980
.LBB530_996:                            ;   in Loop: Header=BB530_956 Depth=2
	v_xor_b32_e32 v21, 0x7fffffff, v19
	v_lshrrev_b32_e32 v21, s41, v21
	v_and_b32_e32 v21, s62, v21
	v_lshl_or_b32 v21, v21, 4, v63
	ds_add_u32 v21, v85
	s_or_b32 exec_lo, exec_lo, s17
	s_mov_b32 s17, exec_lo
	v_cmpx_gt_u32_e64 s16, v47
	s_cbranch_execz .LBB530_981
.LBB530_997:                            ;   in Loop: Header=BB530_956 Depth=2
	v_xor_b32_e32 v21, 0x7fffffff, v18
	v_lshrrev_b32_e32 v21, s41, v21
	v_and_b32_e32 v21, s62, v21
	v_lshl_or_b32 v21, v21, 4, v63
	ds_add_u32 v21, v85
	s_or_b32 exec_lo, exec_lo, s17
	s_mov_b32 s17, exec_lo
	v_cmpx_gt_u32_e64 s16, v48
	s_cbranch_execz .LBB530_982
.LBB530_998:                            ;   in Loop: Header=BB530_956 Depth=2
	v_xor_b32_e32 v21, 0x7fffffff, v17
	v_lshrrev_b32_e32 v21, s41, v21
	v_and_b32_e32 v21, s62, v21
	v_lshl_or_b32 v21, v21, 4, v63
	ds_add_u32 v21, v85
	s_or_b32 exec_lo, exec_lo, s17
	s_mov_b32 s17, exec_lo
	v_cmpx_gt_u32_e64 s16, v49
	s_cbranch_execz .LBB530_983
.LBB530_999:                            ;   in Loop: Header=BB530_956 Depth=2
	v_xor_b32_e32 v21, 0x7fffffff, v16
	v_lshrrev_b32_e32 v21, s41, v21
	v_and_b32_e32 v21, s62, v21
	v_lshl_or_b32 v21, v21, 4, v63
	ds_add_u32 v21, v85
	s_or_b32 exec_lo, exec_lo, s17
	s_mov_b32 s17, exec_lo
	v_cmpx_gt_u32_e64 s16, v50
	s_cbranch_execz .LBB530_984
.LBB530_1000:                           ;   in Loop: Header=BB530_956 Depth=2
	v_xor_b32_e32 v21, 0x7fffffff, v15
	v_lshrrev_b32_e32 v21, s41, v21
	v_and_b32_e32 v21, s62, v21
	v_lshl_or_b32 v21, v21, 4, v63
	ds_add_u32 v21, v85
	s_or_b32 exec_lo, exec_lo, s17
	s_mov_b32 s17, exec_lo
	v_cmpx_gt_u32_e64 s16, v51
	s_cbranch_execz .LBB530_985
.LBB530_1001:                           ;   in Loop: Header=BB530_956 Depth=2
	v_xor_b32_e32 v21, 0x7fffffff, v14
	v_lshrrev_b32_e32 v21, s41, v21
	v_and_b32_e32 v21, s62, v21
	v_lshl_or_b32 v21, v21, 4, v63
	ds_add_u32 v21, v85
	s_or_b32 exec_lo, exec_lo, s17
	s_mov_b32 s17, exec_lo
	v_cmpx_gt_u32_e64 s16, v52
	s_cbranch_execz .LBB530_986
.LBB530_1002:                           ;   in Loop: Header=BB530_956 Depth=2
	v_xor_b32_e32 v21, 0x7fffffff, v13
	v_lshrrev_b32_e32 v21, s41, v21
	v_and_b32_e32 v21, s62, v21
	v_lshl_or_b32 v21, v21, 4, v63
	ds_add_u32 v21, v85
	s_or_b32 exec_lo, exec_lo, s17
	s_mov_b32 s17, exec_lo
	v_cmpx_gt_u32_e64 s16, v53
	s_cbranch_execz .LBB530_987
.LBB530_1003:                           ;   in Loop: Header=BB530_956 Depth=2
	v_xor_b32_e32 v21, 0x7fffffff, v12
	v_lshrrev_b32_e32 v21, s41, v21
	v_and_b32_e32 v21, s62, v21
	v_lshl_or_b32 v21, v21, 4, v63
	ds_add_u32 v21, v85
	s_or_b32 exec_lo, exec_lo, s17
	s_mov_b32 s17, exec_lo
	v_cmpx_gt_u32_e64 s16, v54
	s_cbranch_execz .LBB530_988
.LBB530_1004:                           ;   in Loop: Header=BB530_956 Depth=2
	v_xor_b32_e32 v21, 0x7fffffff, v11
	v_lshrrev_b32_e32 v21, s41, v21
	v_and_b32_e32 v21, s62, v21
	v_lshl_or_b32 v21, v21, 4, v63
	ds_add_u32 v21, v85
	s_or_b32 exec_lo, exec_lo, s17
	s_mov_b32 s17, exec_lo
	v_cmpx_gt_u32_e64 s16, v55
	s_cbranch_execz .LBB530_989
.LBB530_1005:                           ;   in Loop: Header=BB530_956 Depth=2
	v_xor_b32_e32 v21, 0x7fffffff, v10
	v_lshrrev_b32_e32 v21, s41, v21
	v_and_b32_e32 v21, s62, v21
	v_lshl_or_b32 v21, v21, 4, v63
	ds_add_u32 v21, v85
	s_or_b32 exec_lo, exec_lo, s17
	s_mov_b32 s17, exec_lo
	v_cmpx_gt_u32_e64 s16, v56
	s_cbranch_execz .LBB530_990
.LBB530_1006:                           ;   in Loop: Header=BB530_956 Depth=2
	v_xor_b32_e32 v21, 0x7fffffff, v9
	v_lshrrev_b32_e32 v21, s41, v21
	v_and_b32_e32 v21, s62, v21
	v_lshl_or_b32 v21, v21, 4, v63
	ds_add_u32 v21, v85
	s_or_b32 exec_lo, exec_lo, s17
	s_mov_b32 s17, exec_lo
	v_cmpx_gt_u32_e64 s16, v57
	s_cbranch_execz .LBB530_991
.LBB530_1007:                           ;   in Loop: Header=BB530_956 Depth=2
	v_xor_b32_e32 v21, 0x7fffffff, v8
	v_lshrrev_b32_e32 v21, s41, v21
	v_and_b32_e32 v21, s62, v21
	v_lshl_or_b32 v21, v21, 4, v63
	ds_add_u32 v21, v85
	s_or_b32 exec_lo, exec_lo, s17
	s_mov_b32 s17, exec_lo
	v_cmpx_gt_u32_e64 s16, v58
	s_cbranch_execz .LBB530_992
.LBB530_1008:                           ;   in Loop: Header=BB530_956 Depth=2
	v_xor_b32_e32 v21, 0x7fffffff, v7
	v_lshrrev_b32_e32 v21, s41, v21
	v_and_b32_e32 v21, s62, v21
	v_lshl_or_b32 v21, v21, 4, v63
	ds_add_u32 v21, v85
	s_or_b32 exec_lo, exec_lo, s17
	s_mov_b32 s17, exec_lo
	v_cmpx_gt_u32_e64 s16, v59
	s_cbranch_execz .LBB530_993
.LBB530_1009:                           ;   in Loop: Header=BB530_956 Depth=2
	v_xor_b32_e32 v21, 0x7fffffff, v6
	v_lshrrev_b32_e32 v21, s41, v21
	v_and_b32_e32 v21, s62, v21
	v_lshl_or_b32 v21, v21, 4, v63
	ds_add_u32 v21, v85
	s_or_b32 exec_lo, exec_lo, s17
	s_mov_b32 s17, exec_lo
	v_cmpx_gt_u32_e64 s16, v60
	s_cbranch_execz .LBB530_994
.LBB530_1010:                           ;   in Loop: Header=BB530_956 Depth=2
	v_xor_b32_e32 v21, 0x7fffffff, v5
	v_lshrrev_b32_e32 v21, s41, v21
	v_and_b32_e32 v21, s62, v21
	v_lshl_or_b32 v21, v21, 4, v63
	ds_add_u32 v21, v85
	s_or_b32 exec_lo, exec_lo, s17
	v_cmp_gt_u32_e32 vcc_lo, s16, v61
	s_and_saveexec_b32 s16, vcc_lo
	s_cbranch_execz .LBB530_955
.LBB530_1011:                           ;   in Loop: Header=BB530_956 Depth=2
	v_xor_b32_e32 v21, 0x7fffffff, v3
	v_lshrrev_b32_e32 v21, s41, v21
	v_and_b32_e32 v21, s62, v21
	v_lshl_or_b32 v21, v21, 4, v63
	ds_add_u32 v21, v85
	s_branch .LBB530_955
.LBB530_1012:                           ;   in Loop: Header=BB530_956 Depth=2
	global_load_dword v20, v91, s[16:17]
	s_or_b32 exec_lo, exec_lo, s19
	s_mov_b32 s19, exec_lo
	v_cmpx_gt_u32_e64 s5, v44
	s_cbranch_execz .LBB530_961
.LBB530_1013:                           ;   in Loop: Header=BB530_956 Depth=2
	global_load_dword v19, v91, s[16:17] offset:1024
	s_or_b32 exec_lo, exec_lo, s19
	s_mov_b32 s19, exec_lo
	v_cmpx_gt_u32_e64 s5, v47
	s_cbranch_execz .LBB530_962
.LBB530_1014:                           ;   in Loop: Header=BB530_956 Depth=2
	global_load_dword v18, v92, s[16:17]
	s_or_b32 exec_lo, exec_lo, s19
	s_mov_b32 s19, exec_lo
	v_cmpx_gt_u32_e64 s5, v48
	s_cbranch_execz .LBB530_963
.LBB530_1015:                           ;   in Loop: Header=BB530_956 Depth=2
	global_load_dword v17, v93, s[16:17]
	s_or_b32 exec_lo, exec_lo, s19
	s_mov_b32 s19, exec_lo
	v_cmpx_gt_u32_e64 s5, v49
	s_cbranch_execz .LBB530_964
.LBB530_1016:                           ;   in Loop: Header=BB530_956 Depth=2
	global_load_dword v16, v94, s[16:17]
	s_or_b32 exec_lo, exec_lo, s19
	s_mov_b32 s19, exec_lo
	v_cmpx_gt_u32_e64 s5, v50
	s_cbranch_execz .LBB530_965
.LBB530_1017:                           ;   in Loop: Header=BB530_956 Depth=2
	global_load_dword v15, v95, s[16:17]
	s_or_b32 exec_lo, exec_lo, s19
	s_mov_b32 s19, exec_lo
	v_cmpx_gt_u32_e64 s5, v51
	s_cbranch_execz .LBB530_966
.LBB530_1018:                           ;   in Loop: Header=BB530_956 Depth=2
	global_load_dword v14, v96, s[16:17]
	s_or_b32 exec_lo, exec_lo, s19
	s_mov_b32 s19, exec_lo
	v_cmpx_gt_u32_e64 s5, v52
	s_cbranch_execz .LBB530_967
.LBB530_1019:                           ;   in Loop: Header=BB530_956 Depth=2
	global_load_dword v13, v97, s[16:17]
	s_or_b32 exec_lo, exec_lo, s19
	s_mov_b32 s19, exec_lo
	v_cmpx_gt_u32_e64 s5, v53
	s_cbranch_execz .LBB530_968
.LBB530_1020:                           ;   in Loop: Header=BB530_956 Depth=2
	global_load_dword v12, v98, s[16:17]
	s_or_b32 exec_lo, exec_lo, s19
	s_mov_b32 s19, exec_lo
	v_cmpx_gt_u32_e64 s5, v54
	s_cbranch_execz .LBB530_969
.LBB530_1021:                           ;   in Loop: Header=BB530_956 Depth=2
	global_load_dword v11, v99, s[16:17]
	s_or_b32 exec_lo, exec_lo, s19
	s_mov_b32 s19, exec_lo
	v_cmpx_gt_u32_e64 s5, v55
	s_cbranch_execz .LBB530_970
.LBB530_1022:                           ;   in Loop: Header=BB530_956 Depth=2
	global_load_dword v10, v100, s[16:17]
	s_or_b32 exec_lo, exec_lo, s19
	s_mov_b32 s19, exec_lo
	v_cmpx_gt_u32_e64 s5, v56
	s_cbranch_execz .LBB530_971
.LBB530_1023:                           ;   in Loop: Header=BB530_956 Depth=2
	global_load_dword v9, v101, s[16:17]
	s_or_b32 exec_lo, exec_lo, s19
	s_mov_b32 s19, exec_lo
	v_cmpx_gt_u32_e64 s5, v57
	s_cbranch_execz .LBB530_972
.LBB530_1024:                           ;   in Loop: Header=BB530_956 Depth=2
	global_load_dword v8, v102, s[16:17]
	s_or_b32 exec_lo, exec_lo, s19
	s_mov_b32 s19, exec_lo
	v_cmpx_gt_u32_e64 s5, v58
	s_cbranch_execz .LBB530_973
.LBB530_1025:                           ;   in Loop: Header=BB530_956 Depth=2
	global_load_dword v7, v103, s[16:17]
	s_or_b32 exec_lo, exec_lo, s19
	s_mov_b32 s19, exec_lo
	v_cmpx_gt_u32_e64 s5, v59
	s_cbranch_execz .LBB530_974
.LBB530_1026:                           ;   in Loop: Header=BB530_956 Depth=2
	global_load_dword v6, v104, s[16:17]
	s_or_b32 exec_lo, exec_lo, s19
	s_mov_b32 s19, exec_lo
	v_cmpx_gt_u32_e64 s5, v60
	s_cbranch_execz .LBB530_975
.LBB530_1027:                           ;   in Loop: Header=BB530_956 Depth=2
	global_load_dword v5, v105, s[16:17]
	s_or_b32 exec_lo, exec_lo, s19
	s_mov_b32 s19, exec_lo
	v_cmpx_gt_u32_e64 s5, v61
	s_cbranch_execnz .LBB530_976
	s_branch .LBB530_977
.LBB530_1028:                           ;   in Loop: Header=BB530_20 Depth=1
	v_mov_b32_e32 v3, 0
	s_waitcnt lgkmcnt(0)
	s_barrier
	buffer_gl0_inv
	s_and_saveexec_b32 s5, s8
	s_cbranch_execz .LBB530_1030
; %bb.1029:                             ;   in Loop: Header=BB530_20 Depth=1
	ds_read2_b64 v[5:8], v64 offset1:1
	s_waitcnt lgkmcnt(0)
	v_add_nc_u32_e32 v3, v6, v5
	v_add3_u32 v3, v3, v7, v8
.LBB530_1030:                           ;   in Loop: Header=BB530_20 Depth=1
	s_or_b32 exec_lo, exec_lo, s5
	v_mov_b32_dpp v5, v3 row_shr:1 row_mask:0xf bank_mask:0xf
	v_cmp_eq_u32_e64 s5, 0, v86
	v_cmp_lt_u32_e64 s16, 1, v86
	v_cmp_lt_u32_e64 s17, 3, v86
	;; [unrolled: 1-line block ×3, first 2 shown]
	v_cmp_eq_u32_e64 s19, 0, v88
	v_cndmask_b32_e64 v5, v5, 0, s5
	v_add_nc_u32_e32 v3, v5, v3
	v_mov_b32_dpp v5, v3 row_shr:2 row_mask:0xf bank_mask:0xf
	v_cndmask_b32_e64 v5, 0, v5, s16
	v_add_nc_u32_e32 v3, v3, v5
	v_mov_b32_dpp v5, v3 row_shr:4 row_mask:0xf bank_mask:0xf
	;; [unrolled: 3-line block ×3, first 2 shown]
	v_cndmask_b32_e64 v5, 0, v5, s18
	v_add_nc_u32_e32 v3, v3, v5
	ds_swizzle_b32 v5, v3 offset:swizzle(BROADCAST,32,15)
	s_waitcnt lgkmcnt(0)
	v_and_b32_e32 v5, v87, v5
	v_add_nc_u32_e32 v3, v3, v5
	s_and_saveexec_b32 s20, s9
; %bb.1031:                             ;   in Loop: Header=BB530_20 Depth=1
	ds_write_b32 v65, v3
; %bb.1032:                             ;   in Loop: Header=BB530_20 Depth=1
	s_or_b32 exec_lo, exec_lo, s20
	s_waitcnt lgkmcnt(0)
	s_barrier
	buffer_gl0_inv
	s_and_saveexec_b32 s20, s10
	s_cbranch_execz .LBB530_1034
; %bb.1033:                             ;   in Loop: Header=BB530_20 Depth=1
	ds_read_b32 v5, v66
	v_cmp_ne_u32_e32 vcc_lo, 0, v89
	s_waitcnt lgkmcnt(0)
	v_mov_b32_dpp v6, v5 row_shr:1 row_mask:0xf bank_mask:0xf
	v_cndmask_b32_e32 v6, 0, v6, vcc_lo
	v_cmp_lt_u32_e32 vcc_lo, 1, v89
	v_add_nc_u32_e32 v5, v6, v5
	v_mov_b32_dpp v6, v5 row_shr:2 row_mask:0xf bank_mask:0xf
	v_cndmask_b32_e32 v6, 0, v6, vcc_lo
	v_add_nc_u32_e32 v5, v5, v6
	ds_write_b32 v66, v5
.LBB530_1034:                           ;   in Loop: Header=BB530_20 Depth=1
	s_or_b32 exec_lo, exec_lo, s20
	v_mov_b32_e32 v5, 0
	s_waitcnt lgkmcnt(0)
	s_barrier
	buffer_gl0_inv
	s_and_saveexec_b32 s20, s11
; %bb.1035:                             ;   in Loop: Header=BB530_20 Depth=1
	ds_read_b32 v5, v67
; %bb.1036:                             ;   in Loop: Header=BB530_20 Depth=1
	s_or_b32 exec_lo, exec_lo, s20
	v_cmp_gt_i32_e32 vcc_lo, 0, v90
	s_waitcnt lgkmcnt(0)
	v_add_nc_u32_e32 v3, v5, v3
	s_barrier
	buffer_gl0_inv
	v_cndmask_b32_e32 v6, v90, v82, vcc_lo
	v_lshlrev_b32_e32 v131, 2, v6
	ds_bpermute_b32 v3, v131, v3
	s_and_saveexec_b32 s20, s8
	s_cbranch_execz .LBB530_1038
; %bb.1037:                             ;   in Loop: Header=BB530_20 Depth=1
	s_waitcnt lgkmcnt(0)
	v_cndmask_b32_e64 v3, v3, v5, s15
	v_add_nc_u32_e32 v3, s58, v3
	ds_write_b32 v43, v3
.LBB530_1038:                           ;   in Loop: Header=BB530_20 Depth=1
	s_or_b32 exec_lo, exec_lo, s20
	s_load_dwordx2 s[20:21], s[56:57], 0x0
	v_add_co_u32 v132, vcc_lo, v80, v106
	v_add_co_ci_u32_e64 v133, null, 0, v81, vcc_lo
	v_add_co_u32 v134, vcc_lo, v83, v125
	v_add_co_ci_u32_e64 v135, null, 0, v84, vcc_lo
	s_mov_b32 s63, s60
	s_mov_b32 s50, s58
                                        ; implicit-def: $vgpr7_vgpr8
                                        ; implicit-def: $vgpr9_vgpr10
                                        ; implicit-def: $vgpr11_vgpr12
                                        ; implicit-def: $vgpr13_vgpr14
                                        ; implicit-def: $vgpr15_vgpr16
                                        ; implicit-def: $vgpr19_vgpr20
                                        ; implicit-def: $vgpr23_vgpr24
                                        ; implicit-def: $vgpr27_vgpr28
                                        ; implicit-def: $vgpr17_vgpr18
                                        ; implicit-def: $vgpr21_vgpr22
                                        ; implicit-def: $vgpr25_vgpr26
                                        ; implicit-def: $vgpr29_vgpr30
                                        ; implicit-def: $vgpr31_vgpr32
                                        ; implicit-def: $vgpr33_vgpr34
                                        ; implicit-def: $vgpr35_vgpr36
                                        ; implicit-def: $vgpr37_vgpr38
                                        ; implicit-def: $vgpr137
                                        ; implicit-def: $vgpr138
                                        ; implicit-def: $vgpr139
                                        ; implicit-def: $vgpr140
                                        ; implicit-def: $vgpr141
                                        ; implicit-def: $vgpr142
                                        ; implicit-def: $vgpr143
                                        ; implicit-def: $vgpr144
                                        ; implicit-def: $vgpr145
                                        ; implicit-def: $vgpr146
                                        ; implicit-def: $vgpr147
                                        ; implicit-def: $vgpr148
                                        ; implicit-def: $vgpr149
                                        ; implicit-def: $vgpr150
                                        ; implicit-def: $vgpr151
                                        ; implicit-def: $vgpr153
                                        ; implicit-def: $vgpr154
                                        ; implicit-def: $vgpr152
                                        ; implicit-def: $vgpr155
	s_waitcnt lgkmcnt(0)
	s_cmp_lt_u32 s7, s21
	s_cselect_b32 s21, 14, 20
	s_add_u32 s22, s56, s21
	s_addc_u32 s23, s57, 0
	s_cmp_lt_u32 s6, s20
	global_load_ushort v3, v4, s[22:23]
	s_cselect_b32 s20, 12, 18
	s_add_u32 s20, s56, s20
	s_addc_u32 s21, s57, 0
	global_load_ushort v5, v4, s[20:21]
	v_cmp_eq_u32_e64 s20, 0, v108
	v_cmp_lt_u32_e64 s21, 1, v108
	v_cmp_lt_u32_e64 s22, 3, v108
	s_waitcnt vmcnt(1)
	v_mad_u32_u24 v3, v2, v3, v1
	s_waitcnt vmcnt(0)
	v_mad_u64_u32 v[5:6], null, v3, v5, v[0:1]
	v_lshrrev_b32_e32 v3, 3, v5
                                        ; implicit-def: $vgpr5_vgpr6
	v_and_b32_e32 v136, 0x1ffffffc, v3
	s_branch .LBB530_1040
.LBB530_1039:                           ;   in Loop: Header=BB530_1040 Depth=2
	s_or_b32 exec_lo, exec_lo, s23
	s_addk_i32 s63, 0xef00
	s_cmp_lt_u32 s64, s59
	s_mov_b32 s50, s64
	s_cbranch_scc0 .LBB530_18
.LBB530_1040:                           ;   Parent Loop BB530_20 Depth=1
                                        ; =>  This Inner Loop Header: Depth=2
	s_add_i32 s64, s50, 0x1100
	s_cmp_gt_u32 s64, s59
	s_cbranch_scc1 .LBB530_1042
; %bb.1041:                             ;   in Loop: Header=BB530_1040 Depth=2
	s_lshl_b64 s[24:25], s[50:51], 2
	s_mov_b32 s23, -1
	v_add_co_u32 v39, vcc_lo, v134, s24
	v_add_co_ci_u32_e64 v40, null, s25, v135, vcc_lo
	s_clause 0xf
	global_load_dword v157, v[39:40], off
	global_load_dword v158, v[39:40], off offset:128
	global_load_dword v161, v[39:40], off offset:256
	;; [unrolled: 1-line block ×15, first 2 shown]
	s_movk_i32 s24, 0x1100
	s_cbranch_execz .LBB530_1043
	s_branch .LBB530_1076
.LBB530_1042:                           ;   in Loop: Header=BB530_1040 Depth=2
	s_mov_b32 s23, 0
                                        ; implicit-def: $vgpr157
                                        ; implicit-def: $vgpr158
                                        ; implicit-def: $vgpr161
                                        ; implicit-def: $vgpr165
                                        ; implicit-def: $vgpr170
                                        ; implicit-def: $vgpr175
                                        ; implicit-def: $vgpr180
                                        ; implicit-def: $vgpr185
                                        ; implicit-def: $vgpr190
                                        ; implicit-def: $vgpr188
                                        ; implicit-def: $vgpr183
                                        ; implicit-def: $vgpr178
                                        ; implicit-def: $vgpr174
                                        ; implicit-def: $vgpr169
                                        ; implicit-def: $vgpr42
                                        ; implicit-def: $vgpr41
	s_movk_i32 s24, 0x1100
.LBB530_1043:                           ;   in Loop: Header=BB530_1040 Depth=2
	s_lshl_b64 s[24:25], s[50:51], 2
	s_waitcnt vmcnt(14)
	v_bfrev_b32_e32 v158, 1
	v_add_co_u32 v39, vcc_lo, v134, s24
	v_add_co_ci_u32_e64 v40, null, s25, v135, vcc_lo
	v_bfrev_b32_e32 v157, 1
	s_mov_b32 s23, exec_lo
	v_cmpx_gt_u32_e64 s63, v109
	s_cbranch_execz .LBB530_1045
; %bb.1044:                             ;   in Loop: Header=BB530_1040 Depth=2
	global_load_dword v157, v[39:40], off
.LBB530_1045:                           ;   in Loop: Header=BB530_1040 Depth=2
	s_or_b32 exec_lo, exec_lo, s23
	s_mov_b32 s23, exec_lo
	v_cmpx_gt_u32_e64 s63, v112
	s_cbranch_execz .LBB530_1047
; %bb.1046:                             ;   in Loop: Header=BB530_1040 Depth=2
	global_load_dword v158, v[39:40], off offset:128
.LBB530_1047:                           ;   in Loop: Header=BB530_1040 Depth=2
	s_or_b32 exec_lo, exec_lo, s23
	s_waitcnt vmcnt(12)
	v_bfrev_b32_e32 v165, 1
	v_bfrev_b32_e32 v161, 1
	s_mov_b32 s23, exec_lo
	v_cmpx_gt_u32_e64 s63, v113
	s_cbranch_execz .LBB530_1049
; %bb.1048:                             ;   in Loop: Header=BB530_1040 Depth=2
	global_load_dword v161, v[39:40], off offset:256
.LBB530_1049:                           ;   in Loop: Header=BB530_1040 Depth=2
	s_or_b32 exec_lo, exec_lo, s23
	s_mov_b32 s23, exec_lo
	v_cmpx_gt_u32_e64 s63, v114
	s_cbranch_execz .LBB530_1051
; %bb.1050:                             ;   in Loop: Header=BB530_1040 Depth=2
	global_load_dword v165, v[39:40], off offset:384
.LBB530_1051:                           ;   in Loop: Header=BB530_1040 Depth=2
	s_or_b32 exec_lo, exec_lo, s23
	s_waitcnt vmcnt(10)
	v_bfrev_b32_e32 v175, 1
	v_bfrev_b32_e32 v170, 1
	s_mov_b32 s23, exec_lo
	v_cmpx_gt_u32_e64 s63, v115
	s_cbranch_execz .LBB530_1053
; %bb.1052:                             ;   in Loop: Header=BB530_1040 Depth=2
	global_load_dword v170, v[39:40], off offset:512
.LBB530_1053:                           ;   in Loop: Header=BB530_1040 Depth=2
	;; [unrolled: 17-line block ×7, first 2 shown]
	s_or_b32 exec_lo, exec_lo, s23
	s_mov_b32 s23, exec_lo
	v_cmpx_gt_u32_e64 s63, v127
	s_cbranch_execz .LBB530_1075
; %bb.1074:                             ;   in Loop: Header=BB530_1040 Depth=2
	global_load_dword v41, v[39:40], off offset:1920
.LBB530_1075:                           ;   in Loop: Header=BB530_1040 Depth=2
	s_or_b32 exec_lo, exec_lo, s23
	v_cmp_gt_u32_e64 s23, s63, v128
	s_sub_i32 s24, s59, s50
.LBB530_1076:                           ;   in Loop: Header=BB530_1040 Depth=2
	v_mov_b32_e32 v3, -1
	v_mov_b32_e32 v156, s63
	s_and_saveexec_b32 s25, s23
	s_cbranch_execz .LBB530_1078
; %bb.1077:                             ;   in Loop: Header=BB530_1040 Depth=2
	s_lshl_b64 s[26:27], s[50:51], 2
	v_mov_b32_e32 v156, s24
	v_add_co_u32 v3, vcc_lo, v134, s26
	v_add_co_ci_u32_e64 v40, null, s27, v135, vcc_lo
	v_add_co_u32 v39, vcc_lo, 0x800, v3
	v_add_co_ci_u32_e64 v40, null, 0, v40, vcc_lo
	global_load_dword v3, v[39:40], off
	s_waitcnt vmcnt(0)
	v_xor_b32_e32 v3, 0x7fffffff, v3
.LBB530_1078:                           ;   in Loop: Header=BB530_1040 Depth=2
	s_or_b32 exec_lo, exec_lo, s25
	s_waitcnt vmcnt(15)
	v_xor_b32_e32 v157, 0x7fffffff, v157
	ds_write2_b32 v68, v4, v4 offset0:136 offset1:137
	ds_write2_b32 v68, v4, v4 offset0:138 offset1:139
	ds_write_b32 v68, v4 offset:560
	s_waitcnt vmcnt(0) lgkmcnt(0)
	s_barrier
	v_lshrrev_b32_e32 v39, s41, v157
	buffer_gl0_inv
	; wave barrier
	v_and_b32_e32 v40, s62, v39
	v_and_b32_e32 v39, 1, v40
	v_lshlrev_b32_e32 v159, 30, v40
	v_lshlrev_b32_e32 v160, 29, v40
	;; [unrolled: 1-line block ×4, first 2 shown]
	v_add_co_u32 v39, s23, v39, -1
	v_cndmask_b32_e64 v162, 0, 1, s23
	v_not_b32_e32 v167, v159
	v_cmp_gt_i32_e64 s23, 0, v159
	v_not_b32_e32 v159, v160
	v_lshlrev_b32_e32 v166, 26, v40
	v_cmp_ne_u32_e32 vcc_lo, 0, v162
	v_ashrrev_i32_e32 v167, 31, v167
	v_lshlrev_b32_e32 v162, 25, v40
	v_ashrrev_i32_e32 v159, 31, v159
	v_mul_u32_u24_e32 v40, 36, v40
	v_xor_b32_e32 v39, vcc_lo, v39
	v_cmp_gt_i32_e32 vcc_lo, 0, v160
	v_not_b32_e32 v160, v163
	v_xor_b32_e32 v167, s23, v167
	v_cmp_gt_i32_e64 s23, 0, v163
	v_and_b32_e32 v39, exec_lo, v39
	v_not_b32_e32 v163, v164
	v_ashrrev_i32_e32 v160, 31, v160
	v_xor_b32_e32 v159, vcc_lo, v159
	v_cmp_gt_i32_e32 vcc_lo, 0, v164
	v_and_b32_e32 v39, v39, v167
	v_not_b32_e32 v164, v166
	v_ashrrev_i32_e32 v163, 31, v163
	v_xor_b32_e32 v160, s23, v160
	v_cmp_gt_i32_e64 s23, 0, v166
	v_and_b32_e32 v39, v39, v159
	v_not_b32_e32 v159, v162
	v_ashrrev_i32_e32 v164, 31, v164
	v_xor_b32_e32 v163, vcc_lo, v163
	v_cmp_gt_i32_e32 vcc_lo, 0, v162
	v_and_b32_e32 v39, v39, v160
	v_ashrrev_i32_e32 v159, 31, v159
	v_xor_b32_e32 v160, s23, v164
	v_and_b32_e32 v39, v39, v163
	v_xor_b32_e32 v159, vcc_lo, v159
	v_and_b32_e32 v39, v39, v160
	v_add_nc_u32_e32 v160, v136, v40
	v_and_b32_e32 v39, v39, v159
	v_mbcnt_lo_u32_b32 v159, v39, 0
	v_cmp_ne_u32_e64 s23, 0, v39
	v_cmp_eq_u32_e32 vcc_lo, 0, v159
	s_and_b32 s24, s23, vcc_lo
	s_and_saveexec_b32 s23, s24
; %bb.1079:                             ;   in Loop: Header=BB530_1040 Depth=2
	v_bcnt_u32_b32 v39, v39, 0
	ds_write_b32 v160, v39 offset:544
; %bb.1080:                             ;   in Loop: Header=BB530_1040 Depth=2
	s_or_b32 exec_lo, exec_lo, s23
	v_xor_b32_e32 v158, 0x7fffffff, v158
	; wave barrier
	v_lshrrev_b32_e32 v39, s41, v158
	v_and_b32_e32 v40, s62, v39
	v_and_b32_e32 v39, 1, v40
	v_lshlrev_b32_e32 v162, 30, v40
	v_lshlrev_b32_e32 v163, 29, v40
	v_lshlrev_b32_e32 v166, 28, v40
	v_lshlrev_b32_e32 v167, 27, v40
	v_add_co_u32 v39, s23, v39, -1
	v_cndmask_b32_e64 v164, 0, 1, s23
	v_not_b32_e32 v171, v162
	v_cmp_gt_i32_e64 s23, 0, v162
	v_not_b32_e32 v162, v163
	v_lshlrev_b32_e32 v168, 26, v40
	v_cmp_ne_u32_e32 vcc_lo, 0, v164
	v_ashrrev_i32_e32 v171, 31, v171
	v_lshlrev_b32_e32 v164, 25, v40
	v_ashrrev_i32_e32 v162, 31, v162
	v_xor_b32_e32 v39, vcc_lo, v39
	v_cmp_gt_i32_e32 vcc_lo, 0, v163
	v_not_b32_e32 v163, v166
	v_xor_b32_e32 v171, s23, v171
	v_cmp_gt_i32_e64 s23, 0, v166
	v_and_b32_e32 v39, exec_lo, v39
	v_not_b32_e32 v166, v167
	v_ashrrev_i32_e32 v163, 31, v163
	v_xor_b32_e32 v162, vcc_lo, v162
	v_cmp_gt_i32_e32 vcc_lo, 0, v167
	v_and_b32_e32 v39, v39, v171
	v_not_b32_e32 v167, v168
	v_ashrrev_i32_e32 v166, 31, v166
	v_xor_b32_e32 v163, s23, v163
	v_cmp_gt_i32_e64 s23, 0, v168
	v_and_b32_e32 v39, v39, v162
	v_not_b32_e32 v162, v164
	v_ashrrev_i32_e32 v167, 31, v167
	v_xor_b32_e32 v166, vcc_lo, v166
	v_cmp_gt_i32_e32 vcc_lo, 0, v164
	v_and_b32_e32 v39, v39, v163
	v_ashrrev_i32_e32 v162, 31, v162
	v_xor_b32_e32 v163, s23, v167
	v_mad_u32_u24 v164, v40, 36, v136
	v_mul_u32_u24_e32 v40, 36, v40
	v_and_b32_e32 v39, v39, v166
	v_xor_b32_e32 v166, vcc_lo, v162
	ds_read_b32 v162, v164 offset:544
	v_add_nc_u32_e32 v164, v136, v40
	v_and_b32_e32 v39, v39, v163
	; wave barrier
	v_and_b32_e32 v39, v39, v166
	v_mbcnt_lo_u32_b32 v163, v39, 0
	v_cmp_ne_u32_e64 s23, 0, v39
	v_cmp_eq_u32_e32 vcc_lo, 0, v163
	s_and_b32 s24, s23, vcc_lo
	s_and_saveexec_b32 s23, s24
	s_cbranch_execz .LBB530_1082
; %bb.1081:                             ;   in Loop: Header=BB530_1040 Depth=2
	s_waitcnt lgkmcnt(0)
	v_bcnt_u32_b32 v39, v39, v162
	ds_write_b32 v164, v39 offset:544
.LBB530_1082:                           ;   in Loop: Header=BB530_1040 Depth=2
	s_or_b32 exec_lo, exec_lo, s23
	v_xor_b32_e32 v161, 0x7fffffff, v161
	; wave barrier
	v_lshrrev_b32_e32 v39, s41, v161
	v_and_b32_e32 v40, s62, v39
	v_and_b32_e32 v39, 1, v40
	v_lshlrev_b32_e32 v166, 30, v40
	v_lshlrev_b32_e32 v167, 29, v40
	v_lshlrev_b32_e32 v171, 28, v40
	v_lshlrev_b32_e32 v172, 27, v40
	v_add_co_u32 v39, s23, v39, -1
	v_cndmask_b32_e64 v168, 0, 1, s23
	v_not_b32_e32 v176, v166
	v_cmp_gt_i32_e64 s23, 0, v166
	v_not_b32_e32 v166, v167
	v_lshlrev_b32_e32 v173, 26, v40
	v_cmp_ne_u32_e32 vcc_lo, 0, v168
	v_ashrrev_i32_e32 v176, 31, v176
	v_lshlrev_b32_e32 v168, 25, v40
	v_ashrrev_i32_e32 v166, 31, v166
	v_xor_b32_e32 v39, vcc_lo, v39
	v_cmp_gt_i32_e32 vcc_lo, 0, v167
	v_not_b32_e32 v167, v171
	v_xor_b32_e32 v176, s23, v176
	v_cmp_gt_i32_e64 s23, 0, v171
	v_and_b32_e32 v39, exec_lo, v39
	v_not_b32_e32 v171, v172
	v_ashrrev_i32_e32 v167, 31, v167
	v_xor_b32_e32 v166, vcc_lo, v166
	v_cmp_gt_i32_e32 vcc_lo, 0, v172
	v_and_b32_e32 v39, v39, v176
	v_not_b32_e32 v172, v173
	v_ashrrev_i32_e32 v171, 31, v171
	v_xor_b32_e32 v167, s23, v167
	v_cmp_gt_i32_e64 s23, 0, v173
	v_and_b32_e32 v39, v39, v166
	v_not_b32_e32 v166, v168
	v_ashrrev_i32_e32 v172, 31, v172
	v_xor_b32_e32 v171, vcc_lo, v171
	v_cmp_gt_i32_e32 vcc_lo, 0, v168
	v_and_b32_e32 v39, v39, v167
	v_ashrrev_i32_e32 v166, 31, v166
	v_xor_b32_e32 v167, s23, v172
	v_mad_u32_u24 v168, v40, 36, v136
	v_mul_u32_u24_e32 v40, 36, v40
	v_and_b32_e32 v39, v39, v171
	v_xor_b32_e32 v171, vcc_lo, v166
	ds_read_b32 v166, v168 offset:544
	v_add_nc_u32_e32 v168, v136, v40
	v_and_b32_e32 v39, v39, v167
	; wave barrier
	v_and_b32_e32 v39, v39, v171
	v_mbcnt_lo_u32_b32 v167, v39, 0
	v_cmp_ne_u32_e64 s23, 0, v39
	v_cmp_eq_u32_e32 vcc_lo, 0, v167
	s_and_b32 s24, s23, vcc_lo
	s_and_saveexec_b32 s23, s24
	s_cbranch_execz .LBB530_1084
; %bb.1083:                             ;   in Loop: Header=BB530_1040 Depth=2
	s_waitcnt lgkmcnt(0)
	v_bcnt_u32_b32 v39, v39, v166
	ds_write_b32 v168, v39 offset:544
.LBB530_1084:                           ;   in Loop: Header=BB530_1040 Depth=2
	;; [unrolled: 63-line block ×9, first 2 shown]
	s_or_b32 exec_lo, exec_lo, s23
	v_xor_b32_e32 v183, 0x7fffffff, v183
	; wave barrier
	v_lshrrev_b32_e32 v39, s41, v183
	v_and_b32_e32 v40, s62, v39
	v_and_b32_e32 v39, 1, v40
	v_lshlrev_b32_e32 v200, 30, v40
	v_lshlrev_b32_e32 v201, 29, v40
	;; [unrolled: 1-line block ×4, first 2 shown]
	v_add_co_u32 v39, s23, v39, -1
	v_cndmask_b32_e64 v202, 0, 1, s23
	v_not_b32_e32 v206, v200
	v_cmp_gt_i32_e64 s23, 0, v200
	v_not_b32_e32 v200, v201
	v_lshlrev_b32_e32 v205, 26, v40
	v_cmp_ne_u32_e32 vcc_lo, 0, v202
	v_ashrrev_i32_e32 v206, 31, v206
	v_lshlrev_b32_e32 v202, 25, v40
	v_ashrrev_i32_e32 v200, 31, v200
	v_xor_b32_e32 v39, vcc_lo, v39
	v_cmp_gt_i32_e32 vcc_lo, 0, v201
	v_not_b32_e32 v201, v203
	v_xor_b32_e32 v206, s23, v206
	v_cmp_gt_i32_e64 s23, 0, v203
	v_and_b32_e32 v39, exec_lo, v39
	v_not_b32_e32 v203, v204
	v_ashrrev_i32_e32 v201, 31, v201
	v_xor_b32_e32 v200, vcc_lo, v200
	v_cmp_gt_i32_e32 vcc_lo, 0, v204
	v_and_b32_e32 v39, v39, v206
	v_not_b32_e32 v204, v205
	v_ashrrev_i32_e32 v203, 31, v203
	v_xor_b32_e32 v201, s23, v201
	v_cmp_gt_i32_e64 s23, 0, v205
	v_and_b32_e32 v39, v39, v200
	v_not_b32_e32 v200, v202
	v_ashrrev_i32_e32 v204, 31, v204
	v_xor_b32_e32 v203, vcc_lo, v203
	v_cmp_gt_i32_e32 vcc_lo, 0, v202
	v_and_b32_e32 v39, v39, v201
	v_ashrrev_i32_e32 v200, 31, v200
	v_xor_b32_e32 v201, s23, v204
	v_mad_u32_u24 v202, v40, 36, v136
	v_mul_u32_u24_e32 v40, 36, v40
	v_and_b32_e32 v39, v39, v203
	v_xor_b32_e32 v200, vcc_lo, v200
	v_add_nc_u32_e32 v203, v136, v40
	v_and_b32_e32 v39, v39, v201
	ds_read_b32 v201, v202 offset:544
	; wave barrier
	v_and_b32_e32 v39, v39, v200
	v_mbcnt_lo_u32_b32 v202, v39, 0
	v_cmp_ne_u32_e64 s23, 0, v39
	v_cmp_eq_u32_e32 vcc_lo, 0, v202
	s_and_b32 s24, s23, vcc_lo
	s_and_saveexec_b32 s23, s24
	s_cbranch_execz .LBB530_1100
; %bb.1099:                             ;   in Loop: Header=BB530_1040 Depth=2
	s_waitcnt lgkmcnt(0)
	v_bcnt_u32_b32 v39, v39, v201
	ds_write_b32 v203, v39 offset:544
.LBB530_1100:                           ;   in Loop: Header=BB530_1040 Depth=2
	s_or_b32 exec_lo, exec_lo, s23
	v_xor_b32_e32 v200, 0x7fffffff, v178
	; wave barrier
	v_lshrrev_b32_e32 v39, s41, v200
	v_and_b32_e32 v40, s62, v39
	v_and_b32_e32 v39, 1, v40
	v_lshlrev_b32_e32 v178, 30, v40
	v_lshlrev_b32_e32 v204, 29, v40
	v_lshlrev_b32_e32 v206, 28, v40
	v_lshlrev_b32_e32 v207, 27, v40
	v_add_co_u32 v39, s23, v39, -1
	v_cndmask_b32_e64 v205, 0, 1, s23
	v_not_b32_e32 v209, v178
	v_cmp_gt_i32_e64 s23, 0, v178
	v_not_b32_e32 v178, v204
	v_lshlrev_b32_e32 v208, 26, v40
	v_cmp_ne_u32_e32 vcc_lo, 0, v205
	v_ashrrev_i32_e32 v209, 31, v209
	v_lshlrev_b32_e32 v205, 25, v40
	v_ashrrev_i32_e32 v178, 31, v178
	v_xor_b32_e32 v39, vcc_lo, v39
	v_cmp_gt_i32_e32 vcc_lo, 0, v204
	v_not_b32_e32 v204, v206
	v_xor_b32_e32 v209, s23, v209
	v_cmp_gt_i32_e64 s23, 0, v206
	v_and_b32_e32 v39, exec_lo, v39
	v_not_b32_e32 v206, v207
	v_ashrrev_i32_e32 v204, 31, v204
	v_xor_b32_e32 v178, vcc_lo, v178
	v_cmp_gt_i32_e32 vcc_lo, 0, v207
	v_and_b32_e32 v39, v39, v209
	v_not_b32_e32 v207, v208
	v_ashrrev_i32_e32 v206, 31, v206
	v_xor_b32_e32 v204, s23, v204
	v_cmp_gt_i32_e64 s23, 0, v208
	v_and_b32_e32 v39, v39, v178
	v_not_b32_e32 v178, v205
	v_ashrrev_i32_e32 v207, 31, v207
	v_xor_b32_e32 v206, vcc_lo, v206
	v_cmp_gt_i32_e32 vcc_lo, 0, v205
	v_and_b32_e32 v39, v39, v204
	v_ashrrev_i32_e32 v178, 31, v178
	v_xor_b32_e32 v204, s23, v207
	v_mad_u32_u24 v205, v40, 36, v136
	v_mul_u32_u24_e32 v40, 36, v40
	v_and_b32_e32 v39, v39, v206
	v_xor_b32_e32 v178, vcc_lo, v178
	ds_read_b32 v205, v205 offset:544
	v_and_b32_e32 v39, v39, v204
	; wave barrier
	v_and_b32_e32 v39, v39, v178
	v_add_nc_u32_e32 v178, v136, v40
	v_mbcnt_lo_u32_b32 v206, v39, 0
	v_cmp_ne_u32_e64 s23, 0, v39
	v_cmp_eq_u32_e32 vcc_lo, 0, v206
	s_and_b32 s24, s23, vcc_lo
	s_and_saveexec_b32 s23, s24
	s_cbranch_execz .LBB530_1102
; %bb.1101:                             ;   in Loop: Header=BB530_1040 Depth=2
	s_waitcnt lgkmcnt(0)
	v_bcnt_u32_b32 v39, v39, v205
	ds_write_b32 v178, v39 offset:544
.LBB530_1102:                           ;   in Loop: Header=BB530_1040 Depth=2
	s_or_b32 exec_lo, exec_lo, s23
	v_xor_b32_e32 v204, 0x7fffffff, v174
	; wave barrier
	v_lshrrev_b32_e32 v39, s41, v204
	v_and_b32_e32 v40, s62, v39
	v_and_b32_e32 v39, 1, v40
	v_lshlrev_b32_e32 v174, 30, v40
	v_lshlrev_b32_e32 v207, 29, v40
	v_lshlrev_b32_e32 v209, 28, v40
	v_lshlrev_b32_e32 v210, 27, v40
	v_add_co_u32 v39, s23, v39, -1
	v_cndmask_b32_e64 v208, 0, 1, s23
	v_not_b32_e32 v212, v174
	v_cmp_gt_i32_e64 s23, 0, v174
	v_not_b32_e32 v174, v207
	v_lshlrev_b32_e32 v211, 26, v40
	v_cmp_ne_u32_e32 vcc_lo, 0, v208
	v_ashrrev_i32_e32 v212, 31, v212
	v_lshlrev_b32_e32 v208, 25, v40
	v_ashrrev_i32_e32 v174, 31, v174
	v_xor_b32_e32 v39, vcc_lo, v39
	v_cmp_gt_i32_e32 vcc_lo, 0, v207
	v_not_b32_e32 v207, v209
	v_xor_b32_e32 v212, s23, v212
	v_cmp_gt_i32_e64 s23, 0, v209
	v_and_b32_e32 v39, exec_lo, v39
	v_not_b32_e32 v209, v210
	v_ashrrev_i32_e32 v207, 31, v207
	v_xor_b32_e32 v174, vcc_lo, v174
	v_cmp_gt_i32_e32 vcc_lo, 0, v210
	v_and_b32_e32 v39, v39, v212
	v_not_b32_e32 v210, v211
	v_ashrrev_i32_e32 v209, 31, v209
	v_xor_b32_e32 v207, s23, v207
	v_cmp_gt_i32_e64 s23, 0, v211
	v_and_b32_e32 v39, v39, v174
	v_not_b32_e32 v174, v208
	v_ashrrev_i32_e32 v210, 31, v210
	v_xor_b32_e32 v209, vcc_lo, v209
	v_cmp_gt_i32_e32 vcc_lo, 0, v208
	v_and_b32_e32 v39, v39, v207
	v_ashrrev_i32_e32 v174, 31, v174
	v_xor_b32_e32 v207, s23, v210
	v_mad_u32_u24 v208, v40, 36, v136
	v_mul_u32_u24_e32 v40, 36, v40
	v_and_b32_e32 v39, v39, v209
	v_xor_b32_e32 v174, vcc_lo, v174
	ds_read_b32 v208, v208 offset:544
	v_and_b32_e32 v39, v39, v207
	; wave barrier
	v_and_b32_e32 v39, v39, v174
	v_add_nc_u32_e32 v174, v136, v40
	;; [unrolled: 63-line block ×3, first 2 shown]
	v_mbcnt_lo_u32_b32 v212, v39, 0
	v_cmp_ne_u32_e64 s23, 0, v39
	v_cmp_eq_u32_e32 vcc_lo, 0, v212
	s_and_b32 s24, s23, vcc_lo
	s_and_saveexec_b32 s23, s24
	s_cbranch_execz .LBB530_1106
; %bb.1105:                             ;   in Loop: Header=BB530_1040 Depth=2
	s_waitcnt lgkmcnt(0)
	v_bcnt_u32_b32 v39, v39, v211
	ds_write_b32 v169, v39 offset:544
.LBB530_1106:                           ;   in Loop: Header=BB530_1040 Depth=2
	s_or_b32 exec_lo, exec_lo, s23
	v_xor_b32_e32 v210, 0x7fffffff, v42
	; wave barrier
	v_lshrrev_b32_e32 v39, s41, v210
	v_and_b32_e32 v40, s62, v39
	v_and_b32_e32 v39, 1, v40
	v_lshlrev_b32_e32 v42, 30, v40
	v_lshlrev_b32_e32 v213, 29, v40
	;; [unrolled: 1-line block ×4, first 2 shown]
	v_add_co_u32 v39, s23, v39, -1
	v_cndmask_b32_e64 v214, 0, 1, s23
	v_not_b32_e32 v218, v42
	v_cmp_gt_i32_e64 s23, 0, v42
	v_not_b32_e32 v42, v213
	v_lshlrev_b32_e32 v217, 26, v40
	v_cmp_ne_u32_e32 vcc_lo, 0, v214
	v_ashrrev_i32_e32 v218, 31, v218
	v_lshlrev_b32_e32 v214, 25, v40
	v_ashrrev_i32_e32 v42, 31, v42
	v_xor_b32_e32 v39, vcc_lo, v39
	v_cmp_gt_i32_e32 vcc_lo, 0, v213
	v_not_b32_e32 v213, v215
	v_xor_b32_e32 v218, s23, v218
	v_cmp_gt_i32_e64 s23, 0, v215
	v_and_b32_e32 v39, exec_lo, v39
	v_not_b32_e32 v215, v216
	v_ashrrev_i32_e32 v213, 31, v213
	v_xor_b32_e32 v42, vcc_lo, v42
	v_cmp_gt_i32_e32 vcc_lo, 0, v216
	v_and_b32_e32 v39, v39, v218
	v_not_b32_e32 v216, v217
	v_ashrrev_i32_e32 v215, 31, v215
	v_xor_b32_e32 v213, s23, v213
	v_cmp_gt_i32_e64 s23, 0, v217
	v_and_b32_e32 v39, v39, v42
	v_not_b32_e32 v42, v214
	v_ashrrev_i32_e32 v216, 31, v216
	v_xor_b32_e32 v215, vcc_lo, v215
	v_cmp_gt_i32_e32 vcc_lo, 0, v214
	v_and_b32_e32 v39, v39, v213
	v_ashrrev_i32_e32 v42, 31, v42
	v_xor_b32_e32 v213, s23, v216
	v_mad_u32_u24 v214, v40, 36, v136
	v_mul_u32_u24_e32 v40, 36, v40
	v_and_b32_e32 v39, v39, v215
	v_xor_b32_e32 v42, vcc_lo, v42
	ds_read_b32 v214, v214 offset:544
	v_add_nc_u32_e32 v216, v136, v40
	v_and_b32_e32 v39, v39, v213
	; wave barrier
	v_and_b32_e32 v39, v39, v42
	v_mbcnt_lo_u32_b32 v215, v39, 0
	v_cmp_ne_u32_e64 s23, 0, v39
	v_cmp_eq_u32_e32 vcc_lo, 0, v215
	s_and_b32 s24, s23, vcc_lo
	s_and_saveexec_b32 s23, s24
	s_cbranch_execz .LBB530_1108
; %bb.1107:                             ;   in Loop: Header=BB530_1040 Depth=2
	s_waitcnt lgkmcnt(0)
	v_bcnt_u32_b32 v39, v39, v214
	ds_write_b32 v216, v39 offset:544
.LBB530_1108:                           ;   in Loop: Header=BB530_1040 Depth=2
	s_or_b32 exec_lo, exec_lo, s23
	v_xor_b32_e32 v213, 0x7fffffff, v41
	; wave barrier
	v_lshrrev_b32_e32 v39, s41, v213
	v_and_b32_e32 v40, s62, v39
	v_and_b32_e32 v39, 1, v40
	v_lshlrev_b32_e32 v41, 30, v40
	v_lshlrev_b32_e32 v42, 29, v40
	;; [unrolled: 1-line block ×4, first 2 shown]
	v_add_co_u32 v39, s23, v39, -1
	v_cndmask_b32_e64 v217, 0, 1, s23
	v_not_b32_e32 v221, v41
	v_cmp_gt_i32_e64 s23, 0, v41
	v_not_b32_e32 v41, v42
	v_lshlrev_b32_e32 v220, 26, v40
	v_cmp_ne_u32_e32 vcc_lo, 0, v217
	v_ashrrev_i32_e32 v221, 31, v221
	v_lshlrev_b32_e32 v217, 25, v40
	v_ashrrev_i32_e32 v41, 31, v41
	v_xor_b32_e32 v39, vcc_lo, v39
	v_cmp_gt_i32_e32 vcc_lo, 0, v42
	v_not_b32_e32 v42, v218
	v_xor_b32_e32 v221, s23, v221
	v_cmp_gt_i32_e64 s23, 0, v218
	v_and_b32_e32 v39, exec_lo, v39
	v_not_b32_e32 v218, v219
	v_ashrrev_i32_e32 v42, 31, v42
	v_xor_b32_e32 v41, vcc_lo, v41
	v_cmp_gt_i32_e32 vcc_lo, 0, v219
	v_and_b32_e32 v39, v39, v221
	v_not_b32_e32 v219, v220
	v_ashrrev_i32_e32 v218, 31, v218
	v_xor_b32_e32 v42, s23, v42
	v_cmp_gt_i32_e64 s23, 0, v220
	v_and_b32_e32 v39, v39, v41
	v_not_b32_e32 v41, v217
	v_ashrrev_i32_e32 v219, 31, v219
	v_xor_b32_e32 v218, vcc_lo, v218
	v_cmp_gt_i32_e32 vcc_lo, 0, v217
	v_and_b32_e32 v39, v39, v42
	v_ashrrev_i32_e32 v41, 31, v41
	v_xor_b32_e32 v42, s23, v219
	v_mad_u32_u24 v217, v40, 36, v136
	v_mul_u32_u24_e32 v40, 36, v40
	v_and_b32_e32 v39, v39, v218
	v_xor_b32_e32 v41, vcc_lo, v41
	ds_read_b32 v217, v217 offset:544
	v_add_nc_u32_e32 v219, v136, v40
	v_and_b32_e32 v39, v39, v42
	; wave barrier
	v_and_b32_e32 v39, v39, v41
	v_mbcnt_lo_u32_b32 v218, v39, 0
	v_cmp_ne_u32_e64 s23, 0, v39
	v_cmp_eq_u32_e32 vcc_lo, 0, v218
	s_and_b32 s24, s23, vcc_lo
	s_and_saveexec_b32 s23, s24
	s_cbranch_execz .LBB530_1110
; %bb.1109:                             ;   in Loop: Header=BB530_1040 Depth=2
	s_waitcnt lgkmcnt(0)
	v_bcnt_u32_b32 v39, v39, v217
	ds_write_b32 v219, v39 offset:544
.LBB530_1110:                           ;   in Loop: Header=BB530_1040 Depth=2
	s_or_b32 exec_lo, exec_lo, s23
	v_lshrrev_b32_e32 v39, s41, v3
	; wave barrier
	v_and_b32_e32 v40, s62, v39
	v_and_b32_e32 v39, 1, v40
	v_lshlrev_b32_e32 v41, 30, v40
	v_lshlrev_b32_e32 v42, 29, v40
	;; [unrolled: 1-line block ×4, first 2 shown]
	v_add_co_u32 v39, s23, v39, -1
	v_cndmask_b32_e64 v220, 0, 1, s23
	v_not_b32_e32 v224, v41
	v_cmp_gt_i32_e64 s23, 0, v41
	v_not_b32_e32 v41, v42
	v_lshlrev_b32_e32 v223, 26, v40
	v_cmp_ne_u32_e32 vcc_lo, 0, v220
	v_ashrrev_i32_e32 v224, 31, v224
	v_lshlrev_b32_e32 v220, 25, v40
	v_ashrrev_i32_e32 v41, 31, v41
	v_xor_b32_e32 v39, vcc_lo, v39
	v_cmp_gt_i32_e32 vcc_lo, 0, v42
	v_not_b32_e32 v42, v221
	v_xor_b32_e32 v224, s23, v224
	v_cmp_gt_i32_e64 s23, 0, v221
	v_and_b32_e32 v39, exec_lo, v39
	v_not_b32_e32 v221, v222
	v_ashrrev_i32_e32 v42, 31, v42
	v_xor_b32_e32 v41, vcc_lo, v41
	v_cmp_gt_i32_e32 vcc_lo, 0, v222
	v_and_b32_e32 v39, v39, v224
	v_not_b32_e32 v222, v223
	v_ashrrev_i32_e32 v221, 31, v221
	v_xor_b32_e32 v42, s23, v42
	v_cmp_gt_i32_e64 s23, 0, v223
	v_and_b32_e32 v39, v39, v41
	v_not_b32_e32 v41, v220
	v_ashrrev_i32_e32 v222, 31, v222
	v_xor_b32_e32 v221, vcc_lo, v221
	v_cmp_gt_i32_e32 vcc_lo, 0, v220
	v_and_b32_e32 v39, v39, v42
	v_ashrrev_i32_e32 v41, 31, v41
	v_xor_b32_e32 v42, s23, v222
	v_mad_u32_u24 v220, v40, 36, v136
	v_mul_u32_u24_e32 v40, 36, v40
	v_and_b32_e32 v39, v39, v221
	v_xor_b32_e32 v41, vcc_lo, v41
	ds_read_b32 v220, v220 offset:544
	v_add_nc_u32_e32 v222, v136, v40
	v_and_b32_e32 v39, v39, v42
	; wave barrier
	v_and_b32_e32 v39, v39, v41
	v_mbcnt_lo_u32_b32 v221, v39, 0
	v_cmp_ne_u32_e64 s23, 0, v39
	v_cmp_eq_u32_e32 vcc_lo, 0, v221
	s_and_b32 s24, s23, vcc_lo
	s_and_saveexec_b32 s23, s24
	s_cbranch_execz .LBB530_1112
; %bb.1111:                             ;   in Loop: Header=BB530_1040 Depth=2
	s_waitcnt lgkmcnt(0)
	v_bcnt_u32_b32 v39, v39, v220
	ds_write_b32 v222, v39 offset:544
.LBB530_1112:                           ;   in Loop: Header=BB530_1040 Depth=2
	s_or_b32 exec_lo, exec_lo, s23
	; wave barrier
	s_waitcnt lgkmcnt(0)
	s_barrier
	buffer_gl0_inv
	ds_read2_b32 v[41:42], v68 offset0:136 offset1:137
	ds_read2_b32 v[39:40], v68 offset0:138 offset1:139
	ds_read_b32 v223, v68 offset:560
	s_waitcnt lgkmcnt(1)
	v_add3_u32 v224, v42, v41, v39
	s_waitcnt lgkmcnt(0)
	v_add3_u32 v223, v224, v40, v223
	v_mov_b32_dpp v224, v223 row_shr:1 row_mask:0xf bank_mask:0xf
	v_cndmask_b32_e64 v224, v224, 0, s5
	v_add_nc_u32_e32 v223, v224, v223
	v_mov_b32_dpp v224, v223 row_shr:2 row_mask:0xf bank_mask:0xf
	v_cndmask_b32_e64 v224, 0, v224, s16
	v_add_nc_u32_e32 v223, v223, v224
	;; [unrolled: 3-line block ×4, first 2 shown]
	ds_swizzle_b32 v224, v223 offset:swizzle(BROADCAST,32,15)
	s_waitcnt lgkmcnt(0)
	v_cndmask_b32_e64 v224, v224, 0, s19
	v_add_nc_u32_e32 v223, v223, v224
	s_and_saveexec_b32 s23, s4
; %bb.1113:                             ;   in Loop: Header=BB530_1040 Depth=2
	ds_write_b32 v62, v223 offset:512
; %bb.1114:                             ;   in Loop: Header=BB530_1040 Depth=2
	s_or_b32 exec_lo, exec_lo, s23
	s_waitcnt lgkmcnt(0)
	s_barrier
	buffer_gl0_inv
	s_and_saveexec_b32 s23, s12
	s_cbranch_execz .LBB530_1116
; %bb.1115:                             ;   in Loop: Header=BB530_1040 Depth=2
	ds_read_b32 v224, v69 offset:512
	s_waitcnt lgkmcnt(0)
	v_mov_b32_dpp v225, v224 row_shr:1 row_mask:0xf bank_mask:0xf
	v_cndmask_b32_e64 v225, v225, 0, s20
	v_add_nc_u32_e32 v224, v225, v224
	v_mov_b32_dpp v225, v224 row_shr:2 row_mask:0xf bank_mask:0xf
	v_cndmask_b32_e64 v225, 0, v225, s21
	v_add_nc_u32_e32 v224, v224, v225
	;; [unrolled: 3-line block ×3, first 2 shown]
	ds_write_b32 v69, v224 offset:512
.LBB530_1116:                           ;   in Loop: Header=BB530_1040 Depth=2
	s_or_b32 exec_lo, exec_lo, s23
	v_mov_b32_e32 v224, 0
	s_waitcnt lgkmcnt(0)
	s_barrier
	buffer_gl0_inv
	s_and_saveexec_b32 s23, s11
; %bb.1117:                             ;   in Loop: Header=BB530_1040 Depth=2
	ds_read_b32 v224, v62 offset:508
; %bb.1118:                             ;   in Loop: Header=BB530_1040 Depth=2
	s_or_b32 exec_lo, exec_lo, s23
	s_waitcnt lgkmcnt(0)
	v_add_nc_u32_e32 v223, v224, v223
	ds_bpermute_b32 v223, v131, v223
	s_waitcnt lgkmcnt(0)
	v_cndmask_b32_e64 v223, v223, v224, s15
	v_cndmask_b32_e64 v223, v223, 0, s13
	v_add_nc_u32_e32 v41, v223, v41
	v_add_nc_u32_e32 v42, v41, v42
	;; [unrolled: 1-line block ×4, first 2 shown]
	ds_write2_b32 v68, v223, v41 offset0:136 offset1:137
	ds_write2_b32 v68, v42, v39 offset0:138 offset1:139
	ds_write_b32 v68, v40 offset:560
	s_waitcnt lgkmcnt(0)
	s_barrier
	buffer_gl0_inv
	ds_read_b32 v41, v160 offset:544
	ds_read_b32 v42, v164 offset:544
	;; [unrolled: 1-line block ×17, first 2 shown]
	s_and_saveexec_b32 s23, s8
	s_cbranch_execz .LBB530_1122
; %bb.1119:                             ;   in Loop: Header=BB530_1040 Depth=2
	ds_read_b32 v152, v71 offset:544
	v_mov_b32_e32 v155, 0x1100
	s_and_saveexec_b32 s24, s14
; %bb.1120:                             ;   in Loop: Header=BB530_1040 Depth=2
	ds_read_b32 v155, v70 offset:544
; %bb.1121:                             ;   in Loop: Header=BB530_1040 Depth=2
	s_or_b32 exec_lo, exec_lo, s24
	s_waitcnt lgkmcnt(0)
	v_sub_nc_u32_e32 v155, v155, v152
.LBB530_1122:                           ;   in Loop: Header=BB530_1040 Depth=2
	s_or_b32 exec_lo, exec_lo, s23
	s_waitcnt lgkmcnt(0)
	s_barrier
	buffer_gl0_inv
	s_and_saveexec_b32 s23, s8
	s_cbranch_execz .LBB530_1124
; %bb.1123:                             ;   in Loop: Header=BB530_1040 Depth=2
	ds_read_b32 v169, v43
	s_waitcnt lgkmcnt(0)
	v_sub_nc_u32_e32 v169, v169, v152
	ds_write_b32 v43, v169
.LBB530_1124:                           ;   in Loop: Header=BB530_1040 Depth=2
	s_or_b32 exec_lo, exec_lo, s23
	v_add_nc_u32_e32 v179, v41, v159
	v_add3_u32 v178, v163, v162, v42
	v_add3_u32 v174, v167, v166, v164
	;; [unrolled: 1-line block ×5, first 2 shown]
	v_lshlrev_b32_e32 v176, 2, v179
	v_lshlrev_b32_e32 v177, 2, v178
	v_add3_u32 v162, v218, v217, v39
	v_lshlrev_b32_e32 v39, 2, v174
	v_add3_u32 v171, v182, v181, v184
	v_add3_u32 v168, v192, v191, v193
	;; [unrolled: 1-line block ×4, first 2 shown]
	ds_write_b32 v176, v157 offset:512
	ds_write_b32 v177, v158 offset:512
	v_lshlrev_b32_e32 v40, 2, v173
	ds_write_b32 v39, v161 offset:512
	v_lshlrev_b32_e32 v39, 2, v169
	v_add3_u32 v166, v198, v197, v199
	v_lshlrev_b32_e32 v157, 2, v172
	v_add3_u32 v164, v202, v201, v203
	v_lshlrev_b32_e32 v158, 2, v171
	v_add3_u32 v163, v206, v205, v224
	v_add3_u32 v42, v209, v208, v225
	ds_write_b32 v40, v165 offset:512
	ds_write_b32 v157, v170 offset:512
	;; [unrolled: 1-line block ×3, first 2 shown]
	v_lshlrev_b32_e32 v40, 2, v168
	ds_write_b32 v39, v180 offset:512
	v_lshlrev_b32_e32 v39, 2, v167
	v_lshlrev_b32_e32 v157, 2, v166
	;; [unrolled: 1-line block ×3, first 2 shown]
	v_add3_u32 v41, v212, v211, v226
	ds_write_b32 v40, v185 offset:512
	v_lshlrev_b32_e32 v40, 2, v163
	ds_write_b32 v39, v190 offset:512
	ds_write_b32 v157, v188 offset:512
	;; [unrolled: 1-line block ×3, first 2 shown]
	v_lshlrev_b32_e32 v39, 2, v42
	v_add3_u32 v160, v215, v214, v160
	v_cmp_lt_u32_e32 vcc_lo, v0, v156
	ds_write_b32 v40, v200 offset:512
	v_lshlrev_b32_e32 v40, 2, v41
	ds_write_b32 v39, v204 offset:512
	v_lshlrev_b32_e32 v39, 2, v159
	v_lshlrev_b32_e32 v157, 2, v160
	;; [unrolled: 1-line block ×3, first 2 shown]
	ds_write_b32 v40, v207 offset:512
	ds_write_b32 v157, v210 offset:512
	ds_write_b32 v158, v213 offset:512
	ds_write_b32 v39, v3 offset:512
	s_waitcnt lgkmcnt(0)
	s_barrier
	buffer_gl0_inv
	s_and_saveexec_b32 s24, vcc_lo
	s_cbranch_execnz .LBB530_1197
; %bb.1125:                             ;   in Loop: Header=BB530_1040 Depth=2
	s_or_b32 exec_lo, exec_lo, s24
	v_cmp_lt_u32_e64 s23, v44, v156
	s_and_saveexec_b32 s25, s23
	s_cbranch_execnz .LBB530_1198
.LBB530_1126:                           ;   in Loop: Header=BB530_1040 Depth=2
	s_or_b32 exec_lo, exec_lo, s25
	v_cmp_lt_u32_e64 s24, v47, v156
	s_and_saveexec_b32 s26, s24
	s_cbranch_execnz .LBB530_1199
.LBB530_1127:                           ;   in Loop: Header=BB530_1040 Depth=2
	s_or_b32 exec_lo, exec_lo, s26
	v_cmp_lt_u32_e64 s25, v48, v156
	s_and_saveexec_b32 s27, s25
	s_cbranch_execnz .LBB530_1200
.LBB530_1128:                           ;   in Loop: Header=BB530_1040 Depth=2
	s_or_b32 exec_lo, exec_lo, s27
	v_cmp_lt_u32_e64 s26, v49, v156
	s_and_saveexec_b32 s28, s26
	s_cbranch_execnz .LBB530_1201
.LBB530_1129:                           ;   in Loop: Header=BB530_1040 Depth=2
	s_or_b32 exec_lo, exec_lo, s28
	v_cmp_lt_u32_e64 s27, v50, v156
	s_and_saveexec_b32 s29, s27
	s_cbranch_execnz .LBB530_1202
.LBB530_1130:                           ;   in Loop: Header=BB530_1040 Depth=2
	s_or_b32 exec_lo, exec_lo, s29
	v_cmp_lt_u32_e64 s28, v51, v156
	s_and_saveexec_b32 s30, s28
	s_cbranch_execnz .LBB530_1203
.LBB530_1131:                           ;   in Loop: Header=BB530_1040 Depth=2
	s_or_b32 exec_lo, exec_lo, s30
	v_cmp_lt_u32_e64 s29, v52, v156
	s_and_saveexec_b32 s31, s29
	s_cbranch_execnz .LBB530_1204
.LBB530_1132:                           ;   in Loop: Header=BB530_1040 Depth=2
	s_or_b32 exec_lo, exec_lo, s31
	v_cmp_lt_u32_e64 s30, v53, v156
	s_and_saveexec_b32 s33, s30
	s_cbranch_execnz .LBB530_1205
.LBB530_1133:                           ;   in Loop: Header=BB530_1040 Depth=2
	s_or_b32 exec_lo, exec_lo, s33
	v_cmp_lt_u32_e64 s31, v54, v156
	s_and_saveexec_b32 s34, s31
	s_cbranch_execnz .LBB530_1206
.LBB530_1134:                           ;   in Loop: Header=BB530_1040 Depth=2
	s_or_b32 exec_lo, exec_lo, s34
	v_cmp_lt_u32_e64 s33, v55, v156
	s_and_saveexec_b32 s35, s33
	s_cbranch_execnz .LBB530_1207
.LBB530_1135:                           ;   in Loop: Header=BB530_1040 Depth=2
	s_or_b32 exec_lo, exec_lo, s35
	v_cmp_lt_u32_e64 s34, v56, v156
	s_and_saveexec_b32 s36, s34
	s_cbranch_execnz .LBB530_1208
.LBB530_1136:                           ;   in Loop: Header=BB530_1040 Depth=2
	s_or_b32 exec_lo, exec_lo, s36
	v_cmp_lt_u32_e64 s35, v57, v156
	s_and_saveexec_b32 s37, s35
	s_cbranch_execnz .LBB530_1209
.LBB530_1137:                           ;   in Loop: Header=BB530_1040 Depth=2
	s_or_b32 exec_lo, exec_lo, s37
	v_cmp_lt_u32_e64 s36, v58, v156
	s_and_saveexec_b32 s38, s36
	s_cbranch_execnz .LBB530_1210
.LBB530_1138:                           ;   in Loop: Header=BB530_1040 Depth=2
	s_or_b32 exec_lo, exec_lo, s38
	v_cmp_lt_u32_e64 s37, v59, v156
	s_and_saveexec_b32 s39, s37
	s_cbranch_execnz .LBB530_1211
.LBB530_1139:                           ;   in Loop: Header=BB530_1040 Depth=2
	s_or_b32 exec_lo, exec_lo, s39
	v_cmp_lt_u32_e64 s38, v60, v156
	s_and_saveexec_b32 s40, s38
	s_cbranch_execnz .LBB530_1212
.LBB530_1140:                           ;   in Loop: Header=BB530_1040 Depth=2
	s_or_b32 exec_lo, exec_lo, s40
	v_cmp_lt_u32_e64 s39, v61, v156
	s_and_saveexec_b32 s65, s39
	s_cbranch_execz .LBB530_1142
.LBB530_1141:                           ;   in Loop: Header=BB530_1040 Depth=2
	ds_read_b32 v157, v69 offset:16896
	s_waitcnt lgkmcnt(0)
	v_lshrrev_b32_e32 v3, s41, v157
	v_and_b32_e32 v3, s62, v3
	v_lshlrev_b32_e32 v3, 2, v3
	ds_read_b32 v3, v3
	s_waitcnt lgkmcnt(0)
	v_add_nc_u32_e32 v3, v3, v61
	v_lshlrev_b64 v[39:40], 2, v[3:4]
	v_xor_b32_e32 v3, 0x7fffffff, v157
	v_add_co_u32 v39, s40, s48, v39
	v_add_co_ci_u32_e64 v40, null, s49, v40, s40
	global_store_dword v[39:40], v3, off
.LBB530_1142:                           ;   in Loop: Header=BB530_1040 Depth=2
	s_or_b32 exec_lo, exec_lo, s65
	s_lshl_b64 s[66:67], s[50:51], 3
	v_add_co_u32 v39, s40, v132, s66
	v_add_co_ci_u32_e64 v40, null, s67, v133, s40
	v_cmp_lt_u32_e64 s40, v109, v156
	s_and_saveexec_b32 s50, s40
	s_xor_b32 s40, exec_lo, s50
	s_cbranch_execnz .LBB530_1213
; %bb.1143:                             ;   in Loop: Header=BB530_1040 Depth=2
	s_or_b32 exec_lo, exec_lo, s40
	s_mov_b32 s50, exec_lo
	v_cmpx_lt_u32_e64 v112, v156
	s_cbranch_execnz .LBB530_1214
.LBB530_1144:                           ;   in Loop: Header=BB530_1040 Depth=2
	s_or_b32 exec_lo, exec_lo, s50
	s_mov_b32 s50, exec_lo
	v_cmpx_lt_u32_e64 v113, v156
	s_cbranch_execnz .LBB530_1215
.LBB530_1145:                           ;   in Loop: Header=BB530_1040 Depth=2
	s_or_b32 exec_lo, exec_lo, s50
	s_mov_b32 s50, exec_lo
	v_cmpx_lt_u32_e64 v114, v156
	s_cbranch_execnz .LBB530_1216
.LBB530_1146:                           ;   in Loop: Header=BB530_1040 Depth=2
	s_or_b32 exec_lo, exec_lo, s50
	s_mov_b32 s50, exec_lo
	v_cmpx_lt_u32_e64 v115, v156
	s_cbranch_execnz .LBB530_1217
.LBB530_1147:                           ;   in Loop: Header=BB530_1040 Depth=2
	s_or_b32 exec_lo, exec_lo, s50
	s_mov_b32 s50, exec_lo
	v_cmpx_lt_u32_e64 v116, v156
	s_cbranch_execnz .LBB530_1218
.LBB530_1148:                           ;   in Loop: Header=BB530_1040 Depth=2
	s_or_b32 exec_lo, exec_lo, s50
	s_mov_b32 s50, exec_lo
	v_cmpx_lt_u32_e64 v117, v156
	s_cbranch_execnz .LBB530_1219
.LBB530_1149:                           ;   in Loop: Header=BB530_1040 Depth=2
	s_or_b32 exec_lo, exec_lo, s50
	s_mov_b32 s50, exec_lo
	v_cmpx_lt_u32_e64 v118, v156
	s_cbranch_execnz .LBB530_1220
.LBB530_1150:                           ;   in Loop: Header=BB530_1040 Depth=2
	s_or_b32 exec_lo, exec_lo, s50
	s_mov_b32 s50, exec_lo
	v_cmpx_lt_u32_e64 v119, v156
	s_cbranch_execnz .LBB530_1221
.LBB530_1151:                           ;   in Loop: Header=BB530_1040 Depth=2
	s_or_b32 exec_lo, exec_lo, s50
	s_mov_b32 s50, exec_lo
	v_cmpx_lt_u32_e64 v120, v156
	s_cbranch_execnz .LBB530_1222
.LBB530_1152:                           ;   in Loop: Header=BB530_1040 Depth=2
	s_or_b32 exec_lo, exec_lo, s50
	s_mov_b32 s50, exec_lo
	v_cmpx_lt_u32_e64 v121, v156
	s_cbranch_execnz .LBB530_1223
.LBB530_1153:                           ;   in Loop: Header=BB530_1040 Depth=2
	s_or_b32 exec_lo, exec_lo, s50
	s_mov_b32 s50, exec_lo
	v_cmpx_lt_u32_e64 v122, v156
	s_cbranch_execnz .LBB530_1224
.LBB530_1154:                           ;   in Loop: Header=BB530_1040 Depth=2
	s_or_b32 exec_lo, exec_lo, s50
	s_mov_b32 s50, exec_lo
	v_cmpx_lt_u32_e64 v123, v156
	s_cbranch_execnz .LBB530_1225
.LBB530_1155:                           ;   in Loop: Header=BB530_1040 Depth=2
	s_or_b32 exec_lo, exec_lo, s50
	s_mov_b32 s50, exec_lo
	v_cmpx_lt_u32_e64 v124, v156
	s_cbranch_execnz .LBB530_1226
.LBB530_1156:                           ;   in Loop: Header=BB530_1040 Depth=2
	s_or_b32 exec_lo, exec_lo, s50
	s_mov_b32 s50, exec_lo
	v_cmpx_lt_u32_e64 v126, v156
	s_cbranch_execnz .LBB530_1227
.LBB530_1157:                           ;   in Loop: Header=BB530_1040 Depth=2
	s_or_b32 exec_lo, exec_lo, s50
	s_mov_b32 s50, exec_lo
	v_cmpx_lt_u32_e64 v127, v156
	s_cbranch_execnz .LBB530_1228
.LBB530_1158:                           ;   in Loop: Header=BB530_1040 Depth=2
	s_or_b32 exec_lo, exec_lo, s50
	s_mov_b32 s50, exec_lo
	v_cmpx_lt_u32_e64 v128, v156
	s_cbranch_execnz .LBB530_1229
.LBB530_1159:                           ;   in Loop: Header=BB530_1040 Depth=2
	s_or_b32 exec_lo, exec_lo, s50
	s_and_saveexec_b32 s40, vcc_lo
	s_cbranch_execnz .LBB530_1230
.LBB530_1160:                           ;   in Loop: Header=BB530_1040 Depth=2
	s_or_b32 exec_lo, exec_lo, s40
	s_and_saveexec_b32 s40, s23
	s_cbranch_execnz .LBB530_1231
.LBB530_1161:                           ;   in Loop: Header=BB530_1040 Depth=2
	s_or_b32 exec_lo, exec_lo, s40
	s_and_saveexec_b32 s40, s24
	s_cbranch_execnz .LBB530_1232
.LBB530_1162:                           ;   in Loop: Header=BB530_1040 Depth=2
	s_or_b32 exec_lo, exec_lo, s40
	s_and_saveexec_b32 s40, s25
	s_cbranch_execnz .LBB530_1233
.LBB530_1163:                           ;   in Loop: Header=BB530_1040 Depth=2
	s_or_b32 exec_lo, exec_lo, s40
	s_and_saveexec_b32 s40, s26
	s_cbranch_execnz .LBB530_1234
.LBB530_1164:                           ;   in Loop: Header=BB530_1040 Depth=2
	s_or_b32 exec_lo, exec_lo, s40
	s_and_saveexec_b32 s40, s27
	s_cbranch_execnz .LBB530_1235
.LBB530_1165:                           ;   in Loop: Header=BB530_1040 Depth=2
	s_or_b32 exec_lo, exec_lo, s40
	s_and_saveexec_b32 s40, s28
	s_cbranch_execnz .LBB530_1236
.LBB530_1166:                           ;   in Loop: Header=BB530_1040 Depth=2
	s_or_b32 exec_lo, exec_lo, s40
	s_and_saveexec_b32 s40, s29
	s_cbranch_execnz .LBB530_1237
.LBB530_1167:                           ;   in Loop: Header=BB530_1040 Depth=2
	s_or_b32 exec_lo, exec_lo, s40
	s_and_saveexec_b32 s40, s30
	s_cbranch_execnz .LBB530_1238
.LBB530_1168:                           ;   in Loop: Header=BB530_1040 Depth=2
	s_or_b32 exec_lo, exec_lo, s40
	s_and_saveexec_b32 s40, s31
	s_cbranch_execnz .LBB530_1239
.LBB530_1169:                           ;   in Loop: Header=BB530_1040 Depth=2
	s_or_b32 exec_lo, exec_lo, s40
	s_and_saveexec_b32 s40, s33
	s_cbranch_execnz .LBB530_1240
.LBB530_1170:                           ;   in Loop: Header=BB530_1040 Depth=2
	s_or_b32 exec_lo, exec_lo, s40
	s_and_saveexec_b32 s40, s34
	s_cbranch_execnz .LBB530_1241
.LBB530_1171:                           ;   in Loop: Header=BB530_1040 Depth=2
	s_or_b32 exec_lo, exec_lo, s40
	s_and_saveexec_b32 s40, s35
	s_cbranch_execnz .LBB530_1242
.LBB530_1172:                           ;   in Loop: Header=BB530_1040 Depth=2
	s_or_b32 exec_lo, exec_lo, s40
	s_and_saveexec_b32 s40, s36
	s_cbranch_execnz .LBB530_1243
.LBB530_1173:                           ;   in Loop: Header=BB530_1040 Depth=2
	s_or_b32 exec_lo, exec_lo, s40
	s_and_saveexec_b32 s40, s37
	s_cbranch_execnz .LBB530_1244
.LBB530_1174:                           ;   in Loop: Header=BB530_1040 Depth=2
	s_or_b32 exec_lo, exec_lo, s40
	s_and_saveexec_b32 s40, s38
	s_cbranch_execnz .LBB530_1245
.LBB530_1175:                           ;   in Loop: Header=BB530_1040 Depth=2
	s_or_b32 exec_lo, exec_lo, s40
	s_and_saveexec_b32 s40, s39
	s_cbranch_execz .LBB530_1177
.LBB530_1176:                           ;   in Loop: Header=BB530_1040 Depth=2
	ds_read_b32 v3, v69 offset:16896
	s_waitcnt lgkmcnt(0)
	v_lshrrev_b32_e32 v3, s41, v3
	v_and_b32_e32 v137, s62, v3
.LBB530_1177:                           ;   in Loop: Header=BB530_1040 Depth=2
	s_or_b32 exec_lo, exec_lo, s40
	v_lshlrev_b32_e32 v3, 3, v179
	v_lshlrev_b32_e32 v39, 3, v178
	s_waitcnt vmcnt(0)
	s_waitcnt_vscnt null, 0x0
	s_barrier
	buffer_gl0_inv
	ds_write_b64 v3, v[37:38] offset:512
	v_lshlrev_b32_e32 v3, 3, v174
	ds_write_b64 v39, v[35:36] offset:512
	v_lshlrev_b32_e32 v39, 3, v173
	v_lshlrev_b32_e32 v40, 3, v172
	;; [unrolled: 1-line block ×3, first 2 shown]
	ds_write_b64 v3, v[33:34] offset:512
	v_lshlrev_b32_e32 v3, 3, v169
	ds_write_b64 v39, v[31:32] offset:512
	ds_write_b64 v40, v[29:30] offset:512
	;; [unrolled: 1-line block ×3, first 2 shown]
	v_lshlrev_b32_e32 v39, 3, v168
	v_lshlrev_b32_e32 v40, 3, v166
	;; [unrolled: 1-line block ×3, first 2 shown]
	ds_write_b64 v3, v[21:22] offset:512
	v_lshlrev_b32_e32 v3, 3, v167
	ds_write_b64 v39, v[17:18] offset:512
	v_lshlrev_b32_e32 v39, 3, v163
	ds_write_b64 v3, v[27:28] offset:512
	ds_write_b64 v40, v[23:24] offset:512
	;; [unrolled: 1-line block ×3, first 2 shown]
	v_lshlrev_b32_e32 v3, 3, v42
	ds_write_b64 v39, v[15:16] offset:512
	v_lshlrev_b32_e32 v39, 3, v41
	v_lshlrev_b32_e32 v40, 3, v160
	;; [unrolled: 1-line block ×3, first 2 shown]
	ds_write_b64 v3, v[13:14] offset:512
	v_lshlrev_b32_e32 v3, 3, v159
	ds_write_b64 v39, v[11:12] offset:512
	ds_write_b64 v40, v[9:10] offset:512
	;; [unrolled: 1-line block ×3, first 2 shown]
	v_add_nc_u32_e32 v39, v69, v43
	ds_write_b64 v3, v[5:6] offset:512
	s_waitcnt lgkmcnt(0)
	s_barrier
	buffer_gl0_inv
	s_and_saveexec_b32 s40, vcc_lo
	s_cbranch_execnz .LBB530_1246
; %bb.1178:                             ;   in Loop: Header=BB530_1040 Depth=2
	s_or_b32 exec_lo, exec_lo, s40
	s_and_saveexec_b32 s40, s23
	s_cbranch_execnz .LBB530_1247
.LBB530_1179:                           ;   in Loop: Header=BB530_1040 Depth=2
	s_or_b32 exec_lo, exec_lo, s40
	s_and_saveexec_b32 s23, s24
	s_cbranch_execnz .LBB530_1248
.LBB530_1180:                           ;   in Loop: Header=BB530_1040 Depth=2
	s_or_b32 exec_lo, exec_lo, s23
	s_and_saveexec_b32 s23, s25
	s_cbranch_execnz .LBB530_1249
.LBB530_1181:                           ;   in Loop: Header=BB530_1040 Depth=2
	s_or_b32 exec_lo, exec_lo, s23
	s_and_saveexec_b32 s23, s26
	s_cbranch_execnz .LBB530_1250
.LBB530_1182:                           ;   in Loop: Header=BB530_1040 Depth=2
	s_or_b32 exec_lo, exec_lo, s23
	s_and_saveexec_b32 s23, s27
	s_cbranch_execnz .LBB530_1251
.LBB530_1183:                           ;   in Loop: Header=BB530_1040 Depth=2
	s_or_b32 exec_lo, exec_lo, s23
	s_and_saveexec_b32 s23, s28
	s_cbranch_execnz .LBB530_1252
.LBB530_1184:                           ;   in Loop: Header=BB530_1040 Depth=2
	s_or_b32 exec_lo, exec_lo, s23
	s_and_saveexec_b32 s23, s29
	s_cbranch_execnz .LBB530_1253
.LBB530_1185:                           ;   in Loop: Header=BB530_1040 Depth=2
	s_or_b32 exec_lo, exec_lo, s23
	s_and_saveexec_b32 s23, s30
	s_cbranch_execnz .LBB530_1254
.LBB530_1186:                           ;   in Loop: Header=BB530_1040 Depth=2
	s_or_b32 exec_lo, exec_lo, s23
	s_and_saveexec_b32 s23, s31
	s_cbranch_execnz .LBB530_1255
.LBB530_1187:                           ;   in Loop: Header=BB530_1040 Depth=2
	s_or_b32 exec_lo, exec_lo, s23
	s_and_saveexec_b32 s23, s33
	s_cbranch_execnz .LBB530_1256
.LBB530_1188:                           ;   in Loop: Header=BB530_1040 Depth=2
	s_or_b32 exec_lo, exec_lo, s23
	s_and_saveexec_b32 s23, s34
	s_cbranch_execnz .LBB530_1257
.LBB530_1189:                           ;   in Loop: Header=BB530_1040 Depth=2
	s_or_b32 exec_lo, exec_lo, s23
	s_and_saveexec_b32 s23, s35
	s_cbranch_execnz .LBB530_1258
.LBB530_1190:                           ;   in Loop: Header=BB530_1040 Depth=2
	s_or_b32 exec_lo, exec_lo, s23
	s_and_saveexec_b32 s23, s36
	s_cbranch_execnz .LBB530_1259
.LBB530_1191:                           ;   in Loop: Header=BB530_1040 Depth=2
	s_or_b32 exec_lo, exec_lo, s23
	s_and_saveexec_b32 s23, s37
	s_cbranch_execnz .LBB530_1260
.LBB530_1192:                           ;   in Loop: Header=BB530_1040 Depth=2
	s_or_b32 exec_lo, exec_lo, s23
	s_and_saveexec_b32 s23, s38
	s_cbranch_execnz .LBB530_1261
.LBB530_1193:                           ;   in Loop: Header=BB530_1040 Depth=2
	s_or_b32 exec_lo, exec_lo, s23
	s_and_saveexec_b32 s23, s39
	s_cbranch_execz .LBB530_1195
.LBB530_1194:                           ;   in Loop: Header=BB530_1040 Depth=2
	v_lshlrev_b32_e32 v3, 2, v137
	ds_read_b32 v3, v3
	ds_read_b64 v[39:40], v39 offset:33280
	s_waitcnt lgkmcnt(1)
	v_add_nc_u32_e32 v3, v3, v61
	v_lshlrev_b64 v[41:42], 3, v[3:4]
	v_add_co_u32 v41, vcc_lo, s54, v41
	v_add_co_ci_u32_e64 v42, null, s55, v42, vcc_lo
	s_waitcnt lgkmcnt(0)
	global_store_dwordx2 v[41:42], v[39:40], off
.LBB530_1195:                           ;   in Loop: Header=BB530_1040 Depth=2
	s_or_b32 exec_lo, exec_lo, s23
	s_waitcnt_vscnt null, 0x0
	s_barrier
	buffer_gl0_inv
	s_and_saveexec_b32 s23, s8
	s_cbranch_execz .LBB530_1039
; %bb.1196:                             ;   in Loop: Header=BB530_1040 Depth=2
	ds_read_b32 v3, v43
	s_waitcnt lgkmcnt(0)
	v_add3_u32 v3, v152, v155, v3
	ds_write_b32 v43, v3
	s_branch .LBB530_1039
.LBB530_1197:                           ;   in Loop: Header=BB530_1040 Depth=2
	ds_read_b32 v157, v69 offset:512
	s_waitcnt lgkmcnt(0)
	v_lshrrev_b32_e32 v3, s41, v157
	v_and_b32_e32 v3, s62, v3
	v_lshlrev_b32_e32 v3, 2, v3
	ds_read_b32 v3, v3
	s_waitcnt lgkmcnt(0)
	v_add_nc_u32_e32 v3, v3, v0
	v_lshlrev_b64 v[39:40], 2, v[3:4]
	v_xor_b32_e32 v3, 0x7fffffff, v157
	v_add_co_u32 v39, s23, s48, v39
	v_add_co_ci_u32_e64 v40, null, s49, v40, s23
	global_store_dword v[39:40], v3, off
	s_or_b32 exec_lo, exec_lo, s24
	v_cmp_lt_u32_e64 s23, v44, v156
	s_and_saveexec_b32 s25, s23
	s_cbranch_execz .LBB530_1126
.LBB530_1198:                           ;   in Loop: Header=BB530_1040 Depth=2
	ds_read_b32 v157, v69 offset:1536
	s_waitcnt lgkmcnt(0)
	v_lshrrev_b32_e32 v3, s41, v157
	v_and_b32_e32 v3, s62, v3
	v_lshlrev_b32_e32 v3, 2, v3
	ds_read_b32 v3, v3
	s_waitcnt lgkmcnt(0)
	v_add_nc_u32_e32 v3, v3, v44
	v_lshlrev_b64 v[39:40], 2, v[3:4]
	v_xor_b32_e32 v3, 0x7fffffff, v157
	v_add_co_u32 v39, s24, s48, v39
	v_add_co_ci_u32_e64 v40, null, s49, v40, s24
	global_store_dword v[39:40], v3, off
	s_or_b32 exec_lo, exec_lo, s25
	v_cmp_lt_u32_e64 s24, v47, v156
	s_and_saveexec_b32 s26, s24
	s_cbranch_execz .LBB530_1127
.LBB530_1199:                           ;   in Loop: Header=BB530_1040 Depth=2
	ds_read_b32 v157, v69 offset:2560
	s_waitcnt lgkmcnt(0)
	v_lshrrev_b32_e32 v3, s41, v157
	v_and_b32_e32 v3, s62, v3
	v_lshlrev_b32_e32 v3, 2, v3
	ds_read_b32 v3, v3
	s_waitcnt lgkmcnt(0)
	v_add_nc_u32_e32 v3, v3, v47
	v_lshlrev_b64 v[39:40], 2, v[3:4]
	v_xor_b32_e32 v3, 0x7fffffff, v157
	v_add_co_u32 v39, s25, s48, v39
	v_add_co_ci_u32_e64 v40, null, s49, v40, s25
	global_store_dword v[39:40], v3, off
	s_or_b32 exec_lo, exec_lo, s26
	v_cmp_lt_u32_e64 s25, v48, v156
	s_and_saveexec_b32 s27, s25
	s_cbranch_execz .LBB530_1128
.LBB530_1200:                           ;   in Loop: Header=BB530_1040 Depth=2
	ds_read_b32 v157, v69 offset:3584
	s_waitcnt lgkmcnt(0)
	v_lshrrev_b32_e32 v3, s41, v157
	v_and_b32_e32 v3, s62, v3
	v_lshlrev_b32_e32 v3, 2, v3
	ds_read_b32 v3, v3
	s_waitcnt lgkmcnt(0)
	v_add_nc_u32_e32 v3, v3, v48
	v_lshlrev_b64 v[39:40], 2, v[3:4]
	v_xor_b32_e32 v3, 0x7fffffff, v157
	v_add_co_u32 v39, s26, s48, v39
	v_add_co_ci_u32_e64 v40, null, s49, v40, s26
	global_store_dword v[39:40], v3, off
	s_or_b32 exec_lo, exec_lo, s27
	v_cmp_lt_u32_e64 s26, v49, v156
	s_and_saveexec_b32 s28, s26
	s_cbranch_execz .LBB530_1129
.LBB530_1201:                           ;   in Loop: Header=BB530_1040 Depth=2
	ds_read_b32 v157, v69 offset:4608
	s_waitcnt lgkmcnt(0)
	v_lshrrev_b32_e32 v3, s41, v157
	v_and_b32_e32 v3, s62, v3
	v_lshlrev_b32_e32 v3, 2, v3
	ds_read_b32 v3, v3
	s_waitcnt lgkmcnt(0)
	v_add_nc_u32_e32 v3, v3, v49
	v_lshlrev_b64 v[39:40], 2, v[3:4]
	v_xor_b32_e32 v3, 0x7fffffff, v157
	v_add_co_u32 v39, s27, s48, v39
	v_add_co_ci_u32_e64 v40, null, s49, v40, s27
	global_store_dword v[39:40], v3, off
	s_or_b32 exec_lo, exec_lo, s28
	v_cmp_lt_u32_e64 s27, v50, v156
	s_and_saveexec_b32 s29, s27
	s_cbranch_execz .LBB530_1130
.LBB530_1202:                           ;   in Loop: Header=BB530_1040 Depth=2
	ds_read_b32 v157, v69 offset:5632
	s_waitcnt lgkmcnt(0)
	v_lshrrev_b32_e32 v3, s41, v157
	v_and_b32_e32 v3, s62, v3
	v_lshlrev_b32_e32 v3, 2, v3
	ds_read_b32 v3, v3
	s_waitcnt lgkmcnt(0)
	v_add_nc_u32_e32 v3, v3, v50
	v_lshlrev_b64 v[39:40], 2, v[3:4]
	v_xor_b32_e32 v3, 0x7fffffff, v157
	v_add_co_u32 v39, s28, s48, v39
	v_add_co_ci_u32_e64 v40, null, s49, v40, s28
	global_store_dword v[39:40], v3, off
	s_or_b32 exec_lo, exec_lo, s29
	v_cmp_lt_u32_e64 s28, v51, v156
	s_and_saveexec_b32 s30, s28
	s_cbranch_execz .LBB530_1131
.LBB530_1203:                           ;   in Loop: Header=BB530_1040 Depth=2
	ds_read_b32 v157, v69 offset:6656
	s_waitcnt lgkmcnt(0)
	v_lshrrev_b32_e32 v3, s41, v157
	v_and_b32_e32 v3, s62, v3
	v_lshlrev_b32_e32 v3, 2, v3
	ds_read_b32 v3, v3
	s_waitcnt lgkmcnt(0)
	v_add_nc_u32_e32 v3, v3, v51
	v_lshlrev_b64 v[39:40], 2, v[3:4]
	v_xor_b32_e32 v3, 0x7fffffff, v157
	v_add_co_u32 v39, s29, s48, v39
	v_add_co_ci_u32_e64 v40, null, s49, v40, s29
	global_store_dword v[39:40], v3, off
	s_or_b32 exec_lo, exec_lo, s30
	v_cmp_lt_u32_e64 s29, v52, v156
	s_and_saveexec_b32 s31, s29
	s_cbranch_execz .LBB530_1132
.LBB530_1204:                           ;   in Loop: Header=BB530_1040 Depth=2
	ds_read_b32 v157, v69 offset:7680
	s_waitcnt lgkmcnt(0)
	v_lshrrev_b32_e32 v3, s41, v157
	v_and_b32_e32 v3, s62, v3
	v_lshlrev_b32_e32 v3, 2, v3
	ds_read_b32 v3, v3
	s_waitcnt lgkmcnt(0)
	v_add_nc_u32_e32 v3, v3, v52
	v_lshlrev_b64 v[39:40], 2, v[3:4]
	v_xor_b32_e32 v3, 0x7fffffff, v157
	v_add_co_u32 v39, s30, s48, v39
	v_add_co_ci_u32_e64 v40, null, s49, v40, s30
	global_store_dword v[39:40], v3, off
	s_or_b32 exec_lo, exec_lo, s31
	v_cmp_lt_u32_e64 s30, v53, v156
	s_and_saveexec_b32 s33, s30
	s_cbranch_execz .LBB530_1133
.LBB530_1205:                           ;   in Loop: Header=BB530_1040 Depth=2
	ds_read_b32 v157, v69 offset:8704
	s_waitcnt lgkmcnt(0)
	v_lshrrev_b32_e32 v3, s41, v157
	v_and_b32_e32 v3, s62, v3
	v_lshlrev_b32_e32 v3, 2, v3
	ds_read_b32 v3, v3
	s_waitcnt lgkmcnt(0)
	v_add_nc_u32_e32 v3, v3, v53
	v_lshlrev_b64 v[39:40], 2, v[3:4]
	v_xor_b32_e32 v3, 0x7fffffff, v157
	v_add_co_u32 v39, s31, s48, v39
	v_add_co_ci_u32_e64 v40, null, s49, v40, s31
	global_store_dword v[39:40], v3, off
	s_or_b32 exec_lo, exec_lo, s33
	v_cmp_lt_u32_e64 s31, v54, v156
	s_and_saveexec_b32 s34, s31
	s_cbranch_execz .LBB530_1134
.LBB530_1206:                           ;   in Loop: Header=BB530_1040 Depth=2
	ds_read_b32 v157, v69 offset:9728
	s_waitcnt lgkmcnt(0)
	v_lshrrev_b32_e32 v3, s41, v157
	v_and_b32_e32 v3, s62, v3
	v_lshlrev_b32_e32 v3, 2, v3
	ds_read_b32 v3, v3
	s_waitcnt lgkmcnt(0)
	v_add_nc_u32_e32 v3, v3, v54
	v_lshlrev_b64 v[39:40], 2, v[3:4]
	v_xor_b32_e32 v3, 0x7fffffff, v157
	v_add_co_u32 v39, s33, s48, v39
	v_add_co_ci_u32_e64 v40, null, s49, v40, s33
	global_store_dword v[39:40], v3, off
	s_or_b32 exec_lo, exec_lo, s34
	v_cmp_lt_u32_e64 s33, v55, v156
	s_and_saveexec_b32 s35, s33
	s_cbranch_execz .LBB530_1135
.LBB530_1207:                           ;   in Loop: Header=BB530_1040 Depth=2
	ds_read_b32 v157, v69 offset:10752
	s_waitcnt lgkmcnt(0)
	v_lshrrev_b32_e32 v3, s41, v157
	v_and_b32_e32 v3, s62, v3
	v_lshlrev_b32_e32 v3, 2, v3
	ds_read_b32 v3, v3
	s_waitcnt lgkmcnt(0)
	v_add_nc_u32_e32 v3, v3, v55
	v_lshlrev_b64 v[39:40], 2, v[3:4]
	v_xor_b32_e32 v3, 0x7fffffff, v157
	v_add_co_u32 v39, s34, s48, v39
	v_add_co_ci_u32_e64 v40, null, s49, v40, s34
	global_store_dword v[39:40], v3, off
	s_or_b32 exec_lo, exec_lo, s35
	v_cmp_lt_u32_e64 s34, v56, v156
	s_and_saveexec_b32 s36, s34
	s_cbranch_execz .LBB530_1136
.LBB530_1208:                           ;   in Loop: Header=BB530_1040 Depth=2
	ds_read_b32 v157, v69 offset:11776
	s_waitcnt lgkmcnt(0)
	v_lshrrev_b32_e32 v3, s41, v157
	v_and_b32_e32 v3, s62, v3
	v_lshlrev_b32_e32 v3, 2, v3
	ds_read_b32 v3, v3
	s_waitcnt lgkmcnt(0)
	v_add_nc_u32_e32 v3, v3, v56
	v_lshlrev_b64 v[39:40], 2, v[3:4]
	v_xor_b32_e32 v3, 0x7fffffff, v157
	v_add_co_u32 v39, s35, s48, v39
	v_add_co_ci_u32_e64 v40, null, s49, v40, s35
	global_store_dword v[39:40], v3, off
	s_or_b32 exec_lo, exec_lo, s36
	v_cmp_lt_u32_e64 s35, v57, v156
	s_and_saveexec_b32 s37, s35
	s_cbranch_execz .LBB530_1137
.LBB530_1209:                           ;   in Loop: Header=BB530_1040 Depth=2
	ds_read_b32 v157, v69 offset:12800
	s_waitcnt lgkmcnt(0)
	v_lshrrev_b32_e32 v3, s41, v157
	v_and_b32_e32 v3, s62, v3
	v_lshlrev_b32_e32 v3, 2, v3
	ds_read_b32 v3, v3
	s_waitcnt lgkmcnt(0)
	v_add_nc_u32_e32 v3, v3, v57
	v_lshlrev_b64 v[39:40], 2, v[3:4]
	v_xor_b32_e32 v3, 0x7fffffff, v157
	v_add_co_u32 v39, s36, s48, v39
	v_add_co_ci_u32_e64 v40, null, s49, v40, s36
	global_store_dword v[39:40], v3, off
	s_or_b32 exec_lo, exec_lo, s37
	v_cmp_lt_u32_e64 s36, v58, v156
	s_and_saveexec_b32 s38, s36
	s_cbranch_execz .LBB530_1138
.LBB530_1210:                           ;   in Loop: Header=BB530_1040 Depth=2
	ds_read_b32 v157, v69 offset:13824
	s_waitcnt lgkmcnt(0)
	v_lshrrev_b32_e32 v3, s41, v157
	v_and_b32_e32 v3, s62, v3
	v_lshlrev_b32_e32 v3, 2, v3
	ds_read_b32 v3, v3
	s_waitcnt lgkmcnt(0)
	v_add_nc_u32_e32 v3, v3, v58
	v_lshlrev_b64 v[39:40], 2, v[3:4]
	v_xor_b32_e32 v3, 0x7fffffff, v157
	v_add_co_u32 v39, s37, s48, v39
	v_add_co_ci_u32_e64 v40, null, s49, v40, s37
	global_store_dword v[39:40], v3, off
	s_or_b32 exec_lo, exec_lo, s38
	v_cmp_lt_u32_e64 s37, v59, v156
	s_and_saveexec_b32 s39, s37
	s_cbranch_execz .LBB530_1139
.LBB530_1211:                           ;   in Loop: Header=BB530_1040 Depth=2
	ds_read_b32 v157, v69 offset:14848
	s_waitcnt lgkmcnt(0)
	v_lshrrev_b32_e32 v3, s41, v157
	v_and_b32_e32 v3, s62, v3
	v_lshlrev_b32_e32 v3, 2, v3
	ds_read_b32 v3, v3
	s_waitcnt lgkmcnt(0)
	v_add_nc_u32_e32 v3, v3, v59
	v_lshlrev_b64 v[39:40], 2, v[3:4]
	v_xor_b32_e32 v3, 0x7fffffff, v157
	v_add_co_u32 v39, s38, s48, v39
	v_add_co_ci_u32_e64 v40, null, s49, v40, s38
	global_store_dword v[39:40], v3, off
	s_or_b32 exec_lo, exec_lo, s39
	v_cmp_lt_u32_e64 s38, v60, v156
	s_and_saveexec_b32 s40, s38
	s_cbranch_execz .LBB530_1140
.LBB530_1212:                           ;   in Loop: Header=BB530_1040 Depth=2
	ds_read_b32 v157, v69 offset:15872
	s_waitcnt lgkmcnt(0)
	v_lshrrev_b32_e32 v3, s41, v157
	v_and_b32_e32 v3, s62, v3
	v_lshlrev_b32_e32 v3, 2, v3
	ds_read_b32 v3, v3
	s_waitcnt lgkmcnt(0)
	v_add_nc_u32_e32 v3, v3, v60
	v_lshlrev_b64 v[39:40], 2, v[3:4]
	v_xor_b32_e32 v3, 0x7fffffff, v157
	v_add_co_u32 v39, s39, s48, v39
	v_add_co_ci_u32_e64 v40, null, s49, v40, s39
	global_store_dword v[39:40], v3, off
	s_or_b32 exec_lo, exec_lo, s40
	v_cmp_lt_u32_e64 s39, v61, v156
	s_and_saveexec_b32 s65, s39
	s_cbranch_execnz .LBB530_1141
	s_branch .LBB530_1142
.LBB530_1213:                           ;   in Loop: Header=BB530_1040 Depth=2
	global_load_dwordx2 v[37:38], v[39:40], off
	s_or_b32 exec_lo, exec_lo, s40
	s_mov_b32 s50, exec_lo
	v_cmpx_lt_u32_e64 v112, v156
	s_cbranch_execz .LBB530_1144
.LBB530_1214:                           ;   in Loop: Header=BB530_1040 Depth=2
	global_load_dwordx2 v[35:36], v[39:40], off offset:256
	s_or_b32 exec_lo, exec_lo, s50
	s_mov_b32 s50, exec_lo
	v_cmpx_lt_u32_e64 v113, v156
	s_cbranch_execz .LBB530_1145
.LBB530_1215:                           ;   in Loop: Header=BB530_1040 Depth=2
	global_load_dwordx2 v[33:34], v[39:40], off offset:512
	s_or_b32 exec_lo, exec_lo, s50
	s_mov_b32 s50, exec_lo
	v_cmpx_lt_u32_e64 v114, v156
	s_cbranch_execz .LBB530_1146
.LBB530_1216:                           ;   in Loop: Header=BB530_1040 Depth=2
	global_load_dwordx2 v[31:32], v[39:40], off offset:768
	s_or_b32 exec_lo, exec_lo, s50
	s_mov_b32 s50, exec_lo
	v_cmpx_lt_u32_e64 v115, v156
	s_cbranch_execz .LBB530_1147
.LBB530_1217:                           ;   in Loop: Header=BB530_1040 Depth=2
	global_load_dwordx2 v[29:30], v[39:40], off offset:1024
	s_or_b32 exec_lo, exec_lo, s50
	s_mov_b32 s50, exec_lo
	v_cmpx_lt_u32_e64 v116, v156
	s_cbranch_execz .LBB530_1148
.LBB530_1218:                           ;   in Loop: Header=BB530_1040 Depth=2
	global_load_dwordx2 v[25:26], v[39:40], off offset:1280
	s_or_b32 exec_lo, exec_lo, s50
	s_mov_b32 s50, exec_lo
	v_cmpx_lt_u32_e64 v117, v156
	s_cbranch_execz .LBB530_1149
.LBB530_1219:                           ;   in Loop: Header=BB530_1040 Depth=2
	global_load_dwordx2 v[21:22], v[39:40], off offset:1536
	s_or_b32 exec_lo, exec_lo, s50
	s_mov_b32 s50, exec_lo
	v_cmpx_lt_u32_e64 v118, v156
	s_cbranch_execz .LBB530_1150
.LBB530_1220:                           ;   in Loop: Header=BB530_1040 Depth=2
	global_load_dwordx2 v[17:18], v[39:40], off offset:1792
	s_or_b32 exec_lo, exec_lo, s50
	s_mov_b32 s50, exec_lo
	v_cmpx_lt_u32_e64 v119, v156
	s_cbranch_execz .LBB530_1151
.LBB530_1221:                           ;   in Loop: Header=BB530_1040 Depth=2
	v_add_co_u32 v27, s40, 0x800, v39
	v_add_co_ci_u32_e64 v28, null, 0, v40, s40
	global_load_dwordx2 v[27:28], v[27:28], off
	s_or_b32 exec_lo, exec_lo, s50
	s_mov_b32 s50, exec_lo
	v_cmpx_lt_u32_e64 v120, v156
	s_cbranch_execz .LBB530_1152
.LBB530_1222:                           ;   in Loop: Header=BB530_1040 Depth=2
	v_add_co_u32 v23, s40, 0x800, v39
	v_add_co_ci_u32_e64 v24, null, 0, v40, s40
	global_load_dwordx2 v[23:24], v[23:24], off offset:256
	s_or_b32 exec_lo, exec_lo, s50
	s_mov_b32 s50, exec_lo
	v_cmpx_lt_u32_e64 v121, v156
	s_cbranch_execz .LBB530_1153
.LBB530_1223:                           ;   in Loop: Header=BB530_1040 Depth=2
	v_add_co_u32 v19, s40, 0x800, v39
	v_add_co_ci_u32_e64 v20, null, 0, v40, s40
	global_load_dwordx2 v[19:20], v[19:20], off offset:512
	s_or_b32 exec_lo, exec_lo, s50
	s_mov_b32 s50, exec_lo
	v_cmpx_lt_u32_e64 v122, v156
	s_cbranch_execz .LBB530_1154
.LBB530_1224:                           ;   in Loop: Header=BB530_1040 Depth=2
	v_add_co_u32 v15, s40, 0x800, v39
	v_add_co_ci_u32_e64 v16, null, 0, v40, s40
	global_load_dwordx2 v[15:16], v[15:16], off offset:768
	s_or_b32 exec_lo, exec_lo, s50
	s_mov_b32 s50, exec_lo
	v_cmpx_lt_u32_e64 v123, v156
	s_cbranch_execz .LBB530_1155
.LBB530_1225:                           ;   in Loop: Header=BB530_1040 Depth=2
	v_add_co_u32 v13, s40, 0x800, v39
	v_add_co_ci_u32_e64 v14, null, 0, v40, s40
	global_load_dwordx2 v[13:14], v[13:14], off offset:1024
	s_or_b32 exec_lo, exec_lo, s50
	s_mov_b32 s50, exec_lo
	v_cmpx_lt_u32_e64 v124, v156
	s_cbranch_execz .LBB530_1156
.LBB530_1226:                           ;   in Loop: Header=BB530_1040 Depth=2
	v_add_co_u32 v11, s40, 0x800, v39
	v_add_co_ci_u32_e64 v12, null, 0, v40, s40
	global_load_dwordx2 v[11:12], v[11:12], off offset:1280
	s_or_b32 exec_lo, exec_lo, s50
	s_mov_b32 s50, exec_lo
	v_cmpx_lt_u32_e64 v126, v156
	s_cbranch_execz .LBB530_1157
.LBB530_1227:                           ;   in Loop: Header=BB530_1040 Depth=2
	v_add_co_u32 v9, s40, 0x800, v39
	v_add_co_ci_u32_e64 v10, null, 0, v40, s40
	global_load_dwordx2 v[9:10], v[9:10], off offset:1536
	s_or_b32 exec_lo, exec_lo, s50
	s_mov_b32 s50, exec_lo
	v_cmpx_lt_u32_e64 v127, v156
	s_cbranch_execz .LBB530_1158
.LBB530_1228:                           ;   in Loop: Header=BB530_1040 Depth=2
	v_add_co_u32 v7, s40, 0x800, v39
	v_add_co_ci_u32_e64 v8, null, 0, v40, s40
	global_load_dwordx2 v[7:8], v[7:8], off offset:1792
	s_or_b32 exec_lo, exec_lo, s50
	s_mov_b32 s50, exec_lo
	v_cmpx_lt_u32_e64 v128, v156
	s_cbranch_execz .LBB530_1159
.LBB530_1229:                           ;   in Loop: Header=BB530_1040 Depth=2
	v_add_co_u32 v5, s40, 0x1000, v39
	v_add_co_ci_u32_e64 v6, null, 0, v40, s40
	global_load_dwordx2 v[5:6], v[5:6], off
	s_or_b32 exec_lo, exec_lo, s50
	s_and_saveexec_b32 s40, vcc_lo
	s_cbranch_execz .LBB530_1160
.LBB530_1230:                           ;   in Loop: Header=BB530_1040 Depth=2
	ds_read_b32 v3, v69 offset:512
	s_waitcnt lgkmcnt(0)
	v_lshrrev_b32_e32 v3, s41, v3
	v_and_b32_e32 v154, s62, v3
	s_or_b32 exec_lo, exec_lo, s40
	s_and_saveexec_b32 s40, s23
	s_cbranch_execz .LBB530_1161
.LBB530_1231:                           ;   in Loop: Header=BB530_1040 Depth=2
	ds_read_b32 v3, v69 offset:1536
	s_waitcnt lgkmcnt(0)
	v_lshrrev_b32_e32 v3, s41, v3
	v_and_b32_e32 v153, s62, v3
	s_or_b32 exec_lo, exec_lo, s40
	s_and_saveexec_b32 s40, s24
	s_cbranch_execz .LBB530_1162
.LBB530_1232:                           ;   in Loop: Header=BB530_1040 Depth=2
	ds_read_b32 v3, v69 offset:2560
	s_waitcnt lgkmcnt(0)
	v_lshrrev_b32_e32 v3, s41, v3
	v_and_b32_e32 v151, s62, v3
	s_or_b32 exec_lo, exec_lo, s40
	s_and_saveexec_b32 s40, s25
	s_cbranch_execz .LBB530_1163
.LBB530_1233:                           ;   in Loop: Header=BB530_1040 Depth=2
	ds_read_b32 v3, v69 offset:3584
	s_waitcnt lgkmcnt(0)
	v_lshrrev_b32_e32 v3, s41, v3
	v_and_b32_e32 v150, s62, v3
	s_or_b32 exec_lo, exec_lo, s40
	s_and_saveexec_b32 s40, s26
	s_cbranch_execz .LBB530_1164
.LBB530_1234:                           ;   in Loop: Header=BB530_1040 Depth=2
	ds_read_b32 v3, v69 offset:4608
	s_waitcnt lgkmcnt(0)
	v_lshrrev_b32_e32 v3, s41, v3
	v_and_b32_e32 v149, s62, v3
	s_or_b32 exec_lo, exec_lo, s40
	s_and_saveexec_b32 s40, s27
	s_cbranch_execz .LBB530_1165
.LBB530_1235:                           ;   in Loop: Header=BB530_1040 Depth=2
	ds_read_b32 v3, v69 offset:5632
	s_waitcnt lgkmcnt(0)
	v_lshrrev_b32_e32 v3, s41, v3
	v_and_b32_e32 v148, s62, v3
	s_or_b32 exec_lo, exec_lo, s40
	s_and_saveexec_b32 s40, s28
	s_cbranch_execz .LBB530_1166
.LBB530_1236:                           ;   in Loop: Header=BB530_1040 Depth=2
	ds_read_b32 v3, v69 offset:6656
	s_waitcnt lgkmcnt(0)
	v_lshrrev_b32_e32 v3, s41, v3
	v_and_b32_e32 v147, s62, v3
	s_or_b32 exec_lo, exec_lo, s40
	s_and_saveexec_b32 s40, s29
	s_cbranch_execz .LBB530_1167
.LBB530_1237:                           ;   in Loop: Header=BB530_1040 Depth=2
	ds_read_b32 v3, v69 offset:7680
	s_waitcnt lgkmcnt(0)
	v_lshrrev_b32_e32 v3, s41, v3
	v_and_b32_e32 v146, s62, v3
	s_or_b32 exec_lo, exec_lo, s40
	s_and_saveexec_b32 s40, s30
	s_cbranch_execz .LBB530_1168
.LBB530_1238:                           ;   in Loop: Header=BB530_1040 Depth=2
	ds_read_b32 v3, v69 offset:8704
	s_waitcnt lgkmcnt(0)
	v_lshrrev_b32_e32 v3, s41, v3
	v_and_b32_e32 v145, s62, v3
	s_or_b32 exec_lo, exec_lo, s40
	s_and_saveexec_b32 s40, s31
	s_cbranch_execz .LBB530_1169
.LBB530_1239:                           ;   in Loop: Header=BB530_1040 Depth=2
	ds_read_b32 v3, v69 offset:9728
	s_waitcnt lgkmcnt(0)
	v_lshrrev_b32_e32 v3, s41, v3
	v_and_b32_e32 v144, s62, v3
	s_or_b32 exec_lo, exec_lo, s40
	s_and_saveexec_b32 s40, s33
	s_cbranch_execz .LBB530_1170
.LBB530_1240:                           ;   in Loop: Header=BB530_1040 Depth=2
	ds_read_b32 v3, v69 offset:10752
	s_waitcnt lgkmcnt(0)
	v_lshrrev_b32_e32 v3, s41, v3
	v_and_b32_e32 v143, s62, v3
	s_or_b32 exec_lo, exec_lo, s40
	s_and_saveexec_b32 s40, s34
	s_cbranch_execz .LBB530_1171
.LBB530_1241:                           ;   in Loop: Header=BB530_1040 Depth=2
	ds_read_b32 v3, v69 offset:11776
	s_waitcnt lgkmcnt(0)
	v_lshrrev_b32_e32 v3, s41, v3
	v_and_b32_e32 v142, s62, v3
	s_or_b32 exec_lo, exec_lo, s40
	s_and_saveexec_b32 s40, s35
	s_cbranch_execz .LBB530_1172
.LBB530_1242:                           ;   in Loop: Header=BB530_1040 Depth=2
	ds_read_b32 v3, v69 offset:12800
	s_waitcnt lgkmcnt(0)
	v_lshrrev_b32_e32 v3, s41, v3
	v_and_b32_e32 v141, s62, v3
	s_or_b32 exec_lo, exec_lo, s40
	s_and_saveexec_b32 s40, s36
	s_cbranch_execz .LBB530_1173
.LBB530_1243:                           ;   in Loop: Header=BB530_1040 Depth=2
	ds_read_b32 v3, v69 offset:13824
	s_waitcnt lgkmcnt(0)
	v_lshrrev_b32_e32 v3, s41, v3
	v_and_b32_e32 v140, s62, v3
	s_or_b32 exec_lo, exec_lo, s40
	s_and_saveexec_b32 s40, s37
	s_cbranch_execz .LBB530_1174
.LBB530_1244:                           ;   in Loop: Header=BB530_1040 Depth=2
	ds_read_b32 v3, v69 offset:14848
	s_waitcnt lgkmcnt(0)
	v_lshrrev_b32_e32 v3, s41, v3
	v_and_b32_e32 v139, s62, v3
	s_or_b32 exec_lo, exec_lo, s40
	s_and_saveexec_b32 s40, s38
	s_cbranch_execz .LBB530_1175
.LBB530_1245:                           ;   in Loop: Header=BB530_1040 Depth=2
	ds_read_b32 v3, v69 offset:15872
	s_waitcnt lgkmcnt(0)
	v_lshrrev_b32_e32 v3, s41, v3
	v_and_b32_e32 v138, s62, v3
	s_or_b32 exec_lo, exec_lo, s40
	s_and_saveexec_b32 s40, s39
	s_cbranch_execnz .LBB530_1176
	s_branch .LBB530_1177
.LBB530_1246:                           ;   in Loop: Header=BB530_1040 Depth=2
	v_lshlrev_b32_e32 v3, 2, v154
	ds_read_b32 v3, v3
	ds_read_b64 v[40:41], v39 offset:512
	s_waitcnt lgkmcnt(1)
	v_add_nc_u32_e32 v3, v3, v0
	v_lshlrev_b64 v[156:157], 3, v[3:4]
	v_add_co_u32 v156, vcc_lo, s54, v156
	v_add_co_ci_u32_e64 v157, null, s55, v157, vcc_lo
	s_waitcnt lgkmcnt(0)
	global_store_dwordx2 v[156:157], v[40:41], off
	s_or_b32 exec_lo, exec_lo, s40
	s_and_saveexec_b32 s40, s23
	s_cbranch_execz .LBB530_1179
.LBB530_1247:                           ;   in Loop: Header=BB530_1040 Depth=2
	v_lshlrev_b32_e32 v3, 2, v153
	ds_read_b32 v3, v3
	ds_read_b64 v[40:41], v39 offset:2560
	s_waitcnt lgkmcnt(1)
	v_add_nc_u32_e32 v3, v3, v44
	v_lshlrev_b64 v[156:157], 3, v[3:4]
	v_add_co_u32 v156, vcc_lo, s54, v156
	v_add_co_ci_u32_e64 v157, null, s55, v157, vcc_lo
	s_waitcnt lgkmcnt(0)
	global_store_dwordx2 v[156:157], v[40:41], off
	s_or_b32 exec_lo, exec_lo, s40
	s_and_saveexec_b32 s23, s24
	s_cbranch_execz .LBB530_1180
.LBB530_1248:                           ;   in Loop: Header=BB530_1040 Depth=2
	v_lshlrev_b32_e32 v3, 2, v151
	ds_read_b32 v3, v3
	ds_read_b64 v[40:41], v39 offset:4608
	s_waitcnt lgkmcnt(1)
	v_add_nc_u32_e32 v3, v3, v47
	v_lshlrev_b64 v[156:157], 3, v[3:4]
	v_add_co_u32 v156, vcc_lo, s54, v156
	v_add_co_ci_u32_e64 v157, null, s55, v157, vcc_lo
	s_waitcnt lgkmcnt(0)
	global_store_dwordx2 v[156:157], v[40:41], off
	s_or_b32 exec_lo, exec_lo, s23
	s_and_saveexec_b32 s23, s25
	s_cbranch_execz .LBB530_1181
.LBB530_1249:                           ;   in Loop: Header=BB530_1040 Depth=2
	v_lshlrev_b32_e32 v3, 2, v150
	ds_read_b32 v3, v3
	ds_read_b64 v[40:41], v39 offset:6656
	s_waitcnt lgkmcnt(1)
	v_add_nc_u32_e32 v3, v3, v48
	v_lshlrev_b64 v[156:157], 3, v[3:4]
	v_add_co_u32 v156, vcc_lo, s54, v156
	v_add_co_ci_u32_e64 v157, null, s55, v157, vcc_lo
	s_waitcnt lgkmcnt(0)
	global_store_dwordx2 v[156:157], v[40:41], off
	s_or_b32 exec_lo, exec_lo, s23
	s_and_saveexec_b32 s23, s26
	s_cbranch_execz .LBB530_1182
.LBB530_1250:                           ;   in Loop: Header=BB530_1040 Depth=2
	v_lshlrev_b32_e32 v3, 2, v149
	ds_read_b32 v3, v3
	ds_read_b64 v[40:41], v39 offset:8704
	s_waitcnt lgkmcnt(1)
	v_add_nc_u32_e32 v3, v3, v49
	v_lshlrev_b64 v[156:157], 3, v[3:4]
	v_add_co_u32 v156, vcc_lo, s54, v156
	v_add_co_ci_u32_e64 v157, null, s55, v157, vcc_lo
	s_waitcnt lgkmcnt(0)
	global_store_dwordx2 v[156:157], v[40:41], off
	s_or_b32 exec_lo, exec_lo, s23
	s_and_saveexec_b32 s23, s27
	s_cbranch_execz .LBB530_1183
.LBB530_1251:                           ;   in Loop: Header=BB530_1040 Depth=2
	v_lshlrev_b32_e32 v3, 2, v148
	ds_read_b32 v3, v3
	ds_read_b64 v[40:41], v39 offset:10752
	s_waitcnt lgkmcnt(1)
	v_add_nc_u32_e32 v3, v3, v50
	v_lshlrev_b64 v[156:157], 3, v[3:4]
	v_add_co_u32 v156, vcc_lo, s54, v156
	v_add_co_ci_u32_e64 v157, null, s55, v157, vcc_lo
	s_waitcnt lgkmcnt(0)
	global_store_dwordx2 v[156:157], v[40:41], off
	s_or_b32 exec_lo, exec_lo, s23
	s_and_saveexec_b32 s23, s28
	s_cbranch_execz .LBB530_1184
.LBB530_1252:                           ;   in Loop: Header=BB530_1040 Depth=2
	v_lshlrev_b32_e32 v3, 2, v147
	ds_read_b32 v3, v3
	ds_read_b64 v[40:41], v39 offset:12800
	s_waitcnt lgkmcnt(1)
	v_add_nc_u32_e32 v3, v3, v51
	v_lshlrev_b64 v[156:157], 3, v[3:4]
	v_add_co_u32 v156, vcc_lo, s54, v156
	v_add_co_ci_u32_e64 v157, null, s55, v157, vcc_lo
	s_waitcnt lgkmcnt(0)
	global_store_dwordx2 v[156:157], v[40:41], off
	s_or_b32 exec_lo, exec_lo, s23
	s_and_saveexec_b32 s23, s29
	s_cbranch_execz .LBB530_1185
.LBB530_1253:                           ;   in Loop: Header=BB530_1040 Depth=2
	v_lshlrev_b32_e32 v3, 2, v146
	ds_read_b32 v3, v3
	ds_read_b64 v[40:41], v39 offset:14848
	s_waitcnt lgkmcnt(1)
	v_add_nc_u32_e32 v3, v3, v52
	v_lshlrev_b64 v[156:157], 3, v[3:4]
	v_add_co_u32 v156, vcc_lo, s54, v156
	v_add_co_ci_u32_e64 v157, null, s55, v157, vcc_lo
	s_waitcnt lgkmcnt(0)
	global_store_dwordx2 v[156:157], v[40:41], off
	s_or_b32 exec_lo, exec_lo, s23
	s_and_saveexec_b32 s23, s30
	s_cbranch_execz .LBB530_1186
.LBB530_1254:                           ;   in Loop: Header=BB530_1040 Depth=2
	v_lshlrev_b32_e32 v3, 2, v145
	ds_read_b32 v3, v3
	ds_read_b64 v[40:41], v39 offset:16896
	s_waitcnt lgkmcnt(1)
	v_add_nc_u32_e32 v3, v3, v53
	v_lshlrev_b64 v[156:157], 3, v[3:4]
	v_add_co_u32 v156, vcc_lo, s54, v156
	v_add_co_ci_u32_e64 v157, null, s55, v157, vcc_lo
	s_waitcnt lgkmcnt(0)
	global_store_dwordx2 v[156:157], v[40:41], off
	s_or_b32 exec_lo, exec_lo, s23
	s_and_saveexec_b32 s23, s31
	s_cbranch_execz .LBB530_1187
.LBB530_1255:                           ;   in Loop: Header=BB530_1040 Depth=2
	v_lshlrev_b32_e32 v3, 2, v144
	ds_read_b32 v3, v3
	ds_read_b64 v[40:41], v39 offset:18944
	s_waitcnt lgkmcnt(1)
	v_add_nc_u32_e32 v3, v3, v54
	v_lshlrev_b64 v[156:157], 3, v[3:4]
	v_add_co_u32 v156, vcc_lo, s54, v156
	v_add_co_ci_u32_e64 v157, null, s55, v157, vcc_lo
	s_waitcnt lgkmcnt(0)
	global_store_dwordx2 v[156:157], v[40:41], off
	s_or_b32 exec_lo, exec_lo, s23
	s_and_saveexec_b32 s23, s33
	s_cbranch_execz .LBB530_1188
.LBB530_1256:                           ;   in Loop: Header=BB530_1040 Depth=2
	v_lshlrev_b32_e32 v3, 2, v143
	ds_read_b32 v3, v3
	ds_read_b64 v[40:41], v39 offset:20992
	s_waitcnt lgkmcnt(1)
	v_add_nc_u32_e32 v3, v3, v55
	v_lshlrev_b64 v[156:157], 3, v[3:4]
	v_add_co_u32 v156, vcc_lo, s54, v156
	v_add_co_ci_u32_e64 v157, null, s55, v157, vcc_lo
	s_waitcnt lgkmcnt(0)
	global_store_dwordx2 v[156:157], v[40:41], off
	s_or_b32 exec_lo, exec_lo, s23
	s_and_saveexec_b32 s23, s34
	s_cbranch_execz .LBB530_1189
.LBB530_1257:                           ;   in Loop: Header=BB530_1040 Depth=2
	v_lshlrev_b32_e32 v3, 2, v142
	ds_read_b32 v3, v3
	ds_read_b64 v[40:41], v39 offset:23040
	s_waitcnt lgkmcnt(1)
	v_add_nc_u32_e32 v3, v3, v56
	v_lshlrev_b64 v[156:157], 3, v[3:4]
	v_add_co_u32 v156, vcc_lo, s54, v156
	v_add_co_ci_u32_e64 v157, null, s55, v157, vcc_lo
	s_waitcnt lgkmcnt(0)
	global_store_dwordx2 v[156:157], v[40:41], off
	s_or_b32 exec_lo, exec_lo, s23
	s_and_saveexec_b32 s23, s35
	s_cbranch_execz .LBB530_1190
.LBB530_1258:                           ;   in Loop: Header=BB530_1040 Depth=2
	v_lshlrev_b32_e32 v3, 2, v141
	ds_read_b32 v3, v3
	ds_read_b64 v[40:41], v39 offset:25088
	s_waitcnt lgkmcnt(1)
	v_add_nc_u32_e32 v3, v3, v57
	v_lshlrev_b64 v[156:157], 3, v[3:4]
	v_add_co_u32 v156, vcc_lo, s54, v156
	v_add_co_ci_u32_e64 v157, null, s55, v157, vcc_lo
	s_waitcnt lgkmcnt(0)
	global_store_dwordx2 v[156:157], v[40:41], off
	s_or_b32 exec_lo, exec_lo, s23
	s_and_saveexec_b32 s23, s36
	s_cbranch_execz .LBB530_1191
.LBB530_1259:                           ;   in Loop: Header=BB530_1040 Depth=2
	v_lshlrev_b32_e32 v3, 2, v140
	ds_read_b32 v3, v3
	ds_read_b64 v[40:41], v39 offset:27136
	s_waitcnt lgkmcnt(1)
	v_add_nc_u32_e32 v3, v3, v58
	v_lshlrev_b64 v[156:157], 3, v[3:4]
	v_add_co_u32 v156, vcc_lo, s54, v156
	v_add_co_ci_u32_e64 v157, null, s55, v157, vcc_lo
	s_waitcnt lgkmcnt(0)
	global_store_dwordx2 v[156:157], v[40:41], off
	s_or_b32 exec_lo, exec_lo, s23
	s_and_saveexec_b32 s23, s37
	s_cbranch_execz .LBB530_1192
.LBB530_1260:                           ;   in Loop: Header=BB530_1040 Depth=2
	v_lshlrev_b32_e32 v3, 2, v139
	ds_read_b32 v3, v3
	ds_read_b64 v[40:41], v39 offset:29184
	s_waitcnt lgkmcnt(1)
	v_add_nc_u32_e32 v3, v3, v59
	v_lshlrev_b64 v[156:157], 3, v[3:4]
	v_add_co_u32 v156, vcc_lo, s54, v156
	v_add_co_ci_u32_e64 v157, null, s55, v157, vcc_lo
	s_waitcnt lgkmcnt(0)
	global_store_dwordx2 v[156:157], v[40:41], off
	s_or_b32 exec_lo, exec_lo, s23
	s_and_saveexec_b32 s23, s38
	s_cbranch_execz .LBB530_1193
.LBB530_1261:                           ;   in Loop: Header=BB530_1040 Depth=2
	v_lshlrev_b32_e32 v3, 2, v138
	ds_read_b32 v3, v3
	ds_read_b64 v[40:41], v39 offset:31232
	s_waitcnt lgkmcnt(1)
	v_add_nc_u32_e32 v3, v3, v60
	v_lshlrev_b64 v[156:157], 3, v[3:4]
	v_add_co_u32 v156, vcc_lo, s54, v156
	v_add_co_ci_u32_e64 v157, null, s55, v157, vcc_lo
	s_waitcnt lgkmcnt(0)
	global_store_dwordx2 v[156:157], v[40:41], off
	s_or_b32 exec_lo, exec_lo, s23
	s_and_saveexec_b32 s23, s39
	s_cbranch_execnz .LBB530_1194
	s_branch .LBB530_1195
.LBB530_1262:
	s_endpgm
	.section	.rodata,"a",@progbits
	.p2align	6, 0x0
	.amdhsa_kernel _ZN7rocprim17ROCPRIM_400000_NS6detail17trampoline_kernelINS0_14default_configENS1_36segmented_radix_sort_config_selectorIilEEZNS1_25segmented_radix_sort_implIS3_Lb1EPKiPiPKlPlN2at6native12_GLOBAL__N_18offset_tEEE10hipError_tPvRmT1_PNSt15iterator_traitsISK_E10value_typeET2_T3_PNSL_ISQ_E10value_typeET4_jRbjT5_SW_jjP12ihipStream_tbEUlT_E2_NS1_11comp_targetILNS1_3genE8ELNS1_11target_archE1030ELNS1_3gpuE2ELNS1_3repE0EEENS1_30default_config_static_selectorELNS0_4arch9wavefront6targetE0EEEvSK_
		.amdhsa_group_segment_fixed_size 35344
		.amdhsa_private_segment_fixed_size 196
		.amdhsa_kernarg_size 336
		.amdhsa_user_sgpr_count 6
		.amdhsa_user_sgpr_private_segment_buffer 1
		.amdhsa_user_sgpr_dispatch_ptr 0
		.amdhsa_user_sgpr_queue_ptr 0
		.amdhsa_user_sgpr_kernarg_segment_ptr 1
		.amdhsa_user_sgpr_dispatch_id 0
		.amdhsa_user_sgpr_flat_scratch_init 0
		.amdhsa_user_sgpr_private_segment_size 0
		.amdhsa_wavefront_size32 1
		.amdhsa_uses_dynamic_stack 0
		.amdhsa_system_sgpr_private_segment_wavefront_offset 1
		.amdhsa_system_sgpr_workgroup_id_x 1
		.amdhsa_system_sgpr_workgroup_id_y 1
		.amdhsa_system_sgpr_workgroup_id_z 0
		.amdhsa_system_sgpr_workgroup_info 0
		.amdhsa_system_vgpr_workitem_id 2
		.amdhsa_next_free_vgpr 248
		.amdhsa_next_free_sgpr 68
		.amdhsa_reserve_vcc 1
		.amdhsa_reserve_flat_scratch 0
		.amdhsa_float_round_mode_32 0
		.amdhsa_float_round_mode_16_64 0
		.amdhsa_float_denorm_mode_32 3
		.amdhsa_float_denorm_mode_16_64 3
		.amdhsa_dx10_clamp 1
		.amdhsa_ieee_mode 1
		.amdhsa_fp16_overflow 0
		.amdhsa_workgroup_processor_mode 1
		.amdhsa_memory_ordered 1
		.amdhsa_forward_progress 1
		.amdhsa_shared_vgpr_count 0
		.amdhsa_exception_fp_ieee_invalid_op 0
		.amdhsa_exception_fp_denorm_src 0
		.amdhsa_exception_fp_ieee_div_zero 0
		.amdhsa_exception_fp_ieee_overflow 0
		.amdhsa_exception_fp_ieee_underflow 0
		.amdhsa_exception_fp_ieee_inexact 0
		.amdhsa_exception_int_div_zero 0
	.end_amdhsa_kernel
	.section	.text._ZN7rocprim17ROCPRIM_400000_NS6detail17trampoline_kernelINS0_14default_configENS1_36segmented_radix_sort_config_selectorIilEEZNS1_25segmented_radix_sort_implIS3_Lb1EPKiPiPKlPlN2at6native12_GLOBAL__N_18offset_tEEE10hipError_tPvRmT1_PNSt15iterator_traitsISK_E10value_typeET2_T3_PNSL_ISQ_E10value_typeET4_jRbjT5_SW_jjP12ihipStream_tbEUlT_E2_NS1_11comp_targetILNS1_3genE8ELNS1_11target_archE1030ELNS1_3gpuE2ELNS1_3repE0EEENS1_30default_config_static_selectorELNS0_4arch9wavefront6targetE0EEEvSK_,"axG",@progbits,_ZN7rocprim17ROCPRIM_400000_NS6detail17trampoline_kernelINS0_14default_configENS1_36segmented_radix_sort_config_selectorIilEEZNS1_25segmented_radix_sort_implIS3_Lb1EPKiPiPKlPlN2at6native12_GLOBAL__N_18offset_tEEE10hipError_tPvRmT1_PNSt15iterator_traitsISK_E10value_typeET2_T3_PNSL_ISQ_E10value_typeET4_jRbjT5_SW_jjP12ihipStream_tbEUlT_E2_NS1_11comp_targetILNS1_3genE8ELNS1_11target_archE1030ELNS1_3gpuE2ELNS1_3repE0EEENS1_30default_config_static_selectorELNS0_4arch9wavefront6targetE0EEEvSK_,comdat
.Lfunc_end530:
	.size	_ZN7rocprim17ROCPRIM_400000_NS6detail17trampoline_kernelINS0_14default_configENS1_36segmented_radix_sort_config_selectorIilEEZNS1_25segmented_radix_sort_implIS3_Lb1EPKiPiPKlPlN2at6native12_GLOBAL__N_18offset_tEEE10hipError_tPvRmT1_PNSt15iterator_traitsISK_E10value_typeET2_T3_PNSL_ISQ_E10value_typeET4_jRbjT5_SW_jjP12ihipStream_tbEUlT_E2_NS1_11comp_targetILNS1_3genE8ELNS1_11target_archE1030ELNS1_3gpuE2ELNS1_3repE0EEENS1_30default_config_static_selectorELNS0_4arch9wavefront6targetE0EEEvSK_, .Lfunc_end530-_ZN7rocprim17ROCPRIM_400000_NS6detail17trampoline_kernelINS0_14default_configENS1_36segmented_radix_sort_config_selectorIilEEZNS1_25segmented_radix_sort_implIS3_Lb1EPKiPiPKlPlN2at6native12_GLOBAL__N_18offset_tEEE10hipError_tPvRmT1_PNSt15iterator_traitsISK_E10value_typeET2_T3_PNSL_ISQ_E10value_typeET4_jRbjT5_SW_jjP12ihipStream_tbEUlT_E2_NS1_11comp_targetILNS1_3genE8ELNS1_11target_archE1030ELNS1_3gpuE2ELNS1_3repE0EEENS1_30default_config_static_selectorELNS0_4arch9wavefront6targetE0EEEvSK_
                                        ; -- End function
	.set _ZN7rocprim17ROCPRIM_400000_NS6detail17trampoline_kernelINS0_14default_configENS1_36segmented_radix_sort_config_selectorIilEEZNS1_25segmented_radix_sort_implIS3_Lb1EPKiPiPKlPlN2at6native12_GLOBAL__N_18offset_tEEE10hipError_tPvRmT1_PNSt15iterator_traitsISK_E10value_typeET2_T3_PNSL_ISQ_E10value_typeET4_jRbjT5_SW_jjP12ihipStream_tbEUlT_E2_NS1_11comp_targetILNS1_3genE8ELNS1_11target_archE1030ELNS1_3gpuE2ELNS1_3repE0EEENS1_30default_config_static_selectorELNS0_4arch9wavefront6targetE0EEEvSK_.num_vgpr, max(227, .L_ZN7rocprim17ROCPRIM_400000_NS6detail26segmented_warp_sort_helperINS1_20WarpSortHelperConfigILj32ELj4ELj256EEEilLi256ELb1EvE4sortIPKiPiPKlPlEEvT_T0_T1_T2_jjjjRNS5_12storage_typeE.num_vgpr, .L_ZN7rocprim17ROCPRIM_400000_NS6detail40segmented_radix_sort_single_block_helperIilLj256ELj17ELb1EE4sortIPKiPiPKlPlEEbT_T0_T1_T2_jjjjRNS3_12storage_typeE.num_vgpr)
	.set _ZN7rocprim17ROCPRIM_400000_NS6detail17trampoline_kernelINS0_14default_configENS1_36segmented_radix_sort_config_selectorIilEEZNS1_25segmented_radix_sort_implIS3_Lb1EPKiPiPKlPlN2at6native12_GLOBAL__N_18offset_tEEE10hipError_tPvRmT1_PNSt15iterator_traitsISK_E10value_typeET2_T3_PNSL_ISQ_E10value_typeET4_jRbjT5_SW_jjP12ihipStream_tbEUlT_E2_NS1_11comp_targetILNS1_3genE8ELNS1_11target_archE1030ELNS1_3gpuE2ELNS1_3repE0EEENS1_30default_config_static_selectorELNS0_4arch9wavefront6targetE0EEEvSK_.num_agpr, max(0, .L_ZN7rocprim17ROCPRIM_400000_NS6detail26segmented_warp_sort_helperINS1_20WarpSortHelperConfigILj32ELj4ELj256EEEilLi256ELb1EvE4sortIPKiPiPKlPlEEvT_T0_T1_T2_jjjjRNS5_12storage_typeE.num_agpr, .L_ZN7rocprim17ROCPRIM_400000_NS6detail40segmented_radix_sort_single_block_helperIilLj256ELj17ELb1EE4sortIPKiPiPKlPlEEbT_T0_T1_T2_jjjjRNS3_12storage_typeE.num_agpr)
	.set _ZN7rocprim17ROCPRIM_400000_NS6detail17trampoline_kernelINS0_14default_configENS1_36segmented_radix_sort_config_selectorIilEEZNS1_25segmented_radix_sort_implIS3_Lb1EPKiPiPKlPlN2at6native12_GLOBAL__N_18offset_tEEE10hipError_tPvRmT1_PNSt15iterator_traitsISK_E10value_typeET2_T3_PNSL_ISQ_E10value_typeET4_jRbjT5_SW_jjP12ihipStream_tbEUlT_E2_NS1_11comp_targetILNS1_3genE8ELNS1_11target_archE1030ELNS1_3gpuE2ELNS1_3repE0EEENS1_30default_config_static_selectorELNS0_4arch9wavefront6targetE0EEEvSK_.numbered_sgpr, max(68, .L_ZN7rocprim17ROCPRIM_400000_NS6detail26segmented_warp_sort_helperINS1_20WarpSortHelperConfigILj32ELj4ELj256EEEilLi256ELb1EvE4sortIPKiPiPKlPlEEvT_T0_T1_T2_jjjjRNS5_12storage_typeE.numbered_sgpr, .L_ZN7rocprim17ROCPRIM_400000_NS6detail40segmented_radix_sort_single_block_helperIilLj256ELj17ELb1EE4sortIPKiPiPKlPlEEbT_T0_T1_T2_jjjjRNS3_12storage_typeE.numbered_sgpr)
	.set _ZN7rocprim17ROCPRIM_400000_NS6detail17trampoline_kernelINS0_14default_configENS1_36segmented_radix_sort_config_selectorIilEEZNS1_25segmented_radix_sort_implIS3_Lb1EPKiPiPKlPlN2at6native12_GLOBAL__N_18offset_tEEE10hipError_tPvRmT1_PNSt15iterator_traitsISK_E10value_typeET2_T3_PNSL_ISQ_E10value_typeET4_jRbjT5_SW_jjP12ihipStream_tbEUlT_E2_NS1_11comp_targetILNS1_3genE8ELNS1_11target_archE1030ELNS1_3gpuE2ELNS1_3repE0EEENS1_30default_config_static_selectorELNS0_4arch9wavefront6targetE0EEEvSK_.num_named_barrier, max(0, .L_ZN7rocprim17ROCPRIM_400000_NS6detail26segmented_warp_sort_helperINS1_20WarpSortHelperConfigILj32ELj4ELj256EEEilLi256ELb1EvE4sortIPKiPiPKlPlEEvT_T0_T1_T2_jjjjRNS5_12storage_typeE.num_named_barrier, .L_ZN7rocprim17ROCPRIM_400000_NS6detail40segmented_radix_sort_single_block_helperIilLj256ELj17ELb1EE4sortIPKiPiPKlPlEEbT_T0_T1_T2_jjjjRNS3_12storage_typeE.num_named_barrier)
	.set _ZN7rocprim17ROCPRIM_400000_NS6detail17trampoline_kernelINS0_14default_configENS1_36segmented_radix_sort_config_selectorIilEEZNS1_25segmented_radix_sort_implIS3_Lb1EPKiPiPKlPlN2at6native12_GLOBAL__N_18offset_tEEE10hipError_tPvRmT1_PNSt15iterator_traitsISK_E10value_typeET2_T3_PNSL_ISQ_E10value_typeET4_jRbjT5_SW_jjP12ihipStream_tbEUlT_E2_NS1_11comp_targetILNS1_3genE8ELNS1_11target_archE1030ELNS1_3gpuE2ELNS1_3repE0EEENS1_30default_config_static_selectorELNS0_4arch9wavefront6targetE0EEEvSK_.private_seg_size, 0+max(.L_ZN7rocprim17ROCPRIM_400000_NS6detail26segmented_warp_sort_helperINS1_20WarpSortHelperConfigILj32ELj4ELj256EEEilLi256ELb1EvE4sortIPKiPiPKlPlEEvT_T0_T1_T2_jjjjRNS5_12storage_typeE.private_seg_size, .L_ZN7rocprim17ROCPRIM_400000_NS6detail40segmented_radix_sort_single_block_helperIilLj256ELj17ELb1EE4sortIPKiPiPKlPlEEbT_T0_T1_T2_jjjjRNS3_12storage_typeE.private_seg_size)
	.set _ZN7rocprim17ROCPRIM_400000_NS6detail17trampoline_kernelINS0_14default_configENS1_36segmented_radix_sort_config_selectorIilEEZNS1_25segmented_radix_sort_implIS3_Lb1EPKiPiPKlPlN2at6native12_GLOBAL__N_18offset_tEEE10hipError_tPvRmT1_PNSt15iterator_traitsISK_E10value_typeET2_T3_PNSL_ISQ_E10value_typeET4_jRbjT5_SW_jjP12ihipStream_tbEUlT_E2_NS1_11comp_targetILNS1_3genE8ELNS1_11target_archE1030ELNS1_3gpuE2ELNS1_3repE0EEENS1_30default_config_static_selectorELNS0_4arch9wavefront6targetE0EEEvSK_.uses_vcc, or(1, .L_ZN7rocprim17ROCPRIM_400000_NS6detail26segmented_warp_sort_helperINS1_20WarpSortHelperConfigILj32ELj4ELj256EEEilLi256ELb1EvE4sortIPKiPiPKlPlEEvT_T0_T1_T2_jjjjRNS5_12storage_typeE.uses_vcc, .L_ZN7rocprim17ROCPRIM_400000_NS6detail40segmented_radix_sort_single_block_helperIilLj256ELj17ELb1EE4sortIPKiPiPKlPlEEbT_T0_T1_T2_jjjjRNS3_12storage_typeE.uses_vcc)
	.set _ZN7rocprim17ROCPRIM_400000_NS6detail17trampoline_kernelINS0_14default_configENS1_36segmented_radix_sort_config_selectorIilEEZNS1_25segmented_radix_sort_implIS3_Lb1EPKiPiPKlPlN2at6native12_GLOBAL__N_18offset_tEEE10hipError_tPvRmT1_PNSt15iterator_traitsISK_E10value_typeET2_T3_PNSL_ISQ_E10value_typeET4_jRbjT5_SW_jjP12ihipStream_tbEUlT_E2_NS1_11comp_targetILNS1_3genE8ELNS1_11target_archE1030ELNS1_3gpuE2ELNS1_3repE0EEENS1_30default_config_static_selectorELNS0_4arch9wavefront6targetE0EEEvSK_.uses_flat_scratch, or(0, .L_ZN7rocprim17ROCPRIM_400000_NS6detail26segmented_warp_sort_helperINS1_20WarpSortHelperConfigILj32ELj4ELj256EEEilLi256ELb1EvE4sortIPKiPiPKlPlEEvT_T0_T1_T2_jjjjRNS5_12storage_typeE.uses_flat_scratch, .L_ZN7rocprim17ROCPRIM_400000_NS6detail40segmented_radix_sort_single_block_helperIilLj256ELj17ELb1EE4sortIPKiPiPKlPlEEbT_T0_T1_T2_jjjjRNS3_12storage_typeE.uses_flat_scratch)
	.set _ZN7rocprim17ROCPRIM_400000_NS6detail17trampoline_kernelINS0_14default_configENS1_36segmented_radix_sort_config_selectorIilEEZNS1_25segmented_radix_sort_implIS3_Lb1EPKiPiPKlPlN2at6native12_GLOBAL__N_18offset_tEEE10hipError_tPvRmT1_PNSt15iterator_traitsISK_E10value_typeET2_T3_PNSL_ISQ_E10value_typeET4_jRbjT5_SW_jjP12ihipStream_tbEUlT_E2_NS1_11comp_targetILNS1_3genE8ELNS1_11target_archE1030ELNS1_3gpuE2ELNS1_3repE0EEENS1_30default_config_static_selectorELNS0_4arch9wavefront6targetE0EEEvSK_.has_dyn_sized_stack, or(0, .L_ZN7rocprim17ROCPRIM_400000_NS6detail26segmented_warp_sort_helperINS1_20WarpSortHelperConfigILj32ELj4ELj256EEEilLi256ELb1EvE4sortIPKiPiPKlPlEEvT_T0_T1_T2_jjjjRNS5_12storage_typeE.has_dyn_sized_stack, .L_ZN7rocprim17ROCPRIM_400000_NS6detail40segmented_radix_sort_single_block_helperIilLj256ELj17ELb1EE4sortIPKiPiPKlPlEEbT_T0_T1_T2_jjjjRNS3_12storage_typeE.has_dyn_sized_stack)
	.set _ZN7rocprim17ROCPRIM_400000_NS6detail17trampoline_kernelINS0_14default_configENS1_36segmented_radix_sort_config_selectorIilEEZNS1_25segmented_radix_sort_implIS3_Lb1EPKiPiPKlPlN2at6native12_GLOBAL__N_18offset_tEEE10hipError_tPvRmT1_PNSt15iterator_traitsISK_E10value_typeET2_T3_PNSL_ISQ_E10value_typeET4_jRbjT5_SW_jjP12ihipStream_tbEUlT_E2_NS1_11comp_targetILNS1_3genE8ELNS1_11target_archE1030ELNS1_3gpuE2ELNS1_3repE0EEENS1_30default_config_static_selectorELNS0_4arch9wavefront6targetE0EEEvSK_.has_recursion, or(0, .L_ZN7rocprim17ROCPRIM_400000_NS6detail26segmented_warp_sort_helperINS1_20WarpSortHelperConfigILj32ELj4ELj256EEEilLi256ELb1EvE4sortIPKiPiPKlPlEEvT_T0_T1_T2_jjjjRNS5_12storage_typeE.has_recursion, .L_ZN7rocprim17ROCPRIM_400000_NS6detail40segmented_radix_sort_single_block_helperIilLj256ELj17ELb1EE4sortIPKiPiPKlPlEEbT_T0_T1_T2_jjjjRNS3_12storage_typeE.has_recursion)
	.set _ZN7rocprim17ROCPRIM_400000_NS6detail17trampoline_kernelINS0_14default_configENS1_36segmented_radix_sort_config_selectorIilEEZNS1_25segmented_radix_sort_implIS3_Lb1EPKiPiPKlPlN2at6native12_GLOBAL__N_18offset_tEEE10hipError_tPvRmT1_PNSt15iterator_traitsISK_E10value_typeET2_T3_PNSL_ISQ_E10value_typeET4_jRbjT5_SW_jjP12ihipStream_tbEUlT_E2_NS1_11comp_targetILNS1_3genE8ELNS1_11target_archE1030ELNS1_3gpuE2ELNS1_3repE0EEENS1_30default_config_static_selectorELNS0_4arch9wavefront6targetE0EEEvSK_.has_indirect_call, or(0, .L_ZN7rocprim17ROCPRIM_400000_NS6detail26segmented_warp_sort_helperINS1_20WarpSortHelperConfigILj32ELj4ELj256EEEilLi256ELb1EvE4sortIPKiPiPKlPlEEvT_T0_T1_T2_jjjjRNS5_12storage_typeE.has_indirect_call, .L_ZN7rocprim17ROCPRIM_400000_NS6detail40segmented_radix_sort_single_block_helperIilLj256ELj17ELb1EE4sortIPKiPiPKlPlEEbT_T0_T1_T2_jjjjRNS3_12storage_typeE.has_indirect_call)
	.section	.AMDGPU.csdata,"",@progbits
; Kernel info:
; codeLenInByte = 63952
; TotalNumSgprs: 70
; NumVgprs: 248
; ScratchSize: 196
; MemoryBound: 0
; FloatMode: 240
; IeeeMode: 1
; LDSByteSize: 35344 bytes/workgroup (compile time only)
; SGPRBlocks: 0
; VGPRBlocks: 30
; NumSGPRsForWavesPerEU: 70
; NumVGPRsForWavesPerEU: 248
; Occupancy: 4
; WaveLimiterHint : 1
; COMPUTE_PGM_RSRC2:SCRATCH_EN: 1
; COMPUTE_PGM_RSRC2:USER_SGPR: 6
; COMPUTE_PGM_RSRC2:TRAP_HANDLER: 0
; COMPUTE_PGM_RSRC2:TGID_X_EN: 1
; COMPUTE_PGM_RSRC2:TGID_Y_EN: 1
; COMPUTE_PGM_RSRC2:TGID_Z_EN: 0
; COMPUTE_PGM_RSRC2:TIDIG_COMP_CNT: 2
	.section	.text._ZN7rocprim17ROCPRIM_400000_NS6detail17trampoline_kernelINS0_13select_configILj256ELj13ELNS0_17block_load_methodE3ELS4_3ELS4_3ELNS0_20block_scan_algorithmE0ELj4294967295EEENS1_25partition_config_selectorILNS1_17partition_subalgoE4EjNS0_10empty_typeEbEEZZNS1_14partition_implILS8_4ELb0ES6_15HIP_vector_typeIjLj2EENS0_17counting_iteratorIjlEEPS9_SG_NS0_5tupleIJPjSI_NS0_16reverse_iteratorISI_EEEEENSH_IJSG_SG_SG_EEES9_SI_JZNS1_25segmented_radix_sort_implINS0_14default_configELb0EPKiPiPKlPlN2at6native12_GLOBAL__N_18offset_tEEE10hipError_tPvRmT1_PNSt15iterator_traitsIS12_E10value_typeET2_T3_PNS13_IS18_E10value_typeET4_jRbjT5_S1E_jjP12ihipStream_tbEUljE_ZNSN_ISO_Lb0ESQ_SR_ST_SU_SY_EESZ_S10_S11_S12_S16_S17_S18_S1B_S1C_jS1D_jS1E_S1E_jjS1G_bEUljE0_EEESZ_S10_S11_S18_S1C_S1E_T6_T7_T9_mT8_S1G_bDpT10_ENKUlT_T0_E_clISt17integral_constantIbLb0EES1U_EEDaS1P_S1Q_EUlS1P_E_NS1_11comp_targetILNS1_3genE0ELNS1_11target_archE4294967295ELNS1_3gpuE0ELNS1_3repE0EEENS1_30default_config_static_selectorELNS0_4arch9wavefront6targetE0EEEvS12_,"axG",@progbits,_ZN7rocprim17ROCPRIM_400000_NS6detail17trampoline_kernelINS0_13select_configILj256ELj13ELNS0_17block_load_methodE3ELS4_3ELS4_3ELNS0_20block_scan_algorithmE0ELj4294967295EEENS1_25partition_config_selectorILNS1_17partition_subalgoE4EjNS0_10empty_typeEbEEZZNS1_14partition_implILS8_4ELb0ES6_15HIP_vector_typeIjLj2EENS0_17counting_iteratorIjlEEPS9_SG_NS0_5tupleIJPjSI_NS0_16reverse_iteratorISI_EEEEENSH_IJSG_SG_SG_EEES9_SI_JZNS1_25segmented_radix_sort_implINS0_14default_configELb0EPKiPiPKlPlN2at6native12_GLOBAL__N_18offset_tEEE10hipError_tPvRmT1_PNSt15iterator_traitsIS12_E10value_typeET2_T3_PNS13_IS18_E10value_typeET4_jRbjT5_S1E_jjP12ihipStream_tbEUljE_ZNSN_ISO_Lb0ESQ_SR_ST_SU_SY_EESZ_S10_S11_S12_S16_S17_S18_S1B_S1C_jS1D_jS1E_S1E_jjS1G_bEUljE0_EEESZ_S10_S11_S18_S1C_S1E_T6_T7_T9_mT8_S1G_bDpT10_ENKUlT_T0_E_clISt17integral_constantIbLb0EES1U_EEDaS1P_S1Q_EUlS1P_E_NS1_11comp_targetILNS1_3genE0ELNS1_11target_archE4294967295ELNS1_3gpuE0ELNS1_3repE0EEENS1_30default_config_static_selectorELNS0_4arch9wavefront6targetE0EEEvS12_,comdat
	.globl	_ZN7rocprim17ROCPRIM_400000_NS6detail17trampoline_kernelINS0_13select_configILj256ELj13ELNS0_17block_load_methodE3ELS4_3ELS4_3ELNS0_20block_scan_algorithmE0ELj4294967295EEENS1_25partition_config_selectorILNS1_17partition_subalgoE4EjNS0_10empty_typeEbEEZZNS1_14partition_implILS8_4ELb0ES6_15HIP_vector_typeIjLj2EENS0_17counting_iteratorIjlEEPS9_SG_NS0_5tupleIJPjSI_NS0_16reverse_iteratorISI_EEEEENSH_IJSG_SG_SG_EEES9_SI_JZNS1_25segmented_radix_sort_implINS0_14default_configELb0EPKiPiPKlPlN2at6native12_GLOBAL__N_18offset_tEEE10hipError_tPvRmT1_PNSt15iterator_traitsIS12_E10value_typeET2_T3_PNS13_IS18_E10value_typeET4_jRbjT5_S1E_jjP12ihipStream_tbEUljE_ZNSN_ISO_Lb0ESQ_SR_ST_SU_SY_EESZ_S10_S11_S12_S16_S17_S18_S1B_S1C_jS1D_jS1E_S1E_jjS1G_bEUljE0_EEESZ_S10_S11_S18_S1C_S1E_T6_T7_T9_mT8_S1G_bDpT10_ENKUlT_T0_E_clISt17integral_constantIbLb0EES1U_EEDaS1P_S1Q_EUlS1P_E_NS1_11comp_targetILNS1_3genE0ELNS1_11target_archE4294967295ELNS1_3gpuE0ELNS1_3repE0EEENS1_30default_config_static_selectorELNS0_4arch9wavefront6targetE0EEEvS12_ ; -- Begin function _ZN7rocprim17ROCPRIM_400000_NS6detail17trampoline_kernelINS0_13select_configILj256ELj13ELNS0_17block_load_methodE3ELS4_3ELS4_3ELNS0_20block_scan_algorithmE0ELj4294967295EEENS1_25partition_config_selectorILNS1_17partition_subalgoE4EjNS0_10empty_typeEbEEZZNS1_14partition_implILS8_4ELb0ES6_15HIP_vector_typeIjLj2EENS0_17counting_iteratorIjlEEPS9_SG_NS0_5tupleIJPjSI_NS0_16reverse_iteratorISI_EEEEENSH_IJSG_SG_SG_EEES9_SI_JZNS1_25segmented_radix_sort_implINS0_14default_configELb0EPKiPiPKlPlN2at6native12_GLOBAL__N_18offset_tEEE10hipError_tPvRmT1_PNSt15iterator_traitsIS12_E10value_typeET2_T3_PNS13_IS18_E10value_typeET4_jRbjT5_S1E_jjP12ihipStream_tbEUljE_ZNSN_ISO_Lb0ESQ_SR_ST_SU_SY_EESZ_S10_S11_S12_S16_S17_S18_S1B_S1C_jS1D_jS1E_S1E_jjS1G_bEUljE0_EEESZ_S10_S11_S18_S1C_S1E_T6_T7_T9_mT8_S1G_bDpT10_ENKUlT_T0_E_clISt17integral_constantIbLb0EES1U_EEDaS1P_S1Q_EUlS1P_E_NS1_11comp_targetILNS1_3genE0ELNS1_11target_archE4294967295ELNS1_3gpuE0ELNS1_3repE0EEENS1_30default_config_static_selectorELNS0_4arch9wavefront6targetE0EEEvS12_
	.p2align	8
	.type	_ZN7rocprim17ROCPRIM_400000_NS6detail17trampoline_kernelINS0_13select_configILj256ELj13ELNS0_17block_load_methodE3ELS4_3ELS4_3ELNS0_20block_scan_algorithmE0ELj4294967295EEENS1_25partition_config_selectorILNS1_17partition_subalgoE4EjNS0_10empty_typeEbEEZZNS1_14partition_implILS8_4ELb0ES6_15HIP_vector_typeIjLj2EENS0_17counting_iteratorIjlEEPS9_SG_NS0_5tupleIJPjSI_NS0_16reverse_iteratorISI_EEEEENSH_IJSG_SG_SG_EEES9_SI_JZNS1_25segmented_radix_sort_implINS0_14default_configELb0EPKiPiPKlPlN2at6native12_GLOBAL__N_18offset_tEEE10hipError_tPvRmT1_PNSt15iterator_traitsIS12_E10value_typeET2_T3_PNS13_IS18_E10value_typeET4_jRbjT5_S1E_jjP12ihipStream_tbEUljE_ZNSN_ISO_Lb0ESQ_SR_ST_SU_SY_EESZ_S10_S11_S12_S16_S17_S18_S1B_S1C_jS1D_jS1E_S1E_jjS1G_bEUljE0_EEESZ_S10_S11_S18_S1C_S1E_T6_T7_T9_mT8_S1G_bDpT10_ENKUlT_T0_E_clISt17integral_constantIbLb0EES1U_EEDaS1P_S1Q_EUlS1P_E_NS1_11comp_targetILNS1_3genE0ELNS1_11target_archE4294967295ELNS1_3gpuE0ELNS1_3repE0EEENS1_30default_config_static_selectorELNS0_4arch9wavefront6targetE0EEEvS12_,@function
_ZN7rocprim17ROCPRIM_400000_NS6detail17trampoline_kernelINS0_13select_configILj256ELj13ELNS0_17block_load_methodE3ELS4_3ELS4_3ELNS0_20block_scan_algorithmE0ELj4294967295EEENS1_25partition_config_selectorILNS1_17partition_subalgoE4EjNS0_10empty_typeEbEEZZNS1_14partition_implILS8_4ELb0ES6_15HIP_vector_typeIjLj2EENS0_17counting_iteratorIjlEEPS9_SG_NS0_5tupleIJPjSI_NS0_16reverse_iteratorISI_EEEEENSH_IJSG_SG_SG_EEES9_SI_JZNS1_25segmented_radix_sort_implINS0_14default_configELb0EPKiPiPKlPlN2at6native12_GLOBAL__N_18offset_tEEE10hipError_tPvRmT1_PNSt15iterator_traitsIS12_E10value_typeET2_T3_PNS13_IS18_E10value_typeET4_jRbjT5_S1E_jjP12ihipStream_tbEUljE_ZNSN_ISO_Lb0ESQ_SR_ST_SU_SY_EESZ_S10_S11_S12_S16_S17_S18_S1B_S1C_jS1D_jS1E_S1E_jjS1G_bEUljE0_EEESZ_S10_S11_S18_S1C_S1E_T6_T7_T9_mT8_S1G_bDpT10_ENKUlT_T0_E_clISt17integral_constantIbLb0EES1U_EEDaS1P_S1Q_EUlS1P_E_NS1_11comp_targetILNS1_3genE0ELNS1_11target_archE4294967295ELNS1_3gpuE0ELNS1_3repE0EEENS1_30default_config_static_selectorELNS0_4arch9wavefront6targetE0EEEvS12_: ; @_ZN7rocprim17ROCPRIM_400000_NS6detail17trampoline_kernelINS0_13select_configILj256ELj13ELNS0_17block_load_methodE3ELS4_3ELS4_3ELNS0_20block_scan_algorithmE0ELj4294967295EEENS1_25partition_config_selectorILNS1_17partition_subalgoE4EjNS0_10empty_typeEbEEZZNS1_14partition_implILS8_4ELb0ES6_15HIP_vector_typeIjLj2EENS0_17counting_iteratorIjlEEPS9_SG_NS0_5tupleIJPjSI_NS0_16reverse_iteratorISI_EEEEENSH_IJSG_SG_SG_EEES9_SI_JZNS1_25segmented_radix_sort_implINS0_14default_configELb0EPKiPiPKlPlN2at6native12_GLOBAL__N_18offset_tEEE10hipError_tPvRmT1_PNSt15iterator_traitsIS12_E10value_typeET2_T3_PNS13_IS18_E10value_typeET4_jRbjT5_S1E_jjP12ihipStream_tbEUljE_ZNSN_ISO_Lb0ESQ_SR_ST_SU_SY_EESZ_S10_S11_S12_S16_S17_S18_S1B_S1C_jS1D_jS1E_S1E_jjS1G_bEUljE0_EEESZ_S10_S11_S18_S1C_S1E_T6_T7_T9_mT8_S1G_bDpT10_ENKUlT_T0_E_clISt17integral_constantIbLb0EES1U_EEDaS1P_S1Q_EUlS1P_E_NS1_11comp_targetILNS1_3genE0ELNS1_11target_archE4294967295ELNS1_3gpuE0ELNS1_3repE0EEENS1_30default_config_static_selectorELNS0_4arch9wavefront6targetE0EEEvS12_
; %bb.0:
	.section	.rodata,"a",@progbits
	.p2align	6, 0x0
	.amdhsa_kernel _ZN7rocprim17ROCPRIM_400000_NS6detail17trampoline_kernelINS0_13select_configILj256ELj13ELNS0_17block_load_methodE3ELS4_3ELS4_3ELNS0_20block_scan_algorithmE0ELj4294967295EEENS1_25partition_config_selectorILNS1_17partition_subalgoE4EjNS0_10empty_typeEbEEZZNS1_14partition_implILS8_4ELb0ES6_15HIP_vector_typeIjLj2EENS0_17counting_iteratorIjlEEPS9_SG_NS0_5tupleIJPjSI_NS0_16reverse_iteratorISI_EEEEENSH_IJSG_SG_SG_EEES9_SI_JZNS1_25segmented_radix_sort_implINS0_14default_configELb0EPKiPiPKlPlN2at6native12_GLOBAL__N_18offset_tEEE10hipError_tPvRmT1_PNSt15iterator_traitsIS12_E10value_typeET2_T3_PNS13_IS18_E10value_typeET4_jRbjT5_S1E_jjP12ihipStream_tbEUljE_ZNSN_ISO_Lb0ESQ_SR_ST_SU_SY_EESZ_S10_S11_S12_S16_S17_S18_S1B_S1C_jS1D_jS1E_S1E_jjS1G_bEUljE0_EEESZ_S10_S11_S18_S1C_S1E_T6_T7_T9_mT8_S1G_bDpT10_ENKUlT_T0_E_clISt17integral_constantIbLb0EES1U_EEDaS1P_S1Q_EUlS1P_E_NS1_11comp_targetILNS1_3genE0ELNS1_11target_archE4294967295ELNS1_3gpuE0ELNS1_3repE0EEENS1_30default_config_static_selectorELNS0_4arch9wavefront6targetE0EEEvS12_
		.amdhsa_group_segment_fixed_size 0
		.amdhsa_private_segment_fixed_size 0
		.amdhsa_kernarg_size 176
		.amdhsa_user_sgpr_count 6
		.amdhsa_user_sgpr_private_segment_buffer 1
		.amdhsa_user_sgpr_dispatch_ptr 0
		.amdhsa_user_sgpr_queue_ptr 0
		.amdhsa_user_sgpr_kernarg_segment_ptr 1
		.amdhsa_user_sgpr_dispatch_id 0
		.amdhsa_user_sgpr_flat_scratch_init 0
		.amdhsa_user_sgpr_private_segment_size 0
		.amdhsa_wavefront_size32 1
		.amdhsa_uses_dynamic_stack 0
		.amdhsa_system_sgpr_private_segment_wavefront_offset 0
		.amdhsa_system_sgpr_workgroup_id_x 1
		.amdhsa_system_sgpr_workgroup_id_y 0
		.amdhsa_system_sgpr_workgroup_id_z 0
		.amdhsa_system_sgpr_workgroup_info 0
		.amdhsa_system_vgpr_workitem_id 0
		.amdhsa_next_free_vgpr 1
		.amdhsa_next_free_sgpr 1
		.amdhsa_reserve_vcc 0
		.amdhsa_reserve_flat_scratch 0
		.amdhsa_float_round_mode_32 0
		.amdhsa_float_round_mode_16_64 0
		.amdhsa_float_denorm_mode_32 3
		.amdhsa_float_denorm_mode_16_64 3
		.amdhsa_dx10_clamp 1
		.amdhsa_ieee_mode 1
		.amdhsa_fp16_overflow 0
		.amdhsa_workgroup_processor_mode 1
		.amdhsa_memory_ordered 1
		.amdhsa_forward_progress 1
		.amdhsa_shared_vgpr_count 0
		.amdhsa_exception_fp_ieee_invalid_op 0
		.amdhsa_exception_fp_denorm_src 0
		.amdhsa_exception_fp_ieee_div_zero 0
		.amdhsa_exception_fp_ieee_overflow 0
		.amdhsa_exception_fp_ieee_underflow 0
		.amdhsa_exception_fp_ieee_inexact 0
		.amdhsa_exception_int_div_zero 0
	.end_amdhsa_kernel
	.section	.text._ZN7rocprim17ROCPRIM_400000_NS6detail17trampoline_kernelINS0_13select_configILj256ELj13ELNS0_17block_load_methodE3ELS4_3ELS4_3ELNS0_20block_scan_algorithmE0ELj4294967295EEENS1_25partition_config_selectorILNS1_17partition_subalgoE4EjNS0_10empty_typeEbEEZZNS1_14partition_implILS8_4ELb0ES6_15HIP_vector_typeIjLj2EENS0_17counting_iteratorIjlEEPS9_SG_NS0_5tupleIJPjSI_NS0_16reverse_iteratorISI_EEEEENSH_IJSG_SG_SG_EEES9_SI_JZNS1_25segmented_radix_sort_implINS0_14default_configELb0EPKiPiPKlPlN2at6native12_GLOBAL__N_18offset_tEEE10hipError_tPvRmT1_PNSt15iterator_traitsIS12_E10value_typeET2_T3_PNS13_IS18_E10value_typeET4_jRbjT5_S1E_jjP12ihipStream_tbEUljE_ZNSN_ISO_Lb0ESQ_SR_ST_SU_SY_EESZ_S10_S11_S12_S16_S17_S18_S1B_S1C_jS1D_jS1E_S1E_jjS1G_bEUljE0_EEESZ_S10_S11_S18_S1C_S1E_T6_T7_T9_mT8_S1G_bDpT10_ENKUlT_T0_E_clISt17integral_constantIbLb0EES1U_EEDaS1P_S1Q_EUlS1P_E_NS1_11comp_targetILNS1_3genE0ELNS1_11target_archE4294967295ELNS1_3gpuE0ELNS1_3repE0EEENS1_30default_config_static_selectorELNS0_4arch9wavefront6targetE0EEEvS12_,"axG",@progbits,_ZN7rocprim17ROCPRIM_400000_NS6detail17trampoline_kernelINS0_13select_configILj256ELj13ELNS0_17block_load_methodE3ELS4_3ELS4_3ELNS0_20block_scan_algorithmE0ELj4294967295EEENS1_25partition_config_selectorILNS1_17partition_subalgoE4EjNS0_10empty_typeEbEEZZNS1_14partition_implILS8_4ELb0ES6_15HIP_vector_typeIjLj2EENS0_17counting_iteratorIjlEEPS9_SG_NS0_5tupleIJPjSI_NS0_16reverse_iteratorISI_EEEEENSH_IJSG_SG_SG_EEES9_SI_JZNS1_25segmented_radix_sort_implINS0_14default_configELb0EPKiPiPKlPlN2at6native12_GLOBAL__N_18offset_tEEE10hipError_tPvRmT1_PNSt15iterator_traitsIS12_E10value_typeET2_T3_PNS13_IS18_E10value_typeET4_jRbjT5_S1E_jjP12ihipStream_tbEUljE_ZNSN_ISO_Lb0ESQ_SR_ST_SU_SY_EESZ_S10_S11_S12_S16_S17_S18_S1B_S1C_jS1D_jS1E_S1E_jjS1G_bEUljE0_EEESZ_S10_S11_S18_S1C_S1E_T6_T7_T9_mT8_S1G_bDpT10_ENKUlT_T0_E_clISt17integral_constantIbLb0EES1U_EEDaS1P_S1Q_EUlS1P_E_NS1_11comp_targetILNS1_3genE0ELNS1_11target_archE4294967295ELNS1_3gpuE0ELNS1_3repE0EEENS1_30default_config_static_selectorELNS0_4arch9wavefront6targetE0EEEvS12_,comdat
.Lfunc_end531:
	.size	_ZN7rocprim17ROCPRIM_400000_NS6detail17trampoline_kernelINS0_13select_configILj256ELj13ELNS0_17block_load_methodE3ELS4_3ELS4_3ELNS0_20block_scan_algorithmE0ELj4294967295EEENS1_25partition_config_selectorILNS1_17partition_subalgoE4EjNS0_10empty_typeEbEEZZNS1_14partition_implILS8_4ELb0ES6_15HIP_vector_typeIjLj2EENS0_17counting_iteratorIjlEEPS9_SG_NS0_5tupleIJPjSI_NS0_16reverse_iteratorISI_EEEEENSH_IJSG_SG_SG_EEES9_SI_JZNS1_25segmented_radix_sort_implINS0_14default_configELb0EPKiPiPKlPlN2at6native12_GLOBAL__N_18offset_tEEE10hipError_tPvRmT1_PNSt15iterator_traitsIS12_E10value_typeET2_T3_PNS13_IS18_E10value_typeET4_jRbjT5_S1E_jjP12ihipStream_tbEUljE_ZNSN_ISO_Lb0ESQ_SR_ST_SU_SY_EESZ_S10_S11_S12_S16_S17_S18_S1B_S1C_jS1D_jS1E_S1E_jjS1G_bEUljE0_EEESZ_S10_S11_S18_S1C_S1E_T6_T7_T9_mT8_S1G_bDpT10_ENKUlT_T0_E_clISt17integral_constantIbLb0EES1U_EEDaS1P_S1Q_EUlS1P_E_NS1_11comp_targetILNS1_3genE0ELNS1_11target_archE4294967295ELNS1_3gpuE0ELNS1_3repE0EEENS1_30default_config_static_selectorELNS0_4arch9wavefront6targetE0EEEvS12_, .Lfunc_end531-_ZN7rocprim17ROCPRIM_400000_NS6detail17trampoline_kernelINS0_13select_configILj256ELj13ELNS0_17block_load_methodE3ELS4_3ELS4_3ELNS0_20block_scan_algorithmE0ELj4294967295EEENS1_25partition_config_selectorILNS1_17partition_subalgoE4EjNS0_10empty_typeEbEEZZNS1_14partition_implILS8_4ELb0ES6_15HIP_vector_typeIjLj2EENS0_17counting_iteratorIjlEEPS9_SG_NS0_5tupleIJPjSI_NS0_16reverse_iteratorISI_EEEEENSH_IJSG_SG_SG_EEES9_SI_JZNS1_25segmented_radix_sort_implINS0_14default_configELb0EPKiPiPKlPlN2at6native12_GLOBAL__N_18offset_tEEE10hipError_tPvRmT1_PNSt15iterator_traitsIS12_E10value_typeET2_T3_PNS13_IS18_E10value_typeET4_jRbjT5_S1E_jjP12ihipStream_tbEUljE_ZNSN_ISO_Lb0ESQ_SR_ST_SU_SY_EESZ_S10_S11_S12_S16_S17_S18_S1B_S1C_jS1D_jS1E_S1E_jjS1G_bEUljE0_EEESZ_S10_S11_S18_S1C_S1E_T6_T7_T9_mT8_S1G_bDpT10_ENKUlT_T0_E_clISt17integral_constantIbLb0EES1U_EEDaS1P_S1Q_EUlS1P_E_NS1_11comp_targetILNS1_3genE0ELNS1_11target_archE4294967295ELNS1_3gpuE0ELNS1_3repE0EEENS1_30default_config_static_selectorELNS0_4arch9wavefront6targetE0EEEvS12_
                                        ; -- End function
	.set _ZN7rocprim17ROCPRIM_400000_NS6detail17trampoline_kernelINS0_13select_configILj256ELj13ELNS0_17block_load_methodE3ELS4_3ELS4_3ELNS0_20block_scan_algorithmE0ELj4294967295EEENS1_25partition_config_selectorILNS1_17partition_subalgoE4EjNS0_10empty_typeEbEEZZNS1_14partition_implILS8_4ELb0ES6_15HIP_vector_typeIjLj2EENS0_17counting_iteratorIjlEEPS9_SG_NS0_5tupleIJPjSI_NS0_16reverse_iteratorISI_EEEEENSH_IJSG_SG_SG_EEES9_SI_JZNS1_25segmented_radix_sort_implINS0_14default_configELb0EPKiPiPKlPlN2at6native12_GLOBAL__N_18offset_tEEE10hipError_tPvRmT1_PNSt15iterator_traitsIS12_E10value_typeET2_T3_PNS13_IS18_E10value_typeET4_jRbjT5_S1E_jjP12ihipStream_tbEUljE_ZNSN_ISO_Lb0ESQ_SR_ST_SU_SY_EESZ_S10_S11_S12_S16_S17_S18_S1B_S1C_jS1D_jS1E_S1E_jjS1G_bEUljE0_EEESZ_S10_S11_S18_S1C_S1E_T6_T7_T9_mT8_S1G_bDpT10_ENKUlT_T0_E_clISt17integral_constantIbLb0EES1U_EEDaS1P_S1Q_EUlS1P_E_NS1_11comp_targetILNS1_3genE0ELNS1_11target_archE4294967295ELNS1_3gpuE0ELNS1_3repE0EEENS1_30default_config_static_selectorELNS0_4arch9wavefront6targetE0EEEvS12_.num_vgpr, 0
	.set _ZN7rocprim17ROCPRIM_400000_NS6detail17trampoline_kernelINS0_13select_configILj256ELj13ELNS0_17block_load_methodE3ELS4_3ELS4_3ELNS0_20block_scan_algorithmE0ELj4294967295EEENS1_25partition_config_selectorILNS1_17partition_subalgoE4EjNS0_10empty_typeEbEEZZNS1_14partition_implILS8_4ELb0ES6_15HIP_vector_typeIjLj2EENS0_17counting_iteratorIjlEEPS9_SG_NS0_5tupleIJPjSI_NS0_16reverse_iteratorISI_EEEEENSH_IJSG_SG_SG_EEES9_SI_JZNS1_25segmented_radix_sort_implINS0_14default_configELb0EPKiPiPKlPlN2at6native12_GLOBAL__N_18offset_tEEE10hipError_tPvRmT1_PNSt15iterator_traitsIS12_E10value_typeET2_T3_PNS13_IS18_E10value_typeET4_jRbjT5_S1E_jjP12ihipStream_tbEUljE_ZNSN_ISO_Lb0ESQ_SR_ST_SU_SY_EESZ_S10_S11_S12_S16_S17_S18_S1B_S1C_jS1D_jS1E_S1E_jjS1G_bEUljE0_EEESZ_S10_S11_S18_S1C_S1E_T6_T7_T9_mT8_S1G_bDpT10_ENKUlT_T0_E_clISt17integral_constantIbLb0EES1U_EEDaS1P_S1Q_EUlS1P_E_NS1_11comp_targetILNS1_3genE0ELNS1_11target_archE4294967295ELNS1_3gpuE0ELNS1_3repE0EEENS1_30default_config_static_selectorELNS0_4arch9wavefront6targetE0EEEvS12_.num_agpr, 0
	.set _ZN7rocprim17ROCPRIM_400000_NS6detail17trampoline_kernelINS0_13select_configILj256ELj13ELNS0_17block_load_methodE3ELS4_3ELS4_3ELNS0_20block_scan_algorithmE0ELj4294967295EEENS1_25partition_config_selectorILNS1_17partition_subalgoE4EjNS0_10empty_typeEbEEZZNS1_14partition_implILS8_4ELb0ES6_15HIP_vector_typeIjLj2EENS0_17counting_iteratorIjlEEPS9_SG_NS0_5tupleIJPjSI_NS0_16reverse_iteratorISI_EEEEENSH_IJSG_SG_SG_EEES9_SI_JZNS1_25segmented_radix_sort_implINS0_14default_configELb0EPKiPiPKlPlN2at6native12_GLOBAL__N_18offset_tEEE10hipError_tPvRmT1_PNSt15iterator_traitsIS12_E10value_typeET2_T3_PNS13_IS18_E10value_typeET4_jRbjT5_S1E_jjP12ihipStream_tbEUljE_ZNSN_ISO_Lb0ESQ_SR_ST_SU_SY_EESZ_S10_S11_S12_S16_S17_S18_S1B_S1C_jS1D_jS1E_S1E_jjS1G_bEUljE0_EEESZ_S10_S11_S18_S1C_S1E_T6_T7_T9_mT8_S1G_bDpT10_ENKUlT_T0_E_clISt17integral_constantIbLb0EES1U_EEDaS1P_S1Q_EUlS1P_E_NS1_11comp_targetILNS1_3genE0ELNS1_11target_archE4294967295ELNS1_3gpuE0ELNS1_3repE0EEENS1_30default_config_static_selectorELNS0_4arch9wavefront6targetE0EEEvS12_.numbered_sgpr, 0
	.set _ZN7rocprim17ROCPRIM_400000_NS6detail17trampoline_kernelINS0_13select_configILj256ELj13ELNS0_17block_load_methodE3ELS4_3ELS4_3ELNS0_20block_scan_algorithmE0ELj4294967295EEENS1_25partition_config_selectorILNS1_17partition_subalgoE4EjNS0_10empty_typeEbEEZZNS1_14partition_implILS8_4ELb0ES6_15HIP_vector_typeIjLj2EENS0_17counting_iteratorIjlEEPS9_SG_NS0_5tupleIJPjSI_NS0_16reverse_iteratorISI_EEEEENSH_IJSG_SG_SG_EEES9_SI_JZNS1_25segmented_radix_sort_implINS0_14default_configELb0EPKiPiPKlPlN2at6native12_GLOBAL__N_18offset_tEEE10hipError_tPvRmT1_PNSt15iterator_traitsIS12_E10value_typeET2_T3_PNS13_IS18_E10value_typeET4_jRbjT5_S1E_jjP12ihipStream_tbEUljE_ZNSN_ISO_Lb0ESQ_SR_ST_SU_SY_EESZ_S10_S11_S12_S16_S17_S18_S1B_S1C_jS1D_jS1E_S1E_jjS1G_bEUljE0_EEESZ_S10_S11_S18_S1C_S1E_T6_T7_T9_mT8_S1G_bDpT10_ENKUlT_T0_E_clISt17integral_constantIbLb0EES1U_EEDaS1P_S1Q_EUlS1P_E_NS1_11comp_targetILNS1_3genE0ELNS1_11target_archE4294967295ELNS1_3gpuE0ELNS1_3repE0EEENS1_30default_config_static_selectorELNS0_4arch9wavefront6targetE0EEEvS12_.num_named_barrier, 0
	.set _ZN7rocprim17ROCPRIM_400000_NS6detail17trampoline_kernelINS0_13select_configILj256ELj13ELNS0_17block_load_methodE3ELS4_3ELS4_3ELNS0_20block_scan_algorithmE0ELj4294967295EEENS1_25partition_config_selectorILNS1_17partition_subalgoE4EjNS0_10empty_typeEbEEZZNS1_14partition_implILS8_4ELb0ES6_15HIP_vector_typeIjLj2EENS0_17counting_iteratorIjlEEPS9_SG_NS0_5tupleIJPjSI_NS0_16reverse_iteratorISI_EEEEENSH_IJSG_SG_SG_EEES9_SI_JZNS1_25segmented_radix_sort_implINS0_14default_configELb0EPKiPiPKlPlN2at6native12_GLOBAL__N_18offset_tEEE10hipError_tPvRmT1_PNSt15iterator_traitsIS12_E10value_typeET2_T3_PNS13_IS18_E10value_typeET4_jRbjT5_S1E_jjP12ihipStream_tbEUljE_ZNSN_ISO_Lb0ESQ_SR_ST_SU_SY_EESZ_S10_S11_S12_S16_S17_S18_S1B_S1C_jS1D_jS1E_S1E_jjS1G_bEUljE0_EEESZ_S10_S11_S18_S1C_S1E_T6_T7_T9_mT8_S1G_bDpT10_ENKUlT_T0_E_clISt17integral_constantIbLb0EES1U_EEDaS1P_S1Q_EUlS1P_E_NS1_11comp_targetILNS1_3genE0ELNS1_11target_archE4294967295ELNS1_3gpuE0ELNS1_3repE0EEENS1_30default_config_static_selectorELNS0_4arch9wavefront6targetE0EEEvS12_.private_seg_size, 0
	.set _ZN7rocprim17ROCPRIM_400000_NS6detail17trampoline_kernelINS0_13select_configILj256ELj13ELNS0_17block_load_methodE3ELS4_3ELS4_3ELNS0_20block_scan_algorithmE0ELj4294967295EEENS1_25partition_config_selectorILNS1_17partition_subalgoE4EjNS0_10empty_typeEbEEZZNS1_14partition_implILS8_4ELb0ES6_15HIP_vector_typeIjLj2EENS0_17counting_iteratorIjlEEPS9_SG_NS0_5tupleIJPjSI_NS0_16reverse_iteratorISI_EEEEENSH_IJSG_SG_SG_EEES9_SI_JZNS1_25segmented_radix_sort_implINS0_14default_configELb0EPKiPiPKlPlN2at6native12_GLOBAL__N_18offset_tEEE10hipError_tPvRmT1_PNSt15iterator_traitsIS12_E10value_typeET2_T3_PNS13_IS18_E10value_typeET4_jRbjT5_S1E_jjP12ihipStream_tbEUljE_ZNSN_ISO_Lb0ESQ_SR_ST_SU_SY_EESZ_S10_S11_S12_S16_S17_S18_S1B_S1C_jS1D_jS1E_S1E_jjS1G_bEUljE0_EEESZ_S10_S11_S18_S1C_S1E_T6_T7_T9_mT8_S1G_bDpT10_ENKUlT_T0_E_clISt17integral_constantIbLb0EES1U_EEDaS1P_S1Q_EUlS1P_E_NS1_11comp_targetILNS1_3genE0ELNS1_11target_archE4294967295ELNS1_3gpuE0ELNS1_3repE0EEENS1_30default_config_static_selectorELNS0_4arch9wavefront6targetE0EEEvS12_.uses_vcc, 0
	.set _ZN7rocprim17ROCPRIM_400000_NS6detail17trampoline_kernelINS0_13select_configILj256ELj13ELNS0_17block_load_methodE3ELS4_3ELS4_3ELNS0_20block_scan_algorithmE0ELj4294967295EEENS1_25partition_config_selectorILNS1_17partition_subalgoE4EjNS0_10empty_typeEbEEZZNS1_14partition_implILS8_4ELb0ES6_15HIP_vector_typeIjLj2EENS0_17counting_iteratorIjlEEPS9_SG_NS0_5tupleIJPjSI_NS0_16reverse_iteratorISI_EEEEENSH_IJSG_SG_SG_EEES9_SI_JZNS1_25segmented_radix_sort_implINS0_14default_configELb0EPKiPiPKlPlN2at6native12_GLOBAL__N_18offset_tEEE10hipError_tPvRmT1_PNSt15iterator_traitsIS12_E10value_typeET2_T3_PNS13_IS18_E10value_typeET4_jRbjT5_S1E_jjP12ihipStream_tbEUljE_ZNSN_ISO_Lb0ESQ_SR_ST_SU_SY_EESZ_S10_S11_S12_S16_S17_S18_S1B_S1C_jS1D_jS1E_S1E_jjS1G_bEUljE0_EEESZ_S10_S11_S18_S1C_S1E_T6_T7_T9_mT8_S1G_bDpT10_ENKUlT_T0_E_clISt17integral_constantIbLb0EES1U_EEDaS1P_S1Q_EUlS1P_E_NS1_11comp_targetILNS1_3genE0ELNS1_11target_archE4294967295ELNS1_3gpuE0ELNS1_3repE0EEENS1_30default_config_static_selectorELNS0_4arch9wavefront6targetE0EEEvS12_.uses_flat_scratch, 0
	.set _ZN7rocprim17ROCPRIM_400000_NS6detail17trampoline_kernelINS0_13select_configILj256ELj13ELNS0_17block_load_methodE3ELS4_3ELS4_3ELNS0_20block_scan_algorithmE0ELj4294967295EEENS1_25partition_config_selectorILNS1_17partition_subalgoE4EjNS0_10empty_typeEbEEZZNS1_14partition_implILS8_4ELb0ES6_15HIP_vector_typeIjLj2EENS0_17counting_iteratorIjlEEPS9_SG_NS0_5tupleIJPjSI_NS0_16reverse_iteratorISI_EEEEENSH_IJSG_SG_SG_EEES9_SI_JZNS1_25segmented_radix_sort_implINS0_14default_configELb0EPKiPiPKlPlN2at6native12_GLOBAL__N_18offset_tEEE10hipError_tPvRmT1_PNSt15iterator_traitsIS12_E10value_typeET2_T3_PNS13_IS18_E10value_typeET4_jRbjT5_S1E_jjP12ihipStream_tbEUljE_ZNSN_ISO_Lb0ESQ_SR_ST_SU_SY_EESZ_S10_S11_S12_S16_S17_S18_S1B_S1C_jS1D_jS1E_S1E_jjS1G_bEUljE0_EEESZ_S10_S11_S18_S1C_S1E_T6_T7_T9_mT8_S1G_bDpT10_ENKUlT_T0_E_clISt17integral_constantIbLb0EES1U_EEDaS1P_S1Q_EUlS1P_E_NS1_11comp_targetILNS1_3genE0ELNS1_11target_archE4294967295ELNS1_3gpuE0ELNS1_3repE0EEENS1_30default_config_static_selectorELNS0_4arch9wavefront6targetE0EEEvS12_.has_dyn_sized_stack, 0
	.set _ZN7rocprim17ROCPRIM_400000_NS6detail17trampoline_kernelINS0_13select_configILj256ELj13ELNS0_17block_load_methodE3ELS4_3ELS4_3ELNS0_20block_scan_algorithmE0ELj4294967295EEENS1_25partition_config_selectorILNS1_17partition_subalgoE4EjNS0_10empty_typeEbEEZZNS1_14partition_implILS8_4ELb0ES6_15HIP_vector_typeIjLj2EENS0_17counting_iteratorIjlEEPS9_SG_NS0_5tupleIJPjSI_NS0_16reverse_iteratorISI_EEEEENSH_IJSG_SG_SG_EEES9_SI_JZNS1_25segmented_radix_sort_implINS0_14default_configELb0EPKiPiPKlPlN2at6native12_GLOBAL__N_18offset_tEEE10hipError_tPvRmT1_PNSt15iterator_traitsIS12_E10value_typeET2_T3_PNS13_IS18_E10value_typeET4_jRbjT5_S1E_jjP12ihipStream_tbEUljE_ZNSN_ISO_Lb0ESQ_SR_ST_SU_SY_EESZ_S10_S11_S12_S16_S17_S18_S1B_S1C_jS1D_jS1E_S1E_jjS1G_bEUljE0_EEESZ_S10_S11_S18_S1C_S1E_T6_T7_T9_mT8_S1G_bDpT10_ENKUlT_T0_E_clISt17integral_constantIbLb0EES1U_EEDaS1P_S1Q_EUlS1P_E_NS1_11comp_targetILNS1_3genE0ELNS1_11target_archE4294967295ELNS1_3gpuE0ELNS1_3repE0EEENS1_30default_config_static_selectorELNS0_4arch9wavefront6targetE0EEEvS12_.has_recursion, 0
	.set _ZN7rocprim17ROCPRIM_400000_NS6detail17trampoline_kernelINS0_13select_configILj256ELj13ELNS0_17block_load_methodE3ELS4_3ELS4_3ELNS0_20block_scan_algorithmE0ELj4294967295EEENS1_25partition_config_selectorILNS1_17partition_subalgoE4EjNS0_10empty_typeEbEEZZNS1_14partition_implILS8_4ELb0ES6_15HIP_vector_typeIjLj2EENS0_17counting_iteratorIjlEEPS9_SG_NS0_5tupleIJPjSI_NS0_16reverse_iteratorISI_EEEEENSH_IJSG_SG_SG_EEES9_SI_JZNS1_25segmented_radix_sort_implINS0_14default_configELb0EPKiPiPKlPlN2at6native12_GLOBAL__N_18offset_tEEE10hipError_tPvRmT1_PNSt15iterator_traitsIS12_E10value_typeET2_T3_PNS13_IS18_E10value_typeET4_jRbjT5_S1E_jjP12ihipStream_tbEUljE_ZNSN_ISO_Lb0ESQ_SR_ST_SU_SY_EESZ_S10_S11_S12_S16_S17_S18_S1B_S1C_jS1D_jS1E_S1E_jjS1G_bEUljE0_EEESZ_S10_S11_S18_S1C_S1E_T6_T7_T9_mT8_S1G_bDpT10_ENKUlT_T0_E_clISt17integral_constantIbLb0EES1U_EEDaS1P_S1Q_EUlS1P_E_NS1_11comp_targetILNS1_3genE0ELNS1_11target_archE4294967295ELNS1_3gpuE0ELNS1_3repE0EEENS1_30default_config_static_selectorELNS0_4arch9wavefront6targetE0EEEvS12_.has_indirect_call, 0
	.section	.AMDGPU.csdata,"",@progbits
; Kernel info:
; codeLenInByte = 0
; TotalNumSgprs: 0
; NumVgprs: 0
; ScratchSize: 0
; MemoryBound: 0
; FloatMode: 240
; IeeeMode: 1
; LDSByteSize: 0 bytes/workgroup (compile time only)
; SGPRBlocks: 0
; VGPRBlocks: 0
; NumSGPRsForWavesPerEU: 1
; NumVGPRsForWavesPerEU: 1
; Occupancy: 16
; WaveLimiterHint : 0
; COMPUTE_PGM_RSRC2:SCRATCH_EN: 0
; COMPUTE_PGM_RSRC2:USER_SGPR: 6
; COMPUTE_PGM_RSRC2:TRAP_HANDLER: 0
; COMPUTE_PGM_RSRC2:TGID_X_EN: 1
; COMPUTE_PGM_RSRC2:TGID_Y_EN: 0
; COMPUTE_PGM_RSRC2:TGID_Z_EN: 0
; COMPUTE_PGM_RSRC2:TIDIG_COMP_CNT: 0
	.section	.text._ZN7rocprim17ROCPRIM_400000_NS6detail17trampoline_kernelINS0_13select_configILj256ELj13ELNS0_17block_load_methodE3ELS4_3ELS4_3ELNS0_20block_scan_algorithmE0ELj4294967295EEENS1_25partition_config_selectorILNS1_17partition_subalgoE4EjNS0_10empty_typeEbEEZZNS1_14partition_implILS8_4ELb0ES6_15HIP_vector_typeIjLj2EENS0_17counting_iteratorIjlEEPS9_SG_NS0_5tupleIJPjSI_NS0_16reverse_iteratorISI_EEEEENSH_IJSG_SG_SG_EEES9_SI_JZNS1_25segmented_radix_sort_implINS0_14default_configELb0EPKiPiPKlPlN2at6native12_GLOBAL__N_18offset_tEEE10hipError_tPvRmT1_PNSt15iterator_traitsIS12_E10value_typeET2_T3_PNS13_IS18_E10value_typeET4_jRbjT5_S1E_jjP12ihipStream_tbEUljE_ZNSN_ISO_Lb0ESQ_SR_ST_SU_SY_EESZ_S10_S11_S12_S16_S17_S18_S1B_S1C_jS1D_jS1E_S1E_jjS1G_bEUljE0_EEESZ_S10_S11_S18_S1C_S1E_T6_T7_T9_mT8_S1G_bDpT10_ENKUlT_T0_E_clISt17integral_constantIbLb0EES1U_EEDaS1P_S1Q_EUlS1P_E_NS1_11comp_targetILNS1_3genE5ELNS1_11target_archE942ELNS1_3gpuE9ELNS1_3repE0EEENS1_30default_config_static_selectorELNS0_4arch9wavefront6targetE0EEEvS12_,"axG",@progbits,_ZN7rocprim17ROCPRIM_400000_NS6detail17trampoline_kernelINS0_13select_configILj256ELj13ELNS0_17block_load_methodE3ELS4_3ELS4_3ELNS0_20block_scan_algorithmE0ELj4294967295EEENS1_25partition_config_selectorILNS1_17partition_subalgoE4EjNS0_10empty_typeEbEEZZNS1_14partition_implILS8_4ELb0ES6_15HIP_vector_typeIjLj2EENS0_17counting_iteratorIjlEEPS9_SG_NS0_5tupleIJPjSI_NS0_16reverse_iteratorISI_EEEEENSH_IJSG_SG_SG_EEES9_SI_JZNS1_25segmented_radix_sort_implINS0_14default_configELb0EPKiPiPKlPlN2at6native12_GLOBAL__N_18offset_tEEE10hipError_tPvRmT1_PNSt15iterator_traitsIS12_E10value_typeET2_T3_PNS13_IS18_E10value_typeET4_jRbjT5_S1E_jjP12ihipStream_tbEUljE_ZNSN_ISO_Lb0ESQ_SR_ST_SU_SY_EESZ_S10_S11_S12_S16_S17_S18_S1B_S1C_jS1D_jS1E_S1E_jjS1G_bEUljE0_EEESZ_S10_S11_S18_S1C_S1E_T6_T7_T9_mT8_S1G_bDpT10_ENKUlT_T0_E_clISt17integral_constantIbLb0EES1U_EEDaS1P_S1Q_EUlS1P_E_NS1_11comp_targetILNS1_3genE5ELNS1_11target_archE942ELNS1_3gpuE9ELNS1_3repE0EEENS1_30default_config_static_selectorELNS0_4arch9wavefront6targetE0EEEvS12_,comdat
	.globl	_ZN7rocprim17ROCPRIM_400000_NS6detail17trampoline_kernelINS0_13select_configILj256ELj13ELNS0_17block_load_methodE3ELS4_3ELS4_3ELNS0_20block_scan_algorithmE0ELj4294967295EEENS1_25partition_config_selectorILNS1_17partition_subalgoE4EjNS0_10empty_typeEbEEZZNS1_14partition_implILS8_4ELb0ES6_15HIP_vector_typeIjLj2EENS0_17counting_iteratorIjlEEPS9_SG_NS0_5tupleIJPjSI_NS0_16reverse_iteratorISI_EEEEENSH_IJSG_SG_SG_EEES9_SI_JZNS1_25segmented_radix_sort_implINS0_14default_configELb0EPKiPiPKlPlN2at6native12_GLOBAL__N_18offset_tEEE10hipError_tPvRmT1_PNSt15iterator_traitsIS12_E10value_typeET2_T3_PNS13_IS18_E10value_typeET4_jRbjT5_S1E_jjP12ihipStream_tbEUljE_ZNSN_ISO_Lb0ESQ_SR_ST_SU_SY_EESZ_S10_S11_S12_S16_S17_S18_S1B_S1C_jS1D_jS1E_S1E_jjS1G_bEUljE0_EEESZ_S10_S11_S18_S1C_S1E_T6_T7_T9_mT8_S1G_bDpT10_ENKUlT_T0_E_clISt17integral_constantIbLb0EES1U_EEDaS1P_S1Q_EUlS1P_E_NS1_11comp_targetILNS1_3genE5ELNS1_11target_archE942ELNS1_3gpuE9ELNS1_3repE0EEENS1_30default_config_static_selectorELNS0_4arch9wavefront6targetE0EEEvS12_ ; -- Begin function _ZN7rocprim17ROCPRIM_400000_NS6detail17trampoline_kernelINS0_13select_configILj256ELj13ELNS0_17block_load_methodE3ELS4_3ELS4_3ELNS0_20block_scan_algorithmE0ELj4294967295EEENS1_25partition_config_selectorILNS1_17partition_subalgoE4EjNS0_10empty_typeEbEEZZNS1_14partition_implILS8_4ELb0ES6_15HIP_vector_typeIjLj2EENS0_17counting_iteratorIjlEEPS9_SG_NS0_5tupleIJPjSI_NS0_16reverse_iteratorISI_EEEEENSH_IJSG_SG_SG_EEES9_SI_JZNS1_25segmented_radix_sort_implINS0_14default_configELb0EPKiPiPKlPlN2at6native12_GLOBAL__N_18offset_tEEE10hipError_tPvRmT1_PNSt15iterator_traitsIS12_E10value_typeET2_T3_PNS13_IS18_E10value_typeET4_jRbjT5_S1E_jjP12ihipStream_tbEUljE_ZNSN_ISO_Lb0ESQ_SR_ST_SU_SY_EESZ_S10_S11_S12_S16_S17_S18_S1B_S1C_jS1D_jS1E_S1E_jjS1G_bEUljE0_EEESZ_S10_S11_S18_S1C_S1E_T6_T7_T9_mT8_S1G_bDpT10_ENKUlT_T0_E_clISt17integral_constantIbLb0EES1U_EEDaS1P_S1Q_EUlS1P_E_NS1_11comp_targetILNS1_3genE5ELNS1_11target_archE942ELNS1_3gpuE9ELNS1_3repE0EEENS1_30default_config_static_selectorELNS0_4arch9wavefront6targetE0EEEvS12_
	.p2align	8
	.type	_ZN7rocprim17ROCPRIM_400000_NS6detail17trampoline_kernelINS0_13select_configILj256ELj13ELNS0_17block_load_methodE3ELS4_3ELS4_3ELNS0_20block_scan_algorithmE0ELj4294967295EEENS1_25partition_config_selectorILNS1_17partition_subalgoE4EjNS0_10empty_typeEbEEZZNS1_14partition_implILS8_4ELb0ES6_15HIP_vector_typeIjLj2EENS0_17counting_iteratorIjlEEPS9_SG_NS0_5tupleIJPjSI_NS0_16reverse_iteratorISI_EEEEENSH_IJSG_SG_SG_EEES9_SI_JZNS1_25segmented_radix_sort_implINS0_14default_configELb0EPKiPiPKlPlN2at6native12_GLOBAL__N_18offset_tEEE10hipError_tPvRmT1_PNSt15iterator_traitsIS12_E10value_typeET2_T3_PNS13_IS18_E10value_typeET4_jRbjT5_S1E_jjP12ihipStream_tbEUljE_ZNSN_ISO_Lb0ESQ_SR_ST_SU_SY_EESZ_S10_S11_S12_S16_S17_S18_S1B_S1C_jS1D_jS1E_S1E_jjS1G_bEUljE0_EEESZ_S10_S11_S18_S1C_S1E_T6_T7_T9_mT8_S1G_bDpT10_ENKUlT_T0_E_clISt17integral_constantIbLb0EES1U_EEDaS1P_S1Q_EUlS1P_E_NS1_11comp_targetILNS1_3genE5ELNS1_11target_archE942ELNS1_3gpuE9ELNS1_3repE0EEENS1_30default_config_static_selectorELNS0_4arch9wavefront6targetE0EEEvS12_,@function
_ZN7rocprim17ROCPRIM_400000_NS6detail17trampoline_kernelINS0_13select_configILj256ELj13ELNS0_17block_load_methodE3ELS4_3ELS4_3ELNS0_20block_scan_algorithmE0ELj4294967295EEENS1_25partition_config_selectorILNS1_17partition_subalgoE4EjNS0_10empty_typeEbEEZZNS1_14partition_implILS8_4ELb0ES6_15HIP_vector_typeIjLj2EENS0_17counting_iteratorIjlEEPS9_SG_NS0_5tupleIJPjSI_NS0_16reverse_iteratorISI_EEEEENSH_IJSG_SG_SG_EEES9_SI_JZNS1_25segmented_radix_sort_implINS0_14default_configELb0EPKiPiPKlPlN2at6native12_GLOBAL__N_18offset_tEEE10hipError_tPvRmT1_PNSt15iterator_traitsIS12_E10value_typeET2_T3_PNS13_IS18_E10value_typeET4_jRbjT5_S1E_jjP12ihipStream_tbEUljE_ZNSN_ISO_Lb0ESQ_SR_ST_SU_SY_EESZ_S10_S11_S12_S16_S17_S18_S1B_S1C_jS1D_jS1E_S1E_jjS1G_bEUljE0_EEESZ_S10_S11_S18_S1C_S1E_T6_T7_T9_mT8_S1G_bDpT10_ENKUlT_T0_E_clISt17integral_constantIbLb0EES1U_EEDaS1P_S1Q_EUlS1P_E_NS1_11comp_targetILNS1_3genE5ELNS1_11target_archE942ELNS1_3gpuE9ELNS1_3repE0EEENS1_30default_config_static_selectorELNS0_4arch9wavefront6targetE0EEEvS12_: ; @_ZN7rocprim17ROCPRIM_400000_NS6detail17trampoline_kernelINS0_13select_configILj256ELj13ELNS0_17block_load_methodE3ELS4_3ELS4_3ELNS0_20block_scan_algorithmE0ELj4294967295EEENS1_25partition_config_selectorILNS1_17partition_subalgoE4EjNS0_10empty_typeEbEEZZNS1_14partition_implILS8_4ELb0ES6_15HIP_vector_typeIjLj2EENS0_17counting_iteratorIjlEEPS9_SG_NS0_5tupleIJPjSI_NS0_16reverse_iteratorISI_EEEEENSH_IJSG_SG_SG_EEES9_SI_JZNS1_25segmented_radix_sort_implINS0_14default_configELb0EPKiPiPKlPlN2at6native12_GLOBAL__N_18offset_tEEE10hipError_tPvRmT1_PNSt15iterator_traitsIS12_E10value_typeET2_T3_PNS13_IS18_E10value_typeET4_jRbjT5_S1E_jjP12ihipStream_tbEUljE_ZNSN_ISO_Lb0ESQ_SR_ST_SU_SY_EESZ_S10_S11_S12_S16_S17_S18_S1B_S1C_jS1D_jS1E_S1E_jjS1G_bEUljE0_EEESZ_S10_S11_S18_S1C_S1E_T6_T7_T9_mT8_S1G_bDpT10_ENKUlT_T0_E_clISt17integral_constantIbLb0EES1U_EEDaS1P_S1Q_EUlS1P_E_NS1_11comp_targetILNS1_3genE5ELNS1_11target_archE942ELNS1_3gpuE9ELNS1_3repE0EEENS1_30default_config_static_selectorELNS0_4arch9wavefront6targetE0EEEvS12_
; %bb.0:
	.section	.rodata,"a",@progbits
	.p2align	6, 0x0
	.amdhsa_kernel _ZN7rocprim17ROCPRIM_400000_NS6detail17trampoline_kernelINS0_13select_configILj256ELj13ELNS0_17block_load_methodE3ELS4_3ELS4_3ELNS0_20block_scan_algorithmE0ELj4294967295EEENS1_25partition_config_selectorILNS1_17partition_subalgoE4EjNS0_10empty_typeEbEEZZNS1_14partition_implILS8_4ELb0ES6_15HIP_vector_typeIjLj2EENS0_17counting_iteratorIjlEEPS9_SG_NS0_5tupleIJPjSI_NS0_16reverse_iteratorISI_EEEEENSH_IJSG_SG_SG_EEES9_SI_JZNS1_25segmented_radix_sort_implINS0_14default_configELb0EPKiPiPKlPlN2at6native12_GLOBAL__N_18offset_tEEE10hipError_tPvRmT1_PNSt15iterator_traitsIS12_E10value_typeET2_T3_PNS13_IS18_E10value_typeET4_jRbjT5_S1E_jjP12ihipStream_tbEUljE_ZNSN_ISO_Lb0ESQ_SR_ST_SU_SY_EESZ_S10_S11_S12_S16_S17_S18_S1B_S1C_jS1D_jS1E_S1E_jjS1G_bEUljE0_EEESZ_S10_S11_S18_S1C_S1E_T6_T7_T9_mT8_S1G_bDpT10_ENKUlT_T0_E_clISt17integral_constantIbLb0EES1U_EEDaS1P_S1Q_EUlS1P_E_NS1_11comp_targetILNS1_3genE5ELNS1_11target_archE942ELNS1_3gpuE9ELNS1_3repE0EEENS1_30default_config_static_selectorELNS0_4arch9wavefront6targetE0EEEvS12_
		.amdhsa_group_segment_fixed_size 0
		.amdhsa_private_segment_fixed_size 0
		.amdhsa_kernarg_size 176
		.amdhsa_user_sgpr_count 6
		.amdhsa_user_sgpr_private_segment_buffer 1
		.amdhsa_user_sgpr_dispatch_ptr 0
		.amdhsa_user_sgpr_queue_ptr 0
		.amdhsa_user_sgpr_kernarg_segment_ptr 1
		.amdhsa_user_sgpr_dispatch_id 0
		.amdhsa_user_sgpr_flat_scratch_init 0
		.amdhsa_user_sgpr_private_segment_size 0
		.amdhsa_wavefront_size32 1
		.amdhsa_uses_dynamic_stack 0
		.amdhsa_system_sgpr_private_segment_wavefront_offset 0
		.amdhsa_system_sgpr_workgroup_id_x 1
		.amdhsa_system_sgpr_workgroup_id_y 0
		.amdhsa_system_sgpr_workgroup_id_z 0
		.amdhsa_system_sgpr_workgroup_info 0
		.amdhsa_system_vgpr_workitem_id 0
		.amdhsa_next_free_vgpr 1
		.amdhsa_next_free_sgpr 1
		.amdhsa_reserve_vcc 0
		.amdhsa_reserve_flat_scratch 0
		.amdhsa_float_round_mode_32 0
		.amdhsa_float_round_mode_16_64 0
		.amdhsa_float_denorm_mode_32 3
		.amdhsa_float_denorm_mode_16_64 3
		.amdhsa_dx10_clamp 1
		.amdhsa_ieee_mode 1
		.amdhsa_fp16_overflow 0
		.amdhsa_workgroup_processor_mode 1
		.amdhsa_memory_ordered 1
		.amdhsa_forward_progress 1
		.amdhsa_shared_vgpr_count 0
		.amdhsa_exception_fp_ieee_invalid_op 0
		.amdhsa_exception_fp_denorm_src 0
		.amdhsa_exception_fp_ieee_div_zero 0
		.amdhsa_exception_fp_ieee_overflow 0
		.amdhsa_exception_fp_ieee_underflow 0
		.amdhsa_exception_fp_ieee_inexact 0
		.amdhsa_exception_int_div_zero 0
	.end_amdhsa_kernel
	.section	.text._ZN7rocprim17ROCPRIM_400000_NS6detail17trampoline_kernelINS0_13select_configILj256ELj13ELNS0_17block_load_methodE3ELS4_3ELS4_3ELNS0_20block_scan_algorithmE0ELj4294967295EEENS1_25partition_config_selectorILNS1_17partition_subalgoE4EjNS0_10empty_typeEbEEZZNS1_14partition_implILS8_4ELb0ES6_15HIP_vector_typeIjLj2EENS0_17counting_iteratorIjlEEPS9_SG_NS0_5tupleIJPjSI_NS0_16reverse_iteratorISI_EEEEENSH_IJSG_SG_SG_EEES9_SI_JZNS1_25segmented_radix_sort_implINS0_14default_configELb0EPKiPiPKlPlN2at6native12_GLOBAL__N_18offset_tEEE10hipError_tPvRmT1_PNSt15iterator_traitsIS12_E10value_typeET2_T3_PNS13_IS18_E10value_typeET4_jRbjT5_S1E_jjP12ihipStream_tbEUljE_ZNSN_ISO_Lb0ESQ_SR_ST_SU_SY_EESZ_S10_S11_S12_S16_S17_S18_S1B_S1C_jS1D_jS1E_S1E_jjS1G_bEUljE0_EEESZ_S10_S11_S18_S1C_S1E_T6_T7_T9_mT8_S1G_bDpT10_ENKUlT_T0_E_clISt17integral_constantIbLb0EES1U_EEDaS1P_S1Q_EUlS1P_E_NS1_11comp_targetILNS1_3genE5ELNS1_11target_archE942ELNS1_3gpuE9ELNS1_3repE0EEENS1_30default_config_static_selectorELNS0_4arch9wavefront6targetE0EEEvS12_,"axG",@progbits,_ZN7rocprim17ROCPRIM_400000_NS6detail17trampoline_kernelINS0_13select_configILj256ELj13ELNS0_17block_load_methodE3ELS4_3ELS4_3ELNS0_20block_scan_algorithmE0ELj4294967295EEENS1_25partition_config_selectorILNS1_17partition_subalgoE4EjNS0_10empty_typeEbEEZZNS1_14partition_implILS8_4ELb0ES6_15HIP_vector_typeIjLj2EENS0_17counting_iteratorIjlEEPS9_SG_NS0_5tupleIJPjSI_NS0_16reverse_iteratorISI_EEEEENSH_IJSG_SG_SG_EEES9_SI_JZNS1_25segmented_radix_sort_implINS0_14default_configELb0EPKiPiPKlPlN2at6native12_GLOBAL__N_18offset_tEEE10hipError_tPvRmT1_PNSt15iterator_traitsIS12_E10value_typeET2_T3_PNS13_IS18_E10value_typeET4_jRbjT5_S1E_jjP12ihipStream_tbEUljE_ZNSN_ISO_Lb0ESQ_SR_ST_SU_SY_EESZ_S10_S11_S12_S16_S17_S18_S1B_S1C_jS1D_jS1E_S1E_jjS1G_bEUljE0_EEESZ_S10_S11_S18_S1C_S1E_T6_T7_T9_mT8_S1G_bDpT10_ENKUlT_T0_E_clISt17integral_constantIbLb0EES1U_EEDaS1P_S1Q_EUlS1P_E_NS1_11comp_targetILNS1_3genE5ELNS1_11target_archE942ELNS1_3gpuE9ELNS1_3repE0EEENS1_30default_config_static_selectorELNS0_4arch9wavefront6targetE0EEEvS12_,comdat
.Lfunc_end532:
	.size	_ZN7rocprim17ROCPRIM_400000_NS6detail17trampoline_kernelINS0_13select_configILj256ELj13ELNS0_17block_load_methodE3ELS4_3ELS4_3ELNS0_20block_scan_algorithmE0ELj4294967295EEENS1_25partition_config_selectorILNS1_17partition_subalgoE4EjNS0_10empty_typeEbEEZZNS1_14partition_implILS8_4ELb0ES6_15HIP_vector_typeIjLj2EENS0_17counting_iteratorIjlEEPS9_SG_NS0_5tupleIJPjSI_NS0_16reverse_iteratorISI_EEEEENSH_IJSG_SG_SG_EEES9_SI_JZNS1_25segmented_radix_sort_implINS0_14default_configELb0EPKiPiPKlPlN2at6native12_GLOBAL__N_18offset_tEEE10hipError_tPvRmT1_PNSt15iterator_traitsIS12_E10value_typeET2_T3_PNS13_IS18_E10value_typeET4_jRbjT5_S1E_jjP12ihipStream_tbEUljE_ZNSN_ISO_Lb0ESQ_SR_ST_SU_SY_EESZ_S10_S11_S12_S16_S17_S18_S1B_S1C_jS1D_jS1E_S1E_jjS1G_bEUljE0_EEESZ_S10_S11_S18_S1C_S1E_T6_T7_T9_mT8_S1G_bDpT10_ENKUlT_T0_E_clISt17integral_constantIbLb0EES1U_EEDaS1P_S1Q_EUlS1P_E_NS1_11comp_targetILNS1_3genE5ELNS1_11target_archE942ELNS1_3gpuE9ELNS1_3repE0EEENS1_30default_config_static_selectorELNS0_4arch9wavefront6targetE0EEEvS12_, .Lfunc_end532-_ZN7rocprim17ROCPRIM_400000_NS6detail17trampoline_kernelINS0_13select_configILj256ELj13ELNS0_17block_load_methodE3ELS4_3ELS4_3ELNS0_20block_scan_algorithmE0ELj4294967295EEENS1_25partition_config_selectorILNS1_17partition_subalgoE4EjNS0_10empty_typeEbEEZZNS1_14partition_implILS8_4ELb0ES6_15HIP_vector_typeIjLj2EENS0_17counting_iteratorIjlEEPS9_SG_NS0_5tupleIJPjSI_NS0_16reverse_iteratorISI_EEEEENSH_IJSG_SG_SG_EEES9_SI_JZNS1_25segmented_radix_sort_implINS0_14default_configELb0EPKiPiPKlPlN2at6native12_GLOBAL__N_18offset_tEEE10hipError_tPvRmT1_PNSt15iterator_traitsIS12_E10value_typeET2_T3_PNS13_IS18_E10value_typeET4_jRbjT5_S1E_jjP12ihipStream_tbEUljE_ZNSN_ISO_Lb0ESQ_SR_ST_SU_SY_EESZ_S10_S11_S12_S16_S17_S18_S1B_S1C_jS1D_jS1E_S1E_jjS1G_bEUljE0_EEESZ_S10_S11_S18_S1C_S1E_T6_T7_T9_mT8_S1G_bDpT10_ENKUlT_T0_E_clISt17integral_constantIbLb0EES1U_EEDaS1P_S1Q_EUlS1P_E_NS1_11comp_targetILNS1_3genE5ELNS1_11target_archE942ELNS1_3gpuE9ELNS1_3repE0EEENS1_30default_config_static_selectorELNS0_4arch9wavefront6targetE0EEEvS12_
                                        ; -- End function
	.set _ZN7rocprim17ROCPRIM_400000_NS6detail17trampoline_kernelINS0_13select_configILj256ELj13ELNS0_17block_load_methodE3ELS4_3ELS4_3ELNS0_20block_scan_algorithmE0ELj4294967295EEENS1_25partition_config_selectorILNS1_17partition_subalgoE4EjNS0_10empty_typeEbEEZZNS1_14partition_implILS8_4ELb0ES6_15HIP_vector_typeIjLj2EENS0_17counting_iteratorIjlEEPS9_SG_NS0_5tupleIJPjSI_NS0_16reverse_iteratorISI_EEEEENSH_IJSG_SG_SG_EEES9_SI_JZNS1_25segmented_radix_sort_implINS0_14default_configELb0EPKiPiPKlPlN2at6native12_GLOBAL__N_18offset_tEEE10hipError_tPvRmT1_PNSt15iterator_traitsIS12_E10value_typeET2_T3_PNS13_IS18_E10value_typeET4_jRbjT5_S1E_jjP12ihipStream_tbEUljE_ZNSN_ISO_Lb0ESQ_SR_ST_SU_SY_EESZ_S10_S11_S12_S16_S17_S18_S1B_S1C_jS1D_jS1E_S1E_jjS1G_bEUljE0_EEESZ_S10_S11_S18_S1C_S1E_T6_T7_T9_mT8_S1G_bDpT10_ENKUlT_T0_E_clISt17integral_constantIbLb0EES1U_EEDaS1P_S1Q_EUlS1P_E_NS1_11comp_targetILNS1_3genE5ELNS1_11target_archE942ELNS1_3gpuE9ELNS1_3repE0EEENS1_30default_config_static_selectorELNS0_4arch9wavefront6targetE0EEEvS12_.num_vgpr, 0
	.set _ZN7rocprim17ROCPRIM_400000_NS6detail17trampoline_kernelINS0_13select_configILj256ELj13ELNS0_17block_load_methodE3ELS4_3ELS4_3ELNS0_20block_scan_algorithmE0ELj4294967295EEENS1_25partition_config_selectorILNS1_17partition_subalgoE4EjNS0_10empty_typeEbEEZZNS1_14partition_implILS8_4ELb0ES6_15HIP_vector_typeIjLj2EENS0_17counting_iteratorIjlEEPS9_SG_NS0_5tupleIJPjSI_NS0_16reverse_iteratorISI_EEEEENSH_IJSG_SG_SG_EEES9_SI_JZNS1_25segmented_radix_sort_implINS0_14default_configELb0EPKiPiPKlPlN2at6native12_GLOBAL__N_18offset_tEEE10hipError_tPvRmT1_PNSt15iterator_traitsIS12_E10value_typeET2_T3_PNS13_IS18_E10value_typeET4_jRbjT5_S1E_jjP12ihipStream_tbEUljE_ZNSN_ISO_Lb0ESQ_SR_ST_SU_SY_EESZ_S10_S11_S12_S16_S17_S18_S1B_S1C_jS1D_jS1E_S1E_jjS1G_bEUljE0_EEESZ_S10_S11_S18_S1C_S1E_T6_T7_T9_mT8_S1G_bDpT10_ENKUlT_T0_E_clISt17integral_constantIbLb0EES1U_EEDaS1P_S1Q_EUlS1P_E_NS1_11comp_targetILNS1_3genE5ELNS1_11target_archE942ELNS1_3gpuE9ELNS1_3repE0EEENS1_30default_config_static_selectorELNS0_4arch9wavefront6targetE0EEEvS12_.num_agpr, 0
	.set _ZN7rocprim17ROCPRIM_400000_NS6detail17trampoline_kernelINS0_13select_configILj256ELj13ELNS0_17block_load_methodE3ELS4_3ELS4_3ELNS0_20block_scan_algorithmE0ELj4294967295EEENS1_25partition_config_selectorILNS1_17partition_subalgoE4EjNS0_10empty_typeEbEEZZNS1_14partition_implILS8_4ELb0ES6_15HIP_vector_typeIjLj2EENS0_17counting_iteratorIjlEEPS9_SG_NS0_5tupleIJPjSI_NS0_16reverse_iteratorISI_EEEEENSH_IJSG_SG_SG_EEES9_SI_JZNS1_25segmented_radix_sort_implINS0_14default_configELb0EPKiPiPKlPlN2at6native12_GLOBAL__N_18offset_tEEE10hipError_tPvRmT1_PNSt15iterator_traitsIS12_E10value_typeET2_T3_PNS13_IS18_E10value_typeET4_jRbjT5_S1E_jjP12ihipStream_tbEUljE_ZNSN_ISO_Lb0ESQ_SR_ST_SU_SY_EESZ_S10_S11_S12_S16_S17_S18_S1B_S1C_jS1D_jS1E_S1E_jjS1G_bEUljE0_EEESZ_S10_S11_S18_S1C_S1E_T6_T7_T9_mT8_S1G_bDpT10_ENKUlT_T0_E_clISt17integral_constantIbLb0EES1U_EEDaS1P_S1Q_EUlS1P_E_NS1_11comp_targetILNS1_3genE5ELNS1_11target_archE942ELNS1_3gpuE9ELNS1_3repE0EEENS1_30default_config_static_selectorELNS0_4arch9wavefront6targetE0EEEvS12_.numbered_sgpr, 0
	.set _ZN7rocprim17ROCPRIM_400000_NS6detail17trampoline_kernelINS0_13select_configILj256ELj13ELNS0_17block_load_methodE3ELS4_3ELS4_3ELNS0_20block_scan_algorithmE0ELj4294967295EEENS1_25partition_config_selectorILNS1_17partition_subalgoE4EjNS0_10empty_typeEbEEZZNS1_14partition_implILS8_4ELb0ES6_15HIP_vector_typeIjLj2EENS0_17counting_iteratorIjlEEPS9_SG_NS0_5tupleIJPjSI_NS0_16reverse_iteratorISI_EEEEENSH_IJSG_SG_SG_EEES9_SI_JZNS1_25segmented_radix_sort_implINS0_14default_configELb0EPKiPiPKlPlN2at6native12_GLOBAL__N_18offset_tEEE10hipError_tPvRmT1_PNSt15iterator_traitsIS12_E10value_typeET2_T3_PNS13_IS18_E10value_typeET4_jRbjT5_S1E_jjP12ihipStream_tbEUljE_ZNSN_ISO_Lb0ESQ_SR_ST_SU_SY_EESZ_S10_S11_S12_S16_S17_S18_S1B_S1C_jS1D_jS1E_S1E_jjS1G_bEUljE0_EEESZ_S10_S11_S18_S1C_S1E_T6_T7_T9_mT8_S1G_bDpT10_ENKUlT_T0_E_clISt17integral_constantIbLb0EES1U_EEDaS1P_S1Q_EUlS1P_E_NS1_11comp_targetILNS1_3genE5ELNS1_11target_archE942ELNS1_3gpuE9ELNS1_3repE0EEENS1_30default_config_static_selectorELNS0_4arch9wavefront6targetE0EEEvS12_.num_named_barrier, 0
	.set _ZN7rocprim17ROCPRIM_400000_NS6detail17trampoline_kernelINS0_13select_configILj256ELj13ELNS0_17block_load_methodE3ELS4_3ELS4_3ELNS0_20block_scan_algorithmE0ELj4294967295EEENS1_25partition_config_selectorILNS1_17partition_subalgoE4EjNS0_10empty_typeEbEEZZNS1_14partition_implILS8_4ELb0ES6_15HIP_vector_typeIjLj2EENS0_17counting_iteratorIjlEEPS9_SG_NS0_5tupleIJPjSI_NS0_16reverse_iteratorISI_EEEEENSH_IJSG_SG_SG_EEES9_SI_JZNS1_25segmented_radix_sort_implINS0_14default_configELb0EPKiPiPKlPlN2at6native12_GLOBAL__N_18offset_tEEE10hipError_tPvRmT1_PNSt15iterator_traitsIS12_E10value_typeET2_T3_PNS13_IS18_E10value_typeET4_jRbjT5_S1E_jjP12ihipStream_tbEUljE_ZNSN_ISO_Lb0ESQ_SR_ST_SU_SY_EESZ_S10_S11_S12_S16_S17_S18_S1B_S1C_jS1D_jS1E_S1E_jjS1G_bEUljE0_EEESZ_S10_S11_S18_S1C_S1E_T6_T7_T9_mT8_S1G_bDpT10_ENKUlT_T0_E_clISt17integral_constantIbLb0EES1U_EEDaS1P_S1Q_EUlS1P_E_NS1_11comp_targetILNS1_3genE5ELNS1_11target_archE942ELNS1_3gpuE9ELNS1_3repE0EEENS1_30default_config_static_selectorELNS0_4arch9wavefront6targetE0EEEvS12_.private_seg_size, 0
	.set _ZN7rocprim17ROCPRIM_400000_NS6detail17trampoline_kernelINS0_13select_configILj256ELj13ELNS0_17block_load_methodE3ELS4_3ELS4_3ELNS0_20block_scan_algorithmE0ELj4294967295EEENS1_25partition_config_selectorILNS1_17partition_subalgoE4EjNS0_10empty_typeEbEEZZNS1_14partition_implILS8_4ELb0ES6_15HIP_vector_typeIjLj2EENS0_17counting_iteratorIjlEEPS9_SG_NS0_5tupleIJPjSI_NS0_16reverse_iteratorISI_EEEEENSH_IJSG_SG_SG_EEES9_SI_JZNS1_25segmented_radix_sort_implINS0_14default_configELb0EPKiPiPKlPlN2at6native12_GLOBAL__N_18offset_tEEE10hipError_tPvRmT1_PNSt15iterator_traitsIS12_E10value_typeET2_T3_PNS13_IS18_E10value_typeET4_jRbjT5_S1E_jjP12ihipStream_tbEUljE_ZNSN_ISO_Lb0ESQ_SR_ST_SU_SY_EESZ_S10_S11_S12_S16_S17_S18_S1B_S1C_jS1D_jS1E_S1E_jjS1G_bEUljE0_EEESZ_S10_S11_S18_S1C_S1E_T6_T7_T9_mT8_S1G_bDpT10_ENKUlT_T0_E_clISt17integral_constantIbLb0EES1U_EEDaS1P_S1Q_EUlS1P_E_NS1_11comp_targetILNS1_3genE5ELNS1_11target_archE942ELNS1_3gpuE9ELNS1_3repE0EEENS1_30default_config_static_selectorELNS0_4arch9wavefront6targetE0EEEvS12_.uses_vcc, 0
	.set _ZN7rocprim17ROCPRIM_400000_NS6detail17trampoline_kernelINS0_13select_configILj256ELj13ELNS0_17block_load_methodE3ELS4_3ELS4_3ELNS0_20block_scan_algorithmE0ELj4294967295EEENS1_25partition_config_selectorILNS1_17partition_subalgoE4EjNS0_10empty_typeEbEEZZNS1_14partition_implILS8_4ELb0ES6_15HIP_vector_typeIjLj2EENS0_17counting_iteratorIjlEEPS9_SG_NS0_5tupleIJPjSI_NS0_16reverse_iteratorISI_EEEEENSH_IJSG_SG_SG_EEES9_SI_JZNS1_25segmented_radix_sort_implINS0_14default_configELb0EPKiPiPKlPlN2at6native12_GLOBAL__N_18offset_tEEE10hipError_tPvRmT1_PNSt15iterator_traitsIS12_E10value_typeET2_T3_PNS13_IS18_E10value_typeET4_jRbjT5_S1E_jjP12ihipStream_tbEUljE_ZNSN_ISO_Lb0ESQ_SR_ST_SU_SY_EESZ_S10_S11_S12_S16_S17_S18_S1B_S1C_jS1D_jS1E_S1E_jjS1G_bEUljE0_EEESZ_S10_S11_S18_S1C_S1E_T6_T7_T9_mT8_S1G_bDpT10_ENKUlT_T0_E_clISt17integral_constantIbLb0EES1U_EEDaS1P_S1Q_EUlS1P_E_NS1_11comp_targetILNS1_3genE5ELNS1_11target_archE942ELNS1_3gpuE9ELNS1_3repE0EEENS1_30default_config_static_selectorELNS0_4arch9wavefront6targetE0EEEvS12_.uses_flat_scratch, 0
	.set _ZN7rocprim17ROCPRIM_400000_NS6detail17trampoline_kernelINS0_13select_configILj256ELj13ELNS0_17block_load_methodE3ELS4_3ELS4_3ELNS0_20block_scan_algorithmE0ELj4294967295EEENS1_25partition_config_selectorILNS1_17partition_subalgoE4EjNS0_10empty_typeEbEEZZNS1_14partition_implILS8_4ELb0ES6_15HIP_vector_typeIjLj2EENS0_17counting_iteratorIjlEEPS9_SG_NS0_5tupleIJPjSI_NS0_16reverse_iteratorISI_EEEEENSH_IJSG_SG_SG_EEES9_SI_JZNS1_25segmented_radix_sort_implINS0_14default_configELb0EPKiPiPKlPlN2at6native12_GLOBAL__N_18offset_tEEE10hipError_tPvRmT1_PNSt15iterator_traitsIS12_E10value_typeET2_T3_PNS13_IS18_E10value_typeET4_jRbjT5_S1E_jjP12ihipStream_tbEUljE_ZNSN_ISO_Lb0ESQ_SR_ST_SU_SY_EESZ_S10_S11_S12_S16_S17_S18_S1B_S1C_jS1D_jS1E_S1E_jjS1G_bEUljE0_EEESZ_S10_S11_S18_S1C_S1E_T6_T7_T9_mT8_S1G_bDpT10_ENKUlT_T0_E_clISt17integral_constantIbLb0EES1U_EEDaS1P_S1Q_EUlS1P_E_NS1_11comp_targetILNS1_3genE5ELNS1_11target_archE942ELNS1_3gpuE9ELNS1_3repE0EEENS1_30default_config_static_selectorELNS0_4arch9wavefront6targetE0EEEvS12_.has_dyn_sized_stack, 0
	.set _ZN7rocprim17ROCPRIM_400000_NS6detail17trampoline_kernelINS0_13select_configILj256ELj13ELNS0_17block_load_methodE3ELS4_3ELS4_3ELNS0_20block_scan_algorithmE0ELj4294967295EEENS1_25partition_config_selectorILNS1_17partition_subalgoE4EjNS0_10empty_typeEbEEZZNS1_14partition_implILS8_4ELb0ES6_15HIP_vector_typeIjLj2EENS0_17counting_iteratorIjlEEPS9_SG_NS0_5tupleIJPjSI_NS0_16reverse_iteratorISI_EEEEENSH_IJSG_SG_SG_EEES9_SI_JZNS1_25segmented_radix_sort_implINS0_14default_configELb0EPKiPiPKlPlN2at6native12_GLOBAL__N_18offset_tEEE10hipError_tPvRmT1_PNSt15iterator_traitsIS12_E10value_typeET2_T3_PNS13_IS18_E10value_typeET4_jRbjT5_S1E_jjP12ihipStream_tbEUljE_ZNSN_ISO_Lb0ESQ_SR_ST_SU_SY_EESZ_S10_S11_S12_S16_S17_S18_S1B_S1C_jS1D_jS1E_S1E_jjS1G_bEUljE0_EEESZ_S10_S11_S18_S1C_S1E_T6_T7_T9_mT8_S1G_bDpT10_ENKUlT_T0_E_clISt17integral_constantIbLb0EES1U_EEDaS1P_S1Q_EUlS1P_E_NS1_11comp_targetILNS1_3genE5ELNS1_11target_archE942ELNS1_3gpuE9ELNS1_3repE0EEENS1_30default_config_static_selectorELNS0_4arch9wavefront6targetE0EEEvS12_.has_recursion, 0
	.set _ZN7rocprim17ROCPRIM_400000_NS6detail17trampoline_kernelINS0_13select_configILj256ELj13ELNS0_17block_load_methodE3ELS4_3ELS4_3ELNS0_20block_scan_algorithmE0ELj4294967295EEENS1_25partition_config_selectorILNS1_17partition_subalgoE4EjNS0_10empty_typeEbEEZZNS1_14partition_implILS8_4ELb0ES6_15HIP_vector_typeIjLj2EENS0_17counting_iteratorIjlEEPS9_SG_NS0_5tupleIJPjSI_NS0_16reverse_iteratorISI_EEEEENSH_IJSG_SG_SG_EEES9_SI_JZNS1_25segmented_radix_sort_implINS0_14default_configELb0EPKiPiPKlPlN2at6native12_GLOBAL__N_18offset_tEEE10hipError_tPvRmT1_PNSt15iterator_traitsIS12_E10value_typeET2_T3_PNS13_IS18_E10value_typeET4_jRbjT5_S1E_jjP12ihipStream_tbEUljE_ZNSN_ISO_Lb0ESQ_SR_ST_SU_SY_EESZ_S10_S11_S12_S16_S17_S18_S1B_S1C_jS1D_jS1E_S1E_jjS1G_bEUljE0_EEESZ_S10_S11_S18_S1C_S1E_T6_T7_T9_mT8_S1G_bDpT10_ENKUlT_T0_E_clISt17integral_constantIbLb0EES1U_EEDaS1P_S1Q_EUlS1P_E_NS1_11comp_targetILNS1_3genE5ELNS1_11target_archE942ELNS1_3gpuE9ELNS1_3repE0EEENS1_30default_config_static_selectorELNS0_4arch9wavefront6targetE0EEEvS12_.has_indirect_call, 0
	.section	.AMDGPU.csdata,"",@progbits
; Kernel info:
; codeLenInByte = 0
; TotalNumSgprs: 0
; NumVgprs: 0
; ScratchSize: 0
; MemoryBound: 0
; FloatMode: 240
; IeeeMode: 1
; LDSByteSize: 0 bytes/workgroup (compile time only)
; SGPRBlocks: 0
; VGPRBlocks: 0
; NumSGPRsForWavesPerEU: 1
; NumVGPRsForWavesPerEU: 1
; Occupancy: 16
; WaveLimiterHint : 0
; COMPUTE_PGM_RSRC2:SCRATCH_EN: 0
; COMPUTE_PGM_RSRC2:USER_SGPR: 6
; COMPUTE_PGM_RSRC2:TRAP_HANDLER: 0
; COMPUTE_PGM_RSRC2:TGID_X_EN: 1
; COMPUTE_PGM_RSRC2:TGID_Y_EN: 0
; COMPUTE_PGM_RSRC2:TGID_Z_EN: 0
; COMPUTE_PGM_RSRC2:TIDIG_COMP_CNT: 0
	.section	.text._ZN7rocprim17ROCPRIM_400000_NS6detail17trampoline_kernelINS0_13select_configILj256ELj13ELNS0_17block_load_methodE3ELS4_3ELS4_3ELNS0_20block_scan_algorithmE0ELj4294967295EEENS1_25partition_config_selectorILNS1_17partition_subalgoE4EjNS0_10empty_typeEbEEZZNS1_14partition_implILS8_4ELb0ES6_15HIP_vector_typeIjLj2EENS0_17counting_iteratorIjlEEPS9_SG_NS0_5tupleIJPjSI_NS0_16reverse_iteratorISI_EEEEENSH_IJSG_SG_SG_EEES9_SI_JZNS1_25segmented_radix_sort_implINS0_14default_configELb0EPKiPiPKlPlN2at6native12_GLOBAL__N_18offset_tEEE10hipError_tPvRmT1_PNSt15iterator_traitsIS12_E10value_typeET2_T3_PNS13_IS18_E10value_typeET4_jRbjT5_S1E_jjP12ihipStream_tbEUljE_ZNSN_ISO_Lb0ESQ_SR_ST_SU_SY_EESZ_S10_S11_S12_S16_S17_S18_S1B_S1C_jS1D_jS1E_S1E_jjS1G_bEUljE0_EEESZ_S10_S11_S18_S1C_S1E_T6_T7_T9_mT8_S1G_bDpT10_ENKUlT_T0_E_clISt17integral_constantIbLb0EES1U_EEDaS1P_S1Q_EUlS1P_E_NS1_11comp_targetILNS1_3genE4ELNS1_11target_archE910ELNS1_3gpuE8ELNS1_3repE0EEENS1_30default_config_static_selectorELNS0_4arch9wavefront6targetE0EEEvS12_,"axG",@progbits,_ZN7rocprim17ROCPRIM_400000_NS6detail17trampoline_kernelINS0_13select_configILj256ELj13ELNS0_17block_load_methodE3ELS4_3ELS4_3ELNS0_20block_scan_algorithmE0ELj4294967295EEENS1_25partition_config_selectorILNS1_17partition_subalgoE4EjNS0_10empty_typeEbEEZZNS1_14partition_implILS8_4ELb0ES6_15HIP_vector_typeIjLj2EENS0_17counting_iteratorIjlEEPS9_SG_NS0_5tupleIJPjSI_NS0_16reverse_iteratorISI_EEEEENSH_IJSG_SG_SG_EEES9_SI_JZNS1_25segmented_radix_sort_implINS0_14default_configELb0EPKiPiPKlPlN2at6native12_GLOBAL__N_18offset_tEEE10hipError_tPvRmT1_PNSt15iterator_traitsIS12_E10value_typeET2_T3_PNS13_IS18_E10value_typeET4_jRbjT5_S1E_jjP12ihipStream_tbEUljE_ZNSN_ISO_Lb0ESQ_SR_ST_SU_SY_EESZ_S10_S11_S12_S16_S17_S18_S1B_S1C_jS1D_jS1E_S1E_jjS1G_bEUljE0_EEESZ_S10_S11_S18_S1C_S1E_T6_T7_T9_mT8_S1G_bDpT10_ENKUlT_T0_E_clISt17integral_constantIbLb0EES1U_EEDaS1P_S1Q_EUlS1P_E_NS1_11comp_targetILNS1_3genE4ELNS1_11target_archE910ELNS1_3gpuE8ELNS1_3repE0EEENS1_30default_config_static_selectorELNS0_4arch9wavefront6targetE0EEEvS12_,comdat
	.globl	_ZN7rocprim17ROCPRIM_400000_NS6detail17trampoline_kernelINS0_13select_configILj256ELj13ELNS0_17block_load_methodE3ELS4_3ELS4_3ELNS0_20block_scan_algorithmE0ELj4294967295EEENS1_25partition_config_selectorILNS1_17partition_subalgoE4EjNS0_10empty_typeEbEEZZNS1_14partition_implILS8_4ELb0ES6_15HIP_vector_typeIjLj2EENS0_17counting_iteratorIjlEEPS9_SG_NS0_5tupleIJPjSI_NS0_16reverse_iteratorISI_EEEEENSH_IJSG_SG_SG_EEES9_SI_JZNS1_25segmented_radix_sort_implINS0_14default_configELb0EPKiPiPKlPlN2at6native12_GLOBAL__N_18offset_tEEE10hipError_tPvRmT1_PNSt15iterator_traitsIS12_E10value_typeET2_T3_PNS13_IS18_E10value_typeET4_jRbjT5_S1E_jjP12ihipStream_tbEUljE_ZNSN_ISO_Lb0ESQ_SR_ST_SU_SY_EESZ_S10_S11_S12_S16_S17_S18_S1B_S1C_jS1D_jS1E_S1E_jjS1G_bEUljE0_EEESZ_S10_S11_S18_S1C_S1E_T6_T7_T9_mT8_S1G_bDpT10_ENKUlT_T0_E_clISt17integral_constantIbLb0EES1U_EEDaS1P_S1Q_EUlS1P_E_NS1_11comp_targetILNS1_3genE4ELNS1_11target_archE910ELNS1_3gpuE8ELNS1_3repE0EEENS1_30default_config_static_selectorELNS0_4arch9wavefront6targetE0EEEvS12_ ; -- Begin function _ZN7rocprim17ROCPRIM_400000_NS6detail17trampoline_kernelINS0_13select_configILj256ELj13ELNS0_17block_load_methodE3ELS4_3ELS4_3ELNS0_20block_scan_algorithmE0ELj4294967295EEENS1_25partition_config_selectorILNS1_17partition_subalgoE4EjNS0_10empty_typeEbEEZZNS1_14partition_implILS8_4ELb0ES6_15HIP_vector_typeIjLj2EENS0_17counting_iteratorIjlEEPS9_SG_NS0_5tupleIJPjSI_NS0_16reverse_iteratorISI_EEEEENSH_IJSG_SG_SG_EEES9_SI_JZNS1_25segmented_radix_sort_implINS0_14default_configELb0EPKiPiPKlPlN2at6native12_GLOBAL__N_18offset_tEEE10hipError_tPvRmT1_PNSt15iterator_traitsIS12_E10value_typeET2_T3_PNS13_IS18_E10value_typeET4_jRbjT5_S1E_jjP12ihipStream_tbEUljE_ZNSN_ISO_Lb0ESQ_SR_ST_SU_SY_EESZ_S10_S11_S12_S16_S17_S18_S1B_S1C_jS1D_jS1E_S1E_jjS1G_bEUljE0_EEESZ_S10_S11_S18_S1C_S1E_T6_T7_T9_mT8_S1G_bDpT10_ENKUlT_T0_E_clISt17integral_constantIbLb0EES1U_EEDaS1P_S1Q_EUlS1P_E_NS1_11comp_targetILNS1_3genE4ELNS1_11target_archE910ELNS1_3gpuE8ELNS1_3repE0EEENS1_30default_config_static_selectorELNS0_4arch9wavefront6targetE0EEEvS12_
	.p2align	8
	.type	_ZN7rocprim17ROCPRIM_400000_NS6detail17trampoline_kernelINS0_13select_configILj256ELj13ELNS0_17block_load_methodE3ELS4_3ELS4_3ELNS0_20block_scan_algorithmE0ELj4294967295EEENS1_25partition_config_selectorILNS1_17partition_subalgoE4EjNS0_10empty_typeEbEEZZNS1_14partition_implILS8_4ELb0ES6_15HIP_vector_typeIjLj2EENS0_17counting_iteratorIjlEEPS9_SG_NS0_5tupleIJPjSI_NS0_16reverse_iteratorISI_EEEEENSH_IJSG_SG_SG_EEES9_SI_JZNS1_25segmented_radix_sort_implINS0_14default_configELb0EPKiPiPKlPlN2at6native12_GLOBAL__N_18offset_tEEE10hipError_tPvRmT1_PNSt15iterator_traitsIS12_E10value_typeET2_T3_PNS13_IS18_E10value_typeET4_jRbjT5_S1E_jjP12ihipStream_tbEUljE_ZNSN_ISO_Lb0ESQ_SR_ST_SU_SY_EESZ_S10_S11_S12_S16_S17_S18_S1B_S1C_jS1D_jS1E_S1E_jjS1G_bEUljE0_EEESZ_S10_S11_S18_S1C_S1E_T6_T7_T9_mT8_S1G_bDpT10_ENKUlT_T0_E_clISt17integral_constantIbLb0EES1U_EEDaS1P_S1Q_EUlS1P_E_NS1_11comp_targetILNS1_3genE4ELNS1_11target_archE910ELNS1_3gpuE8ELNS1_3repE0EEENS1_30default_config_static_selectorELNS0_4arch9wavefront6targetE0EEEvS12_,@function
_ZN7rocprim17ROCPRIM_400000_NS6detail17trampoline_kernelINS0_13select_configILj256ELj13ELNS0_17block_load_methodE3ELS4_3ELS4_3ELNS0_20block_scan_algorithmE0ELj4294967295EEENS1_25partition_config_selectorILNS1_17partition_subalgoE4EjNS0_10empty_typeEbEEZZNS1_14partition_implILS8_4ELb0ES6_15HIP_vector_typeIjLj2EENS0_17counting_iteratorIjlEEPS9_SG_NS0_5tupleIJPjSI_NS0_16reverse_iteratorISI_EEEEENSH_IJSG_SG_SG_EEES9_SI_JZNS1_25segmented_radix_sort_implINS0_14default_configELb0EPKiPiPKlPlN2at6native12_GLOBAL__N_18offset_tEEE10hipError_tPvRmT1_PNSt15iterator_traitsIS12_E10value_typeET2_T3_PNS13_IS18_E10value_typeET4_jRbjT5_S1E_jjP12ihipStream_tbEUljE_ZNSN_ISO_Lb0ESQ_SR_ST_SU_SY_EESZ_S10_S11_S12_S16_S17_S18_S1B_S1C_jS1D_jS1E_S1E_jjS1G_bEUljE0_EEESZ_S10_S11_S18_S1C_S1E_T6_T7_T9_mT8_S1G_bDpT10_ENKUlT_T0_E_clISt17integral_constantIbLb0EES1U_EEDaS1P_S1Q_EUlS1P_E_NS1_11comp_targetILNS1_3genE4ELNS1_11target_archE910ELNS1_3gpuE8ELNS1_3repE0EEENS1_30default_config_static_selectorELNS0_4arch9wavefront6targetE0EEEvS12_: ; @_ZN7rocprim17ROCPRIM_400000_NS6detail17trampoline_kernelINS0_13select_configILj256ELj13ELNS0_17block_load_methodE3ELS4_3ELS4_3ELNS0_20block_scan_algorithmE0ELj4294967295EEENS1_25partition_config_selectorILNS1_17partition_subalgoE4EjNS0_10empty_typeEbEEZZNS1_14partition_implILS8_4ELb0ES6_15HIP_vector_typeIjLj2EENS0_17counting_iteratorIjlEEPS9_SG_NS0_5tupleIJPjSI_NS0_16reverse_iteratorISI_EEEEENSH_IJSG_SG_SG_EEES9_SI_JZNS1_25segmented_radix_sort_implINS0_14default_configELb0EPKiPiPKlPlN2at6native12_GLOBAL__N_18offset_tEEE10hipError_tPvRmT1_PNSt15iterator_traitsIS12_E10value_typeET2_T3_PNS13_IS18_E10value_typeET4_jRbjT5_S1E_jjP12ihipStream_tbEUljE_ZNSN_ISO_Lb0ESQ_SR_ST_SU_SY_EESZ_S10_S11_S12_S16_S17_S18_S1B_S1C_jS1D_jS1E_S1E_jjS1G_bEUljE0_EEESZ_S10_S11_S18_S1C_S1E_T6_T7_T9_mT8_S1G_bDpT10_ENKUlT_T0_E_clISt17integral_constantIbLb0EES1U_EEDaS1P_S1Q_EUlS1P_E_NS1_11comp_targetILNS1_3genE4ELNS1_11target_archE910ELNS1_3gpuE8ELNS1_3repE0EEENS1_30default_config_static_selectorELNS0_4arch9wavefront6targetE0EEEvS12_
; %bb.0:
	.section	.rodata,"a",@progbits
	.p2align	6, 0x0
	.amdhsa_kernel _ZN7rocprim17ROCPRIM_400000_NS6detail17trampoline_kernelINS0_13select_configILj256ELj13ELNS0_17block_load_methodE3ELS4_3ELS4_3ELNS0_20block_scan_algorithmE0ELj4294967295EEENS1_25partition_config_selectorILNS1_17partition_subalgoE4EjNS0_10empty_typeEbEEZZNS1_14partition_implILS8_4ELb0ES6_15HIP_vector_typeIjLj2EENS0_17counting_iteratorIjlEEPS9_SG_NS0_5tupleIJPjSI_NS0_16reverse_iteratorISI_EEEEENSH_IJSG_SG_SG_EEES9_SI_JZNS1_25segmented_radix_sort_implINS0_14default_configELb0EPKiPiPKlPlN2at6native12_GLOBAL__N_18offset_tEEE10hipError_tPvRmT1_PNSt15iterator_traitsIS12_E10value_typeET2_T3_PNS13_IS18_E10value_typeET4_jRbjT5_S1E_jjP12ihipStream_tbEUljE_ZNSN_ISO_Lb0ESQ_SR_ST_SU_SY_EESZ_S10_S11_S12_S16_S17_S18_S1B_S1C_jS1D_jS1E_S1E_jjS1G_bEUljE0_EEESZ_S10_S11_S18_S1C_S1E_T6_T7_T9_mT8_S1G_bDpT10_ENKUlT_T0_E_clISt17integral_constantIbLb0EES1U_EEDaS1P_S1Q_EUlS1P_E_NS1_11comp_targetILNS1_3genE4ELNS1_11target_archE910ELNS1_3gpuE8ELNS1_3repE0EEENS1_30default_config_static_selectorELNS0_4arch9wavefront6targetE0EEEvS12_
		.amdhsa_group_segment_fixed_size 0
		.amdhsa_private_segment_fixed_size 0
		.amdhsa_kernarg_size 176
		.amdhsa_user_sgpr_count 6
		.amdhsa_user_sgpr_private_segment_buffer 1
		.amdhsa_user_sgpr_dispatch_ptr 0
		.amdhsa_user_sgpr_queue_ptr 0
		.amdhsa_user_sgpr_kernarg_segment_ptr 1
		.amdhsa_user_sgpr_dispatch_id 0
		.amdhsa_user_sgpr_flat_scratch_init 0
		.amdhsa_user_sgpr_private_segment_size 0
		.amdhsa_wavefront_size32 1
		.amdhsa_uses_dynamic_stack 0
		.amdhsa_system_sgpr_private_segment_wavefront_offset 0
		.amdhsa_system_sgpr_workgroup_id_x 1
		.amdhsa_system_sgpr_workgroup_id_y 0
		.amdhsa_system_sgpr_workgroup_id_z 0
		.amdhsa_system_sgpr_workgroup_info 0
		.amdhsa_system_vgpr_workitem_id 0
		.amdhsa_next_free_vgpr 1
		.amdhsa_next_free_sgpr 1
		.amdhsa_reserve_vcc 0
		.amdhsa_reserve_flat_scratch 0
		.amdhsa_float_round_mode_32 0
		.amdhsa_float_round_mode_16_64 0
		.amdhsa_float_denorm_mode_32 3
		.amdhsa_float_denorm_mode_16_64 3
		.amdhsa_dx10_clamp 1
		.amdhsa_ieee_mode 1
		.amdhsa_fp16_overflow 0
		.amdhsa_workgroup_processor_mode 1
		.amdhsa_memory_ordered 1
		.amdhsa_forward_progress 1
		.amdhsa_shared_vgpr_count 0
		.amdhsa_exception_fp_ieee_invalid_op 0
		.amdhsa_exception_fp_denorm_src 0
		.amdhsa_exception_fp_ieee_div_zero 0
		.amdhsa_exception_fp_ieee_overflow 0
		.amdhsa_exception_fp_ieee_underflow 0
		.amdhsa_exception_fp_ieee_inexact 0
		.amdhsa_exception_int_div_zero 0
	.end_amdhsa_kernel
	.section	.text._ZN7rocprim17ROCPRIM_400000_NS6detail17trampoline_kernelINS0_13select_configILj256ELj13ELNS0_17block_load_methodE3ELS4_3ELS4_3ELNS0_20block_scan_algorithmE0ELj4294967295EEENS1_25partition_config_selectorILNS1_17partition_subalgoE4EjNS0_10empty_typeEbEEZZNS1_14partition_implILS8_4ELb0ES6_15HIP_vector_typeIjLj2EENS0_17counting_iteratorIjlEEPS9_SG_NS0_5tupleIJPjSI_NS0_16reverse_iteratorISI_EEEEENSH_IJSG_SG_SG_EEES9_SI_JZNS1_25segmented_radix_sort_implINS0_14default_configELb0EPKiPiPKlPlN2at6native12_GLOBAL__N_18offset_tEEE10hipError_tPvRmT1_PNSt15iterator_traitsIS12_E10value_typeET2_T3_PNS13_IS18_E10value_typeET4_jRbjT5_S1E_jjP12ihipStream_tbEUljE_ZNSN_ISO_Lb0ESQ_SR_ST_SU_SY_EESZ_S10_S11_S12_S16_S17_S18_S1B_S1C_jS1D_jS1E_S1E_jjS1G_bEUljE0_EEESZ_S10_S11_S18_S1C_S1E_T6_T7_T9_mT8_S1G_bDpT10_ENKUlT_T0_E_clISt17integral_constantIbLb0EES1U_EEDaS1P_S1Q_EUlS1P_E_NS1_11comp_targetILNS1_3genE4ELNS1_11target_archE910ELNS1_3gpuE8ELNS1_3repE0EEENS1_30default_config_static_selectorELNS0_4arch9wavefront6targetE0EEEvS12_,"axG",@progbits,_ZN7rocprim17ROCPRIM_400000_NS6detail17trampoline_kernelINS0_13select_configILj256ELj13ELNS0_17block_load_methodE3ELS4_3ELS4_3ELNS0_20block_scan_algorithmE0ELj4294967295EEENS1_25partition_config_selectorILNS1_17partition_subalgoE4EjNS0_10empty_typeEbEEZZNS1_14partition_implILS8_4ELb0ES6_15HIP_vector_typeIjLj2EENS0_17counting_iteratorIjlEEPS9_SG_NS0_5tupleIJPjSI_NS0_16reverse_iteratorISI_EEEEENSH_IJSG_SG_SG_EEES9_SI_JZNS1_25segmented_radix_sort_implINS0_14default_configELb0EPKiPiPKlPlN2at6native12_GLOBAL__N_18offset_tEEE10hipError_tPvRmT1_PNSt15iterator_traitsIS12_E10value_typeET2_T3_PNS13_IS18_E10value_typeET4_jRbjT5_S1E_jjP12ihipStream_tbEUljE_ZNSN_ISO_Lb0ESQ_SR_ST_SU_SY_EESZ_S10_S11_S12_S16_S17_S18_S1B_S1C_jS1D_jS1E_S1E_jjS1G_bEUljE0_EEESZ_S10_S11_S18_S1C_S1E_T6_T7_T9_mT8_S1G_bDpT10_ENKUlT_T0_E_clISt17integral_constantIbLb0EES1U_EEDaS1P_S1Q_EUlS1P_E_NS1_11comp_targetILNS1_3genE4ELNS1_11target_archE910ELNS1_3gpuE8ELNS1_3repE0EEENS1_30default_config_static_selectorELNS0_4arch9wavefront6targetE0EEEvS12_,comdat
.Lfunc_end533:
	.size	_ZN7rocprim17ROCPRIM_400000_NS6detail17trampoline_kernelINS0_13select_configILj256ELj13ELNS0_17block_load_methodE3ELS4_3ELS4_3ELNS0_20block_scan_algorithmE0ELj4294967295EEENS1_25partition_config_selectorILNS1_17partition_subalgoE4EjNS0_10empty_typeEbEEZZNS1_14partition_implILS8_4ELb0ES6_15HIP_vector_typeIjLj2EENS0_17counting_iteratorIjlEEPS9_SG_NS0_5tupleIJPjSI_NS0_16reverse_iteratorISI_EEEEENSH_IJSG_SG_SG_EEES9_SI_JZNS1_25segmented_radix_sort_implINS0_14default_configELb0EPKiPiPKlPlN2at6native12_GLOBAL__N_18offset_tEEE10hipError_tPvRmT1_PNSt15iterator_traitsIS12_E10value_typeET2_T3_PNS13_IS18_E10value_typeET4_jRbjT5_S1E_jjP12ihipStream_tbEUljE_ZNSN_ISO_Lb0ESQ_SR_ST_SU_SY_EESZ_S10_S11_S12_S16_S17_S18_S1B_S1C_jS1D_jS1E_S1E_jjS1G_bEUljE0_EEESZ_S10_S11_S18_S1C_S1E_T6_T7_T9_mT8_S1G_bDpT10_ENKUlT_T0_E_clISt17integral_constantIbLb0EES1U_EEDaS1P_S1Q_EUlS1P_E_NS1_11comp_targetILNS1_3genE4ELNS1_11target_archE910ELNS1_3gpuE8ELNS1_3repE0EEENS1_30default_config_static_selectorELNS0_4arch9wavefront6targetE0EEEvS12_, .Lfunc_end533-_ZN7rocprim17ROCPRIM_400000_NS6detail17trampoline_kernelINS0_13select_configILj256ELj13ELNS0_17block_load_methodE3ELS4_3ELS4_3ELNS0_20block_scan_algorithmE0ELj4294967295EEENS1_25partition_config_selectorILNS1_17partition_subalgoE4EjNS0_10empty_typeEbEEZZNS1_14partition_implILS8_4ELb0ES6_15HIP_vector_typeIjLj2EENS0_17counting_iteratorIjlEEPS9_SG_NS0_5tupleIJPjSI_NS0_16reverse_iteratorISI_EEEEENSH_IJSG_SG_SG_EEES9_SI_JZNS1_25segmented_radix_sort_implINS0_14default_configELb0EPKiPiPKlPlN2at6native12_GLOBAL__N_18offset_tEEE10hipError_tPvRmT1_PNSt15iterator_traitsIS12_E10value_typeET2_T3_PNS13_IS18_E10value_typeET4_jRbjT5_S1E_jjP12ihipStream_tbEUljE_ZNSN_ISO_Lb0ESQ_SR_ST_SU_SY_EESZ_S10_S11_S12_S16_S17_S18_S1B_S1C_jS1D_jS1E_S1E_jjS1G_bEUljE0_EEESZ_S10_S11_S18_S1C_S1E_T6_T7_T9_mT8_S1G_bDpT10_ENKUlT_T0_E_clISt17integral_constantIbLb0EES1U_EEDaS1P_S1Q_EUlS1P_E_NS1_11comp_targetILNS1_3genE4ELNS1_11target_archE910ELNS1_3gpuE8ELNS1_3repE0EEENS1_30default_config_static_selectorELNS0_4arch9wavefront6targetE0EEEvS12_
                                        ; -- End function
	.set _ZN7rocprim17ROCPRIM_400000_NS6detail17trampoline_kernelINS0_13select_configILj256ELj13ELNS0_17block_load_methodE3ELS4_3ELS4_3ELNS0_20block_scan_algorithmE0ELj4294967295EEENS1_25partition_config_selectorILNS1_17partition_subalgoE4EjNS0_10empty_typeEbEEZZNS1_14partition_implILS8_4ELb0ES6_15HIP_vector_typeIjLj2EENS0_17counting_iteratorIjlEEPS9_SG_NS0_5tupleIJPjSI_NS0_16reverse_iteratorISI_EEEEENSH_IJSG_SG_SG_EEES9_SI_JZNS1_25segmented_radix_sort_implINS0_14default_configELb0EPKiPiPKlPlN2at6native12_GLOBAL__N_18offset_tEEE10hipError_tPvRmT1_PNSt15iterator_traitsIS12_E10value_typeET2_T3_PNS13_IS18_E10value_typeET4_jRbjT5_S1E_jjP12ihipStream_tbEUljE_ZNSN_ISO_Lb0ESQ_SR_ST_SU_SY_EESZ_S10_S11_S12_S16_S17_S18_S1B_S1C_jS1D_jS1E_S1E_jjS1G_bEUljE0_EEESZ_S10_S11_S18_S1C_S1E_T6_T7_T9_mT8_S1G_bDpT10_ENKUlT_T0_E_clISt17integral_constantIbLb0EES1U_EEDaS1P_S1Q_EUlS1P_E_NS1_11comp_targetILNS1_3genE4ELNS1_11target_archE910ELNS1_3gpuE8ELNS1_3repE0EEENS1_30default_config_static_selectorELNS0_4arch9wavefront6targetE0EEEvS12_.num_vgpr, 0
	.set _ZN7rocprim17ROCPRIM_400000_NS6detail17trampoline_kernelINS0_13select_configILj256ELj13ELNS0_17block_load_methodE3ELS4_3ELS4_3ELNS0_20block_scan_algorithmE0ELj4294967295EEENS1_25partition_config_selectorILNS1_17partition_subalgoE4EjNS0_10empty_typeEbEEZZNS1_14partition_implILS8_4ELb0ES6_15HIP_vector_typeIjLj2EENS0_17counting_iteratorIjlEEPS9_SG_NS0_5tupleIJPjSI_NS0_16reverse_iteratorISI_EEEEENSH_IJSG_SG_SG_EEES9_SI_JZNS1_25segmented_radix_sort_implINS0_14default_configELb0EPKiPiPKlPlN2at6native12_GLOBAL__N_18offset_tEEE10hipError_tPvRmT1_PNSt15iterator_traitsIS12_E10value_typeET2_T3_PNS13_IS18_E10value_typeET4_jRbjT5_S1E_jjP12ihipStream_tbEUljE_ZNSN_ISO_Lb0ESQ_SR_ST_SU_SY_EESZ_S10_S11_S12_S16_S17_S18_S1B_S1C_jS1D_jS1E_S1E_jjS1G_bEUljE0_EEESZ_S10_S11_S18_S1C_S1E_T6_T7_T9_mT8_S1G_bDpT10_ENKUlT_T0_E_clISt17integral_constantIbLb0EES1U_EEDaS1P_S1Q_EUlS1P_E_NS1_11comp_targetILNS1_3genE4ELNS1_11target_archE910ELNS1_3gpuE8ELNS1_3repE0EEENS1_30default_config_static_selectorELNS0_4arch9wavefront6targetE0EEEvS12_.num_agpr, 0
	.set _ZN7rocprim17ROCPRIM_400000_NS6detail17trampoline_kernelINS0_13select_configILj256ELj13ELNS0_17block_load_methodE3ELS4_3ELS4_3ELNS0_20block_scan_algorithmE0ELj4294967295EEENS1_25partition_config_selectorILNS1_17partition_subalgoE4EjNS0_10empty_typeEbEEZZNS1_14partition_implILS8_4ELb0ES6_15HIP_vector_typeIjLj2EENS0_17counting_iteratorIjlEEPS9_SG_NS0_5tupleIJPjSI_NS0_16reverse_iteratorISI_EEEEENSH_IJSG_SG_SG_EEES9_SI_JZNS1_25segmented_radix_sort_implINS0_14default_configELb0EPKiPiPKlPlN2at6native12_GLOBAL__N_18offset_tEEE10hipError_tPvRmT1_PNSt15iterator_traitsIS12_E10value_typeET2_T3_PNS13_IS18_E10value_typeET4_jRbjT5_S1E_jjP12ihipStream_tbEUljE_ZNSN_ISO_Lb0ESQ_SR_ST_SU_SY_EESZ_S10_S11_S12_S16_S17_S18_S1B_S1C_jS1D_jS1E_S1E_jjS1G_bEUljE0_EEESZ_S10_S11_S18_S1C_S1E_T6_T7_T9_mT8_S1G_bDpT10_ENKUlT_T0_E_clISt17integral_constantIbLb0EES1U_EEDaS1P_S1Q_EUlS1P_E_NS1_11comp_targetILNS1_3genE4ELNS1_11target_archE910ELNS1_3gpuE8ELNS1_3repE0EEENS1_30default_config_static_selectorELNS0_4arch9wavefront6targetE0EEEvS12_.numbered_sgpr, 0
	.set _ZN7rocprim17ROCPRIM_400000_NS6detail17trampoline_kernelINS0_13select_configILj256ELj13ELNS0_17block_load_methodE3ELS4_3ELS4_3ELNS0_20block_scan_algorithmE0ELj4294967295EEENS1_25partition_config_selectorILNS1_17partition_subalgoE4EjNS0_10empty_typeEbEEZZNS1_14partition_implILS8_4ELb0ES6_15HIP_vector_typeIjLj2EENS0_17counting_iteratorIjlEEPS9_SG_NS0_5tupleIJPjSI_NS0_16reverse_iteratorISI_EEEEENSH_IJSG_SG_SG_EEES9_SI_JZNS1_25segmented_radix_sort_implINS0_14default_configELb0EPKiPiPKlPlN2at6native12_GLOBAL__N_18offset_tEEE10hipError_tPvRmT1_PNSt15iterator_traitsIS12_E10value_typeET2_T3_PNS13_IS18_E10value_typeET4_jRbjT5_S1E_jjP12ihipStream_tbEUljE_ZNSN_ISO_Lb0ESQ_SR_ST_SU_SY_EESZ_S10_S11_S12_S16_S17_S18_S1B_S1C_jS1D_jS1E_S1E_jjS1G_bEUljE0_EEESZ_S10_S11_S18_S1C_S1E_T6_T7_T9_mT8_S1G_bDpT10_ENKUlT_T0_E_clISt17integral_constantIbLb0EES1U_EEDaS1P_S1Q_EUlS1P_E_NS1_11comp_targetILNS1_3genE4ELNS1_11target_archE910ELNS1_3gpuE8ELNS1_3repE0EEENS1_30default_config_static_selectorELNS0_4arch9wavefront6targetE0EEEvS12_.num_named_barrier, 0
	.set _ZN7rocprim17ROCPRIM_400000_NS6detail17trampoline_kernelINS0_13select_configILj256ELj13ELNS0_17block_load_methodE3ELS4_3ELS4_3ELNS0_20block_scan_algorithmE0ELj4294967295EEENS1_25partition_config_selectorILNS1_17partition_subalgoE4EjNS0_10empty_typeEbEEZZNS1_14partition_implILS8_4ELb0ES6_15HIP_vector_typeIjLj2EENS0_17counting_iteratorIjlEEPS9_SG_NS0_5tupleIJPjSI_NS0_16reverse_iteratorISI_EEEEENSH_IJSG_SG_SG_EEES9_SI_JZNS1_25segmented_radix_sort_implINS0_14default_configELb0EPKiPiPKlPlN2at6native12_GLOBAL__N_18offset_tEEE10hipError_tPvRmT1_PNSt15iterator_traitsIS12_E10value_typeET2_T3_PNS13_IS18_E10value_typeET4_jRbjT5_S1E_jjP12ihipStream_tbEUljE_ZNSN_ISO_Lb0ESQ_SR_ST_SU_SY_EESZ_S10_S11_S12_S16_S17_S18_S1B_S1C_jS1D_jS1E_S1E_jjS1G_bEUljE0_EEESZ_S10_S11_S18_S1C_S1E_T6_T7_T9_mT8_S1G_bDpT10_ENKUlT_T0_E_clISt17integral_constantIbLb0EES1U_EEDaS1P_S1Q_EUlS1P_E_NS1_11comp_targetILNS1_3genE4ELNS1_11target_archE910ELNS1_3gpuE8ELNS1_3repE0EEENS1_30default_config_static_selectorELNS0_4arch9wavefront6targetE0EEEvS12_.private_seg_size, 0
	.set _ZN7rocprim17ROCPRIM_400000_NS6detail17trampoline_kernelINS0_13select_configILj256ELj13ELNS0_17block_load_methodE3ELS4_3ELS4_3ELNS0_20block_scan_algorithmE0ELj4294967295EEENS1_25partition_config_selectorILNS1_17partition_subalgoE4EjNS0_10empty_typeEbEEZZNS1_14partition_implILS8_4ELb0ES6_15HIP_vector_typeIjLj2EENS0_17counting_iteratorIjlEEPS9_SG_NS0_5tupleIJPjSI_NS0_16reverse_iteratorISI_EEEEENSH_IJSG_SG_SG_EEES9_SI_JZNS1_25segmented_radix_sort_implINS0_14default_configELb0EPKiPiPKlPlN2at6native12_GLOBAL__N_18offset_tEEE10hipError_tPvRmT1_PNSt15iterator_traitsIS12_E10value_typeET2_T3_PNS13_IS18_E10value_typeET4_jRbjT5_S1E_jjP12ihipStream_tbEUljE_ZNSN_ISO_Lb0ESQ_SR_ST_SU_SY_EESZ_S10_S11_S12_S16_S17_S18_S1B_S1C_jS1D_jS1E_S1E_jjS1G_bEUljE0_EEESZ_S10_S11_S18_S1C_S1E_T6_T7_T9_mT8_S1G_bDpT10_ENKUlT_T0_E_clISt17integral_constantIbLb0EES1U_EEDaS1P_S1Q_EUlS1P_E_NS1_11comp_targetILNS1_3genE4ELNS1_11target_archE910ELNS1_3gpuE8ELNS1_3repE0EEENS1_30default_config_static_selectorELNS0_4arch9wavefront6targetE0EEEvS12_.uses_vcc, 0
	.set _ZN7rocprim17ROCPRIM_400000_NS6detail17trampoline_kernelINS0_13select_configILj256ELj13ELNS0_17block_load_methodE3ELS4_3ELS4_3ELNS0_20block_scan_algorithmE0ELj4294967295EEENS1_25partition_config_selectorILNS1_17partition_subalgoE4EjNS0_10empty_typeEbEEZZNS1_14partition_implILS8_4ELb0ES6_15HIP_vector_typeIjLj2EENS0_17counting_iteratorIjlEEPS9_SG_NS0_5tupleIJPjSI_NS0_16reverse_iteratorISI_EEEEENSH_IJSG_SG_SG_EEES9_SI_JZNS1_25segmented_radix_sort_implINS0_14default_configELb0EPKiPiPKlPlN2at6native12_GLOBAL__N_18offset_tEEE10hipError_tPvRmT1_PNSt15iterator_traitsIS12_E10value_typeET2_T3_PNS13_IS18_E10value_typeET4_jRbjT5_S1E_jjP12ihipStream_tbEUljE_ZNSN_ISO_Lb0ESQ_SR_ST_SU_SY_EESZ_S10_S11_S12_S16_S17_S18_S1B_S1C_jS1D_jS1E_S1E_jjS1G_bEUljE0_EEESZ_S10_S11_S18_S1C_S1E_T6_T7_T9_mT8_S1G_bDpT10_ENKUlT_T0_E_clISt17integral_constantIbLb0EES1U_EEDaS1P_S1Q_EUlS1P_E_NS1_11comp_targetILNS1_3genE4ELNS1_11target_archE910ELNS1_3gpuE8ELNS1_3repE0EEENS1_30default_config_static_selectorELNS0_4arch9wavefront6targetE0EEEvS12_.uses_flat_scratch, 0
	.set _ZN7rocprim17ROCPRIM_400000_NS6detail17trampoline_kernelINS0_13select_configILj256ELj13ELNS0_17block_load_methodE3ELS4_3ELS4_3ELNS0_20block_scan_algorithmE0ELj4294967295EEENS1_25partition_config_selectorILNS1_17partition_subalgoE4EjNS0_10empty_typeEbEEZZNS1_14partition_implILS8_4ELb0ES6_15HIP_vector_typeIjLj2EENS0_17counting_iteratorIjlEEPS9_SG_NS0_5tupleIJPjSI_NS0_16reverse_iteratorISI_EEEEENSH_IJSG_SG_SG_EEES9_SI_JZNS1_25segmented_radix_sort_implINS0_14default_configELb0EPKiPiPKlPlN2at6native12_GLOBAL__N_18offset_tEEE10hipError_tPvRmT1_PNSt15iterator_traitsIS12_E10value_typeET2_T3_PNS13_IS18_E10value_typeET4_jRbjT5_S1E_jjP12ihipStream_tbEUljE_ZNSN_ISO_Lb0ESQ_SR_ST_SU_SY_EESZ_S10_S11_S12_S16_S17_S18_S1B_S1C_jS1D_jS1E_S1E_jjS1G_bEUljE0_EEESZ_S10_S11_S18_S1C_S1E_T6_T7_T9_mT8_S1G_bDpT10_ENKUlT_T0_E_clISt17integral_constantIbLb0EES1U_EEDaS1P_S1Q_EUlS1P_E_NS1_11comp_targetILNS1_3genE4ELNS1_11target_archE910ELNS1_3gpuE8ELNS1_3repE0EEENS1_30default_config_static_selectorELNS0_4arch9wavefront6targetE0EEEvS12_.has_dyn_sized_stack, 0
	.set _ZN7rocprim17ROCPRIM_400000_NS6detail17trampoline_kernelINS0_13select_configILj256ELj13ELNS0_17block_load_methodE3ELS4_3ELS4_3ELNS0_20block_scan_algorithmE0ELj4294967295EEENS1_25partition_config_selectorILNS1_17partition_subalgoE4EjNS0_10empty_typeEbEEZZNS1_14partition_implILS8_4ELb0ES6_15HIP_vector_typeIjLj2EENS0_17counting_iteratorIjlEEPS9_SG_NS0_5tupleIJPjSI_NS0_16reverse_iteratorISI_EEEEENSH_IJSG_SG_SG_EEES9_SI_JZNS1_25segmented_radix_sort_implINS0_14default_configELb0EPKiPiPKlPlN2at6native12_GLOBAL__N_18offset_tEEE10hipError_tPvRmT1_PNSt15iterator_traitsIS12_E10value_typeET2_T3_PNS13_IS18_E10value_typeET4_jRbjT5_S1E_jjP12ihipStream_tbEUljE_ZNSN_ISO_Lb0ESQ_SR_ST_SU_SY_EESZ_S10_S11_S12_S16_S17_S18_S1B_S1C_jS1D_jS1E_S1E_jjS1G_bEUljE0_EEESZ_S10_S11_S18_S1C_S1E_T6_T7_T9_mT8_S1G_bDpT10_ENKUlT_T0_E_clISt17integral_constantIbLb0EES1U_EEDaS1P_S1Q_EUlS1P_E_NS1_11comp_targetILNS1_3genE4ELNS1_11target_archE910ELNS1_3gpuE8ELNS1_3repE0EEENS1_30default_config_static_selectorELNS0_4arch9wavefront6targetE0EEEvS12_.has_recursion, 0
	.set _ZN7rocprim17ROCPRIM_400000_NS6detail17trampoline_kernelINS0_13select_configILj256ELj13ELNS0_17block_load_methodE3ELS4_3ELS4_3ELNS0_20block_scan_algorithmE0ELj4294967295EEENS1_25partition_config_selectorILNS1_17partition_subalgoE4EjNS0_10empty_typeEbEEZZNS1_14partition_implILS8_4ELb0ES6_15HIP_vector_typeIjLj2EENS0_17counting_iteratorIjlEEPS9_SG_NS0_5tupleIJPjSI_NS0_16reverse_iteratorISI_EEEEENSH_IJSG_SG_SG_EEES9_SI_JZNS1_25segmented_radix_sort_implINS0_14default_configELb0EPKiPiPKlPlN2at6native12_GLOBAL__N_18offset_tEEE10hipError_tPvRmT1_PNSt15iterator_traitsIS12_E10value_typeET2_T3_PNS13_IS18_E10value_typeET4_jRbjT5_S1E_jjP12ihipStream_tbEUljE_ZNSN_ISO_Lb0ESQ_SR_ST_SU_SY_EESZ_S10_S11_S12_S16_S17_S18_S1B_S1C_jS1D_jS1E_S1E_jjS1G_bEUljE0_EEESZ_S10_S11_S18_S1C_S1E_T6_T7_T9_mT8_S1G_bDpT10_ENKUlT_T0_E_clISt17integral_constantIbLb0EES1U_EEDaS1P_S1Q_EUlS1P_E_NS1_11comp_targetILNS1_3genE4ELNS1_11target_archE910ELNS1_3gpuE8ELNS1_3repE0EEENS1_30default_config_static_selectorELNS0_4arch9wavefront6targetE0EEEvS12_.has_indirect_call, 0
	.section	.AMDGPU.csdata,"",@progbits
; Kernel info:
; codeLenInByte = 0
; TotalNumSgprs: 0
; NumVgprs: 0
; ScratchSize: 0
; MemoryBound: 0
; FloatMode: 240
; IeeeMode: 1
; LDSByteSize: 0 bytes/workgroup (compile time only)
; SGPRBlocks: 0
; VGPRBlocks: 0
; NumSGPRsForWavesPerEU: 1
; NumVGPRsForWavesPerEU: 1
; Occupancy: 16
; WaveLimiterHint : 0
; COMPUTE_PGM_RSRC2:SCRATCH_EN: 0
; COMPUTE_PGM_RSRC2:USER_SGPR: 6
; COMPUTE_PGM_RSRC2:TRAP_HANDLER: 0
; COMPUTE_PGM_RSRC2:TGID_X_EN: 1
; COMPUTE_PGM_RSRC2:TGID_Y_EN: 0
; COMPUTE_PGM_RSRC2:TGID_Z_EN: 0
; COMPUTE_PGM_RSRC2:TIDIG_COMP_CNT: 0
	.section	.text._ZN7rocprim17ROCPRIM_400000_NS6detail17trampoline_kernelINS0_13select_configILj256ELj13ELNS0_17block_load_methodE3ELS4_3ELS4_3ELNS0_20block_scan_algorithmE0ELj4294967295EEENS1_25partition_config_selectorILNS1_17partition_subalgoE4EjNS0_10empty_typeEbEEZZNS1_14partition_implILS8_4ELb0ES6_15HIP_vector_typeIjLj2EENS0_17counting_iteratorIjlEEPS9_SG_NS0_5tupleIJPjSI_NS0_16reverse_iteratorISI_EEEEENSH_IJSG_SG_SG_EEES9_SI_JZNS1_25segmented_radix_sort_implINS0_14default_configELb0EPKiPiPKlPlN2at6native12_GLOBAL__N_18offset_tEEE10hipError_tPvRmT1_PNSt15iterator_traitsIS12_E10value_typeET2_T3_PNS13_IS18_E10value_typeET4_jRbjT5_S1E_jjP12ihipStream_tbEUljE_ZNSN_ISO_Lb0ESQ_SR_ST_SU_SY_EESZ_S10_S11_S12_S16_S17_S18_S1B_S1C_jS1D_jS1E_S1E_jjS1G_bEUljE0_EEESZ_S10_S11_S18_S1C_S1E_T6_T7_T9_mT8_S1G_bDpT10_ENKUlT_T0_E_clISt17integral_constantIbLb0EES1U_EEDaS1P_S1Q_EUlS1P_E_NS1_11comp_targetILNS1_3genE3ELNS1_11target_archE908ELNS1_3gpuE7ELNS1_3repE0EEENS1_30default_config_static_selectorELNS0_4arch9wavefront6targetE0EEEvS12_,"axG",@progbits,_ZN7rocprim17ROCPRIM_400000_NS6detail17trampoline_kernelINS0_13select_configILj256ELj13ELNS0_17block_load_methodE3ELS4_3ELS4_3ELNS0_20block_scan_algorithmE0ELj4294967295EEENS1_25partition_config_selectorILNS1_17partition_subalgoE4EjNS0_10empty_typeEbEEZZNS1_14partition_implILS8_4ELb0ES6_15HIP_vector_typeIjLj2EENS0_17counting_iteratorIjlEEPS9_SG_NS0_5tupleIJPjSI_NS0_16reverse_iteratorISI_EEEEENSH_IJSG_SG_SG_EEES9_SI_JZNS1_25segmented_radix_sort_implINS0_14default_configELb0EPKiPiPKlPlN2at6native12_GLOBAL__N_18offset_tEEE10hipError_tPvRmT1_PNSt15iterator_traitsIS12_E10value_typeET2_T3_PNS13_IS18_E10value_typeET4_jRbjT5_S1E_jjP12ihipStream_tbEUljE_ZNSN_ISO_Lb0ESQ_SR_ST_SU_SY_EESZ_S10_S11_S12_S16_S17_S18_S1B_S1C_jS1D_jS1E_S1E_jjS1G_bEUljE0_EEESZ_S10_S11_S18_S1C_S1E_T6_T7_T9_mT8_S1G_bDpT10_ENKUlT_T0_E_clISt17integral_constantIbLb0EES1U_EEDaS1P_S1Q_EUlS1P_E_NS1_11comp_targetILNS1_3genE3ELNS1_11target_archE908ELNS1_3gpuE7ELNS1_3repE0EEENS1_30default_config_static_selectorELNS0_4arch9wavefront6targetE0EEEvS12_,comdat
	.globl	_ZN7rocprim17ROCPRIM_400000_NS6detail17trampoline_kernelINS0_13select_configILj256ELj13ELNS0_17block_load_methodE3ELS4_3ELS4_3ELNS0_20block_scan_algorithmE0ELj4294967295EEENS1_25partition_config_selectorILNS1_17partition_subalgoE4EjNS0_10empty_typeEbEEZZNS1_14partition_implILS8_4ELb0ES6_15HIP_vector_typeIjLj2EENS0_17counting_iteratorIjlEEPS9_SG_NS0_5tupleIJPjSI_NS0_16reverse_iteratorISI_EEEEENSH_IJSG_SG_SG_EEES9_SI_JZNS1_25segmented_radix_sort_implINS0_14default_configELb0EPKiPiPKlPlN2at6native12_GLOBAL__N_18offset_tEEE10hipError_tPvRmT1_PNSt15iterator_traitsIS12_E10value_typeET2_T3_PNS13_IS18_E10value_typeET4_jRbjT5_S1E_jjP12ihipStream_tbEUljE_ZNSN_ISO_Lb0ESQ_SR_ST_SU_SY_EESZ_S10_S11_S12_S16_S17_S18_S1B_S1C_jS1D_jS1E_S1E_jjS1G_bEUljE0_EEESZ_S10_S11_S18_S1C_S1E_T6_T7_T9_mT8_S1G_bDpT10_ENKUlT_T0_E_clISt17integral_constantIbLb0EES1U_EEDaS1P_S1Q_EUlS1P_E_NS1_11comp_targetILNS1_3genE3ELNS1_11target_archE908ELNS1_3gpuE7ELNS1_3repE0EEENS1_30default_config_static_selectorELNS0_4arch9wavefront6targetE0EEEvS12_ ; -- Begin function _ZN7rocprim17ROCPRIM_400000_NS6detail17trampoline_kernelINS0_13select_configILj256ELj13ELNS0_17block_load_methodE3ELS4_3ELS4_3ELNS0_20block_scan_algorithmE0ELj4294967295EEENS1_25partition_config_selectorILNS1_17partition_subalgoE4EjNS0_10empty_typeEbEEZZNS1_14partition_implILS8_4ELb0ES6_15HIP_vector_typeIjLj2EENS0_17counting_iteratorIjlEEPS9_SG_NS0_5tupleIJPjSI_NS0_16reverse_iteratorISI_EEEEENSH_IJSG_SG_SG_EEES9_SI_JZNS1_25segmented_radix_sort_implINS0_14default_configELb0EPKiPiPKlPlN2at6native12_GLOBAL__N_18offset_tEEE10hipError_tPvRmT1_PNSt15iterator_traitsIS12_E10value_typeET2_T3_PNS13_IS18_E10value_typeET4_jRbjT5_S1E_jjP12ihipStream_tbEUljE_ZNSN_ISO_Lb0ESQ_SR_ST_SU_SY_EESZ_S10_S11_S12_S16_S17_S18_S1B_S1C_jS1D_jS1E_S1E_jjS1G_bEUljE0_EEESZ_S10_S11_S18_S1C_S1E_T6_T7_T9_mT8_S1G_bDpT10_ENKUlT_T0_E_clISt17integral_constantIbLb0EES1U_EEDaS1P_S1Q_EUlS1P_E_NS1_11comp_targetILNS1_3genE3ELNS1_11target_archE908ELNS1_3gpuE7ELNS1_3repE0EEENS1_30default_config_static_selectorELNS0_4arch9wavefront6targetE0EEEvS12_
	.p2align	8
	.type	_ZN7rocprim17ROCPRIM_400000_NS6detail17trampoline_kernelINS0_13select_configILj256ELj13ELNS0_17block_load_methodE3ELS4_3ELS4_3ELNS0_20block_scan_algorithmE0ELj4294967295EEENS1_25partition_config_selectorILNS1_17partition_subalgoE4EjNS0_10empty_typeEbEEZZNS1_14partition_implILS8_4ELb0ES6_15HIP_vector_typeIjLj2EENS0_17counting_iteratorIjlEEPS9_SG_NS0_5tupleIJPjSI_NS0_16reverse_iteratorISI_EEEEENSH_IJSG_SG_SG_EEES9_SI_JZNS1_25segmented_radix_sort_implINS0_14default_configELb0EPKiPiPKlPlN2at6native12_GLOBAL__N_18offset_tEEE10hipError_tPvRmT1_PNSt15iterator_traitsIS12_E10value_typeET2_T3_PNS13_IS18_E10value_typeET4_jRbjT5_S1E_jjP12ihipStream_tbEUljE_ZNSN_ISO_Lb0ESQ_SR_ST_SU_SY_EESZ_S10_S11_S12_S16_S17_S18_S1B_S1C_jS1D_jS1E_S1E_jjS1G_bEUljE0_EEESZ_S10_S11_S18_S1C_S1E_T6_T7_T9_mT8_S1G_bDpT10_ENKUlT_T0_E_clISt17integral_constantIbLb0EES1U_EEDaS1P_S1Q_EUlS1P_E_NS1_11comp_targetILNS1_3genE3ELNS1_11target_archE908ELNS1_3gpuE7ELNS1_3repE0EEENS1_30default_config_static_selectorELNS0_4arch9wavefront6targetE0EEEvS12_,@function
_ZN7rocprim17ROCPRIM_400000_NS6detail17trampoline_kernelINS0_13select_configILj256ELj13ELNS0_17block_load_methodE3ELS4_3ELS4_3ELNS0_20block_scan_algorithmE0ELj4294967295EEENS1_25partition_config_selectorILNS1_17partition_subalgoE4EjNS0_10empty_typeEbEEZZNS1_14partition_implILS8_4ELb0ES6_15HIP_vector_typeIjLj2EENS0_17counting_iteratorIjlEEPS9_SG_NS0_5tupleIJPjSI_NS0_16reverse_iteratorISI_EEEEENSH_IJSG_SG_SG_EEES9_SI_JZNS1_25segmented_radix_sort_implINS0_14default_configELb0EPKiPiPKlPlN2at6native12_GLOBAL__N_18offset_tEEE10hipError_tPvRmT1_PNSt15iterator_traitsIS12_E10value_typeET2_T3_PNS13_IS18_E10value_typeET4_jRbjT5_S1E_jjP12ihipStream_tbEUljE_ZNSN_ISO_Lb0ESQ_SR_ST_SU_SY_EESZ_S10_S11_S12_S16_S17_S18_S1B_S1C_jS1D_jS1E_S1E_jjS1G_bEUljE0_EEESZ_S10_S11_S18_S1C_S1E_T6_T7_T9_mT8_S1G_bDpT10_ENKUlT_T0_E_clISt17integral_constantIbLb0EES1U_EEDaS1P_S1Q_EUlS1P_E_NS1_11comp_targetILNS1_3genE3ELNS1_11target_archE908ELNS1_3gpuE7ELNS1_3repE0EEENS1_30default_config_static_selectorELNS0_4arch9wavefront6targetE0EEEvS12_: ; @_ZN7rocprim17ROCPRIM_400000_NS6detail17trampoline_kernelINS0_13select_configILj256ELj13ELNS0_17block_load_methodE3ELS4_3ELS4_3ELNS0_20block_scan_algorithmE0ELj4294967295EEENS1_25partition_config_selectorILNS1_17partition_subalgoE4EjNS0_10empty_typeEbEEZZNS1_14partition_implILS8_4ELb0ES6_15HIP_vector_typeIjLj2EENS0_17counting_iteratorIjlEEPS9_SG_NS0_5tupleIJPjSI_NS0_16reverse_iteratorISI_EEEEENSH_IJSG_SG_SG_EEES9_SI_JZNS1_25segmented_radix_sort_implINS0_14default_configELb0EPKiPiPKlPlN2at6native12_GLOBAL__N_18offset_tEEE10hipError_tPvRmT1_PNSt15iterator_traitsIS12_E10value_typeET2_T3_PNS13_IS18_E10value_typeET4_jRbjT5_S1E_jjP12ihipStream_tbEUljE_ZNSN_ISO_Lb0ESQ_SR_ST_SU_SY_EESZ_S10_S11_S12_S16_S17_S18_S1B_S1C_jS1D_jS1E_S1E_jjS1G_bEUljE0_EEESZ_S10_S11_S18_S1C_S1E_T6_T7_T9_mT8_S1G_bDpT10_ENKUlT_T0_E_clISt17integral_constantIbLb0EES1U_EEDaS1P_S1Q_EUlS1P_E_NS1_11comp_targetILNS1_3genE3ELNS1_11target_archE908ELNS1_3gpuE7ELNS1_3repE0EEENS1_30default_config_static_selectorELNS0_4arch9wavefront6targetE0EEEvS12_
; %bb.0:
	.section	.rodata,"a",@progbits
	.p2align	6, 0x0
	.amdhsa_kernel _ZN7rocprim17ROCPRIM_400000_NS6detail17trampoline_kernelINS0_13select_configILj256ELj13ELNS0_17block_load_methodE3ELS4_3ELS4_3ELNS0_20block_scan_algorithmE0ELj4294967295EEENS1_25partition_config_selectorILNS1_17partition_subalgoE4EjNS0_10empty_typeEbEEZZNS1_14partition_implILS8_4ELb0ES6_15HIP_vector_typeIjLj2EENS0_17counting_iteratorIjlEEPS9_SG_NS0_5tupleIJPjSI_NS0_16reverse_iteratorISI_EEEEENSH_IJSG_SG_SG_EEES9_SI_JZNS1_25segmented_radix_sort_implINS0_14default_configELb0EPKiPiPKlPlN2at6native12_GLOBAL__N_18offset_tEEE10hipError_tPvRmT1_PNSt15iterator_traitsIS12_E10value_typeET2_T3_PNS13_IS18_E10value_typeET4_jRbjT5_S1E_jjP12ihipStream_tbEUljE_ZNSN_ISO_Lb0ESQ_SR_ST_SU_SY_EESZ_S10_S11_S12_S16_S17_S18_S1B_S1C_jS1D_jS1E_S1E_jjS1G_bEUljE0_EEESZ_S10_S11_S18_S1C_S1E_T6_T7_T9_mT8_S1G_bDpT10_ENKUlT_T0_E_clISt17integral_constantIbLb0EES1U_EEDaS1P_S1Q_EUlS1P_E_NS1_11comp_targetILNS1_3genE3ELNS1_11target_archE908ELNS1_3gpuE7ELNS1_3repE0EEENS1_30default_config_static_selectorELNS0_4arch9wavefront6targetE0EEEvS12_
		.amdhsa_group_segment_fixed_size 0
		.amdhsa_private_segment_fixed_size 0
		.amdhsa_kernarg_size 176
		.amdhsa_user_sgpr_count 6
		.amdhsa_user_sgpr_private_segment_buffer 1
		.amdhsa_user_sgpr_dispatch_ptr 0
		.amdhsa_user_sgpr_queue_ptr 0
		.amdhsa_user_sgpr_kernarg_segment_ptr 1
		.amdhsa_user_sgpr_dispatch_id 0
		.amdhsa_user_sgpr_flat_scratch_init 0
		.amdhsa_user_sgpr_private_segment_size 0
		.amdhsa_wavefront_size32 1
		.amdhsa_uses_dynamic_stack 0
		.amdhsa_system_sgpr_private_segment_wavefront_offset 0
		.amdhsa_system_sgpr_workgroup_id_x 1
		.amdhsa_system_sgpr_workgroup_id_y 0
		.amdhsa_system_sgpr_workgroup_id_z 0
		.amdhsa_system_sgpr_workgroup_info 0
		.amdhsa_system_vgpr_workitem_id 0
		.amdhsa_next_free_vgpr 1
		.amdhsa_next_free_sgpr 1
		.amdhsa_reserve_vcc 0
		.amdhsa_reserve_flat_scratch 0
		.amdhsa_float_round_mode_32 0
		.amdhsa_float_round_mode_16_64 0
		.amdhsa_float_denorm_mode_32 3
		.amdhsa_float_denorm_mode_16_64 3
		.amdhsa_dx10_clamp 1
		.amdhsa_ieee_mode 1
		.amdhsa_fp16_overflow 0
		.amdhsa_workgroup_processor_mode 1
		.amdhsa_memory_ordered 1
		.amdhsa_forward_progress 1
		.amdhsa_shared_vgpr_count 0
		.amdhsa_exception_fp_ieee_invalid_op 0
		.amdhsa_exception_fp_denorm_src 0
		.amdhsa_exception_fp_ieee_div_zero 0
		.amdhsa_exception_fp_ieee_overflow 0
		.amdhsa_exception_fp_ieee_underflow 0
		.amdhsa_exception_fp_ieee_inexact 0
		.amdhsa_exception_int_div_zero 0
	.end_amdhsa_kernel
	.section	.text._ZN7rocprim17ROCPRIM_400000_NS6detail17trampoline_kernelINS0_13select_configILj256ELj13ELNS0_17block_load_methodE3ELS4_3ELS4_3ELNS0_20block_scan_algorithmE0ELj4294967295EEENS1_25partition_config_selectorILNS1_17partition_subalgoE4EjNS0_10empty_typeEbEEZZNS1_14partition_implILS8_4ELb0ES6_15HIP_vector_typeIjLj2EENS0_17counting_iteratorIjlEEPS9_SG_NS0_5tupleIJPjSI_NS0_16reverse_iteratorISI_EEEEENSH_IJSG_SG_SG_EEES9_SI_JZNS1_25segmented_radix_sort_implINS0_14default_configELb0EPKiPiPKlPlN2at6native12_GLOBAL__N_18offset_tEEE10hipError_tPvRmT1_PNSt15iterator_traitsIS12_E10value_typeET2_T3_PNS13_IS18_E10value_typeET4_jRbjT5_S1E_jjP12ihipStream_tbEUljE_ZNSN_ISO_Lb0ESQ_SR_ST_SU_SY_EESZ_S10_S11_S12_S16_S17_S18_S1B_S1C_jS1D_jS1E_S1E_jjS1G_bEUljE0_EEESZ_S10_S11_S18_S1C_S1E_T6_T7_T9_mT8_S1G_bDpT10_ENKUlT_T0_E_clISt17integral_constantIbLb0EES1U_EEDaS1P_S1Q_EUlS1P_E_NS1_11comp_targetILNS1_3genE3ELNS1_11target_archE908ELNS1_3gpuE7ELNS1_3repE0EEENS1_30default_config_static_selectorELNS0_4arch9wavefront6targetE0EEEvS12_,"axG",@progbits,_ZN7rocprim17ROCPRIM_400000_NS6detail17trampoline_kernelINS0_13select_configILj256ELj13ELNS0_17block_load_methodE3ELS4_3ELS4_3ELNS0_20block_scan_algorithmE0ELj4294967295EEENS1_25partition_config_selectorILNS1_17partition_subalgoE4EjNS0_10empty_typeEbEEZZNS1_14partition_implILS8_4ELb0ES6_15HIP_vector_typeIjLj2EENS0_17counting_iteratorIjlEEPS9_SG_NS0_5tupleIJPjSI_NS0_16reverse_iteratorISI_EEEEENSH_IJSG_SG_SG_EEES9_SI_JZNS1_25segmented_radix_sort_implINS0_14default_configELb0EPKiPiPKlPlN2at6native12_GLOBAL__N_18offset_tEEE10hipError_tPvRmT1_PNSt15iterator_traitsIS12_E10value_typeET2_T3_PNS13_IS18_E10value_typeET4_jRbjT5_S1E_jjP12ihipStream_tbEUljE_ZNSN_ISO_Lb0ESQ_SR_ST_SU_SY_EESZ_S10_S11_S12_S16_S17_S18_S1B_S1C_jS1D_jS1E_S1E_jjS1G_bEUljE0_EEESZ_S10_S11_S18_S1C_S1E_T6_T7_T9_mT8_S1G_bDpT10_ENKUlT_T0_E_clISt17integral_constantIbLb0EES1U_EEDaS1P_S1Q_EUlS1P_E_NS1_11comp_targetILNS1_3genE3ELNS1_11target_archE908ELNS1_3gpuE7ELNS1_3repE0EEENS1_30default_config_static_selectorELNS0_4arch9wavefront6targetE0EEEvS12_,comdat
.Lfunc_end534:
	.size	_ZN7rocprim17ROCPRIM_400000_NS6detail17trampoline_kernelINS0_13select_configILj256ELj13ELNS0_17block_load_methodE3ELS4_3ELS4_3ELNS0_20block_scan_algorithmE0ELj4294967295EEENS1_25partition_config_selectorILNS1_17partition_subalgoE4EjNS0_10empty_typeEbEEZZNS1_14partition_implILS8_4ELb0ES6_15HIP_vector_typeIjLj2EENS0_17counting_iteratorIjlEEPS9_SG_NS0_5tupleIJPjSI_NS0_16reverse_iteratorISI_EEEEENSH_IJSG_SG_SG_EEES9_SI_JZNS1_25segmented_radix_sort_implINS0_14default_configELb0EPKiPiPKlPlN2at6native12_GLOBAL__N_18offset_tEEE10hipError_tPvRmT1_PNSt15iterator_traitsIS12_E10value_typeET2_T3_PNS13_IS18_E10value_typeET4_jRbjT5_S1E_jjP12ihipStream_tbEUljE_ZNSN_ISO_Lb0ESQ_SR_ST_SU_SY_EESZ_S10_S11_S12_S16_S17_S18_S1B_S1C_jS1D_jS1E_S1E_jjS1G_bEUljE0_EEESZ_S10_S11_S18_S1C_S1E_T6_T7_T9_mT8_S1G_bDpT10_ENKUlT_T0_E_clISt17integral_constantIbLb0EES1U_EEDaS1P_S1Q_EUlS1P_E_NS1_11comp_targetILNS1_3genE3ELNS1_11target_archE908ELNS1_3gpuE7ELNS1_3repE0EEENS1_30default_config_static_selectorELNS0_4arch9wavefront6targetE0EEEvS12_, .Lfunc_end534-_ZN7rocprim17ROCPRIM_400000_NS6detail17trampoline_kernelINS0_13select_configILj256ELj13ELNS0_17block_load_methodE3ELS4_3ELS4_3ELNS0_20block_scan_algorithmE0ELj4294967295EEENS1_25partition_config_selectorILNS1_17partition_subalgoE4EjNS0_10empty_typeEbEEZZNS1_14partition_implILS8_4ELb0ES6_15HIP_vector_typeIjLj2EENS0_17counting_iteratorIjlEEPS9_SG_NS0_5tupleIJPjSI_NS0_16reverse_iteratorISI_EEEEENSH_IJSG_SG_SG_EEES9_SI_JZNS1_25segmented_radix_sort_implINS0_14default_configELb0EPKiPiPKlPlN2at6native12_GLOBAL__N_18offset_tEEE10hipError_tPvRmT1_PNSt15iterator_traitsIS12_E10value_typeET2_T3_PNS13_IS18_E10value_typeET4_jRbjT5_S1E_jjP12ihipStream_tbEUljE_ZNSN_ISO_Lb0ESQ_SR_ST_SU_SY_EESZ_S10_S11_S12_S16_S17_S18_S1B_S1C_jS1D_jS1E_S1E_jjS1G_bEUljE0_EEESZ_S10_S11_S18_S1C_S1E_T6_T7_T9_mT8_S1G_bDpT10_ENKUlT_T0_E_clISt17integral_constantIbLb0EES1U_EEDaS1P_S1Q_EUlS1P_E_NS1_11comp_targetILNS1_3genE3ELNS1_11target_archE908ELNS1_3gpuE7ELNS1_3repE0EEENS1_30default_config_static_selectorELNS0_4arch9wavefront6targetE0EEEvS12_
                                        ; -- End function
	.set _ZN7rocprim17ROCPRIM_400000_NS6detail17trampoline_kernelINS0_13select_configILj256ELj13ELNS0_17block_load_methodE3ELS4_3ELS4_3ELNS0_20block_scan_algorithmE0ELj4294967295EEENS1_25partition_config_selectorILNS1_17partition_subalgoE4EjNS0_10empty_typeEbEEZZNS1_14partition_implILS8_4ELb0ES6_15HIP_vector_typeIjLj2EENS0_17counting_iteratorIjlEEPS9_SG_NS0_5tupleIJPjSI_NS0_16reverse_iteratorISI_EEEEENSH_IJSG_SG_SG_EEES9_SI_JZNS1_25segmented_radix_sort_implINS0_14default_configELb0EPKiPiPKlPlN2at6native12_GLOBAL__N_18offset_tEEE10hipError_tPvRmT1_PNSt15iterator_traitsIS12_E10value_typeET2_T3_PNS13_IS18_E10value_typeET4_jRbjT5_S1E_jjP12ihipStream_tbEUljE_ZNSN_ISO_Lb0ESQ_SR_ST_SU_SY_EESZ_S10_S11_S12_S16_S17_S18_S1B_S1C_jS1D_jS1E_S1E_jjS1G_bEUljE0_EEESZ_S10_S11_S18_S1C_S1E_T6_T7_T9_mT8_S1G_bDpT10_ENKUlT_T0_E_clISt17integral_constantIbLb0EES1U_EEDaS1P_S1Q_EUlS1P_E_NS1_11comp_targetILNS1_3genE3ELNS1_11target_archE908ELNS1_3gpuE7ELNS1_3repE0EEENS1_30default_config_static_selectorELNS0_4arch9wavefront6targetE0EEEvS12_.num_vgpr, 0
	.set _ZN7rocprim17ROCPRIM_400000_NS6detail17trampoline_kernelINS0_13select_configILj256ELj13ELNS0_17block_load_methodE3ELS4_3ELS4_3ELNS0_20block_scan_algorithmE0ELj4294967295EEENS1_25partition_config_selectorILNS1_17partition_subalgoE4EjNS0_10empty_typeEbEEZZNS1_14partition_implILS8_4ELb0ES6_15HIP_vector_typeIjLj2EENS0_17counting_iteratorIjlEEPS9_SG_NS0_5tupleIJPjSI_NS0_16reverse_iteratorISI_EEEEENSH_IJSG_SG_SG_EEES9_SI_JZNS1_25segmented_radix_sort_implINS0_14default_configELb0EPKiPiPKlPlN2at6native12_GLOBAL__N_18offset_tEEE10hipError_tPvRmT1_PNSt15iterator_traitsIS12_E10value_typeET2_T3_PNS13_IS18_E10value_typeET4_jRbjT5_S1E_jjP12ihipStream_tbEUljE_ZNSN_ISO_Lb0ESQ_SR_ST_SU_SY_EESZ_S10_S11_S12_S16_S17_S18_S1B_S1C_jS1D_jS1E_S1E_jjS1G_bEUljE0_EEESZ_S10_S11_S18_S1C_S1E_T6_T7_T9_mT8_S1G_bDpT10_ENKUlT_T0_E_clISt17integral_constantIbLb0EES1U_EEDaS1P_S1Q_EUlS1P_E_NS1_11comp_targetILNS1_3genE3ELNS1_11target_archE908ELNS1_3gpuE7ELNS1_3repE0EEENS1_30default_config_static_selectorELNS0_4arch9wavefront6targetE0EEEvS12_.num_agpr, 0
	.set _ZN7rocprim17ROCPRIM_400000_NS6detail17trampoline_kernelINS0_13select_configILj256ELj13ELNS0_17block_load_methodE3ELS4_3ELS4_3ELNS0_20block_scan_algorithmE0ELj4294967295EEENS1_25partition_config_selectorILNS1_17partition_subalgoE4EjNS0_10empty_typeEbEEZZNS1_14partition_implILS8_4ELb0ES6_15HIP_vector_typeIjLj2EENS0_17counting_iteratorIjlEEPS9_SG_NS0_5tupleIJPjSI_NS0_16reverse_iteratorISI_EEEEENSH_IJSG_SG_SG_EEES9_SI_JZNS1_25segmented_radix_sort_implINS0_14default_configELb0EPKiPiPKlPlN2at6native12_GLOBAL__N_18offset_tEEE10hipError_tPvRmT1_PNSt15iterator_traitsIS12_E10value_typeET2_T3_PNS13_IS18_E10value_typeET4_jRbjT5_S1E_jjP12ihipStream_tbEUljE_ZNSN_ISO_Lb0ESQ_SR_ST_SU_SY_EESZ_S10_S11_S12_S16_S17_S18_S1B_S1C_jS1D_jS1E_S1E_jjS1G_bEUljE0_EEESZ_S10_S11_S18_S1C_S1E_T6_T7_T9_mT8_S1G_bDpT10_ENKUlT_T0_E_clISt17integral_constantIbLb0EES1U_EEDaS1P_S1Q_EUlS1P_E_NS1_11comp_targetILNS1_3genE3ELNS1_11target_archE908ELNS1_3gpuE7ELNS1_3repE0EEENS1_30default_config_static_selectorELNS0_4arch9wavefront6targetE0EEEvS12_.numbered_sgpr, 0
	.set _ZN7rocprim17ROCPRIM_400000_NS6detail17trampoline_kernelINS0_13select_configILj256ELj13ELNS0_17block_load_methodE3ELS4_3ELS4_3ELNS0_20block_scan_algorithmE0ELj4294967295EEENS1_25partition_config_selectorILNS1_17partition_subalgoE4EjNS0_10empty_typeEbEEZZNS1_14partition_implILS8_4ELb0ES6_15HIP_vector_typeIjLj2EENS0_17counting_iteratorIjlEEPS9_SG_NS0_5tupleIJPjSI_NS0_16reverse_iteratorISI_EEEEENSH_IJSG_SG_SG_EEES9_SI_JZNS1_25segmented_radix_sort_implINS0_14default_configELb0EPKiPiPKlPlN2at6native12_GLOBAL__N_18offset_tEEE10hipError_tPvRmT1_PNSt15iterator_traitsIS12_E10value_typeET2_T3_PNS13_IS18_E10value_typeET4_jRbjT5_S1E_jjP12ihipStream_tbEUljE_ZNSN_ISO_Lb0ESQ_SR_ST_SU_SY_EESZ_S10_S11_S12_S16_S17_S18_S1B_S1C_jS1D_jS1E_S1E_jjS1G_bEUljE0_EEESZ_S10_S11_S18_S1C_S1E_T6_T7_T9_mT8_S1G_bDpT10_ENKUlT_T0_E_clISt17integral_constantIbLb0EES1U_EEDaS1P_S1Q_EUlS1P_E_NS1_11comp_targetILNS1_3genE3ELNS1_11target_archE908ELNS1_3gpuE7ELNS1_3repE0EEENS1_30default_config_static_selectorELNS0_4arch9wavefront6targetE0EEEvS12_.num_named_barrier, 0
	.set _ZN7rocprim17ROCPRIM_400000_NS6detail17trampoline_kernelINS0_13select_configILj256ELj13ELNS0_17block_load_methodE3ELS4_3ELS4_3ELNS0_20block_scan_algorithmE0ELj4294967295EEENS1_25partition_config_selectorILNS1_17partition_subalgoE4EjNS0_10empty_typeEbEEZZNS1_14partition_implILS8_4ELb0ES6_15HIP_vector_typeIjLj2EENS0_17counting_iteratorIjlEEPS9_SG_NS0_5tupleIJPjSI_NS0_16reverse_iteratorISI_EEEEENSH_IJSG_SG_SG_EEES9_SI_JZNS1_25segmented_radix_sort_implINS0_14default_configELb0EPKiPiPKlPlN2at6native12_GLOBAL__N_18offset_tEEE10hipError_tPvRmT1_PNSt15iterator_traitsIS12_E10value_typeET2_T3_PNS13_IS18_E10value_typeET4_jRbjT5_S1E_jjP12ihipStream_tbEUljE_ZNSN_ISO_Lb0ESQ_SR_ST_SU_SY_EESZ_S10_S11_S12_S16_S17_S18_S1B_S1C_jS1D_jS1E_S1E_jjS1G_bEUljE0_EEESZ_S10_S11_S18_S1C_S1E_T6_T7_T9_mT8_S1G_bDpT10_ENKUlT_T0_E_clISt17integral_constantIbLb0EES1U_EEDaS1P_S1Q_EUlS1P_E_NS1_11comp_targetILNS1_3genE3ELNS1_11target_archE908ELNS1_3gpuE7ELNS1_3repE0EEENS1_30default_config_static_selectorELNS0_4arch9wavefront6targetE0EEEvS12_.private_seg_size, 0
	.set _ZN7rocprim17ROCPRIM_400000_NS6detail17trampoline_kernelINS0_13select_configILj256ELj13ELNS0_17block_load_methodE3ELS4_3ELS4_3ELNS0_20block_scan_algorithmE0ELj4294967295EEENS1_25partition_config_selectorILNS1_17partition_subalgoE4EjNS0_10empty_typeEbEEZZNS1_14partition_implILS8_4ELb0ES6_15HIP_vector_typeIjLj2EENS0_17counting_iteratorIjlEEPS9_SG_NS0_5tupleIJPjSI_NS0_16reverse_iteratorISI_EEEEENSH_IJSG_SG_SG_EEES9_SI_JZNS1_25segmented_radix_sort_implINS0_14default_configELb0EPKiPiPKlPlN2at6native12_GLOBAL__N_18offset_tEEE10hipError_tPvRmT1_PNSt15iterator_traitsIS12_E10value_typeET2_T3_PNS13_IS18_E10value_typeET4_jRbjT5_S1E_jjP12ihipStream_tbEUljE_ZNSN_ISO_Lb0ESQ_SR_ST_SU_SY_EESZ_S10_S11_S12_S16_S17_S18_S1B_S1C_jS1D_jS1E_S1E_jjS1G_bEUljE0_EEESZ_S10_S11_S18_S1C_S1E_T6_T7_T9_mT8_S1G_bDpT10_ENKUlT_T0_E_clISt17integral_constantIbLb0EES1U_EEDaS1P_S1Q_EUlS1P_E_NS1_11comp_targetILNS1_3genE3ELNS1_11target_archE908ELNS1_3gpuE7ELNS1_3repE0EEENS1_30default_config_static_selectorELNS0_4arch9wavefront6targetE0EEEvS12_.uses_vcc, 0
	.set _ZN7rocprim17ROCPRIM_400000_NS6detail17trampoline_kernelINS0_13select_configILj256ELj13ELNS0_17block_load_methodE3ELS4_3ELS4_3ELNS0_20block_scan_algorithmE0ELj4294967295EEENS1_25partition_config_selectorILNS1_17partition_subalgoE4EjNS0_10empty_typeEbEEZZNS1_14partition_implILS8_4ELb0ES6_15HIP_vector_typeIjLj2EENS0_17counting_iteratorIjlEEPS9_SG_NS0_5tupleIJPjSI_NS0_16reverse_iteratorISI_EEEEENSH_IJSG_SG_SG_EEES9_SI_JZNS1_25segmented_radix_sort_implINS0_14default_configELb0EPKiPiPKlPlN2at6native12_GLOBAL__N_18offset_tEEE10hipError_tPvRmT1_PNSt15iterator_traitsIS12_E10value_typeET2_T3_PNS13_IS18_E10value_typeET4_jRbjT5_S1E_jjP12ihipStream_tbEUljE_ZNSN_ISO_Lb0ESQ_SR_ST_SU_SY_EESZ_S10_S11_S12_S16_S17_S18_S1B_S1C_jS1D_jS1E_S1E_jjS1G_bEUljE0_EEESZ_S10_S11_S18_S1C_S1E_T6_T7_T9_mT8_S1G_bDpT10_ENKUlT_T0_E_clISt17integral_constantIbLb0EES1U_EEDaS1P_S1Q_EUlS1P_E_NS1_11comp_targetILNS1_3genE3ELNS1_11target_archE908ELNS1_3gpuE7ELNS1_3repE0EEENS1_30default_config_static_selectorELNS0_4arch9wavefront6targetE0EEEvS12_.uses_flat_scratch, 0
	.set _ZN7rocprim17ROCPRIM_400000_NS6detail17trampoline_kernelINS0_13select_configILj256ELj13ELNS0_17block_load_methodE3ELS4_3ELS4_3ELNS0_20block_scan_algorithmE0ELj4294967295EEENS1_25partition_config_selectorILNS1_17partition_subalgoE4EjNS0_10empty_typeEbEEZZNS1_14partition_implILS8_4ELb0ES6_15HIP_vector_typeIjLj2EENS0_17counting_iteratorIjlEEPS9_SG_NS0_5tupleIJPjSI_NS0_16reverse_iteratorISI_EEEEENSH_IJSG_SG_SG_EEES9_SI_JZNS1_25segmented_radix_sort_implINS0_14default_configELb0EPKiPiPKlPlN2at6native12_GLOBAL__N_18offset_tEEE10hipError_tPvRmT1_PNSt15iterator_traitsIS12_E10value_typeET2_T3_PNS13_IS18_E10value_typeET4_jRbjT5_S1E_jjP12ihipStream_tbEUljE_ZNSN_ISO_Lb0ESQ_SR_ST_SU_SY_EESZ_S10_S11_S12_S16_S17_S18_S1B_S1C_jS1D_jS1E_S1E_jjS1G_bEUljE0_EEESZ_S10_S11_S18_S1C_S1E_T6_T7_T9_mT8_S1G_bDpT10_ENKUlT_T0_E_clISt17integral_constantIbLb0EES1U_EEDaS1P_S1Q_EUlS1P_E_NS1_11comp_targetILNS1_3genE3ELNS1_11target_archE908ELNS1_3gpuE7ELNS1_3repE0EEENS1_30default_config_static_selectorELNS0_4arch9wavefront6targetE0EEEvS12_.has_dyn_sized_stack, 0
	.set _ZN7rocprim17ROCPRIM_400000_NS6detail17trampoline_kernelINS0_13select_configILj256ELj13ELNS0_17block_load_methodE3ELS4_3ELS4_3ELNS0_20block_scan_algorithmE0ELj4294967295EEENS1_25partition_config_selectorILNS1_17partition_subalgoE4EjNS0_10empty_typeEbEEZZNS1_14partition_implILS8_4ELb0ES6_15HIP_vector_typeIjLj2EENS0_17counting_iteratorIjlEEPS9_SG_NS0_5tupleIJPjSI_NS0_16reverse_iteratorISI_EEEEENSH_IJSG_SG_SG_EEES9_SI_JZNS1_25segmented_radix_sort_implINS0_14default_configELb0EPKiPiPKlPlN2at6native12_GLOBAL__N_18offset_tEEE10hipError_tPvRmT1_PNSt15iterator_traitsIS12_E10value_typeET2_T3_PNS13_IS18_E10value_typeET4_jRbjT5_S1E_jjP12ihipStream_tbEUljE_ZNSN_ISO_Lb0ESQ_SR_ST_SU_SY_EESZ_S10_S11_S12_S16_S17_S18_S1B_S1C_jS1D_jS1E_S1E_jjS1G_bEUljE0_EEESZ_S10_S11_S18_S1C_S1E_T6_T7_T9_mT8_S1G_bDpT10_ENKUlT_T0_E_clISt17integral_constantIbLb0EES1U_EEDaS1P_S1Q_EUlS1P_E_NS1_11comp_targetILNS1_3genE3ELNS1_11target_archE908ELNS1_3gpuE7ELNS1_3repE0EEENS1_30default_config_static_selectorELNS0_4arch9wavefront6targetE0EEEvS12_.has_recursion, 0
	.set _ZN7rocprim17ROCPRIM_400000_NS6detail17trampoline_kernelINS0_13select_configILj256ELj13ELNS0_17block_load_methodE3ELS4_3ELS4_3ELNS0_20block_scan_algorithmE0ELj4294967295EEENS1_25partition_config_selectorILNS1_17partition_subalgoE4EjNS0_10empty_typeEbEEZZNS1_14partition_implILS8_4ELb0ES6_15HIP_vector_typeIjLj2EENS0_17counting_iteratorIjlEEPS9_SG_NS0_5tupleIJPjSI_NS0_16reverse_iteratorISI_EEEEENSH_IJSG_SG_SG_EEES9_SI_JZNS1_25segmented_radix_sort_implINS0_14default_configELb0EPKiPiPKlPlN2at6native12_GLOBAL__N_18offset_tEEE10hipError_tPvRmT1_PNSt15iterator_traitsIS12_E10value_typeET2_T3_PNS13_IS18_E10value_typeET4_jRbjT5_S1E_jjP12ihipStream_tbEUljE_ZNSN_ISO_Lb0ESQ_SR_ST_SU_SY_EESZ_S10_S11_S12_S16_S17_S18_S1B_S1C_jS1D_jS1E_S1E_jjS1G_bEUljE0_EEESZ_S10_S11_S18_S1C_S1E_T6_T7_T9_mT8_S1G_bDpT10_ENKUlT_T0_E_clISt17integral_constantIbLb0EES1U_EEDaS1P_S1Q_EUlS1P_E_NS1_11comp_targetILNS1_3genE3ELNS1_11target_archE908ELNS1_3gpuE7ELNS1_3repE0EEENS1_30default_config_static_selectorELNS0_4arch9wavefront6targetE0EEEvS12_.has_indirect_call, 0
	.section	.AMDGPU.csdata,"",@progbits
; Kernel info:
; codeLenInByte = 0
; TotalNumSgprs: 0
; NumVgprs: 0
; ScratchSize: 0
; MemoryBound: 0
; FloatMode: 240
; IeeeMode: 1
; LDSByteSize: 0 bytes/workgroup (compile time only)
; SGPRBlocks: 0
; VGPRBlocks: 0
; NumSGPRsForWavesPerEU: 1
; NumVGPRsForWavesPerEU: 1
; Occupancy: 16
; WaveLimiterHint : 0
; COMPUTE_PGM_RSRC2:SCRATCH_EN: 0
; COMPUTE_PGM_RSRC2:USER_SGPR: 6
; COMPUTE_PGM_RSRC2:TRAP_HANDLER: 0
; COMPUTE_PGM_RSRC2:TGID_X_EN: 1
; COMPUTE_PGM_RSRC2:TGID_Y_EN: 0
; COMPUTE_PGM_RSRC2:TGID_Z_EN: 0
; COMPUTE_PGM_RSRC2:TIDIG_COMP_CNT: 0
	.section	.text._ZN7rocprim17ROCPRIM_400000_NS6detail17trampoline_kernelINS0_13select_configILj256ELj13ELNS0_17block_load_methodE3ELS4_3ELS4_3ELNS0_20block_scan_algorithmE0ELj4294967295EEENS1_25partition_config_selectorILNS1_17partition_subalgoE4EjNS0_10empty_typeEbEEZZNS1_14partition_implILS8_4ELb0ES6_15HIP_vector_typeIjLj2EENS0_17counting_iteratorIjlEEPS9_SG_NS0_5tupleIJPjSI_NS0_16reverse_iteratorISI_EEEEENSH_IJSG_SG_SG_EEES9_SI_JZNS1_25segmented_radix_sort_implINS0_14default_configELb0EPKiPiPKlPlN2at6native12_GLOBAL__N_18offset_tEEE10hipError_tPvRmT1_PNSt15iterator_traitsIS12_E10value_typeET2_T3_PNS13_IS18_E10value_typeET4_jRbjT5_S1E_jjP12ihipStream_tbEUljE_ZNSN_ISO_Lb0ESQ_SR_ST_SU_SY_EESZ_S10_S11_S12_S16_S17_S18_S1B_S1C_jS1D_jS1E_S1E_jjS1G_bEUljE0_EEESZ_S10_S11_S18_S1C_S1E_T6_T7_T9_mT8_S1G_bDpT10_ENKUlT_T0_E_clISt17integral_constantIbLb0EES1U_EEDaS1P_S1Q_EUlS1P_E_NS1_11comp_targetILNS1_3genE2ELNS1_11target_archE906ELNS1_3gpuE6ELNS1_3repE0EEENS1_30default_config_static_selectorELNS0_4arch9wavefront6targetE0EEEvS12_,"axG",@progbits,_ZN7rocprim17ROCPRIM_400000_NS6detail17trampoline_kernelINS0_13select_configILj256ELj13ELNS0_17block_load_methodE3ELS4_3ELS4_3ELNS0_20block_scan_algorithmE0ELj4294967295EEENS1_25partition_config_selectorILNS1_17partition_subalgoE4EjNS0_10empty_typeEbEEZZNS1_14partition_implILS8_4ELb0ES6_15HIP_vector_typeIjLj2EENS0_17counting_iteratorIjlEEPS9_SG_NS0_5tupleIJPjSI_NS0_16reverse_iteratorISI_EEEEENSH_IJSG_SG_SG_EEES9_SI_JZNS1_25segmented_radix_sort_implINS0_14default_configELb0EPKiPiPKlPlN2at6native12_GLOBAL__N_18offset_tEEE10hipError_tPvRmT1_PNSt15iterator_traitsIS12_E10value_typeET2_T3_PNS13_IS18_E10value_typeET4_jRbjT5_S1E_jjP12ihipStream_tbEUljE_ZNSN_ISO_Lb0ESQ_SR_ST_SU_SY_EESZ_S10_S11_S12_S16_S17_S18_S1B_S1C_jS1D_jS1E_S1E_jjS1G_bEUljE0_EEESZ_S10_S11_S18_S1C_S1E_T6_T7_T9_mT8_S1G_bDpT10_ENKUlT_T0_E_clISt17integral_constantIbLb0EES1U_EEDaS1P_S1Q_EUlS1P_E_NS1_11comp_targetILNS1_3genE2ELNS1_11target_archE906ELNS1_3gpuE6ELNS1_3repE0EEENS1_30default_config_static_selectorELNS0_4arch9wavefront6targetE0EEEvS12_,comdat
	.globl	_ZN7rocprim17ROCPRIM_400000_NS6detail17trampoline_kernelINS0_13select_configILj256ELj13ELNS0_17block_load_methodE3ELS4_3ELS4_3ELNS0_20block_scan_algorithmE0ELj4294967295EEENS1_25partition_config_selectorILNS1_17partition_subalgoE4EjNS0_10empty_typeEbEEZZNS1_14partition_implILS8_4ELb0ES6_15HIP_vector_typeIjLj2EENS0_17counting_iteratorIjlEEPS9_SG_NS0_5tupleIJPjSI_NS0_16reverse_iteratorISI_EEEEENSH_IJSG_SG_SG_EEES9_SI_JZNS1_25segmented_radix_sort_implINS0_14default_configELb0EPKiPiPKlPlN2at6native12_GLOBAL__N_18offset_tEEE10hipError_tPvRmT1_PNSt15iterator_traitsIS12_E10value_typeET2_T3_PNS13_IS18_E10value_typeET4_jRbjT5_S1E_jjP12ihipStream_tbEUljE_ZNSN_ISO_Lb0ESQ_SR_ST_SU_SY_EESZ_S10_S11_S12_S16_S17_S18_S1B_S1C_jS1D_jS1E_S1E_jjS1G_bEUljE0_EEESZ_S10_S11_S18_S1C_S1E_T6_T7_T9_mT8_S1G_bDpT10_ENKUlT_T0_E_clISt17integral_constantIbLb0EES1U_EEDaS1P_S1Q_EUlS1P_E_NS1_11comp_targetILNS1_3genE2ELNS1_11target_archE906ELNS1_3gpuE6ELNS1_3repE0EEENS1_30default_config_static_selectorELNS0_4arch9wavefront6targetE0EEEvS12_ ; -- Begin function _ZN7rocprim17ROCPRIM_400000_NS6detail17trampoline_kernelINS0_13select_configILj256ELj13ELNS0_17block_load_methodE3ELS4_3ELS4_3ELNS0_20block_scan_algorithmE0ELj4294967295EEENS1_25partition_config_selectorILNS1_17partition_subalgoE4EjNS0_10empty_typeEbEEZZNS1_14partition_implILS8_4ELb0ES6_15HIP_vector_typeIjLj2EENS0_17counting_iteratorIjlEEPS9_SG_NS0_5tupleIJPjSI_NS0_16reverse_iteratorISI_EEEEENSH_IJSG_SG_SG_EEES9_SI_JZNS1_25segmented_radix_sort_implINS0_14default_configELb0EPKiPiPKlPlN2at6native12_GLOBAL__N_18offset_tEEE10hipError_tPvRmT1_PNSt15iterator_traitsIS12_E10value_typeET2_T3_PNS13_IS18_E10value_typeET4_jRbjT5_S1E_jjP12ihipStream_tbEUljE_ZNSN_ISO_Lb0ESQ_SR_ST_SU_SY_EESZ_S10_S11_S12_S16_S17_S18_S1B_S1C_jS1D_jS1E_S1E_jjS1G_bEUljE0_EEESZ_S10_S11_S18_S1C_S1E_T6_T7_T9_mT8_S1G_bDpT10_ENKUlT_T0_E_clISt17integral_constantIbLb0EES1U_EEDaS1P_S1Q_EUlS1P_E_NS1_11comp_targetILNS1_3genE2ELNS1_11target_archE906ELNS1_3gpuE6ELNS1_3repE0EEENS1_30default_config_static_selectorELNS0_4arch9wavefront6targetE0EEEvS12_
	.p2align	8
	.type	_ZN7rocprim17ROCPRIM_400000_NS6detail17trampoline_kernelINS0_13select_configILj256ELj13ELNS0_17block_load_methodE3ELS4_3ELS4_3ELNS0_20block_scan_algorithmE0ELj4294967295EEENS1_25partition_config_selectorILNS1_17partition_subalgoE4EjNS0_10empty_typeEbEEZZNS1_14partition_implILS8_4ELb0ES6_15HIP_vector_typeIjLj2EENS0_17counting_iteratorIjlEEPS9_SG_NS0_5tupleIJPjSI_NS0_16reverse_iteratorISI_EEEEENSH_IJSG_SG_SG_EEES9_SI_JZNS1_25segmented_radix_sort_implINS0_14default_configELb0EPKiPiPKlPlN2at6native12_GLOBAL__N_18offset_tEEE10hipError_tPvRmT1_PNSt15iterator_traitsIS12_E10value_typeET2_T3_PNS13_IS18_E10value_typeET4_jRbjT5_S1E_jjP12ihipStream_tbEUljE_ZNSN_ISO_Lb0ESQ_SR_ST_SU_SY_EESZ_S10_S11_S12_S16_S17_S18_S1B_S1C_jS1D_jS1E_S1E_jjS1G_bEUljE0_EEESZ_S10_S11_S18_S1C_S1E_T6_T7_T9_mT8_S1G_bDpT10_ENKUlT_T0_E_clISt17integral_constantIbLb0EES1U_EEDaS1P_S1Q_EUlS1P_E_NS1_11comp_targetILNS1_3genE2ELNS1_11target_archE906ELNS1_3gpuE6ELNS1_3repE0EEENS1_30default_config_static_selectorELNS0_4arch9wavefront6targetE0EEEvS12_,@function
_ZN7rocprim17ROCPRIM_400000_NS6detail17trampoline_kernelINS0_13select_configILj256ELj13ELNS0_17block_load_methodE3ELS4_3ELS4_3ELNS0_20block_scan_algorithmE0ELj4294967295EEENS1_25partition_config_selectorILNS1_17partition_subalgoE4EjNS0_10empty_typeEbEEZZNS1_14partition_implILS8_4ELb0ES6_15HIP_vector_typeIjLj2EENS0_17counting_iteratorIjlEEPS9_SG_NS0_5tupleIJPjSI_NS0_16reverse_iteratorISI_EEEEENSH_IJSG_SG_SG_EEES9_SI_JZNS1_25segmented_radix_sort_implINS0_14default_configELb0EPKiPiPKlPlN2at6native12_GLOBAL__N_18offset_tEEE10hipError_tPvRmT1_PNSt15iterator_traitsIS12_E10value_typeET2_T3_PNS13_IS18_E10value_typeET4_jRbjT5_S1E_jjP12ihipStream_tbEUljE_ZNSN_ISO_Lb0ESQ_SR_ST_SU_SY_EESZ_S10_S11_S12_S16_S17_S18_S1B_S1C_jS1D_jS1E_S1E_jjS1G_bEUljE0_EEESZ_S10_S11_S18_S1C_S1E_T6_T7_T9_mT8_S1G_bDpT10_ENKUlT_T0_E_clISt17integral_constantIbLb0EES1U_EEDaS1P_S1Q_EUlS1P_E_NS1_11comp_targetILNS1_3genE2ELNS1_11target_archE906ELNS1_3gpuE6ELNS1_3repE0EEENS1_30default_config_static_selectorELNS0_4arch9wavefront6targetE0EEEvS12_: ; @_ZN7rocprim17ROCPRIM_400000_NS6detail17trampoline_kernelINS0_13select_configILj256ELj13ELNS0_17block_load_methodE3ELS4_3ELS4_3ELNS0_20block_scan_algorithmE0ELj4294967295EEENS1_25partition_config_selectorILNS1_17partition_subalgoE4EjNS0_10empty_typeEbEEZZNS1_14partition_implILS8_4ELb0ES6_15HIP_vector_typeIjLj2EENS0_17counting_iteratorIjlEEPS9_SG_NS0_5tupleIJPjSI_NS0_16reverse_iteratorISI_EEEEENSH_IJSG_SG_SG_EEES9_SI_JZNS1_25segmented_radix_sort_implINS0_14default_configELb0EPKiPiPKlPlN2at6native12_GLOBAL__N_18offset_tEEE10hipError_tPvRmT1_PNSt15iterator_traitsIS12_E10value_typeET2_T3_PNS13_IS18_E10value_typeET4_jRbjT5_S1E_jjP12ihipStream_tbEUljE_ZNSN_ISO_Lb0ESQ_SR_ST_SU_SY_EESZ_S10_S11_S12_S16_S17_S18_S1B_S1C_jS1D_jS1E_S1E_jjS1G_bEUljE0_EEESZ_S10_S11_S18_S1C_S1E_T6_T7_T9_mT8_S1G_bDpT10_ENKUlT_T0_E_clISt17integral_constantIbLb0EES1U_EEDaS1P_S1Q_EUlS1P_E_NS1_11comp_targetILNS1_3genE2ELNS1_11target_archE906ELNS1_3gpuE6ELNS1_3repE0EEENS1_30default_config_static_selectorELNS0_4arch9wavefront6targetE0EEEvS12_
; %bb.0:
	.section	.rodata,"a",@progbits
	.p2align	6, 0x0
	.amdhsa_kernel _ZN7rocprim17ROCPRIM_400000_NS6detail17trampoline_kernelINS0_13select_configILj256ELj13ELNS0_17block_load_methodE3ELS4_3ELS4_3ELNS0_20block_scan_algorithmE0ELj4294967295EEENS1_25partition_config_selectorILNS1_17partition_subalgoE4EjNS0_10empty_typeEbEEZZNS1_14partition_implILS8_4ELb0ES6_15HIP_vector_typeIjLj2EENS0_17counting_iteratorIjlEEPS9_SG_NS0_5tupleIJPjSI_NS0_16reverse_iteratorISI_EEEEENSH_IJSG_SG_SG_EEES9_SI_JZNS1_25segmented_radix_sort_implINS0_14default_configELb0EPKiPiPKlPlN2at6native12_GLOBAL__N_18offset_tEEE10hipError_tPvRmT1_PNSt15iterator_traitsIS12_E10value_typeET2_T3_PNS13_IS18_E10value_typeET4_jRbjT5_S1E_jjP12ihipStream_tbEUljE_ZNSN_ISO_Lb0ESQ_SR_ST_SU_SY_EESZ_S10_S11_S12_S16_S17_S18_S1B_S1C_jS1D_jS1E_S1E_jjS1G_bEUljE0_EEESZ_S10_S11_S18_S1C_S1E_T6_T7_T9_mT8_S1G_bDpT10_ENKUlT_T0_E_clISt17integral_constantIbLb0EES1U_EEDaS1P_S1Q_EUlS1P_E_NS1_11comp_targetILNS1_3genE2ELNS1_11target_archE906ELNS1_3gpuE6ELNS1_3repE0EEENS1_30default_config_static_selectorELNS0_4arch9wavefront6targetE0EEEvS12_
		.amdhsa_group_segment_fixed_size 0
		.amdhsa_private_segment_fixed_size 0
		.amdhsa_kernarg_size 176
		.amdhsa_user_sgpr_count 6
		.amdhsa_user_sgpr_private_segment_buffer 1
		.amdhsa_user_sgpr_dispatch_ptr 0
		.amdhsa_user_sgpr_queue_ptr 0
		.amdhsa_user_sgpr_kernarg_segment_ptr 1
		.amdhsa_user_sgpr_dispatch_id 0
		.amdhsa_user_sgpr_flat_scratch_init 0
		.amdhsa_user_sgpr_private_segment_size 0
		.amdhsa_wavefront_size32 1
		.amdhsa_uses_dynamic_stack 0
		.amdhsa_system_sgpr_private_segment_wavefront_offset 0
		.amdhsa_system_sgpr_workgroup_id_x 1
		.amdhsa_system_sgpr_workgroup_id_y 0
		.amdhsa_system_sgpr_workgroup_id_z 0
		.amdhsa_system_sgpr_workgroup_info 0
		.amdhsa_system_vgpr_workitem_id 0
		.amdhsa_next_free_vgpr 1
		.amdhsa_next_free_sgpr 1
		.amdhsa_reserve_vcc 0
		.amdhsa_reserve_flat_scratch 0
		.amdhsa_float_round_mode_32 0
		.amdhsa_float_round_mode_16_64 0
		.amdhsa_float_denorm_mode_32 3
		.amdhsa_float_denorm_mode_16_64 3
		.amdhsa_dx10_clamp 1
		.amdhsa_ieee_mode 1
		.amdhsa_fp16_overflow 0
		.amdhsa_workgroup_processor_mode 1
		.amdhsa_memory_ordered 1
		.amdhsa_forward_progress 1
		.amdhsa_shared_vgpr_count 0
		.amdhsa_exception_fp_ieee_invalid_op 0
		.amdhsa_exception_fp_denorm_src 0
		.amdhsa_exception_fp_ieee_div_zero 0
		.amdhsa_exception_fp_ieee_overflow 0
		.amdhsa_exception_fp_ieee_underflow 0
		.amdhsa_exception_fp_ieee_inexact 0
		.amdhsa_exception_int_div_zero 0
	.end_amdhsa_kernel
	.section	.text._ZN7rocprim17ROCPRIM_400000_NS6detail17trampoline_kernelINS0_13select_configILj256ELj13ELNS0_17block_load_methodE3ELS4_3ELS4_3ELNS0_20block_scan_algorithmE0ELj4294967295EEENS1_25partition_config_selectorILNS1_17partition_subalgoE4EjNS0_10empty_typeEbEEZZNS1_14partition_implILS8_4ELb0ES6_15HIP_vector_typeIjLj2EENS0_17counting_iteratorIjlEEPS9_SG_NS0_5tupleIJPjSI_NS0_16reverse_iteratorISI_EEEEENSH_IJSG_SG_SG_EEES9_SI_JZNS1_25segmented_radix_sort_implINS0_14default_configELb0EPKiPiPKlPlN2at6native12_GLOBAL__N_18offset_tEEE10hipError_tPvRmT1_PNSt15iterator_traitsIS12_E10value_typeET2_T3_PNS13_IS18_E10value_typeET4_jRbjT5_S1E_jjP12ihipStream_tbEUljE_ZNSN_ISO_Lb0ESQ_SR_ST_SU_SY_EESZ_S10_S11_S12_S16_S17_S18_S1B_S1C_jS1D_jS1E_S1E_jjS1G_bEUljE0_EEESZ_S10_S11_S18_S1C_S1E_T6_T7_T9_mT8_S1G_bDpT10_ENKUlT_T0_E_clISt17integral_constantIbLb0EES1U_EEDaS1P_S1Q_EUlS1P_E_NS1_11comp_targetILNS1_3genE2ELNS1_11target_archE906ELNS1_3gpuE6ELNS1_3repE0EEENS1_30default_config_static_selectorELNS0_4arch9wavefront6targetE0EEEvS12_,"axG",@progbits,_ZN7rocprim17ROCPRIM_400000_NS6detail17trampoline_kernelINS0_13select_configILj256ELj13ELNS0_17block_load_methodE3ELS4_3ELS4_3ELNS0_20block_scan_algorithmE0ELj4294967295EEENS1_25partition_config_selectorILNS1_17partition_subalgoE4EjNS0_10empty_typeEbEEZZNS1_14partition_implILS8_4ELb0ES6_15HIP_vector_typeIjLj2EENS0_17counting_iteratorIjlEEPS9_SG_NS0_5tupleIJPjSI_NS0_16reverse_iteratorISI_EEEEENSH_IJSG_SG_SG_EEES9_SI_JZNS1_25segmented_radix_sort_implINS0_14default_configELb0EPKiPiPKlPlN2at6native12_GLOBAL__N_18offset_tEEE10hipError_tPvRmT1_PNSt15iterator_traitsIS12_E10value_typeET2_T3_PNS13_IS18_E10value_typeET4_jRbjT5_S1E_jjP12ihipStream_tbEUljE_ZNSN_ISO_Lb0ESQ_SR_ST_SU_SY_EESZ_S10_S11_S12_S16_S17_S18_S1B_S1C_jS1D_jS1E_S1E_jjS1G_bEUljE0_EEESZ_S10_S11_S18_S1C_S1E_T6_T7_T9_mT8_S1G_bDpT10_ENKUlT_T0_E_clISt17integral_constantIbLb0EES1U_EEDaS1P_S1Q_EUlS1P_E_NS1_11comp_targetILNS1_3genE2ELNS1_11target_archE906ELNS1_3gpuE6ELNS1_3repE0EEENS1_30default_config_static_selectorELNS0_4arch9wavefront6targetE0EEEvS12_,comdat
.Lfunc_end535:
	.size	_ZN7rocprim17ROCPRIM_400000_NS6detail17trampoline_kernelINS0_13select_configILj256ELj13ELNS0_17block_load_methodE3ELS4_3ELS4_3ELNS0_20block_scan_algorithmE0ELj4294967295EEENS1_25partition_config_selectorILNS1_17partition_subalgoE4EjNS0_10empty_typeEbEEZZNS1_14partition_implILS8_4ELb0ES6_15HIP_vector_typeIjLj2EENS0_17counting_iteratorIjlEEPS9_SG_NS0_5tupleIJPjSI_NS0_16reverse_iteratorISI_EEEEENSH_IJSG_SG_SG_EEES9_SI_JZNS1_25segmented_radix_sort_implINS0_14default_configELb0EPKiPiPKlPlN2at6native12_GLOBAL__N_18offset_tEEE10hipError_tPvRmT1_PNSt15iterator_traitsIS12_E10value_typeET2_T3_PNS13_IS18_E10value_typeET4_jRbjT5_S1E_jjP12ihipStream_tbEUljE_ZNSN_ISO_Lb0ESQ_SR_ST_SU_SY_EESZ_S10_S11_S12_S16_S17_S18_S1B_S1C_jS1D_jS1E_S1E_jjS1G_bEUljE0_EEESZ_S10_S11_S18_S1C_S1E_T6_T7_T9_mT8_S1G_bDpT10_ENKUlT_T0_E_clISt17integral_constantIbLb0EES1U_EEDaS1P_S1Q_EUlS1P_E_NS1_11comp_targetILNS1_3genE2ELNS1_11target_archE906ELNS1_3gpuE6ELNS1_3repE0EEENS1_30default_config_static_selectorELNS0_4arch9wavefront6targetE0EEEvS12_, .Lfunc_end535-_ZN7rocprim17ROCPRIM_400000_NS6detail17trampoline_kernelINS0_13select_configILj256ELj13ELNS0_17block_load_methodE3ELS4_3ELS4_3ELNS0_20block_scan_algorithmE0ELj4294967295EEENS1_25partition_config_selectorILNS1_17partition_subalgoE4EjNS0_10empty_typeEbEEZZNS1_14partition_implILS8_4ELb0ES6_15HIP_vector_typeIjLj2EENS0_17counting_iteratorIjlEEPS9_SG_NS0_5tupleIJPjSI_NS0_16reverse_iteratorISI_EEEEENSH_IJSG_SG_SG_EEES9_SI_JZNS1_25segmented_radix_sort_implINS0_14default_configELb0EPKiPiPKlPlN2at6native12_GLOBAL__N_18offset_tEEE10hipError_tPvRmT1_PNSt15iterator_traitsIS12_E10value_typeET2_T3_PNS13_IS18_E10value_typeET4_jRbjT5_S1E_jjP12ihipStream_tbEUljE_ZNSN_ISO_Lb0ESQ_SR_ST_SU_SY_EESZ_S10_S11_S12_S16_S17_S18_S1B_S1C_jS1D_jS1E_S1E_jjS1G_bEUljE0_EEESZ_S10_S11_S18_S1C_S1E_T6_T7_T9_mT8_S1G_bDpT10_ENKUlT_T0_E_clISt17integral_constantIbLb0EES1U_EEDaS1P_S1Q_EUlS1P_E_NS1_11comp_targetILNS1_3genE2ELNS1_11target_archE906ELNS1_3gpuE6ELNS1_3repE0EEENS1_30default_config_static_selectorELNS0_4arch9wavefront6targetE0EEEvS12_
                                        ; -- End function
	.set _ZN7rocprim17ROCPRIM_400000_NS6detail17trampoline_kernelINS0_13select_configILj256ELj13ELNS0_17block_load_methodE3ELS4_3ELS4_3ELNS0_20block_scan_algorithmE0ELj4294967295EEENS1_25partition_config_selectorILNS1_17partition_subalgoE4EjNS0_10empty_typeEbEEZZNS1_14partition_implILS8_4ELb0ES6_15HIP_vector_typeIjLj2EENS0_17counting_iteratorIjlEEPS9_SG_NS0_5tupleIJPjSI_NS0_16reverse_iteratorISI_EEEEENSH_IJSG_SG_SG_EEES9_SI_JZNS1_25segmented_radix_sort_implINS0_14default_configELb0EPKiPiPKlPlN2at6native12_GLOBAL__N_18offset_tEEE10hipError_tPvRmT1_PNSt15iterator_traitsIS12_E10value_typeET2_T3_PNS13_IS18_E10value_typeET4_jRbjT5_S1E_jjP12ihipStream_tbEUljE_ZNSN_ISO_Lb0ESQ_SR_ST_SU_SY_EESZ_S10_S11_S12_S16_S17_S18_S1B_S1C_jS1D_jS1E_S1E_jjS1G_bEUljE0_EEESZ_S10_S11_S18_S1C_S1E_T6_T7_T9_mT8_S1G_bDpT10_ENKUlT_T0_E_clISt17integral_constantIbLb0EES1U_EEDaS1P_S1Q_EUlS1P_E_NS1_11comp_targetILNS1_3genE2ELNS1_11target_archE906ELNS1_3gpuE6ELNS1_3repE0EEENS1_30default_config_static_selectorELNS0_4arch9wavefront6targetE0EEEvS12_.num_vgpr, 0
	.set _ZN7rocprim17ROCPRIM_400000_NS6detail17trampoline_kernelINS0_13select_configILj256ELj13ELNS0_17block_load_methodE3ELS4_3ELS4_3ELNS0_20block_scan_algorithmE0ELj4294967295EEENS1_25partition_config_selectorILNS1_17partition_subalgoE4EjNS0_10empty_typeEbEEZZNS1_14partition_implILS8_4ELb0ES6_15HIP_vector_typeIjLj2EENS0_17counting_iteratorIjlEEPS9_SG_NS0_5tupleIJPjSI_NS0_16reverse_iteratorISI_EEEEENSH_IJSG_SG_SG_EEES9_SI_JZNS1_25segmented_radix_sort_implINS0_14default_configELb0EPKiPiPKlPlN2at6native12_GLOBAL__N_18offset_tEEE10hipError_tPvRmT1_PNSt15iterator_traitsIS12_E10value_typeET2_T3_PNS13_IS18_E10value_typeET4_jRbjT5_S1E_jjP12ihipStream_tbEUljE_ZNSN_ISO_Lb0ESQ_SR_ST_SU_SY_EESZ_S10_S11_S12_S16_S17_S18_S1B_S1C_jS1D_jS1E_S1E_jjS1G_bEUljE0_EEESZ_S10_S11_S18_S1C_S1E_T6_T7_T9_mT8_S1G_bDpT10_ENKUlT_T0_E_clISt17integral_constantIbLb0EES1U_EEDaS1P_S1Q_EUlS1P_E_NS1_11comp_targetILNS1_3genE2ELNS1_11target_archE906ELNS1_3gpuE6ELNS1_3repE0EEENS1_30default_config_static_selectorELNS0_4arch9wavefront6targetE0EEEvS12_.num_agpr, 0
	.set _ZN7rocprim17ROCPRIM_400000_NS6detail17trampoline_kernelINS0_13select_configILj256ELj13ELNS0_17block_load_methodE3ELS4_3ELS4_3ELNS0_20block_scan_algorithmE0ELj4294967295EEENS1_25partition_config_selectorILNS1_17partition_subalgoE4EjNS0_10empty_typeEbEEZZNS1_14partition_implILS8_4ELb0ES6_15HIP_vector_typeIjLj2EENS0_17counting_iteratorIjlEEPS9_SG_NS0_5tupleIJPjSI_NS0_16reverse_iteratorISI_EEEEENSH_IJSG_SG_SG_EEES9_SI_JZNS1_25segmented_radix_sort_implINS0_14default_configELb0EPKiPiPKlPlN2at6native12_GLOBAL__N_18offset_tEEE10hipError_tPvRmT1_PNSt15iterator_traitsIS12_E10value_typeET2_T3_PNS13_IS18_E10value_typeET4_jRbjT5_S1E_jjP12ihipStream_tbEUljE_ZNSN_ISO_Lb0ESQ_SR_ST_SU_SY_EESZ_S10_S11_S12_S16_S17_S18_S1B_S1C_jS1D_jS1E_S1E_jjS1G_bEUljE0_EEESZ_S10_S11_S18_S1C_S1E_T6_T7_T9_mT8_S1G_bDpT10_ENKUlT_T0_E_clISt17integral_constantIbLb0EES1U_EEDaS1P_S1Q_EUlS1P_E_NS1_11comp_targetILNS1_3genE2ELNS1_11target_archE906ELNS1_3gpuE6ELNS1_3repE0EEENS1_30default_config_static_selectorELNS0_4arch9wavefront6targetE0EEEvS12_.numbered_sgpr, 0
	.set _ZN7rocprim17ROCPRIM_400000_NS6detail17trampoline_kernelINS0_13select_configILj256ELj13ELNS0_17block_load_methodE3ELS4_3ELS4_3ELNS0_20block_scan_algorithmE0ELj4294967295EEENS1_25partition_config_selectorILNS1_17partition_subalgoE4EjNS0_10empty_typeEbEEZZNS1_14partition_implILS8_4ELb0ES6_15HIP_vector_typeIjLj2EENS0_17counting_iteratorIjlEEPS9_SG_NS0_5tupleIJPjSI_NS0_16reverse_iteratorISI_EEEEENSH_IJSG_SG_SG_EEES9_SI_JZNS1_25segmented_radix_sort_implINS0_14default_configELb0EPKiPiPKlPlN2at6native12_GLOBAL__N_18offset_tEEE10hipError_tPvRmT1_PNSt15iterator_traitsIS12_E10value_typeET2_T3_PNS13_IS18_E10value_typeET4_jRbjT5_S1E_jjP12ihipStream_tbEUljE_ZNSN_ISO_Lb0ESQ_SR_ST_SU_SY_EESZ_S10_S11_S12_S16_S17_S18_S1B_S1C_jS1D_jS1E_S1E_jjS1G_bEUljE0_EEESZ_S10_S11_S18_S1C_S1E_T6_T7_T9_mT8_S1G_bDpT10_ENKUlT_T0_E_clISt17integral_constantIbLb0EES1U_EEDaS1P_S1Q_EUlS1P_E_NS1_11comp_targetILNS1_3genE2ELNS1_11target_archE906ELNS1_3gpuE6ELNS1_3repE0EEENS1_30default_config_static_selectorELNS0_4arch9wavefront6targetE0EEEvS12_.num_named_barrier, 0
	.set _ZN7rocprim17ROCPRIM_400000_NS6detail17trampoline_kernelINS0_13select_configILj256ELj13ELNS0_17block_load_methodE3ELS4_3ELS4_3ELNS0_20block_scan_algorithmE0ELj4294967295EEENS1_25partition_config_selectorILNS1_17partition_subalgoE4EjNS0_10empty_typeEbEEZZNS1_14partition_implILS8_4ELb0ES6_15HIP_vector_typeIjLj2EENS0_17counting_iteratorIjlEEPS9_SG_NS0_5tupleIJPjSI_NS0_16reverse_iteratorISI_EEEEENSH_IJSG_SG_SG_EEES9_SI_JZNS1_25segmented_radix_sort_implINS0_14default_configELb0EPKiPiPKlPlN2at6native12_GLOBAL__N_18offset_tEEE10hipError_tPvRmT1_PNSt15iterator_traitsIS12_E10value_typeET2_T3_PNS13_IS18_E10value_typeET4_jRbjT5_S1E_jjP12ihipStream_tbEUljE_ZNSN_ISO_Lb0ESQ_SR_ST_SU_SY_EESZ_S10_S11_S12_S16_S17_S18_S1B_S1C_jS1D_jS1E_S1E_jjS1G_bEUljE0_EEESZ_S10_S11_S18_S1C_S1E_T6_T7_T9_mT8_S1G_bDpT10_ENKUlT_T0_E_clISt17integral_constantIbLb0EES1U_EEDaS1P_S1Q_EUlS1P_E_NS1_11comp_targetILNS1_3genE2ELNS1_11target_archE906ELNS1_3gpuE6ELNS1_3repE0EEENS1_30default_config_static_selectorELNS0_4arch9wavefront6targetE0EEEvS12_.private_seg_size, 0
	.set _ZN7rocprim17ROCPRIM_400000_NS6detail17trampoline_kernelINS0_13select_configILj256ELj13ELNS0_17block_load_methodE3ELS4_3ELS4_3ELNS0_20block_scan_algorithmE0ELj4294967295EEENS1_25partition_config_selectorILNS1_17partition_subalgoE4EjNS0_10empty_typeEbEEZZNS1_14partition_implILS8_4ELb0ES6_15HIP_vector_typeIjLj2EENS0_17counting_iteratorIjlEEPS9_SG_NS0_5tupleIJPjSI_NS0_16reverse_iteratorISI_EEEEENSH_IJSG_SG_SG_EEES9_SI_JZNS1_25segmented_radix_sort_implINS0_14default_configELb0EPKiPiPKlPlN2at6native12_GLOBAL__N_18offset_tEEE10hipError_tPvRmT1_PNSt15iterator_traitsIS12_E10value_typeET2_T3_PNS13_IS18_E10value_typeET4_jRbjT5_S1E_jjP12ihipStream_tbEUljE_ZNSN_ISO_Lb0ESQ_SR_ST_SU_SY_EESZ_S10_S11_S12_S16_S17_S18_S1B_S1C_jS1D_jS1E_S1E_jjS1G_bEUljE0_EEESZ_S10_S11_S18_S1C_S1E_T6_T7_T9_mT8_S1G_bDpT10_ENKUlT_T0_E_clISt17integral_constantIbLb0EES1U_EEDaS1P_S1Q_EUlS1P_E_NS1_11comp_targetILNS1_3genE2ELNS1_11target_archE906ELNS1_3gpuE6ELNS1_3repE0EEENS1_30default_config_static_selectorELNS0_4arch9wavefront6targetE0EEEvS12_.uses_vcc, 0
	.set _ZN7rocprim17ROCPRIM_400000_NS6detail17trampoline_kernelINS0_13select_configILj256ELj13ELNS0_17block_load_methodE3ELS4_3ELS4_3ELNS0_20block_scan_algorithmE0ELj4294967295EEENS1_25partition_config_selectorILNS1_17partition_subalgoE4EjNS0_10empty_typeEbEEZZNS1_14partition_implILS8_4ELb0ES6_15HIP_vector_typeIjLj2EENS0_17counting_iteratorIjlEEPS9_SG_NS0_5tupleIJPjSI_NS0_16reverse_iteratorISI_EEEEENSH_IJSG_SG_SG_EEES9_SI_JZNS1_25segmented_radix_sort_implINS0_14default_configELb0EPKiPiPKlPlN2at6native12_GLOBAL__N_18offset_tEEE10hipError_tPvRmT1_PNSt15iterator_traitsIS12_E10value_typeET2_T3_PNS13_IS18_E10value_typeET4_jRbjT5_S1E_jjP12ihipStream_tbEUljE_ZNSN_ISO_Lb0ESQ_SR_ST_SU_SY_EESZ_S10_S11_S12_S16_S17_S18_S1B_S1C_jS1D_jS1E_S1E_jjS1G_bEUljE0_EEESZ_S10_S11_S18_S1C_S1E_T6_T7_T9_mT8_S1G_bDpT10_ENKUlT_T0_E_clISt17integral_constantIbLb0EES1U_EEDaS1P_S1Q_EUlS1P_E_NS1_11comp_targetILNS1_3genE2ELNS1_11target_archE906ELNS1_3gpuE6ELNS1_3repE0EEENS1_30default_config_static_selectorELNS0_4arch9wavefront6targetE0EEEvS12_.uses_flat_scratch, 0
	.set _ZN7rocprim17ROCPRIM_400000_NS6detail17trampoline_kernelINS0_13select_configILj256ELj13ELNS0_17block_load_methodE3ELS4_3ELS4_3ELNS0_20block_scan_algorithmE0ELj4294967295EEENS1_25partition_config_selectorILNS1_17partition_subalgoE4EjNS0_10empty_typeEbEEZZNS1_14partition_implILS8_4ELb0ES6_15HIP_vector_typeIjLj2EENS0_17counting_iteratorIjlEEPS9_SG_NS0_5tupleIJPjSI_NS0_16reverse_iteratorISI_EEEEENSH_IJSG_SG_SG_EEES9_SI_JZNS1_25segmented_radix_sort_implINS0_14default_configELb0EPKiPiPKlPlN2at6native12_GLOBAL__N_18offset_tEEE10hipError_tPvRmT1_PNSt15iterator_traitsIS12_E10value_typeET2_T3_PNS13_IS18_E10value_typeET4_jRbjT5_S1E_jjP12ihipStream_tbEUljE_ZNSN_ISO_Lb0ESQ_SR_ST_SU_SY_EESZ_S10_S11_S12_S16_S17_S18_S1B_S1C_jS1D_jS1E_S1E_jjS1G_bEUljE0_EEESZ_S10_S11_S18_S1C_S1E_T6_T7_T9_mT8_S1G_bDpT10_ENKUlT_T0_E_clISt17integral_constantIbLb0EES1U_EEDaS1P_S1Q_EUlS1P_E_NS1_11comp_targetILNS1_3genE2ELNS1_11target_archE906ELNS1_3gpuE6ELNS1_3repE0EEENS1_30default_config_static_selectorELNS0_4arch9wavefront6targetE0EEEvS12_.has_dyn_sized_stack, 0
	.set _ZN7rocprim17ROCPRIM_400000_NS6detail17trampoline_kernelINS0_13select_configILj256ELj13ELNS0_17block_load_methodE3ELS4_3ELS4_3ELNS0_20block_scan_algorithmE0ELj4294967295EEENS1_25partition_config_selectorILNS1_17partition_subalgoE4EjNS0_10empty_typeEbEEZZNS1_14partition_implILS8_4ELb0ES6_15HIP_vector_typeIjLj2EENS0_17counting_iteratorIjlEEPS9_SG_NS0_5tupleIJPjSI_NS0_16reverse_iteratorISI_EEEEENSH_IJSG_SG_SG_EEES9_SI_JZNS1_25segmented_radix_sort_implINS0_14default_configELb0EPKiPiPKlPlN2at6native12_GLOBAL__N_18offset_tEEE10hipError_tPvRmT1_PNSt15iterator_traitsIS12_E10value_typeET2_T3_PNS13_IS18_E10value_typeET4_jRbjT5_S1E_jjP12ihipStream_tbEUljE_ZNSN_ISO_Lb0ESQ_SR_ST_SU_SY_EESZ_S10_S11_S12_S16_S17_S18_S1B_S1C_jS1D_jS1E_S1E_jjS1G_bEUljE0_EEESZ_S10_S11_S18_S1C_S1E_T6_T7_T9_mT8_S1G_bDpT10_ENKUlT_T0_E_clISt17integral_constantIbLb0EES1U_EEDaS1P_S1Q_EUlS1P_E_NS1_11comp_targetILNS1_3genE2ELNS1_11target_archE906ELNS1_3gpuE6ELNS1_3repE0EEENS1_30default_config_static_selectorELNS0_4arch9wavefront6targetE0EEEvS12_.has_recursion, 0
	.set _ZN7rocprim17ROCPRIM_400000_NS6detail17trampoline_kernelINS0_13select_configILj256ELj13ELNS0_17block_load_methodE3ELS4_3ELS4_3ELNS0_20block_scan_algorithmE0ELj4294967295EEENS1_25partition_config_selectorILNS1_17partition_subalgoE4EjNS0_10empty_typeEbEEZZNS1_14partition_implILS8_4ELb0ES6_15HIP_vector_typeIjLj2EENS0_17counting_iteratorIjlEEPS9_SG_NS0_5tupleIJPjSI_NS0_16reverse_iteratorISI_EEEEENSH_IJSG_SG_SG_EEES9_SI_JZNS1_25segmented_radix_sort_implINS0_14default_configELb0EPKiPiPKlPlN2at6native12_GLOBAL__N_18offset_tEEE10hipError_tPvRmT1_PNSt15iterator_traitsIS12_E10value_typeET2_T3_PNS13_IS18_E10value_typeET4_jRbjT5_S1E_jjP12ihipStream_tbEUljE_ZNSN_ISO_Lb0ESQ_SR_ST_SU_SY_EESZ_S10_S11_S12_S16_S17_S18_S1B_S1C_jS1D_jS1E_S1E_jjS1G_bEUljE0_EEESZ_S10_S11_S18_S1C_S1E_T6_T7_T9_mT8_S1G_bDpT10_ENKUlT_T0_E_clISt17integral_constantIbLb0EES1U_EEDaS1P_S1Q_EUlS1P_E_NS1_11comp_targetILNS1_3genE2ELNS1_11target_archE906ELNS1_3gpuE6ELNS1_3repE0EEENS1_30default_config_static_selectorELNS0_4arch9wavefront6targetE0EEEvS12_.has_indirect_call, 0
	.section	.AMDGPU.csdata,"",@progbits
; Kernel info:
; codeLenInByte = 0
; TotalNumSgprs: 0
; NumVgprs: 0
; ScratchSize: 0
; MemoryBound: 0
; FloatMode: 240
; IeeeMode: 1
; LDSByteSize: 0 bytes/workgroup (compile time only)
; SGPRBlocks: 0
; VGPRBlocks: 0
; NumSGPRsForWavesPerEU: 1
; NumVGPRsForWavesPerEU: 1
; Occupancy: 16
; WaveLimiterHint : 0
; COMPUTE_PGM_RSRC2:SCRATCH_EN: 0
; COMPUTE_PGM_RSRC2:USER_SGPR: 6
; COMPUTE_PGM_RSRC2:TRAP_HANDLER: 0
; COMPUTE_PGM_RSRC2:TGID_X_EN: 1
; COMPUTE_PGM_RSRC2:TGID_Y_EN: 0
; COMPUTE_PGM_RSRC2:TGID_Z_EN: 0
; COMPUTE_PGM_RSRC2:TIDIG_COMP_CNT: 0
	.section	.text._ZN7rocprim17ROCPRIM_400000_NS6detail17trampoline_kernelINS0_13select_configILj256ELj13ELNS0_17block_load_methodE3ELS4_3ELS4_3ELNS0_20block_scan_algorithmE0ELj4294967295EEENS1_25partition_config_selectorILNS1_17partition_subalgoE4EjNS0_10empty_typeEbEEZZNS1_14partition_implILS8_4ELb0ES6_15HIP_vector_typeIjLj2EENS0_17counting_iteratorIjlEEPS9_SG_NS0_5tupleIJPjSI_NS0_16reverse_iteratorISI_EEEEENSH_IJSG_SG_SG_EEES9_SI_JZNS1_25segmented_radix_sort_implINS0_14default_configELb0EPKiPiPKlPlN2at6native12_GLOBAL__N_18offset_tEEE10hipError_tPvRmT1_PNSt15iterator_traitsIS12_E10value_typeET2_T3_PNS13_IS18_E10value_typeET4_jRbjT5_S1E_jjP12ihipStream_tbEUljE_ZNSN_ISO_Lb0ESQ_SR_ST_SU_SY_EESZ_S10_S11_S12_S16_S17_S18_S1B_S1C_jS1D_jS1E_S1E_jjS1G_bEUljE0_EEESZ_S10_S11_S18_S1C_S1E_T6_T7_T9_mT8_S1G_bDpT10_ENKUlT_T0_E_clISt17integral_constantIbLb0EES1U_EEDaS1P_S1Q_EUlS1P_E_NS1_11comp_targetILNS1_3genE10ELNS1_11target_archE1200ELNS1_3gpuE4ELNS1_3repE0EEENS1_30default_config_static_selectorELNS0_4arch9wavefront6targetE0EEEvS12_,"axG",@progbits,_ZN7rocprim17ROCPRIM_400000_NS6detail17trampoline_kernelINS0_13select_configILj256ELj13ELNS0_17block_load_methodE3ELS4_3ELS4_3ELNS0_20block_scan_algorithmE0ELj4294967295EEENS1_25partition_config_selectorILNS1_17partition_subalgoE4EjNS0_10empty_typeEbEEZZNS1_14partition_implILS8_4ELb0ES6_15HIP_vector_typeIjLj2EENS0_17counting_iteratorIjlEEPS9_SG_NS0_5tupleIJPjSI_NS0_16reverse_iteratorISI_EEEEENSH_IJSG_SG_SG_EEES9_SI_JZNS1_25segmented_radix_sort_implINS0_14default_configELb0EPKiPiPKlPlN2at6native12_GLOBAL__N_18offset_tEEE10hipError_tPvRmT1_PNSt15iterator_traitsIS12_E10value_typeET2_T3_PNS13_IS18_E10value_typeET4_jRbjT5_S1E_jjP12ihipStream_tbEUljE_ZNSN_ISO_Lb0ESQ_SR_ST_SU_SY_EESZ_S10_S11_S12_S16_S17_S18_S1B_S1C_jS1D_jS1E_S1E_jjS1G_bEUljE0_EEESZ_S10_S11_S18_S1C_S1E_T6_T7_T9_mT8_S1G_bDpT10_ENKUlT_T0_E_clISt17integral_constantIbLb0EES1U_EEDaS1P_S1Q_EUlS1P_E_NS1_11comp_targetILNS1_3genE10ELNS1_11target_archE1200ELNS1_3gpuE4ELNS1_3repE0EEENS1_30default_config_static_selectorELNS0_4arch9wavefront6targetE0EEEvS12_,comdat
	.globl	_ZN7rocprim17ROCPRIM_400000_NS6detail17trampoline_kernelINS0_13select_configILj256ELj13ELNS0_17block_load_methodE3ELS4_3ELS4_3ELNS0_20block_scan_algorithmE0ELj4294967295EEENS1_25partition_config_selectorILNS1_17partition_subalgoE4EjNS0_10empty_typeEbEEZZNS1_14partition_implILS8_4ELb0ES6_15HIP_vector_typeIjLj2EENS0_17counting_iteratorIjlEEPS9_SG_NS0_5tupleIJPjSI_NS0_16reverse_iteratorISI_EEEEENSH_IJSG_SG_SG_EEES9_SI_JZNS1_25segmented_radix_sort_implINS0_14default_configELb0EPKiPiPKlPlN2at6native12_GLOBAL__N_18offset_tEEE10hipError_tPvRmT1_PNSt15iterator_traitsIS12_E10value_typeET2_T3_PNS13_IS18_E10value_typeET4_jRbjT5_S1E_jjP12ihipStream_tbEUljE_ZNSN_ISO_Lb0ESQ_SR_ST_SU_SY_EESZ_S10_S11_S12_S16_S17_S18_S1B_S1C_jS1D_jS1E_S1E_jjS1G_bEUljE0_EEESZ_S10_S11_S18_S1C_S1E_T6_T7_T9_mT8_S1G_bDpT10_ENKUlT_T0_E_clISt17integral_constantIbLb0EES1U_EEDaS1P_S1Q_EUlS1P_E_NS1_11comp_targetILNS1_3genE10ELNS1_11target_archE1200ELNS1_3gpuE4ELNS1_3repE0EEENS1_30default_config_static_selectorELNS0_4arch9wavefront6targetE0EEEvS12_ ; -- Begin function _ZN7rocprim17ROCPRIM_400000_NS6detail17trampoline_kernelINS0_13select_configILj256ELj13ELNS0_17block_load_methodE3ELS4_3ELS4_3ELNS0_20block_scan_algorithmE0ELj4294967295EEENS1_25partition_config_selectorILNS1_17partition_subalgoE4EjNS0_10empty_typeEbEEZZNS1_14partition_implILS8_4ELb0ES6_15HIP_vector_typeIjLj2EENS0_17counting_iteratorIjlEEPS9_SG_NS0_5tupleIJPjSI_NS0_16reverse_iteratorISI_EEEEENSH_IJSG_SG_SG_EEES9_SI_JZNS1_25segmented_radix_sort_implINS0_14default_configELb0EPKiPiPKlPlN2at6native12_GLOBAL__N_18offset_tEEE10hipError_tPvRmT1_PNSt15iterator_traitsIS12_E10value_typeET2_T3_PNS13_IS18_E10value_typeET4_jRbjT5_S1E_jjP12ihipStream_tbEUljE_ZNSN_ISO_Lb0ESQ_SR_ST_SU_SY_EESZ_S10_S11_S12_S16_S17_S18_S1B_S1C_jS1D_jS1E_S1E_jjS1G_bEUljE0_EEESZ_S10_S11_S18_S1C_S1E_T6_T7_T9_mT8_S1G_bDpT10_ENKUlT_T0_E_clISt17integral_constantIbLb0EES1U_EEDaS1P_S1Q_EUlS1P_E_NS1_11comp_targetILNS1_3genE10ELNS1_11target_archE1200ELNS1_3gpuE4ELNS1_3repE0EEENS1_30default_config_static_selectorELNS0_4arch9wavefront6targetE0EEEvS12_
	.p2align	8
	.type	_ZN7rocprim17ROCPRIM_400000_NS6detail17trampoline_kernelINS0_13select_configILj256ELj13ELNS0_17block_load_methodE3ELS4_3ELS4_3ELNS0_20block_scan_algorithmE0ELj4294967295EEENS1_25partition_config_selectorILNS1_17partition_subalgoE4EjNS0_10empty_typeEbEEZZNS1_14partition_implILS8_4ELb0ES6_15HIP_vector_typeIjLj2EENS0_17counting_iteratorIjlEEPS9_SG_NS0_5tupleIJPjSI_NS0_16reverse_iteratorISI_EEEEENSH_IJSG_SG_SG_EEES9_SI_JZNS1_25segmented_radix_sort_implINS0_14default_configELb0EPKiPiPKlPlN2at6native12_GLOBAL__N_18offset_tEEE10hipError_tPvRmT1_PNSt15iterator_traitsIS12_E10value_typeET2_T3_PNS13_IS18_E10value_typeET4_jRbjT5_S1E_jjP12ihipStream_tbEUljE_ZNSN_ISO_Lb0ESQ_SR_ST_SU_SY_EESZ_S10_S11_S12_S16_S17_S18_S1B_S1C_jS1D_jS1E_S1E_jjS1G_bEUljE0_EEESZ_S10_S11_S18_S1C_S1E_T6_T7_T9_mT8_S1G_bDpT10_ENKUlT_T0_E_clISt17integral_constantIbLb0EES1U_EEDaS1P_S1Q_EUlS1P_E_NS1_11comp_targetILNS1_3genE10ELNS1_11target_archE1200ELNS1_3gpuE4ELNS1_3repE0EEENS1_30default_config_static_selectorELNS0_4arch9wavefront6targetE0EEEvS12_,@function
_ZN7rocprim17ROCPRIM_400000_NS6detail17trampoline_kernelINS0_13select_configILj256ELj13ELNS0_17block_load_methodE3ELS4_3ELS4_3ELNS0_20block_scan_algorithmE0ELj4294967295EEENS1_25partition_config_selectorILNS1_17partition_subalgoE4EjNS0_10empty_typeEbEEZZNS1_14partition_implILS8_4ELb0ES6_15HIP_vector_typeIjLj2EENS0_17counting_iteratorIjlEEPS9_SG_NS0_5tupleIJPjSI_NS0_16reverse_iteratorISI_EEEEENSH_IJSG_SG_SG_EEES9_SI_JZNS1_25segmented_radix_sort_implINS0_14default_configELb0EPKiPiPKlPlN2at6native12_GLOBAL__N_18offset_tEEE10hipError_tPvRmT1_PNSt15iterator_traitsIS12_E10value_typeET2_T3_PNS13_IS18_E10value_typeET4_jRbjT5_S1E_jjP12ihipStream_tbEUljE_ZNSN_ISO_Lb0ESQ_SR_ST_SU_SY_EESZ_S10_S11_S12_S16_S17_S18_S1B_S1C_jS1D_jS1E_S1E_jjS1G_bEUljE0_EEESZ_S10_S11_S18_S1C_S1E_T6_T7_T9_mT8_S1G_bDpT10_ENKUlT_T0_E_clISt17integral_constantIbLb0EES1U_EEDaS1P_S1Q_EUlS1P_E_NS1_11comp_targetILNS1_3genE10ELNS1_11target_archE1200ELNS1_3gpuE4ELNS1_3repE0EEENS1_30default_config_static_selectorELNS0_4arch9wavefront6targetE0EEEvS12_: ; @_ZN7rocprim17ROCPRIM_400000_NS6detail17trampoline_kernelINS0_13select_configILj256ELj13ELNS0_17block_load_methodE3ELS4_3ELS4_3ELNS0_20block_scan_algorithmE0ELj4294967295EEENS1_25partition_config_selectorILNS1_17partition_subalgoE4EjNS0_10empty_typeEbEEZZNS1_14partition_implILS8_4ELb0ES6_15HIP_vector_typeIjLj2EENS0_17counting_iteratorIjlEEPS9_SG_NS0_5tupleIJPjSI_NS0_16reverse_iteratorISI_EEEEENSH_IJSG_SG_SG_EEES9_SI_JZNS1_25segmented_radix_sort_implINS0_14default_configELb0EPKiPiPKlPlN2at6native12_GLOBAL__N_18offset_tEEE10hipError_tPvRmT1_PNSt15iterator_traitsIS12_E10value_typeET2_T3_PNS13_IS18_E10value_typeET4_jRbjT5_S1E_jjP12ihipStream_tbEUljE_ZNSN_ISO_Lb0ESQ_SR_ST_SU_SY_EESZ_S10_S11_S12_S16_S17_S18_S1B_S1C_jS1D_jS1E_S1E_jjS1G_bEUljE0_EEESZ_S10_S11_S18_S1C_S1E_T6_T7_T9_mT8_S1G_bDpT10_ENKUlT_T0_E_clISt17integral_constantIbLb0EES1U_EEDaS1P_S1Q_EUlS1P_E_NS1_11comp_targetILNS1_3genE10ELNS1_11target_archE1200ELNS1_3gpuE4ELNS1_3repE0EEENS1_30default_config_static_selectorELNS0_4arch9wavefront6targetE0EEEvS12_
; %bb.0:
	.section	.rodata,"a",@progbits
	.p2align	6, 0x0
	.amdhsa_kernel _ZN7rocprim17ROCPRIM_400000_NS6detail17trampoline_kernelINS0_13select_configILj256ELj13ELNS0_17block_load_methodE3ELS4_3ELS4_3ELNS0_20block_scan_algorithmE0ELj4294967295EEENS1_25partition_config_selectorILNS1_17partition_subalgoE4EjNS0_10empty_typeEbEEZZNS1_14partition_implILS8_4ELb0ES6_15HIP_vector_typeIjLj2EENS0_17counting_iteratorIjlEEPS9_SG_NS0_5tupleIJPjSI_NS0_16reverse_iteratorISI_EEEEENSH_IJSG_SG_SG_EEES9_SI_JZNS1_25segmented_radix_sort_implINS0_14default_configELb0EPKiPiPKlPlN2at6native12_GLOBAL__N_18offset_tEEE10hipError_tPvRmT1_PNSt15iterator_traitsIS12_E10value_typeET2_T3_PNS13_IS18_E10value_typeET4_jRbjT5_S1E_jjP12ihipStream_tbEUljE_ZNSN_ISO_Lb0ESQ_SR_ST_SU_SY_EESZ_S10_S11_S12_S16_S17_S18_S1B_S1C_jS1D_jS1E_S1E_jjS1G_bEUljE0_EEESZ_S10_S11_S18_S1C_S1E_T6_T7_T9_mT8_S1G_bDpT10_ENKUlT_T0_E_clISt17integral_constantIbLb0EES1U_EEDaS1P_S1Q_EUlS1P_E_NS1_11comp_targetILNS1_3genE10ELNS1_11target_archE1200ELNS1_3gpuE4ELNS1_3repE0EEENS1_30default_config_static_selectorELNS0_4arch9wavefront6targetE0EEEvS12_
		.amdhsa_group_segment_fixed_size 0
		.amdhsa_private_segment_fixed_size 0
		.amdhsa_kernarg_size 176
		.amdhsa_user_sgpr_count 6
		.amdhsa_user_sgpr_private_segment_buffer 1
		.amdhsa_user_sgpr_dispatch_ptr 0
		.amdhsa_user_sgpr_queue_ptr 0
		.amdhsa_user_sgpr_kernarg_segment_ptr 1
		.amdhsa_user_sgpr_dispatch_id 0
		.amdhsa_user_sgpr_flat_scratch_init 0
		.amdhsa_user_sgpr_private_segment_size 0
		.amdhsa_wavefront_size32 1
		.amdhsa_uses_dynamic_stack 0
		.amdhsa_system_sgpr_private_segment_wavefront_offset 0
		.amdhsa_system_sgpr_workgroup_id_x 1
		.amdhsa_system_sgpr_workgroup_id_y 0
		.amdhsa_system_sgpr_workgroup_id_z 0
		.amdhsa_system_sgpr_workgroup_info 0
		.amdhsa_system_vgpr_workitem_id 0
		.amdhsa_next_free_vgpr 1
		.amdhsa_next_free_sgpr 1
		.amdhsa_reserve_vcc 0
		.amdhsa_reserve_flat_scratch 0
		.amdhsa_float_round_mode_32 0
		.amdhsa_float_round_mode_16_64 0
		.amdhsa_float_denorm_mode_32 3
		.amdhsa_float_denorm_mode_16_64 3
		.amdhsa_dx10_clamp 1
		.amdhsa_ieee_mode 1
		.amdhsa_fp16_overflow 0
		.amdhsa_workgroup_processor_mode 1
		.amdhsa_memory_ordered 1
		.amdhsa_forward_progress 1
		.amdhsa_shared_vgpr_count 0
		.amdhsa_exception_fp_ieee_invalid_op 0
		.amdhsa_exception_fp_denorm_src 0
		.amdhsa_exception_fp_ieee_div_zero 0
		.amdhsa_exception_fp_ieee_overflow 0
		.amdhsa_exception_fp_ieee_underflow 0
		.amdhsa_exception_fp_ieee_inexact 0
		.amdhsa_exception_int_div_zero 0
	.end_amdhsa_kernel
	.section	.text._ZN7rocprim17ROCPRIM_400000_NS6detail17trampoline_kernelINS0_13select_configILj256ELj13ELNS0_17block_load_methodE3ELS4_3ELS4_3ELNS0_20block_scan_algorithmE0ELj4294967295EEENS1_25partition_config_selectorILNS1_17partition_subalgoE4EjNS0_10empty_typeEbEEZZNS1_14partition_implILS8_4ELb0ES6_15HIP_vector_typeIjLj2EENS0_17counting_iteratorIjlEEPS9_SG_NS0_5tupleIJPjSI_NS0_16reverse_iteratorISI_EEEEENSH_IJSG_SG_SG_EEES9_SI_JZNS1_25segmented_radix_sort_implINS0_14default_configELb0EPKiPiPKlPlN2at6native12_GLOBAL__N_18offset_tEEE10hipError_tPvRmT1_PNSt15iterator_traitsIS12_E10value_typeET2_T3_PNS13_IS18_E10value_typeET4_jRbjT5_S1E_jjP12ihipStream_tbEUljE_ZNSN_ISO_Lb0ESQ_SR_ST_SU_SY_EESZ_S10_S11_S12_S16_S17_S18_S1B_S1C_jS1D_jS1E_S1E_jjS1G_bEUljE0_EEESZ_S10_S11_S18_S1C_S1E_T6_T7_T9_mT8_S1G_bDpT10_ENKUlT_T0_E_clISt17integral_constantIbLb0EES1U_EEDaS1P_S1Q_EUlS1P_E_NS1_11comp_targetILNS1_3genE10ELNS1_11target_archE1200ELNS1_3gpuE4ELNS1_3repE0EEENS1_30default_config_static_selectorELNS0_4arch9wavefront6targetE0EEEvS12_,"axG",@progbits,_ZN7rocprim17ROCPRIM_400000_NS6detail17trampoline_kernelINS0_13select_configILj256ELj13ELNS0_17block_load_methodE3ELS4_3ELS4_3ELNS0_20block_scan_algorithmE0ELj4294967295EEENS1_25partition_config_selectorILNS1_17partition_subalgoE4EjNS0_10empty_typeEbEEZZNS1_14partition_implILS8_4ELb0ES6_15HIP_vector_typeIjLj2EENS0_17counting_iteratorIjlEEPS9_SG_NS0_5tupleIJPjSI_NS0_16reverse_iteratorISI_EEEEENSH_IJSG_SG_SG_EEES9_SI_JZNS1_25segmented_radix_sort_implINS0_14default_configELb0EPKiPiPKlPlN2at6native12_GLOBAL__N_18offset_tEEE10hipError_tPvRmT1_PNSt15iterator_traitsIS12_E10value_typeET2_T3_PNS13_IS18_E10value_typeET4_jRbjT5_S1E_jjP12ihipStream_tbEUljE_ZNSN_ISO_Lb0ESQ_SR_ST_SU_SY_EESZ_S10_S11_S12_S16_S17_S18_S1B_S1C_jS1D_jS1E_S1E_jjS1G_bEUljE0_EEESZ_S10_S11_S18_S1C_S1E_T6_T7_T9_mT8_S1G_bDpT10_ENKUlT_T0_E_clISt17integral_constantIbLb0EES1U_EEDaS1P_S1Q_EUlS1P_E_NS1_11comp_targetILNS1_3genE10ELNS1_11target_archE1200ELNS1_3gpuE4ELNS1_3repE0EEENS1_30default_config_static_selectorELNS0_4arch9wavefront6targetE0EEEvS12_,comdat
.Lfunc_end536:
	.size	_ZN7rocprim17ROCPRIM_400000_NS6detail17trampoline_kernelINS0_13select_configILj256ELj13ELNS0_17block_load_methodE3ELS4_3ELS4_3ELNS0_20block_scan_algorithmE0ELj4294967295EEENS1_25partition_config_selectorILNS1_17partition_subalgoE4EjNS0_10empty_typeEbEEZZNS1_14partition_implILS8_4ELb0ES6_15HIP_vector_typeIjLj2EENS0_17counting_iteratorIjlEEPS9_SG_NS0_5tupleIJPjSI_NS0_16reverse_iteratorISI_EEEEENSH_IJSG_SG_SG_EEES9_SI_JZNS1_25segmented_radix_sort_implINS0_14default_configELb0EPKiPiPKlPlN2at6native12_GLOBAL__N_18offset_tEEE10hipError_tPvRmT1_PNSt15iterator_traitsIS12_E10value_typeET2_T3_PNS13_IS18_E10value_typeET4_jRbjT5_S1E_jjP12ihipStream_tbEUljE_ZNSN_ISO_Lb0ESQ_SR_ST_SU_SY_EESZ_S10_S11_S12_S16_S17_S18_S1B_S1C_jS1D_jS1E_S1E_jjS1G_bEUljE0_EEESZ_S10_S11_S18_S1C_S1E_T6_T7_T9_mT8_S1G_bDpT10_ENKUlT_T0_E_clISt17integral_constantIbLb0EES1U_EEDaS1P_S1Q_EUlS1P_E_NS1_11comp_targetILNS1_3genE10ELNS1_11target_archE1200ELNS1_3gpuE4ELNS1_3repE0EEENS1_30default_config_static_selectorELNS0_4arch9wavefront6targetE0EEEvS12_, .Lfunc_end536-_ZN7rocprim17ROCPRIM_400000_NS6detail17trampoline_kernelINS0_13select_configILj256ELj13ELNS0_17block_load_methodE3ELS4_3ELS4_3ELNS0_20block_scan_algorithmE0ELj4294967295EEENS1_25partition_config_selectorILNS1_17partition_subalgoE4EjNS0_10empty_typeEbEEZZNS1_14partition_implILS8_4ELb0ES6_15HIP_vector_typeIjLj2EENS0_17counting_iteratorIjlEEPS9_SG_NS0_5tupleIJPjSI_NS0_16reverse_iteratorISI_EEEEENSH_IJSG_SG_SG_EEES9_SI_JZNS1_25segmented_radix_sort_implINS0_14default_configELb0EPKiPiPKlPlN2at6native12_GLOBAL__N_18offset_tEEE10hipError_tPvRmT1_PNSt15iterator_traitsIS12_E10value_typeET2_T3_PNS13_IS18_E10value_typeET4_jRbjT5_S1E_jjP12ihipStream_tbEUljE_ZNSN_ISO_Lb0ESQ_SR_ST_SU_SY_EESZ_S10_S11_S12_S16_S17_S18_S1B_S1C_jS1D_jS1E_S1E_jjS1G_bEUljE0_EEESZ_S10_S11_S18_S1C_S1E_T6_T7_T9_mT8_S1G_bDpT10_ENKUlT_T0_E_clISt17integral_constantIbLb0EES1U_EEDaS1P_S1Q_EUlS1P_E_NS1_11comp_targetILNS1_3genE10ELNS1_11target_archE1200ELNS1_3gpuE4ELNS1_3repE0EEENS1_30default_config_static_selectorELNS0_4arch9wavefront6targetE0EEEvS12_
                                        ; -- End function
	.set _ZN7rocprim17ROCPRIM_400000_NS6detail17trampoline_kernelINS0_13select_configILj256ELj13ELNS0_17block_load_methodE3ELS4_3ELS4_3ELNS0_20block_scan_algorithmE0ELj4294967295EEENS1_25partition_config_selectorILNS1_17partition_subalgoE4EjNS0_10empty_typeEbEEZZNS1_14partition_implILS8_4ELb0ES6_15HIP_vector_typeIjLj2EENS0_17counting_iteratorIjlEEPS9_SG_NS0_5tupleIJPjSI_NS0_16reverse_iteratorISI_EEEEENSH_IJSG_SG_SG_EEES9_SI_JZNS1_25segmented_radix_sort_implINS0_14default_configELb0EPKiPiPKlPlN2at6native12_GLOBAL__N_18offset_tEEE10hipError_tPvRmT1_PNSt15iterator_traitsIS12_E10value_typeET2_T3_PNS13_IS18_E10value_typeET4_jRbjT5_S1E_jjP12ihipStream_tbEUljE_ZNSN_ISO_Lb0ESQ_SR_ST_SU_SY_EESZ_S10_S11_S12_S16_S17_S18_S1B_S1C_jS1D_jS1E_S1E_jjS1G_bEUljE0_EEESZ_S10_S11_S18_S1C_S1E_T6_T7_T9_mT8_S1G_bDpT10_ENKUlT_T0_E_clISt17integral_constantIbLb0EES1U_EEDaS1P_S1Q_EUlS1P_E_NS1_11comp_targetILNS1_3genE10ELNS1_11target_archE1200ELNS1_3gpuE4ELNS1_3repE0EEENS1_30default_config_static_selectorELNS0_4arch9wavefront6targetE0EEEvS12_.num_vgpr, 0
	.set _ZN7rocprim17ROCPRIM_400000_NS6detail17trampoline_kernelINS0_13select_configILj256ELj13ELNS0_17block_load_methodE3ELS4_3ELS4_3ELNS0_20block_scan_algorithmE0ELj4294967295EEENS1_25partition_config_selectorILNS1_17partition_subalgoE4EjNS0_10empty_typeEbEEZZNS1_14partition_implILS8_4ELb0ES6_15HIP_vector_typeIjLj2EENS0_17counting_iteratorIjlEEPS9_SG_NS0_5tupleIJPjSI_NS0_16reverse_iteratorISI_EEEEENSH_IJSG_SG_SG_EEES9_SI_JZNS1_25segmented_radix_sort_implINS0_14default_configELb0EPKiPiPKlPlN2at6native12_GLOBAL__N_18offset_tEEE10hipError_tPvRmT1_PNSt15iterator_traitsIS12_E10value_typeET2_T3_PNS13_IS18_E10value_typeET4_jRbjT5_S1E_jjP12ihipStream_tbEUljE_ZNSN_ISO_Lb0ESQ_SR_ST_SU_SY_EESZ_S10_S11_S12_S16_S17_S18_S1B_S1C_jS1D_jS1E_S1E_jjS1G_bEUljE0_EEESZ_S10_S11_S18_S1C_S1E_T6_T7_T9_mT8_S1G_bDpT10_ENKUlT_T0_E_clISt17integral_constantIbLb0EES1U_EEDaS1P_S1Q_EUlS1P_E_NS1_11comp_targetILNS1_3genE10ELNS1_11target_archE1200ELNS1_3gpuE4ELNS1_3repE0EEENS1_30default_config_static_selectorELNS0_4arch9wavefront6targetE0EEEvS12_.num_agpr, 0
	.set _ZN7rocprim17ROCPRIM_400000_NS6detail17trampoline_kernelINS0_13select_configILj256ELj13ELNS0_17block_load_methodE3ELS4_3ELS4_3ELNS0_20block_scan_algorithmE0ELj4294967295EEENS1_25partition_config_selectorILNS1_17partition_subalgoE4EjNS0_10empty_typeEbEEZZNS1_14partition_implILS8_4ELb0ES6_15HIP_vector_typeIjLj2EENS0_17counting_iteratorIjlEEPS9_SG_NS0_5tupleIJPjSI_NS0_16reverse_iteratorISI_EEEEENSH_IJSG_SG_SG_EEES9_SI_JZNS1_25segmented_radix_sort_implINS0_14default_configELb0EPKiPiPKlPlN2at6native12_GLOBAL__N_18offset_tEEE10hipError_tPvRmT1_PNSt15iterator_traitsIS12_E10value_typeET2_T3_PNS13_IS18_E10value_typeET4_jRbjT5_S1E_jjP12ihipStream_tbEUljE_ZNSN_ISO_Lb0ESQ_SR_ST_SU_SY_EESZ_S10_S11_S12_S16_S17_S18_S1B_S1C_jS1D_jS1E_S1E_jjS1G_bEUljE0_EEESZ_S10_S11_S18_S1C_S1E_T6_T7_T9_mT8_S1G_bDpT10_ENKUlT_T0_E_clISt17integral_constantIbLb0EES1U_EEDaS1P_S1Q_EUlS1P_E_NS1_11comp_targetILNS1_3genE10ELNS1_11target_archE1200ELNS1_3gpuE4ELNS1_3repE0EEENS1_30default_config_static_selectorELNS0_4arch9wavefront6targetE0EEEvS12_.numbered_sgpr, 0
	.set _ZN7rocprim17ROCPRIM_400000_NS6detail17trampoline_kernelINS0_13select_configILj256ELj13ELNS0_17block_load_methodE3ELS4_3ELS4_3ELNS0_20block_scan_algorithmE0ELj4294967295EEENS1_25partition_config_selectorILNS1_17partition_subalgoE4EjNS0_10empty_typeEbEEZZNS1_14partition_implILS8_4ELb0ES6_15HIP_vector_typeIjLj2EENS0_17counting_iteratorIjlEEPS9_SG_NS0_5tupleIJPjSI_NS0_16reverse_iteratorISI_EEEEENSH_IJSG_SG_SG_EEES9_SI_JZNS1_25segmented_radix_sort_implINS0_14default_configELb0EPKiPiPKlPlN2at6native12_GLOBAL__N_18offset_tEEE10hipError_tPvRmT1_PNSt15iterator_traitsIS12_E10value_typeET2_T3_PNS13_IS18_E10value_typeET4_jRbjT5_S1E_jjP12ihipStream_tbEUljE_ZNSN_ISO_Lb0ESQ_SR_ST_SU_SY_EESZ_S10_S11_S12_S16_S17_S18_S1B_S1C_jS1D_jS1E_S1E_jjS1G_bEUljE0_EEESZ_S10_S11_S18_S1C_S1E_T6_T7_T9_mT8_S1G_bDpT10_ENKUlT_T0_E_clISt17integral_constantIbLb0EES1U_EEDaS1P_S1Q_EUlS1P_E_NS1_11comp_targetILNS1_3genE10ELNS1_11target_archE1200ELNS1_3gpuE4ELNS1_3repE0EEENS1_30default_config_static_selectorELNS0_4arch9wavefront6targetE0EEEvS12_.num_named_barrier, 0
	.set _ZN7rocprim17ROCPRIM_400000_NS6detail17trampoline_kernelINS0_13select_configILj256ELj13ELNS0_17block_load_methodE3ELS4_3ELS4_3ELNS0_20block_scan_algorithmE0ELj4294967295EEENS1_25partition_config_selectorILNS1_17partition_subalgoE4EjNS0_10empty_typeEbEEZZNS1_14partition_implILS8_4ELb0ES6_15HIP_vector_typeIjLj2EENS0_17counting_iteratorIjlEEPS9_SG_NS0_5tupleIJPjSI_NS0_16reverse_iteratorISI_EEEEENSH_IJSG_SG_SG_EEES9_SI_JZNS1_25segmented_radix_sort_implINS0_14default_configELb0EPKiPiPKlPlN2at6native12_GLOBAL__N_18offset_tEEE10hipError_tPvRmT1_PNSt15iterator_traitsIS12_E10value_typeET2_T3_PNS13_IS18_E10value_typeET4_jRbjT5_S1E_jjP12ihipStream_tbEUljE_ZNSN_ISO_Lb0ESQ_SR_ST_SU_SY_EESZ_S10_S11_S12_S16_S17_S18_S1B_S1C_jS1D_jS1E_S1E_jjS1G_bEUljE0_EEESZ_S10_S11_S18_S1C_S1E_T6_T7_T9_mT8_S1G_bDpT10_ENKUlT_T0_E_clISt17integral_constantIbLb0EES1U_EEDaS1P_S1Q_EUlS1P_E_NS1_11comp_targetILNS1_3genE10ELNS1_11target_archE1200ELNS1_3gpuE4ELNS1_3repE0EEENS1_30default_config_static_selectorELNS0_4arch9wavefront6targetE0EEEvS12_.private_seg_size, 0
	.set _ZN7rocprim17ROCPRIM_400000_NS6detail17trampoline_kernelINS0_13select_configILj256ELj13ELNS0_17block_load_methodE3ELS4_3ELS4_3ELNS0_20block_scan_algorithmE0ELj4294967295EEENS1_25partition_config_selectorILNS1_17partition_subalgoE4EjNS0_10empty_typeEbEEZZNS1_14partition_implILS8_4ELb0ES6_15HIP_vector_typeIjLj2EENS0_17counting_iteratorIjlEEPS9_SG_NS0_5tupleIJPjSI_NS0_16reverse_iteratorISI_EEEEENSH_IJSG_SG_SG_EEES9_SI_JZNS1_25segmented_radix_sort_implINS0_14default_configELb0EPKiPiPKlPlN2at6native12_GLOBAL__N_18offset_tEEE10hipError_tPvRmT1_PNSt15iterator_traitsIS12_E10value_typeET2_T3_PNS13_IS18_E10value_typeET4_jRbjT5_S1E_jjP12ihipStream_tbEUljE_ZNSN_ISO_Lb0ESQ_SR_ST_SU_SY_EESZ_S10_S11_S12_S16_S17_S18_S1B_S1C_jS1D_jS1E_S1E_jjS1G_bEUljE0_EEESZ_S10_S11_S18_S1C_S1E_T6_T7_T9_mT8_S1G_bDpT10_ENKUlT_T0_E_clISt17integral_constantIbLb0EES1U_EEDaS1P_S1Q_EUlS1P_E_NS1_11comp_targetILNS1_3genE10ELNS1_11target_archE1200ELNS1_3gpuE4ELNS1_3repE0EEENS1_30default_config_static_selectorELNS0_4arch9wavefront6targetE0EEEvS12_.uses_vcc, 0
	.set _ZN7rocprim17ROCPRIM_400000_NS6detail17trampoline_kernelINS0_13select_configILj256ELj13ELNS0_17block_load_methodE3ELS4_3ELS4_3ELNS0_20block_scan_algorithmE0ELj4294967295EEENS1_25partition_config_selectorILNS1_17partition_subalgoE4EjNS0_10empty_typeEbEEZZNS1_14partition_implILS8_4ELb0ES6_15HIP_vector_typeIjLj2EENS0_17counting_iteratorIjlEEPS9_SG_NS0_5tupleIJPjSI_NS0_16reverse_iteratorISI_EEEEENSH_IJSG_SG_SG_EEES9_SI_JZNS1_25segmented_radix_sort_implINS0_14default_configELb0EPKiPiPKlPlN2at6native12_GLOBAL__N_18offset_tEEE10hipError_tPvRmT1_PNSt15iterator_traitsIS12_E10value_typeET2_T3_PNS13_IS18_E10value_typeET4_jRbjT5_S1E_jjP12ihipStream_tbEUljE_ZNSN_ISO_Lb0ESQ_SR_ST_SU_SY_EESZ_S10_S11_S12_S16_S17_S18_S1B_S1C_jS1D_jS1E_S1E_jjS1G_bEUljE0_EEESZ_S10_S11_S18_S1C_S1E_T6_T7_T9_mT8_S1G_bDpT10_ENKUlT_T0_E_clISt17integral_constantIbLb0EES1U_EEDaS1P_S1Q_EUlS1P_E_NS1_11comp_targetILNS1_3genE10ELNS1_11target_archE1200ELNS1_3gpuE4ELNS1_3repE0EEENS1_30default_config_static_selectorELNS0_4arch9wavefront6targetE0EEEvS12_.uses_flat_scratch, 0
	.set _ZN7rocprim17ROCPRIM_400000_NS6detail17trampoline_kernelINS0_13select_configILj256ELj13ELNS0_17block_load_methodE3ELS4_3ELS4_3ELNS0_20block_scan_algorithmE0ELj4294967295EEENS1_25partition_config_selectorILNS1_17partition_subalgoE4EjNS0_10empty_typeEbEEZZNS1_14partition_implILS8_4ELb0ES6_15HIP_vector_typeIjLj2EENS0_17counting_iteratorIjlEEPS9_SG_NS0_5tupleIJPjSI_NS0_16reverse_iteratorISI_EEEEENSH_IJSG_SG_SG_EEES9_SI_JZNS1_25segmented_radix_sort_implINS0_14default_configELb0EPKiPiPKlPlN2at6native12_GLOBAL__N_18offset_tEEE10hipError_tPvRmT1_PNSt15iterator_traitsIS12_E10value_typeET2_T3_PNS13_IS18_E10value_typeET4_jRbjT5_S1E_jjP12ihipStream_tbEUljE_ZNSN_ISO_Lb0ESQ_SR_ST_SU_SY_EESZ_S10_S11_S12_S16_S17_S18_S1B_S1C_jS1D_jS1E_S1E_jjS1G_bEUljE0_EEESZ_S10_S11_S18_S1C_S1E_T6_T7_T9_mT8_S1G_bDpT10_ENKUlT_T0_E_clISt17integral_constantIbLb0EES1U_EEDaS1P_S1Q_EUlS1P_E_NS1_11comp_targetILNS1_3genE10ELNS1_11target_archE1200ELNS1_3gpuE4ELNS1_3repE0EEENS1_30default_config_static_selectorELNS0_4arch9wavefront6targetE0EEEvS12_.has_dyn_sized_stack, 0
	.set _ZN7rocprim17ROCPRIM_400000_NS6detail17trampoline_kernelINS0_13select_configILj256ELj13ELNS0_17block_load_methodE3ELS4_3ELS4_3ELNS0_20block_scan_algorithmE0ELj4294967295EEENS1_25partition_config_selectorILNS1_17partition_subalgoE4EjNS0_10empty_typeEbEEZZNS1_14partition_implILS8_4ELb0ES6_15HIP_vector_typeIjLj2EENS0_17counting_iteratorIjlEEPS9_SG_NS0_5tupleIJPjSI_NS0_16reverse_iteratorISI_EEEEENSH_IJSG_SG_SG_EEES9_SI_JZNS1_25segmented_radix_sort_implINS0_14default_configELb0EPKiPiPKlPlN2at6native12_GLOBAL__N_18offset_tEEE10hipError_tPvRmT1_PNSt15iterator_traitsIS12_E10value_typeET2_T3_PNS13_IS18_E10value_typeET4_jRbjT5_S1E_jjP12ihipStream_tbEUljE_ZNSN_ISO_Lb0ESQ_SR_ST_SU_SY_EESZ_S10_S11_S12_S16_S17_S18_S1B_S1C_jS1D_jS1E_S1E_jjS1G_bEUljE0_EEESZ_S10_S11_S18_S1C_S1E_T6_T7_T9_mT8_S1G_bDpT10_ENKUlT_T0_E_clISt17integral_constantIbLb0EES1U_EEDaS1P_S1Q_EUlS1P_E_NS1_11comp_targetILNS1_3genE10ELNS1_11target_archE1200ELNS1_3gpuE4ELNS1_3repE0EEENS1_30default_config_static_selectorELNS0_4arch9wavefront6targetE0EEEvS12_.has_recursion, 0
	.set _ZN7rocprim17ROCPRIM_400000_NS6detail17trampoline_kernelINS0_13select_configILj256ELj13ELNS0_17block_load_methodE3ELS4_3ELS4_3ELNS0_20block_scan_algorithmE0ELj4294967295EEENS1_25partition_config_selectorILNS1_17partition_subalgoE4EjNS0_10empty_typeEbEEZZNS1_14partition_implILS8_4ELb0ES6_15HIP_vector_typeIjLj2EENS0_17counting_iteratorIjlEEPS9_SG_NS0_5tupleIJPjSI_NS0_16reverse_iteratorISI_EEEEENSH_IJSG_SG_SG_EEES9_SI_JZNS1_25segmented_radix_sort_implINS0_14default_configELb0EPKiPiPKlPlN2at6native12_GLOBAL__N_18offset_tEEE10hipError_tPvRmT1_PNSt15iterator_traitsIS12_E10value_typeET2_T3_PNS13_IS18_E10value_typeET4_jRbjT5_S1E_jjP12ihipStream_tbEUljE_ZNSN_ISO_Lb0ESQ_SR_ST_SU_SY_EESZ_S10_S11_S12_S16_S17_S18_S1B_S1C_jS1D_jS1E_S1E_jjS1G_bEUljE0_EEESZ_S10_S11_S18_S1C_S1E_T6_T7_T9_mT8_S1G_bDpT10_ENKUlT_T0_E_clISt17integral_constantIbLb0EES1U_EEDaS1P_S1Q_EUlS1P_E_NS1_11comp_targetILNS1_3genE10ELNS1_11target_archE1200ELNS1_3gpuE4ELNS1_3repE0EEENS1_30default_config_static_selectorELNS0_4arch9wavefront6targetE0EEEvS12_.has_indirect_call, 0
	.section	.AMDGPU.csdata,"",@progbits
; Kernel info:
; codeLenInByte = 0
; TotalNumSgprs: 0
; NumVgprs: 0
; ScratchSize: 0
; MemoryBound: 0
; FloatMode: 240
; IeeeMode: 1
; LDSByteSize: 0 bytes/workgroup (compile time only)
; SGPRBlocks: 0
; VGPRBlocks: 0
; NumSGPRsForWavesPerEU: 1
; NumVGPRsForWavesPerEU: 1
; Occupancy: 16
; WaveLimiterHint : 0
; COMPUTE_PGM_RSRC2:SCRATCH_EN: 0
; COMPUTE_PGM_RSRC2:USER_SGPR: 6
; COMPUTE_PGM_RSRC2:TRAP_HANDLER: 0
; COMPUTE_PGM_RSRC2:TGID_X_EN: 1
; COMPUTE_PGM_RSRC2:TGID_Y_EN: 0
; COMPUTE_PGM_RSRC2:TGID_Z_EN: 0
; COMPUTE_PGM_RSRC2:TIDIG_COMP_CNT: 0
	.section	.text._ZN7rocprim17ROCPRIM_400000_NS6detail17trampoline_kernelINS0_13select_configILj256ELj13ELNS0_17block_load_methodE3ELS4_3ELS4_3ELNS0_20block_scan_algorithmE0ELj4294967295EEENS1_25partition_config_selectorILNS1_17partition_subalgoE4EjNS0_10empty_typeEbEEZZNS1_14partition_implILS8_4ELb0ES6_15HIP_vector_typeIjLj2EENS0_17counting_iteratorIjlEEPS9_SG_NS0_5tupleIJPjSI_NS0_16reverse_iteratorISI_EEEEENSH_IJSG_SG_SG_EEES9_SI_JZNS1_25segmented_radix_sort_implINS0_14default_configELb0EPKiPiPKlPlN2at6native12_GLOBAL__N_18offset_tEEE10hipError_tPvRmT1_PNSt15iterator_traitsIS12_E10value_typeET2_T3_PNS13_IS18_E10value_typeET4_jRbjT5_S1E_jjP12ihipStream_tbEUljE_ZNSN_ISO_Lb0ESQ_SR_ST_SU_SY_EESZ_S10_S11_S12_S16_S17_S18_S1B_S1C_jS1D_jS1E_S1E_jjS1G_bEUljE0_EEESZ_S10_S11_S18_S1C_S1E_T6_T7_T9_mT8_S1G_bDpT10_ENKUlT_T0_E_clISt17integral_constantIbLb0EES1U_EEDaS1P_S1Q_EUlS1P_E_NS1_11comp_targetILNS1_3genE9ELNS1_11target_archE1100ELNS1_3gpuE3ELNS1_3repE0EEENS1_30default_config_static_selectorELNS0_4arch9wavefront6targetE0EEEvS12_,"axG",@progbits,_ZN7rocprim17ROCPRIM_400000_NS6detail17trampoline_kernelINS0_13select_configILj256ELj13ELNS0_17block_load_methodE3ELS4_3ELS4_3ELNS0_20block_scan_algorithmE0ELj4294967295EEENS1_25partition_config_selectorILNS1_17partition_subalgoE4EjNS0_10empty_typeEbEEZZNS1_14partition_implILS8_4ELb0ES6_15HIP_vector_typeIjLj2EENS0_17counting_iteratorIjlEEPS9_SG_NS0_5tupleIJPjSI_NS0_16reverse_iteratorISI_EEEEENSH_IJSG_SG_SG_EEES9_SI_JZNS1_25segmented_radix_sort_implINS0_14default_configELb0EPKiPiPKlPlN2at6native12_GLOBAL__N_18offset_tEEE10hipError_tPvRmT1_PNSt15iterator_traitsIS12_E10value_typeET2_T3_PNS13_IS18_E10value_typeET4_jRbjT5_S1E_jjP12ihipStream_tbEUljE_ZNSN_ISO_Lb0ESQ_SR_ST_SU_SY_EESZ_S10_S11_S12_S16_S17_S18_S1B_S1C_jS1D_jS1E_S1E_jjS1G_bEUljE0_EEESZ_S10_S11_S18_S1C_S1E_T6_T7_T9_mT8_S1G_bDpT10_ENKUlT_T0_E_clISt17integral_constantIbLb0EES1U_EEDaS1P_S1Q_EUlS1P_E_NS1_11comp_targetILNS1_3genE9ELNS1_11target_archE1100ELNS1_3gpuE3ELNS1_3repE0EEENS1_30default_config_static_selectorELNS0_4arch9wavefront6targetE0EEEvS12_,comdat
	.globl	_ZN7rocprim17ROCPRIM_400000_NS6detail17trampoline_kernelINS0_13select_configILj256ELj13ELNS0_17block_load_methodE3ELS4_3ELS4_3ELNS0_20block_scan_algorithmE0ELj4294967295EEENS1_25partition_config_selectorILNS1_17partition_subalgoE4EjNS0_10empty_typeEbEEZZNS1_14partition_implILS8_4ELb0ES6_15HIP_vector_typeIjLj2EENS0_17counting_iteratorIjlEEPS9_SG_NS0_5tupleIJPjSI_NS0_16reverse_iteratorISI_EEEEENSH_IJSG_SG_SG_EEES9_SI_JZNS1_25segmented_radix_sort_implINS0_14default_configELb0EPKiPiPKlPlN2at6native12_GLOBAL__N_18offset_tEEE10hipError_tPvRmT1_PNSt15iterator_traitsIS12_E10value_typeET2_T3_PNS13_IS18_E10value_typeET4_jRbjT5_S1E_jjP12ihipStream_tbEUljE_ZNSN_ISO_Lb0ESQ_SR_ST_SU_SY_EESZ_S10_S11_S12_S16_S17_S18_S1B_S1C_jS1D_jS1E_S1E_jjS1G_bEUljE0_EEESZ_S10_S11_S18_S1C_S1E_T6_T7_T9_mT8_S1G_bDpT10_ENKUlT_T0_E_clISt17integral_constantIbLb0EES1U_EEDaS1P_S1Q_EUlS1P_E_NS1_11comp_targetILNS1_3genE9ELNS1_11target_archE1100ELNS1_3gpuE3ELNS1_3repE0EEENS1_30default_config_static_selectorELNS0_4arch9wavefront6targetE0EEEvS12_ ; -- Begin function _ZN7rocprim17ROCPRIM_400000_NS6detail17trampoline_kernelINS0_13select_configILj256ELj13ELNS0_17block_load_methodE3ELS4_3ELS4_3ELNS0_20block_scan_algorithmE0ELj4294967295EEENS1_25partition_config_selectorILNS1_17partition_subalgoE4EjNS0_10empty_typeEbEEZZNS1_14partition_implILS8_4ELb0ES6_15HIP_vector_typeIjLj2EENS0_17counting_iteratorIjlEEPS9_SG_NS0_5tupleIJPjSI_NS0_16reverse_iteratorISI_EEEEENSH_IJSG_SG_SG_EEES9_SI_JZNS1_25segmented_radix_sort_implINS0_14default_configELb0EPKiPiPKlPlN2at6native12_GLOBAL__N_18offset_tEEE10hipError_tPvRmT1_PNSt15iterator_traitsIS12_E10value_typeET2_T3_PNS13_IS18_E10value_typeET4_jRbjT5_S1E_jjP12ihipStream_tbEUljE_ZNSN_ISO_Lb0ESQ_SR_ST_SU_SY_EESZ_S10_S11_S12_S16_S17_S18_S1B_S1C_jS1D_jS1E_S1E_jjS1G_bEUljE0_EEESZ_S10_S11_S18_S1C_S1E_T6_T7_T9_mT8_S1G_bDpT10_ENKUlT_T0_E_clISt17integral_constantIbLb0EES1U_EEDaS1P_S1Q_EUlS1P_E_NS1_11comp_targetILNS1_3genE9ELNS1_11target_archE1100ELNS1_3gpuE3ELNS1_3repE0EEENS1_30default_config_static_selectorELNS0_4arch9wavefront6targetE0EEEvS12_
	.p2align	8
	.type	_ZN7rocprim17ROCPRIM_400000_NS6detail17trampoline_kernelINS0_13select_configILj256ELj13ELNS0_17block_load_methodE3ELS4_3ELS4_3ELNS0_20block_scan_algorithmE0ELj4294967295EEENS1_25partition_config_selectorILNS1_17partition_subalgoE4EjNS0_10empty_typeEbEEZZNS1_14partition_implILS8_4ELb0ES6_15HIP_vector_typeIjLj2EENS0_17counting_iteratorIjlEEPS9_SG_NS0_5tupleIJPjSI_NS0_16reverse_iteratorISI_EEEEENSH_IJSG_SG_SG_EEES9_SI_JZNS1_25segmented_radix_sort_implINS0_14default_configELb0EPKiPiPKlPlN2at6native12_GLOBAL__N_18offset_tEEE10hipError_tPvRmT1_PNSt15iterator_traitsIS12_E10value_typeET2_T3_PNS13_IS18_E10value_typeET4_jRbjT5_S1E_jjP12ihipStream_tbEUljE_ZNSN_ISO_Lb0ESQ_SR_ST_SU_SY_EESZ_S10_S11_S12_S16_S17_S18_S1B_S1C_jS1D_jS1E_S1E_jjS1G_bEUljE0_EEESZ_S10_S11_S18_S1C_S1E_T6_T7_T9_mT8_S1G_bDpT10_ENKUlT_T0_E_clISt17integral_constantIbLb0EES1U_EEDaS1P_S1Q_EUlS1P_E_NS1_11comp_targetILNS1_3genE9ELNS1_11target_archE1100ELNS1_3gpuE3ELNS1_3repE0EEENS1_30default_config_static_selectorELNS0_4arch9wavefront6targetE0EEEvS12_,@function
_ZN7rocprim17ROCPRIM_400000_NS6detail17trampoline_kernelINS0_13select_configILj256ELj13ELNS0_17block_load_methodE3ELS4_3ELS4_3ELNS0_20block_scan_algorithmE0ELj4294967295EEENS1_25partition_config_selectorILNS1_17partition_subalgoE4EjNS0_10empty_typeEbEEZZNS1_14partition_implILS8_4ELb0ES6_15HIP_vector_typeIjLj2EENS0_17counting_iteratorIjlEEPS9_SG_NS0_5tupleIJPjSI_NS0_16reverse_iteratorISI_EEEEENSH_IJSG_SG_SG_EEES9_SI_JZNS1_25segmented_radix_sort_implINS0_14default_configELb0EPKiPiPKlPlN2at6native12_GLOBAL__N_18offset_tEEE10hipError_tPvRmT1_PNSt15iterator_traitsIS12_E10value_typeET2_T3_PNS13_IS18_E10value_typeET4_jRbjT5_S1E_jjP12ihipStream_tbEUljE_ZNSN_ISO_Lb0ESQ_SR_ST_SU_SY_EESZ_S10_S11_S12_S16_S17_S18_S1B_S1C_jS1D_jS1E_S1E_jjS1G_bEUljE0_EEESZ_S10_S11_S18_S1C_S1E_T6_T7_T9_mT8_S1G_bDpT10_ENKUlT_T0_E_clISt17integral_constantIbLb0EES1U_EEDaS1P_S1Q_EUlS1P_E_NS1_11comp_targetILNS1_3genE9ELNS1_11target_archE1100ELNS1_3gpuE3ELNS1_3repE0EEENS1_30default_config_static_selectorELNS0_4arch9wavefront6targetE0EEEvS12_: ; @_ZN7rocprim17ROCPRIM_400000_NS6detail17trampoline_kernelINS0_13select_configILj256ELj13ELNS0_17block_load_methodE3ELS4_3ELS4_3ELNS0_20block_scan_algorithmE0ELj4294967295EEENS1_25partition_config_selectorILNS1_17partition_subalgoE4EjNS0_10empty_typeEbEEZZNS1_14partition_implILS8_4ELb0ES6_15HIP_vector_typeIjLj2EENS0_17counting_iteratorIjlEEPS9_SG_NS0_5tupleIJPjSI_NS0_16reverse_iteratorISI_EEEEENSH_IJSG_SG_SG_EEES9_SI_JZNS1_25segmented_radix_sort_implINS0_14default_configELb0EPKiPiPKlPlN2at6native12_GLOBAL__N_18offset_tEEE10hipError_tPvRmT1_PNSt15iterator_traitsIS12_E10value_typeET2_T3_PNS13_IS18_E10value_typeET4_jRbjT5_S1E_jjP12ihipStream_tbEUljE_ZNSN_ISO_Lb0ESQ_SR_ST_SU_SY_EESZ_S10_S11_S12_S16_S17_S18_S1B_S1C_jS1D_jS1E_S1E_jjS1G_bEUljE0_EEESZ_S10_S11_S18_S1C_S1E_T6_T7_T9_mT8_S1G_bDpT10_ENKUlT_T0_E_clISt17integral_constantIbLb0EES1U_EEDaS1P_S1Q_EUlS1P_E_NS1_11comp_targetILNS1_3genE9ELNS1_11target_archE1100ELNS1_3gpuE3ELNS1_3repE0EEENS1_30default_config_static_selectorELNS0_4arch9wavefront6targetE0EEEvS12_
; %bb.0:
	.section	.rodata,"a",@progbits
	.p2align	6, 0x0
	.amdhsa_kernel _ZN7rocprim17ROCPRIM_400000_NS6detail17trampoline_kernelINS0_13select_configILj256ELj13ELNS0_17block_load_methodE3ELS4_3ELS4_3ELNS0_20block_scan_algorithmE0ELj4294967295EEENS1_25partition_config_selectorILNS1_17partition_subalgoE4EjNS0_10empty_typeEbEEZZNS1_14partition_implILS8_4ELb0ES6_15HIP_vector_typeIjLj2EENS0_17counting_iteratorIjlEEPS9_SG_NS0_5tupleIJPjSI_NS0_16reverse_iteratorISI_EEEEENSH_IJSG_SG_SG_EEES9_SI_JZNS1_25segmented_radix_sort_implINS0_14default_configELb0EPKiPiPKlPlN2at6native12_GLOBAL__N_18offset_tEEE10hipError_tPvRmT1_PNSt15iterator_traitsIS12_E10value_typeET2_T3_PNS13_IS18_E10value_typeET4_jRbjT5_S1E_jjP12ihipStream_tbEUljE_ZNSN_ISO_Lb0ESQ_SR_ST_SU_SY_EESZ_S10_S11_S12_S16_S17_S18_S1B_S1C_jS1D_jS1E_S1E_jjS1G_bEUljE0_EEESZ_S10_S11_S18_S1C_S1E_T6_T7_T9_mT8_S1G_bDpT10_ENKUlT_T0_E_clISt17integral_constantIbLb0EES1U_EEDaS1P_S1Q_EUlS1P_E_NS1_11comp_targetILNS1_3genE9ELNS1_11target_archE1100ELNS1_3gpuE3ELNS1_3repE0EEENS1_30default_config_static_selectorELNS0_4arch9wavefront6targetE0EEEvS12_
		.amdhsa_group_segment_fixed_size 0
		.amdhsa_private_segment_fixed_size 0
		.amdhsa_kernarg_size 176
		.amdhsa_user_sgpr_count 6
		.amdhsa_user_sgpr_private_segment_buffer 1
		.amdhsa_user_sgpr_dispatch_ptr 0
		.amdhsa_user_sgpr_queue_ptr 0
		.amdhsa_user_sgpr_kernarg_segment_ptr 1
		.amdhsa_user_sgpr_dispatch_id 0
		.amdhsa_user_sgpr_flat_scratch_init 0
		.amdhsa_user_sgpr_private_segment_size 0
		.amdhsa_wavefront_size32 1
		.amdhsa_uses_dynamic_stack 0
		.amdhsa_system_sgpr_private_segment_wavefront_offset 0
		.amdhsa_system_sgpr_workgroup_id_x 1
		.amdhsa_system_sgpr_workgroup_id_y 0
		.amdhsa_system_sgpr_workgroup_id_z 0
		.amdhsa_system_sgpr_workgroup_info 0
		.amdhsa_system_vgpr_workitem_id 0
		.amdhsa_next_free_vgpr 1
		.amdhsa_next_free_sgpr 1
		.amdhsa_reserve_vcc 0
		.amdhsa_reserve_flat_scratch 0
		.amdhsa_float_round_mode_32 0
		.amdhsa_float_round_mode_16_64 0
		.amdhsa_float_denorm_mode_32 3
		.amdhsa_float_denorm_mode_16_64 3
		.amdhsa_dx10_clamp 1
		.amdhsa_ieee_mode 1
		.amdhsa_fp16_overflow 0
		.amdhsa_workgroup_processor_mode 1
		.amdhsa_memory_ordered 1
		.amdhsa_forward_progress 1
		.amdhsa_shared_vgpr_count 0
		.amdhsa_exception_fp_ieee_invalid_op 0
		.amdhsa_exception_fp_denorm_src 0
		.amdhsa_exception_fp_ieee_div_zero 0
		.amdhsa_exception_fp_ieee_overflow 0
		.amdhsa_exception_fp_ieee_underflow 0
		.amdhsa_exception_fp_ieee_inexact 0
		.amdhsa_exception_int_div_zero 0
	.end_amdhsa_kernel
	.section	.text._ZN7rocprim17ROCPRIM_400000_NS6detail17trampoline_kernelINS0_13select_configILj256ELj13ELNS0_17block_load_methodE3ELS4_3ELS4_3ELNS0_20block_scan_algorithmE0ELj4294967295EEENS1_25partition_config_selectorILNS1_17partition_subalgoE4EjNS0_10empty_typeEbEEZZNS1_14partition_implILS8_4ELb0ES6_15HIP_vector_typeIjLj2EENS0_17counting_iteratorIjlEEPS9_SG_NS0_5tupleIJPjSI_NS0_16reverse_iteratorISI_EEEEENSH_IJSG_SG_SG_EEES9_SI_JZNS1_25segmented_radix_sort_implINS0_14default_configELb0EPKiPiPKlPlN2at6native12_GLOBAL__N_18offset_tEEE10hipError_tPvRmT1_PNSt15iterator_traitsIS12_E10value_typeET2_T3_PNS13_IS18_E10value_typeET4_jRbjT5_S1E_jjP12ihipStream_tbEUljE_ZNSN_ISO_Lb0ESQ_SR_ST_SU_SY_EESZ_S10_S11_S12_S16_S17_S18_S1B_S1C_jS1D_jS1E_S1E_jjS1G_bEUljE0_EEESZ_S10_S11_S18_S1C_S1E_T6_T7_T9_mT8_S1G_bDpT10_ENKUlT_T0_E_clISt17integral_constantIbLb0EES1U_EEDaS1P_S1Q_EUlS1P_E_NS1_11comp_targetILNS1_3genE9ELNS1_11target_archE1100ELNS1_3gpuE3ELNS1_3repE0EEENS1_30default_config_static_selectorELNS0_4arch9wavefront6targetE0EEEvS12_,"axG",@progbits,_ZN7rocprim17ROCPRIM_400000_NS6detail17trampoline_kernelINS0_13select_configILj256ELj13ELNS0_17block_load_methodE3ELS4_3ELS4_3ELNS0_20block_scan_algorithmE0ELj4294967295EEENS1_25partition_config_selectorILNS1_17partition_subalgoE4EjNS0_10empty_typeEbEEZZNS1_14partition_implILS8_4ELb0ES6_15HIP_vector_typeIjLj2EENS0_17counting_iteratorIjlEEPS9_SG_NS0_5tupleIJPjSI_NS0_16reverse_iteratorISI_EEEEENSH_IJSG_SG_SG_EEES9_SI_JZNS1_25segmented_radix_sort_implINS0_14default_configELb0EPKiPiPKlPlN2at6native12_GLOBAL__N_18offset_tEEE10hipError_tPvRmT1_PNSt15iterator_traitsIS12_E10value_typeET2_T3_PNS13_IS18_E10value_typeET4_jRbjT5_S1E_jjP12ihipStream_tbEUljE_ZNSN_ISO_Lb0ESQ_SR_ST_SU_SY_EESZ_S10_S11_S12_S16_S17_S18_S1B_S1C_jS1D_jS1E_S1E_jjS1G_bEUljE0_EEESZ_S10_S11_S18_S1C_S1E_T6_T7_T9_mT8_S1G_bDpT10_ENKUlT_T0_E_clISt17integral_constantIbLb0EES1U_EEDaS1P_S1Q_EUlS1P_E_NS1_11comp_targetILNS1_3genE9ELNS1_11target_archE1100ELNS1_3gpuE3ELNS1_3repE0EEENS1_30default_config_static_selectorELNS0_4arch9wavefront6targetE0EEEvS12_,comdat
.Lfunc_end537:
	.size	_ZN7rocprim17ROCPRIM_400000_NS6detail17trampoline_kernelINS0_13select_configILj256ELj13ELNS0_17block_load_methodE3ELS4_3ELS4_3ELNS0_20block_scan_algorithmE0ELj4294967295EEENS1_25partition_config_selectorILNS1_17partition_subalgoE4EjNS0_10empty_typeEbEEZZNS1_14partition_implILS8_4ELb0ES6_15HIP_vector_typeIjLj2EENS0_17counting_iteratorIjlEEPS9_SG_NS0_5tupleIJPjSI_NS0_16reverse_iteratorISI_EEEEENSH_IJSG_SG_SG_EEES9_SI_JZNS1_25segmented_radix_sort_implINS0_14default_configELb0EPKiPiPKlPlN2at6native12_GLOBAL__N_18offset_tEEE10hipError_tPvRmT1_PNSt15iterator_traitsIS12_E10value_typeET2_T3_PNS13_IS18_E10value_typeET4_jRbjT5_S1E_jjP12ihipStream_tbEUljE_ZNSN_ISO_Lb0ESQ_SR_ST_SU_SY_EESZ_S10_S11_S12_S16_S17_S18_S1B_S1C_jS1D_jS1E_S1E_jjS1G_bEUljE0_EEESZ_S10_S11_S18_S1C_S1E_T6_T7_T9_mT8_S1G_bDpT10_ENKUlT_T0_E_clISt17integral_constantIbLb0EES1U_EEDaS1P_S1Q_EUlS1P_E_NS1_11comp_targetILNS1_3genE9ELNS1_11target_archE1100ELNS1_3gpuE3ELNS1_3repE0EEENS1_30default_config_static_selectorELNS0_4arch9wavefront6targetE0EEEvS12_, .Lfunc_end537-_ZN7rocprim17ROCPRIM_400000_NS6detail17trampoline_kernelINS0_13select_configILj256ELj13ELNS0_17block_load_methodE3ELS4_3ELS4_3ELNS0_20block_scan_algorithmE0ELj4294967295EEENS1_25partition_config_selectorILNS1_17partition_subalgoE4EjNS0_10empty_typeEbEEZZNS1_14partition_implILS8_4ELb0ES6_15HIP_vector_typeIjLj2EENS0_17counting_iteratorIjlEEPS9_SG_NS0_5tupleIJPjSI_NS0_16reverse_iteratorISI_EEEEENSH_IJSG_SG_SG_EEES9_SI_JZNS1_25segmented_radix_sort_implINS0_14default_configELb0EPKiPiPKlPlN2at6native12_GLOBAL__N_18offset_tEEE10hipError_tPvRmT1_PNSt15iterator_traitsIS12_E10value_typeET2_T3_PNS13_IS18_E10value_typeET4_jRbjT5_S1E_jjP12ihipStream_tbEUljE_ZNSN_ISO_Lb0ESQ_SR_ST_SU_SY_EESZ_S10_S11_S12_S16_S17_S18_S1B_S1C_jS1D_jS1E_S1E_jjS1G_bEUljE0_EEESZ_S10_S11_S18_S1C_S1E_T6_T7_T9_mT8_S1G_bDpT10_ENKUlT_T0_E_clISt17integral_constantIbLb0EES1U_EEDaS1P_S1Q_EUlS1P_E_NS1_11comp_targetILNS1_3genE9ELNS1_11target_archE1100ELNS1_3gpuE3ELNS1_3repE0EEENS1_30default_config_static_selectorELNS0_4arch9wavefront6targetE0EEEvS12_
                                        ; -- End function
	.set _ZN7rocprim17ROCPRIM_400000_NS6detail17trampoline_kernelINS0_13select_configILj256ELj13ELNS0_17block_load_methodE3ELS4_3ELS4_3ELNS0_20block_scan_algorithmE0ELj4294967295EEENS1_25partition_config_selectorILNS1_17partition_subalgoE4EjNS0_10empty_typeEbEEZZNS1_14partition_implILS8_4ELb0ES6_15HIP_vector_typeIjLj2EENS0_17counting_iteratorIjlEEPS9_SG_NS0_5tupleIJPjSI_NS0_16reverse_iteratorISI_EEEEENSH_IJSG_SG_SG_EEES9_SI_JZNS1_25segmented_radix_sort_implINS0_14default_configELb0EPKiPiPKlPlN2at6native12_GLOBAL__N_18offset_tEEE10hipError_tPvRmT1_PNSt15iterator_traitsIS12_E10value_typeET2_T3_PNS13_IS18_E10value_typeET4_jRbjT5_S1E_jjP12ihipStream_tbEUljE_ZNSN_ISO_Lb0ESQ_SR_ST_SU_SY_EESZ_S10_S11_S12_S16_S17_S18_S1B_S1C_jS1D_jS1E_S1E_jjS1G_bEUljE0_EEESZ_S10_S11_S18_S1C_S1E_T6_T7_T9_mT8_S1G_bDpT10_ENKUlT_T0_E_clISt17integral_constantIbLb0EES1U_EEDaS1P_S1Q_EUlS1P_E_NS1_11comp_targetILNS1_3genE9ELNS1_11target_archE1100ELNS1_3gpuE3ELNS1_3repE0EEENS1_30default_config_static_selectorELNS0_4arch9wavefront6targetE0EEEvS12_.num_vgpr, 0
	.set _ZN7rocprim17ROCPRIM_400000_NS6detail17trampoline_kernelINS0_13select_configILj256ELj13ELNS0_17block_load_methodE3ELS4_3ELS4_3ELNS0_20block_scan_algorithmE0ELj4294967295EEENS1_25partition_config_selectorILNS1_17partition_subalgoE4EjNS0_10empty_typeEbEEZZNS1_14partition_implILS8_4ELb0ES6_15HIP_vector_typeIjLj2EENS0_17counting_iteratorIjlEEPS9_SG_NS0_5tupleIJPjSI_NS0_16reverse_iteratorISI_EEEEENSH_IJSG_SG_SG_EEES9_SI_JZNS1_25segmented_radix_sort_implINS0_14default_configELb0EPKiPiPKlPlN2at6native12_GLOBAL__N_18offset_tEEE10hipError_tPvRmT1_PNSt15iterator_traitsIS12_E10value_typeET2_T3_PNS13_IS18_E10value_typeET4_jRbjT5_S1E_jjP12ihipStream_tbEUljE_ZNSN_ISO_Lb0ESQ_SR_ST_SU_SY_EESZ_S10_S11_S12_S16_S17_S18_S1B_S1C_jS1D_jS1E_S1E_jjS1G_bEUljE0_EEESZ_S10_S11_S18_S1C_S1E_T6_T7_T9_mT8_S1G_bDpT10_ENKUlT_T0_E_clISt17integral_constantIbLb0EES1U_EEDaS1P_S1Q_EUlS1P_E_NS1_11comp_targetILNS1_3genE9ELNS1_11target_archE1100ELNS1_3gpuE3ELNS1_3repE0EEENS1_30default_config_static_selectorELNS0_4arch9wavefront6targetE0EEEvS12_.num_agpr, 0
	.set _ZN7rocprim17ROCPRIM_400000_NS6detail17trampoline_kernelINS0_13select_configILj256ELj13ELNS0_17block_load_methodE3ELS4_3ELS4_3ELNS0_20block_scan_algorithmE0ELj4294967295EEENS1_25partition_config_selectorILNS1_17partition_subalgoE4EjNS0_10empty_typeEbEEZZNS1_14partition_implILS8_4ELb0ES6_15HIP_vector_typeIjLj2EENS0_17counting_iteratorIjlEEPS9_SG_NS0_5tupleIJPjSI_NS0_16reverse_iteratorISI_EEEEENSH_IJSG_SG_SG_EEES9_SI_JZNS1_25segmented_radix_sort_implINS0_14default_configELb0EPKiPiPKlPlN2at6native12_GLOBAL__N_18offset_tEEE10hipError_tPvRmT1_PNSt15iterator_traitsIS12_E10value_typeET2_T3_PNS13_IS18_E10value_typeET4_jRbjT5_S1E_jjP12ihipStream_tbEUljE_ZNSN_ISO_Lb0ESQ_SR_ST_SU_SY_EESZ_S10_S11_S12_S16_S17_S18_S1B_S1C_jS1D_jS1E_S1E_jjS1G_bEUljE0_EEESZ_S10_S11_S18_S1C_S1E_T6_T7_T9_mT8_S1G_bDpT10_ENKUlT_T0_E_clISt17integral_constantIbLb0EES1U_EEDaS1P_S1Q_EUlS1P_E_NS1_11comp_targetILNS1_3genE9ELNS1_11target_archE1100ELNS1_3gpuE3ELNS1_3repE0EEENS1_30default_config_static_selectorELNS0_4arch9wavefront6targetE0EEEvS12_.numbered_sgpr, 0
	.set _ZN7rocprim17ROCPRIM_400000_NS6detail17trampoline_kernelINS0_13select_configILj256ELj13ELNS0_17block_load_methodE3ELS4_3ELS4_3ELNS0_20block_scan_algorithmE0ELj4294967295EEENS1_25partition_config_selectorILNS1_17partition_subalgoE4EjNS0_10empty_typeEbEEZZNS1_14partition_implILS8_4ELb0ES6_15HIP_vector_typeIjLj2EENS0_17counting_iteratorIjlEEPS9_SG_NS0_5tupleIJPjSI_NS0_16reverse_iteratorISI_EEEEENSH_IJSG_SG_SG_EEES9_SI_JZNS1_25segmented_radix_sort_implINS0_14default_configELb0EPKiPiPKlPlN2at6native12_GLOBAL__N_18offset_tEEE10hipError_tPvRmT1_PNSt15iterator_traitsIS12_E10value_typeET2_T3_PNS13_IS18_E10value_typeET4_jRbjT5_S1E_jjP12ihipStream_tbEUljE_ZNSN_ISO_Lb0ESQ_SR_ST_SU_SY_EESZ_S10_S11_S12_S16_S17_S18_S1B_S1C_jS1D_jS1E_S1E_jjS1G_bEUljE0_EEESZ_S10_S11_S18_S1C_S1E_T6_T7_T9_mT8_S1G_bDpT10_ENKUlT_T0_E_clISt17integral_constantIbLb0EES1U_EEDaS1P_S1Q_EUlS1P_E_NS1_11comp_targetILNS1_3genE9ELNS1_11target_archE1100ELNS1_3gpuE3ELNS1_3repE0EEENS1_30default_config_static_selectorELNS0_4arch9wavefront6targetE0EEEvS12_.num_named_barrier, 0
	.set _ZN7rocprim17ROCPRIM_400000_NS6detail17trampoline_kernelINS0_13select_configILj256ELj13ELNS0_17block_load_methodE3ELS4_3ELS4_3ELNS0_20block_scan_algorithmE0ELj4294967295EEENS1_25partition_config_selectorILNS1_17partition_subalgoE4EjNS0_10empty_typeEbEEZZNS1_14partition_implILS8_4ELb0ES6_15HIP_vector_typeIjLj2EENS0_17counting_iteratorIjlEEPS9_SG_NS0_5tupleIJPjSI_NS0_16reverse_iteratorISI_EEEEENSH_IJSG_SG_SG_EEES9_SI_JZNS1_25segmented_radix_sort_implINS0_14default_configELb0EPKiPiPKlPlN2at6native12_GLOBAL__N_18offset_tEEE10hipError_tPvRmT1_PNSt15iterator_traitsIS12_E10value_typeET2_T3_PNS13_IS18_E10value_typeET4_jRbjT5_S1E_jjP12ihipStream_tbEUljE_ZNSN_ISO_Lb0ESQ_SR_ST_SU_SY_EESZ_S10_S11_S12_S16_S17_S18_S1B_S1C_jS1D_jS1E_S1E_jjS1G_bEUljE0_EEESZ_S10_S11_S18_S1C_S1E_T6_T7_T9_mT8_S1G_bDpT10_ENKUlT_T0_E_clISt17integral_constantIbLb0EES1U_EEDaS1P_S1Q_EUlS1P_E_NS1_11comp_targetILNS1_3genE9ELNS1_11target_archE1100ELNS1_3gpuE3ELNS1_3repE0EEENS1_30default_config_static_selectorELNS0_4arch9wavefront6targetE0EEEvS12_.private_seg_size, 0
	.set _ZN7rocprim17ROCPRIM_400000_NS6detail17trampoline_kernelINS0_13select_configILj256ELj13ELNS0_17block_load_methodE3ELS4_3ELS4_3ELNS0_20block_scan_algorithmE0ELj4294967295EEENS1_25partition_config_selectorILNS1_17partition_subalgoE4EjNS0_10empty_typeEbEEZZNS1_14partition_implILS8_4ELb0ES6_15HIP_vector_typeIjLj2EENS0_17counting_iteratorIjlEEPS9_SG_NS0_5tupleIJPjSI_NS0_16reverse_iteratorISI_EEEEENSH_IJSG_SG_SG_EEES9_SI_JZNS1_25segmented_radix_sort_implINS0_14default_configELb0EPKiPiPKlPlN2at6native12_GLOBAL__N_18offset_tEEE10hipError_tPvRmT1_PNSt15iterator_traitsIS12_E10value_typeET2_T3_PNS13_IS18_E10value_typeET4_jRbjT5_S1E_jjP12ihipStream_tbEUljE_ZNSN_ISO_Lb0ESQ_SR_ST_SU_SY_EESZ_S10_S11_S12_S16_S17_S18_S1B_S1C_jS1D_jS1E_S1E_jjS1G_bEUljE0_EEESZ_S10_S11_S18_S1C_S1E_T6_T7_T9_mT8_S1G_bDpT10_ENKUlT_T0_E_clISt17integral_constantIbLb0EES1U_EEDaS1P_S1Q_EUlS1P_E_NS1_11comp_targetILNS1_3genE9ELNS1_11target_archE1100ELNS1_3gpuE3ELNS1_3repE0EEENS1_30default_config_static_selectorELNS0_4arch9wavefront6targetE0EEEvS12_.uses_vcc, 0
	.set _ZN7rocprim17ROCPRIM_400000_NS6detail17trampoline_kernelINS0_13select_configILj256ELj13ELNS0_17block_load_methodE3ELS4_3ELS4_3ELNS0_20block_scan_algorithmE0ELj4294967295EEENS1_25partition_config_selectorILNS1_17partition_subalgoE4EjNS0_10empty_typeEbEEZZNS1_14partition_implILS8_4ELb0ES6_15HIP_vector_typeIjLj2EENS0_17counting_iteratorIjlEEPS9_SG_NS0_5tupleIJPjSI_NS0_16reverse_iteratorISI_EEEEENSH_IJSG_SG_SG_EEES9_SI_JZNS1_25segmented_radix_sort_implINS0_14default_configELb0EPKiPiPKlPlN2at6native12_GLOBAL__N_18offset_tEEE10hipError_tPvRmT1_PNSt15iterator_traitsIS12_E10value_typeET2_T3_PNS13_IS18_E10value_typeET4_jRbjT5_S1E_jjP12ihipStream_tbEUljE_ZNSN_ISO_Lb0ESQ_SR_ST_SU_SY_EESZ_S10_S11_S12_S16_S17_S18_S1B_S1C_jS1D_jS1E_S1E_jjS1G_bEUljE0_EEESZ_S10_S11_S18_S1C_S1E_T6_T7_T9_mT8_S1G_bDpT10_ENKUlT_T0_E_clISt17integral_constantIbLb0EES1U_EEDaS1P_S1Q_EUlS1P_E_NS1_11comp_targetILNS1_3genE9ELNS1_11target_archE1100ELNS1_3gpuE3ELNS1_3repE0EEENS1_30default_config_static_selectorELNS0_4arch9wavefront6targetE0EEEvS12_.uses_flat_scratch, 0
	.set _ZN7rocprim17ROCPRIM_400000_NS6detail17trampoline_kernelINS0_13select_configILj256ELj13ELNS0_17block_load_methodE3ELS4_3ELS4_3ELNS0_20block_scan_algorithmE0ELj4294967295EEENS1_25partition_config_selectorILNS1_17partition_subalgoE4EjNS0_10empty_typeEbEEZZNS1_14partition_implILS8_4ELb0ES6_15HIP_vector_typeIjLj2EENS0_17counting_iteratorIjlEEPS9_SG_NS0_5tupleIJPjSI_NS0_16reverse_iteratorISI_EEEEENSH_IJSG_SG_SG_EEES9_SI_JZNS1_25segmented_radix_sort_implINS0_14default_configELb0EPKiPiPKlPlN2at6native12_GLOBAL__N_18offset_tEEE10hipError_tPvRmT1_PNSt15iterator_traitsIS12_E10value_typeET2_T3_PNS13_IS18_E10value_typeET4_jRbjT5_S1E_jjP12ihipStream_tbEUljE_ZNSN_ISO_Lb0ESQ_SR_ST_SU_SY_EESZ_S10_S11_S12_S16_S17_S18_S1B_S1C_jS1D_jS1E_S1E_jjS1G_bEUljE0_EEESZ_S10_S11_S18_S1C_S1E_T6_T7_T9_mT8_S1G_bDpT10_ENKUlT_T0_E_clISt17integral_constantIbLb0EES1U_EEDaS1P_S1Q_EUlS1P_E_NS1_11comp_targetILNS1_3genE9ELNS1_11target_archE1100ELNS1_3gpuE3ELNS1_3repE0EEENS1_30default_config_static_selectorELNS0_4arch9wavefront6targetE0EEEvS12_.has_dyn_sized_stack, 0
	.set _ZN7rocprim17ROCPRIM_400000_NS6detail17trampoline_kernelINS0_13select_configILj256ELj13ELNS0_17block_load_methodE3ELS4_3ELS4_3ELNS0_20block_scan_algorithmE0ELj4294967295EEENS1_25partition_config_selectorILNS1_17partition_subalgoE4EjNS0_10empty_typeEbEEZZNS1_14partition_implILS8_4ELb0ES6_15HIP_vector_typeIjLj2EENS0_17counting_iteratorIjlEEPS9_SG_NS0_5tupleIJPjSI_NS0_16reverse_iteratorISI_EEEEENSH_IJSG_SG_SG_EEES9_SI_JZNS1_25segmented_radix_sort_implINS0_14default_configELb0EPKiPiPKlPlN2at6native12_GLOBAL__N_18offset_tEEE10hipError_tPvRmT1_PNSt15iterator_traitsIS12_E10value_typeET2_T3_PNS13_IS18_E10value_typeET4_jRbjT5_S1E_jjP12ihipStream_tbEUljE_ZNSN_ISO_Lb0ESQ_SR_ST_SU_SY_EESZ_S10_S11_S12_S16_S17_S18_S1B_S1C_jS1D_jS1E_S1E_jjS1G_bEUljE0_EEESZ_S10_S11_S18_S1C_S1E_T6_T7_T9_mT8_S1G_bDpT10_ENKUlT_T0_E_clISt17integral_constantIbLb0EES1U_EEDaS1P_S1Q_EUlS1P_E_NS1_11comp_targetILNS1_3genE9ELNS1_11target_archE1100ELNS1_3gpuE3ELNS1_3repE0EEENS1_30default_config_static_selectorELNS0_4arch9wavefront6targetE0EEEvS12_.has_recursion, 0
	.set _ZN7rocprim17ROCPRIM_400000_NS6detail17trampoline_kernelINS0_13select_configILj256ELj13ELNS0_17block_load_methodE3ELS4_3ELS4_3ELNS0_20block_scan_algorithmE0ELj4294967295EEENS1_25partition_config_selectorILNS1_17partition_subalgoE4EjNS0_10empty_typeEbEEZZNS1_14partition_implILS8_4ELb0ES6_15HIP_vector_typeIjLj2EENS0_17counting_iteratorIjlEEPS9_SG_NS0_5tupleIJPjSI_NS0_16reverse_iteratorISI_EEEEENSH_IJSG_SG_SG_EEES9_SI_JZNS1_25segmented_radix_sort_implINS0_14default_configELb0EPKiPiPKlPlN2at6native12_GLOBAL__N_18offset_tEEE10hipError_tPvRmT1_PNSt15iterator_traitsIS12_E10value_typeET2_T3_PNS13_IS18_E10value_typeET4_jRbjT5_S1E_jjP12ihipStream_tbEUljE_ZNSN_ISO_Lb0ESQ_SR_ST_SU_SY_EESZ_S10_S11_S12_S16_S17_S18_S1B_S1C_jS1D_jS1E_S1E_jjS1G_bEUljE0_EEESZ_S10_S11_S18_S1C_S1E_T6_T7_T9_mT8_S1G_bDpT10_ENKUlT_T0_E_clISt17integral_constantIbLb0EES1U_EEDaS1P_S1Q_EUlS1P_E_NS1_11comp_targetILNS1_3genE9ELNS1_11target_archE1100ELNS1_3gpuE3ELNS1_3repE0EEENS1_30default_config_static_selectorELNS0_4arch9wavefront6targetE0EEEvS12_.has_indirect_call, 0
	.section	.AMDGPU.csdata,"",@progbits
; Kernel info:
; codeLenInByte = 0
; TotalNumSgprs: 0
; NumVgprs: 0
; ScratchSize: 0
; MemoryBound: 0
; FloatMode: 240
; IeeeMode: 1
; LDSByteSize: 0 bytes/workgroup (compile time only)
; SGPRBlocks: 0
; VGPRBlocks: 0
; NumSGPRsForWavesPerEU: 1
; NumVGPRsForWavesPerEU: 1
; Occupancy: 16
; WaveLimiterHint : 0
; COMPUTE_PGM_RSRC2:SCRATCH_EN: 0
; COMPUTE_PGM_RSRC2:USER_SGPR: 6
; COMPUTE_PGM_RSRC2:TRAP_HANDLER: 0
; COMPUTE_PGM_RSRC2:TGID_X_EN: 1
; COMPUTE_PGM_RSRC2:TGID_Y_EN: 0
; COMPUTE_PGM_RSRC2:TGID_Z_EN: 0
; COMPUTE_PGM_RSRC2:TIDIG_COMP_CNT: 0
	.section	.text._ZN7rocprim17ROCPRIM_400000_NS6detail17trampoline_kernelINS0_13select_configILj256ELj13ELNS0_17block_load_methodE3ELS4_3ELS4_3ELNS0_20block_scan_algorithmE0ELj4294967295EEENS1_25partition_config_selectorILNS1_17partition_subalgoE4EjNS0_10empty_typeEbEEZZNS1_14partition_implILS8_4ELb0ES6_15HIP_vector_typeIjLj2EENS0_17counting_iteratorIjlEEPS9_SG_NS0_5tupleIJPjSI_NS0_16reverse_iteratorISI_EEEEENSH_IJSG_SG_SG_EEES9_SI_JZNS1_25segmented_radix_sort_implINS0_14default_configELb0EPKiPiPKlPlN2at6native12_GLOBAL__N_18offset_tEEE10hipError_tPvRmT1_PNSt15iterator_traitsIS12_E10value_typeET2_T3_PNS13_IS18_E10value_typeET4_jRbjT5_S1E_jjP12ihipStream_tbEUljE_ZNSN_ISO_Lb0ESQ_SR_ST_SU_SY_EESZ_S10_S11_S12_S16_S17_S18_S1B_S1C_jS1D_jS1E_S1E_jjS1G_bEUljE0_EEESZ_S10_S11_S18_S1C_S1E_T6_T7_T9_mT8_S1G_bDpT10_ENKUlT_T0_E_clISt17integral_constantIbLb0EES1U_EEDaS1P_S1Q_EUlS1P_E_NS1_11comp_targetILNS1_3genE8ELNS1_11target_archE1030ELNS1_3gpuE2ELNS1_3repE0EEENS1_30default_config_static_selectorELNS0_4arch9wavefront6targetE0EEEvS12_,"axG",@progbits,_ZN7rocprim17ROCPRIM_400000_NS6detail17trampoline_kernelINS0_13select_configILj256ELj13ELNS0_17block_load_methodE3ELS4_3ELS4_3ELNS0_20block_scan_algorithmE0ELj4294967295EEENS1_25partition_config_selectorILNS1_17partition_subalgoE4EjNS0_10empty_typeEbEEZZNS1_14partition_implILS8_4ELb0ES6_15HIP_vector_typeIjLj2EENS0_17counting_iteratorIjlEEPS9_SG_NS0_5tupleIJPjSI_NS0_16reverse_iteratorISI_EEEEENSH_IJSG_SG_SG_EEES9_SI_JZNS1_25segmented_radix_sort_implINS0_14default_configELb0EPKiPiPKlPlN2at6native12_GLOBAL__N_18offset_tEEE10hipError_tPvRmT1_PNSt15iterator_traitsIS12_E10value_typeET2_T3_PNS13_IS18_E10value_typeET4_jRbjT5_S1E_jjP12ihipStream_tbEUljE_ZNSN_ISO_Lb0ESQ_SR_ST_SU_SY_EESZ_S10_S11_S12_S16_S17_S18_S1B_S1C_jS1D_jS1E_S1E_jjS1G_bEUljE0_EEESZ_S10_S11_S18_S1C_S1E_T6_T7_T9_mT8_S1G_bDpT10_ENKUlT_T0_E_clISt17integral_constantIbLb0EES1U_EEDaS1P_S1Q_EUlS1P_E_NS1_11comp_targetILNS1_3genE8ELNS1_11target_archE1030ELNS1_3gpuE2ELNS1_3repE0EEENS1_30default_config_static_selectorELNS0_4arch9wavefront6targetE0EEEvS12_,comdat
	.globl	_ZN7rocprim17ROCPRIM_400000_NS6detail17trampoline_kernelINS0_13select_configILj256ELj13ELNS0_17block_load_methodE3ELS4_3ELS4_3ELNS0_20block_scan_algorithmE0ELj4294967295EEENS1_25partition_config_selectorILNS1_17partition_subalgoE4EjNS0_10empty_typeEbEEZZNS1_14partition_implILS8_4ELb0ES6_15HIP_vector_typeIjLj2EENS0_17counting_iteratorIjlEEPS9_SG_NS0_5tupleIJPjSI_NS0_16reverse_iteratorISI_EEEEENSH_IJSG_SG_SG_EEES9_SI_JZNS1_25segmented_radix_sort_implINS0_14default_configELb0EPKiPiPKlPlN2at6native12_GLOBAL__N_18offset_tEEE10hipError_tPvRmT1_PNSt15iterator_traitsIS12_E10value_typeET2_T3_PNS13_IS18_E10value_typeET4_jRbjT5_S1E_jjP12ihipStream_tbEUljE_ZNSN_ISO_Lb0ESQ_SR_ST_SU_SY_EESZ_S10_S11_S12_S16_S17_S18_S1B_S1C_jS1D_jS1E_S1E_jjS1G_bEUljE0_EEESZ_S10_S11_S18_S1C_S1E_T6_T7_T9_mT8_S1G_bDpT10_ENKUlT_T0_E_clISt17integral_constantIbLb0EES1U_EEDaS1P_S1Q_EUlS1P_E_NS1_11comp_targetILNS1_3genE8ELNS1_11target_archE1030ELNS1_3gpuE2ELNS1_3repE0EEENS1_30default_config_static_selectorELNS0_4arch9wavefront6targetE0EEEvS12_ ; -- Begin function _ZN7rocprim17ROCPRIM_400000_NS6detail17trampoline_kernelINS0_13select_configILj256ELj13ELNS0_17block_load_methodE3ELS4_3ELS4_3ELNS0_20block_scan_algorithmE0ELj4294967295EEENS1_25partition_config_selectorILNS1_17partition_subalgoE4EjNS0_10empty_typeEbEEZZNS1_14partition_implILS8_4ELb0ES6_15HIP_vector_typeIjLj2EENS0_17counting_iteratorIjlEEPS9_SG_NS0_5tupleIJPjSI_NS0_16reverse_iteratorISI_EEEEENSH_IJSG_SG_SG_EEES9_SI_JZNS1_25segmented_radix_sort_implINS0_14default_configELb0EPKiPiPKlPlN2at6native12_GLOBAL__N_18offset_tEEE10hipError_tPvRmT1_PNSt15iterator_traitsIS12_E10value_typeET2_T3_PNS13_IS18_E10value_typeET4_jRbjT5_S1E_jjP12ihipStream_tbEUljE_ZNSN_ISO_Lb0ESQ_SR_ST_SU_SY_EESZ_S10_S11_S12_S16_S17_S18_S1B_S1C_jS1D_jS1E_S1E_jjS1G_bEUljE0_EEESZ_S10_S11_S18_S1C_S1E_T6_T7_T9_mT8_S1G_bDpT10_ENKUlT_T0_E_clISt17integral_constantIbLb0EES1U_EEDaS1P_S1Q_EUlS1P_E_NS1_11comp_targetILNS1_3genE8ELNS1_11target_archE1030ELNS1_3gpuE2ELNS1_3repE0EEENS1_30default_config_static_selectorELNS0_4arch9wavefront6targetE0EEEvS12_
	.p2align	8
	.type	_ZN7rocprim17ROCPRIM_400000_NS6detail17trampoline_kernelINS0_13select_configILj256ELj13ELNS0_17block_load_methodE3ELS4_3ELS4_3ELNS0_20block_scan_algorithmE0ELj4294967295EEENS1_25partition_config_selectorILNS1_17partition_subalgoE4EjNS0_10empty_typeEbEEZZNS1_14partition_implILS8_4ELb0ES6_15HIP_vector_typeIjLj2EENS0_17counting_iteratorIjlEEPS9_SG_NS0_5tupleIJPjSI_NS0_16reverse_iteratorISI_EEEEENSH_IJSG_SG_SG_EEES9_SI_JZNS1_25segmented_radix_sort_implINS0_14default_configELb0EPKiPiPKlPlN2at6native12_GLOBAL__N_18offset_tEEE10hipError_tPvRmT1_PNSt15iterator_traitsIS12_E10value_typeET2_T3_PNS13_IS18_E10value_typeET4_jRbjT5_S1E_jjP12ihipStream_tbEUljE_ZNSN_ISO_Lb0ESQ_SR_ST_SU_SY_EESZ_S10_S11_S12_S16_S17_S18_S1B_S1C_jS1D_jS1E_S1E_jjS1G_bEUljE0_EEESZ_S10_S11_S18_S1C_S1E_T6_T7_T9_mT8_S1G_bDpT10_ENKUlT_T0_E_clISt17integral_constantIbLb0EES1U_EEDaS1P_S1Q_EUlS1P_E_NS1_11comp_targetILNS1_3genE8ELNS1_11target_archE1030ELNS1_3gpuE2ELNS1_3repE0EEENS1_30default_config_static_selectorELNS0_4arch9wavefront6targetE0EEEvS12_,@function
_ZN7rocprim17ROCPRIM_400000_NS6detail17trampoline_kernelINS0_13select_configILj256ELj13ELNS0_17block_load_methodE3ELS4_3ELS4_3ELNS0_20block_scan_algorithmE0ELj4294967295EEENS1_25partition_config_selectorILNS1_17partition_subalgoE4EjNS0_10empty_typeEbEEZZNS1_14partition_implILS8_4ELb0ES6_15HIP_vector_typeIjLj2EENS0_17counting_iteratorIjlEEPS9_SG_NS0_5tupleIJPjSI_NS0_16reverse_iteratorISI_EEEEENSH_IJSG_SG_SG_EEES9_SI_JZNS1_25segmented_radix_sort_implINS0_14default_configELb0EPKiPiPKlPlN2at6native12_GLOBAL__N_18offset_tEEE10hipError_tPvRmT1_PNSt15iterator_traitsIS12_E10value_typeET2_T3_PNS13_IS18_E10value_typeET4_jRbjT5_S1E_jjP12ihipStream_tbEUljE_ZNSN_ISO_Lb0ESQ_SR_ST_SU_SY_EESZ_S10_S11_S12_S16_S17_S18_S1B_S1C_jS1D_jS1E_S1E_jjS1G_bEUljE0_EEESZ_S10_S11_S18_S1C_S1E_T6_T7_T9_mT8_S1G_bDpT10_ENKUlT_T0_E_clISt17integral_constantIbLb0EES1U_EEDaS1P_S1Q_EUlS1P_E_NS1_11comp_targetILNS1_3genE8ELNS1_11target_archE1030ELNS1_3gpuE2ELNS1_3repE0EEENS1_30default_config_static_selectorELNS0_4arch9wavefront6targetE0EEEvS12_: ; @_ZN7rocprim17ROCPRIM_400000_NS6detail17trampoline_kernelINS0_13select_configILj256ELj13ELNS0_17block_load_methodE3ELS4_3ELS4_3ELNS0_20block_scan_algorithmE0ELj4294967295EEENS1_25partition_config_selectorILNS1_17partition_subalgoE4EjNS0_10empty_typeEbEEZZNS1_14partition_implILS8_4ELb0ES6_15HIP_vector_typeIjLj2EENS0_17counting_iteratorIjlEEPS9_SG_NS0_5tupleIJPjSI_NS0_16reverse_iteratorISI_EEEEENSH_IJSG_SG_SG_EEES9_SI_JZNS1_25segmented_radix_sort_implINS0_14default_configELb0EPKiPiPKlPlN2at6native12_GLOBAL__N_18offset_tEEE10hipError_tPvRmT1_PNSt15iterator_traitsIS12_E10value_typeET2_T3_PNS13_IS18_E10value_typeET4_jRbjT5_S1E_jjP12ihipStream_tbEUljE_ZNSN_ISO_Lb0ESQ_SR_ST_SU_SY_EESZ_S10_S11_S12_S16_S17_S18_S1B_S1C_jS1D_jS1E_S1E_jjS1G_bEUljE0_EEESZ_S10_S11_S18_S1C_S1E_T6_T7_T9_mT8_S1G_bDpT10_ENKUlT_T0_E_clISt17integral_constantIbLb0EES1U_EEDaS1P_S1Q_EUlS1P_E_NS1_11comp_targetILNS1_3genE8ELNS1_11target_archE1030ELNS1_3gpuE2ELNS1_3repE0EEENS1_30default_config_static_selectorELNS0_4arch9wavefront6targetE0EEEvS12_
; %bb.0:
	s_clause 0x6
	s_load_dword s3, s[4:5], 0x80
	s_load_dwordx2 s[34:35], s[4:5], 0x10
	s_load_dwordx2 s[0:1], s[4:5], 0x68
	s_load_dword s7, s[4:5], 0x8
	s_load_dwordx4 s[24:27], s[4:5], 0x58
	s_load_dwordx2 s[40:41], s[4:5], 0xa8
	s_load_dwordx8 s[16:23], s[4:5], 0x88
	s_mul_i32 s42, s6, 0xd00
	s_waitcnt lgkmcnt(0)
	s_mul_i32 s2, s3, 0xd00
	s_add_i32 s3, s3, -1
	s_add_u32 s8, s34, s2
	s_addc_u32 s9, s35, 0
	s_load_dwordx4 s[28:31], s[26:27], 0x0
	s_cmp_eq_u32 s6, s3
	v_cmp_gt_u64_e64 s1, s[0:1], s[8:9]
	s_cselect_b32 s33, -1, 0
	s_cmp_lg_u32 s6, s3
	s_cselect_b32 s3, -1, 0
	s_add_i32 s7, s7, s42
	s_or_b32 s1, s3, s1
	s_add_i32 s7, s7, s34
	s_and_b32 vcc_lo, exec_lo, s1
	v_add_nc_u32_e32 v1, s7, v0
	s_mov_b32 s3, -1
	v_add_nc_u32_e32 v2, 0x100, v1
	v_add_nc_u32_e32 v3, 0x200, v1
	;; [unrolled: 1-line block ×12, first 2 shown]
	s_cbranch_vccz .LBB538_2
; %bb.1:
	v_lshlrev_b32_e32 v14, 2, v0
	s_mov_b32 s3, 0
	ds_write2st64_b32 v14, v1, v2 offset1:4
	ds_write2st64_b32 v14, v3, v4 offset0:8 offset1:12
	ds_write2st64_b32 v14, v5, v6 offset0:16 offset1:20
	ds_write2st64_b32 v14, v7, v8 offset0:24 offset1:28
	ds_write2st64_b32 v14, v9, v10 offset0:32 offset1:36
	ds_write2st64_b32 v14, v11, v12 offset0:40 offset1:44
	ds_write_b32 v14, v13 offset:12288
	s_waitcnt lgkmcnt(0)
	s_barrier
.LBB538_2:
	s_andn2_b32 vcc_lo, exec_lo, s3
	s_add_i32 s2, s2, s34
	s_cbranch_vccnz .LBB538_4
; %bb.3:
	v_lshlrev_b32_e32 v14, 2, v0
	ds_write2st64_b32 v14, v1, v2 offset1:4
	ds_write2st64_b32 v14, v3, v4 offset0:8 offset1:12
	ds_write2st64_b32 v14, v5, v6 offset0:16 offset1:20
	;; [unrolled: 1-line block ×5, first 2 shown]
	ds_write_b32 v14, v13 offset:12288
	s_waitcnt lgkmcnt(0)
	s_barrier
.LBB538_4:
	v_mul_u32_u24_e32 v29, 13, v0
	s_clause 0x1
	s_load_dwordx4 s[36:39], s[4:5], 0x28
	s_load_dwordx2 s[26:27], s[4:5], 0x38
	s_waitcnt lgkmcnt(0)
	buffer_gl0_inv
	v_cndmask_b32_e64 v27, 0, 1, s1
	s_sub_i32 s43, s0, s2
	v_lshlrev_b32_e32 v1, 2, v29
	s_andn2_b32 vcc_lo, exec_lo, s1
	ds_read_b32 v28, v1 offset:48
	ds_read2_b32 v[9:10], v1 offset0:10 offset1:11
	ds_read2_b32 v[11:12], v1 offset0:8 offset1:9
	;; [unrolled: 1-line block ×4, first 2 shown]
	ds_read2_b32 v[19:20], v1 offset1:1
	ds_read2_b32 v[17:18], v1 offset0:2 offset1:3
	s_waitcnt lgkmcnt(0)
	s_barrier
	buffer_gl0_inv
	s_cbranch_vccnz .LBB538_32
; %bb.5:
	v_add_nc_u32_e32 v1, s17, v19
	v_add_nc_u32_e32 v2, s19, v19
	s_mov_b32 s45, 0
	s_mov_b32 s44, 0
	s_mov_b32 s1, exec_lo
	v_mul_lo_u32 v1, v1, s16
	v_mul_lo_u32 v2, v2, s18
	v_sub_nc_u32_e32 v1, v1, v2
	v_cmp_lt_u32_e32 vcc_lo, s20, v1
	v_cmpx_ge_u32_e64 s20, v1
	s_cbranch_execz .LBB538_7
; %bb.6:
	v_add_nc_u32_e32 v1, s22, v19
	v_add_nc_u32_e32 v2, s40, v19
	v_mul_lo_u32 v1, v1, s21
	v_mul_lo_u32 v2, v2, s23
	v_sub_nc_u32_e32 v1, v1, v2
	v_cmp_lt_u32_e64 s0, s41, v1
	s_and_b32 s44, s0, exec_lo
.LBB538_7:
	s_or_b32 exec_lo, exec_lo, s1
	v_add_nc_u32_e32 v1, s17, v20
	v_add_nc_u32_e32 v2, s19, v20
	s_mov_b32 s2, exec_lo
	v_mul_lo_u32 v1, v1, s16
	v_mul_lo_u32 v2, v2, s18
	v_sub_nc_u32_e32 v1, v1, v2
	v_cmp_lt_u32_e64 s0, s20, v1
	v_cmpx_ge_u32_e64 s20, v1
	s_cbranch_execz .LBB538_9
; %bb.8:
	v_add_nc_u32_e32 v1, s22, v20
	v_add_nc_u32_e32 v2, s40, v20
	v_mul_lo_u32 v1, v1, s21
	v_mul_lo_u32 v2, v2, s23
	v_sub_nc_u32_e32 v1, v1, v2
	v_cmp_lt_u32_e64 s1, s41, v1
	s_and_b32 s45, s1, exec_lo
.LBB538_9:
	s_or_b32 exec_lo, exec_lo, s2
	v_add_nc_u32_e32 v1, s17, v17
	v_add_nc_u32_e32 v2, s19, v17
	s_mov_b32 s47, 0
	s_mov_b32 s46, 0
	s_mov_b32 s3, exec_lo
	v_mul_lo_u32 v1, v1, s16
	v_mul_lo_u32 v2, v2, s18
	v_sub_nc_u32_e32 v1, v1, v2
	v_cmp_lt_u32_e64 s1, s20, v1
	v_cmpx_ge_u32_e64 s20, v1
	s_cbranch_execz .LBB538_11
; %bb.10:
	v_add_nc_u32_e32 v1, s22, v17
	v_add_nc_u32_e32 v2, s40, v17
	v_mul_lo_u32 v1, v1, s21
	v_mul_lo_u32 v2, v2, s23
	v_sub_nc_u32_e32 v1, v1, v2
	v_cmp_lt_u32_e64 s2, s41, v1
	s_and_b32 s46, s2, exec_lo
.LBB538_11:
	s_or_b32 exec_lo, exec_lo, s3
	v_add_nc_u32_e32 v1, s17, v18
	v_add_nc_u32_e32 v2, s19, v18
	s_mov_b32 s7, exec_lo
	v_mul_lo_u32 v1, v1, s16
	v_mul_lo_u32 v2, v2, s18
	v_sub_nc_u32_e32 v1, v1, v2
	v_cmp_lt_u32_e64 s2, s20, v1
	v_cmpx_ge_u32_e64 s20, v1
	s_cbranch_execz .LBB538_13
; %bb.12:
	v_add_nc_u32_e32 v1, s22, v18
	v_add_nc_u32_e32 v2, s40, v18
	v_mul_lo_u32 v1, v1, s21
	v_mul_lo_u32 v2, v2, s23
	v_sub_nc_u32_e32 v1, v1, v2
	v_cmp_lt_u32_e64 s3, s41, v1
	s_and_b32 s47, s3, exec_lo
.LBB538_13:
	s_or_b32 exec_lo, exec_lo, s7
	v_add_nc_u32_e32 v1, s17, v15
	v_add_nc_u32_e32 v2, s19, v15
	s_mov_b32 s49, 0
	s_mov_b32 s48, 0
	s_mov_b32 s8, exec_lo
	v_mul_lo_u32 v1, v1, s16
	v_mul_lo_u32 v2, v2, s18
	v_sub_nc_u32_e32 v1, v1, v2
	v_cmp_lt_u32_e64 s3, s20, v1
	v_cmpx_ge_u32_e64 s20, v1
	s_cbranch_execz .LBB538_15
; %bb.14:
	v_add_nc_u32_e32 v1, s22, v15
	v_add_nc_u32_e32 v2, s40, v15
	v_mul_lo_u32 v1, v1, s21
	v_mul_lo_u32 v2, v2, s23
	v_sub_nc_u32_e32 v1, v1, v2
	v_cmp_lt_u32_e64 s7, s41, v1
	s_and_b32 s48, s7, exec_lo
.LBB538_15:
	s_or_b32 exec_lo, exec_lo, s8
	v_add_nc_u32_e32 v1, s17, v16
	v_add_nc_u32_e32 v2, s19, v16
	s_mov_b32 s9, exec_lo
	v_mul_lo_u32 v1, v1, s16
	v_mul_lo_u32 v2, v2, s18
	v_sub_nc_u32_e32 v1, v1, v2
	v_cmp_lt_u32_e64 s7, s20, v1
	v_cmpx_ge_u32_e64 s20, v1
	s_cbranch_execz .LBB538_17
; %bb.16:
	v_add_nc_u32_e32 v1, s22, v16
	v_add_nc_u32_e32 v2, s40, v16
	v_mul_lo_u32 v1, v1, s21
	v_mul_lo_u32 v2, v2, s23
	v_sub_nc_u32_e32 v1, v1, v2
	v_cmp_lt_u32_e64 s8, s41, v1
	s_and_b32 s49, s8, exec_lo
.LBB538_17:
	s_or_b32 exec_lo, exec_lo, s9
	v_add_nc_u32_e32 v1, s17, v13
	v_add_nc_u32_e32 v2, s19, v13
	s_mov_b32 s51, 0
	s_mov_b32 s50, 0
	s_mov_b32 s10, exec_lo
	v_mul_lo_u32 v1, v1, s16
	v_mul_lo_u32 v2, v2, s18
	v_sub_nc_u32_e32 v1, v1, v2
	v_cmp_lt_u32_e64 s8, s20, v1
	v_cmpx_ge_u32_e64 s20, v1
	s_cbranch_execz .LBB538_19
; %bb.18:
	v_add_nc_u32_e32 v1, s22, v13
	v_add_nc_u32_e32 v2, s40, v13
	v_mul_lo_u32 v1, v1, s21
	v_mul_lo_u32 v2, v2, s23
	v_sub_nc_u32_e32 v1, v1, v2
	v_cmp_lt_u32_e64 s9, s41, v1
	s_and_b32 s50, s9, exec_lo
.LBB538_19:
	s_or_b32 exec_lo, exec_lo, s10
	v_add_nc_u32_e32 v1, s17, v14
	v_add_nc_u32_e32 v2, s19, v14
	s_mov_b32 s11, exec_lo
	v_mul_lo_u32 v1, v1, s16
	v_mul_lo_u32 v2, v2, s18
	v_sub_nc_u32_e32 v1, v1, v2
	v_cmp_lt_u32_e64 s9, s20, v1
	v_cmpx_ge_u32_e64 s20, v1
	s_cbranch_execz .LBB538_21
; %bb.20:
	v_add_nc_u32_e32 v1, s22, v14
	v_add_nc_u32_e32 v2, s40, v14
	v_mul_lo_u32 v1, v1, s21
	v_mul_lo_u32 v2, v2, s23
	v_sub_nc_u32_e32 v1, v1, v2
	v_cmp_lt_u32_e64 s10, s41, v1
	s_and_b32 s51, s10, exec_lo
.LBB538_21:
	s_or_b32 exec_lo, exec_lo, s11
	v_add_nc_u32_e32 v1, s17, v11
	v_add_nc_u32_e32 v2, s19, v11
	s_mov_b32 s53, 0
	s_mov_b32 s52, 0
	s_mov_b32 s12, exec_lo
	v_mul_lo_u32 v1, v1, s16
	v_mul_lo_u32 v2, v2, s18
	v_sub_nc_u32_e32 v1, v1, v2
	v_cmp_lt_u32_e64 s10, s20, v1
	v_cmpx_ge_u32_e64 s20, v1
	s_cbranch_execz .LBB538_23
; %bb.22:
	v_add_nc_u32_e32 v1, s22, v11
	v_add_nc_u32_e32 v2, s40, v11
	v_mul_lo_u32 v1, v1, s21
	v_mul_lo_u32 v2, v2, s23
	v_sub_nc_u32_e32 v1, v1, v2
	v_cmp_lt_u32_e64 s11, s41, v1
	s_and_b32 s52, s11, exec_lo
.LBB538_23:
	s_or_b32 exec_lo, exec_lo, s12
	v_add_nc_u32_e32 v1, s17, v12
	v_add_nc_u32_e32 v2, s19, v12
	s_mov_b32 s13, exec_lo
	v_mul_lo_u32 v1, v1, s16
	v_mul_lo_u32 v2, v2, s18
	v_sub_nc_u32_e32 v1, v1, v2
	v_cmp_lt_u32_e64 s11, s20, v1
	v_cmpx_ge_u32_e64 s20, v1
	s_cbranch_execz .LBB538_25
; %bb.24:
	v_add_nc_u32_e32 v1, s22, v12
	v_add_nc_u32_e32 v2, s40, v12
	v_mul_lo_u32 v1, v1, s21
	v_mul_lo_u32 v2, v2, s23
	v_sub_nc_u32_e32 v1, v1, v2
	v_cmp_lt_u32_e64 s12, s41, v1
	s_and_b32 s53, s12, exec_lo
.LBB538_25:
	s_or_b32 exec_lo, exec_lo, s13
	v_add_nc_u32_e32 v1, s17, v9
	v_add_nc_u32_e32 v2, s19, v9
	s_mov_b32 s55, 0
	s_mov_b32 s56, 0
	s_mov_b32 s14, exec_lo
	v_mul_lo_u32 v1, v1, s16
	v_mul_lo_u32 v2, v2, s18
	v_sub_nc_u32_e32 v1, v1, v2
	v_cmp_lt_u32_e64 s12, s20, v1
	v_cmpx_ge_u32_e64 s20, v1
	s_cbranch_execz .LBB538_27
; %bb.26:
	v_add_nc_u32_e32 v1, s22, v9
	v_add_nc_u32_e32 v2, s40, v9
	v_mul_lo_u32 v1, v1, s21
	v_mul_lo_u32 v2, v2, s23
	v_sub_nc_u32_e32 v1, v1, v2
	v_cmp_lt_u32_e64 s13, s41, v1
	s_and_b32 s56, s13, exec_lo
.LBB538_27:
	s_or_b32 exec_lo, exec_lo, s14
	v_add_nc_u32_e32 v1, s17, v10
	v_add_nc_u32_e32 v2, s19, v10
	s_mov_b32 s15, exec_lo
	v_mul_lo_u32 v1, v1, s16
	v_mul_lo_u32 v2, v2, s18
	v_sub_nc_u32_e32 v1, v1, v2
	v_cmp_lt_u32_e64 s13, s20, v1
	v_cmpx_ge_u32_e64 s20, v1
	s_cbranch_execz .LBB538_29
; %bb.28:
	v_add_nc_u32_e32 v1, s22, v10
	v_add_nc_u32_e32 v2, s40, v10
	v_mul_lo_u32 v1, v1, s21
	v_mul_lo_u32 v2, v2, s23
	v_sub_nc_u32_e32 v1, v1, v2
	v_cmp_lt_u32_e64 s14, s41, v1
	s_and_b32 s55, s14, exec_lo
.LBB538_29:
	s_or_b32 exec_lo, exec_lo, s15
	v_add_nc_u32_e32 v1, s17, v28
	v_add_nc_u32_e32 v2, s19, v28
	s_mov_b32 s54, 0
	s_mov_b32 s57, 0
	s_mov_b32 s58, exec_lo
	v_mul_lo_u32 v1, v1, s16
	v_mul_lo_u32 v2, v2, s18
	v_sub_nc_u32_e32 v1, v1, v2
	v_cmp_lt_u32_e64 s14, s20, v1
	v_cmpx_ge_u32_e64 s20, v1
	s_cbranch_execz .LBB538_31
; %bb.30:
	v_add_nc_u32_e32 v1, s22, v28
	v_add_nc_u32_e32 v2, s40, v28
	v_mul_lo_u32 v1, v1, s21
	v_mul_lo_u32 v2, v2, s23
	v_sub_nc_u32_e32 v1, v1, v2
	v_cmp_lt_u32_e64 s15, s41, v1
	s_and_b32 s57, s15, exec_lo
.LBB538_31:
	s_or_b32 exec_lo, exec_lo, s58
	v_cndmask_b32_e64 v2, 0, 1, s0
	v_cndmask_b32_e64 v4, 0, 1, s2
	v_cndmask_b32_e64 v1, 0, 1, vcc_lo
	v_cndmask_b32_e64 v3, 0, 1, s1
	v_cndmask_b32_e64 v6, 0, 1, s7
	v_lshlrev_b16 v2, 8, v2
	v_lshlrev_b16 v4, 8, v4
	v_cndmask_b32_e64 v8, 0, 1, s9
	v_cndmask_b32_e64 v22, 0, 1, s11
	v_cndmask_b32_e64 v25, 0, 1, s13
	v_or_b32_e32 v1, v1, v2
	v_or_b32_sdwa v2, v3, v4 dst_sel:WORD_1 dst_unused:UNUSED_PAD src0_sel:DWORD src1_sel:DWORD
	v_cndmask_b32_e64 v3, 0, 1, s44
	v_cndmask_b32_e64 v5, 0, 1, s3
	;; [unrolled: 1-line block ×11, first 2 shown]
	v_or_b32_sdwa v30, v1, v2 dst_sel:DWORD dst_unused:UNUSED_PAD src0_sel:WORD_0 src1_sel:DWORD
	v_lshlrev_b16 v1, 8, v6
	v_lshlrev_b16 v2, 8, v8
	;; [unrolled: 1-line block ×5, first 2 shown]
	v_cndmask_b32_e64 v26, 0, 1, s53
	v_cndmask_b32_e64 v32, 0, 1, s51
	;; [unrolled: 1-line block ×5, first 2 shown]
	v_or_b32_e32 v1, v5, v1
	v_or_b32_sdwa v2, v7, v2 dst_sel:WORD_1 dst_unused:UNUSED_PAD src0_sel:DWORD src1_sel:DWORD
	v_or_b32_e32 v5, v21, v6
	v_or_b32_sdwa v6, v23, v8 dst_sel:WORD_1 dst_unused:UNUSED_PAD src0_sel:DWORD src1_sel:DWORD
	v_or_b32_e32 v3, v4, v3
	v_lshlrev_b16 v4, 8, v39
	v_lshlrev_b16 v7, 8, v36
	;; [unrolled: 1-line block ×5, first 2 shown]
	v_or_b32_sdwa v4, v40, v4 dst_sel:WORD_1 dst_unused:UNUSED_PAD src0_sel:DWORD src1_sel:DWORD
	v_or_b32_e32 v7, v38, v7
	v_or_b32_sdwa v8, v35, v8 dst_sel:WORD_1 dst_unused:UNUSED_PAD src0_sel:DWORD src1_sel:DWORD
	v_or_b32_e32 v21, v32, v21
	v_or_b32_sdwa v22, v26, v22 dst_sel:WORD_1 dst_unused:UNUSED_PAD src0_sel:DWORD src1_sel:DWORD
	v_cndmask_b32_e64 v34, 0, 1, s55
	v_cndmask_b32_e64 v37, 0, 1, s57
	v_or_b32_sdwa v32, v1, v2 dst_sel:DWORD dst_unused:UNUSED_PAD src0_sel:WORD_0 src1_sel:DWORD
	v_or_b32_sdwa v35, v5, v6 dst_sel:DWORD dst_unused:UNUSED_PAD src0_sel:WORD_0 src1_sel:DWORD
	;; [unrolled: 1-line block ×5, first 2 shown]
	s_load_dwordx2 s[4:5], s[4:5], 0x78
	s_and_b32 vcc_lo, exec_lo, s54
	s_add_i32 s7, s43, 0xd00
	s_cbranch_vccnz .LBB538_33
	s_branch .LBB538_110
.LBB538_32:
                                        ; implicit-def: $vgpr37
                                        ; implicit-def: $vgpr34
                                        ; implicit-def: $vgpr33
                                        ; implicit-def: $vgpr31
                                        ; implicit-def: $vgpr36
                                        ; implicit-def: $vgpr35
                                        ; implicit-def: $vgpr32
                                        ; implicit-def: $vgpr30
	s_load_dwordx2 s[4:5], s[4:5], 0x78
	s_add_i32 s7, s43, 0xd00
	s_cbranch_execz .LBB538_110
.LBB538_33:
	v_mov_b32_e32 v2, 0
	v_mov_b32_e32 v1, 0
	s_mov_b32 s1, exec_lo
	v_cmpx_gt_u32_e64 s7, v29
	s_cbranch_execz .LBB538_37
; %bb.34:
	v_add_nc_u32_e32 v1, s17, v19
	v_add_nc_u32_e32 v2, s19, v19
	s_mov_b32 s3, 0
	s_mov_b32 s2, exec_lo
	v_mul_lo_u32 v1, v1, s16
	v_mul_lo_u32 v2, v2, s18
	v_sub_nc_u32_e32 v1, v1, v2
	v_cmp_lt_u32_e32 vcc_lo, s20, v1
	v_cmpx_ge_u32_e64 s20, v1
	s_cbranch_execz .LBB538_36
; %bb.35:
	v_add_nc_u32_e32 v1, s22, v19
	v_add_nc_u32_e32 v2, s40, v19
	v_mul_lo_u32 v1, v1, s21
	v_mul_lo_u32 v2, v2, s23
	v_sub_nc_u32_e32 v1, v1, v2
	v_cmp_lt_u32_e64 s0, s41, v1
	s_and_b32 s3, s0, exec_lo
.LBB538_36:
	s_or_b32 exec_lo, exec_lo, s2
	v_cndmask_b32_e64 v2, 0, 1, s3
	v_cndmask_b32_e64 v1, 0, 1, vcc_lo
.LBB538_37:
	s_or_b32 exec_lo, exec_lo, s1
	v_add_nc_u32_e32 v3, 1, v29
	v_lshlrev_b16 v21, 8, v2
	v_and_b32_e32 v6, 0xff, v1
	v_lshlrev_b16 v7, 8, 0
                                        ; implicit-def: $vgpr5
                                        ; implicit-def: $vgpr8
                                        ; implicit-def: $vgpr2
                                        ; implicit-def: $vgpr4
	v_cmp_le_u32_e32 vcc_lo, s7, v3
                                        ; implicit-def: $vgpr3
	s_and_saveexec_b32 s0, vcc_lo
	s_xor_b32 s0, exec_lo, s0
	s_cbranch_execz .LBB538_39
; %bb.38:
	v_mov_b32_e32 v1, 8
	v_mov_b32_e32 v2, 0xff
	;; [unrolled: 1-line block ×3, first 2 shown]
	v_and_b32_e32 v4, 0xffff, v7
	v_and_b32_e32 v3, 0xffff, v7
	v_lshrrev_b32_sdwa v1, v1, v21 dst_sel:BYTE_1 dst_unused:UNUSED_PAD src0_sel:DWORD src1_sel:WORD_0
	v_and_b32_sdwa v2, v21, v2 dst_sel:DWORD dst_unused:UNUSED_PAD src0_sel:WORD_0 src1_sel:DWORD
                                        ; implicit-def: $vgpr21
	v_or_b32_e32 v1, v2, v1
	v_and_b32_e32 v2, 0xffff, v7
                                        ; implicit-def: $vgpr7
	v_and_b32_e32 v8, 0xffff, v1
                                        ; implicit-def: $vgpr1
.LBB538_39:
	s_andn2_saveexec_b32 s1, s0
	s_cbranch_execz .LBB538_43
; %bb.40:
	v_add_nc_u32_e32 v2, s17, v20
	v_add_nc_u32_e32 v3, s19, v20
	s_mov_b32 s2, 0
	s_mov_b32 s3, exec_lo
	v_mul_lo_u32 v2, v2, s16
	v_mul_lo_u32 v3, v3, s18
	v_sub_nc_u32_e32 v2, v2, v3
	v_cmp_lt_u32_e32 vcc_lo, s20, v2
	v_cmpx_ge_u32_e64 s20, v2
	s_cbranch_execz .LBB538_42
; %bb.41:
	v_add_nc_u32_e32 v2, s22, v20
	v_add_nc_u32_e32 v3, s40, v20
	v_mul_lo_u32 v2, v2, s21
	v_mul_lo_u32 v3, v3, s23
	v_sub_nc_u32_e32 v2, v2, v3
	v_cmp_lt_u32_e64 s0, s41, v2
	s_and_b32 s2, s0, exec_lo
.LBB538_42:
	s_or_b32 exec_lo, exec_lo, s3
	v_mov_b32_e32 v2, 0xff
	v_mov_b32_e32 v3, 8
	v_cndmask_b32_e64 v4, 0, 1, vcc_lo
	v_mov_b32_e32 v5, 0
	v_and_b32_sdwa v2, v21, v2 dst_sel:DWORD dst_unused:UNUSED_PAD src0_sel:WORD_0 src1_sel:DWORD
	v_lshrrev_b32_sdwa v3, v3, v21 dst_sel:BYTE_1 dst_unused:UNUSED_PAD src0_sel:DWORD src1_sel:WORD_0
	v_lshlrev_b16 v4, 8, v4
	v_or_b32_e32 v2, v2, v3
	v_cndmask_b32_e64 v3, 0, 1, s2
	v_or_b32_sdwa v1, v1, v4 dst_sel:DWORD dst_unused:UNUSED_PAD src0_sel:BYTE_0 src1_sel:DWORD
	v_and_b32_e32 v4, 0xffff, v7
	v_and_b32_e32 v8, 0xffff, v2
	v_mov_b32_e32 v2, 0
	v_and_b32_e32 v6, 0xffff, v1
	v_lshl_or_b32 v8, v3, 16, v8
	v_and_b32_e32 v3, 0xffff, v7
.LBB538_43:
	s_or_b32 exec_lo, exec_lo, s1
	v_add_nc_u32_e32 v1, 2, v29
                                        ; implicit-def: $vgpr7
	v_cmp_le_u32_e32 vcc_lo, s7, v1
                                        ; implicit-def: $vgpr1
	s_and_saveexec_b32 s0, vcc_lo
	s_xor_b32 s0, exec_lo, s0
	s_cbranch_execz .LBB538_45
; %bb.44:
	v_lshrrev_b32_e32 v1, 24, v6
	v_mov_b32_e32 v7, 8
	v_and_b32_e32 v21, 0xff0000, v8
	v_perm_b32 v4, v4, v4, 0x3060504
	v_perm_b32 v1, v1, v6, 0x40c0100
	v_lshrrev_b32_sdwa v6, v7, v1 dst_sel:BYTE_1 dst_unused:UNUSED_PAD src0_sel:DWORD src1_sel:DWORD
	v_or_b32_sdwa v6, v1, v6 dst_sel:DWORD dst_unused:UNUSED_PAD src0_sel:BYTE_0 src1_sel:DWORD
	v_and_b32_e32 v6, 0xffff, v6
	v_and_or_b32 v7, 0xff000000, v1, v6
	v_perm_b32 v1, v8, v21, 0x3020504
                                        ; implicit-def: $vgpr6
                                        ; implicit-def: $vgpr8
.LBB538_45:
	s_andn2_saveexec_b32 s1, s0
	s_cbranch_execz .LBB538_49
; %bb.46:
	v_add_nc_u32_e32 v1, s17, v17
	v_add_nc_u32_e32 v7, s19, v17
	s_mov_b32 s2, 0
	s_mov_b32 s3, exec_lo
	v_mul_lo_u32 v1, v1, s16
	v_mul_lo_u32 v7, v7, s18
	v_sub_nc_u32_e32 v1, v1, v7
	v_cmp_lt_u32_e32 vcc_lo, s20, v1
	v_cmpx_ge_u32_e64 s20, v1
	s_cbranch_execz .LBB538_48
; %bb.47:
	v_add_nc_u32_e32 v1, s22, v17
	v_add_nc_u32_e32 v7, s40, v17
	v_mul_lo_u32 v1, v1, s21
	v_mul_lo_u32 v7, v7, s23
	v_sub_nc_u32_e32 v1, v1, v7
	v_cmp_lt_u32_e64 s0, s41, v1
	s_and_b32 s2, s0, exec_lo
.LBB538_48:
	s_or_b32 exec_lo, exec_lo, s3
	v_mov_b32_e32 v1, 8
	v_mov_b32_e32 v7, 24
	v_cndmask_b32_e64 v22, 0, 1, s2
	v_mov_b32_e32 v23, 0xff
	v_cndmask_b32_e64 v21, 0, 1, vcc_lo
	v_lshrrev_b32_sdwa v24, v1, v6 dst_sel:BYTE_1 dst_unused:UNUSED_PAD src0_sel:DWORD src1_sel:DWORD
	v_lshrrev_b32_sdwa v7, v7, v6 dst_sel:BYTE_1 dst_unused:UNUSED_PAD src0_sel:DWORD src1_sel:DWORD
	v_lshrrev_b32_sdwa v1, v1, v8 dst_sel:BYTE_1 dst_unused:UNUSED_PAD src0_sel:DWORD src1_sel:DWORD
	v_lshlrev_b16 v22, 8, v22
	v_and_b32_sdwa v23, v8, v23 dst_sel:DWORD dst_unused:UNUSED_PAD src0_sel:WORD_1 src1_sel:DWORD
	v_or_b32_sdwa v6, v6, v24 dst_sel:DWORD dst_unused:UNUSED_PAD src0_sel:BYTE_0 src1_sel:DWORD
	v_or_b32_sdwa v7, v21, v7 dst_sel:WORD_1 dst_unused:UNUSED_PAD src0_sel:DWORD src1_sel:DWORD
	v_or_b32_sdwa v1, v8, v1 dst_sel:DWORD dst_unused:UNUSED_PAD src0_sel:BYTE_0 src1_sel:DWORD
	v_or_b32_sdwa v8, v23, v22 dst_sel:WORD_1 dst_unused:UNUSED_PAD src0_sel:DWORD src1_sel:DWORD
	v_or_b32_sdwa v7, v6, v7 dst_sel:DWORD dst_unused:UNUSED_PAD src0_sel:WORD_0 src1_sel:DWORD
	v_or_b32_sdwa v1, v1, v8 dst_sel:DWORD dst_unused:UNUSED_PAD src0_sel:WORD_0 src1_sel:DWORD
.LBB538_49:
	s_or_b32 exec_lo, exec_lo, s1
	v_add_nc_u32_e32 v6, 3, v29
                                        ; implicit-def: $vgpr30
	v_cmp_le_u32_e32 vcc_lo, s7, v6
                                        ; implicit-def: $vgpr6
	s_and_saveexec_b32 s0, vcc_lo
	s_xor_b32 s0, exec_lo, s0
	s_cbranch_execz .LBB538_51
; %bb.50:
	v_mov_b32_e32 v6, 24
	v_mov_b32_e32 v8, 0xff
	;; [unrolled: 1-line block ×3, first 2 shown]
	v_and_b32_e32 v22, 0xff0000, v7
	v_perm_b32 v4, v4, v4, 0x3060504
	v_lshrrev_b32_sdwa v6, v6, v5 dst_sel:BYTE_1 dst_unused:UNUSED_PAD src0_sel:DWORD src1_sel:DWORD
	v_and_b32_sdwa v8, v5, v8 dst_sel:DWORD dst_unused:UNUSED_PAD src0_sel:WORD_1 src1_sel:DWORD
	v_lshrrev_b32_sdwa v5, v21, v5 dst_sel:BYTE_1 dst_unused:UNUSED_PAD src0_sel:DWORD src1_sel:DWORD
	v_perm_b32 v30, v7, v22, 0x3020504
	v_perm_b32 v3, v3, v3, 0x3060504
                                        ; implicit-def: $vgpr7
	v_or_b32_sdwa v6, v8, v6 dst_sel:WORD_1 dst_unused:UNUSED_PAD src0_sel:DWORD src1_sel:DWORD
	v_or_b32_sdwa v6, v5, v6 dst_sel:DWORD dst_unused:UNUSED_PAD src0_sel:WORD_0 src1_sel:DWORD
                                        ; implicit-def: $vgpr5
.LBB538_51:
	s_andn2_saveexec_b32 s1, s0
	s_cbranch_execz .LBB538_55
; %bb.52:
	v_add_nc_u32_e32 v6, s17, v18
	v_add_nc_u32_e32 v8, s19, v18
	s_mov_b32 s2, 0
	s_mov_b32 s3, exec_lo
	v_mul_lo_u32 v6, v6, s16
	v_mul_lo_u32 v8, v8, s18
	v_sub_nc_u32_e32 v6, v6, v8
	v_cmp_lt_u32_e32 vcc_lo, s20, v6
	v_cmpx_ge_u32_e64 s20, v6
	s_cbranch_execz .LBB538_54
; %bb.53:
	v_add_nc_u32_e32 v6, s22, v18
	v_add_nc_u32_e32 v8, s40, v18
	v_mul_lo_u32 v6, v6, s21
	v_mul_lo_u32 v8, v8, s23
	v_sub_nc_u32_e32 v6, v6, v8
	v_cmp_lt_u32_e64 s0, s41, v6
	s_and_b32 s2, s0, exec_lo
.LBB538_54:
	s_or_b32 exec_lo, exec_lo, s3
	v_mov_b32_e32 v6, 8
	v_cndmask_b32_e64 v8, 0, 1, vcc_lo
	v_mov_b32_e32 v21, 0xff
	v_mov_b32_e32 v22, 24
	v_cndmask_b32_e64 v23, 0, 1, s2
	v_lshrrev_b32_sdwa v24, v6, v7 dst_sel:BYTE_1 dst_unused:UNUSED_PAD src0_sel:DWORD src1_sel:DWORD
	v_lshlrev_b16 v8, 8, v8
	v_and_b32_sdwa v25, v7, v21 dst_sel:DWORD dst_unused:UNUSED_PAD src0_sel:WORD_1 src1_sel:DWORD
	v_lshrrev_b32_sdwa v22, v22, v5 dst_sel:BYTE_1 dst_unused:UNUSED_PAD src0_sel:DWORD src1_sel:DWORD
	v_and_b32_sdwa v21, v5, v21 dst_sel:DWORD dst_unused:UNUSED_PAD src0_sel:WORD_1 src1_sel:DWORD
	v_lshrrev_b32_sdwa v5, v6, v5 dst_sel:BYTE_1 dst_unused:UNUSED_PAD src0_sel:DWORD src1_sel:DWORD
	v_or_b32_sdwa v6, v7, v24 dst_sel:DWORD dst_unused:UNUSED_PAD src0_sel:BYTE_0 src1_sel:DWORD
	v_or_b32_sdwa v7, v25, v8 dst_sel:WORD_1 dst_unused:UNUSED_PAD src0_sel:DWORD src1_sel:DWORD
	v_or_b32_sdwa v8, v21, v22 dst_sel:WORD_1 dst_unused:UNUSED_PAD src0_sel:DWORD src1_sel:DWORD
	v_or_b32_e32 v5, v23, v5
	v_or_b32_sdwa v30, v6, v7 dst_sel:DWORD dst_unused:UNUSED_PAD src0_sel:WORD_0 src1_sel:DWORD
	v_or_b32_sdwa v6, v5, v8 dst_sel:DWORD dst_unused:UNUSED_PAD src0_sel:WORD_0 src1_sel:DWORD
.LBB538_55:
	s_or_b32 exec_lo, exec_lo, s1
	v_add_nc_u32_e32 v5, 4, v29
                                        ; implicit-def: $vgpr7
	v_cmp_le_u32_e32 vcc_lo, s7, v5
                                        ; implicit-def: $vgpr5
	s_and_saveexec_b32 s0, vcc_lo
	s_xor_b32 s0, exec_lo, s0
	s_cbranch_execz .LBB538_57
; %bb.56:
	v_mov_b32_e32 v5, 24
	v_mov_b32_e32 v7, 0xff
	;; [unrolled: 1-line block ×3, first 2 shown]
	v_perm_b32 v3, v3, v3, 0x3060504
	v_lshrrev_b32_sdwa v21, v5, v4 dst_sel:BYTE_1 dst_unused:UNUSED_PAD src0_sel:DWORD src1_sel:DWORD
	v_and_b32_sdwa v22, v4, v7 dst_sel:DWORD dst_unused:UNUSED_PAD src0_sel:WORD_1 src1_sel:DWORD
	v_lshrrev_b32_sdwa v5, v5, v6 dst_sel:BYTE_1 dst_unused:UNUSED_PAD src0_sel:DWORD src1_sel:DWORD
	v_and_b32_sdwa v7, v6, v7 dst_sel:DWORD dst_unused:UNUSED_PAD src0_sel:WORD_1 src1_sel:DWORD
	v_lshrrev_b32_sdwa v4, v8, v4 dst_sel:BYTE_1 dst_unused:UNUSED_PAD src0_sel:DWORD src1_sel:DWORD
	v_or_b32_sdwa v8, v22, v21 dst_sel:WORD_1 dst_unused:UNUSED_PAD src0_sel:DWORD src1_sel:DWORD
	v_or_b32_e32 v7, v7, v5
	v_or_b32_sdwa v5, v4, v8 dst_sel:DWORD dst_unused:UNUSED_PAD src0_sel:WORD_0 src1_sel:DWORD
                                        ; implicit-def: $vgpr4
	v_perm_b32 v7, v7, v6, 0x5040c00
                                        ; implicit-def: $vgpr6
.LBB538_57:
	s_andn2_saveexec_b32 s1, s0
	s_cbranch_execz .LBB538_61
; %bb.58:
	v_add_nc_u32_e32 v5, s17, v15
	v_add_nc_u32_e32 v7, s19, v15
	s_mov_b32 s2, 0
	s_mov_b32 s3, exec_lo
	v_mul_lo_u32 v5, v5, s16
	v_mul_lo_u32 v7, v7, s18
	v_sub_nc_u32_e32 v5, v5, v7
	v_cmp_lt_u32_e32 vcc_lo, s20, v5
	v_cmpx_ge_u32_e64 s20, v5
	s_cbranch_execz .LBB538_60
; %bb.59:
	v_add_nc_u32_e32 v5, s22, v15
	v_add_nc_u32_e32 v7, s40, v15
	v_mul_lo_u32 v5, v5, s21
	v_mul_lo_u32 v7, v7, s23
	v_sub_nc_u32_e32 v5, v5, v7
	v_cmp_lt_u32_e64 s0, s41, v5
	s_and_b32 s2, s0, exec_lo
.LBB538_60:
	s_or_b32 exec_lo, exec_lo, s3
	v_mov_b32_e32 v5, 24
	v_mov_b32_e32 v7, 0xff
	;; [unrolled: 1-line block ×3, first 2 shown]
	v_cndmask_b32_e64 v21, 0, 1, s2
	v_cndmask_b32_e64 v22, 0, 1, vcc_lo
	v_lshrrev_b32_sdwa v23, v5, v4 dst_sel:BYTE_1 dst_unused:UNUSED_PAD src0_sel:DWORD src1_sel:DWORD
	v_and_b32_sdwa v24, v4, v7 dst_sel:DWORD dst_unused:UNUSED_PAD src0_sel:WORD_1 src1_sel:DWORD
	v_lshrrev_b32_sdwa v4, v8, v4 dst_sel:BYTE_1 dst_unused:UNUSED_PAD src0_sel:DWORD src1_sel:DWORD
	v_lshlrev_b16 v8, 8, v21
	v_lshrrev_b32_sdwa v5, v5, v6 dst_sel:BYTE_1 dst_unused:UNUSED_PAD src0_sel:DWORD src1_sel:DWORD
	v_and_b32_sdwa v7, v6, v7 dst_sel:DWORD dst_unused:UNUSED_PAD src0_sel:WORD_1 src1_sel:DWORD
	v_or_b32_sdwa v21, v24, v23 dst_sel:WORD_1 dst_unused:UNUSED_PAD src0_sel:DWORD src1_sel:DWORD
	v_or_b32_e32 v4, v22, v4
	v_or_b32_sdwa v6, v6, v8 dst_sel:DWORD dst_unused:UNUSED_PAD src0_sel:BYTE_0 src1_sel:DWORD
	v_or_b32_sdwa v7, v7, v5 dst_sel:WORD_1 dst_unused:UNUSED_PAD src0_sel:DWORD src1_sel:DWORD
	v_or_b32_sdwa v5, v4, v21 dst_sel:DWORD dst_unused:UNUSED_PAD src0_sel:WORD_0 src1_sel:DWORD
	v_or_b32_sdwa v7, v6, v7 dst_sel:DWORD dst_unused:UNUSED_PAD src0_sel:WORD_0 src1_sel:DWORD
.LBB538_61:
	s_or_b32 exec_lo, exec_lo, s1
	v_add_nc_u32_e32 v4, 5, v29
                                        ; implicit-def: $vgpr6
	v_cmp_le_u32_e32 vcc_lo, s7, v4
                                        ; implicit-def: $vgpr4
	s_and_saveexec_b32 s0, vcc_lo
	s_xor_b32 s0, exec_lo, s0
	s_cbranch_execz .LBB538_63
; %bb.62:
	v_lshrrev_b32_e32 v4, 24, v7
	v_mov_b32_e32 v6, 8
	v_mov_b32_e32 v8, 0xff
	v_perm_b32 v3, v3, v3, 0x3060504
	v_perm_b32 v4, v4, v7, 0x40c0100
	v_mov_b32_e32 v7, 24
	v_and_b32_sdwa v8, v5, v8 dst_sel:DWORD dst_unused:UNUSED_PAD src0_sel:WORD_1 src1_sel:DWORD
	v_lshrrev_b32_sdwa v6, v6, v4 dst_sel:BYTE_1 dst_unused:UNUSED_PAD src0_sel:DWORD src1_sel:DWORD
	v_lshrrev_b32_sdwa v7, v7, v5 dst_sel:BYTE_1 dst_unused:UNUSED_PAD src0_sel:DWORD src1_sel:DWORD
	v_or_b32_sdwa v6, v4, v6 dst_sel:DWORD dst_unused:UNUSED_PAD src0_sel:BYTE_0 src1_sel:DWORD
	v_or_b32_e32 v7, v8, v7
	v_and_b32_e32 v8, 0xffff, v6
	v_perm_b32 v6, v7, v5, 0x5040c00
                                        ; implicit-def: $vgpr5
                                        ; implicit-def: $vgpr7
	v_and_or_b32 v4, 0xff000000, v4, v8
.LBB538_63:
	s_andn2_saveexec_b32 s1, s0
	s_cbranch_execz .LBB538_67
; %bb.64:
	v_add_nc_u32_e32 v4, s17, v16
	v_add_nc_u32_e32 v6, s19, v16
	s_mov_b32 s2, 0
	s_mov_b32 s3, exec_lo
	v_mul_lo_u32 v4, v4, s16
	v_mul_lo_u32 v6, v6, s18
	v_sub_nc_u32_e32 v4, v4, v6
	v_cmp_lt_u32_e32 vcc_lo, s20, v4
	v_cmpx_ge_u32_e64 s20, v4
	s_cbranch_execz .LBB538_66
; %bb.65:
	v_add_nc_u32_e32 v4, s22, v16
	v_add_nc_u32_e32 v6, s40, v16
	v_mul_lo_u32 v4, v4, s21
	v_mul_lo_u32 v6, v6, s23
	v_sub_nc_u32_e32 v4, v4, v6
	v_cmp_lt_u32_e64 s0, s41, v4
	s_and_b32 s2, s0, exec_lo
.LBB538_66:
	s_or_b32 exec_lo, exec_lo, s3
	v_cndmask_b32_e64 v4, 0, 1, vcc_lo
	v_mov_b32_e32 v6, 24
	v_mov_b32_e32 v8, 0xff
	;; [unrolled: 1-line block ×3, first 2 shown]
	v_cndmask_b32_e64 v22, 0, 1, s2
	v_lshlrev_b16 v4, 8, v4
	v_lshrrev_b32_sdwa v23, v6, v5 dst_sel:BYTE_1 dst_unused:UNUSED_PAD src0_sel:DWORD src1_sel:DWORD
	v_and_b32_sdwa v8, v5, v8 dst_sel:DWORD dst_unused:UNUSED_PAD src0_sel:WORD_1 src1_sel:DWORD
	v_lshrrev_b32_sdwa v21, v21, v7 dst_sel:BYTE_1 dst_unused:UNUSED_PAD src0_sel:DWORD src1_sel:DWORD
	v_lshrrev_b32_sdwa v6, v6, v7 dst_sel:BYTE_1 dst_unused:UNUSED_PAD src0_sel:DWORD src1_sel:DWORD
	v_or_b32_sdwa v4, v5, v4 dst_sel:DWORD dst_unused:UNUSED_PAD src0_sel:BYTE_0 src1_sel:DWORD
	v_or_b32_sdwa v5, v8, v23 dst_sel:WORD_1 dst_unused:UNUSED_PAD src0_sel:DWORD src1_sel:DWORD
	v_or_b32_sdwa v7, v7, v21 dst_sel:DWORD dst_unused:UNUSED_PAD src0_sel:BYTE_0 src1_sel:DWORD
	v_or_b32_sdwa v8, v22, v6 dst_sel:WORD_1 dst_unused:UNUSED_PAD src0_sel:DWORD src1_sel:DWORD
	v_or_b32_sdwa v6, v4, v5 dst_sel:DWORD dst_unused:UNUSED_PAD src0_sel:WORD_0 src1_sel:DWORD
	v_or_b32_sdwa v4, v7, v8 dst_sel:DWORD dst_unused:UNUSED_PAD src0_sel:WORD_0 src1_sel:DWORD
.LBB538_67:
	s_or_b32 exec_lo, exec_lo, s1
	v_add_nc_u32_e32 v5, 6, v29
                                        ; implicit-def: $vgpr31
	v_cmp_le_u32_e32 vcc_lo, s7, v5
                                        ; implicit-def: $vgpr5
	s_and_saveexec_b32 s0, vcc_lo
	s_xor_b32 s0, exec_lo, s0
	s_cbranch_execz .LBB538_69
; %bb.68:
	v_lshrrev_b32_e32 v5, 24, v6
	v_mov_b32_e32 v7, 8
	v_perm_b32 v3, v3, v3, 0x3060504
	v_perm_b32 v5, v5, v6, 0x40c0100
	v_lshrrev_b32_sdwa v6, v7, v5 dst_sel:BYTE_1 dst_unused:UNUSED_PAD src0_sel:DWORD src1_sel:DWORD
	v_and_b32_e32 v7, 0xff0000, v4
	v_or_b32_sdwa v6, v5, v6 dst_sel:DWORD dst_unused:UNUSED_PAD src0_sel:BYTE_0 src1_sel:DWORD
	v_perm_b32 v31, v4, v7, 0x3020504
                                        ; implicit-def: $vgpr4
	v_and_b32_e32 v6, 0xffff, v6
	v_and_or_b32 v5, 0xff000000, v5, v6
                                        ; implicit-def: $vgpr6
.LBB538_69:
	s_andn2_saveexec_b32 s1, s0
	s_cbranch_execz .LBB538_73
; %bb.70:
	v_add_nc_u32_e32 v5, s17, v13
	v_add_nc_u32_e32 v7, s19, v13
	s_mov_b32 s2, 0
	s_mov_b32 s3, exec_lo
	v_mul_lo_u32 v5, v5, s16
	v_mul_lo_u32 v7, v7, s18
	v_sub_nc_u32_e32 v5, v5, v7
	v_cmp_lt_u32_e32 vcc_lo, s20, v5
	v_cmpx_ge_u32_e64 s20, v5
	s_cbranch_execz .LBB538_72
; %bb.71:
	v_add_nc_u32_e32 v5, s22, v13
	v_add_nc_u32_e32 v7, s40, v13
	v_mul_lo_u32 v5, v5, s21
	v_mul_lo_u32 v7, v7, s23
	v_sub_nc_u32_e32 v5, v5, v7
	v_cmp_lt_u32_e64 s0, s41, v5
	s_and_b32 s2, s0, exec_lo
.LBB538_72:
	s_or_b32 exec_lo, exec_lo, s3
	v_mov_b32_e32 v5, 8
	v_mov_b32_e32 v7, 24
	v_cndmask_b32_e64 v21, 0, 1, s2
	v_mov_b32_e32 v22, 0xff
	v_cndmask_b32_e64 v8, 0, 1, vcc_lo
	v_lshrrev_b32_sdwa v23, v5, v6 dst_sel:BYTE_1 dst_unused:UNUSED_PAD src0_sel:DWORD src1_sel:DWORD
	v_lshrrev_b32_sdwa v7, v7, v6 dst_sel:BYTE_1 dst_unused:UNUSED_PAD src0_sel:DWORD src1_sel:DWORD
	;; [unrolled: 1-line block ×3, first 2 shown]
	v_lshlrev_b16 v21, 8, v21
	v_and_b32_sdwa v22, v4, v22 dst_sel:DWORD dst_unused:UNUSED_PAD src0_sel:WORD_1 src1_sel:DWORD
	v_or_b32_sdwa v6, v6, v23 dst_sel:DWORD dst_unused:UNUSED_PAD src0_sel:BYTE_0 src1_sel:DWORD
	v_or_b32_sdwa v7, v8, v7 dst_sel:WORD_1 dst_unused:UNUSED_PAD src0_sel:DWORD src1_sel:DWORD
	v_or_b32_sdwa v4, v4, v5 dst_sel:DWORD dst_unused:UNUSED_PAD src0_sel:BYTE_0 src1_sel:DWORD
	v_or_b32_sdwa v8, v22, v21 dst_sel:WORD_1 dst_unused:UNUSED_PAD src0_sel:DWORD src1_sel:DWORD
	v_or_b32_sdwa v5, v6, v7 dst_sel:DWORD dst_unused:UNUSED_PAD src0_sel:WORD_0 src1_sel:DWORD
	v_or_b32_sdwa v31, v4, v8 dst_sel:DWORD dst_unused:UNUSED_PAD src0_sel:WORD_0 src1_sel:DWORD
.LBB538_73:
	s_or_b32 exec_lo, exec_lo, s1
	v_add_nc_u32_e32 v4, 7, v29
                                        ; implicit-def: $vgpr32
	v_cmp_le_u32_e32 vcc_lo, s7, v4
                                        ; implicit-def: $vgpr4
	s_and_saveexec_b32 s0, vcc_lo
	s_xor_b32 s0, exec_lo, s0
	s_cbranch_execz .LBB538_75
; %bb.74:
	v_mov_b32_e32 v4, 24
	v_mov_b32_e32 v6, 0xff
	;; [unrolled: 1-line block ×3, first 2 shown]
	v_lshrrev_b32_sdwa v4, v4, v3 dst_sel:BYTE_1 dst_unused:UNUSED_PAD src0_sel:DWORD src1_sel:DWORD
	v_and_b32_sdwa v6, v3, v6 dst_sel:DWORD dst_unused:UNUSED_PAD src0_sel:WORD_1 src1_sel:DWORD
	v_lshrrev_b32_sdwa v3, v7, v3 dst_sel:BYTE_1 dst_unused:UNUSED_PAD src0_sel:DWORD src1_sel:DWORD
	v_and_b32_e32 v7, 0xff0000, v5
	v_or_b32_sdwa v4, v6, v4 dst_sel:WORD_1 dst_unused:UNUSED_PAD src0_sel:DWORD src1_sel:DWORD
	v_perm_b32 v32, v5, v7, 0x3020504
                                        ; implicit-def: $vgpr5
	v_or_b32_sdwa v4, v3, v4 dst_sel:DWORD dst_unused:UNUSED_PAD src0_sel:WORD_0 src1_sel:DWORD
                                        ; implicit-def: $vgpr3
.LBB538_75:
	s_andn2_saveexec_b32 s1, s0
	s_cbranch_execz .LBB538_79
; %bb.76:
	v_add_nc_u32_e32 v4, s17, v14
	v_add_nc_u32_e32 v6, s19, v14
	s_mov_b32 s2, 0
	s_mov_b32 s3, exec_lo
	v_mul_lo_u32 v4, v4, s16
	v_mul_lo_u32 v6, v6, s18
	v_sub_nc_u32_e32 v4, v4, v6
	v_cmp_lt_u32_e32 vcc_lo, s20, v4
	v_cmpx_ge_u32_e64 s20, v4
	s_cbranch_execz .LBB538_78
; %bb.77:
	v_add_nc_u32_e32 v4, s22, v14
	v_add_nc_u32_e32 v6, s40, v14
	v_mul_lo_u32 v4, v4, s21
	v_mul_lo_u32 v6, v6, s23
	v_sub_nc_u32_e32 v4, v4, v6
	v_cmp_lt_u32_e64 s0, s41, v4
	s_and_b32 s2, s0, exec_lo
.LBB538_78:
	s_or_b32 exec_lo, exec_lo, s3
	v_mov_b32_e32 v4, 8
	v_cndmask_b32_e64 v6, 0, 1, vcc_lo
	v_mov_b32_e32 v7, 0xff
	v_mov_b32_e32 v8, 24
	v_cndmask_b32_e64 v21, 0, 1, s2
	v_lshrrev_b32_sdwa v22, v4, v5 dst_sel:BYTE_1 dst_unused:UNUSED_PAD src0_sel:DWORD src1_sel:DWORD
	v_lshlrev_b16 v6, 8, v6
	v_and_b32_sdwa v23, v5, v7 dst_sel:DWORD dst_unused:UNUSED_PAD src0_sel:WORD_1 src1_sel:DWORD
	v_lshrrev_b32_sdwa v8, v8, v3 dst_sel:BYTE_1 dst_unused:UNUSED_PAD src0_sel:DWORD src1_sel:DWORD
	v_and_b32_sdwa v7, v3, v7 dst_sel:DWORD dst_unused:UNUSED_PAD src0_sel:WORD_1 src1_sel:DWORD
	v_lshrrev_b32_sdwa v3, v4, v3 dst_sel:BYTE_1 dst_unused:UNUSED_PAD src0_sel:DWORD src1_sel:DWORD
	v_or_b32_sdwa v4, v5, v22 dst_sel:DWORD dst_unused:UNUSED_PAD src0_sel:BYTE_0 src1_sel:DWORD
	v_or_b32_sdwa v5, v23, v6 dst_sel:WORD_1 dst_unused:UNUSED_PAD src0_sel:DWORD src1_sel:DWORD
	v_or_b32_sdwa v6, v7, v8 dst_sel:WORD_1 dst_unused:UNUSED_PAD src0_sel:DWORD src1_sel:DWORD
	v_or_b32_e32 v3, v21, v3
	v_or_b32_sdwa v32, v4, v5 dst_sel:DWORD dst_unused:UNUSED_PAD src0_sel:WORD_0 src1_sel:DWORD
	v_or_b32_sdwa v4, v3, v6 dst_sel:DWORD dst_unused:UNUSED_PAD src0_sel:WORD_0 src1_sel:DWORD
.LBB538_79:
	s_or_b32 exec_lo, exec_lo, s1
	v_add_nc_u32_e32 v3, 8, v29
                                        ; implicit-def: $vgpr5
	v_cmp_le_u32_e32 vcc_lo, s7, v3
                                        ; implicit-def: $vgpr3
	s_and_saveexec_b32 s0, vcc_lo
	s_xor_b32 s0, exec_lo, s0
	s_cbranch_execz .LBB538_81
; %bb.80:
	v_mov_b32_e32 v3, 24
	v_mov_b32_e32 v5, 0xff
	;; [unrolled: 1-line block ×3, first 2 shown]
	v_perm_b32 v1, v1, v1, 0x3060504
	v_lshrrev_b32_sdwa v7, v3, v4 dst_sel:BYTE_1 dst_unused:UNUSED_PAD src0_sel:DWORD src1_sel:DWORD
	v_lshrrev_b32_sdwa v3, v3, v2 dst_sel:BYTE_1 dst_unused:UNUSED_PAD src0_sel:DWORD src1_sel:DWORD
	v_and_b32_sdwa v8, v2, v5 dst_sel:DWORD dst_unused:UNUSED_PAD src0_sel:WORD_1 src1_sel:DWORD
	v_and_b32_sdwa v5, v4, v5 dst_sel:DWORD dst_unused:UNUSED_PAD src0_sel:WORD_1 src1_sel:DWORD
	v_lshrrev_b32_sdwa v2, v6, v2 dst_sel:BYTE_1 dst_unused:UNUSED_PAD src0_sel:DWORD src1_sel:DWORD
	v_or_b32_sdwa v3, v8, v3 dst_sel:WORD_1 dst_unused:UNUSED_PAD src0_sel:DWORD src1_sel:DWORD
	v_or_b32_e32 v5, v5, v7
	v_or_b32_sdwa v3, v2, v3 dst_sel:DWORD dst_unused:UNUSED_PAD src0_sel:WORD_0 src1_sel:DWORD
	v_perm_b32 v5, v5, v4, 0x5040c00
                                        ; implicit-def: $vgpr2
                                        ; implicit-def: $vgpr4
.LBB538_81:
	s_andn2_saveexec_b32 s1, s0
	s_cbranch_execz .LBB538_85
; %bb.82:
	v_add_nc_u32_e32 v3, s17, v11
	v_add_nc_u32_e32 v5, s19, v11
	s_mov_b32 s2, 0
	s_mov_b32 s3, exec_lo
	v_mul_lo_u32 v3, v3, s16
	v_mul_lo_u32 v5, v5, s18
	v_sub_nc_u32_e32 v3, v3, v5
	v_cmp_lt_u32_e32 vcc_lo, s20, v3
	v_cmpx_ge_u32_e64 s20, v3
	s_cbranch_execz .LBB538_84
; %bb.83:
	v_add_nc_u32_e32 v3, s22, v11
	v_add_nc_u32_e32 v5, s40, v11
	v_mul_lo_u32 v3, v3, s21
	v_mul_lo_u32 v5, v5, s23
	v_sub_nc_u32_e32 v3, v3, v5
	v_cmp_lt_u32_e64 s0, s41, v3
	s_and_b32 s2, s0, exec_lo
.LBB538_84:
	s_or_b32 exec_lo, exec_lo, s3
	v_mov_b32_e32 v3, 24
	v_mov_b32_e32 v5, 0xff
	;; [unrolled: 1-line block ×3, first 2 shown]
	v_cndmask_b32_e64 v7, 0, 1, s2
	v_cndmask_b32_e64 v8, 0, 1, vcc_lo
	v_lshrrev_b32_sdwa v21, v3, v2 dst_sel:BYTE_1 dst_unused:UNUSED_PAD src0_sel:DWORD src1_sel:DWORD
	v_and_b32_sdwa v22, v2, v5 dst_sel:DWORD dst_unused:UNUSED_PAD src0_sel:WORD_1 src1_sel:DWORD
	v_lshrrev_b32_sdwa v2, v6, v2 dst_sel:BYTE_1 dst_unused:UNUSED_PAD src0_sel:DWORD src1_sel:DWORD
	v_lshlrev_b16 v6, 8, v7
	v_lshrrev_b32_sdwa v3, v3, v4 dst_sel:BYTE_1 dst_unused:UNUSED_PAD src0_sel:DWORD src1_sel:DWORD
	v_and_b32_sdwa v5, v4, v5 dst_sel:DWORD dst_unused:UNUSED_PAD src0_sel:WORD_1 src1_sel:DWORD
	v_or_b32_sdwa v7, v22, v21 dst_sel:WORD_1 dst_unused:UNUSED_PAD src0_sel:DWORD src1_sel:DWORD
	v_or_b32_e32 v2, v8, v2
	v_or_b32_sdwa v4, v4, v6 dst_sel:DWORD dst_unused:UNUSED_PAD src0_sel:BYTE_0 src1_sel:DWORD
	v_or_b32_sdwa v5, v5, v3 dst_sel:WORD_1 dst_unused:UNUSED_PAD src0_sel:DWORD src1_sel:DWORD
	v_or_b32_sdwa v3, v2, v7 dst_sel:DWORD dst_unused:UNUSED_PAD src0_sel:WORD_0 src1_sel:DWORD
	v_or_b32_sdwa v5, v4, v5 dst_sel:DWORD dst_unused:UNUSED_PAD src0_sel:WORD_0 src1_sel:DWORD
.LBB538_85:
	s_or_b32 exec_lo, exec_lo, s1
	v_add_nc_u32_e32 v2, 9, v29
                                        ; implicit-def: $vgpr4
	v_cmp_le_u32_e32 vcc_lo, s7, v2
                                        ; implicit-def: $vgpr2
	s_and_saveexec_b32 s0, vcc_lo
	s_xor_b32 s0, exec_lo, s0
	s_cbranch_execz .LBB538_87
; %bb.86:
	v_lshrrev_b32_e32 v2, 24, v5
	v_mov_b32_e32 v4, 8
	v_mov_b32_e32 v6, 0xff
	v_perm_b32 v1, v1, v1, 0x3060504
	v_perm_b32 v2, v2, v5, 0x40c0100
	v_mov_b32_e32 v5, 24
	v_and_b32_sdwa v6, v3, v6 dst_sel:DWORD dst_unused:UNUSED_PAD src0_sel:WORD_1 src1_sel:DWORD
	v_lshrrev_b32_sdwa v4, v4, v2 dst_sel:BYTE_1 dst_unused:UNUSED_PAD src0_sel:DWORD src1_sel:DWORD
	v_lshrrev_b32_sdwa v5, v5, v3 dst_sel:BYTE_1 dst_unused:UNUSED_PAD src0_sel:DWORD src1_sel:DWORD
	v_or_b32_sdwa v4, v2, v4 dst_sel:DWORD dst_unused:UNUSED_PAD src0_sel:BYTE_0 src1_sel:DWORD
	v_or_b32_e32 v5, v6, v5
	v_and_b32_e32 v6, 0xffff, v4
	v_perm_b32 v4, v5, v3, 0x5040c00
                                        ; implicit-def: $vgpr3
                                        ; implicit-def: $vgpr5
	v_and_or_b32 v2, 0xff000000, v2, v6
.LBB538_87:
	s_andn2_saveexec_b32 s1, s0
	s_cbranch_execz .LBB538_91
; %bb.88:
	v_add_nc_u32_e32 v2, s17, v12
	v_add_nc_u32_e32 v4, s19, v12
	s_mov_b32 s2, 0
	s_mov_b32 s3, exec_lo
	v_mul_lo_u32 v2, v2, s16
	v_mul_lo_u32 v4, v4, s18
	v_sub_nc_u32_e32 v2, v2, v4
	v_cmp_lt_u32_e32 vcc_lo, s20, v2
	v_cmpx_ge_u32_e64 s20, v2
	s_cbranch_execz .LBB538_90
; %bb.89:
	v_add_nc_u32_e32 v2, s22, v12
	v_add_nc_u32_e32 v4, s40, v12
	v_mul_lo_u32 v2, v2, s21
	v_mul_lo_u32 v4, v4, s23
	v_sub_nc_u32_e32 v2, v2, v4
	v_cmp_lt_u32_e64 s0, s41, v2
	s_and_b32 s2, s0, exec_lo
.LBB538_90:
	s_or_b32 exec_lo, exec_lo, s3
	v_cndmask_b32_e64 v2, 0, 1, vcc_lo
	v_mov_b32_e32 v4, 24
	v_mov_b32_e32 v6, 0xff
	;; [unrolled: 1-line block ×3, first 2 shown]
	v_cndmask_b32_e64 v8, 0, 1, s2
	v_lshlrev_b16 v2, 8, v2
	v_lshrrev_b32_sdwa v21, v4, v3 dst_sel:BYTE_1 dst_unused:UNUSED_PAD src0_sel:DWORD src1_sel:DWORD
	v_and_b32_sdwa v6, v3, v6 dst_sel:DWORD dst_unused:UNUSED_PAD src0_sel:WORD_1 src1_sel:DWORD
	v_lshrrev_b32_sdwa v7, v7, v5 dst_sel:BYTE_1 dst_unused:UNUSED_PAD src0_sel:DWORD src1_sel:DWORD
	v_lshrrev_b32_sdwa v4, v4, v5 dst_sel:BYTE_1 dst_unused:UNUSED_PAD src0_sel:DWORD src1_sel:DWORD
	v_or_b32_sdwa v2, v3, v2 dst_sel:DWORD dst_unused:UNUSED_PAD src0_sel:BYTE_0 src1_sel:DWORD
	v_or_b32_sdwa v3, v6, v21 dst_sel:WORD_1 dst_unused:UNUSED_PAD src0_sel:DWORD src1_sel:DWORD
	v_or_b32_sdwa v5, v5, v7 dst_sel:DWORD dst_unused:UNUSED_PAD src0_sel:BYTE_0 src1_sel:DWORD
	v_or_b32_sdwa v6, v8, v4 dst_sel:WORD_1 dst_unused:UNUSED_PAD src0_sel:DWORD src1_sel:DWORD
	v_or_b32_sdwa v4, v2, v3 dst_sel:DWORD dst_unused:UNUSED_PAD src0_sel:WORD_0 src1_sel:DWORD
	v_or_b32_sdwa v2, v5, v6 dst_sel:DWORD dst_unused:UNUSED_PAD src0_sel:WORD_0 src1_sel:DWORD
.LBB538_91:
	s_or_b32 exec_lo, exec_lo, s1
	v_add_nc_u32_e32 v3, 10, v29
                                        ; implicit-def: $vgpr33
	v_cmp_le_u32_e32 vcc_lo, s7, v3
                                        ; implicit-def: $vgpr3
	s_and_saveexec_b32 s0, vcc_lo
	s_xor_b32 s0, exec_lo, s0
	s_cbranch_execz .LBB538_93
; %bb.92:
	v_lshrrev_b32_e32 v3, 24, v4
	v_mov_b32_e32 v5, 8
	v_perm_b32 v1, v1, v1, 0x3060504
	v_perm_b32 v3, v3, v4, 0x40c0100
	v_lshrrev_b32_sdwa v4, v5, v3 dst_sel:BYTE_1 dst_unused:UNUSED_PAD src0_sel:DWORD src1_sel:DWORD
	v_and_b32_e32 v5, 0xff0000, v2
	v_or_b32_sdwa v4, v3, v4 dst_sel:DWORD dst_unused:UNUSED_PAD src0_sel:BYTE_0 src1_sel:DWORD
	v_perm_b32 v33, v2, v5, 0x3020504
                                        ; implicit-def: $vgpr2
	v_and_b32_e32 v4, 0xffff, v4
	v_and_or_b32 v3, 0xff000000, v3, v4
                                        ; implicit-def: $vgpr4
.LBB538_93:
	s_andn2_saveexec_b32 s1, s0
	s_cbranch_execz .LBB538_97
; %bb.94:
	v_add_nc_u32_e32 v3, s17, v9
	v_add_nc_u32_e32 v5, s19, v9
	s_mov_b32 s2, 0
	s_mov_b32 s3, exec_lo
	v_mul_lo_u32 v3, v3, s16
	v_mul_lo_u32 v5, v5, s18
	v_sub_nc_u32_e32 v3, v3, v5
	v_cmp_lt_u32_e32 vcc_lo, s20, v3
	v_cmpx_ge_u32_e64 s20, v3
	s_cbranch_execz .LBB538_96
; %bb.95:
	v_add_nc_u32_e32 v3, s22, v9
	v_add_nc_u32_e32 v5, s40, v9
	v_mul_lo_u32 v3, v3, s21
	v_mul_lo_u32 v5, v5, s23
	v_sub_nc_u32_e32 v3, v3, v5
	v_cmp_lt_u32_e64 s0, s41, v3
	s_and_b32 s2, s0, exec_lo
.LBB538_96:
	s_or_b32 exec_lo, exec_lo, s3
	v_mov_b32_e32 v3, 8
	v_mov_b32_e32 v5, 24
	v_cndmask_b32_e64 v7, 0, 1, s2
	v_mov_b32_e32 v8, 0xff
	v_cndmask_b32_e64 v6, 0, 1, vcc_lo
	v_lshrrev_b32_sdwa v21, v3, v4 dst_sel:BYTE_1 dst_unused:UNUSED_PAD src0_sel:DWORD src1_sel:DWORD
	v_lshrrev_b32_sdwa v5, v5, v4 dst_sel:BYTE_1 dst_unused:UNUSED_PAD src0_sel:DWORD src1_sel:DWORD
	;; [unrolled: 1-line block ×3, first 2 shown]
	v_lshlrev_b16 v7, 8, v7
	v_and_b32_sdwa v8, v2, v8 dst_sel:DWORD dst_unused:UNUSED_PAD src0_sel:WORD_1 src1_sel:DWORD
	v_or_b32_sdwa v4, v4, v21 dst_sel:DWORD dst_unused:UNUSED_PAD src0_sel:BYTE_0 src1_sel:DWORD
	v_or_b32_sdwa v5, v6, v5 dst_sel:WORD_1 dst_unused:UNUSED_PAD src0_sel:DWORD src1_sel:DWORD
	v_or_b32_sdwa v2, v2, v3 dst_sel:DWORD dst_unused:UNUSED_PAD src0_sel:BYTE_0 src1_sel:DWORD
	v_or_b32_sdwa v6, v8, v7 dst_sel:WORD_1 dst_unused:UNUSED_PAD src0_sel:DWORD src1_sel:DWORD
	v_or_b32_sdwa v3, v4, v5 dst_sel:DWORD dst_unused:UNUSED_PAD src0_sel:WORD_0 src1_sel:DWORD
	v_or_b32_sdwa v33, v2, v6 dst_sel:DWORD dst_unused:UNUSED_PAD src0_sel:WORD_0 src1_sel:DWORD
.LBB538_97:
	s_or_b32 exec_lo, exec_lo, s1
	v_add_nc_u32_e32 v2, 11, v29
	v_mov_b32_e32 v34, 0
	s_mov_b32 s0, exec_lo
                                        ; implicit-def: $vgpr35
	v_cmpx_le_u32_e64 s7, v2
	s_xor_b32 s0, exec_lo, s0
; %bb.98:
	v_and_b32_e32 v2, 0xff0000, v3
	v_perm_b32 v1, v1, v1, 0x3060504
	v_perm_b32 v35, v3, v2, 0x3020504
                                        ; implicit-def: $vgpr3
; %bb.99:
	s_andn2_saveexec_b32 s1, s0
	s_cbranch_execz .LBB538_103
; %bb.100:
	v_add_nc_u32_e32 v2, s17, v10
	v_add_nc_u32_e32 v4, s19, v10
	s_mov_b32 s2, 0
	s_mov_b32 s3, exec_lo
	v_mul_lo_u32 v2, v2, s16
	v_mul_lo_u32 v4, v4, s18
	v_sub_nc_u32_e32 v2, v2, v4
	v_cmp_lt_u32_e32 vcc_lo, s20, v2
	v_cmpx_ge_u32_e64 s20, v2
	s_cbranch_execz .LBB538_102
; %bb.101:
	v_add_nc_u32_e32 v2, s22, v10
	v_add_nc_u32_e32 v4, s40, v10
	v_mul_lo_u32 v2, v2, s21
	v_mul_lo_u32 v4, v4, s23
	v_sub_nc_u32_e32 v2, v2, v4
	v_cmp_lt_u32_e64 s0, s41, v2
	s_and_b32 s2, s0, exec_lo
.LBB538_102:
	s_or_b32 exec_lo, exec_lo, s3
	v_mov_b32_e32 v2, 8
	v_cndmask_b32_e64 v4, 0, 1, vcc_lo
	v_mov_b32_e32 v5, 0xff
	v_cndmask_b32_e64 v34, 0, 1, s2
	v_lshrrev_b32_sdwa v2, v2, v3 dst_sel:BYTE_1 dst_unused:UNUSED_PAD src0_sel:DWORD src1_sel:DWORD
	v_lshlrev_b16 v4, 8, v4
	v_and_b32_sdwa v5, v3, v5 dst_sel:DWORD dst_unused:UNUSED_PAD src0_sel:WORD_1 src1_sel:DWORD
	v_or_b32_sdwa v2, v3, v2 dst_sel:DWORD dst_unused:UNUSED_PAD src0_sel:BYTE_0 src1_sel:DWORD
	v_or_b32_sdwa v3, v5, v4 dst_sel:WORD_1 dst_unused:UNUSED_PAD src0_sel:DWORD src1_sel:DWORD
	v_or_b32_sdwa v35, v2, v3 dst_sel:DWORD dst_unused:UNUSED_PAD src0_sel:WORD_0 src1_sel:DWORD
.LBB538_103:
	s_or_b32 exec_lo, exec_lo, s1
	v_add_nc_u32_e32 v2, 12, v29
	s_mov_b32 s0, exec_lo
                                        ; implicit-def: $vgpr36
	v_cmpx_le_u32_e64 s7, v2
	s_xor_b32 s0, exec_lo, s0
	s_cbranch_execz .LBB538_105
; %bb.104:
	v_mov_b32_e32 v2, 24
	v_mov_b32_e32 v3, 0xff
	;; [unrolled: 1-line block ×3, first 2 shown]
	v_lshrrev_b32_sdwa v2, v2, v1 dst_sel:BYTE_1 dst_unused:UNUSED_PAD src0_sel:DWORD src1_sel:DWORD
	v_and_b32_sdwa v3, v1, v3 dst_sel:DWORD dst_unused:UNUSED_PAD src0_sel:WORD_1 src1_sel:DWORD
	v_lshrrev_b32_sdwa v1, v4, v1 dst_sel:BYTE_1 dst_unused:UNUSED_PAD src0_sel:DWORD src1_sel:DWORD
	v_or_b32_sdwa v2, v3, v2 dst_sel:WORD_1 dst_unused:UNUSED_PAD src0_sel:DWORD src1_sel:DWORD
	v_or_b32_sdwa v36, v1, v2 dst_sel:DWORD dst_unused:UNUSED_PAD src0_sel:WORD_0 src1_sel:DWORD
                                        ; implicit-def: $vgpr1
.LBB538_105:
	s_or_saveexec_b32 s1, s0
	v_mov_b32_e32 v37, 0
	s_xor_b32 exec_lo, exec_lo, s1
	s_cbranch_execz .LBB538_109
; %bb.106:
	v_add_nc_u32_e32 v2, s17, v28
	v_add_nc_u32_e32 v3, s19, v28
	s_mov_b32 s2, 0
	s_mov_b32 s3, exec_lo
	v_mul_lo_u32 v2, v2, s16
	v_mul_lo_u32 v3, v3, s18
	v_sub_nc_u32_e32 v2, v2, v3
	v_cmp_lt_u32_e32 vcc_lo, s20, v2
	v_cmpx_ge_u32_e64 s20, v2
	s_cbranch_execz .LBB538_108
; %bb.107:
	v_add_nc_u32_e32 v2, s22, v28
	v_add_nc_u32_e32 v3, s40, v28
	v_mul_lo_u32 v2, v2, s21
	v_mul_lo_u32 v3, v3, s23
	v_sub_nc_u32_e32 v2, v2, v3
	v_cmp_lt_u32_e64 s0, s41, v2
	s_and_b32 s2, s0, exec_lo
.LBB538_108:
	s_or_b32 exec_lo, exec_lo, s3
	v_mov_b32_e32 v2, 24
	v_mov_b32_e32 v3, 0xff
	;; [unrolled: 1-line block ×3, first 2 shown]
	v_cndmask_b32_e64 v5, 0, 1, vcc_lo
	v_cndmask_b32_e64 v37, 0, 1, s2
	v_lshrrev_b32_sdwa v2, v2, v1 dst_sel:BYTE_1 dst_unused:UNUSED_PAD src0_sel:DWORD src1_sel:DWORD
	v_and_b32_sdwa v3, v1, v3 dst_sel:DWORD dst_unused:UNUSED_PAD src0_sel:WORD_1 src1_sel:DWORD
	v_lshrrev_b32_sdwa v1, v4, v1 dst_sel:BYTE_1 dst_unused:UNUSED_PAD src0_sel:DWORD src1_sel:DWORD
	v_or_b32_sdwa v2, v3, v2 dst_sel:WORD_1 dst_unused:UNUSED_PAD src0_sel:DWORD src1_sel:DWORD
	v_or_b32_e32 v1, v5, v1
	v_or_b32_sdwa v36, v1, v2 dst_sel:DWORD dst_unused:UNUSED_PAD src0_sel:WORD_0 src1_sel:DWORD
.LBB538_109:
	s_or_b32 exec_lo, exec_lo, s1
.LBB538_110:
	v_and_b32_e32 v60, 0xff, v30
	v_bfe_u32 v61, v36, 8, 8
	v_bfe_u32 v57, v30, 8, 8
	;; [unrolled: 1-line block ×4, first 2 shown]
	v_lshrrev_b32_e32 v43, 24, v36
	v_lshrrev_b32_e32 v42, 24, v30
	v_and_b32_e32 v56, 0xff, v31
	v_and_b32_e32 v54, 0xff, v32
	v_bfe_u32 v55, v31, 8, 8
	v_add3_u32 v1, v57, v60, v59
	v_add3_u32 v2, v58, v61, v43
	v_bfe_u32 v52, v32, 8, 8
	v_bfe_u32 v53, v31, 16, 8
	;; [unrolled: 1-line block ×3, first 2 shown]
	v_lshrrev_b32_e32 v41, 24, v31
	v_add3_u32 v1, v1, v42, v54
	v_add3_u32 v2, v2, v56, v55
	v_lshrrev_b32_e32 v40, 24, v32
	v_and_b32_e32 v51, 0xff, v33
	v_and_b32_e32 v49, 0xff, v35
	v_bfe_u32 v50, v33, 8, 8
	v_add3_u32 v1, v1, v52, v46
	v_add3_u32 v2, v2, v53, v41
	v_bfe_u32 v47, v35, 8, 8
	v_bfe_u32 v48, v33, 16, 8
	;; [unrolled: 1-line block ×3, first 2 shown]
	v_lshrrev_b32_e32 v39, 24, v33
	v_add3_u32 v1, v1, v40, v49
	v_add3_u32 v2, v2, v51, v50
	v_mbcnt_lo_u32_b32 v62, -1, 0
	v_lshrrev_b32_e32 v38, 24, v35
	v_and_b32_e32 v44, 0xff, v34
	v_and_b32_e32 v3, 0xff, v36
	;; [unrolled: 1-line block ×3, first 2 shown]
	v_add3_u32 v1, v1, v47, v45
	v_add3_u32 v2, v2, v48, v39
	v_and_b32_e32 v64, 15, v62
	v_and_b32_e32 v66, 16, v62
	v_lshrrev_b32_e32 v63, 5, v0
	v_add3_u32 v67, v1, v38, v3
	v_add3_u32 v68, v2, v44, v4
	v_cmp_eq_u32_e64 s1, 0, v64
	v_cmp_lt_u32_e64 s0, 1, v64
	v_cmp_lt_u32_e64 s2, 3, v64
	v_or_b32_e32 v65, 31, v0
	s_cmp_lg_u32 s6, 0
	s_mov_b32 s3, -1
	v_cmp_lt_u32_e32 vcc_lo, 7, v64
	s_cbranch_scc0 .LBB538_132
; %bb.111:
	v_mov_b32_dpp v1, v68 row_shr:1 row_mask:0xf bank_mask:0xf
	v_mov_b32_dpp v2, v67 row_shr:1 row_mask:0xf bank_mask:0xf
	s_mov_b32 s3, exec_lo
	v_add_nc_u32_e32 v1, v1, v68
	v_add_nc_u32_e32 v2, v2, v67
	v_cndmask_b32_e64 v1, v1, v68, s1
	v_cndmask_b32_e64 v2, v2, v67, s1
	v_mov_b32_dpp v3, v1 row_shr:2 row_mask:0xf bank_mask:0xf
	v_mov_b32_dpp v4, v2 row_shr:2 row_mask:0xf bank_mask:0xf
	v_add_nc_u32_e32 v3, v1, v3
	v_add_nc_u32_e32 v4, v2, v4
	v_cndmask_b32_e64 v1, v1, v3, s0
	v_cndmask_b32_e64 v2, v2, v4, s0
	v_mov_b32_dpp v3, v1 row_shr:4 row_mask:0xf bank_mask:0xf
	v_mov_b32_dpp v4, v2 row_shr:4 row_mask:0xf bank_mask:0xf
	;; [unrolled: 6-line block ×3, first 2 shown]
	v_add_nc_u32_e32 v3, v1, v3
	v_add_nc_u32_e32 v4, v2, v4
	v_cndmask_b32_e32 v1, v1, v3, vcc_lo
	v_cndmask_b32_e32 v2, v2, v4, vcc_lo
	v_cmp_eq_u32_e32 vcc_lo, 0, v66
	ds_swizzle_b32 v3, v1 offset:swizzle(BROADCAST,32,15)
	ds_swizzle_b32 v4, v2 offset:swizzle(BROADCAST,32,15)
	s_waitcnt lgkmcnt(0)
	v_add_nc_u32_e32 v3, v1, v3
	v_add_nc_u32_e32 v4, v2, v4
	v_cmpx_eq_u32_e64 v0, v65
	s_cbranch_execz .LBB538_113
; %bb.112:
	v_lshlrev_b32_e32 v7, 3, v63
	v_cndmask_b32_e32 v6, v3, v1, vcc_lo
	v_cndmask_b32_e32 v5, v4, v2, vcc_lo
	ds_write_b64 v7, v[5:6]
.LBB538_113:
	s_or_b32 exec_lo, exec_lo, s3
	s_mov_b32 s3, exec_lo
	s_waitcnt lgkmcnt(0)
	s_barrier
	buffer_gl0_inv
	v_cmpx_gt_u32_e32 8, v0
	s_cbranch_execz .LBB538_115
; %bb.114:
	v_lshlrev_b32_e32 v7, 3, v0
	v_and_b32_e32 v22, 7, v62
	ds_read_b64 v[5:6], v7
	v_cmp_eq_u32_e64 s2, 0, v22
	s_waitcnt lgkmcnt(0)
	v_mov_b32_dpp v8, v5 row_shr:1 row_mask:0xf bank_mask:0xf
	v_mov_b32_dpp v21, v6 row_shr:1 row_mask:0xf bank_mask:0xf
	v_add_nc_u32_e32 v8, v8, v5
	v_add_nc_u32_e32 v21, v21, v6
	v_cndmask_b32_e64 v5, v8, v5, s2
	v_cndmask_b32_e64 v6, v21, v6, s2
	v_cmp_lt_u32_e64 s2, 1, v22
	v_mov_b32_dpp v8, v5 row_shr:2 row_mask:0xf bank_mask:0xf
	v_mov_b32_dpp v21, v6 row_shr:2 row_mask:0xf bank_mask:0xf
	v_add_nc_u32_e32 v8, v5, v8
	v_add_nc_u32_e32 v21, v6, v21
	v_cndmask_b32_e64 v5, v5, v8, s2
	v_cndmask_b32_e64 v6, v6, v21, s2
	v_cmp_lt_u32_e64 s2, 3, v22
	v_mov_b32_dpp v8, v5 row_shr:4 row_mask:0xf bank_mask:0xf
	v_mov_b32_dpp v21, v6 row_shr:4 row_mask:0xf bank_mask:0xf
	v_cndmask_b32_e64 v8, 0, v8, s2
	v_cndmask_b32_e64 v21, 0, v21, s2
	v_add_nc_u32_e32 v5, v8, v5
	v_add_nc_u32_e32 v6, v21, v6
	ds_write_b64 v7, v[5:6]
.LBB538_115:
	s_or_b32 exec_lo, exec_lo, s3
	v_cndmask_b32_e32 v1, v3, v1, vcc_lo
	v_cndmask_b32_e32 v2, v4, v2, vcc_lo
	s_mov_b32 s3, exec_lo
	v_cmp_gt_u32_e32 vcc_lo, 32, v0
	s_waitcnt lgkmcnt(0)
	s_barrier
	buffer_gl0_inv
                                        ; implicit-def: $vgpr21
	v_cmpx_lt_u32_e32 31, v0
	s_cbranch_execz .LBB538_117
; %bb.116:
	v_lshl_add_u32 v3, v63, 3, -8
	ds_read_b64 v[21:22], v3
	s_waitcnt lgkmcnt(0)
	v_add_nc_u32_e32 v1, v22, v1
	v_add_nc_u32_e32 v2, v21, v2
.LBB538_117:
	s_or_b32 exec_lo, exec_lo, s3
	v_sub_co_u32 v3, s2, v62, 1
	v_cmp_gt_i32_e64 s3, 0, v3
	v_cndmask_b32_e64 v3, v3, v62, s3
	v_lshlrev_b32_e32 v3, 2, v3
	ds_bpermute_b32 v69, v3, v2
	ds_bpermute_b32 v70, v3, v1
	s_and_saveexec_b32 s3, vcc_lo
	s_cbranch_execz .LBB538_137
; %bb.118:
	v_mov_b32_e32 v4, 0
	ds_read_b64 v[1:2], v4 offset:56
	s_and_saveexec_b32 s8, s2
	s_cbranch_execz .LBB538_120
; %bb.119:
	s_add_i32 s10, s6, 32
	s_mov_b32 s11, 0
	v_mov_b32_e32 v3, 1
	s_lshl_b64 s[10:11], s[10:11], 4
	s_add_u32 s10, s4, s10
	s_addc_u32 s11, s5, s11
	v_mov_b32_e32 v5, s10
	v_mov_b32_e32 v6, s11
	s_waitcnt lgkmcnt(0)
	;;#ASMSTART
	global_store_dwordx4 v[5:6], v[1:4] off	
s_waitcnt vmcnt(0)
	;;#ASMEND
.LBB538_120:
	s_or_b32 exec_lo, exec_lo, s8
	v_xad_u32 v23, v62, -1, s6
	s_mov_b32 s9, 0
	v_add_nc_u32_e32 v3, 32, v23
	v_lshlrev_b64 v[5:6], 4, v[3:4]
	v_add_co_u32 v24, vcc_lo, s4, v5
	v_add_co_ci_u32_e64 v25, null, s5, v6, vcc_lo
	;;#ASMSTART
	global_load_dwordx4 v[5:8], v[24:25] off glc dlc	
s_waitcnt vmcnt(0)
	;;#ASMEND
	v_cmp_eq_u16_sdwa s10, v7, v4 src0_sel:BYTE_0 src1_sel:DWORD
	s_and_saveexec_b32 s8, s10
	s_cbranch_execz .LBB538_124
; %bb.121:
	v_mov_b32_e32 v3, 0
.LBB538_122:                            ; =>This Inner Loop Header: Depth=1
	;;#ASMSTART
	global_load_dwordx4 v[5:8], v[24:25] off glc dlc	
s_waitcnt vmcnt(0)
	;;#ASMEND
	v_cmp_ne_u16_sdwa s10, v7, v3 src0_sel:BYTE_0 src1_sel:DWORD
	s_or_b32 s9, s10, s9
	s_andn2_b32 exec_lo, exec_lo, s9
	s_cbranch_execnz .LBB538_122
; %bb.123:
	s_or_b32 exec_lo, exec_lo, s9
.LBB538_124:
	s_or_b32 exec_lo, exec_lo, s8
	v_cmp_ne_u32_e32 vcc_lo, 31, v62
	v_mov_b32_e32 v72, 2
	v_lshlrev_b32_e64 v73, v62, -1
	v_add_nc_u32_e32 v75, 2, v62
	v_add_nc_u32_e32 v77, 4, v62
	v_add_co_ci_u32_e64 v3, null, 0, v62, vcc_lo
	v_cmp_eq_u16_sdwa s8, v7, v72 src0_sel:BYTE_0 src1_sel:DWORD
	v_cmp_gt_u32_e32 vcc_lo, 30, v62
	v_add_nc_u32_e32 v79, 8, v62
	v_lshlrev_b32_e32 v71, 2, v3
	v_lshl_or_b32 v80, v62, 2, 64
	v_and_b32_e32 v8, s8, v73
	v_cndmask_b32_e64 v24, 0, 2, vcc_lo
	v_add_nc_u32_e32 v81, 16, v62
	ds_bpermute_b32 v3, v71, v6
	ds_bpermute_b32 v4, v71, v5
	v_or_b32_e32 v8, 0x80000000, v8
	v_add_lshl_u32 v74, v24, v62, 2
	v_ffbl_b32_e32 v8, v8
	v_cmp_lt_u32_e32 vcc_lo, v62, v8
	s_waitcnt lgkmcnt(1)
	v_add_nc_u32_e32 v3, v3, v6
	s_waitcnt lgkmcnt(0)
	v_add_nc_u32_e32 v4, v4, v5
	v_cndmask_b32_e32 v3, v6, v3, vcc_lo
	v_cndmask_b32_e32 v4, v5, v4, vcc_lo
	v_cmp_gt_u32_e32 vcc_lo, 28, v62
	ds_bpermute_b32 v5, v74, v3
	ds_bpermute_b32 v6, v74, v4
	v_cndmask_b32_e64 v24, 0, 4, vcc_lo
	v_cmp_gt_u32_e32 vcc_lo, v75, v8
	v_add_lshl_u32 v76, v24, v62, 2
	s_waitcnt lgkmcnt(1)
	v_add_nc_u32_e32 v5, v3, v5
	s_waitcnt lgkmcnt(0)
	v_add_nc_u32_e32 v6, v4, v6
	v_cndmask_b32_e32 v3, v5, v3, vcc_lo
	v_cndmask_b32_e32 v4, v6, v4, vcc_lo
	v_cmp_gt_u32_e32 vcc_lo, 24, v62
	ds_bpermute_b32 v5, v76, v3
	ds_bpermute_b32 v6, v76, v4
	v_cndmask_b32_e64 v24, 0, 8, vcc_lo
	v_cmp_gt_u32_e32 vcc_lo, v77, v8
	v_add_lshl_u32 v78, v24, v62, 2
	v_mov_b32_e32 v24, 0
	s_waitcnt lgkmcnt(1)
	v_add_nc_u32_e32 v5, v3, v5
	s_waitcnt lgkmcnt(0)
	v_add_nc_u32_e32 v6, v4, v6
	v_cndmask_b32_e32 v3, v5, v3, vcc_lo
	v_cndmask_b32_e32 v4, v6, v4, vcc_lo
	v_cmp_gt_u32_e32 vcc_lo, v79, v8
	ds_bpermute_b32 v5, v78, v3
	ds_bpermute_b32 v6, v78, v4
	s_waitcnt lgkmcnt(1)
	v_add_nc_u32_e32 v5, v3, v5
	s_waitcnt lgkmcnt(0)
	v_add_nc_u32_e32 v6, v4, v6
	v_cndmask_b32_e32 v3, v5, v3, vcc_lo
	v_cndmask_b32_e32 v4, v6, v4, vcc_lo
	v_cmp_le_u32_e32 vcc_lo, v81, v8
	ds_bpermute_b32 v6, v80, v3
	ds_bpermute_b32 v5, v80, v4
	s_waitcnt lgkmcnt(1)
	v_cndmask_b32_e32 v6, 0, v6, vcc_lo
	s_waitcnt lgkmcnt(0)
	v_cndmask_b32_e32 v5, 0, v5, vcc_lo
	v_add_nc_u32_e32 v6, v6, v3
	v_add_nc_u32_e32 v5, v5, v4
	s_branch .LBB538_128
.LBB538_125:                            ;   in Loop: Header=BB538_128 Depth=1
	s_or_b32 exec_lo, exec_lo, s9
.LBB538_126:                            ;   in Loop: Header=BB538_128 Depth=1
	s_or_b32 exec_lo, exec_lo, s8
	ds_bpermute_b32 v8, v71, v5
	ds_bpermute_b32 v25, v71, v6
	v_cmp_eq_u16_sdwa s8, v7, v72 src0_sel:BYTE_0 src1_sel:DWORD
	v_subrev_nc_u32_e32 v23, 32, v23
	v_and_or_b32 v26, s8, v73, 0x80000000
	s_mov_b32 s8, 0
	v_ffbl_b32_e32 v26, v26
	v_cmp_lt_u32_e32 vcc_lo, v62, v26
	s_waitcnt lgkmcnt(1)
	v_add_nc_u32_e32 v8, v8, v5
	s_waitcnt lgkmcnt(0)
	v_add_nc_u32_e32 v25, v25, v6
	v_cndmask_b32_e32 v5, v5, v8, vcc_lo
	v_cndmask_b32_e32 v6, v6, v25, vcc_lo
	v_cmp_gt_u32_e32 vcc_lo, v75, v26
	ds_bpermute_b32 v8, v74, v5
	ds_bpermute_b32 v25, v74, v6
	s_waitcnt lgkmcnt(1)
	v_add_nc_u32_e32 v8, v5, v8
	s_waitcnt lgkmcnt(0)
	v_add_nc_u32_e32 v25, v6, v25
	v_cndmask_b32_e32 v5, v8, v5, vcc_lo
	v_cndmask_b32_e32 v6, v25, v6, vcc_lo
	v_cmp_gt_u32_e32 vcc_lo, v77, v26
	ds_bpermute_b32 v8, v76, v5
	ds_bpermute_b32 v25, v76, v6
	;; [unrolled: 9-line block ×3, first 2 shown]
	s_waitcnt lgkmcnt(1)
	v_add_nc_u32_e32 v8, v5, v8
	s_waitcnt lgkmcnt(0)
	v_add_nc_u32_e32 v25, v6, v25
	v_cndmask_b32_e32 v5, v8, v5, vcc_lo
	v_cndmask_b32_e32 v6, v25, v6, vcc_lo
	v_cmp_le_u32_e32 vcc_lo, v81, v26
	ds_bpermute_b32 v8, v80, v5
	ds_bpermute_b32 v25, v80, v6
	s_waitcnt lgkmcnt(1)
	v_cndmask_b32_e32 v8, 0, v8, vcc_lo
	s_waitcnt lgkmcnt(0)
	v_cndmask_b32_e32 v25, 0, v25, vcc_lo
	v_add3_u32 v5, v5, v3, v8
	v_add3_u32 v6, v6, v4, v25
.LBB538_127:                            ;   in Loop: Header=BB538_128 Depth=1
	s_and_b32 vcc_lo, exec_lo, s8
	s_cbranch_vccnz .LBB538_133
.LBB538_128:                            ; =>This Loop Header: Depth=1
                                        ;     Child Loop BB538_131 Depth 2
	v_cmp_ne_u16_sdwa s8, v7, v72 src0_sel:BYTE_0 src1_sel:DWORD
	v_mov_b32_e32 v3, v5
	v_mov_b32_e32 v4, v6
                                        ; implicit-def: $vgpr7
                                        ; implicit-def: $vgpr5_vgpr6
	s_cmp_lg_u32 s8, exec_lo
	s_mov_b32 s8, -1
	s_cbranch_scc1 .LBB538_127
; %bb.129:                              ;   in Loop: Header=BB538_128 Depth=1
	v_lshlrev_b64 v[5:6], 4, v[23:24]
	v_add_co_u32 v25, vcc_lo, s4, v5
	v_add_co_ci_u32_e64 v26, null, s5, v6, vcc_lo
	;;#ASMSTART
	global_load_dwordx4 v[5:8], v[25:26] off glc dlc	
s_waitcnt vmcnt(0)
	;;#ASMEND
	v_cmp_eq_u16_sdwa s9, v7, v24 src0_sel:BYTE_0 src1_sel:DWORD
	s_and_saveexec_b32 s8, s9
	s_cbranch_execz .LBB538_126
; %bb.130:                              ;   in Loop: Header=BB538_128 Depth=1
	s_mov_b32 s9, 0
.LBB538_131:                            ;   Parent Loop BB538_128 Depth=1
                                        ; =>  This Inner Loop Header: Depth=2
	;;#ASMSTART
	global_load_dwordx4 v[5:8], v[25:26] off glc dlc	
s_waitcnt vmcnt(0)
	;;#ASMEND
	v_cmp_ne_u16_sdwa s10, v7, v24 src0_sel:BYTE_0 src1_sel:DWORD
	s_or_b32 s9, s10, s9
	s_andn2_b32 exec_lo, exec_lo, s9
	s_cbranch_execnz .LBB538_131
	s_branch .LBB538_125
.LBB538_132:
                                        ; implicit-def: $vgpr23
                                        ; implicit-def: $vgpr3
                                        ; implicit-def: $vgpr24
	s_and_b32 vcc_lo, exec_lo, s3
	s_cbranch_vccnz .LBB538_138
	s_branch .LBB538_147
.LBB538_133:
	s_and_saveexec_b32 s8, s2
	s_cbranch_execnz .LBB538_375
; %bb.134:
	s_or_b32 exec_lo, exec_lo, s8
	s_and_saveexec_b32 s6, s2
	s_cbranch_execnz .LBB538_376
.LBB538_135:
	s_or_b32 exec_lo, exec_lo, s6
	v_cmp_eq_u32_e32 vcc_lo, 0, v0
	s_and_b32 exec_lo, exec_lo, vcc_lo
.LBB538_136:
	v_mov_b32_e32 v1, 0
	ds_write_b64 v1, v[3:4] offset:56
.LBB538_137:
	s_or_b32 exec_lo, exec_lo, s3
	v_mov_b32_e32 v1, 0
	s_waitcnt lgkmcnt(0)
	s_barrier
	buffer_gl0_inv
	v_cndmask_b32_e64 v7, v69, v21, s2
	ds_read_b64 v[5:6], v1 offset:56
	s_waitcnt lgkmcnt(0)
	s_barrier
	buffer_gl0_inv
	ds_read_b128 v[1:4], v1 offset:13312
	v_cndmask_b32_e64 v8, v70, v22, s2
	v_cmp_eq_u32_e32 vcc_lo, 0, v0
	v_add_nc_u32_e32 v7, v5, v7
	v_add_nc_u32_e32 v8, v6, v8
	v_cndmask_b32_e32 v24, v7, v5, vcc_lo
	v_cndmask_b32_e32 v23, v8, v6, vcc_lo
	s_branch .LBB538_147
.LBB538_138:
	s_waitcnt lgkmcnt(0)
	v_mov_b32_dpp v1, v67 row_shr:1 row_mask:0xf bank_mask:0xf
	v_mov_b32_dpp v2, v68 row_shr:1 row_mask:0xf bank_mask:0xf
	v_cmp_lt_u32_e32 vcc_lo, 3, v64
	v_add_nc_u32_e32 v1, v1, v67
	v_add_nc_u32_e32 v2, v2, v68
	v_cndmask_b32_e64 v1, v1, v67, s1
	v_cndmask_b32_e64 v2, v2, v68, s1
	s_mov_b32 s1, exec_lo
	v_mov_b32_dpp v3, v1 row_shr:2 row_mask:0xf bank_mask:0xf
	v_mov_b32_dpp v4, v2 row_shr:2 row_mask:0xf bank_mask:0xf
	v_add_nc_u32_e32 v3, v1, v3
	v_add_nc_u32_e32 v4, v2, v4
	v_cndmask_b32_e64 v1, v1, v3, s0
	v_cndmask_b32_e64 v2, v2, v4, s0
	v_mov_b32_dpp v3, v1 row_shr:4 row_mask:0xf bank_mask:0xf
	v_mov_b32_dpp v4, v2 row_shr:4 row_mask:0xf bank_mask:0xf
	v_add_nc_u32_e32 v3, v1, v3
	v_add_nc_u32_e32 v4, v2, v4
	v_cndmask_b32_e32 v3, v1, v3, vcc_lo
	v_cndmask_b32_e32 v2, v2, v4, vcc_lo
	v_cmp_lt_u32_e32 vcc_lo, 7, v64
	v_mov_b32_dpp v1, v3 row_shr:8 row_mask:0xf bank_mask:0xf
	v_mov_b32_dpp v4, v2 row_shr:8 row_mask:0xf bank_mask:0xf
	v_add_nc_u32_e32 v5, v3, v1
	v_add_nc_u32_e32 v1, v2, v4
	v_cndmask_b32_e32 v1, v2, v1, vcc_lo
	v_cndmask_b32_e32 v2, v3, v5, vcc_lo
	v_cmp_eq_u32_e32 vcc_lo, 0, v66
	ds_swizzle_b32 v3, v1 offset:swizzle(BROADCAST,32,15)
	ds_swizzle_b32 v4, v2 offset:swizzle(BROADCAST,32,15)
	s_waitcnt lgkmcnt(1)
	v_add_nc_u32_e32 v3, v1, v3
	s_waitcnt lgkmcnt(0)
	v_add_nc_u32_e32 v4, v2, v4
	v_cmpx_eq_u32_e64 v0, v65
	s_cbranch_execz .LBB538_140
; %bb.139:
	v_cndmask_b32_e32 v5, v4, v2, vcc_lo
	v_cndmask_b32_e32 v6, v3, v1, vcc_lo
	v_lshlrev_b32_e32 v7, 3, v63
	ds_write_b64 v7, v[5:6]
.LBB538_140:
	s_or_b32 exec_lo, exec_lo, s1
	s_mov_b32 s1, exec_lo
	s_waitcnt lgkmcnt(0)
	s_barrier
	buffer_gl0_inv
	v_cmpx_gt_u32_e32 8, v0
	s_cbranch_execz .LBB538_142
; %bb.141:
	v_lshlrev_b32_e32 v7, 3, v0
	v_and_b32_e32 v22, 7, v62
	ds_read_b64 v[5:6], v7
	v_cmp_eq_u32_e64 s0, 0, v22
	s_waitcnt lgkmcnt(0)
	v_mov_b32_dpp v8, v5 row_shr:1 row_mask:0xf bank_mask:0xf
	v_mov_b32_dpp v21, v6 row_shr:1 row_mask:0xf bank_mask:0xf
	v_add_nc_u32_e32 v8, v8, v5
	v_add_nc_u32_e32 v21, v21, v6
	v_cndmask_b32_e64 v5, v8, v5, s0
	v_cndmask_b32_e64 v6, v21, v6, s0
	v_cmp_lt_u32_e64 s0, 1, v22
	v_mov_b32_dpp v8, v5 row_shr:2 row_mask:0xf bank_mask:0xf
	v_mov_b32_dpp v21, v6 row_shr:2 row_mask:0xf bank_mask:0xf
	v_add_nc_u32_e32 v8, v5, v8
	v_add_nc_u32_e32 v21, v6, v21
	v_cndmask_b32_e64 v5, v5, v8, s0
	v_cndmask_b32_e64 v6, v6, v21, s0
	v_cmp_lt_u32_e64 s0, 3, v22
	v_mov_b32_dpp v8, v5 row_shr:4 row_mask:0xf bank_mask:0xf
	v_mov_b32_dpp v21, v6 row_shr:4 row_mask:0xf bank_mask:0xf
	v_cndmask_b32_e64 v8, 0, v8, s0
	v_cndmask_b32_e64 v21, 0, v21, s0
	v_add_nc_u32_e32 v5, v8, v5
	v_add_nc_u32_e32 v6, v21, v6
	ds_write_b64 v7, v[5:6]
.LBB538_142:
	s_or_b32 exec_lo, exec_lo, s1
	v_mov_b32_e32 v7, 0
	v_mov_b32_e32 v5, 0
	;; [unrolled: 1-line block ×3, first 2 shown]
	s_mov_b32 s1, exec_lo
	s_waitcnt lgkmcnt(0)
	s_barrier
	buffer_gl0_inv
	v_cmpx_lt_u32_e32 31, v0
; %bb.143:
	v_lshl_add_u32 v5, v63, 3, -8
	ds_read_b64 v[5:6], v5
; %bb.144:
	s_or_b32 exec_lo, exec_lo, s1
	v_sub_co_u32 v8, s0, v62, 1
	v_cndmask_b32_e32 v2, v4, v2, vcc_lo
	v_cndmask_b32_e32 v1, v3, v1, vcc_lo
	v_cmp_eq_u32_e32 vcc_lo, 0, v0
	v_cmp_gt_i32_e64 s1, 0, v8
	s_waitcnt lgkmcnt(0)
	v_add_nc_u32_e32 v2, v5, v2
	v_add_nc_u32_e32 v1, v6, v1
	v_cndmask_b32_e64 v4, v8, v62, s1
	v_lshlrev_b32_e32 v3, 2, v4
	ds_bpermute_b32 v8, v3, v2
	ds_bpermute_b32 v21, v3, v1
	ds_read_b64 v[1:2], v7 offset:56
	s_and_saveexec_b32 s1, vcc_lo
	s_cbranch_execz .LBB538_146
; %bb.145:
	s_add_u32 s2, s4, 0x200
	s_addc_u32 s3, s5, 0
	v_mov_b32_e32 v3, 2
	v_mov_b32_e32 v23, s3
	;; [unrolled: 1-line block ×4, first 2 shown]
	s_waitcnt lgkmcnt(0)
	;;#ASMSTART
	global_store_dwordx4 v[22:23], v[1:4] off	
s_waitcnt vmcnt(0)
	;;#ASMEND
.LBB538_146:
	s_or_b32 exec_lo, exec_lo, s1
	s_waitcnt lgkmcnt(1)
	v_cndmask_b32_e64 v3, v21, v6, s0
	v_cndmask_b32_e64 v5, v8, v5, s0
	v_mov_b32_e32 v4, 0
	s_waitcnt lgkmcnt(0)
	s_barrier
	v_cndmask_b32_e64 v23, v3, 0, vcc_lo
	v_cndmask_b32_e64 v24, v5, 0, vcc_lo
	v_mov_b32_e32 v3, 0
	buffer_gl0_inv
.LBB538_147:
	v_add_nc_u32_e32 v61, v23, v61
	v_add_nc_u32_e32 v60, v24, v60
	s_waitcnt lgkmcnt(0)
	v_sub_nc_u32_e32 v23, v23, v4
	v_lshrrev_b32_e32 v26, 8, v36
	v_lshlrev_b32_e32 v66, 1, v1
	v_add_nc_u32_e32 v58, v61, v58
	v_sub_nc_u32_e32 v61, v61, v4
	v_add_nc_u32_e32 v57, v60, v57
	v_sub_nc_u32_e32 v24, v24, v3
	v_sub_nc_u32_e32 v60, v60, v3
	v_add_nc_u32_e32 v23, v23, v1
	v_add_nc_u32_e32 v61, v61, v1
	v_and_b32_e32 v26, 1, v26
	v_mov_b32_e32 v68, 1
	v_add3_u32 v29, v66, v2, v29
	v_add_nc_u32_e32 v73, v24, v23
	v_add_nc_u32_e32 v72, v61, v60
	v_cmp_eq_u32_e32 vcc_lo, 1, v26
	v_and_b32_sdwa v71, v68, v36 dst_sel:DWORD dst_unused:UNUSED_PAD src0_sel:DWORD src1_sel:WORD_1
	v_lshrrev_b32_e32 v25, 8, v30
	v_sub_nc_u32_e32 v73, v29, v73
	v_sub_nc_u32_e32 v72, v29, v72
	v_and_b32_e32 v67, 1, v30
	v_add_nc_u32_e32 v62, v58, v43
	v_and_b32_e32 v25, 1, v25
	v_cndmask_b32_e32 v23, v73, v23, vcc_lo
	v_add_nc_u32_e32 v72, 1, v72
	v_cmp_eq_u32_e32 vcc_lo, 1, v71
	v_sub_nc_u32_e32 v58, v58, v4
	v_add_nc_u32_e32 v59, v57, v59
	v_sub_nc_u32_e32 v57, v57, v3
	v_add_co_u32 v5, s0, s28, v3
	v_cndmask_b32_e32 v26, v72, v61, vcc_lo
	v_cmp_eq_u32_e32 vcc_lo, 1, v67
	v_add_nc_u32_e32 v58, v58, v1
	v_add_co_ci_u32_e64 v6, null, s29, 0, s0
	v_sub_co_u32 v64, s0, s30, v1
	v_cndmask_b32_e32 v67, v23, v24, vcc_lo
	v_cmp_eq_u32_e32 vcc_lo, 1, v25
	v_sub_co_ci_u32_e64 v65, null, s31, 0, s0
	v_and_b32_e32 v43, 1, v43
	v_add_nc_u32_e32 v56, v62, v56
	v_cndmask_b32_e32 v25, v26, v60, vcc_lo
	v_add_nc_u32_e32 v26, v58, v57
	v_add_co_u32 v23, vcc_lo, v64, v4
	v_add_co_ci_u32_e64 v24, null, 0, v65, vcc_lo
	v_sub_nc_u32_e32 v26, v29, v26
	v_sub_nc_u32_e32 v62, v62, v4
	v_and_b32_sdwa v30, v68, v30 dst_sel:DWORD dst_unused:UNUSED_PAD src0_sel:DWORD src1_sel:WORD_1
	v_cmp_eq_u32_e32 vcc_lo, 1, v43
	v_add_nc_u32_e32 v63, v59, v42
	v_add_nc_u32_e32 v26, 2, v26
	v_sub_nc_u32_e32 v59, v59, v3
	v_add_nc_u32_e32 v62, v62, v1
	v_add_nc_u32_e32 v55, v56, v55
	v_lshlrev_b32_e32 v60, 2, v67
	v_cndmask_b32_e32 v26, v26, v58, vcc_lo
	v_cmp_eq_u32_e32 vcc_lo, 1, v30
	v_lshlrev_b32_e32 v25, 2, v25
	v_sub_nc_u32_e32 v56, v56, v4
	v_add_nc_u32_e32 v43, v59, v62
	v_sub_nc_u32_e32 v58, v63, v3
	v_cndmask_b32_e32 v26, v26, v57, vcc_lo
	ds_write_b32 v60, v19
	v_add_nc_u32_e32 v56, v56, v1
	v_sub_nc_u32_e32 v19, v29, v43
	ds_write_b32 v25, v20
	v_lshlrev_b32_e32 v25, 2, v26
	v_and_b32_e32 v26, 1, v31
	v_lshrrev_b32_e32 v22, 8, v31
	v_add_nc_u32_e32 v54, v63, v54
	v_add_nc_u32_e32 v20, v58, v56
	;; [unrolled: 1-line block ×3, first 2 shown]
	v_and_b32_e32 v30, 1, v42
	v_sub_nc_u32_e32 v42, v55, v4
	v_cmp_eq_u32_e32 vcc_lo, 1, v26
	v_sub_nc_u32_e32 v20, v29, v20
	v_and_b32_e32 v22, 1, v22
	v_sub_nc_u32_e32 v26, v54, v3
	v_add_nc_u32_e32 v42, v42, v1
	v_cndmask_b32_e32 v19, v19, v62, vcc_lo
	v_cmp_eq_u32_e32 vcc_lo, 1, v30
	v_add_nc_u32_e32 v20, 4, v20
	v_and_b32_e32 v30, 1, v32
	v_add_nc_u32_e32 v43, v26, v42
	v_lshrrev_b32_e32 v21, 8, v32
	v_cndmask_b32_e32 v19, v19, v59, vcc_lo
	v_cmp_eq_u32_e32 vcc_lo, 1, v22
	v_add_nc_u32_e32 v53, v55, v53
	ds_write_b32 v25, v17
	v_and_b32_sdwa v25, v68, v31 dst_sel:DWORD dst_unused:UNUSED_PAD src0_sel:DWORD src1_sel:WORD_1
	v_lshlrev_b32_e32 v17, 2, v19
	v_cndmask_b32_e32 v20, v20, v56, vcc_lo
	v_sub_nc_u32_e32 v19, v29, v43
	v_cmp_eq_u32_e32 vcc_lo, 1, v30
	v_add_nc_u32_e32 v52, v54, v52
	v_add_nc_u32_e32 v69, v53, v41
	v_and_b32_e32 v21, 1, v21
	v_sub_nc_u32_e32 v22, v53, v4
	v_cndmask_b32_e32 v20, v20, v58, vcc_lo
	v_add_nc_u32_e32 v19, 5, v19
	v_cmp_eq_u32_e32 vcc_lo, 1, v25
	v_add_nc_u32_e32 v46, v52, v46
	v_sub_nc_u32_e32 v30, v52, v3
	v_sub_nc_u32_e32 v31, v69, v4
	v_add_nc_u32_e32 v22, v22, v1
	v_cndmask_b32_e32 v19, v19, v42, vcc_lo
	v_cmp_eq_u32_e32 vcc_lo, 1, v21
	v_sub_nc_u32_e32 v25, v46, v3
	v_add_nc_u32_e32 v31, v31, v1
	v_lshlrev_b32_e32 v20, 2, v20
	v_add_nc_u32_e32 v42, v30, v22
	v_cndmask_b32_e32 v19, v19, v26, vcc_lo
	ds_write_b32 v17, v18
	v_add_nc_u32_e32 v21, v25, v31
	ds_write_b32 v20, v15
	v_sub_nc_u32_e32 v17, v29, v42
	v_lshlrev_b32_e32 v15, 2, v19
	v_and_b32_e32 v19, 1, v41
	v_sub_nc_u32_e32 v18, v29, v21
	v_and_b32_e32 v21, 1, v33
	v_add_nc_u32_e32 v17, 6, v17
	v_add_nc_u32_e32 v51, v69, v51
	v_cmp_eq_u32_e32 vcc_lo, 1, v19
	v_and_b32_sdwa v20, v68, v32 dst_sel:DWORD dst_unused:UNUSED_PAD src0_sel:DWORD src1_sel:WORD_1
	v_add_nc_u32_e32 v18, 7, v18
	v_add_nc_u32_e32 v70, v46, v40
	v_sub_nc_u32_e32 v19, v51, v4
	v_cndmask_b32_e32 v17, v17, v22, vcc_lo
	v_cmp_eq_u32_e32 vcc_lo, 1, v21
	v_and_b32_e32 v22, 1, v40
	v_add_nc_u32_e32 v50, v51, v50
	v_sub_nc_u32_e32 v21, v70, v3
	v_add_nc_u32_e32 v19, v19, v1
	v_cndmask_b32_e32 v18, v18, v31, vcc_lo
	v_cmp_eq_u32_e32 vcc_lo, 1, v20
	v_lshrrev_b32_e32 v8, 8, v33
	v_add_nc_u32_e32 v49, v70, v49
	v_add_nc_u32_e32 v20, v21, v19
	ds_write_b32 v15, v16
	v_cndmask_b32_e32 v17, v17, v30, vcc_lo
	v_cmp_eq_u32_e32 vcc_lo, 1, v22
	v_sub_nc_u32_e32 v15, v50, v4
	v_add_nc_u32_e32 v48, v50, v48
	v_and_b32_e32 v8, 1, v8
	v_lshlrev_b32_e32 v16, 2, v17
	v_cndmask_b32_e32 v18, v18, v25, vcc_lo
	v_add_nc_u32_e32 v15, v15, v1
	v_add_nc_u32_e32 v47, v49, v47
	v_cmp_eq_u32_e32 vcc_lo, 1, v8
	v_lshrrev_b32_e32 v7, 8, v35
	v_lshlrev_b32_e32 v17, 2, v18
	v_sub_nc_u32_e32 v18, v29, v20
	v_sub_nc_u32_e32 v20, v49, v3
	ds_write_b32 v16, v13
	ds_write_b32 v17, v14
	v_and_b32_e32 v16, 1, v35
	v_add_nc_u32_e32 v13, 8, v18
	v_add_nc_u32_e32 v14, v20, v15
	v_sub_nc_u32_e32 v17, v48, v4
	v_add_nc_u32_e32 v74, v48, v39
	v_add_nc_u32_e32 v45, v47, v45
	v_cndmask_b32_e32 v8, v13, v19, vcc_lo
	v_sub_nc_u32_e32 v13, v29, v14
	v_sub_nc_u32_e32 v14, v47, v3
	v_add_nc_u32_e32 v17, v17, v1
	v_cmp_eq_u32_e32 vcc_lo, 1, v16
	v_and_b32_sdwa v16, v68, v33 dst_sel:DWORD dst_unused:UNUSED_PAD src0_sel:DWORD src1_sel:WORD_1
	v_add_nc_u32_e32 v44, v74, v44
	v_add_nc_u32_e32 v13, 9, v13
	v_and_b32_e32 v7, 1, v7
	v_cndmask_b32_e32 v8, v8, v21, vcc_lo
	v_add_nc_u32_e32 v18, v14, v17
	v_sub_nc_u32_e32 v19, v74, v4
	v_cmp_eq_u32_e32 vcc_lo, 1, v16
	v_add_nc_u32_e32 v61, v45, v38
	v_and_b32_e32 v25, 1, v37
	v_sub_nc_u32_e32 v16, v29, v18
	v_sub_nc_u32_e32 v18, v45, v3
	v_cndmask_b32_e32 v13, v13, v15, vcc_lo
	v_sub_nc_u32_e32 v15, v44, v4
	v_add_nc_u32_e32 v19, v19, v1
	v_cmp_eq_u32_e32 vcc_lo, 1, v7
	v_sub_nc_u32_e32 v3, v61, v3
	v_add_nc_u32_e32 v16, 10, v16
	v_add_nc_u32_e32 v15, v15, v1
	v_and_b32_sdwa v22, v68, v35 dst_sel:DWORD dst_unused:UNUSED_PAD src0_sel:DWORD src1_sel:WORD_1
	v_cndmask_b32_e32 v7, v13, v20, vcc_lo
	v_add_nc_u32_e32 v13, v18, v19
	v_and_b32_e32 v20, 1, v39
	v_add_nc_u32_e32 v21, v3, v15
	v_lshlrev_b32_e32 v8, 2, v8
	v_lshlrev_b32_e32 v7, 2, v7
	v_sub_nc_u32_e32 v13, v29, v13
	v_cmp_eq_u32_e32 vcc_lo, 1, v20
	v_and_b32_e32 v20, 1, v34
	v_add_nc_u32_e32 v13, 11, v13
	v_cndmask_b32_e32 v16, v16, v17, vcc_lo
	v_sub_nc_u32_e32 v17, v29, v21
	v_cmp_eq_u32_e32 vcc_lo, 1, v20
	v_and_b32_e32 v21, 1, v38
	v_add_nc_u32_e32 v17, 12, v17
	v_cndmask_b32_e32 v13, v13, v19, vcc_lo
	v_cmp_eq_u32_e32 vcc_lo, 1, v25
	v_and_b32_e32 v19, 1, v36
	v_cndmask_b32_e32 v15, v17, v15, vcc_lo
	v_cmp_eq_u32_e32 vcc_lo, 1, v22
	v_cndmask_b32_e32 v14, v16, v14, vcc_lo
	v_cmp_eq_u32_e32 vcc_lo, 1, v21
	v_lshlrev_b32_e32 v14, 2, v14
	v_cndmask_b32_e32 v13, v13, v18, vcc_lo
	v_cmp_eq_u32_e32 vcc_lo, 1, v19
	v_lshlrev_b32_e32 v13, 2, v13
	v_cndmask_b32_e32 v3, v15, v3, vcc_lo
	v_lshlrev_b32_e32 v3, 2, v3
	ds_write_b32 v8, v11
	ds_write_b32 v7, v12
	;; [unrolled: 1-line block ×5, first 2 shown]
	v_add_co_u32 v3, s0, v2, v66
	v_add_co_ci_u32_e64 v7, null, 0, 0, s0
	s_add_u32 s0, s34, s42
	v_add_co_u32 v3, vcc_lo, v3, v23
	v_add_co_ci_u32_e64 v7, null, v7, v24, vcc_lo
	s_addc_u32 s1, s35, 0
	v_add_co_u32 v3, vcc_lo, v3, v5
	v_add_co_ci_u32_e64 v9, null, v7, v6, vcc_lo
	v_lshlrev_b64 v[7:8], 2, v[23:24]
	v_sub_co_u32 v3, vcc_lo, s0, v3
	v_sub_co_ci_u32_e64 v11, null, s1, v9, vcc_lo
	v_lshlrev_b64 v[9:10], 2, v[5:6]
	v_add_co_u32 v7, vcc_lo, s38, v7
	v_add_co_ci_u32_e64 v8, null, s39, v8, vcc_lo
	v_cmp_ne_u32_e32 vcc_lo, 1, v27
	v_add_co_u32 v9, s0, s36, v9
	v_add_nc_u32_e32 v12, v1, v2
	v_add_co_ci_u32_e64 v10, null, s37, v10, s0
	s_and_b32 vcc_lo, exec_lo, vcc_lo
	s_mov_b32 s0, -1
	s_waitcnt lgkmcnt(0)
	s_barrier
	buffer_gl0_inv
	s_cbranch_vccz .LBB538_151
; %bb.148:
	s_and_b32 vcc_lo, exec_lo, s0
	s_cbranch_vccnz .LBB538_256
.LBB538_149:
	v_cmp_eq_u32_e32 vcc_lo, 0, v0
	s_and_b32 s0, vcc_lo, s33
	s_and_saveexec_b32 s1, s0
	s_cbranch_execnz .LBB538_374
.LBB538_150:
	s_endpgm
.LBB538_151:
	s_mov_b32 s0, exec_lo
	v_cmpx_ge_u32_e64 v0, v1
	s_xor_b32 s0, exec_lo, s0
	s_cbranch_execz .LBB538_157
; %bb.152:
	s_mov_b32 s1, exec_lo
	v_cmpx_ge_u32_e64 v0, v12
	s_xor_b32 s1, exec_lo, s1
	s_cbranch_execz .LBB538_154
; %bb.153:
	v_lshlrev_b32_e32 v13, 2, v0
	ds_read_b32 v15, v13
	v_add_co_u32 v13, vcc_lo, v3, v0
	v_add_co_ci_u32_e64 v14, null, 0, v11, vcc_lo
	v_lshlrev_b64 v[13:14], 2, v[13:14]
	v_sub_co_u32 v13, vcc_lo, s26, v13
	v_sub_co_ci_u32_e64 v14, null, s27, v14, vcc_lo
	s_waitcnt lgkmcnt(0)
	global_store_dword v[13:14], v15, off offset:-4
.LBB538_154:
	s_andn2_saveexec_b32 s1, s1
	s_cbranch_execz .LBB538_156
; %bb.155:
	v_lshlrev_b32_e32 v13, 2, v0
	v_readfirstlane_b32 s2, v7
	v_readfirstlane_b32 s3, v8
	ds_read_b32 v14, v13
	s_waitcnt lgkmcnt(0)
	global_store_dword v13, v14, s[2:3]
.LBB538_156:
	s_or_b32 exec_lo, exec_lo, s1
.LBB538_157:
	s_andn2_saveexec_b32 s0, s0
	s_cbranch_execz .LBB538_159
; %bb.158:
	v_lshlrev_b32_e32 v13, 2, v0
	v_readfirstlane_b32 s2, v9
	v_readfirstlane_b32 s3, v10
	ds_read_b32 v14, v13
	s_waitcnt lgkmcnt(0)
	global_store_dword v13, v14, s[2:3]
.LBB538_159:
	s_or_b32 exec_lo, exec_lo, s0
	v_or_b32_e32 v13, 0x100, v0
	s_mov_b32 s0, exec_lo
	v_cmpx_ge_u32_e64 v13, v1
	s_xor_b32 s0, exec_lo, s0
	s_cbranch_execz .LBB538_165
; %bb.160:
	s_mov_b32 s1, exec_lo
	v_cmpx_ge_u32_e64 v13, v12
	s_xor_b32 s1, exec_lo, s1
	s_cbranch_execz .LBB538_162
; %bb.161:
	v_lshlrev_b32_e32 v13, 2, v0
	ds_read_b32 v15, v13 offset:1024
	v_add_co_u32 v13, vcc_lo, v3, v0
	v_add_co_ci_u32_e64 v14, null, 0, v11, vcc_lo
	v_lshlrev_b64 v[13:14], 2, v[13:14]
	v_sub_co_u32 v13, vcc_lo, s26, v13
	v_sub_co_ci_u32_e64 v14, null, s27, v14, vcc_lo
	s_waitcnt lgkmcnt(0)
	global_store_dword v[13:14], v15, off offset:-1028
.LBB538_162:
	s_andn2_saveexec_b32 s1, s1
	s_cbranch_execz .LBB538_164
; %bb.163:
	v_lshlrev_b32_e32 v13, 2, v0
	v_readfirstlane_b32 s2, v7
	v_readfirstlane_b32 s3, v8
	ds_read_b32 v14, v13 offset:1024
	s_waitcnt lgkmcnt(0)
	global_store_dword v13, v14, s[2:3] offset:1024
.LBB538_164:
	s_or_b32 exec_lo, exec_lo, s1
.LBB538_165:
	s_andn2_saveexec_b32 s0, s0
	s_cbranch_execz .LBB538_167
; %bb.166:
	v_lshlrev_b32_e32 v13, 2, v0
	v_readfirstlane_b32 s2, v9
	v_readfirstlane_b32 s3, v10
	ds_read_b32 v14, v13 offset:1024
	s_waitcnt lgkmcnt(0)
	global_store_dword v13, v14, s[2:3] offset:1024
.LBB538_167:
	s_or_b32 exec_lo, exec_lo, s0
	v_or_b32_e32 v13, 0x200, v0
	s_mov_b32 s0, exec_lo
	v_cmpx_ge_u32_e64 v13, v1
	s_xor_b32 s0, exec_lo, s0
	s_cbranch_execz .LBB538_173
; %bb.168:
	s_mov_b32 s1, exec_lo
	v_cmpx_ge_u32_e64 v13, v12
	s_xor_b32 s1, exec_lo, s1
	s_cbranch_execz .LBB538_170
; %bb.169:
	v_lshlrev_b32_e32 v15, 2, v0
	v_add_co_u32 v13, vcc_lo, v3, v0
	v_add_co_ci_u32_e64 v14, null, 0, v11, vcc_lo
	ds_read_b32 v15, v15 offset:2048
	v_lshlrev_b64 v[13:14], 2, v[13:14]
	v_sub_co_u32 v13, vcc_lo, s26, v13
	v_sub_co_ci_u32_e64 v14, null, s27, v14, vcc_lo
	v_add_co_u32 v13, vcc_lo, 0xfffff800, v13
	v_add_co_ci_u32_e64 v14, null, -1, v14, vcc_lo
	s_waitcnt lgkmcnt(0)
	global_store_dword v[13:14], v15, off offset:-4
                                        ; implicit-def: $vgpr13
.LBB538_170:
	s_andn2_saveexec_b32 s1, s1
	s_cbranch_execz .LBB538_172
; %bb.171:
	v_lshlrev_b32_e32 v14, 2, v0
	v_lshlrev_b32_e32 v13, 2, v13
	v_readfirstlane_b32 s2, v7
	v_readfirstlane_b32 s3, v8
	ds_read_b32 v14, v14 offset:2048
	s_waitcnt lgkmcnt(0)
	global_store_dword v13, v14, s[2:3]
.LBB538_172:
	s_or_b32 exec_lo, exec_lo, s1
                                        ; implicit-def: $vgpr13
.LBB538_173:
	s_andn2_saveexec_b32 s0, s0
	s_cbranch_execz .LBB538_175
; %bb.174:
	v_lshlrev_b32_e32 v14, 2, v0
	v_lshlrev_b32_e32 v13, 2, v13
	v_readfirstlane_b32 s2, v9
	v_readfirstlane_b32 s3, v10
	ds_read_b32 v14, v14 offset:2048
	s_waitcnt lgkmcnt(0)
	global_store_dword v13, v14, s[2:3]
.LBB538_175:
	s_or_b32 exec_lo, exec_lo, s0
	v_or_b32_e32 v13, 0x300, v0
	s_mov_b32 s0, exec_lo
	v_cmpx_ge_u32_e64 v13, v1
	s_xor_b32 s0, exec_lo, s0
	s_cbranch_execz .LBB538_181
; %bb.176:
	s_mov_b32 s1, exec_lo
	v_cmpx_ge_u32_e64 v13, v12
	s_xor_b32 s1, exec_lo, s1
	s_cbranch_execz .LBB538_178
; %bb.177:
	v_lshlrev_b32_e32 v14, 2, v0
	v_add_co_u32 v13, vcc_lo, v3, v13
	ds_read_b32 v15, v14 offset:3072
	v_add_co_ci_u32_e64 v14, null, 0, v11, vcc_lo
	v_lshlrev_b64 v[13:14], 2, v[13:14]
	v_sub_co_u32 v13, vcc_lo, s26, v13
	v_sub_co_ci_u32_e64 v14, null, s27, v14, vcc_lo
	s_waitcnt lgkmcnt(0)
	global_store_dword v[13:14], v15, off offset:-4
                                        ; implicit-def: $vgpr13
.LBB538_178:
	s_andn2_saveexec_b32 s1, s1
	s_cbranch_execz .LBB538_180
; %bb.179:
	v_lshlrev_b32_e32 v14, 2, v0
	v_lshlrev_b32_e32 v13, 2, v13
	v_readfirstlane_b32 s2, v7
	v_readfirstlane_b32 s3, v8
	ds_read_b32 v14, v14 offset:3072
	s_waitcnt lgkmcnt(0)
	global_store_dword v13, v14, s[2:3]
.LBB538_180:
	s_or_b32 exec_lo, exec_lo, s1
                                        ; implicit-def: $vgpr13
.LBB538_181:
	s_andn2_saveexec_b32 s0, s0
	s_cbranch_execz .LBB538_183
; %bb.182:
	v_lshlrev_b32_e32 v14, 2, v0
	v_lshlrev_b32_e32 v13, 2, v13
	v_readfirstlane_b32 s2, v9
	v_readfirstlane_b32 s3, v10
	ds_read_b32 v14, v14 offset:3072
	s_waitcnt lgkmcnt(0)
	global_store_dword v13, v14, s[2:3]
.LBB538_183:
	s_or_b32 exec_lo, exec_lo, s0
	v_or_b32_e32 v13, 0x400, v0
	s_mov_b32 s0, exec_lo
	v_cmpx_ge_u32_e64 v13, v1
	s_xor_b32 s0, exec_lo, s0
	s_cbranch_execz .LBB538_189
; %bb.184:
	s_mov_b32 s1, exec_lo
	v_cmpx_ge_u32_e64 v13, v12
	s_xor_b32 s1, exec_lo, s1
	s_cbranch_execz .LBB538_186
; %bb.185:
	v_lshlrev_b32_e32 v14, 2, v0
	v_add_co_u32 v13, vcc_lo, v3, v13
	ds_read_b32 v15, v14 offset:4096
	v_add_co_ci_u32_e64 v14, null, 0, v11, vcc_lo
	v_lshlrev_b64 v[13:14], 2, v[13:14]
	v_sub_co_u32 v13, vcc_lo, s26, v13
	v_sub_co_ci_u32_e64 v14, null, s27, v14, vcc_lo
	s_waitcnt lgkmcnt(0)
	global_store_dword v[13:14], v15, off offset:-4
                                        ; implicit-def: $vgpr13
.LBB538_186:
	s_andn2_saveexec_b32 s1, s1
	s_cbranch_execz .LBB538_188
; %bb.187:
	v_lshlrev_b32_e32 v14, 2, v0
	v_lshlrev_b32_e32 v13, 2, v13
	v_readfirstlane_b32 s2, v7
	v_readfirstlane_b32 s3, v8
	ds_read_b32 v14, v14 offset:4096
	s_waitcnt lgkmcnt(0)
	global_store_dword v13, v14, s[2:3]
.LBB538_188:
	s_or_b32 exec_lo, exec_lo, s1
                                        ; implicit-def: $vgpr13
.LBB538_189:
	;; [unrolled: 48-line block ×10, first 2 shown]
	s_andn2_saveexec_b32 s0, s0
	s_cbranch_execz .LBB538_255
; %bb.254:
	v_lshlrev_b32_e32 v14, 2, v0
	v_lshlrev_b32_e32 v13, 2, v13
	v_readfirstlane_b32 s2, v9
	v_readfirstlane_b32 s3, v10
	ds_read_b32 v14, v14 offset:12288
	s_waitcnt lgkmcnt(0)
	global_store_dword v13, v14, s[2:3]
.LBB538_255:
	s_or_b32 exec_lo, exec_lo, s0
	s_branch .LBB538_149
.LBB538_256:
	s_mov_b32 s0, exec_lo
	v_cmpx_gt_u32_e64 s7, v0
	s_cbranch_execz .LBB538_265
; %bb.257:
	s_mov_b32 s1, exec_lo
	v_cmpx_ge_u32_e64 v0, v1
	s_xor_b32 s1, exec_lo, s1
	s_cbranch_execz .LBB538_263
; %bb.258:
	s_mov_b32 s2, exec_lo
	v_cmpx_ge_u32_e64 v0, v12
	s_xor_b32 s2, exec_lo, s2
	s_cbranch_execz .LBB538_260
; %bb.259:
	v_lshlrev_b32_e32 v13, 2, v0
	ds_read_b32 v15, v13
	v_add_co_u32 v13, vcc_lo, v3, v0
	v_add_co_ci_u32_e64 v14, null, 0, v11, vcc_lo
	v_lshlrev_b64 v[13:14], 2, v[13:14]
	v_sub_co_u32 v13, vcc_lo, s26, v13
	v_sub_co_ci_u32_e64 v14, null, s27, v14, vcc_lo
	s_waitcnt lgkmcnt(0)
	global_store_dword v[13:14], v15, off offset:-4
.LBB538_260:
	s_andn2_saveexec_b32 s2, s2
	s_cbranch_execz .LBB538_262
; %bb.261:
	v_lshlrev_b32_e32 v13, 2, v0
	v_readfirstlane_b32 s4, v7
	v_readfirstlane_b32 s5, v8
	ds_read_b32 v14, v13
	s_waitcnt lgkmcnt(0)
	global_store_dword v13, v14, s[4:5]
.LBB538_262:
	s_or_b32 exec_lo, exec_lo, s2
.LBB538_263:
	s_andn2_saveexec_b32 s1, s1
	s_cbranch_execz .LBB538_265
; %bb.264:
	v_lshlrev_b32_e32 v13, 2, v0
	v_readfirstlane_b32 s2, v9
	v_readfirstlane_b32 s3, v10
	ds_read_b32 v14, v13
	s_waitcnt lgkmcnt(0)
	global_store_dword v13, v14, s[2:3]
.LBB538_265:
	s_or_b32 exec_lo, exec_lo, s0
	v_or_b32_e32 v13, 0x100, v0
	s_mov_b32 s0, exec_lo
	v_cmpx_gt_u32_e64 s7, v13
	s_cbranch_execz .LBB538_274
; %bb.266:
	s_mov_b32 s1, exec_lo
	v_cmpx_ge_u32_e64 v13, v1
	s_xor_b32 s1, exec_lo, s1
	s_cbranch_execz .LBB538_272
; %bb.267:
	s_mov_b32 s2, exec_lo
	v_cmpx_ge_u32_e64 v13, v12
	s_xor_b32 s2, exec_lo, s2
	s_cbranch_execz .LBB538_269
; %bb.268:
	v_lshlrev_b32_e32 v13, 2, v0
	ds_read_b32 v15, v13 offset:1024
	v_add_co_u32 v13, vcc_lo, v3, v0
	v_add_co_ci_u32_e64 v14, null, 0, v11, vcc_lo
	v_lshlrev_b64 v[13:14], 2, v[13:14]
	v_sub_co_u32 v13, vcc_lo, s26, v13
	v_sub_co_ci_u32_e64 v14, null, s27, v14, vcc_lo
	s_waitcnt lgkmcnt(0)
	global_store_dword v[13:14], v15, off offset:-1028
.LBB538_269:
	s_andn2_saveexec_b32 s2, s2
	s_cbranch_execz .LBB538_271
; %bb.270:
	v_lshlrev_b32_e32 v13, 2, v0
	v_readfirstlane_b32 s4, v7
	v_readfirstlane_b32 s5, v8
	ds_read_b32 v14, v13 offset:1024
	s_waitcnt lgkmcnt(0)
	global_store_dword v13, v14, s[4:5] offset:1024
.LBB538_271:
	s_or_b32 exec_lo, exec_lo, s2
.LBB538_272:
	s_andn2_saveexec_b32 s1, s1
	s_cbranch_execz .LBB538_274
; %bb.273:
	v_lshlrev_b32_e32 v13, 2, v0
	v_readfirstlane_b32 s2, v9
	v_readfirstlane_b32 s3, v10
	ds_read_b32 v14, v13 offset:1024
	s_waitcnt lgkmcnt(0)
	global_store_dword v13, v14, s[2:3] offset:1024
.LBB538_274:
	s_or_b32 exec_lo, exec_lo, s0
	v_or_b32_e32 v13, 0x200, v0
	s_mov_b32 s0, exec_lo
	v_cmpx_gt_u32_e64 s7, v13
	s_cbranch_execz .LBB538_283
; %bb.275:
	s_mov_b32 s1, exec_lo
	v_cmpx_ge_u32_e64 v13, v1
	s_xor_b32 s1, exec_lo, s1
	s_cbranch_execz .LBB538_281
; %bb.276:
	s_mov_b32 s2, exec_lo
	v_cmpx_ge_u32_e64 v13, v12
	s_xor_b32 s2, exec_lo, s2
	s_cbranch_execz .LBB538_278
; %bb.277:
	v_lshlrev_b32_e32 v15, 2, v0
	v_add_co_u32 v13, vcc_lo, v3, v0
	v_add_co_ci_u32_e64 v14, null, 0, v11, vcc_lo
	ds_read_b32 v15, v15 offset:2048
	v_lshlrev_b64 v[13:14], 2, v[13:14]
	v_sub_co_u32 v13, vcc_lo, s26, v13
	v_sub_co_ci_u32_e64 v14, null, s27, v14, vcc_lo
	v_add_co_u32 v13, vcc_lo, 0xfffff800, v13
	v_add_co_ci_u32_e64 v14, null, -1, v14, vcc_lo
	s_waitcnt lgkmcnt(0)
	global_store_dword v[13:14], v15, off offset:-4
                                        ; implicit-def: $vgpr13
.LBB538_278:
	s_andn2_saveexec_b32 s2, s2
	s_cbranch_execz .LBB538_280
; %bb.279:
	v_lshlrev_b32_e32 v14, 2, v0
	v_lshlrev_b32_e32 v13, 2, v13
	v_readfirstlane_b32 s4, v7
	v_readfirstlane_b32 s5, v8
	ds_read_b32 v14, v14 offset:2048
	s_waitcnt lgkmcnt(0)
	global_store_dword v13, v14, s[4:5]
.LBB538_280:
	s_or_b32 exec_lo, exec_lo, s2
                                        ; implicit-def: $vgpr13
.LBB538_281:
	s_andn2_saveexec_b32 s1, s1
	s_cbranch_execz .LBB538_283
; %bb.282:
	v_lshlrev_b32_e32 v14, 2, v0
	v_lshlrev_b32_e32 v13, 2, v13
	v_readfirstlane_b32 s2, v9
	v_readfirstlane_b32 s3, v10
	ds_read_b32 v14, v14 offset:2048
	s_waitcnt lgkmcnt(0)
	global_store_dword v13, v14, s[2:3]
.LBB538_283:
	s_or_b32 exec_lo, exec_lo, s0
	v_or_b32_e32 v13, 0x300, v0
	s_mov_b32 s0, exec_lo
	v_cmpx_gt_u32_e64 s7, v13
	s_cbranch_execz .LBB538_292
; %bb.284:
	s_mov_b32 s1, exec_lo
	v_cmpx_ge_u32_e64 v13, v1
	s_xor_b32 s1, exec_lo, s1
	s_cbranch_execz .LBB538_290
; %bb.285:
	s_mov_b32 s2, exec_lo
	v_cmpx_ge_u32_e64 v13, v12
	s_xor_b32 s2, exec_lo, s2
	s_cbranch_execz .LBB538_287
; %bb.286:
	v_lshlrev_b32_e32 v14, 2, v0
	v_add_co_u32 v13, vcc_lo, v3, v13
	ds_read_b32 v15, v14 offset:3072
	v_add_co_ci_u32_e64 v14, null, 0, v11, vcc_lo
	v_lshlrev_b64 v[13:14], 2, v[13:14]
	v_sub_co_u32 v13, vcc_lo, s26, v13
	v_sub_co_ci_u32_e64 v14, null, s27, v14, vcc_lo
	s_waitcnt lgkmcnt(0)
	global_store_dword v[13:14], v15, off offset:-4
                                        ; implicit-def: $vgpr13
.LBB538_287:
	s_andn2_saveexec_b32 s2, s2
	s_cbranch_execz .LBB538_289
; %bb.288:
	v_lshlrev_b32_e32 v14, 2, v0
	v_lshlrev_b32_e32 v13, 2, v13
	v_readfirstlane_b32 s4, v7
	v_readfirstlane_b32 s5, v8
	ds_read_b32 v14, v14 offset:3072
	s_waitcnt lgkmcnt(0)
	global_store_dword v13, v14, s[4:5]
.LBB538_289:
	s_or_b32 exec_lo, exec_lo, s2
                                        ; implicit-def: $vgpr13
.LBB538_290:
	s_andn2_saveexec_b32 s1, s1
	s_cbranch_execz .LBB538_292
; %bb.291:
	v_lshlrev_b32_e32 v14, 2, v0
	v_lshlrev_b32_e32 v13, 2, v13
	v_readfirstlane_b32 s2, v9
	v_readfirstlane_b32 s3, v10
	ds_read_b32 v14, v14 offset:3072
	s_waitcnt lgkmcnt(0)
	global_store_dword v13, v14, s[2:3]
.LBB538_292:
	s_or_b32 exec_lo, exec_lo, s0
	v_or_b32_e32 v13, 0x400, v0
	s_mov_b32 s0, exec_lo
	v_cmpx_gt_u32_e64 s7, v13
	s_cbranch_execz .LBB538_301
; %bb.293:
	s_mov_b32 s1, exec_lo
	v_cmpx_ge_u32_e64 v13, v1
	s_xor_b32 s1, exec_lo, s1
	s_cbranch_execz .LBB538_299
; %bb.294:
	s_mov_b32 s2, exec_lo
	v_cmpx_ge_u32_e64 v13, v12
	s_xor_b32 s2, exec_lo, s2
	s_cbranch_execz .LBB538_296
; %bb.295:
	v_lshlrev_b32_e32 v14, 2, v0
	v_add_co_u32 v13, vcc_lo, v3, v13
	ds_read_b32 v15, v14 offset:4096
	v_add_co_ci_u32_e64 v14, null, 0, v11, vcc_lo
	v_lshlrev_b64 v[13:14], 2, v[13:14]
	v_sub_co_u32 v13, vcc_lo, s26, v13
	v_sub_co_ci_u32_e64 v14, null, s27, v14, vcc_lo
	s_waitcnt lgkmcnt(0)
	global_store_dword v[13:14], v15, off offset:-4
                                        ; implicit-def: $vgpr13
.LBB538_296:
	s_andn2_saveexec_b32 s2, s2
	s_cbranch_execz .LBB538_298
; %bb.297:
	v_lshlrev_b32_e32 v14, 2, v0
	v_lshlrev_b32_e32 v13, 2, v13
	v_readfirstlane_b32 s4, v7
	v_readfirstlane_b32 s5, v8
	ds_read_b32 v14, v14 offset:4096
	s_waitcnt lgkmcnt(0)
	global_store_dword v13, v14, s[4:5]
.LBB538_298:
	s_or_b32 exec_lo, exec_lo, s2
                                        ; implicit-def: $vgpr13
.LBB538_299:
	s_andn2_saveexec_b32 s1, s1
	s_cbranch_execz .LBB538_301
; %bb.300:
	v_lshlrev_b32_e32 v14, 2, v0
	v_lshlrev_b32_e32 v13, 2, v13
	v_readfirstlane_b32 s2, v9
	v_readfirstlane_b32 s3, v10
	ds_read_b32 v14, v14 offset:4096
	s_waitcnt lgkmcnt(0)
	global_store_dword v13, v14, s[2:3]
.LBB538_301:
	;; [unrolled: 52-line block ×9, first 2 shown]
	s_or_b32 exec_lo, exec_lo, s0
	v_or_b32_e32 v13, 0xc00, v0
	s_mov_b32 s0, exec_lo
	v_cmpx_gt_u32_e64 s7, v13
	s_cbranch_execz .LBB538_373
; %bb.365:
	s_mov_b32 s1, exec_lo
	v_cmpx_ge_u32_e64 v13, v1
	s_xor_b32 s1, exec_lo, s1
	s_cbranch_execz .LBB538_371
; %bb.366:
	s_mov_b32 s2, exec_lo
	v_cmpx_ge_u32_e64 v13, v12
	s_xor_b32 s2, exec_lo, s2
	s_cbranch_execz .LBB538_368
; %bb.367:
	v_lshlrev_b32_e32 v7, 2, v0
	ds_read_b32 v9, v7 offset:12288
	v_add_co_u32 v7, vcc_lo, v3, v13
	v_add_co_ci_u32_e64 v8, null, 0, v11, vcc_lo
                                        ; implicit-def: $vgpr13
	v_lshlrev_b64 v[7:8], 2, v[7:8]
	v_sub_co_u32 v7, vcc_lo, s26, v7
	v_sub_co_ci_u32_e64 v8, null, s27, v8, vcc_lo
	s_waitcnt lgkmcnt(0)
	global_store_dword v[7:8], v9, off offset:-4
                                        ; implicit-def: $vgpr7_vgpr8
.LBB538_368:
	s_andn2_saveexec_b32 s2, s2
	s_cbranch_execz .LBB538_370
; %bb.369:
	v_lshlrev_b32_e32 v3, 2, v0
	v_lshlrev_b32_e32 v9, 2, v13
	v_readfirstlane_b32 s4, v7
	v_readfirstlane_b32 s5, v8
	ds_read_b32 v3, v3 offset:12288
	s_waitcnt lgkmcnt(0)
	global_store_dword v9, v3, s[4:5]
.LBB538_370:
	s_or_b32 exec_lo, exec_lo, s2
                                        ; implicit-def: $vgpr13
                                        ; implicit-def: $vgpr9_vgpr10
.LBB538_371:
	s_andn2_saveexec_b32 s1, s1
	s_cbranch_execz .LBB538_373
; %bb.372:
	v_lshlrev_b32_e32 v3, 2, v0
	v_lshlrev_b32_e32 v7, 2, v13
	v_readfirstlane_b32 s2, v9
	v_readfirstlane_b32 s3, v10
	ds_read_b32 v3, v3 offset:12288
	s_waitcnt lgkmcnt(0)
	global_store_dword v7, v3, s[2:3]
.LBB538_373:
	s_or_b32 exec_lo, exec_lo, s0
	v_cmp_eq_u32_e32 vcc_lo, 0, v0
	s_and_b32 s0, vcc_lo, s33
	s_and_saveexec_b32 s1, s0
	s_cbranch_execz .LBB538_150
.LBB538_374:
	v_add_co_u32 v0, s0, s30, v2
	v_add_co_ci_u32_e64 v3, null, s31, 0, s0
	v_mov_b32_e32 v7, 0
	v_add_co_u32 v2, vcc_lo, v0, v4
	v_add_co_ci_u32_e64 v3, null, 0, v3, vcc_lo
	v_add_co_u32 v0, vcc_lo, v5, v1
	v_add_co_ci_u32_e64 v1, null, 0, v6, vcc_lo
	global_store_dwordx4 v7, v[0:3], s[24:25]
	s_endpgm
.LBB538_375:
	s_add_i32 s10, s6, 32
	s_mov_b32 s11, 0
	v_add_nc_u32_e32 v6, v4, v2
	s_lshl_b64 s[10:11], s[10:11], 4
	v_add_nc_u32_e32 v5, v3, v1
	s_add_u32 s10, s4, s10
	s_addc_u32 s11, s5, s11
	v_mov_b32_e32 v7, 2
	v_mov_b32_e32 v24, s11
	;; [unrolled: 1-line block ×4, first 2 shown]
	;;#ASMSTART
	global_store_dwordx4 v[23:24], v[5:8] off	
s_waitcnt vmcnt(0)
	;;#ASMEND
	s_or_b32 exec_lo, exec_lo, s8
	s_and_saveexec_b32 s6, s2
	s_cbranch_execz .LBB538_135
.LBB538_376:
	v_mov_b32_e32 v5, 0
	ds_write_b128 v5, v[1:4] offset:13312
	s_or_b32 exec_lo, exec_lo, s6
	v_cmp_eq_u32_e32 vcc_lo, 0, v0
	s_and_b32 exec_lo, exec_lo, vcc_lo
	s_cbranch_execnz .LBB538_136
	s_branch .LBB538_137
	.section	.rodata,"a",@progbits
	.p2align	6, 0x0
	.amdhsa_kernel _ZN7rocprim17ROCPRIM_400000_NS6detail17trampoline_kernelINS0_13select_configILj256ELj13ELNS0_17block_load_methodE3ELS4_3ELS4_3ELNS0_20block_scan_algorithmE0ELj4294967295EEENS1_25partition_config_selectorILNS1_17partition_subalgoE4EjNS0_10empty_typeEbEEZZNS1_14partition_implILS8_4ELb0ES6_15HIP_vector_typeIjLj2EENS0_17counting_iteratorIjlEEPS9_SG_NS0_5tupleIJPjSI_NS0_16reverse_iteratorISI_EEEEENSH_IJSG_SG_SG_EEES9_SI_JZNS1_25segmented_radix_sort_implINS0_14default_configELb0EPKiPiPKlPlN2at6native12_GLOBAL__N_18offset_tEEE10hipError_tPvRmT1_PNSt15iterator_traitsIS12_E10value_typeET2_T3_PNS13_IS18_E10value_typeET4_jRbjT5_S1E_jjP12ihipStream_tbEUljE_ZNSN_ISO_Lb0ESQ_SR_ST_SU_SY_EESZ_S10_S11_S12_S16_S17_S18_S1B_S1C_jS1D_jS1E_S1E_jjS1G_bEUljE0_EEESZ_S10_S11_S18_S1C_S1E_T6_T7_T9_mT8_S1G_bDpT10_ENKUlT_T0_E_clISt17integral_constantIbLb0EES1U_EEDaS1P_S1Q_EUlS1P_E_NS1_11comp_targetILNS1_3genE8ELNS1_11target_archE1030ELNS1_3gpuE2ELNS1_3repE0EEENS1_30default_config_static_selectorELNS0_4arch9wavefront6targetE0EEEvS12_
		.amdhsa_group_segment_fixed_size 13328
		.amdhsa_private_segment_fixed_size 0
		.amdhsa_kernarg_size 176
		.amdhsa_user_sgpr_count 6
		.amdhsa_user_sgpr_private_segment_buffer 1
		.amdhsa_user_sgpr_dispatch_ptr 0
		.amdhsa_user_sgpr_queue_ptr 0
		.amdhsa_user_sgpr_kernarg_segment_ptr 1
		.amdhsa_user_sgpr_dispatch_id 0
		.amdhsa_user_sgpr_flat_scratch_init 0
		.amdhsa_user_sgpr_private_segment_size 0
		.amdhsa_wavefront_size32 1
		.amdhsa_uses_dynamic_stack 0
		.amdhsa_system_sgpr_private_segment_wavefront_offset 0
		.amdhsa_system_sgpr_workgroup_id_x 1
		.amdhsa_system_sgpr_workgroup_id_y 0
		.amdhsa_system_sgpr_workgroup_id_z 0
		.amdhsa_system_sgpr_workgroup_info 0
		.amdhsa_system_vgpr_workitem_id 0
		.amdhsa_next_free_vgpr 82
		.amdhsa_next_free_sgpr 59
		.amdhsa_reserve_vcc 1
		.amdhsa_reserve_flat_scratch 0
		.amdhsa_float_round_mode_32 0
		.amdhsa_float_round_mode_16_64 0
		.amdhsa_float_denorm_mode_32 3
		.amdhsa_float_denorm_mode_16_64 3
		.amdhsa_dx10_clamp 1
		.amdhsa_ieee_mode 1
		.amdhsa_fp16_overflow 0
		.amdhsa_workgroup_processor_mode 1
		.amdhsa_memory_ordered 1
		.amdhsa_forward_progress 1
		.amdhsa_shared_vgpr_count 0
		.amdhsa_exception_fp_ieee_invalid_op 0
		.amdhsa_exception_fp_denorm_src 0
		.amdhsa_exception_fp_ieee_div_zero 0
		.amdhsa_exception_fp_ieee_overflow 0
		.amdhsa_exception_fp_ieee_underflow 0
		.amdhsa_exception_fp_ieee_inexact 0
		.amdhsa_exception_int_div_zero 0
	.end_amdhsa_kernel
	.section	.text._ZN7rocprim17ROCPRIM_400000_NS6detail17trampoline_kernelINS0_13select_configILj256ELj13ELNS0_17block_load_methodE3ELS4_3ELS4_3ELNS0_20block_scan_algorithmE0ELj4294967295EEENS1_25partition_config_selectorILNS1_17partition_subalgoE4EjNS0_10empty_typeEbEEZZNS1_14partition_implILS8_4ELb0ES6_15HIP_vector_typeIjLj2EENS0_17counting_iteratorIjlEEPS9_SG_NS0_5tupleIJPjSI_NS0_16reverse_iteratorISI_EEEEENSH_IJSG_SG_SG_EEES9_SI_JZNS1_25segmented_radix_sort_implINS0_14default_configELb0EPKiPiPKlPlN2at6native12_GLOBAL__N_18offset_tEEE10hipError_tPvRmT1_PNSt15iterator_traitsIS12_E10value_typeET2_T3_PNS13_IS18_E10value_typeET4_jRbjT5_S1E_jjP12ihipStream_tbEUljE_ZNSN_ISO_Lb0ESQ_SR_ST_SU_SY_EESZ_S10_S11_S12_S16_S17_S18_S1B_S1C_jS1D_jS1E_S1E_jjS1G_bEUljE0_EEESZ_S10_S11_S18_S1C_S1E_T6_T7_T9_mT8_S1G_bDpT10_ENKUlT_T0_E_clISt17integral_constantIbLb0EES1U_EEDaS1P_S1Q_EUlS1P_E_NS1_11comp_targetILNS1_3genE8ELNS1_11target_archE1030ELNS1_3gpuE2ELNS1_3repE0EEENS1_30default_config_static_selectorELNS0_4arch9wavefront6targetE0EEEvS12_,"axG",@progbits,_ZN7rocprim17ROCPRIM_400000_NS6detail17trampoline_kernelINS0_13select_configILj256ELj13ELNS0_17block_load_methodE3ELS4_3ELS4_3ELNS0_20block_scan_algorithmE0ELj4294967295EEENS1_25partition_config_selectorILNS1_17partition_subalgoE4EjNS0_10empty_typeEbEEZZNS1_14partition_implILS8_4ELb0ES6_15HIP_vector_typeIjLj2EENS0_17counting_iteratorIjlEEPS9_SG_NS0_5tupleIJPjSI_NS0_16reverse_iteratorISI_EEEEENSH_IJSG_SG_SG_EEES9_SI_JZNS1_25segmented_radix_sort_implINS0_14default_configELb0EPKiPiPKlPlN2at6native12_GLOBAL__N_18offset_tEEE10hipError_tPvRmT1_PNSt15iterator_traitsIS12_E10value_typeET2_T3_PNS13_IS18_E10value_typeET4_jRbjT5_S1E_jjP12ihipStream_tbEUljE_ZNSN_ISO_Lb0ESQ_SR_ST_SU_SY_EESZ_S10_S11_S12_S16_S17_S18_S1B_S1C_jS1D_jS1E_S1E_jjS1G_bEUljE0_EEESZ_S10_S11_S18_S1C_S1E_T6_T7_T9_mT8_S1G_bDpT10_ENKUlT_T0_E_clISt17integral_constantIbLb0EES1U_EEDaS1P_S1Q_EUlS1P_E_NS1_11comp_targetILNS1_3genE8ELNS1_11target_archE1030ELNS1_3gpuE2ELNS1_3repE0EEENS1_30default_config_static_selectorELNS0_4arch9wavefront6targetE0EEEvS12_,comdat
.Lfunc_end538:
	.size	_ZN7rocprim17ROCPRIM_400000_NS6detail17trampoline_kernelINS0_13select_configILj256ELj13ELNS0_17block_load_methodE3ELS4_3ELS4_3ELNS0_20block_scan_algorithmE0ELj4294967295EEENS1_25partition_config_selectorILNS1_17partition_subalgoE4EjNS0_10empty_typeEbEEZZNS1_14partition_implILS8_4ELb0ES6_15HIP_vector_typeIjLj2EENS0_17counting_iteratorIjlEEPS9_SG_NS0_5tupleIJPjSI_NS0_16reverse_iteratorISI_EEEEENSH_IJSG_SG_SG_EEES9_SI_JZNS1_25segmented_radix_sort_implINS0_14default_configELb0EPKiPiPKlPlN2at6native12_GLOBAL__N_18offset_tEEE10hipError_tPvRmT1_PNSt15iterator_traitsIS12_E10value_typeET2_T3_PNS13_IS18_E10value_typeET4_jRbjT5_S1E_jjP12ihipStream_tbEUljE_ZNSN_ISO_Lb0ESQ_SR_ST_SU_SY_EESZ_S10_S11_S12_S16_S17_S18_S1B_S1C_jS1D_jS1E_S1E_jjS1G_bEUljE0_EEESZ_S10_S11_S18_S1C_S1E_T6_T7_T9_mT8_S1G_bDpT10_ENKUlT_T0_E_clISt17integral_constantIbLb0EES1U_EEDaS1P_S1Q_EUlS1P_E_NS1_11comp_targetILNS1_3genE8ELNS1_11target_archE1030ELNS1_3gpuE2ELNS1_3repE0EEENS1_30default_config_static_selectorELNS0_4arch9wavefront6targetE0EEEvS12_, .Lfunc_end538-_ZN7rocprim17ROCPRIM_400000_NS6detail17trampoline_kernelINS0_13select_configILj256ELj13ELNS0_17block_load_methodE3ELS4_3ELS4_3ELNS0_20block_scan_algorithmE0ELj4294967295EEENS1_25partition_config_selectorILNS1_17partition_subalgoE4EjNS0_10empty_typeEbEEZZNS1_14partition_implILS8_4ELb0ES6_15HIP_vector_typeIjLj2EENS0_17counting_iteratorIjlEEPS9_SG_NS0_5tupleIJPjSI_NS0_16reverse_iteratorISI_EEEEENSH_IJSG_SG_SG_EEES9_SI_JZNS1_25segmented_radix_sort_implINS0_14default_configELb0EPKiPiPKlPlN2at6native12_GLOBAL__N_18offset_tEEE10hipError_tPvRmT1_PNSt15iterator_traitsIS12_E10value_typeET2_T3_PNS13_IS18_E10value_typeET4_jRbjT5_S1E_jjP12ihipStream_tbEUljE_ZNSN_ISO_Lb0ESQ_SR_ST_SU_SY_EESZ_S10_S11_S12_S16_S17_S18_S1B_S1C_jS1D_jS1E_S1E_jjS1G_bEUljE0_EEESZ_S10_S11_S18_S1C_S1E_T6_T7_T9_mT8_S1G_bDpT10_ENKUlT_T0_E_clISt17integral_constantIbLb0EES1U_EEDaS1P_S1Q_EUlS1P_E_NS1_11comp_targetILNS1_3genE8ELNS1_11target_archE1030ELNS1_3gpuE2ELNS1_3repE0EEENS1_30default_config_static_selectorELNS0_4arch9wavefront6targetE0EEEvS12_
                                        ; -- End function
	.set _ZN7rocprim17ROCPRIM_400000_NS6detail17trampoline_kernelINS0_13select_configILj256ELj13ELNS0_17block_load_methodE3ELS4_3ELS4_3ELNS0_20block_scan_algorithmE0ELj4294967295EEENS1_25partition_config_selectorILNS1_17partition_subalgoE4EjNS0_10empty_typeEbEEZZNS1_14partition_implILS8_4ELb0ES6_15HIP_vector_typeIjLj2EENS0_17counting_iteratorIjlEEPS9_SG_NS0_5tupleIJPjSI_NS0_16reverse_iteratorISI_EEEEENSH_IJSG_SG_SG_EEES9_SI_JZNS1_25segmented_radix_sort_implINS0_14default_configELb0EPKiPiPKlPlN2at6native12_GLOBAL__N_18offset_tEEE10hipError_tPvRmT1_PNSt15iterator_traitsIS12_E10value_typeET2_T3_PNS13_IS18_E10value_typeET4_jRbjT5_S1E_jjP12ihipStream_tbEUljE_ZNSN_ISO_Lb0ESQ_SR_ST_SU_SY_EESZ_S10_S11_S12_S16_S17_S18_S1B_S1C_jS1D_jS1E_S1E_jjS1G_bEUljE0_EEESZ_S10_S11_S18_S1C_S1E_T6_T7_T9_mT8_S1G_bDpT10_ENKUlT_T0_E_clISt17integral_constantIbLb0EES1U_EEDaS1P_S1Q_EUlS1P_E_NS1_11comp_targetILNS1_3genE8ELNS1_11target_archE1030ELNS1_3gpuE2ELNS1_3repE0EEENS1_30default_config_static_selectorELNS0_4arch9wavefront6targetE0EEEvS12_.num_vgpr, 82
	.set _ZN7rocprim17ROCPRIM_400000_NS6detail17trampoline_kernelINS0_13select_configILj256ELj13ELNS0_17block_load_methodE3ELS4_3ELS4_3ELNS0_20block_scan_algorithmE0ELj4294967295EEENS1_25partition_config_selectorILNS1_17partition_subalgoE4EjNS0_10empty_typeEbEEZZNS1_14partition_implILS8_4ELb0ES6_15HIP_vector_typeIjLj2EENS0_17counting_iteratorIjlEEPS9_SG_NS0_5tupleIJPjSI_NS0_16reverse_iteratorISI_EEEEENSH_IJSG_SG_SG_EEES9_SI_JZNS1_25segmented_radix_sort_implINS0_14default_configELb0EPKiPiPKlPlN2at6native12_GLOBAL__N_18offset_tEEE10hipError_tPvRmT1_PNSt15iterator_traitsIS12_E10value_typeET2_T3_PNS13_IS18_E10value_typeET4_jRbjT5_S1E_jjP12ihipStream_tbEUljE_ZNSN_ISO_Lb0ESQ_SR_ST_SU_SY_EESZ_S10_S11_S12_S16_S17_S18_S1B_S1C_jS1D_jS1E_S1E_jjS1G_bEUljE0_EEESZ_S10_S11_S18_S1C_S1E_T6_T7_T9_mT8_S1G_bDpT10_ENKUlT_T0_E_clISt17integral_constantIbLb0EES1U_EEDaS1P_S1Q_EUlS1P_E_NS1_11comp_targetILNS1_3genE8ELNS1_11target_archE1030ELNS1_3gpuE2ELNS1_3repE0EEENS1_30default_config_static_selectorELNS0_4arch9wavefront6targetE0EEEvS12_.num_agpr, 0
	.set _ZN7rocprim17ROCPRIM_400000_NS6detail17trampoline_kernelINS0_13select_configILj256ELj13ELNS0_17block_load_methodE3ELS4_3ELS4_3ELNS0_20block_scan_algorithmE0ELj4294967295EEENS1_25partition_config_selectorILNS1_17partition_subalgoE4EjNS0_10empty_typeEbEEZZNS1_14partition_implILS8_4ELb0ES6_15HIP_vector_typeIjLj2EENS0_17counting_iteratorIjlEEPS9_SG_NS0_5tupleIJPjSI_NS0_16reverse_iteratorISI_EEEEENSH_IJSG_SG_SG_EEES9_SI_JZNS1_25segmented_radix_sort_implINS0_14default_configELb0EPKiPiPKlPlN2at6native12_GLOBAL__N_18offset_tEEE10hipError_tPvRmT1_PNSt15iterator_traitsIS12_E10value_typeET2_T3_PNS13_IS18_E10value_typeET4_jRbjT5_S1E_jjP12ihipStream_tbEUljE_ZNSN_ISO_Lb0ESQ_SR_ST_SU_SY_EESZ_S10_S11_S12_S16_S17_S18_S1B_S1C_jS1D_jS1E_S1E_jjS1G_bEUljE0_EEESZ_S10_S11_S18_S1C_S1E_T6_T7_T9_mT8_S1G_bDpT10_ENKUlT_T0_E_clISt17integral_constantIbLb0EES1U_EEDaS1P_S1Q_EUlS1P_E_NS1_11comp_targetILNS1_3genE8ELNS1_11target_archE1030ELNS1_3gpuE2ELNS1_3repE0EEENS1_30default_config_static_selectorELNS0_4arch9wavefront6targetE0EEEvS12_.numbered_sgpr, 59
	.set _ZN7rocprim17ROCPRIM_400000_NS6detail17trampoline_kernelINS0_13select_configILj256ELj13ELNS0_17block_load_methodE3ELS4_3ELS4_3ELNS0_20block_scan_algorithmE0ELj4294967295EEENS1_25partition_config_selectorILNS1_17partition_subalgoE4EjNS0_10empty_typeEbEEZZNS1_14partition_implILS8_4ELb0ES6_15HIP_vector_typeIjLj2EENS0_17counting_iteratorIjlEEPS9_SG_NS0_5tupleIJPjSI_NS0_16reverse_iteratorISI_EEEEENSH_IJSG_SG_SG_EEES9_SI_JZNS1_25segmented_radix_sort_implINS0_14default_configELb0EPKiPiPKlPlN2at6native12_GLOBAL__N_18offset_tEEE10hipError_tPvRmT1_PNSt15iterator_traitsIS12_E10value_typeET2_T3_PNS13_IS18_E10value_typeET4_jRbjT5_S1E_jjP12ihipStream_tbEUljE_ZNSN_ISO_Lb0ESQ_SR_ST_SU_SY_EESZ_S10_S11_S12_S16_S17_S18_S1B_S1C_jS1D_jS1E_S1E_jjS1G_bEUljE0_EEESZ_S10_S11_S18_S1C_S1E_T6_T7_T9_mT8_S1G_bDpT10_ENKUlT_T0_E_clISt17integral_constantIbLb0EES1U_EEDaS1P_S1Q_EUlS1P_E_NS1_11comp_targetILNS1_3genE8ELNS1_11target_archE1030ELNS1_3gpuE2ELNS1_3repE0EEENS1_30default_config_static_selectorELNS0_4arch9wavefront6targetE0EEEvS12_.num_named_barrier, 0
	.set _ZN7rocprim17ROCPRIM_400000_NS6detail17trampoline_kernelINS0_13select_configILj256ELj13ELNS0_17block_load_methodE3ELS4_3ELS4_3ELNS0_20block_scan_algorithmE0ELj4294967295EEENS1_25partition_config_selectorILNS1_17partition_subalgoE4EjNS0_10empty_typeEbEEZZNS1_14partition_implILS8_4ELb0ES6_15HIP_vector_typeIjLj2EENS0_17counting_iteratorIjlEEPS9_SG_NS0_5tupleIJPjSI_NS0_16reverse_iteratorISI_EEEEENSH_IJSG_SG_SG_EEES9_SI_JZNS1_25segmented_radix_sort_implINS0_14default_configELb0EPKiPiPKlPlN2at6native12_GLOBAL__N_18offset_tEEE10hipError_tPvRmT1_PNSt15iterator_traitsIS12_E10value_typeET2_T3_PNS13_IS18_E10value_typeET4_jRbjT5_S1E_jjP12ihipStream_tbEUljE_ZNSN_ISO_Lb0ESQ_SR_ST_SU_SY_EESZ_S10_S11_S12_S16_S17_S18_S1B_S1C_jS1D_jS1E_S1E_jjS1G_bEUljE0_EEESZ_S10_S11_S18_S1C_S1E_T6_T7_T9_mT8_S1G_bDpT10_ENKUlT_T0_E_clISt17integral_constantIbLb0EES1U_EEDaS1P_S1Q_EUlS1P_E_NS1_11comp_targetILNS1_3genE8ELNS1_11target_archE1030ELNS1_3gpuE2ELNS1_3repE0EEENS1_30default_config_static_selectorELNS0_4arch9wavefront6targetE0EEEvS12_.private_seg_size, 0
	.set _ZN7rocprim17ROCPRIM_400000_NS6detail17trampoline_kernelINS0_13select_configILj256ELj13ELNS0_17block_load_methodE3ELS4_3ELS4_3ELNS0_20block_scan_algorithmE0ELj4294967295EEENS1_25partition_config_selectorILNS1_17partition_subalgoE4EjNS0_10empty_typeEbEEZZNS1_14partition_implILS8_4ELb0ES6_15HIP_vector_typeIjLj2EENS0_17counting_iteratorIjlEEPS9_SG_NS0_5tupleIJPjSI_NS0_16reverse_iteratorISI_EEEEENSH_IJSG_SG_SG_EEES9_SI_JZNS1_25segmented_radix_sort_implINS0_14default_configELb0EPKiPiPKlPlN2at6native12_GLOBAL__N_18offset_tEEE10hipError_tPvRmT1_PNSt15iterator_traitsIS12_E10value_typeET2_T3_PNS13_IS18_E10value_typeET4_jRbjT5_S1E_jjP12ihipStream_tbEUljE_ZNSN_ISO_Lb0ESQ_SR_ST_SU_SY_EESZ_S10_S11_S12_S16_S17_S18_S1B_S1C_jS1D_jS1E_S1E_jjS1G_bEUljE0_EEESZ_S10_S11_S18_S1C_S1E_T6_T7_T9_mT8_S1G_bDpT10_ENKUlT_T0_E_clISt17integral_constantIbLb0EES1U_EEDaS1P_S1Q_EUlS1P_E_NS1_11comp_targetILNS1_3genE8ELNS1_11target_archE1030ELNS1_3gpuE2ELNS1_3repE0EEENS1_30default_config_static_selectorELNS0_4arch9wavefront6targetE0EEEvS12_.uses_vcc, 1
	.set _ZN7rocprim17ROCPRIM_400000_NS6detail17trampoline_kernelINS0_13select_configILj256ELj13ELNS0_17block_load_methodE3ELS4_3ELS4_3ELNS0_20block_scan_algorithmE0ELj4294967295EEENS1_25partition_config_selectorILNS1_17partition_subalgoE4EjNS0_10empty_typeEbEEZZNS1_14partition_implILS8_4ELb0ES6_15HIP_vector_typeIjLj2EENS0_17counting_iteratorIjlEEPS9_SG_NS0_5tupleIJPjSI_NS0_16reverse_iteratorISI_EEEEENSH_IJSG_SG_SG_EEES9_SI_JZNS1_25segmented_radix_sort_implINS0_14default_configELb0EPKiPiPKlPlN2at6native12_GLOBAL__N_18offset_tEEE10hipError_tPvRmT1_PNSt15iterator_traitsIS12_E10value_typeET2_T3_PNS13_IS18_E10value_typeET4_jRbjT5_S1E_jjP12ihipStream_tbEUljE_ZNSN_ISO_Lb0ESQ_SR_ST_SU_SY_EESZ_S10_S11_S12_S16_S17_S18_S1B_S1C_jS1D_jS1E_S1E_jjS1G_bEUljE0_EEESZ_S10_S11_S18_S1C_S1E_T6_T7_T9_mT8_S1G_bDpT10_ENKUlT_T0_E_clISt17integral_constantIbLb0EES1U_EEDaS1P_S1Q_EUlS1P_E_NS1_11comp_targetILNS1_3genE8ELNS1_11target_archE1030ELNS1_3gpuE2ELNS1_3repE0EEENS1_30default_config_static_selectorELNS0_4arch9wavefront6targetE0EEEvS12_.uses_flat_scratch, 0
	.set _ZN7rocprim17ROCPRIM_400000_NS6detail17trampoline_kernelINS0_13select_configILj256ELj13ELNS0_17block_load_methodE3ELS4_3ELS4_3ELNS0_20block_scan_algorithmE0ELj4294967295EEENS1_25partition_config_selectorILNS1_17partition_subalgoE4EjNS0_10empty_typeEbEEZZNS1_14partition_implILS8_4ELb0ES6_15HIP_vector_typeIjLj2EENS0_17counting_iteratorIjlEEPS9_SG_NS0_5tupleIJPjSI_NS0_16reverse_iteratorISI_EEEEENSH_IJSG_SG_SG_EEES9_SI_JZNS1_25segmented_radix_sort_implINS0_14default_configELb0EPKiPiPKlPlN2at6native12_GLOBAL__N_18offset_tEEE10hipError_tPvRmT1_PNSt15iterator_traitsIS12_E10value_typeET2_T3_PNS13_IS18_E10value_typeET4_jRbjT5_S1E_jjP12ihipStream_tbEUljE_ZNSN_ISO_Lb0ESQ_SR_ST_SU_SY_EESZ_S10_S11_S12_S16_S17_S18_S1B_S1C_jS1D_jS1E_S1E_jjS1G_bEUljE0_EEESZ_S10_S11_S18_S1C_S1E_T6_T7_T9_mT8_S1G_bDpT10_ENKUlT_T0_E_clISt17integral_constantIbLb0EES1U_EEDaS1P_S1Q_EUlS1P_E_NS1_11comp_targetILNS1_3genE8ELNS1_11target_archE1030ELNS1_3gpuE2ELNS1_3repE0EEENS1_30default_config_static_selectorELNS0_4arch9wavefront6targetE0EEEvS12_.has_dyn_sized_stack, 0
	.set _ZN7rocprim17ROCPRIM_400000_NS6detail17trampoline_kernelINS0_13select_configILj256ELj13ELNS0_17block_load_methodE3ELS4_3ELS4_3ELNS0_20block_scan_algorithmE0ELj4294967295EEENS1_25partition_config_selectorILNS1_17partition_subalgoE4EjNS0_10empty_typeEbEEZZNS1_14partition_implILS8_4ELb0ES6_15HIP_vector_typeIjLj2EENS0_17counting_iteratorIjlEEPS9_SG_NS0_5tupleIJPjSI_NS0_16reverse_iteratorISI_EEEEENSH_IJSG_SG_SG_EEES9_SI_JZNS1_25segmented_radix_sort_implINS0_14default_configELb0EPKiPiPKlPlN2at6native12_GLOBAL__N_18offset_tEEE10hipError_tPvRmT1_PNSt15iterator_traitsIS12_E10value_typeET2_T3_PNS13_IS18_E10value_typeET4_jRbjT5_S1E_jjP12ihipStream_tbEUljE_ZNSN_ISO_Lb0ESQ_SR_ST_SU_SY_EESZ_S10_S11_S12_S16_S17_S18_S1B_S1C_jS1D_jS1E_S1E_jjS1G_bEUljE0_EEESZ_S10_S11_S18_S1C_S1E_T6_T7_T9_mT8_S1G_bDpT10_ENKUlT_T0_E_clISt17integral_constantIbLb0EES1U_EEDaS1P_S1Q_EUlS1P_E_NS1_11comp_targetILNS1_3genE8ELNS1_11target_archE1030ELNS1_3gpuE2ELNS1_3repE0EEENS1_30default_config_static_selectorELNS0_4arch9wavefront6targetE0EEEvS12_.has_recursion, 0
	.set _ZN7rocprim17ROCPRIM_400000_NS6detail17trampoline_kernelINS0_13select_configILj256ELj13ELNS0_17block_load_methodE3ELS4_3ELS4_3ELNS0_20block_scan_algorithmE0ELj4294967295EEENS1_25partition_config_selectorILNS1_17partition_subalgoE4EjNS0_10empty_typeEbEEZZNS1_14partition_implILS8_4ELb0ES6_15HIP_vector_typeIjLj2EENS0_17counting_iteratorIjlEEPS9_SG_NS0_5tupleIJPjSI_NS0_16reverse_iteratorISI_EEEEENSH_IJSG_SG_SG_EEES9_SI_JZNS1_25segmented_radix_sort_implINS0_14default_configELb0EPKiPiPKlPlN2at6native12_GLOBAL__N_18offset_tEEE10hipError_tPvRmT1_PNSt15iterator_traitsIS12_E10value_typeET2_T3_PNS13_IS18_E10value_typeET4_jRbjT5_S1E_jjP12ihipStream_tbEUljE_ZNSN_ISO_Lb0ESQ_SR_ST_SU_SY_EESZ_S10_S11_S12_S16_S17_S18_S1B_S1C_jS1D_jS1E_S1E_jjS1G_bEUljE0_EEESZ_S10_S11_S18_S1C_S1E_T6_T7_T9_mT8_S1G_bDpT10_ENKUlT_T0_E_clISt17integral_constantIbLb0EES1U_EEDaS1P_S1Q_EUlS1P_E_NS1_11comp_targetILNS1_3genE8ELNS1_11target_archE1030ELNS1_3gpuE2ELNS1_3repE0EEENS1_30default_config_static_selectorELNS0_4arch9wavefront6targetE0EEEvS12_.has_indirect_call, 0
	.section	.AMDGPU.csdata,"",@progbits
; Kernel info:
; codeLenInByte = 16236
; TotalNumSgprs: 61
; NumVgprs: 82
; ScratchSize: 0
; MemoryBound: 0
; FloatMode: 240
; IeeeMode: 1
; LDSByteSize: 13328 bytes/workgroup (compile time only)
; SGPRBlocks: 0
; VGPRBlocks: 10
; NumSGPRsForWavesPerEU: 61
; NumVGPRsForWavesPerEU: 82
; Occupancy: 10
; WaveLimiterHint : 1
; COMPUTE_PGM_RSRC2:SCRATCH_EN: 0
; COMPUTE_PGM_RSRC2:USER_SGPR: 6
; COMPUTE_PGM_RSRC2:TRAP_HANDLER: 0
; COMPUTE_PGM_RSRC2:TGID_X_EN: 1
; COMPUTE_PGM_RSRC2:TGID_Y_EN: 0
; COMPUTE_PGM_RSRC2:TGID_Z_EN: 0
; COMPUTE_PGM_RSRC2:TIDIG_COMP_CNT: 0
	.section	.text._ZN7rocprim17ROCPRIM_400000_NS6detail17trampoline_kernelINS0_13select_configILj256ELj13ELNS0_17block_load_methodE3ELS4_3ELS4_3ELNS0_20block_scan_algorithmE0ELj4294967295EEENS1_25partition_config_selectorILNS1_17partition_subalgoE4EjNS0_10empty_typeEbEEZZNS1_14partition_implILS8_4ELb0ES6_15HIP_vector_typeIjLj2EENS0_17counting_iteratorIjlEEPS9_SG_NS0_5tupleIJPjSI_NS0_16reverse_iteratorISI_EEEEENSH_IJSG_SG_SG_EEES9_SI_JZNS1_25segmented_radix_sort_implINS0_14default_configELb0EPKiPiPKlPlN2at6native12_GLOBAL__N_18offset_tEEE10hipError_tPvRmT1_PNSt15iterator_traitsIS12_E10value_typeET2_T3_PNS13_IS18_E10value_typeET4_jRbjT5_S1E_jjP12ihipStream_tbEUljE_ZNSN_ISO_Lb0ESQ_SR_ST_SU_SY_EESZ_S10_S11_S12_S16_S17_S18_S1B_S1C_jS1D_jS1E_S1E_jjS1G_bEUljE0_EEESZ_S10_S11_S18_S1C_S1E_T6_T7_T9_mT8_S1G_bDpT10_ENKUlT_T0_E_clISt17integral_constantIbLb1EES1U_EEDaS1P_S1Q_EUlS1P_E_NS1_11comp_targetILNS1_3genE0ELNS1_11target_archE4294967295ELNS1_3gpuE0ELNS1_3repE0EEENS1_30default_config_static_selectorELNS0_4arch9wavefront6targetE0EEEvS12_,"axG",@progbits,_ZN7rocprim17ROCPRIM_400000_NS6detail17trampoline_kernelINS0_13select_configILj256ELj13ELNS0_17block_load_methodE3ELS4_3ELS4_3ELNS0_20block_scan_algorithmE0ELj4294967295EEENS1_25partition_config_selectorILNS1_17partition_subalgoE4EjNS0_10empty_typeEbEEZZNS1_14partition_implILS8_4ELb0ES6_15HIP_vector_typeIjLj2EENS0_17counting_iteratorIjlEEPS9_SG_NS0_5tupleIJPjSI_NS0_16reverse_iteratorISI_EEEEENSH_IJSG_SG_SG_EEES9_SI_JZNS1_25segmented_radix_sort_implINS0_14default_configELb0EPKiPiPKlPlN2at6native12_GLOBAL__N_18offset_tEEE10hipError_tPvRmT1_PNSt15iterator_traitsIS12_E10value_typeET2_T3_PNS13_IS18_E10value_typeET4_jRbjT5_S1E_jjP12ihipStream_tbEUljE_ZNSN_ISO_Lb0ESQ_SR_ST_SU_SY_EESZ_S10_S11_S12_S16_S17_S18_S1B_S1C_jS1D_jS1E_S1E_jjS1G_bEUljE0_EEESZ_S10_S11_S18_S1C_S1E_T6_T7_T9_mT8_S1G_bDpT10_ENKUlT_T0_E_clISt17integral_constantIbLb1EES1U_EEDaS1P_S1Q_EUlS1P_E_NS1_11comp_targetILNS1_3genE0ELNS1_11target_archE4294967295ELNS1_3gpuE0ELNS1_3repE0EEENS1_30default_config_static_selectorELNS0_4arch9wavefront6targetE0EEEvS12_,comdat
	.globl	_ZN7rocprim17ROCPRIM_400000_NS6detail17trampoline_kernelINS0_13select_configILj256ELj13ELNS0_17block_load_methodE3ELS4_3ELS4_3ELNS0_20block_scan_algorithmE0ELj4294967295EEENS1_25partition_config_selectorILNS1_17partition_subalgoE4EjNS0_10empty_typeEbEEZZNS1_14partition_implILS8_4ELb0ES6_15HIP_vector_typeIjLj2EENS0_17counting_iteratorIjlEEPS9_SG_NS0_5tupleIJPjSI_NS0_16reverse_iteratorISI_EEEEENSH_IJSG_SG_SG_EEES9_SI_JZNS1_25segmented_radix_sort_implINS0_14default_configELb0EPKiPiPKlPlN2at6native12_GLOBAL__N_18offset_tEEE10hipError_tPvRmT1_PNSt15iterator_traitsIS12_E10value_typeET2_T3_PNS13_IS18_E10value_typeET4_jRbjT5_S1E_jjP12ihipStream_tbEUljE_ZNSN_ISO_Lb0ESQ_SR_ST_SU_SY_EESZ_S10_S11_S12_S16_S17_S18_S1B_S1C_jS1D_jS1E_S1E_jjS1G_bEUljE0_EEESZ_S10_S11_S18_S1C_S1E_T6_T7_T9_mT8_S1G_bDpT10_ENKUlT_T0_E_clISt17integral_constantIbLb1EES1U_EEDaS1P_S1Q_EUlS1P_E_NS1_11comp_targetILNS1_3genE0ELNS1_11target_archE4294967295ELNS1_3gpuE0ELNS1_3repE0EEENS1_30default_config_static_selectorELNS0_4arch9wavefront6targetE0EEEvS12_ ; -- Begin function _ZN7rocprim17ROCPRIM_400000_NS6detail17trampoline_kernelINS0_13select_configILj256ELj13ELNS0_17block_load_methodE3ELS4_3ELS4_3ELNS0_20block_scan_algorithmE0ELj4294967295EEENS1_25partition_config_selectorILNS1_17partition_subalgoE4EjNS0_10empty_typeEbEEZZNS1_14partition_implILS8_4ELb0ES6_15HIP_vector_typeIjLj2EENS0_17counting_iteratorIjlEEPS9_SG_NS0_5tupleIJPjSI_NS0_16reverse_iteratorISI_EEEEENSH_IJSG_SG_SG_EEES9_SI_JZNS1_25segmented_radix_sort_implINS0_14default_configELb0EPKiPiPKlPlN2at6native12_GLOBAL__N_18offset_tEEE10hipError_tPvRmT1_PNSt15iterator_traitsIS12_E10value_typeET2_T3_PNS13_IS18_E10value_typeET4_jRbjT5_S1E_jjP12ihipStream_tbEUljE_ZNSN_ISO_Lb0ESQ_SR_ST_SU_SY_EESZ_S10_S11_S12_S16_S17_S18_S1B_S1C_jS1D_jS1E_S1E_jjS1G_bEUljE0_EEESZ_S10_S11_S18_S1C_S1E_T6_T7_T9_mT8_S1G_bDpT10_ENKUlT_T0_E_clISt17integral_constantIbLb1EES1U_EEDaS1P_S1Q_EUlS1P_E_NS1_11comp_targetILNS1_3genE0ELNS1_11target_archE4294967295ELNS1_3gpuE0ELNS1_3repE0EEENS1_30default_config_static_selectorELNS0_4arch9wavefront6targetE0EEEvS12_
	.p2align	8
	.type	_ZN7rocprim17ROCPRIM_400000_NS6detail17trampoline_kernelINS0_13select_configILj256ELj13ELNS0_17block_load_methodE3ELS4_3ELS4_3ELNS0_20block_scan_algorithmE0ELj4294967295EEENS1_25partition_config_selectorILNS1_17partition_subalgoE4EjNS0_10empty_typeEbEEZZNS1_14partition_implILS8_4ELb0ES6_15HIP_vector_typeIjLj2EENS0_17counting_iteratorIjlEEPS9_SG_NS0_5tupleIJPjSI_NS0_16reverse_iteratorISI_EEEEENSH_IJSG_SG_SG_EEES9_SI_JZNS1_25segmented_radix_sort_implINS0_14default_configELb0EPKiPiPKlPlN2at6native12_GLOBAL__N_18offset_tEEE10hipError_tPvRmT1_PNSt15iterator_traitsIS12_E10value_typeET2_T3_PNS13_IS18_E10value_typeET4_jRbjT5_S1E_jjP12ihipStream_tbEUljE_ZNSN_ISO_Lb0ESQ_SR_ST_SU_SY_EESZ_S10_S11_S12_S16_S17_S18_S1B_S1C_jS1D_jS1E_S1E_jjS1G_bEUljE0_EEESZ_S10_S11_S18_S1C_S1E_T6_T7_T9_mT8_S1G_bDpT10_ENKUlT_T0_E_clISt17integral_constantIbLb1EES1U_EEDaS1P_S1Q_EUlS1P_E_NS1_11comp_targetILNS1_3genE0ELNS1_11target_archE4294967295ELNS1_3gpuE0ELNS1_3repE0EEENS1_30default_config_static_selectorELNS0_4arch9wavefront6targetE0EEEvS12_,@function
_ZN7rocprim17ROCPRIM_400000_NS6detail17trampoline_kernelINS0_13select_configILj256ELj13ELNS0_17block_load_methodE3ELS4_3ELS4_3ELNS0_20block_scan_algorithmE0ELj4294967295EEENS1_25partition_config_selectorILNS1_17partition_subalgoE4EjNS0_10empty_typeEbEEZZNS1_14partition_implILS8_4ELb0ES6_15HIP_vector_typeIjLj2EENS0_17counting_iteratorIjlEEPS9_SG_NS0_5tupleIJPjSI_NS0_16reverse_iteratorISI_EEEEENSH_IJSG_SG_SG_EEES9_SI_JZNS1_25segmented_radix_sort_implINS0_14default_configELb0EPKiPiPKlPlN2at6native12_GLOBAL__N_18offset_tEEE10hipError_tPvRmT1_PNSt15iterator_traitsIS12_E10value_typeET2_T3_PNS13_IS18_E10value_typeET4_jRbjT5_S1E_jjP12ihipStream_tbEUljE_ZNSN_ISO_Lb0ESQ_SR_ST_SU_SY_EESZ_S10_S11_S12_S16_S17_S18_S1B_S1C_jS1D_jS1E_S1E_jjS1G_bEUljE0_EEESZ_S10_S11_S18_S1C_S1E_T6_T7_T9_mT8_S1G_bDpT10_ENKUlT_T0_E_clISt17integral_constantIbLb1EES1U_EEDaS1P_S1Q_EUlS1P_E_NS1_11comp_targetILNS1_3genE0ELNS1_11target_archE4294967295ELNS1_3gpuE0ELNS1_3repE0EEENS1_30default_config_static_selectorELNS0_4arch9wavefront6targetE0EEEvS12_: ; @_ZN7rocprim17ROCPRIM_400000_NS6detail17trampoline_kernelINS0_13select_configILj256ELj13ELNS0_17block_load_methodE3ELS4_3ELS4_3ELNS0_20block_scan_algorithmE0ELj4294967295EEENS1_25partition_config_selectorILNS1_17partition_subalgoE4EjNS0_10empty_typeEbEEZZNS1_14partition_implILS8_4ELb0ES6_15HIP_vector_typeIjLj2EENS0_17counting_iteratorIjlEEPS9_SG_NS0_5tupleIJPjSI_NS0_16reverse_iteratorISI_EEEEENSH_IJSG_SG_SG_EEES9_SI_JZNS1_25segmented_radix_sort_implINS0_14default_configELb0EPKiPiPKlPlN2at6native12_GLOBAL__N_18offset_tEEE10hipError_tPvRmT1_PNSt15iterator_traitsIS12_E10value_typeET2_T3_PNS13_IS18_E10value_typeET4_jRbjT5_S1E_jjP12ihipStream_tbEUljE_ZNSN_ISO_Lb0ESQ_SR_ST_SU_SY_EESZ_S10_S11_S12_S16_S17_S18_S1B_S1C_jS1D_jS1E_S1E_jjS1G_bEUljE0_EEESZ_S10_S11_S18_S1C_S1E_T6_T7_T9_mT8_S1G_bDpT10_ENKUlT_T0_E_clISt17integral_constantIbLb1EES1U_EEDaS1P_S1Q_EUlS1P_E_NS1_11comp_targetILNS1_3genE0ELNS1_11target_archE4294967295ELNS1_3gpuE0ELNS1_3repE0EEENS1_30default_config_static_selectorELNS0_4arch9wavefront6targetE0EEEvS12_
; %bb.0:
	.section	.rodata,"a",@progbits
	.p2align	6, 0x0
	.amdhsa_kernel _ZN7rocprim17ROCPRIM_400000_NS6detail17trampoline_kernelINS0_13select_configILj256ELj13ELNS0_17block_load_methodE3ELS4_3ELS4_3ELNS0_20block_scan_algorithmE0ELj4294967295EEENS1_25partition_config_selectorILNS1_17partition_subalgoE4EjNS0_10empty_typeEbEEZZNS1_14partition_implILS8_4ELb0ES6_15HIP_vector_typeIjLj2EENS0_17counting_iteratorIjlEEPS9_SG_NS0_5tupleIJPjSI_NS0_16reverse_iteratorISI_EEEEENSH_IJSG_SG_SG_EEES9_SI_JZNS1_25segmented_radix_sort_implINS0_14default_configELb0EPKiPiPKlPlN2at6native12_GLOBAL__N_18offset_tEEE10hipError_tPvRmT1_PNSt15iterator_traitsIS12_E10value_typeET2_T3_PNS13_IS18_E10value_typeET4_jRbjT5_S1E_jjP12ihipStream_tbEUljE_ZNSN_ISO_Lb0ESQ_SR_ST_SU_SY_EESZ_S10_S11_S12_S16_S17_S18_S1B_S1C_jS1D_jS1E_S1E_jjS1G_bEUljE0_EEESZ_S10_S11_S18_S1C_S1E_T6_T7_T9_mT8_S1G_bDpT10_ENKUlT_T0_E_clISt17integral_constantIbLb1EES1U_EEDaS1P_S1Q_EUlS1P_E_NS1_11comp_targetILNS1_3genE0ELNS1_11target_archE4294967295ELNS1_3gpuE0ELNS1_3repE0EEENS1_30default_config_static_selectorELNS0_4arch9wavefront6targetE0EEEvS12_
		.amdhsa_group_segment_fixed_size 0
		.amdhsa_private_segment_fixed_size 0
		.amdhsa_kernarg_size 184
		.amdhsa_user_sgpr_count 6
		.amdhsa_user_sgpr_private_segment_buffer 1
		.amdhsa_user_sgpr_dispatch_ptr 0
		.amdhsa_user_sgpr_queue_ptr 0
		.amdhsa_user_sgpr_kernarg_segment_ptr 1
		.amdhsa_user_sgpr_dispatch_id 0
		.amdhsa_user_sgpr_flat_scratch_init 0
		.amdhsa_user_sgpr_private_segment_size 0
		.amdhsa_wavefront_size32 1
		.amdhsa_uses_dynamic_stack 0
		.amdhsa_system_sgpr_private_segment_wavefront_offset 0
		.amdhsa_system_sgpr_workgroup_id_x 1
		.amdhsa_system_sgpr_workgroup_id_y 0
		.amdhsa_system_sgpr_workgroup_id_z 0
		.amdhsa_system_sgpr_workgroup_info 0
		.amdhsa_system_vgpr_workitem_id 0
		.amdhsa_next_free_vgpr 1
		.amdhsa_next_free_sgpr 1
		.amdhsa_reserve_vcc 0
		.amdhsa_reserve_flat_scratch 0
		.amdhsa_float_round_mode_32 0
		.amdhsa_float_round_mode_16_64 0
		.amdhsa_float_denorm_mode_32 3
		.amdhsa_float_denorm_mode_16_64 3
		.amdhsa_dx10_clamp 1
		.amdhsa_ieee_mode 1
		.amdhsa_fp16_overflow 0
		.amdhsa_workgroup_processor_mode 1
		.amdhsa_memory_ordered 1
		.amdhsa_forward_progress 1
		.amdhsa_shared_vgpr_count 0
		.amdhsa_exception_fp_ieee_invalid_op 0
		.amdhsa_exception_fp_denorm_src 0
		.amdhsa_exception_fp_ieee_div_zero 0
		.amdhsa_exception_fp_ieee_overflow 0
		.amdhsa_exception_fp_ieee_underflow 0
		.amdhsa_exception_fp_ieee_inexact 0
		.amdhsa_exception_int_div_zero 0
	.end_amdhsa_kernel
	.section	.text._ZN7rocprim17ROCPRIM_400000_NS6detail17trampoline_kernelINS0_13select_configILj256ELj13ELNS0_17block_load_methodE3ELS4_3ELS4_3ELNS0_20block_scan_algorithmE0ELj4294967295EEENS1_25partition_config_selectorILNS1_17partition_subalgoE4EjNS0_10empty_typeEbEEZZNS1_14partition_implILS8_4ELb0ES6_15HIP_vector_typeIjLj2EENS0_17counting_iteratorIjlEEPS9_SG_NS0_5tupleIJPjSI_NS0_16reverse_iteratorISI_EEEEENSH_IJSG_SG_SG_EEES9_SI_JZNS1_25segmented_radix_sort_implINS0_14default_configELb0EPKiPiPKlPlN2at6native12_GLOBAL__N_18offset_tEEE10hipError_tPvRmT1_PNSt15iterator_traitsIS12_E10value_typeET2_T3_PNS13_IS18_E10value_typeET4_jRbjT5_S1E_jjP12ihipStream_tbEUljE_ZNSN_ISO_Lb0ESQ_SR_ST_SU_SY_EESZ_S10_S11_S12_S16_S17_S18_S1B_S1C_jS1D_jS1E_S1E_jjS1G_bEUljE0_EEESZ_S10_S11_S18_S1C_S1E_T6_T7_T9_mT8_S1G_bDpT10_ENKUlT_T0_E_clISt17integral_constantIbLb1EES1U_EEDaS1P_S1Q_EUlS1P_E_NS1_11comp_targetILNS1_3genE0ELNS1_11target_archE4294967295ELNS1_3gpuE0ELNS1_3repE0EEENS1_30default_config_static_selectorELNS0_4arch9wavefront6targetE0EEEvS12_,"axG",@progbits,_ZN7rocprim17ROCPRIM_400000_NS6detail17trampoline_kernelINS0_13select_configILj256ELj13ELNS0_17block_load_methodE3ELS4_3ELS4_3ELNS0_20block_scan_algorithmE0ELj4294967295EEENS1_25partition_config_selectorILNS1_17partition_subalgoE4EjNS0_10empty_typeEbEEZZNS1_14partition_implILS8_4ELb0ES6_15HIP_vector_typeIjLj2EENS0_17counting_iteratorIjlEEPS9_SG_NS0_5tupleIJPjSI_NS0_16reverse_iteratorISI_EEEEENSH_IJSG_SG_SG_EEES9_SI_JZNS1_25segmented_radix_sort_implINS0_14default_configELb0EPKiPiPKlPlN2at6native12_GLOBAL__N_18offset_tEEE10hipError_tPvRmT1_PNSt15iterator_traitsIS12_E10value_typeET2_T3_PNS13_IS18_E10value_typeET4_jRbjT5_S1E_jjP12ihipStream_tbEUljE_ZNSN_ISO_Lb0ESQ_SR_ST_SU_SY_EESZ_S10_S11_S12_S16_S17_S18_S1B_S1C_jS1D_jS1E_S1E_jjS1G_bEUljE0_EEESZ_S10_S11_S18_S1C_S1E_T6_T7_T9_mT8_S1G_bDpT10_ENKUlT_T0_E_clISt17integral_constantIbLb1EES1U_EEDaS1P_S1Q_EUlS1P_E_NS1_11comp_targetILNS1_3genE0ELNS1_11target_archE4294967295ELNS1_3gpuE0ELNS1_3repE0EEENS1_30default_config_static_selectorELNS0_4arch9wavefront6targetE0EEEvS12_,comdat
.Lfunc_end539:
	.size	_ZN7rocprim17ROCPRIM_400000_NS6detail17trampoline_kernelINS0_13select_configILj256ELj13ELNS0_17block_load_methodE3ELS4_3ELS4_3ELNS0_20block_scan_algorithmE0ELj4294967295EEENS1_25partition_config_selectorILNS1_17partition_subalgoE4EjNS0_10empty_typeEbEEZZNS1_14partition_implILS8_4ELb0ES6_15HIP_vector_typeIjLj2EENS0_17counting_iteratorIjlEEPS9_SG_NS0_5tupleIJPjSI_NS0_16reverse_iteratorISI_EEEEENSH_IJSG_SG_SG_EEES9_SI_JZNS1_25segmented_radix_sort_implINS0_14default_configELb0EPKiPiPKlPlN2at6native12_GLOBAL__N_18offset_tEEE10hipError_tPvRmT1_PNSt15iterator_traitsIS12_E10value_typeET2_T3_PNS13_IS18_E10value_typeET4_jRbjT5_S1E_jjP12ihipStream_tbEUljE_ZNSN_ISO_Lb0ESQ_SR_ST_SU_SY_EESZ_S10_S11_S12_S16_S17_S18_S1B_S1C_jS1D_jS1E_S1E_jjS1G_bEUljE0_EEESZ_S10_S11_S18_S1C_S1E_T6_T7_T9_mT8_S1G_bDpT10_ENKUlT_T0_E_clISt17integral_constantIbLb1EES1U_EEDaS1P_S1Q_EUlS1P_E_NS1_11comp_targetILNS1_3genE0ELNS1_11target_archE4294967295ELNS1_3gpuE0ELNS1_3repE0EEENS1_30default_config_static_selectorELNS0_4arch9wavefront6targetE0EEEvS12_, .Lfunc_end539-_ZN7rocprim17ROCPRIM_400000_NS6detail17trampoline_kernelINS0_13select_configILj256ELj13ELNS0_17block_load_methodE3ELS4_3ELS4_3ELNS0_20block_scan_algorithmE0ELj4294967295EEENS1_25partition_config_selectorILNS1_17partition_subalgoE4EjNS0_10empty_typeEbEEZZNS1_14partition_implILS8_4ELb0ES6_15HIP_vector_typeIjLj2EENS0_17counting_iteratorIjlEEPS9_SG_NS0_5tupleIJPjSI_NS0_16reverse_iteratorISI_EEEEENSH_IJSG_SG_SG_EEES9_SI_JZNS1_25segmented_radix_sort_implINS0_14default_configELb0EPKiPiPKlPlN2at6native12_GLOBAL__N_18offset_tEEE10hipError_tPvRmT1_PNSt15iterator_traitsIS12_E10value_typeET2_T3_PNS13_IS18_E10value_typeET4_jRbjT5_S1E_jjP12ihipStream_tbEUljE_ZNSN_ISO_Lb0ESQ_SR_ST_SU_SY_EESZ_S10_S11_S12_S16_S17_S18_S1B_S1C_jS1D_jS1E_S1E_jjS1G_bEUljE0_EEESZ_S10_S11_S18_S1C_S1E_T6_T7_T9_mT8_S1G_bDpT10_ENKUlT_T0_E_clISt17integral_constantIbLb1EES1U_EEDaS1P_S1Q_EUlS1P_E_NS1_11comp_targetILNS1_3genE0ELNS1_11target_archE4294967295ELNS1_3gpuE0ELNS1_3repE0EEENS1_30default_config_static_selectorELNS0_4arch9wavefront6targetE0EEEvS12_
                                        ; -- End function
	.set _ZN7rocprim17ROCPRIM_400000_NS6detail17trampoline_kernelINS0_13select_configILj256ELj13ELNS0_17block_load_methodE3ELS4_3ELS4_3ELNS0_20block_scan_algorithmE0ELj4294967295EEENS1_25partition_config_selectorILNS1_17partition_subalgoE4EjNS0_10empty_typeEbEEZZNS1_14partition_implILS8_4ELb0ES6_15HIP_vector_typeIjLj2EENS0_17counting_iteratorIjlEEPS9_SG_NS0_5tupleIJPjSI_NS0_16reverse_iteratorISI_EEEEENSH_IJSG_SG_SG_EEES9_SI_JZNS1_25segmented_radix_sort_implINS0_14default_configELb0EPKiPiPKlPlN2at6native12_GLOBAL__N_18offset_tEEE10hipError_tPvRmT1_PNSt15iterator_traitsIS12_E10value_typeET2_T3_PNS13_IS18_E10value_typeET4_jRbjT5_S1E_jjP12ihipStream_tbEUljE_ZNSN_ISO_Lb0ESQ_SR_ST_SU_SY_EESZ_S10_S11_S12_S16_S17_S18_S1B_S1C_jS1D_jS1E_S1E_jjS1G_bEUljE0_EEESZ_S10_S11_S18_S1C_S1E_T6_T7_T9_mT8_S1G_bDpT10_ENKUlT_T0_E_clISt17integral_constantIbLb1EES1U_EEDaS1P_S1Q_EUlS1P_E_NS1_11comp_targetILNS1_3genE0ELNS1_11target_archE4294967295ELNS1_3gpuE0ELNS1_3repE0EEENS1_30default_config_static_selectorELNS0_4arch9wavefront6targetE0EEEvS12_.num_vgpr, 0
	.set _ZN7rocprim17ROCPRIM_400000_NS6detail17trampoline_kernelINS0_13select_configILj256ELj13ELNS0_17block_load_methodE3ELS4_3ELS4_3ELNS0_20block_scan_algorithmE0ELj4294967295EEENS1_25partition_config_selectorILNS1_17partition_subalgoE4EjNS0_10empty_typeEbEEZZNS1_14partition_implILS8_4ELb0ES6_15HIP_vector_typeIjLj2EENS0_17counting_iteratorIjlEEPS9_SG_NS0_5tupleIJPjSI_NS0_16reverse_iteratorISI_EEEEENSH_IJSG_SG_SG_EEES9_SI_JZNS1_25segmented_radix_sort_implINS0_14default_configELb0EPKiPiPKlPlN2at6native12_GLOBAL__N_18offset_tEEE10hipError_tPvRmT1_PNSt15iterator_traitsIS12_E10value_typeET2_T3_PNS13_IS18_E10value_typeET4_jRbjT5_S1E_jjP12ihipStream_tbEUljE_ZNSN_ISO_Lb0ESQ_SR_ST_SU_SY_EESZ_S10_S11_S12_S16_S17_S18_S1B_S1C_jS1D_jS1E_S1E_jjS1G_bEUljE0_EEESZ_S10_S11_S18_S1C_S1E_T6_T7_T9_mT8_S1G_bDpT10_ENKUlT_T0_E_clISt17integral_constantIbLb1EES1U_EEDaS1P_S1Q_EUlS1P_E_NS1_11comp_targetILNS1_3genE0ELNS1_11target_archE4294967295ELNS1_3gpuE0ELNS1_3repE0EEENS1_30default_config_static_selectorELNS0_4arch9wavefront6targetE0EEEvS12_.num_agpr, 0
	.set _ZN7rocprim17ROCPRIM_400000_NS6detail17trampoline_kernelINS0_13select_configILj256ELj13ELNS0_17block_load_methodE3ELS4_3ELS4_3ELNS0_20block_scan_algorithmE0ELj4294967295EEENS1_25partition_config_selectorILNS1_17partition_subalgoE4EjNS0_10empty_typeEbEEZZNS1_14partition_implILS8_4ELb0ES6_15HIP_vector_typeIjLj2EENS0_17counting_iteratorIjlEEPS9_SG_NS0_5tupleIJPjSI_NS0_16reverse_iteratorISI_EEEEENSH_IJSG_SG_SG_EEES9_SI_JZNS1_25segmented_radix_sort_implINS0_14default_configELb0EPKiPiPKlPlN2at6native12_GLOBAL__N_18offset_tEEE10hipError_tPvRmT1_PNSt15iterator_traitsIS12_E10value_typeET2_T3_PNS13_IS18_E10value_typeET4_jRbjT5_S1E_jjP12ihipStream_tbEUljE_ZNSN_ISO_Lb0ESQ_SR_ST_SU_SY_EESZ_S10_S11_S12_S16_S17_S18_S1B_S1C_jS1D_jS1E_S1E_jjS1G_bEUljE0_EEESZ_S10_S11_S18_S1C_S1E_T6_T7_T9_mT8_S1G_bDpT10_ENKUlT_T0_E_clISt17integral_constantIbLb1EES1U_EEDaS1P_S1Q_EUlS1P_E_NS1_11comp_targetILNS1_3genE0ELNS1_11target_archE4294967295ELNS1_3gpuE0ELNS1_3repE0EEENS1_30default_config_static_selectorELNS0_4arch9wavefront6targetE0EEEvS12_.numbered_sgpr, 0
	.set _ZN7rocprim17ROCPRIM_400000_NS6detail17trampoline_kernelINS0_13select_configILj256ELj13ELNS0_17block_load_methodE3ELS4_3ELS4_3ELNS0_20block_scan_algorithmE0ELj4294967295EEENS1_25partition_config_selectorILNS1_17partition_subalgoE4EjNS0_10empty_typeEbEEZZNS1_14partition_implILS8_4ELb0ES6_15HIP_vector_typeIjLj2EENS0_17counting_iteratorIjlEEPS9_SG_NS0_5tupleIJPjSI_NS0_16reverse_iteratorISI_EEEEENSH_IJSG_SG_SG_EEES9_SI_JZNS1_25segmented_radix_sort_implINS0_14default_configELb0EPKiPiPKlPlN2at6native12_GLOBAL__N_18offset_tEEE10hipError_tPvRmT1_PNSt15iterator_traitsIS12_E10value_typeET2_T3_PNS13_IS18_E10value_typeET4_jRbjT5_S1E_jjP12ihipStream_tbEUljE_ZNSN_ISO_Lb0ESQ_SR_ST_SU_SY_EESZ_S10_S11_S12_S16_S17_S18_S1B_S1C_jS1D_jS1E_S1E_jjS1G_bEUljE0_EEESZ_S10_S11_S18_S1C_S1E_T6_T7_T9_mT8_S1G_bDpT10_ENKUlT_T0_E_clISt17integral_constantIbLb1EES1U_EEDaS1P_S1Q_EUlS1P_E_NS1_11comp_targetILNS1_3genE0ELNS1_11target_archE4294967295ELNS1_3gpuE0ELNS1_3repE0EEENS1_30default_config_static_selectorELNS0_4arch9wavefront6targetE0EEEvS12_.num_named_barrier, 0
	.set _ZN7rocprim17ROCPRIM_400000_NS6detail17trampoline_kernelINS0_13select_configILj256ELj13ELNS0_17block_load_methodE3ELS4_3ELS4_3ELNS0_20block_scan_algorithmE0ELj4294967295EEENS1_25partition_config_selectorILNS1_17partition_subalgoE4EjNS0_10empty_typeEbEEZZNS1_14partition_implILS8_4ELb0ES6_15HIP_vector_typeIjLj2EENS0_17counting_iteratorIjlEEPS9_SG_NS0_5tupleIJPjSI_NS0_16reverse_iteratorISI_EEEEENSH_IJSG_SG_SG_EEES9_SI_JZNS1_25segmented_radix_sort_implINS0_14default_configELb0EPKiPiPKlPlN2at6native12_GLOBAL__N_18offset_tEEE10hipError_tPvRmT1_PNSt15iterator_traitsIS12_E10value_typeET2_T3_PNS13_IS18_E10value_typeET4_jRbjT5_S1E_jjP12ihipStream_tbEUljE_ZNSN_ISO_Lb0ESQ_SR_ST_SU_SY_EESZ_S10_S11_S12_S16_S17_S18_S1B_S1C_jS1D_jS1E_S1E_jjS1G_bEUljE0_EEESZ_S10_S11_S18_S1C_S1E_T6_T7_T9_mT8_S1G_bDpT10_ENKUlT_T0_E_clISt17integral_constantIbLb1EES1U_EEDaS1P_S1Q_EUlS1P_E_NS1_11comp_targetILNS1_3genE0ELNS1_11target_archE4294967295ELNS1_3gpuE0ELNS1_3repE0EEENS1_30default_config_static_selectorELNS0_4arch9wavefront6targetE0EEEvS12_.private_seg_size, 0
	.set _ZN7rocprim17ROCPRIM_400000_NS6detail17trampoline_kernelINS0_13select_configILj256ELj13ELNS0_17block_load_methodE3ELS4_3ELS4_3ELNS0_20block_scan_algorithmE0ELj4294967295EEENS1_25partition_config_selectorILNS1_17partition_subalgoE4EjNS0_10empty_typeEbEEZZNS1_14partition_implILS8_4ELb0ES6_15HIP_vector_typeIjLj2EENS0_17counting_iteratorIjlEEPS9_SG_NS0_5tupleIJPjSI_NS0_16reverse_iteratorISI_EEEEENSH_IJSG_SG_SG_EEES9_SI_JZNS1_25segmented_radix_sort_implINS0_14default_configELb0EPKiPiPKlPlN2at6native12_GLOBAL__N_18offset_tEEE10hipError_tPvRmT1_PNSt15iterator_traitsIS12_E10value_typeET2_T3_PNS13_IS18_E10value_typeET4_jRbjT5_S1E_jjP12ihipStream_tbEUljE_ZNSN_ISO_Lb0ESQ_SR_ST_SU_SY_EESZ_S10_S11_S12_S16_S17_S18_S1B_S1C_jS1D_jS1E_S1E_jjS1G_bEUljE0_EEESZ_S10_S11_S18_S1C_S1E_T6_T7_T9_mT8_S1G_bDpT10_ENKUlT_T0_E_clISt17integral_constantIbLb1EES1U_EEDaS1P_S1Q_EUlS1P_E_NS1_11comp_targetILNS1_3genE0ELNS1_11target_archE4294967295ELNS1_3gpuE0ELNS1_3repE0EEENS1_30default_config_static_selectorELNS0_4arch9wavefront6targetE0EEEvS12_.uses_vcc, 0
	.set _ZN7rocprim17ROCPRIM_400000_NS6detail17trampoline_kernelINS0_13select_configILj256ELj13ELNS0_17block_load_methodE3ELS4_3ELS4_3ELNS0_20block_scan_algorithmE0ELj4294967295EEENS1_25partition_config_selectorILNS1_17partition_subalgoE4EjNS0_10empty_typeEbEEZZNS1_14partition_implILS8_4ELb0ES6_15HIP_vector_typeIjLj2EENS0_17counting_iteratorIjlEEPS9_SG_NS0_5tupleIJPjSI_NS0_16reverse_iteratorISI_EEEEENSH_IJSG_SG_SG_EEES9_SI_JZNS1_25segmented_radix_sort_implINS0_14default_configELb0EPKiPiPKlPlN2at6native12_GLOBAL__N_18offset_tEEE10hipError_tPvRmT1_PNSt15iterator_traitsIS12_E10value_typeET2_T3_PNS13_IS18_E10value_typeET4_jRbjT5_S1E_jjP12ihipStream_tbEUljE_ZNSN_ISO_Lb0ESQ_SR_ST_SU_SY_EESZ_S10_S11_S12_S16_S17_S18_S1B_S1C_jS1D_jS1E_S1E_jjS1G_bEUljE0_EEESZ_S10_S11_S18_S1C_S1E_T6_T7_T9_mT8_S1G_bDpT10_ENKUlT_T0_E_clISt17integral_constantIbLb1EES1U_EEDaS1P_S1Q_EUlS1P_E_NS1_11comp_targetILNS1_3genE0ELNS1_11target_archE4294967295ELNS1_3gpuE0ELNS1_3repE0EEENS1_30default_config_static_selectorELNS0_4arch9wavefront6targetE0EEEvS12_.uses_flat_scratch, 0
	.set _ZN7rocprim17ROCPRIM_400000_NS6detail17trampoline_kernelINS0_13select_configILj256ELj13ELNS0_17block_load_methodE3ELS4_3ELS4_3ELNS0_20block_scan_algorithmE0ELj4294967295EEENS1_25partition_config_selectorILNS1_17partition_subalgoE4EjNS0_10empty_typeEbEEZZNS1_14partition_implILS8_4ELb0ES6_15HIP_vector_typeIjLj2EENS0_17counting_iteratorIjlEEPS9_SG_NS0_5tupleIJPjSI_NS0_16reverse_iteratorISI_EEEEENSH_IJSG_SG_SG_EEES9_SI_JZNS1_25segmented_radix_sort_implINS0_14default_configELb0EPKiPiPKlPlN2at6native12_GLOBAL__N_18offset_tEEE10hipError_tPvRmT1_PNSt15iterator_traitsIS12_E10value_typeET2_T3_PNS13_IS18_E10value_typeET4_jRbjT5_S1E_jjP12ihipStream_tbEUljE_ZNSN_ISO_Lb0ESQ_SR_ST_SU_SY_EESZ_S10_S11_S12_S16_S17_S18_S1B_S1C_jS1D_jS1E_S1E_jjS1G_bEUljE0_EEESZ_S10_S11_S18_S1C_S1E_T6_T7_T9_mT8_S1G_bDpT10_ENKUlT_T0_E_clISt17integral_constantIbLb1EES1U_EEDaS1P_S1Q_EUlS1P_E_NS1_11comp_targetILNS1_3genE0ELNS1_11target_archE4294967295ELNS1_3gpuE0ELNS1_3repE0EEENS1_30default_config_static_selectorELNS0_4arch9wavefront6targetE0EEEvS12_.has_dyn_sized_stack, 0
	.set _ZN7rocprim17ROCPRIM_400000_NS6detail17trampoline_kernelINS0_13select_configILj256ELj13ELNS0_17block_load_methodE3ELS4_3ELS4_3ELNS0_20block_scan_algorithmE0ELj4294967295EEENS1_25partition_config_selectorILNS1_17partition_subalgoE4EjNS0_10empty_typeEbEEZZNS1_14partition_implILS8_4ELb0ES6_15HIP_vector_typeIjLj2EENS0_17counting_iteratorIjlEEPS9_SG_NS0_5tupleIJPjSI_NS0_16reverse_iteratorISI_EEEEENSH_IJSG_SG_SG_EEES9_SI_JZNS1_25segmented_radix_sort_implINS0_14default_configELb0EPKiPiPKlPlN2at6native12_GLOBAL__N_18offset_tEEE10hipError_tPvRmT1_PNSt15iterator_traitsIS12_E10value_typeET2_T3_PNS13_IS18_E10value_typeET4_jRbjT5_S1E_jjP12ihipStream_tbEUljE_ZNSN_ISO_Lb0ESQ_SR_ST_SU_SY_EESZ_S10_S11_S12_S16_S17_S18_S1B_S1C_jS1D_jS1E_S1E_jjS1G_bEUljE0_EEESZ_S10_S11_S18_S1C_S1E_T6_T7_T9_mT8_S1G_bDpT10_ENKUlT_T0_E_clISt17integral_constantIbLb1EES1U_EEDaS1P_S1Q_EUlS1P_E_NS1_11comp_targetILNS1_3genE0ELNS1_11target_archE4294967295ELNS1_3gpuE0ELNS1_3repE0EEENS1_30default_config_static_selectorELNS0_4arch9wavefront6targetE0EEEvS12_.has_recursion, 0
	.set _ZN7rocprim17ROCPRIM_400000_NS6detail17trampoline_kernelINS0_13select_configILj256ELj13ELNS0_17block_load_methodE3ELS4_3ELS4_3ELNS0_20block_scan_algorithmE0ELj4294967295EEENS1_25partition_config_selectorILNS1_17partition_subalgoE4EjNS0_10empty_typeEbEEZZNS1_14partition_implILS8_4ELb0ES6_15HIP_vector_typeIjLj2EENS0_17counting_iteratorIjlEEPS9_SG_NS0_5tupleIJPjSI_NS0_16reverse_iteratorISI_EEEEENSH_IJSG_SG_SG_EEES9_SI_JZNS1_25segmented_radix_sort_implINS0_14default_configELb0EPKiPiPKlPlN2at6native12_GLOBAL__N_18offset_tEEE10hipError_tPvRmT1_PNSt15iterator_traitsIS12_E10value_typeET2_T3_PNS13_IS18_E10value_typeET4_jRbjT5_S1E_jjP12ihipStream_tbEUljE_ZNSN_ISO_Lb0ESQ_SR_ST_SU_SY_EESZ_S10_S11_S12_S16_S17_S18_S1B_S1C_jS1D_jS1E_S1E_jjS1G_bEUljE0_EEESZ_S10_S11_S18_S1C_S1E_T6_T7_T9_mT8_S1G_bDpT10_ENKUlT_T0_E_clISt17integral_constantIbLb1EES1U_EEDaS1P_S1Q_EUlS1P_E_NS1_11comp_targetILNS1_3genE0ELNS1_11target_archE4294967295ELNS1_3gpuE0ELNS1_3repE0EEENS1_30default_config_static_selectorELNS0_4arch9wavefront6targetE0EEEvS12_.has_indirect_call, 0
	.section	.AMDGPU.csdata,"",@progbits
; Kernel info:
; codeLenInByte = 0
; TotalNumSgprs: 0
; NumVgprs: 0
; ScratchSize: 0
; MemoryBound: 0
; FloatMode: 240
; IeeeMode: 1
; LDSByteSize: 0 bytes/workgroup (compile time only)
; SGPRBlocks: 0
; VGPRBlocks: 0
; NumSGPRsForWavesPerEU: 1
; NumVGPRsForWavesPerEU: 1
; Occupancy: 16
; WaveLimiterHint : 0
; COMPUTE_PGM_RSRC2:SCRATCH_EN: 0
; COMPUTE_PGM_RSRC2:USER_SGPR: 6
; COMPUTE_PGM_RSRC2:TRAP_HANDLER: 0
; COMPUTE_PGM_RSRC2:TGID_X_EN: 1
; COMPUTE_PGM_RSRC2:TGID_Y_EN: 0
; COMPUTE_PGM_RSRC2:TGID_Z_EN: 0
; COMPUTE_PGM_RSRC2:TIDIG_COMP_CNT: 0
	.section	.text._ZN7rocprim17ROCPRIM_400000_NS6detail17trampoline_kernelINS0_13select_configILj256ELj13ELNS0_17block_load_methodE3ELS4_3ELS4_3ELNS0_20block_scan_algorithmE0ELj4294967295EEENS1_25partition_config_selectorILNS1_17partition_subalgoE4EjNS0_10empty_typeEbEEZZNS1_14partition_implILS8_4ELb0ES6_15HIP_vector_typeIjLj2EENS0_17counting_iteratorIjlEEPS9_SG_NS0_5tupleIJPjSI_NS0_16reverse_iteratorISI_EEEEENSH_IJSG_SG_SG_EEES9_SI_JZNS1_25segmented_radix_sort_implINS0_14default_configELb0EPKiPiPKlPlN2at6native12_GLOBAL__N_18offset_tEEE10hipError_tPvRmT1_PNSt15iterator_traitsIS12_E10value_typeET2_T3_PNS13_IS18_E10value_typeET4_jRbjT5_S1E_jjP12ihipStream_tbEUljE_ZNSN_ISO_Lb0ESQ_SR_ST_SU_SY_EESZ_S10_S11_S12_S16_S17_S18_S1B_S1C_jS1D_jS1E_S1E_jjS1G_bEUljE0_EEESZ_S10_S11_S18_S1C_S1E_T6_T7_T9_mT8_S1G_bDpT10_ENKUlT_T0_E_clISt17integral_constantIbLb1EES1U_EEDaS1P_S1Q_EUlS1P_E_NS1_11comp_targetILNS1_3genE5ELNS1_11target_archE942ELNS1_3gpuE9ELNS1_3repE0EEENS1_30default_config_static_selectorELNS0_4arch9wavefront6targetE0EEEvS12_,"axG",@progbits,_ZN7rocprim17ROCPRIM_400000_NS6detail17trampoline_kernelINS0_13select_configILj256ELj13ELNS0_17block_load_methodE3ELS4_3ELS4_3ELNS0_20block_scan_algorithmE0ELj4294967295EEENS1_25partition_config_selectorILNS1_17partition_subalgoE4EjNS0_10empty_typeEbEEZZNS1_14partition_implILS8_4ELb0ES6_15HIP_vector_typeIjLj2EENS0_17counting_iteratorIjlEEPS9_SG_NS0_5tupleIJPjSI_NS0_16reverse_iteratorISI_EEEEENSH_IJSG_SG_SG_EEES9_SI_JZNS1_25segmented_radix_sort_implINS0_14default_configELb0EPKiPiPKlPlN2at6native12_GLOBAL__N_18offset_tEEE10hipError_tPvRmT1_PNSt15iterator_traitsIS12_E10value_typeET2_T3_PNS13_IS18_E10value_typeET4_jRbjT5_S1E_jjP12ihipStream_tbEUljE_ZNSN_ISO_Lb0ESQ_SR_ST_SU_SY_EESZ_S10_S11_S12_S16_S17_S18_S1B_S1C_jS1D_jS1E_S1E_jjS1G_bEUljE0_EEESZ_S10_S11_S18_S1C_S1E_T6_T7_T9_mT8_S1G_bDpT10_ENKUlT_T0_E_clISt17integral_constantIbLb1EES1U_EEDaS1P_S1Q_EUlS1P_E_NS1_11comp_targetILNS1_3genE5ELNS1_11target_archE942ELNS1_3gpuE9ELNS1_3repE0EEENS1_30default_config_static_selectorELNS0_4arch9wavefront6targetE0EEEvS12_,comdat
	.globl	_ZN7rocprim17ROCPRIM_400000_NS6detail17trampoline_kernelINS0_13select_configILj256ELj13ELNS0_17block_load_methodE3ELS4_3ELS4_3ELNS0_20block_scan_algorithmE0ELj4294967295EEENS1_25partition_config_selectorILNS1_17partition_subalgoE4EjNS0_10empty_typeEbEEZZNS1_14partition_implILS8_4ELb0ES6_15HIP_vector_typeIjLj2EENS0_17counting_iteratorIjlEEPS9_SG_NS0_5tupleIJPjSI_NS0_16reverse_iteratorISI_EEEEENSH_IJSG_SG_SG_EEES9_SI_JZNS1_25segmented_radix_sort_implINS0_14default_configELb0EPKiPiPKlPlN2at6native12_GLOBAL__N_18offset_tEEE10hipError_tPvRmT1_PNSt15iterator_traitsIS12_E10value_typeET2_T3_PNS13_IS18_E10value_typeET4_jRbjT5_S1E_jjP12ihipStream_tbEUljE_ZNSN_ISO_Lb0ESQ_SR_ST_SU_SY_EESZ_S10_S11_S12_S16_S17_S18_S1B_S1C_jS1D_jS1E_S1E_jjS1G_bEUljE0_EEESZ_S10_S11_S18_S1C_S1E_T6_T7_T9_mT8_S1G_bDpT10_ENKUlT_T0_E_clISt17integral_constantIbLb1EES1U_EEDaS1P_S1Q_EUlS1P_E_NS1_11comp_targetILNS1_3genE5ELNS1_11target_archE942ELNS1_3gpuE9ELNS1_3repE0EEENS1_30default_config_static_selectorELNS0_4arch9wavefront6targetE0EEEvS12_ ; -- Begin function _ZN7rocprim17ROCPRIM_400000_NS6detail17trampoline_kernelINS0_13select_configILj256ELj13ELNS0_17block_load_methodE3ELS4_3ELS4_3ELNS0_20block_scan_algorithmE0ELj4294967295EEENS1_25partition_config_selectorILNS1_17partition_subalgoE4EjNS0_10empty_typeEbEEZZNS1_14partition_implILS8_4ELb0ES6_15HIP_vector_typeIjLj2EENS0_17counting_iteratorIjlEEPS9_SG_NS0_5tupleIJPjSI_NS0_16reverse_iteratorISI_EEEEENSH_IJSG_SG_SG_EEES9_SI_JZNS1_25segmented_radix_sort_implINS0_14default_configELb0EPKiPiPKlPlN2at6native12_GLOBAL__N_18offset_tEEE10hipError_tPvRmT1_PNSt15iterator_traitsIS12_E10value_typeET2_T3_PNS13_IS18_E10value_typeET4_jRbjT5_S1E_jjP12ihipStream_tbEUljE_ZNSN_ISO_Lb0ESQ_SR_ST_SU_SY_EESZ_S10_S11_S12_S16_S17_S18_S1B_S1C_jS1D_jS1E_S1E_jjS1G_bEUljE0_EEESZ_S10_S11_S18_S1C_S1E_T6_T7_T9_mT8_S1G_bDpT10_ENKUlT_T0_E_clISt17integral_constantIbLb1EES1U_EEDaS1P_S1Q_EUlS1P_E_NS1_11comp_targetILNS1_3genE5ELNS1_11target_archE942ELNS1_3gpuE9ELNS1_3repE0EEENS1_30default_config_static_selectorELNS0_4arch9wavefront6targetE0EEEvS12_
	.p2align	8
	.type	_ZN7rocprim17ROCPRIM_400000_NS6detail17trampoline_kernelINS0_13select_configILj256ELj13ELNS0_17block_load_methodE3ELS4_3ELS4_3ELNS0_20block_scan_algorithmE0ELj4294967295EEENS1_25partition_config_selectorILNS1_17partition_subalgoE4EjNS0_10empty_typeEbEEZZNS1_14partition_implILS8_4ELb0ES6_15HIP_vector_typeIjLj2EENS0_17counting_iteratorIjlEEPS9_SG_NS0_5tupleIJPjSI_NS0_16reverse_iteratorISI_EEEEENSH_IJSG_SG_SG_EEES9_SI_JZNS1_25segmented_radix_sort_implINS0_14default_configELb0EPKiPiPKlPlN2at6native12_GLOBAL__N_18offset_tEEE10hipError_tPvRmT1_PNSt15iterator_traitsIS12_E10value_typeET2_T3_PNS13_IS18_E10value_typeET4_jRbjT5_S1E_jjP12ihipStream_tbEUljE_ZNSN_ISO_Lb0ESQ_SR_ST_SU_SY_EESZ_S10_S11_S12_S16_S17_S18_S1B_S1C_jS1D_jS1E_S1E_jjS1G_bEUljE0_EEESZ_S10_S11_S18_S1C_S1E_T6_T7_T9_mT8_S1G_bDpT10_ENKUlT_T0_E_clISt17integral_constantIbLb1EES1U_EEDaS1P_S1Q_EUlS1P_E_NS1_11comp_targetILNS1_3genE5ELNS1_11target_archE942ELNS1_3gpuE9ELNS1_3repE0EEENS1_30default_config_static_selectorELNS0_4arch9wavefront6targetE0EEEvS12_,@function
_ZN7rocprim17ROCPRIM_400000_NS6detail17trampoline_kernelINS0_13select_configILj256ELj13ELNS0_17block_load_methodE3ELS4_3ELS4_3ELNS0_20block_scan_algorithmE0ELj4294967295EEENS1_25partition_config_selectorILNS1_17partition_subalgoE4EjNS0_10empty_typeEbEEZZNS1_14partition_implILS8_4ELb0ES6_15HIP_vector_typeIjLj2EENS0_17counting_iteratorIjlEEPS9_SG_NS0_5tupleIJPjSI_NS0_16reverse_iteratorISI_EEEEENSH_IJSG_SG_SG_EEES9_SI_JZNS1_25segmented_radix_sort_implINS0_14default_configELb0EPKiPiPKlPlN2at6native12_GLOBAL__N_18offset_tEEE10hipError_tPvRmT1_PNSt15iterator_traitsIS12_E10value_typeET2_T3_PNS13_IS18_E10value_typeET4_jRbjT5_S1E_jjP12ihipStream_tbEUljE_ZNSN_ISO_Lb0ESQ_SR_ST_SU_SY_EESZ_S10_S11_S12_S16_S17_S18_S1B_S1C_jS1D_jS1E_S1E_jjS1G_bEUljE0_EEESZ_S10_S11_S18_S1C_S1E_T6_T7_T9_mT8_S1G_bDpT10_ENKUlT_T0_E_clISt17integral_constantIbLb1EES1U_EEDaS1P_S1Q_EUlS1P_E_NS1_11comp_targetILNS1_3genE5ELNS1_11target_archE942ELNS1_3gpuE9ELNS1_3repE0EEENS1_30default_config_static_selectorELNS0_4arch9wavefront6targetE0EEEvS12_: ; @_ZN7rocprim17ROCPRIM_400000_NS6detail17trampoline_kernelINS0_13select_configILj256ELj13ELNS0_17block_load_methodE3ELS4_3ELS4_3ELNS0_20block_scan_algorithmE0ELj4294967295EEENS1_25partition_config_selectorILNS1_17partition_subalgoE4EjNS0_10empty_typeEbEEZZNS1_14partition_implILS8_4ELb0ES6_15HIP_vector_typeIjLj2EENS0_17counting_iteratorIjlEEPS9_SG_NS0_5tupleIJPjSI_NS0_16reverse_iteratorISI_EEEEENSH_IJSG_SG_SG_EEES9_SI_JZNS1_25segmented_radix_sort_implINS0_14default_configELb0EPKiPiPKlPlN2at6native12_GLOBAL__N_18offset_tEEE10hipError_tPvRmT1_PNSt15iterator_traitsIS12_E10value_typeET2_T3_PNS13_IS18_E10value_typeET4_jRbjT5_S1E_jjP12ihipStream_tbEUljE_ZNSN_ISO_Lb0ESQ_SR_ST_SU_SY_EESZ_S10_S11_S12_S16_S17_S18_S1B_S1C_jS1D_jS1E_S1E_jjS1G_bEUljE0_EEESZ_S10_S11_S18_S1C_S1E_T6_T7_T9_mT8_S1G_bDpT10_ENKUlT_T0_E_clISt17integral_constantIbLb1EES1U_EEDaS1P_S1Q_EUlS1P_E_NS1_11comp_targetILNS1_3genE5ELNS1_11target_archE942ELNS1_3gpuE9ELNS1_3repE0EEENS1_30default_config_static_selectorELNS0_4arch9wavefront6targetE0EEEvS12_
; %bb.0:
	.section	.rodata,"a",@progbits
	.p2align	6, 0x0
	.amdhsa_kernel _ZN7rocprim17ROCPRIM_400000_NS6detail17trampoline_kernelINS0_13select_configILj256ELj13ELNS0_17block_load_methodE3ELS4_3ELS4_3ELNS0_20block_scan_algorithmE0ELj4294967295EEENS1_25partition_config_selectorILNS1_17partition_subalgoE4EjNS0_10empty_typeEbEEZZNS1_14partition_implILS8_4ELb0ES6_15HIP_vector_typeIjLj2EENS0_17counting_iteratorIjlEEPS9_SG_NS0_5tupleIJPjSI_NS0_16reverse_iteratorISI_EEEEENSH_IJSG_SG_SG_EEES9_SI_JZNS1_25segmented_radix_sort_implINS0_14default_configELb0EPKiPiPKlPlN2at6native12_GLOBAL__N_18offset_tEEE10hipError_tPvRmT1_PNSt15iterator_traitsIS12_E10value_typeET2_T3_PNS13_IS18_E10value_typeET4_jRbjT5_S1E_jjP12ihipStream_tbEUljE_ZNSN_ISO_Lb0ESQ_SR_ST_SU_SY_EESZ_S10_S11_S12_S16_S17_S18_S1B_S1C_jS1D_jS1E_S1E_jjS1G_bEUljE0_EEESZ_S10_S11_S18_S1C_S1E_T6_T7_T9_mT8_S1G_bDpT10_ENKUlT_T0_E_clISt17integral_constantIbLb1EES1U_EEDaS1P_S1Q_EUlS1P_E_NS1_11comp_targetILNS1_3genE5ELNS1_11target_archE942ELNS1_3gpuE9ELNS1_3repE0EEENS1_30default_config_static_selectorELNS0_4arch9wavefront6targetE0EEEvS12_
		.amdhsa_group_segment_fixed_size 0
		.amdhsa_private_segment_fixed_size 0
		.amdhsa_kernarg_size 184
		.amdhsa_user_sgpr_count 6
		.amdhsa_user_sgpr_private_segment_buffer 1
		.amdhsa_user_sgpr_dispatch_ptr 0
		.amdhsa_user_sgpr_queue_ptr 0
		.amdhsa_user_sgpr_kernarg_segment_ptr 1
		.amdhsa_user_sgpr_dispatch_id 0
		.amdhsa_user_sgpr_flat_scratch_init 0
		.amdhsa_user_sgpr_private_segment_size 0
		.amdhsa_wavefront_size32 1
		.amdhsa_uses_dynamic_stack 0
		.amdhsa_system_sgpr_private_segment_wavefront_offset 0
		.amdhsa_system_sgpr_workgroup_id_x 1
		.amdhsa_system_sgpr_workgroup_id_y 0
		.amdhsa_system_sgpr_workgroup_id_z 0
		.amdhsa_system_sgpr_workgroup_info 0
		.amdhsa_system_vgpr_workitem_id 0
		.amdhsa_next_free_vgpr 1
		.amdhsa_next_free_sgpr 1
		.amdhsa_reserve_vcc 0
		.amdhsa_reserve_flat_scratch 0
		.amdhsa_float_round_mode_32 0
		.amdhsa_float_round_mode_16_64 0
		.amdhsa_float_denorm_mode_32 3
		.amdhsa_float_denorm_mode_16_64 3
		.amdhsa_dx10_clamp 1
		.amdhsa_ieee_mode 1
		.amdhsa_fp16_overflow 0
		.amdhsa_workgroup_processor_mode 1
		.amdhsa_memory_ordered 1
		.amdhsa_forward_progress 1
		.amdhsa_shared_vgpr_count 0
		.amdhsa_exception_fp_ieee_invalid_op 0
		.amdhsa_exception_fp_denorm_src 0
		.amdhsa_exception_fp_ieee_div_zero 0
		.amdhsa_exception_fp_ieee_overflow 0
		.amdhsa_exception_fp_ieee_underflow 0
		.amdhsa_exception_fp_ieee_inexact 0
		.amdhsa_exception_int_div_zero 0
	.end_amdhsa_kernel
	.section	.text._ZN7rocprim17ROCPRIM_400000_NS6detail17trampoline_kernelINS0_13select_configILj256ELj13ELNS0_17block_load_methodE3ELS4_3ELS4_3ELNS0_20block_scan_algorithmE0ELj4294967295EEENS1_25partition_config_selectorILNS1_17partition_subalgoE4EjNS0_10empty_typeEbEEZZNS1_14partition_implILS8_4ELb0ES6_15HIP_vector_typeIjLj2EENS0_17counting_iteratorIjlEEPS9_SG_NS0_5tupleIJPjSI_NS0_16reverse_iteratorISI_EEEEENSH_IJSG_SG_SG_EEES9_SI_JZNS1_25segmented_radix_sort_implINS0_14default_configELb0EPKiPiPKlPlN2at6native12_GLOBAL__N_18offset_tEEE10hipError_tPvRmT1_PNSt15iterator_traitsIS12_E10value_typeET2_T3_PNS13_IS18_E10value_typeET4_jRbjT5_S1E_jjP12ihipStream_tbEUljE_ZNSN_ISO_Lb0ESQ_SR_ST_SU_SY_EESZ_S10_S11_S12_S16_S17_S18_S1B_S1C_jS1D_jS1E_S1E_jjS1G_bEUljE0_EEESZ_S10_S11_S18_S1C_S1E_T6_T7_T9_mT8_S1G_bDpT10_ENKUlT_T0_E_clISt17integral_constantIbLb1EES1U_EEDaS1P_S1Q_EUlS1P_E_NS1_11comp_targetILNS1_3genE5ELNS1_11target_archE942ELNS1_3gpuE9ELNS1_3repE0EEENS1_30default_config_static_selectorELNS0_4arch9wavefront6targetE0EEEvS12_,"axG",@progbits,_ZN7rocprim17ROCPRIM_400000_NS6detail17trampoline_kernelINS0_13select_configILj256ELj13ELNS0_17block_load_methodE3ELS4_3ELS4_3ELNS0_20block_scan_algorithmE0ELj4294967295EEENS1_25partition_config_selectorILNS1_17partition_subalgoE4EjNS0_10empty_typeEbEEZZNS1_14partition_implILS8_4ELb0ES6_15HIP_vector_typeIjLj2EENS0_17counting_iteratorIjlEEPS9_SG_NS0_5tupleIJPjSI_NS0_16reverse_iteratorISI_EEEEENSH_IJSG_SG_SG_EEES9_SI_JZNS1_25segmented_radix_sort_implINS0_14default_configELb0EPKiPiPKlPlN2at6native12_GLOBAL__N_18offset_tEEE10hipError_tPvRmT1_PNSt15iterator_traitsIS12_E10value_typeET2_T3_PNS13_IS18_E10value_typeET4_jRbjT5_S1E_jjP12ihipStream_tbEUljE_ZNSN_ISO_Lb0ESQ_SR_ST_SU_SY_EESZ_S10_S11_S12_S16_S17_S18_S1B_S1C_jS1D_jS1E_S1E_jjS1G_bEUljE0_EEESZ_S10_S11_S18_S1C_S1E_T6_T7_T9_mT8_S1G_bDpT10_ENKUlT_T0_E_clISt17integral_constantIbLb1EES1U_EEDaS1P_S1Q_EUlS1P_E_NS1_11comp_targetILNS1_3genE5ELNS1_11target_archE942ELNS1_3gpuE9ELNS1_3repE0EEENS1_30default_config_static_selectorELNS0_4arch9wavefront6targetE0EEEvS12_,comdat
.Lfunc_end540:
	.size	_ZN7rocprim17ROCPRIM_400000_NS6detail17trampoline_kernelINS0_13select_configILj256ELj13ELNS0_17block_load_methodE3ELS4_3ELS4_3ELNS0_20block_scan_algorithmE0ELj4294967295EEENS1_25partition_config_selectorILNS1_17partition_subalgoE4EjNS0_10empty_typeEbEEZZNS1_14partition_implILS8_4ELb0ES6_15HIP_vector_typeIjLj2EENS0_17counting_iteratorIjlEEPS9_SG_NS0_5tupleIJPjSI_NS0_16reverse_iteratorISI_EEEEENSH_IJSG_SG_SG_EEES9_SI_JZNS1_25segmented_radix_sort_implINS0_14default_configELb0EPKiPiPKlPlN2at6native12_GLOBAL__N_18offset_tEEE10hipError_tPvRmT1_PNSt15iterator_traitsIS12_E10value_typeET2_T3_PNS13_IS18_E10value_typeET4_jRbjT5_S1E_jjP12ihipStream_tbEUljE_ZNSN_ISO_Lb0ESQ_SR_ST_SU_SY_EESZ_S10_S11_S12_S16_S17_S18_S1B_S1C_jS1D_jS1E_S1E_jjS1G_bEUljE0_EEESZ_S10_S11_S18_S1C_S1E_T6_T7_T9_mT8_S1G_bDpT10_ENKUlT_T0_E_clISt17integral_constantIbLb1EES1U_EEDaS1P_S1Q_EUlS1P_E_NS1_11comp_targetILNS1_3genE5ELNS1_11target_archE942ELNS1_3gpuE9ELNS1_3repE0EEENS1_30default_config_static_selectorELNS0_4arch9wavefront6targetE0EEEvS12_, .Lfunc_end540-_ZN7rocprim17ROCPRIM_400000_NS6detail17trampoline_kernelINS0_13select_configILj256ELj13ELNS0_17block_load_methodE3ELS4_3ELS4_3ELNS0_20block_scan_algorithmE0ELj4294967295EEENS1_25partition_config_selectorILNS1_17partition_subalgoE4EjNS0_10empty_typeEbEEZZNS1_14partition_implILS8_4ELb0ES6_15HIP_vector_typeIjLj2EENS0_17counting_iteratorIjlEEPS9_SG_NS0_5tupleIJPjSI_NS0_16reverse_iteratorISI_EEEEENSH_IJSG_SG_SG_EEES9_SI_JZNS1_25segmented_radix_sort_implINS0_14default_configELb0EPKiPiPKlPlN2at6native12_GLOBAL__N_18offset_tEEE10hipError_tPvRmT1_PNSt15iterator_traitsIS12_E10value_typeET2_T3_PNS13_IS18_E10value_typeET4_jRbjT5_S1E_jjP12ihipStream_tbEUljE_ZNSN_ISO_Lb0ESQ_SR_ST_SU_SY_EESZ_S10_S11_S12_S16_S17_S18_S1B_S1C_jS1D_jS1E_S1E_jjS1G_bEUljE0_EEESZ_S10_S11_S18_S1C_S1E_T6_T7_T9_mT8_S1G_bDpT10_ENKUlT_T0_E_clISt17integral_constantIbLb1EES1U_EEDaS1P_S1Q_EUlS1P_E_NS1_11comp_targetILNS1_3genE5ELNS1_11target_archE942ELNS1_3gpuE9ELNS1_3repE0EEENS1_30default_config_static_selectorELNS0_4arch9wavefront6targetE0EEEvS12_
                                        ; -- End function
	.set _ZN7rocprim17ROCPRIM_400000_NS6detail17trampoline_kernelINS0_13select_configILj256ELj13ELNS0_17block_load_methodE3ELS4_3ELS4_3ELNS0_20block_scan_algorithmE0ELj4294967295EEENS1_25partition_config_selectorILNS1_17partition_subalgoE4EjNS0_10empty_typeEbEEZZNS1_14partition_implILS8_4ELb0ES6_15HIP_vector_typeIjLj2EENS0_17counting_iteratorIjlEEPS9_SG_NS0_5tupleIJPjSI_NS0_16reverse_iteratorISI_EEEEENSH_IJSG_SG_SG_EEES9_SI_JZNS1_25segmented_radix_sort_implINS0_14default_configELb0EPKiPiPKlPlN2at6native12_GLOBAL__N_18offset_tEEE10hipError_tPvRmT1_PNSt15iterator_traitsIS12_E10value_typeET2_T3_PNS13_IS18_E10value_typeET4_jRbjT5_S1E_jjP12ihipStream_tbEUljE_ZNSN_ISO_Lb0ESQ_SR_ST_SU_SY_EESZ_S10_S11_S12_S16_S17_S18_S1B_S1C_jS1D_jS1E_S1E_jjS1G_bEUljE0_EEESZ_S10_S11_S18_S1C_S1E_T6_T7_T9_mT8_S1G_bDpT10_ENKUlT_T0_E_clISt17integral_constantIbLb1EES1U_EEDaS1P_S1Q_EUlS1P_E_NS1_11comp_targetILNS1_3genE5ELNS1_11target_archE942ELNS1_3gpuE9ELNS1_3repE0EEENS1_30default_config_static_selectorELNS0_4arch9wavefront6targetE0EEEvS12_.num_vgpr, 0
	.set _ZN7rocprim17ROCPRIM_400000_NS6detail17trampoline_kernelINS0_13select_configILj256ELj13ELNS0_17block_load_methodE3ELS4_3ELS4_3ELNS0_20block_scan_algorithmE0ELj4294967295EEENS1_25partition_config_selectorILNS1_17partition_subalgoE4EjNS0_10empty_typeEbEEZZNS1_14partition_implILS8_4ELb0ES6_15HIP_vector_typeIjLj2EENS0_17counting_iteratorIjlEEPS9_SG_NS0_5tupleIJPjSI_NS0_16reverse_iteratorISI_EEEEENSH_IJSG_SG_SG_EEES9_SI_JZNS1_25segmented_radix_sort_implINS0_14default_configELb0EPKiPiPKlPlN2at6native12_GLOBAL__N_18offset_tEEE10hipError_tPvRmT1_PNSt15iterator_traitsIS12_E10value_typeET2_T3_PNS13_IS18_E10value_typeET4_jRbjT5_S1E_jjP12ihipStream_tbEUljE_ZNSN_ISO_Lb0ESQ_SR_ST_SU_SY_EESZ_S10_S11_S12_S16_S17_S18_S1B_S1C_jS1D_jS1E_S1E_jjS1G_bEUljE0_EEESZ_S10_S11_S18_S1C_S1E_T6_T7_T9_mT8_S1G_bDpT10_ENKUlT_T0_E_clISt17integral_constantIbLb1EES1U_EEDaS1P_S1Q_EUlS1P_E_NS1_11comp_targetILNS1_3genE5ELNS1_11target_archE942ELNS1_3gpuE9ELNS1_3repE0EEENS1_30default_config_static_selectorELNS0_4arch9wavefront6targetE0EEEvS12_.num_agpr, 0
	.set _ZN7rocprim17ROCPRIM_400000_NS6detail17trampoline_kernelINS0_13select_configILj256ELj13ELNS0_17block_load_methodE3ELS4_3ELS4_3ELNS0_20block_scan_algorithmE0ELj4294967295EEENS1_25partition_config_selectorILNS1_17partition_subalgoE4EjNS0_10empty_typeEbEEZZNS1_14partition_implILS8_4ELb0ES6_15HIP_vector_typeIjLj2EENS0_17counting_iteratorIjlEEPS9_SG_NS0_5tupleIJPjSI_NS0_16reverse_iteratorISI_EEEEENSH_IJSG_SG_SG_EEES9_SI_JZNS1_25segmented_radix_sort_implINS0_14default_configELb0EPKiPiPKlPlN2at6native12_GLOBAL__N_18offset_tEEE10hipError_tPvRmT1_PNSt15iterator_traitsIS12_E10value_typeET2_T3_PNS13_IS18_E10value_typeET4_jRbjT5_S1E_jjP12ihipStream_tbEUljE_ZNSN_ISO_Lb0ESQ_SR_ST_SU_SY_EESZ_S10_S11_S12_S16_S17_S18_S1B_S1C_jS1D_jS1E_S1E_jjS1G_bEUljE0_EEESZ_S10_S11_S18_S1C_S1E_T6_T7_T9_mT8_S1G_bDpT10_ENKUlT_T0_E_clISt17integral_constantIbLb1EES1U_EEDaS1P_S1Q_EUlS1P_E_NS1_11comp_targetILNS1_3genE5ELNS1_11target_archE942ELNS1_3gpuE9ELNS1_3repE0EEENS1_30default_config_static_selectorELNS0_4arch9wavefront6targetE0EEEvS12_.numbered_sgpr, 0
	.set _ZN7rocprim17ROCPRIM_400000_NS6detail17trampoline_kernelINS0_13select_configILj256ELj13ELNS0_17block_load_methodE3ELS4_3ELS4_3ELNS0_20block_scan_algorithmE0ELj4294967295EEENS1_25partition_config_selectorILNS1_17partition_subalgoE4EjNS0_10empty_typeEbEEZZNS1_14partition_implILS8_4ELb0ES6_15HIP_vector_typeIjLj2EENS0_17counting_iteratorIjlEEPS9_SG_NS0_5tupleIJPjSI_NS0_16reverse_iteratorISI_EEEEENSH_IJSG_SG_SG_EEES9_SI_JZNS1_25segmented_radix_sort_implINS0_14default_configELb0EPKiPiPKlPlN2at6native12_GLOBAL__N_18offset_tEEE10hipError_tPvRmT1_PNSt15iterator_traitsIS12_E10value_typeET2_T3_PNS13_IS18_E10value_typeET4_jRbjT5_S1E_jjP12ihipStream_tbEUljE_ZNSN_ISO_Lb0ESQ_SR_ST_SU_SY_EESZ_S10_S11_S12_S16_S17_S18_S1B_S1C_jS1D_jS1E_S1E_jjS1G_bEUljE0_EEESZ_S10_S11_S18_S1C_S1E_T6_T7_T9_mT8_S1G_bDpT10_ENKUlT_T0_E_clISt17integral_constantIbLb1EES1U_EEDaS1P_S1Q_EUlS1P_E_NS1_11comp_targetILNS1_3genE5ELNS1_11target_archE942ELNS1_3gpuE9ELNS1_3repE0EEENS1_30default_config_static_selectorELNS0_4arch9wavefront6targetE0EEEvS12_.num_named_barrier, 0
	.set _ZN7rocprim17ROCPRIM_400000_NS6detail17trampoline_kernelINS0_13select_configILj256ELj13ELNS0_17block_load_methodE3ELS4_3ELS4_3ELNS0_20block_scan_algorithmE0ELj4294967295EEENS1_25partition_config_selectorILNS1_17partition_subalgoE4EjNS0_10empty_typeEbEEZZNS1_14partition_implILS8_4ELb0ES6_15HIP_vector_typeIjLj2EENS0_17counting_iteratorIjlEEPS9_SG_NS0_5tupleIJPjSI_NS0_16reverse_iteratorISI_EEEEENSH_IJSG_SG_SG_EEES9_SI_JZNS1_25segmented_radix_sort_implINS0_14default_configELb0EPKiPiPKlPlN2at6native12_GLOBAL__N_18offset_tEEE10hipError_tPvRmT1_PNSt15iterator_traitsIS12_E10value_typeET2_T3_PNS13_IS18_E10value_typeET4_jRbjT5_S1E_jjP12ihipStream_tbEUljE_ZNSN_ISO_Lb0ESQ_SR_ST_SU_SY_EESZ_S10_S11_S12_S16_S17_S18_S1B_S1C_jS1D_jS1E_S1E_jjS1G_bEUljE0_EEESZ_S10_S11_S18_S1C_S1E_T6_T7_T9_mT8_S1G_bDpT10_ENKUlT_T0_E_clISt17integral_constantIbLb1EES1U_EEDaS1P_S1Q_EUlS1P_E_NS1_11comp_targetILNS1_3genE5ELNS1_11target_archE942ELNS1_3gpuE9ELNS1_3repE0EEENS1_30default_config_static_selectorELNS0_4arch9wavefront6targetE0EEEvS12_.private_seg_size, 0
	.set _ZN7rocprim17ROCPRIM_400000_NS6detail17trampoline_kernelINS0_13select_configILj256ELj13ELNS0_17block_load_methodE3ELS4_3ELS4_3ELNS0_20block_scan_algorithmE0ELj4294967295EEENS1_25partition_config_selectorILNS1_17partition_subalgoE4EjNS0_10empty_typeEbEEZZNS1_14partition_implILS8_4ELb0ES6_15HIP_vector_typeIjLj2EENS0_17counting_iteratorIjlEEPS9_SG_NS0_5tupleIJPjSI_NS0_16reverse_iteratorISI_EEEEENSH_IJSG_SG_SG_EEES9_SI_JZNS1_25segmented_radix_sort_implINS0_14default_configELb0EPKiPiPKlPlN2at6native12_GLOBAL__N_18offset_tEEE10hipError_tPvRmT1_PNSt15iterator_traitsIS12_E10value_typeET2_T3_PNS13_IS18_E10value_typeET4_jRbjT5_S1E_jjP12ihipStream_tbEUljE_ZNSN_ISO_Lb0ESQ_SR_ST_SU_SY_EESZ_S10_S11_S12_S16_S17_S18_S1B_S1C_jS1D_jS1E_S1E_jjS1G_bEUljE0_EEESZ_S10_S11_S18_S1C_S1E_T6_T7_T9_mT8_S1G_bDpT10_ENKUlT_T0_E_clISt17integral_constantIbLb1EES1U_EEDaS1P_S1Q_EUlS1P_E_NS1_11comp_targetILNS1_3genE5ELNS1_11target_archE942ELNS1_3gpuE9ELNS1_3repE0EEENS1_30default_config_static_selectorELNS0_4arch9wavefront6targetE0EEEvS12_.uses_vcc, 0
	.set _ZN7rocprim17ROCPRIM_400000_NS6detail17trampoline_kernelINS0_13select_configILj256ELj13ELNS0_17block_load_methodE3ELS4_3ELS4_3ELNS0_20block_scan_algorithmE0ELj4294967295EEENS1_25partition_config_selectorILNS1_17partition_subalgoE4EjNS0_10empty_typeEbEEZZNS1_14partition_implILS8_4ELb0ES6_15HIP_vector_typeIjLj2EENS0_17counting_iteratorIjlEEPS9_SG_NS0_5tupleIJPjSI_NS0_16reverse_iteratorISI_EEEEENSH_IJSG_SG_SG_EEES9_SI_JZNS1_25segmented_radix_sort_implINS0_14default_configELb0EPKiPiPKlPlN2at6native12_GLOBAL__N_18offset_tEEE10hipError_tPvRmT1_PNSt15iterator_traitsIS12_E10value_typeET2_T3_PNS13_IS18_E10value_typeET4_jRbjT5_S1E_jjP12ihipStream_tbEUljE_ZNSN_ISO_Lb0ESQ_SR_ST_SU_SY_EESZ_S10_S11_S12_S16_S17_S18_S1B_S1C_jS1D_jS1E_S1E_jjS1G_bEUljE0_EEESZ_S10_S11_S18_S1C_S1E_T6_T7_T9_mT8_S1G_bDpT10_ENKUlT_T0_E_clISt17integral_constantIbLb1EES1U_EEDaS1P_S1Q_EUlS1P_E_NS1_11comp_targetILNS1_3genE5ELNS1_11target_archE942ELNS1_3gpuE9ELNS1_3repE0EEENS1_30default_config_static_selectorELNS0_4arch9wavefront6targetE0EEEvS12_.uses_flat_scratch, 0
	.set _ZN7rocprim17ROCPRIM_400000_NS6detail17trampoline_kernelINS0_13select_configILj256ELj13ELNS0_17block_load_methodE3ELS4_3ELS4_3ELNS0_20block_scan_algorithmE0ELj4294967295EEENS1_25partition_config_selectorILNS1_17partition_subalgoE4EjNS0_10empty_typeEbEEZZNS1_14partition_implILS8_4ELb0ES6_15HIP_vector_typeIjLj2EENS0_17counting_iteratorIjlEEPS9_SG_NS0_5tupleIJPjSI_NS0_16reverse_iteratorISI_EEEEENSH_IJSG_SG_SG_EEES9_SI_JZNS1_25segmented_radix_sort_implINS0_14default_configELb0EPKiPiPKlPlN2at6native12_GLOBAL__N_18offset_tEEE10hipError_tPvRmT1_PNSt15iterator_traitsIS12_E10value_typeET2_T3_PNS13_IS18_E10value_typeET4_jRbjT5_S1E_jjP12ihipStream_tbEUljE_ZNSN_ISO_Lb0ESQ_SR_ST_SU_SY_EESZ_S10_S11_S12_S16_S17_S18_S1B_S1C_jS1D_jS1E_S1E_jjS1G_bEUljE0_EEESZ_S10_S11_S18_S1C_S1E_T6_T7_T9_mT8_S1G_bDpT10_ENKUlT_T0_E_clISt17integral_constantIbLb1EES1U_EEDaS1P_S1Q_EUlS1P_E_NS1_11comp_targetILNS1_3genE5ELNS1_11target_archE942ELNS1_3gpuE9ELNS1_3repE0EEENS1_30default_config_static_selectorELNS0_4arch9wavefront6targetE0EEEvS12_.has_dyn_sized_stack, 0
	.set _ZN7rocprim17ROCPRIM_400000_NS6detail17trampoline_kernelINS0_13select_configILj256ELj13ELNS0_17block_load_methodE3ELS4_3ELS4_3ELNS0_20block_scan_algorithmE0ELj4294967295EEENS1_25partition_config_selectorILNS1_17partition_subalgoE4EjNS0_10empty_typeEbEEZZNS1_14partition_implILS8_4ELb0ES6_15HIP_vector_typeIjLj2EENS0_17counting_iteratorIjlEEPS9_SG_NS0_5tupleIJPjSI_NS0_16reverse_iteratorISI_EEEEENSH_IJSG_SG_SG_EEES9_SI_JZNS1_25segmented_radix_sort_implINS0_14default_configELb0EPKiPiPKlPlN2at6native12_GLOBAL__N_18offset_tEEE10hipError_tPvRmT1_PNSt15iterator_traitsIS12_E10value_typeET2_T3_PNS13_IS18_E10value_typeET4_jRbjT5_S1E_jjP12ihipStream_tbEUljE_ZNSN_ISO_Lb0ESQ_SR_ST_SU_SY_EESZ_S10_S11_S12_S16_S17_S18_S1B_S1C_jS1D_jS1E_S1E_jjS1G_bEUljE0_EEESZ_S10_S11_S18_S1C_S1E_T6_T7_T9_mT8_S1G_bDpT10_ENKUlT_T0_E_clISt17integral_constantIbLb1EES1U_EEDaS1P_S1Q_EUlS1P_E_NS1_11comp_targetILNS1_3genE5ELNS1_11target_archE942ELNS1_3gpuE9ELNS1_3repE0EEENS1_30default_config_static_selectorELNS0_4arch9wavefront6targetE0EEEvS12_.has_recursion, 0
	.set _ZN7rocprim17ROCPRIM_400000_NS6detail17trampoline_kernelINS0_13select_configILj256ELj13ELNS0_17block_load_methodE3ELS4_3ELS4_3ELNS0_20block_scan_algorithmE0ELj4294967295EEENS1_25partition_config_selectorILNS1_17partition_subalgoE4EjNS0_10empty_typeEbEEZZNS1_14partition_implILS8_4ELb0ES6_15HIP_vector_typeIjLj2EENS0_17counting_iteratorIjlEEPS9_SG_NS0_5tupleIJPjSI_NS0_16reverse_iteratorISI_EEEEENSH_IJSG_SG_SG_EEES9_SI_JZNS1_25segmented_radix_sort_implINS0_14default_configELb0EPKiPiPKlPlN2at6native12_GLOBAL__N_18offset_tEEE10hipError_tPvRmT1_PNSt15iterator_traitsIS12_E10value_typeET2_T3_PNS13_IS18_E10value_typeET4_jRbjT5_S1E_jjP12ihipStream_tbEUljE_ZNSN_ISO_Lb0ESQ_SR_ST_SU_SY_EESZ_S10_S11_S12_S16_S17_S18_S1B_S1C_jS1D_jS1E_S1E_jjS1G_bEUljE0_EEESZ_S10_S11_S18_S1C_S1E_T6_T7_T9_mT8_S1G_bDpT10_ENKUlT_T0_E_clISt17integral_constantIbLb1EES1U_EEDaS1P_S1Q_EUlS1P_E_NS1_11comp_targetILNS1_3genE5ELNS1_11target_archE942ELNS1_3gpuE9ELNS1_3repE0EEENS1_30default_config_static_selectorELNS0_4arch9wavefront6targetE0EEEvS12_.has_indirect_call, 0
	.section	.AMDGPU.csdata,"",@progbits
; Kernel info:
; codeLenInByte = 0
; TotalNumSgprs: 0
; NumVgprs: 0
; ScratchSize: 0
; MemoryBound: 0
; FloatMode: 240
; IeeeMode: 1
; LDSByteSize: 0 bytes/workgroup (compile time only)
; SGPRBlocks: 0
; VGPRBlocks: 0
; NumSGPRsForWavesPerEU: 1
; NumVGPRsForWavesPerEU: 1
; Occupancy: 16
; WaveLimiterHint : 0
; COMPUTE_PGM_RSRC2:SCRATCH_EN: 0
; COMPUTE_PGM_RSRC2:USER_SGPR: 6
; COMPUTE_PGM_RSRC2:TRAP_HANDLER: 0
; COMPUTE_PGM_RSRC2:TGID_X_EN: 1
; COMPUTE_PGM_RSRC2:TGID_Y_EN: 0
; COMPUTE_PGM_RSRC2:TGID_Z_EN: 0
; COMPUTE_PGM_RSRC2:TIDIG_COMP_CNT: 0
	.section	.text._ZN7rocprim17ROCPRIM_400000_NS6detail17trampoline_kernelINS0_13select_configILj256ELj13ELNS0_17block_load_methodE3ELS4_3ELS4_3ELNS0_20block_scan_algorithmE0ELj4294967295EEENS1_25partition_config_selectorILNS1_17partition_subalgoE4EjNS0_10empty_typeEbEEZZNS1_14partition_implILS8_4ELb0ES6_15HIP_vector_typeIjLj2EENS0_17counting_iteratorIjlEEPS9_SG_NS0_5tupleIJPjSI_NS0_16reverse_iteratorISI_EEEEENSH_IJSG_SG_SG_EEES9_SI_JZNS1_25segmented_radix_sort_implINS0_14default_configELb0EPKiPiPKlPlN2at6native12_GLOBAL__N_18offset_tEEE10hipError_tPvRmT1_PNSt15iterator_traitsIS12_E10value_typeET2_T3_PNS13_IS18_E10value_typeET4_jRbjT5_S1E_jjP12ihipStream_tbEUljE_ZNSN_ISO_Lb0ESQ_SR_ST_SU_SY_EESZ_S10_S11_S12_S16_S17_S18_S1B_S1C_jS1D_jS1E_S1E_jjS1G_bEUljE0_EEESZ_S10_S11_S18_S1C_S1E_T6_T7_T9_mT8_S1G_bDpT10_ENKUlT_T0_E_clISt17integral_constantIbLb1EES1U_EEDaS1P_S1Q_EUlS1P_E_NS1_11comp_targetILNS1_3genE4ELNS1_11target_archE910ELNS1_3gpuE8ELNS1_3repE0EEENS1_30default_config_static_selectorELNS0_4arch9wavefront6targetE0EEEvS12_,"axG",@progbits,_ZN7rocprim17ROCPRIM_400000_NS6detail17trampoline_kernelINS0_13select_configILj256ELj13ELNS0_17block_load_methodE3ELS4_3ELS4_3ELNS0_20block_scan_algorithmE0ELj4294967295EEENS1_25partition_config_selectorILNS1_17partition_subalgoE4EjNS0_10empty_typeEbEEZZNS1_14partition_implILS8_4ELb0ES6_15HIP_vector_typeIjLj2EENS0_17counting_iteratorIjlEEPS9_SG_NS0_5tupleIJPjSI_NS0_16reverse_iteratorISI_EEEEENSH_IJSG_SG_SG_EEES9_SI_JZNS1_25segmented_radix_sort_implINS0_14default_configELb0EPKiPiPKlPlN2at6native12_GLOBAL__N_18offset_tEEE10hipError_tPvRmT1_PNSt15iterator_traitsIS12_E10value_typeET2_T3_PNS13_IS18_E10value_typeET4_jRbjT5_S1E_jjP12ihipStream_tbEUljE_ZNSN_ISO_Lb0ESQ_SR_ST_SU_SY_EESZ_S10_S11_S12_S16_S17_S18_S1B_S1C_jS1D_jS1E_S1E_jjS1G_bEUljE0_EEESZ_S10_S11_S18_S1C_S1E_T6_T7_T9_mT8_S1G_bDpT10_ENKUlT_T0_E_clISt17integral_constantIbLb1EES1U_EEDaS1P_S1Q_EUlS1P_E_NS1_11comp_targetILNS1_3genE4ELNS1_11target_archE910ELNS1_3gpuE8ELNS1_3repE0EEENS1_30default_config_static_selectorELNS0_4arch9wavefront6targetE0EEEvS12_,comdat
	.globl	_ZN7rocprim17ROCPRIM_400000_NS6detail17trampoline_kernelINS0_13select_configILj256ELj13ELNS0_17block_load_methodE3ELS4_3ELS4_3ELNS0_20block_scan_algorithmE0ELj4294967295EEENS1_25partition_config_selectorILNS1_17partition_subalgoE4EjNS0_10empty_typeEbEEZZNS1_14partition_implILS8_4ELb0ES6_15HIP_vector_typeIjLj2EENS0_17counting_iteratorIjlEEPS9_SG_NS0_5tupleIJPjSI_NS0_16reverse_iteratorISI_EEEEENSH_IJSG_SG_SG_EEES9_SI_JZNS1_25segmented_radix_sort_implINS0_14default_configELb0EPKiPiPKlPlN2at6native12_GLOBAL__N_18offset_tEEE10hipError_tPvRmT1_PNSt15iterator_traitsIS12_E10value_typeET2_T3_PNS13_IS18_E10value_typeET4_jRbjT5_S1E_jjP12ihipStream_tbEUljE_ZNSN_ISO_Lb0ESQ_SR_ST_SU_SY_EESZ_S10_S11_S12_S16_S17_S18_S1B_S1C_jS1D_jS1E_S1E_jjS1G_bEUljE0_EEESZ_S10_S11_S18_S1C_S1E_T6_T7_T9_mT8_S1G_bDpT10_ENKUlT_T0_E_clISt17integral_constantIbLb1EES1U_EEDaS1P_S1Q_EUlS1P_E_NS1_11comp_targetILNS1_3genE4ELNS1_11target_archE910ELNS1_3gpuE8ELNS1_3repE0EEENS1_30default_config_static_selectorELNS0_4arch9wavefront6targetE0EEEvS12_ ; -- Begin function _ZN7rocprim17ROCPRIM_400000_NS6detail17trampoline_kernelINS0_13select_configILj256ELj13ELNS0_17block_load_methodE3ELS4_3ELS4_3ELNS0_20block_scan_algorithmE0ELj4294967295EEENS1_25partition_config_selectorILNS1_17partition_subalgoE4EjNS0_10empty_typeEbEEZZNS1_14partition_implILS8_4ELb0ES6_15HIP_vector_typeIjLj2EENS0_17counting_iteratorIjlEEPS9_SG_NS0_5tupleIJPjSI_NS0_16reverse_iteratorISI_EEEEENSH_IJSG_SG_SG_EEES9_SI_JZNS1_25segmented_radix_sort_implINS0_14default_configELb0EPKiPiPKlPlN2at6native12_GLOBAL__N_18offset_tEEE10hipError_tPvRmT1_PNSt15iterator_traitsIS12_E10value_typeET2_T3_PNS13_IS18_E10value_typeET4_jRbjT5_S1E_jjP12ihipStream_tbEUljE_ZNSN_ISO_Lb0ESQ_SR_ST_SU_SY_EESZ_S10_S11_S12_S16_S17_S18_S1B_S1C_jS1D_jS1E_S1E_jjS1G_bEUljE0_EEESZ_S10_S11_S18_S1C_S1E_T6_T7_T9_mT8_S1G_bDpT10_ENKUlT_T0_E_clISt17integral_constantIbLb1EES1U_EEDaS1P_S1Q_EUlS1P_E_NS1_11comp_targetILNS1_3genE4ELNS1_11target_archE910ELNS1_3gpuE8ELNS1_3repE0EEENS1_30default_config_static_selectorELNS0_4arch9wavefront6targetE0EEEvS12_
	.p2align	8
	.type	_ZN7rocprim17ROCPRIM_400000_NS6detail17trampoline_kernelINS0_13select_configILj256ELj13ELNS0_17block_load_methodE3ELS4_3ELS4_3ELNS0_20block_scan_algorithmE0ELj4294967295EEENS1_25partition_config_selectorILNS1_17partition_subalgoE4EjNS0_10empty_typeEbEEZZNS1_14partition_implILS8_4ELb0ES6_15HIP_vector_typeIjLj2EENS0_17counting_iteratorIjlEEPS9_SG_NS0_5tupleIJPjSI_NS0_16reverse_iteratorISI_EEEEENSH_IJSG_SG_SG_EEES9_SI_JZNS1_25segmented_radix_sort_implINS0_14default_configELb0EPKiPiPKlPlN2at6native12_GLOBAL__N_18offset_tEEE10hipError_tPvRmT1_PNSt15iterator_traitsIS12_E10value_typeET2_T3_PNS13_IS18_E10value_typeET4_jRbjT5_S1E_jjP12ihipStream_tbEUljE_ZNSN_ISO_Lb0ESQ_SR_ST_SU_SY_EESZ_S10_S11_S12_S16_S17_S18_S1B_S1C_jS1D_jS1E_S1E_jjS1G_bEUljE0_EEESZ_S10_S11_S18_S1C_S1E_T6_T7_T9_mT8_S1G_bDpT10_ENKUlT_T0_E_clISt17integral_constantIbLb1EES1U_EEDaS1P_S1Q_EUlS1P_E_NS1_11comp_targetILNS1_3genE4ELNS1_11target_archE910ELNS1_3gpuE8ELNS1_3repE0EEENS1_30default_config_static_selectorELNS0_4arch9wavefront6targetE0EEEvS12_,@function
_ZN7rocprim17ROCPRIM_400000_NS6detail17trampoline_kernelINS0_13select_configILj256ELj13ELNS0_17block_load_methodE3ELS4_3ELS4_3ELNS0_20block_scan_algorithmE0ELj4294967295EEENS1_25partition_config_selectorILNS1_17partition_subalgoE4EjNS0_10empty_typeEbEEZZNS1_14partition_implILS8_4ELb0ES6_15HIP_vector_typeIjLj2EENS0_17counting_iteratorIjlEEPS9_SG_NS0_5tupleIJPjSI_NS0_16reverse_iteratorISI_EEEEENSH_IJSG_SG_SG_EEES9_SI_JZNS1_25segmented_radix_sort_implINS0_14default_configELb0EPKiPiPKlPlN2at6native12_GLOBAL__N_18offset_tEEE10hipError_tPvRmT1_PNSt15iterator_traitsIS12_E10value_typeET2_T3_PNS13_IS18_E10value_typeET4_jRbjT5_S1E_jjP12ihipStream_tbEUljE_ZNSN_ISO_Lb0ESQ_SR_ST_SU_SY_EESZ_S10_S11_S12_S16_S17_S18_S1B_S1C_jS1D_jS1E_S1E_jjS1G_bEUljE0_EEESZ_S10_S11_S18_S1C_S1E_T6_T7_T9_mT8_S1G_bDpT10_ENKUlT_T0_E_clISt17integral_constantIbLb1EES1U_EEDaS1P_S1Q_EUlS1P_E_NS1_11comp_targetILNS1_3genE4ELNS1_11target_archE910ELNS1_3gpuE8ELNS1_3repE0EEENS1_30default_config_static_selectorELNS0_4arch9wavefront6targetE0EEEvS12_: ; @_ZN7rocprim17ROCPRIM_400000_NS6detail17trampoline_kernelINS0_13select_configILj256ELj13ELNS0_17block_load_methodE3ELS4_3ELS4_3ELNS0_20block_scan_algorithmE0ELj4294967295EEENS1_25partition_config_selectorILNS1_17partition_subalgoE4EjNS0_10empty_typeEbEEZZNS1_14partition_implILS8_4ELb0ES6_15HIP_vector_typeIjLj2EENS0_17counting_iteratorIjlEEPS9_SG_NS0_5tupleIJPjSI_NS0_16reverse_iteratorISI_EEEEENSH_IJSG_SG_SG_EEES9_SI_JZNS1_25segmented_radix_sort_implINS0_14default_configELb0EPKiPiPKlPlN2at6native12_GLOBAL__N_18offset_tEEE10hipError_tPvRmT1_PNSt15iterator_traitsIS12_E10value_typeET2_T3_PNS13_IS18_E10value_typeET4_jRbjT5_S1E_jjP12ihipStream_tbEUljE_ZNSN_ISO_Lb0ESQ_SR_ST_SU_SY_EESZ_S10_S11_S12_S16_S17_S18_S1B_S1C_jS1D_jS1E_S1E_jjS1G_bEUljE0_EEESZ_S10_S11_S18_S1C_S1E_T6_T7_T9_mT8_S1G_bDpT10_ENKUlT_T0_E_clISt17integral_constantIbLb1EES1U_EEDaS1P_S1Q_EUlS1P_E_NS1_11comp_targetILNS1_3genE4ELNS1_11target_archE910ELNS1_3gpuE8ELNS1_3repE0EEENS1_30default_config_static_selectorELNS0_4arch9wavefront6targetE0EEEvS12_
; %bb.0:
	.section	.rodata,"a",@progbits
	.p2align	6, 0x0
	.amdhsa_kernel _ZN7rocprim17ROCPRIM_400000_NS6detail17trampoline_kernelINS0_13select_configILj256ELj13ELNS0_17block_load_methodE3ELS4_3ELS4_3ELNS0_20block_scan_algorithmE0ELj4294967295EEENS1_25partition_config_selectorILNS1_17partition_subalgoE4EjNS0_10empty_typeEbEEZZNS1_14partition_implILS8_4ELb0ES6_15HIP_vector_typeIjLj2EENS0_17counting_iteratorIjlEEPS9_SG_NS0_5tupleIJPjSI_NS0_16reverse_iteratorISI_EEEEENSH_IJSG_SG_SG_EEES9_SI_JZNS1_25segmented_radix_sort_implINS0_14default_configELb0EPKiPiPKlPlN2at6native12_GLOBAL__N_18offset_tEEE10hipError_tPvRmT1_PNSt15iterator_traitsIS12_E10value_typeET2_T3_PNS13_IS18_E10value_typeET4_jRbjT5_S1E_jjP12ihipStream_tbEUljE_ZNSN_ISO_Lb0ESQ_SR_ST_SU_SY_EESZ_S10_S11_S12_S16_S17_S18_S1B_S1C_jS1D_jS1E_S1E_jjS1G_bEUljE0_EEESZ_S10_S11_S18_S1C_S1E_T6_T7_T9_mT8_S1G_bDpT10_ENKUlT_T0_E_clISt17integral_constantIbLb1EES1U_EEDaS1P_S1Q_EUlS1P_E_NS1_11comp_targetILNS1_3genE4ELNS1_11target_archE910ELNS1_3gpuE8ELNS1_3repE0EEENS1_30default_config_static_selectorELNS0_4arch9wavefront6targetE0EEEvS12_
		.amdhsa_group_segment_fixed_size 0
		.amdhsa_private_segment_fixed_size 0
		.amdhsa_kernarg_size 184
		.amdhsa_user_sgpr_count 6
		.amdhsa_user_sgpr_private_segment_buffer 1
		.amdhsa_user_sgpr_dispatch_ptr 0
		.amdhsa_user_sgpr_queue_ptr 0
		.amdhsa_user_sgpr_kernarg_segment_ptr 1
		.amdhsa_user_sgpr_dispatch_id 0
		.amdhsa_user_sgpr_flat_scratch_init 0
		.amdhsa_user_sgpr_private_segment_size 0
		.amdhsa_wavefront_size32 1
		.amdhsa_uses_dynamic_stack 0
		.amdhsa_system_sgpr_private_segment_wavefront_offset 0
		.amdhsa_system_sgpr_workgroup_id_x 1
		.amdhsa_system_sgpr_workgroup_id_y 0
		.amdhsa_system_sgpr_workgroup_id_z 0
		.amdhsa_system_sgpr_workgroup_info 0
		.amdhsa_system_vgpr_workitem_id 0
		.amdhsa_next_free_vgpr 1
		.amdhsa_next_free_sgpr 1
		.amdhsa_reserve_vcc 0
		.amdhsa_reserve_flat_scratch 0
		.amdhsa_float_round_mode_32 0
		.amdhsa_float_round_mode_16_64 0
		.amdhsa_float_denorm_mode_32 3
		.amdhsa_float_denorm_mode_16_64 3
		.amdhsa_dx10_clamp 1
		.amdhsa_ieee_mode 1
		.amdhsa_fp16_overflow 0
		.amdhsa_workgroup_processor_mode 1
		.amdhsa_memory_ordered 1
		.amdhsa_forward_progress 1
		.amdhsa_shared_vgpr_count 0
		.amdhsa_exception_fp_ieee_invalid_op 0
		.amdhsa_exception_fp_denorm_src 0
		.amdhsa_exception_fp_ieee_div_zero 0
		.amdhsa_exception_fp_ieee_overflow 0
		.amdhsa_exception_fp_ieee_underflow 0
		.amdhsa_exception_fp_ieee_inexact 0
		.amdhsa_exception_int_div_zero 0
	.end_amdhsa_kernel
	.section	.text._ZN7rocprim17ROCPRIM_400000_NS6detail17trampoline_kernelINS0_13select_configILj256ELj13ELNS0_17block_load_methodE3ELS4_3ELS4_3ELNS0_20block_scan_algorithmE0ELj4294967295EEENS1_25partition_config_selectorILNS1_17partition_subalgoE4EjNS0_10empty_typeEbEEZZNS1_14partition_implILS8_4ELb0ES6_15HIP_vector_typeIjLj2EENS0_17counting_iteratorIjlEEPS9_SG_NS0_5tupleIJPjSI_NS0_16reverse_iteratorISI_EEEEENSH_IJSG_SG_SG_EEES9_SI_JZNS1_25segmented_radix_sort_implINS0_14default_configELb0EPKiPiPKlPlN2at6native12_GLOBAL__N_18offset_tEEE10hipError_tPvRmT1_PNSt15iterator_traitsIS12_E10value_typeET2_T3_PNS13_IS18_E10value_typeET4_jRbjT5_S1E_jjP12ihipStream_tbEUljE_ZNSN_ISO_Lb0ESQ_SR_ST_SU_SY_EESZ_S10_S11_S12_S16_S17_S18_S1B_S1C_jS1D_jS1E_S1E_jjS1G_bEUljE0_EEESZ_S10_S11_S18_S1C_S1E_T6_T7_T9_mT8_S1G_bDpT10_ENKUlT_T0_E_clISt17integral_constantIbLb1EES1U_EEDaS1P_S1Q_EUlS1P_E_NS1_11comp_targetILNS1_3genE4ELNS1_11target_archE910ELNS1_3gpuE8ELNS1_3repE0EEENS1_30default_config_static_selectorELNS0_4arch9wavefront6targetE0EEEvS12_,"axG",@progbits,_ZN7rocprim17ROCPRIM_400000_NS6detail17trampoline_kernelINS0_13select_configILj256ELj13ELNS0_17block_load_methodE3ELS4_3ELS4_3ELNS0_20block_scan_algorithmE0ELj4294967295EEENS1_25partition_config_selectorILNS1_17partition_subalgoE4EjNS0_10empty_typeEbEEZZNS1_14partition_implILS8_4ELb0ES6_15HIP_vector_typeIjLj2EENS0_17counting_iteratorIjlEEPS9_SG_NS0_5tupleIJPjSI_NS0_16reverse_iteratorISI_EEEEENSH_IJSG_SG_SG_EEES9_SI_JZNS1_25segmented_radix_sort_implINS0_14default_configELb0EPKiPiPKlPlN2at6native12_GLOBAL__N_18offset_tEEE10hipError_tPvRmT1_PNSt15iterator_traitsIS12_E10value_typeET2_T3_PNS13_IS18_E10value_typeET4_jRbjT5_S1E_jjP12ihipStream_tbEUljE_ZNSN_ISO_Lb0ESQ_SR_ST_SU_SY_EESZ_S10_S11_S12_S16_S17_S18_S1B_S1C_jS1D_jS1E_S1E_jjS1G_bEUljE0_EEESZ_S10_S11_S18_S1C_S1E_T6_T7_T9_mT8_S1G_bDpT10_ENKUlT_T0_E_clISt17integral_constantIbLb1EES1U_EEDaS1P_S1Q_EUlS1P_E_NS1_11comp_targetILNS1_3genE4ELNS1_11target_archE910ELNS1_3gpuE8ELNS1_3repE0EEENS1_30default_config_static_selectorELNS0_4arch9wavefront6targetE0EEEvS12_,comdat
.Lfunc_end541:
	.size	_ZN7rocprim17ROCPRIM_400000_NS6detail17trampoline_kernelINS0_13select_configILj256ELj13ELNS0_17block_load_methodE3ELS4_3ELS4_3ELNS0_20block_scan_algorithmE0ELj4294967295EEENS1_25partition_config_selectorILNS1_17partition_subalgoE4EjNS0_10empty_typeEbEEZZNS1_14partition_implILS8_4ELb0ES6_15HIP_vector_typeIjLj2EENS0_17counting_iteratorIjlEEPS9_SG_NS0_5tupleIJPjSI_NS0_16reverse_iteratorISI_EEEEENSH_IJSG_SG_SG_EEES9_SI_JZNS1_25segmented_radix_sort_implINS0_14default_configELb0EPKiPiPKlPlN2at6native12_GLOBAL__N_18offset_tEEE10hipError_tPvRmT1_PNSt15iterator_traitsIS12_E10value_typeET2_T3_PNS13_IS18_E10value_typeET4_jRbjT5_S1E_jjP12ihipStream_tbEUljE_ZNSN_ISO_Lb0ESQ_SR_ST_SU_SY_EESZ_S10_S11_S12_S16_S17_S18_S1B_S1C_jS1D_jS1E_S1E_jjS1G_bEUljE0_EEESZ_S10_S11_S18_S1C_S1E_T6_T7_T9_mT8_S1G_bDpT10_ENKUlT_T0_E_clISt17integral_constantIbLb1EES1U_EEDaS1P_S1Q_EUlS1P_E_NS1_11comp_targetILNS1_3genE4ELNS1_11target_archE910ELNS1_3gpuE8ELNS1_3repE0EEENS1_30default_config_static_selectorELNS0_4arch9wavefront6targetE0EEEvS12_, .Lfunc_end541-_ZN7rocprim17ROCPRIM_400000_NS6detail17trampoline_kernelINS0_13select_configILj256ELj13ELNS0_17block_load_methodE3ELS4_3ELS4_3ELNS0_20block_scan_algorithmE0ELj4294967295EEENS1_25partition_config_selectorILNS1_17partition_subalgoE4EjNS0_10empty_typeEbEEZZNS1_14partition_implILS8_4ELb0ES6_15HIP_vector_typeIjLj2EENS0_17counting_iteratorIjlEEPS9_SG_NS0_5tupleIJPjSI_NS0_16reverse_iteratorISI_EEEEENSH_IJSG_SG_SG_EEES9_SI_JZNS1_25segmented_radix_sort_implINS0_14default_configELb0EPKiPiPKlPlN2at6native12_GLOBAL__N_18offset_tEEE10hipError_tPvRmT1_PNSt15iterator_traitsIS12_E10value_typeET2_T3_PNS13_IS18_E10value_typeET4_jRbjT5_S1E_jjP12ihipStream_tbEUljE_ZNSN_ISO_Lb0ESQ_SR_ST_SU_SY_EESZ_S10_S11_S12_S16_S17_S18_S1B_S1C_jS1D_jS1E_S1E_jjS1G_bEUljE0_EEESZ_S10_S11_S18_S1C_S1E_T6_T7_T9_mT8_S1G_bDpT10_ENKUlT_T0_E_clISt17integral_constantIbLb1EES1U_EEDaS1P_S1Q_EUlS1P_E_NS1_11comp_targetILNS1_3genE4ELNS1_11target_archE910ELNS1_3gpuE8ELNS1_3repE0EEENS1_30default_config_static_selectorELNS0_4arch9wavefront6targetE0EEEvS12_
                                        ; -- End function
	.set _ZN7rocprim17ROCPRIM_400000_NS6detail17trampoline_kernelINS0_13select_configILj256ELj13ELNS0_17block_load_methodE3ELS4_3ELS4_3ELNS0_20block_scan_algorithmE0ELj4294967295EEENS1_25partition_config_selectorILNS1_17partition_subalgoE4EjNS0_10empty_typeEbEEZZNS1_14partition_implILS8_4ELb0ES6_15HIP_vector_typeIjLj2EENS0_17counting_iteratorIjlEEPS9_SG_NS0_5tupleIJPjSI_NS0_16reverse_iteratorISI_EEEEENSH_IJSG_SG_SG_EEES9_SI_JZNS1_25segmented_radix_sort_implINS0_14default_configELb0EPKiPiPKlPlN2at6native12_GLOBAL__N_18offset_tEEE10hipError_tPvRmT1_PNSt15iterator_traitsIS12_E10value_typeET2_T3_PNS13_IS18_E10value_typeET4_jRbjT5_S1E_jjP12ihipStream_tbEUljE_ZNSN_ISO_Lb0ESQ_SR_ST_SU_SY_EESZ_S10_S11_S12_S16_S17_S18_S1B_S1C_jS1D_jS1E_S1E_jjS1G_bEUljE0_EEESZ_S10_S11_S18_S1C_S1E_T6_T7_T9_mT8_S1G_bDpT10_ENKUlT_T0_E_clISt17integral_constantIbLb1EES1U_EEDaS1P_S1Q_EUlS1P_E_NS1_11comp_targetILNS1_3genE4ELNS1_11target_archE910ELNS1_3gpuE8ELNS1_3repE0EEENS1_30default_config_static_selectorELNS0_4arch9wavefront6targetE0EEEvS12_.num_vgpr, 0
	.set _ZN7rocprim17ROCPRIM_400000_NS6detail17trampoline_kernelINS0_13select_configILj256ELj13ELNS0_17block_load_methodE3ELS4_3ELS4_3ELNS0_20block_scan_algorithmE0ELj4294967295EEENS1_25partition_config_selectorILNS1_17partition_subalgoE4EjNS0_10empty_typeEbEEZZNS1_14partition_implILS8_4ELb0ES6_15HIP_vector_typeIjLj2EENS0_17counting_iteratorIjlEEPS9_SG_NS0_5tupleIJPjSI_NS0_16reverse_iteratorISI_EEEEENSH_IJSG_SG_SG_EEES9_SI_JZNS1_25segmented_radix_sort_implINS0_14default_configELb0EPKiPiPKlPlN2at6native12_GLOBAL__N_18offset_tEEE10hipError_tPvRmT1_PNSt15iterator_traitsIS12_E10value_typeET2_T3_PNS13_IS18_E10value_typeET4_jRbjT5_S1E_jjP12ihipStream_tbEUljE_ZNSN_ISO_Lb0ESQ_SR_ST_SU_SY_EESZ_S10_S11_S12_S16_S17_S18_S1B_S1C_jS1D_jS1E_S1E_jjS1G_bEUljE0_EEESZ_S10_S11_S18_S1C_S1E_T6_T7_T9_mT8_S1G_bDpT10_ENKUlT_T0_E_clISt17integral_constantIbLb1EES1U_EEDaS1P_S1Q_EUlS1P_E_NS1_11comp_targetILNS1_3genE4ELNS1_11target_archE910ELNS1_3gpuE8ELNS1_3repE0EEENS1_30default_config_static_selectorELNS0_4arch9wavefront6targetE0EEEvS12_.num_agpr, 0
	.set _ZN7rocprim17ROCPRIM_400000_NS6detail17trampoline_kernelINS0_13select_configILj256ELj13ELNS0_17block_load_methodE3ELS4_3ELS4_3ELNS0_20block_scan_algorithmE0ELj4294967295EEENS1_25partition_config_selectorILNS1_17partition_subalgoE4EjNS0_10empty_typeEbEEZZNS1_14partition_implILS8_4ELb0ES6_15HIP_vector_typeIjLj2EENS0_17counting_iteratorIjlEEPS9_SG_NS0_5tupleIJPjSI_NS0_16reverse_iteratorISI_EEEEENSH_IJSG_SG_SG_EEES9_SI_JZNS1_25segmented_radix_sort_implINS0_14default_configELb0EPKiPiPKlPlN2at6native12_GLOBAL__N_18offset_tEEE10hipError_tPvRmT1_PNSt15iterator_traitsIS12_E10value_typeET2_T3_PNS13_IS18_E10value_typeET4_jRbjT5_S1E_jjP12ihipStream_tbEUljE_ZNSN_ISO_Lb0ESQ_SR_ST_SU_SY_EESZ_S10_S11_S12_S16_S17_S18_S1B_S1C_jS1D_jS1E_S1E_jjS1G_bEUljE0_EEESZ_S10_S11_S18_S1C_S1E_T6_T7_T9_mT8_S1G_bDpT10_ENKUlT_T0_E_clISt17integral_constantIbLb1EES1U_EEDaS1P_S1Q_EUlS1P_E_NS1_11comp_targetILNS1_3genE4ELNS1_11target_archE910ELNS1_3gpuE8ELNS1_3repE0EEENS1_30default_config_static_selectorELNS0_4arch9wavefront6targetE0EEEvS12_.numbered_sgpr, 0
	.set _ZN7rocprim17ROCPRIM_400000_NS6detail17trampoline_kernelINS0_13select_configILj256ELj13ELNS0_17block_load_methodE3ELS4_3ELS4_3ELNS0_20block_scan_algorithmE0ELj4294967295EEENS1_25partition_config_selectorILNS1_17partition_subalgoE4EjNS0_10empty_typeEbEEZZNS1_14partition_implILS8_4ELb0ES6_15HIP_vector_typeIjLj2EENS0_17counting_iteratorIjlEEPS9_SG_NS0_5tupleIJPjSI_NS0_16reverse_iteratorISI_EEEEENSH_IJSG_SG_SG_EEES9_SI_JZNS1_25segmented_radix_sort_implINS0_14default_configELb0EPKiPiPKlPlN2at6native12_GLOBAL__N_18offset_tEEE10hipError_tPvRmT1_PNSt15iterator_traitsIS12_E10value_typeET2_T3_PNS13_IS18_E10value_typeET4_jRbjT5_S1E_jjP12ihipStream_tbEUljE_ZNSN_ISO_Lb0ESQ_SR_ST_SU_SY_EESZ_S10_S11_S12_S16_S17_S18_S1B_S1C_jS1D_jS1E_S1E_jjS1G_bEUljE0_EEESZ_S10_S11_S18_S1C_S1E_T6_T7_T9_mT8_S1G_bDpT10_ENKUlT_T0_E_clISt17integral_constantIbLb1EES1U_EEDaS1P_S1Q_EUlS1P_E_NS1_11comp_targetILNS1_3genE4ELNS1_11target_archE910ELNS1_3gpuE8ELNS1_3repE0EEENS1_30default_config_static_selectorELNS0_4arch9wavefront6targetE0EEEvS12_.num_named_barrier, 0
	.set _ZN7rocprim17ROCPRIM_400000_NS6detail17trampoline_kernelINS0_13select_configILj256ELj13ELNS0_17block_load_methodE3ELS4_3ELS4_3ELNS0_20block_scan_algorithmE0ELj4294967295EEENS1_25partition_config_selectorILNS1_17partition_subalgoE4EjNS0_10empty_typeEbEEZZNS1_14partition_implILS8_4ELb0ES6_15HIP_vector_typeIjLj2EENS0_17counting_iteratorIjlEEPS9_SG_NS0_5tupleIJPjSI_NS0_16reverse_iteratorISI_EEEEENSH_IJSG_SG_SG_EEES9_SI_JZNS1_25segmented_radix_sort_implINS0_14default_configELb0EPKiPiPKlPlN2at6native12_GLOBAL__N_18offset_tEEE10hipError_tPvRmT1_PNSt15iterator_traitsIS12_E10value_typeET2_T3_PNS13_IS18_E10value_typeET4_jRbjT5_S1E_jjP12ihipStream_tbEUljE_ZNSN_ISO_Lb0ESQ_SR_ST_SU_SY_EESZ_S10_S11_S12_S16_S17_S18_S1B_S1C_jS1D_jS1E_S1E_jjS1G_bEUljE0_EEESZ_S10_S11_S18_S1C_S1E_T6_T7_T9_mT8_S1G_bDpT10_ENKUlT_T0_E_clISt17integral_constantIbLb1EES1U_EEDaS1P_S1Q_EUlS1P_E_NS1_11comp_targetILNS1_3genE4ELNS1_11target_archE910ELNS1_3gpuE8ELNS1_3repE0EEENS1_30default_config_static_selectorELNS0_4arch9wavefront6targetE0EEEvS12_.private_seg_size, 0
	.set _ZN7rocprim17ROCPRIM_400000_NS6detail17trampoline_kernelINS0_13select_configILj256ELj13ELNS0_17block_load_methodE3ELS4_3ELS4_3ELNS0_20block_scan_algorithmE0ELj4294967295EEENS1_25partition_config_selectorILNS1_17partition_subalgoE4EjNS0_10empty_typeEbEEZZNS1_14partition_implILS8_4ELb0ES6_15HIP_vector_typeIjLj2EENS0_17counting_iteratorIjlEEPS9_SG_NS0_5tupleIJPjSI_NS0_16reverse_iteratorISI_EEEEENSH_IJSG_SG_SG_EEES9_SI_JZNS1_25segmented_radix_sort_implINS0_14default_configELb0EPKiPiPKlPlN2at6native12_GLOBAL__N_18offset_tEEE10hipError_tPvRmT1_PNSt15iterator_traitsIS12_E10value_typeET2_T3_PNS13_IS18_E10value_typeET4_jRbjT5_S1E_jjP12ihipStream_tbEUljE_ZNSN_ISO_Lb0ESQ_SR_ST_SU_SY_EESZ_S10_S11_S12_S16_S17_S18_S1B_S1C_jS1D_jS1E_S1E_jjS1G_bEUljE0_EEESZ_S10_S11_S18_S1C_S1E_T6_T7_T9_mT8_S1G_bDpT10_ENKUlT_T0_E_clISt17integral_constantIbLb1EES1U_EEDaS1P_S1Q_EUlS1P_E_NS1_11comp_targetILNS1_3genE4ELNS1_11target_archE910ELNS1_3gpuE8ELNS1_3repE0EEENS1_30default_config_static_selectorELNS0_4arch9wavefront6targetE0EEEvS12_.uses_vcc, 0
	.set _ZN7rocprim17ROCPRIM_400000_NS6detail17trampoline_kernelINS0_13select_configILj256ELj13ELNS0_17block_load_methodE3ELS4_3ELS4_3ELNS0_20block_scan_algorithmE0ELj4294967295EEENS1_25partition_config_selectorILNS1_17partition_subalgoE4EjNS0_10empty_typeEbEEZZNS1_14partition_implILS8_4ELb0ES6_15HIP_vector_typeIjLj2EENS0_17counting_iteratorIjlEEPS9_SG_NS0_5tupleIJPjSI_NS0_16reverse_iteratorISI_EEEEENSH_IJSG_SG_SG_EEES9_SI_JZNS1_25segmented_radix_sort_implINS0_14default_configELb0EPKiPiPKlPlN2at6native12_GLOBAL__N_18offset_tEEE10hipError_tPvRmT1_PNSt15iterator_traitsIS12_E10value_typeET2_T3_PNS13_IS18_E10value_typeET4_jRbjT5_S1E_jjP12ihipStream_tbEUljE_ZNSN_ISO_Lb0ESQ_SR_ST_SU_SY_EESZ_S10_S11_S12_S16_S17_S18_S1B_S1C_jS1D_jS1E_S1E_jjS1G_bEUljE0_EEESZ_S10_S11_S18_S1C_S1E_T6_T7_T9_mT8_S1G_bDpT10_ENKUlT_T0_E_clISt17integral_constantIbLb1EES1U_EEDaS1P_S1Q_EUlS1P_E_NS1_11comp_targetILNS1_3genE4ELNS1_11target_archE910ELNS1_3gpuE8ELNS1_3repE0EEENS1_30default_config_static_selectorELNS0_4arch9wavefront6targetE0EEEvS12_.uses_flat_scratch, 0
	.set _ZN7rocprim17ROCPRIM_400000_NS6detail17trampoline_kernelINS0_13select_configILj256ELj13ELNS0_17block_load_methodE3ELS4_3ELS4_3ELNS0_20block_scan_algorithmE0ELj4294967295EEENS1_25partition_config_selectorILNS1_17partition_subalgoE4EjNS0_10empty_typeEbEEZZNS1_14partition_implILS8_4ELb0ES6_15HIP_vector_typeIjLj2EENS0_17counting_iteratorIjlEEPS9_SG_NS0_5tupleIJPjSI_NS0_16reverse_iteratorISI_EEEEENSH_IJSG_SG_SG_EEES9_SI_JZNS1_25segmented_radix_sort_implINS0_14default_configELb0EPKiPiPKlPlN2at6native12_GLOBAL__N_18offset_tEEE10hipError_tPvRmT1_PNSt15iterator_traitsIS12_E10value_typeET2_T3_PNS13_IS18_E10value_typeET4_jRbjT5_S1E_jjP12ihipStream_tbEUljE_ZNSN_ISO_Lb0ESQ_SR_ST_SU_SY_EESZ_S10_S11_S12_S16_S17_S18_S1B_S1C_jS1D_jS1E_S1E_jjS1G_bEUljE0_EEESZ_S10_S11_S18_S1C_S1E_T6_T7_T9_mT8_S1G_bDpT10_ENKUlT_T0_E_clISt17integral_constantIbLb1EES1U_EEDaS1P_S1Q_EUlS1P_E_NS1_11comp_targetILNS1_3genE4ELNS1_11target_archE910ELNS1_3gpuE8ELNS1_3repE0EEENS1_30default_config_static_selectorELNS0_4arch9wavefront6targetE0EEEvS12_.has_dyn_sized_stack, 0
	.set _ZN7rocprim17ROCPRIM_400000_NS6detail17trampoline_kernelINS0_13select_configILj256ELj13ELNS0_17block_load_methodE3ELS4_3ELS4_3ELNS0_20block_scan_algorithmE0ELj4294967295EEENS1_25partition_config_selectorILNS1_17partition_subalgoE4EjNS0_10empty_typeEbEEZZNS1_14partition_implILS8_4ELb0ES6_15HIP_vector_typeIjLj2EENS0_17counting_iteratorIjlEEPS9_SG_NS0_5tupleIJPjSI_NS0_16reverse_iteratorISI_EEEEENSH_IJSG_SG_SG_EEES9_SI_JZNS1_25segmented_radix_sort_implINS0_14default_configELb0EPKiPiPKlPlN2at6native12_GLOBAL__N_18offset_tEEE10hipError_tPvRmT1_PNSt15iterator_traitsIS12_E10value_typeET2_T3_PNS13_IS18_E10value_typeET4_jRbjT5_S1E_jjP12ihipStream_tbEUljE_ZNSN_ISO_Lb0ESQ_SR_ST_SU_SY_EESZ_S10_S11_S12_S16_S17_S18_S1B_S1C_jS1D_jS1E_S1E_jjS1G_bEUljE0_EEESZ_S10_S11_S18_S1C_S1E_T6_T7_T9_mT8_S1G_bDpT10_ENKUlT_T0_E_clISt17integral_constantIbLb1EES1U_EEDaS1P_S1Q_EUlS1P_E_NS1_11comp_targetILNS1_3genE4ELNS1_11target_archE910ELNS1_3gpuE8ELNS1_3repE0EEENS1_30default_config_static_selectorELNS0_4arch9wavefront6targetE0EEEvS12_.has_recursion, 0
	.set _ZN7rocprim17ROCPRIM_400000_NS6detail17trampoline_kernelINS0_13select_configILj256ELj13ELNS0_17block_load_methodE3ELS4_3ELS4_3ELNS0_20block_scan_algorithmE0ELj4294967295EEENS1_25partition_config_selectorILNS1_17partition_subalgoE4EjNS0_10empty_typeEbEEZZNS1_14partition_implILS8_4ELb0ES6_15HIP_vector_typeIjLj2EENS0_17counting_iteratorIjlEEPS9_SG_NS0_5tupleIJPjSI_NS0_16reverse_iteratorISI_EEEEENSH_IJSG_SG_SG_EEES9_SI_JZNS1_25segmented_radix_sort_implINS0_14default_configELb0EPKiPiPKlPlN2at6native12_GLOBAL__N_18offset_tEEE10hipError_tPvRmT1_PNSt15iterator_traitsIS12_E10value_typeET2_T3_PNS13_IS18_E10value_typeET4_jRbjT5_S1E_jjP12ihipStream_tbEUljE_ZNSN_ISO_Lb0ESQ_SR_ST_SU_SY_EESZ_S10_S11_S12_S16_S17_S18_S1B_S1C_jS1D_jS1E_S1E_jjS1G_bEUljE0_EEESZ_S10_S11_S18_S1C_S1E_T6_T7_T9_mT8_S1G_bDpT10_ENKUlT_T0_E_clISt17integral_constantIbLb1EES1U_EEDaS1P_S1Q_EUlS1P_E_NS1_11comp_targetILNS1_3genE4ELNS1_11target_archE910ELNS1_3gpuE8ELNS1_3repE0EEENS1_30default_config_static_selectorELNS0_4arch9wavefront6targetE0EEEvS12_.has_indirect_call, 0
	.section	.AMDGPU.csdata,"",@progbits
; Kernel info:
; codeLenInByte = 0
; TotalNumSgprs: 0
; NumVgprs: 0
; ScratchSize: 0
; MemoryBound: 0
; FloatMode: 240
; IeeeMode: 1
; LDSByteSize: 0 bytes/workgroup (compile time only)
; SGPRBlocks: 0
; VGPRBlocks: 0
; NumSGPRsForWavesPerEU: 1
; NumVGPRsForWavesPerEU: 1
; Occupancy: 16
; WaveLimiterHint : 0
; COMPUTE_PGM_RSRC2:SCRATCH_EN: 0
; COMPUTE_PGM_RSRC2:USER_SGPR: 6
; COMPUTE_PGM_RSRC2:TRAP_HANDLER: 0
; COMPUTE_PGM_RSRC2:TGID_X_EN: 1
; COMPUTE_PGM_RSRC2:TGID_Y_EN: 0
; COMPUTE_PGM_RSRC2:TGID_Z_EN: 0
; COMPUTE_PGM_RSRC2:TIDIG_COMP_CNT: 0
	.section	.text._ZN7rocprim17ROCPRIM_400000_NS6detail17trampoline_kernelINS0_13select_configILj256ELj13ELNS0_17block_load_methodE3ELS4_3ELS4_3ELNS0_20block_scan_algorithmE0ELj4294967295EEENS1_25partition_config_selectorILNS1_17partition_subalgoE4EjNS0_10empty_typeEbEEZZNS1_14partition_implILS8_4ELb0ES6_15HIP_vector_typeIjLj2EENS0_17counting_iteratorIjlEEPS9_SG_NS0_5tupleIJPjSI_NS0_16reverse_iteratorISI_EEEEENSH_IJSG_SG_SG_EEES9_SI_JZNS1_25segmented_radix_sort_implINS0_14default_configELb0EPKiPiPKlPlN2at6native12_GLOBAL__N_18offset_tEEE10hipError_tPvRmT1_PNSt15iterator_traitsIS12_E10value_typeET2_T3_PNS13_IS18_E10value_typeET4_jRbjT5_S1E_jjP12ihipStream_tbEUljE_ZNSN_ISO_Lb0ESQ_SR_ST_SU_SY_EESZ_S10_S11_S12_S16_S17_S18_S1B_S1C_jS1D_jS1E_S1E_jjS1G_bEUljE0_EEESZ_S10_S11_S18_S1C_S1E_T6_T7_T9_mT8_S1G_bDpT10_ENKUlT_T0_E_clISt17integral_constantIbLb1EES1U_EEDaS1P_S1Q_EUlS1P_E_NS1_11comp_targetILNS1_3genE3ELNS1_11target_archE908ELNS1_3gpuE7ELNS1_3repE0EEENS1_30default_config_static_selectorELNS0_4arch9wavefront6targetE0EEEvS12_,"axG",@progbits,_ZN7rocprim17ROCPRIM_400000_NS6detail17trampoline_kernelINS0_13select_configILj256ELj13ELNS0_17block_load_methodE3ELS4_3ELS4_3ELNS0_20block_scan_algorithmE0ELj4294967295EEENS1_25partition_config_selectorILNS1_17partition_subalgoE4EjNS0_10empty_typeEbEEZZNS1_14partition_implILS8_4ELb0ES6_15HIP_vector_typeIjLj2EENS0_17counting_iteratorIjlEEPS9_SG_NS0_5tupleIJPjSI_NS0_16reverse_iteratorISI_EEEEENSH_IJSG_SG_SG_EEES9_SI_JZNS1_25segmented_radix_sort_implINS0_14default_configELb0EPKiPiPKlPlN2at6native12_GLOBAL__N_18offset_tEEE10hipError_tPvRmT1_PNSt15iterator_traitsIS12_E10value_typeET2_T3_PNS13_IS18_E10value_typeET4_jRbjT5_S1E_jjP12ihipStream_tbEUljE_ZNSN_ISO_Lb0ESQ_SR_ST_SU_SY_EESZ_S10_S11_S12_S16_S17_S18_S1B_S1C_jS1D_jS1E_S1E_jjS1G_bEUljE0_EEESZ_S10_S11_S18_S1C_S1E_T6_T7_T9_mT8_S1G_bDpT10_ENKUlT_T0_E_clISt17integral_constantIbLb1EES1U_EEDaS1P_S1Q_EUlS1P_E_NS1_11comp_targetILNS1_3genE3ELNS1_11target_archE908ELNS1_3gpuE7ELNS1_3repE0EEENS1_30default_config_static_selectorELNS0_4arch9wavefront6targetE0EEEvS12_,comdat
	.globl	_ZN7rocprim17ROCPRIM_400000_NS6detail17trampoline_kernelINS0_13select_configILj256ELj13ELNS0_17block_load_methodE3ELS4_3ELS4_3ELNS0_20block_scan_algorithmE0ELj4294967295EEENS1_25partition_config_selectorILNS1_17partition_subalgoE4EjNS0_10empty_typeEbEEZZNS1_14partition_implILS8_4ELb0ES6_15HIP_vector_typeIjLj2EENS0_17counting_iteratorIjlEEPS9_SG_NS0_5tupleIJPjSI_NS0_16reverse_iteratorISI_EEEEENSH_IJSG_SG_SG_EEES9_SI_JZNS1_25segmented_radix_sort_implINS0_14default_configELb0EPKiPiPKlPlN2at6native12_GLOBAL__N_18offset_tEEE10hipError_tPvRmT1_PNSt15iterator_traitsIS12_E10value_typeET2_T3_PNS13_IS18_E10value_typeET4_jRbjT5_S1E_jjP12ihipStream_tbEUljE_ZNSN_ISO_Lb0ESQ_SR_ST_SU_SY_EESZ_S10_S11_S12_S16_S17_S18_S1B_S1C_jS1D_jS1E_S1E_jjS1G_bEUljE0_EEESZ_S10_S11_S18_S1C_S1E_T6_T7_T9_mT8_S1G_bDpT10_ENKUlT_T0_E_clISt17integral_constantIbLb1EES1U_EEDaS1P_S1Q_EUlS1P_E_NS1_11comp_targetILNS1_3genE3ELNS1_11target_archE908ELNS1_3gpuE7ELNS1_3repE0EEENS1_30default_config_static_selectorELNS0_4arch9wavefront6targetE0EEEvS12_ ; -- Begin function _ZN7rocprim17ROCPRIM_400000_NS6detail17trampoline_kernelINS0_13select_configILj256ELj13ELNS0_17block_load_methodE3ELS4_3ELS4_3ELNS0_20block_scan_algorithmE0ELj4294967295EEENS1_25partition_config_selectorILNS1_17partition_subalgoE4EjNS0_10empty_typeEbEEZZNS1_14partition_implILS8_4ELb0ES6_15HIP_vector_typeIjLj2EENS0_17counting_iteratorIjlEEPS9_SG_NS0_5tupleIJPjSI_NS0_16reverse_iteratorISI_EEEEENSH_IJSG_SG_SG_EEES9_SI_JZNS1_25segmented_radix_sort_implINS0_14default_configELb0EPKiPiPKlPlN2at6native12_GLOBAL__N_18offset_tEEE10hipError_tPvRmT1_PNSt15iterator_traitsIS12_E10value_typeET2_T3_PNS13_IS18_E10value_typeET4_jRbjT5_S1E_jjP12ihipStream_tbEUljE_ZNSN_ISO_Lb0ESQ_SR_ST_SU_SY_EESZ_S10_S11_S12_S16_S17_S18_S1B_S1C_jS1D_jS1E_S1E_jjS1G_bEUljE0_EEESZ_S10_S11_S18_S1C_S1E_T6_T7_T9_mT8_S1G_bDpT10_ENKUlT_T0_E_clISt17integral_constantIbLb1EES1U_EEDaS1P_S1Q_EUlS1P_E_NS1_11comp_targetILNS1_3genE3ELNS1_11target_archE908ELNS1_3gpuE7ELNS1_3repE0EEENS1_30default_config_static_selectorELNS0_4arch9wavefront6targetE0EEEvS12_
	.p2align	8
	.type	_ZN7rocprim17ROCPRIM_400000_NS6detail17trampoline_kernelINS0_13select_configILj256ELj13ELNS0_17block_load_methodE3ELS4_3ELS4_3ELNS0_20block_scan_algorithmE0ELj4294967295EEENS1_25partition_config_selectorILNS1_17partition_subalgoE4EjNS0_10empty_typeEbEEZZNS1_14partition_implILS8_4ELb0ES6_15HIP_vector_typeIjLj2EENS0_17counting_iteratorIjlEEPS9_SG_NS0_5tupleIJPjSI_NS0_16reverse_iteratorISI_EEEEENSH_IJSG_SG_SG_EEES9_SI_JZNS1_25segmented_radix_sort_implINS0_14default_configELb0EPKiPiPKlPlN2at6native12_GLOBAL__N_18offset_tEEE10hipError_tPvRmT1_PNSt15iterator_traitsIS12_E10value_typeET2_T3_PNS13_IS18_E10value_typeET4_jRbjT5_S1E_jjP12ihipStream_tbEUljE_ZNSN_ISO_Lb0ESQ_SR_ST_SU_SY_EESZ_S10_S11_S12_S16_S17_S18_S1B_S1C_jS1D_jS1E_S1E_jjS1G_bEUljE0_EEESZ_S10_S11_S18_S1C_S1E_T6_T7_T9_mT8_S1G_bDpT10_ENKUlT_T0_E_clISt17integral_constantIbLb1EES1U_EEDaS1P_S1Q_EUlS1P_E_NS1_11comp_targetILNS1_3genE3ELNS1_11target_archE908ELNS1_3gpuE7ELNS1_3repE0EEENS1_30default_config_static_selectorELNS0_4arch9wavefront6targetE0EEEvS12_,@function
_ZN7rocprim17ROCPRIM_400000_NS6detail17trampoline_kernelINS0_13select_configILj256ELj13ELNS0_17block_load_methodE3ELS4_3ELS4_3ELNS0_20block_scan_algorithmE0ELj4294967295EEENS1_25partition_config_selectorILNS1_17partition_subalgoE4EjNS0_10empty_typeEbEEZZNS1_14partition_implILS8_4ELb0ES6_15HIP_vector_typeIjLj2EENS0_17counting_iteratorIjlEEPS9_SG_NS0_5tupleIJPjSI_NS0_16reverse_iteratorISI_EEEEENSH_IJSG_SG_SG_EEES9_SI_JZNS1_25segmented_radix_sort_implINS0_14default_configELb0EPKiPiPKlPlN2at6native12_GLOBAL__N_18offset_tEEE10hipError_tPvRmT1_PNSt15iterator_traitsIS12_E10value_typeET2_T3_PNS13_IS18_E10value_typeET4_jRbjT5_S1E_jjP12ihipStream_tbEUljE_ZNSN_ISO_Lb0ESQ_SR_ST_SU_SY_EESZ_S10_S11_S12_S16_S17_S18_S1B_S1C_jS1D_jS1E_S1E_jjS1G_bEUljE0_EEESZ_S10_S11_S18_S1C_S1E_T6_T7_T9_mT8_S1G_bDpT10_ENKUlT_T0_E_clISt17integral_constantIbLb1EES1U_EEDaS1P_S1Q_EUlS1P_E_NS1_11comp_targetILNS1_3genE3ELNS1_11target_archE908ELNS1_3gpuE7ELNS1_3repE0EEENS1_30default_config_static_selectorELNS0_4arch9wavefront6targetE0EEEvS12_: ; @_ZN7rocprim17ROCPRIM_400000_NS6detail17trampoline_kernelINS0_13select_configILj256ELj13ELNS0_17block_load_methodE3ELS4_3ELS4_3ELNS0_20block_scan_algorithmE0ELj4294967295EEENS1_25partition_config_selectorILNS1_17partition_subalgoE4EjNS0_10empty_typeEbEEZZNS1_14partition_implILS8_4ELb0ES6_15HIP_vector_typeIjLj2EENS0_17counting_iteratorIjlEEPS9_SG_NS0_5tupleIJPjSI_NS0_16reverse_iteratorISI_EEEEENSH_IJSG_SG_SG_EEES9_SI_JZNS1_25segmented_radix_sort_implINS0_14default_configELb0EPKiPiPKlPlN2at6native12_GLOBAL__N_18offset_tEEE10hipError_tPvRmT1_PNSt15iterator_traitsIS12_E10value_typeET2_T3_PNS13_IS18_E10value_typeET4_jRbjT5_S1E_jjP12ihipStream_tbEUljE_ZNSN_ISO_Lb0ESQ_SR_ST_SU_SY_EESZ_S10_S11_S12_S16_S17_S18_S1B_S1C_jS1D_jS1E_S1E_jjS1G_bEUljE0_EEESZ_S10_S11_S18_S1C_S1E_T6_T7_T9_mT8_S1G_bDpT10_ENKUlT_T0_E_clISt17integral_constantIbLb1EES1U_EEDaS1P_S1Q_EUlS1P_E_NS1_11comp_targetILNS1_3genE3ELNS1_11target_archE908ELNS1_3gpuE7ELNS1_3repE0EEENS1_30default_config_static_selectorELNS0_4arch9wavefront6targetE0EEEvS12_
; %bb.0:
	.section	.rodata,"a",@progbits
	.p2align	6, 0x0
	.amdhsa_kernel _ZN7rocprim17ROCPRIM_400000_NS6detail17trampoline_kernelINS0_13select_configILj256ELj13ELNS0_17block_load_methodE3ELS4_3ELS4_3ELNS0_20block_scan_algorithmE0ELj4294967295EEENS1_25partition_config_selectorILNS1_17partition_subalgoE4EjNS0_10empty_typeEbEEZZNS1_14partition_implILS8_4ELb0ES6_15HIP_vector_typeIjLj2EENS0_17counting_iteratorIjlEEPS9_SG_NS0_5tupleIJPjSI_NS0_16reverse_iteratorISI_EEEEENSH_IJSG_SG_SG_EEES9_SI_JZNS1_25segmented_radix_sort_implINS0_14default_configELb0EPKiPiPKlPlN2at6native12_GLOBAL__N_18offset_tEEE10hipError_tPvRmT1_PNSt15iterator_traitsIS12_E10value_typeET2_T3_PNS13_IS18_E10value_typeET4_jRbjT5_S1E_jjP12ihipStream_tbEUljE_ZNSN_ISO_Lb0ESQ_SR_ST_SU_SY_EESZ_S10_S11_S12_S16_S17_S18_S1B_S1C_jS1D_jS1E_S1E_jjS1G_bEUljE0_EEESZ_S10_S11_S18_S1C_S1E_T6_T7_T9_mT8_S1G_bDpT10_ENKUlT_T0_E_clISt17integral_constantIbLb1EES1U_EEDaS1P_S1Q_EUlS1P_E_NS1_11comp_targetILNS1_3genE3ELNS1_11target_archE908ELNS1_3gpuE7ELNS1_3repE0EEENS1_30default_config_static_selectorELNS0_4arch9wavefront6targetE0EEEvS12_
		.amdhsa_group_segment_fixed_size 0
		.amdhsa_private_segment_fixed_size 0
		.amdhsa_kernarg_size 184
		.amdhsa_user_sgpr_count 6
		.amdhsa_user_sgpr_private_segment_buffer 1
		.amdhsa_user_sgpr_dispatch_ptr 0
		.amdhsa_user_sgpr_queue_ptr 0
		.amdhsa_user_sgpr_kernarg_segment_ptr 1
		.amdhsa_user_sgpr_dispatch_id 0
		.amdhsa_user_sgpr_flat_scratch_init 0
		.amdhsa_user_sgpr_private_segment_size 0
		.amdhsa_wavefront_size32 1
		.amdhsa_uses_dynamic_stack 0
		.amdhsa_system_sgpr_private_segment_wavefront_offset 0
		.amdhsa_system_sgpr_workgroup_id_x 1
		.amdhsa_system_sgpr_workgroup_id_y 0
		.amdhsa_system_sgpr_workgroup_id_z 0
		.amdhsa_system_sgpr_workgroup_info 0
		.amdhsa_system_vgpr_workitem_id 0
		.amdhsa_next_free_vgpr 1
		.amdhsa_next_free_sgpr 1
		.amdhsa_reserve_vcc 0
		.amdhsa_reserve_flat_scratch 0
		.amdhsa_float_round_mode_32 0
		.amdhsa_float_round_mode_16_64 0
		.amdhsa_float_denorm_mode_32 3
		.amdhsa_float_denorm_mode_16_64 3
		.amdhsa_dx10_clamp 1
		.amdhsa_ieee_mode 1
		.amdhsa_fp16_overflow 0
		.amdhsa_workgroup_processor_mode 1
		.amdhsa_memory_ordered 1
		.amdhsa_forward_progress 1
		.amdhsa_shared_vgpr_count 0
		.amdhsa_exception_fp_ieee_invalid_op 0
		.amdhsa_exception_fp_denorm_src 0
		.amdhsa_exception_fp_ieee_div_zero 0
		.amdhsa_exception_fp_ieee_overflow 0
		.amdhsa_exception_fp_ieee_underflow 0
		.amdhsa_exception_fp_ieee_inexact 0
		.amdhsa_exception_int_div_zero 0
	.end_amdhsa_kernel
	.section	.text._ZN7rocprim17ROCPRIM_400000_NS6detail17trampoline_kernelINS0_13select_configILj256ELj13ELNS0_17block_load_methodE3ELS4_3ELS4_3ELNS0_20block_scan_algorithmE0ELj4294967295EEENS1_25partition_config_selectorILNS1_17partition_subalgoE4EjNS0_10empty_typeEbEEZZNS1_14partition_implILS8_4ELb0ES6_15HIP_vector_typeIjLj2EENS0_17counting_iteratorIjlEEPS9_SG_NS0_5tupleIJPjSI_NS0_16reverse_iteratorISI_EEEEENSH_IJSG_SG_SG_EEES9_SI_JZNS1_25segmented_radix_sort_implINS0_14default_configELb0EPKiPiPKlPlN2at6native12_GLOBAL__N_18offset_tEEE10hipError_tPvRmT1_PNSt15iterator_traitsIS12_E10value_typeET2_T3_PNS13_IS18_E10value_typeET4_jRbjT5_S1E_jjP12ihipStream_tbEUljE_ZNSN_ISO_Lb0ESQ_SR_ST_SU_SY_EESZ_S10_S11_S12_S16_S17_S18_S1B_S1C_jS1D_jS1E_S1E_jjS1G_bEUljE0_EEESZ_S10_S11_S18_S1C_S1E_T6_T7_T9_mT8_S1G_bDpT10_ENKUlT_T0_E_clISt17integral_constantIbLb1EES1U_EEDaS1P_S1Q_EUlS1P_E_NS1_11comp_targetILNS1_3genE3ELNS1_11target_archE908ELNS1_3gpuE7ELNS1_3repE0EEENS1_30default_config_static_selectorELNS0_4arch9wavefront6targetE0EEEvS12_,"axG",@progbits,_ZN7rocprim17ROCPRIM_400000_NS6detail17trampoline_kernelINS0_13select_configILj256ELj13ELNS0_17block_load_methodE3ELS4_3ELS4_3ELNS0_20block_scan_algorithmE0ELj4294967295EEENS1_25partition_config_selectorILNS1_17partition_subalgoE4EjNS0_10empty_typeEbEEZZNS1_14partition_implILS8_4ELb0ES6_15HIP_vector_typeIjLj2EENS0_17counting_iteratorIjlEEPS9_SG_NS0_5tupleIJPjSI_NS0_16reverse_iteratorISI_EEEEENSH_IJSG_SG_SG_EEES9_SI_JZNS1_25segmented_radix_sort_implINS0_14default_configELb0EPKiPiPKlPlN2at6native12_GLOBAL__N_18offset_tEEE10hipError_tPvRmT1_PNSt15iterator_traitsIS12_E10value_typeET2_T3_PNS13_IS18_E10value_typeET4_jRbjT5_S1E_jjP12ihipStream_tbEUljE_ZNSN_ISO_Lb0ESQ_SR_ST_SU_SY_EESZ_S10_S11_S12_S16_S17_S18_S1B_S1C_jS1D_jS1E_S1E_jjS1G_bEUljE0_EEESZ_S10_S11_S18_S1C_S1E_T6_T7_T9_mT8_S1G_bDpT10_ENKUlT_T0_E_clISt17integral_constantIbLb1EES1U_EEDaS1P_S1Q_EUlS1P_E_NS1_11comp_targetILNS1_3genE3ELNS1_11target_archE908ELNS1_3gpuE7ELNS1_3repE0EEENS1_30default_config_static_selectorELNS0_4arch9wavefront6targetE0EEEvS12_,comdat
.Lfunc_end542:
	.size	_ZN7rocprim17ROCPRIM_400000_NS6detail17trampoline_kernelINS0_13select_configILj256ELj13ELNS0_17block_load_methodE3ELS4_3ELS4_3ELNS0_20block_scan_algorithmE0ELj4294967295EEENS1_25partition_config_selectorILNS1_17partition_subalgoE4EjNS0_10empty_typeEbEEZZNS1_14partition_implILS8_4ELb0ES6_15HIP_vector_typeIjLj2EENS0_17counting_iteratorIjlEEPS9_SG_NS0_5tupleIJPjSI_NS0_16reverse_iteratorISI_EEEEENSH_IJSG_SG_SG_EEES9_SI_JZNS1_25segmented_radix_sort_implINS0_14default_configELb0EPKiPiPKlPlN2at6native12_GLOBAL__N_18offset_tEEE10hipError_tPvRmT1_PNSt15iterator_traitsIS12_E10value_typeET2_T3_PNS13_IS18_E10value_typeET4_jRbjT5_S1E_jjP12ihipStream_tbEUljE_ZNSN_ISO_Lb0ESQ_SR_ST_SU_SY_EESZ_S10_S11_S12_S16_S17_S18_S1B_S1C_jS1D_jS1E_S1E_jjS1G_bEUljE0_EEESZ_S10_S11_S18_S1C_S1E_T6_T7_T9_mT8_S1G_bDpT10_ENKUlT_T0_E_clISt17integral_constantIbLb1EES1U_EEDaS1P_S1Q_EUlS1P_E_NS1_11comp_targetILNS1_3genE3ELNS1_11target_archE908ELNS1_3gpuE7ELNS1_3repE0EEENS1_30default_config_static_selectorELNS0_4arch9wavefront6targetE0EEEvS12_, .Lfunc_end542-_ZN7rocprim17ROCPRIM_400000_NS6detail17trampoline_kernelINS0_13select_configILj256ELj13ELNS0_17block_load_methodE3ELS4_3ELS4_3ELNS0_20block_scan_algorithmE0ELj4294967295EEENS1_25partition_config_selectorILNS1_17partition_subalgoE4EjNS0_10empty_typeEbEEZZNS1_14partition_implILS8_4ELb0ES6_15HIP_vector_typeIjLj2EENS0_17counting_iteratorIjlEEPS9_SG_NS0_5tupleIJPjSI_NS0_16reverse_iteratorISI_EEEEENSH_IJSG_SG_SG_EEES9_SI_JZNS1_25segmented_radix_sort_implINS0_14default_configELb0EPKiPiPKlPlN2at6native12_GLOBAL__N_18offset_tEEE10hipError_tPvRmT1_PNSt15iterator_traitsIS12_E10value_typeET2_T3_PNS13_IS18_E10value_typeET4_jRbjT5_S1E_jjP12ihipStream_tbEUljE_ZNSN_ISO_Lb0ESQ_SR_ST_SU_SY_EESZ_S10_S11_S12_S16_S17_S18_S1B_S1C_jS1D_jS1E_S1E_jjS1G_bEUljE0_EEESZ_S10_S11_S18_S1C_S1E_T6_T7_T9_mT8_S1G_bDpT10_ENKUlT_T0_E_clISt17integral_constantIbLb1EES1U_EEDaS1P_S1Q_EUlS1P_E_NS1_11comp_targetILNS1_3genE3ELNS1_11target_archE908ELNS1_3gpuE7ELNS1_3repE0EEENS1_30default_config_static_selectorELNS0_4arch9wavefront6targetE0EEEvS12_
                                        ; -- End function
	.set _ZN7rocprim17ROCPRIM_400000_NS6detail17trampoline_kernelINS0_13select_configILj256ELj13ELNS0_17block_load_methodE3ELS4_3ELS4_3ELNS0_20block_scan_algorithmE0ELj4294967295EEENS1_25partition_config_selectorILNS1_17partition_subalgoE4EjNS0_10empty_typeEbEEZZNS1_14partition_implILS8_4ELb0ES6_15HIP_vector_typeIjLj2EENS0_17counting_iteratorIjlEEPS9_SG_NS0_5tupleIJPjSI_NS0_16reverse_iteratorISI_EEEEENSH_IJSG_SG_SG_EEES9_SI_JZNS1_25segmented_radix_sort_implINS0_14default_configELb0EPKiPiPKlPlN2at6native12_GLOBAL__N_18offset_tEEE10hipError_tPvRmT1_PNSt15iterator_traitsIS12_E10value_typeET2_T3_PNS13_IS18_E10value_typeET4_jRbjT5_S1E_jjP12ihipStream_tbEUljE_ZNSN_ISO_Lb0ESQ_SR_ST_SU_SY_EESZ_S10_S11_S12_S16_S17_S18_S1B_S1C_jS1D_jS1E_S1E_jjS1G_bEUljE0_EEESZ_S10_S11_S18_S1C_S1E_T6_T7_T9_mT8_S1G_bDpT10_ENKUlT_T0_E_clISt17integral_constantIbLb1EES1U_EEDaS1P_S1Q_EUlS1P_E_NS1_11comp_targetILNS1_3genE3ELNS1_11target_archE908ELNS1_3gpuE7ELNS1_3repE0EEENS1_30default_config_static_selectorELNS0_4arch9wavefront6targetE0EEEvS12_.num_vgpr, 0
	.set _ZN7rocprim17ROCPRIM_400000_NS6detail17trampoline_kernelINS0_13select_configILj256ELj13ELNS0_17block_load_methodE3ELS4_3ELS4_3ELNS0_20block_scan_algorithmE0ELj4294967295EEENS1_25partition_config_selectorILNS1_17partition_subalgoE4EjNS0_10empty_typeEbEEZZNS1_14partition_implILS8_4ELb0ES6_15HIP_vector_typeIjLj2EENS0_17counting_iteratorIjlEEPS9_SG_NS0_5tupleIJPjSI_NS0_16reverse_iteratorISI_EEEEENSH_IJSG_SG_SG_EEES9_SI_JZNS1_25segmented_radix_sort_implINS0_14default_configELb0EPKiPiPKlPlN2at6native12_GLOBAL__N_18offset_tEEE10hipError_tPvRmT1_PNSt15iterator_traitsIS12_E10value_typeET2_T3_PNS13_IS18_E10value_typeET4_jRbjT5_S1E_jjP12ihipStream_tbEUljE_ZNSN_ISO_Lb0ESQ_SR_ST_SU_SY_EESZ_S10_S11_S12_S16_S17_S18_S1B_S1C_jS1D_jS1E_S1E_jjS1G_bEUljE0_EEESZ_S10_S11_S18_S1C_S1E_T6_T7_T9_mT8_S1G_bDpT10_ENKUlT_T0_E_clISt17integral_constantIbLb1EES1U_EEDaS1P_S1Q_EUlS1P_E_NS1_11comp_targetILNS1_3genE3ELNS1_11target_archE908ELNS1_3gpuE7ELNS1_3repE0EEENS1_30default_config_static_selectorELNS0_4arch9wavefront6targetE0EEEvS12_.num_agpr, 0
	.set _ZN7rocprim17ROCPRIM_400000_NS6detail17trampoline_kernelINS0_13select_configILj256ELj13ELNS0_17block_load_methodE3ELS4_3ELS4_3ELNS0_20block_scan_algorithmE0ELj4294967295EEENS1_25partition_config_selectorILNS1_17partition_subalgoE4EjNS0_10empty_typeEbEEZZNS1_14partition_implILS8_4ELb0ES6_15HIP_vector_typeIjLj2EENS0_17counting_iteratorIjlEEPS9_SG_NS0_5tupleIJPjSI_NS0_16reverse_iteratorISI_EEEEENSH_IJSG_SG_SG_EEES9_SI_JZNS1_25segmented_radix_sort_implINS0_14default_configELb0EPKiPiPKlPlN2at6native12_GLOBAL__N_18offset_tEEE10hipError_tPvRmT1_PNSt15iterator_traitsIS12_E10value_typeET2_T3_PNS13_IS18_E10value_typeET4_jRbjT5_S1E_jjP12ihipStream_tbEUljE_ZNSN_ISO_Lb0ESQ_SR_ST_SU_SY_EESZ_S10_S11_S12_S16_S17_S18_S1B_S1C_jS1D_jS1E_S1E_jjS1G_bEUljE0_EEESZ_S10_S11_S18_S1C_S1E_T6_T7_T9_mT8_S1G_bDpT10_ENKUlT_T0_E_clISt17integral_constantIbLb1EES1U_EEDaS1P_S1Q_EUlS1P_E_NS1_11comp_targetILNS1_3genE3ELNS1_11target_archE908ELNS1_3gpuE7ELNS1_3repE0EEENS1_30default_config_static_selectorELNS0_4arch9wavefront6targetE0EEEvS12_.numbered_sgpr, 0
	.set _ZN7rocprim17ROCPRIM_400000_NS6detail17trampoline_kernelINS0_13select_configILj256ELj13ELNS0_17block_load_methodE3ELS4_3ELS4_3ELNS0_20block_scan_algorithmE0ELj4294967295EEENS1_25partition_config_selectorILNS1_17partition_subalgoE4EjNS0_10empty_typeEbEEZZNS1_14partition_implILS8_4ELb0ES6_15HIP_vector_typeIjLj2EENS0_17counting_iteratorIjlEEPS9_SG_NS0_5tupleIJPjSI_NS0_16reverse_iteratorISI_EEEEENSH_IJSG_SG_SG_EEES9_SI_JZNS1_25segmented_radix_sort_implINS0_14default_configELb0EPKiPiPKlPlN2at6native12_GLOBAL__N_18offset_tEEE10hipError_tPvRmT1_PNSt15iterator_traitsIS12_E10value_typeET2_T3_PNS13_IS18_E10value_typeET4_jRbjT5_S1E_jjP12ihipStream_tbEUljE_ZNSN_ISO_Lb0ESQ_SR_ST_SU_SY_EESZ_S10_S11_S12_S16_S17_S18_S1B_S1C_jS1D_jS1E_S1E_jjS1G_bEUljE0_EEESZ_S10_S11_S18_S1C_S1E_T6_T7_T9_mT8_S1G_bDpT10_ENKUlT_T0_E_clISt17integral_constantIbLb1EES1U_EEDaS1P_S1Q_EUlS1P_E_NS1_11comp_targetILNS1_3genE3ELNS1_11target_archE908ELNS1_3gpuE7ELNS1_3repE0EEENS1_30default_config_static_selectorELNS0_4arch9wavefront6targetE0EEEvS12_.num_named_barrier, 0
	.set _ZN7rocprim17ROCPRIM_400000_NS6detail17trampoline_kernelINS0_13select_configILj256ELj13ELNS0_17block_load_methodE3ELS4_3ELS4_3ELNS0_20block_scan_algorithmE0ELj4294967295EEENS1_25partition_config_selectorILNS1_17partition_subalgoE4EjNS0_10empty_typeEbEEZZNS1_14partition_implILS8_4ELb0ES6_15HIP_vector_typeIjLj2EENS0_17counting_iteratorIjlEEPS9_SG_NS0_5tupleIJPjSI_NS0_16reverse_iteratorISI_EEEEENSH_IJSG_SG_SG_EEES9_SI_JZNS1_25segmented_radix_sort_implINS0_14default_configELb0EPKiPiPKlPlN2at6native12_GLOBAL__N_18offset_tEEE10hipError_tPvRmT1_PNSt15iterator_traitsIS12_E10value_typeET2_T3_PNS13_IS18_E10value_typeET4_jRbjT5_S1E_jjP12ihipStream_tbEUljE_ZNSN_ISO_Lb0ESQ_SR_ST_SU_SY_EESZ_S10_S11_S12_S16_S17_S18_S1B_S1C_jS1D_jS1E_S1E_jjS1G_bEUljE0_EEESZ_S10_S11_S18_S1C_S1E_T6_T7_T9_mT8_S1G_bDpT10_ENKUlT_T0_E_clISt17integral_constantIbLb1EES1U_EEDaS1P_S1Q_EUlS1P_E_NS1_11comp_targetILNS1_3genE3ELNS1_11target_archE908ELNS1_3gpuE7ELNS1_3repE0EEENS1_30default_config_static_selectorELNS0_4arch9wavefront6targetE0EEEvS12_.private_seg_size, 0
	.set _ZN7rocprim17ROCPRIM_400000_NS6detail17trampoline_kernelINS0_13select_configILj256ELj13ELNS0_17block_load_methodE3ELS4_3ELS4_3ELNS0_20block_scan_algorithmE0ELj4294967295EEENS1_25partition_config_selectorILNS1_17partition_subalgoE4EjNS0_10empty_typeEbEEZZNS1_14partition_implILS8_4ELb0ES6_15HIP_vector_typeIjLj2EENS0_17counting_iteratorIjlEEPS9_SG_NS0_5tupleIJPjSI_NS0_16reverse_iteratorISI_EEEEENSH_IJSG_SG_SG_EEES9_SI_JZNS1_25segmented_radix_sort_implINS0_14default_configELb0EPKiPiPKlPlN2at6native12_GLOBAL__N_18offset_tEEE10hipError_tPvRmT1_PNSt15iterator_traitsIS12_E10value_typeET2_T3_PNS13_IS18_E10value_typeET4_jRbjT5_S1E_jjP12ihipStream_tbEUljE_ZNSN_ISO_Lb0ESQ_SR_ST_SU_SY_EESZ_S10_S11_S12_S16_S17_S18_S1B_S1C_jS1D_jS1E_S1E_jjS1G_bEUljE0_EEESZ_S10_S11_S18_S1C_S1E_T6_T7_T9_mT8_S1G_bDpT10_ENKUlT_T0_E_clISt17integral_constantIbLb1EES1U_EEDaS1P_S1Q_EUlS1P_E_NS1_11comp_targetILNS1_3genE3ELNS1_11target_archE908ELNS1_3gpuE7ELNS1_3repE0EEENS1_30default_config_static_selectorELNS0_4arch9wavefront6targetE0EEEvS12_.uses_vcc, 0
	.set _ZN7rocprim17ROCPRIM_400000_NS6detail17trampoline_kernelINS0_13select_configILj256ELj13ELNS0_17block_load_methodE3ELS4_3ELS4_3ELNS0_20block_scan_algorithmE0ELj4294967295EEENS1_25partition_config_selectorILNS1_17partition_subalgoE4EjNS0_10empty_typeEbEEZZNS1_14partition_implILS8_4ELb0ES6_15HIP_vector_typeIjLj2EENS0_17counting_iteratorIjlEEPS9_SG_NS0_5tupleIJPjSI_NS0_16reverse_iteratorISI_EEEEENSH_IJSG_SG_SG_EEES9_SI_JZNS1_25segmented_radix_sort_implINS0_14default_configELb0EPKiPiPKlPlN2at6native12_GLOBAL__N_18offset_tEEE10hipError_tPvRmT1_PNSt15iterator_traitsIS12_E10value_typeET2_T3_PNS13_IS18_E10value_typeET4_jRbjT5_S1E_jjP12ihipStream_tbEUljE_ZNSN_ISO_Lb0ESQ_SR_ST_SU_SY_EESZ_S10_S11_S12_S16_S17_S18_S1B_S1C_jS1D_jS1E_S1E_jjS1G_bEUljE0_EEESZ_S10_S11_S18_S1C_S1E_T6_T7_T9_mT8_S1G_bDpT10_ENKUlT_T0_E_clISt17integral_constantIbLb1EES1U_EEDaS1P_S1Q_EUlS1P_E_NS1_11comp_targetILNS1_3genE3ELNS1_11target_archE908ELNS1_3gpuE7ELNS1_3repE0EEENS1_30default_config_static_selectorELNS0_4arch9wavefront6targetE0EEEvS12_.uses_flat_scratch, 0
	.set _ZN7rocprim17ROCPRIM_400000_NS6detail17trampoline_kernelINS0_13select_configILj256ELj13ELNS0_17block_load_methodE3ELS4_3ELS4_3ELNS0_20block_scan_algorithmE0ELj4294967295EEENS1_25partition_config_selectorILNS1_17partition_subalgoE4EjNS0_10empty_typeEbEEZZNS1_14partition_implILS8_4ELb0ES6_15HIP_vector_typeIjLj2EENS0_17counting_iteratorIjlEEPS9_SG_NS0_5tupleIJPjSI_NS0_16reverse_iteratorISI_EEEEENSH_IJSG_SG_SG_EEES9_SI_JZNS1_25segmented_radix_sort_implINS0_14default_configELb0EPKiPiPKlPlN2at6native12_GLOBAL__N_18offset_tEEE10hipError_tPvRmT1_PNSt15iterator_traitsIS12_E10value_typeET2_T3_PNS13_IS18_E10value_typeET4_jRbjT5_S1E_jjP12ihipStream_tbEUljE_ZNSN_ISO_Lb0ESQ_SR_ST_SU_SY_EESZ_S10_S11_S12_S16_S17_S18_S1B_S1C_jS1D_jS1E_S1E_jjS1G_bEUljE0_EEESZ_S10_S11_S18_S1C_S1E_T6_T7_T9_mT8_S1G_bDpT10_ENKUlT_T0_E_clISt17integral_constantIbLb1EES1U_EEDaS1P_S1Q_EUlS1P_E_NS1_11comp_targetILNS1_3genE3ELNS1_11target_archE908ELNS1_3gpuE7ELNS1_3repE0EEENS1_30default_config_static_selectorELNS0_4arch9wavefront6targetE0EEEvS12_.has_dyn_sized_stack, 0
	.set _ZN7rocprim17ROCPRIM_400000_NS6detail17trampoline_kernelINS0_13select_configILj256ELj13ELNS0_17block_load_methodE3ELS4_3ELS4_3ELNS0_20block_scan_algorithmE0ELj4294967295EEENS1_25partition_config_selectorILNS1_17partition_subalgoE4EjNS0_10empty_typeEbEEZZNS1_14partition_implILS8_4ELb0ES6_15HIP_vector_typeIjLj2EENS0_17counting_iteratorIjlEEPS9_SG_NS0_5tupleIJPjSI_NS0_16reverse_iteratorISI_EEEEENSH_IJSG_SG_SG_EEES9_SI_JZNS1_25segmented_radix_sort_implINS0_14default_configELb0EPKiPiPKlPlN2at6native12_GLOBAL__N_18offset_tEEE10hipError_tPvRmT1_PNSt15iterator_traitsIS12_E10value_typeET2_T3_PNS13_IS18_E10value_typeET4_jRbjT5_S1E_jjP12ihipStream_tbEUljE_ZNSN_ISO_Lb0ESQ_SR_ST_SU_SY_EESZ_S10_S11_S12_S16_S17_S18_S1B_S1C_jS1D_jS1E_S1E_jjS1G_bEUljE0_EEESZ_S10_S11_S18_S1C_S1E_T6_T7_T9_mT8_S1G_bDpT10_ENKUlT_T0_E_clISt17integral_constantIbLb1EES1U_EEDaS1P_S1Q_EUlS1P_E_NS1_11comp_targetILNS1_3genE3ELNS1_11target_archE908ELNS1_3gpuE7ELNS1_3repE0EEENS1_30default_config_static_selectorELNS0_4arch9wavefront6targetE0EEEvS12_.has_recursion, 0
	.set _ZN7rocprim17ROCPRIM_400000_NS6detail17trampoline_kernelINS0_13select_configILj256ELj13ELNS0_17block_load_methodE3ELS4_3ELS4_3ELNS0_20block_scan_algorithmE0ELj4294967295EEENS1_25partition_config_selectorILNS1_17partition_subalgoE4EjNS0_10empty_typeEbEEZZNS1_14partition_implILS8_4ELb0ES6_15HIP_vector_typeIjLj2EENS0_17counting_iteratorIjlEEPS9_SG_NS0_5tupleIJPjSI_NS0_16reverse_iteratorISI_EEEEENSH_IJSG_SG_SG_EEES9_SI_JZNS1_25segmented_radix_sort_implINS0_14default_configELb0EPKiPiPKlPlN2at6native12_GLOBAL__N_18offset_tEEE10hipError_tPvRmT1_PNSt15iterator_traitsIS12_E10value_typeET2_T3_PNS13_IS18_E10value_typeET4_jRbjT5_S1E_jjP12ihipStream_tbEUljE_ZNSN_ISO_Lb0ESQ_SR_ST_SU_SY_EESZ_S10_S11_S12_S16_S17_S18_S1B_S1C_jS1D_jS1E_S1E_jjS1G_bEUljE0_EEESZ_S10_S11_S18_S1C_S1E_T6_T7_T9_mT8_S1G_bDpT10_ENKUlT_T0_E_clISt17integral_constantIbLb1EES1U_EEDaS1P_S1Q_EUlS1P_E_NS1_11comp_targetILNS1_3genE3ELNS1_11target_archE908ELNS1_3gpuE7ELNS1_3repE0EEENS1_30default_config_static_selectorELNS0_4arch9wavefront6targetE0EEEvS12_.has_indirect_call, 0
	.section	.AMDGPU.csdata,"",@progbits
; Kernel info:
; codeLenInByte = 0
; TotalNumSgprs: 0
; NumVgprs: 0
; ScratchSize: 0
; MemoryBound: 0
; FloatMode: 240
; IeeeMode: 1
; LDSByteSize: 0 bytes/workgroup (compile time only)
; SGPRBlocks: 0
; VGPRBlocks: 0
; NumSGPRsForWavesPerEU: 1
; NumVGPRsForWavesPerEU: 1
; Occupancy: 16
; WaveLimiterHint : 0
; COMPUTE_PGM_RSRC2:SCRATCH_EN: 0
; COMPUTE_PGM_RSRC2:USER_SGPR: 6
; COMPUTE_PGM_RSRC2:TRAP_HANDLER: 0
; COMPUTE_PGM_RSRC2:TGID_X_EN: 1
; COMPUTE_PGM_RSRC2:TGID_Y_EN: 0
; COMPUTE_PGM_RSRC2:TGID_Z_EN: 0
; COMPUTE_PGM_RSRC2:TIDIG_COMP_CNT: 0
	.section	.text._ZN7rocprim17ROCPRIM_400000_NS6detail17trampoline_kernelINS0_13select_configILj256ELj13ELNS0_17block_load_methodE3ELS4_3ELS4_3ELNS0_20block_scan_algorithmE0ELj4294967295EEENS1_25partition_config_selectorILNS1_17partition_subalgoE4EjNS0_10empty_typeEbEEZZNS1_14partition_implILS8_4ELb0ES6_15HIP_vector_typeIjLj2EENS0_17counting_iteratorIjlEEPS9_SG_NS0_5tupleIJPjSI_NS0_16reverse_iteratorISI_EEEEENSH_IJSG_SG_SG_EEES9_SI_JZNS1_25segmented_radix_sort_implINS0_14default_configELb0EPKiPiPKlPlN2at6native12_GLOBAL__N_18offset_tEEE10hipError_tPvRmT1_PNSt15iterator_traitsIS12_E10value_typeET2_T3_PNS13_IS18_E10value_typeET4_jRbjT5_S1E_jjP12ihipStream_tbEUljE_ZNSN_ISO_Lb0ESQ_SR_ST_SU_SY_EESZ_S10_S11_S12_S16_S17_S18_S1B_S1C_jS1D_jS1E_S1E_jjS1G_bEUljE0_EEESZ_S10_S11_S18_S1C_S1E_T6_T7_T9_mT8_S1G_bDpT10_ENKUlT_T0_E_clISt17integral_constantIbLb1EES1U_EEDaS1P_S1Q_EUlS1P_E_NS1_11comp_targetILNS1_3genE2ELNS1_11target_archE906ELNS1_3gpuE6ELNS1_3repE0EEENS1_30default_config_static_selectorELNS0_4arch9wavefront6targetE0EEEvS12_,"axG",@progbits,_ZN7rocprim17ROCPRIM_400000_NS6detail17trampoline_kernelINS0_13select_configILj256ELj13ELNS0_17block_load_methodE3ELS4_3ELS4_3ELNS0_20block_scan_algorithmE0ELj4294967295EEENS1_25partition_config_selectorILNS1_17partition_subalgoE4EjNS0_10empty_typeEbEEZZNS1_14partition_implILS8_4ELb0ES6_15HIP_vector_typeIjLj2EENS0_17counting_iteratorIjlEEPS9_SG_NS0_5tupleIJPjSI_NS0_16reverse_iteratorISI_EEEEENSH_IJSG_SG_SG_EEES9_SI_JZNS1_25segmented_radix_sort_implINS0_14default_configELb0EPKiPiPKlPlN2at6native12_GLOBAL__N_18offset_tEEE10hipError_tPvRmT1_PNSt15iterator_traitsIS12_E10value_typeET2_T3_PNS13_IS18_E10value_typeET4_jRbjT5_S1E_jjP12ihipStream_tbEUljE_ZNSN_ISO_Lb0ESQ_SR_ST_SU_SY_EESZ_S10_S11_S12_S16_S17_S18_S1B_S1C_jS1D_jS1E_S1E_jjS1G_bEUljE0_EEESZ_S10_S11_S18_S1C_S1E_T6_T7_T9_mT8_S1G_bDpT10_ENKUlT_T0_E_clISt17integral_constantIbLb1EES1U_EEDaS1P_S1Q_EUlS1P_E_NS1_11comp_targetILNS1_3genE2ELNS1_11target_archE906ELNS1_3gpuE6ELNS1_3repE0EEENS1_30default_config_static_selectorELNS0_4arch9wavefront6targetE0EEEvS12_,comdat
	.globl	_ZN7rocprim17ROCPRIM_400000_NS6detail17trampoline_kernelINS0_13select_configILj256ELj13ELNS0_17block_load_methodE3ELS4_3ELS4_3ELNS0_20block_scan_algorithmE0ELj4294967295EEENS1_25partition_config_selectorILNS1_17partition_subalgoE4EjNS0_10empty_typeEbEEZZNS1_14partition_implILS8_4ELb0ES6_15HIP_vector_typeIjLj2EENS0_17counting_iteratorIjlEEPS9_SG_NS0_5tupleIJPjSI_NS0_16reverse_iteratorISI_EEEEENSH_IJSG_SG_SG_EEES9_SI_JZNS1_25segmented_radix_sort_implINS0_14default_configELb0EPKiPiPKlPlN2at6native12_GLOBAL__N_18offset_tEEE10hipError_tPvRmT1_PNSt15iterator_traitsIS12_E10value_typeET2_T3_PNS13_IS18_E10value_typeET4_jRbjT5_S1E_jjP12ihipStream_tbEUljE_ZNSN_ISO_Lb0ESQ_SR_ST_SU_SY_EESZ_S10_S11_S12_S16_S17_S18_S1B_S1C_jS1D_jS1E_S1E_jjS1G_bEUljE0_EEESZ_S10_S11_S18_S1C_S1E_T6_T7_T9_mT8_S1G_bDpT10_ENKUlT_T0_E_clISt17integral_constantIbLb1EES1U_EEDaS1P_S1Q_EUlS1P_E_NS1_11comp_targetILNS1_3genE2ELNS1_11target_archE906ELNS1_3gpuE6ELNS1_3repE0EEENS1_30default_config_static_selectorELNS0_4arch9wavefront6targetE0EEEvS12_ ; -- Begin function _ZN7rocprim17ROCPRIM_400000_NS6detail17trampoline_kernelINS0_13select_configILj256ELj13ELNS0_17block_load_methodE3ELS4_3ELS4_3ELNS0_20block_scan_algorithmE0ELj4294967295EEENS1_25partition_config_selectorILNS1_17partition_subalgoE4EjNS0_10empty_typeEbEEZZNS1_14partition_implILS8_4ELb0ES6_15HIP_vector_typeIjLj2EENS0_17counting_iteratorIjlEEPS9_SG_NS0_5tupleIJPjSI_NS0_16reverse_iteratorISI_EEEEENSH_IJSG_SG_SG_EEES9_SI_JZNS1_25segmented_radix_sort_implINS0_14default_configELb0EPKiPiPKlPlN2at6native12_GLOBAL__N_18offset_tEEE10hipError_tPvRmT1_PNSt15iterator_traitsIS12_E10value_typeET2_T3_PNS13_IS18_E10value_typeET4_jRbjT5_S1E_jjP12ihipStream_tbEUljE_ZNSN_ISO_Lb0ESQ_SR_ST_SU_SY_EESZ_S10_S11_S12_S16_S17_S18_S1B_S1C_jS1D_jS1E_S1E_jjS1G_bEUljE0_EEESZ_S10_S11_S18_S1C_S1E_T6_T7_T9_mT8_S1G_bDpT10_ENKUlT_T0_E_clISt17integral_constantIbLb1EES1U_EEDaS1P_S1Q_EUlS1P_E_NS1_11comp_targetILNS1_3genE2ELNS1_11target_archE906ELNS1_3gpuE6ELNS1_3repE0EEENS1_30default_config_static_selectorELNS0_4arch9wavefront6targetE0EEEvS12_
	.p2align	8
	.type	_ZN7rocprim17ROCPRIM_400000_NS6detail17trampoline_kernelINS0_13select_configILj256ELj13ELNS0_17block_load_methodE3ELS4_3ELS4_3ELNS0_20block_scan_algorithmE0ELj4294967295EEENS1_25partition_config_selectorILNS1_17partition_subalgoE4EjNS0_10empty_typeEbEEZZNS1_14partition_implILS8_4ELb0ES6_15HIP_vector_typeIjLj2EENS0_17counting_iteratorIjlEEPS9_SG_NS0_5tupleIJPjSI_NS0_16reverse_iteratorISI_EEEEENSH_IJSG_SG_SG_EEES9_SI_JZNS1_25segmented_radix_sort_implINS0_14default_configELb0EPKiPiPKlPlN2at6native12_GLOBAL__N_18offset_tEEE10hipError_tPvRmT1_PNSt15iterator_traitsIS12_E10value_typeET2_T3_PNS13_IS18_E10value_typeET4_jRbjT5_S1E_jjP12ihipStream_tbEUljE_ZNSN_ISO_Lb0ESQ_SR_ST_SU_SY_EESZ_S10_S11_S12_S16_S17_S18_S1B_S1C_jS1D_jS1E_S1E_jjS1G_bEUljE0_EEESZ_S10_S11_S18_S1C_S1E_T6_T7_T9_mT8_S1G_bDpT10_ENKUlT_T0_E_clISt17integral_constantIbLb1EES1U_EEDaS1P_S1Q_EUlS1P_E_NS1_11comp_targetILNS1_3genE2ELNS1_11target_archE906ELNS1_3gpuE6ELNS1_3repE0EEENS1_30default_config_static_selectorELNS0_4arch9wavefront6targetE0EEEvS12_,@function
_ZN7rocprim17ROCPRIM_400000_NS6detail17trampoline_kernelINS0_13select_configILj256ELj13ELNS0_17block_load_methodE3ELS4_3ELS4_3ELNS0_20block_scan_algorithmE0ELj4294967295EEENS1_25partition_config_selectorILNS1_17partition_subalgoE4EjNS0_10empty_typeEbEEZZNS1_14partition_implILS8_4ELb0ES6_15HIP_vector_typeIjLj2EENS0_17counting_iteratorIjlEEPS9_SG_NS0_5tupleIJPjSI_NS0_16reverse_iteratorISI_EEEEENSH_IJSG_SG_SG_EEES9_SI_JZNS1_25segmented_radix_sort_implINS0_14default_configELb0EPKiPiPKlPlN2at6native12_GLOBAL__N_18offset_tEEE10hipError_tPvRmT1_PNSt15iterator_traitsIS12_E10value_typeET2_T3_PNS13_IS18_E10value_typeET4_jRbjT5_S1E_jjP12ihipStream_tbEUljE_ZNSN_ISO_Lb0ESQ_SR_ST_SU_SY_EESZ_S10_S11_S12_S16_S17_S18_S1B_S1C_jS1D_jS1E_S1E_jjS1G_bEUljE0_EEESZ_S10_S11_S18_S1C_S1E_T6_T7_T9_mT8_S1G_bDpT10_ENKUlT_T0_E_clISt17integral_constantIbLb1EES1U_EEDaS1P_S1Q_EUlS1P_E_NS1_11comp_targetILNS1_3genE2ELNS1_11target_archE906ELNS1_3gpuE6ELNS1_3repE0EEENS1_30default_config_static_selectorELNS0_4arch9wavefront6targetE0EEEvS12_: ; @_ZN7rocprim17ROCPRIM_400000_NS6detail17trampoline_kernelINS0_13select_configILj256ELj13ELNS0_17block_load_methodE3ELS4_3ELS4_3ELNS0_20block_scan_algorithmE0ELj4294967295EEENS1_25partition_config_selectorILNS1_17partition_subalgoE4EjNS0_10empty_typeEbEEZZNS1_14partition_implILS8_4ELb0ES6_15HIP_vector_typeIjLj2EENS0_17counting_iteratorIjlEEPS9_SG_NS0_5tupleIJPjSI_NS0_16reverse_iteratorISI_EEEEENSH_IJSG_SG_SG_EEES9_SI_JZNS1_25segmented_radix_sort_implINS0_14default_configELb0EPKiPiPKlPlN2at6native12_GLOBAL__N_18offset_tEEE10hipError_tPvRmT1_PNSt15iterator_traitsIS12_E10value_typeET2_T3_PNS13_IS18_E10value_typeET4_jRbjT5_S1E_jjP12ihipStream_tbEUljE_ZNSN_ISO_Lb0ESQ_SR_ST_SU_SY_EESZ_S10_S11_S12_S16_S17_S18_S1B_S1C_jS1D_jS1E_S1E_jjS1G_bEUljE0_EEESZ_S10_S11_S18_S1C_S1E_T6_T7_T9_mT8_S1G_bDpT10_ENKUlT_T0_E_clISt17integral_constantIbLb1EES1U_EEDaS1P_S1Q_EUlS1P_E_NS1_11comp_targetILNS1_3genE2ELNS1_11target_archE906ELNS1_3gpuE6ELNS1_3repE0EEENS1_30default_config_static_selectorELNS0_4arch9wavefront6targetE0EEEvS12_
; %bb.0:
	.section	.rodata,"a",@progbits
	.p2align	6, 0x0
	.amdhsa_kernel _ZN7rocprim17ROCPRIM_400000_NS6detail17trampoline_kernelINS0_13select_configILj256ELj13ELNS0_17block_load_methodE3ELS4_3ELS4_3ELNS0_20block_scan_algorithmE0ELj4294967295EEENS1_25partition_config_selectorILNS1_17partition_subalgoE4EjNS0_10empty_typeEbEEZZNS1_14partition_implILS8_4ELb0ES6_15HIP_vector_typeIjLj2EENS0_17counting_iteratorIjlEEPS9_SG_NS0_5tupleIJPjSI_NS0_16reverse_iteratorISI_EEEEENSH_IJSG_SG_SG_EEES9_SI_JZNS1_25segmented_radix_sort_implINS0_14default_configELb0EPKiPiPKlPlN2at6native12_GLOBAL__N_18offset_tEEE10hipError_tPvRmT1_PNSt15iterator_traitsIS12_E10value_typeET2_T3_PNS13_IS18_E10value_typeET4_jRbjT5_S1E_jjP12ihipStream_tbEUljE_ZNSN_ISO_Lb0ESQ_SR_ST_SU_SY_EESZ_S10_S11_S12_S16_S17_S18_S1B_S1C_jS1D_jS1E_S1E_jjS1G_bEUljE0_EEESZ_S10_S11_S18_S1C_S1E_T6_T7_T9_mT8_S1G_bDpT10_ENKUlT_T0_E_clISt17integral_constantIbLb1EES1U_EEDaS1P_S1Q_EUlS1P_E_NS1_11comp_targetILNS1_3genE2ELNS1_11target_archE906ELNS1_3gpuE6ELNS1_3repE0EEENS1_30default_config_static_selectorELNS0_4arch9wavefront6targetE0EEEvS12_
		.amdhsa_group_segment_fixed_size 0
		.amdhsa_private_segment_fixed_size 0
		.amdhsa_kernarg_size 184
		.amdhsa_user_sgpr_count 6
		.amdhsa_user_sgpr_private_segment_buffer 1
		.amdhsa_user_sgpr_dispatch_ptr 0
		.amdhsa_user_sgpr_queue_ptr 0
		.amdhsa_user_sgpr_kernarg_segment_ptr 1
		.amdhsa_user_sgpr_dispatch_id 0
		.amdhsa_user_sgpr_flat_scratch_init 0
		.amdhsa_user_sgpr_private_segment_size 0
		.amdhsa_wavefront_size32 1
		.amdhsa_uses_dynamic_stack 0
		.amdhsa_system_sgpr_private_segment_wavefront_offset 0
		.amdhsa_system_sgpr_workgroup_id_x 1
		.amdhsa_system_sgpr_workgroup_id_y 0
		.amdhsa_system_sgpr_workgroup_id_z 0
		.amdhsa_system_sgpr_workgroup_info 0
		.amdhsa_system_vgpr_workitem_id 0
		.amdhsa_next_free_vgpr 1
		.amdhsa_next_free_sgpr 1
		.amdhsa_reserve_vcc 0
		.amdhsa_reserve_flat_scratch 0
		.amdhsa_float_round_mode_32 0
		.amdhsa_float_round_mode_16_64 0
		.amdhsa_float_denorm_mode_32 3
		.amdhsa_float_denorm_mode_16_64 3
		.amdhsa_dx10_clamp 1
		.amdhsa_ieee_mode 1
		.amdhsa_fp16_overflow 0
		.amdhsa_workgroup_processor_mode 1
		.amdhsa_memory_ordered 1
		.amdhsa_forward_progress 1
		.amdhsa_shared_vgpr_count 0
		.amdhsa_exception_fp_ieee_invalid_op 0
		.amdhsa_exception_fp_denorm_src 0
		.amdhsa_exception_fp_ieee_div_zero 0
		.amdhsa_exception_fp_ieee_overflow 0
		.amdhsa_exception_fp_ieee_underflow 0
		.amdhsa_exception_fp_ieee_inexact 0
		.amdhsa_exception_int_div_zero 0
	.end_amdhsa_kernel
	.section	.text._ZN7rocprim17ROCPRIM_400000_NS6detail17trampoline_kernelINS0_13select_configILj256ELj13ELNS0_17block_load_methodE3ELS4_3ELS4_3ELNS0_20block_scan_algorithmE0ELj4294967295EEENS1_25partition_config_selectorILNS1_17partition_subalgoE4EjNS0_10empty_typeEbEEZZNS1_14partition_implILS8_4ELb0ES6_15HIP_vector_typeIjLj2EENS0_17counting_iteratorIjlEEPS9_SG_NS0_5tupleIJPjSI_NS0_16reverse_iteratorISI_EEEEENSH_IJSG_SG_SG_EEES9_SI_JZNS1_25segmented_radix_sort_implINS0_14default_configELb0EPKiPiPKlPlN2at6native12_GLOBAL__N_18offset_tEEE10hipError_tPvRmT1_PNSt15iterator_traitsIS12_E10value_typeET2_T3_PNS13_IS18_E10value_typeET4_jRbjT5_S1E_jjP12ihipStream_tbEUljE_ZNSN_ISO_Lb0ESQ_SR_ST_SU_SY_EESZ_S10_S11_S12_S16_S17_S18_S1B_S1C_jS1D_jS1E_S1E_jjS1G_bEUljE0_EEESZ_S10_S11_S18_S1C_S1E_T6_T7_T9_mT8_S1G_bDpT10_ENKUlT_T0_E_clISt17integral_constantIbLb1EES1U_EEDaS1P_S1Q_EUlS1P_E_NS1_11comp_targetILNS1_3genE2ELNS1_11target_archE906ELNS1_3gpuE6ELNS1_3repE0EEENS1_30default_config_static_selectorELNS0_4arch9wavefront6targetE0EEEvS12_,"axG",@progbits,_ZN7rocprim17ROCPRIM_400000_NS6detail17trampoline_kernelINS0_13select_configILj256ELj13ELNS0_17block_load_methodE3ELS4_3ELS4_3ELNS0_20block_scan_algorithmE0ELj4294967295EEENS1_25partition_config_selectorILNS1_17partition_subalgoE4EjNS0_10empty_typeEbEEZZNS1_14partition_implILS8_4ELb0ES6_15HIP_vector_typeIjLj2EENS0_17counting_iteratorIjlEEPS9_SG_NS0_5tupleIJPjSI_NS0_16reverse_iteratorISI_EEEEENSH_IJSG_SG_SG_EEES9_SI_JZNS1_25segmented_radix_sort_implINS0_14default_configELb0EPKiPiPKlPlN2at6native12_GLOBAL__N_18offset_tEEE10hipError_tPvRmT1_PNSt15iterator_traitsIS12_E10value_typeET2_T3_PNS13_IS18_E10value_typeET4_jRbjT5_S1E_jjP12ihipStream_tbEUljE_ZNSN_ISO_Lb0ESQ_SR_ST_SU_SY_EESZ_S10_S11_S12_S16_S17_S18_S1B_S1C_jS1D_jS1E_S1E_jjS1G_bEUljE0_EEESZ_S10_S11_S18_S1C_S1E_T6_T7_T9_mT8_S1G_bDpT10_ENKUlT_T0_E_clISt17integral_constantIbLb1EES1U_EEDaS1P_S1Q_EUlS1P_E_NS1_11comp_targetILNS1_3genE2ELNS1_11target_archE906ELNS1_3gpuE6ELNS1_3repE0EEENS1_30default_config_static_selectorELNS0_4arch9wavefront6targetE0EEEvS12_,comdat
.Lfunc_end543:
	.size	_ZN7rocprim17ROCPRIM_400000_NS6detail17trampoline_kernelINS0_13select_configILj256ELj13ELNS0_17block_load_methodE3ELS4_3ELS4_3ELNS0_20block_scan_algorithmE0ELj4294967295EEENS1_25partition_config_selectorILNS1_17partition_subalgoE4EjNS0_10empty_typeEbEEZZNS1_14partition_implILS8_4ELb0ES6_15HIP_vector_typeIjLj2EENS0_17counting_iteratorIjlEEPS9_SG_NS0_5tupleIJPjSI_NS0_16reverse_iteratorISI_EEEEENSH_IJSG_SG_SG_EEES9_SI_JZNS1_25segmented_radix_sort_implINS0_14default_configELb0EPKiPiPKlPlN2at6native12_GLOBAL__N_18offset_tEEE10hipError_tPvRmT1_PNSt15iterator_traitsIS12_E10value_typeET2_T3_PNS13_IS18_E10value_typeET4_jRbjT5_S1E_jjP12ihipStream_tbEUljE_ZNSN_ISO_Lb0ESQ_SR_ST_SU_SY_EESZ_S10_S11_S12_S16_S17_S18_S1B_S1C_jS1D_jS1E_S1E_jjS1G_bEUljE0_EEESZ_S10_S11_S18_S1C_S1E_T6_T7_T9_mT8_S1G_bDpT10_ENKUlT_T0_E_clISt17integral_constantIbLb1EES1U_EEDaS1P_S1Q_EUlS1P_E_NS1_11comp_targetILNS1_3genE2ELNS1_11target_archE906ELNS1_3gpuE6ELNS1_3repE0EEENS1_30default_config_static_selectorELNS0_4arch9wavefront6targetE0EEEvS12_, .Lfunc_end543-_ZN7rocprim17ROCPRIM_400000_NS6detail17trampoline_kernelINS0_13select_configILj256ELj13ELNS0_17block_load_methodE3ELS4_3ELS4_3ELNS0_20block_scan_algorithmE0ELj4294967295EEENS1_25partition_config_selectorILNS1_17partition_subalgoE4EjNS0_10empty_typeEbEEZZNS1_14partition_implILS8_4ELb0ES6_15HIP_vector_typeIjLj2EENS0_17counting_iteratorIjlEEPS9_SG_NS0_5tupleIJPjSI_NS0_16reverse_iteratorISI_EEEEENSH_IJSG_SG_SG_EEES9_SI_JZNS1_25segmented_radix_sort_implINS0_14default_configELb0EPKiPiPKlPlN2at6native12_GLOBAL__N_18offset_tEEE10hipError_tPvRmT1_PNSt15iterator_traitsIS12_E10value_typeET2_T3_PNS13_IS18_E10value_typeET4_jRbjT5_S1E_jjP12ihipStream_tbEUljE_ZNSN_ISO_Lb0ESQ_SR_ST_SU_SY_EESZ_S10_S11_S12_S16_S17_S18_S1B_S1C_jS1D_jS1E_S1E_jjS1G_bEUljE0_EEESZ_S10_S11_S18_S1C_S1E_T6_T7_T9_mT8_S1G_bDpT10_ENKUlT_T0_E_clISt17integral_constantIbLb1EES1U_EEDaS1P_S1Q_EUlS1P_E_NS1_11comp_targetILNS1_3genE2ELNS1_11target_archE906ELNS1_3gpuE6ELNS1_3repE0EEENS1_30default_config_static_selectorELNS0_4arch9wavefront6targetE0EEEvS12_
                                        ; -- End function
	.set _ZN7rocprim17ROCPRIM_400000_NS6detail17trampoline_kernelINS0_13select_configILj256ELj13ELNS0_17block_load_methodE3ELS4_3ELS4_3ELNS0_20block_scan_algorithmE0ELj4294967295EEENS1_25partition_config_selectorILNS1_17partition_subalgoE4EjNS0_10empty_typeEbEEZZNS1_14partition_implILS8_4ELb0ES6_15HIP_vector_typeIjLj2EENS0_17counting_iteratorIjlEEPS9_SG_NS0_5tupleIJPjSI_NS0_16reverse_iteratorISI_EEEEENSH_IJSG_SG_SG_EEES9_SI_JZNS1_25segmented_radix_sort_implINS0_14default_configELb0EPKiPiPKlPlN2at6native12_GLOBAL__N_18offset_tEEE10hipError_tPvRmT1_PNSt15iterator_traitsIS12_E10value_typeET2_T3_PNS13_IS18_E10value_typeET4_jRbjT5_S1E_jjP12ihipStream_tbEUljE_ZNSN_ISO_Lb0ESQ_SR_ST_SU_SY_EESZ_S10_S11_S12_S16_S17_S18_S1B_S1C_jS1D_jS1E_S1E_jjS1G_bEUljE0_EEESZ_S10_S11_S18_S1C_S1E_T6_T7_T9_mT8_S1G_bDpT10_ENKUlT_T0_E_clISt17integral_constantIbLb1EES1U_EEDaS1P_S1Q_EUlS1P_E_NS1_11comp_targetILNS1_3genE2ELNS1_11target_archE906ELNS1_3gpuE6ELNS1_3repE0EEENS1_30default_config_static_selectorELNS0_4arch9wavefront6targetE0EEEvS12_.num_vgpr, 0
	.set _ZN7rocprim17ROCPRIM_400000_NS6detail17trampoline_kernelINS0_13select_configILj256ELj13ELNS0_17block_load_methodE3ELS4_3ELS4_3ELNS0_20block_scan_algorithmE0ELj4294967295EEENS1_25partition_config_selectorILNS1_17partition_subalgoE4EjNS0_10empty_typeEbEEZZNS1_14partition_implILS8_4ELb0ES6_15HIP_vector_typeIjLj2EENS0_17counting_iteratorIjlEEPS9_SG_NS0_5tupleIJPjSI_NS0_16reverse_iteratorISI_EEEEENSH_IJSG_SG_SG_EEES9_SI_JZNS1_25segmented_radix_sort_implINS0_14default_configELb0EPKiPiPKlPlN2at6native12_GLOBAL__N_18offset_tEEE10hipError_tPvRmT1_PNSt15iterator_traitsIS12_E10value_typeET2_T3_PNS13_IS18_E10value_typeET4_jRbjT5_S1E_jjP12ihipStream_tbEUljE_ZNSN_ISO_Lb0ESQ_SR_ST_SU_SY_EESZ_S10_S11_S12_S16_S17_S18_S1B_S1C_jS1D_jS1E_S1E_jjS1G_bEUljE0_EEESZ_S10_S11_S18_S1C_S1E_T6_T7_T9_mT8_S1G_bDpT10_ENKUlT_T0_E_clISt17integral_constantIbLb1EES1U_EEDaS1P_S1Q_EUlS1P_E_NS1_11comp_targetILNS1_3genE2ELNS1_11target_archE906ELNS1_3gpuE6ELNS1_3repE0EEENS1_30default_config_static_selectorELNS0_4arch9wavefront6targetE0EEEvS12_.num_agpr, 0
	.set _ZN7rocprim17ROCPRIM_400000_NS6detail17trampoline_kernelINS0_13select_configILj256ELj13ELNS0_17block_load_methodE3ELS4_3ELS4_3ELNS0_20block_scan_algorithmE0ELj4294967295EEENS1_25partition_config_selectorILNS1_17partition_subalgoE4EjNS0_10empty_typeEbEEZZNS1_14partition_implILS8_4ELb0ES6_15HIP_vector_typeIjLj2EENS0_17counting_iteratorIjlEEPS9_SG_NS0_5tupleIJPjSI_NS0_16reverse_iteratorISI_EEEEENSH_IJSG_SG_SG_EEES9_SI_JZNS1_25segmented_radix_sort_implINS0_14default_configELb0EPKiPiPKlPlN2at6native12_GLOBAL__N_18offset_tEEE10hipError_tPvRmT1_PNSt15iterator_traitsIS12_E10value_typeET2_T3_PNS13_IS18_E10value_typeET4_jRbjT5_S1E_jjP12ihipStream_tbEUljE_ZNSN_ISO_Lb0ESQ_SR_ST_SU_SY_EESZ_S10_S11_S12_S16_S17_S18_S1B_S1C_jS1D_jS1E_S1E_jjS1G_bEUljE0_EEESZ_S10_S11_S18_S1C_S1E_T6_T7_T9_mT8_S1G_bDpT10_ENKUlT_T0_E_clISt17integral_constantIbLb1EES1U_EEDaS1P_S1Q_EUlS1P_E_NS1_11comp_targetILNS1_3genE2ELNS1_11target_archE906ELNS1_3gpuE6ELNS1_3repE0EEENS1_30default_config_static_selectorELNS0_4arch9wavefront6targetE0EEEvS12_.numbered_sgpr, 0
	.set _ZN7rocprim17ROCPRIM_400000_NS6detail17trampoline_kernelINS0_13select_configILj256ELj13ELNS0_17block_load_methodE3ELS4_3ELS4_3ELNS0_20block_scan_algorithmE0ELj4294967295EEENS1_25partition_config_selectorILNS1_17partition_subalgoE4EjNS0_10empty_typeEbEEZZNS1_14partition_implILS8_4ELb0ES6_15HIP_vector_typeIjLj2EENS0_17counting_iteratorIjlEEPS9_SG_NS0_5tupleIJPjSI_NS0_16reverse_iteratorISI_EEEEENSH_IJSG_SG_SG_EEES9_SI_JZNS1_25segmented_radix_sort_implINS0_14default_configELb0EPKiPiPKlPlN2at6native12_GLOBAL__N_18offset_tEEE10hipError_tPvRmT1_PNSt15iterator_traitsIS12_E10value_typeET2_T3_PNS13_IS18_E10value_typeET4_jRbjT5_S1E_jjP12ihipStream_tbEUljE_ZNSN_ISO_Lb0ESQ_SR_ST_SU_SY_EESZ_S10_S11_S12_S16_S17_S18_S1B_S1C_jS1D_jS1E_S1E_jjS1G_bEUljE0_EEESZ_S10_S11_S18_S1C_S1E_T6_T7_T9_mT8_S1G_bDpT10_ENKUlT_T0_E_clISt17integral_constantIbLb1EES1U_EEDaS1P_S1Q_EUlS1P_E_NS1_11comp_targetILNS1_3genE2ELNS1_11target_archE906ELNS1_3gpuE6ELNS1_3repE0EEENS1_30default_config_static_selectorELNS0_4arch9wavefront6targetE0EEEvS12_.num_named_barrier, 0
	.set _ZN7rocprim17ROCPRIM_400000_NS6detail17trampoline_kernelINS0_13select_configILj256ELj13ELNS0_17block_load_methodE3ELS4_3ELS4_3ELNS0_20block_scan_algorithmE0ELj4294967295EEENS1_25partition_config_selectorILNS1_17partition_subalgoE4EjNS0_10empty_typeEbEEZZNS1_14partition_implILS8_4ELb0ES6_15HIP_vector_typeIjLj2EENS0_17counting_iteratorIjlEEPS9_SG_NS0_5tupleIJPjSI_NS0_16reverse_iteratorISI_EEEEENSH_IJSG_SG_SG_EEES9_SI_JZNS1_25segmented_radix_sort_implINS0_14default_configELb0EPKiPiPKlPlN2at6native12_GLOBAL__N_18offset_tEEE10hipError_tPvRmT1_PNSt15iterator_traitsIS12_E10value_typeET2_T3_PNS13_IS18_E10value_typeET4_jRbjT5_S1E_jjP12ihipStream_tbEUljE_ZNSN_ISO_Lb0ESQ_SR_ST_SU_SY_EESZ_S10_S11_S12_S16_S17_S18_S1B_S1C_jS1D_jS1E_S1E_jjS1G_bEUljE0_EEESZ_S10_S11_S18_S1C_S1E_T6_T7_T9_mT8_S1G_bDpT10_ENKUlT_T0_E_clISt17integral_constantIbLb1EES1U_EEDaS1P_S1Q_EUlS1P_E_NS1_11comp_targetILNS1_3genE2ELNS1_11target_archE906ELNS1_3gpuE6ELNS1_3repE0EEENS1_30default_config_static_selectorELNS0_4arch9wavefront6targetE0EEEvS12_.private_seg_size, 0
	.set _ZN7rocprim17ROCPRIM_400000_NS6detail17trampoline_kernelINS0_13select_configILj256ELj13ELNS0_17block_load_methodE3ELS4_3ELS4_3ELNS0_20block_scan_algorithmE0ELj4294967295EEENS1_25partition_config_selectorILNS1_17partition_subalgoE4EjNS0_10empty_typeEbEEZZNS1_14partition_implILS8_4ELb0ES6_15HIP_vector_typeIjLj2EENS0_17counting_iteratorIjlEEPS9_SG_NS0_5tupleIJPjSI_NS0_16reverse_iteratorISI_EEEEENSH_IJSG_SG_SG_EEES9_SI_JZNS1_25segmented_radix_sort_implINS0_14default_configELb0EPKiPiPKlPlN2at6native12_GLOBAL__N_18offset_tEEE10hipError_tPvRmT1_PNSt15iterator_traitsIS12_E10value_typeET2_T3_PNS13_IS18_E10value_typeET4_jRbjT5_S1E_jjP12ihipStream_tbEUljE_ZNSN_ISO_Lb0ESQ_SR_ST_SU_SY_EESZ_S10_S11_S12_S16_S17_S18_S1B_S1C_jS1D_jS1E_S1E_jjS1G_bEUljE0_EEESZ_S10_S11_S18_S1C_S1E_T6_T7_T9_mT8_S1G_bDpT10_ENKUlT_T0_E_clISt17integral_constantIbLb1EES1U_EEDaS1P_S1Q_EUlS1P_E_NS1_11comp_targetILNS1_3genE2ELNS1_11target_archE906ELNS1_3gpuE6ELNS1_3repE0EEENS1_30default_config_static_selectorELNS0_4arch9wavefront6targetE0EEEvS12_.uses_vcc, 0
	.set _ZN7rocprim17ROCPRIM_400000_NS6detail17trampoline_kernelINS0_13select_configILj256ELj13ELNS0_17block_load_methodE3ELS4_3ELS4_3ELNS0_20block_scan_algorithmE0ELj4294967295EEENS1_25partition_config_selectorILNS1_17partition_subalgoE4EjNS0_10empty_typeEbEEZZNS1_14partition_implILS8_4ELb0ES6_15HIP_vector_typeIjLj2EENS0_17counting_iteratorIjlEEPS9_SG_NS0_5tupleIJPjSI_NS0_16reverse_iteratorISI_EEEEENSH_IJSG_SG_SG_EEES9_SI_JZNS1_25segmented_radix_sort_implINS0_14default_configELb0EPKiPiPKlPlN2at6native12_GLOBAL__N_18offset_tEEE10hipError_tPvRmT1_PNSt15iterator_traitsIS12_E10value_typeET2_T3_PNS13_IS18_E10value_typeET4_jRbjT5_S1E_jjP12ihipStream_tbEUljE_ZNSN_ISO_Lb0ESQ_SR_ST_SU_SY_EESZ_S10_S11_S12_S16_S17_S18_S1B_S1C_jS1D_jS1E_S1E_jjS1G_bEUljE0_EEESZ_S10_S11_S18_S1C_S1E_T6_T7_T9_mT8_S1G_bDpT10_ENKUlT_T0_E_clISt17integral_constantIbLb1EES1U_EEDaS1P_S1Q_EUlS1P_E_NS1_11comp_targetILNS1_3genE2ELNS1_11target_archE906ELNS1_3gpuE6ELNS1_3repE0EEENS1_30default_config_static_selectorELNS0_4arch9wavefront6targetE0EEEvS12_.uses_flat_scratch, 0
	.set _ZN7rocprim17ROCPRIM_400000_NS6detail17trampoline_kernelINS0_13select_configILj256ELj13ELNS0_17block_load_methodE3ELS4_3ELS4_3ELNS0_20block_scan_algorithmE0ELj4294967295EEENS1_25partition_config_selectorILNS1_17partition_subalgoE4EjNS0_10empty_typeEbEEZZNS1_14partition_implILS8_4ELb0ES6_15HIP_vector_typeIjLj2EENS0_17counting_iteratorIjlEEPS9_SG_NS0_5tupleIJPjSI_NS0_16reverse_iteratorISI_EEEEENSH_IJSG_SG_SG_EEES9_SI_JZNS1_25segmented_radix_sort_implINS0_14default_configELb0EPKiPiPKlPlN2at6native12_GLOBAL__N_18offset_tEEE10hipError_tPvRmT1_PNSt15iterator_traitsIS12_E10value_typeET2_T3_PNS13_IS18_E10value_typeET4_jRbjT5_S1E_jjP12ihipStream_tbEUljE_ZNSN_ISO_Lb0ESQ_SR_ST_SU_SY_EESZ_S10_S11_S12_S16_S17_S18_S1B_S1C_jS1D_jS1E_S1E_jjS1G_bEUljE0_EEESZ_S10_S11_S18_S1C_S1E_T6_T7_T9_mT8_S1G_bDpT10_ENKUlT_T0_E_clISt17integral_constantIbLb1EES1U_EEDaS1P_S1Q_EUlS1P_E_NS1_11comp_targetILNS1_3genE2ELNS1_11target_archE906ELNS1_3gpuE6ELNS1_3repE0EEENS1_30default_config_static_selectorELNS0_4arch9wavefront6targetE0EEEvS12_.has_dyn_sized_stack, 0
	.set _ZN7rocprim17ROCPRIM_400000_NS6detail17trampoline_kernelINS0_13select_configILj256ELj13ELNS0_17block_load_methodE3ELS4_3ELS4_3ELNS0_20block_scan_algorithmE0ELj4294967295EEENS1_25partition_config_selectorILNS1_17partition_subalgoE4EjNS0_10empty_typeEbEEZZNS1_14partition_implILS8_4ELb0ES6_15HIP_vector_typeIjLj2EENS0_17counting_iteratorIjlEEPS9_SG_NS0_5tupleIJPjSI_NS0_16reverse_iteratorISI_EEEEENSH_IJSG_SG_SG_EEES9_SI_JZNS1_25segmented_radix_sort_implINS0_14default_configELb0EPKiPiPKlPlN2at6native12_GLOBAL__N_18offset_tEEE10hipError_tPvRmT1_PNSt15iterator_traitsIS12_E10value_typeET2_T3_PNS13_IS18_E10value_typeET4_jRbjT5_S1E_jjP12ihipStream_tbEUljE_ZNSN_ISO_Lb0ESQ_SR_ST_SU_SY_EESZ_S10_S11_S12_S16_S17_S18_S1B_S1C_jS1D_jS1E_S1E_jjS1G_bEUljE0_EEESZ_S10_S11_S18_S1C_S1E_T6_T7_T9_mT8_S1G_bDpT10_ENKUlT_T0_E_clISt17integral_constantIbLb1EES1U_EEDaS1P_S1Q_EUlS1P_E_NS1_11comp_targetILNS1_3genE2ELNS1_11target_archE906ELNS1_3gpuE6ELNS1_3repE0EEENS1_30default_config_static_selectorELNS0_4arch9wavefront6targetE0EEEvS12_.has_recursion, 0
	.set _ZN7rocprim17ROCPRIM_400000_NS6detail17trampoline_kernelINS0_13select_configILj256ELj13ELNS0_17block_load_methodE3ELS4_3ELS4_3ELNS0_20block_scan_algorithmE0ELj4294967295EEENS1_25partition_config_selectorILNS1_17partition_subalgoE4EjNS0_10empty_typeEbEEZZNS1_14partition_implILS8_4ELb0ES6_15HIP_vector_typeIjLj2EENS0_17counting_iteratorIjlEEPS9_SG_NS0_5tupleIJPjSI_NS0_16reverse_iteratorISI_EEEEENSH_IJSG_SG_SG_EEES9_SI_JZNS1_25segmented_radix_sort_implINS0_14default_configELb0EPKiPiPKlPlN2at6native12_GLOBAL__N_18offset_tEEE10hipError_tPvRmT1_PNSt15iterator_traitsIS12_E10value_typeET2_T3_PNS13_IS18_E10value_typeET4_jRbjT5_S1E_jjP12ihipStream_tbEUljE_ZNSN_ISO_Lb0ESQ_SR_ST_SU_SY_EESZ_S10_S11_S12_S16_S17_S18_S1B_S1C_jS1D_jS1E_S1E_jjS1G_bEUljE0_EEESZ_S10_S11_S18_S1C_S1E_T6_T7_T9_mT8_S1G_bDpT10_ENKUlT_T0_E_clISt17integral_constantIbLb1EES1U_EEDaS1P_S1Q_EUlS1P_E_NS1_11comp_targetILNS1_3genE2ELNS1_11target_archE906ELNS1_3gpuE6ELNS1_3repE0EEENS1_30default_config_static_selectorELNS0_4arch9wavefront6targetE0EEEvS12_.has_indirect_call, 0
	.section	.AMDGPU.csdata,"",@progbits
; Kernel info:
; codeLenInByte = 0
; TotalNumSgprs: 0
; NumVgprs: 0
; ScratchSize: 0
; MemoryBound: 0
; FloatMode: 240
; IeeeMode: 1
; LDSByteSize: 0 bytes/workgroup (compile time only)
; SGPRBlocks: 0
; VGPRBlocks: 0
; NumSGPRsForWavesPerEU: 1
; NumVGPRsForWavesPerEU: 1
; Occupancy: 16
; WaveLimiterHint : 0
; COMPUTE_PGM_RSRC2:SCRATCH_EN: 0
; COMPUTE_PGM_RSRC2:USER_SGPR: 6
; COMPUTE_PGM_RSRC2:TRAP_HANDLER: 0
; COMPUTE_PGM_RSRC2:TGID_X_EN: 1
; COMPUTE_PGM_RSRC2:TGID_Y_EN: 0
; COMPUTE_PGM_RSRC2:TGID_Z_EN: 0
; COMPUTE_PGM_RSRC2:TIDIG_COMP_CNT: 0
	.section	.text._ZN7rocprim17ROCPRIM_400000_NS6detail17trampoline_kernelINS0_13select_configILj256ELj13ELNS0_17block_load_methodE3ELS4_3ELS4_3ELNS0_20block_scan_algorithmE0ELj4294967295EEENS1_25partition_config_selectorILNS1_17partition_subalgoE4EjNS0_10empty_typeEbEEZZNS1_14partition_implILS8_4ELb0ES6_15HIP_vector_typeIjLj2EENS0_17counting_iteratorIjlEEPS9_SG_NS0_5tupleIJPjSI_NS0_16reverse_iteratorISI_EEEEENSH_IJSG_SG_SG_EEES9_SI_JZNS1_25segmented_radix_sort_implINS0_14default_configELb0EPKiPiPKlPlN2at6native12_GLOBAL__N_18offset_tEEE10hipError_tPvRmT1_PNSt15iterator_traitsIS12_E10value_typeET2_T3_PNS13_IS18_E10value_typeET4_jRbjT5_S1E_jjP12ihipStream_tbEUljE_ZNSN_ISO_Lb0ESQ_SR_ST_SU_SY_EESZ_S10_S11_S12_S16_S17_S18_S1B_S1C_jS1D_jS1E_S1E_jjS1G_bEUljE0_EEESZ_S10_S11_S18_S1C_S1E_T6_T7_T9_mT8_S1G_bDpT10_ENKUlT_T0_E_clISt17integral_constantIbLb1EES1U_EEDaS1P_S1Q_EUlS1P_E_NS1_11comp_targetILNS1_3genE10ELNS1_11target_archE1200ELNS1_3gpuE4ELNS1_3repE0EEENS1_30default_config_static_selectorELNS0_4arch9wavefront6targetE0EEEvS12_,"axG",@progbits,_ZN7rocprim17ROCPRIM_400000_NS6detail17trampoline_kernelINS0_13select_configILj256ELj13ELNS0_17block_load_methodE3ELS4_3ELS4_3ELNS0_20block_scan_algorithmE0ELj4294967295EEENS1_25partition_config_selectorILNS1_17partition_subalgoE4EjNS0_10empty_typeEbEEZZNS1_14partition_implILS8_4ELb0ES6_15HIP_vector_typeIjLj2EENS0_17counting_iteratorIjlEEPS9_SG_NS0_5tupleIJPjSI_NS0_16reverse_iteratorISI_EEEEENSH_IJSG_SG_SG_EEES9_SI_JZNS1_25segmented_radix_sort_implINS0_14default_configELb0EPKiPiPKlPlN2at6native12_GLOBAL__N_18offset_tEEE10hipError_tPvRmT1_PNSt15iterator_traitsIS12_E10value_typeET2_T3_PNS13_IS18_E10value_typeET4_jRbjT5_S1E_jjP12ihipStream_tbEUljE_ZNSN_ISO_Lb0ESQ_SR_ST_SU_SY_EESZ_S10_S11_S12_S16_S17_S18_S1B_S1C_jS1D_jS1E_S1E_jjS1G_bEUljE0_EEESZ_S10_S11_S18_S1C_S1E_T6_T7_T9_mT8_S1G_bDpT10_ENKUlT_T0_E_clISt17integral_constantIbLb1EES1U_EEDaS1P_S1Q_EUlS1P_E_NS1_11comp_targetILNS1_3genE10ELNS1_11target_archE1200ELNS1_3gpuE4ELNS1_3repE0EEENS1_30default_config_static_selectorELNS0_4arch9wavefront6targetE0EEEvS12_,comdat
	.globl	_ZN7rocprim17ROCPRIM_400000_NS6detail17trampoline_kernelINS0_13select_configILj256ELj13ELNS0_17block_load_methodE3ELS4_3ELS4_3ELNS0_20block_scan_algorithmE0ELj4294967295EEENS1_25partition_config_selectorILNS1_17partition_subalgoE4EjNS0_10empty_typeEbEEZZNS1_14partition_implILS8_4ELb0ES6_15HIP_vector_typeIjLj2EENS0_17counting_iteratorIjlEEPS9_SG_NS0_5tupleIJPjSI_NS0_16reverse_iteratorISI_EEEEENSH_IJSG_SG_SG_EEES9_SI_JZNS1_25segmented_radix_sort_implINS0_14default_configELb0EPKiPiPKlPlN2at6native12_GLOBAL__N_18offset_tEEE10hipError_tPvRmT1_PNSt15iterator_traitsIS12_E10value_typeET2_T3_PNS13_IS18_E10value_typeET4_jRbjT5_S1E_jjP12ihipStream_tbEUljE_ZNSN_ISO_Lb0ESQ_SR_ST_SU_SY_EESZ_S10_S11_S12_S16_S17_S18_S1B_S1C_jS1D_jS1E_S1E_jjS1G_bEUljE0_EEESZ_S10_S11_S18_S1C_S1E_T6_T7_T9_mT8_S1G_bDpT10_ENKUlT_T0_E_clISt17integral_constantIbLb1EES1U_EEDaS1P_S1Q_EUlS1P_E_NS1_11comp_targetILNS1_3genE10ELNS1_11target_archE1200ELNS1_3gpuE4ELNS1_3repE0EEENS1_30default_config_static_selectorELNS0_4arch9wavefront6targetE0EEEvS12_ ; -- Begin function _ZN7rocprim17ROCPRIM_400000_NS6detail17trampoline_kernelINS0_13select_configILj256ELj13ELNS0_17block_load_methodE3ELS4_3ELS4_3ELNS0_20block_scan_algorithmE0ELj4294967295EEENS1_25partition_config_selectorILNS1_17partition_subalgoE4EjNS0_10empty_typeEbEEZZNS1_14partition_implILS8_4ELb0ES6_15HIP_vector_typeIjLj2EENS0_17counting_iteratorIjlEEPS9_SG_NS0_5tupleIJPjSI_NS0_16reverse_iteratorISI_EEEEENSH_IJSG_SG_SG_EEES9_SI_JZNS1_25segmented_radix_sort_implINS0_14default_configELb0EPKiPiPKlPlN2at6native12_GLOBAL__N_18offset_tEEE10hipError_tPvRmT1_PNSt15iterator_traitsIS12_E10value_typeET2_T3_PNS13_IS18_E10value_typeET4_jRbjT5_S1E_jjP12ihipStream_tbEUljE_ZNSN_ISO_Lb0ESQ_SR_ST_SU_SY_EESZ_S10_S11_S12_S16_S17_S18_S1B_S1C_jS1D_jS1E_S1E_jjS1G_bEUljE0_EEESZ_S10_S11_S18_S1C_S1E_T6_T7_T9_mT8_S1G_bDpT10_ENKUlT_T0_E_clISt17integral_constantIbLb1EES1U_EEDaS1P_S1Q_EUlS1P_E_NS1_11comp_targetILNS1_3genE10ELNS1_11target_archE1200ELNS1_3gpuE4ELNS1_3repE0EEENS1_30default_config_static_selectorELNS0_4arch9wavefront6targetE0EEEvS12_
	.p2align	8
	.type	_ZN7rocprim17ROCPRIM_400000_NS6detail17trampoline_kernelINS0_13select_configILj256ELj13ELNS0_17block_load_methodE3ELS4_3ELS4_3ELNS0_20block_scan_algorithmE0ELj4294967295EEENS1_25partition_config_selectorILNS1_17partition_subalgoE4EjNS0_10empty_typeEbEEZZNS1_14partition_implILS8_4ELb0ES6_15HIP_vector_typeIjLj2EENS0_17counting_iteratorIjlEEPS9_SG_NS0_5tupleIJPjSI_NS0_16reverse_iteratorISI_EEEEENSH_IJSG_SG_SG_EEES9_SI_JZNS1_25segmented_radix_sort_implINS0_14default_configELb0EPKiPiPKlPlN2at6native12_GLOBAL__N_18offset_tEEE10hipError_tPvRmT1_PNSt15iterator_traitsIS12_E10value_typeET2_T3_PNS13_IS18_E10value_typeET4_jRbjT5_S1E_jjP12ihipStream_tbEUljE_ZNSN_ISO_Lb0ESQ_SR_ST_SU_SY_EESZ_S10_S11_S12_S16_S17_S18_S1B_S1C_jS1D_jS1E_S1E_jjS1G_bEUljE0_EEESZ_S10_S11_S18_S1C_S1E_T6_T7_T9_mT8_S1G_bDpT10_ENKUlT_T0_E_clISt17integral_constantIbLb1EES1U_EEDaS1P_S1Q_EUlS1P_E_NS1_11comp_targetILNS1_3genE10ELNS1_11target_archE1200ELNS1_3gpuE4ELNS1_3repE0EEENS1_30default_config_static_selectorELNS0_4arch9wavefront6targetE0EEEvS12_,@function
_ZN7rocprim17ROCPRIM_400000_NS6detail17trampoline_kernelINS0_13select_configILj256ELj13ELNS0_17block_load_methodE3ELS4_3ELS4_3ELNS0_20block_scan_algorithmE0ELj4294967295EEENS1_25partition_config_selectorILNS1_17partition_subalgoE4EjNS0_10empty_typeEbEEZZNS1_14partition_implILS8_4ELb0ES6_15HIP_vector_typeIjLj2EENS0_17counting_iteratorIjlEEPS9_SG_NS0_5tupleIJPjSI_NS0_16reverse_iteratorISI_EEEEENSH_IJSG_SG_SG_EEES9_SI_JZNS1_25segmented_radix_sort_implINS0_14default_configELb0EPKiPiPKlPlN2at6native12_GLOBAL__N_18offset_tEEE10hipError_tPvRmT1_PNSt15iterator_traitsIS12_E10value_typeET2_T3_PNS13_IS18_E10value_typeET4_jRbjT5_S1E_jjP12ihipStream_tbEUljE_ZNSN_ISO_Lb0ESQ_SR_ST_SU_SY_EESZ_S10_S11_S12_S16_S17_S18_S1B_S1C_jS1D_jS1E_S1E_jjS1G_bEUljE0_EEESZ_S10_S11_S18_S1C_S1E_T6_T7_T9_mT8_S1G_bDpT10_ENKUlT_T0_E_clISt17integral_constantIbLb1EES1U_EEDaS1P_S1Q_EUlS1P_E_NS1_11comp_targetILNS1_3genE10ELNS1_11target_archE1200ELNS1_3gpuE4ELNS1_3repE0EEENS1_30default_config_static_selectorELNS0_4arch9wavefront6targetE0EEEvS12_: ; @_ZN7rocprim17ROCPRIM_400000_NS6detail17trampoline_kernelINS0_13select_configILj256ELj13ELNS0_17block_load_methodE3ELS4_3ELS4_3ELNS0_20block_scan_algorithmE0ELj4294967295EEENS1_25partition_config_selectorILNS1_17partition_subalgoE4EjNS0_10empty_typeEbEEZZNS1_14partition_implILS8_4ELb0ES6_15HIP_vector_typeIjLj2EENS0_17counting_iteratorIjlEEPS9_SG_NS0_5tupleIJPjSI_NS0_16reverse_iteratorISI_EEEEENSH_IJSG_SG_SG_EEES9_SI_JZNS1_25segmented_radix_sort_implINS0_14default_configELb0EPKiPiPKlPlN2at6native12_GLOBAL__N_18offset_tEEE10hipError_tPvRmT1_PNSt15iterator_traitsIS12_E10value_typeET2_T3_PNS13_IS18_E10value_typeET4_jRbjT5_S1E_jjP12ihipStream_tbEUljE_ZNSN_ISO_Lb0ESQ_SR_ST_SU_SY_EESZ_S10_S11_S12_S16_S17_S18_S1B_S1C_jS1D_jS1E_S1E_jjS1G_bEUljE0_EEESZ_S10_S11_S18_S1C_S1E_T6_T7_T9_mT8_S1G_bDpT10_ENKUlT_T0_E_clISt17integral_constantIbLb1EES1U_EEDaS1P_S1Q_EUlS1P_E_NS1_11comp_targetILNS1_3genE10ELNS1_11target_archE1200ELNS1_3gpuE4ELNS1_3repE0EEENS1_30default_config_static_selectorELNS0_4arch9wavefront6targetE0EEEvS12_
; %bb.0:
	.section	.rodata,"a",@progbits
	.p2align	6, 0x0
	.amdhsa_kernel _ZN7rocprim17ROCPRIM_400000_NS6detail17trampoline_kernelINS0_13select_configILj256ELj13ELNS0_17block_load_methodE3ELS4_3ELS4_3ELNS0_20block_scan_algorithmE0ELj4294967295EEENS1_25partition_config_selectorILNS1_17partition_subalgoE4EjNS0_10empty_typeEbEEZZNS1_14partition_implILS8_4ELb0ES6_15HIP_vector_typeIjLj2EENS0_17counting_iteratorIjlEEPS9_SG_NS0_5tupleIJPjSI_NS0_16reverse_iteratorISI_EEEEENSH_IJSG_SG_SG_EEES9_SI_JZNS1_25segmented_radix_sort_implINS0_14default_configELb0EPKiPiPKlPlN2at6native12_GLOBAL__N_18offset_tEEE10hipError_tPvRmT1_PNSt15iterator_traitsIS12_E10value_typeET2_T3_PNS13_IS18_E10value_typeET4_jRbjT5_S1E_jjP12ihipStream_tbEUljE_ZNSN_ISO_Lb0ESQ_SR_ST_SU_SY_EESZ_S10_S11_S12_S16_S17_S18_S1B_S1C_jS1D_jS1E_S1E_jjS1G_bEUljE0_EEESZ_S10_S11_S18_S1C_S1E_T6_T7_T9_mT8_S1G_bDpT10_ENKUlT_T0_E_clISt17integral_constantIbLb1EES1U_EEDaS1P_S1Q_EUlS1P_E_NS1_11comp_targetILNS1_3genE10ELNS1_11target_archE1200ELNS1_3gpuE4ELNS1_3repE0EEENS1_30default_config_static_selectorELNS0_4arch9wavefront6targetE0EEEvS12_
		.amdhsa_group_segment_fixed_size 0
		.amdhsa_private_segment_fixed_size 0
		.amdhsa_kernarg_size 184
		.amdhsa_user_sgpr_count 6
		.amdhsa_user_sgpr_private_segment_buffer 1
		.amdhsa_user_sgpr_dispatch_ptr 0
		.amdhsa_user_sgpr_queue_ptr 0
		.amdhsa_user_sgpr_kernarg_segment_ptr 1
		.amdhsa_user_sgpr_dispatch_id 0
		.amdhsa_user_sgpr_flat_scratch_init 0
		.amdhsa_user_sgpr_private_segment_size 0
		.amdhsa_wavefront_size32 1
		.amdhsa_uses_dynamic_stack 0
		.amdhsa_system_sgpr_private_segment_wavefront_offset 0
		.amdhsa_system_sgpr_workgroup_id_x 1
		.amdhsa_system_sgpr_workgroup_id_y 0
		.amdhsa_system_sgpr_workgroup_id_z 0
		.amdhsa_system_sgpr_workgroup_info 0
		.amdhsa_system_vgpr_workitem_id 0
		.amdhsa_next_free_vgpr 1
		.amdhsa_next_free_sgpr 1
		.amdhsa_reserve_vcc 0
		.amdhsa_reserve_flat_scratch 0
		.amdhsa_float_round_mode_32 0
		.amdhsa_float_round_mode_16_64 0
		.amdhsa_float_denorm_mode_32 3
		.amdhsa_float_denorm_mode_16_64 3
		.amdhsa_dx10_clamp 1
		.amdhsa_ieee_mode 1
		.amdhsa_fp16_overflow 0
		.amdhsa_workgroup_processor_mode 1
		.amdhsa_memory_ordered 1
		.amdhsa_forward_progress 1
		.amdhsa_shared_vgpr_count 0
		.amdhsa_exception_fp_ieee_invalid_op 0
		.amdhsa_exception_fp_denorm_src 0
		.amdhsa_exception_fp_ieee_div_zero 0
		.amdhsa_exception_fp_ieee_overflow 0
		.amdhsa_exception_fp_ieee_underflow 0
		.amdhsa_exception_fp_ieee_inexact 0
		.amdhsa_exception_int_div_zero 0
	.end_amdhsa_kernel
	.section	.text._ZN7rocprim17ROCPRIM_400000_NS6detail17trampoline_kernelINS0_13select_configILj256ELj13ELNS0_17block_load_methodE3ELS4_3ELS4_3ELNS0_20block_scan_algorithmE0ELj4294967295EEENS1_25partition_config_selectorILNS1_17partition_subalgoE4EjNS0_10empty_typeEbEEZZNS1_14partition_implILS8_4ELb0ES6_15HIP_vector_typeIjLj2EENS0_17counting_iteratorIjlEEPS9_SG_NS0_5tupleIJPjSI_NS0_16reverse_iteratorISI_EEEEENSH_IJSG_SG_SG_EEES9_SI_JZNS1_25segmented_radix_sort_implINS0_14default_configELb0EPKiPiPKlPlN2at6native12_GLOBAL__N_18offset_tEEE10hipError_tPvRmT1_PNSt15iterator_traitsIS12_E10value_typeET2_T3_PNS13_IS18_E10value_typeET4_jRbjT5_S1E_jjP12ihipStream_tbEUljE_ZNSN_ISO_Lb0ESQ_SR_ST_SU_SY_EESZ_S10_S11_S12_S16_S17_S18_S1B_S1C_jS1D_jS1E_S1E_jjS1G_bEUljE0_EEESZ_S10_S11_S18_S1C_S1E_T6_T7_T9_mT8_S1G_bDpT10_ENKUlT_T0_E_clISt17integral_constantIbLb1EES1U_EEDaS1P_S1Q_EUlS1P_E_NS1_11comp_targetILNS1_3genE10ELNS1_11target_archE1200ELNS1_3gpuE4ELNS1_3repE0EEENS1_30default_config_static_selectorELNS0_4arch9wavefront6targetE0EEEvS12_,"axG",@progbits,_ZN7rocprim17ROCPRIM_400000_NS6detail17trampoline_kernelINS0_13select_configILj256ELj13ELNS0_17block_load_methodE3ELS4_3ELS4_3ELNS0_20block_scan_algorithmE0ELj4294967295EEENS1_25partition_config_selectorILNS1_17partition_subalgoE4EjNS0_10empty_typeEbEEZZNS1_14partition_implILS8_4ELb0ES6_15HIP_vector_typeIjLj2EENS0_17counting_iteratorIjlEEPS9_SG_NS0_5tupleIJPjSI_NS0_16reverse_iteratorISI_EEEEENSH_IJSG_SG_SG_EEES9_SI_JZNS1_25segmented_radix_sort_implINS0_14default_configELb0EPKiPiPKlPlN2at6native12_GLOBAL__N_18offset_tEEE10hipError_tPvRmT1_PNSt15iterator_traitsIS12_E10value_typeET2_T3_PNS13_IS18_E10value_typeET4_jRbjT5_S1E_jjP12ihipStream_tbEUljE_ZNSN_ISO_Lb0ESQ_SR_ST_SU_SY_EESZ_S10_S11_S12_S16_S17_S18_S1B_S1C_jS1D_jS1E_S1E_jjS1G_bEUljE0_EEESZ_S10_S11_S18_S1C_S1E_T6_T7_T9_mT8_S1G_bDpT10_ENKUlT_T0_E_clISt17integral_constantIbLb1EES1U_EEDaS1P_S1Q_EUlS1P_E_NS1_11comp_targetILNS1_3genE10ELNS1_11target_archE1200ELNS1_3gpuE4ELNS1_3repE0EEENS1_30default_config_static_selectorELNS0_4arch9wavefront6targetE0EEEvS12_,comdat
.Lfunc_end544:
	.size	_ZN7rocprim17ROCPRIM_400000_NS6detail17trampoline_kernelINS0_13select_configILj256ELj13ELNS0_17block_load_methodE3ELS4_3ELS4_3ELNS0_20block_scan_algorithmE0ELj4294967295EEENS1_25partition_config_selectorILNS1_17partition_subalgoE4EjNS0_10empty_typeEbEEZZNS1_14partition_implILS8_4ELb0ES6_15HIP_vector_typeIjLj2EENS0_17counting_iteratorIjlEEPS9_SG_NS0_5tupleIJPjSI_NS0_16reverse_iteratorISI_EEEEENSH_IJSG_SG_SG_EEES9_SI_JZNS1_25segmented_radix_sort_implINS0_14default_configELb0EPKiPiPKlPlN2at6native12_GLOBAL__N_18offset_tEEE10hipError_tPvRmT1_PNSt15iterator_traitsIS12_E10value_typeET2_T3_PNS13_IS18_E10value_typeET4_jRbjT5_S1E_jjP12ihipStream_tbEUljE_ZNSN_ISO_Lb0ESQ_SR_ST_SU_SY_EESZ_S10_S11_S12_S16_S17_S18_S1B_S1C_jS1D_jS1E_S1E_jjS1G_bEUljE0_EEESZ_S10_S11_S18_S1C_S1E_T6_T7_T9_mT8_S1G_bDpT10_ENKUlT_T0_E_clISt17integral_constantIbLb1EES1U_EEDaS1P_S1Q_EUlS1P_E_NS1_11comp_targetILNS1_3genE10ELNS1_11target_archE1200ELNS1_3gpuE4ELNS1_3repE0EEENS1_30default_config_static_selectorELNS0_4arch9wavefront6targetE0EEEvS12_, .Lfunc_end544-_ZN7rocprim17ROCPRIM_400000_NS6detail17trampoline_kernelINS0_13select_configILj256ELj13ELNS0_17block_load_methodE3ELS4_3ELS4_3ELNS0_20block_scan_algorithmE0ELj4294967295EEENS1_25partition_config_selectorILNS1_17partition_subalgoE4EjNS0_10empty_typeEbEEZZNS1_14partition_implILS8_4ELb0ES6_15HIP_vector_typeIjLj2EENS0_17counting_iteratorIjlEEPS9_SG_NS0_5tupleIJPjSI_NS0_16reverse_iteratorISI_EEEEENSH_IJSG_SG_SG_EEES9_SI_JZNS1_25segmented_radix_sort_implINS0_14default_configELb0EPKiPiPKlPlN2at6native12_GLOBAL__N_18offset_tEEE10hipError_tPvRmT1_PNSt15iterator_traitsIS12_E10value_typeET2_T3_PNS13_IS18_E10value_typeET4_jRbjT5_S1E_jjP12ihipStream_tbEUljE_ZNSN_ISO_Lb0ESQ_SR_ST_SU_SY_EESZ_S10_S11_S12_S16_S17_S18_S1B_S1C_jS1D_jS1E_S1E_jjS1G_bEUljE0_EEESZ_S10_S11_S18_S1C_S1E_T6_T7_T9_mT8_S1G_bDpT10_ENKUlT_T0_E_clISt17integral_constantIbLb1EES1U_EEDaS1P_S1Q_EUlS1P_E_NS1_11comp_targetILNS1_3genE10ELNS1_11target_archE1200ELNS1_3gpuE4ELNS1_3repE0EEENS1_30default_config_static_selectorELNS0_4arch9wavefront6targetE0EEEvS12_
                                        ; -- End function
	.set _ZN7rocprim17ROCPRIM_400000_NS6detail17trampoline_kernelINS0_13select_configILj256ELj13ELNS0_17block_load_methodE3ELS4_3ELS4_3ELNS0_20block_scan_algorithmE0ELj4294967295EEENS1_25partition_config_selectorILNS1_17partition_subalgoE4EjNS0_10empty_typeEbEEZZNS1_14partition_implILS8_4ELb0ES6_15HIP_vector_typeIjLj2EENS0_17counting_iteratorIjlEEPS9_SG_NS0_5tupleIJPjSI_NS0_16reverse_iteratorISI_EEEEENSH_IJSG_SG_SG_EEES9_SI_JZNS1_25segmented_radix_sort_implINS0_14default_configELb0EPKiPiPKlPlN2at6native12_GLOBAL__N_18offset_tEEE10hipError_tPvRmT1_PNSt15iterator_traitsIS12_E10value_typeET2_T3_PNS13_IS18_E10value_typeET4_jRbjT5_S1E_jjP12ihipStream_tbEUljE_ZNSN_ISO_Lb0ESQ_SR_ST_SU_SY_EESZ_S10_S11_S12_S16_S17_S18_S1B_S1C_jS1D_jS1E_S1E_jjS1G_bEUljE0_EEESZ_S10_S11_S18_S1C_S1E_T6_T7_T9_mT8_S1G_bDpT10_ENKUlT_T0_E_clISt17integral_constantIbLb1EES1U_EEDaS1P_S1Q_EUlS1P_E_NS1_11comp_targetILNS1_3genE10ELNS1_11target_archE1200ELNS1_3gpuE4ELNS1_3repE0EEENS1_30default_config_static_selectorELNS0_4arch9wavefront6targetE0EEEvS12_.num_vgpr, 0
	.set _ZN7rocprim17ROCPRIM_400000_NS6detail17trampoline_kernelINS0_13select_configILj256ELj13ELNS0_17block_load_methodE3ELS4_3ELS4_3ELNS0_20block_scan_algorithmE0ELj4294967295EEENS1_25partition_config_selectorILNS1_17partition_subalgoE4EjNS0_10empty_typeEbEEZZNS1_14partition_implILS8_4ELb0ES6_15HIP_vector_typeIjLj2EENS0_17counting_iteratorIjlEEPS9_SG_NS0_5tupleIJPjSI_NS0_16reverse_iteratorISI_EEEEENSH_IJSG_SG_SG_EEES9_SI_JZNS1_25segmented_radix_sort_implINS0_14default_configELb0EPKiPiPKlPlN2at6native12_GLOBAL__N_18offset_tEEE10hipError_tPvRmT1_PNSt15iterator_traitsIS12_E10value_typeET2_T3_PNS13_IS18_E10value_typeET4_jRbjT5_S1E_jjP12ihipStream_tbEUljE_ZNSN_ISO_Lb0ESQ_SR_ST_SU_SY_EESZ_S10_S11_S12_S16_S17_S18_S1B_S1C_jS1D_jS1E_S1E_jjS1G_bEUljE0_EEESZ_S10_S11_S18_S1C_S1E_T6_T7_T9_mT8_S1G_bDpT10_ENKUlT_T0_E_clISt17integral_constantIbLb1EES1U_EEDaS1P_S1Q_EUlS1P_E_NS1_11comp_targetILNS1_3genE10ELNS1_11target_archE1200ELNS1_3gpuE4ELNS1_3repE0EEENS1_30default_config_static_selectorELNS0_4arch9wavefront6targetE0EEEvS12_.num_agpr, 0
	.set _ZN7rocprim17ROCPRIM_400000_NS6detail17trampoline_kernelINS0_13select_configILj256ELj13ELNS0_17block_load_methodE3ELS4_3ELS4_3ELNS0_20block_scan_algorithmE0ELj4294967295EEENS1_25partition_config_selectorILNS1_17partition_subalgoE4EjNS0_10empty_typeEbEEZZNS1_14partition_implILS8_4ELb0ES6_15HIP_vector_typeIjLj2EENS0_17counting_iteratorIjlEEPS9_SG_NS0_5tupleIJPjSI_NS0_16reverse_iteratorISI_EEEEENSH_IJSG_SG_SG_EEES9_SI_JZNS1_25segmented_radix_sort_implINS0_14default_configELb0EPKiPiPKlPlN2at6native12_GLOBAL__N_18offset_tEEE10hipError_tPvRmT1_PNSt15iterator_traitsIS12_E10value_typeET2_T3_PNS13_IS18_E10value_typeET4_jRbjT5_S1E_jjP12ihipStream_tbEUljE_ZNSN_ISO_Lb0ESQ_SR_ST_SU_SY_EESZ_S10_S11_S12_S16_S17_S18_S1B_S1C_jS1D_jS1E_S1E_jjS1G_bEUljE0_EEESZ_S10_S11_S18_S1C_S1E_T6_T7_T9_mT8_S1G_bDpT10_ENKUlT_T0_E_clISt17integral_constantIbLb1EES1U_EEDaS1P_S1Q_EUlS1P_E_NS1_11comp_targetILNS1_3genE10ELNS1_11target_archE1200ELNS1_3gpuE4ELNS1_3repE0EEENS1_30default_config_static_selectorELNS0_4arch9wavefront6targetE0EEEvS12_.numbered_sgpr, 0
	.set _ZN7rocprim17ROCPRIM_400000_NS6detail17trampoline_kernelINS0_13select_configILj256ELj13ELNS0_17block_load_methodE3ELS4_3ELS4_3ELNS0_20block_scan_algorithmE0ELj4294967295EEENS1_25partition_config_selectorILNS1_17partition_subalgoE4EjNS0_10empty_typeEbEEZZNS1_14partition_implILS8_4ELb0ES6_15HIP_vector_typeIjLj2EENS0_17counting_iteratorIjlEEPS9_SG_NS0_5tupleIJPjSI_NS0_16reverse_iteratorISI_EEEEENSH_IJSG_SG_SG_EEES9_SI_JZNS1_25segmented_radix_sort_implINS0_14default_configELb0EPKiPiPKlPlN2at6native12_GLOBAL__N_18offset_tEEE10hipError_tPvRmT1_PNSt15iterator_traitsIS12_E10value_typeET2_T3_PNS13_IS18_E10value_typeET4_jRbjT5_S1E_jjP12ihipStream_tbEUljE_ZNSN_ISO_Lb0ESQ_SR_ST_SU_SY_EESZ_S10_S11_S12_S16_S17_S18_S1B_S1C_jS1D_jS1E_S1E_jjS1G_bEUljE0_EEESZ_S10_S11_S18_S1C_S1E_T6_T7_T9_mT8_S1G_bDpT10_ENKUlT_T0_E_clISt17integral_constantIbLb1EES1U_EEDaS1P_S1Q_EUlS1P_E_NS1_11comp_targetILNS1_3genE10ELNS1_11target_archE1200ELNS1_3gpuE4ELNS1_3repE0EEENS1_30default_config_static_selectorELNS0_4arch9wavefront6targetE0EEEvS12_.num_named_barrier, 0
	.set _ZN7rocprim17ROCPRIM_400000_NS6detail17trampoline_kernelINS0_13select_configILj256ELj13ELNS0_17block_load_methodE3ELS4_3ELS4_3ELNS0_20block_scan_algorithmE0ELj4294967295EEENS1_25partition_config_selectorILNS1_17partition_subalgoE4EjNS0_10empty_typeEbEEZZNS1_14partition_implILS8_4ELb0ES6_15HIP_vector_typeIjLj2EENS0_17counting_iteratorIjlEEPS9_SG_NS0_5tupleIJPjSI_NS0_16reverse_iteratorISI_EEEEENSH_IJSG_SG_SG_EEES9_SI_JZNS1_25segmented_radix_sort_implINS0_14default_configELb0EPKiPiPKlPlN2at6native12_GLOBAL__N_18offset_tEEE10hipError_tPvRmT1_PNSt15iterator_traitsIS12_E10value_typeET2_T3_PNS13_IS18_E10value_typeET4_jRbjT5_S1E_jjP12ihipStream_tbEUljE_ZNSN_ISO_Lb0ESQ_SR_ST_SU_SY_EESZ_S10_S11_S12_S16_S17_S18_S1B_S1C_jS1D_jS1E_S1E_jjS1G_bEUljE0_EEESZ_S10_S11_S18_S1C_S1E_T6_T7_T9_mT8_S1G_bDpT10_ENKUlT_T0_E_clISt17integral_constantIbLb1EES1U_EEDaS1P_S1Q_EUlS1P_E_NS1_11comp_targetILNS1_3genE10ELNS1_11target_archE1200ELNS1_3gpuE4ELNS1_3repE0EEENS1_30default_config_static_selectorELNS0_4arch9wavefront6targetE0EEEvS12_.private_seg_size, 0
	.set _ZN7rocprim17ROCPRIM_400000_NS6detail17trampoline_kernelINS0_13select_configILj256ELj13ELNS0_17block_load_methodE3ELS4_3ELS4_3ELNS0_20block_scan_algorithmE0ELj4294967295EEENS1_25partition_config_selectorILNS1_17partition_subalgoE4EjNS0_10empty_typeEbEEZZNS1_14partition_implILS8_4ELb0ES6_15HIP_vector_typeIjLj2EENS0_17counting_iteratorIjlEEPS9_SG_NS0_5tupleIJPjSI_NS0_16reverse_iteratorISI_EEEEENSH_IJSG_SG_SG_EEES9_SI_JZNS1_25segmented_radix_sort_implINS0_14default_configELb0EPKiPiPKlPlN2at6native12_GLOBAL__N_18offset_tEEE10hipError_tPvRmT1_PNSt15iterator_traitsIS12_E10value_typeET2_T3_PNS13_IS18_E10value_typeET4_jRbjT5_S1E_jjP12ihipStream_tbEUljE_ZNSN_ISO_Lb0ESQ_SR_ST_SU_SY_EESZ_S10_S11_S12_S16_S17_S18_S1B_S1C_jS1D_jS1E_S1E_jjS1G_bEUljE0_EEESZ_S10_S11_S18_S1C_S1E_T6_T7_T9_mT8_S1G_bDpT10_ENKUlT_T0_E_clISt17integral_constantIbLb1EES1U_EEDaS1P_S1Q_EUlS1P_E_NS1_11comp_targetILNS1_3genE10ELNS1_11target_archE1200ELNS1_3gpuE4ELNS1_3repE0EEENS1_30default_config_static_selectorELNS0_4arch9wavefront6targetE0EEEvS12_.uses_vcc, 0
	.set _ZN7rocprim17ROCPRIM_400000_NS6detail17trampoline_kernelINS0_13select_configILj256ELj13ELNS0_17block_load_methodE3ELS4_3ELS4_3ELNS0_20block_scan_algorithmE0ELj4294967295EEENS1_25partition_config_selectorILNS1_17partition_subalgoE4EjNS0_10empty_typeEbEEZZNS1_14partition_implILS8_4ELb0ES6_15HIP_vector_typeIjLj2EENS0_17counting_iteratorIjlEEPS9_SG_NS0_5tupleIJPjSI_NS0_16reverse_iteratorISI_EEEEENSH_IJSG_SG_SG_EEES9_SI_JZNS1_25segmented_radix_sort_implINS0_14default_configELb0EPKiPiPKlPlN2at6native12_GLOBAL__N_18offset_tEEE10hipError_tPvRmT1_PNSt15iterator_traitsIS12_E10value_typeET2_T3_PNS13_IS18_E10value_typeET4_jRbjT5_S1E_jjP12ihipStream_tbEUljE_ZNSN_ISO_Lb0ESQ_SR_ST_SU_SY_EESZ_S10_S11_S12_S16_S17_S18_S1B_S1C_jS1D_jS1E_S1E_jjS1G_bEUljE0_EEESZ_S10_S11_S18_S1C_S1E_T6_T7_T9_mT8_S1G_bDpT10_ENKUlT_T0_E_clISt17integral_constantIbLb1EES1U_EEDaS1P_S1Q_EUlS1P_E_NS1_11comp_targetILNS1_3genE10ELNS1_11target_archE1200ELNS1_3gpuE4ELNS1_3repE0EEENS1_30default_config_static_selectorELNS0_4arch9wavefront6targetE0EEEvS12_.uses_flat_scratch, 0
	.set _ZN7rocprim17ROCPRIM_400000_NS6detail17trampoline_kernelINS0_13select_configILj256ELj13ELNS0_17block_load_methodE3ELS4_3ELS4_3ELNS0_20block_scan_algorithmE0ELj4294967295EEENS1_25partition_config_selectorILNS1_17partition_subalgoE4EjNS0_10empty_typeEbEEZZNS1_14partition_implILS8_4ELb0ES6_15HIP_vector_typeIjLj2EENS0_17counting_iteratorIjlEEPS9_SG_NS0_5tupleIJPjSI_NS0_16reverse_iteratorISI_EEEEENSH_IJSG_SG_SG_EEES9_SI_JZNS1_25segmented_radix_sort_implINS0_14default_configELb0EPKiPiPKlPlN2at6native12_GLOBAL__N_18offset_tEEE10hipError_tPvRmT1_PNSt15iterator_traitsIS12_E10value_typeET2_T3_PNS13_IS18_E10value_typeET4_jRbjT5_S1E_jjP12ihipStream_tbEUljE_ZNSN_ISO_Lb0ESQ_SR_ST_SU_SY_EESZ_S10_S11_S12_S16_S17_S18_S1B_S1C_jS1D_jS1E_S1E_jjS1G_bEUljE0_EEESZ_S10_S11_S18_S1C_S1E_T6_T7_T9_mT8_S1G_bDpT10_ENKUlT_T0_E_clISt17integral_constantIbLb1EES1U_EEDaS1P_S1Q_EUlS1P_E_NS1_11comp_targetILNS1_3genE10ELNS1_11target_archE1200ELNS1_3gpuE4ELNS1_3repE0EEENS1_30default_config_static_selectorELNS0_4arch9wavefront6targetE0EEEvS12_.has_dyn_sized_stack, 0
	.set _ZN7rocprim17ROCPRIM_400000_NS6detail17trampoline_kernelINS0_13select_configILj256ELj13ELNS0_17block_load_methodE3ELS4_3ELS4_3ELNS0_20block_scan_algorithmE0ELj4294967295EEENS1_25partition_config_selectorILNS1_17partition_subalgoE4EjNS0_10empty_typeEbEEZZNS1_14partition_implILS8_4ELb0ES6_15HIP_vector_typeIjLj2EENS0_17counting_iteratorIjlEEPS9_SG_NS0_5tupleIJPjSI_NS0_16reverse_iteratorISI_EEEEENSH_IJSG_SG_SG_EEES9_SI_JZNS1_25segmented_radix_sort_implINS0_14default_configELb0EPKiPiPKlPlN2at6native12_GLOBAL__N_18offset_tEEE10hipError_tPvRmT1_PNSt15iterator_traitsIS12_E10value_typeET2_T3_PNS13_IS18_E10value_typeET4_jRbjT5_S1E_jjP12ihipStream_tbEUljE_ZNSN_ISO_Lb0ESQ_SR_ST_SU_SY_EESZ_S10_S11_S12_S16_S17_S18_S1B_S1C_jS1D_jS1E_S1E_jjS1G_bEUljE0_EEESZ_S10_S11_S18_S1C_S1E_T6_T7_T9_mT8_S1G_bDpT10_ENKUlT_T0_E_clISt17integral_constantIbLb1EES1U_EEDaS1P_S1Q_EUlS1P_E_NS1_11comp_targetILNS1_3genE10ELNS1_11target_archE1200ELNS1_3gpuE4ELNS1_3repE0EEENS1_30default_config_static_selectorELNS0_4arch9wavefront6targetE0EEEvS12_.has_recursion, 0
	.set _ZN7rocprim17ROCPRIM_400000_NS6detail17trampoline_kernelINS0_13select_configILj256ELj13ELNS0_17block_load_methodE3ELS4_3ELS4_3ELNS0_20block_scan_algorithmE0ELj4294967295EEENS1_25partition_config_selectorILNS1_17partition_subalgoE4EjNS0_10empty_typeEbEEZZNS1_14partition_implILS8_4ELb0ES6_15HIP_vector_typeIjLj2EENS0_17counting_iteratorIjlEEPS9_SG_NS0_5tupleIJPjSI_NS0_16reverse_iteratorISI_EEEEENSH_IJSG_SG_SG_EEES9_SI_JZNS1_25segmented_radix_sort_implINS0_14default_configELb0EPKiPiPKlPlN2at6native12_GLOBAL__N_18offset_tEEE10hipError_tPvRmT1_PNSt15iterator_traitsIS12_E10value_typeET2_T3_PNS13_IS18_E10value_typeET4_jRbjT5_S1E_jjP12ihipStream_tbEUljE_ZNSN_ISO_Lb0ESQ_SR_ST_SU_SY_EESZ_S10_S11_S12_S16_S17_S18_S1B_S1C_jS1D_jS1E_S1E_jjS1G_bEUljE0_EEESZ_S10_S11_S18_S1C_S1E_T6_T7_T9_mT8_S1G_bDpT10_ENKUlT_T0_E_clISt17integral_constantIbLb1EES1U_EEDaS1P_S1Q_EUlS1P_E_NS1_11comp_targetILNS1_3genE10ELNS1_11target_archE1200ELNS1_3gpuE4ELNS1_3repE0EEENS1_30default_config_static_selectorELNS0_4arch9wavefront6targetE0EEEvS12_.has_indirect_call, 0
	.section	.AMDGPU.csdata,"",@progbits
; Kernel info:
; codeLenInByte = 0
; TotalNumSgprs: 0
; NumVgprs: 0
; ScratchSize: 0
; MemoryBound: 0
; FloatMode: 240
; IeeeMode: 1
; LDSByteSize: 0 bytes/workgroup (compile time only)
; SGPRBlocks: 0
; VGPRBlocks: 0
; NumSGPRsForWavesPerEU: 1
; NumVGPRsForWavesPerEU: 1
; Occupancy: 16
; WaveLimiterHint : 0
; COMPUTE_PGM_RSRC2:SCRATCH_EN: 0
; COMPUTE_PGM_RSRC2:USER_SGPR: 6
; COMPUTE_PGM_RSRC2:TRAP_HANDLER: 0
; COMPUTE_PGM_RSRC2:TGID_X_EN: 1
; COMPUTE_PGM_RSRC2:TGID_Y_EN: 0
; COMPUTE_PGM_RSRC2:TGID_Z_EN: 0
; COMPUTE_PGM_RSRC2:TIDIG_COMP_CNT: 0
	.section	.text._ZN7rocprim17ROCPRIM_400000_NS6detail17trampoline_kernelINS0_13select_configILj256ELj13ELNS0_17block_load_methodE3ELS4_3ELS4_3ELNS0_20block_scan_algorithmE0ELj4294967295EEENS1_25partition_config_selectorILNS1_17partition_subalgoE4EjNS0_10empty_typeEbEEZZNS1_14partition_implILS8_4ELb0ES6_15HIP_vector_typeIjLj2EENS0_17counting_iteratorIjlEEPS9_SG_NS0_5tupleIJPjSI_NS0_16reverse_iteratorISI_EEEEENSH_IJSG_SG_SG_EEES9_SI_JZNS1_25segmented_radix_sort_implINS0_14default_configELb0EPKiPiPKlPlN2at6native12_GLOBAL__N_18offset_tEEE10hipError_tPvRmT1_PNSt15iterator_traitsIS12_E10value_typeET2_T3_PNS13_IS18_E10value_typeET4_jRbjT5_S1E_jjP12ihipStream_tbEUljE_ZNSN_ISO_Lb0ESQ_SR_ST_SU_SY_EESZ_S10_S11_S12_S16_S17_S18_S1B_S1C_jS1D_jS1E_S1E_jjS1G_bEUljE0_EEESZ_S10_S11_S18_S1C_S1E_T6_T7_T9_mT8_S1G_bDpT10_ENKUlT_T0_E_clISt17integral_constantIbLb1EES1U_EEDaS1P_S1Q_EUlS1P_E_NS1_11comp_targetILNS1_3genE9ELNS1_11target_archE1100ELNS1_3gpuE3ELNS1_3repE0EEENS1_30default_config_static_selectorELNS0_4arch9wavefront6targetE0EEEvS12_,"axG",@progbits,_ZN7rocprim17ROCPRIM_400000_NS6detail17trampoline_kernelINS0_13select_configILj256ELj13ELNS0_17block_load_methodE3ELS4_3ELS4_3ELNS0_20block_scan_algorithmE0ELj4294967295EEENS1_25partition_config_selectorILNS1_17partition_subalgoE4EjNS0_10empty_typeEbEEZZNS1_14partition_implILS8_4ELb0ES6_15HIP_vector_typeIjLj2EENS0_17counting_iteratorIjlEEPS9_SG_NS0_5tupleIJPjSI_NS0_16reverse_iteratorISI_EEEEENSH_IJSG_SG_SG_EEES9_SI_JZNS1_25segmented_radix_sort_implINS0_14default_configELb0EPKiPiPKlPlN2at6native12_GLOBAL__N_18offset_tEEE10hipError_tPvRmT1_PNSt15iterator_traitsIS12_E10value_typeET2_T3_PNS13_IS18_E10value_typeET4_jRbjT5_S1E_jjP12ihipStream_tbEUljE_ZNSN_ISO_Lb0ESQ_SR_ST_SU_SY_EESZ_S10_S11_S12_S16_S17_S18_S1B_S1C_jS1D_jS1E_S1E_jjS1G_bEUljE0_EEESZ_S10_S11_S18_S1C_S1E_T6_T7_T9_mT8_S1G_bDpT10_ENKUlT_T0_E_clISt17integral_constantIbLb1EES1U_EEDaS1P_S1Q_EUlS1P_E_NS1_11comp_targetILNS1_3genE9ELNS1_11target_archE1100ELNS1_3gpuE3ELNS1_3repE0EEENS1_30default_config_static_selectorELNS0_4arch9wavefront6targetE0EEEvS12_,comdat
	.globl	_ZN7rocprim17ROCPRIM_400000_NS6detail17trampoline_kernelINS0_13select_configILj256ELj13ELNS0_17block_load_methodE3ELS4_3ELS4_3ELNS0_20block_scan_algorithmE0ELj4294967295EEENS1_25partition_config_selectorILNS1_17partition_subalgoE4EjNS0_10empty_typeEbEEZZNS1_14partition_implILS8_4ELb0ES6_15HIP_vector_typeIjLj2EENS0_17counting_iteratorIjlEEPS9_SG_NS0_5tupleIJPjSI_NS0_16reverse_iteratorISI_EEEEENSH_IJSG_SG_SG_EEES9_SI_JZNS1_25segmented_radix_sort_implINS0_14default_configELb0EPKiPiPKlPlN2at6native12_GLOBAL__N_18offset_tEEE10hipError_tPvRmT1_PNSt15iterator_traitsIS12_E10value_typeET2_T3_PNS13_IS18_E10value_typeET4_jRbjT5_S1E_jjP12ihipStream_tbEUljE_ZNSN_ISO_Lb0ESQ_SR_ST_SU_SY_EESZ_S10_S11_S12_S16_S17_S18_S1B_S1C_jS1D_jS1E_S1E_jjS1G_bEUljE0_EEESZ_S10_S11_S18_S1C_S1E_T6_T7_T9_mT8_S1G_bDpT10_ENKUlT_T0_E_clISt17integral_constantIbLb1EES1U_EEDaS1P_S1Q_EUlS1P_E_NS1_11comp_targetILNS1_3genE9ELNS1_11target_archE1100ELNS1_3gpuE3ELNS1_3repE0EEENS1_30default_config_static_selectorELNS0_4arch9wavefront6targetE0EEEvS12_ ; -- Begin function _ZN7rocprim17ROCPRIM_400000_NS6detail17trampoline_kernelINS0_13select_configILj256ELj13ELNS0_17block_load_methodE3ELS4_3ELS4_3ELNS0_20block_scan_algorithmE0ELj4294967295EEENS1_25partition_config_selectorILNS1_17partition_subalgoE4EjNS0_10empty_typeEbEEZZNS1_14partition_implILS8_4ELb0ES6_15HIP_vector_typeIjLj2EENS0_17counting_iteratorIjlEEPS9_SG_NS0_5tupleIJPjSI_NS0_16reverse_iteratorISI_EEEEENSH_IJSG_SG_SG_EEES9_SI_JZNS1_25segmented_radix_sort_implINS0_14default_configELb0EPKiPiPKlPlN2at6native12_GLOBAL__N_18offset_tEEE10hipError_tPvRmT1_PNSt15iterator_traitsIS12_E10value_typeET2_T3_PNS13_IS18_E10value_typeET4_jRbjT5_S1E_jjP12ihipStream_tbEUljE_ZNSN_ISO_Lb0ESQ_SR_ST_SU_SY_EESZ_S10_S11_S12_S16_S17_S18_S1B_S1C_jS1D_jS1E_S1E_jjS1G_bEUljE0_EEESZ_S10_S11_S18_S1C_S1E_T6_T7_T9_mT8_S1G_bDpT10_ENKUlT_T0_E_clISt17integral_constantIbLb1EES1U_EEDaS1P_S1Q_EUlS1P_E_NS1_11comp_targetILNS1_3genE9ELNS1_11target_archE1100ELNS1_3gpuE3ELNS1_3repE0EEENS1_30default_config_static_selectorELNS0_4arch9wavefront6targetE0EEEvS12_
	.p2align	8
	.type	_ZN7rocprim17ROCPRIM_400000_NS6detail17trampoline_kernelINS0_13select_configILj256ELj13ELNS0_17block_load_methodE3ELS4_3ELS4_3ELNS0_20block_scan_algorithmE0ELj4294967295EEENS1_25partition_config_selectorILNS1_17partition_subalgoE4EjNS0_10empty_typeEbEEZZNS1_14partition_implILS8_4ELb0ES6_15HIP_vector_typeIjLj2EENS0_17counting_iteratorIjlEEPS9_SG_NS0_5tupleIJPjSI_NS0_16reverse_iteratorISI_EEEEENSH_IJSG_SG_SG_EEES9_SI_JZNS1_25segmented_radix_sort_implINS0_14default_configELb0EPKiPiPKlPlN2at6native12_GLOBAL__N_18offset_tEEE10hipError_tPvRmT1_PNSt15iterator_traitsIS12_E10value_typeET2_T3_PNS13_IS18_E10value_typeET4_jRbjT5_S1E_jjP12ihipStream_tbEUljE_ZNSN_ISO_Lb0ESQ_SR_ST_SU_SY_EESZ_S10_S11_S12_S16_S17_S18_S1B_S1C_jS1D_jS1E_S1E_jjS1G_bEUljE0_EEESZ_S10_S11_S18_S1C_S1E_T6_T7_T9_mT8_S1G_bDpT10_ENKUlT_T0_E_clISt17integral_constantIbLb1EES1U_EEDaS1P_S1Q_EUlS1P_E_NS1_11comp_targetILNS1_3genE9ELNS1_11target_archE1100ELNS1_3gpuE3ELNS1_3repE0EEENS1_30default_config_static_selectorELNS0_4arch9wavefront6targetE0EEEvS12_,@function
_ZN7rocprim17ROCPRIM_400000_NS6detail17trampoline_kernelINS0_13select_configILj256ELj13ELNS0_17block_load_methodE3ELS4_3ELS4_3ELNS0_20block_scan_algorithmE0ELj4294967295EEENS1_25partition_config_selectorILNS1_17partition_subalgoE4EjNS0_10empty_typeEbEEZZNS1_14partition_implILS8_4ELb0ES6_15HIP_vector_typeIjLj2EENS0_17counting_iteratorIjlEEPS9_SG_NS0_5tupleIJPjSI_NS0_16reverse_iteratorISI_EEEEENSH_IJSG_SG_SG_EEES9_SI_JZNS1_25segmented_radix_sort_implINS0_14default_configELb0EPKiPiPKlPlN2at6native12_GLOBAL__N_18offset_tEEE10hipError_tPvRmT1_PNSt15iterator_traitsIS12_E10value_typeET2_T3_PNS13_IS18_E10value_typeET4_jRbjT5_S1E_jjP12ihipStream_tbEUljE_ZNSN_ISO_Lb0ESQ_SR_ST_SU_SY_EESZ_S10_S11_S12_S16_S17_S18_S1B_S1C_jS1D_jS1E_S1E_jjS1G_bEUljE0_EEESZ_S10_S11_S18_S1C_S1E_T6_T7_T9_mT8_S1G_bDpT10_ENKUlT_T0_E_clISt17integral_constantIbLb1EES1U_EEDaS1P_S1Q_EUlS1P_E_NS1_11comp_targetILNS1_3genE9ELNS1_11target_archE1100ELNS1_3gpuE3ELNS1_3repE0EEENS1_30default_config_static_selectorELNS0_4arch9wavefront6targetE0EEEvS12_: ; @_ZN7rocprim17ROCPRIM_400000_NS6detail17trampoline_kernelINS0_13select_configILj256ELj13ELNS0_17block_load_methodE3ELS4_3ELS4_3ELNS0_20block_scan_algorithmE0ELj4294967295EEENS1_25partition_config_selectorILNS1_17partition_subalgoE4EjNS0_10empty_typeEbEEZZNS1_14partition_implILS8_4ELb0ES6_15HIP_vector_typeIjLj2EENS0_17counting_iteratorIjlEEPS9_SG_NS0_5tupleIJPjSI_NS0_16reverse_iteratorISI_EEEEENSH_IJSG_SG_SG_EEES9_SI_JZNS1_25segmented_radix_sort_implINS0_14default_configELb0EPKiPiPKlPlN2at6native12_GLOBAL__N_18offset_tEEE10hipError_tPvRmT1_PNSt15iterator_traitsIS12_E10value_typeET2_T3_PNS13_IS18_E10value_typeET4_jRbjT5_S1E_jjP12ihipStream_tbEUljE_ZNSN_ISO_Lb0ESQ_SR_ST_SU_SY_EESZ_S10_S11_S12_S16_S17_S18_S1B_S1C_jS1D_jS1E_S1E_jjS1G_bEUljE0_EEESZ_S10_S11_S18_S1C_S1E_T6_T7_T9_mT8_S1G_bDpT10_ENKUlT_T0_E_clISt17integral_constantIbLb1EES1U_EEDaS1P_S1Q_EUlS1P_E_NS1_11comp_targetILNS1_3genE9ELNS1_11target_archE1100ELNS1_3gpuE3ELNS1_3repE0EEENS1_30default_config_static_selectorELNS0_4arch9wavefront6targetE0EEEvS12_
; %bb.0:
	.section	.rodata,"a",@progbits
	.p2align	6, 0x0
	.amdhsa_kernel _ZN7rocprim17ROCPRIM_400000_NS6detail17trampoline_kernelINS0_13select_configILj256ELj13ELNS0_17block_load_methodE3ELS4_3ELS4_3ELNS0_20block_scan_algorithmE0ELj4294967295EEENS1_25partition_config_selectorILNS1_17partition_subalgoE4EjNS0_10empty_typeEbEEZZNS1_14partition_implILS8_4ELb0ES6_15HIP_vector_typeIjLj2EENS0_17counting_iteratorIjlEEPS9_SG_NS0_5tupleIJPjSI_NS0_16reverse_iteratorISI_EEEEENSH_IJSG_SG_SG_EEES9_SI_JZNS1_25segmented_radix_sort_implINS0_14default_configELb0EPKiPiPKlPlN2at6native12_GLOBAL__N_18offset_tEEE10hipError_tPvRmT1_PNSt15iterator_traitsIS12_E10value_typeET2_T3_PNS13_IS18_E10value_typeET4_jRbjT5_S1E_jjP12ihipStream_tbEUljE_ZNSN_ISO_Lb0ESQ_SR_ST_SU_SY_EESZ_S10_S11_S12_S16_S17_S18_S1B_S1C_jS1D_jS1E_S1E_jjS1G_bEUljE0_EEESZ_S10_S11_S18_S1C_S1E_T6_T7_T9_mT8_S1G_bDpT10_ENKUlT_T0_E_clISt17integral_constantIbLb1EES1U_EEDaS1P_S1Q_EUlS1P_E_NS1_11comp_targetILNS1_3genE9ELNS1_11target_archE1100ELNS1_3gpuE3ELNS1_3repE0EEENS1_30default_config_static_selectorELNS0_4arch9wavefront6targetE0EEEvS12_
		.amdhsa_group_segment_fixed_size 0
		.amdhsa_private_segment_fixed_size 0
		.amdhsa_kernarg_size 184
		.amdhsa_user_sgpr_count 6
		.amdhsa_user_sgpr_private_segment_buffer 1
		.amdhsa_user_sgpr_dispatch_ptr 0
		.amdhsa_user_sgpr_queue_ptr 0
		.amdhsa_user_sgpr_kernarg_segment_ptr 1
		.amdhsa_user_sgpr_dispatch_id 0
		.amdhsa_user_sgpr_flat_scratch_init 0
		.amdhsa_user_sgpr_private_segment_size 0
		.amdhsa_wavefront_size32 1
		.amdhsa_uses_dynamic_stack 0
		.amdhsa_system_sgpr_private_segment_wavefront_offset 0
		.amdhsa_system_sgpr_workgroup_id_x 1
		.amdhsa_system_sgpr_workgroup_id_y 0
		.amdhsa_system_sgpr_workgroup_id_z 0
		.amdhsa_system_sgpr_workgroup_info 0
		.amdhsa_system_vgpr_workitem_id 0
		.amdhsa_next_free_vgpr 1
		.amdhsa_next_free_sgpr 1
		.amdhsa_reserve_vcc 0
		.amdhsa_reserve_flat_scratch 0
		.amdhsa_float_round_mode_32 0
		.amdhsa_float_round_mode_16_64 0
		.amdhsa_float_denorm_mode_32 3
		.amdhsa_float_denorm_mode_16_64 3
		.amdhsa_dx10_clamp 1
		.amdhsa_ieee_mode 1
		.amdhsa_fp16_overflow 0
		.amdhsa_workgroup_processor_mode 1
		.amdhsa_memory_ordered 1
		.amdhsa_forward_progress 1
		.amdhsa_shared_vgpr_count 0
		.amdhsa_exception_fp_ieee_invalid_op 0
		.amdhsa_exception_fp_denorm_src 0
		.amdhsa_exception_fp_ieee_div_zero 0
		.amdhsa_exception_fp_ieee_overflow 0
		.amdhsa_exception_fp_ieee_underflow 0
		.amdhsa_exception_fp_ieee_inexact 0
		.amdhsa_exception_int_div_zero 0
	.end_amdhsa_kernel
	.section	.text._ZN7rocprim17ROCPRIM_400000_NS6detail17trampoline_kernelINS0_13select_configILj256ELj13ELNS0_17block_load_methodE3ELS4_3ELS4_3ELNS0_20block_scan_algorithmE0ELj4294967295EEENS1_25partition_config_selectorILNS1_17partition_subalgoE4EjNS0_10empty_typeEbEEZZNS1_14partition_implILS8_4ELb0ES6_15HIP_vector_typeIjLj2EENS0_17counting_iteratorIjlEEPS9_SG_NS0_5tupleIJPjSI_NS0_16reverse_iteratorISI_EEEEENSH_IJSG_SG_SG_EEES9_SI_JZNS1_25segmented_radix_sort_implINS0_14default_configELb0EPKiPiPKlPlN2at6native12_GLOBAL__N_18offset_tEEE10hipError_tPvRmT1_PNSt15iterator_traitsIS12_E10value_typeET2_T3_PNS13_IS18_E10value_typeET4_jRbjT5_S1E_jjP12ihipStream_tbEUljE_ZNSN_ISO_Lb0ESQ_SR_ST_SU_SY_EESZ_S10_S11_S12_S16_S17_S18_S1B_S1C_jS1D_jS1E_S1E_jjS1G_bEUljE0_EEESZ_S10_S11_S18_S1C_S1E_T6_T7_T9_mT8_S1G_bDpT10_ENKUlT_T0_E_clISt17integral_constantIbLb1EES1U_EEDaS1P_S1Q_EUlS1P_E_NS1_11comp_targetILNS1_3genE9ELNS1_11target_archE1100ELNS1_3gpuE3ELNS1_3repE0EEENS1_30default_config_static_selectorELNS0_4arch9wavefront6targetE0EEEvS12_,"axG",@progbits,_ZN7rocprim17ROCPRIM_400000_NS6detail17trampoline_kernelINS0_13select_configILj256ELj13ELNS0_17block_load_methodE3ELS4_3ELS4_3ELNS0_20block_scan_algorithmE0ELj4294967295EEENS1_25partition_config_selectorILNS1_17partition_subalgoE4EjNS0_10empty_typeEbEEZZNS1_14partition_implILS8_4ELb0ES6_15HIP_vector_typeIjLj2EENS0_17counting_iteratorIjlEEPS9_SG_NS0_5tupleIJPjSI_NS0_16reverse_iteratorISI_EEEEENSH_IJSG_SG_SG_EEES9_SI_JZNS1_25segmented_radix_sort_implINS0_14default_configELb0EPKiPiPKlPlN2at6native12_GLOBAL__N_18offset_tEEE10hipError_tPvRmT1_PNSt15iterator_traitsIS12_E10value_typeET2_T3_PNS13_IS18_E10value_typeET4_jRbjT5_S1E_jjP12ihipStream_tbEUljE_ZNSN_ISO_Lb0ESQ_SR_ST_SU_SY_EESZ_S10_S11_S12_S16_S17_S18_S1B_S1C_jS1D_jS1E_S1E_jjS1G_bEUljE0_EEESZ_S10_S11_S18_S1C_S1E_T6_T7_T9_mT8_S1G_bDpT10_ENKUlT_T0_E_clISt17integral_constantIbLb1EES1U_EEDaS1P_S1Q_EUlS1P_E_NS1_11comp_targetILNS1_3genE9ELNS1_11target_archE1100ELNS1_3gpuE3ELNS1_3repE0EEENS1_30default_config_static_selectorELNS0_4arch9wavefront6targetE0EEEvS12_,comdat
.Lfunc_end545:
	.size	_ZN7rocprim17ROCPRIM_400000_NS6detail17trampoline_kernelINS0_13select_configILj256ELj13ELNS0_17block_load_methodE3ELS4_3ELS4_3ELNS0_20block_scan_algorithmE0ELj4294967295EEENS1_25partition_config_selectorILNS1_17partition_subalgoE4EjNS0_10empty_typeEbEEZZNS1_14partition_implILS8_4ELb0ES6_15HIP_vector_typeIjLj2EENS0_17counting_iteratorIjlEEPS9_SG_NS0_5tupleIJPjSI_NS0_16reverse_iteratorISI_EEEEENSH_IJSG_SG_SG_EEES9_SI_JZNS1_25segmented_radix_sort_implINS0_14default_configELb0EPKiPiPKlPlN2at6native12_GLOBAL__N_18offset_tEEE10hipError_tPvRmT1_PNSt15iterator_traitsIS12_E10value_typeET2_T3_PNS13_IS18_E10value_typeET4_jRbjT5_S1E_jjP12ihipStream_tbEUljE_ZNSN_ISO_Lb0ESQ_SR_ST_SU_SY_EESZ_S10_S11_S12_S16_S17_S18_S1B_S1C_jS1D_jS1E_S1E_jjS1G_bEUljE0_EEESZ_S10_S11_S18_S1C_S1E_T6_T7_T9_mT8_S1G_bDpT10_ENKUlT_T0_E_clISt17integral_constantIbLb1EES1U_EEDaS1P_S1Q_EUlS1P_E_NS1_11comp_targetILNS1_3genE9ELNS1_11target_archE1100ELNS1_3gpuE3ELNS1_3repE0EEENS1_30default_config_static_selectorELNS0_4arch9wavefront6targetE0EEEvS12_, .Lfunc_end545-_ZN7rocprim17ROCPRIM_400000_NS6detail17trampoline_kernelINS0_13select_configILj256ELj13ELNS0_17block_load_methodE3ELS4_3ELS4_3ELNS0_20block_scan_algorithmE0ELj4294967295EEENS1_25partition_config_selectorILNS1_17partition_subalgoE4EjNS0_10empty_typeEbEEZZNS1_14partition_implILS8_4ELb0ES6_15HIP_vector_typeIjLj2EENS0_17counting_iteratorIjlEEPS9_SG_NS0_5tupleIJPjSI_NS0_16reverse_iteratorISI_EEEEENSH_IJSG_SG_SG_EEES9_SI_JZNS1_25segmented_radix_sort_implINS0_14default_configELb0EPKiPiPKlPlN2at6native12_GLOBAL__N_18offset_tEEE10hipError_tPvRmT1_PNSt15iterator_traitsIS12_E10value_typeET2_T3_PNS13_IS18_E10value_typeET4_jRbjT5_S1E_jjP12ihipStream_tbEUljE_ZNSN_ISO_Lb0ESQ_SR_ST_SU_SY_EESZ_S10_S11_S12_S16_S17_S18_S1B_S1C_jS1D_jS1E_S1E_jjS1G_bEUljE0_EEESZ_S10_S11_S18_S1C_S1E_T6_T7_T9_mT8_S1G_bDpT10_ENKUlT_T0_E_clISt17integral_constantIbLb1EES1U_EEDaS1P_S1Q_EUlS1P_E_NS1_11comp_targetILNS1_3genE9ELNS1_11target_archE1100ELNS1_3gpuE3ELNS1_3repE0EEENS1_30default_config_static_selectorELNS0_4arch9wavefront6targetE0EEEvS12_
                                        ; -- End function
	.set _ZN7rocprim17ROCPRIM_400000_NS6detail17trampoline_kernelINS0_13select_configILj256ELj13ELNS0_17block_load_methodE3ELS4_3ELS4_3ELNS0_20block_scan_algorithmE0ELj4294967295EEENS1_25partition_config_selectorILNS1_17partition_subalgoE4EjNS0_10empty_typeEbEEZZNS1_14partition_implILS8_4ELb0ES6_15HIP_vector_typeIjLj2EENS0_17counting_iteratorIjlEEPS9_SG_NS0_5tupleIJPjSI_NS0_16reverse_iteratorISI_EEEEENSH_IJSG_SG_SG_EEES9_SI_JZNS1_25segmented_radix_sort_implINS0_14default_configELb0EPKiPiPKlPlN2at6native12_GLOBAL__N_18offset_tEEE10hipError_tPvRmT1_PNSt15iterator_traitsIS12_E10value_typeET2_T3_PNS13_IS18_E10value_typeET4_jRbjT5_S1E_jjP12ihipStream_tbEUljE_ZNSN_ISO_Lb0ESQ_SR_ST_SU_SY_EESZ_S10_S11_S12_S16_S17_S18_S1B_S1C_jS1D_jS1E_S1E_jjS1G_bEUljE0_EEESZ_S10_S11_S18_S1C_S1E_T6_T7_T9_mT8_S1G_bDpT10_ENKUlT_T0_E_clISt17integral_constantIbLb1EES1U_EEDaS1P_S1Q_EUlS1P_E_NS1_11comp_targetILNS1_3genE9ELNS1_11target_archE1100ELNS1_3gpuE3ELNS1_3repE0EEENS1_30default_config_static_selectorELNS0_4arch9wavefront6targetE0EEEvS12_.num_vgpr, 0
	.set _ZN7rocprim17ROCPRIM_400000_NS6detail17trampoline_kernelINS0_13select_configILj256ELj13ELNS0_17block_load_methodE3ELS4_3ELS4_3ELNS0_20block_scan_algorithmE0ELj4294967295EEENS1_25partition_config_selectorILNS1_17partition_subalgoE4EjNS0_10empty_typeEbEEZZNS1_14partition_implILS8_4ELb0ES6_15HIP_vector_typeIjLj2EENS0_17counting_iteratorIjlEEPS9_SG_NS0_5tupleIJPjSI_NS0_16reverse_iteratorISI_EEEEENSH_IJSG_SG_SG_EEES9_SI_JZNS1_25segmented_radix_sort_implINS0_14default_configELb0EPKiPiPKlPlN2at6native12_GLOBAL__N_18offset_tEEE10hipError_tPvRmT1_PNSt15iterator_traitsIS12_E10value_typeET2_T3_PNS13_IS18_E10value_typeET4_jRbjT5_S1E_jjP12ihipStream_tbEUljE_ZNSN_ISO_Lb0ESQ_SR_ST_SU_SY_EESZ_S10_S11_S12_S16_S17_S18_S1B_S1C_jS1D_jS1E_S1E_jjS1G_bEUljE0_EEESZ_S10_S11_S18_S1C_S1E_T6_T7_T9_mT8_S1G_bDpT10_ENKUlT_T0_E_clISt17integral_constantIbLb1EES1U_EEDaS1P_S1Q_EUlS1P_E_NS1_11comp_targetILNS1_3genE9ELNS1_11target_archE1100ELNS1_3gpuE3ELNS1_3repE0EEENS1_30default_config_static_selectorELNS0_4arch9wavefront6targetE0EEEvS12_.num_agpr, 0
	.set _ZN7rocprim17ROCPRIM_400000_NS6detail17trampoline_kernelINS0_13select_configILj256ELj13ELNS0_17block_load_methodE3ELS4_3ELS4_3ELNS0_20block_scan_algorithmE0ELj4294967295EEENS1_25partition_config_selectorILNS1_17partition_subalgoE4EjNS0_10empty_typeEbEEZZNS1_14partition_implILS8_4ELb0ES6_15HIP_vector_typeIjLj2EENS0_17counting_iteratorIjlEEPS9_SG_NS0_5tupleIJPjSI_NS0_16reverse_iteratorISI_EEEEENSH_IJSG_SG_SG_EEES9_SI_JZNS1_25segmented_radix_sort_implINS0_14default_configELb0EPKiPiPKlPlN2at6native12_GLOBAL__N_18offset_tEEE10hipError_tPvRmT1_PNSt15iterator_traitsIS12_E10value_typeET2_T3_PNS13_IS18_E10value_typeET4_jRbjT5_S1E_jjP12ihipStream_tbEUljE_ZNSN_ISO_Lb0ESQ_SR_ST_SU_SY_EESZ_S10_S11_S12_S16_S17_S18_S1B_S1C_jS1D_jS1E_S1E_jjS1G_bEUljE0_EEESZ_S10_S11_S18_S1C_S1E_T6_T7_T9_mT8_S1G_bDpT10_ENKUlT_T0_E_clISt17integral_constantIbLb1EES1U_EEDaS1P_S1Q_EUlS1P_E_NS1_11comp_targetILNS1_3genE9ELNS1_11target_archE1100ELNS1_3gpuE3ELNS1_3repE0EEENS1_30default_config_static_selectorELNS0_4arch9wavefront6targetE0EEEvS12_.numbered_sgpr, 0
	.set _ZN7rocprim17ROCPRIM_400000_NS6detail17trampoline_kernelINS0_13select_configILj256ELj13ELNS0_17block_load_methodE3ELS4_3ELS4_3ELNS0_20block_scan_algorithmE0ELj4294967295EEENS1_25partition_config_selectorILNS1_17partition_subalgoE4EjNS0_10empty_typeEbEEZZNS1_14partition_implILS8_4ELb0ES6_15HIP_vector_typeIjLj2EENS0_17counting_iteratorIjlEEPS9_SG_NS0_5tupleIJPjSI_NS0_16reverse_iteratorISI_EEEEENSH_IJSG_SG_SG_EEES9_SI_JZNS1_25segmented_radix_sort_implINS0_14default_configELb0EPKiPiPKlPlN2at6native12_GLOBAL__N_18offset_tEEE10hipError_tPvRmT1_PNSt15iterator_traitsIS12_E10value_typeET2_T3_PNS13_IS18_E10value_typeET4_jRbjT5_S1E_jjP12ihipStream_tbEUljE_ZNSN_ISO_Lb0ESQ_SR_ST_SU_SY_EESZ_S10_S11_S12_S16_S17_S18_S1B_S1C_jS1D_jS1E_S1E_jjS1G_bEUljE0_EEESZ_S10_S11_S18_S1C_S1E_T6_T7_T9_mT8_S1G_bDpT10_ENKUlT_T0_E_clISt17integral_constantIbLb1EES1U_EEDaS1P_S1Q_EUlS1P_E_NS1_11comp_targetILNS1_3genE9ELNS1_11target_archE1100ELNS1_3gpuE3ELNS1_3repE0EEENS1_30default_config_static_selectorELNS0_4arch9wavefront6targetE0EEEvS12_.num_named_barrier, 0
	.set _ZN7rocprim17ROCPRIM_400000_NS6detail17trampoline_kernelINS0_13select_configILj256ELj13ELNS0_17block_load_methodE3ELS4_3ELS4_3ELNS0_20block_scan_algorithmE0ELj4294967295EEENS1_25partition_config_selectorILNS1_17partition_subalgoE4EjNS0_10empty_typeEbEEZZNS1_14partition_implILS8_4ELb0ES6_15HIP_vector_typeIjLj2EENS0_17counting_iteratorIjlEEPS9_SG_NS0_5tupleIJPjSI_NS0_16reverse_iteratorISI_EEEEENSH_IJSG_SG_SG_EEES9_SI_JZNS1_25segmented_radix_sort_implINS0_14default_configELb0EPKiPiPKlPlN2at6native12_GLOBAL__N_18offset_tEEE10hipError_tPvRmT1_PNSt15iterator_traitsIS12_E10value_typeET2_T3_PNS13_IS18_E10value_typeET4_jRbjT5_S1E_jjP12ihipStream_tbEUljE_ZNSN_ISO_Lb0ESQ_SR_ST_SU_SY_EESZ_S10_S11_S12_S16_S17_S18_S1B_S1C_jS1D_jS1E_S1E_jjS1G_bEUljE0_EEESZ_S10_S11_S18_S1C_S1E_T6_T7_T9_mT8_S1G_bDpT10_ENKUlT_T0_E_clISt17integral_constantIbLb1EES1U_EEDaS1P_S1Q_EUlS1P_E_NS1_11comp_targetILNS1_3genE9ELNS1_11target_archE1100ELNS1_3gpuE3ELNS1_3repE0EEENS1_30default_config_static_selectorELNS0_4arch9wavefront6targetE0EEEvS12_.private_seg_size, 0
	.set _ZN7rocprim17ROCPRIM_400000_NS6detail17trampoline_kernelINS0_13select_configILj256ELj13ELNS0_17block_load_methodE3ELS4_3ELS4_3ELNS0_20block_scan_algorithmE0ELj4294967295EEENS1_25partition_config_selectorILNS1_17partition_subalgoE4EjNS0_10empty_typeEbEEZZNS1_14partition_implILS8_4ELb0ES6_15HIP_vector_typeIjLj2EENS0_17counting_iteratorIjlEEPS9_SG_NS0_5tupleIJPjSI_NS0_16reverse_iteratorISI_EEEEENSH_IJSG_SG_SG_EEES9_SI_JZNS1_25segmented_radix_sort_implINS0_14default_configELb0EPKiPiPKlPlN2at6native12_GLOBAL__N_18offset_tEEE10hipError_tPvRmT1_PNSt15iterator_traitsIS12_E10value_typeET2_T3_PNS13_IS18_E10value_typeET4_jRbjT5_S1E_jjP12ihipStream_tbEUljE_ZNSN_ISO_Lb0ESQ_SR_ST_SU_SY_EESZ_S10_S11_S12_S16_S17_S18_S1B_S1C_jS1D_jS1E_S1E_jjS1G_bEUljE0_EEESZ_S10_S11_S18_S1C_S1E_T6_T7_T9_mT8_S1G_bDpT10_ENKUlT_T0_E_clISt17integral_constantIbLb1EES1U_EEDaS1P_S1Q_EUlS1P_E_NS1_11comp_targetILNS1_3genE9ELNS1_11target_archE1100ELNS1_3gpuE3ELNS1_3repE0EEENS1_30default_config_static_selectorELNS0_4arch9wavefront6targetE0EEEvS12_.uses_vcc, 0
	.set _ZN7rocprim17ROCPRIM_400000_NS6detail17trampoline_kernelINS0_13select_configILj256ELj13ELNS0_17block_load_methodE3ELS4_3ELS4_3ELNS0_20block_scan_algorithmE0ELj4294967295EEENS1_25partition_config_selectorILNS1_17partition_subalgoE4EjNS0_10empty_typeEbEEZZNS1_14partition_implILS8_4ELb0ES6_15HIP_vector_typeIjLj2EENS0_17counting_iteratorIjlEEPS9_SG_NS0_5tupleIJPjSI_NS0_16reverse_iteratorISI_EEEEENSH_IJSG_SG_SG_EEES9_SI_JZNS1_25segmented_radix_sort_implINS0_14default_configELb0EPKiPiPKlPlN2at6native12_GLOBAL__N_18offset_tEEE10hipError_tPvRmT1_PNSt15iterator_traitsIS12_E10value_typeET2_T3_PNS13_IS18_E10value_typeET4_jRbjT5_S1E_jjP12ihipStream_tbEUljE_ZNSN_ISO_Lb0ESQ_SR_ST_SU_SY_EESZ_S10_S11_S12_S16_S17_S18_S1B_S1C_jS1D_jS1E_S1E_jjS1G_bEUljE0_EEESZ_S10_S11_S18_S1C_S1E_T6_T7_T9_mT8_S1G_bDpT10_ENKUlT_T0_E_clISt17integral_constantIbLb1EES1U_EEDaS1P_S1Q_EUlS1P_E_NS1_11comp_targetILNS1_3genE9ELNS1_11target_archE1100ELNS1_3gpuE3ELNS1_3repE0EEENS1_30default_config_static_selectorELNS0_4arch9wavefront6targetE0EEEvS12_.uses_flat_scratch, 0
	.set _ZN7rocprim17ROCPRIM_400000_NS6detail17trampoline_kernelINS0_13select_configILj256ELj13ELNS0_17block_load_methodE3ELS4_3ELS4_3ELNS0_20block_scan_algorithmE0ELj4294967295EEENS1_25partition_config_selectorILNS1_17partition_subalgoE4EjNS0_10empty_typeEbEEZZNS1_14partition_implILS8_4ELb0ES6_15HIP_vector_typeIjLj2EENS0_17counting_iteratorIjlEEPS9_SG_NS0_5tupleIJPjSI_NS0_16reverse_iteratorISI_EEEEENSH_IJSG_SG_SG_EEES9_SI_JZNS1_25segmented_radix_sort_implINS0_14default_configELb0EPKiPiPKlPlN2at6native12_GLOBAL__N_18offset_tEEE10hipError_tPvRmT1_PNSt15iterator_traitsIS12_E10value_typeET2_T3_PNS13_IS18_E10value_typeET4_jRbjT5_S1E_jjP12ihipStream_tbEUljE_ZNSN_ISO_Lb0ESQ_SR_ST_SU_SY_EESZ_S10_S11_S12_S16_S17_S18_S1B_S1C_jS1D_jS1E_S1E_jjS1G_bEUljE0_EEESZ_S10_S11_S18_S1C_S1E_T6_T7_T9_mT8_S1G_bDpT10_ENKUlT_T0_E_clISt17integral_constantIbLb1EES1U_EEDaS1P_S1Q_EUlS1P_E_NS1_11comp_targetILNS1_3genE9ELNS1_11target_archE1100ELNS1_3gpuE3ELNS1_3repE0EEENS1_30default_config_static_selectorELNS0_4arch9wavefront6targetE0EEEvS12_.has_dyn_sized_stack, 0
	.set _ZN7rocprim17ROCPRIM_400000_NS6detail17trampoline_kernelINS0_13select_configILj256ELj13ELNS0_17block_load_methodE3ELS4_3ELS4_3ELNS0_20block_scan_algorithmE0ELj4294967295EEENS1_25partition_config_selectorILNS1_17partition_subalgoE4EjNS0_10empty_typeEbEEZZNS1_14partition_implILS8_4ELb0ES6_15HIP_vector_typeIjLj2EENS0_17counting_iteratorIjlEEPS9_SG_NS0_5tupleIJPjSI_NS0_16reverse_iteratorISI_EEEEENSH_IJSG_SG_SG_EEES9_SI_JZNS1_25segmented_radix_sort_implINS0_14default_configELb0EPKiPiPKlPlN2at6native12_GLOBAL__N_18offset_tEEE10hipError_tPvRmT1_PNSt15iterator_traitsIS12_E10value_typeET2_T3_PNS13_IS18_E10value_typeET4_jRbjT5_S1E_jjP12ihipStream_tbEUljE_ZNSN_ISO_Lb0ESQ_SR_ST_SU_SY_EESZ_S10_S11_S12_S16_S17_S18_S1B_S1C_jS1D_jS1E_S1E_jjS1G_bEUljE0_EEESZ_S10_S11_S18_S1C_S1E_T6_T7_T9_mT8_S1G_bDpT10_ENKUlT_T0_E_clISt17integral_constantIbLb1EES1U_EEDaS1P_S1Q_EUlS1P_E_NS1_11comp_targetILNS1_3genE9ELNS1_11target_archE1100ELNS1_3gpuE3ELNS1_3repE0EEENS1_30default_config_static_selectorELNS0_4arch9wavefront6targetE0EEEvS12_.has_recursion, 0
	.set _ZN7rocprim17ROCPRIM_400000_NS6detail17trampoline_kernelINS0_13select_configILj256ELj13ELNS0_17block_load_methodE3ELS4_3ELS4_3ELNS0_20block_scan_algorithmE0ELj4294967295EEENS1_25partition_config_selectorILNS1_17partition_subalgoE4EjNS0_10empty_typeEbEEZZNS1_14partition_implILS8_4ELb0ES6_15HIP_vector_typeIjLj2EENS0_17counting_iteratorIjlEEPS9_SG_NS0_5tupleIJPjSI_NS0_16reverse_iteratorISI_EEEEENSH_IJSG_SG_SG_EEES9_SI_JZNS1_25segmented_radix_sort_implINS0_14default_configELb0EPKiPiPKlPlN2at6native12_GLOBAL__N_18offset_tEEE10hipError_tPvRmT1_PNSt15iterator_traitsIS12_E10value_typeET2_T3_PNS13_IS18_E10value_typeET4_jRbjT5_S1E_jjP12ihipStream_tbEUljE_ZNSN_ISO_Lb0ESQ_SR_ST_SU_SY_EESZ_S10_S11_S12_S16_S17_S18_S1B_S1C_jS1D_jS1E_S1E_jjS1G_bEUljE0_EEESZ_S10_S11_S18_S1C_S1E_T6_T7_T9_mT8_S1G_bDpT10_ENKUlT_T0_E_clISt17integral_constantIbLb1EES1U_EEDaS1P_S1Q_EUlS1P_E_NS1_11comp_targetILNS1_3genE9ELNS1_11target_archE1100ELNS1_3gpuE3ELNS1_3repE0EEENS1_30default_config_static_selectorELNS0_4arch9wavefront6targetE0EEEvS12_.has_indirect_call, 0
	.section	.AMDGPU.csdata,"",@progbits
; Kernel info:
; codeLenInByte = 0
; TotalNumSgprs: 0
; NumVgprs: 0
; ScratchSize: 0
; MemoryBound: 0
; FloatMode: 240
; IeeeMode: 1
; LDSByteSize: 0 bytes/workgroup (compile time only)
; SGPRBlocks: 0
; VGPRBlocks: 0
; NumSGPRsForWavesPerEU: 1
; NumVGPRsForWavesPerEU: 1
; Occupancy: 16
; WaveLimiterHint : 0
; COMPUTE_PGM_RSRC2:SCRATCH_EN: 0
; COMPUTE_PGM_RSRC2:USER_SGPR: 6
; COMPUTE_PGM_RSRC2:TRAP_HANDLER: 0
; COMPUTE_PGM_RSRC2:TGID_X_EN: 1
; COMPUTE_PGM_RSRC2:TGID_Y_EN: 0
; COMPUTE_PGM_RSRC2:TGID_Z_EN: 0
; COMPUTE_PGM_RSRC2:TIDIG_COMP_CNT: 0
	.section	.text._ZN7rocprim17ROCPRIM_400000_NS6detail17trampoline_kernelINS0_13select_configILj256ELj13ELNS0_17block_load_methodE3ELS4_3ELS4_3ELNS0_20block_scan_algorithmE0ELj4294967295EEENS1_25partition_config_selectorILNS1_17partition_subalgoE4EjNS0_10empty_typeEbEEZZNS1_14partition_implILS8_4ELb0ES6_15HIP_vector_typeIjLj2EENS0_17counting_iteratorIjlEEPS9_SG_NS0_5tupleIJPjSI_NS0_16reverse_iteratorISI_EEEEENSH_IJSG_SG_SG_EEES9_SI_JZNS1_25segmented_radix_sort_implINS0_14default_configELb0EPKiPiPKlPlN2at6native12_GLOBAL__N_18offset_tEEE10hipError_tPvRmT1_PNSt15iterator_traitsIS12_E10value_typeET2_T3_PNS13_IS18_E10value_typeET4_jRbjT5_S1E_jjP12ihipStream_tbEUljE_ZNSN_ISO_Lb0ESQ_SR_ST_SU_SY_EESZ_S10_S11_S12_S16_S17_S18_S1B_S1C_jS1D_jS1E_S1E_jjS1G_bEUljE0_EEESZ_S10_S11_S18_S1C_S1E_T6_T7_T9_mT8_S1G_bDpT10_ENKUlT_T0_E_clISt17integral_constantIbLb1EES1U_EEDaS1P_S1Q_EUlS1P_E_NS1_11comp_targetILNS1_3genE8ELNS1_11target_archE1030ELNS1_3gpuE2ELNS1_3repE0EEENS1_30default_config_static_selectorELNS0_4arch9wavefront6targetE0EEEvS12_,"axG",@progbits,_ZN7rocprim17ROCPRIM_400000_NS6detail17trampoline_kernelINS0_13select_configILj256ELj13ELNS0_17block_load_methodE3ELS4_3ELS4_3ELNS0_20block_scan_algorithmE0ELj4294967295EEENS1_25partition_config_selectorILNS1_17partition_subalgoE4EjNS0_10empty_typeEbEEZZNS1_14partition_implILS8_4ELb0ES6_15HIP_vector_typeIjLj2EENS0_17counting_iteratorIjlEEPS9_SG_NS0_5tupleIJPjSI_NS0_16reverse_iteratorISI_EEEEENSH_IJSG_SG_SG_EEES9_SI_JZNS1_25segmented_radix_sort_implINS0_14default_configELb0EPKiPiPKlPlN2at6native12_GLOBAL__N_18offset_tEEE10hipError_tPvRmT1_PNSt15iterator_traitsIS12_E10value_typeET2_T3_PNS13_IS18_E10value_typeET4_jRbjT5_S1E_jjP12ihipStream_tbEUljE_ZNSN_ISO_Lb0ESQ_SR_ST_SU_SY_EESZ_S10_S11_S12_S16_S17_S18_S1B_S1C_jS1D_jS1E_S1E_jjS1G_bEUljE0_EEESZ_S10_S11_S18_S1C_S1E_T6_T7_T9_mT8_S1G_bDpT10_ENKUlT_T0_E_clISt17integral_constantIbLb1EES1U_EEDaS1P_S1Q_EUlS1P_E_NS1_11comp_targetILNS1_3genE8ELNS1_11target_archE1030ELNS1_3gpuE2ELNS1_3repE0EEENS1_30default_config_static_selectorELNS0_4arch9wavefront6targetE0EEEvS12_,comdat
	.globl	_ZN7rocprim17ROCPRIM_400000_NS6detail17trampoline_kernelINS0_13select_configILj256ELj13ELNS0_17block_load_methodE3ELS4_3ELS4_3ELNS0_20block_scan_algorithmE0ELj4294967295EEENS1_25partition_config_selectorILNS1_17partition_subalgoE4EjNS0_10empty_typeEbEEZZNS1_14partition_implILS8_4ELb0ES6_15HIP_vector_typeIjLj2EENS0_17counting_iteratorIjlEEPS9_SG_NS0_5tupleIJPjSI_NS0_16reverse_iteratorISI_EEEEENSH_IJSG_SG_SG_EEES9_SI_JZNS1_25segmented_radix_sort_implINS0_14default_configELb0EPKiPiPKlPlN2at6native12_GLOBAL__N_18offset_tEEE10hipError_tPvRmT1_PNSt15iterator_traitsIS12_E10value_typeET2_T3_PNS13_IS18_E10value_typeET4_jRbjT5_S1E_jjP12ihipStream_tbEUljE_ZNSN_ISO_Lb0ESQ_SR_ST_SU_SY_EESZ_S10_S11_S12_S16_S17_S18_S1B_S1C_jS1D_jS1E_S1E_jjS1G_bEUljE0_EEESZ_S10_S11_S18_S1C_S1E_T6_T7_T9_mT8_S1G_bDpT10_ENKUlT_T0_E_clISt17integral_constantIbLb1EES1U_EEDaS1P_S1Q_EUlS1P_E_NS1_11comp_targetILNS1_3genE8ELNS1_11target_archE1030ELNS1_3gpuE2ELNS1_3repE0EEENS1_30default_config_static_selectorELNS0_4arch9wavefront6targetE0EEEvS12_ ; -- Begin function _ZN7rocprim17ROCPRIM_400000_NS6detail17trampoline_kernelINS0_13select_configILj256ELj13ELNS0_17block_load_methodE3ELS4_3ELS4_3ELNS0_20block_scan_algorithmE0ELj4294967295EEENS1_25partition_config_selectorILNS1_17partition_subalgoE4EjNS0_10empty_typeEbEEZZNS1_14partition_implILS8_4ELb0ES6_15HIP_vector_typeIjLj2EENS0_17counting_iteratorIjlEEPS9_SG_NS0_5tupleIJPjSI_NS0_16reverse_iteratorISI_EEEEENSH_IJSG_SG_SG_EEES9_SI_JZNS1_25segmented_radix_sort_implINS0_14default_configELb0EPKiPiPKlPlN2at6native12_GLOBAL__N_18offset_tEEE10hipError_tPvRmT1_PNSt15iterator_traitsIS12_E10value_typeET2_T3_PNS13_IS18_E10value_typeET4_jRbjT5_S1E_jjP12ihipStream_tbEUljE_ZNSN_ISO_Lb0ESQ_SR_ST_SU_SY_EESZ_S10_S11_S12_S16_S17_S18_S1B_S1C_jS1D_jS1E_S1E_jjS1G_bEUljE0_EEESZ_S10_S11_S18_S1C_S1E_T6_T7_T9_mT8_S1G_bDpT10_ENKUlT_T0_E_clISt17integral_constantIbLb1EES1U_EEDaS1P_S1Q_EUlS1P_E_NS1_11comp_targetILNS1_3genE8ELNS1_11target_archE1030ELNS1_3gpuE2ELNS1_3repE0EEENS1_30default_config_static_selectorELNS0_4arch9wavefront6targetE0EEEvS12_
	.p2align	8
	.type	_ZN7rocprim17ROCPRIM_400000_NS6detail17trampoline_kernelINS0_13select_configILj256ELj13ELNS0_17block_load_methodE3ELS4_3ELS4_3ELNS0_20block_scan_algorithmE0ELj4294967295EEENS1_25partition_config_selectorILNS1_17partition_subalgoE4EjNS0_10empty_typeEbEEZZNS1_14partition_implILS8_4ELb0ES6_15HIP_vector_typeIjLj2EENS0_17counting_iteratorIjlEEPS9_SG_NS0_5tupleIJPjSI_NS0_16reverse_iteratorISI_EEEEENSH_IJSG_SG_SG_EEES9_SI_JZNS1_25segmented_radix_sort_implINS0_14default_configELb0EPKiPiPKlPlN2at6native12_GLOBAL__N_18offset_tEEE10hipError_tPvRmT1_PNSt15iterator_traitsIS12_E10value_typeET2_T3_PNS13_IS18_E10value_typeET4_jRbjT5_S1E_jjP12ihipStream_tbEUljE_ZNSN_ISO_Lb0ESQ_SR_ST_SU_SY_EESZ_S10_S11_S12_S16_S17_S18_S1B_S1C_jS1D_jS1E_S1E_jjS1G_bEUljE0_EEESZ_S10_S11_S18_S1C_S1E_T6_T7_T9_mT8_S1G_bDpT10_ENKUlT_T0_E_clISt17integral_constantIbLb1EES1U_EEDaS1P_S1Q_EUlS1P_E_NS1_11comp_targetILNS1_3genE8ELNS1_11target_archE1030ELNS1_3gpuE2ELNS1_3repE0EEENS1_30default_config_static_selectorELNS0_4arch9wavefront6targetE0EEEvS12_,@function
_ZN7rocprim17ROCPRIM_400000_NS6detail17trampoline_kernelINS0_13select_configILj256ELj13ELNS0_17block_load_methodE3ELS4_3ELS4_3ELNS0_20block_scan_algorithmE0ELj4294967295EEENS1_25partition_config_selectorILNS1_17partition_subalgoE4EjNS0_10empty_typeEbEEZZNS1_14partition_implILS8_4ELb0ES6_15HIP_vector_typeIjLj2EENS0_17counting_iteratorIjlEEPS9_SG_NS0_5tupleIJPjSI_NS0_16reverse_iteratorISI_EEEEENSH_IJSG_SG_SG_EEES9_SI_JZNS1_25segmented_radix_sort_implINS0_14default_configELb0EPKiPiPKlPlN2at6native12_GLOBAL__N_18offset_tEEE10hipError_tPvRmT1_PNSt15iterator_traitsIS12_E10value_typeET2_T3_PNS13_IS18_E10value_typeET4_jRbjT5_S1E_jjP12ihipStream_tbEUljE_ZNSN_ISO_Lb0ESQ_SR_ST_SU_SY_EESZ_S10_S11_S12_S16_S17_S18_S1B_S1C_jS1D_jS1E_S1E_jjS1G_bEUljE0_EEESZ_S10_S11_S18_S1C_S1E_T6_T7_T9_mT8_S1G_bDpT10_ENKUlT_T0_E_clISt17integral_constantIbLb1EES1U_EEDaS1P_S1Q_EUlS1P_E_NS1_11comp_targetILNS1_3genE8ELNS1_11target_archE1030ELNS1_3gpuE2ELNS1_3repE0EEENS1_30default_config_static_selectorELNS0_4arch9wavefront6targetE0EEEvS12_: ; @_ZN7rocprim17ROCPRIM_400000_NS6detail17trampoline_kernelINS0_13select_configILj256ELj13ELNS0_17block_load_methodE3ELS4_3ELS4_3ELNS0_20block_scan_algorithmE0ELj4294967295EEENS1_25partition_config_selectorILNS1_17partition_subalgoE4EjNS0_10empty_typeEbEEZZNS1_14partition_implILS8_4ELb0ES6_15HIP_vector_typeIjLj2EENS0_17counting_iteratorIjlEEPS9_SG_NS0_5tupleIJPjSI_NS0_16reverse_iteratorISI_EEEEENSH_IJSG_SG_SG_EEES9_SI_JZNS1_25segmented_radix_sort_implINS0_14default_configELb0EPKiPiPKlPlN2at6native12_GLOBAL__N_18offset_tEEE10hipError_tPvRmT1_PNSt15iterator_traitsIS12_E10value_typeET2_T3_PNS13_IS18_E10value_typeET4_jRbjT5_S1E_jjP12ihipStream_tbEUljE_ZNSN_ISO_Lb0ESQ_SR_ST_SU_SY_EESZ_S10_S11_S12_S16_S17_S18_S1B_S1C_jS1D_jS1E_S1E_jjS1G_bEUljE0_EEESZ_S10_S11_S18_S1C_S1E_T6_T7_T9_mT8_S1G_bDpT10_ENKUlT_T0_E_clISt17integral_constantIbLb1EES1U_EEDaS1P_S1Q_EUlS1P_E_NS1_11comp_targetILNS1_3genE8ELNS1_11target_archE1030ELNS1_3gpuE2ELNS1_3repE0EEENS1_30default_config_static_selectorELNS0_4arch9wavefront6targetE0EEEvS12_
; %bb.0:
	s_endpgm
	.section	.rodata,"a",@progbits
	.p2align	6, 0x0
	.amdhsa_kernel _ZN7rocprim17ROCPRIM_400000_NS6detail17trampoline_kernelINS0_13select_configILj256ELj13ELNS0_17block_load_methodE3ELS4_3ELS4_3ELNS0_20block_scan_algorithmE0ELj4294967295EEENS1_25partition_config_selectorILNS1_17partition_subalgoE4EjNS0_10empty_typeEbEEZZNS1_14partition_implILS8_4ELb0ES6_15HIP_vector_typeIjLj2EENS0_17counting_iteratorIjlEEPS9_SG_NS0_5tupleIJPjSI_NS0_16reverse_iteratorISI_EEEEENSH_IJSG_SG_SG_EEES9_SI_JZNS1_25segmented_radix_sort_implINS0_14default_configELb0EPKiPiPKlPlN2at6native12_GLOBAL__N_18offset_tEEE10hipError_tPvRmT1_PNSt15iterator_traitsIS12_E10value_typeET2_T3_PNS13_IS18_E10value_typeET4_jRbjT5_S1E_jjP12ihipStream_tbEUljE_ZNSN_ISO_Lb0ESQ_SR_ST_SU_SY_EESZ_S10_S11_S12_S16_S17_S18_S1B_S1C_jS1D_jS1E_S1E_jjS1G_bEUljE0_EEESZ_S10_S11_S18_S1C_S1E_T6_T7_T9_mT8_S1G_bDpT10_ENKUlT_T0_E_clISt17integral_constantIbLb1EES1U_EEDaS1P_S1Q_EUlS1P_E_NS1_11comp_targetILNS1_3genE8ELNS1_11target_archE1030ELNS1_3gpuE2ELNS1_3repE0EEENS1_30default_config_static_selectorELNS0_4arch9wavefront6targetE0EEEvS12_
		.amdhsa_group_segment_fixed_size 0
		.amdhsa_private_segment_fixed_size 0
		.amdhsa_kernarg_size 184
		.amdhsa_user_sgpr_count 6
		.amdhsa_user_sgpr_private_segment_buffer 1
		.amdhsa_user_sgpr_dispatch_ptr 0
		.amdhsa_user_sgpr_queue_ptr 0
		.amdhsa_user_sgpr_kernarg_segment_ptr 1
		.amdhsa_user_sgpr_dispatch_id 0
		.amdhsa_user_sgpr_flat_scratch_init 0
		.amdhsa_user_sgpr_private_segment_size 0
		.amdhsa_wavefront_size32 1
		.amdhsa_uses_dynamic_stack 0
		.amdhsa_system_sgpr_private_segment_wavefront_offset 0
		.amdhsa_system_sgpr_workgroup_id_x 1
		.amdhsa_system_sgpr_workgroup_id_y 0
		.amdhsa_system_sgpr_workgroup_id_z 0
		.amdhsa_system_sgpr_workgroup_info 0
		.amdhsa_system_vgpr_workitem_id 0
		.amdhsa_next_free_vgpr 1
		.amdhsa_next_free_sgpr 1
		.amdhsa_reserve_vcc 0
		.amdhsa_reserve_flat_scratch 0
		.amdhsa_float_round_mode_32 0
		.amdhsa_float_round_mode_16_64 0
		.amdhsa_float_denorm_mode_32 3
		.amdhsa_float_denorm_mode_16_64 3
		.amdhsa_dx10_clamp 1
		.amdhsa_ieee_mode 1
		.amdhsa_fp16_overflow 0
		.amdhsa_workgroup_processor_mode 1
		.amdhsa_memory_ordered 1
		.amdhsa_forward_progress 1
		.amdhsa_shared_vgpr_count 0
		.amdhsa_exception_fp_ieee_invalid_op 0
		.amdhsa_exception_fp_denorm_src 0
		.amdhsa_exception_fp_ieee_div_zero 0
		.amdhsa_exception_fp_ieee_overflow 0
		.amdhsa_exception_fp_ieee_underflow 0
		.amdhsa_exception_fp_ieee_inexact 0
		.amdhsa_exception_int_div_zero 0
	.end_amdhsa_kernel
	.section	.text._ZN7rocprim17ROCPRIM_400000_NS6detail17trampoline_kernelINS0_13select_configILj256ELj13ELNS0_17block_load_methodE3ELS4_3ELS4_3ELNS0_20block_scan_algorithmE0ELj4294967295EEENS1_25partition_config_selectorILNS1_17partition_subalgoE4EjNS0_10empty_typeEbEEZZNS1_14partition_implILS8_4ELb0ES6_15HIP_vector_typeIjLj2EENS0_17counting_iteratorIjlEEPS9_SG_NS0_5tupleIJPjSI_NS0_16reverse_iteratorISI_EEEEENSH_IJSG_SG_SG_EEES9_SI_JZNS1_25segmented_radix_sort_implINS0_14default_configELb0EPKiPiPKlPlN2at6native12_GLOBAL__N_18offset_tEEE10hipError_tPvRmT1_PNSt15iterator_traitsIS12_E10value_typeET2_T3_PNS13_IS18_E10value_typeET4_jRbjT5_S1E_jjP12ihipStream_tbEUljE_ZNSN_ISO_Lb0ESQ_SR_ST_SU_SY_EESZ_S10_S11_S12_S16_S17_S18_S1B_S1C_jS1D_jS1E_S1E_jjS1G_bEUljE0_EEESZ_S10_S11_S18_S1C_S1E_T6_T7_T9_mT8_S1G_bDpT10_ENKUlT_T0_E_clISt17integral_constantIbLb1EES1U_EEDaS1P_S1Q_EUlS1P_E_NS1_11comp_targetILNS1_3genE8ELNS1_11target_archE1030ELNS1_3gpuE2ELNS1_3repE0EEENS1_30default_config_static_selectorELNS0_4arch9wavefront6targetE0EEEvS12_,"axG",@progbits,_ZN7rocprim17ROCPRIM_400000_NS6detail17trampoline_kernelINS0_13select_configILj256ELj13ELNS0_17block_load_methodE3ELS4_3ELS4_3ELNS0_20block_scan_algorithmE0ELj4294967295EEENS1_25partition_config_selectorILNS1_17partition_subalgoE4EjNS0_10empty_typeEbEEZZNS1_14partition_implILS8_4ELb0ES6_15HIP_vector_typeIjLj2EENS0_17counting_iteratorIjlEEPS9_SG_NS0_5tupleIJPjSI_NS0_16reverse_iteratorISI_EEEEENSH_IJSG_SG_SG_EEES9_SI_JZNS1_25segmented_radix_sort_implINS0_14default_configELb0EPKiPiPKlPlN2at6native12_GLOBAL__N_18offset_tEEE10hipError_tPvRmT1_PNSt15iterator_traitsIS12_E10value_typeET2_T3_PNS13_IS18_E10value_typeET4_jRbjT5_S1E_jjP12ihipStream_tbEUljE_ZNSN_ISO_Lb0ESQ_SR_ST_SU_SY_EESZ_S10_S11_S12_S16_S17_S18_S1B_S1C_jS1D_jS1E_S1E_jjS1G_bEUljE0_EEESZ_S10_S11_S18_S1C_S1E_T6_T7_T9_mT8_S1G_bDpT10_ENKUlT_T0_E_clISt17integral_constantIbLb1EES1U_EEDaS1P_S1Q_EUlS1P_E_NS1_11comp_targetILNS1_3genE8ELNS1_11target_archE1030ELNS1_3gpuE2ELNS1_3repE0EEENS1_30default_config_static_selectorELNS0_4arch9wavefront6targetE0EEEvS12_,comdat
.Lfunc_end546:
	.size	_ZN7rocprim17ROCPRIM_400000_NS6detail17trampoline_kernelINS0_13select_configILj256ELj13ELNS0_17block_load_methodE3ELS4_3ELS4_3ELNS0_20block_scan_algorithmE0ELj4294967295EEENS1_25partition_config_selectorILNS1_17partition_subalgoE4EjNS0_10empty_typeEbEEZZNS1_14partition_implILS8_4ELb0ES6_15HIP_vector_typeIjLj2EENS0_17counting_iteratorIjlEEPS9_SG_NS0_5tupleIJPjSI_NS0_16reverse_iteratorISI_EEEEENSH_IJSG_SG_SG_EEES9_SI_JZNS1_25segmented_radix_sort_implINS0_14default_configELb0EPKiPiPKlPlN2at6native12_GLOBAL__N_18offset_tEEE10hipError_tPvRmT1_PNSt15iterator_traitsIS12_E10value_typeET2_T3_PNS13_IS18_E10value_typeET4_jRbjT5_S1E_jjP12ihipStream_tbEUljE_ZNSN_ISO_Lb0ESQ_SR_ST_SU_SY_EESZ_S10_S11_S12_S16_S17_S18_S1B_S1C_jS1D_jS1E_S1E_jjS1G_bEUljE0_EEESZ_S10_S11_S18_S1C_S1E_T6_T7_T9_mT8_S1G_bDpT10_ENKUlT_T0_E_clISt17integral_constantIbLb1EES1U_EEDaS1P_S1Q_EUlS1P_E_NS1_11comp_targetILNS1_3genE8ELNS1_11target_archE1030ELNS1_3gpuE2ELNS1_3repE0EEENS1_30default_config_static_selectorELNS0_4arch9wavefront6targetE0EEEvS12_, .Lfunc_end546-_ZN7rocprim17ROCPRIM_400000_NS6detail17trampoline_kernelINS0_13select_configILj256ELj13ELNS0_17block_load_methodE3ELS4_3ELS4_3ELNS0_20block_scan_algorithmE0ELj4294967295EEENS1_25partition_config_selectorILNS1_17partition_subalgoE4EjNS0_10empty_typeEbEEZZNS1_14partition_implILS8_4ELb0ES6_15HIP_vector_typeIjLj2EENS0_17counting_iteratorIjlEEPS9_SG_NS0_5tupleIJPjSI_NS0_16reverse_iteratorISI_EEEEENSH_IJSG_SG_SG_EEES9_SI_JZNS1_25segmented_radix_sort_implINS0_14default_configELb0EPKiPiPKlPlN2at6native12_GLOBAL__N_18offset_tEEE10hipError_tPvRmT1_PNSt15iterator_traitsIS12_E10value_typeET2_T3_PNS13_IS18_E10value_typeET4_jRbjT5_S1E_jjP12ihipStream_tbEUljE_ZNSN_ISO_Lb0ESQ_SR_ST_SU_SY_EESZ_S10_S11_S12_S16_S17_S18_S1B_S1C_jS1D_jS1E_S1E_jjS1G_bEUljE0_EEESZ_S10_S11_S18_S1C_S1E_T6_T7_T9_mT8_S1G_bDpT10_ENKUlT_T0_E_clISt17integral_constantIbLb1EES1U_EEDaS1P_S1Q_EUlS1P_E_NS1_11comp_targetILNS1_3genE8ELNS1_11target_archE1030ELNS1_3gpuE2ELNS1_3repE0EEENS1_30default_config_static_selectorELNS0_4arch9wavefront6targetE0EEEvS12_
                                        ; -- End function
	.set _ZN7rocprim17ROCPRIM_400000_NS6detail17trampoline_kernelINS0_13select_configILj256ELj13ELNS0_17block_load_methodE3ELS4_3ELS4_3ELNS0_20block_scan_algorithmE0ELj4294967295EEENS1_25partition_config_selectorILNS1_17partition_subalgoE4EjNS0_10empty_typeEbEEZZNS1_14partition_implILS8_4ELb0ES6_15HIP_vector_typeIjLj2EENS0_17counting_iteratorIjlEEPS9_SG_NS0_5tupleIJPjSI_NS0_16reverse_iteratorISI_EEEEENSH_IJSG_SG_SG_EEES9_SI_JZNS1_25segmented_radix_sort_implINS0_14default_configELb0EPKiPiPKlPlN2at6native12_GLOBAL__N_18offset_tEEE10hipError_tPvRmT1_PNSt15iterator_traitsIS12_E10value_typeET2_T3_PNS13_IS18_E10value_typeET4_jRbjT5_S1E_jjP12ihipStream_tbEUljE_ZNSN_ISO_Lb0ESQ_SR_ST_SU_SY_EESZ_S10_S11_S12_S16_S17_S18_S1B_S1C_jS1D_jS1E_S1E_jjS1G_bEUljE0_EEESZ_S10_S11_S18_S1C_S1E_T6_T7_T9_mT8_S1G_bDpT10_ENKUlT_T0_E_clISt17integral_constantIbLb1EES1U_EEDaS1P_S1Q_EUlS1P_E_NS1_11comp_targetILNS1_3genE8ELNS1_11target_archE1030ELNS1_3gpuE2ELNS1_3repE0EEENS1_30default_config_static_selectorELNS0_4arch9wavefront6targetE0EEEvS12_.num_vgpr, 0
	.set _ZN7rocprim17ROCPRIM_400000_NS6detail17trampoline_kernelINS0_13select_configILj256ELj13ELNS0_17block_load_methodE3ELS4_3ELS4_3ELNS0_20block_scan_algorithmE0ELj4294967295EEENS1_25partition_config_selectorILNS1_17partition_subalgoE4EjNS0_10empty_typeEbEEZZNS1_14partition_implILS8_4ELb0ES6_15HIP_vector_typeIjLj2EENS0_17counting_iteratorIjlEEPS9_SG_NS0_5tupleIJPjSI_NS0_16reverse_iteratorISI_EEEEENSH_IJSG_SG_SG_EEES9_SI_JZNS1_25segmented_radix_sort_implINS0_14default_configELb0EPKiPiPKlPlN2at6native12_GLOBAL__N_18offset_tEEE10hipError_tPvRmT1_PNSt15iterator_traitsIS12_E10value_typeET2_T3_PNS13_IS18_E10value_typeET4_jRbjT5_S1E_jjP12ihipStream_tbEUljE_ZNSN_ISO_Lb0ESQ_SR_ST_SU_SY_EESZ_S10_S11_S12_S16_S17_S18_S1B_S1C_jS1D_jS1E_S1E_jjS1G_bEUljE0_EEESZ_S10_S11_S18_S1C_S1E_T6_T7_T9_mT8_S1G_bDpT10_ENKUlT_T0_E_clISt17integral_constantIbLb1EES1U_EEDaS1P_S1Q_EUlS1P_E_NS1_11comp_targetILNS1_3genE8ELNS1_11target_archE1030ELNS1_3gpuE2ELNS1_3repE0EEENS1_30default_config_static_selectorELNS0_4arch9wavefront6targetE0EEEvS12_.num_agpr, 0
	.set _ZN7rocprim17ROCPRIM_400000_NS6detail17trampoline_kernelINS0_13select_configILj256ELj13ELNS0_17block_load_methodE3ELS4_3ELS4_3ELNS0_20block_scan_algorithmE0ELj4294967295EEENS1_25partition_config_selectorILNS1_17partition_subalgoE4EjNS0_10empty_typeEbEEZZNS1_14partition_implILS8_4ELb0ES6_15HIP_vector_typeIjLj2EENS0_17counting_iteratorIjlEEPS9_SG_NS0_5tupleIJPjSI_NS0_16reverse_iteratorISI_EEEEENSH_IJSG_SG_SG_EEES9_SI_JZNS1_25segmented_radix_sort_implINS0_14default_configELb0EPKiPiPKlPlN2at6native12_GLOBAL__N_18offset_tEEE10hipError_tPvRmT1_PNSt15iterator_traitsIS12_E10value_typeET2_T3_PNS13_IS18_E10value_typeET4_jRbjT5_S1E_jjP12ihipStream_tbEUljE_ZNSN_ISO_Lb0ESQ_SR_ST_SU_SY_EESZ_S10_S11_S12_S16_S17_S18_S1B_S1C_jS1D_jS1E_S1E_jjS1G_bEUljE0_EEESZ_S10_S11_S18_S1C_S1E_T6_T7_T9_mT8_S1G_bDpT10_ENKUlT_T0_E_clISt17integral_constantIbLb1EES1U_EEDaS1P_S1Q_EUlS1P_E_NS1_11comp_targetILNS1_3genE8ELNS1_11target_archE1030ELNS1_3gpuE2ELNS1_3repE0EEENS1_30default_config_static_selectorELNS0_4arch9wavefront6targetE0EEEvS12_.numbered_sgpr, 0
	.set _ZN7rocprim17ROCPRIM_400000_NS6detail17trampoline_kernelINS0_13select_configILj256ELj13ELNS0_17block_load_methodE3ELS4_3ELS4_3ELNS0_20block_scan_algorithmE0ELj4294967295EEENS1_25partition_config_selectorILNS1_17partition_subalgoE4EjNS0_10empty_typeEbEEZZNS1_14partition_implILS8_4ELb0ES6_15HIP_vector_typeIjLj2EENS0_17counting_iteratorIjlEEPS9_SG_NS0_5tupleIJPjSI_NS0_16reverse_iteratorISI_EEEEENSH_IJSG_SG_SG_EEES9_SI_JZNS1_25segmented_radix_sort_implINS0_14default_configELb0EPKiPiPKlPlN2at6native12_GLOBAL__N_18offset_tEEE10hipError_tPvRmT1_PNSt15iterator_traitsIS12_E10value_typeET2_T3_PNS13_IS18_E10value_typeET4_jRbjT5_S1E_jjP12ihipStream_tbEUljE_ZNSN_ISO_Lb0ESQ_SR_ST_SU_SY_EESZ_S10_S11_S12_S16_S17_S18_S1B_S1C_jS1D_jS1E_S1E_jjS1G_bEUljE0_EEESZ_S10_S11_S18_S1C_S1E_T6_T7_T9_mT8_S1G_bDpT10_ENKUlT_T0_E_clISt17integral_constantIbLb1EES1U_EEDaS1P_S1Q_EUlS1P_E_NS1_11comp_targetILNS1_3genE8ELNS1_11target_archE1030ELNS1_3gpuE2ELNS1_3repE0EEENS1_30default_config_static_selectorELNS0_4arch9wavefront6targetE0EEEvS12_.num_named_barrier, 0
	.set _ZN7rocprim17ROCPRIM_400000_NS6detail17trampoline_kernelINS0_13select_configILj256ELj13ELNS0_17block_load_methodE3ELS4_3ELS4_3ELNS0_20block_scan_algorithmE0ELj4294967295EEENS1_25partition_config_selectorILNS1_17partition_subalgoE4EjNS0_10empty_typeEbEEZZNS1_14partition_implILS8_4ELb0ES6_15HIP_vector_typeIjLj2EENS0_17counting_iteratorIjlEEPS9_SG_NS0_5tupleIJPjSI_NS0_16reverse_iteratorISI_EEEEENSH_IJSG_SG_SG_EEES9_SI_JZNS1_25segmented_radix_sort_implINS0_14default_configELb0EPKiPiPKlPlN2at6native12_GLOBAL__N_18offset_tEEE10hipError_tPvRmT1_PNSt15iterator_traitsIS12_E10value_typeET2_T3_PNS13_IS18_E10value_typeET4_jRbjT5_S1E_jjP12ihipStream_tbEUljE_ZNSN_ISO_Lb0ESQ_SR_ST_SU_SY_EESZ_S10_S11_S12_S16_S17_S18_S1B_S1C_jS1D_jS1E_S1E_jjS1G_bEUljE0_EEESZ_S10_S11_S18_S1C_S1E_T6_T7_T9_mT8_S1G_bDpT10_ENKUlT_T0_E_clISt17integral_constantIbLb1EES1U_EEDaS1P_S1Q_EUlS1P_E_NS1_11comp_targetILNS1_3genE8ELNS1_11target_archE1030ELNS1_3gpuE2ELNS1_3repE0EEENS1_30default_config_static_selectorELNS0_4arch9wavefront6targetE0EEEvS12_.private_seg_size, 0
	.set _ZN7rocprim17ROCPRIM_400000_NS6detail17trampoline_kernelINS0_13select_configILj256ELj13ELNS0_17block_load_methodE3ELS4_3ELS4_3ELNS0_20block_scan_algorithmE0ELj4294967295EEENS1_25partition_config_selectorILNS1_17partition_subalgoE4EjNS0_10empty_typeEbEEZZNS1_14partition_implILS8_4ELb0ES6_15HIP_vector_typeIjLj2EENS0_17counting_iteratorIjlEEPS9_SG_NS0_5tupleIJPjSI_NS0_16reverse_iteratorISI_EEEEENSH_IJSG_SG_SG_EEES9_SI_JZNS1_25segmented_radix_sort_implINS0_14default_configELb0EPKiPiPKlPlN2at6native12_GLOBAL__N_18offset_tEEE10hipError_tPvRmT1_PNSt15iterator_traitsIS12_E10value_typeET2_T3_PNS13_IS18_E10value_typeET4_jRbjT5_S1E_jjP12ihipStream_tbEUljE_ZNSN_ISO_Lb0ESQ_SR_ST_SU_SY_EESZ_S10_S11_S12_S16_S17_S18_S1B_S1C_jS1D_jS1E_S1E_jjS1G_bEUljE0_EEESZ_S10_S11_S18_S1C_S1E_T6_T7_T9_mT8_S1G_bDpT10_ENKUlT_T0_E_clISt17integral_constantIbLb1EES1U_EEDaS1P_S1Q_EUlS1P_E_NS1_11comp_targetILNS1_3genE8ELNS1_11target_archE1030ELNS1_3gpuE2ELNS1_3repE0EEENS1_30default_config_static_selectorELNS0_4arch9wavefront6targetE0EEEvS12_.uses_vcc, 0
	.set _ZN7rocprim17ROCPRIM_400000_NS6detail17trampoline_kernelINS0_13select_configILj256ELj13ELNS0_17block_load_methodE3ELS4_3ELS4_3ELNS0_20block_scan_algorithmE0ELj4294967295EEENS1_25partition_config_selectorILNS1_17partition_subalgoE4EjNS0_10empty_typeEbEEZZNS1_14partition_implILS8_4ELb0ES6_15HIP_vector_typeIjLj2EENS0_17counting_iteratorIjlEEPS9_SG_NS0_5tupleIJPjSI_NS0_16reverse_iteratorISI_EEEEENSH_IJSG_SG_SG_EEES9_SI_JZNS1_25segmented_radix_sort_implINS0_14default_configELb0EPKiPiPKlPlN2at6native12_GLOBAL__N_18offset_tEEE10hipError_tPvRmT1_PNSt15iterator_traitsIS12_E10value_typeET2_T3_PNS13_IS18_E10value_typeET4_jRbjT5_S1E_jjP12ihipStream_tbEUljE_ZNSN_ISO_Lb0ESQ_SR_ST_SU_SY_EESZ_S10_S11_S12_S16_S17_S18_S1B_S1C_jS1D_jS1E_S1E_jjS1G_bEUljE0_EEESZ_S10_S11_S18_S1C_S1E_T6_T7_T9_mT8_S1G_bDpT10_ENKUlT_T0_E_clISt17integral_constantIbLb1EES1U_EEDaS1P_S1Q_EUlS1P_E_NS1_11comp_targetILNS1_3genE8ELNS1_11target_archE1030ELNS1_3gpuE2ELNS1_3repE0EEENS1_30default_config_static_selectorELNS0_4arch9wavefront6targetE0EEEvS12_.uses_flat_scratch, 0
	.set _ZN7rocprim17ROCPRIM_400000_NS6detail17trampoline_kernelINS0_13select_configILj256ELj13ELNS0_17block_load_methodE3ELS4_3ELS4_3ELNS0_20block_scan_algorithmE0ELj4294967295EEENS1_25partition_config_selectorILNS1_17partition_subalgoE4EjNS0_10empty_typeEbEEZZNS1_14partition_implILS8_4ELb0ES6_15HIP_vector_typeIjLj2EENS0_17counting_iteratorIjlEEPS9_SG_NS0_5tupleIJPjSI_NS0_16reverse_iteratorISI_EEEEENSH_IJSG_SG_SG_EEES9_SI_JZNS1_25segmented_radix_sort_implINS0_14default_configELb0EPKiPiPKlPlN2at6native12_GLOBAL__N_18offset_tEEE10hipError_tPvRmT1_PNSt15iterator_traitsIS12_E10value_typeET2_T3_PNS13_IS18_E10value_typeET4_jRbjT5_S1E_jjP12ihipStream_tbEUljE_ZNSN_ISO_Lb0ESQ_SR_ST_SU_SY_EESZ_S10_S11_S12_S16_S17_S18_S1B_S1C_jS1D_jS1E_S1E_jjS1G_bEUljE0_EEESZ_S10_S11_S18_S1C_S1E_T6_T7_T9_mT8_S1G_bDpT10_ENKUlT_T0_E_clISt17integral_constantIbLb1EES1U_EEDaS1P_S1Q_EUlS1P_E_NS1_11comp_targetILNS1_3genE8ELNS1_11target_archE1030ELNS1_3gpuE2ELNS1_3repE0EEENS1_30default_config_static_selectorELNS0_4arch9wavefront6targetE0EEEvS12_.has_dyn_sized_stack, 0
	.set _ZN7rocprim17ROCPRIM_400000_NS6detail17trampoline_kernelINS0_13select_configILj256ELj13ELNS0_17block_load_methodE3ELS4_3ELS4_3ELNS0_20block_scan_algorithmE0ELj4294967295EEENS1_25partition_config_selectorILNS1_17partition_subalgoE4EjNS0_10empty_typeEbEEZZNS1_14partition_implILS8_4ELb0ES6_15HIP_vector_typeIjLj2EENS0_17counting_iteratorIjlEEPS9_SG_NS0_5tupleIJPjSI_NS0_16reverse_iteratorISI_EEEEENSH_IJSG_SG_SG_EEES9_SI_JZNS1_25segmented_radix_sort_implINS0_14default_configELb0EPKiPiPKlPlN2at6native12_GLOBAL__N_18offset_tEEE10hipError_tPvRmT1_PNSt15iterator_traitsIS12_E10value_typeET2_T3_PNS13_IS18_E10value_typeET4_jRbjT5_S1E_jjP12ihipStream_tbEUljE_ZNSN_ISO_Lb0ESQ_SR_ST_SU_SY_EESZ_S10_S11_S12_S16_S17_S18_S1B_S1C_jS1D_jS1E_S1E_jjS1G_bEUljE0_EEESZ_S10_S11_S18_S1C_S1E_T6_T7_T9_mT8_S1G_bDpT10_ENKUlT_T0_E_clISt17integral_constantIbLb1EES1U_EEDaS1P_S1Q_EUlS1P_E_NS1_11comp_targetILNS1_3genE8ELNS1_11target_archE1030ELNS1_3gpuE2ELNS1_3repE0EEENS1_30default_config_static_selectorELNS0_4arch9wavefront6targetE0EEEvS12_.has_recursion, 0
	.set _ZN7rocprim17ROCPRIM_400000_NS6detail17trampoline_kernelINS0_13select_configILj256ELj13ELNS0_17block_load_methodE3ELS4_3ELS4_3ELNS0_20block_scan_algorithmE0ELj4294967295EEENS1_25partition_config_selectorILNS1_17partition_subalgoE4EjNS0_10empty_typeEbEEZZNS1_14partition_implILS8_4ELb0ES6_15HIP_vector_typeIjLj2EENS0_17counting_iteratorIjlEEPS9_SG_NS0_5tupleIJPjSI_NS0_16reverse_iteratorISI_EEEEENSH_IJSG_SG_SG_EEES9_SI_JZNS1_25segmented_radix_sort_implINS0_14default_configELb0EPKiPiPKlPlN2at6native12_GLOBAL__N_18offset_tEEE10hipError_tPvRmT1_PNSt15iterator_traitsIS12_E10value_typeET2_T3_PNS13_IS18_E10value_typeET4_jRbjT5_S1E_jjP12ihipStream_tbEUljE_ZNSN_ISO_Lb0ESQ_SR_ST_SU_SY_EESZ_S10_S11_S12_S16_S17_S18_S1B_S1C_jS1D_jS1E_S1E_jjS1G_bEUljE0_EEESZ_S10_S11_S18_S1C_S1E_T6_T7_T9_mT8_S1G_bDpT10_ENKUlT_T0_E_clISt17integral_constantIbLb1EES1U_EEDaS1P_S1Q_EUlS1P_E_NS1_11comp_targetILNS1_3genE8ELNS1_11target_archE1030ELNS1_3gpuE2ELNS1_3repE0EEENS1_30default_config_static_selectorELNS0_4arch9wavefront6targetE0EEEvS12_.has_indirect_call, 0
	.section	.AMDGPU.csdata,"",@progbits
; Kernel info:
; codeLenInByte = 4
; TotalNumSgprs: 0
; NumVgprs: 0
; ScratchSize: 0
; MemoryBound: 0
; FloatMode: 240
; IeeeMode: 1
; LDSByteSize: 0 bytes/workgroup (compile time only)
; SGPRBlocks: 0
; VGPRBlocks: 0
; NumSGPRsForWavesPerEU: 1
; NumVGPRsForWavesPerEU: 1
; Occupancy: 16
; WaveLimiterHint : 0
; COMPUTE_PGM_RSRC2:SCRATCH_EN: 0
; COMPUTE_PGM_RSRC2:USER_SGPR: 6
; COMPUTE_PGM_RSRC2:TRAP_HANDLER: 0
; COMPUTE_PGM_RSRC2:TGID_X_EN: 1
; COMPUTE_PGM_RSRC2:TGID_Y_EN: 0
; COMPUTE_PGM_RSRC2:TGID_Z_EN: 0
; COMPUTE_PGM_RSRC2:TIDIG_COMP_CNT: 0
	.section	.text._ZN7rocprim17ROCPRIM_400000_NS6detail17trampoline_kernelINS0_13select_configILj256ELj13ELNS0_17block_load_methodE3ELS4_3ELS4_3ELNS0_20block_scan_algorithmE0ELj4294967295EEENS1_25partition_config_selectorILNS1_17partition_subalgoE4EjNS0_10empty_typeEbEEZZNS1_14partition_implILS8_4ELb0ES6_15HIP_vector_typeIjLj2EENS0_17counting_iteratorIjlEEPS9_SG_NS0_5tupleIJPjSI_NS0_16reverse_iteratorISI_EEEEENSH_IJSG_SG_SG_EEES9_SI_JZNS1_25segmented_radix_sort_implINS0_14default_configELb0EPKiPiPKlPlN2at6native12_GLOBAL__N_18offset_tEEE10hipError_tPvRmT1_PNSt15iterator_traitsIS12_E10value_typeET2_T3_PNS13_IS18_E10value_typeET4_jRbjT5_S1E_jjP12ihipStream_tbEUljE_ZNSN_ISO_Lb0ESQ_SR_ST_SU_SY_EESZ_S10_S11_S12_S16_S17_S18_S1B_S1C_jS1D_jS1E_S1E_jjS1G_bEUljE0_EEESZ_S10_S11_S18_S1C_S1E_T6_T7_T9_mT8_S1G_bDpT10_ENKUlT_T0_E_clISt17integral_constantIbLb1EES1T_IbLb0EEEEDaS1P_S1Q_EUlS1P_E_NS1_11comp_targetILNS1_3genE0ELNS1_11target_archE4294967295ELNS1_3gpuE0ELNS1_3repE0EEENS1_30default_config_static_selectorELNS0_4arch9wavefront6targetE0EEEvS12_,"axG",@progbits,_ZN7rocprim17ROCPRIM_400000_NS6detail17trampoline_kernelINS0_13select_configILj256ELj13ELNS0_17block_load_methodE3ELS4_3ELS4_3ELNS0_20block_scan_algorithmE0ELj4294967295EEENS1_25partition_config_selectorILNS1_17partition_subalgoE4EjNS0_10empty_typeEbEEZZNS1_14partition_implILS8_4ELb0ES6_15HIP_vector_typeIjLj2EENS0_17counting_iteratorIjlEEPS9_SG_NS0_5tupleIJPjSI_NS0_16reverse_iteratorISI_EEEEENSH_IJSG_SG_SG_EEES9_SI_JZNS1_25segmented_radix_sort_implINS0_14default_configELb0EPKiPiPKlPlN2at6native12_GLOBAL__N_18offset_tEEE10hipError_tPvRmT1_PNSt15iterator_traitsIS12_E10value_typeET2_T3_PNS13_IS18_E10value_typeET4_jRbjT5_S1E_jjP12ihipStream_tbEUljE_ZNSN_ISO_Lb0ESQ_SR_ST_SU_SY_EESZ_S10_S11_S12_S16_S17_S18_S1B_S1C_jS1D_jS1E_S1E_jjS1G_bEUljE0_EEESZ_S10_S11_S18_S1C_S1E_T6_T7_T9_mT8_S1G_bDpT10_ENKUlT_T0_E_clISt17integral_constantIbLb1EES1T_IbLb0EEEEDaS1P_S1Q_EUlS1P_E_NS1_11comp_targetILNS1_3genE0ELNS1_11target_archE4294967295ELNS1_3gpuE0ELNS1_3repE0EEENS1_30default_config_static_selectorELNS0_4arch9wavefront6targetE0EEEvS12_,comdat
	.globl	_ZN7rocprim17ROCPRIM_400000_NS6detail17trampoline_kernelINS0_13select_configILj256ELj13ELNS0_17block_load_methodE3ELS4_3ELS4_3ELNS0_20block_scan_algorithmE0ELj4294967295EEENS1_25partition_config_selectorILNS1_17partition_subalgoE4EjNS0_10empty_typeEbEEZZNS1_14partition_implILS8_4ELb0ES6_15HIP_vector_typeIjLj2EENS0_17counting_iteratorIjlEEPS9_SG_NS0_5tupleIJPjSI_NS0_16reverse_iteratorISI_EEEEENSH_IJSG_SG_SG_EEES9_SI_JZNS1_25segmented_radix_sort_implINS0_14default_configELb0EPKiPiPKlPlN2at6native12_GLOBAL__N_18offset_tEEE10hipError_tPvRmT1_PNSt15iterator_traitsIS12_E10value_typeET2_T3_PNS13_IS18_E10value_typeET4_jRbjT5_S1E_jjP12ihipStream_tbEUljE_ZNSN_ISO_Lb0ESQ_SR_ST_SU_SY_EESZ_S10_S11_S12_S16_S17_S18_S1B_S1C_jS1D_jS1E_S1E_jjS1G_bEUljE0_EEESZ_S10_S11_S18_S1C_S1E_T6_T7_T9_mT8_S1G_bDpT10_ENKUlT_T0_E_clISt17integral_constantIbLb1EES1T_IbLb0EEEEDaS1P_S1Q_EUlS1P_E_NS1_11comp_targetILNS1_3genE0ELNS1_11target_archE4294967295ELNS1_3gpuE0ELNS1_3repE0EEENS1_30default_config_static_selectorELNS0_4arch9wavefront6targetE0EEEvS12_ ; -- Begin function _ZN7rocprim17ROCPRIM_400000_NS6detail17trampoline_kernelINS0_13select_configILj256ELj13ELNS0_17block_load_methodE3ELS4_3ELS4_3ELNS0_20block_scan_algorithmE0ELj4294967295EEENS1_25partition_config_selectorILNS1_17partition_subalgoE4EjNS0_10empty_typeEbEEZZNS1_14partition_implILS8_4ELb0ES6_15HIP_vector_typeIjLj2EENS0_17counting_iteratorIjlEEPS9_SG_NS0_5tupleIJPjSI_NS0_16reverse_iteratorISI_EEEEENSH_IJSG_SG_SG_EEES9_SI_JZNS1_25segmented_radix_sort_implINS0_14default_configELb0EPKiPiPKlPlN2at6native12_GLOBAL__N_18offset_tEEE10hipError_tPvRmT1_PNSt15iterator_traitsIS12_E10value_typeET2_T3_PNS13_IS18_E10value_typeET4_jRbjT5_S1E_jjP12ihipStream_tbEUljE_ZNSN_ISO_Lb0ESQ_SR_ST_SU_SY_EESZ_S10_S11_S12_S16_S17_S18_S1B_S1C_jS1D_jS1E_S1E_jjS1G_bEUljE0_EEESZ_S10_S11_S18_S1C_S1E_T6_T7_T9_mT8_S1G_bDpT10_ENKUlT_T0_E_clISt17integral_constantIbLb1EES1T_IbLb0EEEEDaS1P_S1Q_EUlS1P_E_NS1_11comp_targetILNS1_3genE0ELNS1_11target_archE4294967295ELNS1_3gpuE0ELNS1_3repE0EEENS1_30default_config_static_selectorELNS0_4arch9wavefront6targetE0EEEvS12_
	.p2align	8
	.type	_ZN7rocprim17ROCPRIM_400000_NS6detail17trampoline_kernelINS0_13select_configILj256ELj13ELNS0_17block_load_methodE3ELS4_3ELS4_3ELNS0_20block_scan_algorithmE0ELj4294967295EEENS1_25partition_config_selectorILNS1_17partition_subalgoE4EjNS0_10empty_typeEbEEZZNS1_14partition_implILS8_4ELb0ES6_15HIP_vector_typeIjLj2EENS0_17counting_iteratorIjlEEPS9_SG_NS0_5tupleIJPjSI_NS0_16reverse_iteratorISI_EEEEENSH_IJSG_SG_SG_EEES9_SI_JZNS1_25segmented_radix_sort_implINS0_14default_configELb0EPKiPiPKlPlN2at6native12_GLOBAL__N_18offset_tEEE10hipError_tPvRmT1_PNSt15iterator_traitsIS12_E10value_typeET2_T3_PNS13_IS18_E10value_typeET4_jRbjT5_S1E_jjP12ihipStream_tbEUljE_ZNSN_ISO_Lb0ESQ_SR_ST_SU_SY_EESZ_S10_S11_S12_S16_S17_S18_S1B_S1C_jS1D_jS1E_S1E_jjS1G_bEUljE0_EEESZ_S10_S11_S18_S1C_S1E_T6_T7_T9_mT8_S1G_bDpT10_ENKUlT_T0_E_clISt17integral_constantIbLb1EES1T_IbLb0EEEEDaS1P_S1Q_EUlS1P_E_NS1_11comp_targetILNS1_3genE0ELNS1_11target_archE4294967295ELNS1_3gpuE0ELNS1_3repE0EEENS1_30default_config_static_selectorELNS0_4arch9wavefront6targetE0EEEvS12_,@function
_ZN7rocprim17ROCPRIM_400000_NS6detail17trampoline_kernelINS0_13select_configILj256ELj13ELNS0_17block_load_methodE3ELS4_3ELS4_3ELNS0_20block_scan_algorithmE0ELj4294967295EEENS1_25partition_config_selectorILNS1_17partition_subalgoE4EjNS0_10empty_typeEbEEZZNS1_14partition_implILS8_4ELb0ES6_15HIP_vector_typeIjLj2EENS0_17counting_iteratorIjlEEPS9_SG_NS0_5tupleIJPjSI_NS0_16reverse_iteratorISI_EEEEENSH_IJSG_SG_SG_EEES9_SI_JZNS1_25segmented_radix_sort_implINS0_14default_configELb0EPKiPiPKlPlN2at6native12_GLOBAL__N_18offset_tEEE10hipError_tPvRmT1_PNSt15iterator_traitsIS12_E10value_typeET2_T3_PNS13_IS18_E10value_typeET4_jRbjT5_S1E_jjP12ihipStream_tbEUljE_ZNSN_ISO_Lb0ESQ_SR_ST_SU_SY_EESZ_S10_S11_S12_S16_S17_S18_S1B_S1C_jS1D_jS1E_S1E_jjS1G_bEUljE0_EEESZ_S10_S11_S18_S1C_S1E_T6_T7_T9_mT8_S1G_bDpT10_ENKUlT_T0_E_clISt17integral_constantIbLb1EES1T_IbLb0EEEEDaS1P_S1Q_EUlS1P_E_NS1_11comp_targetILNS1_3genE0ELNS1_11target_archE4294967295ELNS1_3gpuE0ELNS1_3repE0EEENS1_30default_config_static_selectorELNS0_4arch9wavefront6targetE0EEEvS12_: ; @_ZN7rocprim17ROCPRIM_400000_NS6detail17trampoline_kernelINS0_13select_configILj256ELj13ELNS0_17block_load_methodE3ELS4_3ELS4_3ELNS0_20block_scan_algorithmE0ELj4294967295EEENS1_25partition_config_selectorILNS1_17partition_subalgoE4EjNS0_10empty_typeEbEEZZNS1_14partition_implILS8_4ELb0ES6_15HIP_vector_typeIjLj2EENS0_17counting_iteratorIjlEEPS9_SG_NS0_5tupleIJPjSI_NS0_16reverse_iteratorISI_EEEEENSH_IJSG_SG_SG_EEES9_SI_JZNS1_25segmented_radix_sort_implINS0_14default_configELb0EPKiPiPKlPlN2at6native12_GLOBAL__N_18offset_tEEE10hipError_tPvRmT1_PNSt15iterator_traitsIS12_E10value_typeET2_T3_PNS13_IS18_E10value_typeET4_jRbjT5_S1E_jjP12ihipStream_tbEUljE_ZNSN_ISO_Lb0ESQ_SR_ST_SU_SY_EESZ_S10_S11_S12_S16_S17_S18_S1B_S1C_jS1D_jS1E_S1E_jjS1G_bEUljE0_EEESZ_S10_S11_S18_S1C_S1E_T6_T7_T9_mT8_S1G_bDpT10_ENKUlT_T0_E_clISt17integral_constantIbLb1EES1T_IbLb0EEEEDaS1P_S1Q_EUlS1P_E_NS1_11comp_targetILNS1_3genE0ELNS1_11target_archE4294967295ELNS1_3gpuE0ELNS1_3repE0EEENS1_30default_config_static_selectorELNS0_4arch9wavefront6targetE0EEEvS12_
; %bb.0:
	.section	.rodata,"a",@progbits
	.p2align	6, 0x0
	.amdhsa_kernel _ZN7rocprim17ROCPRIM_400000_NS6detail17trampoline_kernelINS0_13select_configILj256ELj13ELNS0_17block_load_methodE3ELS4_3ELS4_3ELNS0_20block_scan_algorithmE0ELj4294967295EEENS1_25partition_config_selectorILNS1_17partition_subalgoE4EjNS0_10empty_typeEbEEZZNS1_14partition_implILS8_4ELb0ES6_15HIP_vector_typeIjLj2EENS0_17counting_iteratorIjlEEPS9_SG_NS0_5tupleIJPjSI_NS0_16reverse_iteratorISI_EEEEENSH_IJSG_SG_SG_EEES9_SI_JZNS1_25segmented_radix_sort_implINS0_14default_configELb0EPKiPiPKlPlN2at6native12_GLOBAL__N_18offset_tEEE10hipError_tPvRmT1_PNSt15iterator_traitsIS12_E10value_typeET2_T3_PNS13_IS18_E10value_typeET4_jRbjT5_S1E_jjP12ihipStream_tbEUljE_ZNSN_ISO_Lb0ESQ_SR_ST_SU_SY_EESZ_S10_S11_S12_S16_S17_S18_S1B_S1C_jS1D_jS1E_S1E_jjS1G_bEUljE0_EEESZ_S10_S11_S18_S1C_S1E_T6_T7_T9_mT8_S1G_bDpT10_ENKUlT_T0_E_clISt17integral_constantIbLb1EES1T_IbLb0EEEEDaS1P_S1Q_EUlS1P_E_NS1_11comp_targetILNS1_3genE0ELNS1_11target_archE4294967295ELNS1_3gpuE0ELNS1_3repE0EEENS1_30default_config_static_selectorELNS0_4arch9wavefront6targetE0EEEvS12_
		.amdhsa_group_segment_fixed_size 0
		.amdhsa_private_segment_fixed_size 0
		.amdhsa_kernarg_size 176
		.amdhsa_user_sgpr_count 6
		.amdhsa_user_sgpr_private_segment_buffer 1
		.amdhsa_user_sgpr_dispatch_ptr 0
		.amdhsa_user_sgpr_queue_ptr 0
		.amdhsa_user_sgpr_kernarg_segment_ptr 1
		.amdhsa_user_sgpr_dispatch_id 0
		.amdhsa_user_sgpr_flat_scratch_init 0
		.amdhsa_user_sgpr_private_segment_size 0
		.amdhsa_wavefront_size32 1
		.amdhsa_uses_dynamic_stack 0
		.amdhsa_system_sgpr_private_segment_wavefront_offset 0
		.amdhsa_system_sgpr_workgroup_id_x 1
		.amdhsa_system_sgpr_workgroup_id_y 0
		.amdhsa_system_sgpr_workgroup_id_z 0
		.amdhsa_system_sgpr_workgroup_info 0
		.amdhsa_system_vgpr_workitem_id 0
		.amdhsa_next_free_vgpr 1
		.amdhsa_next_free_sgpr 1
		.amdhsa_reserve_vcc 0
		.amdhsa_reserve_flat_scratch 0
		.amdhsa_float_round_mode_32 0
		.amdhsa_float_round_mode_16_64 0
		.amdhsa_float_denorm_mode_32 3
		.amdhsa_float_denorm_mode_16_64 3
		.amdhsa_dx10_clamp 1
		.amdhsa_ieee_mode 1
		.amdhsa_fp16_overflow 0
		.amdhsa_workgroup_processor_mode 1
		.amdhsa_memory_ordered 1
		.amdhsa_forward_progress 1
		.amdhsa_shared_vgpr_count 0
		.amdhsa_exception_fp_ieee_invalid_op 0
		.amdhsa_exception_fp_denorm_src 0
		.amdhsa_exception_fp_ieee_div_zero 0
		.amdhsa_exception_fp_ieee_overflow 0
		.amdhsa_exception_fp_ieee_underflow 0
		.amdhsa_exception_fp_ieee_inexact 0
		.amdhsa_exception_int_div_zero 0
	.end_amdhsa_kernel
	.section	.text._ZN7rocprim17ROCPRIM_400000_NS6detail17trampoline_kernelINS0_13select_configILj256ELj13ELNS0_17block_load_methodE3ELS4_3ELS4_3ELNS0_20block_scan_algorithmE0ELj4294967295EEENS1_25partition_config_selectorILNS1_17partition_subalgoE4EjNS0_10empty_typeEbEEZZNS1_14partition_implILS8_4ELb0ES6_15HIP_vector_typeIjLj2EENS0_17counting_iteratorIjlEEPS9_SG_NS0_5tupleIJPjSI_NS0_16reverse_iteratorISI_EEEEENSH_IJSG_SG_SG_EEES9_SI_JZNS1_25segmented_radix_sort_implINS0_14default_configELb0EPKiPiPKlPlN2at6native12_GLOBAL__N_18offset_tEEE10hipError_tPvRmT1_PNSt15iterator_traitsIS12_E10value_typeET2_T3_PNS13_IS18_E10value_typeET4_jRbjT5_S1E_jjP12ihipStream_tbEUljE_ZNSN_ISO_Lb0ESQ_SR_ST_SU_SY_EESZ_S10_S11_S12_S16_S17_S18_S1B_S1C_jS1D_jS1E_S1E_jjS1G_bEUljE0_EEESZ_S10_S11_S18_S1C_S1E_T6_T7_T9_mT8_S1G_bDpT10_ENKUlT_T0_E_clISt17integral_constantIbLb1EES1T_IbLb0EEEEDaS1P_S1Q_EUlS1P_E_NS1_11comp_targetILNS1_3genE0ELNS1_11target_archE4294967295ELNS1_3gpuE0ELNS1_3repE0EEENS1_30default_config_static_selectorELNS0_4arch9wavefront6targetE0EEEvS12_,"axG",@progbits,_ZN7rocprim17ROCPRIM_400000_NS6detail17trampoline_kernelINS0_13select_configILj256ELj13ELNS0_17block_load_methodE3ELS4_3ELS4_3ELNS0_20block_scan_algorithmE0ELj4294967295EEENS1_25partition_config_selectorILNS1_17partition_subalgoE4EjNS0_10empty_typeEbEEZZNS1_14partition_implILS8_4ELb0ES6_15HIP_vector_typeIjLj2EENS0_17counting_iteratorIjlEEPS9_SG_NS0_5tupleIJPjSI_NS0_16reverse_iteratorISI_EEEEENSH_IJSG_SG_SG_EEES9_SI_JZNS1_25segmented_radix_sort_implINS0_14default_configELb0EPKiPiPKlPlN2at6native12_GLOBAL__N_18offset_tEEE10hipError_tPvRmT1_PNSt15iterator_traitsIS12_E10value_typeET2_T3_PNS13_IS18_E10value_typeET4_jRbjT5_S1E_jjP12ihipStream_tbEUljE_ZNSN_ISO_Lb0ESQ_SR_ST_SU_SY_EESZ_S10_S11_S12_S16_S17_S18_S1B_S1C_jS1D_jS1E_S1E_jjS1G_bEUljE0_EEESZ_S10_S11_S18_S1C_S1E_T6_T7_T9_mT8_S1G_bDpT10_ENKUlT_T0_E_clISt17integral_constantIbLb1EES1T_IbLb0EEEEDaS1P_S1Q_EUlS1P_E_NS1_11comp_targetILNS1_3genE0ELNS1_11target_archE4294967295ELNS1_3gpuE0ELNS1_3repE0EEENS1_30default_config_static_selectorELNS0_4arch9wavefront6targetE0EEEvS12_,comdat
.Lfunc_end547:
	.size	_ZN7rocprim17ROCPRIM_400000_NS6detail17trampoline_kernelINS0_13select_configILj256ELj13ELNS0_17block_load_methodE3ELS4_3ELS4_3ELNS0_20block_scan_algorithmE0ELj4294967295EEENS1_25partition_config_selectorILNS1_17partition_subalgoE4EjNS0_10empty_typeEbEEZZNS1_14partition_implILS8_4ELb0ES6_15HIP_vector_typeIjLj2EENS0_17counting_iteratorIjlEEPS9_SG_NS0_5tupleIJPjSI_NS0_16reverse_iteratorISI_EEEEENSH_IJSG_SG_SG_EEES9_SI_JZNS1_25segmented_radix_sort_implINS0_14default_configELb0EPKiPiPKlPlN2at6native12_GLOBAL__N_18offset_tEEE10hipError_tPvRmT1_PNSt15iterator_traitsIS12_E10value_typeET2_T3_PNS13_IS18_E10value_typeET4_jRbjT5_S1E_jjP12ihipStream_tbEUljE_ZNSN_ISO_Lb0ESQ_SR_ST_SU_SY_EESZ_S10_S11_S12_S16_S17_S18_S1B_S1C_jS1D_jS1E_S1E_jjS1G_bEUljE0_EEESZ_S10_S11_S18_S1C_S1E_T6_T7_T9_mT8_S1G_bDpT10_ENKUlT_T0_E_clISt17integral_constantIbLb1EES1T_IbLb0EEEEDaS1P_S1Q_EUlS1P_E_NS1_11comp_targetILNS1_3genE0ELNS1_11target_archE4294967295ELNS1_3gpuE0ELNS1_3repE0EEENS1_30default_config_static_selectorELNS0_4arch9wavefront6targetE0EEEvS12_, .Lfunc_end547-_ZN7rocprim17ROCPRIM_400000_NS6detail17trampoline_kernelINS0_13select_configILj256ELj13ELNS0_17block_load_methodE3ELS4_3ELS4_3ELNS0_20block_scan_algorithmE0ELj4294967295EEENS1_25partition_config_selectorILNS1_17partition_subalgoE4EjNS0_10empty_typeEbEEZZNS1_14partition_implILS8_4ELb0ES6_15HIP_vector_typeIjLj2EENS0_17counting_iteratorIjlEEPS9_SG_NS0_5tupleIJPjSI_NS0_16reverse_iteratorISI_EEEEENSH_IJSG_SG_SG_EEES9_SI_JZNS1_25segmented_radix_sort_implINS0_14default_configELb0EPKiPiPKlPlN2at6native12_GLOBAL__N_18offset_tEEE10hipError_tPvRmT1_PNSt15iterator_traitsIS12_E10value_typeET2_T3_PNS13_IS18_E10value_typeET4_jRbjT5_S1E_jjP12ihipStream_tbEUljE_ZNSN_ISO_Lb0ESQ_SR_ST_SU_SY_EESZ_S10_S11_S12_S16_S17_S18_S1B_S1C_jS1D_jS1E_S1E_jjS1G_bEUljE0_EEESZ_S10_S11_S18_S1C_S1E_T6_T7_T9_mT8_S1G_bDpT10_ENKUlT_T0_E_clISt17integral_constantIbLb1EES1T_IbLb0EEEEDaS1P_S1Q_EUlS1P_E_NS1_11comp_targetILNS1_3genE0ELNS1_11target_archE4294967295ELNS1_3gpuE0ELNS1_3repE0EEENS1_30default_config_static_selectorELNS0_4arch9wavefront6targetE0EEEvS12_
                                        ; -- End function
	.set _ZN7rocprim17ROCPRIM_400000_NS6detail17trampoline_kernelINS0_13select_configILj256ELj13ELNS0_17block_load_methodE3ELS4_3ELS4_3ELNS0_20block_scan_algorithmE0ELj4294967295EEENS1_25partition_config_selectorILNS1_17partition_subalgoE4EjNS0_10empty_typeEbEEZZNS1_14partition_implILS8_4ELb0ES6_15HIP_vector_typeIjLj2EENS0_17counting_iteratorIjlEEPS9_SG_NS0_5tupleIJPjSI_NS0_16reverse_iteratorISI_EEEEENSH_IJSG_SG_SG_EEES9_SI_JZNS1_25segmented_radix_sort_implINS0_14default_configELb0EPKiPiPKlPlN2at6native12_GLOBAL__N_18offset_tEEE10hipError_tPvRmT1_PNSt15iterator_traitsIS12_E10value_typeET2_T3_PNS13_IS18_E10value_typeET4_jRbjT5_S1E_jjP12ihipStream_tbEUljE_ZNSN_ISO_Lb0ESQ_SR_ST_SU_SY_EESZ_S10_S11_S12_S16_S17_S18_S1B_S1C_jS1D_jS1E_S1E_jjS1G_bEUljE0_EEESZ_S10_S11_S18_S1C_S1E_T6_T7_T9_mT8_S1G_bDpT10_ENKUlT_T0_E_clISt17integral_constantIbLb1EES1T_IbLb0EEEEDaS1P_S1Q_EUlS1P_E_NS1_11comp_targetILNS1_3genE0ELNS1_11target_archE4294967295ELNS1_3gpuE0ELNS1_3repE0EEENS1_30default_config_static_selectorELNS0_4arch9wavefront6targetE0EEEvS12_.num_vgpr, 0
	.set _ZN7rocprim17ROCPRIM_400000_NS6detail17trampoline_kernelINS0_13select_configILj256ELj13ELNS0_17block_load_methodE3ELS4_3ELS4_3ELNS0_20block_scan_algorithmE0ELj4294967295EEENS1_25partition_config_selectorILNS1_17partition_subalgoE4EjNS0_10empty_typeEbEEZZNS1_14partition_implILS8_4ELb0ES6_15HIP_vector_typeIjLj2EENS0_17counting_iteratorIjlEEPS9_SG_NS0_5tupleIJPjSI_NS0_16reverse_iteratorISI_EEEEENSH_IJSG_SG_SG_EEES9_SI_JZNS1_25segmented_radix_sort_implINS0_14default_configELb0EPKiPiPKlPlN2at6native12_GLOBAL__N_18offset_tEEE10hipError_tPvRmT1_PNSt15iterator_traitsIS12_E10value_typeET2_T3_PNS13_IS18_E10value_typeET4_jRbjT5_S1E_jjP12ihipStream_tbEUljE_ZNSN_ISO_Lb0ESQ_SR_ST_SU_SY_EESZ_S10_S11_S12_S16_S17_S18_S1B_S1C_jS1D_jS1E_S1E_jjS1G_bEUljE0_EEESZ_S10_S11_S18_S1C_S1E_T6_T7_T9_mT8_S1G_bDpT10_ENKUlT_T0_E_clISt17integral_constantIbLb1EES1T_IbLb0EEEEDaS1P_S1Q_EUlS1P_E_NS1_11comp_targetILNS1_3genE0ELNS1_11target_archE4294967295ELNS1_3gpuE0ELNS1_3repE0EEENS1_30default_config_static_selectorELNS0_4arch9wavefront6targetE0EEEvS12_.num_agpr, 0
	.set _ZN7rocprim17ROCPRIM_400000_NS6detail17trampoline_kernelINS0_13select_configILj256ELj13ELNS0_17block_load_methodE3ELS4_3ELS4_3ELNS0_20block_scan_algorithmE0ELj4294967295EEENS1_25partition_config_selectorILNS1_17partition_subalgoE4EjNS0_10empty_typeEbEEZZNS1_14partition_implILS8_4ELb0ES6_15HIP_vector_typeIjLj2EENS0_17counting_iteratorIjlEEPS9_SG_NS0_5tupleIJPjSI_NS0_16reverse_iteratorISI_EEEEENSH_IJSG_SG_SG_EEES9_SI_JZNS1_25segmented_radix_sort_implINS0_14default_configELb0EPKiPiPKlPlN2at6native12_GLOBAL__N_18offset_tEEE10hipError_tPvRmT1_PNSt15iterator_traitsIS12_E10value_typeET2_T3_PNS13_IS18_E10value_typeET4_jRbjT5_S1E_jjP12ihipStream_tbEUljE_ZNSN_ISO_Lb0ESQ_SR_ST_SU_SY_EESZ_S10_S11_S12_S16_S17_S18_S1B_S1C_jS1D_jS1E_S1E_jjS1G_bEUljE0_EEESZ_S10_S11_S18_S1C_S1E_T6_T7_T9_mT8_S1G_bDpT10_ENKUlT_T0_E_clISt17integral_constantIbLb1EES1T_IbLb0EEEEDaS1P_S1Q_EUlS1P_E_NS1_11comp_targetILNS1_3genE0ELNS1_11target_archE4294967295ELNS1_3gpuE0ELNS1_3repE0EEENS1_30default_config_static_selectorELNS0_4arch9wavefront6targetE0EEEvS12_.numbered_sgpr, 0
	.set _ZN7rocprim17ROCPRIM_400000_NS6detail17trampoline_kernelINS0_13select_configILj256ELj13ELNS0_17block_load_methodE3ELS4_3ELS4_3ELNS0_20block_scan_algorithmE0ELj4294967295EEENS1_25partition_config_selectorILNS1_17partition_subalgoE4EjNS0_10empty_typeEbEEZZNS1_14partition_implILS8_4ELb0ES6_15HIP_vector_typeIjLj2EENS0_17counting_iteratorIjlEEPS9_SG_NS0_5tupleIJPjSI_NS0_16reverse_iteratorISI_EEEEENSH_IJSG_SG_SG_EEES9_SI_JZNS1_25segmented_radix_sort_implINS0_14default_configELb0EPKiPiPKlPlN2at6native12_GLOBAL__N_18offset_tEEE10hipError_tPvRmT1_PNSt15iterator_traitsIS12_E10value_typeET2_T3_PNS13_IS18_E10value_typeET4_jRbjT5_S1E_jjP12ihipStream_tbEUljE_ZNSN_ISO_Lb0ESQ_SR_ST_SU_SY_EESZ_S10_S11_S12_S16_S17_S18_S1B_S1C_jS1D_jS1E_S1E_jjS1G_bEUljE0_EEESZ_S10_S11_S18_S1C_S1E_T6_T7_T9_mT8_S1G_bDpT10_ENKUlT_T0_E_clISt17integral_constantIbLb1EES1T_IbLb0EEEEDaS1P_S1Q_EUlS1P_E_NS1_11comp_targetILNS1_3genE0ELNS1_11target_archE4294967295ELNS1_3gpuE0ELNS1_3repE0EEENS1_30default_config_static_selectorELNS0_4arch9wavefront6targetE0EEEvS12_.num_named_barrier, 0
	.set _ZN7rocprim17ROCPRIM_400000_NS6detail17trampoline_kernelINS0_13select_configILj256ELj13ELNS0_17block_load_methodE3ELS4_3ELS4_3ELNS0_20block_scan_algorithmE0ELj4294967295EEENS1_25partition_config_selectorILNS1_17partition_subalgoE4EjNS0_10empty_typeEbEEZZNS1_14partition_implILS8_4ELb0ES6_15HIP_vector_typeIjLj2EENS0_17counting_iteratorIjlEEPS9_SG_NS0_5tupleIJPjSI_NS0_16reverse_iteratorISI_EEEEENSH_IJSG_SG_SG_EEES9_SI_JZNS1_25segmented_radix_sort_implINS0_14default_configELb0EPKiPiPKlPlN2at6native12_GLOBAL__N_18offset_tEEE10hipError_tPvRmT1_PNSt15iterator_traitsIS12_E10value_typeET2_T3_PNS13_IS18_E10value_typeET4_jRbjT5_S1E_jjP12ihipStream_tbEUljE_ZNSN_ISO_Lb0ESQ_SR_ST_SU_SY_EESZ_S10_S11_S12_S16_S17_S18_S1B_S1C_jS1D_jS1E_S1E_jjS1G_bEUljE0_EEESZ_S10_S11_S18_S1C_S1E_T6_T7_T9_mT8_S1G_bDpT10_ENKUlT_T0_E_clISt17integral_constantIbLb1EES1T_IbLb0EEEEDaS1P_S1Q_EUlS1P_E_NS1_11comp_targetILNS1_3genE0ELNS1_11target_archE4294967295ELNS1_3gpuE0ELNS1_3repE0EEENS1_30default_config_static_selectorELNS0_4arch9wavefront6targetE0EEEvS12_.private_seg_size, 0
	.set _ZN7rocprim17ROCPRIM_400000_NS6detail17trampoline_kernelINS0_13select_configILj256ELj13ELNS0_17block_load_methodE3ELS4_3ELS4_3ELNS0_20block_scan_algorithmE0ELj4294967295EEENS1_25partition_config_selectorILNS1_17partition_subalgoE4EjNS0_10empty_typeEbEEZZNS1_14partition_implILS8_4ELb0ES6_15HIP_vector_typeIjLj2EENS0_17counting_iteratorIjlEEPS9_SG_NS0_5tupleIJPjSI_NS0_16reverse_iteratorISI_EEEEENSH_IJSG_SG_SG_EEES9_SI_JZNS1_25segmented_radix_sort_implINS0_14default_configELb0EPKiPiPKlPlN2at6native12_GLOBAL__N_18offset_tEEE10hipError_tPvRmT1_PNSt15iterator_traitsIS12_E10value_typeET2_T3_PNS13_IS18_E10value_typeET4_jRbjT5_S1E_jjP12ihipStream_tbEUljE_ZNSN_ISO_Lb0ESQ_SR_ST_SU_SY_EESZ_S10_S11_S12_S16_S17_S18_S1B_S1C_jS1D_jS1E_S1E_jjS1G_bEUljE0_EEESZ_S10_S11_S18_S1C_S1E_T6_T7_T9_mT8_S1G_bDpT10_ENKUlT_T0_E_clISt17integral_constantIbLb1EES1T_IbLb0EEEEDaS1P_S1Q_EUlS1P_E_NS1_11comp_targetILNS1_3genE0ELNS1_11target_archE4294967295ELNS1_3gpuE0ELNS1_3repE0EEENS1_30default_config_static_selectorELNS0_4arch9wavefront6targetE0EEEvS12_.uses_vcc, 0
	.set _ZN7rocprim17ROCPRIM_400000_NS6detail17trampoline_kernelINS0_13select_configILj256ELj13ELNS0_17block_load_methodE3ELS4_3ELS4_3ELNS0_20block_scan_algorithmE0ELj4294967295EEENS1_25partition_config_selectorILNS1_17partition_subalgoE4EjNS0_10empty_typeEbEEZZNS1_14partition_implILS8_4ELb0ES6_15HIP_vector_typeIjLj2EENS0_17counting_iteratorIjlEEPS9_SG_NS0_5tupleIJPjSI_NS0_16reverse_iteratorISI_EEEEENSH_IJSG_SG_SG_EEES9_SI_JZNS1_25segmented_radix_sort_implINS0_14default_configELb0EPKiPiPKlPlN2at6native12_GLOBAL__N_18offset_tEEE10hipError_tPvRmT1_PNSt15iterator_traitsIS12_E10value_typeET2_T3_PNS13_IS18_E10value_typeET4_jRbjT5_S1E_jjP12ihipStream_tbEUljE_ZNSN_ISO_Lb0ESQ_SR_ST_SU_SY_EESZ_S10_S11_S12_S16_S17_S18_S1B_S1C_jS1D_jS1E_S1E_jjS1G_bEUljE0_EEESZ_S10_S11_S18_S1C_S1E_T6_T7_T9_mT8_S1G_bDpT10_ENKUlT_T0_E_clISt17integral_constantIbLb1EES1T_IbLb0EEEEDaS1P_S1Q_EUlS1P_E_NS1_11comp_targetILNS1_3genE0ELNS1_11target_archE4294967295ELNS1_3gpuE0ELNS1_3repE0EEENS1_30default_config_static_selectorELNS0_4arch9wavefront6targetE0EEEvS12_.uses_flat_scratch, 0
	.set _ZN7rocprim17ROCPRIM_400000_NS6detail17trampoline_kernelINS0_13select_configILj256ELj13ELNS0_17block_load_methodE3ELS4_3ELS4_3ELNS0_20block_scan_algorithmE0ELj4294967295EEENS1_25partition_config_selectorILNS1_17partition_subalgoE4EjNS0_10empty_typeEbEEZZNS1_14partition_implILS8_4ELb0ES6_15HIP_vector_typeIjLj2EENS0_17counting_iteratorIjlEEPS9_SG_NS0_5tupleIJPjSI_NS0_16reverse_iteratorISI_EEEEENSH_IJSG_SG_SG_EEES9_SI_JZNS1_25segmented_radix_sort_implINS0_14default_configELb0EPKiPiPKlPlN2at6native12_GLOBAL__N_18offset_tEEE10hipError_tPvRmT1_PNSt15iterator_traitsIS12_E10value_typeET2_T3_PNS13_IS18_E10value_typeET4_jRbjT5_S1E_jjP12ihipStream_tbEUljE_ZNSN_ISO_Lb0ESQ_SR_ST_SU_SY_EESZ_S10_S11_S12_S16_S17_S18_S1B_S1C_jS1D_jS1E_S1E_jjS1G_bEUljE0_EEESZ_S10_S11_S18_S1C_S1E_T6_T7_T9_mT8_S1G_bDpT10_ENKUlT_T0_E_clISt17integral_constantIbLb1EES1T_IbLb0EEEEDaS1P_S1Q_EUlS1P_E_NS1_11comp_targetILNS1_3genE0ELNS1_11target_archE4294967295ELNS1_3gpuE0ELNS1_3repE0EEENS1_30default_config_static_selectorELNS0_4arch9wavefront6targetE0EEEvS12_.has_dyn_sized_stack, 0
	.set _ZN7rocprim17ROCPRIM_400000_NS6detail17trampoline_kernelINS0_13select_configILj256ELj13ELNS0_17block_load_methodE3ELS4_3ELS4_3ELNS0_20block_scan_algorithmE0ELj4294967295EEENS1_25partition_config_selectorILNS1_17partition_subalgoE4EjNS0_10empty_typeEbEEZZNS1_14partition_implILS8_4ELb0ES6_15HIP_vector_typeIjLj2EENS0_17counting_iteratorIjlEEPS9_SG_NS0_5tupleIJPjSI_NS0_16reverse_iteratorISI_EEEEENSH_IJSG_SG_SG_EEES9_SI_JZNS1_25segmented_radix_sort_implINS0_14default_configELb0EPKiPiPKlPlN2at6native12_GLOBAL__N_18offset_tEEE10hipError_tPvRmT1_PNSt15iterator_traitsIS12_E10value_typeET2_T3_PNS13_IS18_E10value_typeET4_jRbjT5_S1E_jjP12ihipStream_tbEUljE_ZNSN_ISO_Lb0ESQ_SR_ST_SU_SY_EESZ_S10_S11_S12_S16_S17_S18_S1B_S1C_jS1D_jS1E_S1E_jjS1G_bEUljE0_EEESZ_S10_S11_S18_S1C_S1E_T6_T7_T9_mT8_S1G_bDpT10_ENKUlT_T0_E_clISt17integral_constantIbLb1EES1T_IbLb0EEEEDaS1P_S1Q_EUlS1P_E_NS1_11comp_targetILNS1_3genE0ELNS1_11target_archE4294967295ELNS1_3gpuE0ELNS1_3repE0EEENS1_30default_config_static_selectorELNS0_4arch9wavefront6targetE0EEEvS12_.has_recursion, 0
	.set _ZN7rocprim17ROCPRIM_400000_NS6detail17trampoline_kernelINS0_13select_configILj256ELj13ELNS0_17block_load_methodE3ELS4_3ELS4_3ELNS0_20block_scan_algorithmE0ELj4294967295EEENS1_25partition_config_selectorILNS1_17partition_subalgoE4EjNS0_10empty_typeEbEEZZNS1_14partition_implILS8_4ELb0ES6_15HIP_vector_typeIjLj2EENS0_17counting_iteratorIjlEEPS9_SG_NS0_5tupleIJPjSI_NS0_16reverse_iteratorISI_EEEEENSH_IJSG_SG_SG_EEES9_SI_JZNS1_25segmented_radix_sort_implINS0_14default_configELb0EPKiPiPKlPlN2at6native12_GLOBAL__N_18offset_tEEE10hipError_tPvRmT1_PNSt15iterator_traitsIS12_E10value_typeET2_T3_PNS13_IS18_E10value_typeET4_jRbjT5_S1E_jjP12ihipStream_tbEUljE_ZNSN_ISO_Lb0ESQ_SR_ST_SU_SY_EESZ_S10_S11_S12_S16_S17_S18_S1B_S1C_jS1D_jS1E_S1E_jjS1G_bEUljE0_EEESZ_S10_S11_S18_S1C_S1E_T6_T7_T9_mT8_S1G_bDpT10_ENKUlT_T0_E_clISt17integral_constantIbLb1EES1T_IbLb0EEEEDaS1P_S1Q_EUlS1P_E_NS1_11comp_targetILNS1_3genE0ELNS1_11target_archE4294967295ELNS1_3gpuE0ELNS1_3repE0EEENS1_30default_config_static_selectorELNS0_4arch9wavefront6targetE0EEEvS12_.has_indirect_call, 0
	.section	.AMDGPU.csdata,"",@progbits
; Kernel info:
; codeLenInByte = 0
; TotalNumSgprs: 0
; NumVgprs: 0
; ScratchSize: 0
; MemoryBound: 0
; FloatMode: 240
; IeeeMode: 1
; LDSByteSize: 0 bytes/workgroup (compile time only)
; SGPRBlocks: 0
; VGPRBlocks: 0
; NumSGPRsForWavesPerEU: 1
; NumVGPRsForWavesPerEU: 1
; Occupancy: 16
; WaveLimiterHint : 0
; COMPUTE_PGM_RSRC2:SCRATCH_EN: 0
; COMPUTE_PGM_RSRC2:USER_SGPR: 6
; COMPUTE_PGM_RSRC2:TRAP_HANDLER: 0
; COMPUTE_PGM_RSRC2:TGID_X_EN: 1
; COMPUTE_PGM_RSRC2:TGID_Y_EN: 0
; COMPUTE_PGM_RSRC2:TGID_Z_EN: 0
; COMPUTE_PGM_RSRC2:TIDIG_COMP_CNT: 0
	.section	.text._ZN7rocprim17ROCPRIM_400000_NS6detail17trampoline_kernelINS0_13select_configILj256ELj13ELNS0_17block_load_methodE3ELS4_3ELS4_3ELNS0_20block_scan_algorithmE0ELj4294967295EEENS1_25partition_config_selectorILNS1_17partition_subalgoE4EjNS0_10empty_typeEbEEZZNS1_14partition_implILS8_4ELb0ES6_15HIP_vector_typeIjLj2EENS0_17counting_iteratorIjlEEPS9_SG_NS0_5tupleIJPjSI_NS0_16reverse_iteratorISI_EEEEENSH_IJSG_SG_SG_EEES9_SI_JZNS1_25segmented_radix_sort_implINS0_14default_configELb0EPKiPiPKlPlN2at6native12_GLOBAL__N_18offset_tEEE10hipError_tPvRmT1_PNSt15iterator_traitsIS12_E10value_typeET2_T3_PNS13_IS18_E10value_typeET4_jRbjT5_S1E_jjP12ihipStream_tbEUljE_ZNSN_ISO_Lb0ESQ_SR_ST_SU_SY_EESZ_S10_S11_S12_S16_S17_S18_S1B_S1C_jS1D_jS1E_S1E_jjS1G_bEUljE0_EEESZ_S10_S11_S18_S1C_S1E_T6_T7_T9_mT8_S1G_bDpT10_ENKUlT_T0_E_clISt17integral_constantIbLb1EES1T_IbLb0EEEEDaS1P_S1Q_EUlS1P_E_NS1_11comp_targetILNS1_3genE5ELNS1_11target_archE942ELNS1_3gpuE9ELNS1_3repE0EEENS1_30default_config_static_selectorELNS0_4arch9wavefront6targetE0EEEvS12_,"axG",@progbits,_ZN7rocprim17ROCPRIM_400000_NS6detail17trampoline_kernelINS0_13select_configILj256ELj13ELNS0_17block_load_methodE3ELS4_3ELS4_3ELNS0_20block_scan_algorithmE0ELj4294967295EEENS1_25partition_config_selectorILNS1_17partition_subalgoE4EjNS0_10empty_typeEbEEZZNS1_14partition_implILS8_4ELb0ES6_15HIP_vector_typeIjLj2EENS0_17counting_iteratorIjlEEPS9_SG_NS0_5tupleIJPjSI_NS0_16reverse_iteratorISI_EEEEENSH_IJSG_SG_SG_EEES9_SI_JZNS1_25segmented_radix_sort_implINS0_14default_configELb0EPKiPiPKlPlN2at6native12_GLOBAL__N_18offset_tEEE10hipError_tPvRmT1_PNSt15iterator_traitsIS12_E10value_typeET2_T3_PNS13_IS18_E10value_typeET4_jRbjT5_S1E_jjP12ihipStream_tbEUljE_ZNSN_ISO_Lb0ESQ_SR_ST_SU_SY_EESZ_S10_S11_S12_S16_S17_S18_S1B_S1C_jS1D_jS1E_S1E_jjS1G_bEUljE0_EEESZ_S10_S11_S18_S1C_S1E_T6_T7_T9_mT8_S1G_bDpT10_ENKUlT_T0_E_clISt17integral_constantIbLb1EES1T_IbLb0EEEEDaS1P_S1Q_EUlS1P_E_NS1_11comp_targetILNS1_3genE5ELNS1_11target_archE942ELNS1_3gpuE9ELNS1_3repE0EEENS1_30default_config_static_selectorELNS0_4arch9wavefront6targetE0EEEvS12_,comdat
	.globl	_ZN7rocprim17ROCPRIM_400000_NS6detail17trampoline_kernelINS0_13select_configILj256ELj13ELNS0_17block_load_methodE3ELS4_3ELS4_3ELNS0_20block_scan_algorithmE0ELj4294967295EEENS1_25partition_config_selectorILNS1_17partition_subalgoE4EjNS0_10empty_typeEbEEZZNS1_14partition_implILS8_4ELb0ES6_15HIP_vector_typeIjLj2EENS0_17counting_iteratorIjlEEPS9_SG_NS0_5tupleIJPjSI_NS0_16reverse_iteratorISI_EEEEENSH_IJSG_SG_SG_EEES9_SI_JZNS1_25segmented_radix_sort_implINS0_14default_configELb0EPKiPiPKlPlN2at6native12_GLOBAL__N_18offset_tEEE10hipError_tPvRmT1_PNSt15iterator_traitsIS12_E10value_typeET2_T3_PNS13_IS18_E10value_typeET4_jRbjT5_S1E_jjP12ihipStream_tbEUljE_ZNSN_ISO_Lb0ESQ_SR_ST_SU_SY_EESZ_S10_S11_S12_S16_S17_S18_S1B_S1C_jS1D_jS1E_S1E_jjS1G_bEUljE0_EEESZ_S10_S11_S18_S1C_S1E_T6_T7_T9_mT8_S1G_bDpT10_ENKUlT_T0_E_clISt17integral_constantIbLb1EES1T_IbLb0EEEEDaS1P_S1Q_EUlS1P_E_NS1_11comp_targetILNS1_3genE5ELNS1_11target_archE942ELNS1_3gpuE9ELNS1_3repE0EEENS1_30default_config_static_selectorELNS0_4arch9wavefront6targetE0EEEvS12_ ; -- Begin function _ZN7rocprim17ROCPRIM_400000_NS6detail17trampoline_kernelINS0_13select_configILj256ELj13ELNS0_17block_load_methodE3ELS4_3ELS4_3ELNS0_20block_scan_algorithmE0ELj4294967295EEENS1_25partition_config_selectorILNS1_17partition_subalgoE4EjNS0_10empty_typeEbEEZZNS1_14partition_implILS8_4ELb0ES6_15HIP_vector_typeIjLj2EENS0_17counting_iteratorIjlEEPS9_SG_NS0_5tupleIJPjSI_NS0_16reverse_iteratorISI_EEEEENSH_IJSG_SG_SG_EEES9_SI_JZNS1_25segmented_radix_sort_implINS0_14default_configELb0EPKiPiPKlPlN2at6native12_GLOBAL__N_18offset_tEEE10hipError_tPvRmT1_PNSt15iterator_traitsIS12_E10value_typeET2_T3_PNS13_IS18_E10value_typeET4_jRbjT5_S1E_jjP12ihipStream_tbEUljE_ZNSN_ISO_Lb0ESQ_SR_ST_SU_SY_EESZ_S10_S11_S12_S16_S17_S18_S1B_S1C_jS1D_jS1E_S1E_jjS1G_bEUljE0_EEESZ_S10_S11_S18_S1C_S1E_T6_T7_T9_mT8_S1G_bDpT10_ENKUlT_T0_E_clISt17integral_constantIbLb1EES1T_IbLb0EEEEDaS1P_S1Q_EUlS1P_E_NS1_11comp_targetILNS1_3genE5ELNS1_11target_archE942ELNS1_3gpuE9ELNS1_3repE0EEENS1_30default_config_static_selectorELNS0_4arch9wavefront6targetE0EEEvS12_
	.p2align	8
	.type	_ZN7rocprim17ROCPRIM_400000_NS6detail17trampoline_kernelINS0_13select_configILj256ELj13ELNS0_17block_load_methodE3ELS4_3ELS4_3ELNS0_20block_scan_algorithmE0ELj4294967295EEENS1_25partition_config_selectorILNS1_17partition_subalgoE4EjNS0_10empty_typeEbEEZZNS1_14partition_implILS8_4ELb0ES6_15HIP_vector_typeIjLj2EENS0_17counting_iteratorIjlEEPS9_SG_NS0_5tupleIJPjSI_NS0_16reverse_iteratorISI_EEEEENSH_IJSG_SG_SG_EEES9_SI_JZNS1_25segmented_radix_sort_implINS0_14default_configELb0EPKiPiPKlPlN2at6native12_GLOBAL__N_18offset_tEEE10hipError_tPvRmT1_PNSt15iterator_traitsIS12_E10value_typeET2_T3_PNS13_IS18_E10value_typeET4_jRbjT5_S1E_jjP12ihipStream_tbEUljE_ZNSN_ISO_Lb0ESQ_SR_ST_SU_SY_EESZ_S10_S11_S12_S16_S17_S18_S1B_S1C_jS1D_jS1E_S1E_jjS1G_bEUljE0_EEESZ_S10_S11_S18_S1C_S1E_T6_T7_T9_mT8_S1G_bDpT10_ENKUlT_T0_E_clISt17integral_constantIbLb1EES1T_IbLb0EEEEDaS1P_S1Q_EUlS1P_E_NS1_11comp_targetILNS1_3genE5ELNS1_11target_archE942ELNS1_3gpuE9ELNS1_3repE0EEENS1_30default_config_static_selectorELNS0_4arch9wavefront6targetE0EEEvS12_,@function
_ZN7rocprim17ROCPRIM_400000_NS6detail17trampoline_kernelINS0_13select_configILj256ELj13ELNS0_17block_load_methodE3ELS4_3ELS4_3ELNS0_20block_scan_algorithmE0ELj4294967295EEENS1_25partition_config_selectorILNS1_17partition_subalgoE4EjNS0_10empty_typeEbEEZZNS1_14partition_implILS8_4ELb0ES6_15HIP_vector_typeIjLj2EENS0_17counting_iteratorIjlEEPS9_SG_NS0_5tupleIJPjSI_NS0_16reverse_iteratorISI_EEEEENSH_IJSG_SG_SG_EEES9_SI_JZNS1_25segmented_radix_sort_implINS0_14default_configELb0EPKiPiPKlPlN2at6native12_GLOBAL__N_18offset_tEEE10hipError_tPvRmT1_PNSt15iterator_traitsIS12_E10value_typeET2_T3_PNS13_IS18_E10value_typeET4_jRbjT5_S1E_jjP12ihipStream_tbEUljE_ZNSN_ISO_Lb0ESQ_SR_ST_SU_SY_EESZ_S10_S11_S12_S16_S17_S18_S1B_S1C_jS1D_jS1E_S1E_jjS1G_bEUljE0_EEESZ_S10_S11_S18_S1C_S1E_T6_T7_T9_mT8_S1G_bDpT10_ENKUlT_T0_E_clISt17integral_constantIbLb1EES1T_IbLb0EEEEDaS1P_S1Q_EUlS1P_E_NS1_11comp_targetILNS1_3genE5ELNS1_11target_archE942ELNS1_3gpuE9ELNS1_3repE0EEENS1_30default_config_static_selectorELNS0_4arch9wavefront6targetE0EEEvS12_: ; @_ZN7rocprim17ROCPRIM_400000_NS6detail17trampoline_kernelINS0_13select_configILj256ELj13ELNS0_17block_load_methodE3ELS4_3ELS4_3ELNS0_20block_scan_algorithmE0ELj4294967295EEENS1_25partition_config_selectorILNS1_17partition_subalgoE4EjNS0_10empty_typeEbEEZZNS1_14partition_implILS8_4ELb0ES6_15HIP_vector_typeIjLj2EENS0_17counting_iteratorIjlEEPS9_SG_NS0_5tupleIJPjSI_NS0_16reverse_iteratorISI_EEEEENSH_IJSG_SG_SG_EEES9_SI_JZNS1_25segmented_radix_sort_implINS0_14default_configELb0EPKiPiPKlPlN2at6native12_GLOBAL__N_18offset_tEEE10hipError_tPvRmT1_PNSt15iterator_traitsIS12_E10value_typeET2_T3_PNS13_IS18_E10value_typeET4_jRbjT5_S1E_jjP12ihipStream_tbEUljE_ZNSN_ISO_Lb0ESQ_SR_ST_SU_SY_EESZ_S10_S11_S12_S16_S17_S18_S1B_S1C_jS1D_jS1E_S1E_jjS1G_bEUljE0_EEESZ_S10_S11_S18_S1C_S1E_T6_T7_T9_mT8_S1G_bDpT10_ENKUlT_T0_E_clISt17integral_constantIbLb1EES1T_IbLb0EEEEDaS1P_S1Q_EUlS1P_E_NS1_11comp_targetILNS1_3genE5ELNS1_11target_archE942ELNS1_3gpuE9ELNS1_3repE0EEENS1_30default_config_static_selectorELNS0_4arch9wavefront6targetE0EEEvS12_
; %bb.0:
	.section	.rodata,"a",@progbits
	.p2align	6, 0x0
	.amdhsa_kernel _ZN7rocprim17ROCPRIM_400000_NS6detail17trampoline_kernelINS0_13select_configILj256ELj13ELNS0_17block_load_methodE3ELS4_3ELS4_3ELNS0_20block_scan_algorithmE0ELj4294967295EEENS1_25partition_config_selectorILNS1_17partition_subalgoE4EjNS0_10empty_typeEbEEZZNS1_14partition_implILS8_4ELb0ES6_15HIP_vector_typeIjLj2EENS0_17counting_iteratorIjlEEPS9_SG_NS0_5tupleIJPjSI_NS0_16reverse_iteratorISI_EEEEENSH_IJSG_SG_SG_EEES9_SI_JZNS1_25segmented_radix_sort_implINS0_14default_configELb0EPKiPiPKlPlN2at6native12_GLOBAL__N_18offset_tEEE10hipError_tPvRmT1_PNSt15iterator_traitsIS12_E10value_typeET2_T3_PNS13_IS18_E10value_typeET4_jRbjT5_S1E_jjP12ihipStream_tbEUljE_ZNSN_ISO_Lb0ESQ_SR_ST_SU_SY_EESZ_S10_S11_S12_S16_S17_S18_S1B_S1C_jS1D_jS1E_S1E_jjS1G_bEUljE0_EEESZ_S10_S11_S18_S1C_S1E_T6_T7_T9_mT8_S1G_bDpT10_ENKUlT_T0_E_clISt17integral_constantIbLb1EES1T_IbLb0EEEEDaS1P_S1Q_EUlS1P_E_NS1_11comp_targetILNS1_3genE5ELNS1_11target_archE942ELNS1_3gpuE9ELNS1_3repE0EEENS1_30default_config_static_selectorELNS0_4arch9wavefront6targetE0EEEvS12_
		.amdhsa_group_segment_fixed_size 0
		.amdhsa_private_segment_fixed_size 0
		.amdhsa_kernarg_size 176
		.amdhsa_user_sgpr_count 6
		.amdhsa_user_sgpr_private_segment_buffer 1
		.amdhsa_user_sgpr_dispatch_ptr 0
		.amdhsa_user_sgpr_queue_ptr 0
		.amdhsa_user_sgpr_kernarg_segment_ptr 1
		.amdhsa_user_sgpr_dispatch_id 0
		.amdhsa_user_sgpr_flat_scratch_init 0
		.amdhsa_user_sgpr_private_segment_size 0
		.amdhsa_wavefront_size32 1
		.amdhsa_uses_dynamic_stack 0
		.amdhsa_system_sgpr_private_segment_wavefront_offset 0
		.amdhsa_system_sgpr_workgroup_id_x 1
		.amdhsa_system_sgpr_workgroup_id_y 0
		.amdhsa_system_sgpr_workgroup_id_z 0
		.amdhsa_system_sgpr_workgroup_info 0
		.amdhsa_system_vgpr_workitem_id 0
		.amdhsa_next_free_vgpr 1
		.amdhsa_next_free_sgpr 1
		.amdhsa_reserve_vcc 0
		.amdhsa_reserve_flat_scratch 0
		.amdhsa_float_round_mode_32 0
		.amdhsa_float_round_mode_16_64 0
		.amdhsa_float_denorm_mode_32 3
		.amdhsa_float_denorm_mode_16_64 3
		.amdhsa_dx10_clamp 1
		.amdhsa_ieee_mode 1
		.amdhsa_fp16_overflow 0
		.amdhsa_workgroup_processor_mode 1
		.amdhsa_memory_ordered 1
		.amdhsa_forward_progress 1
		.amdhsa_shared_vgpr_count 0
		.amdhsa_exception_fp_ieee_invalid_op 0
		.amdhsa_exception_fp_denorm_src 0
		.amdhsa_exception_fp_ieee_div_zero 0
		.amdhsa_exception_fp_ieee_overflow 0
		.amdhsa_exception_fp_ieee_underflow 0
		.amdhsa_exception_fp_ieee_inexact 0
		.amdhsa_exception_int_div_zero 0
	.end_amdhsa_kernel
	.section	.text._ZN7rocprim17ROCPRIM_400000_NS6detail17trampoline_kernelINS0_13select_configILj256ELj13ELNS0_17block_load_methodE3ELS4_3ELS4_3ELNS0_20block_scan_algorithmE0ELj4294967295EEENS1_25partition_config_selectorILNS1_17partition_subalgoE4EjNS0_10empty_typeEbEEZZNS1_14partition_implILS8_4ELb0ES6_15HIP_vector_typeIjLj2EENS0_17counting_iteratorIjlEEPS9_SG_NS0_5tupleIJPjSI_NS0_16reverse_iteratorISI_EEEEENSH_IJSG_SG_SG_EEES9_SI_JZNS1_25segmented_radix_sort_implINS0_14default_configELb0EPKiPiPKlPlN2at6native12_GLOBAL__N_18offset_tEEE10hipError_tPvRmT1_PNSt15iterator_traitsIS12_E10value_typeET2_T3_PNS13_IS18_E10value_typeET4_jRbjT5_S1E_jjP12ihipStream_tbEUljE_ZNSN_ISO_Lb0ESQ_SR_ST_SU_SY_EESZ_S10_S11_S12_S16_S17_S18_S1B_S1C_jS1D_jS1E_S1E_jjS1G_bEUljE0_EEESZ_S10_S11_S18_S1C_S1E_T6_T7_T9_mT8_S1G_bDpT10_ENKUlT_T0_E_clISt17integral_constantIbLb1EES1T_IbLb0EEEEDaS1P_S1Q_EUlS1P_E_NS1_11comp_targetILNS1_3genE5ELNS1_11target_archE942ELNS1_3gpuE9ELNS1_3repE0EEENS1_30default_config_static_selectorELNS0_4arch9wavefront6targetE0EEEvS12_,"axG",@progbits,_ZN7rocprim17ROCPRIM_400000_NS6detail17trampoline_kernelINS0_13select_configILj256ELj13ELNS0_17block_load_methodE3ELS4_3ELS4_3ELNS0_20block_scan_algorithmE0ELj4294967295EEENS1_25partition_config_selectorILNS1_17partition_subalgoE4EjNS0_10empty_typeEbEEZZNS1_14partition_implILS8_4ELb0ES6_15HIP_vector_typeIjLj2EENS0_17counting_iteratorIjlEEPS9_SG_NS0_5tupleIJPjSI_NS0_16reverse_iteratorISI_EEEEENSH_IJSG_SG_SG_EEES9_SI_JZNS1_25segmented_radix_sort_implINS0_14default_configELb0EPKiPiPKlPlN2at6native12_GLOBAL__N_18offset_tEEE10hipError_tPvRmT1_PNSt15iterator_traitsIS12_E10value_typeET2_T3_PNS13_IS18_E10value_typeET4_jRbjT5_S1E_jjP12ihipStream_tbEUljE_ZNSN_ISO_Lb0ESQ_SR_ST_SU_SY_EESZ_S10_S11_S12_S16_S17_S18_S1B_S1C_jS1D_jS1E_S1E_jjS1G_bEUljE0_EEESZ_S10_S11_S18_S1C_S1E_T6_T7_T9_mT8_S1G_bDpT10_ENKUlT_T0_E_clISt17integral_constantIbLb1EES1T_IbLb0EEEEDaS1P_S1Q_EUlS1P_E_NS1_11comp_targetILNS1_3genE5ELNS1_11target_archE942ELNS1_3gpuE9ELNS1_3repE0EEENS1_30default_config_static_selectorELNS0_4arch9wavefront6targetE0EEEvS12_,comdat
.Lfunc_end548:
	.size	_ZN7rocprim17ROCPRIM_400000_NS6detail17trampoline_kernelINS0_13select_configILj256ELj13ELNS0_17block_load_methodE3ELS4_3ELS4_3ELNS0_20block_scan_algorithmE0ELj4294967295EEENS1_25partition_config_selectorILNS1_17partition_subalgoE4EjNS0_10empty_typeEbEEZZNS1_14partition_implILS8_4ELb0ES6_15HIP_vector_typeIjLj2EENS0_17counting_iteratorIjlEEPS9_SG_NS0_5tupleIJPjSI_NS0_16reverse_iteratorISI_EEEEENSH_IJSG_SG_SG_EEES9_SI_JZNS1_25segmented_radix_sort_implINS0_14default_configELb0EPKiPiPKlPlN2at6native12_GLOBAL__N_18offset_tEEE10hipError_tPvRmT1_PNSt15iterator_traitsIS12_E10value_typeET2_T3_PNS13_IS18_E10value_typeET4_jRbjT5_S1E_jjP12ihipStream_tbEUljE_ZNSN_ISO_Lb0ESQ_SR_ST_SU_SY_EESZ_S10_S11_S12_S16_S17_S18_S1B_S1C_jS1D_jS1E_S1E_jjS1G_bEUljE0_EEESZ_S10_S11_S18_S1C_S1E_T6_T7_T9_mT8_S1G_bDpT10_ENKUlT_T0_E_clISt17integral_constantIbLb1EES1T_IbLb0EEEEDaS1P_S1Q_EUlS1P_E_NS1_11comp_targetILNS1_3genE5ELNS1_11target_archE942ELNS1_3gpuE9ELNS1_3repE0EEENS1_30default_config_static_selectorELNS0_4arch9wavefront6targetE0EEEvS12_, .Lfunc_end548-_ZN7rocprim17ROCPRIM_400000_NS6detail17trampoline_kernelINS0_13select_configILj256ELj13ELNS0_17block_load_methodE3ELS4_3ELS4_3ELNS0_20block_scan_algorithmE0ELj4294967295EEENS1_25partition_config_selectorILNS1_17partition_subalgoE4EjNS0_10empty_typeEbEEZZNS1_14partition_implILS8_4ELb0ES6_15HIP_vector_typeIjLj2EENS0_17counting_iteratorIjlEEPS9_SG_NS0_5tupleIJPjSI_NS0_16reverse_iteratorISI_EEEEENSH_IJSG_SG_SG_EEES9_SI_JZNS1_25segmented_radix_sort_implINS0_14default_configELb0EPKiPiPKlPlN2at6native12_GLOBAL__N_18offset_tEEE10hipError_tPvRmT1_PNSt15iterator_traitsIS12_E10value_typeET2_T3_PNS13_IS18_E10value_typeET4_jRbjT5_S1E_jjP12ihipStream_tbEUljE_ZNSN_ISO_Lb0ESQ_SR_ST_SU_SY_EESZ_S10_S11_S12_S16_S17_S18_S1B_S1C_jS1D_jS1E_S1E_jjS1G_bEUljE0_EEESZ_S10_S11_S18_S1C_S1E_T6_T7_T9_mT8_S1G_bDpT10_ENKUlT_T0_E_clISt17integral_constantIbLb1EES1T_IbLb0EEEEDaS1P_S1Q_EUlS1P_E_NS1_11comp_targetILNS1_3genE5ELNS1_11target_archE942ELNS1_3gpuE9ELNS1_3repE0EEENS1_30default_config_static_selectorELNS0_4arch9wavefront6targetE0EEEvS12_
                                        ; -- End function
	.set _ZN7rocprim17ROCPRIM_400000_NS6detail17trampoline_kernelINS0_13select_configILj256ELj13ELNS0_17block_load_methodE3ELS4_3ELS4_3ELNS0_20block_scan_algorithmE0ELj4294967295EEENS1_25partition_config_selectorILNS1_17partition_subalgoE4EjNS0_10empty_typeEbEEZZNS1_14partition_implILS8_4ELb0ES6_15HIP_vector_typeIjLj2EENS0_17counting_iteratorIjlEEPS9_SG_NS0_5tupleIJPjSI_NS0_16reverse_iteratorISI_EEEEENSH_IJSG_SG_SG_EEES9_SI_JZNS1_25segmented_radix_sort_implINS0_14default_configELb0EPKiPiPKlPlN2at6native12_GLOBAL__N_18offset_tEEE10hipError_tPvRmT1_PNSt15iterator_traitsIS12_E10value_typeET2_T3_PNS13_IS18_E10value_typeET4_jRbjT5_S1E_jjP12ihipStream_tbEUljE_ZNSN_ISO_Lb0ESQ_SR_ST_SU_SY_EESZ_S10_S11_S12_S16_S17_S18_S1B_S1C_jS1D_jS1E_S1E_jjS1G_bEUljE0_EEESZ_S10_S11_S18_S1C_S1E_T6_T7_T9_mT8_S1G_bDpT10_ENKUlT_T0_E_clISt17integral_constantIbLb1EES1T_IbLb0EEEEDaS1P_S1Q_EUlS1P_E_NS1_11comp_targetILNS1_3genE5ELNS1_11target_archE942ELNS1_3gpuE9ELNS1_3repE0EEENS1_30default_config_static_selectorELNS0_4arch9wavefront6targetE0EEEvS12_.num_vgpr, 0
	.set _ZN7rocprim17ROCPRIM_400000_NS6detail17trampoline_kernelINS0_13select_configILj256ELj13ELNS0_17block_load_methodE3ELS4_3ELS4_3ELNS0_20block_scan_algorithmE0ELj4294967295EEENS1_25partition_config_selectorILNS1_17partition_subalgoE4EjNS0_10empty_typeEbEEZZNS1_14partition_implILS8_4ELb0ES6_15HIP_vector_typeIjLj2EENS0_17counting_iteratorIjlEEPS9_SG_NS0_5tupleIJPjSI_NS0_16reverse_iteratorISI_EEEEENSH_IJSG_SG_SG_EEES9_SI_JZNS1_25segmented_radix_sort_implINS0_14default_configELb0EPKiPiPKlPlN2at6native12_GLOBAL__N_18offset_tEEE10hipError_tPvRmT1_PNSt15iterator_traitsIS12_E10value_typeET2_T3_PNS13_IS18_E10value_typeET4_jRbjT5_S1E_jjP12ihipStream_tbEUljE_ZNSN_ISO_Lb0ESQ_SR_ST_SU_SY_EESZ_S10_S11_S12_S16_S17_S18_S1B_S1C_jS1D_jS1E_S1E_jjS1G_bEUljE0_EEESZ_S10_S11_S18_S1C_S1E_T6_T7_T9_mT8_S1G_bDpT10_ENKUlT_T0_E_clISt17integral_constantIbLb1EES1T_IbLb0EEEEDaS1P_S1Q_EUlS1P_E_NS1_11comp_targetILNS1_3genE5ELNS1_11target_archE942ELNS1_3gpuE9ELNS1_3repE0EEENS1_30default_config_static_selectorELNS0_4arch9wavefront6targetE0EEEvS12_.num_agpr, 0
	.set _ZN7rocprim17ROCPRIM_400000_NS6detail17trampoline_kernelINS0_13select_configILj256ELj13ELNS0_17block_load_methodE3ELS4_3ELS4_3ELNS0_20block_scan_algorithmE0ELj4294967295EEENS1_25partition_config_selectorILNS1_17partition_subalgoE4EjNS0_10empty_typeEbEEZZNS1_14partition_implILS8_4ELb0ES6_15HIP_vector_typeIjLj2EENS0_17counting_iteratorIjlEEPS9_SG_NS0_5tupleIJPjSI_NS0_16reverse_iteratorISI_EEEEENSH_IJSG_SG_SG_EEES9_SI_JZNS1_25segmented_radix_sort_implINS0_14default_configELb0EPKiPiPKlPlN2at6native12_GLOBAL__N_18offset_tEEE10hipError_tPvRmT1_PNSt15iterator_traitsIS12_E10value_typeET2_T3_PNS13_IS18_E10value_typeET4_jRbjT5_S1E_jjP12ihipStream_tbEUljE_ZNSN_ISO_Lb0ESQ_SR_ST_SU_SY_EESZ_S10_S11_S12_S16_S17_S18_S1B_S1C_jS1D_jS1E_S1E_jjS1G_bEUljE0_EEESZ_S10_S11_S18_S1C_S1E_T6_T7_T9_mT8_S1G_bDpT10_ENKUlT_T0_E_clISt17integral_constantIbLb1EES1T_IbLb0EEEEDaS1P_S1Q_EUlS1P_E_NS1_11comp_targetILNS1_3genE5ELNS1_11target_archE942ELNS1_3gpuE9ELNS1_3repE0EEENS1_30default_config_static_selectorELNS0_4arch9wavefront6targetE0EEEvS12_.numbered_sgpr, 0
	.set _ZN7rocprim17ROCPRIM_400000_NS6detail17trampoline_kernelINS0_13select_configILj256ELj13ELNS0_17block_load_methodE3ELS4_3ELS4_3ELNS0_20block_scan_algorithmE0ELj4294967295EEENS1_25partition_config_selectorILNS1_17partition_subalgoE4EjNS0_10empty_typeEbEEZZNS1_14partition_implILS8_4ELb0ES6_15HIP_vector_typeIjLj2EENS0_17counting_iteratorIjlEEPS9_SG_NS0_5tupleIJPjSI_NS0_16reverse_iteratorISI_EEEEENSH_IJSG_SG_SG_EEES9_SI_JZNS1_25segmented_radix_sort_implINS0_14default_configELb0EPKiPiPKlPlN2at6native12_GLOBAL__N_18offset_tEEE10hipError_tPvRmT1_PNSt15iterator_traitsIS12_E10value_typeET2_T3_PNS13_IS18_E10value_typeET4_jRbjT5_S1E_jjP12ihipStream_tbEUljE_ZNSN_ISO_Lb0ESQ_SR_ST_SU_SY_EESZ_S10_S11_S12_S16_S17_S18_S1B_S1C_jS1D_jS1E_S1E_jjS1G_bEUljE0_EEESZ_S10_S11_S18_S1C_S1E_T6_T7_T9_mT8_S1G_bDpT10_ENKUlT_T0_E_clISt17integral_constantIbLb1EES1T_IbLb0EEEEDaS1P_S1Q_EUlS1P_E_NS1_11comp_targetILNS1_3genE5ELNS1_11target_archE942ELNS1_3gpuE9ELNS1_3repE0EEENS1_30default_config_static_selectorELNS0_4arch9wavefront6targetE0EEEvS12_.num_named_barrier, 0
	.set _ZN7rocprim17ROCPRIM_400000_NS6detail17trampoline_kernelINS0_13select_configILj256ELj13ELNS0_17block_load_methodE3ELS4_3ELS4_3ELNS0_20block_scan_algorithmE0ELj4294967295EEENS1_25partition_config_selectorILNS1_17partition_subalgoE4EjNS0_10empty_typeEbEEZZNS1_14partition_implILS8_4ELb0ES6_15HIP_vector_typeIjLj2EENS0_17counting_iteratorIjlEEPS9_SG_NS0_5tupleIJPjSI_NS0_16reverse_iteratorISI_EEEEENSH_IJSG_SG_SG_EEES9_SI_JZNS1_25segmented_radix_sort_implINS0_14default_configELb0EPKiPiPKlPlN2at6native12_GLOBAL__N_18offset_tEEE10hipError_tPvRmT1_PNSt15iterator_traitsIS12_E10value_typeET2_T3_PNS13_IS18_E10value_typeET4_jRbjT5_S1E_jjP12ihipStream_tbEUljE_ZNSN_ISO_Lb0ESQ_SR_ST_SU_SY_EESZ_S10_S11_S12_S16_S17_S18_S1B_S1C_jS1D_jS1E_S1E_jjS1G_bEUljE0_EEESZ_S10_S11_S18_S1C_S1E_T6_T7_T9_mT8_S1G_bDpT10_ENKUlT_T0_E_clISt17integral_constantIbLb1EES1T_IbLb0EEEEDaS1P_S1Q_EUlS1P_E_NS1_11comp_targetILNS1_3genE5ELNS1_11target_archE942ELNS1_3gpuE9ELNS1_3repE0EEENS1_30default_config_static_selectorELNS0_4arch9wavefront6targetE0EEEvS12_.private_seg_size, 0
	.set _ZN7rocprim17ROCPRIM_400000_NS6detail17trampoline_kernelINS0_13select_configILj256ELj13ELNS0_17block_load_methodE3ELS4_3ELS4_3ELNS0_20block_scan_algorithmE0ELj4294967295EEENS1_25partition_config_selectorILNS1_17partition_subalgoE4EjNS0_10empty_typeEbEEZZNS1_14partition_implILS8_4ELb0ES6_15HIP_vector_typeIjLj2EENS0_17counting_iteratorIjlEEPS9_SG_NS0_5tupleIJPjSI_NS0_16reverse_iteratorISI_EEEEENSH_IJSG_SG_SG_EEES9_SI_JZNS1_25segmented_radix_sort_implINS0_14default_configELb0EPKiPiPKlPlN2at6native12_GLOBAL__N_18offset_tEEE10hipError_tPvRmT1_PNSt15iterator_traitsIS12_E10value_typeET2_T3_PNS13_IS18_E10value_typeET4_jRbjT5_S1E_jjP12ihipStream_tbEUljE_ZNSN_ISO_Lb0ESQ_SR_ST_SU_SY_EESZ_S10_S11_S12_S16_S17_S18_S1B_S1C_jS1D_jS1E_S1E_jjS1G_bEUljE0_EEESZ_S10_S11_S18_S1C_S1E_T6_T7_T9_mT8_S1G_bDpT10_ENKUlT_T0_E_clISt17integral_constantIbLb1EES1T_IbLb0EEEEDaS1P_S1Q_EUlS1P_E_NS1_11comp_targetILNS1_3genE5ELNS1_11target_archE942ELNS1_3gpuE9ELNS1_3repE0EEENS1_30default_config_static_selectorELNS0_4arch9wavefront6targetE0EEEvS12_.uses_vcc, 0
	.set _ZN7rocprim17ROCPRIM_400000_NS6detail17trampoline_kernelINS0_13select_configILj256ELj13ELNS0_17block_load_methodE3ELS4_3ELS4_3ELNS0_20block_scan_algorithmE0ELj4294967295EEENS1_25partition_config_selectorILNS1_17partition_subalgoE4EjNS0_10empty_typeEbEEZZNS1_14partition_implILS8_4ELb0ES6_15HIP_vector_typeIjLj2EENS0_17counting_iteratorIjlEEPS9_SG_NS0_5tupleIJPjSI_NS0_16reverse_iteratorISI_EEEEENSH_IJSG_SG_SG_EEES9_SI_JZNS1_25segmented_radix_sort_implINS0_14default_configELb0EPKiPiPKlPlN2at6native12_GLOBAL__N_18offset_tEEE10hipError_tPvRmT1_PNSt15iterator_traitsIS12_E10value_typeET2_T3_PNS13_IS18_E10value_typeET4_jRbjT5_S1E_jjP12ihipStream_tbEUljE_ZNSN_ISO_Lb0ESQ_SR_ST_SU_SY_EESZ_S10_S11_S12_S16_S17_S18_S1B_S1C_jS1D_jS1E_S1E_jjS1G_bEUljE0_EEESZ_S10_S11_S18_S1C_S1E_T6_T7_T9_mT8_S1G_bDpT10_ENKUlT_T0_E_clISt17integral_constantIbLb1EES1T_IbLb0EEEEDaS1P_S1Q_EUlS1P_E_NS1_11comp_targetILNS1_3genE5ELNS1_11target_archE942ELNS1_3gpuE9ELNS1_3repE0EEENS1_30default_config_static_selectorELNS0_4arch9wavefront6targetE0EEEvS12_.uses_flat_scratch, 0
	.set _ZN7rocprim17ROCPRIM_400000_NS6detail17trampoline_kernelINS0_13select_configILj256ELj13ELNS0_17block_load_methodE3ELS4_3ELS4_3ELNS0_20block_scan_algorithmE0ELj4294967295EEENS1_25partition_config_selectorILNS1_17partition_subalgoE4EjNS0_10empty_typeEbEEZZNS1_14partition_implILS8_4ELb0ES6_15HIP_vector_typeIjLj2EENS0_17counting_iteratorIjlEEPS9_SG_NS0_5tupleIJPjSI_NS0_16reverse_iteratorISI_EEEEENSH_IJSG_SG_SG_EEES9_SI_JZNS1_25segmented_radix_sort_implINS0_14default_configELb0EPKiPiPKlPlN2at6native12_GLOBAL__N_18offset_tEEE10hipError_tPvRmT1_PNSt15iterator_traitsIS12_E10value_typeET2_T3_PNS13_IS18_E10value_typeET4_jRbjT5_S1E_jjP12ihipStream_tbEUljE_ZNSN_ISO_Lb0ESQ_SR_ST_SU_SY_EESZ_S10_S11_S12_S16_S17_S18_S1B_S1C_jS1D_jS1E_S1E_jjS1G_bEUljE0_EEESZ_S10_S11_S18_S1C_S1E_T6_T7_T9_mT8_S1G_bDpT10_ENKUlT_T0_E_clISt17integral_constantIbLb1EES1T_IbLb0EEEEDaS1P_S1Q_EUlS1P_E_NS1_11comp_targetILNS1_3genE5ELNS1_11target_archE942ELNS1_3gpuE9ELNS1_3repE0EEENS1_30default_config_static_selectorELNS0_4arch9wavefront6targetE0EEEvS12_.has_dyn_sized_stack, 0
	.set _ZN7rocprim17ROCPRIM_400000_NS6detail17trampoline_kernelINS0_13select_configILj256ELj13ELNS0_17block_load_methodE3ELS4_3ELS4_3ELNS0_20block_scan_algorithmE0ELj4294967295EEENS1_25partition_config_selectorILNS1_17partition_subalgoE4EjNS0_10empty_typeEbEEZZNS1_14partition_implILS8_4ELb0ES6_15HIP_vector_typeIjLj2EENS0_17counting_iteratorIjlEEPS9_SG_NS0_5tupleIJPjSI_NS0_16reverse_iteratorISI_EEEEENSH_IJSG_SG_SG_EEES9_SI_JZNS1_25segmented_radix_sort_implINS0_14default_configELb0EPKiPiPKlPlN2at6native12_GLOBAL__N_18offset_tEEE10hipError_tPvRmT1_PNSt15iterator_traitsIS12_E10value_typeET2_T3_PNS13_IS18_E10value_typeET4_jRbjT5_S1E_jjP12ihipStream_tbEUljE_ZNSN_ISO_Lb0ESQ_SR_ST_SU_SY_EESZ_S10_S11_S12_S16_S17_S18_S1B_S1C_jS1D_jS1E_S1E_jjS1G_bEUljE0_EEESZ_S10_S11_S18_S1C_S1E_T6_T7_T9_mT8_S1G_bDpT10_ENKUlT_T0_E_clISt17integral_constantIbLb1EES1T_IbLb0EEEEDaS1P_S1Q_EUlS1P_E_NS1_11comp_targetILNS1_3genE5ELNS1_11target_archE942ELNS1_3gpuE9ELNS1_3repE0EEENS1_30default_config_static_selectorELNS0_4arch9wavefront6targetE0EEEvS12_.has_recursion, 0
	.set _ZN7rocprim17ROCPRIM_400000_NS6detail17trampoline_kernelINS0_13select_configILj256ELj13ELNS0_17block_load_methodE3ELS4_3ELS4_3ELNS0_20block_scan_algorithmE0ELj4294967295EEENS1_25partition_config_selectorILNS1_17partition_subalgoE4EjNS0_10empty_typeEbEEZZNS1_14partition_implILS8_4ELb0ES6_15HIP_vector_typeIjLj2EENS0_17counting_iteratorIjlEEPS9_SG_NS0_5tupleIJPjSI_NS0_16reverse_iteratorISI_EEEEENSH_IJSG_SG_SG_EEES9_SI_JZNS1_25segmented_radix_sort_implINS0_14default_configELb0EPKiPiPKlPlN2at6native12_GLOBAL__N_18offset_tEEE10hipError_tPvRmT1_PNSt15iterator_traitsIS12_E10value_typeET2_T3_PNS13_IS18_E10value_typeET4_jRbjT5_S1E_jjP12ihipStream_tbEUljE_ZNSN_ISO_Lb0ESQ_SR_ST_SU_SY_EESZ_S10_S11_S12_S16_S17_S18_S1B_S1C_jS1D_jS1E_S1E_jjS1G_bEUljE0_EEESZ_S10_S11_S18_S1C_S1E_T6_T7_T9_mT8_S1G_bDpT10_ENKUlT_T0_E_clISt17integral_constantIbLb1EES1T_IbLb0EEEEDaS1P_S1Q_EUlS1P_E_NS1_11comp_targetILNS1_3genE5ELNS1_11target_archE942ELNS1_3gpuE9ELNS1_3repE0EEENS1_30default_config_static_selectorELNS0_4arch9wavefront6targetE0EEEvS12_.has_indirect_call, 0
	.section	.AMDGPU.csdata,"",@progbits
; Kernel info:
; codeLenInByte = 0
; TotalNumSgprs: 0
; NumVgprs: 0
; ScratchSize: 0
; MemoryBound: 0
; FloatMode: 240
; IeeeMode: 1
; LDSByteSize: 0 bytes/workgroup (compile time only)
; SGPRBlocks: 0
; VGPRBlocks: 0
; NumSGPRsForWavesPerEU: 1
; NumVGPRsForWavesPerEU: 1
; Occupancy: 16
; WaveLimiterHint : 0
; COMPUTE_PGM_RSRC2:SCRATCH_EN: 0
; COMPUTE_PGM_RSRC2:USER_SGPR: 6
; COMPUTE_PGM_RSRC2:TRAP_HANDLER: 0
; COMPUTE_PGM_RSRC2:TGID_X_EN: 1
; COMPUTE_PGM_RSRC2:TGID_Y_EN: 0
; COMPUTE_PGM_RSRC2:TGID_Z_EN: 0
; COMPUTE_PGM_RSRC2:TIDIG_COMP_CNT: 0
	.section	.text._ZN7rocprim17ROCPRIM_400000_NS6detail17trampoline_kernelINS0_13select_configILj256ELj13ELNS0_17block_load_methodE3ELS4_3ELS4_3ELNS0_20block_scan_algorithmE0ELj4294967295EEENS1_25partition_config_selectorILNS1_17partition_subalgoE4EjNS0_10empty_typeEbEEZZNS1_14partition_implILS8_4ELb0ES6_15HIP_vector_typeIjLj2EENS0_17counting_iteratorIjlEEPS9_SG_NS0_5tupleIJPjSI_NS0_16reverse_iteratorISI_EEEEENSH_IJSG_SG_SG_EEES9_SI_JZNS1_25segmented_radix_sort_implINS0_14default_configELb0EPKiPiPKlPlN2at6native12_GLOBAL__N_18offset_tEEE10hipError_tPvRmT1_PNSt15iterator_traitsIS12_E10value_typeET2_T3_PNS13_IS18_E10value_typeET4_jRbjT5_S1E_jjP12ihipStream_tbEUljE_ZNSN_ISO_Lb0ESQ_SR_ST_SU_SY_EESZ_S10_S11_S12_S16_S17_S18_S1B_S1C_jS1D_jS1E_S1E_jjS1G_bEUljE0_EEESZ_S10_S11_S18_S1C_S1E_T6_T7_T9_mT8_S1G_bDpT10_ENKUlT_T0_E_clISt17integral_constantIbLb1EES1T_IbLb0EEEEDaS1P_S1Q_EUlS1P_E_NS1_11comp_targetILNS1_3genE4ELNS1_11target_archE910ELNS1_3gpuE8ELNS1_3repE0EEENS1_30default_config_static_selectorELNS0_4arch9wavefront6targetE0EEEvS12_,"axG",@progbits,_ZN7rocprim17ROCPRIM_400000_NS6detail17trampoline_kernelINS0_13select_configILj256ELj13ELNS0_17block_load_methodE3ELS4_3ELS4_3ELNS0_20block_scan_algorithmE0ELj4294967295EEENS1_25partition_config_selectorILNS1_17partition_subalgoE4EjNS0_10empty_typeEbEEZZNS1_14partition_implILS8_4ELb0ES6_15HIP_vector_typeIjLj2EENS0_17counting_iteratorIjlEEPS9_SG_NS0_5tupleIJPjSI_NS0_16reverse_iteratorISI_EEEEENSH_IJSG_SG_SG_EEES9_SI_JZNS1_25segmented_radix_sort_implINS0_14default_configELb0EPKiPiPKlPlN2at6native12_GLOBAL__N_18offset_tEEE10hipError_tPvRmT1_PNSt15iterator_traitsIS12_E10value_typeET2_T3_PNS13_IS18_E10value_typeET4_jRbjT5_S1E_jjP12ihipStream_tbEUljE_ZNSN_ISO_Lb0ESQ_SR_ST_SU_SY_EESZ_S10_S11_S12_S16_S17_S18_S1B_S1C_jS1D_jS1E_S1E_jjS1G_bEUljE0_EEESZ_S10_S11_S18_S1C_S1E_T6_T7_T9_mT8_S1G_bDpT10_ENKUlT_T0_E_clISt17integral_constantIbLb1EES1T_IbLb0EEEEDaS1P_S1Q_EUlS1P_E_NS1_11comp_targetILNS1_3genE4ELNS1_11target_archE910ELNS1_3gpuE8ELNS1_3repE0EEENS1_30default_config_static_selectorELNS0_4arch9wavefront6targetE0EEEvS12_,comdat
	.globl	_ZN7rocprim17ROCPRIM_400000_NS6detail17trampoline_kernelINS0_13select_configILj256ELj13ELNS0_17block_load_methodE3ELS4_3ELS4_3ELNS0_20block_scan_algorithmE0ELj4294967295EEENS1_25partition_config_selectorILNS1_17partition_subalgoE4EjNS0_10empty_typeEbEEZZNS1_14partition_implILS8_4ELb0ES6_15HIP_vector_typeIjLj2EENS0_17counting_iteratorIjlEEPS9_SG_NS0_5tupleIJPjSI_NS0_16reverse_iteratorISI_EEEEENSH_IJSG_SG_SG_EEES9_SI_JZNS1_25segmented_radix_sort_implINS0_14default_configELb0EPKiPiPKlPlN2at6native12_GLOBAL__N_18offset_tEEE10hipError_tPvRmT1_PNSt15iterator_traitsIS12_E10value_typeET2_T3_PNS13_IS18_E10value_typeET4_jRbjT5_S1E_jjP12ihipStream_tbEUljE_ZNSN_ISO_Lb0ESQ_SR_ST_SU_SY_EESZ_S10_S11_S12_S16_S17_S18_S1B_S1C_jS1D_jS1E_S1E_jjS1G_bEUljE0_EEESZ_S10_S11_S18_S1C_S1E_T6_T7_T9_mT8_S1G_bDpT10_ENKUlT_T0_E_clISt17integral_constantIbLb1EES1T_IbLb0EEEEDaS1P_S1Q_EUlS1P_E_NS1_11comp_targetILNS1_3genE4ELNS1_11target_archE910ELNS1_3gpuE8ELNS1_3repE0EEENS1_30default_config_static_selectorELNS0_4arch9wavefront6targetE0EEEvS12_ ; -- Begin function _ZN7rocprim17ROCPRIM_400000_NS6detail17trampoline_kernelINS0_13select_configILj256ELj13ELNS0_17block_load_methodE3ELS4_3ELS4_3ELNS0_20block_scan_algorithmE0ELj4294967295EEENS1_25partition_config_selectorILNS1_17partition_subalgoE4EjNS0_10empty_typeEbEEZZNS1_14partition_implILS8_4ELb0ES6_15HIP_vector_typeIjLj2EENS0_17counting_iteratorIjlEEPS9_SG_NS0_5tupleIJPjSI_NS0_16reverse_iteratorISI_EEEEENSH_IJSG_SG_SG_EEES9_SI_JZNS1_25segmented_radix_sort_implINS0_14default_configELb0EPKiPiPKlPlN2at6native12_GLOBAL__N_18offset_tEEE10hipError_tPvRmT1_PNSt15iterator_traitsIS12_E10value_typeET2_T3_PNS13_IS18_E10value_typeET4_jRbjT5_S1E_jjP12ihipStream_tbEUljE_ZNSN_ISO_Lb0ESQ_SR_ST_SU_SY_EESZ_S10_S11_S12_S16_S17_S18_S1B_S1C_jS1D_jS1E_S1E_jjS1G_bEUljE0_EEESZ_S10_S11_S18_S1C_S1E_T6_T7_T9_mT8_S1G_bDpT10_ENKUlT_T0_E_clISt17integral_constantIbLb1EES1T_IbLb0EEEEDaS1P_S1Q_EUlS1P_E_NS1_11comp_targetILNS1_3genE4ELNS1_11target_archE910ELNS1_3gpuE8ELNS1_3repE0EEENS1_30default_config_static_selectorELNS0_4arch9wavefront6targetE0EEEvS12_
	.p2align	8
	.type	_ZN7rocprim17ROCPRIM_400000_NS6detail17trampoline_kernelINS0_13select_configILj256ELj13ELNS0_17block_load_methodE3ELS4_3ELS4_3ELNS0_20block_scan_algorithmE0ELj4294967295EEENS1_25partition_config_selectorILNS1_17partition_subalgoE4EjNS0_10empty_typeEbEEZZNS1_14partition_implILS8_4ELb0ES6_15HIP_vector_typeIjLj2EENS0_17counting_iteratorIjlEEPS9_SG_NS0_5tupleIJPjSI_NS0_16reverse_iteratorISI_EEEEENSH_IJSG_SG_SG_EEES9_SI_JZNS1_25segmented_radix_sort_implINS0_14default_configELb0EPKiPiPKlPlN2at6native12_GLOBAL__N_18offset_tEEE10hipError_tPvRmT1_PNSt15iterator_traitsIS12_E10value_typeET2_T3_PNS13_IS18_E10value_typeET4_jRbjT5_S1E_jjP12ihipStream_tbEUljE_ZNSN_ISO_Lb0ESQ_SR_ST_SU_SY_EESZ_S10_S11_S12_S16_S17_S18_S1B_S1C_jS1D_jS1E_S1E_jjS1G_bEUljE0_EEESZ_S10_S11_S18_S1C_S1E_T6_T7_T9_mT8_S1G_bDpT10_ENKUlT_T0_E_clISt17integral_constantIbLb1EES1T_IbLb0EEEEDaS1P_S1Q_EUlS1P_E_NS1_11comp_targetILNS1_3genE4ELNS1_11target_archE910ELNS1_3gpuE8ELNS1_3repE0EEENS1_30default_config_static_selectorELNS0_4arch9wavefront6targetE0EEEvS12_,@function
_ZN7rocprim17ROCPRIM_400000_NS6detail17trampoline_kernelINS0_13select_configILj256ELj13ELNS0_17block_load_methodE3ELS4_3ELS4_3ELNS0_20block_scan_algorithmE0ELj4294967295EEENS1_25partition_config_selectorILNS1_17partition_subalgoE4EjNS0_10empty_typeEbEEZZNS1_14partition_implILS8_4ELb0ES6_15HIP_vector_typeIjLj2EENS0_17counting_iteratorIjlEEPS9_SG_NS0_5tupleIJPjSI_NS0_16reverse_iteratorISI_EEEEENSH_IJSG_SG_SG_EEES9_SI_JZNS1_25segmented_radix_sort_implINS0_14default_configELb0EPKiPiPKlPlN2at6native12_GLOBAL__N_18offset_tEEE10hipError_tPvRmT1_PNSt15iterator_traitsIS12_E10value_typeET2_T3_PNS13_IS18_E10value_typeET4_jRbjT5_S1E_jjP12ihipStream_tbEUljE_ZNSN_ISO_Lb0ESQ_SR_ST_SU_SY_EESZ_S10_S11_S12_S16_S17_S18_S1B_S1C_jS1D_jS1E_S1E_jjS1G_bEUljE0_EEESZ_S10_S11_S18_S1C_S1E_T6_T7_T9_mT8_S1G_bDpT10_ENKUlT_T0_E_clISt17integral_constantIbLb1EES1T_IbLb0EEEEDaS1P_S1Q_EUlS1P_E_NS1_11comp_targetILNS1_3genE4ELNS1_11target_archE910ELNS1_3gpuE8ELNS1_3repE0EEENS1_30default_config_static_selectorELNS0_4arch9wavefront6targetE0EEEvS12_: ; @_ZN7rocprim17ROCPRIM_400000_NS6detail17trampoline_kernelINS0_13select_configILj256ELj13ELNS0_17block_load_methodE3ELS4_3ELS4_3ELNS0_20block_scan_algorithmE0ELj4294967295EEENS1_25partition_config_selectorILNS1_17partition_subalgoE4EjNS0_10empty_typeEbEEZZNS1_14partition_implILS8_4ELb0ES6_15HIP_vector_typeIjLj2EENS0_17counting_iteratorIjlEEPS9_SG_NS0_5tupleIJPjSI_NS0_16reverse_iteratorISI_EEEEENSH_IJSG_SG_SG_EEES9_SI_JZNS1_25segmented_radix_sort_implINS0_14default_configELb0EPKiPiPKlPlN2at6native12_GLOBAL__N_18offset_tEEE10hipError_tPvRmT1_PNSt15iterator_traitsIS12_E10value_typeET2_T3_PNS13_IS18_E10value_typeET4_jRbjT5_S1E_jjP12ihipStream_tbEUljE_ZNSN_ISO_Lb0ESQ_SR_ST_SU_SY_EESZ_S10_S11_S12_S16_S17_S18_S1B_S1C_jS1D_jS1E_S1E_jjS1G_bEUljE0_EEESZ_S10_S11_S18_S1C_S1E_T6_T7_T9_mT8_S1G_bDpT10_ENKUlT_T0_E_clISt17integral_constantIbLb1EES1T_IbLb0EEEEDaS1P_S1Q_EUlS1P_E_NS1_11comp_targetILNS1_3genE4ELNS1_11target_archE910ELNS1_3gpuE8ELNS1_3repE0EEENS1_30default_config_static_selectorELNS0_4arch9wavefront6targetE0EEEvS12_
; %bb.0:
	.section	.rodata,"a",@progbits
	.p2align	6, 0x0
	.amdhsa_kernel _ZN7rocprim17ROCPRIM_400000_NS6detail17trampoline_kernelINS0_13select_configILj256ELj13ELNS0_17block_load_methodE3ELS4_3ELS4_3ELNS0_20block_scan_algorithmE0ELj4294967295EEENS1_25partition_config_selectorILNS1_17partition_subalgoE4EjNS0_10empty_typeEbEEZZNS1_14partition_implILS8_4ELb0ES6_15HIP_vector_typeIjLj2EENS0_17counting_iteratorIjlEEPS9_SG_NS0_5tupleIJPjSI_NS0_16reverse_iteratorISI_EEEEENSH_IJSG_SG_SG_EEES9_SI_JZNS1_25segmented_radix_sort_implINS0_14default_configELb0EPKiPiPKlPlN2at6native12_GLOBAL__N_18offset_tEEE10hipError_tPvRmT1_PNSt15iterator_traitsIS12_E10value_typeET2_T3_PNS13_IS18_E10value_typeET4_jRbjT5_S1E_jjP12ihipStream_tbEUljE_ZNSN_ISO_Lb0ESQ_SR_ST_SU_SY_EESZ_S10_S11_S12_S16_S17_S18_S1B_S1C_jS1D_jS1E_S1E_jjS1G_bEUljE0_EEESZ_S10_S11_S18_S1C_S1E_T6_T7_T9_mT8_S1G_bDpT10_ENKUlT_T0_E_clISt17integral_constantIbLb1EES1T_IbLb0EEEEDaS1P_S1Q_EUlS1P_E_NS1_11comp_targetILNS1_3genE4ELNS1_11target_archE910ELNS1_3gpuE8ELNS1_3repE0EEENS1_30default_config_static_selectorELNS0_4arch9wavefront6targetE0EEEvS12_
		.amdhsa_group_segment_fixed_size 0
		.amdhsa_private_segment_fixed_size 0
		.amdhsa_kernarg_size 176
		.amdhsa_user_sgpr_count 6
		.amdhsa_user_sgpr_private_segment_buffer 1
		.amdhsa_user_sgpr_dispatch_ptr 0
		.amdhsa_user_sgpr_queue_ptr 0
		.amdhsa_user_sgpr_kernarg_segment_ptr 1
		.amdhsa_user_sgpr_dispatch_id 0
		.amdhsa_user_sgpr_flat_scratch_init 0
		.amdhsa_user_sgpr_private_segment_size 0
		.amdhsa_wavefront_size32 1
		.amdhsa_uses_dynamic_stack 0
		.amdhsa_system_sgpr_private_segment_wavefront_offset 0
		.amdhsa_system_sgpr_workgroup_id_x 1
		.amdhsa_system_sgpr_workgroup_id_y 0
		.amdhsa_system_sgpr_workgroup_id_z 0
		.amdhsa_system_sgpr_workgroup_info 0
		.amdhsa_system_vgpr_workitem_id 0
		.amdhsa_next_free_vgpr 1
		.amdhsa_next_free_sgpr 1
		.amdhsa_reserve_vcc 0
		.amdhsa_reserve_flat_scratch 0
		.amdhsa_float_round_mode_32 0
		.amdhsa_float_round_mode_16_64 0
		.amdhsa_float_denorm_mode_32 3
		.amdhsa_float_denorm_mode_16_64 3
		.amdhsa_dx10_clamp 1
		.amdhsa_ieee_mode 1
		.amdhsa_fp16_overflow 0
		.amdhsa_workgroup_processor_mode 1
		.amdhsa_memory_ordered 1
		.amdhsa_forward_progress 1
		.amdhsa_shared_vgpr_count 0
		.amdhsa_exception_fp_ieee_invalid_op 0
		.amdhsa_exception_fp_denorm_src 0
		.amdhsa_exception_fp_ieee_div_zero 0
		.amdhsa_exception_fp_ieee_overflow 0
		.amdhsa_exception_fp_ieee_underflow 0
		.amdhsa_exception_fp_ieee_inexact 0
		.amdhsa_exception_int_div_zero 0
	.end_amdhsa_kernel
	.section	.text._ZN7rocprim17ROCPRIM_400000_NS6detail17trampoline_kernelINS0_13select_configILj256ELj13ELNS0_17block_load_methodE3ELS4_3ELS4_3ELNS0_20block_scan_algorithmE0ELj4294967295EEENS1_25partition_config_selectorILNS1_17partition_subalgoE4EjNS0_10empty_typeEbEEZZNS1_14partition_implILS8_4ELb0ES6_15HIP_vector_typeIjLj2EENS0_17counting_iteratorIjlEEPS9_SG_NS0_5tupleIJPjSI_NS0_16reverse_iteratorISI_EEEEENSH_IJSG_SG_SG_EEES9_SI_JZNS1_25segmented_radix_sort_implINS0_14default_configELb0EPKiPiPKlPlN2at6native12_GLOBAL__N_18offset_tEEE10hipError_tPvRmT1_PNSt15iterator_traitsIS12_E10value_typeET2_T3_PNS13_IS18_E10value_typeET4_jRbjT5_S1E_jjP12ihipStream_tbEUljE_ZNSN_ISO_Lb0ESQ_SR_ST_SU_SY_EESZ_S10_S11_S12_S16_S17_S18_S1B_S1C_jS1D_jS1E_S1E_jjS1G_bEUljE0_EEESZ_S10_S11_S18_S1C_S1E_T6_T7_T9_mT8_S1G_bDpT10_ENKUlT_T0_E_clISt17integral_constantIbLb1EES1T_IbLb0EEEEDaS1P_S1Q_EUlS1P_E_NS1_11comp_targetILNS1_3genE4ELNS1_11target_archE910ELNS1_3gpuE8ELNS1_3repE0EEENS1_30default_config_static_selectorELNS0_4arch9wavefront6targetE0EEEvS12_,"axG",@progbits,_ZN7rocprim17ROCPRIM_400000_NS6detail17trampoline_kernelINS0_13select_configILj256ELj13ELNS0_17block_load_methodE3ELS4_3ELS4_3ELNS0_20block_scan_algorithmE0ELj4294967295EEENS1_25partition_config_selectorILNS1_17partition_subalgoE4EjNS0_10empty_typeEbEEZZNS1_14partition_implILS8_4ELb0ES6_15HIP_vector_typeIjLj2EENS0_17counting_iteratorIjlEEPS9_SG_NS0_5tupleIJPjSI_NS0_16reverse_iteratorISI_EEEEENSH_IJSG_SG_SG_EEES9_SI_JZNS1_25segmented_radix_sort_implINS0_14default_configELb0EPKiPiPKlPlN2at6native12_GLOBAL__N_18offset_tEEE10hipError_tPvRmT1_PNSt15iterator_traitsIS12_E10value_typeET2_T3_PNS13_IS18_E10value_typeET4_jRbjT5_S1E_jjP12ihipStream_tbEUljE_ZNSN_ISO_Lb0ESQ_SR_ST_SU_SY_EESZ_S10_S11_S12_S16_S17_S18_S1B_S1C_jS1D_jS1E_S1E_jjS1G_bEUljE0_EEESZ_S10_S11_S18_S1C_S1E_T6_T7_T9_mT8_S1G_bDpT10_ENKUlT_T0_E_clISt17integral_constantIbLb1EES1T_IbLb0EEEEDaS1P_S1Q_EUlS1P_E_NS1_11comp_targetILNS1_3genE4ELNS1_11target_archE910ELNS1_3gpuE8ELNS1_3repE0EEENS1_30default_config_static_selectorELNS0_4arch9wavefront6targetE0EEEvS12_,comdat
.Lfunc_end549:
	.size	_ZN7rocprim17ROCPRIM_400000_NS6detail17trampoline_kernelINS0_13select_configILj256ELj13ELNS0_17block_load_methodE3ELS4_3ELS4_3ELNS0_20block_scan_algorithmE0ELj4294967295EEENS1_25partition_config_selectorILNS1_17partition_subalgoE4EjNS0_10empty_typeEbEEZZNS1_14partition_implILS8_4ELb0ES6_15HIP_vector_typeIjLj2EENS0_17counting_iteratorIjlEEPS9_SG_NS0_5tupleIJPjSI_NS0_16reverse_iteratorISI_EEEEENSH_IJSG_SG_SG_EEES9_SI_JZNS1_25segmented_radix_sort_implINS0_14default_configELb0EPKiPiPKlPlN2at6native12_GLOBAL__N_18offset_tEEE10hipError_tPvRmT1_PNSt15iterator_traitsIS12_E10value_typeET2_T3_PNS13_IS18_E10value_typeET4_jRbjT5_S1E_jjP12ihipStream_tbEUljE_ZNSN_ISO_Lb0ESQ_SR_ST_SU_SY_EESZ_S10_S11_S12_S16_S17_S18_S1B_S1C_jS1D_jS1E_S1E_jjS1G_bEUljE0_EEESZ_S10_S11_S18_S1C_S1E_T6_T7_T9_mT8_S1G_bDpT10_ENKUlT_T0_E_clISt17integral_constantIbLb1EES1T_IbLb0EEEEDaS1P_S1Q_EUlS1P_E_NS1_11comp_targetILNS1_3genE4ELNS1_11target_archE910ELNS1_3gpuE8ELNS1_3repE0EEENS1_30default_config_static_selectorELNS0_4arch9wavefront6targetE0EEEvS12_, .Lfunc_end549-_ZN7rocprim17ROCPRIM_400000_NS6detail17trampoline_kernelINS0_13select_configILj256ELj13ELNS0_17block_load_methodE3ELS4_3ELS4_3ELNS0_20block_scan_algorithmE0ELj4294967295EEENS1_25partition_config_selectorILNS1_17partition_subalgoE4EjNS0_10empty_typeEbEEZZNS1_14partition_implILS8_4ELb0ES6_15HIP_vector_typeIjLj2EENS0_17counting_iteratorIjlEEPS9_SG_NS0_5tupleIJPjSI_NS0_16reverse_iteratorISI_EEEEENSH_IJSG_SG_SG_EEES9_SI_JZNS1_25segmented_radix_sort_implINS0_14default_configELb0EPKiPiPKlPlN2at6native12_GLOBAL__N_18offset_tEEE10hipError_tPvRmT1_PNSt15iterator_traitsIS12_E10value_typeET2_T3_PNS13_IS18_E10value_typeET4_jRbjT5_S1E_jjP12ihipStream_tbEUljE_ZNSN_ISO_Lb0ESQ_SR_ST_SU_SY_EESZ_S10_S11_S12_S16_S17_S18_S1B_S1C_jS1D_jS1E_S1E_jjS1G_bEUljE0_EEESZ_S10_S11_S18_S1C_S1E_T6_T7_T9_mT8_S1G_bDpT10_ENKUlT_T0_E_clISt17integral_constantIbLb1EES1T_IbLb0EEEEDaS1P_S1Q_EUlS1P_E_NS1_11comp_targetILNS1_3genE4ELNS1_11target_archE910ELNS1_3gpuE8ELNS1_3repE0EEENS1_30default_config_static_selectorELNS0_4arch9wavefront6targetE0EEEvS12_
                                        ; -- End function
	.set _ZN7rocprim17ROCPRIM_400000_NS6detail17trampoline_kernelINS0_13select_configILj256ELj13ELNS0_17block_load_methodE3ELS4_3ELS4_3ELNS0_20block_scan_algorithmE0ELj4294967295EEENS1_25partition_config_selectorILNS1_17partition_subalgoE4EjNS0_10empty_typeEbEEZZNS1_14partition_implILS8_4ELb0ES6_15HIP_vector_typeIjLj2EENS0_17counting_iteratorIjlEEPS9_SG_NS0_5tupleIJPjSI_NS0_16reverse_iteratorISI_EEEEENSH_IJSG_SG_SG_EEES9_SI_JZNS1_25segmented_radix_sort_implINS0_14default_configELb0EPKiPiPKlPlN2at6native12_GLOBAL__N_18offset_tEEE10hipError_tPvRmT1_PNSt15iterator_traitsIS12_E10value_typeET2_T3_PNS13_IS18_E10value_typeET4_jRbjT5_S1E_jjP12ihipStream_tbEUljE_ZNSN_ISO_Lb0ESQ_SR_ST_SU_SY_EESZ_S10_S11_S12_S16_S17_S18_S1B_S1C_jS1D_jS1E_S1E_jjS1G_bEUljE0_EEESZ_S10_S11_S18_S1C_S1E_T6_T7_T9_mT8_S1G_bDpT10_ENKUlT_T0_E_clISt17integral_constantIbLb1EES1T_IbLb0EEEEDaS1P_S1Q_EUlS1P_E_NS1_11comp_targetILNS1_3genE4ELNS1_11target_archE910ELNS1_3gpuE8ELNS1_3repE0EEENS1_30default_config_static_selectorELNS0_4arch9wavefront6targetE0EEEvS12_.num_vgpr, 0
	.set _ZN7rocprim17ROCPRIM_400000_NS6detail17trampoline_kernelINS0_13select_configILj256ELj13ELNS0_17block_load_methodE3ELS4_3ELS4_3ELNS0_20block_scan_algorithmE0ELj4294967295EEENS1_25partition_config_selectorILNS1_17partition_subalgoE4EjNS0_10empty_typeEbEEZZNS1_14partition_implILS8_4ELb0ES6_15HIP_vector_typeIjLj2EENS0_17counting_iteratorIjlEEPS9_SG_NS0_5tupleIJPjSI_NS0_16reverse_iteratorISI_EEEEENSH_IJSG_SG_SG_EEES9_SI_JZNS1_25segmented_radix_sort_implINS0_14default_configELb0EPKiPiPKlPlN2at6native12_GLOBAL__N_18offset_tEEE10hipError_tPvRmT1_PNSt15iterator_traitsIS12_E10value_typeET2_T3_PNS13_IS18_E10value_typeET4_jRbjT5_S1E_jjP12ihipStream_tbEUljE_ZNSN_ISO_Lb0ESQ_SR_ST_SU_SY_EESZ_S10_S11_S12_S16_S17_S18_S1B_S1C_jS1D_jS1E_S1E_jjS1G_bEUljE0_EEESZ_S10_S11_S18_S1C_S1E_T6_T7_T9_mT8_S1G_bDpT10_ENKUlT_T0_E_clISt17integral_constantIbLb1EES1T_IbLb0EEEEDaS1P_S1Q_EUlS1P_E_NS1_11comp_targetILNS1_3genE4ELNS1_11target_archE910ELNS1_3gpuE8ELNS1_3repE0EEENS1_30default_config_static_selectorELNS0_4arch9wavefront6targetE0EEEvS12_.num_agpr, 0
	.set _ZN7rocprim17ROCPRIM_400000_NS6detail17trampoline_kernelINS0_13select_configILj256ELj13ELNS0_17block_load_methodE3ELS4_3ELS4_3ELNS0_20block_scan_algorithmE0ELj4294967295EEENS1_25partition_config_selectorILNS1_17partition_subalgoE4EjNS0_10empty_typeEbEEZZNS1_14partition_implILS8_4ELb0ES6_15HIP_vector_typeIjLj2EENS0_17counting_iteratorIjlEEPS9_SG_NS0_5tupleIJPjSI_NS0_16reverse_iteratorISI_EEEEENSH_IJSG_SG_SG_EEES9_SI_JZNS1_25segmented_radix_sort_implINS0_14default_configELb0EPKiPiPKlPlN2at6native12_GLOBAL__N_18offset_tEEE10hipError_tPvRmT1_PNSt15iterator_traitsIS12_E10value_typeET2_T3_PNS13_IS18_E10value_typeET4_jRbjT5_S1E_jjP12ihipStream_tbEUljE_ZNSN_ISO_Lb0ESQ_SR_ST_SU_SY_EESZ_S10_S11_S12_S16_S17_S18_S1B_S1C_jS1D_jS1E_S1E_jjS1G_bEUljE0_EEESZ_S10_S11_S18_S1C_S1E_T6_T7_T9_mT8_S1G_bDpT10_ENKUlT_T0_E_clISt17integral_constantIbLb1EES1T_IbLb0EEEEDaS1P_S1Q_EUlS1P_E_NS1_11comp_targetILNS1_3genE4ELNS1_11target_archE910ELNS1_3gpuE8ELNS1_3repE0EEENS1_30default_config_static_selectorELNS0_4arch9wavefront6targetE0EEEvS12_.numbered_sgpr, 0
	.set _ZN7rocprim17ROCPRIM_400000_NS6detail17trampoline_kernelINS0_13select_configILj256ELj13ELNS0_17block_load_methodE3ELS4_3ELS4_3ELNS0_20block_scan_algorithmE0ELj4294967295EEENS1_25partition_config_selectorILNS1_17partition_subalgoE4EjNS0_10empty_typeEbEEZZNS1_14partition_implILS8_4ELb0ES6_15HIP_vector_typeIjLj2EENS0_17counting_iteratorIjlEEPS9_SG_NS0_5tupleIJPjSI_NS0_16reverse_iteratorISI_EEEEENSH_IJSG_SG_SG_EEES9_SI_JZNS1_25segmented_radix_sort_implINS0_14default_configELb0EPKiPiPKlPlN2at6native12_GLOBAL__N_18offset_tEEE10hipError_tPvRmT1_PNSt15iterator_traitsIS12_E10value_typeET2_T3_PNS13_IS18_E10value_typeET4_jRbjT5_S1E_jjP12ihipStream_tbEUljE_ZNSN_ISO_Lb0ESQ_SR_ST_SU_SY_EESZ_S10_S11_S12_S16_S17_S18_S1B_S1C_jS1D_jS1E_S1E_jjS1G_bEUljE0_EEESZ_S10_S11_S18_S1C_S1E_T6_T7_T9_mT8_S1G_bDpT10_ENKUlT_T0_E_clISt17integral_constantIbLb1EES1T_IbLb0EEEEDaS1P_S1Q_EUlS1P_E_NS1_11comp_targetILNS1_3genE4ELNS1_11target_archE910ELNS1_3gpuE8ELNS1_3repE0EEENS1_30default_config_static_selectorELNS0_4arch9wavefront6targetE0EEEvS12_.num_named_barrier, 0
	.set _ZN7rocprim17ROCPRIM_400000_NS6detail17trampoline_kernelINS0_13select_configILj256ELj13ELNS0_17block_load_methodE3ELS4_3ELS4_3ELNS0_20block_scan_algorithmE0ELj4294967295EEENS1_25partition_config_selectorILNS1_17partition_subalgoE4EjNS0_10empty_typeEbEEZZNS1_14partition_implILS8_4ELb0ES6_15HIP_vector_typeIjLj2EENS0_17counting_iteratorIjlEEPS9_SG_NS0_5tupleIJPjSI_NS0_16reverse_iteratorISI_EEEEENSH_IJSG_SG_SG_EEES9_SI_JZNS1_25segmented_radix_sort_implINS0_14default_configELb0EPKiPiPKlPlN2at6native12_GLOBAL__N_18offset_tEEE10hipError_tPvRmT1_PNSt15iterator_traitsIS12_E10value_typeET2_T3_PNS13_IS18_E10value_typeET4_jRbjT5_S1E_jjP12ihipStream_tbEUljE_ZNSN_ISO_Lb0ESQ_SR_ST_SU_SY_EESZ_S10_S11_S12_S16_S17_S18_S1B_S1C_jS1D_jS1E_S1E_jjS1G_bEUljE0_EEESZ_S10_S11_S18_S1C_S1E_T6_T7_T9_mT8_S1G_bDpT10_ENKUlT_T0_E_clISt17integral_constantIbLb1EES1T_IbLb0EEEEDaS1P_S1Q_EUlS1P_E_NS1_11comp_targetILNS1_3genE4ELNS1_11target_archE910ELNS1_3gpuE8ELNS1_3repE0EEENS1_30default_config_static_selectorELNS0_4arch9wavefront6targetE0EEEvS12_.private_seg_size, 0
	.set _ZN7rocprim17ROCPRIM_400000_NS6detail17trampoline_kernelINS0_13select_configILj256ELj13ELNS0_17block_load_methodE3ELS4_3ELS4_3ELNS0_20block_scan_algorithmE0ELj4294967295EEENS1_25partition_config_selectorILNS1_17partition_subalgoE4EjNS0_10empty_typeEbEEZZNS1_14partition_implILS8_4ELb0ES6_15HIP_vector_typeIjLj2EENS0_17counting_iteratorIjlEEPS9_SG_NS0_5tupleIJPjSI_NS0_16reverse_iteratorISI_EEEEENSH_IJSG_SG_SG_EEES9_SI_JZNS1_25segmented_radix_sort_implINS0_14default_configELb0EPKiPiPKlPlN2at6native12_GLOBAL__N_18offset_tEEE10hipError_tPvRmT1_PNSt15iterator_traitsIS12_E10value_typeET2_T3_PNS13_IS18_E10value_typeET4_jRbjT5_S1E_jjP12ihipStream_tbEUljE_ZNSN_ISO_Lb0ESQ_SR_ST_SU_SY_EESZ_S10_S11_S12_S16_S17_S18_S1B_S1C_jS1D_jS1E_S1E_jjS1G_bEUljE0_EEESZ_S10_S11_S18_S1C_S1E_T6_T7_T9_mT8_S1G_bDpT10_ENKUlT_T0_E_clISt17integral_constantIbLb1EES1T_IbLb0EEEEDaS1P_S1Q_EUlS1P_E_NS1_11comp_targetILNS1_3genE4ELNS1_11target_archE910ELNS1_3gpuE8ELNS1_3repE0EEENS1_30default_config_static_selectorELNS0_4arch9wavefront6targetE0EEEvS12_.uses_vcc, 0
	.set _ZN7rocprim17ROCPRIM_400000_NS6detail17trampoline_kernelINS0_13select_configILj256ELj13ELNS0_17block_load_methodE3ELS4_3ELS4_3ELNS0_20block_scan_algorithmE0ELj4294967295EEENS1_25partition_config_selectorILNS1_17partition_subalgoE4EjNS0_10empty_typeEbEEZZNS1_14partition_implILS8_4ELb0ES6_15HIP_vector_typeIjLj2EENS0_17counting_iteratorIjlEEPS9_SG_NS0_5tupleIJPjSI_NS0_16reverse_iteratorISI_EEEEENSH_IJSG_SG_SG_EEES9_SI_JZNS1_25segmented_radix_sort_implINS0_14default_configELb0EPKiPiPKlPlN2at6native12_GLOBAL__N_18offset_tEEE10hipError_tPvRmT1_PNSt15iterator_traitsIS12_E10value_typeET2_T3_PNS13_IS18_E10value_typeET4_jRbjT5_S1E_jjP12ihipStream_tbEUljE_ZNSN_ISO_Lb0ESQ_SR_ST_SU_SY_EESZ_S10_S11_S12_S16_S17_S18_S1B_S1C_jS1D_jS1E_S1E_jjS1G_bEUljE0_EEESZ_S10_S11_S18_S1C_S1E_T6_T7_T9_mT8_S1G_bDpT10_ENKUlT_T0_E_clISt17integral_constantIbLb1EES1T_IbLb0EEEEDaS1P_S1Q_EUlS1P_E_NS1_11comp_targetILNS1_3genE4ELNS1_11target_archE910ELNS1_3gpuE8ELNS1_3repE0EEENS1_30default_config_static_selectorELNS0_4arch9wavefront6targetE0EEEvS12_.uses_flat_scratch, 0
	.set _ZN7rocprim17ROCPRIM_400000_NS6detail17trampoline_kernelINS0_13select_configILj256ELj13ELNS0_17block_load_methodE3ELS4_3ELS4_3ELNS0_20block_scan_algorithmE0ELj4294967295EEENS1_25partition_config_selectorILNS1_17partition_subalgoE4EjNS0_10empty_typeEbEEZZNS1_14partition_implILS8_4ELb0ES6_15HIP_vector_typeIjLj2EENS0_17counting_iteratorIjlEEPS9_SG_NS0_5tupleIJPjSI_NS0_16reverse_iteratorISI_EEEEENSH_IJSG_SG_SG_EEES9_SI_JZNS1_25segmented_radix_sort_implINS0_14default_configELb0EPKiPiPKlPlN2at6native12_GLOBAL__N_18offset_tEEE10hipError_tPvRmT1_PNSt15iterator_traitsIS12_E10value_typeET2_T3_PNS13_IS18_E10value_typeET4_jRbjT5_S1E_jjP12ihipStream_tbEUljE_ZNSN_ISO_Lb0ESQ_SR_ST_SU_SY_EESZ_S10_S11_S12_S16_S17_S18_S1B_S1C_jS1D_jS1E_S1E_jjS1G_bEUljE0_EEESZ_S10_S11_S18_S1C_S1E_T6_T7_T9_mT8_S1G_bDpT10_ENKUlT_T0_E_clISt17integral_constantIbLb1EES1T_IbLb0EEEEDaS1P_S1Q_EUlS1P_E_NS1_11comp_targetILNS1_3genE4ELNS1_11target_archE910ELNS1_3gpuE8ELNS1_3repE0EEENS1_30default_config_static_selectorELNS0_4arch9wavefront6targetE0EEEvS12_.has_dyn_sized_stack, 0
	.set _ZN7rocprim17ROCPRIM_400000_NS6detail17trampoline_kernelINS0_13select_configILj256ELj13ELNS0_17block_load_methodE3ELS4_3ELS4_3ELNS0_20block_scan_algorithmE0ELj4294967295EEENS1_25partition_config_selectorILNS1_17partition_subalgoE4EjNS0_10empty_typeEbEEZZNS1_14partition_implILS8_4ELb0ES6_15HIP_vector_typeIjLj2EENS0_17counting_iteratorIjlEEPS9_SG_NS0_5tupleIJPjSI_NS0_16reverse_iteratorISI_EEEEENSH_IJSG_SG_SG_EEES9_SI_JZNS1_25segmented_radix_sort_implINS0_14default_configELb0EPKiPiPKlPlN2at6native12_GLOBAL__N_18offset_tEEE10hipError_tPvRmT1_PNSt15iterator_traitsIS12_E10value_typeET2_T3_PNS13_IS18_E10value_typeET4_jRbjT5_S1E_jjP12ihipStream_tbEUljE_ZNSN_ISO_Lb0ESQ_SR_ST_SU_SY_EESZ_S10_S11_S12_S16_S17_S18_S1B_S1C_jS1D_jS1E_S1E_jjS1G_bEUljE0_EEESZ_S10_S11_S18_S1C_S1E_T6_T7_T9_mT8_S1G_bDpT10_ENKUlT_T0_E_clISt17integral_constantIbLb1EES1T_IbLb0EEEEDaS1P_S1Q_EUlS1P_E_NS1_11comp_targetILNS1_3genE4ELNS1_11target_archE910ELNS1_3gpuE8ELNS1_3repE0EEENS1_30default_config_static_selectorELNS0_4arch9wavefront6targetE0EEEvS12_.has_recursion, 0
	.set _ZN7rocprim17ROCPRIM_400000_NS6detail17trampoline_kernelINS0_13select_configILj256ELj13ELNS0_17block_load_methodE3ELS4_3ELS4_3ELNS0_20block_scan_algorithmE0ELj4294967295EEENS1_25partition_config_selectorILNS1_17partition_subalgoE4EjNS0_10empty_typeEbEEZZNS1_14partition_implILS8_4ELb0ES6_15HIP_vector_typeIjLj2EENS0_17counting_iteratorIjlEEPS9_SG_NS0_5tupleIJPjSI_NS0_16reverse_iteratorISI_EEEEENSH_IJSG_SG_SG_EEES9_SI_JZNS1_25segmented_radix_sort_implINS0_14default_configELb0EPKiPiPKlPlN2at6native12_GLOBAL__N_18offset_tEEE10hipError_tPvRmT1_PNSt15iterator_traitsIS12_E10value_typeET2_T3_PNS13_IS18_E10value_typeET4_jRbjT5_S1E_jjP12ihipStream_tbEUljE_ZNSN_ISO_Lb0ESQ_SR_ST_SU_SY_EESZ_S10_S11_S12_S16_S17_S18_S1B_S1C_jS1D_jS1E_S1E_jjS1G_bEUljE0_EEESZ_S10_S11_S18_S1C_S1E_T6_T7_T9_mT8_S1G_bDpT10_ENKUlT_T0_E_clISt17integral_constantIbLb1EES1T_IbLb0EEEEDaS1P_S1Q_EUlS1P_E_NS1_11comp_targetILNS1_3genE4ELNS1_11target_archE910ELNS1_3gpuE8ELNS1_3repE0EEENS1_30default_config_static_selectorELNS0_4arch9wavefront6targetE0EEEvS12_.has_indirect_call, 0
	.section	.AMDGPU.csdata,"",@progbits
; Kernel info:
; codeLenInByte = 0
; TotalNumSgprs: 0
; NumVgprs: 0
; ScratchSize: 0
; MemoryBound: 0
; FloatMode: 240
; IeeeMode: 1
; LDSByteSize: 0 bytes/workgroup (compile time only)
; SGPRBlocks: 0
; VGPRBlocks: 0
; NumSGPRsForWavesPerEU: 1
; NumVGPRsForWavesPerEU: 1
; Occupancy: 16
; WaveLimiterHint : 0
; COMPUTE_PGM_RSRC2:SCRATCH_EN: 0
; COMPUTE_PGM_RSRC2:USER_SGPR: 6
; COMPUTE_PGM_RSRC2:TRAP_HANDLER: 0
; COMPUTE_PGM_RSRC2:TGID_X_EN: 1
; COMPUTE_PGM_RSRC2:TGID_Y_EN: 0
; COMPUTE_PGM_RSRC2:TGID_Z_EN: 0
; COMPUTE_PGM_RSRC2:TIDIG_COMP_CNT: 0
	.section	.text._ZN7rocprim17ROCPRIM_400000_NS6detail17trampoline_kernelINS0_13select_configILj256ELj13ELNS0_17block_load_methodE3ELS4_3ELS4_3ELNS0_20block_scan_algorithmE0ELj4294967295EEENS1_25partition_config_selectorILNS1_17partition_subalgoE4EjNS0_10empty_typeEbEEZZNS1_14partition_implILS8_4ELb0ES6_15HIP_vector_typeIjLj2EENS0_17counting_iteratorIjlEEPS9_SG_NS0_5tupleIJPjSI_NS0_16reverse_iteratorISI_EEEEENSH_IJSG_SG_SG_EEES9_SI_JZNS1_25segmented_radix_sort_implINS0_14default_configELb0EPKiPiPKlPlN2at6native12_GLOBAL__N_18offset_tEEE10hipError_tPvRmT1_PNSt15iterator_traitsIS12_E10value_typeET2_T3_PNS13_IS18_E10value_typeET4_jRbjT5_S1E_jjP12ihipStream_tbEUljE_ZNSN_ISO_Lb0ESQ_SR_ST_SU_SY_EESZ_S10_S11_S12_S16_S17_S18_S1B_S1C_jS1D_jS1E_S1E_jjS1G_bEUljE0_EEESZ_S10_S11_S18_S1C_S1E_T6_T7_T9_mT8_S1G_bDpT10_ENKUlT_T0_E_clISt17integral_constantIbLb1EES1T_IbLb0EEEEDaS1P_S1Q_EUlS1P_E_NS1_11comp_targetILNS1_3genE3ELNS1_11target_archE908ELNS1_3gpuE7ELNS1_3repE0EEENS1_30default_config_static_selectorELNS0_4arch9wavefront6targetE0EEEvS12_,"axG",@progbits,_ZN7rocprim17ROCPRIM_400000_NS6detail17trampoline_kernelINS0_13select_configILj256ELj13ELNS0_17block_load_methodE3ELS4_3ELS4_3ELNS0_20block_scan_algorithmE0ELj4294967295EEENS1_25partition_config_selectorILNS1_17partition_subalgoE4EjNS0_10empty_typeEbEEZZNS1_14partition_implILS8_4ELb0ES6_15HIP_vector_typeIjLj2EENS0_17counting_iteratorIjlEEPS9_SG_NS0_5tupleIJPjSI_NS0_16reverse_iteratorISI_EEEEENSH_IJSG_SG_SG_EEES9_SI_JZNS1_25segmented_radix_sort_implINS0_14default_configELb0EPKiPiPKlPlN2at6native12_GLOBAL__N_18offset_tEEE10hipError_tPvRmT1_PNSt15iterator_traitsIS12_E10value_typeET2_T3_PNS13_IS18_E10value_typeET4_jRbjT5_S1E_jjP12ihipStream_tbEUljE_ZNSN_ISO_Lb0ESQ_SR_ST_SU_SY_EESZ_S10_S11_S12_S16_S17_S18_S1B_S1C_jS1D_jS1E_S1E_jjS1G_bEUljE0_EEESZ_S10_S11_S18_S1C_S1E_T6_T7_T9_mT8_S1G_bDpT10_ENKUlT_T0_E_clISt17integral_constantIbLb1EES1T_IbLb0EEEEDaS1P_S1Q_EUlS1P_E_NS1_11comp_targetILNS1_3genE3ELNS1_11target_archE908ELNS1_3gpuE7ELNS1_3repE0EEENS1_30default_config_static_selectorELNS0_4arch9wavefront6targetE0EEEvS12_,comdat
	.globl	_ZN7rocprim17ROCPRIM_400000_NS6detail17trampoline_kernelINS0_13select_configILj256ELj13ELNS0_17block_load_methodE3ELS4_3ELS4_3ELNS0_20block_scan_algorithmE0ELj4294967295EEENS1_25partition_config_selectorILNS1_17partition_subalgoE4EjNS0_10empty_typeEbEEZZNS1_14partition_implILS8_4ELb0ES6_15HIP_vector_typeIjLj2EENS0_17counting_iteratorIjlEEPS9_SG_NS0_5tupleIJPjSI_NS0_16reverse_iteratorISI_EEEEENSH_IJSG_SG_SG_EEES9_SI_JZNS1_25segmented_radix_sort_implINS0_14default_configELb0EPKiPiPKlPlN2at6native12_GLOBAL__N_18offset_tEEE10hipError_tPvRmT1_PNSt15iterator_traitsIS12_E10value_typeET2_T3_PNS13_IS18_E10value_typeET4_jRbjT5_S1E_jjP12ihipStream_tbEUljE_ZNSN_ISO_Lb0ESQ_SR_ST_SU_SY_EESZ_S10_S11_S12_S16_S17_S18_S1B_S1C_jS1D_jS1E_S1E_jjS1G_bEUljE0_EEESZ_S10_S11_S18_S1C_S1E_T6_T7_T9_mT8_S1G_bDpT10_ENKUlT_T0_E_clISt17integral_constantIbLb1EES1T_IbLb0EEEEDaS1P_S1Q_EUlS1P_E_NS1_11comp_targetILNS1_3genE3ELNS1_11target_archE908ELNS1_3gpuE7ELNS1_3repE0EEENS1_30default_config_static_selectorELNS0_4arch9wavefront6targetE0EEEvS12_ ; -- Begin function _ZN7rocprim17ROCPRIM_400000_NS6detail17trampoline_kernelINS0_13select_configILj256ELj13ELNS0_17block_load_methodE3ELS4_3ELS4_3ELNS0_20block_scan_algorithmE0ELj4294967295EEENS1_25partition_config_selectorILNS1_17partition_subalgoE4EjNS0_10empty_typeEbEEZZNS1_14partition_implILS8_4ELb0ES6_15HIP_vector_typeIjLj2EENS0_17counting_iteratorIjlEEPS9_SG_NS0_5tupleIJPjSI_NS0_16reverse_iteratorISI_EEEEENSH_IJSG_SG_SG_EEES9_SI_JZNS1_25segmented_radix_sort_implINS0_14default_configELb0EPKiPiPKlPlN2at6native12_GLOBAL__N_18offset_tEEE10hipError_tPvRmT1_PNSt15iterator_traitsIS12_E10value_typeET2_T3_PNS13_IS18_E10value_typeET4_jRbjT5_S1E_jjP12ihipStream_tbEUljE_ZNSN_ISO_Lb0ESQ_SR_ST_SU_SY_EESZ_S10_S11_S12_S16_S17_S18_S1B_S1C_jS1D_jS1E_S1E_jjS1G_bEUljE0_EEESZ_S10_S11_S18_S1C_S1E_T6_T7_T9_mT8_S1G_bDpT10_ENKUlT_T0_E_clISt17integral_constantIbLb1EES1T_IbLb0EEEEDaS1P_S1Q_EUlS1P_E_NS1_11comp_targetILNS1_3genE3ELNS1_11target_archE908ELNS1_3gpuE7ELNS1_3repE0EEENS1_30default_config_static_selectorELNS0_4arch9wavefront6targetE0EEEvS12_
	.p2align	8
	.type	_ZN7rocprim17ROCPRIM_400000_NS6detail17trampoline_kernelINS0_13select_configILj256ELj13ELNS0_17block_load_methodE3ELS4_3ELS4_3ELNS0_20block_scan_algorithmE0ELj4294967295EEENS1_25partition_config_selectorILNS1_17partition_subalgoE4EjNS0_10empty_typeEbEEZZNS1_14partition_implILS8_4ELb0ES6_15HIP_vector_typeIjLj2EENS0_17counting_iteratorIjlEEPS9_SG_NS0_5tupleIJPjSI_NS0_16reverse_iteratorISI_EEEEENSH_IJSG_SG_SG_EEES9_SI_JZNS1_25segmented_radix_sort_implINS0_14default_configELb0EPKiPiPKlPlN2at6native12_GLOBAL__N_18offset_tEEE10hipError_tPvRmT1_PNSt15iterator_traitsIS12_E10value_typeET2_T3_PNS13_IS18_E10value_typeET4_jRbjT5_S1E_jjP12ihipStream_tbEUljE_ZNSN_ISO_Lb0ESQ_SR_ST_SU_SY_EESZ_S10_S11_S12_S16_S17_S18_S1B_S1C_jS1D_jS1E_S1E_jjS1G_bEUljE0_EEESZ_S10_S11_S18_S1C_S1E_T6_T7_T9_mT8_S1G_bDpT10_ENKUlT_T0_E_clISt17integral_constantIbLb1EES1T_IbLb0EEEEDaS1P_S1Q_EUlS1P_E_NS1_11comp_targetILNS1_3genE3ELNS1_11target_archE908ELNS1_3gpuE7ELNS1_3repE0EEENS1_30default_config_static_selectorELNS0_4arch9wavefront6targetE0EEEvS12_,@function
_ZN7rocprim17ROCPRIM_400000_NS6detail17trampoline_kernelINS0_13select_configILj256ELj13ELNS0_17block_load_methodE3ELS4_3ELS4_3ELNS0_20block_scan_algorithmE0ELj4294967295EEENS1_25partition_config_selectorILNS1_17partition_subalgoE4EjNS0_10empty_typeEbEEZZNS1_14partition_implILS8_4ELb0ES6_15HIP_vector_typeIjLj2EENS0_17counting_iteratorIjlEEPS9_SG_NS0_5tupleIJPjSI_NS0_16reverse_iteratorISI_EEEEENSH_IJSG_SG_SG_EEES9_SI_JZNS1_25segmented_radix_sort_implINS0_14default_configELb0EPKiPiPKlPlN2at6native12_GLOBAL__N_18offset_tEEE10hipError_tPvRmT1_PNSt15iterator_traitsIS12_E10value_typeET2_T3_PNS13_IS18_E10value_typeET4_jRbjT5_S1E_jjP12ihipStream_tbEUljE_ZNSN_ISO_Lb0ESQ_SR_ST_SU_SY_EESZ_S10_S11_S12_S16_S17_S18_S1B_S1C_jS1D_jS1E_S1E_jjS1G_bEUljE0_EEESZ_S10_S11_S18_S1C_S1E_T6_T7_T9_mT8_S1G_bDpT10_ENKUlT_T0_E_clISt17integral_constantIbLb1EES1T_IbLb0EEEEDaS1P_S1Q_EUlS1P_E_NS1_11comp_targetILNS1_3genE3ELNS1_11target_archE908ELNS1_3gpuE7ELNS1_3repE0EEENS1_30default_config_static_selectorELNS0_4arch9wavefront6targetE0EEEvS12_: ; @_ZN7rocprim17ROCPRIM_400000_NS6detail17trampoline_kernelINS0_13select_configILj256ELj13ELNS0_17block_load_methodE3ELS4_3ELS4_3ELNS0_20block_scan_algorithmE0ELj4294967295EEENS1_25partition_config_selectorILNS1_17partition_subalgoE4EjNS0_10empty_typeEbEEZZNS1_14partition_implILS8_4ELb0ES6_15HIP_vector_typeIjLj2EENS0_17counting_iteratorIjlEEPS9_SG_NS0_5tupleIJPjSI_NS0_16reverse_iteratorISI_EEEEENSH_IJSG_SG_SG_EEES9_SI_JZNS1_25segmented_radix_sort_implINS0_14default_configELb0EPKiPiPKlPlN2at6native12_GLOBAL__N_18offset_tEEE10hipError_tPvRmT1_PNSt15iterator_traitsIS12_E10value_typeET2_T3_PNS13_IS18_E10value_typeET4_jRbjT5_S1E_jjP12ihipStream_tbEUljE_ZNSN_ISO_Lb0ESQ_SR_ST_SU_SY_EESZ_S10_S11_S12_S16_S17_S18_S1B_S1C_jS1D_jS1E_S1E_jjS1G_bEUljE0_EEESZ_S10_S11_S18_S1C_S1E_T6_T7_T9_mT8_S1G_bDpT10_ENKUlT_T0_E_clISt17integral_constantIbLb1EES1T_IbLb0EEEEDaS1P_S1Q_EUlS1P_E_NS1_11comp_targetILNS1_3genE3ELNS1_11target_archE908ELNS1_3gpuE7ELNS1_3repE0EEENS1_30default_config_static_selectorELNS0_4arch9wavefront6targetE0EEEvS12_
; %bb.0:
	.section	.rodata,"a",@progbits
	.p2align	6, 0x0
	.amdhsa_kernel _ZN7rocprim17ROCPRIM_400000_NS6detail17trampoline_kernelINS0_13select_configILj256ELj13ELNS0_17block_load_methodE3ELS4_3ELS4_3ELNS0_20block_scan_algorithmE0ELj4294967295EEENS1_25partition_config_selectorILNS1_17partition_subalgoE4EjNS0_10empty_typeEbEEZZNS1_14partition_implILS8_4ELb0ES6_15HIP_vector_typeIjLj2EENS0_17counting_iteratorIjlEEPS9_SG_NS0_5tupleIJPjSI_NS0_16reverse_iteratorISI_EEEEENSH_IJSG_SG_SG_EEES9_SI_JZNS1_25segmented_radix_sort_implINS0_14default_configELb0EPKiPiPKlPlN2at6native12_GLOBAL__N_18offset_tEEE10hipError_tPvRmT1_PNSt15iterator_traitsIS12_E10value_typeET2_T3_PNS13_IS18_E10value_typeET4_jRbjT5_S1E_jjP12ihipStream_tbEUljE_ZNSN_ISO_Lb0ESQ_SR_ST_SU_SY_EESZ_S10_S11_S12_S16_S17_S18_S1B_S1C_jS1D_jS1E_S1E_jjS1G_bEUljE0_EEESZ_S10_S11_S18_S1C_S1E_T6_T7_T9_mT8_S1G_bDpT10_ENKUlT_T0_E_clISt17integral_constantIbLb1EES1T_IbLb0EEEEDaS1P_S1Q_EUlS1P_E_NS1_11comp_targetILNS1_3genE3ELNS1_11target_archE908ELNS1_3gpuE7ELNS1_3repE0EEENS1_30default_config_static_selectorELNS0_4arch9wavefront6targetE0EEEvS12_
		.amdhsa_group_segment_fixed_size 0
		.amdhsa_private_segment_fixed_size 0
		.amdhsa_kernarg_size 176
		.amdhsa_user_sgpr_count 6
		.amdhsa_user_sgpr_private_segment_buffer 1
		.amdhsa_user_sgpr_dispatch_ptr 0
		.amdhsa_user_sgpr_queue_ptr 0
		.amdhsa_user_sgpr_kernarg_segment_ptr 1
		.amdhsa_user_sgpr_dispatch_id 0
		.amdhsa_user_sgpr_flat_scratch_init 0
		.amdhsa_user_sgpr_private_segment_size 0
		.amdhsa_wavefront_size32 1
		.amdhsa_uses_dynamic_stack 0
		.amdhsa_system_sgpr_private_segment_wavefront_offset 0
		.amdhsa_system_sgpr_workgroup_id_x 1
		.amdhsa_system_sgpr_workgroup_id_y 0
		.amdhsa_system_sgpr_workgroup_id_z 0
		.amdhsa_system_sgpr_workgroup_info 0
		.amdhsa_system_vgpr_workitem_id 0
		.amdhsa_next_free_vgpr 1
		.amdhsa_next_free_sgpr 1
		.amdhsa_reserve_vcc 0
		.amdhsa_reserve_flat_scratch 0
		.amdhsa_float_round_mode_32 0
		.amdhsa_float_round_mode_16_64 0
		.amdhsa_float_denorm_mode_32 3
		.amdhsa_float_denorm_mode_16_64 3
		.amdhsa_dx10_clamp 1
		.amdhsa_ieee_mode 1
		.amdhsa_fp16_overflow 0
		.amdhsa_workgroup_processor_mode 1
		.amdhsa_memory_ordered 1
		.amdhsa_forward_progress 1
		.amdhsa_shared_vgpr_count 0
		.amdhsa_exception_fp_ieee_invalid_op 0
		.amdhsa_exception_fp_denorm_src 0
		.amdhsa_exception_fp_ieee_div_zero 0
		.amdhsa_exception_fp_ieee_overflow 0
		.amdhsa_exception_fp_ieee_underflow 0
		.amdhsa_exception_fp_ieee_inexact 0
		.amdhsa_exception_int_div_zero 0
	.end_amdhsa_kernel
	.section	.text._ZN7rocprim17ROCPRIM_400000_NS6detail17trampoline_kernelINS0_13select_configILj256ELj13ELNS0_17block_load_methodE3ELS4_3ELS4_3ELNS0_20block_scan_algorithmE0ELj4294967295EEENS1_25partition_config_selectorILNS1_17partition_subalgoE4EjNS0_10empty_typeEbEEZZNS1_14partition_implILS8_4ELb0ES6_15HIP_vector_typeIjLj2EENS0_17counting_iteratorIjlEEPS9_SG_NS0_5tupleIJPjSI_NS0_16reverse_iteratorISI_EEEEENSH_IJSG_SG_SG_EEES9_SI_JZNS1_25segmented_radix_sort_implINS0_14default_configELb0EPKiPiPKlPlN2at6native12_GLOBAL__N_18offset_tEEE10hipError_tPvRmT1_PNSt15iterator_traitsIS12_E10value_typeET2_T3_PNS13_IS18_E10value_typeET4_jRbjT5_S1E_jjP12ihipStream_tbEUljE_ZNSN_ISO_Lb0ESQ_SR_ST_SU_SY_EESZ_S10_S11_S12_S16_S17_S18_S1B_S1C_jS1D_jS1E_S1E_jjS1G_bEUljE0_EEESZ_S10_S11_S18_S1C_S1E_T6_T7_T9_mT8_S1G_bDpT10_ENKUlT_T0_E_clISt17integral_constantIbLb1EES1T_IbLb0EEEEDaS1P_S1Q_EUlS1P_E_NS1_11comp_targetILNS1_3genE3ELNS1_11target_archE908ELNS1_3gpuE7ELNS1_3repE0EEENS1_30default_config_static_selectorELNS0_4arch9wavefront6targetE0EEEvS12_,"axG",@progbits,_ZN7rocprim17ROCPRIM_400000_NS6detail17trampoline_kernelINS0_13select_configILj256ELj13ELNS0_17block_load_methodE3ELS4_3ELS4_3ELNS0_20block_scan_algorithmE0ELj4294967295EEENS1_25partition_config_selectorILNS1_17partition_subalgoE4EjNS0_10empty_typeEbEEZZNS1_14partition_implILS8_4ELb0ES6_15HIP_vector_typeIjLj2EENS0_17counting_iteratorIjlEEPS9_SG_NS0_5tupleIJPjSI_NS0_16reverse_iteratorISI_EEEEENSH_IJSG_SG_SG_EEES9_SI_JZNS1_25segmented_radix_sort_implINS0_14default_configELb0EPKiPiPKlPlN2at6native12_GLOBAL__N_18offset_tEEE10hipError_tPvRmT1_PNSt15iterator_traitsIS12_E10value_typeET2_T3_PNS13_IS18_E10value_typeET4_jRbjT5_S1E_jjP12ihipStream_tbEUljE_ZNSN_ISO_Lb0ESQ_SR_ST_SU_SY_EESZ_S10_S11_S12_S16_S17_S18_S1B_S1C_jS1D_jS1E_S1E_jjS1G_bEUljE0_EEESZ_S10_S11_S18_S1C_S1E_T6_T7_T9_mT8_S1G_bDpT10_ENKUlT_T0_E_clISt17integral_constantIbLb1EES1T_IbLb0EEEEDaS1P_S1Q_EUlS1P_E_NS1_11comp_targetILNS1_3genE3ELNS1_11target_archE908ELNS1_3gpuE7ELNS1_3repE0EEENS1_30default_config_static_selectorELNS0_4arch9wavefront6targetE0EEEvS12_,comdat
.Lfunc_end550:
	.size	_ZN7rocprim17ROCPRIM_400000_NS6detail17trampoline_kernelINS0_13select_configILj256ELj13ELNS0_17block_load_methodE3ELS4_3ELS4_3ELNS0_20block_scan_algorithmE0ELj4294967295EEENS1_25partition_config_selectorILNS1_17partition_subalgoE4EjNS0_10empty_typeEbEEZZNS1_14partition_implILS8_4ELb0ES6_15HIP_vector_typeIjLj2EENS0_17counting_iteratorIjlEEPS9_SG_NS0_5tupleIJPjSI_NS0_16reverse_iteratorISI_EEEEENSH_IJSG_SG_SG_EEES9_SI_JZNS1_25segmented_radix_sort_implINS0_14default_configELb0EPKiPiPKlPlN2at6native12_GLOBAL__N_18offset_tEEE10hipError_tPvRmT1_PNSt15iterator_traitsIS12_E10value_typeET2_T3_PNS13_IS18_E10value_typeET4_jRbjT5_S1E_jjP12ihipStream_tbEUljE_ZNSN_ISO_Lb0ESQ_SR_ST_SU_SY_EESZ_S10_S11_S12_S16_S17_S18_S1B_S1C_jS1D_jS1E_S1E_jjS1G_bEUljE0_EEESZ_S10_S11_S18_S1C_S1E_T6_T7_T9_mT8_S1G_bDpT10_ENKUlT_T0_E_clISt17integral_constantIbLb1EES1T_IbLb0EEEEDaS1P_S1Q_EUlS1P_E_NS1_11comp_targetILNS1_3genE3ELNS1_11target_archE908ELNS1_3gpuE7ELNS1_3repE0EEENS1_30default_config_static_selectorELNS0_4arch9wavefront6targetE0EEEvS12_, .Lfunc_end550-_ZN7rocprim17ROCPRIM_400000_NS6detail17trampoline_kernelINS0_13select_configILj256ELj13ELNS0_17block_load_methodE3ELS4_3ELS4_3ELNS0_20block_scan_algorithmE0ELj4294967295EEENS1_25partition_config_selectorILNS1_17partition_subalgoE4EjNS0_10empty_typeEbEEZZNS1_14partition_implILS8_4ELb0ES6_15HIP_vector_typeIjLj2EENS0_17counting_iteratorIjlEEPS9_SG_NS0_5tupleIJPjSI_NS0_16reverse_iteratorISI_EEEEENSH_IJSG_SG_SG_EEES9_SI_JZNS1_25segmented_radix_sort_implINS0_14default_configELb0EPKiPiPKlPlN2at6native12_GLOBAL__N_18offset_tEEE10hipError_tPvRmT1_PNSt15iterator_traitsIS12_E10value_typeET2_T3_PNS13_IS18_E10value_typeET4_jRbjT5_S1E_jjP12ihipStream_tbEUljE_ZNSN_ISO_Lb0ESQ_SR_ST_SU_SY_EESZ_S10_S11_S12_S16_S17_S18_S1B_S1C_jS1D_jS1E_S1E_jjS1G_bEUljE0_EEESZ_S10_S11_S18_S1C_S1E_T6_T7_T9_mT8_S1G_bDpT10_ENKUlT_T0_E_clISt17integral_constantIbLb1EES1T_IbLb0EEEEDaS1P_S1Q_EUlS1P_E_NS1_11comp_targetILNS1_3genE3ELNS1_11target_archE908ELNS1_3gpuE7ELNS1_3repE0EEENS1_30default_config_static_selectorELNS0_4arch9wavefront6targetE0EEEvS12_
                                        ; -- End function
	.set _ZN7rocprim17ROCPRIM_400000_NS6detail17trampoline_kernelINS0_13select_configILj256ELj13ELNS0_17block_load_methodE3ELS4_3ELS4_3ELNS0_20block_scan_algorithmE0ELj4294967295EEENS1_25partition_config_selectorILNS1_17partition_subalgoE4EjNS0_10empty_typeEbEEZZNS1_14partition_implILS8_4ELb0ES6_15HIP_vector_typeIjLj2EENS0_17counting_iteratorIjlEEPS9_SG_NS0_5tupleIJPjSI_NS0_16reverse_iteratorISI_EEEEENSH_IJSG_SG_SG_EEES9_SI_JZNS1_25segmented_radix_sort_implINS0_14default_configELb0EPKiPiPKlPlN2at6native12_GLOBAL__N_18offset_tEEE10hipError_tPvRmT1_PNSt15iterator_traitsIS12_E10value_typeET2_T3_PNS13_IS18_E10value_typeET4_jRbjT5_S1E_jjP12ihipStream_tbEUljE_ZNSN_ISO_Lb0ESQ_SR_ST_SU_SY_EESZ_S10_S11_S12_S16_S17_S18_S1B_S1C_jS1D_jS1E_S1E_jjS1G_bEUljE0_EEESZ_S10_S11_S18_S1C_S1E_T6_T7_T9_mT8_S1G_bDpT10_ENKUlT_T0_E_clISt17integral_constantIbLb1EES1T_IbLb0EEEEDaS1P_S1Q_EUlS1P_E_NS1_11comp_targetILNS1_3genE3ELNS1_11target_archE908ELNS1_3gpuE7ELNS1_3repE0EEENS1_30default_config_static_selectorELNS0_4arch9wavefront6targetE0EEEvS12_.num_vgpr, 0
	.set _ZN7rocprim17ROCPRIM_400000_NS6detail17trampoline_kernelINS0_13select_configILj256ELj13ELNS0_17block_load_methodE3ELS4_3ELS4_3ELNS0_20block_scan_algorithmE0ELj4294967295EEENS1_25partition_config_selectorILNS1_17partition_subalgoE4EjNS0_10empty_typeEbEEZZNS1_14partition_implILS8_4ELb0ES6_15HIP_vector_typeIjLj2EENS0_17counting_iteratorIjlEEPS9_SG_NS0_5tupleIJPjSI_NS0_16reverse_iteratorISI_EEEEENSH_IJSG_SG_SG_EEES9_SI_JZNS1_25segmented_radix_sort_implINS0_14default_configELb0EPKiPiPKlPlN2at6native12_GLOBAL__N_18offset_tEEE10hipError_tPvRmT1_PNSt15iterator_traitsIS12_E10value_typeET2_T3_PNS13_IS18_E10value_typeET4_jRbjT5_S1E_jjP12ihipStream_tbEUljE_ZNSN_ISO_Lb0ESQ_SR_ST_SU_SY_EESZ_S10_S11_S12_S16_S17_S18_S1B_S1C_jS1D_jS1E_S1E_jjS1G_bEUljE0_EEESZ_S10_S11_S18_S1C_S1E_T6_T7_T9_mT8_S1G_bDpT10_ENKUlT_T0_E_clISt17integral_constantIbLb1EES1T_IbLb0EEEEDaS1P_S1Q_EUlS1P_E_NS1_11comp_targetILNS1_3genE3ELNS1_11target_archE908ELNS1_3gpuE7ELNS1_3repE0EEENS1_30default_config_static_selectorELNS0_4arch9wavefront6targetE0EEEvS12_.num_agpr, 0
	.set _ZN7rocprim17ROCPRIM_400000_NS6detail17trampoline_kernelINS0_13select_configILj256ELj13ELNS0_17block_load_methodE3ELS4_3ELS4_3ELNS0_20block_scan_algorithmE0ELj4294967295EEENS1_25partition_config_selectorILNS1_17partition_subalgoE4EjNS0_10empty_typeEbEEZZNS1_14partition_implILS8_4ELb0ES6_15HIP_vector_typeIjLj2EENS0_17counting_iteratorIjlEEPS9_SG_NS0_5tupleIJPjSI_NS0_16reverse_iteratorISI_EEEEENSH_IJSG_SG_SG_EEES9_SI_JZNS1_25segmented_radix_sort_implINS0_14default_configELb0EPKiPiPKlPlN2at6native12_GLOBAL__N_18offset_tEEE10hipError_tPvRmT1_PNSt15iterator_traitsIS12_E10value_typeET2_T3_PNS13_IS18_E10value_typeET4_jRbjT5_S1E_jjP12ihipStream_tbEUljE_ZNSN_ISO_Lb0ESQ_SR_ST_SU_SY_EESZ_S10_S11_S12_S16_S17_S18_S1B_S1C_jS1D_jS1E_S1E_jjS1G_bEUljE0_EEESZ_S10_S11_S18_S1C_S1E_T6_T7_T9_mT8_S1G_bDpT10_ENKUlT_T0_E_clISt17integral_constantIbLb1EES1T_IbLb0EEEEDaS1P_S1Q_EUlS1P_E_NS1_11comp_targetILNS1_3genE3ELNS1_11target_archE908ELNS1_3gpuE7ELNS1_3repE0EEENS1_30default_config_static_selectorELNS0_4arch9wavefront6targetE0EEEvS12_.numbered_sgpr, 0
	.set _ZN7rocprim17ROCPRIM_400000_NS6detail17trampoline_kernelINS0_13select_configILj256ELj13ELNS0_17block_load_methodE3ELS4_3ELS4_3ELNS0_20block_scan_algorithmE0ELj4294967295EEENS1_25partition_config_selectorILNS1_17partition_subalgoE4EjNS0_10empty_typeEbEEZZNS1_14partition_implILS8_4ELb0ES6_15HIP_vector_typeIjLj2EENS0_17counting_iteratorIjlEEPS9_SG_NS0_5tupleIJPjSI_NS0_16reverse_iteratorISI_EEEEENSH_IJSG_SG_SG_EEES9_SI_JZNS1_25segmented_radix_sort_implINS0_14default_configELb0EPKiPiPKlPlN2at6native12_GLOBAL__N_18offset_tEEE10hipError_tPvRmT1_PNSt15iterator_traitsIS12_E10value_typeET2_T3_PNS13_IS18_E10value_typeET4_jRbjT5_S1E_jjP12ihipStream_tbEUljE_ZNSN_ISO_Lb0ESQ_SR_ST_SU_SY_EESZ_S10_S11_S12_S16_S17_S18_S1B_S1C_jS1D_jS1E_S1E_jjS1G_bEUljE0_EEESZ_S10_S11_S18_S1C_S1E_T6_T7_T9_mT8_S1G_bDpT10_ENKUlT_T0_E_clISt17integral_constantIbLb1EES1T_IbLb0EEEEDaS1P_S1Q_EUlS1P_E_NS1_11comp_targetILNS1_3genE3ELNS1_11target_archE908ELNS1_3gpuE7ELNS1_3repE0EEENS1_30default_config_static_selectorELNS0_4arch9wavefront6targetE0EEEvS12_.num_named_barrier, 0
	.set _ZN7rocprim17ROCPRIM_400000_NS6detail17trampoline_kernelINS0_13select_configILj256ELj13ELNS0_17block_load_methodE3ELS4_3ELS4_3ELNS0_20block_scan_algorithmE0ELj4294967295EEENS1_25partition_config_selectorILNS1_17partition_subalgoE4EjNS0_10empty_typeEbEEZZNS1_14partition_implILS8_4ELb0ES6_15HIP_vector_typeIjLj2EENS0_17counting_iteratorIjlEEPS9_SG_NS0_5tupleIJPjSI_NS0_16reverse_iteratorISI_EEEEENSH_IJSG_SG_SG_EEES9_SI_JZNS1_25segmented_radix_sort_implINS0_14default_configELb0EPKiPiPKlPlN2at6native12_GLOBAL__N_18offset_tEEE10hipError_tPvRmT1_PNSt15iterator_traitsIS12_E10value_typeET2_T3_PNS13_IS18_E10value_typeET4_jRbjT5_S1E_jjP12ihipStream_tbEUljE_ZNSN_ISO_Lb0ESQ_SR_ST_SU_SY_EESZ_S10_S11_S12_S16_S17_S18_S1B_S1C_jS1D_jS1E_S1E_jjS1G_bEUljE0_EEESZ_S10_S11_S18_S1C_S1E_T6_T7_T9_mT8_S1G_bDpT10_ENKUlT_T0_E_clISt17integral_constantIbLb1EES1T_IbLb0EEEEDaS1P_S1Q_EUlS1P_E_NS1_11comp_targetILNS1_3genE3ELNS1_11target_archE908ELNS1_3gpuE7ELNS1_3repE0EEENS1_30default_config_static_selectorELNS0_4arch9wavefront6targetE0EEEvS12_.private_seg_size, 0
	.set _ZN7rocprim17ROCPRIM_400000_NS6detail17trampoline_kernelINS0_13select_configILj256ELj13ELNS0_17block_load_methodE3ELS4_3ELS4_3ELNS0_20block_scan_algorithmE0ELj4294967295EEENS1_25partition_config_selectorILNS1_17partition_subalgoE4EjNS0_10empty_typeEbEEZZNS1_14partition_implILS8_4ELb0ES6_15HIP_vector_typeIjLj2EENS0_17counting_iteratorIjlEEPS9_SG_NS0_5tupleIJPjSI_NS0_16reverse_iteratorISI_EEEEENSH_IJSG_SG_SG_EEES9_SI_JZNS1_25segmented_radix_sort_implINS0_14default_configELb0EPKiPiPKlPlN2at6native12_GLOBAL__N_18offset_tEEE10hipError_tPvRmT1_PNSt15iterator_traitsIS12_E10value_typeET2_T3_PNS13_IS18_E10value_typeET4_jRbjT5_S1E_jjP12ihipStream_tbEUljE_ZNSN_ISO_Lb0ESQ_SR_ST_SU_SY_EESZ_S10_S11_S12_S16_S17_S18_S1B_S1C_jS1D_jS1E_S1E_jjS1G_bEUljE0_EEESZ_S10_S11_S18_S1C_S1E_T6_T7_T9_mT8_S1G_bDpT10_ENKUlT_T0_E_clISt17integral_constantIbLb1EES1T_IbLb0EEEEDaS1P_S1Q_EUlS1P_E_NS1_11comp_targetILNS1_3genE3ELNS1_11target_archE908ELNS1_3gpuE7ELNS1_3repE0EEENS1_30default_config_static_selectorELNS0_4arch9wavefront6targetE0EEEvS12_.uses_vcc, 0
	.set _ZN7rocprim17ROCPRIM_400000_NS6detail17trampoline_kernelINS0_13select_configILj256ELj13ELNS0_17block_load_methodE3ELS4_3ELS4_3ELNS0_20block_scan_algorithmE0ELj4294967295EEENS1_25partition_config_selectorILNS1_17partition_subalgoE4EjNS0_10empty_typeEbEEZZNS1_14partition_implILS8_4ELb0ES6_15HIP_vector_typeIjLj2EENS0_17counting_iteratorIjlEEPS9_SG_NS0_5tupleIJPjSI_NS0_16reverse_iteratorISI_EEEEENSH_IJSG_SG_SG_EEES9_SI_JZNS1_25segmented_radix_sort_implINS0_14default_configELb0EPKiPiPKlPlN2at6native12_GLOBAL__N_18offset_tEEE10hipError_tPvRmT1_PNSt15iterator_traitsIS12_E10value_typeET2_T3_PNS13_IS18_E10value_typeET4_jRbjT5_S1E_jjP12ihipStream_tbEUljE_ZNSN_ISO_Lb0ESQ_SR_ST_SU_SY_EESZ_S10_S11_S12_S16_S17_S18_S1B_S1C_jS1D_jS1E_S1E_jjS1G_bEUljE0_EEESZ_S10_S11_S18_S1C_S1E_T6_T7_T9_mT8_S1G_bDpT10_ENKUlT_T0_E_clISt17integral_constantIbLb1EES1T_IbLb0EEEEDaS1P_S1Q_EUlS1P_E_NS1_11comp_targetILNS1_3genE3ELNS1_11target_archE908ELNS1_3gpuE7ELNS1_3repE0EEENS1_30default_config_static_selectorELNS0_4arch9wavefront6targetE0EEEvS12_.uses_flat_scratch, 0
	.set _ZN7rocprim17ROCPRIM_400000_NS6detail17trampoline_kernelINS0_13select_configILj256ELj13ELNS0_17block_load_methodE3ELS4_3ELS4_3ELNS0_20block_scan_algorithmE0ELj4294967295EEENS1_25partition_config_selectorILNS1_17partition_subalgoE4EjNS0_10empty_typeEbEEZZNS1_14partition_implILS8_4ELb0ES6_15HIP_vector_typeIjLj2EENS0_17counting_iteratorIjlEEPS9_SG_NS0_5tupleIJPjSI_NS0_16reverse_iteratorISI_EEEEENSH_IJSG_SG_SG_EEES9_SI_JZNS1_25segmented_radix_sort_implINS0_14default_configELb0EPKiPiPKlPlN2at6native12_GLOBAL__N_18offset_tEEE10hipError_tPvRmT1_PNSt15iterator_traitsIS12_E10value_typeET2_T3_PNS13_IS18_E10value_typeET4_jRbjT5_S1E_jjP12ihipStream_tbEUljE_ZNSN_ISO_Lb0ESQ_SR_ST_SU_SY_EESZ_S10_S11_S12_S16_S17_S18_S1B_S1C_jS1D_jS1E_S1E_jjS1G_bEUljE0_EEESZ_S10_S11_S18_S1C_S1E_T6_T7_T9_mT8_S1G_bDpT10_ENKUlT_T0_E_clISt17integral_constantIbLb1EES1T_IbLb0EEEEDaS1P_S1Q_EUlS1P_E_NS1_11comp_targetILNS1_3genE3ELNS1_11target_archE908ELNS1_3gpuE7ELNS1_3repE0EEENS1_30default_config_static_selectorELNS0_4arch9wavefront6targetE0EEEvS12_.has_dyn_sized_stack, 0
	.set _ZN7rocprim17ROCPRIM_400000_NS6detail17trampoline_kernelINS0_13select_configILj256ELj13ELNS0_17block_load_methodE3ELS4_3ELS4_3ELNS0_20block_scan_algorithmE0ELj4294967295EEENS1_25partition_config_selectorILNS1_17partition_subalgoE4EjNS0_10empty_typeEbEEZZNS1_14partition_implILS8_4ELb0ES6_15HIP_vector_typeIjLj2EENS0_17counting_iteratorIjlEEPS9_SG_NS0_5tupleIJPjSI_NS0_16reverse_iteratorISI_EEEEENSH_IJSG_SG_SG_EEES9_SI_JZNS1_25segmented_radix_sort_implINS0_14default_configELb0EPKiPiPKlPlN2at6native12_GLOBAL__N_18offset_tEEE10hipError_tPvRmT1_PNSt15iterator_traitsIS12_E10value_typeET2_T3_PNS13_IS18_E10value_typeET4_jRbjT5_S1E_jjP12ihipStream_tbEUljE_ZNSN_ISO_Lb0ESQ_SR_ST_SU_SY_EESZ_S10_S11_S12_S16_S17_S18_S1B_S1C_jS1D_jS1E_S1E_jjS1G_bEUljE0_EEESZ_S10_S11_S18_S1C_S1E_T6_T7_T9_mT8_S1G_bDpT10_ENKUlT_T0_E_clISt17integral_constantIbLb1EES1T_IbLb0EEEEDaS1P_S1Q_EUlS1P_E_NS1_11comp_targetILNS1_3genE3ELNS1_11target_archE908ELNS1_3gpuE7ELNS1_3repE0EEENS1_30default_config_static_selectorELNS0_4arch9wavefront6targetE0EEEvS12_.has_recursion, 0
	.set _ZN7rocprim17ROCPRIM_400000_NS6detail17trampoline_kernelINS0_13select_configILj256ELj13ELNS0_17block_load_methodE3ELS4_3ELS4_3ELNS0_20block_scan_algorithmE0ELj4294967295EEENS1_25partition_config_selectorILNS1_17partition_subalgoE4EjNS0_10empty_typeEbEEZZNS1_14partition_implILS8_4ELb0ES6_15HIP_vector_typeIjLj2EENS0_17counting_iteratorIjlEEPS9_SG_NS0_5tupleIJPjSI_NS0_16reverse_iteratorISI_EEEEENSH_IJSG_SG_SG_EEES9_SI_JZNS1_25segmented_radix_sort_implINS0_14default_configELb0EPKiPiPKlPlN2at6native12_GLOBAL__N_18offset_tEEE10hipError_tPvRmT1_PNSt15iterator_traitsIS12_E10value_typeET2_T3_PNS13_IS18_E10value_typeET4_jRbjT5_S1E_jjP12ihipStream_tbEUljE_ZNSN_ISO_Lb0ESQ_SR_ST_SU_SY_EESZ_S10_S11_S12_S16_S17_S18_S1B_S1C_jS1D_jS1E_S1E_jjS1G_bEUljE0_EEESZ_S10_S11_S18_S1C_S1E_T6_T7_T9_mT8_S1G_bDpT10_ENKUlT_T0_E_clISt17integral_constantIbLb1EES1T_IbLb0EEEEDaS1P_S1Q_EUlS1P_E_NS1_11comp_targetILNS1_3genE3ELNS1_11target_archE908ELNS1_3gpuE7ELNS1_3repE0EEENS1_30default_config_static_selectorELNS0_4arch9wavefront6targetE0EEEvS12_.has_indirect_call, 0
	.section	.AMDGPU.csdata,"",@progbits
; Kernel info:
; codeLenInByte = 0
; TotalNumSgprs: 0
; NumVgprs: 0
; ScratchSize: 0
; MemoryBound: 0
; FloatMode: 240
; IeeeMode: 1
; LDSByteSize: 0 bytes/workgroup (compile time only)
; SGPRBlocks: 0
; VGPRBlocks: 0
; NumSGPRsForWavesPerEU: 1
; NumVGPRsForWavesPerEU: 1
; Occupancy: 16
; WaveLimiterHint : 0
; COMPUTE_PGM_RSRC2:SCRATCH_EN: 0
; COMPUTE_PGM_RSRC2:USER_SGPR: 6
; COMPUTE_PGM_RSRC2:TRAP_HANDLER: 0
; COMPUTE_PGM_RSRC2:TGID_X_EN: 1
; COMPUTE_PGM_RSRC2:TGID_Y_EN: 0
; COMPUTE_PGM_RSRC2:TGID_Z_EN: 0
; COMPUTE_PGM_RSRC2:TIDIG_COMP_CNT: 0
	.section	.text._ZN7rocprim17ROCPRIM_400000_NS6detail17trampoline_kernelINS0_13select_configILj256ELj13ELNS0_17block_load_methodE3ELS4_3ELS4_3ELNS0_20block_scan_algorithmE0ELj4294967295EEENS1_25partition_config_selectorILNS1_17partition_subalgoE4EjNS0_10empty_typeEbEEZZNS1_14partition_implILS8_4ELb0ES6_15HIP_vector_typeIjLj2EENS0_17counting_iteratorIjlEEPS9_SG_NS0_5tupleIJPjSI_NS0_16reverse_iteratorISI_EEEEENSH_IJSG_SG_SG_EEES9_SI_JZNS1_25segmented_radix_sort_implINS0_14default_configELb0EPKiPiPKlPlN2at6native12_GLOBAL__N_18offset_tEEE10hipError_tPvRmT1_PNSt15iterator_traitsIS12_E10value_typeET2_T3_PNS13_IS18_E10value_typeET4_jRbjT5_S1E_jjP12ihipStream_tbEUljE_ZNSN_ISO_Lb0ESQ_SR_ST_SU_SY_EESZ_S10_S11_S12_S16_S17_S18_S1B_S1C_jS1D_jS1E_S1E_jjS1G_bEUljE0_EEESZ_S10_S11_S18_S1C_S1E_T6_T7_T9_mT8_S1G_bDpT10_ENKUlT_T0_E_clISt17integral_constantIbLb1EES1T_IbLb0EEEEDaS1P_S1Q_EUlS1P_E_NS1_11comp_targetILNS1_3genE2ELNS1_11target_archE906ELNS1_3gpuE6ELNS1_3repE0EEENS1_30default_config_static_selectorELNS0_4arch9wavefront6targetE0EEEvS12_,"axG",@progbits,_ZN7rocprim17ROCPRIM_400000_NS6detail17trampoline_kernelINS0_13select_configILj256ELj13ELNS0_17block_load_methodE3ELS4_3ELS4_3ELNS0_20block_scan_algorithmE0ELj4294967295EEENS1_25partition_config_selectorILNS1_17partition_subalgoE4EjNS0_10empty_typeEbEEZZNS1_14partition_implILS8_4ELb0ES6_15HIP_vector_typeIjLj2EENS0_17counting_iteratorIjlEEPS9_SG_NS0_5tupleIJPjSI_NS0_16reverse_iteratorISI_EEEEENSH_IJSG_SG_SG_EEES9_SI_JZNS1_25segmented_radix_sort_implINS0_14default_configELb0EPKiPiPKlPlN2at6native12_GLOBAL__N_18offset_tEEE10hipError_tPvRmT1_PNSt15iterator_traitsIS12_E10value_typeET2_T3_PNS13_IS18_E10value_typeET4_jRbjT5_S1E_jjP12ihipStream_tbEUljE_ZNSN_ISO_Lb0ESQ_SR_ST_SU_SY_EESZ_S10_S11_S12_S16_S17_S18_S1B_S1C_jS1D_jS1E_S1E_jjS1G_bEUljE0_EEESZ_S10_S11_S18_S1C_S1E_T6_T7_T9_mT8_S1G_bDpT10_ENKUlT_T0_E_clISt17integral_constantIbLb1EES1T_IbLb0EEEEDaS1P_S1Q_EUlS1P_E_NS1_11comp_targetILNS1_3genE2ELNS1_11target_archE906ELNS1_3gpuE6ELNS1_3repE0EEENS1_30default_config_static_selectorELNS0_4arch9wavefront6targetE0EEEvS12_,comdat
	.globl	_ZN7rocprim17ROCPRIM_400000_NS6detail17trampoline_kernelINS0_13select_configILj256ELj13ELNS0_17block_load_methodE3ELS4_3ELS4_3ELNS0_20block_scan_algorithmE0ELj4294967295EEENS1_25partition_config_selectorILNS1_17partition_subalgoE4EjNS0_10empty_typeEbEEZZNS1_14partition_implILS8_4ELb0ES6_15HIP_vector_typeIjLj2EENS0_17counting_iteratorIjlEEPS9_SG_NS0_5tupleIJPjSI_NS0_16reverse_iteratorISI_EEEEENSH_IJSG_SG_SG_EEES9_SI_JZNS1_25segmented_radix_sort_implINS0_14default_configELb0EPKiPiPKlPlN2at6native12_GLOBAL__N_18offset_tEEE10hipError_tPvRmT1_PNSt15iterator_traitsIS12_E10value_typeET2_T3_PNS13_IS18_E10value_typeET4_jRbjT5_S1E_jjP12ihipStream_tbEUljE_ZNSN_ISO_Lb0ESQ_SR_ST_SU_SY_EESZ_S10_S11_S12_S16_S17_S18_S1B_S1C_jS1D_jS1E_S1E_jjS1G_bEUljE0_EEESZ_S10_S11_S18_S1C_S1E_T6_T7_T9_mT8_S1G_bDpT10_ENKUlT_T0_E_clISt17integral_constantIbLb1EES1T_IbLb0EEEEDaS1P_S1Q_EUlS1P_E_NS1_11comp_targetILNS1_3genE2ELNS1_11target_archE906ELNS1_3gpuE6ELNS1_3repE0EEENS1_30default_config_static_selectorELNS0_4arch9wavefront6targetE0EEEvS12_ ; -- Begin function _ZN7rocprim17ROCPRIM_400000_NS6detail17trampoline_kernelINS0_13select_configILj256ELj13ELNS0_17block_load_methodE3ELS4_3ELS4_3ELNS0_20block_scan_algorithmE0ELj4294967295EEENS1_25partition_config_selectorILNS1_17partition_subalgoE4EjNS0_10empty_typeEbEEZZNS1_14partition_implILS8_4ELb0ES6_15HIP_vector_typeIjLj2EENS0_17counting_iteratorIjlEEPS9_SG_NS0_5tupleIJPjSI_NS0_16reverse_iteratorISI_EEEEENSH_IJSG_SG_SG_EEES9_SI_JZNS1_25segmented_radix_sort_implINS0_14default_configELb0EPKiPiPKlPlN2at6native12_GLOBAL__N_18offset_tEEE10hipError_tPvRmT1_PNSt15iterator_traitsIS12_E10value_typeET2_T3_PNS13_IS18_E10value_typeET4_jRbjT5_S1E_jjP12ihipStream_tbEUljE_ZNSN_ISO_Lb0ESQ_SR_ST_SU_SY_EESZ_S10_S11_S12_S16_S17_S18_S1B_S1C_jS1D_jS1E_S1E_jjS1G_bEUljE0_EEESZ_S10_S11_S18_S1C_S1E_T6_T7_T9_mT8_S1G_bDpT10_ENKUlT_T0_E_clISt17integral_constantIbLb1EES1T_IbLb0EEEEDaS1P_S1Q_EUlS1P_E_NS1_11comp_targetILNS1_3genE2ELNS1_11target_archE906ELNS1_3gpuE6ELNS1_3repE0EEENS1_30default_config_static_selectorELNS0_4arch9wavefront6targetE0EEEvS12_
	.p2align	8
	.type	_ZN7rocprim17ROCPRIM_400000_NS6detail17trampoline_kernelINS0_13select_configILj256ELj13ELNS0_17block_load_methodE3ELS4_3ELS4_3ELNS0_20block_scan_algorithmE0ELj4294967295EEENS1_25partition_config_selectorILNS1_17partition_subalgoE4EjNS0_10empty_typeEbEEZZNS1_14partition_implILS8_4ELb0ES6_15HIP_vector_typeIjLj2EENS0_17counting_iteratorIjlEEPS9_SG_NS0_5tupleIJPjSI_NS0_16reverse_iteratorISI_EEEEENSH_IJSG_SG_SG_EEES9_SI_JZNS1_25segmented_radix_sort_implINS0_14default_configELb0EPKiPiPKlPlN2at6native12_GLOBAL__N_18offset_tEEE10hipError_tPvRmT1_PNSt15iterator_traitsIS12_E10value_typeET2_T3_PNS13_IS18_E10value_typeET4_jRbjT5_S1E_jjP12ihipStream_tbEUljE_ZNSN_ISO_Lb0ESQ_SR_ST_SU_SY_EESZ_S10_S11_S12_S16_S17_S18_S1B_S1C_jS1D_jS1E_S1E_jjS1G_bEUljE0_EEESZ_S10_S11_S18_S1C_S1E_T6_T7_T9_mT8_S1G_bDpT10_ENKUlT_T0_E_clISt17integral_constantIbLb1EES1T_IbLb0EEEEDaS1P_S1Q_EUlS1P_E_NS1_11comp_targetILNS1_3genE2ELNS1_11target_archE906ELNS1_3gpuE6ELNS1_3repE0EEENS1_30default_config_static_selectorELNS0_4arch9wavefront6targetE0EEEvS12_,@function
_ZN7rocprim17ROCPRIM_400000_NS6detail17trampoline_kernelINS0_13select_configILj256ELj13ELNS0_17block_load_methodE3ELS4_3ELS4_3ELNS0_20block_scan_algorithmE0ELj4294967295EEENS1_25partition_config_selectorILNS1_17partition_subalgoE4EjNS0_10empty_typeEbEEZZNS1_14partition_implILS8_4ELb0ES6_15HIP_vector_typeIjLj2EENS0_17counting_iteratorIjlEEPS9_SG_NS0_5tupleIJPjSI_NS0_16reverse_iteratorISI_EEEEENSH_IJSG_SG_SG_EEES9_SI_JZNS1_25segmented_radix_sort_implINS0_14default_configELb0EPKiPiPKlPlN2at6native12_GLOBAL__N_18offset_tEEE10hipError_tPvRmT1_PNSt15iterator_traitsIS12_E10value_typeET2_T3_PNS13_IS18_E10value_typeET4_jRbjT5_S1E_jjP12ihipStream_tbEUljE_ZNSN_ISO_Lb0ESQ_SR_ST_SU_SY_EESZ_S10_S11_S12_S16_S17_S18_S1B_S1C_jS1D_jS1E_S1E_jjS1G_bEUljE0_EEESZ_S10_S11_S18_S1C_S1E_T6_T7_T9_mT8_S1G_bDpT10_ENKUlT_T0_E_clISt17integral_constantIbLb1EES1T_IbLb0EEEEDaS1P_S1Q_EUlS1P_E_NS1_11comp_targetILNS1_3genE2ELNS1_11target_archE906ELNS1_3gpuE6ELNS1_3repE0EEENS1_30default_config_static_selectorELNS0_4arch9wavefront6targetE0EEEvS12_: ; @_ZN7rocprim17ROCPRIM_400000_NS6detail17trampoline_kernelINS0_13select_configILj256ELj13ELNS0_17block_load_methodE3ELS4_3ELS4_3ELNS0_20block_scan_algorithmE0ELj4294967295EEENS1_25partition_config_selectorILNS1_17partition_subalgoE4EjNS0_10empty_typeEbEEZZNS1_14partition_implILS8_4ELb0ES6_15HIP_vector_typeIjLj2EENS0_17counting_iteratorIjlEEPS9_SG_NS0_5tupleIJPjSI_NS0_16reverse_iteratorISI_EEEEENSH_IJSG_SG_SG_EEES9_SI_JZNS1_25segmented_radix_sort_implINS0_14default_configELb0EPKiPiPKlPlN2at6native12_GLOBAL__N_18offset_tEEE10hipError_tPvRmT1_PNSt15iterator_traitsIS12_E10value_typeET2_T3_PNS13_IS18_E10value_typeET4_jRbjT5_S1E_jjP12ihipStream_tbEUljE_ZNSN_ISO_Lb0ESQ_SR_ST_SU_SY_EESZ_S10_S11_S12_S16_S17_S18_S1B_S1C_jS1D_jS1E_S1E_jjS1G_bEUljE0_EEESZ_S10_S11_S18_S1C_S1E_T6_T7_T9_mT8_S1G_bDpT10_ENKUlT_T0_E_clISt17integral_constantIbLb1EES1T_IbLb0EEEEDaS1P_S1Q_EUlS1P_E_NS1_11comp_targetILNS1_3genE2ELNS1_11target_archE906ELNS1_3gpuE6ELNS1_3repE0EEENS1_30default_config_static_selectorELNS0_4arch9wavefront6targetE0EEEvS12_
; %bb.0:
	.section	.rodata,"a",@progbits
	.p2align	6, 0x0
	.amdhsa_kernel _ZN7rocprim17ROCPRIM_400000_NS6detail17trampoline_kernelINS0_13select_configILj256ELj13ELNS0_17block_load_methodE3ELS4_3ELS4_3ELNS0_20block_scan_algorithmE0ELj4294967295EEENS1_25partition_config_selectorILNS1_17partition_subalgoE4EjNS0_10empty_typeEbEEZZNS1_14partition_implILS8_4ELb0ES6_15HIP_vector_typeIjLj2EENS0_17counting_iteratorIjlEEPS9_SG_NS0_5tupleIJPjSI_NS0_16reverse_iteratorISI_EEEEENSH_IJSG_SG_SG_EEES9_SI_JZNS1_25segmented_radix_sort_implINS0_14default_configELb0EPKiPiPKlPlN2at6native12_GLOBAL__N_18offset_tEEE10hipError_tPvRmT1_PNSt15iterator_traitsIS12_E10value_typeET2_T3_PNS13_IS18_E10value_typeET4_jRbjT5_S1E_jjP12ihipStream_tbEUljE_ZNSN_ISO_Lb0ESQ_SR_ST_SU_SY_EESZ_S10_S11_S12_S16_S17_S18_S1B_S1C_jS1D_jS1E_S1E_jjS1G_bEUljE0_EEESZ_S10_S11_S18_S1C_S1E_T6_T7_T9_mT8_S1G_bDpT10_ENKUlT_T0_E_clISt17integral_constantIbLb1EES1T_IbLb0EEEEDaS1P_S1Q_EUlS1P_E_NS1_11comp_targetILNS1_3genE2ELNS1_11target_archE906ELNS1_3gpuE6ELNS1_3repE0EEENS1_30default_config_static_selectorELNS0_4arch9wavefront6targetE0EEEvS12_
		.amdhsa_group_segment_fixed_size 0
		.amdhsa_private_segment_fixed_size 0
		.amdhsa_kernarg_size 176
		.amdhsa_user_sgpr_count 6
		.amdhsa_user_sgpr_private_segment_buffer 1
		.amdhsa_user_sgpr_dispatch_ptr 0
		.amdhsa_user_sgpr_queue_ptr 0
		.amdhsa_user_sgpr_kernarg_segment_ptr 1
		.amdhsa_user_sgpr_dispatch_id 0
		.amdhsa_user_sgpr_flat_scratch_init 0
		.amdhsa_user_sgpr_private_segment_size 0
		.amdhsa_wavefront_size32 1
		.amdhsa_uses_dynamic_stack 0
		.amdhsa_system_sgpr_private_segment_wavefront_offset 0
		.amdhsa_system_sgpr_workgroup_id_x 1
		.amdhsa_system_sgpr_workgroup_id_y 0
		.amdhsa_system_sgpr_workgroup_id_z 0
		.amdhsa_system_sgpr_workgroup_info 0
		.amdhsa_system_vgpr_workitem_id 0
		.amdhsa_next_free_vgpr 1
		.amdhsa_next_free_sgpr 1
		.amdhsa_reserve_vcc 0
		.amdhsa_reserve_flat_scratch 0
		.amdhsa_float_round_mode_32 0
		.amdhsa_float_round_mode_16_64 0
		.amdhsa_float_denorm_mode_32 3
		.amdhsa_float_denorm_mode_16_64 3
		.amdhsa_dx10_clamp 1
		.amdhsa_ieee_mode 1
		.amdhsa_fp16_overflow 0
		.amdhsa_workgroup_processor_mode 1
		.amdhsa_memory_ordered 1
		.amdhsa_forward_progress 1
		.amdhsa_shared_vgpr_count 0
		.amdhsa_exception_fp_ieee_invalid_op 0
		.amdhsa_exception_fp_denorm_src 0
		.amdhsa_exception_fp_ieee_div_zero 0
		.amdhsa_exception_fp_ieee_overflow 0
		.amdhsa_exception_fp_ieee_underflow 0
		.amdhsa_exception_fp_ieee_inexact 0
		.amdhsa_exception_int_div_zero 0
	.end_amdhsa_kernel
	.section	.text._ZN7rocprim17ROCPRIM_400000_NS6detail17trampoline_kernelINS0_13select_configILj256ELj13ELNS0_17block_load_methodE3ELS4_3ELS4_3ELNS0_20block_scan_algorithmE0ELj4294967295EEENS1_25partition_config_selectorILNS1_17partition_subalgoE4EjNS0_10empty_typeEbEEZZNS1_14partition_implILS8_4ELb0ES6_15HIP_vector_typeIjLj2EENS0_17counting_iteratorIjlEEPS9_SG_NS0_5tupleIJPjSI_NS0_16reverse_iteratorISI_EEEEENSH_IJSG_SG_SG_EEES9_SI_JZNS1_25segmented_radix_sort_implINS0_14default_configELb0EPKiPiPKlPlN2at6native12_GLOBAL__N_18offset_tEEE10hipError_tPvRmT1_PNSt15iterator_traitsIS12_E10value_typeET2_T3_PNS13_IS18_E10value_typeET4_jRbjT5_S1E_jjP12ihipStream_tbEUljE_ZNSN_ISO_Lb0ESQ_SR_ST_SU_SY_EESZ_S10_S11_S12_S16_S17_S18_S1B_S1C_jS1D_jS1E_S1E_jjS1G_bEUljE0_EEESZ_S10_S11_S18_S1C_S1E_T6_T7_T9_mT8_S1G_bDpT10_ENKUlT_T0_E_clISt17integral_constantIbLb1EES1T_IbLb0EEEEDaS1P_S1Q_EUlS1P_E_NS1_11comp_targetILNS1_3genE2ELNS1_11target_archE906ELNS1_3gpuE6ELNS1_3repE0EEENS1_30default_config_static_selectorELNS0_4arch9wavefront6targetE0EEEvS12_,"axG",@progbits,_ZN7rocprim17ROCPRIM_400000_NS6detail17trampoline_kernelINS0_13select_configILj256ELj13ELNS0_17block_load_methodE3ELS4_3ELS4_3ELNS0_20block_scan_algorithmE0ELj4294967295EEENS1_25partition_config_selectorILNS1_17partition_subalgoE4EjNS0_10empty_typeEbEEZZNS1_14partition_implILS8_4ELb0ES6_15HIP_vector_typeIjLj2EENS0_17counting_iteratorIjlEEPS9_SG_NS0_5tupleIJPjSI_NS0_16reverse_iteratorISI_EEEEENSH_IJSG_SG_SG_EEES9_SI_JZNS1_25segmented_radix_sort_implINS0_14default_configELb0EPKiPiPKlPlN2at6native12_GLOBAL__N_18offset_tEEE10hipError_tPvRmT1_PNSt15iterator_traitsIS12_E10value_typeET2_T3_PNS13_IS18_E10value_typeET4_jRbjT5_S1E_jjP12ihipStream_tbEUljE_ZNSN_ISO_Lb0ESQ_SR_ST_SU_SY_EESZ_S10_S11_S12_S16_S17_S18_S1B_S1C_jS1D_jS1E_S1E_jjS1G_bEUljE0_EEESZ_S10_S11_S18_S1C_S1E_T6_T7_T9_mT8_S1G_bDpT10_ENKUlT_T0_E_clISt17integral_constantIbLb1EES1T_IbLb0EEEEDaS1P_S1Q_EUlS1P_E_NS1_11comp_targetILNS1_3genE2ELNS1_11target_archE906ELNS1_3gpuE6ELNS1_3repE0EEENS1_30default_config_static_selectorELNS0_4arch9wavefront6targetE0EEEvS12_,comdat
.Lfunc_end551:
	.size	_ZN7rocprim17ROCPRIM_400000_NS6detail17trampoline_kernelINS0_13select_configILj256ELj13ELNS0_17block_load_methodE3ELS4_3ELS4_3ELNS0_20block_scan_algorithmE0ELj4294967295EEENS1_25partition_config_selectorILNS1_17partition_subalgoE4EjNS0_10empty_typeEbEEZZNS1_14partition_implILS8_4ELb0ES6_15HIP_vector_typeIjLj2EENS0_17counting_iteratorIjlEEPS9_SG_NS0_5tupleIJPjSI_NS0_16reverse_iteratorISI_EEEEENSH_IJSG_SG_SG_EEES9_SI_JZNS1_25segmented_radix_sort_implINS0_14default_configELb0EPKiPiPKlPlN2at6native12_GLOBAL__N_18offset_tEEE10hipError_tPvRmT1_PNSt15iterator_traitsIS12_E10value_typeET2_T3_PNS13_IS18_E10value_typeET4_jRbjT5_S1E_jjP12ihipStream_tbEUljE_ZNSN_ISO_Lb0ESQ_SR_ST_SU_SY_EESZ_S10_S11_S12_S16_S17_S18_S1B_S1C_jS1D_jS1E_S1E_jjS1G_bEUljE0_EEESZ_S10_S11_S18_S1C_S1E_T6_T7_T9_mT8_S1G_bDpT10_ENKUlT_T0_E_clISt17integral_constantIbLb1EES1T_IbLb0EEEEDaS1P_S1Q_EUlS1P_E_NS1_11comp_targetILNS1_3genE2ELNS1_11target_archE906ELNS1_3gpuE6ELNS1_3repE0EEENS1_30default_config_static_selectorELNS0_4arch9wavefront6targetE0EEEvS12_, .Lfunc_end551-_ZN7rocprim17ROCPRIM_400000_NS6detail17trampoline_kernelINS0_13select_configILj256ELj13ELNS0_17block_load_methodE3ELS4_3ELS4_3ELNS0_20block_scan_algorithmE0ELj4294967295EEENS1_25partition_config_selectorILNS1_17partition_subalgoE4EjNS0_10empty_typeEbEEZZNS1_14partition_implILS8_4ELb0ES6_15HIP_vector_typeIjLj2EENS0_17counting_iteratorIjlEEPS9_SG_NS0_5tupleIJPjSI_NS0_16reverse_iteratorISI_EEEEENSH_IJSG_SG_SG_EEES9_SI_JZNS1_25segmented_radix_sort_implINS0_14default_configELb0EPKiPiPKlPlN2at6native12_GLOBAL__N_18offset_tEEE10hipError_tPvRmT1_PNSt15iterator_traitsIS12_E10value_typeET2_T3_PNS13_IS18_E10value_typeET4_jRbjT5_S1E_jjP12ihipStream_tbEUljE_ZNSN_ISO_Lb0ESQ_SR_ST_SU_SY_EESZ_S10_S11_S12_S16_S17_S18_S1B_S1C_jS1D_jS1E_S1E_jjS1G_bEUljE0_EEESZ_S10_S11_S18_S1C_S1E_T6_T7_T9_mT8_S1G_bDpT10_ENKUlT_T0_E_clISt17integral_constantIbLb1EES1T_IbLb0EEEEDaS1P_S1Q_EUlS1P_E_NS1_11comp_targetILNS1_3genE2ELNS1_11target_archE906ELNS1_3gpuE6ELNS1_3repE0EEENS1_30default_config_static_selectorELNS0_4arch9wavefront6targetE0EEEvS12_
                                        ; -- End function
	.set _ZN7rocprim17ROCPRIM_400000_NS6detail17trampoline_kernelINS0_13select_configILj256ELj13ELNS0_17block_load_methodE3ELS4_3ELS4_3ELNS0_20block_scan_algorithmE0ELj4294967295EEENS1_25partition_config_selectorILNS1_17partition_subalgoE4EjNS0_10empty_typeEbEEZZNS1_14partition_implILS8_4ELb0ES6_15HIP_vector_typeIjLj2EENS0_17counting_iteratorIjlEEPS9_SG_NS0_5tupleIJPjSI_NS0_16reverse_iteratorISI_EEEEENSH_IJSG_SG_SG_EEES9_SI_JZNS1_25segmented_radix_sort_implINS0_14default_configELb0EPKiPiPKlPlN2at6native12_GLOBAL__N_18offset_tEEE10hipError_tPvRmT1_PNSt15iterator_traitsIS12_E10value_typeET2_T3_PNS13_IS18_E10value_typeET4_jRbjT5_S1E_jjP12ihipStream_tbEUljE_ZNSN_ISO_Lb0ESQ_SR_ST_SU_SY_EESZ_S10_S11_S12_S16_S17_S18_S1B_S1C_jS1D_jS1E_S1E_jjS1G_bEUljE0_EEESZ_S10_S11_S18_S1C_S1E_T6_T7_T9_mT8_S1G_bDpT10_ENKUlT_T0_E_clISt17integral_constantIbLb1EES1T_IbLb0EEEEDaS1P_S1Q_EUlS1P_E_NS1_11comp_targetILNS1_3genE2ELNS1_11target_archE906ELNS1_3gpuE6ELNS1_3repE0EEENS1_30default_config_static_selectorELNS0_4arch9wavefront6targetE0EEEvS12_.num_vgpr, 0
	.set _ZN7rocprim17ROCPRIM_400000_NS6detail17trampoline_kernelINS0_13select_configILj256ELj13ELNS0_17block_load_methodE3ELS4_3ELS4_3ELNS0_20block_scan_algorithmE0ELj4294967295EEENS1_25partition_config_selectorILNS1_17partition_subalgoE4EjNS0_10empty_typeEbEEZZNS1_14partition_implILS8_4ELb0ES6_15HIP_vector_typeIjLj2EENS0_17counting_iteratorIjlEEPS9_SG_NS0_5tupleIJPjSI_NS0_16reverse_iteratorISI_EEEEENSH_IJSG_SG_SG_EEES9_SI_JZNS1_25segmented_radix_sort_implINS0_14default_configELb0EPKiPiPKlPlN2at6native12_GLOBAL__N_18offset_tEEE10hipError_tPvRmT1_PNSt15iterator_traitsIS12_E10value_typeET2_T3_PNS13_IS18_E10value_typeET4_jRbjT5_S1E_jjP12ihipStream_tbEUljE_ZNSN_ISO_Lb0ESQ_SR_ST_SU_SY_EESZ_S10_S11_S12_S16_S17_S18_S1B_S1C_jS1D_jS1E_S1E_jjS1G_bEUljE0_EEESZ_S10_S11_S18_S1C_S1E_T6_T7_T9_mT8_S1G_bDpT10_ENKUlT_T0_E_clISt17integral_constantIbLb1EES1T_IbLb0EEEEDaS1P_S1Q_EUlS1P_E_NS1_11comp_targetILNS1_3genE2ELNS1_11target_archE906ELNS1_3gpuE6ELNS1_3repE0EEENS1_30default_config_static_selectorELNS0_4arch9wavefront6targetE0EEEvS12_.num_agpr, 0
	.set _ZN7rocprim17ROCPRIM_400000_NS6detail17trampoline_kernelINS0_13select_configILj256ELj13ELNS0_17block_load_methodE3ELS4_3ELS4_3ELNS0_20block_scan_algorithmE0ELj4294967295EEENS1_25partition_config_selectorILNS1_17partition_subalgoE4EjNS0_10empty_typeEbEEZZNS1_14partition_implILS8_4ELb0ES6_15HIP_vector_typeIjLj2EENS0_17counting_iteratorIjlEEPS9_SG_NS0_5tupleIJPjSI_NS0_16reverse_iteratorISI_EEEEENSH_IJSG_SG_SG_EEES9_SI_JZNS1_25segmented_radix_sort_implINS0_14default_configELb0EPKiPiPKlPlN2at6native12_GLOBAL__N_18offset_tEEE10hipError_tPvRmT1_PNSt15iterator_traitsIS12_E10value_typeET2_T3_PNS13_IS18_E10value_typeET4_jRbjT5_S1E_jjP12ihipStream_tbEUljE_ZNSN_ISO_Lb0ESQ_SR_ST_SU_SY_EESZ_S10_S11_S12_S16_S17_S18_S1B_S1C_jS1D_jS1E_S1E_jjS1G_bEUljE0_EEESZ_S10_S11_S18_S1C_S1E_T6_T7_T9_mT8_S1G_bDpT10_ENKUlT_T0_E_clISt17integral_constantIbLb1EES1T_IbLb0EEEEDaS1P_S1Q_EUlS1P_E_NS1_11comp_targetILNS1_3genE2ELNS1_11target_archE906ELNS1_3gpuE6ELNS1_3repE0EEENS1_30default_config_static_selectorELNS0_4arch9wavefront6targetE0EEEvS12_.numbered_sgpr, 0
	.set _ZN7rocprim17ROCPRIM_400000_NS6detail17trampoline_kernelINS0_13select_configILj256ELj13ELNS0_17block_load_methodE3ELS4_3ELS4_3ELNS0_20block_scan_algorithmE0ELj4294967295EEENS1_25partition_config_selectorILNS1_17partition_subalgoE4EjNS0_10empty_typeEbEEZZNS1_14partition_implILS8_4ELb0ES6_15HIP_vector_typeIjLj2EENS0_17counting_iteratorIjlEEPS9_SG_NS0_5tupleIJPjSI_NS0_16reverse_iteratorISI_EEEEENSH_IJSG_SG_SG_EEES9_SI_JZNS1_25segmented_radix_sort_implINS0_14default_configELb0EPKiPiPKlPlN2at6native12_GLOBAL__N_18offset_tEEE10hipError_tPvRmT1_PNSt15iterator_traitsIS12_E10value_typeET2_T3_PNS13_IS18_E10value_typeET4_jRbjT5_S1E_jjP12ihipStream_tbEUljE_ZNSN_ISO_Lb0ESQ_SR_ST_SU_SY_EESZ_S10_S11_S12_S16_S17_S18_S1B_S1C_jS1D_jS1E_S1E_jjS1G_bEUljE0_EEESZ_S10_S11_S18_S1C_S1E_T6_T7_T9_mT8_S1G_bDpT10_ENKUlT_T0_E_clISt17integral_constantIbLb1EES1T_IbLb0EEEEDaS1P_S1Q_EUlS1P_E_NS1_11comp_targetILNS1_3genE2ELNS1_11target_archE906ELNS1_3gpuE6ELNS1_3repE0EEENS1_30default_config_static_selectorELNS0_4arch9wavefront6targetE0EEEvS12_.num_named_barrier, 0
	.set _ZN7rocprim17ROCPRIM_400000_NS6detail17trampoline_kernelINS0_13select_configILj256ELj13ELNS0_17block_load_methodE3ELS4_3ELS4_3ELNS0_20block_scan_algorithmE0ELj4294967295EEENS1_25partition_config_selectorILNS1_17partition_subalgoE4EjNS0_10empty_typeEbEEZZNS1_14partition_implILS8_4ELb0ES6_15HIP_vector_typeIjLj2EENS0_17counting_iteratorIjlEEPS9_SG_NS0_5tupleIJPjSI_NS0_16reverse_iteratorISI_EEEEENSH_IJSG_SG_SG_EEES9_SI_JZNS1_25segmented_radix_sort_implINS0_14default_configELb0EPKiPiPKlPlN2at6native12_GLOBAL__N_18offset_tEEE10hipError_tPvRmT1_PNSt15iterator_traitsIS12_E10value_typeET2_T3_PNS13_IS18_E10value_typeET4_jRbjT5_S1E_jjP12ihipStream_tbEUljE_ZNSN_ISO_Lb0ESQ_SR_ST_SU_SY_EESZ_S10_S11_S12_S16_S17_S18_S1B_S1C_jS1D_jS1E_S1E_jjS1G_bEUljE0_EEESZ_S10_S11_S18_S1C_S1E_T6_T7_T9_mT8_S1G_bDpT10_ENKUlT_T0_E_clISt17integral_constantIbLb1EES1T_IbLb0EEEEDaS1P_S1Q_EUlS1P_E_NS1_11comp_targetILNS1_3genE2ELNS1_11target_archE906ELNS1_3gpuE6ELNS1_3repE0EEENS1_30default_config_static_selectorELNS0_4arch9wavefront6targetE0EEEvS12_.private_seg_size, 0
	.set _ZN7rocprim17ROCPRIM_400000_NS6detail17trampoline_kernelINS0_13select_configILj256ELj13ELNS0_17block_load_methodE3ELS4_3ELS4_3ELNS0_20block_scan_algorithmE0ELj4294967295EEENS1_25partition_config_selectorILNS1_17partition_subalgoE4EjNS0_10empty_typeEbEEZZNS1_14partition_implILS8_4ELb0ES6_15HIP_vector_typeIjLj2EENS0_17counting_iteratorIjlEEPS9_SG_NS0_5tupleIJPjSI_NS0_16reverse_iteratorISI_EEEEENSH_IJSG_SG_SG_EEES9_SI_JZNS1_25segmented_radix_sort_implINS0_14default_configELb0EPKiPiPKlPlN2at6native12_GLOBAL__N_18offset_tEEE10hipError_tPvRmT1_PNSt15iterator_traitsIS12_E10value_typeET2_T3_PNS13_IS18_E10value_typeET4_jRbjT5_S1E_jjP12ihipStream_tbEUljE_ZNSN_ISO_Lb0ESQ_SR_ST_SU_SY_EESZ_S10_S11_S12_S16_S17_S18_S1B_S1C_jS1D_jS1E_S1E_jjS1G_bEUljE0_EEESZ_S10_S11_S18_S1C_S1E_T6_T7_T9_mT8_S1G_bDpT10_ENKUlT_T0_E_clISt17integral_constantIbLb1EES1T_IbLb0EEEEDaS1P_S1Q_EUlS1P_E_NS1_11comp_targetILNS1_3genE2ELNS1_11target_archE906ELNS1_3gpuE6ELNS1_3repE0EEENS1_30default_config_static_selectorELNS0_4arch9wavefront6targetE0EEEvS12_.uses_vcc, 0
	.set _ZN7rocprim17ROCPRIM_400000_NS6detail17trampoline_kernelINS0_13select_configILj256ELj13ELNS0_17block_load_methodE3ELS4_3ELS4_3ELNS0_20block_scan_algorithmE0ELj4294967295EEENS1_25partition_config_selectorILNS1_17partition_subalgoE4EjNS0_10empty_typeEbEEZZNS1_14partition_implILS8_4ELb0ES6_15HIP_vector_typeIjLj2EENS0_17counting_iteratorIjlEEPS9_SG_NS0_5tupleIJPjSI_NS0_16reverse_iteratorISI_EEEEENSH_IJSG_SG_SG_EEES9_SI_JZNS1_25segmented_radix_sort_implINS0_14default_configELb0EPKiPiPKlPlN2at6native12_GLOBAL__N_18offset_tEEE10hipError_tPvRmT1_PNSt15iterator_traitsIS12_E10value_typeET2_T3_PNS13_IS18_E10value_typeET4_jRbjT5_S1E_jjP12ihipStream_tbEUljE_ZNSN_ISO_Lb0ESQ_SR_ST_SU_SY_EESZ_S10_S11_S12_S16_S17_S18_S1B_S1C_jS1D_jS1E_S1E_jjS1G_bEUljE0_EEESZ_S10_S11_S18_S1C_S1E_T6_T7_T9_mT8_S1G_bDpT10_ENKUlT_T0_E_clISt17integral_constantIbLb1EES1T_IbLb0EEEEDaS1P_S1Q_EUlS1P_E_NS1_11comp_targetILNS1_3genE2ELNS1_11target_archE906ELNS1_3gpuE6ELNS1_3repE0EEENS1_30default_config_static_selectorELNS0_4arch9wavefront6targetE0EEEvS12_.uses_flat_scratch, 0
	.set _ZN7rocprim17ROCPRIM_400000_NS6detail17trampoline_kernelINS0_13select_configILj256ELj13ELNS0_17block_load_methodE3ELS4_3ELS4_3ELNS0_20block_scan_algorithmE0ELj4294967295EEENS1_25partition_config_selectorILNS1_17partition_subalgoE4EjNS0_10empty_typeEbEEZZNS1_14partition_implILS8_4ELb0ES6_15HIP_vector_typeIjLj2EENS0_17counting_iteratorIjlEEPS9_SG_NS0_5tupleIJPjSI_NS0_16reverse_iteratorISI_EEEEENSH_IJSG_SG_SG_EEES9_SI_JZNS1_25segmented_radix_sort_implINS0_14default_configELb0EPKiPiPKlPlN2at6native12_GLOBAL__N_18offset_tEEE10hipError_tPvRmT1_PNSt15iterator_traitsIS12_E10value_typeET2_T3_PNS13_IS18_E10value_typeET4_jRbjT5_S1E_jjP12ihipStream_tbEUljE_ZNSN_ISO_Lb0ESQ_SR_ST_SU_SY_EESZ_S10_S11_S12_S16_S17_S18_S1B_S1C_jS1D_jS1E_S1E_jjS1G_bEUljE0_EEESZ_S10_S11_S18_S1C_S1E_T6_T7_T9_mT8_S1G_bDpT10_ENKUlT_T0_E_clISt17integral_constantIbLb1EES1T_IbLb0EEEEDaS1P_S1Q_EUlS1P_E_NS1_11comp_targetILNS1_3genE2ELNS1_11target_archE906ELNS1_3gpuE6ELNS1_3repE0EEENS1_30default_config_static_selectorELNS0_4arch9wavefront6targetE0EEEvS12_.has_dyn_sized_stack, 0
	.set _ZN7rocprim17ROCPRIM_400000_NS6detail17trampoline_kernelINS0_13select_configILj256ELj13ELNS0_17block_load_methodE3ELS4_3ELS4_3ELNS0_20block_scan_algorithmE0ELj4294967295EEENS1_25partition_config_selectorILNS1_17partition_subalgoE4EjNS0_10empty_typeEbEEZZNS1_14partition_implILS8_4ELb0ES6_15HIP_vector_typeIjLj2EENS0_17counting_iteratorIjlEEPS9_SG_NS0_5tupleIJPjSI_NS0_16reverse_iteratorISI_EEEEENSH_IJSG_SG_SG_EEES9_SI_JZNS1_25segmented_radix_sort_implINS0_14default_configELb0EPKiPiPKlPlN2at6native12_GLOBAL__N_18offset_tEEE10hipError_tPvRmT1_PNSt15iterator_traitsIS12_E10value_typeET2_T3_PNS13_IS18_E10value_typeET4_jRbjT5_S1E_jjP12ihipStream_tbEUljE_ZNSN_ISO_Lb0ESQ_SR_ST_SU_SY_EESZ_S10_S11_S12_S16_S17_S18_S1B_S1C_jS1D_jS1E_S1E_jjS1G_bEUljE0_EEESZ_S10_S11_S18_S1C_S1E_T6_T7_T9_mT8_S1G_bDpT10_ENKUlT_T0_E_clISt17integral_constantIbLb1EES1T_IbLb0EEEEDaS1P_S1Q_EUlS1P_E_NS1_11comp_targetILNS1_3genE2ELNS1_11target_archE906ELNS1_3gpuE6ELNS1_3repE0EEENS1_30default_config_static_selectorELNS0_4arch9wavefront6targetE0EEEvS12_.has_recursion, 0
	.set _ZN7rocprim17ROCPRIM_400000_NS6detail17trampoline_kernelINS0_13select_configILj256ELj13ELNS0_17block_load_methodE3ELS4_3ELS4_3ELNS0_20block_scan_algorithmE0ELj4294967295EEENS1_25partition_config_selectorILNS1_17partition_subalgoE4EjNS0_10empty_typeEbEEZZNS1_14partition_implILS8_4ELb0ES6_15HIP_vector_typeIjLj2EENS0_17counting_iteratorIjlEEPS9_SG_NS0_5tupleIJPjSI_NS0_16reverse_iteratorISI_EEEEENSH_IJSG_SG_SG_EEES9_SI_JZNS1_25segmented_radix_sort_implINS0_14default_configELb0EPKiPiPKlPlN2at6native12_GLOBAL__N_18offset_tEEE10hipError_tPvRmT1_PNSt15iterator_traitsIS12_E10value_typeET2_T3_PNS13_IS18_E10value_typeET4_jRbjT5_S1E_jjP12ihipStream_tbEUljE_ZNSN_ISO_Lb0ESQ_SR_ST_SU_SY_EESZ_S10_S11_S12_S16_S17_S18_S1B_S1C_jS1D_jS1E_S1E_jjS1G_bEUljE0_EEESZ_S10_S11_S18_S1C_S1E_T6_T7_T9_mT8_S1G_bDpT10_ENKUlT_T0_E_clISt17integral_constantIbLb1EES1T_IbLb0EEEEDaS1P_S1Q_EUlS1P_E_NS1_11comp_targetILNS1_3genE2ELNS1_11target_archE906ELNS1_3gpuE6ELNS1_3repE0EEENS1_30default_config_static_selectorELNS0_4arch9wavefront6targetE0EEEvS12_.has_indirect_call, 0
	.section	.AMDGPU.csdata,"",@progbits
; Kernel info:
; codeLenInByte = 0
; TotalNumSgprs: 0
; NumVgprs: 0
; ScratchSize: 0
; MemoryBound: 0
; FloatMode: 240
; IeeeMode: 1
; LDSByteSize: 0 bytes/workgroup (compile time only)
; SGPRBlocks: 0
; VGPRBlocks: 0
; NumSGPRsForWavesPerEU: 1
; NumVGPRsForWavesPerEU: 1
; Occupancy: 16
; WaveLimiterHint : 0
; COMPUTE_PGM_RSRC2:SCRATCH_EN: 0
; COMPUTE_PGM_RSRC2:USER_SGPR: 6
; COMPUTE_PGM_RSRC2:TRAP_HANDLER: 0
; COMPUTE_PGM_RSRC2:TGID_X_EN: 1
; COMPUTE_PGM_RSRC2:TGID_Y_EN: 0
; COMPUTE_PGM_RSRC2:TGID_Z_EN: 0
; COMPUTE_PGM_RSRC2:TIDIG_COMP_CNT: 0
	.section	.text._ZN7rocprim17ROCPRIM_400000_NS6detail17trampoline_kernelINS0_13select_configILj256ELj13ELNS0_17block_load_methodE3ELS4_3ELS4_3ELNS0_20block_scan_algorithmE0ELj4294967295EEENS1_25partition_config_selectorILNS1_17partition_subalgoE4EjNS0_10empty_typeEbEEZZNS1_14partition_implILS8_4ELb0ES6_15HIP_vector_typeIjLj2EENS0_17counting_iteratorIjlEEPS9_SG_NS0_5tupleIJPjSI_NS0_16reverse_iteratorISI_EEEEENSH_IJSG_SG_SG_EEES9_SI_JZNS1_25segmented_radix_sort_implINS0_14default_configELb0EPKiPiPKlPlN2at6native12_GLOBAL__N_18offset_tEEE10hipError_tPvRmT1_PNSt15iterator_traitsIS12_E10value_typeET2_T3_PNS13_IS18_E10value_typeET4_jRbjT5_S1E_jjP12ihipStream_tbEUljE_ZNSN_ISO_Lb0ESQ_SR_ST_SU_SY_EESZ_S10_S11_S12_S16_S17_S18_S1B_S1C_jS1D_jS1E_S1E_jjS1G_bEUljE0_EEESZ_S10_S11_S18_S1C_S1E_T6_T7_T9_mT8_S1G_bDpT10_ENKUlT_T0_E_clISt17integral_constantIbLb1EES1T_IbLb0EEEEDaS1P_S1Q_EUlS1P_E_NS1_11comp_targetILNS1_3genE10ELNS1_11target_archE1200ELNS1_3gpuE4ELNS1_3repE0EEENS1_30default_config_static_selectorELNS0_4arch9wavefront6targetE0EEEvS12_,"axG",@progbits,_ZN7rocprim17ROCPRIM_400000_NS6detail17trampoline_kernelINS0_13select_configILj256ELj13ELNS0_17block_load_methodE3ELS4_3ELS4_3ELNS0_20block_scan_algorithmE0ELj4294967295EEENS1_25partition_config_selectorILNS1_17partition_subalgoE4EjNS0_10empty_typeEbEEZZNS1_14partition_implILS8_4ELb0ES6_15HIP_vector_typeIjLj2EENS0_17counting_iteratorIjlEEPS9_SG_NS0_5tupleIJPjSI_NS0_16reverse_iteratorISI_EEEEENSH_IJSG_SG_SG_EEES9_SI_JZNS1_25segmented_radix_sort_implINS0_14default_configELb0EPKiPiPKlPlN2at6native12_GLOBAL__N_18offset_tEEE10hipError_tPvRmT1_PNSt15iterator_traitsIS12_E10value_typeET2_T3_PNS13_IS18_E10value_typeET4_jRbjT5_S1E_jjP12ihipStream_tbEUljE_ZNSN_ISO_Lb0ESQ_SR_ST_SU_SY_EESZ_S10_S11_S12_S16_S17_S18_S1B_S1C_jS1D_jS1E_S1E_jjS1G_bEUljE0_EEESZ_S10_S11_S18_S1C_S1E_T6_T7_T9_mT8_S1G_bDpT10_ENKUlT_T0_E_clISt17integral_constantIbLb1EES1T_IbLb0EEEEDaS1P_S1Q_EUlS1P_E_NS1_11comp_targetILNS1_3genE10ELNS1_11target_archE1200ELNS1_3gpuE4ELNS1_3repE0EEENS1_30default_config_static_selectorELNS0_4arch9wavefront6targetE0EEEvS12_,comdat
	.globl	_ZN7rocprim17ROCPRIM_400000_NS6detail17trampoline_kernelINS0_13select_configILj256ELj13ELNS0_17block_load_methodE3ELS4_3ELS4_3ELNS0_20block_scan_algorithmE0ELj4294967295EEENS1_25partition_config_selectorILNS1_17partition_subalgoE4EjNS0_10empty_typeEbEEZZNS1_14partition_implILS8_4ELb0ES6_15HIP_vector_typeIjLj2EENS0_17counting_iteratorIjlEEPS9_SG_NS0_5tupleIJPjSI_NS0_16reverse_iteratorISI_EEEEENSH_IJSG_SG_SG_EEES9_SI_JZNS1_25segmented_radix_sort_implINS0_14default_configELb0EPKiPiPKlPlN2at6native12_GLOBAL__N_18offset_tEEE10hipError_tPvRmT1_PNSt15iterator_traitsIS12_E10value_typeET2_T3_PNS13_IS18_E10value_typeET4_jRbjT5_S1E_jjP12ihipStream_tbEUljE_ZNSN_ISO_Lb0ESQ_SR_ST_SU_SY_EESZ_S10_S11_S12_S16_S17_S18_S1B_S1C_jS1D_jS1E_S1E_jjS1G_bEUljE0_EEESZ_S10_S11_S18_S1C_S1E_T6_T7_T9_mT8_S1G_bDpT10_ENKUlT_T0_E_clISt17integral_constantIbLb1EES1T_IbLb0EEEEDaS1P_S1Q_EUlS1P_E_NS1_11comp_targetILNS1_3genE10ELNS1_11target_archE1200ELNS1_3gpuE4ELNS1_3repE0EEENS1_30default_config_static_selectorELNS0_4arch9wavefront6targetE0EEEvS12_ ; -- Begin function _ZN7rocprim17ROCPRIM_400000_NS6detail17trampoline_kernelINS0_13select_configILj256ELj13ELNS0_17block_load_methodE3ELS4_3ELS4_3ELNS0_20block_scan_algorithmE0ELj4294967295EEENS1_25partition_config_selectorILNS1_17partition_subalgoE4EjNS0_10empty_typeEbEEZZNS1_14partition_implILS8_4ELb0ES6_15HIP_vector_typeIjLj2EENS0_17counting_iteratorIjlEEPS9_SG_NS0_5tupleIJPjSI_NS0_16reverse_iteratorISI_EEEEENSH_IJSG_SG_SG_EEES9_SI_JZNS1_25segmented_radix_sort_implINS0_14default_configELb0EPKiPiPKlPlN2at6native12_GLOBAL__N_18offset_tEEE10hipError_tPvRmT1_PNSt15iterator_traitsIS12_E10value_typeET2_T3_PNS13_IS18_E10value_typeET4_jRbjT5_S1E_jjP12ihipStream_tbEUljE_ZNSN_ISO_Lb0ESQ_SR_ST_SU_SY_EESZ_S10_S11_S12_S16_S17_S18_S1B_S1C_jS1D_jS1E_S1E_jjS1G_bEUljE0_EEESZ_S10_S11_S18_S1C_S1E_T6_T7_T9_mT8_S1G_bDpT10_ENKUlT_T0_E_clISt17integral_constantIbLb1EES1T_IbLb0EEEEDaS1P_S1Q_EUlS1P_E_NS1_11comp_targetILNS1_3genE10ELNS1_11target_archE1200ELNS1_3gpuE4ELNS1_3repE0EEENS1_30default_config_static_selectorELNS0_4arch9wavefront6targetE0EEEvS12_
	.p2align	8
	.type	_ZN7rocprim17ROCPRIM_400000_NS6detail17trampoline_kernelINS0_13select_configILj256ELj13ELNS0_17block_load_methodE3ELS4_3ELS4_3ELNS0_20block_scan_algorithmE0ELj4294967295EEENS1_25partition_config_selectorILNS1_17partition_subalgoE4EjNS0_10empty_typeEbEEZZNS1_14partition_implILS8_4ELb0ES6_15HIP_vector_typeIjLj2EENS0_17counting_iteratorIjlEEPS9_SG_NS0_5tupleIJPjSI_NS0_16reverse_iteratorISI_EEEEENSH_IJSG_SG_SG_EEES9_SI_JZNS1_25segmented_radix_sort_implINS0_14default_configELb0EPKiPiPKlPlN2at6native12_GLOBAL__N_18offset_tEEE10hipError_tPvRmT1_PNSt15iterator_traitsIS12_E10value_typeET2_T3_PNS13_IS18_E10value_typeET4_jRbjT5_S1E_jjP12ihipStream_tbEUljE_ZNSN_ISO_Lb0ESQ_SR_ST_SU_SY_EESZ_S10_S11_S12_S16_S17_S18_S1B_S1C_jS1D_jS1E_S1E_jjS1G_bEUljE0_EEESZ_S10_S11_S18_S1C_S1E_T6_T7_T9_mT8_S1G_bDpT10_ENKUlT_T0_E_clISt17integral_constantIbLb1EES1T_IbLb0EEEEDaS1P_S1Q_EUlS1P_E_NS1_11comp_targetILNS1_3genE10ELNS1_11target_archE1200ELNS1_3gpuE4ELNS1_3repE0EEENS1_30default_config_static_selectorELNS0_4arch9wavefront6targetE0EEEvS12_,@function
_ZN7rocprim17ROCPRIM_400000_NS6detail17trampoline_kernelINS0_13select_configILj256ELj13ELNS0_17block_load_methodE3ELS4_3ELS4_3ELNS0_20block_scan_algorithmE0ELj4294967295EEENS1_25partition_config_selectorILNS1_17partition_subalgoE4EjNS0_10empty_typeEbEEZZNS1_14partition_implILS8_4ELb0ES6_15HIP_vector_typeIjLj2EENS0_17counting_iteratorIjlEEPS9_SG_NS0_5tupleIJPjSI_NS0_16reverse_iteratorISI_EEEEENSH_IJSG_SG_SG_EEES9_SI_JZNS1_25segmented_radix_sort_implINS0_14default_configELb0EPKiPiPKlPlN2at6native12_GLOBAL__N_18offset_tEEE10hipError_tPvRmT1_PNSt15iterator_traitsIS12_E10value_typeET2_T3_PNS13_IS18_E10value_typeET4_jRbjT5_S1E_jjP12ihipStream_tbEUljE_ZNSN_ISO_Lb0ESQ_SR_ST_SU_SY_EESZ_S10_S11_S12_S16_S17_S18_S1B_S1C_jS1D_jS1E_S1E_jjS1G_bEUljE0_EEESZ_S10_S11_S18_S1C_S1E_T6_T7_T9_mT8_S1G_bDpT10_ENKUlT_T0_E_clISt17integral_constantIbLb1EES1T_IbLb0EEEEDaS1P_S1Q_EUlS1P_E_NS1_11comp_targetILNS1_3genE10ELNS1_11target_archE1200ELNS1_3gpuE4ELNS1_3repE0EEENS1_30default_config_static_selectorELNS0_4arch9wavefront6targetE0EEEvS12_: ; @_ZN7rocprim17ROCPRIM_400000_NS6detail17trampoline_kernelINS0_13select_configILj256ELj13ELNS0_17block_load_methodE3ELS4_3ELS4_3ELNS0_20block_scan_algorithmE0ELj4294967295EEENS1_25partition_config_selectorILNS1_17partition_subalgoE4EjNS0_10empty_typeEbEEZZNS1_14partition_implILS8_4ELb0ES6_15HIP_vector_typeIjLj2EENS0_17counting_iteratorIjlEEPS9_SG_NS0_5tupleIJPjSI_NS0_16reverse_iteratorISI_EEEEENSH_IJSG_SG_SG_EEES9_SI_JZNS1_25segmented_radix_sort_implINS0_14default_configELb0EPKiPiPKlPlN2at6native12_GLOBAL__N_18offset_tEEE10hipError_tPvRmT1_PNSt15iterator_traitsIS12_E10value_typeET2_T3_PNS13_IS18_E10value_typeET4_jRbjT5_S1E_jjP12ihipStream_tbEUljE_ZNSN_ISO_Lb0ESQ_SR_ST_SU_SY_EESZ_S10_S11_S12_S16_S17_S18_S1B_S1C_jS1D_jS1E_S1E_jjS1G_bEUljE0_EEESZ_S10_S11_S18_S1C_S1E_T6_T7_T9_mT8_S1G_bDpT10_ENKUlT_T0_E_clISt17integral_constantIbLb1EES1T_IbLb0EEEEDaS1P_S1Q_EUlS1P_E_NS1_11comp_targetILNS1_3genE10ELNS1_11target_archE1200ELNS1_3gpuE4ELNS1_3repE0EEENS1_30default_config_static_selectorELNS0_4arch9wavefront6targetE0EEEvS12_
; %bb.0:
	.section	.rodata,"a",@progbits
	.p2align	6, 0x0
	.amdhsa_kernel _ZN7rocprim17ROCPRIM_400000_NS6detail17trampoline_kernelINS0_13select_configILj256ELj13ELNS0_17block_load_methodE3ELS4_3ELS4_3ELNS0_20block_scan_algorithmE0ELj4294967295EEENS1_25partition_config_selectorILNS1_17partition_subalgoE4EjNS0_10empty_typeEbEEZZNS1_14partition_implILS8_4ELb0ES6_15HIP_vector_typeIjLj2EENS0_17counting_iteratorIjlEEPS9_SG_NS0_5tupleIJPjSI_NS0_16reverse_iteratorISI_EEEEENSH_IJSG_SG_SG_EEES9_SI_JZNS1_25segmented_radix_sort_implINS0_14default_configELb0EPKiPiPKlPlN2at6native12_GLOBAL__N_18offset_tEEE10hipError_tPvRmT1_PNSt15iterator_traitsIS12_E10value_typeET2_T3_PNS13_IS18_E10value_typeET4_jRbjT5_S1E_jjP12ihipStream_tbEUljE_ZNSN_ISO_Lb0ESQ_SR_ST_SU_SY_EESZ_S10_S11_S12_S16_S17_S18_S1B_S1C_jS1D_jS1E_S1E_jjS1G_bEUljE0_EEESZ_S10_S11_S18_S1C_S1E_T6_T7_T9_mT8_S1G_bDpT10_ENKUlT_T0_E_clISt17integral_constantIbLb1EES1T_IbLb0EEEEDaS1P_S1Q_EUlS1P_E_NS1_11comp_targetILNS1_3genE10ELNS1_11target_archE1200ELNS1_3gpuE4ELNS1_3repE0EEENS1_30default_config_static_selectorELNS0_4arch9wavefront6targetE0EEEvS12_
		.amdhsa_group_segment_fixed_size 0
		.amdhsa_private_segment_fixed_size 0
		.amdhsa_kernarg_size 176
		.amdhsa_user_sgpr_count 6
		.amdhsa_user_sgpr_private_segment_buffer 1
		.amdhsa_user_sgpr_dispatch_ptr 0
		.amdhsa_user_sgpr_queue_ptr 0
		.amdhsa_user_sgpr_kernarg_segment_ptr 1
		.amdhsa_user_sgpr_dispatch_id 0
		.amdhsa_user_sgpr_flat_scratch_init 0
		.amdhsa_user_sgpr_private_segment_size 0
		.amdhsa_wavefront_size32 1
		.amdhsa_uses_dynamic_stack 0
		.amdhsa_system_sgpr_private_segment_wavefront_offset 0
		.amdhsa_system_sgpr_workgroup_id_x 1
		.amdhsa_system_sgpr_workgroup_id_y 0
		.amdhsa_system_sgpr_workgroup_id_z 0
		.amdhsa_system_sgpr_workgroup_info 0
		.amdhsa_system_vgpr_workitem_id 0
		.amdhsa_next_free_vgpr 1
		.amdhsa_next_free_sgpr 1
		.amdhsa_reserve_vcc 0
		.amdhsa_reserve_flat_scratch 0
		.amdhsa_float_round_mode_32 0
		.amdhsa_float_round_mode_16_64 0
		.amdhsa_float_denorm_mode_32 3
		.amdhsa_float_denorm_mode_16_64 3
		.amdhsa_dx10_clamp 1
		.amdhsa_ieee_mode 1
		.amdhsa_fp16_overflow 0
		.amdhsa_workgroup_processor_mode 1
		.amdhsa_memory_ordered 1
		.amdhsa_forward_progress 1
		.amdhsa_shared_vgpr_count 0
		.amdhsa_exception_fp_ieee_invalid_op 0
		.amdhsa_exception_fp_denorm_src 0
		.amdhsa_exception_fp_ieee_div_zero 0
		.amdhsa_exception_fp_ieee_overflow 0
		.amdhsa_exception_fp_ieee_underflow 0
		.amdhsa_exception_fp_ieee_inexact 0
		.amdhsa_exception_int_div_zero 0
	.end_amdhsa_kernel
	.section	.text._ZN7rocprim17ROCPRIM_400000_NS6detail17trampoline_kernelINS0_13select_configILj256ELj13ELNS0_17block_load_methodE3ELS4_3ELS4_3ELNS0_20block_scan_algorithmE0ELj4294967295EEENS1_25partition_config_selectorILNS1_17partition_subalgoE4EjNS0_10empty_typeEbEEZZNS1_14partition_implILS8_4ELb0ES6_15HIP_vector_typeIjLj2EENS0_17counting_iteratorIjlEEPS9_SG_NS0_5tupleIJPjSI_NS0_16reverse_iteratorISI_EEEEENSH_IJSG_SG_SG_EEES9_SI_JZNS1_25segmented_radix_sort_implINS0_14default_configELb0EPKiPiPKlPlN2at6native12_GLOBAL__N_18offset_tEEE10hipError_tPvRmT1_PNSt15iterator_traitsIS12_E10value_typeET2_T3_PNS13_IS18_E10value_typeET4_jRbjT5_S1E_jjP12ihipStream_tbEUljE_ZNSN_ISO_Lb0ESQ_SR_ST_SU_SY_EESZ_S10_S11_S12_S16_S17_S18_S1B_S1C_jS1D_jS1E_S1E_jjS1G_bEUljE0_EEESZ_S10_S11_S18_S1C_S1E_T6_T7_T9_mT8_S1G_bDpT10_ENKUlT_T0_E_clISt17integral_constantIbLb1EES1T_IbLb0EEEEDaS1P_S1Q_EUlS1P_E_NS1_11comp_targetILNS1_3genE10ELNS1_11target_archE1200ELNS1_3gpuE4ELNS1_3repE0EEENS1_30default_config_static_selectorELNS0_4arch9wavefront6targetE0EEEvS12_,"axG",@progbits,_ZN7rocprim17ROCPRIM_400000_NS6detail17trampoline_kernelINS0_13select_configILj256ELj13ELNS0_17block_load_methodE3ELS4_3ELS4_3ELNS0_20block_scan_algorithmE0ELj4294967295EEENS1_25partition_config_selectorILNS1_17partition_subalgoE4EjNS0_10empty_typeEbEEZZNS1_14partition_implILS8_4ELb0ES6_15HIP_vector_typeIjLj2EENS0_17counting_iteratorIjlEEPS9_SG_NS0_5tupleIJPjSI_NS0_16reverse_iteratorISI_EEEEENSH_IJSG_SG_SG_EEES9_SI_JZNS1_25segmented_radix_sort_implINS0_14default_configELb0EPKiPiPKlPlN2at6native12_GLOBAL__N_18offset_tEEE10hipError_tPvRmT1_PNSt15iterator_traitsIS12_E10value_typeET2_T3_PNS13_IS18_E10value_typeET4_jRbjT5_S1E_jjP12ihipStream_tbEUljE_ZNSN_ISO_Lb0ESQ_SR_ST_SU_SY_EESZ_S10_S11_S12_S16_S17_S18_S1B_S1C_jS1D_jS1E_S1E_jjS1G_bEUljE0_EEESZ_S10_S11_S18_S1C_S1E_T6_T7_T9_mT8_S1G_bDpT10_ENKUlT_T0_E_clISt17integral_constantIbLb1EES1T_IbLb0EEEEDaS1P_S1Q_EUlS1P_E_NS1_11comp_targetILNS1_3genE10ELNS1_11target_archE1200ELNS1_3gpuE4ELNS1_3repE0EEENS1_30default_config_static_selectorELNS0_4arch9wavefront6targetE0EEEvS12_,comdat
.Lfunc_end552:
	.size	_ZN7rocprim17ROCPRIM_400000_NS6detail17trampoline_kernelINS0_13select_configILj256ELj13ELNS0_17block_load_methodE3ELS4_3ELS4_3ELNS0_20block_scan_algorithmE0ELj4294967295EEENS1_25partition_config_selectorILNS1_17partition_subalgoE4EjNS0_10empty_typeEbEEZZNS1_14partition_implILS8_4ELb0ES6_15HIP_vector_typeIjLj2EENS0_17counting_iteratorIjlEEPS9_SG_NS0_5tupleIJPjSI_NS0_16reverse_iteratorISI_EEEEENSH_IJSG_SG_SG_EEES9_SI_JZNS1_25segmented_radix_sort_implINS0_14default_configELb0EPKiPiPKlPlN2at6native12_GLOBAL__N_18offset_tEEE10hipError_tPvRmT1_PNSt15iterator_traitsIS12_E10value_typeET2_T3_PNS13_IS18_E10value_typeET4_jRbjT5_S1E_jjP12ihipStream_tbEUljE_ZNSN_ISO_Lb0ESQ_SR_ST_SU_SY_EESZ_S10_S11_S12_S16_S17_S18_S1B_S1C_jS1D_jS1E_S1E_jjS1G_bEUljE0_EEESZ_S10_S11_S18_S1C_S1E_T6_T7_T9_mT8_S1G_bDpT10_ENKUlT_T0_E_clISt17integral_constantIbLb1EES1T_IbLb0EEEEDaS1P_S1Q_EUlS1P_E_NS1_11comp_targetILNS1_3genE10ELNS1_11target_archE1200ELNS1_3gpuE4ELNS1_3repE0EEENS1_30default_config_static_selectorELNS0_4arch9wavefront6targetE0EEEvS12_, .Lfunc_end552-_ZN7rocprim17ROCPRIM_400000_NS6detail17trampoline_kernelINS0_13select_configILj256ELj13ELNS0_17block_load_methodE3ELS4_3ELS4_3ELNS0_20block_scan_algorithmE0ELj4294967295EEENS1_25partition_config_selectorILNS1_17partition_subalgoE4EjNS0_10empty_typeEbEEZZNS1_14partition_implILS8_4ELb0ES6_15HIP_vector_typeIjLj2EENS0_17counting_iteratorIjlEEPS9_SG_NS0_5tupleIJPjSI_NS0_16reverse_iteratorISI_EEEEENSH_IJSG_SG_SG_EEES9_SI_JZNS1_25segmented_radix_sort_implINS0_14default_configELb0EPKiPiPKlPlN2at6native12_GLOBAL__N_18offset_tEEE10hipError_tPvRmT1_PNSt15iterator_traitsIS12_E10value_typeET2_T3_PNS13_IS18_E10value_typeET4_jRbjT5_S1E_jjP12ihipStream_tbEUljE_ZNSN_ISO_Lb0ESQ_SR_ST_SU_SY_EESZ_S10_S11_S12_S16_S17_S18_S1B_S1C_jS1D_jS1E_S1E_jjS1G_bEUljE0_EEESZ_S10_S11_S18_S1C_S1E_T6_T7_T9_mT8_S1G_bDpT10_ENKUlT_T0_E_clISt17integral_constantIbLb1EES1T_IbLb0EEEEDaS1P_S1Q_EUlS1P_E_NS1_11comp_targetILNS1_3genE10ELNS1_11target_archE1200ELNS1_3gpuE4ELNS1_3repE0EEENS1_30default_config_static_selectorELNS0_4arch9wavefront6targetE0EEEvS12_
                                        ; -- End function
	.set _ZN7rocprim17ROCPRIM_400000_NS6detail17trampoline_kernelINS0_13select_configILj256ELj13ELNS0_17block_load_methodE3ELS4_3ELS4_3ELNS0_20block_scan_algorithmE0ELj4294967295EEENS1_25partition_config_selectorILNS1_17partition_subalgoE4EjNS0_10empty_typeEbEEZZNS1_14partition_implILS8_4ELb0ES6_15HIP_vector_typeIjLj2EENS0_17counting_iteratorIjlEEPS9_SG_NS0_5tupleIJPjSI_NS0_16reverse_iteratorISI_EEEEENSH_IJSG_SG_SG_EEES9_SI_JZNS1_25segmented_radix_sort_implINS0_14default_configELb0EPKiPiPKlPlN2at6native12_GLOBAL__N_18offset_tEEE10hipError_tPvRmT1_PNSt15iterator_traitsIS12_E10value_typeET2_T3_PNS13_IS18_E10value_typeET4_jRbjT5_S1E_jjP12ihipStream_tbEUljE_ZNSN_ISO_Lb0ESQ_SR_ST_SU_SY_EESZ_S10_S11_S12_S16_S17_S18_S1B_S1C_jS1D_jS1E_S1E_jjS1G_bEUljE0_EEESZ_S10_S11_S18_S1C_S1E_T6_T7_T9_mT8_S1G_bDpT10_ENKUlT_T0_E_clISt17integral_constantIbLb1EES1T_IbLb0EEEEDaS1P_S1Q_EUlS1P_E_NS1_11comp_targetILNS1_3genE10ELNS1_11target_archE1200ELNS1_3gpuE4ELNS1_3repE0EEENS1_30default_config_static_selectorELNS0_4arch9wavefront6targetE0EEEvS12_.num_vgpr, 0
	.set _ZN7rocprim17ROCPRIM_400000_NS6detail17trampoline_kernelINS0_13select_configILj256ELj13ELNS0_17block_load_methodE3ELS4_3ELS4_3ELNS0_20block_scan_algorithmE0ELj4294967295EEENS1_25partition_config_selectorILNS1_17partition_subalgoE4EjNS0_10empty_typeEbEEZZNS1_14partition_implILS8_4ELb0ES6_15HIP_vector_typeIjLj2EENS0_17counting_iteratorIjlEEPS9_SG_NS0_5tupleIJPjSI_NS0_16reverse_iteratorISI_EEEEENSH_IJSG_SG_SG_EEES9_SI_JZNS1_25segmented_radix_sort_implINS0_14default_configELb0EPKiPiPKlPlN2at6native12_GLOBAL__N_18offset_tEEE10hipError_tPvRmT1_PNSt15iterator_traitsIS12_E10value_typeET2_T3_PNS13_IS18_E10value_typeET4_jRbjT5_S1E_jjP12ihipStream_tbEUljE_ZNSN_ISO_Lb0ESQ_SR_ST_SU_SY_EESZ_S10_S11_S12_S16_S17_S18_S1B_S1C_jS1D_jS1E_S1E_jjS1G_bEUljE0_EEESZ_S10_S11_S18_S1C_S1E_T6_T7_T9_mT8_S1G_bDpT10_ENKUlT_T0_E_clISt17integral_constantIbLb1EES1T_IbLb0EEEEDaS1P_S1Q_EUlS1P_E_NS1_11comp_targetILNS1_3genE10ELNS1_11target_archE1200ELNS1_3gpuE4ELNS1_3repE0EEENS1_30default_config_static_selectorELNS0_4arch9wavefront6targetE0EEEvS12_.num_agpr, 0
	.set _ZN7rocprim17ROCPRIM_400000_NS6detail17trampoline_kernelINS0_13select_configILj256ELj13ELNS0_17block_load_methodE3ELS4_3ELS4_3ELNS0_20block_scan_algorithmE0ELj4294967295EEENS1_25partition_config_selectorILNS1_17partition_subalgoE4EjNS0_10empty_typeEbEEZZNS1_14partition_implILS8_4ELb0ES6_15HIP_vector_typeIjLj2EENS0_17counting_iteratorIjlEEPS9_SG_NS0_5tupleIJPjSI_NS0_16reverse_iteratorISI_EEEEENSH_IJSG_SG_SG_EEES9_SI_JZNS1_25segmented_radix_sort_implINS0_14default_configELb0EPKiPiPKlPlN2at6native12_GLOBAL__N_18offset_tEEE10hipError_tPvRmT1_PNSt15iterator_traitsIS12_E10value_typeET2_T3_PNS13_IS18_E10value_typeET4_jRbjT5_S1E_jjP12ihipStream_tbEUljE_ZNSN_ISO_Lb0ESQ_SR_ST_SU_SY_EESZ_S10_S11_S12_S16_S17_S18_S1B_S1C_jS1D_jS1E_S1E_jjS1G_bEUljE0_EEESZ_S10_S11_S18_S1C_S1E_T6_T7_T9_mT8_S1G_bDpT10_ENKUlT_T0_E_clISt17integral_constantIbLb1EES1T_IbLb0EEEEDaS1P_S1Q_EUlS1P_E_NS1_11comp_targetILNS1_3genE10ELNS1_11target_archE1200ELNS1_3gpuE4ELNS1_3repE0EEENS1_30default_config_static_selectorELNS0_4arch9wavefront6targetE0EEEvS12_.numbered_sgpr, 0
	.set _ZN7rocprim17ROCPRIM_400000_NS6detail17trampoline_kernelINS0_13select_configILj256ELj13ELNS0_17block_load_methodE3ELS4_3ELS4_3ELNS0_20block_scan_algorithmE0ELj4294967295EEENS1_25partition_config_selectorILNS1_17partition_subalgoE4EjNS0_10empty_typeEbEEZZNS1_14partition_implILS8_4ELb0ES6_15HIP_vector_typeIjLj2EENS0_17counting_iteratorIjlEEPS9_SG_NS0_5tupleIJPjSI_NS0_16reverse_iteratorISI_EEEEENSH_IJSG_SG_SG_EEES9_SI_JZNS1_25segmented_radix_sort_implINS0_14default_configELb0EPKiPiPKlPlN2at6native12_GLOBAL__N_18offset_tEEE10hipError_tPvRmT1_PNSt15iterator_traitsIS12_E10value_typeET2_T3_PNS13_IS18_E10value_typeET4_jRbjT5_S1E_jjP12ihipStream_tbEUljE_ZNSN_ISO_Lb0ESQ_SR_ST_SU_SY_EESZ_S10_S11_S12_S16_S17_S18_S1B_S1C_jS1D_jS1E_S1E_jjS1G_bEUljE0_EEESZ_S10_S11_S18_S1C_S1E_T6_T7_T9_mT8_S1G_bDpT10_ENKUlT_T0_E_clISt17integral_constantIbLb1EES1T_IbLb0EEEEDaS1P_S1Q_EUlS1P_E_NS1_11comp_targetILNS1_3genE10ELNS1_11target_archE1200ELNS1_3gpuE4ELNS1_3repE0EEENS1_30default_config_static_selectorELNS0_4arch9wavefront6targetE0EEEvS12_.num_named_barrier, 0
	.set _ZN7rocprim17ROCPRIM_400000_NS6detail17trampoline_kernelINS0_13select_configILj256ELj13ELNS0_17block_load_methodE3ELS4_3ELS4_3ELNS0_20block_scan_algorithmE0ELj4294967295EEENS1_25partition_config_selectorILNS1_17partition_subalgoE4EjNS0_10empty_typeEbEEZZNS1_14partition_implILS8_4ELb0ES6_15HIP_vector_typeIjLj2EENS0_17counting_iteratorIjlEEPS9_SG_NS0_5tupleIJPjSI_NS0_16reverse_iteratorISI_EEEEENSH_IJSG_SG_SG_EEES9_SI_JZNS1_25segmented_radix_sort_implINS0_14default_configELb0EPKiPiPKlPlN2at6native12_GLOBAL__N_18offset_tEEE10hipError_tPvRmT1_PNSt15iterator_traitsIS12_E10value_typeET2_T3_PNS13_IS18_E10value_typeET4_jRbjT5_S1E_jjP12ihipStream_tbEUljE_ZNSN_ISO_Lb0ESQ_SR_ST_SU_SY_EESZ_S10_S11_S12_S16_S17_S18_S1B_S1C_jS1D_jS1E_S1E_jjS1G_bEUljE0_EEESZ_S10_S11_S18_S1C_S1E_T6_T7_T9_mT8_S1G_bDpT10_ENKUlT_T0_E_clISt17integral_constantIbLb1EES1T_IbLb0EEEEDaS1P_S1Q_EUlS1P_E_NS1_11comp_targetILNS1_3genE10ELNS1_11target_archE1200ELNS1_3gpuE4ELNS1_3repE0EEENS1_30default_config_static_selectorELNS0_4arch9wavefront6targetE0EEEvS12_.private_seg_size, 0
	.set _ZN7rocprim17ROCPRIM_400000_NS6detail17trampoline_kernelINS0_13select_configILj256ELj13ELNS0_17block_load_methodE3ELS4_3ELS4_3ELNS0_20block_scan_algorithmE0ELj4294967295EEENS1_25partition_config_selectorILNS1_17partition_subalgoE4EjNS0_10empty_typeEbEEZZNS1_14partition_implILS8_4ELb0ES6_15HIP_vector_typeIjLj2EENS0_17counting_iteratorIjlEEPS9_SG_NS0_5tupleIJPjSI_NS0_16reverse_iteratorISI_EEEEENSH_IJSG_SG_SG_EEES9_SI_JZNS1_25segmented_radix_sort_implINS0_14default_configELb0EPKiPiPKlPlN2at6native12_GLOBAL__N_18offset_tEEE10hipError_tPvRmT1_PNSt15iterator_traitsIS12_E10value_typeET2_T3_PNS13_IS18_E10value_typeET4_jRbjT5_S1E_jjP12ihipStream_tbEUljE_ZNSN_ISO_Lb0ESQ_SR_ST_SU_SY_EESZ_S10_S11_S12_S16_S17_S18_S1B_S1C_jS1D_jS1E_S1E_jjS1G_bEUljE0_EEESZ_S10_S11_S18_S1C_S1E_T6_T7_T9_mT8_S1G_bDpT10_ENKUlT_T0_E_clISt17integral_constantIbLb1EES1T_IbLb0EEEEDaS1P_S1Q_EUlS1P_E_NS1_11comp_targetILNS1_3genE10ELNS1_11target_archE1200ELNS1_3gpuE4ELNS1_3repE0EEENS1_30default_config_static_selectorELNS0_4arch9wavefront6targetE0EEEvS12_.uses_vcc, 0
	.set _ZN7rocprim17ROCPRIM_400000_NS6detail17trampoline_kernelINS0_13select_configILj256ELj13ELNS0_17block_load_methodE3ELS4_3ELS4_3ELNS0_20block_scan_algorithmE0ELj4294967295EEENS1_25partition_config_selectorILNS1_17partition_subalgoE4EjNS0_10empty_typeEbEEZZNS1_14partition_implILS8_4ELb0ES6_15HIP_vector_typeIjLj2EENS0_17counting_iteratorIjlEEPS9_SG_NS0_5tupleIJPjSI_NS0_16reverse_iteratorISI_EEEEENSH_IJSG_SG_SG_EEES9_SI_JZNS1_25segmented_radix_sort_implINS0_14default_configELb0EPKiPiPKlPlN2at6native12_GLOBAL__N_18offset_tEEE10hipError_tPvRmT1_PNSt15iterator_traitsIS12_E10value_typeET2_T3_PNS13_IS18_E10value_typeET4_jRbjT5_S1E_jjP12ihipStream_tbEUljE_ZNSN_ISO_Lb0ESQ_SR_ST_SU_SY_EESZ_S10_S11_S12_S16_S17_S18_S1B_S1C_jS1D_jS1E_S1E_jjS1G_bEUljE0_EEESZ_S10_S11_S18_S1C_S1E_T6_T7_T9_mT8_S1G_bDpT10_ENKUlT_T0_E_clISt17integral_constantIbLb1EES1T_IbLb0EEEEDaS1P_S1Q_EUlS1P_E_NS1_11comp_targetILNS1_3genE10ELNS1_11target_archE1200ELNS1_3gpuE4ELNS1_3repE0EEENS1_30default_config_static_selectorELNS0_4arch9wavefront6targetE0EEEvS12_.uses_flat_scratch, 0
	.set _ZN7rocprim17ROCPRIM_400000_NS6detail17trampoline_kernelINS0_13select_configILj256ELj13ELNS0_17block_load_methodE3ELS4_3ELS4_3ELNS0_20block_scan_algorithmE0ELj4294967295EEENS1_25partition_config_selectorILNS1_17partition_subalgoE4EjNS0_10empty_typeEbEEZZNS1_14partition_implILS8_4ELb0ES6_15HIP_vector_typeIjLj2EENS0_17counting_iteratorIjlEEPS9_SG_NS0_5tupleIJPjSI_NS0_16reverse_iteratorISI_EEEEENSH_IJSG_SG_SG_EEES9_SI_JZNS1_25segmented_radix_sort_implINS0_14default_configELb0EPKiPiPKlPlN2at6native12_GLOBAL__N_18offset_tEEE10hipError_tPvRmT1_PNSt15iterator_traitsIS12_E10value_typeET2_T3_PNS13_IS18_E10value_typeET4_jRbjT5_S1E_jjP12ihipStream_tbEUljE_ZNSN_ISO_Lb0ESQ_SR_ST_SU_SY_EESZ_S10_S11_S12_S16_S17_S18_S1B_S1C_jS1D_jS1E_S1E_jjS1G_bEUljE0_EEESZ_S10_S11_S18_S1C_S1E_T6_T7_T9_mT8_S1G_bDpT10_ENKUlT_T0_E_clISt17integral_constantIbLb1EES1T_IbLb0EEEEDaS1P_S1Q_EUlS1P_E_NS1_11comp_targetILNS1_3genE10ELNS1_11target_archE1200ELNS1_3gpuE4ELNS1_3repE0EEENS1_30default_config_static_selectorELNS0_4arch9wavefront6targetE0EEEvS12_.has_dyn_sized_stack, 0
	.set _ZN7rocprim17ROCPRIM_400000_NS6detail17trampoline_kernelINS0_13select_configILj256ELj13ELNS0_17block_load_methodE3ELS4_3ELS4_3ELNS0_20block_scan_algorithmE0ELj4294967295EEENS1_25partition_config_selectorILNS1_17partition_subalgoE4EjNS0_10empty_typeEbEEZZNS1_14partition_implILS8_4ELb0ES6_15HIP_vector_typeIjLj2EENS0_17counting_iteratorIjlEEPS9_SG_NS0_5tupleIJPjSI_NS0_16reverse_iteratorISI_EEEEENSH_IJSG_SG_SG_EEES9_SI_JZNS1_25segmented_radix_sort_implINS0_14default_configELb0EPKiPiPKlPlN2at6native12_GLOBAL__N_18offset_tEEE10hipError_tPvRmT1_PNSt15iterator_traitsIS12_E10value_typeET2_T3_PNS13_IS18_E10value_typeET4_jRbjT5_S1E_jjP12ihipStream_tbEUljE_ZNSN_ISO_Lb0ESQ_SR_ST_SU_SY_EESZ_S10_S11_S12_S16_S17_S18_S1B_S1C_jS1D_jS1E_S1E_jjS1G_bEUljE0_EEESZ_S10_S11_S18_S1C_S1E_T6_T7_T9_mT8_S1G_bDpT10_ENKUlT_T0_E_clISt17integral_constantIbLb1EES1T_IbLb0EEEEDaS1P_S1Q_EUlS1P_E_NS1_11comp_targetILNS1_3genE10ELNS1_11target_archE1200ELNS1_3gpuE4ELNS1_3repE0EEENS1_30default_config_static_selectorELNS0_4arch9wavefront6targetE0EEEvS12_.has_recursion, 0
	.set _ZN7rocprim17ROCPRIM_400000_NS6detail17trampoline_kernelINS0_13select_configILj256ELj13ELNS0_17block_load_methodE3ELS4_3ELS4_3ELNS0_20block_scan_algorithmE0ELj4294967295EEENS1_25partition_config_selectorILNS1_17partition_subalgoE4EjNS0_10empty_typeEbEEZZNS1_14partition_implILS8_4ELb0ES6_15HIP_vector_typeIjLj2EENS0_17counting_iteratorIjlEEPS9_SG_NS0_5tupleIJPjSI_NS0_16reverse_iteratorISI_EEEEENSH_IJSG_SG_SG_EEES9_SI_JZNS1_25segmented_radix_sort_implINS0_14default_configELb0EPKiPiPKlPlN2at6native12_GLOBAL__N_18offset_tEEE10hipError_tPvRmT1_PNSt15iterator_traitsIS12_E10value_typeET2_T3_PNS13_IS18_E10value_typeET4_jRbjT5_S1E_jjP12ihipStream_tbEUljE_ZNSN_ISO_Lb0ESQ_SR_ST_SU_SY_EESZ_S10_S11_S12_S16_S17_S18_S1B_S1C_jS1D_jS1E_S1E_jjS1G_bEUljE0_EEESZ_S10_S11_S18_S1C_S1E_T6_T7_T9_mT8_S1G_bDpT10_ENKUlT_T0_E_clISt17integral_constantIbLb1EES1T_IbLb0EEEEDaS1P_S1Q_EUlS1P_E_NS1_11comp_targetILNS1_3genE10ELNS1_11target_archE1200ELNS1_3gpuE4ELNS1_3repE0EEENS1_30default_config_static_selectorELNS0_4arch9wavefront6targetE0EEEvS12_.has_indirect_call, 0
	.section	.AMDGPU.csdata,"",@progbits
; Kernel info:
; codeLenInByte = 0
; TotalNumSgprs: 0
; NumVgprs: 0
; ScratchSize: 0
; MemoryBound: 0
; FloatMode: 240
; IeeeMode: 1
; LDSByteSize: 0 bytes/workgroup (compile time only)
; SGPRBlocks: 0
; VGPRBlocks: 0
; NumSGPRsForWavesPerEU: 1
; NumVGPRsForWavesPerEU: 1
; Occupancy: 16
; WaveLimiterHint : 0
; COMPUTE_PGM_RSRC2:SCRATCH_EN: 0
; COMPUTE_PGM_RSRC2:USER_SGPR: 6
; COMPUTE_PGM_RSRC2:TRAP_HANDLER: 0
; COMPUTE_PGM_RSRC2:TGID_X_EN: 1
; COMPUTE_PGM_RSRC2:TGID_Y_EN: 0
; COMPUTE_PGM_RSRC2:TGID_Z_EN: 0
; COMPUTE_PGM_RSRC2:TIDIG_COMP_CNT: 0
	.section	.text._ZN7rocprim17ROCPRIM_400000_NS6detail17trampoline_kernelINS0_13select_configILj256ELj13ELNS0_17block_load_methodE3ELS4_3ELS4_3ELNS0_20block_scan_algorithmE0ELj4294967295EEENS1_25partition_config_selectorILNS1_17partition_subalgoE4EjNS0_10empty_typeEbEEZZNS1_14partition_implILS8_4ELb0ES6_15HIP_vector_typeIjLj2EENS0_17counting_iteratorIjlEEPS9_SG_NS0_5tupleIJPjSI_NS0_16reverse_iteratorISI_EEEEENSH_IJSG_SG_SG_EEES9_SI_JZNS1_25segmented_radix_sort_implINS0_14default_configELb0EPKiPiPKlPlN2at6native12_GLOBAL__N_18offset_tEEE10hipError_tPvRmT1_PNSt15iterator_traitsIS12_E10value_typeET2_T3_PNS13_IS18_E10value_typeET4_jRbjT5_S1E_jjP12ihipStream_tbEUljE_ZNSN_ISO_Lb0ESQ_SR_ST_SU_SY_EESZ_S10_S11_S12_S16_S17_S18_S1B_S1C_jS1D_jS1E_S1E_jjS1G_bEUljE0_EEESZ_S10_S11_S18_S1C_S1E_T6_T7_T9_mT8_S1G_bDpT10_ENKUlT_T0_E_clISt17integral_constantIbLb1EES1T_IbLb0EEEEDaS1P_S1Q_EUlS1P_E_NS1_11comp_targetILNS1_3genE9ELNS1_11target_archE1100ELNS1_3gpuE3ELNS1_3repE0EEENS1_30default_config_static_selectorELNS0_4arch9wavefront6targetE0EEEvS12_,"axG",@progbits,_ZN7rocprim17ROCPRIM_400000_NS6detail17trampoline_kernelINS0_13select_configILj256ELj13ELNS0_17block_load_methodE3ELS4_3ELS4_3ELNS0_20block_scan_algorithmE0ELj4294967295EEENS1_25partition_config_selectorILNS1_17partition_subalgoE4EjNS0_10empty_typeEbEEZZNS1_14partition_implILS8_4ELb0ES6_15HIP_vector_typeIjLj2EENS0_17counting_iteratorIjlEEPS9_SG_NS0_5tupleIJPjSI_NS0_16reverse_iteratorISI_EEEEENSH_IJSG_SG_SG_EEES9_SI_JZNS1_25segmented_radix_sort_implINS0_14default_configELb0EPKiPiPKlPlN2at6native12_GLOBAL__N_18offset_tEEE10hipError_tPvRmT1_PNSt15iterator_traitsIS12_E10value_typeET2_T3_PNS13_IS18_E10value_typeET4_jRbjT5_S1E_jjP12ihipStream_tbEUljE_ZNSN_ISO_Lb0ESQ_SR_ST_SU_SY_EESZ_S10_S11_S12_S16_S17_S18_S1B_S1C_jS1D_jS1E_S1E_jjS1G_bEUljE0_EEESZ_S10_S11_S18_S1C_S1E_T6_T7_T9_mT8_S1G_bDpT10_ENKUlT_T0_E_clISt17integral_constantIbLb1EES1T_IbLb0EEEEDaS1P_S1Q_EUlS1P_E_NS1_11comp_targetILNS1_3genE9ELNS1_11target_archE1100ELNS1_3gpuE3ELNS1_3repE0EEENS1_30default_config_static_selectorELNS0_4arch9wavefront6targetE0EEEvS12_,comdat
	.globl	_ZN7rocprim17ROCPRIM_400000_NS6detail17trampoline_kernelINS0_13select_configILj256ELj13ELNS0_17block_load_methodE3ELS4_3ELS4_3ELNS0_20block_scan_algorithmE0ELj4294967295EEENS1_25partition_config_selectorILNS1_17partition_subalgoE4EjNS0_10empty_typeEbEEZZNS1_14partition_implILS8_4ELb0ES6_15HIP_vector_typeIjLj2EENS0_17counting_iteratorIjlEEPS9_SG_NS0_5tupleIJPjSI_NS0_16reverse_iteratorISI_EEEEENSH_IJSG_SG_SG_EEES9_SI_JZNS1_25segmented_radix_sort_implINS0_14default_configELb0EPKiPiPKlPlN2at6native12_GLOBAL__N_18offset_tEEE10hipError_tPvRmT1_PNSt15iterator_traitsIS12_E10value_typeET2_T3_PNS13_IS18_E10value_typeET4_jRbjT5_S1E_jjP12ihipStream_tbEUljE_ZNSN_ISO_Lb0ESQ_SR_ST_SU_SY_EESZ_S10_S11_S12_S16_S17_S18_S1B_S1C_jS1D_jS1E_S1E_jjS1G_bEUljE0_EEESZ_S10_S11_S18_S1C_S1E_T6_T7_T9_mT8_S1G_bDpT10_ENKUlT_T0_E_clISt17integral_constantIbLb1EES1T_IbLb0EEEEDaS1P_S1Q_EUlS1P_E_NS1_11comp_targetILNS1_3genE9ELNS1_11target_archE1100ELNS1_3gpuE3ELNS1_3repE0EEENS1_30default_config_static_selectorELNS0_4arch9wavefront6targetE0EEEvS12_ ; -- Begin function _ZN7rocprim17ROCPRIM_400000_NS6detail17trampoline_kernelINS0_13select_configILj256ELj13ELNS0_17block_load_methodE3ELS4_3ELS4_3ELNS0_20block_scan_algorithmE0ELj4294967295EEENS1_25partition_config_selectorILNS1_17partition_subalgoE4EjNS0_10empty_typeEbEEZZNS1_14partition_implILS8_4ELb0ES6_15HIP_vector_typeIjLj2EENS0_17counting_iteratorIjlEEPS9_SG_NS0_5tupleIJPjSI_NS0_16reverse_iteratorISI_EEEEENSH_IJSG_SG_SG_EEES9_SI_JZNS1_25segmented_radix_sort_implINS0_14default_configELb0EPKiPiPKlPlN2at6native12_GLOBAL__N_18offset_tEEE10hipError_tPvRmT1_PNSt15iterator_traitsIS12_E10value_typeET2_T3_PNS13_IS18_E10value_typeET4_jRbjT5_S1E_jjP12ihipStream_tbEUljE_ZNSN_ISO_Lb0ESQ_SR_ST_SU_SY_EESZ_S10_S11_S12_S16_S17_S18_S1B_S1C_jS1D_jS1E_S1E_jjS1G_bEUljE0_EEESZ_S10_S11_S18_S1C_S1E_T6_T7_T9_mT8_S1G_bDpT10_ENKUlT_T0_E_clISt17integral_constantIbLb1EES1T_IbLb0EEEEDaS1P_S1Q_EUlS1P_E_NS1_11comp_targetILNS1_3genE9ELNS1_11target_archE1100ELNS1_3gpuE3ELNS1_3repE0EEENS1_30default_config_static_selectorELNS0_4arch9wavefront6targetE0EEEvS12_
	.p2align	8
	.type	_ZN7rocprim17ROCPRIM_400000_NS6detail17trampoline_kernelINS0_13select_configILj256ELj13ELNS0_17block_load_methodE3ELS4_3ELS4_3ELNS0_20block_scan_algorithmE0ELj4294967295EEENS1_25partition_config_selectorILNS1_17partition_subalgoE4EjNS0_10empty_typeEbEEZZNS1_14partition_implILS8_4ELb0ES6_15HIP_vector_typeIjLj2EENS0_17counting_iteratorIjlEEPS9_SG_NS0_5tupleIJPjSI_NS0_16reverse_iteratorISI_EEEEENSH_IJSG_SG_SG_EEES9_SI_JZNS1_25segmented_radix_sort_implINS0_14default_configELb0EPKiPiPKlPlN2at6native12_GLOBAL__N_18offset_tEEE10hipError_tPvRmT1_PNSt15iterator_traitsIS12_E10value_typeET2_T3_PNS13_IS18_E10value_typeET4_jRbjT5_S1E_jjP12ihipStream_tbEUljE_ZNSN_ISO_Lb0ESQ_SR_ST_SU_SY_EESZ_S10_S11_S12_S16_S17_S18_S1B_S1C_jS1D_jS1E_S1E_jjS1G_bEUljE0_EEESZ_S10_S11_S18_S1C_S1E_T6_T7_T9_mT8_S1G_bDpT10_ENKUlT_T0_E_clISt17integral_constantIbLb1EES1T_IbLb0EEEEDaS1P_S1Q_EUlS1P_E_NS1_11comp_targetILNS1_3genE9ELNS1_11target_archE1100ELNS1_3gpuE3ELNS1_3repE0EEENS1_30default_config_static_selectorELNS0_4arch9wavefront6targetE0EEEvS12_,@function
_ZN7rocprim17ROCPRIM_400000_NS6detail17trampoline_kernelINS0_13select_configILj256ELj13ELNS0_17block_load_methodE3ELS4_3ELS4_3ELNS0_20block_scan_algorithmE0ELj4294967295EEENS1_25partition_config_selectorILNS1_17partition_subalgoE4EjNS0_10empty_typeEbEEZZNS1_14partition_implILS8_4ELb0ES6_15HIP_vector_typeIjLj2EENS0_17counting_iteratorIjlEEPS9_SG_NS0_5tupleIJPjSI_NS0_16reverse_iteratorISI_EEEEENSH_IJSG_SG_SG_EEES9_SI_JZNS1_25segmented_radix_sort_implINS0_14default_configELb0EPKiPiPKlPlN2at6native12_GLOBAL__N_18offset_tEEE10hipError_tPvRmT1_PNSt15iterator_traitsIS12_E10value_typeET2_T3_PNS13_IS18_E10value_typeET4_jRbjT5_S1E_jjP12ihipStream_tbEUljE_ZNSN_ISO_Lb0ESQ_SR_ST_SU_SY_EESZ_S10_S11_S12_S16_S17_S18_S1B_S1C_jS1D_jS1E_S1E_jjS1G_bEUljE0_EEESZ_S10_S11_S18_S1C_S1E_T6_T7_T9_mT8_S1G_bDpT10_ENKUlT_T0_E_clISt17integral_constantIbLb1EES1T_IbLb0EEEEDaS1P_S1Q_EUlS1P_E_NS1_11comp_targetILNS1_3genE9ELNS1_11target_archE1100ELNS1_3gpuE3ELNS1_3repE0EEENS1_30default_config_static_selectorELNS0_4arch9wavefront6targetE0EEEvS12_: ; @_ZN7rocprim17ROCPRIM_400000_NS6detail17trampoline_kernelINS0_13select_configILj256ELj13ELNS0_17block_load_methodE3ELS4_3ELS4_3ELNS0_20block_scan_algorithmE0ELj4294967295EEENS1_25partition_config_selectorILNS1_17partition_subalgoE4EjNS0_10empty_typeEbEEZZNS1_14partition_implILS8_4ELb0ES6_15HIP_vector_typeIjLj2EENS0_17counting_iteratorIjlEEPS9_SG_NS0_5tupleIJPjSI_NS0_16reverse_iteratorISI_EEEEENSH_IJSG_SG_SG_EEES9_SI_JZNS1_25segmented_radix_sort_implINS0_14default_configELb0EPKiPiPKlPlN2at6native12_GLOBAL__N_18offset_tEEE10hipError_tPvRmT1_PNSt15iterator_traitsIS12_E10value_typeET2_T3_PNS13_IS18_E10value_typeET4_jRbjT5_S1E_jjP12ihipStream_tbEUljE_ZNSN_ISO_Lb0ESQ_SR_ST_SU_SY_EESZ_S10_S11_S12_S16_S17_S18_S1B_S1C_jS1D_jS1E_S1E_jjS1G_bEUljE0_EEESZ_S10_S11_S18_S1C_S1E_T6_T7_T9_mT8_S1G_bDpT10_ENKUlT_T0_E_clISt17integral_constantIbLb1EES1T_IbLb0EEEEDaS1P_S1Q_EUlS1P_E_NS1_11comp_targetILNS1_3genE9ELNS1_11target_archE1100ELNS1_3gpuE3ELNS1_3repE0EEENS1_30default_config_static_selectorELNS0_4arch9wavefront6targetE0EEEvS12_
; %bb.0:
	.section	.rodata,"a",@progbits
	.p2align	6, 0x0
	.amdhsa_kernel _ZN7rocprim17ROCPRIM_400000_NS6detail17trampoline_kernelINS0_13select_configILj256ELj13ELNS0_17block_load_methodE3ELS4_3ELS4_3ELNS0_20block_scan_algorithmE0ELj4294967295EEENS1_25partition_config_selectorILNS1_17partition_subalgoE4EjNS0_10empty_typeEbEEZZNS1_14partition_implILS8_4ELb0ES6_15HIP_vector_typeIjLj2EENS0_17counting_iteratorIjlEEPS9_SG_NS0_5tupleIJPjSI_NS0_16reverse_iteratorISI_EEEEENSH_IJSG_SG_SG_EEES9_SI_JZNS1_25segmented_radix_sort_implINS0_14default_configELb0EPKiPiPKlPlN2at6native12_GLOBAL__N_18offset_tEEE10hipError_tPvRmT1_PNSt15iterator_traitsIS12_E10value_typeET2_T3_PNS13_IS18_E10value_typeET4_jRbjT5_S1E_jjP12ihipStream_tbEUljE_ZNSN_ISO_Lb0ESQ_SR_ST_SU_SY_EESZ_S10_S11_S12_S16_S17_S18_S1B_S1C_jS1D_jS1E_S1E_jjS1G_bEUljE0_EEESZ_S10_S11_S18_S1C_S1E_T6_T7_T9_mT8_S1G_bDpT10_ENKUlT_T0_E_clISt17integral_constantIbLb1EES1T_IbLb0EEEEDaS1P_S1Q_EUlS1P_E_NS1_11comp_targetILNS1_3genE9ELNS1_11target_archE1100ELNS1_3gpuE3ELNS1_3repE0EEENS1_30default_config_static_selectorELNS0_4arch9wavefront6targetE0EEEvS12_
		.amdhsa_group_segment_fixed_size 0
		.amdhsa_private_segment_fixed_size 0
		.amdhsa_kernarg_size 176
		.amdhsa_user_sgpr_count 6
		.amdhsa_user_sgpr_private_segment_buffer 1
		.amdhsa_user_sgpr_dispatch_ptr 0
		.amdhsa_user_sgpr_queue_ptr 0
		.amdhsa_user_sgpr_kernarg_segment_ptr 1
		.amdhsa_user_sgpr_dispatch_id 0
		.amdhsa_user_sgpr_flat_scratch_init 0
		.amdhsa_user_sgpr_private_segment_size 0
		.amdhsa_wavefront_size32 1
		.amdhsa_uses_dynamic_stack 0
		.amdhsa_system_sgpr_private_segment_wavefront_offset 0
		.amdhsa_system_sgpr_workgroup_id_x 1
		.amdhsa_system_sgpr_workgroup_id_y 0
		.amdhsa_system_sgpr_workgroup_id_z 0
		.amdhsa_system_sgpr_workgroup_info 0
		.amdhsa_system_vgpr_workitem_id 0
		.amdhsa_next_free_vgpr 1
		.amdhsa_next_free_sgpr 1
		.amdhsa_reserve_vcc 0
		.amdhsa_reserve_flat_scratch 0
		.amdhsa_float_round_mode_32 0
		.amdhsa_float_round_mode_16_64 0
		.amdhsa_float_denorm_mode_32 3
		.amdhsa_float_denorm_mode_16_64 3
		.amdhsa_dx10_clamp 1
		.amdhsa_ieee_mode 1
		.amdhsa_fp16_overflow 0
		.amdhsa_workgroup_processor_mode 1
		.amdhsa_memory_ordered 1
		.amdhsa_forward_progress 1
		.amdhsa_shared_vgpr_count 0
		.amdhsa_exception_fp_ieee_invalid_op 0
		.amdhsa_exception_fp_denorm_src 0
		.amdhsa_exception_fp_ieee_div_zero 0
		.amdhsa_exception_fp_ieee_overflow 0
		.amdhsa_exception_fp_ieee_underflow 0
		.amdhsa_exception_fp_ieee_inexact 0
		.amdhsa_exception_int_div_zero 0
	.end_amdhsa_kernel
	.section	.text._ZN7rocprim17ROCPRIM_400000_NS6detail17trampoline_kernelINS0_13select_configILj256ELj13ELNS0_17block_load_methodE3ELS4_3ELS4_3ELNS0_20block_scan_algorithmE0ELj4294967295EEENS1_25partition_config_selectorILNS1_17partition_subalgoE4EjNS0_10empty_typeEbEEZZNS1_14partition_implILS8_4ELb0ES6_15HIP_vector_typeIjLj2EENS0_17counting_iteratorIjlEEPS9_SG_NS0_5tupleIJPjSI_NS0_16reverse_iteratorISI_EEEEENSH_IJSG_SG_SG_EEES9_SI_JZNS1_25segmented_radix_sort_implINS0_14default_configELb0EPKiPiPKlPlN2at6native12_GLOBAL__N_18offset_tEEE10hipError_tPvRmT1_PNSt15iterator_traitsIS12_E10value_typeET2_T3_PNS13_IS18_E10value_typeET4_jRbjT5_S1E_jjP12ihipStream_tbEUljE_ZNSN_ISO_Lb0ESQ_SR_ST_SU_SY_EESZ_S10_S11_S12_S16_S17_S18_S1B_S1C_jS1D_jS1E_S1E_jjS1G_bEUljE0_EEESZ_S10_S11_S18_S1C_S1E_T6_T7_T9_mT8_S1G_bDpT10_ENKUlT_T0_E_clISt17integral_constantIbLb1EES1T_IbLb0EEEEDaS1P_S1Q_EUlS1P_E_NS1_11comp_targetILNS1_3genE9ELNS1_11target_archE1100ELNS1_3gpuE3ELNS1_3repE0EEENS1_30default_config_static_selectorELNS0_4arch9wavefront6targetE0EEEvS12_,"axG",@progbits,_ZN7rocprim17ROCPRIM_400000_NS6detail17trampoline_kernelINS0_13select_configILj256ELj13ELNS0_17block_load_methodE3ELS4_3ELS4_3ELNS0_20block_scan_algorithmE0ELj4294967295EEENS1_25partition_config_selectorILNS1_17partition_subalgoE4EjNS0_10empty_typeEbEEZZNS1_14partition_implILS8_4ELb0ES6_15HIP_vector_typeIjLj2EENS0_17counting_iteratorIjlEEPS9_SG_NS0_5tupleIJPjSI_NS0_16reverse_iteratorISI_EEEEENSH_IJSG_SG_SG_EEES9_SI_JZNS1_25segmented_radix_sort_implINS0_14default_configELb0EPKiPiPKlPlN2at6native12_GLOBAL__N_18offset_tEEE10hipError_tPvRmT1_PNSt15iterator_traitsIS12_E10value_typeET2_T3_PNS13_IS18_E10value_typeET4_jRbjT5_S1E_jjP12ihipStream_tbEUljE_ZNSN_ISO_Lb0ESQ_SR_ST_SU_SY_EESZ_S10_S11_S12_S16_S17_S18_S1B_S1C_jS1D_jS1E_S1E_jjS1G_bEUljE0_EEESZ_S10_S11_S18_S1C_S1E_T6_T7_T9_mT8_S1G_bDpT10_ENKUlT_T0_E_clISt17integral_constantIbLb1EES1T_IbLb0EEEEDaS1P_S1Q_EUlS1P_E_NS1_11comp_targetILNS1_3genE9ELNS1_11target_archE1100ELNS1_3gpuE3ELNS1_3repE0EEENS1_30default_config_static_selectorELNS0_4arch9wavefront6targetE0EEEvS12_,comdat
.Lfunc_end553:
	.size	_ZN7rocprim17ROCPRIM_400000_NS6detail17trampoline_kernelINS0_13select_configILj256ELj13ELNS0_17block_load_methodE3ELS4_3ELS4_3ELNS0_20block_scan_algorithmE0ELj4294967295EEENS1_25partition_config_selectorILNS1_17partition_subalgoE4EjNS0_10empty_typeEbEEZZNS1_14partition_implILS8_4ELb0ES6_15HIP_vector_typeIjLj2EENS0_17counting_iteratorIjlEEPS9_SG_NS0_5tupleIJPjSI_NS0_16reverse_iteratorISI_EEEEENSH_IJSG_SG_SG_EEES9_SI_JZNS1_25segmented_radix_sort_implINS0_14default_configELb0EPKiPiPKlPlN2at6native12_GLOBAL__N_18offset_tEEE10hipError_tPvRmT1_PNSt15iterator_traitsIS12_E10value_typeET2_T3_PNS13_IS18_E10value_typeET4_jRbjT5_S1E_jjP12ihipStream_tbEUljE_ZNSN_ISO_Lb0ESQ_SR_ST_SU_SY_EESZ_S10_S11_S12_S16_S17_S18_S1B_S1C_jS1D_jS1E_S1E_jjS1G_bEUljE0_EEESZ_S10_S11_S18_S1C_S1E_T6_T7_T9_mT8_S1G_bDpT10_ENKUlT_T0_E_clISt17integral_constantIbLb1EES1T_IbLb0EEEEDaS1P_S1Q_EUlS1P_E_NS1_11comp_targetILNS1_3genE9ELNS1_11target_archE1100ELNS1_3gpuE3ELNS1_3repE0EEENS1_30default_config_static_selectorELNS0_4arch9wavefront6targetE0EEEvS12_, .Lfunc_end553-_ZN7rocprim17ROCPRIM_400000_NS6detail17trampoline_kernelINS0_13select_configILj256ELj13ELNS0_17block_load_methodE3ELS4_3ELS4_3ELNS0_20block_scan_algorithmE0ELj4294967295EEENS1_25partition_config_selectorILNS1_17partition_subalgoE4EjNS0_10empty_typeEbEEZZNS1_14partition_implILS8_4ELb0ES6_15HIP_vector_typeIjLj2EENS0_17counting_iteratorIjlEEPS9_SG_NS0_5tupleIJPjSI_NS0_16reverse_iteratorISI_EEEEENSH_IJSG_SG_SG_EEES9_SI_JZNS1_25segmented_radix_sort_implINS0_14default_configELb0EPKiPiPKlPlN2at6native12_GLOBAL__N_18offset_tEEE10hipError_tPvRmT1_PNSt15iterator_traitsIS12_E10value_typeET2_T3_PNS13_IS18_E10value_typeET4_jRbjT5_S1E_jjP12ihipStream_tbEUljE_ZNSN_ISO_Lb0ESQ_SR_ST_SU_SY_EESZ_S10_S11_S12_S16_S17_S18_S1B_S1C_jS1D_jS1E_S1E_jjS1G_bEUljE0_EEESZ_S10_S11_S18_S1C_S1E_T6_T7_T9_mT8_S1G_bDpT10_ENKUlT_T0_E_clISt17integral_constantIbLb1EES1T_IbLb0EEEEDaS1P_S1Q_EUlS1P_E_NS1_11comp_targetILNS1_3genE9ELNS1_11target_archE1100ELNS1_3gpuE3ELNS1_3repE0EEENS1_30default_config_static_selectorELNS0_4arch9wavefront6targetE0EEEvS12_
                                        ; -- End function
	.set _ZN7rocprim17ROCPRIM_400000_NS6detail17trampoline_kernelINS0_13select_configILj256ELj13ELNS0_17block_load_methodE3ELS4_3ELS4_3ELNS0_20block_scan_algorithmE0ELj4294967295EEENS1_25partition_config_selectorILNS1_17partition_subalgoE4EjNS0_10empty_typeEbEEZZNS1_14partition_implILS8_4ELb0ES6_15HIP_vector_typeIjLj2EENS0_17counting_iteratorIjlEEPS9_SG_NS0_5tupleIJPjSI_NS0_16reverse_iteratorISI_EEEEENSH_IJSG_SG_SG_EEES9_SI_JZNS1_25segmented_radix_sort_implINS0_14default_configELb0EPKiPiPKlPlN2at6native12_GLOBAL__N_18offset_tEEE10hipError_tPvRmT1_PNSt15iterator_traitsIS12_E10value_typeET2_T3_PNS13_IS18_E10value_typeET4_jRbjT5_S1E_jjP12ihipStream_tbEUljE_ZNSN_ISO_Lb0ESQ_SR_ST_SU_SY_EESZ_S10_S11_S12_S16_S17_S18_S1B_S1C_jS1D_jS1E_S1E_jjS1G_bEUljE0_EEESZ_S10_S11_S18_S1C_S1E_T6_T7_T9_mT8_S1G_bDpT10_ENKUlT_T0_E_clISt17integral_constantIbLb1EES1T_IbLb0EEEEDaS1P_S1Q_EUlS1P_E_NS1_11comp_targetILNS1_3genE9ELNS1_11target_archE1100ELNS1_3gpuE3ELNS1_3repE0EEENS1_30default_config_static_selectorELNS0_4arch9wavefront6targetE0EEEvS12_.num_vgpr, 0
	.set _ZN7rocprim17ROCPRIM_400000_NS6detail17trampoline_kernelINS0_13select_configILj256ELj13ELNS0_17block_load_methodE3ELS4_3ELS4_3ELNS0_20block_scan_algorithmE0ELj4294967295EEENS1_25partition_config_selectorILNS1_17partition_subalgoE4EjNS0_10empty_typeEbEEZZNS1_14partition_implILS8_4ELb0ES6_15HIP_vector_typeIjLj2EENS0_17counting_iteratorIjlEEPS9_SG_NS0_5tupleIJPjSI_NS0_16reverse_iteratorISI_EEEEENSH_IJSG_SG_SG_EEES9_SI_JZNS1_25segmented_radix_sort_implINS0_14default_configELb0EPKiPiPKlPlN2at6native12_GLOBAL__N_18offset_tEEE10hipError_tPvRmT1_PNSt15iterator_traitsIS12_E10value_typeET2_T3_PNS13_IS18_E10value_typeET4_jRbjT5_S1E_jjP12ihipStream_tbEUljE_ZNSN_ISO_Lb0ESQ_SR_ST_SU_SY_EESZ_S10_S11_S12_S16_S17_S18_S1B_S1C_jS1D_jS1E_S1E_jjS1G_bEUljE0_EEESZ_S10_S11_S18_S1C_S1E_T6_T7_T9_mT8_S1G_bDpT10_ENKUlT_T0_E_clISt17integral_constantIbLb1EES1T_IbLb0EEEEDaS1P_S1Q_EUlS1P_E_NS1_11comp_targetILNS1_3genE9ELNS1_11target_archE1100ELNS1_3gpuE3ELNS1_3repE0EEENS1_30default_config_static_selectorELNS0_4arch9wavefront6targetE0EEEvS12_.num_agpr, 0
	.set _ZN7rocprim17ROCPRIM_400000_NS6detail17trampoline_kernelINS0_13select_configILj256ELj13ELNS0_17block_load_methodE3ELS4_3ELS4_3ELNS0_20block_scan_algorithmE0ELj4294967295EEENS1_25partition_config_selectorILNS1_17partition_subalgoE4EjNS0_10empty_typeEbEEZZNS1_14partition_implILS8_4ELb0ES6_15HIP_vector_typeIjLj2EENS0_17counting_iteratorIjlEEPS9_SG_NS0_5tupleIJPjSI_NS0_16reverse_iteratorISI_EEEEENSH_IJSG_SG_SG_EEES9_SI_JZNS1_25segmented_radix_sort_implINS0_14default_configELb0EPKiPiPKlPlN2at6native12_GLOBAL__N_18offset_tEEE10hipError_tPvRmT1_PNSt15iterator_traitsIS12_E10value_typeET2_T3_PNS13_IS18_E10value_typeET4_jRbjT5_S1E_jjP12ihipStream_tbEUljE_ZNSN_ISO_Lb0ESQ_SR_ST_SU_SY_EESZ_S10_S11_S12_S16_S17_S18_S1B_S1C_jS1D_jS1E_S1E_jjS1G_bEUljE0_EEESZ_S10_S11_S18_S1C_S1E_T6_T7_T9_mT8_S1G_bDpT10_ENKUlT_T0_E_clISt17integral_constantIbLb1EES1T_IbLb0EEEEDaS1P_S1Q_EUlS1P_E_NS1_11comp_targetILNS1_3genE9ELNS1_11target_archE1100ELNS1_3gpuE3ELNS1_3repE0EEENS1_30default_config_static_selectorELNS0_4arch9wavefront6targetE0EEEvS12_.numbered_sgpr, 0
	.set _ZN7rocprim17ROCPRIM_400000_NS6detail17trampoline_kernelINS0_13select_configILj256ELj13ELNS0_17block_load_methodE3ELS4_3ELS4_3ELNS0_20block_scan_algorithmE0ELj4294967295EEENS1_25partition_config_selectorILNS1_17partition_subalgoE4EjNS0_10empty_typeEbEEZZNS1_14partition_implILS8_4ELb0ES6_15HIP_vector_typeIjLj2EENS0_17counting_iteratorIjlEEPS9_SG_NS0_5tupleIJPjSI_NS0_16reverse_iteratorISI_EEEEENSH_IJSG_SG_SG_EEES9_SI_JZNS1_25segmented_radix_sort_implINS0_14default_configELb0EPKiPiPKlPlN2at6native12_GLOBAL__N_18offset_tEEE10hipError_tPvRmT1_PNSt15iterator_traitsIS12_E10value_typeET2_T3_PNS13_IS18_E10value_typeET4_jRbjT5_S1E_jjP12ihipStream_tbEUljE_ZNSN_ISO_Lb0ESQ_SR_ST_SU_SY_EESZ_S10_S11_S12_S16_S17_S18_S1B_S1C_jS1D_jS1E_S1E_jjS1G_bEUljE0_EEESZ_S10_S11_S18_S1C_S1E_T6_T7_T9_mT8_S1G_bDpT10_ENKUlT_T0_E_clISt17integral_constantIbLb1EES1T_IbLb0EEEEDaS1P_S1Q_EUlS1P_E_NS1_11comp_targetILNS1_3genE9ELNS1_11target_archE1100ELNS1_3gpuE3ELNS1_3repE0EEENS1_30default_config_static_selectorELNS0_4arch9wavefront6targetE0EEEvS12_.num_named_barrier, 0
	.set _ZN7rocprim17ROCPRIM_400000_NS6detail17trampoline_kernelINS0_13select_configILj256ELj13ELNS0_17block_load_methodE3ELS4_3ELS4_3ELNS0_20block_scan_algorithmE0ELj4294967295EEENS1_25partition_config_selectorILNS1_17partition_subalgoE4EjNS0_10empty_typeEbEEZZNS1_14partition_implILS8_4ELb0ES6_15HIP_vector_typeIjLj2EENS0_17counting_iteratorIjlEEPS9_SG_NS0_5tupleIJPjSI_NS0_16reverse_iteratorISI_EEEEENSH_IJSG_SG_SG_EEES9_SI_JZNS1_25segmented_radix_sort_implINS0_14default_configELb0EPKiPiPKlPlN2at6native12_GLOBAL__N_18offset_tEEE10hipError_tPvRmT1_PNSt15iterator_traitsIS12_E10value_typeET2_T3_PNS13_IS18_E10value_typeET4_jRbjT5_S1E_jjP12ihipStream_tbEUljE_ZNSN_ISO_Lb0ESQ_SR_ST_SU_SY_EESZ_S10_S11_S12_S16_S17_S18_S1B_S1C_jS1D_jS1E_S1E_jjS1G_bEUljE0_EEESZ_S10_S11_S18_S1C_S1E_T6_T7_T9_mT8_S1G_bDpT10_ENKUlT_T0_E_clISt17integral_constantIbLb1EES1T_IbLb0EEEEDaS1P_S1Q_EUlS1P_E_NS1_11comp_targetILNS1_3genE9ELNS1_11target_archE1100ELNS1_3gpuE3ELNS1_3repE0EEENS1_30default_config_static_selectorELNS0_4arch9wavefront6targetE0EEEvS12_.private_seg_size, 0
	.set _ZN7rocprim17ROCPRIM_400000_NS6detail17trampoline_kernelINS0_13select_configILj256ELj13ELNS0_17block_load_methodE3ELS4_3ELS4_3ELNS0_20block_scan_algorithmE0ELj4294967295EEENS1_25partition_config_selectorILNS1_17partition_subalgoE4EjNS0_10empty_typeEbEEZZNS1_14partition_implILS8_4ELb0ES6_15HIP_vector_typeIjLj2EENS0_17counting_iteratorIjlEEPS9_SG_NS0_5tupleIJPjSI_NS0_16reverse_iteratorISI_EEEEENSH_IJSG_SG_SG_EEES9_SI_JZNS1_25segmented_radix_sort_implINS0_14default_configELb0EPKiPiPKlPlN2at6native12_GLOBAL__N_18offset_tEEE10hipError_tPvRmT1_PNSt15iterator_traitsIS12_E10value_typeET2_T3_PNS13_IS18_E10value_typeET4_jRbjT5_S1E_jjP12ihipStream_tbEUljE_ZNSN_ISO_Lb0ESQ_SR_ST_SU_SY_EESZ_S10_S11_S12_S16_S17_S18_S1B_S1C_jS1D_jS1E_S1E_jjS1G_bEUljE0_EEESZ_S10_S11_S18_S1C_S1E_T6_T7_T9_mT8_S1G_bDpT10_ENKUlT_T0_E_clISt17integral_constantIbLb1EES1T_IbLb0EEEEDaS1P_S1Q_EUlS1P_E_NS1_11comp_targetILNS1_3genE9ELNS1_11target_archE1100ELNS1_3gpuE3ELNS1_3repE0EEENS1_30default_config_static_selectorELNS0_4arch9wavefront6targetE0EEEvS12_.uses_vcc, 0
	.set _ZN7rocprim17ROCPRIM_400000_NS6detail17trampoline_kernelINS0_13select_configILj256ELj13ELNS0_17block_load_methodE3ELS4_3ELS4_3ELNS0_20block_scan_algorithmE0ELj4294967295EEENS1_25partition_config_selectorILNS1_17partition_subalgoE4EjNS0_10empty_typeEbEEZZNS1_14partition_implILS8_4ELb0ES6_15HIP_vector_typeIjLj2EENS0_17counting_iteratorIjlEEPS9_SG_NS0_5tupleIJPjSI_NS0_16reverse_iteratorISI_EEEEENSH_IJSG_SG_SG_EEES9_SI_JZNS1_25segmented_radix_sort_implINS0_14default_configELb0EPKiPiPKlPlN2at6native12_GLOBAL__N_18offset_tEEE10hipError_tPvRmT1_PNSt15iterator_traitsIS12_E10value_typeET2_T3_PNS13_IS18_E10value_typeET4_jRbjT5_S1E_jjP12ihipStream_tbEUljE_ZNSN_ISO_Lb0ESQ_SR_ST_SU_SY_EESZ_S10_S11_S12_S16_S17_S18_S1B_S1C_jS1D_jS1E_S1E_jjS1G_bEUljE0_EEESZ_S10_S11_S18_S1C_S1E_T6_T7_T9_mT8_S1G_bDpT10_ENKUlT_T0_E_clISt17integral_constantIbLb1EES1T_IbLb0EEEEDaS1P_S1Q_EUlS1P_E_NS1_11comp_targetILNS1_3genE9ELNS1_11target_archE1100ELNS1_3gpuE3ELNS1_3repE0EEENS1_30default_config_static_selectorELNS0_4arch9wavefront6targetE0EEEvS12_.uses_flat_scratch, 0
	.set _ZN7rocprim17ROCPRIM_400000_NS6detail17trampoline_kernelINS0_13select_configILj256ELj13ELNS0_17block_load_methodE3ELS4_3ELS4_3ELNS0_20block_scan_algorithmE0ELj4294967295EEENS1_25partition_config_selectorILNS1_17partition_subalgoE4EjNS0_10empty_typeEbEEZZNS1_14partition_implILS8_4ELb0ES6_15HIP_vector_typeIjLj2EENS0_17counting_iteratorIjlEEPS9_SG_NS0_5tupleIJPjSI_NS0_16reverse_iteratorISI_EEEEENSH_IJSG_SG_SG_EEES9_SI_JZNS1_25segmented_radix_sort_implINS0_14default_configELb0EPKiPiPKlPlN2at6native12_GLOBAL__N_18offset_tEEE10hipError_tPvRmT1_PNSt15iterator_traitsIS12_E10value_typeET2_T3_PNS13_IS18_E10value_typeET4_jRbjT5_S1E_jjP12ihipStream_tbEUljE_ZNSN_ISO_Lb0ESQ_SR_ST_SU_SY_EESZ_S10_S11_S12_S16_S17_S18_S1B_S1C_jS1D_jS1E_S1E_jjS1G_bEUljE0_EEESZ_S10_S11_S18_S1C_S1E_T6_T7_T9_mT8_S1G_bDpT10_ENKUlT_T0_E_clISt17integral_constantIbLb1EES1T_IbLb0EEEEDaS1P_S1Q_EUlS1P_E_NS1_11comp_targetILNS1_3genE9ELNS1_11target_archE1100ELNS1_3gpuE3ELNS1_3repE0EEENS1_30default_config_static_selectorELNS0_4arch9wavefront6targetE0EEEvS12_.has_dyn_sized_stack, 0
	.set _ZN7rocprim17ROCPRIM_400000_NS6detail17trampoline_kernelINS0_13select_configILj256ELj13ELNS0_17block_load_methodE3ELS4_3ELS4_3ELNS0_20block_scan_algorithmE0ELj4294967295EEENS1_25partition_config_selectorILNS1_17partition_subalgoE4EjNS0_10empty_typeEbEEZZNS1_14partition_implILS8_4ELb0ES6_15HIP_vector_typeIjLj2EENS0_17counting_iteratorIjlEEPS9_SG_NS0_5tupleIJPjSI_NS0_16reverse_iteratorISI_EEEEENSH_IJSG_SG_SG_EEES9_SI_JZNS1_25segmented_radix_sort_implINS0_14default_configELb0EPKiPiPKlPlN2at6native12_GLOBAL__N_18offset_tEEE10hipError_tPvRmT1_PNSt15iterator_traitsIS12_E10value_typeET2_T3_PNS13_IS18_E10value_typeET4_jRbjT5_S1E_jjP12ihipStream_tbEUljE_ZNSN_ISO_Lb0ESQ_SR_ST_SU_SY_EESZ_S10_S11_S12_S16_S17_S18_S1B_S1C_jS1D_jS1E_S1E_jjS1G_bEUljE0_EEESZ_S10_S11_S18_S1C_S1E_T6_T7_T9_mT8_S1G_bDpT10_ENKUlT_T0_E_clISt17integral_constantIbLb1EES1T_IbLb0EEEEDaS1P_S1Q_EUlS1P_E_NS1_11comp_targetILNS1_3genE9ELNS1_11target_archE1100ELNS1_3gpuE3ELNS1_3repE0EEENS1_30default_config_static_selectorELNS0_4arch9wavefront6targetE0EEEvS12_.has_recursion, 0
	.set _ZN7rocprim17ROCPRIM_400000_NS6detail17trampoline_kernelINS0_13select_configILj256ELj13ELNS0_17block_load_methodE3ELS4_3ELS4_3ELNS0_20block_scan_algorithmE0ELj4294967295EEENS1_25partition_config_selectorILNS1_17partition_subalgoE4EjNS0_10empty_typeEbEEZZNS1_14partition_implILS8_4ELb0ES6_15HIP_vector_typeIjLj2EENS0_17counting_iteratorIjlEEPS9_SG_NS0_5tupleIJPjSI_NS0_16reverse_iteratorISI_EEEEENSH_IJSG_SG_SG_EEES9_SI_JZNS1_25segmented_radix_sort_implINS0_14default_configELb0EPKiPiPKlPlN2at6native12_GLOBAL__N_18offset_tEEE10hipError_tPvRmT1_PNSt15iterator_traitsIS12_E10value_typeET2_T3_PNS13_IS18_E10value_typeET4_jRbjT5_S1E_jjP12ihipStream_tbEUljE_ZNSN_ISO_Lb0ESQ_SR_ST_SU_SY_EESZ_S10_S11_S12_S16_S17_S18_S1B_S1C_jS1D_jS1E_S1E_jjS1G_bEUljE0_EEESZ_S10_S11_S18_S1C_S1E_T6_T7_T9_mT8_S1G_bDpT10_ENKUlT_T0_E_clISt17integral_constantIbLb1EES1T_IbLb0EEEEDaS1P_S1Q_EUlS1P_E_NS1_11comp_targetILNS1_3genE9ELNS1_11target_archE1100ELNS1_3gpuE3ELNS1_3repE0EEENS1_30default_config_static_selectorELNS0_4arch9wavefront6targetE0EEEvS12_.has_indirect_call, 0
	.section	.AMDGPU.csdata,"",@progbits
; Kernel info:
; codeLenInByte = 0
; TotalNumSgprs: 0
; NumVgprs: 0
; ScratchSize: 0
; MemoryBound: 0
; FloatMode: 240
; IeeeMode: 1
; LDSByteSize: 0 bytes/workgroup (compile time only)
; SGPRBlocks: 0
; VGPRBlocks: 0
; NumSGPRsForWavesPerEU: 1
; NumVGPRsForWavesPerEU: 1
; Occupancy: 16
; WaveLimiterHint : 0
; COMPUTE_PGM_RSRC2:SCRATCH_EN: 0
; COMPUTE_PGM_RSRC2:USER_SGPR: 6
; COMPUTE_PGM_RSRC2:TRAP_HANDLER: 0
; COMPUTE_PGM_RSRC2:TGID_X_EN: 1
; COMPUTE_PGM_RSRC2:TGID_Y_EN: 0
; COMPUTE_PGM_RSRC2:TGID_Z_EN: 0
; COMPUTE_PGM_RSRC2:TIDIG_COMP_CNT: 0
	.section	.text._ZN7rocprim17ROCPRIM_400000_NS6detail17trampoline_kernelINS0_13select_configILj256ELj13ELNS0_17block_load_methodE3ELS4_3ELS4_3ELNS0_20block_scan_algorithmE0ELj4294967295EEENS1_25partition_config_selectorILNS1_17partition_subalgoE4EjNS0_10empty_typeEbEEZZNS1_14partition_implILS8_4ELb0ES6_15HIP_vector_typeIjLj2EENS0_17counting_iteratorIjlEEPS9_SG_NS0_5tupleIJPjSI_NS0_16reverse_iteratorISI_EEEEENSH_IJSG_SG_SG_EEES9_SI_JZNS1_25segmented_radix_sort_implINS0_14default_configELb0EPKiPiPKlPlN2at6native12_GLOBAL__N_18offset_tEEE10hipError_tPvRmT1_PNSt15iterator_traitsIS12_E10value_typeET2_T3_PNS13_IS18_E10value_typeET4_jRbjT5_S1E_jjP12ihipStream_tbEUljE_ZNSN_ISO_Lb0ESQ_SR_ST_SU_SY_EESZ_S10_S11_S12_S16_S17_S18_S1B_S1C_jS1D_jS1E_S1E_jjS1G_bEUljE0_EEESZ_S10_S11_S18_S1C_S1E_T6_T7_T9_mT8_S1G_bDpT10_ENKUlT_T0_E_clISt17integral_constantIbLb1EES1T_IbLb0EEEEDaS1P_S1Q_EUlS1P_E_NS1_11comp_targetILNS1_3genE8ELNS1_11target_archE1030ELNS1_3gpuE2ELNS1_3repE0EEENS1_30default_config_static_selectorELNS0_4arch9wavefront6targetE0EEEvS12_,"axG",@progbits,_ZN7rocprim17ROCPRIM_400000_NS6detail17trampoline_kernelINS0_13select_configILj256ELj13ELNS0_17block_load_methodE3ELS4_3ELS4_3ELNS0_20block_scan_algorithmE0ELj4294967295EEENS1_25partition_config_selectorILNS1_17partition_subalgoE4EjNS0_10empty_typeEbEEZZNS1_14partition_implILS8_4ELb0ES6_15HIP_vector_typeIjLj2EENS0_17counting_iteratorIjlEEPS9_SG_NS0_5tupleIJPjSI_NS0_16reverse_iteratorISI_EEEEENSH_IJSG_SG_SG_EEES9_SI_JZNS1_25segmented_radix_sort_implINS0_14default_configELb0EPKiPiPKlPlN2at6native12_GLOBAL__N_18offset_tEEE10hipError_tPvRmT1_PNSt15iterator_traitsIS12_E10value_typeET2_T3_PNS13_IS18_E10value_typeET4_jRbjT5_S1E_jjP12ihipStream_tbEUljE_ZNSN_ISO_Lb0ESQ_SR_ST_SU_SY_EESZ_S10_S11_S12_S16_S17_S18_S1B_S1C_jS1D_jS1E_S1E_jjS1G_bEUljE0_EEESZ_S10_S11_S18_S1C_S1E_T6_T7_T9_mT8_S1G_bDpT10_ENKUlT_T0_E_clISt17integral_constantIbLb1EES1T_IbLb0EEEEDaS1P_S1Q_EUlS1P_E_NS1_11comp_targetILNS1_3genE8ELNS1_11target_archE1030ELNS1_3gpuE2ELNS1_3repE0EEENS1_30default_config_static_selectorELNS0_4arch9wavefront6targetE0EEEvS12_,comdat
	.globl	_ZN7rocprim17ROCPRIM_400000_NS6detail17trampoline_kernelINS0_13select_configILj256ELj13ELNS0_17block_load_methodE3ELS4_3ELS4_3ELNS0_20block_scan_algorithmE0ELj4294967295EEENS1_25partition_config_selectorILNS1_17partition_subalgoE4EjNS0_10empty_typeEbEEZZNS1_14partition_implILS8_4ELb0ES6_15HIP_vector_typeIjLj2EENS0_17counting_iteratorIjlEEPS9_SG_NS0_5tupleIJPjSI_NS0_16reverse_iteratorISI_EEEEENSH_IJSG_SG_SG_EEES9_SI_JZNS1_25segmented_radix_sort_implINS0_14default_configELb0EPKiPiPKlPlN2at6native12_GLOBAL__N_18offset_tEEE10hipError_tPvRmT1_PNSt15iterator_traitsIS12_E10value_typeET2_T3_PNS13_IS18_E10value_typeET4_jRbjT5_S1E_jjP12ihipStream_tbEUljE_ZNSN_ISO_Lb0ESQ_SR_ST_SU_SY_EESZ_S10_S11_S12_S16_S17_S18_S1B_S1C_jS1D_jS1E_S1E_jjS1G_bEUljE0_EEESZ_S10_S11_S18_S1C_S1E_T6_T7_T9_mT8_S1G_bDpT10_ENKUlT_T0_E_clISt17integral_constantIbLb1EES1T_IbLb0EEEEDaS1P_S1Q_EUlS1P_E_NS1_11comp_targetILNS1_3genE8ELNS1_11target_archE1030ELNS1_3gpuE2ELNS1_3repE0EEENS1_30default_config_static_selectorELNS0_4arch9wavefront6targetE0EEEvS12_ ; -- Begin function _ZN7rocprim17ROCPRIM_400000_NS6detail17trampoline_kernelINS0_13select_configILj256ELj13ELNS0_17block_load_methodE3ELS4_3ELS4_3ELNS0_20block_scan_algorithmE0ELj4294967295EEENS1_25partition_config_selectorILNS1_17partition_subalgoE4EjNS0_10empty_typeEbEEZZNS1_14partition_implILS8_4ELb0ES6_15HIP_vector_typeIjLj2EENS0_17counting_iteratorIjlEEPS9_SG_NS0_5tupleIJPjSI_NS0_16reverse_iteratorISI_EEEEENSH_IJSG_SG_SG_EEES9_SI_JZNS1_25segmented_radix_sort_implINS0_14default_configELb0EPKiPiPKlPlN2at6native12_GLOBAL__N_18offset_tEEE10hipError_tPvRmT1_PNSt15iterator_traitsIS12_E10value_typeET2_T3_PNS13_IS18_E10value_typeET4_jRbjT5_S1E_jjP12ihipStream_tbEUljE_ZNSN_ISO_Lb0ESQ_SR_ST_SU_SY_EESZ_S10_S11_S12_S16_S17_S18_S1B_S1C_jS1D_jS1E_S1E_jjS1G_bEUljE0_EEESZ_S10_S11_S18_S1C_S1E_T6_T7_T9_mT8_S1G_bDpT10_ENKUlT_T0_E_clISt17integral_constantIbLb1EES1T_IbLb0EEEEDaS1P_S1Q_EUlS1P_E_NS1_11comp_targetILNS1_3genE8ELNS1_11target_archE1030ELNS1_3gpuE2ELNS1_3repE0EEENS1_30default_config_static_selectorELNS0_4arch9wavefront6targetE0EEEvS12_
	.p2align	8
	.type	_ZN7rocprim17ROCPRIM_400000_NS6detail17trampoline_kernelINS0_13select_configILj256ELj13ELNS0_17block_load_methodE3ELS4_3ELS4_3ELNS0_20block_scan_algorithmE0ELj4294967295EEENS1_25partition_config_selectorILNS1_17partition_subalgoE4EjNS0_10empty_typeEbEEZZNS1_14partition_implILS8_4ELb0ES6_15HIP_vector_typeIjLj2EENS0_17counting_iteratorIjlEEPS9_SG_NS0_5tupleIJPjSI_NS0_16reverse_iteratorISI_EEEEENSH_IJSG_SG_SG_EEES9_SI_JZNS1_25segmented_radix_sort_implINS0_14default_configELb0EPKiPiPKlPlN2at6native12_GLOBAL__N_18offset_tEEE10hipError_tPvRmT1_PNSt15iterator_traitsIS12_E10value_typeET2_T3_PNS13_IS18_E10value_typeET4_jRbjT5_S1E_jjP12ihipStream_tbEUljE_ZNSN_ISO_Lb0ESQ_SR_ST_SU_SY_EESZ_S10_S11_S12_S16_S17_S18_S1B_S1C_jS1D_jS1E_S1E_jjS1G_bEUljE0_EEESZ_S10_S11_S18_S1C_S1E_T6_T7_T9_mT8_S1G_bDpT10_ENKUlT_T0_E_clISt17integral_constantIbLb1EES1T_IbLb0EEEEDaS1P_S1Q_EUlS1P_E_NS1_11comp_targetILNS1_3genE8ELNS1_11target_archE1030ELNS1_3gpuE2ELNS1_3repE0EEENS1_30default_config_static_selectorELNS0_4arch9wavefront6targetE0EEEvS12_,@function
_ZN7rocprim17ROCPRIM_400000_NS6detail17trampoline_kernelINS0_13select_configILj256ELj13ELNS0_17block_load_methodE3ELS4_3ELS4_3ELNS0_20block_scan_algorithmE0ELj4294967295EEENS1_25partition_config_selectorILNS1_17partition_subalgoE4EjNS0_10empty_typeEbEEZZNS1_14partition_implILS8_4ELb0ES6_15HIP_vector_typeIjLj2EENS0_17counting_iteratorIjlEEPS9_SG_NS0_5tupleIJPjSI_NS0_16reverse_iteratorISI_EEEEENSH_IJSG_SG_SG_EEES9_SI_JZNS1_25segmented_radix_sort_implINS0_14default_configELb0EPKiPiPKlPlN2at6native12_GLOBAL__N_18offset_tEEE10hipError_tPvRmT1_PNSt15iterator_traitsIS12_E10value_typeET2_T3_PNS13_IS18_E10value_typeET4_jRbjT5_S1E_jjP12ihipStream_tbEUljE_ZNSN_ISO_Lb0ESQ_SR_ST_SU_SY_EESZ_S10_S11_S12_S16_S17_S18_S1B_S1C_jS1D_jS1E_S1E_jjS1G_bEUljE0_EEESZ_S10_S11_S18_S1C_S1E_T6_T7_T9_mT8_S1G_bDpT10_ENKUlT_T0_E_clISt17integral_constantIbLb1EES1T_IbLb0EEEEDaS1P_S1Q_EUlS1P_E_NS1_11comp_targetILNS1_3genE8ELNS1_11target_archE1030ELNS1_3gpuE2ELNS1_3repE0EEENS1_30default_config_static_selectorELNS0_4arch9wavefront6targetE0EEEvS12_: ; @_ZN7rocprim17ROCPRIM_400000_NS6detail17trampoline_kernelINS0_13select_configILj256ELj13ELNS0_17block_load_methodE3ELS4_3ELS4_3ELNS0_20block_scan_algorithmE0ELj4294967295EEENS1_25partition_config_selectorILNS1_17partition_subalgoE4EjNS0_10empty_typeEbEEZZNS1_14partition_implILS8_4ELb0ES6_15HIP_vector_typeIjLj2EENS0_17counting_iteratorIjlEEPS9_SG_NS0_5tupleIJPjSI_NS0_16reverse_iteratorISI_EEEEENSH_IJSG_SG_SG_EEES9_SI_JZNS1_25segmented_radix_sort_implINS0_14default_configELb0EPKiPiPKlPlN2at6native12_GLOBAL__N_18offset_tEEE10hipError_tPvRmT1_PNSt15iterator_traitsIS12_E10value_typeET2_T3_PNS13_IS18_E10value_typeET4_jRbjT5_S1E_jjP12ihipStream_tbEUljE_ZNSN_ISO_Lb0ESQ_SR_ST_SU_SY_EESZ_S10_S11_S12_S16_S17_S18_S1B_S1C_jS1D_jS1E_S1E_jjS1G_bEUljE0_EEESZ_S10_S11_S18_S1C_S1E_T6_T7_T9_mT8_S1G_bDpT10_ENKUlT_T0_E_clISt17integral_constantIbLb1EES1T_IbLb0EEEEDaS1P_S1Q_EUlS1P_E_NS1_11comp_targetILNS1_3genE8ELNS1_11target_archE1030ELNS1_3gpuE2ELNS1_3repE0EEENS1_30default_config_static_selectorELNS0_4arch9wavefront6targetE0EEEvS12_
; %bb.0:
	s_endpgm
	.section	.rodata,"a",@progbits
	.p2align	6, 0x0
	.amdhsa_kernel _ZN7rocprim17ROCPRIM_400000_NS6detail17trampoline_kernelINS0_13select_configILj256ELj13ELNS0_17block_load_methodE3ELS4_3ELS4_3ELNS0_20block_scan_algorithmE0ELj4294967295EEENS1_25partition_config_selectorILNS1_17partition_subalgoE4EjNS0_10empty_typeEbEEZZNS1_14partition_implILS8_4ELb0ES6_15HIP_vector_typeIjLj2EENS0_17counting_iteratorIjlEEPS9_SG_NS0_5tupleIJPjSI_NS0_16reverse_iteratorISI_EEEEENSH_IJSG_SG_SG_EEES9_SI_JZNS1_25segmented_radix_sort_implINS0_14default_configELb0EPKiPiPKlPlN2at6native12_GLOBAL__N_18offset_tEEE10hipError_tPvRmT1_PNSt15iterator_traitsIS12_E10value_typeET2_T3_PNS13_IS18_E10value_typeET4_jRbjT5_S1E_jjP12ihipStream_tbEUljE_ZNSN_ISO_Lb0ESQ_SR_ST_SU_SY_EESZ_S10_S11_S12_S16_S17_S18_S1B_S1C_jS1D_jS1E_S1E_jjS1G_bEUljE0_EEESZ_S10_S11_S18_S1C_S1E_T6_T7_T9_mT8_S1G_bDpT10_ENKUlT_T0_E_clISt17integral_constantIbLb1EES1T_IbLb0EEEEDaS1P_S1Q_EUlS1P_E_NS1_11comp_targetILNS1_3genE8ELNS1_11target_archE1030ELNS1_3gpuE2ELNS1_3repE0EEENS1_30default_config_static_selectorELNS0_4arch9wavefront6targetE0EEEvS12_
		.amdhsa_group_segment_fixed_size 0
		.amdhsa_private_segment_fixed_size 0
		.amdhsa_kernarg_size 176
		.amdhsa_user_sgpr_count 6
		.amdhsa_user_sgpr_private_segment_buffer 1
		.amdhsa_user_sgpr_dispatch_ptr 0
		.amdhsa_user_sgpr_queue_ptr 0
		.amdhsa_user_sgpr_kernarg_segment_ptr 1
		.amdhsa_user_sgpr_dispatch_id 0
		.amdhsa_user_sgpr_flat_scratch_init 0
		.amdhsa_user_sgpr_private_segment_size 0
		.amdhsa_wavefront_size32 1
		.amdhsa_uses_dynamic_stack 0
		.amdhsa_system_sgpr_private_segment_wavefront_offset 0
		.amdhsa_system_sgpr_workgroup_id_x 1
		.amdhsa_system_sgpr_workgroup_id_y 0
		.amdhsa_system_sgpr_workgroup_id_z 0
		.amdhsa_system_sgpr_workgroup_info 0
		.amdhsa_system_vgpr_workitem_id 0
		.amdhsa_next_free_vgpr 1
		.amdhsa_next_free_sgpr 1
		.amdhsa_reserve_vcc 0
		.amdhsa_reserve_flat_scratch 0
		.amdhsa_float_round_mode_32 0
		.amdhsa_float_round_mode_16_64 0
		.amdhsa_float_denorm_mode_32 3
		.amdhsa_float_denorm_mode_16_64 3
		.amdhsa_dx10_clamp 1
		.amdhsa_ieee_mode 1
		.amdhsa_fp16_overflow 0
		.amdhsa_workgroup_processor_mode 1
		.amdhsa_memory_ordered 1
		.amdhsa_forward_progress 1
		.amdhsa_shared_vgpr_count 0
		.amdhsa_exception_fp_ieee_invalid_op 0
		.amdhsa_exception_fp_denorm_src 0
		.amdhsa_exception_fp_ieee_div_zero 0
		.amdhsa_exception_fp_ieee_overflow 0
		.amdhsa_exception_fp_ieee_underflow 0
		.amdhsa_exception_fp_ieee_inexact 0
		.amdhsa_exception_int_div_zero 0
	.end_amdhsa_kernel
	.section	.text._ZN7rocprim17ROCPRIM_400000_NS6detail17trampoline_kernelINS0_13select_configILj256ELj13ELNS0_17block_load_methodE3ELS4_3ELS4_3ELNS0_20block_scan_algorithmE0ELj4294967295EEENS1_25partition_config_selectorILNS1_17partition_subalgoE4EjNS0_10empty_typeEbEEZZNS1_14partition_implILS8_4ELb0ES6_15HIP_vector_typeIjLj2EENS0_17counting_iteratorIjlEEPS9_SG_NS0_5tupleIJPjSI_NS0_16reverse_iteratorISI_EEEEENSH_IJSG_SG_SG_EEES9_SI_JZNS1_25segmented_radix_sort_implINS0_14default_configELb0EPKiPiPKlPlN2at6native12_GLOBAL__N_18offset_tEEE10hipError_tPvRmT1_PNSt15iterator_traitsIS12_E10value_typeET2_T3_PNS13_IS18_E10value_typeET4_jRbjT5_S1E_jjP12ihipStream_tbEUljE_ZNSN_ISO_Lb0ESQ_SR_ST_SU_SY_EESZ_S10_S11_S12_S16_S17_S18_S1B_S1C_jS1D_jS1E_S1E_jjS1G_bEUljE0_EEESZ_S10_S11_S18_S1C_S1E_T6_T7_T9_mT8_S1G_bDpT10_ENKUlT_T0_E_clISt17integral_constantIbLb1EES1T_IbLb0EEEEDaS1P_S1Q_EUlS1P_E_NS1_11comp_targetILNS1_3genE8ELNS1_11target_archE1030ELNS1_3gpuE2ELNS1_3repE0EEENS1_30default_config_static_selectorELNS0_4arch9wavefront6targetE0EEEvS12_,"axG",@progbits,_ZN7rocprim17ROCPRIM_400000_NS6detail17trampoline_kernelINS0_13select_configILj256ELj13ELNS0_17block_load_methodE3ELS4_3ELS4_3ELNS0_20block_scan_algorithmE0ELj4294967295EEENS1_25partition_config_selectorILNS1_17partition_subalgoE4EjNS0_10empty_typeEbEEZZNS1_14partition_implILS8_4ELb0ES6_15HIP_vector_typeIjLj2EENS0_17counting_iteratorIjlEEPS9_SG_NS0_5tupleIJPjSI_NS0_16reverse_iteratorISI_EEEEENSH_IJSG_SG_SG_EEES9_SI_JZNS1_25segmented_radix_sort_implINS0_14default_configELb0EPKiPiPKlPlN2at6native12_GLOBAL__N_18offset_tEEE10hipError_tPvRmT1_PNSt15iterator_traitsIS12_E10value_typeET2_T3_PNS13_IS18_E10value_typeET4_jRbjT5_S1E_jjP12ihipStream_tbEUljE_ZNSN_ISO_Lb0ESQ_SR_ST_SU_SY_EESZ_S10_S11_S12_S16_S17_S18_S1B_S1C_jS1D_jS1E_S1E_jjS1G_bEUljE0_EEESZ_S10_S11_S18_S1C_S1E_T6_T7_T9_mT8_S1G_bDpT10_ENKUlT_T0_E_clISt17integral_constantIbLb1EES1T_IbLb0EEEEDaS1P_S1Q_EUlS1P_E_NS1_11comp_targetILNS1_3genE8ELNS1_11target_archE1030ELNS1_3gpuE2ELNS1_3repE0EEENS1_30default_config_static_selectorELNS0_4arch9wavefront6targetE0EEEvS12_,comdat
.Lfunc_end554:
	.size	_ZN7rocprim17ROCPRIM_400000_NS6detail17trampoline_kernelINS0_13select_configILj256ELj13ELNS0_17block_load_methodE3ELS4_3ELS4_3ELNS0_20block_scan_algorithmE0ELj4294967295EEENS1_25partition_config_selectorILNS1_17partition_subalgoE4EjNS0_10empty_typeEbEEZZNS1_14partition_implILS8_4ELb0ES6_15HIP_vector_typeIjLj2EENS0_17counting_iteratorIjlEEPS9_SG_NS0_5tupleIJPjSI_NS0_16reverse_iteratorISI_EEEEENSH_IJSG_SG_SG_EEES9_SI_JZNS1_25segmented_radix_sort_implINS0_14default_configELb0EPKiPiPKlPlN2at6native12_GLOBAL__N_18offset_tEEE10hipError_tPvRmT1_PNSt15iterator_traitsIS12_E10value_typeET2_T3_PNS13_IS18_E10value_typeET4_jRbjT5_S1E_jjP12ihipStream_tbEUljE_ZNSN_ISO_Lb0ESQ_SR_ST_SU_SY_EESZ_S10_S11_S12_S16_S17_S18_S1B_S1C_jS1D_jS1E_S1E_jjS1G_bEUljE0_EEESZ_S10_S11_S18_S1C_S1E_T6_T7_T9_mT8_S1G_bDpT10_ENKUlT_T0_E_clISt17integral_constantIbLb1EES1T_IbLb0EEEEDaS1P_S1Q_EUlS1P_E_NS1_11comp_targetILNS1_3genE8ELNS1_11target_archE1030ELNS1_3gpuE2ELNS1_3repE0EEENS1_30default_config_static_selectorELNS0_4arch9wavefront6targetE0EEEvS12_, .Lfunc_end554-_ZN7rocprim17ROCPRIM_400000_NS6detail17trampoline_kernelINS0_13select_configILj256ELj13ELNS0_17block_load_methodE3ELS4_3ELS4_3ELNS0_20block_scan_algorithmE0ELj4294967295EEENS1_25partition_config_selectorILNS1_17partition_subalgoE4EjNS0_10empty_typeEbEEZZNS1_14partition_implILS8_4ELb0ES6_15HIP_vector_typeIjLj2EENS0_17counting_iteratorIjlEEPS9_SG_NS0_5tupleIJPjSI_NS0_16reverse_iteratorISI_EEEEENSH_IJSG_SG_SG_EEES9_SI_JZNS1_25segmented_radix_sort_implINS0_14default_configELb0EPKiPiPKlPlN2at6native12_GLOBAL__N_18offset_tEEE10hipError_tPvRmT1_PNSt15iterator_traitsIS12_E10value_typeET2_T3_PNS13_IS18_E10value_typeET4_jRbjT5_S1E_jjP12ihipStream_tbEUljE_ZNSN_ISO_Lb0ESQ_SR_ST_SU_SY_EESZ_S10_S11_S12_S16_S17_S18_S1B_S1C_jS1D_jS1E_S1E_jjS1G_bEUljE0_EEESZ_S10_S11_S18_S1C_S1E_T6_T7_T9_mT8_S1G_bDpT10_ENKUlT_T0_E_clISt17integral_constantIbLb1EES1T_IbLb0EEEEDaS1P_S1Q_EUlS1P_E_NS1_11comp_targetILNS1_3genE8ELNS1_11target_archE1030ELNS1_3gpuE2ELNS1_3repE0EEENS1_30default_config_static_selectorELNS0_4arch9wavefront6targetE0EEEvS12_
                                        ; -- End function
	.set _ZN7rocprim17ROCPRIM_400000_NS6detail17trampoline_kernelINS0_13select_configILj256ELj13ELNS0_17block_load_methodE3ELS4_3ELS4_3ELNS0_20block_scan_algorithmE0ELj4294967295EEENS1_25partition_config_selectorILNS1_17partition_subalgoE4EjNS0_10empty_typeEbEEZZNS1_14partition_implILS8_4ELb0ES6_15HIP_vector_typeIjLj2EENS0_17counting_iteratorIjlEEPS9_SG_NS0_5tupleIJPjSI_NS0_16reverse_iteratorISI_EEEEENSH_IJSG_SG_SG_EEES9_SI_JZNS1_25segmented_radix_sort_implINS0_14default_configELb0EPKiPiPKlPlN2at6native12_GLOBAL__N_18offset_tEEE10hipError_tPvRmT1_PNSt15iterator_traitsIS12_E10value_typeET2_T3_PNS13_IS18_E10value_typeET4_jRbjT5_S1E_jjP12ihipStream_tbEUljE_ZNSN_ISO_Lb0ESQ_SR_ST_SU_SY_EESZ_S10_S11_S12_S16_S17_S18_S1B_S1C_jS1D_jS1E_S1E_jjS1G_bEUljE0_EEESZ_S10_S11_S18_S1C_S1E_T6_T7_T9_mT8_S1G_bDpT10_ENKUlT_T0_E_clISt17integral_constantIbLb1EES1T_IbLb0EEEEDaS1P_S1Q_EUlS1P_E_NS1_11comp_targetILNS1_3genE8ELNS1_11target_archE1030ELNS1_3gpuE2ELNS1_3repE0EEENS1_30default_config_static_selectorELNS0_4arch9wavefront6targetE0EEEvS12_.num_vgpr, 0
	.set _ZN7rocprim17ROCPRIM_400000_NS6detail17trampoline_kernelINS0_13select_configILj256ELj13ELNS0_17block_load_methodE3ELS4_3ELS4_3ELNS0_20block_scan_algorithmE0ELj4294967295EEENS1_25partition_config_selectorILNS1_17partition_subalgoE4EjNS0_10empty_typeEbEEZZNS1_14partition_implILS8_4ELb0ES6_15HIP_vector_typeIjLj2EENS0_17counting_iteratorIjlEEPS9_SG_NS0_5tupleIJPjSI_NS0_16reverse_iteratorISI_EEEEENSH_IJSG_SG_SG_EEES9_SI_JZNS1_25segmented_radix_sort_implINS0_14default_configELb0EPKiPiPKlPlN2at6native12_GLOBAL__N_18offset_tEEE10hipError_tPvRmT1_PNSt15iterator_traitsIS12_E10value_typeET2_T3_PNS13_IS18_E10value_typeET4_jRbjT5_S1E_jjP12ihipStream_tbEUljE_ZNSN_ISO_Lb0ESQ_SR_ST_SU_SY_EESZ_S10_S11_S12_S16_S17_S18_S1B_S1C_jS1D_jS1E_S1E_jjS1G_bEUljE0_EEESZ_S10_S11_S18_S1C_S1E_T6_T7_T9_mT8_S1G_bDpT10_ENKUlT_T0_E_clISt17integral_constantIbLb1EES1T_IbLb0EEEEDaS1P_S1Q_EUlS1P_E_NS1_11comp_targetILNS1_3genE8ELNS1_11target_archE1030ELNS1_3gpuE2ELNS1_3repE0EEENS1_30default_config_static_selectorELNS0_4arch9wavefront6targetE0EEEvS12_.num_agpr, 0
	.set _ZN7rocprim17ROCPRIM_400000_NS6detail17trampoline_kernelINS0_13select_configILj256ELj13ELNS0_17block_load_methodE3ELS4_3ELS4_3ELNS0_20block_scan_algorithmE0ELj4294967295EEENS1_25partition_config_selectorILNS1_17partition_subalgoE4EjNS0_10empty_typeEbEEZZNS1_14partition_implILS8_4ELb0ES6_15HIP_vector_typeIjLj2EENS0_17counting_iteratorIjlEEPS9_SG_NS0_5tupleIJPjSI_NS0_16reverse_iteratorISI_EEEEENSH_IJSG_SG_SG_EEES9_SI_JZNS1_25segmented_radix_sort_implINS0_14default_configELb0EPKiPiPKlPlN2at6native12_GLOBAL__N_18offset_tEEE10hipError_tPvRmT1_PNSt15iterator_traitsIS12_E10value_typeET2_T3_PNS13_IS18_E10value_typeET4_jRbjT5_S1E_jjP12ihipStream_tbEUljE_ZNSN_ISO_Lb0ESQ_SR_ST_SU_SY_EESZ_S10_S11_S12_S16_S17_S18_S1B_S1C_jS1D_jS1E_S1E_jjS1G_bEUljE0_EEESZ_S10_S11_S18_S1C_S1E_T6_T7_T9_mT8_S1G_bDpT10_ENKUlT_T0_E_clISt17integral_constantIbLb1EES1T_IbLb0EEEEDaS1P_S1Q_EUlS1P_E_NS1_11comp_targetILNS1_3genE8ELNS1_11target_archE1030ELNS1_3gpuE2ELNS1_3repE0EEENS1_30default_config_static_selectorELNS0_4arch9wavefront6targetE0EEEvS12_.numbered_sgpr, 0
	.set _ZN7rocprim17ROCPRIM_400000_NS6detail17trampoline_kernelINS0_13select_configILj256ELj13ELNS0_17block_load_methodE3ELS4_3ELS4_3ELNS0_20block_scan_algorithmE0ELj4294967295EEENS1_25partition_config_selectorILNS1_17partition_subalgoE4EjNS0_10empty_typeEbEEZZNS1_14partition_implILS8_4ELb0ES6_15HIP_vector_typeIjLj2EENS0_17counting_iteratorIjlEEPS9_SG_NS0_5tupleIJPjSI_NS0_16reverse_iteratorISI_EEEEENSH_IJSG_SG_SG_EEES9_SI_JZNS1_25segmented_radix_sort_implINS0_14default_configELb0EPKiPiPKlPlN2at6native12_GLOBAL__N_18offset_tEEE10hipError_tPvRmT1_PNSt15iterator_traitsIS12_E10value_typeET2_T3_PNS13_IS18_E10value_typeET4_jRbjT5_S1E_jjP12ihipStream_tbEUljE_ZNSN_ISO_Lb0ESQ_SR_ST_SU_SY_EESZ_S10_S11_S12_S16_S17_S18_S1B_S1C_jS1D_jS1E_S1E_jjS1G_bEUljE0_EEESZ_S10_S11_S18_S1C_S1E_T6_T7_T9_mT8_S1G_bDpT10_ENKUlT_T0_E_clISt17integral_constantIbLb1EES1T_IbLb0EEEEDaS1P_S1Q_EUlS1P_E_NS1_11comp_targetILNS1_3genE8ELNS1_11target_archE1030ELNS1_3gpuE2ELNS1_3repE0EEENS1_30default_config_static_selectorELNS0_4arch9wavefront6targetE0EEEvS12_.num_named_barrier, 0
	.set _ZN7rocprim17ROCPRIM_400000_NS6detail17trampoline_kernelINS0_13select_configILj256ELj13ELNS0_17block_load_methodE3ELS4_3ELS4_3ELNS0_20block_scan_algorithmE0ELj4294967295EEENS1_25partition_config_selectorILNS1_17partition_subalgoE4EjNS0_10empty_typeEbEEZZNS1_14partition_implILS8_4ELb0ES6_15HIP_vector_typeIjLj2EENS0_17counting_iteratorIjlEEPS9_SG_NS0_5tupleIJPjSI_NS0_16reverse_iteratorISI_EEEEENSH_IJSG_SG_SG_EEES9_SI_JZNS1_25segmented_radix_sort_implINS0_14default_configELb0EPKiPiPKlPlN2at6native12_GLOBAL__N_18offset_tEEE10hipError_tPvRmT1_PNSt15iterator_traitsIS12_E10value_typeET2_T3_PNS13_IS18_E10value_typeET4_jRbjT5_S1E_jjP12ihipStream_tbEUljE_ZNSN_ISO_Lb0ESQ_SR_ST_SU_SY_EESZ_S10_S11_S12_S16_S17_S18_S1B_S1C_jS1D_jS1E_S1E_jjS1G_bEUljE0_EEESZ_S10_S11_S18_S1C_S1E_T6_T7_T9_mT8_S1G_bDpT10_ENKUlT_T0_E_clISt17integral_constantIbLb1EES1T_IbLb0EEEEDaS1P_S1Q_EUlS1P_E_NS1_11comp_targetILNS1_3genE8ELNS1_11target_archE1030ELNS1_3gpuE2ELNS1_3repE0EEENS1_30default_config_static_selectorELNS0_4arch9wavefront6targetE0EEEvS12_.private_seg_size, 0
	.set _ZN7rocprim17ROCPRIM_400000_NS6detail17trampoline_kernelINS0_13select_configILj256ELj13ELNS0_17block_load_methodE3ELS4_3ELS4_3ELNS0_20block_scan_algorithmE0ELj4294967295EEENS1_25partition_config_selectorILNS1_17partition_subalgoE4EjNS0_10empty_typeEbEEZZNS1_14partition_implILS8_4ELb0ES6_15HIP_vector_typeIjLj2EENS0_17counting_iteratorIjlEEPS9_SG_NS0_5tupleIJPjSI_NS0_16reverse_iteratorISI_EEEEENSH_IJSG_SG_SG_EEES9_SI_JZNS1_25segmented_radix_sort_implINS0_14default_configELb0EPKiPiPKlPlN2at6native12_GLOBAL__N_18offset_tEEE10hipError_tPvRmT1_PNSt15iterator_traitsIS12_E10value_typeET2_T3_PNS13_IS18_E10value_typeET4_jRbjT5_S1E_jjP12ihipStream_tbEUljE_ZNSN_ISO_Lb0ESQ_SR_ST_SU_SY_EESZ_S10_S11_S12_S16_S17_S18_S1B_S1C_jS1D_jS1E_S1E_jjS1G_bEUljE0_EEESZ_S10_S11_S18_S1C_S1E_T6_T7_T9_mT8_S1G_bDpT10_ENKUlT_T0_E_clISt17integral_constantIbLb1EES1T_IbLb0EEEEDaS1P_S1Q_EUlS1P_E_NS1_11comp_targetILNS1_3genE8ELNS1_11target_archE1030ELNS1_3gpuE2ELNS1_3repE0EEENS1_30default_config_static_selectorELNS0_4arch9wavefront6targetE0EEEvS12_.uses_vcc, 0
	.set _ZN7rocprim17ROCPRIM_400000_NS6detail17trampoline_kernelINS0_13select_configILj256ELj13ELNS0_17block_load_methodE3ELS4_3ELS4_3ELNS0_20block_scan_algorithmE0ELj4294967295EEENS1_25partition_config_selectorILNS1_17partition_subalgoE4EjNS0_10empty_typeEbEEZZNS1_14partition_implILS8_4ELb0ES6_15HIP_vector_typeIjLj2EENS0_17counting_iteratorIjlEEPS9_SG_NS0_5tupleIJPjSI_NS0_16reverse_iteratorISI_EEEEENSH_IJSG_SG_SG_EEES9_SI_JZNS1_25segmented_radix_sort_implINS0_14default_configELb0EPKiPiPKlPlN2at6native12_GLOBAL__N_18offset_tEEE10hipError_tPvRmT1_PNSt15iterator_traitsIS12_E10value_typeET2_T3_PNS13_IS18_E10value_typeET4_jRbjT5_S1E_jjP12ihipStream_tbEUljE_ZNSN_ISO_Lb0ESQ_SR_ST_SU_SY_EESZ_S10_S11_S12_S16_S17_S18_S1B_S1C_jS1D_jS1E_S1E_jjS1G_bEUljE0_EEESZ_S10_S11_S18_S1C_S1E_T6_T7_T9_mT8_S1G_bDpT10_ENKUlT_T0_E_clISt17integral_constantIbLb1EES1T_IbLb0EEEEDaS1P_S1Q_EUlS1P_E_NS1_11comp_targetILNS1_3genE8ELNS1_11target_archE1030ELNS1_3gpuE2ELNS1_3repE0EEENS1_30default_config_static_selectorELNS0_4arch9wavefront6targetE0EEEvS12_.uses_flat_scratch, 0
	.set _ZN7rocprim17ROCPRIM_400000_NS6detail17trampoline_kernelINS0_13select_configILj256ELj13ELNS0_17block_load_methodE3ELS4_3ELS4_3ELNS0_20block_scan_algorithmE0ELj4294967295EEENS1_25partition_config_selectorILNS1_17partition_subalgoE4EjNS0_10empty_typeEbEEZZNS1_14partition_implILS8_4ELb0ES6_15HIP_vector_typeIjLj2EENS0_17counting_iteratorIjlEEPS9_SG_NS0_5tupleIJPjSI_NS0_16reverse_iteratorISI_EEEEENSH_IJSG_SG_SG_EEES9_SI_JZNS1_25segmented_radix_sort_implINS0_14default_configELb0EPKiPiPKlPlN2at6native12_GLOBAL__N_18offset_tEEE10hipError_tPvRmT1_PNSt15iterator_traitsIS12_E10value_typeET2_T3_PNS13_IS18_E10value_typeET4_jRbjT5_S1E_jjP12ihipStream_tbEUljE_ZNSN_ISO_Lb0ESQ_SR_ST_SU_SY_EESZ_S10_S11_S12_S16_S17_S18_S1B_S1C_jS1D_jS1E_S1E_jjS1G_bEUljE0_EEESZ_S10_S11_S18_S1C_S1E_T6_T7_T9_mT8_S1G_bDpT10_ENKUlT_T0_E_clISt17integral_constantIbLb1EES1T_IbLb0EEEEDaS1P_S1Q_EUlS1P_E_NS1_11comp_targetILNS1_3genE8ELNS1_11target_archE1030ELNS1_3gpuE2ELNS1_3repE0EEENS1_30default_config_static_selectorELNS0_4arch9wavefront6targetE0EEEvS12_.has_dyn_sized_stack, 0
	.set _ZN7rocprim17ROCPRIM_400000_NS6detail17trampoline_kernelINS0_13select_configILj256ELj13ELNS0_17block_load_methodE3ELS4_3ELS4_3ELNS0_20block_scan_algorithmE0ELj4294967295EEENS1_25partition_config_selectorILNS1_17partition_subalgoE4EjNS0_10empty_typeEbEEZZNS1_14partition_implILS8_4ELb0ES6_15HIP_vector_typeIjLj2EENS0_17counting_iteratorIjlEEPS9_SG_NS0_5tupleIJPjSI_NS0_16reverse_iteratorISI_EEEEENSH_IJSG_SG_SG_EEES9_SI_JZNS1_25segmented_radix_sort_implINS0_14default_configELb0EPKiPiPKlPlN2at6native12_GLOBAL__N_18offset_tEEE10hipError_tPvRmT1_PNSt15iterator_traitsIS12_E10value_typeET2_T3_PNS13_IS18_E10value_typeET4_jRbjT5_S1E_jjP12ihipStream_tbEUljE_ZNSN_ISO_Lb0ESQ_SR_ST_SU_SY_EESZ_S10_S11_S12_S16_S17_S18_S1B_S1C_jS1D_jS1E_S1E_jjS1G_bEUljE0_EEESZ_S10_S11_S18_S1C_S1E_T6_T7_T9_mT8_S1G_bDpT10_ENKUlT_T0_E_clISt17integral_constantIbLb1EES1T_IbLb0EEEEDaS1P_S1Q_EUlS1P_E_NS1_11comp_targetILNS1_3genE8ELNS1_11target_archE1030ELNS1_3gpuE2ELNS1_3repE0EEENS1_30default_config_static_selectorELNS0_4arch9wavefront6targetE0EEEvS12_.has_recursion, 0
	.set _ZN7rocprim17ROCPRIM_400000_NS6detail17trampoline_kernelINS0_13select_configILj256ELj13ELNS0_17block_load_methodE3ELS4_3ELS4_3ELNS0_20block_scan_algorithmE0ELj4294967295EEENS1_25partition_config_selectorILNS1_17partition_subalgoE4EjNS0_10empty_typeEbEEZZNS1_14partition_implILS8_4ELb0ES6_15HIP_vector_typeIjLj2EENS0_17counting_iteratorIjlEEPS9_SG_NS0_5tupleIJPjSI_NS0_16reverse_iteratorISI_EEEEENSH_IJSG_SG_SG_EEES9_SI_JZNS1_25segmented_radix_sort_implINS0_14default_configELb0EPKiPiPKlPlN2at6native12_GLOBAL__N_18offset_tEEE10hipError_tPvRmT1_PNSt15iterator_traitsIS12_E10value_typeET2_T3_PNS13_IS18_E10value_typeET4_jRbjT5_S1E_jjP12ihipStream_tbEUljE_ZNSN_ISO_Lb0ESQ_SR_ST_SU_SY_EESZ_S10_S11_S12_S16_S17_S18_S1B_S1C_jS1D_jS1E_S1E_jjS1G_bEUljE0_EEESZ_S10_S11_S18_S1C_S1E_T6_T7_T9_mT8_S1G_bDpT10_ENKUlT_T0_E_clISt17integral_constantIbLb1EES1T_IbLb0EEEEDaS1P_S1Q_EUlS1P_E_NS1_11comp_targetILNS1_3genE8ELNS1_11target_archE1030ELNS1_3gpuE2ELNS1_3repE0EEENS1_30default_config_static_selectorELNS0_4arch9wavefront6targetE0EEEvS12_.has_indirect_call, 0
	.section	.AMDGPU.csdata,"",@progbits
; Kernel info:
; codeLenInByte = 4
; TotalNumSgprs: 0
; NumVgprs: 0
; ScratchSize: 0
; MemoryBound: 0
; FloatMode: 240
; IeeeMode: 1
; LDSByteSize: 0 bytes/workgroup (compile time only)
; SGPRBlocks: 0
; VGPRBlocks: 0
; NumSGPRsForWavesPerEU: 1
; NumVGPRsForWavesPerEU: 1
; Occupancy: 16
; WaveLimiterHint : 0
; COMPUTE_PGM_RSRC2:SCRATCH_EN: 0
; COMPUTE_PGM_RSRC2:USER_SGPR: 6
; COMPUTE_PGM_RSRC2:TRAP_HANDLER: 0
; COMPUTE_PGM_RSRC2:TGID_X_EN: 1
; COMPUTE_PGM_RSRC2:TGID_Y_EN: 0
; COMPUTE_PGM_RSRC2:TGID_Z_EN: 0
; COMPUTE_PGM_RSRC2:TIDIG_COMP_CNT: 0
	.section	.text._ZN7rocprim17ROCPRIM_400000_NS6detail17trampoline_kernelINS0_13select_configILj256ELj13ELNS0_17block_load_methodE3ELS4_3ELS4_3ELNS0_20block_scan_algorithmE0ELj4294967295EEENS1_25partition_config_selectorILNS1_17partition_subalgoE4EjNS0_10empty_typeEbEEZZNS1_14partition_implILS8_4ELb0ES6_15HIP_vector_typeIjLj2EENS0_17counting_iteratorIjlEEPS9_SG_NS0_5tupleIJPjSI_NS0_16reverse_iteratorISI_EEEEENSH_IJSG_SG_SG_EEES9_SI_JZNS1_25segmented_radix_sort_implINS0_14default_configELb0EPKiPiPKlPlN2at6native12_GLOBAL__N_18offset_tEEE10hipError_tPvRmT1_PNSt15iterator_traitsIS12_E10value_typeET2_T3_PNS13_IS18_E10value_typeET4_jRbjT5_S1E_jjP12ihipStream_tbEUljE_ZNSN_ISO_Lb0ESQ_SR_ST_SU_SY_EESZ_S10_S11_S12_S16_S17_S18_S1B_S1C_jS1D_jS1E_S1E_jjS1G_bEUljE0_EEESZ_S10_S11_S18_S1C_S1E_T6_T7_T9_mT8_S1G_bDpT10_ENKUlT_T0_E_clISt17integral_constantIbLb0EES1T_IbLb1EEEEDaS1P_S1Q_EUlS1P_E_NS1_11comp_targetILNS1_3genE0ELNS1_11target_archE4294967295ELNS1_3gpuE0ELNS1_3repE0EEENS1_30default_config_static_selectorELNS0_4arch9wavefront6targetE0EEEvS12_,"axG",@progbits,_ZN7rocprim17ROCPRIM_400000_NS6detail17trampoline_kernelINS0_13select_configILj256ELj13ELNS0_17block_load_methodE3ELS4_3ELS4_3ELNS0_20block_scan_algorithmE0ELj4294967295EEENS1_25partition_config_selectorILNS1_17partition_subalgoE4EjNS0_10empty_typeEbEEZZNS1_14partition_implILS8_4ELb0ES6_15HIP_vector_typeIjLj2EENS0_17counting_iteratorIjlEEPS9_SG_NS0_5tupleIJPjSI_NS0_16reverse_iteratorISI_EEEEENSH_IJSG_SG_SG_EEES9_SI_JZNS1_25segmented_radix_sort_implINS0_14default_configELb0EPKiPiPKlPlN2at6native12_GLOBAL__N_18offset_tEEE10hipError_tPvRmT1_PNSt15iterator_traitsIS12_E10value_typeET2_T3_PNS13_IS18_E10value_typeET4_jRbjT5_S1E_jjP12ihipStream_tbEUljE_ZNSN_ISO_Lb0ESQ_SR_ST_SU_SY_EESZ_S10_S11_S12_S16_S17_S18_S1B_S1C_jS1D_jS1E_S1E_jjS1G_bEUljE0_EEESZ_S10_S11_S18_S1C_S1E_T6_T7_T9_mT8_S1G_bDpT10_ENKUlT_T0_E_clISt17integral_constantIbLb0EES1T_IbLb1EEEEDaS1P_S1Q_EUlS1P_E_NS1_11comp_targetILNS1_3genE0ELNS1_11target_archE4294967295ELNS1_3gpuE0ELNS1_3repE0EEENS1_30default_config_static_selectorELNS0_4arch9wavefront6targetE0EEEvS12_,comdat
	.globl	_ZN7rocprim17ROCPRIM_400000_NS6detail17trampoline_kernelINS0_13select_configILj256ELj13ELNS0_17block_load_methodE3ELS4_3ELS4_3ELNS0_20block_scan_algorithmE0ELj4294967295EEENS1_25partition_config_selectorILNS1_17partition_subalgoE4EjNS0_10empty_typeEbEEZZNS1_14partition_implILS8_4ELb0ES6_15HIP_vector_typeIjLj2EENS0_17counting_iteratorIjlEEPS9_SG_NS0_5tupleIJPjSI_NS0_16reverse_iteratorISI_EEEEENSH_IJSG_SG_SG_EEES9_SI_JZNS1_25segmented_radix_sort_implINS0_14default_configELb0EPKiPiPKlPlN2at6native12_GLOBAL__N_18offset_tEEE10hipError_tPvRmT1_PNSt15iterator_traitsIS12_E10value_typeET2_T3_PNS13_IS18_E10value_typeET4_jRbjT5_S1E_jjP12ihipStream_tbEUljE_ZNSN_ISO_Lb0ESQ_SR_ST_SU_SY_EESZ_S10_S11_S12_S16_S17_S18_S1B_S1C_jS1D_jS1E_S1E_jjS1G_bEUljE0_EEESZ_S10_S11_S18_S1C_S1E_T6_T7_T9_mT8_S1G_bDpT10_ENKUlT_T0_E_clISt17integral_constantIbLb0EES1T_IbLb1EEEEDaS1P_S1Q_EUlS1P_E_NS1_11comp_targetILNS1_3genE0ELNS1_11target_archE4294967295ELNS1_3gpuE0ELNS1_3repE0EEENS1_30default_config_static_selectorELNS0_4arch9wavefront6targetE0EEEvS12_ ; -- Begin function _ZN7rocprim17ROCPRIM_400000_NS6detail17trampoline_kernelINS0_13select_configILj256ELj13ELNS0_17block_load_methodE3ELS4_3ELS4_3ELNS0_20block_scan_algorithmE0ELj4294967295EEENS1_25partition_config_selectorILNS1_17partition_subalgoE4EjNS0_10empty_typeEbEEZZNS1_14partition_implILS8_4ELb0ES6_15HIP_vector_typeIjLj2EENS0_17counting_iteratorIjlEEPS9_SG_NS0_5tupleIJPjSI_NS0_16reverse_iteratorISI_EEEEENSH_IJSG_SG_SG_EEES9_SI_JZNS1_25segmented_radix_sort_implINS0_14default_configELb0EPKiPiPKlPlN2at6native12_GLOBAL__N_18offset_tEEE10hipError_tPvRmT1_PNSt15iterator_traitsIS12_E10value_typeET2_T3_PNS13_IS18_E10value_typeET4_jRbjT5_S1E_jjP12ihipStream_tbEUljE_ZNSN_ISO_Lb0ESQ_SR_ST_SU_SY_EESZ_S10_S11_S12_S16_S17_S18_S1B_S1C_jS1D_jS1E_S1E_jjS1G_bEUljE0_EEESZ_S10_S11_S18_S1C_S1E_T6_T7_T9_mT8_S1G_bDpT10_ENKUlT_T0_E_clISt17integral_constantIbLb0EES1T_IbLb1EEEEDaS1P_S1Q_EUlS1P_E_NS1_11comp_targetILNS1_3genE0ELNS1_11target_archE4294967295ELNS1_3gpuE0ELNS1_3repE0EEENS1_30default_config_static_selectorELNS0_4arch9wavefront6targetE0EEEvS12_
	.p2align	8
	.type	_ZN7rocprim17ROCPRIM_400000_NS6detail17trampoline_kernelINS0_13select_configILj256ELj13ELNS0_17block_load_methodE3ELS4_3ELS4_3ELNS0_20block_scan_algorithmE0ELj4294967295EEENS1_25partition_config_selectorILNS1_17partition_subalgoE4EjNS0_10empty_typeEbEEZZNS1_14partition_implILS8_4ELb0ES6_15HIP_vector_typeIjLj2EENS0_17counting_iteratorIjlEEPS9_SG_NS0_5tupleIJPjSI_NS0_16reverse_iteratorISI_EEEEENSH_IJSG_SG_SG_EEES9_SI_JZNS1_25segmented_radix_sort_implINS0_14default_configELb0EPKiPiPKlPlN2at6native12_GLOBAL__N_18offset_tEEE10hipError_tPvRmT1_PNSt15iterator_traitsIS12_E10value_typeET2_T3_PNS13_IS18_E10value_typeET4_jRbjT5_S1E_jjP12ihipStream_tbEUljE_ZNSN_ISO_Lb0ESQ_SR_ST_SU_SY_EESZ_S10_S11_S12_S16_S17_S18_S1B_S1C_jS1D_jS1E_S1E_jjS1G_bEUljE0_EEESZ_S10_S11_S18_S1C_S1E_T6_T7_T9_mT8_S1G_bDpT10_ENKUlT_T0_E_clISt17integral_constantIbLb0EES1T_IbLb1EEEEDaS1P_S1Q_EUlS1P_E_NS1_11comp_targetILNS1_3genE0ELNS1_11target_archE4294967295ELNS1_3gpuE0ELNS1_3repE0EEENS1_30default_config_static_selectorELNS0_4arch9wavefront6targetE0EEEvS12_,@function
_ZN7rocprim17ROCPRIM_400000_NS6detail17trampoline_kernelINS0_13select_configILj256ELj13ELNS0_17block_load_methodE3ELS4_3ELS4_3ELNS0_20block_scan_algorithmE0ELj4294967295EEENS1_25partition_config_selectorILNS1_17partition_subalgoE4EjNS0_10empty_typeEbEEZZNS1_14partition_implILS8_4ELb0ES6_15HIP_vector_typeIjLj2EENS0_17counting_iteratorIjlEEPS9_SG_NS0_5tupleIJPjSI_NS0_16reverse_iteratorISI_EEEEENSH_IJSG_SG_SG_EEES9_SI_JZNS1_25segmented_radix_sort_implINS0_14default_configELb0EPKiPiPKlPlN2at6native12_GLOBAL__N_18offset_tEEE10hipError_tPvRmT1_PNSt15iterator_traitsIS12_E10value_typeET2_T3_PNS13_IS18_E10value_typeET4_jRbjT5_S1E_jjP12ihipStream_tbEUljE_ZNSN_ISO_Lb0ESQ_SR_ST_SU_SY_EESZ_S10_S11_S12_S16_S17_S18_S1B_S1C_jS1D_jS1E_S1E_jjS1G_bEUljE0_EEESZ_S10_S11_S18_S1C_S1E_T6_T7_T9_mT8_S1G_bDpT10_ENKUlT_T0_E_clISt17integral_constantIbLb0EES1T_IbLb1EEEEDaS1P_S1Q_EUlS1P_E_NS1_11comp_targetILNS1_3genE0ELNS1_11target_archE4294967295ELNS1_3gpuE0ELNS1_3repE0EEENS1_30default_config_static_selectorELNS0_4arch9wavefront6targetE0EEEvS12_: ; @_ZN7rocprim17ROCPRIM_400000_NS6detail17trampoline_kernelINS0_13select_configILj256ELj13ELNS0_17block_load_methodE3ELS4_3ELS4_3ELNS0_20block_scan_algorithmE0ELj4294967295EEENS1_25partition_config_selectorILNS1_17partition_subalgoE4EjNS0_10empty_typeEbEEZZNS1_14partition_implILS8_4ELb0ES6_15HIP_vector_typeIjLj2EENS0_17counting_iteratorIjlEEPS9_SG_NS0_5tupleIJPjSI_NS0_16reverse_iteratorISI_EEEEENSH_IJSG_SG_SG_EEES9_SI_JZNS1_25segmented_radix_sort_implINS0_14default_configELb0EPKiPiPKlPlN2at6native12_GLOBAL__N_18offset_tEEE10hipError_tPvRmT1_PNSt15iterator_traitsIS12_E10value_typeET2_T3_PNS13_IS18_E10value_typeET4_jRbjT5_S1E_jjP12ihipStream_tbEUljE_ZNSN_ISO_Lb0ESQ_SR_ST_SU_SY_EESZ_S10_S11_S12_S16_S17_S18_S1B_S1C_jS1D_jS1E_S1E_jjS1G_bEUljE0_EEESZ_S10_S11_S18_S1C_S1E_T6_T7_T9_mT8_S1G_bDpT10_ENKUlT_T0_E_clISt17integral_constantIbLb0EES1T_IbLb1EEEEDaS1P_S1Q_EUlS1P_E_NS1_11comp_targetILNS1_3genE0ELNS1_11target_archE4294967295ELNS1_3gpuE0ELNS1_3repE0EEENS1_30default_config_static_selectorELNS0_4arch9wavefront6targetE0EEEvS12_
; %bb.0:
	.section	.rodata,"a",@progbits
	.p2align	6, 0x0
	.amdhsa_kernel _ZN7rocprim17ROCPRIM_400000_NS6detail17trampoline_kernelINS0_13select_configILj256ELj13ELNS0_17block_load_methodE3ELS4_3ELS4_3ELNS0_20block_scan_algorithmE0ELj4294967295EEENS1_25partition_config_selectorILNS1_17partition_subalgoE4EjNS0_10empty_typeEbEEZZNS1_14partition_implILS8_4ELb0ES6_15HIP_vector_typeIjLj2EENS0_17counting_iteratorIjlEEPS9_SG_NS0_5tupleIJPjSI_NS0_16reverse_iteratorISI_EEEEENSH_IJSG_SG_SG_EEES9_SI_JZNS1_25segmented_radix_sort_implINS0_14default_configELb0EPKiPiPKlPlN2at6native12_GLOBAL__N_18offset_tEEE10hipError_tPvRmT1_PNSt15iterator_traitsIS12_E10value_typeET2_T3_PNS13_IS18_E10value_typeET4_jRbjT5_S1E_jjP12ihipStream_tbEUljE_ZNSN_ISO_Lb0ESQ_SR_ST_SU_SY_EESZ_S10_S11_S12_S16_S17_S18_S1B_S1C_jS1D_jS1E_S1E_jjS1G_bEUljE0_EEESZ_S10_S11_S18_S1C_S1E_T6_T7_T9_mT8_S1G_bDpT10_ENKUlT_T0_E_clISt17integral_constantIbLb0EES1T_IbLb1EEEEDaS1P_S1Q_EUlS1P_E_NS1_11comp_targetILNS1_3genE0ELNS1_11target_archE4294967295ELNS1_3gpuE0ELNS1_3repE0EEENS1_30default_config_static_selectorELNS0_4arch9wavefront6targetE0EEEvS12_
		.amdhsa_group_segment_fixed_size 0
		.amdhsa_private_segment_fixed_size 0
		.amdhsa_kernarg_size 184
		.amdhsa_user_sgpr_count 6
		.amdhsa_user_sgpr_private_segment_buffer 1
		.amdhsa_user_sgpr_dispatch_ptr 0
		.amdhsa_user_sgpr_queue_ptr 0
		.amdhsa_user_sgpr_kernarg_segment_ptr 1
		.amdhsa_user_sgpr_dispatch_id 0
		.amdhsa_user_sgpr_flat_scratch_init 0
		.amdhsa_user_sgpr_private_segment_size 0
		.amdhsa_wavefront_size32 1
		.amdhsa_uses_dynamic_stack 0
		.amdhsa_system_sgpr_private_segment_wavefront_offset 0
		.amdhsa_system_sgpr_workgroup_id_x 1
		.amdhsa_system_sgpr_workgroup_id_y 0
		.amdhsa_system_sgpr_workgroup_id_z 0
		.amdhsa_system_sgpr_workgroup_info 0
		.amdhsa_system_vgpr_workitem_id 0
		.amdhsa_next_free_vgpr 1
		.amdhsa_next_free_sgpr 1
		.amdhsa_reserve_vcc 0
		.amdhsa_reserve_flat_scratch 0
		.amdhsa_float_round_mode_32 0
		.amdhsa_float_round_mode_16_64 0
		.amdhsa_float_denorm_mode_32 3
		.amdhsa_float_denorm_mode_16_64 3
		.amdhsa_dx10_clamp 1
		.amdhsa_ieee_mode 1
		.amdhsa_fp16_overflow 0
		.amdhsa_workgroup_processor_mode 1
		.amdhsa_memory_ordered 1
		.amdhsa_forward_progress 1
		.amdhsa_shared_vgpr_count 0
		.amdhsa_exception_fp_ieee_invalid_op 0
		.amdhsa_exception_fp_denorm_src 0
		.amdhsa_exception_fp_ieee_div_zero 0
		.amdhsa_exception_fp_ieee_overflow 0
		.amdhsa_exception_fp_ieee_underflow 0
		.amdhsa_exception_fp_ieee_inexact 0
		.amdhsa_exception_int_div_zero 0
	.end_amdhsa_kernel
	.section	.text._ZN7rocprim17ROCPRIM_400000_NS6detail17trampoline_kernelINS0_13select_configILj256ELj13ELNS0_17block_load_methodE3ELS4_3ELS4_3ELNS0_20block_scan_algorithmE0ELj4294967295EEENS1_25partition_config_selectorILNS1_17partition_subalgoE4EjNS0_10empty_typeEbEEZZNS1_14partition_implILS8_4ELb0ES6_15HIP_vector_typeIjLj2EENS0_17counting_iteratorIjlEEPS9_SG_NS0_5tupleIJPjSI_NS0_16reverse_iteratorISI_EEEEENSH_IJSG_SG_SG_EEES9_SI_JZNS1_25segmented_radix_sort_implINS0_14default_configELb0EPKiPiPKlPlN2at6native12_GLOBAL__N_18offset_tEEE10hipError_tPvRmT1_PNSt15iterator_traitsIS12_E10value_typeET2_T3_PNS13_IS18_E10value_typeET4_jRbjT5_S1E_jjP12ihipStream_tbEUljE_ZNSN_ISO_Lb0ESQ_SR_ST_SU_SY_EESZ_S10_S11_S12_S16_S17_S18_S1B_S1C_jS1D_jS1E_S1E_jjS1G_bEUljE0_EEESZ_S10_S11_S18_S1C_S1E_T6_T7_T9_mT8_S1G_bDpT10_ENKUlT_T0_E_clISt17integral_constantIbLb0EES1T_IbLb1EEEEDaS1P_S1Q_EUlS1P_E_NS1_11comp_targetILNS1_3genE0ELNS1_11target_archE4294967295ELNS1_3gpuE0ELNS1_3repE0EEENS1_30default_config_static_selectorELNS0_4arch9wavefront6targetE0EEEvS12_,"axG",@progbits,_ZN7rocprim17ROCPRIM_400000_NS6detail17trampoline_kernelINS0_13select_configILj256ELj13ELNS0_17block_load_methodE3ELS4_3ELS4_3ELNS0_20block_scan_algorithmE0ELj4294967295EEENS1_25partition_config_selectorILNS1_17partition_subalgoE4EjNS0_10empty_typeEbEEZZNS1_14partition_implILS8_4ELb0ES6_15HIP_vector_typeIjLj2EENS0_17counting_iteratorIjlEEPS9_SG_NS0_5tupleIJPjSI_NS0_16reverse_iteratorISI_EEEEENSH_IJSG_SG_SG_EEES9_SI_JZNS1_25segmented_radix_sort_implINS0_14default_configELb0EPKiPiPKlPlN2at6native12_GLOBAL__N_18offset_tEEE10hipError_tPvRmT1_PNSt15iterator_traitsIS12_E10value_typeET2_T3_PNS13_IS18_E10value_typeET4_jRbjT5_S1E_jjP12ihipStream_tbEUljE_ZNSN_ISO_Lb0ESQ_SR_ST_SU_SY_EESZ_S10_S11_S12_S16_S17_S18_S1B_S1C_jS1D_jS1E_S1E_jjS1G_bEUljE0_EEESZ_S10_S11_S18_S1C_S1E_T6_T7_T9_mT8_S1G_bDpT10_ENKUlT_T0_E_clISt17integral_constantIbLb0EES1T_IbLb1EEEEDaS1P_S1Q_EUlS1P_E_NS1_11comp_targetILNS1_3genE0ELNS1_11target_archE4294967295ELNS1_3gpuE0ELNS1_3repE0EEENS1_30default_config_static_selectorELNS0_4arch9wavefront6targetE0EEEvS12_,comdat
.Lfunc_end555:
	.size	_ZN7rocprim17ROCPRIM_400000_NS6detail17trampoline_kernelINS0_13select_configILj256ELj13ELNS0_17block_load_methodE3ELS4_3ELS4_3ELNS0_20block_scan_algorithmE0ELj4294967295EEENS1_25partition_config_selectorILNS1_17partition_subalgoE4EjNS0_10empty_typeEbEEZZNS1_14partition_implILS8_4ELb0ES6_15HIP_vector_typeIjLj2EENS0_17counting_iteratorIjlEEPS9_SG_NS0_5tupleIJPjSI_NS0_16reverse_iteratorISI_EEEEENSH_IJSG_SG_SG_EEES9_SI_JZNS1_25segmented_radix_sort_implINS0_14default_configELb0EPKiPiPKlPlN2at6native12_GLOBAL__N_18offset_tEEE10hipError_tPvRmT1_PNSt15iterator_traitsIS12_E10value_typeET2_T3_PNS13_IS18_E10value_typeET4_jRbjT5_S1E_jjP12ihipStream_tbEUljE_ZNSN_ISO_Lb0ESQ_SR_ST_SU_SY_EESZ_S10_S11_S12_S16_S17_S18_S1B_S1C_jS1D_jS1E_S1E_jjS1G_bEUljE0_EEESZ_S10_S11_S18_S1C_S1E_T6_T7_T9_mT8_S1G_bDpT10_ENKUlT_T0_E_clISt17integral_constantIbLb0EES1T_IbLb1EEEEDaS1P_S1Q_EUlS1P_E_NS1_11comp_targetILNS1_3genE0ELNS1_11target_archE4294967295ELNS1_3gpuE0ELNS1_3repE0EEENS1_30default_config_static_selectorELNS0_4arch9wavefront6targetE0EEEvS12_, .Lfunc_end555-_ZN7rocprim17ROCPRIM_400000_NS6detail17trampoline_kernelINS0_13select_configILj256ELj13ELNS0_17block_load_methodE3ELS4_3ELS4_3ELNS0_20block_scan_algorithmE0ELj4294967295EEENS1_25partition_config_selectorILNS1_17partition_subalgoE4EjNS0_10empty_typeEbEEZZNS1_14partition_implILS8_4ELb0ES6_15HIP_vector_typeIjLj2EENS0_17counting_iteratorIjlEEPS9_SG_NS0_5tupleIJPjSI_NS0_16reverse_iteratorISI_EEEEENSH_IJSG_SG_SG_EEES9_SI_JZNS1_25segmented_radix_sort_implINS0_14default_configELb0EPKiPiPKlPlN2at6native12_GLOBAL__N_18offset_tEEE10hipError_tPvRmT1_PNSt15iterator_traitsIS12_E10value_typeET2_T3_PNS13_IS18_E10value_typeET4_jRbjT5_S1E_jjP12ihipStream_tbEUljE_ZNSN_ISO_Lb0ESQ_SR_ST_SU_SY_EESZ_S10_S11_S12_S16_S17_S18_S1B_S1C_jS1D_jS1E_S1E_jjS1G_bEUljE0_EEESZ_S10_S11_S18_S1C_S1E_T6_T7_T9_mT8_S1G_bDpT10_ENKUlT_T0_E_clISt17integral_constantIbLb0EES1T_IbLb1EEEEDaS1P_S1Q_EUlS1P_E_NS1_11comp_targetILNS1_3genE0ELNS1_11target_archE4294967295ELNS1_3gpuE0ELNS1_3repE0EEENS1_30default_config_static_selectorELNS0_4arch9wavefront6targetE0EEEvS12_
                                        ; -- End function
	.set _ZN7rocprim17ROCPRIM_400000_NS6detail17trampoline_kernelINS0_13select_configILj256ELj13ELNS0_17block_load_methodE3ELS4_3ELS4_3ELNS0_20block_scan_algorithmE0ELj4294967295EEENS1_25partition_config_selectorILNS1_17partition_subalgoE4EjNS0_10empty_typeEbEEZZNS1_14partition_implILS8_4ELb0ES6_15HIP_vector_typeIjLj2EENS0_17counting_iteratorIjlEEPS9_SG_NS0_5tupleIJPjSI_NS0_16reverse_iteratorISI_EEEEENSH_IJSG_SG_SG_EEES9_SI_JZNS1_25segmented_radix_sort_implINS0_14default_configELb0EPKiPiPKlPlN2at6native12_GLOBAL__N_18offset_tEEE10hipError_tPvRmT1_PNSt15iterator_traitsIS12_E10value_typeET2_T3_PNS13_IS18_E10value_typeET4_jRbjT5_S1E_jjP12ihipStream_tbEUljE_ZNSN_ISO_Lb0ESQ_SR_ST_SU_SY_EESZ_S10_S11_S12_S16_S17_S18_S1B_S1C_jS1D_jS1E_S1E_jjS1G_bEUljE0_EEESZ_S10_S11_S18_S1C_S1E_T6_T7_T9_mT8_S1G_bDpT10_ENKUlT_T0_E_clISt17integral_constantIbLb0EES1T_IbLb1EEEEDaS1P_S1Q_EUlS1P_E_NS1_11comp_targetILNS1_3genE0ELNS1_11target_archE4294967295ELNS1_3gpuE0ELNS1_3repE0EEENS1_30default_config_static_selectorELNS0_4arch9wavefront6targetE0EEEvS12_.num_vgpr, 0
	.set _ZN7rocprim17ROCPRIM_400000_NS6detail17trampoline_kernelINS0_13select_configILj256ELj13ELNS0_17block_load_methodE3ELS4_3ELS4_3ELNS0_20block_scan_algorithmE0ELj4294967295EEENS1_25partition_config_selectorILNS1_17partition_subalgoE4EjNS0_10empty_typeEbEEZZNS1_14partition_implILS8_4ELb0ES6_15HIP_vector_typeIjLj2EENS0_17counting_iteratorIjlEEPS9_SG_NS0_5tupleIJPjSI_NS0_16reverse_iteratorISI_EEEEENSH_IJSG_SG_SG_EEES9_SI_JZNS1_25segmented_radix_sort_implINS0_14default_configELb0EPKiPiPKlPlN2at6native12_GLOBAL__N_18offset_tEEE10hipError_tPvRmT1_PNSt15iterator_traitsIS12_E10value_typeET2_T3_PNS13_IS18_E10value_typeET4_jRbjT5_S1E_jjP12ihipStream_tbEUljE_ZNSN_ISO_Lb0ESQ_SR_ST_SU_SY_EESZ_S10_S11_S12_S16_S17_S18_S1B_S1C_jS1D_jS1E_S1E_jjS1G_bEUljE0_EEESZ_S10_S11_S18_S1C_S1E_T6_T7_T9_mT8_S1G_bDpT10_ENKUlT_T0_E_clISt17integral_constantIbLb0EES1T_IbLb1EEEEDaS1P_S1Q_EUlS1P_E_NS1_11comp_targetILNS1_3genE0ELNS1_11target_archE4294967295ELNS1_3gpuE0ELNS1_3repE0EEENS1_30default_config_static_selectorELNS0_4arch9wavefront6targetE0EEEvS12_.num_agpr, 0
	.set _ZN7rocprim17ROCPRIM_400000_NS6detail17trampoline_kernelINS0_13select_configILj256ELj13ELNS0_17block_load_methodE3ELS4_3ELS4_3ELNS0_20block_scan_algorithmE0ELj4294967295EEENS1_25partition_config_selectorILNS1_17partition_subalgoE4EjNS0_10empty_typeEbEEZZNS1_14partition_implILS8_4ELb0ES6_15HIP_vector_typeIjLj2EENS0_17counting_iteratorIjlEEPS9_SG_NS0_5tupleIJPjSI_NS0_16reverse_iteratorISI_EEEEENSH_IJSG_SG_SG_EEES9_SI_JZNS1_25segmented_radix_sort_implINS0_14default_configELb0EPKiPiPKlPlN2at6native12_GLOBAL__N_18offset_tEEE10hipError_tPvRmT1_PNSt15iterator_traitsIS12_E10value_typeET2_T3_PNS13_IS18_E10value_typeET4_jRbjT5_S1E_jjP12ihipStream_tbEUljE_ZNSN_ISO_Lb0ESQ_SR_ST_SU_SY_EESZ_S10_S11_S12_S16_S17_S18_S1B_S1C_jS1D_jS1E_S1E_jjS1G_bEUljE0_EEESZ_S10_S11_S18_S1C_S1E_T6_T7_T9_mT8_S1G_bDpT10_ENKUlT_T0_E_clISt17integral_constantIbLb0EES1T_IbLb1EEEEDaS1P_S1Q_EUlS1P_E_NS1_11comp_targetILNS1_3genE0ELNS1_11target_archE4294967295ELNS1_3gpuE0ELNS1_3repE0EEENS1_30default_config_static_selectorELNS0_4arch9wavefront6targetE0EEEvS12_.numbered_sgpr, 0
	.set _ZN7rocprim17ROCPRIM_400000_NS6detail17trampoline_kernelINS0_13select_configILj256ELj13ELNS0_17block_load_methodE3ELS4_3ELS4_3ELNS0_20block_scan_algorithmE0ELj4294967295EEENS1_25partition_config_selectorILNS1_17partition_subalgoE4EjNS0_10empty_typeEbEEZZNS1_14partition_implILS8_4ELb0ES6_15HIP_vector_typeIjLj2EENS0_17counting_iteratorIjlEEPS9_SG_NS0_5tupleIJPjSI_NS0_16reverse_iteratorISI_EEEEENSH_IJSG_SG_SG_EEES9_SI_JZNS1_25segmented_radix_sort_implINS0_14default_configELb0EPKiPiPKlPlN2at6native12_GLOBAL__N_18offset_tEEE10hipError_tPvRmT1_PNSt15iterator_traitsIS12_E10value_typeET2_T3_PNS13_IS18_E10value_typeET4_jRbjT5_S1E_jjP12ihipStream_tbEUljE_ZNSN_ISO_Lb0ESQ_SR_ST_SU_SY_EESZ_S10_S11_S12_S16_S17_S18_S1B_S1C_jS1D_jS1E_S1E_jjS1G_bEUljE0_EEESZ_S10_S11_S18_S1C_S1E_T6_T7_T9_mT8_S1G_bDpT10_ENKUlT_T0_E_clISt17integral_constantIbLb0EES1T_IbLb1EEEEDaS1P_S1Q_EUlS1P_E_NS1_11comp_targetILNS1_3genE0ELNS1_11target_archE4294967295ELNS1_3gpuE0ELNS1_3repE0EEENS1_30default_config_static_selectorELNS0_4arch9wavefront6targetE0EEEvS12_.num_named_barrier, 0
	.set _ZN7rocprim17ROCPRIM_400000_NS6detail17trampoline_kernelINS0_13select_configILj256ELj13ELNS0_17block_load_methodE3ELS4_3ELS4_3ELNS0_20block_scan_algorithmE0ELj4294967295EEENS1_25partition_config_selectorILNS1_17partition_subalgoE4EjNS0_10empty_typeEbEEZZNS1_14partition_implILS8_4ELb0ES6_15HIP_vector_typeIjLj2EENS0_17counting_iteratorIjlEEPS9_SG_NS0_5tupleIJPjSI_NS0_16reverse_iteratorISI_EEEEENSH_IJSG_SG_SG_EEES9_SI_JZNS1_25segmented_radix_sort_implINS0_14default_configELb0EPKiPiPKlPlN2at6native12_GLOBAL__N_18offset_tEEE10hipError_tPvRmT1_PNSt15iterator_traitsIS12_E10value_typeET2_T3_PNS13_IS18_E10value_typeET4_jRbjT5_S1E_jjP12ihipStream_tbEUljE_ZNSN_ISO_Lb0ESQ_SR_ST_SU_SY_EESZ_S10_S11_S12_S16_S17_S18_S1B_S1C_jS1D_jS1E_S1E_jjS1G_bEUljE0_EEESZ_S10_S11_S18_S1C_S1E_T6_T7_T9_mT8_S1G_bDpT10_ENKUlT_T0_E_clISt17integral_constantIbLb0EES1T_IbLb1EEEEDaS1P_S1Q_EUlS1P_E_NS1_11comp_targetILNS1_3genE0ELNS1_11target_archE4294967295ELNS1_3gpuE0ELNS1_3repE0EEENS1_30default_config_static_selectorELNS0_4arch9wavefront6targetE0EEEvS12_.private_seg_size, 0
	.set _ZN7rocprim17ROCPRIM_400000_NS6detail17trampoline_kernelINS0_13select_configILj256ELj13ELNS0_17block_load_methodE3ELS4_3ELS4_3ELNS0_20block_scan_algorithmE0ELj4294967295EEENS1_25partition_config_selectorILNS1_17partition_subalgoE4EjNS0_10empty_typeEbEEZZNS1_14partition_implILS8_4ELb0ES6_15HIP_vector_typeIjLj2EENS0_17counting_iteratorIjlEEPS9_SG_NS0_5tupleIJPjSI_NS0_16reverse_iteratorISI_EEEEENSH_IJSG_SG_SG_EEES9_SI_JZNS1_25segmented_radix_sort_implINS0_14default_configELb0EPKiPiPKlPlN2at6native12_GLOBAL__N_18offset_tEEE10hipError_tPvRmT1_PNSt15iterator_traitsIS12_E10value_typeET2_T3_PNS13_IS18_E10value_typeET4_jRbjT5_S1E_jjP12ihipStream_tbEUljE_ZNSN_ISO_Lb0ESQ_SR_ST_SU_SY_EESZ_S10_S11_S12_S16_S17_S18_S1B_S1C_jS1D_jS1E_S1E_jjS1G_bEUljE0_EEESZ_S10_S11_S18_S1C_S1E_T6_T7_T9_mT8_S1G_bDpT10_ENKUlT_T0_E_clISt17integral_constantIbLb0EES1T_IbLb1EEEEDaS1P_S1Q_EUlS1P_E_NS1_11comp_targetILNS1_3genE0ELNS1_11target_archE4294967295ELNS1_3gpuE0ELNS1_3repE0EEENS1_30default_config_static_selectorELNS0_4arch9wavefront6targetE0EEEvS12_.uses_vcc, 0
	.set _ZN7rocprim17ROCPRIM_400000_NS6detail17trampoline_kernelINS0_13select_configILj256ELj13ELNS0_17block_load_methodE3ELS4_3ELS4_3ELNS0_20block_scan_algorithmE0ELj4294967295EEENS1_25partition_config_selectorILNS1_17partition_subalgoE4EjNS0_10empty_typeEbEEZZNS1_14partition_implILS8_4ELb0ES6_15HIP_vector_typeIjLj2EENS0_17counting_iteratorIjlEEPS9_SG_NS0_5tupleIJPjSI_NS0_16reverse_iteratorISI_EEEEENSH_IJSG_SG_SG_EEES9_SI_JZNS1_25segmented_radix_sort_implINS0_14default_configELb0EPKiPiPKlPlN2at6native12_GLOBAL__N_18offset_tEEE10hipError_tPvRmT1_PNSt15iterator_traitsIS12_E10value_typeET2_T3_PNS13_IS18_E10value_typeET4_jRbjT5_S1E_jjP12ihipStream_tbEUljE_ZNSN_ISO_Lb0ESQ_SR_ST_SU_SY_EESZ_S10_S11_S12_S16_S17_S18_S1B_S1C_jS1D_jS1E_S1E_jjS1G_bEUljE0_EEESZ_S10_S11_S18_S1C_S1E_T6_T7_T9_mT8_S1G_bDpT10_ENKUlT_T0_E_clISt17integral_constantIbLb0EES1T_IbLb1EEEEDaS1P_S1Q_EUlS1P_E_NS1_11comp_targetILNS1_3genE0ELNS1_11target_archE4294967295ELNS1_3gpuE0ELNS1_3repE0EEENS1_30default_config_static_selectorELNS0_4arch9wavefront6targetE0EEEvS12_.uses_flat_scratch, 0
	.set _ZN7rocprim17ROCPRIM_400000_NS6detail17trampoline_kernelINS0_13select_configILj256ELj13ELNS0_17block_load_methodE3ELS4_3ELS4_3ELNS0_20block_scan_algorithmE0ELj4294967295EEENS1_25partition_config_selectorILNS1_17partition_subalgoE4EjNS0_10empty_typeEbEEZZNS1_14partition_implILS8_4ELb0ES6_15HIP_vector_typeIjLj2EENS0_17counting_iteratorIjlEEPS9_SG_NS0_5tupleIJPjSI_NS0_16reverse_iteratorISI_EEEEENSH_IJSG_SG_SG_EEES9_SI_JZNS1_25segmented_radix_sort_implINS0_14default_configELb0EPKiPiPKlPlN2at6native12_GLOBAL__N_18offset_tEEE10hipError_tPvRmT1_PNSt15iterator_traitsIS12_E10value_typeET2_T3_PNS13_IS18_E10value_typeET4_jRbjT5_S1E_jjP12ihipStream_tbEUljE_ZNSN_ISO_Lb0ESQ_SR_ST_SU_SY_EESZ_S10_S11_S12_S16_S17_S18_S1B_S1C_jS1D_jS1E_S1E_jjS1G_bEUljE0_EEESZ_S10_S11_S18_S1C_S1E_T6_T7_T9_mT8_S1G_bDpT10_ENKUlT_T0_E_clISt17integral_constantIbLb0EES1T_IbLb1EEEEDaS1P_S1Q_EUlS1P_E_NS1_11comp_targetILNS1_3genE0ELNS1_11target_archE4294967295ELNS1_3gpuE0ELNS1_3repE0EEENS1_30default_config_static_selectorELNS0_4arch9wavefront6targetE0EEEvS12_.has_dyn_sized_stack, 0
	.set _ZN7rocprim17ROCPRIM_400000_NS6detail17trampoline_kernelINS0_13select_configILj256ELj13ELNS0_17block_load_methodE3ELS4_3ELS4_3ELNS0_20block_scan_algorithmE0ELj4294967295EEENS1_25partition_config_selectorILNS1_17partition_subalgoE4EjNS0_10empty_typeEbEEZZNS1_14partition_implILS8_4ELb0ES6_15HIP_vector_typeIjLj2EENS0_17counting_iteratorIjlEEPS9_SG_NS0_5tupleIJPjSI_NS0_16reverse_iteratorISI_EEEEENSH_IJSG_SG_SG_EEES9_SI_JZNS1_25segmented_radix_sort_implINS0_14default_configELb0EPKiPiPKlPlN2at6native12_GLOBAL__N_18offset_tEEE10hipError_tPvRmT1_PNSt15iterator_traitsIS12_E10value_typeET2_T3_PNS13_IS18_E10value_typeET4_jRbjT5_S1E_jjP12ihipStream_tbEUljE_ZNSN_ISO_Lb0ESQ_SR_ST_SU_SY_EESZ_S10_S11_S12_S16_S17_S18_S1B_S1C_jS1D_jS1E_S1E_jjS1G_bEUljE0_EEESZ_S10_S11_S18_S1C_S1E_T6_T7_T9_mT8_S1G_bDpT10_ENKUlT_T0_E_clISt17integral_constantIbLb0EES1T_IbLb1EEEEDaS1P_S1Q_EUlS1P_E_NS1_11comp_targetILNS1_3genE0ELNS1_11target_archE4294967295ELNS1_3gpuE0ELNS1_3repE0EEENS1_30default_config_static_selectorELNS0_4arch9wavefront6targetE0EEEvS12_.has_recursion, 0
	.set _ZN7rocprim17ROCPRIM_400000_NS6detail17trampoline_kernelINS0_13select_configILj256ELj13ELNS0_17block_load_methodE3ELS4_3ELS4_3ELNS0_20block_scan_algorithmE0ELj4294967295EEENS1_25partition_config_selectorILNS1_17partition_subalgoE4EjNS0_10empty_typeEbEEZZNS1_14partition_implILS8_4ELb0ES6_15HIP_vector_typeIjLj2EENS0_17counting_iteratorIjlEEPS9_SG_NS0_5tupleIJPjSI_NS0_16reverse_iteratorISI_EEEEENSH_IJSG_SG_SG_EEES9_SI_JZNS1_25segmented_radix_sort_implINS0_14default_configELb0EPKiPiPKlPlN2at6native12_GLOBAL__N_18offset_tEEE10hipError_tPvRmT1_PNSt15iterator_traitsIS12_E10value_typeET2_T3_PNS13_IS18_E10value_typeET4_jRbjT5_S1E_jjP12ihipStream_tbEUljE_ZNSN_ISO_Lb0ESQ_SR_ST_SU_SY_EESZ_S10_S11_S12_S16_S17_S18_S1B_S1C_jS1D_jS1E_S1E_jjS1G_bEUljE0_EEESZ_S10_S11_S18_S1C_S1E_T6_T7_T9_mT8_S1G_bDpT10_ENKUlT_T0_E_clISt17integral_constantIbLb0EES1T_IbLb1EEEEDaS1P_S1Q_EUlS1P_E_NS1_11comp_targetILNS1_3genE0ELNS1_11target_archE4294967295ELNS1_3gpuE0ELNS1_3repE0EEENS1_30default_config_static_selectorELNS0_4arch9wavefront6targetE0EEEvS12_.has_indirect_call, 0
	.section	.AMDGPU.csdata,"",@progbits
; Kernel info:
; codeLenInByte = 0
; TotalNumSgprs: 0
; NumVgprs: 0
; ScratchSize: 0
; MemoryBound: 0
; FloatMode: 240
; IeeeMode: 1
; LDSByteSize: 0 bytes/workgroup (compile time only)
; SGPRBlocks: 0
; VGPRBlocks: 0
; NumSGPRsForWavesPerEU: 1
; NumVGPRsForWavesPerEU: 1
; Occupancy: 16
; WaveLimiterHint : 0
; COMPUTE_PGM_RSRC2:SCRATCH_EN: 0
; COMPUTE_PGM_RSRC2:USER_SGPR: 6
; COMPUTE_PGM_RSRC2:TRAP_HANDLER: 0
; COMPUTE_PGM_RSRC2:TGID_X_EN: 1
; COMPUTE_PGM_RSRC2:TGID_Y_EN: 0
; COMPUTE_PGM_RSRC2:TGID_Z_EN: 0
; COMPUTE_PGM_RSRC2:TIDIG_COMP_CNT: 0
	.section	.text._ZN7rocprim17ROCPRIM_400000_NS6detail17trampoline_kernelINS0_13select_configILj256ELj13ELNS0_17block_load_methodE3ELS4_3ELS4_3ELNS0_20block_scan_algorithmE0ELj4294967295EEENS1_25partition_config_selectorILNS1_17partition_subalgoE4EjNS0_10empty_typeEbEEZZNS1_14partition_implILS8_4ELb0ES6_15HIP_vector_typeIjLj2EENS0_17counting_iteratorIjlEEPS9_SG_NS0_5tupleIJPjSI_NS0_16reverse_iteratorISI_EEEEENSH_IJSG_SG_SG_EEES9_SI_JZNS1_25segmented_radix_sort_implINS0_14default_configELb0EPKiPiPKlPlN2at6native12_GLOBAL__N_18offset_tEEE10hipError_tPvRmT1_PNSt15iterator_traitsIS12_E10value_typeET2_T3_PNS13_IS18_E10value_typeET4_jRbjT5_S1E_jjP12ihipStream_tbEUljE_ZNSN_ISO_Lb0ESQ_SR_ST_SU_SY_EESZ_S10_S11_S12_S16_S17_S18_S1B_S1C_jS1D_jS1E_S1E_jjS1G_bEUljE0_EEESZ_S10_S11_S18_S1C_S1E_T6_T7_T9_mT8_S1G_bDpT10_ENKUlT_T0_E_clISt17integral_constantIbLb0EES1T_IbLb1EEEEDaS1P_S1Q_EUlS1P_E_NS1_11comp_targetILNS1_3genE5ELNS1_11target_archE942ELNS1_3gpuE9ELNS1_3repE0EEENS1_30default_config_static_selectorELNS0_4arch9wavefront6targetE0EEEvS12_,"axG",@progbits,_ZN7rocprim17ROCPRIM_400000_NS6detail17trampoline_kernelINS0_13select_configILj256ELj13ELNS0_17block_load_methodE3ELS4_3ELS4_3ELNS0_20block_scan_algorithmE0ELj4294967295EEENS1_25partition_config_selectorILNS1_17partition_subalgoE4EjNS0_10empty_typeEbEEZZNS1_14partition_implILS8_4ELb0ES6_15HIP_vector_typeIjLj2EENS0_17counting_iteratorIjlEEPS9_SG_NS0_5tupleIJPjSI_NS0_16reverse_iteratorISI_EEEEENSH_IJSG_SG_SG_EEES9_SI_JZNS1_25segmented_radix_sort_implINS0_14default_configELb0EPKiPiPKlPlN2at6native12_GLOBAL__N_18offset_tEEE10hipError_tPvRmT1_PNSt15iterator_traitsIS12_E10value_typeET2_T3_PNS13_IS18_E10value_typeET4_jRbjT5_S1E_jjP12ihipStream_tbEUljE_ZNSN_ISO_Lb0ESQ_SR_ST_SU_SY_EESZ_S10_S11_S12_S16_S17_S18_S1B_S1C_jS1D_jS1E_S1E_jjS1G_bEUljE0_EEESZ_S10_S11_S18_S1C_S1E_T6_T7_T9_mT8_S1G_bDpT10_ENKUlT_T0_E_clISt17integral_constantIbLb0EES1T_IbLb1EEEEDaS1P_S1Q_EUlS1P_E_NS1_11comp_targetILNS1_3genE5ELNS1_11target_archE942ELNS1_3gpuE9ELNS1_3repE0EEENS1_30default_config_static_selectorELNS0_4arch9wavefront6targetE0EEEvS12_,comdat
	.globl	_ZN7rocprim17ROCPRIM_400000_NS6detail17trampoline_kernelINS0_13select_configILj256ELj13ELNS0_17block_load_methodE3ELS4_3ELS4_3ELNS0_20block_scan_algorithmE0ELj4294967295EEENS1_25partition_config_selectorILNS1_17partition_subalgoE4EjNS0_10empty_typeEbEEZZNS1_14partition_implILS8_4ELb0ES6_15HIP_vector_typeIjLj2EENS0_17counting_iteratorIjlEEPS9_SG_NS0_5tupleIJPjSI_NS0_16reverse_iteratorISI_EEEEENSH_IJSG_SG_SG_EEES9_SI_JZNS1_25segmented_radix_sort_implINS0_14default_configELb0EPKiPiPKlPlN2at6native12_GLOBAL__N_18offset_tEEE10hipError_tPvRmT1_PNSt15iterator_traitsIS12_E10value_typeET2_T3_PNS13_IS18_E10value_typeET4_jRbjT5_S1E_jjP12ihipStream_tbEUljE_ZNSN_ISO_Lb0ESQ_SR_ST_SU_SY_EESZ_S10_S11_S12_S16_S17_S18_S1B_S1C_jS1D_jS1E_S1E_jjS1G_bEUljE0_EEESZ_S10_S11_S18_S1C_S1E_T6_T7_T9_mT8_S1G_bDpT10_ENKUlT_T0_E_clISt17integral_constantIbLb0EES1T_IbLb1EEEEDaS1P_S1Q_EUlS1P_E_NS1_11comp_targetILNS1_3genE5ELNS1_11target_archE942ELNS1_3gpuE9ELNS1_3repE0EEENS1_30default_config_static_selectorELNS0_4arch9wavefront6targetE0EEEvS12_ ; -- Begin function _ZN7rocprim17ROCPRIM_400000_NS6detail17trampoline_kernelINS0_13select_configILj256ELj13ELNS0_17block_load_methodE3ELS4_3ELS4_3ELNS0_20block_scan_algorithmE0ELj4294967295EEENS1_25partition_config_selectorILNS1_17partition_subalgoE4EjNS0_10empty_typeEbEEZZNS1_14partition_implILS8_4ELb0ES6_15HIP_vector_typeIjLj2EENS0_17counting_iteratorIjlEEPS9_SG_NS0_5tupleIJPjSI_NS0_16reverse_iteratorISI_EEEEENSH_IJSG_SG_SG_EEES9_SI_JZNS1_25segmented_radix_sort_implINS0_14default_configELb0EPKiPiPKlPlN2at6native12_GLOBAL__N_18offset_tEEE10hipError_tPvRmT1_PNSt15iterator_traitsIS12_E10value_typeET2_T3_PNS13_IS18_E10value_typeET4_jRbjT5_S1E_jjP12ihipStream_tbEUljE_ZNSN_ISO_Lb0ESQ_SR_ST_SU_SY_EESZ_S10_S11_S12_S16_S17_S18_S1B_S1C_jS1D_jS1E_S1E_jjS1G_bEUljE0_EEESZ_S10_S11_S18_S1C_S1E_T6_T7_T9_mT8_S1G_bDpT10_ENKUlT_T0_E_clISt17integral_constantIbLb0EES1T_IbLb1EEEEDaS1P_S1Q_EUlS1P_E_NS1_11comp_targetILNS1_3genE5ELNS1_11target_archE942ELNS1_3gpuE9ELNS1_3repE0EEENS1_30default_config_static_selectorELNS0_4arch9wavefront6targetE0EEEvS12_
	.p2align	8
	.type	_ZN7rocprim17ROCPRIM_400000_NS6detail17trampoline_kernelINS0_13select_configILj256ELj13ELNS0_17block_load_methodE3ELS4_3ELS4_3ELNS0_20block_scan_algorithmE0ELj4294967295EEENS1_25partition_config_selectorILNS1_17partition_subalgoE4EjNS0_10empty_typeEbEEZZNS1_14partition_implILS8_4ELb0ES6_15HIP_vector_typeIjLj2EENS0_17counting_iteratorIjlEEPS9_SG_NS0_5tupleIJPjSI_NS0_16reverse_iteratorISI_EEEEENSH_IJSG_SG_SG_EEES9_SI_JZNS1_25segmented_radix_sort_implINS0_14default_configELb0EPKiPiPKlPlN2at6native12_GLOBAL__N_18offset_tEEE10hipError_tPvRmT1_PNSt15iterator_traitsIS12_E10value_typeET2_T3_PNS13_IS18_E10value_typeET4_jRbjT5_S1E_jjP12ihipStream_tbEUljE_ZNSN_ISO_Lb0ESQ_SR_ST_SU_SY_EESZ_S10_S11_S12_S16_S17_S18_S1B_S1C_jS1D_jS1E_S1E_jjS1G_bEUljE0_EEESZ_S10_S11_S18_S1C_S1E_T6_T7_T9_mT8_S1G_bDpT10_ENKUlT_T0_E_clISt17integral_constantIbLb0EES1T_IbLb1EEEEDaS1P_S1Q_EUlS1P_E_NS1_11comp_targetILNS1_3genE5ELNS1_11target_archE942ELNS1_3gpuE9ELNS1_3repE0EEENS1_30default_config_static_selectorELNS0_4arch9wavefront6targetE0EEEvS12_,@function
_ZN7rocprim17ROCPRIM_400000_NS6detail17trampoline_kernelINS0_13select_configILj256ELj13ELNS0_17block_load_methodE3ELS4_3ELS4_3ELNS0_20block_scan_algorithmE0ELj4294967295EEENS1_25partition_config_selectorILNS1_17partition_subalgoE4EjNS0_10empty_typeEbEEZZNS1_14partition_implILS8_4ELb0ES6_15HIP_vector_typeIjLj2EENS0_17counting_iteratorIjlEEPS9_SG_NS0_5tupleIJPjSI_NS0_16reverse_iteratorISI_EEEEENSH_IJSG_SG_SG_EEES9_SI_JZNS1_25segmented_radix_sort_implINS0_14default_configELb0EPKiPiPKlPlN2at6native12_GLOBAL__N_18offset_tEEE10hipError_tPvRmT1_PNSt15iterator_traitsIS12_E10value_typeET2_T3_PNS13_IS18_E10value_typeET4_jRbjT5_S1E_jjP12ihipStream_tbEUljE_ZNSN_ISO_Lb0ESQ_SR_ST_SU_SY_EESZ_S10_S11_S12_S16_S17_S18_S1B_S1C_jS1D_jS1E_S1E_jjS1G_bEUljE0_EEESZ_S10_S11_S18_S1C_S1E_T6_T7_T9_mT8_S1G_bDpT10_ENKUlT_T0_E_clISt17integral_constantIbLb0EES1T_IbLb1EEEEDaS1P_S1Q_EUlS1P_E_NS1_11comp_targetILNS1_3genE5ELNS1_11target_archE942ELNS1_3gpuE9ELNS1_3repE0EEENS1_30default_config_static_selectorELNS0_4arch9wavefront6targetE0EEEvS12_: ; @_ZN7rocprim17ROCPRIM_400000_NS6detail17trampoline_kernelINS0_13select_configILj256ELj13ELNS0_17block_load_methodE3ELS4_3ELS4_3ELNS0_20block_scan_algorithmE0ELj4294967295EEENS1_25partition_config_selectorILNS1_17partition_subalgoE4EjNS0_10empty_typeEbEEZZNS1_14partition_implILS8_4ELb0ES6_15HIP_vector_typeIjLj2EENS0_17counting_iteratorIjlEEPS9_SG_NS0_5tupleIJPjSI_NS0_16reverse_iteratorISI_EEEEENSH_IJSG_SG_SG_EEES9_SI_JZNS1_25segmented_radix_sort_implINS0_14default_configELb0EPKiPiPKlPlN2at6native12_GLOBAL__N_18offset_tEEE10hipError_tPvRmT1_PNSt15iterator_traitsIS12_E10value_typeET2_T3_PNS13_IS18_E10value_typeET4_jRbjT5_S1E_jjP12ihipStream_tbEUljE_ZNSN_ISO_Lb0ESQ_SR_ST_SU_SY_EESZ_S10_S11_S12_S16_S17_S18_S1B_S1C_jS1D_jS1E_S1E_jjS1G_bEUljE0_EEESZ_S10_S11_S18_S1C_S1E_T6_T7_T9_mT8_S1G_bDpT10_ENKUlT_T0_E_clISt17integral_constantIbLb0EES1T_IbLb1EEEEDaS1P_S1Q_EUlS1P_E_NS1_11comp_targetILNS1_3genE5ELNS1_11target_archE942ELNS1_3gpuE9ELNS1_3repE0EEENS1_30default_config_static_selectorELNS0_4arch9wavefront6targetE0EEEvS12_
; %bb.0:
	.section	.rodata,"a",@progbits
	.p2align	6, 0x0
	.amdhsa_kernel _ZN7rocprim17ROCPRIM_400000_NS6detail17trampoline_kernelINS0_13select_configILj256ELj13ELNS0_17block_load_methodE3ELS4_3ELS4_3ELNS0_20block_scan_algorithmE0ELj4294967295EEENS1_25partition_config_selectorILNS1_17partition_subalgoE4EjNS0_10empty_typeEbEEZZNS1_14partition_implILS8_4ELb0ES6_15HIP_vector_typeIjLj2EENS0_17counting_iteratorIjlEEPS9_SG_NS0_5tupleIJPjSI_NS0_16reverse_iteratorISI_EEEEENSH_IJSG_SG_SG_EEES9_SI_JZNS1_25segmented_radix_sort_implINS0_14default_configELb0EPKiPiPKlPlN2at6native12_GLOBAL__N_18offset_tEEE10hipError_tPvRmT1_PNSt15iterator_traitsIS12_E10value_typeET2_T3_PNS13_IS18_E10value_typeET4_jRbjT5_S1E_jjP12ihipStream_tbEUljE_ZNSN_ISO_Lb0ESQ_SR_ST_SU_SY_EESZ_S10_S11_S12_S16_S17_S18_S1B_S1C_jS1D_jS1E_S1E_jjS1G_bEUljE0_EEESZ_S10_S11_S18_S1C_S1E_T6_T7_T9_mT8_S1G_bDpT10_ENKUlT_T0_E_clISt17integral_constantIbLb0EES1T_IbLb1EEEEDaS1P_S1Q_EUlS1P_E_NS1_11comp_targetILNS1_3genE5ELNS1_11target_archE942ELNS1_3gpuE9ELNS1_3repE0EEENS1_30default_config_static_selectorELNS0_4arch9wavefront6targetE0EEEvS12_
		.amdhsa_group_segment_fixed_size 0
		.amdhsa_private_segment_fixed_size 0
		.amdhsa_kernarg_size 184
		.amdhsa_user_sgpr_count 6
		.amdhsa_user_sgpr_private_segment_buffer 1
		.amdhsa_user_sgpr_dispatch_ptr 0
		.amdhsa_user_sgpr_queue_ptr 0
		.amdhsa_user_sgpr_kernarg_segment_ptr 1
		.amdhsa_user_sgpr_dispatch_id 0
		.amdhsa_user_sgpr_flat_scratch_init 0
		.amdhsa_user_sgpr_private_segment_size 0
		.amdhsa_wavefront_size32 1
		.amdhsa_uses_dynamic_stack 0
		.amdhsa_system_sgpr_private_segment_wavefront_offset 0
		.amdhsa_system_sgpr_workgroup_id_x 1
		.amdhsa_system_sgpr_workgroup_id_y 0
		.amdhsa_system_sgpr_workgroup_id_z 0
		.amdhsa_system_sgpr_workgroup_info 0
		.amdhsa_system_vgpr_workitem_id 0
		.amdhsa_next_free_vgpr 1
		.amdhsa_next_free_sgpr 1
		.amdhsa_reserve_vcc 0
		.amdhsa_reserve_flat_scratch 0
		.amdhsa_float_round_mode_32 0
		.amdhsa_float_round_mode_16_64 0
		.amdhsa_float_denorm_mode_32 3
		.amdhsa_float_denorm_mode_16_64 3
		.amdhsa_dx10_clamp 1
		.amdhsa_ieee_mode 1
		.amdhsa_fp16_overflow 0
		.amdhsa_workgroup_processor_mode 1
		.amdhsa_memory_ordered 1
		.amdhsa_forward_progress 1
		.amdhsa_shared_vgpr_count 0
		.amdhsa_exception_fp_ieee_invalid_op 0
		.amdhsa_exception_fp_denorm_src 0
		.amdhsa_exception_fp_ieee_div_zero 0
		.amdhsa_exception_fp_ieee_overflow 0
		.amdhsa_exception_fp_ieee_underflow 0
		.amdhsa_exception_fp_ieee_inexact 0
		.amdhsa_exception_int_div_zero 0
	.end_amdhsa_kernel
	.section	.text._ZN7rocprim17ROCPRIM_400000_NS6detail17trampoline_kernelINS0_13select_configILj256ELj13ELNS0_17block_load_methodE3ELS4_3ELS4_3ELNS0_20block_scan_algorithmE0ELj4294967295EEENS1_25partition_config_selectorILNS1_17partition_subalgoE4EjNS0_10empty_typeEbEEZZNS1_14partition_implILS8_4ELb0ES6_15HIP_vector_typeIjLj2EENS0_17counting_iteratorIjlEEPS9_SG_NS0_5tupleIJPjSI_NS0_16reverse_iteratorISI_EEEEENSH_IJSG_SG_SG_EEES9_SI_JZNS1_25segmented_radix_sort_implINS0_14default_configELb0EPKiPiPKlPlN2at6native12_GLOBAL__N_18offset_tEEE10hipError_tPvRmT1_PNSt15iterator_traitsIS12_E10value_typeET2_T3_PNS13_IS18_E10value_typeET4_jRbjT5_S1E_jjP12ihipStream_tbEUljE_ZNSN_ISO_Lb0ESQ_SR_ST_SU_SY_EESZ_S10_S11_S12_S16_S17_S18_S1B_S1C_jS1D_jS1E_S1E_jjS1G_bEUljE0_EEESZ_S10_S11_S18_S1C_S1E_T6_T7_T9_mT8_S1G_bDpT10_ENKUlT_T0_E_clISt17integral_constantIbLb0EES1T_IbLb1EEEEDaS1P_S1Q_EUlS1P_E_NS1_11comp_targetILNS1_3genE5ELNS1_11target_archE942ELNS1_3gpuE9ELNS1_3repE0EEENS1_30default_config_static_selectorELNS0_4arch9wavefront6targetE0EEEvS12_,"axG",@progbits,_ZN7rocprim17ROCPRIM_400000_NS6detail17trampoline_kernelINS0_13select_configILj256ELj13ELNS0_17block_load_methodE3ELS4_3ELS4_3ELNS0_20block_scan_algorithmE0ELj4294967295EEENS1_25partition_config_selectorILNS1_17partition_subalgoE4EjNS0_10empty_typeEbEEZZNS1_14partition_implILS8_4ELb0ES6_15HIP_vector_typeIjLj2EENS0_17counting_iteratorIjlEEPS9_SG_NS0_5tupleIJPjSI_NS0_16reverse_iteratorISI_EEEEENSH_IJSG_SG_SG_EEES9_SI_JZNS1_25segmented_radix_sort_implINS0_14default_configELb0EPKiPiPKlPlN2at6native12_GLOBAL__N_18offset_tEEE10hipError_tPvRmT1_PNSt15iterator_traitsIS12_E10value_typeET2_T3_PNS13_IS18_E10value_typeET4_jRbjT5_S1E_jjP12ihipStream_tbEUljE_ZNSN_ISO_Lb0ESQ_SR_ST_SU_SY_EESZ_S10_S11_S12_S16_S17_S18_S1B_S1C_jS1D_jS1E_S1E_jjS1G_bEUljE0_EEESZ_S10_S11_S18_S1C_S1E_T6_T7_T9_mT8_S1G_bDpT10_ENKUlT_T0_E_clISt17integral_constantIbLb0EES1T_IbLb1EEEEDaS1P_S1Q_EUlS1P_E_NS1_11comp_targetILNS1_3genE5ELNS1_11target_archE942ELNS1_3gpuE9ELNS1_3repE0EEENS1_30default_config_static_selectorELNS0_4arch9wavefront6targetE0EEEvS12_,comdat
.Lfunc_end556:
	.size	_ZN7rocprim17ROCPRIM_400000_NS6detail17trampoline_kernelINS0_13select_configILj256ELj13ELNS0_17block_load_methodE3ELS4_3ELS4_3ELNS0_20block_scan_algorithmE0ELj4294967295EEENS1_25partition_config_selectorILNS1_17partition_subalgoE4EjNS0_10empty_typeEbEEZZNS1_14partition_implILS8_4ELb0ES6_15HIP_vector_typeIjLj2EENS0_17counting_iteratorIjlEEPS9_SG_NS0_5tupleIJPjSI_NS0_16reverse_iteratorISI_EEEEENSH_IJSG_SG_SG_EEES9_SI_JZNS1_25segmented_radix_sort_implINS0_14default_configELb0EPKiPiPKlPlN2at6native12_GLOBAL__N_18offset_tEEE10hipError_tPvRmT1_PNSt15iterator_traitsIS12_E10value_typeET2_T3_PNS13_IS18_E10value_typeET4_jRbjT5_S1E_jjP12ihipStream_tbEUljE_ZNSN_ISO_Lb0ESQ_SR_ST_SU_SY_EESZ_S10_S11_S12_S16_S17_S18_S1B_S1C_jS1D_jS1E_S1E_jjS1G_bEUljE0_EEESZ_S10_S11_S18_S1C_S1E_T6_T7_T9_mT8_S1G_bDpT10_ENKUlT_T0_E_clISt17integral_constantIbLb0EES1T_IbLb1EEEEDaS1P_S1Q_EUlS1P_E_NS1_11comp_targetILNS1_3genE5ELNS1_11target_archE942ELNS1_3gpuE9ELNS1_3repE0EEENS1_30default_config_static_selectorELNS0_4arch9wavefront6targetE0EEEvS12_, .Lfunc_end556-_ZN7rocprim17ROCPRIM_400000_NS6detail17trampoline_kernelINS0_13select_configILj256ELj13ELNS0_17block_load_methodE3ELS4_3ELS4_3ELNS0_20block_scan_algorithmE0ELj4294967295EEENS1_25partition_config_selectorILNS1_17partition_subalgoE4EjNS0_10empty_typeEbEEZZNS1_14partition_implILS8_4ELb0ES6_15HIP_vector_typeIjLj2EENS0_17counting_iteratorIjlEEPS9_SG_NS0_5tupleIJPjSI_NS0_16reverse_iteratorISI_EEEEENSH_IJSG_SG_SG_EEES9_SI_JZNS1_25segmented_radix_sort_implINS0_14default_configELb0EPKiPiPKlPlN2at6native12_GLOBAL__N_18offset_tEEE10hipError_tPvRmT1_PNSt15iterator_traitsIS12_E10value_typeET2_T3_PNS13_IS18_E10value_typeET4_jRbjT5_S1E_jjP12ihipStream_tbEUljE_ZNSN_ISO_Lb0ESQ_SR_ST_SU_SY_EESZ_S10_S11_S12_S16_S17_S18_S1B_S1C_jS1D_jS1E_S1E_jjS1G_bEUljE0_EEESZ_S10_S11_S18_S1C_S1E_T6_T7_T9_mT8_S1G_bDpT10_ENKUlT_T0_E_clISt17integral_constantIbLb0EES1T_IbLb1EEEEDaS1P_S1Q_EUlS1P_E_NS1_11comp_targetILNS1_3genE5ELNS1_11target_archE942ELNS1_3gpuE9ELNS1_3repE0EEENS1_30default_config_static_selectorELNS0_4arch9wavefront6targetE0EEEvS12_
                                        ; -- End function
	.set _ZN7rocprim17ROCPRIM_400000_NS6detail17trampoline_kernelINS0_13select_configILj256ELj13ELNS0_17block_load_methodE3ELS4_3ELS4_3ELNS0_20block_scan_algorithmE0ELj4294967295EEENS1_25partition_config_selectorILNS1_17partition_subalgoE4EjNS0_10empty_typeEbEEZZNS1_14partition_implILS8_4ELb0ES6_15HIP_vector_typeIjLj2EENS0_17counting_iteratorIjlEEPS9_SG_NS0_5tupleIJPjSI_NS0_16reverse_iteratorISI_EEEEENSH_IJSG_SG_SG_EEES9_SI_JZNS1_25segmented_radix_sort_implINS0_14default_configELb0EPKiPiPKlPlN2at6native12_GLOBAL__N_18offset_tEEE10hipError_tPvRmT1_PNSt15iterator_traitsIS12_E10value_typeET2_T3_PNS13_IS18_E10value_typeET4_jRbjT5_S1E_jjP12ihipStream_tbEUljE_ZNSN_ISO_Lb0ESQ_SR_ST_SU_SY_EESZ_S10_S11_S12_S16_S17_S18_S1B_S1C_jS1D_jS1E_S1E_jjS1G_bEUljE0_EEESZ_S10_S11_S18_S1C_S1E_T6_T7_T9_mT8_S1G_bDpT10_ENKUlT_T0_E_clISt17integral_constantIbLb0EES1T_IbLb1EEEEDaS1P_S1Q_EUlS1P_E_NS1_11comp_targetILNS1_3genE5ELNS1_11target_archE942ELNS1_3gpuE9ELNS1_3repE0EEENS1_30default_config_static_selectorELNS0_4arch9wavefront6targetE0EEEvS12_.num_vgpr, 0
	.set _ZN7rocprim17ROCPRIM_400000_NS6detail17trampoline_kernelINS0_13select_configILj256ELj13ELNS0_17block_load_methodE3ELS4_3ELS4_3ELNS0_20block_scan_algorithmE0ELj4294967295EEENS1_25partition_config_selectorILNS1_17partition_subalgoE4EjNS0_10empty_typeEbEEZZNS1_14partition_implILS8_4ELb0ES6_15HIP_vector_typeIjLj2EENS0_17counting_iteratorIjlEEPS9_SG_NS0_5tupleIJPjSI_NS0_16reverse_iteratorISI_EEEEENSH_IJSG_SG_SG_EEES9_SI_JZNS1_25segmented_radix_sort_implINS0_14default_configELb0EPKiPiPKlPlN2at6native12_GLOBAL__N_18offset_tEEE10hipError_tPvRmT1_PNSt15iterator_traitsIS12_E10value_typeET2_T3_PNS13_IS18_E10value_typeET4_jRbjT5_S1E_jjP12ihipStream_tbEUljE_ZNSN_ISO_Lb0ESQ_SR_ST_SU_SY_EESZ_S10_S11_S12_S16_S17_S18_S1B_S1C_jS1D_jS1E_S1E_jjS1G_bEUljE0_EEESZ_S10_S11_S18_S1C_S1E_T6_T7_T9_mT8_S1G_bDpT10_ENKUlT_T0_E_clISt17integral_constantIbLb0EES1T_IbLb1EEEEDaS1P_S1Q_EUlS1P_E_NS1_11comp_targetILNS1_3genE5ELNS1_11target_archE942ELNS1_3gpuE9ELNS1_3repE0EEENS1_30default_config_static_selectorELNS0_4arch9wavefront6targetE0EEEvS12_.num_agpr, 0
	.set _ZN7rocprim17ROCPRIM_400000_NS6detail17trampoline_kernelINS0_13select_configILj256ELj13ELNS0_17block_load_methodE3ELS4_3ELS4_3ELNS0_20block_scan_algorithmE0ELj4294967295EEENS1_25partition_config_selectorILNS1_17partition_subalgoE4EjNS0_10empty_typeEbEEZZNS1_14partition_implILS8_4ELb0ES6_15HIP_vector_typeIjLj2EENS0_17counting_iteratorIjlEEPS9_SG_NS0_5tupleIJPjSI_NS0_16reverse_iteratorISI_EEEEENSH_IJSG_SG_SG_EEES9_SI_JZNS1_25segmented_radix_sort_implINS0_14default_configELb0EPKiPiPKlPlN2at6native12_GLOBAL__N_18offset_tEEE10hipError_tPvRmT1_PNSt15iterator_traitsIS12_E10value_typeET2_T3_PNS13_IS18_E10value_typeET4_jRbjT5_S1E_jjP12ihipStream_tbEUljE_ZNSN_ISO_Lb0ESQ_SR_ST_SU_SY_EESZ_S10_S11_S12_S16_S17_S18_S1B_S1C_jS1D_jS1E_S1E_jjS1G_bEUljE0_EEESZ_S10_S11_S18_S1C_S1E_T6_T7_T9_mT8_S1G_bDpT10_ENKUlT_T0_E_clISt17integral_constantIbLb0EES1T_IbLb1EEEEDaS1P_S1Q_EUlS1P_E_NS1_11comp_targetILNS1_3genE5ELNS1_11target_archE942ELNS1_3gpuE9ELNS1_3repE0EEENS1_30default_config_static_selectorELNS0_4arch9wavefront6targetE0EEEvS12_.numbered_sgpr, 0
	.set _ZN7rocprim17ROCPRIM_400000_NS6detail17trampoline_kernelINS0_13select_configILj256ELj13ELNS0_17block_load_methodE3ELS4_3ELS4_3ELNS0_20block_scan_algorithmE0ELj4294967295EEENS1_25partition_config_selectorILNS1_17partition_subalgoE4EjNS0_10empty_typeEbEEZZNS1_14partition_implILS8_4ELb0ES6_15HIP_vector_typeIjLj2EENS0_17counting_iteratorIjlEEPS9_SG_NS0_5tupleIJPjSI_NS0_16reverse_iteratorISI_EEEEENSH_IJSG_SG_SG_EEES9_SI_JZNS1_25segmented_radix_sort_implINS0_14default_configELb0EPKiPiPKlPlN2at6native12_GLOBAL__N_18offset_tEEE10hipError_tPvRmT1_PNSt15iterator_traitsIS12_E10value_typeET2_T3_PNS13_IS18_E10value_typeET4_jRbjT5_S1E_jjP12ihipStream_tbEUljE_ZNSN_ISO_Lb0ESQ_SR_ST_SU_SY_EESZ_S10_S11_S12_S16_S17_S18_S1B_S1C_jS1D_jS1E_S1E_jjS1G_bEUljE0_EEESZ_S10_S11_S18_S1C_S1E_T6_T7_T9_mT8_S1G_bDpT10_ENKUlT_T0_E_clISt17integral_constantIbLb0EES1T_IbLb1EEEEDaS1P_S1Q_EUlS1P_E_NS1_11comp_targetILNS1_3genE5ELNS1_11target_archE942ELNS1_3gpuE9ELNS1_3repE0EEENS1_30default_config_static_selectorELNS0_4arch9wavefront6targetE0EEEvS12_.num_named_barrier, 0
	.set _ZN7rocprim17ROCPRIM_400000_NS6detail17trampoline_kernelINS0_13select_configILj256ELj13ELNS0_17block_load_methodE3ELS4_3ELS4_3ELNS0_20block_scan_algorithmE0ELj4294967295EEENS1_25partition_config_selectorILNS1_17partition_subalgoE4EjNS0_10empty_typeEbEEZZNS1_14partition_implILS8_4ELb0ES6_15HIP_vector_typeIjLj2EENS0_17counting_iteratorIjlEEPS9_SG_NS0_5tupleIJPjSI_NS0_16reverse_iteratorISI_EEEEENSH_IJSG_SG_SG_EEES9_SI_JZNS1_25segmented_radix_sort_implINS0_14default_configELb0EPKiPiPKlPlN2at6native12_GLOBAL__N_18offset_tEEE10hipError_tPvRmT1_PNSt15iterator_traitsIS12_E10value_typeET2_T3_PNS13_IS18_E10value_typeET4_jRbjT5_S1E_jjP12ihipStream_tbEUljE_ZNSN_ISO_Lb0ESQ_SR_ST_SU_SY_EESZ_S10_S11_S12_S16_S17_S18_S1B_S1C_jS1D_jS1E_S1E_jjS1G_bEUljE0_EEESZ_S10_S11_S18_S1C_S1E_T6_T7_T9_mT8_S1G_bDpT10_ENKUlT_T0_E_clISt17integral_constantIbLb0EES1T_IbLb1EEEEDaS1P_S1Q_EUlS1P_E_NS1_11comp_targetILNS1_3genE5ELNS1_11target_archE942ELNS1_3gpuE9ELNS1_3repE0EEENS1_30default_config_static_selectorELNS0_4arch9wavefront6targetE0EEEvS12_.private_seg_size, 0
	.set _ZN7rocprim17ROCPRIM_400000_NS6detail17trampoline_kernelINS0_13select_configILj256ELj13ELNS0_17block_load_methodE3ELS4_3ELS4_3ELNS0_20block_scan_algorithmE0ELj4294967295EEENS1_25partition_config_selectorILNS1_17partition_subalgoE4EjNS0_10empty_typeEbEEZZNS1_14partition_implILS8_4ELb0ES6_15HIP_vector_typeIjLj2EENS0_17counting_iteratorIjlEEPS9_SG_NS0_5tupleIJPjSI_NS0_16reverse_iteratorISI_EEEEENSH_IJSG_SG_SG_EEES9_SI_JZNS1_25segmented_radix_sort_implINS0_14default_configELb0EPKiPiPKlPlN2at6native12_GLOBAL__N_18offset_tEEE10hipError_tPvRmT1_PNSt15iterator_traitsIS12_E10value_typeET2_T3_PNS13_IS18_E10value_typeET4_jRbjT5_S1E_jjP12ihipStream_tbEUljE_ZNSN_ISO_Lb0ESQ_SR_ST_SU_SY_EESZ_S10_S11_S12_S16_S17_S18_S1B_S1C_jS1D_jS1E_S1E_jjS1G_bEUljE0_EEESZ_S10_S11_S18_S1C_S1E_T6_T7_T9_mT8_S1G_bDpT10_ENKUlT_T0_E_clISt17integral_constantIbLb0EES1T_IbLb1EEEEDaS1P_S1Q_EUlS1P_E_NS1_11comp_targetILNS1_3genE5ELNS1_11target_archE942ELNS1_3gpuE9ELNS1_3repE0EEENS1_30default_config_static_selectorELNS0_4arch9wavefront6targetE0EEEvS12_.uses_vcc, 0
	.set _ZN7rocprim17ROCPRIM_400000_NS6detail17trampoline_kernelINS0_13select_configILj256ELj13ELNS0_17block_load_methodE3ELS4_3ELS4_3ELNS0_20block_scan_algorithmE0ELj4294967295EEENS1_25partition_config_selectorILNS1_17partition_subalgoE4EjNS0_10empty_typeEbEEZZNS1_14partition_implILS8_4ELb0ES6_15HIP_vector_typeIjLj2EENS0_17counting_iteratorIjlEEPS9_SG_NS0_5tupleIJPjSI_NS0_16reverse_iteratorISI_EEEEENSH_IJSG_SG_SG_EEES9_SI_JZNS1_25segmented_radix_sort_implINS0_14default_configELb0EPKiPiPKlPlN2at6native12_GLOBAL__N_18offset_tEEE10hipError_tPvRmT1_PNSt15iterator_traitsIS12_E10value_typeET2_T3_PNS13_IS18_E10value_typeET4_jRbjT5_S1E_jjP12ihipStream_tbEUljE_ZNSN_ISO_Lb0ESQ_SR_ST_SU_SY_EESZ_S10_S11_S12_S16_S17_S18_S1B_S1C_jS1D_jS1E_S1E_jjS1G_bEUljE0_EEESZ_S10_S11_S18_S1C_S1E_T6_T7_T9_mT8_S1G_bDpT10_ENKUlT_T0_E_clISt17integral_constantIbLb0EES1T_IbLb1EEEEDaS1P_S1Q_EUlS1P_E_NS1_11comp_targetILNS1_3genE5ELNS1_11target_archE942ELNS1_3gpuE9ELNS1_3repE0EEENS1_30default_config_static_selectorELNS0_4arch9wavefront6targetE0EEEvS12_.uses_flat_scratch, 0
	.set _ZN7rocprim17ROCPRIM_400000_NS6detail17trampoline_kernelINS0_13select_configILj256ELj13ELNS0_17block_load_methodE3ELS4_3ELS4_3ELNS0_20block_scan_algorithmE0ELj4294967295EEENS1_25partition_config_selectorILNS1_17partition_subalgoE4EjNS0_10empty_typeEbEEZZNS1_14partition_implILS8_4ELb0ES6_15HIP_vector_typeIjLj2EENS0_17counting_iteratorIjlEEPS9_SG_NS0_5tupleIJPjSI_NS0_16reverse_iteratorISI_EEEEENSH_IJSG_SG_SG_EEES9_SI_JZNS1_25segmented_radix_sort_implINS0_14default_configELb0EPKiPiPKlPlN2at6native12_GLOBAL__N_18offset_tEEE10hipError_tPvRmT1_PNSt15iterator_traitsIS12_E10value_typeET2_T3_PNS13_IS18_E10value_typeET4_jRbjT5_S1E_jjP12ihipStream_tbEUljE_ZNSN_ISO_Lb0ESQ_SR_ST_SU_SY_EESZ_S10_S11_S12_S16_S17_S18_S1B_S1C_jS1D_jS1E_S1E_jjS1G_bEUljE0_EEESZ_S10_S11_S18_S1C_S1E_T6_T7_T9_mT8_S1G_bDpT10_ENKUlT_T0_E_clISt17integral_constantIbLb0EES1T_IbLb1EEEEDaS1P_S1Q_EUlS1P_E_NS1_11comp_targetILNS1_3genE5ELNS1_11target_archE942ELNS1_3gpuE9ELNS1_3repE0EEENS1_30default_config_static_selectorELNS0_4arch9wavefront6targetE0EEEvS12_.has_dyn_sized_stack, 0
	.set _ZN7rocprim17ROCPRIM_400000_NS6detail17trampoline_kernelINS0_13select_configILj256ELj13ELNS0_17block_load_methodE3ELS4_3ELS4_3ELNS0_20block_scan_algorithmE0ELj4294967295EEENS1_25partition_config_selectorILNS1_17partition_subalgoE4EjNS0_10empty_typeEbEEZZNS1_14partition_implILS8_4ELb0ES6_15HIP_vector_typeIjLj2EENS0_17counting_iteratorIjlEEPS9_SG_NS0_5tupleIJPjSI_NS0_16reverse_iteratorISI_EEEEENSH_IJSG_SG_SG_EEES9_SI_JZNS1_25segmented_radix_sort_implINS0_14default_configELb0EPKiPiPKlPlN2at6native12_GLOBAL__N_18offset_tEEE10hipError_tPvRmT1_PNSt15iterator_traitsIS12_E10value_typeET2_T3_PNS13_IS18_E10value_typeET4_jRbjT5_S1E_jjP12ihipStream_tbEUljE_ZNSN_ISO_Lb0ESQ_SR_ST_SU_SY_EESZ_S10_S11_S12_S16_S17_S18_S1B_S1C_jS1D_jS1E_S1E_jjS1G_bEUljE0_EEESZ_S10_S11_S18_S1C_S1E_T6_T7_T9_mT8_S1G_bDpT10_ENKUlT_T0_E_clISt17integral_constantIbLb0EES1T_IbLb1EEEEDaS1P_S1Q_EUlS1P_E_NS1_11comp_targetILNS1_3genE5ELNS1_11target_archE942ELNS1_3gpuE9ELNS1_3repE0EEENS1_30default_config_static_selectorELNS0_4arch9wavefront6targetE0EEEvS12_.has_recursion, 0
	.set _ZN7rocprim17ROCPRIM_400000_NS6detail17trampoline_kernelINS0_13select_configILj256ELj13ELNS0_17block_load_methodE3ELS4_3ELS4_3ELNS0_20block_scan_algorithmE0ELj4294967295EEENS1_25partition_config_selectorILNS1_17partition_subalgoE4EjNS0_10empty_typeEbEEZZNS1_14partition_implILS8_4ELb0ES6_15HIP_vector_typeIjLj2EENS0_17counting_iteratorIjlEEPS9_SG_NS0_5tupleIJPjSI_NS0_16reverse_iteratorISI_EEEEENSH_IJSG_SG_SG_EEES9_SI_JZNS1_25segmented_radix_sort_implINS0_14default_configELb0EPKiPiPKlPlN2at6native12_GLOBAL__N_18offset_tEEE10hipError_tPvRmT1_PNSt15iterator_traitsIS12_E10value_typeET2_T3_PNS13_IS18_E10value_typeET4_jRbjT5_S1E_jjP12ihipStream_tbEUljE_ZNSN_ISO_Lb0ESQ_SR_ST_SU_SY_EESZ_S10_S11_S12_S16_S17_S18_S1B_S1C_jS1D_jS1E_S1E_jjS1G_bEUljE0_EEESZ_S10_S11_S18_S1C_S1E_T6_T7_T9_mT8_S1G_bDpT10_ENKUlT_T0_E_clISt17integral_constantIbLb0EES1T_IbLb1EEEEDaS1P_S1Q_EUlS1P_E_NS1_11comp_targetILNS1_3genE5ELNS1_11target_archE942ELNS1_3gpuE9ELNS1_3repE0EEENS1_30default_config_static_selectorELNS0_4arch9wavefront6targetE0EEEvS12_.has_indirect_call, 0
	.section	.AMDGPU.csdata,"",@progbits
; Kernel info:
; codeLenInByte = 0
; TotalNumSgprs: 0
; NumVgprs: 0
; ScratchSize: 0
; MemoryBound: 0
; FloatMode: 240
; IeeeMode: 1
; LDSByteSize: 0 bytes/workgroup (compile time only)
; SGPRBlocks: 0
; VGPRBlocks: 0
; NumSGPRsForWavesPerEU: 1
; NumVGPRsForWavesPerEU: 1
; Occupancy: 16
; WaveLimiterHint : 0
; COMPUTE_PGM_RSRC2:SCRATCH_EN: 0
; COMPUTE_PGM_RSRC2:USER_SGPR: 6
; COMPUTE_PGM_RSRC2:TRAP_HANDLER: 0
; COMPUTE_PGM_RSRC2:TGID_X_EN: 1
; COMPUTE_PGM_RSRC2:TGID_Y_EN: 0
; COMPUTE_PGM_RSRC2:TGID_Z_EN: 0
; COMPUTE_PGM_RSRC2:TIDIG_COMP_CNT: 0
	.section	.text._ZN7rocprim17ROCPRIM_400000_NS6detail17trampoline_kernelINS0_13select_configILj256ELj13ELNS0_17block_load_methodE3ELS4_3ELS4_3ELNS0_20block_scan_algorithmE0ELj4294967295EEENS1_25partition_config_selectorILNS1_17partition_subalgoE4EjNS0_10empty_typeEbEEZZNS1_14partition_implILS8_4ELb0ES6_15HIP_vector_typeIjLj2EENS0_17counting_iteratorIjlEEPS9_SG_NS0_5tupleIJPjSI_NS0_16reverse_iteratorISI_EEEEENSH_IJSG_SG_SG_EEES9_SI_JZNS1_25segmented_radix_sort_implINS0_14default_configELb0EPKiPiPKlPlN2at6native12_GLOBAL__N_18offset_tEEE10hipError_tPvRmT1_PNSt15iterator_traitsIS12_E10value_typeET2_T3_PNS13_IS18_E10value_typeET4_jRbjT5_S1E_jjP12ihipStream_tbEUljE_ZNSN_ISO_Lb0ESQ_SR_ST_SU_SY_EESZ_S10_S11_S12_S16_S17_S18_S1B_S1C_jS1D_jS1E_S1E_jjS1G_bEUljE0_EEESZ_S10_S11_S18_S1C_S1E_T6_T7_T9_mT8_S1G_bDpT10_ENKUlT_T0_E_clISt17integral_constantIbLb0EES1T_IbLb1EEEEDaS1P_S1Q_EUlS1P_E_NS1_11comp_targetILNS1_3genE4ELNS1_11target_archE910ELNS1_3gpuE8ELNS1_3repE0EEENS1_30default_config_static_selectorELNS0_4arch9wavefront6targetE0EEEvS12_,"axG",@progbits,_ZN7rocprim17ROCPRIM_400000_NS6detail17trampoline_kernelINS0_13select_configILj256ELj13ELNS0_17block_load_methodE3ELS4_3ELS4_3ELNS0_20block_scan_algorithmE0ELj4294967295EEENS1_25partition_config_selectorILNS1_17partition_subalgoE4EjNS0_10empty_typeEbEEZZNS1_14partition_implILS8_4ELb0ES6_15HIP_vector_typeIjLj2EENS0_17counting_iteratorIjlEEPS9_SG_NS0_5tupleIJPjSI_NS0_16reverse_iteratorISI_EEEEENSH_IJSG_SG_SG_EEES9_SI_JZNS1_25segmented_radix_sort_implINS0_14default_configELb0EPKiPiPKlPlN2at6native12_GLOBAL__N_18offset_tEEE10hipError_tPvRmT1_PNSt15iterator_traitsIS12_E10value_typeET2_T3_PNS13_IS18_E10value_typeET4_jRbjT5_S1E_jjP12ihipStream_tbEUljE_ZNSN_ISO_Lb0ESQ_SR_ST_SU_SY_EESZ_S10_S11_S12_S16_S17_S18_S1B_S1C_jS1D_jS1E_S1E_jjS1G_bEUljE0_EEESZ_S10_S11_S18_S1C_S1E_T6_T7_T9_mT8_S1G_bDpT10_ENKUlT_T0_E_clISt17integral_constantIbLb0EES1T_IbLb1EEEEDaS1P_S1Q_EUlS1P_E_NS1_11comp_targetILNS1_3genE4ELNS1_11target_archE910ELNS1_3gpuE8ELNS1_3repE0EEENS1_30default_config_static_selectorELNS0_4arch9wavefront6targetE0EEEvS12_,comdat
	.globl	_ZN7rocprim17ROCPRIM_400000_NS6detail17trampoline_kernelINS0_13select_configILj256ELj13ELNS0_17block_load_methodE3ELS4_3ELS4_3ELNS0_20block_scan_algorithmE0ELj4294967295EEENS1_25partition_config_selectorILNS1_17partition_subalgoE4EjNS0_10empty_typeEbEEZZNS1_14partition_implILS8_4ELb0ES6_15HIP_vector_typeIjLj2EENS0_17counting_iteratorIjlEEPS9_SG_NS0_5tupleIJPjSI_NS0_16reverse_iteratorISI_EEEEENSH_IJSG_SG_SG_EEES9_SI_JZNS1_25segmented_radix_sort_implINS0_14default_configELb0EPKiPiPKlPlN2at6native12_GLOBAL__N_18offset_tEEE10hipError_tPvRmT1_PNSt15iterator_traitsIS12_E10value_typeET2_T3_PNS13_IS18_E10value_typeET4_jRbjT5_S1E_jjP12ihipStream_tbEUljE_ZNSN_ISO_Lb0ESQ_SR_ST_SU_SY_EESZ_S10_S11_S12_S16_S17_S18_S1B_S1C_jS1D_jS1E_S1E_jjS1G_bEUljE0_EEESZ_S10_S11_S18_S1C_S1E_T6_T7_T9_mT8_S1G_bDpT10_ENKUlT_T0_E_clISt17integral_constantIbLb0EES1T_IbLb1EEEEDaS1P_S1Q_EUlS1P_E_NS1_11comp_targetILNS1_3genE4ELNS1_11target_archE910ELNS1_3gpuE8ELNS1_3repE0EEENS1_30default_config_static_selectorELNS0_4arch9wavefront6targetE0EEEvS12_ ; -- Begin function _ZN7rocprim17ROCPRIM_400000_NS6detail17trampoline_kernelINS0_13select_configILj256ELj13ELNS0_17block_load_methodE3ELS4_3ELS4_3ELNS0_20block_scan_algorithmE0ELj4294967295EEENS1_25partition_config_selectorILNS1_17partition_subalgoE4EjNS0_10empty_typeEbEEZZNS1_14partition_implILS8_4ELb0ES6_15HIP_vector_typeIjLj2EENS0_17counting_iteratorIjlEEPS9_SG_NS0_5tupleIJPjSI_NS0_16reverse_iteratorISI_EEEEENSH_IJSG_SG_SG_EEES9_SI_JZNS1_25segmented_radix_sort_implINS0_14default_configELb0EPKiPiPKlPlN2at6native12_GLOBAL__N_18offset_tEEE10hipError_tPvRmT1_PNSt15iterator_traitsIS12_E10value_typeET2_T3_PNS13_IS18_E10value_typeET4_jRbjT5_S1E_jjP12ihipStream_tbEUljE_ZNSN_ISO_Lb0ESQ_SR_ST_SU_SY_EESZ_S10_S11_S12_S16_S17_S18_S1B_S1C_jS1D_jS1E_S1E_jjS1G_bEUljE0_EEESZ_S10_S11_S18_S1C_S1E_T6_T7_T9_mT8_S1G_bDpT10_ENKUlT_T0_E_clISt17integral_constantIbLb0EES1T_IbLb1EEEEDaS1P_S1Q_EUlS1P_E_NS1_11comp_targetILNS1_3genE4ELNS1_11target_archE910ELNS1_3gpuE8ELNS1_3repE0EEENS1_30default_config_static_selectorELNS0_4arch9wavefront6targetE0EEEvS12_
	.p2align	8
	.type	_ZN7rocprim17ROCPRIM_400000_NS6detail17trampoline_kernelINS0_13select_configILj256ELj13ELNS0_17block_load_methodE3ELS4_3ELS4_3ELNS0_20block_scan_algorithmE0ELj4294967295EEENS1_25partition_config_selectorILNS1_17partition_subalgoE4EjNS0_10empty_typeEbEEZZNS1_14partition_implILS8_4ELb0ES6_15HIP_vector_typeIjLj2EENS0_17counting_iteratorIjlEEPS9_SG_NS0_5tupleIJPjSI_NS0_16reverse_iteratorISI_EEEEENSH_IJSG_SG_SG_EEES9_SI_JZNS1_25segmented_radix_sort_implINS0_14default_configELb0EPKiPiPKlPlN2at6native12_GLOBAL__N_18offset_tEEE10hipError_tPvRmT1_PNSt15iterator_traitsIS12_E10value_typeET2_T3_PNS13_IS18_E10value_typeET4_jRbjT5_S1E_jjP12ihipStream_tbEUljE_ZNSN_ISO_Lb0ESQ_SR_ST_SU_SY_EESZ_S10_S11_S12_S16_S17_S18_S1B_S1C_jS1D_jS1E_S1E_jjS1G_bEUljE0_EEESZ_S10_S11_S18_S1C_S1E_T6_T7_T9_mT8_S1G_bDpT10_ENKUlT_T0_E_clISt17integral_constantIbLb0EES1T_IbLb1EEEEDaS1P_S1Q_EUlS1P_E_NS1_11comp_targetILNS1_3genE4ELNS1_11target_archE910ELNS1_3gpuE8ELNS1_3repE0EEENS1_30default_config_static_selectorELNS0_4arch9wavefront6targetE0EEEvS12_,@function
_ZN7rocprim17ROCPRIM_400000_NS6detail17trampoline_kernelINS0_13select_configILj256ELj13ELNS0_17block_load_methodE3ELS4_3ELS4_3ELNS0_20block_scan_algorithmE0ELj4294967295EEENS1_25partition_config_selectorILNS1_17partition_subalgoE4EjNS0_10empty_typeEbEEZZNS1_14partition_implILS8_4ELb0ES6_15HIP_vector_typeIjLj2EENS0_17counting_iteratorIjlEEPS9_SG_NS0_5tupleIJPjSI_NS0_16reverse_iteratorISI_EEEEENSH_IJSG_SG_SG_EEES9_SI_JZNS1_25segmented_radix_sort_implINS0_14default_configELb0EPKiPiPKlPlN2at6native12_GLOBAL__N_18offset_tEEE10hipError_tPvRmT1_PNSt15iterator_traitsIS12_E10value_typeET2_T3_PNS13_IS18_E10value_typeET4_jRbjT5_S1E_jjP12ihipStream_tbEUljE_ZNSN_ISO_Lb0ESQ_SR_ST_SU_SY_EESZ_S10_S11_S12_S16_S17_S18_S1B_S1C_jS1D_jS1E_S1E_jjS1G_bEUljE0_EEESZ_S10_S11_S18_S1C_S1E_T6_T7_T9_mT8_S1G_bDpT10_ENKUlT_T0_E_clISt17integral_constantIbLb0EES1T_IbLb1EEEEDaS1P_S1Q_EUlS1P_E_NS1_11comp_targetILNS1_3genE4ELNS1_11target_archE910ELNS1_3gpuE8ELNS1_3repE0EEENS1_30default_config_static_selectorELNS0_4arch9wavefront6targetE0EEEvS12_: ; @_ZN7rocprim17ROCPRIM_400000_NS6detail17trampoline_kernelINS0_13select_configILj256ELj13ELNS0_17block_load_methodE3ELS4_3ELS4_3ELNS0_20block_scan_algorithmE0ELj4294967295EEENS1_25partition_config_selectorILNS1_17partition_subalgoE4EjNS0_10empty_typeEbEEZZNS1_14partition_implILS8_4ELb0ES6_15HIP_vector_typeIjLj2EENS0_17counting_iteratorIjlEEPS9_SG_NS0_5tupleIJPjSI_NS0_16reverse_iteratorISI_EEEEENSH_IJSG_SG_SG_EEES9_SI_JZNS1_25segmented_radix_sort_implINS0_14default_configELb0EPKiPiPKlPlN2at6native12_GLOBAL__N_18offset_tEEE10hipError_tPvRmT1_PNSt15iterator_traitsIS12_E10value_typeET2_T3_PNS13_IS18_E10value_typeET4_jRbjT5_S1E_jjP12ihipStream_tbEUljE_ZNSN_ISO_Lb0ESQ_SR_ST_SU_SY_EESZ_S10_S11_S12_S16_S17_S18_S1B_S1C_jS1D_jS1E_S1E_jjS1G_bEUljE0_EEESZ_S10_S11_S18_S1C_S1E_T6_T7_T9_mT8_S1G_bDpT10_ENKUlT_T0_E_clISt17integral_constantIbLb0EES1T_IbLb1EEEEDaS1P_S1Q_EUlS1P_E_NS1_11comp_targetILNS1_3genE4ELNS1_11target_archE910ELNS1_3gpuE8ELNS1_3repE0EEENS1_30default_config_static_selectorELNS0_4arch9wavefront6targetE0EEEvS12_
; %bb.0:
	.section	.rodata,"a",@progbits
	.p2align	6, 0x0
	.amdhsa_kernel _ZN7rocprim17ROCPRIM_400000_NS6detail17trampoline_kernelINS0_13select_configILj256ELj13ELNS0_17block_load_methodE3ELS4_3ELS4_3ELNS0_20block_scan_algorithmE0ELj4294967295EEENS1_25partition_config_selectorILNS1_17partition_subalgoE4EjNS0_10empty_typeEbEEZZNS1_14partition_implILS8_4ELb0ES6_15HIP_vector_typeIjLj2EENS0_17counting_iteratorIjlEEPS9_SG_NS0_5tupleIJPjSI_NS0_16reverse_iteratorISI_EEEEENSH_IJSG_SG_SG_EEES9_SI_JZNS1_25segmented_radix_sort_implINS0_14default_configELb0EPKiPiPKlPlN2at6native12_GLOBAL__N_18offset_tEEE10hipError_tPvRmT1_PNSt15iterator_traitsIS12_E10value_typeET2_T3_PNS13_IS18_E10value_typeET4_jRbjT5_S1E_jjP12ihipStream_tbEUljE_ZNSN_ISO_Lb0ESQ_SR_ST_SU_SY_EESZ_S10_S11_S12_S16_S17_S18_S1B_S1C_jS1D_jS1E_S1E_jjS1G_bEUljE0_EEESZ_S10_S11_S18_S1C_S1E_T6_T7_T9_mT8_S1G_bDpT10_ENKUlT_T0_E_clISt17integral_constantIbLb0EES1T_IbLb1EEEEDaS1P_S1Q_EUlS1P_E_NS1_11comp_targetILNS1_3genE4ELNS1_11target_archE910ELNS1_3gpuE8ELNS1_3repE0EEENS1_30default_config_static_selectorELNS0_4arch9wavefront6targetE0EEEvS12_
		.amdhsa_group_segment_fixed_size 0
		.amdhsa_private_segment_fixed_size 0
		.amdhsa_kernarg_size 184
		.amdhsa_user_sgpr_count 6
		.amdhsa_user_sgpr_private_segment_buffer 1
		.amdhsa_user_sgpr_dispatch_ptr 0
		.amdhsa_user_sgpr_queue_ptr 0
		.amdhsa_user_sgpr_kernarg_segment_ptr 1
		.amdhsa_user_sgpr_dispatch_id 0
		.amdhsa_user_sgpr_flat_scratch_init 0
		.amdhsa_user_sgpr_private_segment_size 0
		.amdhsa_wavefront_size32 1
		.amdhsa_uses_dynamic_stack 0
		.amdhsa_system_sgpr_private_segment_wavefront_offset 0
		.amdhsa_system_sgpr_workgroup_id_x 1
		.amdhsa_system_sgpr_workgroup_id_y 0
		.amdhsa_system_sgpr_workgroup_id_z 0
		.amdhsa_system_sgpr_workgroup_info 0
		.amdhsa_system_vgpr_workitem_id 0
		.amdhsa_next_free_vgpr 1
		.amdhsa_next_free_sgpr 1
		.amdhsa_reserve_vcc 0
		.amdhsa_reserve_flat_scratch 0
		.amdhsa_float_round_mode_32 0
		.amdhsa_float_round_mode_16_64 0
		.amdhsa_float_denorm_mode_32 3
		.amdhsa_float_denorm_mode_16_64 3
		.amdhsa_dx10_clamp 1
		.amdhsa_ieee_mode 1
		.amdhsa_fp16_overflow 0
		.amdhsa_workgroup_processor_mode 1
		.amdhsa_memory_ordered 1
		.amdhsa_forward_progress 1
		.amdhsa_shared_vgpr_count 0
		.amdhsa_exception_fp_ieee_invalid_op 0
		.amdhsa_exception_fp_denorm_src 0
		.amdhsa_exception_fp_ieee_div_zero 0
		.amdhsa_exception_fp_ieee_overflow 0
		.amdhsa_exception_fp_ieee_underflow 0
		.amdhsa_exception_fp_ieee_inexact 0
		.amdhsa_exception_int_div_zero 0
	.end_amdhsa_kernel
	.section	.text._ZN7rocprim17ROCPRIM_400000_NS6detail17trampoline_kernelINS0_13select_configILj256ELj13ELNS0_17block_load_methodE3ELS4_3ELS4_3ELNS0_20block_scan_algorithmE0ELj4294967295EEENS1_25partition_config_selectorILNS1_17partition_subalgoE4EjNS0_10empty_typeEbEEZZNS1_14partition_implILS8_4ELb0ES6_15HIP_vector_typeIjLj2EENS0_17counting_iteratorIjlEEPS9_SG_NS0_5tupleIJPjSI_NS0_16reverse_iteratorISI_EEEEENSH_IJSG_SG_SG_EEES9_SI_JZNS1_25segmented_radix_sort_implINS0_14default_configELb0EPKiPiPKlPlN2at6native12_GLOBAL__N_18offset_tEEE10hipError_tPvRmT1_PNSt15iterator_traitsIS12_E10value_typeET2_T3_PNS13_IS18_E10value_typeET4_jRbjT5_S1E_jjP12ihipStream_tbEUljE_ZNSN_ISO_Lb0ESQ_SR_ST_SU_SY_EESZ_S10_S11_S12_S16_S17_S18_S1B_S1C_jS1D_jS1E_S1E_jjS1G_bEUljE0_EEESZ_S10_S11_S18_S1C_S1E_T6_T7_T9_mT8_S1G_bDpT10_ENKUlT_T0_E_clISt17integral_constantIbLb0EES1T_IbLb1EEEEDaS1P_S1Q_EUlS1P_E_NS1_11comp_targetILNS1_3genE4ELNS1_11target_archE910ELNS1_3gpuE8ELNS1_3repE0EEENS1_30default_config_static_selectorELNS0_4arch9wavefront6targetE0EEEvS12_,"axG",@progbits,_ZN7rocprim17ROCPRIM_400000_NS6detail17trampoline_kernelINS0_13select_configILj256ELj13ELNS0_17block_load_methodE3ELS4_3ELS4_3ELNS0_20block_scan_algorithmE0ELj4294967295EEENS1_25partition_config_selectorILNS1_17partition_subalgoE4EjNS0_10empty_typeEbEEZZNS1_14partition_implILS8_4ELb0ES6_15HIP_vector_typeIjLj2EENS0_17counting_iteratorIjlEEPS9_SG_NS0_5tupleIJPjSI_NS0_16reverse_iteratorISI_EEEEENSH_IJSG_SG_SG_EEES9_SI_JZNS1_25segmented_radix_sort_implINS0_14default_configELb0EPKiPiPKlPlN2at6native12_GLOBAL__N_18offset_tEEE10hipError_tPvRmT1_PNSt15iterator_traitsIS12_E10value_typeET2_T3_PNS13_IS18_E10value_typeET4_jRbjT5_S1E_jjP12ihipStream_tbEUljE_ZNSN_ISO_Lb0ESQ_SR_ST_SU_SY_EESZ_S10_S11_S12_S16_S17_S18_S1B_S1C_jS1D_jS1E_S1E_jjS1G_bEUljE0_EEESZ_S10_S11_S18_S1C_S1E_T6_T7_T9_mT8_S1G_bDpT10_ENKUlT_T0_E_clISt17integral_constantIbLb0EES1T_IbLb1EEEEDaS1P_S1Q_EUlS1P_E_NS1_11comp_targetILNS1_3genE4ELNS1_11target_archE910ELNS1_3gpuE8ELNS1_3repE0EEENS1_30default_config_static_selectorELNS0_4arch9wavefront6targetE0EEEvS12_,comdat
.Lfunc_end557:
	.size	_ZN7rocprim17ROCPRIM_400000_NS6detail17trampoline_kernelINS0_13select_configILj256ELj13ELNS0_17block_load_methodE3ELS4_3ELS4_3ELNS0_20block_scan_algorithmE0ELj4294967295EEENS1_25partition_config_selectorILNS1_17partition_subalgoE4EjNS0_10empty_typeEbEEZZNS1_14partition_implILS8_4ELb0ES6_15HIP_vector_typeIjLj2EENS0_17counting_iteratorIjlEEPS9_SG_NS0_5tupleIJPjSI_NS0_16reverse_iteratorISI_EEEEENSH_IJSG_SG_SG_EEES9_SI_JZNS1_25segmented_radix_sort_implINS0_14default_configELb0EPKiPiPKlPlN2at6native12_GLOBAL__N_18offset_tEEE10hipError_tPvRmT1_PNSt15iterator_traitsIS12_E10value_typeET2_T3_PNS13_IS18_E10value_typeET4_jRbjT5_S1E_jjP12ihipStream_tbEUljE_ZNSN_ISO_Lb0ESQ_SR_ST_SU_SY_EESZ_S10_S11_S12_S16_S17_S18_S1B_S1C_jS1D_jS1E_S1E_jjS1G_bEUljE0_EEESZ_S10_S11_S18_S1C_S1E_T6_T7_T9_mT8_S1G_bDpT10_ENKUlT_T0_E_clISt17integral_constantIbLb0EES1T_IbLb1EEEEDaS1P_S1Q_EUlS1P_E_NS1_11comp_targetILNS1_3genE4ELNS1_11target_archE910ELNS1_3gpuE8ELNS1_3repE0EEENS1_30default_config_static_selectorELNS0_4arch9wavefront6targetE0EEEvS12_, .Lfunc_end557-_ZN7rocprim17ROCPRIM_400000_NS6detail17trampoline_kernelINS0_13select_configILj256ELj13ELNS0_17block_load_methodE3ELS4_3ELS4_3ELNS0_20block_scan_algorithmE0ELj4294967295EEENS1_25partition_config_selectorILNS1_17partition_subalgoE4EjNS0_10empty_typeEbEEZZNS1_14partition_implILS8_4ELb0ES6_15HIP_vector_typeIjLj2EENS0_17counting_iteratorIjlEEPS9_SG_NS0_5tupleIJPjSI_NS0_16reverse_iteratorISI_EEEEENSH_IJSG_SG_SG_EEES9_SI_JZNS1_25segmented_radix_sort_implINS0_14default_configELb0EPKiPiPKlPlN2at6native12_GLOBAL__N_18offset_tEEE10hipError_tPvRmT1_PNSt15iterator_traitsIS12_E10value_typeET2_T3_PNS13_IS18_E10value_typeET4_jRbjT5_S1E_jjP12ihipStream_tbEUljE_ZNSN_ISO_Lb0ESQ_SR_ST_SU_SY_EESZ_S10_S11_S12_S16_S17_S18_S1B_S1C_jS1D_jS1E_S1E_jjS1G_bEUljE0_EEESZ_S10_S11_S18_S1C_S1E_T6_T7_T9_mT8_S1G_bDpT10_ENKUlT_T0_E_clISt17integral_constantIbLb0EES1T_IbLb1EEEEDaS1P_S1Q_EUlS1P_E_NS1_11comp_targetILNS1_3genE4ELNS1_11target_archE910ELNS1_3gpuE8ELNS1_3repE0EEENS1_30default_config_static_selectorELNS0_4arch9wavefront6targetE0EEEvS12_
                                        ; -- End function
	.set _ZN7rocprim17ROCPRIM_400000_NS6detail17trampoline_kernelINS0_13select_configILj256ELj13ELNS0_17block_load_methodE3ELS4_3ELS4_3ELNS0_20block_scan_algorithmE0ELj4294967295EEENS1_25partition_config_selectorILNS1_17partition_subalgoE4EjNS0_10empty_typeEbEEZZNS1_14partition_implILS8_4ELb0ES6_15HIP_vector_typeIjLj2EENS0_17counting_iteratorIjlEEPS9_SG_NS0_5tupleIJPjSI_NS0_16reverse_iteratorISI_EEEEENSH_IJSG_SG_SG_EEES9_SI_JZNS1_25segmented_radix_sort_implINS0_14default_configELb0EPKiPiPKlPlN2at6native12_GLOBAL__N_18offset_tEEE10hipError_tPvRmT1_PNSt15iterator_traitsIS12_E10value_typeET2_T3_PNS13_IS18_E10value_typeET4_jRbjT5_S1E_jjP12ihipStream_tbEUljE_ZNSN_ISO_Lb0ESQ_SR_ST_SU_SY_EESZ_S10_S11_S12_S16_S17_S18_S1B_S1C_jS1D_jS1E_S1E_jjS1G_bEUljE0_EEESZ_S10_S11_S18_S1C_S1E_T6_T7_T9_mT8_S1G_bDpT10_ENKUlT_T0_E_clISt17integral_constantIbLb0EES1T_IbLb1EEEEDaS1P_S1Q_EUlS1P_E_NS1_11comp_targetILNS1_3genE4ELNS1_11target_archE910ELNS1_3gpuE8ELNS1_3repE0EEENS1_30default_config_static_selectorELNS0_4arch9wavefront6targetE0EEEvS12_.num_vgpr, 0
	.set _ZN7rocprim17ROCPRIM_400000_NS6detail17trampoline_kernelINS0_13select_configILj256ELj13ELNS0_17block_load_methodE3ELS4_3ELS4_3ELNS0_20block_scan_algorithmE0ELj4294967295EEENS1_25partition_config_selectorILNS1_17partition_subalgoE4EjNS0_10empty_typeEbEEZZNS1_14partition_implILS8_4ELb0ES6_15HIP_vector_typeIjLj2EENS0_17counting_iteratorIjlEEPS9_SG_NS0_5tupleIJPjSI_NS0_16reverse_iteratorISI_EEEEENSH_IJSG_SG_SG_EEES9_SI_JZNS1_25segmented_radix_sort_implINS0_14default_configELb0EPKiPiPKlPlN2at6native12_GLOBAL__N_18offset_tEEE10hipError_tPvRmT1_PNSt15iterator_traitsIS12_E10value_typeET2_T3_PNS13_IS18_E10value_typeET4_jRbjT5_S1E_jjP12ihipStream_tbEUljE_ZNSN_ISO_Lb0ESQ_SR_ST_SU_SY_EESZ_S10_S11_S12_S16_S17_S18_S1B_S1C_jS1D_jS1E_S1E_jjS1G_bEUljE0_EEESZ_S10_S11_S18_S1C_S1E_T6_T7_T9_mT8_S1G_bDpT10_ENKUlT_T0_E_clISt17integral_constantIbLb0EES1T_IbLb1EEEEDaS1P_S1Q_EUlS1P_E_NS1_11comp_targetILNS1_3genE4ELNS1_11target_archE910ELNS1_3gpuE8ELNS1_3repE0EEENS1_30default_config_static_selectorELNS0_4arch9wavefront6targetE0EEEvS12_.num_agpr, 0
	.set _ZN7rocprim17ROCPRIM_400000_NS6detail17trampoline_kernelINS0_13select_configILj256ELj13ELNS0_17block_load_methodE3ELS4_3ELS4_3ELNS0_20block_scan_algorithmE0ELj4294967295EEENS1_25partition_config_selectorILNS1_17partition_subalgoE4EjNS0_10empty_typeEbEEZZNS1_14partition_implILS8_4ELb0ES6_15HIP_vector_typeIjLj2EENS0_17counting_iteratorIjlEEPS9_SG_NS0_5tupleIJPjSI_NS0_16reverse_iteratorISI_EEEEENSH_IJSG_SG_SG_EEES9_SI_JZNS1_25segmented_radix_sort_implINS0_14default_configELb0EPKiPiPKlPlN2at6native12_GLOBAL__N_18offset_tEEE10hipError_tPvRmT1_PNSt15iterator_traitsIS12_E10value_typeET2_T3_PNS13_IS18_E10value_typeET4_jRbjT5_S1E_jjP12ihipStream_tbEUljE_ZNSN_ISO_Lb0ESQ_SR_ST_SU_SY_EESZ_S10_S11_S12_S16_S17_S18_S1B_S1C_jS1D_jS1E_S1E_jjS1G_bEUljE0_EEESZ_S10_S11_S18_S1C_S1E_T6_T7_T9_mT8_S1G_bDpT10_ENKUlT_T0_E_clISt17integral_constantIbLb0EES1T_IbLb1EEEEDaS1P_S1Q_EUlS1P_E_NS1_11comp_targetILNS1_3genE4ELNS1_11target_archE910ELNS1_3gpuE8ELNS1_3repE0EEENS1_30default_config_static_selectorELNS0_4arch9wavefront6targetE0EEEvS12_.numbered_sgpr, 0
	.set _ZN7rocprim17ROCPRIM_400000_NS6detail17trampoline_kernelINS0_13select_configILj256ELj13ELNS0_17block_load_methodE3ELS4_3ELS4_3ELNS0_20block_scan_algorithmE0ELj4294967295EEENS1_25partition_config_selectorILNS1_17partition_subalgoE4EjNS0_10empty_typeEbEEZZNS1_14partition_implILS8_4ELb0ES6_15HIP_vector_typeIjLj2EENS0_17counting_iteratorIjlEEPS9_SG_NS0_5tupleIJPjSI_NS0_16reverse_iteratorISI_EEEEENSH_IJSG_SG_SG_EEES9_SI_JZNS1_25segmented_radix_sort_implINS0_14default_configELb0EPKiPiPKlPlN2at6native12_GLOBAL__N_18offset_tEEE10hipError_tPvRmT1_PNSt15iterator_traitsIS12_E10value_typeET2_T3_PNS13_IS18_E10value_typeET4_jRbjT5_S1E_jjP12ihipStream_tbEUljE_ZNSN_ISO_Lb0ESQ_SR_ST_SU_SY_EESZ_S10_S11_S12_S16_S17_S18_S1B_S1C_jS1D_jS1E_S1E_jjS1G_bEUljE0_EEESZ_S10_S11_S18_S1C_S1E_T6_T7_T9_mT8_S1G_bDpT10_ENKUlT_T0_E_clISt17integral_constantIbLb0EES1T_IbLb1EEEEDaS1P_S1Q_EUlS1P_E_NS1_11comp_targetILNS1_3genE4ELNS1_11target_archE910ELNS1_3gpuE8ELNS1_3repE0EEENS1_30default_config_static_selectorELNS0_4arch9wavefront6targetE0EEEvS12_.num_named_barrier, 0
	.set _ZN7rocprim17ROCPRIM_400000_NS6detail17trampoline_kernelINS0_13select_configILj256ELj13ELNS0_17block_load_methodE3ELS4_3ELS4_3ELNS0_20block_scan_algorithmE0ELj4294967295EEENS1_25partition_config_selectorILNS1_17partition_subalgoE4EjNS0_10empty_typeEbEEZZNS1_14partition_implILS8_4ELb0ES6_15HIP_vector_typeIjLj2EENS0_17counting_iteratorIjlEEPS9_SG_NS0_5tupleIJPjSI_NS0_16reverse_iteratorISI_EEEEENSH_IJSG_SG_SG_EEES9_SI_JZNS1_25segmented_radix_sort_implINS0_14default_configELb0EPKiPiPKlPlN2at6native12_GLOBAL__N_18offset_tEEE10hipError_tPvRmT1_PNSt15iterator_traitsIS12_E10value_typeET2_T3_PNS13_IS18_E10value_typeET4_jRbjT5_S1E_jjP12ihipStream_tbEUljE_ZNSN_ISO_Lb0ESQ_SR_ST_SU_SY_EESZ_S10_S11_S12_S16_S17_S18_S1B_S1C_jS1D_jS1E_S1E_jjS1G_bEUljE0_EEESZ_S10_S11_S18_S1C_S1E_T6_T7_T9_mT8_S1G_bDpT10_ENKUlT_T0_E_clISt17integral_constantIbLb0EES1T_IbLb1EEEEDaS1P_S1Q_EUlS1P_E_NS1_11comp_targetILNS1_3genE4ELNS1_11target_archE910ELNS1_3gpuE8ELNS1_3repE0EEENS1_30default_config_static_selectorELNS0_4arch9wavefront6targetE0EEEvS12_.private_seg_size, 0
	.set _ZN7rocprim17ROCPRIM_400000_NS6detail17trampoline_kernelINS0_13select_configILj256ELj13ELNS0_17block_load_methodE3ELS4_3ELS4_3ELNS0_20block_scan_algorithmE0ELj4294967295EEENS1_25partition_config_selectorILNS1_17partition_subalgoE4EjNS0_10empty_typeEbEEZZNS1_14partition_implILS8_4ELb0ES6_15HIP_vector_typeIjLj2EENS0_17counting_iteratorIjlEEPS9_SG_NS0_5tupleIJPjSI_NS0_16reverse_iteratorISI_EEEEENSH_IJSG_SG_SG_EEES9_SI_JZNS1_25segmented_radix_sort_implINS0_14default_configELb0EPKiPiPKlPlN2at6native12_GLOBAL__N_18offset_tEEE10hipError_tPvRmT1_PNSt15iterator_traitsIS12_E10value_typeET2_T3_PNS13_IS18_E10value_typeET4_jRbjT5_S1E_jjP12ihipStream_tbEUljE_ZNSN_ISO_Lb0ESQ_SR_ST_SU_SY_EESZ_S10_S11_S12_S16_S17_S18_S1B_S1C_jS1D_jS1E_S1E_jjS1G_bEUljE0_EEESZ_S10_S11_S18_S1C_S1E_T6_T7_T9_mT8_S1G_bDpT10_ENKUlT_T0_E_clISt17integral_constantIbLb0EES1T_IbLb1EEEEDaS1P_S1Q_EUlS1P_E_NS1_11comp_targetILNS1_3genE4ELNS1_11target_archE910ELNS1_3gpuE8ELNS1_3repE0EEENS1_30default_config_static_selectorELNS0_4arch9wavefront6targetE0EEEvS12_.uses_vcc, 0
	.set _ZN7rocprim17ROCPRIM_400000_NS6detail17trampoline_kernelINS0_13select_configILj256ELj13ELNS0_17block_load_methodE3ELS4_3ELS4_3ELNS0_20block_scan_algorithmE0ELj4294967295EEENS1_25partition_config_selectorILNS1_17partition_subalgoE4EjNS0_10empty_typeEbEEZZNS1_14partition_implILS8_4ELb0ES6_15HIP_vector_typeIjLj2EENS0_17counting_iteratorIjlEEPS9_SG_NS0_5tupleIJPjSI_NS0_16reverse_iteratorISI_EEEEENSH_IJSG_SG_SG_EEES9_SI_JZNS1_25segmented_radix_sort_implINS0_14default_configELb0EPKiPiPKlPlN2at6native12_GLOBAL__N_18offset_tEEE10hipError_tPvRmT1_PNSt15iterator_traitsIS12_E10value_typeET2_T3_PNS13_IS18_E10value_typeET4_jRbjT5_S1E_jjP12ihipStream_tbEUljE_ZNSN_ISO_Lb0ESQ_SR_ST_SU_SY_EESZ_S10_S11_S12_S16_S17_S18_S1B_S1C_jS1D_jS1E_S1E_jjS1G_bEUljE0_EEESZ_S10_S11_S18_S1C_S1E_T6_T7_T9_mT8_S1G_bDpT10_ENKUlT_T0_E_clISt17integral_constantIbLb0EES1T_IbLb1EEEEDaS1P_S1Q_EUlS1P_E_NS1_11comp_targetILNS1_3genE4ELNS1_11target_archE910ELNS1_3gpuE8ELNS1_3repE0EEENS1_30default_config_static_selectorELNS0_4arch9wavefront6targetE0EEEvS12_.uses_flat_scratch, 0
	.set _ZN7rocprim17ROCPRIM_400000_NS6detail17trampoline_kernelINS0_13select_configILj256ELj13ELNS0_17block_load_methodE3ELS4_3ELS4_3ELNS0_20block_scan_algorithmE0ELj4294967295EEENS1_25partition_config_selectorILNS1_17partition_subalgoE4EjNS0_10empty_typeEbEEZZNS1_14partition_implILS8_4ELb0ES6_15HIP_vector_typeIjLj2EENS0_17counting_iteratorIjlEEPS9_SG_NS0_5tupleIJPjSI_NS0_16reverse_iteratorISI_EEEEENSH_IJSG_SG_SG_EEES9_SI_JZNS1_25segmented_radix_sort_implINS0_14default_configELb0EPKiPiPKlPlN2at6native12_GLOBAL__N_18offset_tEEE10hipError_tPvRmT1_PNSt15iterator_traitsIS12_E10value_typeET2_T3_PNS13_IS18_E10value_typeET4_jRbjT5_S1E_jjP12ihipStream_tbEUljE_ZNSN_ISO_Lb0ESQ_SR_ST_SU_SY_EESZ_S10_S11_S12_S16_S17_S18_S1B_S1C_jS1D_jS1E_S1E_jjS1G_bEUljE0_EEESZ_S10_S11_S18_S1C_S1E_T6_T7_T9_mT8_S1G_bDpT10_ENKUlT_T0_E_clISt17integral_constantIbLb0EES1T_IbLb1EEEEDaS1P_S1Q_EUlS1P_E_NS1_11comp_targetILNS1_3genE4ELNS1_11target_archE910ELNS1_3gpuE8ELNS1_3repE0EEENS1_30default_config_static_selectorELNS0_4arch9wavefront6targetE0EEEvS12_.has_dyn_sized_stack, 0
	.set _ZN7rocprim17ROCPRIM_400000_NS6detail17trampoline_kernelINS0_13select_configILj256ELj13ELNS0_17block_load_methodE3ELS4_3ELS4_3ELNS0_20block_scan_algorithmE0ELj4294967295EEENS1_25partition_config_selectorILNS1_17partition_subalgoE4EjNS0_10empty_typeEbEEZZNS1_14partition_implILS8_4ELb0ES6_15HIP_vector_typeIjLj2EENS0_17counting_iteratorIjlEEPS9_SG_NS0_5tupleIJPjSI_NS0_16reverse_iteratorISI_EEEEENSH_IJSG_SG_SG_EEES9_SI_JZNS1_25segmented_radix_sort_implINS0_14default_configELb0EPKiPiPKlPlN2at6native12_GLOBAL__N_18offset_tEEE10hipError_tPvRmT1_PNSt15iterator_traitsIS12_E10value_typeET2_T3_PNS13_IS18_E10value_typeET4_jRbjT5_S1E_jjP12ihipStream_tbEUljE_ZNSN_ISO_Lb0ESQ_SR_ST_SU_SY_EESZ_S10_S11_S12_S16_S17_S18_S1B_S1C_jS1D_jS1E_S1E_jjS1G_bEUljE0_EEESZ_S10_S11_S18_S1C_S1E_T6_T7_T9_mT8_S1G_bDpT10_ENKUlT_T0_E_clISt17integral_constantIbLb0EES1T_IbLb1EEEEDaS1P_S1Q_EUlS1P_E_NS1_11comp_targetILNS1_3genE4ELNS1_11target_archE910ELNS1_3gpuE8ELNS1_3repE0EEENS1_30default_config_static_selectorELNS0_4arch9wavefront6targetE0EEEvS12_.has_recursion, 0
	.set _ZN7rocprim17ROCPRIM_400000_NS6detail17trampoline_kernelINS0_13select_configILj256ELj13ELNS0_17block_load_methodE3ELS4_3ELS4_3ELNS0_20block_scan_algorithmE0ELj4294967295EEENS1_25partition_config_selectorILNS1_17partition_subalgoE4EjNS0_10empty_typeEbEEZZNS1_14partition_implILS8_4ELb0ES6_15HIP_vector_typeIjLj2EENS0_17counting_iteratorIjlEEPS9_SG_NS0_5tupleIJPjSI_NS0_16reverse_iteratorISI_EEEEENSH_IJSG_SG_SG_EEES9_SI_JZNS1_25segmented_radix_sort_implINS0_14default_configELb0EPKiPiPKlPlN2at6native12_GLOBAL__N_18offset_tEEE10hipError_tPvRmT1_PNSt15iterator_traitsIS12_E10value_typeET2_T3_PNS13_IS18_E10value_typeET4_jRbjT5_S1E_jjP12ihipStream_tbEUljE_ZNSN_ISO_Lb0ESQ_SR_ST_SU_SY_EESZ_S10_S11_S12_S16_S17_S18_S1B_S1C_jS1D_jS1E_S1E_jjS1G_bEUljE0_EEESZ_S10_S11_S18_S1C_S1E_T6_T7_T9_mT8_S1G_bDpT10_ENKUlT_T0_E_clISt17integral_constantIbLb0EES1T_IbLb1EEEEDaS1P_S1Q_EUlS1P_E_NS1_11comp_targetILNS1_3genE4ELNS1_11target_archE910ELNS1_3gpuE8ELNS1_3repE0EEENS1_30default_config_static_selectorELNS0_4arch9wavefront6targetE0EEEvS12_.has_indirect_call, 0
	.section	.AMDGPU.csdata,"",@progbits
; Kernel info:
; codeLenInByte = 0
; TotalNumSgprs: 0
; NumVgprs: 0
; ScratchSize: 0
; MemoryBound: 0
; FloatMode: 240
; IeeeMode: 1
; LDSByteSize: 0 bytes/workgroup (compile time only)
; SGPRBlocks: 0
; VGPRBlocks: 0
; NumSGPRsForWavesPerEU: 1
; NumVGPRsForWavesPerEU: 1
; Occupancy: 16
; WaveLimiterHint : 0
; COMPUTE_PGM_RSRC2:SCRATCH_EN: 0
; COMPUTE_PGM_RSRC2:USER_SGPR: 6
; COMPUTE_PGM_RSRC2:TRAP_HANDLER: 0
; COMPUTE_PGM_RSRC2:TGID_X_EN: 1
; COMPUTE_PGM_RSRC2:TGID_Y_EN: 0
; COMPUTE_PGM_RSRC2:TGID_Z_EN: 0
; COMPUTE_PGM_RSRC2:TIDIG_COMP_CNT: 0
	.section	.text._ZN7rocprim17ROCPRIM_400000_NS6detail17trampoline_kernelINS0_13select_configILj256ELj13ELNS0_17block_load_methodE3ELS4_3ELS4_3ELNS0_20block_scan_algorithmE0ELj4294967295EEENS1_25partition_config_selectorILNS1_17partition_subalgoE4EjNS0_10empty_typeEbEEZZNS1_14partition_implILS8_4ELb0ES6_15HIP_vector_typeIjLj2EENS0_17counting_iteratorIjlEEPS9_SG_NS0_5tupleIJPjSI_NS0_16reverse_iteratorISI_EEEEENSH_IJSG_SG_SG_EEES9_SI_JZNS1_25segmented_radix_sort_implINS0_14default_configELb0EPKiPiPKlPlN2at6native12_GLOBAL__N_18offset_tEEE10hipError_tPvRmT1_PNSt15iterator_traitsIS12_E10value_typeET2_T3_PNS13_IS18_E10value_typeET4_jRbjT5_S1E_jjP12ihipStream_tbEUljE_ZNSN_ISO_Lb0ESQ_SR_ST_SU_SY_EESZ_S10_S11_S12_S16_S17_S18_S1B_S1C_jS1D_jS1E_S1E_jjS1G_bEUljE0_EEESZ_S10_S11_S18_S1C_S1E_T6_T7_T9_mT8_S1G_bDpT10_ENKUlT_T0_E_clISt17integral_constantIbLb0EES1T_IbLb1EEEEDaS1P_S1Q_EUlS1P_E_NS1_11comp_targetILNS1_3genE3ELNS1_11target_archE908ELNS1_3gpuE7ELNS1_3repE0EEENS1_30default_config_static_selectorELNS0_4arch9wavefront6targetE0EEEvS12_,"axG",@progbits,_ZN7rocprim17ROCPRIM_400000_NS6detail17trampoline_kernelINS0_13select_configILj256ELj13ELNS0_17block_load_methodE3ELS4_3ELS4_3ELNS0_20block_scan_algorithmE0ELj4294967295EEENS1_25partition_config_selectorILNS1_17partition_subalgoE4EjNS0_10empty_typeEbEEZZNS1_14partition_implILS8_4ELb0ES6_15HIP_vector_typeIjLj2EENS0_17counting_iteratorIjlEEPS9_SG_NS0_5tupleIJPjSI_NS0_16reverse_iteratorISI_EEEEENSH_IJSG_SG_SG_EEES9_SI_JZNS1_25segmented_radix_sort_implINS0_14default_configELb0EPKiPiPKlPlN2at6native12_GLOBAL__N_18offset_tEEE10hipError_tPvRmT1_PNSt15iterator_traitsIS12_E10value_typeET2_T3_PNS13_IS18_E10value_typeET4_jRbjT5_S1E_jjP12ihipStream_tbEUljE_ZNSN_ISO_Lb0ESQ_SR_ST_SU_SY_EESZ_S10_S11_S12_S16_S17_S18_S1B_S1C_jS1D_jS1E_S1E_jjS1G_bEUljE0_EEESZ_S10_S11_S18_S1C_S1E_T6_T7_T9_mT8_S1G_bDpT10_ENKUlT_T0_E_clISt17integral_constantIbLb0EES1T_IbLb1EEEEDaS1P_S1Q_EUlS1P_E_NS1_11comp_targetILNS1_3genE3ELNS1_11target_archE908ELNS1_3gpuE7ELNS1_3repE0EEENS1_30default_config_static_selectorELNS0_4arch9wavefront6targetE0EEEvS12_,comdat
	.globl	_ZN7rocprim17ROCPRIM_400000_NS6detail17trampoline_kernelINS0_13select_configILj256ELj13ELNS0_17block_load_methodE3ELS4_3ELS4_3ELNS0_20block_scan_algorithmE0ELj4294967295EEENS1_25partition_config_selectorILNS1_17partition_subalgoE4EjNS0_10empty_typeEbEEZZNS1_14partition_implILS8_4ELb0ES6_15HIP_vector_typeIjLj2EENS0_17counting_iteratorIjlEEPS9_SG_NS0_5tupleIJPjSI_NS0_16reverse_iteratorISI_EEEEENSH_IJSG_SG_SG_EEES9_SI_JZNS1_25segmented_radix_sort_implINS0_14default_configELb0EPKiPiPKlPlN2at6native12_GLOBAL__N_18offset_tEEE10hipError_tPvRmT1_PNSt15iterator_traitsIS12_E10value_typeET2_T3_PNS13_IS18_E10value_typeET4_jRbjT5_S1E_jjP12ihipStream_tbEUljE_ZNSN_ISO_Lb0ESQ_SR_ST_SU_SY_EESZ_S10_S11_S12_S16_S17_S18_S1B_S1C_jS1D_jS1E_S1E_jjS1G_bEUljE0_EEESZ_S10_S11_S18_S1C_S1E_T6_T7_T9_mT8_S1G_bDpT10_ENKUlT_T0_E_clISt17integral_constantIbLb0EES1T_IbLb1EEEEDaS1P_S1Q_EUlS1P_E_NS1_11comp_targetILNS1_3genE3ELNS1_11target_archE908ELNS1_3gpuE7ELNS1_3repE0EEENS1_30default_config_static_selectorELNS0_4arch9wavefront6targetE0EEEvS12_ ; -- Begin function _ZN7rocprim17ROCPRIM_400000_NS6detail17trampoline_kernelINS0_13select_configILj256ELj13ELNS0_17block_load_methodE3ELS4_3ELS4_3ELNS0_20block_scan_algorithmE0ELj4294967295EEENS1_25partition_config_selectorILNS1_17partition_subalgoE4EjNS0_10empty_typeEbEEZZNS1_14partition_implILS8_4ELb0ES6_15HIP_vector_typeIjLj2EENS0_17counting_iteratorIjlEEPS9_SG_NS0_5tupleIJPjSI_NS0_16reverse_iteratorISI_EEEEENSH_IJSG_SG_SG_EEES9_SI_JZNS1_25segmented_radix_sort_implINS0_14default_configELb0EPKiPiPKlPlN2at6native12_GLOBAL__N_18offset_tEEE10hipError_tPvRmT1_PNSt15iterator_traitsIS12_E10value_typeET2_T3_PNS13_IS18_E10value_typeET4_jRbjT5_S1E_jjP12ihipStream_tbEUljE_ZNSN_ISO_Lb0ESQ_SR_ST_SU_SY_EESZ_S10_S11_S12_S16_S17_S18_S1B_S1C_jS1D_jS1E_S1E_jjS1G_bEUljE0_EEESZ_S10_S11_S18_S1C_S1E_T6_T7_T9_mT8_S1G_bDpT10_ENKUlT_T0_E_clISt17integral_constantIbLb0EES1T_IbLb1EEEEDaS1P_S1Q_EUlS1P_E_NS1_11comp_targetILNS1_3genE3ELNS1_11target_archE908ELNS1_3gpuE7ELNS1_3repE0EEENS1_30default_config_static_selectorELNS0_4arch9wavefront6targetE0EEEvS12_
	.p2align	8
	.type	_ZN7rocprim17ROCPRIM_400000_NS6detail17trampoline_kernelINS0_13select_configILj256ELj13ELNS0_17block_load_methodE3ELS4_3ELS4_3ELNS0_20block_scan_algorithmE0ELj4294967295EEENS1_25partition_config_selectorILNS1_17partition_subalgoE4EjNS0_10empty_typeEbEEZZNS1_14partition_implILS8_4ELb0ES6_15HIP_vector_typeIjLj2EENS0_17counting_iteratorIjlEEPS9_SG_NS0_5tupleIJPjSI_NS0_16reverse_iteratorISI_EEEEENSH_IJSG_SG_SG_EEES9_SI_JZNS1_25segmented_radix_sort_implINS0_14default_configELb0EPKiPiPKlPlN2at6native12_GLOBAL__N_18offset_tEEE10hipError_tPvRmT1_PNSt15iterator_traitsIS12_E10value_typeET2_T3_PNS13_IS18_E10value_typeET4_jRbjT5_S1E_jjP12ihipStream_tbEUljE_ZNSN_ISO_Lb0ESQ_SR_ST_SU_SY_EESZ_S10_S11_S12_S16_S17_S18_S1B_S1C_jS1D_jS1E_S1E_jjS1G_bEUljE0_EEESZ_S10_S11_S18_S1C_S1E_T6_T7_T9_mT8_S1G_bDpT10_ENKUlT_T0_E_clISt17integral_constantIbLb0EES1T_IbLb1EEEEDaS1P_S1Q_EUlS1P_E_NS1_11comp_targetILNS1_3genE3ELNS1_11target_archE908ELNS1_3gpuE7ELNS1_3repE0EEENS1_30default_config_static_selectorELNS0_4arch9wavefront6targetE0EEEvS12_,@function
_ZN7rocprim17ROCPRIM_400000_NS6detail17trampoline_kernelINS0_13select_configILj256ELj13ELNS0_17block_load_methodE3ELS4_3ELS4_3ELNS0_20block_scan_algorithmE0ELj4294967295EEENS1_25partition_config_selectorILNS1_17partition_subalgoE4EjNS0_10empty_typeEbEEZZNS1_14partition_implILS8_4ELb0ES6_15HIP_vector_typeIjLj2EENS0_17counting_iteratorIjlEEPS9_SG_NS0_5tupleIJPjSI_NS0_16reverse_iteratorISI_EEEEENSH_IJSG_SG_SG_EEES9_SI_JZNS1_25segmented_radix_sort_implINS0_14default_configELb0EPKiPiPKlPlN2at6native12_GLOBAL__N_18offset_tEEE10hipError_tPvRmT1_PNSt15iterator_traitsIS12_E10value_typeET2_T3_PNS13_IS18_E10value_typeET4_jRbjT5_S1E_jjP12ihipStream_tbEUljE_ZNSN_ISO_Lb0ESQ_SR_ST_SU_SY_EESZ_S10_S11_S12_S16_S17_S18_S1B_S1C_jS1D_jS1E_S1E_jjS1G_bEUljE0_EEESZ_S10_S11_S18_S1C_S1E_T6_T7_T9_mT8_S1G_bDpT10_ENKUlT_T0_E_clISt17integral_constantIbLb0EES1T_IbLb1EEEEDaS1P_S1Q_EUlS1P_E_NS1_11comp_targetILNS1_3genE3ELNS1_11target_archE908ELNS1_3gpuE7ELNS1_3repE0EEENS1_30default_config_static_selectorELNS0_4arch9wavefront6targetE0EEEvS12_: ; @_ZN7rocprim17ROCPRIM_400000_NS6detail17trampoline_kernelINS0_13select_configILj256ELj13ELNS0_17block_load_methodE3ELS4_3ELS4_3ELNS0_20block_scan_algorithmE0ELj4294967295EEENS1_25partition_config_selectorILNS1_17partition_subalgoE4EjNS0_10empty_typeEbEEZZNS1_14partition_implILS8_4ELb0ES6_15HIP_vector_typeIjLj2EENS0_17counting_iteratorIjlEEPS9_SG_NS0_5tupleIJPjSI_NS0_16reverse_iteratorISI_EEEEENSH_IJSG_SG_SG_EEES9_SI_JZNS1_25segmented_radix_sort_implINS0_14default_configELb0EPKiPiPKlPlN2at6native12_GLOBAL__N_18offset_tEEE10hipError_tPvRmT1_PNSt15iterator_traitsIS12_E10value_typeET2_T3_PNS13_IS18_E10value_typeET4_jRbjT5_S1E_jjP12ihipStream_tbEUljE_ZNSN_ISO_Lb0ESQ_SR_ST_SU_SY_EESZ_S10_S11_S12_S16_S17_S18_S1B_S1C_jS1D_jS1E_S1E_jjS1G_bEUljE0_EEESZ_S10_S11_S18_S1C_S1E_T6_T7_T9_mT8_S1G_bDpT10_ENKUlT_T0_E_clISt17integral_constantIbLb0EES1T_IbLb1EEEEDaS1P_S1Q_EUlS1P_E_NS1_11comp_targetILNS1_3genE3ELNS1_11target_archE908ELNS1_3gpuE7ELNS1_3repE0EEENS1_30default_config_static_selectorELNS0_4arch9wavefront6targetE0EEEvS12_
; %bb.0:
	.section	.rodata,"a",@progbits
	.p2align	6, 0x0
	.amdhsa_kernel _ZN7rocprim17ROCPRIM_400000_NS6detail17trampoline_kernelINS0_13select_configILj256ELj13ELNS0_17block_load_methodE3ELS4_3ELS4_3ELNS0_20block_scan_algorithmE0ELj4294967295EEENS1_25partition_config_selectorILNS1_17partition_subalgoE4EjNS0_10empty_typeEbEEZZNS1_14partition_implILS8_4ELb0ES6_15HIP_vector_typeIjLj2EENS0_17counting_iteratorIjlEEPS9_SG_NS0_5tupleIJPjSI_NS0_16reverse_iteratorISI_EEEEENSH_IJSG_SG_SG_EEES9_SI_JZNS1_25segmented_radix_sort_implINS0_14default_configELb0EPKiPiPKlPlN2at6native12_GLOBAL__N_18offset_tEEE10hipError_tPvRmT1_PNSt15iterator_traitsIS12_E10value_typeET2_T3_PNS13_IS18_E10value_typeET4_jRbjT5_S1E_jjP12ihipStream_tbEUljE_ZNSN_ISO_Lb0ESQ_SR_ST_SU_SY_EESZ_S10_S11_S12_S16_S17_S18_S1B_S1C_jS1D_jS1E_S1E_jjS1G_bEUljE0_EEESZ_S10_S11_S18_S1C_S1E_T6_T7_T9_mT8_S1G_bDpT10_ENKUlT_T0_E_clISt17integral_constantIbLb0EES1T_IbLb1EEEEDaS1P_S1Q_EUlS1P_E_NS1_11comp_targetILNS1_3genE3ELNS1_11target_archE908ELNS1_3gpuE7ELNS1_3repE0EEENS1_30default_config_static_selectorELNS0_4arch9wavefront6targetE0EEEvS12_
		.amdhsa_group_segment_fixed_size 0
		.amdhsa_private_segment_fixed_size 0
		.amdhsa_kernarg_size 184
		.amdhsa_user_sgpr_count 6
		.amdhsa_user_sgpr_private_segment_buffer 1
		.amdhsa_user_sgpr_dispatch_ptr 0
		.amdhsa_user_sgpr_queue_ptr 0
		.amdhsa_user_sgpr_kernarg_segment_ptr 1
		.amdhsa_user_sgpr_dispatch_id 0
		.amdhsa_user_sgpr_flat_scratch_init 0
		.amdhsa_user_sgpr_private_segment_size 0
		.amdhsa_wavefront_size32 1
		.amdhsa_uses_dynamic_stack 0
		.amdhsa_system_sgpr_private_segment_wavefront_offset 0
		.amdhsa_system_sgpr_workgroup_id_x 1
		.amdhsa_system_sgpr_workgroup_id_y 0
		.amdhsa_system_sgpr_workgroup_id_z 0
		.amdhsa_system_sgpr_workgroup_info 0
		.amdhsa_system_vgpr_workitem_id 0
		.amdhsa_next_free_vgpr 1
		.amdhsa_next_free_sgpr 1
		.amdhsa_reserve_vcc 0
		.amdhsa_reserve_flat_scratch 0
		.amdhsa_float_round_mode_32 0
		.amdhsa_float_round_mode_16_64 0
		.amdhsa_float_denorm_mode_32 3
		.amdhsa_float_denorm_mode_16_64 3
		.amdhsa_dx10_clamp 1
		.amdhsa_ieee_mode 1
		.amdhsa_fp16_overflow 0
		.amdhsa_workgroup_processor_mode 1
		.amdhsa_memory_ordered 1
		.amdhsa_forward_progress 1
		.amdhsa_shared_vgpr_count 0
		.amdhsa_exception_fp_ieee_invalid_op 0
		.amdhsa_exception_fp_denorm_src 0
		.amdhsa_exception_fp_ieee_div_zero 0
		.amdhsa_exception_fp_ieee_overflow 0
		.amdhsa_exception_fp_ieee_underflow 0
		.amdhsa_exception_fp_ieee_inexact 0
		.amdhsa_exception_int_div_zero 0
	.end_amdhsa_kernel
	.section	.text._ZN7rocprim17ROCPRIM_400000_NS6detail17trampoline_kernelINS0_13select_configILj256ELj13ELNS0_17block_load_methodE3ELS4_3ELS4_3ELNS0_20block_scan_algorithmE0ELj4294967295EEENS1_25partition_config_selectorILNS1_17partition_subalgoE4EjNS0_10empty_typeEbEEZZNS1_14partition_implILS8_4ELb0ES6_15HIP_vector_typeIjLj2EENS0_17counting_iteratorIjlEEPS9_SG_NS0_5tupleIJPjSI_NS0_16reverse_iteratorISI_EEEEENSH_IJSG_SG_SG_EEES9_SI_JZNS1_25segmented_radix_sort_implINS0_14default_configELb0EPKiPiPKlPlN2at6native12_GLOBAL__N_18offset_tEEE10hipError_tPvRmT1_PNSt15iterator_traitsIS12_E10value_typeET2_T3_PNS13_IS18_E10value_typeET4_jRbjT5_S1E_jjP12ihipStream_tbEUljE_ZNSN_ISO_Lb0ESQ_SR_ST_SU_SY_EESZ_S10_S11_S12_S16_S17_S18_S1B_S1C_jS1D_jS1E_S1E_jjS1G_bEUljE0_EEESZ_S10_S11_S18_S1C_S1E_T6_T7_T9_mT8_S1G_bDpT10_ENKUlT_T0_E_clISt17integral_constantIbLb0EES1T_IbLb1EEEEDaS1P_S1Q_EUlS1P_E_NS1_11comp_targetILNS1_3genE3ELNS1_11target_archE908ELNS1_3gpuE7ELNS1_3repE0EEENS1_30default_config_static_selectorELNS0_4arch9wavefront6targetE0EEEvS12_,"axG",@progbits,_ZN7rocprim17ROCPRIM_400000_NS6detail17trampoline_kernelINS0_13select_configILj256ELj13ELNS0_17block_load_methodE3ELS4_3ELS4_3ELNS0_20block_scan_algorithmE0ELj4294967295EEENS1_25partition_config_selectorILNS1_17partition_subalgoE4EjNS0_10empty_typeEbEEZZNS1_14partition_implILS8_4ELb0ES6_15HIP_vector_typeIjLj2EENS0_17counting_iteratorIjlEEPS9_SG_NS0_5tupleIJPjSI_NS0_16reverse_iteratorISI_EEEEENSH_IJSG_SG_SG_EEES9_SI_JZNS1_25segmented_radix_sort_implINS0_14default_configELb0EPKiPiPKlPlN2at6native12_GLOBAL__N_18offset_tEEE10hipError_tPvRmT1_PNSt15iterator_traitsIS12_E10value_typeET2_T3_PNS13_IS18_E10value_typeET4_jRbjT5_S1E_jjP12ihipStream_tbEUljE_ZNSN_ISO_Lb0ESQ_SR_ST_SU_SY_EESZ_S10_S11_S12_S16_S17_S18_S1B_S1C_jS1D_jS1E_S1E_jjS1G_bEUljE0_EEESZ_S10_S11_S18_S1C_S1E_T6_T7_T9_mT8_S1G_bDpT10_ENKUlT_T0_E_clISt17integral_constantIbLb0EES1T_IbLb1EEEEDaS1P_S1Q_EUlS1P_E_NS1_11comp_targetILNS1_3genE3ELNS1_11target_archE908ELNS1_3gpuE7ELNS1_3repE0EEENS1_30default_config_static_selectorELNS0_4arch9wavefront6targetE0EEEvS12_,comdat
.Lfunc_end558:
	.size	_ZN7rocprim17ROCPRIM_400000_NS6detail17trampoline_kernelINS0_13select_configILj256ELj13ELNS0_17block_load_methodE3ELS4_3ELS4_3ELNS0_20block_scan_algorithmE0ELj4294967295EEENS1_25partition_config_selectorILNS1_17partition_subalgoE4EjNS0_10empty_typeEbEEZZNS1_14partition_implILS8_4ELb0ES6_15HIP_vector_typeIjLj2EENS0_17counting_iteratorIjlEEPS9_SG_NS0_5tupleIJPjSI_NS0_16reverse_iteratorISI_EEEEENSH_IJSG_SG_SG_EEES9_SI_JZNS1_25segmented_radix_sort_implINS0_14default_configELb0EPKiPiPKlPlN2at6native12_GLOBAL__N_18offset_tEEE10hipError_tPvRmT1_PNSt15iterator_traitsIS12_E10value_typeET2_T3_PNS13_IS18_E10value_typeET4_jRbjT5_S1E_jjP12ihipStream_tbEUljE_ZNSN_ISO_Lb0ESQ_SR_ST_SU_SY_EESZ_S10_S11_S12_S16_S17_S18_S1B_S1C_jS1D_jS1E_S1E_jjS1G_bEUljE0_EEESZ_S10_S11_S18_S1C_S1E_T6_T7_T9_mT8_S1G_bDpT10_ENKUlT_T0_E_clISt17integral_constantIbLb0EES1T_IbLb1EEEEDaS1P_S1Q_EUlS1P_E_NS1_11comp_targetILNS1_3genE3ELNS1_11target_archE908ELNS1_3gpuE7ELNS1_3repE0EEENS1_30default_config_static_selectorELNS0_4arch9wavefront6targetE0EEEvS12_, .Lfunc_end558-_ZN7rocprim17ROCPRIM_400000_NS6detail17trampoline_kernelINS0_13select_configILj256ELj13ELNS0_17block_load_methodE3ELS4_3ELS4_3ELNS0_20block_scan_algorithmE0ELj4294967295EEENS1_25partition_config_selectorILNS1_17partition_subalgoE4EjNS0_10empty_typeEbEEZZNS1_14partition_implILS8_4ELb0ES6_15HIP_vector_typeIjLj2EENS0_17counting_iteratorIjlEEPS9_SG_NS0_5tupleIJPjSI_NS0_16reverse_iteratorISI_EEEEENSH_IJSG_SG_SG_EEES9_SI_JZNS1_25segmented_radix_sort_implINS0_14default_configELb0EPKiPiPKlPlN2at6native12_GLOBAL__N_18offset_tEEE10hipError_tPvRmT1_PNSt15iterator_traitsIS12_E10value_typeET2_T3_PNS13_IS18_E10value_typeET4_jRbjT5_S1E_jjP12ihipStream_tbEUljE_ZNSN_ISO_Lb0ESQ_SR_ST_SU_SY_EESZ_S10_S11_S12_S16_S17_S18_S1B_S1C_jS1D_jS1E_S1E_jjS1G_bEUljE0_EEESZ_S10_S11_S18_S1C_S1E_T6_T7_T9_mT8_S1G_bDpT10_ENKUlT_T0_E_clISt17integral_constantIbLb0EES1T_IbLb1EEEEDaS1P_S1Q_EUlS1P_E_NS1_11comp_targetILNS1_3genE3ELNS1_11target_archE908ELNS1_3gpuE7ELNS1_3repE0EEENS1_30default_config_static_selectorELNS0_4arch9wavefront6targetE0EEEvS12_
                                        ; -- End function
	.set _ZN7rocprim17ROCPRIM_400000_NS6detail17trampoline_kernelINS0_13select_configILj256ELj13ELNS0_17block_load_methodE3ELS4_3ELS4_3ELNS0_20block_scan_algorithmE0ELj4294967295EEENS1_25partition_config_selectorILNS1_17partition_subalgoE4EjNS0_10empty_typeEbEEZZNS1_14partition_implILS8_4ELb0ES6_15HIP_vector_typeIjLj2EENS0_17counting_iteratorIjlEEPS9_SG_NS0_5tupleIJPjSI_NS0_16reverse_iteratorISI_EEEEENSH_IJSG_SG_SG_EEES9_SI_JZNS1_25segmented_radix_sort_implINS0_14default_configELb0EPKiPiPKlPlN2at6native12_GLOBAL__N_18offset_tEEE10hipError_tPvRmT1_PNSt15iterator_traitsIS12_E10value_typeET2_T3_PNS13_IS18_E10value_typeET4_jRbjT5_S1E_jjP12ihipStream_tbEUljE_ZNSN_ISO_Lb0ESQ_SR_ST_SU_SY_EESZ_S10_S11_S12_S16_S17_S18_S1B_S1C_jS1D_jS1E_S1E_jjS1G_bEUljE0_EEESZ_S10_S11_S18_S1C_S1E_T6_T7_T9_mT8_S1G_bDpT10_ENKUlT_T0_E_clISt17integral_constantIbLb0EES1T_IbLb1EEEEDaS1P_S1Q_EUlS1P_E_NS1_11comp_targetILNS1_3genE3ELNS1_11target_archE908ELNS1_3gpuE7ELNS1_3repE0EEENS1_30default_config_static_selectorELNS0_4arch9wavefront6targetE0EEEvS12_.num_vgpr, 0
	.set _ZN7rocprim17ROCPRIM_400000_NS6detail17trampoline_kernelINS0_13select_configILj256ELj13ELNS0_17block_load_methodE3ELS4_3ELS4_3ELNS0_20block_scan_algorithmE0ELj4294967295EEENS1_25partition_config_selectorILNS1_17partition_subalgoE4EjNS0_10empty_typeEbEEZZNS1_14partition_implILS8_4ELb0ES6_15HIP_vector_typeIjLj2EENS0_17counting_iteratorIjlEEPS9_SG_NS0_5tupleIJPjSI_NS0_16reverse_iteratorISI_EEEEENSH_IJSG_SG_SG_EEES9_SI_JZNS1_25segmented_radix_sort_implINS0_14default_configELb0EPKiPiPKlPlN2at6native12_GLOBAL__N_18offset_tEEE10hipError_tPvRmT1_PNSt15iterator_traitsIS12_E10value_typeET2_T3_PNS13_IS18_E10value_typeET4_jRbjT5_S1E_jjP12ihipStream_tbEUljE_ZNSN_ISO_Lb0ESQ_SR_ST_SU_SY_EESZ_S10_S11_S12_S16_S17_S18_S1B_S1C_jS1D_jS1E_S1E_jjS1G_bEUljE0_EEESZ_S10_S11_S18_S1C_S1E_T6_T7_T9_mT8_S1G_bDpT10_ENKUlT_T0_E_clISt17integral_constantIbLb0EES1T_IbLb1EEEEDaS1P_S1Q_EUlS1P_E_NS1_11comp_targetILNS1_3genE3ELNS1_11target_archE908ELNS1_3gpuE7ELNS1_3repE0EEENS1_30default_config_static_selectorELNS0_4arch9wavefront6targetE0EEEvS12_.num_agpr, 0
	.set _ZN7rocprim17ROCPRIM_400000_NS6detail17trampoline_kernelINS0_13select_configILj256ELj13ELNS0_17block_load_methodE3ELS4_3ELS4_3ELNS0_20block_scan_algorithmE0ELj4294967295EEENS1_25partition_config_selectorILNS1_17partition_subalgoE4EjNS0_10empty_typeEbEEZZNS1_14partition_implILS8_4ELb0ES6_15HIP_vector_typeIjLj2EENS0_17counting_iteratorIjlEEPS9_SG_NS0_5tupleIJPjSI_NS0_16reverse_iteratorISI_EEEEENSH_IJSG_SG_SG_EEES9_SI_JZNS1_25segmented_radix_sort_implINS0_14default_configELb0EPKiPiPKlPlN2at6native12_GLOBAL__N_18offset_tEEE10hipError_tPvRmT1_PNSt15iterator_traitsIS12_E10value_typeET2_T3_PNS13_IS18_E10value_typeET4_jRbjT5_S1E_jjP12ihipStream_tbEUljE_ZNSN_ISO_Lb0ESQ_SR_ST_SU_SY_EESZ_S10_S11_S12_S16_S17_S18_S1B_S1C_jS1D_jS1E_S1E_jjS1G_bEUljE0_EEESZ_S10_S11_S18_S1C_S1E_T6_T7_T9_mT8_S1G_bDpT10_ENKUlT_T0_E_clISt17integral_constantIbLb0EES1T_IbLb1EEEEDaS1P_S1Q_EUlS1P_E_NS1_11comp_targetILNS1_3genE3ELNS1_11target_archE908ELNS1_3gpuE7ELNS1_3repE0EEENS1_30default_config_static_selectorELNS0_4arch9wavefront6targetE0EEEvS12_.numbered_sgpr, 0
	.set _ZN7rocprim17ROCPRIM_400000_NS6detail17trampoline_kernelINS0_13select_configILj256ELj13ELNS0_17block_load_methodE3ELS4_3ELS4_3ELNS0_20block_scan_algorithmE0ELj4294967295EEENS1_25partition_config_selectorILNS1_17partition_subalgoE4EjNS0_10empty_typeEbEEZZNS1_14partition_implILS8_4ELb0ES6_15HIP_vector_typeIjLj2EENS0_17counting_iteratorIjlEEPS9_SG_NS0_5tupleIJPjSI_NS0_16reverse_iteratorISI_EEEEENSH_IJSG_SG_SG_EEES9_SI_JZNS1_25segmented_radix_sort_implINS0_14default_configELb0EPKiPiPKlPlN2at6native12_GLOBAL__N_18offset_tEEE10hipError_tPvRmT1_PNSt15iterator_traitsIS12_E10value_typeET2_T3_PNS13_IS18_E10value_typeET4_jRbjT5_S1E_jjP12ihipStream_tbEUljE_ZNSN_ISO_Lb0ESQ_SR_ST_SU_SY_EESZ_S10_S11_S12_S16_S17_S18_S1B_S1C_jS1D_jS1E_S1E_jjS1G_bEUljE0_EEESZ_S10_S11_S18_S1C_S1E_T6_T7_T9_mT8_S1G_bDpT10_ENKUlT_T0_E_clISt17integral_constantIbLb0EES1T_IbLb1EEEEDaS1P_S1Q_EUlS1P_E_NS1_11comp_targetILNS1_3genE3ELNS1_11target_archE908ELNS1_3gpuE7ELNS1_3repE0EEENS1_30default_config_static_selectorELNS0_4arch9wavefront6targetE0EEEvS12_.num_named_barrier, 0
	.set _ZN7rocprim17ROCPRIM_400000_NS6detail17trampoline_kernelINS0_13select_configILj256ELj13ELNS0_17block_load_methodE3ELS4_3ELS4_3ELNS0_20block_scan_algorithmE0ELj4294967295EEENS1_25partition_config_selectorILNS1_17partition_subalgoE4EjNS0_10empty_typeEbEEZZNS1_14partition_implILS8_4ELb0ES6_15HIP_vector_typeIjLj2EENS0_17counting_iteratorIjlEEPS9_SG_NS0_5tupleIJPjSI_NS0_16reverse_iteratorISI_EEEEENSH_IJSG_SG_SG_EEES9_SI_JZNS1_25segmented_radix_sort_implINS0_14default_configELb0EPKiPiPKlPlN2at6native12_GLOBAL__N_18offset_tEEE10hipError_tPvRmT1_PNSt15iterator_traitsIS12_E10value_typeET2_T3_PNS13_IS18_E10value_typeET4_jRbjT5_S1E_jjP12ihipStream_tbEUljE_ZNSN_ISO_Lb0ESQ_SR_ST_SU_SY_EESZ_S10_S11_S12_S16_S17_S18_S1B_S1C_jS1D_jS1E_S1E_jjS1G_bEUljE0_EEESZ_S10_S11_S18_S1C_S1E_T6_T7_T9_mT8_S1G_bDpT10_ENKUlT_T0_E_clISt17integral_constantIbLb0EES1T_IbLb1EEEEDaS1P_S1Q_EUlS1P_E_NS1_11comp_targetILNS1_3genE3ELNS1_11target_archE908ELNS1_3gpuE7ELNS1_3repE0EEENS1_30default_config_static_selectorELNS0_4arch9wavefront6targetE0EEEvS12_.private_seg_size, 0
	.set _ZN7rocprim17ROCPRIM_400000_NS6detail17trampoline_kernelINS0_13select_configILj256ELj13ELNS0_17block_load_methodE3ELS4_3ELS4_3ELNS0_20block_scan_algorithmE0ELj4294967295EEENS1_25partition_config_selectorILNS1_17partition_subalgoE4EjNS0_10empty_typeEbEEZZNS1_14partition_implILS8_4ELb0ES6_15HIP_vector_typeIjLj2EENS0_17counting_iteratorIjlEEPS9_SG_NS0_5tupleIJPjSI_NS0_16reverse_iteratorISI_EEEEENSH_IJSG_SG_SG_EEES9_SI_JZNS1_25segmented_radix_sort_implINS0_14default_configELb0EPKiPiPKlPlN2at6native12_GLOBAL__N_18offset_tEEE10hipError_tPvRmT1_PNSt15iterator_traitsIS12_E10value_typeET2_T3_PNS13_IS18_E10value_typeET4_jRbjT5_S1E_jjP12ihipStream_tbEUljE_ZNSN_ISO_Lb0ESQ_SR_ST_SU_SY_EESZ_S10_S11_S12_S16_S17_S18_S1B_S1C_jS1D_jS1E_S1E_jjS1G_bEUljE0_EEESZ_S10_S11_S18_S1C_S1E_T6_T7_T9_mT8_S1G_bDpT10_ENKUlT_T0_E_clISt17integral_constantIbLb0EES1T_IbLb1EEEEDaS1P_S1Q_EUlS1P_E_NS1_11comp_targetILNS1_3genE3ELNS1_11target_archE908ELNS1_3gpuE7ELNS1_3repE0EEENS1_30default_config_static_selectorELNS0_4arch9wavefront6targetE0EEEvS12_.uses_vcc, 0
	.set _ZN7rocprim17ROCPRIM_400000_NS6detail17trampoline_kernelINS0_13select_configILj256ELj13ELNS0_17block_load_methodE3ELS4_3ELS4_3ELNS0_20block_scan_algorithmE0ELj4294967295EEENS1_25partition_config_selectorILNS1_17partition_subalgoE4EjNS0_10empty_typeEbEEZZNS1_14partition_implILS8_4ELb0ES6_15HIP_vector_typeIjLj2EENS0_17counting_iteratorIjlEEPS9_SG_NS0_5tupleIJPjSI_NS0_16reverse_iteratorISI_EEEEENSH_IJSG_SG_SG_EEES9_SI_JZNS1_25segmented_radix_sort_implINS0_14default_configELb0EPKiPiPKlPlN2at6native12_GLOBAL__N_18offset_tEEE10hipError_tPvRmT1_PNSt15iterator_traitsIS12_E10value_typeET2_T3_PNS13_IS18_E10value_typeET4_jRbjT5_S1E_jjP12ihipStream_tbEUljE_ZNSN_ISO_Lb0ESQ_SR_ST_SU_SY_EESZ_S10_S11_S12_S16_S17_S18_S1B_S1C_jS1D_jS1E_S1E_jjS1G_bEUljE0_EEESZ_S10_S11_S18_S1C_S1E_T6_T7_T9_mT8_S1G_bDpT10_ENKUlT_T0_E_clISt17integral_constantIbLb0EES1T_IbLb1EEEEDaS1P_S1Q_EUlS1P_E_NS1_11comp_targetILNS1_3genE3ELNS1_11target_archE908ELNS1_3gpuE7ELNS1_3repE0EEENS1_30default_config_static_selectorELNS0_4arch9wavefront6targetE0EEEvS12_.uses_flat_scratch, 0
	.set _ZN7rocprim17ROCPRIM_400000_NS6detail17trampoline_kernelINS0_13select_configILj256ELj13ELNS0_17block_load_methodE3ELS4_3ELS4_3ELNS0_20block_scan_algorithmE0ELj4294967295EEENS1_25partition_config_selectorILNS1_17partition_subalgoE4EjNS0_10empty_typeEbEEZZNS1_14partition_implILS8_4ELb0ES6_15HIP_vector_typeIjLj2EENS0_17counting_iteratorIjlEEPS9_SG_NS0_5tupleIJPjSI_NS0_16reverse_iteratorISI_EEEEENSH_IJSG_SG_SG_EEES9_SI_JZNS1_25segmented_radix_sort_implINS0_14default_configELb0EPKiPiPKlPlN2at6native12_GLOBAL__N_18offset_tEEE10hipError_tPvRmT1_PNSt15iterator_traitsIS12_E10value_typeET2_T3_PNS13_IS18_E10value_typeET4_jRbjT5_S1E_jjP12ihipStream_tbEUljE_ZNSN_ISO_Lb0ESQ_SR_ST_SU_SY_EESZ_S10_S11_S12_S16_S17_S18_S1B_S1C_jS1D_jS1E_S1E_jjS1G_bEUljE0_EEESZ_S10_S11_S18_S1C_S1E_T6_T7_T9_mT8_S1G_bDpT10_ENKUlT_T0_E_clISt17integral_constantIbLb0EES1T_IbLb1EEEEDaS1P_S1Q_EUlS1P_E_NS1_11comp_targetILNS1_3genE3ELNS1_11target_archE908ELNS1_3gpuE7ELNS1_3repE0EEENS1_30default_config_static_selectorELNS0_4arch9wavefront6targetE0EEEvS12_.has_dyn_sized_stack, 0
	.set _ZN7rocprim17ROCPRIM_400000_NS6detail17trampoline_kernelINS0_13select_configILj256ELj13ELNS0_17block_load_methodE3ELS4_3ELS4_3ELNS0_20block_scan_algorithmE0ELj4294967295EEENS1_25partition_config_selectorILNS1_17partition_subalgoE4EjNS0_10empty_typeEbEEZZNS1_14partition_implILS8_4ELb0ES6_15HIP_vector_typeIjLj2EENS0_17counting_iteratorIjlEEPS9_SG_NS0_5tupleIJPjSI_NS0_16reverse_iteratorISI_EEEEENSH_IJSG_SG_SG_EEES9_SI_JZNS1_25segmented_radix_sort_implINS0_14default_configELb0EPKiPiPKlPlN2at6native12_GLOBAL__N_18offset_tEEE10hipError_tPvRmT1_PNSt15iterator_traitsIS12_E10value_typeET2_T3_PNS13_IS18_E10value_typeET4_jRbjT5_S1E_jjP12ihipStream_tbEUljE_ZNSN_ISO_Lb0ESQ_SR_ST_SU_SY_EESZ_S10_S11_S12_S16_S17_S18_S1B_S1C_jS1D_jS1E_S1E_jjS1G_bEUljE0_EEESZ_S10_S11_S18_S1C_S1E_T6_T7_T9_mT8_S1G_bDpT10_ENKUlT_T0_E_clISt17integral_constantIbLb0EES1T_IbLb1EEEEDaS1P_S1Q_EUlS1P_E_NS1_11comp_targetILNS1_3genE3ELNS1_11target_archE908ELNS1_3gpuE7ELNS1_3repE0EEENS1_30default_config_static_selectorELNS0_4arch9wavefront6targetE0EEEvS12_.has_recursion, 0
	.set _ZN7rocprim17ROCPRIM_400000_NS6detail17trampoline_kernelINS0_13select_configILj256ELj13ELNS0_17block_load_methodE3ELS4_3ELS4_3ELNS0_20block_scan_algorithmE0ELj4294967295EEENS1_25partition_config_selectorILNS1_17partition_subalgoE4EjNS0_10empty_typeEbEEZZNS1_14partition_implILS8_4ELb0ES6_15HIP_vector_typeIjLj2EENS0_17counting_iteratorIjlEEPS9_SG_NS0_5tupleIJPjSI_NS0_16reverse_iteratorISI_EEEEENSH_IJSG_SG_SG_EEES9_SI_JZNS1_25segmented_radix_sort_implINS0_14default_configELb0EPKiPiPKlPlN2at6native12_GLOBAL__N_18offset_tEEE10hipError_tPvRmT1_PNSt15iterator_traitsIS12_E10value_typeET2_T3_PNS13_IS18_E10value_typeET4_jRbjT5_S1E_jjP12ihipStream_tbEUljE_ZNSN_ISO_Lb0ESQ_SR_ST_SU_SY_EESZ_S10_S11_S12_S16_S17_S18_S1B_S1C_jS1D_jS1E_S1E_jjS1G_bEUljE0_EEESZ_S10_S11_S18_S1C_S1E_T6_T7_T9_mT8_S1G_bDpT10_ENKUlT_T0_E_clISt17integral_constantIbLb0EES1T_IbLb1EEEEDaS1P_S1Q_EUlS1P_E_NS1_11comp_targetILNS1_3genE3ELNS1_11target_archE908ELNS1_3gpuE7ELNS1_3repE0EEENS1_30default_config_static_selectorELNS0_4arch9wavefront6targetE0EEEvS12_.has_indirect_call, 0
	.section	.AMDGPU.csdata,"",@progbits
; Kernel info:
; codeLenInByte = 0
; TotalNumSgprs: 0
; NumVgprs: 0
; ScratchSize: 0
; MemoryBound: 0
; FloatMode: 240
; IeeeMode: 1
; LDSByteSize: 0 bytes/workgroup (compile time only)
; SGPRBlocks: 0
; VGPRBlocks: 0
; NumSGPRsForWavesPerEU: 1
; NumVGPRsForWavesPerEU: 1
; Occupancy: 16
; WaveLimiterHint : 0
; COMPUTE_PGM_RSRC2:SCRATCH_EN: 0
; COMPUTE_PGM_RSRC2:USER_SGPR: 6
; COMPUTE_PGM_RSRC2:TRAP_HANDLER: 0
; COMPUTE_PGM_RSRC2:TGID_X_EN: 1
; COMPUTE_PGM_RSRC2:TGID_Y_EN: 0
; COMPUTE_PGM_RSRC2:TGID_Z_EN: 0
; COMPUTE_PGM_RSRC2:TIDIG_COMP_CNT: 0
	.section	.text._ZN7rocprim17ROCPRIM_400000_NS6detail17trampoline_kernelINS0_13select_configILj256ELj13ELNS0_17block_load_methodE3ELS4_3ELS4_3ELNS0_20block_scan_algorithmE0ELj4294967295EEENS1_25partition_config_selectorILNS1_17partition_subalgoE4EjNS0_10empty_typeEbEEZZNS1_14partition_implILS8_4ELb0ES6_15HIP_vector_typeIjLj2EENS0_17counting_iteratorIjlEEPS9_SG_NS0_5tupleIJPjSI_NS0_16reverse_iteratorISI_EEEEENSH_IJSG_SG_SG_EEES9_SI_JZNS1_25segmented_radix_sort_implINS0_14default_configELb0EPKiPiPKlPlN2at6native12_GLOBAL__N_18offset_tEEE10hipError_tPvRmT1_PNSt15iterator_traitsIS12_E10value_typeET2_T3_PNS13_IS18_E10value_typeET4_jRbjT5_S1E_jjP12ihipStream_tbEUljE_ZNSN_ISO_Lb0ESQ_SR_ST_SU_SY_EESZ_S10_S11_S12_S16_S17_S18_S1B_S1C_jS1D_jS1E_S1E_jjS1G_bEUljE0_EEESZ_S10_S11_S18_S1C_S1E_T6_T7_T9_mT8_S1G_bDpT10_ENKUlT_T0_E_clISt17integral_constantIbLb0EES1T_IbLb1EEEEDaS1P_S1Q_EUlS1P_E_NS1_11comp_targetILNS1_3genE2ELNS1_11target_archE906ELNS1_3gpuE6ELNS1_3repE0EEENS1_30default_config_static_selectorELNS0_4arch9wavefront6targetE0EEEvS12_,"axG",@progbits,_ZN7rocprim17ROCPRIM_400000_NS6detail17trampoline_kernelINS0_13select_configILj256ELj13ELNS0_17block_load_methodE3ELS4_3ELS4_3ELNS0_20block_scan_algorithmE0ELj4294967295EEENS1_25partition_config_selectorILNS1_17partition_subalgoE4EjNS0_10empty_typeEbEEZZNS1_14partition_implILS8_4ELb0ES6_15HIP_vector_typeIjLj2EENS0_17counting_iteratorIjlEEPS9_SG_NS0_5tupleIJPjSI_NS0_16reverse_iteratorISI_EEEEENSH_IJSG_SG_SG_EEES9_SI_JZNS1_25segmented_radix_sort_implINS0_14default_configELb0EPKiPiPKlPlN2at6native12_GLOBAL__N_18offset_tEEE10hipError_tPvRmT1_PNSt15iterator_traitsIS12_E10value_typeET2_T3_PNS13_IS18_E10value_typeET4_jRbjT5_S1E_jjP12ihipStream_tbEUljE_ZNSN_ISO_Lb0ESQ_SR_ST_SU_SY_EESZ_S10_S11_S12_S16_S17_S18_S1B_S1C_jS1D_jS1E_S1E_jjS1G_bEUljE0_EEESZ_S10_S11_S18_S1C_S1E_T6_T7_T9_mT8_S1G_bDpT10_ENKUlT_T0_E_clISt17integral_constantIbLb0EES1T_IbLb1EEEEDaS1P_S1Q_EUlS1P_E_NS1_11comp_targetILNS1_3genE2ELNS1_11target_archE906ELNS1_3gpuE6ELNS1_3repE0EEENS1_30default_config_static_selectorELNS0_4arch9wavefront6targetE0EEEvS12_,comdat
	.globl	_ZN7rocprim17ROCPRIM_400000_NS6detail17trampoline_kernelINS0_13select_configILj256ELj13ELNS0_17block_load_methodE3ELS4_3ELS4_3ELNS0_20block_scan_algorithmE0ELj4294967295EEENS1_25partition_config_selectorILNS1_17partition_subalgoE4EjNS0_10empty_typeEbEEZZNS1_14partition_implILS8_4ELb0ES6_15HIP_vector_typeIjLj2EENS0_17counting_iteratorIjlEEPS9_SG_NS0_5tupleIJPjSI_NS0_16reverse_iteratorISI_EEEEENSH_IJSG_SG_SG_EEES9_SI_JZNS1_25segmented_radix_sort_implINS0_14default_configELb0EPKiPiPKlPlN2at6native12_GLOBAL__N_18offset_tEEE10hipError_tPvRmT1_PNSt15iterator_traitsIS12_E10value_typeET2_T3_PNS13_IS18_E10value_typeET4_jRbjT5_S1E_jjP12ihipStream_tbEUljE_ZNSN_ISO_Lb0ESQ_SR_ST_SU_SY_EESZ_S10_S11_S12_S16_S17_S18_S1B_S1C_jS1D_jS1E_S1E_jjS1G_bEUljE0_EEESZ_S10_S11_S18_S1C_S1E_T6_T7_T9_mT8_S1G_bDpT10_ENKUlT_T0_E_clISt17integral_constantIbLb0EES1T_IbLb1EEEEDaS1P_S1Q_EUlS1P_E_NS1_11comp_targetILNS1_3genE2ELNS1_11target_archE906ELNS1_3gpuE6ELNS1_3repE0EEENS1_30default_config_static_selectorELNS0_4arch9wavefront6targetE0EEEvS12_ ; -- Begin function _ZN7rocprim17ROCPRIM_400000_NS6detail17trampoline_kernelINS0_13select_configILj256ELj13ELNS0_17block_load_methodE3ELS4_3ELS4_3ELNS0_20block_scan_algorithmE0ELj4294967295EEENS1_25partition_config_selectorILNS1_17partition_subalgoE4EjNS0_10empty_typeEbEEZZNS1_14partition_implILS8_4ELb0ES6_15HIP_vector_typeIjLj2EENS0_17counting_iteratorIjlEEPS9_SG_NS0_5tupleIJPjSI_NS0_16reverse_iteratorISI_EEEEENSH_IJSG_SG_SG_EEES9_SI_JZNS1_25segmented_radix_sort_implINS0_14default_configELb0EPKiPiPKlPlN2at6native12_GLOBAL__N_18offset_tEEE10hipError_tPvRmT1_PNSt15iterator_traitsIS12_E10value_typeET2_T3_PNS13_IS18_E10value_typeET4_jRbjT5_S1E_jjP12ihipStream_tbEUljE_ZNSN_ISO_Lb0ESQ_SR_ST_SU_SY_EESZ_S10_S11_S12_S16_S17_S18_S1B_S1C_jS1D_jS1E_S1E_jjS1G_bEUljE0_EEESZ_S10_S11_S18_S1C_S1E_T6_T7_T9_mT8_S1G_bDpT10_ENKUlT_T0_E_clISt17integral_constantIbLb0EES1T_IbLb1EEEEDaS1P_S1Q_EUlS1P_E_NS1_11comp_targetILNS1_3genE2ELNS1_11target_archE906ELNS1_3gpuE6ELNS1_3repE0EEENS1_30default_config_static_selectorELNS0_4arch9wavefront6targetE0EEEvS12_
	.p2align	8
	.type	_ZN7rocprim17ROCPRIM_400000_NS6detail17trampoline_kernelINS0_13select_configILj256ELj13ELNS0_17block_load_methodE3ELS4_3ELS4_3ELNS0_20block_scan_algorithmE0ELj4294967295EEENS1_25partition_config_selectorILNS1_17partition_subalgoE4EjNS0_10empty_typeEbEEZZNS1_14partition_implILS8_4ELb0ES6_15HIP_vector_typeIjLj2EENS0_17counting_iteratorIjlEEPS9_SG_NS0_5tupleIJPjSI_NS0_16reverse_iteratorISI_EEEEENSH_IJSG_SG_SG_EEES9_SI_JZNS1_25segmented_radix_sort_implINS0_14default_configELb0EPKiPiPKlPlN2at6native12_GLOBAL__N_18offset_tEEE10hipError_tPvRmT1_PNSt15iterator_traitsIS12_E10value_typeET2_T3_PNS13_IS18_E10value_typeET4_jRbjT5_S1E_jjP12ihipStream_tbEUljE_ZNSN_ISO_Lb0ESQ_SR_ST_SU_SY_EESZ_S10_S11_S12_S16_S17_S18_S1B_S1C_jS1D_jS1E_S1E_jjS1G_bEUljE0_EEESZ_S10_S11_S18_S1C_S1E_T6_T7_T9_mT8_S1G_bDpT10_ENKUlT_T0_E_clISt17integral_constantIbLb0EES1T_IbLb1EEEEDaS1P_S1Q_EUlS1P_E_NS1_11comp_targetILNS1_3genE2ELNS1_11target_archE906ELNS1_3gpuE6ELNS1_3repE0EEENS1_30default_config_static_selectorELNS0_4arch9wavefront6targetE0EEEvS12_,@function
_ZN7rocprim17ROCPRIM_400000_NS6detail17trampoline_kernelINS0_13select_configILj256ELj13ELNS0_17block_load_methodE3ELS4_3ELS4_3ELNS0_20block_scan_algorithmE0ELj4294967295EEENS1_25partition_config_selectorILNS1_17partition_subalgoE4EjNS0_10empty_typeEbEEZZNS1_14partition_implILS8_4ELb0ES6_15HIP_vector_typeIjLj2EENS0_17counting_iteratorIjlEEPS9_SG_NS0_5tupleIJPjSI_NS0_16reverse_iteratorISI_EEEEENSH_IJSG_SG_SG_EEES9_SI_JZNS1_25segmented_radix_sort_implINS0_14default_configELb0EPKiPiPKlPlN2at6native12_GLOBAL__N_18offset_tEEE10hipError_tPvRmT1_PNSt15iterator_traitsIS12_E10value_typeET2_T3_PNS13_IS18_E10value_typeET4_jRbjT5_S1E_jjP12ihipStream_tbEUljE_ZNSN_ISO_Lb0ESQ_SR_ST_SU_SY_EESZ_S10_S11_S12_S16_S17_S18_S1B_S1C_jS1D_jS1E_S1E_jjS1G_bEUljE0_EEESZ_S10_S11_S18_S1C_S1E_T6_T7_T9_mT8_S1G_bDpT10_ENKUlT_T0_E_clISt17integral_constantIbLb0EES1T_IbLb1EEEEDaS1P_S1Q_EUlS1P_E_NS1_11comp_targetILNS1_3genE2ELNS1_11target_archE906ELNS1_3gpuE6ELNS1_3repE0EEENS1_30default_config_static_selectorELNS0_4arch9wavefront6targetE0EEEvS12_: ; @_ZN7rocprim17ROCPRIM_400000_NS6detail17trampoline_kernelINS0_13select_configILj256ELj13ELNS0_17block_load_methodE3ELS4_3ELS4_3ELNS0_20block_scan_algorithmE0ELj4294967295EEENS1_25partition_config_selectorILNS1_17partition_subalgoE4EjNS0_10empty_typeEbEEZZNS1_14partition_implILS8_4ELb0ES6_15HIP_vector_typeIjLj2EENS0_17counting_iteratorIjlEEPS9_SG_NS0_5tupleIJPjSI_NS0_16reverse_iteratorISI_EEEEENSH_IJSG_SG_SG_EEES9_SI_JZNS1_25segmented_radix_sort_implINS0_14default_configELb0EPKiPiPKlPlN2at6native12_GLOBAL__N_18offset_tEEE10hipError_tPvRmT1_PNSt15iterator_traitsIS12_E10value_typeET2_T3_PNS13_IS18_E10value_typeET4_jRbjT5_S1E_jjP12ihipStream_tbEUljE_ZNSN_ISO_Lb0ESQ_SR_ST_SU_SY_EESZ_S10_S11_S12_S16_S17_S18_S1B_S1C_jS1D_jS1E_S1E_jjS1G_bEUljE0_EEESZ_S10_S11_S18_S1C_S1E_T6_T7_T9_mT8_S1G_bDpT10_ENKUlT_T0_E_clISt17integral_constantIbLb0EES1T_IbLb1EEEEDaS1P_S1Q_EUlS1P_E_NS1_11comp_targetILNS1_3genE2ELNS1_11target_archE906ELNS1_3gpuE6ELNS1_3repE0EEENS1_30default_config_static_selectorELNS0_4arch9wavefront6targetE0EEEvS12_
; %bb.0:
	.section	.rodata,"a",@progbits
	.p2align	6, 0x0
	.amdhsa_kernel _ZN7rocprim17ROCPRIM_400000_NS6detail17trampoline_kernelINS0_13select_configILj256ELj13ELNS0_17block_load_methodE3ELS4_3ELS4_3ELNS0_20block_scan_algorithmE0ELj4294967295EEENS1_25partition_config_selectorILNS1_17partition_subalgoE4EjNS0_10empty_typeEbEEZZNS1_14partition_implILS8_4ELb0ES6_15HIP_vector_typeIjLj2EENS0_17counting_iteratorIjlEEPS9_SG_NS0_5tupleIJPjSI_NS0_16reverse_iteratorISI_EEEEENSH_IJSG_SG_SG_EEES9_SI_JZNS1_25segmented_radix_sort_implINS0_14default_configELb0EPKiPiPKlPlN2at6native12_GLOBAL__N_18offset_tEEE10hipError_tPvRmT1_PNSt15iterator_traitsIS12_E10value_typeET2_T3_PNS13_IS18_E10value_typeET4_jRbjT5_S1E_jjP12ihipStream_tbEUljE_ZNSN_ISO_Lb0ESQ_SR_ST_SU_SY_EESZ_S10_S11_S12_S16_S17_S18_S1B_S1C_jS1D_jS1E_S1E_jjS1G_bEUljE0_EEESZ_S10_S11_S18_S1C_S1E_T6_T7_T9_mT8_S1G_bDpT10_ENKUlT_T0_E_clISt17integral_constantIbLb0EES1T_IbLb1EEEEDaS1P_S1Q_EUlS1P_E_NS1_11comp_targetILNS1_3genE2ELNS1_11target_archE906ELNS1_3gpuE6ELNS1_3repE0EEENS1_30default_config_static_selectorELNS0_4arch9wavefront6targetE0EEEvS12_
		.amdhsa_group_segment_fixed_size 0
		.amdhsa_private_segment_fixed_size 0
		.amdhsa_kernarg_size 184
		.amdhsa_user_sgpr_count 6
		.amdhsa_user_sgpr_private_segment_buffer 1
		.amdhsa_user_sgpr_dispatch_ptr 0
		.amdhsa_user_sgpr_queue_ptr 0
		.amdhsa_user_sgpr_kernarg_segment_ptr 1
		.amdhsa_user_sgpr_dispatch_id 0
		.amdhsa_user_sgpr_flat_scratch_init 0
		.amdhsa_user_sgpr_private_segment_size 0
		.amdhsa_wavefront_size32 1
		.amdhsa_uses_dynamic_stack 0
		.amdhsa_system_sgpr_private_segment_wavefront_offset 0
		.amdhsa_system_sgpr_workgroup_id_x 1
		.amdhsa_system_sgpr_workgroup_id_y 0
		.amdhsa_system_sgpr_workgroup_id_z 0
		.amdhsa_system_sgpr_workgroup_info 0
		.amdhsa_system_vgpr_workitem_id 0
		.amdhsa_next_free_vgpr 1
		.amdhsa_next_free_sgpr 1
		.amdhsa_reserve_vcc 0
		.amdhsa_reserve_flat_scratch 0
		.amdhsa_float_round_mode_32 0
		.amdhsa_float_round_mode_16_64 0
		.amdhsa_float_denorm_mode_32 3
		.amdhsa_float_denorm_mode_16_64 3
		.amdhsa_dx10_clamp 1
		.amdhsa_ieee_mode 1
		.amdhsa_fp16_overflow 0
		.amdhsa_workgroup_processor_mode 1
		.amdhsa_memory_ordered 1
		.amdhsa_forward_progress 1
		.amdhsa_shared_vgpr_count 0
		.amdhsa_exception_fp_ieee_invalid_op 0
		.amdhsa_exception_fp_denorm_src 0
		.amdhsa_exception_fp_ieee_div_zero 0
		.amdhsa_exception_fp_ieee_overflow 0
		.amdhsa_exception_fp_ieee_underflow 0
		.amdhsa_exception_fp_ieee_inexact 0
		.amdhsa_exception_int_div_zero 0
	.end_amdhsa_kernel
	.section	.text._ZN7rocprim17ROCPRIM_400000_NS6detail17trampoline_kernelINS0_13select_configILj256ELj13ELNS0_17block_load_methodE3ELS4_3ELS4_3ELNS0_20block_scan_algorithmE0ELj4294967295EEENS1_25partition_config_selectorILNS1_17partition_subalgoE4EjNS0_10empty_typeEbEEZZNS1_14partition_implILS8_4ELb0ES6_15HIP_vector_typeIjLj2EENS0_17counting_iteratorIjlEEPS9_SG_NS0_5tupleIJPjSI_NS0_16reverse_iteratorISI_EEEEENSH_IJSG_SG_SG_EEES9_SI_JZNS1_25segmented_radix_sort_implINS0_14default_configELb0EPKiPiPKlPlN2at6native12_GLOBAL__N_18offset_tEEE10hipError_tPvRmT1_PNSt15iterator_traitsIS12_E10value_typeET2_T3_PNS13_IS18_E10value_typeET4_jRbjT5_S1E_jjP12ihipStream_tbEUljE_ZNSN_ISO_Lb0ESQ_SR_ST_SU_SY_EESZ_S10_S11_S12_S16_S17_S18_S1B_S1C_jS1D_jS1E_S1E_jjS1G_bEUljE0_EEESZ_S10_S11_S18_S1C_S1E_T6_T7_T9_mT8_S1G_bDpT10_ENKUlT_T0_E_clISt17integral_constantIbLb0EES1T_IbLb1EEEEDaS1P_S1Q_EUlS1P_E_NS1_11comp_targetILNS1_3genE2ELNS1_11target_archE906ELNS1_3gpuE6ELNS1_3repE0EEENS1_30default_config_static_selectorELNS0_4arch9wavefront6targetE0EEEvS12_,"axG",@progbits,_ZN7rocprim17ROCPRIM_400000_NS6detail17trampoline_kernelINS0_13select_configILj256ELj13ELNS0_17block_load_methodE3ELS4_3ELS4_3ELNS0_20block_scan_algorithmE0ELj4294967295EEENS1_25partition_config_selectorILNS1_17partition_subalgoE4EjNS0_10empty_typeEbEEZZNS1_14partition_implILS8_4ELb0ES6_15HIP_vector_typeIjLj2EENS0_17counting_iteratorIjlEEPS9_SG_NS0_5tupleIJPjSI_NS0_16reverse_iteratorISI_EEEEENSH_IJSG_SG_SG_EEES9_SI_JZNS1_25segmented_radix_sort_implINS0_14default_configELb0EPKiPiPKlPlN2at6native12_GLOBAL__N_18offset_tEEE10hipError_tPvRmT1_PNSt15iterator_traitsIS12_E10value_typeET2_T3_PNS13_IS18_E10value_typeET4_jRbjT5_S1E_jjP12ihipStream_tbEUljE_ZNSN_ISO_Lb0ESQ_SR_ST_SU_SY_EESZ_S10_S11_S12_S16_S17_S18_S1B_S1C_jS1D_jS1E_S1E_jjS1G_bEUljE0_EEESZ_S10_S11_S18_S1C_S1E_T6_T7_T9_mT8_S1G_bDpT10_ENKUlT_T0_E_clISt17integral_constantIbLb0EES1T_IbLb1EEEEDaS1P_S1Q_EUlS1P_E_NS1_11comp_targetILNS1_3genE2ELNS1_11target_archE906ELNS1_3gpuE6ELNS1_3repE0EEENS1_30default_config_static_selectorELNS0_4arch9wavefront6targetE0EEEvS12_,comdat
.Lfunc_end559:
	.size	_ZN7rocprim17ROCPRIM_400000_NS6detail17trampoline_kernelINS0_13select_configILj256ELj13ELNS0_17block_load_methodE3ELS4_3ELS4_3ELNS0_20block_scan_algorithmE0ELj4294967295EEENS1_25partition_config_selectorILNS1_17partition_subalgoE4EjNS0_10empty_typeEbEEZZNS1_14partition_implILS8_4ELb0ES6_15HIP_vector_typeIjLj2EENS0_17counting_iteratorIjlEEPS9_SG_NS0_5tupleIJPjSI_NS0_16reverse_iteratorISI_EEEEENSH_IJSG_SG_SG_EEES9_SI_JZNS1_25segmented_radix_sort_implINS0_14default_configELb0EPKiPiPKlPlN2at6native12_GLOBAL__N_18offset_tEEE10hipError_tPvRmT1_PNSt15iterator_traitsIS12_E10value_typeET2_T3_PNS13_IS18_E10value_typeET4_jRbjT5_S1E_jjP12ihipStream_tbEUljE_ZNSN_ISO_Lb0ESQ_SR_ST_SU_SY_EESZ_S10_S11_S12_S16_S17_S18_S1B_S1C_jS1D_jS1E_S1E_jjS1G_bEUljE0_EEESZ_S10_S11_S18_S1C_S1E_T6_T7_T9_mT8_S1G_bDpT10_ENKUlT_T0_E_clISt17integral_constantIbLb0EES1T_IbLb1EEEEDaS1P_S1Q_EUlS1P_E_NS1_11comp_targetILNS1_3genE2ELNS1_11target_archE906ELNS1_3gpuE6ELNS1_3repE0EEENS1_30default_config_static_selectorELNS0_4arch9wavefront6targetE0EEEvS12_, .Lfunc_end559-_ZN7rocprim17ROCPRIM_400000_NS6detail17trampoline_kernelINS0_13select_configILj256ELj13ELNS0_17block_load_methodE3ELS4_3ELS4_3ELNS0_20block_scan_algorithmE0ELj4294967295EEENS1_25partition_config_selectorILNS1_17partition_subalgoE4EjNS0_10empty_typeEbEEZZNS1_14partition_implILS8_4ELb0ES6_15HIP_vector_typeIjLj2EENS0_17counting_iteratorIjlEEPS9_SG_NS0_5tupleIJPjSI_NS0_16reverse_iteratorISI_EEEEENSH_IJSG_SG_SG_EEES9_SI_JZNS1_25segmented_radix_sort_implINS0_14default_configELb0EPKiPiPKlPlN2at6native12_GLOBAL__N_18offset_tEEE10hipError_tPvRmT1_PNSt15iterator_traitsIS12_E10value_typeET2_T3_PNS13_IS18_E10value_typeET4_jRbjT5_S1E_jjP12ihipStream_tbEUljE_ZNSN_ISO_Lb0ESQ_SR_ST_SU_SY_EESZ_S10_S11_S12_S16_S17_S18_S1B_S1C_jS1D_jS1E_S1E_jjS1G_bEUljE0_EEESZ_S10_S11_S18_S1C_S1E_T6_T7_T9_mT8_S1G_bDpT10_ENKUlT_T0_E_clISt17integral_constantIbLb0EES1T_IbLb1EEEEDaS1P_S1Q_EUlS1P_E_NS1_11comp_targetILNS1_3genE2ELNS1_11target_archE906ELNS1_3gpuE6ELNS1_3repE0EEENS1_30default_config_static_selectorELNS0_4arch9wavefront6targetE0EEEvS12_
                                        ; -- End function
	.set _ZN7rocprim17ROCPRIM_400000_NS6detail17trampoline_kernelINS0_13select_configILj256ELj13ELNS0_17block_load_methodE3ELS4_3ELS4_3ELNS0_20block_scan_algorithmE0ELj4294967295EEENS1_25partition_config_selectorILNS1_17partition_subalgoE4EjNS0_10empty_typeEbEEZZNS1_14partition_implILS8_4ELb0ES6_15HIP_vector_typeIjLj2EENS0_17counting_iteratorIjlEEPS9_SG_NS0_5tupleIJPjSI_NS0_16reverse_iteratorISI_EEEEENSH_IJSG_SG_SG_EEES9_SI_JZNS1_25segmented_radix_sort_implINS0_14default_configELb0EPKiPiPKlPlN2at6native12_GLOBAL__N_18offset_tEEE10hipError_tPvRmT1_PNSt15iterator_traitsIS12_E10value_typeET2_T3_PNS13_IS18_E10value_typeET4_jRbjT5_S1E_jjP12ihipStream_tbEUljE_ZNSN_ISO_Lb0ESQ_SR_ST_SU_SY_EESZ_S10_S11_S12_S16_S17_S18_S1B_S1C_jS1D_jS1E_S1E_jjS1G_bEUljE0_EEESZ_S10_S11_S18_S1C_S1E_T6_T7_T9_mT8_S1G_bDpT10_ENKUlT_T0_E_clISt17integral_constantIbLb0EES1T_IbLb1EEEEDaS1P_S1Q_EUlS1P_E_NS1_11comp_targetILNS1_3genE2ELNS1_11target_archE906ELNS1_3gpuE6ELNS1_3repE0EEENS1_30default_config_static_selectorELNS0_4arch9wavefront6targetE0EEEvS12_.num_vgpr, 0
	.set _ZN7rocprim17ROCPRIM_400000_NS6detail17trampoline_kernelINS0_13select_configILj256ELj13ELNS0_17block_load_methodE3ELS4_3ELS4_3ELNS0_20block_scan_algorithmE0ELj4294967295EEENS1_25partition_config_selectorILNS1_17partition_subalgoE4EjNS0_10empty_typeEbEEZZNS1_14partition_implILS8_4ELb0ES6_15HIP_vector_typeIjLj2EENS0_17counting_iteratorIjlEEPS9_SG_NS0_5tupleIJPjSI_NS0_16reverse_iteratorISI_EEEEENSH_IJSG_SG_SG_EEES9_SI_JZNS1_25segmented_radix_sort_implINS0_14default_configELb0EPKiPiPKlPlN2at6native12_GLOBAL__N_18offset_tEEE10hipError_tPvRmT1_PNSt15iterator_traitsIS12_E10value_typeET2_T3_PNS13_IS18_E10value_typeET4_jRbjT5_S1E_jjP12ihipStream_tbEUljE_ZNSN_ISO_Lb0ESQ_SR_ST_SU_SY_EESZ_S10_S11_S12_S16_S17_S18_S1B_S1C_jS1D_jS1E_S1E_jjS1G_bEUljE0_EEESZ_S10_S11_S18_S1C_S1E_T6_T7_T9_mT8_S1G_bDpT10_ENKUlT_T0_E_clISt17integral_constantIbLb0EES1T_IbLb1EEEEDaS1P_S1Q_EUlS1P_E_NS1_11comp_targetILNS1_3genE2ELNS1_11target_archE906ELNS1_3gpuE6ELNS1_3repE0EEENS1_30default_config_static_selectorELNS0_4arch9wavefront6targetE0EEEvS12_.num_agpr, 0
	.set _ZN7rocprim17ROCPRIM_400000_NS6detail17trampoline_kernelINS0_13select_configILj256ELj13ELNS0_17block_load_methodE3ELS4_3ELS4_3ELNS0_20block_scan_algorithmE0ELj4294967295EEENS1_25partition_config_selectorILNS1_17partition_subalgoE4EjNS0_10empty_typeEbEEZZNS1_14partition_implILS8_4ELb0ES6_15HIP_vector_typeIjLj2EENS0_17counting_iteratorIjlEEPS9_SG_NS0_5tupleIJPjSI_NS0_16reverse_iteratorISI_EEEEENSH_IJSG_SG_SG_EEES9_SI_JZNS1_25segmented_radix_sort_implINS0_14default_configELb0EPKiPiPKlPlN2at6native12_GLOBAL__N_18offset_tEEE10hipError_tPvRmT1_PNSt15iterator_traitsIS12_E10value_typeET2_T3_PNS13_IS18_E10value_typeET4_jRbjT5_S1E_jjP12ihipStream_tbEUljE_ZNSN_ISO_Lb0ESQ_SR_ST_SU_SY_EESZ_S10_S11_S12_S16_S17_S18_S1B_S1C_jS1D_jS1E_S1E_jjS1G_bEUljE0_EEESZ_S10_S11_S18_S1C_S1E_T6_T7_T9_mT8_S1G_bDpT10_ENKUlT_T0_E_clISt17integral_constantIbLb0EES1T_IbLb1EEEEDaS1P_S1Q_EUlS1P_E_NS1_11comp_targetILNS1_3genE2ELNS1_11target_archE906ELNS1_3gpuE6ELNS1_3repE0EEENS1_30default_config_static_selectorELNS0_4arch9wavefront6targetE0EEEvS12_.numbered_sgpr, 0
	.set _ZN7rocprim17ROCPRIM_400000_NS6detail17trampoline_kernelINS0_13select_configILj256ELj13ELNS0_17block_load_methodE3ELS4_3ELS4_3ELNS0_20block_scan_algorithmE0ELj4294967295EEENS1_25partition_config_selectorILNS1_17partition_subalgoE4EjNS0_10empty_typeEbEEZZNS1_14partition_implILS8_4ELb0ES6_15HIP_vector_typeIjLj2EENS0_17counting_iteratorIjlEEPS9_SG_NS0_5tupleIJPjSI_NS0_16reverse_iteratorISI_EEEEENSH_IJSG_SG_SG_EEES9_SI_JZNS1_25segmented_radix_sort_implINS0_14default_configELb0EPKiPiPKlPlN2at6native12_GLOBAL__N_18offset_tEEE10hipError_tPvRmT1_PNSt15iterator_traitsIS12_E10value_typeET2_T3_PNS13_IS18_E10value_typeET4_jRbjT5_S1E_jjP12ihipStream_tbEUljE_ZNSN_ISO_Lb0ESQ_SR_ST_SU_SY_EESZ_S10_S11_S12_S16_S17_S18_S1B_S1C_jS1D_jS1E_S1E_jjS1G_bEUljE0_EEESZ_S10_S11_S18_S1C_S1E_T6_T7_T9_mT8_S1G_bDpT10_ENKUlT_T0_E_clISt17integral_constantIbLb0EES1T_IbLb1EEEEDaS1P_S1Q_EUlS1P_E_NS1_11comp_targetILNS1_3genE2ELNS1_11target_archE906ELNS1_3gpuE6ELNS1_3repE0EEENS1_30default_config_static_selectorELNS0_4arch9wavefront6targetE0EEEvS12_.num_named_barrier, 0
	.set _ZN7rocprim17ROCPRIM_400000_NS6detail17trampoline_kernelINS0_13select_configILj256ELj13ELNS0_17block_load_methodE3ELS4_3ELS4_3ELNS0_20block_scan_algorithmE0ELj4294967295EEENS1_25partition_config_selectorILNS1_17partition_subalgoE4EjNS0_10empty_typeEbEEZZNS1_14partition_implILS8_4ELb0ES6_15HIP_vector_typeIjLj2EENS0_17counting_iteratorIjlEEPS9_SG_NS0_5tupleIJPjSI_NS0_16reverse_iteratorISI_EEEEENSH_IJSG_SG_SG_EEES9_SI_JZNS1_25segmented_radix_sort_implINS0_14default_configELb0EPKiPiPKlPlN2at6native12_GLOBAL__N_18offset_tEEE10hipError_tPvRmT1_PNSt15iterator_traitsIS12_E10value_typeET2_T3_PNS13_IS18_E10value_typeET4_jRbjT5_S1E_jjP12ihipStream_tbEUljE_ZNSN_ISO_Lb0ESQ_SR_ST_SU_SY_EESZ_S10_S11_S12_S16_S17_S18_S1B_S1C_jS1D_jS1E_S1E_jjS1G_bEUljE0_EEESZ_S10_S11_S18_S1C_S1E_T6_T7_T9_mT8_S1G_bDpT10_ENKUlT_T0_E_clISt17integral_constantIbLb0EES1T_IbLb1EEEEDaS1P_S1Q_EUlS1P_E_NS1_11comp_targetILNS1_3genE2ELNS1_11target_archE906ELNS1_3gpuE6ELNS1_3repE0EEENS1_30default_config_static_selectorELNS0_4arch9wavefront6targetE0EEEvS12_.private_seg_size, 0
	.set _ZN7rocprim17ROCPRIM_400000_NS6detail17trampoline_kernelINS0_13select_configILj256ELj13ELNS0_17block_load_methodE3ELS4_3ELS4_3ELNS0_20block_scan_algorithmE0ELj4294967295EEENS1_25partition_config_selectorILNS1_17partition_subalgoE4EjNS0_10empty_typeEbEEZZNS1_14partition_implILS8_4ELb0ES6_15HIP_vector_typeIjLj2EENS0_17counting_iteratorIjlEEPS9_SG_NS0_5tupleIJPjSI_NS0_16reverse_iteratorISI_EEEEENSH_IJSG_SG_SG_EEES9_SI_JZNS1_25segmented_radix_sort_implINS0_14default_configELb0EPKiPiPKlPlN2at6native12_GLOBAL__N_18offset_tEEE10hipError_tPvRmT1_PNSt15iterator_traitsIS12_E10value_typeET2_T3_PNS13_IS18_E10value_typeET4_jRbjT5_S1E_jjP12ihipStream_tbEUljE_ZNSN_ISO_Lb0ESQ_SR_ST_SU_SY_EESZ_S10_S11_S12_S16_S17_S18_S1B_S1C_jS1D_jS1E_S1E_jjS1G_bEUljE0_EEESZ_S10_S11_S18_S1C_S1E_T6_T7_T9_mT8_S1G_bDpT10_ENKUlT_T0_E_clISt17integral_constantIbLb0EES1T_IbLb1EEEEDaS1P_S1Q_EUlS1P_E_NS1_11comp_targetILNS1_3genE2ELNS1_11target_archE906ELNS1_3gpuE6ELNS1_3repE0EEENS1_30default_config_static_selectorELNS0_4arch9wavefront6targetE0EEEvS12_.uses_vcc, 0
	.set _ZN7rocprim17ROCPRIM_400000_NS6detail17trampoline_kernelINS0_13select_configILj256ELj13ELNS0_17block_load_methodE3ELS4_3ELS4_3ELNS0_20block_scan_algorithmE0ELj4294967295EEENS1_25partition_config_selectorILNS1_17partition_subalgoE4EjNS0_10empty_typeEbEEZZNS1_14partition_implILS8_4ELb0ES6_15HIP_vector_typeIjLj2EENS0_17counting_iteratorIjlEEPS9_SG_NS0_5tupleIJPjSI_NS0_16reverse_iteratorISI_EEEEENSH_IJSG_SG_SG_EEES9_SI_JZNS1_25segmented_radix_sort_implINS0_14default_configELb0EPKiPiPKlPlN2at6native12_GLOBAL__N_18offset_tEEE10hipError_tPvRmT1_PNSt15iterator_traitsIS12_E10value_typeET2_T3_PNS13_IS18_E10value_typeET4_jRbjT5_S1E_jjP12ihipStream_tbEUljE_ZNSN_ISO_Lb0ESQ_SR_ST_SU_SY_EESZ_S10_S11_S12_S16_S17_S18_S1B_S1C_jS1D_jS1E_S1E_jjS1G_bEUljE0_EEESZ_S10_S11_S18_S1C_S1E_T6_T7_T9_mT8_S1G_bDpT10_ENKUlT_T0_E_clISt17integral_constantIbLb0EES1T_IbLb1EEEEDaS1P_S1Q_EUlS1P_E_NS1_11comp_targetILNS1_3genE2ELNS1_11target_archE906ELNS1_3gpuE6ELNS1_3repE0EEENS1_30default_config_static_selectorELNS0_4arch9wavefront6targetE0EEEvS12_.uses_flat_scratch, 0
	.set _ZN7rocprim17ROCPRIM_400000_NS6detail17trampoline_kernelINS0_13select_configILj256ELj13ELNS0_17block_load_methodE3ELS4_3ELS4_3ELNS0_20block_scan_algorithmE0ELj4294967295EEENS1_25partition_config_selectorILNS1_17partition_subalgoE4EjNS0_10empty_typeEbEEZZNS1_14partition_implILS8_4ELb0ES6_15HIP_vector_typeIjLj2EENS0_17counting_iteratorIjlEEPS9_SG_NS0_5tupleIJPjSI_NS0_16reverse_iteratorISI_EEEEENSH_IJSG_SG_SG_EEES9_SI_JZNS1_25segmented_radix_sort_implINS0_14default_configELb0EPKiPiPKlPlN2at6native12_GLOBAL__N_18offset_tEEE10hipError_tPvRmT1_PNSt15iterator_traitsIS12_E10value_typeET2_T3_PNS13_IS18_E10value_typeET4_jRbjT5_S1E_jjP12ihipStream_tbEUljE_ZNSN_ISO_Lb0ESQ_SR_ST_SU_SY_EESZ_S10_S11_S12_S16_S17_S18_S1B_S1C_jS1D_jS1E_S1E_jjS1G_bEUljE0_EEESZ_S10_S11_S18_S1C_S1E_T6_T7_T9_mT8_S1G_bDpT10_ENKUlT_T0_E_clISt17integral_constantIbLb0EES1T_IbLb1EEEEDaS1P_S1Q_EUlS1P_E_NS1_11comp_targetILNS1_3genE2ELNS1_11target_archE906ELNS1_3gpuE6ELNS1_3repE0EEENS1_30default_config_static_selectorELNS0_4arch9wavefront6targetE0EEEvS12_.has_dyn_sized_stack, 0
	.set _ZN7rocprim17ROCPRIM_400000_NS6detail17trampoline_kernelINS0_13select_configILj256ELj13ELNS0_17block_load_methodE3ELS4_3ELS4_3ELNS0_20block_scan_algorithmE0ELj4294967295EEENS1_25partition_config_selectorILNS1_17partition_subalgoE4EjNS0_10empty_typeEbEEZZNS1_14partition_implILS8_4ELb0ES6_15HIP_vector_typeIjLj2EENS0_17counting_iteratorIjlEEPS9_SG_NS0_5tupleIJPjSI_NS0_16reverse_iteratorISI_EEEEENSH_IJSG_SG_SG_EEES9_SI_JZNS1_25segmented_radix_sort_implINS0_14default_configELb0EPKiPiPKlPlN2at6native12_GLOBAL__N_18offset_tEEE10hipError_tPvRmT1_PNSt15iterator_traitsIS12_E10value_typeET2_T3_PNS13_IS18_E10value_typeET4_jRbjT5_S1E_jjP12ihipStream_tbEUljE_ZNSN_ISO_Lb0ESQ_SR_ST_SU_SY_EESZ_S10_S11_S12_S16_S17_S18_S1B_S1C_jS1D_jS1E_S1E_jjS1G_bEUljE0_EEESZ_S10_S11_S18_S1C_S1E_T6_T7_T9_mT8_S1G_bDpT10_ENKUlT_T0_E_clISt17integral_constantIbLb0EES1T_IbLb1EEEEDaS1P_S1Q_EUlS1P_E_NS1_11comp_targetILNS1_3genE2ELNS1_11target_archE906ELNS1_3gpuE6ELNS1_3repE0EEENS1_30default_config_static_selectorELNS0_4arch9wavefront6targetE0EEEvS12_.has_recursion, 0
	.set _ZN7rocprim17ROCPRIM_400000_NS6detail17trampoline_kernelINS0_13select_configILj256ELj13ELNS0_17block_load_methodE3ELS4_3ELS4_3ELNS0_20block_scan_algorithmE0ELj4294967295EEENS1_25partition_config_selectorILNS1_17partition_subalgoE4EjNS0_10empty_typeEbEEZZNS1_14partition_implILS8_4ELb0ES6_15HIP_vector_typeIjLj2EENS0_17counting_iteratorIjlEEPS9_SG_NS0_5tupleIJPjSI_NS0_16reverse_iteratorISI_EEEEENSH_IJSG_SG_SG_EEES9_SI_JZNS1_25segmented_radix_sort_implINS0_14default_configELb0EPKiPiPKlPlN2at6native12_GLOBAL__N_18offset_tEEE10hipError_tPvRmT1_PNSt15iterator_traitsIS12_E10value_typeET2_T3_PNS13_IS18_E10value_typeET4_jRbjT5_S1E_jjP12ihipStream_tbEUljE_ZNSN_ISO_Lb0ESQ_SR_ST_SU_SY_EESZ_S10_S11_S12_S16_S17_S18_S1B_S1C_jS1D_jS1E_S1E_jjS1G_bEUljE0_EEESZ_S10_S11_S18_S1C_S1E_T6_T7_T9_mT8_S1G_bDpT10_ENKUlT_T0_E_clISt17integral_constantIbLb0EES1T_IbLb1EEEEDaS1P_S1Q_EUlS1P_E_NS1_11comp_targetILNS1_3genE2ELNS1_11target_archE906ELNS1_3gpuE6ELNS1_3repE0EEENS1_30default_config_static_selectorELNS0_4arch9wavefront6targetE0EEEvS12_.has_indirect_call, 0
	.section	.AMDGPU.csdata,"",@progbits
; Kernel info:
; codeLenInByte = 0
; TotalNumSgprs: 0
; NumVgprs: 0
; ScratchSize: 0
; MemoryBound: 0
; FloatMode: 240
; IeeeMode: 1
; LDSByteSize: 0 bytes/workgroup (compile time only)
; SGPRBlocks: 0
; VGPRBlocks: 0
; NumSGPRsForWavesPerEU: 1
; NumVGPRsForWavesPerEU: 1
; Occupancy: 16
; WaveLimiterHint : 0
; COMPUTE_PGM_RSRC2:SCRATCH_EN: 0
; COMPUTE_PGM_RSRC2:USER_SGPR: 6
; COMPUTE_PGM_RSRC2:TRAP_HANDLER: 0
; COMPUTE_PGM_RSRC2:TGID_X_EN: 1
; COMPUTE_PGM_RSRC2:TGID_Y_EN: 0
; COMPUTE_PGM_RSRC2:TGID_Z_EN: 0
; COMPUTE_PGM_RSRC2:TIDIG_COMP_CNT: 0
	.section	.text._ZN7rocprim17ROCPRIM_400000_NS6detail17trampoline_kernelINS0_13select_configILj256ELj13ELNS0_17block_load_methodE3ELS4_3ELS4_3ELNS0_20block_scan_algorithmE0ELj4294967295EEENS1_25partition_config_selectorILNS1_17partition_subalgoE4EjNS0_10empty_typeEbEEZZNS1_14partition_implILS8_4ELb0ES6_15HIP_vector_typeIjLj2EENS0_17counting_iteratorIjlEEPS9_SG_NS0_5tupleIJPjSI_NS0_16reverse_iteratorISI_EEEEENSH_IJSG_SG_SG_EEES9_SI_JZNS1_25segmented_radix_sort_implINS0_14default_configELb0EPKiPiPKlPlN2at6native12_GLOBAL__N_18offset_tEEE10hipError_tPvRmT1_PNSt15iterator_traitsIS12_E10value_typeET2_T3_PNS13_IS18_E10value_typeET4_jRbjT5_S1E_jjP12ihipStream_tbEUljE_ZNSN_ISO_Lb0ESQ_SR_ST_SU_SY_EESZ_S10_S11_S12_S16_S17_S18_S1B_S1C_jS1D_jS1E_S1E_jjS1G_bEUljE0_EEESZ_S10_S11_S18_S1C_S1E_T6_T7_T9_mT8_S1G_bDpT10_ENKUlT_T0_E_clISt17integral_constantIbLb0EES1T_IbLb1EEEEDaS1P_S1Q_EUlS1P_E_NS1_11comp_targetILNS1_3genE10ELNS1_11target_archE1200ELNS1_3gpuE4ELNS1_3repE0EEENS1_30default_config_static_selectorELNS0_4arch9wavefront6targetE0EEEvS12_,"axG",@progbits,_ZN7rocprim17ROCPRIM_400000_NS6detail17trampoline_kernelINS0_13select_configILj256ELj13ELNS0_17block_load_methodE3ELS4_3ELS4_3ELNS0_20block_scan_algorithmE0ELj4294967295EEENS1_25partition_config_selectorILNS1_17partition_subalgoE4EjNS0_10empty_typeEbEEZZNS1_14partition_implILS8_4ELb0ES6_15HIP_vector_typeIjLj2EENS0_17counting_iteratorIjlEEPS9_SG_NS0_5tupleIJPjSI_NS0_16reverse_iteratorISI_EEEEENSH_IJSG_SG_SG_EEES9_SI_JZNS1_25segmented_radix_sort_implINS0_14default_configELb0EPKiPiPKlPlN2at6native12_GLOBAL__N_18offset_tEEE10hipError_tPvRmT1_PNSt15iterator_traitsIS12_E10value_typeET2_T3_PNS13_IS18_E10value_typeET4_jRbjT5_S1E_jjP12ihipStream_tbEUljE_ZNSN_ISO_Lb0ESQ_SR_ST_SU_SY_EESZ_S10_S11_S12_S16_S17_S18_S1B_S1C_jS1D_jS1E_S1E_jjS1G_bEUljE0_EEESZ_S10_S11_S18_S1C_S1E_T6_T7_T9_mT8_S1G_bDpT10_ENKUlT_T0_E_clISt17integral_constantIbLb0EES1T_IbLb1EEEEDaS1P_S1Q_EUlS1P_E_NS1_11comp_targetILNS1_3genE10ELNS1_11target_archE1200ELNS1_3gpuE4ELNS1_3repE0EEENS1_30default_config_static_selectorELNS0_4arch9wavefront6targetE0EEEvS12_,comdat
	.globl	_ZN7rocprim17ROCPRIM_400000_NS6detail17trampoline_kernelINS0_13select_configILj256ELj13ELNS0_17block_load_methodE3ELS4_3ELS4_3ELNS0_20block_scan_algorithmE0ELj4294967295EEENS1_25partition_config_selectorILNS1_17partition_subalgoE4EjNS0_10empty_typeEbEEZZNS1_14partition_implILS8_4ELb0ES6_15HIP_vector_typeIjLj2EENS0_17counting_iteratorIjlEEPS9_SG_NS0_5tupleIJPjSI_NS0_16reverse_iteratorISI_EEEEENSH_IJSG_SG_SG_EEES9_SI_JZNS1_25segmented_radix_sort_implINS0_14default_configELb0EPKiPiPKlPlN2at6native12_GLOBAL__N_18offset_tEEE10hipError_tPvRmT1_PNSt15iterator_traitsIS12_E10value_typeET2_T3_PNS13_IS18_E10value_typeET4_jRbjT5_S1E_jjP12ihipStream_tbEUljE_ZNSN_ISO_Lb0ESQ_SR_ST_SU_SY_EESZ_S10_S11_S12_S16_S17_S18_S1B_S1C_jS1D_jS1E_S1E_jjS1G_bEUljE0_EEESZ_S10_S11_S18_S1C_S1E_T6_T7_T9_mT8_S1G_bDpT10_ENKUlT_T0_E_clISt17integral_constantIbLb0EES1T_IbLb1EEEEDaS1P_S1Q_EUlS1P_E_NS1_11comp_targetILNS1_3genE10ELNS1_11target_archE1200ELNS1_3gpuE4ELNS1_3repE0EEENS1_30default_config_static_selectorELNS0_4arch9wavefront6targetE0EEEvS12_ ; -- Begin function _ZN7rocprim17ROCPRIM_400000_NS6detail17trampoline_kernelINS0_13select_configILj256ELj13ELNS0_17block_load_methodE3ELS4_3ELS4_3ELNS0_20block_scan_algorithmE0ELj4294967295EEENS1_25partition_config_selectorILNS1_17partition_subalgoE4EjNS0_10empty_typeEbEEZZNS1_14partition_implILS8_4ELb0ES6_15HIP_vector_typeIjLj2EENS0_17counting_iteratorIjlEEPS9_SG_NS0_5tupleIJPjSI_NS0_16reverse_iteratorISI_EEEEENSH_IJSG_SG_SG_EEES9_SI_JZNS1_25segmented_radix_sort_implINS0_14default_configELb0EPKiPiPKlPlN2at6native12_GLOBAL__N_18offset_tEEE10hipError_tPvRmT1_PNSt15iterator_traitsIS12_E10value_typeET2_T3_PNS13_IS18_E10value_typeET4_jRbjT5_S1E_jjP12ihipStream_tbEUljE_ZNSN_ISO_Lb0ESQ_SR_ST_SU_SY_EESZ_S10_S11_S12_S16_S17_S18_S1B_S1C_jS1D_jS1E_S1E_jjS1G_bEUljE0_EEESZ_S10_S11_S18_S1C_S1E_T6_T7_T9_mT8_S1G_bDpT10_ENKUlT_T0_E_clISt17integral_constantIbLb0EES1T_IbLb1EEEEDaS1P_S1Q_EUlS1P_E_NS1_11comp_targetILNS1_3genE10ELNS1_11target_archE1200ELNS1_3gpuE4ELNS1_3repE0EEENS1_30default_config_static_selectorELNS0_4arch9wavefront6targetE0EEEvS12_
	.p2align	8
	.type	_ZN7rocprim17ROCPRIM_400000_NS6detail17trampoline_kernelINS0_13select_configILj256ELj13ELNS0_17block_load_methodE3ELS4_3ELS4_3ELNS0_20block_scan_algorithmE0ELj4294967295EEENS1_25partition_config_selectorILNS1_17partition_subalgoE4EjNS0_10empty_typeEbEEZZNS1_14partition_implILS8_4ELb0ES6_15HIP_vector_typeIjLj2EENS0_17counting_iteratorIjlEEPS9_SG_NS0_5tupleIJPjSI_NS0_16reverse_iteratorISI_EEEEENSH_IJSG_SG_SG_EEES9_SI_JZNS1_25segmented_radix_sort_implINS0_14default_configELb0EPKiPiPKlPlN2at6native12_GLOBAL__N_18offset_tEEE10hipError_tPvRmT1_PNSt15iterator_traitsIS12_E10value_typeET2_T3_PNS13_IS18_E10value_typeET4_jRbjT5_S1E_jjP12ihipStream_tbEUljE_ZNSN_ISO_Lb0ESQ_SR_ST_SU_SY_EESZ_S10_S11_S12_S16_S17_S18_S1B_S1C_jS1D_jS1E_S1E_jjS1G_bEUljE0_EEESZ_S10_S11_S18_S1C_S1E_T6_T7_T9_mT8_S1G_bDpT10_ENKUlT_T0_E_clISt17integral_constantIbLb0EES1T_IbLb1EEEEDaS1P_S1Q_EUlS1P_E_NS1_11comp_targetILNS1_3genE10ELNS1_11target_archE1200ELNS1_3gpuE4ELNS1_3repE0EEENS1_30default_config_static_selectorELNS0_4arch9wavefront6targetE0EEEvS12_,@function
_ZN7rocprim17ROCPRIM_400000_NS6detail17trampoline_kernelINS0_13select_configILj256ELj13ELNS0_17block_load_methodE3ELS4_3ELS4_3ELNS0_20block_scan_algorithmE0ELj4294967295EEENS1_25partition_config_selectorILNS1_17partition_subalgoE4EjNS0_10empty_typeEbEEZZNS1_14partition_implILS8_4ELb0ES6_15HIP_vector_typeIjLj2EENS0_17counting_iteratorIjlEEPS9_SG_NS0_5tupleIJPjSI_NS0_16reverse_iteratorISI_EEEEENSH_IJSG_SG_SG_EEES9_SI_JZNS1_25segmented_radix_sort_implINS0_14default_configELb0EPKiPiPKlPlN2at6native12_GLOBAL__N_18offset_tEEE10hipError_tPvRmT1_PNSt15iterator_traitsIS12_E10value_typeET2_T3_PNS13_IS18_E10value_typeET4_jRbjT5_S1E_jjP12ihipStream_tbEUljE_ZNSN_ISO_Lb0ESQ_SR_ST_SU_SY_EESZ_S10_S11_S12_S16_S17_S18_S1B_S1C_jS1D_jS1E_S1E_jjS1G_bEUljE0_EEESZ_S10_S11_S18_S1C_S1E_T6_T7_T9_mT8_S1G_bDpT10_ENKUlT_T0_E_clISt17integral_constantIbLb0EES1T_IbLb1EEEEDaS1P_S1Q_EUlS1P_E_NS1_11comp_targetILNS1_3genE10ELNS1_11target_archE1200ELNS1_3gpuE4ELNS1_3repE0EEENS1_30default_config_static_selectorELNS0_4arch9wavefront6targetE0EEEvS12_: ; @_ZN7rocprim17ROCPRIM_400000_NS6detail17trampoline_kernelINS0_13select_configILj256ELj13ELNS0_17block_load_methodE3ELS4_3ELS4_3ELNS0_20block_scan_algorithmE0ELj4294967295EEENS1_25partition_config_selectorILNS1_17partition_subalgoE4EjNS0_10empty_typeEbEEZZNS1_14partition_implILS8_4ELb0ES6_15HIP_vector_typeIjLj2EENS0_17counting_iteratorIjlEEPS9_SG_NS0_5tupleIJPjSI_NS0_16reverse_iteratorISI_EEEEENSH_IJSG_SG_SG_EEES9_SI_JZNS1_25segmented_radix_sort_implINS0_14default_configELb0EPKiPiPKlPlN2at6native12_GLOBAL__N_18offset_tEEE10hipError_tPvRmT1_PNSt15iterator_traitsIS12_E10value_typeET2_T3_PNS13_IS18_E10value_typeET4_jRbjT5_S1E_jjP12ihipStream_tbEUljE_ZNSN_ISO_Lb0ESQ_SR_ST_SU_SY_EESZ_S10_S11_S12_S16_S17_S18_S1B_S1C_jS1D_jS1E_S1E_jjS1G_bEUljE0_EEESZ_S10_S11_S18_S1C_S1E_T6_T7_T9_mT8_S1G_bDpT10_ENKUlT_T0_E_clISt17integral_constantIbLb0EES1T_IbLb1EEEEDaS1P_S1Q_EUlS1P_E_NS1_11comp_targetILNS1_3genE10ELNS1_11target_archE1200ELNS1_3gpuE4ELNS1_3repE0EEENS1_30default_config_static_selectorELNS0_4arch9wavefront6targetE0EEEvS12_
; %bb.0:
	.section	.rodata,"a",@progbits
	.p2align	6, 0x0
	.amdhsa_kernel _ZN7rocprim17ROCPRIM_400000_NS6detail17trampoline_kernelINS0_13select_configILj256ELj13ELNS0_17block_load_methodE3ELS4_3ELS4_3ELNS0_20block_scan_algorithmE0ELj4294967295EEENS1_25partition_config_selectorILNS1_17partition_subalgoE4EjNS0_10empty_typeEbEEZZNS1_14partition_implILS8_4ELb0ES6_15HIP_vector_typeIjLj2EENS0_17counting_iteratorIjlEEPS9_SG_NS0_5tupleIJPjSI_NS0_16reverse_iteratorISI_EEEEENSH_IJSG_SG_SG_EEES9_SI_JZNS1_25segmented_radix_sort_implINS0_14default_configELb0EPKiPiPKlPlN2at6native12_GLOBAL__N_18offset_tEEE10hipError_tPvRmT1_PNSt15iterator_traitsIS12_E10value_typeET2_T3_PNS13_IS18_E10value_typeET4_jRbjT5_S1E_jjP12ihipStream_tbEUljE_ZNSN_ISO_Lb0ESQ_SR_ST_SU_SY_EESZ_S10_S11_S12_S16_S17_S18_S1B_S1C_jS1D_jS1E_S1E_jjS1G_bEUljE0_EEESZ_S10_S11_S18_S1C_S1E_T6_T7_T9_mT8_S1G_bDpT10_ENKUlT_T0_E_clISt17integral_constantIbLb0EES1T_IbLb1EEEEDaS1P_S1Q_EUlS1P_E_NS1_11comp_targetILNS1_3genE10ELNS1_11target_archE1200ELNS1_3gpuE4ELNS1_3repE0EEENS1_30default_config_static_selectorELNS0_4arch9wavefront6targetE0EEEvS12_
		.amdhsa_group_segment_fixed_size 0
		.amdhsa_private_segment_fixed_size 0
		.amdhsa_kernarg_size 184
		.amdhsa_user_sgpr_count 6
		.amdhsa_user_sgpr_private_segment_buffer 1
		.amdhsa_user_sgpr_dispatch_ptr 0
		.amdhsa_user_sgpr_queue_ptr 0
		.amdhsa_user_sgpr_kernarg_segment_ptr 1
		.amdhsa_user_sgpr_dispatch_id 0
		.amdhsa_user_sgpr_flat_scratch_init 0
		.amdhsa_user_sgpr_private_segment_size 0
		.amdhsa_wavefront_size32 1
		.amdhsa_uses_dynamic_stack 0
		.amdhsa_system_sgpr_private_segment_wavefront_offset 0
		.amdhsa_system_sgpr_workgroup_id_x 1
		.amdhsa_system_sgpr_workgroup_id_y 0
		.amdhsa_system_sgpr_workgroup_id_z 0
		.amdhsa_system_sgpr_workgroup_info 0
		.amdhsa_system_vgpr_workitem_id 0
		.amdhsa_next_free_vgpr 1
		.amdhsa_next_free_sgpr 1
		.amdhsa_reserve_vcc 0
		.amdhsa_reserve_flat_scratch 0
		.amdhsa_float_round_mode_32 0
		.amdhsa_float_round_mode_16_64 0
		.amdhsa_float_denorm_mode_32 3
		.amdhsa_float_denorm_mode_16_64 3
		.amdhsa_dx10_clamp 1
		.amdhsa_ieee_mode 1
		.amdhsa_fp16_overflow 0
		.amdhsa_workgroup_processor_mode 1
		.amdhsa_memory_ordered 1
		.amdhsa_forward_progress 1
		.amdhsa_shared_vgpr_count 0
		.amdhsa_exception_fp_ieee_invalid_op 0
		.amdhsa_exception_fp_denorm_src 0
		.amdhsa_exception_fp_ieee_div_zero 0
		.amdhsa_exception_fp_ieee_overflow 0
		.amdhsa_exception_fp_ieee_underflow 0
		.amdhsa_exception_fp_ieee_inexact 0
		.amdhsa_exception_int_div_zero 0
	.end_amdhsa_kernel
	.section	.text._ZN7rocprim17ROCPRIM_400000_NS6detail17trampoline_kernelINS0_13select_configILj256ELj13ELNS0_17block_load_methodE3ELS4_3ELS4_3ELNS0_20block_scan_algorithmE0ELj4294967295EEENS1_25partition_config_selectorILNS1_17partition_subalgoE4EjNS0_10empty_typeEbEEZZNS1_14partition_implILS8_4ELb0ES6_15HIP_vector_typeIjLj2EENS0_17counting_iteratorIjlEEPS9_SG_NS0_5tupleIJPjSI_NS0_16reverse_iteratorISI_EEEEENSH_IJSG_SG_SG_EEES9_SI_JZNS1_25segmented_radix_sort_implINS0_14default_configELb0EPKiPiPKlPlN2at6native12_GLOBAL__N_18offset_tEEE10hipError_tPvRmT1_PNSt15iterator_traitsIS12_E10value_typeET2_T3_PNS13_IS18_E10value_typeET4_jRbjT5_S1E_jjP12ihipStream_tbEUljE_ZNSN_ISO_Lb0ESQ_SR_ST_SU_SY_EESZ_S10_S11_S12_S16_S17_S18_S1B_S1C_jS1D_jS1E_S1E_jjS1G_bEUljE0_EEESZ_S10_S11_S18_S1C_S1E_T6_T7_T9_mT8_S1G_bDpT10_ENKUlT_T0_E_clISt17integral_constantIbLb0EES1T_IbLb1EEEEDaS1P_S1Q_EUlS1P_E_NS1_11comp_targetILNS1_3genE10ELNS1_11target_archE1200ELNS1_3gpuE4ELNS1_3repE0EEENS1_30default_config_static_selectorELNS0_4arch9wavefront6targetE0EEEvS12_,"axG",@progbits,_ZN7rocprim17ROCPRIM_400000_NS6detail17trampoline_kernelINS0_13select_configILj256ELj13ELNS0_17block_load_methodE3ELS4_3ELS4_3ELNS0_20block_scan_algorithmE0ELj4294967295EEENS1_25partition_config_selectorILNS1_17partition_subalgoE4EjNS0_10empty_typeEbEEZZNS1_14partition_implILS8_4ELb0ES6_15HIP_vector_typeIjLj2EENS0_17counting_iteratorIjlEEPS9_SG_NS0_5tupleIJPjSI_NS0_16reverse_iteratorISI_EEEEENSH_IJSG_SG_SG_EEES9_SI_JZNS1_25segmented_radix_sort_implINS0_14default_configELb0EPKiPiPKlPlN2at6native12_GLOBAL__N_18offset_tEEE10hipError_tPvRmT1_PNSt15iterator_traitsIS12_E10value_typeET2_T3_PNS13_IS18_E10value_typeET4_jRbjT5_S1E_jjP12ihipStream_tbEUljE_ZNSN_ISO_Lb0ESQ_SR_ST_SU_SY_EESZ_S10_S11_S12_S16_S17_S18_S1B_S1C_jS1D_jS1E_S1E_jjS1G_bEUljE0_EEESZ_S10_S11_S18_S1C_S1E_T6_T7_T9_mT8_S1G_bDpT10_ENKUlT_T0_E_clISt17integral_constantIbLb0EES1T_IbLb1EEEEDaS1P_S1Q_EUlS1P_E_NS1_11comp_targetILNS1_3genE10ELNS1_11target_archE1200ELNS1_3gpuE4ELNS1_3repE0EEENS1_30default_config_static_selectorELNS0_4arch9wavefront6targetE0EEEvS12_,comdat
.Lfunc_end560:
	.size	_ZN7rocprim17ROCPRIM_400000_NS6detail17trampoline_kernelINS0_13select_configILj256ELj13ELNS0_17block_load_methodE3ELS4_3ELS4_3ELNS0_20block_scan_algorithmE0ELj4294967295EEENS1_25partition_config_selectorILNS1_17partition_subalgoE4EjNS0_10empty_typeEbEEZZNS1_14partition_implILS8_4ELb0ES6_15HIP_vector_typeIjLj2EENS0_17counting_iteratorIjlEEPS9_SG_NS0_5tupleIJPjSI_NS0_16reverse_iteratorISI_EEEEENSH_IJSG_SG_SG_EEES9_SI_JZNS1_25segmented_radix_sort_implINS0_14default_configELb0EPKiPiPKlPlN2at6native12_GLOBAL__N_18offset_tEEE10hipError_tPvRmT1_PNSt15iterator_traitsIS12_E10value_typeET2_T3_PNS13_IS18_E10value_typeET4_jRbjT5_S1E_jjP12ihipStream_tbEUljE_ZNSN_ISO_Lb0ESQ_SR_ST_SU_SY_EESZ_S10_S11_S12_S16_S17_S18_S1B_S1C_jS1D_jS1E_S1E_jjS1G_bEUljE0_EEESZ_S10_S11_S18_S1C_S1E_T6_T7_T9_mT8_S1G_bDpT10_ENKUlT_T0_E_clISt17integral_constantIbLb0EES1T_IbLb1EEEEDaS1P_S1Q_EUlS1P_E_NS1_11comp_targetILNS1_3genE10ELNS1_11target_archE1200ELNS1_3gpuE4ELNS1_3repE0EEENS1_30default_config_static_selectorELNS0_4arch9wavefront6targetE0EEEvS12_, .Lfunc_end560-_ZN7rocprim17ROCPRIM_400000_NS6detail17trampoline_kernelINS0_13select_configILj256ELj13ELNS0_17block_load_methodE3ELS4_3ELS4_3ELNS0_20block_scan_algorithmE0ELj4294967295EEENS1_25partition_config_selectorILNS1_17partition_subalgoE4EjNS0_10empty_typeEbEEZZNS1_14partition_implILS8_4ELb0ES6_15HIP_vector_typeIjLj2EENS0_17counting_iteratorIjlEEPS9_SG_NS0_5tupleIJPjSI_NS0_16reverse_iteratorISI_EEEEENSH_IJSG_SG_SG_EEES9_SI_JZNS1_25segmented_radix_sort_implINS0_14default_configELb0EPKiPiPKlPlN2at6native12_GLOBAL__N_18offset_tEEE10hipError_tPvRmT1_PNSt15iterator_traitsIS12_E10value_typeET2_T3_PNS13_IS18_E10value_typeET4_jRbjT5_S1E_jjP12ihipStream_tbEUljE_ZNSN_ISO_Lb0ESQ_SR_ST_SU_SY_EESZ_S10_S11_S12_S16_S17_S18_S1B_S1C_jS1D_jS1E_S1E_jjS1G_bEUljE0_EEESZ_S10_S11_S18_S1C_S1E_T6_T7_T9_mT8_S1G_bDpT10_ENKUlT_T0_E_clISt17integral_constantIbLb0EES1T_IbLb1EEEEDaS1P_S1Q_EUlS1P_E_NS1_11comp_targetILNS1_3genE10ELNS1_11target_archE1200ELNS1_3gpuE4ELNS1_3repE0EEENS1_30default_config_static_selectorELNS0_4arch9wavefront6targetE0EEEvS12_
                                        ; -- End function
	.set _ZN7rocprim17ROCPRIM_400000_NS6detail17trampoline_kernelINS0_13select_configILj256ELj13ELNS0_17block_load_methodE3ELS4_3ELS4_3ELNS0_20block_scan_algorithmE0ELj4294967295EEENS1_25partition_config_selectorILNS1_17partition_subalgoE4EjNS0_10empty_typeEbEEZZNS1_14partition_implILS8_4ELb0ES6_15HIP_vector_typeIjLj2EENS0_17counting_iteratorIjlEEPS9_SG_NS0_5tupleIJPjSI_NS0_16reverse_iteratorISI_EEEEENSH_IJSG_SG_SG_EEES9_SI_JZNS1_25segmented_radix_sort_implINS0_14default_configELb0EPKiPiPKlPlN2at6native12_GLOBAL__N_18offset_tEEE10hipError_tPvRmT1_PNSt15iterator_traitsIS12_E10value_typeET2_T3_PNS13_IS18_E10value_typeET4_jRbjT5_S1E_jjP12ihipStream_tbEUljE_ZNSN_ISO_Lb0ESQ_SR_ST_SU_SY_EESZ_S10_S11_S12_S16_S17_S18_S1B_S1C_jS1D_jS1E_S1E_jjS1G_bEUljE0_EEESZ_S10_S11_S18_S1C_S1E_T6_T7_T9_mT8_S1G_bDpT10_ENKUlT_T0_E_clISt17integral_constantIbLb0EES1T_IbLb1EEEEDaS1P_S1Q_EUlS1P_E_NS1_11comp_targetILNS1_3genE10ELNS1_11target_archE1200ELNS1_3gpuE4ELNS1_3repE0EEENS1_30default_config_static_selectorELNS0_4arch9wavefront6targetE0EEEvS12_.num_vgpr, 0
	.set _ZN7rocprim17ROCPRIM_400000_NS6detail17trampoline_kernelINS0_13select_configILj256ELj13ELNS0_17block_load_methodE3ELS4_3ELS4_3ELNS0_20block_scan_algorithmE0ELj4294967295EEENS1_25partition_config_selectorILNS1_17partition_subalgoE4EjNS0_10empty_typeEbEEZZNS1_14partition_implILS8_4ELb0ES6_15HIP_vector_typeIjLj2EENS0_17counting_iteratorIjlEEPS9_SG_NS0_5tupleIJPjSI_NS0_16reverse_iteratorISI_EEEEENSH_IJSG_SG_SG_EEES9_SI_JZNS1_25segmented_radix_sort_implINS0_14default_configELb0EPKiPiPKlPlN2at6native12_GLOBAL__N_18offset_tEEE10hipError_tPvRmT1_PNSt15iterator_traitsIS12_E10value_typeET2_T3_PNS13_IS18_E10value_typeET4_jRbjT5_S1E_jjP12ihipStream_tbEUljE_ZNSN_ISO_Lb0ESQ_SR_ST_SU_SY_EESZ_S10_S11_S12_S16_S17_S18_S1B_S1C_jS1D_jS1E_S1E_jjS1G_bEUljE0_EEESZ_S10_S11_S18_S1C_S1E_T6_T7_T9_mT8_S1G_bDpT10_ENKUlT_T0_E_clISt17integral_constantIbLb0EES1T_IbLb1EEEEDaS1P_S1Q_EUlS1P_E_NS1_11comp_targetILNS1_3genE10ELNS1_11target_archE1200ELNS1_3gpuE4ELNS1_3repE0EEENS1_30default_config_static_selectorELNS0_4arch9wavefront6targetE0EEEvS12_.num_agpr, 0
	.set _ZN7rocprim17ROCPRIM_400000_NS6detail17trampoline_kernelINS0_13select_configILj256ELj13ELNS0_17block_load_methodE3ELS4_3ELS4_3ELNS0_20block_scan_algorithmE0ELj4294967295EEENS1_25partition_config_selectorILNS1_17partition_subalgoE4EjNS0_10empty_typeEbEEZZNS1_14partition_implILS8_4ELb0ES6_15HIP_vector_typeIjLj2EENS0_17counting_iteratorIjlEEPS9_SG_NS0_5tupleIJPjSI_NS0_16reverse_iteratorISI_EEEEENSH_IJSG_SG_SG_EEES9_SI_JZNS1_25segmented_radix_sort_implINS0_14default_configELb0EPKiPiPKlPlN2at6native12_GLOBAL__N_18offset_tEEE10hipError_tPvRmT1_PNSt15iterator_traitsIS12_E10value_typeET2_T3_PNS13_IS18_E10value_typeET4_jRbjT5_S1E_jjP12ihipStream_tbEUljE_ZNSN_ISO_Lb0ESQ_SR_ST_SU_SY_EESZ_S10_S11_S12_S16_S17_S18_S1B_S1C_jS1D_jS1E_S1E_jjS1G_bEUljE0_EEESZ_S10_S11_S18_S1C_S1E_T6_T7_T9_mT8_S1G_bDpT10_ENKUlT_T0_E_clISt17integral_constantIbLb0EES1T_IbLb1EEEEDaS1P_S1Q_EUlS1P_E_NS1_11comp_targetILNS1_3genE10ELNS1_11target_archE1200ELNS1_3gpuE4ELNS1_3repE0EEENS1_30default_config_static_selectorELNS0_4arch9wavefront6targetE0EEEvS12_.numbered_sgpr, 0
	.set _ZN7rocprim17ROCPRIM_400000_NS6detail17trampoline_kernelINS0_13select_configILj256ELj13ELNS0_17block_load_methodE3ELS4_3ELS4_3ELNS0_20block_scan_algorithmE0ELj4294967295EEENS1_25partition_config_selectorILNS1_17partition_subalgoE4EjNS0_10empty_typeEbEEZZNS1_14partition_implILS8_4ELb0ES6_15HIP_vector_typeIjLj2EENS0_17counting_iteratorIjlEEPS9_SG_NS0_5tupleIJPjSI_NS0_16reverse_iteratorISI_EEEEENSH_IJSG_SG_SG_EEES9_SI_JZNS1_25segmented_radix_sort_implINS0_14default_configELb0EPKiPiPKlPlN2at6native12_GLOBAL__N_18offset_tEEE10hipError_tPvRmT1_PNSt15iterator_traitsIS12_E10value_typeET2_T3_PNS13_IS18_E10value_typeET4_jRbjT5_S1E_jjP12ihipStream_tbEUljE_ZNSN_ISO_Lb0ESQ_SR_ST_SU_SY_EESZ_S10_S11_S12_S16_S17_S18_S1B_S1C_jS1D_jS1E_S1E_jjS1G_bEUljE0_EEESZ_S10_S11_S18_S1C_S1E_T6_T7_T9_mT8_S1G_bDpT10_ENKUlT_T0_E_clISt17integral_constantIbLb0EES1T_IbLb1EEEEDaS1P_S1Q_EUlS1P_E_NS1_11comp_targetILNS1_3genE10ELNS1_11target_archE1200ELNS1_3gpuE4ELNS1_3repE0EEENS1_30default_config_static_selectorELNS0_4arch9wavefront6targetE0EEEvS12_.num_named_barrier, 0
	.set _ZN7rocprim17ROCPRIM_400000_NS6detail17trampoline_kernelINS0_13select_configILj256ELj13ELNS0_17block_load_methodE3ELS4_3ELS4_3ELNS0_20block_scan_algorithmE0ELj4294967295EEENS1_25partition_config_selectorILNS1_17partition_subalgoE4EjNS0_10empty_typeEbEEZZNS1_14partition_implILS8_4ELb0ES6_15HIP_vector_typeIjLj2EENS0_17counting_iteratorIjlEEPS9_SG_NS0_5tupleIJPjSI_NS0_16reverse_iteratorISI_EEEEENSH_IJSG_SG_SG_EEES9_SI_JZNS1_25segmented_radix_sort_implINS0_14default_configELb0EPKiPiPKlPlN2at6native12_GLOBAL__N_18offset_tEEE10hipError_tPvRmT1_PNSt15iterator_traitsIS12_E10value_typeET2_T3_PNS13_IS18_E10value_typeET4_jRbjT5_S1E_jjP12ihipStream_tbEUljE_ZNSN_ISO_Lb0ESQ_SR_ST_SU_SY_EESZ_S10_S11_S12_S16_S17_S18_S1B_S1C_jS1D_jS1E_S1E_jjS1G_bEUljE0_EEESZ_S10_S11_S18_S1C_S1E_T6_T7_T9_mT8_S1G_bDpT10_ENKUlT_T0_E_clISt17integral_constantIbLb0EES1T_IbLb1EEEEDaS1P_S1Q_EUlS1P_E_NS1_11comp_targetILNS1_3genE10ELNS1_11target_archE1200ELNS1_3gpuE4ELNS1_3repE0EEENS1_30default_config_static_selectorELNS0_4arch9wavefront6targetE0EEEvS12_.private_seg_size, 0
	.set _ZN7rocprim17ROCPRIM_400000_NS6detail17trampoline_kernelINS0_13select_configILj256ELj13ELNS0_17block_load_methodE3ELS4_3ELS4_3ELNS0_20block_scan_algorithmE0ELj4294967295EEENS1_25partition_config_selectorILNS1_17partition_subalgoE4EjNS0_10empty_typeEbEEZZNS1_14partition_implILS8_4ELb0ES6_15HIP_vector_typeIjLj2EENS0_17counting_iteratorIjlEEPS9_SG_NS0_5tupleIJPjSI_NS0_16reverse_iteratorISI_EEEEENSH_IJSG_SG_SG_EEES9_SI_JZNS1_25segmented_radix_sort_implINS0_14default_configELb0EPKiPiPKlPlN2at6native12_GLOBAL__N_18offset_tEEE10hipError_tPvRmT1_PNSt15iterator_traitsIS12_E10value_typeET2_T3_PNS13_IS18_E10value_typeET4_jRbjT5_S1E_jjP12ihipStream_tbEUljE_ZNSN_ISO_Lb0ESQ_SR_ST_SU_SY_EESZ_S10_S11_S12_S16_S17_S18_S1B_S1C_jS1D_jS1E_S1E_jjS1G_bEUljE0_EEESZ_S10_S11_S18_S1C_S1E_T6_T7_T9_mT8_S1G_bDpT10_ENKUlT_T0_E_clISt17integral_constantIbLb0EES1T_IbLb1EEEEDaS1P_S1Q_EUlS1P_E_NS1_11comp_targetILNS1_3genE10ELNS1_11target_archE1200ELNS1_3gpuE4ELNS1_3repE0EEENS1_30default_config_static_selectorELNS0_4arch9wavefront6targetE0EEEvS12_.uses_vcc, 0
	.set _ZN7rocprim17ROCPRIM_400000_NS6detail17trampoline_kernelINS0_13select_configILj256ELj13ELNS0_17block_load_methodE3ELS4_3ELS4_3ELNS0_20block_scan_algorithmE0ELj4294967295EEENS1_25partition_config_selectorILNS1_17partition_subalgoE4EjNS0_10empty_typeEbEEZZNS1_14partition_implILS8_4ELb0ES6_15HIP_vector_typeIjLj2EENS0_17counting_iteratorIjlEEPS9_SG_NS0_5tupleIJPjSI_NS0_16reverse_iteratorISI_EEEEENSH_IJSG_SG_SG_EEES9_SI_JZNS1_25segmented_radix_sort_implINS0_14default_configELb0EPKiPiPKlPlN2at6native12_GLOBAL__N_18offset_tEEE10hipError_tPvRmT1_PNSt15iterator_traitsIS12_E10value_typeET2_T3_PNS13_IS18_E10value_typeET4_jRbjT5_S1E_jjP12ihipStream_tbEUljE_ZNSN_ISO_Lb0ESQ_SR_ST_SU_SY_EESZ_S10_S11_S12_S16_S17_S18_S1B_S1C_jS1D_jS1E_S1E_jjS1G_bEUljE0_EEESZ_S10_S11_S18_S1C_S1E_T6_T7_T9_mT8_S1G_bDpT10_ENKUlT_T0_E_clISt17integral_constantIbLb0EES1T_IbLb1EEEEDaS1P_S1Q_EUlS1P_E_NS1_11comp_targetILNS1_3genE10ELNS1_11target_archE1200ELNS1_3gpuE4ELNS1_3repE0EEENS1_30default_config_static_selectorELNS0_4arch9wavefront6targetE0EEEvS12_.uses_flat_scratch, 0
	.set _ZN7rocprim17ROCPRIM_400000_NS6detail17trampoline_kernelINS0_13select_configILj256ELj13ELNS0_17block_load_methodE3ELS4_3ELS4_3ELNS0_20block_scan_algorithmE0ELj4294967295EEENS1_25partition_config_selectorILNS1_17partition_subalgoE4EjNS0_10empty_typeEbEEZZNS1_14partition_implILS8_4ELb0ES6_15HIP_vector_typeIjLj2EENS0_17counting_iteratorIjlEEPS9_SG_NS0_5tupleIJPjSI_NS0_16reverse_iteratorISI_EEEEENSH_IJSG_SG_SG_EEES9_SI_JZNS1_25segmented_radix_sort_implINS0_14default_configELb0EPKiPiPKlPlN2at6native12_GLOBAL__N_18offset_tEEE10hipError_tPvRmT1_PNSt15iterator_traitsIS12_E10value_typeET2_T3_PNS13_IS18_E10value_typeET4_jRbjT5_S1E_jjP12ihipStream_tbEUljE_ZNSN_ISO_Lb0ESQ_SR_ST_SU_SY_EESZ_S10_S11_S12_S16_S17_S18_S1B_S1C_jS1D_jS1E_S1E_jjS1G_bEUljE0_EEESZ_S10_S11_S18_S1C_S1E_T6_T7_T9_mT8_S1G_bDpT10_ENKUlT_T0_E_clISt17integral_constantIbLb0EES1T_IbLb1EEEEDaS1P_S1Q_EUlS1P_E_NS1_11comp_targetILNS1_3genE10ELNS1_11target_archE1200ELNS1_3gpuE4ELNS1_3repE0EEENS1_30default_config_static_selectorELNS0_4arch9wavefront6targetE0EEEvS12_.has_dyn_sized_stack, 0
	.set _ZN7rocprim17ROCPRIM_400000_NS6detail17trampoline_kernelINS0_13select_configILj256ELj13ELNS0_17block_load_methodE3ELS4_3ELS4_3ELNS0_20block_scan_algorithmE0ELj4294967295EEENS1_25partition_config_selectorILNS1_17partition_subalgoE4EjNS0_10empty_typeEbEEZZNS1_14partition_implILS8_4ELb0ES6_15HIP_vector_typeIjLj2EENS0_17counting_iteratorIjlEEPS9_SG_NS0_5tupleIJPjSI_NS0_16reverse_iteratorISI_EEEEENSH_IJSG_SG_SG_EEES9_SI_JZNS1_25segmented_radix_sort_implINS0_14default_configELb0EPKiPiPKlPlN2at6native12_GLOBAL__N_18offset_tEEE10hipError_tPvRmT1_PNSt15iterator_traitsIS12_E10value_typeET2_T3_PNS13_IS18_E10value_typeET4_jRbjT5_S1E_jjP12ihipStream_tbEUljE_ZNSN_ISO_Lb0ESQ_SR_ST_SU_SY_EESZ_S10_S11_S12_S16_S17_S18_S1B_S1C_jS1D_jS1E_S1E_jjS1G_bEUljE0_EEESZ_S10_S11_S18_S1C_S1E_T6_T7_T9_mT8_S1G_bDpT10_ENKUlT_T0_E_clISt17integral_constantIbLb0EES1T_IbLb1EEEEDaS1P_S1Q_EUlS1P_E_NS1_11comp_targetILNS1_3genE10ELNS1_11target_archE1200ELNS1_3gpuE4ELNS1_3repE0EEENS1_30default_config_static_selectorELNS0_4arch9wavefront6targetE0EEEvS12_.has_recursion, 0
	.set _ZN7rocprim17ROCPRIM_400000_NS6detail17trampoline_kernelINS0_13select_configILj256ELj13ELNS0_17block_load_methodE3ELS4_3ELS4_3ELNS0_20block_scan_algorithmE0ELj4294967295EEENS1_25partition_config_selectorILNS1_17partition_subalgoE4EjNS0_10empty_typeEbEEZZNS1_14partition_implILS8_4ELb0ES6_15HIP_vector_typeIjLj2EENS0_17counting_iteratorIjlEEPS9_SG_NS0_5tupleIJPjSI_NS0_16reverse_iteratorISI_EEEEENSH_IJSG_SG_SG_EEES9_SI_JZNS1_25segmented_radix_sort_implINS0_14default_configELb0EPKiPiPKlPlN2at6native12_GLOBAL__N_18offset_tEEE10hipError_tPvRmT1_PNSt15iterator_traitsIS12_E10value_typeET2_T3_PNS13_IS18_E10value_typeET4_jRbjT5_S1E_jjP12ihipStream_tbEUljE_ZNSN_ISO_Lb0ESQ_SR_ST_SU_SY_EESZ_S10_S11_S12_S16_S17_S18_S1B_S1C_jS1D_jS1E_S1E_jjS1G_bEUljE0_EEESZ_S10_S11_S18_S1C_S1E_T6_T7_T9_mT8_S1G_bDpT10_ENKUlT_T0_E_clISt17integral_constantIbLb0EES1T_IbLb1EEEEDaS1P_S1Q_EUlS1P_E_NS1_11comp_targetILNS1_3genE10ELNS1_11target_archE1200ELNS1_3gpuE4ELNS1_3repE0EEENS1_30default_config_static_selectorELNS0_4arch9wavefront6targetE0EEEvS12_.has_indirect_call, 0
	.section	.AMDGPU.csdata,"",@progbits
; Kernel info:
; codeLenInByte = 0
; TotalNumSgprs: 0
; NumVgprs: 0
; ScratchSize: 0
; MemoryBound: 0
; FloatMode: 240
; IeeeMode: 1
; LDSByteSize: 0 bytes/workgroup (compile time only)
; SGPRBlocks: 0
; VGPRBlocks: 0
; NumSGPRsForWavesPerEU: 1
; NumVGPRsForWavesPerEU: 1
; Occupancy: 16
; WaveLimiterHint : 0
; COMPUTE_PGM_RSRC2:SCRATCH_EN: 0
; COMPUTE_PGM_RSRC2:USER_SGPR: 6
; COMPUTE_PGM_RSRC2:TRAP_HANDLER: 0
; COMPUTE_PGM_RSRC2:TGID_X_EN: 1
; COMPUTE_PGM_RSRC2:TGID_Y_EN: 0
; COMPUTE_PGM_RSRC2:TGID_Z_EN: 0
; COMPUTE_PGM_RSRC2:TIDIG_COMP_CNT: 0
	.section	.text._ZN7rocprim17ROCPRIM_400000_NS6detail17trampoline_kernelINS0_13select_configILj256ELj13ELNS0_17block_load_methodE3ELS4_3ELS4_3ELNS0_20block_scan_algorithmE0ELj4294967295EEENS1_25partition_config_selectorILNS1_17partition_subalgoE4EjNS0_10empty_typeEbEEZZNS1_14partition_implILS8_4ELb0ES6_15HIP_vector_typeIjLj2EENS0_17counting_iteratorIjlEEPS9_SG_NS0_5tupleIJPjSI_NS0_16reverse_iteratorISI_EEEEENSH_IJSG_SG_SG_EEES9_SI_JZNS1_25segmented_radix_sort_implINS0_14default_configELb0EPKiPiPKlPlN2at6native12_GLOBAL__N_18offset_tEEE10hipError_tPvRmT1_PNSt15iterator_traitsIS12_E10value_typeET2_T3_PNS13_IS18_E10value_typeET4_jRbjT5_S1E_jjP12ihipStream_tbEUljE_ZNSN_ISO_Lb0ESQ_SR_ST_SU_SY_EESZ_S10_S11_S12_S16_S17_S18_S1B_S1C_jS1D_jS1E_S1E_jjS1G_bEUljE0_EEESZ_S10_S11_S18_S1C_S1E_T6_T7_T9_mT8_S1G_bDpT10_ENKUlT_T0_E_clISt17integral_constantIbLb0EES1T_IbLb1EEEEDaS1P_S1Q_EUlS1P_E_NS1_11comp_targetILNS1_3genE9ELNS1_11target_archE1100ELNS1_3gpuE3ELNS1_3repE0EEENS1_30default_config_static_selectorELNS0_4arch9wavefront6targetE0EEEvS12_,"axG",@progbits,_ZN7rocprim17ROCPRIM_400000_NS6detail17trampoline_kernelINS0_13select_configILj256ELj13ELNS0_17block_load_methodE3ELS4_3ELS4_3ELNS0_20block_scan_algorithmE0ELj4294967295EEENS1_25partition_config_selectorILNS1_17partition_subalgoE4EjNS0_10empty_typeEbEEZZNS1_14partition_implILS8_4ELb0ES6_15HIP_vector_typeIjLj2EENS0_17counting_iteratorIjlEEPS9_SG_NS0_5tupleIJPjSI_NS0_16reverse_iteratorISI_EEEEENSH_IJSG_SG_SG_EEES9_SI_JZNS1_25segmented_radix_sort_implINS0_14default_configELb0EPKiPiPKlPlN2at6native12_GLOBAL__N_18offset_tEEE10hipError_tPvRmT1_PNSt15iterator_traitsIS12_E10value_typeET2_T3_PNS13_IS18_E10value_typeET4_jRbjT5_S1E_jjP12ihipStream_tbEUljE_ZNSN_ISO_Lb0ESQ_SR_ST_SU_SY_EESZ_S10_S11_S12_S16_S17_S18_S1B_S1C_jS1D_jS1E_S1E_jjS1G_bEUljE0_EEESZ_S10_S11_S18_S1C_S1E_T6_T7_T9_mT8_S1G_bDpT10_ENKUlT_T0_E_clISt17integral_constantIbLb0EES1T_IbLb1EEEEDaS1P_S1Q_EUlS1P_E_NS1_11comp_targetILNS1_3genE9ELNS1_11target_archE1100ELNS1_3gpuE3ELNS1_3repE0EEENS1_30default_config_static_selectorELNS0_4arch9wavefront6targetE0EEEvS12_,comdat
	.globl	_ZN7rocprim17ROCPRIM_400000_NS6detail17trampoline_kernelINS0_13select_configILj256ELj13ELNS0_17block_load_methodE3ELS4_3ELS4_3ELNS0_20block_scan_algorithmE0ELj4294967295EEENS1_25partition_config_selectorILNS1_17partition_subalgoE4EjNS0_10empty_typeEbEEZZNS1_14partition_implILS8_4ELb0ES6_15HIP_vector_typeIjLj2EENS0_17counting_iteratorIjlEEPS9_SG_NS0_5tupleIJPjSI_NS0_16reverse_iteratorISI_EEEEENSH_IJSG_SG_SG_EEES9_SI_JZNS1_25segmented_radix_sort_implINS0_14default_configELb0EPKiPiPKlPlN2at6native12_GLOBAL__N_18offset_tEEE10hipError_tPvRmT1_PNSt15iterator_traitsIS12_E10value_typeET2_T3_PNS13_IS18_E10value_typeET4_jRbjT5_S1E_jjP12ihipStream_tbEUljE_ZNSN_ISO_Lb0ESQ_SR_ST_SU_SY_EESZ_S10_S11_S12_S16_S17_S18_S1B_S1C_jS1D_jS1E_S1E_jjS1G_bEUljE0_EEESZ_S10_S11_S18_S1C_S1E_T6_T7_T9_mT8_S1G_bDpT10_ENKUlT_T0_E_clISt17integral_constantIbLb0EES1T_IbLb1EEEEDaS1P_S1Q_EUlS1P_E_NS1_11comp_targetILNS1_3genE9ELNS1_11target_archE1100ELNS1_3gpuE3ELNS1_3repE0EEENS1_30default_config_static_selectorELNS0_4arch9wavefront6targetE0EEEvS12_ ; -- Begin function _ZN7rocprim17ROCPRIM_400000_NS6detail17trampoline_kernelINS0_13select_configILj256ELj13ELNS0_17block_load_methodE3ELS4_3ELS4_3ELNS0_20block_scan_algorithmE0ELj4294967295EEENS1_25partition_config_selectorILNS1_17partition_subalgoE4EjNS0_10empty_typeEbEEZZNS1_14partition_implILS8_4ELb0ES6_15HIP_vector_typeIjLj2EENS0_17counting_iteratorIjlEEPS9_SG_NS0_5tupleIJPjSI_NS0_16reverse_iteratorISI_EEEEENSH_IJSG_SG_SG_EEES9_SI_JZNS1_25segmented_radix_sort_implINS0_14default_configELb0EPKiPiPKlPlN2at6native12_GLOBAL__N_18offset_tEEE10hipError_tPvRmT1_PNSt15iterator_traitsIS12_E10value_typeET2_T3_PNS13_IS18_E10value_typeET4_jRbjT5_S1E_jjP12ihipStream_tbEUljE_ZNSN_ISO_Lb0ESQ_SR_ST_SU_SY_EESZ_S10_S11_S12_S16_S17_S18_S1B_S1C_jS1D_jS1E_S1E_jjS1G_bEUljE0_EEESZ_S10_S11_S18_S1C_S1E_T6_T7_T9_mT8_S1G_bDpT10_ENKUlT_T0_E_clISt17integral_constantIbLb0EES1T_IbLb1EEEEDaS1P_S1Q_EUlS1P_E_NS1_11comp_targetILNS1_3genE9ELNS1_11target_archE1100ELNS1_3gpuE3ELNS1_3repE0EEENS1_30default_config_static_selectorELNS0_4arch9wavefront6targetE0EEEvS12_
	.p2align	8
	.type	_ZN7rocprim17ROCPRIM_400000_NS6detail17trampoline_kernelINS0_13select_configILj256ELj13ELNS0_17block_load_methodE3ELS4_3ELS4_3ELNS0_20block_scan_algorithmE0ELj4294967295EEENS1_25partition_config_selectorILNS1_17partition_subalgoE4EjNS0_10empty_typeEbEEZZNS1_14partition_implILS8_4ELb0ES6_15HIP_vector_typeIjLj2EENS0_17counting_iteratorIjlEEPS9_SG_NS0_5tupleIJPjSI_NS0_16reverse_iteratorISI_EEEEENSH_IJSG_SG_SG_EEES9_SI_JZNS1_25segmented_radix_sort_implINS0_14default_configELb0EPKiPiPKlPlN2at6native12_GLOBAL__N_18offset_tEEE10hipError_tPvRmT1_PNSt15iterator_traitsIS12_E10value_typeET2_T3_PNS13_IS18_E10value_typeET4_jRbjT5_S1E_jjP12ihipStream_tbEUljE_ZNSN_ISO_Lb0ESQ_SR_ST_SU_SY_EESZ_S10_S11_S12_S16_S17_S18_S1B_S1C_jS1D_jS1E_S1E_jjS1G_bEUljE0_EEESZ_S10_S11_S18_S1C_S1E_T6_T7_T9_mT8_S1G_bDpT10_ENKUlT_T0_E_clISt17integral_constantIbLb0EES1T_IbLb1EEEEDaS1P_S1Q_EUlS1P_E_NS1_11comp_targetILNS1_3genE9ELNS1_11target_archE1100ELNS1_3gpuE3ELNS1_3repE0EEENS1_30default_config_static_selectorELNS0_4arch9wavefront6targetE0EEEvS12_,@function
_ZN7rocprim17ROCPRIM_400000_NS6detail17trampoline_kernelINS0_13select_configILj256ELj13ELNS0_17block_load_methodE3ELS4_3ELS4_3ELNS0_20block_scan_algorithmE0ELj4294967295EEENS1_25partition_config_selectorILNS1_17partition_subalgoE4EjNS0_10empty_typeEbEEZZNS1_14partition_implILS8_4ELb0ES6_15HIP_vector_typeIjLj2EENS0_17counting_iteratorIjlEEPS9_SG_NS0_5tupleIJPjSI_NS0_16reverse_iteratorISI_EEEEENSH_IJSG_SG_SG_EEES9_SI_JZNS1_25segmented_radix_sort_implINS0_14default_configELb0EPKiPiPKlPlN2at6native12_GLOBAL__N_18offset_tEEE10hipError_tPvRmT1_PNSt15iterator_traitsIS12_E10value_typeET2_T3_PNS13_IS18_E10value_typeET4_jRbjT5_S1E_jjP12ihipStream_tbEUljE_ZNSN_ISO_Lb0ESQ_SR_ST_SU_SY_EESZ_S10_S11_S12_S16_S17_S18_S1B_S1C_jS1D_jS1E_S1E_jjS1G_bEUljE0_EEESZ_S10_S11_S18_S1C_S1E_T6_T7_T9_mT8_S1G_bDpT10_ENKUlT_T0_E_clISt17integral_constantIbLb0EES1T_IbLb1EEEEDaS1P_S1Q_EUlS1P_E_NS1_11comp_targetILNS1_3genE9ELNS1_11target_archE1100ELNS1_3gpuE3ELNS1_3repE0EEENS1_30default_config_static_selectorELNS0_4arch9wavefront6targetE0EEEvS12_: ; @_ZN7rocprim17ROCPRIM_400000_NS6detail17trampoline_kernelINS0_13select_configILj256ELj13ELNS0_17block_load_methodE3ELS4_3ELS4_3ELNS0_20block_scan_algorithmE0ELj4294967295EEENS1_25partition_config_selectorILNS1_17partition_subalgoE4EjNS0_10empty_typeEbEEZZNS1_14partition_implILS8_4ELb0ES6_15HIP_vector_typeIjLj2EENS0_17counting_iteratorIjlEEPS9_SG_NS0_5tupleIJPjSI_NS0_16reverse_iteratorISI_EEEEENSH_IJSG_SG_SG_EEES9_SI_JZNS1_25segmented_radix_sort_implINS0_14default_configELb0EPKiPiPKlPlN2at6native12_GLOBAL__N_18offset_tEEE10hipError_tPvRmT1_PNSt15iterator_traitsIS12_E10value_typeET2_T3_PNS13_IS18_E10value_typeET4_jRbjT5_S1E_jjP12ihipStream_tbEUljE_ZNSN_ISO_Lb0ESQ_SR_ST_SU_SY_EESZ_S10_S11_S12_S16_S17_S18_S1B_S1C_jS1D_jS1E_S1E_jjS1G_bEUljE0_EEESZ_S10_S11_S18_S1C_S1E_T6_T7_T9_mT8_S1G_bDpT10_ENKUlT_T0_E_clISt17integral_constantIbLb0EES1T_IbLb1EEEEDaS1P_S1Q_EUlS1P_E_NS1_11comp_targetILNS1_3genE9ELNS1_11target_archE1100ELNS1_3gpuE3ELNS1_3repE0EEENS1_30default_config_static_selectorELNS0_4arch9wavefront6targetE0EEEvS12_
; %bb.0:
	.section	.rodata,"a",@progbits
	.p2align	6, 0x0
	.amdhsa_kernel _ZN7rocprim17ROCPRIM_400000_NS6detail17trampoline_kernelINS0_13select_configILj256ELj13ELNS0_17block_load_methodE3ELS4_3ELS4_3ELNS0_20block_scan_algorithmE0ELj4294967295EEENS1_25partition_config_selectorILNS1_17partition_subalgoE4EjNS0_10empty_typeEbEEZZNS1_14partition_implILS8_4ELb0ES6_15HIP_vector_typeIjLj2EENS0_17counting_iteratorIjlEEPS9_SG_NS0_5tupleIJPjSI_NS0_16reverse_iteratorISI_EEEEENSH_IJSG_SG_SG_EEES9_SI_JZNS1_25segmented_radix_sort_implINS0_14default_configELb0EPKiPiPKlPlN2at6native12_GLOBAL__N_18offset_tEEE10hipError_tPvRmT1_PNSt15iterator_traitsIS12_E10value_typeET2_T3_PNS13_IS18_E10value_typeET4_jRbjT5_S1E_jjP12ihipStream_tbEUljE_ZNSN_ISO_Lb0ESQ_SR_ST_SU_SY_EESZ_S10_S11_S12_S16_S17_S18_S1B_S1C_jS1D_jS1E_S1E_jjS1G_bEUljE0_EEESZ_S10_S11_S18_S1C_S1E_T6_T7_T9_mT8_S1G_bDpT10_ENKUlT_T0_E_clISt17integral_constantIbLb0EES1T_IbLb1EEEEDaS1P_S1Q_EUlS1P_E_NS1_11comp_targetILNS1_3genE9ELNS1_11target_archE1100ELNS1_3gpuE3ELNS1_3repE0EEENS1_30default_config_static_selectorELNS0_4arch9wavefront6targetE0EEEvS12_
		.amdhsa_group_segment_fixed_size 0
		.amdhsa_private_segment_fixed_size 0
		.amdhsa_kernarg_size 184
		.amdhsa_user_sgpr_count 6
		.amdhsa_user_sgpr_private_segment_buffer 1
		.amdhsa_user_sgpr_dispatch_ptr 0
		.amdhsa_user_sgpr_queue_ptr 0
		.amdhsa_user_sgpr_kernarg_segment_ptr 1
		.amdhsa_user_sgpr_dispatch_id 0
		.amdhsa_user_sgpr_flat_scratch_init 0
		.amdhsa_user_sgpr_private_segment_size 0
		.amdhsa_wavefront_size32 1
		.amdhsa_uses_dynamic_stack 0
		.amdhsa_system_sgpr_private_segment_wavefront_offset 0
		.amdhsa_system_sgpr_workgroup_id_x 1
		.amdhsa_system_sgpr_workgroup_id_y 0
		.amdhsa_system_sgpr_workgroup_id_z 0
		.amdhsa_system_sgpr_workgroup_info 0
		.amdhsa_system_vgpr_workitem_id 0
		.amdhsa_next_free_vgpr 1
		.amdhsa_next_free_sgpr 1
		.amdhsa_reserve_vcc 0
		.amdhsa_reserve_flat_scratch 0
		.amdhsa_float_round_mode_32 0
		.amdhsa_float_round_mode_16_64 0
		.amdhsa_float_denorm_mode_32 3
		.amdhsa_float_denorm_mode_16_64 3
		.amdhsa_dx10_clamp 1
		.amdhsa_ieee_mode 1
		.amdhsa_fp16_overflow 0
		.amdhsa_workgroup_processor_mode 1
		.amdhsa_memory_ordered 1
		.amdhsa_forward_progress 1
		.amdhsa_shared_vgpr_count 0
		.amdhsa_exception_fp_ieee_invalid_op 0
		.amdhsa_exception_fp_denorm_src 0
		.amdhsa_exception_fp_ieee_div_zero 0
		.amdhsa_exception_fp_ieee_overflow 0
		.amdhsa_exception_fp_ieee_underflow 0
		.amdhsa_exception_fp_ieee_inexact 0
		.amdhsa_exception_int_div_zero 0
	.end_amdhsa_kernel
	.section	.text._ZN7rocprim17ROCPRIM_400000_NS6detail17trampoline_kernelINS0_13select_configILj256ELj13ELNS0_17block_load_methodE3ELS4_3ELS4_3ELNS0_20block_scan_algorithmE0ELj4294967295EEENS1_25partition_config_selectorILNS1_17partition_subalgoE4EjNS0_10empty_typeEbEEZZNS1_14partition_implILS8_4ELb0ES6_15HIP_vector_typeIjLj2EENS0_17counting_iteratorIjlEEPS9_SG_NS0_5tupleIJPjSI_NS0_16reverse_iteratorISI_EEEEENSH_IJSG_SG_SG_EEES9_SI_JZNS1_25segmented_radix_sort_implINS0_14default_configELb0EPKiPiPKlPlN2at6native12_GLOBAL__N_18offset_tEEE10hipError_tPvRmT1_PNSt15iterator_traitsIS12_E10value_typeET2_T3_PNS13_IS18_E10value_typeET4_jRbjT5_S1E_jjP12ihipStream_tbEUljE_ZNSN_ISO_Lb0ESQ_SR_ST_SU_SY_EESZ_S10_S11_S12_S16_S17_S18_S1B_S1C_jS1D_jS1E_S1E_jjS1G_bEUljE0_EEESZ_S10_S11_S18_S1C_S1E_T6_T7_T9_mT8_S1G_bDpT10_ENKUlT_T0_E_clISt17integral_constantIbLb0EES1T_IbLb1EEEEDaS1P_S1Q_EUlS1P_E_NS1_11comp_targetILNS1_3genE9ELNS1_11target_archE1100ELNS1_3gpuE3ELNS1_3repE0EEENS1_30default_config_static_selectorELNS0_4arch9wavefront6targetE0EEEvS12_,"axG",@progbits,_ZN7rocprim17ROCPRIM_400000_NS6detail17trampoline_kernelINS0_13select_configILj256ELj13ELNS0_17block_load_methodE3ELS4_3ELS4_3ELNS0_20block_scan_algorithmE0ELj4294967295EEENS1_25partition_config_selectorILNS1_17partition_subalgoE4EjNS0_10empty_typeEbEEZZNS1_14partition_implILS8_4ELb0ES6_15HIP_vector_typeIjLj2EENS0_17counting_iteratorIjlEEPS9_SG_NS0_5tupleIJPjSI_NS0_16reverse_iteratorISI_EEEEENSH_IJSG_SG_SG_EEES9_SI_JZNS1_25segmented_radix_sort_implINS0_14default_configELb0EPKiPiPKlPlN2at6native12_GLOBAL__N_18offset_tEEE10hipError_tPvRmT1_PNSt15iterator_traitsIS12_E10value_typeET2_T3_PNS13_IS18_E10value_typeET4_jRbjT5_S1E_jjP12ihipStream_tbEUljE_ZNSN_ISO_Lb0ESQ_SR_ST_SU_SY_EESZ_S10_S11_S12_S16_S17_S18_S1B_S1C_jS1D_jS1E_S1E_jjS1G_bEUljE0_EEESZ_S10_S11_S18_S1C_S1E_T6_T7_T9_mT8_S1G_bDpT10_ENKUlT_T0_E_clISt17integral_constantIbLb0EES1T_IbLb1EEEEDaS1P_S1Q_EUlS1P_E_NS1_11comp_targetILNS1_3genE9ELNS1_11target_archE1100ELNS1_3gpuE3ELNS1_3repE0EEENS1_30default_config_static_selectorELNS0_4arch9wavefront6targetE0EEEvS12_,comdat
.Lfunc_end561:
	.size	_ZN7rocprim17ROCPRIM_400000_NS6detail17trampoline_kernelINS0_13select_configILj256ELj13ELNS0_17block_load_methodE3ELS4_3ELS4_3ELNS0_20block_scan_algorithmE0ELj4294967295EEENS1_25partition_config_selectorILNS1_17partition_subalgoE4EjNS0_10empty_typeEbEEZZNS1_14partition_implILS8_4ELb0ES6_15HIP_vector_typeIjLj2EENS0_17counting_iteratorIjlEEPS9_SG_NS0_5tupleIJPjSI_NS0_16reverse_iteratorISI_EEEEENSH_IJSG_SG_SG_EEES9_SI_JZNS1_25segmented_radix_sort_implINS0_14default_configELb0EPKiPiPKlPlN2at6native12_GLOBAL__N_18offset_tEEE10hipError_tPvRmT1_PNSt15iterator_traitsIS12_E10value_typeET2_T3_PNS13_IS18_E10value_typeET4_jRbjT5_S1E_jjP12ihipStream_tbEUljE_ZNSN_ISO_Lb0ESQ_SR_ST_SU_SY_EESZ_S10_S11_S12_S16_S17_S18_S1B_S1C_jS1D_jS1E_S1E_jjS1G_bEUljE0_EEESZ_S10_S11_S18_S1C_S1E_T6_T7_T9_mT8_S1G_bDpT10_ENKUlT_T0_E_clISt17integral_constantIbLb0EES1T_IbLb1EEEEDaS1P_S1Q_EUlS1P_E_NS1_11comp_targetILNS1_3genE9ELNS1_11target_archE1100ELNS1_3gpuE3ELNS1_3repE0EEENS1_30default_config_static_selectorELNS0_4arch9wavefront6targetE0EEEvS12_, .Lfunc_end561-_ZN7rocprim17ROCPRIM_400000_NS6detail17trampoline_kernelINS0_13select_configILj256ELj13ELNS0_17block_load_methodE3ELS4_3ELS4_3ELNS0_20block_scan_algorithmE0ELj4294967295EEENS1_25partition_config_selectorILNS1_17partition_subalgoE4EjNS0_10empty_typeEbEEZZNS1_14partition_implILS8_4ELb0ES6_15HIP_vector_typeIjLj2EENS0_17counting_iteratorIjlEEPS9_SG_NS0_5tupleIJPjSI_NS0_16reverse_iteratorISI_EEEEENSH_IJSG_SG_SG_EEES9_SI_JZNS1_25segmented_radix_sort_implINS0_14default_configELb0EPKiPiPKlPlN2at6native12_GLOBAL__N_18offset_tEEE10hipError_tPvRmT1_PNSt15iterator_traitsIS12_E10value_typeET2_T3_PNS13_IS18_E10value_typeET4_jRbjT5_S1E_jjP12ihipStream_tbEUljE_ZNSN_ISO_Lb0ESQ_SR_ST_SU_SY_EESZ_S10_S11_S12_S16_S17_S18_S1B_S1C_jS1D_jS1E_S1E_jjS1G_bEUljE0_EEESZ_S10_S11_S18_S1C_S1E_T6_T7_T9_mT8_S1G_bDpT10_ENKUlT_T0_E_clISt17integral_constantIbLb0EES1T_IbLb1EEEEDaS1P_S1Q_EUlS1P_E_NS1_11comp_targetILNS1_3genE9ELNS1_11target_archE1100ELNS1_3gpuE3ELNS1_3repE0EEENS1_30default_config_static_selectorELNS0_4arch9wavefront6targetE0EEEvS12_
                                        ; -- End function
	.set _ZN7rocprim17ROCPRIM_400000_NS6detail17trampoline_kernelINS0_13select_configILj256ELj13ELNS0_17block_load_methodE3ELS4_3ELS4_3ELNS0_20block_scan_algorithmE0ELj4294967295EEENS1_25partition_config_selectorILNS1_17partition_subalgoE4EjNS0_10empty_typeEbEEZZNS1_14partition_implILS8_4ELb0ES6_15HIP_vector_typeIjLj2EENS0_17counting_iteratorIjlEEPS9_SG_NS0_5tupleIJPjSI_NS0_16reverse_iteratorISI_EEEEENSH_IJSG_SG_SG_EEES9_SI_JZNS1_25segmented_radix_sort_implINS0_14default_configELb0EPKiPiPKlPlN2at6native12_GLOBAL__N_18offset_tEEE10hipError_tPvRmT1_PNSt15iterator_traitsIS12_E10value_typeET2_T3_PNS13_IS18_E10value_typeET4_jRbjT5_S1E_jjP12ihipStream_tbEUljE_ZNSN_ISO_Lb0ESQ_SR_ST_SU_SY_EESZ_S10_S11_S12_S16_S17_S18_S1B_S1C_jS1D_jS1E_S1E_jjS1G_bEUljE0_EEESZ_S10_S11_S18_S1C_S1E_T6_T7_T9_mT8_S1G_bDpT10_ENKUlT_T0_E_clISt17integral_constantIbLb0EES1T_IbLb1EEEEDaS1P_S1Q_EUlS1P_E_NS1_11comp_targetILNS1_3genE9ELNS1_11target_archE1100ELNS1_3gpuE3ELNS1_3repE0EEENS1_30default_config_static_selectorELNS0_4arch9wavefront6targetE0EEEvS12_.num_vgpr, 0
	.set _ZN7rocprim17ROCPRIM_400000_NS6detail17trampoline_kernelINS0_13select_configILj256ELj13ELNS0_17block_load_methodE3ELS4_3ELS4_3ELNS0_20block_scan_algorithmE0ELj4294967295EEENS1_25partition_config_selectorILNS1_17partition_subalgoE4EjNS0_10empty_typeEbEEZZNS1_14partition_implILS8_4ELb0ES6_15HIP_vector_typeIjLj2EENS0_17counting_iteratorIjlEEPS9_SG_NS0_5tupleIJPjSI_NS0_16reverse_iteratorISI_EEEEENSH_IJSG_SG_SG_EEES9_SI_JZNS1_25segmented_radix_sort_implINS0_14default_configELb0EPKiPiPKlPlN2at6native12_GLOBAL__N_18offset_tEEE10hipError_tPvRmT1_PNSt15iterator_traitsIS12_E10value_typeET2_T3_PNS13_IS18_E10value_typeET4_jRbjT5_S1E_jjP12ihipStream_tbEUljE_ZNSN_ISO_Lb0ESQ_SR_ST_SU_SY_EESZ_S10_S11_S12_S16_S17_S18_S1B_S1C_jS1D_jS1E_S1E_jjS1G_bEUljE0_EEESZ_S10_S11_S18_S1C_S1E_T6_T7_T9_mT8_S1G_bDpT10_ENKUlT_T0_E_clISt17integral_constantIbLb0EES1T_IbLb1EEEEDaS1P_S1Q_EUlS1P_E_NS1_11comp_targetILNS1_3genE9ELNS1_11target_archE1100ELNS1_3gpuE3ELNS1_3repE0EEENS1_30default_config_static_selectorELNS0_4arch9wavefront6targetE0EEEvS12_.num_agpr, 0
	.set _ZN7rocprim17ROCPRIM_400000_NS6detail17trampoline_kernelINS0_13select_configILj256ELj13ELNS0_17block_load_methodE3ELS4_3ELS4_3ELNS0_20block_scan_algorithmE0ELj4294967295EEENS1_25partition_config_selectorILNS1_17partition_subalgoE4EjNS0_10empty_typeEbEEZZNS1_14partition_implILS8_4ELb0ES6_15HIP_vector_typeIjLj2EENS0_17counting_iteratorIjlEEPS9_SG_NS0_5tupleIJPjSI_NS0_16reverse_iteratorISI_EEEEENSH_IJSG_SG_SG_EEES9_SI_JZNS1_25segmented_radix_sort_implINS0_14default_configELb0EPKiPiPKlPlN2at6native12_GLOBAL__N_18offset_tEEE10hipError_tPvRmT1_PNSt15iterator_traitsIS12_E10value_typeET2_T3_PNS13_IS18_E10value_typeET4_jRbjT5_S1E_jjP12ihipStream_tbEUljE_ZNSN_ISO_Lb0ESQ_SR_ST_SU_SY_EESZ_S10_S11_S12_S16_S17_S18_S1B_S1C_jS1D_jS1E_S1E_jjS1G_bEUljE0_EEESZ_S10_S11_S18_S1C_S1E_T6_T7_T9_mT8_S1G_bDpT10_ENKUlT_T0_E_clISt17integral_constantIbLb0EES1T_IbLb1EEEEDaS1P_S1Q_EUlS1P_E_NS1_11comp_targetILNS1_3genE9ELNS1_11target_archE1100ELNS1_3gpuE3ELNS1_3repE0EEENS1_30default_config_static_selectorELNS0_4arch9wavefront6targetE0EEEvS12_.numbered_sgpr, 0
	.set _ZN7rocprim17ROCPRIM_400000_NS6detail17trampoline_kernelINS0_13select_configILj256ELj13ELNS0_17block_load_methodE3ELS4_3ELS4_3ELNS0_20block_scan_algorithmE0ELj4294967295EEENS1_25partition_config_selectorILNS1_17partition_subalgoE4EjNS0_10empty_typeEbEEZZNS1_14partition_implILS8_4ELb0ES6_15HIP_vector_typeIjLj2EENS0_17counting_iteratorIjlEEPS9_SG_NS0_5tupleIJPjSI_NS0_16reverse_iteratorISI_EEEEENSH_IJSG_SG_SG_EEES9_SI_JZNS1_25segmented_radix_sort_implINS0_14default_configELb0EPKiPiPKlPlN2at6native12_GLOBAL__N_18offset_tEEE10hipError_tPvRmT1_PNSt15iterator_traitsIS12_E10value_typeET2_T3_PNS13_IS18_E10value_typeET4_jRbjT5_S1E_jjP12ihipStream_tbEUljE_ZNSN_ISO_Lb0ESQ_SR_ST_SU_SY_EESZ_S10_S11_S12_S16_S17_S18_S1B_S1C_jS1D_jS1E_S1E_jjS1G_bEUljE0_EEESZ_S10_S11_S18_S1C_S1E_T6_T7_T9_mT8_S1G_bDpT10_ENKUlT_T0_E_clISt17integral_constantIbLb0EES1T_IbLb1EEEEDaS1P_S1Q_EUlS1P_E_NS1_11comp_targetILNS1_3genE9ELNS1_11target_archE1100ELNS1_3gpuE3ELNS1_3repE0EEENS1_30default_config_static_selectorELNS0_4arch9wavefront6targetE0EEEvS12_.num_named_barrier, 0
	.set _ZN7rocprim17ROCPRIM_400000_NS6detail17trampoline_kernelINS0_13select_configILj256ELj13ELNS0_17block_load_methodE3ELS4_3ELS4_3ELNS0_20block_scan_algorithmE0ELj4294967295EEENS1_25partition_config_selectorILNS1_17partition_subalgoE4EjNS0_10empty_typeEbEEZZNS1_14partition_implILS8_4ELb0ES6_15HIP_vector_typeIjLj2EENS0_17counting_iteratorIjlEEPS9_SG_NS0_5tupleIJPjSI_NS0_16reverse_iteratorISI_EEEEENSH_IJSG_SG_SG_EEES9_SI_JZNS1_25segmented_radix_sort_implINS0_14default_configELb0EPKiPiPKlPlN2at6native12_GLOBAL__N_18offset_tEEE10hipError_tPvRmT1_PNSt15iterator_traitsIS12_E10value_typeET2_T3_PNS13_IS18_E10value_typeET4_jRbjT5_S1E_jjP12ihipStream_tbEUljE_ZNSN_ISO_Lb0ESQ_SR_ST_SU_SY_EESZ_S10_S11_S12_S16_S17_S18_S1B_S1C_jS1D_jS1E_S1E_jjS1G_bEUljE0_EEESZ_S10_S11_S18_S1C_S1E_T6_T7_T9_mT8_S1G_bDpT10_ENKUlT_T0_E_clISt17integral_constantIbLb0EES1T_IbLb1EEEEDaS1P_S1Q_EUlS1P_E_NS1_11comp_targetILNS1_3genE9ELNS1_11target_archE1100ELNS1_3gpuE3ELNS1_3repE0EEENS1_30default_config_static_selectorELNS0_4arch9wavefront6targetE0EEEvS12_.private_seg_size, 0
	.set _ZN7rocprim17ROCPRIM_400000_NS6detail17trampoline_kernelINS0_13select_configILj256ELj13ELNS0_17block_load_methodE3ELS4_3ELS4_3ELNS0_20block_scan_algorithmE0ELj4294967295EEENS1_25partition_config_selectorILNS1_17partition_subalgoE4EjNS0_10empty_typeEbEEZZNS1_14partition_implILS8_4ELb0ES6_15HIP_vector_typeIjLj2EENS0_17counting_iteratorIjlEEPS9_SG_NS0_5tupleIJPjSI_NS0_16reverse_iteratorISI_EEEEENSH_IJSG_SG_SG_EEES9_SI_JZNS1_25segmented_radix_sort_implINS0_14default_configELb0EPKiPiPKlPlN2at6native12_GLOBAL__N_18offset_tEEE10hipError_tPvRmT1_PNSt15iterator_traitsIS12_E10value_typeET2_T3_PNS13_IS18_E10value_typeET4_jRbjT5_S1E_jjP12ihipStream_tbEUljE_ZNSN_ISO_Lb0ESQ_SR_ST_SU_SY_EESZ_S10_S11_S12_S16_S17_S18_S1B_S1C_jS1D_jS1E_S1E_jjS1G_bEUljE0_EEESZ_S10_S11_S18_S1C_S1E_T6_T7_T9_mT8_S1G_bDpT10_ENKUlT_T0_E_clISt17integral_constantIbLb0EES1T_IbLb1EEEEDaS1P_S1Q_EUlS1P_E_NS1_11comp_targetILNS1_3genE9ELNS1_11target_archE1100ELNS1_3gpuE3ELNS1_3repE0EEENS1_30default_config_static_selectorELNS0_4arch9wavefront6targetE0EEEvS12_.uses_vcc, 0
	.set _ZN7rocprim17ROCPRIM_400000_NS6detail17trampoline_kernelINS0_13select_configILj256ELj13ELNS0_17block_load_methodE3ELS4_3ELS4_3ELNS0_20block_scan_algorithmE0ELj4294967295EEENS1_25partition_config_selectorILNS1_17partition_subalgoE4EjNS0_10empty_typeEbEEZZNS1_14partition_implILS8_4ELb0ES6_15HIP_vector_typeIjLj2EENS0_17counting_iteratorIjlEEPS9_SG_NS0_5tupleIJPjSI_NS0_16reverse_iteratorISI_EEEEENSH_IJSG_SG_SG_EEES9_SI_JZNS1_25segmented_radix_sort_implINS0_14default_configELb0EPKiPiPKlPlN2at6native12_GLOBAL__N_18offset_tEEE10hipError_tPvRmT1_PNSt15iterator_traitsIS12_E10value_typeET2_T3_PNS13_IS18_E10value_typeET4_jRbjT5_S1E_jjP12ihipStream_tbEUljE_ZNSN_ISO_Lb0ESQ_SR_ST_SU_SY_EESZ_S10_S11_S12_S16_S17_S18_S1B_S1C_jS1D_jS1E_S1E_jjS1G_bEUljE0_EEESZ_S10_S11_S18_S1C_S1E_T6_T7_T9_mT8_S1G_bDpT10_ENKUlT_T0_E_clISt17integral_constantIbLb0EES1T_IbLb1EEEEDaS1P_S1Q_EUlS1P_E_NS1_11comp_targetILNS1_3genE9ELNS1_11target_archE1100ELNS1_3gpuE3ELNS1_3repE0EEENS1_30default_config_static_selectorELNS0_4arch9wavefront6targetE0EEEvS12_.uses_flat_scratch, 0
	.set _ZN7rocprim17ROCPRIM_400000_NS6detail17trampoline_kernelINS0_13select_configILj256ELj13ELNS0_17block_load_methodE3ELS4_3ELS4_3ELNS0_20block_scan_algorithmE0ELj4294967295EEENS1_25partition_config_selectorILNS1_17partition_subalgoE4EjNS0_10empty_typeEbEEZZNS1_14partition_implILS8_4ELb0ES6_15HIP_vector_typeIjLj2EENS0_17counting_iteratorIjlEEPS9_SG_NS0_5tupleIJPjSI_NS0_16reverse_iteratorISI_EEEEENSH_IJSG_SG_SG_EEES9_SI_JZNS1_25segmented_radix_sort_implINS0_14default_configELb0EPKiPiPKlPlN2at6native12_GLOBAL__N_18offset_tEEE10hipError_tPvRmT1_PNSt15iterator_traitsIS12_E10value_typeET2_T3_PNS13_IS18_E10value_typeET4_jRbjT5_S1E_jjP12ihipStream_tbEUljE_ZNSN_ISO_Lb0ESQ_SR_ST_SU_SY_EESZ_S10_S11_S12_S16_S17_S18_S1B_S1C_jS1D_jS1E_S1E_jjS1G_bEUljE0_EEESZ_S10_S11_S18_S1C_S1E_T6_T7_T9_mT8_S1G_bDpT10_ENKUlT_T0_E_clISt17integral_constantIbLb0EES1T_IbLb1EEEEDaS1P_S1Q_EUlS1P_E_NS1_11comp_targetILNS1_3genE9ELNS1_11target_archE1100ELNS1_3gpuE3ELNS1_3repE0EEENS1_30default_config_static_selectorELNS0_4arch9wavefront6targetE0EEEvS12_.has_dyn_sized_stack, 0
	.set _ZN7rocprim17ROCPRIM_400000_NS6detail17trampoline_kernelINS0_13select_configILj256ELj13ELNS0_17block_load_methodE3ELS4_3ELS4_3ELNS0_20block_scan_algorithmE0ELj4294967295EEENS1_25partition_config_selectorILNS1_17partition_subalgoE4EjNS0_10empty_typeEbEEZZNS1_14partition_implILS8_4ELb0ES6_15HIP_vector_typeIjLj2EENS0_17counting_iteratorIjlEEPS9_SG_NS0_5tupleIJPjSI_NS0_16reverse_iteratorISI_EEEEENSH_IJSG_SG_SG_EEES9_SI_JZNS1_25segmented_radix_sort_implINS0_14default_configELb0EPKiPiPKlPlN2at6native12_GLOBAL__N_18offset_tEEE10hipError_tPvRmT1_PNSt15iterator_traitsIS12_E10value_typeET2_T3_PNS13_IS18_E10value_typeET4_jRbjT5_S1E_jjP12ihipStream_tbEUljE_ZNSN_ISO_Lb0ESQ_SR_ST_SU_SY_EESZ_S10_S11_S12_S16_S17_S18_S1B_S1C_jS1D_jS1E_S1E_jjS1G_bEUljE0_EEESZ_S10_S11_S18_S1C_S1E_T6_T7_T9_mT8_S1G_bDpT10_ENKUlT_T0_E_clISt17integral_constantIbLb0EES1T_IbLb1EEEEDaS1P_S1Q_EUlS1P_E_NS1_11comp_targetILNS1_3genE9ELNS1_11target_archE1100ELNS1_3gpuE3ELNS1_3repE0EEENS1_30default_config_static_selectorELNS0_4arch9wavefront6targetE0EEEvS12_.has_recursion, 0
	.set _ZN7rocprim17ROCPRIM_400000_NS6detail17trampoline_kernelINS0_13select_configILj256ELj13ELNS0_17block_load_methodE3ELS4_3ELS4_3ELNS0_20block_scan_algorithmE0ELj4294967295EEENS1_25partition_config_selectorILNS1_17partition_subalgoE4EjNS0_10empty_typeEbEEZZNS1_14partition_implILS8_4ELb0ES6_15HIP_vector_typeIjLj2EENS0_17counting_iteratorIjlEEPS9_SG_NS0_5tupleIJPjSI_NS0_16reverse_iteratorISI_EEEEENSH_IJSG_SG_SG_EEES9_SI_JZNS1_25segmented_radix_sort_implINS0_14default_configELb0EPKiPiPKlPlN2at6native12_GLOBAL__N_18offset_tEEE10hipError_tPvRmT1_PNSt15iterator_traitsIS12_E10value_typeET2_T3_PNS13_IS18_E10value_typeET4_jRbjT5_S1E_jjP12ihipStream_tbEUljE_ZNSN_ISO_Lb0ESQ_SR_ST_SU_SY_EESZ_S10_S11_S12_S16_S17_S18_S1B_S1C_jS1D_jS1E_S1E_jjS1G_bEUljE0_EEESZ_S10_S11_S18_S1C_S1E_T6_T7_T9_mT8_S1G_bDpT10_ENKUlT_T0_E_clISt17integral_constantIbLb0EES1T_IbLb1EEEEDaS1P_S1Q_EUlS1P_E_NS1_11comp_targetILNS1_3genE9ELNS1_11target_archE1100ELNS1_3gpuE3ELNS1_3repE0EEENS1_30default_config_static_selectorELNS0_4arch9wavefront6targetE0EEEvS12_.has_indirect_call, 0
	.section	.AMDGPU.csdata,"",@progbits
; Kernel info:
; codeLenInByte = 0
; TotalNumSgprs: 0
; NumVgprs: 0
; ScratchSize: 0
; MemoryBound: 0
; FloatMode: 240
; IeeeMode: 1
; LDSByteSize: 0 bytes/workgroup (compile time only)
; SGPRBlocks: 0
; VGPRBlocks: 0
; NumSGPRsForWavesPerEU: 1
; NumVGPRsForWavesPerEU: 1
; Occupancy: 16
; WaveLimiterHint : 0
; COMPUTE_PGM_RSRC2:SCRATCH_EN: 0
; COMPUTE_PGM_RSRC2:USER_SGPR: 6
; COMPUTE_PGM_RSRC2:TRAP_HANDLER: 0
; COMPUTE_PGM_RSRC2:TGID_X_EN: 1
; COMPUTE_PGM_RSRC2:TGID_Y_EN: 0
; COMPUTE_PGM_RSRC2:TGID_Z_EN: 0
; COMPUTE_PGM_RSRC2:TIDIG_COMP_CNT: 0
	.section	.text._ZN7rocprim17ROCPRIM_400000_NS6detail17trampoline_kernelINS0_13select_configILj256ELj13ELNS0_17block_load_methodE3ELS4_3ELS4_3ELNS0_20block_scan_algorithmE0ELj4294967295EEENS1_25partition_config_selectorILNS1_17partition_subalgoE4EjNS0_10empty_typeEbEEZZNS1_14partition_implILS8_4ELb0ES6_15HIP_vector_typeIjLj2EENS0_17counting_iteratorIjlEEPS9_SG_NS0_5tupleIJPjSI_NS0_16reverse_iteratorISI_EEEEENSH_IJSG_SG_SG_EEES9_SI_JZNS1_25segmented_radix_sort_implINS0_14default_configELb0EPKiPiPKlPlN2at6native12_GLOBAL__N_18offset_tEEE10hipError_tPvRmT1_PNSt15iterator_traitsIS12_E10value_typeET2_T3_PNS13_IS18_E10value_typeET4_jRbjT5_S1E_jjP12ihipStream_tbEUljE_ZNSN_ISO_Lb0ESQ_SR_ST_SU_SY_EESZ_S10_S11_S12_S16_S17_S18_S1B_S1C_jS1D_jS1E_S1E_jjS1G_bEUljE0_EEESZ_S10_S11_S18_S1C_S1E_T6_T7_T9_mT8_S1G_bDpT10_ENKUlT_T0_E_clISt17integral_constantIbLb0EES1T_IbLb1EEEEDaS1P_S1Q_EUlS1P_E_NS1_11comp_targetILNS1_3genE8ELNS1_11target_archE1030ELNS1_3gpuE2ELNS1_3repE0EEENS1_30default_config_static_selectorELNS0_4arch9wavefront6targetE0EEEvS12_,"axG",@progbits,_ZN7rocprim17ROCPRIM_400000_NS6detail17trampoline_kernelINS0_13select_configILj256ELj13ELNS0_17block_load_methodE3ELS4_3ELS4_3ELNS0_20block_scan_algorithmE0ELj4294967295EEENS1_25partition_config_selectorILNS1_17partition_subalgoE4EjNS0_10empty_typeEbEEZZNS1_14partition_implILS8_4ELb0ES6_15HIP_vector_typeIjLj2EENS0_17counting_iteratorIjlEEPS9_SG_NS0_5tupleIJPjSI_NS0_16reverse_iteratorISI_EEEEENSH_IJSG_SG_SG_EEES9_SI_JZNS1_25segmented_radix_sort_implINS0_14default_configELb0EPKiPiPKlPlN2at6native12_GLOBAL__N_18offset_tEEE10hipError_tPvRmT1_PNSt15iterator_traitsIS12_E10value_typeET2_T3_PNS13_IS18_E10value_typeET4_jRbjT5_S1E_jjP12ihipStream_tbEUljE_ZNSN_ISO_Lb0ESQ_SR_ST_SU_SY_EESZ_S10_S11_S12_S16_S17_S18_S1B_S1C_jS1D_jS1E_S1E_jjS1G_bEUljE0_EEESZ_S10_S11_S18_S1C_S1E_T6_T7_T9_mT8_S1G_bDpT10_ENKUlT_T0_E_clISt17integral_constantIbLb0EES1T_IbLb1EEEEDaS1P_S1Q_EUlS1P_E_NS1_11comp_targetILNS1_3genE8ELNS1_11target_archE1030ELNS1_3gpuE2ELNS1_3repE0EEENS1_30default_config_static_selectorELNS0_4arch9wavefront6targetE0EEEvS12_,comdat
	.globl	_ZN7rocprim17ROCPRIM_400000_NS6detail17trampoline_kernelINS0_13select_configILj256ELj13ELNS0_17block_load_methodE3ELS4_3ELS4_3ELNS0_20block_scan_algorithmE0ELj4294967295EEENS1_25partition_config_selectorILNS1_17partition_subalgoE4EjNS0_10empty_typeEbEEZZNS1_14partition_implILS8_4ELb0ES6_15HIP_vector_typeIjLj2EENS0_17counting_iteratorIjlEEPS9_SG_NS0_5tupleIJPjSI_NS0_16reverse_iteratorISI_EEEEENSH_IJSG_SG_SG_EEES9_SI_JZNS1_25segmented_radix_sort_implINS0_14default_configELb0EPKiPiPKlPlN2at6native12_GLOBAL__N_18offset_tEEE10hipError_tPvRmT1_PNSt15iterator_traitsIS12_E10value_typeET2_T3_PNS13_IS18_E10value_typeET4_jRbjT5_S1E_jjP12ihipStream_tbEUljE_ZNSN_ISO_Lb0ESQ_SR_ST_SU_SY_EESZ_S10_S11_S12_S16_S17_S18_S1B_S1C_jS1D_jS1E_S1E_jjS1G_bEUljE0_EEESZ_S10_S11_S18_S1C_S1E_T6_T7_T9_mT8_S1G_bDpT10_ENKUlT_T0_E_clISt17integral_constantIbLb0EES1T_IbLb1EEEEDaS1P_S1Q_EUlS1P_E_NS1_11comp_targetILNS1_3genE8ELNS1_11target_archE1030ELNS1_3gpuE2ELNS1_3repE0EEENS1_30default_config_static_selectorELNS0_4arch9wavefront6targetE0EEEvS12_ ; -- Begin function _ZN7rocprim17ROCPRIM_400000_NS6detail17trampoline_kernelINS0_13select_configILj256ELj13ELNS0_17block_load_methodE3ELS4_3ELS4_3ELNS0_20block_scan_algorithmE0ELj4294967295EEENS1_25partition_config_selectorILNS1_17partition_subalgoE4EjNS0_10empty_typeEbEEZZNS1_14partition_implILS8_4ELb0ES6_15HIP_vector_typeIjLj2EENS0_17counting_iteratorIjlEEPS9_SG_NS0_5tupleIJPjSI_NS0_16reverse_iteratorISI_EEEEENSH_IJSG_SG_SG_EEES9_SI_JZNS1_25segmented_radix_sort_implINS0_14default_configELb0EPKiPiPKlPlN2at6native12_GLOBAL__N_18offset_tEEE10hipError_tPvRmT1_PNSt15iterator_traitsIS12_E10value_typeET2_T3_PNS13_IS18_E10value_typeET4_jRbjT5_S1E_jjP12ihipStream_tbEUljE_ZNSN_ISO_Lb0ESQ_SR_ST_SU_SY_EESZ_S10_S11_S12_S16_S17_S18_S1B_S1C_jS1D_jS1E_S1E_jjS1G_bEUljE0_EEESZ_S10_S11_S18_S1C_S1E_T6_T7_T9_mT8_S1G_bDpT10_ENKUlT_T0_E_clISt17integral_constantIbLb0EES1T_IbLb1EEEEDaS1P_S1Q_EUlS1P_E_NS1_11comp_targetILNS1_3genE8ELNS1_11target_archE1030ELNS1_3gpuE2ELNS1_3repE0EEENS1_30default_config_static_selectorELNS0_4arch9wavefront6targetE0EEEvS12_
	.p2align	8
	.type	_ZN7rocprim17ROCPRIM_400000_NS6detail17trampoline_kernelINS0_13select_configILj256ELj13ELNS0_17block_load_methodE3ELS4_3ELS4_3ELNS0_20block_scan_algorithmE0ELj4294967295EEENS1_25partition_config_selectorILNS1_17partition_subalgoE4EjNS0_10empty_typeEbEEZZNS1_14partition_implILS8_4ELb0ES6_15HIP_vector_typeIjLj2EENS0_17counting_iteratorIjlEEPS9_SG_NS0_5tupleIJPjSI_NS0_16reverse_iteratorISI_EEEEENSH_IJSG_SG_SG_EEES9_SI_JZNS1_25segmented_radix_sort_implINS0_14default_configELb0EPKiPiPKlPlN2at6native12_GLOBAL__N_18offset_tEEE10hipError_tPvRmT1_PNSt15iterator_traitsIS12_E10value_typeET2_T3_PNS13_IS18_E10value_typeET4_jRbjT5_S1E_jjP12ihipStream_tbEUljE_ZNSN_ISO_Lb0ESQ_SR_ST_SU_SY_EESZ_S10_S11_S12_S16_S17_S18_S1B_S1C_jS1D_jS1E_S1E_jjS1G_bEUljE0_EEESZ_S10_S11_S18_S1C_S1E_T6_T7_T9_mT8_S1G_bDpT10_ENKUlT_T0_E_clISt17integral_constantIbLb0EES1T_IbLb1EEEEDaS1P_S1Q_EUlS1P_E_NS1_11comp_targetILNS1_3genE8ELNS1_11target_archE1030ELNS1_3gpuE2ELNS1_3repE0EEENS1_30default_config_static_selectorELNS0_4arch9wavefront6targetE0EEEvS12_,@function
_ZN7rocprim17ROCPRIM_400000_NS6detail17trampoline_kernelINS0_13select_configILj256ELj13ELNS0_17block_load_methodE3ELS4_3ELS4_3ELNS0_20block_scan_algorithmE0ELj4294967295EEENS1_25partition_config_selectorILNS1_17partition_subalgoE4EjNS0_10empty_typeEbEEZZNS1_14partition_implILS8_4ELb0ES6_15HIP_vector_typeIjLj2EENS0_17counting_iteratorIjlEEPS9_SG_NS0_5tupleIJPjSI_NS0_16reverse_iteratorISI_EEEEENSH_IJSG_SG_SG_EEES9_SI_JZNS1_25segmented_radix_sort_implINS0_14default_configELb0EPKiPiPKlPlN2at6native12_GLOBAL__N_18offset_tEEE10hipError_tPvRmT1_PNSt15iterator_traitsIS12_E10value_typeET2_T3_PNS13_IS18_E10value_typeET4_jRbjT5_S1E_jjP12ihipStream_tbEUljE_ZNSN_ISO_Lb0ESQ_SR_ST_SU_SY_EESZ_S10_S11_S12_S16_S17_S18_S1B_S1C_jS1D_jS1E_S1E_jjS1G_bEUljE0_EEESZ_S10_S11_S18_S1C_S1E_T6_T7_T9_mT8_S1G_bDpT10_ENKUlT_T0_E_clISt17integral_constantIbLb0EES1T_IbLb1EEEEDaS1P_S1Q_EUlS1P_E_NS1_11comp_targetILNS1_3genE8ELNS1_11target_archE1030ELNS1_3gpuE2ELNS1_3repE0EEENS1_30default_config_static_selectorELNS0_4arch9wavefront6targetE0EEEvS12_: ; @_ZN7rocprim17ROCPRIM_400000_NS6detail17trampoline_kernelINS0_13select_configILj256ELj13ELNS0_17block_load_methodE3ELS4_3ELS4_3ELNS0_20block_scan_algorithmE0ELj4294967295EEENS1_25partition_config_selectorILNS1_17partition_subalgoE4EjNS0_10empty_typeEbEEZZNS1_14partition_implILS8_4ELb0ES6_15HIP_vector_typeIjLj2EENS0_17counting_iteratorIjlEEPS9_SG_NS0_5tupleIJPjSI_NS0_16reverse_iteratorISI_EEEEENSH_IJSG_SG_SG_EEES9_SI_JZNS1_25segmented_radix_sort_implINS0_14default_configELb0EPKiPiPKlPlN2at6native12_GLOBAL__N_18offset_tEEE10hipError_tPvRmT1_PNSt15iterator_traitsIS12_E10value_typeET2_T3_PNS13_IS18_E10value_typeET4_jRbjT5_S1E_jjP12ihipStream_tbEUljE_ZNSN_ISO_Lb0ESQ_SR_ST_SU_SY_EESZ_S10_S11_S12_S16_S17_S18_S1B_S1C_jS1D_jS1E_S1E_jjS1G_bEUljE0_EEESZ_S10_S11_S18_S1C_S1E_T6_T7_T9_mT8_S1G_bDpT10_ENKUlT_T0_E_clISt17integral_constantIbLb0EES1T_IbLb1EEEEDaS1P_S1Q_EUlS1P_E_NS1_11comp_targetILNS1_3genE8ELNS1_11target_archE1030ELNS1_3gpuE2ELNS1_3repE0EEENS1_30default_config_static_selectorELNS0_4arch9wavefront6targetE0EEEvS12_
; %bb.0:
	s_clause 0x7
	s_load_dwordx2 s[34:35], s[4:5], 0x10
	s_load_dwordx4 s[28:31], s[4:5], 0x28
	s_load_dwordx2 s[14:15], s[4:5], 0x38
	s_load_dwordx4 s[24:27], s[4:5], 0x58
	s_load_dwordx2 s[2:3], s[4:5], 0x68
	s_load_dwordx2 s[36:37], s[4:5], 0x78
	;; [unrolled: 1-line block ×3, first 2 shown]
	s_load_dwordx8 s[16:23], s[4:5], 0x90
	v_cmp_eq_u32_e64 s0, 0, v0
	s_and_saveexec_b32 s1, s0
	s_cbranch_execz .LBB562_4
; %bb.1:
	s_mov_b32 s7, exec_lo
	s_mov_b32 s6, exec_lo
	v_mbcnt_lo_u32_b32 v1, s7, 0
                                        ; implicit-def: $vgpr2
	v_cmpx_eq_u32_e32 0, v1
	s_cbranch_execz .LBB562_3
; %bb.2:
	s_load_dwordx2 s[8:9], s[4:5], 0x88
	s_bcnt1_i32_b32 s7, s7
	v_mov_b32_e32 v2, 0
	v_mov_b32_e32 v3, s7
	s_waitcnt lgkmcnt(0)
	global_atomic_add v2, v2, v3, s[8:9] glc
.LBB562_3:
	s_or_b32 exec_lo, exec_lo, s6
	s_waitcnt vmcnt(0)
	v_readfirstlane_b32 s6, v2
	v_mov_b32_e32 v2, 0
	v_add_nc_u32_e32 v1, s6, v1
	ds_write_b32 v2, v1
.LBB562_4:
	s_or_b32 exec_lo, exec_lo, s1
	v_mov_b32_e32 v1, 0
	s_clause 0x1
	s_load_dword s6, s[4:5], 0x8
	s_load_dword s1, s[4:5], 0x80
	s_waitcnt lgkmcnt(0)
	s_barrier
	buffer_gl0_inv
	ds_read_b32 v5, v1
	s_waitcnt lgkmcnt(0)
	s_barrier
	buffer_gl0_inv
	global_load_dwordx4 v[1:4], v1, s[26:27]
	s_add_i32 s5, s6, s34
	s_mul_i32 s4, s1, 0xd00
	s_add_i32 s1, s1, -1
	s_add_u32 s6, s34, s4
	s_addc_u32 s7, s35, 0
	v_mul_lo_u32 v31, 0xd00, v5
	v_readfirstlane_b32 s27, v5
	v_cmp_gt_u64_e64 s3, s[2:3], s[6:7]
	v_cmp_ne_u32_e32 vcc_lo, s1, v5
	s_cmp_eq_u32 s27, s1
	s_cselect_b32 s26, -1, 0
	v_add3_u32 v5, v31, s5, v0
	s_or_b32 s1, s3, vcc_lo
	s_mov_b32 s3, -1
	s_and_b32 vcc_lo, exec_lo, s1
	v_add_nc_u32_e32 v6, 0x100, v5
	v_add_nc_u32_e32 v7, 0x200, v5
	;; [unrolled: 1-line block ×12, first 2 shown]
	s_cbranch_vccz .LBB562_6
; %bb.5:
	v_lshlrev_b32_e32 v18, 2, v0
	s_mov_b32 s3, 0
	ds_write2st64_b32 v18, v5, v6 offset1:4
	ds_write2st64_b32 v18, v7, v8 offset0:8 offset1:12
	ds_write2st64_b32 v18, v9, v10 offset0:16 offset1:20
	;; [unrolled: 1-line block ×5, first 2 shown]
	ds_write_b32 v18, v17 offset:12288
	s_waitcnt vmcnt(0) lgkmcnt(0)
	s_barrier
.LBB562_6:
	s_andn2_b32 vcc_lo, exec_lo, s3
	s_add_i32 s4, s4, s34
	s_cbranch_vccnz .LBB562_8
; %bb.7:
	v_lshlrev_b32_e32 v18, 2, v0
	ds_write2st64_b32 v18, v5, v6 offset1:4
	ds_write2st64_b32 v18, v7, v8 offset0:8 offset1:12
	ds_write2st64_b32 v18, v9, v10 offset0:16 offset1:20
	;; [unrolled: 1-line block ×5, first 2 shown]
	ds_write_b32 v18, v17 offset:12288
	s_waitcnt vmcnt(0) lgkmcnt(0)
	s_barrier
.LBB562_8:
	v_mul_u32_u24_e32 v34, 13, v0
	s_waitcnt vmcnt(0)
	buffer_gl0_inv
	v_cndmask_b32_e64 v32, 0, 1, s1
	s_sub_i32 s33, s2, s4
	s_andn2_b32 vcc_lo, exec_lo, s1
	v_lshlrev_b32_e32 v5, 2, v34
	ds_read_b32 v33, v5 offset:48
	ds_read2_b32 v[13:14], v5 offset0:10 offset1:11
	ds_read2_b32 v[15:16], v5 offset0:8 offset1:9
	;; [unrolled: 1-line block ×4, first 2 shown]
	ds_read2_b32 v[23:24], v5 offset1:1
	ds_read2_b32 v[21:22], v5 offset0:2 offset1:3
	s_waitcnt lgkmcnt(0)
	s_barrier
	buffer_gl0_inv
	s_cbranch_vccnz .LBB562_36
; %bb.9:
	v_add_nc_u32_e32 v5, s17, v23
	v_add_nc_u32_e32 v6, s19, v23
	s_mov_b32 s41, 0
	s_mov_b32 s40, 0
	s_mov_b32 s2, exec_lo
	v_mul_lo_u32 v5, v5, s16
	v_mul_lo_u32 v6, v6, s18
	v_sub_nc_u32_e32 v5, v5, v6
	v_cmp_lt_u32_e32 vcc_lo, s20, v5
	v_cmpx_ge_u32_e64 s20, v5
	s_cbranch_execz .LBB562_11
; %bb.10:
	v_add_nc_u32_e32 v5, s22, v23
	v_add_nc_u32_e32 v6, s38, v23
	v_mul_lo_u32 v5, v5, s21
	v_mul_lo_u32 v6, v6, s23
	v_sub_nc_u32_e32 v5, v5, v6
	v_cmp_lt_u32_e64 s1, s39, v5
	s_and_b32 s40, s1, exec_lo
.LBB562_11:
	s_or_b32 exec_lo, exec_lo, s2
	v_add_nc_u32_e32 v5, s17, v24
	v_add_nc_u32_e32 v6, s19, v24
	s_mov_b32 s3, exec_lo
	v_mul_lo_u32 v5, v5, s16
	v_mul_lo_u32 v6, v6, s18
	v_sub_nc_u32_e32 v5, v5, v6
	v_cmp_lt_u32_e64 s1, s20, v5
	v_cmpx_ge_u32_e64 s20, v5
	s_cbranch_execz .LBB562_13
; %bb.12:
	v_add_nc_u32_e32 v5, s22, v24
	v_add_nc_u32_e32 v6, s38, v24
	v_mul_lo_u32 v5, v5, s21
	v_mul_lo_u32 v6, v6, s23
	v_sub_nc_u32_e32 v5, v5, v6
	v_cmp_lt_u32_e64 s2, s39, v5
	s_and_b32 s41, s2, exec_lo
.LBB562_13:
	s_or_b32 exec_lo, exec_lo, s3
	v_add_nc_u32_e32 v5, s17, v21
	v_add_nc_u32_e32 v6, s19, v21
	s_mov_b32 s43, 0
	s_mov_b32 s42, 0
	s_mov_b32 s4, exec_lo
	v_mul_lo_u32 v5, v5, s16
	v_mul_lo_u32 v6, v6, s18
	v_sub_nc_u32_e32 v5, v5, v6
	v_cmp_lt_u32_e64 s2, s20, v5
	v_cmpx_ge_u32_e64 s20, v5
	s_cbranch_execz .LBB562_15
; %bb.14:
	v_add_nc_u32_e32 v5, s22, v21
	v_add_nc_u32_e32 v6, s38, v21
	v_mul_lo_u32 v5, v5, s21
	v_mul_lo_u32 v6, v6, s23
	v_sub_nc_u32_e32 v5, v5, v6
	v_cmp_lt_u32_e64 s3, s39, v5
	s_and_b32 s42, s3, exec_lo
.LBB562_15:
	s_or_b32 exec_lo, exec_lo, s4
	v_add_nc_u32_e32 v5, s17, v22
	v_add_nc_u32_e32 v6, s19, v22
	s_mov_b32 s5, exec_lo
	v_mul_lo_u32 v5, v5, s16
	v_mul_lo_u32 v6, v6, s18
	v_sub_nc_u32_e32 v5, v5, v6
	v_cmp_lt_u32_e64 s3, s20, v5
	v_cmpx_ge_u32_e64 s20, v5
	s_cbranch_execz .LBB562_17
; %bb.16:
	v_add_nc_u32_e32 v5, s22, v22
	v_add_nc_u32_e32 v6, s38, v22
	v_mul_lo_u32 v5, v5, s21
	v_mul_lo_u32 v6, v6, s23
	v_sub_nc_u32_e32 v5, v5, v6
	v_cmp_lt_u32_e64 s4, s39, v5
	s_and_b32 s43, s4, exec_lo
.LBB562_17:
	s_or_b32 exec_lo, exec_lo, s5
	v_add_nc_u32_e32 v5, s17, v19
	v_add_nc_u32_e32 v6, s19, v19
	s_mov_b32 s45, 0
	s_mov_b32 s44, 0
	s_mov_b32 s6, exec_lo
	v_mul_lo_u32 v5, v5, s16
	v_mul_lo_u32 v6, v6, s18
	v_sub_nc_u32_e32 v5, v5, v6
	v_cmp_lt_u32_e64 s4, s20, v5
	;; [unrolled: 40-line block ×6, first 2 shown]
	v_cmpx_ge_u32_e64 s20, v5
	s_cbranch_execz .LBB562_35
; %bb.34:
	v_add_nc_u32_e32 v5, s22, v33
	v_add_nc_u32_e32 v6, s38, v33
	v_mul_lo_u32 v5, v5, s21
	v_mul_lo_u32 v6, v6, s23
	v_sub_nc_u32_e32 v5, v5, v6
	v_cmp_lt_u32_e64 s13, s39, v5
	s_and_b32 s53, s13, exec_lo
.LBB562_35:
	s_or_b32 exec_lo, exec_lo, s54
	v_cndmask_b32_e64 v6, 0, 1, s1
	v_cndmask_b32_e64 v8, 0, 1, s3
	v_cndmask_b32_e64 v5, 0, 1, vcc_lo
	v_cndmask_b32_e64 v7, 0, 1, s2
	v_cndmask_b32_e64 v10, 0, 1, s5
	v_lshlrev_b16 v6, 8, v6
	v_lshlrev_b16 v8, 8, v8
	v_cndmask_b32_e64 v12, 0, 1, s7
	v_cndmask_b32_e64 v26, 0, 1, s9
	;; [unrolled: 1-line block ×3, first 2 shown]
	v_or_b32_e32 v5, v5, v6
	v_or_b32_sdwa v6, v7, v8 dst_sel:WORD_1 dst_unused:UNUSED_PAD src0_sel:DWORD src1_sel:DWORD
	v_cndmask_b32_e64 v7, 0, 1, s40
	v_cndmask_b32_e64 v9, 0, 1, s4
	;; [unrolled: 1-line block ×11, first 2 shown]
	v_or_b32_sdwa v35, v5, v6 dst_sel:DWORD dst_unused:UNUSED_PAD src0_sel:WORD_0 src1_sel:DWORD
	v_lshlrev_b16 v5, 8, v10
	v_lshlrev_b16 v6, 8, v12
	;; [unrolled: 1-line block ×5, first 2 shown]
	v_cndmask_b32_e64 v30, 0, 1, s49
	v_cndmask_b32_e64 v37, 0, 1, s47
	;; [unrolled: 1-line block ×5, first 2 shown]
	v_or_b32_e32 v5, v9, v5
	v_or_b32_sdwa v6, v11, v6 dst_sel:WORD_1 dst_unused:UNUSED_PAD src0_sel:DWORD src1_sel:DWORD
	v_or_b32_e32 v9, v25, v10
	v_or_b32_sdwa v10, v27, v12 dst_sel:WORD_1 dst_unused:UNUSED_PAD src0_sel:DWORD src1_sel:DWORD
	v_or_b32_e32 v7, v8, v7
	v_lshlrev_b16 v8, 8, v44
	v_lshlrev_b16 v11, 8, v41
	;; [unrolled: 1-line block ×5, first 2 shown]
	v_or_b32_sdwa v8, v45, v8 dst_sel:WORD_1 dst_unused:UNUSED_PAD src0_sel:DWORD src1_sel:DWORD
	v_or_b32_e32 v11, v43, v11
	v_or_b32_sdwa v12, v40, v12 dst_sel:WORD_1 dst_unused:UNUSED_PAD src0_sel:DWORD src1_sel:DWORD
	v_or_b32_e32 v25, v37, v25
	v_or_b32_sdwa v26, v30, v26 dst_sel:WORD_1 dst_unused:UNUSED_PAD src0_sel:DWORD src1_sel:DWORD
	v_cndmask_b32_e64 v39, 0, 1, s51
	v_cndmask_b32_e64 v42, 0, 1, s53
	v_or_b32_sdwa v37, v5, v6 dst_sel:DWORD dst_unused:UNUSED_PAD src0_sel:WORD_0 src1_sel:DWORD
	v_or_b32_sdwa v40, v9, v10 dst_sel:DWORD dst_unused:UNUSED_PAD src0_sel:WORD_0 src1_sel:DWORD
	;; [unrolled: 1-line block ×5, first 2 shown]
	s_and_b32 vcc_lo, exec_lo, s50
	s_add_i32 s5, s33, 0xd00
	s_cbranch_vccnz .LBB562_37
	s_branch .LBB562_114
.LBB562_36:
                                        ; implicit-def: $vgpr42
                                        ; implicit-def: $vgpr39
                                        ; implicit-def: $vgpr38
                                        ; implicit-def: $vgpr36
                                        ; implicit-def: $vgpr41
                                        ; implicit-def: $vgpr40
                                        ; implicit-def: $vgpr37
                                        ; implicit-def: $vgpr35
	s_add_i32 s5, s33, 0xd00
	s_cbranch_execz .LBB562_114
.LBB562_37:
	v_mov_b32_e32 v6, 0
	v_mov_b32_e32 v5, 0
	s_mov_b32 s2, exec_lo
	v_cmpx_gt_u32_e64 s5, v34
	s_cbranch_execz .LBB562_41
; %bb.38:
	v_add_nc_u32_e32 v5, s17, v23
	v_add_nc_u32_e32 v6, s19, v23
	s_mov_b32 s4, 0
	s_mov_b32 s3, exec_lo
	v_mul_lo_u32 v5, v5, s16
	v_mul_lo_u32 v6, v6, s18
	v_sub_nc_u32_e32 v5, v5, v6
	v_cmp_lt_u32_e32 vcc_lo, s20, v5
	v_cmpx_ge_u32_e64 s20, v5
	s_cbranch_execz .LBB562_40
; %bb.39:
	v_add_nc_u32_e32 v5, s22, v23
	v_add_nc_u32_e32 v6, s38, v23
	v_mul_lo_u32 v5, v5, s21
	v_mul_lo_u32 v6, v6, s23
	v_sub_nc_u32_e32 v5, v5, v6
	v_cmp_lt_u32_e64 s1, s39, v5
	s_and_b32 s4, s1, exec_lo
.LBB562_40:
	s_or_b32 exec_lo, exec_lo, s3
	v_cndmask_b32_e64 v6, 0, 1, s4
	v_cndmask_b32_e64 v5, 0, 1, vcc_lo
.LBB562_41:
	s_or_b32 exec_lo, exec_lo, s2
	v_add_nc_u32_e32 v7, 1, v34
	v_lshlrev_b16 v25, 8, v6
	v_and_b32_e32 v10, 0xff, v5
	v_lshlrev_b16 v11, 8, 0
                                        ; implicit-def: $vgpr9
                                        ; implicit-def: $vgpr12
                                        ; implicit-def: $vgpr6
                                        ; implicit-def: $vgpr8
	v_cmp_le_u32_e32 vcc_lo, s5, v7
                                        ; implicit-def: $vgpr7
	s_and_saveexec_b32 s1, vcc_lo
	s_xor_b32 s1, exec_lo, s1
	s_cbranch_execz .LBB562_43
; %bb.42:
	v_mov_b32_e32 v5, 8
	v_mov_b32_e32 v6, 0xff
	;; [unrolled: 1-line block ×3, first 2 shown]
	v_and_b32_e32 v8, 0xffff, v11
	v_and_b32_e32 v7, 0xffff, v11
	v_lshrrev_b32_sdwa v5, v5, v25 dst_sel:BYTE_1 dst_unused:UNUSED_PAD src0_sel:DWORD src1_sel:WORD_0
	v_and_b32_sdwa v6, v25, v6 dst_sel:DWORD dst_unused:UNUSED_PAD src0_sel:WORD_0 src1_sel:DWORD
                                        ; implicit-def: $vgpr25
	v_or_b32_e32 v5, v6, v5
	v_and_b32_e32 v6, 0xffff, v11
                                        ; implicit-def: $vgpr11
	v_and_b32_e32 v12, 0xffff, v5
                                        ; implicit-def: $vgpr5
.LBB562_43:
	s_andn2_saveexec_b32 s2, s1
	s_cbranch_execz .LBB562_47
; %bb.44:
	v_add_nc_u32_e32 v6, s17, v24
	v_add_nc_u32_e32 v7, s19, v24
	s_mov_b32 s3, 0
	s_mov_b32 s4, exec_lo
	v_mul_lo_u32 v6, v6, s16
	v_mul_lo_u32 v7, v7, s18
	v_sub_nc_u32_e32 v6, v6, v7
	v_cmp_lt_u32_e32 vcc_lo, s20, v6
	v_cmpx_ge_u32_e64 s20, v6
	s_cbranch_execz .LBB562_46
; %bb.45:
	v_add_nc_u32_e32 v6, s22, v24
	v_add_nc_u32_e32 v7, s38, v24
	v_mul_lo_u32 v6, v6, s21
	v_mul_lo_u32 v7, v7, s23
	v_sub_nc_u32_e32 v6, v6, v7
	v_cmp_lt_u32_e64 s1, s39, v6
	s_and_b32 s3, s1, exec_lo
.LBB562_46:
	s_or_b32 exec_lo, exec_lo, s4
	v_mov_b32_e32 v6, 0xff
	v_mov_b32_e32 v7, 8
	v_cndmask_b32_e64 v8, 0, 1, vcc_lo
	v_mov_b32_e32 v9, 0
	v_and_b32_sdwa v6, v25, v6 dst_sel:DWORD dst_unused:UNUSED_PAD src0_sel:WORD_0 src1_sel:DWORD
	v_lshrrev_b32_sdwa v7, v7, v25 dst_sel:BYTE_1 dst_unused:UNUSED_PAD src0_sel:DWORD src1_sel:WORD_0
	v_lshlrev_b16 v8, 8, v8
	v_or_b32_e32 v6, v6, v7
	v_cndmask_b32_e64 v7, 0, 1, s3
	v_or_b32_sdwa v5, v5, v8 dst_sel:DWORD dst_unused:UNUSED_PAD src0_sel:BYTE_0 src1_sel:DWORD
	v_and_b32_e32 v8, 0xffff, v11
	v_and_b32_e32 v12, 0xffff, v6
	v_mov_b32_e32 v6, 0
	v_and_b32_e32 v10, 0xffff, v5
	v_lshl_or_b32 v12, v7, 16, v12
	v_and_b32_e32 v7, 0xffff, v11
.LBB562_47:
	s_or_b32 exec_lo, exec_lo, s2
	v_add_nc_u32_e32 v5, 2, v34
                                        ; implicit-def: $vgpr11
	v_cmp_le_u32_e32 vcc_lo, s5, v5
                                        ; implicit-def: $vgpr5
	s_and_saveexec_b32 s1, vcc_lo
	s_xor_b32 s1, exec_lo, s1
	s_cbranch_execz .LBB562_49
; %bb.48:
	v_lshrrev_b32_e32 v5, 24, v10
	v_mov_b32_e32 v11, 8
	v_and_b32_e32 v25, 0xff0000, v12
	v_perm_b32 v8, v8, v8, 0x3060504
	v_perm_b32 v5, v5, v10, 0x40c0100
	v_lshrrev_b32_sdwa v10, v11, v5 dst_sel:BYTE_1 dst_unused:UNUSED_PAD src0_sel:DWORD src1_sel:DWORD
	v_or_b32_sdwa v10, v5, v10 dst_sel:DWORD dst_unused:UNUSED_PAD src0_sel:BYTE_0 src1_sel:DWORD
	v_and_b32_e32 v10, 0xffff, v10
	v_and_or_b32 v11, 0xff000000, v5, v10
	v_perm_b32 v5, v12, v25, 0x3020504
                                        ; implicit-def: $vgpr10
                                        ; implicit-def: $vgpr12
.LBB562_49:
	s_andn2_saveexec_b32 s2, s1
	s_cbranch_execz .LBB562_53
; %bb.50:
	v_add_nc_u32_e32 v5, s17, v21
	v_add_nc_u32_e32 v11, s19, v21
	s_mov_b32 s3, 0
	s_mov_b32 s4, exec_lo
	v_mul_lo_u32 v5, v5, s16
	v_mul_lo_u32 v11, v11, s18
	v_sub_nc_u32_e32 v5, v5, v11
	v_cmp_lt_u32_e32 vcc_lo, s20, v5
	v_cmpx_ge_u32_e64 s20, v5
	s_cbranch_execz .LBB562_52
; %bb.51:
	v_add_nc_u32_e32 v5, s22, v21
	v_add_nc_u32_e32 v11, s38, v21
	v_mul_lo_u32 v5, v5, s21
	v_mul_lo_u32 v11, v11, s23
	v_sub_nc_u32_e32 v5, v5, v11
	v_cmp_lt_u32_e64 s1, s39, v5
	s_and_b32 s3, s1, exec_lo
.LBB562_52:
	s_or_b32 exec_lo, exec_lo, s4
	v_mov_b32_e32 v5, 8
	v_mov_b32_e32 v11, 24
	v_cndmask_b32_e64 v26, 0, 1, s3
	v_mov_b32_e32 v27, 0xff
	v_cndmask_b32_e64 v25, 0, 1, vcc_lo
	v_lshrrev_b32_sdwa v28, v5, v10 dst_sel:BYTE_1 dst_unused:UNUSED_PAD src0_sel:DWORD src1_sel:DWORD
	v_lshrrev_b32_sdwa v11, v11, v10 dst_sel:BYTE_1 dst_unused:UNUSED_PAD src0_sel:DWORD src1_sel:DWORD
	;; [unrolled: 1-line block ×3, first 2 shown]
	v_lshlrev_b16 v26, 8, v26
	v_and_b32_sdwa v27, v12, v27 dst_sel:DWORD dst_unused:UNUSED_PAD src0_sel:WORD_1 src1_sel:DWORD
	v_or_b32_sdwa v10, v10, v28 dst_sel:DWORD dst_unused:UNUSED_PAD src0_sel:BYTE_0 src1_sel:DWORD
	v_or_b32_sdwa v11, v25, v11 dst_sel:WORD_1 dst_unused:UNUSED_PAD src0_sel:DWORD src1_sel:DWORD
	v_or_b32_sdwa v5, v12, v5 dst_sel:DWORD dst_unused:UNUSED_PAD src0_sel:BYTE_0 src1_sel:DWORD
	v_or_b32_sdwa v12, v27, v26 dst_sel:WORD_1 dst_unused:UNUSED_PAD src0_sel:DWORD src1_sel:DWORD
	v_or_b32_sdwa v11, v10, v11 dst_sel:DWORD dst_unused:UNUSED_PAD src0_sel:WORD_0 src1_sel:DWORD
	v_or_b32_sdwa v5, v5, v12 dst_sel:DWORD dst_unused:UNUSED_PAD src0_sel:WORD_0 src1_sel:DWORD
.LBB562_53:
	s_or_b32 exec_lo, exec_lo, s2
	v_add_nc_u32_e32 v10, 3, v34
                                        ; implicit-def: $vgpr35
	v_cmp_le_u32_e32 vcc_lo, s5, v10
                                        ; implicit-def: $vgpr10
	s_and_saveexec_b32 s1, vcc_lo
	s_xor_b32 s1, exec_lo, s1
	s_cbranch_execz .LBB562_55
; %bb.54:
	v_mov_b32_e32 v10, 24
	v_mov_b32_e32 v12, 0xff
	;; [unrolled: 1-line block ×3, first 2 shown]
	v_and_b32_e32 v26, 0xff0000, v11
	v_perm_b32 v8, v8, v8, 0x3060504
	v_lshrrev_b32_sdwa v10, v10, v9 dst_sel:BYTE_1 dst_unused:UNUSED_PAD src0_sel:DWORD src1_sel:DWORD
	v_and_b32_sdwa v12, v9, v12 dst_sel:DWORD dst_unused:UNUSED_PAD src0_sel:WORD_1 src1_sel:DWORD
	v_lshrrev_b32_sdwa v9, v25, v9 dst_sel:BYTE_1 dst_unused:UNUSED_PAD src0_sel:DWORD src1_sel:DWORD
	v_perm_b32 v35, v11, v26, 0x3020504
	v_perm_b32 v7, v7, v7, 0x3060504
                                        ; implicit-def: $vgpr11
	v_or_b32_sdwa v10, v12, v10 dst_sel:WORD_1 dst_unused:UNUSED_PAD src0_sel:DWORD src1_sel:DWORD
	v_or_b32_sdwa v10, v9, v10 dst_sel:DWORD dst_unused:UNUSED_PAD src0_sel:WORD_0 src1_sel:DWORD
                                        ; implicit-def: $vgpr9
.LBB562_55:
	s_andn2_saveexec_b32 s2, s1
	s_cbranch_execz .LBB562_59
; %bb.56:
	v_add_nc_u32_e32 v10, s17, v22
	v_add_nc_u32_e32 v12, s19, v22
	s_mov_b32 s3, 0
	s_mov_b32 s4, exec_lo
	v_mul_lo_u32 v10, v10, s16
	v_mul_lo_u32 v12, v12, s18
	v_sub_nc_u32_e32 v10, v10, v12
	v_cmp_lt_u32_e32 vcc_lo, s20, v10
	v_cmpx_ge_u32_e64 s20, v10
	s_cbranch_execz .LBB562_58
; %bb.57:
	v_add_nc_u32_e32 v10, s22, v22
	v_add_nc_u32_e32 v12, s38, v22
	v_mul_lo_u32 v10, v10, s21
	v_mul_lo_u32 v12, v12, s23
	v_sub_nc_u32_e32 v10, v10, v12
	v_cmp_lt_u32_e64 s1, s39, v10
	s_and_b32 s3, s1, exec_lo
.LBB562_58:
	s_or_b32 exec_lo, exec_lo, s4
	v_mov_b32_e32 v10, 8
	v_cndmask_b32_e64 v12, 0, 1, vcc_lo
	v_mov_b32_e32 v25, 0xff
	v_mov_b32_e32 v26, 24
	v_cndmask_b32_e64 v27, 0, 1, s3
	v_lshrrev_b32_sdwa v28, v10, v11 dst_sel:BYTE_1 dst_unused:UNUSED_PAD src0_sel:DWORD src1_sel:DWORD
	v_lshlrev_b16 v12, 8, v12
	v_and_b32_sdwa v29, v11, v25 dst_sel:DWORD dst_unused:UNUSED_PAD src0_sel:WORD_1 src1_sel:DWORD
	v_lshrrev_b32_sdwa v26, v26, v9 dst_sel:BYTE_1 dst_unused:UNUSED_PAD src0_sel:DWORD src1_sel:DWORD
	v_and_b32_sdwa v25, v9, v25 dst_sel:DWORD dst_unused:UNUSED_PAD src0_sel:WORD_1 src1_sel:DWORD
	v_lshrrev_b32_sdwa v9, v10, v9 dst_sel:BYTE_1 dst_unused:UNUSED_PAD src0_sel:DWORD src1_sel:DWORD
	v_or_b32_sdwa v10, v11, v28 dst_sel:DWORD dst_unused:UNUSED_PAD src0_sel:BYTE_0 src1_sel:DWORD
	v_or_b32_sdwa v11, v29, v12 dst_sel:WORD_1 dst_unused:UNUSED_PAD src0_sel:DWORD src1_sel:DWORD
	v_or_b32_sdwa v12, v25, v26 dst_sel:WORD_1 dst_unused:UNUSED_PAD src0_sel:DWORD src1_sel:DWORD
	v_or_b32_e32 v9, v27, v9
	v_or_b32_sdwa v35, v10, v11 dst_sel:DWORD dst_unused:UNUSED_PAD src0_sel:WORD_0 src1_sel:DWORD
	v_or_b32_sdwa v10, v9, v12 dst_sel:DWORD dst_unused:UNUSED_PAD src0_sel:WORD_0 src1_sel:DWORD
.LBB562_59:
	s_or_b32 exec_lo, exec_lo, s2
	v_add_nc_u32_e32 v9, 4, v34
                                        ; implicit-def: $vgpr11
	v_cmp_le_u32_e32 vcc_lo, s5, v9
                                        ; implicit-def: $vgpr9
	s_and_saveexec_b32 s1, vcc_lo
	s_xor_b32 s1, exec_lo, s1
	s_cbranch_execz .LBB562_61
; %bb.60:
	v_mov_b32_e32 v9, 24
	v_mov_b32_e32 v11, 0xff
	;; [unrolled: 1-line block ×3, first 2 shown]
	v_perm_b32 v7, v7, v7, 0x3060504
	v_lshrrev_b32_sdwa v25, v9, v8 dst_sel:BYTE_1 dst_unused:UNUSED_PAD src0_sel:DWORD src1_sel:DWORD
	v_and_b32_sdwa v26, v8, v11 dst_sel:DWORD dst_unused:UNUSED_PAD src0_sel:WORD_1 src1_sel:DWORD
	v_lshrrev_b32_sdwa v9, v9, v10 dst_sel:BYTE_1 dst_unused:UNUSED_PAD src0_sel:DWORD src1_sel:DWORD
	v_and_b32_sdwa v11, v10, v11 dst_sel:DWORD dst_unused:UNUSED_PAD src0_sel:WORD_1 src1_sel:DWORD
	v_lshrrev_b32_sdwa v8, v12, v8 dst_sel:BYTE_1 dst_unused:UNUSED_PAD src0_sel:DWORD src1_sel:DWORD
	v_or_b32_sdwa v12, v26, v25 dst_sel:WORD_1 dst_unused:UNUSED_PAD src0_sel:DWORD src1_sel:DWORD
	v_or_b32_e32 v11, v11, v9
	v_or_b32_sdwa v9, v8, v12 dst_sel:DWORD dst_unused:UNUSED_PAD src0_sel:WORD_0 src1_sel:DWORD
                                        ; implicit-def: $vgpr8
	v_perm_b32 v11, v11, v10, 0x5040c00
                                        ; implicit-def: $vgpr10
.LBB562_61:
	s_andn2_saveexec_b32 s2, s1
	s_cbranch_execz .LBB562_65
; %bb.62:
	v_add_nc_u32_e32 v9, s17, v19
	v_add_nc_u32_e32 v11, s19, v19
	s_mov_b32 s3, 0
	s_mov_b32 s4, exec_lo
	v_mul_lo_u32 v9, v9, s16
	v_mul_lo_u32 v11, v11, s18
	v_sub_nc_u32_e32 v9, v9, v11
	v_cmp_lt_u32_e32 vcc_lo, s20, v9
	v_cmpx_ge_u32_e64 s20, v9
	s_cbranch_execz .LBB562_64
; %bb.63:
	v_add_nc_u32_e32 v9, s22, v19
	v_add_nc_u32_e32 v11, s38, v19
	v_mul_lo_u32 v9, v9, s21
	v_mul_lo_u32 v11, v11, s23
	v_sub_nc_u32_e32 v9, v9, v11
	v_cmp_lt_u32_e64 s1, s39, v9
	s_and_b32 s3, s1, exec_lo
.LBB562_64:
	s_or_b32 exec_lo, exec_lo, s4
	v_mov_b32_e32 v9, 24
	v_mov_b32_e32 v11, 0xff
	;; [unrolled: 1-line block ×3, first 2 shown]
	v_cndmask_b32_e64 v25, 0, 1, s3
	v_cndmask_b32_e64 v26, 0, 1, vcc_lo
	v_lshrrev_b32_sdwa v27, v9, v8 dst_sel:BYTE_1 dst_unused:UNUSED_PAD src0_sel:DWORD src1_sel:DWORD
	v_and_b32_sdwa v28, v8, v11 dst_sel:DWORD dst_unused:UNUSED_PAD src0_sel:WORD_1 src1_sel:DWORD
	v_lshrrev_b32_sdwa v8, v12, v8 dst_sel:BYTE_1 dst_unused:UNUSED_PAD src0_sel:DWORD src1_sel:DWORD
	v_lshlrev_b16 v12, 8, v25
	v_lshrrev_b32_sdwa v9, v9, v10 dst_sel:BYTE_1 dst_unused:UNUSED_PAD src0_sel:DWORD src1_sel:DWORD
	v_and_b32_sdwa v11, v10, v11 dst_sel:DWORD dst_unused:UNUSED_PAD src0_sel:WORD_1 src1_sel:DWORD
	v_or_b32_sdwa v25, v28, v27 dst_sel:WORD_1 dst_unused:UNUSED_PAD src0_sel:DWORD src1_sel:DWORD
	v_or_b32_e32 v8, v26, v8
	v_or_b32_sdwa v10, v10, v12 dst_sel:DWORD dst_unused:UNUSED_PAD src0_sel:BYTE_0 src1_sel:DWORD
	v_or_b32_sdwa v11, v11, v9 dst_sel:WORD_1 dst_unused:UNUSED_PAD src0_sel:DWORD src1_sel:DWORD
	v_or_b32_sdwa v9, v8, v25 dst_sel:DWORD dst_unused:UNUSED_PAD src0_sel:WORD_0 src1_sel:DWORD
	v_or_b32_sdwa v11, v10, v11 dst_sel:DWORD dst_unused:UNUSED_PAD src0_sel:WORD_0 src1_sel:DWORD
.LBB562_65:
	s_or_b32 exec_lo, exec_lo, s2
	v_add_nc_u32_e32 v8, 5, v34
                                        ; implicit-def: $vgpr10
	v_cmp_le_u32_e32 vcc_lo, s5, v8
                                        ; implicit-def: $vgpr8
	s_and_saveexec_b32 s1, vcc_lo
	s_xor_b32 s1, exec_lo, s1
	s_cbranch_execz .LBB562_67
; %bb.66:
	v_lshrrev_b32_e32 v8, 24, v11
	v_mov_b32_e32 v10, 8
	v_mov_b32_e32 v12, 0xff
	v_perm_b32 v7, v7, v7, 0x3060504
	v_perm_b32 v8, v8, v11, 0x40c0100
	v_mov_b32_e32 v11, 24
	v_and_b32_sdwa v12, v9, v12 dst_sel:DWORD dst_unused:UNUSED_PAD src0_sel:WORD_1 src1_sel:DWORD
	v_lshrrev_b32_sdwa v10, v10, v8 dst_sel:BYTE_1 dst_unused:UNUSED_PAD src0_sel:DWORD src1_sel:DWORD
	v_lshrrev_b32_sdwa v11, v11, v9 dst_sel:BYTE_1 dst_unused:UNUSED_PAD src0_sel:DWORD src1_sel:DWORD
	v_or_b32_sdwa v10, v8, v10 dst_sel:DWORD dst_unused:UNUSED_PAD src0_sel:BYTE_0 src1_sel:DWORD
	v_or_b32_e32 v11, v12, v11
	v_and_b32_e32 v12, 0xffff, v10
	v_perm_b32 v10, v11, v9, 0x5040c00
                                        ; implicit-def: $vgpr9
                                        ; implicit-def: $vgpr11
	v_and_or_b32 v8, 0xff000000, v8, v12
.LBB562_67:
	s_andn2_saveexec_b32 s2, s1
	s_cbranch_execz .LBB562_71
; %bb.68:
	v_add_nc_u32_e32 v8, s17, v20
	v_add_nc_u32_e32 v10, s19, v20
	s_mov_b32 s3, 0
	s_mov_b32 s4, exec_lo
	v_mul_lo_u32 v8, v8, s16
	v_mul_lo_u32 v10, v10, s18
	v_sub_nc_u32_e32 v8, v8, v10
	v_cmp_lt_u32_e32 vcc_lo, s20, v8
	v_cmpx_ge_u32_e64 s20, v8
	s_cbranch_execz .LBB562_70
; %bb.69:
	v_add_nc_u32_e32 v8, s22, v20
	v_add_nc_u32_e32 v10, s38, v20
	v_mul_lo_u32 v8, v8, s21
	v_mul_lo_u32 v10, v10, s23
	v_sub_nc_u32_e32 v8, v8, v10
	v_cmp_lt_u32_e64 s1, s39, v8
	s_and_b32 s3, s1, exec_lo
.LBB562_70:
	s_or_b32 exec_lo, exec_lo, s4
	v_cndmask_b32_e64 v8, 0, 1, vcc_lo
	v_mov_b32_e32 v10, 24
	v_mov_b32_e32 v12, 0xff
	v_mov_b32_e32 v25, 8
	v_cndmask_b32_e64 v26, 0, 1, s3
	v_lshlrev_b16 v8, 8, v8
	v_lshrrev_b32_sdwa v27, v10, v9 dst_sel:BYTE_1 dst_unused:UNUSED_PAD src0_sel:DWORD src1_sel:DWORD
	v_and_b32_sdwa v12, v9, v12 dst_sel:DWORD dst_unused:UNUSED_PAD src0_sel:WORD_1 src1_sel:DWORD
	v_lshrrev_b32_sdwa v25, v25, v11 dst_sel:BYTE_1 dst_unused:UNUSED_PAD src0_sel:DWORD src1_sel:DWORD
	v_lshrrev_b32_sdwa v10, v10, v11 dst_sel:BYTE_1 dst_unused:UNUSED_PAD src0_sel:DWORD src1_sel:DWORD
	v_or_b32_sdwa v8, v9, v8 dst_sel:DWORD dst_unused:UNUSED_PAD src0_sel:BYTE_0 src1_sel:DWORD
	v_or_b32_sdwa v9, v12, v27 dst_sel:WORD_1 dst_unused:UNUSED_PAD src0_sel:DWORD src1_sel:DWORD
	v_or_b32_sdwa v11, v11, v25 dst_sel:DWORD dst_unused:UNUSED_PAD src0_sel:BYTE_0 src1_sel:DWORD
	v_or_b32_sdwa v12, v26, v10 dst_sel:WORD_1 dst_unused:UNUSED_PAD src0_sel:DWORD src1_sel:DWORD
	v_or_b32_sdwa v10, v8, v9 dst_sel:DWORD dst_unused:UNUSED_PAD src0_sel:WORD_0 src1_sel:DWORD
	v_or_b32_sdwa v8, v11, v12 dst_sel:DWORD dst_unused:UNUSED_PAD src0_sel:WORD_0 src1_sel:DWORD
.LBB562_71:
	s_or_b32 exec_lo, exec_lo, s2
	v_add_nc_u32_e32 v9, 6, v34
                                        ; implicit-def: $vgpr36
	v_cmp_le_u32_e32 vcc_lo, s5, v9
                                        ; implicit-def: $vgpr9
	s_and_saveexec_b32 s1, vcc_lo
	s_xor_b32 s1, exec_lo, s1
	s_cbranch_execz .LBB562_73
; %bb.72:
	v_lshrrev_b32_e32 v9, 24, v10
	v_mov_b32_e32 v11, 8
	v_perm_b32 v7, v7, v7, 0x3060504
	v_perm_b32 v9, v9, v10, 0x40c0100
	v_lshrrev_b32_sdwa v10, v11, v9 dst_sel:BYTE_1 dst_unused:UNUSED_PAD src0_sel:DWORD src1_sel:DWORD
	v_and_b32_e32 v11, 0xff0000, v8
	v_or_b32_sdwa v10, v9, v10 dst_sel:DWORD dst_unused:UNUSED_PAD src0_sel:BYTE_0 src1_sel:DWORD
	v_perm_b32 v36, v8, v11, 0x3020504
                                        ; implicit-def: $vgpr8
	v_and_b32_e32 v10, 0xffff, v10
	v_and_or_b32 v9, 0xff000000, v9, v10
                                        ; implicit-def: $vgpr10
.LBB562_73:
	s_andn2_saveexec_b32 s2, s1
	s_cbranch_execz .LBB562_77
; %bb.74:
	v_add_nc_u32_e32 v9, s17, v17
	v_add_nc_u32_e32 v11, s19, v17
	s_mov_b32 s3, 0
	s_mov_b32 s4, exec_lo
	v_mul_lo_u32 v9, v9, s16
	v_mul_lo_u32 v11, v11, s18
	v_sub_nc_u32_e32 v9, v9, v11
	v_cmp_lt_u32_e32 vcc_lo, s20, v9
	v_cmpx_ge_u32_e64 s20, v9
	s_cbranch_execz .LBB562_76
; %bb.75:
	v_add_nc_u32_e32 v9, s22, v17
	v_add_nc_u32_e32 v11, s38, v17
	v_mul_lo_u32 v9, v9, s21
	v_mul_lo_u32 v11, v11, s23
	v_sub_nc_u32_e32 v9, v9, v11
	v_cmp_lt_u32_e64 s1, s39, v9
	s_and_b32 s3, s1, exec_lo
.LBB562_76:
	s_or_b32 exec_lo, exec_lo, s4
	v_mov_b32_e32 v9, 8
	v_mov_b32_e32 v11, 24
	v_cndmask_b32_e64 v25, 0, 1, s3
	v_mov_b32_e32 v26, 0xff
	v_cndmask_b32_e64 v12, 0, 1, vcc_lo
	v_lshrrev_b32_sdwa v27, v9, v10 dst_sel:BYTE_1 dst_unused:UNUSED_PAD src0_sel:DWORD src1_sel:DWORD
	v_lshrrev_b32_sdwa v11, v11, v10 dst_sel:BYTE_1 dst_unused:UNUSED_PAD src0_sel:DWORD src1_sel:DWORD
	;; [unrolled: 1-line block ×3, first 2 shown]
	v_lshlrev_b16 v25, 8, v25
	v_and_b32_sdwa v26, v8, v26 dst_sel:DWORD dst_unused:UNUSED_PAD src0_sel:WORD_1 src1_sel:DWORD
	v_or_b32_sdwa v10, v10, v27 dst_sel:DWORD dst_unused:UNUSED_PAD src0_sel:BYTE_0 src1_sel:DWORD
	v_or_b32_sdwa v11, v12, v11 dst_sel:WORD_1 dst_unused:UNUSED_PAD src0_sel:DWORD src1_sel:DWORD
	v_or_b32_sdwa v8, v8, v9 dst_sel:DWORD dst_unused:UNUSED_PAD src0_sel:BYTE_0 src1_sel:DWORD
	v_or_b32_sdwa v12, v26, v25 dst_sel:WORD_1 dst_unused:UNUSED_PAD src0_sel:DWORD src1_sel:DWORD
	v_or_b32_sdwa v9, v10, v11 dst_sel:DWORD dst_unused:UNUSED_PAD src0_sel:WORD_0 src1_sel:DWORD
	v_or_b32_sdwa v36, v8, v12 dst_sel:DWORD dst_unused:UNUSED_PAD src0_sel:WORD_0 src1_sel:DWORD
.LBB562_77:
	s_or_b32 exec_lo, exec_lo, s2
	v_add_nc_u32_e32 v8, 7, v34
                                        ; implicit-def: $vgpr37
	v_cmp_le_u32_e32 vcc_lo, s5, v8
                                        ; implicit-def: $vgpr8
	s_and_saveexec_b32 s1, vcc_lo
	s_xor_b32 s1, exec_lo, s1
	s_cbranch_execz .LBB562_79
; %bb.78:
	v_mov_b32_e32 v8, 24
	v_mov_b32_e32 v10, 0xff
	;; [unrolled: 1-line block ×3, first 2 shown]
	v_lshrrev_b32_sdwa v8, v8, v7 dst_sel:BYTE_1 dst_unused:UNUSED_PAD src0_sel:DWORD src1_sel:DWORD
	v_and_b32_sdwa v10, v7, v10 dst_sel:DWORD dst_unused:UNUSED_PAD src0_sel:WORD_1 src1_sel:DWORD
	v_lshrrev_b32_sdwa v7, v11, v7 dst_sel:BYTE_1 dst_unused:UNUSED_PAD src0_sel:DWORD src1_sel:DWORD
	v_and_b32_e32 v11, 0xff0000, v9
	v_or_b32_sdwa v8, v10, v8 dst_sel:WORD_1 dst_unused:UNUSED_PAD src0_sel:DWORD src1_sel:DWORD
	v_perm_b32 v37, v9, v11, 0x3020504
                                        ; implicit-def: $vgpr9
	v_or_b32_sdwa v8, v7, v8 dst_sel:DWORD dst_unused:UNUSED_PAD src0_sel:WORD_0 src1_sel:DWORD
                                        ; implicit-def: $vgpr7
.LBB562_79:
	s_andn2_saveexec_b32 s2, s1
	s_cbranch_execz .LBB562_83
; %bb.80:
	v_add_nc_u32_e32 v8, s17, v18
	v_add_nc_u32_e32 v10, s19, v18
	s_mov_b32 s3, 0
	s_mov_b32 s4, exec_lo
	v_mul_lo_u32 v8, v8, s16
	v_mul_lo_u32 v10, v10, s18
	v_sub_nc_u32_e32 v8, v8, v10
	v_cmp_lt_u32_e32 vcc_lo, s20, v8
	v_cmpx_ge_u32_e64 s20, v8
	s_cbranch_execz .LBB562_82
; %bb.81:
	v_add_nc_u32_e32 v8, s22, v18
	v_add_nc_u32_e32 v10, s38, v18
	v_mul_lo_u32 v8, v8, s21
	v_mul_lo_u32 v10, v10, s23
	v_sub_nc_u32_e32 v8, v8, v10
	v_cmp_lt_u32_e64 s1, s39, v8
	s_and_b32 s3, s1, exec_lo
.LBB562_82:
	s_or_b32 exec_lo, exec_lo, s4
	v_mov_b32_e32 v8, 8
	v_cndmask_b32_e64 v10, 0, 1, vcc_lo
	v_mov_b32_e32 v11, 0xff
	v_mov_b32_e32 v12, 24
	v_cndmask_b32_e64 v25, 0, 1, s3
	v_lshrrev_b32_sdwa v26, v8, v9 dst_sel:BYTE_1 dst_unused:UNUSED_PAD src0_sel:DWORD src1_sel:DWORD
	v_lshlrev_b16 v10, 8, v10
	v_and_b32_sdwa v27, v9, v11 dst_sel:DWORD dst_unused:UNUSED_PAD src0_sel:WORD_1 src1_sel:DWORD
	v_lshrrev_b32_sdwa v12, v12, v7 dst_sel:BYTE_1 dst_unused:UNUSED_PAD src0_sel:DWORD src1_sel:DWORD
	v_and_b32_sdwa v11, v7, v11 dst_sel:DWORD dst_unused:UNUSED_PAD src0_sel:WORD_1 src1_sel:DWORD
	v_lshrrev_b32_sdwa v7, v8, v7 dst_sel:BYTE_1 dst_unused:UNUSED_PAD src0_sel:DWORD src1_sel:DWORD
	v_or_b32_sdwa v8, v9, v26 dst_sel:DWORD dst_unused:UNUSED_PAD src0_sel:BYTE_0 src1_sel:DWORD
	v_or_b32_sdwa v9, v27, v10 dst_sel:WORD_1 dst_unused:UNUSED_PAD src0_sel:DWORD src1_sel:DWORD
	v_or_b32_sdwa v10, v11, v12 dst_sel:WORD_1 dst_unused:UNUSED_PAD src0_sel:DWORD src1_sel:DWORD
	v_or_b32_e32 v7, v25, v7
	v_or_b32_sdwa v37, v8, v9 dst_sel:DWORD dst_unused:UNUSED_PAD src0_sel:WORD_0 src1_sel:DWORD
	v_or_b32_sdwa v8, v7, v10 dst_sel:DWORD dst_unused:UNUSED_PAD src0_sel:WORD_0 src1_sel:DWORD
.LBB562_83:
	s_or_b32 exec_lo, exec_lo, s2
	v_add_nc_u32_e32 v7, 8, v34
                                        ; implicit-def: $vgpr9
	v_cmp_le_u32_e32 vcc_lo, s5, v7
                                        ; implicit-def: $vgpr7
	s_and_saveexec_b32 s1, vcc_lo
	s_xor_b32 s1, exec_lo, s1
	s_cbranch_execz .LBB562_85
; %bb.84:
	v_mov_b32_e32 v7, 24
	v_mov_b32_e32 v9, 0xff
	;; [unrolled: 1-line block ×3, first 2 shown]
	v_perm_b32 v5, v5, v5, 0x3060504
	v_lshrrev_b32_sdwa v11, v7, v8 dst_sel:BYTE_1 dst_unused:UNUSED_PAD src0_sel:DWORD src1_sel:DWORD
	v_lshrrev_b32_sdwa v7, v7, v6 dst_sel:BYTE_1 dst_unused:UNUSED_PAD src0_sel:DWORD src1_sel:DWORD
	v_and_b32_sdwa v12, v6, v9 dst_sel:DWORD dst_unused:UNUSED_PAD src0_sel:WORD_1 src1_sel:DWORD
	v_and_b32_sdwa v9, v8, v9 dst_sel:DWORD dst_unused:UNUSED_PAD src0_sel:WORD_1 src1_sel:DWORD
	v_lshrrev_b32_sdwa v6, v10, v6 dst_sel:BYTE_1 dst_unused:UNUSED_PAD src0_sel:DWORD src1_sel:DWORD
	v_or_b32_sdwa v7, v12, v7 dst_sel:WORD_1 dst_unused:UNUSED_PAD src0_sel:DWORD src1_sel:DWORD
	v_or_b32_e32 v9, v9, v11
	v_or_b32_sdwa v7, v6, v7 dst_sel:DWORD dst_unused:UNUSED_PAD src0_sel:WORD_0 src1_sel:DWORD
	v_perm_b32 v9, v9, v8, 0x5040c00
                                        ; implicit-def: $vgpr6
                                        ; implicit-def: $vgpr8
.LBB562_85:
	s_andn2_saveexec_b32 s2, s1
	s_cbranch_execz .LBB562_89
; %bb.86:
	v_add_nc_u32_e32 v7, s17, v15
	v_add_nc_u32_e32 v9, s19, v15
	s_mov_b32 s3, 0
	s_mov_b32 s4, exec_lo
	v_mul_lo_u32 v7, v7, s16
	v_mul_lo_u32 v9, v9, s18
	v_sub_nc_u32_e32 v7, v7, v9
	v_cmp_lt_u32_e32 vcc_lo, s20, v7
	v_cmpx_ge_u32_e64 s20, v7
	s_cbranch_execz .LBB562_88
; %bb.87:
	v_add_nc_u32_e32 v7, s22, v15
	v_add_nc_u32_e32 v9, s38, v15
	v_mul_lo_u32 v7, v7, s21
	v_mul_lo_u32 v9, v9, s23
	v_sub_nc_u32_e32 v7, v7, v9
	v_cmp_lt_u32_e64 s1, s39, v7
	s_and_b32 s3, s1, exec_lo
.LBB562_88:
	s_or_b32 exec_lo, exec_lo, s4
	v_mov_b32_e32 v7, 24
	v_mov_b32_e32 v9, 0xff
	v_mov_b32_e32 v10, 8
	v_cndmask_b32_e64 v11, 0, 1, s3
	v_cndmask_b32_e64 v12, 0, 1, vcc_lo
	v_lshrrev_b32_sdwa v25, v7, v6 dst_sel:BYTE_1 dst_unused:UNUSED_PAD src0_sel:DWORD src1_sel:DWORD
	v_and_b32_sdwa v26, v6, v9 dst_sel:DWORD dst_unused:UNUSED_PAD src0_sel:WORD_1 src1_sel:DWORD
	v_lshrrev_b32_sdwa v6, v10, v6 dst_sel:BYTE_1 dst_unused:UNUSED_PAD src0_sel:DWORD src1_sel:DWORD
	v_lshlrev_b16 v10, 8, v11
	v_lshrrev_b32_sdwa v7, v7, v8 dst_sel:BYTE_1 dst_unused:UNUSED_PAD src0_sel:DWORD src1_sel:DWORD
	v_and_b32_sdwa v9, v8, v9 dst_sel:DWORD dst_unused:UNUSED_PAD src0_sel:WORD_1 src1_sel:DWORD
	v_or_b32_sdwa v11, v26, v25 dst_sel:WORD_1 dst_unused:UNUSED_PAD src0_sel:DWORD src1_sel:DWORD
	v_or_b32_e32 v6, v12, v6
	v_or_b32_sdwa v8, v8, v10 dst_sel:DWORD dst_unused:UNUSED_PAD src0_sel:BYTE_0 src1_sel:DWORD
	v_or_b32_sdwa v9, v9, v7 dst_sel:WORD_1 dst_unused:UNUSED_PAD src0_sel:DWORD src1_sel:DWORD
	v_or_b32_sdwa v7, v6, v11 dst_sel:DWORD dst_unused:UNUSED_PAD src0_sel:WORD_0 src1_sel:DWORD
	v_or_b32_sdwa v9, v8, v9 dst_sel:DWORD dst_unused:UNUSED_PAD src0_sel:WORD_0 src1_sel:DWORD
.LBB562_89:
	s_or_b32 exec_lo, exec_lo, s2
	v_add_nc_u32_e32 v6, 9, v34
                                        ; implicit-def: $vgpr8
	v_cmp_le_u32_e32 vcc_lo, s5, v6
                                        ; implicit-def: $vgpr6
	s_and_saveexec_b32 s1, vcc_lo
	s_xor_b32 s1, exec_lo, s1
	s_cbranch_execz .LBB562_91
; %bb.90:
	v_lshrrev_b32_e32 v6, 24, v9
	v_mov_b32_e32 v8, 8
	v_mov_b32_e32 v10, 0xff
	v_perm_b32 v5, v5, v5, 0x3060504
	v_perm_b32 v6, v6, v9, 0x40c0100
	v_mov_b32_e32 v9, 24
	v_and_b32_sdwa v10, v7, v10 dst_sel:DWORD dst_unused:UNUSED_PAD src0_sel:WORD_1 src1_sel:DWORD
	v_lshrrev_b32_sdwa v8, v8, v6 dst_sel:BYTE_1 dst_unused:UNUSED_PAD src0_sel:DWORD src1_sel:DWORD
	v_lshrrev_b32_sdwa v9, v9, v7 dst_sel:BYTE_1 dst_unused:UNUSED_PAD src0_sel:DWORD src1_sel:DWORD
	v_or_b32_sdwa v8, v6, v8 dst_sel:DWORD dst_unused:UNUSED_PAD src0_sel:BYTE_0 src1_sel:DWORD
	v_or_b32_e32 v9, v10, v9
	v_and_b32_e32 v10, 0xffff, v8
	v_perm_b32 v8, v9, v7, 0x5040c00
                                        ; implicit-def: $vgpr7
                                        ; implicit-def: $vgpr9
	v_and_or_b32 v6, 0xff000000, v6, v10
.LBB562_91:
	s_andn2_saveexec_b32 s2, s1
	s_cbranch_execz .LBB562_95
; %bb.92:
	v_add_nc_u32_e32 v6, s17, v16
	v_add_nc_u32_e32 v8, s19, v16
	s_mov_b32 s3, 0
	s_mov_b32 s4, exec_lo
	v_mul_lo_u32 v6, v6, s16
	v_mul_lo_u32 v8, v8, s18
	v_sub_nc_u32_e32 v6, v6, v8
	v_cmp_lt_u32_e32 vcc_lo, s20, v6
	v_cmpx_ge_u32_e64 s20, v6
	s_cbranch_execz .LBB562_94
; %bb.93:
	v_add_nc_u32_e32 v6, s22, v16
	v_add_nc_u32_e32 v8, s38, v16
	v_mul_lo_u32 v6, v6, s21
	v_mul_lo_u32 v8, v8, s23
	v_sub_nc_u32_e32 v6, v6, v8
	v_cmp_lt_u32_e64 s1, s39, v6
	s_and_b32 s3, s1, exec_lo
.LBB562_94:
	s_or_b32 exec_lo, exec_lo, s4
	v_cndmask_b32_e64 v6, 0, 1, vcc_lo
	v_mov_b32_e32 v8, 24
	v_mov_b32_e32 v10, 0xff
	;; [unrolled: 1-line block ×3, first 2 shown]
	v_cndmask_b32_e64 v12, 0, 1, s3
	v_lshlrev_b16 v6, 8, v6
	v_lshrrev_b32_sdwa v25, v8, v7 dst_sel:BYTE_1 dst_unused:UNUSED_PAD src0_sel:DWORD src1_sel:DWORD
	v_and_b32_sdwa v10, v7, v10 dst_sel:DWORD dst_unused:UNUSED_PAD src0_sel:WORD_1 src1_sel:DWORD
	v_lshrrev_b32_sdwa v11, v11, v9 dst_sel:BYTE_1 dst_unused:UNUSED_PAD src0_sel:DWORD src1_sel:DWORD
	v_lshrrev_b32_sdwa v8, v8, v9 dst_sel:BYTE_1 dst_unused:UNUSED_PAD src0_sel:DWORD src1_sel:DWORD
	v_or_b32_sdwa v6, v7, v6 dst_sel:DWORD dst_unused:UNUSED_PAD src0_sel:BYTE_0 src1_sel:DWORD
	v_or_b32_sdwa v7, v10, v25 dst_sel:WORD_1 dst_unused:UNUSED_PAD src0_sel:DWORD src1_sel:DWORD
	v_or_b32_sdwa v9, v9, v11 dst_sel:DWORD dst_unused:UNUSED_PAD src0_sel:BYTE_0 src1_sel:DWORD
	v_or_b32_sdwa v10, v12, v8 dst_sel:WORD_1 dst_unused:UNUSED_PAD src0_sel:DWORD src1_sel:DWORD
	v_or_b32_sdwa v8, v6, v7 dst_sel:DWORD dst_unused:UNUSED_PAD src0_sel:WORD_0 src1_sel:DWORD
	v_or_b32_sdwa v6, v9, v10 dst_sel:DWORD dst_unused:UNUSED_PAD src0_sel:WORD_0 src1_sel:DWORD
.LBB562_95:
	s_or_b32 exec_lo, exec_lo, s2
	v_add_nc_u32_e32 v7, 10, v34
                                        ; implicit-def: $vgpr38
	v_cmp_le_u32_e32 vcc_lo, s5, v7
                                        ; implicit-def: $vgpr7
	s_and_saveexec_b32 s1, vcc_lo
	s_xor_b32 s1, exec_lo, s1
	s_cbranch_execz .LBB562_97
; %bb.96:
	v_lshrrev_b32_e32 v7, 24, v8
	v_mov_b32_e32 v9, 8
	v_perm_b32 v5, v5, v5, 0x3060504
	v_perm_b32 v7, v7, v8, 0x40c0100
	v_lshrrev_b32_sdwa v8, v9, v7 dst_sel:BYTE_1 dst_unused:UNUSED_PAD src0_sel:DWORD src1_sel:DWORD
	v_and_b32_e32 v9, 0xff0000, v6
	v_or_b32_sdwa v8, v7, v8 dst_sel:DWORD dst_unused:UNUSED_PAD src0_sel:BYTE_0 src1_sel:DWORD
	v_perm_b32 v38, v6, v9, 0x3020504
                                        ; implicit-def: $vgpr6
	v_and_b32_e32 v8, 0xffff, v8
	v_and_or_b32 v7, 0xff000000, v7, v8
                                        ; implicit-def: $vgpr8
.LBB562_97:
	s_andn2_saveexec_b32 s2, s1
	s_cbranch_execz .LBB562_101
; %bb.98:
	v_add_nc_u32_e32 v7, s17, v13
	v_add_nc_u32_e32 v9, s19, v13
	s_mov_b32 s3, 0
	s_mov_b32 s4, exec_lo
	v_mul_lo_u32 v7, v7, s16
	v_mul_lo_u32 v9, v9, s18
	v_sub_nc_u32_e32 v7, v7, v9
	v_cmp_lt_u32_e32 vcc_lo, s20, v7
	v_cmpx_ge_u32_e64 s20, v7
	s_cbranch_execz .LBB562_100
; %bb.99:
	v_add_nc_u32_e32 v7, s22, v13
	v_add_nc_u32_e32 v9, s38, v13
	v_mul_lo_u32 v7, v7, s21
	v_mul_lo_u32 v9, v9, s23
	v_sub_nc_u32_e32 v7, v7, v9
	v_cmp_lt_u32_e64 s1, s39, v7
	s_and_b32 s3, s1, exec_lo
.LBB562_100:
	s_or_b32 exec_lo, exec_lo, s4
	v_mov_b32_e32 v7, 8
	v_mov_b32_e32 v9, 24
	v_cndmask_b32_e64 v11, 0, 1, s3
	v_mov_b32_e32 v12, 0xff
	v_cndmask_b32_e64 v10, 0, 1, vcc_lo
	v_lshrrev_b32_sdwa v25, v7, v8 dst_sel:BYTE_1 dst_unused:UNUSED_PAD src0_sel:DWORD src1_sel:DWORD
	v_lshrrev_b32_sdwa v9, v9, v8 dst_sel:BYTE_1 dst_unused:UNUSED_PAD src0_sel:DWORD src1_sel:DWORD
	;; [unrolled: 1-line block ×3, first 2 shown]
	v_lshlrev_b16 v11, 8, v11
	v_and_b32_sdwa v12, v6, v12 dst_sel:DWORD dst_unused:UNUSED_PAD src0_sel:WORD_1 src1_sel:DWORD
	v_or_b32_sdwa v8, v8, v25 dst_sel:DWORD dst_unused:UNUSED_PAD src0_sel:BYTE_0 src1_sel:DWORD
	v_or_b32_sdwa v9, v10, v9 dst_sel:WORD_1 dst_unused:UNUSED_PAD src0_sel:DWORD src1_sel:DWORD
	v_or_b32_sdwa v6, v6, v7 dst_sel:DWORD dst_unused:UNUSED_PAD src0_sel:BYTE_0 src1_sel:DWORD
	v_or_b32_sdwa v10, v12, v11 dst_sel:WORD_1 dst_unused:UNUSED_PAD src0_sel:DWORD src1_sel:DWORD
	v_or_b32_sdwa v7, v8, v9 dst_sel:DWORD dst_unused:UNUSED_PAD src0_sel:WORD_0 src1_sel:DWORD
	v_or_b32_sdwa v38, v6, v10 dst_sel:DWORD dst_unused:UNUSED_PAD src0_sel:WORD_0 src1_sel:DWORD
.LBB562_101:
	s_or_b32 exec_lo, exec_lo, s2
	v_add_nc_u32_e32 v6, 11, v34
	v_mov_b32_e32 v39, 0
	s_mov_b32 s1, exec_lo
                                        ; implicit-def: $vgpr40
	v_cmpx_le_u32_e64 s5, v6
	s_xor_b32 s1, exec_lo, s1
; %bb.102:
	v_and_b32_e32 v6, 0xff0000, v7
	v_perm_b32 v5, v5, v5, 0x3060504
	v_perm_b32 v40, v7, v6, 0x3020504
                                        ; implicit-def: $vgpr7
; %bb.103:
	s_andn2_saveexec_b32 s2, s1
	s_cbranch_execz .LBB562_107
; %bb.104:
	v_add_nc_u32_e32 v6, s17, v14
	v_add_nc_u32_e32 v8, s19, v14
	s_mov_b32 s3, 0
	s_mov_b32 s4, exec_lo
	v_mul_lo_u32 v6, v6, s16
	v_mul_lo_u32 v8, v8, s18
	v_sub_nc_u32_e32 v6, v6, v8
	v_cmp_lt_u32_e32 vcc_lo, s20, v6
	v_cmpx_ge_u32_e64 s20, v6
	s_cbranch_execz .LBB562_106
; %bb.105:
	v_add_nc_u32_e32 v6, s22, v14
	v_add_nc_u32_e32 v8, s38, v14
	v_mul_lo_u32 v6, v6, s21
	v_mul_lo_u32 v8, v8, s23
	v_sub_nc_u32_e32 v6, v6, v8
	v_cmp_lt_u32_e64 s1, s39, v6
	s_and_b32 s3, s1, exec_lo
.LBB562_106:
	s_or_b32 exec_lo, exec_lo, s4
	v_mov_b32_e32 v6, 8
	v_cndmask_b32_e64 v8, 0, 1, vcc_lo
	v_mov_b32_e32 v9, 0xff
	v_cndmask_b32_e64 v39, 0, 1, s3
	v_lshrrev_b32_sdwa v6, v6, v7 dst_sel:BYTE_1 dst_unused:UNUSED_PAD src0_sel:DWORD src1_sel:DWORD
	v_lshlrev_b16 v8, 8, v8
	v_and_b32_sdwa v9, v7, v9 dst_sel:DWORD dst_unused:UNUSED_PAD src0_sel:WORD_1 src1_sel:DWORD
	v_or_b32_sdwa v6, v7, v6 dst_sel:DWORD dst_unused:UNUSED_PAD src0_sel:BYTE_0 src1_sel:DWORD
	v_or_b32_sdwa v7, v9, v8 dst_sel:WORD_1 dst_unused:UNUSED_PAD src0_sel:DWORD src1_sel:DWORD
	v_or_b32_sdwa v40, v6, v7 dst_sel:DWORD dst_unused:UNUSED_PAD src0_sel:WORD_0 src1_sel:DWORD
.LBB562_107:
	s_or_b32 exec_lo, exec_lo, s2
	v_add_nc_u32_e32 v6, 12, v34
	s_mov_b32 s1, exec_lo
                                        ; implicit-def: $vgpr41
	v_cmpx_le_u32_e64 s5, v6
	s_xor_b32 s1, exec_lo, s1
	s_cbranch_execz .LBB562_109
; %bb.108:
	v_mov_b32_e32 v6, 24
	v_mov_b32_e32 v7, 0xff
	;; [unrolled: 1-line block ×3, first 2 shown]
	v_lshrrev_b32_sdwa v6, v6, v5 dst_sel:BYTE_1 dst_unused:UNUSED_PAD src0_sel:DWORD src1_sel:DWORD
	v_and_b32_sdwa v7, v5, v7 dst_sel:DWORD dst_unused:UNUSED_PAD src0_sel:WORD_1 src1_sel:DWORD
	v_lshrrev_b32_sdwa v5, v8, v5 dst_sel:BYTE_1 dst_unused:UNUSED_PAD src0_sel:DWORD src1_sel:DWORD
	v_or_b32_sdwa v6, v7, v6 dst_sel:WORD_1 dst_unused:UNUSED_PAD src0_sel:DWORD src1_sel:DWORD
	v_or_b32_sdwa v41, v5, v6 dst_sel:DWORD dst_unused:UNUSED_PAD src0_sel:WORD_0 src1_sel:DWORD
                                        ; implicit-def: $vgpr5
.LBB562_109:
	s_or_saveexec_b32 s2, s1
	v_mov_b32_e32 v42, 0
	s_xor_b32 exec_lo, exec_lo, s2
	s_cbranch_execz .LBB562_113
; %bb.110:
	v_add_nc_u32_e32 v6, s17, v33
	v_add_nc_u32_e32 v7, s19, v33
	s_mov_b32 s3, 0
	s_mov_b32 s4, exec_lo
	v_mul_lo_u32 v6, v6, s16
	v_mul_lo_u32 v7, v7, s18
	v_sub_nc_u32_e32 v6, v6, v7
	v_cmp_lt_u32_e32 vcc_lo, s20, v6
	v_cmpx_ge_u32_e64 s20, v6
	s_cbranch_execz .LBB562_112
; %bb.111:
	v_add_nc_u32_e32 v6, s22, v33
	v_add_nc_u32_e32 v7, s38, v33
	v_mul_lo_u32 v6, v6, s21
	v_mul_lo_u32 v7, v7, s23
	v_sub_nc_u32_e32 v6, v6, v7
	v_cmp_lt_u32_e64 s1, s39, v6
	s_and_b32 s3, s1, exec_lo
.LBB562_112:
	s_or_b32 exec_lo, exec_lo, s4
	v_mov_b32_e32 v6, 24
	v_mov_b32_e32 v7, 0xff
	;; [unrolled: 1-line block ×3, first 2 shown]
	v_cndmask_b32_e64 v9, 0, 1, vcc_lo
	v_cndmask_b32_e64 v42, 0, 1, s3
	v_lshrrev_b32_sdwa v6, v6, v5 dst_sel:BYTE_1 dst_unused:UNUSED_PAD src0_sel:DWORD src1_sel:DWORD
	v_and_b32_sdwa v7, v5, v7 dst_sel:DWORD dst_unused:UNUSED_PAD src0_sel:WORD_1 src1_sel:DWORD
	v_lshrrev_b32_sdwa v5, v8, v5 dst_sel:BYTE_1 dst_unused:UNUSED_PAD src0_sel:DWORD src1_sel:DWORD
	v_or_b32_sdwa v6, v7, v6 dst_sel:WORD_1 dst_unused:UNUSED_PAD src0_sel:DWORD src1_sel:DWORD
	v_or_b32_e32 v5, v9, v5
	v_or_b32_sdwa v41, v5, v6 dst_sel:DWORD dst_unused:UNUSED_PAD src0_sel:WORD_0 src1_sel:DWORD
.LBB562_113:
	s_or_b32 exec_lo, exec_lo, s2
.LBB562_114:
	v_and_b32_e32 v65, 0xff, v35
	v_bfe_u32 v66, v41, 8, 8
	v_bfe_u32 v62, v35, 8, 8
	;; [unrolled: 1-line block ×4, first 2 shown]
	v_lshrrev_b32_e32 v48, 24, v41
	v_lshrrev_b32_e32 v47, 24, v35
	v_and_b32_e32 v61, 0xff, v36
	v_and_b32_e32 v59, 0xff, v37
	v_bfe_u32 v60, v36, 8, 8
	v_add3_u32 v5, v62, v65, v64
	v_add3_u32 v6, v63, v66, v48
	v_bfe_u32 v57, v37, 8, 8
	v_bfe_u32 v58, v36, 16, 8
	;; [unrolled: 1-line block ×3, first 2 shown]
	v_lshrrev_b32_e32 v46, 24, v36
	v_add3_u32 v5, v5, v47, v59
	v_add3_u32 v6, v6, v61, v60
	v_lshrrev_b32_e32 v45, 24, v37
	v_and_b32_e32 v56, 0xff, v38
	v_and_b32_e32 v54, 0xff, v40
	v_bfe_u32 v55, v38, 8, 8
	v_add3_u32 v5, v5, v57, v52
	v_add3_u32 v6, v6, v58, v46
	v_bfe_u32 v51, v40, 8, 8
	v_bfe_u32 v53, v38, 16, 8
	;; [unrolled: 1-line block ×3, first 2 shown]
	v_lshrrev_b32_e32 v44, 24, v38
	v_add3_u32 v5, v5, v45, v54
	v_add3_u32 v6, v6, v56, v55
	v_mbcnt_lo_u32_b32 v67, -1, 0
	v_lshrrev_b32_e32 v43, 24, v40
	v_and_b32_e32 v50, 0xff, v39
	v_and_b32_e32 v7, 0xff, v41
	;; [unrolled: 1-line block ×3, first 2 shown]
	v_add3_u32 v5, v5, v51, v49
	v_add3_u32 v6, v6, v53, v44
	v_and_b32_e32 v69, 15, v67
	v_and_b32_e32 v71, 16, v67
	v_lshrrev_b32_e32 v68, 5, v0
	v_add3_u32 v72, v5, v43, v7
	v_add3_u32 v73, v6, v50, v8
	v_cmp_eq_u32_e64 s2, 0, v69
	v_cmp_lt_u32_e64 s1, 1, v69
	v_cmp_lt_u32_e64 s3, 3, v69
	v_or_b32_e32 v70, 31, v0
	s_cmp_lg_u32 s27, 0
	s_mov_b32 s4, -1
	v_cmp_lt_u32_e32 vcc_lo, 7, v69
	s_cbranch_scc0 .LBB562_136
; %bb.115:
	v_mov_b32_dpp v5, v73 row_shr:1 row_mask:0xf bank_mask:0xf
	v_mov_b32_dpp v6, v72 row_shr:1 row_mask:0xf bank_mask:0xf
	s_mov_b32 s4, exec_lo
	v_add_nc_u32_e32 v5, v5, v73
	v_add_nc_u32_e32 v6, v6, v72
	v_cndmask_b32_e64 v5, v5, v73, s2
	v_cndmask_b32_e64 v6, v6, v72, s2
	v_mov_b32_dpp v7, v5 row_shr:2 row_mask:0xf bank_mask:0xf
	v_mov_b32_dpp v8, v6 row_shr:2 row_mask:0xf bank_mask:0xf
	v_add_nc_u32_e32 v7, v5, v7
	v_add_nc_u32_e32 v8, v6, v8
	v_cndmask_b32_e64 v5, v5, v7, s1
	v_cndmask_b32_e64 v6, v6, v8, s1
	v_mov_b32_dpp v7, v5 row_shr:4 row_mask:0xf bank_mask:0xf
	v_mov_b32_dpp v8, v6 row_shr:4 row_mask:0xf bank_mask:0xf
	;; [unrolled: 6-line block ×3, first 2 shown]
	v_add_nc_u32_e32 v7, v5, v7
	v_add_nc_u32_e32 v8, v6, v8
	v_cndmask_b32_e32 v5, v5, v7, vcc_lo
	v_cndmask_b32_e32 v6, v6, v8, vcc_lo
	v_cmp_eq_u32_e32 vcc_lo, 0, v71
	ds_swizzle_b32 v7, v5 offset:swizzle(BROADCAST,32,15)
	ds_swizzle_b32 v8, v6 offset:swizzle(BROADCAST,32,15)
	s_waitcnt lgkmcnt(1)
	v_add_nc_u32_e32 v7, v5, v7
	s_waitcnt lgkmcnt(0)
	v_add_nc_u32_e32 v8, v6, v8
	v_cmpx_eq_u32_e64 v0, v70
	s_cbranch_execz .LBB562_117
; %bb.116:
	v_lshlrev_b32_e32 v11, 3, v68
	v_cndmask_b32_e32 v10, v7, v5, vcc_lo
	v_cndmask_b32_e32 v9, v8, v6, vcc_lo
	ds_write_b64 v11, v[9:10]
.LBB562_117:
	s_or_b32 exec_lo, exec_lo, s4
	s_mov_b32 s4, exec_lo
	s_waitcnt lgkmcnt(0)
	s_barrier
	buffer_gl0_inv
	v_cmpx_gt_u32_e32 8, v0
	s_cbranch_execz .LBB562_119
; %bb.118:
	v_lshlrev_b32_e32 v11, 3, v0
	v_and_b32_e32 v26, 7, v67
	ds_read_b64 v[9:10], v11
	v_cmp_eq_u32_e64 s3, 0, v26
	s_waitcnt lgkmcnt(0)
	v_mov_b32_dpp v12, v9 row_shr:1 row_mask:0xf bank_mask:0xf
	v_mov_b32_dpp v25, v10 row_shr:1 row_mask:0xf bank_mask:0xf
	v_add_nc_u32_e32 v12, v12, v9
	v_add_nc_u32_e32 v25, v25, v10
	v_cndmask_b32_e64 v9, v12, v9, s3
	v_cndmask_b32_e64 v10, v25, v10, s3
	v_cmp_lt_u32_e64 s3, 1, v26
	v_mov_b32_dpp v12, v9 row_shr:2 row_mask:0xf bank_mask:0xf
	v_mov_b32_dpp v25, v10 row_shr:2 row_mask:0xf bank_mask:0xf
	v_add_nc_u32_e32 v12, v9, v12
	v_add_nc_u32_e32 v25, v10, v25
	v_cndmask_b32_e64 v9, v9, v12, s3
	v_cndmask_b32_e64 v10, v10, v25, s3
	v_cmp_lt_u32_e64 s3, 3, v26
	v_mov_b32_dpp v12, v9 row_shr:4 row_mask:0xf bank_mask:0xf
	v_mov_b32_dpp v25, v10 row_shr:4 row_mask:0xf bank_mask:0xf
	v_cndmask_b32_e64 v12, 0, v12, s3
	v_cndmask_b32_e64 v25, 0, v25, s3
	v_add_nc_u32_e32 v9, v12, v9
	v_add_nc_u32_e32 v10, v25, v10
	ds_write_b64 v11, v[9:10]
.LBB562_119:
	s_or_b32 exec_lo, exec_lo, s4
	v_cndmask_b32_e32 v5, v7, v5, vcc_lo
	v_cndmask_b32_e32 v6, v8, v6, vcc_lo
	s_mov_b32 s4, exec_lo
	v_cmp_gt_u32_e32 vcc_lo, 32, v0
	s_waitcnt lgkmcnt(0)
	s_barrier
	buffer_gl0_inv
                                        ; implicit-def: $vgpr25
	v_cmpx_lt_u32_e32 31, v0
	s_cbranch_execz .LBB562_121
; %bb.120:
	v_lshl_add_u32 v7, v68, 3, -8
	ds_read_b64 v[25:26], v7
	s_waitcnt lgkmcnt(0)
	v_add_nc_u32_e32 v5, v26, v5
	v_add_nc_u32_e32 v6, v25, v6
.LBB562_121:
	s_or_b32 exec_lo, exec_lo, s4
	v_sub_co_u32 v7, s3, v67, 1
	v_cmp_gt_i32_e64 s4, 0, v7
	v_cndmask_b32_e64 v7, v7, v67, s4
	v_lshlrev_b32_e32 v7, 2, v7
	ds_bpermute_b32 v74, v7, v6
	ds_bpermute_b32 v75, v7, v5
	s_and_saveexec_b32 s4, vcc_lo
	s_cbranch_execz .LBB562_141
; %bb.122:
	v_mov_b32_e32 v8, 0
	ds_read_b64 v[5:6], v8 offset:56
	s_and_saveexec_b32 s6, s3
	s_cbranch_execz .LBB562_124
; %bb.123:
	s_add_i32 s8, s27, 32
	s_mov_b32 s9, 0
	v_mov_b32_e32 v7, 1
	s_lshl_b64 s[8:9], s[8:9], 4
	s_add_u32 s8, s36, s8
	s_addc_u32 s9, s37, s9
	v_mov_b32_e32 v10, s9
	v_mov_b32_e32 v9, s8
	s_waitcnt lgkmcnt(0)
	;;#ASMSTART
	global_store_dwordx4 v[9:10], v[5:8] off	
s_waitcnt vmcnt(0)
	;;#ASMEND
.LBB562_124:
	s_or_b32 exec_lo, exec_lo, s6
	v_xad_u32 v27, v67, -1, s27
	s_mov_b32 s7, 0
	v_add_nc_u32_e32 v7, 32, v27
	v_lshlrev_b64 v[9:10], 4, v[7:8]
	v_add_co_u32 v28, vcc_lo, s36, v9
	v_add_co_ci_u32_e64 v29, null, s37, v10, vcc_lo
	;;#ASMSTART
	global_load_dwordx4 v[9:12], v[28:29] off glc dlc	
s_waitcnt vmcnt(0)
	;;#ASMEND
	v_cmp_eq_u16_sdwa s8, v11, v8 src0_sel:BYTE_0 src1_sel:DWORD
	s_and_saveexec_b32 s6, s8
	s_cbranch_execz .LBB562_128
; %bb.125:
	v_mov_b32_e32 v7, 0
.LBB562_126:                            ; =>This Inner Loop Header: Depth=1
	;;#ASMSTART
	global_load_dwordx4 v[9:12], v[28:29] off glc dlc	
s_waitcnt vmcnt(0)
	;;#ASMEND
	v_cmp_ne_u16_sdwa s8, v11, v7 src0_sel:BYTE_0 src1_sel:DWORD
	s_or_b32 s7, s8, s7
	s_andn2_b32 exec_lo, exec_lo, s7
	s_cbranch_execnz .LBB562_126
; %bb.127:
	s_or_b32 exec_lo, exec_lo, s7
.LBB562_128:
	s_or_b32 exec_lo, exec_lo, s6
	v_cmp_ne_u32_e32 vcc_lo, 31, v67
	v_mov_b32_e32 v77, 2
	v_lshlrev_b32_e64 v78, v67, -1
	v_add_nc_u32_e32 v80, 2, v67
	v_add_nc_u32_e32 v82, 4, v67
	v_add_co_ci_u32_e64 v7, null, 0, v67, vcc_lo
	v_cmp_eq_u16_sdwa s6, v11, v77 src0_sel:BYTE_0 src1_sel:DWORD
	v_cmp_gt_u32_e32 vcc_lo, 30, v67
	v_add_nc_u32_e32 v84, 8, v67
	v_lshlrev_b32_e32 v76, 2, v7
	v_lshl_or_b32 v85, v67, 2, 64
	v_and_b32_e32 v12, s6, v78
	v_cndmask_b32_e64 v28, 0, 2, vcc_lo
	v_add_nc_u32_e32 v86, 16, v67
	ds_bpermute_b32 v7, v76, v10
	ds_bpermute_b32 v8, v76, v9
	v_or_b32_e32 v12, 0x80000000, v12
	v_add_lshl_u32 v79, v28, v67, 2
	v_ffbl_b32_e32 v12, v12
	v_cmp_lt_u32_e32 vcc_lo, v67, v12
	s_waitcnt lgkmcnt(1)
	v_add_nc_u32_e32 v7, v7, v10
	s_waitcnt lgkmcnt(0)
	v_add_nc_u32_e32 v8, v8, v9
	v_cndmask_b32_e32 v7, v10, v7, vcc_lo
	v_cndmask_b32_e32 v8, v9, v8, vcc_lo
	v_cmp_gt_u32_e32 vcc_lo, 28, v67
	ds_bpermute_b32 v9, v79, v7
	ds_bpermute_b32 v10, v79, v8
	v_cndmask_b32_e64 v28, 0, 4, vcc_lo
	v_cmp_gt_u32_e32 vcc_lo, v80, v12
	v_add_lshl_u32 v81, v28, v67, 2
	s_waitcnt lgkmcnt(1)
	v_add_nc_u32_e32 v9, v7, v9
	s_waitcnt lgkmcnt(0)
	v_add_nc_u32_e32 v10, v8, v10
	v_cndmask_b32_e32 v7, v9, v7, vcc_lo
	v_cndmask_b32_e32 v8, v10, v8, vcc_lo
	v_cmp_gt_u32_e32 vcc_lo, 24, v67
	ds_bpermute_b32 v9, v81, v7
	ds_bpermute_b32 v10, v81, v8
	v_cndmask_b32_e64 v28, 0, 8, vcc_lo
	v_cmp_gt_u32_e32 vcc_lo, v82, v12
	v_add_lshl_u32 v83, v28, v67, 2
	v_mov_b32_e32 v28, 0
	s_waitcnt lgkmcnt(1)
	v_add_nc_u32_e32 v9, v7, v9
	s_waitcnt lgkmcnt(0)
	v_add_nc_u32_e32 v10, v8, v10
	v_cndmask_b32_e32 v7, v9, v7, vcc_lo
	v_cndmask_b32_e32 v8, v10, v8, vcc_lo
	v_cmp_gt_u32_e32 vcc_lo, v84, v12
	ds_bpermute_b32 v9, v83, v7
	ds_bpermute_b32 v10, v83, v8
	s_waitcnt lgkmcnt(1)
	v_add_nc_u32_e32 v9, v7, v9
	s_waitcnt lgkmcnt(0)
	v_add_nc_u32_e32 v10, v8, v10
	v_cndmask_b32_e32 v7, v9, v7, vcc_lo
	v_cndmask_b32_e32 v8, v10, v8, vcc_lo
	v_cmp_le_u32_e32 vcc_lo, v86, v12
	ds_bpermute_b32 v10, v85, v7
	ds_bpermute_b32 v9, v85, v8
	s_waitcnt lgkmcnt(1)
	v_cndmask_b32_e32 v10, 0, v10, vcc_lo
	s_waitcnt lgkmcnt(0)
	v_cndmask_b32_e32 v9, 0, v9, vcc_lo
	v_add_nc_u32_e32 v10, v10, v7
	v_add_nc_u32_e32 v9, v9, v8
	s_branch .LBB562_132
.LBB562_129:                            ;   in Loop: Header=BB562_132 Depth=1
	s_or_b32 exec_lo, exec_lo, s7
.LBB562_130:                            ;   in Loop: Header=BB562_132 Depth=1
	s_or_b32 exec_lo, exec_lo, s6
	ds_bpermute_b32 v12, v76, v9
	ds_bpermute_b32 v29, v76, v10
	v_cmp_eq_u16_sdwa s6, v11, v77 src0_sel:BYTE_0 src1_sel:DWORD
	v_subrev_nc_u32_e32 v27, 32, v27
	v_and_or_b32 v30, s6, v78, 0x80000000
	s_mov_b32 s6, 0
	v_ffbl_b32_e32 v30, v30
	v_cmp_lt_u32_e32 vcc_lo, v67, v30
	s_waitcnt lgkmcnt(1)
	v_add_nc_u32_e32 v12, v12, v9
	s_waitcnt lgkmcnt(0)
	v_add_nc_u32_e32 v29, v29, v10
	v_cndmask_b32_e32 v9, v9, v12, vcc_lo
	v_cndmask_b32_e32 v10, v10, v29, vcc_lo
	v_cmp_gt_u32_e32 vcc_lo, v80, v30
	ds_bpermute_b32 v12, v79, v9
	ds_bpermute_b32 v29, v79, v10
	s_waitcnt lgkmcnt(1)
	v_add_nc_u32_e32 v12, v9, v12
	s_waitcnt lgkmcnt(0)
	v_add_nc_u32_e32 v29, v10, v29
	v_cndmask_b32_e32 v9, v12, v9, vcc_lo
	v_cndmask_b32_e32 v10, v29, v10, vcc_lo
	v_cmp_gt_u32_e32 vcc_lo, v82, v30
	ds_bpermute_b32 v12, v81, v9
	ds_bpermute_b32 v29, v81, v10
	;; [unrolled: 9-line block ×3, first 2 shown]
	s_waitcnt lgkmcnt(1)
	v_add_nc_u32_e32 v12, v9, v12
	s_waitcnt lgkmcnt(0)
	v_add_nc_u32_e32 v29, v10, v29
	v_cndmask_b32_e32 v9, v12, v9, vcc_lo
	v_cndmask_b32_e32 v10, v29, v10, vcc_lo
	v_cmp_le_u32_e32 vcc_lo, v86, v30
	ds_bpermute_b32 v12, v85, v9
	ds_bpermute_b32 v29, v85, v10
	s_waitcnt lgkmcnt(1)
	v_cndmask_b32_e32 v12, 0, v12, vcc_lo
	s_waitcnt lgkmcnt(0)
	v_cndmask_b32_e32 v29, 0, v29, vcc_lo
	v_add3_u32 v9, v9, v7, v12
	v_add3_u32 v10, v10, v8, v29
.LBB562_131:                            ;   in Loop: Header=BB562_132 Depth=1
	s_and_b32 vcc_lo, exec_lo, s6
	s_cbranch_vccnz .LBB562_137
.LBB562_132:                            ; =>This Loop Header: Depth=1
                                        ;     Child Loop BB562_135 Depth 2
	v_cmp_ne_u16_sdwa s6, v11, v77 src0_sel:BYTE_0 src1_sel:DWORD
	v_mov_b32_e32 v7, v9
	v_mov_b32_e32 v8, v10
                                        ; implicit-def: $vgpr11
                                        ; implicit-def: $vgpr9_vgpr10
	s_cmp_lg_u32 s6, exec_lo
	s_mov_b32 s6, -1
	s_cbranch_scc1 .LBB562_131
; %bb.133:                              ;   in Loop: Header=BB562_132 Depth=1
	v_lshlrev_b64 v[9:10], 4, v[27:28]
	v_add_co_u32 v29, vcc_lo, s36, v9
	v_add_co_ci_u32_e64 v30, null, s37, v10, vcc_lo
	;;#ASMSTART
	global_load_dwordx4 v[9:12], v[29:30] off glc dlc	
s_waitcnt vmcnt(0)
	;;#ASMEND
	v_cmp_eq_u16_sdwa s7, v11, v28 src0_sel:BYTE_0 src1_sel:DWORD
	s_and_saveexec_b32 s6, s7
	s_cbranch_execz .LBB562_130
; %bb.134:                              ;   in Loop: Header=BB562_132 Depth=1
	s_mov_b32 s7, 0
.LBB562_135:                            ;   Parent Loop BB562_132 Depth=1
                                        ; =>  This Inner Loop Header: Depth=2
	;;#ASMSTART
	global_load_dwordx4 v[9:12], v[29:30] off glc dlc	
s_waitcnt vmcnt(0)
	;;#ASMEND
	v_cmp_ne_u16_sdwa s8, v11, v28 src0_sel:BYTE_0 src1_sel:DWORD
	s_or_b32 s7, s8, s7
	s_andn2_b32 exec_lo, exec_lo, s7
	s_cbranch_execnz .LBB562_135
	s_branch .LBB562_129
.LBB562_136:
                                        ; implicit-def: $vgpr25
                                        ; implicit-def: $vgpr7
                                        ; implicit-def: $vgpr26
	s_and_b32 vcc_lo, exec_lo, s4
	s_cbranch_vccnz .LBB562_142
	s_branch .LBB562_151
.LBB562_137:
	s_and_saveexec_b32 s6, s3
	s_cbranch_execnz .LBB562_379
; %bb.138:
	s_or_b32 exec_lo, exec_lo, s6
	s_and_saveexec_b32 s6, s3
	s_cbranch_execnz .LBB562_380
.LBB562_139:
	s_or_b32 exec_lo, exec_lo, s6
	s_and_b32 exec_lo, exec_lo, s0
.LBB562_140:
	v_mov_b32_e32 v5, 0
	ds_write_b64 v5, v[7:8] offset:56
.LBB562_141:
	s_or_b32 exec_lo, exec_lo, s4
	v_mov_b32_e32 v5, 0
	s_waitcnt lgkmcnt(0)
	s_barrier
	buffer_gl0_inv
	v_cndmask_b32_e64 v11, v75, v26, s3
	ds_read_b64 v[9:10], v5 offset:56
	s_waitcnt lgkmcnt(0)
	s_barrier
	buffer_gl0_inv
	ds_read_b128 v[5:8], v5 offset:13312
	v_cndmask_b32_e64 v12, v74, v25, s3
	v_add_nc_u32_e32 v11, v10, v11
	v_add_nc_u32_e32 v12, v9, v12
	v_cndmask_b32_e64 v25, v11, v10, s0
	v_cndmask_b32_e64 v26, v12, v9, s0
	s_branch .LBB562_151
.LBB562_142:
	s_waitcnt lgkmcnt(0)
	v_mov_b32_dpp v5, v72 row_shr:1 row_mask:0xf bank_mask:0xf
	v_mov_b32_dpp v6, v73 row_shr:1 row_mask:0xf bank_mask:0xf
	v_cmp_lt_u32_e32 vcc_lo, 3, v69
	v_add_nc_u32_e32 v5, v5, v72
	v_add_nc_u32_e32 v6, v6, v73
	v_cndmask_b32_e64 v5, v5, v72, s2
	v_cndmask_b32_e64 v6, v6, v73, s2
	s_mov_b32 s2, exec_lo
	v_mov_b32_dpp v7, v5 row_shr:2 row_mask:0xf bank_mask:0xf
	v_mov_b32_dpp v8, v6 row_shr:2 row_mask:0xf bank_mask:0xf
	v_add_nc_u32_e32 v7, v5, v7
	v_add_nc_u32_e32 v8, v6, v8
	v_cndmask_b32_e64 v5, v5, v7, s1
	v_cndmask_b32_e64 v6, v6, v8, s1
	v_mov_b32_dpp v7, v5 row_shr:4 row_mask:0xf bank_mask:0xf
	v_mov_b32_dpp v8, v6 row_shr:4 row_mask:0xf bank_mask:0xf
	v_add_nc_u32_e32 v7, v5, v7
	v_add_nc_u32_e32 v8, v6, v8
	v_cndmask_b32_e32 v7, v5, v7, vcc_lo
	v_cndmask_b32_e32 v6, v6, v8, vcc_lo
	v_cmp_lt_u32_e32 vcc_lo, 7, v69
	v_mov_b32_dpp v5, v7 row_shr:8 row_mask:0xf bank_mask:0xf
	v_mov_b32_dpp v8, v6 row_shr:8 row_mask:0xf bank_mask:0xf
	v_add_nc_u32_e32 v9, v7, v5
	v_add_nc_u32_e32 v5, v6, v8
	v_cndmask_b32_e32 v5, v6, v5, vcc_lo
	v_cndmask_b32_e32 v6, v7, v9, vcc_lo
	v_cmp_eq_u32_e32 vcc_lo, 0, v71
	ds_swizzle_b32 v7, v5 offset:swizzle(BROADCAST,32,15)
	ds_swizzle_b32 v8, v6 offset:swizzle(BROADCAST,32,15)
	s_waitcnt lgkmcnt(1)
	v_add_nc_u32_e32 v7, v5, v7
	s_waitcnt lgkmcnt(0)
	v_add_nc_u32_e32 v8, v6, v8
	v_cmpx_eq_u32_e64 v0, v70
	s_cbranch_execz .LBB562_144
; %bb.143:
	v_cndmask_b32_e32 v9, v8, v6, vcc_lo
	v_cndmask_b32_e32 v10, v7, v5, vcc_lo
	v_lshlrev_b32_e32 v11, 3, v68
	ds_write_b64 v11, v[9:10]
.LBB562_144:
	s_or_b32 exec_lo, exec_lo, s2
	s_mov_b32 s2, exec_lo
	s_waitcnt lgkmcnt(0)
	s_barrier
	buffer_gl0_inv
	v_cmpx_gt_u32_e32 8, v0
	s_cbranch_execz .LBB562_146
; %bb.145:
	v_lshlrev_b32_e32 v11, 3, v0
	v_and_b32_e32 v26, 7, v67
	ds_read_b64 v[9:10], v11
	v_cmp_eq_u32_e64 s1, 0, v26
	s_waitcnt lgkmcnt(0)
	v_mov_b32_dpp v12, v9 row_shr:1 row_mask:0xf bank_mask:0xf
	v_mov_b32_dpp v25, v10 row_shr:1 row_mask:0xf bank_mask:0xf
	v_add_nc_u32_e32 v12, v12, v9
	v_add_nc_u32_e32 v25, v25, v10
	v_cndmask_b32_e64 v9, v12, v9, s1
	v_cndmask_b32_e64 v10, v25, v10, s1
	v_cmp_lt_u32_e64 s1, 1, v26
	v_mov_b32_dpp v12, v9 row_shr:2 row_mask:0xf bank_mask:0xf
	v_mov_b32_dpp v25, v10 row_shr:2 row_mask:0xf bank_mask:0xf
	v_add_nc_u32_e32 v12, v9, v12
	v_add_nc_u32_e32 v25, v10, v25
	v_cndmask_b32_e64 v9, v9, v12, s1
	v_cndmask_b32_e64 v10, v10, v25, s1
	v_cmp_lt_u32_e64 s1, 3, v26
	v_mov_b32_dpp v12, v9 row_shr:4 row_mask:0xf bank_mask:0xf
	v_mov_b32_dpp v25, v10 row_shr:4 row_mask:0xf bank_mask:0xf
	v_cndmask_b32_e64 v12, 0, v12, s1
	v_cndmask_b32_e64 v25, 0, v25, s1
	v_add_nc_u32_e32 v9, v12, v9
	v_add_nc_u32_e32 v10, v25, v10
	ds_write_b64 v11, v[9:10]
.LBB562_146:
	s_or_b32 exec_lo, exec_lo, s2
	v_mov_b32_e32 v11, 0
	v_mov_b32_e32 v9, 0
	;; [unrolled: 1-line block ×3, first 2 shown]
	s_mov_b32 s2, exec_lo
	s_waitcnt lgkmcnt(0)
	s_barrier
	buffer_gl0_inv
	v_cmpx_lt_u32_e32 31, v0
; %bb.147:
	v_lshl_add_u32 v9, v68, 3, -8
	ds_read_b64 v[9:10], v9
; %bb.148:
	s_or_b32 exec_lo, exec_lo, s2
	v_sub_co_u32 v12, s1, v67, 1
	v_cndmask_b32_e32 v6, v8, v6, vcc_lo
	v_cndmask_b32_e32 v5, v7, v5, vcc_lo
	v_cmp_gt_i32_e64 s2, 0, v12
	s_waitcnt lgkmcnt(0)
	v_add_nc_u32_e32 v6, v9, v6
	v_add_nc_u32_e32 v5, v10, v5
	v_cndmask_b32_e64 v8, v12, v67, s2
	v_lshlrev_b32_e32 v7, 2, v8
	ds_bpermute_b32 v12, v7, v6
	ds_bpermute_b32 v25, v7, v5
	ds_read_b64 v[5:6], v11 offset:56
	s_and_saveexec_b32 s2, s0
	s_cbranch_execz .LBB562_150
; %bb.149:
	s_add_u32 s6, s36, 0x200
	s_addc_u32 s7, s37, 0
	v_mov_b32_e32 v7, 2
	v_mov_b32_e32 v27, s7
	;; [unrolled: 1-line block ×4, first 2 shown]
	s_waitcnt lgkmcnt(0)
	;;#ASMSTART
	global_store_dwordx4 v[26:27], v[5:8] off	
s_waitcnt vmcnt(0)
	;;#ASMEND
.LBB562_150:
	s_or_b32 exec_lo, exec_lo, s2
	s_waitcnt lgkmcnt(1)
	v_cndmask_b32_e64 v7, v25, v10, s1
	v_cndmask_b32_e64 v9, v12, v9, s1
	v_mov_b32_e32 v8, 0
	s_waitcnt lgkmcnt(0)
	s_barrier
	v_cndmask_b32_e64 v25, v7, 0, s0
	v_cndmask_b32_e64 v26, v9, 0, s0
	v_mov_b32_e32 v7, 0
	buffer_gl0_inv
.LBB562_151:
	v_add_nc_u32_e32 v30, v25, v66
	v_add_nc_u32_e32 v29, v26, v65
	s_waitcnt lgkmcnt(0)
	v_sub_nc_u32_e32 v25, v25, v8
	v_lshrrev_b32_e32 v28, 8, v41
	v_lshlrev_b32_e32 v69, 1, v5
	v_add_nc_u32_e32 v63, v30, v63
	v_sub_nc_u32_e32 v30, v30, v8
	v_add_nc_u32_e32 v62, v29, v62
	v_sub_nc_u32_e32 v26, v26, v7
	;; [unrolled: 2-line block ×3, first 2 shown]
	v_add_nc_u32_e32 v30, v30, v5
	v_and_b32_e32 v28, 1, v28
	v_mov_b32_e32 v71, 1
	v_add3_u32 v34, v69, v6, v34
	v_add_nc_u32_e32 v75, v26, v25
	v_add_nc_u32_e32 v76, v30, v29
	v_add_co_u32 v1, vcc_lo, v1, v7
	v_add_co_ci_u32_e64 v2, null, 0, v2, vcc_lo
	v_sub_co_u32 v67, vcc_lo, v3, v5
	v_subrev_co_ci_u32_e64 v68, null, 0, v4, vcc_lo
	v_and_b32_sdwa v74, v71, v41 dst_sel:DWORD dst_unused:UNUSED_PAD src0_sel:DWORD src1_sel:WORD_1
	v_sub_nc_u32_e32 v76, v34, v76
	v_sub_nc_u32_e32 v75, v34, v75
	v_cmp_eq_u32_e32 vcc_lo, 1, v28
	v_lshrrev_b32_e32 v27, 8, v35
	v_add_nc_u32_e32 v65, v63, v48
	v_and_b32_e32 v70, 1, v35
	v_sub_nc_u32_e32 v63, v63, v8
	v_add_nc_u32_e32 v76, 1, v76
	v_cndmask_b32_e32 v25, v75, v25, vcc_lo
	v_cmp_eq_u32_e32 vcc_lo, 1, v74
	v_add_nc_u32_e32 v64, v62, v64
	v_and_b32_e32 v27, 1, v27
	v_sub_nc_u32_e32 v62, v62, v7
	v_add_nc_u32_e32 v63, v63, v5
	v_cndmask_b32_e32 v30, v76, v30, vcc_lo
	v_cmp_eq_u32_e32 vcc_lo, 1, v70
	v_and_b32_e32 v48, 1, v48
	v_add_nc_u32_e32 v61, v65, v61
	v_add_nc_u32_e32 v74, v63, v62
	v_and_b32_sdwa v35, v71, v35 dst_sel:DWORD dst_unused:UNUSED_PAD src0_sel:DWORD src1_sel:WORD_1
	v_cndmask_b32_e32 v70, v25, v26, vcc_lo
	v_cmp_eq_u32_e32 vcc_lo, 1, v27
	v_sub_nc_u32_e32 v65, v65, v8
	v_add_nc_u32_e32 v66, v64, v47
	v_add_nc_u32_e32 v60, v61, v60
	v_sub_nc_u32_e32 v61, v61, v8
	v_cndmask_b32_e32 v27, v30, v29, vcc_lo
	v_sub_nc_u32_e32 v29, v34, v74
	v_add_co_u32 v25, vcc_lo, v67, v8
	v_add_co_ci_u32_e64 v26, null, 0, v68, vcc_lo
	v_add_nc_u32_e32 v29, 2, v29
	v_cmp_eq_u32_e32 vcc_lo, 1, v48
	v_sub_nc_u32_e32 v48, v64, v7
	v_lshlrev_b32_e32 v30, 2, v70
	v_add_nc_u32_e32 v61, v61, v5
	v_lshlrev_b32_e32 v27, 2, v27
	v_cndmask_b32_e32 v29, v29, v63, vcc_lo
	v_add_nc_u32_e32 v63, v65, v5
	v_cmp_eq_u32_e32 vcc_lo, 1, v35
	v_sub_nc_u32_e32 v35, v66, v7
	v_lshrrev_b32_e32 v12, 8, v36
	ds_write_b32 v30, v23
	ds_write_b32 v27, v24
	v_and_b32_e32 v30, 1, v36
	v_cndmask_b32_e32 v29, v29, v62, vcc_lo
	v_add_nc_u32_e32 v62, v48, v63
	v_add_nc_u32_e32 v24, v35, v61
	;; [unrolled: 1-line block ×3, first 2 shown]
	v_and_b32_e32 v12, 1, v12
	v_lshlrev_b32_e32 v23, 2, v29
	v_sub_nc_u32_e32 v27, v34, v62
	v_and_b32_e32 v29, 1, v47
	v_sub_nc_u32_e32 v47, v60, v8
	v_sub_nc_u32_e32 v24, v34, v24
	v_cmp_eq_u32_e32 vcc_lo, 1, v30
	v_add_nc_u32_e32 v27, 3, v27
	v_add_nc_u32_e32 v57, v59, v57
	v_sub_nc_u32_e32 v59, v59, v7
	v_add_nc_u32_e32 v47, v47, v5
	v_add_nc_u32_e32 v24, 4, v24
	v_cndmask_b32_e32 v27, v27, v63, vcc_lo
	v_cmp_eq_u32_e32 vcc_lo, 1, v12
	v_add_nc_u32_e32 v58, v60, v58
	v_and_b32_e32 v30, 1, v37
	v_add_nc_u32_e32 v60, v59, v47
	v_lshrrev_b32_e32 v11, 8, v37
	v_cndmask_b32_e32 v12, v24, v61, vcc_lo
	v_cmp_eq_u32_e32 vcc_lo, 1, v29
	ds_write_b32 v23, v21
	v_and_b32_sdwa v23, v71, v36 dst_sel:DWORD dst_unused:UNUSED_PAD src0_sel:DWORD src1_sel:WORD_1
	v_add_nc_u32_e32 v72, v58, v46
	v_and_b32_e32 v11, 1, v11
	v_cndmask_b32_e32 v24, v27, v48, vcc_lo
	v_sub_nc_u32_e32 v27, v34, v60
	v_cmp_eq_u32_e32 vcc_lo, 1, v30
	v_add_nc_u32_e32 v52, v57, v52
	v_sub_nc_u32_e32 v29, v72, v8
	v_lshlrev_b32_e32 v21, 2, v24
	v_add_nc_u32_e32 v24, 5, v27
	v_cndmask_b32_e32 v12, v12, v35, vcc_lo
	v_sub_nc_u32_e32 v27, v58, v8
	v_cmp_eq_u32_e32 vcc_lo, 1, v23
	v_add_nc_u32_e32 v29, v29, v5
	v_add_nc_u32_e32 v56, v72, v56
	v_lshlrev_b32_e32 v12, 2, v12
	v_add_nc_u32_e32 v27, v27, v5
	v_cndmask_b32_e32 v23, v24, v47, vcc_lo
	v_sub_nc_u32_e32 v24, v57, v7
	v_cmp_eq_u32_e32 vcc_lo, 1, v11
	ds_write_b32 v21, v22
	ds_write_b32 v12, v19
	v_and_b32_e32 v22, 1, v46
	v_and_b32_e32 v35, 1, v38
	v_add_nc_u32_e32 v30, v24, v27
	v_cndmask_b32_e32 v11, v23, v59, vcc_lo
	v_sub_nc_u32_e32 v23, v52, v7
	v_cmp_eq_u32_e32 vcc_lo, 1, v22
	v_add_nc_u32_e32 v73, v52, v45
	v_sub_nc_u32_e32 v19, v34, v30
	v_sub_nc_u32_e32 v30, v56, v8
	v_add_nc_u32_e32 v12, v23, v29
	v_and_b32_sdwa v21, v71, v37 dst_sel:DWORD dst_unused:UNUSED_PAD src0_sel:DWORD src1_sel:WORD_1
	v_sub_nc_u32_e32 v36, v73, v7
	v_add_nc_u32_e32 v19, 6, v19
	v_add_nc_u32_e32 v30, v30, v5
	v_sub_nc_u32_e32 v12, v34, v12
	v_and_b32_e32 v22, 1, v45
	v_lshrrev_b32_e32 v10, 8, v38
	v_cndmask_b32_e32 v19, v19, v27, vcc_lo
	v_cmp_eq_u32_e32 vcc_lo, 1, v35
	v_add_nc_u32_e32 v12, 7, v12
	v_add_nc_u32_e32 v55, v56, v55
	;; [unrolled: 1-line block ×4, first 2 shown]
	v_and_b32_e32 v10, 1, v10
	v_cndmask_b32_e32 v12, v12, v29, vcc_lo
	v_cmp_eq_u32_e32 vcc_lo, 1, v21
	v_sub_nc_u32_e32 v21, v34, v27
	v_add_nc_u32_e32 v53, v55, v53
	v_lshlrev_b32_e32 v11, 2, v11
	v_add_nc_u32_e32 v51, v54, v51
	v_cndmask_b32_e32 v19, v19, v24, vcc_lo
	v_cmp_eq_u32_e32 vcc_lo, 1, v22
	v_sub_nc_u32_e32 v22, v55, v8
	v_add_nc_u32_e32 v21, 8, v21
	v_sub_nc_u32_e32 v24, v54, v7
	v_lshlrev_b32_e32 v19, 2, v19
	v_cndmask_b32_e32 v12, v12, v23, vcc_lo
	v_add_nc_u32_e32 v22, v22, v5
	v_cmp_eq_u32_e32 vcc_lo, 1, v10
	v_add_nc_u32_e32 v77, v53, v44
	v_and_b32_e32 v23, 1, v40
	v_lshlrev_b32_e32 v12, 2, v12
	ds_write_b32 v11, v20
	ds_write_b32 v19, v17
	;; [unrolled: 1-line block ×3, first 2 shown]
	v_cndmask_b32_e32 v10, v21, v30, vcc_lo
	v_add_nc_u32_e32 v21, v24, v22
	v_sub_nc_u32_e32 v12, v53, v8
	v_lshrrev_b32_e32 v9, 8, v40
	v_add_nc_u32_e32 v49, v51, v49
	v_cmp_eq_u32_e32 vcc_lo, 1, v23
	v_sub_nc_u32_e32 v11, v34, v21
	v_and_b32_sdwa v17, v71, v38 dst_sel:DWORD dst_unused:UNUSED_PAD src0_sel:DWORD src1_sel:WORD_1
	v_sub_nc_u32_e32 v18, v51, v7
	v_sub_nc_u32_e32 v19, v77, v8
	v_add_nc_u32_e32 v12, v12, v5
	v_cndmask_b32_e32 v10, v10, v36, vcc_lo
	v_and_b32_e32 v9, 1, v9
	v_add_nc_u32_e32 v11, 9, v11
	v_cmp_eq_u32_e32 vcc_lo, 1, v17
	v_sub_nc_u32_e32 v17, v49, v7
	v_add_nc_u32_e32 v19, v19, v5
	v_add_nc_u32_e32 v20, v18, v12
	;; [unrolled: 1-line block ×3, first 2 shown]
	v_cndmask_b32_e32 v11, v11, v22, vcc_lo
	v_cmp_eq_u32_e32 vcc_lo, 1, v9
	v_add_nc_u32_e32 v21, v17, v19
	v_sub_nc_u32_e32 v20, v34, v20
	v_and_b32_e32 v23, 1, v44
	v_add_nc_u32_e32 v50, v49, v43
	v_cndmask_b32_e32 v9, v11, v24, vcc_lo
	v_sub_nc_u32_e32 v11, v28, v8
	v_sub_nc_u32_e32 v21, v34, v21
	v_add_nc_u32_e32 v20, 10, v20
	v_and_b32_e32 v24, 1, v39
	v_cmp_eq_u32_e32 vcc_lo, 1, v23
	v_and_b32_sdwa v22, v71, v40 dst_sel:DWORD dst_unused:UNUSED_PAD src0_sel:DWORD src1_sel:WORD_1
	v_sub_nc_u32_e32 v7, v50, v7
	v_add_nc_u32_e32 v11, v11, v5
	v_add_nc_u32_e32 v21, 11, v21
	v_cndmask_b32_e32 v12, v20, v12, vcc_lo
	v_cmp_eq_u32_e32 vcc_lo, 1, v24
	v_and_b32_e32 v20, 1, v43
	v_add_nc_u32_e32 v27, v7, v11
	v_lshlrev_b32_e32 v10, 2, v10
	v_lshlrev_b32_e32 v9, 2, v9
	v_cndmask_b32_e32 v19, v21, v19, vcc_lo
	v_cmp_eq_u32_e32 vcc_lo, 1, v22
	v_sub_nc_u32_e32 v23, v34, v27
	v_cndmask_b32_e32 v12, v12, v18, vcc_lo
	v_and_b32_e32 v18, 1, v42
	v_cmp_eq_u32_e32 vcc_lo, 1, v20
	v_add_nc_u32_e32 v21, 12, v23
	v_lshlrev_b32_e32 v12, 2, v12
	v_cndmask_b32_e32 v17, v19, v17, vcc_lo
	v_and_b32_e32 v19, 1, v41
	v_cmp_eq_u32_e32 vcc_lo, 1, v18
	v_lshlrev_b32_e32 v17, 2, v17
	ds_write_b32 v10, v15
	ds_write_b32 v9, v16
	;; [unrolled: 1-line block ×4, first 2 shown]
	v_cndmask_b32_e32 v11, v21, v11, vcc_lo
	v_cmp_eq_u32_e32 vcc_lo, 1, v19
	v_add_co_u32 v9, s1, v6, v69
	v_add_co_ci_u32_e64 v10, null, 0, 0, s1
	v_cndmask_b32_e32 v7, v11, v7, vcc_lo
	v_add_co_u32 v11, s1, s34, v31
	v_add_co_ci_u32_e64 v12, null, s35, 0, s1
	v_lshlrev_b32_e32 v7, 2, v7
	v_add_nc_u32_e32 v14, v5, v6
	ds_write_b32 v7, v33
	v_add_co_u32 v7, vcc_lo, v9, v25
	v_add_co_ci_u32_e64 v9, null, v10, v26, vcc_lo
	s_waitcnt lgkmcnt(0)
	v_add_co_u32 v7, vcc_lo, v7, v1
	v_add_co_ci_u32_e64 v13, null, v9, v2, vcc_lo
	v_lshlrev_b64 v[9:10], 2, v[25:26]
	v_sub_co_u32 v7, vcc_lo, v11, v7
	v_sub_co_ci_u32_e64 v13, null, v12, v13, vcc_lo
	v_lshlrev_b64 v[11:12], 2, v[1:2]
	v_add_co_u32 v9, vcc_lo, s30, v9
	v_add_co_ci_u32_e64 v10, null, s31, v10, vcc_lo
	v_cmp_ne_u32_e32 vcc_lo, 1, v32
	v_add_co_u32 v11, s1, s28, v11
	v_add_co_ci_u32_e64 v12, null, s29, v12, s1
	s_mov_b32 s1, -1
	s_barrier
	buffer_gl0_inv
	s_cbranch_vccz .LBB562_155
; %bb.152:
	s_and_b32 vcc_lo, exec_lo, s1
	s_cbranch_vccnz .LBB562_260
.LBB562_153:
	s_and_b32 s0, s0, s26
	s_and_saveexec_b32 s1, s0
	s_cbranch_execnz .LBB562_378
.LBB562_154:
	s_endpgm
.LBB562_155:
	s_mov_b32 s1, exec_lo
	v_cmpx_ge_u32_e64 v0, v5
	s_xor_b32 s1, exec_lo, s1
	s_cbranch_execz .LBB562_161
; %bb.156:
	s_mov_b32 s2, exec_lo
	v_cmpx_ge_u32_e64 v0, v14
	s_xor_b32 s2, exec_lo, s2
	s_cbranch_execz .LBB562_158
; %bb.157:
	v_lshlrev_b32_e32 v15, 2, v0
	ds_read_b32 v17, v15
	v_add_co_u32 v15, vcc_lo, v7, v0
	v_add_co_ci_u32_e64 v16, null, 0, v13, vcc_lo
	v_lshlrev_b64 v[15:16], 2, v[15:16]
	v_sub_co_u32 v15, vcc_lo, s14, v15
	v_sub_co_ci_u32_e64 v16, null, s15, v16, vcc_lo
	s_waitcnt lgkmcnt(0)
	global_store_dword v[15:16], v17, off offset:-4
.LBB562_158:
	s_andn2_saveexec_b32 s2, s2
	s_cbranch_execz .LBB562_160
; %bb.159:
	v_lshlrev_b32_e32 v15, 2, v0
	v_readfirstlane_b32 s6, v9
	v_readfirstlane_b32 s7, v10
	ds_read_b32 v16, v15
	s_waitcnt lgkmcnt(0)
	global_store_dword v15, v16, s[6:7]
.LBB562_160:
	s_or_b32 exec_lo, exec_lo, s2
.LBB562_161:
	s_andn2_saveexec_b32 s1, s1
	s_cbranch_execz .LBB562_163
; %bb.162:
	v_lshlrev_b32_e32 v15, 2, v0
	v_readfirstlane_b32 s2, v11
	v_readfirstlane_b32 s3, v12
	ds_read_b32 v16, v15
	s_waitcnt lgkmcnt(0)
	global_store_dword v15, v16, s[2:3]
.LBB562_163:
	s_or_b32 exec_lo, exec_lo, s1
	v_or_b32_e32 v15, 0x100, v0
	s_mov_b32 s1, exec_lo
	v_cmpx_ge_u32_e64 v15, v5
	s_xor_b32 s1, exec_lo, s1
	s_cbranch_execz .LBB562_169
; %bb.164:
	s_mov_b32 s2, exec_lo
	v_cmpx_ge_u32_e64 v15, v14
	s_xor_b32 s2, exec_lo, s2
	s_cbranch_execz .LBB562_166
; %bb.165:
	v_lshlrev_b32_e32 v15, 2, v0
	ds_read_b32 v17, v15 offset:1024
	v_add_co_u32 v15, vcc_lo, v7, v0
	v_add_co_ci_u32_e64 v16, null, 0, v13, vcc_lo
	v_lshlrev_b64 v[15:16], 2, v[15:16]
	v_sub_co_u32 v15, vcc_lo, s14, v15
	v_sub_co_ci_u32_e64 v16, null, s15, v16, vcc_lo
	s_waitcnt lgkmcnt(0)
	global_store_dword v[15:16], v17, off offset:-1028
.LBB562_166:
	s_andn2_saveexec_b32 s2, s2
	s_cbranch_execz .LBB562_168
; %bb.167:
	v_lshlrev_b32_e32 v15, 2, v0
	v_readfirstlane_b32 s6, v9
	v_readfirstlane_b32 s7, v10
	ds_read_b32 v16, v15 offset:1024
	s_waitcnt lgkmcnt(0)
	global_store_dword v15, v16, s[6:7] offset:1024
.LBB562_168:
	s_or_b32 exec_lo, exec_lo, s2
.LBB562_169:
	s_andn2_saveexec_b32 s1, s1
	s_cbranch_execz .LBB562_171
; %bb.170:
	v_lshlrev_b32_e32 v15, 2, v0
	v_readfirstlane_b32 s2, v11
	v_readfirstlane_b32 s3, v12
	ds_read_b32 v16, v15 offset:1024
	s_waitcnt lgkmcnt(0)
	global_store_dword v15, v16, s[2:3] offset:1024
.LBB562_171:
	s_or_b32 exec_lo, exec_lo, s1
	v_or_b32_e32 v15, 0x200, v0
	s_mov_b32 s1, exec_lo
	v_cmpx_ge_u32_e64 v15, v5
	s_xor_b32 s1, exec_lo, s1
	s_cbranch_execz .LBB562_177
; %bb.172:
	s_mov_b32 s2, exec_lo
	v_cmpx_ge_u32_e64 v15, v14
	s_xor_b32 s2, exec_lo, s2
	s_cbranch_execz .LBB562_174
; %bb.173:
	v_lshlrev_b32_e32 v17, 2, v0
	v_add_co_u32 v15, vcc_lo, v7, v0
	v_add_co_ci_u32_e64 v16, null, 0, v13, vcc_lo
	ds_read_b32 v17, v17 offset:2048
	v_lshlrev_b64 v[15:16], 2, v[15:16]
	v_sub_co_u32 v15, vcc_lo, s14, v15
	v_sub_co_ci_u32_e64 v16, null, s15, v16, vcc_lo
	v_add_co_u32 v15, vcc_lo, 0xfffff800, v15
	v_add_co_ci_u32_e64 v16, null, -1, v16, vcc_lo
	s_waitcnt lgkmcnt(0)
	global_store_dword v[15:16], v17, off offset:-4
                                        ; implicit-def: $vgpr15
.LBB562_174:
	s_andn2_saveexec_b32 s2, s2
	s_cbranch_execz .LBB562_176
; %bb.175:
	v_lshlrev_b32_e32 v16, 2, v0
	v_lshlrev_b32_e32 v15, 2, v15
	v_readfirstlane_b32 s6, v9
	v_readfirstlane_b32 s7, v10
	ds_read_b32 v16, v16 offset:2048
	s_waitcnt lgkmcnt(0)
	global_store_dword v15, v16, s[6:7]
.LBB562_176:
	s_or_b32 exec_lo, exec_lo, s2
                                        ; implicit-def: $vgpr15
.LBB562_177:
	s_andn2_saveexec_b32 s1, s1
	s_cbranch_execz .LBB562_179
; %bb.178:
	v_lshlrev_b32_e32 v16, 2, v0
	v_lshlrev_b32_e32 v15, 2, v15
	v_readfirstlane_b32 s2, v11
	v_readfirstlane_b32 s3, v12
	ds_read_b32 v16, v16 offset:2048
	s_waitcnt lgkmcnt(0)
	global_store_dword v15, v16, s[2:3]
.LBB562_179:
	s_or_b32 exec_lo, exec_lo, s1
	v_or_b32_e32 v15, 0x300, v0
	s_mov_b32 s1, exec_lo
	v_cmpx_ge_u32_e64 v15, v5
	s_xor_b32 s1, exec_lo, s1
	s_cbranch_execz .LBB562_185
; %bb.180:
	s_mov_b32 s2, exec_lo
	v_cmpx_ge_u32_e64 v15, v14
	s_xor_b32 s2, exec_lo, s2
	s_cbranch_execz .LBB562_182
; %bb.181:
	v_lshlrev_b32_e32 v16, 2, v0
	v_add_co_u32 v15, vcc_lo, v7, v15
	ds_read_b32 v17, v16 offset:3072
	v_add_co_ci_u32_e64 v16, null, 0, v13, vcc_lo
	v_lshlrev_b64 v[15:16], 2, v[15:16]
	v_sub_co_u32 v15, vcc_lo, s14, v15
	v_sub_co_ci_u32_e64 v16, null, s15, v16, vcc_lo
	s_waitcnt lgkmcnt(0)
	global_store_dword v[15:16], v17, off offset:-4
                                        ; implicit-def: $vgpr15
.LBB562_182:
	s_andn2_saveexec_b32 s2, s2
	s_cbranch_execz .LBB562_184
; %bb.183:
	v_lshlrev_b32_e32 v16, 2, v0
	v_lshlrev_b32_e32 v15, 2, v15
	v_readfirstlane_b32 s6, v9
	v_readfirstlane_b32 s7, v10
	ds_read_b32 v16, v16 offset:3072
	s_waitcnt lgkmcnt(0)
	global_store_dword v15, v16, s[6:7]
.LBB562_184:
	s_or_b32 exec_lo, exec_lo, s2
                                        ; implicit-def: $vgpr15
.LBB562_185:
	s_andn2_saveexec_b32 s1, s1
	s_cbranch_execz .LBB562_187
; %bb.186:
	v_lshlrev_b32_e32 v16, 2, v0
	v_lshlrev_b32_e32 v15, 2, v15
	v_readfirstlane_b32 s2, v11
	v_readfirstlane_b32 s3, v12
	ds_read_b32 v16, v16 offset:3072
	s_waitcnt lgkmcnt(0)
	global_store_dword v15, v16, s[2:3]
.LBB562_187:
	s_or_b32 exec_lo, exec_lo, s1
	v_or_b32_e32 v15, 0x400, v0
	s_mov_b32 s1, exec_lo
	v_cmpx_ge_u32_e64 v15, v5
	s_xor_b32 s1, exec_lo, s1
	s_cbranch_execz .LBB562_193
; %bb.188:
	s_mov_b32 s2, exec_lo
	v_cmpx_ge_u32_e64 v15, v14
	s_xor_b32 s2, exec_lo, s2
	s_cbranch_execz .LBB562_190
; %bb.189:
	v_lshlrev_b32_e32 v16, 2, v0
	v_add_co_u32 v15, vcc_lo, v7, v15
	ds_read_b32 v17, v16 offset:4096
	v_add_co_ci_u32_e64 v16, null, 0, v13, vcc_lo
	v_lshlrev_b64 v[15:16], 2, v[15:16]
	v_sub_co_u32 v15, vcc_lo, s14, v15
	v_sub_co_ci_u32_e64 v16, null, s15, v16, vcc_lo
	s_waitcnt lgkmcnt(0)
	global_store_dword v[15:16], v17, off offset:-4
                                        ; implicit-def: $vgpr15
.LBB562_190:
	s_andn2_saveexec_b32 s2, s2
	s_cbranch_execz .LBB562_192
; %bb.191:
	v_lshlrev_b32_e32 v16, 2, v0
	v_lshlrev_b32_e32 v15, 2, v15
	v_readfirstlane_b32 s6, v9
	v_readfirstlane_b32 s7, v10
	ds_read_b32 v16, v16 offset:4096
	s_waitcnt lgkmcnt(0)
	global_store_dword v15, v16, s[6:7]
.LBB562_192:
	s_or_b32 exec_lo, exec_lo, s2
                                        ; implicit-def: $vgpr15
.LBB562_193:
	;; [unrolled: 48-line block ×10, first 2 shown]
	s_andn2_saveexec_b32 s1, s1
	s_cbranch_execz .LBB562_259
; %bb.258:
	v_lshlrev_b32_e32 v16, 2, v0
	v_lshlrev_b32_e32 v15, 2, v15
	v_readfirstlane_b32 s2, v11
	v_readfirstlane_b32 s3, v12
	ds_read_b32 v16, v16 offset:12288
	s_waitcnt lgkmcnt(0)
	global_store_dword v15, v16, s[2:3]
.LBB562_259:
	s_or_b32 exec_lo, exec_lo, s1
	s_branch .LBB562_153
.LBB562_260:
	s_mov_b32 s1, exec_lo
	v_cmpx_gt_u32_e64 s5, v0
	s_cbranch_execz .LBB562_269
; %bb.261:
	s_mov_b32 s2, exec_lo
	v_cmpx_ge_u32_e64 v0, v5
	s_xor_b32 s2, exec_lo, s2
	s_cbranch_execz .LBB562_267
; %bb.262:
	s_mov_b32 s3, exec_lo
	v_cmpx_ge_u32_e64 v0, v14
	s_xor_b32 s3, exec_lo, s3
	s_cbranch_execz .LBB562_264
; %bb.263:
	v_lshlrev_b32_e32 v15, 2, v0
	ds_read_b32 v17, v15
	v_add_co_u32 v15, vcc_lo, v7, v0
	v_add_co_ci_u32_e64 v16, null, 0, v13, vcc_lo
	v_lshlrev_b64 v[15:16], 2, v[15:16]
	v_sub_co_u32 v15, vcc_lo, s14, v15
	v_sub_co_ci_u32_e64 v16, null, s15, v16, vcc_lo
	s_waitcnt lgkmcnt(0)
	global_store_dword v[15:16], v17, off offset:-4
.LBB562_264:
	s_andn2_saveexec_b32 s3, s3
	s_cbranch_execz .LBB562_266
; %bb.265:
	v_lshlrev_b32_e32 v15, 2, v0
	v_readfirstlane_b32 s6, v9
	v_readfirstlane_b32 s7, v10
	ds_read_b32 v16, v15
	s_waitcnt lgkmcnt(0)
	global_store_dword v15, v16, s[6:7]
.LBB562_266:
	s_or_b32 exec_lo, exec_lo, s3
.LBB562_267:
	s_andn2_saveexec_b32 s2, s2
	s_cbranch_execz .LBB562_269
; %bb.268:
	v_lshlrev_b32_e32 v15, 2, v0
	v_readfirstlane_b32 s2, v11
	v_readfirstlane_b32 s3, v12
	ds_read_b32 v16, v15
	s_waitcnt lgkmcnt(0)
	global_store_dword v15, v16, s[2:3]
.LBB562_269:
	s_or_b32 exec_lo, exec_lo, s1
	v_or_b32_e32 v15, 0x100, v0
	s_mov_b32 s1, exec_lo
	v_cmpx_gt_u32_e64 s5, v15
	s_cbranch_execz .LBB562_278
; %bb.270:
	s_mov_b32 s2, exec_lo
	v_cmpx_ge_u32_e64 v15, v5
	s_xor_b32 s2, exec_lo, s2
	s_cbranch_execz .LBB562_276
; %bb.271:
	s_mov_b32 s3, exec_lo
	v_cmpx_ge_u32_e64 v15, v14
	s_xor_b32 s3, exec_lo, s3
	s_cbranch_execz .LBB562_273
; %bb.272:
	v_lshlrev_b32_e32 v15, 2, v0
	ds_read_b32 v17, v15 offset:1024
	v_add_co_u32 v15, vcc_lo, v7, v0
	v_add_co_ci_u32_e64 v16, null, 0, v13, vcc_lo
	v_lshlrev_b64 v[15:16], 2, v[15:16]
	v_sub_co_u32 v15, vcc_lo, s14, v15
	v_sub_co_ci_u32_e64 v16, null, s15, v16, vcc_lo
	s_waitcnt lgkmcnt(0)
	global_store_dword v[15:16], v17, off offset:-1028
.LBB562_273:
	s_andn2_saveexec_b32 s3, s3
	s_cbranch_execz .LBB562_275
; %bb.274:
	v_lshlrev_b32_e32 v15, 2, v0
	v_readfirstlane_b32 s6, v9
	v_readfirstlane_b32 s7, v10
	ds_read_b32 v16, v15 offset:1024
	s_waitcnt lgkmcnt(0)
	global_store_dword v15, v16, s[6:7] offset:1024
.LBB562_275:
	s_or_b32 exec_lo, exec_lo, s3
.LBB562_276:
	s_andn2_saveexec_b32 s2, s2
	s_cbranch_execz .LBB562_278
; %bb.277:
	v_lshlrev_b32_e32 v15, 2, v0
	v_readfirstlane_b32 s2, v11
	v_readfirstlane_b32 s3, v12
	ds_read_b32 v16, v15 offset:1024
	s_waitcnt lgkmcnt(0)
	global_store_dword v15, v16, s[2:3] offset:1024
.LBB562_278:
	s_or_b32 exec_lo, exec_lo, s1
	v_or_b32_e32 v15, 0x200, v0
	s_mov_b32 s1, exec_lo
	v_cmpx_gt_u32_e64 s5, v15
	s_cbranch_execz .LBB562_287
; %bb.279:
	s_mov_b32 s2, exec_lo
	v_cmpx_ge_u32_e64 v15, v5
	s_xor_b32 s2, exec_lo, s2
	s_cbranch_execz .LBB562_285
; %bb.280:
	s_mov_b32 s3, exec_lo
	v_cmpx_ge_u32_e64 v15, v14
	s_xor_b32 s3, exec_lo, s3
	s_cbranch_execz .LBB562_282
; %bb.281:
	v_lshlrev_b32_e32 v17, 2, v0
	v_add_co_u32 v15, vcc_lo, v7, v0
	v_add_co_ci_u32_e64 v16, null, 0, v13, vcc_lo
	ds_read_b32 v17, v17 offset:2048
	v_lshlrev_b64 v[15:16], 2, v[15:16]
	v_sub_co_u32 v15, vcc_lo, s14, v15
	v_sub_co_ci_u32_e64 v16, null, s15, v16, vcc_lo
	v_add_co_u32 v15, vcc_lo, 0xfffff800, v15
	v_add_co_ci_u32_e64 v16, null, -1, v16, vcc_lo
	s_waitcnt lgkmcnt(0)
	global_store_dword v[15:16], v17, off offset:-4
                                        ; implicit-def: $vgpr15
.LBB562_282:
	s_andn2_saveexec_b32 s3, s3
	s_cbranch_execz .LBB562_284
; %bb.283:
	v_lshlrev_b32_e32 v16, 2, v0
	v_lshlrev_b32_e32 v15, 2, v15
	v_readfirstlane_b32 s6, v9
	v_readfirstlane_b32 s7, v10
	ds_read_b32 v16, v16 offset:2048
	s_waitcnt lgkmcnt(0)
	global_store_dword v15, v16, s[6:7]
.LBB562_284:
	s_or_b32 exec_lo, exec_lo, s3
                                        ; implicit-def: $vgpr15
.LBB562_285:
	s_andn2_saveexec_b32 s2, s2
	s_cbranch_execz .LBB562_287
; %bb.286:
	v_lshlrev_b32_e32 v16, 2, v0
	v_lshlrev_b32_e32 v15, 2, v15
	v_readfirstlane_b32 s2, v11
	v_readfirstlane_b32 s3, v12
	ds_read_b32 v16, v16 offset:2048
	s_waitcnt lgkmcnt(0)
	global_store_dword v15, v16, s[2:3]
.LBB562_287:
	s_or_b32 exec_lo, exec_lo, s1
	v_or_b32_e32 v15, 0x300, v0
	s_mov_b32 s1, exec_lo
	v_cmpx_gt_u32_e64 s5, v15
	s_cbranch_execz .LBB562_296
; %bb.288:
	s_mov_b32 s2, exec_lo
	v_cmpx_ge_u32_e64 v15, v5
	s_xor_b32 s2, exec_lo, s2
	s_cbranch_execz .LBB562_294
; %bb.289:
	s_mov_b32 s3, exec_lo
	v_cmpx_ge_u32_e64 v15, v14
	s_xor_b32 s3, exec_lo, s3
	s_cbranch_execz .LBB562_291
; %bb.290:
	v_lshlrev_b32_e32 v16, 2, v0
	v_add_co_u32 v15, vcc_lo, v7, v15
	ds_read_b32 v17, v16 offset:3072
	v_add_co_ci_u32_e64 v16, null, 0, v13, vcc_lo
	v_lshlrev_b64 v[15:16], 2, v[15:16]
	v_sub_co_u32 v15, vcc_lo, s14, v15
	v_sub_co_ci_u32_e64 v16, null, s15, v16, vcc_lo
	s_waitcnt lgkmcnt(0)
	global_store_dword v[15:16], v17, off offset:-4
                                        ; implicit-def: $vgpr15
.LBB562_291:
	s_andn2_saveexec_b32 s3, s3
	s_cbranch_execz .LBB562_293
; %bb.292:
	v_lshlrev_b32_e32 v16, 2, v0
	v_lshlrev_b32_e32 v15, 2, v15
	v_readfirstlane_b32 s6, v9
	v_readfirstlane_b32 s7, v10
	ds_read_b32 v16, v16 offset:3072
	s_waitcnt lgkmcnt(0)
	global_store_dword v15, v16, s[6:7]
.LBB562_293:
	s_or_b32 exec_lo, exec_lo, s3
                                        ; implicit-def: $vgpr15
.LBB562_294:
	s_andn2_saveexec_b32 s2, s2
	s_cbranch_execz .LBB562_296
; %bb.295:
	v_lshlrev_b32_e32 v16, 2, v0
	v_lshlrev_b32_e32 v15, 2, v15
	v_readfirstlane_b32 s2, v11
	v_readfirstlane_b32 s3, v12
	ds_read_b32 v16, v16 offset:3072
	s_waitcnt lgkmcnt(0)
	global_store_dword v15, v16, s[2:3]
.LBB562_296:
	s_or_b32 exec_lo, exec_lo, s1
	v_or_b32_e32 v15, 0x400, v0
	s_mov_b32 s1, exec_lo
	v_cmpx_gt_u32_e64 s5, v15
	s_cbranch_execz .LBB562_305
; %bb.297:
	s_mov_b32 s2, exec_lo
	v_cmpx_ge_u32_e64 v15, v5
	s_xor_b32 s2, exec_lo, s2
	s_cbranch_execz .LBB562_303
; %bb.298:
	s_mov_b32 s3, exec_lo
	v_cmpx_ge_u32_e64 v15, v14
	s_xor_b32 s3, exec_lo, s3
	s_cbranch_execz .LBB562_300
; %bb.299:
	v_lshlrev_b32_e32 v16, 2, v0
	v_add_co_u32 v15, vcc_lo, v7, v15
	ds_read_b32 v17, v16 offset:4096
	v_add_co_ci_u32_e64 v16, null, 0, v13, vcc_lo
	v_lshlrev_b64 v[15:16], 2, v[15:16]
	v_sub_co_u32 v15, vcc_lo, s14, v15
	v_sub_co_ci_u32_e64 v16, null, s15, v16, vcc_lo
	s_waitcnt lgkmcnt(0)
	global_store_dword v[15:16], v17, off offset:-4
                                        ; implicit-def: $vgpr15
.LBB562_300:
	s_andn2_saveexec_b32 s3, s3
	s_cbranch_execz .LBB562_302
; %bb.301:
	v_lshlrev_b32_e32 v16, 2, v0
	v_lshlrev_b32_e32 v15, 2, v15
	v_readfirstlane_b32 s6, v9
	v_readfirstlane_b32 s7, v10
	ds_read_b32 v16, v16 offset:4096
	s_waitcnt lgkmcnt(0)
	global_store_dword v15, v16, s[6:7]
.LBB562_302:
	s_or_b32 exec_lo, exec_lo, s3
                                        ; implicit-def: $vgpr15
.LBB562_303:
	s_andn2_saveexec_b32 s2, s2
	s_cbranch_execz .LBB562_305
; %bb.304:
	v_lshlrev_b32_e32 v16, 2, v0
	v_lshlrev_b32_e32 v15, 2, v15
	v_readfirstlane_b32 s2, v11
	v_readfirstlane_b32 s3, v12
	ds_read_b32 v16, v16 offset:4096
	s_waitcnt lgkmcnt(0)
	global_store_dword v15, v16, s[2:3]
.LBB562_305:
	;; [unrolled: 52-line block ×9, first 2 shown]
	s_or_b32 exec_lo, exec_lo, s1
	v_or_b32_e32 v15, 0xc00, v0
	s_mov_b32 s1, exec_lo
	v_cmpx_gt_u32_e64 s5, v15
	s_cbranch_execz .LBB562_377
; %bb.369:
	s_mov_b32 s2, exec_lo
	v_cmpx_ge_u32_e64 v15, v5
	s_xor_b32 s2, exec_lo, s2
	s_cbranch_execz .LBB562_375
; %bb.370:
	s_mov_b32 s3, exec_lo
	v_cmpx_ge_u32_e64 v15, v14
	s_xor_b32 s3, exec_lo, s3
	s_cbranch_execz .LBB562_372
; %bb.371:
	v_lshlrev_b32_e32 v0, 2, v0
	v_add_co_u32 v9, vcc_lo, v7, v15
	v_add_co_ci_u32_e64 v10, null, 0, v13, vcc_lo
	ds_read_b32 v0, v0 offset:12288
                                        ; implicit-def: $vgpr15
	v_lshlrev_b64 v[9:10], 2, v[9:10]
	v_sub_co_u32 v9, vcc_lo, s14, v9
	v_sub_co_ci_u32_e64 v10, null, s15, v10, vcc_lo
	s_waitcnt lgkmcnt(0)
	global_store_dword v[9:10], v0, off offset:-4
                                        ; implicit-def: $vgpr0
                                        ; implicit-def: $vgpr9_vgpr10
.LBB562_372:
	s_andn2_saveexec_b32 s3, s3
	s_cbranch_execz .LBB562_374
; %bb.373:
	v_lshlrev_b32_e32 v0, 2, v0
	v_lshlrev_b32_e32 v7, 2, v15
	v_readfirstlane_b32 s4, v9
	v_readfirstlane_b32 s5, v10
	ds_read_b32 v0, v0 offset:12288
	s_waitcnt lgkmcnt(0)
	global_store_dword v7, v0, s[4:5]
.LBB562_374:
	s_or_b32 exec_lo, exec_lo, s3
                                        ; implicit-def: $vgpr0
                                        ; implicit-def: $vgpr15
                                        ; implicit-def: $vgpr11_vgpr12
.LBB562_375:
	s_andn2_saveexec_b32 s2, s2
	s_cbranch_execz .LBB562_377
; %bb.376:
	v_lshlrev_b32_e32 v0, 2, v0
	v_lshlrev_b32_e32 v7, 2, v15
	v_readfirstlane_b32 s2, v11
	v_readfirstlane_b32 s3, v12
	ds_read_b32 v0, v0 offset:12288
	s_waitcnt lgkmcnt(0)
	global_store_dword v7, v0, s[2:3]
.LBB562_377:
	s_or_b32 exec_lo, exec_lo, s1
	s_and_b32 s0, s0, s26
	s_and_saveexec_b32 s1, s0
	s_cbranch_execz .LBB562_154
.LBB562_378:
	v_add_co_u32 v0, vcc_lo, v3, v6
	v_add_co_ci_u32_e64 v4, null, 0, v4, vcc_lo
	v_mov_b32_e32 v6, 0
	v_add_co_u32 v3, vcc_lo, v0, v8
	v_add_co_ci_u32_e64 v4, null, 0, v4, vcc_lo
	v_add_co_u32 v1, vcc_lo, v1, v5
	v_add_co_ci_u32_e64 v2, null, 0, v2, vcc_lo
	global_store_dwordx4 v6, v[1:4], s[24:25]
	s_endpgm
.LBB562_379:
	s_add_i32 s8, s27, 32
	s_mov_b32 s9, 0
	v_add_nc_u32_e32 v10, v8, v6
	s_lshl_b64 s[8:9], s[8:9], 4
	v_add_nc_u32_e32 v9, v7, v5
	s_add_u32 s8, s36, s8
	s_addc_u32 s9, s37, s9
	v_mov_b32_e32 v11, 2
	v_mov_b32_e32 v28, s9
	;; [unrolled: 1-line block ×4, first 2 shown]
	;;#ASMSTART
	global_store_dwordx4 v[27:28], v[9:12] off	
s_waitcnt vmcnt(0)
	;;#ASMEND
	s_or_b32 exec_lo, exec_lo, s6
	s_and_saveexec_b32 s6, s3
	s_cbranch_execz .LBB562_139
.LBB562_380:
	v_mov_b32_e32 v9, 0
	ds_write_b128 v9, v[5:8] offset:13312
	s_or_b32 exec_lo, exec_lo, s6
	s_and_b32 exec_lo, exec_lo, s0
	s_cbranch_execnz .LBB562_140
	s_branch .LBB562_141
	.section	.rodata,"a",@progbits
	.p2align	6, 0x0
	.amdhsa_kernel _ZN7rocprim17ROCPRIM_400000_NS6detail17trampoline_kernelINS0_13select_configILj256ELj13ELNS0_17block_load_methodE3ELS4_3ELS4_3ELNS0_20block_scan_algorithmE0ELj4294967295EEENS1_25partition_config_selectorILNS1_17partition_subalgoE4EjNS0_10empty_typeEbEEZZNS1_14partition_implILS8_4ELb0ES6_15HIP_vector_typeIjLj2EENS0_17counting_iteratorIjlEEPS9_SG_NS0_5tupleIJPjSI_NS0_16reverse_iteratorISI_EEEEENSH_IJSG_SG_SG_EEES9_SI_JZNS1_25segmented_radix_sort_implINS0_14default_configELb0EPKiPiPKlPlN2at6native12_GLOBAL__N_18offset_tEEE10hipError_tPvRmT1_PNSt15iterator_traitsIS12_E10value_typeET2_T3_PNS13_IS18_E10value_typeET4_jRbjT5_S1E_jjP12ihipStream_tbEUljE_ZNSN_ISO_Lb0ESQ_SR_ST_SU_SY_EESZ_S10_S11_S12_S16_S17_S18_S1B_S1C_jS1D_jS1E_S1E_jjS1G_bEUljE0_EEESZ_S10_S11_S18_S1C_S1E_T6_T7_T9_mT8_S1G_bDpT10_ENKUlT_T0_E_clISt17integral_constantIbLb0EES1T_IbLb1EEEEDaS1P_S1Q_EUlS1P_E_NS1_11comp_targetILNS1_3genE8ELNS1_11target_archE1030ELNS1_3gpuE2ELNS1_3repE0EEENS1_30default_config_static_selectorELNS0_4arch9wavefront6targetE0EEEvS12_
		.amdhsa_group_segment_fixed_size 13328
		.amdhsa_private_segment_fixed_size 0
		.amdhsa_kernarg_size 184
		.amdhsa_user_sgpr_count 6
		.amdhsa_user_sgpr_private_segment_buffer 1
		.amdhsa_user_sgpr_dispatch_ptr 0
		.amdhsa_user_sgpr_queue_ptr 0
		.amdhsa_user_sgpr_kernarg_segment_ptr 1
		.amdhsa_user_sgpr_dispatch_id 0
		.amdhsa_user_sgpr_flat_scratch_init 0
		.amdhsa_user_sgpr_private_segment_size 0
		.amdhsa_wavefront_size32 1
		.amdhsa_uses_dynamic_stack 0
		.amdhsa_system_sgpr_private_segment_wavefront_offset 0
		.amdhsa_system_sgpr_workgroup_id_x 1
		.amdhsa_system_sgpr_workgroup_id_y 0
		.amdhsa_system_sgpr_workgroup_id_z 0
		.amdhsa_system_sgpr_workgroup_info 0
		.amdhsa_system_vgpr_workitem_id 0
		.amdhsa_next_free_vgpr 87
		.amdhsa_next_free_sgpr 55
		.amdhsa_reserve_vcc 1
		.amdhsa_reserve_flat_scratch 0
		.amdhsa_float_round_mode_32 0
		.amdhsa_float_round_mode_16_64 0
		.amdhsa_float_denorm_mode_32 3
		.amdhsa_float_denorm_mode_16_64 3
		.amdhsa_dx10_clamp 1
		.amdhsa_ieee_mode 1
		.amdhsa_fp16_overflow 0
		.amdhsa_workgroup_processor_mode 1
		.amdhsa_memory_ordered 1
		.amdhsa_forward_progress 1
		.amdhsa_shared_vgpr_count 0
		.amdhsa_exception_fp_ieee_invalid_op 0
		.amdhsa_exception_fp_denorm_src 0
		.amdhsa_exception_fp_ieee_div_zero 0
		.amdhsa_exception_fp_ieee_overflow 0
		.amdhsa_exception_fp_ieee_underflow 0
		.amdhsa_exception_fp_ieee_inexact 0
		.amdhsa_exception_int_div_zero 0
	.end_amdhsa_kernel
	.section	.text._ZN7rocprim17ROCPRIM_400000_NS6detail17trampoline_kernelINS0_13select_configILj256ELj13ELNS0_17block_load_methodE3ELS4_3ELS4_3ELNS0_20block_scan_algorithmE0ELj4294967295EEENS1_25partition_config_selectorILNS1_17partition_subalgoE4EjNS0_10empty_typeEbEEZZNS1_14partition_implILS8_4ELb0ES6_15HIP_vector_typeIjLj2EENS0_17counting_iteratorIjlEEPS9_SG_NS0_5tupleIJPjSI_NS0_16reverse_iteratorISI_EEEEENSH_IJSG_SG_SG_EEES9_SI_JZNS1_25segmented_radix_sort_implINS0_14default_configELb0EPKiPiPKlPlN2at6native12_GLOBAL__N_18offset_tEEE10hipError_tPvRmT1_PNSt15iterator_traitsIS12_E10value_typeET2_T3_PNS13_IS18_E10value_typeET4_jRbjT5_S1E_jjP12ihipStream_tbEUljE_ZNSN_ISO_Lb0ESQ_SR_ST_SU_SY_EESZ_S10_S11_S12_S16_S17_S18_S1B_S1C_jS1D_jS1E_S1E_jjS1G_bEUljE0_EEESZ_S10_S11_S18_S1C_S1E_T6_T7_T9_mT8_S1G_bDpT10_ENKUlT_T0_E_clISt17integral_constantIbLb0EES1T_IbLb1EEEEDaS1P_S1Q_EUlS1P_E_NS1_11comp_targetILNS1_3genE8ELNS1_11target_archE1030ELNS1_3gpuE2ELNS1_3repE0EEENS1_30default_config_static_selectorELNS0_4arch9wavefront6targetE0EEEvS12_,"axG",@progbits,_ZN7rocprim17ROCPRIM_400000_NS6detail17trampoline_kernelINS0_13select_configILj256ELj13ELNS0_17block_load_methodE3ELS4_3ELS4_3ELNS0_20block_scan_algorithmE0ELj4294967295EEENS1_25partition_config_selectorILNS1_17partition_subalgoE4EjNS0_10empty_typeEbEEZZNS1_14partition_implILS8_4ELb0ES6_15HIP_vector_typeIjLj2EENS0_17counting_iteratorIjlEEPS9_SG_NS0_5tupleIJPjSI_NS0_16reverse_iteratorISI_EEEEENSH_IJSG_SG_SG_EEES9_SI_JZNS1_25segmented_radix_sort_implINS0_14default_configELb0EPKiPiPKlPlN2at6native12_GLOBAL__N_18offset_tEEE10hipError_tPvRmT1_PNSt15iterator_traitsIS12_E10value_typeET2_T3_PNS13_IS18_E10value_typeET4_jRbjT5_S1E_jjP12ihipStream_tbEUljE_ZNSN_ISO_Lb0ESQ_SR_ST_SU_SY_EESZ_S10_S11_S12_S16_S17_S18_S1B_S1C_jS1D_jS1E_S1E_jjS1G_bEUljE0_EEESZ_S10_S11_S18_S1C_S1E_T6_T7_T9_mT8_S1G_bDpT10_ENKUlT_T0_E_clISt17integral_constantIbLb0EES1T_IbLb1EEEEDaS1P_S1Q_EUlS1P_E_NS1_11comp_targetILNS1_3genE8ELNS1_11target_archE1030ELNS1_3gpuE2ELNS1_3repE0EEENS1_30default_config_static_selectorELNS0_4arch9wavefront6targetE0EEEvS12_,comdat
.Lfunc_end562:
	.size	_ZN7rocprim17ROCPRIM_400000_NS6detail17trampoline_kernelINS0_13select_configILj256ELj13ELNS0_17block_load_methodE3ELS4_3ELS4_3ELNS0_20block_scan_algorithmE0ELj4294967295EEENS1_25partition_config_selectorILNS1_17partition_subalgoE4EjNS0_10empty_typeEbEEZZNS1_14partition_implILS8_4ELb0ES6_15HIP_vector_typeIjLj2EENS0_17counting_iteratorIjlEEPS9_SG_NS0_5tupleIJPjSI_NS0_16reverse_iteratorISI_EEEEENSH_IJSG_SG_SG_EEES9_SI_JZNS1_25segmented_radix_sort_implINS0_14default_configELb0EPKiPiPKlPlN2at6native12_GLOBAL__N_18offset_tEEE10hipError_tPvRmT1_PNSt15iterator_traitsIS12_E10value_typeET2_T3_PNS13_IS18_E10value_typeET4_jRbjT5_S1E_jjP12ihipStream_tbEUljE_ZNSN_ISO_Lb0ESQ_SR_ST_SU_SY_EESZ_S10_S11_S12_S16_S17_S18_S1B_S1C_jS1D_jS1E_S1E_jjS1G_bEUljE0_EEESZ_S10_S11_S18_S1C_S1E_T6_T7_T9_mT8_S1G_bDpT10_ENKUlT_T0_E_clISt17integral_constantIbLb0EES1T_IbLb1EEEEDaS1P_S1Q_EUlS1P_E_NS1_11comp_targetILNS1_3genE8ELNS1_11target_archE1030ELNS1_3gpuE2ELNS1_3repE0EEENS1_30default_config_static_selectorELNS0_4arch9wavefront6targetE0EEEvS12_, .Lfunc_end562-_ZN7rocprim17ROCPRIM_400000_NS6detail17trampoline_kernelINS0_13select_configILj256ELj13ELNS0_17block_load_methodE3ELS4_3ELS4_3ELNS0_20block_scan_algorithmE0ELj4294967295EEENS1_25partition_config_selectorILNS1_17partition_subalgoE4EjNS0_10empty_typeEbEEZZNS1_14partition_implILS8_4ELb0ES6_15HIP_vector_typeIjLj2EENS0_17counting_iteratorIjlEEPS9_SG_NS0_5tupleIJPjSI_NS0_16reverse_iteratorISI_EEEEENSH_IJSG_SG_SG_EEES9_SI_JZNS1_25segmented_radix_sort_implINS0_14default_configELb0EPKiPiPKlPlN2at6native12_GLOBAL__N_18offset_tEEE10hipError_tPvRmT1_PNSt15iterator_traitsIS12_E10value_typeET2_T3_PNS13_IS18_E10value_typeET4_jRbjT5_S1E_jjP12ihipStream_tbEUljE_ZNSN_ISO_Lb0ESQ_SR_ST_SU_SY_EESZ_S10_S11_S12_S16_S17_S18_S1B_S1C_jS1D_jS1E_S1E_jjS1G_bEUljE0_EEESZ_S10_S11_S18_S1C_S1E_T6_T7_T9_mT8_S1G_bDpT10_ENKUlT_T0_E_clISt17integral_constantIbLb0EES1T_IbLb1EEEEDaS1P_S1Q_EUlS1P_E_NS1_11comp_targetILNS1_3genE8ELNS1_11target_archE1030ELNS1_3gpuE2ELNS1_3repE0EEENS1_30default_config_static_selectorELNS0_4arch9wavefront6targetE0EEEvS12_
                                        ; -- End function
	.set _ZN7rocprim17ROCPRIM_400000_NS6detail17trampoline_kernelINS0_13select_configILj256ELj13ELNS0_17block_load_methodE3ELS4_3ELS4_3ELNS0_20block_scan_algorithmE0ELj4294967295EEENS1_25partition_config_selectorILNS1_17partition_subalgoE4EjNS0_10empty_typeEbEEZZNS1_14partition_implILS8_4ELb0ES6_15HIP_vector_typeIjLj2EENS0_17counting_iteratorIjlEEPS9_SG_NS0_5tupleIJPjSI_NS0_16reverse_iteratorISI_EEEEENSH_IJSG_SG_SG_EEES9_SI_JZNS1_25segmented_radix_sort_implINS0_14default_configELb0EPKiPiPKlPlN2at6native12_GLOBAL__N_18offset_tEEE10hipError_tPvRmT1_PNSt15iterator_traitsIS12_E10value_typeET2_T3_PNS13_IS18_E10value_typeET4_jRbjT5_S1E_jjP12ihipStream_tbEUljE_ZNSN_ISO_Lb0ESQ_SR_ST_SU_SY_EESZ_S10_S11_S12_S16_S17_S18_S1B_S1C_jS1D_jS1E_S1E_jjS1G_bEUljE0_EEESZ_S10_S11_S18_S1C_S1E_T6_T7_T9_mT8_S1G_bDpT10_ENKUlT_T0_E_clISt17integral_constantIbLb0EES1T_IbLb1EEEEDaS1P_S1Q_EUlS1P_E_NS1_11comp_targetILNS1_3genE8ELNS1_11target_archE1030ELNS1_3gpuE2ELNS1_3repE0EEENS1_30default_config_static_selectorELNS0_4arch9wavefront6targetE0EEEvS12_.num_vgpr, 87
	.set _ZN7rocprim17ROCPRIM_400000_NS6detail17trampoline_kernelINS0_13select_configILj256ELj13ELNS0_17block_load_methodE3ELS4_3ELS4_3ELNS0_20block_scan_algorithmE0ELj4294967295EEENS1_25partition_config_selectorILNS1_17partition_subalgoE4EjNS0_10empty_typeEbEEZZNS1_14partition_implILS8_4ELb0ES6_15HIP_vector_typeIjLj2EENS0_17counting_iteratorIjlEEPS9_SG_NS0_5tupleIJPjSI_NS0_16reverse_iteratorISI_EEEEENSH_IJSG_SG_SG_EEES9_SI_JZNS1_25segmented_radix_sort_implINS0_14default_configELb0EPKiPiPKlPlN2at6native12_GLOBAL__N_18offset_tEEE10hipError_tPvRmT1_PNSt15iterator_traitsIS12_E10value_typeET2_T3_PNS13_IS18_E10value_typeET4_jRbjT5_S1E_jjP12ihipStream_tbEUljE_ZNSN_ISO_Lb0ESQ_SR_ST_SU_SY_EESZ_S10_S11_S12_S16_S17_S18_S1B_S1C_jS1D_jS1E_S1E_jjS1G_bEUljE0_EEESZ_S10_S11_S18_S1C_S1E_T6_T7_T9_mT8_S1G_bDpT10_ENKUlT_T0_E_clISt17integral_constantIbLb0EES1T_IbLb1EEEEDaS1P_S1Q_EUlS1P_E_NS1_11comp_targetILNS1_3genE8ELNS1_11target_archE1030ELNS1_3gpuE2ELNS1_3repE0EEENS1_30default_config_static_selectorELNS0_4arch9wavefront6targetE0EEEvS12_.num_agpr, 0
	.set _ZN7rocprim17ROCPRIM_400000_NS6detail17trampoline_kernelINS0_13select_configILj256ELj13ELNS0_17block_load_methodE3ELS4_3ELS4_3ELNS0_20block_scan_algorithmE0ELj4294967295EEENS1_25partition_config_selectorILNS1_17partition_subalgoE4EjNS0_10empty_typeEbEEZZNS1_14partition_implILS8_4ELb0ES6_15HIP_vector_typeIjLj2EENS0_17counting_iteratorIjlEEPS9_SG_NS0_5tupleIJPjSI_NS0_16reverse_iteratorISI_EEEEENSH_IJSG_SG_SG_EEES9_SI_JZNS1_25segmented_radix_sort_implINS0_14default_configELb0EPKiPiPKlPlN2at6native12_GLOBAL__N_18offset_tEEE10hipError_tPvRmT1_PNSt15iterator_traitsIS12_E10value_typeET2_T3_PNS13_IS18_E10value_typeET4_jRbjT5_S1E_jjP12ihipStream_tbEUljE_ZNSN_ISO_Lb0ESQ_SR_ST_SU_SY_EESZ_S10_S11_S12_S16_S17_S18_S1B_S1C_jS1D_jS1E_S1E_jjS1G_bEUljE0_EEESZ_S10_S11_S18_S1C_S1E_T6_T7_T9_mT8_S1G_bDpT10_ENKUlT_T0_E_clISt17integral_constantIbLb0EES1T_IbLb1EEEEDaS1P_S1Q_EUlS1P_E_NS1_11comp_targetILNS1_3genE8ELNS1_11target_archE1030ELNS1_3gpuE2ELNS1_3repE0EEENS1_30default_config_static_selectorELNS0_4arch9wavefront6targetE0EEEvS12_.numbered_sgpr, 55
	.set _ZN7rocprim17ROCPRIM_400000_NS6detail17trampoline_kernelINS0_13select_configILj256ELj13ELNS0_17block_load_methodE3ELS4_3ELS4_3ELNS0_20block_scan_algorithmE0ELj4294967295EEENS1_25partition_config_selectorILNS1_17partition_subalgoE4EjNS0_10empty_typeEbEEZZNS1_14partition_implILS8_4ELb0ES6_15HIP_vector_typeIjLj2EENS0_17counting_iteratorIjlEEPS9_SG_NS0_5tupleIJPjSI_NS0_16reverse_iteratorISI_EEEEENSH_IJSG_SG_SG_EEES9_SI_JZNS1_25segmented_radix_sort_implINS0_14default_configELb0EPKiPiPKlPlN2at6native12_GLOBAL__N_18offset_tEEE10hipError_tPvRmT1_PNSt15iterator_traitsIS12_E10value_typeET2_T3_PNS13_IS18_E10value_typeET4_jRbjT5_S1E_jjP12ihipStream_tbEUljE_ZNSN_ISO_Lb0ESQ_SR_ST_SU_SY_EESZ_S10_S11_S12_S16_S17_S18_S1B_S1C_jS1D_jS1E_S1E_jjS1G_bEUljE0_EEESZ_S10_S11_S18_S1C_S1E_T6_T7_T9_mT8_S1G_bDpT10_ENKUlT_T0_E_clISt17integral_constantIbLb0EES1T_IbLb1EEEEDaS1P_S1Q_EUlS1P_E_NS1_11comp_targetILNS1_3genE8ELNS1_11target_archE1030ELNS1_3gpuE2ELNS1_3repE0EEENS1_30default_config_static_selectorELNS0_4arch9wavefront6targetE0EEEvS12_.num_named_barrier, 0
	.set _ZN7rocprim17ROCPRIM_400000_NS6detail17trampoline_kernelINS0_13select_configILj256ELj13ELNS0_17block_load_methodE3ELS4_3ELS4_3ELNS0_20block_scan_algorithmE0ELj4294967295EEENS1_25partition_config_selectorILNS1_17partition_subalgoE4EjNS0_10empty_typeEbEEZZNS1_14partition_implILS8_4ELb0ES6_15HIP_vector_typeIjLj2EENS0_17counting_iteratorIjlEEPS9_SG_NS0_5tupleIJPjSI_NS0_16reverse_iteratorISI_EEEEENSH_IJSG_SG_SG_EEES9_SI_JZNS1_25segmented_radix_sort_implINS0_14default_configELb0EPKiPiPKlPlN2at6native12_GLOBAL__N_18offset_tEEE10hipError_tPvRmT1_PNSt15iterator_traitsIS12_E10value_typeET2_T3_PNS13_IS18_E10value_typeET4_jRbjT5_S1E_jjP12ihipStream_tbEUljE_ZNSN_ISO_Lb0ESQ_SR_ST_SU_SY_EESZ_S10_S11_S12_S16_S17_S18_S1B_S1C_jS1D_jS1E_S1E_jjS1G_bEUljE0_EEESZ_S10_S11_S18_S1C_S1E_T6_T7_T9_mT8_S1G_bDpT10_ENKUlT_T0_E_clISt17integral_constantIbLb0EES1T_IbLb1EEEEDaS1P_S1Q_EUlS1P_E_NS1_11comp_targetILNS1_3genE8ELNS1_11target_archE1030ELNS1_3gpuE2ELNS1_3repE0EEENS1_30default_config_static_selectorELNS0_4arch9wavefront6targetE0EEEvS12_.private_seg_size, 0
	.set _ZN7rocprim17ROCPRIM_400000_NS6detail17trampoline_kernelINS0_13select_configILj256ELj13ELNS0_17block_load_methodE3ELS4_3ELS4_3ELNS0_20block_scan_algorithmE0ELj4294967295EEENS1_25partition_config_selectorILNS1_17partition_subalgoE4EjNS0_10empty_typeEbEEZZNS1_14partition_implILS8_4ELb0ES6_15HIP_vector_typeIjLj2EENS0_17counting_iteratorIjlEEPS9_SG_NS0_5tupleIJPjSI_NS0_16reverse_iteratorISI_EEEEENSH_IJSG_SG_SG_EEES9_SI_JZNS1_25segmented_radix_sort_implINS0_14default_configELb0EPKiPiPKlPlN2at6native12_GLOBAL__N_18offset_tEEE10hipError_tPvRmT1_PNSt15iterator_traitsIS12_E10value_typeET2_T3_PNS13_IS18_E10value_typeET4_jRbjT5_S1E_jjP12ihipStream_tbEUljE_ZNSN_ISO_Lb0ESQ_SR_ST_SU_SY_EESZ_S10_S11_S12_S16_S17_S18_S1B_S1C_jS1D_jS1E_S1E_jjS1G_bEUljE0_EEESZ_S10_S11_S18_S1C_S1E_T6_T7_T9_mT8_S1G_bDpT10_ENKUlT_T0_E_clISt17integral_constantIbLb0EES1T_IbLb1EEEEDaS1P_S1Q_EUlS1P_E_NS1_11comp_targetILNS1_3genE8ELNS1_11target_archE1030ELNS1_3gpuE2ELNS1_3repE0EEENS1_30default_config_static_selectorELNS0_4arch9wavefront6targetE0EEEvS12_.uses_vcc, 1
	.set _ZN7rocprim17ROCPRIM_400000_NS6detail17trampoline_kernelINS0_13select_configILj256ELj13ELNS0_17block_load_methodE3ELS4_3ELS4_3ELNS0_20block_scan_algorithmE0ELj4294967295EEENS1_25partition_config_selectorILNS1_17partition_subalgoE4EjNS0_10empty_typeEbEEZZNS1_14partition_implILS8_4ELb0ES6_15HIP_vector_typeIjLj2EENS0_17counting_iteratorIjlEEPS9_SG_NS0_5tupleIJPjSI_NS0_16reverse_iteratorISI_EEEEENSH_IJSG_SG_SG_EEES9_SI_JZNS1_25segmented_radix_sort_implINS0_14default_configELb0EPKiPiPKlPlN2at6native12_GLOBAL__N_18offset_tEEE10hipError_tPvRmT1_PNSt15iterator_traitsIS12_E10value_typeET2_T3_PNS13_IS18_E10value_typeET4_jRbjT5_S1E_jjP12ihipStream_tbEUljE_ZNSN_ISO_Lb0ESQ_SR_ST_SU_SY_EESZ_S10_S11_S12_S16_S17_S18_S1B_S1C_jS1D_jS1E_S1E_jjS1G_bEUljE0_EEESZ_S10_S11_S18_S1C_S1E_T6_T7_T9_mT8_S1G_bDpT10_ENKUlT_T0_E_clISt17integral_constantIbLb0EES1T_IbLb1EEEEDaS1P_S1Q_EUlS1P_E_NS1_11comp_targetILNS1_3genE8ELNS1_11target_archE1030ELNS1_3gpuE2ELNS1_3repE0EEENS1_30default_config_static_selectorELNS0_4arch9wavefront6targetE0EEEvS12_.uses_flat_scratch, 0
	.set _ZN7rocprim17ROCPRIM_400000_NS6detail17trampoline_kernelINS0_13select_configILj256ELj13ELNS0_17block_load_methodE3ELS4_3ELS4_3ELNS0_20block_scan_algorithmE0ELj4294967295EEENS1_25partition_config_selectorILNS1_17partition_subalgoE4EjNS0_10empty_typeEbEEZZNS1_14partition_implILS8_4ELb0ES6_15HIP_vector_typeIjLj2EENS0_17counting_iteratorIjlEEPS9_SG_NS0_5tupleIJPjSI_NS0_16reverse_iteratorISI_EEEEENSH_IJSG_SG_SG_EEES9_SI_JZNS1_25segmented_radix_sort_implINS0_14default_configELb0EPKiPiPKlPlN2at6native12_GLOBAL__N_18offset_tEEE10hipError_tPvRmT1_PNSt15iterator_traitsIS12_E10value_typeET2_T3_PNS13_IS18_E10value_typeET4_jRbjT5_S1E_jjP12ihipStream_tbEUljE_ZNSN_ISO_Lb0ESQ_SR_ST_SU_SY_EESZ_S10_S11_S12_S16_S17_S18_S1B_S1C_jS1D_jS1E_S1E_jjS1G_bEUljE0_EEESZ_S10_S11_S18_S1C_S1E_T6_T7_T9_mT8_S1G_bDpT10_ENKUlT_T0_E_clISt17integral_constantIbLb0EES1T_IbLb1EEEEDaS1P_S1Q_EUlS1P_E_NS1_11comp_targetILNS1_3genE8ELNS1_11target_archE1030ELNS1_3gpuE2ELNS1_3repE0EEENS1_30default_config_static_selectorELNS0_4arch9wavefront6targetE0EEEvS12_.has_dyn_sized_stack, 0
	.set _ZN7rocprim17ROCPRIM_400000_NS6detail17trampoline_kernelINS0_13select_configILj256ELj13ELNS0_17block_load_methodE3ELS4_3ELS4_3ELNS0_20block_scan_algorithmE0ELj4294967295EEENS1_25partition_config_selectorILNS1_17partition_subalgoE4EjNS0_10empty_typeEbEEZZNS1_14partition_implILS8_4ELb0ES6_15HIP_vector_typeIjLj2EENS0_17counting_iteratorIjlEEPS9_SG_NS0_5tupleIJPjSI_NS0_16reverse_iteratorISI_EEEEENSH_IJSG_SG_SG_EEES9_SI_JZNS1_25segmented_radix_sort_implINS0_14default_configELb0EPKiPiPKlPlN2at6native12_GLOBAL__N_18offset_tEEE10hipError_tPvRmT1_PNSt15iterator_traitsIS12_E10value_typeET2_T3_PNS13_IS18_E10value_typeET4_jRbjT5_S1E_jjP12ihipStream_tbEUljE_ZNSN_ISO_Lb0ESQ_SR_ST_SU_SY_EESZ_S10_S11_S12_S16_S17_S18_S1B_S1C_jS1D_jS1E_S1E_jjS1G_bEUljE0_EEESZ_S10_S11_S18_S1C_S1E_T6_T7_T9_mT8_S1G_bDpT10_ENKUlT_T0_E_clISt17integral_constantIbLb0EES1T_IbLb1EEEEDaS1P_S1Q_EUlS1P_E_NS1_11comp_targetILNS1_3genE8ELNS1_11target_archE1030ELNS1_3gpuE2ELNS1_3repE0EEENS1_30default_config_static_selectorELNS0_4arch9wavefront6targetE0EEEvS12_.has_recursion, 0
	.set _ZN7rocprim17ROCPRIM_400000_NS6detail17trampoline_kernelINS0_13select_configILj256ELj13ELNS0_17block_load_methodE3ELS4_3ELS4_3ELNS0_20block_scan_algorithmE0ELj4294967295EEENS1_25partition_config_selectorILNS1_17partition_subalgoE4EjNS0_10empty_typeEbEEZZNS1_14partition_implILS8_4ELb0ES6_15HIP_vector_typeIjLj2EENS0_17counting_iteratorIjlEEPS9_SG_NS0_5tupleIJPjSI_NS0_16reverse_iteratorISI_EEEEENSH_IJSG_SG_SG_EEES9_SI_JZNS1_25segmented_radix_sort_implINS0_14default_configELb0EPKiPiPKlPlN2at6native12_GLOBAL__N_18offset_tEEE10hipError_tPvRmT1_PNSt15iterator_traitsIS12_E10value_typeET2_T3_PNS13_IS18_E10value_typeET4_jRbjT5_S1E_jjP12ihipStream_tbEUljE_ZNSN_ISO_Lb0ESQ_SR_ST_SU_SY_EESZ_S10_S11_S12_S16_S17_S18_S1B_S1C_jS1D_jS1E_S1E_jjS1G_bEUljE0_EEESZ_S10_S11_S18_S1C_S1E_T6_T7_T9_mT8_S1G_bDpT10_ENKUlT_T0_E_clISt17integral_constantIbLb0EES1T_IbLb1EEEEDaS1P_S1Q_EUlS1P_E_NS1_11comp_targetILNS1_3genE8ELNS1_11target_archE1030ELNS1_3gpuE2ELNS1_3repE0EEENS1_30default_config_static_selectorELNS0_4arch9wavefront6targetE0EEEvS12_.has_indirect_call, 0
	.section	.AMDGPU.csdata,"",@progbits
; Kernel info:
; codeLenInByte = 16368
; TotalNumSgprs: 57
; NumVgprs: 87
; ScratchSize: 0
; MemoryBound: 0
; FloatMode: 240
; IeeeMode: 1
; LDSByteSize: 13328 bytes/workgroup (compile time only)
; SGPRBlocks: 0
; VGPRBlocks: 10
; NumSGPRsForWavesPerEU: 57
; NumVGPRsForWavesPerEU: 87
; Occupancy: 10
; WaveLimiterHint : 1
; COMPUTE_PGM_RSRC2:SCRATCH_EN: 0
; COMPUTE_PGM_RSRC2:USER_SGPR: 6
; COMPUTE_PGM_RSRC2:TRAP_HANDLER: 0
; COMPUTE_PGM_RSRC2:TGID_X_EN: 1
; COMPUTE_PGM_RSRC2:TGID_Y_EN: 0
; COMPUTE_PGM_RSRC2:TGID_Z_EN: 0
; COMPUTE_PGM_RSRC2:TIDIG_COMP_CNT: 0
	.section	.text._ZN7rocprim17ROCPRIM_400000_NS6detail17trampoline_kernelINS0_13select_configILj256ELj13ELNS0_17block_load_methodE3ELS4_3ELS4_3ELNS0_20block_scan_algorithmE0ELj4294967295EEENS1_25partition_config_selectorILNS1_17partition_subalgoE3EjNS0_10empty_typeEbEEZZNS1_14partition_implILS8_3ELb0ES6_jNS0_17counting_iteratorIjlEEPS9_SE_NS0_5tupleIJPjSE_EEENSF_IJSE_SE_EEES9_SG_JZNS1_25segmented_radix_sort_implINS0_14default_configELb0EPKiPiPKlPlN2at6native12_GLOBAL__N_18offset_tEEE10hipError_tPvRmT1_PNSt15iterator_traitsISY_E10value_typeET2_T3_PNSZ_IS14_E10value_typeET4_jRbjT5_S1A_jjP12ihipStream_tbEUljE_EEESV_SW_SX_S14_S18_S1A_T6_T7_T9_mT8_S1C_bDpT10_ENKUlT_T0_E_clISt17integral_constantIbLb0EES1P_EEDaS1K_S1L_EUlS1K_E_NS1_11comp_targetILNS1_3genE0ELNS1_11target_archE4294967295ELNS1_3gpuE0ELNS1_3repE0EEENS1_30default_config_static_selectorELNS0_4arch9wavefront6targetE0EEEvSY_,"axG",@progbits,_ZN7rocprim17ROCPRIM_400000_NS6detail17trampoline_kernelINS0_13select_configILj256ELj13ELNS0_17block_load_methodE3ELS4_3ELS4_3ELNS0_20block_scan_algorithmE0ELj4294967295EEENS1_25partition_config_selectorILNS1_17partition_subalgoE3EjNS0_10empty_typeEbEEZZNS1_14partition_implILS8_3ELb0ES6_jNS0_17counting_iteratorIjlEEPS9_SE_NS0_5tupleIJPjSE_EEENSF_IJSE_SE_EEES9_SG_JZNS1_25segmented_radix_sort_implINS0_14default_configELb0EPKiPiPKlPlN2at6native12_GLOBAL__N_18offset_tEEE10hipError_tPvRmT1_PNSt15iterator_traitsISY_E10value_typeET2_T3_PNSZ_IS14_E10value_typeET4_jRbjT5_S1A_jjP12ihipStream_tbEUljE_EEESV_SW_SX_S14_S18_S1A_T6_T7_T9_mT8_S1C_bDpT10_ENKUlT_T0_E_clISt17integral_constantIbLb0EES1P_EEDaS1K_S1L_EUlS1K_E_NS1_11comp_targetILNS1_3genE0ELNS1_11target_archE4294967295ELNS1_3gpuE0ELNS1_3repE0EEENS1_30default_config_static_selectorELNS0_4arch9wavefront6targetE0EEEvSY_,comdat
	.globl	_ZN7rocprim17ROCPRIM_400000_NS6detail17trampoline_kernelINS0_13select_configILj256ELj13ELNS0_17block_load_methodE3ELS4_3ELS4_3ELNS0_20block_scan_algorithmE0ELj4294967295EEENS1_25partition_config_selectorILNS1_17partition_subalgoE3EjNS0_10empty_typeEbEEZZNS1_14partition_implILS8_3ELb0ES6_jNS0_17counting_iteratorIjlEEPS9_SE_NS0_5tupleIJPjSE_EEENSF_IJSE_SE_EEES9_SG_JZNS1_25segmented_radix_sort_implINS0_14default_configELb0EPKiPiPKlPlN2at6native12_GLOBAL__N_18offset_tEEE10hipError_tPvRmT1_PNSt15iterator_traitsISY_E10value_typeET2_T3_PNSZ_IS14_E10value_typeET4_jRbjT5_S1A_jjP12ihipStream_tbEUljE_EEESV_SW_SX_S14_S18_S1A_T6_T7_T9_mT8_S1C_bDpT10_ENKUlT_T0_E_clISt17integral_constantIbLb0EES1P_EEDaS1K_S1L_EUlS1K_E_NS1_11comp_targetILNS1_3genE0ELNS1_11target_archE4294967295ELNS1_3gpuE0ELNS1_3repE0EEENS1_30default_config_static_selectorELNS0_4arch9wavefront6targetE0EEEvSY_ ; -- Begin function _ZN7rocprim17ROCPRIM_400000_NS6detail17trampoline_kernelINS0_13select_configILj256ELj13ELNS0_17block_load_methodE3ELS4_3ELS4_3ELNS0_20block_scan_algorithmE0ELj4294967295EEENS1_25partition_config_selectorILNS1_17partition_subalgoE3EjNS0_10empty_typeEbEEZZNS1_14partition_implILS8_3ELb0ES6_jNS0_17counting_iteratorIjlEEPS9_SE_NS0_5tupleIJPjSE_EEENSF_IJSE_SE_EEES9_SG_JZNS1_25segmented_radix_sort_implINS0_14default_configELb0EPKiPiPKlPlN2at6native12_GLOBAL__N_18offset_tEEE10hipError_tPvRmT1_PNSt15iterator_traitsISY_E10value_typeET2_T3_PNSZ_IS14_E10value_typeET4_jRbjT5_S1A_jjP12ihipStream_tbEUljE_EEESV_SW_SX_S14_S18_S1A_T6_T7_T9_mT8_S1C_bDpT10_ENKUlT_T0_E_clISt17integral_constantIbLb0EES1P_EEDaS1K_S1L_EUlS1K_E_NS1_11comp_targetILNS1_3genE0ELNS1_11target_archE4294967295ELNS1_3gpuE0ELNS1_3repE0EEENS1_30default_config_static_selectorELNS0_4arch9wavefront6targetE0EEEvSY_
	.p2align	8
	.type	_ZN7rocprim17ROCPRIM_400000_NS6detail17trampoline_kernelINS0_13select_configILj256ELj13ELNS0_17block_load_methodE3ELS4_3ELS4_3ELNS0_20block_scan_algorithmE0ELj4294967295EEENS1_25partition_config_selectorILNS1_17partition_subalgoE3EjNS0_10empty_typeEbEEZZNS1_14partition_implILS8_3ELb0ES6_jNS0_17counting_iteratorIjlEEPS9_SE_NS0_5tupleIJPjSE_EEENSF_IJSE_SE_EEES9_SG_JZNS1_25segmented_radix_sort_implINS0_14default_configELb0EPKiPiPKlPlN2at6native12_GLOBAL__N_18offset_tEEE10hipError_tPvRmT1_PNSt15iterator_traitsISY_E10value_typeET2_T3_PNSZ_IS14_E10value_typeET4_jRbjT5_S1A_jjP12ihipStream_tbEUljE_EEESV_SW_SX_S14_S18_S1A_T6_T7_T9_mT8_S1C_bDpT10_ENKUlT_T0_E_clISt17integral_constantIbLb0EES1P_EEDaS1K_S1L_EUlS1K_E_NS1_11comp_targetILNS1_3genE0ELNS1_11target_archE4294967295ELNS1_3gpuE0ELNS1_3repE0EEENS1_30default_config_static_selectorELNS0_4arch9wavefront6targetE0EEEvSY_,@function
_ZN7rocprim17ROCPRIM_400000_NS6detail17trampoline_kernelINS0_13select_configILj256ELj13ELNS0_17block_load_methodE3ELS4_3ELS4_3ELNS0_20block_scan_algorithmE0ELj4294967295EEENS1_25partition_config_selectorILNS1_17partition_subalgoE3EjNS0_10empty_typeEbEEZZNS1_14partition_implILS8_3ELb0ES6_jNS0_17counting_iteratorIjlEEPS9_SE_NS0_5tupleIJPjSE_EEENSF_IJSE_SE_EEES9_SG_JZNS1_25segmented_radix_sort_implINS0_14default_configELb0EPKiPiPKlPlN2at6native12_GLOBAL__N_18offset_tEEE10hipError_tPvRmT1_PNSt15iterator_traitsISY_E10value_typeET2_T3_PNSZ_IS14_E10value_typeET4_jRbjT5_S1A_jjP12ihipStream_tbEUljE_EEESV_SW_SX_S14_S18_S1A_T6_T7_T9_mT8_S1C_bDpT10_ENKUlT_T0_E_clISt17integral_constantIbLb0EES1P_EEDaS1K_S1L_EUlS1K_E_NS1_11comp_targetILNS1_3genE0ELNS1_11target_archE4294967295ELNS1_3gpuE0ELNS1_3repE0EEENS1_30default_config_static_selectorELNS0_4arch9wavefront6targetE0EEEvSY_: ; @_ZN7rocprim17ROCPRIM_400000_NS6detail17trampoline_kernelINS0_13select_configILj256ELj13ELNS0_17block_load_methodE3ELS4_3ELS4_3ELNS0_20block_scan_algorithmE0ELj4294967295EEENS1_25partition_config_selectorILNS1_17partition_subalgoE3EjNS0_10empty_typeEbEEZZNS1_14partition_implILS8_3ELb0ES6_jNS0_17counting_iteratorIjlEEPS9_SE_NS0_5tupleIJPjSE_EEENSF_IJSE_SE_EEES9_SG_JZNS1_25segmented_radix_sort_implINS0_14default_configELb0EPKiPiPKlPlN2at6native12_GLOBAL__N_18offset_tEEE10hipError_tPvRmT1_PNSt15iterator_traitsISY_E10value_typeET2_T3_PNSZ_IS14_E10value_typeET4_jRbjT5_S1A_jjP12ihipStream_tbEUljE_EEESV_SW_SX_S14_S18_S1A_T6_T7_T9_mT8_S1C_bDpT10_ENKUlT_T0_E_clISt17integral_constantIbLb0EES1P_EEDaS1K_S1L_EUlS1K_E_NS1_11comp_targetILNS1_3genE0ELNS1_11target_archE4294967295ELNS1_3gpuE0ELNS1_3repE0EEENS1_30default_config_static_selectorELNS0_4arch9wavefront6targetE0EEEvSY_
; %bb.0:
	.section	.rodata,"a",@progbits
	.p2align	6, 0x0
	.amdhsa_kernel _ZN7rocprim17ROCPRIM_400000_NS6detail17trampoline_kernelINS0_13select_configILj256ELj13ELNS0_17block_load_methodE3ELS4_3ELS4_3ELNS0_20block_scan_algorithmE0ELj4294967295EEENS1_25partition_config_selectorILNS1_17partition_subalgoE3EjNS0_10empty_typeEbEEZZNS1_14partition_implILS8_3ELb0ES6_jNS0_17counting_iteratorIjlEEPS9_SE_NS0_5tupleIJPjSE_EEENSF_IJSE_SE_EEES9_SG_JZNS1_25segmented_radix_sort_implINS0_14default_configELb0EPKiPiPKlPlN2at6native12_GLOBAL__N_18offset_tEEE10hipError_tPvRmT1_PNSt15iterator_traitsISY_E10value_typeET2_T3_PNSZ_IS14_E10value_typeET4_jRbjT5_S1A_jjP12ihipStream_tbEUljE_EEESV_SW_SX_S14_S18_S1A_T6_T7_T9_mT8_S1C_bDpT10_ENKUlT_T0_E_clISt17integral_constantIbLb0EES1P_EEDaS1K_S1L_EUlS1K_E_NS1_11comp_targetILNS1_3genE0ELNS1_11target_archE4294967295ELNS1_3gpuE0ELNS1_3repE0EEENS1_30default_config_static_selectorELNS0_4arch9wavefront6targetE0EEEvSY_
		.amdhsa_group_segment_fixed_size 0
		.amdhsa_private_segment_fixed_size 0
		.amdhsa_kernarg_size 144
		.amdhsa_user_sgpr_count 6
		.amdhsa_user_sgpr_private_segment_buffer 1
		.amdhsa_user_sgpr_dispatch_ptr 0
		.amdhsa_user_sgpr_queue_ptr 0
		.amdhsa_user_sgpr_kernarg_segment_ptr 1
		.amdhsa_user_sgpr_dispatch_id 0
		.amdhsa_user_sgpr_flat_scratch_init 0
		.amdhsa_user_sgpr_private_segment_size 0
		.amdhsa_wavefront_size32 1
		.amdhsa_uses_dynamic_stack 0
		.amdhsa_system_sgpr_private_segment_wavefront_offset 0
		.amdhsa_system_sgpr_workgroup_id_x 1
		.amdhsa_system_sgpr_workgroup_id_y 0
		.amdhsa_system_sgpr_workgroup_id_z 0
		.amdhsa_system_sgpr_workgroup_info 0
		.amdhsa_system_vgpr_workitem_id 0
		.amdhsa_next_free_vgpr 1
		.amdhsa_next_free_sgpr 1
		.amdhsa_reserve_vcc 0
		.amdhsa_reserve_flat_scratch 0
		.amdhsa_float_round_mode_32 0
		.amdhsa_float_round_mode_16_64 0
		.amdhsa_float_denorm_mode_32 3
		.amdhsa_float_denorm_mode_16_64 3
		.amdhsa_dx10_clamp 1
		.amdhsa_ieee_mode 1
		.amdhsa_fp16_overflow 0
		.amdhsa_workgroup_processor_mode 1
		.amdhsa_memory_ordered 1
		.amdhsa_forward_progress 1
		.amdhsa_shared_vgpr_count 0
		.amdhsa_exception_fp_ieee_invalid_op 0
		.amdhsa_exception_fp_denorm_src 0
		.amdhsa_exception_fp_ieee_div_zero 0
		.amdhsa_exception_fp_ieee_overflow 0
		.amdhsa_exception_fp_ieee_underflow 0
		.amdhsa_exception_fp_ieee_inexact 0
		.amdhsa_exception_int_div_zero 0
	.end_amdhsa_kernel
	.section	.text._ZN7rocprim17ROCPRIM_400000_NS6detail17trampoline_kernelINS0_13select_configILj256ELj13ELNS0_17block_load_methodE3ELS4_3ELS4_3ELNS0_20block_scan_algorithmE0ELj4294967295EEENS1_25partition_config_selectorILNS1_17partition_subalgoE3EjNS0_10empty_typeEbEEZZNS1_14partition_implILS8_3ELb0ES6_jNS0_17counting_iteratorIjlEEPS9_SE_NS0_5tupleIJPjSE_EEENSF_IJSE_SE_EEES9_SG_JZNS1_25segmented_radix_sort_implINS0_14default_configELb0EPKiPiPKlPlN2at6native12_GLOBAL__N_18offset_tEEE10hipError_tPvRmT1_PNSt15iterator_traitsISY_E10value_typeET2_T3_PNSZ_IS14_E10value_typeET4_jRbjT5_S1A_jjP12ihipStream_tbEUljE_EEESV_SW_SX_S14_S18_S1A_T6_T7_T9_mT8_S1C_bDpT10_ENKUlT_T0_E_clISt17integral_constantIbLb0EES1P_EEDaS1K_S1L_EUlS1K_E_NS1_11comp_targetILNS1_3genE0ELNS1_11target_archE4294967295ELNS1_3gpuE0ELNS1_3repE0EEENS1_30default_config_static_selectorELNS0_4arch9wavefront6targetE0EEEvSY_,"axG",@progbits,_ZN7rocprim17ROCPRIM_400000_NS6detail17trampoline_kernelINS0_13select_configILj256ELj13ELNS0_17block_load_methodE3ELS4_3ELS4_3ELNS0_20block_scan_algorithmE0ELj4294967295EEENS1_25partition_config_selectorILNS1_17partition_subalgoE3EjNS0_10empty_typeEbEEZZNS1_14partition_implILS8_3ELb0ES6_jNS0_17counting_iteratorIjlEEPS9_SE_NS0_5tupleIJPjSE_EEENSF_IJSE_SE_EEES9_SG_JZNS1_25segmented_radix_sort_implINS0_14default_configELb0EPKiPiPKlPlN2at6native12_GLOBAL__N_18offset_tEEE10hipError_tPvRmT1_PNSt15iterator_traitsISY_E10value_typeET2_T3_PNSZ_IS14_E10value_typeET4_jRbjT5_S1A_jjP12ihipStream_tbEUljE_EEESV_SW_SX_S14_S18_S1A_T6_T7_T9_mT8_S1C_bDpT10_ENKUlT_T0_E_clISt17integral_constantIbLb0EES1P_EEDaS1K_S1L_EUlS1K_E_NS1_11comp_targetILNS1_3genE0ELNS1_11target_archE4294967295ELNS1_3gpuE0ELNS1_3repE0EEENS1_30default_config_static_selectorELNS0_4arch9wavefront6targetE0EEEvSY_,comdat
.Lfunc_end563:
	.size	_ZN7rocprim17ROCPRIM_400000_NS6detail17trampoline_kernelINS0_13select_configILj256ELj13ELNS0_17block_load_methodE3ELS4_3ELS4_3ELNS0_20block_scan_algorithmE0ELj4294967295EEENS1_25partition_config_selectorILNS1_17partition_subalgoE3EjNS0_10empty_typeEbEEZZNS1_14partition_implILS8_3ELb0ES6_jNS0_17counting_iteratorIjlEEPS9_SE_NS0_5tupleIJPjSE_EEENSF_IJSE_SE_EEES9_SG_JZNS1_25segmented_radix_sort_implINS0_14default_configELb0EPKiPiPKlPlN2at6native12_GLOBAL__N_18offset_tEEE10hipError_tPvRmT1_PNSt15iterator_traitsISY_E10value_typeET2_T3_PNSZ_IS14_E10value_typeET4_jRbjT5_S1A_jjP12ihipStream_tbEUljE_EEESV_SW_SX_S14_S18_S1A_T6_T7_T9_mT8_S1C_bDpT10_ENKUlT_T0_E_clISt17integral_constantIbLb0EES1P_EEDaS1K_S1L_EUlS1K_E_NS1_11comp_targetILNS1_3genE0ELNS1_11target_archE4294967295ELNS1_3gpuE0ELNS1_3repE0EEENS1_30default_config_static_selectorELNS0_4arch9wavefront6targetE0EEEvSY_, .Lfunc_end563-_ZN7rocprim17ROCPRIM_400000_NS6detail17trampoline_kernelINS0_13select_configILj256ELj13ELNS0_17block_load_methodE3ELS4_3ELS4_3ELNS0_20block_scan_algorithmE0ELj4294967295EEENS1_25partition_config_selectorILNS1_17partition_subalgoE3EjNS0_10empty_typeEbEEZZNS1_14partition_implILS8_3ELb0ES6_jNS0_17counting_iteratorIjlEEPS9_SE_NS0_5tupleIJPjSE_EEENSF_IJSE_SE_EEES9_SG_JZNS1_25segmented_radix_sort_implINS0_14default_configELb0EPKiPiPKlPlN2at6native12_GLOBAL__N_18offset_tEEE10hipError_tPvRmT1_PNSt15iterator_traitsISY_E10value_typeET2_T3_PNSZ_IS14_E10value_typeET4_jRbjT5_S1A_jjP12ihipStream_tbEUljE_EEESV_SW_SX_S14_S18_S1A_T6_T7_T9_mT8_S1C_bDpT10_ENKUlT_T0_E_clISt17integral_constantIbLb0EES1P_EEDaS1K_S1L_EUlS1K_E_NS1_11comp_targetILNS1_3genE0ELNS1_11target_archE4294967295ELNS1_3gpuE0ELNS1_3repE0EEENS1_30default_config_static_selectorELNS0_4arch9wavefront6targetE0EEEvSY_
                                        ; -- End function
	.set _ZN7rocprim17ROCPRIM_400000_NS6detail17trampoline_kernelINS0_13select_configILj256ELj13ELNS0_17block_load_methodE3ELS4_3ELS4_3ELNS0_20block_scan_algorithmE0ELj4294967295EEENS1_25partition_config_selectorILNS1_17partition_subalgoE3EjNS0_10empty_typeEbEEZZNS1_14partition_implILS8_3ELb0ES6_jNS0_17counting_iteratorIjlEEPS9_SE_NS0_5tupleIJPjSE_EEENSF_IJSE_SE_EEES9_SG_JZNS1_25segmented_radix_sort_implINS0_14default_configELb0EPKiPiPKlPlN2at6native12_GLOBAL__N_18offset_tEEE10hipError_tPvRmT1_PNSt15iterator_traitsISY_E10value_typeET2_T3_PNSZ_IS14_E10value_typeET4_jRbjT5_S1A_jjP12ihipStream_tbEUljE_EEESV_SW_SX_S14_S18_S1A_T6_T7_T9_mT8_S1C_bDpT10_ENKUlT_T0_E_clISt17integral_constantIbLb0EES1P_EEDaS1K_S1L_EUlS1K_E_NS1_11comp_targetILNS1_3genE0ELNS1_11target_archE4294967295ELNS1_3gpuE0ELNS1_3repE0EEENS1_30default_config_static_selectorELNS0_4arch9wavefront6targetE0EEEvSY_.num_vgpr, 0
	.set _ZN7rocprim17ROCPRIM_400000_NS6detail17trampoline_kernelINS0_13select_configILj256ELj13ELNS0_17block_load_methodE3ELS4_3ELS4_3ELNS0_20block_scan_algorithmE0ELj4294967295EEENS1_25partition_config_selectorILNS1_17partition_subalgoE3EjNS0_10empty_typeEbEEZZNS1_14partition_implILS8_3ELb0ES6_jNS0_17counting_iteratorIjlEEPS9_SE_NS0_5tupleIJPjSE_EEENSF_IJSE_SE_EEES9_SG_JZNS1_25segmented_radix_sort_implINS0_14default_configELb0EPKiPiPKlPlN2at6native12_GLOBAL__N_18offset_tEEE10hipError_tPvRmT1_PNSt15iterator_traitsISY_E10value_typeET2_T3_PNSZ_IS14_E10value_typeET4_jRbjT5_S1A_jjP12ihipStream_tbEUljE_EEESV_SW_SX_S14_S18_S1A_T6_T7_T9_mT8_S1C_bDpT10_ENKUlT_T0_E_clISt17integral_constantIbLb0EES1P_EEDaS1K_S1L_EUlS1K_E_NS1_11comp_targetILNS1_3genE0ELNS1_11target_archE4294967295ELNS1_3gpuE0ELNS1_3repE0EEENS1_30default_config_static_selectorELNS0_4arch9wavefront6targetE0EEEvSY_.num_agpr, 0
	.set _ZN7rocprim17ROCPRIM_400000_NS6detail17trampoline_kernelINS0_13select_configILj256ELj13ELNS0_17block_load_methodE3ELS4_3ELS4_3ELNS0_20block_scan_algorithmE0ELj4294967295EEENS1_25partition_config_selectorILNS1_17partition_subalgoE3EjNS0_10empty_typeEbEEZZNS1_14partition_implILS8_3ELb0ES6_jNS0_17counting_iteratorIjlEEPS9_SE_NS0_5tupleIJPjSE_EEENSF_IJSE_SE_EEES9_SG_JZNS1_25segmented_radix_sort_implINS0_14default_configELb0EPKiPiPKlPlN2at6native12_GLOBAL__N_18offset_tEEE10hipError_tPvRmT1_PNSt15iterator_traitsISY_E10value_typeET2_T3_PNSZ_IS14_E10value_typeET4_jRbjT5_S1A_jjP12ihipStream_tbEUljE_EEESV_SW_SX_S14_S18_S1A_T6_T7_T9_mT8_S1C_bDpT10_ENKUlT_T0_E_clISt17integral_constantIbLb0EES1P_EEDaS1K_S1L_EUlS1K_E_NS1_11comp_targetILNS1_3genE0ELNS1_11target_archE4294967295ELNS1_3gpuE0ELNS1_3repE0EEENS1_30default_config_static_selectorELNS0_4arch9wavefront6targetE0EEEvSY_.numbered_sgpr, 0
	.set _ZN7rocprim17ROCPRIM_400000_NS6detail17trampoline_kernelINS0_13select_configILj256ELj13ELNS0_17block_load_methodE3ELS4_3ELS4_3ELNS0_20block_scan_algorithmE0ELj4294967295EEENS1_25partition_config_selectorILNS1_17partition_subalgoE3EjNS0_10empty_typeEbEEZZNS1_14partition_implILS8_3ELb0ES6_jNS0_17counting_iteratorIjlEEPS9_SE_NS0_5tupleIJPjSE_EEENSF_IJSE_SE_EEES9_SG_JZNS1_25segmented_radix_sort_implINS0_14default_configELb0EPKiPiPKlPlN2at6native12_GLOBAL__N_18offset_tEEE10hipError_tPvRmT1_PNSt15iterator_traitsISY_E10value_typeET2_T3_PNSZ_IS14_E10value_typeET4_jRbjT5_S1A_jjP12ihipStream_tbEUljE_EEESV_SW_SX_S14_S18_S1A_T6_T7_T9_mT8_S1C_bDpT10_ENKUlT_T0_E_clISt17integral_constantIbLb0EES1P_EEDaS1K_S1L_EUlS1K_E_NS1_11comp_targetILNS1_3genE0ELNS1_11target_archE4294967295ELNS1_3gpuE0ELNS1_3repE0EEENS1_30default_config_static_selectorELNS0_4arch9wavefront6targetE0EEEvSY_.num_named_barrier, 0
	.set _ZN7rocprim17ROCPRIM_400000_NS6detail17trampoline_kernelINS0_13select_configILj256ELj13ELNS0_17block_load_methodE3ELS4_3ELS4_3ELNS0_20block_scan_algorithmE0ELj4294967295EEENS1_25partition_config_selectorILNS1_17partition_subalgoE3EjNS0_10empty_typeEbEEZZNS1_14partition_implILS8_3ELb0ES6_jNS0_17counting_iteratorIjlEEPS9_SE_NS0_5tupleIJPjSE_EEENSF_IJSE_SE_EEES9_SG_JZNS1_25segmented_radix_sort_implINS0_14default_configELb0EPKiPiPKlPlN2at6native12_GLOBAL__N_18offset_tEEE10hipError_tPvRmT1_PNSt15iterator_traitsISY_E10value_typeET2_T3_PNSZ_IS14_E10value_typeET4_jRbjT5_S1A_jjP12ihipStream_tbEUljE_EEESV_SW_SX_S14_S18_S1A_T6_T7_T9_mT8_S1C_bDpT10_ENKUlT_T0_E_clISt17integral_constantIbLb0EES1P_EEDaS1K_S1L_EUlS1K_E_NS1_11comp_targetILNS1_3genE0ELNS1_11target_archE4294967295ELNS1_3gpuE0ELNS1_3repE0EEENS1_30default_config_static_selectorELNS0_4arch9wavefront6targetE0EEEvSY_.private_seg_size, 0
	.set _ZN7rocprim17ROCPRIM_400000_NS6detail17trampoline_kernelINS0_13select_configILj256ELj13ELNS0_17block_load_methodE3ELS4_3ELS4_3ELNS0_20block_scan_algorithmE0ELj4294967295EEENS1_25partition_config_selectorILNS1_17partition_subalgoE3EjNS0_10empty_typeEbEEZZNS1_14partition_implILS8_3ELb0ES6_jNS0_17counting_iteratorIjlEEPS9_SE_NS0_5tupleIJPjSE_EEENSF_IJSE_SE_EEES9_SG_JZNS1_25segmented_radix_sort_implINS0_14default_configELb0EPKiPiPKlPlN2at6native12_GLOBAL__N_18offset_tEEE10hipError_tPvRmT1_PNSt15iterator_traitsISY_E10value_typeET2_T3_PNSZ_IS14_E10value_typeET4_jRbjT5_S1A_jjP12ihipStream_tbEUljE_EEESV_SW_SX_S14_S18_S1A_T6_T7_T9_mT8_S1C_bDpT10_ENKUlT_T0_E_clISt17integral_constantIbLb0EES1P_EEDaS1K_S1L_EUlS1K_E_NS1_11comp_targetILNS1_3genE0ELNS1_11target_archE4294967295ELNS1_3gpuE0ELNS1_3repE0EEENS1_30default_config_static_selectorELNS0_4arch9wavefront6targetE0EEEvSY_.uses_vcc, 0
	.set _ZN7rocprim17ROCPRIM_400000_NS6detail17trampoline_kernelINS0_13select_configILj256ELj13ELNS0_17block_load_methodE3ELS4_3ELS4_3ELNS0_20block_scan_algorithmE0ELj4294967295EEENS1_25partition_config_selectorILNS1_17partition_subalgoE3EjNS0_10empty_typeEbEEZZNS1_14partition_implILS8_3ELb0ES6_jNS0_17counting_iteratorIjlEEPS9_SE_NS0_5tupleIJPjSE_EEENSF_IJSE_SE_EEES9_SG_JZNS1_25segmented_radix_sort_implINS0_14default_configELb0EPKiPiPKlPlN2at6native12_GLOBAL__N_18offset_tEEE10hipError_tPvRmT1_PNSt15iterator_traitsISY_E10value_typeET2_T3_PNSZ_IS14_E10value_typeET4_jRbjT5_S1A_jjP12ihipStream_tbEUljE_EEESV_SW_SX_S14_S18_S1A_T6_T7_T9_mT8_S1C_bDpT10_ENKUlT_T0_E_clISt17integral_constantIbLb0EES1P_EEDaS1K_S1L_EUlS1K_E_NS1_11comp_targetILNS1_3genE0ELNS1_11target_archE4294967295ELNS1_3gpuE0ELNS1_3repE0EEENS1_30default_config_static_selectorELNS0_4arch9wavefront6targetE0EEEvSY_.uses_flat_scratch, 0
	.set _ZN7rocprim17ROCPRIM_400000_NS6detail17trampoline_kernelINS0_13select_configILj256ELj13ELNS0_17block_load_methodE3ELS4_3ELS4_3ELNS0_20block_scan_algorithmE0ELj4294967295EEENS1_25partition_config_selectorILNS1_17partition_subalgoE3EjNS0_10empty_typeEbEEZZNS1_14partition_implILS8_3ELb0ES6_jNS0_17counting_iteratorIjlEEPS9_SE_NS0_5tupleIJPjSE_EEENSF_IJSE_SE_EEES9_SG_JZNS1_25segmented_radix_sort_implINS0_14default_configELb0EPKiPiPKlPlN2at6native12_GLOBAL__N_18offset_tEEE10hipError_tPvRmT1_PNSt15iterator_traitsISY_E10value_typeET2_T3_PNSZ_IS14_E10value_typeET4_jRbjT5_S1A_jjP12ihipStream_tbEUljE_EEESV_SW_SX_S14_S18_S1A_T6_T7_T9_mT8_S1C_bDpT10_ENKUlT_T0_E_clISt17integral_constantIbLb0EES1P_EEDaS1K_S1L_EUlS1K_E_NS1_11comp_targetILNS1_3genE0ELNS1_11target_archE4294967295ELNS1_3gpuE0ELNS1_3repE0EEENS1_30default_config_static_selectorELNS0_4arch9wavefront6targetE0EEEvSY_.has_dyn_sized_stack, 0
	.set _ZN7rocprim17ROCPRIM_400000_NS6detail17trampoline_kernelINS0_13select_configILj256ELj13ELNS0_17block_load_methodE3ELS4_3ELS4_3ELNS0_20block_scan_algorithmE0ELj4294967295EEENS1_25partition_config_selectorILNS1_17partition_subalgoE3EjNS0_10empty_typeEbEEZZNS1_14partition_implILS8_3ELb0ES6_jNS0_17counting_iteratorIjlEEPS9_SE_NS0_5tupleIJPjSE_EEENSF_IJSE_SE_EEES9_SG_JZNS1_25segmented_radix_sort_implINS0_14default_configELb0EPKiPiPKlPlN2at6native12_GLOBAL__N_18offset_tEEE10hipError_tPvRmT1_PNSt15iterator_traitsISY_E10value_typeET2_T3_PNSZ_IS14_E10value_typeET4_jRbjT5_S1A_jjP12ihipStream_tbEUljE_EEESV_SW_SX_S14_S18_S1A_T6_T7_T9_mT8_S1C_bDpT10_ENKUlT_T0_E_clISt17integral_constantIbLb0EES1P_EEDaS1K_S1L_EUlS1K_E_NS1_11comp_targetILNS1_3genE0ELNS1_11target_archE4294967295ELNS1_3gpuE0ELNS1_3repE0EEENS1_30default_config_static_selectorELNS0_4arch9wavefront6targetE0EEEvSY_.has_recursion, 0
	.set _ZN7rocprim17ROCPRIM_400000_NS6detail17trampoline_kernelINS0_13select_configILj256ELj13ELNS0_17block_load_methodE3ELS4_3ELS4_3ELNS0_20block_scan_algorithmE0ELj4294967295EEENS1_25partition_config_selectorILNS1_17partition_subalgoE3EjNS0_10empty_typeEbEEZZNS1_14partition_implILS8_3ELb0ES6_jNS0_17counting_iteratorIjlEEPS9_SE_NS0_5tupleIJPjSE_EEENSF_IJSE_SE_EEES9_SG_JZNS1_25segmented_radix_sort_implINS0_14default_configELb0EPKiPiPKlPlN2at6native12_GLOBAL__N_18offset_tEEE10hipError_tPvRmT1_PNSt15iterator_traitsISY_E10value_typeET2_T3_PNSZ_IS14_E10value_typeET4_jRbjT5_S1A_jjP12ihipStream_tbEUljE_EEESV_SW_SX_S14_S18_S1A_T6_T7_T9_mT8_S1C_bDpT10_ENKUlT_T0_E_clISt17integral_constantIbLb0EES1P_EEDaS1K_S1L_EUlS1K_E_NS1_11comp_targetILNS1_3genE0ELNS1_11target_archE4294967295ELNS1_3gpuE0ELNS1_3repE0EEENS1_30default_config_static_selectorELNS0_4arch9wavefront6targetE0EEEvSY_.has_indirect_call, 0
	.section	.AMDGPU.csdata,"",@progbits
; Kernel info:
; codeLenInByte = 0
; TotalNumSgprs: 0
; NumVgprs: 0
; ScratchSize: 0
; MemoryBound: 0
; FloatMode: 240
; IeeeMode: 1
; LDSByteSize: 0 bytes/workgroup (compile time only)
; SGPRBlocks: 0
; VGPRBlocks: 0
; NumSGPRsForWavesPerEU: 1
; NumVGPRsForWavesPerEU: 1
; Occupancy: 16
; WaveLimiterHint : 0
; COMPUTE_PGM_RSRC2:SCRATCH_EN: 0
; COMPUTE_PGM_RSRC2:USER_SGPR: 6
; COMPUTE_PGM_RSRC2:TRAP_HANDLER: 0
; COMPUTE_PGM_RSRC2:TGID_X_EN: 1
; COMPUTE_PGM_RSRC2:TGID_Y_EN: 0
; COMPUTE_PGM_RSRC2:TGID_Z_EN: 0
; COMPUTE_PGM_RSRC2:TIDIG_COMP_CNT: 0
	.section	.text._ZN7rocprim17ROCPRIM_400000_NS6detail17trampoline_kernelINS0_13select_configILj256ELj13ELNS0_17block_load_methodE3ELS4_3ELS4_3ELNS0_20block_scan_algorithmE0ELj4294967295EEENS1_25partition_config_selectorILNS1_17partition_subalgoE3EjNS0_10empty_typeEbEEZZNS1_14partition_implILS8_3ELb0ES6_jNS0_17counting_iteratorIjlEEPS9_SE_NS0_5tupleIJPjSE_EEENSF_IJSE_SE_EEES9_SG_JZNS1_25segmented_radix_sort_implINS0_14default_configELb0EPKiPiPKlPlN2at6native12_GLOBAL__N_18offset_tEEE10hipError_tPvRmT1_PNSt15iterator_traitsISY_E10value_typeET2_T3_PNSZ_IS14_E10value_typeET4_jRbjT5_S1A_jjP12ihipStream_tbEUljE_EEESV_SW_SX_S14_S18_S1A_T6_T7_T9_mT8_S1C_bDpT10_ENKUlT_T0_E_clISt17integral_constantIbLb0EES1P_EEDaS1K_S1L_EUlS1K_E_NS1_11comp_targetILNS1_3genE5ELNS1_11target_archE942ELNS1_3gpuE9ELNS1_3repE0EEENS1_30default_config_static_selectorELNS0_4arch9wavefront6targetE0EEEvSY_,"axG",@progbits,_ZN7rocprim17ROCPRIM_400000_NS6detail17trampoline_kernelINS0_13select_configILj256ELj13ELNS0_17block_load_methodE3ELS4_3ELS4_3ELNS0_20block_scan_algorithmE0ELj4294967295EEENS1_25partition_config_selectorILNS1_17partition_subalgoE3EjNS0_10empty_typeEbEEZZNS1_14partition_implILS8_3ELb0ES6_jNS0_17counting_iteratorIjlEEPS9_SE_NS0_5tupleIJPjSE_EEENSF_IJSE_SE_EEES9_SG_JZNS1_25segmented_radix_sort_implINS0_14default_configELb0EPKiPiPKlPlN2at6native12_GLOBAL__N_18offset_tEEE10hipError_tPvRmT1_PNSt15iterator_traitsISY_E10value_typeET2_T3_PNSZ_IS14_E10value_typeET4_jRbjT5_S1A_jjP12ihipStream_tbEUljE_EEESV_SW_SX_S14_S18_S1A_T6_T7_T9_mT8_S1C_bDpT10_ENKUlT_T0_E_clISt17integral_constantIbLb0EES1P_EEDaS1K_S1L_EUlS1K_E_NS1_11comp_targetILNS1_3genE5ELNS1_11target_archE942ELNS1_3gpuE9ELNS1_3repE0EEENS1_30default_config_static_selectorELNS0_4arch9wavefront6targetE0EEEvSY_,comdat
	.globl	_ZN7rocprim17ROCPRIM_400000_NS6detail17trampoline_kernelINS0_13select_configILj256ELj13ELNS0_17block_load_methodE3ELS4_3ELS4_3ELNS0_20block_scan_algorithmE0ELj4294967295EEENS1_25partition_config_selectorILNS1_17partition_subalgoE3EjNS0_10empty_typeEbEEZZNS1_14partition_implILS8_3ELb0ES6_jNS0_17counting_iteratorIjlEEPS9_SE_NS0_5tupleIJPjSE_EEENSF_IJSE_SE_EEES9_SG_JZNS1_25segmented_radix_sort_implINS0_14default_configELb0EPKiPiPKlPlN2at6native12_GLOBAL__N_18offset_tEEE10hipError_tPvRmT1_PNSt15iterator_traitsISY_E10value_typeET2_T3_PNSZ_IS14_E10value_typeET4_jRbjT5_S1A_jjP12ihipStream_tbEUljE_EEESV_SW_SX_S14_S18_S1A_T6_T7_T9_mT8_S1C_bDpT10_ENKUlT_T0_E_clISt17integral_constantIbLb0EES1P_EEDaS1K_S1L_EUlS1K_E_NS1_11comp_targetILNS1_3genE5ELNS1_11target_archE942ELNS1_3gpuE9ELNS1_3repE0EEENS1_30default_config_static_selectorELNS0_4arch9wavefront6targetE0EEEvSY_ ; -- Begin function _ZN7rocprim17ROCPRIM_400000_NS6detail17trampoline_kernelINS0_13select_configILj256ELj13ELNS0_17block_load_methodE3ELS4_3ELS4_3ELNS0_20block_scan_algorithmE0ELj4294967295EEENS1_25partition_config_selectorILNS1_17partition_subalgoE3EjNS0_10empty_typeEbEEZZNS1_14partition_implILS8_3ELb0ES6_jNS0_17counting_iteratorIjlEEPS9_SE_NS0_5tupleIJPjSE_EEENSF_IJSE_SE_EEES9_SG_JZNS1_25segmented_radix_sort_implINS0_14default_configELb0EPKiPiPKlPlN2at6native12_GLOBAL__N_18offset_tEEE10hipError_tPvRmT1_PNSt15iterator_traitsISY_E10value_typeET2_T3_PNSZ_IS14_E10value_typeET4_jRbjT5_S1A_jjP12ihipStream_tbEUljE_EEESV_SW_SX_S14_S18_S1A_T6_T7_T9_mT8_S1C_bDpT10_ENKUlT_T0_E_clISt17integral_constantIbLb0EES1P_EEDaS1K_S1L_EUlS1K_E_NS1_11comp_targetILNS1_3genE5ELNS1_11target_archE942ELNS1_3gpuE9ELNS1_3repE0EEENS1_30default_config_static_selectorELNS0_4arch9wavefront6targetE0EEEvSY_
	.p2align	8
	.type	_ZN7rocprim17ROCPRIM_400000_NS6detail17trampoline_kernelINS0_13select_configILj256ELj13ELNS0_17block_load_methodE3ELS4_3ELS4_3ELNS0_20block_scan_algorithmE0ELj4294967295EEENS1_25partition_config_selectorILNS1_17partition_subalgoE3EjNS0_10empty_typeEbEEZZNS1_14partition_implILS8_3ELb0ES6_jNS0_17counting_iteratorIjlEEPS9_SE_NS0_5tupleIJPjSE_EEENSF_IJSE_SE_EEES9_SG_JZNS1_25segmented_radix_sort_implINS0_14default_configELb0EPKiPiPKlPlN2at6native12_GLOBAL__N_18offset_tEEE10hipError_tPvRmT1_PNSt15iterator_traitsISY_E10value_typeET2_T3_PNSZ_IS14_E10value_typeET4_jRbjT5_S1A_jjP12ihipStream_tbEUljE_EEESV_SW_SX_S14_S18_S1A_T6_T7_T9_mT8_S1C_bDpT10_ENKUlT_T0_E_clISt17integral_constantIbLb0EES1P_EEDaS1K_S1L_EUlS1K_E_NS1_11comp_targetILNS1_3genE5ELNS1_11target_archE942ELNS1_3gpuE9ELNS1_3repE0EEENS1_30default_config_static_selectorELNS0_4arch9wavefront6targetE0EEEvSY_,@function
_ZN7rocprim17ROCPRIM_400000_NS6detail17trampoline_kernelINS0_13select_configILj256ELj13ELNS0_17block_load_methodE3ELS4_3ELS4_3ELNS0_20block_scan_algorithmE0ELj4294967295EEENS1_25partition_config_selectorILNS1_17partition_subalgoE3EjNS0_10empty_typeEbEEZZNS1_14partition_implILS8_3ELb0ES6_jNS0_17counting_iteratorIjlEEPS9_SE_NS0_5tupleIJPjSE_EEENSF_IJSE_SE_EEES9_SG_JZNS1_25segmented_radix_sort_implINS0_14default_configELb0EPKiPiPKlPlN2at6native12_GLOBAL__N_18offset_tEEE10hipError_tPvRmT1_PNSt15iterator_traitsISY_E10value_typeET2_T3_PNSZ_IS14_E10value_typeET4_jRbjT5_S1A_jjP12ihipStream_tbEUljE_EEESV_SW_SX_S14_S18_S1A_T6_T7_T9_mT8_S1C_bDpT10_ENKUlT_T0_E_clISt17integral_constantIbLb0EES1P_EEDaS1K_S1L_EUlS1K_E_NS1_11comp_targetILNS1_3genE5ELNS1_11target_archE942ELNS1_3gpuE9ELNS1_3repE0EEENS1_30default_config_static_selectorELNS0_4arch9wavefront6targetE0EEEvSY_: ; @_ZN7rocprim17ROCPRIM_400000_NS6detail17trampoline_kernelINS0_13select_configILj256ELj13ELNS0_17block_load_methodE3ELS4_3ELS4_3ELNS0_20block_scan_algorithmE0ELj4294967295EEENS1_25partition_config_selectorILNS1_17partition_subalgoE3EjNS0_10empty_typeEbEEZZNS1_14partition_implILS8_3ELb0ES6_jNS0_17counting_iteratorIjlEEPS9_SE_NS0_5tupleIJPjSE_EEENSF_IJSE_SE_EEES9_SG_JZNS1_25segmented_radix_sort_implINS0_14default_configELb0EPKiPiPKlPlN2at6native12_GLOBAL__N_18offset_tEEE10hipError_tPvRmT1_PNSt15iterator_traitsISY_E10value_typeET2_T3_PNSZ_IS14_E10value_typeET4_jRbjT5_S1A_jjP12ihipStream_tbEUljE_EEESV_SW_SX_S14_S18_S1A_T6_T7_T9_mT8_S1C_bDpT10_ENKUlT_T0_E_clISt17integral_constantIbLb0EES1P_EEDaS1K_S1L_EUlS1K_E_NS1_11comp_targetILNS1_3genE5ELNS1_11target_archE942ELNS1_3gpuE9ELNS1_3repE0EEENS1_30default_config_static_selectorELNS0_4arch9wavefront6targetE0EEEvSY_
; %bb.0:
	.section	.rodata,"a",@progbits
	.p2align	6, 0x0
	.amdhsa_kernel _ZN7rocprim17ROCPRIM_400000_NS6detail17trampoline_kernelINS0_13select_configILj256ELj13ELNS0_17block_load_methodE3ELS4_3ELS4_3ELNS0_20block_scan_algorithmE0ELj4294967295EEENS1_25partition_config_selectorILNS1_17partition_subalgoE3EjNS0_10empty_typeEbEEZZNS1_14partition_implILS8_3ELb0ES6_jNS0_17counting_iteratorIjlEEPS9_SE_NS0_5tupleIJPjSE_EEENSF_IJSE_SE_EEES9_SG_JZNS1_25segmented_radix_sort_implINS0_14default_configELb0EPKiPiPKlPlN2at6native12_GLOBAL__N_18offset_tEEE10hipError_tPvRmT1_PNSt15iterator_traitsISY_E10value_typeET2_T3_PNSZ_IS14_E10value_typeET4_jRbjT5_S1A_jjP12ihipStream_tbEUljE_EEESV_SW_SX_S14_S18_S1A_T6_T7_T9_mT8_S1C_bDpT10_ENKUlT_T0_E_clISt17integral_constantIbLb0EES1P_EEDaS1K_S1L_EUlS1K_E_NS1_11comp_targetILNS1_3genE5ELNS1_11target_archE942ELNS1_3gpuE9ELNS1_3repE0EEENS1_30default_config_static_selectorELNS0_4arch9wavefront6targetE0EEEvSY_
		.amdhsa_group_segment_fixed_size 0
		.amdhsa_private_segment_fixed_size 0
		.amdhsa_kernarg_size 144
		.amdhsa_user_sgpr_count 6
		.amdhsa_user_sgpr_private_segment_buffer 1
		.amdhsa_user_sgpr_dispatch_ptr 0
		.amdhsa_user_sgpr_queue_ptr 0
		.amdhsa_user_sgpr_kernarg_segment_ptr 1
		.amdhsa_user_sgpr_dispatch_id 0
		.amdhsa_user_sgpr_flat_scratch_init 0
		.amdhsa_user_sgpr_private_segment_size 0
		.amdhsa_wavefront_size32 1
		.amdhsa_uses_dynamic_stack 0
		.amdhsa_system_sgpr_private_segment_wavefront_offset 0
		.amdhsa_system_sgpr_workgroup_id_x 1
		.amdhsa_system_sgpr_workgroup_id_y 0
		.amdhsa_system_sgpr_workgroup_id_z 0
		.amdhsa_system_sgpr_workgroup_info 0
		.amdhsa_system_vgpr_workitem_id 0
		.amdhsa_next_free_vgpr 1
		.amdhsa_next_free_sgpr 1
		.amdhsa_reserve_vcc 0
		.amdhsa_reserve_flat_scratch 0
		.amdhsa_float_round_mode_32 0
		.amdhsa_float_round_mode_16_64 0
		.amdhsa_float_denorm_mode_32 3
		.amdhsa_float_denorm_mode_16_64 3
		.amdhsa_dx10_clamp 1
		.amdhsa_ieee_mode 1
		.amdhsa_fp16_overflow 0
		.amdhsa_workgroup_processor_mode 1
		.amdhsa_memory_ordered 1
		.amdhsa_forward_progress 1
		.amdhsa_shared_vgpr_count 0
		.amdhsa_exception_fp_ieee_invalid_op 0
		.amdhsa_exception_fp_denorm_src 0
		.amdhsa_exception_fp_ieee_div_zero 0
		.amdhsa_exception_fp_ieee_overflow 0
		.amdhsa_exception_fp_ieee_underflow 0
		.amdhsa_exception_fp_ieee_inexact 0
		.amdhsa_exception_int_div_zero 0
	.end_amdhsa_kernel
	.section	.text._ZN7rocprim17ROCPRIM_400000_NS6detail17trampoline_kernelINS0_13select_configILj256ELj13ELNS0_17block_load_methodE3ELS4_3ELS4_3ELNS0_20block_scan_algorithmE0ELj4294967295EEENS1_25partition_config_selectorILNS1_17partition_subalgoE3EjNS0_10empty_typeEbEEZZNS1_14partition_implILS8_3ELb0ES6_jNS0_17counting_iteratorIjlEEPS9_SE_NS0_5tupleIJPjSE_EEENSF_IJSE_SE_EEES9_SG_JZNS1_25segmented_radix_sort_implINS0_14default_configELb0EPKiPiPKlPlN2at6native12_GLOBAL__N_18offset_tEEE10hipError_tPvRmT1_PNSt15iterator_traitsISY_E10value_typeET2_T3_PNSZ_IS14_E10value_typeET4_jRbjT5_S1A_jjP12ihipStream_tbEUljE_EEESV_SW_SX_S14_S18_S1A_T6_T7_T9_mT8_S1C_bDpT10_ENKUlT_T0_E_clISt17integral_constantIbLb0EES1P_EEDaS1K_S1L_EUlS1K_E_NS1_11comp_targetILNS1_3genE5ELNS1_11target_archE942ELNS1_3gpuE9ELNS1_3repE0EEENS1_30default_config_static_selectorELNS0_4arch9wavefront6targetE0EEEvSY_,"axG",@progbits,_ZN7rocprim17ROCPRIM_400000_NS6detail17trampoline_kernelINS0_13select_configILj256ELj13ELNS0_17block_load_methodE3ELS4_3ELS4_3ELNS0_20block_scan_algorithmE0ELj4294967295EEENS1_25partition_config_selectorILNS1_17partition_subalgoE3EjNS0_10empty_typeEbEEZZNS1_14partition_implILS8_3ELb0ES6_jNS0_17counting_iteratorIjlEEPS9_SE_NS0_5tupleIJPjSE_EEENSF_IJSE_SE_EEES9_SG_JZNS1_25segmented_radix_sort_implINS0_14default_configELb0EPKiPiPKlPlN2at6native12_GLOBAL__N_18offset_tEEE10hipError_tPvRmT1_PNSt15iterator_traitsISY_E10value_typeET2_T3_PNSZ_IS14_E10value_typeET4_jRbjT5_S1A_jjP12ihipStream_tbEUljE_EEESV_SW_SX_S14_S18_S1A_T6_T7_T9_mT8_S1C_bDpT10_ENKUlT_T0_E_clISt17integral_constantIbLb0EES1P_EEDaS1K_S1L_EUlS1K_E_NS1_11comp_targetILNS1_3genE5ELNS1_11target_archE942ELNS1_3gpuE9ELNS1_3repE0EEENS1_30default_config_static_selectorELNS0_4arch9wavefront6targetE0EEEvSY_,comdat
.Lfunc_end564:
	.size	_ZN7rocprim17ROCPRIM_400000_NS6detail17trampoline_kernelINS0_13select_configILj256ELj13ELNS0_17block_load_methodE3ELS4_3ELS4_3ELNS0_20block_scan_algorithmE0ELj4294967295EEENS1_25partition_config_selectorILNS1_17partition_subalgoE3EjNS0_10empty_typeEbEEZZNS1_14partition_implILS8_3ELb0ES6_jNS0_17counting_iteratorIjlEEPS9_SE_NS0_5tupleIJPjSE_EEENSF_IJSE_SE_EEES9_SG_JZNS1_25segmented_radix_sort_implINS0_14default_configELb0EPKiPiPKlPlN2at6native12_GLOBAL__N_18offset_tEEE10hipError_tPvRmT1_PNSt15iterator_traitsISY_E10value_typeET2_T3_PNSZ_IS14_E10value_typeET4_jRbjT5_S1A_jjP12ihipStream_tbEUljE_EEESV_SW_SX_S14_S18_S1A_T6_T7_T9_mT8_S1C_bDpT10_ENKUlT_T0_E_clISt17integral_constantIbLb0EES1P_EEDaS1K_S1L_EUlS1K_E_NS1_11comp_targetILNS1_3genE5ELNS1_11target_archE942ELNS1_3gpuE9ELNS1_3repE0EEENS1_30default_config_static_selectorELNS0_4arch9wavefront6targetE0EEEvSY_, .Lfunc_end564-_ZN7rocprim17ROCPRIM_400000_NS6detail17trampoline_kernelINS0_13select_configILj256ELj13ELNS0_17block_load_methodE3ELS4_3ELS4_3ELNS0_20block_scan_algorithmE0ELj4294967295EEENS1_25partition_config_selectorILNS1_17partition_subalgoE3EjNS0_10empty_typeEbEEZZNS1_14partition_implILS8_3ELb0ES6_jNS0_17counting_iteratorIjlEEPS9_SE_NS0_5tupleIJPjSE_EEENSF_IJSE_SE_EEES9_SG_JZNS1_25segmented_radix_sort_implINS0_14default_configELb0EPKiPiPKlPlN2at6native12_GLOBAL__N_18offset_tEEE10hipError_tPvRmT1_PNSt15iterator_traitsISY_E10value_typeET2_T3_PNSZ_IS14_E10value_typeET4_jRbjT5_S1A_jjP12ihipStream_tbEUljE_EEESV_SW_SX_S14_S18_S1A_T6_T7_T9_mT8_S1C_bDpT10_ENKUlT_T0_E_clISt17integral_constantIbLb0EES1P_EEDaS1K_S1L_EUlS1K_E_NS1_11comp_targetILNS1_3genE5ELNS1_11target_archE942ELNS1_3gpuE9ELNS1_3repE0EEENS1_30default_config_static_selectorELNS0_4arch9wavefront6targetE0EEEvSY_
                                        ; -- End function
	.set _ZN7rocprim17ROCPRIM_400000_NS6detail17trampoline_kernelINS0_13select_configILj256ELj13ELNS0_17block_load_methodE3ELS4_3ELS4_3ELNS0_20block_scan_algorithmE0ELj4294967295EEENS1_25partition_config_selectorILNS1_17partition_subalgoE3EjNS0_10empty_typeEbEEZZNS1_14partition_implILS8_3ELb0ES6_jNS0_17counting_iteratorIjlEEPS9_SE_NS0_5tupleIJPjSE_EEENSF_IJSE_SE_EEES9_SG_JZNS1_25segmented_radix_sort_implINS0_14default_configELb0EPKiPiPKlPlN2at6native12_GLOBAL__N_18offset_tEEE10hipError_tPvRmT1_PNSt15iterator_traitsISY_E10value_typeET2_T3_PNSZ_IS14_E10value_typeET4_jRbjT5_S1A_jjP12ihipStream_tbEUljE_EEESV_SW_SX_S14_S18_S1A_T6_T7_T9_mT8_S1C_bDpT10_ENKUlT_T0_E_clISt17integral_constantIbLb0EES1P_EEDaS1K_S1L_EUlS1K_E_NS1_11comp_targetILNS1_3genE5ELNS1_11target_archE942ELNS1_3gpuE9ELNS1_3repE0EEENS1_30default_config_static_selectorELNS0_4arch9wavefront6targetE0EEEvSY_.num_vgpr, 0
	.set _ZN7rocprim17ROCPRIM_400000_NS6detail17trampoline_kernelINS0_13select_configILj256ELj13ELNS0_17block_load_methodE3ELS4_3ELS4_3ELNS0_20block_scan_algorithmE0ELj4294967295EEENS1_25partition_config_selectorILNS1_17partition_subalgoE3EjNS0_10empty_typeEbEEZZNS1_14partition_implILS8_3ELb0ES6_jNS0_17counting_iteratorIjlEEPS9_SE_NS0_5tupleIJPjSE_EEENSF_IJSE_SE_EEES9_SG_JZNS1_25segmented_radix_sort_implINS0_14default_configELb0EPKiPiPKlPlN2at6native12_GLOBAL__N_18offset_tEEE10hipError_tPvRmT1_PNSt15iterator_traitsISY_E10value_typeET2_T3_PNSZ_IS14_E10value_typeET4_jRbjT5_S1A_jjP12ihipStream_tbEUljE_EEESV_SW_SX_S14_S18_S1A_T6_T7_T9_mT8_S1C_bDpT10_ENKUlT_T0_E_clISt17integral_constantIbLb0EES1P_EEDaS1K_S1L_EUlS1K_E_NS1_11comp_targetILNS1_3genE5ELNS1_11target_archE942ELNS1_3gpuE9ELNS1_3repE0EEENS1_30default_config_static_selectorELNS0_4arch9wavefront6targetE0EEEvSY_.num_agpr, 0
	.set _ZN7rocprim17ROCPRIM_400000_NS6detail17trampoline_kernelINS0_13select_configILj256ELj13ELNS0_17block_load_methodE3ELS4_3ELS4_3ELNS0_20block_scan_algorithmE0ELj4294967295EEENS1_25partition_config_selectorILNS1_17partition_subalgoE3EjNS0_10empty_typeEbEEZZNS1_14partition_implILS8_3ELb0ES6_jNS0_17counting_iteratorIjlEEPS9_SE_NS0_5tupleIJPjSE_EEENSF_IJSE_SE_EEES9_SG_JZNS1_25segmented_radix_sort_implINS0_14default_configELb0EPKiPiPKlPlN2at6native12_GLOBAL__N_18offset_tEEE10hipError_tPvRmT1_PNSt15iterator_traitsISY_E10value_typeET2_T3_PNSZ_IS14_E10value_typeET4_jRbjT5_S1A_jjP12ihipStream_tbEUljE_EEESV_SW_SX_S14_S18_S1A_T6_T7_T9_mT8_S1C_bDpT10_ENKUlT_T0_E_clISt17integral_constantIbLb0EES1P_EEDaS1K_S1L_EUlS1K_E_NS1_11comp_targetILNS1_3genE5ELNS1_11target_archE942ELNS1_3gpuE9ELNS1_3repE0EEENS1_30default_config_static_selectorELNS0_4arch9wavefront6targetE0EEEvSY_.numbered_sgpr, 0
	.set _ZN7rocprim17ROCPRIM_400000_NS6detail17trampoline_kernelINS0_13select_configILj256ELj13ELNS0_17block_load_methodE3ELS4_3ELS4_3ELNS0_20block_scan_algorithmE0ELj4294967295EEENS1_25partition_config_selectorILNS1_17partition_subalgoE3EjNS0_10empty_typeEbEEZZNS1_14partition_implILS8_3ELb0ES6_jNS0_17counting_iteratorIjlEEPS9_SE_NS0_5tupleIJPjSE_EEENSF_IJSE_SE_EEES9_SG_JZNS1_25segmented_radix_sort_implINS0_14default_configELb0EPKiPiPKlPlN2at6native12_GLOBAL__N_18offset_tEEE10hipError_tPvRmT1_PNSt15iterator_traitsISY_E10value_typeET2_T3_PNSZ_IS14_E10value_typeET4_jRbjT5_S1A_jjP12ihipStream_tbEUljE_EEESV_SW_SX_S14_S18_S1A_T6_T7_T9_mT8_S1C_bDpT10_ENKUlT_T0_E_clISt17integral_constantIbLb0EES1P_EEDaS1K_S1L_EUlS1K_E_NS1_11comp_targetILNS1_3genE5ELNS1_11target_archE942ELNS1_3gpuE9ELNS1_3repE0EEENS1_30default_config_static_selectorELNS0_4arch9wavefront6targetE0EEEvSY_.num_named_barrier, 0
	.set _ZN7rocprim17ROCPRIM_400000_NS6detail17trampoline_kernelINS0_13select_configILj256ELj13ELNS0_17block_load_methodE3ELS4_3ELS4_3ELNS0_20block_scan_algorithmE0ELj4294967295EEENS1_25partition_config_selectorILNS1_17partition_subalgoE3EjNS0_10empty_typeEbEEZZNS1_14partition_implILS8_3ELb0ES6_jNS0_17counting_iteratorIjlEEPS9_SE_NS0_5tupleIJPjSE_EEENSF_IJSE_SE_EEES9_SG_JZNS1_25segmented_radix_sort_implINS0_14default_configELb0EPKiPiPKlPlN2at6native12_GLOBAL__N_18offset_tEEE10hipError_tPvRmT1_PNSt15iterator_traitsISY_E10value_typeET2_T3_PNSZ_IS14_E10value_typeET4_jRbjT5_S1A_jjP12ihipStream_tbEUljE_EEESV_SW_SX_S14_S18_S1A_T6_T7_T9_mT8_S1C_bDpT10_ENKUlT_T0_E_clISt17integral_constantIbLb0EES1P_EEDaS1K_S1L_EUlS1K_E_NS1_11comp_targetILNS1_3genE5ELNS1_11target_archE942ELNS1_3gpuE9ELNS1_3repE0EEENS1_30default_config_static_selectorELNS0_4arch9wavefront6targetE0EEEvSY_.private_seg_size, 0
	.set _ZN7rocprim17ROCPRIM_400000_NS6detail17trampoline_kernelINS0_13select_configILj256ELj13ELNS0_17block_load_methodE3ELS4_3ELS4_3ELNS0_20block_scan_algorithmE0ELj4294967295EEENS1_25partition_config_selectorILNS1_17partition_subalgoE3EjNS0_10empty_typeEbEEZZNS1_14partition_implILS8_3ELb0ES6_jNS0_17counting_iteratorIjlEEPS9_SE_NS0_5tupleIJPjSE_EEENSF_IJSE_SE_EEES9_SG_JZNS1_25segmented_radix_sort_implINS0_14default_configELb0EPKiPiPKlPlN2at6native12_GLOBAL__N_18offset_tEEE10hipError_tPvRmT1_PNSt15iterator_traitsISY_E10value_typeET2_T3_PNSZ_IS14_E10value_typeET4_jRbjT5_S1A_jjP12ihipStream_tbEUljE_EEESV_SW_SX_S14_S18_S1A_T6_T7_T9_mT8_S1C_bDpT10_ENKUlT_T0_E_clISt17integral_constantIbLb0EES1P_EEDaS1K_S1L_EUlS1K_E_NS1_11comp_targetILNS1_3genE5ELNS1_11target_archE942ELNS1_3gpuE9ELNS1_3repE0EEENS1_30default_config_static_selectorELNS0_4arch9wavefront6targetE0EEEvSY_.uses_vcc, 0
	.set _ZN7rocprim17ROCPRIM_400000_NS6detail17trampoline_kernelINS0_13select_configILj256ELj13ELNS0_17block_load_methodE3ELS4_3ELS4_3ELNS0_20block_scan_algorithmE0ELj4294967295EEENS1_25partition_config_selectorILNS1_17partition_subalgoE3EjNS0_10empty_typeEbEEZZNS1_14partition_implILS8_3ELb0ES6_jNS0_17counting_iteratorIjlEEPS9_SE_NS0_5tupleIJPjSE_EEENSF_IJSE_SE_EEES9_SG_JZNS1_25segmented_radix_sort_implINS0_14default_configELb0EPKiPiPKlPlN2at6native12_GLOBAL__N_18offset_tEEE10hipError_tPvRmT1_PNSt15iterator_traitsISY_E10value_typeET2_T3_PNSZ_IS14_E10value_typeET4_jRbjT5_S1A_jjP12ihipStream_tbEUljE_EEESV_SW_SX_S14_S18_S1A_T6_T7_T9_mT8_S1C_bDpT10_ENKUlT_T0_E_clISt17integral_constantIbLb0EES1P_EEDaS1K_S1L_EUlS1K_E_NS1_11comp_targetILNS1_3genE5ELNS1_11target_archE942ELNS1_3gpuE9ELNS1_3repE0EEENS1_30default_config_static_selectorELNS0_4arch9wavefront6targetE0EEEvSY_.uses_flat_scratch, 0
	.set _ZN7rocprim17ROCPRIM_400000_NS6detail17trampoline_kernelINS0_13select_configILj256ELj13ELNS0_17block_load_methodE3ELS4_3ELS4_3ELNS0_20block_scan_algorithmE0ELj4294967295EEENS1_25partition_config_selectorILNS1_17partition_subalgoE3EjNS0_10empty_typeEbEEZZNS1_14partition_implILS8_3ELb0ES6_jNS0_17counting_iteratorIjlEEPS9_SE_NS0_5tupleIJPjSE_EEENSF_IJSE_SE_EEES9_SG_JZNS1_25segmented_radix_sort_implINS0_14default_configELb0EPKiPiPKlPlN2at6native12_GLOBAL__N_18offset_tEEE10hipError_tPvRmT1_PNSt15iterator_traitsISY_E10value_typeET2_T3_PNSZ_IS14_E10value_typeET4_jRbjT5_S1A_jjP12ihipStream_tbEUljE_EEESV_SW_SX_S14_S18_S1A_T6_T7_T9_mT8_S1C_bDpT10_ENKUlT_T0_E_clISt17integral_constantIbLb0EES1P_EEDaS1K_S1L_EUlS1K_E_NS1_11comp_targetILNS1_3genE5ELNS1_11target_archE942ELNS1_3gpuE9ELNS1_3repE0EEENS1_30default_config_static_selectorELNS0_4arch9wavefront6targetE0EEEvSY_.has_dyn_sized_stack, 0
	.set _ZN7rocprim17ROCPRIM_400000_NS6detail17trampoline_kernelINS0_13select_configILj256ELj13ELNS0_17block_load_methodE3ELS4_3ELS4_3ELNS0_20block_scan_algorithmE0ELj4294967295EEENS1_25partition_config_selectorILNS1_17partition_subalgoE3EjNS0_10empty_typeEbEEZZNS1_14partition_implILS8_3ELb0ES6_jNS0_17counting_iteratorIjlEEPS9_SE_NS0_5tupleIJPjSE_EEENSF_IJSE_SE_EEES9_SG_JZNS1_25segmented_radix_sort_implINS0_14default_configELb0EPKiPiPKlPlN2at6native12_GLOBAL__N_18offset_tEEE10hipError_tPvRmT1_PNSt15iterator_traitsISY_E10value_typeET2_T3_PNSZ_IS14_E10value_typeET4_jRbjT5_S1A_jjP12ihipStream_tbEUljE_EEESV_SW_SX_S14_S18_S1A_T6_T7_T9_mT8_S1C_bDpT10_ENKUlT_T0_E_clISt17integral_constantIbLb0EES1P_EEDaS1K_S1L_EUlS1K_E_NS1_11comp_targetILNS1_3genE5ELNS1_11target_archE942ELNS1_3gpuE9ELNS1_3repE0EEENS1_30default_config_static_selectorELNS0_4arch9wavefront6targetE0EEEvSY_.has_recursion, 0
	.set _ZN7rocprim17ROCPRIM_400000_NS6detail17trampoline_kernelINS0_13select_configILj256ELj13ELNS0_17block_load_methodE3ELS4_3ELS4_3ELNS0_20block_scan_algorithmE0ELj4294967295EEENS1_25partition_config_selectorILNS1_17partition_subalgoE3EjNS0_10empty_typeEbEEZZNS1_14partition_implILS8_3ELb0ES6_jNS0_17counting_iteratorIjlEEPS9_SE_NS0_5tupleIJPjSE_EEENSF_IJSE_SE_EEES9_SG_JZNS1_25segmented_radix_sort_implINS0_14default_configELb0EPKiPiPKlPlN2at6native12_GLOBAL__N_18offset_tEEE10hipError_tPvRmT1_PNSt15iterator_traitsISY_E10value_typeET2_T3_PNSZ_IS14_E10value_typeET4_jRbjT5_S1A_jjP12ihipStream_tbEUljE_EEESV_SW_SX_S14_S18_S1A_T6_T7_T9_mT8_S1C_bDpT10_ENKUlT_T0_E_clISt17integral_constantIbLb0EES1P_EEDaS1K_S1L_EUlS1K_E_NS1_11comp_targetILNS1_3genE5ELNS1_11target_archE942ELNS1_3gpuE9ELNS1_3repE0EEENS1_30default_config_static_selectorELNS0_4arch9wavefront6targetE0EEEvSY_.has_indirect_call, 0
	.section	.AMDGPU.csdata,"",@progbits
; Kernel info:
; codeLenInByte = 0
; TotalNumSgprs: 0
; NumVgprs: 0
; ScratchSize: 0
; MemoryBound: 0
; FloatMode: 240
; IeeeMode: 1
; LDSByteSize: 0 bytes/workgroup (compile time only)
; SGPRBlocks: 0
; VGPRBlocks: 0
; NumSGPRsForWavesPerEU: 1
; NumVGPRsForWavesPerEU: 1
; Occupancy: 16
; WaveLimiterHint : 0
; COMPUTE_PGM_RSRC2:SCRATCH_EN: 0
; COMPUTE_PGM_RSRC2:USER_SGPR: 6
; COMPUTE_PGM_RSRC2:TRAP_HANDLER: 0
; COMPUTE_PGM_RSRC2:TGID_X_EN: 1
; COMPUTE_PGM_RSRC2:TGID_Y_EN: 0
; COMPUTE_PGM_RSRC2:TGID_Z_EN: 0
; COMPUTE_PGM_RSRC2:TIDIG_COMP_CNT: 0
	.section	.text._ZN7rocprim17ROCPRIM_400000_NS6detail17trampoline_kernelINS0_13select_configILj256ELj13ELNS0_17block_load_methodE3ELS4_3ELS4_3ELNS0_20block_scan_algorithmE0ELj4294967295EEENS1_25partition_config_selectorILNS1_17partition_subalgoE3EjNS0_10empty_typeEbEEZZNS1_14partition_implILS8_3ELb0ES6_jNS0_17counting_iteratorIjlEEPS9_SE_NS0_5tupleIJPjSE_EEENSF_IJSE_SE_EEES9_SG_JZNS1_25segmented_radix_sort_implINS0_14default_configELb0EPKiPiPKlPlN2at6native12_GLOBAL__N_18offset_tEEE10hipError_tPvRmT1_PNSt15iterator_traitsISY_E10value_typeET2_T3_PNSZ_IS14_E10value_typeET4_jRbjT5_S1A_jjP12ihipStream_tbEUljE_EEESV_SW_SX_S14_S18_S1A_T6_T7_T9_mT8_S1C_bDpT10_ENKUlT_T0_E_clISt17integral_constantIbLb0EES1P_EEDaS1K_S1L_EUlS1K_E_NS1_11comp_targetILNS1_3genE4ELNS1_11target_archE910ELNS1_3gpuE8ELNS1_3repE0EEENS1_30default_config_static_selectorELNS0_4arch9wavefront6targetE0EEEvSY_,"axG",@progbits,_ZN7rocprim17ROCPRIM_400000_NS6detail17trampoline_kernelINS0_13select_configILj256ELj13ELNS0_17block_load_methodE3ELS4_3ELS4_3ELNS0_20block_scan_algorithmE0ELj4294967295EEENS1_25partition_config_selectorILNS1_17partition_subalgoE3EjNS0_10empty_typeEbEEZZNS1_14partition_implILS8_3ELb0ES6_jNS0_17counting_iteratorIjlEEPS9_SE_NS0_5tupleIJPjSE_EEENSF_IJSE_SE_EEES9_SG_JZNS1_25segmented_radix_sort_implINS0_14default_configELb0EPKiPiPKlPlN2at6native12_GLOBAL__N_18offset_tEEE10hipError_tPvRmT1_PNSt15iterator_traitsISY_E10value_typeET2_T3_PNSZ_IS14_E10value_typeET4_jRbjT5_S1A_jjP12ihipStream_tbEUljE_EEESV_SW_SX_S14_S18_S1A_T6_T7_T9_mT8_S1C_bDpT10_ENKUlT_T0_E_clISt17integral_constantIbLb0EES1P_EEDaS1K_S1L_EUlS1K_E_NS1_11comp_targetILNS1_3genE4ELNS1_11target_archE910ELNS1_3gpuE8ELNS1_3repE0EEENS1_30default_config_static_selectorELNS0_4arch9wavefront6targetE0EEEvSY_,comdat
	.globl	_ZN7rocprim17ROCPRIM_400000_NS6detail17trampoline_kernelINS0_13select_configILj256ELj13ELNS0_17block_load_methodE3ELS4_3ELS4_3ELNS0_20block_scan_algorithmE0ELj4294967295EEENS1_25partition_config_selectorILNS1_17partition_subalgoE3EjNS0_10empty_typeEbEEZZNS1_14partition_implILS8_3ELb0ES6_jNS0_17counting_iteratorIjlEEPS9_SE_NS0_5tupleIJPjSE_EEENSF_IJSE_SE_EEES9_SG_JZNS1_25segmented_radix_sort_implINS0_14default_configELb0EPKiPiPKlPlN2at6native12_GLOBAL__N_18offset_tEEE10hipError_tPvRmT1_PNSt15iterator_traitsISY_E10value_typeET2_T3_PNSZ_IS14_E10value_typeET4_jRbjT5_S1A_jjP12ihipStream_tbEUljE_EEESV_SW_SX_S14_S18_S1A_T6_T7_T9_mT8_S1C_bDpT10_ENKUlT_T0_E_clISt17integral_constantIbLb0EES1P_EEDaS1K_S1L_EUlS1K_E_NS1_11comp_targetILNS1_3genE4ELNS1_11target_archE910ELNS1_3gpuE8ELNS1_3repE0EEENS1_30default_config_static_selectorELNS0_4arch9wavefront6targetE0EEEvSY_ ; -- Begin function _ZN7rocprim17ROCPRIM_400000_NS6detail17trampoline_kernelINS0_13select_configILj256ELj13ELNS0_17block_load_methodE3ELS4_3ELS4_3ELNS0_20block_scan_algorithmE0ELj4294967295EEENS1_25partition_config_selectorILNS1_17partition_subalgoE3EjNS0_10empty_typeEbEEZZNS1_14partition_implILS8_3ELb0ES6_jNS0_17counting_iteratorIjlEEPS9_SE_NS0_5tupleIJPjSE_EEENSF_IJSE_SE_EEES9_SG_JZNS1_25segmented_radix_sort_implINS0_14default_configELb0EPKiPiPKlPlN2at6native12_GLOBAL__N_18offset_tEEE10hipError_tPvRmT1_PNSt15iterator_traitsISY_E10value_typeET2_T3_PNSZ_IS14_E10value_typeET4_jRbjT5_S1A_jjP12ihipStream_tbEUljE_EEESV_SW_SX_S14_S18_S1A_T6_T7_T9_mT8_S1C_bDpT10_ENKUlT_T0_E_clISt17integral_constantIbLb0EES1P_EEDaS1K_S1L_EUlS1K_E_NS1_11comp_targetILNS1_3genE4ELNS1_11target_archE910ELNS1_3gpuE8ELNS1_3repE0EEENS1_30default_config_static_selectorELNS0_4arch9wavefront6targetE0EEEvSY_
	.p2align	8
	.type	_ZN7rocprim17ROCPRIM_400000_NS6detail17trampoline_kernelINS0_13select_configILj256ELj13ELNS0_17block_load_methodE3ELS4_3ELS4_3ELNS0_20block_scan_algorithmE0ELj4294967295EEENS1_25partition_config_selectorILNS1_17partition_subalgoE3EjNS0_10empty_typeEbEEZZNS1_14partition_implILS8_3ELb0ES6_jNS0_17counting_iteratorIjlEEPS9_SE_NS0_5tupleIJPjSE_EEENSF_IJSE_SE_EEES9_SG_JZNS1_25segmented_radix_sort_implINS0_14default_configELb0EPKiPiPKlPlN2at6native12_GLOBAL__N_18offset_tEEE10hipError_tPvRmT1_PNSt15iterator_traitsISY_E10value_typeET2_T3_PNSZ_IS14_E10value_typeET4_jRbjT5_S1A_jjP12ihipStream_tbEUljE_EEESV_SW_SX_S14_S18_S1A_T6_T7_T9_mT8_S1C_bDpT10_ENKUlT_T0_E_clISt17integral_constantIbLb0EES1P_EEDaS1K_S1L_EUlS1K_E_NS1_11comp_targetILNS1_3genE4ELNS1_11target_archE910ELNS1_3gpuE8ELNS1_3repE0EEENS1_30default_config_static_selectorELNS0_4arch9wavefront6targetE0EEEvSY_,@function
_ZN7rocprim17ROCPRIM_400000_NS6detail17trampoline_kernelINS0_13select_configILj256ELj13ELNS0_17block_load_methodE3ELS4_3ELS4_3ELNS0_20block_scan_algorithmE0ELj4294967295EEENS1_25partition_config_selectorILNS1_17partition_subalgoE3EjNS0_10empty_typeEbEEZZNS1_14partition_implILS8_3ELb0ES6_jNS0_17counting_iteratorIjlEEPS9_SE_NS0_5tupleIJPjSE_EEENSF_IJSE_SE_EEES9_SG_JZNS1_25segmented_radix_sort_implINS0_14default_configELb0EPKiPiPKlPlN2at6native12_GLOBAL__N_18offset_tEEE10hipError_tPvRmT1_PNSt15iterator_traitsISY_E10value_typeET2_T3_PNSZ_IS14_E10value_typeET4_jRbjT5_S1A_jjP12ihipStream_tbEUljE_EEESV_SW_SX_S14_S18_S1A_T6_T7_T9_mT8_S1C_bDpT10_ENKUlT_T0_E_clISt17integral_constantIbLb0EES1P_EEDaS1K_S1L_EUlS1K_E_NS1_11comp_targetILNS1_3genE4ELNS1_11target_archE910ELNS1_3gpuE8ELNS1_3repE0EEENS1_30default_config_static_selectorELNS0_4arch9wavefront6targetE0EEEvSY_: ; @_ZN7rocprim17ROCPRIM_400000_NS6detail17trampoline_kernelINS0_13select_configILj256ELj13ELNS0_17block_load_methodE3ELS4_3ELS4_3ELNS0_20block_scan_algorithmE0ELj4294967295EEENS1_25partition_config_selectorILNS1_17partition_subalgoE3EjNS0_10empty_typeEbEEZZNS1_14partition_implILS8_3ELb0ES6_jNS0_17counting_iteratorIjlEEPS9_SE_NS0_5tupleIJPjSE_EEENSF_IJSE_SE_EEES9_SG_JZNS1_25segmented_radix_sort_implINS0_14default_configELb0EPKiPiPKlPlN2at6native12_GLOBAL__N_18offset_tEEE10hipError_tPvRmT1_PNSt15iterator_traitsISY_E10value_typeET2_T3_PNSZ_IS14_E10value_typeET4_jRbjT5_S1A_jjP12ihipStream_tbEUljE_EEESV_SW_SX_S14_S18_S1A_T6_T7_T9_mT8_S1C_bDpT10_ENKUlT_T0_E_clISt17integral_constantIbLb0EES1P_EEDaS1K_S1L_EUlS1K_E_NS1_11comp_targetILNS1_3genE4ELNS1_11target_archE910ELNS1_3gpuE8ELNS1_3repE0EEENS1_30default_config_static_selectorELNS0_4arch9wavefront6targetE0EEEvSY_
; %bb.0:
	.section	.rodata,"a",@progbits
	.p2align	6, 0x0
	.amdhsa_kernel _ZN7rocprim17ROCPRIM_400000_NS6detail17trampoline_kernelINS0_13select_configILj256ELj13ELNS0_17block_load_methodE3ELS4_3ELS4_3ELNS0_20block_scan_algorithmE0ELj4294967295EEENS1_25partition_config_selectorILNS1_17partition_subalgoE3EjNS0_10empty_typeEbEEZZNS1_14partition_implILS8_3ELb0ES6_jNS0_17counting_iteratorIjlEEPS9_SE_NS0_5tupleIJPjSE_EEENSF_IJSE_SE_EEES9_SG_JZNS1_25segmented_radix_sort_implINS0_14default_configELb0EPKiPiPKlPlN2at6native12_GLOBAL__N_18offset_tEEE10hipError_tPvRmT1_PNSt15iterator_traitsISY_E10value_typeET2_T3_PNSZ_IS14_E10value_typeET4_jRbjT5_S1A_jjP12ihipStream_tbEUljE_EEESV_SW_SX_S14_S18_S1A_T6_T7_T9_mT8_S1C_bDpT10_ENKUlT_T0_E_clISt17integral_constantIbLb0EES1P_EEDaS1K_S1L_EUlS1K_E_NS1_11comp_targetILNS1_3genE4ELNS1_11target_archE910ELNS1_3gpuE8ELNS1_3repE0EEENS1_30default_config_static_selectorELNS0_4arch9wavefront6targetE0EEEvSY_
		.amdhsa_group_segment_fixed_size 0
		.amdhsa_private_segment_fixed_size 0
		.amdhsa_kernarg_size 144
		.amdhsa_user_sgpr_count 6
		.amdhsa_user_sgpr_private_segment_buffer 1
		.amdhsa_user_sgpr_dispatch_ptr 0
		.amdhsa_user_sgpr_queue_ptr 0
		.amdhsa_user_sgpr_kernarg_segment_ptr 1
		.amdhsa_user_sgpr_dispatch_id 0
		.amdhsa_user_sgpr_flat_scratch_init 0
		.amdhsa_user_sgpr_private_segment_size 0
		.amdhsa_wavefront_size32 1
		.amdhsa_uses_dynamic_stack 0
		.amdhsa_system_sgpr_private_segment_wavefront_offset 0
		.amdhsa_system_sgpr_workgroup_id_x 1
		.amdhsa_system_sgpr_workgroup_id_y 0
		.amdhsa_system_sgpr_workgroup_id_z 0
		.amdhsa_system_sgpr_workgroup_info 0
		.amdhsa_system_vgpr_workitem_id 0
		.amdhsa_next_free_vgpr 1
		.amdhsa_next_free_sgpr 1
		.amdhsa_reserve_vcc 0
		.amdhsa_reserve_flat_scratch 0
		.amdhsa_float_round_mode_32 0
		.amdhsa_float_round_mode_16_64 0
		.amdhsa_float_denorm_mode_32 3
		.amdhsa_float_denorm_mode_16_64 3
		.amdhsa_dx10_clamp 1
		.amdhsa_ieee_mode 1
		.amdhsa_fp16_overflow 0
		.amdhsa_workgroup_processor_mode 1
		.amdhsa_memory_ordered 1
		.amdhsa_forward_progress 1
		.amdhsa_shared_vgpr_count 0
		.amdhsa_exception_fp_ieee_invalid_op 0
		.amdhsa_exception_fp_denorm_src 0
		.amdhsa_exception_fp_ieee_div_zero 0
		.amdhsa_exception_fp_ieee_overflow 0
		.amdhsa_exception_fp_ieee_underflow 0
		.amdhsa_exception_fp_ieee_inexact 0
		.amdhsa_exception_int_div_zero 0
	.end_amdhsa_kernel
	.section	.text._ZN7rocprim17ROCPRIM_400000_NS6detail17trampoline_kernelINS0_13select_configILj256ELj13ELNS0_17block_load_methodE3ELS4_3ELS4_3ELNS0_20block_scan_algorithmE0ELj4294967295EEENS1_25partition_config_selectorILNS1_17partition_subalgoE3EjNS0_10empty_typeEbEEZZNS1_14partition_implILS8_3ELb0ES6_jNS0_17counting_iteratorIjlEEPS9_SE_NS0_5tupleIJPjSE_EEENSF_IJSE_SE_EEES9_SG_JZNS1_25segmented_radix_sort_implINS0_14default_configELb0EPKiPiPKlPlN2at6native12_GLOBAL__N_18offset_tEEE10hipError_tPvRmT1_PNSt15iterator_traitsISY_E10value_typeET2_T3_PNSZ_IS14_E10value_typeET4_jRbjT5_S1A_jjP12ihipStream_tbEUljE_EEESV_SW_SX_S14_S18_S1A_T6_T7_T9_mT8_S1C_bDpT10_ENKUlT_T0_E_clISt17integral_constantIbLb0EES1P_EEDaS1K_S1L_EUlS1K_E_NS1_11comp_targetILNS1_3genE4ELNS1_11target_archE910ELNS1_3gpuE8ELNS1_3repE0EEENS1_30default_config_static_selectorELNS0_4arch9wavefront6targetE0EEEvSY_,"axG",@progbits,_ZN7rocprim17ROCPRIM_400000_NS6detail17trampoline_kernelINS0_13select_configILj256ELj13ELNS0_17block_load_methodE3ELS4_3ELS4_3ELNS0_20block_scan_algorithmE0ELj4294967295EEENS1_25partition_config_selectorILNS1_17partition_subalgoE3EjNS0_10empty_typeEbEEZZNS1_14partition_implILS8_3ELb0ES6_jNS0_17counting_iteratorIjlEEPS9_SE_NS0_5tupleIJPjSE_EEENSF_IJSE_SE_EEES9_SG_JZNS1_25segmented_radix_sort_implINS0_14default_configELb0EPKiPiPKlPlN2at6native12_GLOBAL__N_18offset_tEEE10hipError_tPvRmT1_PNSt15iterator_traitsISY_E10value_typeET2_T3_PNSZ_IS14_E10value_typeET4_jRbjT5_S1A_jjP12ihipStream_tbEUljE_EEESV_SW_SX_S14_S18_S1A_T6_T7_T9_mT8_S1C_bDpT10_ENKUlT_T0_E_clISt17integral_constantIbLb0EES1P_EEDaS1K_S1L_EUlS1K_E_NS1_11comp_targetILNS1_3genE4ELNS1_11target_archE910ELNS1_3gpuE8ELNS1_3repE0EEENS1_30default_config_static_selectorELNS0_4arch9wavefront6targetE0EEEvSY_,comdat
.Lfunc_end565:
	.size	_ZN7rocprim17ROCPRIM_400000_NS6detail17trampoline_kernelINS0_13select_configILj256ELj13ELNS0_17block_load_methodE3ELS4_3ELS4_3ELNS0_20block_scan_algorithmE0ELj4294967295EEENS1_25partition_config_selectorILNS1_17partition_subalgoE3EjNS0_10empty_typeEbEEZZNS1_14partition_implILS8_3ELb0ES6_jNS0_17counting_iteratorIjlEEPS9_SE_NS0_5tupleIJPjSE_EEENSF_IJSE_SE_EEES9_SG_JZNS1_25segmented_radix_sort_implINS0_14default_configELb0EPKiPiPKlPlN2at6native12_GLOBAL__N_18offset_tEEE10hipError_tPvRmT1_PNSt15iterator_traitsISY_E10value_typeET2_T3_PNSZ_IS14_E10value_typeET4_jRbjT5_S1A_jjP12ihipStream_tbEUljE_EEESV_SW_SX_S14_S18_S1A_T6_T7_T9_mT8_S1C_bDpT10_ENKUlT_T0_E_clISt17integral_constantIbLb0EES1P_EEDaS1K_S1L_EUlS1K_E_NS1_11comp_targetILNS1_3genE4ELNS1_11target_archE910ELNS1_3gpuE8ELNS1_3repE0EEENS1_30default_config_static_selectorELNS0_4arch9wavefront6targetE0EEEvSY_, .Lfunc_end565-_ZN7rocprim17ROCPRIM_400000_NS6detail17trampoline_kernelINS0_13select_configILj256ELj13ELNS0_17block_load_methodE3ELS4_3ELS4_3ELNS0_20block_scan_algorithmE0ELj4294967295EEENS1_25partition_config_selectorILNS1_17partition_subalgoE3EjNS0_10empty_typeEbEEZZNS1_14partition_implILS8_3ELb0ES6_jNS0_17counting_iteratorIjlEEPS9_SE_NS0_5tupleIJPjSE_EEENSF_IJSE_SE_EEES9_SG_JZNS1_25segmented_radix_sort_implINS0_14default_configELb0EPKiPiPKlPlN2at6native12_GLOBAL__N_18offset_tEEE10hipError_tPvRmT1_PNSt15iterator_traitsISY_E10value_typeET2_T3_PNSZ_IS14_E10value_typeET4_jRbjT5_S1A_jjP12ihipStream_tbEUljE_EEESV_SW_SX_S14_S18_S1A_T6_T7_T9_mT8_S1C_bDpT10_ENKUlT_T0_E_clISt17integral_constantIbLb0EES1P_EEDaS1K_S1L_EUlS1K_E_NS1_11comp_targetILNS1_3genE4ELNS1_11target_archE910ELNS1_3gpuE8ELNS1_3repE0EEENS1_30default_config_static_selectorELNS0_4arch9wavefront6targetE0EEEvSY_
                                        ; -- End function
	.set _ZN7rocprim17ROCPRIM_400000_NS6detail17trampoline_kernelINS0_13select_configILj256ELj13ELNS0_17block_load_methodE3ELS4_3ELS4_3ELNS0_20block_scan_algorithmE0ELj4294967295EEENS1_25partition_config_selectorILNS1_17partition_subalgoE3EjNS0_10empty_typeEbEEZZNS1_14partition_implILS8_3ELb0ES6_jNS0_17counting_iteratorIjlEEPS9_SE_NS0_5tupleIJPjSE_EEENSF_IJSE_SE_EEES9_SG_JZNS1_25segmented_radix_sort_implINS0_14default_configELb0EPKiPiPKlPlN2at6native12_GLOBAL__N_18offset_tEEE10hipError_tPvRmT1_PNSt15iterator_traitsISY_E10value_typeET2_T3_PNSZ_IS14_E10value_typeET4_jRbjT5_S1A_jjP12ihipStream_tbEUljE_EEESV_SW_SX_S14_S18_S1A_T6_T7_T9_mT8_S1C_bDpT10_ENKUlT_T0_E_clISt17integral_constantIbLb0EES1P_EEDaS1K_S1L_EUlS1K_E_NS1_11comp_targetILNS1_3genE4ELNS1_11target_archE910ELNS1_3gpuE8ELNS1_3repE0EEENS1_30default_config_static_selectorELNS0_4arch9wavefront6targetE0EEEvSY_.num_vgpr, 0
	.set _ZN7rocprim17ROCPRIM_400000_NS6detail17trampoline_kernelINS0_13select_configILj256ELj13ELNS0_17block_load_methodE3ELS4_3ELS4_3ELNS0_20block_scan_algorithmE0ELj4294967295EEENS1_25partition_config_selectorILNS1_17partition_subalgoE3EjNS0_10empty_typeEbEEZZNS1_14partition_implILS8_3ELb0ES6_jNS0_17counting_iteratorIjlEEPS9_SE_NS0_5tupleIJPjSE_EEENSF_IJSE_SE_EEES9_SG_JZNS1_25segmented_radix_sort_implINS0_14default_configELb0EPKiPiPKlPlN2at6native12_GLOBAL__N_18offset_tEEE10hipError_tPvRmT1_PNSt15iterator_traitsISY_E10value_typeET2_T3_PNSZ_IS14_E10value_typeET4_jRbjT5_S1A_jjP12ihipStream_tbEUljE_EEESV_SW_SX_S14_S18_S1A_T6_T7_T9_mT8_S1C_bDpT10_ENKUlT_T0_E_clISt17integral_constantIbLb0EES1P_EEDaS1K_S1L_EUlS1K_E_NS1_11comp_targetILNS1_3genE4ELNS1_11target_archE910ELNS1_3gpuE8ELNS1_3repE0EEENS1_30default_config_static_selectorELNS0_4arch9wavefront6targetE0EEEvSY_.num_agpr, 0
	.set _ZN7rocprim17ROCPRIM_400000_NS6detail17trampoline_kernelINS0_13select_configILj256ELj13ELNS0_17block_load_methodE3ELS4_3ELS4_3ELNS0_20block_scan_algorithmE0ELj4294967295EEENS1_25partition_config_selectorILNS1_17partition_subalgoE3EjNS0_10empty_typeEbEEZZNS1_14partition_implILS8_3ELb0ES6_jNS0_17counting_iteratorIjlEEPS9_SE_NS0_5tupleIJPjSE_EEENSF_IJSE_SE_EEES9_SG_JZNS1_25segmented_radix_sort_implINS0_14default_configELb0EPKiPiPKlPlN2at6native12_GLOBAL__N_18offset_tEEE10hipError_tPvRmT1_PNSt15iterator_traitsISY_E10value_typeET2_T3_PNSZ_IS14_E10value_typeET4_jRbjT5_S1A_jjP12ihipStream_tbEUljE_EEESV_SW_SX_S14_S18_S1A_T6_T7_T9_mT8_S1C_bDpT10_ENKUlT_T0_E_clISt17integral_constantIbLb0EES1P_EEDaS1K_S1L_EUlS1K_E_NS1_11comp_targetILNS1_3genE4ELNS1_11target_archE910ELNS1_3gpuE8ELNS1_3repE0EEENS1_30default_config_static_selectorELNS0_4arch9wavefront6targetE0EEEvSY_.numbered_sgpr, 0
	.set _ZN7rocprim17ROCPRIM_400000_NS6detail17trampoline_kernelINS0_13select_configILj256ELj13ELNS0_17block_load_methodE3ELS4_3ELS4_3ELNS0_20block_scan_algorithmE0ELj4294967295EEENS1_25partition_config_selectorILNS1_17partition_subalgoE3EjNS0_10empty_typeEbEEZZNS1_14partition_implILS8_3ELb0ES6_jNS0_17counting_iteratorIjlEEPS9_SE_NS0_5tupleIJPjSE_EEENSF_IJSE_SE_EEES9_SG_JZNS1_25segmented_radix_sort_implINS0_14default_configELb0EPKiPiPKlPlN2at6native12_GLOBAL__N_18offset_tEEE10hipError_tPvRmT1_PNSt15iterator_traitsISY_E10value_typeET2_T3_PNSZ_IS14_E10value_typeET4_jRbjT5_S1A_jjP12ihipStream_tbEUljE_EEESV_SW_SX_S14_S18_S1A_T6_T7_T9_mT8_S1C_bDpT10_ENKUlT_T0_E_clISt17integral_constantIbLb0EES1P_EEDaS1K_S1L_EUlS1K_E_NS1_11comp_targetILNS1_3genE4ELNS1_11target_archE910ELNS1_3gpuE8ELNS1_3repE0EEENS1_30default_config_static_selectorELNS0_4arch9wavefront6targetE0EEEvSY_.num_named_barrier, 0
	.set _ZN7rocprim17ROCPRIM_400000_NS6detail17trampoline_kernelINS0_13select_configILj256ELj13ELNS0_17block_load_methodE3ELS4_3ELS4_3ELNS0_20block_scan_algorithmE0ELj4294967295EEENS1_25partition_config_selectorILNS1_17partition_subalgoE3EjNS0_10empty_typeEbEEZZNS1_14partition_implILS8_3ELb0ES6_jNS0_17counting_iteratorIjlEEPS9_SE_NS0_5tupleIJPjSE_EEENSF_IJSE_SE_EEES9_SG_JZNS1_25segmented_radix_sort_implINS0_14default_configELb0EPKiPiPKlPlN2at6native12_GLOBAL__N_18offset_tEEE10hipError_tPvRmT1_PNSt15iterator_traitsISY_E10value_typeET2_T3_PNSZ_IS14_E10value_typeET4_jRbjT5_S1A_jjP12ihipStream_tbEUljE_EEESV_SW_SX_S14_S18_S1A_T6_T7_T9_mT8_S1C_bDpT10_ENKUlT_T0_E_clISt17integral_constantIbLb0EES1P_EEDaS1K_S1L_EUlS1K_E_NS1_11comp_targetILNS1_3genE4ELNS1_11target_archE910ELNS1_3gpuE8ELNS1_3repE0EEENS1_30default_config_static_selectorELNS0_4arch9wavefront6targetE0EEEvSY_.private_seg_size, 0
	.set _ZN7rocprim17ROCPRIM_400000_NS6detail17trampoline_kernelINS0_13select_configILj256ELj13ELNS0_17block_load_methodE3ELS4_3ELS4_3ELNS0_20block_scan_algorithmE0ELj4294967295EEENS1_25partition_config_selectorILNS1_17partition_subalgoE3EjNS0_10empty_typeEbEEZZNS1_14partition_implILS8_3ELb0ES6_jNS0_17counting_iteratorIjlEEPS9_SE_NS0_5tupleIJPjSE_EEENSF_IJSE_SE_EEES9_SG_JZNS1_25segmented_radix_sort_implINS0_14default_configELb0EPKiPiPKlPlN2at6native12_GLOBAL__N_18offset_tEEE10hipError_tPvRmT1_PNSt15iterator_traitsISY_E10value_typeET2_T3_PNSZ_IS14_E10value_typeET4_jRbjT5_S1A_jjP12ihipStream_tbEUljE_EEESV_SW_SX_S14_S18_S1A_T6_T7_T9_mT8_S1C_bDpT10_ENKUlT_T0_E_clISt17integral_constantIbLb0EES1P_EEDaS1K_S1L_EUlS1K_E_NS1_11comp_targetILNS1_3genE4ELNS1_11target_archE910ELNS1_3gpuE8ELNS1_3repE0EEENS1_30default_config_static_selectorELNS0_4arch9wavefront6targetE0EEEvSY_.uses_vcc, 0
	.set _ZN7rocprim17ROCPRIM_400000_NS6detail17trampoline_kernelINS0_13select_configILj256ELj13ELNS0_17block_load_methodE3ELS4_3ELS4_3ELNS0_20block_scan_algorithmE0ELj4294967295EEENS1_25partition_config_selectorILNS1_17partition_subalgoE3EjNS0_10empty_typeEbEEZZNS1_14partition_implILS8_3ELb0ES6_jNS0_17counting_iteratorIjlEEPS9_SE_NS0_5tupleIJPjSE_EEENSF_IJSE_SE_EEES9_SG_JZNS1_25segmented_radix_sort_implINS0_14default_configELb0EPKiPiPKlPlN2at6native12_GLOBAL__N_18offset_tEEE10hipError_tPvRmT1_PNSt15iterator_traitsISY_E10value_typeET2_T3_PNSZ_IS14_E10value_typeET4_jRbjT5_S1A_jjP12ihipStream_tbEUljE_EEESV_SW_SX_S14_S18_S1A_T6_T7_T9_mT8_S1C_bDpT10_ENKUlT_T0_E_clISt17integral_constantIbLb0EES1P_EEDaS1K_S1L_EUlS1K_E_NS1_11comp_targetILNS1_3genE4ELNS1_11target_archE910ELNS1_3gpuE8ELNS1_3repE0EEENS1_30default_config_static_selectorELNS0_4arch9wavefront6targetE0EEEvSY_.uses_flat_scratch, 0
	.set _ZN7rocprim17ROCPRIM_400000_NS6detail17trampoline_kernelINS0_13select_configILj256ELj13ELNS0_17block_load_methodE3ELS4_3ELS4_3ELNS0_20block_scan_algorithmE0ELj4294967295EEENS1_25partition_config_selectorILNS1_17partition_subalgoE3EjNS0_10empty_typeEbEEZZNS1_14partition_implILS8_3ELb0ES6_jNS0_17counting_iteratorIjlEEPS9_SE_NS0_5tupleIJPjSE_EEENSF_IJSE_SE_EEES9_SG_JZNS1_25segmented_radix_sort_implINS0_14default_configELb0EPKiPiPKlPlN2at6native12_GLOBAL__N_18offset_tEEE10hipError_tPvRmT1_PNSt15iterator_traitsISY_E10value_typeET2_T3_PNSZ_IS14_E10value_typeET4_jRbjT5_S1A_jjP12ihipStream_tbEUljE_EEESV_SW_SX_S14_S18_S1A_T6_T7_T9_mT8_S1C_bDpT10_ENKUlT_T0_E_clISt17integral_constantIbLb0EES1P_EEDaS1K_S1L_EUlS1K_E_NS1_11comp_targetILNS1_3genE4ELNS1_11target_archE910ELNS1_3gpuE8ELNS1_3repE0EEENS1_30default_config_static_selectorELNS0_4arch9wavefront6targetE0EEEvSY_.has_dyn_sized_stack, 0
	.set _ZN7rocprim17ROCPRIM_400000_NS6detail17trampoline_kernelINS0_13select_configILj256ELj13ELNS0_17block_load_methodE3ELS4_3ELS4_3ELNS0_20block_scan_algorithmE0ELj4294967295EEENS1_25partition_config_selectorILNS1_17partition_subalgoE3EjNS0_10empty_typeEbEEZZNS1_14partition_implILS8_3ELb0ES6_jNS0_17counting_iteratorIjlEEPS9_SE_NS0_5tupleIJPjSE_EEENSF_IJSE_SE_EEES9_SG_JZNS1_25segmented_radix_sort_implINS0_14default_configELb0EPKiPiPKlPlN2at6native12_GLOBAL__N_18offset_tEEE10hipError_tPvRmT1_PNSt15iterator_traitsISY_E10value_typeET2_T3_PNSZ_IS14_E10value_typeET4_jRbjT5_S1A_jjP12ihipStream_tbEUljE_EEESV_SW_SX_S14_S18_S1A_T6_T7_T9_mT8_S1C_bDpT10_ENKUlT_T0_E_clISt17integral_constantIbLb0EES1P_EEDaS1K_S1L_EUlS1K_E_NS1_11comp_targetILNS1_3genE4ELNS1_11target_archE910ELNS1_3gpuE8ELNS1_3repE0EEENS1_30default_config_static_selectorELNS0_4arch9wavefront6targetE0EEEvSY_.has_recursion, 0
	.set _ZN7rocprim17ROCPRIM_400000_NS6detail17trampoline_kernelINS0_13select_configILj256ELj13ELNS0_17block_load_methodE3ELS4_3ELS4_3ELNS0_20block_scan_algorithmE0ELj4294967295EEENS1_25partition_config_selectorILNS1_17partition_subalgoE3EjNS0_10empty_typeEbEEZZNS1_14partition_implILS8_3ELb0ES6_jNS0_17counting_iteratorIjlEEPS9_SE_NS0_5tupleIJPjSE_EEENSF_IJSE_SE_EEES9_SG_JZNS1_25segmented_radix_sort_implINS0_14default_configELb0EPKiPiPKlPlN2at6native12_GLOBAL__N_18offset_tEEE10hipError_tPvRmT1_PNSt15iterator_traitsISY_E10value_typeET2_T3_PNSZ_IS14_E10value_typeET4_jRbjT5_S1A_jjP12ihipStream_tbEUljE_EEESV_SW_SX_S14_S18_S1A_T6_T7_T9_mT8_S1C_bDpT10_ENKUlT_T0_E_clISt17integral_constantIbLb0EES1P_EEDaS1K_S1L_EUlS1K_E_NS1_11comp_targetILNS1_3genE4ELNS1_11target_archE910ELNS1_3gpuE8ELNS1_3repE0EEENS1_30default_config_static_selectorELNS0_4arch9wavefront6targetE0EEEvSY_.has_indirect_call, 0
	.section	.AMDGPU.csdata,"",@progbits
; Kernel info:
; codeLenInByte = 0
; TotalNumSgprs: 0
; NumVgprs: 0
; ScratchSize: 0
; MemoryBound: 0
; FloatMode: 240
; IeeeMode: 1
; LDSByteSize: 0 bytes/workgroup (compile time only)
; SGPRBlocks: 0
; VGPRBlocks: 0
; NumSGPRsForWavesPerEU: 1
; NumVGPRsForWavesPerEU: 1
; Occupancy: 16
; WaveLimiterHint : 0
; COMPUTE_PGM_RSRC2:SCRATCH_EN: 0
; COMPUTE_PGM_RSRC2:USER_SGPR: 6
; COMPUTE_PGM_RSRC2:TRAP_HANDLER: 0
; COMPUTE_PGM_RSRC2:TGID_X_EN: 1
; COMPUTE_PGM_RSRC2:TGID_Y_EN: 0
; COMPUTE_PGM_RSRC2:TGID_Z_EN: 0
; COMPUTE_PGM_RSRC2:TIDIG_COMP_CNT: 0
	.section	.text._ZN7rocprim17ROCPRIM_400000_NS6detail17trampoline_kernelINS0_13select_configILj256ELj13ELNS0_17block_load_methodE3ELS4_3ELS4_3ELNS0_20block_scan_algorithmE0ELj4294967295EEENS1_25partition_config_selectorILNS1_17partition_subalgoE3EjNS0_10empty_typeEbEEZZNS1_14partition_implILS8_3ELb0ES6_jNS0_17counting_iteratorIjlEEPS9_SE_NS0_5tupleIJPjSE_EEENSF_IJSE_SE_EEES9_SG_JZNS1_25segmented_radix_sort_implINS0_14default_configELb0EPKiPiPKlPlN2at6native12_GLOBAL__N_18offset_tEEE10hipError_tPvRmT1_PNSt15iterator_traitsISY_E10value_typeET2_T3_PNSZ_IS14_E10value_typeET4_jRbjT5_S1A_jjP12ihipStream_tbEUljE_EEESV_SW_SX_S14_S18_S1A_T6_T7_T9_mT8_S1C_bDpT10_ENKUlT_T0_E_clISt17integral_constantIbLb0EES1P_EEDaS1K_S1L_EUlS1K_E_NS1_11comp_targetILNS1_3genE3ELNS1_11target_archE908ELNS1_3gpuE7ELNS1_3repE0EEENS1_30default_config_static_selectorELNS0_4arch9wavefront6targetE0EEEvSY_,"axG",@progbits,_ZN7rocprim17ROCPRIM_400000_NS6detail17trampoline_kernelINS0_13select_configILj256ELj13ELNS0_17block_load_methodE3ELS4_3ELS4_3ELNS0_20block_scan_algorithmE0ELj4294967295EEENS1_25partition_config_selectorILNS1_17partition_subalgoE3EjNS0_10empty_typeEbEEZZNS1_14partition_implILS8_3ELb0ES6_jNS0_17counting_iteratorIjlEEPS9_SE_NS0_5tupleIJPjSE_EEENSF_IJSE_SE_EEES9_SG_JZNS1_25segmented_radix_sort_implINS0_14default_configELb0EPKiPiPKlPlN2at6native12_GLOBAL__N_18offset_tEEE10hipError_tPvRmT1_PNSt15iterator_traitsISY_E10value_typeET2_T3_PNSZ_IS14_E10value_typeET4_jRbjT5_S1A_jjP12ihipStream_tbEUljE_EEESV_SW_SX_S14_S18_S1A_T6_T7_T9_mT8_S1C_bDpT10_ENKUlT_T0_E_clISt17integral_constantIbLb0EES1P_EEDaS1K_S1L_EUlS1K_E_NS1_11comp_targetILNS1_3genE3ELNS1_11target_archE908ELNS1_3gpuE7ELNS1_3repE0EEENS1_30default_config_static_selectorELNS0_4arch9wavefront6targetE0EEEvSY_,comdat
	.globl	_ZN7rocprim17ROCPRIM_400000_NS6detail17trampoline_kernelINS0_13select_configILj256ELj13ELNS0_17block_load_methodE3ELS4_3ELS4_3ELNS0_20block_scan_algorithmE0ELj4294967295EEENS1_25partition_config_selectorILNS1_17partition_subalgoE3EjNS0_10empty_typeEbEEZZNS1_14partition_implILS8_3ELb0ES6_jNS0_17counting_iteratorIjlEEPS9_SE_NS0_5tupleIJPjSE_EEENSF_IJSE_SE_EEES9_SG_JZNS1_25segmented_radix_sort_implINS0_14default_configELb0EPKiPiPKlPlN2at6native12_GLOBAL__N_18offset_tEEE10hipError_tPvRmT1_PNSt15iterator_traitsISY_E10value_typeET2_T3_PNSZ_IS14_E10value_typeET4_jRbjT5_S1A_jjP12ihipStream_tbEUljE_EEESV_SW_SX_S14_S18_S1A_T6_T7_T9_mT8_S1C_bDpT10_ENKUlT_T0_E_clISt17integral_constantIbLb0EES1P_EEDaS1K_S1L_EUlS1K_E_NS1_11comp_targetILNS1_3genE3ELNS1_11target_archE908ELNS1_3gpuE7ELNS1_3repE0EEENS1_30default_config_static_selectorELNS0_4arch9wavefront6targetE0EEEvSY_ ; -- Begin function _ZN7rocprim17ROCPRIM_400000_NS6detail17trampoline_kernelINS0_13select_configILj256ELj13ELNS0_17block_load_methodE3ELS4_3ELS4_3ELNS0_20block_scan_algorithmE0ELj4294967295EEENS1_25partition_config_selectorILNS1_17partition_subalgoE3EjNS0_10empty_typeEbEEZZNS1_14partition_implILS8_3ELb0ES6_jNS0_17counting_iteratorIjlEEPS9_SE_NS0_5tupleIJPjSE_EEENSF_IJSE_SE_EEES9_SG_JZNS1_25segmented_radix_sort_implINS0_14default_configELb0EPKiPiPKlPlN2at6native12_GLOBAL__N_18offset_tEEE10hipError_tPvRmT1_PNSt15iterator_traitsISY_E10value_typeET2_T3_PNSZ_IS14_E10value_typeET4_jRbjT5_S1A_jjP12ihipStream_tbEUljE_EEESV_SW_SX_S14_S18_S1A_T6_T7_T9_mT8_S1C_bDpT10_ENKUlT_T0_E_clISt17integral_constantIbLb0EES1P_EEDaS1K_S1L_EUlS1K_E_NS1_11comp_targetILNS1_3genE3ELNS1_11target_archE908ELNS1_3gpuE7ELNS1_3repE0EEENS1_30default_config_static_selectorELNS0_4arch9wavefront6targetE0EEEvSY_
	.p2align	8
	.type	_ZN7rocprim17ROCPRIM_400000_NS6detail17trampoline_kernelINS0_13select_configILj256ELj13ELNS0_17block_load_methodE3ELS4_3ELS4_3ELNS0_20block_scan_algorithmE0ELj4294967295EEENS1_25partition_config_selectorILNS1_17partition_subalgoE3EjNS0_10empty_typeEbEEZZNS1_14partition_implILS8_3ELb0ES6_jNS0_17counting_iteratorIjlEEPS9_SE_NS0_5tupleIJPjSE_EEENSF_IJSE_SE_EEES9_SG_JZNS1_25segmented_radix_sort_implINS0_14default_configELb0EPKiPiPKlPlN2at6native12_GLOBAL__N_18offset_tEEE10hipError_tPvRmT1_PNSt15iterator_traitsISY_E10value_typeET2_T3_PNSZ_IS14_E10value_typeET4_jRbjT5_S1A_jjP12ihipStream_tbEUljE_EEESV_SW_SX_S14_S18_S1A_T6_T7_T9_mT8_S1C_bDpT10_ENKUlT_T0_E_clISt17integral_constantIbLb0EES1P_EEDaS1K_S1L_EUlS1K_E_NS1_11comp_targetILNS1_3genE3ELNS1_11target_archE908ELNS1_3gpuE7ELNS1_3repE0EEENS1_30default_config_static_selectorELNS0_4arch9wavefront6targetE0EEEvSY_,@function
_ZN7rocprim17ROCPRIM_400000_NS6detail17trampoline_kernelINS0_13select_configILj256ELj13ELNS0_17block_load_methodE3ELS4_3ELS4_3ELNS0_20block_scan_algorithmE0ELj4294967295EEENS1_25partition_config_selectorILNS1_17partition_subalgoE3EjNS0_10empty_typeEbEEZZNS1_14partition_implILS8_3ELb0ES6_jNS0_17counting_iteratorIjlEEPS9_SE_NS0_5tupleIJPjSE_EEENSF_IJSE_SE_EEES9_SG_JZNS1_25segmented_radix_sort_implINS0_14default_configELb0EPKiPiPKlPlN2at6native12_GLOBAL__N_18offset_tEEE10hipError_tPvRmT1_PNSt15iterator_traitsISY_E10value_typeET2_T3_PNSZ_IS14_E10value_typeET4_jRbjT5_S1A_jjP12ihipStream_tbEUljE_EEESV_SW_SX_S14_S18_S1A_T6_T7_T9_mT8_S1C_bDpT10_ENKUlT_T0_E_clISt17integral_constantIbLb0EES1P_EEDaS1K_S1L_EUlS1K_E_NS1_11comp_targetILNS1_3genE3ELNS1_11target_archE908ELNS1_3gpuE7ELNS1_3repE0EEENS1_30default_config_static_selectorELNS0_4arch9wavefront6targetE0EEEvSY_: ; @_ZN7rocprim17ROCPRIM_400000_NS6detail17trampoline_kernelINS0_13select_configILj256ELj13ELNS0_17block_load_methodE3ELS4_3ELS4_3ELNS0_20block_scan_algorithmE0ELj4294967295EEENS1_25partition_config_selectorILNS1_17partition_subalgoE3EjNS0_10empty_typeEbEEZZNS1_14partition_implILS8_3ELb0ES6_jNS0_17counting_iteratorIjlEEPS9_SE_NS0_5tupleIJPjSE_EEENSF_IJSE_SE_EEES9_SG_JZNS1_25segmented_radix_sort_implINS0_14default_configELb0EPKiPiPKlPlN2at6native12_GLOBAL__N_18offset_tEEE10hipError_tPvRmT1_PNSt15iterator_traitsISY_E10value_typeET2_T3_PNSZ_IS14_E10value_typeET4_jRbjT5_S1A_jjP12ihipStream_tbEUljE_EEESV_SW_SX_S14_S18_S1A_T6_T7_T9_mT8_S1C_bDpT10_ENKUlT_T0_E_clISt17integral_constantIbLb0EES1P_EEDaS1K_S1L_EUlS1K_E_NS1_11comp_targetILNS1_3genE3ELNS1_11target_archE908ELNS1_3gpuE7ELNS1_3repE0EEENS1_30default_config_static_selectorELNS0_4arch9wavefront6targetE0EEEvSY_
; %bb.0:
	.section	.rodata,"a",@progbits
	.p2align	6, 0x0
	.amdhsa_kernel _ZN7rocprim17ROCPRIM_400000_NS6detail17trampoline_kernelINS0_13select_configILj256ELj13ELNS0_17block_load_methodE3ELS4_3ELS4_3ELNS0_20block_scan_algorithmE0ELj4294967295EEENS1_25partition_config_selectorILNS1_17partition_subalgoE3EjNS0_10empty_typeEbEEZZNS1_14partition_implILS8_3ELb0ES6_jNS0_17counting_iteratorIjlEEPS9_SE_NS0_5tupleIJPjSE_EEENSF_IJSE_SE_EEES9_SG_JZNS1_25segmented_radix_sort_implINS0_14default_configELb0EPKiPiPKlPlN2at6native12_GLOBAL__N_18offset_tEEE10hipError_tPvRmT1_PNSt15iterator_traitsISY_E10value_typeET2_T3_PNSZ_IS14_E10value_typeET4_jRbjT5_S1A_jjP12ihipStream_tbEUljE_EEESV_SW_SX_S14_S18_S1A_T6_T7_T9_mT8_S1C_bDpT10_ENKUlT_T0_E_clISt17integral_constantIbLb0EES1P_EEDaS1K_S1L_EUlS1K_E_NS1_11comp_targetILNS1_3genE3ELNS1_11target_archE908ELNS1_3gpuE7ELNS1_3repE0EEENS1_30default_config_static_selectorELNS0_4arch9wavefront6targetE0EEEvSY_
		.amdhsa_group_segment_fixed_size 0
		.amdhsa_private_segment_fixed_size 0
		.amdhsa_kernarg_size 144
		.amdhsa_user_sgpr_count 6
		.amdhsa_user_sgpr_private_segment_buffer 1
		.amdhsa_user_sgpr_dispatch_ptr 0
		.amdhsa_user_sgpr_queue_ptr 0
		.amdhsa_user_sgpr_kernarg_segment_ptr 1
		.amdhsa_user_sgpr_dispatch_id 0
		.amdhsa_user_sgpr_flat_scratch_init 0
		.amdhsa_user_sgpr_private_segment_size 0
		.amdhsa_wavefront_size32 1
		.amdhsa_uses_dynamic_stack 0
		.amdhsa_system_sgpr_private_segment_wavefront_offset 0
		.amdhsa_system_sgpr_workgroup_id_x 1
		.amdhsa_system_sgpr_workgroup_id_y 0
		.amdhsa_system_sgpr_workgroup_id_z 0
		.amdhsa_system_sgpr_workgroup_info 0
		.amdhsa_system_vgpr_workitem_id 0
		.amdhsa_next_free_vgpr 1
		.amdhsa_next_free_sgpr 1
		.amdhsa_reserve_vcc 0
		.amdhsa_reserve_flat_scratch 0
		.amdhsa_float_round_mode_32 0
		.amdhsa_float_round_mode_16_64 0
		.amdhsa_float_denorm_mode_32 3
		.amdhsa_float_denorm_mode_16_64 3
		.amdhsa_dx10_clamp 1
		.amdhsa_ieee_mode 1
		.amdhsa_fp16_overflow 0
		.amdhsa_workgroup_processor_mode 1
		.amdhsa_memory_ordered 1
		.amdhsa_forward_progress 1
		.amdhsa_shared_vgpr_count 0
		.amdhsa_exception_fp_ieee_invalid_op 0
		.amdhsa_exception_fp_denorm_src 0
		.amdhsa_exception_fp_ieee_div_zero 0
		.amdhsa_exception_fp_ieee_overflow 0
		.amdhsa_exception_fp_ieee_underflow 0
		.amdhsa_exception_fp_ieee_inexact 0
		.amdhsa_exception_int_div_zero 0
	.end_amdhsa_kernel
	.section	.text._ZN7rocprim17ROCPRIM_400000_NS6detail17trampoline_kernelINS0_13select_configILj256ELj13ELNS0_17block_load_methodE3ELS4_3ELS4_3ELNS0_20block_scan_algorithmE0ELj4294967295EEENS1_25partition_config_selectorILNS1_17partition_subalgoE3EjNS0_10empty_typeEbEEZZNS1_14partition_implILS8_3ELb0ES6_jNS0_17counting_iteratorIjlEEPS9_SE_NS0_5tupleIJPjSE_EEENSF_IJSE_SE_EEES9_SG_JZNS1_25segmented_radix_sort_implINS0_14default_configELb0EPKiPiPKlPlN2at6native12_GLOBAL__N_18offset_tEEE10hipError_tPvRmT1_PNSt15iterator_traitsISY_E10value_typeET2_T3_PNSZ_IS14_E10value_typeET4_jRbjT5_S1A_jjP12ihipStream_tbEUljE_EEESV_SW_SX_S14_S18_S1A_T6_T7_T9_mT8_S1C_bDpT10_ENKUlT_T0_E_clISt17integral_constantIbLb0EES1P_EEDaS1K_S1L_EUlS1K_E_NS1_11comp_targetILNS1_3genE3ELNS1_11target_archE908ELNS1_3gpuE7ELNS1_3repE0EEENS1_30default_config_static_selectorELNS0_4arch9wavefront6targetE0EEEvSY_,"axG",@progbits,_ZN7rocprim17ROCPRIM_400000_NS6detail17trampoline_kernelINS0_13select_configILj256ELj13ELNS0_17block_load_methodE3ELS4_3ELS4_3ELNS0_20block_scan_algorithmE0ELj4294967295EEENS1_25partition_config_selectorILNS1_17partition_subalgoE3EjNS0_10empty_typeEbEEZZNS1_14partition_implILS8_3ELb0ES6_jNS0_17counting_iteratorIjlEEPS9_SE_NS0_5tupleIJPjSE_EEENSF_IJSE_SE_EEES9_SG_JZNS1_25segmented_radix_sort_implINS0_14default_configELb0EPKiPiPKlPlN2at6native12_GLOBAL__N_18offset_tEEE10hipError_tPvRmT1_PNSt15iterator_traitsISY_E10value_typeET2_T3_PNSZ_IS14_E10value_typeET4_jRbjT5_S1A_jjP12ihipStream_tbEUljE_EEESV_SW_SX_S14_S18_S1A_T6_T7_T9_mT8_S1C_bDpT10_ENKUlT_T0_E_clISt17integral_constantIbLb0EES1P_EEDaS1K_S1L_EUlS1K_E_NS1_11comp_targetILNS1_3genE3ELNS1_11target_archE908ELNS1_3gpuE7ELNS1_3repE0EEENS1_30default_config_static_selectorELNS0_4arch9wavefront6targetE0EEEvSY_,comdat
.Lfunc_end566:
	.size	_ZN7rocprim17ROCPRIM_400000_NS6detail17trampoline_kernelINS0_13select_configILj256ELj13ELNS0_17block_load_methodE3ELS4_3ELS4_3ELNS0_20block_scan_algorithmE0ELj4294967295EEENS1_25partition_config_selectorILNS1_17partition_subalgoE3EjNS0_10empty_typeEbEEZZNS1_14partition_implILS8_3ELb0ES6_jNS0_17counting_iteratorIjlEEPS9_SE_NS0_5tupleIJPjSE_EEENSF_IJSE_SE_EEES9_SG_JZNS1_25segmented_radix_sort_implINS0_14default_configELb0EPKiPiPKlPlN2at6native12_GLOBAL__N_18offset_tEEE10hipError_tPvRmT1_PNSt15iterator_traitsISY_E10value_typeET2_T3_PNSZ_IS14_E10value_typeET4_jRbjT5_S1A_jjP12ihipStream_tbEUljE_EEESV_SW_SX_S14_S18_S1A_T6_T7_T9_mT8_S1C_bDpT10_ENKUlT_T0_E_clISt17integral_constantIbLb0EES1P_EEDaS1K_S1L_EUlS1K_E_NS1_11comp_targetILNS1_3genE3ELNS1_11target_archE908ELNS1_3gpuE7ELNS1_3repE0EEENS1_30default_config_static_selectorELNS0_4arch9wavefront6targetE0EEEvSY_, .Lfunc_end566-_ZN7rocprim17ROCPRIM_400000_NS6detail17trampoline_kernelINS0_13select_configILj256ELj13ELNS0_17block_load_methodE3ELS4_3ELS4_3ELNS0_20block_scan_algorithmE0ELj4294967295EEENS1_25partition_config_selectorILNS1_17partition_subalgoE3EjNS0_10empty_typeEbEEZZNS1_14partition_implILS8_3ELb0ES6_jNS0_17counting_iteratorIjlEEPS9_SE_NS0_5tupleIJPjSE_EEENSF_IJSE_SE_EEES9_SG_JZNS1_25segmented_radix_sort_implINS0_14default_configELb0EPKiPiPKlPlN2at6native12_GLOBAL__N_18offset_tEEE10hipError_tPvRmT1_PNSt15iterator_traitsISY_E10value_typeET2_T3_PNSZ_IS14_E10value_typeET4_jRbjT5_S1A_jjP12ihipStream_tbEUljE_EEESV_SW_SX_S14_S18_S1A_T6_T7_T9_mT8_S1C_bDpT10_ENKUlT_T0_E_clISt17integral_constantIbLb0EES1P_EEDaS1K_S1L_EUlS1K_E_NS1_11comp_targetILNS1_3genE3ELNS1_11target_archE908ELNS1_3gpuE7ELNS1_3repE0EEENS1_30default_config_static_selectorELNS0_4arch9wavefront6targetE0EEEvSY_
                                        ; -- End function
	.set _ZN7rocprim17ROCPRIM_400000_NS6detail17trampoline_kernelINS0_13select_configILj256ELj13ELNS0_17block_load_methodE3ELS4_3ELS4_3ELNS0_20block_scan_algorithmE0ELj4294967295EEENS1_25partition_config_selectorILNS1_17partition_subalgoE3EjNS0_10empty_typeEbEEZZNS1_14partition_implILS8_3ELb0ES6_jNS0_17counting_iteratorIjlEEPS9_SE_NS0_5tupleIJPjSE_EEENSF_IJSE_SE_EEES9_SG_JZNS1_25segmented_radix_sort_implINS0_14default_configELb0EPKiPiPKlPlN2at6native12_GLOBAL__N_18offset_tEEE10hipError_tPvRmT1_PNSt15iterator_traitsISY_E10value_typeET2_T3_PNSZ_IS14_E10value_typeET4_jRbjT5_S1A_jjP12ihipStream_tbEUljE_EEESV_SW_SX_S14_S18_S1A_T6_T7_T9_mT8_S1C_bDpT10_ENKUlT_T0_E_clISt17integral_constantIbLb0EES1P_EEDaS1K_S1L_EUlS1K_E_NS1_11comp_targetILNS1_3genE3ELNS1_11target_archE908ELNS1_3gpuE7ELNS1_3repE0EEENS1_30default_config_static_selectorELNS0_4arch9wavefront6targetE0EEEvSY_.num_vgpr, 0
	.set _ZN7rocprim17ROCPRIM_400000_NS6detail17trampoline_kernelINS0_13select_configILj256ELj13ELNS0_17block_load_methodE3ELS4_3ELS4_3ELNS0_20block_scan_algorithmE0ELj4294967295EEENS1_25partition_config_selectorILNS1_17partition_subalgoE3EjNS0_10empty_typeEbEEZZNS1_14partition_implILS8_3ELb0ES6_jNS0_17counting_iteratorIjlEEPS9_SE_NS0_5tupleIJPjSE_EEENSF_IJSE_SE_EEES9_SG_JZNS1_25segmented_radix_sort_implINS0_14default_configELb0EPKiPiPKlPlN2at6native12_GLOBAL__N_18offset_tEEE10hipError_tPvRmT1_PNSt15iterator_traitsISY_E10value_typeET2_T3_PNSZ_IS14_E10value_typeET4_jRbjT5_S1A_jjP12ihipStream_tbEUljE_EEESV_SW_SX_S14_S18_S1A_T6_T7_T9_mT8_S1C_bDpT10_ENKUlT_T0_E_clISt17integral_constantIbLb0EES1P_EEDaS1K_S1L_EUlS1K_E_NS1_11comp_targetILNS1_3genE3ELNS1_11target_archE908ELNS1_3gpuE7ELNS1_3repE0EEENS1_30default_config_static_selectorELNS0_4arch9wavefront6targetE0EEEvSY_.num_agpr, 0
	.set _ZN7rocprim17ROCPRIM_400000_NS6detail17trampoline_kernelINS0_13select_configILj256ELj13ELNS0_17block_load_methodE3ELS4_3ELS4_3ELNS0_20block_scan_algorithmE0ELj4294967295EEENS1_25partition_config_selectorILNS1_17partition_subalgoE3EjNS0_10empty_typeEbEEZZNS1_14partition_implILS8_3ELb0ES6_jNS0_17counting_iteratorIjlEEPS9_SE_NS0_5tupleIJPjSE_EEENSF_IJSE_SE_EEES9_SG_JZNS1_25segmented_radix_sort_implINS0_14default_configELb0EPKiPiPKlPlN2at6native12_GLOBAL__N_18offset_tEEE10hipError_tPvRmT1_PNSt15iterator_traitsISY_E10value_typeET2_T3_PNSZ_IS14_E10value_typeET4_jRbjT5_S1A_jjP12ihipStream_tbEUljE_EEESV_SW_SX_S14_S18_S1A_T6_T7_T9_mT8_S1C_bDpT10_ENKUlT_T0_E_clISt17integral_constantIbLb0EES1P_EEDaS1K_S1L_EUlS1K_E_NS1_11comp_targetILNS1_3genE3ELNS1_11target_archE908ELNS1_3gpuE7ELNS1_3repE0EEENS1_30default_config_static_selectorELNS0_4arch9wavefront6targetE0EEEvSY_.numbered_sgpr, 0
	.set _ZN7rocprim17ROCPRIM_400000_NS6detail17trampoline_kernelINS0_13select_configILj256ELj13ELNS0_17block_load_methodE3ELS4_3ELS4_3ELNS0_20block_scan_algorithmE0ELj4294967295EEENS1_25partition_config_selectorILNS1_17partition_subalgoE3EjNS0_10empty_typeEbEEZZNS1_14partition_implILS8_3ELb0ES6_jNS0_17counting_iteratorIjlEEPS9_SE_NS0_5tupleIJPjSE_EEENSF_IJSE_SE_EEES9_SG_JZNS1_25segmented_radix_sort_implINS0_14default_configELb0EPKiPiPKlPlN2at6native12_GLOBAL__N_18offset_tEEE10hipError_tPvRmT1_PNSt15iterator_traitsISY_E10value_typeET2_T3_PNSZ_IS14_E10value_typeET4_jRbjT5_S1A_jjP12ihipStream_tbEUljE_EEESV_SW_SX_S14_S18_S1A_T6_T7_T9_mT8_S1C_bDpT10_ENKUlT_T0_E_clISt17integral_constantIbLb0EES1P_EEDaS1K_S1L_EUlS1K_E_NS1_11comp_targetILNS1_3genE3ELNS1_11target_archE908ELNS1_3gpuE7ELNS1_3repE0EEENS1_30default_config_static_selectorELNS0_4arch9wavefront6targetE0EEEvSY_.num_named_barrier, 0
	.set _ZN7rocprim17ROCPRIM_400000_NS6detail17trampoline_kernelINS0_13select_configILj256ELj13ELNS0_17block_load_methodE3ELS4_3ELS4_3ELNS0_20block_scan_algorithmE0ELj4294967295EEENS1_25partition_config_selectorILNS1_17partition_subalgoE3EjNS0_10empty_typeEbEEZZNS1_14partition_implILS8_3ELb0ES6_jNS0_17counting_iteratorIjlEEPS9_SE_NS0_5tupleIJPjSE_EEENSF_IJSE_SE_EEES9_SG_JZNS1_25segmented_radix_sort_implINS0_14default_configELb0EPKiPiPKlPlN2at6native12_GLOBAL__N_18offset_tEEE10hipError_tPvRmT1_PNSt15iterator_traitsISY_E10value_typeET2_T3_PNSZ_IS14_E10value_typeET4_jRbjT5_S1A_jjP12ihipStream_tbEUljE_EEESV_SW_SX_S14_S18_S1A_T6_T7_T9_mT8_S1C_bDpT10_ENKUlT_T0_E_clISt17integral_constantIbLb0EES1P_EEDaS1K_S1L_EUlS1K_E_NS1_11comp_targetILNS1_3genE3ELNS1_11target_archE908ELNS1_3gpuE7ELNS1_3repE0EEENS1_30default_config_static_selectorELNS0_4arch9wavefront6targetE0EEEvSY_.private_seg_size, 0
	.set _ZN7rocprim17ROCPRIM_400000_NS6detail17trampoline_kernelINS0_13select_configILj256ELj13ELNS0_17block_load_methodE3ELS4_3ELS4_3ELNS0_20block_scan_algorithmE0ELj4294967295EEENS1_25partition_config_selectorILNS1_17partition_subalgoE3EjNS0_10empty_typeEbEEZZNS1_14partition_implILS8_3ELb0ES6_jNS0_17counting_iteratorIjlEEPS9_SE_NS0_5tupleIJPjSE_EEENSF_IJSE_SE_EEES9_SG_JZNS1_25segmented_radix_sort_implINS0_14default_configELb0EPKiPiPKlPlN2at6native12_GLOBAL__N_18offset_tEEE10hipError_tPvRmT1_PNSt15iterator_traitsISY_E10value_typeET2_T3_PNSZ_IS14_E10value_typeET4_jRbjT5_S1A_jjP12ihipStream_tbEUljE_EEESV_SW_SX_S14_S18_S1A_T6_T7_T9_mT8_S1C_bDpT10_ENKUlT_T0_E_clISt17integral_constantIbLb0EES1P_EEDaS1K_S1L_EUlS1K_E_NS1_11comp_targetILNS1_3genE3ELNS1_11target_archE908ELNS1_3gpuE7ELNS1_3repE0EEENS1_30default_config_static_selectorELNS0_4arch9wavefront6targetE0EEEvSY_.uses_vcc, 0
	.set _ZN7rocprim17ROCPRIM_400000_NS6detail17trampoline_kernelINS0_13select_configILj256ELj13ELNS0_17block_load_methodE3ELS4_3ELS4_3ELNS0_20block_scan_algorithmE0ELj4294967295EEENS1_25partition_config_selectorILNS1_17partition_subalgoE3EjNS0_10empty_typeEbEEZZNS1_14partition_implILS8_3ELb0ES6_jNS0_17counting_iteratorIjlEEPS9_SE_NS0_5tupleIJPjSE_EEENSF_IJSE_SE_EEES9_SG_JZNS1_25segmented_radix_sort_implINS0_14default_configELb0EPKiPiPKlPlN2at6native12_GLOBAL__N_18offset_tEEE10hipError_tPvRmT1_PNSt15iterator_traitsISY_E10value_typeET2_T3_PNSZ_IS14_E10value_typeET4_jRbjT5_S1A_jjP12ihipStream_tbEUljE_EEESV_SW_SX_S14_S18_S1A_T6_T7_T9_mT8_S1C_bDpT10_ENKUlT_T0_E_clISt17integral_constantIbLb0EES1P_EEDaS1K_S1L_EUlS1K_E_NS1_11comp_targetILNS1_3genE3ELNS1_11target_archE908ELNS1_3gpuE7ELNS1_3repE0EEENS1_30default_config_static_selectorELNS0_4arch9wavefront6targetE0EEEvSY_.uses_flat_scratch, 0
	.set _ZN7rocprim17ROCPRIM_400000_NS6detail17trampoline_kernelINS0_13select_configILj256ELj13ELNS0_17block_load_methodE3ELS4_3ELS4_3ELNS0_20block_scan_algorithmE0ELj4294967295EEENS1_25partition_config_selectorILNS1_17partition_subalgoE3EjNS0_10empty_typeEbEEZZNS1_14partition_implILS8_3ELb0ES6_jNS0_17counting_iteratorIjlEEPS9_SE_NS0_5tupleIJPjSE_EEENSF_IJSE_SE_EEES9_SG_JZNS1_25segmented_radix_sort_implINS0_14default_configELb0EPKiPiPKlPlN2at6native12_GLOBAL__N_18offset_tEEE10hipError_tPvRmT1_PNSt15iterator_traitsISY_E10value_typeET2_T3_PNSZ_IS14_E10value_typeET4_jRbjT5_S1A_jjP12ihipStream_tbEUljE_EEESV_SW_SX_S14_S18_S1A_T6_T7_T9_mT8_S1C_bDpT10_ENKUlT_T0_E_clISt17integral_constantIbLb0EES1P_EEDaS1K_S1L_EUlS1K_E_NS1_11comp_targetILNS1_3genE3ELNS1_11target_archE908ELNS1_3gpuE7ELNS1_3repE0EEENS1_30default_config_static_selectorELNS0_4arch9wavefront6targetE0EEEvSY_.has_dyn_sized_stack, 0
	.set _ZN7rocprim17ROCPRIM_400000_NS6detail17trampoline_kernelINS0_13select_configILj256ELj13ELNS0_17block_load_methodE3ELS4_3ELS4_3ELNS0_20block_scan_algorithmE0ELj4294967295EEENS1_25partition_config_selectorILNS1_17partition_subalgoE3EjNS0_10empty_typeEbEEZZNS1_14partition_implILS8_3ELb0ES6_jNS0_17counting_iteratorIjlEEPS9_SE_NS0_5tupleIJPjSE_EEENSF_IJSE_SE_EEES9_SG_JZNS1_25segmented_radix_sort_implINS0_14default_configELb0EPKiPiPKlPlN2at6native12_GLOBAL__N_18offset_tEEE10hipError_tPvRmT1_PNSt15iterator_traitsISY_E10value_typeET2_T3_PNSZ_IS14_E10value_typeET4_jRbjT5_S1A_jjP12ihipStream_tbEUljE_EEESV_SW_SX_S14_S18_S1A_T6_T7_T9_mT8_S1C_bDpT10_ENKUlT_T0_E_clISt17integral_constantIbLb0EES1P_EEDaS1K_S1L_EUlS1K_E_NS1_11comp_targetILNS1_3genE3ELNS1_11target_archE908ELNS1_3gpuE7ELNS1_3repE0EEENS1_30default_config_static_selectorELNS0_4arch9wavefront6targetE0EEEvSY_.has_recursion, 0
	.set _ZN7rocprim17ROCPRIM_400000_NS6detail17trampoline_kernelINS0_13select_configILj256ELj13ELNS0_17block_load_methodE3ELS4_3ELS4_3ELNS0_20block_scan_algorithmE0ELj4294967295EEENS1_25partition_config_selectorILNS1_17partition_subalgoE3EjNS0_10empty_typeEbEEZZNS1_14partition_implILS8_3ELb0ES6_jNS0_17counting_iteratorIjlEEPS9_SE_NS0_5tupleIJPjSE_EEENSF_IJSE_SE_EEES9_SG_JZNS1_25segmented_radix_sort_implINS0_14default_configELb0EPKiPiPKlPlN2at6native12_GLOBAL__N_18offset_tEEE10hipError_tPvRmT1_PNSt15iterator_traitsISY_E10value_typeET2_T3_PNSZ_IS14_E10value_typeET4_jRbjT5_S1A_jjP12ihipStream_tbEUljE_EEESV_SW_SX_S14_S18_S1A_T6_T7_T9_mT8_S1C_bDpT10_ENKUlT_T0_E_clISt17integral_constantIbLb0EES1P_EEDaS1K_S1L_EUlS1K_E_NS1_11comp_targetILNS1_3genE3ELNS1_11target_archE908ELNS1_3gpuE7ELNS1_3repE0EEENS1_30default_config_static_selectorELNS0_4arch9wavefront6targetE0EEEvSY_.has_indirect_call, 0
	.section	.AMDGPU.csdata,"",@progbits
; Kernel info:
; codeLenInByte = 0
; TotalNumSgprs: 0
; NumVgprs: 0
; ScratchSize: 0
; MemoryBound: 0
; FloatMode: 240
; IeeeMode: 1
; LDSByteSize: 0 bytes/workgroup (compile time only)
; SGPRBlocks: 0
; VGPRBlocks: 0
; NumSGPRsForWavesPerEU: 1
; NumVGPRsForWavesPerEU: 1
; Occupancy: 16
; WaveLimiterHint : 0
; COMPUTE_PGM_RSRC2:SCRATCH_EN: 0
; COMPUTE_PGM_RSRC2:USER_SGPR: 6
; COMPUTE_PGM_RSRC2:TRAP_HANDLER: 0
; COMPUTE_PGM_RSRC2:TGID_X_EN: 1
; COMPUTE_PGM_RSRC2:TGID_Y_EN: 0
; COMPUTE_PGM_RSRC2:TGID_Z_EN: 0
; COMPUTE_PGM_RSRC2:TIDIG_COMP_CNT: 0
	.section	.text._ZN7rocprim17ROCPRIM_400000_NS6detail17trampoline_kernelINS0_13select_configILj256ELj13ELNS0_17block_load_methodE3ELS4_3ELS4_3ELNS0_20block_scan_algorithmE0ELj4294967295EEENS1_25partition_config_selectorILNS1_17partition_subalgoE3EjNS0_10empty_typeEbEEZZNS1_14partition_implILS8_3ELb0ES6_jNS0_17counting_iteratorIjlEEPS9_SE_NS0_5tupleIJPjSE_EEENSF_IJSE_SE_EEES9_SG_JZNS1_25segmented_radix_sort_implINS0_14default_configELb0EPKiPiPKlPlN2at6native12_GLOBAL__N_18offset_tEEE10hipError_tPvRmT1_PNSt15iterator_traitsISY_E10value_typeET2_T3_PNSZ_IS14_E10value_typeET4_jRbjT5_S1A_jjP12ihipStream_tbEUljE_EEESV_SW_SX_S14_S18_S1A_T6_T7_T9_mT8_S1C_bDpT10_ENKUlT_T0_E_clISt17integral_constantIbLb0EES1P_EEDaS1K_S1L_EUlS1K_E_NS1_11comp_targetILNS1_3genE2ELNS1_11target_archE906ELNS1_3gpuE6ELNS1_3repE0EEENS1_30default_config_static_selectorELNS0_4arch9wavefront6targetE0EEEvSY_,"axG",@progbits,_ZN7rocprim17ROCPRIM_400000_NS6detail17trampoline_kernelINS0_13select_configILj256ELj13ELNS0_17block_load_methodE3ELS4_3ELS4_3ELNS0_20block_scan_algorithmE0ELj4294967295EEENS1_25partition_config_selectorILNS1_17partition_subalgoE3EjNS0_10empty_typeEbEEZZNS1_14partition_implILS8_3ELb0ES6_jNS0_17counting_iteratorIjlEEPS9_SE_NS0_5tupleIJPjSE_EEENSF_IJSE_SE_EEES9_SG_JZNS1_25segmented_radix_sort_implINS0_14default_configELb0EPKiPiPKlPlN2at6native12_GLOBAL__N_18offset_tEEE10hipError_tPvRmT1_PNSt15iterator_traitsISY_E10value_typeET2_T3_PNSZ_IS14_E10value_typeET4_jRbjT5_S1A_jjP12ihipStream_tbEUljE_EEESV_SW_SX_S14_S18_S1A_T6_T7_T9_mT8_S1C_bDpT10_ENKUlT_T0_E_clISt17integral_constantIbLb0EES1P_EEDaS1K_S1L_EUlS1K_E_NS1_11comp_targetILNS1_3genE2ELNS1_11target_archE906ELNS1_3gpuE6ELNS1_3repE0EEENS1_30default_config_static_selectorELNS0_4arch9wavefront6targetE0EEEvSY_,comdat
	.globl	_ZN7rocprim17ROCPRIM_400000_NS6detail17trampoline_kernelINS0_13select_configILj256ELj13ELNS0_17block_load_methodE3ELS4_3ELS4_3ELNS0_20block_scan_algorithmE0ELj4294967295EEENS1_25partition_config_selectorILNS1_17partition_subalgoE3EjNS0_10empty_typeEbEEZZNS1_14partition_implILS8_3ELb0ES6_jNS0_17counting_iteratorIjlEEPS9_SE_NS0_5tupleIJPjSE_EEENSF_IJSE_SE_EEES9_SG_JZNS1_25segmented_radix_sort_implINS0_14default_configELb0EPKiPiPKlPlN2at6native12_GLOBAL__N_18offset_tEEE10hipError_tPvRmT1_PNSt15iterator_traitsISY_E10value_typeET2_T3_PNSZ_IS14_E10value_typeET4_jRbjT5_S1A_jjP12ihipStream_tbEUljE_EEESV_SW_SX_S14_S18_S1A_T6_T7_T9_mT8_S1C_bDpT10_ENKUlT_T0_E_clISt17integral_constantIbLb0EES1P_EEDaS1K_S1L_EUlS1K_E_NS1_11comp_targetILNS1_3genE2ELNS1_11target_archE906ELNS1_3gpuE6ELNS1_3repE0EEENS1_30default_config_static_selectorELNS0_4arch9wavefront6targetE0EEEvSY_ ; -- Begin function _ZN7rocprim17ROCPRIM_400000_NS6detail17trampoline_kernelINS0_13select_configILj256ELj13ELNS0_17block_load_methodE3ELS4_3ELS4_3ELNS0_20block_scan_algorithmE0ELj4294967295EEENS1_25partition_config_selectorILNS1_17partition_subalgoE3EjNS0_10empty_typeEbEEZZNS1_14partition_implILS8_3ELb0ES6_jNS0_17counting_iteratorIjlEEPS9_SE_NS0_5tupleIJPjSE_EEENSF_IJSE_SE_EEES9_SG_JZNS1_25segmented_radix_sort_implINS0_14default_configELb0EPKiPiPKlPlN2at6native12_GLOBAL__N_18offset_tEEE10hipError_tPvRmT1_PNSt15iterator_traitsISY_E10value_typeET2_T3_PNSZ_IS14_E10value_typeET4_jRbjT5_S1A_jjP12ihipStream_tbEUljE_EEESV_SW_SX_S14_S18_S1A_T6_T7_T9_mT8_S1C_bDpT10_ENKUlT_T0_E_clISt17integral_constantIbLb0EES1P_EEDaS1K_S1L_EUlS1K_E_NS1_11comp_targetILNS1_3genE2ELNS1_11target_archE906ELNS1_3gpuE6ELNS1_3repE0EEENS1_30default_config_static_selectorELNS0_4arch9wavefront6targetE0EEEvSY_
	.p2align	8
	.type	_ZN7rocprim17ROCPRIM_400000_NS6detail17trampoline_kernelINS0_13select_configILj256ELj13ELNS0_17block_load_methodE3ELS4_3ELS4_3ELNS0_20block_scan_algorithmE0ELj4294967295EEENS1_25partition_config_selectorILNS1_17partition_subalgoE3EjNS0_10empty_typeEbEEZZNS1_14partition_implILS8_3ELb0ES6_jNS0_17counting_iteratorIjlEEPS9_SE_NS0_5tupleIJPjSE_EEENSF_IJSE_SE_EEES9_SG_JZNS1_25segmented_radix_sort_implINS0_14default_configELb0EPKiPiPKlPlN2at6native12_GLOBAL__N_18offset_tEEE10hipError_tPvRmT1_PNSt15iterator_traitsISY_E10value_typeET2_T3_PNSZ_IS14_E10value_typeET4_jRbjT5_S1A_jjP12ihipStream_tbEUljE_EEESV_SW_SX_S14_S18_S1A_T6_T7_T9_mT8_S1C_bDpT10_ENKUlT_T0_E_clISt17integral_constantIbLb0EES1P_EEDaS1K_S1L_EUlS1K_E_NS1_11comp_targetILNS1_3genE2ELNS1_11target_archE906ELNS1_3gpuE6ELNS1_3repE0EEENS1_30default_config_static_selectorELNS0_4arch9wavefront6targetE0EEEvSY_,@function
_ZN7rocprim17ROCPRIM_400000_NS6detail17trampoline_kernelINS0_13select_configILj256ELj13ELNS0_17block_load_methodE3ELS4_3ELS4_3ELNS0_20block_scan_algorithmE0ELj4294967295EEENS1_25partition_config_selectorILNS1_17partition_subalgoE3EjNS0_10empty_typeEbEEZZNS1_14partition_implILS8_3ELb0ES6_jNS0_17counting_iteratorIjlEEPS9_SE_NS0_5tupleIJPjSE_EEENSF_IJSE_SE_EEES9_SG_JZNS1_25segmented_radix_sort_implINS0_14default_configELb0EPKiPiPKlPlN2at6native12_GLOBAL__N_18offset_tEEE10hipError_tPvRmT1_PNSt15iterator_traitsISY_E10value_typeET2_T3_PNSZ_IS14_E10value_typeET4_jRbjT5_S1A_jjP12ihipStream_tbEUljE_EEESV_SW_SX_S14_S18_S1A_T6_T7_T9_mT8_S1C_bDpT10_ENKUlT_T0_E_clISt17integral_constantIbLb0EES1P_EEDaS1K_S1L_EUlS1K_E_NS1_11comp_targetILNS1_3genE2ELNS1_11target_archE906ELNS1_3gpuE6ELNS1_3repE0EEENS1_30default_config_static_selectorELNS0_4arch9wavefront6targetE0EEEvSY_: ; @_ZN7rocprim17ROCPRIM_400000_NS6detail17trampoline_kernelINS0_13select_configILj256ELj13ELNS0_17block_load_methodE3ELS4_3ELS4_3ELNS0_20block_scan_algorithmE0ELj4294967295EEENS1_25partition_config_selectorILNS1_17partition_subalgoE3EjNS0_10empty_typeEbEEZZNS1_14partition_implILS8_3ELb0ES6_jNS0_17counting_iteratorIjlEEPS9_SE_NS0_5tupleIJPjSE_EEENSF_IJSE_SE_EEES9_SG_JZNS1_25segmented_radix_sort_implINS0_14default_configELb0EPKiPiPKlPlN2at6native12_GLOBAL__N_18offset_tEEE10hipError_tPvRmT1_PNSt15iterator_traitsISY_E10value_typeET2_T3_PNSZ_IS14_E10value_typeET4_jRbjT5_S1A_jjP12ihipStream_tbEUljE_EEESV_SW_SX_S14_S18_S1A_T6_T7_T9_mT8_S1C_bDpT10_ENKUlT_T0_E_clISt17integral_constantIbLb0EES1P_EEDaS1K_S1L_EUlS1K_E_NS1_11comp_targetILNS1_3genE2ELNS1_11target_archE906ELNS1_3gpuE6ELNS1_3repE0EEENS1_30default_config_static_selectorELNS0_4arch9wavefront6targetE0EEEvSY_
; %bb.0:
	.section	.rodata,"a",@progbits
	.p2align	6, 0x0
	.amdhsa_kernel _ZN7rocprim17ROCPRIM_400000_NS6detail17trampoline_kernelINS0_13select_configILj256ELj13ELNS0_17block_load_methodE3ELS4_3ELS4_3ELNS0_20block_scan_algorithmE0ELj4294967295EEENS1_25partition_config_selectorILNS1_17partition_subalgoE3EjNS0_10empty_typeEbEEZZNS1_14partition_implILS8_3ELb0ES6_jNS0_17counting_iteratorIjlEEPS9_SE_NS0_5tupleIJPjSE_EEENSF_IJSE_SE_EEES9_SG_JZNS1_25segmented_radix_sort_implINS0_14default_configELb0EPKiPiPKlPlN2at6native12_GLOBAL__N_18offset_tEEE10hipError_tPvRmT1_PNSt15iterator_traitsISY_E10value_typeET2_T3_PNSZ_IS14_E10value_typeET4_jRbjT5_S1A_jjP12ihipStream_tbEUljE_EEESV_SW_SX_S14_S18_S1A_T6_T7_T9_mT8_S1C_bDpT10_ENKUlT_T0_E_clISt17integral_constantIbLb0EES1P_EEDaS1K_S1L_EUlS1K_E_NS1_11comp_targetILNS1_3genE2ELNS1_11target_archE906ELNS1_3gpuE6ELNS1_3repE0EEENS1_30default_config_static_selectorELNS0_4arch9wavefront6targetE0EEEvSY_
		.amdhsa_group_segment_fixed_size 0
		.amdhsa_private_segment_fixed_size 0
		.amdhsa_kernarg_size 144
		.amdhsa_user_sgpr_count 6
		.amdhsa_user_sgpr_private_segment_buffer 1
		.amdhsa_user_sgpr_dispatch_ptr 0
		.amdhsa_user_sgpr_queue_ptr 0
		.amdhsa_user_sgpr_kernarg_segment_ptr 1
		.amdhsa_user_sgpr_dispatch_id 0
		.amdhsa_user_sgpr_flat_scratch_init 0
		.amdhsa_user_sgpr_private_segment_size 0
		.amdhsa_wavefront_size32 1
		.amdhsa_uses_dynamic_stack 0
		.amdhsa_system_sgpr_private_segment_wavefront_offset 0
		.amdhsa_system_sgpr_workgroup_id_x 1
		.amdhsa_system_sgpr_workgroup_id_y 0
		.amdhsa_system_sgpr_workgroup_id_z 0
		.amdhsa_system_sgpr_workgroup_info 0
		.amdhsa_system_vgpr_workitem_id 0
		.amdhsa_next_free_vgpr 1
		.amdhsa_next_free_sgpr 1
		.amdhsa_reserve_vcc 0
		.amdhsa_reserve_flat_scratch 0
		.amdhsa_float_round_mode_32 0
		.amdhsa_float_round_mode_16_64 0
		.amdhsa_float_denorm_mode_32 3
		.amdhsa_float_denorm_mode_16_64 3
		.amdhsa_dx10_clamp 1
		.amdhsa_ieee_mode 1
		.amdhsa_fp16_overflow 0
		.amdhsa_workgroup_processor_mode 1
		.amdhsa_memory_ordered 1
		.amdhsa_forward_progress 1
		.amdhsa_shared_vgpr_count 0
		.amdhsa_exception_fp_ieee_invalid_op 0
		.amdhsa_exception_fp_denorm_src 0
		.amdhsa_exception_fp_ieee_div_zero 0
		.amdhsa_exception_fp_ieee_overflow 0
		.amdhsa_exception_fp_ieee_underflow 0
		.amdhsa_exception_fp_ieee_inexact 0
		.amdhsa_exception_int_div_zero 0
	.end_amdhsa_kernel
	.section	.text._ZN7rocprim17ROCPRIM_400000_NS6detail17trampoline_kernelINS0_13select_configILj256ELj13ELNS0_17block_load_methodE3ELS4_3ELS4_3ELNS0_20block_scan_algorithmE0ELj4294967295EEENS1_25partition_config_selectorILNS1_17partition_subalgoE3EjNS0_10empty_typeEbEEZZNS1_14partition_implILS8_3ELb0ES6_jNS0_17counting_iteratorIjlEEPS9_SE_NS0_5tupleIJPjSE_EEENSF_IJSE_SE_EEES9_SG_JZNS1_25segmented_radix_sort_implINS0_14default_configELb0EPKiPiPKlPlN2at6native12_GLOBAL__N_18offset_tEEE10hipError_tPvRmT1_PNSt15iterator_traitsISY_E10value_typeET2_T3_PNSZ_IS14_E10value_typeET4_jRbjT5_S1A_jjP12ihipStream_tbEUljE_EEESV_SW_SX_S14_S18_S1A_T6_T7_T9_mT8_S1C_bDpT10_ENKUlT_T0_E_clISt17integral_constantIbLb0EES1P_EEDaS1K_S1L_EUlS1K_E_NS1_11comp_targetILNS1_3genE2ELNS1_11target_archE906ELNS1_3gpuE6ELNS1_3repE0EEENS1_30default_config_static_selectorELNS0_4arch9wavefront6targetE0EEEvSY_,"axG",@progbits,_ZN7rocprim17ROCPRIM_400000_NS6detail17trampoline_kernelINS0_13select_configILj256ELj13ELNS0_17block_load_methodE3ELS4_3ELS4_3ELNS0_20block_scan_algorithmE0ELj4294967295EEENS1_25partition_config_selectorILNS1_17partition_subalgoE3EjNS0_10empty_typeEbEEZZNS1_14partition_implILS8_3ELb0ES6_jNS0_17counting_iteratorIjlEEPS9_SE_NS0_5tupleIJPjSE_EEENSF_IJSE_SE_EEES9_SG_JZNS1_25segmented_radix_sort_implINS0_14default_configELb0EPKiPiPKlPlN2at6native12_GLOBAL__N_18offset_tEEE10hipError_tPvRmT1_PNSt15iterator_traitsISY_E10value_typeET2_T3_PNSZ_IS14_E10value_typeET4_jRbjT5_S1A_jjP12ihipStream_tbEUljE_EEESV_SW_SX_S14_S18_S1A_T6_T7_T9_mT8_S1C_bDpT10_ENKUlT_T0_E_clISt17integral_constantIbLb0EES1P_EEDaS1K_S1L_EUlS1K_E_NS1_11comp_targetILNS1_3genE2ELNS1_11target_archE906ELNS1_3gpuE6ELNS1_3repE0EEENS1_30default_config_static_selectorELNS0_4arch9wavefront6targetE0EEEvSY_,comdat
.Lfunc_end567:
	.size	_ZN7rocprim17ROCPRIM_400000_NS6detail17trampoline_kernelINS0_13select_configILj256ELj13ELNS0_17block_load_methodE3ELS4_3ELS4_3ELNS0_20block_scan_algorithmE0ELj4294967295EEENS1_25partition_config_selectorILNS1_17partition_subalgoE3EjNS0_10empty_typeEbEEZZNS1_14partition_implILS8_3ELb0ES6_jNS0_17counting_iteratorIjlEEPS9_SE_NS0_5tupleIJPjSE_EEENSF_IJSE_SE_EEES9_SG_JZNS1_25segmented_radix_sort_implINS0_14default_configELb0EPKiPiPKlPlN2at6native12_GLOBAL__N_18offset_tEEE10hipError_tPvRmT1_PNSt15iterator_traitsISY_E10value_typeET2_T3_PNSZ_IS14_E10value_typeET4_jRbjT5_S1A_jjP12ihipStream_tbEUljE_EEESV_SW_SX_S14_S18_S1A_T6_T7_T9_mT8_S1C_bDpT10_ENKUlT_T0_E_clISt17integral_constantIbLb0EES1P_EEDaS1K_S1L_EUlS1K_E_NS1_11comp_targetILNS1_3genE2ELNS1_11target_archE906ELNS1_3gpuE6ELNS1_3repE0EEENS1_30default_config_static_selectorELNS0_4arch9wavefront6targetE0EEEvSY_, .Lfunc_end567-_ZN7rocprim17ROCPRIM_400000_NS6detail17trampoline_kernelINS0_13select_configILj256ELj13ELNS0_17block_load_methodE3ELS4_3ELS4_3ELNS0_20block_scan_algorithmE0ELj4294967295EEENS1_25partition_config_selectorILNS1_17partition_subalgoE3EjNS0_10empty_typeEbEEZZNS1_14partition_implILS8_3ELb0ES6_jNS0_17counting_iteratorIjlEEPS9_SE_NS0_5tupleIJPjSE_EEENSF_IJSE_SE_EEES9_SG_JZNS1_25segmented_radix_sort_implINS0_14default_configELb0EPKiPiPKlPlN2at6native12_GLOBAL__N_18offset_tEEE10hipError_tPvRmT1_PNSt15iterator_traitsISY_E10value_typeET2_T3_PNSZ_IS14_E10value_typeET4_jRbjT5_S1A_jjP12ihipStream_tbEUljE_EEESV_SW_SX_S14_S18_S1A_T6_T7_T9_mT8_S1C_bDpT10_ENKUlT_T0_E_clISt17integral_constantIbLb0EES1P_EEDaS1K_S1L_EUlS1K_E_NS1_11comp_targetILNS1_3genE2ELNS1_11target_archE906ELNS1_3gpuE6ELNS1_3repE0EEENS1_30default_config_static_selectorELNS0_4arch9wavefront6targetE0EEEvSY_
                                        ; -- End function
	.set _ZN7rocprim17ROCPRIM_400000_NS6detail17trampoline_kernelINS0_13select_configILj256ELj13ELNS0_17block_load_methodE3ELS4_3ELS4_3ELNS0_20block_scan_algorithmE0ELj4294967295EEENS1_25partition_config_selectorILNS1_17partition_subalgoE3EjNS0_10empty_typeEbEEZZNS1_14partition_implILS8_3ELb0ES6_jNS0_17counting_iteratorIjlEEPS9_SE_NS0_5tupleIJPjSE_EEENSF_IJSE_SE_EEES9_SG_JZNS1_25segmented_radix_sort_implINS0_14default_configELb0EPKiPiPKlPlN2at6native12_GLOBAL__N_18offset_tEEE10hipError_tPvRmT1_PNSt15iterator_traitsISY_E10value_typeET2_T3_PNSZ_IS14_E10value_typeET4_jRbjT5_S1A_jjP12ihipStream_tbEUljE_EEESV_SW_SX_S14_S18_S1A_T6_T7_T9_mT8_S1C_bDpT10_ENKUlT_T0_E_clISt17integral_constantIbLb0EES1P_EEDaS1K_S1L_EUlS1K_E_NS1_11comp_targetILNS1_3genE2ELNS1_11target_archE906ELNS1_3gpuE6ELNS1_3repE0EEENS1_30default_config_static_selectorELNS0_4arch9wavefront6targetE0EEEvSY_.num_vgpr, 0
	.set _ZN7rocprim17ROCPRIM_400000_NS6detail17trampoline_kernelINS0_13select_configILj256ELj13ELNS0_17block_load_methodE3ELS4_3ELS4_3ELNS0_20block_scan_algorithmE0ELj4294967295EEENS1_25partition_config_selectorILNS1_17partition_subalgoE3EjNS0_10empty_typeEbEEZZNS1_14partition_implILS8_3ELb0ES6_jNS0_17counting_iteratorIjlEEPS9_SE_NS0_5tupleIJPjSE_EEENSF_IJSE_SE_EEES9_SG_JZNS1_25segmented_radix_sort_implINS0_14default_configELb0EPKiPiPKlPlN2at6native12_GLOBAL__N_18offset_tEEE10hipError_tPvRmT1_PNSt15iterator_traitsISY_E10value_typeET2_T3_PNSZ_IS14_E10value_typeET4_jRbjT5_S1A_jjP12ihipStream_tbEUljE_EEESV_SW_SX_S14_S18_S1A_T6_T7_T9_mT8_S1C_bDpT10_ENKUlT_T0_E_clISt17integral_constantIbLb0EES1P_EEDaS1K_S1L_EUlS1K_E_NS1_11comp_targetILNS1_3genE2ELNS1_11target_archE906ELNS1_3gpuE6ELNS1_3repE0EEENS1_30default_config_static_selectorELNS0_4arch9wavefront6targetE0EEEvSY_.num_agpr, 0
	.set _ZN7rocprim17ROCPRIM_400000_NS6detail17trampoline_kernelINS0_13select_configILj256ELj13ELNS0_17block_load_methodE3ELS4_3ELS4_3ELNS0_20block_scan_algorithmE0ELj4294967295EEENS1_25partition_config_selectorILNS1_17partition_subalgoE3EjNS0_10empty_typeEbEEZZNS1_14partition_implILS8_3ELb0ES6_jNS0_17counting_iteratorIjlEEPS9_SE_NS0_5tupleIJPjSE_EEENSF_IJSE_SE_EEES9_SG_JZNS1_25segmented_radix_sort_implINS0_14default_configELb0EPKiPiPKlPlN2at6native12_GLOBAL__N_18offset_tEEE10hipError_tPvRmT1_PNSt15iterator_traitsISY_E10value_typeET2_T3_PNSZ_IS14_E10value_typeET4_jRbjT5_S1A_jjP12ihipStream_tbEUljE_EEESV_SW_SX_S14_S18_S1A_T6_T7_T9_mT8_S1C_bDpT10_ENKUlT_T0_E_clISt17integral_constantIbLb0EES1P_EEDaS1K_S1L_EUlS1K_E_NS1_11comp_targetILNS1_3genE2ELNS1_11target_archE906ELNS1_3gpuE6ELNS1_3repE0EEENS1_30default_config_static_selectorELNS0_4arch9wavefront6targetE0EEEvSY_.numbered_sgpr, 0
	.set _ZN7rocprim17ROCPRIM_400000_NS6detail17trampoline_kernelINS0_13select_configILj256ELj13ELNS0_17block_load_methodE3ELS4_3ELS4_3ELNS0_20block_scan_algorithmE0ELj4294967295EEENS1_25partition_config_selectorILNS1_17partition_subalgoE3EjNS0_10empty_typeEbEEZZNS1_14partition_implILS8_3ELb0ES6_jNS0_17counting_iteratorIjlEEPS9_SE_NS0_5tupleIJPjSE_EEENSF_IJSE_SE_EEES9_SG_JZNS1_25segmented_radix_sort_implINS0_14default_configELb0EPKiPiPKlPlN2at6native12_GLOBAL__N_18offset_tEEE10hipError_tPvRmT1_PNSt15iterator_traitsISY_E10value_typeET2_T3_PNSZ_IS14_E10value_typeET4_jRbjT5_S1A_jjP12ihipStream_tbEUljE_EEESV_SW_SX_S14_S18_S1A_T6_T7_T9_mT8_S1C_bDpT10_ENKUlT_T0_E_clISt17integral_constantIbLb0EES1P_EEDaS1K_S1L_EUlS1K_E_NS1_11comp_targetILNS1_3genE2ELNS1_11target_archE906ELNS1_3gpuE6ELNS1_3repE0EEENS1_30default_config_static_selectorELNS0_4arch9wavefront6targetE0EEEvSY_.num_named_barrier, 0
	.set _ZN7rocprim17ROCPRIM_400000_NS6detail17trampoline_kernelINS0_13select_configILj256ELj13ELNS0_17block_load_methodE3ELS4_3ELS4_3ELNS0_20block_scan_algorithmE0ELj4294967295EEENS1_25partition_config_selectorILNS1_17partition_subalgoE3EjNS0_10empty_typeEbEEZZNS1_14partition_implILS8_3ELb0ES6_jNS0_17counting_iteratorIjlEEPS9_SE_NS0_5tupleIJPjSE_EEENSF_IJSE_SE_EEES9_SG_JZNS1_25segmented_radix_sort_implINS0_14default_configELb0EPKiPiPKlPlN2at6native12_GLOBAL__N_18offset_tEEE10hipError_tPvRmT1_PNSt15iterator_traitsISY_E10value_typeET2_T3_PNSZ_IS14_E10value_typeET4_jRbjT5_S1A_jjP12ihipStream_tbEUljE_EEESV_SW_SX_S14_S18_S1A_T6_T7_T9_mT8_S1C_bDpT10_ENKUlT_T0_E_clISt17integral_constantIbLb0EES1P_EEDaS1K_S1L_EUlS1K_E_NS1_11comp_targetILNS1_3genE2ELNS1_11target_archE906ELNS1_3gpuE6ELNS1_3repE0EEENS1_30default_config_static_selectorELNS0_4arch9wavefront6targetE0EEEvSY_.private_seg_size, 0
	.set _ZN7rocprim17ROCPRIM_400000_NS6detail17trampoline_kernelINS0_13select_configILj256ELj13ELNS0_17block_load_methodE3ELS4_3ELS4_3ELNS0_20block_scan_algorithmE0ELj4294967295EEENS1_25partition_config_selectorILNS1_17partition_subalgoE3EjNS0_10empty_typeEbEEZZNS1_14partition_implILS8_3ELb0ES6_jNS0_17counting_iteratorIjlEEPS9_SE_NS0_5tupleIJPjSE_EEENSF_IJSE_SE_EEES9_SG_JZNS1_25segmented_radix_sort_implINS0_14default_configELb0EPKiPiPKlPlN2at6native12_GLOBAL__N_18offset_tEEE10hipError_tPvRmT1_PNSt15iterator_traitsISY_E10value_typeET2_T3_PNSZ_IS14_E10value_typeET4_jRbjT5_S1A_jjP12ihipStream_tbEUljE_EEESV_SW_SX_S14_S18_S1A_T6_T7_T9_mT8_S1C_bDpT10_ENKUlT_T0_E_clISt17integral_constantIbLb0EES1P_EEDaS1K_S1L_EUlS1K_E_NS1_11comp_targetILNS1_3genE2ELNS1_11target_archE906ELNS1_3gpuE6ELNS1_3repE0EEENS1_30default_config_static_selectorELNS0_4arch9wavefront6targetE0EEEvSY_.uses_vcc, 0
	.set _ZN7rocprim17ROCPRIM_400000_NS6detail17trampoline_kernelINS0_13select_configILj256ELj13ELNS0_17block_load_methodE3ELS4_3ELS4_3ELNS0_20block_scan_algorithmE0ELj4294967295EEENS1_25partition_config_selectorILNS1_17partition_subalgoE3EjNS0_10empty_typeEbEEZZNS1_14partition_implILS8_3ELb0ES6_jNS0_17counting_iteratorIjlEEPS9_SE_NS0_5tupleIJPjSE_EEENSF_IJSE_SE_EEES9_SG_JZNS1_25segmented_radix_sort_implINS0_14default_configELb0EPKiPiPKlPlN2at6native12_GLOBAL__N_18offset_tEEE10hipError_tPvRmT1_PNSt15iterator_traitsISY_E10value_typeET2_T3_PNSZ_IS14_E10value_typeET4_jRbjT5_S1A_jjP12ihipStream_tbEUljE_EEESV_SW_SX_S14_S18_S1A_T6_T7_T9_mT8_S1C_bDpT10_ENKUlT_T0_E_clISt17integral_constantIbLb0EES1P_EEDaS1K_S1L_EUlS1K_E_NS1_11comp_targetILNS1_3genE2ELNS1_11target_archE906ELNS1_3gpuE6ELNS1_3repE0EEENS1_30default_config_static_selectorELNS0_4arch9wavefront6targetE0EEEvSY_.uses_flat_scratch, 0
	.set _ZN7rocprim17ROCPRIM_400000_NS6detail17trampoline_kernelINS0_13select_configILj256ELj13ELNS0_17block_load_methodE3ELS4_3ELS4_3ELNS0_20block_scan_algorithmE0ELj4294967295EEENS1_25partition_config_selectorILNS1_17partition_subalgoE3EjNS0_10empty_typeEbEEZZNS1_14partition_implILS8_3ELb0ES6_jNS0_17counting_iteratorIjlEEPS9_SE_NS0_5tupleIJPjSE_EEENSF_IJSE_SE_EEES9_SG_JZNS1_25segmented_radix_sort_implINS0_14default_configELb0EPKiPiPKlPlN2at6native12_GLOBAL__N_18offset_tEEE10hipError_tPvRmT1_PNSt15iterator_traitsISY_E10value_typeET2_T3_PNSZ_IS14_E10value_typeET4_jRbjT5_S1A_jjP12ihipStream_tbEUljE_EEESV_SW_SX_S14_S18_S1A_T6_T7_T9_mT8_S1C_bDpT10_ENKUlT_T0_E_clISt17integral_constantIbLb0EES1P_EEDaS1K_S1L_EUlS1K_E_NS1_11comp_targetILNS1_3genE2ELNS1_11target_archE906ELNS1_3gpuE6ELNS1_3repE0EEENS1_30default_config_static_selectorELNS0_4arch9wavefront6targetE0EEEvSY_.has_dyn_sized_stack, 0
	.set _ZN7rocprim17ROCPRIM_400000_NS6detail17trampoline_kernelINS0_13select_configILj256ELj13ELNS0_17block_load_methodE3ELS4_3ELS4_3ELNS0_20block_scan_algorithmE0ELj4294967295EEENS1_25partition_config_selectorILNS1_17partition_subalgoE3EjNS0_10empty_typeEbEEZZNS1_14partition_implILS8_3ELb0ES6_jNS0_17counting_iteratorIjlEEPS9_SE_NS0_5tupleIJPjSE_EEENSF_IJSE_SE_EEES9_SG_JZNS1_25segmented_radix_sort_implINS0_14default_configELb0EPKiPiPKlPlN2at6native12_GLOBAL__N_18offset_tEEE10hipError_tPvRmT1_PNSt15iterator_traitsISY_E10value_typeET2_T3_PNSZ_IS14_E10value_typeET4_jRbjT5_S1A_jjP12ihipStream_tbEUljE_EEESV_SW_SX_S14_S18_S1A_T6_T7_T9_mT8_S1C_bDpT10_ENKUlT_T0_E_clISt17integral_constantIbLb0EES1P_EEDaS1K_S1L_EUlS1K_E_NS1_11comp_targetILNS1_3genE2ELNS1_11target_archE906ELNS1_3gpuE6ELNS1_3repE0EEENS1_30default_config_static_selectorELNS0_4arch9wavefront6targetE0EEEvSY_.has_recursion, 0
	.set _ZN7rocprim17ROCPRIM_400000_NS6detail17trampoline_kernelINS0_13select_configILj256ELj13ELNS0_17block_load_methodE3ELS4_3ELS4_3ELNS0_20block_scan_algorithmE0ELj4294967295EEENS1_25partition_config_selectorILNS1_17partition_subalgoE3EjNS0_10empty_typeEbEEZZNS1_14partition_implILS8_3ELb0ES6_jNS0_17counting_iteratorIjlEEPS9_SE_NS0_5tupleIJPjSE_EEENSF_IJSE_SE_EEES9_SG_JZNS1_25segmented_radix_sort_implINS0_14default_configELb0EPKiPiPKlPlN2at6native12_GLOBAL__N_18offset_tEEE10hipError_tPvRmT1_PNSt15iterator_traitsISY_E10value_typeET2_T3_PNSZ_IS14_E10value_typeET4_jRbjT5_S1A_jjP12ihipStream_tbEUljE_EEESV_SW_SX_S14_S18_S1A_T6_T7_T9_mT8_S1C_bDpT10_ENKUlT_T0_E_clISt17integral_constantIbLb0EES1P_EEDaS1K_S1L_EUlS1K_E_NS1_11comp_targetILNS1_3genE2ELNS1_11target_archE906ELNS1_3gpuE6ELNS1_3repE0EEENS1_30default_config_static_selectorELNS0_4arch9wavefront6targetE0EEEvSY_.has_indirect_call, 0
	.section	.AMDGPU.csdata,"",@progbits
; Kernel info:
; codeLenInByte = 0
; TotalNumSgprs: 0
; NumVgprs: 0
; ScratchSize: 0
; MemoryBound: 0
; FloatMode: 240
; IeeeMode: 1
; LDSByteSize: 0 bytes/workgroup (compile time only)
; SGPRBlocks: 0
; VGPRBlocks: 0
; NumSGPRsForWavesPerEU: 1
; NumVGPRsForWavesPerEU: 1
; Occupancy: 16
; WaveLimiterHint : 0
; COMPUTE_PGM_RSRC2:SCRATCH_EN: 0
; COMPUTE_PGM_RSRC2:USER_SGPR: 6
; COMPUTE_PGM_RSRC2:TRAP_HANDLER: 0
; COMPUTE_PGM_RSRC2:TGID_X_EN: 1
; COMPUTE_PGM_RSRC2:TGID_Y_EN: 0
; COMPUTE_PGM_RSRC2:TGID_Z_EN: 0
; COMPUTE_PGM_RSRC2:TIDIG_COMP_CNT: 0
	.section	.text._ZN7rocprim17ROCPRIM_400000_NS6detail17trampoline_kernelINS0_13select_configILj256ELj13ELNS0_17block_load_methodE3ELS4_3ELS4_3ELNS0_20block_scan_algorithmE0ELj4294967295EEENS1_25partition_config_selectorILNS1_17partition_subalgoE3EjNS0_10empty_typeEbEEZZNS1_14partition_implILS8_3ELb0ES6_jNS0_17counting_iteratorIjlEEPS9_SE_NS0_5tupleIJPjSE_EEENSF_IJSE_SE_EEES9_SG_JZNS1_25segmented_radix_sort_implINS0_14default_configELb0EPKiPiPKlPlN2at6native12_GLOBAL__N_18offset_tEEE10hipError_tPvRmT1_PNSt15iterator_traitsISY_E10value_typeET2_T3_PNSZ_IS14_E10value_typeET4_jRbjT5_S1A_jjP12ihipStream_tbEUljE_EEESV_SW_SX_S14_S18_S1A_T6_T7_T9_mT8_S1C_bDpT10_ENKUlT_T0_E_clISt17integral_constantIbLb0EES1P_EEDaS1K_S1L_EUlS1K_E_NS1_11comp_targetILNS1_3genE10ELNS1_11target_archE1200ELNS1_3gpuE4ELNS1_3repE0EEENS1_30default_config_static_selectorELNS0_4arch9wavefront6targetE0EEEvSY_,"axG",@progbits,_ZN7rocprim17ROCPRIM_400000_NS6detail17trampoline_kernelINS0_13select_configILj256ELj13ELNS0_17block_load_methodE3ELS4_3ELS4_3ELNS0_20block_scan_algorithmE0ELj4294967295EEENS1_25partition_config_selectorILNS1_17partition_subalgoE3EjNS0_10empty_typeEbEEZZNS1_14partition_implILS8_3ELb0ES6_jNS0_17counting_iteratorIjlEEPS9_SE_NS0_5tupleIJPjSE_EEENSF_IJSE_SE_EEES9_SG_JZNS1_25segmented_radix_sort_implINS0_14default_configELb0EPKiPiPKlPlN2at6native12_GLOBAL__N_18offset_tEEE10hipError_tPvRmT1_PNSt15iterator_traitsISY_E10value_typeET2_T3_PNSZ_IS14_E10value_typeET4_jRbjT5_S1A_jjP12ihipStream_tbEUljE_EEESV_SW_SX_S14_S18_S1A_T6_T7_T9_mT8_S1C_bDpT10_ENKUlT_T0_E_clISt17integral_constantIbLb0EES1P_EEDaS1K_S1L_EUlS1K_E_NS1_11comp_targetILNS1_3genE10ELNS1_11target_archE1200ELNS1_3gpuE4ELNS1_3repE0EEENS1_30default_config_static_selectorELNS0_4arch9wavefront6targetE0EEEvSY_,comdat
	.globl	_ZN7rocprim17ROCPRIM_400000_NS6detail17trampoline_kernelINS0_13select_configILj256ELj13ELNS0_17block_load_methodE3ELS4_3ELS4_3ELNS0_20block_scan_algorithmE0ELj4294967295EEENS1_25partition_config_selectorILNS1_17partition_subalgoE3EjNS0_10empty_typeEbEEZZNS1_14partition_implILS8_3ELb0ES6_jNS0_17counting_iteratorIjlEEPS9_SE_NS0_5tupleIJPjSE_EEENSF_IJSE_SE_EEES9_SG_JZNS1_25segmented_radix_sort_implINS0_14default_configELb0EPKiPiPKlPlN2at6native12_GLOBAL__N_18offset_tEEE10hipError_tPvRmT1_PNSt15iterator_traitsISY_E10value_typeET2_T3_PNSZ_IS14_E10value_typeET4_jRbjT5_S1A_jjP12ihipStream_tbEUljE_EEESV_SW_SX_S14_S18_S1A_T6_T7_T9_mT8_S1C_bDpT10_ENKUlT_T0_E_clISt17integral_constantIbLb0EES1P_EEDaS1K_S1L_EUlS1K_E_NS1_11comp_targetILNS1_3genE10ELNS1_11target_archE1200ELNS1_3gpuE4ELNS1_3repE0EEENS1_30default_config_static_selectorELNS0_4arch9wavefront6targetE0EEEvSY_ ; -- Begin function _ZN7rocprim17ROCPRIM_400000_NS6detail17trampoline_kernelINS0_13select_configILj256ELj13ELNS0_17block_load_methodE3ELS4_3ELS4_3ELNS0_20block_scan_algorithmE0ELj4294967295EEENS1_25partition_config_selectorILNS1_17partition_subalgoE3EjNS0_10empty_typeEbEEZZNS1_14partition_implILS8_3ELb0ES6_jNS0_17counting_iteratorIjlEEPS9_SE_NS0_5tupleIJPjSE_EEENSF_IJSE_SE_EEES9_SG_JZNS1_25segmented_radix_sort_implINS0_14default_configELb0EPKiPiPKlPlN2at6native12_GLOBAL__N_18offset_tEEE10hipError_tPvRmT1_PNSt15iterator_traitsISY_E10value_typeET2_T3_PNSZ_IS14_E10value_typeET4_jRbjT5_S1A_jjP12ihipStream_tbEUljE_EEESV_SW_SX_S14_S18_S1A_T6_T7_T9_mT8_S1C_bDpT10_ENKUlT_T0_E_clISt17integral_constantIbLb0EES1P_EEDaS1K_S1L_EUlS1K_E_NS1_11comp_targetILNS1_3genE10ELNS1_11target_archE1200ELNS1_3gpuE4ELNS1_3repE0EEENS1_30default_config_static_selectorELNS0_4arch9wavefront6targetE0EEEvSY_
	.p2align	8
	.type	_ZN7rocprim17ROCPRIM_400000_NS6detail17trampoline_kernelINS0_13select_configILj256ELj13ELNS0_17block_load_methodE3ELS4_3ELS4_3ELNS0_20block_scan_algorithmE0ELj4294967295EEENS1_25partition_config_selectorILNS1_17partition_subalgoE3EjNS0_10empty_typeEbEEZZNS1_14partition_implILS8_3ELb0ES6_jNS0_17counting_iteratorIjlEEPS9_SE_NS0_5tupleIJPjSE_EEENSF_IJSE_SE_EEES9_SG_JZNS1_25segmented_radix_sort_implINS0_14default_configELb0EPKiPiPKlPlN2at6native12_GLOBAL__N_18offset_tEEE10hipError_tPvRmT1_PNSt15iterator_traitsISY_E10value_typeET2_T3_PNSZ_IS14_E10value_typeET4_jRbjT5_S1A_jjP12ihipStream_tbEUljE_EEESV_SW_SX_S14_S18_S1A_T6_T7_T9_mT8_S1C_bDpT10_ENKUlT_T0_E_clISt17integral_constantIbLb0EES1P_EEDaS1K_S1L_EUlS1K_E_NS1_11comp_targetILNS1_3genE10ELNS1_11target_archE1200ELNS1_3gpuE4ELNS1_3repE0EEENS1_30default_config_static_selectorELNS0_4arch9wavefront6targetE0EEEvSY_,@function
_ZN7rocprim17ROCPRIM_400000_NS6detail17trampoline_kernelINS0_13select_configILj256ELj13ELNS0_17block_load_methodE3ELS4_3ELS4_3ELNS0_20block_scan_algorithmE0ELj4294967295EEENS1_25partition_config_selectorILNS1_17partition_subalgoE3EjNS0_10empty_typeEbEEZZNS1_14partition_implILS8_3ELb0ES6_jNS0_17counting_iteratorIjlEEPS9_SE_NS0_5tupleIJPjSE_EEENSF_IJSE_SE_EEES9_SG_JZNS1_25segmented_radix_sort_implINS0_14default_configELb0EPKiPiPKlPlN2at6native12_GLOBAL__N_18offset_tEEE10hipError_tPvRmT1_PNSt15iterator_traitsISY_E10value_typeET2_T3_PNSZ_IS14_E10value_typeET4_jRbjT5_S1A_jjP12ihipStream_tbEUljE_EEESV_SW_SX_S14_S18_S1A_T6_T7_T9_mT8_S1C_bDpT10_ENKUlT_T0_E_clISt17integral_constantIbLb0EES1P_EEDaS1K_S1L_EUlS1K_E_NS1_11comp_targetILNS1_3genE10ELNS1_11target_archE1200ELNS1_3gpuE4ELNS1_3repE0EEENS1_30default_config_static_selectorELNS0_4arch9wavefront6targetE0EEEvSY_: ; @_ZN7rocprim17ROCPRIM_400000_NS6detail17trampoline_kernelINS0_13select_configILj256ELj13ELNS0_17block_load_methodE3ELS4_3ELS4_3ELNS0_20block_scan_algorithmE0ELj4294967295EEENS1_25partition_config_selectorILNS1_17partition_subalgoE3EjNS0_10empty_typeEbEEZZNS1_14partition_implILS8_3ELb0ES6_jNS0_17counting_iteratorIjlEEPS9_SE_NS0_5tupleIJPjSE_EEENSF_IJSE_SE_EEES9_SG_JZNS1_25segmented_radix_sort_implINS0_14default_configELb0EPKiPiPKlPlN2at6native12_GLOBAL__N_18offset_tEEE10hipError_tPvRmT1_PNSt15iterator_traitsISY_E10value_typeET2_T3_PNSZ_IS14_E10value_typeET4_jRbjT5_S1A_jjP12ihipStream_tbEUljE_EEESV_SW_SX_S14_S18_S1A_T6_T7_T9_mT8_S1C_bDpT10_ENKUlT_T0_E_clISt17integral_constantIbLb0EES1P_EEDaS1K_S1L_EUlS1K_E_NS1_11comp_targetILNS1_3genE10ELNS1_11target_archE1200ELNS1_3gpuE4ELNS1_3repE0EEENS1_30default_config_static_selectorELNS0_4arch9wavefront6targetE0EEEvSY_
; %bb.0:
	.section	.rodata,"a",@progbits
	.p2align	6, 0x0
	.amdhsa_kernel _ZN7rocprim17ROCPRIM_400000_NS6detail17trampoline_kernelINS0_13select_configILj256ELj13ELNS0_17block_load_methodE3ELS4_3ELS4_3ELNS0_20block_scan_algorithmE0ELj4294967295EEENS1_25partition_config_selectorILNS1_17partition_subalgoE3EjNS0_10empty_typeEbEEZZNS1_14partition_implILS8_3ELb0ES6_jNS0_17counting_iteratorIjlEEPS9_SE_NS0_5tupleIJPjSE_EEENSF_IJSE_SE_EEES9_SG_JZNS1_25segmented_radix_sort_implINS0_14default_configELb0EPKiPiPKlPlN2at6native12_GLOBAL__N_18offset_tEEE10hipError_tPvRmT1_PNSt15iterator_traitsISY_E10value_typeET2_T3_PNSZ_IS14_E10value_typeET4_jRbjT5_S1A_jjP12ihipStream_tbEUljE_EEESV_SW_SX_S14_S18_S1A_T6_T7_T9_mT8_S1C_bDpT10_ENKUlT_T0_E_clISt17integral_constantIbLb0EES1P_EEDaS1K_S1L_EUlS1K_E_NS1_11comp_targetILNS1_3genE10ELNS1_11target_archE1200ELNS1_3gpuE4ELNS1_3repE0EEENS1_30default_config_static_selectorELNS0_4arch9wavefront6targetE0EEEvSY_
		.amdhsa_group_segment_fixed_size 0
		.amdhsa_private_segment_fixed_size 0
		.amdhsa_kernarg_size 144
		.amdhsa_user_sgpr_count 6
		.amdhsa_user_sgpr_private_segment_buffer 1
		.amdhsa_user_sgpr_dispatch_ptr 0
		.amdhsa_user_sgpr_queue_ptr 0
		.amdhsa_user_sgpr_kernarg_segment_ptr 1
		.amdhsa_user_sgpr_dispatch_id 0
		.amdhsa_user_sgpr_flat_scratch_init 0
		.amdhsa_user_sgpr_private_segment_size 0
		.amdhsa_wavefront_size32 1
		.amdhsa_uses_dynamic_stack 0
		.amdhsa_system_sgpr_private_segment_wavefront_offset 0
		.amdhsa_system_sgpr_workgroup_id_x 1
		.amdhsa_system_sgpr_workgroup_id_y 0
		.amdhsa_system_sgpr_workgroup_id_z 0
		.amdhsa_system_sgpr_workgroup_info 0
		.amdhsa_system_vgpr_workitem_id 0
		.amdhsa_next_free_vgpr 1
		.amdhsa_next_free_sgpr 1
		.amdhsa_reserve_vcc 0
		.amdhsa_reserve_flat_scratch 0
		.amdhsa_float_round_mode_32 0
		.amdhsa_float_round_mode_16_64 0
		.amdhsa_float_denorm_mode_32 3
		.amdhsa_float_denorm_mode_16_64 3
		.amdhsa_dx10_clamp 1
		.amdhsa_ieee_mode 1
		.amdhsa_fp16_overflow 0
		.amdhsa_workgroup_processor_mode 1
		.amdhsa_memory_ordered 1
		.amdhsa_forward_progress 1
		.amdhsa_shared_vgpr_count 0
		.amdhsa_exception_fp_ieee_invalid_op 0
		.amdhsa_exception_fp_denorm_src 0
		.amdhsa_exception_fp_ieee_div_zero 0
		.amdhsa_exception_fp_ieee_overflow 0
		.amdhsa_exception_fp_ieee_underflow 0
		.amdhsa_exception_fp_ieee_inexact 0
		.amdhsa_exception_int_div_zero 0
	.end_amdhsa_kernel
	.section	.text._ZN7rocprim17ROCPRIM_400000_NS6detail17trampoline_kernelINS0_13select_configILj256ELj13ELNS0_17block_load_methodE3ELS4_3ELS4_3ELNS0_20block_scan_algorithmE0ELj4294967295EEENS1_25partition_config_selectorILNS1_17partition_subalgoE3EjNS0_10empty_typeEbEEZZNS1_14partition_implILS8_3ELb0ES6_jNS0_17counting_iteratorIjlEEPS9_SE_NS0_5tupleIJPjSE_EEENSF_IJSE_SE_EEES9_SG_JZNS1_25segmented_radix_sort_implINS0_14default_configELb0EPKiPiPKlPlN2at6native12_GLOBAL__N_18offset_tEEE10hipError_tPvRmT1_PNSt15iterator_traitsISY_E10value_typeET2_T3_PNSZ_IS14_E10value_typeET4_jRbjT5_S1A_jjP12ihipStream_tbEUljE_EEESV_SW_SX_S14_S18_S1A_T6_T7_T9_mT8_S1C_bDpT10_ENKUlT_T0_E_clISt17integral_constantIbLb0EES1P_EEDaS1K_S1L_EUlS1K_E_NS1_11comp_targetILNS1_3genE10ELNS1_11target_archE1200ELNS1_3gpuE4ELNS1_3repE0EEENS1_30default_config_static_selectorELNS0_4arch9wavefront6targetE0EEEvSY_,"axG",@progbits,_ZN7rocprim17ROCPRIM_400000_NS6detail17trampoline_kernelINS0_13select_configILj256ELj13ELNS0_17block_load_methodE3ELS4_3ELS4_3ELNS0_20block_scan_algorithmE0ELj4294967295EEENS1_25partition_config_selectorILNS1_17partition_subalgoE3EjNS0_10empty_typeEbEEZZNS1_14partition_implILS8_3ELb0ES6_jNS0_17counting_iteratorIjlEEPS9_SE_NS0_5tupleIJPjSE_EEENSF_IJSE_SE_EEES9_SG_JZNS1_25segmented_radix_sort_implINS0_14default_configELb0EPKiPiPKlPlN2at6native12_GLOBAL__N_18offset_tEEE10hipError_tPvRmT1_PNSt15iterator_traitsISY_E10value_typeET2_T3_PNSZ_IS14_E10value_typeET4_jRbjT5_S1A_jjP12ihipStream_tbEUljE_EEESV_SW_SX_S14_S18_S1A_T6_T7_T9_mT8_S1C_bDpT10_ENKUlT_T0_E_clISt17integral_constantIbLb0EES1P_EEDaS1K_S1L_EUlS1K_E_NS1_11comp_targetILNS1_3genE10ELNS1_11target_archE1200ELNS1_3gpuE4ELNS1_3repE0EEENS1_30default_config_static_selectorELNS0_4arch9wavefront6targetE0EEEvSY_,comdat
.Lfunc_end568:
	.size	_ZN7rocprim17ROCPRIM_400000_NS6detail17trampoline_kernelINS0_13select_configILj256ELj13ELNS0_17block_load_methodE3ELS4_3ELS4_3ELNS0_20block_scan_algorithmE0ELj4294967295EEENS1_25partition_config_selectorILNS1_17partition_subalgoE3EjNS0_10empty_typeEbEEZZNS1_14partition_implILS8_3ELb0ES6_jNS0_17counting_iteratorIjlEEPS9_SE_NS0_5tupleIJPjSE_EEENSF_IJSE_SE_EEES9_SG_JZNS1_25segmented_radix_sort_implINS0_14default_configELb0EPKiPiPKlPlN2at6native12_GLOBAL__N_18offset_tEEE10hipError_tPvRmT1_PNSt15iterator_traitsISY_E10value_typeET2_T3_PNSZ_IS14_E10value_typeET4_jRbjT5_S1A_jjP12ihipStream_tbEUljE_EEESV_SW_SX_S14_S18_S1A_T6_T7_T9_mT8_S1C_bDpT10_ENKUlT_T0_E_clISt17integral_constantIbLb0EES1P_EEDaS1K_S1L_EUlS1K_E_NS1_11comp_targetILNS1_3genE10ELNS1_11target_archE1200ELNS1_3gpuE4ELNS1_3repE0EEENS1_30default_config_static_selectorELNS0_4arch9wavefront6targetE0EEEvSY_, .Lfunc_end568-_ZN7rocprim17ROCPRIM_400000_NS6detail17trampoline_kernelINS0_13select_configILj256ELj13ELNS0_17block_load_methodE3ELS4_3ELS4_3ELNS0_20block_scan_algorithmE0ELj4294967295EEENS1_25partition_config_selectorILNS1_17partition_subalgoE3EjNS0_10empty_typeEbEEZZNS1_14partition_implILS8_3ELb0ES6_jNS0_17counting_iteratorIjlEEPS9_SE_NS0_5tupleIJPjSE_EEENSF_IJSE_SE_EEES9_SG_JZNS1_25segmented_radix_sort_implINS0_14default_configELb0EPKiPiPKlPlN2at6native12_GLOBAL__N_18offset_tEEE10hipError_tPvRmT1_PNSt15iterator_traitsISY_E10value_typeET2_T3_PNSZ_IS14_E10value_typeET4_jRbjT5_S1A_jjP12ihipStream_tbEUljE_EEESV_SW_SX_S14_S18_S1A_T6_T7_T9_mT8_S1C_bDpT10_ENKUlT_T0_E_clISt17integral_constantIbLb0EES1P_EEDaS1K_S1L_EUlS1K_E_NS1_11comp_targetILNS1_3genE10ELNS1_11target_archE1200ELNS1_3gpuE4ELNS1_3repE0EEENS1_30default_config_static_selectorELNS0_4arch9wavefront6targetE0EEEvSY_
                                        ; -- End function
	.set _ZN7rocprim17ROCPRIM_400000_NS6detail17trampoline_kernelINS0_13select_configILj256ELj13ELNS0_17block_load_methodE3ELS4_3ELS4_3ELNS0_20block_scan_algorithmE0ELj4294967295EEENS1_25partition_config_selectorILNS1_17partition_subalgoE3EjNS0_10empty_typeEbEEZZNS1_14partition_implILS8_3ELb0ES6_jNS0_17counting_iteratorIjlEEPS9_SE_NS0_5tupleIJPjSE_EEENSF_IJSE_SE_EEES9_SG_JZNS1_25segmented_radix_sort_implINS0_14default_configELb0EPKiPiPKlPlN2at6native12_GLOBAL__N_18offset_tEEE10hipError_tPvRmT1_PNSt15iterator_traitsISY_E10value_typeET2_T3_PNSZ_IS14_E10value_typeET4_jRbjT5_S1A_jjP12ihipStream_tbEUljE_EEESV_SW_SX_S14_S18_S1A_T6_T7_T9_mT8_S1C_bDpT10_ENKUlT_T0_E_clISt17integral_constantIbLb0EES1P_EEDaS1K_S1L_EUlS1K_E_NS1_11comp_targetILNS1_3genE10ELNS1_11target_archE1200ELNS1_3gpuE4ELNS1_3repE0EEENS1_30default_config_static_selectorELNS0_4arch9wavefront6targetE0EEEvSY_.num_vgpr, 0
	.set _ZN7rocprim17ROCPRIM_400000_NS6detail17trampoline_kernelINS0_13select_configILj256ELj13ELNS0_17block_load_methodE3ELS4_3ELS4_3ELNS0_20block_scan_algorithmE0ELj4294967295EEENS1_25partition_config_selectorILNS1_17partition_subalgoE3EjNS0_10empty_typeEbEEZZNS1_14partition_implILS8_3ELb0ES6_jNS0_17counting_iteratorIjlEEPS9_SE_NS0_5tupleIJPjSE_EEENSF_IJSE_SE_EEES9_SG_JZNS1_25segmented_radix_sort_implINS0_14default_configELb0EPKiPiPKlPlN2at6native12_GLOBAL__N_18offset_tEEE10hipError_tPvRmT1_PNSt15iterator_traitsISY_E10value_typeET2_T3_PNSZ_IS14_E10value_typeET4_jRbjT5_S1A_jjP12ihipStream_tbEUljE_EEESV_SW_SX_S14_S18_S1A_T6_T7_T9_mT8_S1C_bDpT10_ENKUlT_T0_E_clISt17integral_constantIbLb0EES1P_EEDaS1K_S1L_EUlS1K_E_NS1_11comp_targetILNS1_3genE10ELNS1_11target_archE1200ELNS1_3gpuE4ELNS1_3repE0EEENS1_30default_config_static_selectorELNS0_4arch9wavefront6targetE0EEEvSY_.num_agpr, 0
	.set _ZN7rocprim17ROCPRIM_400000_NS6detail17trampoline_kernelINS0_13select_configILj256ELj13ELNS0_17block_load_methodE3ELS4_3ELS4_3ELNS0_20block_scan_algorithmE0ELj4294967295EEENS1_25partition_config_selectorILNS1_17partition_subalgoE3EjNS0_10empty_typeEbEEZZNS1_14partition_implILS8_3ELb0ES6_jNS0_17counting_iteratorIjlEEPS9_SE_NS0_5tupleIJPjSE_EEENSF_IJSE_SE_EEES9_SG_JZNS1_25segmented_radix_sort_implINS0_14default_configELb0EPKiPiPKlPlN2at6native12_GLOBAL__N_18offset_tEEE10hipError_tPvRmT1_PNSt15iterator_traitsISY_E10value_typeET2_T3_PNSZ_IS14_E10value_typeET4_jRbjT5_S1A_jjP12ihipStream_tbEUljE_EEESV_SW_SX_S14_S18_S1A_T6_T7_T9_mT8_S1C_bDpT10_ENKUlT_T0_E_clISt17integral_constantIbLb0EES1P_EEDaS1K_S1L_EUlS1K_E_NS1_11comp_targetILNS1_3genE10ELNS1_11target_archE1200ELNS1_3gpuE4ELNS1_3repE0EEENS1_30default_config_static_selectorELNS0_4arch9wavefront6targetE0EEEvSY_.numbered_sgpr, 0
	.set _ZN7rocprim17ROCPRIM_400000_NS6detail17trampoline_kernelINS0_13select_configILj256ELj13ELNS0_17block_load_methodE3ELS4_3ELS4_3ELNS0_20block_scan_algorithmE0ELj4294967295EEENS1_25partition_config_selectorILNS1_17partition_subalgoE3EjNS0_10empty_typeEbEEZZNS1_14partition_implILS8_3ELb0ES6_jNS0_17counting_iteratorIjlEEPS9_SE_NS0_5tupleIJPjSE_EEENSF_IJSE_SE_EEES9_SG_JZNS1_25segmented_radix_sort_implINS0_14default_configELb0EPKiPiPKlPlN2at6native12_GLOBAL__N_18offset_tEEE10hipError_tPvRmT1_PNSt15iterator_traitsISY_E10value_typeET2_T3_PNSZ_IS14_E10value_typeET4_jRbjT5_S1A_jjP12ihipStream_tbEUljE_EEESV_SW_SX_S14_S18_S1A_T6_T7_T9_mT8_S1C_bDpT10_ENKUlT_T0_E_clISt17integral_constantIbLb0EES1P_EEDaS1K_S1L_EUlS1K_E_NS1_11comp_targetILNS1_3genE10ELNS1_11target_archE1200ELNS1_3gpuE4ELNS1_3repE0EEENS1_30default_config_static_selectorELNS0_4arch9wavefront6targetE0EEEvSY_.num_named_barrier, 0
	.set _ZN7rocprim17ROCPRIM_400000_NS6detail17trampoline_kernelINS0_13select_configILj256ELj13ELNS0_17block_load_methodE3ELS4_3ELS4_3ELNS0_20block_scan_algorithmE0ELj4294967295EEENS1_25partition_config_selectorILNS1_17partition_subalgoE3EjNS0_10empty_typeEbEEZZNS1_14partition_implILS8_3ELb0ES6_jNS0_17counting_iteratorIjlEEPS9_SE_NS0_5tupleIJPjSE_EEENSF_IJSE_SE_EEES9_SG_JZNS1_25segmented_radix_sort_implINS0_14default_configELb0EPKiPiPKlPlN2at6native12_GLOBAL__N_18offset_tEEE10hipError_tPvRmT1_PNSt15iterator_traitsISY_E10value_typeET2_T3_PNSZ_IS14_E10value_typeET4_jRbjT5_S1A_jjP12ihipStream_tbEUljE_EEESV_SW_SX_S14_S18_S1A_T6_T7_T9_mT8_S1C_bDpT10_ENKUlT_T0_E_clISt17integral_constantIbLb0EES1P_EEDaS1K_S1L_EUlS1K_E_NS1_11comp_targetILNS1_3genE10ELNS1_11target_archE1200ELNS1_3gpuE4ELNS1_3repE0EEENS1_30default_config_static_selectorELNS0_4arch9wavefront6targetE0EEEvSY_.private_seg_size, 0
	.set _ZN7rocprim17ROCPRIM_400000_NS6detail17trampoline_kernelINS0_13select_configILj256ELj13ELNS0_17block_load_methodE3ELS4_3ELS4_3ELNS0_20block_scan_algorithmE0ELj4294967295EEENS1_25partition_config_selectorILNS1_17partition_subalgoE3EjNS0_10empty_typeEbEEZZNS1_14partition_implILS8_3ELb0ES6_jNS0_17counting_iteratorIjlEEPS9_SE_NS0_5tupleIJPjSE_EEENSF_IJSE_SE_EEES9_SG_JZNS1_25segmented_radix_sort_implINS0_14default_configELb0EPKiPiPKlPlN2at6native12_GLOBAL__N_18offset_tEEE10hipError_tPvRmT1_PNSt15iterator_traitsISY_E10value_typeET2_T3_PNSZ_IS14_E10value_typeET4_jRbjT5_S1A_jjP12ihipStream_tbEUljE_EEESV_SW_SX_S14_S18_S1A_T6_T7_T9_mT8_S1C_bDpT10_ENKUlT_T0_E_clISt17integral_constantIbLb0EES1P_EEDaS1K_S1L_EUlS1K_E_NS1_11comp_targetILNS1_3genE10ELNS1_11target_archE1200ELNS1_3gpuE4ELNS1_3repE0EEENS1_30default_config_static_selectorELNS0_4arch9wavefront6targetE0EEEvSY_.uses_vcc, 0
	.set _ZN7rocprim17ROCPRIM_400000_NS6detail17trampoline_kernelINS0_13select_configILj256ELj13ELNS0_17block_load_methodE3ELS4_3ELS4_3ELNS0_20block_scan_algorithmE0ELj4294967295EEENS1_25partition_config_selectorILNS1_17partition_subalgoE3EjNS0_10empty_typeEbEEZZNS1_14partition_implILS8_3ELb0ES6_jNS0_17counting_iteratorIjlEEPS9_SE_NS0_5tupleIJPjSE_EEENSF_IJSE_SE_EEES9_SG_JZNS1_25segmented_radix_sort_implINS0_14default_configELb0EPKiPiPKlPlN2at6native12_GLOBAL__N_18offset_tEEE10hipError_tPvRmT1_PNSt15iterator_traitsISY_E10value_typeET2_T3_PNSZ_IS14_E10value_typeET4_jRbjT5_S1A_jjP12ihipStream_tbEUljE_EEESV_SW_SX_S14_S18_S1A_T6_T7_T9_mT8_S1C_bDpT10_ENKUlT_T0_E_clISt17integral_constantIbLb0EES1P_EEDaS1K_S1L_EUlS1K_E_NS1_11comp_targetILNS1_3genE10ELNS1_11target_archE1200ELNS1_3gpuE4ELNS1_3repE0EEENS1_30default_config_static_selectorELNS0_4arch9wavefront6targetE0EEEvSY_.uses_flat_scratch, 0
	.set _ZN7rocprim17ROCPRIM_400000_NS6detail17trampoline_kernelINS0_13select_configILj256ELj13ELNS0_17block_load_methodE3ELS4_3ELS4_3ELNS0_20block_scan_algorithmE0ELj4294967295EEENS1_25partition_config_selectorILNS1_17partition_subalgoE3EjNS0_10empty_typeEbEEZZNS1_14partition_implILS8_3ELb0ES6_jNS0_17counting_iteratorIjlEEPS9_SE_NS0_5tupleIJPjSE_EEENSF_IJSE_SE_EEES9_SG_JZNS1_25segmented_radix_sort_implINS0_14default_configELb0EPKiPiPKlPlN2at6native12_GLOBAL__N_18offset_tEEE10hipError_tPvRmT1_PNSt15iterator_traitsISY_E10value_typeET2_T3_PNSZ_IS14_E10value_typeET4_jRbjT5_S1A_jjP12ihipStream_tbEUljE_EEESV_SW_SX_S14_S18_S1A_T6_T7_T9_mT8_S1C_bDpT10_ENKUlT_T0_E_clISt17integral_constantIbLb0EES1P_EEDaS1K_S1L_EUlS1K_E_NS1_11comp_targetILNS1_3genE10ELNS1_11target_archE1200ELNS1_3gpuE4ELNS1_3repE0EEENS1_30default_config_static_selectorELNS0_4arch9wavefront6targetE0EEEvSY_.has_dyn_sized_stack, 0
	.set _ZN7rocprim17ROCPRIM_400000_NS6detail17trampoline_kernelINS0_13select_configILj256ELj13ELNS0_17block_load_methodE3ELS4_3ELS4_3ELNS0_20block_scan_algorithmE0ELj4294967295EEENS1_25partition_config_selectorILNS1_17partition_subalgoE3EjNS0_10empty_typeEbEEZZNS1_14partition_implILS8_3ELb0ES6_jNS0_17counting_iteratorIjlEEPS9_SE_NS0_5tupleIJPjSE_EEENSF_IJSE_SE_EEES9_SG_JZNS1_25segmented_radix_sort_implINS0_14default_configELb0EPKiPiPKlPlN2at6native12_GLOBAL__N_18offset_tEEE10hipError_tPvRmT1_PNSt15iterator_traitsISY_E10value_typeET2_T3_PNSZ_IS14_E10value_typeET4_jRbjT5_S1A_jjP12ihipStream_tbEUljE_EEESV_SW_SX_S14_S18_S1A_T6_T7_T9_mT8_S1C_bDpT10_ENKUlT_T0_E_clISt17integral_constantIbLb0EES1P_EEDaS1K_S1L_EUlS1K_E_NS1_11comp_targetILNS1_3genE10ELNS1_11target_archE1200ELNS1_3gpuE4ELNS1_3repE0EEENS1_30default_config_static_selectorELNS0_4arch9wavefront6targetE0EEEvSY_.has_recursion, 0
	.set _ZN7rocprim17ROCPRIM_400000_NS6detail17trampoline_kernelINS0_13select_configILj256ELj13ELNS0_17block_load_methodE3ELS4_3ELS4_3ELNS0_20block_scan_algorithmE0ELj4294967295EEENS1_25partition_config_selectorILNS1_17partition_subalgoE3EjNS0_10empty_typeEbEEZZNS1_14partition_implILS8_3ELb0ES6_jNS0_17counting_iteratorIjlEEPS9_SE_NS0_5tupleIJPjSE_EEENSF_IJSE_SE_EEES9_SG_JZNS1_25segmented_radix_sort_implINS0_14default_configELb0EPKiPiPKlPlN2at6native12_GLOBAL__N_18offset_tEEE10hipError_tPvRmT1_PNSt15iterator_traitsISY_E10value_typeET2_T3_PNSZ_IS14_E10value_typeET4_jRbjT5_S1A_jjP12ihipStream_tbEUljE_EEESV_SW_SX_S14_S18_S1A_T6_T7_T9_mT8_S1C_bDpT10_ENKUlT_T0_E_clISt17integral_constantIbLb0EES1P_EEDaS1K_S1L_EUlS1K_E_NS1_11comp_targetILNS1_3genE10ELNS1_11target_archE1200ELNS1_3gpuE4ELNS1_3repE0EEENS1_30default_config_static_selectorELNS0_4arch9wavefront6targetE0EEEvSY_.has_indirect_call, 0
	.section	.AMDGPU.csdata,"",@progbits
; Kernel info:
; codeLenInByte = 0
; TotalNumSgprs: 0
; NumVgprs: 0
; ScratchSize: 0
; MemoryBound: 0
; FloatMode: 240
; IeeeMode: 1
; LDSByteSize: 0 bytes/workgroup (compile time only)
; SGPRBlocks: 0
; VGPRBlocks: 0
; NumSGPRsForWavesPerEU: 1
; NumVGPRsForWavesPerEU: 1
; Occupancy: 16
; WaveLimiterHint : 0
; COMPUTE_PGM_RSRC2:SCRATCH_EN: 0
; COMPUTE_PGM_RSRC2:USER_SGPR: 6
; COMPUTE_PGM_RSRC2:TRAP_HANDLER: 0
; COMPUTE_PGM_RSRC2:TGID_X_EN: 1
; COMPUTE_PGM_RSRC2:TGID_Y_EN: 0
; COMPUTE_PGM_RSRC2:TGID_Z_EN: 0
; COMPUTE_PGM_RSRC2:TIDIG_COMP_CNT: 0
	.section	.text._ZN7rocprim17ROCPRIM_400000_NS6detail17trampoline_kernelINS0_13select_configILj256ELj13ELNS0_17block_load_methodE3ELS4_3ELS4_3ELNS0_20block_scan_algorithmE0ELj4294967295EEENS1_25partition_config_selectorILNS1_17partition_subalgoE3EjNS0_10empty_typeEbEEZZNS1_14partition_implILS8_3ELb0ES6_jNS0_17counting_iteratorIjlEEPS9_SE_NS0_5tupleIJPjSE_EEENSF_IJSE_SE_EEES9_SG_JZNS1_25segmented_radix_sort_implINS0_14default_configELb0EPKiPiPKlPlN2at6native12_GLOBAL__N_18offset_tEEE10hipError_tPvRmT1_PNSt15iterator_traitsISY_E10value_typeET2_T3_PNSZ_IS14_E10value_typeET4_jRbjT5_S1A_jjP12ihipStream_tbEUljE_EEESV_SW_SX_S14_S18_S1A_T6_T7_T9_mT8_S1C_bDpT10_ENKUlT_T0_E_clISt17integral_constantIbLb0EES1P_EEDaS1K_S1L_EUlS1K_E_NS1_11comp_targetILNS1_3genE9ELNS1_11target_archE1100ELNS1_3gpuE3ELNS1_3repE0EEENS1_30default_config_static_selectorELNS0_4arch9wavefront6targetE0EEEvSY_,"axG",@progbits,_ZN7rocprim17ROCPRIM_400000_NS6detail17trampoline_kernelINS0_13select_configILj256ELj13ELNS0_17block_load_methodE3ELS4_3ELS4_3ELNS0_20block_scan_algorithmE0ELj4294967295EEENS1_25partition_config_selectorILNS1_17partition_subalgoE3EjNS0_10empty_typeEbEEZZNS1_14partition_implILS8_3ELb0ES6_jNS0_17counting_iteratorIjlEEPS9_SE_NS0_5tupleIJPjSE_EEENSF_IJSE_SE_EEES9_SG_JZNS1_25segmented_radix_sort_implINS0_14default_configELb0EPKiPiPKlPlN2at6native12_GLOBAL__N_18offset_tEEE10hipError_tPvRmT1_PNSt15iterator_traitsISY_E10value_typeET2_T3_PNSZ_IS14_E10value_typeET4_jRbjT5_S1A_jjP12ihipStream_tbEUljE_EEESV_SW_SX_S14_S18_S1A_T6_T7_T9_mT8_S1C_bDpT10_ENKUlT_T0_E_clISt17integral_constantIbLb0EES1P_EEDaS1K_S1L_EUlS1K_E_NS1_11comp_targetILNS1_3genE9ELNS1_11target_archE1100ELNS1_3gpuE3ELNS1_3repE0EEENS1_30default_config_static_selectorELNS0_4arch9wavefront6targetE0EEEvSY_,comdat
	.globl	_ZN7rocprim17ROCPRIM_400000_NS6detail17trampoline_kernelINS0_13select_configILj256ELj13ELNS0_17block_load_methodE3ELS4_3ELS4_3ELNS0_20block_scan_algorithmE0ELj4294967295EEENS1_25partition_config_selectorILNS1_17partition_subalgoE3EjNS0_10empty_typeEbEEZZNS1_14partition_implILS8_3ELb0ES6_jNS0_17counting_iteratorIjlEEPS9_SE_NS0_5tupleIJPjSE_EEENSF_IJSE_SE_EEES9_SG_JZNS1_25segmented_radix_sort_implINS0_14default_configELb0EPKiPiPKlPlN2at6native12_GLOBAL__N_18offset_tEEE10hipError_tPvRmT1_PNSt15iterator_traitsISY_E10value_typeET2_T3_PNSZ_IS14_E10value_typeET4_jRbjT5_S1A_jjP12ihipStream_tbEUljE_EEESV_SW_SX_S14_S18_S1A_T6_T7_T9_mT8_S1C_bDpT10_ENKUlT_T0_E_clISt17integral_constantIbLb0EES1P_EEDaS1K_S1L_EUlS1K_E_NS1_11comp_targetILNS1_3genE9ELNS1_11target_archE1100ELNS1_3gpuE3ELNS1_3repE0EEENS1_30default_config_static_selectorELNS0_4arch9wavefront6targetE0EEEvSY_ ; -- Begin function _ZN7rocprim17ROCPRIM_400000_NS6detail17trampoline_kernelINS0_13select_configILj256ELj13ELNS0_17block_load_methodE3ELS4_3ELS4_3ELNS0_20block_scan_algorithmE0ELj4294967295EEENS1_25partition_config_selectorILNS1_17partition_subalgoE3EjNS0_10empty_typeEbEEZZNS1_14partition_implILS8_3ELb0ES6_jNS0_17counting_iteratorIjlEEPS9_SE_NS0_5tupleIJPjSE_EEENSF_IJSE_SE_EEES9_SG_JZNS1_25segmented_radix_sort_implINS0_14default_configELb0EPKiPiPKlPlN2at6native12_GLOBAL__N_18offset_tEEE10hipError_tPvRmT1_PNSt15iterator_traitsISY_E10value_typeET2_T3_PNSZ_IS14_E10value_typeET4_jRbjT5_S1A_jjP12ihipStream_tbEUljE_EEESV_SW_SX_S14_S18_S1A_T6_T7_T9_mT8_S1C_bDpT10_ENKUlT_T0_E_clISt17integral_constantIbLb0EES1P_EEDaS1K_S1L_EUlS1K_E_NS1_11comp_targetILNS1_3genE9ELNS1_11target_archE1100ELNS1_3gpuE3ELNS1_3repE0EEENS1_30default_config_static_selectorELNS0_4arch9wavefront6targetE0EEEvSY_
	.p2align	8
	.type	_ZN7rocprim17ROCPRIM_400000_NS6detail17trampoline_kernelINS0_13select_configILj256ELj13ELNS0_17block_load_methodE3ELS4_3ELS4_3ELNS0_20block_scan_algorithmE0ELj4294967295EEENS1_25partition_config_selectorILNS1_17partition_subalgoE3EjNS0_10empty_typeEbEEZZNS1_14partition_implILS8_3ELb0ES6_jNS0_17counting_iteratorIjlEEPS9_SE_NS0_5tupleIJPjSE_EEENSF_IJSE_SE_EEES9_SG_JZNS1_25segmented_radix_sort_implINS0_14default_configELb0EPKiPiPKlPlN2at6native12_GLOBAL__N_18offset_tEEE10hipError_tPvRmT1_PNSt15iterator_traitsISY_E10value_typeET2_T3_PNSZ_IS14_E10value_typeET4_jRbjT5_S1A_jjP12ihipStream_tbEUljE_EEESV_SW_SX_S14_S18_S1A_T6_T7_T9_mT8_S1C_bDpT10_ENKUlT_T0_E_clISt17integral_constantIbLb0EES1P_EEDaS1K_S1L_EUlS1K_E_NS1_11comp_targetILNS1_3genE9ELNS1_11target_archE1100ELNS1_3gpuE3ELNS1_3repE0EEENS1_30default_config_static_selectorELNS0_4arch9wavefront6targetE0EEEvSY_,@function
_ZN7rocprim17ROCPRIM_400000_NS6detail17trampoline_kernelINS0_13select_configILj256ELj13ELNS0_17block_load_methodE3ELS4_3ELS4_3ELNS0_20block_scan_algorithmE0ELj4294967295EEENS1_25partition_config_selectorILNS1_17partition_subalgoE3EjNS0_10empty_typeEbEEZZNS1_14partition_implILS8_3ELb0ES6_jNS0_17counting_iteratorIjlEEPS9_SE_NS0_5tupleIJPjSE_EEENSF_IJSE_SE_EEES9_SG_JZNS1_25segmented_radix_sort_implINS0_14default_configELb0EPKiPiPKlPlN2at6native12_GLOBAL__N_18offset_tEEE10hipError_tPvRmT1_PNSt15iterator_traitsISY_E10value_typeET2_T3_PNSZ_IS14_E10value_typeET4_jRbjT5_S1A_jjP12ihipStream_tbEUljE_EEESV_SW_SX_S14_S18_S1A_T6_T7_T9_mT8_S1C_bDpT10_ENKUlT_T0_E_clISt17integral_constantIbLb0EES1P_EEDaS1K_S1L_EUlS1K_E_NS1_11comp_targetILNS1_3genE9ELNS1_11target_archE1100ELNS1_3gpuE3ELNS1_3repE0EEENS1_30default_config_static_selectorELNS0_4arch9wavefront6targetE0EEEvSY_: ; @_ZN7rocprim17ROCPRIM_400000_NS6detail17trampoline_kernelINS0_13select_configILj256ELj13ELNS0_17block_load_methodE3ELS4_3ELS4_3ELNS0_20block_scan_algorithmE0ELj4294967295EEENS1_25partition_config_selectorILNS1_17partition_subalgoE3EjNS0_10empty_typeEbEEZZNS1_14partition_implILS8_3ELb0ES6_jNS0_17counting_iteratorIjlEEPS9_SE_NS0_5tupleIJPjSE_EEENSF_IJSE_SE_EEES9_SG_JZNS1_25segmented_radix_sort_implINS0_14default_configELb0EPKiPiPKlPlN2at6native12_GLOBAL__N_18offset_tEEE10hipError_tPvRmT1_PNSt15iterator_traitsISY_E10value_typeET2_T3_PNSZ_IS14_E10value_typeET4_jRbjT5_S1A_jjP12ihipStream_tbEUljE_EEESV_SW_SX_S14_S18_S1A_T6_T7_T9_mT8_S1C_bDpT10_ENKUlT_T0_E_clISt17integral_constantIbLb0EES1P_EEDaS1K_S1L_EUlS1K_E_NS1_11comp_targetILNS1_3genE9ELNS1_11target_archE1100ELNS1_3gpuE3ELNS1_3repE0EEENS1_30default_config_static_selectorELNS0_4arch9wavefront6targetE0EEEvSY_
; %bb.0:
	.section	.rodata,"a",@progbits
	.p2align	6, 0x0
	.amdhsa_kernel _ZN7rocprim17ROCPRIM_400000_NS6detail17trampoline_kernelINS0_13select_configILj256ELj13ELNS0_17block_load_methodE3ELS4_3ELS4_3ELNS0_20block_scan_algorithmE0ELj4294967295EEENS1_25partition_config_selectorILNS1_17partition_subalgoE3EjNS0_10empty_typeEbEEZZNS1_14partition_implILS8_3ELb0ES6_jNS0_17counting_iteratorIjlEEPS9_SE_NS0_5tupleIJPjSE_EEENSF_IJSE_SE_EEES9_SG_JZNS1_25segmented_radix_sort_implINS0_14default_configELb0EPKiPiPKlPlN2at6native12_GLOBAL__N_18offset_tEEE10hipError_tPvRmT1_PNSt15iterator_traitsISY_E10value_typeET2_T3_PNSZ_IS14_E10value_typeET4_jRbjT5_S1A_jjP12ihipStream_tbEUljE_EEESV_SW_SX_S14_S18_S1A_T6_T7_T9_mT8_S1C_bDpT10_ENKUlT_T0_E_clISt17integral_constantIbLb0EES1P_EEDaS1K_S1L_EUlS1K_E_NS1_11comp_targetILNS1_3genE9ELNS1_11target_archE1100ELNS1_3gpuE3ELNS1_3repE0EEENS1_30default_config_static_selectorELNS0_4arch9wavefront6targetE0EEEvSY_
		.amdhsa_group_segment_fixed_size 0
		.amdhsa_private_segment_fixed_size 0
		.amdhsa_kernarg_size 144
		.amdhsa_user_sgpr_count 6
		.amdhsa_user_sgpr_private_segment_buffer 1
		.amdhsa_user_sgpr_dispatch_ptr 0
		.amdhsa_user_sgpr_queue_ptr 0
		.amdhsa_user_sgpr_kernarg_segment_ptr 1
		.amdhsa_user_sgpr_dispatch_id 0
		.amdhsa_user_sgpr_flat_scratch_init 0
		.amdhsa_user_sgpr_private_segment_size 0
		.amdhsa_wavefront_size32 1
		.amdhsa_uses_dynamic_stack 0
		.amdhsa_system_sgpr_private_segment_wavefront_offset 0
		.amdhsa_system_sgpr_workgroup_id_x 1
		.amdhsa_system_sgpr_workgroup_id_y 0
		.amdhsa_system_sgpr_workgroup_id_z 0
		.amdhsa_system_sgpr_workgroup_info 0
		.amdhsa_system_vgpr_workitem_id 0
		.amdhsa_next_free_vgpr 1
		.amdhsa_next_free_sgpr 1
		.amdhsa_reserve_vcc 0
		.amdhsa_reserve_flat_scratch 0
		.amdhsa_float_round_mode_32 0
		.amdhsa_float_round_mode_16_64 0
		.amdhsa_float_denorm_mode_32 3
		.amdhsa_float_denorm_mode_16_64 3
		.amdhsa_dx10_clamp 1
		.amdhsa_ieee_mode 1
		.amdhsa_fp16_overflow 0
		.amdhsa_workgroup_processor_mode 1
		.amdhsa_memory_ordered 1
		.amdhsa_forward_progress 1
		.amdhsa_shared_vgpr_count 0
		.amdhsa_exception_fp_ieee_invalid_op 0
		.amdhsa_exception_fp_denorm_src 0
		.amdhsa_exception_fp_ieee_div_zero 0
		.amdhsa_exception_fp_ieee_overflow 0
		.amdhsa_exception_fp_ieee_underflow 0
		.amdhsa_exception_fp_ieee_inexact 0
		.amdhsa_exception_int_div_zero 0
	.end_amdhsa_kernel
	.section	.text._ZN7rocprim17ROCPRIM_400000_NS6detail17trampoline_kernelINS0_13select_configILj256ELj13ELNS0_17block_load_methodE3ELS4_3ELS4_3ELNS0_20block_scan_algorithmE0ELj4294967295EEENS1_25partition_config_selectorILNS1_17partition_subalgoE3EjNS0_10empty_typeEbEEZZNS1_14partition_implILS8_3ELb0ES6_jNS0_17counting_iteratorIjlEEPS9_SE_NS0_5tupleIJPjSE_EEENSF_IJSE_SE_EEES9_SG_JZNS1_25segmented_radix_sort_implINS0_14default_configELb0EPKiPiPKlPlN2at6native12_GLOBAL__N_18offset_tEEE10hipError_tPvRmT1_PNSt15iterator_traitsISY_E10value_typeET2_T3_PNSZ_IS14_E10value_typeET4_jRbjT5_S1A_jjP12ihipStream_tbEUljE_EEESV_SW_SX_S14_S18_S1A_T6_T7_T9_mT8_S1C_bDpT10_ENKUlT_T0_E_clISt17integral_constantIbLb0EES1P_EEDaS1K_S1L_EUlS1K_E_NS1_11comp_targetILNS1_3genE9ELNS1_11target_archE1100ELNS1_3gpuE3ELNS1_3repE0EEENS1_30default_config_static_selectorELNS0_4arch9wavefront6targetE0EEEvSY_,"axG",@progbits,_ZN7rocprim17ROCPRIM_400000_NS6detail17trampoline_kernelINS0_13select_configILj256ELj13ELNS0_17block_load_methodE3ELS4_3ELS4_3ELNS0_20block_scan_algorithmE0ELj4294967295EEENS1_25partition_config_selectorILNS1_17partition_subalgoE3EjNS0_10empty_typeEbEEZZNS1_14partition_implILS8_3ELb0ES6_jNS0_17counting_iteratorIjlEEPS9_SE_NS0_5tupleIJPjSE_EEENSF_IJSE_SE_EEES9_SG_JZNS1_25segmented_radix_sort_implINS0_14default_configELb0EPKiPiPKlPlN2at6native12_GLOBAL__N_18offset_tEEE10hipError_tPvRmT1_PNSt15iterator_traitsISY_E10value_typeET2_T3_PNSZ_IS14_E10value_typeET4_jRbjT5_S1A_jjP12ihipStream_tbEUljE_EEESV_SW_SX_S14_S18_S1A_T6_T7_T9_mT8_S1C_bDpT10_ENKUlT_T0_E_clISt17integral_constantIbLb0EES1P_EEDaS1K_S1L_EUlS1K_E_NS1_11comp_targetILNS1_3genE9ELNS1_11target_archE1100ELNS1_3gpuE3ELNS1_3repE0EEENS1_30default_config_static_selectorELNS0_4arch9wavefront6targetE0EEEvSY_,comdat
.Lfunc_end569:
	.size	_ZN7rocprim17ROCPRIM_400000_NS6detail17trampoline_kernelINS0_13select_configILj256ELj13ELNS0_17block_load_methodE3ELS4_3ELS4_3ELNS0_20block_scan_algorithmE0ELj4294967295EEENS1_25partition_config_selectorILNS1_17partition_subalgoE3EjNS0_10empty_typeEbEEZZNS1_14partition_implILS8_3ELb0ES6_jNS0_17counting_iteratorIjlEEPS9_SE_NS0_5tupleIJPjSE_EEENSF_IJSE_SE_EEES9_SG_JZNS1_25segmented_radix_sort_implINS0_14default_configELb0EPKiPiPKlPlN2at6native12_GLOBAL__N_18offset_tEEE10hipError_tPvRmT1_PNSt15iterator_traitsISY_E10value_typeET2_T3_PNSZ_IS14_E10value_typeET4_jRbjT5_S1A_jjP12ihipStream_tbEUljE_EEESV_SW_SX_S14_S18_S1A_T6_T7_T9_mT8_S1C_bDpT10_ENKUlT_T0_E_clISt17integral_constantIbLb0EES1P_EEDaS1K_S1L_EUlS1K_E_NS1_11comp_targetILNS1_3genE9ELNS1_11target_archE1100ELNS1_3gpuE3ELNS1_3repE0EEENS1_30default_config_static_selectorELNS0_4arch9wavefront6targetE0EEEvSY_, .Lfunc_end569-_ZN7rocprim17ROCPRIM_400000_NS6detail17trampoline_kernelINS0_13select_configILj256ELj13ELNS0_17block_load_methodE3ELS4_3ELS4_3ELNS0_20block_scan_algorithmE0ELj4294967295EEENS1_25partition_config_selectorILNS1_17partition_subalgoE3EjNS0_10empty_typeEbEEZZNS1_14partition_implILS8_3ELb0ES6_jNS0_17counting_iteratorIjlEEPS9_SE_NS0_5tupleIJPjSE_EEENSF_IJSE_SE_EEES9_SG_JZNS1_25segmented_radix_sort_implINS0_14default_configELb0EPKiPiPKlPlN2at6native12_GLOBAL__N_18offset_tEEE10hipError_tPvRmT1_PNSt15iterator_traitsISY_E10value_typeET2_T3_PNSZ_IS14_E10value_typeET4_jRbjT5_S1A_jjP12ihipStream_tbEUljE_EEESV_SW_SX_S14_S18_S1A_T6_T7_T9_mT8_S1C_bDpT10_ENKUlT_T0_E_clISt17integral_constantIbLb0EES1P_EEDaS1K_S1L_EUlS1K_E_NS1_11comp_targetILNS1_3genE9ELNS1_11target_archE1100ELNS1_3gpuE3ELNS1_3repE0EEENS1_30default_config_static_selectorELNS0_4arch9wavefront6targetE0EEEvSY_
                                        ; -- End function
	.set _ZN7rocprim17ROCPRIM_400000_NS6detail17trampoline_kernelINS0_13select_configILj256ELj13ELNS0_17block_load_methodE3ELS4_3ELS4_3ELNS0_20block_scan_algorithmE0ELj4294967295EEENS1_25partition_config_selectorILNS1_17partition_subalgoE3EjNS0_10empty_typeEbEEZZNS1_14partition_implILS8_3ELb0ES6_jNS0_17counting_iteratorIjlEEPS9_SE_NS0_5tupleIJPjSE_EEENSF_IJSE_SE_EEES9_SG_JZNS1_25segmented_radix_sort_implINS0_14default_configELb0EPKiPiPKlPlN2at6native12_GLOBAL__N_18offset_tEEE10hipError_tPvRmT1_PNSt15iterator_traitsISY_E10value_typeET2_T3_PNSZ_IS14_E10value_typeET4_jRbjT5_S1A_jjP12ihipStream_tbEUljE_EEESV_SW_SX_S14_S18_S1A_T6_T7_T9_mT8_S1C_bDpT10_ENKUlT_T0_E_clISt17integral_constantIbLb0EES1P_EEDaS1K_S1L_EUlS1K_E_NS1_11comp_targetILNS1_3genE9ELNS1_11target_archE1100ELNS1_3gpuE3ELNS1_3repE0EEENS1_30default_config_static_selectorELNS0_4arch9wavefront6targetE0EEEvSY_.num_vgpr, 0
	.set _ZN7rocprim17ROCPRIM_400000_NS6detail17trampoline_kernelINS0_13select_configILj256ELj13ELNS0_17block_load_methodE3ELS4_3ELS4_3ELNS0_20block_scan_algorithmE0ELj4294967295EEENS1_25partition_config_selectorILNS1_17partition_subalgoE3EjNS0_10empty_typeEbEEZZNS1_14partition_implILS8_3ELb0ES6_jNS0_17counting_iteratorIjlEEPS9_SE_NS0_5tupleIJPjSE_EEENSF_IJSE_SE_EEES9_SG_JZNS1_25segmented_radix_sort_implINS0_14default_configELb0EPKiPiPKlPlN2at6native12_GLOBAL__N_18offset_tEEE10hipError_tPvRmT1_PNSt15iterator_traitsISY_E10value_typeET2_T3_PNSZ_IS14_E10value_typeET4_jRbjT5_S1A_jjP12ihipStream_tbEUljE_EEESV_SW_SX_S14_S18_S1A_T6_T7_T9_mT8_S1C_bDpT10_ENKUlT_T0_E_clISt17integral_constantIbLb0EES1P_EEDaS1K_S1L_EUlS1K_E_NS1_11comp_targetILNS1_3genE9ELNS1_11target_archE1100ELNS1_3gpuE3ELNS1_3repE0EEENS1_30default_config_static_selectorELNS0_4arch9wavefront6targetE0EEEvSY_.num_agpr, 0
	.set _ZN7rocprim17ROCPRIM_400000_NS6detail17trampoline_kernelINS0_13select_configILj256ELj13ELNS0_17block_load_methodE3ELS4_3ELS4_3ELNS0_20block_scan_algorithmE0ELj4294967295EEENS1_25partition_config_selectorILNS1_17partition_subalgoE3EjNS0_10empty_typeEbEEZZNS1_14partition_implILS8_3ELb0ES6_jNS0_17counting_iteratorIjlEEPS9_SE_NS0_5tupleIJPjSE_EEENSF_IJSE_SE_EEES9_SG_JZNS1_25segmented_radix_sort_implINS0_14default_configELb0EPKiPiPKlPlN2at6native12_GLOBAL__N_18offset_tEEE10hipError_tPvRmT1_PNSt15iterator_traitsISY_E10value_typeET2_T3_PNSZ_IS14_E10value_typeET4_jRbjT5_S1A_jjP12ihipStream_tbEUljE_EEESV_SW_SX_S14_S18_S1A_T6_T7_T9_mT8_S1C_bDpT10_ENKUlT_T0_E_clISt17integral_constantIbLb0EES1P_EEDaS1K_S1L_EUlS1K_E_NS1_11comp_targetILNS1_3genE9ELNS1_11target_archE1100ELNS1_3gpuE3ELNS1_3repE0EEENS1_30default_config_static_selectorELNS0_4arch9wavefront6targetE0EEEvSY_.numbered_sgpr, 0
	.set _ZN7rocprim17ROCPRIM_400000_NS6detail17trampoline_kernelINS0_13select_configILj256ELj13ELNS0_17block_load_methodE3ELS4_3ELS4_3ELNS0_20block_scan_algorithmE0ELj4294967295EEENS1_25partition_config_selectorILNS1_17partition_subalgoE3EjNS0_10empty_typeEbEEZZNS1_14partition_implILS8_3ELb0ES6_jNS0_17counting_iteratorIjlEEPS9_SE_NS0_5tupleIJPjSE_EEENSF_IJSE_SE_EEES9_SG_JZNS1_25segmented_radix_sort_implINS0_14default_configELb0EPKiPiPKlPlN2at6native12_GLOBAL__N_18offset_tEEE10hipError_tPvRmT1_PNSt15iterator_traitsISY_E10value_typeET2_T3_PNSZ_IS14_E10value_typeET4_jRbjT5_S1A_jjP12ihipStream_tbEUljE_EEESV_SW_SX_S14_S18_S1A_T6_T7_T9_mT8_S1C_bDpT10_ENKUlT_T0_E_clISt17integral_constantIbLb0EES1P_EEDaS1K_S1L_EUlS1K_E_NS1_11comp_targetILNS1_3genE9ELNS1_11target_archE1100ELNS1_3gpuE3ELNS1_3repE0EEENS1_30default_config_static_selectorELNS0_4arch9wavefront6targetE0EEEvSY_.num_named_barrier, 0
	.set _ZN7rocprim17ROCPRIM_400000_NS6detail17trampoline_kernelINS0_13select_configILj256ELj13ELNS0_17block_load_methodE3ELS4_3ELS4_3ELNS0_20block_scan_algorithmE0ELj4294967295EEENS1_25partition_config_selectorILNS1_17partition_subalgoE3EjNS0_10empty_typeEbEEZZNS1_14partition_implILS8_3ELb0ES6_jNS0_17counting_iteratorIjlEEPS9_SE_NS0_5tupleIJPjSE_EEENSF_IJSE_SE_EEES9_SG_JZNS1_25segmented_radix_sort_implINS0_14default_configELb0EPKiPiPKlPlN2at6native12_GLOBAL__N_18offset_tEEE10hipError_tPvRmT1_PNSt15iterator_traitsISY_E10value_typeET2_T3_PNSZ_IS14_E10value_typeET4_jRbjT5_S1A_jjP12ihipStream_tbEUljE_EEESV_SW_SX_S14_S18_S1A_T6_T7_T9_mT8_S1C_bDpT10_ENKUlT_T0_E_clISt17integral_constantIbLb0EES1P_EEDaS1K_S1L_EUlS1K_E_NS1_11comp_targetILNS1_3genE9ELNS1_11target_archE1100ELNS1_3gpuE3ELNS1_3repE0EEENS1_30default_config_static_selectorELNS0_4arch9wavefront6targetE0EEEvSY_.private_seg_size, 0
	.set _ZN7rocprim17ROCPRIM_400000_NS6detail17trampoline_kernelINS0_13select_configILj256ELj13ELNS0_17block_load_methodE3ELS4_3ELS4_3ELNS0_20block_scan_algorithmE0ELj4294967295EEENS1_25partition_config_selectorILNS1_17partition_subalgoE3EjNS0_10empty_typeEbEEZZNS1_14partition_implILS8_3ELb0ES6_jNS0_17counting_iteratorIjlEEPS9_SE_NS0_5tupleIJPjSE_EEENSF_IJSE_SE_EEES9_SG_JZNS1_25segmented_radix_sort_implINS0_14default_configELb0EPKiPiPKlPlN2at6native12_GLOBAL__N_18offset_tEEE10hipError_tPvRmT1_PNSt15iterator_traitsISY_E10value_typeET2_T3_PNSZ_IS14_E10value_typeET4_jRbjT5_S1A_jjP12ihipStream_tbEUljE_EEESV_SW_SX_S14_S18_S1A_T6_T7_T9_mT8_S1C_bDpT10_ENKUlT_T0_E_clISt17integral_constantIbLb0EES1P_EEDaS1K_S1L_EUlS1K_E_NS1_11comp_targetILNS1_3genE9ELNS1_11target_archE1100ELNS1_3gpuE3ELNS1_3repE0EEENS1_30default_config_static_selectorELNS0_4arch9wavefront6targetE0EEEvSY_.uses_vcc, 0
	.set _ZN7rocprim17ROCPRIM_400000_NS6detail17trampoline_kernelINS0_13select_configILj256ELj13ELNS0_17block_load_methodE3ELS4_3ELS4_3ELNS0_20block_scan_algorithmE0ELj4294967295EEENS1_25partition_config_selectorILNS1_17partition_subalgoE3EjNS0_10empty_typeEbEEZZNS1_14partition_implILS8_3ELb0ES6_jNS0_17counting_iteratorIjlEEPS9_SE_NS0_5tupleIJPjSE_EEENSF_IJSE_SE_EEES9_SG_JZNS1_25segmented_radix_sort_implINS0_14default_configELb0EPKiPiPKlPlN2at6native12_GLOBAL__N_18offset_tEEE10hipError_tPvRmT1_PNSt15iterator_traitsISY_E10value_typeET2_T3_PNSZ_IS14_E10value_typeET4_jRbjT5_S1A_jjP12ihipStream_tbEUljE_EEESV_SW_SX_S14_S18_S1A_T6_T7_T9_mT8_S1C_bDpT10_ENKUlT_T0_E_clISt17integral_constantIbLb0EES1P_EEDaS1K_S1L_EUlS1K_E_NS1_11comp_targetILNS1_3genE9ELNS1_11target_archE1100ELNS1_3gpuE3ELNS1_3repE0EEENS1_30default_config_static_selectorELNS0_4arch9wavefront6targetE0EEEvSY_.uses_flat_scratch, 0
	.set _ZN7rocprim17ROCPRIM_400000_NS6detail17trampoline_kernelINS0_13select_configILj256ELj13ELNS0_17block_load_methodE3ELS4_3ELS4_3ELNS0_20block_scan_algorithmE0ELj4294967295EEENS1_25partition_config_selectorILNS1_17partition_subalgoE3EjNS0_10empty_typeEbEEZZNS1_14partition_implILS8_3ELb0ES6_jNS0_17counting_iteratorIjlEEPS9_SE_NS0_5tupleIJPjSE_EEENSF_IJSE_SE_EEES9_SG_JZNS1_25segmented_radix_sort_implINS0_14default_configELb0EPKiPiPKlPlN2at6native12_GLOBAL__N_18offset_tEEE10hipError_tPvRmT1_PNSt15iterator_traitsISY_E10value_typeET2_T3_PNSZ_IS14_E10value_typeET4_jRbjT5_S1A_jjP12ihipStream_tbEUljE_EEESV_SW_SX_S14_S18_S1A_T6_T7_T9_mT8_S1C_bDpT10_ENKUlT_T0_E_clISt17integral_constantIbLb0EES1P_EEDaS1K_S1L_EUlS1K_E_NS1_11comp_targetILNS1_3genE9ELNS1_11target_archE1100ELNS1_3gpuE3ELNS1_3repE0EEENS1_30default_config_static_selectorELNS0_4arch9wavefront6targetE0EEEvSY_.has_dyn_sized_stack, 0
	.set _ZN7rocprim17ROCPRIM_400000_NS6detail17trampoline_kernelINS0_13select_configILj256ELj13ELNS0_17block_load_methodE3ELS4_3ELS4_3ELNS0_20block_scan_algorithmE0ELj4294967295EEENS1_25partition_config_selectorILNS1_17partition_subalgoE3EjNS0_10empty_typeEbEEZZNS1_14partition_implILS8_3ELb0ES6_jNS0_17counting_iteratorIjlEEPS9_SE_NS0_5tupleIJPjSE_EEENSF_IJSE_SE_EEES9_SG_JZNS1_25segmented_radix_sort_implINS0_14default_configELb0EPKiPiPKlPlN2at6native12_GLOBAL__N_18offset_tEEE10hipError_tPvRmT1_PNSt15iterator_traitsISY_E10value_typeET2_T3_PNSZ_IS14_E10value_typeET4_jRbjT5_S1A_jjP12ihipStream_tbEUljE_EEESV_SW_SX_S14_S18_S1A_T6_T7_T9_mT8_S1C_bDpT10_ENKUlT_T0_E_clISt17integral_constantIbLb0EES1P_EEDaS1K_S1L_EUlS1K_E_NS1_11comp_targetILNS1_3genE9ELNS1_11target_archE1100ELNS1_3gpuE3ELNS1_3repE0EEENS1_30default_config_static_selectorELNS0_4arch9wavefront6targetE0EEEvSY_.has_recursion, 0
	.set _ZN7rocprim17ROCPRIM_400000_NS6detail17trampoline_kernelINS0_13select_configILj256ELj13ELNS0_17block_load_methodE3ELS4_3ELS4_3ELNS0_20block_scan_algorithmE0ELj4294967295EEENS1_25partition_config_selectorILNS1_17partition_subalgoE3EjNS0_10empty_typeEbEEZZNS1_14partition_implILS8_3ELb0ES6_jNS0_17counting_iteratorIjlEEPS9_SE_NS0_5tupleIJPjSE_EEENSF_IJSE_SE_EEES9_SG_JZNS1_25segmented_radix_sort_implINS0_14default_configELb0EPKiPiPKlPlN2at6native12_GLOBAL__N_18offset_tEEE10hipError_tPvRmT1_PNSt15iterator_traitsISY_E10value_typeET2_T3_PNSZ_IS14_E10value_typeET4_jRbjT5_S1A_jjP12ihipStream_tbEUljE_EEESV_SW_SX_S14_S18_S1A_T6_T7_T9_mT8_S1C_bDpT10_ENKUlT_T0_E_clISt17integral_constantIbLb0EES1P_EEDaS1K_S1L_EUlS1K_E_NS1_11comp_targetILNS1_3genE9ELNS1_11target_archE1100ELNS1_3gpuE3ELNS1_3repE0EEENS1_30default_config_static_selectorELNS0_4arch9wavefront6targetE0EEEvSY_.has_indirect_call, 0
	.section	.AMDGPU.csdata,"",@progbits
; Kernel info:
; codeLenInByte = 0
; TotalNumSgprs: 0
; NumVgprs: 0
; ScratchSize: 0
; MemoryBound: 0
; FloatMode: 240
; IeeeMode: 1
; LDSByteSize: 0 bytes/workgroup (compile time only)
; SGPRBlocks: 0
; VGPRBlocks: 0
; NumSGPRsForWavesPerEU: 1
; NumVGPRsForWavesPerEU: 1
; Occupancy: 16
; WaveLimiterHint : 0
; COMPUTE_PGM_RSRC2:SCRATCH_EN: 0
; COMPUTE_PGM_RSRC2:USER_SGPR: 6
; COMPUTE_PGM_RSRC2:TRAP_HANDLER: 0
; COMPUTE_PGM_RSRC2:TGID_X_EN: 1
; COMPUTE_PGM_RSRC2:TGID_Y_EN: 0
; COMPUTE_PGM_RSRC2:TGID_Z_EN: 0
; COMPUTE_PGM_RSRC2:TIDIG_COMP_CNT: 0
	.section	.text._ZN7rocprim17ROCPRIM_400000_NS6detail17trampoline_kernelINS0_13select_configILj256ELj13ELNS0_17block_load_methodE3ELS4_3ELS4_3ELNS0_20block_scan_algorithmE0ELj4294967295EEENS1_25partition_config_selectorILNS1_17partition_subalgoE3EjNS0_10empty_typeEbEEZZNS1_14partition_implILS8_3ELb0ES6_jNS0_17counting_iteratorIjlEEPS9_SE_NS0_5tupleIJPjSE_EEENSF_IJSE_SE_EEES9_SG_JZNS1_25segmented_radix_sort_implINS0_14default_configELb0EPKiPiPKlPlN2at6native12_GLOBAL__N_18offset_tEEE10hipError_tPvRmT1_PNSt15iterator_traitsISY_E10value_typeET2_T3_PNSZ_IS14_E10value_typeET4_jRbjT5_S1A_jjP12ihipStream_tbEUljE_EEESV_SW_SX_S14_S18_S1A_T6_T7_T9_mT8_S1C_bDpT10_ENKUlT_T0_E_clISt17integral_constantIbLb0EES1P_EEDaS1K_S1L_EUlS1K_E_NS1_11comp_targetILNS1_3genE8ELNS1_11target_archE1030ELNS1_3gpuE2ELNS1_3repE0EEENS1_30default_config_static_selectorELNS0_4arch9wavefront6targetE0EEEvSY_,"axG",@progbits,_ZN7rocprim17ROCPRIM_400000_NS6detail17trampoline_kernelINS0_13select_configILj256ELj13ELNS0_17block_load_methodE3ELS4_3ELS4_3ELNS0_20block_scan_algorithmE0ELj4294967295EEENS1_25partition_config_selectorILNS1_17partition_subalgoE3EjNS0_10empty_typeEbEEZZNS1_14partition_implILS8_3ELb0ES6_jNS0_17counting_iteratorIjlEEPS9_SE_NS0_5tupleIJPjSE_EEENSF_IJSE_SE_EEES9_SG_JZNS1_25segmented_radix_sort_implINS0_14default_configELb0EPKiPiPKlPlN2at6native12_GLOBAL__N_18offset_tEEE10hipError_tPvRmT1_PNSt15iterator_traitsISY_E10value_typeET2_T3_PNSZ_IS14_E10value_typeET4_jRbjT5_S1A_jjP12ihipStream_tbEUljE_EEESV_SW_SX_S14_S18_S1A_T6_T7_T9_mT8_S1C_bDpT10_ENKUlT_T0_E_clISt17integral_constantIbLb0EES1P_EEDaS1K_S1L_EUlS1K_E_NS1_11comp_targetILNS1_3genE8ELNS1_11target_archE1030ELNS1_3gpuE2ELNS1_3repE0EEENS1_30default_config_static_selectorELNS0_4arch9wavefront6targetE0EEEvSY_,comdat
	.globl	_ZN7rocprim17ROCPRIM_400000_NS6detail17trampoline_kernelINS0_13select_configILj256ELj13ELNS0_17block_load_methodE3ELS4_3ELS4_3ELNS0_20block_scan_algorithmE0ELj4294967295EEENS1_25partition_config_selectorILNS1_17partition_subalgoE3EjNS0_10empty_typeEbEEZZNS1_14partition_implILS8_3ELb0ES6_jNS0_17counting_iteratorIjlEEPS9_SE_NS0_5tupleIJPjSE_EEENSF_IJSE_SE_EEES9_SG_JZNS1_25segmented_radix_sort_implINS0_14default_configELb0EPKiPiPKlPlN2at6native12_GLOBAL__N_18offset_tEEE10hipError_tPvRmT1_PNSt15iterator_traitsISY_E10value_typeET2_T3_PNSZ_IS14_E10value_typeET4_jRbjT5_S1A_jjP12ihipStream_tbEUljE_EEESV_SW_SX_S14_S18_S1A_T6_T7_T9_mT8_S1C_bDpT10_ENKUlT_T0_E_clISt17integral_constantIbLb0EES1P_EEDaS1K_S1L_EUlS1K_E_NS1_11comp_targetILNS1_3genE8ELNS1_11target_archE1030ELNS1_3gpuE2ELNS1_3repE0EEENS1_30default_config_static_selectorELNS0_4arch9wavefront6targetE0EEEvSY_ ; -- Begin function _ZN7rocprim17ROCPRIM_400000_NS6detail17trampoline_kernelINS0_13select_configILj256ELj13ELNS0_17block_load_methodE3ELS4_3ELS4_3ELNS0_20block_scan_algorithmE0ELj4294967295EEENS1_25partition_config_selectorILNS1_17partition_subalgoE3EjNS0_10empty_typeEbEEZZNS1_14partition_implILS8_3ELb0ES6_jNS0_17counting_iteratorIjlEEPS9_SE_NS0_5tupleIJPjSE_EEENSF_IJSE_SE_EEES9_SG_JZNS1_25segmented_radix_sort_implINS0_14default_configELb0EPKiPiPKlPlN2at6native12_GLOBAL__N_18offset_tEEE10hipError_tPvRmT1_PNSt15iterator_traitsISY_E10value_typeET2_T3_PNSZ_IS14_E10value_typeET4_jRbjT5_S1A_jjP12ihipStream_tbEUljE_EEESV_SW_SX_S14_S18_S1A_T6_T7_T9_mT8_S1C_bDpT10_ENKUlT_T0_E_clISt17integral_constantIbLb0EES1P_EEDaS1K_S1L_EUlS1K_E_NS1_11comp_targetILNS1_3genE8ELNS1_11target_archE1030ELNS1_3gpuE2ELNS1_3repE0EEENS1_30default_config_static_selectorELNS0_4arch9wavefront6targetE0EEEvSY_
	.p2align	8
	.type	_ZN7rocprim17ROCPRIM_400000_NS6detail17trampoline_kernelINS0_13select_configILj256ELj13ELNS0_17block_load_methodE3ELS4_3ELS4_3ELNS0_20block_scan_algorithmE0ELj4294967295EEENS1_25partition_config_selectorILNS1_17partition_subalgoE3EjNS0_10empty_typeEbEEZZNS1_14partition_implILS8_3ELb0ES6_jNS0_17counting_iteratorIjlEEPS9_SE_NS0_5tupleIJPjSE_EEENSF_IJSE_SE_EEES9_SG_JZNS1_25segmented_radix_sort_implINS0_14default_configELb0EPKiPiPKlPlN2at6native12_GLOBAL__N_18offset_tEEE10hipError_tPvRmT1_PNSt15iterator_traitsISY_E10value_typeET2_T3_PNSZ_IS14_E10value_typeET4_jRbjT5_S1A_jjP12ihipStream_tbEUljE_EEESV_SW_SX_S14_S18_S1A_T6_T7_T9_mT8_S1C_bDpT10_ENKUlT_T0_E_clISt17integral_constantIbLb0EES1P_EEDaS1K_S1L_EUlS1K_E_NS1_11comp_targetILNS1_3genE8ELNS1_11target_archE1030ELNS1_3gpuE2ELNS1_3repE0EEENS1_30default_config_static_selectorELNS0_4arch9wavefront6targetE0EEEvSY_,@function
_ZN7rocprim17ROCPRIM_400000_NS6detail17trampoline_kernelINS0_13select_configILj256ELj13ELNS0_17block_load_methodE3ELS4_3ELS4_3ELNS0_20block_scan_algorithmE0ELj4294967295EEENS1_25partition_config_selectorILNS1_17partition_subalgoE3EjNS0_10empty_typeEbEEZZNS1_14partition_implILS8_3ELb0ES6_jNS0_17counting_iteratorIjlEEPS9_SE_NS0_5tupleIJPjSE_EEENSF_IJSE_SE_EEES9_SG_JZNS1_25segmented_radix_sort_implINS0_14default_configELb0EPKiPiPKlPlN2at6native12_GLOBAL__N_18offset_tEEE10hipError_tPvRmT1_PNSt15iterator_traitsISY_E10value_typeET2_T3_PNSZ_IS14_E10value_typeET4_jRbjT5_S1A_jjP12ihipStream_tbEUljE_EEESV_SW_SX_S14_S18_S1A_T6_T7_T9_mT8_S1C_bDpT10_ENKUlT_T0_E_clISt17integral_constantIbLb0EES1P_EEDaS1K_S1L_EUlS1K_E_NS1_11comp_targetILNS1_3genE8ELNS1_11target_archE1030ELNS1_3gpuE2ELNS1_3repE0EEENS1_30default_config_static_selectorELNS0_4arch9wavefront6targetE0EEEvSY_: ; @_ZN7rocprim17ROCPRIM_400000_NS6detail17trampoline_kernelINS0_13select_configILj256ELj13ELNS0_17block_load_methodE3ELS4_3ELS4_3ELNS0_20block_scan_algorithmE0ELj4294967295EEENS1_25partition_config_selectorILNS1_17partition_subalgoE3EjNS0_10empty_typeEbEEZZNS1_14partition_implILS8_3ELb0ES6_jNS0_17counting_iteratorIjlEEPS9_SE_NS0_5tupleIJPjSE_EEENSF_IJSE_SE_EEES9_SG_JZNS1_25segmented_radix_sort_implINS0_14default_configELb0EPKiPiPKlPlN2at6native12_GLOBAL__N_18offset_tEEE10hipError_tPvRmT1_PNSt15iterator_traitsISY_E10value_typeET2_T3_PNSZ_IS14_E10value_typeET4_jRbjT5_S1A_jjP12ihipStream_tbEUljE_EEESV_SW_SX_S14_S18_S1A_T6_T7_T9_mT8_S1C_bDpT10_ENKUlT_T0_E_clISt17integral_constantIbLb0EES1P_EEDaS1K_S1L_EUlS1K_E_NS1_11comp_targetILNS1_3genE8ELNS1_11target_archE1030ELNS1_3gpuE2ELNS1_3repE0EEENS1_30default_config_static_selectorELNS0_4arch9wavefront6targetE0EEEvSY_
; %bb.0:
	s_clause 0x6
	s_load_dword s0, s[4:5], 0x70
	s_load_dwordx2 s[16:17], s[4:5], 0x10
	s_load_dwordx4 s[12:15], s[4:5], 0x48
	s_load_dwordx2 s[18:19], s[4:5], 0x58
	s_load_dword s7, s[4:5], 0x8
	s_load_dwordx4 s[8:11], s[4:5], 0x78
	s_load_dword s1, s[4:5], 0x88
	s_mul_i32 s26, s6, 0xd00
	v_lshlrev_b32_e32 v42, 2, v0
	s_waitcnt lgkmcnt(0)
	s_mul_i32 s2, s0, 0xd00
	s_add_i32 s0, s0, -1
	s_add_i32 s3, s2, s16
	s_load_dwordx2 s[20:21], s[14:15], 0x0
	s_sub_i32 s25, s18, s3
	s_addk_i32 s25, 0xd00
	s_add_u32 s2, s16, s2
	s_addc_u32 s3, s17, 0
	s_cmp_eq_u32 s6, s0
	v_cmp_gt_u64_e64 s2, s[18:19], s[2:3]
	s_cselect_b32 s24, -1, 0
	s_cmp_lg_u32 s6, s0
	s_cselect_b32 s0, -1, 0
	s_add_i32 s3, s7, s26
	s_or_b32 s2, s0, s2
	s_add_i32 s3, s3, s16
	s_and_b32 vcc_lo, exec_lo, s2
	v_add_nc_u32_e32 v1, s3, v0
	s_mov_b32 s7, -1
	s_cbranch_vccz .LBB570_2
; %bb.1:
	v_add_nc_u32_e32 v2, 0x100, v1
	v_add_nc_u32_e32 v3, 0x200, v1
	;; [unrolled: 1-line block ×12, first 2 shown]
	ds_write2st64_b32 v42, v1, v2 offset1:4
	ds_write2st64_b32 v42, v3, v4 offset0:8 offset1:12
	ds_write2st64_b32 v42, v5, v6 offset0:16 offset1:20
	;; [unrolled: 1-line block ×5, first 2 shown]
	ds_write_b32 v42, v13 offset:12288
	s_waitcnt lgkmcnt(0)
	s_mov_b32 s7, 0
	s_barrier
.LBB570_2:
	v_cmp_gt_u32_e64 s0, s25, v0
	v_or_b32_e32 v41, 0x100, v0
	v_or_b32_e32 v40, 0x200, v0
	;; [unrolled: 1-line block ×12, first 2 shown]
	s_andn2_b32 vcc_lo, exec_lo, s7
	s_cbranch_vccnz .LBB570_4
; %bb.3:
	v_add_nc_u32_e32 v2, s3, v41
	v_cmp_gt_u32_e32 vcc_lo, s25, v41
	v_add_nc_u32_e32 v3, s3, v40
	v_add_nc_u32_e32 v4, s3, v39
	v_add_nc_u32_e32 v5, s3, v38
	v_add_nc_u32_e32 v6, s3, v37
	v_cndmask_b32_e32 v2, 0, v2, vcc_lo
	v_cmp_gt_u32_e32 vcc_lo, s25, v40
	v_add_nc_u32_e32 v7, s3, v36
	v_add_nc_u32_e32 v8, s3, v35
	;; [unrolled: 1-line block ×4, first 2 shown]
	v_cndmask_b32_e32 v3, 0, v3, vcc_lo
	v_cmp_gt_u32_e32 vcc_lo, s25, v39
	v_add_nc_u32_e32 v11, s3, v32
	v_add_nc_u32_e32 v12, s3, v31
	v_cndmask_b32_e64 v1, 0, v1, s0
	v_add_nc_u32_e32 v13, s3, v30
	v_cndmask_b32_e32 v4, 0, v4, vcc_lo
	v_cmp_gt_u32_e32 vcc_lo, s25, v38
	v_cndmask_b32_e32 v5, 0, v5, vcc_lo
	v_cmp_gt_u32_e32 vcc_lo, s25, v37
	;; [unrolled: 2-line block ×9, first 2 shown]
	v_cndmask_b32_e32 v13, 0, v13, vcc_lo
	ds_write2st64_b32 v42, v1, v2 offset1:4
	ds_write2st64_b32 v42, v3, v4 offset0:8 offset1:12
	ds_write2st64_b32 v42, v5, v6 offset0:16 offset1:20
	;; [unrolled: 1-line block ×5, first 2 shown]
	ds_write_b32 v42, v13 offset:12288
	s_waitcnt lgkmcnt(0)
	s_barrier
.LBB570_4:
	v_mul_u32_u24_e32 v45, 13, v0
	s_waitcnt lgkmcnt(0)
	buffer_gl0_inv
	v_cndmask_b32_e64 v43, 0, 1, s2
	s_andn2_b32 vcc_lo, exec_lo, s2
	v_lshlrev_b32_e32 v1, 2, v45
	ds_read2_b32 v[26:27], v1 offset0:2 offset1:3
	ds_read2_b32 v[22:23], v1 offset0:6 offset1:7
	;; [unrolled: 1-line block ×3, first 2 shown]
	ds_read2_b32 v[28:29], v1 offset1:1
	ds_read2_b32 v[18:19], v1 offset0:10 offset1:11
	ds_read_b32 v44, v1 offset:48
	ds_read2_b32 v[20:21], v1 offset0:8 offset1:9
	s_waitcnt lgkmcnt(0)
	s_barrier
	buffer_gl0_inv
	s_cbranch_vccnz .LBB570_6
; %bb.5:
	v_add_nc_u32_e32 v1, s9, v27
	v_add_nc_u32_e32 v4, s9, v26
	;; [unrolled: 1-line block ×6, first 2 shown]
	v_mul_lo_u32 v4, v4, s8
	v_mul_lo_u32 v1, v1, s8
	;; [unrolled: 1-line block ×4, first 2 shown]
	v_add_nc_u32_e32 v3, s9, v28
	v_add_nc_u32_e32 v7, s11, v28
	v_mul_lo_u32 v2, v2, s8
	v_mul_lo_u32 v6, v6, s10
	v_add_nc_u32_e32 v10, s11, v25
	v_mul_lo_u32 v3, v3, s8
	v_mul_lo_u32 v7, v7, s10
	v_sub_nc_u32_e32 v1, v1, v5
	v_sub_nc_u32_e32 v4, v4, v8
	v_add_nc_u32_e32 v5, s9, v23
	v_add_nc_u32_e32 v8, s11, v23
	v_sub_nc_u32_e32 v2, v2, v6
	v_add_nc_u32_e32 v6, s9, v25
	v_add_nc_u32_e32 v9, s9, v22
	v_mul_lo_u32 v5, v5, s8
	v_mul_lo_u32 v8, v8, s10
	v_sub_nc_u32_e32 v3, v3, v7
	v_add_nc_u32_e32 v7, s9, v24
	v_add_nc_u32_e32 v11, s11, v22
	v_mul_lo_u32 v6, v6, s8
	v_mul_lo_u32 v10, v10, s10
	v_add_nc_u32_e32 v12, s11, v24
	v_mul_lo_u32 v9, v9, s8
	v_mul_lo_u32 v7, v7, s8
	;; [unrolled: 1-line block ×3, first 2 shown]
	v_sub_nc_u32_e32 v5, v5, v8
	v_mul_lo_u32 v8, v12, s10
	v_cmp_lt_u32_e32 vcc_lo, s1, v1
	v_sub_nc_u32_e32 v6, v6, v10
	v_add_nc_u32_e32 v10, s9, v19
	v_add_nc_u32_e32 v14, s11, v19
	;; [unrolled: 1-line block ×3, first 2 shown]
	v_cndmask_b32_e64 v1, 0, 1, vcc_lo
	v_cmp_lt_u32_e32 vcc_lo, s1, v2
	v_sub_nc_u32_e32 v7, v7, v8
	v_sub_nc_u32_e32 v8, v9, v11
	v_add_nc_u32_e32 v11, s9, v21
	v_mul_lo_u32 v10, v10, s8
	v_mul_lo_u32 v14, v14, s10
	v_cndmask_b32_e64 v2, 0, 1, vcc_lo
	v_cmp_lt_u32_e32 vcc_lo, s1, v5
	v_mul_lo_u32 v11, v11, s8
	v_mul_lo_u32 v15, v15, s10
	v_mov_b32_e32 v9, 8
	v_lshlrev_b16 v2, 8, v2
	v_cndmask_b32_e64 v5, 0, 1, vcc_lo
	v_cmp_lt_u32_e32 vcc_lo, s1, v6
	v_sub_nc_u32_e32 v10, v10, v14
	v_add_nc_u32_e32 v12, s9, v20
	v_add_nc_u32_e32 v16, s11, v20
	v_sub_nc_u32_e32 v11, v11, v15
	v_cndmask_b32_e64 v6, 0, 1, vcc_lo
	v_cmp_lt_u32_e32 vcc_lo, s1, v10
	v_lshrrev_b32_sdwa v2, v9, v2 dst_sel:BYTE_1 dst_unused:UNUSED_PAD src0_sel:DWORD src1_sel:DWORD
	v_add_nc_u32_e32 v13, s9, v18
	v_add_nc_u32_e32 v17, s11, v18
	v_mul_lo_u32 v12, v12, s8
	v_cndmask_b32_e64 v10, 0, 1, vcc_lo
	v_cmp_lt_u32_e32 vcc_lo, s1, v11
	v_mul_lo_u32 v16, v16, s10
	v_mul_lo_u32 v13, v13, s8
	;; [unrolled: 1-line block ×3, first 2 shown]
	v_add_nc_u32_e32 v14, s9, v44
	v_cndmask_b32_e64 v11, 0, 1, vcc_lo
	v_cmp_lt_u32_e32 vcc_lo, s1, v3
	v_add_nc_u32_e32 v15, s11, v44
	v_lshlrev_b16 v1, 8, v1
	v_sub_nc_u32_e32 v12, v12, v16
	v_lshlrev_b16 v11, 8, v11
	v_cndmask_b32_e64 v3, 0, 1, vcc_lo
	v_cmp_lt_u32_e32 vcc_lo, s1, v4
	v_sub_nc_u32_e32 v13, v13, v17
	v_mul_lo_u32 v14, v14, s8
	v_mul_lo_u32 v15, v15, s10
	v_or_b32_e32 v2, v3, v2
	v_cndmask_b32_e64 v3, 0, 1, vcc_lo
	v_cmp_lt_u32_e32 vcc_lo, s1, v7
	v_lshlrev_b16 v6, 8, v6
	v_lshlrev_b16 v10, 8, v10
	;; [unrolled: 1-line block ×3, first 2 shown]
	v_lshrrev_b32_sdwa v1, v9, v1 dst_sel:BYTE_1 dst_unused:UNUSED_PAD src0_sel:DWORD src1_sel:DWORD
	v_cndmask_b32_e64 v4, 0, 1, vcc_lo
	v_cmp_lt_u32_e32 vcc_lo, s1, v8
	v_lshrrev_b32_sdwa v8, v9, v11 dst_sel:BYTE_1 dst_unused:UNUSED_PAD src0_sel:DWORD src1_sel:DWORD
	v_lshrrev_b32_sdwa v6, v9, v6 dst_sel:BYTE_1 dst_unused:UNUSED_PAD src0_sel:DWORD src1_sel:DWORD
	v_sub_nc_u32_e32 v14, v14, v15
	v_lshrrev_b32_sdwa v9, v9, v10 dst_sel:BYTE_1 dst_unused:UNUSED_PAD src0_sel:DWORD src1_sel:DWORD
	v_cndmask_b32_e64 v7, 0, 1, vcc_lo
	v_cmp_lt_u32_e32 vcc_lo, s1, v12
	v_or_b32_sdwa v1, v3, v1 dst_sel:WORD_1 dst_unused:UNUSED_PAD src0_sel:DWORD src1_sel:DWORD
	v_or_b32_e32 v3, v4, v6
	v_or_b32_sdwa v4, v7, v5 dst_sel:WORD_1 dst_unused:UNUSED_PAD src0_sel:DWORD src1_sel:DWORD
	v_cndmask_b32_e64 v11, 0, 1, vcc_lo
	v_cmp_lt_u32_e32 vcc_lo, s1, v13
	v_or_b32_sdwa v50, v2, v1 dst_sel:DWORD dst_unused:UNUSED_PAD src0_sel:WORD_0 src1_sel:DWORD
	v_or_b32_sdwa v48, v3, v4 dst_sel:DWORD dst_unused:UNUSED_PAD src0_sel:WORD_0 src1_sel:DWORD
	v_or_b32_e32 v5, v11, v8
	v_cndmask_b32_e64 v10, 0, 1, vcc_lo
	v_cmp_lt_u32_e32 vcc_lo, s1, v14
	v_or_b32_sdwa v6, v10, v9 dst_sel:WORD_1 dst_unused:UNUSED_PAD src0_sel:DWORD src1_sel:DWORD
	v_cndmask_b32_e64 v46, 0, 1, vcc_lo
	v_or_b32_sdwa v47, v5, v6 dst_sel:DWORD dst_unused:UNUSED_PAD src0_sel:WORD_0 src1_sel:DWORD
	s_clause 0x1
	s_load_dwordx2 s[14:15], s[4:5], 0x28
	s_load_dwordx2 s[22:23], s[4:5], 0x68
	s_cbranch_execz .LBB570_7
	s_branch .LBB570_34
.LBB570_6:
                                        ; implicit-def: $vgpr46
                                        ; implicit-def: $vgpr47
                                        ; implicit-def: $vgpr48
                                        ; implicit-def: $vgpr50
	s_clause 0x1
	s_load_dwordx2 s[14:15], s[4:5], 0x28
	s_load_dwordx2 s[22:23], s[4:5], 0x68
.LBB570_7:
	v_mov_b32_e32 v2, 0
	v_mov_b32_e32 v1, 0
	s_mov_b32 s0, exec_lo
	v_cmpx_gt_u32_e64 s25, v45
	s_cbranch_execz .LBB570_9
; %bb.8:
	v_add_nc_u32_e32 v1, s9, v28
	v_add_nc_u32_e32 v3, s11, v28
	v_mul_lo_u32 v1, v1, s8
	v_mul_lo_u32 v3, v3, s10
	v_sub_nc_u32_e32 v1, v1, v3
	v_cmp_lt_u32_e32 vcc_lo, s1, v1
	v_cndmask_b32_e64 v1, 0, 1, vcc_lo
.LBB570_9:
	s_or_b32 exec_lo, exec_lo, s0
	v_add_nc_u32_e32 v3, 1, v45
	s_mov_b32 s0, exec_lo
	v_cmpx_gt_u32_e64 s25, v3
	s_cbranch_execz .LBB570_11
; %bb.10:
	v_add_nc_u32_e32 v2, s9, v29
	v_add_nc_u32_e32 v3, s11, v29
	v_mul_lo_u32 v2, v2, s8
	v_mul_lo_u32 v3, v3, s10
	v_sub_nc_u32_e32 v2, v2, v3
	v_cmp_lt_u32_e32 vcc_lo, s1, v2
	v_cndmask_b32_e64 v2, 0, 1, vcc_lo
.LBB570_11:
	s_or_b32 exec_lo, exec_lo, s0
	v_add_nc_u32_e32 v3, 2, v45
	v_mov_b32_e32 v4, 0
	v_cmp_gt_u32_e32 vcc_lo, s25, v3
	v_mov_b32_e32 v3, 0
	s_and_saveexec_b32 s0, vcc_lo
	s_cbranch_execz .LBB570_13
; %bb.12:
	v_add_nc_u32_e32 v3, s9, v26
	v_add_nc_u32_e32 v5, s11, v26
	v_mul_lo_u32 v3, v3, s8
	v_mul_lo_u32 v5, v5, s10
	v_sub_nc_u32_e32 v3, v3, v5
	v_cmp_lt_u32_e32 vcc_lo, s1, v3
	v_cndmask_b32_e64 v3, 0, 1, vcc_lo
.LBB570_13:
	s_or_b32 exec_lo, exec_lo, s0
	v_add_nc_u32_e32 v5, 3, v45
	s_mov_b32 s0, exec_lo
	v_cmpx_gt_u32_e64 s25, v5
	s_cbranch_execz .LBB570_15
; %bb.14:
	v_add_nc_u32_e32 v4, s9, v27
	v_add_nc_u32_e32 v5, s11, v27
	v_mul_lo_u32 v4, v4, s8
	v_mul_lo_u32 v5, v5, s10
	v_sub_nc_u32_e32 v4, v4, v5
	v_cmp_lt_u32_e32 vcc_lo, s1, v4
	v_cndmask_b32_e64 v4, 0, 1, vcc_lo
.LBB570_15:
	s_or_b32 exec_lo, exec_lo, s0
	v_add_nc_u32_e32 v5, 4, v45
	v_mov_b32_e32 v6, 0
	v_cmp_gt_u32_e32 vcc_lo, s25, v5
	v_mov_b32_e32 v5, 0
	s_and_saveexec_b32 s0, vcc_lo
	;; [unrolled: 30-line block ×5, first 2 shown]
	s_cbranch_execz .LBB570_29
; %bb.28:
	v_add_nc_u32_e32 v11, s9, v18
	v_add_nc_u32_e32 v13, s11, v18
	v_mul_lo_u32 v11, v11, s8
	v_mul_lo_u32 v13, v13, s10
	v_sub_nc_u32_e32 v11, v11, v13
	v_cmp_lt_u32_e32 vcc_lo, s1, v11
	v_cndmask_b32_e64 v11, 0, 1, vcc_lo
.LBB570_29:
	s_or_b32 exec_lo, exec_lo, s0
	v_add_nc_u32_e32 v13, 11, v45
	s_mov_b32 s0, exec_lo
	v_cmpx_gt_u32_e64 s25, v13
	s_cbranch_execz .LBB570_31
; %bb.30:
	v_add_nc_u32_e32 v12, s9, v19
	v_add_nc_u32_e32 v13, s11, v19
	v_mul_lo_u32 v12, v12, s8
	v_mul_lo_u32 v13, v13, s10
	v_sub_nc_u32_e32 v12, v12, v13
	v_cmp_lt_u32_e32 vcc_lo, s1, v12
	v_cndmask_b32_e64 v12, 0, 1, vcc_lo
.LBB570_31:
	s_or_b32 exec_lo, exec_lo, s0
	v_add_nc_u32_e32 v13, 12, v45
	v_mov_b32_e32 v46, 0
	s_mov_b32 s0, exec_lo
	v_cmpx_gt_u32_e64 s25, v13
	s_cbranch_execz .LBB570_33
; %bb.32:
	v_add_nc_u32_e32 v13, s9, v44
	v_add_nc_u32_e32 v14, s11, v44
	v_mul_lo_u32 v13, v13, s8
	v_mul_lo_u32 v14, v14, s10
	v_sub_nc_u32_e32 v13, v13, v14
	v_cmp_lt_u32_e32 vcc_lo, s1, v13
	v_cndmask_b32_e64 v46, 0, 1, vcc_lo
.LBB570_33:
	s_or_b32 exec_lo, exec_lo, s0
	v_lshlrev_b16 v2, 8, v2
	v_lshlrev_b16 v4, 8, v4
	;; [unrolled: 1-line block ×5, first 2 shown]
	v_or_b32_e32 v1, v1, v2
	v_lshlrev_b16 v2, 8, v12
	v_or_b32_sdwa v3, v3, v4 dst_sel:WORD_1 dst_unused:UNUSED_PAD src0_sel:DWORD src1_sel:DWORD
	v_or_b32_e32 v4, v5, v6
	v_or_b32_sdwa v5, v7, v8 dst_sel:WORD_1 dst_unused:UNUSED_PAD src0_sel:DWORD src1_sel:DWORD
	v_or_b32_e32 v6, v9, v10
	v_or_b32_sdwa v2, v11, v2 dst_sel:WORD_1 dst_unused:UNUSED_PAD src0_sel:DWORD src1_sel:DWORD
	v_or_b32_sdwa v50, v1, v3 dst_sel:DWORD dst_unused:UNUSED_PAD src0_sel:WORD_0 src1_sel:DWORD
	v_or_b32_sdwa v48, v4, v5 dst_sel:DWORD dst_unused:UNUSED_PAD src0_sel:WORD_0 src1_sel:DWORD
	;; [unrolled: 1-line block ×3, first 2 shown]
.LBB570_34:
	v_and_b32_e32 v53, 0xff, v50
	v_bfe_u32 v54, v50, 8, 8
	v_bfe_u32 v55, v50, 16, 8
	v_lshrrev_b32_e32 v52, 24, v50
	v_and_b32_e32 v56, 0xff, v48
	v_bfe_u32 v57, v48, 8, 8
	v_bfe_u32 v58, v48, 16, 8
	v_add3_u32 v1, v54, v53, v55
	v_lshrrev_b32_e32 v51, 24, v48
	v_and_b32_e32 v59, 0xff, v47
	v_bfe_u32 v60, v47, 8, 8
	v_mbcnt_lo_u32_b32 v62, -1, 0
	v_add3_u32 v1, v1, v52, v56
	v_bfe_u32 v61, v47, 16, 8
	v_lshrrev_b32_e32 v49, 24, v47
	v_and_b32_e32 v2, 0xff, v46
	v_and_b32_e32 v3, 15, v62
	v_add3_u32 v1, v1, v57, v58
	v_or_b32_e32 v4, 31, v0
	v_and_b32_e32 v5, 16, v62
	v_lshrrev_b32_e32 v63, 5, v0
	v_cmp_eq_u32_e64 s5, 0, v3
	v_add3_u32 v1, v1, v51, v59
	v_cmp_lt_u32_e64 s4, 1, v3
	v_cmp_lt_u32_e64 s3, 3, v3
	;; [unrolled: 1-line block ×3, first 2 shown]
	v_cmp_eq_u32_e64 s1, 0, v5
	v_add3_u32 v1, v1, v60, v61
	v_cmp_eq_u32_e64 s0, v0, v4
	s_cmp_lg_u32 s6, 0
	s_mov_b32 s7, -1
	v_add3_u32 v64, v1, v49, v2
	s_cbranch_scc0 .LBB570_56
; %bb.35:
	v_mov_b32_dpp v1, v64 row_shr:1 row_mask:0xf bank_mask:0xf
	v_cndmask_b32_e64 v1, v1, 0, s5
	v_add_nc_u32_e32 v1, v1, v64
	v_mov_b32_dpp v2, v1 row_shr:2 row_mask:0xf bank_mask:0xf
	v_cndmask_b32_e64 v2, 0, v2, s4
	v_add_nc_u32_e32 v1, v1, v2
	;; [unrolled: 3-line block ×4, first 2 shown]
	ds_swizzle_b32 v2, v1 offset:swizzle(BROADCAST,32,15)
	s_waitcnt lgkmcnt(0)
	v_cndmask_b32_e64 v2, v2, 0, s1
	v_add_nc_u32_e32 v1, v1, v2
	s_and_saveexec_b32 s7, s0
; %bb.36:
	v_lshlrev_b32_e32 v2, 2, v63
	ds_write_b32 v2, v1
; %bb.37:
	s_or_b32 exec_lo, exec_lo, s7
	s_mov_b32 s7, exec_lo
	s_waitcnt lgkmcnt(0)
	s_barrier
	buffer_gl0_inv
	v_cmpx_gt_u32_e32 8, v0
	s_cbranch_execz .LBB570_39
; %bb.38:
	ds_read_b32 v2, v42
	v_and_b32_e32 v3, 7, v62
	v_cmp_ne_u32_e32 vcc_lo, 0, v3
	s_waitcnt lgkmcnt(0)
	v_mov_b32_dpp v4, v2 row_shr:1 row_mask:0xf bank_mask:0xf
	v_cndmask_b32_e32 v4, 0, v4, vcc_lo
	v_cmp_lt_u32_e32 vcc_lo, 1, v3
	v_add_nc_u32_e32 v2, v4, v2
	v_mov_b32_dpp v4, v2 row_shr:2 row_mask:0xf bank_mask:0xf
	v_cndmask_b32_e32 v4, 0, v4, vcc_lo
	v_cmp_lt_u32_e32 vcc_lo, 3, v3
	v_add_nc_u32_e32 v2, v2, v4
	v_mov_b32_dpp v4, v2 row_shr:4 row_mask:0xf bank_mask:0xf
	v_cndmask_b32_e32 v3, 0, v4, vcc_lo
	v_add_nc_u32_e32 v2, v2, v3
	ds_write_b32 v42, v2
.LBB570_39:
	s_or_b32 exec_lo, exec_lo, s7
	s_mov_b32 s8, exec_lo
	v_cmp_gt_u32_e32 vcc_lo, 32, v0
	s_waitcnt lgkmcnt(0)
	s_barrier
	buffer_gl0_inv
                                        ; implicit-def: $vgpr10
	v_cmpx_lt_u32_e32 31, v0
	s_cbranch_execz .LBB570_41
; %bb.40:
	v_lshl_add_u32 v2, v63, 2, -4
	ds_read_b32 v10, v2
	s_waitcnt lgkmcnt(0)
	v_add_nc_u32_e32 v1, v10, v1
.LBB570_41:
	s_or_b32 exec_lo, exec_lo, s8
	v_sub_co_u32 v2, s7, v62, 1
	v_cmp_gt_i32_e64 s8, 0, v2
	v_cndmask_b32_e64 v2, v2, v62, s8
	v_lshlrev_b32_e32 v2, 2, v2
	ds_bpermute_b32 v11, v2, v1
	s_and_saveexec_b32 s8, vcc_lo
	s_cbranch_execz .LBB570_61
; %bb.42:
	v_mov_b32_e32 v7, 0
	ds_read_b32 v1, v7 offset:28
	s_and_saveexec_b32 s9, s7
	s_cbranch_execz .LBB570_44
; %bb.43:
	s_add_i32 s10, s6, 32
	s_mov_b32 s11, 0
	v_mov_b32_e32 v2, 1
	s_lshl_b64 s[10:11], s[10:11], 3
	s_add_u32 s10, s22, s10
	s_addc_u32 s11, s23, s11
	s_waitcnt lgkmcnt(0)
	global_store_dwordx2 v7, v[1:2], s[10:11]
.LBB570_44:
	s_or_b32 exec_lo, exec_lo, s9
	v_xad_u32 v3, v62, -1, s6
	s_mov_b32 s10, 0
	v_add_nc_u32_e32 v6, 32, v3
	v_lshlrev_b64 v[4:5], 3, v[6:7]
	v_add_co_u32 v8, vcc_lo, s22, v4
	v_add_co_ci_u32_e64 v9, null, s23, v5, vcc_lo
	global_load_dwordx2 v[5:6], v[8:9], off glc dlc
	s_waitcnt vmcnt(0)
	v_cmp_eq_u16_sdwa s11, v6, v7 src0_sel:BYTE_0 src1_sel:DWORD
	s_and_saveexec_b32 s9, s11
	s_cbranch_execz .LBB570_48
; %bb.45:
	v_mov_b32_e32 v2, 0
.LBB570_46:                             ; =>This Inner Loop Header: Depth=1
	global_load_dwordx2 v[5:6], v[8:9], off glc dlc
	s_waitcnt vmcnt(0)
	v_cmp_ne_u16_sdwa s11, v6, v2 src0_sel:BYTE_0 src1_sel:DWORD
	s_or_b32 s10, s11, s10
	s_andn2_b32 exec_lo, exec_lo, s10
	s_cbranch_execnz .LBB570_46
; %bb.47:
	s_or_b32 exec_lo, exec_lo, s10
.LBB570_48:
	s_or_b32 exec_lo, exec_lo, s9
	v_cmp_ne_u32_e32 vcc_lo, 31, v62
	v_mov_b32_e32 v12, 2
	v_lshlrev_b32_e64 v13, v62, -1
	v_add_nc_u32_e32 v15, 2, v62
	v_add_nc_u32_e32 v17, 4, v62
	v_add_co_ci_u32_e64 v2, null, 0, v62, vcc_lo
	v_cmp_eq_u16_sdwa s9, v6, v12 src0_sel:BYTE_0 src1_sel:DWORD
	v_cmp_gt_u32_e32 vcc_lo, 30, v62
	v_add_nc_u32_e32 v66, 8, v62
	v_lshlrev_b32_e32 v9, 2, v2
	v_lshl_or_b32 v67, v62, 2, 64
	v_and_or_b32 v4, s9, v13, 0x80000000
	v_cndmask_b32_e64 v7, 0, 2, vcc_lo
	v_add_nc_u32_e32 v68, 16, v62
	ds_bpermute_b32 v2, v9, v5
	v_ffbl_b32_e32 v4, v4
	v_add_lshl_u32 v14, v7, v62, 2
	v_cmp_lt_u32_e32 vcc_lo, v62, v4
	s_waitcnt lgkmcnt(0)
	v_cndmask_b32_e32 v2, 0, v2, vcc_lo
	v_cmp_gt_u32_e32 vcc_lo, 28, v62
	v_add_nc_u32_e32 v2, v2, v5
	v_cndmask_b32_e64 v7, 0, 4, vcc_lo
	v_cmp_le_u32_e32 vcc_lo, v15, v4
	ds_bpermute_b32 v5, v14, v2
	v_add_lshl_u32 v16, v7, v62, 2
	s_waitcnt lgkmcnt(0)
	v_cndmask_b32_e32 v5, 0, v5, vcc_lo
	v_cmp_gt_u32_e32 vcc_lo, 24, v62
	v_add_nc_u32_e32 v2, v2, v5
	v_cndmask_b32_e64 v7, 0, 8, vcc_lo
	v_cmp_le_u32_e32 vcc_lo, v17, v4
	ds_bpermute_b32 v5, v16, v2
	v_add_lshl_u32 v65, v7, v62, 2
	s_waitcnt lgkmcnt(0)
	v_cndmask_b32_e32 v5, 0, v5, vcc_lo
	v_cmp_le_u32_e32 vcc_lo, v66, v4
	v_add_nc_u32_e32 v2, v2, v5
	ds_bpermute_b32 v5, v65, v2
	s_waitcnt lgkmcnt(0)
	v_cndmask_b32_e32 v5, 0, v5, vcc_lo
	v_cmp_le_u32_e32 vcc_lo, v68, v4
	v_add_nc_u32_e32 v2, v2, v5
	ds_bpermute_b32 v5, v67, v2
	s_waitcnt lgkmcnt(0)
	v_cndmask_b32_e32 v4, 0, v5, vcc_lo
	v_add_nc_u32_e32 v5, v2, v4
	v_mov_b32_e32 v4, 0
	s_branch .LBB570_52
.LBB570_49:                             ;   in Loop: Header=BB570_52 Depth=1
	s_or_b32 exec_lo, exec_lo, s10
.LBB570_50:                             ;   in Loop: Header=BB570_52 Depth=1
	s_or_b32 exec_lo, exec_lo, s9
	ds_bpermute_b32 v7, v9, v5
	v_cmp_eq_u16_sdwa s9, v6, v12 src0_sel:BYTE_0 src1_sel:DWORD
	v_subrev_nc_u32_e32 v3, 32, v3
	v_and_or_b32 v8, s9, v13, 0x80000000
	s_mov_b32 s9, 0
	v_ffbl_b32_e32 v8, v8
	v_cmp_lt_u32_e32 vcc_lo, v62, v8
	s_waitcnt lgkmcnt(0)
	v_cndmask_b32_e32 v7, 0, v7, vcc_lo
	v_cmp_le_u32_e32 vcc_lo, v15, v8
	v_add_nc_u32_e32 v5, v7, v5
	ds_bpermute_b32 v7, v14, v5
	s_waitcnt lgkmcnt(0)
	v_cndmask_b32_e32 v7, 0, v7, vcc_lo
	v_cmp_le_u32_e32 vcc_lo, v17, v8
	v_add_nc_u32_e32 v5, v5, v7
	ds_bpermute_b32 v7, v16, v5
	;; [unrolled: 5-line block ×4, first 2 shown]
	s_waitcnt lgkmcnt(0)
	v_cndmask_b32_e32 v7, 0, v7, vcc_lo
	v_add3_u32 v5, v7, v2, v5
.LBB570_51:                             ;   in Loop: Header=BB570_52 Depth=1
	s_and_b32 vcc_lo, exec_lo, s9
	s_cbranch_vccnz .LBB570_57
.LBB570_52:                             ; =>This Loop Header: Depth=1
                                        ;     Child Loop BB570_55 Depth 2
	v_cmp_ne_u16_sdwa s9, v6, v12 src0_sel:BYTE_0 src1_sel:DWORD
	v_mov_b32_e32 v2, v5
                                        ; implicit-def: $vgpr5
                                        ; implicit-def: $vgpr6
	s_cmp_lg_u32 s9, exec_lo
	s_mov_b32 s9, -1
	s_cbranch_scc1 .LBB570_51
; %bb.53:                               ;   in Loop: Header=BB570_52 Depth=1
	v_lshlrev_b64 v[5:6], 3, v[3:4]
	v_add_co_u32 v7, vcc_lo, s22, v5
	v_add_co_ci_u32_e64 v8, null, s23, v6, vcc_lo
	global_load_dwordx2 v[5:6], v[7:8], off glc dlc
	s_waitcnt vmcnt(0)
	v_cmp_eq_u16_sdwa s10, v6, v4 src0_sel:BYTE_0 src1_sel:DWORD
	s_and_saveexec_b32 s9, s10
	s_cbranch_execz .LBB570_50
; %bb.54:                               ;   in Loop: Header=BB570_52 Depth=1
	s_mov_b32 s10, 0
.LBB570_55:                             ;   Parent Loop BB570_52 Depth=1
                                        ; =>  This Inner Loop Header: Depth=2
	global_load_dwordx2 v[5:6], v[7:8], off glc dlc
	s_waitcnt vmcnt(0)
	v_cmp_ne_u16_sdwa s11, v6, v4 src0_sel:BYTE_0 src1_sel:DWORD
	s_or_b32 s10, s11, s10
	s_andn2_b32 exec_lo, exec_lo, s10
	s_cbranch_execnz .LBB570_55
	s_branch .LBB570_49
.LBB570_56:
                                        ; implicit-def: $vgpr17
                                        ; implicit-def: $vgpr1_vgpr2_vgpr3_vgpr4_vgpr5_vgpr6_vgpr7_vgpr8_vgpr9_vgpr10_vgpr11_vgpr12_vgpr13_vgpr14_vgpr15_vgpr16
	s_and_b32 vcc_lo, exec_lo, s7
	s_cbranch_vccnz .LBB570_62
	s_branch .LBB570_71
.LBB570_57:
	s_and_saveexec_b32 s9, s7
	s_cbranch_execz .LBB570_59
; %bb.58:
	s_add_i32 s10, s6, 32
	s_mov_b32 s11, 0
	v_add_nc_u32_e32 v3, v2, v1
	v_mov_b32_e32 v4, 2
	s_lshl_b64 s[10:11], s[10:11], 3
	v_mov_b32_e32 v5, 0
	s_add_u32 s10, s22, s10
	s_addc_u32 s11, s23, s11
	global_store_dwordx2 v5, v[3:4], s[10:11]
	ds_write_b64 v5, v[1:2] offset:13312
.LBB570_59:
	s_or_b32 exec_lo, exec_lo, s9
	v_cmp_eq_u32_e32 vcc_lo, 0, v0
	s_and_b32 exec_lo, exec_lo, vcc_lo
; %bb.60:
	v_mov_b32_e32 v1, 0
	ds_write_b32 v1, v2 offset:28
.LBB570_61:
	s_or_b32 exec_lo, exec_lo, s8
	v_mov_b32_e32 v12, 0
	s_waitcnt lgkmcnt(0)
	s_waitcnt_vscnt null, 0x0
	s_barrier
	buffer_gl0_inv
	v_cndmask_b32_e64 v2, v11, v10, s7
	ds_read_b32 v1, v12 offset:28
	v_cmp_ne_u32_e32 vcc_lo, 0, v0
	s_waitcnt lgkmcnt(0)
	s_barrier
	buffer_gl0_inv
	ds_read_b64 v[16:17], v12 offset:13312
	v_cndmask_b32_e32 v2, 0, v2, vcc_lo
	v_add_nc_u32_e32 v1, v1, v2
	v_add_nc_u32_e32 v2, v1, v53
	;; [unrolled: 1-line block ×13, first 2 shown]
	s_branch .LBB570_71
.LBB570_62:
	v_mov_b32_dpp v1, v64 row_shr:1 row_mask:0xf bank_mask:0xf
	v_cndmask_b32_e64 v1, v1, 0, s5
	v_add_nc_u32_e32 v1, v1, v64
	v_mov_b32_dpp v2, v1 row_shr:2 row_mask:0xf bank_mask:0xf
	v_cndmask_b32_e64 v2, 0, v2, s4
	v_add_nc_u32_e32 v1, v1, v2
	;; [unrolled: 3-line block ×4, first 2 shown]
	ds_swizzle_b32 v2, v1 offset:swizzle(BROADCAST,32,15)
	s_waitcnt lgkmcnt(0)
	v_cndmask_b32_e64 v2, v2, 0, s1
	v_add_nc_u32_e32 v1, v1, v2
	s_and_saveexec_b32 s1, s0
; %bb.63:
	v_lshlrev_b32_e32 v2, 2, v63
	ds_write_b32 v2, v1
; %bb.64:
	s_or_b32 exec_lo, exec_lo, s1
	s_mov_b32 s0, exec_lo
	s_waitcnt lgkmcnt(0)
	s_barrier
	buffer_gl0_inv
	v_cmpx_gt_u32_e32 8, v0
	s_cbranch_execz .LBB570_66
; %bb.65:
	ds_read_b32 v2, v42
	v_and_b32_e32 v3, 7, v62
	v_cmp_ne_u32_e32 vcc_lo, 0, v3
	s_waitcnt lgkmcnt(0)
	v_mov_b32_dpp v4, v2 row_shr:1 row_mask:0xf bank_mask:0xf
	v_cndmask_b32_e32 v4, 0, v4, vcc_lo
	v_cmp_lt_u32_e32 vcc_lo, 1, v3
	v_add_nc_u32_e32 v2, v4, v2
	v_mov_b32_dpp v4, v2 row_shr:2 row_mask:0xf bank_mask:0xf
	v_cndmask_b32_e32 v4, 0, v4, vcc_lo
	v_cmp_lt_u32_e32 vcc_lo, 3, v3
	v_add_nc_u32_e32 v2, v2, v4
	v_mov_b32_dpp v4, v2 row_shr:4 row_mask:0xf bank_mask:0xf
	v_cndmask_b32_e32 v3, 0, v4, vcc_lo
	v_add_nc_u32_e32 v2, v2, v3
	ds_write_b32 v42, v2
.LBB570_66:
	s_or_b32 exec_lo, exec_lo, s0
	v_mov_b32_e32 v3, 0
	v_mov_b32_e32 v2, 0
	s_mov_b32 s0, exec_lo
	s_waitcnt lgkmcnt(0)
	s_barrier
	buffer_gl0_inv
	v_cmpx_lt_u32_e32 31, v0
; %bb.67:
	v_lshl_add_u32 v2, v63, 2, -4
	ds_read_b32 v2, v2
; %bb.68:
	s_or_b32 exec_lo, exec_lo, s0
	v_sub_co_u32 v4, vcc_lo, v62, 1
	s_waitcnt lgkmcnt(0)
	v_add_nc_u32_e32 v1, v2, v1
	ds_read_b32 v16, v3 offset:28
	v_cmp_gt_i32_e64 s0, 0, v4
	v_cndmask_b32_e64 v4, v4, v62, s0
	v_cmp_eq_u32_e64 s0, 0, v0
	v_lshlrev_b32_e32 v4, 2, v4
	ds_bpermute_b32 v1, v4, v1
	s_and_saveexec_b32 s1, s0
	s_cbranch_execz .LBB570_70
; %bb.69:
	v_mov_b32_e32 v3, 0
	v_mov_b32_e32 v17, 2
	s_waitcnt lgkmcnt(1)
	global_store_dwordx2 v3, v[16:17], s[22:23] offset:256
.LBB570_70:
	s_or_b32 exec_lo, exec_lo, s1
	s_waitcnt lgkmcnt(0)
	v_cndmask_b32_e32 v1, v1, v2, vcc_lo
	v_mov_b32_e32 v17, 0
	s_waitcnt_vscnt null, 0x0
	s_barrier
	buffer_gl0_inv
	v_cndmask_b32_e64 v1, v1, 0, s0
	v_add_nc_u32_e32 v2, v1, v53
	v_add_nc_u32_e32 v3, v2, v54
	;; [unrolled: 1-line block ×12, first 2 shown]
.LBB570_71:
	s_waitcnt lgkmcnt(0)
	v_add_nc_u32_e32 v45, v16, v45
	v_sub_nc_u32_e32 v1, v1, v17
	v_and_b32_e32 v54, 1, v50
	v_lshrrev_b32_e32 v53, 8, v50
	v_sub_nc_u32_e32 v2, v2, v17
	v_sub_nc_u32_e32 v3, v3, v17
	;; [unrolled: 1-line block ×3, first 2 shown]
	v_cmp_eq_u32_e32 vcc_lo, 1, v54
	v_and_b32_e32 v53, 1, v53
	v_mov_b32_e32 v56, 1
	v_sub_nc_u32_e32 v54, v45, v2
	v_sub_nc_u32_e32 v4, v4, v17
	v_cndmask_b32_e32 v1, v55, v1, vcc_lo
	v_sub_nc_u32_e32 v55, v45, v3
	v_and_b32_sdwa v50, v56, v50 dst_sel:DWORD dst_unused:UNUSED_PAD src0_sel:DWORD src1_sel:WORD_1
	v_add_nc_u32_e32 v54, 1, v54
	v_cmp_eq_u32_e32 vcc_lo, 1, v53
	v_lshlrev_b32_e32 v1, 2, v1
	v_and_b32_e32 v52, 1, v52
	v_sub_nc_u32_e32 v57, v45, v4
	v_add_nc_u32_e32 v55, 2, v55
	v_lshrrev_b32_e32 v15, 8, v48
	ds_write_b32 v1, v28
	v_cndmask_b32_e32 v1, v54, v2, vcc_lo
	v_cmp_eq_u32_e32 vcc_lo, 1, v50
	v_add_nc_u32_e32 v57, 3, v57
	v_lshrrev_b32_e32 v14, 8, v47
	v_lshlrev_b32_e32 v1, 2, v1
	v_cndmask_b32_e32 v2, v55, v3, vcc_lo
	v_cmp_eq_u32_e32 vcc_lo, 1, v52
	ds_write_b32 v1, v29
	v_lshlrev_b32_e32 v2, 2, v2
	v_cndmask_b32_e32 v3, v57, v4, vcc_lo
	v_sub_nc_u32_e32 v4, v5, v17
	v_sub_nc_u32_e32 v5, v6, v17
	v_lshlrev_b32_e32 v3, 2, v3
	v_sub_nc_u32_e32 v1, v45, v4
	v_sub_nc_u32_e32 v6, v45, v5
	ds_write_b32 v2, v26
	ds_write_b32 v3, v27
	v_and_b32_e32 v2, 1, v48
	v_add_nc_u32_e32 v1, 4, v1
	v_add_nc_u32_e32 v3, 5, v6
	v_sub_nc_u32_e32 v6, v7, v17
	v_and_b32_e32 v7, 1, v15
	v_cmp_eq_u32_e32 vcc_lo, 1, v2
	v_sub_nc_u32_e32 v2, v8, v17
	v_and_b32_e32 v8, 1, v51
	v_add_co_u32 v15, s0, s20, v17
	v_cndmask_b32_e32 v1, v1, v4, vcc_lo
	v_sub_nc_u32_e32 v4, v45, v6
	v_cmp_eq_u32_e32 vcc_lo, 1, v7
	v_and_b32_sdwa v7, v56, v48 dst_sel:DWORD dst_unused:UNUSED_PAD src0_sel:DWORD src1_sel:WORD_1
	v_lshlrev_b32_e32 v1, 2, v1
	v_add_nc_u32_e32 v4, 6, v4
	v_cndmask_b32_e32 v3, v3, v5, vcc_lo
	v_sub_nc_u32_e32 v5, v45, v2
	v_cmp_eq_u32_e32 vcc_lo, 1, v7
	v_sub_nc_u32_e32 v7, v13, v17
	v_lshlrev_b32_e32 v3, 2, v3
	v_add_nc_u32_e32 v5, 7, v5
	v_cndmask_b32_e32 v4, v4, v6, vcc_lo
	v_cmp_eq_u32_e32 vcc_lo, 1, v8
	v_sub_nc_u32_e32 v6, v9, v17
	ds_write_b32 v1, v24
	ds_write_b32 v3, v25
	v_lshlrev_b32_e32 v3, 2, v4
	v_cndmask_b32_e32 v2, v5, v2, vcc_lo
	v_sub_nc_u32_e32 v1, v45, v6
	v_and_b32_e32 v5, 1, v47
	v_sub_nc_u32_e32 v4, v10, v17
	v_and_b32_e32 v10, 1, v49
	v_lshlrev_b32_e32 v2, 2, v2
	v_add_nc_u32_e32 v1, 8, v1
	ds_write_b32 v3, v22
	ds_write_b32 v2, v23
	v_cmp_eq_u32_e32 vcc_lo, 1, v5
	v_sub_nc_u32_e32 v3, v11, v17
	v_sub_nc_u32_e32 v2, v45, v4
	v_sub_nc_u32_e32 v5, v12, v17
	v_and_b32_e32 v11, 1, v46
	v_cndmask_b32_e32 v1, v1, v6, vcc_lo
	v_and_b32_e32 v6, 1, v14
	v_sub_nc_u32_e32 v8, v45, v3
	v_add_nc_u32_e32 v2, 9, v2
	v_sub_nc_u32_e32 v9, v45, v5
	v_lshlrev_b32_e32 v1, 2, v1
	v_cmp_eq_u32_e32 vcc_lo, 1, v6
	v_add_nc_u32_e32 v6, 10, v8
	v_and_b32_sdwa v8, v56, v47 dst_sel:DWORD dst_unused:UNUSED_PAD src0_sel:DWORD src1_sel:WORD_1
	v_add_nc_u32_e32 v9, 11, v9
	v_add_co_ci_u32_e64 v17, null, s21, 0, s0
	v_cndmask_b32_e32 v2, v2, v4, vcc_lo
	v_cmp_eq_u32_e32 vcc_lo, 1, v8
	v_sub_nc_u32_e32 v4, v45, v7
	v_lshlrev_b32_e32 v2, 2, v2
	v_cndmask_b32_e32 v3, v6, v3, vcc_lo
	v_cmp_eq_u32_e32 vcc_lo, 1, v10
	v_add_nc_u32_e32 v4, 12, v4
	v_lshlrev_b32_e32 v3, 2, v3
	v_cndmask_b32_e32 v5, v9, v5, vcc_lo
	v_cmp_eq_u32_e32 vcc_lo, 1, v11
	v_lshlrev_b32_e32 v5, 2, v5
	v_cndmask_b32_e32 v4, v4, v7, vcc_lo
	v_cmp_ne_u32_e32 vcc_lo, 1, v43
	v_lshlrev_b32_e32 v4, 2, v4
	ds_write_b32 v1, v20
	ds_write_b32 v2, v21
	;; [unrolled: 1-line block ×5, first 2 shown]
	s_waitcnt lgkmcnt(0)
	s_barrier
	buffer_gl0_inv
	ds_read2st64_b32 v[11:12], v42 offset1:4
	ds_read2st64_b32 v[9:10], v42 offset0:8 offset1:12
	ds_read2st64_b32 v[7:8], v42 offset0:16 offset1:20
	;; [unrolled: 1-line block ×5, first 2 shown]
	ds_read_b32 v18, v42 offset:12288
	s_cbranch_vccnz .LBB570_125
; %bb.72:
	s_sub_u32 s0, s18, s26
	v_sub_co_u32 v13, vcc_lo, v15, s16
	s_subb_u32 s1, s19, 0
	v_add_co_u32 v19, s0, s0, v16
	v_subrev_co_ci_u32_e64 v14, null, s17, v17, vcc_lo
	v_add_co_ci_u32_e64 v20, null, s1, 0, s0
	v_add_co_u32 v19, vcc_lo, v19, v13
	s_mov_b32 s0, exec_lo
	v_add_co_ci_u32_e64 v20, null, v20, v14, vcc_lo
                                        ; implicit-def: $vgpr13_vgpr14
	v_cmpx_ge_u32_e64 v0, v16
	s_xor_b32 s0, exec_lo, s0
; %bb.73:
	v_not_b32_e32 v13, v0
	v_ashrrev_i32_e32 v14, 31, v13
	v_add_co_u32 v13, vcc_lo, v19, v13
	v_add_co_ci_u32_e64 v14, null, v20, v14, vcc_lo
; %bb.74:
	s_andn2_saveexec_b32 s0, s0
; %bb.75:
	v_add_co_u32 v13, vcc_lo, v15, v0
	v_add_co_ci_u32_e64 v14, null, 0, v17, vcc_lo
; %bb.76:
	s_or_b32 exec_lo, exec_lo, s0
	v_lshlrev_b64 v[13:14], 2, v[13:14]
	s_mov_b32 s0, exec_lo
	v_add_co_u32 v13, vcc_lo, s14, v13
	v_add_co_ci_u32_e64 v14, null, s15, v14, vcc_lo
	s_waitcnt lgkmcnt(6)
	global_store_dword v[13:14], v11, off
                                        ; implicit-def: $vgpr13_vgpr14
	v_cmpx_ge_u32_e64 v41, v16
	s_xor_b32 s0, exec_lo, s0
; %bb.77:
	v_xor_b32_e32 v13, 0xfffffeff, v0
	v_ashrrev_i32_e32 v14, 31, v13
	v_add_co_u32 v13, vcc_lo, v19, v13
	v_add_co_ci_u32_e64 v14, null, v20, v14, vcc_lo
; %bb.78:
	s_andn2_saveexec_b32 s0, s0
; %bb.79:
	v_add_co_u32 v13, vcc_lo, v15, v41
	v_add_co_ci_u32_e64 v14, null, 0, v17, vcc_lo
; %bb.80:
	s_or_b32 exec_lo, exec_lo, s0
	v_lshlrev_b64 v[13:14], 2, v[13:14]
	s_mov_b32 s0, exec_lo
	v_add_co_u32 v13, vcc_lo, s14, v13
	v_add_co_ci_u32_e64 v14, null, s15, v14, vcc_lo
	global_store_dword v[13:14], v12, off
                                        ; implicit-def: $vgpr13_vgpr14
	v_cmpx_ge_u32_e64 v40, v16
	s_xor_b32 s0, exec_lo, s0
; %bb.81:
	v_xor_b32_e32 v13, 0xfffffdff, v0
	v_ashrrev_i32_e32 v14, 31, v13
	v_add_co_u32 v13, vcc_lo, v19, v13
	v_add_co_ci_u32_e64 v14, null, v20, v14, vcc_lo
; %bb.82:
	s_andn2_saveexec_b32 s0, s0
; %bb.83:
	v_add_co_u32 v13, vcc_lo, v15, v40
	v_add_co_ci_u32_e64 v14, null, 0, v17, vcc_lo
; %bb.84:
	s_or_b32 exec_lo, exec_lo, s0
	v_lshlrev_b64 v[13:14], 2, v[13:14]
	s_mov_b32 s0, exec_lo
	v_add_co_u32 v13, vcc_lo, s14, v13
	v_add_co_ci_u32_e64 v14, null, s15, v14, vcc_lo
	s_waitcnt lgkmcnt(5)
	global_store_dword v[13:14], v9, off
                                        ; implicit-def: $vgpr13_vgpr14
	v_cmpx_ge_u32_e64 v39, v16
	s_xor_b32 s0, exec_lo, s0
; %bb.85:
	v_xor_b32_e32 v13, 0xfffffcff, v0
	v_ashrrev_i32_e32 v14, 31, v13
	v_add_co_u32 v13, vcc_lo, v19, v13
	v_add_co_ci_u32_e64 v14, null, v20, v14, vcc_lo
; %bb.86:
	s_andn2_saveexec_b32 s0, s0
; %bb.87:
	v_add_co_u32 v13, vcc_lo, v15, v39
	v_add_co_ci_u32_e64 v14, null, 0, v17, vcc_lo
; %bb.88:
	s_or_b32 exec_lo, exec_lo, s0
	v_lshlrev_b64 v[13:14], 2, v[13:14]
	s_mov_b32 s0, exec_lo
	v_add_co_u32 v13, vcc_lo, s14, v13
	v_add_co_ci_u32_e64 v14, null, s15, v14, vcc_lo
	global_store_dword v[13:14], v10, off
                                        ; implicit-def: $vgpr13_vgpr14
	v_cmpx_ge_u32_e64 v38, v16
	s_xor_b32 s0, exec_lo, s0
; %bb.89:
	v_xor_b32_e32 v13, 0xfffffbff, v0
	;; [unrolled: 41-line block ×6, first 2 shown]
	v_ashrrev_i32_e32 v14, 31, v13
	v_add_co_u32 v13, vcc_lo, v19, v13
	v_add_co_ci_u32_e64 v14, null, v20, v14, vcc_lo
; %bb.122:
	s_andn2_saveexec_b32 s0, s0
; %bb.123:
	v_add_co_u32 v13, vcc_lo, v15, v30
	v_add_co_ci_u32_e64 v14, null, 0, v17, vcc_lo
; %bb.124:
	s_or_b32 exec_lo, exec_lo, s0
	s_mov_b32 s0, -1
	s_branch .LBB570_205
.LBB570_125:
	s_mov_b32 s0, 0
                                        ; implicit-def: $vgpr13_vgpr14
	s_cbranch_execz .LBB570_205
; %bb.126:
	s_add_u32 s1, s16, s26
	s_addc_u32 s2, s17, 0
	s_sub_u32 s1, s18, s1
	s_subb_u32 s2, s19, s2
	v_add_co_u32 v13, s1, s1, v16
	v_add_co_ci_u32_e64 v14, null, s2, 0, s1
	s_mov_b32 s1, exec_lo
	v_add_co_u32 v19, vcc_lo, v13, v15
	v_add_co_ci_u32_e64 v20, null, v14, v17, vcc_lo
	v_cmpx_gt_u32_e64 s25, v0
	s_cbranch_execz .LBB570_162
; %bb.127:
	s_mov_b32 s2, exec_lo
                                        ; implicit-def: $vgpr13_vgpr14
	v_cmpx_ge_u32_e64 v0, v16
	s_xor_b32 s2, exec_lo, s2
; %bb.128:
	v_not_b32_e32 v13, v0
	v_ashrrev_i32_e32 v14, 31, v13
	v_add_co_u32 v13, vcc_lo, v19, v13
	v_add_co_ci_u32_e64 v14, null, v20, v14, vcc_lo
; %bb.129:
	s_andn2_saveexec_b32 s2, s2
; %bb.130:
	v_add_co_u32 v13, vcc_lo, v15, v0
	v_add_co_ci_u32_e64 v14, null, 0, v17, vcc_lo
; %bb.131:
	s_or_b32 exec_lo, exec_lo, s2
	v_lshlrev_b64 v[13:14], 2, v[13:14]
	v_add_co_u32 v13, vcc_lo, s14, v13
	v_add_co_ci_u32_e64 v14, null, s15, v14, vcc_lo
	s_waitcnt lgkmcnt(6)
	global_store_dword v[13:14], v11, off
	s_or_b32 exec_lo, exec_lo, s1
	s_mov_b32 s1, exec_lo
	v_cmpx_gt_u32_e64 s25, v41
	s_cbranch_execnz .LBB570_163
.LBB570_132:
	s_or_b32 exec_lo, exec_lo, s1
	s_mov_b32 s1, exec_lo
	v_cmpx_gt_u32_e64 s25, v40
	s_cbranch_execz .LBB570_168
.LBB570_133:
	s_mov_b32 s2, exec_lo
                                        ; implicit-def: $vgpr11_vgpr12
	v_cmpx_ge_u32_e64 v40, v16
	s_xor_b32 s2, exec_lo, s2
	s_cbranch_execz .LBB570_135
; %bb.134:
	s_waitcnt lgkmcnt(6)
	v_xor_b32_e32 v11, 0xfffffdff, v0
                                        ; implicit-def: $vgpr40
	v_ashrrev_i32_e32 v12, 31, v11
	v_add_co_u32 v11, vcc_lo, v19, v11
	v_add_co_ci_u32_e64 v12, null, v20, v12, vcc_lo
.LBB570_135:
	s_andn2_saveexec_b32 s2, s2
	s_cbranch_execz .LBB570_137
; %bb.136:
	s_waitcnt lgkmcnt(6)
	v_add_co_u32 v11, vcc_lo, v15, v40
	v_add_co_ci_u32_e64 v12, null, 0, v17, vcc_lo
.LBB570_137:
	s_or_b32 exec_lo, exec_lo, s2
	s_waitcnt lgkmcnt(6)
	v_lshlrev_b64 v[11:12], 2, v[11:12]
	v_add_co_u32 v11, vcc_lo, s14, v11
	v_add_co_ci_u32_e64 v12, null, s15, v12, vcc_lo
	s_waitcnt lgkmcnt(5)
	global_store_dword v[11:12], v9, off
	s_or_b32 exec_lo, exec_lo, s1
	s_mov_b32 s1, exec_lo
	v_cmpx_gt_u32_e64 s25, v39
	s_cbranch_execnz .LBB570_169
.LBB570_138:
	s_or_b32 exec_lo, exec_lo, s1
	s_mov_b32 s1, exec_lo
	v_cmpx_gt_u32_e64 s25, v38
	s_cbranch_execz .LBB570_174
.LBB570_139:
	s_mov_b32 s2, exec_lo
                                        ; implicit-def: $vgpr9_vgpr10
	v_cmpx_ge_u32_e64 v38, v16
	s_xor_b32 s2, exec_lo, s2
	s_cbranch_execz .LBB570_141
; %bb.140:
	s_waitcnt lgkmcnt(5)
	v_xor_b32_e32 v9, 0xfffffbff, v0
                                        ; implicit-def: $vgpr38
	v_ashrrev_i32_e32 v10, 31, v9
	v_add_co_u32 v9, vcc_lo, v19, v9
	v_add_co_ci_u32_e64 v10, null, v20, v10, vcc_lo
.LBB570_141:
	s_andn2_saveexec_b32 s2, s2
	s_cbranch_execz .LBB570_143
; %bb.142:
	s_waitcnt lgkmcnt(5)
	v_add_co_u32 v9, vcc_lo, v15, v38
	v_add_co_ci_u32_e64 v10, null, 0, v17, vcc_lo
.LBB570_143:
	s_or_b32 exec_lo, exec_lo, s2
	s_waitcnt lgkmcnt(5)
	v_lshlrev_b64 v[9:10], 2, v[9:10]
	v_add_co_u32 v9, vcc_lo, s14, v9
	v_add_co_ci_u32_e64 v10, null, s15, v10, vcc_lo
	s_waitcnt lgkmcnt(4)
	global_store_dword v[9:10], v7, off
	s_or_b32 exec_lo, exec_lo, s1
	s_mov_b32 s1, exec_lo
	v_cmpx_gt_u32_e64 s25, v37
	s_cbranch_execnz .LBB570_175
.LBB570_144:
	s_or_b32 exec_lo, exec_lo, s1
	s_mov_b32 s1, exec_lo
	v_cmpx_gt_u32_e64 s25, v36
	s_cbranch_execz .LBB570_180
.LBB570_145:
	s_mov_b32 s2, exec_lo
                                        ; implicit-def: $vgpr7_vgpr8
	v_cmpx_ge_u32_e64 v36, v16
	s_xor_b32 s2, exec_lo, s2
	s_cbranch_execz .LBB570_147
; %bb.146:
	s_waitcnt lgkmcnt(4)
	v_xor_b32_e32 v7, 0xfffff9ff, v0
                                        ; implicit-def: $vgpr36
	v_ashrrev_i32_e32 v8, 31, v7
	v_add_co_u32 v7, vcc_lo, v19, v7
	v_add_co_ci_u32_e64 v8, null, v20, v8, vcc_lo
.LBB570_147:
	s_andn2_saveexec_b32 s2, s2
	s_cbranch_execz .LBB570_149
; %bb.148:
	s_waitcnt lgkmcnt(4)
	v_add_co_u32 v7, vcc_lo, v15, v36
	v_add_co_ci_u32_e64 v8, null, 0, v17, vcc_lo
.LBB570_149:
	s_or_b32 exec_lo, exec_lo, s2
	s_waitcnt lgkmcnt(4)
	v_lshlrev_b64 v[7:8], 2, v[7:8]
	v_add_co_u32 v7, vcc_lo, s14, v7
	v_add_co_ci_u32_e64 v8, null, s15, v8, vcc_lo
	s_waitcnt lgkmcnt(3)
	global_store_dword v[7:8], v5, off
	s_or_b32 exec_lo, exec_lo, s1
	s_mov_b32 s1, exec_lo
	v_cmpx_gt_u32_e64 s25, v35
	s_cbranch_execnz .LBB570_181
.LBB570_150:
	s_or_b32 exec_lo, exec_lo, s1
	s_mov_b32 s1, exec_lo
	v_cmpx_gt_u32_e64 s25, v34
	s_cbranch_execz .LBB570_186
.LBB570_151:
	s_mov_b32 s2, exec_lo
                                        ; implicit-def: $vgpr5_vgpr6
	v_cmpx_ge_u32_e64 v34, v16
	s_xor_b32 s2, exec_lo, s2
	s_cbranch_execz .LBB570_153
; %bb.152:
	s_waitcnt lgkmcnt(3)
	v_xor_b32_e32 v5, 0xfffff7ff, v0
                                        ; implicit-def: $vgpr34
	v_ashrrev_i32_e32 v6, 31, v5
	v_add_co_u32 v5, vcc_lo, v19, v5
	v_add_co_ci_u32_e64 v6, null, v20, v6, vcc_lo
.LBB570_153:
	s_andn2_saveexec_b32 s2, s2
	s_cbranch_execz .LBB570_155
; %bb.154:
	s_waitcnt lgkmcnt(3)
	v_add_co_u32 v5, vcc_lo, v15, v34
	v_add_co_ci_u32_e64 v6, null, 0, v17, vcc_lo
.LBB570_155:
	s_or_b32 exec_lo, exec_lo, s2
	s_waitcnt lgkmcnt(3)
	v_lshlrev_b64 v[5:6], 2, v[5:6]
	v_add_co_u32 v5, vcc_lo, s14, v5
	v_add_co_ci_u32_e64 v6, null, s15, v6, vcc_lo
	s_waitcnt lgkmcnt(2)
	global_store_dword v[5:6], v3, off
	s_or_b32 exec_lo, exec_lo, s1
	s_mov_b32 s1, exec_lo
	v_cmpx_gt_u32_e64 s25, v33
	s_cbranch_execnz .LBB570_187
.LBB570_156:
	s_or_b32 exec_lo, exec_lo, s1
	s_mov_b32 s1, exec_lo
	v_cmpx_gt_u32_e64 s25, v32
	s_cbranch_execz .LBB570_192
.LBB570_157:
	s_mov_b32 s2, exec_lo
                                        ; implicit-def: $vgpr3_vgpr4
	v_cmpx_ge_u32_e64 v32, v16
	s_xor_b32 s2, exec_lo, s2
	s_cbranch_execz .LBB570_159
; %bb.158:
	s_waitcnt lgkmcnt(2)
	v_xor_b32_e32 v3, 0xfffff5ff, v0
                                        ; implicit-def: $vgpr32
	v_ashrrev_i32_e32 v4, 31, v3
	v_add_co_u32 v3, vcc_lo, v19, v3
	v_add_co_ci_u32_e64 v4, null, v20, v4, vcc_lo
.LBB570_159:
	s_andn2_saveexec_b32 s2, s2
	s_cbranch_execz .LBB570_161
; %bb.160:
	s_waitcnt lgkmcnt(2)
	v_add_co_u32 v3, vcc_lo, v15, v32
	v_add_co_ci_u32_e64 v4, null, 0, v17, vcc_lo
.LBB570_161:
	s_or_b32 exec_lo, exec_lo, s2
	s_waitcnt lgkmcnt(2)
	v_lshlrev_b64 v[3:4], 2, v[3:4]
	v_add_co_u32 v3, vcc_lo, s14, v3
	v_add_co_ci_u32_e64 v4, null, s15, v4, vcc_lo
	s_waitcnt lgkmcnt(1)
	global_store_dword v[3:4], v1, off
	s_or_b32 exec_lo, exec_lo, s1
	s_mov_b32 s1, exec_lo
	v_cmpx_gt_u32_e64 s25, v31
	s_cbranch_execz .LBB570_198
	s_branch .LBB570_193
.LBB570_162:
	s_or_b32 exec_lo, exec_lo, s1
	s_mov_b32 s1, exec_lo
	v_cmpx_gt_u32_e64 s25, v41
	s_cbranch_execz .LBB570_132
.LBB570_163:
	s_mov_b32 s2, exec_lo
                                        ; implicit-def: $vgpr13_vgpr14
	v_cmpx_ge_u32_e64 v41, v16
	s_xor_b32 s2, exec_lo, s2
	s_cbranch_execz .LBB570_165
; %bb.164:
	s_waitcnt lgkmcnt(6)
	v_xor_b32_e32 v11, 0xfffffeff, v0
                                        ; implicit-def: $vgpr41
	v_ashrrev_i32_e32 v14, 31, v11
	v_add_co_u32 v13, vcc_lo, v19, v11
	v_add_co_ci_u32_e64 v14, null, v20, v14, vcc_lo
.LBB570_165:
	s_andn2_saveexec_b32 s2, s2
; %bb.166:
	v_add_co_u32 v13, vcc_lo, v15, v41
	v_add_co_ci_u32_e64 v14, null, 0, v17, vcc_lo
; %bb.167:
	s_or_b32 exec_lo, exec_lo, s2
	v_lshlrev_b64 v[13:14], 2, v[13:14]
	v_add_co_u32 v13, vcc_lo, s14, v13
	v_add_co_ci_u32_e64 v14, null, s15, v14, vcc_lo
	s_waitcnt lgkmcnt(6)
	global_store_dword v[13:14], v12, off
	s_or_b32 exec_lo, exec_lo, s1
	s_mov_b32 s1, exec_lo
	v_cmpx_gt_u32_e64 s25, v40
	s_cbranch_execnz .LBB570_133
.LBB570_168:
	s_or_b32 exec_lo, exec_lo, s1
	s_mov_b32 s1, exec_lo
	v_cmpx_gt_u32_e64 s25, v39
	s_cbranch_execz .LBB570_138
.LBB570_169:
	s_mov_b32 s2, exec_lo
                                        ; implicit-def: $vgpr11_vgpr12
	v_cmpx_ge_u32_e64 v39, v16
	s_xor_b32 s2, exec_lo, s2
	s_cbranch_execz .LBB570_171
; %bb.170:
	s_waitcnt lgkmcnt(5)
	v_xor_b32_e32 v9, 0xfffffcff, v0
                                        ; implicit-def: $vgpr39
	v_ashrrev_i32_e32 v12, 31, v9
	v_add_co_u32 v11, vcc_lo, v19, v9
	v_add_co_ci_u32_e64 v12, null, v20, v12, vcc_lo
.LBB570_171:
	s_andn2_saveexec_b32 s2, s2
	s_cbranch_execz .LBB570_173
; %bb.172:
	s_waitcnt lgkmcnt(6)
	v_add_co_u32 v11, vcc_lo, v15, v39
	v_add_co_ci_u32_e64 v12, null, 0, v17, vcc_lo
.LBB570_173:
	s_or_b32 exec_lo, exec_lo, s2
	s_waitcnt lgkmcnt(6)
	v_lshlrev_b64 v[11:12], 2, v[11:12]
	v_add_co_u32 v11, vcc_lo, s14, v11
	v_add_co_ci_u32_e64 v12, null, s15, v12, vcc_lo
	s_waitcnt lgkmcnt(5)
	global_store_dword v[11:12], v10, off
	s_or_b32 exec_lo, exec_lo, s1
	s_mov_b32 s1, exec_lo
	v_cmpx_gt_u32_e64 s25, v38
	s_cbranch_execnz .LBB570_139
.LBB570_174:
	s_or_b32 exec_lo, exec_lo, s1
	s_mov_b32 s1, exec_lo
	v_cmpx_gt_u32_e64 s25, v37
	s_cbranch_execz .LBB570_144
.LBB570_175:
	s_mov_b32 s2, exec_lo
                                        ; implicit-def: $vgpr9_vgpr10
	v_cmpx_ge_u32_e64 v37, v16
	s_xor_b32 s2, exec_lo, s2
	s_cbranch_execz .LBB570_177
; %bb.176:
	s_waitcnt lgkmcnt(4)
	v_xor_b32_e32 v7, 0xfffffaff, v0
                                        ; implicit-def: $vgpr37
	v_ashrrev_i32_e32 v10, 31, v7
	v_add_co_u32 v9, vcc_lo, v19, v7
	v_add_co_ci_u32_e64 v10, null, v20, v10, vcc_lo
.LBB570_177:
	s_andn2_saveexec_b32 s2, s2
	s_cbranch_execz .LBB570_179
; %bb.178:
	s_waitcnt lgkmcnt(5)
	v_add_co_u32 v9, vcc_lo, v15, v37
	v_add_co_ci_u32_e64 v10, null, 0, v17, vcc_lo
.LBB570_179:
	s_or_b32 exec_lo, exec_lo, s2
	s_waitcnt lgkmcnt(5)
	v_lshlrev_b64 v[9:10], 2, v[9:10]
	v_add_co_u32 v9, vcc_lo, s14, v9
	v_add_co_ci_u32_e64 v10, null, s15, v10, vcc_lo
	s_waitcnt lgkmcnt(4)
	global_store_dword v[9:10], v8, off
	s_or_b32 exec_lo, exec_lo, s1
	s_mov_b32 s1, exec_lo
	v_cmpx_gt_u32_e64 s25, v36
	s_cbranch_execnz .LBB570_145
.LBB570_180:
	s_or_b32 exec_lo, exec_lo, s1
	s_mov_b32 s1, exec_lo
	v_cmpx_gt_u32_e64 s25, v35
	s_cbranch_execz .LBB570_150
.LBB570_181:
	s_mov_b32 s2, exec_lo
                                        ; implicit-def: $vgpr7_vgpr8
	v_cmpx_ge_u32_e64 v35, v16
	s_xor_b32 s2, exec_lo, s2
	s_cbranch_execz .LBB570_183
; %bb.182:
	s_waitcnt lgkmcnt(3)
	v_xor_b32_e32 v5, 0xfffff8ff, v0
                                        ; implicit-def: $vgpr35
	v_ashrrev_i32_e32 v8, 31, v5
	v_add_co_u32 v7, vcc_lo, v19, v5
	v_add_co_ci_u32_e64 v8, null, v20, v8, vcc_lo
.LBB570_183:
	s_andn2_saveexec_b32 s2, s2
	s_cbranch_execz .LBB570_185
; %bb.184:
	s_waitcnt lgkmcnt(4)
	v_add_co_u32 v7, vcc_lo, v15, v35
	v_add_co_ci_u32_e64 v8, null, 0, v17, vcc_lo
.LBB570_185:
	s_or_b32 exec_lo, exec_lo, s2
	s_waitcnt lgkmcnt(4)
	v_lshlrev_b64 v[7:8], 2, v[7:8]
	v_add_co_u32 v7, vcc_lo, s14, v7
	v_add_co_ci_u32_e64 v8, null, s15, v8, vcc_lo
	s_waitcnt lgkmcnt(3)
	global_store_dword v[7:8], v6, off
	s_or_b32 exec_lo, exec_lo, s1
	s_mov_b32 s1, exec_lo
	v_cmpx_gt_u32_e64 s25, v34
	s_cbranch_execnz .LBB570_151
.LBB570_186:
	s_or_b32 exec_lo, exec_lo, s1
	s_mov_b32 s1, exec_lo
	v_cmpx_gt_u32_e64 s25, v33
	s_cbranch_execz .LBB570_156
.LBB570_187:
	s_mov_b32 s2, exec_lo
                                        ; implicit-def: $vgpr5_vgpr6
	v_cmpx_ge_u32_e64 v33, v16
	s_xor_b32 s2, exec_lo, s2
	s_cbranch_execz .LBB570_189
; %bb.188:
	s_waitcnt lgkmcnt(2)
	v_xor_b32_e32 v3, 0xfffff6ff, v0
                                        ; implicit-def: $vgpr33
	v_ashrrev_i32_e32 v6, 31, v3
	v_add_co_u32 v5, vcc_lo, v19, v3
	v_add_co_ci_u32_e64 v6, null, v20, v6, vcc_lo
.LBB570_189:
	s_andn2_saveexec_b32 s2, s2
	s_cbranch_execz .LBB570_191
; %bb.190:
	s_waitcnt lgkmcnt(3)
	v_add_co_u32 v5, vcc_lo, v15, v33
	v_add_co_ci_u32_e64 v6, null, 0, v17, vcc_lo
.LBB570_191:
	s_or_b32 exec_lo, exec_lo, s2
	s_waitcnt lgkmcnt(3)
	v_lshlrev_b64 v[5:6], 2, v[5:6]
	v_add_co_u32 v5, vcc_lo, s14, v5
	v_add_co_ci_u32_e64 v6, null, s15, v6, vcc_lo
	s_waitcnt lgkmcnt(2)
	global_store_dword v[5:6], v4, off
	s_or_b32 exec_lo, exec_lo, s1
	s_mov_b32 s1, exec_lo
	v_cmpx_gt_u32_e64 s25, v32
	s_cbranch_execnz .LBB570_157
.LBB570_192:
	s_or_b32 exec_lo, exec_lo, s1
	s_mov_b32 s1, exec_lo
	v_cmpx_gt_u32_e64 s25, v31
	s_cbranch_execz .LBB570_198
.LBB570_193:
	s_mov_b32 s2, exec_lo
                                        ; implicit-def: $vgpr3_vgpr4
	v_cmpx_ge_u32_e64 v31, v16
	s_xor_b32 s2, exec_lo, s2
	s_cbranch_execz .LBB570_195
; %bb.194:
	s_waitcnt lgkmcnt(1)
	v_xor_b32_e32 v1, 0xfffff4ff, v0
                                        ; implicit-def: $vgpr31
	v_ashrrev_i32_e32 v4, 31, v1
	v_add_co_u32 v3, vcc_lo, v19, v1
	v_add_co_ci_u32_e64 v4, null, v20, v4, vcc_lo
.LBB570_195:
	s_andn2_saveexec_b32 s2, s2
	s_cbranch_execz .LBB570_197
; %bb.196:
	s_waitcnt lgkmcnt(2)
	v_add_co_u32 v3, vcc_lo, v15, v31
	v_add_co_ci_u32_e64 v4, null, 0, v17, vcc_lo
.LBB570_197:
	s_or_b32 exec_lo, exec_lo, s2
	s_waitcnt lgkmcnt(2)
	v_lshlrev_b64 v[3:4], 2, v[3:4]
	v_add_co_u32 v3, vcc_lo, s14, v3
	v_add_co_ci_u32_e64 v4, null, s15, v4, vcc_lo
	s_waitcnt lgkmcnt(1)
	global_store_dword v[3:4], v2, off
.LBB570_198:
	s_or_b32 exec_lo, exec_lo, s1
	s_mov_b32 s1, exec_lo
                                        ; implicit-def: $vgpr13_vgpr14
	v_cmpx_gt_u32_e64 s25, v30
	s_cbranch_execz .LBB570_204
; %bb.199:
	s_mov_b32 s2, exec_lo
                                        ; implicit-def: $vgpr13_vgpr14
	v_cmpx_ge_u32_e64 v30, v16
	s_xor_b32 s2, exec_lo, s2
	s_cbranch_execz .LBB570_201
; %bb.200:
	s_waitcnt lgkmcnt(1)
	v_xor_b32_e32 v1, 0xfffff3ff, v0
                                        ; implicit-def: $vgpr30
	v_ashrrev_i32_e32 v2, 31, v1
	v_add_co_u32 v13, vcc_lo, v19, v1
	v_add_co_ci_u32_e64 v14, null, v20, v2, vcc_lo
.LBB570_201:
	s_andn2_saveexec_b32 s2, s2
; %bb.202:
	v_add_co_u32 v13, vcc_lo, v15, v30
	v_add_co_ci_u32_e64 v14, null, 0, v17, vcc_lo
; %bb.203:
	s_or_b32 exec_lo, exec_lo, s2
	s_or_b32 s0, s0, exec_lo
.LBB570_204:
	s_or_b32 exec_lo, exec_lo, s1
.LBB570_205:
	s_and_saveexec_b32 s1, s0
	s_cbranch_execz .LBB570_207
; %bb.206:
	s_waitcnt lgkmcnt(1)
	v_lshlrev_b64 v[1:2], 2, v[13:14]
	v_add_co_u32 v1, vcc_lo, s14, v1
	v_add_co_ci_u32_e64 v2, null, s15, v2, vcc_lo
	s_waitcnt lgkmcnt(0)
	global_store_dword v[1:2], v18, off
.LBB570_207:
	s_or_b32 exec_lo, exec_lo, s1
	v_cmp_eq_u32_e32 vcc_lo, 0, v0
	s_and_b32 s0, vcc_lo, s24
	s_and_saveexec_b32 s1, s0
	s_cbranch_execz .LBB570_209
; %bb.208:
	v_add_co_u32 v0, vcc_lo, v15, v16
	s_waitcnt lgkmcnt(1)
	v_mov_b32_e32 v2, 0
	v_add_co_ci_u32_e64 v1, null, 0, v17, vcc_lo
	global_store_dwordx2 v2, v[0:1], s[12:13]
.LBB570_209:
	s_endpgm
	.section	.rodata,"a",@progbits
	.p2align	6, 0x0
	.amdhsa_kernel _ZN7rocprim17ROCPRIM_400000_NS6detail17trampoline_kernelINS0_13select_configILj256ELj13ELNS0_17block_load_methodE3ELS4_3ELS4_3ELNS0_20block_scan_algorithmE0ELj4294967295EEENS1_25partition_config_selectorILNS1_17partition_subalgoE3EjNS0_10empty_typeEbEEZZNS1_14partition_implILS8_3ELb0ES6_jNS0_17counting_iteratorIjlEEPS9_SE_NS0_5tupleIJPjSE_EEENSF_IJSE_SE_EEES9_SG_JZNS1_25segmented_radix_sort_implINS0_14default_configELb0EPKiPiPKlPlN2at6native12_GLOBAL__N_18offset_tEEE10hipError_tPvRmT1_PNSt15iterator_traitsISY_E10value_typeET2_T3_PNSZ_IS14_E10value_typeET4_jRbjT5_S1A_jjP12ihipStream_tbEUljE_EEESV_SW_SX_S14_S18_S1A_T6_T7_T9_mT8_S1C_bDpT10_ENKUlT_T0_E_clISt17integral_constantIbLb0EES1P_EEDaS1K_S1L_EUlS1K_E_NS1_11comp_targetILNS1_3genE8ELNS1_11target_archE1030ELNS1_3gpuE2ELNS1_3repE0EEENS1_30default_config_static_selectorELNS0_4arch9wavefront6targetE0EEEvSY_
		.amdhsa_group_segment_fixed_size 13320
		.amdhsa_private_segment_fixed_size 0
		.amdhsa_kernarg_size 144
		.amdhsa_user_sgpr_count 6
		.amdhsa_user_sgpr_private_segment_buffer 1
		.amdhsa_user_sgpr_dispatch_ptr 0
		.amdhsa_user_sgpr_queue_ptr 0
		.amdhsa_user_sgpr_kernarg_segment_ptr 1
		.amdhsa_user_sgpr_dispatch_id 0
		.amdhsa_user_sgpr_flat_scratch_init 0
		.amdhsa_user_sgpr_private_segment_size 0
		.amdhsa_wavefront_size32 1
		.amdhsa_uses_dynamic_stack 0
		.amdhsa_system_sgpr_private_segment_wavefront_offset 0
		.amdhsa_system_sgpr_workgroup_id_x 1
		.amdhsa_system_sgpr_workgroup_id_y 0
		.amdhsa_system_sgpr_workgroup_id_z 0
		.amdhsa_system_sgpr_workgroup_info 0
		.amdhsa_system_vgpr_workitem_id 0
		.amdhsa_next_free_vgpr 69
		.amdhsa_next_free_sgpr 27
		.amdhsa_reserve_vcc 1
		.amdhsa_reserve_flat_scratch 0
		.amdhsa_float_round_mode_32 0
		.amdhsa_float_round_mode_16_64 0
		.amdhsa_float_denorm_mode_32 3
		.amdhsa_float_denorm_mode_16_64 3
		.amdhsa_dx10_clamp 1
		.amdhsa_ieee_mode 1
		.amdhsa_fp16_overflow 0
		.amdhsa_workgroup_processor_mode 1
		.amdhsa_memory_ordered 1
		.amdhsa_forward_progress 1
		.amdhsa_shared_vgpr_count 0
		.amdhsa_exception_fp_ieee_invalid_op 0
		.amdhsa_exception_fp_denorm_src 0
		.amdhsa_exception_fp_ieee_div_zero 0
		.amdhsa_exception_fp_ieee_overflow 0
		.amdhsa_exception_fp_ieee_underflow 0
		.amdhsa_exception_fp_ieee_inexact 0
		.amdhsa_exception_int_div_zero 0
	.end_amdhsa_kernel
	.section	.text._ZN7rocprim17ROCPRIM_400000_NS6detail17trampoline_kernelINS0_13select_configILj256ELj13ELNS0_17block_load_methodE3ELS4_3ELS4_3ELNS0_20block_scan_algorithmE0ELj4294967295EEENS1_25partition_config_selectorILNS1_17partition_subalgoE3EjNS0_10empty_typeEbEEZZNS1_14partition_implILS8_3ELb0ES6_jNS0_17counting_iteratorIjlEEPS9_SE_NS0_5tupleIJPjSE_EEENSF_IJSE_SE_EEES9_SG_JZNS1_25segmented_radix_sort_implINS0_14default_configELb0EPKiPiPKlPlN2at6native12_GLOBAL__N_18offset_tEEE10hipError_tPvRmT1_PNSt15iterator_traitsISY_E10value_typeET2_T3_PNSZ_IS14_E10value_typeET4_jRbjT5_S1A_jjP12ihipStream_tbEUljE_EEESV_SW_SX_S14_S18_S1A_T6_T7_T9_mT8_S1C_bDpT10_ENKUlT_T0_E_clISt17integral_constantIbLb0EES1P_EEDaS1K_S1L_EUlS1K_E_NS1_11comp_targetILNS1_3genE8ELNS1_11target_archE1030ELNS1_3gpuE2ELNS1_3repE0EEENS1_30default_config_static_selectorELNS0_4arch9wavefront6targetE0EEEvSY_,"axG",@progbits,_ZN7rocprim17ROCPRIM_400000_NS6detail17trampoline_kernelINS0_13select_configILj256ELj13ELNS0_17block_load_methodE3ELS4_3ELS4_3ELNS0_20block_scan_algorithmE0ELj4294967295EEENS1_25partition_config_selectorILNS1_17partition_subalgoE3EjNS0_10empty_typeEbEEZZNS1_14partition_implILS8_3ELb0ES6_jNS0_17counting_iteratorIjlEEPS9_SE_NS0_5tupleIJPjSE_EEENSF_IJSE_SE_EEES9_SG_JZNS1_25segmented_radix_sort_implINS0_14default_configELb0EPKiPiPKlPlN2at6native12_GLOBAL__N_18offset_tEEE10hipError_tPvRmT1_PNSt15iterator_traitsISY_E10value_typeET2_T3_PNSZ_IS14_E10value_typeET4_jRbjT5_S1A_jjP12ihipStream_tbEUljE_EEESV_SW_SX_S14_S18_S1A_T6_T7_T9_mT8_S1C_bDpT10_ENKUlT_T0_E_clISt17integral_constantIbLb0EES1P_EEDaS1K_S1L_EUlS1K_E_NS1_11comp_targetILNS1_3genE8ELNS1_11target_archE1030ELNS1_3gpuE2ELNS1_3repE0EEENS1_30default_config_static_selectorELNS0_4arch9wavefront6targetE0EEEvSY_,comdat
.Lfunc_end570:
	.size	_ZN7rocprim17ROCPRIM_400000_NS6detail17trampoline_kernelINS0_13select_configILj256ELj13ELNS0_17block_load_methodE3ELS4_3ELS4_3ELNS0_20block_scan_algorithmE0ELj4294967295EEENS1_25partition_config_selectorILNS1_17partition_subalgoE3EjNS0_10empty_typeEbEEZZNS1_14partition_implILS8_3ELb0ES6_jNS0_17counting_iteratorIjlEEPS9_SE_NS0_5tupleIJPjSE_EEENSF_IJSE_SE_EEES9_SG_JZNS1_25segmented_radix_sort_implINS0_14default_configELb0EPKiPiPKlPlN2at6native12_GLOBAL__N_18offset_tEEE10hipError_tPvRmT1_PNSt15iterator_traitsISY_E10value_typeET2_T3_PNSZ_IS14_E10value_typeET4_jRbjT5_S1A_jjP12ihipStream_tbEUljE_EEESV_SW_SX_S14_S18_S1A_T6_T7_T9_mT8_S1C_bDpT10_ENKUlT_T0_E_clISt17integral_constantIbLb0EES1P_EEDaS1K_S1L_EUlS1K_E_NS1_11comp_targetILNS1_3genE8ELNS1_11target_archE1030ELNS1_3gpuE2ELNS1_3repE0EEENS1_30default_config_static_selectorELNS0_4arch9wavefront6targetE0EEEvSY_, .Lfunc_end570-_ZN7rocprim17ROCPRIM_400000_NS6detail17trampoline_kernelINS0_13select_configILj256ELj13ELNS0_17block_load_methodE3ELS4_3ELS4_3ELNS0_20block_scan_algorithmE0ELj4294967295EEENS1_25partition_config_selectorILNS1_17partition_subalgoE3EjNS0_10empty_typeEbEEZZNS1_14partition_implILS8_3ELb0ES6_jNS0_17counting_iteratorIjlEEPS9_SE_NS0_5tupleIJPjSE_EEENSF_IJSE_SE_EEES9_SG_JZNS1_25segmented_radix_sort_implINS0_14default_configELb0EPKiPiPKlPlN2at6native12_GLOBAL__N_18offset_tEEE10hipError_tPvRmT1_PNSt15iterator_traitsISY_E10value_typeET2_T3_PNSZ_IS14_E10value_typeET4_jRbjT5_S1A_jjP12ihipStream_tbEUljE_EEESV_SW_SX_S14_S18_S1A_T6_T7_T9_mT8_S1C_bDpT10_ENKUlT_T0_E_clISt17integral_constantIbLb0EES1P_EEDaS1K_S1L_EUlS1K_E_NS1_11comp_targetILNS1_3genE8ELNS1_11target_archE1030ELNS1_3gpuE2ELNS1_3repE0EEENS1_30default_config_static_selectorELNS0_4arch9wavefront6targetE0EEEvSY_
                                        ; -- End function
	.set _ZN7rocprim17ROCPRIM_400000_NS6detail17trampoline_kernelINS0_13select_configILj256ELj13ELNS0_17block_load_methodE3ELS4_3ELS4_3ELNS0_20block_scan_algorithmE0ELj4294967295EEENS1_25partition_config_selectorILNS1_17partition_subalgoE3EjNS0_10empty_typeEbEEZZNS1_14partition_implILS8_3ELb0ES6_jNS0_17counting_iteratorIjlEEPS9_SE_NS0_5tupleIJPjSE_EEENSF_IJSE_SE_EEES9_SG_JZNS1_25segmented_radix_sort_implINS0_14default_configELb0EPKiPiPKlPlN2at6native12_GLOBAL__N_18offset_tEEE10hipError_tPvRmT1_PNSt15iterator_traitsISY_E10value_typeET2_T3_PNSZ_IS14_E10value_typeET4_jRbjT5_S1A_jjP12ihipStream_tbEUljE_EEESV_SW_SX_S14_S18_S1A_T6_T7_T9_mT8_S1C_bDpT10_ENKUlT_T0_E_clISt17integral_constantIbLb0EES1P_EEDaS1K_S1L_EUlS1K_E_NS1_11comp_targetILNS1_3genE8ELNS1_11target_archE1030ELNS1_3gpuE2ELNS1_3repE0EEENS1_30default_config_static_selectorELNS0_4arch9wavefront6targetE0EEEvSY_.num_vgpr, 69
	.set _ZN7rocprim17ROCPRIM_400000_NS6detail17trampoline_kernelINS0_13select_configILj256ELj13ELNS0_17block_load_methodE3ELS4_3ELS4_3ELNS0_20block_scan_algorithmE0ELj4294967295EEENS1_25partition_config_selectorILNS1_17partition_subalgoE3EjNS0_10empty_typeEbEEZZNS1_14partition_implILS8_3ELb0ES6_jNS0_17counting_iteratorIjlEEPS9_SE_NS0_5tupleIJPjSE_EEENSF_IJSE_SE_EEES9_SG_JZNS1_25segmented_radix_sort_implINS0_14default_configELb0EPKiPiPKlPlN2at6native12_GLOBAL__N_18offset_tEEE10hipError_tPvRmT1_PNSt15iterator_traitsISY_E10value_typeET2_T3_PNSZ_IS14_E10value_typeET4_jRbjT5_S1A_jjP12ihipStream_tbEUljE_EEESV_SW_SX_S14_S18_S1A_T6_T7_T9_mT8_S1C_bDpT10_ENKUlT_T0_E_clISt17integral_constantIbLb0EES1P_EEDaS1K_S1L_EUlS1K_E_NS1_11comp_targetILNS1_3genE8ELNS1_11target_archE1030ELNS1_3gpuE2ELNS1_3repE0EEENS1_30default_config_static_selectorELNS0_4arch9wavefront6targetE0EEEvSY_.num_agpr, 0
	.set _ZN7rocprim17ROCPRIM_400000_NS6detail17trampoline_kernelINS0_13select_configILj256ELj13ELNS0_17block_load_methodE3ELS4_3ELS4_3ELNS0_20block_scan_algorithmE0ELj4294967295EEENS1_25partition_config_selectorILNS1_17partition_subalgoE3EjNS0_10empty_typeEbEEZZNS1_14partition_implILS8_3ELb0ES6_jNS0_17counting_iteratorIjlEEPS9_SE_NS0_5tupleIJPjSE_EEENSF_IJSE_SE_EEES9_SG_JZNS1_25segmented_radix_sort_implINS0_14default_configELb0EPKiPiPKlPlN2at6native12_GLOBAL__N_18offset_tEEE10hipError_tPvRmT1_PNSt15iterator_traitsISY_E10value_typeET2_T3_PNSZ_IS14_E10value_typeET4_jRbjT5_S1A_jjP12ihipStream_tbEUljE_EEESV_SW_SX_S14_S18_S1A_T6_T7_T9_mT8_S1C_bDpT10_ENKUlT_T0_E_clISt17integral_constantIbLb0EES1P_EEDaS1K_S1L_EUlS1K_E_NS1_11comp_targetILNS1_3genE8ELNS1_11target_archE1030ELNS1_3gpuE2ELNS1_3repE0EEENS1_30default_config_static_selectorELNS0_4arch9wavefront6targetE0EEEvSY_.numbered_sgpr, 27
	.set _ZN7rocprim17ROCPRIM_400000_NS6detail17trampoline_kernelINS0_13select_configILj256ELj13ELNS0_17block_load_methodE3ELS4_3ELS4_3ELNS0_20block_scan_algorithmE0ELj4294967295EEENS1_25partition_config_selectorILNS1_17partition_subalgoE3EjNS0_10empty_typeEbEEZZNS1_14partition_implILS8_3ELb0ES6_jNS0_17counting_iteratorIjlEEPS9_SE_NS0_5tupleIJPjSE_EEENSF_IJSE_SE_EEES9_SG_JZNS1_25segmented_radix_sort_implINS0_14default_configELb0EPKiPiPKlPlN2at6native12_GLOBAL__N_18offset_tEEE10hipError_tPvRmT1_PNSt15iterator_traitsISY_E10value_typeET2_T3_PNSZ_IS14_E10value_typeET4_jRbjT5_S1A_jjP12ihipStream_tbEUljE_EEESV_SW_SX_S14_S18_S1A_T6_T7_T9_mT8_S1C_bDpT10_ENKUlT_T0_E_clISt17integral_constantIbLb0EES1P_EEDaS1K_S1L_EUlS1K_E_NS1_11comp_targetILNS1_3genE8ELNS1_11target_archE1030ELNS1_3gpuE2ELNS1_3repE0EEENS1_30default_config_static_selectorELNS0_4arch9wavefront6targetE0EEEvSY_.num_named_barrier, 0
	.set _ZN7rocprim17ROCPRIM_400000_NS6detail17trampoline_kernelINS0_13select_configILj256ELj13ELNS0_17block_load_methodE3ELS4_3ELS4_3ELNS0_20block_scan_algorithmE0ELj4294967295EEENS1_25partition_config_selectorILNS1_17partition_subalgoE3EjNS0_10empty_typeEbEEZZNS1_14partition_implILS8_3ELb0ES6_jNS0_17counting_iteratorIjlEEPS9_SE_NS0_5tupleIJPjSE_EEENSF_IJSE_SE_EEES9_SG_JZNS1_25segmented_radix_sort_implINS0_14default_configELb0EPKiPiPKlPlN2at6native12_GLOBAL__N_18offset_tEEE10hipError_tPvRmT1_PNSt15iterator_traitsISY_E10value_typeET2_T3_PNSZ_IS14_E10value_typeET4_jRbjT5_S1A_jjP12ihipStream_tbEUljE_EEESV_SW_SX_S14_S18_S1A_T6_T7_T9_mT8_S1C_bDpT10_ENKUlT_T0_E_clISt17integral_constantIbLb0EES1P_EEDaS1K_S1L_EUlS1K_E_NS1_11comp_targetILNS1_3genE8ELNS1_11target_archE1030ELNS1_3gpuE2ELNS1_3repE0EEENS1_30default_config_static_selectorELNS0_4arch9wavefront6targetE0EEEvSY_.private_seg_size, 0
	.set _ZN7rocprim17ROCPRIM_400000_NS6detail17trampoline_kernelINS0_13select_configILj256ELj13ELNS0_17block_load_methodE3ELS4_3ELS4_3ELNS0_20block_scan_algorithmE0ELj4294967295EEENS1_25partition_config_selectorILNS1_17partition_subalgoE3EjNS0_10empty_typeEbEEZZNS1_14partition_implILS8_3ELb0ES6_jNS0_17counting_iteratorIjlEEPS9_SE_NS0_5tupleIJPjSE_EEENSF_IJSE_SE_EEES9_SG_JZNS1_25segmented_radix_sort_implINS0_14default_configELb0EPKiPiPKlPlN2at6native12_GLOBAL__N_18offset_tEEE10hipError_tPvRmT1_PNSt15iterator_traitsISY_E10value_typeET2_T3_PNSZ_IS14_E10value_typeET4_jRbjT5_S1A_jjP12ihipStream_tbEUljE_EEESV_SW_SX_S14_S18_S1A_T6_T7_T9_mT8_S1C_bDpT10_ENKUlT_T0_E_clISt17integral_constantIbLb0EES1P_EEDaS1K_S1L_EUlS1K_E_NS1_11comp_targetILNS1_3genE8ELNS1_11target_archE1030ELNS1_3gpuE2ELNS1_3repE0EEENS1_30default_config_static_selectorELNS0_4arch9wavefront6targetE0EEEvSY_.uses_vcc, 1
	.set _ZN7rocprim17ROCPRIM_400000_NS6detail17trampoline_kernelINS0_13select_configILj256ELj13ELNS0_17block_load_methodE3ELS4_3ELS4_3ELNS0_20block_scan_algorithmE0ELj4294967295EEENS1_25partition_config_selectorILNS1_17partition_subalgoE3EjNS0_10empty_typeEbEEZZNS1_14partition_implILS8_3ELb0ES6_jNS0_17counting_iteratorIjlEEPS9_SE_NS0_5tupleIJPjSE_EEENSF_IJSE_SE_EEES9_SG_JZNS1_25segmented_radix_sort_implINS0_14default_configELb0EPKiPiPKlPlN2at6native12_GLOBAL__N_18offset_tEEE10hipError_tPvRmT1_PNSt15iterator_traitsISY_E10value_typeET2_T3_PNSZ_IS14_E10value_typeET4_jRbjT5_S1A_jjP12ihipStream_tbEUljE_EEESV_SW_SX_S14_S18_S1A_T6_T7_T9_mT8_S1C_bDpT10_ENKUlT_T0_E_clISt17integral_constantIbLb0EES1P_EEDaS1K_S1L_EUlS1K_E_NS1_11comp_targetILNS1_3genE8ELNS1_11target_archE1030ELNS1_3gpuE2ELNS1_3repE0EEENS1_30default_config_static_selectorELNS0_4arch9wavefront6targetE0EEEvSY_.uses_flat_scratch, 0
	.set _ZN7rocprim17ROCPRIM_400000_NS6detail17trampoline_kernelINS0_13select_configILj256ELj13ELNS0_17block_load_methodE3ELS4_3ELS4_3ELNS0_20block_scan_algorithmE0ELj4294967295EEENS1_25partition_config_selectorILNS1_17partition_subalgoE3EjNS0_10empty_typeEbEEZZNS1_14partition_implILS8_3ELb0ES6_jNS0_17counting_iteratorIjlEEPS9_SE_NS0_5tupleIJPjSE_EEENSF_IJSE_SE_EEES9_SG_JZNS1_25segmented_radix_sort_implINS0_14default_configELb0EPKiPiPKlPlN2at6native12_GLOBAL__N_18offset_tEEE10hipError_tPvRmT1_PNSt15iterator_traitsISY_E10value_typeET2_T3_PNSZ_IS14_E10value_typeET4_jRbjT5_S1A_jjP12ihipStream_tbEUljE_EEESV_SW_SX_S14_S18_S1A_T6_T7_T9_mT8_S1C_bDpT10_ENKUlT_T0_E_clISt17integral_constantIbLb0EES1P_EEDaS1K_S1L_EUlS1K_E_NS1_11comp_targetILNS1_3genE8ELNS1_11target_archE1030ELNS1_3gpuE2ELNS1_3repE0EEENS1_30default_config_static_selectorELNS0_4arch9wavefront6targetE0EEEvSY_.has_dyn_sized_stack, 0
	.set _ZN7rocprim17ROCPRIM_400000_NS6detail17trampoline_kernelINS0_13select_configILj256ELj13ELNS0_17block_load_methodE3ELS4_3ELS4_3ELNS0_20block_scan_algorithmE0ELj4294967295EEENS1_25partition_config_selectorILNS1_17partition_subalgoE3EjNS0_10empty_typeEbEEZZNS1_14partition_implILS8_3ELb0ES6_jNS0_17counting_iteratorIjlEEPS9_SE_NS0_5tupleIJPjSE_EEENSF_IJSE_SE_EEES9_SG_JZNS1_25segmented_radix_sort_implINS0_14default_configELb0EPKiPiPKlPlN2at6native12_GLOBAL__N_18offset_tEEE10hipError_tPvRmT1_PNSt15iterator_traitsISY_E10value_typeET2_T3_PNSZ_IS14_E10value_typeET4_jRbjT5_S1A_jjP12ihipStream_tbEUljE_EEESV_SW_SX_S14_S18_S1A_T6_T7_T9_mT8_S1C_bDpT10_ENKUlT_T0_E_clISt17integral_constantIbLb0EES1P_EEDaS1K_S1L_EUlS1K_E_NS1_11comp_targetILNS1_3genE8ELNS1_11target_archE1030ELNS1_3gpuE2ELNS1_3repE0EEENS1_30default_config_static_selectorELNS0_4arch9wavefront6targetE0EEEvSY_.has_recursion, 0
	.set _ZN7rocprim17ROCPRIM_400000_NS6detail17trampoline_kernelINS0_13select_configILj256ELj13ELNS0_17block_load_methodE3ELS4_3ELS4_3ELNS0_20block_scan_algorithmE0ELj4294967295EEENS1_25partition_config_selectorILNS1_17partition_subalgoE3EjNS0_10empty_typeEbEEZZNS1_14partition_implILS8_3ELb0ES6_jNS0_17counting_iteratorIjlEEPS9_SE_NS0_5tupleIJPjSE_EEENSF_IJSE_SE_EEES9_SG_JZNS1_25segmented_radix_sort_implINS0_14default_configELb0EPKiPiPKlPlN2at6native12_GLOBAL__N_18offset_tEEE10hipError_tPvRmT1_PNSt15iterator_traitsISY_E10value_typeET2_T3_PNSZ_IS14_E10value_typeET4_jRbjT5_S1A_jjP12ihipStream_tbEUljE_EEESV_SW_SX_S14_S18_S1A_T6_T7_T9_mT8_S1C_bDpT10_ENKUlT_T0_E_clISt17integral_constantIbLb0EES1P_EEDaS1K_S1L_EUlS1K_E_NS1_11comp_targetILNS1_3genE8ELNS1_11target_archE1030ELNS1_3gpuE2ELNS1_3repE0EEENS1_30default_config_static_selectorELNS0_4arch9wavefront6targetE0EEEvSY_.has_indirect_call, 0
	.section	.AMDGPU.csdata,"",@progbits
; Kernel info:
; codeLenInByte = 8564
; TotalNumSgprs: 29
; NumVgprs: 69
; ScratchSize: 0
; MemoryBound: 0
; FloatMode: 240
; IeeeMode: 1
; LDSByteSize: 13320 bytes/workgroup (compile time only)
; SGPRBlocks: 0
; VGPRBlocks: 8
; NumSGPRsForWavesPerEU: 29
; NumVGPRsForWavesPerEU: 69
; Occupancy: 12
; WaveLimiterHint : 0
; COMPUTE_PGM_RSRC2:SCRATCH_EN: 0
; COMPUTE_PGM_RSRC2:USER_SGPR: 6
; COMPUTE_PGM_RSRC2:TRAP_HANDLER: 0
; COMPUTE_PGM_RSRC2:TGID_X_EN: 1
; COMPUTE_PGM_RSRC2:TGID_Y_EN: 0
; COMPUTE_PGM_RSRC2:TGID_Z_EN: 0
; COMPUTE_PGM_RSRC2:TIDIG_COMP_CNT: 0
	.section	.text._ZN7rocprim17ROCPRIM_400000_NS6detail17trampoline_kernelINS0_13select_configILj256ELj13ELNS0_17block_load_methodE3ELS4_3ELS4_3ELNS0_20block_scan_algorithmE0ELj4294967295EEENS1_25partition_config_selectorILNS1_17partition_subalgoE3EjNS0_10empty_typeEbEEZZNS1_14partition_implILS8_3ELb0ES6_jNS0_17counting_iteratorIjlEEPS9_SE_NS0_5tupleIJPjSE_EEENSF_IJSE_SE_EEES9_SG_JZNS1_25segmented_radix_sort_implINS0_14default_configELb0EPKiPiPKlPlN2at6native12_GLOBAL__N_18offset_tEEE10hipError_tPvRmT1_PNSt15iterator_traitsISY_E10value_typeET2_T3_PNSZ_IS14_E10value_typeET4_jRbjT5_S1A_jjP12ihipStream_tbEUljE_EEESV_SW_SX_S14_S18_S1A_T6_T7_T9_mT8_S1C_bDpT10_ENKUlT_T0_E_clISt17integral_constantIbLb1EES1P_EEDaS1K_S1L_EUlS1K_E_NS1_11comp_targetILNS1_3genE0ELNS1_11target_archE4294967295ELNS1_3gpuE0ELNS1_3repE0EEENS1_30default_config_static_selectorELNS0_4arch9wavefront6targetE0EEEvSY_,"axG",@progbits,_ZN7rocprim17ROCPRIM_400000_NS6detail17trampoline_kernelINS0_13select_configILj256ELj13ELNS0_17block_load_methodE3ELS4_3ELS4_3ELNS0_20block_scan_algorithmE0ELj4294967295EEENS1_25partition_config_selectorILNS1_17partition_subalgoE3EjNS0_10empty_typeEbEEZZNS1_14partition_implILS8_3ELb0ES6_jNS0_17counting_iteratorIjlEEPS9_SE_NS0_5tupleIJPjSE_EEENSF_IJSE_SE_EEES9_SG_JZNS1_25segmented_radix_sort_implINS0_14default_configELb0EPKiPiPKlPlN2at6native12_GLOBAL__N_18offset_tEEE10hipError_tPvRmT1_PNSt15iterator_traitsISY_E10value_typeET2_T3_PNSZ_IS14_E10value_typeET4_jRbjT5_S1A_jjP12ihipStream_tbEUljE_EEESV_SW_SX_S14_S18_S1A_T6_T7_T9_mT8_S1C_bDpT10_ENKUlT_T0_E_clISt17integral_constantIbLb1EES1P_EEDaS1K_S1L_EUlS1K_E_NS1_11comp_targetILNS1_3genE0ELNS1_11target_archE4294967295ELNS1_3gpuE0ELNS1_3repE0EEENS1_30default_config_static_selectorELNS0_4arch9wavefront6targetE0EEEvSY_,comdat
	.globl	_ZN7rocprim17ROCPRIM_400000_NS6detail17trampoline_kernelINS0_13select_configILj256ELj13ELNS0_17block_load_methodE3ELS4_3ELS4_3ELNS0_20block_scan_algorithmE0ELj4294967295EEENS1_25partition_config_selectorILNS1_17partition_subalgoE3EjNS0_10empty_typeEbEEZZNS1_14partition_implILS8_3ELb0ES6_jNS0_17counting_iteratorIjlEEPS9_SE_NS0_5tupleIJPjSE_EEENSF_IJSE_SE_EEES9_SG_JZNS1_25segmented_radix_sort_implINS0_14default_configELb0EPKiPiPKlPlN2at6native12_GLOBAL__N_18offset_tEEE10hipError_tPvRmT1_PNSt15iterator_traitsISY_E10value_typeET2_T3_PNSZ_IS14_E10value_typeET4_jRbjT5_S1A_jjP12ihipStream_tbEUljE_EEESV_SW_SX_S14_S18_S1A_T6_T7_T9_mT8_S1C_bDpT10_ENKUlT_T0_E_clISt17integral_constantIbLb1EES1P_EEDaS1K_S1L_EUlS1K_E_NS1_11comp_targetILNS1_3genE0ELNS1_11target_archE4294967295ELNS1_3gpuE0ELNS1_3repE0EEENS1_30default_config_static_selectorELNS0_4arch9wavefront6targetE0EEEvSY_ ; -- Begin function _ZN7rocprim17ROCPRIM_400000_NS6detail17trampoline_kernelINS0_13select_configILj256ELj13ELNS0_17block_load_methodE3ELS4_3ELS4_3ELNS0_20block_scan_algorithmE0ELj4294967295EEENS1_25partition_config_selectorILNS1_17partition_subalgoE3EjNS0_10empty_typeEbEEZZNS1_14partition_implILS8_3ELb0ES6_jNS0_17counting_iteratorIjlEEPS9_SE_NS0_5tupleIJPjSE_EEENSF_IJSE_SE_EEES9_SG_JZNS1_25segmented_radix_sort_implINS0_14default_configELb0EPKiPiPKlPlN2at6native12_GLOBAL__N_18offset_tEEE10hipError_tPvRmT1_PNSt15iterator_traitsISY_E10value_typeET2_T3_PNSZ_IS14_E10value_typeET4_jRbjT5_S1A_jjP12ihipStream_tbEUljE_EEESV_SW_SX_S14_S18_S1A_T6_T7_T9_mT8_S1C_bDpT10_ENKUlT_T0_E_clISt17integral_constantIbLb1EES1P_EEDaS1K_S1L_EUlS1K_E_NS1_11comp_targetILNS1_3genE0ELNS1_11target_archE4294967295ELNS1_3gpuE0ELNS1_3repE0EEENS1_30default_config_static_selectorELNS0_4arch9wavefront6targetE0EEEvSY_
	.p2align	8
	.type	_ZN7rocprim17ROCPRIM_400000_NS6detail17trampoline_kernelINS0_13select_configILj256ELj13ELNS0_17block_load_methodE3ELS4_3ELS4_3ELNS0_20block_scan_algorithmE0ELj4294967295EEENS1_25partition_config_selectorILNS1_17partition_subalgoE3EjNS0_10empty_typeEbEEZZNS1_14partition_implILS8_3ELb0ES6_jNS0_17counting_iteratorIjlEEPS9_SE_NS0_5tupleIJPjSE_EEENSF_IJSE_SE_EEES9_SG_JZNS1_25segmented_radix_sort_implINS0_14default_configELb0EPKiPiPKlPlN2at6native12_GLOBAL__N_18offset_tEEE10hipError_tPvRmT1_PNSt15iterator_traitsISY_E10value_typeET2_T3_PNSZ_IS14_E10value_typeET4_jRbjT5_S1A_jjP12ihipStream_tbEUljE_EEESV_SW_SX_S14_S18_S1A_T6_T7_T9_mT8_S1C_bDpT10_ENKUlT_T0_E_clISt17integral_constantIbLb1EES1P_EEDaS1K_S1L_EUlS1K_E_NS1_11comp_targetILNS1_3genE0ELNS1_11target_archE4294967295ELNS1_3gpuE0ELNS1_3repE0EEENS1_30default_config_static_selectorELNS0_4arch9wavefront6targetE0EEEvSY_,@function
_ZN7rocprim17ROCPRIM_400000_NS6detail17trampoline_kernelINS0_13select_configILj256ELj13ELNS0_17block_load_methodE3ELS4_3ELS4_3ELNS0_20block_scan_algorithmE0ELj4294967295EEENS1_25partition_config_selectorILNS1_17partition_subalgoE3EjNS0_10empty_typeEbEEZZNS1_14partition_implILS8_3ELb0ES6_jNS0_17counting_iteratorIjlEEPS9_SE_NS0_5tupleIJPjSE_EEENSF_IJSE_SE_EEES9_SG_JZNS1_25segmented_radix_sort_implINS0_14default_configELb0EPKiPiPKlPlN2at6native12_GLOBAL__N_18offset_tEEE10hipError_tPvRmT1_PNSt15iterator_traitsISY_E10value_typeET2_T3_PNSZ_IS14_E10value_typeET4_jRbjT5_S1A_jjP12ihipStream_tbEUljE_EEESV_SW_SX_S14_S18_S1A_T6_T7_T9_mT8_S1C_bDpT10_ENKUlT_T0_E_clISt17integral_constantIbLb1EES1P_EEDaS1K_S1L_EUlS1K_E_NS1_11comp_targetILNS1_3genE0ELNS1_11target_archE4294967295ELNS1_3gpuE0ELNS1_3repE0EEENS1_30default_config_static_selectorELNS0_4arch9wavefront6targetE0EEEvSY_: ; @_ZN7rocprim17ROCPRIM_400000_NS6detail17trampoline_kernelINS0_13select_configILj256ELj13ELNS0_17block_load_methodE3ELS4_3ELS4_3ELNS0_20block_scan_algorithmE0ELj4294967295EEENS1_25partition_config_selectorILNS1_17partition_subalgoE3EjNS0_10empty_typeEbEEZZNS1_14partition_implILS8_3ELb0ES6_jNS0_17counting_iteratorIjlEEPS9_SE_NS0_5tupleIJPjSE_EEENSF_IJSE_SE_EEES9_SG_JZNS1_25segmented_radix_sort_implINS0_14default_configELb0EPKiPiPKlPlN2at6native12_GLOBAL__N_18offset_tEEE10hipError_tPvRmT1_PNSt15iterator_traitsISY_E10value_typeET2_T3_PNSZ_IS14_E10value_typeET4_jRbjT5_S1A_jjP12ihipStream_tbEUljE_EEESV_SW_SX_S14_S18_S1A_T6_T7_T9_mT8_S1C_bDpT10_ENKUlT_T0_E_clISt17integral_constantIbLb1EES1P_EEDaS1K_S1L_EUlS1K_E_NS1_11comp_targetILNS1_3genE0ELNS1_11target_archE4294967295ELNS1_3gpuE0ELNS1_3repE0EEENS1_30default_config_static_selectorELNS0_4arch9wavefront6targetE0EEEvSY_
; %bb.0:
	.section	.rodata,"a",@progbits
	.p2align	6, 0x0
	.amdhsa_kernel _ZN7rocprim17ROCPRIM_400000_NS6detail17trampoline_kernelINS0_13select_configILj256ELj13ELNS0_17block_load_methodE3ELS4_3ELS4_3ELNS0_20block_scan_algorithmE0ELj4294967295EEENS1_25partition_config_selectorILNS1_17partition_subalgoE3EjNS0_10empty_typeEbEEZZNS1_14partition_implILS8_3ELb0ES6_jNS0_17counting_iteratorIjlEEPS9_SE_NS0_5tupleIJPjSE_EEENSF_IJSE_SE_EEES9_SG_JZNS1_25segmented_radix_sort_implINS0_14default_configELb0EPKiPiPKlPlN2at6native12_GLOBAL__N_18offset_tEEE10hipError_tPvRmT1_PNSt15iterator_traitsISY_E10value_typeET2_T3_PNSZ_IS14_E10value_typeET4_jRbjT5_S1A_jjP12ihipStream_tbEUljE_EEESV_SW_SX_S14_S18_S1A_T6_T7_T9_mT8_S1C_bDpT10_ENKUlT_T0_E_clISt17integral_constantIbLb1EES1P_EEDaS1K_S1L_EUlS1K_E_NS1_11comp_targetILNS1_3genE0ELNS1_11target_archE4294967295ELNS1_3gpuE0ELNS1_3repE0EEENS1_30default_config_static_selectorELNS0_4arch9wavefront6targetE0EEEvSY_
		.amdhsa_group_segment_fixed_size 0
		.amdhsa_private_segment_fixed_size 0
		.amdhsa_kernarg_size 152
		.amdhsa_user_sgpr_count 6
		.amdhsa_user_sgpr_private_segment_buffer 1
		.amdhsa_user_sgpr_dispatch_ptr 0
		.amdhsa_user_sgpr_queue_ptr 0
		.amdhsa_user_sgpr_kernarg_segment_ptr 1
		.amdhsa_user_sgpr_dispatch_id 0
		.amdhsa_user_sgpr_flat_scratch_init 0
		.amdhsa_user_sgpr_private_segment_size 0
		.amdhsa_wavefront_size32 1
		.amdhsa_uses_dynamic_stack 0
		.amdhsa_system_sgpr_private_segment_wavefront_offset 0
		.amdhsa_system_sgpr_workgroup_id_x 1
		.amdhsa_system_sgpr_workgroup_id_y 0
		.amdhsa_system_sgpr_workgroup_id_z 0
		.amdhsa_system_sgpr_workgroup_info 0
		.amdhsa_system_vgpr_workitem_id 0
		.amdhsa_next_free_vgpr 1
		.amdhsa_next_free_sgpr 1
		.amdhsa_reserve_vcc 0
		.amdhsa_reserve_flat_scratch 0
		.amdhsa_float_round_mode_32 0
		.amdhsa_float_round_mode_16_64 0
		.amdhsa_float_denorm_mode_32 3
		.amdhsa_float_denorm_mode_16_64 3
		.amdhsa_dx10_clamp 1
		.amdhsa_ieee_mode 1
		.amdhsa_fp16_overflow 0
		.amdhsa_workgroup_processor_mode 1
		.amdhsa_memory_ordered 1
		.amdhsa_forward_progress 1
		.amdhsa_shared_vgpr_count 0
		.amdhsa_exception_fp_ieee_invalid_op 0
		.amdhsa_exception_fp_denorm_src 0
		.amdhsa_exception_fp_ieee_div_zero 0
		.amdhsa_exception_fp_ieee_overflow 0
		.amdhsa_exception_fp_ieee_underflow 0
		.amdhsa_exception_fp_ieee_inexact 0
		.amdhsa_exception_int_div_zero 0
	.end_amdhsa_kernel
	.section	.text._ZN7rocprim17ROCPRIM_400000_NS6detail17trampoline_kernelINS0_13select_configILj256ELj13ELNS0_17block_load_methodE3ELS4_3ELS4_3ELNS0_20block_scan_algorithmE0ELj4294967295EEENS1_25partition_config_selectorILNS1_17partition_subalgoE3EjNS0_10empty_typeEbEEZZNS1_14partition_implILS8_3ELb0ES6_jNS0_17counting_iteratorIjlEEPS9_SE_NS0_5tupleIJPjSE_EEENSF_IJSE_SE_EEES9_SG_JZNS1_25segmented_radix_sort_implINS0_14default_configELb0EPKiPiPKlPlN2at6native12_GLOBAL__N_18offset_tEEE10hipError_tPvRmT1_PNSt15iterator_traitsISY_E10value_typeET2_T3_PNSZ_IS14_E10value_typeET4_jRbjT5_S1A_jjP12ihipStream_tbEUljE_EEESV_SW_SX_S14_S18_S1A_T6_T7_T9_mT8_S1C_bDpT10_ENKUlT_T0_E_clISt17integral_constantIbLb1EES1P_EEDaS1K_S1L_EUlS1K_E_NS1_11comp_targetILNS1_3genE0ELNS1_11target_archE4294967295ELNS1_3gpuE0ELNS1_3repE0EEENS1_30default_config_static_selectorELNS0_4arch9wavefront6targetE0EEEvSY_,"axG",@progbits,_ZN7rocprim17ROCPRIM_400000_NS6detail17trampoline_kernelINS0_13select_configILj256ELj13ELNS0_17block_load_methodE3ELS4_3ELS4_3ELNS0_20block_scan_algorithmE0ELj4294967295EEENS1_25partition_config_selectorILNS1_17partition_subalgoE3EjNS0_10empty_typeEbEEZZNS1_14partition_implILS8_3ELb0ES6_jNS0_17counting_iteratorIjlEEPS9_SE_NS0_5tupleIJPjSE_EEENSF_IJSE_SE_EEES9_SG_JZNS1_25segmented_radix_sort_implINS0_14default_configELb0EPKiPiPKlPlN2at6native12_GLOBAL__N_18offset_tEEE10hipError_tPvRmT1_PNSt15iterator_traitsISY_E10value_typeET2_T3_PNSZ_IS14_E10value_typeET4_jRbjT5_S1A_jjP12ihipStream_tbEUljE_EEESV_SW_SX_S14_S18_S1A_T6_T7_T9_mT8_S1C_bDpT10_ENKUlT_T0_E_clISt17integral_constantIbLb1EES1P_EEDaS1K_S1L_EUlS1K_E_NS1_11comp_targetILNS1_3genE0ELNS1_11target_archE4294967295ELNS1_3gpuE0ELNS1_3repE0EEENS1_30default_config_static_selectorELNS0_4arch9wavefront6targetE0EEEvSY_,comdat
.Lfunc_end571:
	.size	_ZN7rocprim17ROCPRIM_400000_NS6detail17trampoline_kernelINS0_13select_configILj256ELj13ELNS0_17block_load_methodE3ELS4_3ELS4_3ELNS0_20block_scan_algorithmE0ELj4294967295EEENS1_25partition_config_selectorILNS1_17partition_subalgoE3EjNS0_10empty_typeEbEEZZNS1_14partition_implILS8_3ELb0ES6_jNS0_17counting_iteratorIjlEEPS9_SE_NS0_5tupleIJPjSE_EEENSF_IJSE_SE_EEES9_SG_JZNS1_25segmented_radix_sort_implINS0_14default_configELb0EPKiPiPKlPlN2at6native12_GLOBAL__N_18offset_tEEE10hipError_tPvRmT1_PNSt15iterator_traitsISY_E10value_typeET2_T3_PNSZ_IS14_E10value_typeET4_jRbjT5_S1A_jjP12ihipStream_tbEUljE_EEESV_SW_SX_S14_S18_S1A_T6_T7_T9_mT8_S1C_bDpT10_ENKUlT_T0_E_clISt17integral_constantIbLb1EES1P_EEDaS1K_S1L_EUlS1K_E_NS1_11comp_targetILNS1_3genE0ELNS1_11target_archE4294967295ELNS1_3gpuE0ELNS1_3repE0EEENS1_30default_config_static_selectorELNS0_4arch9wavefront6targetE0EEEvSY_, .Lfunc_end571-_ZN7rocprim17ROCPRIM_400000_NS6detail17trampoline_kernelINS0_13select_configILj256ELj13ELNS0_17block_load_methodE3ELS4_3ELS4_3ELNS0_20block_scan_algorithmE0ELj4294967295EEENS1_25partition_config_selectorILNS1_17partition_subalgoE3EjNS0_10empty_typeEbEEZZNS1_14partition_implILS8_3ELb0ES6_jNS0_17counting_iteratorIjlEEPS9_SE_NS0_5tupleIJPjSE_EEENSF_IJSE_SE_EEES9_SG_JZNS1_25segmented_radix_sort_implINS0_14default_configELb0EPKiPiPKlPlN2at6native12_GLOBAL__N_18offset_tEEE10hipError_tPvRmT1_PNSt15iterator_traitsISY_E10value_typeET2_T3_PNSZ_IS14_E10value_typeET4_jRbjT5_S1A_jjP12ihipStream_tbEUljE_EEESV_SW_SX_S14_S18_S1A_T6_T7_T9_mT8_S1C_bDpT10_ENKUlT_T0_E_clISt17integral_constantIbLb1EES1P_EEDaS1K_S1L_EUlS1K_E_NS1_11comp_targetILNS1_3genE0ELNS1_11target_archE4294967295ELNS1_3gpuE0ELNS1_3repE0EEENS1_30default_config_static_selectorELNS0_4arch9wavefront6targetE0EEEvSY_
                                        ; -- End function
	.set _ZN7rocprim17ROCPRIM_400000_NS6detail17trampoline_kernelINS0_13select_configILj256ELj13ELNS0_17block_load_methodE3ELS4_3ELS4_3ELNS0_20block_scan_algorithmE0ELj4294967295EEENS1_25partition_config_selectorILNS1_17partition_subalgoE3EjNS0_10empty_typeEbEEZZNS1_14partition_implILS8_3ELb0ES6_jNS0_17counting_iteratorIjlEEPS9_SE_NS0_5tupleIJPjSE_EEENSF_IJSE_SE_EEES9_SG_JZNS1_25segmented_radix_sort_implINS0_14default_configELb0EPKiPiPKlPlN2at6native12_GLOBAL__N_18offset_tEEE10hipError_tPvRmT1_PNSt15iterator_traitsISY_E10value_typeET2_T3_PNSZ_IS14_E10value_typeET4_jRbjT5_S1A_jjP12ihipStream_tbEUljE_EEESV_SW_SX_S14_S18_S1A_T6_T7_T9_mT8_S1C_bDpT10_ENKUlT_T0_E_clISt17integral_constantIbLb1EES1P_EEDaS1K_S1L_EUlS1K_E_NS1_11comp_targetILNS1_3genE0ELNS1_11target_archE4294967295ELNS1_3gpuE0ELNS1_3repE0EEENS1_30default_config_static_selectorELNS0_4arch9wavefront6targetE0EEEvSY_.num_vgpr, 0
	.set _ZN7rocprim17ROCPRIM_400000_NS6detail17trampoline_kernelINS0_13select_configILj256ELj13ELNS0_17block_load_methodE3ELS4_3ELS4_3ELNS0_20block_scan_algorithmE0ELj4294967295EEENS1_25partition_config_selectorILNS1_17partition_subalgoE3EjNS0_10empty_typeEbEEZZNS1_14partition_implILS8_3ELb0ES6_jNS0_17counting_iteratorIjlEEPS9_SE_NS0_5tupleIJPjSE_EEENSF_IJSE_SE_EEES9_SG_JZNS1_25segmented_radix_sort_implINS0_14default_configELb0EPKiPiPKlPlN2at6native12_GLOBAL__N_18offset_tEEE10hipError_tPvRmT1_PNSt15iterator_traitsISY_E10value_typeET2_T3_PNSZ_IS14_E10value_typeET4_jRbjT5_S1A_jjP12ihipStream_tbEUljE_EEESV_SW_SX_S14_S18_S1A_T6_T7_T9_mT8_S1C_bDpT10_ENKUlT_T0_E_clISt17integral_constantIbLb1EES1P_EEDaS1K_S1L_EUlS1K_E_NS1_11comp_targetILNS1_3genE0ELNS1_11target_archE4294967295ELNS1_3gpuE0ELNS1_3repE0EEENS1_30default_config_static_selectorELNS0_4arch9wavefront6targetE0EEEvSY_.num_agpr, 0
	.set _ZN7rocprim17ROCPRIM_400000_NS6detail17trampoline_kernelINS0_13select_configILj256ELj13ELNS0_17block_load_methodE3ELS4_3ELS4_3ELNS0_20block_scan_algorithmE0ELj4294967295EEENS1_25partition_config_selectorILNS1_17partition_subalgoE3EjNS0_10empty_typeEbEEZZNS1_14partition_implILS8_3ELb0ES6_jNS0_17counting_iteratorIjlEEPS9_SE_NS0_5tupleIJPjSE_EEENSF_IJSE_SE_EEES9_SG_JZNS1_25segmented_radix_sort_implINS0_14default_configELb0EPKiPiPKlPlN2at6native12_GLOBAL__N_18offset_tEEE10hipError_tPvRmT1_PNSt15iterator_traitsISY_E10value_typeET2_T3_PNSZ_IS14_E10value_typeET4_jRbjT5_S1A_jjP12ihipStream_tbEUljE_EEESV_SW_SX_S14_S18_S1A_T6_T7_T9_mT8_S1C_bDpT10_ENKUlT_T0_E_clISt17integral_constantIbLb1EES1P_EEDaS1K_S1L_EUlS1K_E_NS1_11comp_targetILNS1_3genE0ELNS1_11target_archE4294967295ELNS1_3gpuE0ELNS1_3repE0EEENS1_30default_config_static_selectorELNS0_4arch9wavefront6targetE0EEEvSY_.numbered_sgpr, 0
	.set _ZN7rocprim17ROCPRIM_400000_NS6detail17trampoline_kernelINS0_13select_configILj256ELj13ELNS0_17block_load_methodE3ELS4_3ELS4_3ELNS0_20block_scan_algorithmE0ELj4294967295EEENS1_25partition_config_selectorILNS1_17partition_subalgoE3EjNS0_10empty_typeEbEEZZNS1_14partition_implILS8_3ELb0ES6_jNS0_17counting_iteratorIjlEEPS9_SE_NS0_5tupleIJPjSE_EEENSF_IJSE_SE_EEES9_SG_JZNS1_25segmented_radix_sort_implINS0_14default_configELb0EPKiPiPKlPlN2at6native12_GLOBAL__N_18offset_tEEE10hipError_tPvRmT1_PNSt15iterator_traitsISY_E10value_typeET2_T3_PNSZ_IS14_E10value_typeET4_jRbjT5_S1A_jjP12ihipStream_tbEUljE_EEESV_SW_SX_S14_S18_S1A_T6_T7_T9_mT8_S1C_bDpT10_ENKUlT_T0_E_clISt17integral_constantIbLb1EES1P_EEDaS1K_S1L_EUlS1K_E_NS1_11comp_targetILNS1_3genE0ELNS1_11target_archE4294967295ELNS1_3gpuE0ELNS1_3repE0EEENS1_30default_config_static_selectorELNS0_4arch9wavefront6targetE0EEEvSY_.num_named_barrier, 0
	.set _ZN7rocprim17ROCPRIM_400000_NS6detail17trampoline_kernelINS0_13select_configILj256ELj13ELNS0_17block_load_methodE3ELS4_3ELS4_3ELNS0_20block_scan_algorithmE0ELj4294967295EEENS1_25partition_config_selectorILNS1_17partition_subalgoE3EjNS0_10empty_typeEbEEZZNS1_14partition_implILS8_3ELb0ES6_jNS0_17counting_iteratorIjlEEPS9_SE_NS0_5tupleIJPjSE_EEENSF_IJSE_SE_EEES9_SG_JZNS1_25segmented_radix_sort_implINS0_14default_configELb0EPKiPiPKlPlN2at6native12_GLOBAL__N_18offset_tEEE10hipError_tPvRmT1_PNSt15iterator_traitsISY_E10value_typeET2_T3_PNSZ_IS14_E10value_typeET4_jRbjT5_S1A_jjP12ihipStream_tbEUljE_EEESV_SW_SX_S14_S18_S1A_T6_T7_T9_mT8_S1C_bDpT10_ENKUlT_T0_E_clISt17integral_constantIbLb1EES1P_EEDaS1K_S1L_EUlS1K_E_NS1_11comp_targetILNS1_3genE0ELNS1_11target_archE4294967295ELNS1_3gpuE0ELNS1_3repE0EEENS1_30default_config_static_selectorELNS0_4arch9wavefront6targetE0EEEvSY_.private_seg_size, 0
	.set _ZN7rocprim17ROCPRIM_400000_NS6detail17trampoline_kernelINS0_13select_configILj256ELj13ELNS0_17block_load_methodE3ELS4_3ELS4_3ELNS0_20block_scan_algorithmE0ELj4294967295EEENS1_25partition_config_selectorILNS1_17partition_subalgoE3EjNS0_10empty_typeEbEEZZNS1_14partition_implILS8_3ELb0ES6_jNS0_17counting_iteratorIjlEEPS9_SE_NS0_5tupleIJPjSE_EEENSF_IJSE_SE_EEES9_SG_JZNS1_25segmented_radix_sort_implINS0_14default_configELb0EPKiPiPKlPlN2at6native12_GLOBAL__N_18offset_tEEE10hipError_tPvRmT1_PNSt15iterator_traitsISY_E10value_typeET2_T3_PNSZ_IS14_E10value_typeET4_jRbjT5_S1A_jjP12ihipStream_tbEUljE_EEESV_SW_SX_S14_S18_S1A_T6_T7_T9_mT8_S1C_bDpT10_ENKUlT_T0_E_clISt17integral_constantIbLb1EES1P_EEDaS1K_S1L_EUlS1K_E_NS1_11comp_targetILNS1_3genE0ELNS1_11target_archE4294967295ELNS1_3gpuE0ELNS1_3repE0EEENS1_30default_config_static_selectorELNS0_4arch9wavefront6targetE0EEEvSY_.uses_vcc, 0
	.set _ZN7rocprim17ROCPRIM_400000_NS6detail17trampoline_kernelINS0_13select_configILj256ELj13ELNS0_17block_load_methodE3ELS4_3ELS4_3ELNS0_20block_scan_algorithmE0ELj4294967295EEENS1_25partition_config_selectorILNS1_17partition_subalgoE3EjNS0_10empty_typeEbEEZZNS1_14partition_implILS8_3ELb0ES6_jNS0_17counting_iteratorIjlEEPS9_SE_NS0_5tupleIJPjSE_EEENSF_IJSE_SE_EEES9_SG_JZNS1_25segmented_radix_sort_implINS0_14default_configELb0EPKiPiPKlPlN2at6native12_GLOBAL__N_18offset_tEEE10hipError_tPvRmT1_PNSt15iterator_traitsISY_E10value_typeET2_T3_PNSZ_IS14_E10value_typeET4_jRbjT5_S1A_jjP12ihipStream_tbEUljE_EEESV_SW_SX_S14_S18_S1A_T6_T7_T9_mT8_S1C_bDpT10_ENKUlT_T0_E_clISt17integral_constantIbLb1EES1P_EEDaS1K_S1L_EUlS1K_E_NS1_11comp_targetILNS1_3genE0ELNS1_11target_archE4294967295ELNS1_3gpuE0ELNS1_3repE0EEENS1_30default_config_static_selectorELNS0_4arch9wavefront6targetE0EEEvSY_.uses_flat_scratch, 0
	.set _ZN7rocprim17ROCPRIM_400000_NS6detail17trampoline_kernelINS0_13select_configILj256ELj13ELNS0_17block_load_methodE3ELS4_3ELS4_3ELNS0_20block_scan_algorithmE0ELj4294967295EEENS1_25partition_config_selectorILNS1_17partition_subalgoE3EjNS0_10empty_typeEbEEZZNS1_14partition_implILS8_3ELb0ES6_jNS0_17counting_iteratorIjlEEPS9_SE_NS0_5tupleIJPjSE_EEENSF_IJSE_SE_EEES9_SG_JZNS1_25segmented_radix_sort_implINS0_14default_configELb0EPKiPiPKlPlN2at6native12_GLOBAL__N_18offset_tEEE10hipError_tPvRmT1_PNSt15iterator_traitsISY_E10value_typeET2_T3_PNSZ_IS14_E10value_typeET4_jRbjT5_S1A_jjP12ihipStream_tbEUljE_EEESV_SW_SX_S14_S18_S1A_T6_T7_T9_mT8_S1C_bDpT10_ENKUlT_T0_E_clISt17integral_constantIbLb1EES1P_EEDaS1K_S1L_EUlS1K_E_NS1_11comp_targetILNS1_3genE0ELNS1_11target_archE4294967295ELNS1_3gpuE0ELNS1_3repE0EEENS1_30default_config_static_selectorELNS0_4arch9wavefront6targetE0EEEvSY_.has_dyn_sized_stack, 0
	.set _ZN7rocprim17ROCPRIM_400000_NS6detail17trampoline_kernelINS0_13select_configILj256ELj13ELNS0_17block_load_methodE3ELS4_3ELS4_3ELNS0_20block_scan_algorithmE0ELj4294967295EEENS1_25partition_config_selectorILNS1_17partition_subalgoE3EjNS0_10empty_typeEbEEZZNS1_14partition_implILS8_3ELb0ES6_jNS0_17counting_iteratorIjlEEPS9_SE_NS0_5tupleIJPjSE_EEENSF_IJSE_SE_EEES9_SG_JZNS1_25segmented_radix_sort_implINS0_14default_configELb0EPKiPiPKlPlN2at6native12_GLOBAL__N_18offset_tEEE10hipError_tPvRmT1_PNSt15iterator_traitsISY_E10value_typeET2_T3_PNSZ_IS14_E10value_typeET4_jRbjT5_S1A_jjP12ihipStream_tbEUljE_EEESV_SW_SX_S14_S18_S1A_T6_T7_T9_mT8_S1C_bDpT10_ENKUlT_T0_E_clISt17integral_constantIbLb1EES1P_EEDaS1K_S1L_EUlS1K_E_NS1_11comp_targetILNS1_3genE0ELNS1_11target_archE4294967295ELNS1_3gpuE0ELNS1_3repE0EEENS1_30default_config_static_selectorELNS0_4arch9wavefront6targetE0EEEvSY_.has_recursion, 0
	.set _ZN7rocprim17ROCPRIM_400000_NS6detail17trampoline_kernelINS0_13select_configILj256ELj13ELNS0_17block_load_methodE3ELS4_3ELS4_3ELNS0_20block_scan_algorithmE0ELj4294967295EEENS1_25partition_config_selectorILNS1_17partition_subalgoE3EjNS0_10empty_typeEbEEZZNS1_14partition_implILS8_3ELb0ES6_jNS0_17counting_iteratorIjlEEPS9_SE_NS0_5tupleIJPjSE_EEENSF_IJSE_SE_EEES9_SG_JZNS1_25segmented_radix_sort_implINS0_14default_configELb0EPKiPiPKlPlN2at6native12_GLOBAL__N_18offset_tEEE10hipError_tPvRmT1_PNSt15iterator_traitsISY_E10value_typeET2_T3_PNSZ_IS14_E10value_typeET4_jRbjT5_S1A_jjP12ihipStream_tbEUljE_EEESV_SW_SX_S14_S18_S1A_T6_T7_T9_mT8_S1C_bDpT10_ENKUlT_T0_E_clISt17integral_constantIbLb1EES1P_EEDaS1K_S1L_EUlS1K_E_NS1_11comp_targetILNS1_3genE0ELNS1_11target_archE4294967295ELNS1_3gpuE0ELNS1_3repE0EEENS1_30default_config_static_selectorELNS0_4arch9wavefront6targetE0EEEvSY_.has_indirect_call, 0
	.section	.AMDGPU.csdata,"",@progbits
; Kernel info:
; codeLenInByte = 0
; TotalNumSgprs: 0
; NumVgprs: 0
; ScratchSize: 0
; MemoryBound: 0
; FloatMode: 240
; IeeeMode: 1
; LDSByteSize: 0 bytes/workgroup (compile time only)
; SGPRBlocks: 0
; VGPRBlocks: 0
; NumSGPRsForWavesPerEU: 1
; NumVGPRsForWavesPerEU: 1
; Occupancy: 16
; WaveLimiterHint : 0
; COMPUTE_PGM_RSRC2:SCRATCH_EN: 0
; COMPUTE_PGM_RSRC2:USER_SGPR: 6
; COMPUTE_PGM_RSRC2:TRAP_HANDLER: 0
; COMPUTE_PGM_RSRC2:TGID_X_EN: 1
; COMPUTE_PGM_RSRC2:TGID_Y_EN: 0
; COMPUTE_PGM_RSRC2:TGID_Z_EN: 0
; COMPUTE_PGM_RSRC2:TIDIG_COMP_CNT: 0
	.section	.text._ZN7rocprim17ROCPRIM_400000_NS6detail17trampoline_kernelINS0_13select_configILj256ELj13ELNS0_17block_load_methodE3ELS4_3ELS4_3ELNS0_20block_scan_algorithmE0ELj4294967295EEENS1_25partition_config_selectorILNS1_17partition_subalgoE3EjNS0_10empty_typeEbEEZZNS1_14partition_implILS8_3ELb0ES6_jNS0_17counting_iteratorIjlEEPS9_SE_NS0_5tupleIJPjSE_EEENSF_IJSE_SE_EEES9_SG_JZNS1_25segmented_radix_sort_implINS0_14default_configELb0EPKiPiPKlPlN2at6native12_GLOBAL__N_18offset_tEEE10hipError_tPvRmT1_PNSt15iterator_traitsISY_E10value_typeET2_T3_PNSZ_IS14_E10value_typeET4_jRbjT5_S1A_jjP12ihipStream_tbEUljE_EEESV_SW_SX_S14_S18_S1A_T6_T7_T9_mT8_S1C_bDpT10_ENKUlT_T0_E_clISt17integral_constantIbLb1EES1P_EEDaS1K_S1L_EUlS1K_E_NS1_11comp_targetILNS1_3genE5ELNS1_11target_archE942ELNS1_3gpuE9ELNS1_3repE0EEENS1_30default_config_static_selectorELNS0_4arch9wavefront6targetE0EEEvSY_,"axG",@progbits,_ZN7rocprim17ROCPRIM_400000_NS6detail17trampoline_kernelINS0_13select_configILj256ELj13ELNS0_17block_load_methodE3ELS4_3ELS4_3ELNS0_20block_scan_algorithmE0ELj4294967295EEENS1_25partition_config_selectorILNS1_17partition_subalgoE3EjNS0_10empty_typeEbEEZZNS1_14partition_implILS8_3ELb0ES6_jNS0_17counting_iteratorIjlEEPS9_SE_NS0_5tupleIJPjSE_EEENSF_IJSE_SE_EEES9_SG_JZNS1_25segmented_radix_sort_implINS0_14default_configELb0EPKiPiPKlPlN2at6native12_GLOBAL__N_18offset_tEEE10hipError_tPvRmT1_PNSt15iterator_traitsISY_E10value_typeET2_T3_PNSZ_IS14_E10value_typeET4_jRbjT5_S1A_jjP12ihipStream_tbEUljE_EEESV_SW_SX_S14_S18_S1A_T6_T7_T9_mT8_S1C_bDpT10_ENKUlT_T0_E_clISt17integral_constantIbLb1EES1P_EEDaS1K_S1L_EUlS1K_E_NS1_11comp_targetILNS1_3genE5ELNS1_11target_archE942ELNS1_3gpuE9ELNS1_3repE0EEENS1_30default_config_static_selectorELNS0_4arch9wavefront6targetE0EEEvSY_,comdat
	.globl	_ZN7rocprim17ROCPRIM_400000_NS6detail17trampoline_kernelINS0_13select_configILj256ELj13ELNS0_17block_load_methodE3ELS4_3ELS4_3ELNS0_20block_scan_algorithmE0ELj4294967295EEENS1_25partition_config_selectorILNS1_17partition_subalgoE3EjNS0_10empty_typeEbEEZZNS1_14partition_implILS8_3ELb0ES6_jNS0_17counting_iteratorIjlEEPS9_SE_NS0_5tupleIJPjSE_EEENSF_IJSE_SE_EEES9_SG_JZNS1_25segmented_radix_sort_implINS0_14default_configELb0EPKiPiPKlPlN2at6native12_GLOBAL__N_18offset_tEEE10hipError_tPvRmT1_PNSt15iterator_traitsISY_E10value_typeET2_T3_PNSZ_IS14_E10value_typeET4_jRbjT5_S1A_jjP12ihipStream_tbEUljE_EEESV_SW_SX_S14_S18_S1A_T6_T7_T9_mT8_S1C_bDpT10_ENKUlT_T0_E_clISt17integral_constantIbLb1EES1P_EEDaS1K_S1L_EUlS1K_E_NS1_11comp_targetILNS1_3genE5ELNS1_11target_archE942ELNS1_3gpuE9ELNS1_3repE0EEENS1_30default_config_static_selectorELNS0_4arch9wavefront6targetE0EEEvSY_ ; -- Begin function _ZN7rocprim17ROCPRIM_400000_NS6detail17trampoline_kernelINS0_13select_configILj256ELj13ELNS0_17block_load_methodE3ELS4_3ELS4_3ELNS0_20block_scan_algorithmE0ELj4294967295EEENS1_25partition_config_selectorILNS1_17partition_subalgoE3EjNS0_10empty_typeEbEEZZNS1_14partition_implILS8_3ELb0ES6_jNS0_17counting_iteratorIjlEEPS9_SE_NS0_5tupleIJPjSE_EEENSF_IJSE_SE_EEES9_SG_JZNS1_25segmented_radix_sort_implINS0_14default_configELb0EPKiPiPKlPlN2at6native12_GLOBAL__N_18offset_tEEE10hipError_tPvRmT1_PNSt15iterator_traitsISY_E10value_typeET2_T3_PNSZ_IS14_E10value_typeET4_jRbjT5_S1A_jjP12ihipStream_tbEUljE_EEESV_SW_SX_S14_S18_S1A_T6_T7_T9_mT8_S1C_bDpT10_ENKUlT_T0_E_clISt17integral_constantIbLb1EES1P_EEDaS1K_S1L_EUlS1K_E_NS1_11comp_targetILNS1_3genE5ELNS1_11target_archE942ELNS1_3gpuE9ELNS1_3repE0EEENS1_30default_config_static_selectorELNS0_4arch9wavefront6targetE0EEEvSY_
	.p2align	8
	.type	_ZN7rocprim17ROCPRIM_400000_NS6detail17trampoline_kernelINS0_13select_configILj256ELj13ELNS0_17block_load_methodE3ELS4_3ELS4_3ELNS0_20block_scan_algorithmE0ELj4294967295EEENS1_25partition_config_selectorILNS1_17partition_subalgoE3EjNS0_10empty_typeEbEEZZNS1_14partition_implILS8_3ELb0ES6_jNS0_17counting_iteratorIjlEEPS9_SE_NS0_5tupleIJPjSE_EEENSF_IJSE_SE_EEES9_SG_JZNS1_25segmented_radix_sort_implINS0_14default_configELb0EPKiPiPKlPlN2at6native12_GLOBAL__N_18offset_tEEE10hipError_tPvRmT1_PNSt15iterator_traitsISY_E10value_typeET2_T3_PNSZ_IS14_E10value_typeET4_jRbjT5_S1A_jjP12ihipStream_tbEUljE_EEESV_SW_SX_S14_S18_S1A_T6_T7_T9_mT8_S1C_bDpT10_ENKUlT_T0_E_clISt17integral_constantIbLb1EES1P_EEDaS1K_S1L_EUlS1K_E_NS1_11comp_targetILNS1_3genE5ELNS1_11target_archE942ELNS1_3gpuE9ELNS1_3repE0EEENS1_30default_config_static_selectorELNS0_4arch9wavefront6targetE0EEEvSY_,@function
_ZN7rocprim17ROCPRIM_400000_NS6detail17trampoline_kernelINS0_13select_configILj256ELj13ELNS0_17block_load_methodE3ELS4_3ELS4_3ELNS0_20block_scan_algorithmE0ELj4294967295EEENS1_25partition_config_selectorILNS1_17partition_subalgoE3EjNS0_10empty_typeEbEEZZNS1_14partition_implILS8_3ELb0ES6_jNS0_17counting_iteratorIjlEEPS9_SE_NS0_5tupleIJPjSE_EEENSF_IJSE_SE_EEES9_SG_JZNS1_25segmented_radix_sort_implINS0_14default_configELb0EPKiPiPKlPlN2at6native12_GLOBAL__N_18offset_tEEE10hipError_tPvRmT1_PNSt15iterator_traitsISY_E10value_typeET2_T3_PNSZ_IS14_E10value_typeET4_jRbjT5_S1A_jjP12ihipStream_tbEUljE_EEESV_SW_SX_S14_S18_S1A_T6_T7_T9_mT8_S1C_bDpT10_ENKUlT_T0_E_clISt17integral_constantIbLb1EES1P_EEDaS1K_S1L_EUlS1K_E_NS1_11comp_targetILNS1_3genE5ELNS1_11target_archE942ELNS1_3gpuE9ELNS1_3repE0EEENS1_30default_config_static_selectorELNS0_4arch9wavefront6targetE0EEEvSY_: ; @_ZN7rocprim17ROCPRIM_400000_NS6detail17trampoline_kernelINS0_13select_configILj256ELj13ELNS0_17block_load_methodE3ELS4_3ELS4_3ELNS0_20block_scan_algorithmE0ELj4294967295EEENS1_25partition_config_selectorILNS1_17partition_subalgoE3EjNS0_10empty_typeEbEEZZNS1_14partition_implILS8_3ELb0ES6_jNS0_17counting_iteratorIjlEEPS9_SE_NS0_5tupleIJPjSE_EEENSF_IJSE_SE_EEES9_SG_JZNS1_25segmented_radix_sort_implINS0_14default_configELb0EPKiPiPKlPlN2at6native12_GLOBAL__N_18offset_tEEE10hipError_tPvRmT1_PNSt15iterator_traitsISY_E10value_typeET2_T3_PNSZ_IS14_E10value_typeET4_jRbjT5_S1A_jjP12ihipStream_tbEUljE_EEESV_SW_SX_S14_S18_S1A_T6_T7_T9_mT8_S1C_bDpT10_ENKUlT_T0_E_clISt17integral_constantIbLb1EES1P_EEDaS1K_S1L_EUlS1K_E_NS1_11comp_targetILNS1_3genE5ELNS1_11target_archE942ELNS1_3gpuE9ELNS1_3repE0EEENS1_30default_config_static_selectorELNS0_4arch9wavefront6targetE0EEEvSY_
; %bb.0:
	.section	.rodata,"a",@progbits
	.p2align	6, 0x0
	.amdhsa_kernel _ZN7rocprim17ROCPRIM_400000_NS6detail17trampoline_kernelINS0_13select_configILj256ELj13ELNS0_17block_load_methodE3ELS4_3ELS4_3ELNS0_20block_scan_algorithmE0ELj4294967295EEENS1_25partition_config_selectorILNS1_17partition_subalgoE3EjNS0_10empty_typeEbEEZZNS1_14partition_implILS8_3ELb0ES6_jNS0_17counting_iteratorIjlEEPS9_SE_NS0_5tupleIJPjSE_EEENSF_IJSE_SE_EEES9_SG_JZNS1_25segmented_radix_sort_implINS0_14default_configELb0EPKiPiPKlPlN2at6native12_GLOBAL__N_18offset_tEEE10hipError_tPvRmT1_PNSt15iterator_traitsISY_E10value_typeET2_T3_PNSZ_IS14_E10value_typeET4_jRbjT5_S1A_jjP12ihipStream_tbEUljE_EEESV_SW_SX_S14_S18_S1A_T6_T7_T9_mT8_S1C_bDpT10_ENKUlT_T0_E_clISt17integral_constantIbLb1EES1P_EEDaS1K_S1L_EUlS1K_E_NS1_11comp_targetILNS1_3genE5ELNS1_11target_archE942ELNS1_3gpuE9ELNS1_3repE0EEENS1_30default_config_static_selectorELNS0_4arch9wavefront6targetE0EEEvSY_
		.amdhsa_group_segment_fixed_size 0
		.amdhsa_private_segment_fixed_size 0
		.amdhsa_kernarg_size 152
		.amdhsa_user_sgpr_count 6
		.amdhsa_user_sgpr_private_segment_buffer 1
		.amdhsa_user_sgpr_dispatch_ptr 0
		.amdhsa_user_sgpr_queue_ptr 0
		.amdhsa_user_sgpr_kernarg_segment_ptr 1
		.amdhsa_user_sgpr_dispatch_id 0
		.amdhsa_user_sgpr_flat_scratch_init 0
		.amdhsa_user_sgpr_private_segment_size 0
		.amdhsa_wavefront_size32 1
		.amdhsa_uses_dynamic_stack 0
		.amdhsa_system_sgpr_private_segment_wavefront_offset 0
		.amdhsa_system_sgpr_workgroup_id_x 1
		.amdhsa_system_sgpr_workgroup_id_y 0
		.amdhsa_system_sgpr_workgroup_id_z 0
		.amdhsa_system_sgpr_workgroup_info 0
		.amdhsa_system_vgpr_workitem_id 0
		.amdhsa_next_free_vgpr 1
		.amdhsa_next_free_sgpr 1
		.amdhsa_reserve_vcc 0
		.amdhsa_reserve_flat_scratch 0
		.amdhsa_float_round_mode_32 0
		.amdhsa_float_round_mode_16_64 0
		.amdhsa_float_denorm_mode_32 3
		.amdhsa_float_denorm_mode_16_64 3
		.amdhsa_dx10_clamp 1
		.amdhsa_ieee_mode 1
		.amdhsa_fp16_overflow 0
		.amdhsa_workgroup_processor_mode 1
		.amdhsa_memory_ordered 1
		.amdhsa_forward_progress 1
		.amdhsa_shared_vgpr_count 0
		.amdhsa_exception_fp_ieee_invalid_op 0
		.amdhsa_exception_fp_denorm_src 0
		.amdhsa_exception_fp_ieee_div_zero 0
		.amdhsa_exception_fp_ieee_overflow 0
		.amdhsa_exception_fp_ieee_underflow 0
		.amdhsa_exception_fp_ieee_inexact 0
		.amdhsa_exception_int_div_zero 0
	.end_amdhsa_kernel
	.section	.text._ZN7rocprim17ROCPRIM_400000_NS6detail17trampoline_kernelINS0_13select_configILj256ELj13ELNS0_17block_load_methodE3ELS4_3ELS4_3ELNS0_20block_scan_algorithmE0ELj4294967295EEENS1_25partition_config_selectorILNS1_17partition_subalgoE3EjNS0_10empty_typeEbEEZZNS1_14partition_implILS8_3ELb0ES6_jNS0_17counting_iteratorIjlEEPS9_SE_NS0_5tupleIJPjSE_EEENSF_IJSE_SE_EEES9_SG_JZNS1_25segmented_radix_sort_implINS0_14default_configELb0EPKiPiPKlPlN2at6native12_GLOBAL__N_18offset_tEEE10hipError_tPvRmT1_PNSt15iterator_traitsISY_E10value_typeET2_T3_PNSZ_IS14_E10value_typeET4_jRbjT5_S1A_jjP12ihipStream_tbEUljE_EEESV_SW_SX_S14_S18_S1A_T6_T7_T9_mT8_S1C_bDpT10_ENKUlT_T0_E_clISt17integral_constantIbLb1EES1P_EEDaS1K_S1L_EUlS1K_E_NS1_11comp_targetILNS1_3genE5ELNS1_11target_archE942ELNS1_3gpuE9ELNS1_3repE0EEENS1_30default_config_static_selectorELNS0_4arch9wavefront6targetE0EEEvSY_,"axG",@progbits,_ZN7rocprim17ROCPRIM_400000_NS6detail17trampoline_kernelINS0_13select_configILj256ELj13ELNS0_17block_load_methodE3ELS4_3ELS4_3ELNS0_20block_scan_algorithmE0ELj4294967295EEENS1_25partition_config_selectorILNS1_17partition_subalgoE3EjNS0_10empty_typeEbEEZZNS1_14partition_implILS8_3ELb0ES6_jNS0_17counting_iteratorIjlEEPS9_SE_NS0_5tupleIJPjSE_EEENSF_IJSE_SE_EEES9_SG_JZNS1_25segmented_radix_sort_implINS0_14default_configELb0EPKiPiPKlPlN2at6native12_GLOBAL__N_18offset_tEEE10hipError_tPvRmT1_PNSt15iterator_traitsISY_E10value_typeET2_T3_PNSZ_IS14_E10value_typeET4_jRbjT5_S1A_jjP12ihipStream_tbEUljE_EEESV_SW_SX_S14_S18_S1A_T6_T7_T9_mT8_S1C_bDpT10_ENKUlT_T0_E_clISt17integral_constantIbLb1EES1P_EEDaS1K_S1L_EUlS1K_E_NS1_11comp_targetILNS1_3genE5ELNS1_11target_archE942ELNS1_3gpuE9ELNS1_3repE0EEENS1_30default_config_static_selectorELNS0_4arch9wavefront6targetE0EEEvSY_,comdat
.Lfunc_end572:
	.size	_ZN7rocprim17ROCPRIM_400000_NS6detail17trampoline_kernelINS0_13select_configILj256ELj13ELNS0_17block_load_methodE3ELS4_3ELS4_3ELNS0_20block_scan_algorithmE0ELj4294967295EEENS1_25partition_config_selectorILNS1_17partition_subalgoE3EjNS0_10empty_typeEbEEZZNS1_14partition_implILS8_3ELb0ES6_jNS0_17counting_iteratorIjlEEPS9_SE_NS0_5tupleIJPjSE_EEENSF_IJSE_SE_EEES9_SG_JZNS1_25segmented_radix_sort_implINS0_14default_configELb0EPKiPiPKlPlN2at6native12_GLOBAL__N_18offset_tEEE10hipError_tPvRmT1_PNSt15iterator_traitsISY_E10value_typeET2_T3_PNSZ_IS14_E10value_typeET4_jRbjT5_S1A_jjP12ihipStream_tbEUljE_EEESV_SW_SX_S14_S18_S1A_T6_T7_T9_mT8_S1C_bDpT10_ENKUlT_T0_E_clISt17integral_constantIbLb1EES1P_EEDaS1K_S1L_EUlS1K_E_NS1_11comp_targetILNS1_3genE5ELNS1_11target_archE942ELNS1_3gpuE9ELNS1_3repE0EEENS1_30default_config_static_selectorELNS0_4arch9wavefront6targetE0EEEvSY_, .Lfunc_end572-_ZN7rocprim17ROCPRIM_400000_NS6detail17trampoline_kernelINS0_13select_configILj256ELj13ELNS0_17block_load_methodE3ELS4_3ELS4_3ELNS0_20block_scan_algorithmE0ELj4294967295EEENS1_25partition_config_selectorILNS1_17partition_subalgoE3EjNS0_10empty_typeEbEEZZNS1_14partition_implILS8_3ELb0ES6_jNS0_17counting_iteratorIjlEEPS9_SE_NS0_5tupleIJPjSE_EEENSF_IJSE_SE_EEES9_SG_JZNS1_25segmented_radix_sort_implINS0_14default_configELb0EPKiPiPKlPlN2at6native12_GLOBAL__N_18offset_tEEE10hipError_tPvRmT1_PNSt15iterator_traitsISY_E10value_typeET2_T3_PNSZ_IS14_E10value_typeET4_jRbjT5_S1A_jjP12ihipStream_tbEUljE_EEESV_SW_SX_S14_S18_S1A_T6_T7_T9_mT8_S1C_bDpT10_ENKUlT_T0_E_clISt17integral_constantIbLb1EES1P_EEDaS1K_S1L_EUlS1K_E_NS1_11comp_targetILNS1_3genE5ELNS1_11target_archE942ELNS1_3gpuE9ELNS1_3repE0EEENS1_30default_config_static_selectorELNS0_4arch9wavefront6targetE0EEEvSY_
                                        ; -- End function
	.set _ZN7rocprim17ROCPRIM_400000_NS6detail17trampoline_kernelINS0_13select_configILj256ELj13ELNS0_17block_load_methodE3ELS4_3ELS4_3ELNS0_20block_scan_algorithmE0ELj4294967295EEENS1_25partition_config_selectorILNS1_17partition_subalgoE3EjNS0_10empty_typeEbEEZZNS1_14partition_implILS8_3ELb0ES6_jNS0_17counting_iteratorIjlEEPS9_SE_NS0_5tupleIJPjSE_EEENSF_IJSE_SE_EEES9_SG_JZNS1_25segmented_radix_sort_implINS0_14default_configELb0EPKiPiPKlPlN2at6native12_GLOBAL__N_18offset_tEEE10hipError_tPvRmT1_PNSt15iterator_traitsISY_E10value_typeET2_T3_PNSZ_IS14_E10value_typeET4_jRbjT5_S1A_jjP12ihipStream_tbEUljE_EEESV_SW_SX_S14_S18_S1A_T6_T7_T9_mT8_S1C_bDpT10_ENKUlT_T0_E_clISt17integral_constantIbLb1EES1P_EEDaS1K_S1L_EUlS1K_E_NS1_11comp_targetILNS1_3genE5ELNS1_11target_archE942ELNS1_3gpuE9ELNS1_3repE0EEENS1_30default_config_static_selectorELNS0_4arch9wavefront6targetE0EEEvSY_.num_vgpr, 0
	.set _ZN7rocprim17ROCPRIM_400000_NS6detail17trampoline_kernelINS0_13select_configILj256ELj13ELNS0_17block_load_methodE3ELS4_3ELS4_3ELNS0_20block_scan_algorithmE0ELj4294967295EEENS1_25partition_config_selectorILNS1_17partition_subalgoE3EjNS0_10empty_typeEbEEZZNS1_14partition_implILS8_3ELb0ES6_jNS0_17counting_iteratorIjlEEPS9_SE_NS0_5tupleIJPjSE_EEENSF_IJSE_SE_EEES9_SG_JZNS1_25segmented_radix_sort_implINS0_14default_configELb0EPKiPiPKlPlN2at6native12_GLOBAL__N_18offset_tEEE10hipError_tPvRmT1_PNSt15iterator_traitsISY_E10value_typeET2_T3_PNSZ_IS14_E10value_typeET4_jRbjT5_S1A_jjP12ihipStream_tbEUljE_EEESV_SW_SX_S14_S18_S1A_T6_T7_T9_mT8_S1C_bDpT10_ENKUlT_T0_E_clISt17integral_constantIbLb1EES1P_EEDaS1K_S1L_EUlS1K_E_NS1_11comp_targetILNS1_3genE5ELNS1_11target_archE942ELNS1_3gpuE9ELNS1_3repE0EEENS1_30default_config_static_selectorELNS0_4arch9wavefront6targetE0EEEvSY_.num_agpr, 0
	.set _ZN7rocprim17ROCPRIM_400000_NS6detail17trampoline_kernelINS0_13select_configILj256ELj13ELNS0_17block_load_methodE3ELS4_3ELS4_3ELNS0_20block_scan_algorithmE0ELj4294967295EEENS1_25partition_config_selectorILNS1_17partition_subalgoE3EjNS0_10empty_typeEbEEZZNS1_14partition_implILS8_3ELb0ES6_jNS0_17counting_iteratorIjlEEPS9_SE_NS0_5tupleIJPjSE_EEENSF_IJSE_SE_EEES9_SG_JZNS1_25segmented_radix_sort_implINS0_14default_configELb0EPKiPiPKlPlN2at6native12_GLOBAL__N_18offset_tEEE10hipError_tPvRmT1_PNSt15iterator_traitsISY_E10value_typeET2_T3_PNSZ_IS14_E10value_typeET4_jRbjT5_S1A_jjP12ihipStream_tbEUljE_EEESV_SW_SX_S14_S18_S1A_T6_T7_T9_mT8_S1C_bDpT10_ENKUlT_T0_E_clISt17integral_constantIbLb1EES1P_EEDaS1K_S1L_EUlS1K_E_NS1_11comp_targetILNS1_3genE5ELNS1_11target_archE942ELNS1_3gpuE9ELNS1_3repE0EEENS1_30default_config_static_selectorELNS0_4arch9wavefront6targetE0EEEvSY_.numbered_sgpr, 0
	.set _ZN7rocprim17ROCPRIM_400000_NS6detail17trampoline_kernelINS0_13select_configILj256ELj13ELNS0_17block_load_methodE3ELS4_3ELS4_3ELNS0_20block_scan_algorithmE0ELj4294967295EEENS1_25partition_config_selectorILNS1_17partition_subalgoE3EjNS0_10empty_typeEbEEZZNS1_14partition_implILS8_3ELb0ES6_jNS0_17counting_iteratorIjlEEPS9_SE_NS0_5tupleIJPjSE_EEENSF_IJSE_SE_EEES9_SG_JZNS1_25segmented_radix_sort_implINS0_14default_configELb0EPKiPiPKlPlN2at6native12_GLOBAL__N_18offset_tEEE10hipError_tPvRmT1_PNSt15iterator_traitsISY_E10value_typeET2_T3_PNSZ_IS14_E10value_typeET4_jRbjT5_S1A_jjP12ihipStream_tbEUljE_EEESV_SW_SX_S14_S18_S1A_T6_T7_T9_mT8_S1C_bDpT10_ENKUlT_T0_E_clISt17integral_constantIbLb1EES1P_EEDaS1K_S1L_EUlS1K_E_NS1_11comp_targetILNS1_3genE5ELNS1_11target_archE942ELNS1_3gpuE9ELNS1_3repE0EEENS1_30default_config_static_selectorELNS0_4arch9wavefront6targetE0EEEvSY_.num_named_barrier, 0
	.set _ZN7rocprim17ROCPRIM_400000_NS6detail17trampoline_kernelINS0_13select_configILj256ELj13ELNS0_17block_load_methodE3ELS4_3ELS4_3ELNS0_20block_scan_algorithmE0ELj4294967295EEENS1_25partition_config_selectorILNS1_17partition_subalgoE3EjNS0_10empty_typeEbEEZZNS1_14partition_implILS8_3ELb0ES6_jNS0_17counting_iteratorIjlEEPS9_SE_NS0_5tupleIJPjSE_EEENSF_IJSE_SE_EEES9_SG_JZNS1_25segmented_radix_sort_implINS0_14default_configELb0EPKiPiPKlPlN2at6native12_GLOBAL__N_18offset_tEEE10hipError_tPvRmT1_PNSt15iterator_traitsISY_E10value_typeET2_T3_PNSZ_IS14_E10value_typeET4_jRbjT5_S1A_jjP12ihipStream_tbEUljE_EEESV_SW_SX_S14_S18_S1A_T6_T7_T9_mT8_S1C_bDpT10_ENKUlT_T0_E_clISt17integral_constantIbLb1EES1P_EEDaS1K_S1L_EUlS1K_E_NS1_11comp_targetILNS1_3genE5ELNS1_11target_archE942ELNS1_3gpuE9ELNS1_3repE0EEENS1_30default_config_static_selectorELNS0_4arch9wavefront6targetE0EEEvSY_.private_seg_size, 0
	.set _ZN7rocprim17ROCPRIM_400000_NS6detail17trampoline_kernelINS0_13select_configILj256ELj13ELNS0_17block_load_methodE3ELS4_3ELS4_3ELNS0_20block_scan_algorithmE0ELj4294967295EEENS1_25partition_config_selectorILNS1_17partition_subalgoE3EjNS0_10empty_typeEbEEZZNS1_14partition_implILS8_3ELb0ES6_jNS0_17counting_iteratorIjlEEPS9_SE_NS0_5tupleIJPjSE_EEENSF_IJSE_SE_EEES9_SG_JZNS1_25segmented_radix_sort_implINS0_14default_configELb0EPKiPiPKlPlN2at6native12_GLOBAL__N_18offset_tEEE10hipError_tPvRmT1_PNSt15iterator_traitsISY_E10value_typeET2_T3_PNSZ_IS14_E10value_typeET4_jRbjT5_S1A_jjP12ihipStream_tbEUljE_EEESV_SW_SX_S14_S18_S1A_T6_T7_T9_mT8_S1C_bDpT10_ENKUlT_T0_E_clISt17integral_constantIbLb1EES1P_EEDaS1K_S1L_EUlS1K_E_NS1_11comp_targetILNS1_3genE5ELNS1_11target_archE942ELNS1_3gpuE9ELNS1_3repE0EEENS1_30default_config_static_selectorELNS0_4arch9wavefront6targetE0EEEvSY_.uses_vcc, 0
	.set _ZN7rocprim17ROCPRIM_400000_NS6detail17trampoline_kernelINS0_13select_configILj256ELj13ELNS0_17block_load_methodE3ELS4_3ELS4_3ELNS0_20block_scan_algorithmE0ELj4294967295EEENS1_25partition_config_selectorILNS1_17partition_subalgoE3EjNS0_10empty_typeEbEEZZNS1_14partition_implILS8_3ELb0ES6_jNS0_17counting_iteratorIjlEEPS9_SE_NS0_5tupleIJPjSE_EEENSF_IJSE_SE_EEES9_SG_JZNS1_25segmented_radix_sort_implINS0_14default_configELb0EPKiPiPKlPlN2at6native12_GLOBAL__N_18offset_tEEE10hipError_tPvRmT1_PNSt15iterator_traitsISY_E10value_typeET2_T3_PNSZ_IS14_E10value_typeET4_jRbjT5_S1A_jjP12ihipStream_tbEUljE_EEESV_SW_SX_S14_S18_S1A_T6_T7_T9_mT8_S1C_bDpT10_ENKUlT_T0_E_clISt17integral_constantIbLb1EES1P_EEDaS1K_S1L_EUlS1K_E_NS1_11comp_targetILNS1_3genE5ELNS1_11target_archE942ELNS1_3gpuE9ELNS1_3repE0EEENS1_30default_config_static_selectorELNS0_4arch9wavefront6targetE0EEEvSY_.uses_flat_scratch, 0
	.set _ZN7rocprim17ROCPRIM_400000_NS6detail17trampoline_kernelINS0_13select_configILj256ELj13ELNS0_17block_load_methodE3ELS4_3ELS4_3ELNS0_20block_scan_algorithmE0ELj4294967295EEENS1_25partition_config_selectorILNS1_17partition_subalgoE3EjNS0_10empty_typeEbEEZZNS1_14partition_implILS8_3ELb0ES6_jNS0_17counting_iteratorIjlEEPS9_SE_NS0_5tupleIJPjSE_EEENSF_IJSE_SE_EEES9_SG_JZNS1_25segmented_radix_sort_implINS0_14default_configELb0EPKiPiPKlPlN2at6native12_GLOBAL__N_18offset_tEEE10hipError_tPvRmT1_PNSt15iterator_traitsISY_E10value_typeET2_T3_PNSZ_IS14_E10value_typeET4_jRbjT5_S1A_jjP12ihipStream_tbEUljE_EEESV_SW_SX_S14_S18_S1A_T6_T7_T9_mT8_S1C_bDpT10_ENKUlT_T0_E_clISt17integral_constantIbLb1EES1P_EEDaS1K_S1L_EUlS1K_E_NS1_11comp_targetILNS1_3genE5ELNS1_11target_archE942ELNS1_3gpuE9ELNS1_3repE0EEENS1_30default_config_static_selectorELNS0_4arch9wavefront6targetE0EEEvSY_.has_dyn_sized_stack, 0
	.set _ZN7rocprim17ROCPRIM_400000_NS6detail17trampoline_kernelINS0_13select_configILj256ELj13ELNS0_17block_load_methodE3ELS4_3ELS4_3ELNS0_20block_scan_algorithmE0ELj4294967295EEENS1_25partition_config_selectorILNS1_17partition_subalgoE3EjNS0_10empty_typeEbEEZZNS1_14partition_implILS8_3ELb0ES6_jNS0_17counting_iteratorIjlEEPS9_SE_NS0_5tupleIJPjSE_EEENSF_IJSE_SE_EEES9_SG_JZNS1_25segmented_radix_sort_implINS0_14default_configELb0EPKiPiPKlPlN2at6native12_GLOBAL__N_18offset_tEEE10hipError_tPvRmT1_PNSt15iterator_traitsISY_E10value_typeET2_T3_PNSZ_IS14_E10value_typeET4_jRbjT5_S1A_jjP12ihipStream_tbEUljE_EEESV_SW_SX_S14_S18_S1A_T6_T7_T9_mT8_S1C_bDpT10_ENKUlT_T0_E_clISt17integral_constantIbLb1EES1P_EEDaS1K_S1L_EUlS1K_E_NS1_11comp_targetILNS1_3genE5ELNS1_11target_archE942ELNS1_3gpuE9ELNS1_3repE0EEENS1_30default_config_static_selectorELNS0_4arch9wavefront6targetE0EEEvSY_.has_recursion, 0
	.set _ZN7rocprim17ROCPRIM_400000_NS6detail17trampoline_kernelINS0_13select_configILj256ELj13ELNS0_17block_load_methodE3ELS4_3ELS4_3ELNS0_20block_scan_algorithmE0ELj4294967295EEENS1_25partition_config_selectorILNS1_17partition_subalgoE3EjNS0_10empty_typeEbEEZZNS1_14partition_implILS8_3ELb0ES6_jNS0_17counting_iteratorIjlEEPS9_SE_NS0_5tupleIJPjSE_EEENSF_IJSE_SE_EEES9_SG_JZNS1_25segmented_radix_sort_implINS0_14default_configELb0EPKiPiPKlPlN2at6native12_GLOBAL__N_18offset_tEEE10hipError_tPvRmT1_PNSt15iterator_traitsISY_E10value_typeET2_T3_PNSZ_IS14_E10value_typeET4_jRbjT5_S1A_jjP12ihipStream_tbEUljE_EEESV_SW_SX_S14_S18_S1A_T6_T7_T9_mT8_S1C_bDpT10_ENKUlT_T0_E_clISt17integral_constantIbLb1EES1P_EEDaS1K_S1L_EUlS1K_E_NS1_11comp_targetILNS1_3genE5ELNS1_11target_archE942ELNS1_3gpuE9ELNS1_3repE0EEENS1_30default_config_static_selectorELNS0_4arch9wavefront6targetE0EEEvSY_.has_indirect_call, 0
	.section	.AMDGPU.csdata,"",@progbits
; Kernel info:
; codeLenInByte = 0
; TotalNumSgprs: 0
; NumVgprs: 0
; ScratchSize: 0
; MemoryBound: 0
; FloatMode: 240
; IeeeMode: 1
; LDSByteSize: 0 bytes/workgroup (compile time only)
; SGPRBlocks: 0
; VGPRBlocks: 0
; NumSGPRsForWavesPerEU: 1
; NumVGPRsForWavesPerEU: 1
; Occupancy: 16
; WaveLimiterHint : 0
; COMPUTE_PGM_RSRC2:SCRATCH_EN: 0
; COMPUTE_PGM_RSRC2:USER_SGPR: 6
; COMPUTE_PGM_RSRC2:TRAP_HANDLER: 0
; COMPUTE_PGM_RSRC2:TGID_X_EN: 1
; COMPUTE_PGM_RSRC2:TGID_Y_EN: 0
; COMPUTE_PGM_RSRC2:TGID_Z_EN: 0
; COMPUTE_PGM_RSRC2:TIDIG_COMP_CNT: 0
	.section	.text._ZN7rocprim17ROCPRIM_400000_NS6detail17trampoline_kernelINS0_13select_configILj256ELj13ELNS0_17block_load_methodE3ELS4_3ELS4_3ELNS0_20block_scan_algorithmE0ELj4294967295EEENS1_25partition_config_selectorILNS1_17partition_subalgoE3EjNS0_10empty_typeEbEEZZNS1_14partition_implILS8_3ELb0ES6_jNS0_17counting_iteratorIjlEEPS9_SE_NS0_5tupleIJPjSE_EEENSF_IJSE_SE_EEES9_SG_JZNS1_25segmented_radix_sort_implINS0_14default_configELb0EPKiPiPKlPlN2at6native12_GLOBAL__N_18offset_tEEE10hipError_tPvRmT1_PNSt15iterator_traitsISY_E10value_typeET2_T3_PNSZ_IS14_E10value_typeET4_jRbjT5_S1A_jjP12ihipStream_tbEUljE_EEESV_SW_SX_S14_S18_S1A_T6_T7_T9_mT8_S1C_bDpT10_ENKUlT_T0_E_clISt17integral_constantIbLb1EES1P_EEDaS1K_S1L_EUlS1K_E_NS1_11comp_targetILNS1_3genE4ELNS1_11target_archE910ELNS1_3gpuE8ELNS1_3repE0EEENS1_30default_config_static_selectorELNS0_4arch9wavefront6targetE0EEEvSY_,"axG",@progbits,_ZN7rocprim17ROCPRIM_400000_NS6detail17trampoline_kernelINS0_13select_configILj256ELj13ELNS0_17block_load_methodE3ELS4_3ELS4_3ELNS0_20block_scan_algorithmE0ELj4294967295EEENS1_25partition_config_selectorILNS1_17partition_subalgoE3EjNS0_10empty_typeEbEEZZNS1_14partition_implILS8_3ELb0ES6_jNS0_17counting_iteratorIjlEEPS9_SE_NS0_5tupleIJPjSE_EEENSF_IJSE_SE_EEES9_SG_JZNS1_25segmented_radix_sort_implINS0_14default_configELb0EPKiPiPKlPlN2at6native12_GLOBAL__N_18offset_tEEE10hipError_tPvRmT1_PNSt15iterator_traitsISY_E10value_typeET2_T3_PNSZ_IS14_E10value_typeET4_jRbjT5_S1A_jjP12ihipStream_tbEUljE_EEESV_SW_SX_S14_S18_S1A_T6_T7_T9_mT8_S1C_bDpT10_ENKUlT_T0_E_clISt17integral_constantIbLb1EES1P_EEDaS1K_S1L_EUlS1K_E_NS1_11comp_targetILNS1_3genE4ELNS1_11target_archE910ELNS1_3gpuE8ELNS1_3repE0EEENS1_30default_config_static_selectorELNS0_4arch9wavefront6targetE0EEEvSY_,comdat
	.globl	_ZN7rocprim17ROCPRIM_400000_NS6detail17trampoline_kernelINS0_13select_configILj256ELj13ELNS0_17block_load_methodE3ELS4_3ELS4_3ELNS0_20block_scan_algorithmE0ELj4294967295EEENS1_25partition_config_selectorILNS1_17partition_subalgoE3EjNS0_10empty_typeEbEEZZNS1_14partition_implILS8_3ELb0ES6_jNS0_17counting_iteratorIjlEEPS9_SE_NS0_5tupleIJPjSE_EEENSF_IJSE_SE_EEES9_SG_JZNS1_25segmented_radix_sort_implINS0_14default_configELb0EPKiPiPKlPlN2at6native12_GLOBAL__N_18offset_tEEE10hipError_tPvRmT1_PNSt15iterator_traitsISY_E10value_typeET2_T3_PNSZ_IS14_E10value_typeET4_jRbjT5_S1A_jjP12ihipStream_tbEUljE_EEESV_SW_SX_S14_S18_S1A_T6_T7_T9_mT8_S1C_bDpT10_ENKUlT_T0_E_clISt17integral_constantIbLb1EES1P_EEDaS1K_S1L_EUlS1K_E_NS1_11comp_targetILNS1_3genE4ELNS1_11target_archE910ELNS1_3gpuE8ELNS1_3repE0EEENS1_30default_config_static_selectorELNS0_4arch9wavefront6targetE0EEEvSY_ ; -- Begin function _ZN7rocprim17ROCPRIM_400000_NS6detail17trampoline_kernelINS0_13select_configILj256ELj13ELNS0_17block_load_methodE3ELS4_3ELS4_3ELNS0_20block_scan_algorithmE0ELj4294967295EEENS1_25partition_config_selectorILNS1_17partition_subalgoE3EjNS0_10empty_typeEbEEZZNS1_14partition_implILS8_3ELb0ES6_jNS0_17counting_iteratorIjlEEPS9_SE_NS0_5tupleIJPjSE_EEENSF_IJSE_SE_EEES9_SG_JZNS1_25segmented_radix_sort_implINS0_14default_configELb0EPKiPiPKlPlN2at6native12_GLOBAL__N_18offset_tEEE10hipError_tPvRmT1_PNSt15iterator_traitsISY_E10value_typeET2_T3_PNSZ_IS14_E10value_typeET4_jRbjT5_S1A_jjP12ihipStream_tbEUljE_EEESV_SW_SX_S14_S18_S1A_T6_T7_T9_mT8_S1C_bDpT10_ENKUlT_T0_E_clISt17integral_constantIbLb1EES1P_EEDaS1K_S1L_EUlS1K_E_NS1_11comp_targetILNS1_3genE4ELNS1_11target_archE910ELNS1_3gpuE8ELNS1_3repE0EEENS1_30default_config_static_selectorELNS0_4arch9wavefront6targetE0EEEvSY_
	.p2align	8
	.type	_ZN7rocprim17ROCPRIM_400000_NS6detail17trampoline_kernelINS0_13select_configILj256ELj13ELNS0_17block_load_methodE3ELS4_3ELS4_3ELNS0_20block_scan_algorithmE0ELj4294967295EEENS1_25partition_config_selectorILNS1_17partition_subalgoE3EjNS0_10empty_typeEbEEZZNS1_14partition_implILS8_3ELb0ES6_jNS0_17counting_iteratorIjlEEPS9_SE_NS0_5tupleIJPjSE_EEENSF_IJSE_SE_EEES9_SG_JZNS1_25segmented_radix_sort_implINS0_14default_configELb0EPKiPiPKlPlN2at6native12_GLOBAL__N_18offset_tEEE10hipError_tPvRmT1_PNSt15iterator_traitsISY_E10value_typeET2_T3_PNSZ_IS14_E10value_typeET4_jRbjT5_S1A_jjP12ihipStream_tbEUljE_EEESV_SW_SX_S14_S18_S1A_T6_T7_T9_mT8_S1C_bDpT10_ENKUlT_T0_E_clISt17integral_constantIbLb1EES1P_EEDaS1K_S1L_EUlS1K_E_NS1_11comp_targetILNS1_3genE4ELNS1_11target_archE910ELNS1_3gpuE8ELNS1_3repE0EEENS1_30default_config_static_selectorELNS0_4arch9wavefront6targetE0EEEvSY_,@function
_ZN7rocprim17ROCPRIM_400000_NS6detail17trampoline_kernelINS0_13select_configILj256ELj13ELNS0_17block_load_methodE3ELS4_3ELS4_3ELNS0_20block_scan_algorithmE0ELj4294967295EEENS1_25partition_config_selectorILNS1_17partition_subalgoE3EjNS0_10empty_typeEbEEZZNS1_14partition_implILS8_3ELb0ES6_jNS0_17counting_iteratorIjlEEPS9_SE_NS0_5tupleIJPjSE_EEENSF_IJSE_SE_EEES9_SG_JZNS1_25segmented_radix_sort_implINS0_14default_configELb0EPKiPiPKlPlN2at6native12_GLOBAL__N_18offset_tEEE10hipError_tPvRmT1_PNSt15iterator_traitsISY_E10value_typeET2_T3_PNSZ_IS14_E10value_typeET4_jRbjT5_S1A_jjP12ihipStream_tbEUljE_EEESV_SW_SX_S14_S18_S1A_T6_T7_T9_mT8_S1C_bDpT10_ENKUlT_T0_E_clISt17integral_constantIbLb1EES1P_EEDaS1K_S1L_EUlS1K_E_NS1_11comp_targetILNS1_3genE4ELNS1_11target_archE910ELNS1_3gpuE8ELNS1_3repE0EEENS1_30default_config_static_selectorELNS0_4arch9wavefront6targetE0EEEvSY_: ; @_ZN7rocprim17ROCPRIM_400000_NS6detail17trampoline_kernelINS0_13select_configILj256ELj13ELNS0_17block_load_methodE3ELS4_3ELS4_3ELNS0_20block_scan_algorithmE0ELj4294967295EEENS1_25partition_config_selectorILNS1_17partition_subalgoE3EjNS0_10empty_typeEbEEZZNS1_14partition_implILS8_3ELb0ES6_jNS0_17counting_iteratorIjlEEPS9_SE_NS0_5tupleIJPjSE_EEENSF_IJSE_SE_EEES9_SG_JZNS1_25segmented_radix_sort_implINS0_14default_configELb0EPKiPiPKlPlN2at6native12_GLOBAL__N_18offset_tEEE10hipError_tPvRmT1_PNSt15iterator_traitsISY_E10value_typeET2_T3_PNSZ_IS14_E10value_typeET4_jRbjT5_S1A_jjP12ihipStream_tbEUljE_EEESV_SW_SX_S14_S18_S1A_T6_T7_T9_mT8_S1C_bDpT10_ENKUlT_T0_E_clISt17integral_constantIbLb1EES1P_EEDaS1K_S1L_EUlS1K_E_NS1_11comp_targetILNS1_3genE4ELNS1_11target_archE910ELNS1_3gpuE8ELNS1_3repE0EEENS1_30default_config_static_selectorELNS0_4arch9wavefront6targetE0EEEvSY_
; %bb.0:
	.section	.rodata,"a",@progbits
	.p2align	6, 0x0
	.amdhsa_kernel _ZN7rocprim17ROCPRIM_400000_NS6detail17trampoline_kernelINS0_13select_configILj256ELj13ELNS0_17block_load_methodE3ELS4_3ELS4_3ELNS0_20block_scan_algorithmE0ELj4294967295EEENS1_25partition_config_selectorILNS1_17partition_subalgoE3EjNS0_10empty_typeEbEEZZNS1_14partition_implILS8_3ELb0ES6_jNS0_17counting_iteratorIjlEEPS9_SE_NS0_5tupleIJPjSE_EEENSF_IJSE_SE_EEES9_SG_JZNS1_25segmented_radix_sort_implINS0_14default_configELb0EPKiPiPKlPlN2at6native12_GLOBAL__N_18offset_tEEE10hipError_tPvRmT1_PNSt15iterator_traitsISY_E10value_typeET2_T3_PNSZ_IS14_E10value_typeET4_jRbjT5_S1A_jjP12ihipStream_tbEUljE_EEESV_SW_SX_S14_S18_S1A_T6_T7_T9_mT8_S1C_bDpT10_ENKUlT_T0_E_clISt17integral_constantIbLb1EES1P_EEDaS1K_S1L_EUlS1K_E_NS1_11comp_targetILNS1_3genE4ELNS1_11target_archE910ELNS1_3gpuE8ELNS1_3repE0EEENS1_30default_config_static_selectorELNS0_4arch9wavefront6targetE0EEEvSY_
		.amdhsa_group_segment_fixed_size 0
		.amdhsa_private_segment_fixed_size 0
		.amdhsa_kernarg_size 152
		.amdhsa_user_sgpr_count 6
		.amdhsa_user_sgpr_private_segment_buffer 1
		.amdhsa_user_sgpr_dispatch_ptr 0
		.amdhsa_user_sgpr_queue_ptr 0
		.amdhsa_user_sgpr_kernarg_segment_ptr 1
		.amdhsa_user_sgpr_dispatch_id 0
		.amdhsa_user_sgpr_flat_scratch_init 0
		.amdhsa_user_sgpr_private_segment_size 0
		.amdhsa_wavefront_size32 1
		.amdhsa_uses_dynamic_stack 0
		.amdhsa_system_sgpr_private_segment_wavefront_offset 0
		.amdhsa_system_sgpr_workgroup_id_x 1
		.amdhsa_system_sgpr_workgroup_id_y 0
		.amdhsa_system_sgpr_workgroup_id_z 0
		.amdhsa_system_sgpr_workgroup_info 0
		.amdhsa_system_vgpr_workitem_id 0
		.amdhsa_next_free_vgpr 1
		.amdhsa_next_free_sgpr 1
		.amdhsa_reserve_vcc 0
		.amdhsa_reserve_flat_scratch 0
		.amdhsa_float_round_mode_32 0
		.amdhsa_float_round_mode_16_64 0
		.amdhsa_float_denorm_mode_32 3
		.amdhsa_float_denorm_mode_16_64 3
		.amdhsa_dx10_clamp 1
		.amdhsa_ieee_mode 1
		.amdhsa_fp16_overflow 0
		.amdhsa_workgroup_processor_mode 1
		.amdhsa_memory_ordered 1
		.amdhsa_forward_progress 1
		.amdhsa_shared_vgpr_count 0
		.amdhsa_exception_fp_ieee_invalid_op 0
		.amdhsa_exception_fp_denorm_src 0
		.amdhsa_exception_fp_ieee_div_zero 0
		.amdhsa_exception_fp_ieee_overflow 0
		.amdhsa_exception_fp_ieee_underflow 0
		.amdhsa_exception_fp_ieee_inexact 0
		.amdhsa_exception_int_div_zero 0
	.end_amdhsa_kernel
	.section	.text._ZN7rocprim17ROCPRIM_400000_NS6detail17trampoline_kernelINS0_13select_configILj256ELj13ELNS0_17block_load_methodE3ELS4_3ELS4_3ELNS0_20block_scan_algorithmE0ELj4294967295EEENS1_25partition_config_selectorILNS1_17partition_subalgoE3EjNS0_10empty_typeEbEEZZNS1_14partition_implILS8_3ELb0ES6_jNS0_17counting_iteratorIjlEEPS9_SE_NS0_5tupleIJPjSE_EEENSF_IJSE_SE_EEES9_SG_JZNS1_25segmented_radix_sort_implINS0_14default_configELb0EPKiPiPKlPlN2at6native12_GLOBAL__N_18offset_tEEE10hipError_tPvRmT1_PNSt15iterator_traitsISY_E10value_typeET2_T3_PNSZ_IS14_E10value_typeET4_jRbjT5_S1A_jjP12ihipStream_tbEUljE_EEESV_SW_SX_S14_S18_S1A_T6_T7_T9_mT8_S1C_bDpT10_ENKUlT_T0_E_clISt17integral_constantIbLb1EES1P_EEDaS1K_S1L_EUlS1K_E_NS1_11comp_targetILNS1_3genE4ELNS1_11target_archE910ELNS1_3gpuE8ELNS1_3repE0EEENS1_30default_config_static_selectorELNS0_4arch9wavefront6targetE0EEEvSY_,"axG",@progbits,_ZN7rocprim17ROCPRIM_400000_NS6detail17trampoline_kernelINS0_13select_configILj256ELj13ELNS0_17block_load_methodE3ELS4_3ELS4_3ELNS0_20block_scan_algorithmE0ELj4294967295EEENS1_25partition_config_selectorILNS1_17partition_subalgoE3EjNS0_10empty_typeEbEEZZNS1_14partition_implILS8_3ELb0ES6_jNS0_17counting_iteratorIjlEEPS9_SE_NS0_5tupleIJPjSE_EEENSF_IJSE_SE_EEES9_SG_JZNS1_25segmented_radix_sort_implINS0_14default_configELb0EPKiPiPKlPlN2at6native12_GLOBAL__N_18offset_tEEE10hipError_tPvRmT1_PNSt15iterator_traitsISY_E10value_typeET2_T3_PNSZ_IS14_E10value_typeET4_jRbjT5_S1A_jjP12ihipStream_tbEUljE_EEESV_SW_SX_S14_S18_S1A_T6_T7_T9_mT8_S1C_bDpT10_ENKUlT_T0_E_clISt17integral_constantIbLb1EES1P_EEDaS1K_S1L_EUlS1K_E_NS1_11comp_targetILNS1_3genE4ELNS1_11target_archE910ELNS1_3gpuE8ELNS1_3repE0EEENS1_30default_config_static_selectorELNS0_4arch9wavefront6targetE0EEEvSY_,comdat
.Lfunc_end573:
	.size	_ZN7rocprim17ROCPRIM_400000_NS6detail17trampoline_kernelINS0_13select_configILj256ELj13ELNS0_17block_load_methodE3ELS4_3ELS4_3ELNS0_20block_scan_algorithmE0ELj4294967295EEENS1_25partition_config_selectorILNS1_17partition_subalgoE3EjNS0_10empty_typeEbEEZZNS1_14partition_implILS8_3ELb0ES6_jNS0_17counting_iteratorIjlEEPS9_SE_NS0_5tupleIJPjSE_EEENSF_IJSE_SE_EEES9_SG_JZNS1_25segmented_radix_sort_implINS0_14default_configELb0EPKiPiPKlPlN2at6native12_GLOBAL__N_18offset_tEEE10hipError_tPvRmT1_PNSt15iterator_traitsISY_E10value_typeET2_T3_PNSZ_IS14_E10value_typeET4_jRbjT5_S1A_jjP12ihipStream_tbEUljE_EEESV_SW_SX_S14_S18_S1A_T6_T7_T9_mT8_S1C_bDpT10_ENKUlT_T0_E_clISt17integral_constantIbLb1EES1P_EEDaS1K_S1L_EUlS1K_E_NS1_11comp_targetILNS1_3genE4ELNS1_11target_archE910ELNS1_3gpuE8ELNS1_3repE0EEENS1_30default_config_static_selectorELNS0_4arch9wavefront6targetE0EEEvSY_, .Lfunc_end573-_ZN7rocprim17ROCPRIM_400000_NS6detail17trampoline_kernelINS0_13select_configILj256ELj13ELNS0_17block_load_methodE3ELS4_3ELS4_3ELNS0_20block_scan_algorithmE0ELj4294967295EEENS1_25partition_config_selectorILNS1_17partition_subalgoE3EjNS0_10empty_typeEbEEZZNS1_14partition_implILS8_3ELb0ES6_jNS0_17counting_iteratorIjlEEPS9_SE_NS0_5tupleIJPjSE_EEENSF_IJSE_SE_EEES9_SG_JZNS1_25segmented_radix_sort_implINS0_14default_configELb0EPKiPiPKlPlN2at6native12_GLOBAL__N_18offset_tEEE10hipError_tPvRmT1_PNSt15iterator_traitsISY_E10value_typeET2_T3_PNSZ_IS14_E10value_typeET4_jRbjT5_S1A_jjP12ihipStream_tbEUljE_EEESV_SW_SX_S14_S18_S1A_T6_T7_T9_mT8_S1C_bDpT10_ENKUlT_T0_E_clISt17integral_constantIbLb1EES1P_EEDaS1K_S1L_EUlS1K_E_NS1_11comp_targetILNS1_3genE4ELNS1_11target_archE910ELNS1_3gpuE8ELNS1_3repE0EEENS1_30default_config_static_selectorELNS0_4arch9wavefront6targetE0EEEvSY_
                                        ; -- End function
	.set _ZN7rocprim17ROCPRIM_400000_NS6detail17trampoline_kernelINS0_13select_configILj256ELj13ELNS0_17block_load_methodE3ELS4_3ELS4_3ELNS0_20block_scan_algorithmE0ELj4294967295EEENS1_25partition_config_selectorILNS1_17partition_subalgoE3EjNS0_10empty_typeEbEEZZNS1_14partition_implILS8_3ELb0ES6_jNS0_17counting_iteratorIjlEEPS9_SE_NS0_5tupleIJPjSE_EEENSF_IJSE_SE_EEES9_SG_JZNS1_25segmented_radix_sort_implINS0_14default_configELb0EPKiPiPKlPlN2at6native12_GLOBAL__N_18offset_tEEE10hipError_tPvRmT1_PNSt15iterator_traitsISY_E10value_typeET2_T3_PNSZ_IS14_E10value_typeET4_jRbjT5_S1A_jjP12ihipStream_tbEUljE_EEESV_SW_SX_S14_S18_S1A_T6_T7_T9_mT8_S1C_bDpT10_ENKUlT_T0_E_clISt17integral_constantIbLb1EES1P_EEDaS1K_S1L_EUlS1K_E_NS1_11comp_targetILNS1_3genE4ELNS1_11target_archE910ELNS1_3gpuE8ELNS1_3repE0EEENS1_30default_config_static_selectorELNS0_4arch9wavefront6targetE0EEEvSY_.num_vgpr, 0
	.set _ZN7rocprim17ROCPRIM_400000_NS6detail17trampoline_kernelINS0_13select_configILj256ELj13ELNS0_17block_load_methodE3ELS4_3ELS4_3ELNS0_20block_scan_algorithmE0ELj4294967295EEENS1_25partition_config_selectorILNS1_17partition_subalgoE3EjNS0_10empty_typeEbEEZZNS1_14partition_implILS8_3ELb0ES6_jNS0_17counting_iteratorIjlEEPS9_SE_NS0_5tupleIJPjSE_EEENSF_IJSE_SE_EEES9_SG_JZNS1_25segmented_radix_sort_implINS0_14default_configELb0EPKiPiPKlPlN2at6native12_GLOBAL__N_18offset_tEEE10hipError_tPvRmT1_PNSt15iterator_traitsISY_E10value_typeET2_T3_PNSZ_IS14_E10value_typeET4_jRbjT5_S1A_jjP12ihipStream_tbEUljE_EEESV_SW_SX_S14_S18_S1A_T6_T7_T9_mT8_S1C_bDpT10_ENKUlT_T0_E_clISt17integral_constantIbLb1EES1P_EEDaS1K_S1L_EUlS1K_E_NS1_11comp_targetILNS1_3genE4ELNS1_11target_archE910ELNS1_3gpuE8ELNS1_3repE0EEENS1_30default_config_static_selectorELNS0_4arch9wavefront6targetE0EEEvSY_.num_agpr, 0
	.set _ZN7rocprim17ROCPRIM_400000_NS6detail17trampoline_kernelINS0_13select_configILj256ELj13ELNS0_17block_load_methodE3ELS4_3ELS4_3ELNS0_20block_scan_algorithmE0ELj4294967295EEENS1_25partition_config_selectorILNS1_17partition_subalgoE3EjNS0_10empty_typeEbEEZZNS1_14partition_implILS8_3ELb0ES6_jNS0_17counting_iteratorIjlEEPS9_SE_NS0_5tupleIJPjSE_EEENSF_IJSE_SE_EEES9_SG_JZNS1_25segmented_radix_sort_implINS0_14default_configELb0EPKiPiPKlPlN2at6native12_GLOBAL__N_18offset_tEEE10hipError_tPvRmT1_PNSt15iterator_traitsISY_E10value_typeET2_T3_PNSZ_IS14_E10value_typeET4_jRbjT5_S1A_jjP12ihipStream_tbEUljE_EEESV_SW_SX_S14_S18_S1A_T6_T7_T9_mT8_S1C_bDpT10_ENKUlT_T0_E_clISt17integral_constantIbLb1EES1P_EEDaS1K_S1L_EUlS1K_E_NS1_11comp_targetILNS1_3genE4ELNS1_11target_archE910ELNS1_3gpuE8ELNS1_3repE0EEENS1_30default_config_static_selectorELNS0_4arch9wavefront6targetE0EEEvSY_.numbered_sgpr, 0
	.set _ZN7rocprim17ROCPRIM_400000_NS6detail17trampoline_kernelINS0_13select_configILj256ELj13ELNS0_17block_load_methodE3ELS4_3ELS4_3ELNS0_20block_scan_algorithmE0ELj4294967295EEENS1_25partition_config_selectorILNS1_17partition_subalgoE3EjNS0_10empty_typeEbEEZZNS1_14partition_implILS8_3ELb0ES6_jNS0_17counting_iteratorIjlEEPS9_SE_NS0_5tupleIJPjSE_EEENSF_IJSE_SE_EEES9_SG_JZNS1_25segmented_radix_sort_implINS0_14default_configELb0EPKiPiPKlPlN2at6native12_GLOBAL__N_18offset_tEEE10hipError_tPvRmT1_PNSt15iterator_traitsISY_E10value_typeET2_T3_PNSZ_IS14_E10value_typeET4_jRbjT5_S1A_jjP12ihipStream_tbEUljE_EEESV_SW_SX_S14_S18_S1A_T6_T7_T9_mT8_S1C_bDpT10_ENKUlT_T0_E_clISt17integral_constantIbLb1EES1P_EEDaS1K_S1L_EUlS1K_E_NS1_11comp_targetILNS1_3genE4ELNS1_11target_archE910ELNS1_3gpuE8ELNS1_3repE0EEENS1_30default_config_static_selectorELNS0_4arch9wavefront6targetE0EEEvSY_.num_named_barrier, 0
	.set _ZN7rocprim17ROCPRIM_400000_NS6detail17trampoline_kernelINS0_13select_configILj256ELj13ELNS0_17block_load_methodE3ELS4_3ELS4_3ELNS0_20block_scan_algorithmE0ELj4294967295EEENS1_25partition_config_selectorILNS1_17partition_subalgoE3EjNS0_10empty_typeEbEEZZNS1_14partition_implILS8_3ELb0ES6_jNS0_17counting_iteratorIjlEEPS9_SE_NS0_5tupleIJPjSE_EEENSF_IJSE_SE_EEES9_SG_JZNS1_25segmented_radix_sort_implINS0_14default_configELb0EPKiPiPKlPlN2at6native12_GLOBAL__N_18offset_tEEE10hipError_tPvRmT1_PNSt15iterator_traitsISY_E10value_typeET2_T3_PNSZ_IS14_E10value_typeET4_jRbjT5_S1A_jjP12ihipStream_tbEUljE_EEESV_SW_SX_S14_S18_S1A_T6_T7_T9_mT8_S1C_bDpT10_ENKUlT_T0_E_clISt17integral_constantIbLb1EES1P_EEDaS1K_S1L_EUlS1K_E_NS1_11comp_targetILNS1_3genE4ELNS1_11target_archE910ELNS1_3gpuE8ELNS1_3repE0EEENS1_30default_config_static_selectorELNS0_4arch9wavefront6targetE0EEEvSY_.private_seg_size, 0
	.set _ZN7rocprim17ROCPRIM_400000_NS6detail17trampoline_kernelINS0_13select_configILj256ELj13ELNS0_17block_load_methodE3ELS4_3ELS4_3ELNS0_20block_scan_algorithmE0ELj4294967295EEENS1_25partition_config_selectorILNS1_17partition_subalgoE3EjNS0_10empty_typeEbEEZZNS1_14partition_implILS8_3ELb0ES6_jNS0_17counting_iteratorIjlEEPS9_SE_NS0_5tupleIJPjSE_EEENSF_IJSE_SE_EEES9_SG_JZNS1_25segmented_radix_sort_implINS0_14default_configELb0EPKiPiPKlPlN2at6native12_GLOBAL__N_18offset_tEEE10hipError_tPvRmT1_PNSt15iterator_traitsISY_E10value_typeET2_T3_PNSZ_IS14_E10value_typeET4_jRbjT5_S1A_jjP12ihipStream_tbEUljE_EEESV_SW_SX_S14_S18_S1A_T6_T7_T9_mT8_S1C_bDpT10_ENKUlT_T0_E_clISt17integral_constantIbLb1EES1P_EEDaS1K_S1L_EUlS1K_E_NS1_11comp_targetILNS1_3genE4ELNS1_11target_archE910ELNS1_3gpuE8ELNS1_3repE0EEENS1_30default_config_static_selectorELNS0_4arch9wavefront6targetE0EEEvSY_.uses_vcc, 0
	.set _ZN7rocprim17ROCPRIM_400000_NS6detail17trampoline_kernelINS0_13select_configILj256ELj13ELNS0_17block_load_methodE3ELS4_3ELS4_3ELNS0_20block_scan_algorithmE0ELj4294967295EEENS1_25partition_config_selectorILNS1_17partition_subalgoE3EjNS0_10empty_typeEbEEZZNS1_14partition_implILS8_3ELb0ES6_jNS0_17counting_iteratorIjlEEPS9_SE_NS0_5tupleIJPjSE_EEENSF_IJSE_SE_EEES9_SG_JZNS1_25segmented_radix_sort_implINS0_14default_configELb0EPKiPiPKlPlN2at6native12_GLOBAL__N_18offset_tEEE10hipError_tPvRmT1_PNSt15iterator_traitsISY_E10value_typeET2_T3_PNSZ_IS14_E10value_typeET4_jRbjT5_S1A_jjP12ihipStream_tbEUljE_EEESV_SW_SX_S14_S18_S1A_T6_T7_T9_mT8_S1C_bDpT10_ENKUlT_T0_E_clISt17integral_constantIbLb1EES1P_EEDaS1K_S1L_EUlS1K_E_NS1_11comp_targetILNS1_3genE4ELNS1_11target_archE910ELNS1_3gpuE8ELNS1_3repE0EEENS1_30default_config_static_selectorELNS0_4arch9wavefront6targetE0EEEvSY_.uses_flat_scratch, 0
	.set _ZN7rocprim17ROCPRIM_400000_NS6detail17trampoline_kernelINS0_13select_configILj256ELj13ELNS0_17block_load_methodE3ELS4_3ELS4_3ELNS0_20block_scan_algorithmE0ELj4294967295EEENS1_25partition_config_selectorILNS1_17partition_subalgoE3EjNS0_10empty_typeEbEEZZNS1_14partition_implILS8_3ELb0ES6_jNS0_17counting_iteratorIjlEEPS9_SE_NS0_5tupleIJPjSE_EEENSF_IJSE_SE_EEES9_SG_JZNS1_25segmented_radix_sort_implINS0_14default_configELb0EPKiPiPKlPlN2at6native12_GLOBAL__N_18offset_tEEE10hipError_tPvRmT1_PNSt15iterator_traitsISY_E10value_typeET2_T3_PNSZ_IS14_E10value_typeET4_jRbjT5_S1A_jjP12ihipStream_tbEUljE_EEESV_SW_SX_S14_S18_S1A_T6_T7_T9_mT8_S1C_bDpT10_ENKUlT_T0_E_clISt17integral_constantIbLb1EES1P_EEDaS1K_S1L_EUlS1K_E_NS1_11comp_targetILNS1_3genE4ELNS1_11target_archE910ELNS1_3gpuE8ELNS1_3repE0EEENS1_30default_config_static_selectorELNS0_4arch9wavefront6targetE0EEEvSY_.has_dyn_sized_stack, 0
	.set _ZN7rocprim17ROCPRIM_400000_NS6detail17trampoline_kernelINS0_13select_configILj256ELj13ELNS0_17block_load_methodE3ELS4_3ELS4_3ELNS0_20block_scan_algorithmE0ELj4294967295EEENS1_25partition_config_selectorILNS1_17partition_subalgoE3EjNS0_10empty_typeEbEEZZNS1_14partition_implILS8_3ELb0ES6_jNS0_17counting_iteratorIjlEEPS9_SE_NS0_5tupleIJPjSE_EEENSF_IJSE_SE_EEES9_SG_JZNS1_25segmented_radix_sort_implINS0_14default_configELb0EPKiPiPKlPlN2at6native12_GLOBAL__N_18offset_tEEE10hipError_tPvRmT1_PNSt15iterator_traitsISY_E10value_typeET2_T3_PNSZ_IS14_E10value_typeET4_jRbjT5_S1A_jjP12ihipStream_tbEUljE_EEESV_SW_SX_S14_S18_S1A_T6_T7_T9_mT8_S1C_bDpT10_ENKUlT_T0_E_clISt17integral_constantIbLb1EES1P_EEDaS1K_S1L_EUlS1K_E_NS1_11comp_targetILNS1_3genE4ELNS1_11target_archE910ELNS1_3gpuE8ELNS1_3repE0EEENS1_30default_config_static_selectorELNS0_4arch9wavefront6targetE0EEEvSY_.has_recursion, 0
	.set _ZN7rocprim17ROCPRIM_400000_NS6detail17trampoline_kernelINS0_13select_configILj256ELj13ELNS0_17block_load_methodE3ELS4_3ELS4_3ELNS0_20block_scan_algorithmE0ELj4294967295EEENS1_25partition_config_selectorILNS1_17partition_subalgoE3EjNS0_10empty_typeEbEEZZNS1_14partition_implILS8_3ELb0ES6_jNS0_17counting_iteratorIjlEEPS9_SE_NS0_5tupleIJPjSE_EEENSF_IJSE_SE_EEES9_SG_JZNS1_25segmented_radix_sort_implINS0_14default_configELb0EPKiPiPKlPlN2at6native12_GLOBAL__N_18offset_tEEE10hipError_tPvRmT1_PNSt15iterator_traitsISY_E10value_typeET2_T3_PNSZ_IS14_E10value_typeET4_jRbjT5_S1A_jjP12ihipStream_tbEUljE_EEESV_SW_SX_S14_S18_S1A_T6_T7_T9_mT8_S1C_bDpT10_ENKUlT_T0_E_clISt17integral_constantIbLb1EES1P_EEDaS1K_S1L_EUlS1K_E_NS1_11comp_targetILNS1_3genE4ELNS1_11target_archE910ELNS1_3gpuE8ELNS1_3repE0EEENS1_30default_config_static_selectorELNS0_4arch9wavefront6targetE0EEEvSY_.has_indirect_call, 0
	.section	.AMDGPU.csdata,"",@progbits
; Kernel info:
; codeLenInByte = 0
; TotalNumSgprs: 0
; NumVgprs: 0
; ScratchSize: 0
; MemoryBound: 0
; FloatMode: 240
; IeeeMode: 1
; LDSByteSize: 0 bytes/workgroup (compile time only)
; SGPRBlocks: 0
; VGPRBlocks: 0
; NumSGPRsForWavesPerEU: 1
; NumVGPRsForWavesPerEU: 1
; Occupancy: 16
; WaveLimiterHint : 0
; COMPUTE_PGM_RSRC2:SCRATCH_EN: 0
; COMPUTE_PGM_RSRC2:USER_SGPR: 6
; COMPUTE_PGM_RSRC2:TRAP_HANDLER: 0
; COMPUTE_PGM_RSRC2:TGID_X_EN: 1
; COMPUTE_PGM_RSRC2:TGID_Y_EN: 0
; COMPUTE_PGM_RSRC2:TGID_Z_EN: 0
; COMPUTE_PGM_RSRC2:TIDIG_COMP_CNT: 0
	.section	.text._ZN7rocprim17ROCPRIM_400000_NS6detail17trampoline_kernelINS0_13select_configILj256ELj13ELNS0_17block_load_methodE3ELS4_3ELS4_3ELNS0_20block_scan_algorithmE0ELj4294967295EEENS1_25partition_config_selectorILNS1_17partition_subalgoE3EjNS0_10empty_typeEbEEZZNS1_14partition_implILS8_3ELb0ES6_jNS0_17counting_iteratorIjlEEPS9_SE_NS0_5tupleIJPjSE_EEENSF_IJSE_SE_EEES9_SG_JZNS1_25segmented_radix_sort_implINS0_14default_configELb0EPKiPiPKlPlN2at6native12_GLOBAL__N_18offset_tEEE10hipError_tPvRmT1_PNSt15iterator_traitsISY_E10value_typeET2_T3_PNSZ_IS14_E10value_typeET4_jRbjT5_S1A_jjP12ihipStream_tbEUljE_EEESV_SW_SX_S14_S18_S1A_T6_T7_T9_mT8_S1C_bDpT10_ENKUlT_T0_E_clISt17integral_constantIbLb1EES1P_EEDaS1K_S1L_EUlS1K_E_NS1_11comp_targetILNS1_3genE3ELNS1_11target_archE908ELNS1_3gpuE7ELNS1_3repE0EEENS1_30default_config_static_selectorELNS0_4arch9wavefront6targetE0EEEvSY_,"axG",@progbits,_ZN7rocprim17ROCPRIM_400000_NS6detail17trampoline_kernelINS0_13select_configILj256ELj13ELNS0_17block_load_methodE3ELS4_3ELS4_3ELNS0_20block_scan_algorithmE0ELj4294967295EEENS1_25partition_config_selectorILNS1_17partition_subalgoE3EjNS0_10empty_typeEbEEZZNS1_14partition_implILS8_3ELb0ES6_jNS0_17counting_iteratorIjlEEPS9_SE_NS0_5tupleIJPjSE_EEENSF_IJSE_SE_EEES9_SG_JZNS1_25segmented_radix_sort_implINS0_14default_configELb0EPKiPiPKlPlN2at6native12_GLOBAL__N_18offset_tEEE10hipError_tPvRmT1_PNSt15iterator_traitsISY_E10value_typeET2_T3_PNSZ_IS14_E10value_typeET4_jRbjT5_S1A_jjP12ihipStream_tbEUljE_EEESV_SW_SX_S14_S18_S1A_T6_T7_T9_mT8_S1C_bDpT10_ENKUlT_T0_E_clISt17integral_constantIbLb1EES1P_EEDaS1K_S1L_EUlS1K_E_NS1_11comp_targetILNS1_3genE3ELNS1_11target_archE908ELNS1_3gpuE7ELNS1_3repE0EEENS1_30default_config_static_selectorELNS0_4arch9wavefront6targetE0EEEvSY_,comdat
	.globl	_ZN7rocprim17ROCPRIM_400000_NS6detail17trampoline_kernelINS0_13select_configILj256ELj13ELNS0_17block_load_methodE3ELS4_3ELS4_3ELNS0_20block_scan_algorithmE0ELj4294967295EEENS1_25partition_config_selectorILNS1_17partition_subalgoE3EjNS0_10empty_typeEbEEZZNS1_14partition_implILS8_3ELb0ES6_jNS0_17counting_iteratorIjlEEPS9_SE_NS0_5tupleIJPjSE_EEENSF_IJSE_SE_EEES9_SG_JZNS1_25segmented_radix_sort_implINS0_14default_configELb0EPKiPiPKlPlN2at6native12_GLOBAL__N_18offset_tEEE10hipError_tPvRmT1_PNSt15iterator_traitsISY_E10value_typeET2_T3_PNSZ_IS14_E10value_typeET4_jRbjT5_S1A_jjP12ihipStream_tbEUljE_EEESV_SW_SX_S14_S18_S1A_T6_T7_T9_mT8_S1C_bDpT10_ENKUlT_T0_E_clISt17integral_constantIbLb1EES1P_EEDaS1K_S1L_EUlS1K_E_NS1_11comp_targetILNS1_3genE3ELNS1_11target_archE908ELNS1_3gpuE7ELNS1_3repE0EEENS1_30default_config_static_selectorELNS0_4arch9wavefront6targetE0EEEvSY_ ; -- Begin function _ZN7rocprim17ROCPRIM_400000_NS6detail17trampoline_kernelINS0_13select_configILj256ELj13ELNS0_17block_load_methodE3ELS4_3ELS4_3ELNS0_20block_scan_algorithmE0ELj4294967295EEENS1_25partition_config_selectorILNS1_17partition_subalgoE3EjNS0_10empty_typeEbEEZZNS1_14partition_implILS8_3ELb0ES6_jNS0_17counting_iteratorIjlEEPS9_SE_NS0_5tupleIJPjSE_EEENSF_IJSE_SE_EEES9_SG_JZNS1_25segmented_radix_sort_implINS0_14default_configELb0EPKiPiPKlPlN2at6native12_GLOBAL__N_18offset_tEEE10hipError_tPvRmT1_PNSt15iterator_traitsISY_E10value_typeET2_T3_PNSZ_IS14_E10value_typeET4_jRbjT5_S1A_jjP12ihipStream_tbEUljE_EEESV_SW_SX_S14_S18_S1A_T6_T7_T9_mT8_S1C_bDpT10_ENKUlT_T0_E_clISt17integral_constantIbLb1EES1P_EEDaS1K_S1L_EUlS1K_E_NS1_11comp_targetILNS1_3genE3ELNS1_11target_archE908ELNS1_3gpuE7ELNS1_3repE0EEENS1_30default_config_static_selectorELNS0_4arch9wavefront6targetE0EEEvSY_
	.p2align	8
	.type	_ZN7rocprim17ROCPRIM_400000_NS6detail17trampoline_kernelINS0_13select_configILj256ELj13ELNS0_17block_load_methodE3ELS4_3ELS4_3ELNS0_20block_scan_algorithmE0ELj4294967295EEENS1_25partition_config_selectorILNS1_17partition_subalgoE3EjNS0_10empty_typeEbEEZZNS1_14partition_implILS8_3ELb0ES6_jNS0_17counting_iteratorIjlEEPS9_SE_NS0_5tupleIJPjSE_EEENSF_IJSE_SE_EEES9_SG_JZNS1_25segmented_radix_sort_implINS0_14default_configELb0EPKiPiPKlPlN2at6native12_GLOBAL__N_18offset_tEEE10hipError_tPvRmT1_PNSt15iterator_traitsISY_E10value_typeET2_T3_PNSZ_IS14_E10value_typeET4_jRbjT5_S1A_jjP12ihipStream_tbEUljE_EEESV_SW_SX_S14_S18_S1A_T6_T7_T9_mT8_S1C_bDpT10_ENKUlT_T0_E_clISt17integral_constantIbLb1EES1P_EEDaS1K_S1L_EUlS1K_E_NS1_11comp_targetILNS1_3genE3ELNS1_11target_archE908ELNS1_3gpuE7ELNS1_3repE0EEENS1_30default_config_static_selectorELNS0_4arch9wavefront6targetE0EEEvSY_,@function
_ZN7rocprim17ROCPRIM_400000_NS6detail17trampoline_kernelINS0_13select_configILj256ELj13ELNS0_17block_load_methodE3ELS4_3ELS4_3ELNS0_20block_scan_algorithmE0ELj4294967295EEENS1_25partition_config_selectorILNS1_17partition_subalgoE3EjNS0_10empty_typeEbEEZZNS1_14partition_implILS8_3ELb0ES6_jNS0_17counting_iteratorIjlEEPS9_SE_NS0_5tupleIJPjSE_EEENSF_IJSE_SE_EEES9_SG_JZNS1_25segmented_radix_sort_implINS0_14default_configELb0EPKiPiPKlPlN2at6native12_GLOBAL__N_18offset_tEEE10hipError_tPvRmT1_PNSt15iterator_traitsISY_E10value_typeET2_T3_PNSZ_IS14_E10value_typeET4_jRbjT5_S1A_jjP12ihipStream_tbEUljE_EEESV_SW_SX_S14_S18_S1A_T6_T7_T9_mT8_S1C_bDpT10_ENKUlT_T0_E_clISt17integral_constantIbLb1EES1P_EEDaS1K_S1L_EUlS1K_E_NS1_11comp_targetILNS1_3genE3ELNS1_11target_archE908ELNS1_3gpuE7ELNS1_3repE0EEENS1_30default_config_static_selectorELNS0_4arch9wavefront6targetE0EEEvSY_: ; @_ZN7rocprim17ROCPRIM_400000_NS6detail17trampoline_kernelINS0_13select_configILj256ELj13ELNS0_17block_load_methodE3ELS4_3ELS4_3ELNS0_20block_scan_algorithmE0ELj4294967295EEENS1_25partition_config_selectorILNS1_17partition_subalgoE3EjNS0_10empty_typeEbEEZZNS1_14partition_implILS8_3ELb0ES6_jNS0_17counting_iteratorIjlEEPS9_SE_NS0_5tupleIJPjSE_EEENSF_IJSE_SE_EEES9_SG_JZNS1_25segmented_radix_sort_implINS0_14default_configELb0EPKiPiPKlPlN2at6native12_GLOBAL__N_18offset_tEEE10hipError_tPvRmT1_PNSt15iterator_traitsISY_E10value_typeET2_T3_PNSZ_IS14_E10value_typeET4_jRbjT5_S1A_jjP12ihipStream_tbEUljE_EEESV_SW_SX_S14_S18_S1A_T6_T7_T9_mT8_S1C_bDpT10_ENKUlT_T0_E_clISt17integral_constantIbLb1EES1P_EEDaS1K_S1L_EUlS1K_E_NS1_11comp_targetILNS1_3genE3ELNS1_11target_archE908ELNS1_3gpuE7ELNS1_3repE0EEENS1_30default_config_static_selectorELNS0_4arch9wavefront6targetE0EEEvSY_
; %bb.0:
	.section	.rodata,"a",@progbits
	.p2align	6, 0x0
	.amdhsa_kernel _ZN7rocprim17ROCPRIM_400000_NS6detail17trampoline_kernelINS0_13select_configILj256ELj13ELNS0_17block_load_methodE3ELS4_3ELS4_3ELNS0_20block_scan_algorithmE0ELj4294967295EEENS1_25partition_config_selectorILNS1_17partition_subalgoE3EjNS0_10empty_typeEbEEZZNS1_14partition_implILS8_3ELb0ES6_jNS0_17counting_iteratorIjlEEPS9_SE_NS0_5tupleIJPjSE_EEENSF_IJSE_SE_EEES9_SG_JZNS1_25segmented_radix_sort_implINS0_14default_configELb0EPKiPiPKlPlN2at6native12_GLOBAL__N_18offset_tEEE10hipError_tPvRmT1_PNSt15iterator_traitsISY_E10value_typeET2_T3_PNSZ_IS14_E10value_typeET4_jRbjT5_S1A_jjP12ihipStream_tbEUljE_EEESV_SW_SX_S14_S18_S1A_T6_T7_T9_mT8_S1C_bDpT10_ENKUlT_T0_E_clISt17integral_constantIbLb1EES1P_EEDaS1K_S1L_EUlS1K_E_NS1_11comp_targetILNS1_3genE3ELNS1_11target_archE908ELNS1_3gpuE7ELNS1_3repE0EEENS1_30default_config_static_selectorELNS0_4arch9wavefront6targetE0EEEvSY_
		.amdhsa_group_segment_fixed_size 0
		.amdhsa_private_segment_fixed_size 0
		.amdhsa_kernarg_size 152
		.amdhsa_user_sgpr_count 6
		.amdhsa_user_sgpr_private_segment_buffer 1
		.amdhsa_user_sgpr_dispatch_ptr 0
		.amdhsa_user_sgpr_queue_ptr 0
		.amdhsa_user_sgpr_kernarg_segment_ptr 1
		.amdhsa_user_sgpr_dispatch_id 0
		.amdhsa_user_sgpr_flat_scratch_init 0
		.amdhsa_user_sgpr_private_segment_size 0
		.amdhsa_wavefront_size32 1
		.amdhsa_uses_dynamic_stack 0
		.amdhsa_system_sgpr_private_segment_wavefront_offset 0
		.amdhsa_system_sgpr_workgroup_id_x 1
		.amdhsa_system_sgpr_workgroup_id_y 0
		.amdhsa_system_sgpr_workgroup_id_z 0
		.amdhsa_system_sgpr_workgroup_info 0
		.amdhsa_system_vgpr_workitem_id 0
		.amdhsa_next_free_vgpr 1
		.amdhsa_next_free_sgpr 1
		.amdhsa_reserve_vcc 0
		.amdhsa_reserve_flat_scratch 0
		.amdhsa_float_round_mode_32 0
		.amdhsa_float_round_mode_16_64 0
		.amdhsa_float_denorm_mode_32 3
		.amdhsa_float_denorm_mode_16_64 3
		.amdhsa_dx10_clamp 1
		.amdhsa_ieee_mode 1
		.amdhsa_fp16_overflow 0
		.amdhsa_workgroup_processor_mode 1
		.amdhsa_memory_ordered 1
		.amdhsa_forward_progress 1
		.amdhsa_shared_vgpr_count 0
		.amdhsa_exception_fp_ieee_invalid_op 0
		.amdhsa_exception_fp_denorm_src 0
		.amdhsa_exception_fp_ieee_div_zero 0
		.amdhsa_exception_fp_ieee_overflow 0
		.amdhsa_exception_fp_ieee_underflow 0
		.amdhsa_exception_fp_ieee_inexact 0
		.amdhsa_exception_int_div_zero 0
	.end_amdhsa_kernel
	.section	.text._ZN7rocprim17ROCPRIM_400000_NS6detail17trampoline_kernelINS0_13select_configILj256ELj13ELNS0_17block_load_methodE3ELS4_3ELS4_3ELNS0_20block_scan_algorithmE0ELj4294967295EEENS1_25partition_config_selectorILNS1_17partition_subalgoE3EjNS0_10empty_typeEbEEZZNS1_14partition_implILS8_3ELb0ES6_jNS0_17counting_iteratorIjlEEPS9_SE_NS0_5tupleIJPjSE_EEENSF_IJSE_SE_EEES9_SG_JZNS1_25segmented_radix_sort_implINS0_14default_configELb0EPKiPiPKlPlN2at6native12_GLOBAL__N_18offset_tEEE10hipError_tPvRmT1_PNSt15iterator_traitsISY_E10value_typeET2_T3_PNSZ_IS14_E10value_typeET4_jRbjT5_S1A_jjP12ihipStream_tbEUljE_EEESV_SW_SX_S14_S18_S1A_T6_T7_T9_mT8_S1C_bDpT10_ENKUlT_T0_E_clISt17integral_constantIbLb1EES1P_EEDaS1K_S1L_EUlS1K_E_NS1_11comp_targetILNS1_3genE3ELNS1_11target_archE908ELNS1_3gpuE7ELNS1_3repE0EEENS1_30default_config_static_selectorELNS0_4arch9wavefront6targetE0EEEvSY_,"axG",@progbits,_ZN7rocprim17ROCPRIM_400000_NS6detail17trampoline_kernelINS0_13select_configILj256ELj13ELNS0_17block_load_methodE3ELS4_3ELS4_3ELNS0_20block_scan_algorithmE0ELj4294967295EEENS1_25partition_config_selectorILNS1_17partition_subalgoE3EjNS0_10empty_typeEbEEZZNS1_14partition_implILS8_3ELb0ES6_jNS0_17counting_iteratorIjlEEPS9_SE_NS0_5tupleIJPjSE_EEENSF_IJSE_SE_EEES9_SG_JZNS1_25segmented_radix_sort_implINS0_14default_configELb0EPKiPiPKlPlN2at6native12_GLOBAL__N_18offset_tEEE10hipError_tPvRmT1_PNSt15iterator_traitsISY_E10value_typeET2_T3_PNSZ_IS14_E10value_typeET4_jRbjT5_S1A_jjP12ihipStream_tbEUljE_EEESV_SW_SX_S14_S18_S1A_T6_T7_T9_mT8_S1C_bDpT10_ENKUlT_T0_E_clISt17integral_constantIbLb1EES1P_EEDaS1K_S1L_EUlS1K_E_NS1_11comp_targetILNS1_3genE3ELNS1_11target_archE908ELNS1_3gpuE7ELNS1_3repE0EEENS1_30default_config_static_selectorELNS0_4arch9wavefront6targetE0EEEvSY_,comdat
.Lfunc_end574:
	.size	_ZN7rocprim17ROCPRIM_400000_NS6detail17trampoline_kernelINS0_13select_configILj256ELj13ELNS0_17block_load_methodE3ELS4_3ELS4_3ELNS0_20block_scan_algorithmE0ELj4294967295EEENS1_25partition_config_selectorILNS1_17partition_subalgoE3EjNS0_10empty_typeEbEEZZNS1_14partition_implILS8_3ELb0ES6_jNS0_17counting_iteratorIjlEEPS9_SE_NS0_5tupleIJPjSE_EEENSF_IJSE_SE_EEES9_SG_JZNS1_25segmented_radix_sort_implINS0_14default_configELb0EPKiPiPKlPlN2at6native12_GLOBAL__N_18offset_tEEE10hipError_tPvRmT1_PNSt15iterator_traitsISY_E10value_typeET2_T3_PNSZ_IS14_E10value_typeET4_jRbjT5_S1A_jjP12ihipStream_tbEUljE_EEESV_SW_SX_S14_S18_S1A_T6_T7_T9_mT8_S1C_bDpT10_ENKUlT_T0_E_clISt17integral_constantIbLb1EES1P_EEDaS1K_S1L_EUlS1K_E_NS1_11comp_targetILNS1_3genE3ELNS1_11target_archE908ELNS1_3gpuE7ELNS1_3repE0EEENS1_30default_config_static_selectorELNS0_4arch9wavefront6targetE0EEEvSY_, .Lfunc_end574-_ZN7rocprim17ROCPRIM_400000_NS6detail17trampoline_kernelINS0_13select_configILj256ELj13ELNS0_17block_load_methodE3ELS4_3ELS4_3ELNS0_20block_scan_algorithmE0ELj4294967295EEENS1_25partition_config_selectorILNS1_17partition_subalgoE3EjNS0_10empty_typeEbEEZZNS1_14partition_implILS8_3ELb0ES6_jNS0_17counting_iteratorIjlEEPS9_SE_NS0_5tupleIJPjSE_EEENSF_IJSE_SE_EEES9_SG_JZNS1_25segmented_radix_sort_implINS0_14default_configELb0EPKiPiPKlPlN2at6native12_GLOBAL__N_18offset_tEEE10hipError_tPvRmT1_PNSt15iterator_traitsISY_E10value_typeET2_T3_PNSZ_IS14_E10value_typeET4_jRbjT5_S1A_jjP12ihipStream_tbEUljE_EEESV_SW_SX_S14_S18_S1A_T6_T7_T9_mT8_S1C_bDpT10_ENKUlT_T0_E_clISt17integral_constantIbLb1EES1P_EEDaS1K_S1L_EUlS1K_E_NS1_11comp_targetILNS1_3genE3ELNS1_11target_archE908ELNS1_3gpuE7ELNS1_3repE0EEENS1_30default_config_static_selectorELNS0_4arch9wavefront6targetE0EEEvSY_
                                        ; -- End function
	.set _ZN7rocprim17ROCPRIM_400000_NS6detail17trampoline_kernelINS0_13select_configILj256ELj13ELNS0_17block_load_methodE3ELS4_3ELS4_3ELNS0_20block_scan_algorithmE0ELj4294967295EEENS1_25partition_config_selectorILNS1_17partition_subalgoE3EjNS0_10empty_typeEbEEZZNS1_14partition_implILS8_3ELb0ES6_jNS0_17counting_iteratorIjlEEPS9_SE_NS0_5tupleIJPjSE_EEENSF_IJSE_SE_EEES9_SG_JZNS1_25segmented_radix_sort_implINS0_14default_configELb0EPKiPiPKlPlN2at6native12_GLOBAL__N_18offset_tEEE10hipError_tPvRmT1_PNSt15iterator_traitsISY_E10value_typeET2_T3_PNSZ_IS14_E10value_typeET4_jRbjT5_S1A_jjP12ihipStream_tbEUljE_EEESV_SW_SX_S14_S18_S1A_T6_T7_T9_mT8_S1C_bDpT10_ENKUlT_T0_E_clISt17integral_constantIbLb1EES1P_EEDaS1K_S1L_EUlS1K_E_NS1_11comp_targetILNS1_3genE3ELNS1_11target_archE908ELNS1_3gpuE7ELNS1_3repE0EEENS1_30default_config_static_selectorELNS0_4arch9wavefront6targetE0EEEvSY_.num_vgpr, 0
	.set _ZN7rocprim17ROCPRIM_400000_NS6detail17trampoline_kernelINS0_13select_configILj256ELj13ELNS0_17block_load_methodE3ELS4_3ELS4_3ELNS0_20block_scan_algorithmE0ELj4294967295EEENS1_25partition_config_selectorILNS1_17partition_subalgoE3EjNS0_10empty_typeEbEEZZNS1_14partition_implILS8_3ELb0ES6_jNS0_17counting_iteratorIjlEEPS9_SE_NS0_5tupleIJPjSE_EEENSF_IJSE_SE_EEES9_SG_JZNS1_25segmented_radix_sort_implINS0_14default_configELb0EPKiPiPKlPlN2at6native12_GLOBAL__N_18offset_tEEE10hipError_tPvRmT1_PNSt15iterator_traitsISY_E10value_typeET2_T3_PNSZ_IS14_E10value_typeET4_jRbjT5_S1A_jjP12ihipStream_tbEUljE_EEESV_SW_SX_S14_S18_S1A_T6_T7_T9_mT8_S1C_bDpT10_ENKUlT_T0_E_clISt17integral_constantIbLb1EES1P_EEDaS1K_S1L_EUlS1K_E_NS1_11comp_targetILNS1_3genE3ELNS1_11target_archE908ELNS1_3gpuE7ELNS1_3repE0EEENS1_30default_config_static_selectorELNS0_4arch9wavefront6targetE0EEEvSY_.num_agpr, 0
	.set _ZN7rocprim17ROCPRIM_400000_NS6detail17trampoline_kernelINS0_13select_configILj256ELj13ELNS0_17block_load_methodE3ELS4_3ELS4_3ELNS0_20block_scan_algorithmE0ELj4294967295EEENS1_25partition_config_selectorILNS1_17partition_subalgoE3EjNS0_10empty_typeEbEEZZNS1_14partition_implILS8_3ELb0ES6_jNS0_17counting_iteratorIjlEEPS9_SE_NS0_5tupleIJPjSE_EEENSF_IJSE_SE_EEES9_SG_JZNS1_25segmented_radix_sort_implINS0_14default_configELb0EPKiPiPKlPlN2at6native12_GLOBAL__N_18offset_tEEE10hipError_tPvRmT1_PNSt15iterator_traitsISY_E10value_typeET2_T3_PNSZ_IS14_E10value_typeET4_jRbjT5_S1A_jjP12ihipStream_tbEUljE_EEESV_SW_SX_S14_S18_S1A_T6_T7_T9_mT8_S1C_bDpT10_ENKUlT_T0_E_clISt17integral_constantIbLb1EES1P_EEDaS1K_S1L_EUlS1K_E_NS1_11comp_targetILNS1_3genE3ELNS1_11target_archE908ELNS1_3gpuE7ELNS1_3repE0EEENS1_30default_config_static_selectorELNS0_4arch9wavefront6targetE0EEEvSY_.numbered_sgpr, 0
	.set _ZN7rocprim17ROCPRIM_400000_NS6detail17trampoline_kernelINS0_13select_configILj256ELj13ELNS0_17block_load_methodE3ELS4_3ELS4_3ELNS0_20block_scan_algorithmE0ELj4294967295EEENS1_25partition_config_selectorILNS1_17partition_subalgoE3EjNS0_10empty_typeEbEEZZNS1_14partition_implILS8_3ELb0ES6_jNS0_17counting_iteratorIjlEEPS9_SE_NS0_5tupleIJPjSE_EEENSF_IJSE_SE_EEES9_SG_JZNS1_25segmented_radix_sort_implINS0_14default_configELb0EPKiPiPKlPlN2at6native12_GLOBAL__N_18offset_tEEE10hipError_tPvRmT1_PNSt15iterator_traitsISY_E10value_typeET2_T3_PNSZ_IS14_E10value_typeET4_jRbjT5_S1A_jjP12ihipStream_tbEUljE_EEESV_SW_SX_S14_S18_S1A_T6_T7_T9_mT8_S1C_bDpT10_ENKUlT_T0_E_clISt17integral_constantIbLb1EES1P_EEDaS1K_S1L_EUlS1K_E_NS1_11comp_targetILNS1_3genE3ELNS1_11target_archE908ELNS1_3gpuE7ELNS1_3repE0EEENS1_30default_config_static_selectorELNS0_4arch9wavefront6targetE0EEEvSY_.num_named_barrier, 0
	.set _ZN7rocprim17ROCPRIM_400000_NS6detail17trampoline_kernelINS0_13select_configILj256ELj13ELNS0_17block_load_methodE3ELS4_3ELS4_3ELNS0_20block_scan_algorithmE0ELj4294967295EEENS1_25partition_config_selectorILNS1_17partition_subalgoE3EjNS0_10empty_typeEbEEZZNS1_14partition_implILS8_3ELb0ES6_jNS0_17counting_iteratorIjlEEPS9_SE_NS0_5tupleIJPjSE_EEENSF_IJSE_SE_EEES9_SG_JZNS1_25segmented_radix_sort_implINS0_14default_configELb0EPKiPiPKlPlN2at6native12_GLOBAL__N_18offset_tEEE10hipError_tPvRmT1_PNSt15iterator_traitsISY_E10value_typeET2_T3_PNSZ_IS14_E10value_typeET4_jRbjT5_S1A_jjP12ihipStream_tbEUljE_EEESV_SW_SX_S14_S18_S1A_T6_T7_T9_mT8_S1C_bDpT10_ENKUlT_T0_E_clISt17integral_constantIbLb1EES1P_EEDaS1K_S1L_EUlS1K_E_NS1_11comp_targetILNS1_3genE3ELNS1_11target_archE908ELNS1_3gpuE7ELNS1_3repE0EEENS1_30default_config_static_selectorELNS0_4arch9wavefront6targetE0EEEvSY_.private_seg_size, 0
	.set _ZN7rocprim17ROCPRIM_400000_NS6detail17trampoline_kernelINS0_13select_configILj256ELj13ELNS0_17block_load_methodE3ELS4_3ELS4_3ELNS0_20block_scan_algorithmE0ELj4294967295EEENS1_25partition_config_selectorILNS1_17partition_subalgoE3EjNS0_10empty_typeEbEEZZNS1_14partition_implILS8_3ELb0ES6_jNS0_17counting_iteratorIjlEEPS9_SE_NS0_5tupleIJPjSE_EEENSF_IJSE_SE_EEES9_SG_JZNS1_25segmented_radix_sort_implINS0_14default_configELb0EPKiPiPKlPlN2at6native12_GLOBAL__N_18offset_tEEE10hipError_tPvRmT1_PNSt15iterator_traitsISY_E10value_typeET2_T3_PNSZ_IS14_E10value_typeET4_jRbjT5_S1A_jjP12ihipStream_tbEUljE_EEESV_SW_SX_S14_S18_S1A_T6_T7_T9_mT8_S1C_bDpT10_ENKUlT_T0_E_clISt17integral_constantIbLb1EES1P_EEDaS1K_S1L_EUlS1K_E_NS1_11comp_targetILNS1_3genE3ELNS1_11target_archE908ELNS1_3gpuE7ELNS1_3repE0EEENS1_30default_config_static_selectorELNS0_4arch9wavefront6targetE0EEEvSY_.uses_vcc, 0
	.set _ZN7rocprim17ROCPRIM_400000_NS6detail17trampoline_kernelINS0_13select_configILj256ELj13ELNS0_17block_load_methodE3ELS4_3ELS4_3ELNS0_20block_scan_algorithmE0ELj4294967295EEENS1_25partition_config_selectorILNS1_17partition_subalgoE3EjNS0_10empty_typeEbEEZZNS1_14partition_implILS8_3ELb0ES6_jNS0_17counting_iteratorIjlEEPS9_SE_NS0_5tupleIJPjSE_EEENSF_IJSE_SE_EEES9_SG_JZNS1_25segmented_radix_sort_implINS0_14default_configELb0EPKiPiPKlPlN2at6native12_GLOBAL__N_18offset_tEEE10hipError_tPvRmT1_PNSt15iterator_traitsISY_E10value_typeET2_T3_PNSZ_IS14_E10value_typeET4_jRbjT5_S1A_jjP12ihipStream_tbEUljE_EEESV_SW_SX_S14_S18_S1A_T6_T7_T9_mT8_S1C_bDpT10_ENKUlT_T0_E_clISt17integral_constantIbLb1EES1P_EEDaS1K_S1L_EUlS1K_E_NS1_11comp_targetILNS1_3genE3ELNS1_11target_archE908ELNS1_3gpuE7ELNS1_3repE0EEENS1_30default_config_static_selectorELNS0_4arch9wavefront6targetE0EEEvSY_.uses_flat_scratch, 0
	.set _ZN7rocprim17ROCPRIM_400000_NS6detail17trampoline_kernelINS0_13select_configILj256ELj13ELNS0_17block_load_methodE3ELS4_3ELS4_3ELNS0_20block_scan_algorithmE0ELj4294967295EEENS1_25partition_config_selectorILNS1_17partition_subalgoE3EjNS0_10empty_typeEbEEZZNS1_14partition_implILS8_3ELb0ES6_jNS0_17counting_iteratorIjlEEPS9_SE_NS0_5tupleIJPjSE_EEENSF_IJSE_SE_EEES9_SG_JZNS1_25segmented_radix_sort_implINS0_14default_configELb0EPKiPiPKlPlN2at6native12_GLOBAL__N_18offset_tEEE10hipError_tPvRmT1_PNSt15iterator_traitsISY_E10value_typeET2_T3_PNSZ_IS14_E10value_typeET4_jRbjT5_S1A_jjP12ihipStream_tbEUljE_EEESV_SW_SX_S14_S18_S1A_T6_T7_T9_mT8_S1C_bDpT10_ENKUlT_T0_E_clISt17integral_constantIbLb1EES1P_EEDaS1K_S1L_EUlS1K_E_NS1_11comp_targetILNS1_3genE3ELNS1_11target_archE908ELNS1_3gpuE7ELNS1_3repE0EEENS1_30default_config_static_selectorELNS0_4arch9wavefront6targetE0EEEvSY_.has_dyn_sized_stack, 0
	.set _ZN7rocprim17ROCPRIM_400000_NS6detail17trampoline_kernelINS0_13select_configILj256ELj13ELNS0_17block_load_methodE3ELS4_3ELS4_3ELNS0_20block_scan_algorithmE0ELj4294967295EEENS1_25partition_config_selectorILNS1_17partition_subalgoE3EjNS0_10empty_typeEbEEZZNS1_14partition_implILS8_3ELb0ES6_jNS0_17counting_iteratorIjlEEPS9_SE_NS0_5tupleIJPjSE_EEENSF_IJSE_SE_EEES9_SG_JZNS1_25segmented_radix_sort_implINS0_14default_configELb0EPKiPiPKlPlN2at6native12_GLOBAL__N_18offset_tEEE10hipError_tPvRmT1_PNSt15iterator_traitsISY_E10value_typeET2_T3_PNSZ_IS14_E10value_typeET4_jRbjT5_S1A_jjP12ihipStream_tbEUljE_EEESV_SW_SX_S14_S18_S1A_T6_T7_T9_mT8_S1C_bDpT10_ENKUlT_T0_E_clISt17integral_constantIbLb1EES1P_EEDaS1K_S1L_EUlS1K_E_NS1_11comp_targetILNS1_3genE3ELNS1_11target_archE908ELNS1_3gpuE7ELNS1_3repE0EEENS1_30default_config_static_selectorELNS0_4arch9wavefront6targetE0EEEvSY_.has_recursion, 0
	.set _ZN7rocprim17ROCPRIM_400000_NS6detail17trampoline_kernelINS0_13select_configILj256ELj13ELNS0_17block_load_methodE3ELS4_3ELS4_3ELNS0_20block_scan_algorithmE0ELj4294967295EEENS1_25partition_config_selectorILNS1_17partition_subalgoE3EjNS0_10empty_typeEbEEZZNS1_14partition_implILS8_3ELb0ES6_jNS0_17counting_iteratorIjlEEPS9_SE_NS0_5tupleIJPjSE_EEENSF_IJSE_SE_EEES9_SG_JZNS1_25segmented_radix_sort_implINS0_14default_configELb0EPKiPiPKlPlN2at6native12_GLOBAL__N_18offset_tEEE10hipError_tPvRmT1_PNSt15iterator_traitsISY_E10value_typeET2_T3_PNSZ_IS14_E10value_typeET4_jRbjT5_S1A_jjP12ihipStream_tbEUljE_EEESV_SW_SX_S14_S18_S1A_T6_T7_T9_mT8_S1C_bDpT10_ENKUlT_T0_E_clISt17integral_constantIbLb1EES1P_EEDaS1K_S1L_EUlS1K_E_NS1_11comp_targetILNS1_3genE3ELNS1_11target_archE908ELNS1_3gpuE7ELNS1_3repE0EEENS1_30default_config_static_selectorELNS0_4arch9wavefront6targetE0EEEvSY_.has_indirect_call, 0
	.section	.AMDGPU.csdata,"",@progbits
; Kernel info:
; codeLenInByte = 0
; TotalNumSgprs: 0
; NumVgprs: 0
; ScratchSize: 0
; MemoryBound: 0
; FloatMode: 240
; IeeeMode: 1
; LDSByteSize: 0 bytes/workgroup (compile time only)
; SGPRBlocks: 0
; VGPRBlocks: 0
; NumSGPRsForWavesPerEU: 1
; NumVGPRsForWavesPerEU: 1
; Occupancy: 16
; WaveLimiterHint : 0
; COMPUTE_PGM_RSRC2:SCRATCH_EN: 0
; COMPUTE_PGM_RSRC2:USER_SGPR: 6
; COMPUTE_PGM_RSRC2:TRAP_HANDLER: 0
; COMPUTE_PGM_RSRC2:TGID_X_EN: 1
; COMPUTE_PGM_RSRC2:TGID_Y_EN: 0
; COMPUTE_PGM_RSRC2:TGID_Z_EN: 0
; COMPUTE_PGM_RSRC2:TIDIG_COMP_CNT: 0
	.section	.text._ZN7rocprim17ROCPRIM_400000_NS6detail17trampoline_kernelINS0_13select_configILj256ELj13ELNS0_17block_load_methodE3ELS4_3ELS4_3ELNS0_20block_scan_algorithmE0ELj4294967295EEENS1_25partition_config_selectorILNS1_17partition_subalgoE3EjNS0_10empty_typeEbEEZZNS1_14partition_implILS8_3ELb0ES6_jNS0_17counting_iteratorIjlEEPS9_SE_NS0_5tupleIJPjSE_EEENSF_IJSE_SE_EEES9_SG_JZNS1_25segmented_radix_sort_implINS0_14default_configELb0EPKiPiPKlPlN2at6native12_GLOBAL__N_18offset_tEEE10hipError_tPvRmT1_PNSt15iterator_traitsISY_E10value_typeET2_T3_PNSZ_IS14_E10value_typeET4_jRbjT5_S1A_jjP12ihipStream_tbEUljE_EEESV_SW_SX_S14_S18_S1A_T6_T7_T9_mT8_S1C_bDpT10_ENKUlT_T0_E_clISt17integral_constantIbLb1EES1P_EEDaS1K_S1L_EUlS1K_E_NS1_11comp_targetILNS1_3genE2ELNS1_11target_archE906ELNS1_3gpuE6ELNS1_3repE0EEENS1_30default_config_static_selectorELNS0_4arch9wavefront6targetE0EEEvSY_,"axG",@progbits,_ZN7rocprim17ROCPRIM_400000_NS6detail17trampoline_kernelINS0_13select_configILj256ELj13ELNS0_17block_load_methodE3ELS4_3ELS4_3ELNS0_20block_scan_algorithmE0ELj4294967295EEENS1_25partition_config_selectorILNS1_17partition_subalgoE3EjNS0_10empty_typeEbEEZZNS1_14partition_implILS8_3ELb0ES6_jNS0_17counting_iteratorIjlEEPS9_SE_NS0_5tupleIJPjSE_EEENSF_IJSE_SE_EEES9_SG_JZNS1_25segmented_radix_sort_implINS0_14default_configELb0EPKiPiPKlPlN2at6native12_GLOBAL__N_18offset_tEEE10hipError_tPvRmT1_PNSt15iterator_traitsISY_E10value_typeET2_T3_PNSZ_IS14_E10value_typeET4_jRbjT5_S1A_jjP12ihipStream_tbEUljE_EEESV_SW_SX_S14_S18_S1A_T6_T7_T9_mT8_S1C_bDpT10_ENKUlT_T0_E_clISt17integral_constantIbLb1EES1P_EEDaS1K_S1L_EUlS1K_E_NS1_11comp_targetILNS1_3genE2ELNS1_11target_archE906ELNS1_3gpuE6ELNS1_3repE0EEENS1_30default_config_static_selectorELNS0_4arch9wavefront6targetE0EEEvSY_,comdat
	.globl	_ZN7rocprim17ROCPRIM_400000_NS6detail17trampoline_kernelINS0_13select_configILj256ELj13ELNS0_17block_load_methodE3ELS4_3ELS4_3ELNS0_20block_scan_algorithmE0ELj4294967295EEENS1_25partition_config_selectorILNS1_17partition_subalgoE3EjNS0_10empty_typeEbEEZZNS1_14partition_implILS8_3ELb0ES6_jNS0_17counting_iteratorIjlEEPS9_SE_NS0_5tupleIJPjSE_EEENSF_IJSE_SE_EEES9_SG_JZNS1_25segmented_radix_sort_implINS0_14default_configELb0EPKiPiPKlPlN2at6native12_GLOBAL__N_18offset_tEEE10hipError_tPvRmT1_PNSt15iterator_traitsISY_E10value_typeET2_T3_PNSZ_IS14_E10value_typeET4_jRbjT5_S1A_jjP12ihipStream_tbEUljE_EEESV_SW_SX_S14_S18_S1A_T6_T7_T9_mT8_S1C_bDpT10_ENKUlT_T0_E_clISt17integral_constantIbLb1EES1P_EEDaS1K_S1L_EUlS1K_E_NS1_11comp_targetILNS1_3genE2ELNS1_11target_archE906ELNS1_3gpuE6ELNS1_3repE0EEENS1_30default_config_static_selectorELNS0_4arch9wavefront6targetE0EEEvSY_ ; -- Begin function _ZN7rocprim17ROCPRIM_400000_NS6detail17trampoline_kernelINS0_13select_configILj256ELj13ELNS0_17block_load_methodE3ELS4_3ELS4_3ELNS0_20block_scan_algorithmE0ELj4294967295EEENS1_25partition_config_selectorILNS1_17partition_subalgoE3EjNS0_10empty_typeEbEEZZNS1_14partition_implILS8_3ELb0ES6_jNS0_17counting_iteratorIjlEEPS9_SE_NS0_5tupleIJPjSE_EEENSF_IJSE_SE_EEES9_SG_JZNS1_25segmented_radix_sort_implINS0_14default_configELb0EPKiPiPKlPlN2at6native12_GLOBAL__N_18offset_tEEE10hipError_tPvRmT1_PNSt15iterator_traitsISY_E10value_typeET2_T3_PNSZ_IS14_E10value_typeET4_jRbjT5_S1A_jjP12ihipStream_tbEUljE_EEESV_SW_SX_S14_S18_S1A_T6_T7_T9_mT8_S1C_bDpT10_ENKUlT_T0_E_clISt17integral_constantIbLb1EES1P_EEDaS1K_S1L_EUlS1K_E_NS1_11comp_targetILNS1_3genE2ELNS1_11target_archE906ELNS1_3gpuE6ELNS1_3repE0EEENS1_30default_config_static_selectorELNS0_4arch9wavefront6targetE0EEEvSY_
	.p2align	8
	.type	_ZN7rocprim17ROCPRIM_400000_NS6detail17trampoline_kernelINS0_13select_configILj256ELj13ELNS0_17block_load_methodE3ELS4_3ELS4_3ELNS0_20block_scan_algorithmE0ELj4294967295EEENS1_25partition_config_selectorILNS1_17partition_subalgoE3EjNS0_10empty_typeEbEEZZNS1_14partition_implILS8_3ELb0ES6_jNS0_17counting_iteratorIjlEEPS9_SE_NS0_5tupleIJPjSE_EEENSF_IJSE_SE_EEES9_SG_JZNS1_25segmented_radix_sort_implINS0_14default_configELb0EPKiPiPKlPlN2at6native12_GLOBAL__N_18offset_tEEE10hipError_tPvRmT1_PNSt15iterator_traitsISY_E10value_typeET2_T3_PNSZ_IS14_E10value_typeET4_jRbjT5_S1A_jjP12ihipStream_tbEUljE_EEESV_SW_SX_S14_S18_S1A_T6_T7_T9_mT8_S1C_bDpT10_ENKUlT_T0_E_clISt17integral_constantIbLb1EES1P_EEDaS1K_S1L_EUlS1K_E_NS1_11comp_targetILNS1_3genE2ELNS1_11target_archE906ELNS1_3gpuE6ELNS1_3repE0EEENS1_30default_config_static_selectorELNS0_4arch9wavefront6targetE0EEEvSY_,@function
_ZN7rocprim17ROCPRIM_400000_NS6detail17trampoline_kernelINS0_13select_configILj256ELj13ELNS0_17block_load_methodE3ELS4_3ELS4_3ELNS0_20block_scan_algorithmE0ELj4294967295EEENS1_25partition_config_selectorILNS1_17partition_subalgoE3EjNS0_10empty_typeEbEEZZNS1_14partition_implILS8_3ELb0ES6_jNS0_17counting_iteratorIjlEEPS9_SE_NS0_5tupleIJPjSE_EEENSF_IJSE_SE_EEES9_SG_JZNS1_25segmented_radix_sort_implINS0_14default_configELb0EPKiPiPKlPlN2at6native12_GLOBAL__N_18offset_tEEE10hipError_tPvRmT1_PNSt15iterator_traitsISY_E10value_typeET2_T3_PNSZ_IS14_E10value_typeET4_jRbjT5_S1A_jjP12ihipStream_tbEUljE_EEESV_SW_SX_S14_S18_S1A_T6_T7_T9_mT8_S1C_bDpT10_ENKUlT_T0_E_clISt17integral_constantIbLb1EES1P_EEDaS1K_S1L_EUlS1K_E_NS1_11comp_targetILNS1_3genE2ELNS1_11target_archE906ELNS1_3gpuE6ELNS1_3repE0EEENS1_30default_config_static_selectorELNS0_4arch9wavefront6targetE0EEEvSY_: ; @_ZN7rocprim17ROCPRIM_400000_NS6detail17trampoline_kernelINS0_13select_configILj256ELj13ELNS0_17block_load_methodE3ELS4_3ELS4_3ELNS0_20block_scan_algorithmE0ELj4294967295EEENS1_25partition_config_selectorILNS1_17partition_subalgoE3EjNS0_10empty_typeEbEEZZNS1_14partition_implILS8_3ELb0ES6_jNS0_17counting_iteratorIjlEEPS9_SE_NS0_5tupleIJPjSE_EEENSF_IJSE_SE_EEES9_SG_JZNS1_25segmented_radix_sort_implINS0_14default_configELb0EPKiPiPKlPlN2at6native12_GLOBAL__N_18offset_tEEE10hipError_tPvRmT1_PNSt15iterator_traitsISY_E10value_typeET2_T3_PNSZ_IS14_E10value_typeET4_jRbjT5_S1A_jjP12ihipStream_tbEUljE_EEESV_SW_SX_S14_S18_S1A_T6_T7_T9_mT8_S1C_bDpT10_ENKUlT_T0_E_clISt17integral_constantIbLb1EES1P_EEDaS1K_S1L_EUlS1K_E_NS1_11comp_targetILNS1_3genE2ELNS1_11target_archE906ELNS1_3gpuE6ELNS1_3repE0EEENS1_30default_config_static_selectorELNS0_4arch9wavefront6targetE0EEEvSY_
; %bb.0:
	.section	.rodata,"a",@progbits
	.p2align	6, 0x0
	.amdhsa_kernel _ZN7rocprim17ROCPRIM_400000_NS6detail17trampoline_kernelINS0_13select_configILj256ELj13ELNS0_17block_load_methodE3ELS4_3ELS4_3ELNS0_20block_scan_algorithmE0ELj4294967295EEENS1_25partition_config_selectorILNS1_17partition_subalgoE3EjNS0_10empty_typeEbEEZZNS1_14partition_implILS8_3ELb0ES6_jNS0_17counting_iteratorIjlEEPS9_SE_NS0_5tupleIJPjSE_EEENSF_IJSE_SE_EEES9_SG_JZNS1_25segmented_radix_sort_implINS0_14default_configELb0EPKiPiPKlPlN2at6native12_GLOBAL__N_18offset_tEEE10hipError_tPvRmT1_PNSt15iterator_traitsISY_E10value_typeET2_T3_PNSZ_IS14_E10value_typeET4_jRbjT5_S1A_jjP12ihipStream_tbEUljE_EEESV_SW_SX_S14_S18_S1A_T6_T7_T9_mT8_S1C_bDpT10_ENKUlT_T0_E_clISt17integral_constantIbLb1EES1P_EEDaS1K_S1L_EUlS1K_E_NS1_11comp_targetILNS1_3genE2ELNS1_11target_archE906ELNS1_3gpuE6ELNS1_3repE0EEENS1_30default_config_static_selectorELNS0_4arch9wavefront6targetE0EEEvSY_
		.amdhsa_group_segment_fixed_size 0
		.amdhsa_private_segment_fixed_size 0
		.amdhsa_kernarg_size 152
		.amdhsa_user_sgpr_count 6
		.amdhsa_user_sgpr_private_segment_buffer 1
		.amdhsa_user_sgpr_dispatch_ptr 0
		.amdhsa_user_sgpr_queue_ptr 0
		.amdhsa_user_sgpr_kernarg_segment_ptr 1
		.amdhsa_user_sgpr_dispatch_id 0
		.amdhsa_user_sgpr_flat_scratch_init 0
		.amdhsa_user_sgpr_private_segment_size 0
		.amdhsa_wavefront_size32 1
		.amdhsa_uses_dynamic_stack 0
		.amdhsa_system_sgpr_private_segment_wavefront_offset 0
		.amdhsa_system_sgpr_workgroup_id_x 1
		.amdhsa_system_sgpr_workgroup_id_y 0
		.amdhsa_system_sgpr_workgroup_id_z 0
		.amdhsa_system_sgpr_workgroup_info 0
		.amdhsa_system_vgpr_workitem_id 0
		.amdhsa_next_free_vgpr 1
		.amdhsa_next_free_sgpr 1
		.amdhsa_reserve_vcc 0
		.amdhsa_reserve_flat_scratch 0
		.amdhsa_float_round_mode_32 0
		.amdhsa_float_round_mode_16_64 0
		.amdhsa_float_denorm_mode_32 3
		.amdhsa_float_denorm_mode_16_64 3
		.amdhsa_dx10_clamp 1
		.amdhsa_ieee_mode 1
		.amdhsa_fp16_overflow 0
		.amdhsa_workgroup_processor_mode 1
		.amdhsa_memory_ordered 1
		.amdhsa_forward_progress 1
		.amdhsa_shared_vgpr_count 0
		.amdhsa_exception_fp_ieee_invalid_op 0
		.amdhsa_exception_fp_denorm_src 0
		.amdhsa_exception_fp_ieee_div_zero 0
		.amdhsa_exception_fp_ieee_overflow 0
		.amdhsa_exception_fp_ieee_underflow 0
		.amdhsa_exception_fp_ieee_inexact 0
		.amdhsa_exception_int_div_zero 0
	.end_amdhsa_kernel
	.section	.text._ZN7rocprim17ROCPRIM_400000_NS6detail17trampoline_kernelINS0_13select_configILj256ELj13ELNS0_17block_load_methodE3ELS4_3ELS4_3ELNS0_20block_scan_algorithmE0ELj4294967295EEENS1_25partition_config_selectorILNS1_17partition_subalgoE3EjNS0_10empty_typeEbEEZZNS1_14partition_implILS8_3ELb0ES6_jNS0_17counting_iteratorIjlEEPS9_SE_NS0_5tupleIJPjSE_EEENSF_IJSE_SE_EEES9_SG_JZNS1_25segmented_radix_sort_implINS0_14default_configELb0EPKiPiPKlPlN2at6native12_GLOBAL__N_18offset_tEEE10hipError_tPvRmT1_PNSt15iterator_traitsISY_E10value_typeET2_T3_PNSZ_IS14_E10value_typeET4_jRbjT5_S1A_jjP12ihipStream_tbEUljE_EEESV_SW_SX_S14_S18_S1A_T6_T7_T9_mT8_S1C_bDpT10_ENKUlT_T0_E_clISt17integral_constantIbLb1EES1P_EEDaS1K_S1L_EUlS1K_E_NS1_11comp_targetILNS1_3genE2ELNS1_11target_archE906ELNS1_3gpuE6ELNS1_3repE0EEENS1_30default_config_static_selectorELNS0_4arch9wavefront6targetE0EEEvSY_,"axG",@progbits,_ZN7rocprim17ROCPRIM_400000_NS6detail17trampoline_kernelINS0_13select_configILj256ELj13ELNS0_17block_load_methodE3ELS4_3ELS4_3ELNS0_20block_scan_algorithmE0ELj4294967295EEENS1_25partition_config_selectorILNS1_17partition_subalgoE3EjNS0_10empty_typeEbEEZZNS1_14partition_implILS8_3ELb0ES6_jNS0_17counting_iteratorIjlEEPS9_SE_NS0_5tupleIJPjSE_EEENSF_IJSE_SE_EEES9_SG_JZNS1_25segmented_radix_sort_implINS0_14default_configELb0EPKiPiPKlPlN2at6native12_GLOBAL__N_18offset_tEEE10hipError_tPvRmT1_PNSt15iterator_traitsISY_E10value_typeET2_T3_PNSZ_IS14_E10value_typeET4_jRbjT5_S1A_jjP12ihipStream_tbEUljE_EEESV_SW_SX_S14_S18_S1A_T6_T7_T9_mT8_S1C_bDpT10_ENKUlT_T0_E_clISt17integral_constantIbLb1EES1P_EEDaS1K_S1L_EUlS1K_E_NS1_11comp_targetILNS1_3genE2ELNS1_11target_archE906ELNS1_3gpuE6ELNS1_3repE0EEENS1_30default_config_static_selectorELNS0_4arch9wavefront6targetE0EEEvSY_,comdat
.Lfunc_end575:
	.size	_ZN7rocprim17ROCPRIM_400000_NS6detail17trampoline_kernelINS0_13select_configILj256ELj13ELNS0_17block_load_methodE3ELS4_3ELS4_3ELNS0_20block_scan_algorithmE0ELj4294967295EEENS1_25partition_config_selectorILNS1_17partition_subalgoE3EjNS0_10empty_typeEbEEZZNS1_14partition_implILS8_3ELb0ES6_jNS0_17counting_iteratorIjlEEPS9_SE_NS0_5tupleIJPjSE_EEENSF_IJSE_SE_EEES9_SG_JZNS1_25segmented_radix_sort_implINS0_14default_configELb0EPKiPiPKlPlN2at6native12_GLOBAL__N_18offset_tEEE10hipError_tPvRmT1_PNSt15iterator_traitsISY_E10value_typeET2_T3_PNSZ_IS14_E10value_typeET4_jRbjT5_S1A_jjP12ihipStream_tbEUljE_EEESV_SW_SX_S14_S18_S1A_T6_T7_T9_mT8_S1C_bDpT10_ENKUlT_T0_E_clISt17integral_constantIbLb1EES1P_EEDaS1K_S1L_EUlS1K_E_NS1_11comp_targetILNS1_3genE2ELNS1_11target_archE906ELNS1_3gpuE6ELNS1_3repE0EEENS1_30default_config_static_selectorELNS0_4arch9wavefront6targetE0EEEvSY_, .Lfunc_end575-_ZN7rocprim17ROCPRIM_400000_NS6detail17trampoline_kernelINS0_13select_configILj256ELj13ELNS0_17block_load_methodE3ELS4_3ELS4_3ELNS0_20block_scan_algorithmE0ELj4294967295EEENS1_25partition_config_selectorILNS1_17partition_subalgoE3EjNS0_10empty_typeEbEEZZNS1_14partition_implILS8_3ELb0ES6_jNS0_17counting_iteratorIjlEEPS9_SE_NS0_5tupleIJPjSE_EEENSF_IJSE_SE_EEES9_SG_JZNS1_25segmented_radix_sort_implINS0_14default_configELb0EPKiPiPKlPlN2at6native12_GLOBAL__N_18offset_tEEE10hipError_tPvRmT1_PNSt15iterator_traitsISY_E10value_typeET2_T3_PNSZ_IS14_E10value_typeET4_jRbjT5_S1A_jjP12ihipStream_tbEUljE_EEESV_SW_SX_S14_S18_S1A_T6_T7_T9_mT8_S1C_bDpT10_ENKUlT_T0_E_clISt17integral_constantIbLb1EES1P_EEDaS1K_S1L_EUlS1K_E_NS1_11comp_targetILNS1_3genE2ELNS1_11target_archE906ELNS1_3gpuE6ELNS1_3repE0EEENS1_30default_config_static_selectorELNS0_4arch9wavefront6targetE0EEEvSY_
                                        ; -- End function
	.set _ZN7rocprim17ROCPRIM_400000_NS6detail17trampoline_kernelINS0_13select_configILj256ELj13ELNS0_17block_load_methodE3ELS4_3ELS4_3ELNS0_20block_scan_algorithmE0ELj4294967295EEENS1_25partition_config_selectorILNS1_17partition_subalgoE3EjNS0_10empty_typeEbEEZZNS1_14partition_implILS8_3ELb0ES6_jNS0_17counting_iteratorIjlEEPS9_SE_NS0_5tupleIJPjSE_EEENSF_IJSE_SE_EEES9_SG_JZNS1_25segmented_radix_sort_implINS0_14default_configELb0EPKiPiPKlPlN2at6native12_GLOBAL__N_18offset_tEEE10hipError_tPvRmT1_PNSt15iterator_traitsISY_E10value_typeET2_T3_PNSZ_IS14_E10value_typeET4_jRbjT5_S1A_jjP12ihipStream_tbEUljE_EEESV_SW_SX_S14_S18_S1A_T6_T7_T9_mT8_S1C_bDpT10_ENKUlT_T0_E_clISt17integral_constantIbLb1EES1P_EEDaS1K_S1L_EUlS1K_E_NS1_11comp_targetILNS1_3genE2ELNS1_11target_archE906ELNS1_3gpuE6ELNS1_3repE0EEENS1_30default_config_static_selectorELNS0_4arch9wavefront6targetE0EEEvSY_.num_vgpr, 0
	.set _ZN7rocprim17ROCPRIM_400000_NS6detail17trampoline_kernelINS0_13select_configILj256ELj13ELNS0_17block_load_methodE3ELS4_3ELS4_3ELNS0_20block_scan_algorithmE0ELj4294967295EEENS1_25partition_config_selectorILNS1_17partition_subalgoE3EjNS0_10empty_typeEbEEZZNS1_14partition_implILS8_3ELb0ES6_jNS0_17counting_iteratorIjlEEPS9_SE_NS0_5tupleIJPjSE_EEENSF_IJSE_SE_EEES9_SG_JZNS1_25segmented_radix_sort_implINS0_14default_configELb0EPKiPiPKlPlN2at6native12_GLOBAL__N_18offset_tEEE10hipError_tPvRmT1_PNSt15iterator_traitsISY_E10value_typeET2_T3_PNSZ_IS14_E10value_typeET4_jRbjT5_S1A_jjP12ihipStream_tbEUljE_EEESV_SW_SX_S14_S18_S1A_T6_T7_T9_mT8_S1C_bDpT10_ENKUlT_T0_E_clISt17integral_constantIbLb1EES1P_EEDaS1K_S1L_EUlS1K_E_NS1_11comp_targetILNS1_3genE2ELNS1_11target_archE906ELNS1_3gpuE6ELNS1_3repE0EEENS1_30default_config_static_selectorELNS0_4arch9wavefront6targetE0EEEvSY_.num_agpr, 0
	.set _ZN7rocprim17ROCPRIM_400000_NS6detail17trampoline_kernelINS0_13select_configILj256ELj13ELNS0_17block_load_methodE3ELS4_3ELS4_3ELNS0_20block_scan_algorithmE0ELj4294967295EEENS1_25partition_config_selectorILNS1_17partition_subalgoE3EjNS0_10empty_typeEbEEZZNS1_14partition_implILS8_3ELb0ES6_jNS0_17counting_iteratorIjlEEPS9_SE_NS0_5tupleIJPjSE_EEENSF_IJSE_SE_EEES9_SG_JZNS1_25segmented_radix_sort_implINS0_14default_configELb0EPKiPiPKlPlN2at6native12_GLOBAL__N_18offset_tEEE10hipError_tPvRmT1_PNSt15iterator_traitsISY_E10value_typeET2_T3_PNSZ_IS14_E10value_typeET4_jRbjT5_S1A_jjP12ihipStream_tbEUljE_EEESV_SW_SX_S14_S18_S1A_T6_T7_T9_mT8_S1C_bDpT10_ENKUlT_T0_E_clISt17integral_constantIbLb1EES1P_EEDaS1K_S1L_EUlS1K_E_NS1_11comp_targetILNS1_3genE2ELNS1_11target_archE906ELNS1_3gpuE6ELNS1_3repE0EEENS1_30default_config_static_selectorELNS0_4arch9wavefront6targetE0EEEvSY_.numbered_sgpr, 0
	.set _ZN7rocprim17ROCPRIM_400000_NS6detail17trampoline_kernelINS0_13select_configILj256ELj13ELNS0_17block_load_methodE3ELS4_3ELS4_3ELNS0_20block_scan_algorithmE0ELj4294967295EEENS1_25partition_config_selectorILNS1_17partition_subalgoE3EjNS0_10empty_typeEbEEZZNS1_14partition_implILS8_3ELb0ES6_jNS0_17counting_iteratorIjlEEPS9_SE_NS0_5tupleIJPjSE_EEENSF_IJSE_SE_EEES9_SG_JZNS1_25segmented_radix_sort_implINS0_14default_configELb0EPKiPiPKlPlN2at6native12_GLOBAL__N_18offset_tEEE10hipError_tPvRmT1_PNSt15iterator_traitsISY_E10value_typeET2_T3_PNSZ_IS14_E10value_typeET4_jRbjT5_S1A_jjP12ihipStream_tbEUljE_EEESV_SW_SX_S14_S18_S1A_T6_T7_T9_mT8_S1C_bDpT10_ENKUlT_T0_E_clISt17integral_constantIbLb1EES1P_EEDaS1K_S1L_EUlS1K_E_NS1_11comp_targetILNS1_3genE2ELNS1_11target_archE906ELNS1_3gpuE6ELNS1_3repE0EEENS1_30default_config_static_selectorELNS0_4arch9wavefront6targetE0EEEvSY_.num_named_barrier, 0
	.set _ZN7rocprim17ROCPRIM_400000_NS6detail17trampoline_kernelINS0_13select_configILj256ELj13ELNS0_17block_load_methodE3ELS4_3ELS4_3ELNS0_20block_scan_algorithmE0ELj4294967295EEENS1_25partition_config_selectorILNS1_17partition_subalgoE3EjNS0_10empty_typeEbEEZZNS1_14partition_implILS8_3ELb0ES6_jNS0_17counting_iteratorIjlEEPS9_SE_NS0_5tupleIJPjSE_EEENSF_IJSE_SE_EEES9_SG_JZNS1_25segmented_radix_sort_implINS0_14default_configELb0EPKiPiPKlPlN2at6native12_GLOBAL__N_18offset_tEEE10hipError_tPvRmT1_PNSt15iterator_traitsISY_E10value_typeET2_T3_PNSZ_IS14_E10value_typeET4_jRbjT5_S1A_jjP12ihipStream_tbEUljE_EEESV_SW_SX_S14_S18_S1A_T6_T7_T9_mT8_S1C_bDpT10_ENKUlT_T0_E_clISt17integral_constantIbLb1EES1P_EEDaS1K_S1L_EUlS1K_E_NS1_11comp_targetILNS1_3genE2ELNS1_11target_archE906ELNS1_3gpuE6ELNS1_3repE0EEENS1_30default_config_static_selectorELNS0_4arch9wavefront6targetE0EEEvSY_.private_seg_size, 0
	.set _ZN7rocprim17ROCPRIM_400000_NS6detail17trampoline_kernelINS0_13select_configILj256ELj13ELNS0_17block_load_methodE3ELS4_3ELS4_3ELNS0_20block_scan_algorithmE0ELj4294967295EEENS1_25partition_config_selectorILNS1_17partition_subalgoE3EjNS0_10empty_typeEbEEZZNS1_14partition_implILS8_3ELb0ES6_jNS0_17counting_iteratorIjlEEPS9_SE_NS0_5tupleIJPjSE_EEENSF_IJSE_SE_EEES9_SG_JZNS1_25segmented_radix_sort_implINS0_14default_configELb0EPKiPiPKlPlN2at6native12_GLOBAL__N_18offset_tEEE10hipError_tPvRmT1_PNSt15iterator_traitsISY_E10value_typeET2_T3_PNSZ_IS14_E10value_typeET4_jRbjT5_S1A_jjP12ihipStream_tbEUljE_EEESV_SW_SX_S14_S18_S1A_T6_T7_T9_mT8_S1C_bDpT10_ENKUlT_T0_E_clISt17integral_constantIbLb1EES1P_EEDaS1K_S1L_EUlS1K_E_NS1_11comp_targetILNS1_3genE2ELNS1_11target_archE906ELNS1_3gpuE6ELNS1_3repE0EEENS1_30default_config_static_selectorELNS0_4arch9wavefront6targetE0EEEvSY_.uses_vcc, 0
	.set _ZN7rocprim17ROCPRIM_400000_NS6detail17trampoline_kernelINS0_13select_configILj256ELj13ELNS0_17block_load_methodE3ELS4_3ELS4_3ELNS0_20block_scan_algorithmE0ELj4294967295EEENS1_25partition_config_selectorILNS1_17partition_subalgoE3EjNS0_10empty_typeEbEEZZNS1_14partition_implILS8_3ELb0ES6_jNS0_17counting_iteratorIjlEEPS9_SE_NS0_5tupleIJPjSE_EEENSF_IJSE_SE_EEES9_SG_JZNS1_25segmented_radix_sort_implINS0_14default_configELb0EPKiPiPKlPlN2at6native12_GLOBAL__N_18offset_tEEE10hipError_tPvRmT1_PNSt15iterator_traitsISY_E10value_typeET2_T3_PNSZ_IS14_E10value_typeET4_jRbjT5_S1A_jjP12ihipStream_tbEUljE_EEESV_SW_SX_S14_S18_S1A_T6_T7_T9_mT8_S1C_bDpT10_ENKUlT_T0_E_clISt17integral_constantIbLb1EES1P_EEDaS1K_S1L_EUlS1K_E_NS1_11comp_targetILNS1_3genE2ELNS1_11target_archE906ELNS1_3gpuE6ELNS1_3repE0EEENS1_30default_config_static_selectorELNS0_4arch9wavefront6targetE0EEEvSY_.uses_flat_scratch, 0
	.set _ZN7rocprim17ROCPRIM_400000_NS6detail17trampoline_kernelINS0_13select_configILj256ELj13ELNS0_17block_load_methodE3ELS4_3ELS4_3ELNS0_20block_scan_algorithmE0ELj4294967295EEENS1_25partition_config_selectorILNS1_17partition_subalgoE3EjNS0_10empty_typeEbEEZZNS1_14partition_implILS8_3ELb0ES6_jNS0_17counting_iteratorIjlEEPS9_SE_NS0_5tupleIJPjSE_EEENSF_IJSE_SE_EEES9_SG_JZNS1_25segmented_radix_sort_implINS0_14default_configELb0EPKiPiPKlPlN2at6native12_GLOBAL__N_18offset_tEEE10hipError_tPvRmT1_PNSt15iterator_traitsISY_E10value_typeET2_T3_PNSZ_IS14_E10value_typeET4_jRbjT5_S1A_jjP12ihipStream_tbEUljE_EEESV_SW_SX_S14_S18_S1A_T6_T7_T9_mT8_S1C_bDpT10_ENKUlT_T0_E_clISt17integral_constantIbLb1EES1P_EEDaS1K_S1L_EUlS1K_E_NS1_11comp_targetILNS1_3genE2ELNS1_11target_archE906ELNS1_3gpuE6ELNS1_3repE0EEENS1_30default_config_static_selectorELNS0_4arch9wavefront6targetE0EEEvSY_.has_dyn_sized_stack, 0
	.set _ZN7rocprim17ROCPRIM_400000_NS6detail17trampoline_kernelINS0_13select_configILj256ELj13ELNS0_17block_load_methodE3ELS4_3ELS4_3ELNS0_20block_scan_algorithmE0ELj4294967295EEENS1_25partition_config_selectorILNS1_17partition_subalgoE3EjNS0_10empty_typeEbEEZZNS1_14partition_implILS8_3ELb0ES6_jNS0_17counting_iteratorIjlEEPS9_SE_NS0_5tupleIJPjSE_EEENSF_IJSE_SE_EEES9_SG_JZNS1_25segmented_radix_sort_implINS0_14default_configELb0EPKiPiPKlPlN2at6native12_GLOBAL__N_18offset_tEEE10hipError_tPvRmT1_PNSt15iterator_traitsISY_E10value_typeET2_T3_PNSZ_IS14_E10value_typeET4_jRbjT5_S1A_jjP12ihipStream_tbEUljE_EEESV_SW_SX_S14_S18_S1A_T6_T7_T9_mT8_S1C_bDpT10_ENKUlT_T0_E_clISt17integral_constantIbLb1EES1P_EEDaS1K_S1L_EUlS1K_E_NS1_11comp_targetILNS1_3genE2ELNS1_11target_archE906ELNS1_3gpuE6ELNS1_3repE0EEENS1_30default_config_static_selectorELNS0_4arch9wavefront6targetE0EEEvSY_.has_recursion, 0
	.set _ZN7rocprim17ROCPRIM_400000_NS6detail17trampoline_kernelINS0_13select_configILj256ELj13ELNS0_17block_load_methodE3ELS4_3ELS4_3ELNS0_20block_scan_algorithmE0ELj4294967295EEENS1_25partition_config_selectorILNS1_17partition_subalgoE3EjNS0_10empty_typeEbEEZZNS1_14partition_implILS8_3ELb0ES6_jNS0_17counting_iteratorIjlEEPS9_SE_NS0_5tupleIJPjSE_EEENSF_IJSE_SE_EEES9_SG_JZNS1_25segmented_radix_sort_implINS0_14default_configELb0EPKiPiPKlPlN2at6native12_GLOBAL__N_18offset_tEEE10hipError_tPvRmT1_PNSt15iterator_traitsISY_E10value_typeET2_T3_PNSZ_IS14_E10value_typeET4_jRbjT5_S1A_jjP12ihipStream_tbEUljE_EEESV_SW_SX_S14_S18_S1A_T6_T7_T9_mT8_S1C_bDpT10_ENKUlT_T0_E_clISt17integral_constantIbLb1EES1P_EEDaS1K_S1L_EUlS1K_E_NS1_11comp_targetILNS1_3genE2ELNS1_11target_archE906ELNS1_3gpuE6ELNS1_3repE0EEENS1_30default_config_static_selectorELNS0_4arch9wavefront6targetE0EEEvSY_.has_indirect_call, 0
	.section	.AMDGPU.csdata,"",@progbits
; Kernel info:
; codeLenInByte = 0
; TotalNumSgprs: 0
; NumVgprs: 0
; ScratchSize: 0
; MemoryBound: 0
; FloatMode: 240
; IeeeMode: 1
; LDSByteSize: 0 bytes/workgroup (compile time only)
; SGPRBlocks: 0
; VGPRBlocks: 0
; NumSGPRsForWavesPerEU: 1
; NumVGPRsForWavesPerEU: 1
; Occupancy: 16
; WaveLimiterHint : 0
; COMPUTE_PGM_RSRC2:SCRATCH_EN: 0
; COMPUTE_PGM_RSRC2:USER_SGPR: 6
; COMPUTE_PGM_RSRC2:TRAP_HANDLER: 0
; COMPUTE_PGM_RSRC2:TGID_X_EN: 1
; COMPUTE_PGM_RSRC2:TGID_Y_EN: 0
; COMPUTE_PGM_RSRC2:TGID_Z_EN: 0
; COMPUTE_PGM_RSRC2:TIDIG_COMP_CNT: 0
	.section	.text._ZN7rocprim17ROCPRIM_400000_NS6detail17trampoline_kernelINS0_13select_configILj256ELj13ELNS0_17block_load_methodE3ELS4_3ELS4_3ELNS0_20block_scan_algorithmE0ELj4294967295EEENS1_25partition_config_selectorILNS1_17partition_subalgoE3EjNS0_10empty_typeEbEEZZNS1_14partition_implILS8_3ELb0ES6_jNS0_17counting_iteratorIjlEEPS9_SE_NS0_5tupleIJPjSE_EEENSF_IJSE_SE_EEES9_SG_JZNS1_25segmented_radix_sort_implINS0_14default_configELb0EPKiPiPKlPlN2at6native12_GLOBAL__N_18offset_tEEE10hipError_tPvRmT1_PNSt15iterator_traitsISY_E10value_typeET2_T3_PNSZ_IS14_E10value_typeET4_jRbjT5_S1A_jjP12ihipStream_tbEUljE_EEESV_SW_SX_S14_S18_S1A_T6_T7_T9_mT8_S1C_bDpT10_ENKUlT_T0_E_clISt17integral_constantIbLb1EES1P_EEDaS1K_S1L_EUlS1K_E_NS1_11comp_targetILNS1_3genE10ELNS1_11target_archE1200ELNS1_3gpuE4ELNS1_3repE0EEENS1_30default_config_static_selectorELNS0_4arch9wavefront6targetE0EEEvSY_,"axG",@progbits,_ZN7rocprim17ROCPRIM_400000_NS6detail17trampoline_kernelINS0_13select_configILj256ELj13ELNS0_17block_load_methodE3ELS4_3ELS4_3ELNS0_20block_scan_algorithmE0ELj4294967295EEENS1_25partition_config_selectorILNS1_17partition_subalgoE3EjNS0_10empty_typeEbEEZZNS1_14partition_implILS8_3ELb0ES6_jNS0_17counting_iteratorIjlEEPS9_SE_NS0_5tupleIJPjSE_EEENSF_IJSE_SE_EEES9_SG_JZNS1_25segmented_radix_sort_implINS0_14default_configELb0EPKiPiPKlPlN2at6native12_GLOBAL__N_18offset_tEEE10hipError_tPvRmT1_PNSt15iterator_traitsISY_E10value_typeET2_T3_PNSZ_IS14_E10value_typeET4_jRbjT5_S1A_jjP12ihipStream_tbEUljE_EEESV_SW_SX_S14_S18_S1A_T6_T7_T9_mT8_S1C_bDpT10_ENKUlT_T0_E_clISt17integral_constantIbLb1EES1P_EEDaS1K_S1L_EUlS1K_E_NS1_11comp_targetILNS1_3genE10ELNS1_11target_archE1200ELNS1_3gpuE4ELNS1_3repE0EEENS1_30default_config_static_selectorELNS0_4arch9wavefront6targetE0EEEvSY_,comdat
	.globl	_ZN7rocprim17ROCPRIM_400000_NS6detail17trampoline_kernelINS0_13select_configILj256ELj13ELNS0_17block_load_methodE3ELS4_3ELS4_3ELNS0_20block_scan_algorithmE0ELj4294967295EEENS1_25partition_config_selectorILNS1_17partition_subalgoE3EjNS0_10empty_typeEbEEZZNS1_14partition_implILS8_3ELb0ES6_jNS0_17counting_iteratorIjlEEPS9_SE_NS0_5tupleIJPjSE_EEENSF_IJSE_SE_EEES9_SG_JZNS1_25segmented_radix_sort_implINS0_14default_configELb0EPKiPiPKlPlN2at6native12_GLOBAL__N_18offset_tEEE10hipError_tPvRmT1_PNSt15iterator_traitsISY_E10value_typeET2_T3_PNSZ_IS14_E10value_typeET4_jRbjT5_S1A_jjP12ihipStream_tbEUljE_EEESV_SW_SX_S14_S18_S1A_T6_T7_T9_mT8_S1C_bDpT10_ENKUlT_T0_E_clISt17integral_constantIbLb1EES1P_EEDaS1K_S1L_EUlS1K_E_NS1_11comp_targetILNS1_3genE10ELNS1_11target_archE1200ELNS1_3gpuE4ELNS1_3repE0EEENS1_30default_config_static_selectorELNS0_4arch9wavefront6targetE0EEEvSY_ ; -- Begin function _ZN7rocprim17ROCPRIM_400000_NS6detail17trampoline_kernelINS0_13select_configILj256ELj13ELNS0_17block_load_methodE3ELS4_3ELS4_3ELNS0_20block_scan_algorithmE0ELj4294967295EEENS1_25partition_config_selectorILNS1_17partition_subalgoE3EjNS0_10empty_typeEbEEZZNS1_14partition_implILS8_3ELb0ES6_jNS0_17counting_iteratorIjlEEPS9_SE_NS0_5tupleIJPjSE_EEENSF_IJSE_SE_EEES9_SG_JZNS1_25segmented_radix_sort_implINS0_14default_configELb0EPKiPiPKlPlN2at6native12_GLOBAL__N_18offset_tEEE10hipError_tPvRmT1_PNSt15iterator_traitsISY_E10value_typeET2_T3_PNSZ_IS14_E10value_typeET4_jRbjT5_S1A_jjP12ihipStream_tbEUljE_EEESV_SW_SX_S14_S18_S1A_T6_T7_T9_mT8_S1C_bDpT10_ENKUlT_T0_E_clISt17integral_constantIbLb1EES1P_EEDaS1K_S1L_EUlS1K_E_NS1_11comp_targetILNS1_3genE10ELNS1_11target_archE1200ELNS1_3gpuE4ELNS1_3repE0EEENS1_30default_config_static_selectorELNS0_4arch9wavefront6targetE0EEEvSY_
	.p2align	8
	.type	_ZN7rocprim17ROCPRIM_400000_NS6detail17trampoline_kernelINS0_13select_configILj256ELj13ELNS0_17block_load_methodE3ELS4_3ELS4_3ELNS0_20block_scan_algorithmE0ELj4294967295EEENS1_25partition_config_selectorILNS1_17partition_subalgoE3EjNS0_10empty_typeEbEEZZNS1_14partition_implILS8_3ELb0ES6_jNS0_17counting_iteratorIjlEEPS9_SE_NS0_5tupleIJPjSE_EEENSF_IJSE_SE_EEES9_SG_JZNS1_25segmented_radix_sort_implINS0_14default_configELb0EPKiPiPKlPlN2at6native12_GLOBAL__N_18offset_tEEE10hipError_tPvRmT1_PNSt15iterator_traitsISY_E10value_typeET2_T3_PNSZ_IS14_E10value_typeET4_jRbjT5_S1A_jjP12ihipStream_tbEUljE_EEESV_SW_SX_S14_S18_S1A_T6_T7_T9_mT8_S1C_bDpT10_ENKUlT_T0_E_clISt17integral_constantIbLb1EES1P_EEDaS1K_S1L_EUlS1K_E_NS1_11comp_targetILNS1_3genE10ELNS1_11target_archE1200ELNS1_3gpuE4ELNS1_3repE0EEENS1_30default_config_static_selectorELNS0_4arch9wavefront6targetE0EEEvSY_,@function
_ZN7rocprim17ROCPRIM_400000_NS6detail17trampoline_kernelINS0_13select_configILj256ELj13ELNS0_17block_load_methodE3ELS4_3ELS4_3ELNS0_20block_scan_algorithmE0ELj4294967295EEENS1_25partition_config_selectorILNS1_17partition_subalgoE3EjNS0_10empty_typeEbEEZZNS1_14partition_implILS8_3ELb0ES6_jNS0_17counting_iteratorIjlEEPS9_SE_NS0_5tupleIJPjSE_EEENSF_IJSE_SE_EEES9_SG_JZNS1_25segmented_radix_sort_implINS0_14default_configELb0EPKiPiPKlPlN2at6native12_GLOBAL__N_18offset_tEEE10hipError_tPvRmT1_PNSt15iterator_traitsISY_E10value_typeET2_T3_PNSZ_IS14_E10value_typeET4_jRbjT5_S1A_jjP12ihipStream_tbEUljE_EEESV_SW_SX_S14_S18_S1A_T6_T7_T9_mT8_S1C_bDpT10_ENKUlT_T0_E_clISt17integral_constantIbLb1EES1P_EEDaS1K_S1L_EUlS1K_E_NS1_11comp_targetILNS1_3genE10ELNS1_11target_archE1200ELNS1_3gpuE4ELNS1_3repE0EEENS1_30default_config_static_selectorELNS0_4arch9wavefront6targetE0EEEvSY_: ; @_ZN7rocprim17ROCPRIM_400000_NS6detail17trampoline_kernelINS0_13select_configILj256ELj13ELNS0_17block_load_methodE3ELS4_3ELS4_3ELNS0_20block_scan_algorithmE0ELj4294967295EEENS1_25partition_config_selectorILNS1_17partition_subalgoE3EjNS0_10empty_typeEbEEZZNS1_14partition_implILS8_3ELb0ES6_jNS0_17counting_iteratorIjlEEPS9_SE_NS0_5tupleIJPjSE_EEENSF_IJSE_SE_EEES9_SG_JZNS1_25segmented_radix_sort_implINS0_14default_configELb0EPKiPiPKlPlN2at6native12_GLOBAL__N_18offset_tEEE10hipError_tPvRmT1_PNSt15iterator_traitsISY_E10value_typeET2_T3_PNSZ_IS14_E10value_typeET4_jRbjT5_S1A_jjP12ihipStream_tbEUljE_EEESV_SW_SX_S14_S18_S1A_T6_T7_T9_mT8_S1C_bDpT10_ENKUlT_T0_E_clISt17integral_constantIbLb1EES1P_EEDaS1K_S1L_EUlS1K_E_NS1_11comp_targetILNS1_3genE10ELNS1_11target_archE1200ELNS1_3gpuE4ELNS1_3repE0EEENS1_30default_config_static_selectorELNS0_4arch9wavefront6targetE0EEEvSY_
; %bb.0:
	.section	.rodata,"a",@progbits
	.p2align	6, 0x0
	.amdhsa_kernel _ZN7rocprim17ROCPRIM_400000_NS6detail17trampoline_kernelINS0_13select_configILj256ELj13ELNS0_17block_load_methodE3ELS4_3ELS4_3ELNS0_20block_scan_algorithmE0ELj4294967295EEENS1_25partition_config_selectorILNS1_17partition_subalgoE3EjNS0_10empty_typeEbEEZZNS1_14partition_implILS8_3ELb0ES6_jNS0_17counting_iteratorIjlEEPS9_SE_NS0_5tupleIJPjSE_EEENSF_IJSE_SE_EEES9_SG_JZNS1_25segmented_radix_sort_implINS0_14default_configELb0EPKiPiPKlPlN2at6native12_GLOBAL__N_18offset_tEEE10hipError_tPvRmT1_PNSt15iterator_traitsISY_E10value_typeET2_T3_PNSZ_IS14_E10value_typeET4_jRbjT5_S1A_jjP12ihipStream_tbEUljE_EEESV_SW_SX_S14_S18_S1A_T6_T7_T9_mT8_S1C_bDpT10_ENKUlT_T0_E_clISt17integral_constantIbLb1EES1P_EEDaS1K_S1L_EUlS1K_E_NS1_11comp_targetILNS1_3genE10ELNS1_11target_archE1200ELNS1_3gpuE4ELNS1_3repE0EEENS1_30default_config_static_selectorELNS0_4arch9wavefront6targetE0EEEvSY_
		.amdhsa_group_segment_fixed_size 0
		.amdhsa_private_segment_fixed_size 0
		.amdhsa_kernarg_size 152
		.amdhsa_user_sgpr_count 6
		.amdhsa_user_sgpr_private_segment_buffer 1
		.amdhsa_user_sgpr_dispatch_ptr 0
		.amdhsa_user_sgpr_queue_ptr 0
		.amdhsa_user_sgpr_kernarg_segment_ptr 1
		.amdhsa_user_sgpr_dispatch_id 0
		.amdhsa_user_sgpr_flat_scratch_init 0
		.amdhsa_user_sgpr_private_segment_size 0
		.amdhsa_wavefront_size32 1
		.amdhsa_uses_dynamic_stack 0
		.amdhsa_system_sgpr_private_segment_wavefront_offset 0
		.amdhsa_system_sgpr_workgroup_id_x 1
		.amdhsa_system_sgpr_workgroup_id_y 0
		.amdhsa_system_sgpr_workgroup_id_z 0
		.amdhsa_system_sgpr_workgroup_info 0
		.amdhsa_system_vgpr_workitem_id 0
		.amdhsa_next_free_vgpr 1
		.amdhsa_next_free_sgpr 1
		.amdhsa_reserve_vcc 0
		.amdhsa_reserve_flat_scratch 0
		.amdhsa_float_round_mode_32 0
		.amdhsa_float_round_mode_16_64 0
		.amdhsa_float_denorm_mode_32 3
		.amdhsa_float_denorm_mode_16_64 3
		.amdhsa_dx10_clamp 1
		.amdhsa_ieee_mode 1
		.amdhsa_fp16_overflow 0
		.amdhsa_workgroup_processor_mode 1
		.amdhsa_memory_ordered 1
		.amdhsa_forward_progress 1
		.amdhsa_shared_vgpr_count 0
		.amdhsa_exception_fp_ieee_invalid_op 0
		.amdhsa_exception_fp_denorm_src 0
		.amdhsa_exception_fp_ieee_div_zero 0
		.amdhsa_exception_fp_ieee_overflow 0
		.amdhsa_exception_fp_ieee_underflow 0
		.amdhsa_exception_fp_ieee_inexact 0
		.amdhsa_exception_int_div_zero 0
	.end_amdhsa_kernel
	.section	.text._ZN7rocprim17ROCPRIM_400000_NS6detail17trampoline_kernelINS0_13select_configILj256ELj13ELNS0_17block_load_methodE3ELS4_3ELS4_3ELNS0_20block_scan_algorithmE0ELj4294967295EEENS1_25partition_config_selectorILNS1_17partition_subalgoE3EjNS0_10empty_typeEbEEZZNS1_14partition_implILS8_3ELb0ES6_jNS0_17counting_iteratorIjlEEPS9_SE_NS0_5tupleIJPjSE_EEENSF_IJSE_SE_EEES9_SG_JZNS1_25segmented_radix_sort_implINS0_14default_configELb0EPKiPiPKlPlN2at6native12_GLOBAL__N_18offset_tEEE10hipError_tPvRmT1_PNSt15iterator_traitsISY_E10value_typeET2_T3_PNSZ_IS14_E10value_typeET4_jRbjT5_S1A_jjP12ihipStream_tbEUljE_EEESV_SW_SX_S14_S18_S1A_T6_T7_T9_mT8_S1C_bDpT10_ENKUlT_T0_E_clISt17integral_constantIbLb1EES1P_EEDaS1K_S1L_EUlS1K_E_NS1_11comp_targetILNS1_3genE10ELNS1_11target_archE1200ELNS1_3gpuE4ELNS1_3repE0EEENS1_30default_config_static_selectorELNS0_4arch9wavefront6targetE0EEEvSY_,"axG",@progbits,_ZN7rocprim17ROCPRIM_400000_NS6detail17trampoline_kernelINS0_13select_configILj256ELj13ELNS0_17block_load_methodE3ELS4_3ELS4_3ELNS0_20block_scan_algorithmE0ELj4294967295EEENS1_25partition_config_selectorILNS1_17partition_subalgoE3EjNS0_10empty_typeEbEEZZNS1_14partition_implILS8_3ELb0ES6_jNS0_17counting_iteratorIjlEEPS9_SE_NS0_5tupleIJPjSE_EEENSF_IJSE_SE_EEES9_SG_JZNS1_25segmented_radix_sort_implINS0_14default_configELb0EPKiPiPKlPlN2at6native12_GLOBAL__N_18offset_tEEE10hipError_tPvRmT1_PNSt15iterator_traitsISY_E10value_typeET2_T3_PNSZ_IS14_E10value_typeET4_jRbjT5_S1A_jjP12ihipStream_tbEUljE_EEESV_SW_SX_S14_S18_S1A_T6_T7_T9_mT8_S1C_bDpT10_ENKUlT_T0_E_clISt17integral_constantIbLb1EES1P_EEDaS1K_S1L_EUlS1K_E_NS1_11comp_targetILNS1_3genE10ELNS1_11target_archE1200ELNS1_3gpuE4ELNS1_3repE0EEENS1_30default_config_static_selectorELNS0_4arch9wavefront6targetE0EEEvSY_,comdat
.Lfunc_end576:
	.size	_ZN7rocprim17ROCPRIM_400000_NS6detail17trampoline_kernelINS0_13select_configILj256ELj13ELNS0_17block_load_methodE3ELS4_3ELS4_3ELNS0_20block_scan_algorithmE0ELj4294967295EEENS1_25partition_config_selectorILNS1_17partition_subalgoE3EjNS0_10empty_typeEbEEZZNS1_14partition_implILS8_3ELb0ES6_jNS0_17counting_iteratorIjlEEPS9_SE_NS0_5tupleIJPjSE_EEENSF_IJSE_SE_EEES9_SG_JZNS1_25segmented_radix_sort_implINS0_14default_configELb0EPKiPiPKlPlN2at6native12_GLOBAL__N_18offset_tEEE10hipError_tPvRmT1_PNSt15iterator_traitsISY_E10value_typeET2_T3_PNSZ_IS14_E10value_typeET4_jRbjT5_S1A_jjP12ihipStream_tbEUljE_EEESV_SW_SX_S14_S18_S1A_T6_T7_T9_mT8_S1C_bDpT10_ENKUlT_T0_E_clISt17integral_constantIbLb1EES1P_EEDaS1K_S1L_EUlS1K_E_NS1_11comp_targetILNS1_3genE10ELNS1_11target_archE1200ELNS1_3gpuE4ELNS1_3repE0EEENS1_30default_config_static_selectorELNS0_4arch9wavefront6targetE0EEEvSY_, .Lfunc_end576-_ZN7rocprim17ROCPRIM_400000_NS6detail17trampoline_kernelINS0_13select_configILj256ELj13ELNS0_17block_load_methodE3ELS4_3ELS4_3ELNS0_20block_scan_algorithmE0ELj4294967295EEENS1_25partition_config_selectorILNS1_17partition_subalgoE3EjNS0_10empty_typeEbEEZZNS1_14partition_implILS8_3ELb0ES6_jNS0_17counting_iteratorIjlEEPS9_SE_NS0_5tupleIJPjSE_EEENSF_IJSE_SE_EEES9_SG_JZNS1_25segmented_radix_sort_implINS0_14default_configELb0EPKiPiPKlPlN2at6native12_GLOBAL__N_18offset_tEEE10hipError_tPvRmT1_PNSt15iterator_traitsISY_E10value_typeET2_T3_PNSZ_IS14_E10value_typeET4_jRbjT5_S1A_jjP12ihipStream_tbEUljE_EEESV_SW_SX_S14_S18_S1A_T6_T7_T9_mT8_S1C_bDpT10_ENKUlT_T0_E_clISt17integral_constantIbLb1EES1P_EEDaS1K_S1L_EUlS1K_E_NS1_11comp_targetILNS1_3genE10ELNS1_11target_archE1200ELNS1_3gpuE4ELNS1_3repE0EEENS1_30default_config_static_selectorELNS0_4arch9wavefront6targetE0EEEvSY_
                                        ; -- End function
	.set _ZN7rocprim17ROCPRIM_400000_NS6detail17trampoline_kernelINS0_13select_configILj256ELj13ELNS0_17block_load_methodE3ELS4_3ELS4_3ELNS0_20block_scan_algorithmE0ELj4294967295EEENS1_25partition_config_selectorILNS1_17partition_subalgoE3EjNS0_10empty_typeEbEEZZNS1_14partition_implILS8_3ELb0ES6_jNS0_17counting_iteratorIjlEEPS9_SE_NS0_5tupleIJPjSE_EEENSF_IJSE_SE_EEES9_SG_JZNS1_25segmented_radix_sort_implINS0_14default_configELb0EPKiPiPKlPlN2at6native12_GLOBAL__N_18offset_tEEE10hipError_tPvRmT1_PNSt15iterator_traitsISY_E10value_typeET2_T3_PNSZ_IS14_E10value_typeET4_jRbjT5_S1A_jjP12ihipStream_tbEUljE_EEESV_SW_SX_S14_S18_S1A_T6_T7_T9_mT8_S1C_bDpT10_ENKUlT_T0_E_clISt17integral_constantIbLb1EES1P_EEDaS1K_S1L_EUlS1K_E_NS1_11comp_targetILNS1_3genE10ELNS1_11target_archE1200ELNS1_3gpuE4ELNS1_3repE0EEENS1_30default_config_static_selectorELNS0_4arch9wavefront6targetE0EEEvSY_.num_vgpr, 0
	.set _ZN7rocprim17ROCPRIM_400000_NS6detail17trampoline_kernelINS0_13select_configILj256ELj13ELNS0_17block_load_methodE3ELS4_3ELS4_3ELNS0_20block_scan_algorithmE0ELj4294967295EEENS1_25partition_config_selectorILNS1_17partition_subalgoE3EjNS0_10empty_typeEbEEZZNS1_14partition_implILS8_3ELb0ES6_jNS0_17counting_iteratorIjlEEPS9_SE_NS0_5tupleIJPjSE_EEENSF_IJSE_SE_EEES9_SG_JZNS1_25segmented_radix_sort_implINS0_14default_configELb0EPKiPiPKlPlN2at6native12_GLOBAL__N_18offset_tEEE10hipError_tPvRmT1_PNSt15iterator_traitsISY_E10value_typeET2_T3_PNSZ_IS14_E10value_typeET4_jRbjT5_S1A_jjP12ihipStream_tbEUljE_EEESV_SW_SX_S14_S18_S1A_T6_T7_T9_mT8_S1C_bDpT10_ENKUlT_T0_E_clISt17integral_constantIbLb1EES1P_EEDaS1K_S1L_EUlS1K_E_NS1_11comp_targetILNS1_3genE10ELNS1_11target_archE1200ELNS1_3gpuE4ELNS1_3repE0EEENS1_30default_config_static_selectorELNS0_4arch9wavefront6targetE0EEEvSY_.num_agpr, 0
	.set _ZN7rocprim17ROCPRIM_400000_NS6detail17trampoline_kernelINS0_13select_configILj256ELj13ELNS0_17block_load_methodE3ELS4_3ELS4_3ELNS0_20block_scan_algorithmE0ELj4294967295EEENS1_25partition_config_selectorILNS1_17partition_subalgoE3EjNS0_10empty_typeEbEEZZNS1_14partition_implILS8_3ELb0ES6_jNS0_17counting_iteratorIjlEEPS9_SE_NS0_5tupleIJPjSE_EEENSF_IJSE_SE_EEES9_SG_JZNS1_25segmented_radix_sort_implINS0_14default_configELb0EPKiPiPKlPlN2at6native12_GLOBAL__N_18offset_tEEE10hipError_tPvRmT1_PNSt15iterator_traitsISY_E10value_typeET2_T3_PNSZ_IS14_E10value_typeET4_jRbjT5_S1A_jjP12ihipStream_tbEUljE_EEESV_SW_SX_S14_S18_S1A_T6_T7_T9_mT8_S1C_bDpT10_ENKUlT_T0_E_clISt17integral_constantIbLb1EES1P_EEDaS1K_S1L_EUlS1K_E_NS1_11comp_targetILNS1_3genE10ELNS1_11target_archE1200ELNS1_3gpuE4ELNS1_3repE0EEENS1_30default_config_static_selectorELNS0_4arch9wavefront6targetE0EEEvSY_.numbered_sgpr, 0
	.set _ZN7rocprim17ROCPRIM_400000_NS6detail17trampoline_kernelINS0_13select_configILj256ELj13ELNS0_17block_load_methodE3ELS4_3ELS4_3ELNS0_20block_scan_algorithmE0ELj4294967295EEENS1_25partition_config_selectorILNS1_17partition_subalgoE3EjNS0_10empty_typeEbEEZZNS1_14partition_implILS8_3ELb0ES6_jNS0_17counting_iteratorIjlEEPS9_SE_NS0_5tupleIJPjSE_EEENSF_IJSE_SE_EEES9_SG_JZNS1_25segmented_radix_sort_implINS0_14default_configELb0EPKiPiPKlPlN2at6native12_GLOBAL__N_18offset_tEEE10hipError_tPvRmT1_PNSt15iterator_traitsISY_E10value_typeET2_T3_PNSZ_IS14_E10value_typeET4_jRbjT5_S1A_jjP12ihipStream_tbEUljE_EEESV_SW_SX_S14_S18_S1A_T6_T7_T9_mT8_S1C_bDpT10_ENKUlT_T0_E_clISt17integral_constantIbLb1EES1P_EEDaS1K_S1L_EUlS1K_E_NS1_11comp_targetILNS1_3genE10ELNS1_11target_archE1200ELNS1_3gpuE4ELNS1_3repE0EEENS1_30default_config_static_selectorELNS0_4arch9wavefront6targetE0EEEvSY_.num_named_barrier, 0
	.set _ZN7rocprim17ROCPRIM_400000_NS6detail17trampoline_kernelINS0_13select_configILj256ELj13ELNS0_17block_load_methodE3ELS4_3ELS4_3ELNS0_20block_scan_algorithmE0ELj4294967295EEENS1_25partition_config_selectorILNS1_17partition_subalgoE3EjNS0_10empty_typeEbEEZZNS1_14partition_implILS8_3ELb0ES6_jNS0_17counting_iteratorIjlEEPS9_SE_NS0_5tupleIJPjSE_EEENSF_IJSE_SE_EEES9_SG_JZNS1_25segmented_radix_sort_implINS0_14default_configELb0EPKiPiPKlPlN2at6native12_GLOBAL__N_18offset_tEEE10hipError_tPvRmT1_PNSt15iterator_traitsISY_E10value_typeET2_T3_PNSZ_IS14_E10value_typeET4_jRbjT5_S1A_jjP12ihipStream_tbEUljE_EEESV_SW_SX_S14_S18_S1A_T6_T7_T9_mT8_S1C_bDpT10_ENKUlT_T0_E_clISt17integral_constantIbLb1EES1P_EEDaS1K_S1L_EUlS1K_E_NS1_11comp_targetILNS1_3genE10ELNS1_11target_archE1200ELNS1_3gpuE4ELNS1_3repE0EEENS1_30default_config_static_selectorELNS0_4arch9wavefront6targetE0EEEvSY_.private_seg_size, 0
	.set _ZN7rocprim17ROCPRIM_400000_NS6detail17trampoline_kernelINS0_13select_configILj256ELj13ELNS0_17block_load_methodE3ELS4_3ELS4_3ELNS0_20block_scan_algorithmE0ELj4294967295EEENS1_25partition_config_selectorILNS1_17partition_subalgoE3EjNS0_10empty_typeEbEEZZNS1_14partition_implILS8_3ELb0ES6_jNS0_17counting_iteratorIjlEEPS9_SE_NS0_5tupleIJPjSE_EEENSF_IJSE_SE_EEES9_SG_JZNS1_25segmented_radix_sort_implINS0_14default_configELb0EPKiPiPKlPlN2at6native12_GLOBAL__N_18offset_tEEE10hipError_tPvRmT1_PNSt15iterator_traitsISY_E10value_typeET2_T3_PNSZ_IS14_E10value_typeET4_jRbjT5_S1A_jjP12ihipStream_tbEUljE_EEESV_SW_SX_S14_S18_S1A_T6_T7_T9_mT8_S1C_bDpT10_ENKUlT_T0_E_clISt17integral_constantIbLb1EES1P_EEDaS1K_S1L_EUlS1K_E_NS1_11comp_targetILNS1_3genE10ELNS1_11target_archE1200ELNS1_3gpuE4ELNS1_3repE0EEENS1_30default_config_static_selectorELNS0_4arch9wavefront6targetE0EEEvSY_.uses_vcc, 0
	.set _ZN7rocprim17ROCPRIM_400000_NS6detail17trampoline_kernelINS0_13select_configILj256ELj13ELNS0_17block_load_methodE3ELS4_3ELS4_3ELNS0_20block_scan_algorithmE0ELj4294967295EEENS1_25partition_config_selectorILNS1_17partition_subalgoE3EjNS0_10empty_typeEbEEZZNS1_14partition_implILS8_3ELb0ES6_jNS0_17counting_iteratorIjlEEPS9_SE_NS0_5tupleIJPjSE_EEENSF_IJSE_SE_EEES9_SG_JZNS1_25segmented_radix_sort_implINS0_14default_configELb0EPKiPiPKlPlN2at6native12_GLOBAL__N_18offset_tEEE10hipError_tPvRmT1_PNSt15iterator_traitsISY_E10value_typeET2_T3_PNSZ_IS14_E10value_typeET4_jRbjT5_S1A_jjP12ihipStream_tbEUljE_EEESV_SW_SX_S14_S18_S1A_T6_T7_T9_mT8_S1C_bDpT10_ENKUlT_T0_E_clISt17integral_constantIbLb1EES1P_EEDaS1K_S1L_EUlS1K_E_NS1_11comp_targetILNS1_3genE10ELNS1_11target_archE1200ELNS1_3gpuE4ELNS1_3repE0EEENS1_30default_config_static_selectorELNS0_4arch9wavefront6targetE0EEEvSY_.uses_flat_scratch, 0
	.set _ZN7rocprim17ROCPRIM_400000_NS6detail17trampoline_kernelINS0_13select_configILj256ELj13ELNS0_17block_load_methodE3ELS4_3ELS4_3ELNS0_20block_scan_algorithmE0ELj4294967295EEENS1_25partition_config_selectorILNS1_17partition_subalgoE3EjNS0_10empty_typeEbEEZZNS1_14partition_implILS8_3ELb0ES6_jNS0_17counting_iteratorIjlEEPS9_SE_NS0_5tupleIJPjSE_EEENSF_IJSE_SE_EEES9_SG_JZNS1_25segmented_radix_sort_implINS0_14default_configELb0EPKiPiPKlPlN2at6native12_GLOBAL__N_18offset_tEEE10hipError_tPvRmT1_PNSt15iterator_traitsISY_E10value_typeET2_T3_PNSZ_IS14_E10value_typeET4_jRbjT5_S1A_jjP12ihipStream_tbEUljE_EEESV_SW_SX_S14_S18_S1A_T6_T7_T9_mT8_S1C_bDpT10_ENKUlT_T0_E_clISt17integral_constantIbLb1EES1P_EEDaS1K_S1L_EUlS1K_E_NS1_11comp_targetILNS1_3genE10ELNS1_11target_archE1200ELNS1_3gpuE4ELNS1_3repE0EEENS1_30default_config_static_selectorELNS0_4arch9wavefront6targetE0EEEvSY_.has_dyn_sized_stack, 0
	.set _ZN7rocprim17ROCPRIM_400000_NS6detail17trampoline_kernelINS0_13select_configILj256ELj13ELNS0_17block_load_methodE3ELS4_3ELS4_3ELNS0_20block_scan_algorithmE0ELj4294967295EEENS1_25partition_config_selectorILNS1_17partition_subalgoE3EjNS0_10empty_typeEbEEZZNS1_14partition_implILS8_3ELb0ES6_jNS0_17counting_iteratorIjlEEPS9_SE_NS0_5tupleIJPjSE_EEENSF_IJSE_SE_EEES9_SG_JZNS1_25segmented_radix_sort_implINS0_14default_configELb0EPKiPiPKlPlN2at6native12_GLOBAL__N_18offset_tEEE10hipError_tPvRmT1_PNSt15iterator_traitsISY_E10value_typeET2_T3_PNSZ_IS14_E10value_typeET4_jRbjT5_S1A_jjP12ihipStream_tbEUljE_EEESV_SW_SX_S14_S18_S1A_T6_T7_T9_mT8_S1C_bDpT10_ENKUlT_T0_E_clISt17integral_constantIbLb1EES1P_EEDaS1K_S1L_EUlS1K_E_NS1_11comp_targetILNS1_3genE10ELNS1_11target_archE1200ELNS1_3gpuE4ELNS1_3repE0EEENS1_30default_config_static_selectorELNS0_4arch9wavefront6targetE0EEEvSY_.has_recursion, 0
	.set _ZN7rocprim17ROCPRIM_400000_NS6detail17trampoline_kernelINS0_13select_configILj256ELj13ELNS0_17block_load_methodE3ELS4_3ELS4_3ELNS0_20block_scan_algorithmE0ELj4294967295EEENS1_25partition_config_selectorILNS1_17partition_subalgoE3EjNS0_10empty_typeEbEEZZNS1_14partition_implILS8_3ELb0ES6_jNS0_17counting_iteratorIjlEEPS9_SE_NS0_5tupleIJPjSE_EEENSF_IJSE_SE_EEES9_SG_JZNS1_25segmented_radix_sort_implINS0_14default_configELb0EPKiPiPKlPlN2at6native12_GLOBAL__N_18offset_tEEE10hipError_tPvRmT1_PNSt15iterator_traitsISY_E10value_typeET2_T3_PNSZ_IS14_E10value_typeET4_jRbjT5_S1A_jjP12ihipStream_tbEUljE_EEESV_SW_SX_S14_S18_S1A_T6_T7_T9_mT8_S1C_bDpT10_ENKUlT_T0_E_clISt17integral_constantIbLb1EES1P_EEDaS1K_S1L_EUlS1K_E_NS1_11comp_targetILNS1_3genE10ELNS1_11target_archE1200ELNS1_3gpuE4ELNS1_3repE0EEENS1_30default_config_static_selectorELNS0_4arch9wavefront6targetE0EEEvSY_.has_indirect_call, 0
	.section	.AMDGPU.csdata,"",@progbits
; Kernel info:
; codeLenInByte = 0
; TotalNumSgprs: 0
; NumVgprs: 0
; ScratchSize: 0
; MemoryBound: 0
; FloatMode: 240
; IeeeMode: 1
; LDSByteSize: 0 bytes/workgroup (compile time only)
; SGPRBlocks: 0
; VGPRBlocks: 0
; NumSGPRsForWavesPerEU: 1
; NumVGPRsForWavesPerEU: 1
; Occupancy: 16
; WaveLimiterHint : 0
; COMPUTE_PGM_RSRC2:SCRATCH_EN: 0
; COMPUTE_PGM_RSRC2:USER_SGPR: 6
; COMPUTE_PGM_RSRC2:TRAP_HANDLER: 0
; COMPUTE_PGM_RSRC2:TGID_X_EN: 1
; COMPUTE_PGM_RSRC2:TGID_Y_EN: 0
; COMPUTE_PGM_RSRC2:TGID_Z_EN: 0
; COMPUTE_PGM_RSRC2:TIDIG_COMP_CNT: 0
	.section	.text._ZN7rocprim17ROCPRIM_400000_NS6detail17trampoline_kernelINS0_13select_configILj256ELj13ELNS0_17block_load_methodE3ELS4_3ELS4_3ELNS0_20block_scan_algorithmE0ELj4294967295EEENS1_25partition_config_selectorILNS1_17partition_subalgoE3EjNS0_10empty_typeEbEEZZNS1_14partition_implILS8_3ELb0ES6_jNS0_17counting_iteratorIjlEEPS9_SE_NS0_5tupleIJPjSE_EEENSF_IJSE_SE_EEES9_SG_JZNS1_25segmented_radix_sort_implINS0_14default_configELb0EPKiPiPKlPlN2at6native12_GLOBAL__N_18offset_tEEE10hipError_tPvRmT1_PNSt15iterator_traitsISY_E10value_typeET2_T3_PNSZ_IS14_E10value_typeET4_jRbjT5_S1A_jjP12ihipStream_tbEUljE_EEESV_SW_SX_S14_S18_S1A_T6_T7_T9_mT8_S1C_bDpT10_ENKUlT_T0_E_clISt17integral_constantIbLb1EES1P_EEDaS1K_S1L_EUlS1K_E_NS1_11comp_targetILNS1_3genE9ELNS1_11target_archE1100ELNS1_3gpuE3ELNS1_3repE0EEENS1_30default_config_static_selectorELNS0_4arch9wavefront6targetE0EEEvSY_,"axG",@progbits,_ZN7rocprim17ROCPRIM_400000_NS6detail17trampoline_kernelINS0_13select_configILj256ELj13ELNS0_17block_load_methodE3ELS4_3ELS4_3ELNS0_20block_scan_algorithmE0ELj4294967295EEENS1_25partition_config_selectorILNS1_17partition_subalgoE3EjNS0_10empty_typeEbEEZZNS1_14partition_implILS8_3ELb0ES6_jNS0_17counting_iteratorIjlEEPS9_SE_NS0_5tupleIJPjSE_EEENSF_IJSE_SE_EEES9_SG_JZNS1_25segmented_radix_sort_implINS0_14default_configELb0EPKiPiPKlPlN2at6native12_GLOBAL__N_18offset_tEEE10hipError_tPvRmT1_PNSt15iterator_traitsISY_E10value_typeET2_T3_PNSZ_IS14_E10value_typeET4_jRbjT5_S1A_jjP12ihipStream_tbEUljE_EEESV_SW_SX_S14_S18_S1A_T6_T7_T9_mT8_S1C_bDpT10_ENKUlT_T0_E_clISt17integral_constantIbLb1EES1P_EEDaS1K_S1L_EUlS1K_E_NS1_11comp_targetILNS1_3genE9ELNS1_11target_archE1100ELNS1_3gpuE3ELNS1_3repE0EEENS1_30default_config_static_selectorELNS0_4arch9wavefront6targetE0EEEvSY_,comdat
	.globl	_ZN7rocprim17ROCPRIM_400000_NS6detail17trampoline_kernelINS0_13select_configILj256ELj13ELNS0_17block_load_methodE3ELS4_3ELS4_3ELNS0_20block_scan_algorithmE0ELj4294967295EEENS1_25partition_config_selectorILNS1_17partition_subalgoE3EjNS0_10empty_typeEbEEZZNS1_14partition_implILS8_3ELb0ES6_jNS0_17counting_iteratorIjlEEPS9_SE_NS0_5tupleIJPjSE_EEENSF_IJSE_SE_EEES9_SG_JZNS1_25segmented_radix_sort_implINS0_14default_configELb0EPKiPiPKlPlN2at6native12_GLOBAL__N_18offset_tEEE10hipError_tPvRmT1_PNSt15iterator_traitsISY_E10value_typeET2_T3_PNSZ_IS14_E10value_typeET4_jRbjT5_S1A_jjP12ihipStream_tbEUljE_EEESV_SW_SX_S14_S18_S1A_T6_T7_T9_mT8_S1C_bDpT10_ENKUlT_T0_E_clISt17integral_constantIbLb1EES1P_EEDaS1K_S1L_EUlS1K_E_NS1_11comp_targetILNS1_3genE9ELNS1_11target_archE1100ELNS1_3gpuE3ELNS1_3repE0EEENS1_30default_config_static_selectorELNS0_4arch9wavefront6targetE0EEEvSY_ ; -- Begin function _ZN7rocprim17ROCPRIM_400000_NS6detail17trampoline_kernelINS0_13select_configILj256ELj13ELNS0_17block_load_methodE3ELS4_3ELS4_3ELNS0_20block_scan_algorithmE0ELj4294967295EEENS1_25partition_config_selectorILNS1_17partition_subalgoE3EjNS0_10empty_typeEbEEZZNS1_14partition_implILS8_3ELb0ES6_jNS0_17counting_iteratorIjlEEPS9_SE_NS0_5tupleIJPjSE_EEENSF_IJSE_SE_EEES9_SG_JZNS1_25segmented_radix_sort_implINS0_14default_configELb0EPKiPiPKlPlN2at6native12_GLOBAL__N_18offset_tEEE10hipError_tPvRmT1_PNSt15iterator_traitsISY_E10value_typeET2_T3_PNSZ_IS14_E10value_typeET4_jRbjT5_S1A_jjP12ihipStream_tbEUljE_EEESV_SW_SX_S14_S18_S1A_T6_T7_T9_mT8_S1C_bDpT10_ENKUlT_T0_E_clISt17integral_constantIbLb1EES1P_EEDaS1K_S1L_EUlS1K_E_NS1_11comp_targetILNS1_3genE9ELNS1_11target_archE1100ELNS1_3gpuE3ELNS1_3repE0EEENS1_30default_config_static_selectorELNS0_4arch9wavefront6targetE0EEEvSY_
	.p2align	8
	.type	_ZN7rocprim17ROCPRIM_400000_NS6detail17trampoline_kernelINS0_13select_configILj256ELj13ELNS0_17block_load_methodE3ELS4_3ELS4_3ELNS0_20block_scan_algorithmE0ELj4294967295EEENS1_25partition_config_selectorILNS1_17partition_subalgoE3EjNS0_10empty_typeEbEEZZNS1_14partition_implILS8_3ELb0ES6_jNS0_17counting_iteratorIjlEEPS9_SE_NS0_5tupleIJPjSE_EEENSF_IJSE_SE_EEES9_SG_JZNS1_25segmented_radix_sort_implINS0_14default_configELb0EPKiPiPKlPlN2at6native12_GLOBAL__N_18offset_tEEE10hipError_tPvRmT1_PNSt15iterator_traitsISY_E10value_typeET2_T3_PNSZ_IS14_E10value_typeET4_jRbjT5_S1A_jjP12ihipStream_tbEUljE_EEESV_SW_SX_S14_S18_S1A_T6_T7_T9_mT8_S1C_bDpT10_ENKUlT_T0_E_clISt17integral_constantIbLb1EES1P_EEDaS1K_S1L_EUlS1K_E_NS1_11comp_targetILNS1_3genE9ELNS1_11target_archE1100ELNS1_3gpuE3ELNS1_3repE0EEENS1_30default_config_static_selectorELNS0_4arch9wavefront6targetE0EEEvSY_,@function
_ZN7rocprim17ROCPRIM_400000_NS6detail17trampoline_kernelINS0_13select_configILj256ELj13ELNS0_17block_load_methodE3ELS4_3ELS4_3ELNS0_20block_scan_algorithmE0ELj4294967295EEENS1_25partition_config_selectorILNS1_17partition_subalgoE3EjNS0_10empty_typeEbEEZZNS1_14partition_implILS8_3ELb0ES6_jNS0_17counting_iteratorIjlEEPS9_SE_NS0_5tupleIJPjSE_EEENSF_IJSE_SE_EEES9_SG_JZNS1_25segmented_radix_sort_implINS0_14default_configELb0EPKiPiPKlPlN2at6native12_GLOBAL__N_18offset_tEEE10hipError_tPvRmT1_PNSt15iterator_traitsISY_E10value_typeET2_T3_PNSZ_IS14_E10value_typeET4_jRbjT5_S1A_jjP12ihipStream_tbEUljE_EEESV_SW_SX_S14_S18_S1A_T6_T7_T9_mT8_S1C_bDpT10_ENKUlT_T0_E_clISt17integral_constantIbLb1EES1P_EEDaS1K_S1L_EUlS1K_E_NS1_11comp_targetILNS1_3genE9ELNS1_11target_archE1100ELNS1_3gpuE3ELNS1_3repE0EEENS1_30default_config_static_selectorELNS0_4arch9wavefront6targetE0EEEvSY_: ; @_ZN7rocprim17ROCPRIM_400000_NS6detail17trampoline_kernelINS0_13select_configILj256ELj13ELNS0_17block_load_methodE3ELS4_3ELS4_3ELNS0_20block_scan_algorithmE0ELj4294967295EEENS1_25partition_config_selectorILNS1_17partition_subalgoE3EjNS0_10empty_typeEbEEZZNS1_14partition_implILS8_3ELb0ES6_jNS0_17counting_iteratorIjlEEPS9_SE_NS0_5tupleIJPjSE_EEENSF_IJSE_SE_EEES9_SG_JZNS1_25segmented_radix_sort_implINS0_14default_configELb0EPKiPiPKlPlN2at6native12_GLOBAL__N_18offset_tEEE10hipError_tPvRmT1_PNSt15iterator_traitsISY_E10value_typeET2_T3_PNSZ_IS14_E10value_typeET4_jRbjT5_S1A_jjP12ihipStream_tbEUljE_EEESV_SW_SX_S14_S18_S1A_T6_T7_T9_mT8_S1C_bDpT10_ENKUlT_T0_E_clISt17integral_constantIbLb1EES1P_EEDaS1K_S1L_EUlS1K_E_NS1_11comp_targetILNS1_3genE9ELNS1_11target_archE1100ELNS1_3gpuE3ELNS1_3repE0EEENS1_30default_config_static_selectorELNS0_4arch9wavefront6targetE0EEEvSY_
; %bb.0:
	.section	.rodata,"a",@progbits
	.p2align	6, 0x0
	.amdhsa_kernel _ZN7rocprim17ROCPRIM_400000_NS6detail17trampoline_kernelINS0_13select_configILj256ELj13ELNS0_17block_load_methodE3ELS4_3ELS4_3ELNS0_20block_scan_algorithmE0ELj4294967295EEENS1_25partition_config_selectorILNS1_17partition_subalgoE3EjNS0_10empty_typeEbEEZZNS1_14partition_implILS8_3ELb0ES6_jNS0_17counting_iteratorIjlEEPS9_SE_NS0_5tupleIJPjSE_EEENSF_IJSE_SE_EEES9_SG_JZNS1_25segmented_radix_sort_implINS0_14default_configELb0EPKiPiPKlPlN2at6native12_GLOBAL__N_18offset_tEEE10hipError_tPvRmT1_PNSt15iterator_traitsISY_E10value_typeET2_T3_PNSZ_IS14_E10value_typeET4_jRbjT5_S1A_jjP12ihipStream_tbEUljE_EEESV_SW_SX_S14_S18_S1A_T6_T7_T9_mT8_S1C_bDpT10_ENKUlT_T0_E_clISt17integral_constantIbLb1EES1P_EEDaS1K_S1L_EUlS1K_E_NS1_11comp_targetILNS1_3genE9ELNS1_11target_archE1100ELNS1_3gpuE3ELNS1_3repE0EEENS1_30default_config_static_selectorELNS0_4arch9wavefront6targetE0EEEvSY_
		.amdhsa_group_segment_fixed_size 0
		.amdhsa_private_segment_fixed_size 0
		.amdhsa_kernarg_size 152
		.amdhsa_user_sgpr_count 6
		.amdhsa_user_sgpr_private_segment_buffer 1
		.amdhsa_user_sgpr_dispatch_ptr 0
		.amdhsa_user_sgpr_queue_ptr 0
		.amdhsa_user_sgpr_kernarg_segment_ptr 1
		.amdhsa_user_sgpr_dispatch_id 0
		.amdhsa_user_sgpr_flat_scratch_init 0
		.amdhsa_user_sgpr_private_segment_size 0
		.amdhsa_wavefront_size32 1
		.amdhsa_uses_dynamic_stack 0
		.amdhsa_system_sgpr_private_segment_wavefront_offset 0
		.amdhsa_system_sgpr_workgroup_id_x 1
		.amdhsa_system_sgpr_workgroup_id_y 0
		.amdhsa_system_sgpr_workgroup_id_z 0
		.amdhsa_system_sgpr_workgroup_info 0
		.amdhsa_system_vgpr_workitem_id 0
		.amdhsa_next_free_vgpr 1
		.amdhsa_next_free_sgpr 1
		.amdhsa_reserve_vcc 0
		.amdhsa_reserve_flat_scratch 0
		.amdhsa_float_round_mode_32 0
		.amdhsa_float_round_mode_16_64 0
		.amdhsa_float_denorm_mode_32 3
		.amdhsa_float_denorm_mode_16_64 3
		.amdhsa_dx10_clamp 1
		.amdhsa_ieee_mode 1
		.amdhsa_fp16_overflow 0
		.amdhsa_workgroup_processor_mode 1
		.amdhsa_memory_ordered 1
		.amdhsa_forward_progress 1
		.amdhsa_shared_vgpr_count 0
		.amdhsa_exception_fp_ieee_invalid_op 0
		.amdhsa_exception_fp_denorm_src 0
		.amdhsa_exception_fp_ieee_div_zero 0
		.amdhsa_exception_fp_ieee_overflow 0
		.amdhsa_exception_fp_ieee_underflow 0
		.amdhsa_exception_fp_ieee_inexact 0
		.amdhsa_exception_int_div_zero 0
	.end_amdhsa_kernel
	.section	.text._ZN7rocprim17ROCPRIM_400000_NS6detail17trampoline_kernelINS0_13select_configILj256ELj13ELNS0_17block_load_methodE3ELS4_3ELS4_3ELNS0_20block_scan_algorithmE0ELj4294967295EEENS1_25partition_config_selectorILNS1_17partition_subalgoE3EjNS0_10empty_typeEbEEZZNS1_14partition_implILS8_3ELb0ES6_jNS0_17counting_iteratorIjlEEPS9_SE_NS0_5tupleIJPjSE_EEENSF_IJSE_SE_EEES9_SG_JZNS1_25segmented_radix_sort_implINS0_14default_configELb0EPKiPiPKlPlN2at6native12_GLOBAL__N_18offset_tEEE10hipError_tPvRmT1_PNSt15iterator_traitsISY_E10value_typeET2_T3_PNSZ_IS14_E10value_typeET4_jRbjT5_S1A_jjP12ihipStream_tbEUljE_EEESV_SW_SX_S14_S18_S1A_T6_T7_T9_mT8_S1C_bDpT10_ENKUlT_T0_E_clISt17integral_constantIbLb1EES1P_EEDaS1K_S1L_EUlS1K_E_NS1_11comp_targetILNS1_3genE9ELNS1_11target_archE1100ELNS1_3gpuE3ELNS1_3repE0EEENS1_30default_config_static_selectorELNS0_4arch9wavefront6targetE0EEEvSY_,"axG",@progbits,_ZN7rocprim17ROCPRIM_400000_NS6detail17trampoline_kernelINS0_13select_configILj256ELj13ELNS0_17block_load_methodE3ELS4_3ELS4_3ELNS0_20block_scan_algorithmE0ELj4294967295EEENS1_25partition_config_selectorILNS1_17partition_subalgoE3EjNS0_10empty_typeEbEEZZNS1_14partition_implILS8_3ELb0ES6_jNS0_17counting_iteratorIjlEEPS9_SE_NS0_5tupleIJPjSE_EEENSF_IJSE_SE_EEES9_SG_JZNS1_25segmented_radix_sort_implINS0_14default_configELb0EPKiPiPKlPlN2at6native12_GLOBAL__N_18offset_tEEE10hipError_tPvRmT1_PNSt15iterator_traitsISY_E10value_typeET2_T3_PNSZ_IS14_E10value_typeET4_jRbjT5_S1A_jjP12ihipStream_tbEUljE_EEESV_SW_SX_S14_S18_S1A_T6_T7_T9_mT8_S1C_bDpT10_ENKUlT_T0_E_clISt17integral_constantIbLb1EES1P_EEDaS1K_S1L_EUlS1K_E_NS1_11comp_targetILNS1_3genE9ELNS1_11target_archE1100ELNS1_3gpuE3ELNS1_3repE0EEENS1_30default_config_static_selectorELNS0_4arch9wavefront6targetE0EEEvSY_,comdat
.Lfunc_end577:
	.size	_ZN7rocprim17ROCPRIM_400000_NS6detail17trampoline_kernelINS0_13select_configILj256ELj13ELNS0_17block_load_methodE3ELS4_3ELS4_3ELNS0_20block_scan_algorithmE0ELj4294967295EEENS1_25partition_config_selectorILNS1_17partition_subalgoE3EjNS0_10empty_typeEbEEZZNS1_14partition_implILS8_3ELb0ES6_jNS0_17counting_iteratorIjlEEPS9_SE_NS0_5tupleIJPjSE_EEENSF_IJSE_SE_EEES9_SG_JZNS1_25segmented_radix_sort_implINS0_14default_configELb0EPKiPiPKlPlN2at6native12_GLOBAL__N_18offset_tEEE10hipError_tPvRmT1_PNSt15iterator_traitsISY_E10value_typeET2_T3_PNSZ_IS14_E10value_typeET4_jRbjT5_S1A_jjP12ihipStream_tbEUljE_EEESV_SW_SX_S14_S18_S1A_T6_T7_T9_mT8_S1C_bDpT10_ENKUlT_T0_E_clISt17integral_constantIbLb1EES1P_EEDaS1K_S1L_EUlS1K_E_NS1_11comp_targetILNS1_3genE9ELNS1_11target_archE1100ELNS1_3gpuE3ELNS1_3repE0EEENS1_30default_config_static_selectorELNS0_4arch9wavefront6targetE0EEEvSY_, .Lfunc_end577-_ZN7rocprim17ROCPRIM_400000_NS6detail17trampoline_kernelINS0_13select_configILj256ELj13ELNS0_17block_load_methodE3ELS4_3ELS4_3ELNS0_20block_scan_algorithmE0ELj4294967295EEENS1_25partition_config_selectorILNS1_17partition_subalgoE3EjNS0_10empty_typeEbEEZZNS1_14partition_implILS8_3ELb0ES6_jNS0_17counting_iteratorIjlEEPS9_SE_NS0_5tupleIJPjSE_EEENSF_IJSE_SE_EEES9_SG_JZNS1_25segmented_radix_sort_implINS0_14default_configELb0EPKiPiPKlPlN2at6native12_GLOBAL__N_18offset_tEEE10hipError_tPvRmT1_PNSt15iterator_traitsISY_E10value_typeET2_T3_PNSZ_IS14_E10value_typeET4_jRbjT5_S1A_jjP12ihipStream_tbEUljE_EEESV_SW_SX_S14_S18_S1A_T6_T7_T9_mT8_S1C_bDpT10_ENKUlT_T0_E_clISt17integral_constantIbLb1EES1P_EEDaS1K_S1L_EUlS1K_E_NS1_11comp_targetILNS1_3genE9ELNS1_11target_archE1100ELNS1_3gpuE3ELNS1_3repE0EEENS1_30default_config_static_selectorELNS0_4arch9wavefront6targetE0EEEvSY_
                                        ; -- End function
	.set _ZN7rocprim17ROCPRIM_400000_NS6detail17trampoline_kernelINS0_13select_configILj256ELj13ELNS0_17block_load_methodE3ELS4_3ELS4_3ELNS0_20block_scan_algorithmE0ELj4294967295EEENS1_25partition_config_selectorILNS1_17partition_subalgoE3EjNS0_10empty_typeEbEEZZNS1_14partition_implILS8_3ELb0ES6_jNS0_17counting_iteratorIjlEEPS9_SE_NS0_5tupleIJPjSE_EEENSF_IJSE_SE_EEES9_SG_JZNS1_25segmented_radix_sort_implINS0_14default_configELb0EPKiPiPKlPlN2at6native12_GLOBAL__N_18offset_tEEE10hipError_tPvRmT1_PNSt15iterator_traitsISY_E10value_typeET2_T3_PNSZ_IS14_E10value_typeET4_jRbjT5_S1A_jjP12ihipStream_tbEUljE_EEESV_SW_SX_S14_S18_S1A_T6_T7_T9_mT8_S1C_bDpT10_ENKUlT_T0_E_clISt17integral_constantIbLb1EES1P_EEDaS1K_S1L_EUlS1K_E_NS1_11comp_targetILNS1_3genE9ELNS1_11target_archE1100ELNS1_3gpuE3ELNS1_3repE0EEENS1_30default_config_static_selectorELNS0_4arch9wavefront6targetE0EEEvSY_.num_vgpr, 0
	.set _ZN7rocprim17ROCPRIM_400000_NS6detail17trampoline_kernelINS0_13select_configILj256ELj13ELNS0_17block_load_methodE3ELS4_3ELS4_3ELNS0_20block_scan_algorithmE0ELj4294967295EEENS1_25partition_config_selectorILNS1_17partition_subalgoE3EjNS0_10empty_typeEbEEZZNS1_14partition_implILS8_3ELb0ES6_jNS0_17counting_iteratorIjlEEPS9_SE_NS0_5tupleIJPjSE_EEENSF_IJSE_SE_EEES9_SG_JZNS1_25segmented_radix_sort_implINS0_14default_configELb0EPKiPiPKlPlN2at6native12_GLOBAL__N_18offset_tEEE10hipError_tPvRmT1_PNSt15iterator_traitsISY_E10value_typeET2_T3_PNSZ_IS14_E10value_typeET4_jRbjT5_S1A_jjP12ihipStream_tbEUljE_EEESV_SW_SX_S14_S18_S1A_T6_T7_T9_mT8_S1C_bDpT10_ENKUlT_T0_E_clISt17integral_constantIbLb1EES1P_EEDaS1K_S1L_EUlS1K_E_NS1_11comp_targetILNS1_3genE9ELNS1_11target_archE1100ELNS1_3gpuE3ELNS1_3repE0EEENS1_30default_config_static_selectorELNS0_4arch9wavefront6targetE0EEEvSY_.num_agpr, 0
	.set _ZN7rocprim17ROCPRIM_400000_NS6detail17trampoline_kernelINS0_13select_configILj256ELj13ELNS0_17block_load_methodE3ELS4_3ELS4_3ELNS0_20block_scan_algorithmE0ELj4294967295EEENS1_25partition_config_selectorILNS1_17partition_subalgoE3EjNS0_10empty_typeEbEEZZNS1_14partition_implILS8_3ELb0ES6_jNS0_17counting_iteratorIjlEEPS9_SE_NS0_5tupleIJPjSE_EEENSF_IJSE_SE_EEES9_SG_JZNS1_25segmented_radix_sort_implINS0_14default_configELb0EPKiPiPKlPlN2at6native12_GLOBAL__N_18offset_tEEE10hipError_tPvRmT1_PNSt15iterator_traitsISY_E10value_typeET2_T3_PNSZ_IS14_E10value_typeET4_jRbjT5_S1A_jjP12ihipStream_tbEUljE_EEESV_SW_SX_S14_S18_S1A_T6_T7_T9_mT8_S1C_bDpT10_ENKUlT_T0_E_clISt17integral_constantIbLb1EES1P_EEDaS1K_S1L_EUlS1K_E_NS1_11comp_targetILNS1_3genE9ELNS1_11target_archE1100ELNS1_3gpuE3ELNS1_3repE0EEENS1_30default_config_static_selectorELNS0_4arch9wavefront6targetE0EEEvSY_.numbered_sgpr, 0
	.set _ZN7rocprim17ROCPRIM_400000_NS6detail17trampoline_kernelINS0_13select_configILj256ELj13ELNS0_17block_load_methodE3ELS4_3ELS4_3ELNS0_20block_scan_algorithmE0ELj4294967295EEENS1_25partition_config_selectorILNS1_17partition_subalgoE3EjNS0_10empty_typeEbEEZZNS1_14partition_implILS8_3ELb0ES6_jNS0_17counting_iteratorIjlEEPS9_SE_NS0_5tupleIJPjSE_EEENSF_IJSE_SE_EEES9_SG_JZNS1_25segmented_radix_sort_implINS0_14default_configELb0EPKiPiPKlPlN2at6native12_GLOBAL__N_18offset_tEEE10hipError_tPvRmT1_PNSt15iterator_traitsISY_E10value_typeET2_T3_PNSZ_IS14_E10value_typeET4_jRbjT5_S1A_jjP12ihipStream_tbEUljE_EEESV_SW_SX_S14_S18_S1A_T6_T7_T9_mT8_S1C_bDpT10_ENKUlT_T0_E_clISt17integral_constantIbLb1EES1P_EEDaS1K_S1L_EUlS1K_E_NS1_11comp_targetILNS1_3genE9ELNS1_11target_archE1100ELNS1_3gpuE3ELNS1_3repE0EEENS1_30default_config_static_selectorELNS0_4arch9wavefront6targetE0EEEvSY_.num_named_barrier, 0
	.set _ZN7rocprim17ROCPRIM_400000_NS6detail17trampoline_kernelINS0_13select_configILj256ELj13ELNS0_17block_load_methodE3ELS4_3ELS4_3ELNS0_20block_scan_algorithmE0ELj4294967295EEENS1_25partition_config_selectorILNS1_17partition_subalgoE3EjNS0_10empty_typeEbEEZZNS1_14partition_implILS8_3ELb0ES6_jNS0_17counting_iteratorIjlEEPS9_SE_NS0_5tupleIJPjSE_EEENSF_IJSE_SE_EEES9_SG_JZNS1_25segmented_radix_sort_implINS0_14default_configELb0EPKiPiPKlPlN2at6native12_GLOBAL__N_18offset_tEEE10hipError_tPvRmT1_PNSt15iterator_traitsISY_E10value_typeET2_T3_PNSZ_IS14_E10value_typeET4_jRbjT5_S1A_jjP12ihipStream_tbEUljE_EEESV_SW_SX_S14_S18_S1A_T6_T7_T9_mT8_S1C_bDpT10_ENKUlT_T0_E_clISt17integral_constantIbLb1EES1P_EEDaS1K_S1L_EUlS1K_E_NS1_11comp_targetILNS1_3genE9ELNS1_11target_archE1100ELNS1_3gpuE3ELNS1_3repE0EEENS1_30default_config_static_selectorELNS0_4arch9wavefront6targetE0EEEvSY_.private_seg_size, 0
	.set _ZN7rocprim17ROCPRIM_400000_NS6detail17trampoline_kernelINS0_13select_configILj256ELj13ELNS0_17block_load_methodE3ELS4_3ELS4_3ELNS0_20block_scan_algorithmE0ELj4294967295EEENS1_25partition_config_selectorILNS1_17partition_subalgoE3EjNS0_10empty_typeEbEEZZNS1_14partition_implILS8_3ELb0ES6_jNS0_17counting_iteratorIjlEEPS9_SE_NS0_5tupleIJPjSE_EEENSF_IJSE_SE_EEES9_SG_JZNS1_25segmented_radix_sort_implINS0_14default_configELb0EPKiPiPKlPlN2at6native12_GLOBAL__N_18offset_tEEE10hipError_tPvRmT1_PNSt15iterator_traitsISY_E10value_typeET2_T3_PNSZ_IS14_E10value_typeET4_jRbjT5_S1A_jjP12ihipStream_tbEUljE_EEESV_SW_SX_S14_S18_S1A_T6_T7_T9_mT8_S1C_bDpT10_ENKUlT_T0_E_clISt17integral_constantIbLb1EES1P_EEDaS1K_S1L_EUlS1K_E_NS1_11comp_targetILNS1_3genE9ELNS1_11target_archE1100ELNS1_3gpuE3ELNS1_3repE0EEENS1_30default_config_static_selectorELNS0_4arch9wavefront6targetE0EEEvSY_.uses_vcc, 0
	.set _ZN7rocprim17ROCPRIM_400000_NS6detail17trampoline_kernelINS0_13select_configILj256ELj13ELNS0_17block_load_methodE3ELS4_3ELS4_3ELNS0_20block_scan_algorithmE0ELj4294967295EEENS1_25partition_config_selectorILNS1_17partition_subalgoE3EjNS0_10empty_typeEbEEZZNS1_14partition_implILS8_3ELb0ES6_jNS0_17counting_iteratorIjlEEPS9_SE_NS0_5tupleIJPjSE_EEENSF_IJSE_SE_EEES9_SG_JZNS1_25segmented_radix_sort_implINS0_14default_configELb0EPKiPiPKlPlN2at6native12_GLOBAL__N_18offset_tEEE10hipError_tPvRmT1_PNSt15iterator_traitsISY_E10value_typeET2_T3_PNSZ_IS14_E10value_typeET4_jRbjT5_S1A_jjP12ihipStream_tbEUljE_EEESV_SW_SX_S14_S18_S1A_T6_T7_T9_mT8_S1C_bDpT10_ENKUlT_T0_E_clISt17integral_constantIbLb1EES1P_EEDaS1K_S1L_EUlS1K_E_NS1_11comp_targetILNS1_3genE9ELNS1_11target_archE1100ELNS1_3gpuE3ELNS1_3repE0EEENS1_30default_config_static_selectorELNS0_4arch9wavefront6targetE0EEEvSY_.uses_flat_scratch, 0
	.set _ZN7rocprim17ROCPRIM_400000_NS6detail17trampoline_kernelINS0_13select_configILj256ELj13ELNS0_17block_load_methodE3ELS4_3ELS4_3ELNS0_20block_scan_algorithmE0ELj4294967295EEENS1_25partition_config_selectorILNS1_17partition_subalgoE3EjNS0_10empty_typeEbEEZZNS1_14partition_implILS8_3ELb0ES6_jNS0_17counting_iteratorIjlEEPS9_SE_NS0_5tupleIJPjSE_EEENSF_IJSE_SE_EEES9_SG_JZNS1_25segmented_radix_sort_implINS0_14default_configELb0EPKiPiPKlPlN2at6native12_GLOBAL__N_18offset_tEEE10hipError_tPvRmT1_PNSt15iterator_traitsISY_E10value_typeET2_T3_PNSZ_IS14_E10value_typeET4_jRbjT5_S1A_jjP12ihipStream_tbEUljE_EEESV_SW_SX_S14_S18_S1A_T6_T7_T9_mT8_S1C_bDpT10_ENKUlT_T0_E_clISt17integral_constantIbLb1EES1P_EEDaS1K_S1L_EUlS1K_E_NS1_11comp_targetILNS1_3genE9ELNS1_11target_archE1100ELNS1_3gpuE3ELNS1_3repE0EEENS1_30default_config_static_selectorELNS0_4arch9wavefront6targetE0EEEvSY_.has_dyn_sized_stack, 0
	.set _ZN7rocprim17ROCPRIM_400000_NS6detail17trampoline_kernelINS0_13select_configILj256ELj13ELNS0_17block_load_methodE3ELS4_3ELS4_3ELNS0_20block_scan_algorithmE0ELj4294967295EEENS1_25partition_config_selectorILNS1_17partition_subalgoE3EjNS0_10empty_typeEbEEZZNS1_14partition_implILS8_3ELb0ES6_jNS0_17counting_iteratorIjlEEPS9_SE_NS0_5tupleIJPjSE_EEENSF_IJSE_SE_EEES9_SG_JZNS1_25segmented_radix_sort_implINS0_14default_configELb0EPKiPiPKlPlN2at6native12_GLOBAL__N_18offset_tEEE10hipError_tPvRmT1_PNSt15iterator_traitsISY_E10value_typeET2_T3_PNSZ_IS14_E10value_typeET4_jRbjT5_S1A_jjP12ihipStream_tbEUljE_EEESV_SW_SX_S14_S18_S1A_T6_T7_T9_mT8_S1C_bDpT10_ENKUlT_T0_E_clISt17integral_constantIbLb1EES1P_EEDaS1K_S1L_EUlS1K_E_NS1_11comp_targetILNS1_3genE9ELNS1_11target_archE1100ELNS1_3gpuE3ELNS1_3repE0EEENS1_30default_config_static_selectorELNS0_4arch9wavefront6targetE0EEEvSY_.has_recursion, 0
	.set _ZN7rocprim17ROCPRIM_400000_NS6detail17trampoline_kernelINS0_13select_configILj256ELj13ELNS0_17block_load_methodE3ELS4_3ELS4_3ELNS0_20block_scan_algorithmE0ELj4294967295EEENS1_25partition_config_selectorILNS1_17partition_subalgoE3EjNS0_10empty_typeEbEEZZNS1_14partition_implILS8_3ELb0ES6_jNS0_17counting_iteratorIjlEEPS9_SE_NS0_5tupleIJPjSE_EEENSF_IJSE_SE_EEES9_SG_JZNS1_25segmented_radix_sort_implINS0_14default_configELb0EPKiPiPKlPlN2at6native12_GLOBAL__N_18offset_tEEE10hipError_tPvRmT1_PNSt15iterator_traitsISY_E10value_typeET2_T3_PNSZ_IS14_E10value_typeET4_jRbjT5_S1A_jjP12ihipStream_tbEUljE_EEESV_SW_SX_S14_S18_S1A_T6_T7_T9_mT8_S1C_bDpT10_ENKUlT_T0_E_clISt17integral_constantIbLb1EES1P_EEDaS1K_S1L_EUlS1K_E_NS1_11comp_targetILNS1_3genE9ELNS1_11target_archE1100ELNS1_3gpuE3ELNS1_3repE0EEENS1_30default_config_static_selectorELNS0_4arch9wavefront6targetE0EEEvSY_.has_indirect_call, 0
	.section	.AMDGPU.csdata,"",@progbits
; Kernel info:
; codeLenInByte = 0
; TotalNumSgprs: 0
; NumVgprs: 0
; ScratchSize: 0
; MemoryBound: 0
; FloatMode: 240
; IeeeMode: 1
; LDSByteSize: 0 bytes/workgroup (compile time only)
; SGPRBlocks: 0
; VGPRBlocks: 0
; NumSGPRsForWavesPerEU: 1
; NumVGPRsForWavesPerEU: 1
; Occupancy: 16
; WaveLimiterHint : 0
; COMPUTE_PGM_RSRC2:SCRATCH_EN: 0
; COMPUTE_PGM_RSRC2:USER_SGPR: 6
; COMPUTE_PGM_RSRC2:TRAP_HANDLER: 0
; COMPUTE_PGM_RSRC2:TGID_X_EN: 1
; COMPUTE_PGM_RSRC2:TGID_Y_EN: 0
; COMPUTE_PGM_RSRC2:TGID_Z_EN: 0
; COMPUTE_PGM_RSRC2:TIDIG_COMP_CNT: 0
	.section	.text._ZN7rocprim17ROCPRIM_400000_NS6detail17trampoline_kernelINS0_13select_configILj256ELj13ELNS0_17block_load_methodE3ELS4_3ELS4_3ELNS0_20block_scan_algorithmE0ELj4294967295EEENS1_25partition_config_selectorILNS1_17partition_subalgoE3EjNS0_10empty_typeEbEEZZNS1_14partition_implILS8_3ELb0ES6_jNS0_17counting_iteratorIjlEEPS9_SE_NS0_5tupleIJPjSE_EEENSF_IJSE_SE_EEES9_SG_JZNS1_25segmented_radix_sort_implINS0_14default_configELb0EPKiPiPKlPlN2at6native12_GLOBAL__N_18offset_tEEE10hipError_tPvRmT1_PNSt15iterator_traitsISY_E10value_typeET2_T3_PNSZ_IS14_E10value_typeET4_jRbjT5_S1A_jjP12ihipStream_tbEUljE_EEESV_SW_SX_S14_S18_S1A_T6_T7_T9_mT8_S1C_bDpT10_ENKUlT_T0_E_clISt17integral_constantIbLb1EES1P_EEDaS1K_S1L_EUlS1K_E_NS1_11comp_targetILNS1_3genE8ELNS1_11target_archE1030ELNS1_3gpuE2ELNS1_3repE0EEENS1_30default_config_static_selectorELNS0_4arch9wavefront6targetE0EEEvSY_,"axG",@progbits,_ZN7rocprim17ROCPRIM_400000_NS6detail17trampoline_kernelINS0_13select_configILj256ELj13ELNS0_17block_load_methodE3ELS4_3ELS4_3ELNS0_20block_scan_algorithmE0ELj4294967295EEENS1_25partition_config_selectorILNS1_17partition_subalgoE3EjNS0_10empty_typeEbEEZZNS1_14partition_implILS8_3ELb0ES6_jNS0_17counting_iteratorIjlEEPS9_SE_NS0_5tupleIJPjSE_EEENSF_IJSE_SE_EEES9_SG_JZNS1_25segmented_radix_sort_implINS0_14default_configELb0EPKiPiPKlPlN2at6native12_GLOBAL__N_18offset_tEEE10hipError_tPvRmT1_PNSt15iterator_traitsISY_E10value_typeET2_T3_PNSZ_IS14_E10value_typeET4_jRbjT5_S1A_jjP12ihipStream_tbEUljE_EEESV_SW_SX_S14_S18_S1A_T6_T7_T9_mT8_S1C_bDpT10_ENKUlT_T0_E_clISt17integral_constantIbLb1EES1P_EEDaS1K_S1L_EUlS1K_E_NS1_11comp_targetILNS1_3genE8ELNS1_11target_archE1030ELNS1_3gpuE2ELNS1_3repE0EEENS1_30default_config_static_selectorELNS0_4arch9wavefront6targetE0EEEvSY_,comdat
	.globl	_ZN7rocprim17ROCPRIM_400000_NS6detail17trampoline_kernelINS0_13select_configILj256ELj13ELNS0_17block_load_methodE3ELS4_3ELS4_3ELNS0_20block_scan_algorithmE0ELj4294967295EEENS1_25partition_config_selectorILNS1_17partition_subalgoE3EjNS0_10empty_typeEbEEZZNS1_14partition_implILS8_3ELb0ES6_jNS0_17counting_iteratorIjlEEPS9_SE_NS0_5tupleIJPjSE_EEENSF_IJSE_SE_EEES9_SG_JZNS1_25segmented_radix_sort_implINS0_14default_configELb0EPKiPiPKlPlN2at6native12_GLOBAL__N_18offset_tEEE10hipError_tPvRmT1_PNSt15iterator_traitsISY_E10value_typeET2_T3_PNSZ_IS14_E10value_typeET4_jRbjT5_S1A_jjP12ihipStream_tbEUljE_EEESV_SW_SX_S14_S18_S1A_T6_T7_T9_mT8_S1C_bDpT10_ENKUlT_T0_E_clISt17integral_constantIbLb1EES1P_EEDaS1K_S1L_EUlS1K_E_NS1_11comp_targetILNS1_3genE8ELNS1_11target_archE1030ELNS1_3gpuE2ELNS1_3repE0EEENS1_30default_config_static_selectorELNS0_4arch9wavefront6targetE0EEEvSY_ ; -- Begin function _ZN7rocprim17ROCPRIM_400000_NS6detail17trampoline_kernelINS0_13select_configILj256ELj13ELNS0_17block_load_methodE3ELS4_3ELS4_3ELNS0_20block_scan_algorithmE0ELj4294967295EEENS1_25partition_config_selectorILNS1_17partition_subalgoE3EjNS0_10empty_typeEbEEZZNS1_14partition_implILS8_3ELb0ES6_jNS0_17counting_iteratorIjlEEPS9_SE_NS0_5tupleIJPjSE_EEENSF_IJSE_SE_EEES9_SG_JZNS1_25segmented_radix_sort_implINS0_14default_configELb0EPKiPiPKlPlN2at6native12_GLOBAL__N_18offset_tEEE10hipError_tPvRmT1_PNSt15iterator_traitsISY_E10value_typeET2_T3_PNSZ_IS14_E10value_typeET4_jRbjT5_S1A_jjP12ihipStream_tbEUljE_EEESV_SW_SX_S14_S18_S1A_T6_T7_T9_mT8_S1C_bDpT10_ENKUlT_T0_E_clISt17integral_constantIbLb1EES1P_EEDaS1K_S1L_EUlS1K_E_NS1_11comp_targetILNS1_3genE8ELNS1_11target_archE1030ELNS1_3gpuE2ELNS1_3repE0EEENS1_30default_config_static_selectorELNS0_4arch9wavefront6targetE0EEEvSY_
	.p2align	8
	.type	_ZN7rocprim17ROCPRIM_400000_NS6detail17trampoline_kernelINS0_13select_configILj256ELj13ELNS0_17block_load_methodE3ELS4_3ELS4_3ELNS0_20block_scan_algorithmE0ELj4294967295EEENS1_25partition_config_selectorILNS1_17partition_subalgoE3EjNS0_10empty_typeEbEEZZNS1_14partition_implILS8_3ELb0ES6_jNS0_17counting_iteratorIjlEEPS9_SE_NS0_5tupleIJPjSE_EEENSF_IJSE_SE_EEES9_SG_JZNS1_25segmented_radix_sort_implINS0_14default_configELb0EPKiPiPKlPlN2at6native12_GLOBAL__N_18offset_tEEE10hipError_tPvRmT1_PNSt15iterator_traitsISY_E10value_typeET2_T3_PNSZ_IS14_E10value_typeET4_jRbjT5_S1A_jjP12ihipStream_tbEUljE_EEESV_SW_SX_S14_S18_S1A_T6_T7_T9_mT8_S1C_bDpT10_ENKUlT_T0_E_clISt17integral_constantIbLb1EES1P_EEDaS1K_S1L_EUlS1K_E_NS1_11comp_targetILNS1_3genE8ELNS1_11target_archE1030ELNS1_3gpuE2ELNS1_3repE0EEENS1_30default_config_static_selectorELNS0_4arch9wavefront6targetE0EEEvSY_,@function
_ZN7rocprim17ROCPRIM_400000_NS6detail17trampoline_kernelINS0_13select_configILj256ELj13ELNS0_17block_load_methodE3ELS4_3ELS4_3ELNS0_20block_scan_algorithmE0ELj4294967295EEENS1_25partition_config_selectorILNS1_17partition_subalgoE3EjNS0_10empty_typeEbEEZZNS1_14partition_implILS8_3ELb0ES6_jNS0_17counting_iteratorIjlEEPS9_SE_NS0_5tupleIJPjSE_EEENSF_IJSE_SE_EEES9_SG_JZNS1_25segmented_radix_sort_implINS0_14default_configELb0EPKiPiPKlPlN2at6native12_GLOBAL__N_18offset_tEEE10hipError_tPvRmT1_PNSt15iterator_traitsISY_E10value_typeET2_T3_PNSZ_IS14_E10value_typeET4_jRbjT5_S1A_jjP12ihipStream_tbEUljE_EEESV_SW_SX_S14_S18_S1A_T6_T7_T9_mT8_S1C_bDpT10_ENKUlT_T0_E_clISt17integral_constantIbLb1EES1P_EEDaS1K_S1L_EUlS1K_E_NS1_11comp_targetILNS1_3genE8ELNS1_11target_archE1030ELNS1_3gpuE2ELNS1_3repE0EEENS1_30default_config_static_selectorELNS0_4arch9wavefront6targetE0EEEvSY_: ; @_ZN7rocprim17ROCPRIM_400000_NS6detail17trampoline_kernelINS0_13select_configILj256ELj13ELNS0_17block_load_methodE3ELS4_3ELS4_3ELNS0_20block_scan_algorithmE0ELj4294967295EEENS1_25partition_config_selectorILNS1_17partition_subalgoE3EjNS0_10empty_typeEbEEZZNS1_14partition_implILS8_3ELb0ES6_jNS0_17counting_iteratorIjlEEPS9_SE_NS0_5tupleIJPjSE_EEENSF_IJSE_SE_EEES9_SG_JZNS1_25segmented_radix_sort_implINS0_14default_configELb0EPKiPiPKlPlN2at6native12_GLOBAL__N_18offset_tEEE10hipError_tPvRmT1_PNSt15iterator_traitsISY_E10value_typeET2_T3_PNSZ_IS14_E10value_typeET4_jRbjT5_S1A_jjP12ihipStream_tbEUljE_EEESV_SW_SX_S14_S18_S1A_T6_T7_T9_mT8_S1C_bDpT10_ENKUlT_T0_E_clISt17integral_constantIbLb1EES1P_EEDaS1K_S1L_EUlS1K_E_NS1_11comp_targetILNS1_3genE8ELNS1_11target_archE1030ELNS1_3gpuE2ELNS1_3repE0EEENS1_30default_config_static_selectorELNS0_4arch9wavefront6targetE0EEEvSY_
; %bb.0:
	s_endpgm
	.section	.rodata,"a",@progbits
	.p2align	6, 0x0
	.amdhsa_kernel _ZN7rocprim17ROCPRIM_400000_NS6detail17trampoline_kernelINS0_13select_configILj256ELj13ELNS0_17block_load_methodE3ELS4_3ELS4_3ELNS0_20block_scan_algorithmE0ELj4294967295EEENS1_25partition_config_selectorILNS1_17partition_subalgoE3EjNS0_10empty_typeEbEEZZNS1_14partition_implILS8_3ELb0ES6_jNS0_17counting_iteratorIjlEEPS9_SE_NS0_5tupleIJPjSE_EEENSF_IJSE_SE_EEES9_SG_JZNS1_25segmented_radix_sort_implINS0_14default_configELb0EPKiPiPKlPlN2at6native12_GLOBAL__N_18offset_tEEE10hipError_tPvRmT1_PNSt15iterator_traitsISY_E10value_typeET2_T3_PNSZ_IS14_E10value_typeET4_jRbjT5_S1A_jjP12ihipStream_tbEUljE_EEESV_SW_SX_S14_S18_S1A_T6_T7_T9_mT8_S1C_bDpT10_ENKUlT_T0_E_clISt17integral_constantIbLb1EES1P_EEDaS1K_S1L_EUlS1K_E_NS1_11comp_targetILNS1_3genE8ELNS1_11target_archE1030ELNS1_3gpuE2ELNS1_3repE0EEENS1_30default_config_static_selectorELNS0_4arch9wavefront6targetE0EEEvSY_
		.amdhsa_group_segment_fixed_size 0
		.amdhsa_private_segment_fixed_size 0
		.amdhsa_kernarg_size 152
		.amdhsa_user_sgpr_count 6
		.amdhsa_user_sgpr_private_segment_buffer 1
		.amdhsa_user_sgpr_dispatch_ptr 0
		.amdhsa_user_sgpr_queue_ptr 0
		.amdhsa_user_sgpr_kernarg_segment_ptr 1
		.amdhsa_user_sgpr_dispatch_id 0
		.amdhsa_user_sgpr_flat_scratch_init 0
		.amdhsa_user_sgpr_private_segment_size 0
		.amdhsa_wavefront_size32 1
		.amdhsa_uses_dynamic_stack 0
		.amdhsa_system_sgpr_private_segment_wavefront_offset 0
		.amdhsa_system_sgpr_workgroup_id_x 1
		.amdhsa_system_sgpr_workgroup_id_y 0
		.amdhsa_system_sgpr_workgroup_id_z 0
		.amdhsa_system_sgpr_workgroup_info 0
		.amdhsa_system_vgpr_workitem_id 0
		.amdhsa_next_free_vgpr 1
		.amdhsa_next_free_sgpr 1
		.amdhsa_reserve_vcc 0
		.amdhsa_reserve_flat_scratch 0
		.amdhsa_float_round_mode_32 0
		.amdhsa_float_round_mode_16_64 0
		.amdhsa_float_denorm_mode_32 3
		.amdhsa_float_denorm_mode_16_64 3
		.amdhsa_dx10_clamp 1
		.amdhsa_ieee_mode 1
		.amdhsa_fp16_overflow 0
		.amdhsa_workgroup_processor_mode 1
		.amdhsa_memory_ordered 1
		.amdhsa_forward_progress 1
		.amdhsa_shared_vgpr_count 0
		.amdhsa_exception_fp_ieee_invalid_op 0
		.amdhsa_exception_fp_denorm_src 0
		.amdhsa_exception_fp_ieee_div_zero 0
		.amdhsa_exception_fp_ieee_overflow 0
		.amdhsa_exception_fp_ieee_underflow 0
		.amdhsa_exception_fp_ieee_inexact 0
		.amdhsa_exception_int_div_zero 0
	.end_amdhsa_kernel
	.section	.text._ZN7rocprim17ROCPRIM_400000_NS6detail17trampoline_kernelINS0_13select_configILj256ELj13ELNS0_17block_load_methodE3ELS4_3ELS4_3ELNS0_20block_scan_algorithmE0ELj4294967295EEENS1_25partition_config_selectorILNS1_17partition_subalgoE3EjNS0_10empty_typeEbEEZZNS1_14partition_implILS8_3ELb0ES6_jNS0_17counting_iteratorIjlEEPS9_SE_NS0_5tupleIJPjSE_EEENSF_IJSE_SE_EEES9_SG_JZNS1_25segmented_radix_sort_implINS0_14default_configELb0EPKiPiPKlPlN2at6native12_GLOBAL__N_18offset_tEEE10hipError_tPvRmT1_PNSt15iterator_traitsISY_E10value_typeET2_T3_PNSZ_IS14_E10value_typeET4_jRbjT5_S1A_jjP12ihipStream_tbEUljE_EEESV_SW_SX_S14_S18_S1A_T6_T7_T9_mT8_S1C_bDpT10_ENKUlT_T0_E_clISt17integral_constantIbLb1EES1P_EEDaS1K_S1L_EUlS1K_E_NS1_11comp_targetILNS1_3genE8ELNS1_11target_archE1030ELNS1_3gpuE2ELNS1_3repE0EEENS1_30default_config_static_selectorELNS0_4arch9wavefront6targetE0EEEvSY_,"axG",@progbits,_ZN7rocprim17ROCPRIM_400000_NS6detail17trampoline_kernelINS0_13select_configILj256ELj13ELNS0_17block_load_methodE3ELS4_3ELS4_3ELNS0_20block_scan_algorithmE0ELj4294967295EEENS1_25partition_config_selectorILNS1_17partition_subalgoE3EjNS0_10empty_typeEbEEZZNS1_14partition_implILS8_3ELb0ES6_jNS0_17counting_iteratorIjlEEPS9_SE_NS0_5tupleIJPjSE_EEENSF_IJSE_SE_EEES9_SG_JZNS1_25segmented_radix_sort_implINS0_14default_configELb0EPKiPiPKlPlN2at6native12_GLOBAL__N_18offset_tEEE10hipError_tPvRmT1_PNSt15iterator_traitsISY_E10value_typeET2_T3_PNSZ_IS14_E10value_typeET4_jRbjT5_S1A_jjP12ihipStream_tbEUljE_EEESV_SW_SX_S14_S18_S1A_T6_T7_T9_mT8_S1C_bDpT10_ENKUlT_T0_E_clISt17integral_constantIbLb1EES1P_EEDaS1K_S1L_EUlS1K_E_NS1_11comp_targetILNS1_3genE8ELNS1_11target_archE1030ELNS1_3gpuE2ELNS1_3repE0EEENS1_30default_config_static_selectorELNS0_4arch9wavefront6targetE0EEEvSY_,comdat
.Lfunc_end578:
	.size	_ZN7rocprim17ROCPRIM_400000_NS6detail17trampoline_kernelINS0_13select_configILj256ELj13ELNS0_17block_load_methodE3ELS4_3ELS4_3ELNS0_20block_scan_algorithmE0ELj4294967295EEENS1_25partition_config_selectorILNS1_17partition_subalgoE3EjNS0_10empty_typeEbEEZZNS1_14partition_implILS8_3ELb0ES6_jNS0_17counting_iteratorIjlEEPS9_SE_NS0_5tupleIJPjSE_EEENSF_IJSE_SE_EEES9_SG_JZNS1_25segmented_radix_sort_implINS0_14default_configELb0EPKiPiPKlPlN2at6native12_GLOBAL__N_18offset_tEEE10hipError_tPvRmT1_PNSt15iterator_traitsISY_E10value_typeET2_T3_PNSZ_IS14_E10value_typeET4_jRbjT5_S1A_jjP12ihipStream_tbEUljE_EEESV_SW_SX_S14_S18_S1A_T6_T7_T9_mT8_S1C_bDpT10_ENKUlT_T0_E_clISt17integral_constantIbLb1EES1P_EEDaS1K_S1L_EUlS1K_E_NS1_11comp_targetILNS1_3genE8ELNS1_11target_archE1030ELNS1_3gpuE2ELNS1_3repE0EEENS1_30default_config_static_selectorELNS0_4arch9wavefront6targetE0EEEvSY_, .Lfunc_end578-_ZN7rocprim17ROCPRIM_400000_NS6detail17trampoline_kernelINS0_13select_configILj256ELj13ELNS0_17block_load_methodE3ELS4_3ELS4_3ELNS0_20block_scan_algorithmE0ELj4294967295EEENS1_25partition_config_selectorILNS1_17partition_subalgoE3EjNS0_10empty_typeEbEEZZNS1_14partition_implILS8_3ELb0ES6_jNS0_17counting_iteratorIjlEEPS9_SE_NS0_5tupleIJPjSE_EEENSF_IJSE_SE_EEES9_SG_JZNS1_25segmented_radix_sort_implINS0_14default_configELb0EPKiPiPKlPlN2at6native12_GLOBAL__N_18offset_tEEE10hipError_tPvRmT1_PNSt15iterator_traitsISY_E10value_typeET2_T3_PNSZ_IS14_E10value_typeET4_jRbjT5_S1A_jjP12ihipStream_tbEUljE_EEESV_SW_SX_S14_S18_S1A_T6_T7_T9_mT8_S1C_bDpT10_ENKUlT_T0_E_clISt17integral_constantIbLb1EES1P_EEDaS1K_S1L_EUlS1K_E_NS1_11comp_targetILNS1_3genE8ELNS1_11target_archE1030ELNS1_3gpuE2ELNS1_3repE0EEENS1_30default_config_static_selectorELNS0_4arch9wavefront6targetE0EEEvSY_
                                        ; -- End function
	.set _ZN7rocprim17ROCPRIM_400000_NS6detail17trampoline_kernelINS0_13select_configILj256ELj13ELNS0_17block_load_methodE3ELS4_3ELS4_3ELNS0_20block_scan_algorithmE0ELj4294967295EEENS1_25partition_config_selectorILNS1_17partition_subalgoE3EjNS0_10empty_typeEbEEZZNS1_14partition_implILS8_3ELb0ES6_jNS0_17counting_iteratorIjlEEPS9_SE_NS0_5tupleIJPjSE_EEENSF_IJSE_SE_EEES9_SG_JZNS1_25segmented_radix_sort_implINS0_14default_configELb0EPKiPiPKlPlN2at6native12_GLOBAL__N_18offset_tEEE10hipError_tPvRmT1_PNSt15iterator_traitsISY_E10value_typeET2_T3_PNSZ_IS14_E10value_typeET4_jRbjT5_S1A_jjP12ihipStream_tbEUljE_EEESV_SW_SX_S14_S18_S1A_T6_T7_T9_mT8_S1C_bDpT10_ENKUlT_T0_E_clISt17integral_constantIbLb1EES1P_EEDaS1K_S1L_EUlS1K_E_NS1_11comp_targetILNS1_3genE8ELNS1_11target_archE1030ELNS1_3gpuE2ELNS1_3repE0EEENS1_30default_config_static_selectorELNS0_4arch9wavefront6targetE0EEEvSY_.num_vgpr, 0
	.set _ZN7rocprim17ROCPRIM_400000_NS6detail17trampoline_kernelINS0_13select_configILj256ELj13ELNS0_17block_load_methodE3ELS4_3ELS4_3ELNS0_20block_scan_algorithmE0ELj4294967295EEENS1_25partition_config_selectorILNS1_17partition_subalgoE3EjNS0_10empty_typeEbEEZZNS1_14partition_implILS8_3ELb0ES6_jNS0_17counting_iteratorIjlEEPS9_SE_NS0_5tupleIJPjSE_EEENSF_IJSE_SE_EEES9_SG_JZNS1_25segmented_radix_sort_implINS0_14default_configELb0EPKiPiPKlPlN2at6native12_GLOBAL__N_18offset_tEEE10hipError_tPvRmT1_PNSt15iterator_traitsISY_E10value_typeET2_T3_PNSZ_IS14_E10value_typeET4_jRbjT5_S1A_jjP12ihipStream_tbEUljE_EEESV_SW_SX_S14_S18_S1A_T6_T7_T9_mT8_S1C_bDpT10_ENKUlT_T0_E_clISt17integral_constantIbLb1EES1P_EEDaS1K_S1L_EUlS1K_E_NS1_11comp_targetILNS1_3genE8ELNS1_11target_archE1030ELNS1_3gpuE2ELNS1_3repE0EEENS1_30default_config_static_selectorELNS0_4arch9wavefront6targetE0EEEvSY_.num_agpr, 0
	.set _ZN7rocprim17ROCPRIM_400000_NS6detail17trampoline_kernelINS0_13select_configILj256ELj13ELNS0_17block_load_methodE3ELS4_3ELS4_3ELNS0_20block_scan_algorithmE0ELj4294967295EEENS1_25partition_config_selectorILNS1_17partition_subalgoE3EjNS0_10empty_typeEbEEZZNS1_14partition_implILS8_3ELb0ES6_jNS0_17counting_iteratorIjlEEPS9_SE_NS0_5tupleIJPjSE_EEENSF_IJSE_SE_EEES9_SG_JZNS1_25segmented_radix_sort_implINS0_14default_configELb0EPKiPiPKlPlN2at6native12_GLOBAL__N_18offset_tEEE10hipError_tPvRmT1_PNSt15iterator_traitsISY_E10value_typeET2_T3_PNSZ_IS14_E10value_typeET4_jRbjT5_S1A_jjP12ihipStream_tbEUljE_EEESV_SW_SX_S14_S18_S1A_T6_T7_T9_mT8_S1C_bDpT10_ENKUlT_T0_E_clISt17integral_constantIbLb1EES1P_EEDaS1K_S1L_EUlS1K_E_NS1_11comp_targetILNS1_3genE8ELNS1_11target_archE1030ELNS1_3gpuE2ELNS1_3repE0EEENS1_30default_config_static_selectorELNS0_4arch9wavefront6targetE0EEEvSY_.numbered_sgpr, 0
	.set _ZN7rocprim17ROCPRIM_400000_NS6detail17trampoline_kernelINS0_13select_configILj256ELj13ELNS0_17block_load_methodE3ELS4_3ELS4_3ELNS0_20block_scan_algorithmE0ELj4294967295EEENS1_25partition_config_selectorILNS1_17partition_subalgoE3EjNS0_10empty_typeEbEEZZNS1_14partition_implILS8_3ELb0ES6_jNS0_17counting_iteratorIjlEEPS9_SE_NS0_5tupleIJPjSE_EEENSF_IJSE_SE_EEES9_SG_JZNS1_25segmented_radix_sort_implINS0_14default_configELb0EPKiPiPKlPlN2at6native12_GLOBAL__N_18offset_tEEE10hipError_tPvRmT1_PNSt15iterator_traitsISY_E10value_typeET2_T3_PNSZ_IS14_E10value_typeET4_jRbjT5_S1A_jjP12ihipStream_tbEUljE_EEESV_SW_SX_S14_S18_S1A_T6_T7_T9_mT8_S1C_bDpT10_ENKUlT_T0_E_clISt17integral_constantIbLb1EES1P_EEDaS1K_S1L_EUlS1K_E_NS1_11comp_targetILNS1_3genE8ELNS1_11target_archE1030ELNS1_3gpuE2ELNS1_3repE0EEENS1_30default_config_static_selectorELNS0_4arch9wavefront6targetE0EEEvSY_.num_named_barrier, 0
	.set _ZN7rocprim17ROCPRIM_400000_NS6detail17trampoline_kernelINS0_13select_configILj256ELj13ELNS0_17block_load_methodE3ELS4_3ELS4_3ELNS0_20block_scan_algorithmE0ELj4294967295EEENS1_25partition_config_selectorILNS1_17partition_subalgoE3EjNS0_10empty_typeEbEEZZNS1_14partition_implILS8_3ELb0ES6_jNS0_17counting_iteratorIjlEEPS9_SE_NS0_5tupleIJPjSE_EEENSF_IJSE_SE_EEES9_SG_JZNS1_25segmented_radix_sort_implINS0_14default_configELb0EPKiPiPKlPlN2at6native12_GLOBAL__N_18offset_tEEE10hipError_tPvRmT1_PNSt15iterator_traitsISY_E10value_typeET2_T3_PNSZ_IS14_E10value_typeET4_jRbjT5_S1A_jjP12ihipStream_tbEUljE_EEESV_SW_SX_S14_S18_S1A_T6_T7_T9_mT8_S1C_bDpT10_ENKUlT_T0_E_clISt17integral_constantIbLb1EES1P_EEDaS1K_S1L_EUlS1K_E_NS1_11comp_targetILNS1_3genE8ELNS1_11target_archE1030ELNS1_3gpuE2ELNS1_3repE0EEENS1_30default_config_static_selectorELNS0_4arch9wavefront6targetE0EEEvSY_.private_seg_size, 0
	.set _ZN7rocprim17ROCPRIM_400000_NS6detail17trampoline_kernelINS0_13select_configILj256ELj13ELNS0_17block_load_methodE3ELS4_3ELS4_3ELNS0_20block_scan_algorithmE0ELj4294967295EEENS1_25partition_config_selectorILNS1_17partition_subalgoE3EjNS0_10empty_typeEbEEZZNS1_14partition_implILS8_3ELb0ES6_jNS0_17counting_iteratorIjlEEPS9_SE_NS0_5tupleIJPjSE_EEENSF_IJSE_SE_EEES9_SG_JZNS1_25segmented_radix_sort_implINS0_14default_configELb0EPKiPiPKlPlN2at6native12_GLOBAL__N_18offset_tEEE10hipError_tPvRmT1_PNSt15iterator_traitsISY_E10value_typeET2_T3_PNSZ_IS14_E10value_typeET4_jRbjT5_S1A_jjP12ihipStream_tbEUljE_EEESV_SW_SX_S14_S18_S1A_T6_T7_T9_mT8_S1C_bDpT10_ENKUlT_T0_E_clISt17integral_constantIbLb1EES1P_EEDaS1K_S1L_EUlS1K_E_NS1_11comp_targetILNS1_3genE8ELNS1_11target_archE1030ELNS1_3gpuE2ELNS1_3repE0EEENS1_30default_config_static_selectorELNS0_4arch9wavefront6targetE0EEEvSY_.uses_vcc, 0
	.set _ZN7rocprim17ROCPRIM_400000_NS6detail17trampoline_kernelINS0_13select_configILj256ELj13ELNS0_17block_load_methodE3ELS4_3ELS4_3ELNS0_20block_scan_algorithmE0ELj4294967295EEENS1_25partition_config_selectorILNS1_17partition_subalgoE3EjNS0_10empty_typeEbEEZZNS1_14partition_implILS8_3ELb0ES6_jNS0_17counting_iteratorIjlEEPS9_SE_NS0_5tupleIJPjSE_EEENSF_IJSE_SE_EEES9_SG_JZNS1_25segmented_radix_sort_implINS0_14default_configELb0EPKiPiPKlPlN2at6native12_GLOBAL__N_18offset_tEEE10hipError_tPvRmT1_PNSt15iterator_traitsISY_E10value_typeET2_T3_PNSZ_IS14_E10value_typeET4_jRbjT5_S1A_jjP12ihipStream_tbEUljE_EEESV_SW_SX_S14_S18_S1A_T6_T7_T9_mT8_S1C_bDpT10_ENKUlT_T0_E_clISt17integral_constantIbLb1EES1P_EEDaS1K_S1L_EUlS1K_E_NS1_11comp_targetILNS1_3genE8ELNS1_11target_archE1030ELNS1_3gpuE2ELNS1_3repE0EEENS1_30default_config_static_selectorELNS0_4arch9wavefront6targetE0EEEvSY_.uses_flat_scratch, 0
	.set _ZN7rocprim17ROCPRIM_400000_NS6detail17trampoline_kernelINS0_13select_configILj256ELj13ELNS0_17block_load_methodE3ELS4_3ELS4_3ELNS0_20block_scan_algorithmE0ELj4294967295EEENS1_25partition_config_selectorILNS1_17partition_subalgoE3EjNS0_10empty_typeEbEEZZNS1_14partition_implILS8_3ELb0ES6_jNS0_17counting_iteratorIjlEEPS9_SE_NS0_5tupleIJPjSE_EEENSF_IJSE_SE_EEES9_SG_JZNS1_25segmented_radix_sort_implINS0_14default_configELb0EPKiPiPKlPlN2at6native12_GLOBAL__N_18offset_tEEE10hipError_tPvRmT1_PNSt15iterator_traitsISY_E10value_typeET2_T3_PNSZ_IS14_E10value_typeET4_jRbjT5_S1A_jjP12ihipStream_tbEUljE_EEESV_SW_SX_S14_S18_S1A_T6_T7_T9_mT8_S1C_bDpT10_ENKUlT_T0_E_clISt17integral_constantIbLb1EES1P_EEDaS1K_S1L_EUlS1K_E_NS1_11comp_targetILNS1_3genE8ELNS1_11target_archE1030ELNS1_3gpuE2ELNS1_3repE0EEENS1_30default_config_static_selectorELNS0_4arch9wavefront6targetE0EEEvSY_.has_dyn_sized_stack, 0
	.set _ZN7rocprim17ROCPRIM_400000_NS6detail17trampoline_kernelINS0_13select_configILj256ELj13ELNS0_17block_load_methodE3ELS4_3ELS4_3ELNS0_20block_scan_algorithmE0ELj4294967295EEENS1_25partition_config_selectorILNS1_17partition_subalgoE3EjNS0_10empty_typeEbEEZZNS1_14partition_implILS8_3ELb0ES6_jNS0_17counting_iteratorIjlEEPS9_SE_NS0_5tupleIJPjSE_EEENSF_IJSE_SE_EEES9_SG_JZNS1_25segmented_radix_sort_implINS0_14default_configELb0EPKiPiPKlPlN2at6native12_GLOBAL__N_18offset_tEEE10hipError_tPvRmT1_PNSt15iterator_traitsISY_E10value_typeET2_T3_PNSZ_IS14_E10value_typeET4_jRbjT5_S1A_jjP12ihipStream_tbEUljE_EEESV_SW_SX_S14_S18_S1A_T6_T7_T9_mT8_S1C_bDpT10_ENKUlT_T0_E_clISt17integral_constantIbLb1EES1P_EEDaS1K_S1L_EUlS1K_E_NS1_11comp_targetILNS1_3genE8ELNS1_11target_archE1030ELNS1_3gpuE2ELNS1_3repE0EEENS1_30default_config_static_selectorELNS0_4arch9wavefront6targetE0EEEvSY_.has_recursion, 0
	.set _ZN7rocprim17ROCPRIM_400000_NS6detail17trampoline_kernelINS0_13select_configILj256ELj13ELNS0_17block_load_methodE3ELS4_3ELS4_3ELNS0_20block_scan_algorithmE0ELj4294967295EEENS1_25partition_config_selectorILNS1_17partition_subalgoE3EjNS0_10empty_typeEbEEZZNS1_14partition_implILS8_3ELb0ES6_jNS0_17counting_iteratorIjlEEPS9_SE_NS0_5tupleIJPjSE_EEENSF_IJSE_SE_EEES9_SG_JZNS1_25segmented_radix_sort_implINS0_14default_configELb0EPKiPiPKlPlN2at6native12_GLOBAL__N_18offset_tEEE10hipError_tPvRmT1_PNSt15iterator_traitsISY_E10value_typeET2_T3_PNSZ_IS14_E10value_typeET4_jRbjT5_S1A_jjP12ihipStream_tbEUljE_EEESV_SW_SX_S14_S18_S1A_T6_T7_T9_mT8_S1C_bDpT10_ENKUlT_T0_E_clISt17integral_constantIbLb1EES1P_EEDaS1K_S1L_EUlS1K_E_NS1_11comp_targetILNS1_3genE8ELNS1_11target_archE1030ELNS1_3gpuE2ELNS1_3repE0EEENS1_30default_config_static_selectorELNS0_4arch9wavefront6targetE0EEEvSY_.has_indirect_call, 0
	.section	.AMDGPU.csdata,"",@progbits
; Kernel info:
; codeLenInByte = 4
; TotalNumSgprs: 0
; NumVgprs: 0
; ScratchSize: 0
; MemoryBound: 0
; FloatMode: 240
; IeeeMode: 1
; LDSByteSize: 0 bytes/workgroup (compile time only)
; SGPRBlocks: 0
; VGPRBlocks: 0
; NumSGPRsForWavesPerEU: 1
; NumVGPRsForWavesPerEU: 1
; Occupancy: 16
; WaveLimiterHint : 0
; COMPUTE_PGM_RSRC2:SCRATCH_EN: 0
; COMPUTE_PGM_RSRC2:USER_SGPR: 6
; COMPUTE_PGM_RSRC2:TRAP_HANDLER: 0
; COMPUTE_PGM_RSRC2:TGID_X_EN: 1
; COMPUTE_PGM_RSRC2:TGID_Y_EN: 0
; COMPUTE_PGM_RSRC2:TGID_Z_EN: 0
; COMPUTE_PGM_RSRC2:TIDIG_COMP_CNT: 0
	.section	.text._ZN7rocprim17ROCPRIM_400000_NS6detail17trampoline_kernelINS0_13select_configILj256ELj13ELNS0_17block_load_methodE3ELS4_3ELS4_3ELNS0_20block_scan_algorithmE0ELj4294967295EEENS1_25partition_config_selectorILNS1_17partition_subalgoE3EjNS0_10empty_typeEbEEZZNS1_14partition_implILS8_3ELb0ES6_jNS0_17counting_iteratorIjlEEPS9_SE_NS0_5tupleIJPjSE_EEENSF_IJSE_SE_EEES9_SG_JZNS1_25segmented_radix_sort_implINS0_14default_configELb0EPKiPiPKlPlN2at6native12_GLOBAL__N_18offset_tEEE10hipError_tPvRmT1_PNSt15iterator_traitsISY_E10value_typeET2_T3_PNSZ_IS14_E10value_typeET4_jRbjT5_S1A_jjP12ihipStream_tbEUljE_EEESV_SW_SX_S14_S18_S1A_T6_T7_T9_mT8_S1C_bDpT10_ENKUlT_T0_E_clISt17integral_constantIbLb1EES1O_IbLb0EEEEDaS1K_S1L_EUlS1K_E_NS1_11comp_targetILNS1_3genE0ELNS1_11target_archE4294967295ELNS1_3gpuE0ELNS1_3repE0EEENS1_30default_config_static_selectorELNS0_4arch9wavefront6targetE0EEEvSY_,"axG",@progbits,_ZN7rocprim17ROCPRIM_400000_NS6detail17trampoline_kernelINS0_13select_configILj256ELj13ELNS0_17block_load_methodE3ELS4_3ELS4_3ELNS0_20block_scan_algorithmE0ELj4294967295EEENS1_25partition_config_selectorILNS1_17partition_subalgoE3EjNS0_10empty_typeEbEEZZNS1_14partition_implILS8_3ELb0ES6_jNS0_17counting_iteratorIjlEEPS9_SE_NS0_5tupleIJPjSE_EEENSF_IJSE_SE_EEES9_SG_JZNS1_25segmented_radix_sort_implINS0_14default_configELb0EPKiPiPKlPlN2at6native12_GLOBAL__N_18offset_tEEE10hipError_tPvRmT1_PNSt15iterator_traitsISY_E10value_typeET2_T3_PNSZ_IS14_E10value_typeET4_jRbjT5_S1A_jjP12ihipStream_tbEUljE_EEESV_SW_SX_S14_S18_S1A_T6_T7_T9_mT8_S1C_bDpT10_ENKUlT_T0_E_clISt17integral_constantIbLb1EES1O_IbLb0EEEEDaS1K_S1L_EUlS1K_E_NS1_11comp_targetILNS1_3genE0ELNS1_11target_archE4294967295ELNS1_3gpuE0ELNS1_3repE0EEENS1_30default_config_static_selectorELNS0_4arch9wavefront6targetE0EEEvSY_,comdat
	.globl	_ZN7rocprim17ROCPRIM_400000_NS6detail17trampoline_kernelINS0_13select_configILj256ELj13ELNS0_17block_load_methodE3ELS4_3ELS4_3ELNS0_20block_scan_algorithmE0ELj4294967295EEENS1_25partition_config_selectorILNS1_17partition_subalgoE3EjNS0_10empty_typeEbEEZZNS1_14partition_implILS8_3ELb0ES6_jNS0_17counting_iteratorIjlEEPS9_SE_NS0_5tupleIJPjSE_EEENSF_IJSE_SE_EEES9_SG_JZNS1_25segmented_radix_sort_implINS0_14default_configELb0EPKiPiPKlPlN2at6native12_GLOBAL__N_18offset_tEEE10hipError_tPvRmT1_PNSt15iterator_traitsISY_E10value_typeET2_T3_PNSZ_IS14_E10value_typeET4_jRbjT5_S1A_jjP12ihipStream_tbEUljE_EEESV_SW_SX_S14_S18_S1A_T6_T7_T9_mT8_S1C_bDpT10_ENKUlT_T0_E_clISt17integral_constantIbLb1EES1O_IbLb0EEEEDaS1K_S1L_EUlS1K_E_NS1_11comp_targetILNS1_3genE0ELNS1_11target_archE4294967295ELNS1_3gpuE0ELNS1_3repE0EEENS1_30default_config_static_selectorELNS0_4arch9wavefront6targetE0EEEvSY_ ; -- Begin function _ZN7rocprim17ROCPRIM_400000_NS6detail17trampoline_kernelINS0_13select_configILj256ELj13ELNS0_17block_load_methodE3ELS4_3ELS4_3ELNS0_20block_scan_algorithmE0ELj4294967295EEENS1_25partition_config_selectorILNS1_17partition_subalgoE3EjNS0_10empty_typeEbEEZZNS1_14partition_implILS8_3ELb0ES6_jNS0_17counting_iteratorIjlEEPS9_SE_NS0_5tupleIJPjSE_EEENSF_IJSE_SE_EEES9_SG_JZNS1_25segmented_radix_sort_implINS0_14default_configELb0EPKiPiPKlPlN2at6native12_GLOBAL__N_18offset_tEEE10hipError_tPvRmT1_PNSt15iterator_traitsISY_E10value_typeET2_T3_PNSZ_IS14_E10value_typeET4_jRbjT5_S1A_jjP12ihipStream_tbEUljE_EEESV_SW_SX_S14_S18_S1A_T6_T7_T9_mT8_S1C_bDpT10_ENKUlT_T0_E_clISt17integral_constantIbLb1EES1O_IbLb0EEEEDaS1K_S1L_EUlS1K_E_NS1_11comp_targetILNS1_3genE0ELNS1_11target_archE4294967295ELNS1_3gpuE0ELNS1_3repE0EEENS1_30default_config_static_selectorELNS0_4arch9wavefront6targetE0EEEvSY_
	.p2align	8
	.type	_ZN7rocprim17ROCPRIM_400000_NS6detail17trampoline_kernelINS0_13select_configILj256ELj13ELNS0_17block_load_methodE3ELS4_3ELS4_3ELNS0_20block_scan_algorithmE0ELj4294967295EEENS1_25partition_config_selectorILNS1_17partition_subalgoE3EjNS0_10empty_typeEbEEZZNS1_14partition_implILS8_3ELb0ES6_jNS0_17counting_iteratorIjlEEPS9_SE_NS0_5tupleIJPjSE_EEENSF_IJSE_SE_EEES9_SG_JZNS1_25segmented_radix_sort_implINS0_14default_configELb0EPKiPiPKlPlN2at6native12_GLOBAL__N_18offset_tEEE10hipError_tPvRmT1_PNSt15iterator_traitsISY_E10value_typeET2_T3_PNSZ_IS14_E10value_typeET4_jRbjT5_S1A_jjP12ihipStream_tbEUljE_EEESV_SW_SX_S14_S18_S1A_T6_T7_T9_mT8_S1C_bDpT10_ENKUlT_T0_E_clISt17integral_constantIbLb1EES1O_IbLb0EEEEDaS1K_S1L_EUlS1K_E_NS1_11comp_targetILNS1_3genE0ELNS1_11target_archE4294967295ELNS1_3gpuE0ELNS1_3repE0EEENS1_30default_config_static_selectorELNS0_4arch9wavefront6targetE0EEEvSY_,@function
_ZN7rocprim17ROCPRIM_400000_NS6detail17trampoline_kernelINS0_13select_configILj256ELj13ELNS0_17block_load_methodE3ELS4_3ELS4_3ELNS0_20block_scan_algorithmE0ELj4294967295EEENS1_25partition_config_selectorILNS1_17partition_subalgoE3EjNS0_10empty_typeEbEEZZNS1_14partition_implILS8_3ELb0ES6_jNS0_17counting_iteratorIjlEEPS9_SE_NS0_5tupleIJPjSE_EEENSF_IJSE_SE_EEES9_SG_JZNS1_25segmented_radix_sort_implINS0_14default_configELb0EPKiPiPKlPlN2at6native12_GLOBAL__N_18offset_tEEE10hipError_tPvRmT1_PNSt15iterator_traitsISY_E10value_typeET2_T3_PNSZ_IS14_E10value_typeET4_jRbjT5_S1A_jjP12ihipStream_tbEUljE_EEESV_SW_SX_S14_S18_S1A_T6_T7_T9_mT8_S1C_bDpT10_ENKUlT_T0_E_clISt17integral_constantIbLb1EES1O_IbLb0EEEEDaS1K_S1L_EUlS1K_E_NS1_11comp_targetILNS1_3genE0ELNS1_11target_archE4294967295ELNS1_3gpuE0ELNS1_3repE0EEENS1_30default_config_static_selectorELNS0_4arch9wavefront6targetE0EEEvSY_: ; @_ZN7rocprim17ROCPRIM_400000_NS6detail17trampoline_kernelINS0_13select_configILj256ELj13ELNS0_17block_load_methodE3ELS4_3ELS4_3ELNS0_20block_scan_algorithmE0ELj4294967295EEENS1_25partition_config_selectorILNS1_17partition_subalgoE3EjNS0_10empty_typeEbEEZZNS1_14partition_implILS8_3ELb0ES6_jNS0_17counting_iteratorIjlEEPS9_SE_NS0_5tupleIJPjSE_EEENSF_IJSE_SE_EEES9_SG_JZNS1_25segmented_radix_sort_implINS0_14default_configELb0EPKiPiPKlPlN2at6native12_GLOBAL__N_18offset_tEEE10hipError_tPvRmT1_PNSt15iterator_traitsISY_E10value_typeET2_T3_PNSZ_IS14_E10value_typeET4_jRbjT5_S1A_jjP12ihipStream_tbEUljE_EEESV_SW_SX_S14_S18_S1A_T6_T7_T9_mT8_S1C_bDpT10_ENKUlT_T0_E_clISt17integral_constantIbLb1EES1O_IbLb0EEEEDaS1K_S1L_EUlS1K_E_NS1_11comp_targetILNS1_3genE0ELNS1_11target_archE4294967295ELNS1_3gpuE0ELNS1_3repE0EEENS1_30default_config_static_selectorELNS0_4arch9wavefront6targetE0EEEvSY_
; %bb.0:
	.section	.rodata,"a",@progbits
	.p2align	6, 0x0
	.amdhsa_kernel _ZN7rocprim17ROCPRIM_400000_NS6detail17trampoline_kernelINS0_13select_configILj256ELj13ELNS0_17block_load_methodE3ELS4_3ELS4_3ELNS0_20block_scan_algorithmE0ELj4294967295EEENS1_25partition_config_selectorILNS1_17partition_subalgoE3EjNS0_10empty_typeEbEEZZNS1_14partition_implILS8_3ELb0ES6_jNS0_17counting_iteratorIjlEEPS9_SE_NS0_5tupleIJPjSE_EEENSF_IJSE_SE_EEES9_SG_JZNS1_25segmented_radix_sort_implINS0_14default_configELb0EPKiPiPKlPlN2at6native12_GLOBAL__N_18offset_tEEE10hipError_tPvRmT1_PNSt15iterator_traitsISY_E10value_typeET2_T3_PNSZ_IS14_E10value_typeET4_jRbjT5_S1A_jjP12ihipStream_tbEUljE_EEESV_SW_SX_S14_S18_S1A_T6_T7_T9_mT8_S1C_bDpT10_ENKUlT_T0_E_clISt17integral_constantIbLb1EES1O_IbLb0EEEEDaS1K_S1L_EUlS1K_E_NS1_11comp_targetILNS1_3genE0ELNS1_11target_archE4294967295ELNS1_3gpuE0ELNS1_3repE0EEENS1_30default_config_static_selectorELNS0_4arch9wavefront6targetE0EEEvSY_
		.amdhsa_group_segment_fixed_size 0
		.amdhsa_private_segment_fixed_size 0
		.amdhsa_kernarg_size 144
		.amdhsa_user_sgpr_count 6
		.amdhsa_user_sgpr_private_segment_buffer 1
		.amdhsa_user_sgpr_dispatch_ptr 0
		.amdhsa_user_sgpr_queue_ptr 0
		.amdhsa_user_sgpr_kernarg_segment_ptr 1
		.amdhsa_user_sgpr_dispatch_id 0
		.amdhsa_user_sgpr_flat_scratch_init 0
		.amdhsa_user_sgpr_private_segment_size 0
		.amdhsa_wavefront_size32 1
		.amdhsa_uses_dynamic_stack 0
		.amdhsa_system_sgpr_private_segment_wavefront_offset 0
		.amdhsa_system_sgpr_workgroup_id_x 1
		.amdhsa_system_sgpr_workgroup_id_y 0
		.amdhsa_system_sgpr_workgroup_id_z 0
		.amdhsa_system_sgpr_workgroup_info 0
		.amdhsa_system_vgpr_workitem_id 0
		.amdhsa_next_free_vgpr 1
		.amdhsa_next_free_sgpr 1
		.amdhsa_reserve_vcc 0
		.amdhsa_reserve_flat_scratch 0
		.amdhsa_float_round_mode_32 0
		.amdhsa_float_round_mode_16_64 0
		.amdhsa_float_denorm_mode_32 3
		.amdhsa_float_denorm_mode_16_64 3
		.amdhsa_dx10_clamp 1
		.amdhsa_ieee_mode 1
		.amdhsa_fp16_overflow 0
		.amdhsa_workgroup_processor_mode 1
		.amdhsa_memory_ordered 1
		.amdhsa_forward_progress 1
		.amdhsa_shared_vgpr_count 0
		.amdhsa_exception_fp_ieee_invalid_op 0
		.amdhsa_exception_fp_denorm_src 0
		.amdhsa_exception_fp_ieee_div_zero 0
		.amdhsa_exception_fp_ieee_overflow 0
		.amdhsa_exception_fp_ieee_underflow 0
		.amdhsa_exception_fp_ieee_inexact 0
		.amdhsa_exception_int_div_zero 0
	.end_amdhsa_kernel
	.section	.text._ZN7rocprim17ROCPRIM_400000_NS6detail17trampoline_kernelINS0_13select_configILj256ELj13ELNS0_17block_load_methodE3ELS4_3ELS4_3ELNS0_20block_scan_algorithmE0ELj4294967295EEENS1_25partition_config_selectorILNS1_17partition_subalgoE3EjNS0_10empty_typeEbEEZZNS1_14partition_implILS8_3ELb0ES6_jNS0_17counting_iteratorIjlEEPS9_SE_NS0_5tupleIJPjSE_EEENSF_IJSE_SE_EEES9_SG_JZNS1_25segmented_radix_sort_implINS0_14default_configELb0EPKiPiPKlPlN2at6native12_GLOBAL__N_18offset_tEEE10hipError_tPvRmT1_PNSt15iterator_traitsISY_E10value_typeET2_T3_PNSZ_IS14_E10value_typeET4_jRbjT5_S1A_jjP12ihipStream_tbEUljE_EEESV_SW_SX_S14_S18_S1A_T6_T7_T9_mT8_S1C_bDpT10_ENKUlT_T0_E_clISt17integral_constantIbLb1EES1O_IbLb0EEEEDaS1K_S1L_EUlS1K_E_NS1_11comp_targetILNS1_3genE0ELNS1_11target_archE4294967295ELNS1_3gpuE0ELNS1_3repE0EEENS1_30default_config_static_selectorELNS0_4arch9wavefront6targetE0EEEvSY_,"axG",@progbits,_ZN7rocprim17ROCPRIM_400000_NS6detail17trampoline_kernelINS0_13select_configILj256ELj13ELNS0_17block_load_methodE3ELS4_3ELS4_3ELNS0_20block_scan_algorithmE0ELj4294967295EEENS1_25partition_config_selectorILNS1_17partition_subalgoE3EjNS0_10empty_typeEbEEZZNS1_14partition_implILS8_3ELb0ES6_jNS0_17counting_iteratorIjlEEPS9_SE_NS0_5tupleIJPjSE_EEENSF_IJSE_SE_EEES9_SG_JZNS1_25segmented_radix_sort_implINS0_14default_configELb0EPKiPiPKlPlN2at6native12_GLOBAL__N_18offset_tEEE10hipError_tPvRmT1_PNSt15iterator_traitsISY_E10value_typeET2_T3_PNSZ_IS14_E10value_typeET4_jRbjT5_S1A_jjP12ihipStream_tbEUljE_EEESV_SW_SX_S14_S18_S1A_T6_T7_T9_mT8_S1C_bDpT10_ENKUlT_T0_E_clISt17integral_constantIbLb1EES1O_IbLb0EEEEDaS1K_S1L_EUlS1K_E_NS1_11comp_targetILNS1_3genE0ELNS1_11target_archE4294967295ELNS1_3gpuE0ELNS1_3repE0EEENS1_30default_config_static_selectorELNS0_4arch9wavefront6targetE0EEEvSY_,comdat
.Lfunc_end579:
	.size	_ZN7rocprim17ROCPRIM_400000_NS6detail17trampoline_kernelINS0_13select_configILj256ELj13ELNS0_17block_load_methodE3ELS4_3ELS4_3ELNS0_20block_scan_algorithmE0ELj4294967295EEENS1_25partition_config_selectorILNS1_17partition_subalgoE3EjNS0_10empty_typeEbEEZZNS1_14partition_implILS8_3ELb0ES6_jNS0_17counting_iteratorIjlEEPS9_SE_NS0_5tupleIJPjSE_EEENSF_IJSE_SE_EEES9_SG_JZNS1_25segmented_radix_sort_implINS0_14default_configELb0EPKiPiPKlPlN2at6native12_GLOBAL__N_18offset_tEEE10hipError_tPvRmT1_PNSt15iterator_traitsISY_E10value_typeET2_T3_PNSZ_IS14_E10value_typeET4_jRbjT5_S1A_jjP12ihipStream_tbEUljE_EEESV_SW_SX_S14_S18_S1A_T6_T7_T9_mT8_S1C_bDpT10_ENKUlT_T0_E_clISt17integral_constantIbLb1EES1O_IbLb0EEEEDaS1K_S1L_EUlS1K_E_NS1_11comp_targetILNS1_3genE0ELNS1_11target_archE4294967295ELNS1_3gpuE0ELNS1_3repE0EEENS1_30default_config_static_selectorELNS0_4arch9wavefront6targetE0EEEvSY_, .Lfunc_end579-_ZN7rocprim17ROCPRIM_400000_NS6detail17trampoline_kernelINS0_13select_configILj256ELj13ELNS0_17block_load_methodE3ELS4_3ELS4_3ELNS0_20block_scan_algorithmE0ELj4294967295EEENS1_25partition_config_selectorILNS1_17partition_subalgoE3EjNS0_10empty_typeEbEEZZNS1_14partition_implILS8_3ELb0ES6_jNS0_17counting_iteratorIjlEEPS9_SE_NS0_5tupleIJPjSE_EEENSF_IJSE_SE_EEES9_SG_JZNS1_25segmented_radix_sort_implINS0_14default_configELb0EPKiPiPKlPlN2at6native12_GLOBAL__N_18offset_tEEE10hipError_tPvRmT1_PNSt15iterator_traitsISY_E10value_typeET2_T3_PNSZ_IS14_E10value_typeET4_jRbjT5_S1A_jjP12ihipStream_tbEUljE_EEESV_SW_SX_S14_S18_S1A_T6_T7_T9_mT8_S1C_bDpT10_ENKUlT_T0_E_clISt17integral_constantIbLb1EES1O_IbLb0EEEEDaS1K_S1L_EUlS1K_E_NS1_11comp_targetILNS1_3genE0ELNS1_11target_archE4294967295ELNS1_3gpuE0ELNS1_3repE0EEENS1_30default_config_static_selectorELNS0_4arch9wavefront6targetE0EEEvSY_
                                        ; -- End function
	.set _ZN7rocprim17ROCPRIM_400000_NS6detail17trampoline_kernelINS0_13select_configILj256ELj13ELNS0_17block_load_methodE3ELS4_3ELS4_3ELNS0_20block_scan_algorithmE0ELj4294967295EEENS1_25partition_config_selectorILNS1_17partition_subalgoE3EjNS0_10empty_typeEbEEZZNS1_14partition_implILS8_3ELb0ES6_jNS0_17counting_iteratorIjlEEPS9_SE_NS0_5tupleIJPjSE_EEENSF_IJSE_SE_EEES9_SG_JZNS1_25segmented_radix_sort_implINS0_14default_configELb0EPKiPiPKlPlN2at6native12_GLOBAL__N_18offset_tEEE10hipError_tPvRmT1_PNSt15iterator_traitsISY_E10value_typeET2_T3_PNSZ_IS14_E10value_typeET4_jRbjT5_S1A_jjP12ihipStream_tbEUljE_EEESV_SW_SX_S14_S18_S1A_T6_T7_T9_mT8_S1C_bDpT10_ENKUlT_T0_E_clISt17integral_constantIbLb1EES1O_IbLb0EEEEDaS1K_S1L_EUlS1K_E_NS1_11comp_targetILNS1_3genE0ELNS1_11target_archE4294967295ELNS1_3gpuE0ELNS1_3repE0EEENS1_30default_config_static_selectorELNS0_4arch9wavefront6targetE0EEEvSY_.num_vgpr, 0
	.set _ZN7rocprim17ROCPRIM_400000_NS6detail17trampoline_kernelINS0_13select_configILj256ELj13ELNS0_17block_load_methodE3ELS4_3ELS4_3ELNS0_20block_scan_algorithmE0ELj4294967295EEENS1_25partition_config_selectorILNS1_17partition_subalgoE3EjNS0_10empty_typeEbEEZZNS1_14partition_implILS8_3ELb0ES6_jNS0_17counting_iteratorIjlEEPS9_SE_NS0_5tupleIJPjSE_EEENSF_IJSE_SE_EEES9_SG_JZNS1_25segmented_radix_sort_implINS0_14default_configELb0EPKiPiPKlPlN2at6native12_GLOBAL__N_18offset_tEEE10hipError_tPvRmT1_PNSt15iterator_traitsISY_E10value_typeET2_T3_PNSZ_IS14_E10value_typeET4_jRbjT5_S1A_jjP12ihipStream_tbEUljE_EEESV_SW_SX_S14_S18_S1A_T6_T7_T9_mT8_S1C_bDpT10_ENKUlT_T0_E_clISt17integral_constantIbLb1EES1O_IbLb0EEEEDaS1K_S1L_EUlS1K_E_NS1_11comp_targetILNS1_3genE0ELNS1_11target_archE4294967295ELNS1_3gpuE0ELNS1_3repE0EEENS1_30default_config_static_selectorELNS0_4arch9wavefront6targetE0EEEvSY_.num_agpr, 0
	.set _ZN7rocprim17ROCPRIM_400000_NS6detail17trampoline_kernelINS0_13select_configILj256ELj13ELNS0_17block_load_methodE3ELS4_3ELS4_3ELNS0_20block_scan_algorithmE0ELj4294967295EEENS1_25partition_config_selectorILNS1_17partition_subalgoE3EjNS0_10empty_typeEbEEZZNS1_14partition_implILS8_3ELb0ES6_jNS0_17counting_iteratorIjlEEPS9_SE_NS0_5tupleIJPjSE_EEENSF_IJSE_SE_EEES9_SG_JZNS1_25segmented_radix_sort_implINS0_14default_configELb0EPKiPiPKlPlN2at6native12_GLOBAL__N_18offset_tEEE10hipError_tPvRmT1_PNSt15iterator_traitsISY_E10value_typeET2_T3_PNSZ_IS14_E10value_typeET4_jRbjT5_S1A_jjP12ihipStream_tbEUljE_EEESV_SW_SX_S14_S18_S1A_T6_T7_T9_mT8_S1C_bDpT10_ENKUlT_T0_E_clISt17integral_constantIbLb1EES1O_IbLb0EEEEDaS1K_S1L_EUlS1K_E_NS1_11comp_targetILNS1_3genE0ELNS1_11target_archE4294967295ELNS1_3gpuE0ELNS1_3repE0EEENS1_30default_config_static_selectorELNS0_4arch9wavefront6targetE0EEEvSY_.numbered_sgpr, 0
	.set _ZN7rocprim17ROCPRIM_400000_NS6detail17trampoline_kernelINS0_13select_configILj256ELj13ELNS0_17block_load_methodE3ELS4_3ELS4_3ELNS0_20block_scan_algorithmE0ELj4294967295EEENS1_25partition_config_selectorILNS1_17partition_subalgoE3EjNS0_10empty_typeEbEEZZNS1_14partition_implILS8_3ELb0ES6_jNS0_17counting_iteratorIjlEEPS9_SE_NS0_5tupleIJPjSE_EEENSF_IJSE_SE_EEES9_SG_JZNS1_25segmented_radix_sort_implINS0_14default_configELb0EPKiPiPKlPlN2at6native12_GLOBAL__N_18offset_tEEE10hipError_tPvRmT1_PNSt15iterator_traitsISY_E10value_typeET2_T3_PNSZ_IS14_E10value_typeET4_jRbjT5_S1A_jjP12ihipStream_tbEUljE_EEESV_SW_SX_S14_S18_S1A_T6_T7_T9_mT8_S1C_bDpT10_ENKUlT_T0_E_clISt17integral_constantIbLb1EES1O_IbLb0EEEEDaS1K_S1L_EUlS1K_E_NS1_11comp_targetILNS1_3genE0ELNS1_11target_archE4294967295ELNS1_3gpuE0ELNS1_3repE0EEENS1_30default_config_static_selectorELNS0_4arch9wavefront6targetE0EEEvSY_.num_named_barrier, 0
	.set _ZN7rocprim17ROCPRIM_400000_NS6detail17trampoline_kernelINS0_13select_configILj256ELj13ELNS0_17block_load_methodE3ELS4_3ELS4_3ELNS0_20block_scan_algorithmE0ELj4294967295EEENS1_25partition_config_selectorILNS1_17partition_subalgoE3EjNS0_10empty_typeEbEEZZNS1_14partition_implILS8_3ELb0ES6_jNS0_17counting_iteratorIjlEEPS9_SE_NS0_5tupleIJPjSE_EEENSF_IJSE_SE_EEES9_SG_JZNS1_25segmented_radix_sort_implINS0_14default_configELb0EPKiPiPKlPlN2at6native12_GLOBAL__N_18offset_tEEE10hipError_tPvRmT1_PNSt15iterator_traitsISY_E10value_typeET2_T3_PNSZ_IS14_E10value_typeET4_jRbjT5_S1A_jjP12ihipStream_tbEUljE_EEESV_SW_SX_S14_S18_S1A_T6_T7_T9_mT8_S1C_bDpT10_ENKUlT_T0_E_clISt17integral_constantIbLb1EES1O_IbLb0EEEEDaS1K_S1L_EUlS1K_E_NS1_11comp_targetILNS1_3genE0ELNS1_11target_archE4294967295ELNS1_3gpuE0ELNS1_3repE0EEENS1_30default_config_static_selectorELNS0_4arch9wavefront6targetE0EEEvSY_.private_seg_size, 0
	.set _ZN7rocprim17ROCPRIM_400000_NS6detail17trampoline_kernelINS0_13select_configILj256ELj13ELNS0_17block_load_methodE3ELS4_3ELS4_3ELNS0_20block_scan_algorithmE0ELj4294967295EEENS1_25partition_config_selectorILNS1_17partition_subalgoE3EjNS0_10empty_typeEbEEZZNS1_14partition_implILS8_3ELb0ES6_jNS0_17counting_iteratorIjlEEPS9_SE_NS0_5tupleIJPjSE_EEENSF_IJSE_SE_EEES9_SG_JZNS1_25segmented_radix_sort_implINS0_14default_configELb0EPKiPiPKlPlN2at6native12_GLOBAL__N_18offset_tEEE10hipError_tPvRmT1_PNSt15iterator_traitsISY_E10value_typeET2_T3_PNSZ_IS14_E10value_typeET4_jRbjT5_S1A_jjP12ihipStream_tbEUljE_EEESV_SW_SX_S14_S18_S1A_T6_T7_T9_mT8_S1C_bDpT10_ENKUlT_T0_E_clISt17integral_constantIbLb1EES1O_IbLb0EEEEDaS1K_S1L_EUlS1K_E_NS1_11comp_targetILNS1_3genE0ELNS1_11target_archE4294967295ELNS1_3gpuE0ELNS1_3repE0EEENS1_30default_config_static_selectorELNS0_4arch9wavefront6targetE0EEEvSY_.uses_vcc, 0
	.set _ZN7rocprim17ROCPRIM_400000_NS6detail17trampoline_kernelINS0_13select_configILj256ELj13ELNS0_17block_load_methodE3ELS4_3ELS4_3ELNS0_20block_scan_algorithmE0ELj4294967295EEENS1_25partition_config_selectorILNS1_17partition_subalgoE3EjNS0_10empty_typeEbEEZZNS1_14partition_implILS8_3ELb0ES6_jNS0_17counting_iteratorIjlEEPS9_SE_NS0_5tupleIJPjSE_EEENSF_IJSE_SE_EEES9_SG_JZNS1_25segmented_radix_sort_implINS0_14default_configELb0EPKiPiPKlPlN2at6native12_GLOBAL__N_18offset_tEEE10hipError_tPvRmT1_PNSt15iterator_traitsISY_E10value_typeET2_T3_PNSZ_IS14_E10value_typeET4_jRbjT5_S1A_jjP12ihipStream_tbEUljE_EEESV_SW_SX_S14_S18_S1A_T6_T7_T9_mT8_S1C_bDpT10_ENKUlT_T0_E_clISt17integral_constantIbLb1EES1O_IbLb0EEEEDaS1K_S1L_EUlS1K_E_NS1_11comp_targetILNS1_3genE0ELNS1_11target_archE4294967295ELNS1_3gpuE0ELNS1_3repE0EEENS1_30default_config_static_selectorELNS0_4arch9wavefront6targetE0EEEvSY_.uses_flat_scratch, 0
	.set _ZN7rocprim17ROCPRIM_400000_NS6detail17trampoline_kernelINS0_13select_configILj256ELj13ELNS0_17block_load_methodE3ELS4_3ELS4_3ELNS0_20block_scan_algorithmE0ELj4294967295EEENS1_25partition_config_selectorILNS1_17partition_subalgoE3EjNS0_10empty_typeEbEEZZNS1_14partition_implILS8_3ELb0ES6_jNS0_17counting_iteratorIjlEEPS9_SE_NS0_5tupleIJPjSE_EEENSF_IJSE_SE_EEES9_SG_JZNS1_25segmented_radix_sort_implINS0_14default_configELb0EPKiPiPKlPlN2at6native12_GLOBAL__N_18offset_tEEE10hipError_tPvRmT1_PNSt15iterator_traitsISY_E10value_typeET2_T3_PNSZ_IS14_E10value_typeET4_jRbjT5_S1A_jjP12ihipStream_tbEUljE_EEESV_SW_SX_S14_S18_S1A_T6_T7_T9_mT8_S1C_bDpT10_ENKUlT_T0_E_clISt17integral_constantIbLb1EES1O_IbLb0EEEEDaS1K_S1L_EUlS1K_E_NS1_11comp_targetILNS1_3genE0ELNS1_11target_archE4294967295ELNS1_3gpuE0ELNS1_3repE0EEENS1_30default_config_static_selectorELNS0_4arch9wavefront6targetE0EEEvSY_.has_dyn_sized_stack, 0
	.set _ZN7rocprim17ROCPRIM_400000_NS6detail17trampoline_kernelINS0_13select_configILj256ELj13ELNS0_17block_load_methodE3ELS4_3ELS4_3ELNS0_20block_scan_algorithmE0ELj4294967295EEENS1_25partition_config_selectorILNS1_17partition_subalgoE3EjNS0_10empty_typeEbEEZZNS1_14partition_implILS8_3ELb0ES6_jNS0_17counting_iteratorIjlEEPS9_SE_NS0_5tupleIJPjSE_EEENSF_IJSE_SE_EEES9_SG_JZNS1_25segmented_radix_sort_implINS0_14default_configELb0EPKiPiPKlPlN2at6native12_GLOBAL__N_18offset_tEEE10hipError_tPvRmT1_PNSt15iterator_traitsISY_E10value_typeET2_T3_PNSZ_IS14_E10value_typeET4_jRbjT5_S1A_jjP12ihipStream_tbEUljE_EEESV_SW_SX_S14_S18_S1A_T6_T7_T9_mT8_S1C_bDpT10_ENKUlT_T0_E_clISt17integral_constantIbLb1EES1O_IbLb0EEEEDaS1K_S1L_EUlS1K_E_NS1_11comp_targetILNS1_3genE0ELNS1_11target_archE4294967295ELNS1_3gpuE0ELNS1_3repE0EEENS1_30default_config_static_selectorELNS0_4arch9wavefront6targetE0EEEvSY_.has_recursion, 0
	.set _ZN7rocprim17ROCPRIM_400000_NS6detail17trampoline_kernelINS0_13select_configILj256ELj13ELNS0_17block_load_methodE3ELS4_3ELS4_3ELNS0_20block_scan_algorithmE0ELj4294967295EEENS1_25partition_config_selectorILNS1_17partition_subalgoE3EjNS0_10empty_typeEbEEZZNS1_14partition_implILS8_3ELb0ES6_jNS0_17counting_iteratorIjlEEPS9_SE_NS0_5tupleIJPjSE_EEENSF_IJSE_SE_EEES9_SG_JZNS1_25segmented_radix_sort_implINS0_14default_configELb0EPKiPiPKlPlN2at6native12_GLOBAL__N_18offset_tEEE10hipError_tPvRmT1_PNSt15iterator_traitsISY_E10value_typeET2_T3_PNSZ_IS14_E10value_typeET4_jRbjT5_S1A_jjP12ihipStream_tbEUljE_EEESV_SW_SX_S14_S18_S1A_T6_T7_T9_mT8_S1C_bDpT10_ENKUlT_T0_E_clISt17integral_constantIbLb1EES1O_IbLb0EEEEDaS1K_S1L_EUlS1K_E_NS1_11comp_targetILNS1_3genE0ELNS1_11target_archE4294967295ELNS1_3gpuE0ELNS1_3repE0EEENS1_30default_config_static_selectorELNS0_4arch9wavefront6targetE0EEEvSY_.has_indirect_call, 0
	.section	.AMDGPU.csdata,"",@progbits
; Kernel info:
; codeLenInByte = 0
; TotalNumSgprs: 0
; NumVgprs: 0
; ScratchSize: 0
; MemoryBound: 0
; FloatMode: 240
; IeeeMode: 1
; LDSByteSize: 0 bytes/workgroup (compile time only)
; SGPRBlocks: 0
; VGPRBlocks: 0
; NumSGPRsForWavesPerEU: 1
; NumVGPRsForWavesPerEU: 1
; Occupancy: 16
; WaveLimiterHint : 0
; COMPUTE_PGM_RSRC2:SCRATCH_EN: 0
; COMPUTE_PGM_RSRC2:USER_SGPR: 6
; COMPUTE_PGM_RSRC2:TRAP_HANDLER: 0
; COMPUTE_PGM_RSRC2:TGID_X_EN: 1
; COMPUTE_PGM_RSRC2:TGID_Y_EN: 0
; COMPUTE_PGM_RSRC2:TGID_Z_EN: 0
; COMPUTE_PGM_RSRC2:TIDIG_COMP_CNT: 0
	.section	.text._ZN7rocprim17ROCPRIM_400000_NS6detail17trampoline_kernelINS0_13select_configILj256ELj13ELNS0_17block_load_methodE3ELS4_3ELS4_3ELNS0_20block_scan_algorithmE0ELj4294967295EEENS1_25partition_config_selectorILNS1_17partition_subalgoE3EjNS0_10empty_typeEbEEZZNS1_14partition_implILS8_3ELb0ES6_jNS0_17counting_iteratorIjlEEPS9_SE_NS0_5tupleIJPjSE_EEENSF_IJSE_SE_EEES9_SG_JZNS1_25segmented_radix_sort_implINS0_14default_configELb0EPKiPiPKlPlN2at6native12_GLOBAL__N_18offset_tEEE10hipError_tPvRmT1_PNSt15iterator_traitsISY_E10value_typeET2_T3_PNSZ_IS14_E10value_typeET4_jRbjT5_S1A_jjP12ihipStream_tbEUljE_EEESV_SW_SX_S14_S18_S1A_T6_T7_T9_mT8_S1C_bDpT10_ENKUlT_T0_E_clISt17integral_constantIbLb1EES1O_IbLb0EEEEDaS1K_S1L_EUlS1K_E_NS1_11comp_targetILNS1_3genE5ELNS1_11target_archE942ELNS1_3gpuE9ELNS1_3repE0EEENS1_30default_config_static_selectorELNS0_4arch9wavefront6targetE0EEEvSY_,"axG",@progbits,_ZN7rocprim17ROCPRIM_400000_NS6detail17trampoline_kernelINS0_13select_configILj256ELj13ELNS0_17block_load_methodE3ELS4_3ELS4_3ELNS0_20block_scan_algorithmE0ELj4294967295EEENS1_25partition_config_selectorILNS1_17partition_subalgoE3EjNS0_10empty_typeEbEEZZNS1_14partition_implILS8_3ELb0ES6_jNS0_17counting_iteratorIjlEEPS9_SE_NS0_5tupleIJPjSE_EEENSF_IJSE_SE_EEES9_SG_JZNS1_25segmented_radix_sort_implINS0_14default_configELb0EPKiPiPKlPlN2at6native12_GLOBAL__N_18offset_tEEE10hipError_tPvRmT1_PNSt15iterator_traitsISY_E10value_typeET2_T3_PNSZ_IS14_E10value_typeET4_jRbjT5_S1A_jjP12ihipStream_tbEUljE_EEESV_SW_SX_S14_S18_S1A_T6_T7_T9_mT8_S1C_bDpT10_ENKUlT_T0_E_clISt17integral_constantIbLb1EES1O_IbLb0EEEEDaS1K_S1L_EUlS1K_E_NS1_11comp_targetILNS1_3genE5ELNS1_11target_archE942ELNS1_3gpuE9ELNS1_3repE0EEENS1_30default_config_static_selectorELNS0_4arch9wavefront6targetE0EEEvSY_,comdat
	.globl	_ZN7rocprim17ROCPRIM_400000_NS6detail17trampoline_kernelINS0_13select_configILj256ELj13ELNS0_17block_load_methodE3ELS4_3ELS4_3ELNS0_20block_scan_algorithmE0ELj4294967295EEENS1_25partition_config_selectorILNS1_17partition_subalgoE3EjNS0_10empty_typeEbEEZZNS1_14partition_implILS8_3ELb0ES6_jNS0_17counting_iteratorIjlEEPS9_SE_NS0_5tupleIJPjSE_EEENSF_IJSE_SE_EEES9_SG_JZNS1_25segmented_radix_sort_implINS0_14default_configELb0EPKiPiPKlPlN2at6native12_GLOBAL__N_18offset_tEEE10hipError_tPvRmT1_PNSt15iterator_traitsISY_E10value_typeET2_T3_PNSZ_IS14_E10value_typeET4_jRbjT5_S1A_jjP12ihipStream_tbEUljE_EEESV_SW_SX_S14_S18_S1A_T6_T7_T9_mT8_S1C_bDpT10_ENKUlT_T0_E_clISt17integral_constantIbLb1EES1O_IbLb0EEEEDaS1K_S1L_EUlS1K_E_NS1_11comp_targetILNS1_3genE5ELNS1_11target_archE942ELNS1_3gpuE9ELNS1_3repE0EEENS1_30default_config_static_selectorELNS0_4arch9wavefront6targetE0EEEvSY_ ; -- Begin function _ZN7rocprim17ROCPRIM_400000_NS6detail17trampoline_kernelINS0_13select_configILj256ELj13ELNS0_17block_load_methodE3ELS4_3ELS4_3ELNS0_20block_scan_algorithmE0ELj4294967295EEENS1_25partition_config_selectorILNS1_17partition_subalgoE3EjNS0_10empty_typeEbEEZZNS1_14partition_implILS8_3ELb0ES6_jNS0_17counting_iteratorIjlEEPS9_SE_NS0_5tupleIJPjSE_EEENSF_IJSE_SE_EEES9_SG_JZNS1_25segmented_radix_sort_implINS0_14default_configELb0EPKiPiPKlPlN2at6native12_GLOBAL__N_18offset_tEEE10hipError_tPvRmT1_PNSt15iterator_traitsISY_E10value_typeET2_T3_PNSZ_IS14_E10value_typeET4_jRbjT5_S1A_jjP12ihipStream_tbEUljE_EEESV_SW_SX_S14_S18_S1A_T6_T7_T9_mT8_S1C_bDpT10_ENKUlT_T0_E_clISt17integral_constantIbLb1EES1O_IbLb0EEEEDaS1K_S1L_EUlS1K_E_NS1_11comp_targetILNS1_3genE5ELNS1_11target_archE942ELNS1_3gpuE9ELNS1_3repE0EEENS1_30default_config_static_selectorELNS0_4arch9wavefront6targetE0EEEvSY_
	.p2align	8
	.type	_ZN7rocprim17ROCPRIM_400000_NS6detail17trampoline_kernelINS0_13select_configILj256ELj13ELNS0_17block_load_methodE3ELS4_3ELS4_3ELNS0_20block_scan_algorithmE0ELj4294967295EEENS1_25partition_config_selectorILNS1_17partition_subalgoE3EjNS0_10empty_typeEbEEZZNS1_14partition_implILS8_3ELb0ES6_jNS0_17counting_iteratorIjlEEPS9_SE_NS0_5tupleIJPjSE_EEENSF_IJSE_SE_EEES9_SG_JZNS1_25segmented_radix_sort_implINS0_14default_configELb0EPKiPiPKlPlN2at6native12_GLOBAL__N_18offset_tEEE10hipError_tPvRmT1_PNSt15iterator_traitsISY_E10value_typeET2_T3_PNSZ_IS14_E10value_typeET4_jRbjT5_S1A_jjP12ihipStream_tbEUljE_EEESV_SW_SX_S14_S18_S1A_T6_T7_T9_mT8_S1C_bDpT10_ENKUlT_T0_E_clISt17integral_constantIbLb1EES1O_IbLb0EEEEDaS1K_S1L_EUlS1K_E_NS1_11comp_targetILNS1_3genE5ELNS1_11target_archE942ELNS1_3gpuE9ELNS1_3repE0EEENS1_30default_config_static_selectorELNS0_4arch9wavefront6targetE0EEEvSY_,@function
_ZN7rocprim17ROCPRIM_400000_NS6detail17trampoline_kernelINS0_13select_configILj256ELj13ELNS0_17block_load_methodE3ELS4_3ELS4_3ELNS0_20block_scan_algorithmE0ELj4294967295EEENS1_25partition_config_selectorILNS1_17partition_subalgoE3EjNS0_10empty_typeEbEEZZNS1_14partition_implILS8_3ELb0ES6_jNS0_17counting_iteratorIjlEEPS9_SE_NS0_5tupleIJPjSE_EEENSF_IJSE_SE_EEES9_SG_JZNS1_25segmented_radix_sort_implINS0_14default_configELb0EPKiPiPKlPlN2at6native12_GLOBAL__N_18offset_tEEE10hipError_tPvRmT1_PNSt15iterator_traitsISY_E10value_typeET2_T3_PNSZ_IS14_E10value_typeET4_jRbjT5_S1A_jjP12ihipStream_tbEUljE_EEESV_SW_SX_S14_S18_S1A_T6_T7_T9_mT8_S1C_bDpT10_ENKUlT_T0_E_clISt17integral_constantIbLb1EES1O_IbLb0EEEEDaS1K_S1L_EUlS1K_E_NS1_11comp_targetILNS1_3genE5ELNS1_11target_archE942ELNS1_3gpuE9ELNS1_3repE0EEENS1_30default_config_static_selectorELNS0_4arch9wavefront6targetE0EEEvSY_: ; @_ZN7rocprim17ROCPRIM_400000_NS6detail17trampoline_kernelINS0_13select_configILj256ELj13ELNS0_17block_load_methodE3ELS4_3ELS4_3ELNS0_20block_scan_algorithmE0ELj4294967295EEENS1_25partition_config_selectorILNS1_17partition_subalgoE3EjNS0_10empty_typeEbEEZZNS1_14partition_implILS8_3ELb0ES6_jNS0_17counting_iteratorIjlEEPS9_SE_NS0_5tupleIJPjSE_EEENSF_IJSE_SE_EEES9_SG_JZNS1_25segmented_radix_sort_implINS0_14default_configELb0EPKiPiPKlPlN2at6native12_GLOBAL__N_18offset_tEEE10hipError_tPvRmT1_PNSt15iterator_traitsISY_E10value_typeET2_T3_PNSZ_IS14_E10value_typeET4_jRbjT5_S1A_jjP12ihipStream_tbEUljE_EEESV_SW_SX_S14_S18_S1A_T6_T7_T9_mT8_S1C_bDpT10_ENKUlT_T0_E_clISt17integral_constantIbLb1EES1O_IbLb0EEEEDaS1K_S1L_EUlS1K_E_NS1_11comp_targetILNS1_3genE5ELNS1_11target_archE942ELNS1_3gpuE9ELNS1_3repE0EEENS1_30default_config_static_selectorELNS0_4arch9wavefront6targetE0EEEvSY_
; %bb.0:
	.section	.rodata,"a",@progbits
	.p2align	6, 0x0
	.amdhsa_kernel _ZN7rocprim17ROCPRIM_400000_NS6detail17trampoline_kernelINS0_13select_configILj256ELj13ELNS0_17block_load_methodE3ELS4_3ELS4_3ELNS0_20block_scan_algorithmE0ELj4294967295EEENS1_25partition_config_selectorILNS1_17partition_subalgoE3EjNS0_10empty_typeEbEEZZNS1_14partition_implILS8_3ELb0ES6_jNS0_17counting_iteratorIjlEEPS9_SE_NS0_5tupleIJPjSE_EEENSF_IJSE_SE_EEES9_SG_JZNS1_25segmented_radix_sort_implINS0_14default_configELb0EPKiPiPKlPlN2at6native12_GLOBAL__N_18offset_tEEE10hipError_tPvRmT1_PNSt15iterator_traitsISY_E10value_typeET2_T3_PNSZ_IS14_E10value_typeET4_jRbjT5_S1A_jjP12ihipStream_tbEUljE_EEESV_SW_SX_S14_S18_S1A_T6_T7_T9_mT8_S1C_bDpT10_ENKUlT_T0_E_clISt17integral_constantIbLb1EES1O_IbLb0EEEEDaS1K_S1L_EUlS1K_E_NS1_11comp_targetILNS1_3genE5ELNS1_11target_archE942ELNS1_3gpuE9ELNS1_3repE0EEENS1_30default_config_static_selectorELNS0_4arch9wavefront6targetE0EEEvSY_
		.amdhsa_group_segment_fixed_size 0
		.amdhsa_private_segment_fixed_size 0
		.amdhsa_kernarg_size 144
		.amdhsa_user_sgpr_count 6
		.amdhsa_user_sgpr_private_segment_buffer 1
		.amdhsa_user_sgpr_dispatch_ptr 0
		.amdhsa_user_sgpr_queue_ptr 0
		.amdhsa_user_sgpr_kernarg_segment_ptr 1
		.amdhsa_user_sgpr_dispatch_id 0
		.amdhsa_user_sgpr_flat_scratch_init 0
		.amdhsa_user_sgpr_private_segment_size 0
		.amdhsa_wavefront_size32 1
		.amdhsa_uses_dynamic_stack 0
		.amdhsa_system_sgpr_private_segment_wavefront_offset 0
		.amdhsa_system_sgpr_workgroup_id_x 1
		.amdhsa_system_sgpr_workgroup_id_y 0
		.amdhsa_system_sgpr_workgroup_id_z 0
		.amdhsa_system_sgpr_workgroup_info 0
		.amdhsa_system_vgpr_workitem_id 0
		.amdhsa_next_free_vgpr 1
		.amdhsa_next_free_sgpr 1
		.amdhsa_reserve_vcc 0
		.amdhsa_reserve_flat_scratch 0
		.amdhsa_float_round_mode_32 0
		.amdhsa_float_round_mode_16_64 0
		.amdhsa_float_denorm_mode_32 3
		.amdhsa_float_denorm_mode_16_64 3
		.amdhsa_dx10_clamp 1
		.amdhsa_ieee_mode 1
		.amdhsa_fp16_overflow 0
		.amdhsa_workgroup_processor_mode 1
		.amdhsa_memory_ordered 1
		.amdhsa_forward_progress 1
		.amdhsa_shared_vgpr_count 0
		.amdhsa_exception_fp_ieee_invalid_op 0
		.amdhsa_exception_fp_denorm_src 0
		.amdhsa_exception_fp_ieee_div_zero 0
		.amdhsa_exception_fp_ieee_overflow 0
		.amdhsa_exception_fp_ieee_underflow 0
		.amdhsa_exception_fp_ieee_inexact 0
		.amdhsa_exception_int_div_zero 0
	.end_amdhsa_kernel
	.section	.text._ZN7rocprim17ROCPRIM_400000_NS6detail17trampoline_kernelINS0_13select_configILj256ELj13ELNS0_17block_load_methodE3ELS4_3ELS4_3ELNS0_20block_scan_algorithmE0ELj4294967295EEENS1_25partition_config_selectorILNS1_17partition_subalgoE3EjNS0_10empty_typeEbEEZZNS1_14partition_implILS8_3ELb0ES6_jNS0_17counting_iteratorIjlEEPS9_SE_NS0_5tupleIJPjSE_EEENSF_IJSE_SE_EEES9_SG_JZNS1_25segmented_radix_sort_implINS0_14default_configELb0EPKiPiPKlPlN2at6native12_GLOBAL__N_18offset_tEEE10hipError_tPvRmT1_PNSt15iterator_traitsISY_E10value_typeET2_T3_PNSZ_IS14_E10value_typeET4_jRbjT5_S1A_jjP12ihipStream_tbEUljE_EEESV_SW_SX_S14_S18_S1A_T6_T7_T9_mT8_S1C_bDpT10_ENKUlT_T0_E_clISt17integral_constantIbLb1EES1O_IbLb0EEEEDaS1K_S1L_EUlS1K_E_NS1_11comp_targetILNS1_3genE5ELNS1_11target_archE942ELNS1_3gpuE9ELNS1_3repE0EEENS1_30default_config_static_selectorELNS0_4arch9wavefront6targetE0EEEvSY_,"axG",@progbits,_ZN7rocprim17ROCPRIM_400000_NS6detail17trampoline_kernelINS0_13select_configILj256ELj13ELNS0_17block_load_methodE3ELS4_3ELS4_3ELNS0_20block_scan_algorithmE0ELj4294967295EEENS1_25partition_config_selectorILNS1_17partition_subalgoE3EjNS0_10empty_typeEbEEZZNS1_14partition_implILS8_3ELb0ES6_jNS0_17counting_iteratorIjlEEPS9_SE_NS0_5tupleIJPjSE_EEENSF_IJSE_SE_EEES9_SG_JZNS1_25segmented_radix_sort_implINS0_14default_configELb0EPKiPiPKlPlN2at6native12_GLOBAL__N_18offset_tEEE10hipError_tPvRmT1_PNSt15iterator_traitsISY_E10value_typeET2_T3_PNSZ_IS14_E10value_typeET4_jRbjT5_S1A_jjP12ihipStream_tbEUljE_EEESV_SW_SX_S14_S18_S1A_T6_T7_T9_mT8_S1C_bDpT10_ENKUlT_T0_E_clISt17integral_constantIbLb1EES1O_IbLb0EEEEDaS1K_S1L_EUlS1K_E_NS1_11comp_targetILNS1_3genE5ELNS1_11target_archE942ELNS1_3gpuE9ELNS1_3repE0EEENS1_30default_config_static_selectorELNS0_4arch9wavefront6targetE0EEEvSY_,comdat
.Lfunc_end580:
	.size	_ZN7rocprim17ROCPRIM_400000_NS6detail17trampoline_kernelINS0_13select_configILj256ELj13ELNS0_17block_load_methodE3ELS4_3ELS4_3ELNS0_20block_scan_algorithmE0ELj4294967295EEENS1_25partition_config_selectorILNS1_17partition_subalgoE3EjNS0_10empty_typeEbEEZZNS1_14partition_implILS8_3ELb0ES6_jNS0_17counting_iteratorIjlEEPS9_SE_NS0_5tupleIJPjSE_EEENSF_IJSE_SE_EEES9_SG_JZNS1_25segmented_radix_sort_implINS0_14default_configELb0EPKiPiPKlPlN2at6native12_GLOBAL__N_18offset_tEEE10hipError_tPvRmT1_PNSt15iterator_traitsISY_E10value_typeET2_T3_PNSZ_IS14_E10value_typeET4_jRbjT5_S1A_jjP12ihipStream_tbEUljE_EEESV_SW_SX_S14_S18_S1A_T6_T7_T9_mT8_S1C_bDpT10_ENKUlT_T0_E_clISt17integral_constantIbLb1EES1O_IbLb0EEEEDaS1K_S1L_EUlS1K_E_NS1_11comp_targetILNS1_3genE5ELNS1_11target_archE942ELNS1_3gpuE9ELNS1_3repE0EEENS1_30default_config_static_selectorELNS0_4arch9wavefront6targetE0EEEvSY_, .Lfunc_end580-_ZN7rocprim17ROCPRIM_400000_NS6detail17trampoline_kernelINS0_13select_configILj256ELj13ELNS0_17block_load_methodE3ELS4_3ELS4_3ELNS0_20block_scan_algorithmE0ELj4294967295EEENS1_25partition_config_selectorILNS1_17partition_subalgoE3EjNS0_10empty_typeEbEEZZNS1_14partition_implILS8_3ELb0ES6_jNS0_17counting_iteratorIjlEEPS9_SE_NS0_5tupleIJPjSE_EEENSF_IJSE_SE_EEES9_SG_JZNS1_25segmented_radix_sort_implINS0_14default_configELb0EPKiPiPKlPlN2at6native12_GLOBAL__N_18offset_tEEE10hipError_tPvRmT1_PNSt15iterator_traitsISY_E10value_typeET2_T3_PNSZ_IS14_E10value_typeET4_jRbjT5_S1A_jjP12ihipStream_tbEUljE_EEESV_SW_SX_S14_S18_S1A_T6_T7_T9_mT8_S1C_bDpT10_ENKUlT_T0_E_clISt17integral_constantIbLb1EES1O_IbLb0EEEEDaS1K_S1L_EUlS1K_E_NS1_11comp_targetILNS1_3genE5ELNS1_11target_archE942ELNS1_3gpuE9ELNS1_3repE0EEENS1_30default_config_static_selectorELNS0_4arch9wavefront6targetE0EEEvSY_
                                        ; -- End function
	.set _ZN7rocprim17ROCPRIM_400000_NS6detail17trampoline_kernelINS0_13select_configILj256ELj13ELNS0_17block_load_methodE3ELS4_3ELS4_3ELNS0_20block_scan_algorithmE0ELj4294967295EEENS1_25partition_config_selectorILNS1_17partition_subalgoE3EjNS0_10empty_typeEbEEZZNS1_14partition_implILS8_3ELb0ES6_jNS0_17counting_iteratorIjlEEPS9_SE_NS0_5tupleIJPjSE_EEENSF_IJSE_SE_EEES9_SG_JZNS1_25segmented_radix_sort_implINS0_14default_configELb0EPKiPiPKlPlN2at6native12_GLOBAL__N_18offset_tEEE10hipError_tPvRmT1_PNSt15iterator_traitsISY_E10value_typeET2_T3_PNSZ_IS14_E10value_typeET4_jRbjT5_S1A_jjP12ihipStream_tbEUljE_EEESV_SW_SX_S14_S18_S1A_T6_T7_T9_mT8_S1C_bDpT10_ENKUlT_T0_E_clISt17integral_constantIbLb1EES1O_IbLb0EEEEDaS1K_S1L_EUlS1K_E_NS1_11comp_targetILNS1_3genE5ELNS1_11target_archE942ELNS1_3gpuE9ELNS1_3repE0EEENS1_30default_config_static_selectorELNS0_4arch9wavefront6targetE0EEEvSY_.num_vgpr, 0
	.set _ZN7rocprim17ROCPRIM_400000_NS6detail17trampoline_kernelINS0_13select_configILj256ELj13ELNS0_17block_load_methodE3ELS4_3ELS4_3ELNS0_20block_scan_algorithmE0ELj4294967295EEENS1_25partition_config_selectorILNS1_17partition_subalgoE3EjNS0_10empty_typeEbEEZZNS1_14partition_implILS8_3ELb0ES6_jNS0_17counting_iteratorIjlEEPS9_SE_NS0_5tupleIJPjSE_EEENSF_IJSE_SE_EEES9_SG_JZNS1_25segmented_radix_sort_implINS0_14default_configELb0EPKiPiPKlPlN2at6native12_GLOBAL__N_18offset_tEEE10hipError_tPvRmT1_PNSt15iterator_traitsISY_E10value_typeET2_T3_PNSZ_IS14_E10value_typeET4_jRbjT5_S1A_jjP12ihipStream_tbEUljE_EEESV_SW_SX_S14_S18_S1A_T6_T7_T9_mT8_S1C_bDpT10_ENKUlT_T0_E_clISt17integral_constantIbLb1EES1O_IbLb0EEEEDaS1K_S1L_EUlS1K_E_NS1_11comp_targetILNS1_3genE5ELNS1_11target_archE942ELNS1_3gpuE9ELNS1_3repE0EEENS1_30default_config_static_selectorELNS0_4arch9wavefront6targetE0EEEvSY_.num_agpr, 0
	.set _ZN7rocprim17ROCPRIM_400000_NS6detail17trampoline_kernelINS0_13select_configILj256ELj13ELNS0_17block_load_methodE3ELS4_3ELS4_3ELNS0_20block_scan_algorithmE0ELj4294967295EEENS1_25partition_config_selectorILNS1_17partition_subalgoE3EjNS0_10empty_typeEbEEZZNS1_14partition_implILS8_3ELb0ES6_jNS0_17counting_iteratorIjlEEPS9_SE_NS0_5tupleIJPjSE_EEENSF_IJSE_SE_EEES9_SG_JZNS1_25segmented_radix_sort_implINS0_14default_configELb0EPKiPiPKlPlN2at6native12_GLOBAL__N_18offset_tEEE10hipError_tPvRmT1_PNSt15iterator_traitsISY_E10value_typeET2_T3_PNSZ_IS14_E10value_typeET4_jRbjT5_S1A_jjP12ihipStream_tbEUljE_EEESV_SW_SX_S14_S18_S1A_T6_T7_T9_mT8_S1C_bDpT10_ENKUlT_T0_E_clISt17integral_constantIbLb1EES1O_IbLb0EEEEDaS1K_S1L_EUlS1K_E_NS1_11comp_targetILNS1_3genE5ELNS1_11target_archE942ELNS1_3gpuE9ELNS1_3repE0EEENS1_30default_config_static_selectorELNS0_4arch9wavefront6targetE0EEEvSY_.numbered_sgpr, 0
	.set _ZN7rocprim17ROCPRIM_400000_NS6detail17trampoline_kernelINS0_13select_configILj256ELj13ELNS0_17block_load_methodE3ELS4_3ELS4_3ELNS0_20block_scan_algorithmE0ELj4294967295EEENS1_25partition_config_selectorILNS1_17partition_subalgoE3EjNS0_10empty_typeEbEEZZNS1_14partition_implILS8_3ELb0ES6_jNS0_17counting_iteratorIjlEEPS9_SE_NS0_5tupleIJPjSE_EEENSF_IJSE_SE_EEES9_SG_JZNS1_25segmented_radix_sort_implINS0_14default_configELb0EPKiPiPKlPlN2at6native12_GLOBAL__N_18offset_tEEE10hipError_tPvRmT1_PNSt15iterator_traitsISY_E10value_typeET2_T3_PNSZ_IS14_E10value_typeET4_jRbjT5_S1A_jjP12ihipStream_tbEUljE_EEESV_SW_SX_S14_S18_S1A_T6_T7_T9_mT8_S1C_bDpT10_ENKUlT_T0_E_clISt17integral_constantIbLb1EES1O_IbLb0EEEEDaS1K_S1L_EUlS1K_E_NS1_11comp_targetILNS1_3genE5ELNS1_11target_archE942ELNS1_3gpuE9ELNS1_3repE0EEENS1_30default_config_static_selectorELNS0_4arch9wavefront6targetE0EEEvSY_.num_named_barrier, 0
	.set _ZN7rocprim17ROCPRIM_400000_NS6detail17trampoline_kernelINS0_13select_configILj256ELj13ELNS0_17block_load_methodE3ELS4_3ELS4_3ELNS0_20block_scan_algorithmE0ELj4294967295EEENS1_25partition_config_selectorILNS1_17partition_subalgoE3EjNS0_10empty_typeEbEEZZNS1_14partition_implILS8_3ELb0ES6_jNS0_17counting_iteratorIjlEEPS9_SE_NS0_5tupleIJPjSE_EEENSF_IJSE_SE_EEES9_SG_JZNS1_25segmented_radix_sort_implINS0_14default_configELb0EPKiPiPKlPlN2at6native12_GLOBAL__N_18offset_tEEE10hipError_tPvRmT1_PNSt15iterator_traitsISY_E10value_typeET2_T3_PNSZ_IS14_E10value_typeET4_jRbjT5_S1A_jjP12ihipStream_tbEUljE_EEESV_SW_SX_S14_S18_S1A_T6_T7_T9_mT8_S1C_bDpT10_ENKUlT_T0_E_clISt17integral_constantIbLb1EES1O_IbLb0EEEEDaS1K_S1L_EUlS1K_E_NS1_11comp_targetILNS1_3genE5ELNS1_11target_archE942ELNS1_3gpuE9ELNS1_3repE0EEENS1_30default_config_static_selectorELNS0_4arch9wavefront6targetE0EEEvSY_.private_seg_size, 0
	.set _ZN7rocprim17ROCPRIM_400000_NS6detail17trampoline_kernelINS0_13select_configILj256ELj13ELNS0_17block_load_methodE3ELS4_3ELS4_3ELNS0_20block_scan_algorithmE0ELj4294967295EEENS1_25partition_config_selectorILNS1_17partition_subalgoE3EjNS0_10empty_typeEbEEZZNS1_14partition_implILS8_3ELb0ES6_jNS0_17counting_iteratorIjlEEPS9_SE_NS0_5tupleIJPjSE_EEENSF_IJSE_SE_EEES9_SG_JZNS1_25segmented_radix_sort_implINS0_14default_configELb0EPKiPiPKlPlN2at6native12_GLOBAL__N_18offset_tEEE10hipError_tPvRmT1_PNSt15iterator_traitsISY_E10value_typeET2_T3_PNSZ_IS14_E10value_typeET4_jRbjT5_S1A_jjP12ihipStream_tbEUljE_EEESV_SW_SX_S14_S18_S1A_T6_T7_T9_mT8_S1C_bDpT10_ENKUlT_T0_E_clISt17integral_constantIbLb1EES1O_IbLb0EEEEDaS1K_S1L_EUlS1K_E_NS1_11comp_targetILNS1_3genE5ELNS1_11target_archE942ELNS1_3gpuE9ELNS1_3repE0EEENS1_30default_config_static_selectorELNS0_4arch9wavefront6targetE0EEEvSY_.uses_vcc, 0
	.set _ZN7rocprim17ROCPRIM_400000_NS6detail17trampoline_kernelINS0_13select_configILj256ELj13ELNS0_17block_load_methodE3ELS4_3ELS4_3ELNS0_20block_scan_algorithmE0ELj4294967295EEENS1_25partition_config_selectorILNS1_17partition_subalgoE3EjNS0_10empty_typeEbEEZZNS1_14partition_implILS8_3ELb0ES6_jNS0_17counting_iteratorIjlEEPS9_SE_NS0_5tupleIJPjSE_EEENSF_IJSE_SE_EEES9_SG_JZNS1_25segmented_radix_sort_implINS0_14default_configELb0EPKiPiPKlPlN2at6native12_GLOBAL__N_18offset_tEEE10hipError_tPvRmT1_PNSt15iterator_traitsISY_E10value_typeET2_T3_PNSZ_IS14_E10value_typeET4_jRbjT5_S1A_jjP12ihipStream_tbEUljE_EEESV_SW_SX_S14_S18_S1A_T6_T7_T9_mT8_S1C_bDpT10_ENKUlT_T0_E_clISt17integral_constantIbLb1EES1O_IbLb0EEEEDaS1K_S1L_EUlS1K_E_NS1_11comp_targetILNS1_3genE5ELNS1_11target_archE942ELNS1_3gpuE9ELNS1_3repE0EEENS1_30default_config_static_selectorELNS0_4arch9wavefront6targetE0EEEvSY_.uses_flat_scratch, 0
	.set _ZN7rocprim17ROCPRIM_400000_NS6detail17trampoline_kernelINS0_13select_configILj256ELj13ELNS0_17block_load_methodE3ELS4_3ELS4_3ELNS0_20block_scan_algorithmE0ELj4294967295EEENS1_25partition_config_selectorILNS1_17partition_subalgoE3EjNS0_10empty_typeEbEEZZNS1_14partition_implILS8_3ELb0ES6_jNS0_17counting_iteratorIjlEEPS9_SE_NS0_5tupleIJPjSE_EEENSF_IJSE_SE_EEES9_SG_JZNS1_25segmented_radix_sort_implINS0_14default_configELb0EPKiPiPKlPlN2at6native12_GLOBAL__N_18offset_tEEE10hipError_tPvRmT1_PNSt15iterator_traitsISY_E10value_typeET2_T3_PNSZ_IS14_E10value_typeET4_jRbjT5_S1A_jjP12ihipStream_tbEUljE_EEESV_SW_SX_S14_S18_S1A_T6_T7_T9_mT8_S1C_bDpT10_ENKUlT_T0_E_clISt17integral_constantIbLb1EES1O_IbLb0EEEEDaS1K_S1L_EUlS1K_E_NS1_11comp_targetILNS1_3genE5ELNS1_11target_archE942ELNS1_3gpuE9ELNS1_3repE0EEENS1_30default_config_static_selectorELNS0_4arch9wavefront6targetE0EEEvSY_.has_dyn_sized_stack, 0
	.set _ZN7rocprim17ROCPRIM_400000_NS6detail17trampoline_kernelINS0_13select_configILj256ELj13ELNS0_17block_load_methodE3ELS4_3ELS4_3ELNS0_20block_scan_algorithmE0ELj4294967295EEENS1_25partition_config_selectorILNS1_17partition_subalgoE3EjNS0_10empty_typeEbEEZZNS1_14partition_implILS8_3ELb0ES6_jNS0_17counting_iteratorIjlEEPS9_SE_NS0_5tupleIJPjSE_EEENSF_IJSE_SE_EEES9_SG_JZNS1_25segmented_radix_sort_implINS0_14default_configELb0EPKiPiPKlPlN2at6native12_GLOBAL__N_18offset_tEEE10hipError_tPvRmT1_PNSt15iterator_traitsISY_E10value_typeET2_T3_PNSZ_IS14_E10value_typeET4_jRbjT5_S1A_jjP12ihipStream_tbEUljE_EEESV_SW_SX_S14_S18_S1A_T6_T7_T9_mT8_S1C_bDpT10_ENKUlT_T0_E_clISt17integral_constantIbLb1EES1O_IbLb0EEEEDaS1K_S1L_EUlS1K_E_NS1_11comp_targetILNS1_3genE5ELNS1_11target_archE942ELNS1_3gpuE9ELNS1_3repE0EEENS1_30default_config_static_selectorELNS0_4arch9wavefront6targetE0EEEvSY_.has_recursion, 0
	.set _ZN7rocprim17ROCPRIM_400000_NS6detail17trampoline_kernelINS0_13select_configILj256ELj13ELNS0_17block_load_methodE3ELS4_3ELS4_3ELNS0_20block_scan_algorithmE0ELj4294967295EEENS1_25partition_config_selectorILNS1_17partition_subalgoE3EjNS0_10empty_typeEbEEZZNS1_14partition_implILS8_3ELb0ES6_jNS0_17counting_iteratorIjlEEPS9_SE_NS0_5tupleIJPjSE_EEENSF_IJSE_SE_EEES9_SG_JZNS1_25segmented_radix_sort_implINS0_14default_configELb0EPKiPiPKlPlN2at6native12_GLOBAL__N_18offset_tEEE10hipError_tPvRmT1_PNSt15iterator_traitsISY_E10value_typeET2_T3_PNSZ_IS14_E10value_typeET4_jRbjT5_S1A_jjP12ihipStream_tbEUljE_EEESV_SW_SX_S14_S18_S1A_T6_T7_T9_mT8_S1C_bDpT10_ENKUlT_T0_E_clISt17integral_constantIbLb1EES1O_IbLb0EEEEDaS1K_S1L_EUlS1K_E_NS1_11comp_targetILNS1_3genE5ELNS1_11target_archE942ELNS1_3gpuE9ELNS1_3repE0EEENS1_30default_config_static_selectorELNS0_4arch9wavefront6targetE0EEEvSY_.has_indirect_call, 0
	.section	.AMDGPU.csdata,"",@progbits
; Kernel info:
; codeLenInByte = 0
; TotalNumSgprs: 0
; NumVgprs: 0
; ScratchSize: 0
; MemoryBound: 0
; FloatMode: 240
; IeeeMode: 1
; LDSByteSize: 0 bytes/workgroup (compile time only)
; SGPRBlocks: 0
; VGPRBlocks: 0
; NumSGPRsForWavesPerEU: 1
; NumVGPRsForWavesPerEU: 1
; Occupancy: 16
; WaveLimiterHint : 0
; COMPUTE_PGM_RSRC2:SCRATCH_EN: 0
; COMPUTE_PGM_RSRC2:USER_SGPR: 6
; COMPUTE_PGM_RSRC2:TRAP_HANDLER: 0
; COMPUTE_PGM_RSRC2:TGID_X_EN: 1
; COMPUTE_PGM_RSRC2:TGID_Y_EN: 0
; COMPUTE_PGM_RSRC2:TGID_Z_EN: 0
; COMPUTE_PGM_RSRC2:TIDIG_COMP_CNT: 0
	.section	.text._ZN7rocprim17ROCPRIM_400000_NS6detail17trampoline_kernelINS0_13select_configILj256ELj13ELNS0_17block_load_methodE3ELS4_3ELS4_3ELNS0_20block_scan_algorithmE0ELj4294967295EEENS1_25partition_config_selectorILNS1_17partition_subalgoE3EjNS0_10empty_typeEbEEZZNS1_14partition_implILS8_3ELb0ES6_jNS0_17counting_iteratorIjlEEPS9_SE_NS0_5tupleIJPjSE_EEENSF_IJSE_SE_EEES9_SG_JZNS1_25segmented_radix_sort_implINS0_14default_configELb0EPKiPiPKlPlN2at6native12_GLOBAL__N_18offset_tEEE10hipError_tPvRmT1_PNSt15iterator_traitsISY_E10value_typeET2_T3_PNSZ_IS14_E10value_typeET4_jRbjT5_S1A_jjP12ihipStream_tbEUljE_EEESV_SW_SX_S14_S18_S1A_T6_T7_T9_mT8_S1C_bDpT10_ENKUlT_T0_E_clISt17integral_constantIbLb1EES1O_IbLb0EEEEDaS1K_S1L_EUlS1K_E_NS1_11comp_targetILNS1_3genE4ELNS1_11target_archE910ELNS1_3gpuE8ELNS1_3repE0EEENS1_30default_config_static_selectorELNS0_4arch9wavefront6targetE0EEEvSY_,"axG",@progbits,_ZN7rocprim17ROCPRIM_400000_NS6detail17trampoline_kernelINS0_13select_configILj256ELj13ELNS0_17block_load_methodE3ELS4_3ELS4_3ELNS0_20block_scan_algorithmE0ELj4294967295EEENS1_25partition_config_selectorILNS1_17partition_subalgoE3EjNS0_10empty_typeEbEEZZNS1_14partition_implILS8_3ELb0ES6_jNS0_17counting_iteratorIjlEEPS9_SE_NS0_5tupleIJPjSE_EEENSF_IJSE_SE_EEES9_SG_JZNS1_25segmented_radix_sort_implINS0_14default_configELb0EPKiPiPKlPlN2at6native12_GLOBAL__N_18offset_tEEE10hipError_tPvRmT1_PNSt15iterator_traitsISY_E10value_typeET2_T3_PNSZ_IS14_E10value_typeET4_jRbjT5_S1A_jjP12ihipStream_tbEUljE_EEESV_SW_SX_S14_S18_S1A_T6_T7_T9_mT8_S1C_bDpT10_ENKUlT_T0_E_clISt17integral_constantIbLb1EES1O_IbLb0EEEEDaS1K_S1L_EUlS1K_E_NS1_11comp_targetILNS1_3genE4ELNS1_11target_archE910ELNS1_3gpuE8ELNS1_3repE0EEENS1_30default_config_static_selectorELNS0_4arch9wavefront6targetE0EEEvSY_,comdat
	.globl	_ZN7rocprim17ROCPRIM_400000_NS6detail17trampoline_kernelINS0_13select_configILj256ELj13ELNS0_17block_load_methodE3ELS4_3ELS4_3ELNS0_20block_scan_algorithmE0ELj4294967295EEENS1_25partition_config_selectorILNS1_17partition_subalgoE3EjNS0_10empty_typeEbEEZZNS1_14partition_implILS8_3ELb0ES6_jNS0_17counting_iteratorIjlEEPS9_SE_NS0_5tupleIJPjSE_EEENSF_IJSE_SE_EEES9_SG_JZNS1_25segmented_radix_sort_implINS0_14default_configELb0EPKiPiPKlPlN2at6native12_GLOBAL__N_18offset_tEEE10hipError_tPvRmT1_PNSt15iterator_traitsISY_E10value_typeET2_T3_PNSZ_IS14_E10value_typeET4_jRbjT5_S1A_jjP12ihipStream_tbEUljE_EEESV_SW_SX_S14_S18_S1A_T6_T7_T9_mT8_S1C_bDpT10_ENKUlT_T0_E_clISt17integral_constantIbLb1EES1O_IbLb0EEEEDaS1K_S1L_EUlS1K_E_NS1_11comp_targetILNS1_3genE4ELNS1_11target_archE910ELNS1_3gpuE8ELNS1_3repE0EEENS1_30default_config_static_selectorELNS0_4arch9wavefront6targetE0EEEvSY_ ; -- Begin function _ZN7rocprim17ROCPRIM_400000_NS6detail17trampoline_kernelINS0_13select_configILj256ELj13ELNS0_17block_load_methodE3ELS4_3ELS4_3ELNS0_20block_scan_algorithmE0ELj4294967295EEENS1_25partition_config_selectorILNS1_17partition_subalgoE3EjNS0_10empty_typeEbEEZZNS1_14partition_implILS8_3ELb0ES6_jNS0_17counting_iteratorIjlEEPS9_SE_NS0_5tupleIJPjSE_EEENSF_IJSE_SE_EEES9_SG_JZNS1_25segmented_radix_sort_implINS0_14default_configELb0EPKiPiPKlPlN2at6native12_GLOBAL__N_18offset_tEEE10hipError_tPvRmT1_PNSt15iterator_traitsISY_E10value_typeET2_T3_PNSZ_IS14_E10value_typeET4_jRbjT5_S1A_jjP12ihipStream_tbEUljE_EEESV_SW_SX_S14_S18_S1A_T6_T7_T9_mT8_S1C_bDpT10_ENKUlT_T0_E_clISt17integral_constantIbLb1EES1O_IbLb0EEEEDaS1K_S1L_EUlS1K_E_NS1_11comp_targetILNS1_3genE4ELNS1_11target_archE910ELNS1_3gpuE8ELNS1_3repE0EEENS1_30default_config_static_selectorELNS0_4arch9wavefront6targetE0EEEvSY_
	.p2align	8
	.type	_ZN7rocprim17ROCPRIM_400000_NS6detail17trampoline_kernelINS0_13select_configILj256ELj13ELNS0_17block_load_methodE3ELS4_3ELS4_3ELNS0_20block_scan_algorithmE0ELj4294967295EEENS1_25partition_config_selectorILNS1_17partition_subalgoE3EjNS0_10empty_typeEbEEZZNS1_14partition_implILS8_3ELb0ES6_jNS0_17counting_iteratorIjlEEPS9_SE_NS0_5tupleIJPjSE_EEENSF_IJSE_SE_EEES9_SG_JZNS1_25segmented_radix_sort_implINS0_14default_configELb0EPKiPiPKlPlN2at6native12_GLOBAL__N_18offset_tEEE10hipError_tPvRmT1_PNSt15iterator_traitsISY_E10value_typeET2_T3_PNSZ_IS14_E10value_typeET4_jRbjT5_S1A_jjP12ihipStream_tbEUljE_EEESV_SW_SX_S14_S18_S1A_T6_T7_T9_mT8_S1C_bDpT10_ENKUlT_T0_E_clISt17integral_constantIbLb1EES1O_IbLb0EEEEDaS1K_S1L_EUlS1K_E_NS1_11comp_targetILNS1_3genE4ELNS1_11target_archE910ELNS1_3gpuE8ELNS1_3repE0EEENS1_30default_config_static_selectorELNS0_4arch9wavefront6targetE0EEEvSY_,@function
_ZN7rocprim17ROCPRIM_400000_NS6detail17trampoline_kernelINS0_13select_configILj256ELj13ELNS0_17block_load_methodE3ELS4_3ELS4_3ELNS0_20block_scan_algorithmE0ELj4294967295EEENS1_25partition_config_selectorILNS1_17partition_subalgoE3EjNS0_10empty_typeEbEEZZNS1_14partition_implILS8_3ELb0ES6_jNS0_17counting_iteratorIjlEEPS9_SE_NS0_5tupleIJPjSE_EEENSF_IJSE_SE_EEES9_SG_JZNS1_25segmented_radix_sort_implINS0_14default_configELb0EPKiPiPKlPlN2at6native12_GLOBAL__N_18offset_tEEE10hipError_tPvRmT1_PNSt15iterator_traitsISY_E10value_typeET2_T3_PNSZ_IS14_E10value_typeET4_jRbjT5_S1A_jjP12ihipStream_tbEUljE_EEESV_SW_SX_S14_S18_S1A_T6_T7_T9_mT8_S1C_bDpT10_ENKUlT_T0_E_clISt17integral_constantIbLb1EES1O_IbLb0EEEEDaS1K_S1L_EUlS1K_E_NS1_11comp_targetILNS1_3genE4ELNS1_11target_archE910ELNS1_3gpuE8ELNS1_3repE0EEENS1_30default_config_static_selectorELNS0_4arch9wavefront6targetE0EEEvSY_: ; @_ZN7rocprim17ROCPRIM_400000_NS6detail17trampoline_kernelINS0_13select_configILj256ELj13ELNS0_17block_load_methodE3ELS4_3ELS4_3ELNS0_20block_scan_algorithmE0ELj4294967295EEENS1_25partition_config_selectorILNS1_17partition_subalgoE3EjNS0_10empty_typeEbEEZZNS1_14partition_implILS8_3ELb0ES6_jNS0_17counting_iteratorIjlEEPS9_SE_NS0_5tupleIJPjSE_EEENSF_IJSE_SE_EEES9_SG_JZNS1_25segmented_radix_sort_implINS0_14default_configELb0EPKiPiPKlPlN2at6native12_GLOBAL__N_18offset_tEEE10hipError_tPvRmT1_PNSt15iterator_traitsISY_E10value_typeET2_T3_PNSZ_IS14_E10value_typeET4_jRbjT5_S1A_jjP12ihipStream_tbEUljE_EEESV_SW_SX_S14_S18_S1A_T6_T7_T9_mT8_S1C_bDpT10_ENKUlT_T0_E_clISt17integral_constantIbLb1EES1O_IbLb0EEEEDaS1K_S1L_EUlS1K_E_NS1_11comp_targetILNS1_3genE4ELNS1_11target_archE910ELNS1_3gpuE8ELNS1_3repE0EEENS1_30default_config_static_selectorELNS0_4arch9wavefront6targetE0EEEvSY_
; %bb.0:
	.section	.rodata,"a",@progbits
	.p2align	6, 0x0
	.amdhsa_kernel _ZN7rocprim17ROCPRIM_400000_NS6detail17trampoline_kernelINS0_13select_configILj256ELj13ELNS0_17block_load_methodE3ELS4_3ELS4_3ELNS0_20block_scan_algorithmE0ELj4294967295EEENS1_25partition_config_selectorILNS1_17partition_subalgoE3EjNS0_10empty_typeEbEEZZNS1_14partition_implILS8_3ELb0ES6_jNS0_17counting_iteratorIjlEEPS9_SE_NS0_5tupleIJPjSE_EEENSF_IJSE_SE_EEES9_SG_JZNS1_25segmented_radix_sort_implINS0_14default_configELb0EPKiPiPKlPlN2at6native12_GLOBAL__N_18offset_tEEE10hipError_tPvRmT1_PNSt15iterator_traitsISY_E10value_typeET2_T3_PNSZ_IS14_E10value_typeET4_jRbjT5_S1A_jjP12ihipStream_tbEUljE_EEESV_SW_SX_S14_S18_S1A_T6_T7_T9_mT8_S1C_bDpT10_ENKUlT_T0_E_clISt17integral_constantIbLb1EES1O_IbLb0EEEEDaS1K_S1L_EUlS1K_E_NS1_11comp_targetILNS1_3genE4ELNS1_11target_archE910ELNS1_3gpuE8ELNS1_3repE0EEENS1_30default_config_static_selectorELNS0_4arch9wavefront6targetE0EEEvSY_
		.amdhsa_group_segment_fixed_size 0
		.amdhsa_private_segment_fixed_size 0
		.amdhsa_kernarg_size 144
		.amdhsa_user_sgpr_count 6
		.amdhsa_user_sgpr_private_segment_buffer 1
		.amdhsa_user_sgpr_dispatch_ptr 0
		.amdhsa_user_sgpr_queue_ptr 0
		.amdhsa_user_sgpr_kernarg_segment_ptr 1
		.amdhsa_user_sgpr_dispatch_id 0
		.amdhsa_user_sgpr_flat_scratch_init 0
		.amdhsa_user_sgpr_private_segment_size 0
		.amdhsa_wavefront_size32 1
		.amdhsa_uses_dynamic_stack 0
		.amdhsa_system_sgpr_private_segment_wavefront_offset 0
		.amdhsa_system_sgpr_workgroup_id_x 1
		.amdhsa_system_sgpr_workgroup_id_y 0
		.amdhsa_system_sgpr_workgroup_id_z 0
		.amdhsa_system_sgpr_workgroup_info 0
		.amdhsa_system_vgpr_workitem_id 0
		.amdhsa_next_free_vgpr 1
		.amdhsa_next_free_sgpr 1
		.amdhsa_reserve_vcc 0
		.amdhsa_reserve_flat_scratch 0
		.amdhsa_float_round_mode_32 0
		.amdhsa_float_round_mode_16_64 0
		.amdhsa_float_denorm_mode_32 3
		.amdhsa_float_denorm_mode_16_64 3
		.amdhsa_dx10_clamp 1
		.amdhsa_ieee_mode 1
		.amdhsa_fp16_overflow 0
		.amdhsa_workgroup_processor_mode 1
		.amdhsa_memory_ordered 1
		.amdhsa_forward_progress 1
		.amdhsa_shared_vgpr_count 0
		.amdhsa_exception_fp_ieee_invalid_op 0
		.amdhsa_exception_fp_denorm_src 0
		.amdhsa_exception_fp_ieee_div_zero 0
		.amdhsa_exception_fp_ieee_overflow 0
		.amdhsa_exception_fp_ieee_underflow 0
		.amdhsa_exception_fp_ieee_inexact 0
		.amdhsa_exception_int_div_zero 0
	.end_amdhsa_kernel
	.section	.text._ZN7rocprim17ROCPRIM_400000_NS6detail17trampoline_kernelINS0_13select_configILj256ELj13ELNS0_17block_load_methodE3ELS4_3ELS4_3ELNS0_20block_scan_algorithmE0ELj4294967295EEENS1_25partition_config_selectorILNS1_17partition_subalgoE3EjNS0_10empty_typeEbEEZZNS1_14partition_implILS8_3ELb0ES6_jNS0_17counting_iteratorIjlEEPS9_SE_NS0_5tupleIJPjSE_EEENSF_IJSE_SE_EEES9_SG_JZNS1_25segmented_radix_sort_implINS0_14default_configELb0EPKiPiPKlPlN2at6native12_GLOBAL__N_18offset_tEEE10hipError_tPvRmT1_PNSt15iterator_traitsISY_E10value_typeET2_T3_PNSZ_IS14_E10value_typeET4_jRbjT5_S1A_jjP12ihipStream_tbEUljE_EEESV_SW_SX_S14_S18_S1A_T6_T7_T9_mT8_S1C_bDpT10_ENKUlT_T0_E_clISt17integral_constantIbLb1EES1O_IbLb0EEEEDaS1K_S1L_EUlS1K_E_NS1_11comp_targetILNS1_3genE4ELNS1_11target_archE910ELNS1_3gpuE8ELNS1_3repE0EEENS1_30default_config_static_selectorELNS0_4arch9wavefront6targetE0EEEvSY_,"axG",@progbits,_ZN7rocprim17ROCPRIM_400000_NS6detail17trampoline_kernelINS0_13select_configILj256ELj13ELNS0_17block_load_methodE3ELS4_3ELS4_3ELNS0_20block_scan_algorithmE0ELj4294967295EEENS1_25partition_config_selectorILNS1_17partition_subalgoE3EjNS0_10empty_typeEbEEZZNS1_14partition_implILS8_3ELb0ES6_jNS0_17counting_iteratorIjlEEPS9_SE_NS0_5tupleIJPjSE_EEENSF_IJSE_SE_EEES9_SG_JZNS1_25segmented_radix_sort_implINS0_14default_configELb0EPKiPiPKlPlN2at6native12_GLOBAL__N_18offset_tEEE10hipError_tPvRmT1_PNSt15iterator_traitsISY_E10value_typeET2_T3_PNSZ_IS14_E10value_typeET4_jRbjT5_S1A_jjP12ihipStream_tbEUljE_EEESV_SW_SX_S14_S18_S1A_T6_T7_T9_mT8_S1C_bDpT10_ENKUlT_T0_E_clISt17integral_constantIbLb1EES1O_IbLb0EEEEDaS1K_S1L_EUlS1K_E_NS1_11comp_targetILNS1_3genE4ELNS1_11target_archE910ELNS1_3gpuE8ELNS1_3repE0EEENS1_30default_config_static_selectorELNS0_4arch9wavefront6targetE0EEEvSY_,comdat
.Lfunc_end581:
	.size	_ZN7rocprim17ROCPRIM_400000_NS6detail17trampoline_kernelINS0_13select_configILj256ELj13ELNS0_17block_load_methodE3ELS4_3ELS4_3ELNS0_20block_scan_algorithmE0ELj4294967295EEENS1_25partition_config_selectorILNS1_17partition_subalgoE3EjNS0_10empty_typeEbEEZZNS1_14partition_implILS8_3ELb0ES6_jNS0_17counting_iteratorIjlEEPS9_SE_NS0_5tupleIJPjSE_EEENSF_IJSE_SE_EEES9_SG_JZNS1_25segmented_radix_sort_implINS0_14default_configELb0EPKiPiPKlPlN2at6native12_GLOBAL__N_18offset_tEEE10hipError_tPvRmT1_PNSt15iterator_traitsISY_E10value_typeET2_T3_PNSZ_IS14_E10value_typeET4_jRbjT5_S1A_jjP12ihipStream_tbEUljE_EEESV_SW_SX_S14_S18_S1A_T6_T7_T9_mT8_S1C_bDpT10_ENKUlT_T0_E_clISt17integral_constantIbLb1EES1O_IbLb0EEEEDaS1K_S1L_EUlS1K_E_NS1_11comp_targetILNS1_3genE4ELNS1_11target_archE910ELNS1_3gpuE8ELNS1_3repE0EEENS1_30default_config_static_selectorELNS0_4arch9wavefront6targetE0EEEvSY_, .Lfunc_end581-_ZN7rocprim17ROCPRIM_400000_NS6detail17trampoline_kernelINS0_13select_configILj256ELj13ELNS0_17block_load_methodE3ELS4_3ELS4_3ELNS0_20block_scan_algorithmE0ELj4294967295EEENS1_25partition_config_selectorILNS1_17partition_subalgoE3EjNS0_10empty_typeEbEEZZNS1_14partition_implILS8_3ELb0ES6_jNS0_17counting_iteratorIjlEEPS9_SE_NS0_5tupleIJPjSE_EEENSF_IJSE_SE_EEES9_SG_JZNS1_25segmented_radix_sort_implINS0_14default_configELb0EPKiPiPKlPlN2at6native12_GLOBAL__N_18offset_tEEE10hipError_tPvRmT1_PNSt15iterator_traitsISY_E10value_typeET2_T3_PNSZ_IS14_E10value_typeET4_jRbjT5_S1A_jjP12ihipStream_tbEUljE_EEESV_SW_SX_S14_S18_S1A_T6_T7_T9_mT8_S1C_bDpT10_ENKUlT_T0_E_clISt17integral_constantIbLb1EES1O_IbLb0EEEEDaS1K_S1L_EUlS1K_E_NS1_11comp_targetILNS1_3genE4ELNS1_11target_archE910ELNS1_3gpuE8ELNS1_3repE0EEENS1_30default_config_static_selectorELNS0_4arch9wavefront6targetE0EEEvSY_
                                        ; -- End function
	.set _ZN7rocprim17ROCPRIM_400000_NS6detail17trampoline_kernelINS0_13select_configILj256ELj13ELNS0_17block_load_methodE3ELS4_3ELS4_3ELNS0_20block_scan_algorithmE0ELj4294967295EEENS1_25partition_config_selectorILNS1_17partition_subalgoE3EjNS0_10empty_typeEbEEZZNS1_14partition_implILS8_3ELb0ES6_jNS0_17counting_iteratorIjlEEPS9_SE_NS0_5tupleIJPjSE_EEENSF_IJSE_SE_EEES9_SG_JZNS1_25segmented_radix_sort_implINS0_14default_configELb0EPKiPiPKlPlN2at6native12_GLOBAL__N_18offset_tEEE10hipError_tPvRmT1_PNSt15iterator_traitsISY_E10value_typeET2_T3_PNSZ_IS14_E10value_typeET4_jRbjT5_S1A_jjP12ihipStream_tbEUljE_EEESV_SW_SX_S14_S18_S1A_T6_T7_T9_mT8_S1C_bDpT10_ENKUlT_T0_E_clISt17integral_constantIbLb1EES1O_IbLb0EEEEDaS1K_S1L_EUlS1K_E_NS1_11comp_targetILNS1_3genE4ELNS1_11target_archE910ELNS1_3gpuE8ELNS1_3repE0EEENS1_30default_config_static_selectorELNS0_4arch9wavefront6targetE0EEEvSY_.num_vgpr, 0
	.set _ZN7rocprim17ROCPRIM_400000_NS6detail17trampoline_kernelINS0_13select_configILj256ELj13ELNS0_17block_load_methodE3ELS4_3ELS4_3ELNS0_20block_scan_algorithmE0ELj4294967295EEENS1_25partition_config_selectorILNS1_17partition_subalgoE3EjNS0_10empty_typeEbEEZZNS1_14partition_implILS8_3ELb0ES6_jNS0_17counting_iteratorIjlEEPS9_SE_NS0_5tupleIJPjSE_EEENSF_IJSE_SE_EEES9_SG_JZNS1_25segmented_radix_sort_implINS0_14default_configELb0EPKiPiPKlPlN2at6native12_GLOBAL__N_18offset_tEEE10hipError_tPvRmT1_PNSt15iterator_traitsISY_E10value_typeET2_T3_PNSZ_IS14_E10value_typeET4_jRbjT5_S1A_jjP12ihipStream_tbEUljE_EEESV_SW_SX_S14_S18_S1A_T6_T7_T9_mT8_S1C_bDpT10_ENKUlT_T0_E_clISt17integral_constantIbLb1EES1O_IbLb0EEEEDaS1K_S1L_EUlS1K_E_NS1_11comp_targetILNS1_3genE4ELNS1_11target_archE910ELNS1_3gpuE8ELNS1_3repE0EEENS1_30default_config_static_selectorELNS0_4arch9wavefront6targetE0EEEvSY_.num_agpr, 0
	.set _ZN7rocprim17ROCPRIM_400000_NS6detail17trampoline_kernelINS0_13select_configILj256ELj13ELNS0_17block_load_methodE3ELS4_3ELS4_3ELNS0_20block_scan_algorithmE0ELj4294967295EEENS1_25partition_config_selectorILNS1_17partition_subalgoE3EjNS0_10empty_typeEbEEZZNS1_14partition_implILS8_3ELb0ES6_jNS0_17counting_iteratorIjlEEPS9_SE_NS0_5tupleIJPjSE_EEENSF_IJSE_SE_EEES9_SG_JZNS1_25segmented_radix_sort_implINS0_14default_configELb0EPKiPiPKlPlN2at6native12_GLOBAL__N_18offset_tEEE10hipError_tPvRmT1_PNSt15iterator_traitsISY_E10value_typeET2_T3_PNSZ_IS14_E10value_typeET4_jRbjT5_S1A_jjP12ihipStream_tbEUljE_EEESV_SW_SX_S14_S18_S1A_T6_T7_T9_mT8_S1C_bDpT10_ENKUlT_T0_E_clISt17integral_constantIbLb1EES1O_IbLb0EEEEDaS1K_S1L_EUlS1K_E_NS1_11comp_targetILNS1_3genE4ELNS1_11target_archE910ELNS1_3gpuE8ELNS1_3repE0EEENS1_30default_config_static_selectorELNS0_4arch9wavefront6targetE0EEEvSY_.numbered_sgpr, 0
	.set _ZN7rocprim17ROCPRIM_400000_NS6detail17trampoline_kernelINS0_13select_configILj256ELj13ELNS0_17block_load_methodE3ELS4_3ELS4_3ELNS0_20block_scan_algorithmE0ELj4294967295EEENS1_25partition_config_selectorILNS1_17partition_subalgoE3EjNS0_10empty_typeEbEEZZNS1_14partition_implILS8_3ELb0ES6_jNS0_17counting_iteratorIjlEEPS9_SE_NS0_5tupleIJPjSE_EEENSF_IJSE_SE_EEES9_SG_JZNS1_25segmented_radix_sort_implINS0_14default_configELb0EPKiPiPKlPlN2at6native12_GLOBAL__N_18offset_tEEE10hipError_tPvRmT1_PNSt15iterator_traitsISY_E10value_typeET2_T3_PNSZ_IS14_E10value_typeET4_jRbjT5_S1A_jjP12ihipStream_tbEUljE_EEESV_SW_SX_S14_S18_S1A_T6_T7_T9_mT8_S1C_bDpT10_ENKUlT_T0_E_clISt17integral_constantIbLb1EES1O_IbLb0EEEEDaS1K_S1L_EUlS1K_E_NS1_11comp_targetILNS1_3genE4ELNS1_11target_archE910ELNS1_3gpuE8ELNS1_3repE0EEENS1_30default_config_static_selectorELNS0_4arch9wavefront6targetE0EEEvSY_.num_named_barrier, 0
	.set _ZN7rocprim17ROCPRIM_400000_NS6detail17trampoline_kernelINS0_13select_configILj256ELj13ELNS0_17block_load_methodE3ELS4_3ELS4_3ELNS0_20block_scan_algorithmE0ELj4294967295EEENS1_25partition_config_selectorILNS1_17partition_subalgoE3EjNS0_10empty_typeEbEEZZNS1_14partition_implILS8_3ELb0ES6_jNS0_17counting_iteratorIjlEEPS9_SE_NS0_5tupleIJPjSE_EEENSF_IJSE_SE_EEES9_SG_JZNS1_25segmented_radix_sort_implINS0_14default_configELb0EPKiPiPKlPlN2at6native12_GLOBAL__N_18offset_tEEE10hipError_tPvRmT1_PNSt15iterator_traitsISY_E10value_typeET2_T3_PNSZ_IS14_E10value_typeET4_jRbjT5_S1A_jjP12ihipStream_tbEUljE_EEESV_SW_SX_S14_S18_S1A_T6_T7_T9_mT8_S1C_bDpT10_ENKUlT_T0_E_clISt17integral_constantIbLb1EES1O_IbLb0EEEEDaS1K_S1L_EUlS1K_E_NS1_11comp_targetILNS1_3genE4ELNS1_11target_archE910ELNS1_3gpuE8ELNS1_3repE0EEENS1_30default_config_static_selectorELNS0_4arch9wavefront6targetE0EEEvSY_.private_seg_size, 0
	.set _ZN7rocprim17ROCPRIM_400000_NS6detail17trampoline_kernelINS0_13select_configILj256ELj13ELNS0_17block_load_methodE3ELS4_3ELS4_3ELNS0_20block_scan_algorithmE0ELj4294967295EEENS1_25partition_config_selectorILNS1_17partition_subalgoE3EjNS0_10empty_typeEbEEZZNS1_14partition_implILS8_3ELb0ES6_jNS0_17counting_iteratorIjlEEPS9_SE_NS0_5tupleIJPjSE_EEENSF_IJSE_SE_EEES9_SG_JZNS1_25segmented_radix_sort_implINS0_14default_configELb0EPKiPiPKlPlN2at6native12_GLOBAL__N_18offset_tEEE10hipError_tPvRmT1_PNSt15iterator_traitsISY_E10value_typeET2_T3_PNSZ_IS14_E10value_typeET4_jRbjT5_S1A_jjP12ihipStream_tbEUljE_EEESV_SW_SX_S14_S18_S1A_T6_T7_T9_mT8_S1C_bDpT10_ENKUlT_T0_E_clISt17integral_constantIbLb1EES1O_IbLb0EEEEDaS1K_S1L_EUlS1K_E_NS1_11comp_targetILNS1_3genE4ELNS1_11target_archE910ELNS1_3gpuE8ELNS1_3repE0EEENS1_30default_config_static_selectorELNS0_4arch9wavefront6targetE0EEEvSY_.uses_vcc, 0
	.set _ZN7rocprim17ROCPRIM_400000_NS6detail17trampoline_kernelINS0_13select_configILj256ELj13ELNS0_17block_load_methodE3ELS4_3ELS4_3ELNS0_20block_scan_algorithmE0ELj4294967295EEENS1_25partition_config_selectorILNS1_17partition_subalgoE3EjNS0_10empty_typeEbEEZZNS1_14partition_implILS8_3ELb0ES6_jNS0_17counting_iteratorIjlEEPS9_SE_NS0_5tupleIJPjSE_EEENSF_IJSE_SE_EEES9_SG_JZNS1_25segmented_radix_sort_implINS0_14default_configELb0EPKiPiPKlPlN2at6native12_GLOBAL__N_18offset_tEEE10hipError_tPvRmT1_PNSt15iterator_traitsISY_E10value_typeET2_T3_PNSZ_IS14_E10value_typeET4_jRbjT5_S1A_jjP12ihipStream_tbEUljE_EEESV_SW_SX_S14_S18_S1A_T6_T7_T9_mT8_S1C_bDpT10_ENKUlT_T0_E_clISt17integral_constantIbLb1EES1O_IbLb0EEEEDaS1K_S1L_EUlS1K_E_NS1_11comp_targetILNS1_3genE4ELNS1_11target_archE910ELNS1_3gpuE8ELNS1_3repE0EEENS1_30default_config_static_selectorELNS0_4arch9wavefront6targetE0EEEvSY_.uses_flat_scratch, 0
	.set _ZN7rocprim17ROCPRIM_400000_NS6detail17trampoline_kernelINS0_13select_configILj256ELj13ELNS0_17block_load_methodE3ELS4_3ELS4_3ELNS0_20block_scan_algorithmE0ELj4294967295EEENS1_25partition_config_selectorILNS1_17partition_subalgoE3EjNS0_10empty_typeEbEEZZNS1_14partition_implILS8_3ELb0ES6_jNS0_17counting_iteratorIjlEEPS9_SE_NS0_5tupleIJPjSE_EEENSF_IJSE_SE_EEES9_SG_JZNS1_25segmented_radix_sort_implINS0_14default_configELb0EPKiPiPKlPlN2at6native12_GLOBAL__N_18offset_tEEE10hipError_tPvRmT1_PNSt15iterator_traitsISY_E10value_typeET2_T3_PNSZ_IS14_E10value_typeET4_jRbjT5_S1A_jjP12ihipStream_tbEUljE_EEESV_SW_SX_S14_S18_S1A_T6_T7_T9_mT8_S1C_bDpT10_ENKUlT_T0_E_clISt17integral_constantIbLb1EES1O_IbLb0EEEEDaS1K_S1L_EUlS1K_E_NS1_11comp_targetILNS1_3genE4ELNS1_11target_archE910ELNS1_3gpuE8ELNS1_3repE0EEENS1_30default_config_static_selectorELNS0_4arch9wavefront6targetE0EEEvSY_.has_dyn_sized_stack, 0
	.set _ZN7rocprim17ROCPRIM_400000_NS6detail17trampoline_kernelINS0_13select_configILj256ELj13ELNS0_17block_load_methodE3ELS4_3ELS4_3ELNS0_20block_scan_algorithmE0ELj4294967295EEENS1_25partition_config_selectorILNS1_17partition_subalgoE3EjNS0_10empty_typeEbEEZZNS1_14partition_implILS8_3ELb0ES6_jNS0_17counting_iteratorIjlEEPS9_SE_NS0_5tupleIJPjSE_EEENSF_IJSE_SE_EEES9_SG_JZNS1_25segmented_radix_sort_implINS0_14default_configELb0EPKiPiPKlPlN2at6native12_GLOBAL__N_18offset_tEEE10hipError_tPvRmT1_PNSt15iterator_traitsISY_E10value_typeET2_T3_PNSZ_IS14_E10value_typeET4_jRbjT5_S1A_jjP12ihipStream_tbEUljE_EEESV_SW_SX_S14_S18_S1A_T6_T7_T9_mT8_S1C_bDpT10_ENKUlT_T0_E_clISt17integral_constantIbLb1EES1O_IbLb0EEEEDaS1K_S1L_EUlS1K_E_NS1_11comp_targetILNS1_3genE4ELNS1_11target_archE910ELNS1_3gpuE8ELNS1_3repE0EEENS1_30default_config_static_selectorELNS0_4arch9wavefront6targetE0EEEvSY_.has_recursion, 0
	.set _ZN7rocprim17ROCPRIM_400000_NS6detail17trampoline_kernelINS0_13select_configILj256ELj13ELNS0_17block_load_methodE3ELS4_3ELS4_3ELNS0_20block_scan_algorithmE0ELj4294967295EEENS1_25partition_config_selectorILNS1_17partition_subalgoE3EjNS0_10empty_typeEbEEZZNS1_14partition_implILS8_3ELb0ES6_jNS0_17counting_iteratorIjlEEPS9_SE_NS0_5tupleIJPjSE_EEENSF_IJSE_SE_EEES9_SG_JZNS1_25segmented_radix_sort_implINS0_14default_configELb0EPKiPiPKlPlN2at6native12_GLOBAL__N_18offset_tEEE10hipError_tPvRmT1_PNSt15iterator_traitsISY_E10value_typeET2_T3_PNSZ_IS14_E10value_typeET4_jRbjT5_S1A_jjP12ihipStream_tbEUljE_EEESV_SW_SX_S14_S18_S1A_T6_T7_T9_mT8_S1C_bDpT10_ENKUlT_T0_E_clISt17integral_constantIbLb1EES1O_IbLb0EEEEDaS1K_S1L_EUlS1K_E_NS1_11comp_targetILNS1_3genE4ELNS1_11target_archE910ELNS1_3gpuE8ELNS1_3repE0EEENS1_30default_config_static_selectorELNS0_4arch9wavefront6targetE0EEEvSY_.has_indirect_call, 0
	.section	.AMDGPU.csdata,"",@progbits
; Kernel info:
; codeLenInByte = 0
; TotalNumSgprs: 0
; NumVgprs: 0
; ScratchSize: 0
; MemoryBound: 0
; FloatMode: 240
; IeeeMode: 1
; LDSByteSize: 0 bytes/workgroup (compile time only)
; SGPRBlocks: 0
; VGPRBlocks: 0
; NumSGPRsForWavesPerEU: 1
; NumVGPRsForWavesPerEU: 1
; Occupancy: 16
; WaveLimiterHint : 0
; COMPUTE_PGM_RSRC2:SCRATCH_EN: 0
; COMPUTE_PGM_RSRC2:USER_SGPR: 6
; COMPUTE_PGM_RSRC2:TRAP_HANDLER: 0
; COMPUTE_PGM_RSRC2:TGID_X_EN: 1
; COMPUTE_PGM_RSRC2:TGID_Y_EN: 0
; COMPUTE_PGM_RSRC2:TGID_Z_EN: 0
; COMPUTE_PGM_RSRC2:TIDIG_COMP_CNT: 0
	.section	.text._ZN7rocprim17ROCPRIM_400000_NS6detail17trampoline_kernelINS0_13select_configILj256ELj13ELNS0_17block_load_methodE3ELS4_3ELS4_3ELNS0_20block_scan_algorithmE0ELj4294967295EEENS1_25partition_config_selectorILNS1_17partition_subalgoE3EjNS0_10empty_typeEbEEZZNS1_14partition_implILS8_3ELb0ES6_jNS0_17counting_iteratorIjlEEPS9_SE_NS0_5tupleIJPjSE_EEENSF_IJSE_SE_EEES9_SG_JZNS1_25segmented_radix_sort_implINS0_14default_configELb0EPKiPiPKlPlN2at6native12_GLOBAL__N_18offset_tEEE10hipError_tPvRmT1_PNSt15iterator_traitsISY_E10value_typeET2_T3_PNSZ_IS14_E10value_typeET4_jRbjT5_S1A_jjP12ihipStream_tbEUljE_EEESV_SW_SX_S14_S18_S1A_T6_T7_T9_mT8_S1C_bDpT10_ENKUlT_T0_E_clISt17integral_constantIbLb1EES1O_IbLb0EEEEDaS1K_S1L_EUlS1K_E_NS1_11comp_targetILNS1_3genE3ELNS1_11target_archE908ELNS1_3gpuE7ELNS1_3repE0EEENS1_30default_config_static_selectorELNS0_4arch9wavefront6targetE0EEEvSY_,"axG",@progbits,_ZN7rocprim17ROCPRIM_400000_NS6detail17trampoline_kernelINS0_13select_configILj256ELj13ELNS0_17block_load_methodE3ELS4_3ELS4_3ELNS0_20block_scan_algorithmE0ELj4294967295EEENS1_25partition_config_selectorILNS1_17partition_subalgoE3EjNS0_10empty_typeEbEEZZNS1_14partition_implILS8_3ELb0ES6_jNS0_17counting_iteratorIjlEEPS9_SE_NS0_5tupleIJPjSE_EEENSF_IJSE_SE_EEES9_SG_JZNS1_25segmented_radix_sort_implINS0_14default_configELb0EPKiPiPKlPlN2at6native12_GLOBAL__N_18offset_tEEE10hipError_tPvRmT1_PNSt15iterator_traitsISY_E10value_typeET2_T3_PNSZ_IS14_E10value_typeET4_jRbjT5_S1A_jjP12ihipStream_tbEUljE_EEESV_SW_SX_S14_S18_S1A_T6_T7_T9_mT8_S1C_bDpT10_ENKUlT_T0_E_clISt17integral_constantIbLb1EES1O_IbLb0EEEEDaS1K_S1L_EUlS1K_E_NS1_11comp_targetILNS1_3genE3ELNS1_11target_archE908ELNS1_3gpuE7ELNS1_3repE0EEENS1_30default_config_static_selectorELNS0_4arch9wavefront6targetE0EEEvSY_,comdat
	.globl	_ZN7rocprim17ROCPRIM_400000_NS6detail17trampoline_kernelINS0_13select_configILj256ELj13ELNS0_17block_load_methodE3ELS4_3ELS4_3ELNS0_20block_scan_algorithmE0ELj4294967295EEENS1_25partition_config_selectorILNS1_17partition_subalgoE3EjNS0_10empty_typeEbEEZZNS1_14partition_implILS8_3ELb0ES6_jNS0_17counting_iteratorIjlEEPS9_SE_NS0_5tupleIJPjSE_EEENSF_IJSE_SE_EEES9_SG_JZNS1_25segmented_radix_sort_implINS0_14default_configELb0EPKiPiPKlPlN2at6native12_GLOBAL__N_18offset_tEEE10hipError_tPvRmT1_PNSt15iterator_traitsISY_E10value_typeET2_T3_PNSZ_IS14_E10value_typeET4_jRbjT5_S1A_jjP12ihipStream_tbEUljE_EEESV_SW_SX_S14_S18_S1A_T6_T7_T9_mT8_S1C_bDpT10_ENKUlT_T0_E_clISt17integral_constantIbLb1EES1O_IbLb0EEEEDaS1K_S1L_EUlS1K_E_NS1_11comp_targetILNS1_3genE3ELNS1_11target_archE908ELNS1_3gpuE7ELNS1_3repE0EEENS1_30default_config_static_selectorELNS0_4arch9wavefront6targetE0EEEvSY_ ; -- Begin function _ZN7rocprim17ROCPRIM_400000_NS6detail17trampoline_kernelINS0_13select_configILj256ELj13ELNS0_17block_load_methodE3ELS4_3ELS4_3ELNS0_20block_scan_algorithmE0ELj4294967295EEENS1_25partition_config_selectorILNS1_17partition_subalgoE3EjNS0_10empty_typeEbEEZZNS1_14partition_implILS8_3ELb0ES6_jNS0_17counting_iteratorIjlEEPS9_SE_NS0_5tupleIJPjSE_EEENSF_IJSE_SE_EEES9_SG_JZNS1_25segmented_radix_sort_implINS0_14default_configELb0EPKiPiPKlPlN2at6native12_GLOBAL__N_18offset_tEEE10hipError_tPvRmT1_PNSt15iterator_traitsISY_E10value_typeET2_T3_PNSZ_IS14_E10value_typeET4_jRbjT5_S1A_jjP12ihipStream_tbEUljE_EEESV_SW_SX_S14_S18_S1A_T6_T7_T9_mT8_S1C_bDpT10_ENKUlT_T0_E_clISt17integral_constantIbLb1EES1O_IbLb0EEEEDaS1K_S1L_EUlS1K_E_NS1_11comp_targetILNS1_3genE3ELNS1_11target_archE908ELNS1_3gpuE7ELNS1_3repE0EEENS1_30default_config_static_selectorELNS0_4arch9wavefront6targetE0EEEvSY_
	.p2align	8
	.type	_ZN7rocprim17ROCPRIM_400000_NS6detail17trampoline_kernelINS0_13select_configILj256ELj13ELNS0_17block_load_methodE3ELS4_3ELS4_3ELNS0_20block_scan_algorithmE0ELj4294967295EEENS1_25partition_config_selectorILNS1_17partition_subalgoE3EjNS0_10empty_typeEbEEZZNS1_14partition_implILS8_3ELb0ES6_jNS0_17counting_iteratorIjlEEPS9_SE_NS0_5tupleIJPjSE_EEENSF_IJSE_SE_EEES9_SG_JZNS1_25segmented_radix_sort_implINS0_14default_configELb0EPKiPiPKlPlN2at6native12_GLOBAL__N_18offset_tEEE10hipError_tPvRmT1_PNSt15iterator_traitsISY_E10value_typeET2_T3_PNSZ_IS14_E10value_typeET4_jRbjT5_S1A_jjP12ihipStream_tbEUljE_EEESV_SW_SX_S14_S18_S1A_T6_T7_T9_mT8_S1C_bDpT10_ENKUlT_T0_E_clISt17integral_constantIbLb1EES1O_IbLb0EEEEDaS1K_S1L_EUlS1K_E_NS1_11comp_targetILNS1_3genE3ELNS1_11target_archE908ELNS1_3gpuE7ELNS1_3repE0EEENS1_30default_config_static_selectorELNS0_4arch9wavefront6targetE0EEEvSY_,@function
_ZN7rocprim17ROCPRIM_400000_NS6detail17trampoline_kernelINS0_13select_configILj256ELj13ELNS0_17block_load_methodE3ELS4_3ELS4_3ELNS0_20block_scan_algorithmE0ELj4294967295EEENS1_25partition_config_selectorILNS1_17partition_subalgoE3EjNS0_10empty_typeEbEEZZNS1_14partition_implILS8_3ELb0ES6_jNS0_17counting_iteratorIjlEEPS9_SE_NS0_5tupleIJPjSE_EEENSF_IJSE_SE_EEES9_SG_JZNS1_25segmented_radix_sort_implINS0_14default_configELb0EPKiPiPKlPlN2at6native12_GLOBAL__N_18offset_tEEE10hipError_tPvRmT1_PNSt15iterator_traitsISY_E10value_typeET2_T3_PNSZ_IS14_E10value_typeET4_jRbjT5_S1A_jjP12ihipStream_tbEUljE_EEESV_SW_SX_S14_S18_S1A_T6_T7_T9_mT8_S1C_bDpT10_ENKUlT_T0_E_clISt17integral_constantIbLb1EES1O_IbLb0EEEEDaS1K_S1L_EUlS1K_E_NS1_11comp_targetILNS1_3genE3ELNS1_11target_archE908ELNS1_3gpuE7ELNS1_3repE0EEENS1_30default_config_static_selectorELNS0_4arch9wavefront6targetE0EEEvSY_: ; @_ZN7rocprim17ROCPRIM_400000_NS6detail17trampoline_kernelINS0_13select_configILj256ELj13ELNS0_17block_load_methodE3ELS4_3ELS4_3ELNS0_20block_scan_algorithmE0ELj4294967295EEENS1_25partition_config_selectorILNS1_17partition_subalgoE3EjNS0_10empty_typeEbEEZZNS1_14partition_implILS8_3ELb0ES6_jNS0_17counting_iteratorIjlEEPS9_SE_NS0_5tupleIJPjSE_EEENSF_IJSE_SE_EEES9_SG_JZNS1_25segmented_radix_sort_implINS0_14default_configELb0EPKiPiPKlPlN2at6native12_GLOBAL__N_18offset_tEEE10hipError_tPvRmT1_PNSt15iterator_traitsISY_E10value_typeET2_T3_PNSZ_IS14_E10value_typeET4_jRbjT5_S1A_jjP12ihipStream_tbEUljE_EEESV_SW_SX_S14_S18_S1A_T6_T7_T9_mT8_S1C_bDpT10_ENKUlT_T0_E_clISt17integral_constantIbLb1EES1O_IbLb0EEEEDaS1K_S1L_EUlS1K_E_NS1_11comp_targetILNS1_3genE3ELNS1_11target_archE908ELNS1_3gpuE7ELNS1_3repE0EEENS1_30default_config_static_selectorELNS0_4arch9wavefront6targetE0EEEvSY_
; %bb.0:
	.section	.rodata,"a",@progbits
	.p2align	6, 0x0
	.amdhsa_kernel _ZN7rocprim17ROCPRIM_400000_NS6detail17trampoline_kernelINS0_13select_configILj256ELj13ELNS0_17block_load_methodE3ELS4_3ELS4_3ELNS0_20block_scan_algorithmE0ELj4294967295EEENS1_25partition_config_selectorILNS1_17partition_subalgoE3EjNS0_10empty_typeEbEEZZNS1_14partition_implILS8_3ELb0ES6_jNS0_17counting_iteratorIjlEEPS9_SE_NS0_5tupleIJPjSE_EEENSF_IJSE_SE_EEES9_SG_JZNS1_25segmented_radix_sort_implINS0_14default_configELb0EPKiPiPKlPlN2at6native12_GLOBAL__N_18offset_tEEE10hipError_tPvRmT1_PNSt15iterator_traitsISY_E10value_typeET2_T3_PNSZ_IS14_E10value_typeET4_jRbjT5_S1A_jjP12ihipStream_tbEUljE_EEESV_SW_SX_S14_S18_S1A_T6_T7_T9_mT8_S1C_bDpT10_ENKUlT_T0_E_clISt17integral_constantIbLb1EES1O_IbLb0EEEEDaS1K_S1L_EUlS1K_E_NS1_11comp_targetILNS1_3genE3ELNS1_11target_archE908ELNS1_3gpuE7ELNS1_3repE0EEENS1_30default_config_static_selectorELNS0_4arch9wavefront6targetE0EEEvSY_
		.amdhsa_group_segment_fixed_size 0
		.amdhsa_private_segment_fixed_size 0
		.amdhsa_kernarg_size 144
		.amdhsa_user_sgpr_count 6
		.amdhsa_user_sgpr_private_segment_buffer 1
		.amdhsa_user_sgpr_dispatch_ptr 0
		.amdhsa_user_sgpr_queue_ptr 0
		.amdhsa_user_sgpr_kernarg_segment_ptr 1
		.amdhsa_user_sgpr_dispatch_id 0
		.amdhsa_user_sgpr_flat_scratch_init 0
		.amdhsa_user_sgpr_private_segment_size 0
		.amdhsa_wavefront_size32 1
		.amdhsa_uses_dynamic_stack 0
		.amdhsa_system_sgpr_private_segment_wavefront_offset 0
		.amdhsa_system_sgpr_workgroup_id_x 1
		.amdhsa_system_sgpr_workgroup_id_y 0
		.amdhsa_system_sgpr_workgroup_id_z 0
		.amdhsa_system_sgpr_workgroup_info 0
		.amdhsa_system_vgpr_workitem_id 0
		.amdhsa_next_free_vgpr 1
		.amdhsa_next_free_sgpr 1
		.amdhsa_reserve_vcc 0
		.amdhsa_reserve_flat_scratch 0
		.amdhsa_float_round_mode_32 0
		.amdhsa_float_round_mode_16_64 0
		.amdhsa_float_denorm_mode_32 3
		.amdhsa_float_denorm_mode_16_64 3
		.amdhsa_dx10_clamp 1
		.amdhsa_ieee_mode 1
		.amdhsa_fp16_overflow 0
		.amdhsa_workgroup_processor_mode 1
		.amdhsa_memory_ordered 1
		.amdhsa_forward_progress 1
		.amdhsa_shared_vgpr_count 0
		.amdhsa_exception_fp_ieee_invalid_op 0
		.amdhsa_exception_fp_denorm_src 0
		.amdhsa_exception_fp_ieee_div_zero 0
		.amdhsa_exception_fp_ieee_overflow 0
		.amdhsa_exception_fp_ieee_underflow 0
		.amdhsa_exception_fp_ieee_inexact 0
		.amdhsa_exception_int_div_zero 0
	.end_amdhsa_kernel
	.section	.text._ZN7rocprim17ROCPRIM_400000_NS6detail17trampoline_kernelINS0_13select_configILj256ELj13ELNS0_17block_load_methodE3ELS4_3ELS4_3ELNS0_20block_scan_algorithmE0ELj4294967295EEENS1_25partition_config_selectorILNS1_17partition_subalgoE3EjNS0_10empty_typeEbEEZZNS1_14partition_implILS8_3ELb0ES6_jNS0_17counting_iteratorIjlEEPS9_SE_NS0_5tupleIJPjSE_EEENSF_IJSE_SE_EEES9_SG_JZNS1_25segmented_radix_sort_implINS0_14default_configELb0EPKiPiPKlPlN2at6native12_GLOBAL__N_18offset_tEEE10hipError_tPvRmT1_PNSt15iterator_traitsISY_E10value_typeET2_T3_PNSZ_IS14_E10value_typeET4_jRbjT5_S1A_jjP12ihipStream_tbEUljE_EEESV_SW_SX_S14_S18_S1A_T6_T7_T9_mT8_S1C_bDpT10_ENKUlT_T0_E_clISt17integral_constantIbLb1EES1O_IbLb0EEEEDaS1K_S1L_EUlS1K_E_NS1_11comp_targetILNS1_3genE3ELNS1_11target_archE908ELNS1_3gpuE7ELNS1_3repE0EEENS1_30default_config_static_selectorELNS0_4arch9wavefront6targetE0EEEvSY_,"axG",@progbits,_ZN7rocprim17ROCPRIM_400000_NS6detail17trampoline_kernelINS0_13select_configILj256ELj13ELNS0_17block_load_methodE3ELS4_3ELS4_3ELNS0_20block_scan_algorithmE0ELj4294967295EEENS1_25partition_config_selectorILNS1_17partition_subalgoE3EjNS0_10empty_typeEbEEZZNS1_14partition_implILS8_3ELb0ES6_jNS0_17counting_iteratorIjlEEPS9_SE_NS0_5tupleIJPjSE_EEENSF_IJSE_SE_EEES9_SG_JZNS1_25segmented_radix_sort_implINS0_14default_configELb0EPKiPiPKlPlN2at6native12_GLOBAL__N_18offset_tEEE10hipError_tPvRmT1_PNSt15iterator_traitsISY_E10value_typeET2_T3_PNSZ_IS14_E10value_typeET4_jRbjT5_S1A_jjP12ihipStream_tbEUljE_EEESV_SW_SX_S14_S18_S1A_T6_T7_T9_mT8_S1C_bDpT10_ENKUlT_T0_E_clISt17integral_constantIbLb1EES1O_IbLb0EEEEDaS1K_S1L_EUlS1K_E_NS1_11comp_targetILNS1_3genE3ELNS1_11target_archE908ELNS1_3gpuE7ELNS1_3repE0EEENS1_30default_config_static_selectorELNS0_4arch9wavefront6targetE0EEEvSY_,comdat
.Lfunc_end582:
	.size	_ZN7rocprim17ROCPRIM_400000_NS6detail17trampoline_kernelINS0_13select_configILj256ELj13ELNS0_17block_load_methodE3ELS4_3ELS4_3ELNS0_20block_scan_algorithmE0ELj4294967295EEENS1_25partition_config_selectorILNS1_17partition_subalgoE3EjNS0_10empty_typeEbEEZZNS1_14partition_implILS8_3ELb0ES6_jNS0_17counting_iteratorIjlEEPS9_SE_NS0_5tupleIJPjSE_EEENSF_IJSE_SE_EEES9_SG_JZNS1_25segmented_radix_sort_implINS0_14default_configELb0EPKiPiPKlPlN2at6native12_GLOBAL__N_18offset_tEEE10hipError_tPvRmT1_PNSt15iterator_traitsISY_E10value_typeET2_T3_PNSZ_IS14_E10value_typeET4_jRbjT5_S1A_jjP12ihipStream_tbEUljE_EEESV_SW_SX_S14_S18_S1A_T6_T7_T9_mT8_S1C_bDpT10_ENKUlT_T0_E_clISt17integral_constantIbLb1EES1O_IbLb0EEEEDaS1K_S1L_EUlS1K_E_NS1_11comp_targetILNS1_3genE3ELNS1_11target_archE908ELNS1_3gpuE7ELNS1_3repE0EEENS1_30default_config_static_selectorELNS0_4arch9wavefront6targetE0EEEvSY_, .Lfunc_end582-_ZN7rocprim17ROCPRIM_400000_NS6detail17trampoline_kernelINS0_13select_configILj256ELj13ELNS0_17block_load_methodE3ELS4_3ELS4_3ELNS0_20block_scan_algorithmE0ELj4294967295EEENS1_25partition_config_selectorILNS1_17partition_subalgoE3EjNS0_10empty_typeEbEEZZNS1_14partition_implILS8_3ELb0ES6_jNS0_17counting_iteratorIjlEEPS9_SE_NS0_5tupleIJPjSE_EEENSF_IJSE_SE_EEES9_SG_JZNS1_25segmented_radix_sort_implINS0_14default_configELb0EPKiPiPKlPlN2at6native12_GLOBAL__N_18offset_tEEE10hipError_tPvRmT1_PNSt15iterator_traitsISY_E10value_typeET2_T3_PNSZ_IS14_E10value_typeET4_jRbjT5_S1A_jjP12ihipStream_tbEUljE_EEESV_SW_SX_S14_S18_S1A_T6_T7_T9_mT8_S1C_bDpT10_ENKUlT_T0_E_clISt17integral_constantIbLb1EES1O_IbLb0EEEEDaS1K_S1L_EUlS1K_E_NS1_11comp_targetILNS1_3genE3ELNS1_11target_archE908ELNS1_3gpuE7ELNS1_3repE0EEENS1_30default_config_static_selectorELNS0_4arch9wavefront6targetE0EEEvSY_
                                        ; -- End function
	.set _ZN7rocprim17ROCPRIM_400000_NS6detail17trampoline_kernelINS0_13select_configILj256ELj13ELNS0_17block_load_methodE3ELS4_3ELS4_3ELNS0_20block_scan_algorithmE0ELj4294967295EEENS1_25partition_config_selectorILNS1_17partition_subalgoE3EjNS0_10empty_typeEbEEZZNS1_14partition_implILS8_3ELb0ES6_jNS0_17counting_iteratorIjlEEPS9_SE_NS0_5tupleIJPjSE_EEENSF_IJSE_SE_EEES9_SG_JZNS1_25segmented_radix_sort_implINS0_14default_configELb0EPKiPiPKlPlN2at6native12_GLOBAL__N_18offset_tEEE10hipError_tPvRmT1_PNSt15iterator_traitsISY_E10value_typeET2_T3_PNSZ_IS14_E10value_typeET4_jRbjT5_S1A_jjP12ihipStream_tbEUljE_EEESV_SW_SX_S14_S18_S1A_T6_T7_T9_mT8_S1C_bDpT10_ENKUlT_T0_E_clISt17integral_constantIbLb1EES1O_IbLb0EEEEDaS1K_S1L_EUlS1K_E_NS1_11comp_targetILNS1_3genE3ELNS1_11target_archE908ELNS1_3gpuE7ELNS1_3repE0EEENS1_30default_config_static_selectorELNS0_4arch9wavefront6targetE0EEEvSY_.num_vgpr, 0
	.set _ZN7rocprim17ROCPRIM_400000_NS6detail17trampoline_kernelINS0_13select_configILj256ELj13ELNS0_17block_load_methodE3ELS4_3ELS4_3ELNS0_20block_scan_algorithmE0ELj4294967295EEENS1_25partition_config_selectorILNS1_17partition_subalgoE3EjNS0_10empty_typeEbEEZZNS1_14partition_implILS8_3ELb0ES6_jNS0_17counting_iteratorIjlEEPS9_SE_NS0_5tupleIJPjSE_EEENSF_IJSE_SE_EEES9_SG_JZNS1_25segmented_radix_sort_implINS0_14default_configELb0EPKiPiPKlPlN2at6native12_GLOBAL__N_18offset_tEEE10hipError_tPvRmT1_PNSt15iterator_traitsISY_E10value_typeET2_T3_PNSZ_IS14_E10value_typeET4_jRbjT5_S1A_jjP12ihipStream_tbEUljE_EEESV_SW_SX_S14_S18_S1A_T6_T7_T9_mT8_S1C_bDpT10_ENKUlT_T0_E_clISt17integral_constantIbLb1EES1O_IbLb0EEEEDaS1K_S1L_EUlS1K_E_NS1_11comp_targetILNS1_3genE3ELNS1_11target_archE908ELNS1_3gpuE7ELNS1_3repE0EEENS1_30default_config_static_selectorELNS0_4arch9wavefront6targetE0EEEvSY_.num_agpr, 0
	.set _ZN7rocprim17ROCPRIM_400000_NS6detail17trampoline_kernelINS0_13select_configILj256ELj13ELNS0_17block_load_methodE3ELS4_3ELS4_3ELNS0_20block_scan_algorithmE0ELj4294967295EEENS1_25partition_config_selectorILNS1_17partition_subalgoE3EjNS0_10empty_typeEbEEZZNS1_14partition_implILS8_3ELb0ES6_jNS0_17counting_iteratorIjlEEPS9_SE_NS0_5tupleIJPjSE_EEENSF_IJSE_SE_EEES9_SG_JZNS1_25segmented_radix_sort_implINS0_14default_configELb0EPKiPiPKlPlN2at6native12_GLOBAL__N_18offset_tEEE10hipError_tPvRmT1_PNSt15iterator_traitsISY_E10value_typeET2_T3_PNSZ_IS14_E10value_typeET4_jRbjT5_S1A_jjP12ihipStream_tbEUljE_EEESV_SW_SX_S14_S18_S1A_T6_T7_T9_mT8_S1C_bDpT10_ENKUlT_T0_E_clISt17integral_constantIbLb1EES1O_IbLb0EEEEDaS1K_S1L_EUlS1K_E_NS1_11comp_targetILNS1_3genE3ELNS1_11target_archE908ELNS1_3gpuE7ELNS1_3repE0EEENS1_30default_config_static_selectorELNS0_4arch9wavefront6targetE0EEEvSY_.numbered_sgpr, 0
	.set _ZN7rocprim17ROCPRIM_400000_NS6detail17trampoline_kernelINS0_13select_configILj256ELj13ELNS0_17block_load_methodE3ELS4_3ELS4_3ELNS0_20block_scan_algorithmE0ELj4294967295EEENS1_25partition_config_selectorILNS1_17partition_subalgoE3EjNS0_10empty_typeEbEEZZNS1_14partition_implILS8_3ELb0ES6_jNS0_17counting_iteratorIjlEEPS9_SE_NS0_5tupleIJPjSE_EEENSF_IJSE_SE_EEES9_SG_JZNS1_25segmented_radix_sort_implINS0_14default_configELb0EPKiPiPKlPlN2at6native12_GLOBAL__N_18offset_tEEE10hipError_tPvRmT1_PNSt15iterator_traitsISY_E10value_typeET2_T3_PNSZ_IS14_E10value_typeET4_jRbjT5_S1A_jjP12ihipStream_tbEUljE_EEESV_SW_SX_S14_S18_S1A_T6_T7_T9_mT8_S1C_bDpT10_ENKUlT_T0_E_clISt17integral_constantIbLb1EES1O_IbLb0EEEEDaS1K_S1L_EUlS1K_E_NS1_11comp_targetILNS1_3genE3ELNS1_11target_archE908ELNS1_3gpuE7ELNS1_3repE0EEENS1_30default_config_static_selectorELNS0_4arch9wavefront6targetE0EEEvSY_.num_named_barrier, 0
	.set _ZN7rocprim17ROCPRIM_400000_NS6detail17trampoline_kernelINS0_13select_configILj256ELj13ELNS0_17block_load_methodE3ELS4_3ELS4_3ELNS0_20block_scan_algorithmE0ELj4294967295EEENS1_25partition_config_selectorILNS1_17partition_subalgoE3EjNS0_10empty_typeEbEEZZNS1_14partition_implILS8_3ELb0ES6_jNS0_17counting_iteratorIjlEEPS9_SE_NS0_5tupleIJPjSE_EEENSF_IJSE_SE_EEES9_SG_JZNS1_25segmented_radix_sort_implINS0_14default_configELb0EPKiPiPKlPlN2at6native12_GLOBAL__N_18offset_tEEE10hipError_tPvRmT1_PNSt15iterator_traitsISY_E10value_typeET2_T3_PNSZ_IS14_E10value_typeET4_jRbjT5_S1A_jjP12ihipStream_tbEUljE_EEESV_SW_SX_S14_S18_S1A_T6_T7_T9_mT8_S1C_bDpT10_ENKUlT_T0_E_clISt17integral_constantIbLb1EES1O_IbLb0EEEEDaS1K_S1L_EUlS1K_E_NS1_11comp_targetILNS1_3genE3ELNS1_11target_archE908ELNS1_3gpuE7ELNS1_3repE0EEENS1_30default_config_static_selectorELNS0_4arch9wavefront6targetE0EEEvSY_.private_seg_size, 0
	.set _ZN7rocprim17ROCPRIM_400000_NS6detail17trampoline_kernelINS0_13select_configILj256ELj13ELNS0_17block_load_methodE3ELS4_3ELS4_3ELNS0_20block_scan_algorithmE0ELj4294967295EEENS1_25partition_config_selectorILNS1_17partition_subalgoE3EjNS0_10empty_typeEbEEZZNS1_14partition_implILS8_3ELb0ES6_jNS0_17counting_iteratorIjlEEPS9_SE_NS0_5tupleIJPjSE_EEENSF_IJSE_SE_EEES9_SG_JZNS1_25segmented_radix_sort_implINS0_14default_configELb0EPKiPiPKlPlN2at6native12_GLOBAL__N_18offset_tEEE10hipError_tPvRmT1_PNSt15iterator_traitsISY_E10value_typeET2_T3_PNSZ_IS14_E10value_typeET4_jRbjT5_S1A_jjP12ihipStream_tbEUljE_EEESV_SW_SX_S14_S18_S1A_T6_T7_T9_mT8_S1C_bDpT10_ENKUlT_T0_E_clISt17integral_constantIbLb1EES1O_IbLb0EEEEDaS1K_S1L_EUlS1K_E_NS1_11comp_targetILNS1_3genE3ELNS1_11target_archE908ELNS1_3gpuE7ELNS1_3repE0EEENS1_30default_config_static_selectorELNS0_4arch9wavefront6targetE0EEEvSY_.uses_vcc, 0
	.set _ZN7rocprim17ROCPRIM_400000_NS6detail17trampoline_kernelINS0_13select_configILj256ELj13ELNS0_17block_load_methodE3ELS4_3ELS4_3ELNS0_20block_scan_algorithmE0ELj4294967295EEENS1_25partition_config_selectorILNS1_17partition_subalgoE3EjNS0_10empty_typeEbEEZZNS1_14partition_implILS8_3ELb0ES6_jNS0_17counting_iteratorIjlEEPS9_SE_NS0_5tupleIJPjSE_EEENSF_IJSE_SE_EEES9_SG_JZNS1_25segmented_radix_sort_implINS0_14default_configELb0EPKiPiPKlPlN2at6native12_GLOBAL__N_18offset_tEEE10hipError_tPvRmT1_PNSt15iterator_traitsISY_E10value_typeET2_T3_PNSZ_IS14_E10value_typeET4_jRbjT5_S1A_jjP12ihipStream_tbEUljE_EEESV_SW_SX_S14_S18_S1A_T6_T7_T9_mT8_S1C_bDpT10_ENKUlT_T0_E_clISt17integral_constantIbLb1EES1O_IbLb0EEEEDaS1K_S1L_EUlS1K_E_NS1_11comp_targetILNS1_3genE3ELNS1_11target_archE908ELNS1_3gpuE7ELNS1_3repE0EEENS1_30default_config_static_selectorELNS0_4arch9wavefront6targetE0EEEvSY_.uses_flat_scratch, 0
	.set _ZN7rocprim17ROCPRIM_400000_NS6detail17trampoline_kernelINS0_13select_configILj256ELj13ELNS0_17block_load_methodE3ELS4_3ELS4_3ELNS0_20block_scan_algorithmE0ELj4294967295EEENS1_25partition_config_selectorILNS1_17partition_subalgoE3EjNS0_10empty_typeEbEEZZNS1_14partition_implILS8_3ELb0ES6_jNS0_17counting_iteratorIjlEEPS9_SE_NS0_5tupleIJPjSE_EEENSF_IJSE_SE_EEES9_SG_JZNS1_25segmented_radix_sort_implINS0_14default_configELb0EPKiPiPKlPlN2at6native12_GLOBAL__N_18offset_tEEE10hipError_tPvRmT1_PNSt15iterator_traitsISY_E10value_typeET2_T3_PNSZ_IS14_E10value_typeET4_jRbjT5_S1A_jjP12ihipStream_tbEUljE_EEESV_SW_SX_S14_S18_S1A_T6_T7_T9_mT8_S1C_bDpT10_ENKUlT_T0_E_clISt17integral_constantIbLb1EES1O_IbLb0EEEEDaS1K_S1L_EUlS1K_E_NS1_11comp_targetILNS1_3genE3ELNS1_11target_archE908ELNS1_3gpuE7ELNS1_3repE0EEENS1_30default_config_static_selectorELNS0_4arch9wavefront6targetE0EEEvSY_.has_dyn_sized_stack, 0
	.set _ZN7rocprim17ROCPRIM_400000_NS6detail17trampoline_kernelINS0_13select_configILj256ELj13ELNS0_17block_load_methodE3ELS4_3ELS4_3ELNS0_20block_scan_algorithmE0ELj4294967295EEENS1_25partition_config_selectorILNS1_17partition_subalgoE3EjNS0_10empty_typeEbEEZZNS1_14partition_implILS8_3ELb0ES6_jNS0_17counting_iteratorIjlEEPS9_SE_NS0_5tupleIJPjSE_EEENSF_IJSE_SE_EEES9_SG_JZNS1_25segmented_radix_sort_implINS0_14default_configELb0EPKiPiPKlPlN2at6native12_GLOBAL__N_18offset_tEEE10hipError_tPvRmT1_PNSt15iterator_traitsISY_E10value_typeET2_T3_PNSZ_IS14_E10value_typeET4_jRbjT5_S1A_jjP12ihipStream_tbEUljE_EEESV_SW_SX_S14_S18_S1A_T6_T7_T9_mT8_S1C_bDpT10_ENKUlT_T0_E_clISt17integral_constantIbLb1EES1O_IbLb0EEEEDaS1K_S1L_EUlS1K_E_NS1_11comp_targetILNS1_3genE3ELNS1_11target_archE908ELNS1_3gpuE7ELNS1_3repE0EEENS1_30default_config_static_selectorELNS0_4arch9wavefront6targetE0EEEvSY_.has_recursion, 0
	.set _ZN7rocprim17ROCPRIM_400000_NS6detail17trampoline_kernelINS0_13select_configILj256ELj13ELNS0_17block_load_methodE3ELS4_3ELS4_3ELNS0_20block_scan_algorithmE0ELj4294967295EEENS1_25partition_config_selectorILNS1_17partition_subalgoE3EjNS0_10empty_typeEbEEZZNS1_14partition_implILS8_3ELb0ES6_jNS0_17counting_iteratorIjlEEPS9_SE_NS0_5tupleIJPjSE_EEENSF_IJSE_SE_EEES9_SG_JZNS1_25segmented_radix_sort_implINS0_14default_configELb0EPKiPiPKlPlN2at6native12_GLOBAL__N_18offset_tEEE10hipError_tPvRmT1_PNSt15iterator_traitsISY_E10value_typeET2_T3_PNSZ_IS14_E10value_typeET4_jRbjT5_S1A_jjP12ihipStream_tbEUljE_EEESV_SW_SX_S14_S18_S1A_T6_T7_T9_mT8_S1C_bDpT10_ENKUlT_T0_E_clISt17integral_constantIbLb1EES1O_IbLb0EEEEDaS1K_S1L_EUlS1K_E_NS1_11comp_targetILNS1_3genE3ELNS1_11target_archE908ELNS1_3gpuE7ELNS1_3repE0EEENS1_30default_config_static_selectorELNS0_4arch9wavefront6targetE0EEEvSY_.has_indirect_call, 0
	.section	.AMDGPU.csdata,"",@progbits
; Kernel info:
; codeLenInByte = 0
; TotalNumSgprs: 0
; NumVgprs: 0
; ScratchSize: 0
; MemoryBound: 0
; FloatMode: 240
; IeeeMode: 1
; LDSByteSize: 0 bytes/workgroup (compile time only)
; SGPRBlocks: 0
; VGPRBlocks: 0
; NumSGPRsForWavesPerEU: 1
; NumVGPRsForWavesPerEU: 1
; Occupancy: 16
; WaveLimiterHint : 0
; COMPUTE_PGM_RSRC2:SCRATCH_EN: 0
; COMPUTE_PGM_RSRC2:USER_SGPR: 6
; COMPUTE_PGM_RSRC2:TRAP_HANDLER: 0
; COMPUTE_PGM_RSRC2:TGID_X_EN: 1
; COMPUTE_PGM_RSRC2:TGID_Y_EN: 0
; COMPUTE_PGM_RSRC2:TGID_Z_EN: 0
; COMPUTE_PGM_RSRC2:TIDIG_COMP_CNT: 0
	.section	.text._ZN7rocprim17ROCPRIM_400000_NS6detail17trampoline_kernelINS0_13select_configILj256ELj13ELNS0_17block_load_methodE3ELS4_3ELS4_3ELNS0_20block_scan_algorithmE0ELj4294967295EEENS1_25partition_config_selectorILNS1_17partition_subalgoE3EjNS0_10empty_typeEbEEZZNS1_14partition_implILS8_3ELb0ES6_jNS0_17counting_iteratorIjlEEPS9_SE_NS0_5tupleIJPjSE_EEENSF_IJSE_SE_EEES9_SG_JZNS1_25segmented_radix_sort_implINS0_14default_configELb0EPKiPiPKlPlN2at6native12_GLOBAL__N_18offset_tEEE10hipError_tPvRmT1_PNSt15iterator_traitsISY_E10value_typeET2_T3_PNSZ_IS14_E10value_typeET4_jRbjT5_S1A_jjP12ihipStream_tbEUljE_EEESV_SW_SX_S14_S18_S1A_T6_T7_T9_mT8_S1C_bDpT10_ENKUlT_T0_E_clISt17integral_constantIbLb1EES1O_IbLb0EEEEDaS1K_S1L_EUlS1K_E_NS1_11comp_targetILNS1_3genE2ELNS1_11target_archE906ELNS1_3gpuE6ELNS1_3repE0EEENS1_30default_config_static_selectorELNS0_4arch9wavefront6targetE0EEEvSY_,"axG",@progbits,_ZN7rocprim17ROCPRIM_400000_NS6detail17trampoline_kernelINS0_13select_configILj256ELj13ELNS0_17block_load_methodE3ELS4_3ELS4_3ELNS0_20block_scan_algorithmE0ELj4294967295EEENS1_25partition_config_selectorILNS1_17partition_subalgoE3EjNS0_10empty_typeEbEEZZNS1_14partition_implILS8_3ELb0ES6_jNS0_17counting_iteratorIjlEEPS9_SE_NS0_5tupleIJPjSE_EEENSF_IJSE_SE_EEES9_SG_JZNS1_25segmented_radix_sort_implINS0_14default_configELb0EPKiPiPKlPlN2at6native12_GLOBAL__N_18offset_tEEE10hipError_tPvRmT1_PNSt15iterator_traitsISY_E10value_typeET2_T3_PNSZ_IS14_E10value_typeET4_jRbjT5_S1A_jjP12ihipStream_tbEUljE_EEESV_SW_SX_S14_S18_S1A_T6_T7_T9_mT8_S1C_bDpT10_ENKUlT_T0_E_clISt17integral_constantIbLb1EES1O_IbLb0EEEEDaS1K_S1L_EUlS1K_E_NS1_11comp_targetILNS1_3genE2ELNS1_11target_archE906ELNS1_3gpuE6ELNS1_3repE0EEENS1_30default_config_static_selectorELNS0_4arch9wavefront6targetE0EEEvSY_,comdat
	.globl	_ZN7rocprim17ROCPRIM_400000_NS6detail17trampoline_kernelINS0_13select_configILj256ELj13ELNS0_17block_load_methodE3ELS4_3ELS4_3ELNS0_20block_scan_algorithmE0ELj4294967295EEENS1_25partition_config_selectorILNS1_17partition_subalgoE3EjNS0_10empty_typeEbEEZZNS1_14partition_implILS8_3ELb0ES6_jNS0_17counting_iteratorIjlEEPS9_SE_NS0_5tupleIJPjSE_EEENSF_IJSE_SE_EEES9_SG_JZNS1_25segmented_radix_sort_implINS0_14default_configELb0EPKiPiPKlPlN2at6native12_GLOBAL__N_18offset_tEEE10hipError_tPvRmT1_PNSt15iterator_traitsISY_E10value_typeET2_T3_PNSZ_IS14_E10value_typeET4_jRbjT5_S1A_jjP12ihipStream_tbEUljE_EEESV_SW_SX_S14_S18_S1A_T6_T7_T9_mT8_S1C_bDpT10_ENKUlT_T0_E_clISt17integral_constantIbLb1EES1O_IbLb0EEEEDaS1K_S1L_EUlS1K_E_NS1_11comp_targetILNS1_3genE2ELNS1_11target_archE906ELNS1_3gpuE6ELNS1_3repE0EEENS1_30default_config_static_selectorELNS0_4arch9wavefront6targetE0EEEvSY_ ; -- Begin function _ZN7rocprim17ROCPRIM_400000_NS6detail17trampoline_kernelINS0_13select_configILj256ELj13ELNS0_17block_load_methodE3ELS4_3ELS4_3ELNS0_20block_scan_algorithmE0ELj4294967295EEENS1_25partition_config_selectorILNS1_17partition_subalgoE3EjNS0_10empty_typeEbEEZZNS1_14partition_implILS8_3ELb0ES6_jNS0_17counting_iteratorIjlEEPS9_SE_NS0_5tupleIJPjSE_EEENSF_IJSE_SE_EEES9_SG_JZNS1_25segmented_radix_sort_implINS0_14default_configELb0EPKiPiPKlPlN2at6native12_GLOBAL__N_18offset_tEEE10hipError_tPvRmT1_PNSt15iterator_traitsISY_E10value_typeET2_T3_PNSZ_IS14_E10value_typeET4_jRbjT5_S1A_jjP12ihipStream_tbEUljE_EEESV_SW_SX_S14_S18_S1A_T6_T7_T9_mT8_S1C_bDpT10_ENKUlT_T0_E_clISt17integral_constantIbLb1EES1O_IbLb0EEEEDaS1K_S1L_EUlS1K_E_NS1_11comp_targetILNS1_3genE2ELNS1_11target_archE906ELNS1_3gpuE6ELNS1_3repE0EEENS1_30default_config_static_selectorELNS0_4arch9wavefront6targetE0EEEvSY_
	.p2align	8
	.type	_ZN7rocprim17ROCPRIM_400000_NS6detail17trampoline_kernelINS0_13select_configILj256ELj13ELNS0_17block_load_methodE3ELS4_3ELS4_3ELNS0_20block_scan_algorithmE0ELj4294967295EEENS1_25partition_config_selectorILNS1_17partition_subalgoE3EjNS0_10empty_typeEbEEZZNS1_14partition_implILS8_3ELb0ES6_jNS0_17counting_iteratorIjlEEPS9_SE_NS0_5tupleIJPjSE_EEENSF_IJSE_SE_EEES9_SG_JZNS1_25segmented_radix_sort_implINS0_14default_configELb0EPKiPiPKlPlN2at6native12_GLOBAL__N_18offset_tEEE10hipError_tPvRmT1_PNSt15iterator_traitsISY_E10value_typeET2_T3_PNSZ_IS14_E10value_typeET4_jRbjT5_S1A_jjP12ihipStream_tbEUljE_EEESV_SW_SX_S14_S18_S1A_T6_T7_T9_mT8_S1C_bDpT10_ENKUlT_T0_E_clISt17integral_constantIbLb1EES1O_IbLb0EEEEDaS1K_S1L_EUlS1K_E_NS1_11comp_targetILNS1_3genE2ELNS1_11target_archE906ELNS1_3gpuE6ELNS1_3repE0EEENS1_30default_config_static_selectorELNS0_4arch9wavefront6targetE0EEEvSY_,@function
_ZN7rocprim17ROCPRIM_400000_NS6detail17trampoline_kernelINS0_13select_configILj256ELj13ELNS0_17block_load_methodE3ELS4_3ELS4_3ELNS0_20block_scan_algorithmE0ELj4294967295EEENS1_25partition_config_selectorILNS1_17partition_subalgoE3EjNS0_10empty_typeEbEEZZNS1_14partition_implILS8_3ELb0ES6_jNS0_17counting_iteratorIjlEEPS9_SE_NS0_5tupleIJPjSE_EEENSF_IJSE_SE_EEES9_SG_JZNS1_25segmented_radix_sort_implINS0_14default_configELb0EPKiPiPKlPlN2at6native12_GLOBAL__N_18offset_tEEE10hipError_tPvRmT1_PNSt15iterator_traitsISY_E10value_typeET2_T3_PNSZ_IS14_E10value_typeET4_jRbjT5_S1A_jjP12ihipStream_tbEUljE_EEESV_SW_SX_S14_S18_S1A_T6_T7_T9_mT8_S1C_bDpT10_ENKUlT_T0_E_clISt17integral_constantIbLb1EES1O_IbLb0EEEEDaS1K_S1L_EUlS1K_E_NS1_11comp_targetILNS1_3genE2ELNS1_11target_archE906ELNS1_3gpuE6ELNS1_3repE0EEENS1_30default_config_static_selectorELNS0_4arch9wavefront6targetE0EEEvSY_: ; @_ZN7rocprim17ROCPRIM_400000_NS6detail17trampoline_kernelINS0_13select_configILj256ELj13ELNS0_17block_load_methodE3ELS4_3ELS4_3ELNS0_20block_scan_algorithmE0ELj4294967295EEENS1_25partition_config_selectorILNS1_17partition_subalgoE3EjNS0_10empty_typeEbEEZZNS1_14partition_implILS8_3ELb0ES6_jNS0_17counting_iteratorIjlEEPS9_SE_NS0_5tupleIJPjSE_EEENSF_IJSE_SE_EEES9_SG_JZNS1_25segmented_radix_sort_implINS0_14default_configELb0EPKiPiPKlPlN2at6native12_GLOBAL__N_18offset_tEEE10hipError_tPvRmT1_PNSt15iterator_traitsISY_E10value_typeET2_T3_PNSZ_IS14_E10value_typeET4_jRbjT5_S1A_jjP12ihipStream_tbEUljE_EEESV_SW_SX_S14_S18_S1A_T6_T7_T9_mT8_S1C_bDpT10_ENKUlT_T0_E_clISt17integral_constantIbLb1EES1O_IbLb0EEEEDaS1K_S1L_EUlS1K_E_NS1_11comp_targetILNS1_3genE2ELNS1_11target_archE906ELNS1_3gpuE6ELNS1_3repE0EEENS1_30default_config_static_selectorELNS0_4arch9wavefront6targetE0EEEvSY_
; %bb.0:
	.section	.rodata,"a",@progbits
	.p2align	6, 0x0
	.amdhsa_kernel _ZN7rocprim17ROCPRIM_400000_NS6detail17trampoline_kernelINS0_13select_configILj256ELj13ELNS0_17block_load_methodE3ELS4_3ELS4_3ELNS0_20block_scan_algorithmE0ELj4294967295EEENS1_25partition_config_selectorILNS1_17partition_subalgoE3EjNS0_10empty_typeEbEEZZNS1_14partition_implILS8_3ELb0ES6_jNS0_17counting_iteratorIjlEEPS9_SE_NS0_5tupleIJPjSE_EEENSF_IJSE_SE_EEES9_SG_JZNS1_25segmented_radix_sort_implINS0_14default_configELb0EPKiPiPKlPlN2at6native12_GLOBAL__N_18offset_tEEE10hipError_tPvRmT1_PNSt15iterator_traitsISY_E10value_typeET2_T3_PNSZ_IS14_E10value_typeET4_jRbjT5_S1A_jjP12ihipStream_tbEUljE_EEESV_SW_SX_S14_S18_S1A_T6_T7_T9_mT8_S1C_bDpT10_ENKUlT_T0_E_clISt17integral_constantIbLb1EES1O_IbLb0EEEEDaS1K_S1L_EUlS1K_E_NS1_11comp_targetILNS1_3genE2ELNS1_11target_archE906ELNS1_3gpuE6ELNS1_3repE0EEENS1_30default_config_static_selectorELNS0_4arch9wavefront6targetE0EEEvSY_
		.amdhsa_group_segment_fixed_size 0
		.amdhsa_private_segment_fixed_size 0
		.amdhsa_kernarg_size 144
		.amdhsa_user_sgpr_count 6
		.amdhsa_user_sgpr_private_segment_buffer 1
		.amdhsa_user_sgpr_dispatch_ptr 0
		.amdhsa_user_sgpr_queue_ptr 0
		.amdhsa_user_sgpr_kernarg_segment_ptr 1
		.amdhsa_user_sgpr_dispatch_id 0
		.amdhsa_user_sgpr_flat_scratch_init 0
		.amdhsa_user_sgpr_private_segment_size 0
		.amdhsa_wavefront_size32 1
		.amdhsa_uses_dynamic_stack 0
		.amdhsa_system_sgpr_private_segment_wavefront_offset 0
		.amdhsa_system_sgpr_workgroup_id_x 1
		.amdhsa_system_sgpr_workgroup_id_y 0
		.amdhsa_system_sgpr_workgroup_id_z 0
		.amdhsa_system_sgpr_workgroup_info 0
		.amdhsa_system_vgpr_workitem_id 0
		.amdhsa_next_free_vgpr 1
		.amdhsa_next_free_sgpr 1
		.amdhsa_reserve_vcc 0
		.amdhsa_reserve_flat_scratch 0
		.amdhsa_float_round_mode_32 0
		.amdhsa_float_round_mode_16_64 0
		.amdhsa_float_denorm_mode_32 3
		.amdhsa_float_denorm_mode_16_64 3
		.amdhsa_dx10_clamp 1
		.amdhsa_ieee_mode 1
		.amdhsa_fp16_overflow 0
		.amdhsa_workgroup_processor_mode 1
		.amdhsa_memory_ordered 1
		.amdhsa_forward_progress 1
		.amdhsa_shared_vgpr_count 0
		.amdhsa_exception_fp_ieee_invalid_op 0
		.amdhsa_exception_fp_denorm_src 0
		.amdhsa_exception_fp_ieee_div_zero 0
		.amdhsa_exception_fp_ieee_overflow 0
		.amdhsa_exception_fp_ieee_underflow 0
		.amdhsa_exception_fp_ieee_inexact 0
		.amdhsa_exception_int_div_zero 0
	.end_amdhsa_kernel
	.section	.text._ZN7rocprim17ROCPRIM_400000_NS6detail17trampoline_kernelINS0_13select_configILj256ELj13ELNS0_17block_load_methodE3ELS4_3ELS4_3ELNS0_20block_scan_algorithmE0ELj4294967295EEENS1_25partition_config_selectorILNS1_17partition_subalgoE3EjNS0_10empty_typeEbEEZZNS1_14partition_implILS8_3ELb0ES6_jNS0_17counting_iteratorIjlEEPS9_SE_NS0_5tupleIJPjSE_EEENSF_IJSE_SE_EEES9_SG_JZNS1_25segmented_radix_sort_implINS0_14default_configELb0EPKiPiPKlPlN2at6native12_GLOBAL__N_18offset_tEEE10hipError_tPvRmT1_PNSt15iterator_traitsISY_E10value_typeET2_T3_PNSZ_IS14_E10value_typeET4_jRbjT5_S1A_jjP12ihipStream_tbEUljE_EEESV_SW_SX_S14_S18_S1A_T6_T7_T9_mT8_S1C_bDpT10_ENKUlT_T0_E_clISt17integral_constantIbLb1EES1O_IbLb0EEEEDaS1K_S1L_EUlS1K_E_NS1_11comp_targetILNS1_3genE2ELNS1_11target_archE906ELNS1_3gpuE6ELNS1_3repE0EEENS1_30default_config_static_selectorELNS0_4arch9wavefront6targetE0EEEvSY_,"axG",@progbits,_ZN7rocprim17ROCPRIM_400000_NS6detail17trampoline_kernelINS0_13select_configILj256ELj13ELNS0_17block_load_methodE3ELS4_3ELS4_3ELNS0_20block_scan_algorithmE0ELj4294967295EEENS1_25partition_config_selectorILNS1_17partition_subalgoE3EjNS0_10empty_typeEbEEZZNS1_14partition_implILS8_3ELb0ES6_jNS0_17counting_iteratorIjlEEPS9_SE_NS0_5tupleIJPjSE_EEENSF_IJSE_SE_EEES9_SG_JZNS1_25segmented_radix_sort_implINS0_14default_configELb0EPKiPiPKlPlN2at6native12_GLOBAL__N_18offset_tEEE10hipError_tPvRmT1_PNSt15iterator_traitsISY_E10value_typeET2_T3_PNSZ_IS14_E10value_typeET4_jRbjT5_S1A_jjP12ihipStream_tbEUljE_EEESV_SW_SX_S14_S18_S1A_T6_T7_T9_mT8_S1C_bDpT10_ENKUlT_T0_E_clISt17integral_constantIbLb1EES1O_IbLb0EEEEDaS1K_S1L_EUlS1K_E_NS1_11comp_targetILNS1_3genE2ELNS1_11target_archE906ELNS1_3gpuE6ELNS1_3repE0EEENS1_30default_config_static_selectorELNS0_4arch9wavefront6targetE0EEEvSY_,comdat
.Lfunc_end583:
	.size	_ZN7rocprim17ROCPRIM_400000_NS6detail17trampoline_kernelINS0_13select_configILj256ELj13ELNS0_17block_load_methodE3ELS4_3ELS4_3ELNS0_20block_scan_algorithmE0ELj4294967295EEENS1_25partition_config_selectorILNS1_17partition_subalgoE3EjNS0_10empty_typeEbEEZZNS1_14partition_implILS8_3ELb0ES6_jNS0_17counting_iteratorIjlEEPS9_SE_NS0_5tupleIJPjSE_EEENSF_IJSE_SE_EEES9_SG_JZNS1_25segmented_radix_sort_implINS0_14default_configELb0EPKiPiPKlPlN2at6native12_GLOBAL__N_18offset_tEEE10hipError_tPvRmT1_PNSt15iterator_traitsISY_E10value_typeET2_T3_PNSZ_IS14_E10value_typeET4_jRbjT5_S1A_jjP12ihipStream_tbEUljE_EEESV_SW_SX_S14_S18_S1A_T6_T7_T9_mT8_S1C_bDpT10_ENKUlT_T0_E_clISt17integral_constantIbLb1EES1O_IbLb0EEEEDaS1K_S1L_EUlS1K_E_NS1_11comp_targetILNS1_3genE2ELNS1_11target_archE906ELNS1_3gpuE6ELNS1_3repE0EEENS1_30default_config_static_selectorELNS0_4arch9wavefront6targetE0EEEvSY_, .Lfunc_end583-_ZN7rocprim17ROCPRIM_400000_NS6detail17trampoline_kernelINS0_13select_configILj256ELj13ELNS0_17block_load_methodE3ELS4_3ELS4_3ELNS0_20block_scan_algorithmE0ELj4294967295EEENS1_25partition_config_selectorILNS1_17partition_subalgoE3EjNS0_10empty_typeEbEEZZNS1_14partition_implILS8_3ELb0ES6_jNS0_17counting_iteratorIjlEEPS9_SE_NS0_5tupleIJPjSE_EEENSF_IJSE_SE_EEES9_SG_JZNS1_25segmented_radix_sort_implINS0_14default_configELb0EPKiPiPKlPlN2at6native12_GLOBAL__N_18offset_tEEE10hipError_tPvRmT1_PNSt15iterator_traitsISY_E10value_typeET2_T3_PNSZ_IS14_E10value_typeET4_jRbjT5_S1A_jjP12ihipStream_tbEUljE_EEESV_SW_SX_S14_S18_S1A_T6_T7_T9_mT8_S1C_bDpT10_ENKUlT_T0_E_clISt17integral_constantIbLb1EES1O_IbLb0EEEEDaS1K_S1L_EUlS1K_E_NS1_11comp_targetILNS1_3genE2ELNS1_11target_archE906ELNS1_3gpuE6ELNS1_3repE0EEENS1_30default_config_static_selectorELNS0_4arch9wavefront6targetE0EEEvSY_
                                        ; -- End function
	.set _ZN7rocprim17ROCPRIM_400000_NS6detail17trampoline_kernelINS0_13select_configILj256ELj13ELNS0_17block_load_methodE3ELS4_3ELS4_3ELNS0_20block_scan_algorithmE0ELj4294967295EEENS1_25partition_config_selectorILNS1_17partition_subalgoE3EjNS0_10empty_typeEbEEZZNS1_14partition_implILS8_3ELb0ES6_jNS0_17counting_iteratorIjlEEPS9_SE_NS0_5tupleIJPjSE_EEENSF_IJSE_SE_EEES9_SG_JZNS1_25segmented_radix_sort_implINS0_14default_configELb0EPKiPiPKlPlN2at6native12_GLOBAL__N_18offset_tEEE10hipError_tPvRmT1_PNSt15iterator_traitsISY_E10value_typeET2_T3_PNSZ_IS14_E10value_typeET4_jRbjT5_S1A_jjP12ihipStream_tbEUljE_EEESV_SW_SX_S14_S18_S1A_T6_T7_T9_mT8_S1C_bDpT10_ENKUlT_T0_E_clISt17integral_constantIbLb1EES1O_IbLb0EEEEDaS1K_S1L_EUlS1K_E_NS1_11comp_targetILNS1_3genE2ELNS1_11target_archE906ELNS1_3gpuE6ELNS1_3repE0EEENS1_30default_config_static_selectorELNS0_4arch9wavefront6targetE0EEEvSY_.num_vgpr, 0
	.set _ZN7rocprim17ROCPRIM_400000_NS6detail17trampoline_kernelINS0_13select_configILj256ELj13ELNS0_17block_load_methodE3ELS4_3ELS4_3ELNS0_20block_scan_algorithmE0ELj4294967295EEENS1_25partition_config_selectorILNS1_17partition_subalgoE3EjNS0_10empty_typeEbEEZZNS1_14partition_implILS8_3ELb0ES6_jNS0_17counting_iteratorIjlEEPS9_SE_NS0_5tupleIJPjSE_EEENSF_IJSE_SE_EEES9_SG_JZNS1_25segmented_radix_sort_implINS0_14default_configELb0EPKiPiPKlPlN2at6native12_GLOBAL__N_18offset_tEEE10hipError_tPvRmT1_PNSt15iterator_traitsISY_E10value_typeET2_T3_PNSZ_IS14_E10value_typeET4_jRbjT5_S1A_jjP12ihipStream_tbEUljE_EEESV_SW_SX_S14_S18_S1A_T6_T7_T9_mT8_S1C_bDpT10_ENKUlT_T0_E_clISt17integral_constantIbLb1EES1O_IbLb0EEEEDaS1K_S1L_EUlS1K_E_NS1_11comp_targetILNS1_3genE2ELNS1_11target_archE906ELNS1_3gpuE6ELNS1_3repE0EEENS1_30default_config_static_selectorELNS0_4arch9wavefront6targetE0EEEvSY_.num_agpr, 0
	.set _ZN7rocprim17ROCPRIM_400000_NS6detail17trampoline_kernelINS0_13select_configILj256ELj13ELNS0_17block_load_methodE3ELS4_3ELS4_3ELNS0_20block_scan_algorithmE0ELj4294967295EEENS1_25partition_config_selectorILNS1_17partition_subalgoE3EjNS0_10empty_typeEbEEZZNS1_14partition_implILS8_3ELb0ES6_jNS0_17counting_iteratorIjlEEPS9_SE_NS0_5tupleIJPjSE_EEENSF_IJSE_SE_EEES9_SG_JZNS1_25segmented_radix_sort_implINS0_14default_configELb0EPKiPiPKlPlN2at6native12_GLOBAL__N_18offset_tEEE10hipError_tPvRmT1_PNSt15iterator_traitsISY_E10value_typeET2_T3_PNSZ_IS14_E10value_typeET4_jRbjT5_S1A_jjP12ihipStream_tbEUljE_EEESV_SW_SX_S14_S18_S1A_T6_T7_T9_mT8_S1C_bDpT10_ENKUlT_T0_E_clISt17integral_constantIbLb1EES1O_IbLb0EEEEDaS1K_S1L_EUlS1K_E_NS1_11comp_targetILNS1_3genE2ELNS1_11target_archE906ELNS1_3gpuE6ELNS1_3repE0EEENS1_30default_config_static_selectorELNS0_4arch9wavefront6targetE0EEEvSY_.numbered_sgpr, 0
	.set _ZN7rocprim17ROCPRIM_400000_NS6detail17trampoline_kernelINS0_13select_configILj256ELj13ELNS0_17block_load_methodE3ELS4_3ELS4_3ELNS0_20block_scan_algorithmE0ELj4294967295EEENS1_25partition_config_selectorILNS1_17partition_subalgoE3EjNS0_10empty_typeEbEEZZNS1_14partition_implILS8_3ELb0ES6_jNS0_17counting_iteratorIjlEEPS9_SE_NS0_5tupleIJPjSE_EEENSF_IJSE_SE_EEES9_SG_JZNS1_25segmented_radix_sort_implINS0_14default_configELb0EPKiPiPKlPlN2at6native12_GLOBAL__N_18offset_tEEE10hipError_tPvRmT1_PNSt15iterator_traitsISY_E10value_typeET2_T3_PNSZ_IS14_E10value_typeET4_jRbjT5_S1A_jjP12ihipStream_tbEUljE_EEESV_SW_SX_S14_S18_S1A_T6_T7_T9_mT8_S1C_bDpT10_ENKUlT_T0_E_clISt17integral_constantIbLb1EES1O_IbLb0EEEEDaS1K_S1L_EUlS1K_E_NS1_11comp_targetILNS1_3genE2ELNS1_11target_archE906ELNS1_3gpuE6ELNS1_3repE0EEENS1_30default_config_static_selectorELNS0_4arch9wavefront6targetE0EEEvSY_.num_named_barrier, 0
	.set _ZN7rocprim17ROCPRIM_400000_NS6detail17trampoline_kernelINS0_13select_configILj256ELj13ELNS0_17block_load_methodE3ELS4_3ELS4_3ELNS0_20block_scan_algorithmE0ELj4294967295EEENS1_25partition_config_selectorILNS1_17partition_subalgoE3EjNS0_10empty_typeEbEEZZNS1_14partition_implILS8_3ELb0ES6_jNS0_17counting_iteratorIjlEEPS9_SE_NS0_5tupleIJPjSE_EEENSF_IJSE_SE_EEES9_SG_JZNS1_25segmented_radix_sort_implINS0_14default_configELb0EPKiPiPKlPlN2at6native12_GLOBAL__N_18offset_tEEE10hipError_tPvRmT1_PNSt15iterator_traitsISY_E10value_typeET2_T3_PNSZ_IS14_E10value_typeET4_jRbjT5_S1A_jjP12ihipStream_tbEUljE_EEESV_SW_SX_S14_S18_S1A_T6_T7_T9_mT8_S1C_bDpT10_ENKUlT_T0_E_clISt17integral_constantIbLb1EES1O_IbLb0EEEEDaS1K_S1L_EUlS1K_E_NS1_11comp_targetILNS1_3genE2ELNS1_11target_archE906ELNS1_3gpuE6ELNS1_3repE0EEENS1_30default_config_static_selectorELNS0_4arch9wavefront6targetE0EEEvSY_.private_seg_size, 0
	.set _ZN7rocprim17ROCPRIM_400000_NS6detail17trampoline_kernelINS0_13select_configILj256ELj13ELNS0_17block_load_methodE3ELS4_3ELS4_3ELNS0_20block_scan_algorithmE0ELj4294967295EEENS1_25partition_config_selectorILNS1_17partition_subalgoE3EjNS0_10empty_typeEbEEZZNS1_14partition_implILS8_3ELb0ES6_jNS0_17counting_iteratorIjlEEPS9_SE_NS0_5tupleIJPjSE_EEENSF_IJSE_SE_EEES9_SG_JZNS1_25segmented_radix_sort_implINS0_14default_configELb0EPKiPiPKlPlN2at6native12_GLOBAL__N_18offset_tEEE10hipError_tPvRmT1_PNSt15iterator_traitsISY_E10value_typeET2_T3_PNSZ_IS14_E10value_typeET4_jRbjT5_S1A_jjP12ihipStream_tbEUljE_EEESV_SW_SX_S14_S18_S1A_T6_T7_T9_mT8_S1C_bDpT10_ENKUlT_T0_E_clISt17integral_constantIbLb1EES1O_IbLb0EEEEDaS1K_S1L_EUlS1K_E_NS1_11comp_targetILNS1_3genE2ELNS1_11target_archE906ELNS1_3gpuE6ELNS1_3repE0EEENS1_30default_config_static_selectorELNS0_4arch9wavefront6targetE0EEEvSY_.uses_vcc, 0
	.set _ZN7rocprim17ROCPRIM_400000_NS6detail17trampoline_kernelINS0_13select_configILj256ELj13ELNS0_17block_load_methodE3ELS4_3ELS4_3ELNS0_20block_scan_algorithmE0ELj4294967295EEENS1_25partition_config_selectorILNS1_17partition_subalgoE3EjNS0_10empty_typeEbEEZZNS1_14partition_implILS8_3ELb0ES6_jNS0_17counting_iteratorIjlEEPS9_SE_NS0_5tupleIJPjSE_EEENSF_IJSE_SE_EEES9_SG_JZNS1_25segmented_radix_sort_implINS0_14default_configELb0EPKiPiPKlPlN2at6native12_GLOBAL__N_18offset_tEEE10hipError_tPvRmT1_PNSt15iterator_traitsISY_E10value_typeET2_T3_PNSZ_IS14_E10value_typeET4_jRbjT5_S1A_jjP12ihipStream_tbEUljE_EEESV_SW_SX_S14_S18_S1A_T6_T7_T9_mT8_S1C_bDpT10_ENKUlT_T0_E_clISt17integral_constantIbLb1EES1O_IbLb0EEEEDaS1K_S1L_EUlS1K_E_NS1_11comp_targetILNS1_3genE2ELNS1_11target_archE906ELNS1_3gpuE6ELNS1_3repE0EEENS1_30default_config_static_selectorELNS0_4arch9wavefront6targetE0EEEvSY_.uses_flat_scratch, 0
	.set _ZN7rocprim17ROCPRIM_400000_NS6detail17trampoline_kernelINS0_13select_configILj256ELj13ELNS0_17block_load_methodE3ELS4_3ELS4_3ELNS0_20block_scan_algorithmE0ELj4294967295EEENS1_25partition_config_selectorILNS1_17partition_subalgoE3EjNS0_10empty_typeEbEEZZNS1_14partition_implILS8_3ELb0ES6_jNS0_17counting_iteratorIjlEEPS9_SE_NS0_5tupleIJPjSE_EEENSF_IJSE_SE_EEES9_SG_JZNS1_25segmented_radix_sort_implINS0_14default_configELb0EPKiPiPKlPlN2at6native12_GLOBAL__N_18offset_tEEE10hipError_tPvRmT1_PNSt15iterator_traitsISY_E10value_typeET2_T3_PNSZ_IS14_E10value_typeET4_jRbjT5_S1A_jjP12ihipStream_tbEUljE_EEESV_SW_SX_S14_S18_S1A_T6_T7_T9_mT8_S1C_bDpT10_ENKUlT_T0_E_clISt17integral_constantIbLb1EES1O_IbLb0EEEEDaS1K_S1L_EUlS1K_E_NS1_11comp_targetILNS1_3genE2ELNS1_11target_archE906ELNS1_3gpuE6ELNS1_3repE0EEENS1_30default_config_static_selectorELNS0_4arch9wavefront6targetE0EEEvSY_.has_dyn_sized_stack, 0
	.set _ZN7rocprim17ROCPRIM_400000_NS6detail17trampoline_kernelINS0_13select_configILj256ELj13ELNS0_17block_load_methodE3ELS4_3ELS4_3ELNS0_20block_scan_algorithmE0ELj4294967295EEENS1_25partition_config_selectorILNS1_17partition_subalgoE3EjNS0_10empty_typeEbEEZZNS1_14partition_implILS8_3ELb0ES6_jNS0_17counting_iteratorIjlEEPS9_SE_NS0_5tupleIJPjSE_EEENSF_IJSE_SE_EEES9_SG_JZNS1_25segmented_radix_sort_implINS0_14default_configELb0EPKiPiPKlPlN2at6native12_GLOBAL__N_18offset_tEEE10hipError_tPvRmT1_PNSt15iterator_traitsISY_E10value_typeET2_T3_PNSZ_IS14_E10value_typeET4_jRbjT5_S1A_jjP12ihipStream_tbEUljE_EEESV_SW_SX_S14_S18_S1A_T6_T7_T9_mT8_S1C_bDpT10_ENKUlT_T0_E_clISt17integral_constantIbLb1EES1O_IbLb0EEEEDaS1K_S1L_EUlS1K_E_NS1_11comp_targetILNS1_3genE2ELNS1_11target_archE906ELNS1_3gpuE6ELNS1_3repE0EEENS1_30default_config_static_selectorELNS0_4arch9wavefront6targetE0EEEvSY_.has_recursion, 0
	.set _ZN7rocprim17ROCPRIM_400000_NS6detail17trampoline_kernelINS0_13select_configILj256ELj13ELNS0_17block_load_methodE3ELS4_3ELS4_3ELNS0_20block_scan_algorithmE0ELj4294967295EEENS1_25partition_config_selectorILNS1_17partition_subalgoE3EjNS0_10empty_typeEbEEZZNS1_14partition_implILS8_3ELb0ES6_jNS0_17counting_iteratorIjlEEPS9_SE_NS0_5tupleIJPjSE_EEENSF_IJSE_SE_EEES9_SG_JZNS1_25segmented_radix_sort_implINS0_14default_configELb0EPKiPiPKlPlN2at6native12_GLOBAL__N_18offset_tEEE10hipError_tPvRmT1_PNSt15iterator_traitsISY_E10value_typeET2_T3_PNSZ_IS14_E10value_typeET4_jRbjT5_S1A_jjP12ihipStream_tbEUljE_EEESV_SW_SX_S14_S18_S1A_T6_T7_T9_mT8_S1C_bDpT10_ENKUlT_T0_E_clISt17integral_constantIbLb1EES1O_IbLb0EEEEDaS1K_S1L_EUlS1K_E_NS1_11comp_targetILNS1_3genE2ELNS1_11target_archE906ELNS1_3gpuE6ELNS1_3repE0EEENS1_30default_config_static_selectorELNS0_4arch9wavefront6targetE0EEEvSY_.has_indirect_call, 0
	.section	.AMDGPU.csdata,"",@progbits
; Kernel info:
; codeLenInByte = 0
; TotalNumSgprs: 0
; NumVgprs: 0
; ScratchSize: 0
; MemoryBound: 0
; FloatMode: 240
; IeeeMode: 1
; LDSByteSize: 0 bytes/workgroup (compile time only)
; SGPRBlocks: 0
; VGPRBlocks: 0
; NumSGPRsForWavesPerEU: 1
; NumVGPRsForWavesPerEU: 1
; Occupancy: 16
; WaveLimiterHint : 0
; COMPUTE_PGM_RSRC2:SCRATCH_EN: 0
; COMPUTE_PGM_RSRC2:USER_SGPR: 6
; COMPUTE_PGM_RSRC2:TRAP_HANDLER: 0
; COMPUTE_PGM_RSRC2:TGID_X_EN: 1
; COMPUTE_PGM_RSRC2:TGID_Y_EN: 0
; COMPUTE_PGM_RSRC2:TGID_Z_EN: 0
; COMPUTE_PGM_RSRC2:TIDIG_COMP_CNT: 0
	.section	.text._ZN7rocprim17ROCPRIM_400000_NS6detail17trampoline_kernelINS0_13select_configILj256ELj13ELNS0_17block_load_methodE3ELS4_3ELS4_3ELNS0_20block_scan_algorithmE0ELj4294967295EEENS1_25partition_config_selectorILNS1_17partition_subalgoE3EjNS0_10empty_typeEbEEZZNS1_14partition_implILS8_3ELb0ES6_jNS0_17counting_iteratorIjlEEPS9_SE_NS0_5tupleIJPjSE_EEENSF_IJSE_SE_EEES9_SG_JZNS1_25segmented_radix_sort_implINS0_14default_configELb0EPKiPiPKlPlN2at6native12_GLOBAL__N_18offset_tEEE10hipError_tPvRmT1_PNSt15iterator_traitsISY_E10value_typeET2_T3_PNSZ_IS14_E10value_typeET4_jRbjT5_S1A_jjP12ihipStream_tbEUljE_EEESV_SW_SX_S14_S18_S1A_T6_T7_T9_mT8_S1C_bDpT10_ENKUlT_T0_E_clISt17integral_constantIbLb1EES1O_IbLb0EEEEDaS1K_S1L_EUlS1K_E_NS1_11comp_targetILNS1_3genE10ELNS1_11target_archE1200ELNS1_3gpuE4ELNS1_3repE0EEENS1_30default_config_static_selectorELNS0_4arch9wavefront6targetE0EEEvSY_,"axG",@progbits,_ZN7rocprim17ROCPRIM_400000_NS6detail17trampoline_kernelINS0_13select_configILj256ELj13ELNS0_17block_load_methodE3ELS4_3ELS4_3ELNS0_20block_scan_algorithmE0ELj4294967295EEENS1_25partition_config_selectorILNS1_17partition_subalgoE3EjNS0_10empty_typeEbEEZZNS1_14partition_implILS8_3ELb0ES6_jNS0_17counting_iteratorIjlEEPS9_SE_NS0_5tupleIJPjSE_EEENSF_IJSE_SE_EEES9_SG_JZNS1_25segmented_radix_sort_implINS0_14default_configELb0EPKiPiPKlPlN2at6native12_GLOBAL__N_18offset_tEEE10hipError_tPvRmT1_PNSt15iterator_traitsISY_E10value_typeET2_T3_PNSZ_IS14_E10value_typeET4_jRbjT5_S1A_jjP12ihipStream_tbEUljE_EEESV_SW_SX_S14_S18_S1A_T6_T7_T9_mT8_S1C_bDpT10_ENKUlT_T0_E_clISt17integral_constantIbLb1EES1O_IbLb0EEEEDaS1K_S1L_EUlS1K_E_NS1_11comp_targetILNS1_3genE10ELNS1_11target_archE1200ELNS1_3gpuE4ELNS1_3repE0EEENS1_30default_config_static_selectorELNS0_4arch9wavefront6targetE0EEEvSY_,comdat
	.globl	_ZN7rocprim17ROCPRIM_400000_NS6detail17trampoline_kernelINS0_13select_configILj256ELj13ELNS0_17block_load_methodE3ELS4_3ELS4_3ELNS0_20block_scan_algorithmE0ELj4294967295EEENS1_25partition_config_selectorILNS1_17partition_subalgoE3EjNS0_10empty_typeEbEEZZNS1_14partition_implILS8_3ELb0ES6_jNS0_17counting_iteratorIjlEEPS9_SE_NS0_5tupleIJPjSE_EEENSF_IJSE_SE_EEES9_SG_JZNS1_25segmented_radix_sort_implINS0_14default_configELb0EPKiPiPKlPlN2at6native12_GLOBAL__N_18offset_tEEE10hipError_tPvRmT1_PNSt15iterator_traitsISY_E10value_typeET2_T3_PNSZ_IS14_E10value_typeET4_jRbjT5_S1A_jjP12ihipStream_tbEUljE_EEESV_SW_SX_S14_S18_S1A_T6_T7_T9_mT8_S1C_bDpT10_ENKUlT_T0_E_clISt17integral_constantIbLb1EES1O_IbLb0EEEEDaS1K_S1L_EUlS1K_E_NS1_11comp_targetILNS1_3genE10ELNS1_11target_archE1200ELNS1_3gpuE4ELNS1_3repE0EEENS1_30default_config_static_selectorELNS0_4arch9wavefront6targetE0EEEvSY_ ; -- Begin function _ZN7rocprim17ROCPRIM_400000_NS6detail17trampoline_kernelINS0_13select_configILj256ELj13ELNS0_17block_load_methodE3ELS4_3ELS4_3ELNS0_20block_scan_algorithmE0ELj4294967295EEENS1_25partition_config_selectorILNS1_17partition_subalgoE3EjNS0_10empty_typeEbEEZZNS1_14partition_implILS8_3ELb0ES6_jNS0_17counting_iteratorIjlEEPS9_SE_NS0_5tupleIJPjSE_EEENSF_IJSE_SE_EEES9_SG_JZNS1_25segmented_radix_sort_implINS0_14default_configELb0EPKiPiPKlPlN2at6native12_GLOBAL__N_18offset_tEEE10hipError_tPvRmT1_PNSt15iterator_traitsISY_E10value_typeET2_T3_PNSZ_IS14_E10value_typeET4_jRbjT5_S1A_jjP12ihipStream_tbEUljE_EEESV_SW_SX_S14_S18_S1A_T6_T7_T9_mT8_S1C_bDpT10_ENKUlT_T0_E_clISt17integral_constantIbLb1EES1O_IbLb0EEEEDaS1K_S1L_EUlS1K_E_NS1_11comp_targetILNS1_3genE10ELNS1_11target_archE1200ELNS1_3gpuE4ELNS1_3repE0EEENS1_30default_config_static_selectorELNS0_4arch9wavefront6targetE0EEEvSY_
	.p2align	8
	.type	_ZN7rocprim17ROCPRIM_400000_NS6detail17trampoline_kernelINS0_13select_configILj256ELj13ELNS0_17block_load_methodE3ELS4_3ELS4_3ELNS0_20block_scan_algorithmE0ELj4294967295EEENS1_25partition_config_selectorILNS1_17partition_subalgoE3EjNS0_10empty_typeEbEEZZNS1_14partition_implILS8_3ELb0ES6_jNS0_17counting_iteratorIjlEEPS9_SE_NS0_5tupleIJPjSE_EEENSF_IJSE_SE_EEES9_SG_JZNS1_25segmented_radix_sort_implINS0_14default_configELb0EPKiPiPKlPlN2at6native12_GLOBAL__N_18offset_tEEE10hipError_tPvRmT1_PNSt15iterator_traitsISY_E10value_typeET2_T3_PNSZ_IS14_E10value_typeET4_jRbjT5_S1A_jjP12ihipStream_tbEUljE_EEESV_SW_SX_S14_S18_S1A_T6_T7_T9_mT8_S1C_bDpT10_ENKUlT_T0_E_clISt17integral_constantIbLb1EES1O_IbLb0EEEEDaS1K_S1L_EUlS1K_E_NS1_11comp_targetILNS1_3genE10ELNS1_11target_archE1200ELNS1_3gpuE4ELNS1_3repE0EEENS1_30default_config_static_selectorELNS0_4arch9wavefront6targetE0EEEvSY_,@function
_ZN7rocprim17ROCPRIM_400000_NS6detail17trampoline_kernelINS0_13select_configILj256ELj13ELNS0_17block_load_methodE3ELS4_3ELS4_3ELNS0_20block_scan_algorithmE0ELj4294967295EEENS1_25partition_config_selectorILNS1_17partition_subalgoE3EjNS0_10empty_typeEbEEZZNS1_14partition_implILS8_3ELb0ES6_jNS0_17counting_iteratorIjlEEPS9_SE_NS0_5tupleIJPjSE_EEENSF_IJSE_SE_EEES9_SG_JZNS1_25segmented_radix_sort_implINS0_14default_configELb0EPKiPiPKlPlN2at6native12_GLOBAL__N_18offset_tEEE10hipError_tPvRmT1_PNSt15iterator_traitsISY_E10value_typeET2_T3_PNSZ_IS14_E10value_typeET4_jRbjT5_S1A_jjP12ihipStream_tbEUljE_EEESV_SW_SX_S14_S18_S1A_T6_T7_T9_mT8_S1C_bDpT10_ENKUlT_T0_E_clISt17integral_constantIbLb1EES1O_IbLb0EEEEDaS1K_S1L_EUlS1K_E_NS1_11comp_targetILNS1_3genE10ELNS1_11target_archE1200ELNS1_3gpuE4ELNS1_3repE0EEENS1_30default_config_static_selectorELNS0_4arch9wavefront6targetE0EEEvSY_: ; @_ZN7rocprim17ROCPRIM_400000_NS6detail17trampoline_kernelINS0_13select_configILj256ELj13ELNS0_17block_load_methodE3ELS4_3ELS4_3ELNS0_20block_scan_algorithmE0ELj4294967295EEENS1_25partition_config_selectorILNS1_17partition_subalgoE3EjNS0_10empty_typeEbEEZZNS1_14partition_implILS8_3ELb0ES6_jNS0_17counting_iteratorIjlEEPS9_SE_NS0_5tupleIJPjSE_EEENSF_IJSE_SE_EEES9_SG_JZNS1_25segmented_radix_sort_implINS0_14default_configELb0EPKiPiPKlPlN2at6native12_GLOBAL__N_18offset_tEEE10hipError_tPvRmT1_PNSt15iterator_traitsISY_E10value_typeET2_T3_PNSZ_IS14_E10value_typeET4_jRbjT5_S1A_jjP12ihipStream_tbEUljE_EEESV_SW_SX_S14_S18_S1A_T6_T7_T9_mT8_S1C_bDpT10_ENKUlT_T0_E_clISt17integral_constantIbLb1EES1O_IbLb0EEEEDaS1K_S1L_EUlS1K_E_NS1_11comp_targetILNS1_3genE10ELNS1_11target_archE1200ELNS1_3gpuE4ELNS1_3repE0EEENS1_30default_config_static_selectorELNS0_4arch9wavefront6targetE0EEEvSY_
; %bb.0:
	.section	.rodata,"a",@progbits
	.p2align	6, 0x0
	.amdhsa_kernel _ZN7rocprim17ROCPRIM_400000_NS6detail17trampoline_kernelINS0_13select_configILj256ELj13ELNS0_17block_load_methodE3ELS4_3ELS4_3ELNS0_20block_scan_algorithmE0ELj4294967295EEENS1_25partition_config_selectorILNS1_17partition_subalgoE3EjNS0_10empty_typeEbEEZZNS1_14partition_implILS8_3ELb0ES6_jNS0_17counting_iteratorIjlEEPS9_SE_NS0_5tupleIJPjSE_EEENSF_IJSE_SE_EEES9_SG_JZNS1_25segmented_radix_sort_implINS0_14default_configELb0EPKiPiPKlPlN2at6native12_GLOBAL__N_18offset_tEEE10hipError_tPvRmT1_PNSt15iterator_traitsISY_E10value_typeET2_T3_PNSZ_IS14_E10value_typeET4_jRbjT5_S1A_jjP12ihipStream_tbEUljE_EEESV_SW_SX_S14_S18_S1A_T6_T7_T9_mT8_S1C_bDpT10_ENKUlT_T0_E_clISt17integral_constantIbLb1EES1O_IbLb0EEEEDaS1K_S1L_EUlS1K_E_NS1_11comp_targetILNS1_3genE10ELNS1_11target_archE1200ELNS1_3gpuE4ELNS1_3repE0EEENS1_30default_config_static_selectorELNS0_4arch9wavefront6targetE0EEEvSY_
		.amdhsa_group_segment_fixed_size 0
		.amdhsa_private_segment_fixed_size 0
		.amdhsa_kernarg_size 144
		.amdhsa_user_sgpr_count 6
		.amdhsa_user_sgpr_private_segment_buffer 1
		.amdhsa_user_sgpr_dispatch_ptr 0
		.amdhsa_user_sgpr_queue_ptr 0
		.amdhsa_user_sgpr_kernarg_segment_ptr 1
		.amdhsa_user_sgpr_dispatch_id 0
		.amdhsa_user_sgpr_flat_scratch_init 0
		.amdhsa_user_sgpr_private_segment_size 0
		.amdhsa_wavefront_size32 1
		.amdhsa_uses_dynamic_stack 0
		.amdhsa_system_sgpr_private_segment_wavefront_offset 0
		.amdhsa_system_sgpr_workgroup_id_x 1
		.amdhsa_system_sgpr_workgroup_id_y 0
		.amdhsa_system_sgpr_workgroup_id_z 0
		.amdhsa_system_sgpr_workgroup_info 0
		.amdhsa_system_vgpr_workitem_id 0
		.amdhsa_next_free_vgpr 1
		.amdhsa_next_free_sgpr 1
		.amdhsa_reserve_vcc 0
		.amdhsa_reserve_flat_scratch 0
		.amdhsa_float_round_mode_32 0
		.amdhsa_float_round_mode_16_64 0
		.amdhsa_float_denorm_mode_32 3
		.amdhsa_float_denorm_mode_16_64 3
		.amdhsa_dx10_clamp 1
		.amdhsa_ieee_mode 1
		.amdhsa_fp16_overflow 0
		.amdhsa_workgroup_processor_mode 1
		.amdhsa_memory_ordered 1
		.amdhsa_forward_progress 1
		.amdhsa_shared_vgpr_count 0
		.amdhsa_exception_fp_ieee_invalid_op 0
		.amdhsa_exception_fp_denorm_src 0
		.amdhsa_exception_fp_ieee_div_zero 0
		.amdhsa_exception_fp_ieee_overflow 0
		.amdhsa_exception_fp_ieee_underflow 0
		.amdhsa_exception_fp_ieee_inexact 0
		.amdhsa_exception_int_div_zero 0
	.end_amdhsa_kernel
	.section	.text._ZN7rocprim17ROCPRIM_400000_NS6detail17trampoline_kernelINS0_13select_configILj256ELj13ELNS0_17block_load_methodE3ELS4_3ELS4_3ELNS0_20block_scan_algorithmE0ELj4294967295EEENS1_25partition_config_selectorILNS1_17partition_subalgoE3EjNS0_10empty_typeEbEEZZNS1_14partition_implILS8_3ELb0ES6_jNS0_17counting_iteratorIjlEEPS9_SE_NS0_5tupleIJPjSE_EEENSF_IJSE_SE_EEES9_SG_JZNS1_25segmented_radix_sort_implINS0_14default_configELb0EPKiPiPKlPlN2at6native12_GLOBAL__N_18offset_tEEE10hipError_tPvRmT1_PNSt15iterator_traitsISY_E10value_typeET2_T3_PNSZ_IS14_E10value_typeET4_jRbjT5_S1A_jjP12ihipStream_tbEUljE_EEESV_SW_SX_S14_S18_S1A_T6_T7_T9_mT8_S1C_bDpT10_ENKUlT_T0_E_clISt17integral_constantIbLb1EES1O_IbLb0EEEEDaS1K_S1L_EUlS1K_E_NS1_11comp_targetILNS1_3genE10ELNS1_11target_archE1200ELNS1_3gpuE4ELNS1_3repE0EEENS1_30default_config_static_selectorELNS0_4arch9wavefront6targetE0EEEvSY_,"axG",@progbits,_ZN7rocprim17ROCPRIM_400000_NS6detail17trampoline_kernelINS0_13select_configILj256ELj13ELNS0_17block_load_methodE3ELS4_3ELS4_3ELNS0_20block_scan_algorithmE0ELj4294967295EEENS1_25partition_config_selectorILNS1_17partition_subalgoE3EjNS0_10empty_typeEbEEZZNS1_14partition_implILS8_3ELb0ES6_jNS0_17counting_iteratorIjlEEPS9_SE_NS0_5tupleIJPjSE_EEENSF_IJSE_SE_EEES9_SG_JZNS1_25segmented_radix_sort_implINS0_14default_configELb0EPKiPiPKlPlN2at6native12_GLOBAL__N_18offset_tEEE10hipError_tPvRmT1_PNSt15iterator_traitsISY_E10value_typeET2_T3_PNSZ_IS14_E10value_typeET4_jRbjT5_S1A_jjP12ihipStream_tbEUljE_EEESV_SW_SX_S14_S18_S1A_T6_T7_T9_mT8_S1C_bDpT10_ENKUlT_T0_E_clISt17integral_constantIbLb1EES1O_IbLb0EEEEDaS1K_S1L_EUlS1K_E_NS1_11comp_targetILNS1_3genE10ELNS1_11target_archE1200ELNS1_3gpuE4ELNS1_3repE0EEENS1_30default_config_static_selectorELNS0_4arch9wavefront6targetE0EEEvSY_,comdat
.Lfunc_end584:
	.size	_ZN7rocprim17ROCPRIM_400000_NS6detail17trampoline_kernelINS0_13select_configILj256ELj13ELNS0_17block_load_methodE3ELS4_3ELS4_3ELNS0_20block_scan_algorithmE0ELj4294967295EEENS1_25partition_config_selectorILNS1_17partition_subalgoE3EjNS0_10empty_typeEbEEZZNS1_14partition_implILS8_3ELb0ES6_jNS0_17counting_iteratorIjlEEPS9_SE_NS0_5tupleIJPjSE_EEENSF_IJSE_SE_EEES9_SG_JZNS1_25segmented_radix_sort_implINS0_14default_configELb0EPKiPiPKlPlN2at6native12_GLOBAL__N_18offset_tEEE10hipError_tPvRmT1_PNSt15iterator_traitsISY_E10value_typeET2_T3_PNSZ_IS14_E10value_typeET4_jRbjT5_S1A_jjP12ihipStream_tbEUljE_EEESV_SW_SX_S14_S18_S1A_T6_T7_T9_mT8_S1C_bDpT10_ENKUlT_T0_E_clISt17integral_constantIbLb1EES1O_IbLb0EEEEDaS1K_S1L_EUlS1K_E_NS1_11comp_targetILNS1_3genE10ELNS1_11target_archE1200ELNS1_3gpuE4ELNS1_3repE0EEENS1_30default_config_static_selectorELNS0_4arch9wavefront6targetE0EEEvSY_, .Lfunc_end584-_ZN7rocprim17ROCPRIM_400000_NS6detail17trampoline_kernelINS0_13select_configILj256ELj13ELNS0_17block_load_methodE3ELS4_3ELS4_3ELNS0_20block_scan_algorithmE0ELj4294967295EEENS1_25partition_config_selectorILNS1_17partition_subalgoE3EjNS0_10empty_typeEbEEZZNS1_14partition_implILS8_3ELb0ES6_jNS0_17counting_iteratorIjlEEPS9_SE_NS0_5tupleIJPjSE_EEENSF_IJSE_SE_EEES9_SG_JZNS1_25segmented_radix_sort_implINS0_14default_configELb0EPKiPiPKlPlN2at6native12_GLOBAL__N_18offset_tEEE10hipError_tPvRmT1_PNSt15iterator_traitsISY_E10value_typeET2_T3_PNSZ_IS14_E10value_typeET4_jRbjT5_S1A_jjP12ihipStream_tbEUljE_EEESV_SW_SX_S14_S18_S1A_T6_T7_T9_mT8_S1C_bDpT10_ENKUlT_T0_E_clISt17integral_constantIbLb1EES1O_IbLb0EEEEDaS1K_S1L_EUlS1K_E_NS1_11comp_targetILNS1_3genE10ELNS1_11target_archE1200ELNS1_3gpuE4ELNS1_3repE0EEENS1_30default_config_static_selectorELNS0_4arch9wavefront6targetE0EEEvSY_
                                        ; -- End function
	.set _ZN7rocprim17ROCPRIM_400000_NS6detail17trampoline_kernelINS0_13select_configILj256ELj13ELNS0_17block_load_methodE3ELS4_3ELS4_3ELNS0_20block_scan_algorithmE0ELj4294967295EEENS1_25partition_config_selectorILNS1_17partition_subalgoE3EjNS0_10empty_typeEbEEZZNS1_14partition_implILS8_3ELb0ES6_jNS0_17counting_iteratorIjlEEPS9_SE_NS0_5tupleIJPjSE_EEENSF_IJSE_SE_EEES9_SG_JZNS1_25segmented_radix_sort_implINS0_14default_configELb0EPKiPiPKlPlN2at6native12_GLOBAL__N_18offset_tEEE10hipError_tPvRmT1_PNSt15iterator_traitsISY_E10value_typeET2_T3_PNSZ_IS14_E10value_typeET4_jRbjT5_S1A_jjP12ihipStream_tbEUljE_EEESV_SW_SX_S14_S18_S1A_T6_T7_T9_mT8_S1C_bDpT10_ENKUlT_T0_E_clISt17integral_constantIbLb1EES1O_IbLb0EEEEDaS1K_S1L_EUlS1K_E_NS1_11comp_targetILNS1_3genE10ELNS1_11target_archE1200ELNS1_3gpuE4ELNS1_3repE0EEENS1_30default_config_static_selectorELNS0_4arch9wavefront6targetE0EEEvSY_.num_vgpr, 0
	.set _ZN7rocprim17ROCPRIM_400000_NS6detail17trampoline_kernelINS0_13select_configILj256ELj13ELNS0_17block_load_methodE3ELS4_3ELS4_3ELNS0_20block_scan_algorithmE0ELj4294967295EEENS1_25partition_config_selectorILNS1_17partition_subalgoE3EjNS0_10empty_typeEbEEZZNS1_14partition_implILS8_3ELb0ES6_jNS0_17counting_iteratorIjlEEPS9_SE_NS0_5tupleIJPjSE_EEENSF_IJSE_SE_EEES9_SG_JZNS1_25segmented_radix_sort_implINS0_14default_configELb0EPKiPiPKlPlN2at6native12_GLOBAL__N_18offset_tEEE10hipError_tPvRmT1_PNSt15iterator_traitsISY_E10value_typeET2_T3_PNSZ_IS14_E10value_typeET4_jRbjT5_S1A_jjP12ihipStream_tbEUljE_EEESV_SW_SX_S14_S18_S1A_T6_T7_T9_mT8_S1C_bDpT10_ENKUlT_T0_E_clISt17integral_constantIbLb1EES1O_IbLb0EEEEDaS1K_S1L_EUlS1K_E_NS1_11comp_targetILNS1_3genE10ELNS1_11target_archE1200ELNS1_3gpuE4ELNS1_3repE0EEENS1_30default_config_static_selectorELNS0_4arch9wavefront6targetE0EEEvSY_.num_agpr, 0
	.set _ZN7rocprim17ROCPRIM_400000_NS6detail17trampoline_kernelINS0_13select_configILj256ELj13ELNS0_17block_load_methodE3ELS4_3ELS4_3ELNS0_20block_scan_algorithmE0ELj4294967295EEENS1_25partition_config_selectorILNS1_17partition_subalgoE3EjNS0_10empty_typeEbEEZZNS1_14partition_implILS8_3ELb0ES6_jNS0_17counting_iteratorIjlEEPS9_SE_NS0_5tupleIJPjSE_EEENSF_IJSE_SE_EEES9_SG_JZNS1_25segmented_radix_sort_implINS0_14default_configELb0EPKiPiPKlPlN2at6native12_GLOBAL__N_18offset_tEEE10hipError_tPvRmT1_PNSt15iterator_traitsISY_E10value_typeET2_T3_PNSZ_IS14_E10value_typeET4_jRbjT5_S1A_jjP12ihipStream_tbEUljE_EEESV_SW_SX_S14_S18_S1A_T6_T7_T9_mT8_S1C_bDpT10_ENKUlT_T0_E_clISt17integral_constantIbLb1EES1O_IbLb0EEEEDaS1K_S1L_EUlS1K_E_NS1_11comp_targetILNS1_3genE10ELNS1_11target_archE1200ELNS1_3gpuE4ELNS1_3repE0EEENS1_30default_config_static_selectorELNS0_4arch9wavefront6targetE0EEEvSY_.numbered_sgpr, 0
	.set _ZN7rocprim17ROCPRIM_400000_NS6detail17trampoline_kernelINS0_13select_configILj256ELj13ELNS0_17block_load_methodE3ELS4_3ELS4_3ELNS0_20block_scan_algorithmE0ELj4294967295EEENS1_25partition_config_selectorILNS1_17partition_subalgoE3EjNS0_10empty_typeEbEEZZNS1_14partition_implILS8_3ELb0ES6_jNS0_17counting_iteratorIjlEEPS9_SE_NS0_5tupleIJPjSE_EEENSF_IJSE_SE_EEES9_SG_JZNS1_25segmented_radix_sort_implINS0_14default_configELb0EPKiPiPKlPlN2at6native12_GLOBAL__N_18offset_tEEE10hipError_tPvRmT1_PNSt15iterator_traitsISY_E10value_typeET2_T3_PNSZ_IS14_E10value_typeET4_jRbjT5_S1A_jjP12ihipStream_tbEUljE_EEESV_SW_SX_S14_S18_S1A_T6_T7_T9_mT8_S1C_bDpT10_ENKUlT_T0_E_clISt17integral_constantIbLb1EES1O_IbLb0EEEEDaS1K_S1L_EUlS1K_E_NS1_11comp_targetILNS1_3genE10ELNS1_11target_archE1200ELNS1_3gpuE4ELNS1_3repE0EEENS1_30default_config_static_selectorELNS0_4arch9wavefront6targetE0EEEvSY_.num_named_barrier, 0
	.set _ZN7rocprim17ROCPRIM_400000_NS6detail17trampoline_kernelINS0_13select_configILj256ELj13ELNS0_17block_load_methodE3ELS4_3ELS4_3ELNS0_20block_scan_algorithmE0ELj4294967295EEENS1_25partition_config_selectorILNS1_17partition_subalgoE3EjNS0_10empty_typeEbEEZZNS1_14partition_implILS8_3ELb0ES6_jNS0_17counting_iteratorIjlEEPS9_SE_NS0_5tupleIJPjSE_EEENSF_IJSE_SE_EEES9_SG_JZNS1_25segmented_radix_sort_implINS0_14default_configELb0EPKiPiPKlPlN2at6native12_GLOBAL__N_18offset_tEEE10hipError_tPvRmT1_PNSt15iterator_traitsISY_E10value_typeET2_T3_PNSZ_IS14_E10value_typeET4_jRbjT5_S1A_jjP12ihipStream_tbEUljE_EEESV_SW_SX_S14_S18_S1A_T6_T7_T9_mT8_S1C_bDpT10_ENKUlT_T0_E_clISt17integral_constantIbLb1EES1O_IbLb0EEEEDaS1K_S1L_EUlS1K_E_NS1_11comp_targetILNS1_3genE10ELNS1_11target_archE1200ELNS1_3gpuE4ELNS1_3repE0EEENS1_30default_config_static_selectorELNS0_4arch9wavefront6targetE0EEEvSY_.private_seg_size, 0
	.set _ZN7rocprim17ROCPRIM_400000_NS6detail17trampoline_kernelINS0_13select_configILj256ELj13ELNS0_17block_load_methodE3ELS4_3ELS4_3ELNS0_20block_scan_algorithmE0ELj4294967295EEENS1_25partition_config_selectorILNS1_17partition_subalgoE3EjNS0_10empty_typeEbEEZZNS1_14partition_implILS8_3ELb0ES6_jNS0_17counting_iteratorIjlEEPS9_SE_NS0_5tupleIJPjSE_EEENSF_IJSE_SE_EEES9_SG_JZNS1_25segmented_radix_sort_implINS0_14default_configELb0EPKiPiPKlPlN2at6native12_GLOBAL__N_18offset_tEEE10hipError_tPvRmT1_PNSt15iterator_traitsISY_E10value_typeET2_T3_PNSZ_IS14_E10value_typeET4_jRbjT5_S1A_jjP12ihipStream_tbEUljE_EEESV_SW_SX_S14_S18_S1A_T6_T7_T9_mT8_S1C_bDpT10_ENKUlT_T0_E_clISt17integral_constantIbLb1EES1O_IbLb0EEEEDaS1K_S1L_EUlS1K_E_NS1_11comp_targetILNS1_3genE10ELNS1_11target_archE1200ELNS1_3gpuE4ELNS1_3repE0EEENS1_30default_config_static_selectorELNS0_4arch9wavefront6targetE0EEEvSY_.uses_vcc, 0
	.set _ZN7rocprim17ROCPRIM_400000_NS6detail17trampoline_kernelINS0_13select_configILj256ELj13ELNS0_17block_load_methodE3ELS4_3ELS4_3ELNS0_20block_scan_algorithmE0ELj4294967295EEENS1_25partition_config_selectorILNS1_17partition_subalgoE3EjNS0_10empty_typeEbEEZZNS1_14partition_implILS8_3ELb0ES6_jNS0_17counting_iteratorIjlEEPS9_SE_NS0_5tupleIJPjSE_EEENSF_IJSE_SE_EEES9_SG_JZNS1_25segmented_radix_sort_implINS0_14default_configELb0EPKiPiPKlPlN2at6native12_GLOBAL__N_18offset_tEEE10hipError_tPvRmT1_PNSt15iterator_traitsISY_E10value_typeET2_T3_PNSZ_IS14_E10value_typeET4_jRbjT5_S1A_jjP12ihipStream_tbEUljE_EEESV_SW_SX_S14_S18_S1A_T6_T7_T9_mT8_S1C_bDpT10_ENKUlT_T0_E_clISt17integral_constantIbLb1EES1O_IbLb0EEEEDaS1K_S1L_EUlS1K_E_NS1_11comp_targetILNS1_3genE10ELNS1_11target_archE1200ELNS1_3gpuE4ELNS1_3repE0EEENS1_30default_config_static_selectorELNS0_4arch9wavefront6targetE0EEEvSY_.uses_flat_scratch, 0
	.set _ZN7rocprim17ROCPRIM_400000_NS6detail17trampoline_kernelINS0_13select_configILj256ELj13ELNS0_17block_load_methodE3ELS4_3ELS4_3ELNS0_20block_scan_algorithmE0ELj4294967295EEENS1_25partition_config_selectorILNS1_17partition_subalgoE3EjNS0_10empty_typeEbEEZZNS1_14partition_implILS8_3ELb0ES6_jNS0_17counting_iteratorIjlEEPS9_SE_NS0_5tupleIJPjSE_EEENSF_IJSE_SE_EEES9_SG_JZNS1_25segmented_radix_sort_implINS0_14default_configELb0EPKiPiPKlPlN2at6native12_GLOBAL__N_18offset_tEEE10hipError_tPvRmT1_PNSt15iterator_traitsISY_E10value_typeET2_T3_PNSZ_IS14_E10value_typeET4_jRbjT5_S1A_jjP12ihipStream_tbEUljE_EEESV_SW_SX_S14_S18_S1A_T6_T7_T9_mT8_S1C_bDpT10_ENKUlT_T0_E_clISt17integral_constantIbLb1EES1O_IbLb0EEEEDaS1K_S1L_EUlS1K_E_NS1_11comp_targetILNS1_3genE10ELNS1_11target_archE1200ELNS1_3gpuE4ELNS1_3repE0EEENS1_30default_config_static_selectorELNS0_4arch9wavefront6targetE0EEEvSY_.has_dyn_sized_stack, 0
	.set _ZN7rocprim17ROCPRIM_400000_NS6detail17trampoline_kernelINS0_13select_configILj256ELj13ELNS0_17block_load_methodE3ELS4_3ELS4_3ELNS0_20block_scan_algorithmE0ELj4294967295EEENS1_25partition_config_selectorILNS1_17partition_subalgoE3EjNS0_10empty_typeEbEEZZNS1_14partition_implILS8_3ELb0ES6_jNS0_17counting_iteratorIjlEEPS9_SE_NS0_5tupleIJPjSE_EEENSF_IJSE_SE_EEES9_SG_JZNS1_25segmented_radix_sort_implINS0_14default_configELb0EPKiPiPKlPlN2at6native12_GLOBAL__N_18offset_tEEE10hipError_tPvRmT1_PNSt15iterator_traitsISY_E10value_typeET2_T3_PNSZ_IS14_E10value_typeET4_jRbjT5_S1A_jjP12ihipStream_tbEUljE_EEESV_SW_SX_S14_S18_S1A_T6_T7_T9_mT8_S1C_bDpT10_ENKUlT_T0_E_clISt17integral_constantIbLb1EES1O_IbLb0EEEEDaS1K_S1L_EUlS1K_E_NS1_11comp_targetILNS1_3genE10ELNS1_11target_archE1200ELNS1_3gpuE4ELNS1_3repE0EEENS1_30default_config_static_selectorELNS0_4arch9wavefront6targetE0EEEvSY_.has_recursion, 0
	.set _ZN7rocprim17ROCPRIM_400000_NS6detail17trampoline_kernelINS0_13select_configILj256ELj13ELNS0_17block_load_methodE3ELS4_3ELS4_3ELNS0_20block_scan_algorithmE0ELj4294967295EEENS1_25partition_config_selectorILNS1_17partition_subalgoE3EjNS0_10empty_typeEbEEZZNS1_14partition_implILS8_3ELb0ES6_jNS0_17counting_iteratorIjlEEPS9_SE_NS0_5tupleIJPjSE_EEENSF_IJSE_SE_EEES9_SG_JZNS1_25segmented_radix_sort_implINS0_14default_configELb0EPKiPiPKlPlN2at6native12_GLOBAL__N_18offset_tEEE10hipError_tPvRmT1_PNSt15iterator_traitsISY_E10value_typeET2_T3_PNSZ_IS14_E10value_typeET4_jRbjT5_S1A_jjP12ihipStream_tbEUljE_EEESV_SW_SX_S14_S18_S1A_T6_T7_T9_mT8_S1C_bDpT10_ENKUlT_T0_E_clISt17integral_constantIbLb1EES1O_IbLb0EEEEDaS1K_S1L_EUlS1K_E_NS1_11comp_targetILNS1_3genE10ELNS1_11target_archE1200ELNS1_3gpuE4ELNS1_3repE0EEENS1_30default_config_static_selectorELNS0_4arch9wavefront6targetE0EEEvSY_.has_indirect_call, 0
	.section	.AMDGPU.csdata,"",@progbits
; Kernel info:
; codeLenInByte = 0
; TotalNumSgprs: 0
; NumVgprs: 0
; ScratchSize: 0
; MemoryBound: 0
; FloatMode: 240
; IeeeMode: 1
; LDSByteSize: 0 bytes/workgroup (compile time only)
; SGPRBlocks: 0
; VGPRBlocks: 0
; NumSGPRsForWavesPerEU: 1
; NumVGPRsForWavesPerEU: 1
; Occupancy: 16
; WaveLimiterHint : 0
; COMPUTE_PGM_RSRC2:SCRATCH_EN: 0
; COMPUTE_PGM_RSRC2:USER_SGPR: 6
; COMPUTE_PGM_RSRC2:TRAP_HANDLER: 0
; COMPUTE_PGM_RSRC2:TGID_X_EN: 1
; COMPUTE_PGM_RSRC2:TGID_Y_EN: 0
; COMPUTE_PGM_RSRC2:TGID_Z_EN: 0
; COMPUTE_PGM_RSRC2:TIDIG_COMP_CNT: 0
	.section	.text._ZN7rocprim17ROCPRIM_400000_NS6detail17trampoline_kernelINS0_13select_configILj256ELj13ELNS0_17block_load_methodE3ELS4_3ELS4_3ELNS0_20block_scan_algorithmE0ELj4294967295EEENS1_25partition_config_selectorILNS1_17partition_subalgoE3EjNS0_10empty_typeEbEEZZNS1_14partition_implILS8_3ELb0ES6_jNS0_17counting_iteratorIjlEEPS9_SE_NS0_5tupleIJPjSE_EEENSF_IJSE_SE_EEES9_SG_JZNS1_25segmented_radix_sort_implINS0_14default_configELb0EPKiPiPKlPlN2at6native12_GLOBAL__N_18offset_tEEE10hipError_tPvRmT1_PNSt15iterator_traitsISY_E10value_typeET2_T3_PNSZ_IS14_E10value_typeET4_jRbjT5_S1A_jjP12ihipStream_tbEUljE_EEESV_SW_SX_S14_S18_S1A_T6_T7_T9_mT8_S1C_bDpT10_ENKUlT_T0_E_clISt17integral_constantIbLb1EES1O_IbLb0EEEEDaS1K_S1L_EUlS1K_E_NS1_11comp_targetILNS1_3genE9ELNS1_11target_archE1100ELNS1_3gpuE3ELNS1_3repE0EEENS1_30default_config_static_selectorELNS0_4arch9wavefront6targetE0EEEvSY_,"axG",@progbits,_ZN7rocprim17ROCPRIM_400000_NS6detail17trampoline_kernelINS0_13select_configILj256ELj13ELNS0_17block_load_methodE3ELS4_3ELS4_3ELNS0_20block_scan_algorithmE0ELj4294967295EEENS1_25partition_config_selectorILNS1_17partition_subalgoE3EjNS0_10empty_typeEbEEZZNS1_14partition_implILS8_3ELb0ES6_jNS0_17counting_iteratorIjlEEPS9_SE_NS0_5tupleIJPjSE_EEENSF_IJSE_SE_EEES9_SG_JZNS1_25segmented_radix_sort_implINS0_14default_configELb0EPKiPiPKlPlN2at6native12_GLOBAL__N_18offset_tEEE10hipError_tPvRmT1_PNSt15iterator_traitsISY_E10value_typeET2_T3_PNSZ_IS14_E10value_typeET4_jRbjT5_S1A_jjP12ihipStream_tbEUljE_EEESV_SW_SX_S14_S18_S1A_T6_T7_T9_mT8_S1C_bDpT10_ENKUlT_T0_E_clISt17integral_constantIbLb1EES1O_IbLb0EEEEDaS1K_S1L_EUlS1K_E_NS1_11comp_targetILNS1_3genE9ELNS1_11target_archE1100ELNS1_3gpuE3ELNS1_3repE0EEENS1_30default_config_static_selectorELNS0_4arch9wavefront6targetE0EEEvSY_,comdat
	.globl	_ZN7rocprim17ROCPRIM_400000_NS6detail17trampoline_kernelINS0_13select_configILj256ELj13ELNS0_17block_load_methodE3ELS4_3ELS4_3ELNS0_20block_scan_algorithmE0ELj4294967295EEENS1_25partition_config_selectorILNS1_17partition_subalgoE3EjNS0_10empty_typeEbEEZZNS1_14partition_implILS8_3ELb0ES6_jNS0_17counting_iteratorIjlEEPS9_SE_NS0_5tupleIJPjSE_EEENSF_IJSE_SE_EEES9_SG_JZNS1_25segmented_radix_sort_implINS0_14default_configELb0EPKiPiPKlPlN2at6native12_GLOBAL__N_18offset_tEEE10hipError_tPvRmT1_PNSt15iterator_traitsISY_E10value_typeET2_T3_PNSZ_IS14_E10value_typeET4_jRbjT5_S1A_jjP12ihipStream_tbEUljE_EEESV_SW_SX_S14_S18_S1A_T6_T7_T9_mT8_S1C_bDpT10_ENKUlT_T0_E_clISt17integral_constantIbLb1EES1O_IbLb0EEEEDaS1K_S1L_EUlS1K_E_NS1_11comp_targetILNS1_3genE9ELNS1_11target_archE1100ELNS1_3gpuE3ELNS1_3repE0EEENS1_30default_config_static_selectorELNS0_4arch9wavefront6targetE0EEEvSY_ ; -- Begin function _ZN7rocprim17ROCPRIM_400000_NS6detail17trampoline_kernelINS0_13select_configILj256ELj13ELNS0_17block_load_methodE3ELS4_3ELS4_3ELNS0_20block_scan_algorithmE0ELj4294967295EEENS1_25partition_config_selectorILNS1_17partition_subalgoE3EjNS0_10empty_typeEbEEZZNS1_14partition_implILS8_3ELb0ES6_jNS0_17counting_iteratorIjlEEPS9_SE_NS0_5tupleIJPjSE_EEENSF_IJSE_SE_EEES9_SG_JZNS1_25segmented_radix_sort_implINS0_14default_configELb0EPKiPiPKlPlN2at6native12_GLOBAL__N_18offset_tEEE10hipError_tPvRmT1_PNSt15iterator_traitsISY_E10value_typeET2_T3_PNSZ_IS14_E10value_typeET4_jRbjT5_S1A_jjP12ihipStream_tbEUljE_EEESV_SW_SX_S14_S18_S1A_T6_T7_T9_mT8_S1C_bDpT10_ENKUlT_T0_E_clISt17integral_constantIbLb1EES1O_IbLb0EEEEDaS1K_S1L_EUlS1K_E_NS1_11comp_targetILNS1_3genE9ELNS1_11target_archE1100ELNS1_3gpuE3ELNS1_3repE0EEENS1_30default_config_static_selectorELNS0_4arch9wavefront6targetE0EEEvSY_
	.p2align	8
	.type	_ZN7rocprim17ROCPRIM_400000_NS6detail17trampoline_kernelINS0_13select_configILj256ELj13ELNS0_17block_load_methodE3ELS4_3ELS4_3ELNS0_20block_scan_algorithmE0ELj4294967295EEENS1_25partition_config_selectorILNS1_17partition_subalgoE3EjNS0_10empty_typeEbEEZZNS1_14partition_implILS8_3ELb0ES6_jNS0_17counting_iteratorIjlEEPS9_SE_NS0_5tupleIJPjSE_EEENSF_IJSE_SE_EEES9_SG_JZNS1_25segmented_radix_sort_implINS0_14default_configELb0EPKiPiPKlPlN2at6native12_GLOBAL__N_18offset_tEEE10hipError_tPvRmT1_PNSt15iterator_traitsISY_E10value_typeET2_T3_PNSZ_IS14_E10value_typeET4_jRbjT5_S1A_jjP12ihipStream_tbEUljE_EEESV_SW_SX_S14_S18_S1A_T6_T7_T9_mT8_S1C_bDpT10_ENKUlT_T0_E_clISt17integral_constantIbLb1EES1O_IbLb0EEEEDaS1K_S1L_EUlS1K_E_NS1_11comp_targetILNS1_3genE9ELNS1_11target_archE1100ELNS1_3gpuE3ELNS1_3repE0EEENS1_30default_config_static_selectorELNS0_4arch9wavefront6targetE0EEEvSY_,@function
_ZN7rocprim17ROCPRIM_400000_NS6detail17trampoline_kernelINS0_13select_configILj256ELj13ELNS0_17block_load_methodE3ELS4_3ELS4_3ELNS0_20block_scan_algorithmE0ELj4294967295EEENS1_25partition_config_selectorILNS1_17partition_subalgoE3EjNS0_10empty_typeEbEEZZNS1_14partition_implILS8_3ELb0ES6_jNS0_17counting_iteratorIjlEEPS9_SE_NS0_5tupleIJPjSE_EEENSF_IJSE_SE_EEES9_SG_JZNS1_25segmented_radix_sort_implINS0_14default_configELb0EPKiPiPKlPlN2at6native12_GLOBAL__N_18offset_tEEE10hipError_tPvRmT1_PNSt15iterator_traitsISY_E10value_typeET2_T3_PNSZ_IS14_E10value_typeET4_jRbjT5_S1A_jjP12ihipStream_tbEUljE_EEESV_SW_SX_S14_S18_S1A_T6_T7_T9_mT8_S1C_bDpT10_ENKUlT_T0_E_clISt17integral_constantIbLb1EES1O_IbLb0EEEEDaS1K_S1L_EUlS1K_E_NS1_11comp_targetILNS1_3genE9ELNS1_11target_archE1100ELNS1_3gpuE3ELNS1_3repE0EEENS1_30default_config_static_selectorELNS0_4arch9wavefront6targetE0EEEvSY_: ; @_ZN7rocprim17ROCPRIM_400000_NS6detail17trampoline_kernelINS0_13select_configILj256ELj13ELNS0_17block_load_methodE3ELS4_3ELS4_3ELNS0_20block_scan_algorithmE0ELj4294967295EEENS1_25partition_config_selectorILNS1_17partition_subalgoE3EjNS0_10empty_typeEbEEZZNS1_14partition_implILS8_3ELb0ES6_jNS0_17counting_iteratorIjlEEPS9_SE_NS0_5tupleIJPjSE_EEENSF_IJSE_SE_EEES9_SG_JZNS1_25segmented_radix_sort_implINS0_14default_configELb0EPKiPiPKlPlN2at6native12_GLOBAL__N_18offset_tEEE10hipError_tPvRmT1_PNSt15iterator_traitsISY_E10value_typeET2_T3_PNSZ_IS14_E10value_typeET4_jRbjT5_S1A_jjP12ihipStream_tbEUljE_EEESV_SW_SX_S14_S18_S1A_T6_T7_T9_mT8_S1C_bDpT10_ENKUlT_T0_E_clISt17integral_constantIbLb1EES1O_IbLb0EEEEDaS1K_S1L_EUlS1K_E_NS1_11comp_targetILNS1_3genE9ELNS1_11target_archE1100ELNS1_3gpuE3ELNS1_3repE0EEENS1_30default_config_static_selectorELNS0_4arch9wavefront6targetE0EEEvSY_
; %bb.0:
	.section	.rodata,"a",@progbits
	.p2align	6, 0x0
	.amdhsa_kernel _ZN7rocprim17ROCPRIM_400000_NS6detail17trampoline_kernelINS0_13select_configILj256ELj13ELNS0_17block_load_methodE3ELS4_3ELS4_3ELNS0_20block_scan_algorithmE0ELj4294967295EEENS1_25partition_config_selectorILNS1_17partition_subalgoE3EjNS0_10empty_typeEbEEZZNS1_14partition_implILS8_3ELb0ES6_jNS0_17counting_iteratorIjlEEPS9_SE_NS0_5tupleIJPjSE_EEENSF_IJSE_SE_EEES9_SG_JZNS1_25segmented_radix_sort_implINS0_14default_configELb0EPKiPiPKlPlN2at6native12_GLOBAL__N_18offset_tEEE10hipError_tPvRmT1_PNSt15iterator_traitsISY_E10value_typeET2_T3_PNSZ_IS14_E10value_typeET4_jRbjT5_S1A_jjP12ihipStream_tbEUljE_EEESV_SW_SX_S14_S18_S1A_T6_T7_T9_mT8_S1C_bDpT10_ENKUlT_T0_E_clISt17integral_constantIbLb1EES1O_IbLb0EEEEDaS1K_S1L_EUlS1K_E_NS1_11comp_targetILNS1_3genE9ELNS1_11target_archE1100ELNS1_3gpuE3ELNS1_3repE0EEENS1_30default_config_static_selectorELNS0_4arch9wavefront6targetE0EEEvSY_
		.amdhsa_group_segment_fixed_size 0
		.amdhsa_private_segment_fixed_size 0
		.amdhsa_kernarg_size 144
		.amdhsa_user_sgpr_count 6
		.amdhsa_user_sgpr_private_segment_buffer 1
		.amdhsa_user_sgpr_dispatch_ptr 0
		.amdhsa_user_sgpr_queue_ptr 0
		.amdhsa_user_sgpr_kernarg_segment_ptr 1
		.amdhsa_user_sgpr_dispatch_id 0
		.amdhsa_user_sgpr_flat_scratch_init 0
		.amdhsa_user_sgpr_private_segment_size 0
		.amdhsa_wavefront_size32 1
		.amdhsa_uses_dynamic_stack 0
		.amdhsa_system_sgpr_private_segment_wavefront_offset 0
		.amdhsa_system_sgpr_workgroup_id_x 1
		.amdhsa_system_sgpr_workgroup_id_y 0
		.amdhsa_system_sgpr_workgroup_id_z 0
		.amdhsa_system_sgpr_workgroup_info 0
		.amdhsa_system_vgpr_workitem_id 0
		.amdhsa_next_free_vgpr 1
		.amdhsa_next_free_sgpr 1
		.amdhsa_reserve_vcc 0
		.amdhsa_reserve_flat_scratch 0
		.amdhsa_float_round_mode_32 0
		.amdhsa_float_round_mode_16_64 0
		.amdhsa_float_denorm_mode_32 3
		.amdhsa_float_denorm_mode_16_64 3
		.amdhsa_dx10_clamp 1
		.amdhsa_ieee_mode 1
		.amdhsa_fp16_overflow 0
		.amdhsa_workgroup_processor_mode 1
		.amdhsa_memory_ordered 1
		.amdhsa_forward_progress 1
		.amdhsa_shared_vgpr_count 0
		.amdhsa_exception_fp_ieee_invalid_op 0
		.amdhsa_exception_fp_denorm_src 0
		.amdhsa_exception_fp_ieee_div_zero 0
		.amdhsa_exception_fp_ieee_overflow 0
		.amdhsa_exception_fp_ieee_underflow 0
		.amdhsa_exception_fp_ieee_inexact 0
		.amdhsa_exception_int_div_zero 0
	.end_amdhsa_kernel
	.section	.text._ZN7rocprim17ROCPRIM_400000_NS6detail17trampoline_kernelINS0_13select_configILj256ELj13ELNS0_17block_load_methodE3ELS4_3ELS4_3ELNS0_20block_scan_algorithmE0ELj4294967295EEENS1_25partition_config_selectorILNS1_17partition_subalgoE3EjNS0_10empty_typeEbEEZZNS1_14partition_implILS8_3ELb0ES6_jNS0_17counting_iteratorIjlEEPS9_SE_NS0_5tupleIJPjSE_EEENSF_IJSE_SE_EEES9_SG_JZNS1_25segmented_radix_sort_implINS0_14default_configELb0EPKiPiPKlPlN2at6native12_GLOBAL__N_18offset_tEEE10hipError_tPvRmT1_PNSt15iterator_traitsISY_E10value_typeET2_T3_PNSZ_IS14_E10value_typeET4_jRbjT5_S1A_jjP12ihipStream_tbEUljE_EEESV_SW_SX_S14_S18_S1A_T6_T7_T9_mT8_S1C_bDpT10_ENKUlT_T0_E_clISt17integral_constantIbLb1EES1O_IbLb0EEEEDaS1K_S1L_EUlS1K_E_NS1_11comp_targetILNS1_3genE9ELNS1_11target_archE1100ELNS1_3gpuE3ELNS1_3repE0EEENS1_30default_config_static_selectorELNS0_4arch9wavefront6targetE0EEEvSY_,"axG",@progbits,_ZN7rocprim17ROCPRIM_400000_NS6detail17trampoline_kernelINS0_13select_configILj256ELj13ELNS0_17block_load_methodE3ELS4_3ELS4_3ELNS0_20block_scan_algorithmE0ELj4294967295EEENS1_25partition_config_selectorILNS1_17partition_subalgoE3EjNS0_10empty_typeEbEEZZNS1_14partition_implILS8_3ELb0ES6_jNS0_17counting_iteratorIjlEEPS9_SE_NS0_5tupleIJPjSE_EEENSF_IJSE_SE_EEES9_SG_JZNS1_25segmented_radix_sort_implINS0_14default_configELb0EPKiPiPKlPlN2at6native12_GLOBAL__N_18offset_tEEE10hipError_tPvRmT1_PNSt15iterator_traitsISY_E10value_typeET2_T3_PNSZ_IS14_E10value_typeET4_jRbjT5_S1A_jjP12ihipStream_tbEUljE_EEESV_SW_SX_S14_S18_S1A_T6_T7_T9_mT8_S1C_bDpT10_ENKUlT_T0_E_clISt17integral_constantIbLb1EES1O_IbLb0EEEEDaS1K_S1L_EUlS1K_E_NS1_11comp_targetILNS1_3genE9ELNS1_11target_archE1100ELNS1_3gpuE3ELNS1_3repE0EEENS1_30default_config_static_selectorELNS0_4arch9wavefront6targetE0EEEvSY_,comdat
.Lfunc_end585:
	.size	_ZN7rocprim17ROCPRIM_400000_NS6detail17trampoline_kernelINS0_13select_configILj256ELj13ELNS0_17block_load_methodE3ELS4_3ELS4_3ELNS0_20block_scan_algorithmE0ELj4294967295EEENS1_25partition_config_selectorILNS1_17partition_subalgoE3EjNS0_10empty_typeEbEEZZNS1_14partition_implILS8_3ELb0ES6_jNS0_17counting_iteratorIjlEEPS9_SE_NS0_5tupleIJPjSE_EEENSF_IJSE_SE_EEES9_SG_JZNS1_25segmented_radix_sort_implINS0_14default_configELb0EPKiPiPKlPlN2at6native12_GLOBAL__N_18offset_tEEE10hipError_tPvRmT1_PNSt15iterator_traitsISY_E10value_typeET2_T3_PNSZ_IS14_E10value_typeET4_jRbjT5_S1A_jjP12ihipStream_tbEUljE_EEESV_SW_SX_S14_S18_S1A_T6_T7_T9_mT8_S1C_bDpT10_ENKUlT_T0_E_clISt17integral_constantIbLb1EES1O_IbLb0EEEEDaS1K_S1L_EUlS1K_E_NS1_11comp_targetILNS1_3genE9ELNS1_11target_archE1100ELNS1_3gpuE3ELNS1_3repE0EEENS1_30default_config_static_selectorELNS0_4arch9wavefront6targetE0EEEvSY_, .Lfunc_end585-_ZN7rocprim17ROCPRIM_400000_NS6detail17trampoline_kernelINS0_13select_configILj256ELj13ELNS0_17block_load_methodE3ELS4_3ELS4_3ELNS0_20block_scan_algorithmE0ELj4294967295EEENS1_25partition_config_selectorILNS1_17partition_subalgoE3EjNS0_10empty_typeEbEEZZNS1_14partition_implILS8_3ELb0ES6_jNS0_17counting_iteratorIjlEEPS9_SE_NS0_5tupleIJPjSE_EEENSF_IJSE_SE_EEES9_SG_JZNS1_25segmented_radix_sort_implINS0_14default_configELb0EPKiPiPKlPlN2at6native12_GLOBAL__N_18offset_tEEE10hipError_tPvRmT1_PNSt15iterator_traitsISY_E10value_typeET2_T3_PNSZ_IS14_E10value_typeET4_jRbjT5_S1A_jjP12ihipStream_tbEUljE_EEESV_SW_SX_S14_S18_S1A_T6_T7_T9_mT8_S1C_bDpT10_ENKUlT_T0_E_clISt17integral_constantIbLb1EES1O_IbLb0EEEEDaS1K_S1L_EUlS1K_E_NS1_11comp_targetILNS1_3genE9ELNS1_11target_archE1100ELNS1_3gpuE3ELNS1_3repE0EEENS1_30default_config_static_selectorELNS0_4arch9wavefront6targetE0EEEvSY_
                                        ; -- End function
	.set _ZN7rocprim17ROCPRIM_400000_NS6detail17trampoline_kernelINS0_13select_configILj256ELj13ELNS0_17block_load_methodE3ELS4_3ELS4_3ELNS0_20block_scan_algorithmE0ELj4294967295EEENS1_25partition_config_selectorILNS1_17partition_subalgoE3EjNS0_10empty_typeEbEEZZNS1_14partition_implILS8_3ELb0ES6_jNS0_17counting_iteratorIjlEEPS9_SE_NS0_5tupleIJPjSE_EEENSF_IJSE_SE_EEES9_SG_JZNS1_25segmented_radix_sort_implINS0_14default_configELb0EPKiPiPKlPlN2at6native12_GLOBAL__N_18offset_tEEE10hipError_tPvRmT1_PNSt15iterator_traitsISY_E10value_typeET2_T3_PNSZ_IS14_E10value_typeET4_jRbjT5_S1A_jjP12ihipStream_tbEUljE_EEESV_SW_SX_S14_S18_S1A_T6_T7_T9_mT8_S1C_bDpT10_ENKUlT_T0_E_clISt17integral_constantIbLb1EES1O_IbLb0EEEEDaS1K_S1L_EUlS1K_E_NS1_11comp_targetILNS1_3genE9ELNS1_11target_archE1100ELNS1_3gpuE3ELNS1_3repE0EEENS1_30default_config_static_selectorELNS0_4arch9wavefront6targetE0EEEvSY_.num_vgpr, 0
	.set _ZN7rocprim17ROCPRIM_400000_NS6detail17trampoline_kernelINS0_13select_configILj256ELj13ELNS0_17block_load_methodE3ELS4_3ELS4_3ELNS0_20block_scan_algorithmE0ELj4294967295EEENS1_25partition_config_selectorILNS1_17partition_subalgoE3EjNS0_10empty_typeEbEEZZNS1_14partition_implILS8_3ELb0ES6_jNS0_17counting_iteratorIjlEEPS9_SE_NS0_5tupleIJPjSE_EEENSF_IJSE_SE_EEES9_SG_JZNS1_25segmented_radix_sort_implINS0_14default_configELb0EPKiPiPKlPlN2at6native12_GLOBAL__N_18offset_tEEE10hipError_tPvRmT1_PNSt15iterator_traitsISY_E10value_typeET2_T3_PNSZ_IS14_E10value_typeET4_jRbjT5_S1A_jjP12ihipStream_tbEUljE_EEESV_SW_SX_S14_S18_S1A_T6_T7_T9_mT8_S1C_bDpT10_ENKUlT_T0_E_clISt17integral_constantIbLb1EES1O_IbLb0EEEEDaS1K_S1L_EUlS1K_E_NS1_11comp_targetILNS1_3genE9ELNS1_11target_archE1100ELNS1_3gpuE3ELNS1_3repE0EEENS1_30default_config_static_selectorELNS0_4arch9wavefront6targetE0EEEvSY_.num_agpr, 0
	.set _ZN7rocprim17ROCPRIM_400000_NS6detail17trampoline_kernelINS0_13select_configILj256ELj13ELNS0_17block_load_methodE3ELS4_3ELS4_3ELNS0_20block_scan_algorithmE0ELj4294967295EEENS1_25partition_config_selectorILNS1_17partition_subalgoE3EjNS0_10empty_typeEbEEZZNS1_14partition_implILS8_3ELb0ES6_jNS0_17counting_iteratorIjlEEPS9_SE_NS0_5tupleIJPjSE_EEENSF_IJSE_SE_EEES9_SG_JZNS1_25segmented_radix_sort_implINS0_14default_configELb0EPKiPiPKlPlN2at6native12_GLOBAL__N_18offset_tEEE10hipError_tPvRmT1_PNSt15iterator_traitsISY_E10value_typeET2_T3_PNSZ_IS14_E10value_typeET4_jRbjT5_S1A_jjP12ihipStream_tbEUljE_EEESV_SW_SX_S14_S18_S1A_T6_T7_T9_mT8_S1C_bDpT10_ENKUlT_T0_E_clISt17integral_constantIbLb1EES1O_IbLb0EEEEDaS1K_S1L_EUlS1K_E_NS1_11comp_targetILNS1_3genE9ELNS1_11target_archE1100ELNS1_3gpuE3ELNS1_3repE0EEENS1_30default_config_static_selectorELNS0_4arch9wavefront6targetE0EEEvSY_.numbered_sgpr, 0
	.set _ZN7rocprim17ROCPRIM_400000_NS6detail17trampoline_kernelINS0_13select_configILj256ELj13ELNS0_17block_load_methodE3ELS4_3ELS4_3ELNS0_20block_scan_algorithmE0ELj4294967295EEENS1_25partition_config_selectorILNS1_17partition_subalgoE3EjNS0_10empty_typeEbEEZZNS1_14partition_implILS8_3ELb0ES6_jNS0_17counting_iteratorIjlEEPS9_SE_NS0_5tupleIJPjSE_EEENSF_IJSE_SE_EEES9_SG_JZNS1_25segmented_radix_sort_implINS0_14default_configELb0EPKiPiPKlPlN2at6native12_GLOBAL__N_18offset_tEEE10hipError_tPvRmT1_PNSt15iterator_traitsISY_E10value_typeET2_T3_PNSZ_IS14_E10value_typeET4_jRbjT5_S1A_jjP12ihipStream_tbEUljE_EEESV_SW_SX_S14_S18_S1A_T6_T7_T9_mT8_S1C_bDpT10_ENKUlT_T0_E_clISt17integral_constantIbLb1EES1O_IbLb0EEEEDaS1K_S1L_EUlS1K_E_NS1_11comp_targetILNS1_3genE9ELNS1_11target_archE1100ELNS1_3gpuE3ELNS1_3repE0EEENS1_30default_config_static_selectorELNS0_4arch9wavefront6targetE0EEEvSY_.num_named_barrier, 0
	.set _ZN7rocprim17ROCPRIM_400000_NS6detail17trampoline_kernelINS0_13select_configILj256ELj13ELNS0_17block_load_methodE3ELS4_3ELS4_3ELNS0_20block_scan_algorithmE0ELj4294967295EEENS1_25partition_config_selectorILNS1_17partition_subalgoE3EjNS0_10empty_typeEbEEZZNS1_14partition_implILS8_3ELb0ES6_jNS0_17counting_iteratorIjlEEPS9_SE_NS0_5tupleIJPjSE_EEENSF_IJSE_SE_EEES9_SG_JZNS1_25segmented_radix_sort_implINS0_14default_configELb0EPKiPiPKlPlN2at6native12_GLOBAL__N_18offset_tEEE10hipError_tPvRmT1_PNSt15iterator_traitsISY_E10value_typeET2_T3_PNSZ_IS14_E10value_typeET4_jRbjT5_S1A_jjP12ihipStream_tbEUljE_EEESV_SW_SX_S14_S18_S1A_T6_T7_T9_mT8_S1C_bDpT10_ENKUlT_T0_E_clISt17integral_constantIbLb1EES1O_IbLb0EEEEDaS1K_S1L_EUlS1K_E_NS1_11comp_targetILNS1_3genE9ELNS1_11target_archE1100ELNS1_3gpuE3ELNS1_3repE0EEENS1_30default_config_static_selectorELNS0_4arch9wavefront6targetE0EEEvSY_.private_seg_size, 0
	.set _ZN7rocprim17ROCPRIM_400000_NS6detail17trampoline_kernelINS0_13select_configILj256ELj13ELNS0_17block_load_methodE3ELS4_3ELS4_3ELNS0_20block_scan_algorithmE0ELj4294967295EEENS1_25partition_config_selectorILNS1_17partition_subalgoE3EjNS0_10empty_typeEbEEZZNS1_14partition_implILS8_3ELb0ES6_jNS0_17counting_iteratorIjlEEPS9_SE_NS0_5tupleIJPjSE_EEENSF_IJSE_SE_EEES9_SG_JZNS1_25segmented_radix_sort_implINS0_14default_configELb0EPKiPiPKlPlN2at6native12_GLOBAL__N_18offset_tEEE10hipError_tPvRmT1_PNSt15iterator_traitsISY_E10value_typeET2_T3_PNSZ_IS14_E10value_typeET4_jRbjT5_S1A_jjP12ihipStream_tbEUljE_EEESV_SW_SX_S14_S18_S1A_T6_T7_T9_mT8_S1C_bDpT10_ENKUlT_T0_E_clISt17integral_constantIbLb1EES1O_IbLb0EEEEDaS1K_S1L_EUlS1K_E_NS1_11comp_targetILNS1_3genE9ELNS1_11target_archE1100ELNS1_3gpuE3ELNS1_3repE0EEENS1_30default_config_static_selectorELNS0_4arch9wavefront6targetE0EEEvSY_.uses_vcc, 0
	.set _ZN7rocprim17ROCPRIM_400000_NS6detail17trampoline_kernelINS0_13select_configILj256ELj13ELNS0_17block_load_methodE3ELS4_3ELS4_3ELNS0_20block_scan_algorithmE0ELj4294967295EEENS1_25partition_config_selectorILNS1_17partition_subalgoE3EjNS0_10empty_typeEbEEZZNS1_14partition_implILS8_3ELb0ES6_jNS0_17counting_iteratorIjlEEPS9_SE_NS0_5tupleIJPjSE_EEENSF_IJSE_SE_EEES9_SG_JZNS1_25segmented_radix_sort_implINS0_14default_configELb0EPKiPiPKlPlN2at6native12_GLOBAL__N_18offset_tEEE10hipError_tPvRmT1_PNSt15iterator_traitsISY_E10value_typeET2_T3_PNSZ_IS14_E10value_typeET4_jRbjT5_S1A_jjP12ihipStream_tbEUljE_EEESV_SW_SX_S14_S18_S1A_T6_T7_T9_mT8_S1C_bDpT10_ENKUlT_T0_E_clISt17integral_constantIbLb1EES1O_IbLb0EEEEDaS1K_S1L_EUlS1K_E_NS1_11comp_targetILNS1_3genE9ELNS1_11target_archE1100ELNS1_3gpuE3ELNS1_3repE0EEENS1_30default_config_static_selectorELNS0_4arch9wavefront6targetE0EEEvSY_.uses_flat_scratch, 0
	.set _ZN7rocprim17ROCPRIM_400000_NS6detail17trampoline_kernelINS0_13select_configILj256ELj13ELNS0_17block_load_methodE3ELS4_3ELS4_3ELNS0_20block_scan_algorithmE0ELj4294967295EEENS1_25partition_config_selectorILNS1_17partition_subalgoE3EjNS0_10empty_typeEbEEZZNS1_14partition_implILS8_3ELb0ES6_jNS0_17counting_iteratorIjlEEPS9_SE_NS0_5tupleIJPjSE_EEENSF_IJSE_SE_EEES9_SG_JZNS1_25segmented_radix_sort_implINS0_14default_configELb0EPKiPiPKlPlN2at6native12_GLOBAL__N_18offset_tEEE10hipError_tPvRmT1_PNSt15iterator_traitsISY_E10value_typeET2_T3_PNSZ_IS14_E10value_typeET4_jRbjT5_S1A_jjP12ihipStream_tbEUljE_EEESV_SW_SX_S14_S18_S1A_T6_T7_T9_mT8_S1C_bDpT10_ENKUlT_T0_E_clISt17integral_constantIbLb1EES1O_IbLb0EEEEDaS1K_S1L_EUlS1K_E_NS1_11comp_targetILNS1_3genE9ELNS1_11target_archE1100ELNS1_3gpuE3ELNS1_3repE0EEENS1_30default_config_static_selectorELNS0_4arch9wavefront6targetE0EEEvSY_.has_dyn_sized_stack, 0
	.set _ZN7rocprim17ROCPRIM_400000_NS6detail17trampoline_kernelINS0_13select_configILj256ELj13ELNS0_17block_load_methodE3ELS4_3ELS4_3ELNS0_20block_scan_algorithmE0ELj4294967295EEENS1_25partition_config_selectorILNS1_17partition_subalgoE3EjNS0_10empty_typeEbEEZZNS1_14partition_implILS8_3ELb0ES6_jNS0_17counting_iteratorIjlEEPS9_SE_NS0_5tupleIJPjSE_EEENSF_IJSE_SE_EEES9_SG_JZNS1_25segmented_radix_sort_implINS0_14default_configELb0EPKiPiPKlPlN2at6native12_GLOBAL__N_18offset_tEEE10hipError_tPvRmT1_PNSt15iterator_traitsISY_E10value_typeET2_T3_PNSZ_IS14_E10value_typeET4_jRbjT5_S1A_jjP12ihipStream_tbEUljE_EEESV_SW_SX_S14_S18_S1A_T6_T7_T9_mT8_S1C_bDpT10_ENKUlT_T0_E_clISt17integral_constantIbLb1EES1O_IbLb0EEEEDaS1K_S1L_EUlS1K_E_NS1_11comp_targetILNS1_3genE9ELNS1_11target_archE1100ELNS1_3gpuE3ELNS1_3repE0EEENS1_30default_config_static_selectorELNS0_4arch9wavefront6targetE0EEEvSY_.has_recursion, 0
	.set _ZN7rocprim17ROCPRIM_400000_NS6detail17trampoline_kernelINS0_13select_configILj256ELj13ELNS0_17block_load_methodE3ELS4_3ELS4_3ELNS0_20block_scan_algorithmE0ELj4294967295EEENS1_25partition_config_selectorILNS1_17partition_subalgoE3EjNS0_10empty_typeEbEEZZNS1_14partition_implILS8_3ELb0ES6_jNS0_17counting_iteratorIjlEEPS9_SE_NS0_5tupleIJPjSE_EEENSF_IJSE_SE_EEES9_SG_JZNS1_25segmented_radix_sort_implINS0_14default_configELb0EPKiPiPKlPlN2at6native12_GLOBAL__N_18offset_tEEE10hipError_tPvRmT1_PNSt15iterator_traitsISY_E10value_typeET2_T3_PNSZ_IS14_E10value_typeET4_jRbjT5_S1A_jjP12ihipStream_tbEUljE_EEESV_SW_SX_S14_S18_S1A_T6_T7_T9_mT8_S1C_bDpT10_ENKUlT_T0_E_clISt17integral_constantIbLb1EES1O_IbLb0EEEEDaS1K_S1L_EUlS1K_E_NS1_11comp_targetILNS1_3genE9ELNS1_11target_archE1100ELNS1_3gpuE3ELNS1_3repE0EEENS1_30default_config_static_selectorELNS0_4arch9wavefront6targetE0EEEvSY_.has_indirect_call, 0
	.section	.AMDGPU.csdata,"",@progbits
; Kernel info:
; codeLenInByte = 0
; TotalNumSgprs: 0
; NumVgprs: 0
; ScratchSize: 0
; MemoryBound: 0
; FloatMode: 240
; IeeeMode: 1
; LDSByteSize: 0 bytes/workgroup (compile time only)
; SGPRBlocks: 0
; VGPRBlocks: 0
; NumSGPRsForWavesPerEU: 1
; NumVGPRsForWavesPerEU: 1
; Occupancy: 16
; WaveLimiterHint : 0
; COMPUTE_PGM_RSRC2:SCRATCH_EN: 0
; COMPUTE_PGM_RSRC2:USER_SGPR: 6
; COMPUTE_PGM_RSRC2:TRAP_HANDLER: 0
; COMPUTE_PGM_RSRC2:TGID_X_EN: 1
; COMPUTE_PGM_RSRC2:TGID_Y_EN: 0
; COMPUTE_PGM_RSRC2:TGID_Z_EN: 0
; COMPUTE_PGM_RSRC2:TIDIG_COMP_CNT: 0
	.section	.text._ZN7rocprim17ROCPRIM_400000_NS6detail17trampoline_kernelINS0_13select_configILj256ELj13ELNS0_17block_load_methodE3ELS4_3ELS4_3ELNS0_20block_scan_algorithmE0ELj4294967295EEENS1_25partition_config_selectorILNS1_17partition_subalgoE3EjNS0_10empty_typeEbEEZZNS1_14partition_implILS8_3ELb0ES6_jNS0_17counting_iteratorIjlEEPS9_SE_NS0_5tupleIJPjSE_EEENSF_IJSE_SE_EEES9_SG_JZNS1_25segmented_radix_sort_implINS0_14default_configELb0EPKiPiPKlPlN2at6native12_GLOBAL__N_18offset_tEEE10hipError_tPvRmT1_PNSt15iterator_traitsISY_E10value_typeET2_T3_PNSZ_IS14_E10value_typeET4_jRbjT5_S1A_jjP12ihipStream_tbEUljE_EEESV_SW_SX_S14_S18_S1A_T6_T7_T9_mT8_S1C_bDpT10_ENKUlT_T0_E_clISt17integral_constantIbLb1EES1O_IbLb0EEEEDaS1K_S1L_EUlS1K_E_NS1_11comp_targetILNS1_3genE8ELNS1_11target_archE1030ELNS1_3gpuE2ELNS1_3repE0EEENS1_30default_config_static_selectorELNS0_4arch9wavefront6targetE0EEEvSY_,"axG",@progbits,_ZN7rocprim17ROCPRIM_400000_NS6detail17trampoline_kernelINS0_13select_configILj256ELj13ELNS0_17block_load_methodE3ELS4_3ELS4_3ELNS0_20block_scan_algorithmE0ELj4294967295EEENS1_25partition_config_selectorILNS1_17partition_subalgoE3EjNS0_10empty_typeEbEEZZNS1_14partition_implILS8_3ELb0ES6_jNS0_17counting_iteratorIjlEEPS9_SE_NS0_5tupleIJPjSE_EEENSF_IJSE_SE_EEES9_SG_JZNS1_25segmented_radix_sort_implINS0_14default_configELb0EPKiPiPKlPlN2at6native12_GLOBAL__N_18offset_tEEE10hipError_tPvRmT1_PNSt15iterator_traitsISY_E10value_typeET2_T3_PNSZ_IS14_E10value_typeET4_jRbjT5_S1A_jjP12ihipStream_tbEUljE_EEESV_SW_SX_S14_S18_S1A_T6_T7_T9_mT8_S1C_bDpT10_ENKUlT_T0_E_clISt17integral_constantIbLb1EES1O_IbLb0EEEEDaS1K_S1L_EUlS1K_E_NS1_11comp_targetILNS1_3genE8ELNS1_11target_archE1030ELNS1_3gpuE2ELNS1_3repE0EEENS1_30default_config_static_selectorELNS0_4arch9wavefront6targetE0EEEvSY_,comdat
	.globl	_ZN7rocprim17ROCPRIM_400000_NS6detail17trampoline_kernelINS0_13select_configILj256ELj13ELNS0_17block_load_methodE3ELS4_3ELS4_3ELNS0_20block_scan_algorithmE0ELj4294967295EEENS1_25partition_config_selectorILNS1_17partition_subalgoE3EjNS0_10empty_typeEbEEZZNS1_14partition_implILS8_3ELb0ES6_jNS0_17counting_iteratorIjlEEPS9_SE_NS0_5tupleIJPjSE_EEENSF_IJSE_SE_EEES9_SG_JZNS1_25segmented_radix_sort_implINS0_14default_configELb0EPKiPiPKlPlN2at6native12_GLOBAL__N_18offset_tEEE10hipError_tPvRmT1_PNSt15iterator_traitsISY_E10value_typeET2_T3_PNSZ_IS14_E10value_typeET4_jRbjT5_S1A_jjP12ihipStream_tbEUljE_EEESV_SW_SX_S14_S18_S1A_T6_T7_T9_mT8_S1C_bDpT10_ENKUlT_T0_E_clISt17integral_constantIbLb1EES1O_IbLb0EEEEDaS1K_S1L_EUlS1K_E_NS1_11comp_targetILNS1_3genE8ELNS1_11target_archE1030ELNS1_3gpuE2ELNS1_3repE0EEENS1_30default_config_static_selectorELNS0_4arch9wavefront6targetE0EEEvSY_ ; -- Begin function _ZN7rocprim17ROCPRIM_400000_NS6detail17trampoline_kernelINS0_13select_configILj256ELj13ELNS0_17block_load_methodE3ELS4_3ELS4_3ELNS0_20block_scan_algorithmE0ELj4294967295EEENS1_25partition_config_selectorILNS1_17partition_subalgoE3EjNS0_10empty_typeEbEEZZNS1_14partition_implILS8_3ELb0ES6_jNS0_17counting_iteratorIjlEEPS9_SE_NS0_5tupleIJPjSE_EEENSF_IJSE_SE_EEES9_SG_JZNS1_25segmented_radix_sort_implINS0_14default_configELb0EPKiPiPKlPlN2at6native12_GLOBAL__N_18offset_tEEE10hipError_tPvRmT1_PNSt15iterator_traitsISY_E10value_typeET2_T3_PNSZ_IS14_E10value_typeET4_jRbjT5_S1A_jjP12ihipStream_tbEUljE_EEESV_SW_SX_S14_S18_S1A_T6_T7_T9_mT8_S1C_bDpT10_ENKUlT_T0_E_clISt17integral_constantIbLb1EES1O_IbLb0EEEEDaS1K_S1L_EUlS1K_E_NS1_11comp_targetILNS1_3genE8ELNS1_11target_archE1030ELNS1_3gpuE2ELNS1_3repE0EEENS1_30default_config_static_selectorELNS0_4arch9wavefront6targetE0EEEvSY_
	.p2align	8
	.type	_ZN7rocprim17ROCPRIM_400000_NS6detail17trampoline_kernelINS0_13select_configILj256ELj13ELNS0_17block_load_methodE3ELS4_3ELS4_3ELNS0_20block_scan_algorithmE0ELj4294967295EEENS1_25partition_config_selectorILNS1_17partition_subalgoE3EjNS0_10empty_typeEbEEZZNS1_14partition_implILS8_3ELb0ES6_jNS0_17counting_iteratorIjlEEPS9_SE_NS0_5tupleIJPjSE_EEENSF_IJSE_SE_EEES9_SG_JZNS1_25segmented_radix_sort_implINS0_14default_configELb0EPKiPiPKlPlN2at6native12_GLOBAL__N_18offset_tEEE10hipError_tPvRmT1_PNSt15iterator_traitsISY_E10value_typeET2_T3_PNSZ_IS14_E10value_typeET4_jRbjT5_S1A_jjP12ihipStream_tbEUljE_EEESV_SW_SX_S14_S18_S1A_T6_T7_T9_mT8_S1C_bDpT10_ENKUlT_T0_E_clISt17integral_constantIbLb1EES1O_IbLb0EEEEDaS1K_S1L_EUlS1K_E_NS1_11comp_targetILNS1_3genE8ELNS1_11target_archE1030ELNS1_3gpuE2ELNS1_3repE0EEENS1_30default_config_static_selectorELNS0_4arch9wavefront6targetE0EEEvSY_,@function
_ZN7rocprim17ROCPRIM_400000_NS6detail17trampoline_kernelINS0_13select_configILj256ELj13ELNS0_17block_load_methodE3ELS4_3ELS4_3ELNS0_20block_scan_algorithmE0ELj4294967295EEENS1_25partition_config_selectorILNS1_17partition_subalgoE3EjNS0_10empty_typeEbEEZZNS1_14partition_implILS8_3ELb0ES6_jNS0_17counting_iteratorIjlEEPS9_SE_NS0_5tupleIJPjSE_EEENSF_IJSE_SE_EEES9_SG_JZNS1_25segmented_radix_sort_implINS0_14default_configELb0EPKiPiPKlPlN2at6native12_GLOBAL__N_18offset_tEEE10hipError_tPvRmT1_PNSt15iterator_traitsISY_E10value_typeET2_T3_PNSZ_IS14_E10value_typeET4_jRbjT5_S1A_jjP12ihipStream_tbEUljE_EEESV_SW_SX_S14_S18_S1A_T6_T7_T9_mT8_S1C_bDpT10_ENKUlT_T0_E_clISt17integral_constantIbLb1EES1O_IbLb0EEEEDaS1K_S1L_EUlS1K_E_NS1_11comp_targetILNS1_3genE8ELNS1_11target_archE1030ELNS1_3gpuE2ELNS1_3repE0EEENS1_30default_config_static_selectorELNS0_4arch9wavefront6targetE0EEEvSY_: ; @_ZN7rocprim17ROCPRIM_400000_NS6detail17trampoline_kernelINS0_13select_configILj256ELj13ELNS0_17block_load_methodE3ELS4_3ELS4_3ELNS0_20block_scan_algorithmE0ELj4294967295EEENS1_25partition_config_selectorILNS1_17partition_subalgoE3EjNS0_10empty_typeEbEEZZNS1_14partition_implILS8_3ELb0ES6_jNS0_17counting_iteratorIjlEEPS9_SE_NS0_5tupleIJPjSE_EEENSF_IJSE_SE_EEES9_SG_JZNS1_25segmented_radix_sort_implINS0_14default_configELb0EPKiPiPKlPlN2at6native12_GLOBAL__N_18offset_tEEE10hipError_tPvRmT1_PNSt15iterator_traitsISY_E10value_typeET2_T3_PNSZ_IS14_E10value_typeET4_jRbjT5_S1A_jjP12ihipStream_tbEUljE_EEESV_SW_SX_S14_S18_S1A_T6_T7_T9_mT8_S1C_bDpT10_ENKUlT_T0_E_clISt17integral_constantIbLb1EES1O_IbLb0EEEEDaS1K_S1L_EUlS1K_E_NS1_11comp_targetILNS1_3genE8ELNS1_11target_archE1030ELNS1_3gpuE2ELNS1_3repE0EEENS1_30default_config_static_selectorELNS0_4arch9wavefront6targetE0EEEvSY_
; %bb.0:
	s_endpgm
	.section	.rodata,"a",@progbits
	.p2align	6, 0x0
	.amdhsa_kernel _ZN7rocprim17ROCPRIM_400000_NS6detail17trampoline_kernelINS0_13select_configILj256ELj13ELNS0_17block_load_methodE3ELS4_3ELS4_3ELNS0_20block_scan_algorithmE0ELj4294967295EEENS1_25partition_config_selectorILNS1_17partition_subalgoE3EjNS0_10empty_typeEbEEZZNS1_14partition_implILS8_3ELb0ES6_jNS0_17counting_iteratorIjlEEPS9_SE_NS0_5tupleIJPjSE_EEENSF_IJSE_SE_EEES9_SG_JZNS1_25segmented_radix_sort_implINS0_14default_configELb0EPKiPiPKlPlN2at6native12_GLOBAL__N_18offset_tEEE10hipError_tPvRmT1_PNSt15iterator_traitsISY_E10value_typeET2_T3_PNSZ_IS14_E10value_typeET4_jRbjT5_S1A_jjP12ihipStream_tbEUljE_EEESV_SW_SX_S14_S18_S1A_T6_T7_T9_mT8_S1C_bDpT10_ENKUlT_T0_E_clISt17integral_constantIbLb1EES1O_IbLb0EEEEDaS1K_S1L_EUlS1K_E_NS1_11comp_targetILNS1_3genE8ELNS1_11target_archE1030ELNS1_3gpuE2ELNS1_3repE0EEENS1_30default_config_static_selectorELNS0_4arch9wavefront6targetE0EEEvSY_
		.amdhsa_group_segment_fixed_size 0
		.amdhsa_private_segment_fixed_size 0
		.amdhsa_kernarg_size 144
		.amdhsa_user_sgpr_count 6
		.amdhsa_user_sgpr_private_segment_buffer 1
		.amdhsa_user_sgpr_dispatch_ptr 0
		.amdhsa_user_sgpr_queue_ptr 0
		.amdhsa_user_sgpr_kernarg_segment_ptr 1
		.amdhsa_user_sgpr_dispatch_id 0
		.amdhsa_user_sgpr_flat_scratch_init 0
		.amdhsa_user_sgpr_private_segment_size 0
		.amdhsa_wavefront_size32 1
		.amdhsa_uses_dynamic_stack 0
		.amdhsa_system_sgpr_private_segment_wavefront_offset 0
		.amdhsa_system_sgpr_workgroup_id_x 1
		.amdhsa_system_sgpr_workgroup_id_y 0
		.amdhsa_system_sgpr_workgroup_id_z 0
		.amdhsa_system_sgpr_workgroup_info 0
		.amdhsa_system_vgpr_workitem_id 0
		.amdhsa_next_free_vgpr 1
		.amdhsa_next_free_sgpr 1
		.amdhsa_reserve_vcc 0
		.amdhsa_reserve_flat_scratch 0
		.amdhsa_float_round_mode_32 0
		.amdhsa_float_round_mode_16_64 0
		.amdhsa_float_denorm_mode_32 3
		.amdhsa_float_denorm_mode_16_64 3
		.amdhsa_dx10_clamp 1
		.amdhsa_ieee_mode 1
		.amdhsa_fp16_overflow 0
		.amdhsa_workgroup_processor_mode 1
		.amdhsa_memory_ordered 1
		.amdhsa_forward_progress 1
		.amdhsa_shared_vgpr_count 0
		.amdhsa_exception_fp_ieee_invalid_op 0
		.amdhsa_exception_fp_denorm_src 0
		.amdhsa_exception_fp_ieee_div_zero 0
		.amdhsa_exception_fp_ieee_overflow 0
		.amdhsa_exception_fp_ieee_underflow 0
		.amdhsa_exception_fp_ieee_inexact 0
		.amdhsa_exception_int_div_zero 0
	.end_amdhsa_kernel
	.section	.text._ZN7rocprim17ROCPRIM_400000_NS6detail17trampoline_kernelINS0_13select_configILj256ELj13ELNS0_17block_load_methodE3ELS4_3ELS4_3ELNS0_20block_scan_algorithmE0ELj4294967295EEENS1_25partition_config_selectorILNS1_17partition_subalgoE3EjNS0_10empty_typeEbEEZZNS1_14partition_implILS8_3ELb0ES6_jNS0_17counting_iteratorIjlEEPS9_SE_NS0_5tupleIJPjSE_EEENSF_IJSE_SE_EEES9_SG_JZNS1_25segmented_radix_sort_implINS0_14default_configELb0EPKiPiPKlPlN2at6native12_GLOBAL__N_18offset_tEEE10hipError_tPvRmT1_PNSt15iterator_traitsISY_E10value_typeET2_T3_PNSZ_IS14_E10value_typeET4_jRbjT5_S1A_jjP12ihipStream_tbEUljE_EEESV_SW_SX_S14_S18_S1A_T6_T7_T9_mT8_S1C_bDpT10_ENKUlT_T0_E_clISt17integral_constantIbLb1EES1O_IbLb0EEEEDaS1K_S1L_EUlS1K_E_NS1_11comp_targetILNS1_3genE8ELNS1_11target_archE1030ELNS1_3gpuE2ELNS1_3repE0EEENS1_30default_config_static_selectorELNS0_4arch9wavefront6targetE0EEEvSY_,"axG",@progbits,_ZN7rocprim17ROCPRIM_400000_NS6detail17trampoline_kernelINS0_13select_configILj256ELj13ELNS0_17block_load_methodE3ELS4_3ELS4_3ELNS0_20block_scan_algorithmE0ELj4294967295EEENS1_25partition_config_selectorILNS1_17partition_subalgoE3EjNS0_10empty_typeEbEEZZNS1_14partition_implILS8_3ELb0ES6_jNS0_17counting_iteratorIjlEEPS9_SE_NS0_5tupleIJPjSE_EEENSF_IJSE_SE_EEES9_SG_JZNS1_25segmented_radix_sort_implINS0_14default_configELb0EPKiPiPKlPlN2at6native12_GLOBAL__N_18offset_tEEE10hipError_tPvRmT1_PNSt15iterator_traitsISY_E10value_typeET2_T3_PNSZ_IS14_E10value_typeET4_jRbjT5_S1A_jjP12ihipStream_tbEUljE_EEESV_SW_SX_S14_S18_S1A_T6_T7_T9_mT8_S1C_bDpT10_ENKUlT_T0_E_clISt17integral_constantIbLb1EES1O_IbLb0EEEEDaS1K_S1L_EUlS1K_E_NS1_11comp_targetILNS1_3genE8ELNS1_11target_archE1030ELNS1_3gpuE2ELNS1_3repE0EEENS1_30default_config_static_selectorELNS0_4arch9wavefront6targetE0EEEvSY_,comdat
.Lfunc_end586:
	.size	_ZN7rocprim17ROCPRIM_400000_NS6detail17trampoline_kernelINS0_13select_configILj256ELj13ELNS0_17block_load_methodE3ELS4_3ELS4_3ELNS0_20block_scan_algorithmE0ELj4294967295EEENS1_25partition_config_selectorILNS1_17partition_subalgoE3EjNS0_10empty_typeEbEEZZNS1_14partition_implILS8_3ELb0ES6_jNS0_17counting_iteratorIjlEEPS9_SE_NS0_5tupleIJPjSE_EEENSF_IJSE_SE_EEES9_SG_JZNS1_25segmented_radix_sort_implINS0_14default_configELb0EPKiPiPKlPlN2at6native12_GLOBAL__N_18offset_tEEE10hipError_tPvRmT1_PNSt15iterator_traitsISY_E10value_typeET2_T3_PNSZ_IS14_E10value_typeET4_jRbjT5_S1A_jjP12ihipStream_tbEUljE_EEESV_SW_SX_S14_S18_S1A_T6_T7_T9_mT8_S1C_bDpT10_ENKUlT_T0_E_clISt17integral_constantIbLb1EES1O_IbLb0EEEEDaS1K_S1L_EUlS1K_E_NS1_11comp_targetILNS1_3genE8ELNS1_11target_archE1030ELNS1_3gpuE2ELNS1_3repE0EEENS1_30default_config_static_selectorELNS0_4arch9wavefront6targetE0EEEvSY_, .Lfunc_end586-_ZN7rocprim17ROCPRIM_400000_NS6detail17trampoline_kernelINS0_13select_configILj256ELj13ELNS0_17block_load_methodE3ELS4_3ELS4_3ELNS0_20block_scan_algorithmE0ELj4294967295EEENS1_25partition_config_selectorILNS1_17partition_subalgoE3EjNS0_10empty_typeEbEEZZNS1_14partition_implILS8_3ELb0ES6_jNS0_17counting_iteratorIjlEEPS9_SE_NS0_5tupleIJPjSE_EEENSF_IJSE_SE_EEES9_SG_JZNS1_25segmented_radix_sort_implINS0_14default_configELb0EPKiPiPKlPlN2at6native12_GLOBAL__N_18offset_tEEE10hipError_tPvRmT1_PNSt15iterator_traitsISY_E10value_typeET2_T3_PNSZ_IS14_E10value_typeET4_jRbjT5_S1A_jjP12ihipStream_tbEUljE_EEESV_SW_SX_S14_S18_S1A_T6_T7_T9_mT8_S1C_bDpT10_ENKUlT_T0_E_clISt17integral_constantIbLb1EES1O_IbLb0EEEEDaS1K_S1L_EUlS1K_E_NS1_11comp_targetILNS1_3genE8ELNS1_11target_archE1030ELNS1_3gpuE2ELNS1_3repE0EEENS1_30default_config_static_selectorELNS0_4arch9wavefront6targetE0EEEvSY_
                                        ; -- End function
	.set _ZN7rocprim17ROCPRIM_400000_NS6detail17trampoline_kernelINS0_13select_configILj256ELj13ELNS0_17block_load_methodE3ELS4_3ELS4_3ELNS0_20block_scan_algorithmE0ELj4294967295EEENS1_25partition_config_selectorILNS1_17partition_subalgoE3EjNS0_10empty_typeEbEEZZNS1_14partition_implILS8_3ELb0ES6_jNS0_17counting_iteratorIjlEEPS9_SE_NS0_5tupleIJPjSE_EEENSF_IJSE_SE_EEES9_SG_JZNS1_25segmented_radix_sort_implINS0_14default_configELb0EPKiPiPKlPlN2at6native12_GLOBAL__N_18offset_tEEE10hipError_tPvRmT1_PNSt15iterator_traitsISY_E10value_typeET2_T3_PNSZ_IS14_E10value_typeET4_jRbjT5_S1A_jjP12ihipStream_tbEUljE_EEESV_SW_SX_S14_S18_S1A_T6_T7_T9_mT8_S1C_bDpT10_ENKUlT_T0_E_clISt17integral_constantIbLb1EES1O_IbLb0EEEEDaS1K_S1L_EUlS1K_E_NS1_11comp_targetILNS1_3genE8ELNS1_11target_archE1030ELNS1_3gpuE2ELNS1_3repE0EEENS1_30default_config_static_selectorELNS0_4arch9wavefront6targetE0EEEvSY_.num_vgpr, 0
	.set _ZN7rocprim17ROCPRIM_400000_NS6detail17trampoline_kernelINS0_13select_configILj256ELj13ELNS0_17block_load_methodE3ELS4_3ELS4_3ELNS0_20block_scan_algorithmE0ELj4294967295EEENS1_25partition_config_selectorILNS1_17partition_subalgoE3EjNS0_10empty_typeEbEEZZNS1_14partition_implILS8_3ELb0ES6_jNS0_17counting_iteratorIjlEEPS9_SE_NS0_5tupleIJPjSE_EEENSF_IJSE_SE_EEES9_SG_JZNS1_25segmented_radix_sort_implINS0_14default_configELb0EPKiPiPKlPlN2at6native12_GLOBAL__N_18offset_tEEE10hipError_tPvRmT1_PNSt15iterator_traitsISY_E10value_typeET2_T3_PNSZ_IS14_E10value_typeET4_jRbjT5_S1A_jjP12ihipStream_tbEUljE_EEESV_SW_SX_S14_S18_S1A_T6_T7_T9_mT8_S1C_bDpT10_ENKUlT_T0_E_clISt17integral_constantIbLb1EES1O_IbLb0EEEEDaS1K_S1L_EUlS1K_E_NS1_11comp_targetILNS1_3genE8ELNS1_11target_archE1030ELNS1_3gpuE2ELNS1_3repE0EEENS1_30default_config_static_selectorELNS0_4arch9wavefront6targetE0EEEvSY_.num_agpr, 0
	.set _ZN7rocprim17ROCPRIM_400000_NS6detail17trampoline_kernelINS0_13select_configILj256ELj13ELNS0_17block_load_methodE3ELS4_3ELS4_3ELNS0_20block_scan_algorithmE0ELj4294967295EEENS1_25partition_config_selectorILNS1_17partition_subalgoE3EjNS0_10empty_typeEbEEZZNS1_14partition_implILS8_3ELb0ES6_jNS0_17counting_iteratorIjlEEPS9_SE_NS0_5tupleIJPjSE_EEENSF_IJSE_SE_EEES9_SG_JZNS1_25segmented_radix_sort_implINS0_14default_configELb0EPKiPiPKlPlN2at6native12_GLOBAL__N_18offset_tEEE10hipError_tPvRmT1_PNSt15iterator_traitsISY_E10value_typeET2_T3_PNSZ_IS14_E10value_typeET4_jRbjT5_S1A_jjP12ihipStream_tbEUljE_EEESV_SW_SX_S14_S18_S1A_T6_T7_T9_mT8_S1C_bDpT10_ENKUlT_T0_E_clISt17integral_constantIbLb1EES1O_IbLb0EEEEDaS1K_S1L_EUlS1K_E_NS1_11comp_targetILNS1_3genE8ELNS1_11target_archE1030ELNS1_3gpuE2ELNS1_3repE0EEENS1_30default_config_static_selectorELNS0_4arch9wavefront6targetE0EEEvSY_.numbered_sgpr, 0
	.set _ZN7rocprim17ROCPRIM_400000_NS6detail17trampoline_kernelINS0_13select_configILj256ELj13ELNS0_17block_load_methodE3ELS4_3ELS4_3ELNS0_20block_scan_algorithmE0ELj4294967295EEENS1_25partition_config_selectorILNS1_17partition_subalgoE3EjNS0_10empty_typeEbEEZZNS1_14partition_implILS8_3ELb0ES6_jNS0_17counting_iteratorIjlEEPS9_SE_NS0_5tupleIJPjSE_EEENSF_IJSE_SE_EEES9_SG_JZNS1_25segmented_radix_sort_implINS0_14default_configELb0EPKiPiPKlPlN2at6native12_GLOBAL__N_18offset_tEEE10hipError_tPvRmT1_PNSt15iterator_traitsISY_E10value_typeET2_T3_PNSZ_IS14_E10value_typeET4_jRbjT5_S1A_jjP12ihipStream_tbEUljE_EEESV_SW_SX_S14_S18_S1A_T6_T7_T9_mT8_S1C_bDpT10_ENKUlT_T0_E_clISt17integral_constantIbLb1EES1O_IbLb0EEEEDaS1K_S1L_EUlS1K_E_NS1_11comp_targetILNS1_3genE8ELNS1_11target_archE1030ELNS1_3gpuE2ELNS1_3repE0EEENS1_30default_config_static_selectorELNS0_4arch9wavefront6targetE0EEEvSY_.num_named_barrier, 0
	.set _ZN7rocprim17ROCPRIM_400000_NS6detail17trampoline_kernelINS0_13select_configILj256ELj13ELNS0_17block_load_methodE3ELS4_3ELS4_3ELNS0_20block_scan_algorithmE0ELj4294967295EEENS1_25partition_config_selectorILNS1_17partition_subalgoE3EjNS0_10empty_typeEbEEZZNS1_14partition_implILS8_3ELb0ES6_jNS0_17counting_iteratorIjlEEPS9_SE_NS0_5tupleIJPjSE_EEENSF_IJSE_SE_EEES9_SG_JZNS1_25segmented_radix_sort_implINS0_14default_configELb0EPKiPiPKlPlN2at6native12_GLOBAL__N_18offset_tEEE10hipError_tPvRmT1_PNSt15iterator_traitsISY_E10value_typeET2_T3_PNSZ_IS14_E10value_typeET4_jRbjT5_S1A_jjP12ihipStream_tbEUljE_EEESV_SW_SX_S14_S18_S1A_T6_T7_T9_mT8_S1C_bDpT10_ENKUlT_T0_E_clISt17integral_constantIbLb1EES1O_IbLb0EEEEDaS1K_S1L_EUlS1K_E_NS1_11comp_targetILNS1_3genE8ELNS1_11target_archE1030ELNS1_3gpuE2ELNS1_3repE0EEENS1_30default_config_static_selectorELNS0_4arch9wavefront6targetE0EEEvSY_.private_seg_size, 0
	.set _ZN7rocprim17ROCPRIM_400000_NS6detail17trampoline_kernelINS0_13select_configILj256ELj13ELNS0_17block_load_methodE3ELS4_3ELS4_3ELNS0_20block_scan_algorithmE0ELj4294967295EEENS1_25partition_config_selectorILNS1_17partition_subalgoE3EjNS0_10empty_typeEbEEZZNS1_14partition_implILS8_3ELb0ES6_jNS0_17counting_iteratorIjlEEPS9_SE_NS0_5tupleIJPjSE_EEENSF_IJSE_SE_EEES9_SG_JZNS1_25segmented_radix_sort_implINS0_14default_configELb0EPKiPiPKlPlN2at6native12_GLOBAL__N_18offset_tEEE10hipError_tPvRmT1_PNSt15iterator_traitsISY_E10value_typeET2_T3_PNSZ_IS14_E10value_typeET4_jRbjT5_S1A_jjP12ihipStream_tbEUljE_EEESV_SW_SX_S14_S18_S1A_T6_T7_T9_mT8_S1C_bDpT10_ENKUlT_T0_E_clISt17integral_constantIbLb1EES1O_IbLb0EEEEDaS1K_S1L_EUlS1K_E_NS1_11comp_targetILNS1_3genE8ELNS1_11target_archE1030ELNS1_3gpuE2ELNS1_3repE0EEENS1_30default_config_static_selectorELNS0_4arch9wavefront6targetE0EEEvSY_.uses_vcc, 0
	.set _ZN7rocprim17ROCPRIM_400000_NS6detail17trampoline_kernelINS0_13select_configILj256ELj13ELNS0_17block_load_methodE3ELS4_3ELS4_3ELNS0_20block_scan_algorithmE0ELj4294967295EEENS1_25partition_config_selectorILNS1_17partition_subalgoE3EjNS0_10empty_typeEbEEZZNS1_14partition_implILS8_3ELb0ES6_jNS0_17counting_iteratorIjlEEPS9_SE_NS0_5tupleIJPjSE_EEENSF_IJSE_SE_EEES9_SG_JZNS1_25segmented_radix_sort_implINS0_14default_configELb0EPKiPiPKlPlN2at6native12_GLOBAL__N_18offset_tEEE10hipError_tPvRmT1_PNSt15iterator_traitsISY_E10value_typeET2_T3_PNSZ_IS14_E10value_typeET4_jRbjT5_S1A_jjP12ihipStream_tbEUljE_EEESV_SW_SX_S14_S18_S1A_T6_T7_T9_mT8_S1C_bDpT10_ENKUlT_T0_E_clISt17integral_constantIbLb1EES1O_IbLb0EEEEDaS1K_S1L_EUlS1K_E_NS1_11comp_targetILNS1_3genE8ELNS1_11target_archE1030ELNS1_3gpuE2ELNS1_3repE0EEENS1_30default_config_static_selectorELNS0_4arch9wavefront6targetE0EEEvSY_.uses_flat_scratch, 0
	.set _ZN7rocprim17ROCPRIM_400000_NS6detail17trampoline_kernelINS0_13select_configILj256ELj13ELNS0_17block_load_methodE3ELS4_3ELS4_3ELNS0_20block_scan_algorithmE0ELj4294967295EEENS1_25partition_config_selectorILNS1_17partition_subalgoE3EjNS0_10empty_typeEbEEZZNS1_14partition_implILS8_3ELb0ES6_jNS0_17counting_iteratorIjlEEPS9_SE_NS0_5tupleIJPjSE_EEENSF_IJSE_SE_EEES9_SG_JZNS1_25segmented_radix_sort_implINS0_14default_configELb0EPKiPiPKlPlN2at6native12_GLOBAL__N_18offset_tEEE10hipError_tPvRmT1_PNSt15iterator_traitsISY_E10value_typeET2_T3_PNSZ_IS14_E10value_typeET4_jRbjT5_S1A_jjP12ihipStream_tbEUljE_EEESV_SW_SX_S14_S18_S1A_T6_T7_T9_mT8_S1C_bDpT10_ENKUlT_T0_E_clISt17integral_constantIbLb1EES1O_IbLb0EEEEDaS1K_S1L_EUlS1K_E_NS1_11comp_targetILNS1_3genE8ELNS1_11target_archE1030ELNS1_3gpuE2ELNS1_3repE0EEENS1_30default_config_static_selectorELNS0_4arch9wavefront6targetE0EEEvSY_.has_dyn_sized_stack, 0
	.set _ZN7rocprim17ROCPRIM_400000_NS6detail17trampoline_kernelINS0_13select_configILj256ELj13ELNS0_17block_load_methodE3ELS4_3ELS4_3ELNS0_20block_scan_algorithmE0ELj4294967295EEENS1_25partition_config_selectorILNS1_17partition_subalgoE3EjNS0_10empty_typeEbEEZZNS1_14partition_implILS8_3ELb0ES6_jNS0_17counting_iteratorIjlEEPS9_SE_NS0_5tupleIJPjSE_EEENSF_IJSE_SE_EEES9_SG_JZNS1_25segmented_radix_sort_implINS0_14default_configELb0EPKiPiPKlPlN2at6native12_GLOBAL__N_18offset_tEEE10hipError_tPvRmT1_PNSt15iterator_traitsISY_E10value_typeET2_T3_PNSZ_IS14_E10value_typeET4_jRbjT5_S1A_jjP12ihipStream_tbEUljE_EEESV_SW_SX_S14_S18_S1A_T6_T7_T9_mT8_S1C_bDpT10_ENKUlT_T0_E_clISt17integral_constantIbLb1EES1O_IbLb0EEEEDaS1K_S1L_EUlS1K_E_NS1_11comp_targetILNS1_3genE8ELNS1_11target_archE1030ELNS1_3gpuE2ELNS1_3repE0EEENS1_30default_config_static_selectorELNS0_4arch9wavefront6targetE0EEEvSY_.has_recursion, 0
	.set _ZN7rocprim17ROCPRIM_400000_NS6detail17trampoline_kernelINS0_13select_configILj256ELj13ELNS0_17block_load_methodE3ELS4_3ELS4_3ELNS0_20block_scan_algorithmE0ELj4294967295EEENS1_25partition_config_selectorILNS1_17partition_subalgoE3EjNS0_10empty_typeEbEEZZNS1_14partition_implILS8_3ELb0ES6_jNS0_17counting_iteratorIjlEEPS9_SE_NS0_5tupleIJPjSE_EEENSF_IJSE_SE_EEES9_SG_JZNS1_25segmented_radix_sort_implINS0_14default_configELb0EPKiPiPKlPlN2at6native12_GLOBAL__N_18offset_tEEE10hipError_tPvRmT1_PNSt15iterator_traitsISY_E10value_typeET2_T3_PNSZ_IS14_E10value_typeET4_jRbjT5_S1A_jjP12ihipStream_tbEUljE_EEESV_SW_SX_S14_S18_S1A_T6_T7_T9_mT8_S1C_bDpT10_ENKUlT_T0_E_clISt17integral_constantIbLb1EES1O_IbLb0EEEEDaS1K_S1L_EUlS1K_E_NS1_11comp_targetILNS1_3genE8ELNS1_11target_archE1030ELNS1_3gpuE2ELNS1_3repE0EEENS1_30default_config_static_selectorELNS0_4arch9wavefront6targetE0EEEvSY_.has_indirect_call, 0
	.section	.AMDGPU.csdata,"",@progbits
; Kernel info:
; codeLenInByte = 4
; TotalNumSgprs: 0
; NumVgprs: 0
; ScratchSize: 0
; MemoryBound: 0
; FloatMode: 240
; IeeeMode: 1
; LDSByteSize: 0 bytes/workgroup (compile time only)
; SGPRBlocks: 0
; VGPRBlocks: 0
; NumSGPRsForWavesPerEU: 1
; NumVGPRsForWavesPerEU: 1
; Occupancy: 16
; WaveLimiterHint : 0
; COMPUTE_PGM_RSRC2:SCRATCH_EN: 0
; COMPUTE_PGM_RSRC2:USER_SGPR: 6
; COMPUTE_PGM_RSRC2:TRAP_HANDLER: 0
; COMPUTE_PGM_RSRC2:TGID_X_EN: 1
; COMPUTE_PGM_RSRC2:TGID_Y_EN: 0
; COMPUTE_PGM_RSRC2:TGID_Z_EN: 0
; COMPUTE_PGM_RSRC2:TIDIG_COMP_CNT: 0
	.section	.text._ZN7rocprim17ROCPRIM_400000_NS6detail17trampoline_kernelINS0_13select_configILj256ELj13ELNS0_17block_load_methodE3ELS4_3ELS4_3ELNS0_20block_scan_algorithmE0ELj4294967295EEENS1_25partition_config_selectorILNS1_17partition_subalgoE3EjNS0_10empty_typeEbEEZZNS1_14partition_implILS8_3ELb0ES6_jNS0_17counting_iteratorIjlEEPS9_SE_NS0_5tupleIJPjSE_EEENSF_IJSE_SE_EEES9_SG_JZNS1_25segmented_radix_sort_implINS0_14default_configELb0EPKiPiPKlPlN2at6native12_GLOBAL__N_18offset_tEEE10hipError_tPvRmT1_PNSt15iterator_traitsISY_E10value_typeET2_T3_PNSZ_IS14_E10value_typeET4_jRbjT5_S1A_jjP12ihipStream_tbEUljE_EEESV_SW_SX_S14_S18_S1A_T6_T7_T9_mT8_S1C_bDpT10_ENKUlT_T0_E_clISt17integral_constantIbLb0EES1O_IbLb1EEEEDaS1K_S1L_EUlS1K_E_NS1_11comp_targetILNS1_3genE0ELNS1_11target_archE4294967295ELNS1_3gpuE0ELNS1_3repE0EEENS1_30default_config_static_selectorELNS0_4arch9wavefront6targetE0EEEvSY_,"axG",@progbits,_ZN7rocprim17ROCPRIM_400000_NS6detail17trampoline_kernelINS0_13select_configILj256ELj13ELNS0_17block_load_methodE3ELS4_3ELS4_3ELNS0_20block_scan_algorithmE0ELj4294967295EEENS1_25partition_config_selectorILNS1_17partition_subalgoE3EjNS0_10empty_typeEbEEZZNS1_14partition_implILS8_3ELb0ES6_jNS0_17counting_iteratorIjlEEPS9_SE_NS0_5tupleIJPjSE_EEENSF_IJSE_SE_EEES9_SG_JZNS1_25segmented_radix_sort_implINS0_14default_configELb0EPKiPiPKlPlN2at6native12_GLOBAL__N_18offset_tEEE10hipError_tPvRmT1_PNSt15iterator_traitsISY_E10value_typeET2_T3_PNSZ_IS14_E10value_typeET4_jRbjT5_S1A_jjP12ihipStream_tbEUljE_EEESV_SW_SX_S14_S18_S1A_T6_T7_T9_mT8_S1C_bDpT10_ENKUlT_T0_E_clISt17integral_constantIbLb0EES1O_IbLb1EEEEDaS1K_S1L_EUlS1K_E_NS1_11comp_targetILNS1_3genE0ELNS1_11target_archE4294967295ELNS1_3gpuE0ELNS1_3repE0EEENS1_30default_config_static_selectorELNS0_4arch9wavefront6targetE0EEEvSY_,comdat
	.globl	_ZN7rocprim17ROCPRIM_400000_NS6detail17trampoline_kernelINS0_13select_configILj256ELj13ELNS0_17block_load_methodE3ELS4_3ELS4_3ELNS0_20block_scan_algorithmE0ELj4294967295EEENS1_25partition_config_selectorILNS1_17partition_subalgoE3EjNS0_10empty_typeEbEEZZNS1_14partition_implILS8_3ELb0ES6_jNS0_17counting_iteratorIjlEEPS9_SE_NS0_5tupleIJPjSE_EEENSF_IJSE_SE_EEES9_SG_JZNS1_25segmented_radix_sort_implINS0_14default_configELb0EPKiPiPKlPlN2at6native12_GLOBAL__N_18offset_tEEE10hipError_tPvRmT1_PNSt15iterator_traitsISY_E10value_typeET2_T3_PNSZ_IS14_E10value_typeET4_jRbjT5_S1A_jjP12ihipStream_tbEUljE_EEESV_SW_SX_S14_S18_S1A_T6_T7_T9_mT8_S1C_bDpT10_ENKUlT_T0_E_clISt17integral_constantIbLb0EES1O_IbLb1EEEEDaS1K_S1L_EUlS1K_E_NS1_11comp_targetILNS1_3genE0ELNS1_11target_archE4294967295ELNS1_3gpuE0ELNS1_3repE0EEENS1_30default_config_static_selectorELNS0_4arch9wavefront6targetE0EEEvSY_ ; -- Begin function _ZN7rocprim17ROCPRIM_400000_NS6detail17trampoline_kernelINS0_13select_configILj256ELj13ELNS0_17block_load_methodE3ELS4_3ELS4_3ELNS0_20block_scan_algorithmE0ELj4294967295EEENS1_25partition_config_selectorILNS1_17partition_subalgoE3EjNS0_10empty_typeEbEEZZNS1_14partition_implILS8_3ELb0ES6_jNS0_17counting_iteratorIjlEEPS9_SE_NS0_5tupleIJPjSE_EEENSF_IJSE_SE_EEES9_SG_JZNS1_25segmented_radix_sort_implINS0_14default_configELb0EPKiPiPKlPlN2at6native12_GLOBAL__N_18offset_tEEE10hipError_tPvRmT1_PNSt15iterator_traitsISY_E10value_typeET2_T3_PNSZ_IS14_E10value_typeET4_jRbjT5_S1A_jjP12ihipStream_tbEUljE_EEESV_SW_SX_S14_S18_S1A_T6_T7_T9_mT8_S1C_bDpT10_ENKUlT_T0_E_clISt17integral_constantIbLb0EES1O_IbLb1EEEEDaS1K_S1L_EUlS1K_E_NS1_11comp_targetILNS1_3genE0ELNS1_11target_archE4294967295ELNS1_3gpuE0ELNS1_3repE0EEENS1_30default_config_static_selectorELNS0_4arch9wavefront6targetE0EEEvSY_
	.p2align	8
	.type	_ZN7rocprim17ROCPRIM_400000_NS6detail17trampoline_kernelINS0_13select_configILj256ELj13ELNS0_17block_load_methodE3ELS4_3ELS4_3ELNS0_20block_scan_algorithmE0ELj4294967295EEENS1_25partition_config_selectorILNS1_17partition_subalgoE3EjNS0_10empty_typeEbEEZZNS1_14partition_implILS8_3ELb0ES6_jNS0_17counting_iteratorIjlEEPS9_SE_NS0_5tupleIJPjSE_EEENSF_IJSE_SE_EEES9_SG_JZNS1_25segmented_radix_sort_implINS0_14default_configELb0EPKiPiPKlPlN2at6native12_GLOBAL__N_18offset_tEEE10hipError_tPvRmT1_PNSt15iterator_traitsISY_E10value_typeET2_T3_PNSZ_IS14_E10value_typeET4_jRbjT5_S1A_jjP12ihipStream_tbEUljE_EEESV_SW_SX_S14_S18_S1A_T6_T7_T9_mT8_S1C_bDpT10_ENKUlT_T0_E_clISt17integral_constantIbLb0EES1O_IbLb1EEEEDaS1K_S1L_EUlS1K_E_NS1_11comp_targetILNS1_3genE0ELNS1_11target_archE4294967295ELNS1_3gpuE0ELNS1_3repE0EEENS1_30default_config_static_selectorELNS0_4arch9wavefront6targetE0EEEvSY_,@function
_ZN7rocprim17ROCPRIM_400000_NS6detail17trampoline_kernelINS0_13select_configILj256ELj13ELNS0_17block_load_methodE3ELS4_3ELS4_3ELNS0_20block_scan_algorithmE0ELj4294967295EEENS1_25partition_config_selectorILNS1_17partition_subalgoE3EjNS0_10empty_typeEbEEZZNS1_14partition_implILS8_3ELb0ES6_jNS0_17counting_iteratorIjlEEPS9_SE_NS0_5tupleIJPjSE_EEENSF_IJSE_SE_EEES9_SG_JZNS1_25segmented_radix_sort_implINS0_14default_configELb0EPKiPiPKlPlN2at6native12_GLOBAL__N_18offset_tEEE10hipError_tPvRmT1_PNSt15iterator_traitsISY_E10value_typeET2_T3_PNSZ_IS14_E10value_typeET4_jRbjT5_S1A_jjP12ihipStream_tbEUljE_EEESV_SW_SX_S14_S18_S1A_T6_T7_T9_mT8_S1C_bDpT10_ENKUlT_T0_E_clISt17integral_constantIbLb0EES1O_IbLb1EEEEDaS1K_S1L_EUlS1K_E_NS1_11comp_targetILNS1_3genE0ELNS1_11target_archE4294967295ELNS1_3gpuE0ELNS1_3repE0EEENS1_30default_config_static_selectorELNS0_4arch9wavefront6targetE0EEEvSY_: ; @_ZN7rocprim17ROCPRIM_400000_NS6detail17trampoline_kernelINS0_13select_configILj256ELj13ELNS0_17block_load_methodE3ELS4_3ELS4_3ELNS0_20block_scan_algorithmE0ELj4294967295EEENS1_25partition_config_selectorILNS1_17partition_subalgoE3EjNS0_10empty_typeEbEEZZNS1_14partition_implILS8_3ELb0ES6_jNS0_17counting_iteratorIjlEEPS9_SE_NS0_5tupleIJPjSE_EEENSF_IJSE_SE_EEES9_SG_JZNS1_25segmented_radix_sort_implINS0_14default_configELb0EPKiPiPKlPlN2at6native12_GLOBAL__N_18offset_tEEE10hipError_tPvRmT1_PNSt15iterator_traitsISY_E10value_typeET2_T3_PNSZ_IS14_E10value_typeET4_jRbjT5_S1A_jjP12ihipStream_tbEUljE_EEESV_SW_SX_S14_S18_S1A_T6_T7_T9_mT8_S1C_bDpT10_ENKUlT_T0_E_clISt17integral_constantIbLb0EES1O_IbLb1EEEEDaS1K_S1L_EUlS1K_E_NS1_11comp_targetILNS1_3genE0ELNS1_11target_archE4294967295ELNS1_3gpuE0ELNS1_3repE0EEENS1_30default_config_static_selectorELNS0_4arch9wavefront6targetE0EEEvSY_
; %bb.0:
	.section	.rodata,"a",@progbits
	.p2align	6, 0x0
	.amdhsa_kernel _ZN7rocprim17ROCPRIM_400000_NS6detail17trampoline_kernelINS0_13select_configILj256ELj13ELNS0_17block_load_methodE3ELS4_3ELS4_3ELNS0_20block_scan_algorithmE0ELj4294967295EEENS1_25partition_config_selectorILNS1_17partition_subalgoE3EjNS0_10empty_typeEbEEZZNS1_14partition_implILS8_3ELb0ES6_jNS0_17counting_iteratorIjlEEPS9_SE_NS0_5tupleIJPjSE_EEENSF_IJSE_SE_EEES9_SG_JZNS1_25segmented_radix_sort_implINS0_14default_configELb0EPKiPiPKlPlN2at6native12_GLOBAL__N_18offset_tEEE10hipError_tPvRmT1_PNSt15iterator_traitsISY_E10value_typeET2_T3_PNSZ_IS14_E10value_typeET4_jRbjT5_S1A_jjP12ihipStream_tbEUljE_EEESV_SW_SX_S14_S18_S1A_T6_T7_T9_mT8_S1C_bDpT10_ENKUlT_T0_E_clISt17integral_constantIbLb0EES1O_IbLb1EEEEDaS1K_S1L_EUlS1K_E_NS1_11comp_targetILNS1_3genE0ELNS1_11target_archE4294967295ELNS1_3gpuE0ELNS1_3repE0EEENS1_30default_config_static_selectorELNS0_4arch9wavefront6targetE0EEEvSY_
		.amdhsa_group_segment_fixed_size 0
		.amdhsa_private_segment_fixed_size 0
		.amdhsa_kernarg_size 152
		.amdhsa_user_sgpr_count 6
		.amdhsa_user_sgpr_private_segment_buffer 1
		.amdhsa_user_sgpr_dispatch_ptr 0
		.amdhsa_user_sgpr_queue_ptr 0
		.amdhsa_user_sgpr_kernarg_segment_ptr 1
		.amdhsa_user_sgpr_dispatch_id 0
		.amdhsa_user_sgpr_flat_scratch_init 0
		.amdhsa_user_sgpr_private_segment_size 0
		.amdhsa_wavefront_size32 1
		.amdhsa_uses_dynamic_stack 0
		.amdhsa_system_sgpr_private_segment_wavefront_offset 0
		.amdhsa_system_sgpr_workgroup_id_x 1
		.amdhsa_system_sgpr_workgroup_id_y 0
		.amdhsa_system_sgpr_workgroup_id_z 0
		.amdhsa_system_sgpr_workgroup_info 0
		.amdhsa_system_vgpr_workitem_id 0
		.amdhsa_next_free_vgpr 1
		.amdhsa_next_free_sgpr 1
		.amdhsa_reserve_vcc 0
		.amdhsa_reserve_flat_scratch 0
		.amdhsa_float_round_mode_32 0
		.amdhsa_float_round_mode_16_64 0
		.amdhsa_float_denorm_mode_32 3
		.amdhsa_float_denorm_mode_16_64 3
		.amdhsa_dx10_clamp 1
		.amdhsa_ieee_mode 1
		.amdhsa_fp16_overflow 0
		.amdhsa_workgroup_processor_mode 1
		.amdhsa_memory_ordered 1
		.amdhsa_forward_progress 1
		.amdhsa_shared_vgpr_count 0
		.amdhsa_exception_fp_ieee_invalid_op 0
		.amdhsa_exception_fp_denorm_src 0
		.amdhsa_exception_fp_ieee_div_zero 0
		.amdhsa_exception_fp_ieee_overflow 0
		.amdhsa_exception_fp_ieee_underflow 0
		.amdhsa_exception_fp_ieee_inexact 0
		.amdhsa_exception_int_div_zero 0
	.end_amdhsa_kernel
	.section	.text._ZN7rocprim17ROCPRIM_400000_NS6detail17trampoline_kernelINS0_13select_configILj256ELj13ELNS0_17block_load_methodE3ELS4_3ELS4_3ELNS0_20block_scan_algorithmE0ELj4294967295EEENS1_25partition_config_selectorILNS1_17partition_subalgoE3EjNS0_10empty_typeEbEEZZNS1_14partition_implILS8_3ELb0ES6_jNS0_17counting_iteratorIjlEEPS9_SE_NS0_5tupleIJPjSE_EEENSF_IJSE_SE_EEES9_SG_JZNS1_25segmented_radix_sort_implINS0_14default_configELb0EPKiPiPKlPlN2at6native12_GLOBAL__N_18offset_tEEE10hipError_tPvRmT1_PNSt15iterator_traitsISY_E10value_typeET2_T3_PNSZ_IS14_E10value_typeET4_jRbjT5_S1A_jjP12ihipStream_tbEUljE_EEESV_SW_SX_S14_S18_S1A_T6_T7_T9_mT8_S1C_bDpT10_ENKUlT_T0_E_clISt17integral_constantIbLb0EES1O_IbLb1EEEEDaS1K_S1L_EUlS1K_E_NS1_11comp_targetILNS1_3genE0ELNS1_11target_archE4294967295ELNS1_3gpuE0ELNS1_3repE0EEENS1_30default_config_static_selectorELNS0_4arch9wavefront6targetE0EEEvSY_,"axG",@progbits,_ZN7rocprim17ROCPRIM_400000_NS6detail17trampoline_kernelINS0_13select_configILj256ELj13ELNS0_17block_load_methodE3ELS4_3ELS4_3ELNS0_20block_scan_algorithmE0ELj4294967295EEENS1_25partition_config_selectorILNS1_17partition_subalgoE3EjNS0_10empty_typeEbEEZZNS1_14partition_implILS8_3ELb0ES6_jNS0_17counting_iteratorIjlEEPS9_SE_NS0_5tupleIJPjSE_EEENSF_IJSE_SE_EEES9_SG_JZNS1_25segmented_radix_sort_implINS0_14default_configELb0EPKiPiPKlPlN2at6native12_GLOBAL__N_18offset_tEEE10hipError_tPvRmT1_PNSt15iterator_traitsISY_E10value_typeET2_T3_PNSZ_IS14_E10value_typeET4_jRbjT5_S1A_jjP12ihipStream_tbEUljE_EEESV_SW_SX_S14_S18_S1A_T6_T7_T9_mT8_S1C_bDpT10_ENKUlT_T0_E_clISt17integral_constantIbLb0EES1O_IbLb1EEEEDaS1K_S1L_EUlS1K_E_NS1_11comp_targetILNS1_3genE0ELNS1_11target_archE4294967295ELNS1_3gpuE0ELNS1_3repE0EEENS1_30default_config_static_selectorELNS0_4arch9wavefront6targetE0EEEvSY_,comdat
.Lfunc_end587:
	.size	_ZN7rocprim17ROCPRIM_400000_NS6detail17trampoline_kernelINS0_13select_configILj256ELj13ELNS0_17block_load_methodE3ELS4_3ELS4_3ELNS0_20block_scan_algorithmE0ELj4294967295EEENS1_25partition_config_selectorILNS1_17partition_subalgoE3EjNS0_10empty_typeEbEEZZNS1_14partition_implILS8_3ELb0ES6_jNS0_17counting_iteratorIjlEEPS9_SE_NS0_5tupleIJPjSE_EEENSF_IJSE_SE_EEES9_SG_JZNS1_25segmented_radix_sort_implINS0_14default_configELb0EPKiPiPKlPlN2at6native12_GLOBAL__N_18offset_tEEE10hipError_tPvRmT1_PNSt15iterator_traitsISY_E10value_typeET2_T3_PNSZ_IS14_E10value_typeET4_jRbjT5_S1A_jjP12ihipStream_tbEUljE_EEESV_SW_SX_S14_S18_S1A_T6_T7_T9_mT8_S1C_bDpT10_ENKUlT_T0_E_clISt17integral_constantIbLb0EES1O_IbLb1EEEEDaS1K_S1L_EUlS1K_E_NS1_11comp_targetILNS1_3genE0ELNS1_11target_archE4294967295ELNS1_3gpuE0ELNS1_3repE0EEENS1_30default_config_static_selectorELNS0_4arch9wavefront6targetE0EEEvSY_, .Lfunc_end587-_ZN7rocprim17ROCPRIM_400000_NS6detail17trampoline_kernelINS0_13select_configILj256ELj13ELNS0_17block_load_methodE3ELS4_3ELS4_3ELNS0_20block_scan_algorithmE0ELj4294967295EEENS1_25partition_config_selectorILNS1_17partition_subalgoE3EjNS0_10empty_typeEbEEZZNS1_14partition_implILS8_3ELb0ES6_jNS0_17counting_iteratorIjlEEPS9_SE_NS0_5tupleIJPjSE_EEENSF_IJSE_SE_EEES9_SG_JZNS1_25segmented_radix_sort_implINS0_14default_configELb0EPKiPiPKlPlN2at6native12_GLOBAL__N_18offset_tEEE10hipError_tPvRmT1_PNSt15iterator_traitsISY_E10value_typeET2_T3_PNSZ_IS14_E10value_typeET4_jRbjT5_S1A_jjP12ihipStream_tbEUljE_EEESV_SW_SX_S14_S18_S1A_T6_T7_T9_mT8_S1C_bDpT10_ENKUlT_T0_E_clISt17integral_constantIbLb0EES1O_IbLb1EEEEDaS1K_S1L_EUlS1K_E_NS1_11comp_targetILNS1_3genE0ELNS1_11target_archE4294967295ELNS1_3gpuE0ELNS1_3repE0EEENS1_30default_config_static_selectorELNS0_4arch9wavefront6targetE0EEEvSY_
                                        ; -- End function
	.set _ZN7rocprim17ROCPRIM_400000_NS6detail17trampoline_kernelINS0_13select_configILj256ELj13ELNS0_17block_load_methodE3ELS4_3ELS4_3ELNS0_20block_scan_algorithmE0ELj4294967295EEENS1_25partition_config_selectorILNS1_17partition_subalgoE3EjNS0_10empty_typeEbEEZZNS1_14partition_implILS8_3ELb0ES6_jNS0_17counting_iteratorIjlEEPS9_SE_NS0_5tupleIJPjSE_EEENSF_IJSE_SE_EEES9_SG_JZNS1_25segmented_radix_sort_implINS0_14default_configELb0EPKiPiPKlPlN2at6native12_GLOBAL__N_18offset_tEEE10hipError_tPvRmT1_PNSt15iterator_traitsISY_E10value_typeET2_T3_PNSZ_IS14_E10value_typeET4_jRbjT5_S1A_jjP12ihipStream_tbEUljE_EEESV_SW_SX_S14_S18_S1A_T6_T7_T9_mT8_S1C_bDpT10_ENKUlT_T0_E_clISt17integral_constantIbLb0EES1O_IbLb1EEEEDaS1K_S1L_EUlS1K_E_NS1_11comp_targetILNS1_3genE0ELNS1_11target_archE4294967295ELNS1_3gpuE0ELNS1_3repE0EEENS1_30default_config_static_selectorELNS0_4arch9wavefront6targetE0EEEvSY_.num_vgpr, 0
	.set _ZN7rocprim17ROCPRIM_400000_NS6detail17trampoline_kernelINS0_13select_configILj256ELj13ELNS0_17block_load_methodE3ELS4_3ELS4_3ELNS0_20block_scan_algorithmE0ELj4294967295EEENS1_25partition_config_selectorILNS1_17partition_subalgoE3EjNS0_10empty_typeEbEEZZNS1_14partition_implILS8_3ELb0ES6_jNS0_17counting_iteratorIjlEEPS9_SE_NS0_5tupleIJPjSE_EEENSF_IJSE_SE_EEES9_SG_JZNS1_25segmented_radix_sort_implINS0_14default_configELb0EPKiPiPKlPlN2at6native12_GLOBAL__N_18offset_tEEE10hipError_tPvRmT1_PNSt15iterator_traitsISY_E10value_typeET2_T3_PNSZ_IS14_E10value_typeET4_jRbjT5_S1A_jjP12ihipStream_tbEUljE_EEESV_SW_SX_S14_S18_S1A_T6_T7_T9_mT8_S1C_bDpT10_ENKUlT_T0_E_clISt17integral_constantIbLb0EES1O_IbLb1EEEEDaS1K_S1L_EUlS1K_E_NS1_11comp_targetILNS1_3genE0ELNS1_11target_archE4294967295ELNS1_3gpuE0ELNS1_3repE0EEENS1_30default_config_static_selectorELNS0_4arch9wavefront6targetE0EEEvSY_.num_agpr, 0
	.set _ZN7rocprim17ROCPRIM_400000_NS6detail17trampoline_kernelINS0_13select_configILj256ELj13ELNS0_17block_load_methodE3ELS4_3ELS4_3ELNS0_20block_scan_algorithmE0ELj4294967295EEENS1_25partition_config_selectorILNS1_17partition_subalgoE3EjNS0_10empty_typeEbEEZZNS1_14partition_implILS8_3ELb0ES6_jNS0_17counting_iteratorIjlEEPS9_SE_NS0_5tupleIJPjSE_EEENSF_IJSE_SE_EEES9_SG_JZNS1_25segmented_radix_sort_implINS0_14default_configELb0EPKiPiPKlPlN2at6native12_GLOBAL__N_18offset_tEEE10hipError_tPvRmT1_PNSt15iterator_traitsISY_E10value_typeET2_T3_PNSZ_IS14_E10value_typeET4_jRbjT5_S1A_jjP12ihipStream_tbEUljE_EEESV_SW_SX_S14_S18_S1A_T6_T7_T9_mT8_S1C_bDpT10_ENKUlT_T0_E_clISt17integral_constantIbLb0EES1O_IbLb1EEEEDaS1K_S1L_EUlS1K_E_NS1_11comp_targetILNS1_3genE0ELNS1_11target_archE4294967295ELNS1_3gpuE0ELNS1_3repE0EEENS1_30default_config_static_selectorELNS0_4arch9wavefront6targetE0EEEvSY_.numbered_sgpr, 0
	.set _ZN7rocprim17ROCPRIM_400000_NS6detail17trampoline_kernelINS0_13select_configILj256ELj13ELNS0_17block_load_methodE3ELS4_3ELS4_3ELNS0_20block_scan_algorithmE0ELj4294967295EEENS1_25partition_config_selectorILNS1_17partition_subalgoE3EjNS0_10empty_typeEbEEZZNS1_14partition_implILS8_3ELb0ES6_jNS0_17counting_iteratorIjlEEPS9_SE_NS0_5tupleIJPjSE_EEENSF_IJSE_SE_EEES9_SG_JZNS1_25segmented_radix_sort_implINS0_14default_configELb0EPKiPiPKlPlN2at6native12_GLOBAL__N_18offset_tEEE10hipError_tPvRmT1_PNSt15iterator_traitsISY_E10value_typeET2_T3_PNSZ_IS14_E10value_typeET4_jRbjT5_S1A_jjP12ihipStream_tbEUljE_EEESV_SW_SX_S14_S18_S1A_T6_T7_T9_mT8_S1C_bDpT10_ENKUlT_T0_E_clISt17integral_constantIbLb0EES1O_IbLb1EEEEDaS1K_S1L_EUlS1K_E_NS1_11comp_targetILNS1_3genE0ELNS1_11target_archE4294967295ELNS1_3gpuE0ELNS1_3repE0EEENS1_30default_config_static_selectorELNS0_4arch9wavefront6targetE0EEEvSY_.num_named_barrier, 0
	.set _ZN7rocprim17ROCPRIM_400000_NS6detail17trampoline_kernelINS0_13select_configILj256ELj13ELNS0_17block_load_methodE3ELS4_3ELS4_3ELNS0_20block_scan_algorithmE0ELj4294967295EEENS1_25partition_config_selectorILNS1_17partition_subalgoE3EjNS0_10empty_typeEbEEZZNS1_14partition_implILS8_3ELb0ES6_jNS0_17counting_iteratorIjlEEPS9_SE_NS0_5tupleIJPjSE_EEENSF_IJSE_SE_EEES9_SG_JZNS1_25segmented_radix_sort_implINS0_14default_configELb0EPKiPiPKlPlN2at6native12_GLOBAL__N_18offset_tEEE10hipError_tPvRmT1_PNSt15iterator_traitsISY_E10value_typeET2_T3_PNSZ_IS14_E10value_typeET4_jRbjT5_S1A_jjP12ihipStream_tbEUljE_EEESV_SW_SX_S14_S18_S1A_T6_T7_T9_mT8_S1C_bDpT10_ENKUlT_T0_E_clISt17integral_constantIbLb0EES1O_IbLb1EEEEDaS1K_S1L_EUlS1K_E_NS1_11comp_targetILNS1_3genE0ELNS1_11target_archE4294967295ELNS1_3gpuE0ELNS1_3repE0EEENS1_30default_config_static_selectorELNS0_4arch9wavefront6targetE0EEEvSY_.private_seg_size, 0
	.set _ZN7rocprim17ROCPRIM_400000_NS6detail17trampoline_kernelINS0_13select_configILj256ELj13ELNS0_17block_load_methodE3ELS4_3ELS4_3ELNS0_20block_scan_algorithmE0ELj4294967295EEENS1_25partition_config_selectorILNS1_17partition_subalgoE3EjNS0_10empty_typeEbEEZZNS1_14partition_implILS8_3ELb0ES6_jNS0_17counting_iteratorIjlEEPS9_SE_NS0_5tupleIJPjSE_EEENSF_IJSE_SE_EEES9_SG_JZNS1_25segmented_radix_sort_implINS0_14default_configELb0EPKiPiPKlPlN2at6native12_GLOBAL__N_18offset_tEEE10hipError_tPvRmT1_PNSt15iterator_traitsISY_E10value_typeET2_T3_PNSZ_IS14_E10value_typeET4_jRbjT5_S1A_jjP12ihipStream_tbEUljE_EEESV_SW_SX_S14_S18_S1A_T6_T7_T9_mT8_S1C_bDpT10_ENKUlT_T0_E_clISt17integral_constantIbLb0EES1O_IbLb1EEEEDaS1K_S1L_EUlS1K_E_NS1_11comp_targetILNS1_3genE0ELNS1_11target_archE4294967295ELNS1_3gpuE0ELNS1_3repE0EEENS1_30default_config_static_selectorELNS0_4arch9wavefront6targetE0EEEvSY_.uses_vcc, 0
	.set _ZN7rocprim17ROCPRIM_400000_NS6detail17trampoline_kernelINS0_13select_configILj256ELj13ELNS0_17block_load_methodE3ELS4_3ELS4_3ELNS0_20block_scan_algorithmE0ELj4294967295EEENS1_25partition_config_selectorILNS1_17partition_subalgoE3EjNS0_10empty_typeEbEEZZNS1_14partition_implILS8_3ELb0ES6_jNS0_17counting_iteratorIjlEEPS9_SE_NS0_5tupleIJPjSE_EEENSF_IJSE_SE_EEES9_SG_JZNS1_25segmented_radix_sort_implINS0_14default_configELb0EPKiPiPKlPlN2at6native12_GLOBAL__N_18offset_tEEE10hipError_tPvRmT1_PNSt15iterator_traitsISY_E10value_typeET2_T3_PNSZ_IS14_E10value_typeET4_jRbjT5_S1A_jjP12ihipStream_tbEUljE_EEESV_SW_SX_S14_S18_S1A_T6_T7_T9_mT8_S1C_bDpT10_ENKUlT_T0_E_clISt17integral_constantIbLb0EES1O_IbLb1EEEEDaS1K_S1L_EUlS1K_E_NS1_11comp_targetILNS1_3genE0ELNS1_11target_archE4294967295ELNS1_3gpuE0ELNS1_3repE0EEENS1_30default_config_static_selectorELNS0_4arch9wavefront6targetE0EEEvSY_.uses_flat_scratch, 0
	.set _ZN7rocprim17ROCPRIM_400000_NS6detail17trampoline_kernelINS0_13select_configILj256ELj13ELNS0_17block_load_methodE3ELS4_3ELS4_3ELNS0_20block_scan_algorithmE0ELj4294967295EEENS1_25partition_config_selectorILNS1_17partition_subalgoE3EjNS0_10empty_typeEbEEZZNS1_14partition_implILS8_3ELb0ES6_jNS0_17counting_iteratorIjlEEPS9_SE_NS0_5tupleIJPjSE_EEENSF_IJSE_SE_EEES9_SG_JZNS1_25segmented_radix_sort_implINS0_14default_configELb0EPKiPiPKlPlN2at6native12_GLOBAL__N_18offset_tEEE10hipError_tPvRmT1_PNSt15iterator_traitsISY_E10value_typeET2_T3_PNSZ_IS14_E10value_typeET4_jRbjT5_S1A_jjP12ihipStream_tbEUljE_EEESV_SW_SX_S14_S18_S1A_T6_T7_T9_mT8_S1C_bDpT10_ENKUlT_T0_E_clISt17integral_constantIbLb0EES1O_IbLb1EEEEDaS1K_S1L_EUlS1K_E_NS1_11comp_targetILNS1_3genE0ELNS1_11target_archE4294967295ELNS1_3gpuE0ELNS1_3repE0EEENS1_30default_config_static_selectorELNS0_4arch9wavefront6targetE0EEEvSY_.has_dyn_sized_stack, 0
	.set _ZN7rocprim17ROCPRIM_400000_NS6detail17trampoline_kernelINS0_13select_configILj256ELj13ELNS0_17block_load_methodE3ELS4_3ELS4_3ELNS0_20block_scan_algorithmE0ELj4294967295EEENS1_25partition_config_selectorILNS1_17partition_subalgoE3EjNS0_10empty_typeEbEEZZNS1_14partition_implILS8_3ELb0ES6_jNS0_17counting_iteratorIjlEEPS9_SE_NS0_5tupleIJPjSE_EEENSF_IJSE_SE_EEES9_SG_JZNS1_25segmented_radix_sort_implINS0_14default_configELb0EPKiPiPKlPlN2at6native12_GLOBAL__N_18offset_tEEE10hipError_tPvRmT1_PNSt15iterator_traitsISY_E10value_typeET2_T3_PNSZ_IS14_E10value_typeET4_jRbjT5_S1A_jjP12ihipStream_tbEUljE_EEESV_SW_SX_S14_S18_S1A_T6_T7_T9_mT8_S1C_bDpT10_ENKUlT_T0_E_clISt17integral_constantIbLb0EES1O_IbLb1EEEEDaS1K_S1L_EUlS1K_E_NS1_11comp_targetILNS1_3genE0ELNS1_11target_archE4294967295ELNS1_3gpuE0ELNS1_3repE0EEENS1_30default_config_static_selectorELNS0_4arch9wavefront6targetE0EEEvSY_.has_recursion, 0
	.set _ZN7rocprim17ROCPRIM_400000_NS6detail17trampoline_kernelINS0_13select_configILj256ELj13ELNS0_17block_load_methodE3ELS4_3ELS4_3ELNS0_20block_scan_algorithmE0ELj4294967295EEENS1_25partition_config_selectorILNS1_17partition_subalgoE3EjNS0_10empty_typeEbEEZZNS1_14partition_implILS8_3ELb0ES6_jNS0_17counting_iteratorIjlEEPS9_SE_NS0_5tupleIJPjSE_EEENSF_IJSE_SE_EEES9_SG_JZNS1_25segmented_radix_sort_implINS0_14default_configELb0EPKiPiPKlPlN2at6native12_GLOBAL__N_18offset_tEEE10hipError_tPvRmT1_PNSt15iterator_traitsISY_E10value_typeET2_T3_PNSZ_IS14_E10value_typeET4_jRbjT5_S1A_jjP12ihipStream_tbEUljE_EEESV_SW_SX_S14_S18_S1A_T6_T7_T9_mT8_S1C_bDpT10_ENKUlT_T0_E_clISt17integral_constantIbLb0EES1O_IbLb1EEEEDaS1K_S1L_EUlS1K_E_NS1_11comp_targetILNS1_3genE0ELNS1_11target_archE4294967295ELNS1_3gpuE0ELNS1_3repE0EEENS1_30default_config_static_selectorELNS0_4arch9wavefront6targetE0EEEvSY_.has_indirect_call, 0
	.section	.AMDGPU.csdata,"",@progbits
; Kernel info:
; codeLenInByte = 0
; TotalNumSgprs: 0
; NumVgprs: 0
; ScratchSize: 0
; MemoryBound: 0
; FloatMode: 240
; IeeeMode: 1
; LDSByteSize: 0 bytes/workgroup (compile time only)
; SGPRBlocks: 0
; VGPRBlocks: 0
; NumSGPRsForWavesPerEU: 1
; NumVGPRsForWavesPerEU: 1
; Occupancy: 16
; WaveLimiterHint : 0
; COMPUTE_PGM_RSRC2:SCRATCH_EN: 0
; COMPUTE_PGM_RSRC2:USER_SGPR: 6
; COMPUTE_PGM_RSRC2:TRAP_HANDLER: 0
; COMPUTE_PGM_RSRC2:TGID_X_EN: 1
; COMPUTE_PGM_RSRC2:TGID_Y_EN: 0
; COMPUTE_PGM_RSRC2:TGID_Z_EN: 0
; COMPUTE_PGM_RSRC2:TIDIG_COMP_CNT: 0
	.section	.text._ZN7rocprim17ROCPRIM_400000_NS6detail17trampoline_kernelINS0_13select_configILj256ELj13ELNS0_17block_load_methodE3ELS4_3ELS4_3ELNS0_20block_scan_algorithmE0ELj4294967295EEENS1_25partition_config_selectorILNS1_17partition_subalgoE3EjNS0_10empty_typeEbEEZZNS1_14partition_implILS8_3ELb0ES6_jNS0_17counting_iteratorIjlEEPS9_SE_NS0_5tupleIJPjSE_EEENSF_IJSE_SE_EEES9_SG_JZNS1_25segmented_radix_sort_implINS0_14default_configELb0EPKiPiPKlPlN2at6native12_GLOBAL__N_18offset_tEEE10hipError_tPvRmT1_PNSt15iterator_traitsISY_E10value_typeET2_T3_PNSZ_IS14_E10value_typeET4_jRbjT5_S1A_jjP12ihipStream_tbEUljE_EEESV_SW_SX_S14_S18_S1A_T6_T7_T9_mT8_S1C_bDpT10_ENKUlT_T0_E_clISt17integral_constantIbLb0EES1O_IbLb1EEEEDaS1K_S1L_EUlS1K_E_NS1_11comp_targetILNS1_3genE5ELNS1_11target_archE942ELNS1_3gpuE9ELNS1_3repE0EEENS1_30default_config_static_selectorELNS0_4arch9wavefront6targetE0EEEvSY_,"axG",@progbits,_ZN7rocprim17ROCPRIM_400000_NS6detail17trampoline_kernelINS0_13select_configILj256ELj13ELNS0_17block_load_methodE3ELS4_3ELS4_3ELNS0_20block_scan_algorithmE0ELj4294967295EEENS1_25partition_config_selectorILNS1_17partition_subalgoE3EjNS0_10empty_typeEbEEZZNS1_14partition_implILS8_3ELb0ES6_jNS0_17counting_iteratorIjlEEPS9_SE_NS0_5tupleIJPjSE_EEENSF_IJSE_SE_EEES9_SG_JZNS1_25segmented_radix_sort_implINS0_14default_configELb0EPKiPiPKlPlN2at6native12_GLOBAL__N_18offset_tEEE10hipError_tPvRmT1_PNSt15iterator_traitsISY_E10value_typeET2_T3_PNSZ_IS14_E10value_typeET4_jRbjT5_S1A_jjP12ihipStream_tbEUljE_EEESV_SW_SX_S14_S18_S1A_T6_T7_T9_mT8_S1C_bDpT10_ENKUlT_T0_E_clISt17integral_constantIbLb0EES1O_IbLb1EEEEDaS1K_S1L_EUlS1K_E_NS1_11comp_targetILNS1_3genE5ELNS1_11target_archE942ELNS1_3gpuE9ELNS1_3repE0EEENS1_30default_config_static_selectorELNS0_4arch9wavefront6targetE0EEEvSY_,comdat
	.globl	_ZN7rocprim17ROCPRIM_400000_NS6detail17trampoline_kernelINS0_13select_configILj256ELj13ELNS0_17block_load_methodE3ELS4_3ELS4_3ELNS0_20block_scan_algorithmE0ELj4294967295EEENS1_25partition_config_selectorILNS1_17partition_subalgoE3EjNS0_10empty_typeEbEEZZNS1_14partition_implILS8_3ELb0ES6_jNS0_17counting_iteratorIjlEEPS9_SE_NS0_5tupleIJPjSE_EEENSF_IJSE_SE_EEES9_SG_JZNS1_25segmented_radix_sort_implINS0_14default_configELb0EPKiPiPKlPlN2at6native12_GLOBAL__N_18offset_tEEE10hipError_tPvRmT1_PNSt15iterator_traitsISY_E10value_typeET2_T3_PNSZ_IS14_E10value_typeET4_jRbjT5_S1A_jjP12ihipStream_tbEUljE_EEESV_SW_SX_S14_S18_S1A_T6_T7_T9_mT8_S1C_bDpT10_ENKUlT_T0_E_clISt17integral_constantIbLb0EES1O_IbLb1EEEEDaS1K_S1L_EUlS1K_E_NS1_11comp_targetILNS1_3genE5ELNS1_11target_archE942ELNS1_3gpuE9ELNS1_3repE0EEENS1_30default_config_static_selectorELNS0_4arch9wavefront6targetE0EEEvSY_ ; -- Begin function _ZN7rocprim17ROCPRIM_400000_NS6detail17trampoline_kernelINS0_13select_configILj256ELj13ELNS0_17block_load_methodE3ELS4_3ELS4_3ELNS0_20block_scan_algorithmE0ELj4294967295EEENS1_25partition_config_selectorILNS1_17partition_subalgoE3EjNS0_10empty_typeEbEEZZNS1_14partition_implILS8_3ELb0ES6_jNS0_17counting_iteratorIjlEEPS9_SE_NS0_5tupleIJPjSE_EEENSF_IJSE_SE_EEES9_SG_JZNS1_25segmented_radix_sort_implINS0_14default_configELb0EPKiPiPKlPlN2at6native12_GLOBAL__N_18offset_tEEE10hipError_tPvRmT1_PNSt15iterator_traitsISY_E10value_typeET2_T3_PNSZ_IS14_E10value_typeET4_jRbjT5_S1A_jjP12ihipStream_tbEUljE_EEESV_SW_SX_S14_S18_S1A_T6_T7_T9_mT8_S1C_bDpT10_ENKUlT_T0_E_clISt17integral_constantIbLb0EES1O_IbLb1EEEEDaS1K_S1L_EUlS1K_E_NS1_11comp_targetILNS1_3genE5ELNS1_11target_archE942ELNS1_3gpuE9ELNS1_3repE0EEENS1_30default_config_static_selectorELNS0_4arch9wavefront6targetE0EEEvSY_
	.p2align	8
	.type	_ZN7rocprim17ROCPRIM_400000_NS6detail17trampoline_kernelINS0_13select_configILj256ELj13ELNS0_17block_load_methodE3ELS4_3ELS4_3ELNS0_20block_scan_algorithmE0ELj4294967295EEENS1_25partition_config_selectorILNS1_17partition_subalgoE3EjNS0_10empty_typeEbEEZZNS1_14partition_implILS8_3ELb0ES6_jNS0_17counting_iteratorIjlEEPS9_SE_NS0_5tupleIJPjSE_EEENSF_IJSE_SE_EEES9_SG_JZNS1_25segmented_radix_sort_implINS0_14default_configELb0EPKiPiPKlPlN2at6native12_GLOBAL__N_18offset_tEEE10hipError_tPvRmT1_PNSt15iterator_traitsISY_E10value_typeET2_T3_PNSZ_IS14_E10value_typeET4_jRbjT5_S1A_jjP12ihipStream_tbEUljE_EEESV_SW_SX_S14_S18_S1A_T6_T7_T9_mT8_S1C_bDpT10_ENKUlT_T0_E_clISt17integral_constantIbLb0EES1O_IbLb1EEEEDaS1K_S1L_EUlS1K_E_NS1_11comp_targetILNS1_3genE5ELNS1_11target_archE942ELNS1_3gpuE9ELNS1_3repE0EEENS1_30default_config_static_selectorELNS0_4arch9wavefront6targetE0EEEvSY_,@function
_ZN7rocprim17ROCPRIM_400000_NS6detail17trampoline_kernelINS0_13select_configILj256ELj13ELNS0_17block_load_methodE3ELS4_3ELS4_3ELNS0_20block_scan_algorithmE0ELj4294967295EEENS1_25partition_config_selectorILNS1_17partition_subalgoE3EjNS0_10empty_typeEbEEZZNS1_14partition_implILS8_3ELb0ES6_jNS0_17counting_iteratorIjlEEPS9_SE_NS0_5tupleIJPjSE_EEENSF_IJSE_SE_EEES9_SG_JZNS1_25segmented_radix_sort_implINS0_14default_configELb0EPKiPiPKlPlN2at6native12_GLOBAL__N_18offset_tEEE10hipError_tPvRmT1_PNSt15iterator_traitsISY_E10value_typeET2_T3_PNSZ_IS14_E10value_typeET4_jRbjT5_S1A_jjP12ihipStream_tbEUljE_EEESV_SW_SX_S14_S18_S1A_T6_T7_T9_mT8_S1C_bDpT10_ENKUlT_T0_E_clISt17integral_constantIbLb0EES1O_IbLb1EEEEDaS1K_S1L_EUlS1K_E_NS1_11comp_targetILNS1_3genE5ELNS1_11target_archE942ELNS1_3gpuE9ELNS1_3repE0EEENS1_30default_config_static_selectorELNS0_4arch9wavefront6targetE0EEEvSY_: ; @_ZN7rocprim17ROCPRIM_400000_NS6detail17trampoline_kernelINS0_13select_configILj256ELj13ELNS0_17block_load_methodE3ELS4_3ELS4_3ELNS0_20block_scan_algorithmE0ELj4294967295EEENS1_25partition_config_selectorILNS1_17partition_subalgoE3EjNS0_10empty_typeEbEEZZNS1_14partition_implILS8_3ELb0ES6_jNS0_17counting_iteratorIjlEEPS9_SE_NS0_5tupleIJPjSE_EEENSF_IJSE_SE_EEES9_SG_JZNS1_25segmented_radix_sort_implINS0_14default_configELb0EPKiPiPKlPlN2at6native12_GLOBAL__N_18offset_tEEE10hipError_tPvRmT1_PNSt15iterator_traitsISY_E10value_typeET2_T3_PNSZ_IS14_E10value_typeET4_jRbjT5_S1A_jjP12ihipStream_tbEUljE_EEESV_SW_SX_S14_S18_S1A_T6_T7_T9_mT8_S1C_bDpT10_ENKUlT_T0_E_clISt17integral_constantIbLb0EES1O_IbLb1EEEEDaS1K_S1L_EUlS1K_E_NS1_11comp_targetILNS1_3genE5ELNS1_11target_archE942ELNS1_3gpuE9ELNS1_3repE0EEENS1_30default_config_static_selectorELNS0_4arch9wavefront6targetE0EEEvSY_
; %bb.0:
	.section	.rodata,"a",@progbits
	.p2align	6, 0x0
	.amdhsa_kernel _ZN7rocprim17ROCPRIM_400000_NS6detail17trampoline_kernelINS0_13select_configILj256ELj13ELNS0_17block_load_methodE3ELS4_3ELS4_3ELNS0_20block_scan_algorithmE0ELj4294967295EEENS1_25partition_config_selectorILNS1_17partition_subalgoE3EjNS0_10empty_typeEbEEZZNS1_14partition_implILS8_3ELb0ES6_jNS0_17counting_iteratorIjlEEPS9_SE_NS0_5tupleIJPjSE_EEENSF_IJSE_SE_EEES9_SG_JZNS1_25segmented_radix_sort_implINS0_14default_configELb0EPKiPiPKlPlN2at6native12_GLOBAL__N_18offset_tEEE10hipError_tPvRmT1_PNSt15iterator_traitsISY_E10value_typeET2_T3_PNSZ_IS14_E10value_typeET4_jRbjT5_S1A_jjP12ihipStream_tbEUljE_EEESV_SW_SX_S14_S18_S1A_T6_T7_T9_mT8_S1C_bDpT10_ENKUlT_T0_E_clISt17integral_constantIbLb0EES1O_IbLb1EEEEDaS1K_S1L_EUlS1K_E_NS1_11comp_targetILNS1_3genE5ELNS1_11target_archE942ELNS1_3gpuE9ELNS1_3repE0EEENS1_30default_config_static_selectorELNS0_4arch9wavefront6targetE0EEEvSY_
		.amdhsa_group_segment_fixed_size 0
		.amdhsa_private_segment_fixed_size 0
		.amdhsa_kernarg_size 152
		.amdhsa_user_sgpr_count 6
		.amdhsa_user_sgpr_private_segment_buffer 1
		.amdhsa_user_sgpr_dispatch_ptr 0
		.amdhsa_user_sgpr_queue_ptr 0
		.amdhsa_user_sgpr_kernarg_segment_ptr 1
		.amdhsa_user_sgpr_dispatch_id 0
		.amdhsa_user_sgpr_flat_scratch_init 0
		.amdhsa_user_sgpr_private_segment_size 0
		.amdhsa_wavefront_size32 1
		.amdhsa_uses_dynamic_stack 0
		.amdhsa_system_sgpr_private_segment_wavefront_offset 0
		.amdhsa_system_sgpr_workgroup_id_x 1
		.amdhsa_system_sgpr_workgroup_id_y 0
		.amdhsa_system_sgpr_workgroup_id_z 0
		.amdhsa_system_sgpr_workgroup_info 0
		.amdhsa_system_vgpr_workitem_id 0
		.amdhsa_next_free_vgpr 1
		.amdhsa_next_free_sgpr 1
		.amdhsa_reserve_vcc 0
		.amdhsa_reserve_flat_scratch 0
		.amdhsa_float_round_mode_32 0
		.amdhsa_float_round_mode_16_64 0
		.amdhsa_float_denorm_mode_32 3
		.amdhsa_float_denorm_mode_16_64 3
		.amdhsa_dx10_clamp 1
		.amdhsa_ieee_mode 1
		.amdhsa_fp16_overflow 0
		.amdhsa_workgroup_processor_mode 1
		.amdhsa_memory_ordered 1
		.amdhsa_forward_progress 1
		.amdhsa_shared_vgpr_count 0
		.amdhsa_exception_fp_ieee_invalid_op 0
		.amdhsa_exception_fp_denorm_src 0
		.amdhsa_exception_fp_ieee_div_zero 0
		.amdhsa_exception_fp_ieee_overflow 0
		.amdhsa_exception_fp_ieee_underflow 0
		.amdhsa_exception_fp_ieee_inexact 0
		.amdhsa_exception_int_div_zero 0
	.end_amdhsa_kernel
	.section	.text._ZN7rocprim17ROCPRIM_400000_NS6detail17trampoline_kernelINS0_13select_configILj256ELj13ELNS0_17block_load_methodE3ELS4_3ELS4_3ELNS0_20block_scan_algorithmE0ELj4294967295EEENS1_25partition_config_selectorILNS1_17partition_subalgoE3EjNS0_10empty_typeEbEEZZNS1_14partition_implILS8_3ELb0ES6_jNS0_17counting_iteratorIjlEEPS9_SE_NS0_5tupleIJPjSE_EEENSF_IJSE_SE_EEES9_SG_JZNS1_25segmented_radix_sort_implINS0_14default_configELb0EPKiPiPKlPlN2at6native12_GLOBAL__N_18offset_tEEE10hipError_tPvRmT1_PNSt15iterator_traitsISY_E10value_typeET2_T3_PNSZ_IS14_E10value_typeET4_jRbjT5_S1A_jjP12ihipStream_tbEUljE_EEESV_SW_SX_S14_S18_S1A_T6_T7_T9_mT8_S1C_bDpT10_ENKUlT_T0_E_clISt17integral_constantIbLb0EES1O_IbLb1EEEEDaS1K_S1L_EUlS1K_E_NS1_11comp_targetILNS1_3genE5ELNS1_11target_archE942ELNS1_3gpuE9ELNS1_3repE0EEENS1_30default_config_static_selectorELNS0_4arch9wavefront6targetE0EEEvSY_,"axG",@progbits,_ZN7rocprim17ROCPRIM_400000_NS6detail17trampoline_kernelINS0_13select_configILj256ELj13ELNS0_17block_load_methodE3ELS4_3ELS4_3ELNS0_20block_scan_algorithmE0ELj4294967295EEENS1_25partition_config_selectorILNS1_17partition_subalgoE3EjNS0_10empty_typeEbEEZZNS1_14partition_implILS8_3ELb0ES6_jNS0_17counting_iteratorIjlEEPS9_SE_NS0_5tupleIJPjSE_EEENSF_IJSE_SE_EEES9_SG_JZNS1_25segmented_radix_sort_implINS0_14default_configELb0EPKiPiPKlPlN2at6native12_GLOBAL__N_18offset_tEEE10hipError_tPvRmT1_PNSt15iterator_traitsISY_E10value_typeET2_T3_PNSZ_IS14_E10value_typeET4_jRbjT5_S1A_jjP12ihipStream_tbEUljE_EEESV_SW_SX_S14_S18_S1A_T6_T7_T9_mT8_S1C_bDpT10_ENKUlT_T0_E_clISt17integral_constantIbLb0EES1O_IbLb1EEEEDaS1K_S1L_EUlS1K_E_NS1_11comp_targetILNS1_3genE5ELNS1_11target_archE942ELNS1_3gpuE9ELNS1_3repE0EEENS1_30default_config_static_selectorELNS0_4arch9wavefront6targetE0EEEvSY_,comdat
.Lfunc_end588:
	.size	_ZN7rocprim17ROCPRIM_400000_NS6detail17trampoline_kernelINS0_13select_configILj256ELj13ELNS0_17block_load_methodE3ELS4_3ELS4_3ELNS0_20block_scan_algorithmE0ELj4294967295EEENS1_25partition_config_selectorILNS1_17partition_subalgoE3EjNS0_10empty_typeEbEEZZNS1_14partition_implILS8_3ELb0ES6_jNS0_17counting_iteratorIjlEEPS9_SE_NS0_5tupleIJPjSE_EEENSF_IJSE_SE_EEES9_SG_JZNS1_25segmented_radix_sort_implINS0_14default_configELb0EPKiPiPKlPlN2at6native12_GLOBAL__N_18offset_tEEE10hipError_tPvRmT1_PNSt15iterator_traitsISY_E10value_typeET2_T3_PNSZ_IS14_E10value_typeET4_jRbjT5_S1A_jjP12ihipStream_tbEUljE_EEESV_SW_SX_S14_S18_S1A_T6_T7_T9_mT8_S1C_bDpT10_ENKUlT_T0_E_clISt17integral_constantIbLb0EES1O_IbLb1EEEEDaS1K_S1L_EUlS1K_E_NS1_11comp_targetILNS1_3genE5ELNS1_11target_archE942ELNS1_3gpuE9ELNS1_3repE0EEENS1_30default_config_static_selectorELNS0_4arch9wavefront6targetE0EEEvSY_, .Lfunc_end588-_ZN7rocprim17ROCPRIM_400000_NS6detail17trampoline_kernelINS0_13select_configILj256ELj13ELNS0_17block_load_methodE3ELS4_3ELS4_3ELNS0_20block_scan_algorithmE0ELj4294967295EEENS1_25partition_config_selectorILNS1_17partition_subalgoE3EjNS0_10empty_typeEbEEZZNS1_14partition_implILS8_3ELb0ES6_jNS0_17counting_iteratorIjlEEPS9_SE_NS0_5tupleIJPjSE_EEENSF_IJSE_SE_EEES9_SG_JZNS1_25segmented_radix_sort_implINS0_14default_configELb0EPKiPiPKlPlN2at6native12_GLOBAL__N_18offset_tEEE10hipError_tPvRmT1_PNSt15iterator_traitsISY_E10value_typeET2_T3_PNSZ_IS14_E10value_typeET4_jRbjT5_S1A_jjP12ihipStream_tbEUljE_EEESV_SW_SX_S14_S18_S1A_T6_T7_T9_mT8_S1C_bDpT10_ENKUlT_T0_E_clISt17integral_constantIbLb0EES1O_IbLb1EEEEDaS1K_S1L_EUlS1K_E_NS1_11comp_targetILNS1_3genE5ELNS1_11target_archE942ELNS1_3gpuE9ELNS1_3repE0EEENS1_30default_config_static_selectorELNS0_4arch9wavefront6targetE0EEEvSY_
                                        ; -- End function
	.set _ZN7rocprim17ROCPRIM_400000_NS6detail17trampoline_kernelINS0_13select_configILj256ELj13ELNS0_17block_load_methodE3ELS4_3ELS4_3ELNS0_20block_scan_algorithmE0ELj4294967295EEENS1_25partition_config_selectorILNS1_17partition_subalgoE3EjNS0_10empty_typeEbEEZZNS1_14partition_implILS8_3ELb0ES6_jNS0_17counting_iteratorIjlEEPS9_SE_NS0_5tupleIJPjSE_EEENSF_IJSE_SE_EEES9_SG_JZNS1_25segmented_radix_sort_implINS0_14default_configELb0EPKiPiPKlPlN2at6native12_GLOBAL__N_18offset_tEEE10hipError_tPvRmT1_PNSt15iterator_traitsISY_E10value_typeET2_T3_PNSZ_IS14_E10value_typeET4_jRbjT5_S1A_jjP12ihipStream_tbEUljE_EEESV_SW_SX_S14_S18_S1A_T6_T7_T9_mT8_S1C_bDpT10_ENKUlT_T0_E_clISt17integral_constantIbLb0EES1O_IbLb1EEEEDaS1K_S1L_EUlS1K_E_NS1_11comp_targetILNS1_3genE5ELNS1_11target_archE942ELNS1_3gpuE9ELNS1_3repE0EEENS1_30default_config_static_selectorELNS0_4arch9wavefront6targetE0EEEvSY_.num_vgpr, 0
	.set _ZN7rocprim17ROCPRIM_400000_NS6detail17trampoline_kernelINS0_13select_configILj256ELj13ELNS0_17block_load_methodE3ELS4_3ELS4_3ELNS0_20block_scan_algorithmE0ELj4294967295EEENS1_25partition_config_selectorILNS1_17partition_subalgoE3EjNS0_10empty_typeEbEEZZNS1_14partition_implILS8_3ELb0ES6_jNS0_17counting_iteratorIjlEEPS9_SE_NS0_5tupleIJPjSE_EEENSF_IJSE_SE_EEES9_SG_JZNS1_25segmented_radix_sort_implINS0_14default_configELb0EPKiPiPKlPlN2at6native12_GLOBAL__N_18offset_tEEE10hipError_tPvRmT1_PNSt15iterator_traitsISY_E10value_typeET2_T3_PNSZ_IS14_E10value_typeET4_jRbjT5_S1A_jjP12ihipStream_tbEUljE_EEESV_SW_SX_S14_S18_S1A_T6_T7_T9_mT8_S1C_bDpT10_ENKUlT_T0_E_clISt17integral_constantIbLb0EES1O_IbLb1EEEEDaS1K_S1L_EUlS1K_E_NS1_11comp_targetILNS1_3genE5ELNS1_11target_archE942ELNS1_3gpuE9ELNS1_3repE0EEENS1_30default_config_static_selectorELNS0_4arch9wavefront6targetE0EEEvSY_.num_agpr, 0
	.set _ZN7rocprim17ROCPRIM_400000_NS6detail17trampoline_kernelINS0_13select_configILj256ELj13ELNS0_17block_load_methodE3ELS4_3ELS4_3ELNS0_20block_scan_algorithmE0ELj4294967295EEENS1_25partition_config_selectorILNS1_17partition_subalgoE3EjNS0_10empty_typeEbEEZZNS1_14partition_implILS8_3ELb0ES6_jNS0_17counting_iteratorIjlEEPS9_SE_NS0_5tupleIJPjSE_EEENSF_IJSE_SE_EEES9_SG_JZNS1_25segmented_radix_sort_implINS0_14default_configELb0EPKiPiPKlPlN2at6native12_GLOBAL__N_18offset_tEEE10hipError_tPvRmT1_PNSt15iterator_traitsISY_E10value_typeET2_T3_PNSZ_IS14_E10value_typeET4_jRbjT5_S1A_jjP12ihipStream_tbEUljE_EEESV_SW_SX_S14_S18_S1A_T6_T7_T9_mT8_S1C_bDpT10_ENKUlT_T0_E_clISt17integral_constantIbLb0EES1O_IbLb1EEEEDaS1K_S1L_EUlS1K_E_NS1_11comp_targetILNS1_3genE5ELNS1_11target_archE942ELNS1_3gpuE9ELNS1_3repE0EEENS1_30default_config_static_selectorELNS0_4arch9wavefront6targetE0EEEvSY_.numbered_sgpr, 0
	.set _ZN7rocprim17ROCPRIM_400000_NS6detail17trampoline_kernelINS0_13select_configILj256ELj13ELNS0_17block_load_methodE3ELS4_3ELS4_3ELNS0_20block_scan_algorithmE0ELj4294967295EEENS1_25partition_config_selectorILNS1_17partition_subalgoE3EjNS0_10empty_typeEbEEZZNS1_14partition_implILS8_3ELb0ES6_jNS0_17counting_iteratorIjlEEPS9_SE_NS0_5tupleIJPjSE_EEENSF_IJSE_SE_EEES9_SG_JZNS1_25segmented_radix_sort_implINS0_14default_configELb0EPKiPiPKlPlN2at6native12_GLOBAL__N_18offset_tEEE10hipError_tPvRmT1_PNSt15iterator_traitsISY_E10value_typeET2_T3_PNSZ_IS14_E10value_typeET4_jRbjT5_S1A_jjP12ihipStream_tbEUljE_EEESV_SW_SX_S14_S18_S1A_T6_T7_T9_mT8_S1C_bDpT10_ENKUlT_T0_E_clISt17integral_constantIbLb0EES1O_IbLb1EEEEDaS1K_S1L_EUlS1K_E_NS1_11comp_targetILNS1_3genE5ELNS1_11target_archE942ELNS1_3gpuE9ELNS1_3repE0EEENS1_30default_config_static_selectorELNS0_4arch9wavefront6targetE0EEEvSY_.num_named_barrier, 0
	.set _ZN7rocprim17ROCPRIM_400000_NS6detail17trampoline_kernelINS0_13select_configILj256ELj13ELNS0_17block_load_methodE3ELS4_3ELS4_3ELNS0_20block_scan_algorithmE0ELj4294967295EEENS1_25partition_config_selectorILNS1_17partition_subalgoE3EjNS0_10empty_typeEbEEZZNS1_14partition_implILS8_3ELb0ES6_jNS0_17counting_iteratorIjlEEPS9_SE_NS0_5tupleIJPjSE_EEENSF_IJSE_SE_EEES9_SG_JZNS1_25segmented_radix_sort_implINS0_14default_configELb0EPKiPiPKlPlN2at6native12_GLOBAL__N_18offset_tEEE10hipError_tPvRmT1_PNSt15iterator_traitsISY_E10value_typeET2_T3_PNSZ_IS14_E10value_typeET4_jRbjT5_S1A_jjP12ihipStream_tbEUljE_EEESV_SW_SX_S14_S18_S1A_T6_T7_T9_mT8_S1C_bDpT10_ENKUlT_T0_E_clISt17integral_constantIbLb0EES1O_IbLb1EEEEDaS1K_S1L_EUlS1K_E_NS1_11comp_targetILNS1_3genE5ELNS1_11target_archE942ELNS1_3gpuE9ELNS1_3repE0EEENS1_30default_config_static_selectorELNS0_4arch9wavefront6targetE0EEEvSY_.private_seg_size, 0
	.set _ZN7rocprim17ROCPRIM_400000_NS6detail17trampoline_kernelINS0_13select_configILj256ELj13ELNS0_17block_load_methodE3ELS4_3ELS4_3ELNS0_20block_scan_algorithmE0ELj4294967295EEENS1_25partition_config_selectorILNS1_17partition_subalgoE3EjNS0_10empty_typeEbEEZZNS1_14partition_implILS8_3ELb0ES6_jNS0_17counting_iteratorIjlEEPS9_SE_NS0_5tupleIJPjSE_EEENSF_IJSE_SE_EEES9_SG_JZNS1_25segmented_radix_sort_implINS0_14default_configELb0EPKiPiPKlPlN2at6native12_GLOBAL__N_18offset_tEEE10hipError_tPvRmT1_PNSt15iterator_traitsISY_E10value_typeET2_T3_PNSZ_IS14_E10value_typeET4_jRbjT5_S1A_jjP12ihipStream_tbEUljE_EEESV_SW_SX_S14_S18_S1A_T6_T7_T9_mT8_S1C_bDpT10_ENKUlT_T0_E_clISt17integral_constantIbLb0EES1O_IbLb1EEEEDaS1K_S1L_EUlS1K_E_NS1_11comp_targetILNS1_3genE5ELNS1_11target_archE942ELNS1_3gpuE9ELNS1_3repE0EEENS1_30default_config_static_selectorELNS0_4arch9wavefront6targetE0EEEvSY_.uses_vcc, 0
	.set _ZN7rocprim17ROCPRIM_400000_NS6detail17trampoline_kernelINS0_13select_configILj256ELj13ELNS0_17block_load_methodE3ELS4_3ELS4_3ELNS0_20block_scan_algorithmE0ELj4294967295EEENS1_25partition_config_selectorILNS1_17partition_subalgoE3EjNS0_10empty_typeEbEEZZNS1_14partition_implILS8_3ELb0ES6_jNS0_17counting_iteratorIjlEEPS9_SE_NS0_5tupleIJPjSE_EEENSF_IJSE_SE_EEES9_SG_JZNS1_25segmented_radix_sort_implINS0_14default_configELb0EPKiPiPKlPlN2at6native12_GLOBAL__N_18offset_tEEE10hipError_tPvRmT1_PNSt15iterator_traitsISY_E10value_typeET2_T3_PNSZ_IS14_E10value_typeET4_jRbjT5_S1A_jjP12ihipStream_tbEUljE_EEESV_SW_SX_S14_S18_S1A_T6_T7_T9_mT8_S1C_bDpT10_ENKUlT_T0_E_clISt17integral_constantIbLb0EES1O_IbLb1EEEEDaS1K_S1L_EUlS1K_E_NS1_11comp_targetILNS1_3genE5ELNS1_11target_archE942ELNS1_3gpuE9ELNS1_3repE0EEENS1_30default_config_static_selectorELNS0_4arch9wavefront6targetE0EEEvSY_.uses_flat_scratch, 0
	.set _ZN7rocprim17ROCPRIM_400000_NS6detail17trampoline_kernelINS0_13select_configILj256ELj13ELNS0_17block_load_methodE3ELS4_3ELS4_3ELNS0_20block_scan_algorithmE0ELj4294967295EEENS1_25partition_config_selectorILNS1_17partition_subalgoE3EjNS0_10empty_typeEbEEZZNS1_14partition_implILS8_3ELb0ES6_jNS0_17counting_iteratorIjlEEPS9_SE_NS0_5tupleIJPjSE_EEENSF_IJSE_SE_EEES9_SG_JZNS1_25segmented_radix_sort_implINS0_14default_configELb0EPKiPiPKlPlN2at6native12_GLOBAL__N_18offset_tEEE10hipError_tPvRmT1_PNSt15iterator_traitsISY_E10value_typeET2_T3_PNSZ_IS14_E10value_typeET4_jRbjT5_S1A_jjP12ihipStream_tbEUljE_EEESV_SW_SX_S14_S18_S1A_T6_T7_T9_mT8_S1C_bDpT10_ENKUlT_T0_E_clISt17integral_constantIbLb0EES1O_IbLb1EEEEDaS1K_S1L_EUlS1K_E_NS1_11comp_targetILNS1_3genE5ELNS1_11target_archE942ELNS1_3gpuE9ELNS1_3repE0EEENS1_30default_config_static_selectorELNS0_4arch9wavefront6targetE0EEEvSY_.has_dyn_sized_stack, 0
	.set _ZN7rocprim17ROCPRIM_400000_NS6detail17trampoline_kernelINS0_13select_configILj256ELj13ELNS0_17block_load_methodE3ELS4_3ELS4_3ELNS0_20block_scan_algorithmE0ELj4294967295EEENS1_25partition_config_selectorILNS1_17partition_subalgoE3EjNS0_10empty_typeEbEEZZNS1_14partition_implILS8_3ELb0ES6_jNS0_17counting_iteratorIjlEEPS9_SE_NS0_5tupleIJPjSE_EEENSF_IJSE_SE_EEES9_SG_JZNS1_25segmented_radix_sort_implINS0_14default_configELb0EPKiPiPKlPlN2at6native12_GLOBAL__N_18offset_tEEE10hipError_tPvRmT1_PNSt15iterator_traitsISY_E10value_typeET2_T3_PNSZ_IS14_E10value_typeET4_jRbjT5_S1A_jjP12ihipStream_tbEUljE_EEESV_SW_SX_S14_S18_S1A_T6_T7_T9_mT8_S1C_bDpT10_ENKUlT_T0_E_clISt17integral_constantIbLb0EES1O_IbLb1EEEEDaS1K_S1L_EUlS1K_E_NS1_11comp_targetILNS1_3genE5ELNS1_11target_archE942ELNS1_3gpuE9ELNS1_3repE0EEENS1_30default_config_static_selectorELNS0_4arch9wavefront6targetE0EEEvSY_.has_recursion, 0
	.set _ZN7rocprim17ROCPRIM_400000_NS6detail17trampoline_kernelINS0_13select_configILj256ELj13ELNS0_17block_load_methodE3ELS4_3ELS4_3ELNS0_20block_scan_algorithmE0ELj4294967295EEENS1_25partition_config_selectorILNS1_17partition_subalgoE3EjNS0_10empty_typeEbEEZZNS1_14partition_implILS8_3ELb0ES6_jNS0_17counting_iteratorIjlEEPS9_SE_NS0_5tupleIJPjSE_EEENSF_IJSE_SE_EEES9_SG_JZNS1_25segmented_radix_sort_implINS0_14default_configELb0EPKiPiPKlPlN2at6native12_GLOBAL__N_18offset_tEEE10hipError_tPvRmT1_PNSt15iterator_traitsISY_E10value_typeET2_T3_PNSZ_IS14_E10value_typeET4_jRbjT5_S1A_jjP12ihipStream_tbEUljE_EEESV_SW_SX_S14_S18_S1A_T6_T7_T9_mT8_S1C_bDpT10_ENKUlT_T0_E_clISt17integral_constantIbLb0EES1O_IbLb1EEEEDaS1K_S1L_EUlS1K_E_NS1_11comp_targetILNS1_3genE5ELNS1_11target_archE942ELNS1_3gpuE9ELNS1_3repE0EEENS1_30default_config_static_selectorELNS0_4arch9wavefront6targetE0EEEvSY_.has_indirect_call, 0
	.section	.AMDGPU.csdata,"",@progbits
; Kernel info:
; codeLenInByte = 0
; TotalNumSgprs: 0
; NumVgprs: 0
; ScratchSize: 0
; MemoryBound: 0
; FloatMode: 240
; IeeeMode: 1
; LDSByteSize: 0 bytes/workgroup (compile time only)
; SGPRBlocks: 0
; VGPRBlocks: 0
; NumSGPRsForWavesPerEU: 1
; NumVGPRsForWavesPerEU: 1
; Occupancy: 16
; WaveLimiterHint : 0
; COMPUTE_PGM_RSRC2:SCRATCH_EN: 0
; COMPUTE_PGM_RSRC2:USER_SGPR: 6
; COMPUTE_PGM_RSRC2:TRAP_HANDLER: 0
; COMPUTE_PGM_RSRC2:TGID_X_EN: 1
; COMPUTE_PGM_RSRC2:TGID_Y_EN: 0
; COMPUTE_PGM_RSRC2:TGID_Z_EN: 0
; COMPUTE_PGM_RSRC2:TIDIG_COMP_CNT: 0
	.section	.text._ZN7rocprim17ROCPRIM_400000_NS6detail17trampoline_kernelINS0_13select_configILj256ELj13ELNS0_17block_load_methodE3ELS4_3ELS4_3ELNS0_20block_scan_algorithmE0ELj4294967295EEENS1_25partition_config_selectorILNS1_17partition_subalgoE3EjNS0_10empty_typeEbEEZZNS1_14partition_implILS8_3ELb0ES6_jNS0_17counting_iteratorIjlEEPS9_SE_NS0_5tupleIJPjSE_EEENSF_IJSE_SE_EEES9_SG_JZNS1_25segmented_radix_sort_implINS0_14default_configELb0EPKiPiPKlPlN2at6native12_GLOBAL__N_18offset_tEEE10hipError_tPvRmT1_PNSt15iterator_traitsISY_E10value_typeET2_T3_PNSZ_IS14_E10value_typeET4_jRbjT5_S1A_jjP12ihipStream_tbEUljE_EEESV_SW_SX_S14_S18_S1A_T6_T7_T9_mT8_S1C_bDpT10_ENKUlT_T0_E_clISt17integral_constantIbLb0EES1O_IbLb1EEEEDaS1K_S1L_EUlS1K_E_NS1_11comp_targetILNS1_3genE4ELNS1_11target_archE910ELNS1_3gpuE8ELNS1_3repE0EEENS1_30default_config_static_selectorELNS0_4arch9wavefront6targetE0EEEvSY_,"axG",@progbits,_ZN7rocprim17ROCPRIM_400000_NS6detail17trampoline_kernelINS0_13select_configILj256ELj13ELNS0_17block_load_methodE3ELS4_3ELS4_3ELNS0_20block_scan_algorithmE0ELj4294967295EEENS1_25partition_config_selectorILNS1_17partition_subalgoE3EjNS0_10empty_typeEbEEZZNS1_14partition_implILS8_3ELb0ES6_jNS0_17counting_iteratorIjlEEPS9_SE_NS0_5tupleIJPjSE_EEENSF_IJSE_SE_EEES9_SG_JZNS1_25segmented_radix_sort_implINS0_14default_configELb0EPKiPiPKlPlN2at6native12_GLOBAL__N_18offset_tEEE10hipError_tPvRmT1_PNSt15iterator_traitsISY_E10value_typeET2_T3_PNSZ_IS14_E10value_typeET4_jRbjT5_S1A_jjP12ihipStream_tbEUljE_EEESV_SW_SX_S14_S18_S1A_T6_T7_T9_mT8_S1C_bDpT10_ENKUlT_T0_E_clISt17integral_constantIbLb0EES1O_IbLb1EEEEDaS1K_S1L_EUlS1K_E_NS1_11comp_targetILNS1_3genE4ELNS1_11target_archE910ELNS1_3gpuE8ELNS1_3repE0EEENS1_30default_config_static_selectorELNS0_4arch9wavefront6targetE0EEEvSY_,comdat
	.globl	_ZN7rocprim17ROCPRIM_400000_NS6detail17trampoline_kernelINS0_13select_configILj256ELj13ELNS0_17block_load_methodE3ELS4_3ELS4_3ELNS0_20block_scan_algorithmE0ELj4294967295EEENS1_25partition_config_selectorILNS1_17partition_subalgoE3EjNS0_10empty_typeEbEEZZNS1_14partition_implILS8_3ELb0ES6_jNS0_17counting_iteratorIjlEEPS9_SE_NS0_5tupleIJPjSE_EEENSF_IJSE_SE_EEES9_SG_JZNS1_25segmented_radix_sort_implINS0_14default_configELb0EPKiPiPKlPlN2at6native12_GLOBAL__N_18offset_tEEE10hipError_tPvRmT1_PNSt15iterator_traitsISY_E10value_typeET2_T3_PNSZ_IS14_E10value_typeET4_jRbjT5_S1A_jjP12ihipStream_tbEUljE_EEESV_SW_SX_S14_S18_S1A_T6_T7_T9_mT8_S1C_bDpT10_ENKUlT_T0_E_clISt17integral_constantIbLb0EES1O_IbLb1EEEEDaS1K_S1L_EUlS1K_E_NS1_11comp_targetILNS1_3genE4ELNS1_11target_archE910ELNS1_3gpuE8ELNS1_3repE0EEENS1_30default_config_static_selectorELNS0_4arch9wavefront6targetE0EEEvSY_ ; -- Begin function _ZN7rocprim17ROCPRIM_400000_NS6detail17trampoline_kernelINS0_13select_configILj256ELj13ELNS0_17block_load_methodE3ELS4_3ELS4_3ELNS0_20block_scan_algorithmE0ELj4294967295EEENS1_25partition_config_selectorILNS1_17partition_subalgoE3EjNS0_10empty_typeEbEEZZNS1_14partition_implILS8_3ELb0ES6_jNS0_17counting_iteratorIjlEEPS9_SE_NS0_5tupleIJPjSE_EEENSF_IJSE_SE_EEES9_SG_JZNS1_25segmented_radix_sort_implINS0_14default_configELb0EPKiPiPKlPlN2at6native12_GLOBAL__N_18offset_tEEE10hipError_tPvRmT1_PNSt15iterator_traitsISY_E10value_typeET2_T3_PNSZ_IS14_E10value_typeET4_jRbjT5_S1A_jjP12ihipStream_tbEUljE_EEESV_SW_SX_S14_S18_S1A_T6_T7_T9_mT8_S1C_bDpT10_ENKUlT_T0_E_clISt17integral_constantIbLb0EES1O_IbLb1EEEEDaS1K_S1L_EUlS1K_E_NS1_11comp_targetILNS1_3genE4ELNS1_11target_archE910ELNS1_3gpuE8ELNS1_3repE0EEENS1_30default_config_static_selectorELNS0_4arch9wavefront6targetE0EEEvSY_
	.p2align	8
	.type	_ZN7rocprim17ROCPRIM_400000_NS6detail17trampoline_kernelINS0_13select_configILj256ELj13ELNS0_17block_load_methodE3ELS4_3ELS4_3ELNS0_20block_scan_algorithmE0ELj4294967295EEENS1_25partition_config_selectorILNS1_17partition_subalgoE3EjNS0_10empty_typeEbEEZZNS1_14partition_implILS8_3ELb0ES6_jNS0_17counting_iteratorIjlEEPS9_SE_NS0_5tupleIJPjSE_EEENSF_IJSE_SE_EEES9_SG_JZNS1_25segmented_radix_sort_implINS0_14default_configELb0EPKiPiPKlPlN2at6native12_GLOBAL__N_18offset_tEEE10hipError_tPvRmT1_PNSt15iterator_traitsISY_E10value_typeET2_T3_PNSZ_IS14_E10value_typeET4_jRbjT5_S1A_jjP12ihipStream_tbEUljE_EEESV_SW_SX_S14_S18_S1A_T6_T7_T9_mT8_S1C_bDpT10_ENKUlT_T0_E_clISt17integral_constantIbLb0EES1O_IbLb1EEEEDaS1K_S1L_EUlS1K_E_NS1_11comp_targetILNS1_3genE4ELNS1_11target_archE910ELNS1_3gpuE8ELNS1_3repE0EEENS1_30default_config_static_selectorELNS0_4arch9wavefront6targetE0EEEvSY_,@function
_ZN7rocprim17ROCPRIM_400000_NS6detail17trampoline_kernelINS0_13select_configILj256ELj13ELNS0_17block_load_methodE3ELS4_3ELS4_3ELNS0_20block_scan_algorithmE0ELj4294967295EEENS1_25partition_config_selectorILNS1_17partition_subalgoE3EjNS0_10empty_typeEbEEZZNS1_14partition_implILS8_3ELb0ES6_jNS0_17counting_iteratorIjlEEPS9_SE_NS0_5tupleIJPjSE_EEENSF_IJSE_SE_EEES9_SG_JZNS1_25segmented_radix_sort_implINS0_14default_configELb0EPKiPiPKlPlN2at6native12_GLOBAL__N_18offset_tEEE10hipError_tPvRmT1_PNSt15iterator_traitsISY_E10value_typeET2_T3_PNSZ_IS14_E10value_typeET4_jRbjT5_S1A_jjP12ihipStream_tbEUljE_EEESV_SW_SX_S14_S18_S1A_T6_T7_T9_mT8_S1C_bDpT10_ENKUlT_T0_E_clISt17integral_constantIbLb0EES1O_IbLb1EEEEDaS1K_S1L_EUlS1K_E_NS1_11comp_targetILNS1_3genE4ELNS1_11target_archE910ELNS1_3gpuE8ELNS1_3repE0EEENS1_30default_config_static_selectorELNS0_4arch9wavefront6targetE0EEEvSY_: ; @_ZN7rocprim17ROCPRIM_400000_NS6detail17trampoline_kernelINS0_13select_configILj256ELj13ELNS0_17block_load_methodE3ELS4_3ELS4_3ELNS0_20block_scan_algorithmE0ELj4294967295EEENS1_25partition_config_selectorILNS1_17partition_subalgoE3EjNS0_10empty_typeEbEEZZNS1_14partition_implILS8_3ELb0ES6_jNS0_17counting_iteratorIjlEEPS9_SE_NS0_5tupleIJPjSE_EEENSF_IJSE_SE_EEES9_SG_JZNS1_25segmented_radix_sort_implINS0_14default_configELb0EPKiPiPKlPlN2at6native12_GLOBAL__N_18offset_tEEE10hipError_tPvRmT1_PNSt15iterator_traitsISY_E10value_typeET2_T3_PNSZ_IS14_E10value_typeET4_jRbjT5_S1A_jjP12ihipStream_tbEUljE_EEESV_SW_SX_S14_S18_S1A_T6_T7_T9_mT8_S1C_bDpT10_ENKUlT_T0_E_clISt17integral_constantIbLb0EES1O_IbLb1EEEEDaS1K_S1L_EUlS1K_E_NS1_11comp_targetILNS1_3genE4ELNS1_11target_archE910ELNS1_3gpuE8ELNS1_3repE0EEENS1_30default_config_static_selectorELNS0_4arch9wavefront6targetE0EEEvSY_
; %bb.0:
	.section	.rodata,"a",@progbits
	.p2align	6, 0x0
	.amdhsa_kernel _ZN7rocprim17ROCPRIM_400000_NS6detail17trampoline_kernelINS0_13select_configILj256ELj13ELNS0_17block_load_methodE3ELS4_3ELS4_3ELNS0_20block_scan_algorithmE0ELj4294967295EEENS1_25partition_config_selectorILNS1_17partition_subalgoE3EjNS0_10empty_typeEbEEZZNS1_14partition_implILS8_3ELb0ES6_jNS0_17counting_iteratorIjlEEPS9_SE_NS0_5tupleIJPjSE_EEENSF_IJSE_SE_EEES9_SG_JZNS1_25segmented_radix_sort_implINS0_14default_configELb0EPKiPiPKlPlN2at6native12_GLOBAL__N_18offset_tEEE10hipError_tPvRmT1_PNSt15iterator_traitsISY_E10value_typeET2_T3_PNSZ_IS14_E10value_typeET4_jRbjT5_S1A_jjP12ihipStream_tbEUljE_EEESV_SW_SX_S14_S18_S1A_T6_T7_T9_mT8_S1C_bDpT10_ENKUlT_T0_E_clISt17integral_constantIbLb0EES1O_IbLb1EEEEDaS1K_S1L_EUlS1K_E_NS1_11comp_targetILNS1_3genE4ELNS1_11target_archE910ELNS1_3gpuE8ELNS1_3repE0EEENS1_30default_config_static_selectorELNS0_4arch9wavefront6targetE0EEEvSY_
		.amdhsa_group_segment_fixed_size 0
		.amdhsa_private_segment_fixed_size 0
		.amdhsa_kernarg_size 152
		.amdhsa_user_sgpr_count 6
		.amdhsa_user_sgpr_private_segment_buffer 1
		.amdhsa_user_sgpr_dispatch_ptr 0
		.amdhsa_user_sgpr_queue_ptr 0
		.amdhsa_user_sgpr_kernarg_segment_ptr 1
		.amdhsa_user_sgpr_dispatch_id 0
		.amdhsa_user_sgpr_flat_scratch_init 0
		.amdhsa_user_sgpr_private_segment_size 0
		.amdhsa_wavefront_size32 1
		.amdhsa_uses_dynamic_stack 0
		.amdhsa_system_sgpr_private_segment_wavefront_offset 0
		.amdhsa_system_sgpr_workgroup_id_x 1
		.amdhsa_system_sgpr_workgroup_id_y 0
		.amdhsa_system_sgpr_workgroup_id_z 0
		.amdhsa_system_sgpr_workgroup_info 0
		.amdhsa_system_vgpr_workitem_id 0
		.amdhsa_next_free_vgpr 1
		.amdhsa_next_free_sgpr 1
		.amdhsa_reserve_vcc 0
		.amdhsa_reserve_flat_scratch 0
		.amdhsa_float_round_mode_32 0
		.amdhsa_float_round_mode_16_64 0
		.amdhsa_float_denorm_mode_32 3
		.amdhsa_float_denorm_mode_16_64 3
		.amdhsa_dx10_clamp 1
		.amdhsa_ieee_mode 1
		.amdhsa_fp16_overflow 0
		.amdhsa_workgroup_processor_mode 1
		.amdhsa_memory_ordered 1
		.amdhsa_forward_progress 1
		.amdhsa_shared_vgpr_count 0
		.amdhsa_exception_fp_ieee_invalid_op 0
		.amdhsa_exception_fp_denorm_src 0
		.amdhsa_exception_fp_ieee_div_zero 0
		.amdhsa_exception_fp_ieee_overflow 0
		.amdhsa_exception_fp_ieee_underflow 0
		.amdhsa_exception_fp_ieee_inexact 0
		.amdhsa_exception_int_div_zero 0
	.end_amdhsa_kernel
	.section	.text._ZN7rocprim17ROCPRIM_400000_NS6detail17trampoline_kernelINS0_13select_configILj256ELj13ELNS0_17block_load_methodE3ELS4_3ELS4_3ELNS0_20block_scan_algorithmE0ELj4294967295EEENS1_25partition_config_selectorILNS1_17partition_subalgoE3EjNS0_10empty_typeEbEEZZNS1_14partition_implILS8_3ELb0ES6_jNS0_17counting_iteratorIjlEEPS9_SE_NS0_5tupleIJPjSE_EEENSF_IJSE_SE_EEES9_SG_JZNS1_25segmented_radix_sort_implINS0_14default_configELb0EPKiPiPKlPlN2at6native12_GLOBAL__N_18offset_tEEE10hipError_tPvRmT1_PNSt15iterator_traitsISY_E10value_typeET2_T3_PNSZ_IS14_E10value_typeET4_jRbjT5_S1A_jjP12ihipStream_tbEUljE_EEESV_SW_SX_S14_S18_S1A_T6_T7_T9_mT8_S1C_bDpT10_ENKUlT_T0_E_clISt17integral_constantIbLb0EES1O_IbLb1EEEEDaS1K_S1L_EUlS1K_E_NS1_11comp_targetILNS1_3genE4ELNS1_11target_archE910ELNS1_3gpuE8ELNS1_3repE0EEENS1_30default_config_static_selectorELNS0_4arch9wavefront6targetE0EEEvSY_,"axG",@progbits,_ZN7rocprim17ROCPRIM_400000_NS6detail17trampoline_kernelINS0_13select_configILj256ELj13ELNS0_17block_load_methodE3ELS4_3ELS4_3ELNS0_20block_scan_algorithmE0ELj4294967295EEENS1_25partition_config_selectorILNS1_17partition_subalgoE3EjNS0_10empty_typeEbEEZZNS1_14partition_implILS8_3ELb0ES6_jNS0_17counting_iteratorIjlEEPS9_SE_NS0_5tupleIJPjSE_EEENSF_IJSE_SE_EEES9_SG_JZNS1_25segmented_radix_sort_implINS0_14default_configELb0EPKiPiPKlPlN2at6native12_GLOBAL__N_18offset_tEEE10hipError_tPvRmT1_PNSt15iterator_traitsISY_E10value_typeET2_T3_PNSZ_IS14_E10value_typeET4_jRbjT5_S1A_jjP12ihipStream_tbEUljE_EEESV_SW_SX_S14_S18_S1A_T6_T7_T9_mT8_S1C_bDpT10_ENKUlT_T0_E_clISt17integral_constantIbLb0EES1O_IbLb1EEEEDaS1K_S1L_EUlS1K_E_NS1_11comp_targetILNS1_3genE4ELNS1_11target_archE910ELNS1_3gpuE8ELNS1_3repE0EEENS1_30default_config_static_selectorELNS0_4arch9wavefront6targetE0EEEvSY_,comdat
.Lfunc_end589:
	.size	_ZN7rocprim17ROCPRIM_400000_NS6detail17trampoline_kernelINS0_13select_configILj256ELj13ELNS0_17block_load_methodE3ELS4_3ELS4_3ELNS0_20block_scan_algorithmE0ELj4294967295EEENS1_25partition_config_selectorILNS1_17partition_subalgoE3EjNS0_10empty_typeEbEEZZNS1_14partition_implILS8_3ELb0ES6_jNS0_17counting_iteratorIjlEEPS9_SE_NS0_5tupleIJPjSE_EEENSF_IJSE_SE_EEES9_SG_JZNS1_25segmented_radix_sort_implINS0_14default_configELb0EPKiPiPKlPlN2at6native12_GLOBAL__N_18offset_tEEE10hipError_tPvRmT1_PNSt15iterator_traitsISY_E10value_typeET2_T3_PNSZ_IS14_E10value_typeET4_jRbjT5_S1A_jjP12ihipStream_tbEUljE_EEESV_SW_SX_S14_S18_S1A_T6_T7_T9_mT8_S1C_bDpT10_ENKUlT_T0_E_clISt17integral_constantIbLb0EES1O_IbLb1EEEEDaS1K_S1L_EUlS1K_E_NS1_11comp_targetILNS1_3genE4ELNS1_11target_archE910ELNS1_3gpuE8ELNS1_3repE0EEENS1_30default_config_static_selectorELNS0_4arch9wavefront6targetE0EEEvSY_, .Lfunc_end589-_ZN7rocprim17ROCPRIM_400000_NS6detail17trampoline_kernelINS0_13select_configILj256ELj13ELNS0_17block_load_methodE3ELS4_3ELS4_3ELNS0_20block_scan_algorithmE0ELj4294967295EEENS1_25partition_config_selectorILNS1_17partition_subalgoE3EjNS0_10empty_typeEbEEZZNS1_14partition_implILS8_3ELb0ES6_jNS0_17counting_iteratorIjlEEPS9_SE_NS0_5tupleIJPjSE_EEENSF_IJSE_SE_EEES9_SG_JZNS1_25segmented_radix_sort_implINS0_14default_configELb0EPKiPiPKlPlN2at6native12_GLOBAL__N_18offset_tEEE10hipError_tPvRmT1_PNSt15iterator_traitsISY_E10value_typeET2_T3_PNSZ_IS14_E10value_typeET4_jRbjT5_S1A_jjP12ihipStream_tbEUljE_EEESV_SW_SX_S14_S18_S1A_T6_T7_T9_mT8_S1C_bDpT10_ENKUlT_T0_E_clISt17integral_constantIbLb0EES1O_IbLb1EEEEDaS1K_S1L_EUlS1K_E_NS1_11comp_targetILNS1_3genE4ELNS1_11target_archE910ELNS1_3gpuE8ELNS1_3repE0EEENS1_30default_config_static_selectorELNS0_4arch9wavefront6targetE0EEEvSY_
                                        ; -- End function
	.set _ZN7rocprim17ROCPRIM_400000_NS6detail17trampoline_kernelINS0_13select_configILj256ELj13ELNS0_17block_load_methodE3ELS4_3ELS4_3ELNS0_20block_scan_algorithmE0ELj4294967295EEENS1_25partition_config_selectorILNS1_17partition_subalgoE3EjNS0_10empty_typeEbEEZZNS1_14partition_implILS8_3ELb0ES6_jNS0_17counting_iteratorIjlEEPS9_SE_NS0_5tupleIJPjSE_EEENSF_IJSE_SE_EEES9_SG_JZNS1_25segmented_radix_sort_implINS0_14default_configELb0EPKiPiPKlPlN2at6native12_GLOBAL__N_18offset_tEEE10hipError_tPvRmT1_PNSt15iterator_traitsISY_E10value_typeET2_T3_PNSZ_IS14_E10value_typeET4_jRbjT5_S1A_jjP12ihipStream_tbEUljE_EEESV_SW_SX_S14_S18_S1A_T6_T7_T9_mT8_S1C_bDpT10_ENKUlT_T0_E_clISt17integral_constantIbLb0EES1O_IbLb1EEEEDaS1K_S1L_EUlS1K_E_NS1_11comp_targetILNS1_3genE4ELNS1_11target_archE910ELNS1_3gpuE8ELNS1_3repE0EEENS1_30default_config_static_selectorELNS0_4arch9wavefront6targetE0EEEvSY_.num_vgpr, 0
	.set _ZN7rocprim17ROCPRIM_400000_NS6detail17trampoline_kernelINS0_13select_configILj256ELj13ELNS0_17block_load_methodE3ELS4_3ELS4_3ELNS0_20block_scan_algorithmE0ELj4294967295EEENS1_25partition_config_selectorILNS1_17partition_subalgoE3EjNS0_10empty_typeEbEEZZNS1_14partition_implILS8_3ELb0ES6_jNS0_17counting_iteratorIjlEEPS9_SE_NS0_5tupleIJPjSE_EEENSF_IJSE_SE_EEES9_SG_JZNS1_25segmented_radix_sort_implINS0_14default_configELb0EPKiPiPKlPlN2at6native12_GLOBAL__N_18offset_tEEE10hipError_tPvRmT1_PNSt15iterator_traitsISY_E10value_typeET2_T3_PNSZ_IS14_E10value_typeET4_jRbjT5_S1A_jjP12ihipStream_tbEUljE_EEESV_SW_SX_S14_S18_S1A_T6_T7_T9_mT8_S1C_bDpT10_ENKUlT_T0_E_clISt17integral_constantIbLb0EES1O_IbLb1EEEEDaS1K_S1L_EUlS1K_E_NS1_11comp_targetILNS1_3genE4ELNS1_11target_archE910ELNS1_3gpuE8ELNS1_3repE0EEENS1_30default_config_static_selectorELNS0_4arch9wavefront6targetE0EEEvSY_.num_agpr, 0
	.set _ZN7rocprim17ROCPRIM_400000_NS6detail17trampoline_kernelINS0_13select_configILj256ELj13ELNS0_17block_load_methodE3ELS4_3ELS4_3ELNS0_20block_scan_algorithmE0ELj4294967295EEENS1_25partition_config_selectorILNS1_17partition_subalgoE3EjNS0_10empty_typeEbEEZZNS1_14partition_implILS8_3ELb0ES6_jNS0_17counting_iteratorIjlEEPS9_SE_NS0_5tupleIJPjSE_EEENSF_IJSE_SE_EEES9_SG_JZNS1_25segmented_radix_sort_implINS0_14default_configELb0EPKiPiPKlPlN2at6native12_GLOBAL__N_18offset_tEEE10hipError_tPvRmT1_PNSt15iterator_traitsISY_E10value_typeET2_T3_PNSZ_IS14_E10value_typeET4_jRbjT5_S1A_jjP12ihipStream_tbEUljE_EEESV_SW_SX_S14_S18_S1A_T6_T7_T9_mT8_S1C_bDpT10_ENKUlT_T0_E_clISt17integral_constantIbLb0EES1O_IbLb1EEEEDaS1K_S1L_EUlS1K_E_NS1_11comp_targetILNS1_3genE4ELNS1_11target_archE910ELNS1_3gpuE8ELNS1_3repE0EEENS1_30default_config_static_selectorELNS0_4arch9wavefront6targetE0EEEvSY_.numbered_sgpr, 0
	.set _ZN7rocprim17ROCPRIM_400000_NS6detail17trampoline_kernelINS0_13select_configILj256ELj13ELNS0_17block_load_methodE3ELS4_3ELS4_3ELNS0_20block_scan_algorithmE0ELj4294967295EEENS1_25partition_config_selectorILNS1_17partition_subalgoE3EjNS0_10empty_typeEbEEZZNS1_14partition_implILS8_3ELb0ES6_jNS0_17counting_iteratorIjlEEPS9_SE_NS0_5tupleIJPjSE_EEENSF_IJSE_SE_EEES9_SG_JZNS1_25segmented_radix_sort_implINS0_14default_configELb0EPKiPiPKlPlN2at6native12_GLOBAL__N_18offset_tEEE10hipError_tPvRmT1_PNSt15iterator_traitsISY_E10value_typeET2_T3_PNSZ_IS14_E10value_typeET4_jRbjT5_S1A_jjP12ihipStream_tbEUljE_EEESV_SW_SX_S14_S18_S1A_T6_T7_T9_mT8_S1C_bDpT10_ENKUlT_T0_E_clISt17integral_constantIbLb0EES1O_IbLb1EEEEDaS1K_S1L_EUlS1K_E_NS1_11comp_targetILNS1_3genE4ELNS1_11target_archE910ELNS1_3gpuE8ELNS1_3repE0EEENS1_30default_config_static_selectorELNS0_4arch9wavefront6targetE0EEEvSY_.num_named_barrier, 0
	.set _ZN7rocprim17ROCPRIM_400000_NS6detail17trampoline_kernelINS0_13select_configILj256ELj13ELNS0_17block_load_methodE3ELS4_3ELS4_3ELNS0_20block_scan_algorithmE0ELj4294967295EEENS1_25partition_config_selectorILNS1_17partition_subalgoE3EjNS0_10empty_typeEbEEZZNS1_14partition_implILS8_3ELb0ES6_jNS0_17counting_iteratorIjlEEPS9_SE_NS0_5tupleIJPjSE_EEENSF_IJSE_SE_EEES9_SG_JZNS1_25segmented_radix_sort_implINS0_14default_configELb0EPKiPiPKlPlN2at6native12_GLOBAL__N_18offset_tEEE10hipError_tPvRmT1_PNSt15iterator_traitsISY_E10value_typeET2_T3_PNSZ_IS14_E10value_typeET4_jRbjT5_S1A_jjP12ihipStream_tbEUljE_EEESV_SW_SX_S14_S18_S1A_T6_T7_T9_mT8_S1C_bDpT10_ENKUlT_T0_E_clISt17integral_constantIbLb0EES1O_IbLb1EEEEDaS1K_S1L_EUlS1K_E_NS1_11comp_targetILNS1_3genE4ELNS1_11target_archE910ELNS1_3gpuE8ELNS1_3repE0EEENS1_30default_config_static_selectorELNS0_4arch9wavefront6targetE0EEEvSY_.private_seg_size, 0
	.set _ZN7rocprim17ROCPRIM_400000_NS6detail17trampoline_kernelINS0_13select_configILj256ELj13ELNS0_17block_load_methodE3ELS4_3ELS4_3ELNS0_20block_scan_algorithmE0ELj4294967295EEENS1_25partition_config_selectorILNS1_17partition_subalgoE3EjNS0_10empty_typeEbEEZZNS1_14partition_implILS8_3ELb0ES6_jNS0_17counting_iteratorIjlEEPS9_SE_NS0_5tupleIJPjSE_EEENSF_IJSE_SE_EEES9_SG_JZNS1_25segmented_radix_sort_implINS0_14default_configELb0EPKiPiPKlPlN2at6native12_GLOBAL__N_18offset_tEEE10hipError_tPvRmT1_PNSt15iterator_traitsISY_E10value_typeET2_T3_PNSZ_IS14_E10value_typeET4_jRbjT5_S1A_jjP12ihipStream_tbEUljE_EEESV_SW_SX_S14_S18_S1A_T6_T7_T9_mT8_S1C_bDpT10_ENKUlT_T0_E_clISt17integral_constantIbLb0EES1O_IbLb1EEEEDaS1K_S1L_EUlS1K_E_NS1_11comp_targetILNS1_3genE4ELNS1_11target_archE910ELNS1_3gpuE8ELNS1_3repE0EEENS1_30default_config_static_selectorELNS0_4arch9wavefront6targetE0EEEvSY_.uses_vcc, 0
	.set _ZN7rocprim17ROCPRIM_400000_NS6detail17trampoline_kernelINS0_13select_configILj256ELj13ELNS0_17block_load_methodE3ELS4_3ELS4_3ELNS0_20block_scan_algorithmE0ELj4294967295EEENS1_25partition_config_selectorILNS1_17partition_subalgoE3EjNS0_10empty_typeEbEEZZNS1_14partition_implILS8_3ELb0ES6_jNS0_17counting_iteratorIjlEEPS9_SE_NS0_5tupleIJPjSE_EEENSF_IJSE_SE_EEES9_SG_JZNS1_25segmented_radix_sort_implINS0_14default_configELb0EPKiPiPKlPlN2at6native12_GLOBAL__N_18offset_tEEE10hipError_tPvRmT1_PNSt15iterator_traitsISY_E10value_typeET2_T3_PNSZ_IS14_E10value_typeET4_jRbjT5_S1A_jjP12ihipStream_tbEUljE_EEESV_SW_SX_S14_S18_S1A_T6_T7_T9_mT8_S1C_bDpT10_ENKUlT_T0_E_clISt17integral_constantIbLb0EES1O_IbLb1EEEEDaS1K_S1L_EUlS1K_E_NS1_11comp_targetILNS1_3genE4ELNS1_11target_archE910ELNS1_3gpuE8ELNS1_3repE0EEENS1_30default_config_static_selectorELNS0_4arch9wavefront6targetE0EEEvSY_.uses_flat_scratch, 0
	.set _ZN7rocprim17ROCPRIM_400000_NS6detail17trampoline_kernelINS0_13select_configILj256ELj13ELNS0_17block_load_methodE3ELS4_3ELS4_3ELNS0_20block_scan_algorithmE0ELj4294967295EEENS1_25partition_config_selectorILNS1_17partition_subalgoE3EjNS0_10empty_typeEbEEZZNS1_14partition_implILS8_3ELb0ES6_jNS0_17counting_iteratorIjlEEPS9_SE_NS0_5tupleIJPjSE_EEENSF_IJSE_SE_EEES9_SG_JZNS1_25segmented_radix_sort_implINS0_14default_configELb0EPKiPiPKlPlN2at6native12_GLOBAL__N_18offset_tEEE10hipError_tPvRmT1_PNSt15iterator_traitsISY_E10value_typeET2_T3_PNSZ_IS14_E10value_typeET4_jRbjT5_S1A_jjP12ihipStream_tbEUljE_EEESV_SW_SX_S14_S18_S1A_T6_T7_T9_mT8_S1C_bDpT10_ENKUlT_T0_E_clISt17integral_constantIbLb0EES1O_IbLb1EEEEDaS1K_S1L_EUlS1K_E_NS1_11comp_targetILNS1_3genE4ELNS1_11target_archE910ELNS1_3gpuE8ELNS1_3repE0EEENS1_30default_config_static_selectorELNS0_4arch9wavefront6targetE0EEEvSY_.has_dyn_sized_stack, 0
	.set _ZN7rocprim17ROCPRIM_400000_NS6detail17trampoline_kernelINS0_13select_configILj256ELj13ELNS0_17block_load_methodE3ELS4_3ELS4_3ELNS0_20block_scan_algorithmE0ELj4294967295EEENS1_25partition_config_selectorILNS1_17partition_subalgoE3EjNS0_10empty_typeEbEEZZNS1_14partition_implILS8_3ELb0ES6_jNS0_17counting_iteratorIjlEEPS9_SE_NS0_5tupleIJPjSE_EEENSF_IJSE_SE_EEES9_SG_JZNS1_25segmented_radix_sort_implINS0_14default_configELb0EPKiPiPKlPlN2at6native12_GLOBAL__N_18offset_tEEE10hipError_tPvRmT1_PNSt15iterator_traitsISY_E10value_typeET2_T3_PNSZ_IS14_E10value_typeET4_jRbjT5_S1A_jjP12ihipStream_tbEUljE_EEESV_SW_SX_S14_S18_S1A_T6_T7_T9_mT8_S1C_bDpT10_ENKUlT_T0_E_clISt17integral_constantIbLb0EES1O_IbLb1EEEEDaS1K_S1L_EUlS1K_E_NS1_11comp_targetILNS1_3genE4ELNS1_11target_archE910ELNS1_3gpuE8ELNS1_3repE0EEENS1_30default_config_static_selectorELNS0_4arch9wavefront6targetE0EEEvSY_.has_recursion, 0
	.set _ZN7rocprim17ROCPRIM_400000_NS6detail17trampoline_kernelINS0_13select_configILj256ELj13ELNS0_17block_load_methodE3ELS4_3ELS4_3ELNS0_20block_scan_algorithmE0ELj4294967295EEENS1_25partition_config_selectorILNS1_17partition_subalgoE3EjNS0_10empty_typeEbEEZZNS1_14partition_implILS8_3ELb0ES6_jNS0_17counting_iteratorIjlEEPS9_SE_NS0_5tupleIJPjSE_EEENSF_IJSE_SE_EEES9_SG_JZNS1_25segmented_radix_sort_implINS0_14default_configELb0EPKiPiPKlPlN2at6native12_GLOBAL__N_18offset_tEEE10hipError_tPvRmT1_PNSt15iterator_traitsISY_E10value_typeET2_T3_PNSZ_IS14_E10value_typeET4_jRbjT5_S1A_jjP12ihipStream_tbEUljE_EEESV_SW_SX_S14_S18_S1A_T6_T7_T9_mT8_S1C_bDpT10_ENKUlT_T0_E_clISt17integral_constantIbLb0EES1O_IbLb1EEEEDaS1K_S1L_EUlS1K_E_NS1_11comp_targetILNS1_3genE4ELNS1_11target_archE910ELNS1_3gpuE8ELNS1_3repE0EEENS1_30default_config_static_selectorELNS0_4arch9wavefront6targetE0EEEvSY_.has_indirect_call, 0
	.section	.AMDGPU.csdata,"",@progbits
; Kernel info:
; codeLenInByte = 0
; TotalNumSgprs: 0
; NumVgprs: 0
; ScratchSize: 0
; MemoryBound: 0
; FloatMode: 240
; IeeeMode: 1
; LDSByteSize: 0 bytes/workgroup (compile time only)
; SGPRBlocks: 0
; VGPRBlocks: 0
; NumSGPRsForWavesPerEU: 1
; NumVGPRsForWavesPerEU: 1
; Occupancy: 16
; WaveLimiterHint : 0
; COMPUTE_PGM_RSRC2:SCRATCH_EN: 0
; COMPUTE_PGM_RSRC2:USER_SGPR: 6
; COMPUTE_PGM_RSRC2:TRAP_HANDLER: 0
; COMPUTE_PGM_RSRC2:TGID_X_EN: 1
; COMPUTE_PGM_RSRC2:TGID_Y_EN: 0
; COMPUTE_PGM_RSRC2:TGID_Z_EN: 0
; COMPUTE_PGM_RSRC2:TIDIG_COMP_CNT: 0
	.section	.text._ZN7rocprim17ROCPRIM_400000_NS6detail17trampoline_kernelINS0_13select_configILj256ELj13ELNS0_17block_load_methodE3ELS4_3ELS4_3ELNS0_20block_scan_algorithmE0ELj4294967295EEENS1_25partition_config_selectorILNS1_17partition_subalgoE3EjNS0_10empty_typeEbEEZZNS1_14partition_implILS8_3ELb0ES6_jNS0_17counting_iteratorIjlEEPS9_SE_NS0_5tupleIJPjSE_EEENSF_IJSE_SE_EEES9_SG_JZNS1_25segmented_radix_sort_implINS0_14default_configELb0EPKiPiPKlPlN2at6native12_GLOBAL__N_18offset_tEEE10hipError_tPvRmT1_PNSt15iterator_traitsISY_E10value_typeET2_T3_PNSZ_IS14_E10value_typeET4_jRbjT5_S1A_jjP12ihipStream_tbEUljE_EEESV_SW_SX_S14_S18_S1A_T6_T7_T9_mT8_S1C_bDpT10_ENKUlT_T0_E_clISt17integral_constantIbLb0EES1O_IbLb1EEEEDaS1K_S1L_EUlS1K_E_NS1_11comp_targetILNS1_3genE3ELNS1_11target_archE908ELNS1_3gpuE7ELNS1_3repE0EEENS1_30default_config_static_selectorELNS0_4arch9wavefront6targetE0EEEvSY_,"axG",@progbits,_ZN7rocprim17ROCPRIM_400000_NS6detail17trampoline_kernelINS0_13select_configILj256ELj13ELNS0_17block_load_methodE3ELS4_3ELS4_3ELNS0_20block_scan_algorithmE0ELj4294967295EEENS1_25partition_config_selectorILNS1_17partition_subalgoE3EjNS0_10empty_typeEbEEZZNS1_14partition_implILS8_3ELb0ES6_jNS0_17counting_iteratorIjlEEPS9_SE_NS0_5tupleIJPjSE_EEENSF_IJSE_SE_EEES9_SG_JZNS1_25segmented_radix_sort_implINS0_14default_configELb0EPKiPiPKlPlN2at6native12_GLOBAL__N_18offset_tEEE10hipError_tPvRmT1_PNSt15iterator_traitsISY_E10value_typeET2_T3_PNSZ_IS14_E10value_typeET4_jRbjT5_S1A_jjP12ihipStream_tbEUljE_EEESV_SW_SX_S14_S18_S1A_T6_T7_T9_mT8_S1C_bDpT10_ENKUlT_T0_E_clISt17integral_constantIbLb0EES1O_IbLb1EEEEDaS1K_S1L_EUlS1K_E_NS1_11comp_targetILNS1_3genE3ELNS1_11target_archE908ELNS1_3gpuE7ELNS1_3repE0EEENS1_30default_config_static_selectorELNS0_4arch9wavefront6targetE0EEEvSY_,comdat
	.globl	_ZN7rocprim17ROCPRIM_400000_NS6detail17trampoline_kernelINS0_13select_configILj256ELj13ELNS0_17block_load_methodE3ELS4_3ELS4_3ELNS0_20block_scan_algorithmE0ELj4294967295EEENS1_25partition_config_selectorILNS1_17partition_subalgoE3EjNS0_10empty_typeEbEEZZNS1_14partition_implILS8_3ELb0ES6_jNS0_17counting_iteratorIjlEEPS9_SE_NS0_5tupleIJPjSE_EEENSF_IJSE_SE_EEES9_SG_JZNS1_25segmented_radix_sort_implINS0_14default_configELb0EPKiPiPKlPlN2at6native12_GLOBAL__N_18offset_tEEE10hipError_tPvRmT1_PNSt15iterator_traitsISY_E10value_typeET2_T3_PNSZ_IS14_E10value_typeET4_jRbjT5_S1A_jjP12ihipStream_tbEUljE_EEESV_SW_SX_S14_S18_S1A_T6_T7_T9_mT8_S1C_bDpT10_ENKUlT_T0_E_clISt17integral_constantIbLb0EES1O_IbLb1EEEEDaS1K_S1L_EUlS1K_E_NS1_11comp_targetILNS1_3genE3ELNS1_11target_archE908ELNS1_3gpuE7ELNS1_3repE0EEENS1_30default_config_static_selectorELNS0_4arch9wavefront6targetE0EEEvSY_ ; -- Begin function _ZN7rocprim17ROCPRIM_400000_NS6detail17trampoline_kernelINS0_13select_configILj256ELj13ELNS0_17block_load_methodE3ELS4_3ELS4_3ELNS0_20block_scan_algorithmE0ELj4294967295EEENS1_25partition_config_selectorILNS1_17partition_subalgoE3EjNS0_10empty_typeEbEEZZNS1_14partition_implILS8_3ELb0ES6_jNS0_17counting_iteratorIjlEEPS9_SE_NS0_5tupleIJPjSE_EEENSF_IJSE_SE_EEES9_SG_JZNS1_25segmented_radix_sort_implINS0_14default_configELb0EPKiPiPKlPlN2at6native12_GLOBAL__N_18offset_tEEE10hipError_tPvRmT1_PNSt15iterator_traitsISY_E10value_typeET2_T3_PNSZ_IS14_E10value_typeET4_jRbjT5_S1A_jjP12ihipStream_tbEUljE_EEESV_SW_SX_S14_S18_S1A_T6_T7_T9_mT8_S1C_bDpT10_ENKUlT_T0_E_clISt17integral_constantIbLb0EES1O_IbLb1EEEEDaS1K_S1L_EUlS1K_E_NS1_11comp_targetILNS1_3genE3ELNS1_11target_archE908ELNS1_3gpuE7ELNS1_3repE0EEENS1_30default_config_static_selectorELNS0_4arch9wavefront6targetE0EEEvSY_
	.p2align	8
	.type	_ZN7rocprim17ROCPRIM_400000_NS6detail17trampoline_kernelINS0_13select_configILj256ELj13ELNS0_17block_load_methodE3ELS4_3ELS4_3ELNS0_20block_scan_algorithmE0ELj4294967295EEENS1_25partition_config_selectorILNS1_17partition_subalgoE3EjNS0_10empty_typeEbEEZZNS1_14partition_implILS8_3ELb0ES6_jNS0_17counting_iteratorIjlEEPS9_SE_NS0_5tupleIJPjSE_EEENSF_IJSE_SE_EEES9_SG_JZNS1_25segmented_radix_sort_implINS0_14default_configELb0EPKiPiPKlPlN2at6native12_GLOBAL__N_18offset_tEEE10hipError_tPvRmT1_PNSt15iterator_traitsISY_E10value_typeET2_T3_PNSZ_IS14_E10value_typeET4_jRbjT5_S1A_jjP12ihipStream_tbEUljE_EEESV_SW_SX_S14_S18_S1A_T6_T7_T9_mT8_S1C_bDpT10_ENKUlT_T0_E_clISt17integral_constantIbLb0EES1O_IbLb1EEEEDaS1K_S1L_EUlS1K_E_NS1_11comp_targetILNS1_3genE3ELNS1_11target_archE908ELNS1_3gpuE7ELNS1_3repE0EEENS1_30default_config_static_selectorELNS0_4arch9wavefront6targetE0EEEvSY_,@function
_ZN7rocprim17ROCPRIM_400000_NS6detail17trampoline_kernelINS0_13select_configILj256ELj13ELNS0_17block_load_methodE3ELS4_3ELS4_3ELNS0_20block_scan_algorithmE0ELj4294967295EEENS1_25partition_config_selectorILNS1_17partition_subalgoE3EjNS0_10empty_typeEbEEZZNS1_14partition_implILS8_3ELb0ES6_jNS0_17counting_iteratorIjlEEPS9_SE_NS0_5tupleIJPjSE_EEENSF_IJSE_SE_EEES9_SG_JZNS1_25segmented_radix_sort_implINS0_14default_configELb0EPKiPiPKlPlN2at6native12_GLOBAL__N_18offset_tEEE10hipError_tPvRmT1_PNSt15iterator_traitsISY_E10value_typeET2_T3_PNSZ_IS14_E10value_typeET4_jRbjT5_S1A_jjP12ihipStream_tbEUljE_EEESV_SW_SX_S14_S18_S1A_T6_T7_T9_mT8_S1C_bDpT10_ENKUlT_T0_E_clISt17integral_constantIbLb0EES1O_IbLb1EEEEDaS1K_S1L_EUlS1K_E_NS1_11comp_targetILNS1_3genE3ELNS1_11target_archE908ELNS1_3gpuE7ELNS1_3repE0EEENS1_30default_config_static_selectorELNS0_4arch9wavefront6targetE0EEEvSY_: ; @_ZN7rocprim17ROCPRIM_400000_NS6detail17trampoline_kernelINS0_13select_configILj256ELj13ELNS0_17block_load_methodE3ELS4_3ELS4_3ELNS0_20block_scan_algorithmE0ELj4294967295EEENS1_25partition_config_selectorILNS1_17partition_subalgoE3EjNS0_10empty_typeEbEEZZNS1_14partition_implILS8_3ELb0ES6_jNS0_17counting_iteratorIjlEEPS9_SE_NS0_5tupleIJPjSE_EEENSF_IJSE_SE_EEES9_SG_JZNS1_25segmented_radix_sort_implINS0_14default_configELb0EPKiPiPKlPlN2at6native12_GLOBAL__N_18offset_tEEE10hipError_tPvRmT1_PNSt15iterator_traitsISY_E10value_typeET2_T3_PNSZ_IS14_E10value_typeET4_jRbjT5_S1A_jjP12ihipStream_tbEUljE_EEESV_SW_SX_S14_S18_S1A_T6_T7_T9_mT8_S1C_bDpT10_ENKUlT_T0_E_clISt17integral_constantIbLb0EES1O_IbLb1EEEEDaS1K_S1L_EUlS1K_E_NS1_11comp_targetILNS1_3genE3ELNS1_11target_archE908ELNS1_3gpuE7ELNS1_3repE0EEENS1_30default_config_static_selectorELNS0_4arch9wavefront6targetE0EEEvSY_
; %bb.0:
	.section	.rodata,"a",@progbits
	.p2align	6, 0x0
	.amdhsa_kernel _ZN7rocprim17ROCPRIM_400000_NS6detail17trampoline_kernelINS0_13select_configILj256ELj13ELNS0_17block_load_methodE3ELS4_3ELS4_3ELNS0_20block_scan_algorithmE0ELj4294967295EEENS1_25partition_config_selectorILNS1_17partition_subalgoE3EjNS0_10empty_typeEbEEZZNS1_14partition_implILS8_3ELb0ES6_jNS0_17counting_iteratorIjlEEPS9_SE_NS0_5tupleIJPjSE_EEENSF_IJSE_SE_EEES9_SG_JZNS1_25segmented_radix_sort_implINS0_14default_configELb0EPKiPiPKlPlN2at6native12_GLOBAL__N_18offset_tEEE10hipError_tPvRmT1_PNSt15iterator_traitsISY_E10value_typeET2_T3_PNSZ_IS14_E10value_typeET4_jRbjT5_S1A_jjP12ihipStream_tbEUljE_EEESV_SW_SX_S14_S18_S1A_T6_T7_T9_mT8_S1C_bDpT10_ENKUlT_T0_E_clISt17integral_constantIbLb0EES1O_IbLb1EEEEDaS1K_S1L_EUlS1K_E_NS1_11comp_targetILNS1_3genE3ELNS1_11target_archE908ELNS1_3gpuE7ELNS1_3repE0EEENS1_30default_config_static_selectorELNS0_4arch9wavefront6targetE0EEEvSY_
		.amdhsa_group_segment_fixed_size 0
		.amdhsa_private_segment_fixed_size 0
		.amdhsa_kernarg_size 152
		.amdhsa_user_sgpr_count 6
		.amdhsa_user_sgpr_private_segment_buffer 1
		.amdhsa_user_sgpr_dispatch_ptr 0
		.amdhsa_user_sgpr_queue_ptr 0
		.amdhsa_user_sgpr_kernarg_segment_ptr 1
		.amdhsa_user_sgpr_dispatch_id 0
		.amdhsa_user_sgpr_flat_scratch_init 0
		.amdhsa_user_sgpr_private_segment_size 0
		.amdhsa_wavefront_size32 1
		.amdhsa_uses_dynamic_stack 0
		.amdhsa_system_sgpr_private_segment_wavefront_offset 0
		.amdhsa_system_sgpr_workgroup_id_x 1
		.amdhsa_system_sgpr_workgroup_id_y 0
		.amdhsa_system_sgpr_workgroup_id_z 0
		.amdhsa_system_sgpr_workgroup_info 0
		.amdhsa_system_vgpr_workitem_id 0
		.amdhsa_next_free_vgpr 1
		.amdhsa_next_free_sgpr 1
		.amdhsa_reserve_vcc 0
		.amdhsa_reserve_flat_scratch 0
		.amdhsa_float_round_mode_32 0
		.amdhsa_float_round_mode_16_64 0
		.amdhsa_float_denorm_mode_32 3
		.amdhsa_float_denorm_mode_16_64 3
		.amdhsa_dx10_clamp 1
		.amdhsa_ieee_mode 1
		.amdhsa_fp16_overflow 0
		.amdhsa_workgroup_processor_mode 1
		.amdhsa_memory_ordered 1
		.amdhsa_forward_progress 1
		.amdhsa_shared_vgpr_count 0
		.amdhsa_exception_fp_ieee_invalid_op 0
		.amdhsa_exception_fp_denorm_src 0
		.amdhsa_exception_fp_ieee_div_zero 0
		.amdhsa_exception_fp_ieee_overflow 0
		.amdhsa_exception_fp_ieee_underflow 0
		.amdhsa_exception_fp_ieee_inexact 0
		.amdhsa_exception_int_div_zero 0
	.end_amdhsa_kernel
	.section	.text._ZN7rocprim17ROCPRIM_400000_NS6detail17trampoline_kernelINS0_13select_configILj256ELj13ELNS0_17block_load_methodE3ELS4_3ELS4_3ELNS0_20block_scan_algorithmE0ELj4294967295EEENS1_25partition_config_selectorILNS1_17partition_subalgoE3EjNS0_10empty_typeEbEEZZNS1_14partition_implILS8_3ELb0ES6_jNS0_17counting_iteratorIjlEEPS9_SE_NS0_5tupleIJPjSE_EEENSF_IJSE_SE_EEES9_SG_JZNS1_25segmented_radix_sort_implINS0_14default_configELb0EPKiPiPKlPlN2at6native12_GLOBAL__N_18offset_tEEE10hipError_tPvRmT1_PNSt15iterator_traitsISY_E10value_typeET2_T3_PNSZ_IS14_E10value_typeET4_jRbjT5_S1A_jjP12ihipStream_tbEUljE_EEESV_SW_SX_S14_S18_S1A_T6_T7_T9_mT8_S1C_bDpT10_ENKUlT_T0_E_clISt17integral_constantIbLb0EES1O_IbLb1EEEEDaS1K_S1L_EUlS1K_E_NS1_11comp_targetILNS1_3genE3ELNS1_11target_archE908ELNS1_3gpuE7ELNS1_3repE0EEENS1_30default_config_static_selectorELNS0_4arch9wavefront6targetE0EEEvSY_,"axG",@progbits,_ZN7rocprim17ROCPRIM_400000_NS6detail17trampoline_kernelINS0_13select_configILj256ELj13ELNS0_17block_load_methodE3ELS4_3ELS4_3ELNS0_20block_scan_algorithmE0ELj4294967295EEENS1_25partition_config_selectorILNS1_17partition_subalgoE3EjNS0_10empty_typeEbEEZZNS1_14partition_implILS8_3ELb0ES6_jNS0_17counting_iteratorIjlEEPS9_SE_NS0_5tupleIJPjSE_EEENSF_IJSE_SE_EEES9_SG_JZNS1_25segmented_radix_sort_implINS0_14default_configELb0EPKiPiPKlPlN2at6native12_GLOBAL__N_18offset_tEEE10hipError_tPvRmT1_PNSt15iterator_traitsISY_E10value_typeET2_T3_PNSZ_IS14_E10value_typeET4_jRbjT5_S1A_jjP12ihipStream_tbEUljE_EEESV_SW_SX_S14_S18_S1A_T6_T7_T9_mT8_S1C_bDpT10_ENKUlT_T0_E_clISt17integral_constantIbLb0EES1O_IbLb1EEEEDaS1K_S1L_EUlS1K_E_NS1_11comp_targetILNS1_3genE3ELNS1_11target_archE908ELNS1_3gpuE7ELNS1_3repE0EEENS1_30default_config_static_selectorELNS0_4arch9wavefront6targetE0EEEvSY_,comdat
.Lfunc_end590:
	.size	_ZN7rocprim17ROCPRIM_400000_NS6detail17trampoline_kernelINS0_13select_configILj256ELj13ELNS0_17block_load_methodE3ELS4_3ELS4_3ELNS0_20block_scan_algorithmE0ELj4294967295EEENS1_25partition_config_selectorILNS1_17partition_subalgoE3EjNS0_10empty_typeEbEEZZNS1_14partition_implILS8_3ELb0ES6_jNS0_17counting_iteratorIjlEEPS9_SE_NS0_5tupleIJPjSE_EEENSF_IJSE_SE_EEES9_SG_JZNS1_25segmented_radix_sort_implINS0_14default_configELb0EPKiPiPKlPlN2at6native12_GLOBAL__N_18offset_tEEE10hipError_tPvRmT1_PNSt15iterator_traitsISY_E10value_typeET2_T3_PNSZ_IS14_E10value_typeET4_jRbjT5_S1A_jjP12ihipStream_tbEUljE_EEESV_SW_SX_S14_S18_S1A_T6_T7_T9_mT8_S1C_bDpT10_ENKUlT_T0_E_clISt17integral_constantIbLb0EES1O_IbLb1EEEEDaS1K_S1L_EUlS1K_E_NS1_11comp_targetILNS1_3genE3ELNS1_11target_archE908ELNS1_3gpuE7ELNS1_3repE0EEENS1_30default_config_static_selectorELNS0_4arch9wavefront6targetE0EEEvSY_, .Lfunc_end590-_ZN7rocprim17ROCPRIM_400000_NS6detail17trampoline_kernelINS0_13select_configILj256ELj13ELNS0_17block_load_methodE3ELS4_3ELS4_3ELNS0_20block_scan_algorithmE0ELj4294967295EEENS1_25partition_config_selectorILNS1_17partition_subalgoE3EjNS0_10empty_typeEbEEZZNS1_14partition_implILS8_3ELb0ES6_jNS0_17counting_iteratorIjlEEPS9_SE_NS0_5tupleIJPjSE_EEENSF_IJSE_SE_EEES9_SG_JZNS1_25segmented_radix_sort_implINS0_14default_configELb0EPKiPiPKlPlN2at6native12_GLOBAL__N_18offset_tEEE10hipError_tPvRmT1_PNSt15iterator_traitsISY_E10value_typeET2_T3_PNSZ_IS14_E10value_typeET4_jRbjT5_S1A_jjP12ihipStream_tbEUljE_EEESV_SW_SX_S14_S18_S1A_T6_T7_T9_mT8_S1C_bDpT10_ENKUlT_T0_E_clISt17integral_constantIbLb0EES1O_IbLb1EEEEDaS1K_S1L_EUlS1K_E_NS1_11comp_targetILNS1_3genE3ELNS1_11target_archE908ELNS1_3gpuE7ELNS1_3repE0EEENS1_30default_config_static_selectorELNS0_4arch9wavefront6targetE0EEEvSY_
                                        ; -- End function
	.set _ZN7rocprim17ROCPRIM_400000_NS6detail17trampoline_kernelINS0_13select_configILj256ELj13ELNS0_17block_load_methodE3ELS4_3ELS4_3ELNS0_20block_scan_algorithmE0ELj4294967295EEENS1_25partition_config_selectorILNS1_17partition_subalgoE3EjNS0_10empty_typeEbEEZZNS1_14partition_implILS8_3ELb0ES6_jNS0_17counting_iteratorIjlEEPS9_SE_NS0_5tupleIJPjSE_EEENSF_IJSE_SE_EEES9_SG_JZNS1_25segmented_radix_sort_implINS0_14default_configELb0EPKiPiPKlPlN2at6native12_GLOBAL__N_18offset_tEEE10hipError_tPvRmT1_PNSt15iterator_traitsISY_E10value_typeET2_T3_PNSZ_IS14_E10value_typeET4_jRbjT5_S1A_jjP12ihipStream_tbEUljE_EEESV_SW_SX_S14_S18_S1A_T6_T7_T9_mT8_S1C_bDpT10_ENKUlT_T0_E_clISt17integral_constantIbLb0EES1O_IbLb1EEEEDaS1K_S1L_EUlS1K_E_NS1_11comp_targetILNS1_3genE3ELNS1_11target_archE908ELNS1_3gpuE7ELNS1_3repE0EEENS1_30default_config_static_selectorELNS0_4arch9wavefront6targetE0EEEvSY_.num_vgpr, 0
	.set _ZN7rocprim17ROCPRIM_400000_NS6detail17trampoline_kernelINS0_13select_configILj256ELj13ELNS0_17block_load_methodE3ELS4_3ELS4_3ELNS0_20block_scan_algorithmE0ELj4294967295EEENS1_25partition_config_selectorILNS1_17partition_subalgoE3EjNS0_10empty_typeEbEEZZNS1_14partition_implILS8_3ELb0ES6_jNS0_17counting_iteratorIjlEEPS9_SE_NS0_5tupleIJPjSE_EEENSF_IJSE_SE_EEES9_SG_JZNS1_25segmented_radix_sort_implINS0_14default_configELb0EPKiPiPKlPlN2at6native12_GLOBAL__N_18offset_tEEE10hipError_tPvRmT1_PNSt15iterator_traitsISY_E10value_typeET2_T3_PNSZ_IS14_E10value_typeET4_jRbjT5_S1A_jjP12ihipStream_tbEUljE_EEESV_SW_SX_S14_S18_S1A_T6_T7_T9_mT8_S1C_bDpT10_ENKUlT_T0_E_clISt17integral_constantIbLb0EES1O_IbLb1EEEEDaS1K_S1L_EUlS1K_E_NS1_11comp_targetILNS1_3genE3ELNS1_11target_archE908ELNS1_3gpuE7ELNS1_3repE0EEENS1_30default_config_static_selectorELNS0_4arch9wavefront6targetE0EEEvSY_.num_agpr, 0
	.set _ZN7rocprim17ROCPRIM_400000_NS6detail17trampoline_kernelINS0_13select_configILj256ELj13ELNS0_17block_load_methodE3ELS4_3ELS4_3ELNS0_20block_scan_algorithmE0ELj4294967295EEENS1_25partition_config_selectorILNS1_17partition_subalgoE3EjNS0_10empty_typeEbEEZZNS1_14partition_implILS8_3ELb0ES6_jNS0_17counting_iteratorIjlEEPS9_SE_NS0_5tupleIJPjSE_EEENSF_IJSE_SE_EEES9_SG_JZNS1_25segmented_radix_sort_implINS0_14default_configELb0EPKiPiPKlPlN2at6native12_GLOBAL__N_18offset_tEEE10hipError_tPvRmT1_PNSt15iterator_traitsISY_E10value_typeET2_T3_PNSZ_IS14_E10value_typeET4_jRbjT5_S1A_jjP12ihipStream_tbEUljE_EEESV_SW_SX_S14_S18_S1A_T6_T7_T9_mT8_S1C_bDpT10_ENKUlT_T0_E_clISt17integral_constantIbLb0EES1O_IbLb1EEEEDaS1K_S1L_EUlS1K_E_NS1_11comp_targetILNS1_3genE3ELNS1_11target_archE908ELNS1_3gpuE7ELNS1_3repE0EEENS1_30default_config_static_selectorELNS0_4arch9wavefront6targetE0EEEvSY_.numbered_sgpr, 0
	.set _ZN7rocprim17ROCPRIM_400000_NS6detail17trampoline_kernelINS0_13select_configILj256ELj13ELNS0_17block_load_methodE3ELS4_3ELS4_3ELNS0_20block_scan_algorithmE0ELj4294967295EEENS1_25partition_config_selectorILNS1_17partition_subalgoE3EjNS0_10empty_typeEbEEZZNS1_14partition_implILS8_3ELb0ES6_jNS0_17counting_iteratorIjlEEPS9_SE_NS0_5tupleIJPjSE_EEENSF_IJSE_SE_EEES9_SG_JZNS1_25segmented_radix_sort_implINS0_14default_configELb0EPKiPiPKlPlN2at6native12_GLOBAL__N_18offset_tEEE10hipError_tPvRmT1_PNSt15iterator_traitsISY_E10value_typeET2_T3_PNSZ_IS14_E10value_typeET4_jRbjT5_S1A_jjP12ihipStream_tbEUljE_EEESV_SW_SX_S14_S18_S1A_T6_T7_T9_mT8_S1C_bDpT10_ENKUlT_T0_E_clISt17integral_constantIbLb0EES1O_IbLb1EEEEDaS1K_S1L_EUlS1K_E_NS1_11comp_targetILNS1_3genE3ELNS1_11target_archE908ELNS1_3gpuE7ELNS1_3repE0EEENS1_30default_config_static_selectorELNS0_4arch9wavefront6targetE0EEEvSY_.num_named_barrier, 0
	.set _ZN7rocprim17ROCPRIM_400000_NS6detail17trampoline_kernelINS0_13select_configILj256ELj13ELNS0_17block_load_methodE3ELS4_3ELS4_3ELNS0_20block_scan_algorithmE0ELj4294967295EEENS1_25partition_config_selectorILNS1_17partition_subalgoE3EjNS0_10empty_typeEbEEZZNS1_14partition_implILS8_3ELb0ES6_jNS0_17counting_iteratorIjlEEPS9_SE_NS0_5tupleIJPjSE_EEENSF_IJSE_SE_EEES9_SG_JZNS1_25segmented_radix_sort_implINS0_14default_configELb0EPKiPiPKlPlN2at6native12_GLOBAL__N_18offset_tEEE10hipError_tPvRmT1_PNSt15iterator_traitsISY_E10value_typeET2_T3_PNSZ_IS14_E10value_typeET4_jRbjT5_S1A_jjP12ihipStream_tbEUljE_EEESV_SW_SX_S14_S18_S1A_T6_T7_T9_mT8_S1C_bDpT10_ENKUlT_T0_E_clISt17integral_constantIbLb0EES1O_IbLb1EEEEDaS1K_S1L_EUlS1K_E_NS1_11comp_targetILNS1_3genE3ELNS1_11target_archE908ELNS1_3gpuE7ELNS1_3repE0EEENS1_30default_config_static_selectorELNS0_4arch9wavefront6targetE0EEEvSY_.private_seg_size, 0
	.set _ZN7rocprim17ROCPRIM_400000_NS6detail17trampoline_kernelINS0_13select_configILj256ELj13ELNS0_17block_load_methodE3ELS4_3ELS4_3ELNS0_20block_scan_algorithmE0ELj4294967295EEENS1_25partition_config_selectorILNS1_17partition_subalgoE3EjNS0_10empty_typeEbEEZZNS1_14partition_implILS8_3ELb0ES6_jNS0_17counting_iteratorIjlEEPS9_SE_NS0_5tupleIJPjSE_EEENSF_IJSE_SE_EEES9_SG_JZNS1_25segmented_radix_sort_implINS0_14default_configELb0EPKiPiPKlPlN2at6native12_GLOBAL__N_18offset_tEEE10hipError_tPvRmT1_PNSt15iterator_traitsISY_E10value_typeET2_T3_PNSZ_IS14_E10value_typeET4_jRbjT5_S1A_jjP12ihipStream_tbEUljE_EEESV_SW_SX_S14_S18_S1A_T6_T7_T9_mT8_S1C_bDpT10_ENKUlT_T0_E_clISt17integral_constantIbLb0EES1O_IbLb1EEEEDaS1K_S1L_EUlS1K_E_NS1_11comp_targetILNS1_3genE3ELNS1_11target_archE908ELNS1_3gpuE7ELNS1_3repE0EEENS1_30default_config_static_selectorELNS0_4arch9wavefront6targetE0EEEvSY_.uses_vcc, 0
	.set _ZN7rocprim17ROCPRIM_400000_NS6detail17trampoline_kernelINS0_13select_configILj256ELj13ELNS0_17block_load_methodE3ELS4_3ELS4_3ELNS0_20block_scan_algorithmE0ELj4294967295EEENS1_25partition_config_selectorILNS1_17partition_subalgoE3EjNS0_10empty_typeEbEEZZNS1_14partition_implILS8_3ELb0ES6_jNS0_17counting_iteratorIjlEEPS9_SE_NS0_5tupleIJPjSE_EEENSF_IJSE_SE_EEES9_SG_JZNS1_25segmented_radix_sort_implINS0_14default_configELb0EPKiPiPKlPlN2at6native12_GLOBAL__N_18offset_tEEE10hipError_tPvRmT1_PNSt15iterator_traitsISY_E10value_typeET2_T3_PNSZ_IS14_E10value_typeET4_jRbjT5_S1A_jjP12ihipStream_tbEUljE_EEESV_SW_SX_S14_S18_S1A_T6_T7_T9_mT8_S1C_bDpT10_ENKUlT_T0_E_clISt17integral_constantIbLb0EES1O_IbLb1EEEEDaS1K_S1L_EUlS1K_E_NS1_11comp_targetILNS1_3genE3ELNS1_11target_archE908ELNS1_3gpuE7ELNS1_3repE0EEENS1_30default_config_static_selectorELNS0_4arch9wavefront6targetE0EEEvSY_.uses_flat_scratch, 0
	.set _ZN7rocprim17ROCPRIM_400000_NS6detail17trampoline_kernelINS0_13select_configILj256ELj13ELNS0_17block_load_methodE3ELS4_3ELS4_3ELNS0_20block_scan_algorithmE0ELj4294967295EEENS1_25partition_config_selectorILNS1_17partition_subalgoE3EjNS0_10empty_typeEbEEZZNS1_14partition_implILS8_3ELb0ES6_jNS0_17counting_iteratorIjlEEPS9_SE_NS0_5tupleIJPjSE_EEENSF_IJSE_SE_EEES9_SG_JZNS1_25segmented_radix_sort_implINS0_14default_configELb0EPKiPiPKlPlN2at6native12_GLOBAL__N_18offset_tEEE10hipError_tPvRmT1_PNSt15iterator_traitsISY_E10value_typeET2_T3_PNSZ_IS14_E10value_typeET4_jRbjT5_S1A_jjP12ihipStream_tbEUljE_EEESV_SW_SX_S14_S18_S1A_T6_T7_T9_mT8_S1C_bDpT10_ENKUlT_T0_E_clISt17integral_constantIbLb0EES1O_IbLb1EEEEDaS1K_S1L_EUlS1K_E_NS1_11comp_targetILNS1_3genE3ELNS1_11target_archE908ELNS1_3gpuE7ELNS1_3repE0EEENS1_30default_config_static_selectorELNS0_4arch9wavefront6targetE0EEEvSY_.has_dyn_sized_stack, 0
	.set _ZN7rocprim17ROCPRIM_400000_NS6detail17trampoline_kernelINS0_13select_configILj256ELj13ELNS0_17block_load_methodE3ELS4_3ELS4_3ELNS0_20block_scan_algorithmE0ELj4294967295EEENS1_25partition_config_selectorILNS1_17partition_subalgoE3EjNS0_10empty_typeEbEEZZNS1_14partition_implILS8_3ELb0ES6_jNS0_17counting_iteratorIjlEEPS9_SE_NS0_5tupleIJPjSE_EEENSF_IJSE_SE_EEES9_SG_JZNS1_25segmented_radix_sort_implINS0_14default_configELb0EPKiPiPKlPlN2at6native12_GLOBAL__N_18offset_tEEE10hipError_tPvRmT1_PNSt15iterator_traitsISY_E10value_typeET2_T3_PNSZ_IS14_E10value_typeET4_jRbjT5_S1A_jjP12ihipStream_tbEUljE_EEESV_SW_SX_S14_S18_S1A_T6_T7_T9_mT8_S1C_bDpT10_ENKUlT_T0_E_clISt17integral_constantIbLb0EES1O_IbLb1EEEEDaS1K_S1L_EUlS1K_E_NS1_11comp_targetILNS1_3genE3ELNS1_11target_archE908ELNS1_3gpuE7ELNS1_3repE0EEENS1_30default_config_static_selectorELNS0_4arch9wavefront6targetE0EEEvSY_.has_recursion, 0
	.set _ZN7rocprim17ROCPRIM_400000_NS6detail17trampoline_kernelINS0_13select_configILj256ELj13ELNS0_17block_load_methodE3ELS4_3ELS4_3ELNS0_20block_scan_algorithmE0ELj4294967295EEENS1_25partition_config_selectorILNS1_17partition_subalgoE3EjNS0_10empty_typeEbEEZZNS1_14partition_implILS8_3ELb0ES6_jNS0_17counting_iteratorIjlEEPS9_SE_NS0_5tupleIJPjSE_EEENSF_IJSE_SE_EEES9_SG_JZNS1_25segmented_radix_sort_implINS0_14default_configELb0EPKiPiPKlPlN2at6native12_GLOBAL__N_18offset_tEEE10hipError_tPvRmT1_PNSt15iterator_traitsISY_E10value_typeET2_T3_PNSZ_IS14_E10value_typeET4_jRbjT5_S1A_jjP12ihipStream_tbEUljE_EEESV_SW_SX_S14_S18_S1A_T6_T7_T9_mT8_S1C_bDpT10_ENKUlT_T0_E_clISt17integral_constantIbLb0EES1O_IbLb1EEEEDaS1K_S1L_EUlS1K_E_NS1_11comp_targetILNS1_3genE3ELNS1_11target_archE908ELNS1_3gpuE7ELNS1_3repE0EEENS1_30default_config_static_selectorELNS0_4arch9wavefront6targetE0EEEvSY_.has_indirect_call, 0
	.section	.AMDGPU.csdata,"",@progbits
; Kernel info:
; codeLenInByte = 0
; TotalNumSgprs: 0
; NumVgprs: 0
; ScratchSize: 0
; MemoryBound: 0
; FloatMode: 240
; IeeeMode: 1
; LDSByteSize: 0 bytes/workgroup (compile time only)
; SGPRBlocks: 0
; VGPRBlocks: 0
; NumSGPRsForWavesPerEU: 1
; NumVGPRsForWavesPerEU: 1
; Occupancy: 16
; WaveLimiterHint : 0
; COMPUTE_PGM_RSRC2:SCRATCH_EN: 0
; COMPUTE_PGM_RSRC2:USER_SGPR: 6
; COMPUTE_PGM_RSRC2:TRAP_HANDLER: 0
; COMPUTE_PGM_RSRC2:TGID_X_EN: 1
; COMPUTE_PGM_RSRC2:TGID_Y_EN: 0
; COMPUTE_PGM_RSRC2:TGID_Z_EN: 0
; COMPUTE_PGM_RSRC2:TIDIG_COMP_CNT: 0
	.section	.text._ZN7rocprim17ROCPRIM_400000_NS6detail17trampoline_kernelINS0_13select_configILj256ELj13ELNS0_17block_load_methodE3ELS4_3ELS4_3ELNS0_20block_scan_algorithmE0ELj4294967295EEENS1_25partition_config_selectorILNS1_17partition_subalgoE3EjNS0_10empty_typeEbEEZZNS1_14partition_implILS8_3ELb0ES6_jNS0_17counting_iteratorIjlEEPS9_SE_NS0_5tupleIJPjSE_EEENSF_IJSE_SE_EEES9_SG_JZNS1_25segmented_radix_sort_implINS0_14default_configELb0EPKiPiPKlPlN2at6native12_GLOBAL__N_18offset_tEEE10hipError_tPvRmT1_PNSt15iterator_traitsISY_E10value_typeET2_T3_PNSZ_IS14_E10value_typeET4_jRbjT5_S1A_jjP12ihipStream_tbEUljE_EEESV_SW_SX_S14_S18_S1A_T6_T7_T9_mT8_S1C_bDpT10_ENKUlT_T0_E_clISt17integral_constantIbLb0EES1O_IbLb1EEEEDaS1K_S1L_EUlS1K_E_NS1_11comp_targetILNS1_3genE2ELNS1_11target_archE906ELNS1_3gpuE6ELNS1_3repE0EEENS1_30default_config_static_selectorELNS0_4arch9wavefront6targetE0EEEvSY_,"axG",@progbits,_ZN7rocprim17ROCPRIM_400000_NS6detail17trampoline_kernelINS0_13select_configILj256ELj13ELNS0_17block_load_methodE3ELS4_3ELS4_3ELNS0_20block_scan_algorithmE0ELj4294967295EEENS1_25partition_config_selectorILNS1_17partition_subalgoE3EjNS0_10empty_typeEbEEZZNS1_14partition_implILS8_3ELb0ES6_jNS0_17counting_iteratorIjlEEPS9_SE_NS0_5tupleIJPjSE_EEENSF_IJSE_SE_EEES9_SG_JZNS1_25segmented_radix_sort_implINS0_14default_configELb0EPKiPiPKlPlN2at6native12_GLOBAL__N_18offset_tEEE10hipError_tPvRmT1_PNSt15iterator_traitsISY_E10value_typeET2_T3_PNSZ_IS14_E10value_typeET4_jRbjT5_S1A_jjP12ihipStream_tbEUljE_EEESV_SW_SX_S14_S18_S1A_T6_T7_T9_mT8_S1C_bDpT10_ENKUlT_T0_E_clISt17integral_constantIbLb0EES1O_IbLb1EEEEDaS1K_S1L_EUlS1K_E_NS1_11comp_targetILNS1_3genE2ELNS1_11target_archE906ELNS1_3gpuE6ELNS1_3repE0EEENS1_30default_config_static_selectorELNS0_4arch9wavefront6targetE0EEEvSY_,comdat
	.globl	_ZN7rocprim17ROCPRIM_400000_NS6detail17trampoline_kernelINS0_13select_configILj256ELj13ELNS0_17block_load_methodE3ELS4_3ELS4_3ELNS0_20block_scan_algorithmE0ELj4294967295EEENS1_25partition_config_selectorILNS1_17partition_subalgoE3EjNS0_10empty_typeEbEEZZNS1_14partition_implILS8_3ELb0ES6_jNS0_17counting_iteratorIjlEEPS9_SE_NS0_5tupleIJPjSE_EEENSF_IJSE_SE_EEES9_SG_JZNS1_25segmented_radix_sort_implINS0_14default_configELb0EPKiPiPKlPlN2at6native12_GLOBAL__N_18offset_tEEE10hipError_tPvRmT1_PNSt15iterator_traitsISY_E10value_typeET2_T3_PNSZ_IS14_E10value_typeET4_jRbjT5_S1A_jjP12ihipStream_tbEUljE_EEESV_SW_SX_S14_S18_S1A_T6_T7_T9_mT8_S1C_bDpT10_ENKUlT_T0_E_clISt17integral_constantIbLb0EES1O_IbLb1EEEEDaS1K_S1L_EUlS1K_E_NS1_11comp_targetILNS1_3genE2ELNS1_11target_archE906ELNS1_3gpuE6ELNS1_3repE0EEENS1_30default_config_static_selectorELNS0_4arch9wavefront6targetE0EEEvSY_ ; -- Begin function _ZN7rocprim17ROCPRIM_400000_NS6detail17trampoline_kernelINS0_13select_configILj256ELj13ELNS0_17block_load_methodE3ELS4_3ELS4_3ELNS0_20block_scan_algorithmE0ELj4294967295EEENS1_25partition_config_selectorILNS1_17partition_subalgoE3EjNS0_10empty_typeEbEEZZNS1_14partition_implILS8_3ELb0ES6_jNS0_17counting_iteratorIjlEEPS9_SE_NS0_5tupleIJPjSE_EEENSF_IJSE_SE_EEES9_SG_JZNS1_25segmented_radix_sort_implINS0_14default_configELb0EPKiPiPKlPlN2at6native12_GLOBAL__N_18offset_tEEE10hipError_tPvRmT1_PNSt15iterator_traitsISY_E10value_typeET2_T3_PNSZ_IS14_E10value_typeET4_jRbjT5_S1A_jjP12ihipStream_tbEUljE_EEESV_SW_SX_S14_S18_S1A_T6_T7_T9_mT8_S1C_bDpT10_ENKUlT_T0_E_clISt17integral_constantIbLb0EES1O_IbLb1EEEEDaS1K_S1L_EUlS1K_E_NS1_11comp_targetILNS1_3genE2ELNS1_11target_archE906ELNS1_3gpuE6ELNS1_3repE0EEENS1_30default_config_static_selectorELNS0_4arch9wavefront6targetE0EEEvSY_
	.p2align	8
	.type	_ZN7rocprim17ROCPRIM_400000_NS6detail17trampoline_kernelINS0_13select_configILj256ELj13ELNS0_17block_load_methodE3ELS4_3ELS4_3ELNS0_20block_scan_algorithmE0ELj4294967295EEENS1_25partition_config_selectorILNS1_17partition_subalgoE3EjNS0_10empty_typeEbEEZZNS1_14partition_implILS8_3ELb0ES6_jNS0_17counting_iteratorIjlEEPS9_SE_NS0_5tupleIJPjSE_EEENSF_IJSE_SE_EEES9_SG_JZNS1_25segmented_radix_sort_implINS0_14default_configELb0EPKiPiPKlPlN2at6native12_GLOBAL__N_18offset_tEEE10hipError_tPvRmT1_PNSt15iterator_traitsISY_E10value_typeET2_T3_PNSZ_IS14_E10value_typeET4_jRbjT5_S1A_jjP12ihipStream_tbEUljE_EEESV_SW_SX_S14_S18_S1A_T6_T7_T9_mT8_S1C_bDpT10_ENKUlT_T0_E_clISt17integral_constantIbLb0EES1O_IbLb1EEEEDaS1K_S1L_EUlS1K_E_NS1_11comp_targetILNS1_3genE2ELNS1_11target_archE906ELNS1_3gpuE6ELNS1_3repE0EEENS1_30default_config_static_selectorELNS0_4arch9wavefront6targetE0EEEvSY_,@function
_ZN7rocprim17ROCPRIM_400000_NS6detail17trampoline_kernelINS0_13select_configILj256ELj13ELNS0_17block_load_methodE3ELS4_3ELS4_3ELNS0_20block_scan_algorithmE0ELj4294967295EEENS1_25partition_config_selectorILNS1_17partition_subalgoE3EjNS0_10empty_typeEbEEZZNS1_14partition_implILS8_3ELb0ES6_jNS0_17counting_iteratorIjlEEPS9_SE_NS0_5tupleIJPjSE_EEENSF_IJSE_SE_EEES9_SG_JZNS1_25segmented_radix_sort_implINS0_14default_configELb0EPKiPiPKlPlN2at6native12_GLOBAL__N_18offset_tEEE10hipError_tPvRmT1_PNSt15iterator_traitsISY_E10value_typeET2_T3_PNSZ_IS14_E10value_typeET4_jRbjT5_S1A_jjP12ihipStream_tbEUljE_EEESV_SW_SX_S14_S18_S1A_T6_T7_T9_mT8_S1C_bDpT10_ENKUlT_T0_E_clISt17integral_constantIbLb0EES1O_IbLb1EEEEDaS1K_S1L_EUlS1K_E_NS1_11comp_targetILNS1_3genE2ELNS1_11target_archE906ELNS1_3gpuE6ELNS1_3repE0EEENS1_30default_config_static_selectorELNS0_4arch9wavefront6targetE0EEEvSY_: ; @_ZN7rocprim17ROCPRIM_400000_NS6detail17trampoline_kernelINS0_13select_configILj256ELj13ELNS0_17block_load_methodE3ELS4_3ELS4_3ELNS0_20block_scan_algorithmE0ELj4294967295EEENS1_25partition_config_selectorILNS1_17partition_subalgoE3EjNS0_10empty_typeEbEEZZNS1_14partition_implILS8_3ELb0ES6_jNS0_17counting_iteratorIjlEEPS9_SE_NS0_5tupleIJPjSE_EEENSF_IJSE_SE_EEES9_SG_JZNS1_25segmented_radix_sort_implINS0_14default_configELb0EPKiPiPKlPlN2at6native12_GLOBAL__N_18offset_tEEE10hipError_tPvRmT1_PNSt15iterator_traitsISY_E10value_typeET2_T3_PNSZ_IS14_E10value_typeET4_jRbjT5_S1A_jjP12ihipStream_tbEUljE_EEESV_SW_SX_S14_S18_S1A_T6_T7_T9_mT8_S1C_bDpT10_ENKUlT_T0_E_clISt17integral_constantIbLb0EES1O_IbLb1EEEEDaS1K_S1L_EUlS1K_E_NS1_11comp_targetILNS1_3genE2ELNS1_11target_archE906ELNS1_3gpuE6ELNS1_3repE0EEENS1_30default_config_static_selectorELNS0_4arch9wavefront6targetE0EEEvSY_
; %bb.0:
	.section	.rodata,"a",@progbits
	.p2align	6, 0x0
	.amdhsa_kernel _ZN7rocprim17ROCPRIM_400000_NS6detail17trampoline_kernelINS0_13select_configILj256ELj13ELNS0_17block_load_methodE3ELS4_3ELS4_3ELNS0_20block_scan_algorithmE0ELj4294967295EEENS1_25partition_config_selectorILNS1_17partition_subalgoE3EjNS0_10empty_typeEbEEZZNS1_14partition_implILS8_3ELb0ES6_jNS0_17counting_iteratorIjlEEPS9_SE_NS0_5tupleIJPjSE_EEENSF_IJSE_SE_EEES9_SG_JZNS1_25segmented_radix_sort_implINS0_14default_configELb0EPKiPiPKlPlN2at6native12_GLOBAL__N_18offset_tEEE10hipError_tPvRmT1_PNSt15iterator_traitsISY_E10value_typeET2_T3_PNSZ_IS14_E10value_typeET4_jRbjT5_S1A_jjP12ihipStream_tbEUljE_EEESV_SW_SX_S14_S18_S1A_T6_T7_T9_mT8_S1C_bDpT10_ENKUlT_T0_E_clISt17integral_constantIbLb0EES1O_IbLb1EEEEDaS1K_S1L_EUlS1K_E_NS1_11comp_targetILNS1_3genE2ELNS1_11target_archE906ELNS1_3gpuE6ELNS1_3repE0EEENS1_30default_config_static_selectorELNS0_4arch9wavefront6targetE0EEEvSY_
		.amdhsa_group_segment_fixed_size 0
		.amdhsa_private_segment_fixed_size 0
		.amdhsa_kernarg_size 152
		.amdhsa_user_sgpr_count 6
		.amdhsa_user_sgpr_private_segment_buffer 1
		.amdhsa_user_sgpr_dispatch_ptr 0
		.amdhsa_user_sgpr_queue_ptr 0
		.amdhsa_user_sgpr_kernarg_segment_ptr 1
		.amdhsa_user_sgpr_dispatch_id 0
		.amdhsa_user_sgpr_flat_scratch_init 0
		.amdhsa_user_sgpr_private_segment_size 0
		.amdhsa_wavefront_size32 1
		.amdhsa_uses_dynamic_stack 0
		.amdhsa_system_sgpr_private_segment_wavefront_offset 0
		.amdhsa_system_sgpr_workgroup_id_x 1
		.amdhsa_system_sgpr_workgroup_id_y 0
		.amdhsa_system_sgpr_workgroup_id_z 0
		.amdhsa_system_sgpr_workgroup_info 0
		.amdhsa_system_vgpr_workitem_id 0
		.amdhsa_next_free_vgpr 1
		.amdhsa_next_free_sgpr 1
		.amdhsa_reserve_vcc 0
		.amdhsa_reserve_flat_scratch 0
		.amdhsa_float_round_mode_32 0
		.amdhsa_float_round_mode_16_64 0
		.amdhsa_float_denorm_mode_32 3
		.amdhsa_float_denorm_mode_16_64 3
		.amdhsa_dx10_clamp 1
		.amdhsa_ieee_mode 1
		.amdhsa_fp16_overflow 0
		.amdhsa_workgroup_processor_mode 1
		.amdhsa_memory_ordered 1
		.amdhsa_forward_progress 1
		.amdhsa_shared_vgpr_count 0
		.amdhsa_exception_fp_ieee_invalid_op 0
		.amdhsa_exception_fp_denorm_src 0
		.amdhsa_exception_fp_ieee_div_zero 0
		.amdhsa_exception_fp_ieee_overflow 0
		.amdhsa_exception_fp_ieee_underflow 0
		.amdhsa_exception_fp_ieee_inexact 0
		.amdhsa_exception_int_div_zero 0
	.end_amdhsa_kernel
	.section	.text._ZN7rocprim17ROCPRIM_400000_NS6detail17trampoline_kernelINS0_13select_configILj256ELj13ELNS0_17block_load_methodE3ELS4_3ELS4_3ELNS0_20block_scan_algorithmE0ELj4294967295EEENS1_25partition_config_selectorILNS1_17partition_subalgoE3EjNS0_10empty_typeEbEEZZNS1_14partition_implILS8_3ELb0ES6_jNS0_17counting_iteratorIjlEEPS9_SE_NS0_5tupleIJPjSE_EEENSF_IJSE_SE_EEES9_SG_JZNS1_25segmented_radix_sort_implINS0_14default_configELb0EPKiPiPKlPlN2at6native12_GLOBAL__N_18offset_tEEE10hipError_tPvRmT1_PNSt15iterator_traitsISY_E10value_typeET2_T3_PNSZ_IS14_E10value_typeET4_jRbjT5_S1A_jjP12ihipStream_tbEUljE_EEESV_SW_SX_S14_S18_S1A_T6_T7_T9_mT8_S1C_bDpT10_ENKUlT_T0_E_clISt17integral_constantIbLb0EES1O_IbLb1EEEEDaS1K_S1L_EUlS1K_E_NS1_11comp_targetILNS1_3genE2ELNS1_11target_archE906ELNS1_3gpuE6ELNS1_3repE0EEENS1_30default_config_static_selectorELNS0_4arch9wavefront6targetE0EEEvSY_,"axG",@progbits,_ZN7rocprim17ROCPRIM_400000_NS6detail17trampoline_kernelINS0_13select_configILj256ELj13ELNS0_17block_load_methodE3ELS4_3ELS4_3ELNS0_20block_scan_algorithmE0ELj4294967295EEENS1_25partition_config_selectorILNS1_17partition_subalgoE3EjNS0_10empty_typeEbEEZZNS1_14partition_implILS8_3ELb0ES6_jNS0_17counting_iteratorIjlEEPS9_SE_NS0_5tupleIJPjSE_EEENSF_IJSE_SE_EEES9_SG_JZNS1_25segmented_radix_sort_implINS0_14default_configELb0EPKiPiPKlPlN2at6native12_GLOBAL__N_18offset_tEEE10hipError_tPvRmT1_PNSt15iterator_traitsISY_E10value_typeET2_T3_PNSZ_IS14_E10value_typeET4_jRbjT5_S1A_jjP12ihipStream_tbEUljE_EEESV_SW_SX_S14_S18_S1A_T6_T7_T9_mT8_S1C_bDpT10_ENKUlT_T0_E_clISt17integral_constantIbLb0EES1O_IbLb1EEEEDaS1K_S1L_EUlS1K_E_NS1_11comp_targetILNS1_3genE2ELNS1_11target_archE906ELNS1_3gpuE6ELNS1_3repE0EEENS1_30default_config_static_selectorELNS0_4arch9wavefront6targetE0EEEvSY_,comdat
.Lfunc_end591:
	.size	_ZN7rocprim17ROCPRIM_400000_NS6detail17trampoline_kernelINS0_13select_configILj256ELj13ELNS0_17block_load_methodE3ELS4_3ELS4_3ELNS0_20block_scan_algorithmE0ELj4294967295EEENS1_25partition_config_selectorILNS1_17partition_subalgoE3EjNS0_10empty_typeEbEEZZNS1_14partition_implILS8_3ELb0ES6_jNS0_17counting_iteratorIjlEEPS9_SE_NS0_5tupleIJPjSE_EEENSF_IJSE_SE_EEES9_SG_JZNS1_25segmented_radix_sort_implINS0_14default_configELb0EPKiPiPKlPlN2at6native12_GLOBAL__N_18offset_tEEE10hipError_tPvRmT1_PNSt15iterator_traitsISY_E10value_typeET2_T3_PNSZ_IS14_E10value_typeET4_jRbjT5_S1A_jjP12ihipStream_tbEUljE_EEESV_SW_SX_S14_S18_S1A_T6_T7_T9_mT8_S1C_bDpT10_ENKUlT_T0_E_clISt17integral_constantIbLb0EES1O_IbLb1EEEEDaS1K_S1L_EUlS1K_E_NS1_11comp_targetILNS1_3genE2ELNS1_11target_archE906ELNS1_3gpuE6ELNS1_3repE0EEENS1_30default_config_static_selectorELNS0_4arch9wavefront6targetE0EEEvSY_, .Lfunc_end591-_ZN7rocprim17ROCPRIM_400000_NS6detail17trampoline_kernelINS0_13select_configILj256ELj13ELNS0_17block_load_methodE3ELS4_3ELS4_3ELNS0_20block_scan_algorithmE0ELj4294967295EEENS1_25partition_config_selectorILNS1_17partition_subalgoE3EjNS0_10empty_typeEbEEZZNS1_14partition_implILS8_3ELb0ES6_jNS0_17counting_iteratorIjlEEPS9_SE_NS0_5tupleIJPjSE_EEENSF_IJSE_SE_EEES9_SG_JZNS1_25segmented_radix_sort_implINS0_14default_configELb0EPKiPiPKlPlN2at6native12_GLOBAL__N_18offset_tEEE10hipError_tPvRmT1_PNSt15iterator_traitsISY_E10value_typeET2_T3_PNSZ_IS14_E10value_typeET4_jRbjT5_S1A_jjP12ihipStream_tbEUljE_EEESV_SW_SX_S14_S18_S1A_T6_T7_T9_mT8_S1C_bDpT10_ENKUlT_T0_E_clISt17integral_constantIbLb0EES1O_IbLb1EEEEDaS1K_S1L_EUlS1K_E_NS1_11comp_targetILNS1_3genE2ELNS1_11target_archE906ELNS1_3gpuE6ELNS1_3repE0EEENS1_30default_config_static_selectorELNS0_4arch9wavefront6targetE0EEEvSY_
                                        ; -- End function
	.set _ZN7rocprim17ROCPRIM_400000_NS6detail17trampoline_kernelINS0_13select_configILj256ELj13ELNS0_17block_load_methodE3ELS4_3ELS4_3ELNS0_20block_scan_algorithmE0ELj4294967295EEENS1_25partition_config_selectorILNS1_17partition_subalgoE3EjNS0_10empty_typeEbEEZZNS1_14partition_implILS8_3ELb0ES6_jNS0_17counting_iteratorIjlEEPS9_SE_NS0_5tupleIJPjSE_EEENSF_IJSE_SE_EEES9_SG_JZNS1_25segmented_radix_sort_implINS0_14default_configELb0EPKiPiPKlPlN2at6native12_GLOBAL__N_18offset_tEEE10hipError_tPvRmT1_PNSt15iterator_traitsISY_E10value_typeET2_T3_PNSZ_IS14_E10value_typeET4_jRbjT5_S1A_jjP12ihipStream_tbEUljE_EEESV_SW_SX_S14_S18_S1A_T6_T7_T9_mT8_S1C_bDpT10_ENKUlT_T0_E_clISt17integral_constantIbLb0EES1O_IbLb1EEEEDaS1K_S1L_EUlS1K_E_NS1_11comp_targetILNS1_3genE2ELNS1_11target_archE906ELNS1_3gpuE6ELNS1_3repE0EEENS1_30default_config_static_selectorELNS0_4arch9wavefront6targetE0EEEvSY_.num_vgpr, 0
	.set _ZN7rocprim17ROCPRIM_400000_NS6detail17trampoline_kernelINS0_13select_configILj256ELj13ELNS0_17block_load_methodE3ELS4_3ELS4_3ELNS0_20block_scan_algorithmE0ELj4294967295EEENS1_25partition_config_selectorILNS1_17partition_subalgoE3EjNS0_10empty_typeEbEEZZNS1_14partition_implILS8_3ELb0ES6_jNS0_17counting_iteratorIjlEEPS9_SE_NS0_5tupleIJPjSE_EEENSF_IJSE_SE_EEES9_SG_JZNS1_25segmented_radix_sort_implINS0_14default_configELb0EPKiPiPKlPlN2at6native12_GLOBAL__N_18offset_tEEE10hipError_tPvRmT1_PNSt15iterator_traitsISY_E10value_typeET2_T3_PNSZ_IS14_E10value_typeET4_jRbjT5_S1A_jjP12ihipStream_tbEUljE_EEESV_SW_SX_S14_S18_S1A_T6_T7_T9_mT8_S1C_bDpT10_ENKUlT_T0_E_clISt17integral_constantIbLb0EES1O_IbLb1EEEEDaS1K_S1L_EUlS1K_E_NS1_11comp_targetILNS1_3genE2ELNS1_11target_archE906ELNS1_3gpuE6ELNS1_3repE0EEENS1_30default_config_static_selectorELNS0_4arch9wavefront6targetE0EEEvSY_.num_agpr, 0
	.set _ZN7rocprim17ROCPRIM_400000_NS6detail17trampoline_kernelINS0_13select_configILj256ELj13ELNS0_17block_load_methodE3ELS4_3ELS4_3ELNS0_20block_scan_algorithmE0ELj4294967295EEENS1_25partition_config_selectorILNS1_17partition_subalgoE3EjNS0_10empty_typeEbEEZZNS1_14partition_implILS8_3ELb0ES6_jNS0_17counting_iteratorIjlEEPS9_SE_NS0_5tupleIJPjSE_EEENSF_IJSE_SE_EEES9_SG_JZNS1_25segmented_radix_sort_implINS0_14default_configELb0EPKiPiPKlPlN2at6native12_GLOBAL__N_18offset_tEEE10hipError_tPvRmT1_PNSt15iterator_traitsISY_E10value_typeET2_T3_PNSZ_IS14_E10value_typeET4_jRbjT5_S1A_jjP12ihipStream_tbEUljE_EEESV_SW_SX_S14_S18_S1A_T6_T7_T9_mT8_S1C_bDpT10_ENKUlT_T0_E_clISt17integral_constantIbLb0EES1O_IbLb1EEEEDaS1K_S1L_EUlS1K_E_NS1_11comp_targetILNS1_3genE2ELNS1_11target_archE906ELNS1_3gpuE6ELNS1_3repE0EEENS1_30default_config_static_selectorELNS0_4arch9wavefront6targetE0EEEvSY_.numbered_sgpr, 0
	.set _ZN7rocprim17ROCPRIM_400000_NS6detail17trampoline_kernelINS0_13select_configILj256ELj13ELNS0_17block_load_methodE3ELS4_3ELS4_3ELNS0_20block_scan_algorithmE0ELj4294967295EEENS1_25partition_config_selectorILNS1_17partition_subalgoE3EjNS0_10empty_typeEbEEZZNS1_14partition_implILS8_3ELb0ES6_jNS0_17counting_iteratorIjlEEPS9_SE_NS0_5tupleIJPjSE_EEENSF_IJSE_SE_EEES9_SG_JZNS1_25segmented_radix_sort_implINS0_14default_configELb0EPKiPiPKlPlN2at6native12_GLOBAL__N_18offset_tEEE10hipError_tPvRmT1_PNSt15iterator_traitsISY_E10value_typeET2_T3_PNSZ_IS14_E10value_typeET4_jRbjT5_S1A_jjP12ihipStream_tbEUljE_EEESV_SW_SX_S14_S18_S1A_T6_T7_T9_mT8_S1C_bDpT10_ENKUlT_T0_E_clISt17integral_constantIbLb0EES1O_IbLb1EEEEDaS1K_S1L_EUlS1K_E_NS1_11comp_targetILNS1_3genE2ELNS1_11target_archE906ELNS1_3gpuE6ELNS1_3repE0EEENS1_30default_config_static_selectorELNS0_4arch9wavefront6targetE0EEEvSY_.num_named_barrier, 0
	.set _ZN7rocprim17ROCPRIM_400000_NS6detail17trampoline_kernelINS0_13select_configILj256ELj13ELNS0_17block_load_methodE3ELS4_3ELS4_3ELNS0_20block_scan_algorithmE0ELj4294967295EEENS1_25partition_config_selectorILNS1_17partition_subalgoE3EjNS0_10empty_typeEbEEZZNS1_14partition_implILS8_3ELb0ES6_jNS0_17counting_iteratorIjlEEPS9_SE_NS0_5tupleIJPjSE_EEENSF_IJSE_SE_EEES9_SG_JZNS1_25segmented_radix_sort_implINS0_14default_configELb0EPKiPiPKlPlN2at6native12_GLOBAL__N_18offset_tEEE10hipError_tPvRmT1_PNSt15iterator_traitsISY_E10value_typeET2_T3_PNSZ_IS14_E10value_typeET4_jRbjT5_S1A_jjP12ihipStream_tbEUljE_EEESV_SW_SX_S14_S18_S1A_T6_T7_T9_mT8_S1C_bDpT10_ENKUlT_T0_E_clISt17integral_constantIbLb0EES1O_IbLb1EEEEDaS1K_S1L_EUlS1K_E_NS1_11comp_targetILNS1_3genE2ELNS1_11target_archE906ELNS1_3gpuE6ELNS1_3repE0EEENS1_30default_config_static_selectorELNS0_4arch9wavefront6targetE0EEEvSY_.private_seg_size, 0
	.set _ZN7rocprim17ROCPRIM_400000_NS6detail17trampoline_kernelINS0_13select_configILj256ELj13ELNS0_17block_load_methodE3ELS4_3ELS4_3ELNS0_20block_scan_algorithmE0ELj4294967295EEENS1_25partition_config_selectorILNS1_17partition_subalgoE3EjNS0_10empty_typeEbEEZZNS1_14partition_implILS8_3ELb0ES6_jNS0_17counting_iteratorIjlEEPS9_SE_NS0_5tupleIJPjSE_EEENSF_IJSE_SE_EEES9_SG_JZNS1_25segmented_radix_sort_implINS0_14default_configELb0EPKiPiPKlPlN2at6native12_GLOBAL__N_18offset_tEEE10hipError_tPvRmT1_PNSt15iterator_traitsISY_E10value_typeET2_T3_PNSZ_IS14_E10value_typeET4_jRbjT5_S1A_jjP12ihipStream_tbEUljE_EEESV_SW_SX_S14_S18_S1A_T6_T7_T9_mT8_S1C_bDpT10_ENKUlT_T0_E_clISt17integral_constantIbLb0EES1O_IbLb1EEEEDaS1K_S1L_EUlS1K_E_NS1_11comp_targetILNS1_3genE2ELNS1_11target_archE906ELNS1_3gpuE6ELNS1_3repE0EEENS1_30default_config_static_selectorELNS0_4arch9wavefront6targetE0EEEvSY_.uses_vcc, 0
	.set _ZN7rocprim17ROCPRIM_400000_NS6detail17trampoline_kernelINS0_13select_configILj256ELj13ELNS0_17block_load_methodE3ELS4_3ELS4_3ELNS0_20block_scan_algorithmE0ELj4294967295EEENS1_25partition_config_selectorILNS1_17partition_subalgoE3EjNS0_10empty_typeEbEEZZNS1_14partition_implILS8_3ELb0ES6_jNS0_17counting_iteratorIjlEEPS9_SE_NS0_5tupleIJPjSE_EEENSF_IJSE_SE_EEES9_SG_JZNS1_25segmented_radix_sort_implINS0_14default_configELb0EPKiPiPKlPlN2at6native12_GLOBAL__N_18offset_tEEE10hipError_tPvRmT1_PNSt15iterator_traitsISY_E10value_typeET2_T3_PNSZ_IS14_E10value_typeET4_jRbjT5_S1A_jjP12ihipStream_tbEUljE_EEESV_SW_SX_S14_S18_S1A_T6_T7_T9_mT8_S1C_bDpT10_ENKUlT_T0_E_clISt17integral_constantIbLb0EES1O_IbLb1EEEEDaS1K_S1L_EUlS1K_E_NS1_11comp_targetILNS1_3genE2ELNS1_11target_archE906ELNS1_3gpuE6ELNS1_3repE0EEENS1_30default_config_static_selectorELNS0_4arch9wavefront6targetE0EEEvSY_.uses_flat_scratch, 0
	.set _ZN7rocprim17ROCPRIM_400000_NS6detail17trampoline_kernelINS0_13select_configILj256ELj13ELNS0_17block_load_methodE3ELS4_3ELS4_3ELNS0_20block_scan_algorithmE0ELj4294967295EEENS1_25partition_config_selectorILNS1_17partition_subalgoE3EjNS0_10empty_typeEbEEZZNS1_14partition_implILS8_3ELb0ES6_jNS0_17counting_iteratorIjlEEPS9_SE_NS0_5tupleIJPjSE_EEENSF_IJSE_SE_EEES9_SG_JZNS1_25segmented_radix_sort_implINS0_14default_configELb0EPKiPiPKlPlN2at6native12_GLOBAL__N_18offset_tEEE10hipError_tPvRmT1_PNSt15iterator_traitsISY_E10value_typeET2_T3_PNSZ_IS14_E10value_typeET4_jRbjT5_S1A_jjP12ihipStream_tbEUljE_EEESV_SW_SX_S14_S18_S1A_T6_T7_T9_mT8_S1C_bDpT10_ENKUlT_T0_E_clISt17integral_constantIbLb0EES1O_IbLb1EEEEDaS1K_S1L_EUlS1K_E_NS1_11comp_targetILNS1_3genE2ELNS1_11target_archE906ELNS1_3gpuE6ELNS1_3repE0EEENS1_30default_config_static_selectorELNS0_4arch9wavefront6targetE0EEEvSY_.has_dyn_sized_stack, 0
	.set _ZN7rocprim17ROCPRIM_400000_NS6detail17trampoline_kernelINS0_13select_configILj256ELj13ELNS0_17block_load_methodE3ELS4_3ELS4_3ELNS0_20block_scan_algorithmE0ELj4294967295EEENS1_25partition_config_selectorILNS1_17partition_subalgoE3EjNS0_10empty_typeEbEEZZNS1_14partition_implILS8_3ELb0ES6_jNS0_17counting_iteratorIjlEEPS9_SE_NS0_5tupleIJPjSE_EEENSF_IJSE_SE_EEES9_SG_JZNS1_25segmented_radix_sort_implINS0_14default_configELb0EPKiPiPKlPlN2at6native12_GLOBAL__N_18offset_tEEE10hipError_tPvRmT1_PNSt15iterator_traitsISY_E10value_typeET2_T3_PNSZ_IS14_E10value_typeET4_jRbjT5_S1A_jjP12ihipStream_tbEUljE_EEESV_SW_SX_S14_S18_S1A_T6_T7_T9_mT8_S1C_bDpT10_ENKUlT_T0_E_clISt17integral_constantIbLb0EES1O_IbLb1EEEEDaS1K_S1L_EUlS1K_E_NS1_11comp_targetILNS1_3genE2ELNS1_11target_archE906ELNS1_3gpuE6ELNS1_3repE0EEENS1_30default_config_static_selectorELNS0_4arch9wavefront6targetE0EEEvSY_.has_recursion, 0
	.set _ZN7rocprim17ROCPRIM_400000_NS6detail17trampoline_kernelINS0_13select_configILj256ELj13ELNS0_17block_load_methodE3ELS4_3ELS4_3ELNS0_20block_scan_algorithmE0ELj4294967295EEENS1_25partition_config_selectorILNS1_17partition_subalgoE3EjNS0_10empty_typeEbEEZZNS1_14partition_implILS8_3ELb0ES6_jNS0_17counting_iteratorIjlEEPS9_SE_NS0_5tupleIJPjSE_EEENSF_IJSE_SE_EEES9_SG_JZNS1_25segmented_radix_sort_implINS0_14default_configELb0EPKiPiPKlPlN2at6native12_GLOBAL__N_18offset_tEEE10hipError_tPvRmT1_PNSt15iterator_traitsISY_E10value_typeET2_T3_PNSZ_IS14_E10value_typeET4_jRbjT5_S1A_jjP12ihipStream_tbEUljE_EEESV_SW_SX_S14_S18_S1A_T6_T7_T9_mT8_S1C_bDpT10_ENKUlT_T0_E_clISt17integral_constantIbLb0EES1O_IbLb1EEEEDaS1K_S1L_EUlS1K_E_NS1_11comp_targetILNS1_3genE2ELNS1_11target_archE906ELNS1_3gpuE6ELNS1_3repE0EEENS1_30default_config_static_selectorELNS0_4arch9wavefront6targetE0EEEvSY_.has_indirect_call, 0
	.section	.AMDGPU.csdata,"",@progbits
; Kernel info:
; codeLenInByte = 0
; TotalNumSgprs: 0
; NumVgprs: 0
; ScratchSize: 0
; MemoryBound: 0
; FloatMode: 240
; IeeeMode: 1
; LDSByteSize: 0 bytes/workgroup (compile time only)
; SGPRBlocks: 0
; VGPRBlocks: 0
; NumSGPRsForWavesPerEU: 1
; NumVGPRsForWavesPerEU: 1
; Occupancy: 16
; WaveLimiterHint : 0
; COMPUTE_PGM_RSRC2:SCRATCH_EN: 0
; COMPUTE_PGM_RSRC2:USER_SGPR: 6
; COMPUTE_PGM_RSRC2:TRAP_HANDLER: 0
; COMPUTE_PGM_RSRC2:TGID_X_EN: 1
; COMPUTE_PGM_RSRC2:TGID_Y_EN: 0
; COMPUTE_PGM_RSRC2:TGID_Z_EN: 0
; COMPUTE_PGM_RSRC2:TIDIG_COMP_CNT: 0
	.section	.text._ZN7rocprim17ROCPRIM_400000_NS6detail17trampoline_kernelINS0_13select_configILj256ELj13ELNS0_17block_load_methodE3ELS4_3ELS4_3ELNS0_20block_scan_algorithmE0ELj4294967295EEENS1_25partition_config_selectorILNS1_17partition_subalgoE3EjNS0_10empty_typeEbEEZZNS1_14partition_implILS8_3ELb0ES6_jNS0_17counting_iteratorIjlEEPS9_SE_NS0_5tupleIJPjSE_EEENSF_IJSE_SE_EEES9_SG_JZNS1_25segmented_radix_sort_implINS0_14default_configELb0EPKiPiPKlPlN2at6native12_GLOBAL__N_18offset_tEEE10hipError_tPvRmT1_PNSt15iterator_traitsISY_E10value_typeET2_T3_PNSZ_IS14_E10value_typeET4_jRbjT5_S1A_jjP12ihipStream_tbEUljE_EEESV_SW_SX_S14_S18_S1A_T6_T7_T9_mT8_S1C_bDpT10_ENKUlT_T0_E_clISt17integral_constantIbLb0EES1O_IbLb1EEEEDaS1K_S1L_EUlS1K_E_NS1_11comp_targetILNS1_3genE10ELNS1_11target_archE1200ELNS1_3gpuE4ELNS1_3repE0EEENS1_30default_config_static_selectorELNS0_4arch9wavefront6targetE0EEEvSY_,"axG",@progbits,_ZN7rocprim17ROCPRIM_400000_NS6detail17trampoline_kernelINS0_13select_configILj256ELj13ELNS0_17block_load_methodE3ELS4_3ELS4_3ELNS0_20block_scan_algorithmE0ELj4294967295EEENS1_25partition_config_selectorILNS1_17partition_subalgoE3EjNS0_10empty_typeEbEEZZNS1_14partition_implILS8_3ELb0ES6_jNS0_17counting_iteratorIjlEEPS9_SE_NS0_5tupleIJPjSE_EEENSF_IJSE_SE_EEES9_SG_JZNS1_25segmented_radix_sort_implINS0_14default_configELb0EPKiPiPKlPlN2at6native12_GLOBAL__N_18offset_tEEE10hipError_tPvRmT1_PNSt15iterator_traitsISY_E10value_typeET2_T3_PNSZ_IS14_E10value_typeET4_jRbjT5_S1A_jjP12ihipStream_tbEUljE_EEESV_SW_SX_S14_S18_S1A_T6_T7_T9_mT8_S1C_bDpT10_ENKUlT_T0_E_clISt17integral_constantIbLb0EES1O_IbLb1EEEEDaS1K_S1L_EUlS1K_E_NS1_11comp_targetILNS1_3genE10ELNS1_11target_archE1200ELNS1_3gpuE4ELNS1_3repE0EEENS1_30default_config_static_selectorELNS0_4arch9wavefront6targetE0EEEvSY_,comdat
	.globl	_ZN7rocprim17ROCPRIM_400000_NS6detail17trampoline_kernelINS0_13select_configILj256ELj13ELNS0_17block_load_methodE3ELS4_3ELS4_3ELNS0_20block_scan_algorithmE0ELj4294967295EEENS1_25partition_config_selectorILNS1_17partition_subalgoE3EjNS0_10empty_typeEbEEZZNS1_14partition_implILS8_3ELb0ES6_jNS0_17counting_iteratorIjlEEPS9_SE_NS0_5tupleIJPjSE_EEENSF_IJSE_SE_EEES9_SG_JZNS1_25segmented_radix_sort_implINS0_14default_configELb0EPKiPiPKlPlN2at6native12_GLOBAL__N_18offset_tEEE10hipError_tPvRmT1_PNSt15iterator_traitsISY_E10value_typeET2_T3_PNSZ_IS14_E10value_typeET4_jRbjT5_S1A_jjP12ihipStream_tbEUljE_EEESV_SW_SX_S14_S18_S1A_T6_T7_T9_mT8_S1C_bDpT10_ENKUlT_T0_E_clISt17integral_constantIbLb0EES1O_IbLb1EEEEDaS1K_S1L_EUlS1K_E_NS1_11comp_targetILNS1_3genE10ELNS1_11target_archE1200ELNS1_3gpuE4ELNS1_3repE0EEENS1_30default_config_static_selectorELNS0_4arch9wavefront6targetE0EEEvSY_ ; -- Begin function _ZN7rocprim17ROCPRIM_400000_NS6detail17trampoline_kernelINS0_13select_configILj256ELj13ELNS0_17block_load_methodE3ELS4_3ELS4_3ELNS0_20block_scan_algorithmE0ELj4294967295EEENS1_25partition_config_selectorILNS1_17partition_subalgoE3EjNS0_10empty_typeEbEEZZNS1_14partition_implILS8_3ELb0ES6_jNS0_17counting_iteratorIjlEEPS9_SE_NS0_5tupleIJPjSE_EEENSF_IJSE_SE_EEES9_SG_JZNS1_25segmented_radix_sort_implINS0_14default_configELb0EPKiPiPKlPlN2at6native12_GLOBAL__N_18offset_tEEE10hipError_tPvRmT1_PNSt15iterator_traitsISY_E10value_typeET2_T3_PNSZ_IS14_E10value_typeET4_jRbjT5_S1A_jjP12ihipStream_tbEUljE_EEESV_SW_SX_S14_S18_S1A_T6_T7_T9_mT8_S1C_bDpT10_ENKUlT_T0_E_clISt17integral_constantIbLb0EES1O_IbLb1EEEEDaS1K_S1L_EUlS1K_E_NS1_11comp_targetILNS1_3genE10ELNS1_11target_archE1200ELNS1_3gpuE4ELNS1_3repE0EEENS1_30default_config_static_selectorELNS0_4arch9wavefront6targetE0EEEvSY_
	.p2align	8
	.type	_ZN7rocprim17ROCPRIM_400000_NS6detail17trampoline_kernelINS0_13select_configILj256ELj13ELNS0_17block_load_methodE3ELS4_3ELS4_3ELNS0_20block_scan_algorithmE0ELj4294967295EEENS1_25partition_config_selectorILNS1_17partition_subalgoE3EjNS0_10empty_typeEbEEZZNS1_14partition_implILS8_3ELb0ES6_jNS0_17counting_iteratorIjlEEPS9_SE_NS0_5tupleIJPjSE_EEENSF_IJSE_SE_EEES9_SG_JZNS1_25segmented_radix_sort_implINS0_14default_configELb0EPKiPiPKlPlN2at6native12_GLOBAL__N_18offset_tEEE10hipError_tPvRmT1_PNSt15iterator_traitsISY_E10value_typeET2_T3_PNSZ_IS14_E10value_typeET4_jRbjT5_S1A_jjP12ihipStream_tbEUljE_EEESV_SW_SX_S14_S18_S1A_T6_T7_T9_mT8_S1C_bDpT10_ENKUlT_T0_E_clISt17integral_constantIbLb0EES1O_IbLb1EEEEDaS1K_S1L_EUlS1K_E_NS1_11comp_targetILNS1_3genE10ELNS1_11target_archE1200ELNS1_3gpuE4ELNS1_3repE0EEENS1_30default_config_static_selectorELNS0_4arch9wavefront6targetE0EEEvSY_,@function
_ZN7rocprim17ROCPRIM_400000_NS6detail17trampoline_kernelINS0_13select_configILj256ELj13ELNS0_17block_load_methodE3ELS4_3ELS4_3ELNS0_20block_scan_algorithmE0ELj4294967295EEENS1_25partition_config_selectorILNS1_17partition_subalgoE3EjNS0_10empty_typeEbEEZZNS1_14partition_implILS8_3ELb0ES6_jNS0_17counting_iteratorIjlEEPS9_SE_NS0_5tupleIJPjSE_EEENSF_IJSE_SE_EEES9_SG_JZNS1_25segmented_radix_sort_implINS0_14default_configELb0EPKiPiPKlPlN2at6native12_GLOBAL__N_18offset_tEEE10hipError_tPvRmT1_PNSt15iterator_traitsISY_E10value_typeET2_T3_PNSZ_IS14_E10value_typeET4_jRbjT5_S1A_jjP12ihipStream_tbEUljE_EEESV_SW_SX_S14_S18_S1A_T6_T7_T9_mT8_S1C_bDpT10_ENKUlT_T0_E_clISt17integral_constantIbLb0EES1O_IbLb1EEEEDaS1K_S1L_EUlS1K_E_NS1_11comp_targetILNS1_3genE10ELNS1_11target_archE1200ELNS1_3gpuE4ELNS1_3repE0EEENS1_30default_config_static_selectorELNS0_4arch9wavefront6targetE0EEEvSY_: ; @_ZN7rocprim17ROCPRIM_400000_NS6detail17trampoline_kernelINS0_13select_configILj256ELj13ELNS0_17block_load_methodE3ELS4_3ELS4_3ELNS0_20block_scan_algorithmE0ELj4294967295EEENS1_25partition_config_selectorILNS1_17partition_subalgoE3EjNS0_10empty_typeEbEEZZNS1_14partition_implILS8_3ELb0ES6_jNS0_17counting_iteratorIjlEEPS9_SE_NS0_5tupleIJPjSE_EEENSF_IJSE_SE_EEES9_SG_JZNS1_25segmented_radix_sort_implINS0_14default_configELb0EPKiPiPKlPlN2at6native12_GLOBAL__N_18offset_tEEE10hipError_tPvRmT1_PNSt15iterator_traitsISY_E10value_typeET2_T3_PNSZ_IS14_E10value_typeET4_jRbjT5_S1A_jjP12ihipStream_tbEUljE_EEESV_SW_SX_S14_S18_S1A_T6_T7_T9_mT8_S1C_bDpT10_ENKUlT_T0_E_clISt17integral_constantIbLb0EES1O_IbLb1EEEEDaS1K_S1L_EUlS1K_E_NS1_11comp_targetILNS1_3genE10ELNS1_11target_archE1200ELNS1_3gpuE4ELNS1_3repE0EEENS1_30default_config_static_selectorELNS0_4arch9wavefront6targetE0EEEvSY_
; %bb.0:
	.section	.rodata,"a",@progbits
	.p2align	6, 0x0
	.amdhsa_kernel _ZN7rocprim17ROCPRIM_400000_NS6detail17trampoline_kernelINS0_13select_configILj256ELj13ELNS0_17block_load_methodE3ELS4_3ELS4_3ELNS0_20block_scan_algorithmE0ELj4294967295EEENS1_25partition_config_selectorILNS1_17partition_subalgoE3EjNS0_10empty_typeEbEEZZNS1_14partition_implILS8_3ELb0ES6_jNS0_17counting_iteratorIjlEEPS9_SE_NS0_5tupleIJPjSE_EEENSF_IJSE_SE_EEES9_SG_JZNS1_25segmented_radix_sort_implINS0_14default_configELb0EPKiPiPKlPlN2at6native12_GLOBAL__N_18offset_tEEE10hipError_tPvRmT1_PNSt15iterator_traitsISY_E10value_typeET2_T3_PNSZ_IS14_E10value_typeET4_jRbjT5_S1A_jjP12ihipStream_tbEUljE_EEESV_SW_SX_S14_S18_S1A_T6_T7_T9_mT8_S1C_bDpT10_ENKUlT_T0_E_clISt17integral_constantIbLb0EES1O_IbLb1EEEEDaS1K_S1L_EUlS1K_E_NS1_11comp_targetILNS1_3genE10ELNS1_11target_archE1200ELNS1_3gpuE4ELNS1_3repE0EEENS1_30default_config_static_selectorELNS0_4arch9wavefront6targetE0EEEvSY_
		.amdhsa_group_segment_fixed_size 0
		.amdhsa_private_segment_fixed_size 0
		.amdhsa_kernarg_size 152
		.amdhsa_user_sgpr_count 6
		.amdhsa_user_sgpr_private_segment_buffer 1
		.amdhsa_user_sgpr_dispatch_ptr 0
		.amdhsa_user_sgpr_queue_ptr 0
		.amdhsa_user_sgpr_kernarg_segment_ptr 1
		.amdhsa_user_sgpr_dispatch_id 0
		.amdhsa_user_sgpr_flat_scratch_init 0
		.amdhsa_user_sgpr_private_segment_size 0
		.amdhsa_wavefront_size32 1
		.amdhsa_uses_dynamic_stack 0
		.amdhsa_system_sgpr_private_segment_wavefront_offset 0
		.amdhsa_system_sgpr_workgroup_id_x 1
		.amdhsa_system_sgpr_workgroup_id_y 0
		.amdhsa_system_sgpr_workgroup_id_z 0
		.amdhsa_system_sgpr_workgroup_info 0
		.amdhsa_system_vgpr_workitem_id 0
		.amdhsa_next_free_vgpr 1
		.amdhsa_next_free_sgpr 1
		.amdhsa_reserve_vcc 0
		.amdhsa_reserve_flat_scratch 0
		.amdhsa_float_round_mode_32 0
		.amdhsa_float_round_mode_16_64 0
		.amdhsa_float_denorm_mode_32 3
		.amdhsa_float_denorm_mode_16_64 3
		.amdhsa_dx10_clamp 1
		.amdhsa_ieee_mode 1
		.amdhsa_fp16_overflow 0
		.amdhsa_workgroup_processor_mode 1
		.amdhsa_memory_ordered 1
		.amdhsa_forward_progress 1
		.amdhsa_shared_vgpr_count 0
		.amdhsa_exception_fp_ieee_invalid_op 0
		.amdhsa_exception_fp_denorm_src 0
		.amdhsa_exception_fp_ieee_div_zero 0
		.amdhsa_exception_fp_ieee_overflow 0
		.amdhsa_exception_fp_ieee_underflow 0
		.amdhsa_exception_fp_ieee_inexact 0
		.amdhsa_exception_int_div_zero 0
	.end_amdhsa_kernel
	.section	.text._ZN7rocprim17ROCPRIM_400000_NS6detail17trampoline_kernelINS0_13select_configILj256ELj13ELNS0_17block_load_methodE3ELS4_3ELS4_3ELNS0_20block_scan_algorithmE0ELj4294967295EEENS1_25partition_config_selectorILNS1_17partition_subalgoE3EjNS0_10empty_typeEbEEZZNS1_14partition_implILS8_3ELb0ES6_jNS0_17counting_iteratorIjlEEPS9_SE_NS0_5tupleIJPjSE_EEENSF_IJSE_SE_EEES9_SG_JZNS1_25segmented_radix_sort_implINS0_14default_configELb0EPKiPiPKlPlN2at6native12_GLOBAL__N_18offset_tEEE10hipError_tPvRmT1_PNSt15iterator_traitsISY_E10value_typeET2_T3_PNSZ_IS14_E10value_typeET4_jRbjT5_S1A_jjP12ihipStream_tbEUljE_EEESV_SW_SX_S14_S18_S1A_T6_T7_T9_mT8_S1C_bDpT10_ENKUlT_T0_E_clISt17integral_constantIbLb0EES1O_IbLb1EEEEDaS1K_S1L_EUlS1K_E_NS1_11comp_targetILNS1_3genE10ELNS1_11target_archE1200ELNS1_3gpuE4ELNS1_3repE0EEENS1_30default_config_static_selectorELNS0_4arch9wavefront6targetE0EEEvSY_,"axG",@progbits,_ZN7rocprim17ROCPRIM_400000_NS6detail17trampoline_kernelINS0_13select_configILj256ELj13ELNS0_17block_load_methodE3ELS4_3ELS4_3ELNS0_20block_scan_algorithmE0ELj4294967295EEENS1_25partition_config_selectorILNS1_17partition_subalgoE3EjNS0_10empty_typeEbEEZZNS1_14partition_implILS8_3ELb0ES6_jNS0_17counting_iteratorIjlEEPS9_SE_NS0_5tupleIJPjSE_EEENSF_IJSE_SE_EEES9_SG_JZNS1_25segmented_radix_sort_implINS0_14default_configELb0EPKiPiPKlPlN2at6native12_GLOBAL__N_18offset_tEEE10hipError_tPvRmT1_PNSt15iterator_traitsISY_E10value_typeET2_T3_PNSZ_IS14_E10value_typeET4_jRbjT5_S1A_jjP12ihipStream_tbEUljE_EEESV_SW_SX_S14_S18_S1A_T6_T7_T9_mT8_S1C_bDpT10_ENKUlT_T0_E_clISt17integral_constantIbLb0EES1O_IbLb1EEEEDaS1K_S1L_EUlS1K_E_NS1_11comp_targetILNS1_3genE10ELNS1_11target_archE1200ELNS1_3gpuE4ELNS1_3repE0EEENS1_30default_config_static_selectorELNS0_4arch9wavefront6targetE0EEEvSY_,comdat
.Lfunc_end592:
	.size	_ZN7rocprim17ROCPRIM_400000_NS6detail17trampoline_kernelINS0_13select_configILj256ELj13ELNS0_17block_load_methodE3ELS4_3ELS4_3ELNS0_20block_scan_algorithmE0ELj4294967295EEENS1_25partition_config_selectorILNS1_17partition_subalgoE3EjNS0_10empty_typeEbEEZZNS1_14partition_implILS8_3ELb0ES6_jNS0_17counting_iteratorIjlEEPS9_SE_NS0_5tupleIJPjSE_EEENSF_IJSE_SE_EEES9_SG_JZNS1_25segmented_radix_sort_implINS0_14default_configELb0EPKiPiPKlPlN2at6native12_GLOBAL__N_18offset_tEEE10hipError_tPvRmT1_PNSt15iterator_traitsISY_E10value_typeET2_T3_PNSZ_IS14_E10value_typeET4_jRbjT5_S1A_jjP12ihipStream_tbEUljE_EEESV_SW_SX_S14_S18_S1A_T6_T7_T9_mT8_S1C_bDpT10_ENKUlT_T0_E_clISt17integral_constantIbLb0EES1O_IbLb1EEEEDaS1K_S1L_EUlS1K_E_NS1_11comp_targetILNS1_3genE10ELNS1_11target_archE1200ELNS1_3gpuE4ELNS1_3repE0EEENS1_30default_config_static_selectorELNS0_4arch9wavefront6targetE0EEEvSY_, .Lfunc_end592-_ZN7rocprim17ROCPRIM_400000_NS6detail17trampoline_kernelINS0_13select_configILj256ELj13ELNS0_17block_load_methodE3ELS4_3ELS4_3ELNS0_20block_scan_algorithmE0ELj4294967295EEENS1_25partition_config_selectorILNS1_17partition_subalgoE3EjNS0_10empty_typeEbEEZZNS1_14partition_implILS8_3ELb0ES6_jNS0_17counting_iteratorIjlEEPS9_SE_NS0_5tupleIJPjSE_EEENSF_IJSE_SE_EEES9_SG_JZNS1_25segmented_radix_sort_implINS0_14default_configELb0EPKiPiPKlPlN2at6native12_GLOBAL__N_18offset_tEEE10hipError_tPvRmT1_PNSt15iterator_traitsISY_E10value_typeET2_T3_PNSZ_IS14_E10value_typeET4_jRbjT5_S1A_jjP12ihipStream_tbEUljE_EEESV_SW_SX_S14_S18_S1A_T6_T7_T9_mT8_S1C_bDpT10_ENKUlT_T0_E_clISt17integral_constantIbLb0EES1O_IbLb1EEEEDaS1K_S1L_EUlS1K_E_NS1_11comp_targetILNS1_3genE10ELNS1_11target_archE1200ELNS1_3gpuE4ELNS1_3repE0EEENS1_30default_config_static_selectorELNS0_4arch9wavefront6targetE0EEEvSY_
                                        ; -- End function
	.set _ZN7rocprim17ROCPRIM_400000_NS6detail17trampoline_kernelINS0_13select_configILj256ELj13ELNS0_17block_load_methodE3ELS4_3ELS4_3ELNS0_20block_scan_algorithmE0ELj4294967295EEENS1_25partition_config_selectorILNS1_17partition_subalgoE3EjNS0_10empty_typeEbEEZZNS1_14partition_implILS8_3ELb0ES6_jNS0_17counting_iteratorIjlEEPS9_SE_NS0_5tupleIJPjSE_EEENSF_IJSE_SE_EEES9_SG_JZNS1_25segmented_radix_sort_implINS0_14default_configELb0EPKiPiPKlPlN2at6native12_GLOBAL__N_18offset_tEEE10hipError_tPvRmT1_PNSt15iterator_traitsISY_E10value_typeET2_T3_PNSZ_IS14_E10value_typeET4_jRbjT5_S1A_jjP12ihipStream_tbEUljE_EEESV_SW_SX_S14_S18_S1A_T6_T7_T9_mT8_S1C_bDpT10_ENKUlT_T0_E_clISt17integral_constantIbLb0EES1O_IbLb1EEEEDaS1K_S1L_EUlS1K_E_NS1_11comp_targetILNS1_3genE10ELNS1_11target_archE1200ELNS1_3gpuE4ELNS1_3repE0EEENS1_30default_config_static_selectorELNS0_4arch9wavefront6targetE0EEEvSY_.num_vgpr, 0
	.set _ZN7rocprim17ROCPRIM_400000_NS6detail17trampoline_kernelINS0_13select_configILj256ELj13ELNS0_17block_load_methodE3ELS4_3ELS4_3ELNS0_20block_scan_algorithmE0ELj4294967295EEENS1_25partition_config_selectorILNS1_17partition_subalgoE3EjNS0_10empty_typeEbEEZZNS1_14partition_implILS8_3ELb0ES6_jNS0_17counting_iteratorIjlEEPS9_SE_NS0_5tupleIJPjSE_EEENSF_IJSE_SE_EEES9_SG_JZNS1_25segmented_radix_sort_implINS0_14default_configELb0EPKiPiPKlPlN2at6native12_GLOBAL__N_18offset_tEEE10hipError_tPvRmT1_PNSt15iterator_traitsISY_E10value_typeET2_T3_PNSZ_IS14_E10value_typeET4_jRbjT5_S1A_jjP12ihipStream_tbEUljE_EEESV_SW_SX_S14_S18_S1A_T6_T7_T9_mT8_S1C_bDpT10_ENKUlT_T0_E_clISt17integral_constantIbLb0EES1O_IbLb1EEEEDaS1K_S1L_EUlS1K_E_NS1_11comp_targetILNS1_3genE10ELNS1_11target_archE1200ELNS1_3gpuE4ELNS1_3repE0EEENS1_30default_config_static_selectorELNS0_4arch9wavefront6targetE0EEEvSY_.num_agpr, 0
	.set _ZN7rocprim17ROCPRIM_400000_NS6detail17trampoline_kernelINS0_13select_configILj256ELj13ELNS0_17block_load_methodE3ELS4_3ELS4_3ELNS0_20block_scan_algorithmE0ELj4294967295EEENS1_25partition_config_selectorILNS1_17partition_subalgoE3EjNS0_10empty_typeEbEEZZNS1_14partition_implILS8_3ELb0ES6_jNS0_17counting_iteratorIjlEEPS9_SE_NS0_5tupleIJPjSE_EEENSF_IJSE_SE_EEES9_SG_JZNS1_25segmented_radix_sort_implINS0_14default_configELb0EPKiPiPKlPlN2at6native12_GLOBAL__N_18offset_tEEE10hipError_tPvRmT1_PNSt15iterator_traitsISY_E10value_typeET2_T3_PNSZ_IS14_E10value_typeET4_jRbjT5_S1A_jjP12ihipStream_tbEUljE_EEESV_SW_SX_S14_S18_S1A_T6_T7_T9_mT8_S1C_bDpT10_ENKUlT_T0_E_clISt17integral_constantIbLb0EES1O_IbLb1EEEEDaS1K_S1L_EUlS1K_E_NS1_11comp_targetILNS1_3genE10ELNS1_11target_archE1200ELNS1_3gpuE4ELNS1_3repE0EEENS1_30default_config_static_selectorELNS0_4arch9wavefront6targetE0EEEvSY_.numbered_sgpr, 0
	.set _ZN7rocprim17ROCPRIM_400000_NS6detail17trampoline_kernelINS0_13select_configILj256ELj13ELNS0_17block_load_methodE3ELS4_3ELS4_3ELNS0_20block_scan_algorithmE0ELj4294967295EEENS1_25partition_config_selectorILNS1_17partition_subalgoE3EjNS0_10empty_typeEbEEZZNS1_14partition_implILS8_3ELb0ES6_jNS0_17counting_iteratorIjlEEPS9_SE_NS0_5tupleIJPjSE_EEENSF_IJSE_SE_EEES9_SG_JZNS1_25segmented_radix_sort_implINS0_14default_configELb0EPKiPiPKlPlN2at6native12_GLOBAL__N_18offset_tEEE10hipError_tPvRmT1_PNSt15iterator_traitsISY_E10value_typeET2_T3_PNSZ_IS14_E10value_typeET4_jRbjT5_S1A_jjP12ihipStream_tbEUljE_EEESV_SW_SX_S14_S18_S1A_T6_T7_T9_mT8_S1C_bDpT10_ENKUlT_T0_E_clISt17integral_constantIbLb0EES1O_IbLb1EEEEDaS1K_S1L_EUlS1K_E_NS1_11comp_targetILNS1_3genE10ELNS1_11target_archE1200ELNS1_3gpuE4ELNS1_3repE0EEENS1_30default_config_static_selectorELNS0_4arch9wavefront6targetE0EEEvSY_.num_named_barrier, 0
	.set _ZN7rocprim17ROCPRIM_400000_NS6detail17trampoline_kernelINS0_13select_configILj256ELj13ELNS0_17block_load_methodE3ELS4_3ELS4_3ELNS0_20block_scan_algorithmE0ELj4294967295EEENS1_25partition_config_selectorILNS1_17partition_subalgoE3EjNS0_10empty_typeEbEEZZNS1_14partition_implILS8_3ELb0ES6_jNS0_17counting_iteratorIjlEEPS9_SE_NS0_5tupleIJPjSE_EEENSF_IJSE_SE_EEES9_SG_JZNS1_25segmented_radix_sort_implINS0_14default_configELb0EPKiPiPKlPlN2at6native12_GLOBAL__N_18offset_tEEE10hipError_tPvRmT1_PNSt15iterator_traitsISY_E10value_typeET2_T3_PNSZ_IS14_E10value_typeET4_jRbjT5_S1A_jjP12ihipStream_tbEUljE_EEESV_SW_SX_S14_S18_S1A_T6_T7_T9_mT8_S1C_bDpT10_ENKUlT_T0_E_clISt17integral_constantIbLb0EES1O_IbLb1EEEEDaS1K_S1L_EUlS1K_E_NS1_11comp_targetILNS1_3genE10ELNS1_11target_archE1200ELNS1_3gpuE4ELNS1_3repE0EEENS1_30default_config_static_selectorELNS0_4arch9wavefront6targetE0EEEvSY_.private_seg_size, 0
	.set _ZN7rocprim17ROCPRIM_400000_NS6detail17trampoline_kernelINS0_13select_configILj256ELj13ELNS0_17block_load_methodE3ELS4_3ELS4_3ELNS0_20block_scan_algorithmE0ELj4294967295EEENS1_25partition_config_selectorILNS1_17partition_subalgoE3EjNS0_10empty_typeEbEEZZNS1_14partition_implILS8_3ELb0ES6_jNS0_17counting_iteratorIjlEEPS9_SE_NS0_5tupleIJPjSE_EEENSF_IJSE_SE_EEES9_SG_JZNS1_25segmented_radix_sort_implINS0_14default_configELb0EPKiPiPKlPlN2at6native12_GLOBAL__N_18offset_tEEE10hipError_tPvRmT1_PNSt15iterator_traitsISY_E10value_typeET2_T3_PNSZ_IS14_E10value_typeET4_jRbjT5_S1A_jjP12ihipStream_tbEUljE_EEESV_SW_SX_S14_S18_S1A_T6_T7_T9_mT8_S1C_bDpT10_ENKUlT_T0_E_clISt17integral_constantIbLb0EES1O_IbLb1EEEEDaS1K_S1L_EUlS1K_E_NS1_11comp_targetILNS1_3genE10ELNS1_11target_archE1200ELNS1_3gpuE4ELNS1_3repE0EEENS1_30default_config_static_selectorELNS0_4arch9wavefront6targetE0EEEvSY_.uses_vcc, 0
	.set _ZN7rocprim17ROCPRIM_400000_NS6detail17trampoline_kernelINS0_13select_configILj256ELj13ELNS0_17block_load_methodE3ELS4_3ELS4_3ELNS0_20block_scan_algorithmE0ELj4294967295EEENS1_25partition_config_selectorILNS1_17partition_subalgoE3EjNS0_10empty_typeEbEEZZNS1_14partition_implILS8_3ELb0ES6_jNS0_17counting_iteratorIjlEEPS9_SE_NS0_5tupleIJPjSE_EEENSF_IJSE_SE_EEES9_SG_JZNS1_25segmented_radix_sort_implINS0_14default_configELb0EPKiPiPKlPlN2at6native12_GLOBAL__N_18offset_tEEE10hipError_tPvRmT1_PNSt15iterator_traitsISY_E10value_typeET2_T3_PNSZ_IS14_E10value_typeET4_jRbjT5_S1A_jjP12ihipStream_tbEUljE_EEESV_SW_SX_S14_S18_S1A_T6_T7_T9_mT8_S1C_bDpT10_ENKUlT_T0_E_clISt17integral_constantIbLb0EES1O_IbLb1EEEEDaS1K_S1L_EUlS1K_E_NS1_11comp_targetILNS1_3genE10ELNS1_11target_archE1200ELNS1_3gpuE4ELNS1_3repE0EEENS1_30default_config_static_selectorELNS0_4arch9wavefront6targetE0EEEvSY_.uses_flat_scratch, 0
	.set _ZN7rocprim17ROCPRIM_400000_NS6detail17trampoline_kernelINS0_13select_configILj256ELj13ELNS0_17block_load_methodE3ELS4_3ELS4_3ELNS0_20block_scan_algorithmE0ELj4294967295EEENS1_25partition_config_selectorILNS1_17partition_subalgoE3EjNS0_10empty_typeEbEEZZNS1_14partition_implILS8_3ELb0ES6_jNS0_17counting_iteratorIjlEEPS9_SE_NS0_5tupleIJPjSE_EEENSF_IJSE_SE_EEES9_SG_JZNS1_25segmented_radix_sort_implINS0_14default_configELb0EPKiPiPKlPlN2at6native12_GLOBAL__N_18offset_tEEE10hipError_tPvRmT1_PNSt15iterator_traitsISY_E10value_typeET2_T3_PNSZ_IS14_E10value_typeET4_jRbjT5_S1A_jjP12ihipStream_tbEUljE_EEESV_SW_SX_S14_S18_S1A_T6_T7_T9_mT8_S1C_bDpT10_ENKUlT_T0_E_clISt17integral_constantIbLb0EES1O_IbLb1EEEEDaS1K_S1L_EUlS1K_E_NS1_11comp_targetILNS1_3genE10ELNS1_11target_archE1200ELNS1_3gpuE4ELNS1_3repE0EEENS1_30default_config_static_selectorELNS0_4arch9wavefront6targetE0EEEvSY_.has_dyn_sized_stack, 0
	.set _ZN7rocprim17ROCPRIM_400000_NS6detail17trampoline_kernelINS0_13select_configILj256ELj13ELNS0_17block_load_methodE3ELS4_3ELS4_3ELNS0_20block_scan_algorithmE0ELj4294967295EEENS1_25partition_config_selectorILNS1_17partition_subalgoE3EjNS0_10empty_typeEbEEZZNS1_14partition_implILS8_3ELb0ES6_jNS0_17counting_iteratorIjlEEPS9_SE_NS0_5tupleIJPjSE_EEENSF_IJSE_SE_EEES9_SG_JZNS1_25segmented_radix_sort_implINS0_14default_configELb0EPKiPiPKlPlN2at6native12_GLOBAL__N_18offset_tEEE10hipError_tPvRmT1_PNSt15iterator_traitsISY_E10value_typeET2_T3_PNSZ_IS14_E10value_typeET4_jRbjT5_S1A_jjP12ihipStream_tbEUljE_EEESV_SW_SX_S14_S18_S1A_T6_T7_T9_mT8_S1C_bDpT10_ENKUlT_T0_E_clISt17integral_constantIbLb0EES1O_IbLb1EEEEDaS1K_S1L_EUlS1K_E_NS1_11comp_targetILNS1_3genE10ELNS1_11target_archE1200ELNS1_3gpuE4ELNS1_3repE0EEENS1_30default_config_static_selectorELNS0_4arch9wavefront6targetE0EEEvSY_.has_recursion, 0
	.set _ZN7rocprim17ROCPRIM_400000_NS6detail17trampoline_kernelINS0_13select_configILj256ELj13ELNS0_17block_load_methodE3ELS4_3ELS4_3ELNS0_20block_scan_algorithmE0ELj4294967295EEENS1_25partition_config_selectorILNS1_17partition_subalgoE3EjNS0_10empty_typeEbEEZZNS1_14partition_implILS8_3ELb0ES6_jNS0_17counting_iteratorIjlEEPS9_SE_NS0_5tupleIJPjSE_EEENSF_IJSE_SE_EEES9_SG_JZNS1_25segmented_radix_sort_implINS0_14default_configELb0EPKiPiPKlPlN2at6native12_GLOBAL__N_18offset_tEEE10hipError_tPvRmT1_PNSt15iterator_traitsISY_E10value_typeET2_T3_PNSZ_IS14_E10value_typeET4_jRbjT5_S1A_jjP12ihipStream_tbEUljE_EEESV_SW_SX_S14_S18_S1A_T6_T7_T9_mT8_S1C_bDpT10_ENKUlT_T0_E_clISt17integral_constantIbLb0EES1O_IbLb1EEEEDaS1K_S1L_EUlS1K_E_NS1_11comp_targetILNS1_3genE10ELNS1_11target_archE1200ELNS1_3gpuE4ELNS1_3repE0EEENS1_30default_config_static_selectorELNS0_4arch9wavefront6targetE0EEEvSY_.has_indirect_call, 0
	.section	.AMDGPU.csdata,"",@progbits
; Kernel info:
; codeLenInByte = 0
; TotalNumSgprs: 0
; NumVgprs: 0
; ScratchSize: 0
; MemoryBound: 0
; FloatMode: 240
; IeeeMode: 1
; LDSByteSize: 0 bytes/workgroup (compile time only)
; SGPRBlocks: 0
; VGPRBlocks: 0
; NumSGPRsForWavesPerEU: 1
; NumVGPRsForWavesPerEU: 1
; Occupancy: 16
; WaveLimiterHint : 0
; COMPUTE_PGM_RSRC2:SCRATCH_EN: 0
; COMPUTE_PGM_RSRC2:USER_SGPR: 6
; COMPUTE_PGM_RSRC2:TRAP_HANDLER: 0
; COMPUTE_PGM_RSRC2:TGID_X_EN: 1
; COMPUTE_PGM_RSRC2:TGID_Y_EN: 0
; COMPUTE_PGM_RSRC2:TGID_Z_EN: 0
; COMPUTE_PGM_RSRC2:TIDIG_COMP_CNT: 0
	.section	.text._ZN7rocprim17ROCPRIM_400000_NS6detail17trampoline_kernelINS0_13select_configILj256ELj13ELNS0_17block_load_methodE3ELS4_3ELS4_3ELNS0_20block_scan_algorithmE0ELj4294967295EEENS1_25partition_config_selectorILNS1_17partition_subalgoE3EjNS0_10empty_typeEbEEZZNS1_14partition_implILS8_3ELb0ES6_jNS0_17counting_iteratorIjlEEPS9_SE_NS0_5tupleIJPjSE_EEENSF_IJSE_SE_EEES9_SG_JZNS1_25segmented_radix_sort_implINS0_14default_configELb0EPKiPiPKlPlN2at6native12_GLOBAL__N_18offset_tEEE10hipError_tPvRmT1_PNSt15iterator_traitsISY_E10value_typeET2_T3_PNSZ_IS14_E10value_typeET4_jRbjT5_S1A_jjP12ihipStream_tbEUljE_EEESV_SW_SX_S14_S18_S1A_T6_T7_T9_mT8_S1C_bDpT10_ENKUlT_T0_E_clISt17integral_constantIbLb0EES1O_IbLb1EEEEDaS1K_S1L_EUlS1K_E_NS1_11comp_targetILNS1_3genE9ELNS1_11target_archE1100ELNS1_3gpuE3ELNS1_3repE0EEENS1_30default_config_static_selectorELNS0_4arch9wavefront6targetE0EEEvSY_,"axG",@progbits,_ZN7rocprim17ROCPRIM_400000_NS6detail17trampoline_kernelINS0_13select_configILj256ELj13ELNS0_17block_load_methodE3ELS4_3ELS4_3ELNS0_20block_scan_algorithmE0ELj4294967295EEENS1_25partition_config_selectorILNS1_17partition_subalgoE3EjNS0_10empty_typeEbEEZZNS1_14partition_implILS8_3ELb0ES6_jNS0_17counting_iteratorIjlEEPS9_SE_NS0_5tupleIJPjSE_EEENSF_IJSE_SE_EEES9_SG_JZNS1_25segmented_radix_sort_implINS0_14default_configELb0EPKiPiPKlPlN2at6native12_GLOBAL__N_18offset_tEEE10hipError_tPvRmT1_PNSt15iterator_traitsISY_E10value_typeET2_T3_PNSZ_IS14_E10value_typeET4_jRbjT5_S1A_jjP12ihipStream_tbEUljE_EEESV_SW_SX_S14_S18_S1A_T6_T7_T9_mT8_S1C_bDpT10_ENKUlT_T0_E_clISt17integral_constantIbLb0EES1O_IbLb1EEEEDaS1K_S1L_EUlS1K_E_NS1_11comp_targetILNS1_3genE9ELNS1_11target_archE1100ELNS1_3gpuE3ELNS1_3repE0EEENS1_30default_config_static_selectorELNS0_4arch9wavefront6targetE0EEEvSY_,comdat
	.globl	_ZN7rocprim17ROCPRIM_400000_NS6detail17trampoline_kernelINS0_13select_configILj256ELj13ELNS0_17block_load_methodE3ELS4_3ELS4_3ELNS0_20block_scan_algorithmE0ELj4294967295EEENS1_25partition_config_selectorILNS1_17partition_subalgoE3EjNS0_10empty_typeEbEEZZNS1_14partition_implILS8_3ELb0ES6_jNS0_17counting_iteratorIjlEEPS9_SE_NS0_5tupleIJPjSE_EEENSF_IJSE_SE_EEES9_SG_JZNS1_25segmented_radix_sort_implINS0_14default_configELb0EPKiPiPKlPlN2at6native12_GLOBAL__N_18offset_tEEE10hipError_tPvRmT1_PNSt15iterator_traitsISY_E10value_typeET2_T3_PNSZ_IS14_E10value_typeET4_jRbjT5_S1A_jjP12ihipStream_tbEUljE_EEESV_SW_SX_S14_S18_S1A_T6_T7_T9_mT8_S1C_bDpT10_ENKUlT_T0_E_clISt17integral_constantIbLb0EES1O_IbLb1EEEEDaS1K_S1L_EUlS1K_E_NS1_11comp_targetILNS1_3genE9ELNS1_11target_archE1100ELNS1_3gpuE3ELNS1_3repE0EEENS1_30default_config_static_selectorELNS0_4arch9wavefront6targetE0EEEvSY_ ; -- Begin function _ZN7rocprim17ROCPRIM_400000_NS6detail17trampoline_kernelINS0_13select_configILj256ELj13ELNS0_17block_load_methodE3ELS4_3ELS4_3ELNS0_20block_scan_algorithmE0ELj4294967295EEENS1_25partition_config_selectorILNS1_17partition_subalgoE3EjNS0_10empty_typeEbEEZZNS1_14partition_implILS8_3ELb0ES6_jNS0_17counting_iteratorIjlEEPS9_SE_NS0_5tupleIJPjSE_EEENSF_IJSE_SE_EEES9_SG_JZNS1_25segmented_radix_sort_implINS0_14default_configELb0EPKiPiPKlPlN2at6native12_GLOBAL__N_18offset_tEEE10hipError_tPvRmT1_PNSt15iterator_traitsISY_E10value_typeET2_T3_PNSZ_IS14_E10value_typeET4_jRbjT5_S1A_jjP12ihipStream_tbEUljE_EEESV_SW_SX_S14_S18_S1A_T6_T7_T9_mT8_S1C_bDpT10_ENKUlT_T0_E_clISt17integral_constantIbLb0EES1O_IbLb1EEEEDaS1K_S1L_EUlS1K_E_NS1_11comp_targetILNS1_3genE9ELNS1_11target_archE1100ELNS1_3gpuE3ELNS1_3repE0EEENS1_30default_config_static_selectorELNS0_4arch9wavefront6targetE0EEEvSY_
	.p2align	8
	.type	_ZN7rocprim17ROCPRIM_400000_NS6detail17trampoline_kernelINS0_13select_configILj256ELj13ELNS0_17block_load_methodE3ELS4_3ELS4_3ELNS0_20block_scan_algorithmE0ELj4294967295EEENS1_25partition_config_selectorILNS1_17partition_subalgoE3EjNS0_10empty_typeEbEEZZNS1_14partition_implILS8_3ELb0ES6_jNS0_17counting_iteratorIjlEEPS9_SE_NS0_5tupleIJPjSE_EEENSF_IJSE_SE_EEES9_SG_JZNS1_25segmented_radix_sort_implINS0_14default_configELb0EPKiPiPKlPlN2at6native12_GLOBAL__N_18offset_tEEE10hipError_tPvRmT1_PNSt15iterator_traitsISY_E10value_typeET2_T3_PNSZ_IS14_E10value_typeET4_jRbjT5_S1A_jjP12ihipStream_tbEUljE_EEESV_SW_SX_S14_S18_S1A_T6_T7_T9_mT8_S1C_bDpT10_ENKUlT_T0_E_clISt17integral_constantIbLb0EES1O_IbLb1EEEEDaS1K_S1L_EUlS1K_E_NS1_11comp_targetILNS1_3genE9ELNS1_11target_archE1100ELNS1_3gpuE3ELNS1_3repE0EEENS1_30default_config_static_selectorELNS0_4arch9wavefront6targetE0EEEvSY_,@function
_ZN7rocprim17ROCPRIM_400000_NS6detail17trampoline_kernelINS0_13select_configILj256ELj13ELNS0_17block_load_methodE3ELS4_3ELS4_3ELNS0_20block_scan_algorithmE0ELj4294967295EEENS1_25partition_config_selectorILNS1_17partition_subalgoE3EjNS0_10empty_typeEbEEZZNS1_14partition_implILS8_3ELb0ES6_jNS0_17counting_iteratorIjlEEPS9_SE_NS0_5tupleIJPjSE_EEENSF_IJSE_SE_EEES9_SG_JZNS1_25segmented_radix_sort_implINS0_14default_configELb0EPKiPiPKlPlN2at6native12_GLOBAL__N_18offset_tEEE10hipError_tPvRmT1_PNSt15iterator_traitsISY_E10value_typeET2_T3_PNSZ_IS14_E10value_typeET4_jRbjT5_S1A_jjP12ihipStream_tbEUljE_EEESV_SW_SX_S14_S18_S1A_T6_T7_T9_mT8_S1C_bDpT10_ENKUlT_T0_E_clISt17integral_constantIbLb0EES1O_IbLb1EEEEDaS1K_S1L_EUlS1K_E_NS1_11comp_targetILNS1_3genE9ELNS1_11target_archE1100ELNS1_3gpuE3ELNS1_3repE0EEENS1_30default_config_static_selectorELNS0_4arch9wavefront6targetE0EEEvSY_: ; @_ZN7rocprim17ROCPRIM_400000_NS6detail17trampoline_kernelINS0_13select_configILj256ELj13ELNS0_17block_load_methodE3ELS4_3ELS4_3ELNS0_20block_scan_algorithmE0ELj4294967295EEENS1_25partition_config_selectorILNS1_17partition_subalgoE3EjNS0_10empty_typeEbEEZZNS1_14partition_implILS8_3ELb0ES6_jNS0_17counting_iteratorIjlEEPS9_SE_NS0_5tupleIJPjSE_EEENSF_IJSE_SE_EEES9_SG_JZNS1_25segmented_radix_sort_implINS0_14default_configELb0EPKiPiPKlPlN2at6native12_GLOBAL__N_18offset_tEEE10hipError_tPvRmT1_PNSt15iterator_traitsISY_E10value_typeET2_T3_PNSZ_IS14_E10value_typeET4_jRbjT5_S1A_jjP12ihipStream_tbEUljE_EEESV_SW_SX_S14_S18_S1A_T6_T7_T9_mT8_S1C_bDpT10_ENKUlT_T0_E_clISt17integral_constantIbLb0EES1O_IbLb1EEEEDaS1K_S1L_EUlS1K_E_NS1_11comp_targetILNS1_3genE9ELNS1_11target_archE1100ELNS1_3gpuE3ELNS1_3repE0EEENS1_30default_config_static_selectorELNS0_4arch9wavefront6targetE0EEEvSY_
; %bb.0:
	.section	.rodata,"a",@progbits
	.p2align	6, 0x0
	.amdhsa_kernel _ZN7rocprim17ROCPRIM_400000_NS6detail17trampoline_kernelINS0_13select_configILj256ELj13ELNS0_17block_load_methodE3ELS4_3ELS4_3ELNS0_20block_scan_algorithmE0ELj4294967295EEENS1_25partition_config_selectorILNS1_17partition_subalgoE3EjNS0_10empty_typeEbEEZZNS1_14partition_implILS8_3ELb0ES6_jNS0_17counting_iteratorIjlEEPS9_SE_NS0_5tupleIJPjSE_EEENSF_IJSE_SE_EEES9_SG_JZNS1_25segmented_radix_sort_implINS0_14default_configELb0EPKiPiPKlPlN2at6native12_GLOBAL__N_18offset_tEEE10hipError_tPvRmT1_PNSt15iterator_traitsISY_E10value_typeET2_T3_PNSZ_IS14_E10value_typeET4_jRbjT5_S1A_jjP12ihipStream_tbEUljE_EEESV_SW_SX_S14_S18_S1A_T6_T7_T9_mT8_S1C_bDpT10_ENKUlT_T0_E_clISt17integral_constantIbLb0EES1O_IbLb1EEEEDaS1K_S1L_EUlS1K_E_NS1_11comp_targetILNS1_3genE9ELNS1_11target_archE1100ELNS1_3gpuE3ELNS1_3repE0EEENS1_30default_config_static_selectorELNS0_4arch9wavefront6targetE0EEEvSY_
		.amdhsa_group_segment_fixed_size 0
		.amdhsa_private_segment_fixed_size 0
		.amdhsa_kernarg_size 152
		.amdhsa_user_sgpr_count 6
		.amdhsa_user_sgpr_private_segment_buffer 1
		.amdhsa_user_sgpr_dispatch_ptr 0
		.amdhsa_user_sgpr_queue_ptr 0
		.amdhsa_user_sgpr_kernarg_segment_ptr 1
		.amdhsa_user_sgpr_dispatch_id 0
		.amdhsa_user_sgpr_flat_scratch_init 0
		.amdhsa_user_sgpr_private_segment_size 0
		.amdhsa_wavefront_size32 1
		.amdhsa_uses_dynamic_stack 0
		.amdhsa_system_sgpr_private_segment_wavefront_offset 0
		.amdhsa_system_sgpr_workgroup_id_x 1
		.amdhsa_system_sgpr_workgroup_id_y 0
		.amdhsa_system_sgpr_workgroup_id_z 0
		.amdhsa_system_sgpr_workgroup_info 0
		.amdhsa_system_vgpr_workitem_id 0
		.amdhsa_next_free_vgpr 1
		.amdhsa_next_free_sgpr 1
		.amdhsa_reserve_vcc 0
		.amdhsa_reserve_flat_scratch 0
		.amdhsa_float_round_mode_32 0
		.amdhsa_float_round_mode_16_64 0
		.amdhsa_float_denorm_mode_32 3
		.amdhsa_float_denorm_mode_16_64 3
		.amdhsa_dx10_clamp 1
		.amdhsa_ieee_mode 1
		.amdhsa_fp16_overflow 0
		.amdhsa_workgroup_processor_mode 1
		.amdhsa_memory_ordered 1
		.amdhsa_forward_progress 1
		.amdhsa_shared_vgpr_count 0
		.amdhsa_exception_fp_ieee_invalid_op 0
		.amdhsa_exception_fp_denorm_src 0
		.amdhsa_exception_fp_ieee_div_zero 0
		.amdhsa_exception_fp_ieee_overflow 0
		.amdhsa_exception_fp_ieee_underflow 0
		.amdhsa_exception_fp_ieee_inexact 0
		.amdhsa_exception_int_div_zero 0
	.end_amdhsa_kernel
	.section	.text._ZN7rocprim17ROCPRIM_400000_NS6detail17trampoline_kernelINS0_13select_configILj256ELj13ELNS0_17block_load_methodE3ELS4_3ELS4_3ELNS0_20block_scan_algorithmE0ELj4294967295EEENS1_25partition_config_selectorILNS1_17partition_subalgoE3EjNS0_10empty_typeEbEEZZNS1_14partition_implILS8_3ELb0ES6_jNS0_17counting_iteratorIjlEEPS9_SE_NS0_5tupleIJPjSE_EEENSF_IJSE_SE_EEES9_SG_JZNS1_25segmented_radix_sort_implINS0_14default_configELb0EPKiPiPKlPlN2at6native12_GLOBAL__N_18offset_tEEE10hipError_tPvRmT1_PNSt15iterator_traitsISY_E10value_typeET2_T3_PNSZ_IS14_E10value_typeET4_jRbjT5_S1A_jjP12ihipStream_tbEUljE_EEESV_SW_SX_S14_S18_S1A_T6_T7_T9_mT8_S1C_bDpT10_ENKUlT_T0_E_clISt17integral_constantIbLb0EES1O_IbLb1EEEEDaS1K_S1L_EUlS1K_E_NS1_11comp_targetILNS1_3genE9ELNS1_11target_archE1100ELNS1_3gpuE3ELNS1_3repE0EEENS1_30default_config_static_selectorELNS0_4arch9wavefront6targetE0EEEvSY_,"axG",@progbits,_ZN7rocprim17ROCPRIM_400000_NS6detail17trampoline_kernelINS0_13select_configILj256ELj13ELNS0_17block_load_methodE3ELS4_3ELS4_3ELNS0_20block_scan_algorithmE0ELj4294967295EEENS1_25partition_config_selectorILNS1_17partition_subalgoE3EjNS0_10empty_typeEbEEZZNS1_14partition_implILS8_3ELb0ES6_jNS0_17counting_iteratorIjlEEPS9_SE_NS0_5tupleIJPjSE_EEENSF_IJSE_SE_EEES9_SG_JZNS1_25segmented_radix_sort_implINS0_14default_configELb0EPKiPiPKlPlN2at6native12_GLOBAL__N_18offset_tEEE10hipError_tPvRmT1_PNSt15iterator_traitsISY_E10value_typeET2_T3_PNSZ_IS14_E10value_typeET4_jRbjT5_S1A_jjP12ihipStream_tbEUljE_EEESV_SW_SX_S14_S18_S1A_T6_T7_T9_mT8_S1C_bDpT10_ENKUlT_T0_E_clISt17integral_constantIbLb0EES1O_IbLb1EEEEDaS1K_S1L_EUlS1K_E_NS1_11comp_targetILNS1_3genE9ELNS1_11target_archE1100ELNS1_3gpuE3ELNS1_3repE0EEENS1_30default_config_static_selectorELNS0_4arch9wavefront6targetE0EEEvSY_,comdat
.Lfunc_end593:
	.size	_ZN7rocprim17ROCPRIM_400000_NS6detail17trampoline_kernelINS0_13select_configILj256ELj13ELNS0_17block_load_methodE3ELS4_3ELS4_3ELNS0_20block_scan_algorithmE0ELj4294967295EEENS1_25partition_config_selectorILNS1_17partition_subalgoE3EjNS0_10empty_typeEbEEZZNS1_14partition_implILS8_3ELb0ES6_jNS0_17counting_iteratorIjlEEPS9_SE_NS0_5tupleIJPjSE_EEENSF_IJSE_SE_EEES9_SG_JZNS1_25segmented_radix_sort_implINS0_14default_configELb0EPKiPiPKlPlN2at6native12_GLOBAL__N_18offset_tEEE10hipError_tPvRmT1_PNSt15iterator_traitsISY_E10value_typeET2_T3_PNSZ_IS14_E10value_typeET4_jRbjT5_S1A_jjP12ihipStream_tbEUljE_EEESV_SW_SX_S14_S18_S1A_T6_T7_T9_mT8_S1C_bDpT10_ENKUlT_T0_E_clISt17integral_constantIbLb0EES1O_IbLb1EEEEDaS1K_S1L_EUlS1K_E_NS1_11comp_targetILNS1_3genE9ELNS1_11target_archE1100ELNS1_3gpuE3ELNS1_3repE0EEENS1_30default_config_static_selectorELNS0_4arch9wavefront6targetE0EEEvSY_, .Lfunc_end593-_ZN7rocprim17ROCPRIM_400000_NS6detail17trampoline_kernelINS0_13select_configILj256ELj13ELNS0_17block_load_methodE3ELS4_3ELS4_3ELNS0_20block_scan_algorithmE0ELj4294967295EEENS1_25partition_config_selectorILNS1_17partition_subalgoE3EjNS0_10empty_typeEbEEZZNS1_14partition_implILS8_3ELb0ES6_jNS0_17counting_iteratorIjlEEPS9_SE_NS0_5tupleIJPjSE_EEENSF_IJSE_SE_EEES9_SG_JZNS1_25segmented_radix_sort_implINS0_14default_configELb0EPKiPiPKlPlN2at6native12_GLOBAL__N_18offset_tEEE10hipError_tPvRmT1_PNSt15iterator_traitsISY_E10value_typeET2_T3_PNSZ_IS14_E10value_typeET4_jRbjT5_S1A_jjP12ihipStream_tbEUljE_EEESV_SW_SX_S14_S18_S1A_T6_T7_T9_mT8_S1C_bDpT10_ENKUlT_T0_E_clISt17integral_constantIbLb0EES1O_IbLb1EEEEDaS1K_S1L_EUlS1K_E_NS1_11comp_targetILNS1_3genE9ELNS1_11target_archE1100ELNS1_3gpuE3ELNS1_3repE0EEENS1_30default_config_static_selectorELNS0_4arch9wavefront6targetE0EEEvSY_
                                        ; -- End function
	.set _ZN7rocprim17ROCPRIM_400000_NS6detail17trampoline_kernelINS0_13select_configILj256ELj13ELNS0_17block_load_methodE3ELS4_3ELS4_3ELNS0_20block_scan_algorithmE0ELj4294967295EEENS1_25partition_config_selectorILNS1_17partition_subalgoE3EjNS0_10empty_typeEbEEZZNS1_14partition_implILS8_3ELb0ES6_jNS0_17counting_iteratorIjlEEPS9_SE_NS0_5tupleIJPjSE_EEENSF_IJSE_SE_EEES9_SG_JZNS1_25segmented_radix_sort_implINS0_14default_configELb0EPKiPiPKlPlN2at6native12_GLOBAL__N_18offset_tEEE10hipError_tPvRmT1_PNSt15iterator_traitsISY_E10value_typeET2_T3_PNSZ_IS14_E10value_typeET4_jRbjT5_S1A_jjP12ihipStream_tbEUljE_EEESV_SW_SX_S14_S18_S1A_T6_T7_T9_mT8_S1C_bDpT10_ENKUlT_T0_E_clISt17integral_constantIbLb0EES1O_IbLb1EEEEDaS1K_S1L_EUlS1K_E_NS1_11comp_targetILNS1_3genE9ELNS1_11target_archE1100ELNS1_3gpuE3ELNS1_3repE0EEENS1_30default_config_static_selectorELNS0_4arch9wavefront6targetE0EEEvSY_.num_vgpr, 0
	.set _ZN7rocprim17ROCPRIM_400000_NS6detail17trampoline_kernelINS0_13select_configILj256ELj13ELNS0_17block_load_methodE3ELS4_3ELS4_3ELNS0_20block_scan_algorithmE0ELj4294967295EEENS1_25partition_config_selectorILNS1_17partition_subalgoE3EjNS0_10empty_typeEbEEZZNS1_14partition_implILS8_3ELb0ES6_jNS0_17counting_iteratorIjlEEPS9_SE_NS0_5tupleIJPjSE_EEENSF_IJSE_SE_EEES9_SG_JZNS1_25segmented_radix_sort_implINS0_14default_configELb0EPKiPiPKlPlN2at6native12_GLOBAL__N_18offset_tEEE10hipError_tPvRmT1_PNSt15iterator_traitsISY_E10value_typeET2_T3_PNSZ_IS14_E10value_typeET4_jRbjT5_S1A_jjP12ihipStream_tbEUljE_EEESV_SW_SX_S14_S18_S1A_T6_T7_T9_mT8_S1C_bDpT10_ENKUlT_T0_E_clISt17integral_constantIbLb0EES1O_IbLb1EEEEDaS1K_S1L_EUlS1K_E_NS1_11comp_targetILNS1_3genE9ELNS1_11target_archE1100ELNS1_3gpuE3ELNS1_3repE0EEENS1_30default_config_static_selectorELNS0_4arch9wavefront6targetE0EEEvSY_.num_agpr, 0
	.set _ZN7rocprim17ROCPRIM_400000_NS6detail17trampoline_kernelINS0_13select_configILj256ELj13ELNS0_17block_load_methodE3ELS4_3ELS4_3ELNS0_20block_scan_algorithmE0ELj4294967295EEENS1_25partition_config_selectorILNS1_17partition_subalgoE3EjNS0_10empty_typeEbEEZZNS1_14partition_implILS8_3ELb0ES6_jNS0_17counting_iteratorIjlEEPS9_SE_NS0_5tupleIJPjSE_EEENSF_IJSE_SE_EEES9_SG_JZNS1_25segmented_radix_sort_implINS0_14default_configELb0EPKiPiPKlPlN2at6native12_GLOBAL__N_18offset_tEEE10hipError_tPvRmT1_PNSt15iterator_traitsISY_E10value_typeET2_T3_PNSZ_IS14_E10value_typeET4_jRbjT5_S1A_jjP12ihipStream_tbEUljE_EEESV_SW_SX_S14_S18_S1A_T6_T7_T9_mT8_S1C_bDpT10_ENKUlT_T0_E_clISt17integral_constantIbLb0EES1O_IbLb1EEEEDaS1K_S1L_EUlS1K_E_NS1_11comp_targetILNS1_3genE9ELNS1_11target_archE1100ELNS1_3gpuE3ELNS1_3repE0EEENS1_30default_config_static_selectorELNS0_4arch9wavefront6targetE0EEEvSY_.numbered_sgpr, 0
	.set _ZN7rocprim17ROCPRIM_400000_NS6detail17trampoline_kernelINS0_13select_configILj256ELj13ELNS0_17block_load_methodE3ELS4_3ELS4_3ELNS0_20block_scan_algorithmE0ELj4294967295EEENS1_25partition_config_selectorILNS1_17partition_subalgoE3EjNS0_10empty_typeEbEEZZNS1_14partition_implILS8_3ELb0ES6_jNS0_17counting_iteratorIjlEEPS9_SE_NS0_5tupleIJPjSE_EEENSF_IJSE_SE_EEES9_SG_JZNS1_25segmented_radix_sort_implINS0_14default_configELb0EPKiPiPKlPlN2at6native12_GLOBAL__N_18offset_tEEE10hipError_tPvRmT1_PNSt15iterator_traitsISY_E10value_typeET2_T3_PNSZ_IS14_E10value_typeET4_jRbjT5_S1A_jjP12ihipStream_tbEUljE_EEESV_SW_SX_S14_S18_S1A_T6_T7_T9_mT8_S1C_bDpT10_ENKUlT_T0_E_clISt17integral_constantIbLb0EES1O_IbLb1EEEEDaS1K_S1L_EUlS1K_E_NS1_11comp_targetILNS1_3genE9ELNS1_11target_archE1100ELNS1_3gpuE3ELNS1_3repE0EEENS1_30default_config_static_selectorELNS0_4arch9wavefront6targetE0EEEvSY_.num_named_barrier, 0
	.set _ZN7rocprim17ROCPRIM_400000_NS6detail17trampoline_kernelINS0_13select_configILj256ELj13ELNS0_17block_load_methodE3ELS4_3ELS4_3ELNS0_20block_scan_algorithmE0ELj4294967295EEENS1_25partition_config_selectorILNS1_17partition_subalgoE3EjNS0_10empty_typeEbEEZZNS1_14partition_implILS8_3ELb0ES6_jNS0_17counting_iteratorIjlEEPS9_SE_NS0_5tupleIJPjSE_EEENSF_IJSE_SE_EEES9_SG_JZNS1_25segmented_radix_sort_implINS0_14default_configELb0EPKiPiPKlPlN2at6native12_GLOBAL__N_18offset_tEEE10hipError_tPvRmT1_PNSt15iterator_traitsISY_E10value_typeET2_T3_PNSZ_IS14_E10value_typeET4_jRbjT5_S1A_jjP12ihipStream_tbEUljE_EEESV_SW_SX_S14_S18_S1A_T6_T7_T9_mT8_S1C_bDpT10_ENKUlT_T0_E_clISt17integral_constantIbLb0EES1O_IbLb1EEEEDaS1K_S1L_EUlS1K_E_NS1_11comp_targetILNS1_3genE9ELNS1_11target_archE1100ELNS1_3gpuE3ELNS1_3repE0EEENS1_30default_config_static_selectorELNS0_4arch9wavefront6targetE0EEEvSY_.private_seg_size, 0
	.set _ZN7rocprim17ROCPRIM_400000_NS6detail17trampoline_kernelINS0_13select_configILj256ELj13ELNS0_17block_load_methodE3ELS4_3ELS4_3ELNS0_20block_scan_algorithmE0ELj4294967295EEENS1_25partition_config_selectorILNS1_17partition_subalgoE3EjNS0_10empty_typeEbEEZZNS1_14partition_implILS8_3ELb0ES6_jNS0_17counting_iteratorIjlEEPS9_SE_NS0_5tupleIJPjSE_EEENSF_IJSE_SE_EEES9_SG_JZNS1_25segmented_radix_sort_implINS0_14default_configELb0EPKiPiPKlPlN2at6native12_GLOBAL__N_18offset_tEEE10hipError_tPvRmT1_PNSt15iterator_traitsISY_E10value_typeET2_T3_PNSZ_IS14_E10value_typeET4_jRbjT5_S1A_jjP12ihipStream_tbEUljE_EEESV_SW_SX_S14_S18_S1A_T6_T7_T9_mT8_S1C_bDpT10_ENKUlT_T0_E_clISt17integral_constantIbLb0EES1O_IbLb1EEEEDaS1K_S1L_EUlS1K_E_NS1_11comp_targetILNS1_3genE9ELNS1_11target_archE1100ELNS1_3gpuE3ELNS1_3repE0EEENS1_30default_config_static_selectorELNS0_4arch9wavefront6targetE0EEEvSY_.uses_vcc, 0
	.set _ZN7rocprim17ROCPRIM_400000_NS6detail17trampoline_kernelINS0_13select_configILj256ELj13ELNS0_17block_load_methodE3ELS4_3ELS4_3ELNS0_20block_scan_algorithmE0ELj4294967295EEENS1_25partition_config_selectorILNS1_17partition_subalgoE3EjNS0_10empty_typeEbEEZZNS1_14partition_implILS8_3ELb0ES6_jNS0_17counting_iteratorIjlEEPS9_SE_NS0_5tupleIJPjSE_EEENSF_IJSE_SE_EEES9_SG_JZNS1_25segmented_radix_sort_implINS0_14default_configELb0EPKiPiPKlPlN2at6native12_GLOBAL__N_18offset_tEEE10hipError_tPvRmT1_PNSt15iterator_traitsISY_E10value_typeET2_T3_PNSZ_IS14_E10value_typeET4_jRbjT5_S1A_jjP12ihipStream_tbEUljE_EEESV_SW_SX_S14_S18_S1A_T6_T7_T9_mT8_S1C_bDpT10_ENKUlT_T0_E_clISt17integral_constantIbLb0EES1O_IbLb1EEEEDaS1K_S1L_EUlS1K_E_NS1_11comp_targetILNS1_3genE9ELNS1_11target_archE1100ELNS1_3gpuE3ELNS1_3repE0EEENS1_30default_config_static_selectorELNS0_4arch9wavefront6targetE0EEEvSY_.uses_flat_scratch, 0
	.set _ZN7rocprim17ROCPRIM_400000_NS6detail17trampoline_kernelINS0_13select_configILj256ELj13ELNS0_17block_load_methodE3ELS4_3ELS4_3ELNS0_20block_scan_algorithmE0ELj4294967295EEENS1_25partition_config_selectorILNS1_17partition_subalgoE3EjNS0_10empty_typeEbEEZZNS1_14partition_implILS8_3ELb0ES6_jNS0_17counting_iteratorIjlEEPS9_SE_NS0_5tupleIJPjSE_EEENSF_IJSE_SE_EEES9_SG_JZNS1_25segmented_radix_sort_implINS0_14default_configELb0EPKiPiPKlPlN2at6native12_GLOBAL__N_18offset_tEEE10hipError_tPvRmT1_PNSt15iterator_traitsISY_E10value_typeET2_T3_PNSZ_IS14_E10value_typeET4_jRbjT5_S1A_jjP12ihipStream_tbEUljE_EEESV_SW_SX_S14_S18_S1A_T6_T7_T9_mT8_S1C_bDpT10_ENKUlT_T0_E_clISt17integral_constantIbLb0EES1O_IbLb1EEEEDaS1K_S1L_EUlS1K_E_NS1_11comp_targetILNS1_3genE9ELNS1_11target_archE1100ELNS1_3gpuE3ELNS1_3repE0EEENS1_30default_config_static_selectorELNS0_4arch9wavefront6targetE0EEEvSY_.has_dyn_sized_stack, 0
	.set _ZN7rocprim17ROCPRIM_400000_NS6detail17trampoline_kernelINS0_13select_configILj256ELj13ELNS0_17block_load_methodE3ELS4_3ELS4_3ELNS0_20block_scan_algorithmE0ELj4294967295EEENS1_25partition_config_selectorILNS1_17partition_subalgoE3EjNS0_10empty_typeEbEEZZNS1_14partition_implILS8_3ELb0ES6_jNS0_17counting_iteratorIjlEEPS9_SE_NS0_5tupleIJPjSE_EEENSF_IJSE_SE_EEES9_SG_JZNS1_25segmented_radix_sort_implINS0_14default_configELb0EPKiPiPKlPlN2at6native12_GLOBAL__N_18offset_tEEE10hipError_tPvRmT1_PNSt15iterator_traitsISY_E10value_typeET2_T3_PNSZ_IS14_E10value_typeET4_jRbjT5_S1A_jjP12ihipStream_tbEUljE_EEESV_SW_SX_S14_S18_S1A_T6_T7_T9_mT8_S1C_bDpT10_ENKUlT_T0_E_clISt17integral_constantIbLb0EES1O_IbLb1EEEEDaS1K_S1L_EUlS1K_E_NS1_11comp_targetILNS1_3genE9ELNS1_11target_archE1100ELNS1_3gpuE3ELNS1_3repE0EEENS1_30default_config_static_selectorELNS0_4arch9wavefront6targetE0EEEvSY_.has_recursion, 0
	.set _ZN7rocprim17ROCPRIM_400000_NS6detail17trampoline_kernelINS0_13select_configILj256ELj13ELNS0_17block_load_methodE3ELS4_3ELS4_3ELNS0_20block_scan_algorithmE0ELj4294967295EEENS1_25partition_config_selectorILNS1_17partition_subalgoE3EjNS0_10empty_typeEbEEZZNS1_14partition_implILS8_3ELb0ES6_jNS0_17counting_iteratorIjlEEPS9_SE_NS0_5tupleIJPjSE_EEENSF_IJSE_SE_EEES9_SG_JZNS1_25segmented_radix_sort_implINS0_14default_configELb0EPKiPiPKlPlN2at6native12_GLOBAL__N_18offset_tEEE10hipError_tPvRmT1_PNSt15iterator_traitsISY_E10value_typeET2_T3_PNSZ_IS14_E10value_typeET4_jRbjT5_S1A_jjP12ihipStream_tbEUljE_EEESV_SW_SX_S14_S18_S1A_T6_T7_T9_mT8_S1C_bDpT10_ENKUlT_T0_E_clISt17integral_constantIbLb0EES1O_IbLb1EEEEDaS1K_S1L_EUlS1K_E_NS1_11comp_targetILNS1_3genE9ELNS1_11target_archE1100ELNS1_3gpuE3ELNS1_3repE0EEENS1_30default_config_static_selectorELNS0_4arch9wavefront6targetE0EEEvSY_.has_indirect_call, 0
	.section	.AMDGPU.csdata,"",@progbits
; Kernel info:
; codeLenInByte = 0
; TotalNumSgprs: 0
; NumVgprs: 0
; ScratchSize: 0
; MemoryBound: 0
; FloatMode: 240
; IeeeMode: 1
; LDSByteSize: 0 bytes/workgroup (compile time only)
; SGPRBlocks: 0
; VGPRBlocks: 0
; NumSGPRsForWavesPerEU: 1
; NumVGPRsForWavesPerEU: 1
; Occupancy: 16
; WaveLimiterHint : 0
; COMPUTE_PGM_RSRC2:SCRATCH_EN: 0
; COMPUTE_PGM_RSRC2:USER_SGPR: 6
; COMPUTE_PGM_RSRC2:TRAP_HANDLER: 0
; COMPUTE_PGM_RSRC2:TGID_X_EN: 1
; COMPUTE_PGM_RSRC2:TGID_Y_EN: 0
; COMPUTE_PGM_RSRC2:TGID_Z_EN: 0
; COMPUTE_PGM_RSRC2:TIDIG_COMP_CNT: 0
	.section	.text._ZN7rocprim17ROCPRIM_400000_NS6detail17trampoline_kernelINS0_13select_configILj256ELj13ELNS0_17block_load_methodE3ELS4_3ELS4_3ELNS0_20block_scan_algorithmE0ELj4294967295EEENS1_25partition_config_selectorILNS1_17partition_subalgoE3EjNS0_10empty_typeEbEEZZNS1_14partition_implILS8_3ELb0ES6_jNS0_17counting_iteratorIjlEEPS9_SE_NS0_5tupleIJPjSE_EEENSF_IJSE_SE_EEES9_SG_JZNS1_25segmented_radix_sort_implINS0_14default_configELb0EPKiPiPKlPlN2at6native12_GLOBAL__N_18offset_tEEE10hipError_tPvRmT1_PNSt15iterator_traitsISY_E10value_typeET2_T3_PNSZ_IS14_E10value_typeET4_jRbjT5_S1A_jjP12ihipStream_tbEUljE_EEESV_SW_SX_S14_S18_S1A_T6_T7_T9_mT8_S1C_bDpT10_ENKUlT_T0_E_clISt17integral_constantIbLb0EES1O_IbLb1EEEEDaS1K_S1L_EUlS1K_E_NS1_11comp_targetILNS1_3genE8ELNS1_11target_archE1030ELNS1_3gpuE2ELNS1_3repE0EEENS1_30default_config_static_selectorELNS0_4arch9wavefront6targetE0EEEvSY_,"axG",@progbits,_ZN7rocprim17ROCPRIM_400000_NS6detail17trampoline_kernelINS0_13select_configILj256ELj13ELNS0_17block_load_methodE3ELS4_3ELS4_3ELNS0_20block_scan_algorithmE0ELj4294967295EEENS1_25partition_config_selectorILNS1_17partition_subalgoE3EjNS0_10empty_typeEbEEZZNS1_14partition_implILS8_3ELb0ES6_jNS0_17counting_iteratorIjlEEPS9_SE_NS0_5tupleIJPjSE_EEENSF_IJSE_SE_EEES9_SG_JZNS1_25segmented_radix_sort_implINS0_14default_configELb0EPKiPiPKlPlN2at6native12_GLOBAL__N_18offset_tEEE10hipError_tPvRmT1_PNSt15iterator_traitsISY_E10value_typeET2_T3_PNSZ_IS14_E10value_typeET4_jRbjT5_S1A_jjP12ihipStream_tbEUljE_EEESV_SW_SX_S14_S18_S1A_T6_T7_T9_mT8_S1C_bDpT10_ENKUlT_T0_E_clISt17integral_constantIbLb0EES1O_IbLb1EEEEDaS1K_S1L_EUlS1K_E_NS1_11comp_targetILNS1_3genE8ELNS1_11target_archE1030ELNS1_3gpuE2ELNS1_3repE0EEENS1_30default_config_static_selectorELNS0_4arch9wavefront6targetE0EEEvSY_,comdat
	.globl	_ZN7rocprim17ROCPRIM_400000_NS6detail17trampoline_kernelINS0_13select_configILj256ELj13ELNS0_17block_load_methodE3ELS4_3ELS4_3ELNS0_20block_scan_algorithmE0ELj4294967295EEENS1_25partition_config_selectorILNS1_17partition_subalgoE3EjNS0_10empty_typeEbEEZZNS1_14partition_implILS8_3ELb0ES6_jNS0_17counting_iteratorIjlEEPS9_SE_NS0_5tupleIJPjSE_EEENSF_IJSE_SE_EEES9_SG_JZNS1_25segmented_radix_sort_implINS0_14default_configELb0EPKiPiPKlPlN2at6native12_GLOBAL__N_18offset_tEEE10hipError_tPvRmT1_PNSt15iterator_traitsISY_E10value_typeET2_T3_PNSZ_IS14_E10value_typeET4_jRbjT5_S1A_jjP12ihipStream_tbEUljE_EEESV_SW_SX_S14_S18_S1A_T6_T7_T9_mT8_S1C_bDpT10_ENKUlT_T0_E_clISt17integral_constantIbLb0EES1O_IbLb1EEEEDaS1K_S1L_EUlS1K_E_NS1_11comp_targetILNS1_3genE8ELNS1_11target_archE1030ELNS1_3gpuE2ELNS1_3repE0EEENS1_30default_config_static_selectorELNS0_4arch9wavefront6targetE0EEEvSY_ ; -- Begin function _ZN7rocprim17ROCPRIM_400000_NS6detail17trampoline_kernelINS0_13select_configILj256ELj13ELNS0_17block_load_methodE3ELS4_3ELS4_3ELNS0_20block_scan_algorithmE0ELj4294967295EEENS1_25partition_config_selectorILNS1_17partition_subalgoE3EjNS0_10empty_typeEbEEZZNS1_14partition_implILS8_3ELb0ES6_jNS0_17counting_iteratorIjlEEPS9_SE_NS0_5tupleIJPjSE_EEENSF_IJSE_SE_EEES9_SG_JZNS1_25segmented_radix_sort_implINS0_14default_configELb0EPKiPiPKlPlN2at6native12_GLOBAL__N_18offset_tEEE10hipError_tPvRmT1_PNSt15iterator_traitsISY_E10value_typeET2_T3_PNSZ_IS14_E10value_typeET4_jRbjT5_S1A_jjP12ihipStream_tbEUljE_EEESV_SW_SX_S14_S18_S1A_T6_T7_T9_mT8_S1C_bDpT10_ENKUlT_T0_E_clISt17integral_constantIbLb0EES1O_IbLb1EEEEDaS1K_S1L_EUlS1K_E_NS1_11comp_targetILNS1_3genE8ELNS1_11target_archE1030ELNS1_3gpuE2ELNS1_3repE0EEENS1_30default_config_static_selectorELNS0_4arch9wavefront6targetE0EEEvSY_
	.p2align	8
	.type	_ZN7rocprim17ROCPRIM_400000_NS6detail17trampoline_kernelINS0_13select_configILj256ELj13ELNS0_17block_load_methodE3ELS4_3ELS4_3ELNS0_20block_scan_algorithmE0ELj4294967295EEENS1_25partition_config_selectorILNS1_17partition_subalgoE3EjNS0_10empty_typeEbEEZZNS1_14partition_implILS8_3ELb0ES6_jNS0_17counting_iteratorIjlEEPS9_SE_NS0_5tupleIJPjSE_EEENSF_IJSE_SE_EEES9_SG_JZNS1_25segmented_radix_sort_implINS0_14default_configELb0EPKiPiPKlPlN2at6native12_GLOBAL__N_18offset_tEEE10hipError_tPvRmT1_PNSt15iterator_traitsISY_E10value_typeET2_T3_PNSZ_IS14_E10value_typeET4_jRbjT5_S1A_jjP12ihipStream_tbEUljE_EEESV_SW_SX_S14_S18_S1A_T6_T7_T9_mT8_S1C_bDpT10_ENKUlT_T0_E_clISt17integral_constantIbLb0EES1O_IbLb1EEEEDaS1K_S1L_EUlS1K_E_NS1_11comp_targetILNS1_3genE8ELNS1_11target_archE1030ELNS1_3gpuE2ELNS1_3repE0EEENS1_30default_config_static_selectorELNS0_4arch9wavefront6targetE0EEEvSY_,@function
_ZN7rocprim17ROCPRIM_400000_NS6detail17trampoline_kernelINS0_13select_configILj256ELj13ELNS0_17block_load_methodE3ELS4_3ELS4_3ELNS0_20block_scan_algorithmE0ELj4294967295EEENS1_25partition_config_selectorILNS1_17partition_subalgoE3EjNS0_10empty_typeEbEEZZNS1_14partition_implILS8_3ELb0ES6_jNS0_17counting_iteratorIjlEEPS9_SE_NS0_5tupleIJPjSE_EEENSF_IJSE_SE_EEES9_SG_JZNS1_25segmented_radix_sort_implINS0_14default_configELb0EPKiPiPKlPlN2at6native12_GLOBAL__N_18offset_tEEE10hipError_tPvRmT1_PNSt15iterator_traitsISY_E10value_typeET2_T3_PNSZ_IS14_E10value_typeET4_jRbjT5_S1A_jjP12ihipStream_tbEUljE_EEESV_SW_SX_S14_S18_S1A_T6_T7_T9_mT8_S1C_bDpT10_ENKUlT_T0_E_clISt17integral_constantIbLb0EES1O_IbLb1EEEEDaS1K_S1L_EUlS1K_E_NS1_11comp_targetILNS1_3genE8ELNS1_11target_archE1030ELNS1_3gpuE2ELNS1_3repE0EEENS1_30default_config_static_selectorELNS0_4arch9wavefront6targetE0EEEvSY_: ; @_ZN7rocprim17ROCPRIM_400000_NS6detail17trampoline_kernelINS0_13select_configILj256ELj13ELNS0_17block_load_methodE3ELS4_3ELS4_3ELNS0_20block_scan_algorithmE0ELj4294967295EEENS1_25partition_config_selectorILNS1_17partition_subalgoE3EjNS0_10empty_typeEbEEZZNS1_14partition_implILS8_3ELb0ES6_jNS0_17counting_iteratorIjlEEPS9_SE_NS0_5tupleIJPjSE_EEENSF_IJSE_SE_EEES9_SG_JZNS1_25segmented_radix_sort_implINS0_14default_configELb0EPKiPiPKlPlN2at6native12_GLOBAL__N_18offset_tEEE10hipError_tPvRmT1_PNSt15iterator_traitsISY_E10value_typeET2_T3_PNSZ_IS14_E10value_typeET4_jRbjT5_S1A_jjP12ihipStream_tbEUljE_EEESV_SW_SX_S14_S18_S1A_T6_T7_T9_mT8_S1C_bDpT10_ENKUlT_T0_E_clISt17integral_constantIbLb0EES1O_IbLb1EEEEDaS1K_S1L_EUlS1K_E_NS1_11comp_targetILNS1_3genE8ELNS1_11target_archE1030ELNS1_3gpuE2ELNS1_3repE0EEENS1_30default_config_static_selectorELNS0_4arch9wavefront6targetE0EEEvSY_
; %bb.0:
	s_clause 0x6
	s_load_dwordx2 s[18:19], s[4:5], 0x10
	s_load_dwordx2 s[16:17], s[4:5], 0x28
	;; [unrolled: 1-line block ×3, first 2 shown]
	s_load_dwordx4 s[12:15], s[4:5], 0x48
	s_load_dword s2, s[4:5], 0x90
	s_load_dwordx2 s[22:23], s[4:5], 0x68
	s_load_dwordx4 s[8:11], s[4:5], 0x80
	v_cmp_eq_u32_e64 s0, 0, v0
	s_and_saveexec_b32 s1, s0
	s_cbranch_execz .LBB594_4
; %bb.1:
	s_mov_b32 s6, exec_lo
	s_mov_b32 s3, exec_lo
	v_mbcnt_lo_u32_b32 v1, s6, 0
                                        ; implicit-def: $vgpr2
	v_cmpx_eq_u32_e32 0, v1
	s_cbranch_execz .LBB594_3
; %bb.2:
	s_load_dwordx2 s[24:25], s[4:5], 0x78
	s_bcnt1_i32_b32 s6, s6
	v_mov_b32_e32 v2, 0
	v_mov_b32_e32 v3, s6
	s_waitcnt lgkmcnt(0)
	global_atomic_add v2, v2, v3, s[24:25] glc
.LBB594_3:
	s_or_b32 exec_lo, exec_lo, s3
	s_waitcnt vmcnt(0)
	v_readfirstlane_b32 s3, v2
	v_mov_b32_e32 v2, 0
	v_add_nc_u32_e32 v1, s3, v1
	ds_write_b32 v2, v1
.LBB594_4:
	s_or_b32 exec_lo, exec_lo, s1
	v_mov_b32_e32 v1, 0
	s_clause 0x1
	s_load_dword s3, s[4:5], 0x8
	s_load_dword s1, s[4:5], 0x70
	s_waitcnt lgkmcnt(0)
	s_barrier
	buffer_gl0_inv
	ds_read_b32 v2, v1
	s_waitcnt lgkmcnt(0)
	s_barrier
	buffer_gl0_inv
	global_load_dwordx2 v[18:19], v1, s[14:15]
	v_lshlrev_b32_e32 v44, 2, v0
	s_add_i32 s4, s3, s18
	s_mul_i32 s5, s1, 0xd00
	s_add_i32 s1, s1, -1
	s_add_i32 s3, s5, s18
	s_sub_i32 s15, s20, s3
	v_readfirstlane_b32 s25, v2
	s_addk_i32 s15, 0xd00
	s_add_u32 s6, s18, s5
	s_addc_u32 s7, s19, 0
	v_cmp_ne_u32_e32 vcc_lo, s1, v2
	v_cmp_gt_u64_e64 s3, s[20:21], s[6:7]
	s_cmp_eq_u32 s25, s1
	s_mul_i32 s24, s25, 0xd00
	s_cselect_b32 s14, -1, 0
	s_mov_b32 s5, -1
	s_or_b32 s3, s3, vcc_lo
	s_and_b32 vcc_lo, exec_lo, s3
	s_cbranch_vccz .LBB594_6
; %bb.5:
	v_add3_u32 v1, s24, s4, v0
	s_mov_b32 s5, 0
	v_add_nc_u32_e32 v2, 0x100, v1
	v_add_nc_u32_e32 v3, 0x200, v1
	;; [unrolled: 1-line block ×12, first 2 shown]
	ds_write2st64_b32 v44, v1, v2 offset1:4
	ds_write2st64_b32 v44, v3, v4 offset0:8 offset1:12
	ds_write2st64_b32 v44, v5, v6 offset0:16 offset1:20
	;; [unrolled: 1-line block ×5, first 2 shown]
	ds_write_b32 v44, v13 offset:12288
	s_waitcnt vmcnt(0) lgkmcnt(0)
	s_barrier
.LBB594_6:
	v_cmp_gt_u32_e64 s1, s15, v0
	v_or_b32_e32 v43, 0x100, v0
	v_or_b32_e32 v42, 0x200, v0
	;; [unrolled: 1-line block ×12, first 2 shown]
	s_andn2_b32 vcc_lo, exec_lo, s5
	s_cbranch_vccnz .LBB594_8
; %bb.7:
	s_add_i32 s4, s24, s4
	v_cmp_gt_u32_e32 vcc_lo, s15, v43
	v_add_nc_u32_e32 v2, s4, v43
	v_add_nc_u32_e32 v3, s4, v42
	;; [unrolled: 1-line block ×5, first 2 shown]
	v_cndmask_b32_e32 v2, 0, v2, vcc_lo
	v_cmp_gt_u32_e32 vcc_lo, s15, v42
	v_add_nc_u32_e32 v7, s4, v38
	v_add_nc_u32_e32 v8, s4, v37
	;; [unrolled: 1-line block ×4, first 2 shown]
	v_cndmask_b32_e32 v3, 0, v3, vcc_lo
	v_cmp_gt_u32_e32 vcc_lo, s15, v41
	v_add_nc_u32_e32 v11, s4, v34
	v_add_nc_u32_e32 v1, s4, v0
	;; [unrolled: 1-line block ×4, first 2 shown]
	v_cndmask_b32_e32 v4, 0, v4, vcc_lo
	v_cmp_gt_u32_e32 vcc_lo, s15, v40
	v_cndmask_b32_e64 v1, 0, v1, s1
	v_cndmask_b32_e32 v5, 0, v5, vcc_lo
	v_cmp_gt_u32_e32 vcc_lo, s15, v39
	v_cndmask_b32_e32 v6, 0, v6, vcc_lo
	v_cmp_gt_u32_e32 vcc_lo, s15, v38
	;; [unrolled: 2-line block ×8, first 2 shown]
	v_cndmask_b32_e32 v13, 0, v13, vcc_lo
	ds_write2st64_b32 v44, v1, v2 offset1:4
	ds_write2st64_b32 v44, v3, v4 offset0:8 offset1:12
	ds_write2st64_b32 v44, v5, v6 offset0:16 offset1:20
	;; [unrolled: 1-line block ×5, first 2 shown]
	ds_write_b32 v44, v13 offset:12288
	s_waitcnt vmcnt(0) lgkmcnt(0)
	s_barrier
.LBB594_8:
	v_mul_u32_u24_e32 v47, 13, v0
	s_waitcnt vmcnt(0)
	buffer_gl0_inv
	v_cndmask_b32_e64 v45, 0, 1, s3
	s_andn2_b32 vcc_lo, exec_lo, s3
	v_lshlrev_b32_e32 v1, 2, v47
	ds_read2_b32 v[28:29], v1 offset0:2 offset1:3
	ds_read2_b32 v[24:25], v1 offset0:6 offset1:7
	;; [unrolled: 1-line block ×3, first 2 shown]
	ds_read2_b32 v[30:31], v1 offset1:1
	ds_read2_b32 v[20:21], v1 offset0:10 offset1:11
	ds_read_b32 v46, v1 offset:48
	ds_read2_b32 v[22:23], v1 offset0:8 offset1:9
	s_waitcnt lgkmcnt(0)
	s_barrier
	buffer_gl0_inv
	s_cbranch_vccnz .LBB594_10
; %bb.9:
	v_add_nc_u32_e32 v1, s9, v29
	v_add_nc_u32_e32 v4, s9, v28
	;; [unrolled: 1-line block ×6, first 2 shown]
	v_mul_lo_u32 v4, v4, s8
	v_mul_lo_u32 v1, v1, s8
	;; [unrolled: 1-line block ×4, first 2 shown]
	v_add_nc_u32_e32 v3, s9, v30
	v_add_nc_u32_e32 v7, s11, v30
	v_mul_lo_u32 v2, v2, s8
	v_mul_lo_u32 v6, v6, s10
	v_add_nc_u32_e32 v10, s11, v27
	v_mul_lo_u32 v3, v3, s8
	v_mul_lo_u32 v7, v7, s10
	v_sub_nc_u32_e32 v1, v1, v5
	v_sub_nc_u32_e32 v4, v4, v8
	v_add_nc_u32_e32 v5, s9, v25
	v_add_nc_u32_e32 v8, s11, v25
	v_sub_nc_u32_e32 v2, v2, v6
	v_add_nc_u32_e32 v6, s9, v27
	v_add_nc_u32_e32 v9, s9, v24
	v_mul_lo_u32 v5, v5, s8
	v_mul_lo_u32 v8, v8, s10
	v_sub_nc_u32_e32 v3, v3, v7
	v_add_nc_u32_e32 v7, s9, v26
	v_add_nc_u32_e32 v11, s11, v24
	v_mul_lo_u32 v6, v6, s8
	v_mul_lo_u32 v10, v10, s10
	v_add_nc_u32_e32 v12, s11, v26
	v_mul_lo_u32 v9, v9, s8
	v_mul_lo_u32 v7, v7, s8
	;; [unrolled: 1-line block ×3, first 2 shown]
	v_sub_nc_u32_e32 v5, v5, v8
	v_mul_lo_u32 v8, v12, s10
	v_cmp_lt_u32_e32 vcc_lo, s2, v1
	v_sub_nc_u32_e32 v6, v6, v10
	v_add_nc_u32_e32 v10, s9, v21
	v_add_nc_u32_e32 v14, s11, v21
	;; [unrolled: 1-line block ×3, first 2 shown]
	v_cndmask_b32_e64 v1, 0, 1, vcc_lo
	v_cmp_lt_u32_e32 vcc_lo, s2, v2
	v_sub_nc_u32_e32 v7, v7, v8
	v_sub_nc_u32_e32 v8, v9, v11
	v_add_nc_u32_e32 v11, s9, v23
	v_mul_lo_u32 v10, v10, s8
	v_mul_lo_u32 v14, v14, s10
	v_cndmask_b32_e64 v2, 0, 1, vcc_lo
	v_cmp_lt_u32_e32 vcc_lo, s2, v5
	v_mul_lo_u32 v11, v11, s8
	v_mul_lo_u32 v15, v15, s10
	v_mov_b32_e32 v9, 8
	v_lshlrev_b16 v2, 8, v2
	v_cndmask_b32_e64 v5, 0, 1, vcc_lo
	v_cmp_lt_u32_e32 vcc_lo, s2, v6
	v_sub_nc_u32_e32 v10, v10, v14
	v_add_nc_u32_e32 v12, s9, v22
	v_add_nc_u32_e32 v16, s11, v22
	v_sub_nc_u32_e32 v11, v11, v15
	v_cndmask_b32_e64 v6, 0, 1, vcc_lo
	v_cmp_lt_u32_e32 vcc_lo, s2, v10
	v_lshrrev_b32_sdwa v2, v9, v2 dst_sel:BYTE_1 dst_unused:UNUSED_PAD src0_sel:DWORD src1_sel:DWORD
	v_add_nc_u32_e32 v13, s9, v20
	v_add_nc_u32_e32 v17, s11, v20
	v_mul_lo_u32 v12, v12, s8
	v_cndmask_b32_e64 v10, 0, 1, vcc_lo
	v_cmp_lt_u32_e32 vcc_lo, s2, v11
	v_mul_lo_u32 v16, v16, s10
	v_mul_lo_u32 v13, v13, s8
	;; [unrolled: 1-line block ×3, first 2 shown]
	v_add_nc_u32_e32 v14, s9, v46
	v_cndmask_b32_e64 v11, 0, 1, vcc_lo
	v_cmp_lt_u32_e32 vcc_lo, s2, v3
	v_add_nc_u32_e32 v15, s11, v46
	v_lshlrev_b16 v1, 8, v1
	v_sub_nc_u32_e32 v12, v12, v16
	v_lshlrev_b16 v11, 8, v11
	v_cndmask_b32_e64 v3, 0, 1, vcc_lo
	v_cmp_lt_u32_e32 vcc_lo, s2, v4
	v_sub_nc_u32_e32 v13, v13, v17
	v_mul_lo_u32 v14, v14, s8
	v_mul_lo_u32 v15, v15, s10
	v_or_b32_e32 v2, v3, v2
	v_cndmask_b32_e64 v3, 0, 1, vcc_lo
	v_cmp_lt_u32_e32 vcc_lo, s2, v7
	v_lshlrev_b16 v6, 8, v6
	v_lshlrev_b16 v10, 8, v10
	;; [unrolled: 1-line block ×3, first 2 shown]
	v_lshrrev_b32_sdwa v1, v9, v1 dst_sel:BYTE_1 dst_unused:UNUSED_PAD src0_sel:DWORD src1_sel:DWORD
	v_cndmask_b32_e64 v4, 0, 1, vcc_lo
	v_cmp_lt_u32_e32 vcc_lo, s2, v8
	v_lshrrev_b32_sdwa v8, v9, v11 dst_sel:BYTE_1 dst_unused:UNUSED_PAD src0_sel:DWORD src1_sel:DWORD
	v_lshrrev_b32_sdwa v6, v9, v6 dst_sel:BYTE_1 dst_unused:UNUSED_PAD src0_sel:DWORD src1_sel:DWORD
	v_sub_nc_u32_e32 v14, v14, v15
	v_lshrrev_b32_sdwa v9, v9, v10 dst_sel:BYTE_1 dst_unused:UNUSED_PAD src0_sel:DWORD src1_sel:DWORD
	v_cndmask_b32_e64 v7, 0, 1, vcc_lo
	v_cmp_lt_u32_e32 vcc_lo, s2, v12
	v_or_b32_sdwa v1, v3, v1 dst_sel:WORD_1 dst_unused:UNUSED_PAD src0_sel:DWORD src1_sel:DWORD
	v_or_b32_e32 v3, v4, v6
	v_or_b32_sdwa v4, v7, v5 dst_sel:WORD_1 dst_unused:UNUSED_PAD src0_sel:DWORD src1_sel:DWORD
	v_cndmask_b32_e64 v11, 0, 1, vcc_lo
	v_cmp_lt_u32_e32 vcc_lo, s2, v13
	v_or_b32_sdwa v52, v2, v1 dst_sel:DWORD dst_unused:UNUSED_PAD src0_sel:WORD_0 src1_sel:DWORD
	v_or_b32_sdwa v50, v3, v4 dst_sel:DWORD dst_unused:UNUSED_PAD src0_sel:WORD_0 src1_sel:DWORD
	v_or_b32_e32 v5, v11, v8
	v_cndmask_b32_e64 v10, 0, 1, vcc_lo
	v_cmp_lt_u32_e32 vcc_lo, s2, v14
	v_or_b32_sdwa v6, v10, v9 dst_sel:WORD_1 dst_unused:UNUSED_PAD src0_sel:DWORD src1_sel:DWORD
	v_cndmask_b32_e64 v48, 0, 1, vcc_lo
	v_or_b32_sdwa v49, v5, v6 dst_sel:DWORD dst_unused:UNUSED_PAD src0_sel:WORD_0 src1_sel:DWORD
	s_cbranch_execz .LBB594_11
	s_branch .LBB594_38
.LBB594_10:
                                        ; implicit-def: $vgpr48
                                        ; implicit-def: $vgpr49
                                        ; implicit-def: $vgpr50
                                        ; implicit-def: $vgpr52
.LBB594_11:
	v_mov_b32_e32 v2, 0
	v_mov_b32_e32 v1, 0
	s_mov_b32 s1, exec_lo
	v_cmpx_gt_u32_e64 s15, v47
	s_cbranch_execz .LBB594_13
; %bb.12:
	v_add_nc_u32_e32 v1, s9, v30
	v_add_nc_u32_e32 v3, s11, v30
	v_mul_lo_u32 v1, v1, s8
	v_mul_lo_u32 v3, v3, s10
	v_sub_nc_u32_e32 v1, v1, v3
	v_cmp_lt_u32_e32 vcc_lo, s2, v1
	v_cndmask_b32_e64 v1, 0, 1, vcc_lo
.LBB594_13:
	s_or_b32 exec_lo, exec_lo, s1
	v_add_nc_u32_e32 v3, 1, v47
	s_mov_b32 s1, exec_lo
	v_cmpx_gt_u32_e64 s15, v3
	s_cbranch_execz .LBB594_15
; %bb.14:
	v_add_nc_u32_e32 v2, s9, v31
	v_add_nc_u32_e32 v3, s11, v31
	v_mul_lo_u32 v2, v2, s8
	v_mul_lo_u32 v3, v3, s10
	v_sub_nc_u32_e32 v2, v2, v3
	v_cmp_lt_u32_e32 vcc_lo, s2, v2
	v_cndmask_b32_e64 v2, 0, 1, vcc_lo
.LBB594_15:
	s_or_b32 exec_lo, exec_lo, s1
	v_add_nc_u32_e32 v3, 2, v47
	v_mov_b32_e32 v4, 0
	v_cmp_gt_u32_e32 vcc_lo, s15, v3
	v_mov_b32_e32 v3, 0
	s_and_saveexec_b32 s1, vcc_lo
	s_cbranch_execz .LBB594_17
; %bb.16:
	v_add_nc_u32_e32 v3, s9, v28
	v_add_nc_u32_e32 v5, s11, v28
	v_mul_lo_u32 v3, v3, s8
	v_mul_lo_u32 v5, v5, s10
	v_sub_nc_u32_e32 v3, v3, v5
	v_cmp_lt_u32_e32 vcc_lo, s2, v3
	v_cndmask_b32_e64 v3, 0, 1, vcc_lo
.LBB594_17:
	s_or_b32 exec_lo, exec_lo, s1
	v_add_nc_u32_e32 v5, 3, v47
	s_mov_b32 s1, exec_lo
	v_cmpx_gt_u32_e64 s15, v5
	s_cbranch_execz .LBB594_19
; %bb.18:
	v_add_nc_u32_e32 v4, s9, v29
	v_add_nc_u32_e32 v5, s11, v29
	v_mul_lo_u32 v4, v4, s8
	v_mul_lo_u32 v5, v5, s10
	v_sub_nc_u32_e32 v4, v4, v5
	v_cmp_lt_u32_e32 vcc_lo, s2, v4
	v_cndmask_b32_e64 v4, 0, 1, vcc_lo
.LBB594_19:
	s_or_b32 exec_lo, exec_lo, s1
	v_add_nc_u32_e32 v5, 4, v47
	v_mov_b32_e32 v6, 0
	v_cmp_gt_u32_e32 vcc_lo, s15, v5
	v_mov_b32_e32 v5, 0
	s_and_saveexec_b32 s1, vcc_lo
	;; [unrolled: 30-line block ×5, first 2 shown]
	s_cbranch_execz .LBB594_33
; %bb.32:
	v_add_nc_u32_e32 v11, s9, v20
	v_add_nc_u32_e32 v13, s11, v20
	v_mul_lo_u32 v11, v11, s8
	v_mul_lo_u32 v13, v13, s10
	v_sub_nc_u32_e32 v11, v11, v13
	v_cmp_lt_u32_e32 vcc_lo, s2, v11
	v_cndmask_b32_e64 v11, 0, 1, vcc_lo
.LBB594_33:
	s_or_b32 exec_lo, exec_lo, s1
	v_add_nc_u32_e32 v13, 11, v47
	s_mov_b32 s1, exec_lo
	v_cmpx_gt_u32_e64 s15, v13
	s_cbranch_execz .LBB594_35
; %bb.34:
	v_add_nc_u32_e32 v12, s9, v21
	v_add_nc_u32_e32 v13, s11, v21
	v_mul_lo_u32 v12, v12, s8
	v_mul_lo_u32 v13, v13, s10
	v_sub_nc_u32_e32 v12, v12, v13
	v_cmp_lt_u32_e32 vcc_lo, s2, v12
	v_cndmask_b32_e64 v12, 0, 1, vcc_lo
.LBB594_35:
	s_or_b32 exec_lo, exec_lo, s1
	v_add_nc_u32_e32 v13, 12, v47
	v_mov_b32_e32 v48, 0
	s_mov_b32 s1, exec_lo
	v_cmpx_gt_u32_e64 s15, v13
	s_cbranch_execz .LBB594_37
; %bb.36:
	v_add_nc_u32_e32 v13, s9, v46
	v_add_nc_u32_e32 v14, s11, v46
	v_mul_lo_u32 v13, v13, s8
	v_mul_lo_u32 v14, v14, s10
	v_sub_nc_u32_e32 v13, v13, v14
	v_cmp_lt_u32_e32 vcc_lo, s2, v13
	v_cndmask_b32_e64 v48, 0, 1, vcc_lo
.LBB594_37:
	s_or_b32 exec_lo, exec_lo, s1
	v_lshlrev_b16 v2, 8, v2
	v_lshlrev_b16 v4, 8, v4
	;; [unrolled: 1-line block ×5, first 2 shown]
	v_or_b32_e32 v1, v1, v2
	v_lshlrev_b16 v2, 8, v12
	v_or_b32_sdwa v3, v3, v4 dst_sel:WORD_1 dst_unused:UNUSED_PAD src0_sel:DWORD src1_sel:DWORD
	v_or_b32_e32 v4, v5, v6
	v_or_b32_sdwa v5, v7, v8 dst_sel:WORD_1 dst_unused:UNUSED_PAD src0_sel:DWORD src1_sel:DWORD
	v_or_b32_e32 v6, v9, v10
	v_or_b32_sdwa v2, v11, v2 dst_sel:WORD_1 dst_unused:UNUSED_PAD src0_sel:DWORD src1_sel:DWORD
	v_or_b32_sdwa v52, v1, v3 dst_sel:DWORD dst_unused:UNUSED_PAD src0_sel:WORD_0 src1_sel:DWORD
	v_or_b32_sdwa v50, v4, v5 dst_sel:DWORD dst_unused:UNUSED_PAD src0_sel:WORD_0 src1_sel:DWORD
	;; [unrolled: 1-line block ×3, first 2 shown]
.LBB594_38:
	v_and_b32_e32 v55, 0xff, v52
	v_bfe_u32 v56, v52, 8, 8
	v_bfe_u32 v57, v52, 16, 8
	v_lshrrev_b32_e32 v54, 24, v52
	v_and_b32_e32 v58, 0xff, v50
	v_bfe_u32 v59, v50, 8, 8
	v_bfe_u32 v60, v50, 16, 8
	v_add3_u32 v1, v56, v55, v57
	v_lshrrev_b32_e32 v53, 24, v50
	v_and_b32_e32 v61, 0xff, v49
	v_bfe_u32 v62, v49, 8, 8
	v_mbcnt_lo_u32_b32 v64, -1, 0
	v_add3_u32 v1, v1, v54, v58
	v_bfe_u32 v63, v49, 16, 8
	v_lshrrev_b32_e32 v51, 24, v49
	v_and_b32_e32 v2, 0xff, v48
	v_and_b32_e32 v3, 15, v64
	v_add3_u32 v1, v1, v59, v60
	v_or_b32_e32 v4, 31, v0
	v_and_b32_e32 v5, 16, v64
	v_lshrrev_b32_e32 v65, 5, v0
	v_cmp_eq_u32_e64 s6, 0, v3
	v_add3_u32 v1, v1, v53, v61
	v_cmp_lt_u32_e64 s5, 1, v3
	v_cmp_lt_u32_e64 s4, 3, v3
	;; [unrolled: 1-line block ×3, first 2 shown]
	v_cmp_eq_u32_e64 s2, 0, v5
	v_add3_u32 v1, v1, v62, v63
	v_cmp_eq_u32_e64 s1, v0, v4
	s_cmp_lg_u32 s25, 0
	s_mov_b32 s7, -1
	v_add3_u32 v66, v1, v51, v2
	s_cbranch_scc0 .LBB594_60
; %bb.39:
	v_mov_b32_dpp v1, v66 row_shr:1 row_mask:0xf bank_mask:0xf
	v_cndmask_b32_e64 v1, v1, 0, s6
	v_add_nc_u32_e32 v1, v1, v66
	v_mov_b32_dpp v2, v1 row_shr:2 row_mask:0xf bank_mask:0xf
	v_cndmask_b32_e64 v2, 0, v2, s5
	v_add_nc_u32_e32 v1, v1, v2
	;; [unrolled: 3-line block ×4, first 2 shown]
	ds_swizzle_b32 v2, v1 offset:swizzle(BROADCAST,32,15)
	s_waitcnt lgkmcnt(0)
	v_cndmask_b32_e64 v2, v2, 0, s2
	v_add_nc_u32_e32 v1, v1, v2
	s_and_saveexec_b32 s7, s1
; %bb.40:
	v_lshlrev_b32_e32 v2, 2, v65
	ds_write_b32 v2, v1
; %bb.41:
	s_or_b32 exec_lo, exec_lo, s7
	s_mov_b32 s7, exec_lo
	s_waitcnt lgkmcnt(0)
	s_barrier
	buffer_gl0_inv
	v_cmpx_gt_u32_e32 8, v0
	s_cbranch_execz .LBB594_43
; %bb.42:
	ds_read_b32 v2, v44
	v_and_b32_e32 v3, 7, v64
	v_cmp_ne_u32_e32 vcc_lo, 0, v3
	s_waitcnt lgkmcnt(0)
	v_mov_b32_dpp v4, v2 row_shr:1 row_mask:0xf bank_mask:0xf
	v_cndmask_b32_e32 v4, 0, v4, vcc_lo
	v_cmp_lt_u32_e32 vcc_lo, 1, v3
	v_add_nc_u32_e32 v2, v4, v2
	v_mov_b32_dpp v4, v2 row_shr:2 row_mask:0xf bank_mask:0xf
	v_cndmask_b32_e32 v4, 0, v4, vcc_lo
	v_cmp_lt_u32_e32 vcc_lo, 3, v3
	v_add_nc_u32_e32 v2, v2, v4
	v_mov_b32_dpp v4, v2 row_shr:4 row_mask:0xf bank_mask:0xf
	v_cndmask_b32_e32 v3, 0, v4, vcc_lo
	v_add_nc_u32_e32 v2, v2, v3
	ds_write_b32 v44, v2
.LBB594_43:
	s_or_b32 exec_lo, exec_lo, s7
	s_mov_b32 s8, exec_lo
	v_cmp_gt_u32_e32 vcc_lo, 32, v0
	s_waitcnt lgkmcnt(0)
	s_barrier
	buffer_gl0_inv
                                        ; implicit-def: $vgpr10
	v_cmpx_lt_u32_e32 31, v0
	s_cbranch_execz .LBB594_45
; %bb.44:
	v_lshl_add_u32 v2, v65, 2, -4
	ds_read_b32 v10, v2
	s_waitcnt lgkmcnt(0)
	v_add_nc_u32_e32 v1, v10, v1
.LBB594_45:
	s_or_b32 exec_lo, exec_lo, s8
	v_sub_co_u32 v2, s7, v64, 1
	v_cmp_gt_i32_e64 s8, 0, v2
	v_cndmask_b32_e64 v2, v2, v64, s8
	v_lshlrev_b32_e32 v2, 2, v2
	ds_bpermute_b32 v11, v2, v1
	s_and_saveexec_b32 s8, vcc_lo
	s_cbranch_execz .LBB594_65
; %bb.46:
	v_mov_b32_e32 v7, 0
	ds_read_b32 v1, v7 offset:28
	s_and_saveexec_b32 s9, s7
	s_cbranch_execz .LBB594_48
; %bb.47:
	s_add_i32 s10, s25, 32
	s_mov_b32 s11, 0
	v_mov_b32_e32 v2, 1
	s_lshl_b64 s[10:11], s[10:11], 3
	s_add_u32 s10, s22, s10
	s_addc_u32 s11, s23, s11
	s_waitcnt lgkmcnt(0)
	global_store_dwordx2 v7, v[1:2], s[10:11]
.LBB594_48:
	s_or_b32 exec_lo, exec_lo, s9
	v_xad_u32 v3, v64, -1, s25
	s_mov_b32 s10, 0
	v_add_nc_u32_e32 v6, 32, v3
	v_lshlrev_b64 v[4:5], 3, v[6:7]
	v_add_co_u32 v8, vcc_lo, s22, v4
	v_add_co_ci_u32_e64 v9, null, s23, v5, vcc_lo
	global_load_dwordx2 v[5:6], v[8:9], off glc dlc
	s_waitcnt vmcnt(0)
	v_cmp_eq_u16_sdwa s11, v6, v7 src0_sel:BYTE_0 src1_sel:DWORD
	s_and_saveexec_b32 s9, s11
	s_cbranch_execz .LBB594_52
; %bb.49:
	v_mov_b32_e32 v2, 0
.LBB594_50:                             ; =>This Inner Loop Header: Depth=1
	global_load_dwordx2 v[5:6], v[8:9], off glc dlc
	s_waitcnt vmcnt(0)
	v_cmp_ne_u16_sdwa s11, v6, v2 src0_sel:BYTE_0 src1_sel:DWORD
	s_or_b32 s10, s11, s10
	s_andn2_b32 exec_lo, exec_lo, s10
	s_cbranch_execnz .LBB594_50
; %bb.51:
	s_or_b32 exec_lo, exec_lo, s10
.LBB594_52:
	s_or_b32 exec_lo, exec_lo, s9
	v_cmp_ne_u32_e32 vcc_lo, 31, v64
	v_mov_b32_e32 v12, 2
	v_lshlrev_b32_e64 v13, v64, -1
	v_add_nc_u32_e32 v15, 2, v64
	v_add_nc_u32_e32 v17, 4, v64
	v_add_co_ci_u32_e64 v2, null, 0, v64, vcc_lo
	v_cmp_eq_u16_sdwa s9, v6, v12 src0_sel:BYTE_0 src1_sel:DWORD
	v_cmp_gt_u32_e32 vcc_lo, 30, v64
	v_add_nc_u32_e32 v68, 8, v64
	v_lshlrev_b32_e32 v9, 2, v2
	v_lshl_or_b32 v69, v64, 2, 64
	v_and_or_b32 v4, s9, v13, 0x80000000
	v_cndmask_b32_e64 v7, 0, 2, vcc_lo
	v_add_nc_u32_e32 v70, 16, v64
	ds_bpermute_b32 v2, v9, v5
	v_ffbl_b32_e32 v4, v4
	v_add_lshl_u32 v14, v7, v64, 2
	v_cmp_lt_u32_e32 vcc_lo, v64, v4
	s_waitcnt lgkmcnt(0)
	v_cndmask_b32_e32 v2, 0, v2, vcc_lo
	v_cmp_gt_u32_e32 vcc_lo, 28, v64
	v_add_nc_u32_e32 v2, v2, v5
	v_cndmask_b32_e64 v7, 0, 4, vcc_lo
	v_cmp_le_u32_e32 vcc_lo, v15, v4
	ds_bpermute_b32 v5, v14, v2
	v_add_lshl_u32 v16, v7, v64, 2
	s_waitcnt lgkmcnt(0)
	v_cndmask_b32_e32 v5, 0, v5, vcc_lo
	v_cmp_gt_u32_e32 vcc_lo, 24, v64
	v_add_nc_u32_e32 v2, v2, v5
	v_cndmask_b32_e64 v7, 0, 8, vcc_lo
	v_cmp_le_u32_e32 vcc_lo, v17, v4
	ds_bpermute_b32 v5, v16, v2
	v_add_lshl_u32 v67, v7, v64, 2
	s_waitcnt lgkmcnt(0)
	v_cndmask_b32_e32 v5, 0, v5, vcc_lo
	v_cmp_le_u32_e32 vcc_lo, v68, v4
	v_add_nc_u32_e32 v2, v2, v5
	ds_bpermute_b32 v5, v67, v2
	s_waitcnt lgkmcnt(0)
	v_cndmask_b32_e32 v5, 0, v5, vcc_lo
	v_cmp_le_u32_e32 vcc_lo, v70, v4
	v_add_nc_u32_e32 v2, v2, v5
	ds_bpermute_b32 v5, v69, v2
	s_waitcnt lgkmcnt(0)
	v_cndmask_b32_e32 v4, 0, v5, vcc_lo
	v_add_nc_u32_e32 v5, v2, v4
	v_mov_b32_e32 v4, 0
	s_branch .LBB594_56
.LBB594_53:                             ;   in Loop: Header=BB594_56 Depth=1
	s_or_b32 exec_lo, exec_lo, s10
.LBB594_54:                             ;   in Loop: Header=BB594_56 Depth=1
	s_or_b32 exec_lo, exec_lo, s9
	ds_bpermute_b32 v7, v9, v5
	v_cmp_eq_u16_sdwa s9, v6, v12 src0_sel:BYTE_0 src1_sel:DWORD
	v_subrev_nc_u32_e32 v3, 32, v3
	v_and_or_b32 v8, s9, v13, 0x80000000
	s_mov_b32 s9, 0
	v_ffbl_b32_e32 v8, v8
	v_cmp_lt_u32_e32 vcc_lo, v64, v8
	s_waitcnt lgkmcnt(0)
	v_cndmask_b32_e32 v7, 0, v7, vcc_lo
	v_cmp_le_u32_e32 vcc_lo, v15, v8
	v_add_nc_u32_e32 v5, v7, v5
	ds_bpermute_b32 v7, v14, v5
	s_waitcnt lgkmcnt(0)
	v_cndmask_b32_e32 v7, 0, v7, vcc_lo
	v_cmp_le_u32_e32 vcc_lo, v17, v8
	v_add_nc_u32_e32 v5, v5, v7
	ds_bpermute_b32 v7, v16, v5
	;; [unrolled: 5-line block ×4, first 2 shown]
	s_waitcnt lgkmcnt(0)
	v_cndmask_b32_e32 v7, 0, v7, vcc_lo
	v_add3_u32 v5, v7, v2, v5
.LBB594_55:                             ;   in Loop: Header=BB594_56 Depth=1
	s_and_b32 vcc_lo, exec_lo, s9
	s_cbranch_vccnz .LBB594_61
.LBB594_56:                             ; =>This Loop Header: Depth=1
                                        ;     Child Loop BB594_59 Depth 2
	v_cmp_ne_u16_sdwa s9, v6, v12 src0_sel:BYTE_0 src1_sel:DWORD
	v_mov_b32_e32 v2, v5
                                        ; implicit-def: $vgpr5
                                        ; implicit-def: $vgpr6
	s_cmp_lg_u32 s9, exec_lo
	s_mov_b32 s9, -1
	s_cbranch_scc1 .LBB594_55
; %bb.57:                               ;   in Loop: Header=BB594_56 Depth=1
	v_lshlrev_b64 v[5:6], 3, v[3:4]
	v_add_co_u32 v7, vcc_lo, s22, v5
	v_add_co_ci_u32_e64 v8, null, s23, v6, vcc_lo
	global_load_dwordx2 v[5:6], v[7:8], off glc dlc
	s_waitcnt vmcnt(0)
	v_cmp_eq_u16_sdwa s10, v6, v4 src0_sel:BYTE_0 src1_sel:DWORD
	s_and_saveexec_b32 s9, s10
	s_cbranch_execz .LBB594_54
; %bb.58:                               ;   in Loop: Header=BB594_56 Depth=1
	s_mov_b32 s10, 0
.LBB594_59:                             ;   Parent Loop BB594_56 Depth=1
                                        ; =>  This Inner Loop Header: Depth=2
	global_load_dwordx2 v[5:6], v[7:8], off glc dlc
	s_waitcnt vmcnt(0)
	v_cmp_ne_u16_sdwa s11, v6, v4 src0_sel:BYTE_0 src1_sel:DWORD
	s_or_b32 s10, s11, s10
	s_andn2_b32 exec_lo, exec_lo, s10
	s_cbranch_execnz .LBB594_59
	s_branch .LBB594_53
.LBB594_60:
                                        ; implicit-def: $vgpr17
                                        ; implicit-def: $vgpr1_vgpr2_vgpr3_vgpr4_vgpr5_vgpr6_vgpr7_vgpr8_vgpr9_vgpr10_vgpr11_vgpr12_vgpr13_vgpr14_vgpr15_vgpr16
	s_and_b32 vcc_lo, exec_lo, s7
	s_cbranch_vccnz .LBB594_66
	s_branch .LBB594_75
.LBB594_61:
	s_and_saveexec_b32 s9, s7
	s_cbranch_execz .LBB594_63
; %bb.62:
	s_add_i32 s10, s25, 32
	s_mov_b32 s11, 0
	v_add_nc_u32_e32 v3, v2, v1
	v_mov_b32_e32 v4, 2
	s_lshl_b64 s[10:11], s[10:11], 3
	v_mov_b32_e32 v5, 0
	s_add_u32 s10, s22, s10
	s_addc_u32 s11, s23, s11
	global_store_dwordx2 v5, v[3:4], s[10:11]
	ds_write_b64 v5, v[1:2] offset:13312
.LBB594_63:
	s_or_b32 exec_lo, exec_lo, s9
	s_and_b32 exec_lo, exec_lo, s0
; %bb.64:
	v_mov_b32_e32 v1, 0
	ds_write_b32 v1, v2 offset:28
.LBB594_65:
	s_or_b32 exec_lo, exec_lo, s8
	v_mov_b32_e32 v12, 0
	s_waitcnt lgkmcnt(0)
	s_waitcnt_vscnt null, 0x0
	s_barrier
	buffer_gl0_inv
	v_cndmask_b32_e64 v2, v11, v10, s7
	ds_read_b32 v1, v12 offset:28
	s_waitcnt lgkmcnt(0)
	s_barrier
	buffer_gl0_inv
	v_cndmask_b32_e64 v2, v2, 0, s0
	ds_read_b64 v[16:17], v12 offset:13312
	v_add_nc_u32_e32 v1, v1, v2
	v_add_nc_u32_e32 v2, v1, v55
	;; [unrolled: 1-line block ×13, first 2 shown]
	s_branch .LBB594_75
.LBB594_66:
	v_mov_b32_dpp v1, v66 row_shr:1 row_mask:0xf bank_mask:0xf
	v_cndmask_b32_e64 v1, v1, 0, s6
	v_add_nc_u32_e32 v1, v1, v66
	v_mov_b32_dpp v2, v1 row_shr:2 row_mask:0xf bank_mask:0xf
	v_cndmask_b32_e64 v2, 0, v2, s5
	v_add_nc_u32_e32 v1, v1, v2
	;; [unrolled: 3-line block ×4, first 2 shown]
	ds_swizzle_b32 v2, v1 offset:swizzle(BROADCAST,32,15)
	s_waitcnt lgkmcnt(0)
	v_cndmask_b32_e64 v2, v2, 0, s2
	v_add_nc_u32_e32 v1, v1, v2
	s_and_saveexec_b32 s2, s1
; %bb.67:
	v_lshlrev_b32_e32 v2, 2, v65
	ds_write_b32 v2, v1
; %bb.68:
	s_or_b32 exec_lo, exec_lo, s2
	s_mov_b32 s1, exec_lo
	s_waitcnt lgkmcnt(0)
	s_barrier
	buffer_gl0_inv
	v_cmpx_gt_u32_e32 8, v0
	s_cbranch_execz .LBB594_70
; %bb.69:
	ds_read_b32 v2, v44
	v_and_b32_e32 v3, 7, v64
	v_cmp_ne_u32_e32 vcc_lo, 0, v3
	s_waitcnt lgkmcnt(0)
	v_mov_b32_dpp v4, v2 row_shr:1 row_mask:0xf bank_mask:0xf
	v_cndmask_b32_e32 v4, 0, v4, vcc_lo
	v_cmp_lt_u32_e32 vcc_lo, 1, v3
	v_add_nc_u32_e32 v2, v4, v2
	v_mov_b32_dpp v4, v2 row_shr:2 row_mask:0xf bank_mask:0xf
	v_cndmask_b32_e32 v4, 0, v4, vcc_lo
	v_cmp_lt_u32_e32 vcc_lo, 3, v3
	v_add_nc_u32_e32 v2, v2, v4
	v_mov_b32_dpp v4, v2 row_shr:4 row_mask:0xf bank_mask:0xf
	v_cndmask_b32_e32 v3, 0, v4, vcc_lo
	v_add_nc_u32_e32 v2, v2, v3
	ds_write_b32 v44, v2
.LBB594_70:
	s_or_b32 exec_lo, exec_lo, s1
	v_mov_b32_e32 v3, 0
	v_mov_b32_e32 v2, 0
	s_mov_b32 s1, exec_lo
	s_waitcnt lgkmcnt(0)
	s_barrier
	buffer_gl0_inv
	v_cmpx_lt_u32_e32 31, v0
; %bb.71:
	v_lshl_add_u32 v2, v65, 2, -4
	ds_read_b32 v2, v2
; %bb.72:
	s_or_b32 exec_lo, exec_lo, s1
	v_sub_co_u32 v4, vcc_lo, v64, 1
	s_waitcnt lgkmcnt(0)
	v_add_nc_u32_e32 v1, v2, v1
	ds_read_b32 v16, v3 offset:28
	v_cmp_gt_i32_e64 s1, 0, v4
	v_cndmask_b32_e64 v4, v4, v64, s1
	v_lshlrev_b32_e32 v4, 2, v4
	ds_bpermute_b32 v1, v4, v1
	s_and_saveexec_b32 s1, s0
	s_cbranch_execz .LBB594_74
; %bb.73:
	v_mov_b32_e32 v3, 0
	v_mov_b32_e32 v17, 2
	s_waitcnt lgkmcnt(1)
	global_store_dwordx2 v3, v[16:17], s[22:23] offset:256
.LBB594_74:
	s_or_b32 exec_lo, exec_lo, s1
	s_waitcnt lgkmcnt(0)
	v_cndmask_b32_e32 v1, v1, v2, vcc_lo
	v_mov_b32_e32 v17, 0
	s_waitcnt_vscnt null, 0x0
	s_barrier
	buffer_gl0_inv
	v_cndmask_b32_e64 v1, v1, 0, s0
	v_add_nc_u32_e32 v2, v1, v55
	v_add_nc_u32_e32 v3, v2, v56
	;; [unrolled: 1-line block ×12, first 2 shown]
.LBB594_75:
	s_waitcnt lgkmcnt(0)
	v_add_nc_u32_e32 v47, v16, v47
	v_sub_nc_u32_e32 v1, v1, v17
	v_and_b32_e32 v56, 1, v52
	v_lshrrev_b32_e32 v55, 8, v52
	v_sub_nc_u32_e32 v2, v2, v17
	v_sub_nc_u32_e32 v3, v3, v17
	;; [unrolled: 1-line block ×3, first 2 shown]
	v_cmp_eq_u32_e32 vcc_lo, 1, v56
	v_and_b32_e32 v55, 1, v55
	v_mov_b32_e32 v58, 1
	v_sub_nc_u32_e32 v56, v47, v2
	v_sub_nc_u32_e32 v4, v4, v17
	v_cndmask_b32_e32 v1, v57, v1, vcc_lo
	v_sub_nc_u32_e32 v57, v47, v3
	v_and_b32_sdwa v52, v58, v52 dst_sel:DWORD dst_unused:UNUSED_PAD src0_sel:DWORD src1_sel:WORD_1
	v_add_nc_u32_e32 v56, 1, v56
	v_cmp_eq_u32_e32 vcc_lo, 1, v55
	v_lshlrev_b32_e32 v1, 2, v1
	v_and_b32_e32 v54, 1, v54
	v_sub_nc_u32_e32 v59, v47, v4
	v_add_nc_u32_e32 v57, 2, v57
	v_lshrrev_b32_e32 v15, 8, v50
	ds_write_b32 v1, v30
	v_cndmask_b32_e32 v1, v56, v2, vcc_lo
	v_cmp_eq_u32_e32 vcc_lo, 1, v52
	v_add_nc_u32_e32 v59, 3, v59
	v_lshrrev_b32_e32 v14, 8, v49
	v_lshlrev_b32_e32 v1, 2, v1
	v_cndmask_b32_e32 v2, v57, v3, vcc_lo
	v_cmp_eq_u32_e32 vcc_lo, 1, v54
	ds_write_b32 v1, v31
	v_lshlrev_b32_e32 v2, 2, v2
	v_cndmask_b32_e32 v3, v59, v4, vcc_lo
	v_sub_nc_u32_e32 v4, v5, v17
	v_sub_nc_u32_e32 v5, v6, v17
	v_lshlrev_b32_e32 v3, 2, v3
	v_sub_nc_u32_e32 v1, v47, v4
	v_sub_nc_u32_e32 v6, v47, v5
	ds_write_b32 v2, v28
	ds_write_b32 v3, v29
	v_and_b32_e32 v2, 1, v50
	v_add_nc_u32_e32 v1, 4, v1
	v_add_nc_u32_e32 v3, 5, v6
	v_sub_nc_u32_e32 v6, v7, v17
	v_and_b32_e32 v7, 1, v15
	v_cmp_eq_u32_e32 vcc_lo, 1, v2
	v_sub_nc_u32_e32 v2, v8, v17
	v_and_b32_e32 v8, 1, v53
	v_add_co_u32 v15, s1, v18, v17
	v_cndmask_b32_e32 v1, v1, v4, vcc_lo
	v_sub_nc_u32_e32 v4, v47, v6
	v_cmp_eq_u32_e32 vcc_lo, 1, v7
	v_and_b32_sdwa v7, v58, v50 dst_sel:DWORD dst_unused:UNUSED_PAD src0_sel:DWORD src1_sel:WORD_1
	v_lshlrev_b32_e32 v1, 2, v1
	v_add_nc_u32_e32 v4, 6, v4
	v_cndmask_b32_e32 v3, v3, v5, vcc_lo
	v_sub_nc_u32_e32 v5, v47, v2
	v_cmp_eq_u32_e32 vcc_lo, 1, v7
	v_sub_nc_u32_e32 v7, v13, v17
	v_lshlrev_b32_e32 v3, 2, v3
	v_add_nc_u32_e32 v5, 7, v5
	v_cndmask_b32_e32 v4, v4, v6, vcc_lo
	v_cmp_eq_u32_e32 vcc_lo, 1, v8
	v_sub_nc_u32_e32 v6, v9, v17
	ds_write_b32 v1, v26
	ds_write_b32 v3, v27
	v_lshlrev_b32_e32 v3, 2, v4
	v_cndmask_b32_e32 v2, v5, v2, vcc_lo
	v_sub_nc_u32_e32 v1, v47, v6
	v_and_b32_e32 v5, 1, v49
	v_sub_nc_u32_e32 v4, v10, v17
	v_and_b32_e32 v10, 1, v51
	v_lshlrev_b32_e32 v2, 2, v2
	v_add_nc_u32_e32 v1, 8, v1
	ds_write_b32 v3, v24
	ds_write_b32 v2, v25
	v_cmp_eq_u32_e32 vcc_lo, 1, v5
	v_sub_nc_u32_e32 v3, v11, v17
	v_sub_nc_u32_e32 v2, v47, v4
	;; [unrolled: 1-line block ×3, first 2 shown]
	v_and_b32_e32 v11, 1, v48
	v_cndmask_b32_e32 v1, v1, v6, vcc_lo
	v_and_b32_e32 v6, 1, v14
	v_sub_nc_u32_e32 v8, v47, v3
	v_add_nc_u32_e32 v2, 9, v2
	v_sub_nc_u32_e32 v9, v47, v5
	v_lshlrev_b32_e32 v1, 2, v1
	v_cmp_eq_u32_e32 vcc_lo, 1, v6
	v_add_nc_u32_e32 v6, 10, v8
	v_and_b32_sdwa v8, v58, v49 dst_sel:DWORD dst_unused:UNUSED_PAD src0_sel:DWORD src1_sel:WORD_1
	v_add_nc_u32_e32 v9, 11, v9
	v_add_co_ci_u32_e64 v17, null, 0, v19, s1
	v_cndmask_b32_e32 v2, v2, v4, vcc_lo
	v_cmp_eq_u32_e32 vcc_lo, 1, v8
	v_sub_nc_u32_e32 v4, v47, v7
	v_lshlrev_b32_e32 v2, 2, v2
	v_cndmask_b32_e32 v3, v6, v3, vcc_lo
	v_cmp_eq_u32_e32 vcc_lo, 1, v10
	v_add_nc_u32_e32 v4, 12, v4
	v_lshlrev_b32_e32 v3, 2, v3
	v_cndmask_b32_e32 v5, v9, v5, vcc_lo
	v_cmp_eq_u32_e32 vcc_lo, 1, v11
	v_lshlrev_b32_e32 v5, 2, v5
	v_cndmask_b32_e32 v4, v4, v7, vcc_lo
	v_cmp_ne_u32_e32 vcc_lo, 1, v45
	v_lshlrev_b32_e32 v4, 2, v4
	ds_write_b32 v1, v22
	ds_write_b32 v2, v23
	;; [unrolled: 1-line block ×5, first 2 shown]
	s_waitcnt lgkmcnt(0)
	s_barrier
	buffer_gl0_inv
	ds_read2st64_b32 v[11:12], v44 offset1:4
	ds_read2st64_b32 v[9:10], v44 offset0:8 offset1:12
	ds_read2st64_b32 v[7:8], v44 offset0:16 offset1:20
	;; [unrolled: 1-line block ×5, first 2 shown]
	ds_read_b32 v20, v44 offset:12288
	s_cbranch_vccnz .LBB594_132
; %bb.76:
	s_sub_u32 s1, s20, s24
	v_sub_co_u32 v13, vcc_lo, v15, s18
	s_subb_u32 s2, s21, 0
	v_add_co_u32 v18, s1, s1, v16
	v_subrev_co_ci_u32_e64 v14, null, s19, v17, vcc_lo
	v_add_co_ci_u32_e64 v19, null, s2, 0, s1
	v_add_co_u32 v18, vcc_lo, v18, v13
	s_mov_b32 s1, exec_lo
	v_add_co_ci_u32_e64 v19, null, v19, v14, vcc_lo
                                        ; implicit-def: $vgpr13_vgpr14
	v_cmpx_ge_u32_e64 v0, v16
	s_xor_b32 s1, exec_lo, s1
; %bb.77:
	v_not_b32_e32 v13, v0
	v_ashrrev_i32_e32 v14, 31, v13
	v_add_co_u32 v13, vcc_lo, v18, v13
	v_add_co_ci_u32_e64 v14, null, v19, v14, vcc_lo
; %bb.78:
	s_andn2_saveexec_b32 s1, s1
; %bb.79:
	v_add_co_u32 v13, vcc_lo, v15, v0
	v_add_co_ci_u32_e64 v14, null, 0, v17, vcc_lo
; %bb.80:
	s_or_b32 exec_lo, exec_lo, s1
	v_lshlrev_b64 v[13:14], 2, v[13:14]
	s_mov_b32 s1, exec_lo
	v_add_co_u32 v13, vcc_lo, s16, v13
	v_add_co_ci_u32_e64 v14, null, s17, v14, vcc_lo
	s_waitcnt lgkmcnt(6)
	global_store_dword v[13:14], v11, off
                                        ; implicit-def: $vgpr13_vgpr14
	v_cmpx_ge_u32_e64 v43, v16
	s_xor_b32 s1, exec_lo, s1
; %bb.81:
	v_xor_b32_e32 v13, 0xfffffeff, v0
	v_ashrrev_i32_e32 v14, 31, v13
	v_add_co_u32 v13, vcc_lo, v18, v13
	v_add_co_ci_u32_e64 v14, null, v19, v14, vcc_lo
; %bb.82:
	s_andn2_saveexec_b32 s1, s1
; %bb.83:
	v_add_co_u32 v13, vcc_lo, v15, v43
	v_add_co_ci_u32_e64 v14, null, 0, v17, vcc_lo
; %bb.84:
	s_or_b32 exec_lo, exec_lo, s1
	v_lshlrev_b64 v[13:14], 2, v[13:14]
	s_mov_b32 s1, exec_lo
	v_add_co_u32 v13, vcc_lo, s16, v13
	v_add_co_ci_u32_e64 v14, null, s17, v14, vcc_lo
	global_store_dword v[13:14], v12, off
                                        ; implicit-def: $vgpr13_vgpr14
	v_cmpx_ge_u32_e64 v42, v16
	s_xor_b32 s1, exec_lo, s1
; %bb.85:
	v_xor_b32_e32 v13, 0xfffffdff, v0
	v_ashrrev_i32_e32 v14, 31, v13
	v_add_co_u32 v13, vcc_lo, v18, v13
	v_add_co_ci_u32_e64 v14, null, v19, v14, vcc_lo
; %bb.86:
	s_andn2_saveexec_b32 s1, s1
; %bb.87:
	v_add_co_u32 v13, vcc_lo, v15, v42
	v_add_co_ci_u32_e64 v14, null, 0, v17, vcc_lo
; %bb.88:
	s_or_b32 exec_lo, exec_lo, s1
	v_lshlrev_b64 v[13:14], 2, v[13:14]
	s_mov_b32 s1, exec_lo
	v_add_co_u32 v13, vcc_lo, s16, v13
	v_add_co_ci_u32_e64 v14, null, s17, v14, vcc_lo
	s_waitcnt lgkmcnt(5)
	global_store_dword v[13:14], v9, off
                                        ; implicit-def: $vgpr13_vgpr14
	v_cmpx_ge_u32_e64 v41, v16
	s_xor_b32 s1, exec_lo, s1
; %bb.89:
	v_xor_b32_e32 v13, 0xfffffcff, v0
	v_ashrrev_i32_e32 v14, 31, v13
	v_add_co_u32 v13, vcc_lo, v18, v13
	v_add_co_ci_u32_e64 v14, null, v19, v14, vcc_lo
; %bb.90:
	s_andn2_saveexec_b32 s1, s1
; %bb.91:
	v_add_co_u32 v13, vcc_lo, v15, v41
	v_add_co_ci_u32_e64 v14, null, 0, v17, vcc_lo
; %bb.92:
	s_or_b32 exec_lo, exec_lo, s1
	v_lshlrev_b64 v[13:14], 2, v[13:14]
	s_mov_b32 s1, exec_lo
	v_add_co_u32 v13, vcc_lo, s16, v13
	v_add_co_ci_u32_e64 v14, null, s17, v14, vcc_lo
	global_store_dword v[13:14], v10, off
                                        ; implicit-def: $vgpr13_vgpr14
	v_cmpx_ge_u32_e64 v40, v16
	s_xor_b32 s1, exec_lo, s1
; %bb.93:
	v_xor_b32_e32 v13, 0xfffffbff, v0
	;; [unrolled: 41-line block ×6, first 2 shown]
	v_ashrrev_i32_e32 v14, 31, v13
	v_add_co_u32 v13, vcc_lo, v18, v13
	v_add_co_ci_u32_e64 v14, null, v19, v14, vcc_lo
; %bb.126:
	s_andn2_saveexec_b32 s1, s1
; %bb.127:
	v_add_co_u32 v13, vcc_lo, v15, v32
	v_add_co_ci_u32_e64 v14, null, 0, v17, vcc_lo
; %bb.128:
	s_or_b32 exec_lo, exec_lo, s1
	s_mov_b32 s1, -1
.LBB594_129:
	s_and_saveexec_b32 s2, s1
	s_cbranch_execz .LBB594_212
.LBB594_130:
	s_waitcnt lgkmcnt(1)
	v_lshlrev_b64 v[0:1], 2, v[13:14]
	v_add_co_u32 v0, vcc_lo, s16, v0
	v_add_co_ci_u32_e64 v1, null, s17, v1, vcc_lo
	s_waitcnt lgkmcnt(0)
	global_store_dword v[0:1], v20, off
	s_or_b32 exec_lo, exec_lo, s2
	s_and_b32 s0, s0, s14
	s_and_saveexec_b32 s1, s0
	s_cbranch_execnz .LBB594_213
.LBB594_131:
	s_endpgm
.LBB594_132:
	s_mov_b32 s1, 0
                                        ; implicit-def: $vgpr13_vgpr14
	s_cbranch_execz .LBB594_129
; %bb.133:
	s_add_u32 s2, s18, s24
	s_addc_u32 s3, s19, 0
	s_sub_u32 s2, s20, s2
	s_subb_u32 s3, s21, s3
	v_add_co_u32 v13, s2, s2, v16
	v_add_co_ci_u32_e64 v14, null, s3, 0, s2
	s_mov_b32 s2, exec_lo
	v_add_co_u32 v18, vcc_lo, v13, v15
	v_add_co_ci_u32_e64 v19, null, v14, v17, vcc_lo
	v_cmpx_gt_u32_e64 s15, v0
	s_cbranch_execz .LBB594_169
; %bb.134:
	s_mov_b32 s3, exec_lo
                                        ; implicit-def: $vgpr13_vgpr14
	v_cmpx_ge_u32_e64 v0, v16
	s_xor_b32 s3, exec_lo, s3
; %bb.135:
	v_not_b32_e32 v13, v0
	v_ashrrev_i32_e32 v14, 31, v13
	v_add_co_u32 v13, vcc_lo, v18, v13
	v_add_co_ci_u32_e64 v14, null, v19, v14, vcc_lo
; %bb.136:
	s_andn2_saveexec_b32 s3, s3
; %bb.137:
	v_add_co_u32 v13, vcc_lo, v15, v0
	v_add_co_ci_u32_e64 v14, null, 0, v17, vcc_lo
; %bb.138:
	s_or_b32 exec_lo, exec_lo, s3
	v_lshlrev_b64 v[13:14], 2, v[13:14]
	v_add_co_u32 v13, vcc_lo, s16, v13
	v_add_co_ci_u32_e64 v14, null, s17, v14, vcc_lo
	s_waitcnt lgkmcnt(6)
	global_store_dword v[13:14], v11, off
	s_or_b32 exec_lo, exec_lo, s2
	s_mov_b32 s2, exec_lo
	v_cmpx_gt_u32_e64 s15, v43
	s_cbranch_execnz .LBB594_170
.LBB594_139:
	s_or_b32 exec_lo, exec_lo, s2
	s_mov_b32 s2, exec_lo
	v_cmpx_gt_u32_e64 s15, v42
	s_cbranch_execz .LBB594_175
.LBB594_140:
	s_mov_b32 s3, exec_lo
                                        ; implicit-def: $vgpr11_vgpr12
	v_cmpx_ge_u32_e64 v42, v16
	s_xor_b32 s3, exec_lo, s3
	s_cbranch_execz .LBB594_142
; %bb.141:
	s_waitcnt lgkmcnt(6)
	v_xor_b32_e32 v11, 0xfffffdff, v0
                                        ; implicit-def: $vgpr42
	v_ashrrev_i32_e32 v12, 31, v11
	v_add_co_u32 v11, vcc_lo, v18, v11
	v_add_co_ci_u32_e64 v12, null, v19, v12, vcc_lo
.LBB594_142:
	s_andn2_saveexec_b32 s3, s3
	s_cbranch_execz .LBB594_144
; %bb.143:
	s_waitcnt lgkmcnt(6)
	v_add_co_u32 v11, vcc_lo, v15, v42
	v_add_co_ci_u32_e64 v12, null, 0, v17, vcc_lo
.LBB594_144:
	s_or_b32 exec_lo, exec_lo, s3
	s_waitcnt lgkmcnt(6)
	v_lshlrev_b64 v[11:12], 2, v[11:12]
	v_add_co_u32 v11, vcc_lo, s16, v11
	v_add_co_ci_u32_e64 v12, null, s17, v12, vcc_lo
	s_waitcnt lgkmcnt(5)
	global_store_dword v[11:12], v9, off
	s_or_b32 exec_lo, exec_lo, s2
	s_mov_b32 s2, exec_lo
	v_cmpx_gt_u32_e64 s15, v41
	s_cbranch_execnz .LBB594_176
.LBB594_145:
	s_or_b32 exec_lo, exec_lo, s2
	s_mov_b32 s2, exec_lo
	v_cmpx_gt_u32_e64 s15, v40
	s_cbranch_execz .LBB594_181
.LBB594_146:
	s_mov_b32 s3, exec_lo
                                        ; implicit-def: $vgpr9_vgpr10
	v_cmpx_ge_u32_e64 v40, v16
	s_xor_b32 s3, exec_lo, s3
	s_cbranch_execz .LBB594_148
; %bb.147:
	s_waitcnt lgkmcnt(5)
	v_xor_b32_e32 v9, 0xfffffbff, v0
                                        ; implicit-def: $vgpr40
	v_ashrrev_i32_e32 v10, 31, v9
	v_add_co_u32 v9, vcc_lo, v18, v9
	v_add_co_ci_u32_e64 v10, null, v19, v10, vcc_lo
.LBB594_148:
	s_andn2_saveexec_b32 s3, s3
	s_cbranch_execz .LBB594_150
; %bb.149:
	s_waitcnt lgkmcnt(5)
	v_add_co_u32 v9, vcc_lo, v15, v40
	v_add_co_ci_u32_e64 v10, null, 0, v17, vcc_lo
.LBB594_150:
	s_or_b32 exec_lo, exec_lo, s3
	s_waitcnt lgkmcnt(5)
	v_lshlrev_b64 v[9:10], 2, v[9:10]
	v_add_co_u32 v9, vcc_lo, s16, v9
	v_add_co_ci_u32_e64 v10, null, s17, v10, vcc_lo
	s_waitcnt lgkmcnt(4)
	global_store_dword v[9:10], v7, off
	s_or_b32 exec_lo, exec_lo, s2
	s_mov_b32 s2, exec_lo
	v_cmpx_gt_u32_e64 s15, v39
	s_cbranch_execnz .LBB594_182
.LBB594_151:
	s_or_b32 exec_lo, exec_lo, s2
	s_mov_b32 s2, exec_lo
	v_cmpx_gt_u32_e64 s15, v38
	s_cbranch_execz .LBB594_187
.LBB594_152:
	s_mov_b32 s3, exec_lo
                                        ; implicit-def: $vgpr7_vgpr8
	v_cmpx_ge_u32_e64 v38, v16
	s_xor_b32 s3, exec_lo, s3
	s_cbranch_execz .LBB594_154
; %bb.153:
	s_waitcnt lgkmcnt(4)
	v_xor_b32_e32 v7, 0xfffff9ff, v0
                                        ; implicit-def: $vgpr38
	v_ashrrev_i32_e32 v8, 31, v7
	v_add_co_u32 v7, vcc_lo, v18, v7
	v_add_co_ci_u32_e64 v8, null, v19, v8, vcc_lo
.LBB594_154:
	s_andn2_saveexec_b32 s3, s3
	s_cbranch_execz .LBB594_156
; %bb.155:
	s_waitcnt lgkmcnt(4)
	v_add_co_u32 v7, vcc_lo, v15, v38
	v_add_co_ci_u32_e64 v8, null, 0, v17, vcc_lo
.LBB594_156:
	s_or_b32 exec_lo, exec_lo, s3
	s_waitcnt lgkmcnt(4)
	v_lshlrev_b64 v[7:8], 2, v[7:8]
	v_add_co_u32 v7, vcc_lo, s16, v7
	v_add_co_ci_u32_e64 v8, null, s17, v8, vcc_lo
	s_waitcnt lgkmcnt(3)
	global_store_dword v[7:8], v5, off
	s_or_b32 exec_lo, exec_lo, s2
	s_mov_b32 s2, exec_lo
	v_cmpx_gt_u32_e64 s15, v37
	s_cbranch_execnz .LBB594_188
.LBB594_157:
	s_or_b32 exec_lo, exec_lo, s2
	s_mov_b32 s2, exec_lo
	v_cmpx_gt_u32_e64 s15, v36
	s_cbranch_execz .LBB594_193
.LBB594_158:
	s_mov_b32 s3, exec_lo
                                        ; implicit-def: $vgpr5_vgpr6
	v_cmpx_ge_u32_e64 v36, v16
	s_xor_b32 s3, exec_lo, s3
	s_cbranch_execz .LBB594_160
; %bb.159:
	s_waitcnt lgkmcnt(3)
	v_xor_b32_e32 v5, 0xfffff7ff, v0
                                        ; implicit-def: $vgpr36
	v_ashrrev_i32_e32 v6, 31, v5
	v_add_co_u32 v5, vcc_lo, v18, v5
	v_add_co_ci_u32_e64 v6, null, v19, v6, vcc_lo
.LBB594_160:
	s_andn2_saveexec_b32 s3, s3
	s_cbranch_execz .LBB594_162
; %bb.161:
	s_waitcnt lgkmcnt(3)
	v_add_co_u32 v5, vcc_lo, v15, v36
	v_add_co_ci_u32_e64 v6, null, 0, v17, vcc_lo
.LBB594_162:
	s_or_b32 exec_lo, exec_lo, s3
	s_waitcnt lgkmcnt(3)
	v_lshlrev_b64 v[5:6], 2, v[5:6]
	v_add_co_u32 v5, vcc_lo, s16, v5
	v_add_co_ci_u32_e64 v6, null, s17, v6, vcc_lo
	s_waitcnt lgkmcnt(2)
	global_store_dword v[5:6], v3, off
	s_or_b32 exec_lo, exec_lo, s2
	s_mov_b32 s2, exec_lo
	v_cmpx_gt_u32_e64 s15, v35
	s_cbranch_execnz .LBB594_194
.LBB594_163:
	s_or_b32 exec_lo, exec_lo, s2
	s_mov_b32 s2, exec_lo
	v_cmpx_gt_u32_e64 s15, v34
	s_cbranch_execz .LBB594_199
.LBB594_164:
	s_mov_b32 s3, exec_lo
                                        ; implicit-def: $vgpr3_vgpr4
	v_cmpx_ge_u32_e64 v34, v16
	s_xor_b32 s3, exec_lo, s3
	s_cbranch_execz .LBB594_166
; %bb.165:
	s_waitcnt lgkmcnt(2)
	v_xor_b32_e32 v3, 0xfffff5ff, v0
                                        ; implicit-def: $vgpr34
	v_ashrrev_i32_e32 v4, 31, v3
	v_add_co_u32 v3, vcc_lo, v18, v3
	v_add_co_ci_u32_e64 v4, null, v19, v4, vcc_lo
.LBB594_166:
	s_andn2_saveexec_b32 s3, s3
	s_cbranch_execz .LBB594_168
; %bb.167:
	s_waitcnt lgkmcnt(2)
	v_add_co_u32 v3, vcc_lo, v15, v34
	v_add_co_ci_u32_e64 v4, null, 0, v17, vcc_lo
.LBB594_168:
	s_or_b32 exec_lo, exec_lo, s3
	s_waitcnt lgkmcnt(2)
	v_lshlrev_b64 v[3:4], 2, v[3:4]
	v_add_co_u32 v3, vcc_lo, s16, v3
	v_add_co_ci_u32_e64 v4, null, s17, v4, vcc_lo
	s_waitcnt lgkmcnt(1)
	global_store_dword v[3:4], v1, off
	s_or_b32 exec_lo, exec_lo, s2
	s_mov_b32 s2, exec_lo
	v_cmpx_gt_u32_e64 s15, v33
	s_cbranch_execz .LBB594_205
	s_branch .LBB594_200
.LBB594_169:
	s_or_b32 exec_lo, exec_lo, s2
	s_mov_b32 s2, exec_lo
	v_cmpx_gt_u32_e64 s15, v43
	s_cbranch_execz .LBB594_139
.LBB594_170:
	s_mov_b32 s3, exec_lo
                                        ; implicit-def: $vgpr13_vgpr14
	v_cmpx_ge_u32_e64 v43, v16
	s_xor_b32 s3, exec_lo, s3
	s_cbranch_execz .LBB594_172
; %bb.171:
	s_waitcnt lgkmcnt(6)
	v_xor_b32_e32 v11, 0xfffffeff, v0
                                        ; implicit-def: $vgpr43
	v_ashrrev_i32_e32 v14, 31, v11
	v_add_co_u32 v13, vcc_lo, v18, v11
	v_add_co_ci_u32_e64 v14, null, v19, v14, vcc_lo
.LBB594_172:
	s_andn2_saveexec_b32 s3, s3
; %bb.173:
	v_add_co_u32 v13, vcc_lo, v15, v43
	v_add_co_ci_u32_e64 v14, null, 0, v17, vcc_lo
; %bb.174:
	s_or_b32 exec_lo, exec_lo, s3
	v_lshlrev_b64 v[13:14], 2, v[13:14]
	v_add_co_u32 v13, vcc_lo, s16, v13
	v_add_co_ci_u32_e64 v14, null, s17, v14, vcc_lo
	s_waitcnt lgkmcnt(6)
	global_store_dword v[13:14], v12, off
	s_or_b32 exec_lo, exec_lo, s2
	s_mov_b32 s2, exec_lo
	v_cmpx_gt_u32_e64 s15, v42
	s_cbranch_execnz .LBB594_140
.LBB594_175:
	s_or_b32 exec_lo, exec_lo, s2
	s_mov_b32 s2, exec_lo
	v_cmpx_gt_u32_e64 s15, v41
	s_cbranch_execz .LBB594_145
.LBB594_176:
	s_mov_b32 s3, exec_lo
                                        ; implicit-def: $vgpr11_vgpr12
	v_cmpx_ge_u32_e64 v41, v16
	s_xor_b32 s3, exec_lo, s3
	s_cbranch_execz .LBB594_178
; %bb.177:
	s_waitcnt lgkmcnt(5)
	v_xor_b32_e32 v9, 0xfffffcff, v0
                                        ; implicit-def: $vgpr41
	v_ashrrev_i32_e32 v12, 31, v9
	v_add_co_u32 v11, vcc_lo, v18, v9
	v_add_co_ci_u32_e64 v12, null, v19, v12, vcc_lo
.LBB594_178:
	s_andn2_saveexec_b32 s3, s3
	s_cbranch_execz .LBB594_180
; %bb.179:
	s_waitcnt lgkmcnt(6)
	v_add_co_u32 v11, vcc_lo, v15, v41
	v_add_co_ci_u32_e64 v12, null, 0, v17, vcc_lo
.LBB594_180:
	s_or_b32 exec_lo, exec_lo, s3
	s_waitcnt lgkmcnt(6)
	v_lshlrev_b64 v[11:12], 2, v[11:12]
	v_add_co_u32 v11, vcc_lo, s16, v11
	v_add_co_ci_u32_e64 v12, null, s17, v12, vcc_lo
	s_waitcnt lgkmcnt(5)
	global_store_dword v[11:12], v10, off
	s_or_b32 exec_lo, exec_lo, s2
	s_mov_b32 s2, exec_lo
	v_cmpx_gt_u32_e64 s15, v40
	s_cbranch_execnz .LBB594_146
.LBB594_181:
	s_or_b32 exec_lo, exec_lo, s2
	s_mov_b32 s2, exec_lo
	v_cmpx_gt_u32_e64 s15, v39
	s_cbranch_execz .LBB594_151
.LBB594_182:
	s_mov_b32 s3, exec_lo
                                        ; implicit-def: $vgpr9_vgpr10
	v_cmpx_ge_u32_e64 v39, v16
	s_xor_b32 s3, exec_lo, s3
	s_cbranch_execz .LBB594_184
; %bb.183:
	s_waitcnt lgkmcnt(4)
	v_xor_b32_e32 v7, 0xfffffaff, v0
                                        ; implicit-def: $vgpr39
	v_ashrrev_i32_e32 v10, 31, v7
	v_add_co_u32 v9, vcc_lo, v18, v7
	v_add_co_ci_u32_e64 v10, null, v19, v10, vcc_lo
.LBB594_184:
	s_andn2_saveexec_b32 s3, s3
	s_cbranch_execz .LBB594_186
; %bb.185:
	s_waitcnt lgkmcnt(5)
	v_add_co_u32 v9, vcc_lo, v15, v39
	v_add_co_ci_u32_e64 v10, null, 0, v17, vcc_lo
.LBB594_186:
	s_or_b32 exec_lo, exec_lo, s3
	s_waitcnt lgkmcnt(5)
	v_lshlrev_b64 v[9:10], 2, v[9:10]
	v_add_co_u32 v9, vcc_lo, s16, v9
	v_add_co_ci_u32_e64 v10, null, s17, v10, vcc_lo
	s_waitcnt lgkmcnt(4)
	global_store_dword v[9:10], v8, off
	s_or_b32 exec_lo, exec_lo, s2
	s_mov_b32 s2, exec_lo
	v_cmpx_gt_u32_e64 s15, v38
	s_cbranch_execnz .LBB594_152
.LBB594_187:
	s_or_b32 exec_lo, exec_lo, s2
	s_mov_b32 s2, exec_lo
	v_cmpx_gt_u32_e64 s15, v37
	s_cbranch_execz .LBB594_157
.LBB594_188:
	s_mov_b32 s3, exec_lo
                                        ; implicit-def: $vgpr7_vgpr8
	v_cmpx_ge_u32_e64 v37, v16
	s_xor_b32 s3, exec_lo, s3
	s_cbranch_execz .LBB594_190
; %bb.189:
	s_waitcnt lgkmcnt(3)
	v_xor_b32_e32 v5, 0xfffff8ff, v0
                                        ; implicit-def: $vgpr37
	v_ashrrev_i32_e32 v8, 31, v5
	v_add_co_u32 v7, vcc_lo, v18, v5
	v_add_co_ci_u32_e64 v8, null, v19, v8, vcc_lo
.LBB594_190:
	s_andn2_saveexec_b32 s3, s3
	s_cbranch_execz .LBB594_192
; %bb.191:
	s_waitcnt lgkmcnt(4)
	v_add_co_u32 v7, vcc_lo, v15, v37
	v_add_co_ci_u32_e64 v8, null, 0, v17, vcc_lo
.LBB594_192:
	s_or_b32 exec_lo, exec_lo, s3
	s_waitcnt lgkmcnt(4)
	v_lshlrev_b64 v[7:8], 2, v[7:8]
	v_add_co_u32 v7, vcc_lo, s16, v7
	v_add_co_ci_u32_e64 v8, null, s17, v8, vcc_lo
	s_waitcnt lgkmcnt(3)
	global_store_dword v[7:8], v6, off
	s_or_b32 exec_lo, exec_lo, s2
	s_mov_b32 s2, exec_lo
	v_cmpx_gt_u32_e64 s15, v36
	s_cbranch_execnz .LBB594_158
.LBB594_193:
	s_or_b32 exec_lo, exec_lo, s2
	s_mov_b32 s2, exec_lo
	v_cmpx_gt_u32_e64 s15, v35
	s_cbranch_execz .LBB594_163
.LBB594_194:
	s_mov_b32 s3, exec_lo
                                        ; implicit-def: $vgpr5_vgpr6
	v_cmpx_ge_u32_e64 v35, v16
	s_xor_b32 s3, exec_lo, s3
	s_cbranch_execz .LBB594_196
; %bb.195:
	s_waitcnt lgkmcnt(2)
	v_xor_b32_e32 v3, 0xfffff6ff, v0
                                        ; implicit-def: $vgpr35
	v_ashrrev_i32_e32 v6, 31, v3
	v_add_co_u32 v5, vcc_lo, v18, v3
	v_add_co_ci_u32_e64 v6, null, v19, v6, vcc_lo
.LBB594_196:
	s_andn2_saveexec_b32 s3, s3
	s_cbranch_execz .LBB594_198
; %bb.197:
	s_waitcnt lgkmcnt(3)
	v_add_co_u32 v5, vcc_lo, v15, v35
	v_add_co_ci_u32_e64 v6, null, 0, v17, vcc_lo
.LBB594_198:
	s_or_b32 exec_lo, exec_lo, s3
	s_waitcnt lgkmcnt(3)
	v_lshlrev_b64 v[5:6], 2, v[5:6]
	v_add_co_u32 v5, vcc_lo, s16, v5
	v_add_co_ci_u32_e64 v6, null, s17, v6, vcc_lo
	s_waitcnt lgkmcnt(2)
	global_store_dword v[5:6], v4, off
	s_or_b32 exec_lo, exec_lo, s2
	s_mov_b32 s2, exec_lo
	v_cmpx_gt_u32_e64 s15, v34
	s_cbranch_execnz .LBB594_164
.LBB594_199:
	s_or_b32 exec_lo, exec_lo, s2
	s_mov_b32 s2, exec_lo
	v_cmpx_gt_u32_e64 s15, v33
	s_cbranch_execz .LBB594_205
.LBB594_200:
	s_mov_b32 s3, exec_lo
                                        ; implicit-def: $vgpr3_vgpr4
	v_cmpx_ge_u32_e64 v33, v16
	s_xor_b32 s3, exec_lo, s3
	s_cbranch_execz .LBB594_202
; %bb.201:
	s_waitcnt lgkmcnt(1)
	v_xor_b32_e32 v1, 0xfffff4ff, v0
                                        ; implicit-def: $vgpr33
	v_ashrrev_i32_e32 v4, 31, v1
	v_add_co_u32 v3, vcc_lo, v18, v1
	v_add_co_ci_u32_e64 v4, null, v19, v4, vcc_lo
.LBB594_202:
	s_andn2_saveexec_b32 s3, s3
	s_cbranch_execz .LBB594_204
; %bb.203:
	s_waitcnt lgkmcnt(2)
	v_add_co_u32 v3, vcc_lo, v15, v33
	v_add_co_ci_u32_e64 v4, null, 0, v17, vcc_lo
.LBB594_204:
	s_or_b32 exec_lo, exec_lo, s3
	s_waitcnt lgkmcnt(2)
	v_lshlrev_b64 v[3:4], 2, v[3:4]
	v_add_co_u32 v3, vcc_lo, s16, v3
	v_add_co_ci_u32_e64 v4, null, s17, v4, vcc_lo
	s_waitcnt lgkmcnt(1)
	global_store_dword v[3:4], v2, off
.LBB594_205:
	s_or_b32 exec_lo, exec_lo, s2
	s_mov_b32 s2, exec_lo
                                        ; implicit-def: $vgpr13_vgpr14
	v_cmpx_gt_u32_e64 s15, v32
	s_cbranch_execz .LBB594_211
; %bb.206:
	s_mov_b32 s3, exec_lo
                                        ; implicit-def: $vgpr13_vgpr14
	v_cmpx_ge_u32_e64 v32, v16
	s_xor_b32 s3, exec_lo, s3
	s_cbranch_execz .LBB594_208
; %bb.207:
	v_xor_b32_e32 v0, 0xfffff3ff, v0
                                        ; implicit-def: $vgpr32
	s_waitcnt lgkmcnt(1)
	v_ashrrev_i32_e32 v1, 31, v0
	v_add_co_u32 v13, vcc_lo, v18, v0
	v_add_co_ci_u32_e64 v14, null, v19, v1, vcc_lo
.LBB594_208:
	s_andn2_saveexec_b32 s3, s3
; %bb.209:
	v_add_co_u32 v13, vcc_lo, v15, v32
	v_add_co_ci_u32_e64 v14, null, 0, v17, vcc_lo
; %bb.210:
	s_or_b32 exec_lo, exec_lo, s3
	s_or_b32 s1, s1, exec_lo
.LBB594_211:
	s_or_b32 exec_lo, exec_lo, s2
	s_and_saveexec_b32 s2, s1
	s_cbranch_execnz .LBB594_130
.LBB594_212:
	s_or_b32 exec_lo, exec_lo, s2
	s_and_b32 s0, s0, s14
	s_and_saveexec_b32 s1, s0
	s_cbranch_execz .LBB594_131
.LBB594_213:
	v_add_co_u32 v0, vcc_lo, v15, v16
	s_waitcnt lgkmcnt(1)
	v_mov_b32_e32 v2, 0
	v_add_co_ci_u32_e64 v1, null, 0, v17, vcc_lo
	global_store_dwordx2 v2, v[0:1], s[12:13]
	s_endpgm
	.section	.rodata,"a",@progbits
	.p2align	6, 0x0
	.amdhsa_kernel _ZN7rocprim17ROCPRIM_400000_NS6detail17trampoline_kernelINS0_13select_configILj256ELj13ELNS0_17block_load_methodE3ELS4_3ELS4_3ELNS0_20block_scan_algorithmE0ELj4294967295EEENS1_25partition_config_selectorILNS1_17partition_subalgoE3EjNS0_10empty_typeEbEEZZNS1_14partition_implILS8_3ELb0ES6_jNS0_17counting_iteratorIjlEEPS9_SE_NS0_5tupleIJPjSE_EEENSF_IJSE_SE_EEES9_SG_JZNS1_25segmented_radix_sort_implINS0_14default_configELb0EPKiPiPKlPlN2at6native12_GLOBAL__N_18offset_tEEE10hipError_tPvRmT1_PNSt15iterator_traitsISY_E10value_typeET2_T3_PNSZ_IS14_E10value_typeET4_jRbjT5_S1A_jjP12ihipStream_tbEUljE_EEESV_SW_SX_S14_S18_S1A_T6_T7_T9_mT8_S1C_bDpT10_ENKUlT_T0_E_clISt17integral_constantIbLb0EES1O_IbLb1EEEEDaS1K_S1L_EUlS1K_E_NS1_11comp_targetILNS1_3genE8ELNS1_11target_archE1030ELNS1_3gpuE2ELNS1_3repE0EEENS1_30default_config_static_selectorELNS0_4arch9wavefront6targetE0EEEvSY_
		.amdhsa_group_segment_fixed_size 13320
		.amdhsa_private_segment_fixed_size 0
		.amdhsa_kernarg_size 152
		.amdhsa_user_sgpr_count 6
		.amdhsa_user_sgpr_private_segment_buffer 1
		.amdhsa_user_sgpr_dispatch_ptr 0
		.amdhsa_user_sgpr_queue_ptr 0
		.amdhsa_user_sgpr_kernarg_segment_ptr 1
		.amdhsa_user_sgpr_dispatch_id 0
		.amdhsa_user_sgpr_flat_scratch_init 0
		.amdhsa_user_sgpr_private_segment_size 0
		.amdhsa_wavefront_size32 1
		.amdhsa_uses_dynamic_stack 0
		.amdhsa_system_sgpr_private_segment_wavefront_offset 0
		.amdhsa_system_sgpr_workgroup_id_x 1
		.amdhsa_system_sgpr_workgroup_id_y 0
		.amdhsa_system_sgpr_workgroup_id_z 0
		.amdhsa_system_sgpr_workgroup_info 0
		.amdhsa_system_vgpr_workitem_id 0
		.amdhsa_next_free_vgpr 71
		.amdhsa_next_free_sgpr 26
		.amdhsa_reserve_vcc 1
		.amdhsa_reserve_flat_scratch 0
		.amdhsa_float_round_mode_32 0
		.amdhsa_float_round_mode_16_64 0
		.amdhsa_float_denorm_mode_32 3
		.amdhsa_float_denorm_mode_16_64 3
		.amdhsa_dx10_clamp 1
		.amdhsa_ieee_mode 1
		.amdhsa_fp16_overflow 0
		.amdhsa_workgroup_processor_mode 1
		.amdhsa_memory_ordered 1
		.amdhsa_forward_progress 1
		.amdhsa_shared_vgpr_count 0
		.amdhsa_exception_fp_ieee_invalid_op 0
		.amdhsa_exception_fp_denorm_src 0
		.amdhsa_exception_fp_ieee_div_zero 0
		.amdhsa_exception_fp_ieee_overflow 0
		.amdhsa_exception_fp_ieee_underflow 0
		.amdhsa_exception_fp_ieee_inexact 0
		.amdhsa_exception_int_div_zero 0
	.end_amdhsa_kernel
	.section	.text._ZN7rocprim17ROCPRIM_400000_NS6detail17trampoline_kernelINS0_13select_configILj256ELj13ELNS0_17block_load_methodE3ELS4_3ELS4_3ELNS0_20block_scan_algorithmE0ELj4294967295EEENS1_25partition_config_selectorILNS1_17partition_subalgoE3EjNS0_10empty_typeEbEEZZNS1_14partition_implILS8_3ELb0ES6_jNS0_17counting_iteratorIjlEEPS9_SE_NS0_5tupleIJPjSE_EEENSF_IJSE_SE_EEES9_SG_JZNS1_25segmented_radix_sort_implINS0_14default_configELb0EPKiPiPKlPlN2at6native12_GLOBAL__N_18offset_tEEE10hipError_tPvRmT1_PNSt15iterator_traitsISY_E10value_typeET2_T3_PNSZ_IS14_E10value_typeET4_jRbjT5_S1A_jjP12ihipStream_tbEUljE_EEESV_SW_SX_S14_S18_S1A_T6_T7_T9_mT8_S1C_bDpT10_ENKUlT_T0_E_clISt17integral_constantIbLb0EES1O_IbLb1EEEEDaS1K_S1L_EUlS1K_E_NS1_11comp_targetILNS1_3genE8ELNS1_11target_archE1030ELNS1_3gpuE2ELNS1_3repE0EEENS1_30default_config_static_selectorELNS0_4arch9wavefront6targetE0EEEvSY_,"axG",@progbits,_ZN7rocprim17ROCPRIM_400000_NS6detail17trampoline_kernelINS0_13select_configILj256ELj13ELNS0_17block_load_methodE3ELS4_3ELS4_3ELNS0_20block_scan_algorithmE0ELj4294967295EEENS1_25partition_config_selectorILNS1_17partition_subalgoE3EjNS0_10empty_typeEbEEZZNS1_14partition_implILS8_3ELb0ES6_jNS0_17counting_iteratorIjlEEPS9_SE_NS0_5tupleIJPjSE_EEENSF_IJSE_SE_EEES9_SG_JZNS1_25segmented_radix_sort_implINS0_14default_configELb0EPKiPiPKlPlN2at6native12_GLOBAL__N_18offset_tEEE10hipError_tPvRmT1_PNSt15iterator_traitsISY_E10value_typeET2_T3_PNSZ_IS14_E10value_typeET4_jRbjT5_S1A_jjP12ihipStream_tbEUljE_EEESV_SW_SX_S14_S18_S1A_T6_T7_T9_mT8_S1C_bDpT10_ENKUlT_T0_E_clISt17integral_constantIbLb0EES1O_IbLb1EEEEDaS1K_S1L_EUlS1K_E_NS1_11comp_targetILNS1_3genE8ELNS1_11target_archE1030ELNS1_3gpuE2ELNS1_3repE0EEENS1_30default_config_static_selectorELNS0_4arch9wavefront6targetE0EEEvSY_,comdat
.Lfunc_end594:
	.size	_ZN7rocprim17ROCPRIM_400000_NS6detail17trampoline_kernelINS0_13select_configILj256ELj13ELNS0_17block_load_methodE3ELS4_3ELS4_3ELNS0_20block_scan_algorithmE0ELj4294967295EEENS1_25partition_config_selectorILNS1_17partition_subalgoE3EjNS0_10empty_typeEbEEZZNS1_14partition_implILS8_3ELb0ES6_jNS0_17counting_iteratorIjlEEPS9_SE_NS0_5tupleIJPjSE_EEENSF_IJSE_SE_EEES9_SG_JZNS1_25segmented_radix_sort_implINS0_14default_configELb0EPKiPiPKlPlN2at6native12_GLOBAL__N_18offset_tEEE10hipError_tPvRmT1_PNSt15iterator_traitsISY_E10value_typeET2_T3_PNSZ_IS14_E10value_typeET4_jRbjT5_S1A_jjP12ihipStream_tbEUljE_EEESV_SW_SX_S14_S18_S1A_T6_T7_T9_mT8_S1C_bDpT10_ENKUlT_T0_E_clISt17integral_constantIbLb0EES1O_IbLb1EEEEDaS1K_S1L_EUlS1K_E_NS1_11comp_targetILNS1_3genE8ELNS1_11target_archE1030ELNS1_3gpuE2ELNS1_3repE0EEENS1_30default_config_static_selectorELNS0_4arch9wavefront6targetE0EEEvSY_, .Lfunc_end594-_ZN7rocprim17ROCPRIM_400000_NS6detail17trampoline_kernelINS0_13select_configILj256ELj13ELNS0_17block_load_methodE3ELS4_3ELS4_3ELNS0_20block_scan_algorithmE0ELj4294967295EEENS1_25partition_config_selectorILNS1_17partition_subalgoE3EjNS0_10empty_typeEbEEZZNS1_14partition_implILS8_3ELb0ES6_jNS0_17counting_iteratorIjlEEPS9_SE_NS0_5tupleIJPjSE_EEENSF_IJSE_SE_EEES9_SG_JZNS1_25segmented_radix_sort_implINS0_14default_configELb0EPKiPiPKlPlN2at6native12_GLOBAL__N_18offset_tEEE10hipError_tPvRmT1_PNSt15iterator_traitsISY_E10value_typeET2_T3_PNSZ_IS14_E10value_typeET4_jRbjT5_S1A_jjP12ihipStream_tbEUljE_EEESV_SW_SX_S14_S18_S1A_T6_T7_T9_mT8_S1C_bDpT10_ENKUlT_T0_E_clISt17integral_constantIbLb0EES1O_IbLb1EEEEDaS1K_S1L_EUlS1K_E_NS1_11comp_targetILNS1_3genE8ELNS1_11target_archE1030ELNS1_3gpuE2ELNS1_3repE0EEENS1_30default_config_static_selectorELNS0_4arch9wavefront6targetE0EEEvSY_
                                        ; -- End function
	.set _ZN7rocprim17ROCPRIM_400000_NS6detail17trampoline_kernelINS0_13select_configILj256ELj13ELNS0_17block_load_methodE3ELS4_3ELS4_3ELNS0_20block_scan_algorithmE0ELj4294967295EEENS1_25partition_config_selectorILNS1_17partition_subalgoE3EjNS0_10empty_typeEbEEZZNS1_14partition_implILS8_3ELb0ES6_jNS0_17counting_iteratorIjlEEPS9_SE_NS0_5tupleIJPjSE_EEENSF_IJSE_SE_EEES9_SG_JZNS1_25segmented_radix_sort_implINS0_14default_configELb0EPKiPiPKlPlN2at6native12_GLOBAL__N_18offset_tEEE10hipError_tPvRmT1_PNSt15iterator_traitsISY_E10value_typeET2_T3_PNSZ_IS14_E10value_typeET4_jRbjT5_S1A_jjP12ihipStream_tbEUljE_EEESV_SW_SX_S14_S18_S1A_T6_T7_T9_mT8_S1C_bDpT10_ENKUlT_T0_E_clISt17integral_constantIbLb0EES1O_IbLb1EEEEDaS1K_S1L_EUlS1K_E_NS1_11comp_targetILNS1_3genE8ELNS1_11target_archE1030ELNS1_3gpuE2ELNS1_3repE0EEENS1_30default_config_static_selectorELNS0_4arch9wavefront6targetE0EEEvSY_.num_vgpr, 71
	.set _ZN7rocprim17ROCPRIM_400000_NS6detail17trampoline_kernelINS0_13select_configILj256ELj13ELNS0_17block_load_methodE3ELS4_3ELS4_3ELNS0_20block_scan_algorithmE0ELj4294967295EEENS1_25partition_config_selectorILNS1_17partition_subalgoE3EjNS0_10empty_typeEbEEZZNS1_14partition_implILS8_3ELb0ES6_jNS0_17counting_iteratorIjlEEPS9_SE_NS0_5tupleIJPjSE_EEENSF_IJSE_SE_EEES9_SG_JZNS1_25segmented_radix_sort_implINS0_14default_configELb0EPKiPiPKlPlN2at6native12_GLOBAL__N_18offset_tEEE10hipError_tPvRmT1_PNSt15iterator_traitsISY_E10value_typeET2_T3_PNSZ_IS14_E10value_typeET4_jRbjT5_S1A_jjP12ihipStream_tbEUljE_EEESV_SW_SX_S14_S18_S1A_T6_T7_T9_mT8_S1C_bDpT10_ENKUlT_T0_E_clISt17integral_constantIbLb0EES1O_IbLb1EEEEDaS1K_S1L_EUlS1K_E_NS1_11comp_targetILNS1_3genE8ELNS1_11target_archE1030ELNS1_3gpuE2ELNS1_3repE0EEENS1_30default_config_static_selectorELNS0_4arch9wavefront6targetE0EEEvSY_.num_agpr, 0
	.set _ZN7rocprim17ROCPRIM_400000_NS6detail17trampoline_kernelINS0_13select_configILj256ELj13ELNS0_17block_load_methodE3ELS4_3ELS4_3ELNS0_20block_scan_algorithmE0ELj4294967295EEENS1_25partition_config_selectorILNS1_17partition_subalgoE3EjNS0_10empty_typeEbEEZZNS1_14partition_implILS8_3ELb0ES6_jNS0_17counting_iteratorIjlEEPS9_SE_NS0_5tupleIJPjSE_EEENSF_IJSE_SE_EEES9_SG_JZNS1_25segmented_radix_sort_implINS0_14default_configELb0EPKiPiPKlPlN2at6native12_GLOBAL__N_18offset_tEEE10hipError_tPvRmT1_PNSt15iterator_traitsISY_E10value_typeET2_T3_PNSZ_IS14_E10value_typeET4_jRbjT5_S1A_jjP12ihipStream_tbEUljE_EEESV_SW_SX_S14_S18_S1A_T6_T7_T9_mT8_S1C_bDpT10_ENKUlT_T0_E_clISt17integral_constantIbLb0EES1O_IbLb1EEEEDaS1K_S1L_EUlS1K_E_NS1_11comp_targetILNS1_3genE8ELNS1_11target_archE1030ELNS1_3gpuE2ELNS1_3repE0EEENS1_30default_config_static_selectorELNS0_4arch9wavefront6targetE0EEEvSY_.numbered_sgpr, 26
	.set _ZN7rocprim17ROCPRIM_400000_NS6detail17trampoline_kernelINS0_13select_configILj256ELj13ELNS0_17block_load_methodE3ELS4_3ELS4_3ELNS0_20block_scan_algorithmE0ELj4294967295EEENS1_25partition_config_selectorILNS1_17partition_subalgoE3EjNS0_10empty_typeEbEEZZNS1_14partition_implILS8_3ELb0ES6_jNS0_17counting_iteratorIjlEEPS9_SE_NS0_5tupleIJPjSE_EEENSF_IJSE_SE_EEES9_SG_JZNS1_25segmented_radix_sort_implINS0_14default_configELb0EPKiPiPKlPlN2at6native12_GLOBAL__N_18offset_tEEE10hipError_tPvRmT1_PNSt15iterator_traitsISY_E10value_typeET2_T3_PNSZ_IS14_E10value_typeET4_jRbjT5_S1A_jjP12ihipStream_tbEUljE_EEESV_SW_SX_S14_S18_S1A_T6_T7_T9_mT8_S1C_bDpT10_ENKUlT_T0_E_clISt17integral_constantIbLb0EES1O_IbLb1EEEEDaS1K_S1L_EUlS1K_E_NS1_11comp_targetILNS1_3genE8ELNS1_11target_archE1030ELNS1_3gpuE2ELNS1_3repE0EEENS1_30default_config_static_selectorELNS0_4arch9wavefront6targetE0EEEvSY_.num_named_barrier, 0
	.set _ZN7rocprim17ROCPRIM_400000_NS6detail17trampoline_kernelINS0_13select_configILj256ELj13ELNS0_17block_load_methodE3ELS4_3ELS4_3ELNS0_20block_scan_algorithmE0ELj4294967295EEENS1_25partition_config_selectorILNS1_17partition_subalgoE3EjNS0_10empty_typeEbEEZZNS1_14partition_implILS8_3ELb0ES6_jNS0_17counting_iteratorIjlEEPS9_SE_NS0_5tupleIJPjSE_EEENSF_IJSE_SE_EEES9_SG_JZNS1_25segmented_radix_sort_implINS0_14default_configELb0EPKiPiPKlPlN2at6native12_GLOBAL__N_18offset_tEEE10hipError_tPvRmT1_PNSt15iterator_traitsISY_E10value_typeET2_T3_PNSZ_IS14_E10value_typeET4_jRbjT5_S1A_jjP12ihipStream_tbEUljE_EEESV_SW_SX_S14_S18_S1A_T6_T7_T9_mT8_S1C_bDpT10_ENKUlT_T0_E_clISt17integral_constantIbLb0EES1O_IbLb1EEEEDaS1K_S1L_EUlS1K_E_NS1_11comp_targetILNS1_3genE8ELNS1_11target_archE1030ELNS1_3gpuE2ELNS1_3repE0EEENS1_30default_config_static_selectorELNS0_4arch9wavefront6targetE0EEEvSY_.private_seg_size, 0
	.set _ZN7rocprim17ROCPRIM_400000_NS6detail17trampoline_kernelINS0_13select_configILj256ELj13ELNS0_17block_load_methodE3ELS4_3ELS4_3ELNS0_20block_scan_algorithmE0ELj4294967295EEENS1_25partition_config_selectorILNS1_17partition_subalgoE3EjNS0_10empty_typeEbEEZZNS1_14partition_implILS8_3ELb0ES6_jNS0_17counting_iteratorIjlEEPS9_SE_NS0_5tupleIJPjSE_EEENSF_IJSE_SE_EEES9_SG_JZNS1_25segmented_radix_sort_implINS0_14default_configELb0EPKiPiPKlPlN2at6native12_GLOBAL__N_18offset_tEEE10hipError_tPvRmT1_PNSt15iterator_traitsISY_E10value_typeET2_T3_PNSZ_IS14_E10value_typeET4_jRbjT5_S1A_jjP12ihipStream_tbEUljE_EEESV_SW_SX_S14_S18_S1A_T6_T7_T9_mT8_S1C_bDpT10_ENKUlT_T0_E_clISt17integral_constantIbLb0EES1O_IbLb1EEEEDaS1K_S1L_EUlS1K_E_NS1_11comp_targetILNS1_3genE8ELNS1_11target_archE1030ELNS1_3gpuE2ELNS1_3repE0EEENS1_30default_config_static_selectorELNS0_4arch9wavefront6targetE0EEEvSY_.uses_vcc, 1
	.set _ZN7rocprim17ROCPRIM_400000_NS6detail17trampoline_kernelINS0_13select_configILj256ELj13ELNS0_17block_load_methodE3ELS4_3ELS4_3ELNS0_20block_scan_algorithmE0ELj4294967295EEENS1_25partition_config_selectorILNS1_17partition_subalgoE3EjNS0_10empty_typeEbEEZZNS1_14partition_implILS8_3ELb0ES6_jNS0_17counting_iteratorIjlEEPS9_SE_NS0_5tupleIJPjSE_EEENSF_IJSE_SE_EEES9_SG_JZNS1_25segmented_radix_sort_implINS0_14default_configELb0EPKiPiPKlPlN2at6native12_GLOBAL__N_18offset_tEEE10hipError_tPvRmT1_PNSt15iterator_traitsISY_E10value_typeET2_T3_PNSZ_IS14_E10value_typeET4_jRbjT5_S1A_jjP12ihipStream_tbEUljE_EEESV_SW_SX_S14_S18_S1A_T6_T7_T9_mT8_S1C_bDpT10_ENKUlT_T0_E_clISt17integral_constantIbLb0EES1O_IbLb1EEEEDaS1K_S1L_EUlS1K_E_NS1_11comp_targetILNS1_3genE8ELNS1_11target_archE1030ELNS1_3gpuE2ELNS1_3repE0EEENS1_30default_config_static_selectorELNS0_4arch9wavefront6targetE0EEEvSY_.uses_flat_scratch, 0
	.set _ZN7rocprim17ROCPRIM_400000_NS6detail17trampoline_kernelINS0_13select_configILj256ELj13ELNS0_17block_load_methodE3ELS4_3ELS4_3ELNS0_20block_scan_algorithmE0ELj4294967295EEENS1_25partition_config_selectorILNS1_17partition_subalgoE3EjNS0_10empty_typeEbEEZZNS1_14partition_implILS8_3ELb0ES6_jNS0_17counting_iteratorIjlEEPS9_SE_NS0_5tupleIJPjSE_EEENSF_IJSE_SE_EEES9_SG_JZNS1_25segmented_radix_sort_implINS0_14default_configELb0EPKiPiPKlPlN2at6native12_GLOBAL__N_18offset_tEEE10hipError_tPvRmT1_PNSt15iterator_traitsISY_E10value_typeET2_T3_PNSZ_IS14_E10value_typeET4_jRbjT5_S1A_jjP12ihipStream_tbEUljE_EEESV_SW_SX_S14_S18_S1A_T6_T7_T9_mT8_S1C_bDpT10_ENKUlT_T0_E_clISt17integral_constantIbLb0EES1O_IbLb1EEEEDaS1K_S1L_EUlS1K_E_NS1_11comp_targetILNS1_3genE8ELNS1_11target_archE1030ELNS1_3gpuE2ELNS1_3repE0EEENS1_30default_config_static_selectorELNS0_4arch9wavefront6targetE0EEEvSY_.has_dyn_sized_stack, 0
	.set _ZN7rocprim17ROCPRIM_400000_NS6detail17trampoline_kernelINS0_13select_configILj256ELj13ELNS0_17block_load_methodE3ELS4_3ELS4_3ELNS0_20block_scan_algorithmE0ELj4294967295EEENS1_25partition_config_selectorILNS1_17partition_subalgoE3EjNS0_10empty_typeEbEEZZNS1_14partition_implILS8_3ELb0ES6_jNS0_17counting_iteratorIjlEEPS9_SE_NS0_5tupleIJPjSE_EEENSF_IJSE_SE_EEES9_SG_JZNS1_25segmented_radix_sort_implINS0_14default_configELb0EPKiPiPKlPlN2at6native12_GLOBAL__N_18offset_tEEE10hipError_tPvRmT1_PNSt15iterator_traitsISY_E10value_typeET2_T3_PNSZ_IS14_E10value_typeET4_jRbjT5_S1A_jjP12ihipStream_tbEUljE_EEESV_SW_SX_S14_S18_S1A_T6_T7_T9_mT8_S1C_bDpT10_ENKUlT_T0_E_clISt17integral_constantIbLb0EES1O_IbLb1EEEEDaS1K_S1L_EUlS1K_E_NS1_11comp_targetILNS1_3genE8ELNS1_11target_archE1030ELNS1_3gpuE2ELNS1_3repE0EEENS1_30default_config_static_selectorELNS0_4arch9wavefront6targetE0EEEvSY_.has_recursion, 0
	.set _ZN7rocprim17ROCPRIM_400000_NS6detail17trampoline_kernelINS0_13select_configILj256ELj13ELNS0_17block_load_methodE3ELS4_3ELS4_3ELNS0_20block_scan_algorithmE0ELj4294967295EEENS1_25partition_config_selectorILNS1_17partition_subalgoE3EjNS0_10empty_typeEbEEZZNS1_14partition_implILS8_3ELb0ES6_jNS0_17counting_iteratorIjlEEPS9_SE_NS0_5tupleIJPjSE_EEENSF_IJSE_SE_EEES9_SG_JZNS1_25segmented_radix_sort_implINS0_14default_configELb0EPKiPiPKlPlN2at6native12_GLOBAL__N_18offset_tEEE10hipError_tPvRmT1_PNSt15iterator_traitsISY_E10value_typeET2_T3_PNSZ_IS14_E10value_typeET4_jRbjT5_S1A_jjP12ihipStream_tbEUljE_EEESV_SW_SX_S14_S18_S1A_T6_T7_T9_mT8_S1C_bDpT10_ENKUlT_T0_E_clISt17integral_constantIbLb0EES1O_IbLb1EEEEDaS1K_S1L_EUlS1K_E_NS1_11comp_targetILNS1_3genE8ELNS1_11target_archE1030ELNS1_3gpuE2ELNS1_3repE0EEENS1_30default_config_static_selectorELNS0_4arch9wavefront6targetE0EEEvSY_.has_indirect_call, 0
	.section	.AMDGPU.csdata,"",@progbits
; Kernel info:
; codeLenInByte = 8704
; TotalNumSgprs: 28
; NumVgprs: 71
; ScratchSize: 0
; MemoryBound: 0
; FloatMode: 240
; IeeeMode: 1
; LDSByteSize: 13320 bytes/workgroup (compile time only)
; SGPRBlocks: 0
; VGPRBlocks: 8
; NumSGPRsForWavesPerEU: 28
; NumVGPRsForWavesPerEU: 71
; Occupancy: 12
; WaveLimiterHint : 0
; COMPUTE_PGM_RSRC2:SCRATCH_EN: 0
; COMPUTE_PGM_RSRC2:USER_SGPR: 6
; COMPUTE_PGM_RSRC2:TRAP_HANDLER: 0
; COMPUTE_PGM_RSRC2:TGID_X_EN: 1
; COMPUTE_PGM_RSRC2:TGID_Y_EN: 0
; COMPUTE_PGM_RSRC2:TGID_Z_EN: 0
; COMPUTE_PGM_RSRC2:TIDIG_COMP_CNT: 0
	.section	.text._ZN7rocprim17ROCPRIM_400000_NS6detail17trampoline_kernelINS0_14default_configENS1_36segmented_radix_sort_config_selectorIilEEZNS1_25segmented_radix_sort_implIS3_Lb0EPKiPiPKlPlN2at6native12_GLOBAL__N_18offset_tEEE10hipError_tPvRmT1_PNSt15iterator_traitsISK_E10value_typeET2_T3_PNSL_ISQ_E10value_typeET4_jRbjT5_SW_jjP12ihipStream_tbEUlT_E_NS1_11comp_targetILNS1_3genE0ELNS1_11target_archE4294967295ELNS1_3gpuE0ELNS1_3repE0EEENS1_30default_config_static_selectorELNS0_4arch9wavefront6targetE0EEEvSK_,"axG",@progbits,_ZN7rocprim17ROCPRIM_400000_NS6detail17trampoline_kernelINS0_14default_configENS1_36segmented_radix_sort_config_selectorIilEEZNS1_25segmented_radix_sort_implIS3_Lb0EPKiPiPKlPlN2at6native12_GLOBAL__N_18offset_tEEE10hipError_tPvRmT1_PNSt15iterator_traitsISK_E10value_typeET2_T3_PNSL_ISQ_E10value_typeET4_jRbjT5_SW_jjP12ihipStream_tbEUlT_E_NS1_11comp_targetILNS1_3genE0ELNS1_11target_archE4294967295ELNS1_3gpuE0ELNS1_3repE0EEENS1_30default_config_static_selectorELNS0_4arch9wavefront6targetE0EEEvSK_,comdat
	.globl	_ZN7rocprim17ROCPRIM_400000_NS6detail17trampoline_kernelINS0_14default_configENS1_36segmented_radix_sort_config_selectorIilEEZNS1_25segmented_radix_sort_implIS3_Lb0EPKiPiPKlPlN2at6native12_GLOBAL__N_18offset_tEEE10hipError_tPvRmT1_PNSt15iterator_traitsISK_E10value_typeET2_T3_PNSL_ISQ_E10value_typeET4_jRbjT5_SW_jjP12ihipStream_tbEUlT_E_NS1_11comp_targetILNS1_3genE0ELNS1_11target_archE4294967295ELNS1_3gpuE0ELNS1_3repE0EEENS1_30default_config_static_selectorELNS0_4arch9wavefront6targetE0EEEvSK_ ; -- Begin function _ZN7rocprim17ROCPRIM_400000_NS6detail17trampoline_kernelINS0_14default_configENS1_36segmented_radix_sort_config_selectorIilEEZNS1_25segmented_radix_sort_implIS3_Lb0EPKiPiPKlPlN2at6native12_GLOBAL__N_18offset_tEEE10hipError_tPvRmT1_PNSt15iterator_traitsISK_E10value_typeET2_T3_PNSL_ISQ_E10value_typeET4_jRbjT5_SW_jjP12ihipStream_tbEUlT_E_NS1_11comp_targetILNS1_3genE0ELNS1_11target_archE4294967295ELNS1_3gpuE0ELNS1_3repE0EEENS1_30default_config_static_selectorELNS0_4arch9wavefront6targetE0EEEvSK_
	.p2align	8
	.type	_ZN7rocprim17ROCPRIM_400000_NS6detail17trampoline_kernelINS0_14default_configENS1_36segmented_radix_sort_config_selectorIilEEZNS1_25segmented_radix_sort_implIS3_Lb0EPKiPiPKlPlN2at6native12_GLOBAL__N_18offset_tEEE10hipError_tPvRmT1_PNSt15iterator_traitsISK_E10value_typeET2_T3_PNSL_ISQ_E10value_typeET4_jRbjT5_SW_jjP12ihipStream_tbEUlT_E_NS1_11comp_targetILNS1_3genE0ELNS1_11target_archE4294967295ELNS1_3gpuE0ELNS1_3repE0EEENS1_30default_config_static_selectorELNS0_4arch9wavefront6targetE0EEEvSK_,@function
_ZN7rocprim17ROCPRIM_400000_NS6detail17trampoline_kernelINS0_14default_configENS1_36segmented_radix_sort_config_selectorIilEEZNS1_25segmented_radix_sort_implIS3_Lb0EPKiPiPKlPlN2at6native12_GLOBAL__N_18offset_tEEE10hipError_tPvRmT1_PNSt15iterator_traitsISK_E10value_typeET2_T3_PNSL_ISQ_E10value_typeET4_jRbjT5_SW_jjP12ihipStream_tbEUlT_E_NS1_11comp_targetILNS1_3genE0ELNS1_11target_archE4294967295ELNS1_3gpuE0ELNS1_3repE0EEENS1_30default_config_static_selectorELNS0_4arch9wavefront6targetE0EEEvSK_: ; @_ZN7rocprim17ROCPRIM_400000_NS6detail17trampoline_kernelINS0_14default_configENS1_36segmented_radix_sort_config_selectorIilEEZNS1_25segmented_radix_sort_implIS3_Lb0EPKiPiPKlPlN2at6native12_GLOBAL__N_18offset_tEEE10hipError_tPvRmT1_PNSt15iterator_traitsISK_E10value_typeET2_T3_PNSL_ISQ_E10value_typeET4_jRbjT5_SW_jjP12ihipStream_tbEUlT_E_NS1_11comp_targetILNS1_3genE0ELNS1_11target_archE4294967295ELNS1_3gpuE0ELNS1_3repE0EEENS1_30default_config_static_selectorELNS0_4arch9wavefront6targetE0EEEvSK_
; %bb.0:
	.section	.rodata,"a",@progbits
	.p2align	6, 0x0
	.amdhsa_kernel _ZN7rocprim17ROCPRIM_400000_NS6detail17trampoline_kernelINS0_14default_configENS1_36segmented_radix_sort_config_selectorIilEEZNS1_25segmented_radix_sort_implIS3_Lb0EPKiPiPKlPlN2at6native12_GLOBAL__N_18offset_tEEE10hipError_tPvRmT1_PNSt15iterator_traitsISK_E10value_typeET2_T3_PNSL_ISQ_E10value_typeET4_jRbjT5_SW_jjP12ihipStream_tbEUlT_E_NS1_11comp_targetILNS1_3genE0ELNS1_11target_archE4294967295ELNS1_3gpuE0ELNS1_3repE0EEENS1_30default_config_static_selectorELNS0_4arch9wavefront6targetE0EEEvSK_
		.amdhsa_group_segment_fixed_size 0
		.amdhsa_private_segment_fixed_size 0
		.amdhsa_kernarg_size 96
		.amdhsa_user_sgpr_count 6
		.amdhsa_user_sgpr_private_segment_buffer 1
		.amdhsa_user_sgpr_dispatch_ptr 0
		.amdhsa_user_sgpr_queue_ptr 0
		.amdhsa_user_sgpr_kernarg_segment_ptr 1
		.amdhsa_user_sgpr_dispatch_id 0
		.amdhsa_user_sgpr_flat_scratch_init 0
		.amdhsa_user_sgpr_private_segment_size 0
		.amdhsa_wavefront_size32 1
		.amdhsa_uses_dynamic_stack 0
		.amdhsa_system_sgpr_private_segment_wavefront_offset 0
		.amdhsa_system_sgpr_workgroup_id_x 1
		.amdhsa_system_sgpr_workgroup_id_y 0
		.amdhsa_system_sgpr_workgroup_id_z 0
		.amdhsa_system_sgpr_workgroup_info 0
		.amdhsa_system_vgpr_workitem_id 0
		.amdhsa_next_free_vgpr 1
		.amdhsa_next_free_sgpr 1
		.amdhsa_reserve_vcc 0
		.amdhsa_reserve_flat_scratch 0
		.amdhsa_float_round_mode_32 0
		.amdhsa_float_round_mode_16_64 0
		.amdhsa_float_denorm_mode_32 3
		.amdhsa_float_denorm_mode_16_64 3
		.amdhsa_dx10_clamp 1
		.amdhsa_ieee_mode 1
		.amdhsa_fp16_overflow 0
		.amdhsa_workgroup_processor_mode 1
		.amdhsa_memory_ordered 1
		.amdhsa_forward_progress 1
		.amdhsa_shared_vgpr_count 0
		.amdhsa_exception_fp_ieee_invalid_op 0
		.amdhsa_exception_fp_denorm_src 0
		.amdhsa_exception_fp_ieee_div_zero 0
		.amdhsa_exception_fp_ieee_overflow 0
		.amdhsa_exception_fp_ieee_underflow 0
		.amdhsa_exception_fp_ieee_inexact 0
		.amdhsa_exception_int_div_zero 0
	.end_amdhsa_kernel
	.section	.text._ZN7rocprim17ROCPRIM_400000_NS6detail17trampoline_kernelINS0_14default_configENS1_36segmented_radix_sort_config_selectorIilEEZNS1_25segmented_radix_sort_implIS3_Lb0EPKiPiPKlPlN2at6native12_GLOBAL__N_18offset_tEEE10hipError_tPvRmT1_PNSt15iterator_traitsISK_E10value_typeET2_T3_PNSL_ISQ_E10value_typeET4_jRbjT5_SW_jjP12ihipStream_tbEUlT_E_NS1_11comp_targetILNS1_3genE0ELNS1_11target_archE4294967295ELNS1_3gpuE0ELNS1_3repE0EEENS1_30default_config_static_selectorELNS0_4arch9wavefront6targetE0EEEvSK_,"axG",@progbits,_ZN7rocprim17ROCPRIM_400000_NS6detail17trampoline_kernelINS0_14default_configENS1_36segmented_radix_sort_config_selectorIilEEZNS1_25segmented_radix_sort_implIS3_Lb0EPKiPiPKlPlN2at6native12_GLOBAL__N_18offset_tEEE10hipError_tPvRmT1_PNSt15iterator_traitsISK_E10value_typeET2_T3_PNSL_ISQ_E10value_typeET4_jRbjT5_SW_jjP12ihipStream_tbEUlT_E_NS1_11comp_targetILNS1_3genE0ELNS1_11target_archE4294967295ELNS1_3gpuE0ELNS1_3repE0EEENS1_30default_config_static_selectorELNS0_4arch9wavefront6targetE0EEEvSK_,comdat
.Lfunc_end595:
	.size	_ZN7rocprim17ROCPRIM_400000_NS6detail17trampoline_kernelINS0_14default_configENS1_36segmented_radix_sort_config_selectorIilEEZNS1_25segmented_radix_sort_implIS3_Lb0EPKiPiPKlPlN2at6native12_GLOBAL__N_18offset_tEEE10hipError_tPvRmT1_PNSt15iterator_traitsISK_E10value_typeET2_T3_PNSL_ISQ_E10value_typeET4_jRbjT5_SW_jjP12ihipStream_tbEUlT_E_NS1_11comp_targetILNS1_3genE0ELNS1_11target_archE4294967295ELNS1_3gpuE0ELNS1_3repE0EEENS1_30default_config_static_selectorELNS0_4arch9wavefront6targetE0EEEvSK_, .Lfunc_end595-_ZN7rocprim17ROCPRIM_400000_NS6detail17trampoline_kernelINS0_14default_configENS1_36segmented_radix_sort_config_selectorIilEEZNS1_25segmented_radix_sort_implIS3_Lb0EPKiPiPKlPlN2at6native12_GLOBAL__N_18offset_tEEE10hipError_tPvRmT1_PNSt15iterator_traitsISK_E10value_typeET2_T3_PNSL_ISQ_E10value_typeET4_jRbjT5_SW_jjP12ihipStream_tbEUlT_E_NS1_11comp_targetILNS1_3genE0ELNS1_11target_archE4294967295ELNS1_3gpuE0ELNS1_3repE0EEENS1_30default_config_static_selectorELNS0_4arch9wavefront6targetE0EEEvSK_
                                        ; -- End function
	.set _ZN7rocprim17ROCPRIM_400000_NS6detail17trampoline_kernelINS0_14default_configENS1_36segmented_radix_sort_config_selectorIilEEZNS1_25segmented_radix_sort_implIS3_Lb0EPKiPiPKlPlN2at6native12_GLOBAL__N_18offset_tEEE10hipError_tPvRmT1_PNSt15iterator_traitsISK_E10value_typeET2_T3_PNSL_ISQ_E10value_typeET4_jRbjT5_SW_jjP12ihipStream_tbEUlT_E_NS1_11comp_targetILNS1_3genE0ELNS1_11target_archE4294967295ELNS1_3gpuE0ELNS1_3repE0EEENS1_30default_config_static_selectorELNS0_4arch9wavefront6targetE0EEEvSK_.num_vgpr, 0
	.set _ZN7rocprim17ROCPRIM_400000_NS6detail17trampoline_kernelINS0_14default_configENS1_36segmented_radix_sort_config_selectorIilEEZNS1_25segmented_radix_sort_implIS3_Lb0EPKiPiPKlPlN2at6native12_GLOBAL__N_18offset_tEEE10hipError_tPvRmT1_PNSt15iterator_traitsISK_E10value_typeET2_T3_PNSL_ISQ_E10value_typeET4_jRbjT5_SW_jjP12ihipStream_tbEUlT_E_NS1_11comp_targetILNS1_3genE0ELNS1_11target_archE4294967295ELNS1_3gpuE0ELNS1_3repE0EEENS1_30default_config_static_selectorELNS0_4arch9wavefront6targetE0EEEvSK_.num_agpr, 0
	.set _ZN7rocprim17ROCPRIM_400000_NS6detail17trampoline_kernelINS0_14default_configENS1_36segmented_radix_sort_config_selectorIilEEZNS1_25segmented_radix_sort_implIS3_Lb0EPKiPiPKlPlN2at6native12_GLOBAL__N_18offset_tEEE10hipError_tPvRmT1_PNSt15iterator_traitsISK_E10value_typeET2_T3_PNSL_ISQ_E10value_typeET4_jRbjT5_SW_jjP12ihipStream_tbEUlT_E_NS1_11comp_targetILNS1_3genE0ELNS1_11target_archE4294967295ELNS1_3gpuE0ELNS1_3repE0EEENS1_30default_config_static_selectorELNS0_4arch9wavefront6targetE0EEEvSK_.numbered_sgpr, 0
	.set _ZN7rocprim17ROCPRIM_400000_NS6detail17trampoline_kernelINS0_14default_configENS1_36segmented_radix_sort_config_selectorIilEEZNS1_25segmented_radix_sort_implIS3_Lb0EPKiPiPKlPlN2at6native12_GLOBAL__N_18offset_tEEE10hipError_tPvRmT1_PNSt15iterator_traitsISK_E10value_typeET2_T3_PNSL_ISQ_E10value_typeET4_jRbjT5_SW_jjP12ihipStream_tbEUlT_E_NS1_11comp_targetILNS1_3genE0ELNS1_11target_archE4294967295ELNS1_3gpuE0ELNS1_3repE0EEENS1_30default_config_static_selectorELNS0_4arch9wavefront6targetE0EEEvSK_.num_named_barrier, 0
	.set _ZN7rocprim17ROCPRIM_400000_NS6detail17trampoline_kernelINS0_14default_configENS1_36segmented_radix_sort_config_selectorIilEEZNS1_25segmented_radix_sort_implIS3_Lb0EPKiPiPKlPlN2at6native12_GLOBAL__N_18offset_tEEE10hipError_tPvRmT1_PNSt15iterator_traitsISK_E10value_typeET2_T3_PNSL_ISQ_E10value_typeET4_jRbjT5_SW_jjP12ihipStream_tbEUlT_E_NS1_11comp_targetILNS1_3genE0ELNS1_11target_archE4294967295ELNS1_3gpuE0ELNS1_3repE0EEENS1_30default_config_static_selectorELNS0_4arch9wavefront6targetE0EEEvSK_.private_seg_size, 0
	.set _ZN7rocprim17ROCPRIM_400000_NS6detail17trampoline_kernelINS0_14default_configENS1_36segmented_radix_sort_config_selectorIilEEZNS1_25segmented_radix_sort_implIS3_Lb0EPKiPiPKlPlN2at6native12_GLOBAL__N_18offset_tEEE10hipError_tPvRmT1_PNSt15iterator_traitsISK_E10value_typeET2_T3_PNSL_ISQ_E10value_typeET4_jRbjT5_SW_jjP12ihipStream_tbEUlT_E_NS1_11comp_targetILNS1_3genE0ELNS1_11target_archE4294967295ELNS1_3gpuE0ELNS1_3repE0EEENS1_30default_config_static_selectorELNS0_4arch9wavefront6targetE0EEEvSK_.uses_vcc, 0
	.set _ZN7rocprim17ROCPRIM_400000_NS6detail17trampoline_kernelINS0_14default_configENS1_36segmented_radix_sort_config_selectorIilEEZNS1_25segmented_radix_sort_implIS3_Lb0EPKiPiPKlPlN2at6native12_GLOBAL__N_18offset_tEEE10hipError_tPvRmT1_PNSt15iterator_traitsISK_E10value_typeET2_T3_PNSL_ISQ_E10value_typeET4_jRbjT5_SW_jjP12ihipStream_tbEUlT_E_NS1_11comp_targetILNS1_3genE0ELNS1_11target_archE4294967295ELNS1_3gpuE0ELNS1_3repE0EEENS1_30default_config_static_selectorELNS0_4arch9wavefront6targetE0EEEvSK_.uses_flat_scratch, 0
	.set _ZN7rocprim17ROCPRIM_400000_NS6detail17trampoline_kernelINS0_14default_configENS1_36segmented_radix_sort_config_selectorIilEEZNS1_25segmented_radix_sort_implIS3_Lb0EPKiPiPKlPlN2at6native12_GLOBAL__N_18offset_tEEE10hipError_tPvRmT1_PNSt15iterator_traitsISK_E10value_typeET2_T3_PNSL_ISQ_E10value_typeET4_jRbjT5_SW_jjP12ihipStream_tbEUlT_E_NS1_11comp_targetILNS1_3genE0ELNS1_11target_archE4294967295ELNS1_3gpuE0ELNS1_3repE0EEENS1_30default_config_static_selectorELNS0_4arch9wavefront6targetE0EEEvSK_.has_dyn_sized_stack, 0
	.set _ZN7rocprim17ROCPRIM_400000_NS6detail17trampoline_kernelINS0_14default_configENS1_36segmented_radix_sort_config_selectorIilEEZNS1_25segmented_radix_sort_implIS3_Lb0EPKiPiPKlPlN2at6native12_GLOBAL__N_18offset_tEEE10hipError_tPvRmT1_PNSt15iterator_traitsISK_E10value_typeET2_T3_PNSL_ISQ_E10value_typeET4_jRbjT5_SW_jjP12ihipStream_tbEUlT_E_NS1_11comp_targetILNS1_3genE0ELNS1_11target_archE4294967295ELNS1_3gpuE0ELNS1_3repE0EEENS1_30default_config_static_selectorELNS0_4arch9wavefront6targetE0EEEvSK_.has_recursion, 0
	.set _ZN7rocprim17ROCPRIM_400000_NS6detail17trampoline_kernelINS0_14default_configENS1_36segmented_radix_sort_config_selectorIilEEZNS1_25segmented_radix_sort_implIS3_Lb0EPKiPiPKlPlN2at6native12_GLOBAL__N_18offset_tEEE10hipError_tPvRmT1_PNSt15iterator_traitsISK_E10value_typeET2_T3_PNSL_ISQ_E10value_typeET4_jRbjT5_SW_jjP12ihipStream_tbEUlT_E_NS1_11comp_targetILNS1_3genE0ELNS1_11target_archE4294967295ELNS1_3gpuE0ELNS1_3repE0EEENS1_30default_config_static_selectorELNS0_4arch9wavefront6targetE0EEEvSK_.has_indirect_call, 0
	.section	.AMDGPU.csdata,"",@progbits
; Kernel info:
; codeLenInByte = 0
; TotalNumSgprs: 0
; NumVgprs: 0
; ScratchSize: 0
; MemoryBound: 0
; FloatMode: 240
; IeeeMode: 1
; LDSByteSize: 0 bytes/workgroup (compile time only)
; SGPRBlocks: 0
; VGPRBlocks: 0
; NumSGPRsForWavesPerEU: 1
; NumVGPRsForWavesPerEU: 1
; Occupancy: 16
; WaveLimiterHint : 0
; COMPUTE_PGM_RSRC2:SCRATCH_EN: 0
; COMPUTE_PGM_RSRC2:USER_SGPR: 6
; COMPUTE_PGM_RSRC2:TRAP_HANDLER: 0
; COMPUTE_PGM_RSRC2:TGID_X_EN: 1
; COMPUTE_PGM_RSRC2:TGID_Y_EN: 0
; COMPUTE_PGM_RSRC2:TGID_Z_EN: 0
; COMPUTE_PGM_RSRC2:TIDIG_COMP_CNT: 0
	.section	.text._ZN7rocprim17ROCPRIM_400000_NS6detail17trampoline_kernelINS0_14default_configENS1_36segmented_radix_sort_config_selectorIilEEZNS1_25segmented_radix_sort_implIS3_Lb0EPKiPiPKlPlN2at6native12_GLOBAL__N_18offset_tEEE10hipError_tPvRmT1_PNSt15iterator_traitsISK_E10value_typeET2_T3_PNSL_ISQ_E10value_typeET4_jRbjT5_SW_jjP12ihipStream_tbEUlT_E_NS1_11comp_targetILNS1_3genE5ELNS1_11target_archE942ELNS1_3gpuE9ELNS1_3repE0EEENS1_30default_config_static_selectorELNS0_4arch9wavefront6targetE0EEEvSK_,"axG",@progbits,_ZN7rocprim17ROCPRIM_400000_NS6detail17trampoline_kernelINS0_14default_configENS1_36segmented_radix_sort_config_selectorIilEEZNS1_25segmented_radix_sort_implIS3_Lb0EPKiPiPKlPlN2at6native12_GLOBAL__N_18offset_tEEE10hipError_tPvRmT1_PNSt15iterator_traitsISK_E10value_typeET2_T3_PNSL_ISQ_E10value_typeET4_jRbjT5_SW_jjP12ihipStream_tbEUlT_E_NS1_11comp_targetILNS1_3genE5ELNS1_11target_archE942ELNS1_3gpuE9ELNS1_3repE0EEENS1_30default_config_static_selectorELNS0_4arch9wavefront6targetE0EEEvSK_,comdat
	.globl	_ZN7rocprim17ROCPRIM_400000_NS6detail17trampoline_kernelINS0_14default_configENS1_36segmented_radix_sort_config_selectorIilEEZNS1_25segmented_radix_sort_implIS3_Lb0EPKiPiPKlPlN2at6native12_GLOBAL__N_18offset_tEEE10hipError_tPvRmT1_PNSt15iterator_traitsISK_E10value_typeET2_T3_PNSL_ISQ_E10value_typeET4_jRbjT5_SW_jjP12ihipStream_tbEUlT_E_NS1_11comp_targetILNS1_3genE5ELNS1_11target_archE942ELNS1_3gpuE9ELNS1_3repE0EEENS1_30default_config_static_selectorELNS0_4arch9wavefront6targetE0EEEvSK_ ; -- Begin function _ZN7rocprim17ROCPRIM_400000_NS6detail17trampoline_kernelINS0_14default_configENS1_36segmented_radix_sort_config_selectorIilEEZNS1_25segmented_radix_sort_implIS3_Lb0EPKiPiPKlPlN2at6native12_GLOBAL__N_18offset_tEEE10hipError_tPvRmT1_PNSt15iterator_traitsISK_E10value_typeET2_T3_PNSL_ISQ_E10value_typeET4_jRbjT5_SW_jjP12ihipStream_tbEUlT_E_NS1_11comp_targetILNS1_3genE5ELNS1_11target_archE942ELNS1_3gpuE9ELNS1_3repE0EEENS1_30default_config_static_selectorELNS0_4arch9wavefront6targetE0EEEvSK_
	.p2align	8
	.type	_ZN7rocprim17ROCPRIM_400000_NS6detail17trampoline_kernelINS0_14default_configENS1_36segmented_radix_sort_config_selectorIilEEZNS1_25segmented_radix_sort_implIS3_Lb0EPKiPiPKlPlN2at6native12_GLOBAL__N_18offset_tEEE10hipError_tPvRmT1_PNSt15iterator_traitsISK_E10value_typeET2_T3_PNSL_ISQ_E10value_typeET4_jRbjT5_SW_jjP12ihipStream_tbEUlT_E_NS1_11comp_targetILNS1_3genE5ELNS1_11target_archE942ELNS1_3gpuE9ELNS1_3repE0EEENS1_30default_config_static_selectorELNS0_4arch9wavefront6targetE0EEEvSK_,@function
_ZN7rocprim17ROCPRIM_400000_NS6detail17trampoline_kernelINS0_14default_configENS1_36segmented_radix_sort_config_selectorIilEEZNS1_25segmented_radix_sort_implIS3_Lb0EPKiPiPKlPlN2at6native12_GLOBAL__N_18offset_tEEE10hipError_tPvRmT1_PNSt15iterator_traitsISK_E10value_typeET2_T3_PNSL_ISQ_E10value_typeET4_jRbjT5_SW_jjP12ihipStream_tbEUlT_E_NS1_11comp_targetILNS1_3genE5ELNS1_11target_archE942ELNS1_3gpuE9ELNS1_3repE0EEENS1_30default_config_static_selectorELNS0_4arch9wavefront6targetE0EEEvSK_: ; @_ZN7rocprim17ROCPRIM_400000_NS6detail17trampoline_kernelINS0_14default_configENS1_36segmented_radix_sort_config_selectorIilEEZNS1_25segmented_radix_sort_implIS3_Lb0EPKiPiPKlPlN2at6native12_GLOBAL__N_18offset_tEEE10hipError_tPvRmT1_PNSt15iterator_traitsISK_E10value_typeET2_T3_PNSL_ISQ_E10value_typeET4_jRbjT5_SW_jjP12ihipStream_tbEUlT_E_NS1_11comp_targetILNS1_3genE5ELNS1_11target_archE942ELNS1_3gpuE9ELNS1_3repE0EEENS1_30default_config_static_selectorELNS0_4arch9wavefront6targetE0EEEvSK_
; %bb.0:
	.section	.rodata,"a",@progbits
	.p2align	6, 0x0
	.amdhsa_kernel _ZN7rocprim17ROCPRIM_400000_NS6detail17trampoline_kernelINS0_14default_configENS1_36segmented_radix_sort_config_selectorIilEEZNS1_25segmented_radix_sort_implIS3_Lb0EPKiPiPKlPlN2at6native12_GLOBAL__N_18offset_tEEE10hipError_tPvRmT1_PNSt15iterator_traitsISK_E10value_typeET2_T3_PNSL_ISQ_E10value_typeET4_jRbjT5_SW_jjP12ihipStream_tbEUlT_E_NS1_11comp_targetILNS1_3genE5ELNS1_11target_archE942ELNS1_3gpuE9ELNS1_3repE0EEENS1_30default_config_static_selectorELNS0_4arch9wavefront6targetE0EEEvSK_
		.amdhsa_group_segment_fixed_size 0
		.amdhsa_private_segment_fixed_size 0
		.amdhsa_kernarg_size 96
		.amdhsa_user_sgpr_count 6
		.amdhsa_user_sgpr_private_segment_buffer 1
		.amdhsa_user_sgpr_dispatch_ptr 0
		.amdhsa_user_sgpr_queue_ptr 0
		.amdhsa_user_sgpr_kernarg_segment_ptr 1
		.amdhsa_user_sgpr_dispatch_id 0
		.amdhsa_user_sgpr_flat_scratch_init 0
		.amdhsa_user_sgpr_private_segment_size 0
		.amdhsa_wavefront_size32 1
		.amdhsa_uses_dynamic_stack 0
		.amdhsa_system_sgpr_private_segment_wavefront_offset 0
		.amdhsa_system_sgpr_workgroup_id_x 1
		.amdhsa_system_sgpr_workgroup_id_y 0
		.amdhsa_system_sgpr_workgroup_id_z 0
		.amdhsa_system_sgpr_workgroup_info 0
		.amdhsa_system_vgpr_workitem_id 0
		.amdhsa_next_free_vgpr 1
		.amdhsa_next_free_sgpr 1
		.amdhsa_reserve_vcc 0
		.amdhsa_reserve_flat_scratch 0
		.amdhsa_float_round_mode_32 0
		.amdhsa_float_round_mode_16_64 0
		.amdhsa_float_denorm_mode_32 3
		.amdhsa_float_denorm_mode_16_64 3
		.amdhsa_dx10_clamp 1
		.amdhsa_ieee_mode 1
		.amdhsa_fp16_overflow 0
		.amdhsa_workgroup_processor_mode 1
		.amdhsa_memory_ordered 1
		.amdhsa_forward_progress 1
		.amdhsa_shared_vgpr_count 0
		.amdhsa_exception_fp_ieee_invalid_op 0
		.amdhsa_exception_fp_denorm_src 0
		.amdhsa_exception_fp_ieee_div_zero 0
		.amdhsa_exception_fp_ieee_overflow 0
		.amdhsa_exception_fp_ieee_underflow 0
		.amdhsa_exception_fp_ieee_inexact 0
		.amdhsa_exception_int_div_zero 0
	.end_amdhsa_kernel
	.section	.text._ZN7rocprim17ROCPRIM_400000_NS6detail17trampoline_kernelINS0_14default_configENS1_36segmented_radix_sort_config_selectorIilEEZNS1_25segmented_radix_sort_implIS3_Lb0EPKiPiPKlPlN2at6native12_GLOBAL__N_18offset_tEEE10hipError_tPvRmT1_PNSt15iterator_traitsISK_E10value_typeET2_T3_PNSL_ISQ_E10value_typeET4_jRbjT5_SW_jjP12ihipStream_tbEUlT_E_NS1_11comp_targetILNS1_3genE5ELNS1_11target_archE942ELNS1_3gpuE9ELNS1_3repE0EEENS1_30default_config_static_selectorELNS0_4arch9wavefront6targetE0EEEvSK_,"axG",@progbits,_ZN7rocprim17ROCPRIM_400000_NS6detail17trampoline_kernelINS0_14default_configENS1_36segmented_radix_sort_config_selectorIilEEZNS1_25segmented_radix_sort_implIS3_Lb0EPKiPiPKlPlN2at6native12_GLOBAL__N_18offset_tEEE10hipError_tPvRmT1_PNSt15iterator_traitsISK_E10value_typeET2_T3_PNSL_ISQ_E10value_typeET4_jRbjT5_SW_jjP12ihipStream_tbEUlT_E_NS1_11comp_targetILNS1_3genE5ELNS1_11target_archE942ELNS1_3gpuE9ELNS1_3repE0EEENS1_30default_config_static_selectorELNS0_4arch9wavefront6targetE0EEEvSK_,comdat
.Lfunc_end596:
	.size	_ZN7rocprim17ROCPRIM_400000_NS6detail17trampoline_kernelINS0_14default_configENS1_36segmented_radix_sort_config_selectorIilEEZNS1_25segmented_radix_sort_implIS3_Lb0EPKiPiPKlPlN2at6native12_GLOBAL__N_18offset_tEEE10hipError_tPvRmT1_PNSt15iterator_traitsISK_E10value_typeET2_T3_PNSL_ISQ_E10value_typeET4_jRbjT5_SW_jjP12ihipStream_tbEUlT_E_NS1_11comp_targetILNS1_3genE5ELNS1_11target_archE942ELNS1_3gpuE9ELNS1_3repE0EEENS1_30default_config_static_selectorELNS0_4arch9wavefront6targetE0EEEvSK_, .Lfunc_end596-_ZN7rocprim17ROCPRIM_400000_NS6detail17trampoline_kernelINS0_14default_configENS1_36segmented_radix_sort_config_selectorIilEEZNS1_25segmented_radix_sort_implIS3_Lb0EPKiPiPKlPlN2at6native12_GLOBAL__N_18offset_tEEE10hipError_tPvRmT1_PNSt15iterator_traitsISK_E10value_typeET2_T3_PNSL_ISQ_E10value_typeET4_jRbjT5_SW_jjP12ihipStream_tbEUlT_E_NS1_11comp_targetILNS1_3genE5ELNS1_11target_archE942ELNS1_3gpuE9ELNS1_3repE0EEENS1_30default_config_static_selectorELNS0_4arch9wavefront6targetE0EEEvSK_
                                        ; -- End function
	.set _ZN7rocprim17ROCPRIM_400000_NS6detail17trampoline_kernelINS0_14default_configENS1_36segmented_radix_sort_config_selectorIilEEZNS1_25segmented_radix_sort_implIS3_Lb0EPKiPiPKlPlN2at6native12_GLOBAL__N_18offset_tEEE10hipError_tPvRmT1_PNSt15iterator_traitsISK_E10value_typeET2_T3_PNSL_ISQ_E10value_typeET4_jRbjT5_SW_jjP12ihipStream_tbEUlT_E_NS1_11comp_targetILNS1_3genE5ELNS1_11target_archE942ELNS1_3gpuE9ELNS1_3repE0EEENS1_30default_config_static_selectorELNS0_4arch9wavefront6targetE0EEEvSK_.num_vgpr, 0
	.set _ZN7rocprim17ROCPRIM_400000_NS6detail17trampoline_kernelINS0_14default_configENS1_36segmented_radix_sort_config_selectorIilEEZNS1_25segmented_radix_sort_implIS3_Lb0EPKiPiPKlPlN2at6native12_GLOBAL__N_18offset_tEEE10hipError_tPvRmT1_PNSt15iterator_traitsISK_E10value_typeET2_T3_PNSL_ISQ_E10value_typeET4_jRbjT5_SW_jjP12ihipStream_tbEUlT_E_NS1_11comp_targetILNS1_3genE5ELNS1_11target_archE942ELNS1_3gpuE9ELNS1_3repE0EEENS1_30default_config_static_selectorELNS0_4arch9wavefront6targetE0EEEvSK_.num_agpr, 0
	.set _ZN7rocprim17ROCPRIM_400000_NS6detail17trampoline_kernelINS0_14default_configENS1_36segmented_radix_sort_config_selectorIilEEZNS1_25segmented_radix_sort_implIS3_Lb0EPKiPiPKlPlN2at6native12_GLOBAL__N_18offset_tEEE10hipError_tPvRmT1_PNSt15iterator_traitsISK_E10value_typeET2_T3_PNSL_ISQ_E10value_typeET4_jRbjT5_SW_jjP12ihipStream_tbEUlT_E_NS1_11comp_targetILNS1_3genE5ELNS1_11target_archE942ELNS1_3gpuE9ELNS1_3repE0EEENS1_30default_config_static_selectorELNS0_4arch9wavefront6targetE0EEEvSK_.numbered_sgpr, 0
	.set _ZN7rocprim17ROCPRIM_400000_NS6detail17trampoline_kernelINS0_14default_configENS1_36segmented_radix_sort_config_selectorIilEEZNS1_25segmented_radix_sort_implIS3_Lb0EPKiPiPKlPlN2at6native12_GLOBAL__N_18offset_tEEE10hipError_tPvRmT1_PNSt15iterator_traitsISK_E10value_typeET2_T3_PNSL_ISQ_E10value_typeET4_jRbjT5_SW_jjP12ihipStream_tbEUlT_E_NS1_11comp_targetILNS1_3genE5ELNS1_11target_archE942ELNS1_3gpuE9ELNS1_3repE0EEENS1_30default_config_static_selectorELNS0_4arch9wavefront6targetE0EEEvSK_.num_named_barrier, 0
	.set _ZN7rocprim17ROCPRIM_400000_NS6detail17trampoline_kernelINS0_14default_configENS1_36segmented_radix_sort_config_selectorIilEEZNS1_25segmented_radix_sort_implIS3_Lb0EPKiPiPKlPlN2at6native12_GLOBAL__N_18offset_tEEE10hipError_tPvRmT1_PNSt15iterator_traitsISK_E10value_typeET2_T3_PNSL_ISQ_E10value_typeET4_jRbjT5_SW_jjP12ihipStream_tbEUlT_E_NS1_11comp_targetILNS1_3genE5ELNS1_11target_archE942ELNS1_3gpuE9ELNS1_3repE0EEENS1_30default_config_static_selectorELNS0_4arch9wavefront6targetE0EEEvSK_.private_seg_size, 0
	.set _ZN7rocprim17ROCPRIM_400000_NS6detail17trampoline_kernelINS0_14default_configENS1_36segmented_radix_sort_config_selectorIilEEZNS1_25segmented_radix_sort_implIS3_Lb0EPKiPiPKlPlN2at6native12_GLOBAL__N_18offset_tEEE10hipError_tPvRmT1_PNSt15iterator_traitsISK_E10value_typeET2_T3_PNSL_ISQ_E10value_typeET4_jRbjT5_SW_jjP12ihipStream_tbEUlT_E_NS1_11comp_targetILNS1_3genE5ELNS1_11target_archE942ELNS1_3gpuE9ELNS1_3repE0EEENS1_30default_config_static_selectorELNS0_4arch9wavefront6targetE0EEEvSK_.uses_vcc, 0
	.set _ZN7rocprim17ROCPRIM_400000_NS6detail17trampoline_kernelINS0_14default_configENS1_36segmented_radix_sort_config_selectorIilEEZNS1_25segmented_radix_sort_implIS3_Lb0EPKiPiPKlPlN2at6native12_GLOBAL__N_18offset_tEEE10hipError_tPvRmT1_PNSt15iterator_traitsISK_E10value_typeET2_T3_PNSL_ISQ_E10value_typeET4_jRbjT5_SW_jjP12ihipStream_tbEUlT_E_NS1_11comp_targetILNS1_3genE5ELNS1_11target_archE942ELNS1_3gpuE9ELNS1_3repE0EEENS1_30default_config_static_selectorELNS0_4arch9wavefront6targetE0EEEvSK_.uses_flat_scratch, 0
	.set _ZN7rocprim17ROCPRIM_400000_NS6detail17trampoline_kernelINS0_14default_configENS1_36segmented_radix_sort_config_selectorIilEEZNS1_25segmented_radix_sort_implIS3_Lb0EPKiPiPKlPlN2at6native12_GLOBAL__N_18offset_tEEE10hipError_tPvRmT1_PNSt15iterator_traitsISK_E10value_typeET2_T3_PNSL_ISQ_E10value_typeET4_jRbjT5_SW_jjP12ihipStream_tbEUlT_E_NS1_11comp_targetILNS1_3genE5ELNS1_11target_archE942ELNS1_3gpuE9ELNS1_3repE0EEENS1_30default_config_static_selectorELNS0_4arch9wavefront6targetE0EEEvSK_.has_dyn_sized_stack, 0
	.set _ZN7rocprim17ROCPRIM_400000_NS6detail17trampoline_kernelINS0_14default_configENS1_36segmented_radix_sort_config_selectorIilEEZNS1_25segmented_radix_sort_implIS3_Lb0EPKiPiPKlPlN2at6native12_GLOBAL__N_18offset_tEEE10hipError_tPvRmT1_PNSt15iterator_traitsISK_E10value_typeET2_T3_PNSL_ISQ_E10value_typeET4_jRbjT5_SW_jjP12ihipStream_tbEUlT_E_NS1_11comp_targetILNS1_3genE5ELNS1_11target_archE942ELNS1_3gpuE9ELNS1_3repE0EEENS1_30default_config_static_selectorELNS0_4arch9wavefront6targetE0EEEvSK_.has_recursion, 0
	.set _ZN7rocprim17ROCPRIM_400000_NS6detail17trampoline_kernelINS0_14default_configENS1_36segmented_radix_sort_config_selectorIilEEZNS1_25segmented_radix_sort_implIS3_Lb0EPKiPiPKlPlN2at6native12_GLOBAL__N_18offset_tEEE10hipError_tPvRmT1_PNSt15iterator_traitsISK_E10value_typeET2_T3_PNSL_ISQ_E10value_typeET4_jRbjT5_SW_jjP12ihipStream_tbEUlT_E_NS1_11comp_targetILNS1_3genE5ELNS1_11target_archE942ELNS1_3gpuE9ELNS1_3repE0EEENS1_30default_config_static_selectorELNS0_4arch9wavefront6targetE0EEEvSK_.has_indirect_call, 0
	.section	.AMDGPU.csdata,"",@progbits
; Kernel info:
; codeLenInByte = 0
; TotalNumSgprs: 0
; NumVgprs: 0
; ScratchSize: 0
; MemoryBound: 0
; FloatMode: 240
; IeeeMode: 1
; LDSByteSize: 0 bytes/workgroup (compile time only)
; SGPRBlocks: 0
; VGPRBlocks: 0
; NumSGPRsForWavesPerEU: 1
; NumVGPRsForWavesPerEU: 1
; Occupancy: 16
; WaveLimiterHint : 0
; COMPUTE_PGM_RSRC2:SCRATCH_EN: 0
; COMPUTE_PGM_RSRC2:USER_SGPR: 6
; COMPUTE_PGM_RSRC2:TRAP_HANDLER: 0
; COMPUTE_PGM_RSRC2:TGID_X_EN: 1
; COMPUTE_PGM_RSRC2:TGID_Y_EN: 0
; COMPUTE_PGM_RSRC2:TGID_Z_EN: 0
; COMPUTE_PGM_RSRC2:TIDIG_COMP_CNT: 0
	.section	.text._ZN7rocprim17ROCPRIM_400000_NS6detail17trampoline_kernelINS0_14default_configENS1_36segmented_radix_sort_config_selectorIilEEZNS1_25segmented_radix_sort_implIS3_Lb0EPKiPiPKlPlN2at6native12_GLOBAL__N_18offset_tEEE10hipError_tPvRmT1_PNSt15iterator_traitsISK_E10value_typeET2_T3_PNSL_ISQ_E10value_typeET4_jRbjT5_SW_jjP12ihipStream_tbEUlT_E_NS1_11comp_targetILNS1_3genE4ELNS1_11target_archE910ELNS1_3gpuE8ELNS1_3repE0EEENS1_30default_config_static_selectorELNS0_4arch9wavefront6targetE0EEEvSK_,"axG",@progbits,_ZN7rocprim17ROCPRIM_400000_NS6detail17trampoline_kernelINS0_14default_configENS1_36segmented_radix_sort_config_selectorIilEEZNS1_25segmented_radix_sort_implIS3_Lb0EPKiPiPKlPlN2at6native12_GLOBAL__N_18offset_tEEE10hipError_tPvRmT1_PNSt15iterator_traitsISK_E10value_typeET2_T3_PNSL_ISQ_E10value_typeET4_jRbjT5_SW_jjP12ihipStream_tbEUlT_E_NS1_11comp_targetILNS1_3genE4ELNS1_11target_archE910ELNS1_3gpuE8ELNS1_3repE0EEENS1_30default_config_static_selectorELNS0_4arch9wavefront6targetE0EEEvSK_,comdat
	.globl	_ZN7rocprim17ROCPRIM_400000_NS6detail17trampoline_kernelINS0_14default_configENS1_36segmented_radix_sort_config_selectorIilEEZNS1_25segmented_radix_sort_implIS3_Lb0EPKiPiPKlPlN2at6native12_GLOBAL__N_18offset_tEEE10hipError_tPvRmT1_PNSt15iterator_traitsISK_E10value_typeET2_T3_PNSL_ISQ_E10value_typeET4_jRbjT5_SW_jjP12ihipStream_tbEUlT_E_NS1_11comp_targetILNS1_3genE4ELNS1_11target_archE910ELNS1_3gpuE8ELNS1_3repE0EEENS1_30default_config_static_selectorELNS0_4arch9wavefront6targetE0EEEvSK_ ; -- Begin function _ZN7rocprim17ROCPRIM_400000_NS6detail17trampoline_kernelINS0_14default_configENS1_36segmented_radix_sort_config_selectorIilEEZNS1_25segmented_radix_sort_implIS3_Lb0EPKiPiPKlPlN2at6native12_GLOBAL__N_18offset_tEEE10hipError_tPvRmT1_PNSt15iterator_traitsISK_E10value_typeET2_T3_PNSL_ISQ_E10value_typeET4_jRbjT5_SW_jjP12ihipStream_tbEUlT_E_NS1_11comp_targetILNS1_3genE4ELNS1_11target_archE910ELNS1_3gpuE8ELNS1_3repE0EEENS1_30default_config_static_selectorELNS0_4arch9wavefront6targetE0EEEvSK_
	.p2align	8
	.type	_ZN7rocprim17ROCPRIM_400000_NS6detail17trampoline_kernelINS0_14default_configENS1_36segmented_radix_sort_config_selectorIilEEZNS1_25segmented_radix_sort_implIS3_Lb0EPKiPiPKlPlN2at6native12_GLOBAL__N_18offset_tEEE10hipError_tPvRmT1_PNSt15iterator_traitsISK_E10value_typeET2_T3_PNSL_ISQ_E10value_typeET4_jRbjT5_SW_jjP12ihipStream_tbEUlT_E_NS1_11comp_targetILNS1_3genE4ELNS1_11target_archE910ELNS1_3gpuE8ELNS1_3repE0EEENS1_30default_config_static_selectorELNS0_4arch9wavefront6targetE0EEEvSK_,@function
_ZN7rocprim17ROCPRIM_400000_NS6detail17trampoline_kernelINS0_14default_configENS1_36segmented_radix_sort_config_selectorIilEEZNS1_25segmented_radix_sort_implIS3_Lb0EPKiPiPKlPlN2at6native12_GLOBAL__N_18offset_tEEE10hipError_tPvRmT1_PNSt15iterator_traitsISK_E10value_typeET2_T3_PNSL_ISQ_E10value_typeET4_jRbjT5_SW_jjP12ihipStream_tbEUlT_E_NS1_11comp_targetILNS1_3genE4ELNS1_11target_archE910ELNS1_3gpuE8ELNS1_3repE0EEENS1_30default_config_static_selectorELNS0_4arch9wavefront6targetE0EEEvSK_: ; @_ZN7rocprim17ROCPRIM_400000_NS6detail17trampoline_kernelINS0_14default_configENS1_36segmented_radix_sort_config_selectorIilEEZNS1_25segmented_radix_sort_implIS3_Lb0EPKiPiPKlPlN2at6native12_GLOBAL__N_18offset_tEEE10hipError_tPvRmT1_PNSt15iterator_traitsISK_E10value_typeET2_T3_PNSL_ISQ_E10value_typeET4_jRbjT5_SW_jjP12ihipStream_tbEUlT_E_NS1_11comp_targetILNS1_3genE4ELNS1_11target_archE910ELNS1_3gpuE8ELNS1_3repE0EEENS1_30default_config_static_selectorELNS0_4arch9wavefront6targetE0EEEvSK_
; %bb.0:
	.section	.rodata,"a",@progbits
	.p2align	6, 0x0
	.amdhsa_kernel _ZN7rocprim17ROCPRIM_400000_NS6detail17trampoline_kernelINS0_14default_configENS1_36segmented_radix_sort_config_selectorIilEEZNS1_25segmented_radix_sort_implIS3_Lb0EPKiPiPKlPlN2at6native12_GLOBAL__N_18offset_tEEE10hipError_tPvRmT1_PNSt15iterator_traitsISK_E10value_typeET2_T3_PNSL_ISQ_E10value_typeET4_jRbjT5_SW_jjP12ihipStream_tbEUlT_E_NS1_11comp_targetILNS1_3genE4ELNS1_11target_archE910ELNS1_3gpuE8ELNS1_3repE0EEENS1_30default_config_static_selectorELNS0_4arch9wavefront6targetE0EEEvSK_
		.amdhsa_group_segment_fixed_size 0
		.amdhsa_private_segment_fixed_size 0
		.amdhsa_kernarg_size 96
		.amdhsa_user_sgpr_count 6
		.amdhsa_user_sgpr_private_segment_buffer 1
		.amdhsa_user_sgpr_dispatch_ptr 0
		.amdhsa_user_sgpr_queue_ptr 0
		.amdhsa_user_sgpr_kernarg_segment_ptr 1
		.amdhsa_user_sgpr_dispatch_id 0
		.amdhsa_user_sgpr_flat_scratch_init 0
		.amdhsa_user_sgpr_private_segment_size 0
		.amdhsa_wavefront_size32 1
		.amdhsa_uses_dynamic_stack 0
		.amdhsa_system_sgpr_private_segment_wavefront_offset 0
		.amdhsa_system_sgpr_workgroup_id_x 1
		.amdhsa_system_sgpr_workgroup_id_y 0
		.amdhsa_system_sgpr_workgroup_id_z 0
		.amdhsa_system_sgpr_workgroup_info 0
		.amdhsa_system_vgpr_workitem_id 0
		.amdhsa_next_free_vgpr 1
		.amdhsa_next_free_sgpr 1
		.amdhsa_reserve_vcc 0
		.amdhsa_reserve_flat_scratch 0
		.amdhsa_float_round_mode_32 0
		.amdhsa_float_round_mode_16_64 0
		.amdhsa_float_denorm_mode_32 3
		.amdhsa_float_denorm_mode_16_64 3
		.amdhsa_dx10_clamp 1
		.amdhsa_ieee_mode 1
		.amdhsa_fp16_overflow 0
		.amdhsa_workgroup_processor_mode 1
		.amdhsa_memory_ordered 1
		.amdhsa_forward_progress 1
		.amdhsa_shared_vgpr_count 0
		.amdhsa_exception_fp_ieee_invalid_op 0
		.amdhsa_exception_fp_denorm_src 0
		.amdhsa_exception_fp_ieee_div_zero 0
		.amdhsa_exception_fp_ieee_overflow 0
		.amdhsa_exception_fp_ieee_underflow 0
		.amdhsa_exception_fp_ieee_inexact 0
		.amdhsa_exception_int_div_zero 0
	.end_amdhsa_kernel
	.section	.text._ZN7rocprim17ROCPRIM_400000_NS6detail17trampoline_kernelINS0_14default_configENS1_36segmented_radix_sort_config_selectorIilEEZNS1_25segmented_radix_sort_implIS3_Lb0EPKiPiPKlPlN2at6native12_GLOBAL__N_18offset_tEEE10hipError_tPvRmT1_PNSt15iterator_traitsISK_E10value_typeET2_T3_PNSL_ISQ_E10value_typeET4_jRbjT5_SW_jjP12ihipStream_tbEUlT_E_NS1_11comp_targetILNS1_3genE4ELNS1_11target_archE910ELNS1_3gpuE8ELNS1_3repE0EEENS1_30default_config_static_selectorELNS0_4arch9wavefront6targetE0EEEvSK_,"axG",@progbits,_ZN7rocprim17ROCPRIM_400000_NS6detail17trampoline_kernelINS0_14default_configENS1_36segmented_radix_sort_config_selectorIilEEZNS1_25segmented_radix_sort_implIS3_Lb0EPKiPiPKlPlN2at6native12_GLOBAL__N_18offset_tEEE10hipError_tPvRmT1_PNSt15iterator_traitsISK_E10value_typeET2_T3_PNSL_ISQ_E10value_typeET4_jRbjT5_SW_jjP12ihipStream_tbEUlT_E_NS1_11comp_targetILNS1_3genE4ELNS1_11target_archE910ELNS1_3gpuE8ELNS1_3repE0EEENS1_30default_config_static_selectorELNS0_4arch9wavefront6targetE0EEEvSK_,comdat
.Lfunc_end597:
	.size	_ZN7rocprim17ROCPRIM_400000_NS6detail17trampoline_kernelINS0_14default_configENS1_36segmented_radix_sort_config_selectorIilEEZNS1_25segmented_radix_sort_implIS3_Lb0EPKiPiPKlPlN2at6native12_GLOBAL__N_18offset_tEEE10hipError_tPvRmT1_PNSt15iterator_traitsISK_E10value_typeET2_T3_PNSL_ISQ_E10value_typeET4_jRbjT5_SW_jjP12ihipStream_tbEUlT_E_NS1_11comp_targetILNS1_3genE4ELNS1_11target_archE910ELNS1_3gpuE8ELNS1_3repE0EEENS1_30default_config_static_selectorELNS0_4arch9wavefront6targetE0EEEvSK_, .Lfunc_end597-_ZN7rocprim17ROCPRIM_400000_NS6detail17trampoline_kernelINS0_14default_configENS1_36segmented_radix_sort_config_selectorIilEEZNS1_25segmented_radix_sort_implIS3_Lb0EPKiPiPKlPlN2at6native12_GLOBAL__N_18offset_tEEE10hipError_tPvRmT1_PNSt15iterator_traitsISK_E10value_typeET2_T3_PNSL_ISQ_E10value_typeET4_jRbjT5_SW_jjP12ihipStream_tbEUlT_E_NS1_11comp_targetILNS1_3genE4ELNS1_11target_archE910ELNS1_3gpuE8ELNS1_3repE0EEENS1_30default_config_static_selectorELNS0_4arch9wavefront6targetE0EEEvSK_
                                        ; -- End function
	.set _ZN7rocprim17ROCPRIM_400000_NS6detail17trampoline_kernelINS0_14default_configENS1_36segmented_radix_sort_config_selectorIilEEZNS1_25segmented_radix_sort_implIS3_Lb0EPKiPiPKlPlN2at6native12_GLOBAL__N_18offset_tEEE10hipError_tPvRmT1_PNSt15iterator_traitsISK_E10value_typeET2_T3_PNSL_ISQ_E10value_typeET4_jRbjT5_SW_jjP12ihipStream_tbEUlT_E_NS1_11comp_targetILNS1_3genE4ELNS1_11target_archE910ELNS1_3gpuE8ELNS1_3repE0EEENS1_30default_config_static_selectorELNS0_4arch9wavefront6targetE0EEEvSK_.num_vgpr, 0
	.set _ZN7rocprim17ROCPRIM_400000_NS6detail17trampoline_kernelINS0_14default_configENS1_36segmented_radix_sort_config_selectorIilEEZNS1_25segmented_radix_sort_implIS3_Lb0EPKiPiPKlPlN2at6native12_GLOBAL__N_18offset_tEEE10hipError_tPvRmT1_PNSt15iterator_traitsISK_E10value_typeET2_T3_PNSL_ISQ_E10value_typeET4_jRbjT5_SW_jjP12ihipStream_tbEUlT_E_NS1_11comp_targetILNS1_3genE4ELNS1_11target_archE910ELNS1_3gpuE8ELNS1_3repE0EEENS1_30default_config_static_selectorELNS0_4arch9wavefront6targetE0EEEvSK_.num_agpr, 0
	.set _ZN7rocprim17ROCPRIM_400000_NS6detail17trampoline_kernelINS0_14default_configENS1_36segmented_radix_sort_config_selectorIilEEZNS1_25segmented_radix_sort_implIS3_Lb0EPKiPiPKlPlN2at6native12_GLOBAL__N_18offset_tEEE10hipError_tPvRmT1_PNSt15iterator_traitsISK_E10value_typeET2_T3_PNSL_ISQ_E10value_typeET4_jRbjT5_SW_jjP12ihipStream_tbEUlT_E_NS1_11comp_targetILNS1_3genE4ELNS1_11target_archE910ELNS1_3gpuE8ELNS1_3repE0EEENS1_30default_config_static_selectorELNS0_4arch9wavefront6targetE0EEEvSK_.numbered_sgpr, 0
	.set _ZN7rocprim17ROCPRIM_400000_NS6detail17trampoline_kernelINS0_14default_configENS1_36segmented_radix_sort_config_selectorIilEEZNS1_25segmented_radix_sort_implIS3_Lb0EPKiPiPKlPlN2at6native12_GLOBAL__N_18offset_tEEE10hipError_tPvRmT1_PNSt15iterator_traitsISK_E10value_typeET2_T3_PNSL_ISQ_E10value_typeET4_jRbjT5_SW_jjP12ihipStream_tbEUlT_E_NS1_11comp_targetILNS1_3genE4ELNS1_11target_archE910ELNS1_3gpuE8ELNS1_3repE0EEENS1_30default_config_static_selectorELNS0_4arch9wavefront6targetE0EEEvSK_.num_named_barrier, 0
	.set _ZN7rocprim17ROCPRIM_400000_NS6detail17trampoline_kernelINS0_14default_configENS1_36segmented_radix_sort_config_selectorIilEEZNS1_25segmented_radix_sort_implIS3_Lb0EPKiPiPKlPlN2at6native12_GLOBAL__N_18offset_tEEE10hipError_tPvRmT1_PNSt15iterator_traitsISK_E10value_typeET2_T3_PNSL_ISQ_E10value_typeET4_jRbjT5_SW_jjP12ihipStream_tbEUlT_E_NS1_11comp_targetILNS1_3genE4ELNS1_11target_archE910ELNS1_3gpuE8ELNS1_3repE0EEENS1_30default_config_static_selectorELNS0_4arch9wavefront6targetE0EEEvSK_.private_seg_size, 0
	.set _ZN7rocprim17ROCPRIM_400000_NS6detail17trampoline_kernelINS0_14default_configENS1_36segmented_radix_sort_config_selectorIilEEZNS1_25segmented_radix_sort_implIS3_Lb0EPKiPiPKlPlN2at6native12_GLOBAL__N_18offset_tEEE10hipError_tPvRmT1_PNSt15iterator_traitsISK_E10value_typeET2_T3_PNSL_ISQ_E10value_typeET4_jRbjT5_SW_jjP12ihipStream_tbEUlT_E_NS1_11comp_targetILNS1_3genE4ELNS1_11target_archE910ELNS1_3gpuE8ELNS1_3repE0EEENS1_30default_config_static_selectorELNS0_4arch9wavefront6targetE0EEEvSK_.uses_vcc, 0
	.set _ZN7rocprim17ROCPRIM_400000_NS6detail17trampoline_kernelINS0_14default_configENS1_36segmented_radix_sort_config_selectorIilEEZNS1_25segmented_radix_sort_implIS3_Lb0EPKiPiPKlPlN2at6native12_GLOBAL__N_18offset_tEEE10hipError_tPvRmT1_PNSt15iterator_traitsISK_E10value_typeET2_T3_PNSL_ISQ_E10value_typeET4_jRbjT5_SW_jjP12ihipStream_tbEUlT_E_NS1_11comp_targetILNS1_3genE4ELNS1_11target_archE910ELNS1_3gpuE8ELNS1_3repE0EEENS1_30default_config_static_selectorELNS0_4arch9wavefront6targetE0EEEvSK_.uses_flat_scratch, 0
	.set _ZN7rocprim17ROCPRIM_400000_NS6detail17trampoline_kernelINS0_14default_configENS1_36segmented_radix_sort_config_selectorIilEEZNS1_25segmented_radix_sort_implIS3_Lb0EPKiPiPKlPlN2at6native12_GLOBAL__N_18offset_tEEE10hipError_tPvRmT1_PNSt15iterator_traitsISK_E10value_typeET2_T3_PNSL_ISQ_E10value_typeET4_jRbjT5_SW_jjP12ihipStream_tbEUlT_E_NS1_11comp_targetILNS1_3genE4ELNS1_11target_archE910ELNS1_3gpuE8ELNS1_3repE0EEENS1_30default_config_static_selectorELNS0_4arch9wavefront6targetE0EEEvSK_.has_dyn_sized_stack, 0
	.set _ZN7rocprim17ROCPRIM_400000_NS6detail17trampoline_kernelINS0_14default_configENS1_36segmented_radix_sort_config_selectorIilEEZNS1_25segmented_radix_sort_implIS3_Lb0EPKiPiPKlPlN2at6native12_GLOBAL__N_18offset_tEEE10hipError_tPvRmT1_PNSt15iterator_traitsISK_E10value_typeET2_T3_PNSL_ISQ_E10value_typeET4_jRbjT5_SW_jjP12ihipStream_tbEUlT_E_NS1_11comp_targetILNS1_3genE4ELNS1_11target_archE910ELNS1_3gpuE8ELNS1_3repE0EEENS1_30default_config_static_selectorELNS0_4arch9wavefront6targetE0EEEvSK_.has_recursion, 0
	.set _ZN7rocprim17ROCPRIM_400000_NS6detail17trampoline_kernelINS0_14default_configENS1_36segmented_radix_sort_config_selectorIilEEZNS1_25segmented_radix_sort_implIS3_Lb0EPKiPiPKlPlN2at6native12_GLOBAL__N_18offset_tEEE10hipError_tPvRmT1_PNSt15iterator_traitsISK_E10value_typeET2_T3_PNSL_ISQ_E10value_typeET4_jRbjT5_SW_jjP12ihipStream_tbEUlT_E_NS1_11comp_targetILNS1_3genE4ELNS1_11target_archE910ELNS1_3gpuE8ELNS1_3repE0EEENS1_30default_config_static_selectorELNS0_4arch9wavefront6targetE0EEEvSK_.has_indirect_call, 0
	.section	.AMDGPU.csdata,"",@progbits
; Kernel info:
; codeLenInByte = 0
; TotalNumSgprs: 0
; NumVgprs: 0
; ScratchSize: 0
; MemoryBound: 0
; FloatMode: 240
; IeeeMode: 1
; LDSByteSize: 0 bytes/workgroup (compile time only)
; SGPRBlocks: 0
; VGPRBlocks: 0
; NumSGPRsForWavesPerEU: 1
; NumVGPRsForWavesPerEU: 1
; Occupancy: 16
; WaveLimiterHint : 0
; COMPUTE_PGM_RSRC2:SCRATCH_EN: 0
; COMPUTE_PGM_RSRC2:USER_SGPR: 6
; COMPUTE_PGM_RSRC2:TRAP_HANDLER: 0
; COMPUTE_PGM_RSRC2:TGID_X_EN: 1
; COMPUTE_PGM_RSRC2:TGID_Y_EN: 0
; COMPUTE_PGM_RSRC2:TGID_Z_EN: 0
; COMPUTE_PGM_RSRC2:TIDIG_COMP_CNT: 0
	.section	.text._ZN7rocprim17ROCPRIM_400000_NS6detail17trampoline_kernelINS0_14default_configENS1_36segmented_radix_sort_config_selectorIilEEZNS1_25segmented_radix_sort_implIS3_Lb0EPKiPiPKlPlN2at6native12_GLOBAL__N_18offset_tEEE10hipError_tPvRmT1_PNSt15iterator_traitsISK_E10value_typeET2_T3_PNSL_ISQ_E10value_typeET4_jRbjT5_SW_jjP12ihipStream_tbEUlT_E_NS1_11comp_targetILNS1_3genE3ELNS1_11target_archE908ELNS1_3gpuE7ELNS1_3repE0EEENS1_30default_config_static_selectorELNS0_4arch9wavefront6targetE0EEEvSK_,"axG",@progbits,_ZN7rocprim17ROCPRIM_400000_NS6detail17trampoline_kernelINS0_14default_configENS1_36segmented_radix_sort_config_selectorIilEEZNS1_25segmented_radix_sort_implIS3_Lb0EPKiPiPKlPlN2at6native12_GLOBAL__N_18offset_tEEE10hipError_tPvRmT1_PNSt15iterator_traitsISK_E10value_typeET2_T3_PNSL_ISQ_E10value_typeET4_jRbjT5_SW_jjP12ihipStream_tbEUlT_E_NS1_11comp_targetILNS1_3genE3ELNS1_11target_archE908ELNS1_3gpuE7ELNS1_3repE0EEENS1_30default_config_static_selectorELNS0_4arch9wavefront6targetE0EEEvSK_,comdat
	.globl	_ZN7rocprim17ROCPRIM_400000_NS6detail17trampoline_kernelINS0_14default_configENS1_36segmented_radix_sort_config_selectorIilEEZNS1_25segmented_radix_sort_implIS3_Lb0EPKiPiPKlPlN2at6native12_GLOBAL__N_18offset_tEEE10hipError_tPvRmT1_PNSt15iterator_traitsISK_E10value_typeET2_T3_PNSL_ISQ_E10value_typeET4_jRbjT5_SW_jjP12ihipStream_tbEUlT_E_NS1_11comp_targetILNS1_3genE3ELNS1_11target_archE908ELNS1_3gpuE7ELNS1_3repE0EEENS1_30default_config_static_selectorELNS0_4arch9wavefront6targetE0EEEvSK_ ; -- Begin function _ZN7rocprim17ROCPRIM_400000_NS6detail17trampoline_kernelINS0_14default_configENS1_36segmented_radix_sort_config_selectorIilEEZNS1_25segmented_radix_sort_implIS3_Lb0EPKiPiPKlPlN2at6native12_GLOBAL__N_18offset_tEEE10hipError_tPvRmT1_PNSt15iterator_traitsISK_E10value_typeET2_T3_PNSL_ISQ_E10value_typeET4_jRbjT5_SW_jjP12ihipStream_tbEUlT_E_NS1_11comp_targetILNS1_3genE3ELNS1_11target_archE908ELNS1_3gpuE7ELNS1_3repE0EEENS1_30default_config_static_selectorELNS0_4arch9wavefront6targetE0EEEvSK_
	.p2align	8
	.type	_ZN7rocprim17ROCPRIM_400000_NS6detail17trampoline_kernelINS0_14default_configENS1_36segmented_radix_sort_config_selectorIilEEZNS1_25segmented_radix_sort_implIS3_Lb0EPKiPiPKlPlN2at6native12_GLOBAL__N_18offset_tEEE10hipError_tPvRmT1_PNSt15iterator_traitsISK_E10value_typeET2_T3_PNSL_ISQ_E10value_typeET4_jRbjT5_SW_jjP12ihipStream_tbEUlT_E_NS1_11comp_targetILNS1_3genE3ELNS1_11target_archE908ELNS1_3gpuE7ELNS1_3repE0EEENS1_30default_config_static_selectorELNS0_4arch9wavefront6targetE0EEEvSK_,@function
_ZN7rocprim17ROCPRIM_400000_NS6detail17trampoline_kernelINS0_14default_configENS1_36segmented_radix_sort_config_selectorIilEEZNS1_25segmented_radix_sort_implIS3_Lb0EPKiPiPKlPlN2at6native12_GLOBAL__N_18offset_tEEE10hipError_tPvRmT1_PNSt15iterator_traitsISK_E10value_typeET2_T3_PNSL_ISQ_E10value_typeET4_jRbjT5_SW_jjP12ihipStream_tbEUlT_E_NS1_11comp_targetILNS1_3genE3ELNS1_11target_archE908ELNS1_3gpuE7ELNS1_3repE0EEENS1_30default_config_static_selectorELNS0_4arch9wavefront6targetE0EEEvSK_: ; @_ZN7rocprim17ROCPRIM_400000_NS6detail17trampoline_kernelINS0_14default_configENS1_36segmented_radix_sort_config_selectorIilEEZNS1_25segmented_radix_sort_implIS3_Lb0EPKiPiPKlPlN2at6native12_GLOBAL__N_18offset_tEEE10hipError_tPvRmT1_PNSt15iterator_traitsISK_E10value_typeET2_T3_PNSL_ISQ_E10value_typeET4_jRbjT5_SW_jjP12ihipStream_tbEUlT_E_NS1_11comp_targetILNS1_3genE3ELNS1_11target_archE908ELNS1_3gpuE7ELNS1_3repE0EEENS1_30default_config_static_selectorELNS0_4arch9wavefront6targetE0EEEvSK_
; %bb.0:
	.section	.rodata,"a",@progbits
	.p2align	6, 0x0
	.amdhsa_kernel _ZN7rocprim17ROCPRIM_400000_NS6detail17trampoline_kernelINS0_14default_configENS1_36segmented_radix_sort_config_selectorIilEEZNS1_25segmented_radix_sort_implIS3_Lb0EPKiPiPKlPlN2at6native12_GLOBAL__N_18offset_tEEE10hipError_tPvRmT1_PNSt15iterator_traitsISK_E10value_typeET2_T3_PNSL_ISQ_E10value_typeET4_jRbjT5_SW_jjP12ihipStream_tbEUlT_E_NS1_11comp_targetILNS1_3genE3ELNS1_11target_archE908ELNS1_3gpuE7ELNS1_3repE0EEENS1_30default_config_static_selectorELNS0_4arch9wavefront6targetE0EEEvSK_
		.amdhsa_group_segment_fixed_size 0
		.amdhsa_private_segment_fixed_size 0
		.amdhsa_kernarg_size 96
		.amdhsa_user_sgpr_count 6
		.amdhsa_user_sgpr_private_segment_buffer 1
		.amdhsa_user_sgpr_dispatch_ptr 0
		.amdhsa_user_sgpr_queue_ptr 0
		.amdhsa_user_sgpr_kernarg_segment_ptr 1
		.amdhsa_user_sgpr_dispatch_id 0
		.amdhsa_user_sgpr_flat_scratch_init 0
		.amdhsa_user_sgpr_private_segment_size 0
		.amdhsa_wavefront_size32 1
		.amdhsa_uses_dynamic_stack 0
		.amdhsa_system_sgpr_private_segment_wavefront_offset 0
		.amdhsa_system_sgpr_workgroup_id_x 1
		.amdhsa_system_sgpr_workgroup_id_y 0
		.amdhsa_system_sgpr_workgroup_id_z 0
		.amdhsa_system_sgpr_workgroup_info 0
		.amdhsa_system_vgpr_workitem_id 0
		.amdhsa_next_free_vgpr 1
		.amdhsa_next_free_sgpr 1
		.amdhsa_reserve_vcc 0
		.amdhsa_reserve_flat_scratch 0
		.amdhsa_float_round_mode_32 0
		.amdhsa_float_round_mode_16_64 0
		.amdhsa_float_denorm_mode_32 3
		.amdhsa_float_denorm_mode_16_64 3
		.amdhsa_dx10_clamp 1
		.amdhsa_ieee_mode 1
		.amdhsa_fp16_overflow 0
		.amdhsa_workgroup_processor_mode 1
		.amdhsa_memory_ordered 1
		.amdhsa_forward_progress 1
		.amdhsa_shared_vgpr_count 0
		.amdhsa_exception_fp_ieee_invalid_op 0
		.amdhsa_exception_fp_denorm_src 0
		.amdhsa_exception_fp_ieee_div_zero 0
		.amdhsa_exception_fp_ieee_overflow 0
		.amdhsa_exception_fp_ieee_underflow 0
		.amdhsa_exception_fp_ieee_inexact 0
		.amdhsa_exception_int_div_zero 0
	.end_amdhsa_kernel
	.section	.text._ZN7rocprim17ROCPRIM_400000_NS6detail17trampoline_kernelINS0_14default_configENS1_36segmented_radix_sort_config_selectorIilEEZNS1_25segmented_radix_sort_implIS3_Lb0EPKiPiPKlPlN2at6native12_GLOBAL__N_18offset_tEEE10hipError_tPvRmT1_PNSt15iterator_traitsISK_E10value_typeET2_T3_PNSL_ISQ_E10value_typeET4_jRbjT5_SW_jjP12ihipStream_tbEUlT_E_NS1_11comp_targetILNS1_3genE3ELNS1_11target_archE908ELNS1_3gpuE7ELNS1_3repE0EEENS1_30default_config_static_selectorELNS0_4arch9wavefront6targetE0EEEvSK_,"axG",@progbits,_ZN7rocprim17ROCPRIM_400000_NS6detail17trampoline_kernelINS0_14default_configENS1_36segmented_radix_sort_config_selectorIilEEZNS1_25segmented_radix_sort_implIS3_Lb0EPKiPiPKlPlN2at6native12_GLOBAL__N_18offset_tEEE10hipError_tPvRmT1_PNSt15iterator_traitsISK_E10value_typeET2_T3_PNSL_ISQ_E10value_typeET4_jRbjT5_SW_jjP12ihipStream_tbEUlT_E_NS1_11comp_targetILNS1_3genE3ELNS1_11target_archE908ELNS1_3gpuE7ELNS1_3repE0EEENS1_30default_config_static_selectorELNS0_4arch9wavefront6targetE0EEEvSK_,comdat
.Lfunc_end598:
	.size	_ZN7rocprim17ROCPRIM_400000_NS6detail17trampoline_kernelINS0_14default_configENS1_36segmented_radix_sort_config_selectorIilEEZNS1_25segmented_radix_sort_implIS3_Lb0EPKiPiPKlPlN2at6native12_GLOBAL__N_18offset_tEEE10hipError_tPvRmT1_PNSt15iterator_traitsISK_E10value_typeET2_T3_PNSL_ISQ_E10value_typeET4_jRbjT5_SW_jjP12ihipStream_tbEUlT_E_NS1_11comp_targetILNS1_3genE3ELNS1_11target_archE908ELNS1_3gpuE7ELNS1_3repE0EEENS1_30default_config_static_selectorELNS0_4arch9wavefront6targetE0EEEvSK_, .Lfunc_end598-_ZN7rocprim17ROCPRIM_400000_NS6detail17trampoline_kernelINS0_14default_configENS1_36segmented_radix_sort_config_selectorIilEEZNS1_25segmented_radix_sort_implIS3_Lb0EPKiPiPKlPlN2at6native12_GLOBAL__N_18offset_tEEE10hipError_tPvRmT1_PNSt15iterator_traitsISK_E10value_typeET2_T3_PNSL_ISQ_E10value_typeET4_jRbjT5_SW_jjP12ihipStream_tbEUlT_E_NS1_11comp_targetILNS1_3genE3ELNS1_11target_archE908ELNS1_3gpuE7ELNS1_3repE0EEENS1_30default_config_static_selectorELNS0_4arch9wavefront6targetE0EEEvSK_
                                        ; -- End function
	.set _ZN7rocprim17ROCPRIM_400000_NS6detail17trampoline_kernelINS0_14default_configENS1_36segmented_radix_sort_config_selectorIilEEZNS1_25segmented_radix_sort_implIS3_Lb0EPKiPiPKlPlN2at6native12_GLOBAL__N_18offset_tEEE10hipError_tPvRmT1_PNSt15iterator_traitsISK_E10value_typeET2_T3_PNSL_ISQ_E10value_typeET4_jRbjT5_SW_jjP12ihipStream_tbEUlT_E_NS1_11comp_targetILNS1_3genE3ELNS1_11target_archE908ELNS1_3gpuE7ELNS1_3repE0EEENS1_30default_config_static_selectorELNS0_4arch9wavefront6targetE0EEEvSK_.num_vgpr, 0
	.set _ZN7rocprim17ROCPRIM_400000_NS6detail17trampoline_kernelINS0_14default_configENS1_36segmented_radix_sort_config_selectorIilEEZNS1_25segmented_radix_sort_implIS3_Lb0EPKiPiPKlPlN2at6native12_GLOBAL__N_18offset_tEEE10hipError_tPvRmT1_PNSt15iterator_traitsISK_E10value_typeET2_T3_PNSL_ISQ_E10value_typeET4_jRbjT5_SW_jjP12ihipStream_tbEUlT_E_NS1_11comp_targetILNS1_3genE3ELNS1_11target_archE908ELNS1_3gpuE7ELNS1_3repE0EEENS1_30default_config_static_selectorELNS0_4arch9wavefront6targetE0EEEvSK_.num_agpr, 0
	.set _ZN7rocprim17ROCPRIM_400000_NS6detail17trampoline_kernelINS0_14default_configENS1_36segmented_radix_sort_config_selectorIilEEZNS1_25segmented_radix_sort_implIS3_Lb0EPKiPiPKlPlN2at6native12_GLOBAL__N_18offset_tEEE10hipError_tPvRmT1_PNSt15iterator_traitsISK_E10value_typeET2_T3_PNSL_ISQ_E10value_typeET4_jRbjT5_SW_jjP12ihipStream_tbEUlT_E_NS1_11comp_targetILNS1_3genE3ELNS1_11target_archE908ELNS1_3gpuE7ELNS1_3repE0EEENS1_30default_config_static_selectorELNS0_4arch9wavefront6targetE0EEEvSK_.numbered_sgpr, 0
	.set _ZN7rocprim17ROCPRIM_400000_NS6detail17trampoline_kernelINS0_14default_configENS1_36segmented_radix_sort_config_selectorIilEEZNS1_25segmented_radix_sort_implIS3_Lb0EPKiPiPKlPlN2at6native12_GLOBAL__N_18offset_tEEE10hipError_tPvRmT1_PNSt15iterator_traitsISK_E10value_typeET2_T3_PNSL_ISQ_E10value_typeET4_jRbjT5_SW_jjP12ihipStream_tbEUlT_E_NS1_11comp_targetILNS1_3genE3ELNS1_11target_archE908ELNS1_3gpuE7ELNS1_3repE0EEENS1_30default_config_static_selectorELNS0_4arch9wavefront6targetE0EEEvSK_.num_named_barrier, 0
	.set _ZN7rocprim17ROCPRIM_400000_NS6detail17trampoline_kernelINS0_14default_configENS1_36segmented_radix_sort_config_selectorIilEEZNS1_25segmented_radix_sort_implIS3_Lb0EPKiPiPKlPlN2at6native12_GLOBAL__N_18offset_tEEE10hipError_tPvRmT1_PNSt15iterator_traitsISK_E10value_typeET2_T3_PNSL_ISQ_E10value_typeET4_jRbjT5_SW_jjP12ihipStream_tbEUlT_E_NS1_11comp_targetILNS1_3genE3ELNS1_11target_archE908ELNS1_3gpuE7ELNS1_3repE0EEENS1_30default_config_static_selectorELNS0_4arch9wavefront6targetE0EEEvSK_.private_seg_size, 0
	.set _ZN7rocprim17ROCPRIM_400000_NS6detail17trampoline_kernelINS0_14default_configENS1_36segmented_radix_sort_config_selectorIilEEZNS1_25segmented_radix_sort_implIS3_Lb0EPKiPiPKlPlN2at6native12_GLOBAL__N_18offset_tEEE10hipError_tPvRmT1_PNSt15iterator_traitsISK_E10value_typeET2_T3_PNSL_ISQ_E10value_typeET4_jRbjT5_SW_jjP12ihipStream_tbEUlT_E_NS1_11comp_targetILNS1_3genE3ELNS1_11target_archE908ELNS1_3gpuE7ELNS1_3repE0EEENS1_30default_config_static_selectorELNS0_4arch9wavefront6targetE0EEEvSK_.uses_vcc, 0
	.set _ZN7rocprim17ROCPRIM_400000_NS6detail17trampoline_kernelINS0_14default_configENS1_36segmented_radix_sort_config_selectorIilEEZNS1_25segmented_radix_sort_implIS3_Lb0EPKiPiPKlPlN2at6native12_GLOBAL__N_18offset_tEEE10hipError_tPvRmT1_PNSt15iterator_traitsISK_E10value_typeET2_T3_PNSL_ISQ_E10value_typeET4_jRbjT5_SW_jjP12ihipStream_tbEUlT_E_NS1_11comp_targetILNS1_3genE3ELNS1_11target_archE908ELNS1_3gpuE7ELNS1_3repE0EEENS1_30default_config_static_selectorELNS0_4arch9wavefront6targetE0EEEvSK_.uses_flat_scratch, 0
	.set _ZN7rocprim17ROCPRIM_400000_NS6detail17trampoline_kernelINS0_14default_configENS1_36segmented_radix_sort_config_selectorIilEEZNS1_25segmented_radix_sort_implIS3_Lb0EPKiPiPKlPlN2at6native12_GLOBAL__N_18offset_tEEE10hipError_tPvRmT1_PNSt15iterator_traitsISK_E10value_typeET2_T3_PNSL_ISQ_E10value_typeET4_jRbjT5_SW_jjP12ihipStream_tbEUlT_E_NS1_11comp_targetILNS1_3genE3ELNS1_11target_archE908ELNS1_3gpuE7ELNS1_3repE0EEENS1_30default_config_static_selectorELNS0_4arch9wavefront6targetE0EEEvSK_.has_dyn_sized_stack, 0
	.set _ZN7rocprim17ROCPRIM_400000_NS6detail17trampoline_kernelINS0_14default_configENS1_36segmented_radix_sort_config_selectorIilEEZNS1_25segmented_radix_sort_implIS3_Lb0EPKiPiPKlPlN2at6native12_GLOBAL__N_18offset_tEEE10hipError_tPvRmT1_PNSt15iterator_traitsISK_E10value_typeET2_T3_PNSL_ISQ_E10value_typeET4_jRbjT5_SW_jjP12ihipStream_tbEUlT_E_NS1_11comp_targetILNS1_3genE3ELNS1_11target_archE908ELNS1_3gpuE7ELNS1_3repE0EEENS1_30default_config_static_selectorELNS0_4arch9wavefront6targetE0EEEvSK_.has_recursion, 0
	.set _ZN7rocprim17ROCPRIM_400000_NS6detail17trampoline_kernelINS0_14default_configENS1_36segmented_radix_sort_config_selectorIilEEZNS1_25segmented_radix_sort_implIS3_Lb0EPKiPiPKlPlN2at6native12_GLOBAL__N_18offset_tEEE10hipError_tPvRmT1_PNSt15iterator_traitsISK_E10value_typeET2_T3_PNSL_ISQ_E10value_typeET4_jRbjT5_SW_jjP12ihipStream_tbEUlT_E_NS1_11comp_targetILNS1_3genE3ELNS1_11target_archE908ELNS1_3gpuE7ELNS1_3repE0EEENS1_30default_config_static_selectorELNS0_4arch9wavefront6targetE0EEEvSK_.has_indirect_call, 0
	.section	.AMDGPU.csdata,"",@progbits
; Kernel info:
; codeLenInByte = 0
; TotalNumSgprs: 0
; NumVgprs: 0
; ScratchSize: 0
; MemoryBound: 0
; FloatMode: 240
; IeeeMode: 1
; LDSByteSize: 0 bytes/workgroup (compile time only)
; SGPRBlocks: 0
; VGPRBlocks: 0
; NumSGPRsForWavesPerEU: 1
; NumVGPRsForWavesPerEU: 1
; Occupancy: 16
; WaveLimiterHint : 0
; COMPUTE_PGM_RSRC2:SCRATCH_EN: 0
; COMPUTE_PGM_RSRC2:USER_SGPR: 6
; COMPUTE_PGM_RSRC2:TRAP_HANDLER: 0
; COMPUTE_PGM_RSRC2:TGID_X_EN: 1
; COMPUTE_PGM_RSRC2:TGID_Y_EN: 0
; COMPUTE_PGM_RSRC2:TGID_Z_EN: 0
; COMPUTE_PGM_RSRC2:TIDIG_COMP_CNT: 0
	.section	.text._ZN7rocprim17ROCPRIM_400000_NS6detail17trampoline_kernelINS0_14default_configENS1_36segmented_radix_sort_config_selectorIilEEZNS1_25segmented_radix_sort_implIS3_Lb0EPKiPiPKlPlN2at6native12_GLOBAL__N_18offset_tEEE10hipError_tPvRmT1_PNSt15iterator_traitsISK_E10value_typeET2_T3_PNSL_ISQ_E10value_typeET4_jRbjT5_SW_jjP12ihipStream_tbEUlT_E_NS1_11comp_targetILNS1_3genE2ELNS1_11target_archE906ELNS1_3gpuE6ELNS1_3repE0EEENS1_30default_config_static_selectorELNS0_4arch9wavefront6targetE0EEEvSK_,"axG",@progbits,_ZN7rocprim17ROCPRIM_400000_NS6detail17trampoline_kernelINS0_14default_configENS1_36segmented_radix_sort_config_selectorIilEEZNS1_25segmented_radix_sort_implIS3_Lb0EPKiPiPKlPlN2at6native12_GLOBAL__N_18offset_tEEE10hipError_tPvRmT1_PNSt15iterator_traitsISK_E10value_typeET2_T3_PNSL_ISQ_E10value_typeET4_jRbjT5_SW_jjP12ihipStream_tbEUlT_E_NS1_11comp_targetILNS1_3genE2ELNS1_11target_archE906ELNS1_3gpuE6ELNS1_3repE0EEENS1_30default_config_static_selectorELNS0_4arch9wavefront6targetE0EEEvSK_,comdat
	.globl	_ZN7rocprim17ROCPRIM_400000_NS6detail17trampoline_kernelINS0_14default_configENS1_36segmented_radix_sort_config_selectorIilEEZNS1_25segmented_radix_sort_implIS3_Lb0EPKiPiPKlPlN2at6native12_GLOBAL__N_18offset_tEEE10hipError_tPvRmT1_PNSt15iterator_traitsISK_E10value_typeET2_T3_PNSL_ISQ_E10value_typeET4_jRbjT5_SW_jjP12ihipStream_tbEUlT_E_NS1_11comp_targetILNS1_3genE2ELNS1_11target_archE906ELNS1_3gpuE6ELNS1_3repE0EEENS1_30default_config_static_selectorELNS0_4arch9wavefront6targetE0EEEvSK_ ; -- Begin function _ZN7rocprim17ROCPRIM_400000_NS6detail17trampoline_kernelINS0_14default_configENS1_36segmented_radix_sort_config_selectorIilEEZNS1_25segmented_radix_sort_implIS3_Lb0EPKiPiPKlPlN2at6native12_GLOBAL__N_18offset_tEEE10hipError_tPvRmT1_PNSt15iterator_traitsISK_E10value_typeET2_T3_PNSL_ISQ_E10value_typeET4_jRbjT5_SW_jjP12ihipStream_tbEUlT_E_NS1_11comp_targetILNS1_3genE2ELNS1_11target_archE906ELNS1_3gpuE6ELNS1_3repE0EEENS1_30default_config_static_selectorELNS0_4arch9wavefront6targetE0EEEvSK_
	.p2align	8
	.type	_ZN7rocprim17ROCPRIM_400000_NS6detail17trampoline_kernelINS0_14default_configENS1_36segmented_radix_sort_config_selectorIilEEZNS1_25segmented_radix_sort_implIS3_Lb0EPKiPiPKlPlN2at6native12_GLOBAL__N_18offset_tEEE10hipError_tPvRmT1_PNSt15iterator_traitsISK_E10value_typeET2_T3_PNSL_ISQ_E10value_typeET4_jRbjT5_SW_jjP12ihipStream_tbEUlT_E_NS1_11comp_targetILNS1_3genE2ELNS1_11target_archE906ELNS1_3gpuE6ELNS1_3repE0EEENS1_30default_config_static_selectorELNS0_4arch9wavefront6targetE0EEEvSK_,@function
_ZN7rocprim17ROCPRIM_400000_NS6detail17trampoline_kernelINS0_14default_configENS1_36segmented_radix_sort_config_selectorIilEEZNS1_25segmented_radix_sort_implIS3_Lb0EPKiPiPKlPlN2at6native12_GLOBAL__N_18offset_tEEE10hipError_tPvRmT1_PNSt15iterator_traitsISK_E10value_typeET2_T3_PNSL_ISQ_E10value_typeET4_jRbjT5_SW_jjP12ihipStream_tbEUlT_E_NS1_11comp_targetILNS1_3genE2ELNS1_11target_archE906ELNS1_3gpuE6ELNS1_3repE0EEENS1_30default_config_static_selectorELNS0_4arch9wavefront6targetE0EEEvSK_: ; @_ZN7rocprim17ROCPRIM_400000_NS6detail17trampoline_kernelINS0_14default_configENS1_36segmented_radix_sort_config_selectorIilEEZNS1_25segmented_radix_sort_implIS3_Lb0EPKiPiPKlPlN2at6native12_GLOBAL__N_18offset_tEEE10hipError_tPvRmT1_PNSt15iterator_traitsISK_E10value_typeET2_T3_PNSL_ISQ_E10value_typeET4_jRbjT5_SW_jjP12ihipStream_tbEUlT_E_NS1_11comp_targetILNS1_3genE2ELNS1_11target_archE906ELNS1_3gpuE6ELNS1_3repE0EEENS1_30default_config_static_selectorELNS0_4arch9wavefront6targetE0EEEvSK_
; %bb.0:
	.section	.rodata,"a",@progbits
	.p2align	6, 0x0
	.amdhsa_kernel _ZN7rocprim17ROCPRIM_400000_NS6detail17trampoline_kernelINS0_14default_configENS1_36segmented_radix_sort_config_selectorIilEEZNS1_25segmented_radix_sort_implIS3_Lb0EPKiPiPKlPlN2at6native12_GLOBAL__N_18offset_tEEE10hipError_tPvRmT1_PNSt15iterator_traitsISK_E10value_typeET2_T3_PNSL_ISQ_E10value_typeET4_jRbjT5_SW_jjP12ihipStream_tbEUlT_E_NS1_11comp_targetILNS1_3genE2ELNS1_11target_archE906ELNS1_3gpuE6ELNS1_3repE0EEENS1_30default_config_static_selectorELNS0_4arch9wavefront6targetE0EEEvSK_
		.amdhsa_group_segment_fixed_size 0
		.amdhsa_private_segment_fixed_size 0
		.amdhsa_kernarg_size 96
		.amdhsa_user_sgpr_count 6
		.amdhsa_user_sgpr_private_segment_buffer 1
		.amdhsa_user_sgpr_dispatch_ptr 0
		.amdhsa_user_sgpr_queue_ptr 0
		.amdhsa_user_sgpr_kernarg_segment_ptr 1
		.amdhsa_user_sgpr_dispatch_id 0
		.amdhsa_user_sgpr_flat_scratch_init 0
		.amdhsa_user_sgpr_private_segment_size 0
		.amdhsa_wavefront_size32 1
		.amdhsa_uses_dynamic_stack 0
		.amdhsa_system_sgpr_private_segment_wavefront_offset 0
		.amdhsa_system_sgpr_workgroup_id_x 1
		.amdhsa_system_sgpr_workgroup_id_y 0
		.amdhsa_system_sgpr_workgroup_id_z 0
		.amdhsa_system_sgpr_workgroup_info 0
		.amdhsa_system_vgpr_workitem_id 0
		.amdhsa_next_free_vgpr 1
		.amdhsa_next_free_sgpr 1
		.amdhsa_reserve_vcc 0
		.amdhsa_reserve_flat_scratch 0
		.amdhsa_float_round_mode_32 0
		.amdhsa_float_round_mode_16_64 0
		.amdhsa_float_denorm_mode_32 3
		.amdhsa_float_denorm_mode_16_64 3
		.amdhsa_dx10_clamp 1
		.amdhsa_ieee_mode 1
		.amdhsa_fp16_overflow 0
		.amdhsa_workgroup_processor_mode 1
		.amdhsa_memory_ordered 1
		.amdhsa_forward_progress 1
		.amdhsa_shared_vgpr_count 0
		.amdhsa_exception_fp_ieee_invalid_op 0
		.amdhsa_exception_fp_denorm_src 0
		.amdhsa_exception_fp_ieee_div_zero 0
		.amdhsa_exception_fp_ieee_overflow 0
		.amdhsa_exception_fp_ieee_underflow 0
		.amdhsa_exception_fp_ieee_inexact 0
		.amdhsa_exception_int_div_zero 0
	.end_amdhsa_kernel
	.section	.text._ZN7rocprim17ROCPRIM_400000_NS6detail17trampoline_kernelINS0_14default_configENS1_36segmented_radix_sort_config_selectorIilEEZNS1_25segmented_radix_sort_implIS3_Lb0EPKiPiPKlPlN2at6native12_GLOBAL__N_18offset_tEEE10hipError_tPvRmT1_PNSt15iterator_traitsISK_E10value_typeET2_T3_PNSL_ISQ_E10value_typeET4_jRbjT5_SW_jjP12ihipStream_tbEUlT_E_NS1_11comp_targetILNS1_3genE2ELNS1_11target_archE906ELNS1_3gpuE6ELNS1_3repE0EEENS1_30default_config_static_selectorELNS0_4arch9wavefront6targetE0EEEvSK_,"axG",@progbits,_ZN7rocprim17ROCPRIM_400000_NS6detail17trampoline_kernelINS0_14default_configENS1_36segmented_radix_sort_config_selectorIilEEZNS1_25segmented_radix_sort_implIS3_Lb0EPKiPiPKlPlN2at6native12_GLOBAL__N_18offset_tEEE10hipError_tPvRmT1_PNSt15iterator_traitsISK_E10value_typeET2_T3_PNSL_ISQ_E10value_typeET4_jRbjT5_SW_jjP12ihipStream_tbEUlT_E_NS1_11comp_targetILNS1_3genE2ELNS1_11target_archE906ELNS1_3gpuE6ELNS1_3repE0EEENS1_30default_config_static_selectorELNS0_4arch9wavefront6targetE0EEEvSK_,comdat
.Lfunc_end599:
	.size	_ZN7rocprim17ROCPRIM_400000_NS6detail17trampoline_kernelINS0_14default_configENS1_36segmented_radix_sort_config_selectorIilEEZNS1_25segmented_radix_sort_implIS3_Lb0EPKiPiPKlPlN2at6native12_GLOBAL__N_18offset_tEEE10hipError_tPvRmT1_PNSt15iterator_traitsISK_E10value_typeET2_T3_PNSL_ISQ_E10value_typeET4_jRbjT5_SW_jjP12ihipStream_tbEUlT_E_NS1_11comp_targetILNS1_3genE2ELNS1_11target_archE906ELNS1_3gpuE6ELNS1_3repE0EEENS1_30default_config_static_selectorELNS0_4arch9wavefront6targetE0EEEvSK_, .Lfunc_end599-_ZN7rocprim17ROCPRIM_400000_NS6detail17trampoline_kernelINS0_14default_configENS1_36segmented_radix_sort_config_selectorIilEEZNS1_25segmented_radix_sort_implIS3_Lb0EPKiPiPKlPlN2at6native12_GLOBAL__N_18offset_tEEE10hipError_tPvRmT1_PNSt15iterator_traitsISK_E10value_typeET2_T3_PNSL_ISQ_E10value_typeET4_jRbjT5_SW_jjP12ihipStream_tbEUlT_E_NS1_11comp_targetILNS1_3genE2ELNS1_11target_archE906ELNS1_3gpuE6ELNS1_3repE0EEENS1_30default_config_static_selectorELNS0_4arch9wavefront6targetE0EEEvSK_
                                        ; -- End function
	.set _ZN7rocprim17ROCPRIM_400000_NS6detail17trampoline_kernelINS0_14default_configENS1_36segmented_radix_sort_config_selectorIilEEZNS1_25segmented_radix_sort_implIS3_Lb0EPKiPiPKlPlN2at6native12_GLOBAL__N_18offset_tEEE10hipError_tPvRmT1_PNSt15iterator_traitsISK_E10value_typeET2_T3_PNSL_ISQ_E10value_typeET4_jRbjT5_SW_jjP12ihipStream_tbEUlT_E_NS1_11comp_targetILNS1_3genE2ELNS1_11target_archE906ELNS1_3gpuE6ELNS1_3repE0EEENS1_30default_config_static_selectorELNS0_4arch9wavefront6targetE0EEEvSK_.num_vgpr, 0
	.set _ZN7rocprim17ROCPRIM_400000_NS6detail17trampoline_kernelINS0_14default_configENS1_36segmented_radix_sort_config_selectorIilEEZNS1_25segmented_radix_sort_implIS3_Lb0EPKiPiPKlPlN2at6native12_GLOBAL__N_18offset_tEEE10hipError_tPvRmT1_PNSt15iterator_traitsISK_E10value_typeET2_T3_PNSL_ISQ_E10value_typeET4_jRbjT5_SW_jjP12ihipStream_tbEUlT_E_NS1_11comp_targetILNS1_3genE2ELNS1_11target_archE906ELNS1_3gpuE6ELNS1_3repE0EEENS1_30default_config_static_selectorELNS0_4arch9wavefront6targetE0EEEvSK_.num_agpr, 0
	.set _ZN7rocprim17ROCPRIM_400000_NS6detail17trampoline_kernelINS0_14default_configENS1_36segmented_radix_sort_config_selectorIilEEZNS1_25segmented_radix_sort_implIS3_Lb0EPKiPiPKlPlN2at6native12_GLOBAL__N_18offset_tEEE10hipError_tPvRmT1_PNSt15iterator_traitsISK_E10value_typeET2_T3_PNSL_ISQ_E10value_typeET4_jRbjT5_SW_jjP12ihipStream_tbEUlT_E_NS1_11comp_targetILNS1_3genE2ELNS1_11target_archE906ELNS1_3gpuE6ELNS1_3repE0EEENS1_30default_config_static_selectorELNS0_4arch9wavefront6targetE0EEEvSK_.numbered_sgpr, 0
	.set _ZN7rocprim17ROCPRIM_400000_NS6detail17trampoline_kernelINS0_14default_configENS1_36segmented_radix_sort_config_selectorIilEEZNS1_25segmented_radix_sort_implIS3_Lb0EPKiPiPKlPlN2at6native12_GLOBAL__N_18offset_tEEE10hipError_tPvRmT1_PNSt15iterator_traitsISK_E10value_typeET2_T3_PNSL_ISQ_E10value_typeET4_jRbjT5_SW_jjP12ihipStream_tbEUlT_E_NS1_11comp_targetILNS1_3genE2ELNS1_11target_archE906ELNS1_3gpuE6ELNS1_3repE0EEENS1_30default_config_static_selectorELNS0_4arch9wavefront6targetE0EEEvSK_.num_named_barrier, 0
	.set _ZN7rocprim17ROCPRIM_400000_NS6detail17trampoline_kernelINS0_14default_configENS1_36segmented_radix_sort_config_selectorIilEEZNS1_25segmented_radix_sort_implIS3_Lb0EPKiPiPKlPlN2at6native12_GLOBAL__N_18offset_tEEE10hipError_tPvRmT1_PNSt15iterator_traitsISK_E10value_typeET2_T3_PNSL_ISQ_E10value_typeET4_jRbjT5_SW_jjP12ihipStream_tbEUlT_E_NS1_11comp_targetILNS1_3genE2ELNS1_11target_archE906ELNS1_3gpuE6ELNS1_3repE0EEENS1_30default_config_static_selectorELNS0_4arch9wavefront6targetE0EEEvSK_.private_seg_size, 0
	.set _ZN7rocprim17ROCPRIM_400000_NS6detail17trampoline_kernelINS0_14default_configENS1_36segmented_radix_sort_config_selectorIilEEZNS1_25segmented_radix_sort_implIS3_Lb0EPKiPiPKlPlN2at6native12_GLOBAL__N_18offset_tEEE10hipError_tPvRmT1_PNSt15iterator_traitsISK_E10value_typeET2_T3_PNSL_ISQ_E10value_typeET4_jRbjT5_SW_jjP12ihipStream_tbEUlT_E_NS1_11comp_targetILNS1_3genE2ELNS1_11target_archE906ELNS1_3gpuE6ELNS1_3repE0EEENS1_30default_config_static_selectorELNS0_4arch9wavefront6targetE0EEEvSK_.uses_vcc, 0
	.set _ZN7rocprim17ROCPRIM_400000_NS6detail17trampoline_kernelINS0_14default_configENS1_36segmented_radix_sort_config_selectorIilEEZNS1_25segmented_radix_sort_implIS3_Lb0EPKiPiPKlPlN2at6native12_GLOBAL__N_18offset_tEEE10hipError_tPvRmT1_PNSt15iterator_traitsISK_E10value_typeET2_T3_PNSL_ISQ_E10value_typeET4_jRbjT5_SW_jjP12ihipStream_tbEUlT_E_NS1_11comp_targetILNS1_3genE2ELNS1_11target_archE906ELNS1_3gpuE6ELNS1_3repE0EEENS1_30default_config_static_selectorELNS0_4arch9wavefront6targetE0EEEvSK_.uses_flat_scratch, 0
	.set _ZN7rocprim17ROCPRIM_400000_NS6detail17trampoline_kernelINS0_14default_configENS1_36segmented_radix_sort_config_selectorIilEEZNS1_25segmented_radix_sort_implIS3_Lb0EPKiPiPKlPlN2at6native12_GLOBAL__N_18offset_tEEE10hipError_tPvRmT1_PNSt15iterator_traitsISK_E10value_typeET2_T3_PNSL_ISQ_E10value_typeET4_jRbjT5_SW_jjP12ihipStream_tbEUlT_E_NS1_11comp_targetILNS1_3genE2ELNS1_11target_archE906ELNS1_3gpuE6ELNS1_3repE0EEENS1_30default_config_static_selectorELNS0_4arch9wavefront6targetE0EEEvSK_.has_dyn_sized_stack, 0
	.set _ZN7rocprim17ROCPRIM_400000_NS6detail17trampoline_kernelINS0_14default_configENS1_36segmented_radix_sort_config_selectorIilEEZNS1_25segmented_radix_sort_implIS3_Lb0EPKiPiPKlPlN2at6native12_GLOBAL__N_18offset_tEEE10hipError_tPvRmT1_PNSt15iterator_traitsISK_E10value_typeET2_T3_PNSL_ISQ_E10value_typeET4_jRbjT5_SW_jjP12ihipStream_tbEUlT_E_NS1_11comp_targetILNS1_3genE2ELNS1_11target_archE906ELNS1_3gpuE6ELNS1_3repE0EEENS1_30default_config_static_selectorELNS0_4arch9wavefront6targetE0EEEvSK_.has_recursion, 0
	.set _ZN7rocprim17ROCPRIM_400000_NS6detail17trampoline_kernelINS0_14default_configENS1_36segmented_radix_sort_config_selectorIilEEZNS1_25segmented_radix_sort_implIS3_Lb0EPKiPiPKlPlN2at6native12_GLOBAL__N_18offset_tEEE10hipError_tPvRmT1_PNSt15iterator_traitsISK_E10value_typeET2_T3_PNSL_ISQ_E10value_typeET4_jRbjT5_SW_jjP12ihipStream_tbEUlT_E_NS1_11comp_targetILNS1_3genE2ELNS1_11target_archE906ELNS1_3gpuE6ELNS1_3repE0EEENS1_30default_config_static_selectorELNS0_4arch9wavefront6targetE0EEEvSK_.has_indirect_call, 0
	.section	.AMDGPU.csdata,"",@progbits
; Kernel info:
; codeLenInByte = 0
; TotalNumSgprs: 0
; NumVgprs: 0
; ScratchSize: 0
; MemoryBound: 0
; FloatMode: 240
; IeeeMode: 1
; LDSByteSize: 0 bytes/workgroup (compile time only)
; SGPRBlocks: 0
; VGPRBlocks: 0
; NumSGPRsForWavesPerEU: 1
; NumVGPRsForWavesPerEU: 1
; Occupancy: 16
; WaveLimiterHint : 0
; COMPUTE_PGM_RSRC2:SCRATCH_EN: 0
; COMPUTE_PGM_RSRC2:USER_SGPR: 6
; COMPUTE_PGM_RSRC2:TRAP_HANDLER: 0
; COMPUTE_PGM_RSRC2:TGID_X_EN: 1
; COMPUTE_PGM_RSRC2:TGID_Y_EN: 0
; COMPUTE_PGM_RSRC2:TGID_Z_EN: 0
; COMPUTE_PGM_RSRC2:TIDIG_COMP_CNT: 0
	.section	.text._ZN7rocprim17ROCPRIM_400000_NS6detail17trampoline_kernelINS0_14default_configENS1_36segmented_radix_sort_config_selectorIilEEZNS1_25segmented_radix_sort_implIS3_Lb0EPKiPiPKlPlN2at6native12_GLOBAL__N_18offset_tEEE10hipError_tPvRmT1_PNSt15iterator_traitsISK_E10value_typeET2_T3_PNSL_ISQ_E10value_typeET4_jRbjT5_SW_jjP12ihipStream_tbEUlT_E_NS1_11comp_targetILNS1_3genE10ELNS1_11target_archE1201ELNS1_3gpuE5ELNS1_3repE0EEENS1_30default_config_static_selectorELNS0_4arch9wavefront6targetE0EEEvSK_,"axG",@progbits,_ZN7rocprim17ROCPRIM_400000_NS6detail17trampoline_kernelINS0_14default_configENS1_36segmented_radix_sort_config_selectorIilEEZNS1_25segmented_radix_sort_implIS3_Lb0EPKiPiPKlPlN2at6native12_GLOBAL__N_18offset_tEEE10hipError_tPvRmT1_PNSt15iterator_traitsISK_E10value_typeET2_T3_PNSL_ISQ_E10value_typeET4_jRbjT5_SW_jjP12ihipStream_tbEUlT_E_NS1_11comp_targetILNS1_3genE10ELNS1_11target_archE1201ELNS1_3gpuE5ELNS1_3repE0EEENS1_30default_config_static_selectorELNS0_4arch9wavefront6targetE0EEEvSK_,comdat
	.globl	_ZN7rocprim17ROCPRIM_400000_NS6detail17trampoline_kernelINS0_14default_configENS1_36segmented_radix_sort_config_selectorIilEEZNS1_25segmented_radix_sort_implIS3_Lb0EPKiPiPKlPlN2at6native12_GLOBAL__N_18offset_tEEE10hipError_tPvRmT1_PNSt15iterator_traitsISK_E10value_typeET2_T3_PNSL_ISQ_E10value_typeET4_jRbjT5_SW_jjP12ihipStream_tbEUlT_E_NS1_11comp_targetILNS1_3genE10ELNS1_11target_archE1201ELNS1_3gpuE5ELNS1_3repE0EEENS1_30default_config_static_selectorELNS0_4arch9wavefront6targetE0EEEvSK_ ; -- Begin function _ZN7rocprim17ROCPRIM_400000_NS6detail17trampoline_kernelINS0_14default_configENS1_36segmented_radix_sort_config_selectorIilEEZNS1_25segmented_radix_sort_implIS3_Lb0EPKiPiPKlPlN2at6native12_GLOBAL__N_18offset_tEEE10hipError_tPvRmT1_PNSt15iterator_traitsISK_E10value_typeET2_T3_PNSL_ISQ_E10value_typeET4_jRbjT5_SW_jjP12ihipStream_tbEUlT_E_NS1_11comp_targetILNS1_3genE10ELNS1_11target_archE1201ELNS1_3gpuE5ELNS1_3repE0EEENS1_30default_config_static_selectorELNS0_4arch9wavefront6targetE0EEEvSK_
	.p2align	8
	.type	_ZN7rocprim17ROCPRIM_400000_NS6detail17trampoline_kernelINS0_14default_configENS1_36segmented_radix_sort_config_selectorIilEEZNS1_25segmented_radix_sort_implIS3_Lb0EPKiPiPKlPlN2at6native12_GLOBAL__N_18offset_tEEE10hipError_tPvRmT1_PNSt15iterator_traitsISK_E10value_typeET2_T3_PNSL_ISQ_E10value_typeET4_jRbjT5_SW_jjP12ihipStream_tbEUlT_E_NS1_11comp_targetILNS1_3genE10ELNS1_11target_archE1201ELNS1_3gpuE5ELNS1_3repE0EEENS1_30default_config_static_selectorELNS0_4arch9wavefront6targetE0EEEvSK_,@function
_ZN7rocprim17ROCPRIM_400000_NS6detail17trampoline_kernelINS0_14default_configENS1_36segmented_radix_sort_config_selectorIilEEZNS1_25segmented_radix_sort_implIS3_Lb0EPKiPiPKlPlN2at6native12_GLOBAL__N_18offset_tEEE10hipError_tPvRmT1_PNSt15iterator_traitsISK_E10value_typeET2_T3_PNSL_ISQ_E10value_typeET4_jRbjT5_SW_jjP12ihipStream_tbEUlT_E_NS1_11comp_targetILNS1_3genE10ELNS1_11target_archE1201ELNS1_3gpuE5ELNS1_3repE0EEENS1_30default_config_static_selectorELNS0_4arch9wavefront6targetE0EEEvSK_: ; @_ZN7rocprim17ROCPRIM_400000_NS6detail17trampoline_kernelINS0_14default_configENS1_36segmented_radix_sort_config_selectorIilEEZNS1_25segmented_radix_sort_implIS3_Lb0EPKiPiPKlPlN2at6native12_GLOBAL__N_18offset_tEEE10hipError_tPvRmT1_PNSt15iterator_traitsISK_E10value_typeET2_T3_PNSL_ISQ_E10value_typeET4_jRbjT5_SW_jjP12ihipStream_tbEUlT_E_NS1_11comp_targetILNS1_3genE10ELNS1_11target_archE1201ELNS1_3gpuE5ELNS1_3repE0EEENS1_30default_config_static_selectorELNS0_4arch9wavefront6targetE0EEEvSK_
; %bb.0:
	.section	.rodata,"a",@progbits
	.p2align	6, 0x0
	.amdhsa_kernel _ZN7rocprim17ROCPRIM_400000_NS6detail17trampoline_kernelINS0_14default_configENS1_36segmented_radix_sort_config_selectorIilEEZNS1_25segmented_radix_sort_implIS3_Lb0EPKiPiPKlPlN2at6native12_GLOBAL__N_18offset_tEEE10hipError_tPvRmT1_PNSt15iterator_traitsISK_E10value_typeET2_T3_PNSL_ISQ_E10value_typeET4_jRbjT5_SW_jjP12ihipStream_tbEUlT_E_NS1_11comp_targetILNS1_3genE10ELNS1_11target_archE1201ELNS1_3gpuE5ELNS1_3repE0EEENS1_30default_config_static_selectorELNS0_4arch9wavefront6targetE0EEEvSK_
		.amdhsa_group_segment_fixed_size 0
		.amdhsa_private_segment_fixed_size 0
		.amdhsa_kernarg_size 96
		.amdhsa_user_sgpr_count 6
		.amdhsa_user_sgpr_private_segment_buffer 1
		.amdhsa_user_sgpr_dispatch_ptr 0
		.amdhsa_user_sgpr_queue_ptr 0
		.amdhsa_user_sgpr_kernarg_segment_ptr 1
		.amdhsa_user_sgpr_dispatch_id 0
		.amdhsa_user_sgpr_flat_scratch_init 0
		.amdhsa_user_sgpr_private_segment_size 0
		.amdhsa_wavefront_size32 1
		.amdhsa_uses_dynamic_stack 0
		.amdhsa_system_sgpr_private_segment_wavefront_offset 0
		.amdhsa_system_sgpr_workgroup_id_x 1
		.amdhsa_system_sgpr_workgroup_id_y 0
		.amdhsa_system_sgpr_workgroup_id_z 0
		.amdhsa_system_sgpr_workgroup_info 0
		.amdhsa_system_vgpr_workitem_id 0
		.amdhsa_next_free_vgpr 1
		.amdhsa_next_free_sgpr 1
		.amdhsa_reserve_vcc 0
		.amdhsa_reserve_flat_scratch 0
		.amdhsa_float_round_mode_32 0
		.amdhsa_float_round_mode_16_64 0
		.amdhsa_float_denorm_mode_32 3
		.amdhsa_float_denorm_mode_16_64 3
		.amdhsa_dx10_clamp 1
		.amdhsa_ieee_mode 1
		.amdhsa_fp16_overflow 0
		.amdhsa_workgroup_processor_mode 1
		.amdhsa_memory_ordered 1
		.amdhsa_forward_progress 1
		.amdhsa_shared_vgpr_count 0
		.amdhsa_exception_fp_ieee_invalid_op 0
		.amdhsa_exception_fp_denorm_src 0
		.amdhsa_exception_fp_ieee_div_zero 0
		.amdhsa_exception_fp_ieee_overflow 0
		.amdhsa_exception_fp_ieee_underflow 0
		.amdhsa_exception_fp_ieee_inexact 0
		.amdhsa_exception_int_div_zero 0
	.end_amdhsa_kernel
	.section	.text._ZN7rocprim17ROCPRIM_400000_NS6detail17trampoline_kernelINS0_14default_configENS1_36segmented_radix_sort_config_selectorIilEEZNS1_25segmented_radix_sort_implIS3_Lb0EPKiPiPKlPlN2at6native12_GLOBAL__N_18offset_tEEE10hipError_tPvRmT1_PNSt15iterator_traitsISK_E10value_typeET2_T3_PNSL_ISQ_E10value_typeET4_jRbjT5_SW_jjP12ihipStream_tbEUlT_E_NS1_11comp_targetILNS1_3genE10ELNS1_11target_archE1201ELNS1_3gpuE5ELNS1_3repE0EEENS1_30default_config_static_selectorELNS0_4arch9wavefront6targetE0EEEvSK_,"axG",@progbits,_ZN7rocprim17ROCPRIM_400000_NS6detail17trampoline_kernelINS0_14default_configENS1_36segmented_radix_sort_config_selectorIilEEZNS1_25segmented_radix_sort_implIS3_Lb0EPKiPiPKlPlN2at6native12_GLOBAL__N_18offset_tEEE10hipError_tPvRmT1_PNSt15iterator_traitsISK_E10value_typeET2_T3_PNSL_ISQ_E10value_typeET4_jRbjT5_SW_jjP12ihipStream_tbEUlT_E_NS1_11comp_targetILNS1_3genE10ELNS1_11target_archE1201ELNS1_3gpuE5ELNS1_3repE0EEENS1_30default_config_static_selectorELNS0_4arch9wavefront6targetE0EEEvSK_,comdat
.Lfunc_end600:
	.size	_ZN7rocprim17ROCPRIM_400000_NS6detail17trampoline_kernelINS0_14default_configENS1_36segmented_radix_sort_config_selectorIilEEZNS1_25segmented_radix_sort_implIS3_Lb0EPKiPiPKlPlN2at6native12_GLOBAL__N_18offset_tEEE10hipError_tPvRmT1_PNSt15iterator_traitsISK_E10value_typeET2_T3_PNSL_ISQ_E10value_typeET4_jRbjT5_SW_jjP12ihipStream_tbEUlT_E_NS1_11comp_targetILNS1_3genE10ELNS1_11target_archE1201ELNS1_3gpuE5ELNS1_3repE0EEENS1_30default_config_static_selectorELNS0_4arch9wavefront6targetE0EEEvSK_, .Lfunc_end600-_ZN7rocprim17ROCPRIM_400000_NS6detail17trampoline_kernelINS0_14default_configENS1_36segmented_radix_sort_config_selectorIilEEZNS1_25segmented_radix_sort_implIS3_Lb0EPKiPiPKlPlN2at6native12_GLOBAL__N_18offset_tEEE10hipError_tPvRmT1_PNSt15iterator_traitsISK_E10value_typeET2_T3_PNSL_ISQ_E10value_typeET4_jRbjT5_SW_jjP12ihipStream_tbEUlT_E_NS1_11comp_targetILNS1_3genE10ELNS1_11target_archE1201ELNS1_3gpuE5ELNS1_3repE0EEENS1_30default_config_static_selectorELNS0_4arch9wavefront6targetE0EEEvSK_
                                        ; -- End function
	.set _ZN7rocprim17ROCPRIM_400000_NS6detail17trampoline_kernelINS0_14default_configENS1_36segmented_radix_sort_config_selectorIilEEZNS1_25segmented_radix_sort_implIS3_Lb0EPKiPiPKlPlN2at6native12_GLOBAL__N_18offset_tEEE10hipError_tPvRmT1_PNSt15iterator_traitsISK_E10value_typeET2_T3_PNSL_ISQ_E10value_typeET4_jRbjT5_SW_jjP12ihipStream_tbEUlT_E_NS1_11comp_targetILNS1_3genE10ELNS1_11target_archE1201ELNS1_3gpuE5ELNS1_3repE0EEENS1_30default_config_static_selectorELNS0_4arch9wavefront6targetE0EEEvSK_.num_vgpr, 0
	.set _ZN7rocprim17ROCPRIM_400000_NS6detail17trampoline_kernelINS0_14default_configENS1_36segmented_radix_sort_config_selectorIilEEZNS1_25segmented_radix_sort_implIS3_Lb0EPKiPiPKlPlN2at6native12_GLOBAL__N_18offset_tEEE10hipError_tPvRmT1_PNSt15iterator_traitsISK_E10value_typeET2_T3_PNSL_ISQ_E10value_typeET4_jRbjT5_SW_jjP12ihipStream_tbEUlT_E_NS1_11comp_targetILNS1_3genE10ELNS1_11target_archE1201ELNS1_3gpuE5ELNS1_3repE0EEENS1_30default_config_static_selectorELNS0_4arch9wavefront6targetE0EEEvSK_.num_agpr, 0
	.set _ZN7rocprim17ROCPRIM_400000_NS6detail17trampoline_kernelINS0_14default_configENS1_36segmented_radix_sort_config_selectorIilEEZNS1_25segmented_radix_sort_implIS3_Lb0EPKiPiPKlPlN2at6native12_GLOBAL__N_18offset_tEEE10hipError_tPvRmT1_PNSt15iterator_traitsISK_E10value_typeET2_T3_PNSL_ISQ_E10value_typeET4_jRbjT5_SW_jjP12ihipStream_tbEUlT_E_NS1_11comp_targetILNS1_3genE10ELNS1_11target_archE1201ELNS1_3gpuE5ELNS1_3repE0EEENS1_30default_config_static_selectorELNS0_4arch9wavefront6targetE0EEEvSK_.numbered_sgpr, 0
	.set _ZN7rocprim17ROCPRIM_400000_NS6detail17trampoline_kernelINS0_14default_configENS1_36segmented_radix_sort_config_selectorIilEEZNS1_25segmented_radix_sort_implIS3_Lb0EPKiPiPKlPlN2at6native12_GLOBAL__N_18offset_tEEE10hipError_tPvRmT1_PNSt15iterator_traitsISK_E10value_typeET2_T3_PNSL_ISQ_E10value_typeET4_jRbjT5_SW_jjP12ihipStream_tbEUlT_E_NS1_11comp_targetILNS1_3genE10ELNS1_11target_archE1201ELNS1_3gpuE5ELNS1_3repE0EEENS1_30default_config_static_selectorELNS0_4arch9wavefront6targetE0EEEvSK_.num_named_barrier, 0
	.set _ZN7rocprim17ROCPRIM_400000_NS6detail17trampoline_kernelINS0_14default_configENS1_36segmented_radix_sort_config_selectorIilEEZNS1_25segmented_radix_sort_implIS3_Lb0EPKiPiPKlPlN2at6native12_GLOBAL__N_18offset_tEEE10hipError_tPvRmT1_PNSt15iterator_traitsISK_E10value_typeET2_T3_PNSL_ISQ_E10value_typeET4_jRbjT5_SW_jjP12ihipStream_tbEUlT_E_NS1_11comp_targetILNS1_3genE10ELNS1_11target_archE1201ELNS1_3gpuE5ELNS1_3repE0EEENS1_30default_config_static_selectorELNS0_4arch9wavefront6targetE0EEEvSK_.private_seg_size, 0
	.set _ZN7rocprim17ROCPRIM_400000_NS6detail17trampoline_kernelINS0_14default_configENS1_36segmented_radix_sort_config_selectorIilEEZNS1_25segmented_radix_sort_implIS3_Lb0EPKiPiPKlPlN2at6native12_GLOBAL__N_18offset_tEEE10hipError_tPvRmT1_PNSt15iterator_traitsISK_E10value_typeET2_T3_PNSL_ISQ_E10value_typeET4_jRbjT5_SW_jjP12ihipStream_tbEUlT_E_NS1_11comp_targetILNS1_3genE10ELNS1_11target_archE1201ELNS1_3gpuE5ELNS1_3repE0EEENS1_30default_config_static_selectorELNS0_4arch9wavefront6targetE0EEEvSK_.uses_vcc, 0
	.set _ZN7rocprim17ROCPRIM_400000_NS6detail17trampoline_kernelINS0_14default_configENS1_36segmented_radix_sort_config_selectorIilEEZNS1_25segmented_radix_sort_implIS3_Lb0EPKiPiPKlPlN2at6native12_GLOBAL__N_18offset_tEEE10hipError_tPvRmT1_PNSt15iterator_traitsISK_E10value_typeET2_T3_PNSL_ISQ_E10value_typeET4_jRbjT5_SW_jjP12ihipStream_tbEUlT_E_NS1_11comp_targetILNS1_3genE10ELNS1_11target_archE1201ELNS1_3gpuE5ELNS1_3repE0EEENS1_30default_config_static_selectorELNS0_4arch9wavefront6targetE0EEEvSK_.uses_flat_scratch, 0
	.set _ZN7rocprim17ROCPRIM_400000_NS6detail17trampoline_kernelINS0_14default_configENS1_36segmented_radix_sort_config_selectorIilEEZNS1_25segmented_radix_sort_implIS3_Lb0EPKiPiPKlPlN2at6native12_GLOBAL__N_18offset_tEEE10hipError_tPvRmT1_PNSt15iterator_traitsISK_E10value_typeET2_T3_PNSL_ISQ_E10value_typeET4_jRbjT5_SW_jjP12ihipStream_tbEUlT_E_NS1_11comp_targetILNS1_3genE10ELNS1_11target_archE1201ELNS1_3gpuE5ELNS1_3repE0EEENS1_30default_config_static_selectorELNS0_4arch9wavefront6targetE0EEEvSK_.has_dyn_sized_stack, 0
	.set _ZN7rocprim17ROCPRIM_400000_NS6detail17trampoline_kernelINS0_14default_configENS1_36segmented_radix_sort_config_selectorIilEEZNS1_25segmented_radix_sort_implIS3_Lb0EPKiPiPKlPlN2at6native12_GLOBAL__N_18offset_tEEE10hipError_tPvRmT1_PNSt15iterator_traitsISK_E10value_typeET2_T3_PNSL_ISQ_E10value_typeET4_jRbjT5_SW_jjP12ihipStream_tbEUlT_E_NS1_11comp_targetILNS1_3genE10ELNS1_11target_archE1201ELNS1_3gpuE5ELNS1_3repE0EEENS1_30default_config_static_selectorELNS0_4arch9wavefront6targetE0EEEvSK_.has_recursion, 0
	.set _ZN7rocprim17ROCPRIM_400000_NS6detail17trampoline_kernelINS0_14default_configENS1_36segmented_radix_sort_config_selectorIilEEZNS1_25segmented_radix_sort_implIS3_Lb0EPKiPiPKlPlN2at6native12_GLOBAL__N_18offset_tEEE10hipError_tPvRmT1_PNSt15iterator_traitsISK_E10value_typeET2_T3_PNSL_ISQ_E10value_typeET4_jRbjT5_SW_jjP12ihipStream_tbEUlT_E_NS1_11comp_targetILNS1_3genE10ELNS1_11target_archE1201ELNS1_3gpuE5ELNS1_3repE0EEENS1_30default_config_static_selectorELNS0_4arch9wavefront6targetE0EEEvSK_.has_indirect_call, 0
	.section	.AMDGPU.csdata,"",@progbits
; Kernel info:
; codeLenInByte = 0
; TotalNumSgprs: 0
; NumVgprs: 0
; ScratchSize: 0
; MemoryBound: 0
; FloatMode: 240
; IeeeMode: 1
; LDSByteSize: 0 bytes/workgroup (compile time only)
; SGPRBlocks: 0
; VGPRBlocks: 0
; NumSGPRsForWavesPerEU: 1
; NumVGPRsForWavesPerEU: 1
; Occupancy: 16
; WaveLimiterHint : 0
; COMPUTE_PGM_RSRC2:SCRATCH_EN: 0
; COMPUTE_PGM_RSRC2:USER_SGPR: 6
; COMPUTE_PGM_RSRC2:TRAP_HANDLER: 0
; COMPUTE_PGM_RSRC2:TGID_X_EN: 1
; COMPUTE_PGM_RSRC2:TGID_Y_EN: 0
; COMPUTE_PGM_RSRC2:TGID_Z_EN: 0
; COMPUTE_PGM_RSRC2:TIDIG_COMP_CNT: 0
	.section	.text._ZN7rocprim17ROCPRIM_400000_NS6detail17trampoline_kernelINS0_14default_configENS1_36segmented_radix_sort_config_selectorIilEEZNS1_25segmented_radix_sort_implIS3_Lb0EPKiPiPKlPlN2at6native12_GLOBAL__N_18offset_tEEE10hipError_tPvRmT1_PNSt15iterator_traitsISK_E10value_typeET2_T3_PNSL_ISQ_E10value_typeET4_jRbjT5_SW_jjP12ihipStream_tbEUlT_E_NS1_11comp_targetILNS1_3genE10ELNS1_11target_archE1200ELNS1_3gpuE4ELNS1_3repE0EEENS1_30default_config_static_selectorELNS0_4arch9wavefront6targetE0EEEvSK_,"axG",@progbits,_ZN7rocprim17ROCPRIM_400000_NS6detail17trampoline_kernelINS0_14default_configENS1_36segmented_radix_sort_config_selectorIilEEZNS1_25segmented_radix_sort_implIS3_Lb0EPKiPiPKlPlN2at6native12_GLOBAL__N_18offset_tEEE10hipError_tPvRmT1_PNSt15iterator_traitsISK_E10value_typeET2_T3_PNSL_ISQ_E10value_typeET4_jRbjT5_SW_jjP12ihipStream_tbEUlT_E_NS1_11comp_targetILNS1_3genE10ELNS1_11target_archE1200ELNS1_3gpuE4ELNS1_3repE0EEENS1_30default_config_static_selectorELNS0_4arch9wavefront6targetE0EEEvSK_,comdat
	.globl	_ZN7rocprim17ROCPRIM_400000_NS6detail17trampoline_kernelINS0_14default_configENS1_36segmented_radix_sort_config_selectorIilEEZNS1_25segmented_radix_sort_implIS3_Lb0EPKiPiPKlPlN2at6native12_GLOBAL__N_18offset_tEEE10hipError_tPvRmT1_PNSt15iterator_traitsISK_E10value_typeET2_T3_PNSL_ISQ_E10value_typeET4_jRbjT5_SW_jjP12ihipStream_tbEUlT_E_NS1_11comp_targetILNS1_3genE10ELNS1_11target_archE1200ELNS1_3gpuE4ELNS1_3repE0EEENS1_30default_config_static_selectorELNS0_4arch9wavefront6targetE0EEEvSK_ ; -- Begin function _ZN7rocprim17ROCPRIM_400000_NS6detail17trampoline_kernelINS0_14default_configENS1_36segmented_radix_sort_config_selectorIilEEZNS1_25segmented_radix_sort_implIS3_Lb0EPKiPiPKlPlN2at6native12_GLOBAL__N_18offset_tEEE10hipError_tPvRmT1_PNSt15iterator_traitsISK_E10value_typeET2_T3_PNSL_ISQ_E10value_typeET4_jRbjT5_SW_jjP12ihipStream_tbEUlT_E_NS1_11comp_targetILNS1_3genE10ELNS1_11target_archE1200ELNS1_3gpuE4ELNS1_3repE0EEENS1_30default_config_static_selectorELNS0_4arch9wavefront6targetE0EEEvSK_
	.p2align	8
	.type	_ZN7rocprim17ROCPRIM_400000_NS6detail17trampoline_kernelINS0_14default_configENS1_36segmented_radix_sort_config_selectorIilEEZNS1_25segmented_radix_sort_implIS3_Lb0EPKiPiPKlPlN2at6native12_GLOBAL__N_18offset_tEEE10hipError_tPvRmT1_PNSt15iterator_traitsISK_E10value_typeET2_T3_PNSL_ISQ_E10value_typeET4_jRbjT5_SW_jjP12ihipStream_tbEUlT_E_NS1_11comp_targetILNS1_3genE10ELNS1_11target_archE1200ELNS1_3gpuE4ELNS1_3repE0EEENS1_30default_config_static_selectorELNS0_4arch9wavefront6targetE0EEEvSK_,@function
_ZN7rocprim17ROCPRIM_400000_NS6detail17trampoline_kernelINS0_14default_configENS1_36segmented_radix_sort_config_selectorIilEEZNS1_25segmented_radix_sort_implIS3_Lb0EPKiPiPKlPlN2at6native12_GLOBAL__N_18offset_tEEE10hipError_tPvRmT1_PNSt15iterator_traitsISK_E10value_typeET2_T3_PNSL_ISQ_E10value_typeET4_jRbjT5_SW_jjP12ihipStream_tbEUlT_E_NS1_11comp_targetILNS1_3genE10ELNS1_11target_archE1200ELNS1_3gpuE4ELNS1_3repE0EEENS1_30default_config_static_selectorELNS0_4arch9wavefront6targetE0EEEvSK_: ; @_ZN7rocprim17ROCPRIM_400000_NS6detail17trampoline_kernelINS0_14default_configENS1_36segmented_radix_sort_config_selectorIilEEZNS1_25segmented_radix_sort_implIS3_Lb0EPKiPiPKlPlN2at6native12_GLOBAL__N_18offset_tEEE10hipError_tPvRmT1_PNSt15iterator_traitsISK_E10value_typeET2_T3_PNSL_ISQ_E10value_typeET4_jRbjT5_SW_jjP12ihipStream_tbEUlT_E_NS1_11comp_targetILNS1_3genE10ELNS1_11target_archE1200ELNS1_3gpuE4ELNS1_3repE0EEENS1_30default_config_static_selectorELNS0_4arch9wavefront6targetE0EEEvSK_
; %bb.0:
	.section	.rodata,"a",@progbits
	.p2align	6, 0x0
	.amdhsa_kernel _ZN7rocprim17ROCPRIM_400000_NS6detail17trampoline_kernelINS0_14default_configENS1_36segmented_radix_sort_config_selectorIilEEZNS1_25segmented_radix_sort_implIS3_Lb0EPKiPiPKlPlN2at6native12_GLOBAL__N_18offset_tEEE10hipError_tPvRmT1_PNSt15iterator_traitsISK_E10value_typeET2_T3_PNSL_ISQ_E10value_typeET4_jRbjT5_SW_jjP12ihipStream_tbEUlT_E_NS1_11comp_targetILNS1_3genE10ELNS1_11target_archE1200ELNS1_3gpuE4ELNS1_3repE0EEENS1_30default_config_static_selectorELNS0_4arch9wavefront6targetE0EEEvSK_
		.amdhsa_group_segment_fixed_size 0
		.amdhsa_private_segment_fixed_size 0
		.amdhsa_kernarg_size 96
		.amdhsa_user_sgpr_count 6
		.amdhsa_user_sgpr_private_segment_buffer 1
		.amdhsa_user_sgpr_dispatch_ptr 0
		.amdhsa_user_sgpr_queue_ptr 0
		.amdhsa_user_sgpr_kernarg_segment_ptr 1
		.amdhsa_user_sgpr_dispatch_id 0
		.amdhsa_user_sgpr_flat_scratch_init 0
		.amdhsa_user_sgpr_private_segment_size 0
		.amdhsa_wavefront_size32 1
		.amdhsa_uses_dynamic_stack 0
		.amdhsa_system_sgpr_private_segment_wavefront_offset 0
		.amdhsa_system_sgpr_workgroup_id_x 1
		.amdhsa_system_sgpr_workgroup_id_y 0
		.amdhsa_system_sgpr_workgroup_id_z 0
		.amdhsa_system_sgpr_workgroup_info 0
		.amdhsa_system_vgpr_workitem_id 0
		.amdhsa_next_free_vgpr 1
		.amdhsa_next_free_sgpr 1
		.amdhsa_reserve_vcc 0
		.amdhsa_reserve_flat_scratch 0
		.amdhsa_float_round_mode_32 0
		.amdhsa_float_round_mode_16_64 0
		.amdhsa_float_denorm_mode_32 3
		.amdhsa_float_denorm_mode_16_64 3
		.amdhsa_dx10_clamp 1
		.amdhsa_ieee_mode 1
		.amdhsa_fp16_overflow 0
		.amdhsa_workgroup_processor_mode 1
		.amdhsa_memory_ordered 1
		.amdhsa_forward_progress 1
		.amdhsa_shared_vgpr_count 0
		.amdhsa_exception_fp_ieee_invalid_op 0
		.amdhsa_exception_fp_denorm_src 0
		.amdhsa_exception_fp_ieee_div_zero 0
		.amdhsa_exception_fp_ieee_overflow 0
		.amdhsa_exception_fp_ieee_underflow 0
		.amdhsa_exception_fp_ieee_inexact 0
		.amdhsa_exception_int_div_zero 0
	.end_amdhsa_kernel
	.section	.text._ZN7rocprim17ROCPRIM_400000_NS6detail17trampoline_kernelINS0_14default_configENS1_36segmented_radix_sort_config_selectorIilEEZNS1_25segmented_radix_sort_implIS3_Lb0EPKiPiPKlPlN2at6native12_GLOBAL__N_18offset_tEEE10hipError_tPvRmT1_PNSt15iterator_traitsISK_E10value_typeET2_T3_PNSL_ISQ_E10value_typeET4_jRbjT5_SW_jjP12ihipStream_tbEUlT_E_NS1_11comp_targetILNS1_3genE10ELNS1_11target_archE1200ELNS1_3gpuE4ELNS1_3repE0EEENS1_30default_config_static_selectorELNS0_4arch9wavefront6targetE0EEEvSK_,"axG",@progbits,_ZN7rocprim17ROCPRIM_400000_NS6detail17trampoline_kernelINS0_14default_configENS1_36segmented_radix_sort_config_selectorIilEEZNS1_25segmented_radix_sort_implIS3_Lb0EPKiPiPKlPlN2at6native12_GLOBAL__N_18offset_tEEE10hipError_tPvRmT1_PNSt15iterator_traitsISK_E10value_typeET2_T3_PNSL_ISQ_E10value_typeET4_jRbjT5_SW_jjP12ihipStream_tbEUlT_E_NS1_11comp_targetILNS1_3genE10ELNS1_11target_archE1200ELNS1_3gpuE4ELNS1_3repE0EEENS1_30default_config_static_selectorELNS0_4arch9wavefront6targetE0EEEvSK_,comdat
.Lfunc_end601:
	.size	_ZN7rocprim17ROCPRIM_400000_NS6detail17trampoline_kernelINS0_14default_configENS1_36segmented_radix_sort_config_selectorIilEEZNS1_25segmented_radix_sort_implIS3_Lb0EPKiPiPKlPlN2at6native12_GLOBAL__N_18offset_tEEE10hipError_tPvRmT1_PNSt15iterator_traitsISK_E10value_typeET2_T3_PNSL_ISQ_E10value_typeET4_jRbjT5_SW_jjP12ihipStream_tbEUlT_E_NS1_11comp_targetILNS1_3genE10ELNS1_11target_archE1200ELNS1_3gpuE4ELNS1_3repE0EEENS1_30default_config_static_selectorELNS0_4arch9wavefront6targetE0EEEvSK_, .Lfunc_end601-_ZN7rocprim17ROCPRIM_400000_NS6detail17trampoline_kernelINS0_14default_configENS1_36segmented_radix_sort_config_selectorIilEEZNS1_25segmented_radix_sort_implIS3_Lb0EPKiPiPKlPlN2at6native12_GLOBAL__N_18offset_tEEE10hipError_tPvRmT1_PNSt15iterator_traitsISK_E10value_typeET2_T3_PNSL_ISQ_E10value_typeET4_jRbjT5_SW_jjP12ihipStream_tbEUlT_E_NS1_11comp_targetILNS1_3genE10ELNS1_11target_archE1200ELNS1_3gpuE4ELNS1_3repE0EEENS1_30default_config_static_selectorELNS0_4arch9wavefront6targetE0EEEvSK_
                                        ; -- End function
	.set _ZN7rocprim17ROCPRIM_400000_NS6detail17trampoline_kernelINS0_14default_configENS1_36segmented_radix_sort_config_selectorIilEEZNS1_25segmented_radix_sort_implIS3_Lb0EPKiPiPKlPlN2at6native12_GLOBAL__N_18offset_tEEE10hipError_tPvRmT1_PNSt15iterator_traitsISK_E10value_typeET2_T3_PNSL_ISQ_E10value_typeET4_jRbjT5_SW_jjP12ihipStream_tbEUlT_E_NS1_11comp_targetILNS1_3genE10ELNS1_11target_archE1200ELNS1_3gpuE4ELNS1_3repE0EEENS1_30default_config_static_selectorELNS0_4arch9wavefront6targetE0EEEvSK_.num_vgpr, 0
	.set _ZN7rocprim17ROCPRIM_400000_NS6detail17trampoline_kernelINS0_14default_configENS1_36segmented_radix_sort_config_selectorIilEEZNS1_25segmented_radix_sort_implIS3_Lb0EPKiPiPKlPlN2at6native12_GLOBAL__N_18offset_tEEE10hipError_tPvRmT1_PNSt15iterator_traitsISK_E10value_typeET2_T3_PNSL_ISQ_E10value_typeET4_jRbjT5_SW_jjP12ihipStream_tbEUlT_E_NS1_11comp_targetILNS1_3genE10ELNS1_11target_archE1200ELNS1_3gpuE4ELNS1_3repE0EEENS1_30default_config_static_selectorELNS0_4arch9wavefront6targetE0EEEvSK_.num_agpr, 0
	.set _ZN7rocprim17ROCPRIM_400000_NS6detail17trampoline_kernelINS0_14default_configENS1_36segmented_radix_sort_config_selectorIilEEZNS1_25segmented_radix_sort_implIS3_Lb0EPKiPiPKlPlN2at6native12_GLOBAL__N_18offset_tEEE10hipError_tPvRmT1_PNSt15iterator_traitsISK_E10value_typeET2_T3_PNSL_ISQ_E10value_typeET4_jRbjT5_SW_jjP12ihipStream_tbEUlT_E_NS1_11comp_targetILNS1_3genE10ELNS1_11target_archE1200ELNS1_3gpuE4ELNS1_3repE0EEENS1_30default_config_static_selectorELNS0_4arch9wavefront6targetE0EEEvSK_.numbered_sgpr, 0
	.set _ZN7rocprim17ROCPRIM_400000_NS6detail17trampoline_kernelINS0_14default_configENS1_36segmented_radix_sort_config_selectorIilEEZNS1_25segmented_radix_sort_implIS3_Lb0EPKiPiPKlPlN2at6native12_GLOBAL__N_18offset_tEEE10hipError_tPvRmT1_PNSt15iterator_traitsISK_E10value_typeET2_T3_PNSL_ISQ_E10value_typeET4_jRbjT5_SW_jjP12ihipStream_tbEUlT_E_NS1_11comp_targetILNS1_3genE10ELNS1_11target_archE1200ELNS1_3gpuE4ELNS1_3repE0EEENS1_30default_config_static_selectorELNS0_4arch9wavefront6targetE0EEEvSK_.num_named_barrier, 0
	.set _ZN7rocprim17ROCPRIM_400000_NS6detail17trampoline_kernelINS0_14default_configENS1_36segmented_radix_sort_config_selectorIilEEZNS1_25segmented_radix_sort_implIS3_Lb0EPKiPiPKlPlN2at6native12_GLOBAL__N_18offset_tEEE10hipError_tPvRmT1_PNSt15iterator_traitsISK_E10value_typeET2_T3_PNSL_ISQ_E10value_typeET4_jRbjT5_SW_jjP12ihipStream_tbEUlT_E_NS1_11comp_targetILNS1_3genE10ELNS1_11target_archE1200ELNS1_3gpuE4ELNS1_3repE0EEENS1_30default_config_static_selectorELNS0_4arch9wavefront6targetE0EEEvSK_.private_seg_size, 0
	.set _ZN7rocprim17ROCPRIM_400000_NS6detail17trampoline_kernelINS0_14default_configENS1_36segmented_radix_sort_config_selectorIilEEZNS1_25segmented_radix_sort_implIS3_Lb0EPKiPiPKlPlN2at6native12_GLOBAL__N_18offset_tEEE10hipError_tPvRmT1_PNSt15iterator_traitsISK_E10value_typeET2_T3_PNSL_ISQ_E10value_typeET4_jRbjT5_SW_jjP12ihipStream_tbEUlT_E_NS1_11comp_targetILNS1_3genE10ELNS1_11target_archE1200ELNS1_3gpuE4ELNS1_3repE0EEENS1_30default_config_static_selectorELNS0_4arch9wavefront6targetE0EEEvSK_.uses_vcc, 0
	.set _ZN7rocprim17ROCPRIM_400000_NS6detail17trampoline_kernelINS0_14default_configENS1_36segmented_radix_sort_config_selectorIilEEZNS1_25segmented_radix_sort_implIS3_Lb0EPKiPiPKlPlN2at6native12_GLOBAL__N_18offset_tEEE10hipError_tPvRmT1_PNSt15iterator_traitsISK_E10value_typeET2_T3_PNSL_ISQ_E10value_typeET4_jRbjT5_SW_jjP12ihipStream_tbEUlT_E_NS1_11comp_targetILNS1_3genE10ELNS1_11target_archE1200ELNS1_3gpuE4ELNS1_3repE0EEENS1_30default_config_static_selectorELNS0_4arch9wavefront6targetE0EEEvSK_.uses_flat_scratch, 0
	.set _ZN7rocprim17ROCPRIM_400000_NS6detail17trampoline_kernelINS0_14default_configENS1_36segmented_radix_sort_config_selectorIilEEZNS1_25segmented_radix_sort_implIS3_Lb0EPKiPiPKlPlN2at6native12_GLOBAL__N_18offset_tEEE10hipError_tPvRmT1_PNSt15iterator_traitsISK_E10value_typeET2_T3_PNSL_ISQ_E10value_typeET4_jRbjT5_SW_jjP12ihipStream_tbEUlT_E_NS1_11comp_targetILNS1_3genE10ELNS1_11target_archE1200ELNS1_3gpuE4ELNS1_3repE0EEENS1_30default_config_static_selectorELNS0_4arch9wavefront6targetE0EEEvSK_.has_dyn_sized_stack, 0
	.set _ZN7rocprim17ROCPRIM_400000_NS6detail17trampoline_kernelINS0_14default_configENS1_36segmented_radix_sort_config_selectorIilEEZNS1_25segmented_radix_sort_implIS3_Lb0EPKiPiPKlPlN2at6native12_GLOBAL__N_18offset_tEEE10hipError_tPvRmT1_PNSt15iterator_traitsISK_E10value_typeET2_T3_PNSL_ISQ_E10value_typeET4_jRbjT5_SW_jjP12ihipStream_tbEUlT_E_NS1_11comp_targetILNS1_3genE10ELNS1_11target_archE1200ELNS1_3gpuE4ELNS1_3repE0EEENS1_30default_config_static_selectorELNS0_4arch9wavefront6targetE0EEEvSK_.has_recursion, 0
	.set _ZN7rocprim17ROCPRIM_400000_NS6detail17trampoline_kernelINS0_14default_configENS1_36segmented_radix_sort_config_selectorIilEEZNS1_25segmented_radix_sort_implIS3_Lb0EPKiPiPKlPlN2at6native12_GLOBAL__N_18offset_tEEE10hipError_tPvRmT1_PNSt15iterator_traitsISK_E10value_typeET2_T3_PNSL_ISQ_E10value_typeET4_jRbjT5_SW_jjP12ihipStream_tbEUlT_E_NS1_11comp_targetILNS1_3genE10ELNS1_11target_archE1200ELNS1_3gpuE4ELNS1_3repE0EEENS1_30default_config_static_selectorELNS0_4arch9wavefront6targetE0EEEvSK_.has_indirect_call, 0
	.section	.AMDGPU.csdata,"",@progbits
; Kernel info:
; codeLenInByte = 0
; TotalNumSgprs: 0
; NumVgprs: 0
; ScratchSize: 0
; MemoryBound: 0
; FloatMode: 240
; IeeeMode: 1
; LDSByteSize: 0 bytes/workgroup (compile time only)
; SGPRBlocks: 0
; VGPRBlocks: 0
; NumSGPRsForWavesPerEU: 1
; NumVGPRsForWavesPerEU: 1
; Occupancy: 16
; WaveLimiterHint : 0
; COMPUTE_PGM_RSRC2:SCRATCH_EN: 0
; COMPUTE_PGM_RSRC2:USER_SGPR: 6
; COMPUTE_PGM_RSRC2:TRAP_HANDLER: 0
; COMPUTE_PGM_RSRC2:TGID_X_EN: 1
; COMPUTE_PGM_RSRC2:TGID_Y_EN: 0
; COMPUTE_PGM_RSRC2:TGID_Z_EN: 0
; COMPUTE_PGM_RSRC2:TIDIG_COMP_CNT: 0
	.section	.text._ZN7rocprim17ROCPRIM_400000_NS6detail17trampoline_kernelINS0_14default_configENS1_36segmented_radix_sort_config_selectorIilEEZNS1_25segmented_radix_sort_implIS3_Lb0EPKiPiPKlPlN2at6native12_GLOBAL__N_18offset_tEEE10hipError_tPvRmT1_PNSt15iterator_traitsISK_E10value_typeET2_T3_PNSL_ISQ_E10value_typeET4_jRbjT5_SW_jjP12ihipStream_tbEUlT_E_NS1_11comp_targetILNS1_3genE9ELNS1_11target_archE1100ELNS1_3gpuE3ELNS1_3repE0EEENS1_30default_config_static_selectorELNS0_4arch9wavefront6targetE0EEEvSK_,"axG",@progbits,_ZN7rocprim17ROCPRIM_400000_NS6detail17trampoline_kernelINS0_14default_configENS1_36segmented_radix_sort_config_selectorIilEEZNS1_25segmented_radix_sort_implIS3_Lb0EPKiPiPKlPlN2at6native12_GLOBAL__N_18offset_tEEE10hipError_tPvRmT1_PNSt15iterator_traitsISK_E10value_typeET2_T3_PNSL_ISQ_E10value_typeET4_jRbjT5_SW_jjP12ihipStream_tbEUlT_E_NS1_11comp_targetILNS1_3genE9ELNS1_11target_archE1100ELNS1_3gpuE3ELNS1_3repE0EEENS1_30default_config_static_selectorELNS0_4arch9wavefront6targetE0EEEvSK_,comdat
	.globl	_ZN7rocprim17ROCPRIM_400000_NS6detail17trampoline_kernelINS0_14default_configENS1_36segmented_radix_sort_config_selectorIilEEZNS1_25segmented_radix_sort_implIS3_Lb0EPKiPiPKlPlN2at6native12_GLOBAL__N_18offset_tEEE10hipError_tPvRmT1_PNSt15iterator_traitsISK_E10value_typeET2_T3_PNSL_ISQ_E10value_typeET4_jRbjT5_SW_jjP12ihipStream_tbEUlT_E_NS1_11comp_targetILNS1_3genE9ELNS1_11target_archE1100ELNS1_3gpuE3ELNS1_3repE0EEENS1_30default_config_static_selectorELNS0_4arch9wavefront6targetE0EEEvSK_ ; -- Begin function _ZN7rocprim17ROCPRIM_400000_NS6detail17trampoline_kernelINS0_14default_configENS1_36segmented_radix_sort_config_selectorIilEEZNS1_25segmented_radix_sort_implIS3_Lb0EPKiPiPKlPlN2at6native12_GLOBAL__N_18offset_tEEE10hipError_tPvRmT1_PNSt15iterator_traitsISK_E10value_typeET2_T3_PNSL_ISQ_E10value_typeET4_jRbjT5_SW_jjP12ihipStream_tbEUlT_E_NS1_11comp_targetILNS1_3genE9ELNS1_11target_archE1100ELNS1_3gpuE3ELNS1_3repE0EEENS1_30default_config_static_selectorELNS0_4arch9wavefront6targetE0EEEvSK_
	.p2align	8
	.type	_ZN7rocprim17ROCPRIM_400000_NS6detail17trampoline_kernelINS0_14default_configENS1_36segmented_radix_sort_config_selectorIilEEZNS1_25segmented_radix_sort_implIS3_Lb0EPKiPiPKlPlN2at6native12_GLOBAL__N_18offset_tEEE10hipError_tPvRmT1_PNSt15iterator_traitsISK_E10value_typeET2_T3_PNSL_ISQ_E10value_typeET4_jRbjT5_SW_jjP12ihipStream_tbEUlT_E_NS1_11comp_targetILNS1_3genE9ELNS1_11target_archE1100ELNS1_3gpuE3ELNS1_3repE0EEENS1_30default_config_static_selectorELNS0_4arch9wavefront6targetE0EEEvSK_,@function
_ZN7rocprim17ROCPRIM_400000_NS6detail17trampoline_kernelINS0_14default_configENS1_36segmented_radix_sort_config_selectorIilEEZNS1_25segmented_radix_sort_implIS3_Lb0EPKiPiPKlPlN2at6native12_GLOBAL__N_18offset_tEEE10hipError_tPvRmT1_PNSt15iterator_traitsISK_E10value_typeET2_T3_PNSL_ISQ_E10value_typeET4_jRbjT5_SW_jjP12ihipStream_tbEUlT_E_NS1_11comp_targetILNS1_3genE9ELNS1_11target_archE1100ELNS1_3gpuE3ELNS1_3repE0EEENS1_30default_config_static_selectorELNS0_4arch9wavefront6targetE0EEEvSK_: ; @_ZN7rocprim17ROCPRIM_400000_NS6detail17trampoline_kernelINS0_14default_configENS1_36segmented_radix_sort_config_selectorIilEEZNS1_25segmented_radix_sort_implIS3_Lb0EPKiPiPKlPlN2at6native12_GLOBAL__N_18offset_tEEE10hipError_tPvRmT1_PNSt15iterator_traitsISK_E10value_typeET2_T3_PNSL_ISQ_E10value_typeET4_jRbjT5_SW_jjP12ihipStream_tbEUlT_E_NS1_11comp_targetILNS1_3genE9ELNS1_11target_archE1100ELNS1_3gpuE3ELNS1_3repE0EEENS1_30default_config_static_selectorELNS0_4arch9wavefront6targetE0EEEvSK_
; %bb.0:
	.section	.rodata,"a",@progbits
	.p2align	6, 0x0
	.amdhsa_kernel _ZN7rocprim17ROCPRIM_400000_NS6detail17trampoline_kernelINS0_14default_configENS1_36segmented_radix_sort_config_selectorIilEEZNS1_25segmented_radix_sort_implIS3_Lb0EPKiPiPKlPlN2at6native12_GLOBAL__N_18offset_tEEE10hipError_tPvRmT1_PNSt15iterator_traitsISK_E10value_typeET2_T3_PNSL_ISQ_E10value_typeET4_jRbjT5_SW_jjP12ihipStream_tbEUlT_E_NS1_11comp_targetILNS1_3genE9ELNS1_11target_archE1100ELNS1_3gpuE3ELNS1_3repE0EEENS1_30default_config_static_selectorELNS0_4arch9wavefront6targetE0EEEvSK_
		.amdhsa_group_segment_fixed_size 0
		.amdhsa_private_segment_fixed_size 0
		.amdhsa_kernarg_size 96
		.amdhsa_user_sgpr_count 6
		.amdhsa_user_sgpr_private_segment_buffer 1
		.amdhsa_user_sgpr_dispatch_ptr 0
		.amdhsa_user_sgpr_queue_ptr 0
		.amdhsa_user_sgpr_kernarg_segment_ptr 1
		.amdhsa_user_sgpr_dispatch_id 0
		.amdhsa_user_sgpr_flat_scratch_init 0
		.amdhsa_user_sgpr_private_segment_size 0
		.amdhsa_wavefront_size32 1
		.amdhsa_uses_dynamic_stack 0
		.amdhsa_system_sgpr_private_segment_wavefront_offset 0
		.amdhsa_system_sgpr_workgroup_id_x 1
		.amdhsa_system_sgpr_workgroup_id_y 0
		.amdhsa_system_sgpr_workgroup_id_z 0
		.amdhsa_system_sgpr_workgroup_info 0
		.amdhsa_system_vgpr_workitem_id 0
		.amdhsa_next_free_vgpr 1
		.amdhsa_next_free_sgpr 1
		.amdhsa_reserve_vcc 0
		.amdhsa_reserve_flat_scratch 0
		.amdhsa_float_round_mode_32 0
		.amdhsa_float_round_mode_16_64 0
		.amdhsa_float_denorm_mode_32 3
		.amdhsa_float_denorm_mode_16_64 3
		.amdhsa_dx10_clamp 1
		.amdhsa_ieee_mode 1
		.amdhsa_fp16_overflow 0
		.amdhsa_workgroup_processor_mode 1
		.amdhsa_memory_ordered 1
		.amdhsa_forward_progress 1
		.amdhsa_shared_vgpr_count 0
		.amdhsa_exception_fp_ieee_invalid_op 0
		.amdhsa_exception_fp_denorm_src 0
		.amdhsa_exception_fp_ieee_div_zero 0
		.amdhsa_exception_fp_ieee_overflow 0
		.amdhsa_exception_fp_ieee_underflow 0
		.amdhsa_exception_fp_ieee_inexact 0
		.amdhsa_exception_int_div_zero 0
	.end_amdhsa_kernel
	.section	.text._ZN7rocprim17ROCPRIM_400000_NS6detail17trampoline_kernelINS0_14default_configENS1_36segmented_radix_sort_config_selectorIilEEZNS1_25segmented_radix_sort_implIS3_Lb0EPKiPiPKlPlN2at6native12_GLOBAL__N_18offset_tEEE10hipError_tPvRmT1_PNSt15iterator_traitsISK_E10value_typeET2_T3_PNSL_ISQ_E10value_typeET4_jRbjT5_SW_jjP12ihipStream_tbEUlT_E_NS1_11comp_targetILNS1_3genE9ELNS1_11target_archE1100ELNS1_3gpuE3ELNS1_3repE0EEENS1_30default_config_static_selectorELNS0_4arch9wavefront6targetE0EEEvSK_,"axG",@progbits,_ZN7rocprim17ROCPRIM_400000_NS6detail17trampoline_kernelINS0_14default_configENS1_36segmented_radix_sort_config_selectorIilEEZNS1_25segmented_radix_sort_implIS3_Lb0EPKiPiPKlPlN2at6native12_GLOBAL__N_18offset_tEEE10hipError_tPvRmT1_PNSt15iterator_traitsISK_E10value_typeET2_T3_PNSL_ISQ_E10value_typeET4_jRbjT5_SW_jjP12ihipStream_tbEUlT_E_NS1_11comp_targetILNS1_3genE9ELNS1_11target_archE1100ELNS1_3gpuE3ELNS1_3repE0EEENS1_30default_config_static_selectorELNS0_4arch9wavefront6targetE0EEEvSK_,comdat
.Lfunc_end602:
	.size	_ZN7rocprim17ROCPRIM_400000_NS6detail17trampoline_kernelINS0_14default_configENS1_36segmented_radix_sort_config_selectorIilEEZNS1_25segmented_radix_sort_implIS3_Lb0EPKiPiPKlPlN2at6native12_GLOBAL__N_18offset_tEEE10hipError_tPvRmT1_PNSt15iterator_traitsISK_E10value_typeET2_T3_PNSL_ISQ_E10value_typeET4_jRbjT5_SW_jjP12ihipStream_tbEUlT_E_NS1_11comp_targetILNS1_3genE9ELNS1_11target_archE1100ELNS1_3gpuE3ELNS1_3repE0EEENS1_30default_config_static_selectorELNS0_4arch9wavefront6targetE0EEEvSK_, .Lfunc_end602-_ZN7rocprim17ROCPRIM_400000_NS6detail17trampoline_kernelINS0_14default_configENS1_36segmented_radix_sort_config_selectorIilEEZNS1_25segmented_radix_sort_implIS3_Lb0EPKiPiPKlPlN2at6native12_GLOBAL__N_18offset_tEEE10hipError_tPvRmT1_PNSt15iterator_traitsISK_E10value_typeET2_T3_PNSL_ISQ_E10value_typeET4_jRbjT5_SW_jjP12ihipStream_tbEUlT_E_NS1_11comp_targetILNS1_3genE9ELNS1_11target_archE1100ELNS1_3gpuE3ELNS1_3repE0EEENS1_30default_config_static_selectorELNS0_4arch9wavefront6targetE0EEEvSK_
                                        ; -- End function
	.set _ZN7rocprim17ROCPRIM_400000_NS6detail17trampoline_kernelINS0_14default_configENS1_36segmented_radix_sort_config_selectorIilEEZNS1_25segmented_radix_sort_implIS3_Lb0EPKiPiPKlPlN2at6native12_GLOBAL__N_18offset_tEEE10hipError_tPvRmT1_PNSt15iterator_traitsISK_E10value_typeET2_T3_PNSL_ISQ_E10value_typeET4_jRbjT5_SW_jjP12ihipStream_tbEUlT_E_NS1_11comp_targetILNS1_3genE9ELNS1_11target_archE1100ELNS1_3gpuE3ELNS1_3repE0EEENS1_30default_config_static_selectorELNS0_4arch9wavefront6targetE0EEEvSK_.num_vgpr, 0
	.set _ZN7rocprim17ROCPRIM_400000_NS6detail17trampoline_kernelINS0_14default_configENS1_36segmented_radix_sort_config_selectorIilEEZNS1_25segmented_radix_sort_implIS3_Lb0EPKiPiPKlPlN2at6native12_GLOBAL__N_18offset_tEEE10hipError_tPvRmT1_PNSt15iterator_traitsISK_E10value_typeET2_T3_PNSL_ISQ_E10value_typeET4_jRbjT5_SW_jjP12ihipStream_tbEUlT_E_NS1_11comp_targetILNS1_3genE9ELNS1_11target_archE1100ELNS1_3gpuE3ELNS1_3repE0EEENS1_30default_config_static_selectorELNS0_4arch9wavefront6targetE0EEEvSK_.num_agpr, 0
	.set _ZN7rocprim17ROCPRIM_400000_NS6detail17trampoline_kernelINS0_14default_configENS1_36segmented_radix_sort_config_selectorIilEEZNS1_25segmented_radix_sort_implIS3_Lb0EPKiPiPKlPlN2at6native12_GLOBAL__N_18offset_tEEE10hipError_tPvRmT1_PNSt15iterator_traitsISK_E10value_typeET2_T3_PNSL_ISQ_E10value_typeET4_jRbjT5_SW_jjP12ihipStream_tbEUlT_E_NS1_11comp_targetILNS1_3genE9ELNS1_11target_archE1100ELNS1_3gpuE3ELNS1_3repE0EEENS1_30default_config_static_selectorELNS0_4arch9wavefront6targetE0EEEvSK_.numbered_sgpr, 0
	.set _ZN7rocprim17ROCPRIM_400000_NS6detail17trampoline_kernelINS0_14default_configENS1_36segmented_radix_sort_config_selectorIilEEZNS1_25segmented_radix_sort_implIS3_Lb0EPKiPiPKlPlN2at6native12_GLOBAL__N_18offset_tEEE10hipError_tPvRmT1_PNSt15iterator_traitsISK_E10value_typeET2_T3_PNSL_ISQ_E10value_typeET4_jRbjT5_SW_jjP12ihipStream_tbEUlT_E_NS1_11comp_targetILNS1_3genE9ELNS1_11target_archE1100ELNS1_3gpuE3ELNS1_3repE0EEENS1_30default_config_static_selectorELNS0_4arch9wavefront6targetE0EEEvSK_.num_named_barrier, 0
	.set _ZN7rocprim17ROCPRIM_400000_NS6detail17trampoline_kernelINS0_14default_configENS1_36segmented_radix_sort_config_selectorIilEEZNS1_25segmented_radix_sort_implIS3_Lb0EPKiPiPKlPlN2at6native12_GLOBAL__N_18offset_tEEE10hipError_tPvRmT1_PNSt15iterator_traitsISK_E10value_typeET2_T3_PNSL_ISQ_E10value_typeET4_jRbjT5_SW_jjP12ihipStream_tbEUlT_E_NS1_11comp_targetILNS1_3genE9ELNS1_11target_archE1100ELNS1_3gpuE3ELNS1_3repE0EEENS1_30default_config_static_selectorELNS0_4arch9wavefront6targetE0EEEvSK_.private_seg_size, 0
	.set _ZN7rocprim17ROCPRIM_400000_NS6detail17trampoline_kernelINS0_14default_configENS1_36segmented_radix_sort_config_selectorIilEEZNS1_25segmented_radix_sort_implIS3_Lb0EPKiPiPKlPlN2at6native12_GLOBAL__N_18offset_tEEE10hipError_tPvRmT1_PNSt15iterator_traitsISK_E10value_typeET2_T3_PNSL_ISQ_E10value_typeET4_jRbjT5_SW_jjP12ihipStream_tbEUlT_E_NS1_11comp_targetILNS1_3genE9ELNS1_11target_archE1100ELNS1_3gpuE3ELNS1_3repE0EEENS1_30default_config_static_selectorELNS0_4arch9wavefront6targetE0EEEvSK_.uses_vcc, 0
	.set _ZN7rocprim17ROCPRIM_400000_NS6detail17trampoline_kernelINS0_14default_configENS1_36segmented_radix_sort_config_selectorIilEEZNS1_25segmented_radix_sort_implIS3_Lb0EPKiPiPKlPlN2at6native12_GLOBAL__N_18offset_tEEE10hipError_tPvRmT1_PNSt15iterator_traitsISK_E10value_typeET2_T3_PNSL_ISQ_E10value_typeET4_jRbjT5_SW_jjP12ihipStream_tbEUlT_E_NS1_11comp_targetILNS1_3genE9ELNS1_11target_archE1100ELNS1_3gpuE3ELNS1_3repE0EEENS1_30default_config_static_selectorELNS0_4arch9wavefront6targetE0EEEvSK_.uses_flat_scratch, 0
	.set _ZN7rocprim17ROCPRIM_400000_NS6detail17trampoline_kernelINS0_14default_configENS1_36segmented_radix_sort_config_selectorIilEEZNS1_25segmented_radix_sort_implIS3_Lb0EPKiPiPKlPlN2at6native12_GLOBAL__N_18offset_tEEE10hipError_tPvRmT1_PNSt15iterator_traitsISK_E10value_typeET2_T3_PNSL_ISQ_E10value_typeET4_jRbjT5_SW_jjP12ihipStream_tbEUlT_E_NS1_11comp_targetILNS1_3genE9ELNS1_11target_archE1100ELNS1_3gpuE3ELNS1_3repE0EEENS1_30default_config_static_selectorELNS0_4arch9wavefront6targetE0EEEvSK_.has_dyn_sized_stack, 0
	.set _ZN7rocprim17ROCPRIM_400000_NS6detail17trampoline_kernelINS0_14default_configENS1_36segmented_radix_sort_config_selectorIilEEZNS1_25segmented_radix_sort_implIS3_Lb0EPKiPiPKlPlN2at6native12_GLOBAL__N_18offset_tEEE10hipError_tPvRmT1_PNSt15iterator_traitsISK_E10value_typeET2_T3_PNSL_ISQ_E10value_typeET4_jRbjT5_SW_jjP12ihipStream_tbEUlT_E_NS1_11comp_targetILNS1_3genE9ELNS1_11target_archE1100ELNS1_3gpuE3ELNS1_3repE0EEENS1_30default_config_static_selectorELNS0_4arch9wavefront6targetE0EEEvSK_.has_recursion, 0
	.set _ZN7rocprim17ROCPRIM_400000_NS6detail17trampoline_kernelINS0_14default_configENS1_36segmented_radix_sort_config_selectorIilEEZNS1_25segmented_radix_sort_implIS3_Lb0EPKiPiPKlPlN2at6native12_GLOBAL__N_18offset_tEEE10hipError_tPvRmT1_PNSt15iterator_traitsISK_E10value_typeET2_T3_PNSL_ISQ_E10value_typeET4_jRbjT5_SW_jjP12ihipStream_tbEUlT_E_NS1_11comp_targetILNS1_3genE9ELNS1_11target_archE1100ELNS1_3gpuE3ELNS1_3repE0EEENS1_30default_config_static_selectorELNS0_4arch9wavefront6targetE0EEEvSK_.has_indirect_call, 0
	.section	.AMDGPU.csdata,"",@progbits
; Kernel info:
; codeLenInByte = 0
; TotalNumSgprs: 0
; NumVgprs: 0
; ScratchSize: 0
; MemoryBound: 0
; FloatMode: 240
; IeeeMode: 1
; LDSByteSize: 0 bytes/workgroup (compile time only)
; SGPRBlocks: 0
; VGPRBlocks: 0
; NumSGPRsForWavesPerEU: 1
; NumVGPRsForWavesPerEU: 1
; Occupancy: 16
; WaveLimiterHint : 0
; COMPUTE_PGM_RSRC2:SCRATCH_EN: 0
; COMPUTE_PGM_RSRC2:USER_SGPR: 6
; COMPUTE_PGM_RSRC2:TRAP_HANDLER: 0
; COMPUTE_PGM_RSRC2:TGID_X_EN: 1
; COMPUTE_PGM_RSRC2:TGID_Y_EN: 0
; COMPUTE_PGM_RSRC2:TGID_Z_EN: 0
; COMPUTE_PGM_RSRC2:TIDIG_COMP_CNT: 0
	.text
	.p2align	2                               ; -- Begin function _ZN7rocprim17ROCPRIM_400000_NS6detail40segmented_radix_sort_single_block_helperIilLj256ELj17ELb0EE4sortIPKiPiPKlPlEEbT_T0_T1_T2_jjjjRNS3_12storage_typeE
	.type	_ZN7rocprim17ROCPRIM_400000_NS6detail40segmented_radix_sort_single_block_helperIilLj256ELj17ELb0EE4sortIPKiPiPKlPlEEbT_T0_T1_T2_jjjjRNS3_12storage_typeE,@function
_ZN7rocprim17ROCPRIM_400000_NS6detail40segmented_radix_sort_single_block_helperIilLj256ELj17ELb0EE4sortIPKiPiPKlPlEEbT_T0_T1_T2_jjjjRNS3_12storage_typeE: ; @_ZN7rocprim17ROCPRIM_400000_NS6detail40segmented_radix_sort_single_block_helperIilLj256ELj17ELb0EE4sortIPKiPiPKlPlEEbT_T0_T1_T2_jjjjRNS3_12storage_typeE
; %bb.0:
	s_waitcnt vmcnt(0) expcnt(0) lgkmcnt(0)
	buffer_store_dword v40, off, s[0:3], s32 offset:188 ; 4-byte Folded Spill
	buffer_store_dword v41, off, s[0:3], s32 offset:184 ; 4-byte Folded Spill
	;; [unrolled: 1-line block ×47, first 2 shown]
	buffer_store_dword v127, off, s[0:3], s32 ; 4-byte Folded Spill
	v_sub_nc_u32_e32 v119, v9, v8
	s_mov_b32 s25, exec_lo
	v_cmpx_gt_u32_e32 0x1101, v119
	s_cbranch_execz .LBB603_382
; %bb.1:
	v_bfe_u32 v13, v31, 10, 10
	v_bfe_u32 v14, v31, 20, 10
	v_and_b32_e32 v21, 0x3ff, v31
	v_mbcnt_lo_u32_b32 v64, -1, 0
	s_mov_b32 s4, exec_lo
	v_cmpx_lt_u32_e32 0x800, v119
	s_xor_b32 s26, exec_lo, s4
	s_cbranch_execz .LBB603_151
; %bb.2:
	s_load_dwordx2 s[4:5], s[8:9], 0x0
	v_mov_b32_e32 v9, 0
	v_mov_b32_e32 v113, -1
	v_mov_b32_e32 v115, -1
	v_lshlrev_b64 v[50:51], 2, v[8:9]
	v_add_co_u32 v17, vcc_lo, v0, v50
	v_add_co_ci_u32_e64 v18, null, v1, v51, vcc_lo
	s_waitcnt lgkmcnt(0)
	s_cmp_lt_u32 s13, s5
	s_cselect_b32 s5, 14, 20
	s_add_u32 s6, s8, s5
	s_addc_u32 s7, s9, 0
	s_cmp_lt_u32 s12, s4
	global_load_ushort v15, v9, s[6:7]
	s_cselect_b32 s4, 12, 18
	s_add_u32 s4, s8, s4
	s_addc_u32 s5, s9, 0
	global_load_ushort v16, v9, s[4:5]
	s_waitcnt vmcnt(1)
	v_mad_u32_u24 v13, v14, v15, v13
	v_mov_b32_e32 v14, v9
	s_waitcnt vmcnt(0)
	v_mad_u64_u32 v[48:49], null, v13, v16, v[21:22]
	v_lshlrev_b32_e32 v16, 2, v64
	v_add_co_u32 v16, vcc_lo, v17, v16
	v_and_b32_e32 v13, 0xffffffe0, v48
	v_add_co_ci_u32_e64 v17, null, 0, v18, vcc_lo
	v_lshl_add_u32 v13, v13, 4, v13
	v_lshlrev_b64 v[0:1], 2, v[13:14]
	v_or_b32_e32 v15, v13, v64
	v_cmp_lt_u32_e32 vcc_lo, v15, v119
	v_add_co_u32 v0, s4, v16, v0
	v_add_co_ci_u32_e64 v1, null, v17, v1, s4
	s_and_saveexec_b32 s4, vcc_lo
	s_cbranch_execz .LBB603_4
; %bb.3:
	flat_load_dword v16, v[0:1]
	s_waitcnt vmcnt(0) lgkmcnt(0)
	v_xor_b32_e32 v115, 0x80000000, v16
.LBB603_4:
	s_or_b32 exec_lo, exec_lo, s4
	v_add_nc_u32_e32 v16, 32, v15
	v_cmp_lt_u32_e64 s4, v16, v119
	s_and_saveexec_b32 s5, s4
	s_cbranch_execz .LBB603_6
; %bb.5:
	flat_load_dword v16, v[0:1] offset:128
	s_waitcnt vmcnt(0) lgkmcnt(0)
	v_xor_b32_e32 v113, 0x80000000, v16
.LBB603_6:
	s_or_b32 exec_lo, exec_lo, s5
	v_add_nc_u32_e32 v16, 64, v15
	v_mov_b32_e32 v129, -1
	v_mov_b32_e32 v131, -1
	v_cmp_lt_u32_e64 s5, v16, v119
	s_and_saveexec_b32 s6, s5
	s_cbranch_execz .LBB603_8
; %bb.7:
	flat_load_dword v16, v[0:1] offset:256
	s_waitcnt vmcnt(0) lgkmcnt(0)
	v_xor_b32_e32 v131, 0x80000000, v16
.LBB603_8:
	s_or_b32 exec_lo, exec_lo, s6
	v_add_nc_u32_e32 v16, 0x60, v15
	v_cmp_lt_u32_e64 s6, v16, v119
	s_and_saveexec_b32 s7, s6
	s_cbranch_execz .LBB603_10
; %bb.9:
	flat_load_dword v16, v[0:1] offset:384
	s_waitcnt vmcnt(0) lgkmcnt(0)
	v_xor_b32_e32 v129, 0x80000000, v16
.LBB603_10:
	s_or_b32 exec_lo, exec_lo, s7
	v_add_nc_u32_e32 v16, 0x80, v15
	v_mov_b32_e32 v133, -1
	v_mov_b32_e32 v135, -1
	v_cmp_lt_u32_e64 s7, v16, v119
	s_and_saveexec_b32 s10, s7
	s_cbranch_execz .LBB603_12
; %bb.11:
	flat_load_dword v16, v[0:1] offset:512
	s_waitcnt vmcnt(0) lgkmcnt(0)
	v_xor_b32_e32 v135, 0x80000000, v16
.LBB603_12:
	;; [unrolled: 22-line block ×7, first 2 shown]
	s_or_b32 exec_lo, exec_lo, s15
	v_add_nc_u32_e32 v16, 0x1e0, v15
	v_cmp_lt_u32_e64 s19, v16, v119
	s_and_saveexec_b32 s15, s19
	s_cbranch_execz .LBB603_34
; %bb.33:
	flat_load_dword v16, v[0:1] offset:1920
	s_waitcnt vmcnt(0) lgkmcnt(0)
	v_xor_b32_e32 v92, 0x80000000, v16
.LBB603_34:
	s_or_b32 exec_lo, exec_lo, s15
	v_add_nc_u32_e32 v15, 0x200, v15
	v_mov_b32_e32 v94, -1
	v_cmp_lt_u32_e64 s15, v15, v119
	s_and_saveexec_b32 s27, s15
	s_cbranch_execz .LBB603_36
; %bb.35:
	v_add_co_u32 v0, s24, 0x800, v0
	v_add_co_ci_u32_e64 v1, null, 0, v1, s24
	flat_load_dword v0, v[0:1]
	s_waitcnt vmcnt(0) lgkmcnt(0)
	v_xor_b32_e32 v94, 0x80000000, v0
.LBB603_36:
	s_or_b32 exec_lo, exec_lo, s27
	v_lshlrev_b64 v[0:1], 3, v[8:9]
	v_lshlrev_b32_e32 v8, 3, v64
                                        ; implicit-def: $vgpr68_vgpr69
	v_add_co_u32 v9, s24, v4, v0
	v_add_co_ci_u32_e64 v15, null, v5, v1, s24
	v_lshlrev_b64 v[4:5], 3, v[13:14]
	v_add_co_u32 v8, s24, v9, v8
	v_add_co_ci_u32_e64 v9, null, 0, v15, s24
	v_add_co_u32 v4, s24, v8, v4
	v_add_co_ci_u32_e64 v5, null, v9, v5, s24
	s_and_saveexec_b32 s24, vcc_lo
	s_cbranch_execnz .LBB603_204
; %bb.37:
	s_or_b32 exec_lo, exec_lo, s24
                                        ; implicit-def: $vgpr80_vgpr81
	s_and_saveexec_b32 s24, s4
	s_cbranch_execnz .LBB603_205
.LBB603_38:
	s_or_b32 exec_lo, exec_lo, s24
                                        ; implicit-def: $vgpr66_vgpr67
	s_and_saveexec_b32 s4, s5
	s_cbranch_execnz .LBB603_206
.LBB603_39:
	s_or_b32 exec_lo, exec_lo, s4
                                        ; implicit-def: $vgpr70_vgpr71
	s_and_saveexec_b32 s4, s6
	s_cbranch_execnz .LBB603_207
.LBB603_40:
	s_or_b32 exec_lo, exec_lo, s4
                                        ; implicit-def: $vgpr82_vgpr83
	s_and_saveexec_b32 s4, s7
	s_cbranch_execnz .LBB603_208
.LBB603_41:
	s_or_b32 exec_lo, exec_lo, s4
                                        ; implicit-def: $vgpr86_vgpr87
	s_and_saveexec_b32 s4, s10
	s_cbranch_execnz .LBB603_209
.LBB603_42:
	s_or_b32 exec_lo, exec_lo, s4
                                        ; implicit-def: $vgpr84_vgpr85
	s_and_saveexec_b32 s4, s11
	s_cbranch_execnz .LBB603_210
.LBB603_43:
	s_or_b32 exec_lo, exec_lo, s4
                                        ; implicit-def: $vgpr96_vgpr97
	s_and_saveexec_b32 s4, s14
	s_cbranch_execnz .LBB603_211
.LBB603_44:
	s_or_b32 exec_lo, exec_lo, s4
                                        ; implicit-def: $vgpr98_vgpr99
	s_and_saveexec_b32 s4, s20
	s_cbranch_execnz .LBB603_212
.LBB603_45:
	s_or_b32 exec_lo, exec_lo, s4
                                        ; implicit-def: $vgpr100_vgpr101
	s_and_saveexec_b32 s4, s16
	s_cbranch_execnz .LBB603_213
.LBB603_46:
	s_or_b32 exec_lo, exec_lo, s4
                                        ; implicit-def: $vgpr102_vgpr103
	s_and_saveexec_b32 s4, s21
	s_cbranch_execnz .LBB603_214
.LBB603_47:
	s_or_b32 exec_lo, exec_lo, s4
                                        ; implicit-def: $vgpr117_vgpr118
	s_and_saveexec_b32 s4, s17
	s_cbranch_execnz .LBB603_215
.LBB603_48:
	s_or_b32 exec_lo, exec_lo, s4
                                        ; implicit-def: $vgpr149_vgpr150
	s_and_saveexec_b32 s4, s22
	s_cbranch_execnz .LBB603_216
.LBB603_49:
	s_or_b32 exec_lo, exec_lo, s4
                                        ; implicit-def: $vgpr160_vgpr161
	s_and_saveexec_b32 s4, s18
	s_cbranch_execnz .LBB603_217
.LBB603_50:
	s_or_b32 exec_lo, exec_lo, s4
                                        ; implicit-def: $vgpr177_vgpr178
	s_and_saveexec_b32 s4, s23
	s_cbranch_execnz .LBB603_218
.LBB603_51:
	s_or_b32 exec_lo, exec_lo, s4
                                        ; implicit-def: $vgpr182_vgpr183
	s_and_saveexec_b32 s4, s19
	s_cbranch_execnz .LBB603_219
.LBB603_52:
	s_or_b32 exec_lo, exec_lo, s4
                                        ; implicit-def: $vgpr192_vgpr193
	s_and_saveexec_b32 s4, s15
	s_cbranch_execz .LBB603_54
.LBB603_53:
	v_add_co_u32 v4, vcc_lo, 0x1000, v4
	v_add_co_ci_u32_e64 v5, null, 0, v5, vcc_lo
	flat_load_dwordx2 v[192:193], v[4:5]
.LBB603_54:
	s_or_b32 exec_lo, exec_lo, s4
	v_lshl_add_u32 v4, v21, 5, v12
	v_and_b32_e32 v5, 0x3e0, v21
	v_and_b32_e32 v8, 15, v64
	s_getpc_b64 s[4:5]
	s_add_u32 s4, s4, _ZN7rocprim17ROCPRIM_400000_NS16block_radix_sortIiLj256ELj17ElLj1ELj1ELj8ELNS0_26block_radix_rank_algorithmE2ELNS0_18block_padding_hintE2ELNS0_4arch9wavefront6targetE0EE19radix_bits_per_passE@rel32@lo+4
	s_addc_u32 s5, s5, _ZN7rocprim17ROCPRIM_400000_NS16block_radix_sortIiLj256ELj17ElLj1ELj1ELj8ELNS0_26block_radix_rank_algorithmE2ELNS0_18block_padding_hintE2ELNS0_4arch9wavefront6targetE0EE19radix_bits_per_passE@rel32@hi+12
	v_and_b32_e32 v9, 16, v64
	v_add_nc_u32_e32 v49, 32, v4
	v_add_nc_u32_e32 v151, 36, v4
	;; [unrolled: 1-line block ×8, first 2 shown]
	v_min_u32_e32 v4, 0xe0, v5
	s_load_dword s22, s[4:5], 0x0
	v_cmp_eq_u32_e32 vcc_lo, 0, v8
	v_cmp_lt_u32_e64 s4, 1, v8
	v_cmp_lt_u32_e64 s5, 3, v8
	v_or_b32_e32 v4, 31, v4
	v_cmp_lt_u32_e64 s6, 7, v8
	v_sub_co_u32 v8, s7, v64, 1
	v_cmp_eq_u32_e64 s10, 0, v9
	v_cmp_eq_u32_e64 s11, v21, v4
	v_mul_u32_u24_e32 v4, 17, v5
	v_cmp_gt_i32_e64 s14, 0, v8
	v_lshrrev_b32_e32 v5, 3, v21
	v_and_b32_e32 v9, 7, v64
	v_lshrrev_b32_e32 v208, 5, v48
	v_or_b32_e32 v4, v64, v4
	v_cndmask_b32_e64 v8, v8, v64, s14
	v_and_b32_e32 v5, 0x7c, v5
	v_cmp_gt_u32_e64 s14, 8, v21
	v_cmp_lt_u32_e64 s15, 31, v21
	v_lshlrev_b32_e32 v4, 2, v4
	v_lshlrev_b32_e32 v210, 2, v8
	;; [unrolled: 1-line block ×3, first 2 shown]
	v_cmp_eq_u32_e64 s16, 0, v21
	v_add_nc_u32_e32 v211, v12, v5
	v_add_nc_u32_e32 v212, v12, v4
	v_mov_b32_e32 v5, 0
	v_add_co_u32 v209, null, v12, v8
	v_cmp_eq_u32_e64 s17, 0, v9
	v_add_nc_u32_e32 v227, v212, v4
	v_cmp_lt_u32_e64 s18, 1, v9
	v_cmp_lt_u32_e64 s19, 3, v9
	v_add_nc_u32_e32 v213, 0x380, v212
	v_add_nc_u32_e32 v214, 0x400, v212
	;; [unrolled: 1-line block ×26, first 2 shown]
	v_sub_nc_u32_e32 v56, v11, v10
	s_mov_b32 s23, 0
	s_waitcnt vmcnt(0) lgkmcnt(0)
	s_waitcnt_vscnt null, 0x0
	s_barrier
	buffer_gl0_inv
	s_branch .LBB603_56
.LBB603_55:                             ;   in Loop: Header=BB603_56 Depth=1
	s_or_b32 exec_lo, exec_lo, s21
	s_and_b32 s20, exec_lo, s24
	s_or_b32 s23, s20, s23
	s_andn2_b32 exec_lo, exec_lo, s23
	s_cbranch_execz .LBB603_98
.LBB603_56:                             ; =>This Inner Loop Header: Depth=1
	v_min_u32_e32 v4, s22, v56
	v_mov_b32_e32 v57, v115
	v_mov_b32_e32 v30, v70
	;; [unrolled: 1-line block ×4, first 2 shown]
	v_lshlrev_b32_e64 v4, v4, -1
	v_mov_b32_e32 v33, v67
	v_mov_b32_e32 v13, v68
	;; [unrolled: 1-line block ×4, first 2 shown]
	v_not_b32_e32 v70, v4
	v_lshrrev_b32_e32 v4, v10, v57
	v_mov_b32_e32 v28, v82
	v_mov_b32_e32 v26, v86
	;; [unrolled: 1-line block ×4, first 2 shown]
	v_and_b32_e32 v4, v4, v70
	v_mov_b32_e32 v34, v98
	v_mov_b32_e32 v54, v100
	;; [unrolled: 1-line block ×4, first 2 shown]
	v_and_b32_e32 v66, 1, v4
	v_lshlrev_b32_e32 v68, 30, v4
	v_lshlrev_b32_e32 v69, 29, v4
	;; [unrolled: 1-line block ×3, first 2 shown]
	v_mov_b32_e32 v24, v149
	v_add_co_u32 v66, s20, v66, -1
	v_cndmask_b32_e64 v67, 0, 1, s20
	v_mov_b32_e32 v22, v160
	v_mov_b32_e32 v19, v177
	;; [unrolled: 1-line block ×4, first 2 shown]
	v_cmp_ne_u32_e64 s20, 0, v67
	v_not_b32_e32 v67, v68
	v_mov_b32_e32 v9, v81
	v_mov_b32_e32 v29, v83
	;; [unrolled: 1-line block ×3, first 2 shown]
	v_xor_b32_e32 v66, s20, v66
	v_cmp_gt_i32_e64 s20, 0, v68
	v_ashrrev_i32_e32 v67, 31, v67
	v_not_b32_e32 v68, v69
	v_mov_b32_e32 v65, v85
	v_and_b32_e32 v66, exec_lo, v66
	v_mov_b32_e32 v39, v97
	v_xor_b32_e32 v67, s20, v67
	v_cmp_gt_i32_e64 s20, 0, v69
	v_ashrrev_i32_e32 v68, 31, v68
	v_not_b32_e32 v69, v71
	v_mov_b32_e32 v35, v99
	v_and_b32_e32 v66, v66, v67
	v_lshlrev_b32_e32 v67, 27, v4
	v_xor_b32_e32 v68, s20, v68
	v_cmp_gt_i32_e64 s20, 0, v71
	v_ashrrev_i32_e32 v69, 31, v69
	v_mov_b32_e32 v55, v101
	v_not_b32_e32 v71, v67
	v_and_b32_e32 v66, v66, v68
	v_lshlrev_b32_e32 v68, 26, v4
	v_xor_b32_e32 v69, s20, v69
	v_cmp_gt_i32_e64 s20, 0, v67
	v_ashrrev_i32_e32 v67, 31, v71
	v_mov_b32_e32 v53, v103
	v_not_b32_e32 v71, v68
	;; [unrolled: 7-line block ×3, first 2 shown]
	v_and_b32_e32 v66, v66, v67
	v_lshlrev_b32_e32 v67, 24, v4
	v_xor_b32_e32 v68, s20, v68
	v_cmp_gt_i32_e64 s20, 0, v69
	v_ashrrev_i32_e32 v69, 31, v71
	v_lshl_add_u32 v4, v4, 3, v208
	v_not_b32_e32 v71, v67
	v_and_b32_e32 v66, v66, v68
	v_mov_b32_e32 v25, v150
	v_xor_b32_e32 v68, s20, v69
	v_cmp_gt_i32_e64 s20, 0, v67
	v_ashrrev_i32_e32 v67, 31, v71
	v_mov_b32_e32 v23, v161
	v_mov_b32_e32 v20, v178
	v_and_b32_e32 v66, v66, v68
	v_lshlrev_b64 v[68:69], 2, v[4:5]
	v_xor_b32_e32 v67, s20, v67
	v_mov_b32_e32 v18, v183
	v_mov_b32_e32 v16, v193
	;; [unrolled: 1-line block ×4, first 2 shown]
	v_and_b32_e32 v67, v66, v67
	v_add_co_u32 v66, null, v12, v68
	v_mov_b32_e32 v58, v129
	v_mov_b32_e32 v61, v135
	v_mbcnt_lo_u32_b32 v4, v67, 0
	v_cmp_ne_u32_e64 s21, 0, v67
	v_mov_b32_e32 v63, v133
	v_mov_b32_e32 v62, v147
	;; [unrolled: 1-line block ×3, first 2 shown]
	v_cmp_eq_u32_e64 s20, 0, v4
	v_mov_b32_e32 v73, v165
	v_mov_b32_e32 v74, v163
	;; [unrolled: 1-line block ×9, first 2 shown]
	v_add_co_u32 v66, null, v66, 32
	s_and_b32 s21, s21, s20
	ds_write_b32 v49, v5
	ds_write_b32 v151, v5
	;; [unrolled: 1-line block ×8, first 2 shown]
	s_waitcnt lgkmcnt(0)
	s_barrier
	buffer_gl0_inv
	; wave barrier
	s_and_saveexec_b32 s20, s21
; %bb.57:                               ;   in Loop: Header=BB603_56 Depth=1
	v_bcnt_u32_b32 v67, v67, 0
	ds_write_b32 v66, v67
; %bb.58:                               ;   in Loop: Header=BB603_56 Depth=1
	s_or_b32 exec_lo, exec_lo, s20
	v_lshrrev_b32_e32 v67, v10, v60
	; wave barrier
	v_and_b32_e32 v67, v67, v70
	v_and_b32_e32 v68, 1, v67
	v_lshlrev_b32_e32 v69, 30, v67
	v_lshlrev_b32_e32 v71, 29, v67
	;; [unrolled: 1-line block ×4, first 2 shown]
	v_add_co_u32 v68, s20, v68, -1
	v_cndmask_b32_e64 v81, 0, 1, s20
	v_not_b32_e32 v85, v69
	v_cmp_gt_i32_e64 s21, 0, v69
	v_not_b32_e32 v69, v71
	v_lshlrev_b32_e32 v83, 26, v67
	v_cmp_ne_u32_e64 s20, 0, v81
	v_ashrrev_i32_e32 v85, 31, v85
	v_lshlrev_b32_e32 v84, 25, v67
	v_ashrrev_i32_e32 v69, 31, v69
	v_lshlrev_b32_e32 v81, 24, v67
	v_xor_b32_e32 v68, s20, v68
	v_cmp_gt_i32_e64 s20, 0, v71
	v_not_b32_e32 v71, v80
	v_xor_b32_e32 v85, s21, v85
	v_cmp_gt_i32_e64 s21, 0, v80
	v_and_b32_e32 v68, exec_lo, v68
	v_not_b32_e32 v80, v82
	v_ashrrev_i32_e32 v71, 31, v71
	v_xor_b32_e32 v69, s20, v69
	v_cmp_gt_i32_e64 s20, 0, v82
	v_and_b32_e32 v68, v68, v85
	v_not_b32_e32 v82, v83
	v_ashrrev_i32_e32 v80, 31, v80
	v_xor_b32_e32 v71, s21, v71
	v_cmp_gt_i32_e64 s21, 0, v83
	v_and_b32_e32 v68, v68, v69
	;; [unrolled: 5-line block ×3, first 2 shown]
	v_not_b32_e32 v71, v81
	v_ashrrev_i32_e32 v69, 31, v69
	v_xor_b32_e32 v82, s21, v82
	v_lshl_add_u32 v67, v67, 3, v208
	v_and_b32_e32 v68, v68, v80
	v_cmp_gt_i32_e64 s21, 0, v81
	v_ashrrev_i32_e32 v71, 31, v71
	v_xor_b32_e32 v69, s20, v69
	v_lshl_add_u32 v80, v67, 2, v12
	v_and_b32_e32 v68, v68, v82
	v_xor_b32_e32 v71, s21, v71
	ds_read_b32 v67, v80 offset:32
	v_and_b32_e32 v68, v68, v69
	v_add_nc_u32_e32 v69, 32, v80
	; wave barrier
	v_and_b32_e32 v71, v68, v71
	v_mbcnt_lo_u32_b32 v68, v71, 0
	v_cmp_ne_u32_e64 s21, 0, v71
	v_cmp_eq_u32_e64 s20, 0, v68
	s_and_b32 s21, s21, s20
	s_and_saveexec_b32 s20, s21
	s_cbranch_execz .LBB603_60
; %bb.59:                               ;   in Loop: Header=BB603_56 Depth=1
	s_waitcnt lgkmcnt(0)
	v_bcnt_u32_b32 v71, v71, v67
	ds_write_b32 v69, v71
.LBB603_60:                             ;   in Loop: Header=BB603_56 Depth=1
	s_or_b32 exec_lo, exec_lo, s20
	v_lshrrev_b32_e32 v71, v10, v59
	; wave barrier
	v_and_b32_e32 v71, v71, v70
	v_and_b32_e32 v80, 1, v71
	v_lshlrev_b32_e32 v81, 30, v71
	v_lshlrev_b32_e32 v82, 29, v71
	;; [unrolled: 1-line block ×4, first 2 shown]
	v_add_co_u32 v80, s20, v80, -1
	v_cndmask_b32_e64 v84, 0, 1, s20
	v_not_b32_e32 v96, v81
	v_cmp_gt_i32_e64 s21, 0, v81
	v_not_b32_e32 v81, v82
	v_lshlrev_b32_e32 v86, 26, v71
	v_cmp_ne_u32_e64 s20, 0, v84
	v_ashrrev_i32_e32 v96, 31, v96
	v_lshlrev_b32_e32 v87, 25, v71
	v_ashrrev_i32_e32 v81, 31, v81
	v_lshlrev_b32_e32 v84, 24, v71
	v_xor_b32_e32 v80, s20, v80
	v_cmp_gt_i32_e64 s20, 0, v82
	v_not_b32_e32 v82, v83
	v_xor_b32_e32 v96, s21, v96
	v_cmp_gt_i32_e64 s21, 0, v83
	v_and_b32_e32 v80, exec_lo, v80
	v_not_b32_e32 v83, v85
	v_ashrrev_i32_e32 v82, 31, v82
	v_xor_b32_e32 v81, s20, v81
	v_cmp_gt_i32_e64 s20, 0, v85
	v_and_b32_e32 v80, v80, v96
	v_not_b32_e32 v85, v86
	v_ashrrev_i32_e32 v83, 31, v83
	v_xor_b32_e32 v82, s21, v82
	v_cmp_gt_i32_e64 s21, 0, v86
	v_and_b32_e32 v80, v80, v81
	;; [unrolled: 5-line block ×3, first 2 shown]
	v_not_b32_e32 v82, v84
	v_ashrrev_i32_e32 v81, 31, v81
	v_xor_b32_e32 v85, s21, v85
	v_lshl_add_u32 v71, v71, 3, v208
	v_and_b32_e32 v80, v80, v83
	v_cmp_gt_i32_e64 s21, 0, v84
	v_ashrrev_i32_e32 v82, 31, v82
	v_xor_b32_e32 v81, s20, v81
	v_lshl_add_u32 v83, v71, 2, v12
	v_and_b32_e32 v80, v80, v85
	v_xor_b32_e32 v82, s21, v82
	ds_read_b32 v71, v83 offset:32
	v_and_b32_e32 v80, v80, v81
	v_add_nc_u32_e32 v81, 32, v83
	; wave barrier
	v_and_b32_e32 v82, v80, v82
	v_mbcnt_lo_u32_b32 v80, v82, 0
	v_cmp_ne_u32_e64 s21, 0, v82
	v_cmp_eq_u32_e64 s20, 0, v80
	s_and_b32 s21, s21, s20
	s_and_saveexec_b32 s20, s21
	s_cbranch_execz .LBB603_62
; %bb.61:                               ;   in Loop: Header=BB603_56 Depth=1
	s_waitcnt lgkmcnt(0)
	v_bcnt_u32_b32 v82, v82, v71
	ds_write_b32 v81, v82
.LBB603_62:                             ;   in Loop: Header=BB603_56 Depth=1
	s_or_b32 exec_lo, exec_lo, s20
	v_lshrrev_b32_e32 v82, v10, v58
	; wave barrier
	v_and_b32_e32 v82, v82, v70
	v_and_b32_e32 v83, 1, v82
	v_lshlrev_b32_e32 v84, 30, v82
	v_lshlrev_b32_e32 v85, 29, v82
	;; [unrolled: 1-line block ×4, first 2 shown]
	v_add_co_u32 v83, s20, v83, -1
	v_cndmask_b32_e64 v87, 0, 1, s20
	v_not_b32_e32 v99, v84
	v_cmp_gt_i32_e64 s21, 0, v84
	v_not_b32_e32 v84, v85
	v_lshlrev_b32_e32 v97, 26, v82
	v_cmp_ne_u32_e64 s20, 0, v87
	v_ashrrev_i32_e32 v99, 31, v99
	v_lshlrev_b32_e32 v98, 25, v82
	v_ashrrev_i32_e32 v84, 31, v84
	v_lshlrev_b32_e32 v87, 24, v82
	v_xor_b32_e32 v83, s20, v83
	v_cmp_gt_i32_e64 s20, 0, v85
	v_not_b32_e32 v85, v86
	v_xor_b32_e32 v99, s21, v99
	v_cmp_gt_i32_e64 s21, 0, v86
	v_and_b32_e32 v83, exec_lo, v83
	v_not_b32_e32 v86, v96
	v_ashrrev_i32_e32 v85, 31, v85
	v_xor_b32_e32 v84, s20, v84
	v_cmp_gt_i32_e64 s20, 0, v96
	v_and_b32_e32 v83, v83, v99
	v_not_b32_e32 v96, v97
	v_ashrrev_i32_e32 v86, 31, v86
	v_xor_b32_e32 v85, s21, v85
	v_cmp_gt_i32_e64 s21, 0, v97
	v_and_b32_e32 v83, v83, v84
	;; [unrolled: 5-line block ×3, first 2 shown]
	v_not_b32_e32 v85, v87
	v_ashrrev_i32_e32 v84, 31, v84
	v_xor_b32_e32 v96, s21, v96
	v_lshl_add_u32 v82, v82, 3, v208
	v_and_b32_e32 v83, v83, v86
	v_cmp_gt_i32_e64 s21, 0, v87
	v_ashrrev_i32_e32 v85, 31, v85
	v_xor_b32_e32 v84, s20, v84
	v_lshl_add_u32 v86, v82, 2, v12
	v_and_b32_e32 v83, v83, v96
	v_xor_b32_e32 v85, s21, v85
	ds_read_b32 v82, v86 offset:32
	v_and_b32_e32 v83, v83, v84
	v_add_nc_u32_e32 v84, 32, v86
	; wave barrier
	v_and_b32_e32 v85, v83, v85
	v_mbcnt_lo_u32_b32 v83, v85, 0
	v_cmp_ne_u32_e64 s21, 0, v85
	v_cmp_eq_u32_e64 s20, 0, v83
	s_and_b32 s21, s21, s20
	s_and_saveexec_b32 s20, s21
	s_cbranch_execz .LBB603_64
; %bb.63:                               ;   in Loop: Header=BB603_56 Depth=1
	s_waitcnt lgkmcnt(0)
	v_bcnt_u32_b32 v85, v85, v82
	ds_write_b32 v84, v85
.LBB603_64:                             ;   in Loop: Header=BB603_56 Depth=1
	s_or_b32 exec_lo, exec_lo, s20
	v_lshrrev_b32_e32 v85, v10, v61
	; wave barrier
	v_and_b32_e32 v85, v85, v70
	v_and_b32_e32 v86, 1, v85
	v_lshlrev_b32_e32 v87, 30, v85
	v_lshlrev_b32_e32 v96, 29, v85
	v_lshlrev_b32_e32 v97, 28, v85
	v_lshlrev_b32_e32 v99, 27, v85
	v_add_co_u32 v86, s20, v86, -1
	v_cndmask_b32_e64 v98, 0, 1, s20
	v_not_b32_e32 v102, v87
	v_cmp_gt_i32_e64 s21, 0, v87
	v_not_b32_e32 v87, v96
	v_lshlrev_b32_e32 v100, 26, v85
	v_cmp_ne_u32_e64 s20, 0, v98
	v_ashrrev_i32_e32 v102, 31, v102
	v_lshlrev_b32_e32 v101, 25, v85
	v_ashrrev_i32_e32 v87, 31, v87
	v_lshlrev_b32_e32 v98, 24, v85
	v_xor_b32_e32 v86, s20, v86
	v_cmp_gt_i32_e64 s20, 0, v96
	v_not_b32_e32 v96, v97
	v_xor_b32_e32 v102, s21, v102
	v_cmp_gt_i32_e64 s21, 0, v97
	v_and_b32_e32 v86, exec_lo, v86
	v_not_b32_e32 v97, v99
	v_ashrrev_i32_e32 v96, 31, v96
	v_xor_b32_e32 v87, s20, v87
	v_cmp_gt_i32_e64 s20, 0, v99
	v_and_b32_e32 v86, v86, v102
	v_not_b32_e32 v99, v100
	v_ashrrev_i32_e32 v97, 31, v97
	v_xor_b32_e32 v96, s21, v96
	v_cmp_gt_i32_e64 s21, 0, v100
	v_and_b32_e32 v86, v86, v87
	;; [unrolled: 5-line block ×3, first 2 shown]
	v_not_b32_e32 v96, v98
	v_ashrrev_i32_e32 v87, 31, v87
	v_xor_b32_e32 v99, s21, v99
	v_lshl_add_u32 v85, v85, 3, v208
	v_and_b32_e32 v86, v86, v97
	v_cmp_gt_i32_e64 s21, 0, v98
	v_ashrrev_i32_e32 v96, 31, v96
	v_xor_b32_e32 v87, s20, v87
	v_lshl_add_u32 v97, v85, 2, v12
	v_and_b32_e32 v86, v86, v99
	v_xor_b32_e32 v96, s21, v96
	ds_read_b32 v85, v97 offset:32
	v_and_b32_e32 v86, v86, v87
	v_add_nc_u32_e32 v87, 32, v97
	; wave barrier
	v_and_b32_e32 v96, v86, v96
	v_mbcnt_lo_u32_b32 v86, v96, 0
	v_cmp_ne_u32_e64 s21, 0, v96
	v_cmp_eq_u32_e64 s20, 0, v86
	s_and_b32 s21, s21, s20
	s_and_saveexec_b32 s20, s21
	s_cbranch_execz .LBB603_66
; %bb.65:                               ;   in Loop: Header=BB603_56 Depth=1
	s_waitcnt lgkmcnt(0)
	v_bcnt_u32_b32 v96, v96, v85
	ds_write_b32 v87, v96
.LBB603_66:                             ;   in Loop: Header=BB603_56 Depth=1
	s_or_b32 exec_lo, exec_lo, s20
	v_lshrrev_b32_e32 v96, v10, v63
	; wave barrier
	v_and_b32_e32 v96, v96, v70
	v_and_b32_e32 v97, 1, v96
	v_lshlrev_b32_e32 v98, 30, v96
	v_lshlrev_b32_e32 v99, 29, v96
	;; [unrolled: 1-line block ×4, first 2 shown]
	v_add_co_u32 v97, s20, v97, -1
	v_cndmask_b32_e64 v101, 0, 1, s20
	v_not_b32_e32 v113, v98
	v_cmp_gt_i32_e64 s21, 0, v98
	v_not_b32_e32 v98, v99
	v_lshlrev_b32_e32 v103, 26, v96
	v_cmp_ne_u32_e64 s20, 0, v101
	v_ashrrev_i32_e32 v113, 31, v113
	v_lshlrev_b32_e32 v112, 25, v96
	v_ashrrev_i32_e32 v98, 31, v98
	v_lshlrev_b32_e32 v101, 24, v96
	v_xor_b32_e32 v97, s20, v97
	v_cmp_gt_i32_e64 s20, 0, v99
	v_not_b32_e32 v99, v100
	v_xor_b32_e32 v113, s21, v113
	v_cmp_gt_i32_e64 s21, 0, v100
	v_and_b32_e32 v97, exec_lo, v97
	v_not_b32_e32 v100, v102
	v_ashrrev_i32_e32 v99, 31, v99
	v_xor_b32_e32 v98, s20, v98
	v_cmp_gt_i32_e64 s20, 0, v102
	v_and_b32_e32 v97, v97, v113
	v_not_b32_e32 v102, v103
	v_ashrrev_i32_e32 v100, 31, v100
	v_xor_b32_e32 v99, s21, v99
	v_cmp_gt_i32_e64 s21, 0, v103
	v_and_b32_e32 v97, v97, v98
	;; [unrolled: 5-line block ×3, first 2 shown]
	v_not_b32_e32 v99, v101
	v_ashrrev_i32_e32 v98, 31, v98
	v_xor_b32_e32 v102, s21, v102
	v_lshl_add_u32 v96, v96, 3, v208
	v_and_b32_e32 v97, v97, v100
	v_cmp_gt_i32_e64 s21, 0, v101
	v_ashrrev_i32_e32 v99, 31, v99
	v_xor_b32_e32 v98, s20, v98
	v_lshl_add_u32 v100, v96, 2, v12
	v_and_b32_e32 v97, v97, v102
	v_xor_b32_e32 v99, s21, v99
	ds_read_b32 v96, v100 offset:32
	v_and_b32_e32 v97, v97, v98
	v_add_nc_u32_e32 v98, 32, v100
	; wave barrier
	v_and_b32_e32 v99, v97, v99
	v_mbcnt_lo_u32_b32 v97, v99, 0
	v_cmp_ne_u32_e64 s21, 0, v99
	v_cmp_eq_u32_e64 s20, 0, v97
	s_and_b32 s21, s21, s20
	s_and_saveexec_b32 s20, s21
	s_cbranch_execz .LBB603_68
; %bb.67:                               ;   in Loop: Header=BB603_56 Depth=1
	s_waitcnt lgkmcnt(0)
	v_bcnt_u32_b32 v99, v99, v96
	ds_write_b32 v98, v99
.LBB603_68:                             ;   in Loop: Header=BB603_56 Depth=1
	s_or_b32 exec_lo, exec_lo, s20
	v_lshrrev_b32_e32 v99, v10, v62
	; wave barrier
	v_and_b32_e32 v99, v99, v70
	v_and_b32_e32 v100, 1, v99
	v_lshlrev_b32_e32 v101, 30, v99
	v_lshlrev_b32_e32 v102, 29, v99
	;; [unrolled: 1-line block ×4, first 2 shown]
	v_add_co_u32 v100, s20, v100, -1
	v_cndmask_b32_e64 v112, 0, 1, s20
	v_not_b32_e32 v116, v101
	v_cmp_gt_i32_e64 s21, 0, v101
	v_not_b32_e32 v101, v102
	v_lshlrev_b32_e32 v114, 26, v99
	v_cmp_ne_u32_e64 s20, 0, v112
	v_ashrrev_i32_e32 v116, 31, v116
	v_lshlrev_b32_e32 v115, 25, v99
	v_ashrrev_i32_e32 v101, 31, v101
	v_lshlrev_b32_e32 v112, 24, v99
	v_xor_b32_e32 v100, s20, v100
	v_cmp_gt_i32_e64 s20, 0, v102
	v_not_b32_e32 v102, v103
	v_xor_b32_e32 v116, s21, v116
	v_cmp_gt_i32_e64 s21, 0, v103
	v_and_b32_e32 v100, exec_lo, v100
	v_not_b32_e32 v103, v113
	v_ashrrev_i32_e32 v102, 31, v102
	v_xor_b32_e32 v101, s20, v101
	v_cmp_gt_i32_e64 s20, 0, v113
	v_and_b32_e32 v100, v100, v116
	v_not_b32_e32 v113, v114
	v_ashrrev_i32_e32 v103, 31, v103
	v_xor_b32_e32 v102, s21, v102
	v_cmp_gt_i32_e64 s21, 0, v114
	v_and_b32_e32 v100, v100, v101
	;; [unrolled: 5-line block ×3, first 2 shown]
	v_not_b32_e32 v102, v112
	v_ashrrev_i32_e32 v101, 31, v101
	v_xor_b32_e32 v113, s21, v113
	v_lshl_add_u32 v99, v99, 3, v208
	v_and_b32_e32 v100, v100, v103
	v_cmp_gt_i32_e64 s21, 0, v112
	v_ashrrev_i32_e32 v102, 31, v102
	v_xor_b32_e32 v101, s20, v101
	v_lshl_add_u32 v103, v99, 2, v12
	v_and_b32_e32 v100, v100, v113
	v_xor_b32_e32 v102, s21, v102
	ds_read_b32 v99, v103 offset:32
	v_and_b32_e32 v100, v100, v101
	v_add_nc_u32_e32 v101, 32, v103
	; wave barrier
	v_and_b32_e32 v102, v100, v102
	v_mbcnt_lo_u32_b32 v100, v102, 0
	v_cmp_ne_u32_e64 s21, 0, v102
	v_cmp_eq_u32_e64 s20, 0, v100
	s_and_b32 s21, s21, s20
	s_and_saveexec_b32 s20, s21
	s_cbranch_execz .LBB603_70
; %bb.69:                               ;   in Loop: Header=BB603_56 Depth=1
	s_waitcnt lgkmcnt(0)
	v_bcnt_u32_b32 v102, v102, v99
	ds_write_b32 v101, v102
.LBB603_70:                             ;   in Loop: Header=BB603_56 Depth=1
	s_or_b32 exec_lo, exec_lo, s20
	v_lshrrev_b32_e32 v102, v10, v72
	; wave barrier
	v_and_b32_e32 v102, v102, v70
	v_and_b32_e32 v103, 1, v102
	v_lshlrev_b32_e32 v112, 30, v102
	v_lshlrev_b32_e32 v113, 29, v102
	;; [unrolled: 1-line block ×4, first 2 shown]
	v_add_co_u32 v103, s20, v103, -1
	v_cndmask_b32_e64 v115, 0, 1, s20
	v_not_b32_e32 v128, v112
	v_cmp_gt_i32_e64 s21, 0, v112
	v_not_b32_e32 v112, v113
	v_lshlrev_b32_e32 v117, 26, v102
	v_cmp_ne_u32_e64 s20, 0, v115
	v_ashrrev_i32_e32 v128, 31, v128
	v_lshlrev_b32_e32 v118, 25, v102
	v_ashrrev_i32_e32 v112, 31, v112
	v_lshlrev_b32_e32 v115, 24, v102
	v_xor_b32_e32 v103, s20, v103
	v_cmp_gt_i32_e64 s20, 0, v113
	v_not_b32_e32 v113, v114
	v_xor_b32_e32 v128, s21, v128
	v_cmp_gt_i32_e64 s21, 0, v114
	v_and_b32_e32 v103, exec_lo, v103
	v_not_b32_e32 v114, v116
	v_ashrrev_i32_e32 v113, 31, v113
	v_xor_b32_e32 v112, s20, v112
	v_cmp_gt_i32_e64 s20, 0, v116
	v_and_b32_e32 v103, v103, v128
	v_not_b32_e32 v116, v117
	v_ashrrev_i32_e32 v114, 31, v114
	v_xor_b32_e32 v113, s21, v113
	v_cmp_gt_i32_e64 s21, 0, v117
	v_and_b32_e32 v103, v103, v112
	;; [unrolled: 5-line block ×3, first 2 shown]
	v_not_b32_e32 v113, v115
	v_ashrrev_i32_e32 v112, 31, v112
	v_xor_b32_e32 v116, s21, v116
	v_lshl_add_u32 v102, v102, 3, v208
	v_and_b32_e32 v103, v103, v114
	v_cmp_gt_i32_e64 s21, 0, v115
	v_ashrrev_i32_e32 v113, 31, v113
	v_xor_b32_e32 v112, s20, v112
	v_lshl_add_u32 v114, v102, 2, v12
	v_and_b32_e32 v103, v103, v116
	v_xor_b32_e32 v113, s21, v113
	ds_read_b32 v102, v114 offset:32
	v_and_b32_e32 v103, v103, v112
	v_add_nc_u32_e32 v112, 32, v114
	; wave barrier
	v_and_b32_e32 v113, v103, v113
	v_mbcnt_lo_u32_b32 v103, v113, 0
	v_cmp_ne_u32_e64 s21, 0, v113
	v_cmp_eq_u32_e64 s20, 0, v103
	s_and_b32 s21, s21, s20
	s_and_saveexec_b32 s20, s21
	s_cbranch_execz .LBB603_72
; %bb.71:                               ;   in Loop: Header=BB603_56 Depth=1
	s_waitcnt lgkmcnt(0)
	v_bcnt_u32_b32 v113, v113, v102
	ds_write_b32 v112, v113
.LBB603_72:                             ;   in Loop: Header=BB603_56 Depth=1
	s_or_b32 exec_lo, exec_lo, s20
	v_lshrrev_b32_e32 v113, v10, v73
	; wave barrier
	v_and_b32_e32 v113, v113, v70
	v_and_b32_e32 v114, 1, v113
	v_lshlrev_b32_e32 v115, 30, v113
	v_lshlrev_b32_e32 v116, 29, v113
	;; [unrolled: 1-line block ×4, first 2 shown]
	v_add_co_u32 v114, s20, v114, -1
	v_cndmask_b32_e64 v118, 0, 1, s20
	v_not_b32_e32 v131, v115
	v_cmp_gt_i32_e64 s21, 0, v115
	v_not_b32_e32 v115, v116
	v_lshlrev_b32_e32 v129, 26, v113
	v_cmp_ne_u32_e64 s20, 0, v118
	v_ashrrev_i32_e32 v131, 31, v131
	v_lshlrev_b32_e32 v130, 25, v113
	v_ashrrev_i32_e32 v115, 31, v115
	v_lshlrev_b32_e32 v118, 24, v113
	v_xor_b32_e32 v114, s20, v114
	v_cmp_gt_i32_e64 s20, 0, v116
	v_not_b32_e32 v116, v117
	v_xor_b32_e32 v131, s21, v131
	v_cmp_gt_i32_e64 s21, 0, v117
	v_and_b32_e32 v114, exec_lo, v114
	v_not_b32_e32 v117, v128
	v_ashrrev_i32_e32 v116, 31, v116
	v_xor_b32_e32 v115, s20, v115
	v_cmp_gt_i32_e64 s20, 0, v128
	v_and_b32_e32 v114, v114, v131
	v_not_b32_e32 v128, v129
	v_ashrrev_i32_e32 v117, 31, v117
	v_xor_b32_e32 v116, s21, v116
	v_cmp_gt_i32_e64 s21, 0, v129
	v_and_b32_e32 v114, v114, v115
	;; [unrolled: 5-line block ×3, first 2 shown]
	v_not_b32_e32 v116, v118
	v_ashrrev_i32_e32 v115, 31, v115
	v_xor_b32_e32 v128, s21, v128
	v_lshl_add_u32 v113, v113, 3, v208
	v_and_b32_e32 v114, v114, v117
	v_cmp_gt_i32_e64 s21, 0, v118
	v_ashrrev_i32_e32 v116, 31, v116
	v_xor_b32_e32 v115, s20, v115
	v_lshl_add_u32 v117, v113, 2, v12
	v_and_b32_e32 v114, v114, v128
	v_xor_b32_e32 v113, s21, v116
	ds_read_b32 v118, v117 offset:32
	v_and_b32_e32 v114, v114, v115
	; wave barrier
	v_and_b32_e32 v113, v114, v113
	v_add_nc_u32_e32 v114, 32, v117
	v_mbcnt_lo_u32_b32 v134, v113, 0
	v_cmp_ne_u32_e64 s21, 0, v113
	v_cmp_eq_u32_e64 s20, 0, v134
	s_and_b32 s21, s21, s20
	s_and_saveexec_b32 s20, s21
	s_cbranch_execz .LBB603_74
; %bb.73:                               ;   in Loop: Header=BB603_56 Depth=1
	s_waitcnt lgkmcnt(0)
	v_bcnt_u32_b32 v113, v113, v118
	ds_write_b32 v114, v113
.LBB603_74:                             ;   in Loop: Header=BB603_56 Depth=1
	s_or_b32 exec_lo, exec_lo, s20
	v_lshrrev_b32_e32 v113, v10, v74
	; wave barrier
	v_and_b32_e32 v113, v113, v70
	v_and_b32_e32 v115, 1, v113
	v_lshlrev_b32_e32 v116, 30, v113
	v_lshlrev_b32_e32 v117, 29, v113
	;; [unrolled: 1-line block ×4, first 2 shown]
	v_add_co_u32 v115, s20, v115, -1
	v_cndmask_b32_e64 v129, 0, 1, s20
	v_not_b32_e32 v133, v116
	v_cmp_gt_i32_e64 s21, 0, v116
	v_not_b32_e32 v116, v117
	v_lshlrev_b32_e32 v131, 26, v113
	v_cmp_ne_u32_e64 s20, 0, v129
	v_ashrrev_i32_e32 v133, 31, v133
	v_lshlrev_b32_e32 v132, 25, v113
	v_ashrrev_i32_e32 v116, 31, v116
	v_lshlrev_b32_e32 v129, 24, v113
	v_xor_b32_e32 v115, s20, v115
	v_cmp_gt_i32_e64 s20, 0, v117
	v_not_b32_e32 v117, v128
	v_xor_b32_e32 v133, s21, v133
	v_cmp_gt_i32_e64 s21, 0, v128
	v_and_b32_e32 v115, exec_lo, v115
	v_not_b32_e32 v128, v130
	v_ashrrev_i32_e32 v117, 31, v117
	v_xor_b32_e32 v116, s20, v116
	v_cmp_gt_i32_e64 s20, 0, v130
	v_and_b32_e32 v115, v115, v133
	v_not_b32_e32 v130, v131
	v_ashrrev_i32_e32 v128, 31, v128
	v_xor_b32_e32 v117, s21, v117
	v_cmp_gt_i32_e64 s21, 0, v131
	v_and_b32_e32 v115, v115, v116
	;; [unrolled: 5-line block ×3, first 2 shown]
	v_not_b32_e32 v117, v129
	v_ashrrev_i32_e32 v116, 31, v116
	v_xor_b32_e32 v130, s21, v130
	v_lshl_add_u32 v113, v113, 3, v208
	v_and_b32_e32 v115, v115, v128
	v_cmp_gt_i32_e64 s21, 0, v129
	v_ashrrev_i32_e32 v117, 31, v117
	v_xor_b32_e32 v116, s20, v116
	v_lshl_add_u32 v128, v113, 2, v12
	v_and_b32_e32 v115, v115, v130
	v_xor_b32_e32 v113, s21, v117
	ds_read_b32 v146, v128 offset:32
	v_and_b32_e32 v115, v115, v116
	v_add_nc_u32_e32 v116, 32, v128
	; wave barrier
	v_and_b32_e32 v113, v115, v113
	v_mbcnt_lo_u32_b32 v148, v113, 0
	v_cmp_ne_u32_e64 s21, 0, v113
	v_cmp_eq_u32_e64 s20, 0, v148
	s_and_b32 s21, s21, s20
	s_and_saveexec_b32 s20, s21
	s_cbranch_execz .LBB603_76
; %bb.75:                               ;   in Loop: Header=BB603_56 Depth=1
	s_waitcnt lgkmcnt(0)
	v_bcnt_u32_b32 v113, v113, v146
	ds_write_b32 v116, v113
.LBB603_76:                             ;   in Loop: Header=BB603_56 Depth=1
	s_or_b32 exec_lo, exec_lo, s20
	v_lshrrev_b32_e32 v113, v10, v75
	; wave barrier
	v_and_b32_e32 v113, v113, v70
	v_and_b32_e32 v115, 1, v113
	v_lshlrev_b32_e32 v117, 30, v113
	v_lshlrev_b32_e32 v128, 29, v113
	;; [unrolled: 1-line block ×4, first 2 shown]
	v_add_co_u32 v115, s20, v115, -1
	v_cndmask_b32_e64 v130, 0, 1, s20
	v_not_b32_e32 v135, v117
	v_cmp_gt_i32_e64 s21, 0, v117
	v_not_b32_e32 v117, v128
	v_lshlrev_b32_e32 v132, 26, v113
	v_cmp_ne_u32_e64 s20, 0, v130
	v_ashrrev_i32_e32 v135, 31, v135
	v_lshlrev_b32_e32 v133, 25, v113
	v_ashrrev_i32_e32 v117, 31, v117
	v_lshlrev_b32_e32 v130, 24, v113
	v_xor_b32_e32 v115, s20, v115
	v_cmp_gt_i32_e64 s20, 0, v128
	v_not_b32_e32 v128, v129
	v_xor_b32_e32 v135, s21, v135
	v_cmp_gt_i32_e64 s21, 0, v129
	v_and_b32_e32 v115, exec_lo, v115
	v_not_b32_e32 v129, v131
	v_ashrrev_i32_e32 v128, 31, v128
	v_xor_b32_e32 v117, s20, v117
	v_cmp_gt_i32_e64 s20, 0, v131
	v_and_b32_e32 v115, v115, v135
	v_not_b32_e32 v131, v132
	v_ashrrev_i32_e32 v129, 31, v129
	v_xor_b32_e32 v128, s21, v128
	v_cmp_gt_i32_e64 s21, 0, v132
	v_and_b32_e32 v115, v115, v117
	;; [unrolled: 5-line block ×3, first 2 shown]
	v_not_b32_e32 v128, v130
	v_ashrrev_i32_e32 v117, 31, v117
	v_xor_b32_e32 v131, s21, v131
	v_lshl_add_u32 v113, v113, 3, v208
	v_and_b32_e32 v115, v115, v129
	v_cmp_gt_i32_e64 s21, 0, v130
	v_ashrrev_i32_e32 v128, 31, v128
	v_xor_b32_e32 v117, s20, v117
	v_lshl_add_u32 v129, v113, 2, v12
	v_and_b32_e32 v115, v115, v131
	v_xor_b32_e32 v113, s21, v128
	ds_read_b32 v150, v129 offset:32
	v_and_b32_e32 v115, v115, v117
	v_add_nc_u32_e32 v128, 32, v129
	; wave barrier
	v_and_b32_e32 v113, v115, v113
	v_mbcnt_lo_u32_b32 v160, v113, 0
	v_cmp_ne_u32_e64 s21, 0, v113
	v_cmp_eq_u32_e64 s20, 0, v160
	s_and_b32 s21, s21, s20
	s_and_saveexec_b32 s20, s21
	s_cbranch_execz .LBB603_78
; %bb.77:                               ;   in Loop: Header=BB603_56 Depth=1
	s_waitcnt lgkmcnt(0)
	v_bcnt_u32_b32 v113, v113, v150
	ds_write_b32 v128, v113
.LBB603_78:                             ;   in Loop: Header=BB603_56 Depth=1
	s_or_b32 exec_lo, exec_lo, s20
	v_lshrrev_b32_e32 v113, v10, v76
	; wave barrier
	v_and_b32_e32 v113, v113, v70
	v_and_b32_e32 v115, 1, v113
	v_lshlrev_b32_e32 v117, 30, v113
	v_lshlrev_b32_e32 v129, 29, v113
	v_lshlrev_b32_e32 v130, 28, v113
	v_lshlrev_b32_e32 v132, 27, v113
	v_add_co_u32 v115, s20, v115, -1
	v_cndmask_b32_e64 v131, 0, 1, s20
	v_not_b32_e32 v144, v117
	v_cmp_gt_i32_e64 s21, 0, v117
	v_not_b32_e32 v117, v129
	v_lshlrev_b32_e32 v133, 26, v113
	v_cmp_ne_u32_e64 s20, 0, v131
	v_ashrrev_i32_e32 v144, 31, v144
	v_lshlrev_b32_e32 v135, 25, v113
	v_ashrrev_i32_e32 v117, 31, v117
	v_lshlrev_b32_e32 v131, 24, v113
	v_xor_b32_e32 v115, s20, v115
	v_cmp_gt_i32_e64 s20, 0, v129
	v_not_b32_e32 v129, v130
	v_xor_b32_e32 v144, s21, v144
	v_cmp_gt_i32_e64 s21, 0, v130
	v_and_b32_e32 v115, exec_lo, v115
	v_not_b32_e32 v130, v132
	v_ashrrev_i32_e32 v129, 31, v129
	v_xor_b32_e32 v117, s20, v117
	v_cmp_gt_i32_e64 s20, 0, v132
	v_and_b32_e32 v115, v115, v144
	v_not_b32_e32 v132, v133
	v_ashrrev_i32_e32 v130, 31, v130
	v_xor_b32_e32 v129, s21, v129
	v_cmp_gt_i32_e64 s21, 0, v133
	v_and_b32_e32 v115, v115, v117
	;; [unrolled: 5-line block ×3, first 2 shown]
	v_not_b32_e32 v129, v131
	v_ashrrev_i32_e32 v117, 31, v117
	v_xor_b32_e32 v132, s21, v132
	v_lshl_add_u32 v113, v113, 3, v208
	v_and_b32_e32 v115, v115, v130
	v_cmp_gt_i32_e64 s21, 0, v131
	v_ashrrev_i32_e32 v129, 31, v129
	v_xor_b32_e32 v117, s20, v117
	v_lshl_add_u32 v130, v113, 2, v12
	v_and_b32_e32 v115, v115, v132
	v_xor_b32_e32 v113, s21, v129
	ds_read_b32 v161, v130 offset:32
	v_and_b32_e32 v115, v115, v117
	v_add_nc_u32_e32 v130, 32, v130
	; wave barrier
	v_and_b32_e32 v113, v115, v113
	v_mbcnt_lo_u32_b32 v162, v113, 0
	v_cmp_ne_u32_e64 s21, 0, v113
	v_cmp_eq_u32_e64 s20, 0, v162
	s_and_b32 s21, s21, s20
	s_and_saveexec_b32 s20, s21
	s_cbranch_execz .LBB603_80
; %bb.79:                               ;   in Loop: Header=BB603_56 Depth=1
	s_waitcnt lgkmcnt(0)
	v_bcnt_u32_b32 v113, v113, v161
	ds_write_b32 v130, v113
.LBB603_80:                             ;   in Loop: Header=BB603_56 Depth=1
	s_or_b32 exec_lo, exec_lo, s20
	v_lshrrev_b32_e32 v113, v10, v77
	; wave barrier
	v_and_b32_e32 v113, v113, v70
	v_and_b32_e32 v115, 1, v113
	v_lshlrev_b32_e32 v117, 30, v113
	v_lshlrev_b32_e32 v129, 29, v113
	;; [unrolled: 1-line block ×4, first 2 shown]
	v_add_co_u32 v115, s20, v115, -1
	v_cndmask_b32_e64 v132, 0, 1, s20
	v_not_b32_e32 v145, v117
	v_cmp_gt_i32_e64 s21, 0, v117
	v_not_b32_e32 v117, v129
	v_lshlrev_b32_e32 v135, 26, v113
	v_cmp_ne_u32_e64 s20, 0, v132
	v_ashrrev_i32_e32 v145, 31, v145
	v_lshlrev_b32_e32 v144, 25, v113
	v_ashrrev_i32_e32 v117, 31, v117
	v_lshlrev_b32_e32 v132, 24, v113
	v_xor_b32_e32 v115, s20, v115
	v_cmp_gt_i32_e64 s20, 0, v129
	v_not_b32_e32 v129, v131
	v_xor_b32_e32 v145, s21, v145
	v_cmp_gt_i32_e64 s21, 0, v131
	v_and_b32_e32 v115, exec_lo, v115
	v_not_b32_e32 v131, v133
	v_ashrrev_i32_e32 v129, 31, v129
	v_xor_b32_e32 v117, s20, v117
	v_cmp_gt_i32_e64 s20, 0, v133
	v_and_b32_e32 v115, v115, v145
	v_not_b32_e32 v133, v135
	v_ashrrev_i32_e32 v131, 31, v131
	v_xor_b32_e32 v129, s21, v129
	v_cmp_gt_i32_e64 s21, 0, v135
	v_and_b32_e32 v115, v115, v117
	;; [unrolled: 5-line block ×3, first 2 shown]
	v_not_b32_e32 v129, v132
	v_ashrrev_i32_e32 v117, 31, v117
	v_xor_b32_e32 v133, s21, v133
	v_lshl_add_u32 v113, v113, 3, v208
	v_and_b32_e32 v115, v115, v131
	v_cmp_gt_i32_e64 s21, 0, v132
	v_ashrrev_i32_e32 v129, 31, v129
	v_xor_b32_e32 v117, s20, v117
	v_lshl_add_u32 v131, v113, 2, v12
	v_and_b32_e32 v115, v115, v133
	v_xor_b32_e32 v113, s21, v129
	ds_read_b32 v166, v131 offset:32
	v_and_b32_e32 v115, v115, v117
	v_add_nc_u32_e32 v132, 32, v131
	; wave barrier
	v_and_b32_e32 v113, v115, v113
	v_mbcnt_lo_u32_b32 v167, v113, 0
	v_cmp_ne_u32_e64 s21, 0, v113
	v_cmp_eq_u32_e64 s20, 0, v167
	s_and_b32 s21, s21, s20
	s_and_saveexec_b32 s20, s21
	s_cbranch_execz .LBB603_82
; %bb.81:                               ;   in Loop: Header=BB603_56 Depth=1
	s_waitcnt lgkmcnt(0)
	v_bcnt_u32_b32 v113, v113, v166
	ds_write_b32 v132, v113
.LBB603_82:                             ;   in Loop: Header=BB603_56 Depth=1
	s_or_b32 exec_lo, exec_lo, s20
	v_lshrrev_b32_e32 v113, v10, v78
	; wave barrier
	v_and_b32_e32 v113, v113, v70
	v_and_b32_e32 v115, 1, v113
	v_lshlrev_b32_e32 v117, 30, v113
	v_lshlrev_b32_e32 v129, 29, v113
	;; [unrolled: 1-line block ×4, first 2 shown]
	v_add_co_u32 v115, s20, v115, -1
	v_cndmask_b32_e64 v133, 0, 1, s20
	v_not_b32_e32 v147, v117
	v_cmp_gt_i32_e64 s21, 0, v117
	v_not_b32_e32 v117, v129
	v_lshlrev_b32_e32 v144, 26, v113
	v_cmp_ne_u32_e64 s20, 0, v133
	v_ashrrev_i32_e32 v147, 31, v147
	v_lshlrev_b32_e32 v145, 25, v113
	v_ashrrev_i32_e32 v117, 31, v117
	v_lshlrev_b32_e32 v133, 24, v113
	v_xor_b32_e32 v115, s20, v115
	v_cmp_gt_i32_e64 s20, 0, v129
	v_not_b32_e32 v129, v131
	v_xor_b32_e32 v147, s21, v147
	v_cmp_gt_i32_e64 s21, 0, v131
	v_and_b32_e32 v115, exec_lo, v115
	v_not_b32_e32 v131, v135
	v_ashrrev_i32_e32 v129, 31, v129
	v_xor_b32_e32 v117, s20, v117
	v_cmp_gt_i32_e64 s20, 0, v135
	v_and_b32_e32 v115, v115, v147
	v_not_b32_e32 v135, v144
	v_ashrrev_i32_e32 v131, 31, v131
	v_xor_b32_e32 v129, s21, v129
	v_cmp_gt_i32_e64 s21, 0, v144
	v_and_b32_e32 v115, v115, v117
	;; [unrolled: 5-line block ×3, first 2 shown]
	v_not_b32_e32 v129, v133
	v_ashrrev_i32_e32 v117, 31, v117
	v_xor_b32_e32 v135, s21, v135
	v_lshl_add_u32 v113, v113, 3, v208
	v_and_b32_e32 v115, v115, v131
	v_cmp_gt_i32_e64 s21, 0, v133
	v_ashrrev_i32_e32 v129, 31, v129
	v_xor_b32_e32 v117, s20, v117
	v_lshl_add_u32 v131, v113, 2, v12
	v_and_b32_e32 v115, v115, v135
	v_xor_b32_e32 v113, s21, v129
	ds_read_b32 v176, v131 offset:32
	v_and_b32_e32 v115, v115, v117
	v_add_nc_u32_e32 v144, 32, v131
	; wave barrier
	v_and_b32_e32 v113, v115, v113
	v_mbcnt_lo_u32_b32 v177, v113, 0
	v_cmp_ne_u32_e64 s21, 0, v113
	v_cmp_eq_u32_e64 s20, 0, v177
	s_and_b32 s21, s21, s20
	s_and_saveexec_b32 s20, s21
	s_cbranch_execz .LBB603_84
; %bb.83:                               ;   in Loop: Header=BB603_56 Depth=1
	s_waitcnt lgkmcnt(0)
	v_bcnt_u32_b32 v113, v113, v176
	ds_write_b32 v144, v113
.LBB603_84:                             ;   in Loop: Header=BB603_56 Depth=1
	s_or_b32 exec_lo, exec_lo, s20
	v_lshrrev_b32_e32 v113, v10, v79
	; wave barrier
	v_and_b32_e32 v113, v113, v70
	v_and_b32_e32 v115, 1, v113
	v_lshlrev_b32_e32 v117, 30, v113
	v_lshlrev_b32_e32 v129, 29, v113
	;; [unrolled: 1-line block ×4, first 2 shown]
	v_add_co_u32 v115, s20, v115, -1
	v_cndmask_b32_e64 v133, 0, 1, s20
	v_not_b32_e32 v149, v117
	v_cmp_gt_i32_e64 s21, 0, v117
	v_not_b32_e32 v117, v129
	v_lshlrev_b32_e32 v145, 26, v113
	v_cmp_ne_u32_e64 s20, 0, v133
	v_ashrrev_i32_e32 v149, 31, v149
	v_lshlrev_b32_e32 v147, 25, v113
	v_ashrrev_i32_e32 v117, 31, v117
	v_lshlrev_b32_e32 v133, 24, v113
	v_xor_b32_e32 v115, s20, v115
	v_cmp_gt_i32_e64 s20, 0, v129
	v_not_b32_e32 v129, v131
	v_xor_b32_e32 v149, s21, v149
	v_cmp_gt_i32_e64 s21, 0, v131
	v_and_b32_e32 v115, exec_lo, v115
	v_not_b32_e32 v131, v135
	v_ashrrev_i32_e32 v129, 31, v129
	v_xor_b32_e32 v117, s20, v117
	v_cmp_gt_i32_e64 s20, 0, v135
	v_and_b32_e32 v115, v115, v149
	v_not_b32_e32 v135, v145
	v_ashrrev_i32_e32 v131, 31, v131
	v_xor_b32_e32 v129, s21, v129
	v_cmp_gt_i32_e64 s21, 0, v145
	v_and_b32_e32 v115, v115, v117
	;; [unrolled: 5-line block ×3, first 2 shown]
	v_not_b32_e32 v129, v133
	v_ashrrev_i32_e32 v117, 31, v117
	v_xor_b32_e32 v135, s21, v135
	v_lshl_add_u32 v113, v113, 3, v208
	v_and_b32_e32 v115, v115, v131
	v_cmp_gt_i32_e64 s21, 0, v133
	v_ashrrev_i32_e32 v129, 31, v129
	v_xor_b32_e32 v117, s20, v117
	v_lshl_add_u32 v131, v113, 2, v12
	v_and_b32_e32 v115, v115, v135
	v_xor_b32_e32 v113, s21, v129
	ds_read_b32 v178, v131 offset:32
	v_and_b32_e32 v115, v115, v117
	v_add_nc_u32_e32 v163, 32, v131
	; wave barrier
	v_and_b32_e32 v113, v115, v113
	v_mbcnt_lo_u32_b32 v179, v113, 0
	v_cmp_ne_u32_e64 s21, 0, v113
	v_cmp_eq_u32_e64 s20, 0, v179
	s_and_b32 s21, s21, s20
	s_and_saveexec_b32 s20, s21
	s_cbranch_execz .LBB603_86
; %bb.85:                               ;   in Loop: Header=BB603_56 Depth=1
	s_waitcnt lgkmcnt(0)
	v_bcnt_u32_b32 v113, v113, v178
	ds_write_b32 v163, v113
.LBB603_86:                             ;   in Loop: Header=BB603_56 Depth=1
	s_or_b32 exec_lo, exec_lo, s20
	v_lshrrev_b32_e32 v113, v10, v88
	; wave barrier
	v_and_b32_e32 v113, v113, v70
	v_and_b32_e32 v115, 1, v113
	v_lshlrev_b32_e32 v117, 30, v113
	v_lshlrev_b32_e32 v129, 29, v113
	;; [unrolled: 1-line block ×4, first 2 shown]
	v_add_co_u32 v115, s20, v115, -1
	v_cndmask_b32_e64 v133, 0, 1, s20
	v_not_b32_e32 v149, v117
	v_cmp_gt_i32_e64 s21, 0, v117
	v_not_b32_e32 v117, v129
	v_lshlrev_b32_e32 v145, 26, v113
	v_cmp_ne_u32_e64 s20, 0, v133
	v_ashrrev_i32_e32 v149, 31, v149
	v_lshlrev_b32_e32 v147, 25, v113
	v_ashrrev_i32_e32 v117, 31, v117
	v_lshlrev_b32_e32 v133, 24, v113
	v_xor_b32_e32 v115, s20, v115
	v_cmp_gt_i32_e64 s20, 0, v129
	v_not_b32_e32 v129, v131
	v_xor_b32_e32 v149, s21, v149
	v_cmp_gt_i32_e64 s21, 0, v131
	v_and_b32_e32 v115, exec_lo, v115
	v_not_b32_e32 v131, v135
	v_ashrrev_i32_e32 v129, 31, v129
	v_xor_b32_e32 v117, s20, v117
	v_cmp_gt_i32_e64 s20, 0, v135
	v_and_b32_e32 v115, v115, v149
	v_not_b32_e32 v135, v145
	v_ashrrev_i32_e32 v131, 31, v131
	v_xor_b32_e32 v129, s21, v129
	v_cmp_gt_i32_e64 s21, 0, v145
	v_and_b32_e32 v115, v115, v117
	;; [unrolled: 5-line block ×3, first 2 shown]
	v_not_b32_e32 v129, v133
	v_ashrrev_i32_e32 v117, 31, v117
	v_xor_b32_e32 v135, s21, v135
	v_lshl_add_u32 v113, v113, 3, v208
	v_and_b32_e32 v115, v115, v131
	v_cmp_gt_i32_e64 s21, 0, v133
	v_ashrrev_i32_e32 v129, 31, v129
	v_xor_b32_e32 v117, s20, v117
	v_lshl_add_u32 v131, v113, 2, v12
	v_and_b32_e32 v115, v115, v135
	v_xor_b32_e32 v113, s21, v129
	ds_read_b32 v180, v131 offset:32
	v_and_b32_e32 v115, v115, v117
	v_add_nc_u32_e32 v164, 32, v131
	; wave barrier
	v_and_b32_e32 v113, v115, v113
	v_mbcnt_lo_u32_b32 v182, v113, 0
	v_cmp_ne_u32_e64 s21, 0, v113
	v_cmp_eq_u32_e64 s20, 0, v182
	s_and_b32 s21, s21, s20
	s_and_saveexec_b32 s20, s21
	s_cbranch_execz .LBB603_88
; %bb.87:                               ;   in Loop: Header=BB603_56 Depth=1
	s_waitcnt lgkmcnt(0)
	v_bcnt_u32_b32 v113, v113, v180
	ds_write_b32 v164, v113
.LBB603_88:                             ;   in Loop: Header=BB603_56 Depth=1
	s_or_b32 exec_lo, exec_lo, s20
	v_lshrrev_b32_e32 v113, v10, v89
	; wave barrier
	v_and_b32_e32 v70, v113, v70
	v_and_b32_e32 v113, 1, v70
	v_lshlrev_b32_e32 v115, 30, v70
	v_lshlrev_b32_e32 v117, 29, v70
	;; [unrolled: 1-line block ×4, first 2 shown]
	v_add_co_u32 v113, s20, v113, -1
	v_cndmask_b32_e64 v131, 0, 1, s20
	v_not_b32_e32 v147, v115
	v_cmp_gt_i32_e64 s21, 0, v115
	v_not_b32_e32 v115, v117
	v_lshlrev_b32_e32 v135, 26, v70
	v_cmp_ne_u32_e64 s20, 0, v131
	v_ashrrev_i32_e32 v147, 31, v147
	v_lshlrev_b32_e32 v145, 25, v70
	v_ashrrev_i32_e32 v115, 31, v115
	v_lshlrev_b32_e32 v131, 24, v70
	v_xor_b32_e32 v113, s20, v113
	v_cmp_gt_i32_e64 s20, 0, v117
	v_not_b32_e32 v117, v129
	v_xor_b32_e32 v147, s21, v147
	v_cmp_gt_i32_e64 s21, 0, v129
	v_and_b32_e32 v113, exec_lo, v113
	v_not_b32_e32 v129, v133
	v_ashrrev_i32_e32 v117, 31, v117
	v_xor_b32_e32 v115, s20, v115
	v_cmp_gt_i32_e64 s20, 0, v133
	v_and_b32_e32 v113, v113, v147
	v_not_b32_e32 v133, v135
	v_ashrrev_i32_e32 v129, 31, v129
	v_xor_b32_e32 v117, s21, v117
	v_cmp_gt_i32_e64 s21, 0, v135
	v_and_b32_e32 v113, v113, v115
	v_not_b32_e32 v115, v145
	v_ashrrev_i32_e32 v133, 31, v133
	v_xor_b32_e32 v129, s20, v129
	v_cmp_gt_i32_e64 s20, 0, v145
	v_and_b32_e32 v113, v113, v117
	v_not_b32_e32 v117, v131
	v_ashrrev_i32_e32 v115, 31, v115
	v_xor_b32_e32 v133, s21, v133
	v_lshl_add_u32 v70, v70, 3, v208
	v_and_b32_e32 v113, v113, v129
	v_cmp_gt_i32_e64 s21, 0, v131
	v_ashrrev_i32_e32 v117, 31, v117
	v_xor_b32_e32 v115, s20, v115
	v_lshl_add_u32 v129, v70, 2, v12
	v_and_b32_e32 v113, v113, v133
	v_xor_b32_e32 v117, s21, v117
	ds_read_b32 v70, v129 offset:32
	v_and_b32_e32 v113, v113, v115
	v_add_nc_u32_e32 v165, 32, v129
	; wave barrier
	v_and_b32_e32 v113, v113, v117
	v_mbcnt_lo_u32_b32 v183, v113, 0
	v_cmp_ne_u32_e64 s21, 0, v113
	v_cmp_eq_u32_e64 s20, 0, v183
	s_and_b32 s21, s21, s20
	s_and_saveexec_b32 s20, s21
	s_cbranch_execz .LBB603_90
; %bb.89:                               ;   in Loop: Header=BB603_56 Depth=1
	s_waitcnt lgkmcnt(0)
	v_bcnt_u32_b32 v113, v113, v70
	ds_write_b32 v165, v113
.LBB603_90:                             ;   in Loop: Header=BB603_56 Depth=1
	s_or_b32 exec_lo, exec_lo, s20
	; wave barrier
	s_waitcnt lgkmcnt(0)
	s_barrier
	buffer_gl0_inv
	ds_read_b32 v115, v49
	ds_read_b32 v117, v151
	ds_read_b32 v129, v194
	ds_read_b32 v113, v195
	ds_read_b32 v133, v196
	ds_read_b32 v149, v197
	ds_read_b32 v181, v198
	ds_read_b32 v131, v199
	s_waitcnt lgkmcnt(6)
	v_add_nc_u32_e32 v135, v117, v115
	s_waitcnt lgkmcnt(4)
	v_add3_u32 v135, v135, v129, v113
	s_waitcnt lgkmcnt(2)
	v_add3_u32 v135, v135, v133, v149
	;; [unrolled: 2-line block ×3, first 2 shown]
	v_mov_b32_dpp v135, v131 row_shr:1 row_mask:0xf bank_mask:0xf
	v_cndmask_b32_e64 v135, v135, 0, vcc_lo
	v_add_nc_u32_e32 v131, v135, v131
	v_mov_b32_dpp v135, v131 row_shr:2 row_mask:0xf bank_mask:0xf
	v_cndmask_b32_e64 v135, 0, v135, s4
	v_add_nc_u32_e32 v131, v131, v135
	v_mov_b32_dpp v135, v131 row_shr:4 row_mask:0xf bank_mask:0xf
	v_cndmask_b32_e64 v135, 0, v135, s5
	;; [unrolled: 3-line block ×3, first 2 shown]
	v_add_nc_u32_e32 v131, v131, v135
	ds_swizzle_b32 v135, v131 offset:swizzle(BROADCAST,32,15)
	s_waitcnt lgkmcnt(0)
	v_cndmask_b32_e64 v135, v135, 0, s10
	v_add_nc_u32_e32 v131, v131, v135
	s_and_saveexec_b32 s20, s11
; %bb.91:                               ;   in Loop: Header=BB603_56 Depth=1
	ds_write_b32 v211, v131
; %bb.92:                               ;   in Loop: Header=BB603_56 Depth=1
	s_or_b32 exec_lo, exec_lo, s20
	s_waitcnt lgkmcnt(0)
	s_barrier
	buffer_gl0_inv
	s_and_saveexec_b32 s20, s14
	s_cbranch_execz .LBB603_94
; %bb.93:                               ;   in Loop: Header=BB603_56 Depth=1
	ds_read_b32 v135, v209
	s_waitcnt lgkmcnt(0)
	v_mov_b32_dpp v145, v135 row_shr:1 row_mask:0xf bank_mask:0xf
	v_cndmask_b32_e64 v145, v145, 0, s17
	v_add_nc_u32_e32 v135, v145, v135
	v_mov_b32_dpp v145, v135 row_shr:2 row_mask:0xf bank_mask:0xf
	v_cndmask_b32_e64 v145, 0, v145, s18
	v_add_nc_u32_e32 v135, v135, v145
	;; [unrolled: 3-line block ×3, first 2 shown]
	ds_write_b32 v209, v135
.LBB603_94:                             ;   in Loop: Header=BB603_56 Depth=1
	s_or_b32 exec_lo, exec_lo, s20
	v_mov_b32_e32 v135, 0
	s_waitcnt lgkmcnt(0)
	s_barrier
	buffer_gl0_inv
	s_and_saveexec_b32 s20, s15
; %bb.95:                               ;   in Loop: Header=BB603_56 Depth=1
	v_add_nc_u32_e32 v135, -4, v211
	ds_read_b32 v135, v135
; %bb.96:                               ;   in Loop: Header=BB603_56 Depth=1
	s_or_b32 exec_lo, exec_lo, s20
	s_waitcnt lgkmcnt(0)
	v_add_nc_u32_e32 v131, v135, v131
	v_mov_b32_e32 v145, v5
	v_mov_b32_e32 v147, v5
	v_add_nc_u32_e32 v10, 8, v10
	s_mov_b32 s24, -1
	ds_bpermute_b32 v131, v210, v131
	v_cmp_lt_u32_e64 s20, v10, v11
	s_waitcnt lgkmcnt(0)
	v_cndmask_b32_e64 v131, v131, v135, s7
	v_mov_b32_e32 v135, v5
	v_cndmask_b32_e64 v192, v131, 0, s16
	v_mov_b32_e32 v131, v5
	v_add_nc_u32_e32 v193, v192, v115
	v_mov_b32_e32 v115, v5
	v_add_nc_u32_e32 v90, v193, v117
	v_mov_b32_e32 v117, v5
	ds_write_b32 v49, v192
	ds_write_b32 v151, v193
	;; [unrolled: 1-line block ×3, first 2 shown]
	v_add_nc_u32_e32 v91, v90, v129
	v_mov_b32_e32 v129, v5
	v_add_nc_u32_e32 v92, v91, v113
	v_mov_b32_e32 v113, v5
	;; [unrolled: 2-line block ×4, first 2 shown]
	v_add_nc_u32_e32 v181, v94, v181
	ds_write_b32 v195, v91
	ds_write_b32 v196, v92
	;; [unrolled: 1-line block ×5, first 2 shown]
	s_waitcnt lgkmcnt(0)
	s_barrier
	buffer_gl0_inv
	ds_read_b32 v66, v66
	ds_read_b32 v69, v69
	;; [unrolled: 1-line block ×17, first 2 shown]
	v_mov_b32_e32 v163, v5
	v_mov_b32_e32 v165, v5
	s_waitcnt lgkmcnt(0)
	v_add_nc_u32_e32 v4, v66, v4
	v_add3_u32 v114, v68, v67, v69
	v_add3_u32 v112, v80, v71, v81
	;; [unrolled: 1-line block ×4, first 2 shown]
	v_lshlrev_b64 v[66:67], 2, v[4:5]
	v_lshlrev_b64 v[67:68], 2, v[114:115]
	;; [unrolled: 1-line block ×3, first 2 shown]
	v_add3_u32 v130, v97, v96, v98
	v_add3_u32 v132, v103, v102, v181
	;; [unrolled: 1-line block ×8, first 2 shown]
	v_mov_b32_e32 v182, v5
	v_add3_u32 v146, v148, v146, v193
	v_add3_u32 v166, v183, v70, v104
	v_lshlrev_b64 v[69:70], 2, v[116:117]
	v_add_co_u32 v127, null, v12, v66
	v_add_co_u32 v126, null, v12, v67
	v_lshlrev_b64 v[66:67], 2, v[162:163]
	v_add3_u32 v148, v160, v150, v90
	v_add3_u32 v179, v179, v178, v94
	v_lshlrev_b64 v[70:71], 2, v[128:129]
	v_lshlrev_b64 v[80:81], 2, v[130:131]
	v_add_co_u32 v125, null, v12, v68
	v_lshlrev_b64 v[67:68], 2, v[181:182]
	v_mov_b32_e32 v180, v5
	v_lshlrev_b64 v[81:82], 2, v[144:145]
	v_mov_b32_e32 v177, v5
	v_mov_b32_e32 v167, v5
	v_lshlrev_b64 v[82:83], 2, v[132:133]
	v_lshlrev_b64 v[83:84], 2, v[134:135]
	;; [unrolled: 1-line block ×4, first 2 shown]
	v_add_co_u32 v124, null, v12, v69
	v_lshlrev_b64 v[68:69], 2, v[179:180]
	v_lshlrev_b64 v[86:87], 2, v[164:165]
	v_add_co_u32 v121, null, v12, v70
	v_add_co_u32 v108, null, v12, v66
	v_lshlrev_b64 v[69:70], 2, v[176:177]
	v_add_co_u32 v122, null, v12, v67
	v_lshlrev_b64 v[66:67], 2, v[166:167]
	v_add_co_u32 v111, null, v12, v80
	v_add_co_u32 v109, null, v12, v81
	;; [unrolled: 1-line block ×10, first 2 shown]
                                        ; implicit-def: $vgpr68_vgpr69
                                        ; implicit-def: $vgpr80_vgpr81
                                        ; implicit-def: $vgpr66_vgpr67
                                        ; implicit-def: $vgpr70_vgpr71
                                        ; implicit-def: $vgpr82_vgpr83
                                        ; implicit-def: $vgpr86_vgpr87
                                        ; implicit-def: $vgpr84_vgpr85
                                        ; implicit-def: $vgpr96_vgpr97
                                        ; implicit-def: $vgpr98_vgpr99
                                        ; implicit-def: $vgpr100_vgpr101
                                        ; implicit-def: $vgpr102_vgpr103
                                        ; implicit-def: $vgpr117_vgpr118
                                        ; implicit-def: $vgpr149_vgpr150
                                        ; implicit-def: $vgpr160_vgpr161
                                        ; implicit-def: $vgpr177_vgpr178
                                        ; implicit-def: $vgpr182_vgpr183
                                        ; implicit-def: $vgpr192_vgpr193
                                        ; implicit-def: $vgpr115
                                        ; implicit-def: $vgpr113
                                        ; implicit-def: $vgpr131
                                        ; implicit-def: $vgpr129
                                        ; implicit-def: $vgpr135
                                        ; implicit-def: $vgpr133
                                        ; implicit-def: $vgpr147
                                        ; implicit-def: $vgpr145
                                        ; implicit-def: $vgpr165
                                        ; implicit-def: $vgpr163
                                        ; implicit-def: $vgpr180
                                        ; implicit-def: $vgpr167
                                        ; implicit-def: $vgpr91
                                        ; implicit-def: $vgpr90
                                        ; implicit-def: $vgpr93
                                        ; implicit-def: $vgpr92
                                        ; implicit-def: $vgpr94
	s_and_saveexec_b32 s21, s20
	s_cbranch_execz .LBB603_55
; %bb.97:                               ;   in Loop: Header=BB603_56 Depth=1
	v_add_nc_u32_e32 v66, 0x80, v212
	s_barrier
	buffer_gl0_inv
	ds_write_b32 v127, v57
	ds_write_b32 v126, v60
	;; [unrolled: 1-line block ×17, first 2 shown]
	s_waitcnt lgkmcnt(0)
	s_barrier
	buffer_gl0_inv
	ds_read_b32 v115, v212
	ds_read_b32 v113, v66
	v_add_nc_u32_e32 v66, 0x100, v212
	v_add_nc_u32_e32 v67, 0x180, v212
	;; [unrolled: 1-line block ×5, first 2 shown]
	ds_read_b32 v131, v66
	ds_read_b32 v129, v67
	;; [unrolled: 1-line block ×15, first 2 shown]
	v_lshl_add_u32 v66, v4, 2, v127
	v_lshl_add_u32 v67, v114, 2, v126
	s_waitcnt lgkmcnt(0)
	s_barrier
	buffer_gl0_inv
	ds_write_b64 v66, v[13:14]
	ds_write_b64 v67, v[8:9]
	v_lshl_add_u32 v66, v112, 2, v125
	v_lshl_add_u32 v67, v116, 2, v124
	v_lshl_add_u32 v68, v128, 2, v121
	v_lshl_add_u32 v69, v130, 2, v111
	v_lshl_add_u32 v70, v144, 2, v109
	ds_write_b64 v66, v[32:33]
	ds_write_b64 v67, v[30:31]
	ds_write_b64 v68, v[28:29]
	ds_write_b64 v69, v[26:27]
	ds_write_b64 v70, v[64:65]
	v_lshl_add_u32 v66, v132, 2, v106
	v_lshl_add_u32 v67, v134, 2, v104
	v_lshl_add_u32 v68, v146, 2, v95
	v_lshl_add_u32 v69, v148, 2, v107
	v_lshl_add_u32 v70, v164, 2, v105
	ds_write_b64 v66, v[38:39]
	ds_write_b64 v67, v[34:35]
	ds_write_b64 v68, v[54:55]
	;; [unrolled: 10-line block ×3, first 2 shown]
	ds_write_b64 v69, v[17:18]
	ds_write_b64 v70, v[15:16]
	s_waitcnt lgkmcnt(0)
	s_barrier
	buffer_gl0_inv
	ds_read_b64 v[68:69], v227
	ds_read_b64 v[80:81], v240
	;; [unrolled: 1-line block ×17, first 2 shown]
	v_add_nc_u32_e32 v56, -8, v56
	s_xor_b32 s24, exec_lo, -1
	s_waitcnt lgkmcnt(0)
	s_barrier
	buffer_gl0_inv
	s_branch .LBB603_55
.LBB603_98:
	s_or_b32 exec_lo, exec_lo, s23
	v_lshl_add_u32 v4, v4, 2, v127
	v_lshl_add_u32 v5, v114, 2, v126
	s_barrier
	buffer_gl0_inv
	ds_write_b32 v127, v57
	ds_write_b32 v126, v60
	;; [unrolled: 1-line block ×17, first 2 shown]
	s_waitcnt lgkmcnt(0)
	s_barrier
	buffer_gl0_inv
	ds_read2st64_b32 v[96:97], v209 offset1:4
	ds_read2st64_b32 v[86:87], v209 offset0:8 offset1:12
	ds_read2st64_b32 v[84:85], v209 offset0:16 offset1:20
	;; [unrolled: 1-line block ×7, first 2 shown]
	ds_read_b32 v98, v209 offset:16384
	s_waitcnt lgkmcnt(0)
	s_barrier
	buffer_gl0_inv
	ds_write_b64 v4, v[13:14]
	v_lshl_add_u32 v4, v112, 2, v125
	ds_write_b64 v5, v[8:9]
	v_lshl_add_u32 v5, v116, 2, v124
	v_lshl_add_u32 v8, v128, 2, v121
	;; [unrolled: 1-line block ×3, first 2 shown]
	ds_write_b64 v4, v[32:33]
	v_lshl_add_u32 v4, v144, 2, v109
	ds_write_b64 v5, v[30:31]
	ds_write_b64 v8, v[28:29]
	;; [unrolled: 1-line block ×3, first 2 shown]
	v_lshl_add_u32 v5, v132, 2, v106
	v_lshl_add_u32 v8, v146, 2, v95
	;; [unrolled: 1-line block ×3, first 2 shown]
	ds_write_b64 v4, v[64:65]
	v_lshl_add_u32 v4, v134, 2, v104
	ds_write_b64 v5, v[38:39]
	v_lshl_add_u32 v5, v164, 2, v105
	ds_write_b64 v4, v[34:35]
	ds_write_b64 v8, v[54:55]
	;; [unrolled: 1-line block ×3, first 2 shown]
	v_lshl_add_u32 v4, v162, 2, v108
	ds_write_b64 v5, v[36:37]
	v_lshl_add_u32 v5, v181, 2, v122
	v_lshl_add_u32 v8, v179, 2, v123
	;; [unrolled: 1-line block ×3, first 2 shown]
	ds_write_b64 v4, v[24:25]
	v_lshl_add_u32 v4, v166, 2, v110
	ds_write_b64 v5, v[22:23]
	ds_write_b64 v8, v[19:20]
	;; [unrolled: 1-line block ×3, first 2 shown]
	v_lshl_add_u32 v5, v21, 3, v12
	v_mov_b32_e32 v49, 0
	v_add_co_u32 v2, vcc_lo, v2, v50
	ds_write_b64 v4, v[15:16]
	s_waitcnt lgkmcnt(0)
	s_barrier
	buffer_gl0_inv
	ds_read2st64_b64 v[36:39], v5 offset1:4
	ds_read2st64_b64 v[32:35], v5 offset0:8 offset1:12
	ds_read2st64_b64 v[28:31], v5 offset0:16 offset1:20
	;; [unrolled: 1-line block ×7, first 2 shown]
	ds_read_b64 v[4:5], v5 offset:32768
	v_lshlrev_b64 v[52:53], 2, v[48:49]
	v_add_co_ci_u32_e64 v3, null, v3, v51, vcc_lo
	s_waitcnt lgkmcnt(0)
	s_barrier
	buffer_gl0_inv
	v_add_co_u32 v2, vcc_lo, v2, v52
	v_add_co_ci_u32_e64 v3, null, v3, v53, vcc_lo
	v_cmp_lt_u32_e32 vcc_lo, v48, v119
	s_and_saveexec_b32 s4, vcc_lo
	s_cbranch_execz .LBB603_100
; %bb.99:
	v_xor_b32_e32 v50, 0x80000000, v96
	flat_store_dword v[2:3], v50
.LBB603_100:
	s_or_b32 exec_lo, exec_lo, s4
	v_add_nc_u32_e32 v50, 0x100, v48
	v_cmp_lt_u32_e64 s5, v50, v119
	s_and_saveexec_b32 s4, s5
	s_cbranch_execz .LBB603_102
; %bb.101:
	v_xor_b32_e32 v50, 0x80000000, v97
	flat_store_dword v[2:3], v50 offset:1024
.LBB603_102:
	s_or_b32 exec_lo, exec_lo, s4
	v_add_nc_u32_e32 v50, 0x200, v48
	v_cmp_lt_u32_e64 s4, v50, v119
	s_and_saveexec_b32 s7, s4
	s_cbranch_execz .LBB603_104
; %bb.103:
	v_add_co_u32 v50, s6, 0x800, v2
	v_xor_b32_e32 v52, 0x80000000, v86
	v_add_co_ci_u32_e64 v51, null, 0, v3, s6
	flat_store_dword v[50:51], v52
.LBB603_104:
	s_or_b32 exec_lo, exec_lo, s7
	v_add_nc_u32_e32 v50, 0x300, v48
	v_cmp_lt_u32_e64 s6, v50, v119
	s_and_saveexec_b32 s10, s6
	s_cbranch_execz .LBB603_106
; %bb.105:
	v_add_co_u32 v50, s7, 0x800, v2
	v_xor_b32_e32 v52, 0x80000000, v87
	v_add_co_ci_u32_e64 v51, null, 0, v3, s7
	flat_store_dword v[50:51], v52 offset:1024
.LBB603_106:
	s_or_b32 exec_lo, exec_lo, s10
	v_add_nc_u32_e32 v50, 0x400, v48
	v_cmp_lt_u32_e64 s7, v50, v119
	s_and_saveexec_b32 s11, s7
	s_cbranch_execz .LBB603_108
; %bb.107:
	v_add_co_u32 v50, s10, 0x1000, v2
	v_xor_b32_e32 v52, 0x80000000, v84
	v_add_co_ci_u32_e64 v51, null, 0, v3, s10
	flat_store_dword v[50:51], v52
.LBB603_108:
	s_or_b32 exec_lo, exec_lo, s11
	v_add_nc_u32_e32 v50, 0x500, v48
	v_cmp_lt_u32_e64 s10, v50, v119
	s_and_saveexec_b32 s14, s10
	s_cbranch_execz .LBB603_110
; %bb.109:
	v_add_co_u32 v50, s11, 0x1000, v2
	v_xor_b32_e32 v52, 0x80000000, v85
	v_add_co_ci_u32_e64 v51, null, 0, v3, s11
	flat_store_dword v[50:51], v52 offset:1024
.LBB603_110:
	;; [unrolled: 22-line block ×7, first 2 shown]
	s_or_b32 exec_lo, exec_lo, s24
	v_add_nc_u32_e32 v50, 0x1000, v48
	v_cmp_lt_u32_e64 s23, v50, v119
	s_and_saveexec_b32 s27, s23
	s_cbranch_execz .LBB603_132
; %bb.131:
	v_add_co_u32 v2, s24, 0x4000, v2
	v_xor_b32_e32 v50, 0x80000000, v98
	v_add_co_ci_u32_e64 v3, null, 0, v3, s24
	flat_store_dword v[2:3], v50
.LBB603_132:
	s_or_b32 exec_lo, exec_lo, s27
	v_lshlrev_b64 v[2:3], 3, v[48:49]
	v_add_co_u32 v0, s24, v6, v0
	v_add_co_ci_u32_e64 v1, null, v7, v1, s24
	v_add_co_u32 v0, s24, v0, v2
	v_add_co_ci_u32_e64 v1, null, v1, v3, s24
	s_and_saveexec_b32 s24, vcc_lo
	s_cbranch_execnz .LBB603_220
; %bb.133:
	s_or_b32 exec_lo, exec_lo, s24
	s_and_saveexec_b32 s24, s5
	s_cbranch_execnz .LBB603_221
.LBB603_134:
	s_or_b32 exec_lo, exec_lo, s24
	s_and_saveexec_b32 s5, s4
	s_cbranch_execnz .LBB603_222
.LBB603_135:
	s_or_b32 exec_lo, exec_lo, s5
	s_and_saveexec_b32 s4, s6
	s_cbranch_execnz .LBB603_223
.LBB603_136:
	s_or_b32 exec_lo, exec_lo, s4
	s_and_saveexec_b32 s4, s7
	s_cbranch_execnz .LBB603_224
.LBB603_137:
	s_or_b32 exec_lo, exec_lo, s4
	s_and_saveexec_b32 s4, s10
	s_cbranch_execnz .LBB603_225
.LBB603_138:
	s_or_b32 exec_lo, exec_lo, s4
	s_and_saveexec_b32 s4, s11
	s_cbranch_execnz .LBB603_226
.LBB603_139:
	s_or_b32 exec_lo, exec_lo, s4
	s_and_saveexec_b32 s4, s14
	s_cbranch_execnz .LBB603_227
.LBB603_140:
	s_or_b32 exec_lo, exec_lo, s4
	s_and_saveexec_b32 s4, s15
	s_cbranch_execnz .LBB603_228
.LBB603_141:
	s_or_b32 exec_lo, exec_lo, s4
	s_and_saveexec_b32 s4, s16
	s_cbranch_execnz .LBB603_229
.LBB603_142:
	s_or_b32 exec_lo, exec_lo, s4
	s_and_saveexec_b32 s4, s17
	s_cbranch_execnz .LBB603_230
.LBB603_143:
	s_or_b32 exec_lo, exec_lo, s4
	s_and_saveexec_b32 s4, s18
	s_cbranch_execnz .LBB603_231
.LBB603_144:
	s_or_b32 exec_lo, exec_lo, s4
	s_and_saveexec_b32 s4, s19
	s_cbranch_execnz .LBB603_232
.LBB603_145:
	s_or_b32 exec_lo, exec_lo, s4
	s_and_saveexec_b32 s4, s20
	s_cbranch_execnz .LBB603_233
.LBB603_146:
	s_or_b32 exec_lo, exec_lo, s4
	s_and_saveexec_b32 s4, s21
	s_cbranch_execnz .LBB603_234
.LBB603_147:
	s_or_b32 exec_lo, exec_lo, s4
	s_and_saveexec_b32 s4, s22
	s_cbranch_execnz .LBB603_235
.LBB603_148:
	s_or_b32 exec_lo, exec_lo, s4
	s_and_saveexec_b32 s4, s23
	s_cbranch_execz .LBB603_150
.LBB603_149:
	v_add_co_u32 v0, vcc_lo, 0x8000, v0
	v_add_co_ci_u32_e64 v1, null, 0, v1, vcc_lo
	flat_store_dwordx2 v[0:1], v[4:5]
.LBB603_150:
	s_or_b32 exec_lo, exec_lo, s4
                                        ; implicit-def: $vgpr119
                                        ; implicit-def: $vgpr0
                                        ; implicit-def: $vgpr1
                                        ; implicit-def: $vgpr2
                                        ; implicit-def: $vgpr3
                                        ; implicit-def: $vgpr4
                                        ; implicit-def: $vgpr5
                                        ; implicit-def: $vgpr6
                                        ; implicit-def: $vgpr7
                                        ; implicit-def: $vgpr8
                                        ; implicit-def: $vgpr10
                                        ; implicit-def: $vgpr11
                                        ; implicit-def: $vgpr12
                                        ; implicit-def: $vgpr13
                                        ; implicit-def: $vgpr14
                                        ; implicit-def: $vgpr21
                                        ; implicit-def: $vgpr64
.LBB603_151:
	s_andn2_saveexec_b32 s4, s26
	s_cbranch_execz .LBB603_382
; %bb.152:
	s_mov_b32 s4, exec_lo
	v_cmpx_lt_u32_e32 0x400, v119
	s_xor_b32 s22, exec_lo, s4
	s_cbranch_execz .LBB603_262
; %bb.153:
	s_load_dwordx2 s[4:5], s[8:9], 0x0
	v_mov_b32_e32 v9, 0
	v_lshlrev_b32_e32 v20, 2, v64
	v_lshlrev_b64 v[26:27], 2, v[8:9]
	v_mov_b32_e32 v23, v9
	v_add_co_u32 v28, vcc_lo, v0, v26
	v_add_co_ci_u32_e64 v29, null, v1, v27, vcc_lo
	v_add_co_u32 v20, vcc_lo, v28, v20
	v_add_co_ci_u32_e64 v28, null, 0, v29, vcc_lo
	s_waitcnt lgkmcnt(0)
	s_cmp_lt_u32 s13, s5
	s_cselect_b32 s5, 14, 20
	s_add_u32 s6, s8, s5
	s_addc_u32 s7, s9, 0
	s_cmp_lt_u32 s12, s4
	global_load_ushort v15, v9, s[6:7]
	s_cselect_b32 s4, 12, 18
	s_add_u32 s4, s8, s4
	s_addc_u32 s5, s9, 0
	global_load_ushort v16, v9, s[4:5]
	s_waitcnt vmcnt(1)
	v_mad_u32_u24 v13, v14, v15, v13
	s_waitcnt vmcnt(0)
	v_mad_u64_u32 v[24:25], null, v13, v16, v[21:22]
	v_bfrev_b32_e32 v13, -2
	v_mov_b32_e32 v14, v13
	v_lshlrev_b32_e32 v22, 3, v24
	v_mov_b32_e32 v15, v13
	v_mov_b32_e32 v16, v13
	;; [unrolled: 1-line block ×4, first 2 shown]
	v_and_b32_e32 v22, 0xffffff00, v22
	v_mov_b32_e32 v19, v13
	v_lshlrev_b64 v[0:1], 2, v[22:23]
	v_or_b32_e32 v25, v22, v64
	v_cmp_lt_u32_e32 vcc_lo, v25, v119
	v_add_co_u32 v0, s4, v20, v0
	v_add_co_ci_u32_e64 v1, null, v28, v1, s4
	v_mov_b32_e32 v20, v13
	s_and_saveexec_b32 s4, vcc_lo
	s_cbranch_execz .LBB603_155
; %bb.154:
	flat_load_dword v28, v[0:1]
	v_mov_b32_e32 v29, v13
	v_mov_b32_e32 v30, v13
	;; [unrolled: 1-line block ×7, first 2 shown]
	s_waitcnt vmcnt(0) lgkmcnt(0)
	v_mov_b32_e32 v13, v28
	v_mov_b32_e32 v14, v29
	;; [unrolled: 1-line block ×8, first 2 shown]
.LBB603_155:
	s_or_b32 exec_lo, exec_lo, s4
	v_or_b32_e32 v28, 32, v25
	v_cmp_lt_u32_e64 s4, v28, v119
	s_and_saveexec_b32 s5, s4
	s_cbranch_execz .LBB603_157
; %bb.156:
	flat_load_dword v14, v[0:1] offset:128
.LBB603_157:
	s_or_b32 exec_lo, exec_lo, s5
	v_or_b32_e32 v28, 64, v25
	v_cmp_lt_u32_e64 s5, v28, v119
	s_and_saveexec_b32 s6, s5
	s_cbranch_execz .LBB603_159
; %bb.158:
	flat_load_dword v15, v[0:1] offset:256
.LBB603_159:
	;; [unrolled: 8-line block ×7, first 2 shown]
	s_or_b32 exec_lo, exec_lo, s15
	v_lshlrev_b64 v[0:1], 3, v[8:9]
	v_lshlrev_b32_e32 v8, 3, v64
                                        ; implicit-def: $vgpr34_vgpr35
	v_add_co_u32 v9, s15, v4, v0
	v_add_co_ci_u32_e64 v25, null, v5, v1, s15
	v_lshlrev_b64 v[4:5], 3, v[22:23]
	v_add_co_u32 v8, s15, v9, v8
	v_add_co_ci_u32_e64 v9, null, 0, v25, s15
	v_add_co_u32 v4, s15, v8, v4
	v_add_co_ci_u32_e64 v5, null, v9, v5, s15
	s_and_saveexec_b32 s15, vcc_lo
	s_cbranch_execnz .LBB603_295
; %bb.170:
	s_or_b32 exec_lo, exec_lo, s15
                                        ; implicit-def: $vgpr38_vgpr39
	s_and_saveexec_b32 s15, s4
	s_cbranch_execnz .LBB603_296
.LBB603_171:
	s_or_b32 exec_lo, exec_lo, s15
                                        ; implicit-def: $vgpr48_vgpr49
	s_and_saveexec_b32 s4, s5
	s_cbranch_execnz .LBB603_297
.LBB603_172:
	s_or_b32 exec_lo, exec_lo, s4
                                        ; implicit-def: $vgpr50_vgpr51
	s_and_saveexec_b32 s4, s6
	s_cbranch_execnz .LBB603_298
.LBB603_173:
	s_or_b32 exec_lo, exec_lo, s4
                                        ; implicit-def: $vgpr52_vgpr53
	s_and_saveexec_b32 s4, s7
	s_cbranch_execnz .LBB603_299
.LBB603_174:
	s_or_b32 exec_lo, exec_lo, s4
                                        ; implicit-def: $vgpr54_vgpr55
	s_and_saveexec_b32 s4, s10
	s_cbranch_execnz .LBB603_300
.LBB603_175:
	s_or_b32 exec_lo, exec_lo, s4
                                        ; implicit-def: $vgpr32_vgpr33
	s_and_saveexec_b32 s4, s11
	s_cbranch_execnz .LBB603_301
.LBB603_176:
	s_or_b32 exec_lo, exec_lo, s4
                                        ; implicit-def: $vgpr36_vgpr37
	s_and_saveexec_b32 s4, s14
	s_cbranch_execz .LBB603_178
.LBB603_177:
	flat_load_dwordx2 v[36:37], v[4:5] offset:1792
.LBB603_178:
	s_or_b32 exec_lo, exec_lo, s4
	v_lshl_add_u32 v4, v21, 5, v12
	v_and_b32_e32 v8, 0x3e0, v21
	v_lshlrev_b32_e32 v5, 3, v21
	v_xor_b32_e32 v83, 0x80000000, v13
	v_sub_co_u32 v13, s6, v64, 1
	v_add_nc_u32_e32 v25, 32, v4
	v_add_nc_u32_e32 v86, 36, v4
	;; [unrolled: 1-line block ×8, first 2 shown]
	v_min_u32_e32 v4, 0xe0, v8
	v_and_b32_e32 v8, 16, v64
	v_and_or_b32 v5, 0x1f00, v5, v64
	s_getpc_b64 s[4:5]
	s_add_u32 s4, s4, _ZN7rocprim17ROCPRIM_400000_NS16block_radix_sortIiLj256ELj8ElLj1ELj1ELj8ELNS0_26block_radix_rank_algorithmE2ELNS0_18block_padding_hintE2ELNS0_4arch9wavefront6targetE0EE19radix_bits_per_passE@rel32@lo+4
	s_addc_u32 s5, s5, _ZN7rocprim17ROCPRIM_400000_NS16block_radix_sortIiLj256ELj8ElLj1ELj1ELj8ELNS0_26block_radix_rank_algorithmE2ELNS0_18block_padding_hintE2ELNS0_4arch9wavefront6targetE0EE19radix_bits_per_passE@rel32@hi+12
	v_cmp_gt_i32_e64 s14, 0, v13
	s_load_dword s23, s[4:5], 0x0
	v_cmp_eq_u32_e64 s10, 0, v8
	v_lshrrev_b32_e32 v8, 3, v21
	v_or_b32_e32 v4, 31, v4
	v_and_b32_e32 v9, 15, v64
	s_waitcnt vmcnt(0) lgkmcnt(0)
	v_xor_b32_e32 v65, 0x80000000, v14
	v_xor_b32_e32 v67, 0x80000000, v15
	v_and_b32_e32 v8, 0x7c, v8
	v_cmp_eq_u32_e64 s11, v21, v4
	v_cndmask_b32_e64 v4, v13, v64, s14
	v_cmp_eq_u32_e32 vcc_lo, 0, v9
	v_cmp_lt_u32_e64 s4, 1, v9
	v_add_nc_u32_e32 v112, v12, v8
	v_lshlrev_b32_e32 v8, 2, v5
	v_cmp_lt_u32_e64 s5, 3, v9
	v_cmp_lt_u32_e64 s7, 7, v9
	v_lshlrev_b32_e32 v103, 2, v4
	v_lshlrev_b32_e32 v4, 2, v21
	v_add_nc_u32_e32 v113, v12, v8
	v_and_b32_e32 v9, 7, v64
	v_xor_b32_e32 v69, 0x80000000, v16
	v_xor_b32_e32 v71, 0x80000000, v17
	;; [unrolled: 1-line block ×3, first 2 shown]
	v_add_nc_u32_e32 v118, v113, v8
	v_xor_b32_e32 v85, 0x80000000, v19
	v_xor_b32_e32 v164, 0x80000000, v20
	v_lshrrev_b32_e32 v101, 5, v24
	v_cmp_gt_u32_e64 s14, 8, v21
	v_cmp_lt_u32_e64 s15, 31, v21
	v_cmp_eq_u32_e64 s16, 0, v21
	v_mov_b32_e32 v5, 0
	v_add_co_u32 v102, null, v12, v4
	v_cmp_eq_u32_e64 s17, 0, v9
	v_cmp_lt_u32_e64 s18, 1, v9
	v_cmp_lt_u32_e64 s19, 3, v9
	v_add_nc_u32_e32 v114, -4, v112
	v_add_nc_u32_e32 v115, 0x80, v113
	v_add_nc_u32_e32 v116, 0x100, v113
	;; [unrolled: 1-line block ×14, first 2 shown]
	v_sub_nc_u32_e32 v147, v11, v10
	s_mov_b32 s24, 0
	s_waitcnt_vscnt null, 0x0
	s_barrier
	buffer_gl0_inv
	s_branch .LBB603_180
.LBB603_179:                            ;   in Loop: Header=BB603_180 Depth=1
	s_or_b32 exec_lo, exec_lo, s21
	s_and_b32 s20, exec_lo, s26
	s_or_b32 s24, s20, s24
	s_andn2_b32 exec_lo, exec_lo, s24
	s_cbranch_execz .LBB603_236
.LBB603_180:                            ; =>This Inner Loop Header: Depth=1
	v_min_u32_e32 v4, s23, v147
	v_mov_b32_e32 v150, v83
	v_mov_b32_e32 v22, v34
	;; [unrolled: 1-line block ×4, first 2 shown]
	v_lshlrev_b32_e64 v4, v4, -1
	v_lshrrev_b32_e32 v8, v10, v150
	v_mov_b32_e32 v18, v49
	v_mov_b32_e32 v19, v38
	;; [unrolled: 1-line block ×3, first 2 shown]
	v_not_b32_e32 v64, v4
	v_mov_b32_e32 v15, v50
	v_mov_b32_e32 v13, v52
	;; [unrolled: 1-line block ×4, first 2 shown]
	v_and_b32_e32 v4, v8, v64
	v_mov_b32_e32 v8, v54
	v_mov_b32_e32 v151, v81
	;; [unrolled: 1-line block ×4, first 2 shown]
	v_and_b32_e32 v28, 1, v4
	v_lshlrev_b32_e32 v29, 30, v4
	v_lshlrev_b32_e32 v30, 29, v4
	;; [unrolled: 1-line block ×4, first 2 shown]
	v_add_co_u32 v28, s20, v28, -1
	v_cndmask_b32_e64 v34, 0, 1, s20
	v_not_b32_e32 v48, v29
	v_cmp_gt_i32_e64 s21, 0, v29
	v_not_b32_e32 v29, v30
	v_lshlrev_b32_e32 v38, 26, v4
	v_cmp_ne_u32_e64 s20, 0, v34
	v_ashrrev_i32_e32 v48, 31, v48
	v_lshlrev_b32_e32 v39, 25, v4
	v_ashrrev_i32_e32 v29, 31, v29
	v_lshlrev_b32_e32 v34, 24, v4
	v_xor_b32_e32 v28, s20, v28
	v_cmp_gt_i32_e64 s20, 0, v30
	v_not_b32_e32 v30, v31
	v_xor_b32_e32 v48, s21, v48
	v_cmp_gt_i32_e64 s21, 0, v31
	v_and_b32_e32 v28, exec_lo, v28
	v_not_b32_e32 v31, v35
	v_ashrrev_i32_e32 v30, 31, v30
	v_xor_b32_e32 v29, s20, v29
	v_cmp_gt_i32_e64 s20, 0, v35
	v_and_b32_e32 v28, v28, v48
	v_not_b32_e32 v35, v38
	v_ashrrev_i32_e32 v31, 31, v31
	v_xor_b32_e32 v30, s21, v30
	v_cmp_gt_i32_e64 s21, 0, v38
	v_and_b32_e32 v28, v28, v29
	v_not_b32_e32 v29, v39
	v_ashrrev_i32_e32 v35, 31, v35
	v_xor_b32_e32 v31, s20, v31
	v_cmp_gt_i32_e64 s20, 0, v39
	v_and_b32_e32 v28, v28, v30
	v_not_b32_e32 v38, v34
	v_ashrrev_i32_e32 v29, 31, v29
	v_xor_b32_e32 v35, s21, v35
	v_cmp_gt_i32_e64 s21, 0, v34
	v_and_b32_e32 v28, v28, v31
	v_mov_b32_e32 v30, v32
	v_mov_b32_e32 v31, v33
	v_ashrrev_i32_e32 v32, 31, v38
	v_xor_b32_e32 v33, s20, v29
	v_and_b32_e32 v34, v28, v35
	v_lshl_add_u32 v4, v4, 3, v101
	v_mov_b32_e32 v28, v36
	v_xor_b32_e32 v32, s21, v32
	v_mov_b32_e32 v162, v67
	v_and_b32_e32 v33, v34, v33
	v_lshlrev_b64 v[34:35], 2, v[4:5]
	v_mov_b32_e32 v163, v65
	v_mov_b32_e32 v16, v51
	;; [unrolled: 1-line block ×3, first 2 shown]
	v_and_b32_e32 v33, v33, v32
	v_mov_b32_e32 v9, v55
	v_add_co_u32 v32, null, v12, v34
	v_mov_b32_e32 v29, v37
	v_mbcnt_lo_u32_b32 v4, v33, 0
	v_cmp_ne_u32_e64 s21, 0, v33
	v_add_co_u32 v32, null, v32, 32
	ds_write_b32 v25, v5
	ds_write_b32 v86, v5
	v_cmp_eq_u32_e64 s20, 0, v4
	ds_write_b32 v87, v5
	ds_write_b32 v96, v5
	ds_write_b32 v97, v5
	ds_write_b32 v98, v5
	ds_write_b32 v99, v5
	ds_write_b32 v100, v5
	s_and_b32 s21, s21, s20
	s_waitcnt lgkmcnt(0)
	s_barrier
	buffer_gl0_inv
	; wave barrier
	s_and_saveexec_b32 s20, s21
; %bb.181:                              ;   in Loop: Header=BB603_180 Depth=1
	v_bcnt_u32_b32 v33, v33, 0
	ds_write_b32 v32, v33
; %bb.182:                              ;   in Loop: Header=BB603_180 Depth=1
	s_or_b32 exec_lo, exec_lo, s20
	v_lshrrev_b32_e32 v33, v10, v163
	; wave barrier
	v_and_b32_e32 v33, v33, v64
	v_and_b32_e32 v34, 1, v33
	v_lshlrev_b32_e32 v35, 30, v33
	v_lshlrev_b32_e32 v36, 29, v33
	;; [unrolled: 1-line block ×4, first 2 shown]
	v_add_co_u32 v34, s20, v34, -1
	v_cndmask_b32_e64 v38, 0, 1, s20
	v_not_b32_e32 v50, v35
	v_cmp_gt_i32_e64 s21, 0, v35
	v_not_b32_e32 v35, v36
	v_lshlrev_b32_e32 v48, 26, v33
	v_cmp_ne_u32_e64 s20, 0, v38
	v_ashrrev_i32_e32 v50, 31, v50
	v_lshlrev_b32_e32 v49, 25, v33
	v_ashrrev_i32_e32 v35, 31, v35
	v_lshlrev_b32_e32 v38, 24, v33
	v_xor_b32_e32 v34, s20, v34
	v_cmp_gt_i32_e64 s20, 0, v36
	v_not_b32_e32 v36, v37
	v_xor_b32_e32 v50, s21, v50
	v_cmp_gt_i32_e64 s21, 0, v37
	v_and_b32_e32 v34, exec_lo, v34
	v_not_b32_e32 v37, v39
	v_ashrrev_i32_e32 v36, 31, v36
	v_xor_b32_e32 v35, s20, v35
	v_cmp_gt_i32_e64 s20, 0, v39
	v_and_b32_e32 v34, v34, v50
	v_not_b32_e32 v39, v48
	v_ashrrev_i32_e32 v37, 31, v37
	v_xor_b32_e32 v36, s21, v36
	v_cmp_gt_i32_e64 s21, 0, v48
	v_and_b32_e32 v34, v34, v35
	;; [unrolled: 5-line block ×3, first 2 shown]
	v_not_b32_e32 v36, v38
	v_ashrrev_i32_e32 v35, 31, v35
	v_xor_b32_e32 v39, s21, v39
	v_lshl_add_u32 v33, v33, 3, v101
	v_and_b32_e32 v34, v34, v37
	v_cmp_gt_i32_e64 s21, 0, v38
	v_ashrrev_i32_e32 v36, 31, v36
	v_xor_b32_e32 v35, s20, v35
	v_lshl_add_u32 v37, v33, 2, v12
	v_and_b32_e32 v34, v34, v39
	v_xor_b32_e32 v36, s21, v36
	ds_read_b32 v33, v37 offset:32
	v_and_b32_e32 v34, v34, v35
	v_add_nc_u32_e32 v35, 32, v37
	; wave barrier
	v_and_b32_e32 v36, v34, v36
	v_mbcnt_lo_u32_b32 v34, v36, 0
	v_cmp_ne_u32_e64 s21, 0, v36
	v_cmp_eq_u32_e64 s20, 0, v34
	s_and_b32 s21, s21, s20
	s_and_saveexec_b32 s20, s21
	s_cbranch_execz .LBB603_184
; %bb.183:                              ;   in Loop: Header=BB603_180 Depth=1
	s_waitcnt lgkmcnt(0)
	v_bcnt_u32_b32 v36, v36, v33
	ds_write_b32 v35, v36
.LBB603_184:                            ;   in Loop: Header=BB603_180 Depth=1
	s_or_b32 exec_lo, exec_lo, s20
	v_lshrrev_b32_e32 v36, v10, v162
	; wave barrier
	v_and_b32_e32 v36, v36, v64
	v_and_b32_e32 v37, 1, v36
	v_lshlrev_b32_e32 v38, 30, v36
	v_lshlrev_b32_e32 v39, 29, v36
	v_lshlrev_b32_e32 v48, 28, v36
	v_lshlrev_b32_e32 v50, 27, v36
	v_add_co_u32 v37, s20, v37, -1
	v_cndmask_b32_e64 v49, 0, 1, s20
	v_not_b32_e32 v53, v38
	v_cmp_gt_i32_e64 s21, 0, v38
	v_not_b32_e32 v38, v39
	v_lshlrev_b32_e32 v51, 26, v36
	v_cmp_ne_u32_e64 s20, 0, v49
	v_ashrrev_i32_e32 v53, 31, v53
	v_lshlrev_b32_e32 v52, 25, v36
	v_ashrrev_i32_e32 v38, 31, v38
	v_lshlrev_b32_e32 v49, 24, v36
	v_xor_b32_e32 v37, s20, v37
	v_cmp_gt_i32_e64 s20, 0, v39
	v_not_b32_e32 v39, v48
	v_xor_b32_e32 v53, s21, v53
	v_cmp_gt_i32_e64 s21, 0, v48
	v_and_b32_e32 v37, exec_lo, v37
	v_not_b32_e32 v48, v50
	v_ashrrev_i32_e32 v39, 31, v39
	v_xor_b32_e32 v38, s20, v38
	v_cmp_gt_i32_e64 s20, 0, v50
	v_and_b32_e32 v37, v37, v53
	v_not_b32_e32 v50, v51
	v_ashrrev_i32_e32 v48, 31, v48
	v_xor_b32_e32 v39, s21, v39
	v_cmp_gt_i32_e64 s21, 0, v51
	v_and_b32_e32 v37, v37, v38
	;; [unrolled: 5-line block ×3, first 2 shown]
	v_not_b32_e32 v39, v49
	v_ashrrev_i32_e32 v38, 31, v38
	v_xor_b32_e32 v50, s21, v50
	v_lshl_add_u32 v36, v36, 3, v101
	v_and_b32_e32 v37, v37, v48
	v_cmp_gt_i32_e64 s21, 0, v49
	v_ashrrev_i32_e32 v39, 31, v39
	v_xor_b32_e32 v38, s20, v38
	v_lshl_add_u32 v48, v36, 2, v12
	v_and_b32_e32 v37, v37, v50
	v_xor_b32_e32 v39, s21, v39
	ds_read_b32 v36, v48 offset:32
	v_and_b32_e32 v37, v37, v38
	v_add_nc_u32_e32 v38, 32, v48
	; wave barrier
	v_and_b32_e32 v39, v37, v39
	v_mbcnt_lo_u32_b32 v37, v39, 0
	v_cmp_ne_u32_e64 s21, 0, v39
	v_cmp_eq_u32_e64 s20, 0, v37
	s_and_b32 s21, s21, s20
	s_and_saveexec_b32 s20, s21
	s_cbranch_execz .LBB603_186
; %bb.185:                              ;   in Loop: Header=BB603_180 Depth=1
	s_waitcnt lgkmcnt(0)
	v_bcnt_u32_b32 v39, v39, v36
	ds_write_b32 v38, v39
.LBB603_186:                            ;   in Loop: Header=BB603_180 Depth=1
	s_or_b32 exec_lo, exec_lo, s20
	v_lshrrev_b32_e32 v39, v10, v161
	; wave barrier
	v_and_b32_e32 v39, v39, v64
	v_and_b32_e32 v48, 1, v39
	v_lshlrev_b32_e32 v49, 30, v39
	v_lshlrev_b32_e32 v50, 29, v39
	;; [unrolled: 1-line block ×4, first 2 shown]
	v_add_co_u32 v48, s20, v48, -1
	v_cndmask_b32_e64 v52, 0, 1, s20
	v_not_b32_e32 v65, v49
	v_cmp_gt_i32_e64 s21, 0, v49
	v_not_b32_e32 v49, v50
	v_lshlrev_b32_e32 v54, 26, v39
	v_cmp_ne_u32_e64 s20, 0, v52
	v_ashrrev_i32_e32 v65, 31, v65
	v_lshlrev_b32_e32 v55, 25, v39
	v_ashrrev_i32_e32 v49, 31, v49
	v_lshlrev_b32_e32 v52, 24, v39
	v_xor_b32_e32 v48, s20, v48
	v_cmp_gt_i32_e64 s20, 0, v50
	v_not_b32_e32 v50, v51
	v_xor_b32_e32 v65, s21, v65
	v_cmp_gt_i32_e64 s21, 0, v51
	v_and_b32_e32 v48, exec_lo, v48
	v_not_b32_e32 v51, v53
	v_ashrrev_i32_e32 v50, 31, v50
	v_xor_b32_e32 v49, s20, v49
	v_cmp_gt_i32_e64 s20, 0, v53
	v_and_b32_e32 v48, v48, v65
	v_not_b32_e32 v53, v54
	v_ashrrev_i32_e32 v51, 31, v51
	v_xor_b32_e32 v50, s21, v50
	v_cmp_gt_i32_e64 s21, 0, v54
	v_and_b32_e32 v48, v48, v49
	;; [unrolled: 5-line block ×3, first 2 shown]
	v_not_b32_e32 v50, v52
	v_ashrrev_i32_e32 v49, 31, v49
	v_xor_b32_e32 v53, s21, v53
	v_lshl_add_u32 v39, v39, 3, v101
	v_and_b32_e32 v48, v48, v51
	v_cmp_gt_i32_e64 s21, 0, v52
	v_ashrrev_i32_e32 v50, 31, v50
	v_xor_b32_e32 v49, s20, v49
	v_lshl_add_u32 v51, v39, 2, v12
	v_and_b32_e32 v48, v48, v53
	v_xor_b32_e32 v50, s21, v50
	ds_read_b32 v39, v51 offset:32
	v_and_b32_e32 v48, v48, v49
	v_add_nc_u32_e32 v49, 32, v51
	; wave barrier
	v_and_b32_e32 v50, v48, v50
	v_mbcnt_lo_u32_b32 v48, v50, 0
	v_cmp_ne_u32_e64 s21, 0, v50
	v_cmp_eq_u32_e64 s20, 0, v48
	s_and_b32 s21, s21, s20
	s_and_saveexec_b32 s20, s21
	s_cbranch_execz .LBB603_188
; %bb.187:                              ;   in Loop: Header=BB603_180 Depth=1
	s_waitcnt lgkmcnt(0)
	v_bcnt_u32_b32 v50, v50, v39
	ds_write_b32 v49, v50
.LBB603_188:                            ;   in Loop: Header=BB603_180 Depth=1
	s_or_b32 exec_lo, exec_lo, s20
	v_lshrrev_b32_e32 v50, v10, v160
	; wave barrier
	v_and_b32_e32 v50, v50, v64
	v_and_b32_e32 v51, 1, v50
	v_lshlrev_b32_e32 v52, 30, v50
	v_lshlrev_b32_e32 v53, 29, v50
	;; [unrolled: 1-line block ×4, first 2 shown]
	v_add_co_u32 v51, s20, v51, -1
	v_cndmask_b32_e64 v55, 0, 1, s20
	v_not_b32_e32 v68, v52
	v_cmp_gt_i32_e64 s21, 0, v52
	v_not_b32_e32 v52, v53
	v_lshlrev_b32_e32 v66, 26, v50
	v_cmp_ne_u32_e64 s20, 0, v55
	v_ashrrev_i32_e32 v68, 31, v68
	v_lshlrev_b32_e32 v67, 25, v50
	v_ashrrev_i32_e32 v52, 31, v52
	v_lshlrev_b32_e32 v55, 24, v50
	v_xor_b32_e32 v51, s20, v51
	v_cmp_gt_i32_e64 s20, 0, v53
	v_not_b32_e32 v53, v54
	v_xor_b32_e32 v68, s21, v68
	v_cmp_gt_i32_e64 s21, 0, v54
	v_and_b32_e32 v51, exec_lo, v51
	v_not_b32_e32 v54, v65
	v_ashrrev_i32_e32 v53, 31, v53
	v_xor_b32_e32 v52, s20, v52
	v_cmp_gt_i32_e64 s20, 0, v65
	v_and_b32_e32 v51, v51, v68
	v_not_b32_e32 v65, v66
	v_ashrrev_i32_e32 v54, 31, v54
	v_xor_b32_e32 v53, s21, v53
	v_cmp_gt_i32_e64 s21, 0, v66
	v_and_b32_e32 v51, v51, v52
	;; [unrolled: 5-line block ×3, first 2 shown]
	v_not_b32_e32 v53, v55
	v_ashrrev_i32_e32 v52, 31, v52
	v_xor_b32_e32 v65, s21, v65
	v_lshl_add_u32 v50, v50, 3, v101
	v_and_b32_e32 v51, v51, v54
	v_cmp_gt_i32_e64 s21, 0, v55
	v_ashrrev_i32_e32 v53, 31, v53
	v_xor_b32_e32 v52, s20, v52
	v_lshl_add_u32 v54, v50, 2, v12
	v_and_b32_e32 v51, v51, v65
	v_xor_b32_e32 v53, s21, v53
	ds_read_b32 v50, v54 offset:32
	v_and_b32_e32 v51, v51, v52
	v_add_nc_u32_e32 v52, 32, v54
	; wave barrier
	v_and_b32_e32 v53, v51, v53
	v_mbcnt_lo_u32_b32 v51, v53, 0
	v_cmp_ne_u32_e64 s21, 0, v53
	v_cmp_eq_u32_e64 s20, 0, v51
	s_and_b32 s21, s21, s20
	s_and_saveexec_b32 s20, s21
	s_cbranch_execz .LBB603_190
; %bb.189:                              ;   in Loop: Header=BB603_180 Depth=1
	s_waitcnt lgkmcnt(0)
	v_bcnt_u32_b32 v53, v53, v50
	ds_write_b32 v52, v53
.LBB603_190:                            ;   in Loop: Header=BB603_180 Depth=1
	s_or_b32 exec_lo, exec_lo, s20
	v_lshrrev_b32_e32 v53, v10, v151
	; wave barrier
	v_and_b32_e32 v53, v53, v64
	v_and_b32_e32 v54, 1, v53
	v_lshlrev_b32_e32 v55, 30, v53
	v_lshlrev_b32_e32 v65, 29, v53
	;; [unrolled: 1-line block ×4, first 2 shown]
	v_add_co_u32 v54, s20, v54, -1
	v_cndmask_b32_e64 v67, 0, 1, s20
	v_not_b32_e32 v71, v55
	v_cmp_gt_i32_e64 s21, 0, v55
	v_not_b32_e32 v55, v65
	v_lshlrev_b32_e32 v69, 26, v53
	v_cmp_ne_u32_e64 s20, 0, v67
	v_ashrrev_i32_e32 v71, 31, v71
	v_lshlrev_b32_e32 v70, 25, v53
	v_ashrrev_i32_e32 v55, 31, v55
	v_lshlrev_b32_e32 v67, 24, v53
	v_xor_b32_e32 v54, s20, v54
	v_cmp_gt_i32_e64 s20, 0, v65
	v_not_b32_e32 v65, v66
	v_xor_b32_e32 v71, s21, v71
	v_cmp_gt_i32_e64 s21, 0, v66
	v_and_b32_e32 v54, exec_lo, v54
	v_not_b32_e32 v66, v68
	v_ashrrev_i32_e32 v65, 31, v65
	v_xor_b32_e32 v55, s20, v55
	v_cmp_gt_i32_e64 s20, 0, v68
	v_and_b32_e32 v54, v54, v71
	v_not_b32_e32 v68, v69
	v_ashrrev_i32_e32 v66, 31, v66
	v_xor_b32_e32 v65, s21, v65
	v_cmp_gt_i32_e64 s21, 0, v69
	v_and_b32_e32 v54, v54, v55
	;; [unrolled: 5-line block ×3, first 2 shown]
	v_not_b32_e32 v65, v67
	v_ashrrev_i32_e32 v55, 31, v55
	v_xor_b32_e32 v68, s21, v68
	v_lshl_add_u32 v53, v53, 3, v101
	v_and_b32_e32 v54, v54, v66
	v_cmp_gt_i32_e64 s21, 0, v67
	v_ashrrev_i32_e32 v65, 31, v65
	v_xor_b32_e32 v55, s20, v55
	v_lshl_add_u32 v66, v53, 2, v12
	v_and_b32_e32 v54, v54, v68
	v_xor_b32_e32 v65, s21, v65
	ds_read_b32 v53, v66 offset:32
	v_and_b32_e32 v54, v54, v55
	v_add_nc_u32_e32 v55, 32, v66
	; wave barrier
	v_and_b32_e32 v65, v54, v65
	v_mbcnt_lo_u32_b32 v54, v65, 0
	v_cmp_ne_u32_e64 s21, 0, v65
	v_cmp_eq_u32_e64 s20, 0, v54
	s_and_b32 s21, s21, s20
	s_and_saveexec_b32 s20, s21
	s_cbranch_execz .LBB603_192
; %bb.191:                              ;   in Loop: Header=BB603_180 Depth=1
	s_waitcnt lgkmcnt(0)
	v_bcnt_u32_b32 v65, v65, v53
	ds_write_b32 v55, v65
.LBB603_192:                            ;   in Loop: Header=BB603_180 Depth=1
	s_or_b32 exec_lo, exec_lo, s20
	v_lshrrev_b32_e32 v65, v10, v149
	; wave barrier
	v_and_b32_e32 v65, v65, v64
	v_and_b32_e32 v66, 1, v65
	v_lshlrev_b32_e32 v67, 30, v65
	v_lshlrev_b32_e32 v68, 29, v65
	;; [unrolled: 1-line block ×4, first 2 shown]
	v_add_co_u32 v66, s20, v66, -1
	v_cndmask_b32_e64 v70, 0, 1, s20
	v_not_b32_e32 v82, v67
	v_cmp_gt_i32_e64 s21, 0, v67
	v_not_b32_e32 v67, v68
	v_lshlrev_b32_e32 v80, 26, v65
	v_cmp_ne_u32_e64 s20, 0, v70
	v_ashrrev_i32_e32 v82, 31, v82
	v_lshlrev_b32_e32 v81, 25, v65
	v_ashrrev_i32_e32 v67, 31, v67
	v_lshlrev_b32_e32 v70, 24, v65
	v_xor_b32_e32 v66, s20, v66
	v_cmp_gt_i32_e64 s20, 0, v68
	v_not_b32_e32 v68, v69
	v_xor_b32_e32 v82, s21, v82
	v_cmp_gt_i32_e64 s21, 0, v69
	v_and_b32_e32 v66, exec_lo, v66
	v_not_b32_e32 v69, v71
	v_ashrrev_i32_e32 v68, 31, v68
	v_xor_b32_e32 v67, s20, v67
	v_cmp_gt_i32_e64 s20, 0, v71
	v_and_b32_e32 v66, v66, v82
	v_not_b32_e32 v71, v80
	v_ashrrev_i32_e32 v69, 31, v69
	v_xor_b32_e32 v68, s21, v68
	v_cmp_gt_i32_e64 s21, 0, v80
	v_and_b32_e32 v66, v66, v67
	;; [unrolled: 5-line block ×3, first 2 shown]
	v_not_b32_e32 v68, v70
	v_ashrrev_i32_e32 v67, 31, v67
	v_xor_b32_e32 v71, s21, v71
	v_lshl_add_u32 v65, v65, 3, v101
	v_and_b32_e32 v66, v66, v69
	v_cmp_gt_i32_e64 s21, 0, v70
	v_ashrrev_i32_e32 v68, 31, v68
	v_xor_b32_e32 v67, s20, v67
	v_lshl_add_u32 v65, v65, 2, v12
	v_and_b32_e32 v66, v66, v71
	v_xor_b32_e32 v68, s21, v68
	ds_read_b32 v82, v65 offset:32
	v_and_b32_e32 v66, v66, v67
	v_add_nc_u32_e32 v65, 32, v65
	; wave barrier
	v_and_b32_e32 v66, v66, v68
	v_mbcnt_lo_u32_b32 v84, v66, 0
	v_cmp_ne_u32_e64 s21, 0, v66
	v_cmp_eq_u32_e64 s20, 0, v84
	s_and_b32 s21, s21, s20
	s_and_saveexec_b32 s20, s21
	s_cbranch_execz .LBB603_194
; %bb.193:                              ;   in Loop: Header=BB603_180 Depth=1
	s_waitcnt lgkmcnt(0)
	v_bcnt_u32_b32 v66, v66, v82
	ds_write_b32 v65, v66
.LBB603_194:                            ;   in Loop: Header=BB603_180 Depth=1
	s_or_b32 exec_lo, exec_lo, s20
	v_lshrrev_b32_e32 v66, v10, v148
	; wave barrier
	v_and_b32_e32 v64, v66, v64
	v_and_b32_e32 v66, 1, v64
	v_lshlrev_b32_e32 v67, 30, v64
	v_lshlrev_b32_e32 v68, 29, v64
	;; [unrolled: 1-line block ×4, first 2 shown]
	v_add_co_u32 v66, s20, v66, -1
	v_cndmask_b32_e64 v70, 0, 1, s20
	v_not_b32_e32 v83, v67
	v_cmp_gt_i32_e64 s21, 0, v67
	v_not_b32_e32 v67, v68
	v_lshlrev_b32_e32 v80, 26, v64
	v_cmp_ne_u32_e64 s20, 0, v70
	v_ashrrev_i32_e32 v83, 31, v83
	v_lshlrev_b32_e32 v81, 25, v64
	v_ashrrev_i32_e32 v67, 31, v67
	v_lshlrev_b32_e32 v70, 24, v64
	v_xor_b32_e32 v66, s20, v66
	v_cmp_gt_i32_e64 s20, 0, v68
	v_not_b32_e32 v68, v69
	v_xor_b32_e32 v83, s21, v83
	v_cmp_gt_i32_e64 s21, 0, v69
	v_and_b32_e32 v66, exec_lo, v66
	v_not_b32_e32 v69, v71
	v_ashrrev_i32_e32 v68, 31, v68
	v_xor_b32_e32 v67, s20, v67
	v_cmp_gt_i32_e64 s20, 0, v71
	v_and_b32_e32 v66, v66, v83
	v_not_b32_e32 v71, v80
	v_ashrrev_i32_e32 v69, 31, v69
	v_xor_b32_e32 v68, s21, v68
	v_cmp_gt_i32_e64 s21, 0, v80
	v_and_b32_e32 v66, v66, v67
	;; [unrolled: 5-line block ×3, first 2 shown]
	v_not_b32_e32 v68, v70
	v_ashrrev_i32_e32 v67, 31, v67
	v_xor_b32_e32 v71, s21, v71
	v_lshl_add_u32 v64, v64, 3, v101
	v_and_b32_e32 v66, v66, v69
	v_cmp_gt_i32_e64 s21, 0, v70
	v_ashrrev_i32_e32 v68, 31, v68
	v_xor_b32_e32 v67, s20, v67
	v_lshl_add_u32 v64, v64, 2, v12
	v_and_b32_e32 v66, v66, v71
	v_xor_b32_e32 v68, s21, v68
	ds_read_b32 v164, v64 offset:32
	v_and_b32_e32 v66, v66, v67
	v_add_nc_u32_e32 v64, 32, v64
	; wave barrier
	v_and_b32_e32 v66, v66, v68
	v_mbcnt_lo_u32_b32 v165, v66, 0
	v_cmp_ne_u32_e64 s21, 0, v66
	v_cmp_eq_u32_e64 s20, 0, v165
	s_and_b32 s21, s21, s20
	s_and_saveexec_b32 s20, s21
	s_cbranch_execz .LBB603_196
; %bb.195:                              ;   in Loop: Header=BB603_180 Depth=1
	s_waitcnt lgkmcnt(0)
	v_bcnt_u32_b32 v66, v66, v164
	ds_write_b32 v64, v66
.LBB603_196:                            ;   in Loop: Header=BB603_180 Depth=1
	s_or_b32 exec_lo, exec_lo, s20
	; wave barrier
	s_waitcnt lgkmcnt(0)
	s_barrier
	buffer_gl0_inv
	ds_read_b32 v67, v25
	ds_read_b32 v68, v86
	;; [unrolled: 1-line block ×8, first 2 shown]
	s_waitcnt lgkmcnt(6)
	v_add_nc_u32_e32 v83, v68, v67
	s_waitcnt lgkmcnt(4)
	v_add3_u32 v83, v83, v69, v70
	s_waitcnt lgkmcnt(2)
	v_add3_u32 v83, v83, v71, v80
	;; [unrolled: 2-line block ×3, first 2 shown]
	v_mov_b32_dpp v83, v81 row_shr:1 row_mask:0xf bank_mask:0xf
	v_cndmask_b32_e64 v83, v83, 0, vcc_lo
	v_add_nc_u32_e32 v81, v83, v81
	v_mov_b32_dpp v83, v81 row_shr:2 row_mask:0xf bank_mask:0xf
	v_cndmask_b32_e64 v83, 0, v83, s4
	v_add_nc_u32_e32 v81, v81, v83
	v_mov_b32_dpp v83, v81 row_shr:4 row_mask:0xf bank_mask:0xf
	v_cndmask_b32_e64 v83, 0, v83, s5
	v_add_nc_u32_e32 v81, v81, v83
	v_mov_b32_dpp v83, v81 row_shr:8 row_mask:0xf bank_mask:0xf
	v_cndmask_b32_e64 v83, 0, v83, s7
	v_add_nc_u32_e32 v81, v81, v83
	ds_swizzle_b32 v83, v81 offset:swizzle(BROADCAST,32,15)
	s_waitcnt lgkmcnt(0)
	v_cndmask_b32_e64 v83, v83, 0, s10
	v_add_nc_u32_e32 v81, v81, v83
	s_and_saveexec_b32 s20, s11
; %bb.197:                              ;   in Loop: Header=BB603_180 Depth=1
	ds_write_b32 v112, v81
; %bb.198:                              ;   in Loop: Header=BB603_180 Depth=1
	s_or_b32 exec_lo, exec_lo, s20
	s_waitcnt lgkmcnt(0)
	s_barrier
	buffer_gl0_inv
	s_and_saveexec_b32 s20, s14
	s_cbranch_execz .LBB603_200
; %bb.199:                              ;   in Loop: Header=BB603_180 Depth=1
	ds_read_b32 v83, v102
	s_waitcnt lgkmcnt(0)
	v_mov_b32_dpp v85, v83 row_shr:1 row_mask:0xf bank_mask:0xf
	v_cndmask_b32_e64 v85, v85, 0, s17
	v_add_nc_u32_e32 v83, v85, v83
	v_mov_b32_dpp v85, v83 row_shr:2 row_mask:0xf bank_mask:0xf
	v_cndmask_b32_e64 v85, 0, v85, s18
	v_add_nc_u32_e32 v83, v83, v85
	;; [unrolled: 3-line block ×3, first 2 shown]
	ds_write_b32 v102, v83
.LBB603_200:                            ;   in Loop: Header=BB603_180 Depth=1
	s_or_b32 exec_lo, exec_lo, s20
	v_mov_b32_e32 v83, 0
	s_waitcnt lgkmcnt(0)
	s_barrier
	buffer_gl0_inv
	s_and_saveexec_b32 s20, s15
; %bb.201:                              ;   in Loop: Header=BB603_180 Depth=1
	ds_read_b32 v83, v114
; %bb.202:                              ;   in Loop: Header=BB603_180 Depth=1
	s_or_b32 exec_lo, exec_lo, s20
	s_waitcnt lgkmcnt(0)
	v_add_nc_u32_e32 v81, v83, v81
	v_mov_b32_e32 v85, v5
	v_add_nc_u32_e32 v10, 8, v10
	s_mov_b32 s26, -1
	ds_bpermute_b32 v81, v103, v81
	v_cmp_lt_u32_e64 s20, v10, v11
	s_waitcnt lgkmcnt(0)
	v_cndmask_b32_e64 v81, v81, v83, s6
	v_mov_b32_e32 v83, v5
	v_cndmask_b32_e64 v81, v81, 0, s16
	v_add_nc_u32_e32 v67, v81, v67
	v_add_nc_u32_e32 v68, v67, v68
	ds_write_b32 v25, v81
	ds_write_b32 v86, v67
	;; [unrolled: 1-line block ×3, first 2 shown]
	v_mov_b32_e32 v67, v5
	v_add_nc_u32_e32 v69, v68, v69
	v_mov_b32_e32 v81, v5
	v_add_nc_u32_e32 v70, v69, v70
	v_add_nc_u32_e32 v71, v70, v71
	;; [unrolled: 1-line block ×4, first 2 shown]
	ds_write_b32 v96, v69
	ds_write_b32 v97, v70
	;; [unrolled: 1-line block ×5, first 2 shown]
	s_waitcnt lgkmcnt(0)
	s_barrier
	buffer_gl0_inv
	ds_read_b32 v32, v32
	ds_read_b32 v35, v35
	;; [unrolled: 1-line block ×8, first 2 shown]
	v_mov_b32_e32 v71, v5
	v_mov_b32_e32 v65, v5
	;; [unrolled: 1-line block ×3, first 2 shown]
	s_waitcnt lgkmcnt(0)
	v_add_nc_u32_e32 v4, v32, v4
	v_add3_u32 v66, v34, v33, v35
	v_add3_u32 v70, v37, v36, v38
	;; [unrolled: 1-line block ×5, first 2 shown]
	v_lshlrev_b64 v[32:33], 2, v[4:5]
	v_add3_u32 v82, v84, v82, v166
	v_add3_u32 v84, v165, v164, v167
	v_lshlrev_b64 v[33:34], 2, v[66:67]
	v_lshlrev_b64 v[34:35], 2, v[70:71]
	;; [unrolled: 1-line block ×7, first 2 shown]
	v_add_co_u32 v180, null, v12, v32
	v_add_co_u32 v179, null, v12, v33
	;; [unrolled: 1-line block ×8, first 2 shown]
                                        ; implicit-def: $vgpr164
                                        ; implicit-def: $vgpr85
                                        ; implicit-def: $vgpr81
                                        ; implicit-def: $vgpr71
                                        ; implicit-def: $vgpr69
                                        ; implicit-def: $vgpr67
                                        ; implicit-def: $vgpr65
                                        ; implicit-def: $vgpr83
                                        ; implicit-def: $vgpr34_vgpr35
                                        ; implicit-def: $vgpr38_vgpr39
                                        ; implicit-def: $vgpr48_vgpr49
                                        ; implicit-def: $vgpr50_vgpr51
                                        ; implicit-def: $vgpr52_vgpr53
                                        ; implicit-def: $vgpr54_vgpr55
                                        ; implicit-def: $vgpr32_vgpr33
                                        ; implicit-def: $vgpr36_vgpr37
	s_and_saveexec_b32 s21, s20
	s_cbranch_execz .LBB603_179
; %bb.203:                              ;   in Loop: Header=BB603_180 Depth=1
	v_lshl_add_u32 v32, v4, 2, v180
	v_lshl_add_u32 v33, v66, 2, v179
	;; [unrolled: 1-line block ×3, first 2 shown]
	s_barrier
	buffer_gl0_inv
	ds_write_b32 v180, v150
	ds_write_b32 v179, v163
	;; [unrolled: 1-line block ×8, first 2 shown]
	s_waitcnt lgkmcnt(0)
	s_barrier
	buffer_gl0_inv
	ds_read_b32 v83, v113
	ds_read_b32 v65, v115
	;; [unrolled: 1-line block ×8, first 2 shown]
	s_waitcnt lgkmcnt(0)
	s_barrier
	buffer_gl0_inv
	ds_write_b64 v32, v[22:23]
	ds_write_b64 v33, v[19:20]
	;; [unrolled: 1-line block ×3, first 2 shown]
	v_lshl_add_u32 v32, v64, 2, v177
	v_lshl_add_u32 v33, v68, 2, v176
	;; [unrolled: 1-line block ×5, first 2 shown]
	ds_write_b64 v32, v[15:16]
	ds_write_b64 v33, v[13:14]
	;; [unrolled: 1-line block ×5, first 2 shown]
	s_waitcnt lgkmcnt(0)
	s_barrier
	buffer_gl0_inv
	ds_read_b64 v[34:35], v118
	ds_read_b64 v[38:39], v132
	;; [unrolled: 1-line block ×8, first 2 shown]
	v_add_nc_u32_e32 v147, -8, v147
	s_xor_b32 s26, exec_lo, -1
	s_waitcnt lgkmcnt(0)
	s_barrier
	buffer_gl0_inv
	s_branch .LBB603_179
.LBB603_204:
	flat_load_dwordx2 v[68:69], v[4:5]
	s_or_b32 exec_lo, exec_lo, s24
                                        ; implicit-def: $vgpr80_vgpr81
	s_and_saveexec_b32 s24, s4
	s_cbranch_execz .LBB603_38
.LBB603_205:
	flat_load_dwordx2 v[80:81], v[4:5] offset:256
	s_or_b32 exec_lo, exec_lo, s24
                                        ; implicit-def: $vgpr66_vgpr67
	s_and_saveexec_b32 s4, s5
	s_cbranch_execz .LBB603_39
.LBB603_206:
	flat_load_dwordx2 v[66:67], v[4:5] offset:512
	s_or_b32 exec_lo, exec_lo, s4
                                        ; implicit-def: $vgpr70_vgpr71
	s_and_saveexec_b32 s4, s6
	s_cbranch_execz .LBB603_40
.LBB603_207:
	flat_load_dwordx2 v[70:71], v[4:5] offset:768
	s_or_b32 exec_lo, exec_lo, s4
                                        ; implicit-def: $vgpr82_vgpr83
	s_and_saveexec_b32 s4, s7
	s_cbranch_execz .LBB603_41
.LBB603_208:
	flat_load_dwordx2 v[82:83], v[4:5] offset:1024
	s_or_b32 exec_lo, exec_lo, s4
                                        ; implicit-def: $vgpr86_vgpr87
	s_and_saveexec_b32 s4, s10
	s_cbranch_execz .LBB603_42
.LBB603_209:
	flat_load_dwordx2 v[86:87], v[4:5] offset:1280
	s_or_b32 exec_lo, exec_lo, s4
                                        ; implicit-def: $vgpr84_vgpr85
	s_and_saveexec_b32 s4, s11
	s_cbranch_execz .LBB603_43
.LBB603_210:
	flat_load_dwordx2 v[84:85], v[4:5] offset:1536
	s_or_b32 exec_lo, exec_lo, s4
                                        ; implicit-def: $vgpr96_vgpr97
	s_and_saveexec_b32 s4, s14
	s_cbranch_execz .LBB603_44
.LBB603_211:
	flat_load_dwordx2 v[96:97], v[4:5] offset:1792
	s_or_b32 exec_lo, exec_lo, s4
                                        ; implicit-def: $vgpr98_vgpr99
	s_and_saveexec_b32 s4, s20
	s_cbranch_execz .LBB603_45
.LBB603_212:
	v_add_co_u32 v8, vcc_lo, 0x800, v4
	v_add_co_ci_u32_e64 v9, null, 0, v5, vcc_lo
	flat_load_dwordx2 v[98:99], v[8:9]
	s_or_b32 exec_lo, exec_lo, s4
                                        ; implicit-def: $vgpr100_vgpr101
	s_and_saveexec_b32 s4, s16
	s_cbranch_execz .LBB603_46
.LBB603_213:
	v_add_co_u32 v8, vcc_lo, 0x800, v4
	v_add_co_ci_u32_e64 v9, null, 0, v5, vcc_lo
	flat_load_dwordx2 v[100:101], v[8:9] offset:256
	s_or_b32 exec_lo, exec_lo, s4
                                        ; implicit-def: $vgpr102_vgpr103
	s_and_saveexec_b32 s4, s21
	s_cbranch_execz .LBB603_47
.LBB603_214:
	v_add_co_u32 v8, vcc_lo, 0x800, v4
	v_add_co_ci_u32_e64 v9, null, 0, v5, vcc_lo
	flat_load_dwordx2 v[102:103], v[8:9] offset:512
	s_or_b32 exec_lo, exec_lo, s4
                                        ; implicit-def: $vgpr117_vgpr118
	s_and_saveexec_b32 s4, s17
	s_cbranch_execz .LBB603_48
.LBB603_215:
	v_add_co_u32 v8, vcc_lo, 0x800, v4
	v_add_co_ci_u32_e64 v9, null, 0, v5, vcc_lo
	flat_load_dwordx2 v[117:118], v[8:9] offset:768
	s_or_b32 exec_lo, exec_lo, s4
                                        ; implicit-def: $vgpr149_vgpr150
	s_and_saveexec_b32 s4, s22
	s_cbranch_execz .LBB603_49
.LBB603_216:
	v_add_co_u32 v8, vcc_lo, 0x800, v4
	v_add_co_ci_u32_e64 v9, null, 0, v5, vcc_lo
	flat_load_dwordx2 v[149:150], v[8:9] offset:1024
	s_or_b32 exec_lo, exec_lo, s4
                                        ; implicit-def: $vgpr160_vgpr161
	s_and_saveexec_b32 s4, s18
	s_cbranch_execz .LBB603_50
.LBB603_217:
	v_add_co_u32 v8, vcc_lo, 0x800, v4
	v_add_co_ci_u32_e64 v9, null, 0, v5, vcc_lo
	flat_load_dwordx2 v[160:161], v[8:9] offset:1280
	s_or_b32 exec_lo, exec_lo, s4
                                        ; implicit-def: $vgpr177_vgpr178
	s_and_saveexec_b32 s4, s23
	s_cbranch_execz .LBB603_51
.LBB603_218:
	v_add_co_u32 v8, vcc_lo, 0x800, v4
	v_add_co_ci_u32_e64 v9, null, 0, v5, vcc_lo
	flat_load_dwordx2 v[177:178], v[8:9] offset:1536
	s_or_b32 exec_lo, exec_lo, s4
                                        ; implicit-def: $vgpr182_vgpr183
	s_and_saveexec_b32 s4, s19
	s_cbranch_execz .LBB603_52
.LBB603_219:
	v_add_co_u32 v8, vcc_lo, 0x800, v4
	v_add_co_ci_u32_e64 v9, null, 0, v5, vcc_lo
	flat_load_dwordx2 v[182:183], v[8:9] offset:1792
	s_or_b32 exec_lo, exec_lo, s4
                                        ; implicit-def: $vgpr192_vgpr193
	s_and_saveexec_b32 s4, s15
	s_cbranch_execnz .LBB603_53
	s_branch .LBB603_54
.LBB603_220:
	flat_store_dwordx2 v[0:1], v[36:37]
	s_or_b32 exec_lo, exec_lo, s24
	s_and_saveexec_b32 s24, s5
	s_cbranch_execz .LBB603_134
.LBB603_221:
	v_add_co_u32 v2, vcc_lo, 0x800, v0
	v_add_co_ci_u32_e64 v3, null, 0, v1, vcc_lo
	flat_store_dwordx2 v[2:3], v[38:39]
	s_or_b32 exec_lo, exec_lo, s24
	s_and_saveexec_b32 s5, s4
	s_cbranch_execz .LBB603_135
.LBB603_222:
	v_add_co_u32 v2, vcc_lo, 0x1000, v0
	v_add_co_ci_u32_e64 v3, null, 0, v1, vcc_lo
	flat_store_dwordx2 v[2:3], v[32:33]
	s_or_b32 exec_lo, exec_lo, s5
	s_and_saveexec_b32 s4, s6
	s_cbranch_execz .LBB603_136
.LBB603_223:
	v_add_co_u32 v2, vcc_lo, 0x1800, v0
	v_add_co_ci_u32_e64 v3, null, 0, v1, vcc_lo
	flat_store_dwordx2 v[2:3], v[34:35]
	s_or_b32 exec_lo, exec_lo, s4
	s_and_saveexec_b32 s4, s7
	s_cbranch_execz .LBB603_137
.LBB603_224:
	v_add_co_u32 v2, vcc_lo, 0x2000, v0
	v_add_co_ci_u32_e64 v3, null, 0, v1, vcc_lo
	flat_store_dwordx2 v[2:3], v[28:29]
	s_or_b32 exec_lo, exec_lo, s4
	s_and_saveexec_b32 s4, s10
	s_cbranch_execz .LBB603_138
.LBB603_225:
	v_add_co_u32 v2, vcc_lo, 0x2800, v0
	v_add_co_ci_u32_e64 v3, null, 0, v1, vcc_lo
	flat_store_dwordx2 v[2:3], v[30:31]
	s_or_b32 exec_lo, exec_lo, s4
	s_and_saveexec_b32 s4, s11
	s_cbranch_execz .LBB603_139
.LBB603_226:
	v_add_co_u32 v2, vcc_lo, 0x3000, v0
	v_add_co_ci_u32_e64 v3, null, 0, v1, vcc_lo
	flat_store_dwordx2 v[2:3], v[24:25]
	s_or_b32 exec_lo, exec_lo, s4
	s_and_saveexec_b32 s4, s14
	s_cbranch_execz .LBB603_140
.LBB603_227:
	v_add_co_u32 v2, vcc_lo, 0x3800, v0
	v_add_co_ci_u32_e64 v3, null, 0, v1, vcc_lo
	flat_store_dwordx2 v[2:3], v[26:27]
	s_or_b32 exec_lo, exec_lo, s4
	s_and_saveexec_b32 s4, s15
	s_cbranch_execz .LBB603_141
.LBB603_228:
	v_add_co_u32 v2, vcc_lo, 0x4000, v0
	v_add_co_ci_u32_e64 v3, null, 0, v1, vcc_lo
	flat_store_dwordx2 v[2:3], v[20:21]
	s_or_b32 exec_lo, exec_lo, s4
	s_and_saveexec_b32 s4, s16
	s_cbranch_execz .LBB603_142
.LBB603_229:
	v_add_co_u32 v2, vcc_lo, 0x4800, v0
	v_add_co_ci_u32_e64 v3, null, 0, v1, vcc_lo
	flat_store_dwordx2 v[2:3], v[22:23]
	s_or_b32 exec_lo, exec_lo, s4
	s_and_saveexec_b32 s4, s17
	s_cbranch_execz .LBB603_143
.LBB603_230:
	v_add_co_u32 v2, vcc_lo, 0x5000, v0
	v_add_co_ci_u32_e64 v3, null, 0, v1, vcc_lo
	flat_store_dwordx2 v[2:3], v[16:17]
	s_or_b32 exec_lo, exec_lo, s4
	s_and_saveexec_b32 s4, s18
	s_cbranch_execz .LBB603_144
.LBB603_231:
	v_add_co_u32 v2, vcc_lo, 0x5800, v0
	v_add_co_ci_u32_e64 v3, null, 0, v1, vcc_lo
	flat_store_dwordx2 v[2:3], v[18:19]
	s_or_b32 exec_lo, exec_lo, s4
	s_and_saveexec_b32 s4, s19
	s_cbranch_execz .LBB603_145
.LBB603_232:
	v_add_co_u32 v2, vcc_lo, 0x6000, v0
	v_add_co_ci_u32_e64 v3, null, 0, v1, vcc_lo
	flat_store_dwordx2 v[2:3], v[12:13]
	s_or_b32 exec_lo, exec_lo, s4
	s_and_saveexec_b32 s4, s20
	s_cbranch_execz .LBB603_146
.LBB603_233:
	v_add_co_u32 v2, vcc_lo, 0x6800, v0
	v_add_co_ci_u32_e64 v3, null, 0, v1, vcc_lo
	flat_store_dwordx2 v[2:3], v[14:15]
	s_or_b32 exec_lo, exec_lo, s4
	s_and_saveexec_b32 s4, s21
	s_cbranch_execz .LBB603_147
.LBB603_234:
	v_add_co_u32 v2, vcc_lo, 0x7000, v0
	v_add_co_ci_u32_e64 v3, null, 0, v1, vcc_lo
	flat_store_dwordx2 v[2:3], v[8:9]
	s_or_b32 exec_lo, exec_lo, s4
	s_and_saveexec_b32 s4, s22
	s_cbranch_execz .LBB603_148
.LBB603_235:
	v_add_co_u32 v2, vcc_lo, 0x7800, v0
	v_add_co_ci_u32_e64 v3, null, 0, v1, vcc_lo
	flat_store_dwordx2 v[2:3], v[10:11]
	s_or_b32 exec_lo, exec_lo, s4
	s_and_saveexec_b32 s4, s23
	s_cbranch_execnz .LBB603_149
	s_branch .LBB603_150
.LBB603_236:
	s_or_b32 exec_lo, exec_lo, s24
	v_lshl_add_u32 v4, v4, 2, v180
	v_lshl_add_u32 v5, v66, 2, v179
	;; [unrolled: 1-line block ×3, first 2 shown]
	s_barrier
	buffer_gl0_inv
	ds_write_b32 v180, v150
	ds_write_b32 v179, v163
	ds_write_b32 v178, v162
	ds_write_b32 v177, v161
	ds_write_b32 v176, v160
	ds_write_b32 v167, v151
	ds_write_b32 v166, v149
	ds_write_b32 v165, v148
	s_waitcnt lgkmcnt(0)
	s_barrier
	buffer_gl0_inv
	ds_read2st64_b32 v[38:39], v102 offset1:4
	ds_read2st64_b32 v[36:37], v102 offset0:8 offset1:12
	ds_read2st64_b32 v[34:35], v102 offset0:16 offset1:20
	;; [unrolled: 1-line block ×3, first 2 shown]
	s_waitcnt lgkmcnt(0)
	s_barrier
	buffer_gl0_inv
	ds_write_b64 v4, v[22:23]
	ds_write_b64 v5, v[19:20]
	v_lshl_add_u32 v4, v64, 2, v177
	v_lshl_add_u32 v5, v68, 2, v176
	ds_write_b64 v10, v[17:18]
	v_lshl_add_u32 v10, v80, 2, v167
	v_lshl_add_u32 v11, v82, 2, v166
	ds_write_b64 v4, v[15:16]
	v_lshl_add_u32 v4, v84, 2, v165
	ds_write_b64 v5, v[13:14]
	ds_write_b64 v10, v[8:9]
	;; [unrolled: 1-line block ×3, first 2 shown]
	v_lshl_add_u32 v5, v21, 3, v12
	v_mov_b32_e32 v25, 0
	v_add_co_u32 v2, vcc_lo, v2, v26
	ds_write_b64 v4, v[28:29]
	s_waitcnt lgkmcnt(0)
	s_barrier
	buffer_gl0_inv
	ds_read2st64_b64 v[20:23], v5 offset1:4
	ds_read2st64_b64 v[16:19], v5 offset0:8 offset1:12
	ds_read2st64_b64 v[12:15], v5 offset0:16 offset1:20
	;; [unrolled: 1-line block ×3, first 2 shown]
	v_lshlrev_b64 v[4:5], 2, v[24:25]
	v_add_co_ci_u32_e64 v3, null, v3, v27, vcc_lo
	s_waitcnt lgkmcnt(0)
	s_barrier
	buffer_gl0_inv
	v_add_co_u32 v2, vcc_lo, v2, v4
	v_add_co_ci_u32_e64 v3, null, v3, v5, vcc_lo
	v_cmp_lt_u32_e32 vcc_lo, v24, v119
	s_and_saveexec_b32 s4, vcc_lo
	s_cbranch_execz .LBB603_238
; %bb.237:
	v_xor_b32_e32 v4, 0x80000000, v38
	flat_store_dword v[2:3], v4
.LBB603_238:
	s_or_b32 exec_lo, exec_lo, s4
	v_add_nc_u32_e32 v4, 0x100, v24
	v_cmp_lt_u32_e64 s5, v4, v119
	s_and_saveexec_b32 s4, s5
	s_cbranch_execz .LBB603_240
; %bb.239:
	v_xor_b32_e32 v4, 0x80000000, v39
	flat_store_dword v[2:3], v4 offset:1024
.LBB603_240:
	s_or_b32 exec_lo, exec_lo, s4
	v_add_nc_u32_e32 v4, 0x200, v24
	v_cmp_lt_u32_e64 s4, v4, v119
	s_and_saveexec_b32 s7, s4
	s_cbranch_execz .LBB603_242
; %bb.241:
	v_add_co_u32 v4, s6, 0x800, v2
	v_xor_b32_e32 v26, 0x80000000, v36
	v_add_co_ci_u32_e64 v5, null, 0, v3, s6
	flat_store_dword v[4:5], v26
.LBB603_242:
	s_or_b32 exec_lo, exec_lo, s7
	v_add_nc_u32_e32 v4, 0x300, v24
	v_cmp_lt_u32_e64 s6, v4, v119
	s_and_saveexec_b32 s10, s6
	s_cbranch_execz .LBB603_244
; %bb.243:
	v_add_co_u32 v4, s7, 0x800, v2
	v_xor_b32_e32 v26, 0x80000000, v37
	v_add_co_ci_u32_e64 v5, null, 0, v3, s7
	flat_store_dword v[4:5], v26 offset:1024
.LBB603_244:
	s_or_b32 exec_lo, exec_lo, s10
	v_add_nc_u32_e32 v4, 0x400, v24
	v_cmp_lt_u32_e64 s7, v4, v119
	s_and_saveexec_b32 s11, s7
	s_cbranch_execz .LBB603_246
; %bb.245:
	v_add_co_u32 v4, s10, 0x1000, v2
	v_xor_b32_e32 v26, 0x80000000, v34
	v_add_co_ci_u32_e64 v5, null, 0, v3, s10
	flat_store_dword v[4:5], v26
.LBB603_246:
	s_or_b32 exec_lo, exec_lo, s11
	v_add_nc_u32_e32 v4, 0x500, v24
	v_cmp_lt_u32_e64 s10, v4, v119
	s_and_saveexec_b32 s14, s10
	s_cbranch_execz .LBB603_248
; %bb.247:
	v_add_co_u32 v4, s11, 0x1000, v2
	v_xor_b32_e32 v26, 0x80000000, v35
	v_add_co_ci_u32_e64 v5, null, 0, v3, s11
	flat_store_dword v[4:5], v26 offset:1024
.LBB603_248:
	;; [unrolled: 22-line block ×3, first 2 shown]
	s_or_b32 exec_lo, exec_lo, s16
	v_lshlrev_b64 v[2:3], 3, v[24:25]
	v_add_co_u32 v0, s15, v6, v0
	v_add_co_ci_u32_e64 v1, null, v7, v1, s15
	v_add_co_u32 v0, s15, v0, v2
	v_add_co_ci_u32_e64 v1, null, v1, v3, s15
	s_and_saveexec_b32 s15, vcc_lo
	s_cbranch_execnz .LBB603_302
; %bb.253:
	s_or_b32 exec_lo, exec_lo, s15
	s_and_saveexec_b32 s15, s5
	s_cbranch_execnz .LBB603_303
.LBB603_254:
	s_or_b32 exec_lo, exec_lo, s15
	s_and_saveexec_b32 s5, s4
	s_cbranch_execnz .LBB603_304
.LBB603_255:
	s_or_b32 exec_lo, exec_lo, s5
	s_and_saveexec_b32 s4, s6
	s_cbranch_execnz .LBB603_305
.LBB603_256:
	s_or_b32 exec_lo, exec_lo, s4
	s_and_saveexec_b32 s4, s7
	s_cbranch_execnz .LBB603_306
.LBB603_257:
	s_or_b32 exec_lo, exec_lo, s4
	s_and_saveexec_b32 s4, s10
	s_cbranch_execnz .LBB603_307
.LBB603_258:
	s_or_b32 exec_lo, exec_lo, s4
	s_and_saveexec_b32 s4, s11
	s_cbranch_execnz .LBB603_308
.LBB603_259:
	s_or_b32 exec_lo, exec_lo, s4
	s_and_saveexec_b32 s4, s14
	s_cbranch_execz .LBB603_261
.LBB603_260:
	v_add_co_u32 v0, vcc_lo, 0x3800, v0
	v_add_co_ci_u32_e64 v1, null, 0, v1, vcc_lo
	flat_store_dwordx2 v[0:1], v[10:11]
.LBB603_261:
	s_or_b32 exec_lo, exec_lo, s4
                                        ; implicit-def: $vgpr119
                                        ; implicit-def: $vgpr0
                                        ; implicit-def: $vgpr1
                                        ; implicit-def: $vgpr2
                                        ; implicit-def: $vgpr3
                                        ; implicit-def: $vgpr4
                                        ; implicit-def: $vgpr5
                                        ; implicit-def: $vgpr6
                                        ; implicit-def: $vgpr7
                                        ; implicit-def: $vgpr8
                                        ; implicit-def: $vgpr10
                                        ; implicit-def: $vgpr11
                                        ; implicit-def: $vgpr12
                                        ; implicit-def: $vgpr13
                                        ; implicit-def: $vgpr14
                                        ; implicit-def: $vgpr21
                                        ; implicit-def: $vgpr64
.LBB603_262:
	s_andn2_saveexec_b32 s4, s22
	s_cbranch_execz .LBB603_382
; %bb.263:
	s_mov_b32 s4, exec_lo
	v_cmpx_lt_u32_e32 0x200, v119
	s_xor_b32 s22, exec_lo, s4
	s_cbranch_execz .LBB603_323
; %bb.264:
	s_load_dwordx2 s[4:5], s[8:9], 0x0
	v_mov_b32_e32 v9, 0
	v_lshlrev_b64 v[19:20], 2, v[8:9]
	v_mov_b32_e32 v23, v9
	v_add_co_u32 v24, vcc_lo, v0, v19
	v_add_co_ci_u32_e64 v25, null, v1, v20, vcc_lo
	s_waitcnt lgkmcnt(0)
	s_cmp_lt_u32 s13, s5
	s_cselect_b32 s5, 14, 20
	s_add_u32 s6, s8, s5
	s_addc_u32 s7, s9, 0
	s_cmp_lt_u32 s12, s4
	global_load_ushort v15, v9, s[6:7]
	s_cselect_b32 s4, 12, 18
	s_add_u32 s4, s8, s4
	s_addc_u32 s5, s9, 0
	global_load_ushort v16, v9, s[4:5]
	s_waitcnt vmcnt(1)
	v_mad_u32_u24 v13, v14, v15, v13
	s_waitcnt vmcnt(0)
	v_mad_u64_u32 v[17:18], null, v13, v16, v[21:22]
	v_lshlrev_b32_e32 v16, 2, v64
	v_bfrev_b32_e32 v13, -2
	v_add_co_u32 v16, vcc_lo, v24, v16
	v_lshlrev_b32_e32 v18, 2, v17
	v_add_co_ci_u32_e64 v24, null, 0, v25, vcc_lo
	v_mov_b32_e32 v14, v13
	v_mov_b32_e32 v15, v13
	v_and_b32_e32 v22, 0xffffff80, v18
	v_lshlrev_b64 v[0:1], 2, v[22:23]
	v_or_b32_e32 v18, v22, v64
	v_cmp_lt_u32_e32 vcc_lo, v18, v119
	v_add_co_u32 v0, s4, v16, v0
	v_add_co_ci_u32_e64 v1, null, v24, v1, s4
	v_mov_b32_e32 v16, v13
	s_and_saveexec_b32 s4, vcc_lo
	s_cbranch_execz .LBB603_266
; %bb.265:
	flat_load_dword v24, v[0:1]
	v_mov_b32_e32 v25, v13
	v_mov_b32_e32 v26, v13
	;; [unrolled: 1-line block ×3, first 2 shown]
	s_waitcnt vmcnt(0) lgkmcnt(0)
	v_mov_b32_e32 v13, v24
	v_mov_b32_e32 v14, v25
	;; [unrolled: 1-line block ×4, first 2 shown]
.LBB603_266:
	s_or_b32 exec_lo, exec_lo, s4
	v_or_b32_e32 v24, 32, v18
	v_cmp_lt_u32_e64 s4, v24, v119
	s_and_saveexec_b32 s5, s4
	s_cbranch_execz .LBB603_268
; %bb.267:
	flat_load_dword v14, v[0:1] offset:128
.LBB603_268:
	s_or_b32 exec_lo, exec_lo, s5
	v_or_b32_e32 v24, 64, v18
	v_cmp_lt_u32_e64 s5, v24, v119
	s_and_saveexec_b32 s6, s5
	s_cbranch_execz .LBB603_270
; %bb.269:
	flat_load_dword v15, v[0:1] offset:256
.LBB603_270:
	;; [unrolled: 8-line block ×3, first 2 shown]
	s_or_b32 exec_lo, exec_lo, s7
	v_lshlrev_b64 v[0:1], 3, v[8:9]
	v_lshlrev_b32_e32 v8, 3, v64
                                        ; implicit-def: $vgpr28_vgpr29
	v_add_co_u32 v9, s7, v4, v0
	v_add_co_ci_u32_e64 v18, null, v5, v1, s7
	v_lshlrev_b64 v[4:5], 3, v[22:23]
	v_add_co_u32 v8, s7, v9, v8
	v_add_co_ci_u32_e64 v9, null, 0, v18, s7
	v_add_co_u32 v4, s7, v8, v4
	v_add_co_ci_u32_e64 v5, null, v9, v5, s7
	s_and_saveexec_b32 s7, vcc_lo
	s_cbranch_execnz .LBB603_347
; %bb.273:
	s_or_b32 exec_lo, exec_lo, s7
                                        ; implicit-def: $vgpr30_vgpr31
	s_and_saveexec_b32 s7, s4
	s_cbranch_execnz .LBB603_348
.LBB603_274:
	s_or_b32 exec_lo, exec_lo, s7
                                        ; implicit-def: $vgpr24_vgpr25
	s_and_saveexec_b32 s4, s5
	s_cbranch_execnz .LBB603_349
.LBB603_275:
	s_or_b32 exec_lo, exec_lo, s4
                                        ; implicit-def: $vgpr26_vgpr27
	s_and_saveexec_b32 s4, s6
	s_cbranch_execz .LBB603_277
.LBB603_276:
	flat_load_dwordx2 v[26:27], v[4:5] offset:768
.LBB603_277:
	s_or_b32 exec_lo, exec_lo, s4
	v_lshl_add_u32 v4, v21, 5, v12
	v_and_b32_e32 v8, 0x3e0, v21
	v_and_b32_e32 v5, 15, v64
	s_getpc_b64 s[4:5]
	s_add_u32 s4, s4, _ZN7rocprim17ROCPRIM_400000_NS16block_radix_sortIiLj256ELj4ElLj1ELj1ELj8ELNS0_26block_radix_rank_algorithmE2ELNS0_18block_padding_hintE2ELNS0_4arch9wavefront6targetE0EE19radix_bits_per_passE@rel32@lo+4
	s_addc_u32 s5, s5, _ZN7rocprim17ROCPRIM_400000_NS16block_radix_sortIiLj256ELj4ElLj1ELj1ELj8ELNS0_26block_radix_rank_algorithmE2ELNS0_18block_padding_hintE2ELNS0_4arch9wavefront6targetE0EE19radix_bits_per_passE@rel32@hi+12
	v_xor_b32_e32 v87, 0x80000000, v13
	v_add_nc_u32_e32 v18, 32, v4
	v_add_nc_u32_e32 v38, 36, v4
	;; [unrolled: 1-line block ×8, first 2 shown]
	v_min_u32_e32 v4, 0xe0, v8
	v_and_b32_e32 v8, 16, v64
	s_load_dword s23, s[4:5], 0x0
	v_cmp_eq_u32_e32 vcc_lo, 0, v5
	v_cmp_lt_u32_e64 s4, 1, v5
	v_or_b32_e32 v4, 31, v4
	v_cmp_eq_u32_e64 s10, 0, v8
	v_lshlrev_b32_e32 v8, 2, v21
	v_cmp_lt_u32_e64 s5, 3, v5
	v_cmp_lt_u32_e64 s6, 7, v5
	v_sub_co_u32 v5, s7, v64, 1
	v_cmp_eq_u32_e64 s11, v21, v4
	v_lshrrev_b32_e32 v4, 3, v21
	v_and_or_b32 v9, 0xf80, v8, v64
	v_cmp_gt_i32_e64 s14, 0, v5
	s_waitcnt vmcnt(0) lgkmcnt(0)
	v_xor_b32_e32 v33, 0x80000000, v14
	v_xor_b32_e32 v35, 0x80000000, v15
	v_and_b32_e32 v4, 0x7c, v4
	v_lshlrev_b32_e32 v9, 2, v9
	v_cndmask_b32_e64 v5, v5, v64, s14
	v_xor_b32_e32 v37, 0x80000000, v16
	v_lshrrev_b32_e32 v53, 5, v17
	v_add_nc_u32_e32 v65, v12, v4
	v_and_b32_e32 v4, 7, v64
	v_add_nc_u32_e32 v64, v12, v9
	v_cmp_gt_u32_e64 s14, 8, v21
	v_cmp_lt_u32_e64 s15, 31, v21
	v_lshlrev_b32_e32 v55, 2, v5
	v_cmp_eq_u32_e64 s16, 0, v21
	v_add_nc_u32_e32 v66, v64, v9
	v_mov_b32_e32 v5, 0
	v_add_co_u32 v54, null, v12, v8
	v_cmp_eq_u32_e64 s17, 0, v4
	v_cmp_lt_u32_e64 s18, 1, v4
	v_cmp_lt_u32_e64 s19, 3, v4
	v_add_nc_u32_e32 v67, -4, v65
	v_add_nc_u32_e32 v68, 0x80, v64
	v_add_nc_u32_e32 v69, 0x100, v64
	v_add_nc_u32_e32 v70, 0x180, v64
	v_add_nc_u32_e32 v71, 0x100, v66
	v_add_nc_u32_e32 v80, 0x200, v66
	v_add_nc_u32_e32 v81, 0x300, v66
	v_sub_nc_u32_e32 v82, v11, v10
	s_mov_b32 s24, 0
	s_waitcnt_vscnt null, 0x0
	s_barrier
	buffer_gl0_inv
	s_branch .LBB603_279
.LBB603_278:                            ;   in Loop: Header=BB603_279 Depth=1
	s_or_b32 exec_lo, exec_lo, s21
	s_and_b32 s20, exec_lo, s26
	s_or_b32 s24, s20, s24
	s_andn2_b32 exec_lo, exec_lo, s24
	s_cbranch_execz .LBB603_309
.LBB603_279:                            ; =>This Inner Loop Header: Depth=1
	v_min_u32_e32 v4, s23, v82
	v_mov_b32_e32 v83, v87
	v_mov_b32_e32 v13, v28
	v_mov_b32_e32 v14, v29
	v_mov_b32_e32 v86, v33
	v_lshlrev_b32_e64 v4, v4, -1
	v_lshrrev_b32_e32 v8, v10, v83
	v_mov_b32_e32 v84, v37
	v_mov_b32_e32 v85, v35
	ds_write_b32 v18, v5
	ds_write_b32 v38, v5
	v_not_b32_e32 v32, v4
	ds_write_b32 v39, v5
	ds_write_b32 v48, v5
	;; [unrolled: 1-line block ×6, first 2 shown]
	v_and_b32_e32 v4, v8, v32
	v_mov_b32_e32 v8, v30
	v_mov_b32_e32 v9, v31
	s_waitcnt lgkmcnt(0)
	s_barrier
	v_and_b32_e32 v15, 1, v4
	v_lshlrev_b32_e32 v16, 30, v4
	v_lshlrev_b32_e32 v22, 29, v4
	;; [unrolled: 1-line block ×4, first 2 shown]
	v_add_co_u32 v15, s20, v15, -1
	v_cndmask_b32_e64 v28, 0, 1, s20
	v_not_b32_e32 v33, v16
	v_cmp_gt_i32_e64 s21, 0, v16
	v_not_b32_e32 v16, v22
	v_lshlrev_b32_e32 v30, 26, v4
	v_cmp_ne_u32_e64 s20, 0, v28
	v_ashrrev_i32_e32 v33, 31, v33
	v_lshlrev_b32_e32 v31, 25, v4
	v_ashrrev_i32_e32 v16, 31, v16
	v_lshlrev_b32_e32 v28, 24, v4
	v_xor_b32_e32 v15, s20, v15
	v_cmp_gt_i32_e64 s20, 0, v22
	v_not_b32_e32 v22, v23
	v_xor_b32_e32 v33, s21, v33
	v_cmp_gt_i32_e64 s21, 0, v23
	v_and_b32_e32 v15, exec_lo, v15
	v_not_b32_e32 v23, v29
	v_ashrrev_i32_e32 v22, 31, v22
	v_xor_b32_e32 v16, s20, v16
	v_cmp_gt_i32_e64 s20, 0, v29
	v_and_b32_e32 v15, v15, v33
	v_not_b32_e32 v29, v30
	v_ashrrev_i32_e32 v23, 31, v23
	v_xor_b32_e32 v22, s21, v22
	v_cmp_gt_i32_e64 s21, 0, v30
	v_and_b32_e32 v15, v15, v16
	;; [unrolled: 5-line block ×4, first 2 shown]
	v_mov_b32_e32 v22, v24
	v_mov_b32_e32 v23, v25
	v_ashrrev_i32_e32 v24, 31, v30
	v_xor_b32_e32 v25, s20, v16
	v_and_b32_e32 v28, v15, v29
	v_lshl_add_u32 v4, v4, 3, v53
	v_mov_b32_e32 v15, v26
	v_xor_b32_e32 v24, s21, v24
	v_mov_b32_e32 v16, v27
	v_and_b32_e32 v25, v28, v25
	v_lshlrev_b64 v[26:27], 2, v[4:5]
	buffer_gl0_inv
	; wave barrier
	v_and_b32_e32 v25, v25, v24
	v_add_co_u32 v24, null, v12, v26
	v_mbcnt_lo_u32_b32 v4, v25, 0
	v_cmp_ne_u32_e64 s21, 0, v25
	v_add_co_u32 v24, null, v24, 32
	v_cmp_eq_u32_e64 s20, 0, v4
	s_and_b32 s21, s21, s20
	s_and_saveexec_b32 s20, s21
; %bb.280:                              ;   in Loop: Header=BB603_279 Depth=1
	v_bcnt_u32_b32 v25, v25, 0
	ds_write_b32 v24, v25
; %bb.281:                              ;   in Loop: Header=BB603_279 Depth=1
	s_or_b32 exec_lo, exec_lo, s20
	v_lshrrev_b32_e32 v25, v10, v86
	; wave barrier
	v_and_b32_e32 v25, v25, v32
	v_and_b32_e32 v26, 1, v25
	v_lshlrev_b32_e32 v27, 30, v25
	v_lshlrev_b32_e32 v28, 29, v25
	;; [unrolled: 1-line block ×4, first 2 shown]
	v_add_co_u32 v26, s20, v26, -1
	v_cndmask_b32_e64 v30, 0, 1, s20
	v_not_b32_e32 v35, v27
	v_cmp_gt_i32_e64 s21, 0, v27
	v_not_b32_e32 v27, v28
	v_lshlrev_b32_e32 v33, 26, v25
	v_cmp_ne_u32_e64 s20, 0, v30
	v_ashrrev_i32_e32 v35, 31, v35
	v_lshlrev_b32_e32 v34, 25, v25
	v_ashrrev_i32_e32 v27, 31, v27
	v_lshlrev_b32_e32 v30, 24, v25
	v_xor_b32_e32 v26, s20, v26
	v_cmp_gt_i32_e64 s20, 0, v28
	v_not_b32_e32 v28, v29
	v_xor_b32_e32 v35, s21, v35
	v_cmp_gt_i32_e64 s21, 0, v29
	v_and_b32_e32 v26, exec_lo, v26
	v_not_b32_e32 v29, v31
	v_ashrrev_i32_e32 v28, 31, v28
	v_xor_b32_e32 v27, s20, v27
	v_cmp_gt_i32_e64 s20, 0, v31
	v_and_b32_e32 v26, v26, v35
	v_not_b32_e32 v31, v33
	v_ashrrev_i32_e32 v29, 31, v29
	v_xor_b32_e32 v28, s21, v28
	v_cmp_gt_i32_e64 s21, 0, v33
	v_and_b32_e32 v26, v26, v27
	;; [unrolled: 5-line block ×3, first 2 shown]
	v_not_b32_e32 v28, v30
	v_ashrrev_i32_e32 v27, 31, v27
	v_xor_b32_e32 v31, s21, v31
	v_lshl_add_u32 v25, v25, 3, v53
	v_and_b32_e32 v26, v26, v29
	v_cmp_gt_i32_e64 s21, 0, v30
	v_ashrrev_i32_e32 v28, 31, v28
	v_xor_b32_e32 v27, s20, v27
	v_lshl_add_u32 v29, v25, 2, v12
	v_and_b32_e32 v26, v26, v31
	v_xor_b32_e32 v28, s21, v28
	ds_read_b32 v25, v29 offset:32
	v_and_b32_e32 v26, v26, v27
	v_add_nc_u32_e32 v27, 32, v29
	; wave barrier
	v_and_b32_e32 v28, v26, v28
	v_mbcnt_lo_u32_b32 v26, v28, 0
	v_cmp_ne_u32_e64 s21, 0, v28
	v_cmp_eq_u32_e64 s20, 0, v26
	s_and_b32 s21, s21, s20
	s_and_saveexec_b32 s20, s21
	s_cbranch_execz .LBB603_283
; %bb.282:                              ;   in Loop: Header=BB603_279 Depth=1
	s_waitcnt lgkmcnt(0)
	v_bcnt_u32_b32 v28, v28, v25
	ds_write_b32 v27, v28
.LBB603_283:                            ;   in Loop: Header=BB603_279 Depth=1
	s_or_b32 exec_lo, exec_lo, s20
	v_lshrrev_b32_e32 v28, v10, v85
	; wave barrier
	v_and_b32_e32 v28, v28, v32
	v_and_b32_e32 v29, 1, v28
	v_lshlrev_b32_e32 v30, 30, v28
	v_lshlrev_b32_e32 v31, 29, v28
	;; [unrolled: 1-line block ×4, first 2 shown]
	v_add_co_u32 v29, s20, v29, -1
	v_cndmask_b32_e64 v34, 0, 1, s20
	v_not_b32_e32 v87, v30
	v_cmp_gt_i32_e64 s21, 0, v30
	v_not_b32_e32 v30, v31
	v_lshlrev_b32_e32 v36, 26, v28
	v_cmp_ne_u32_e64 s20, 0, v34
	v_ashrrev_i32_e32 v87, 31, v87
	v_lshlrev_b32_e32 v37, 25, v28
	v_ashrrev_i32_e32 v30, 31, v30
	v_lshlrev_b32_e32 v34, 24, v28
	v_xor_b32_e32 v29, s20, v29
	v_cmp_gt_i32_e64 s20, 0, v31
	v_not_b32_e32 v31, v33
	v_xor_b32_e32 v87, s21, v87
	v_cmp_gt_i32_e64 s21, 0, v33
	v_and_b32_e32 v29, exec_lo, v29
	v_not_b32_e32 v33, v35
	v_ashrrev_i32_e32 v31, 31, v31
	v_xor_b32_e32 v30, s20, v30
	v_cmp_gt_i32_e64 s20, 0, v35
	v_and_b32_e32 v29, v29, v87
	v_not_b32_e32 v35, v36
	v_ashrrev_i32_e32 v33, 31, v33
	v_xor_b32_e32 v31, s21, v31
	v_cmp_gt_i32_e64 s21, 0, v36
	v_and_b32_e32 v29, v29, v30
	;; [unrolled: 5-line block ×3, first 2 shown]
	v_not_b32_e32 v31, v34
	v_ashrrev_i32_e32 v30, 31, v30
	v_xor_b32_e32 v35, s21, v35
	v_lshl_add_u32 v28, v28, 3, v53
	v_and_b32_e32 v29, v29, v33
	v_cmp_gt_i32_e64 s21, 0, v34
	v_ashrrev_i32_e32 v31, 31, v31
	v_xor_b32_e32 v30, s20, v30
	v_lshl_add_u32 v33, v28, 2, v12
	v_and_b32_e32 v29, v29, v35
	v_xor_b32_e32 v31, s21, v31
	ds_read_b32 v28, v33 offset:32
	v_and_b32_e32 v29, v29, v30
	v_add_nc_u32_e32 v30, 32, v33
	; wave barrier
	v_and_b32_e32 v31, v29, v31
	v_mbcnt_lo_u32_b32 v29, v31, 0
	v_cmp_ne_u32_e64 s21, 0, v31
	v_cmp_eq_u32_e64 s20, 0, v29
	s_and_b32 s21, s21, s20
	s_and_saveexec_b32 s20, s21
	s_cbranch_execz .LBB603_285
; %bb.284:                              ;   in Loop: Header=BB603_279 Depth=1
	s_waitcnt lgkmcnt(0)
	v_bcnt_u32_b32 v31, v31, v28
	ds_write_b32 v30, v31
.LBB603_285:                            ;   in Loop: Header=BB603_279 Depth=1
	s_or_b32 exec_lo, exec_lo, s20
	v_lshrrev_b32_e32 v31, v10, v84
	; wave barrier
	v_and_b32_e32 v31, v31, v32
	v_and_b32_e32 v32, 1, v31
	v_lshlrev_b32_e32 v33, 30, v31
	v_lshlrev_b32_e32 v34, 29, v31
	v_lshlrev_b32_e32 v35, 28, v31
	v_lshlrev_b32_e32 v37, 27, v31
	v_add_co_u32 v32, s20, v32, -1
	v_cndmask_b32_e64 v36, 0, 1, s20
	v_not_b32_e32 v97, v33
	v_cmp_gt_i32_e64 s21, 0, v33
	v_not_b32_e32 v33, v34
	v_lshlrev_b32_e32 v87, 26, v31
	v_cmp_ne_u32_e64 s20, 0, v36
	v_ashrrev_i32_e32 v97, 31, v97
	v_lshlrev_b32_e32 v96, 25, v31
	v_ashrrev_i32_e32 v33, 31, v33
	v_lshlrev_b32_e32 v36, 24, v31
	v_xor_b32_e32 v32, s20, v32
	v_cmp_gt_i32_e64 s20, 0, v34
	v_not_b32_e32 v34, v35
	v_xor_b32_e32 v97, s21, v97
	v_cmp_gt_i32_e64 s21, 0, v35
	v_and_b32_e32 v32, exec_lo, v32
	v_not_b32_e32 v35, v37
	v_ashrrev_i32_e32 v34, 31, v34
	v_xor_b32_e32 v33, s20, v33
	v_cmp_gt_i32_e64 s20, 0, v37
	v_and_b32_e32 v32, v32, v97
	v_not_b32_e32 v37, v87
	v_ashrrev_i32_e32 v35, 31, v35
	v_xor_b32_e32 v34, s21, v34
	v_cmp_gt_i32_e64 s21, 0, v87
	v_and_b32_e32 v32, v32, v33
	;; [unrolled: 5-line block ×3, first 2 shown]
	v_not_b32_e32 v34, v36
	v_ashrrev_i32_e32 v33, 31, v33
	v_xor_b32_e32 v37, s21, v37
	v_lshl_add_u32 v31, v31, 3, v53
	v_and_b32_e32 v32, v32, v35
	v_cmp_gt_i32_e64 s21, 0, v36
	v_ashrrev_i32_e32 v34, 31, v34
	v_xor_b32_e32 v33, s20, v33
	v_lshl_add_u32 v35, v31, 2, v12
	v_and_b32_e32 v32, v32, v37
	v_xor_b32_e32 v34, s21, v34
	ds_read_b32 v31, v35 offset:32
	v_and_b32_e32 v32, v32, v33
	; wave barrier
	v_and_b32_e32 v33, v32, v34
	v_add_nc_u32_e32 v32, 32, v35
	v_mbcnt_lo_u32_b32 v36, v33, 0
	v_cmp_ne_u32_e64 s21, 0, v33
	v_cmp_eq_u32_e64 s20, 0, v36
	s_and_b32 s21, s21, s20
	s_and_saveexec_b32 s20, s21
	s_cbranch_execz .LBB603_287
; %bb.286:                              ;   in Loop: Header=BB603_279 Depth=1
	s_waitcnt lgkmcnt(0)
	v_bcnt_u32_b32 v33, v33, v31
	ds_write_b32 v32, v33
.LBB603_287:                            ;   in Loop: Header=BB603_279 Depth=1
	s_or_b32 exec_lo, exec_lo, s20
	; wave barrier
	s_waitcnt lgkmcnt(0)
	s_barrier
	buffer_gl0_inv
	ds_read_b32 v34, v18
	ds_read_b32 v35, v38
	ds_read_b32 v37, v39
	ds_read_b32 v87, v48
	ds_read_b32 v96, v49
	ds_read_b32 v97, v50
	ds_read_b32 v33, v51
	ds_read_b32 v98, v52
	s_waitcnt lgkmcnt(6)
	v_add_nc_u32_e32 v99, v35, v34
	s_waitcnt lgkmcnt(4)
	v_add3_u32 v99, v99, v37, v87
	s_waitcnt lgkmcnt(2)
	v_add3_u32 v99, v99, v96, v97
	;; [unrolled: 2-line block ×3, first 2 shown]
	v_mov_b32_dpp v99, v98 row_shr:1 row_mask:0xf bank_mask:0xf
	v_cndmask_b32_e64 v99, v99, 0, vcc_lo
	v_add_nc_u32_e32 v98, v99, v98
	v_mov_b32_dpp v99, v98 row_shr:2 row_mask:0xf bank_mask:0xf
	v_cndmask_b32_e64 v99, 0, v99, s4
	v_add_nc_u32_e32 v98, v98, v99
	v_mov_b32_dpp v99, v98 row_shr:4 row_mask:0xf bank_mask:0xf
	v_cndmask_b32_e64 v99, 0, v99, s5
	;; [unrolled: 3-line block ×3, first 2 shown]
	v_add_nc_u32_e32 v98, v98, v99
	ds_swizzle_b32 v99, v98 offset:swizzle(BROADCAST,32,15)
	s_waitcnt lgkmcnt(0)
	v_cndmask_b32_e64 v99, v99, 0, s10
	v_add_nc_u32_e32 v98, v98, v99
	s_and_saveexec_b32 s20, s11
; %bb.288:                              ;   in Loop: Header=BB603_279 Depth=1
	ds_write_b32 v65, v98
; %bb.289:                              ;   in Loop: Header=BB603_279 Depth=1
	s_or_b32 exec_lo, exec_lo, s20
	s_waitcnt lgkmcnt(0)
	s_barrier
	buffer_gl0_inv
	s_and_saveexec_b32 s20, s14
	s_cbranch_execz .LBB603_291
; %bb.290:                              ;   in Loop: Header=BB603_279 Depth=1
	ds_read_b32 v99, v54
	s_waitcnt lgkmcnt(0)
	v_mov_b32_dpp v100, v99 row_shr:1 row_mask:0xf bank_mask:0xf
	v_cndmask_b32_e64 v100, v100, 0, s17
	v_add_nc_u32_e32 v99, v100, v99
	v_mov_b32_dpp v100, v99 row_shr:2 row_mask:0xf bank_mask:0xf
	v_cndmask_b32_e64 v100, 0, v100, s18
	v_add_nc_u32_e32 v99, v99, v100
	;; [unrolled: 3-line block ×3, first 2 shown]
	ds_write_b32 v54, v99
.LBB603_291:                            ;   in Loop: Header=BB603_279 Depth=1
	s_or_b32 exec_lo, exec_lo, s20
	v_mov_b32_e32 v99, 0
	s_waitcnt lgkmcnt(0)
	s_barrier
	buffer_gl0_inv
	s_and_saveexec_b32 s20, s15
; %bb.292:                              ;   in Loop: Header=BB603_279 Depth=1
	ds_read_b32 v99, v67
; %bb.293:                              ;   in Loop: Header=BB603_279 Depth=1
	s_or_b32 exec_lo, exec_lo, s20
	s_waitcnt lgkmcnt(0)
	v_add_nc_u32_e32 v98, v99, v98
	v_add_nc_u32_e32 v10, 8, v10
	s_mov_b32 s26, -1
	s_mov_b32 s21, exec_lo
	ds_bpermute_b32 v98, v55, v98
	s_waitcnt lgkmcnt(0)
	v_cndmask_b32_e64 v98, v98, v99, s7
	v_cndmask_b32_e64 v98, v98, 0, s16
	v_add_nc_u32_e32 v34, v98, v34
	v_add_nc_u32_e32 v35, v34, v35
	ds_write_b32 v18, v98
	ds_write_b32 v38, v34
	;; [unrolled: 1-line block ×3, first 2 shown]
	v_add_nc_u32_e32 v37, v35, v37
	v_mov_b32_e32 v35, v5
	v_add_nc_u32_e32 v87, v37, v87
	v_add_nc_u32_e32 v96, v87, v96
	;; [unrolled: 1-line block ×4, first 2 shown]
	ds_write_b32 v48, v37
	ds_write_b32 v49, v87
	;; [unrolled: 1-line block ×5, first 2 shown]
	s_waitcnt lgkmcnt(0)
	s_barrier
	buffer_gl0_inv
	ds_read_b32 v24, v24
	ds_read_b32 v27, v27
	;; [unrolled: 1-line block ×4, first 2 shown]
	v_mov_b32_e32 v33, v5
	v_mov_b32_e32 v37, v5
	s_waitcnt lgkmcnt(0)
	v_add_nc_u32_e32 v4, v24, v4
	v_add3_u32 v32, v26, v25, v27
	v_add3_u32 v34, v29, v28, v30
	v_add3_u32 v36, v36, v31, v87
                                        ; implicit-def: $vgpr87
                                        ; implicit-def: $vgpr30_vgpr31
	v_lshlrev_b64 v[24:25], 2, v[4:5]
	v_lshlrev_b64 v[25:26], 2, v[32:33]
	;; [unrolled: 1-line block ×4, first 2 shown]
                                        ; implicit-def: $vgpr37
                                        ; implicit-def: $vgpr35
                                        ; implicit-def: $vgpr33
                                        ; implicit-def: $vgpr28_vgpr29
	v_add_co_u32 v99, null, v12, v24
	v_add_co_u32 v98, null, v12, v25
	;; [unrolled: 1-line block ×4, first 2 shown]
                                        ; implicit-def: $vgpr24_vgpr25
                                        ; implicit-def: $vgpr26_vgpr27
	v_cmpx_lt_u32_e64 v10, v11
	s_cbranch_execz .LBB603_278
; %bb.294:                              ;   in Loop: Header=BB603_279 Depth=1
	v_lshl_add_u32 v24, v4, 2, v99
	v_lshl_add_u32 v25, v32, 2, v98
	v_lshl_add_u32 v26, v34, 2, v97
	v_lshl_add_u32 v27, v36, 2, v96
	s_barrier
	buffer_gl0_inv
	ds_write_b32 v99, v83
	ds_write_b32 v98, v86
	ds_write_b32 v97, v85
	ds_write_b32 v96, v84
	s_waitcnt lgkmcnt(0)
	s_barrier
	buffer_gl0_inv
	ds_read_b32 v87, v64
	ds_read_b32 v33, v68
	;; [unrolled: 1-line block ×4, first 2 shown]
	s_waitcnt lgkmcnt(0)
	s_barrier
	buffer_gl0_inv
	ds_write_b64 v24, v[13:14]
	ds_write_b64 v25, v[8:9]
	ds_write_b64 v26, v[22:23]
	ds_write_b64 v27, v[15:16]
	s_waitcnt lgkmcnt(0)
	s_barrier
	buffer_gl0_inv
	ds_read_b64 v[28:29], v66
	ds_read_b64 v[30:31], v71
	;; [unrolled: 1-line block ×4, first 2 shown]
	v_add_nc_u32_e32 v82, -8, v82
	s_xor_b32 s26, exec_lo, -1
	s_waitcnt lgkmcnt(0)
	s_barrier
	buffer_gl0_inv
	s_branch .LBB603_278
.LBB603_295:
	flat_load_dwordx2 v[34:35], v[4:5]
	s_or_b32 exec_lo, exec_lo, s15
                                        ; implicit-def: $vgpr38_vgpr39
	s_and_saveexec_b32 s15, s4
	s_cbranch_execz .LBB603_171
.LBB603_296:
	flat_load_dwordx2 v[38:39], v[4:5] offset:256
	s_or_b32 exec_lo, exec_lo, s15
                                        ; implicit-def: $vgpr48_vgpr49
	s_and_saveexec_b32 s4, s5
	s_cbranch_execz .LBB603_172
.LBB603_297:
	flat_load_dwordx2 v[48:49], v[4:5] offset:512
	s_or_b32 exec_lo, exec_lo, s4
                                        ; implicit-def: $vgpr50_vgpr51
	s_and_saveexec_b32 s4, s6
	s_cbranch_execz .LBB603_173
.LBB603_298:
	flat_load_dwordx2 v[50:51], v[4:5] offset:768
	s_or_b32 exec_lo, exec_lo, s4
                                        ; implicit-def: $vgpr52_vgpr53
	s_and_saveexec_b32 s4, s7
	s_cbranch_execz .LBB603_174
.LBB603_299:
	flat_load_dwordx2 v[52:53], v[4:5] offset:1024
	s_or_b32 exec_lo, exec_lo, s4
                                        ; implicit-def: $vgpr54_vgpr55
	s_and_saveexec_b32 s4, s10
	s_cbranch_execz .LBB603_175
.LBB603_300:
	flat_load_dwordx2 v[54:55], v[4:5] offset:1280
	s_or_b32 exec_lo, exec_lo, s4
                                        ; implicit-def: $vgpr32_vgpr33
	s_and_saveexec_b32 s4, s11
	s_cbranch_execz .LBB603_176
.LBB603_301:
	flat_load_dwordx2 v[32:33], v[4:5] offset:1536
	s_or_b32 exec_lo, exec_lo, s4
                                        ; implicit-def: $vgpr36_vgpr37
	s_and_saveexec_b32 s4, s14
	s_cbranch_execnz .LBB603_177
	s_branch .LBB603_178
.LBB603_302:
	flat_store_dwordx2 v[0:1], v[20:21]
	s_or_b32 exec_lo, exec_lo, s15
	s_and_saveexec_b32 s15, s5
	s_cbranch_execz .LBB603_254
.LBB603_303:
	v_add_co_u32 v2, vcc_lo, 0x800, v0
	v_add_co_ci_u32_e64 v3, null, 0, v1, vcc_lo
	flat_store_dwordx2 v[2:3], v[22:23]
	s_or_b32 exec_lo, exec_lo, s15
	s_and_saveexec_b32 s5, s4
	s_cbranch_execz .LBB603_255
.LBB603_304:
	v_add_co_u32 v2, vcc_lo, 0x1000, v0
	v_add_co_ci_u32_e64 v3, null, 0, v1, vcc_lo
	flat_store_dwordx2 v[2:3], v[16:17]
	s_or_b32 exec_lo, exec_lo, s5
	s_and_saveexec_b32 s4, s6
	s_cbranch_execz .LBB603_256
.LBB603_305:
	v_add_co_u32 v2, vcc_lo, 0x1800, v0
	v_add_co_ci_u32_e64 v3, null, 0, v1, vcc_lo
	flat_store_dwordx2 v[2:3], v[18:19]
	s_or_b32 exec_lo, exec_lo, s4
	s_and_saveexec_b32 s4, s7
	s_cbranch_execz .LBB603_257
.LBB603_306:
	v_add_co_u32 v2, vcc_lo, 0x2000, v0
	v_add_co_ci_u32_e64 v3, null, 0, v1, vcc_lo
	flat_store_dwordx2 v[2:3], v[12:13]
	s_or_b32 exec_lo, exec_lo, s4
	s_and_saveexec_b32 s4, s10
	s_cbranch_execz .LBB603_258
.LBB603_307:
	v_add_co_u32 v2, vcc_lo, 0x2800, v0
	v_add_co_ci_u32_e64 v3, null, 0, v1, vcc_lo
	flat_store_dwordx2 v[2:3], v[14:15]
	s_or_b32 exec_lo, exec_lo, s4
	s_and_saveexec_b32 s4, s11
	s_cbranch_execz .LBB603_259
.LBB603_308:
	v_add_co_u32 v2, vcc_lo, 0x3000, v0
	v_add_co_ci_u32_e64 v3, null, 0, v1, vcc_lo
	flat_store_dwordx2 v[2:3], v[8:9]
	s_or_b32 exec_lo, exec_lo, s4
	s_and_saveexec_b32 s4, s14
	s_cbranch_execnz .LBB603_260
	s_branch .LBB603_261
.LBB603_309:
	s_or_b32 exec_lo, exec_lo, s24
	v_lshl_add_u32 v4, v4, 2, v99
	v_lshl_add_u32 v5, v32, 2, v98
	;; [unrolled: 1-line block ×3, first 2 shown]
	s_barrier
	buffer_gl0_inv
	ds_write_b32 v99, v83
	ds_write_b32 v98, v86
	;; [unrolled: 1-line block ×4, first 2 shown]
	s_waitcnt lgkmcnt(0)
	s_barrier
	buffer_gl0_inv
	ds_read2st64_b32 v[26:27], v54 offset1:4
	ds_read2st64_b32 v[24:25], v54 offset0:8 offset1:12
	s_waitcnt lgkmcnt(0)
	s_barrier
	buffer_gl0_inv
	v_lshl_add_u32 v11, v36, 2, v96
	ds_write_b64 v4, v[13:14]
	ds_write_b64 v5, v[8:9]
	;; [unrolled: 1-line block ×3, first 2 shown]
	v_lshl_add_u32 v4, v21, 3, v12
	v_mov_b32_e32 v18, 0
	v_add_co_u32 v2, vcc_lo, v2, v19
	ds_write_b64 v11, v[15:16]
	s_waitcnt lgkmcnt(0)
	s_barrier
	buffer_gl0_inv
	ds_read2st64_b64 v[12:15], v4 offset1:4
	ds_read2st64_b64 v[8:11], v4 offset0:8 offset1:12
	v_lshlrev_b64 v[4:5], 2, v[17:18]
	v_add_co_ci_u32_e64 v3, null, v3, v20, vcc_lo
	s_waitcnt lgkmcnt(0)
	s_barrier
	buffer_gl0_inv
	v_add_co_u32 v2, vcc_lo, v2, v4
	v_add_co_ci_u32_e64 v3, null, v3, v5, vcc_lo
	v_cmp_lt_u32_e32 vcc_lo, v17, v119
	s_and_saveexec_b32 s4, vcc_lo
	s_cbranch_execz .LBB603_311
; %bb.310:
	v_xor_b32_e32 v4, 0x80000000, v26
	flat_store_dword v[2:3], v4
.LBB603_311:
	s_or_b32 exec_lo, exec_lo, s4
	v_add_nc_u32_e32 v4, 0x100, v17
	v_cmp_lt_u32_e64 s5, v4, v119
	s_and_saveexec_b32 s4, s5
	s_cbranch_execz .LBB603_313
; %bb.312:
	v_xor_b32_e32 v4, 0x80000000, v27
	flat_store_dword v[2:3], v4 offset:1024
.LBB603_313:
	s_or_b32 exec_lo, exec_lo, s4
	v_add_nc_u32_e32 v4, 0x200, v17
	v_cmp_lt_u32_e64 s4, v4, v119
	s_and_saveexec_b32 s7, s4
	s_cbranch_execz .LBB603_315
; %bb.314:
	v_add_co_u32 v4, s6, 0x800, v2
	v_xor_b32_e32 v16, 0x80000000, v24
	v_add_co_ci_u32_e64 v5, null, 0, v3, s6
	flat_store_dword v[4:5], v16
.LBB603_315:
	s_or_b32 exec_lo, exec_lo, s7
	v_add_nc_u32_e32 v4, 0x300, v17
	v_cmp_lt_u32_e64 s6, v4, v119
	s_and_saveexec_b32 s10, s6
	s_cbranch_execz .LBB603_317
; %bb.316:
	v_add_co_u32 v2, s7, 0x800, v2
	v_xor_b32_e32 v4, 0x80000000, v25
	v_add_co_ci_u32_e64 v3, null, 0, v3, s7
	flat_store_dword v[2:3], v4 offset:1024
.LBB603_317:
	s_or_b32 exec_lo, exec_lo, s10
	v_lshlrev_b64 v[2:3], 3, v[17:18]
	v_add_co_u32 v0, s7, v6, v0
	v_add_co_ci_u32_e64 v1, null, v7, v1, s7
	v_add_co_u32 v0, s7, v0, v2
	v_add_co_ci_u32_e64 v1, null, v1, v3, s7
	s_and_saveexec_b32 s7, vcc_lo
	s_cbranch_execnz .LBB603_350
; %bb.318:
	s_or_b32 exec_lo, exec_lo, s7
	s_and_saveexec_b32 s7, s5
	s_cbranch_execnz .LBB603_351
.LBB603_319:
	s_or_b32 exec_lo, exec_lo, s7
	s_and_saveexec_b32 s5, s4
	s_cbranch_execnz .LBB603_352
.LBB603_320:
	s_or_b32 exec_lo, exec_lo, s5
	s_and_saveexec_b32 s4, s6
	s_cbranch_execz .LBB603_322
.LBB603_321:
	v_add_co_u32 v0, vcc_lo, 0x1800, v0
	v_add_co_ci_u32_e64 v1, null, 0, v1, vcc_lo
	flat_store_dwordx2 v[0:1], v[10:11]
.LBB603_322:
	s_or_b32 exec_lo, exec_lo, s4
                                        ; implicit-def: $vgpr119
                                        ; implicit-def: $vgpr0
                                        ; implicit-def: $vgpr1
                                        ; implicit-def: $vgpr2
                                        ; implicit-def: $vgpr3
                                        ; implicit-def: $vgpr4
                                        ; implicit-def: $vgpr5
                                        ; implicit-def: $vgpr6
                                        ; implicit-def: $vgpr7
                                        ; implicit-def: $vgpr8
                                        ; implicit-def: $vgpr10
                                        ; implicit-def: $vgpr11
                                        ; implicit-def: $vgpr12
                                        ; implicit-def: $vgpr13
                                        ; implicit-def: $vgpr14
                                        ; implicit-def: $vgpr21
                                        ; implicit-def: $vgpr64
.LBB603_323:
	s_andn2_saveexec_b32 s4, s22
	s_cbranch_execz .LBB603_382
; %bb.324:
	s_load_dwordx2 s[4:5], s[8:9], 0x0
	v_mov_b32_e32 v9, 0
	s_waitcnt lgkmcnt(0)
	s_cmp_lt_u32 s13, s5
	s_cselect_b32 s5, 14, 20
	s_add_u32 s6, s8, s5
	s_addc_u32 s7, s9, 0
	s_cmp_lt_u32 s12, s4
	global_load_ushort v15, v9, s[6:7]
	s_cselect_b32 s4, 12, 18
	s_add_u32 s4, s8, s4
	s_addc_u32 s5, s9, 0
	global_load_ushort v16, v9, s[4:5]
	s_mov_b32 s4, exec_lo
	s_waitcnt vmcnt(1)
	v_mad_u32_u24 v13, v14, v15, v13
	s_waitcnt vmcnt(0)
	v_mad_u64_u32 v[13:14], null, v13, v16, v[21:22]
	v_lshlrev_b64 v[15:16], 2, v[8:9]
	v_cmpx_lt_u32_e32 0x100, v119
	s_xor_b32 s18, exec_lo, s4
	s_cbranch_execz .LBB603_362
; %bb.325:
	v_lshlrev_b32_e32 v14, 1, v13
	v_mov_b32_e32 v20, v9
	v_lshlrev_b32_e32 v18, 2, v64
	v_bfrev_b32_e32 v17, -2
	v_and_b32_e32 v19, 0xffffffc0, v14
	v_add_co_u32 v14, vcc_lo, v0, v15
	v_add_co_ci_u32_e64 v22, null, v1, v16, vcc_lo
	v_lshlrev_b64 v[0:1], 2, v[19:20]
	v_add_co_u32 v18, vcc_lo, v14, v18
	v_add_co_ci_u32_e64 v22, null, 0, v22, vcc_lo
	v_or_b32_e32 v14, v64, v19
	v_add_co_u32 v0, vcc_lo, v18, v0
	v_add_co_ci_u32_e64 v1, null, v22, v1, vcc_lo
	v_cmp_lt_u32_e32 vcc_lo, v14, v119
	v_mov_b32_e32 v18, v17
	s_and_saveexec_b32 s4, vcc_lo
	s_cbranch_execz .LBB603_327
; %bb.326:
	flat_load_dword v22, v[0:1]
	v_mov_b32_e32 v23, v17
	s_waitcnt vmcnt(0) lgkmcnt(0)
	v_mov_b32_e32 v17, v22
	v_mov_b32_e32 v18, v23
.LBB603_327:
	s_or_b32 exec_lo, exec_lo, s4
	v_or_b32_e32 v14, 32, v14
	v_cmp_lt_u32_e64 s4, v14, v119
	s_and_saveexec_b32 s5, s4
	s_cbranch_execz .LBB603_329
; %bb.328:
	flat_load_dword v18, v[0:1] offset:128
.LBB603_329:
	s_or_b32 exec_lo, exec_lo, s5
	v_lshlrev_b64 v[0:1], 3, v[8:9]
	v_lshlrev_b32_e32 v14, 3, v64
	v_lshlrev_b64 v[8:9], 3, v[19:20]
	v_mov_b32_e32 v22, 0
	v_mov_b32_e32 v19, 0
	;; [unrolled: 1-line block ×3, first 2 shown]
	v_add_co_u32 v4, s5, v4, v0
	v_add_co_ci_u32_e64 v5, null, v5, v1, s5
	v_mov_b32_e32 v20, 0
	v_add_co_u32 v4, s5, v4, v14
	v_add_co_ci_u32_e64 v5, null, 0, v5, s5
	v_add_co_u32 v4, s5, v4, v8
	v_add_co_ci_u32_e64 v5, null, v5, v9, s5
	s_and_saveexec_b32 s5, vcc_lo
	s_cbranch_execz .LBB603_331
; %bb.330:
	flat_load_dwordx2 v[19:20], v[4:5]
.LBB603_331:
	s_or_b32 exec_lo, exec_lo, s5
	s_and_saveexec_b32 s5, s4
	s_cbranch_execz .LBB603_333
; %bb.332:
	flat_load_dwordx2 v[22:23], v[4:5] offset:256
.LBB603_333:
	s_or_b32 exec_lo, exec_lo, s5
	v_lshl_add_u32 v4, v21, 5, v12
	v_and_b32_e32 v8, 0x3e0, v21
	v_and_b32_e32 v5, 15, v64
	s_getpc_b64 s[4:5]
	s_add_u32 s4, s4, _ZN7rocprim17ROCPRIM_400000_NS16block_radix_sortIiLj256ELj2ElLj1ELj1ELj8ELNS0_26block_radix_rank_algorithmE2ELNS0_18block_padding_hintE2ELNS0_4arch9wavefront6targetE0EE19radix_bits_per_passE@rel32@lo+4
	s_addc_u32 s5, s5, _ZN7rocprim17ROCPRIM_400000_NS16block_radix_sortIiLj256ELj2ElLj1ELj1ELj8ELNS0_26block_radix_rank_algorithmE2ELNS0_18block_padding_hintE2ELNS0_4arch9wavefront6targetE0EE19radix_bits_per_passE@rel32@hi+12
	v_and_b32_e32 v9, 7, v64
	v_add_nc_u32_e32 v14, 32, v4
	v_add_nc_u32_e32 v26, 36, v4
	;; [unrolled: 1-line block ×8, first 2 shown]
	v_min_u32_e32 v4, 0xe0, v8
	v_and_b32_e32 v8, 16, v64
	s_load_dword s19, s[4:5], 0x0
	v_cmp_eq_u32_e32 vcc_lo, 0, v5
	v_cmp_lt_u32_e64 s4, 1, v5
	v_or_b32_e32 v4, 31, v4
	v_cmp_eq_u32_e64 s8, 0, v8
	v_lshlrev_b32_e32 v8, 1, v21
	v_cmp_lt_u32_e64 s5, 3, v5
	v_cmp_lt_u32_e64 s6, 7, v5
	v_sub_co_u32 v5, s7, v64, 1
	v_and_or_b32 v8, 0x7c0, v8, v64
	v_cmp_eq_u32_e64 s9, v21, v4
	v_lshrrev_b32_e32 v4, 3, v21
	v_cmp_gt_i32_e64 s10, 0, v5
	v_xor_b32_e32 v53, 0x80000000, v17
	v_lshlrev_b32_e32 v8, 2, v8
	s_waitcnt vmcnt(0) lgkmcnt(0)
	v_xor_b32_e32 v25, 0x80000000, v18
	v_and_b32_e32 v4, 0x7c, v4
	v_cndmask_b32_e64 v5, v5, v64, s10
	v_lshrrev_b32_e32 v33, 5, v13
	v_add_nc_u32_e32 v37, v12, v8
	v_cmp_gt_u32_e64 s10, 8, v21
	v_add_nc_u32_e32 v36, v12, v4
	v_lshlrev_b32_e32 v4, 2, v21
	v_cmp_lt_u32_e64 s11, 31, v21
	v_add_nc_u32_e32 v38, v37, v8
	v_lshlrev_b32_e32 v35, 2, v5
	v_cmp_eq_u32_e64 s12, 0, v21
	v_mov_b32_e32 v5, 0
	v_add_co_u32 v34, null, v12, v4
	v_cmp_eq_u32_e64 s13, 0, v9
	v_cmp_lt_u32_e64 s14, 1, v9
	v_cmp_lt_u32_e64 s15, 3, v9
	v_add_nc_u32_e32 v39, -4, v36
	v_add_nc_u32_e32 v48, 0x80, v37
	v_add_nc_u32_e32 v49, 0x100, v38
	v_sub_nc_u32_e32 v50, v11, v10
	s_mov_b32 s20, 0
	s_waitcnt_vscnt null, 0x0
	s_barrier
	buffer_gl0_inv
	s_branch .LBB603_335
.LBB603_334:                            ;   in Loop: Header=BB603_335 Depth=1
	s_or_b32 exec_lo, exec_lo, s17
	s_and_b32 s16, exec_lo, s21
	s_or_b32 s20, s16, s20
	s_andn2_b32 exec_lo, exec_lo, s20
	s_cbranch_execz .LBB603_353
.LBB603_335:                            ; =>This Inner Loop Header: Depth=1
	v_min_u32_e32 v4, s19, v50
	v_mov_b32_e32 v51, v53
	v_mov_b32_e32 v52, v25
	ds_write_b32 v14, v5
	ds_write_b32 v26, v5
	;; [unrolled: 1-line block ×3, first 2 shown]
	v_lshlrev_b32_e64 v4, v4, -1
	v_lshrrev_b32_e32 v8, v10, v51
	ds_write_b32 v28, v5
	ds_write_b32 v29, v5
	;; [unrolled: 1-line block ×5, first 2 shown]
	v_not_b32_e32 v24, v4
	s_waitcnt lgkmcnt(0)
	s_barrier
	buffer_gl0_inv
	v_and_b32_e32 v4, v8, v24
	; wave barrier
	v_and_b32_e32 v8, 1, v4
	v_lshlrev_b32_e32 v9, 30, v4
	v_lshlrev_b32_e32 v17, 29, v4
	;; [unrolled: 1-line block ×4, first 2 shown]
	v_add_co_u32 v8, s16, v8, -1
	v_cndmask_b32_e64 v25, 0, 1, s16
	v_not_b32_e32 v64, v9
	v_cmp_gt_i32_e64 s17, 0, v9
	v_not_b32_e32 v9, v17
	v_lshlrev_b32_e32 v54, 26, v4
	v_cmp_ne_u32_e64 s16, 0, v25
	v_ashrrev_i32_e32 v64, 31, v64
	v_lshlrev_b32_e32 v55, 25, v4
	v_ashrrev_i32_e32 v9, 31, v9
	v_lshlrev_b32_e32 v25, 24, v4
	v_xor_b32_e32 v8, s16, v8
	v_cmp_gt_i32_e64 s16, 0, v17
	v_not_b32_e32 v17, v18
	v_xor_b32_e32 v64, s17, v64
	v_cmp_gt_i32_e64 s17, 0, v18
	v_and_b32_e32 v8, exec_lo, v8
	v_not_b32_e32 v18, v53
	v_ashrrev_i32_e32 v17, 31, v17
	v_xor_b32_e32 v9, s16, v9
	v_cmp_gt_i32_e64 s16, 0, v53
	v_and_b32_e32 v8, v8, v64
	v_not_b32_e32 v53, v54
	v_ashrrev_i32_e32 v18, 31, v18
	v_xor_b32_e32 v17, s17, v17
	v_cmp_gt_i32_e64 s17, 0, v54
	v_and_b32_e32 v8, v8, v9
	v_not_b32_e32 v9, v55
	v_ashrrev_i32_e32 v53, 31, v53
	v_xor_b32_e32 v18, s16, v18
	v_cmp_gt_i32_e64 s16, 0, v55
	v_and_b32_e32 v8, v8, v17
	v_not_b32_e32 v17, v25
	v_ashrrev_i32_e32 v54, 31, v9
	v_xor_b32_e32 v53, s17, v53
	v_cmp_gt_i32_e64 s17, 0, v25
	v_and_b32_e32 v18, v8, v18
	v_mov_b32_e32 v8, v22
	v_mov_b32_e32 v9, v23
	v_ashrrev_i32_e32 v22, 31, v17
	v_xor_b32_e32 v23, s16, v54
	v_and_b32_e32 v25, v18, v53
	v_mov_b32_e32 v17, v19
	v_mov_b32_e32 v18, v20
	v_xor_b32_e32 v19, s17, v22
	v_lshl_add_u32 v4, v4, 3, v33
	v_and_b32_e32 v20, v25, v23
	v_lshlrev_b64 v[22:23], 2, v[4:5]
	v_and_b32_e32 v20, v20, v19
	v_add_co_u32 v19, null, v12, v22
	v_mbcnt_lo_u32_b32 v4, v20, 0
	v_cmp_ne_u32_e64 s17, 0, v20
	v_add_co_u32 v19, null, v19, 32
	v_cmp_eq_u32_e64 s16, 0, v4
	s_and_b32 s17, s17, s16
	s_and_saveexec_b32 s16, s17
; %bb.336:                              ;   in Loop: Header=BB603_335 Depth=1
	v_bcnt_u32_b32 v20, v20, 0
	ds_write_b32 v19, v20
; %bb.337:                              ;   in Loop: Header=BB603_335 Depth=1
	s_or_b32 exec_lo, exec_lo, s16
	v_lshrrev_b32_e32 v20, v10, v52
	; wave barrier
	v_and_b32_e32 v20, v20, v24
	v_and_b32_e32 v22, 1, v20
	v_lshlrev_b32_e32 v23, 30, v20
	v_lshlrev_b32_e32 v24, 29, v20
	;; [unrolled: 1-line block ×4, first 2 shown]
	v_add_co_u32 v22, s16, v22, -1
	v_cndmask_b32_e64 v53, 0, 1, s16
	v_not_b32_e32 v65, v23
	v_cmp_gt_i32_e64 s17, 0, v23
	v_not_b32_e32 v23, v24
	v_lshlrev_b32_e32 v55, 26, v20
	v_cmp_ne_u32_e64 s16, 0, v53
	v_ashrrev_i32_e32 v65, 31, v65
	v_lshlrev_b32_e32 v64, 25, v20
	v_ashrrev_i32_e32 v23, 31, v23
	v_lshlrev_b32_e32 v53, 24, v20
	v_xor_b32_e32 v22, s16, v22
	v_cmp_gt_i32_e64 s16, 0, v24
	v_not_b32_e32 v24, v25
	v_xor_b32_e32 v65, s17, v65
	v_cmp_gt_i32_e64 s17, 0, v25
	v_and_b32_e32 v22, exec_lo, v22
	v_not_b32_e32 v25, v54
	v_ashrrev_i32_e32 v24, 31, v24
	v_xor_b32_e32 v23, s16, v23
	v_cmp_gt_i32_e64 s16, 0, v54
	v_and_b32_e32 v22, v22, v65
	v_not_b32_e32 v54, v55
	v_ashrrev_i32_e32 v25, 31, v25
	v_xor_b32_e32 v24, s17, v24
	v_cmp_gt_i32_e64 s17, 0, v55
	v_and_b32_e32 v22, v22, v23
	;; [unrolled: 5-line block ×3, first 2 shown]
	v_not_b32_e32 v24, v53
	v_ashrrev_i32_e32 v23, 31, v23
	v_xor_b32_e32 v54, s17, v54
	v_lshl_add_u32 v20, v20, 3, v33
	v_and_b32_e32 v22, v22, v25
	v_cmp_gt_i32_e64 s17, 0, v53
	v_ashrrev_i32_e32 v24, 31, v24
	v_xor_b32_e32 v23, s16, v23
	v_lshl_add_u32 v25, v20, 2, v12
	v_and_b32_e32 v22, v22, v54
	v_xor_b32_e32 v24, s17, v24
	ds_read_b32 v20, v25 offset:32
	v_and_b32_e32 v22, v22, v23
	v_add_nc_u32_e32 v23, 32, v25
	; wave barrier
	v_and_b32_e32 v24, v22, v24
	v_mbcnt_lo_u32_b32 v22, v24, 0
	v_cmp_ne_u32_e64 s17, 0, v24
	v_cmp_eq_u32_e64 s16, 0, v22
	s_and_b32 s17, s17, s16
	s_and_saveexec_b32 s16, s17
	s_cbranch_execz .LBB603_339
; %bb.338:                              ;   in Loop: Header=BB603_335 Depth=1
	s_waitcnt lgkmcnt(0)
	v_bcnt_u32_b32 v24, v24, v20
	ds_write_b32 v23, v24
.LBB603_339:                            ;   in Loop: Header=BB603_335 Depth=1
	s_or_b32 exec_lo, exec_lo, s16
	; wave barrier
	s_waitcnt lgkmcnt(0)
	s_barrier
	buffer_gl0_inv
	ds_read_b32 v25, v14
	ds_read_b32 v53, v26
	ds_read_b32 v54, v27
	ds_read_b32 v55, v28
	ds_read_b32 v64, v29
	ds_read_b32 v65, v30
	ds_read_b32 v24, v31
	ds_read_b32 v66, v32
	s_waitcnt lgkmcnt(6)
	v_add_nc_u32_e32 v67, v53, v25
	s_waitcnt lgkmcnt(4)
	v_add3_u32 v67, v67, v54, v55
	s_waitcnt lgkmcnt(2)
	v_add3_u32 v67, v67, v64, v65
	;; [unrolled: 2-line block ×3, first 2 shown]
	v_mov_b32_dpp v67, v66 row_shr:1 row_mask:0xf bank_mask:0xf
	v_cndmask_b32_e64 v67, v67, 0, vcc_lo
	v_add_nc_u32_e32 v66, v67, v66
	v_mov_b32_dpp v67, v66 row_shr:2 row_mask:0xf bank_mask:0xf
	v_cndmask_b32_e64 v67, 0, v67, s4
	v_add_nc_u32_e32 v66, v66, v67
	v_mov_b32_dpp v67, v66 row_shr:4 row_mask:0xf bank_mask:0xf
	v_cndmask_b32_e64 v67, 0, v67, s5
	;; [unrolled: 3-line block ×3, first 2 shown]
	v_add_nc_u32_e32 v66, v66, v67
	ds_swizzle_b32 v67, v66 offset:swizzle(BROADCAST,32,15)
	s_waitcnt lgkmcnt(0)
	v_cndmask_b32_e64 v67, v67, 0, s8
	v_add_nc_u32_e32 v66, v66, v67
	s_and_saveexec_b32 s16, s9
; %bb.340:                              ;   in Loop: Header=BB603_335 Depth=1
	ds_write_b32 v36, v66
; %bb.341:                              ;   in Loop: Header=BB603_335 Depth=1
	s_or_b32 exec_lo, exec_lo, s16
	s_waitcnt lgkmcnt(0)
	s_barrier
	buffer_gl0_inv
	s_and_saveexec_b32 s16, s10
	s_cbranch_execz .LBB603_343
; %bb.342:                              ;   in Loop: Header=BB603_335 Depth=1
	ds_read_b32 v67, v34
	s_waitcnt lgkmcnt(0)
	v_mov_b32_dpp v68, v67 row_shr:1 row_mask:0xf bank_mask:0xf
	v_cndmask_b32_e64 v68, v68, 0, s13
	v_add_nc_u32_e32 v67, v68, v67
	v_mov_b32_dpp v68, v67 row_shr:2 row_mask:0xf bank_mask:0xf
	v_cndmask_b32_e64 v68, 0, v68, s14
	v_add_nc_u32_e32 v67, v67, v68
	;; [unrolled: 3-line block ×3, first 2 shown]
	ds_write_b32 v34, v67
.LBB603_343:                            ;   in Loop: Header=BB603_335 Depth=1
	s_or_b32 exec_lo, exec_lo, s16
	v_mov_b32_e32 v67, 0
	s_waitcnt lgkmcnt(0)
	s_barrier
	buffer_gl0_inv
	s_and_saveexec_b32 s16, s11
; %bb.344:                              ;   in Loop: Header=BB603_335 Depth=1
	ds_read_b32 v67, v39
; %bb.345:                              ;   in Loop: Header=BB603_335 Depth=1
	s_or_b32 exec_lo, exec_lo, s16
	s_waitcnt lgkmcnt(0)
	v_add_nc_u32_e32 v66, v67, v66
	v_add_nc_u32_e32 v10, 8, v10
	s_mov_b32 s21, -1
	s_mov_b32 s17, exec_lo
	ds_bpermute_b32 v66, v35, v66
	s_waitcnt lgkmcnt(0)
	v_cndmask_b32_e64 v66, v66, v67, s7
	v_cndmask_b32_e64 v66, v66, 0, s12
	v_add_nc_u32_e32 v25, v66, v25
	v_add_nc_u32_e32 v53, v25, v53
	ds_write_b32 v14, v66
	ds_write_b32 v26, v25
	;; [unrolled: 1-line block ×3, first 2 shown]
	v_mov_b32_e32 v25, v5
	v_add_nc_u32_e32 v54, v53, v54
                                        ; implicit-def: $vgpr53
	v_add_nc_u32_e32 v55, v54, v55
	v_add_nc_u32_e32 v64, v55, v64
	;; [unrolled: 1-line block ×4, first 2 shown]
	ds_write_b32 v28, v54
	ds_write_b32 v29, v55
	;; [unrolled: 1-line block ×5, first 2 shown]
	s_waitcnt lgkmcnt(0)
	s_barrier
	buffer_gl0_inv
	ds_read_b32 v19, v19
	ds_read_b32 v23, v23
	s_waitcnt lgkmcnt(0)
	v_add_nc_u32_e32 v4, v19, v4
	v_add3_u32 v24, v22, v20, v23
	v_lshlrev_b64 v[19:20], 2, v[4:5]
	v_lshlrev_b64 v[22:23], 2, v[24:25]
                                        ; implicit-def: $vgpr25
	v_add_co_u32 v55, null, v12, v19
	v_add_co_u32 v54, null, v12, v22
                                        ; implicit-def: $vgpr22_vgpr23
                                        ; implicit-def: $vgpr19_vgpr20
	v_cmpx_lt_u32_e64 v10, v11
	s_cbranch_execz .LBB603_334
; %bb.346:                              ;   in Loop: Header=BB603_335 Depth=1
	v_lshl_add_u32 v19, v4, 2, v55
	v_lshl_add_u32 v20, v24, 2, v54
	s_barrier
	buffer_gl0_inv
	ds_write_b32 v55, v51
	ds_write_b32 v54, v52
	s_waitcnt lgkmcnt(0)
	s_barrier
	buffer_gl0_inv
	ds_read_b32 v53, v37
	ds_read_b32 v25, v48
	s_waitcnt lgkmcnt(0)
	s_barrier
	buffer_gl0_inv
	ds_write_b64 v19, v[17:18]
	ds_write_b64 v20, v[8:9]
	s_waitcnt lgkmcnt(0)
	s_barrier
	buffer_gl0_inv
	ds_read_b64 v[19:20], v38
	ds_read_b64 v[22:23], v49
	v_add_nc_u32_e32 v50, -8, v50
	s_xor_b32 s21, exec_lo, -1
	s_waitcnt lgkmcnt(0)
	s_barrier
	buffer_gl0_inv
	s_branch .LBB603_334
.LBB603_347:
	flat_load_dwordx2 v[28:29], v[4:5]
	s_or_b32 exec_lo, exec_lo, s7
                                        ; implicit-def: $vgpr30_vgpr31
	s_and_saveexec_b32 s7, s4
	s_cbranch_execz .LBB603_274
.LBB603_348:
	flat_load_dwordx2 v[30:31], v[4:5] offset:256
	s_or_b32 exec_lo, exec_lo, s7
                                        ; implicit-def: $vgpr24_vgpr25
	s_and_saveexec_b32 s4, s5
	s_cbranch_execz .LBB603_275
.LBB603_349:
	flat_load_dwordx2 v[24:25], v[4:5] offset:512
	s_or_b32 exec_lo, exec_lo, s4
                                        ; implicit-def: $vgpr26_vgpr27
	s_and_saveexec_b32 s4, s6
	s_cbranch_execnz .LBB603_276
	s_branch .LBB603_277
.LBB603_350:
	flat_store_dwordx2 v[0:1], v[12:13]
	s_or_b32 exec_lo, exec_lo, s7
	s_and_saveexec_b32 s7, s5
	s_cbranch_execz .LBB603_319
.LBB603_351:
	v_add_co_u32 v2, vcc_lo, 0x800, v0
	v_add_co_ci_u32_e64 v3, null, 0, v1, vcc_lo
	flat_store_dwordx2 v[2:3], v[14:15]
	s_or_b32 exec_lo, exec_lo, s7
	s_and_saveexec_b32 s5, s4
	s_cbranch_execz .LBB603_320
.LBB603_352:
	v_add_co_u32 v2, vcc_lo, 0x1000, v0
	v_add_co_ci_u32_e64 v3, null, 0, v1, vcc_lo
	flat_store_dwordx2 v[2:3], v[8:9]
	s_or_b32 exec_lo, exec_lo, s5
	s_and_saveexec_b32 s4, s6
	s_cbranch_execnz .LBB603_321
	s_branch .LBB603_322
.LBB603_353:
	s_or_b32 exec_lo, exec_lo, s20
	v_lshl_add_u32 v4, v4, 2, v55
	s_barrier
	buffer_gl0_inv
	ds_write_b32 v55, v51
	ds_write_b32 v54, v52
	s_waitcnt lgkmcnt(0)
	s_barrier
	buffer_gl0_inv
	ds_read2st64_b32 v[19:20], v34 offset1:4
	s_waitcnt lgkmcnt(0)
	v_lshl_add_u32 v5, v24, 2, v54
	s_barrier
	buffer_gl0_inv
	ds_write_b64 v4, v[17:18]
	v_lshl_add_u32 v4, v21, 3, v12
	ds_write_b64 v5, v[8:9]
	s_waitcnt lgkmcnt(0)
	s_barrier
	buffer_gl0_inv
	ds_read2st64_b64 v[8:11], v4 offset1:4
	v_mov_b32_e32 v14, 0
	v_add_co_u32 v2, vcc_lo, v2, v15
	v_add_co_ci_u32_e64 v3, null, v3, v16, vcc_lo
	v_lshlrev_b64 v[4:5], 2, v[13:14]
	s_waitcnt lgkmcnt(0)
	s_barrier
	buffer_gl0_inv
	v_add_co_u32 v2, vcc_lo, v2, v4
	v_add_co_ci_u32_e64 v3, null, v3, v5, vcc_lo
	v_cmp_lt_u32_e32 vcc_lo, v13, v119
	s_and_saveexec_b32 s4, vcc_lo
	s_cbranch_execz .LBB603_355
; %bb.354:
	v_xor_b32_e32 v4, 0x80000000, v19
	flat_store_dword v[2:3], v4
.LBB603_355:
	s_or_b32 exec_lo, exec_lo, s4
	v_add_nc_u32_e32 v4, 0x100, v13
	v_cmp_lt_u32_e64 s4, v4, v119
	s_and_saveexec_b32 s5, s4
	s_cbranch_execz .LBB603_357
; %bb.356:
	v_xor_b32_e32 v4, 0x80000000, v20
	flat_store_dword v[2:3], v4 offset:1024
.LBB603_357:
	s_or_b32 exec_lo, exec_lo, s5
	v_lshlrev_b64 v[2:3], 3, v[13:14]
	v_add_co_u32 v0, s5, v6, v0
	v_add_co_ci_u32_e64 v1, null, v7, v1, s5
	v_add_co_u32 v0, s5, v0, v2
	v_add_co_ci_u32_e64 v1, null, v1, v3, s5
	s_and_saveexec_b32 s5, vcc_lo
	s_cbranch_execz .LBB603_359
; %bb.358:
	flat_store_dwordx2 v[0:1], v[8:9]
.LBB603_359:
	s_or_b32 exec_lo, exec_lo, s5
	s_and_saveexec_b32 s5, s4
	s_cbranch_execz .LBB603_361
; %bb.360:
	v_add_co_u32 v0, vcc_lo, 0x800, v0
	v_add_co_ci_u32_e64 v1, null, 0, v1, vcc_lo
	flat_store_dwordx2 v[0:1], v[10:11]
.LBB603_361:
	s_or_b32 exec_lo, exec_lo, s5
                                        ; implicit-def: $vgpr13_vgpr14
                                        ; implicit-def: $vgpr8_vgpr9
                                        ; implicit-def: $vgpr15_vgpr16
                                        ; implicit-def: $vgpr119
                                        ; implicit-def: $vgpr0
                                        ; implicit-def: $vgpr1
                                        ; implicit-def: $vgpr2
                                        ; implicit-def: $vgpr3
                                        ; implicit-def: $vgpr4
                                        ; implicit-def: $vgpr5
                                        ; implicit-def: $vgpr6
                                        ; implicit-def: $vgpr7
                                        ; implicit-def: $vgpr10
                                        ; implicit-def: $vgpr11
                                        ; implicit-def: $vgpr12
                                        ; implicit-def: $vgpr21
                                        ; implicit-def: $vgpr64
.LBB603_362:
	s_andn2_saveexec_b32 s4, s18
	s_cbranch_execz .LBB603_382
; %bb.363:
	v_and_b32_e32 v17, 0xffffffe0, v13
	v_mov_b32_e32 v36, -1
	v_or_b32_e32 v14, v64, v17
	v_cmp_lt_u32_e32 vcc_lo, v14, v119
	s_and_saveexec_b32 s5, vcc_lo
	s_cbranch_execz .LBB603_365
; %bb.364:
	v_mov_b32_e32 v18, 0
	v_lshlrev_b32_e32 v14, 2, v64
	v_add_co_u32 v19, s4, v0, v15
	v_add_co_ci_u32_e64 v20, null, v1, v16, s4
	v_lshlrev_b64 v[0:1], 2, v[17:18]
	v_add_co_u32 v14, s4, v19, v14
	v_add_co_ci_u32_e64 v18, null, 0, v20, s4
	v_add_co_u32 v0, s4, v14, v0
	v_add_co_ci_u32_e64 v1, null, v18, v1, s4
	flat_load_dword v0, v[0:1]
	s_waitcnt vmcnt(0) lgkmcnt(0)
	v_xor_b32_e32 v36, 0x80000000, v0
.LBB603_365:
	s_or_b32 exec_lo, exec_lo, s5
	v_lshlrev_b64 v[0:1], 3, v[8:9]
                                        ; implicit-def: $vgpr8_vgpr9
	s_and_saveexec_b32 s4, vcc_lo
	s_cbranch_execz .LBB603_367
; %bb.366:
	v_mov_b32_e32 v18, 0
	v_lshlrev_b32_e32 v8, 3, v64
	v_add_co_u32 v9, vcc_lo, v4, v0
	v_add_co_ci_u32_e64 v14, null, v5, v1, vcc_lo
	v_lshlrev_b64 v[4:5], 3, v[17:18]
	v_add_co_u32 v8, vcc_lo, v9, v8
	v_add_co_ci_u32_e64 v9, null, 0, v14, vcc_lo
	v_add_co_u32 v4, vcc_lo, v8, v4
	v_add_co_ci_u32_e64 v5, null, v9, v5, vcc_lo
	flat_load_dwordx2 v[8:9], v[4:5]
.LBB603_367:
	s_or_b32 exec_lo, exec_lo, s4
	v_lshl_add_u32 v4, v21, 5, v12
	v_and_b32_e32 v5, 0x3e0, v21
	v_sub_co_u32 v28, s6, v64, 1
	v_and_b32_e32 v17, 15, v64
	v_add_nc_u32_e32 v14, 32, v4
	v_add_nc_u32_e32 v19, 36, v4
	;; [unrolled: 1-line block ×8, first 2 shown]
	v_min_u32_e32 v4, 0xe0, v5
	v_cmp_gt_i32_e64 s10, 0, v28
	s_getpc_b64 s[4:5]
	s_add_u32 s4, s4, _ZN7rocprim17ROCPRIM_400000_NS16block_radix_sortIiLj256ELj1ElLj1ELj1ELj8ELNS0_26block_radix_rank_algorithmE2ELNS0_18block_padding_hintE2ELNS0_4arch9wavefront6targetE0EE19radix_bits_per_passE@rel32@lo+4
	s_addc_u32 s5, s5, _ZN7rocprim17ROCPRIM_400000_NS16block_radix_sortIiLj256ELj1ElLj1ELj1ELj8ELNS0_26block_radix_rank_algorithmE2ELNS0_18block_padding_hintE2ELNS0_4arch9wavefront6targetE0EE19radix_bits_per_passE@rel32@hi+12
	v_cmp_eq_u32_e32 vcc_lo, 0, v17
	s_load_dword s18, s[4:5], 0x0
	v_or_b32_e32 v4, 31, v4
	v_cmp_lt_u32_e64 s4, 1, v17
	v_cmp_lt_u32_e64 s5, 3, v17
	v_cmp_lt_u32_e64 s7, 7, v17
	v_cndmask_b32_e64 v17, v28, v64, s10
	v_cmp_eq_u32_e64 s9, v21, v4
	v_lshrrev_b32_e32 v4, 3, v21
	v_or_b32_e32 v5, v64, v5
	v_and_b32_e32 v18, 16, v64
	v_lshlrev_b32_e32 v29, 2, v17
	v_lshrrev_b32_e32 v27, 5, v13
	v_and_b32_e32 v4, 0x7c, v4
	v_lshlrev_b32_e32 v17, 2, v5
	v_cmp_eq_u32_e64 s8, 0, v18
	v_and_b32_e32 v18, 7, v64
	v_cmp_gt_u32_e64 s10, 8, v21
	v_add_nc_u32_e32 v30, v12, v4
	v_add_nc_u32_e32 v31, v12, v17
	v_cmp_lt_u32_e64 s11, 31, v21
	v_cmp_eq_u32_e64 s12, 0, v21
	v_mov_b32_e32 v5, 0
	v_lshl_add_u32 v28, v21, 2, v12
	v_cmp_eq_u32_e64 s13, 0, v18
	v_cmp_lt_u32_e64 s14, 1, v18
	v_cmp_lt_u32_e64 s15, 3, v18
	v_add_nc_u32_e32 v32, -4, v30
	v_add_nc_u32_e32 v33, v31, v17
	v_sub_nc_u32_e32 v34, v11, v10
	s_mov_b32 s19, 0
	s_waitcnt vmcnt(0) lgkmcnt(0)
	s_waitcnt_vscnt null, 0x0
	s_barrier
	buffer_gl0_inv
	s_branch .LBB603_369
.LBB603_368:                            ;   in Loop: Header=BB603_369 Depth=1
	s_or_b32 exec_lo, exec_lo, s17
	s_and_b32 s16, exec_lo, s20
	s_or_b32 s19, s16, s19
	s_andn2_b32 exec_lo, exec_lo, s19
	s_cbranch_execz .LBB603_379
.LBB603_369:                            ; =>This Inner Loop Header: Depth=1
	v_mov_b32_e32 v35, v36
	v_min_u32_e32 v4, s18, v34
	ds_write_b32 v14, v5
	ds_write_b32 v19, v5
	ds_write_b32 v20, v5
	ds_write_b32 v22, v5
	ds_write_b32 v23, v5
	v_lshrrev_b32_e32 v17, v10, v35
	ds_write_b32 v24, v5
	ds_write_b32 v25, v5
	;; [unrolled: 1-line block ×3, first 2 shown]
	s_waitcnt lgkmcnt(0)
	s_barrier
	v_bfe_u32 v4, v17, 0, v4
	buffer_gl0_inv
	; wave barrier
	v_and_b32_e32 v17, 1, v4
	v_lshlrev_b32_e32 v18, 30, v4
	v_lshlrev_b32_e32 v36, 29, v4
	;; [unrolled: 1-line block ×4, first 2 shown]
	v_add_co_u32 v17, s16, v17, -1
	v_cndmask_b32_e64 v38, 0, 1, s16
	v_not_b32_e32 v50, v18
	v_cmp_gt_i32_e64 s17, 0, v18
	v_not_b32_e32 v18, v36
	v_lshlrev_b32_e32 v48, 26, v4
	v_cmp_ne_u32_e64 s16, 0, v38
	v_ashrrev_i32_e32 v50, 31, v50
	v_lshlrev_b32_e32 v49, 25, v4
	v_ashrrev_i32_e32 v18, 31, v18
	v_lshlrev_b32_e32 v38, 24, v4
	v_xor_b32_e32 v17, s16, v17
	v_cmp_gt_i32_e64 s16, 0, v36
	v_not_b32_e32 v36, v37
	v_xor_b32_e32 v50, s17, v50
	v_cmp_gt_i32_e64 s17, 0, v37
	v_and_b32_e32 v17, exec_lo, v17
	v_not_b32_e32 v37, v39
	v_ashrrev_i32_e32 v36, 31, v36
	v_xor_b32_e32 v18, s16, v18
	v_cmp_gt_i32_e64 s16, 0, v39
	v_and_b32_e32 v17, v17, v50
	v_not_b32_e32 v39, v48
	v_ashrrev_i32_e32 v37, 31, v37
	v_xor_b32_e32 v36, s17, v36
	v_cmp_gt_i32_e64 s17, 0, v48
	v_and_b32_e32 v17, v17, v18
	;; [unrolled: 5-line block ×4, first 2 shown]
	v_ashrrev_i32_e32 v36, 31, v36
	v_xor_b32_e32 v37, s16, v18
	v_lshl_add_u32 v4, v4, 3, v27
	v_and_b32_e32 v38, v17, v39
	v_mov_b32_e32 v18, v9
	v_mov_b32_e32 v17, v8
	v_xor_b32_e32 v8, s17, v36
	v_and_b32_e32 v9, v38, v37
	v_lshlrev_b64 v[36:37], 2, v[4:5]
	v_and_b32_e32 v9, v9, v8
	v_add_co_u32 v8, null, v12, v36
	v_mbcnt_lo_u32_b32 v4, v9, 0
	v_cmp_ne_u32_e64 s17, 0, v9
	v_add_co_u32 v8, null, v8, 32
	v_cmp_eq_u32_e64 s16, 0, v4
	s_and_b32 s17, s17, s16
	s_and_saveexec_b32 s16, s17
; %bb.370:                              ;   in Loop: Header=BB603_369 Depth=1
	v_bcnt_u32_b32 v9, v9, 0
	ds_write_b32 v8, v9
; %bb.371:                              ;   in Loop: Header=BB603_369 Depth=1
	s_or_b32 exec_lo, exec_lo, s16
	; wave barrier
	s_waitcnt lgkmcnt(0)
	s_barrier
	buffer_gl0_inv
	ds_read_b32 v36, v14
	ds_read_b32 v37, v19
	;; [unrolled: 1-line block ×8, first 2 shown]
	s_waitcnt lgkmcnt(6)
	v_add_nc_u32_e32 v51, v37, v36
	s_waitcnt lgkmcnt(4)
	v_add3_u32 v51, v51, v38, v39
	s_waitcnt lgkmcnt(2)
	v_add3_u32 v51, v51, v48, v49
	;; [unrolled: 2-line block ×3, first 2 shown]
	v_mov_b32_dpp v51, v50 row_shr:1 row_mask:0xf bank_mask:0xf
	v_cndmask_b32_e64 v51, v51, 0, vcc_lo
	v_add_nc_u32_e32 v50, v51, v50
	v_mov_b32_dpp v51, v50 row_shr:2 row_mask:0xf bank_mask:0xf
	v_cndmask_b32_e64 v51, 0, v51, s4
	v_add_nc_u32_e32 v50, v50, v51
	v_mov_b32_dpp v51, v50 row_shr:4 row_mask:0xf bank_mask:0xf
	v_cndmask_b32_e64 v51, 0, v51, s5
	;; [unrolled: 3-line block ×3, first 2 shown]
	v_add_nc_u32_e32 v50, v50, v51
	ds_swizzle_b32 v51, v50 offset:swizzle(BROADCAST,32,15)
	s_waitcnt lgkmcnt(0)
	v_cndmask_b32_e64 v51, v51, 0, s8
	v_add_nc_u32_e32 v50, v50, v51
	s_and_saveexec_b32 s16, s9
; %bb.372:                              ;   in Loop: Header=BB603_369 Depth=1
	ds_write_b32 v30, v50
; %bb.373:                              ;   in Loop: Header=BB603_369 Depth=1
	s_or_b32 exec_lo, exec_lo, s16
	s_waitcnt lgkmcnt(0)
	s_barrier
	buffer_gl0_inv
	s_and_saveexec_b32 s16, s10
	s_cbranch_execz .LBB603_375
; %bb.374:                              ;   in Loop: Header=BB603_369 Depth=1
	ds_read_b32 v51, v28
	s_waitcnt lgkmcnt(0)
	v_mov_b32_dpp v52, v51 row_shr:1 row_mask:0xf bank_mask:0xf
	v_cndmask_b32_e64 v52, v52, 0, s13
	v_add_nc_u32_e32 v51, v52, v51
	v_mov_b32_dpp v52, v51 row_shr:2 row_mask:0xf bank_mask:0xf
	v_cndmask_b32_e64 v52, 0, v52, s14
	v_add_nc_u32_e32 v51, v51, v52
	;; [unrolled: 3-line block ×3, first 2 shown]
	ds_write_b32 v28, v51
.LBB603_375:                            ;   in Loop: Header=BB603_369 Depth=1
	s_or_b32 exec_lo, exec_lo, s16
	v_mov_b32_e32 v51, 0
	s_waitcnt lgkmcnt(0)
	s_barrier
	buffer_gl0_inv
	s_and_saveexec_b32 s16, s11
; %bb.376:                              ;   in Loop: Header=BB603_369 Depth=1
	ds_read_b32 v51, v32
; %bb.377:                              ;   in Loop: Header=BB603_369 Depth=1
	s_or_b32 exec_lo, exec_lo, s16
	s_waitcnt lgkmcnt(0)
	v_add_nc_u32_e32 v50, v51, v50
	v_add_nc_u32_e32 v10, 8, v10
	s_mov_b32 s20, -1
	s_mov_b32 s17, exec_lo
	ds_bpermute_b32 v50, v29, v50
	s_waitcnt lgkmcnt(0)
	v_cndmask_b32_e64 v50, v50, v51, s6
	v_cndmask_b32_e64 v50, v50, 0, s12
	v_add_nc_u32_e32 v36, v50, v36
	v_add_nc_u32_e32 v37, v36, v37
	ds_write_b32 v14, v50
	ds_write_b32 v19, v36
	;; [unrolled: 1-line block ×3, first 2 shown]
                                        ; implicit-def: $vgpr36
	v_add_nc_u32_e32 v38, v37, v38
	v_add_nc_u32_e32 v39, v38, v39
	v_add_nc_u32_e32 v48, v39, v48
	v_add_nc_u32_e32 v49, v48, v49
	v_add_nc_u32_e32 v9, v49, v9
	ds_write_b32 v22, v38
	ds_write_b32 v23, v39
	;; [unrolled: 1-line block ×5, first 2 shown]
	s_waitcnt lgkmcnt(0)
	s_barrier
	buffer_gl0_inv
	ds_read_b32 v8, v8
	s_waitcnt lgkmcnt(0)
	v_add_nc_u32_e32 v4, v8, v4
	v_lshlrev_b64 v[8:9], 2, v[4:5]
	v_add_co_u32 v37, null, v12, v8
	v_add_co_u32 v4, null, v37, v8
                                        ; implicit-def: $vgpr8_vgpr9
	v_cmpx_lt_u32_e64 v10, v11
	s_cbranch_execz .LBB603_368
; %bb.378:                              ;   in Loop: Header=BB603_369 Depth=1
	s_barrier
	buffer_gl0_inv
	ds_write_b32 v37, v35
	s_waitcnt lgkmcnt(0)
	s_barrier
	buffer_gl0_inv
	ds_read_b32 v36, v31
	s_waitcnt lgkmcnt(0)
	s_barrier
	buffer_gl0_inv
	ds_write_b64 v4, v[17:18]
	s_waitcnt lgkmcnt(0)
	s_barrier
	buffer_gl0_inv
	ds_read_b64 v[8:9], v33
	v_add_nc_u32_e32 v34, -8, v34
	s_xor_b32 s20, exec_lo, -1
	s_waitcnt lgkmcnt(0)
	s_barrier
	buffer_gl0_inv
	s_branch .LBB603_368
.LBB603_379:
	s_or_b32 exec_lo, exec_lo, s19
	v_lshl_add_u32 v5, v21, 3, v12
	s_barrier
	buffer_gl0_inv
	ds_write_b32 v37, v35
	s_waitcnt lgkmcnt(0)
	s_barrier
	buffer_gl0_inv
	ds_read_b32 v8, v28
	s_waitcnt lgkmcnt(0)
	s_barrier
	buffer_gl0_inv
	ds_write_b64 v4, v[17:18]
	s_waitcnt lgkmcnt(0)
	s_barrier
	buffer_gl0_inv
	ds_read_b64 v[4:5], v5
	s_mov_b32 s4, exec_lo
	s_waitcnt lgkmcnt(0)
	s_barrier
	buffer_gl0_inv
	v_cmpx_lt_u32_e64 v13, v119
	s_cbranch_execz .LBB603_381
; %bb.380:
	v_mov_b32_e32 v14, 0
	v_add_co_u32 v11, vcc_lo, v2, v15
	v_add_co_ci_u32_e64 v12, null, v3, v16, vcc_lo
	v_lshlrev_b64 v[9:10], 2, v[13:14]
	v_lshlrev_b64 v[2:3], 3, v[13:14]
	v_add_co_u32 v9, vcc_lo, v11, v9
	v_add_co_ci_u32_e64 v10, null, v12, v10, vcc_lo
	v_add_co_u32 v0, vcc_lo, v6, v0
	v_add_co_ci_u32_e64 v1, null, v7, v1, vcc_lo
	v_xor_b32_e32 v6, 0x80000000, v8
	v_add_co_u32 v0, vcc_lo, v0, v2
	v_add_co_ci_u32_e64 v1, null, v1, v3, vcc_lo
	flat_store_dword v[9:10], v6
	flat_store_dwordx2 v[0:1], v[4:5]
.LBB603_381:
	s_or_b32 exec_lo, exec_lo, s4
.LBB603_382:
	s_or_b32 exec_lo, exec_lo, s25
	s_clause 0x2f
	buffer_load_dword v127, off, s[0:3], s32
	buffer_load_dword v126, off, s[0:3], s32 offset:4
	buffer_load_dword v125, off, s[0:3], s32 offset:8
	buffer_load_dword v124, off, s[0:3], s32 offset:12
	buffer_load_dword v123, off, s[0:3], s32 offset:16
	buffer_load_dword v122, off, s[0:3], s32 offset:20
	buffer_load_dword v121, off, s[0:3], s32 offset:24
	buffer_load_dword v120, off, s[0:3], s32 offset:28
	buffer_load_dword v111, off, s[0:3], s32 offset:32
	buffer_load_dword v110, off, s[0:3], s32 offset:36
	buffer_load_dword v109, off, s[0:3], s32 offset:40
	buffer_load_dword v108, off, s[0:3], s32 offset:44
	buffer_load_dword v107, off, s[0:3], s32 offset:48
	buffer_load_dword v106, off, s[0:3], s32 offset:52
	buffer_load_dword v105, off, s[0:3], s32 offset:56
	buffer_load_dword v104, off, s[0:3], s32 offset:60
	buffer_load_dword v95, off, s[0:3], s32 offset:64
	buffer_load_dword v94, off, s[0:3], s32 offset:68
	buffer_load_dword v93, off, s[0:3], s32 offset:72
	buffer_load_dword v92, off, s[0:3], s32 offset:76
	buffer_load_dword v91, off, s[0:3], s32 offset:80
	buffer_load_dword v90, off, s[0:3], s32 offset:84
	buffer_load_dword v89, off, s[0:3], s32 offset:88
	buffer_load_dword v88, off, s[0:3], s32 offset:92
	buffer_load_dword v79, off, s[0:3], s32 offset:96
	buffer_load_dword v78, off, s[0:3], s32 offset:100
	buffer_load_dword v77, off, s[0:3], s32 offset:104
	buffer_load_dword v76, off, s[0:3], s32 offset:108
	buffer_load_dword v75, off, s[0:3], s32 offset:112
	buffer_load_dword v74, off, s[0:3], s32 offset:116
	buffer_load_dword v73, off, s[0:3], s32 offset:120
	buffer_load_dword v72, off, s[0:3], s32 offset:124
	buffer_load_dword v63, off, s[0:3], s32 offset:128
	buffer_load_dword v62, off, s[0:3], s32 offset:132
	buffer_load_dword v61, off, s[0:3], s32 offset:136
	buffer_load_dword v60, off, s[0:3], s32 offset:140
	buffer_load_dword v59, off, s[0:3], s32 offset:144
	buffer_load_dword v58, off, s[0:3], s32 offset:148
	buffer_load_dword v57, off, s[0:3], s32 offset:152
	buffer_load_dword v56, off, s[0:3], s32 offset:156
	buffer_load_dword v47, off, s[0:3], s32 offset:160
	buffer_load_dword v46, off, s[0:3], s32 offset:164
	buffer_load_dword v45, off, s[0:3], s32 offset:168
	buffer_load_dword v44, off, s[0:3], s32 offset:172
	buffer_load_dword v43, off, s[0:3], s32 offset:176
	buffer_load_dword v42, off, s[0:3], s32 offset:180
	buffer_load_dword v41, off, s[0:3], s32 offset:184
	buffer_load_dword v40, off, s[0:3], s32 offset:188
	s_waitcnt vmcnt(0) lgkmcnt(0)
	s_setpc_b64 s[30:31]
.Lfunc_end603:
	.size	_ZN7rocprim17ROCPRIM_400000_NS6detail40segmented_radix_sort_single_block_helperIilLj256ELj17ELb0EE4sortIPKiPiPKlPlEEbT_T0_T1_T2_jjjjRNS3_12storage_typeE, .Lfunc_end603-_ZN7rocprim17ROCPRIM_400000_NS6detail40segmented_radix_sort_single_block_helperIilLj256ELj17ELb0EE4sortIPKiPiPKlPlEEbT_T0_T1_T2_jjjjRNS3_12storage_typeE
                                        ; -- End function
	.set .L_ZN7rocprim17ROCPRIM_400000_NS6detail40segmented_radix_sort_single_block_helperIilLj256ELj17ELb0EE4sortIPKiPiPKlPlEEbT_T0_T1_T2_jjjjRNS3_12storage_typeE.num_vgpr, 248
	.set .L_ZN7rocprim17ROCPRIM_400000_NS6detail40segmented_radix_sort_single_block_helperIilLj256ELj17ELb0EE4sortIPKiPiPKlPlEEbT_T0_T1_T2_jjjjRNS3_12storage_typeE.num_agpr, 0
	.set .L_ZN7rocprim17ROCPRIM_400000_NS6detail40segmented_radix_sort_single_block_helperIilLj256ELj17ELb0EE4sortIPKiPiPKlPlEEbT_T0_T1_T2_jjjjRNS3_12storage_typeE.numbered_sgpr, 33
	.set .L_ZN7rocprim17ROCPRIM_400000_NS6detail40segmented_radix_sort_single_block_helperIilLj256ELj17ELb0EE4sortIPKiPiPKlPlEEbT_T0_T1_T2_jjjjRNS3_12storage_typeE.num_named_barrier, 0
	.set .L_ZN7rocprim17ROCPRIM_400000_NS6detail40segmented_radix_sort_single_block_helperIilLj256ELj17ELb0EE4sortIPKiPiPKlPlEEbT_T0_T1_T2_jjjjRNS3_12storage_typeE.private_seg_size, 196
	.set .L_ZN7rocprim17ROCPRIM_400000_NS6detail40segmented_radix_sort_single_block_helperIilLj256ELj17ELb0EE4sortIPKiPiPKlPlEEbT_T0_T1_T2_jjjjRNS3_12storage_typeE.uses_vcc, 1
	.set .L_ZN7rocprim17ROCPRIM_400000_NS6detail40segmented_radix_sort_single_block_helperIilLj256ELj17ELb0EE4sortIPKiPiPKlPlEEbT_T0_T1_T2_jjjjRNS3_12storage_typeE.uses_flat_scratch, 0
	.set .L_ZN7rocprim17ROCPRIM_400000_NS6detail40segmented_radix_sort_single_block_helperIilLj256ELj17ELb0EE4sortIPKiPiPKlPlEEbT_T0_T1_T2_jjjjRNS3_12storage_typeE.has_dyn_sized_stack, 0
	.set .L_ZN7rocprim17ROCPRIM_400000_NS6detail40segmented_radix_sort_single_block_helperIilLj256ELj17ELb0EE4sortIPKiPiPKlPlEEbT_T0_T1_T2_jjjjRNS3_12storage_typeE.has_recursion, 0
	.set .L_ZN7rocprim17ROCPRIM_400000_NS6detail40segmented_radix_sort_single_block_helperIilLj256ELj17ELb0EE4sortIPKiPiPKlPlEEbT_T0_T1_T2_jjjjRNS3_12storage_typeE.has_indirect_call, 0
	.section	.AMDGPU.csdata,"",@progbits
; Function info:
; codeLenInByte = 29156
; TotalNumSgprs: 35
; NumVgprs: 248
; ScratchSize: 196
; MemoryBound: 1
	.section	.text._ZN7rocprim17ROCPRIM_400000_NS6detail17trampoline_kernelINS0_14default_configENS1_36segmented_radix_sort_config_selectorIilEEZNS1_25segmented_radix_sort_implIS3_Lb0EPKiPiPKlPlN2at6native12_GLOBAL__N_18offset_tEEE10hipError_tPvRmT1_PNSt15iterator_traitsISK_E10value_typeET2_T3_PNSL_ISQ_E10value_typeET4_jRbjT5_SW_jjP12ihipStream_tbEUlT_E_NS1_11comp_targetILNS1_3genE8ELNS1_11target_archE1030ELNS1_3gpuE2ELNS1_3repE0EEENS1_30default_config_static_selectorELNS0_4arch9wavefront6targetE0EEEvSK_,"axG",@progbits,_ZN7rocprim17ROCPRIM_400000_NS6detail17trampoline_kernelINS0_14default_configENS1_36segmented_radix_sort_config_selectorIilEEZNS1_25segmented_radix_sort_implIS3_Lb0EPKiPiPKlPlN2at6native12_GLOBAL__N_18offset_tEEE10hipError_tPvRmT1_PNSt15iterator_traitsISK_E10value_typeET2_T3_PNSL_ISQ_E10value_typeET4_jRbjT5_SW_jjP12ihipStream_tbEUlT_E_NS1_11comp_targetILNS1_3genE8ELNS1_11target_archE1030ELNS1_3gpuE2ELNS1_3repE0EEENS1_30default_config_static_selectorELNS0_4arch9wavefront6targetE0EEEvSK_,comdat
	.globl	_ZN7rocprim17ROCPRIM_400000_NS6detail17trampoline_kernelINS0_14default_configENS1_36segmented_radix_sort_config_selectorIilEEZNS1_25segmented_radix_sort_implIS3_Lb0EPKiPiPKlPlN2at6native12_GLOBAL__N_18offset_tEEE10hipError_tPvRmT1_PNSt15iterator_traitsISK_E10value_typeET2_T3_PNSL_ISQ_E10value_typeET4_jRbjT5_SW_jjP12ihipStream_tbEUlT_E_NS1_11comp_targetILNS1_3genE8ELNS1_11target_archE1030ELNS1_3gpuE2ELNS1_3repE0EEENS1_30default_config_static_selectorELNS0_4arch9wavefront6targetE0EEEvSK_ ; -- Begin function _ZN7rocprim17ROCPRIM_400000_NS6detail17trampoline_kernelINS0_14default_configENS1_36segmented_radix_sort_config_selectorIilEEZNS1_25segmented_radix_sort_implIS3_Lb0EPKiPiPKlPlN2at6native12_GLOBAL__N_18offset_tEEE10hipError_tPvRmT1_PNSt15iterator_traitsISK_E10value_typeET2_T3_PNSL_ISQ_E10value_typeET4_jRbjT5_SW_jjP12ihipStream_tbEUlT_E_NS1_11comp_targetILNS1_3genE8ELNS1_11target_archE1030ELNS1_3gpuE2ELNS1_3repE0EEENS1_30default_config_static_selectorELNS0_4arch9wavefront6targetE0EEEvSK_
	.p2align	8
	.type	_ZN7rocprim17ROCPRIM_400000_NS6detail17trampoline_kernelINS0_14default_configENS1_36segmented_radix_sort_config_selectorIilEEZNS1_25segmented_radix_sort_implIS3_Lb0EPKiPiPKlPlN2at6native12_GLOBAL__N_18offset_tEEE10hipError_tPvRmT1_PNSt15iterator_traitsISK_E10value_typeET2_T3_PNSL_ISQ_E10value_typeET4_jRbjT5_SW_jjP12ihipStream_tbEUlT_E_NS1_11comp_targetILNS1_3genE8ELNS1_11target_archE1030ELNS1_3gpuE2ELNS1_3repE0EEENS1_30default_config_static_selectorELNS0_4arch9wavefront6targetE0EEEvSK_,@function
_ZN7rocprim17ROCPRIM_400000_NS6detail17trampoline_kernelINS0_14default_configENS1_36segmented_radix_sort_config_selectorIilEEZNS1_25segmented_radix_sort_implIS3_Lb0EPKiPiPKlPlN2at6native12_GLOBAL__N_18offset_tEEE10hipError_tPvRmT1_PNSt15iterator_traitsISK_E10value_typeET2_T3_PNSL_ISQ_E10value_typeET4_jRbjT5_SW_jjP12ihipStream_tbEUlT_E_NS1_11comp_targetILNS1_3genE8ELNS1_11target_archE1030ELNS1_3gpuE2ELNS1_3repE0EEENS1_30default_config_static_selectorELNS0_4arch9wavefront6targetE0EEEvSK_: ; @_ZN7rocprim17ROCPRIM_400000_NS6detail17trampoline_kernelINS0_14default_configENS1_36segmented_radix_sort_config_selectorIilEEZNS1_25segmented_radix_sort_implIS3_Lb0EPKiPiPKlPlN2at6native12_GLOBAL__N_18offset_tEEE10hipError_tPvRmT1_PNSt15iterator_traitsISK_E10value_typeET2_T3_PNSL_ISQ_E10value_typeET4_jRbjT5_SW_jjP12ihipStream_tbEUlT_E_NS1_11comp_targetILNS1_3genE8ELNS1_11target_archE1030ELNS1_3gpuE2ELNS1_3repE0EEENS1_30default_config_static_selectorELNS0_4arch9wavefront6targetE0EEEvSK_
; %bb.0:
	s_load_dwordx2 s[12:13], s[4:5], 0x38
	s_mov_b32 s28, s7
	s_mov_b32 s7, 0
	s_add_u32 s0, s0, s8
	s_addc_u32 s1, s1, 0
	s_lshl_b64 s[14:15], s[6:7], 2
	s_load_dwordx4 s[8:11], s[4:5], 0x40
	s_mov_b32 s32, 0
	s_waitcnt lgkmcnt(0)
	s_add_u32 s12, s12, s14
	s_addc_u32 s13, s13, s15
	s_load_dword s7, s[12:13], 0x0
	s_waitcnt lgkmcnt(0)
	s_add_i32 s58, s7, s9
	s_add_i32 s59, s7, s11
	s_mul_i32 s58, s58, s8
	s_mul_i32 s59, s59, s10
	s_cmp_le_u32 s59, s58
	s_cbranch_scc1 .LBB604_1254
; %bb.1:
	s_clause 0x3
	s_load_dword s7, s[4:5], 0x30
	s_load_dwordx4 s[52:55], s[4:5], 0x20
	s_load_dwordx4 s[40:43], s[4:5], 0x50
	s_load_dwordx8 s[44:51], s[4:5], 0x0
	s_waitcnt lgkmcnt(0)
	s_bitcmp1_b32 s7, 0
	s_mov_b32 s7, -1
	s_cselect_b32 s43, -1, 0
	s_sub_i32 s60, s59, s58
	s_cmpk_lt_u32 s60, 0x1101
	s_cbranch_scc0 .LBB604_7
; %bb.2:
	v_cndmask_b32_e64 v3, 0, 1, s43
	s_and_b32 s7, s40, 1
	v_lshlrev_b32_e32 v41, 20, v2
	v_lshlrev_b32_e32 v42, 10, v1
	v_cmp_ne_u32_e32 vcc_lo, s7, v3
	s_mov_b32 s7, -1
	s_cbranch_vccnz .LBB604_4
; %bb.3:
	s_mov_b64 s[10:11], src_shared_base
	v_or3_b32 v31, v0, v42, v41
	v_mov_b32_e32 v40, v0
	v_mov_b32_e32 v0, s44
	;; [unrolled: 1-line block ×17, first 2 shown]
	s_add_u32 s8, s4, 0x60
	s_addc_u32 s9, s5, 0
	s_getpc_b64 s[14:15]
	s_add_u32 s14, s14, _ZN7rocprim17ROCPRIM_400000_NS6detail40segmented_radix_sort_single_block_helperIilLj256ELj17ELb0EE4sortIPKiPiPKlPlEEbT_T0_T1_T2_jjjjRNS3_12storage_typeE@rel32@lo+4
	s_addc_u32 s15, s15, _ZN7rocprim17ROCPRIM_400000_NS6detail40segmented_radix_sort_single_block_helperIilLj256ELj17ELb0EE4sortIPKiPiPKlPlEEbT_T0_T1_T2_jjjjRNS3_12storage_typeE@rel32@hi+12
	s_mov_b32 s12, s6
	s_mov_b32 s13, s28
	;; [unrolled: 1-line block ×3, first 2 shown]
	s_mov_b64 s[36:37], s[4:5]
	s_swappc_b64 s[30:31], s[14:15]
	v_mov_b32_e32 v1, v43
	v_mov_b32_e32 v2, v44
	v_mov_b32_e32 v0, v40
	s_mov_b64 s[4:5], s[36:37]
	s_mov_b32 s6, s34
	s_mov_b32 s7, 0
.LBB604_4:
	s_andn2_b32 vcc_lo, exec_lo, s7
	s_cbranch_vccnz .LBB604_6
; %bb.5:
	s_mov_b64 s[10:11], src_shared_base
	v_or3_b32 v31, v0, v42, v41
	v_mov_b32_e32 v40, v0
	v_mov_b32_e32 v0, s44
	v_mov_b32_e32 v41, v1
	v_mov_b32_e32 v1, s45
	v_mov_b32_e32 v42, v2
	v_mov_b32_e32 v2, s46
	v_mov_b32_e32 v3, s47
	v_mov_b32_e32 v4, s50
	v_mov_b32_e32 v5, s51
	v_mov_b32_e32 v6, s52
	v_mov_b32_e32 v7, s53
	v_mov_b32_e32 v8, s58
	v_mov_b32_e32 v9, s59
	v_mov_b32_e32 v10, s41
	v_mov_b32_e32 v11, s42
	v_mov_b32_e32 v12, 0
	v_mov_b32_e32 v13, s11
	s_add_u32 s8, s4, 0x60
	s_addc_u32 s9, s5, 0
	s_getpc_b64 s[14:15]
	s_add_u32 s14, s14, _ZN7rocprim17ROCPRIM_400000_NS6detail40segmented_radix_sort_single_block_helperIilLj256ELj17ELb0EE4sortIPKiPiPKlPlEEbT_T0_T1_T2_jjjjRNS3_12storage_typeE@rel32@lo+4
	s_addc_u32 s15, s15, _ZN7rocprim17ROCPRIM_400000_NS6detail40segmented_radix_sort_single_block_helperIilLj256ELj17ELb0EE4sortIPKiPiPKlPlEEbT_T0_T1_T2_jjjjRNS3_12storage_typeE@rel32@hi+12
	s_mov_b32 s12, s6
	s_mov_b32 s13, s28
	;; [unrolled: 1-line block ×3, first 2 shown]
	s_mov_b64 s[36:37], s[4:5]
	s_swappc_b64 s[30:31], s[14:15]
	v_mov_b32_e32 v1, v41
	v_mov_b32_e32 v2, v42
	;; [unrolled: 1-line block ×3, first 2 shown]
	s_mov_b64 s[4:5], s[36:37]
	s_mov_b32 s6, s34
.LBB604_6:
	s_mov_b32 s7, 0
.LBB604_7:
	s_andn2_b32 vcc_lo, exec_lo, s7
	s_cbranch_vccnz .LBB604_1254
; %bb.8:
	s_cmp_ge_u32 s41, s42
	s_cbranch_scc1 .LBB604_1254
; %bb.9:
	v_and_b32_e32 v5, 0xe0, v0
	v_lshlrev_b32_e32 v43, 2, v0
	v_and_b32_e32 v3, 3, v0
	v_lshrrev_b32_e32 v7, 3, v0
	s_add_u32 s56, s4, 0x60
	v_min_u32_e32 v6, 0x60, v5
	v_mad_u32_u24 v64, v0, 12, v43
	v_lshlrev_b32_e32 v63, 2, v3
	v_mul_u32_u24_e32 v3, 17, v5
	v_or_b32_e32 v5, 31, v5
	v_or_b32_e32 v6, 31, v6
	v_add_nc_u32_e32 v68, v64, v43
	v_and_b32_e32 v62, 28, v7
	v_add_nc_u32_e32 v7, 1, v0
	v_cmp_eq_u32_e64 s4, v0, v5
	v_cmp_eq_u32_e64 s8, v0, v6
	v_lshlrev_b32_e32 v6, 4, v0
	v_lshlrev_b32_e32 v5, 3, v3
	v_mul_u32_u24_e32 v70, 36, v7
	v_cmp_ne_u32_e64 s13, 0x80, v7
	v_mbcnt_lo_u32_b32 v82, -1, 0
	v_sub_nc_u32_e32 v69, v68, v6
	v_lshlrev_b32_e32 v6, 2, v3
	v_add_co_u32 v7, s14, s54, v5
	v_add_co_ci_u32_e64 v8, null, s55, 0, s14
	v_add_co_u32 v9, s14, s48, v6
	v_add_co_ci_u32_e64 v10, null, s49, 0, s14
	;; [unrolled: 2-line block ×3, first 2 shown]
	v_add_co_u32 v74, s14, s52, v5
	v_lshlrev_b32_e32 v106, 3, v82
	v_add_co_ci_u32_e64 v75, null, s53, 0, s14
	v_add_co_u32 v76, s14, s46, v6
	v_lshlrev_b32_e32 v125, 2, v82
	v_add_co_ci_u32_e64 v77, null, s47, 0, s14
	v_add_co_u32 v78, s14, s44, v43
	v_or_b32_e32 v47, 0x200, v0
	v_or_b32_e32 v48, 0x300, v0
	;; [unrolled: 1-line block ×16, first 2 shown]
	v_add_co_ci_u32_e64 v79, null, s45, 0, s14
	v_add_co_u32 v80, s14, s50, v5
	v_add_co_u32 v110, vcc_lo, v7, v106
	v_add_co_u32 v45, s7, s48, v43
	v_add_co_ci_u32_e64 v81, null, s51, 0, s14
	v_add_co_u32 v83, s14, s44, v6
	v_add_co_ci_u32_e64 v111, null, 0, v8, vcc_lo
	v_add_co_u32 v129, vcc_lo, v9, v125
	v_mov_b32_e32 v4, 0
	v_or_b32_e32 v44, 0x100, v0
	v_add_co_ci_u32_e64 v46, null, s49, 0, s7
	v_cmp_gt_u32_e64 s7, 0x80, v0
	v_or_b32_e32 v65, 0x8a00, v62
	v_cmp_gt_u32_e64 s9, 4, v0
	v_add_nc_u32_e32 v66, 0x8a00, v43
	v_cmp_lt_u32_e64 s10, 31, v0
	v_add_nc_u32_e32 v67, 0x89fc, v62
	v_cmp_gt_u32_e64 s11, 8, v0
	v_cmp_eq_u32_e64 s12, 0, v0
	v_lshl_add_u32 v71, v0, 5, v69
	v_add_co_ci_u32_e64 v84, null, s45, 0, s14
	v_mov_b32_e32 v85, 1
	v_and_b32_e32 v86, 15, v82
	v_bfe_i32 v87, v82, 4, 1
	v_and_b32_e32 v88, 16, v82
	v_and_b32_e32 v89, 3, v82
	v_sub_co_u32 v90, s14, v82, 1
	v_lshlrev_b32_e32 v91, 2, v0
	v_lshlrev_b32_e32 v92, 2, v47
	v_lshlrev_b32_e32 v93, 2, v48
	v_lshlrev_b32_e32 v94, 2, v49
	v_lshlrev_b32_e32 v95, 2, v50
	v_lshlrev_b32_e32 v96, 2, v51
	v_lshlrev_b32_e32 v97, 2, v52
	v_lshlrev_b32_e32 v98, 2, v53
	v_lshlrev_b32_e32 v99, 2, v54
	v_lshlrev_b32_e32 v100, 2, v55
	v_lshlrev_b32_e32 v101, 2, v56
	v_lshlrev_b32_e32 v102, 2, v57
	v_lshlrev_b32_e32 v103, 2, v58
	v_lshlrev_b32_e32 v104, 2, v59
	v_lshlrev_b32_e32 v105, 2, v60
	v_lshlrev_b32_e32 v107, 2, v61
	v_and_b32_e32 v108, 7, v82
	v_add_nc_u32_e32 v112, 32, v109
	v_add_nc_u32_e32 v113, 64, v109
	;; [unrolled: 1-line block ×16, first 2 shown]
	v_add_co_ci_u32_e64 v130, null, 0, v10, vcc_lo
	s_addc_u32 s57, s5, 0
	s_mov_b32 s51, 0
	s_mov_b32 s61, s41
	s_branch .LBB604_12
.LBB604_10:                             ;   in Loop: Header=BB604_12 Depth=1
	s_waitcnt lgkmcnt(0)
	s_barrier
.LBB604_11:                             ;   in Loop: Header=BB604_12 Depth=1
	s_add_i32 s61, s61, 7
	buffer_gl0_inv
	s_cmp_ge_u32 s61, s42
	s_cbranch_scc1 .LBB604_1254
.LBB604_12:                             ; =>This Loop Header: Depth=1
                                        ;     Child Loop BB604_16 Depth 2
                                        ;     Child Loop BB604_100 Depth 2
	;; [unrolled: 1-line block ×8, first 2 shown]
	s_sub_i32 s5, s42, s61
	s_xor_b32 s43, s43, -1
	s_min_u32 s5, s5, 7
	ds_write2st64_b32 v43, v4, v4 offset1:4
	s_lshl_b32 s5, -1, s5
	s_waitcnt lgkmcnt(0)
	s_waitcnt_vscnt null, 0x0
	s_not_b32 s62, s5
	s_cmp_lg_u32 s61, s41
	s_mov_b32 s5, -1
	s_cbranch_scc0 .LBB604_634
; %bb.13:                               ;   in Loop: Header=BB604_12 Depth=1
	s_and_b32 vcc_lo, exec_lo, s43
	s_cbranch_vccz .LBB604_323
; %bb.14:                               ;   in Loop: Header=BB604_12 Depth=1
	s_mov_b32 s5, s60
	s_mov_b32 s50, s58
	s_barrier
	buffer_gl0_inv
                                        ; implicit-def: $vgpr3
                                        ; implicit-def: $vgpr5
                                        ; implicit-def: $vgpr6
                                        ; implicit-def: $vgpr7
                                        ; implicit-def: $vgpr8
                                        ; implicit-def: $vgpr9
                                        ; implicit-def: $vgpr10
                                        ; implicit-def: $vgpr11
                                        ; implicit-def: $vgpr12
                                        ; implicit-def: $vgpr13
                                        ; implicit-def: $vgpr14
                                        ; implicit-def: $vgpr15
                                        ; implicit-def: $vgpr16
                                        ; implicit-def: $vgpr17
                                        ; implicit-def: $vgpr18
                                        ; implicit-def: $vgpr19
                                        ; implicit-def: $vgpr20
	s_branch .LBB604_16
.LBB604_15:                             ;   in Loop: Header=BB604_16 Depth=2
	s_or_b32 exec_lo, exec_lo, s16
	s_addk_i32 s5, 0xef00
	s_cmp_ge_u32 s15, s59
	s_mov_b32 s50, s15
	s_cbranch_scc1 .LBB604_88
.LBB604_16:                             ;   Parent Loop BB604_12 Depth=1
                                        ; =>  This Inner Loop Header: Depth=2
	s_add_i32 s15, s50, 0x1100
	s_mov_b32 s16, -1
	s_cmp_gt_u32 s15, s59
                                        ; implicit-def: $vgpr21
                                        ; implicit-def: $vgpr22
                                        ; implicit-def: $vgpr25
                                        ; implicit-def: $vgpr23
                                        ; implicit-def: $vgpr27
                                        ; implicit-def: $vgpr24
                                        ; implicit-def: $vgpr29
                                        ; implicit-def: $vgpr26
                                        ; implicit-def: $vgpr31
                                        ; implicit-def: $vgpr28
                                        ; implicit-def: $vgpr33
                                        ; implicit-def: $vgpr30
                                        ; implicit-def: $vgpr34
                                        ; implicit-def: $vgpr32
                                        ; implicit-def: $vgpr35
                                        ; implicit-def: $vgpr36
                                        ; implicit-def: $vgpr37
	s_cbranch_scc1 .LBB604_18
; %bb.17:                               ;   in Loop: Header=BB604_16 Depth=2
	s_lshl_b64 s[16:17], s[50:51], 2
	v_add_co_u32 v33, vcc_lo, v45, s16
	v_add_co_ci_u32_e64 v34, null, s17, v46, vcc_lo
	s_mov_b32 s16, 0
	v_add_co_u32 v23, vcc_lo, 0x800, v33
	v_add_co_ci_u32_e64 v24, null, 0, v34, vcc_lo
	v_add_co_u32 v35, vcc_lo, v33, 0x1000
	v_add_co_ci_u32_e64 v36, null, 0, v34, vcc_lo
	;; [unrolled: 2-line block ×9, first 2 shown]
	s_clause 0x7
	global_load_dword v21, v[33:34], off
	global_load_dword v22, v[33:34], off offset:1024
	global_load_dword v23, v[23:24], off offset:1024
	;; [unrolled: 1-line block ×7, first 2 shown]
	v_add_co_u32 v41, vcc_lo, 0x3800, v33
	v_add_co_ci_u32_e64 v42, null, 0, v34, vcc_lo
	v_add_co_u32 v131, vcc_lo, v33, 0x4000
	v_add_co_ci_u32_e64 v132, null, 0, v34, vcc_lo
	s_clause 0x8
	global_load_dword v25, v[35:36], off offset:-2048
	global_load_dword v27, v[35:36], off
	global_load_dword v29, v[37:38], off offset:-2048
	global_load_dword v31, v[37:38], off
	global_load_dword v33, v[39:40], off offset:-2048
	global_load_dword v34, v[39:40], off
	global_load_dword v35, v[131:132], off offset:-2048
	global_load_dword v36, v[41:42], off offset:1024
	global_load_dword v37, v[131:132], off
.LBB604_18:                             ;   in Loop: Header=BB604_16 Depth=2
	s_andn2_b32 vcc_lo, exec_lo, s16
	s_movk_i32 s16, 0x1100
	s_cbranch_vccnz .LBB604_38
; %bb.19:                               ;   in Loop: Header=BB604_16 Depth=2
	s_lshl_b64 s[16:17], s[50:51], 2
	s_mov_b32 s18, exec_lo
	s_add_u32 s16, s48, s16
	s_addc_u32 s17, s49, s17
	v_cmpx_gt_u32_e64 s5, v0
	s_cbranch_execnz .LBB604_72
; %bb.20:                               ;   in Loop: Header=BB604_16 Depth=2
	s_or_b32 exec_lo, exec_lo, s18
	s_mov_b32 s18, exec_lo
	v_cmpx_gt_u32_e64 s5, v44
	s_cbranch_execnz .LBB604_73
.LBB604_21:                             ;   in Loop: Header=BB604_16 Depth=2
	s_or_b32 exec_lo, exec_lo, s18
	s_mov_b32 s18, exec_lo
	v_cmpx_gt_u32_e64 s5, v47
	s_cbranch_execnz .LBB604_74
.LBB604_22:                             ;   in Loop: Header=BB604_16 Depth=2
	s_or_b32 exec_lo, exec_lo, s18
	s_mov_b32 s18, exec_lo
	v_cmpx_gt_u32_e64 s5, v48
	s_cbranch_execnz .LBB604_75
.LBB604_23:                             ;   in Loop: Header=BB604_16 Depth=2
	s_or_b32 exec_lo, exec_lo, s18
	s_mov_b32 s18, exec_lo
	v_cmpx_gt_u32_e64 s5, v49
	s_cbranch_execnz .LBB604_76
.LBB604_24:                             ;   in Loop: Header=BB604_16 Depth=2
	s_or_b32 exec_lo, exec_lo, s18
	s_mov_b32 s18, exec_lo
	v_cmpx_gt_u32_e64 s5, v50
	s_cbranch_execnz .LBB604_77
.LBB604_25:                             ;   in Loop: Header=BB604_16 Depth=2
	s_or_b32 exec_lo, exec_lo, s18
	s_mov_b32 s18, exec_lo
	v_cmpx_gt_u32_e64 s5, v51
	s_cbranch_execnz .LBB604_78
.LBB604_26:                             ;   in Loop: Header=BB604_16 Depth=2
	s_or_b32 exec_lo, exec_lo, s18
	s_mov_b32 s18, exec_lo
	v_cmpx_gt_u32_e64 s5, v52
	s_cbranch_execnz .LBB604_79
.LBB604_27:                             ;   in Loop: Header=BB604_16 Depth=2
	s_or_b32 exec_lo, exec_lo, s18
	s_mov_b32 s18, exec_lo
	v_cmpx_gt_u32_e64 s5, v53
	s_cbranch_execnz .LBB604_80
.LBB604_28:                             ;   in Loop: Header=BB604_16 Depth=2
	s_or_b32 exec_lo, exec_lo, s18
	s_mov_b32 s18, exec_lo
	v_cmpx_gt_u32_e64 s5, v54
	s_cbranch_execnz .LBB604_81
.LBB604_29:                             ;   in Loop: Header=BB604_16 Depth=2
	s_or_b32 exec_lo, exec_lo, s18
	s_mov_b32 s18, exec_lo
	v_cmpx_gt_u32_e64 s5, v55
	s_cbranch_execnz .LBB604_82
.LBB604_30:                             ;   in Loop: Header=BB604_16 Depth=2
	s_or_b32 exec_lo, exec_lo, s18
	s_mov_b32 s18, exec_lo
	v_cmpx_gt_u32_e64 s5, v56
	s_cbranch_execnz .LBB604_83
.LBB604_31:                             ;   in Loop: Header=BB604_16 Depth=2
	s_or_b32 exec_lo, exec_lo, s18
	s_mov_b32 s18, exec_lo
	v_cmpx_gt_u32_e64 s5, v57
	s_cbranch_execnz .LBB604_84
.LBB604_32:                             ;   in Loop: Header=BB604_16 Depth=2
	s_or_b32 exec_lo, exec_lo, s18
	s_mov_b32 s18, exec_lo
	v_cmpx_gt_u32_e64 s5, v58
	s_cbranch_execnz .LBB604_85
.LBB604_33:                             ;   in Loop: Header=BB604_16 Depth=2
	s_or_b32 exec_lo, exec_lo, s18
	s_mov_b32 s18, exec_lo
	v_cmpx_gt_u32_e64 s5, v59
	s_cbranch_execnz .LBB604_86
.LBB604_34:                             ;   in Loop: Header=BB604_16 Depth=2
	s_or_b32 exec_lo, exec_lo, s18
	s_mov_b32 s18, exec_lo
	v_cmpx_gt_u32_e64 s5, v60
	s_cbranch_execnz .LBB604_87
.LBB604_35:                             ;   in Loop: Header=BB604_16 Depth=2
	s_or_b32 exec_lo, exec_lo, s18
	s_mov_b32 s18, exec_lo
	v_cmpx_gt_u32_e64 s5, v61
	s_cbranch_execz .LBB604_37
.LBB604_36:                             ;   in Loop: Header=BB604_16 Depth=2
	global_load_dword v3, v107, s[16:17]
.LBB604_37:                             ;   in Loop: Header=BB604_16 Depth=2
	s_or_b32 exec_lo, exec_lo, s18
	s_waitcnt vmcnt(0)
	v_mov_b32_e32 v21, v20
	v_mov_b32_e32 v22, v19
	;; [unrolled: 1-line block ×17, first 2 shown]
	s_mov_b32 s16, s5
.LBB604_38:                             ;   in Loop: Header=BB604_16 Depth=2
	s_waitcnt vmcnt(0)
	v_mov_b32_e32 v3, v37
	v_mov_b32_e32 v5, v36
	;; [unrolled: 1-line block ×17, first 2 shown]
	s_mov_b32 s17, exec_lo
	v_cmpx_gt_u32_e64 s16, v0
	s_cbranch_execnz .LBB604_55
; %bb.39:                               ;   in Loop: Header=BB604_16 Depth=2
	s_or_b32 exec_lo, exec_lo, s17
	s_mov_b32 s17, exec_lo
	v_cmpx_gt_u32_e64 s16, v44
	s_cbranch_execnz .LBB604_56
.LBB604_40:                             ;   in Loop: Header=BB604_16 Depth=2
	s_or_b32 exec_lo, exec_lo, s17
	s_mov_b32 s17, exec_lo
	v_cmpx_gt_u32_e64 s16, v47
	s_cbranch_execnz .LBB604_57
.LBB604_41:                             ;   in Loop: Header=BB604_16 Depth=2
	s_or_b32 exec_lo, exec_lo, s17
	s_mov_b32 s17, exec_lo
	v_cmpx_gt_u32_e64 s16, v48
	s_cbranch_execnz .LBB604_58
.LBB604_42:                             ;   in Loop: Header=BB604_16 Depth=2
	s_or_b32 exec_lo, exec_lo, s17
	s_mov_b32 s17, exec_lo
	v_cmpx_gt_u32_e64 s16, v49
	s_cbranch_execnz .LBB604_59
.LBB604_43:                             ;   in Loop: Header=BB604_16 Depth=2
	s_or_b32 exec_lo, exec_lo, s17
	s_mov_b32 s17, exec_lo
	v_cmpx_gt_u32_e64 s16, v50
	s_cbranch_execnz .LBB604_60
.LBB604_44:                             ;   in Loop: Header=BB604_16 Depth=2
	s_or_b32 exec_lo, exec_lo, s17
	s_mov_b32 s17, exec_lo
	v_cmpx_gt_u32_e64 s16, v51
	s_cbranch_execnz .LBB604_61
.LBB604_45:                             ;   in Loop: Header=BB604_16 Depth=2
	s_or_b32 exec_lo, exec_lo, s17
	s_mov_b32 s17, exec_lo
	v_cmpx_gt_u32_e64 s16, v52
	s_cbranch_execnz .LBB604_62
.LBB604_46:                             ;   in Loop: Header=BB604_16 Depth=2
	s_or_b32 exec_lo, exec_lo, s17
	s_mov_b32 s17, exec_lo
	v_cmpx_gt_u32_e64 s16, v53
	s_cbranch_execnz .LBB604_63
.LBB604_47:                             ;   in Loop: Header=BB604_16 Depth=2
	s_or_b32 exec_lo, exec_lo, s17
	s_mov_b32 s17, exec_lo
	v_cmpx_gt_u32_e64 s16, v54
	s_cbranch_execnz .LBB604_64
.LBB604_48:                             ;   in Loop: Header=BB604_16 Depth=2
	s_or_b32 exec_lo, exec_lo, s17
	s_mov_b32 s17, exec_lo
	v_cmpx_gt_u32_e64 s16, v55
	s_cbranch_execnz .LBB604_65
.LBB604_49:                             ;   in Loop: Header=BB604_16 Depth=2
	s_or_b32 exec_lo, exec_lo, s17
	s_mov_b32 s17, exec_lo
	v_cmpx_gt_u32_e64 s16, v56
	s_cbranch_execnz .LBB604_66
.LBB604_50:                             ;   in Loop: Header=BB604_16 Depth=2
	s_or_b32 exec_lo, exec_lo, s17
	s_mov_b32 s17, exec_lo
	v_cmpx_gt_u32_e64 s16, v57
	s_cbranch_execnz .LBB604_67
.LBB604_51:                             ;   in Loop: Header=BB604_16 Depth=2
	s_or_b32 exec_lo, exec_lo, s17
	s_mov_b32 s17, exec_lo
	v_cmpx_gt_u32_e64 s16, v58
	s_cbranch_execnz .LBB604_68
.LBB604_52:                             ;   in Loop: Header=BB604_16 Depth=2
	s_or_b32 exec_lo, exec_lo, s17
	s_mov_b32 s17, exec_lo
	v_cmpx_gt_u32_e64 s16, v59
	s_cbranch_execnz .LBB604_69
.LBB604_53:                             ;   in Loop: Header=BB604_16 Depth=2
	s_or_b32 exec_lo, exec_lo, s17
	s_mov_b32 s17, exec_lo
	v_cmpx_gt_u32_e64 s16, v60
	s_cbranch_execnz .LBB604_70
.LBB604_54:                             ;   in Loop: Header=BB604_16 Depth=2
	s_or_b32 exec_lo, exec_lo, s17
	v_cmp_gt_u32_e32 vcc_lo, s16, v61
	s_and_saveexec_b32 s16, vcc_lo
	s_cbranch_execz .LBB604_15
	s_branch .LBB604_71
.LBB604_55:                             ;   in Loop: Header=BB604_16 Depth=2
	v_xor_b32_e32 v21, 0x80000000, v20
	v_lshrrev_b32_e32 v21, s61, v21
	v_and_b32_e32 v21, s62, v21
	v_lshl_or_b32 v21, v21, 4, v63
	ds_add_u32 v21, v85
	s_or_b32 exec_lo, exec_lo, s17
	s_mov_b32 s17, exec_lo
	v_cmpx_gt_u32_e64 s16, v44
	s_cbranch_execz .LBB604_40
.LBB604_56:                             ;   in Loop: Header=BB604_16 Depth=2
	v_xor_b32_e32 v21, 0x80000000, v19
	v_lshrrev_b32_e32 v21, s61, v21
	v_and_b32_e32 v21, s62, v21
	v_lshl_or_b32 v21, v21, 4, v63
	ds_add_u32 v21, v85
	s_or_b32 exec_lo, exec_lo, s17
	s_mov_b32 s17, exec_lo
	v_cmpx_gt_u32_e64 s16, v47
	s_cbranch_execz .LBB604_41
.LBB604_57:                             ;   in Loop: Header=BB604_16 Depth=2
	v_xor_b32_e32 v21, 0x80000000, v18
	v_lshrrev_b32_e32 v21, s61, v21
	v_and_b32_e32 v21, s62, v21
	v_lshl_or_b32 v21, v21, 4, v63
	ds_add_u32 v21, v85
	s_or_b32 exec_lo, exec_lo, s17
	s_mov_b32 s17, exec_lo
	v_cmpx_gt_u32_e64 s16, v48
	s_cbranch_execz .LBB604_42
.LBB604_58:                             ;   in Loop: Header=BB604_16 Depth=2
	v_xor_b32_e32 v21, 0x80000000, v17
	v_lshrrev_b32_e32 v21, s61, v21
	v_and_b32_e32 v21, s62, v21
	v_lshl_or_b32 v21, v21, 4, v63
	ds_add_u32 v21, v85
	s_or_b32 exec_lo, exec_lo, s17
	s_mov_b32 s17, exec_lo
	v_cmpx_gt_u32_e64 s16, v49
	s_cbranch_execz .LBB604_43
.LBB604_59:                             ;   in Loop: Header=BB604_16 Depth=2
	v_xor_b32_e32 v21, 0x80000000, v16
	v_lshrrev_b32_e32 v21, s61, v21
	v_and_b32_e32 v21, s62, v21
	v_lshl_or_b32 v21, v21, 4, v63
	ds_add_u32 v21, v85
	s_or_b32 exec_lo, exec_lo, s17
	s_mov_b32 s17, exec_lo
	v_cmpx_gt_u32_e64 s16, v50
	s_cbranch_execz .LBB604_44
.LBB604_60:                             ;   in Loop: Header=BB604_16 Depth=2
	v_xor_b32_e32 v21, 0x80000000, v15
	v_lshrrev_b32_e32 v21, s61, v21
	v_and_b32_e32 v21, s62, v21
	v_lshl_or_b32 v21, v21, 4, v63
	ds_add_u32 v21, v85
	s_or_b32 exec_lo, exec_lo, s17
	s_mov_b32 s17, exec_lo
	v_cmpx_gt_u32_e64 s16, v51
	s_cbranch_execz .LBB604_45
.LBB604_61:                             ;   in Loop: Header=BB604_16 Depth=2
	v_xor_b32_e32 v21, 0x80000000, v14
	v_lshrrev_b32_e32 v21, s61, v21
	v_and_b32_e32 v21, s62, v21
	v_lshl_or_b32 v21, v21, 4, v63
	ds_add_u32 v21, v85
	s_or_b32 exec_lo, exec_lo, s17
	s_mov_b32 s17, exec_lo
	v_cmpx_gt_u32_e64 s16, v52
	s_cbranch_execz .LBB604_46
.LBB604_62:                             ;   in Loop: Header=BB604_16 Depth=2
	v_xor_b32_e32 v21, 0x80000000, v13
	v_lshrrev_b32_e32 v21, s61, v21
	v_and_b32_e32 v21, s62, v21
	v_lshl_or_b32 v21, v21, 4, v63
	ds_add_u32 v21, v85
	s_or_b32 exec_lo, exec_lo, s17
	s_mov_b32 s17, exec_lo
	v_cmpx_gt_u32_e64 s16, v53
	s_cbranch_execz .LBB604_47
.LBB604_63:                             ;   in Loop: Header=BB604_16 Depth=2
	v_xor_b32_e32 v21, 0x80000000, v12
	v_lshrrev_b32_e32 v21, s61, v21
	v_and_b32_e32 v21, s62, v21
	v_lshl_or_b32 v21, v21, 4, v63
	ds_add_u32 v21, v85
	s_or_b32 exec_lo, exec_lo, s17
	s_mov_b32 s17, exec_lo
	v_cmpx_gt_u32_e64 s16, v54
	s_cbranch_execz .LBB604_48
.LBB604_64:                             ;   in Loop: Header=BB604_16 Depth=2
	v_xor_b32_e32 v21, 0x80000000, v11
	v_lshrrev_b32_e32 v21, s61, v21
	v_and_b32_e32 v21, s62, v21
	v_lshl_or_b32 v21, v21, 4, v63
	ds_add_u32 v21, v85
	s_or_b32 exec_lo, exec_lo, s17
	s_mov_b32 s17, exec_lo
	v_cmpx_gt_u32_e64 s16, v55
	s_cbranch_execz .LBB604_49
.LBB604_65:                             ;   in Loop: Header=BB604_16 Depth=2
	v_xor_b32_e32 v21, 0x80000000, v10
	v_lshrrev_b32_e32 v21, s61, v21
	v_and_b32_e32 v21, s62, v21
	v_lshl_or_b32 v21, v21, 4, v63
	ds_add_u32 v21, v85
	s_or_b32 exec_lo, exec_lo, s17
	s_mov_b32 s17, exec_lo
	v_cmpx_gt_u32_e64 s16, v56
	s_cbranch_execz .LBB604_50
.LBB604_66:                             ;   in Loop: Header=BB604_16 Depth=2
	v_xor_b32_e32 v21, 0x80000000, v9
	v_lshrrev_b32_e32 v21, s61, v21
	v_and_b32_e32 v21, s62, v21
	v_lshl_or_b32 v21, v21, 4, v63
	ds_add_u32 v21, v85
	s_or_b32 exec_lo, exec_lo, s17
	s_mov_b32 s17, exec_lo
	v_cmpx_gt_u32_e64 s16, v57
	s_cbranch_execz .LBB604_51
.LBB604_67:                             ;   in Loop: Header=BB604_16 Depth=2
	v_xor_b32_e32 v21, 0x80000000, v8
	v_lshrrev_b32_e32 v21, s61, v21
	v_and_b32_e32 v21, s62, v21
	v_lshl_or_b32 v21, v21, 4, v63
	ds_add_u32 v21, v85
	s_or_b32 exec_lo, exec_lo, s17
	s_mov_b32 s17, exec_lo
	v_cmpx_gt_u32_e64 s16, v58
	s_cbranch_execz .LBB604_52
.LBB604_68:                             ;   in Loop: Header=BB604_16 Depth=2
	v_xor_b32_e32 v21, 0x80000000, v7
	v_lshrrev_b32_e32 v21, s61, v21
	v_and_b32_e32 v21, s62, v21
	v_lshl_or_b32 v21, v21, 4, v63
	ds_add_u32 v21, v85
	s_or_b32 exec_lo, exec_lo, s17
	s_mov_b32 s17, exec_lo
	v_cmpx_gt_u32_e64 s16, v59
	s_cbranch_execz .LBB604_53
.LBB604_69:                             ;   in Loop: Header=BB604_16 Depth=2
	v_xor_b32_e32 v21, 0x80000000, v6
	v_lshrrev_b32_e32 v21, s61, v21
	v_and_b32_e32 v21, s62, v21
	v_lshl_or_b32 v21, v21, 4, v63
	ds_add_u32 v21, v85
	s_or_b32 exec_lo, exec_lo, s17
	s_mov_b32 s17, exec_lo
	v_cmpx_gt_u32_e64 s16, v60
	s_cbranch_execz .LBB604_54
.LBB604_70:                             ;   in Loop: Header=BB604_16 Depth=2
	v_xor_b32_e32 v21, 0x80000000, v5
	v_lshrrev_b32_e32 v21, s61, v21
	v_and_b32_e32 v21, s62, v21
	v_lshl_or_b32 v21, v21, 4, v63
	ds_add_u32 v21, v85
	s_or_b32 exec_lo, exec_lo, s17
	v_cmp_gt_u32_e32 vcc_lo, s16, v61
	s_and_saveexec_b32 s16, vcc_lo
	s_cbranch_execz .LBB604_15
.LBB604_71:                             ;   in Loop: Header=BB604_16 Depth=2
	v_xor_b32_e32 v21, 0x80000000, v3
	v_lshrrev_b32_e32 v21, s61, v21
	v_and_b32_e32 v21, s62, v21
	v_lshl_or_b32 v21, v21, 4, v63
	ds_add_u32 v21, v85
	s_branch .LBB604_15
.LBB604_72:                             ;   in Loop: Header=BB604_16 Depth=2
	global_load_dword v20, v91, s[16:17]
	s_or_b32 exec_lo, exec_lo, s18
	s_mov_b32 s18, exec_lo
	v_cmpx_gt_u32_e64 s5, v44
	s_cbranch_execz .LBB604_21
.LBB604_73:                             ;   in Loop: Header=BB604_16 Depth=2
	global_load_dword v19, v91, s[16:17] offset:1024
	s_or_b32 exec_lo, exec_lo, s18
	s_mov_b32 s18, exec_lo
	v_cmpx_gt_u32_e64 s5, v47
	s_cbranch_execz .LBB604_22
.LBB604_74:                             ;   in Loop: Header=BB604_16 Depth=2
	global_load_dword v18, v92, s[16:17]
	s_or_b32 exec_lo, exec_lo, s18
	s_mov_b32 s18, exec_lo
	v_cmpx_gt_u32_e64 s5, v48
	s_cbranch_execz .LBB604_23
.LBB604_75:                             ;   in Loop: Header=BB604_16 Depth=2
	global_load_dword v17, v93, s[16:17]
	s_or_b32 exec_lo, exec_lo, s18
	s_mov_b32 s18, exec_lo
	v_cmpx_gt_u32_e64 s5, v49
	s_cbranch_execz .LBB604_24
.LBB604_76:                             ;   in Loop: Header=BB604_16 Depth=2
	global_load_dword v16, v94, s[16:17]
	s_or_b32 exec_lo, exec_lo, s18
	s_mov_b32 s18, exec_lo
	v_cmpx_gt_u32_e64 s5, v50
	s_cbranch_execz .LBB604_25
.LBB604_77:                             ;   in Loop: Header=BB604_16 Depth=2
	global_load_dword v15, v95, s[16:17]
	s_or_b32 exec_lo, exec_lo, s18
	s_mov_b32 s18, exec_lo
	v_cmpx_gt_u32_e64 s5, v51
	s_cbranch_execz .LBB604_26
.LBB604_78:                             ;   in Loop: Header=BB604_16 Depth=2
	global_load_dword v14, v96, s[16:17]
	s_or_b32 exec_lo, exec_lo, s18
	s_mov_b32 s18, exec_lo
	v_cmpx_gt_u32_e64 s5, v52
	s_cbranch_execz .LBB604_27
.LBB604_79:                             ;   in Loop: Header=BB604_16 Depth=2
	global_load_dword v13, v97, s[16:17]
	s_or_b32 exec_lo, exec_lo, s18
	s_mov_b32 s18, exec_lo
	v_cmpx_gt_u32_e64 s5, v53
	s_cbranch_execz .LBB604_28
.LBB604_80:                             ;   in Loop: Header=BB604_16 Depth=2
	global_load_dword v12, v98, s[16:17]
	s_or_b32 exec_lo, exec_lo, s18
	s_mov_b32 s18, exec_lo
	v_cmpx_gt_u32_e64 s5, v54
	s_cbranch_execz .LBB604_29
.LBB604_81:                             ;   in Loop: Header=BB604_16 Depth=2
	global_load_dword v11, v99, s[16:17]
	s_or_b32 exec_lo, exec_lo, s18
	s_mov_b32 s18, exec_lo
	v_cmpx_gt_u32_e64 s5, v55
	s_cbranch_execz .LBB604_30
.LBB604_82:                             ;   in Loop: Header=BB604_16 Depth=2
	global_load_dword v10, v100, s[16:17]
	s_or_b32 exec_lo, exec_lo, s18
	s_mov_b32 s18, exec_lo
	v_cmpx_gt_u32_e64 s5, v56
	s_cbranch_execz .LBB604_31
.LBB604_83:                             ;   in Loop: Header=BB604_16 Depth=2
	global_load_dword v9, v101, s[16:17]
	s_or_b32 exec_lo, exec_lo, s18
	s_mov_b32 s18, exec_lo
	v_cmpx_gt_u32_e64 s5, v57
	s_cbranch_execz .LBB604_32
.LBB604_84:                             ;   in Loop: Header=BB604_16 Depth=2
	global_load_dword v8, v102, s[16:17]
	s_or_b32 exec_lo, exec_lo, s18
	s_mov_b32 s18, exec_lo
	v_cmpx_gt_u32_e64 s5, v58
	s_cbranch_execz .LBB604_33
.LBB604_85:                             ;   in Loop: Header=BB604_16 Depth=2
	global_load_dword v7, v103, s[16:17]
	s_or_b32 exec_lo, exec_lo, s18
	s_mov_b32 s18, exec_lo
	v_cmpx_gt_u32_e64 s5, v59
	s_cbranch_execz .LBB604_34
.LBB604_86:                             ;   in Loop: Header=BB604_16 Depth=2
	global_load_dword v6, v104, s[16:17]
	s_or_b32 exec_lo, exec_lo, s18
	s_mov_b32 s18, exec_lo
	v_cmpx_gt_u32_e64 s5, v60
	s_cbranch_execz .LBB604_35
.LBB604_87:                             ;   in Loop: Header=BB604_16 Depth=2
	global_load_dword v5, v105, s[16:17]
	s_or_b32 exec_lo, exec_lo, s18
	s_mov_b32 s18, exec_lo
	v_cmpx_gt_u32_e64 s5, v61
	s_cbranch_execnz .LBB604_36
	s_branch .LBB604_37
.LBB604_88:                             ;   in Loop: Header=BB604_12 Depth=1
	v_mov_b32_e32 v3, 0
	s_waitcnt lgkmcnt(0)
	s_barrier
	buffer_gl0_inv
	s_and_saveexec_b32 s5, s7
	s_cbranch_execz .LBB604_90
; %bb.89:                               ;   in Loop: Header=BB604_12 Depth=1
	ds_read2_b64 v[5:8], v64 offset1:1
	s_waitcnt lgkmcnt(0)
	v_add_nc_u32_e32 v3, v6, v5
	v_add3_u32 v3, v3, v7, v8
.LBB604_90:                             ;   in Loop: Header=BB604_12 Depth=1
	s_or_b32 exec_lo, exec_lo, s5
	v_mov_b32_dpp v5, v3 row_shr:1 row_mask:0xf bank_mask:0xf
	v_cmp_eq_u32_e64 s5, 0, v86
	v_cmp_lt_u32_e64 s15, 1, v86
	v_cmp_lt_u32_e64 s16, 3, v86
	;; [unrolled: 1-line block ×3, first 2 shown]
	v_cmp_eq_u32_e64 s18, 0, v88
	v_cndmask_b32_e64 v5, v5, 0, s5
	v_add_nc_u32_e32 v3, v5, v3
	v_mov_b32_dpp v5, v3 row_shr:2 row_mask:0xf bank_mask:0xf
	v_cndmask_b32_e64 v5, 0, v5, s15
	v_add_nc_u32_e32 v3, v3, v5
	v_mov_b32_dpp v5, v3 row_shr:4 row_mask:0xf bank_mask:0xf
	;; [unrolled: 3-line block ×3, first 2 shown]
	v_cndmask_b32_e64 v5, 0, v5, s17
	v_add_nc_u32_e32 v3, v3, v5
	ds_swizzle_b32 v5, v3 offset:swizzle(BROADCAST,32,15)
	s_waitcnt lgkmcnt(0)
	v_and_b32_e32 v5, v87, v5
	v_add_nc_u32_e32 v3, v3, v5
	s_and_saveexec_b32 s19, s8
; %bb.91:                               ;   in Loop: Header=BB604_12 Depth=1
	ds_write_b32 v65, v3
; %bb.92:                               ;   in Loop: Header=BB604_12 Depth=1
	s_or_b32 exec_lo, exec_lo, s19
	s_waitcnt lgkmcnt(0)
	s_barrier
	buffer_gl0_inv
	s_and_saveexec_b32 s19, s9
	s_cbranch_execz .LBB604_94
; %bb.93:                               ;   in Loop: Header=BB604_12 Depth=1
	ds_read_b32 v5, v66
	v_cmp_ne_u32_e32 vcc_lo, 0, v89
	s_waitcnt lgkmcnt(0)
	v_mov_b32_dpp v6, v5 row_shr:1 row_mask:0xf bank_mask:0xf
	v_cndmask_b32_e32 v6, 0, v6, vcc_lo
	v_cmp_lt_u32_e32 vcc_lo, 1, v89
	v_add_nc_u32_e32 v5, v6, v5
	v_mov_b32_dpp v6, v5 row_shr:2 row_mask:0xf bank_mask:0xf
	v_cndmask_b32_e32 v6, 0, v6, vcc_lo
	v_add_nc_u32_e32 v5, v5, v6
	ds_write_b32 v66, v5
.LBB604_94:                             ;   in Loop: Header=BB604_12 Depth=1
	s_or_b32 exec_lo, exec_lo, s19
	v_mov_b32_e32 v5, 0
	s_waitcnt lgkmcnt(0)
	s_barrier
	buffer_gl0_inv
	s_and_saveexec_b32 s19, s10
; %bb.95:                               ;   in Loop: Header=BB604_12 Depth=1
	ds_read_b32 v5, v67
; %bb.96:                               ;   in Loop: Header=BB604_12 Depth=1
	s_or_b32 exec_lo, exec_lo, s19
	v_cmp_gt_i32_e32 vcc_lo, 0, v90
	s_waitcnt lgkmcnt(0)
	v_add_nc_u32_e32 v3, v5, v3
	s_barrier
	buffer_gl0_inv
	v_cndmask_b32_e32 v6, v90, v82, vcc_lo
	v_lshlrev_b32_e32 v131, 2, v6
	ds_bpermute_b32 v3, v131, v3
	s_and_saveexec_b32 s19, s7
	s_cbranch_execz .LBB604_98
; %bb.97:                               ;   in Loop: Header=BB604_12 Depth=1
	s_waitcnt lgkmcnt(0)
	v_cndmask_b32_e64 v3, v3, v5, s14
	v_add_nc_u32_e32 v3, s58, v3
	ds_write_b32 v43, v3
.LBB604_98:                             ;   in Loop: Header=BB604_12 Depth=1
	s_or_b32 exec_lo, exec_lo, s19
	s_clause 0x1
	s_load_dword s19, s[56:57], 0x4
	s_load_dword s22, s[56:57], 0xc
	s_mov_b32 s63, s60
	s_mov_b32 s50, s58
                                        ; implicit-def: $vgpr7_vgpr8
                                        ; implicit-def: $vgpr9_vgpr10
                                        ; implicit-def: $vgpr11_vgpr12
                                        ; implicit-def: $vgpr13_vgpr14
                                        ; implicit-def: $vgpr15_vgpr16
                                        ; implicit-def: $vgpr19_vgpr20
                                        ; implicit-def: $vgpr23_vgpr24
                                        ; implicit-def: $vgpr27_vgpr28
                                        ; implicit-def: $vgpr17_vgpr18
                                        ; implicit-def: $vgpr21_vgpr22
                                        ; implicit-def: $vgpr25_vgpr26
                                        ; implicit-def: $vgpr29_vgpr30
                                        ; implicit-def: $vgpr31_vgpr32
                                        ; implicit-def: $vgpr33_vgpr34
                                        ; implicit-def: $vgpr35_vgpr36
                                        ; implicit-def: $vgpr37_vgpr38
                                        ; implicit-def: $vgpr133
                                        ; implicit-def: $vgpr134
                                        ; implicit-def: $vgpr135
                                        ; implicit-def: $vgpr136
                                        ; implicit-def: $vgpr137
                                        ; implicit-def: $vgpr138
                                        ; implicit-def: $vgpr139
                                        ; implicit-def: $vgpr140
                                        ; implicit-def: $vgpr141
                                        ; implicit-def: $vgpr142
                                        ; implicit-def: $vgpr143
                                        ; implicit-def: $vgpr144
                                        ; implicit-def: $vgpr145
                                        ; implicit-def: $vgpr146
                                        ; implicit-def: $vgpr147
                                        ; implicit-def: $vgpr149
                                        ; implicit-def: $vgpr150
                                        ; implicit-def: $vgpr148
                                        ; implicit-def: $vgpr151
	s_waitcnt lgkmcnt(0)
	s_cmp_lt_u32 s28, s19
	s_cselect_b32 s19, 14, 20
	s_add_u32 s20, s56, s19
	s_addc_u32 s21, s57, 0
	s_and_b32 s19, s22, 0xffff
	global_load_ushort v3, v4, s[20:21]
	v_cmp_lt_u32_e64 s20, 1, v108
	v_cmp_lt_u32_e64 s21, 3, v108
	s_waitcnt vmcnt(0)
	v_mad_u32_u24 v3, v2, v3, v1
	v_mad_u64_u32 v[5:6], null, v3, s19, v[0:1]
	v_cmp_eq_u32_e64 s19, 0, v108
	v_lshrrev_b32_e32 v3, 3, v5
                                        ; implicit-def: $vgpr5_vgpr6
	v_and_b32_e32 v132, 0x1ffffffc, v3
	s_branch .LBB604_100
.LBB604_99:                             ;   in Loop: Header=BB604_100 Depth=2
	s_or_b32 exec_lo, exec_lo, s22
	s_addk_i32 s63, 0xef00
	s_cmp_lt_u32 s64, s59
	s_mov_b32 s50, s64
	s_cbranch_scc0 .LBB604_322
.LBB604_100:                            ;   Parent Loop BB604_12 Depth=1
                                        ; =>  This Inner Loop Header: Depth=2
	s_add_i32 s64, s50, 0x1100
	s_cmp_gt_u32 s64, s59
	s_cbranch_scc1 .LBB604_102
; %bb.101:                              ;   in Loop: Header=BB604_100 Depth=2
	s_lshl_b64 s[22:23], s[50:51], 2
	v_add_co_u32 v39, vcc_lo, v129, s22
	v_add_co_ci_u32_e64 v40, null, s23, v130, vcc_lo
	s_mov_b32 s22, -1
	s_clause 0xf
	global_load_dword v153, v[39:40], off
	global_load_dword v154, v[39:40], off offset:128
	global_load_dword v157, v[39:40], off offset:256
	;; [unrolled: 1-line block ×15, first 2 shown]
	s_movk_i32 s23, 0x1100
	s_cbranch_execz .LBB604_103
	s_branch .LBB604_136
.LBB604_102:                            ;   in Loop: Header=BB604_100 Depth=2
	s_mov_b32 s22, 0
                                        ; implicit-def: $vgpr153
                                        ; implicit-def: $vgpr154
                                        ; implicit-def: $vgpr157
                                        ; implicit-def: $vgpr161
                                        ; implicit-def: $vgpr166
                                        ; implicit-def: $vgpr171
                                        ; implicit-def: $vgpr176
                                        ; implicit-def: $vgpr181
                                        ; implicit-def: $vgpr186
                                        ; implicit-def: $vgpr184
                                        ; implicit-def: $vgpr179
                                        ; implicit-def: $vgpr174
                                        ; implicit-def: $vgpr170
                                        ; implicit-def: $vgpr165
                                        ; implicit-def: $vgpr42
                                        ; implicit-def: $vgpr41
	s_movk_i32 s23, 0x1100
.LBB604_103:                            ;   in Loop: Header=BB604_100 Depth=2
	s_lshl_b64 s[22:23], s[50:51], 2
	s_waitcnt vmcnt(14)
	v_bfrev_b32_e32 v154, -2
	v_add_co_u32 v39, vcc_lo, v129, s22
	v_add_co_ci_u32_e64 v40, null, s23, v130, vcc_lo
	v_bfrev_b32_e32 v153, -2
	s_mov_b32 s22, exec_lo
	v_cmpx_gt_u32_e64 s63, v109
	s_cbranch_execz .LBB604_105
; %bb.104:                              ;   in Loop: Header=BB604_100 Depth=2
	global_load_dword v153, v[39:40], off
.LBB604_105:                            ;   in Loop: Header=BB604_100 Depth=2
	s_or_b32 exec_lo, exec_lo, s22
	s_mov_b32 s22, exec_lo
	v_cmpx_gt_u32_e64 s63, v112
	s_cbranch_execz .LBB604_107
; %bb.106:                              ;   in Loop: Header=BB604_100 Depth=2
	global_load_dword v154, v[39:40], off offset:128
.LBB604_107:                            ;   in Loop: Header=BB604_100 Depth=2
	s_or_b32 exec_lo, exec_lo, s22
	s_waitcnt vmcnt(12)
	v_bfrev_b32_e32 v161, -2
	v_bfrev_b32_e32 v157, -2
	s_mov_b32 s22, exec_lo
	v_cmpx_gt_u32_e64 s63, v113
	s_cbranch_execz .LBB604_109
; %bb.108:                              ;   in Loop: Header=BB604_100 Depth=2
	global_load_dword v157, v[39:40], off offset:256
.LBB604_109:                            ;   in Loop: Header=BB604_100 Depth=2
	s_or_b32 exec_lo, exec_lo, s22
	s_mov_b32 s22, exec_lo
	v_cmpx_gt_u32_e64 s63, v114
	s_cbranch_execz .LBB604_111
; %bb.110:                              ;   in Loop: Header=BB604_100 Depth=2
	global_load_dword v161, v[39:40], off offset:384
.LBB604_111:                            ;   in Loop: Header=BB604_100 Depth=2
	s_or_b32 exec_lo, exec_lo, s22
	s_waitcnt vmcnt(10)
	v_bfrev_b32_e32 v171, -2
	v_bfrev_b32_e32 v166, -2
	s_mov_b32 s22, exec_lo
	v_cmpx_gt_u32_e64 s63, v115
	s_cbranch_execz .LBB604_113
; %bb.112:                              ;   in Loop: Header=BB604_100 Depth=2
	global_load_dword v166, v[39:40], off offset:512
.LBB604_113:                            ;   in Loop: Header=BB604_100 Depth=2
	;; [unrolled: 17-line block ×7, first 2 shown]
	s_or_b32 exec_lo, exec_lo, s22
	s_mov_b32 s22, exec_lo
	v_cmpx_gt_u32_e64 s63, v127
	s_cbranch_execz .LBB604_135
; %bb.134:                              ;   in Loop: Header=BB604_100 Depth=2
	global_load_dword v41, v[39:40], off offset:1920
.LBB604_135:                            ;   in Loop: Header=BB604_100 Depth=2
	s_or_b32 exec_lo, exec_lo, s22
	v_cmp_gt_u32_e64 s22, s63, v128
	s_sub_i32 s23, s59, s50
.LBB604_136:                            ;   in Loop: Header=BB604_100 Depth=2
	v_mov_b32_e32 v3, -1
	v_mov_b32_e32 v152, s63
	s_and_saveexec_b32 s24, s22
	s_cbranch_execz .LBB604_138
; %bb.137:                              ;   in Loop: Header=BB604_100 Depth=2
	s_lshl_b64 s[26:27], s[50:51], 2
	v_mov_b32_e32 v152, s23
	v_add_co_u32 v3, vcc_lo, v129, s26
	v_add_co_ci_u32_e64 v40, null, s27, v130, vcc_lo
	v_add_co_u32 v39, vcc_lo, 0x800, v3
	v_add_co_ci_u32_e64 v40, null, 0, v40, vcc_lo
	global_load_dword v3, v[39:40], off
	s_waitcnt vmcnt(0)
	v_xor_b32_e32 v3, 0x80000000, v3
.LBB604_138:                            ;   in Loop: Header=BB604_100 Depth=2
	s_or_b32 exec_lo, exec_lo, s24
	s_waitcnt vmcnt(15)
	v_xor_b32_e32 v153, 0x80000000, v153
	ds_write2_b32 v68, v4, v4 offset0:136 offset1:137
	ds_write2_b32 v68, v4, v4 offset0:138 offset1:139
	ds_write_b32 v68, v4 offset:560
	s_waitcnt vmcnt(0) lgkmcnt(0)
	s_barrier
	v_lshrrev_b32_e32 v39, s61, v153
	buffer_gl0_inv
	; wave barrier
	v_and_b32_e32 v40, s62, v39
	v_and_b32_e32 v39, 1, v40
	v_lshlrev_b32_e32 v155, 30, v40
	v_lshlrev_b32_e32 v156, 29, v40
	v_lshlrev_b32_e32 v159, 28, v40
	v_lshlrev_b32_e32 v160, 27, v40
	v_add_co_u32 v39, s22, v39, -1
	v_cndmask_b32_e64 v158, 0, 1, s22
	v_not_b32_e32 v163, v155
	v_cmp_gt_i32_e64 s22, 0, v155
	v_not_b32_e32 v155, v156
	v_lshlrev_b32_e32 v162, 26, v40
	v_cmp_ne_u32_e32 vcc_lo, 0, v158
	v_ashrrev_i32_e32 v163, 31, v163
	v_lshlrev_b32_e32 v158, 25, v40
	v_ashrrev_i32_e32 v155, 31, v155
	v_mul_u32_u24_e32 v40, 36, v40
	v_xor_b32_e32 v39, vcc_lo, v39
	v_cmp_gt_i32_e32 vcc_lo, 0, v156
	v_not_b32_e32 v156, v159
	v_xor_b32_e32 v163, s22, v163
	v_cmp_gt_i32_e64 s22, 0, v159
	v_and_b32_e32 v39, exec_lo, v39
	v_not_b32_e32 v159, v160
	v_ashrrev_i32_e32 v156, 31, v156
	v_xor_b32_e32 v155, vcc_lo, v155
	v_cmp_gt_i32_e32 vcc_lo, 0, v160
	v_and_b32_e32 v39, v39, v163
	v_not_b32_e32 v160, v162
	v_ashrrev_i32_e32 v159, 31, v159
	v_xor_b32_e32 v156, s22, v156
	v_cmp_gt_i32_e64 s22, 0, v162
	v_and_b32_e32 v39, v39, v155
	v_not_b32_e32 v155, v158
	v_ashrrev_i32_e32 v160, 31, v160
	v_xor_b32_e32 v159, vcc_lo, v159
	v_cmp_gt_i32_e32 vcc_lo, 0, v158
	v_and_b32_e32 v39, v39, v156
	v_ashrrev_i32_e32 v155, 31, v155
	v_xor_b32_e32 v156, s22, v160
	v_and_b32_e32 v39, v39, v159
	v_xor_b32_e32 v155, vcc_lo, v155
	v_and_b32_e32 v39, v39, v156
	v_add_nc_u32_e32 v156, v132, v40
	v_and_b32_e32 v39, v39, v155
	v_mbcnt_lo_u32_b32 v155, v39, 0
	v_cmp_ne_u32_e64 s22, 0, v39
	v_cmp_eq_u32_e32 vcc_lo, 0, v155
	s_and_b32 s23, s22, vcc_lo
	s_and_saveexec_b32 s22, s23
; %bb.139:                              ;   in Loop: Header=BB604_100 Depth=2
	v_bcnt_u32_b32 v39, v39, 0
	ds_write_b32 v156, v39 offset:544
; %bb.140:                              ;   in Loop: Header=BB604_100 Depth=2
	s_or_b32 exec_lo, exec_lo, s22
	v_xor_b32_e32 v154, 0x80000000, v154
	; wave barrier
	v_lshrrev_b32_e32 v39, s61, v154
	v_and_b32_e32 v40, s62, v39
	v_and_b32_e32 v39, 1, v40
	v_lshlrev_b32_e32 v158, 30, v40
	v_lshlrev_b32_e32 v159, 29, v40
	v_lshlrev_b32_e32 v162, 28, v40
	v_lshlrev_b32_e32 v163, 27, v40
	v_add_co_u32 v39, s22, v39, -1
	v_cndmask_b32_e64 v160, 0, 1, s22
	v_not_b32_e32 v167, v158
	v_cmp_gt_i32_e64 s22, 0, v158
	v_not_b32_e32 v158, v159
	v_lshlrev_b32_e32 v164, 26, v40
	v_cmp_ne_u32_e32 vcc_lo, 0, v160
	v_ashrrev_i32_e32 v167, 31, v167
	v_lshlrev_b32_e32 v160, 25, v40
	v_ashrrev_i32_e32 v158, 31, v158
	v_xor_b32_e32 v39, vcc_lo, v39
	v_cmp_gt_i32_e32 vcc_lo, 0, v159
	v_not_b32_e32 v159, v162
	v_xor_b32_e32 v167, s22, v167
	v_cmp_gt_i32_e64 s22, 0, v162
	v_and_b32_e32 v39, exec_lo, v39
	v_not_b32_e32 v162, v163
	v_ashrrev_i32_e32 v159, 31, v159
	v_xor_b32_e32 v158, vcc_lo, v158
	v_cmp_gt_i32_e32 vcc_lo, 0, v163
	v_and_b32_e32 v39, v39, v167
	v_not_b32_e32 v163, v164
	v_ashrrev_i32_e32 v162, 31, v162
	v_xor_b32_e32 v159, s22, v159
	v_cmp_gt_i32_e64 s22, 0, v164
	v_and_b32_e32 v39, v39, v158
	v_not_b32_e32 v158, v160
	v_ashrrev_i32_e32 v163, 31, v163
	v_xor_b32_e32 v162, vcc_lo, v162
	v_cmp_gt_i32_e32 vcc_lo, 0, v160
	v_and_b32_e32 v39, v39, v159
	v_ashrrev_i32_e32 v158, 31, v158
	v_xor_b32_e32 v159, s22, v163
	v_mad_u32_u24 v160, v40, 36, v132
	v_mul_u32_u24_e32 v40, 36, v40
	v_and_b32_e32 v39, v39, v162
	v_xor_b32_e32 v162, vcc_lo, v158
	ds_read_b32 v158, v160 offset:544
	v_add_nc_u32_e32 v160, v132, v40
	v_and_b32_e32 v39, v39, v159
	; wave barrier
	v_and_b32_e32 v39, v39, v162
	v_mbcnt_lo_u32_b32 v159, v39, 0
	v_cmp_ne_u32_e64 s22, 0, v39
	v_cmp_eq_u32_e32 vcc_lo, 0, v159
	s_and_b32 s23, s22, vcc_lo
	s_and_saveexec_b32 s22, s23
	s_cbranch_execz .LBB604_142
; %bb.141:                              ;   in Loop: Header=BB604_100 Depth=2
	s_waitcnt lgkmcnt(0)
	v_bcnt_u32_b32 v39, v39, v158
	ds_write_b32 v160, v39 offset:544
.LBB604_142:                            ;   in Loop: Header=BB604_100 Depth=2
	s_or_b32 exec_lo, exec_lo, s22
	v_xor_b32_e32 v157, 0x80000000, v157
	; wave barrier
	v_lshrrev_b32_e32 v39, s61, v157
	v_and_b32_e32 v40, s62, v39
	v_and_b32_e32 v39, 1, v40
	v_lshlrev_b32_e32 v162, 30, v40
	v_lshlrev_b32_e32 v163, 29, v40
	v_lshlrev_b32_e32 v167, 28, v40
	v_lshlrev_b32_e32 v168, 27, v40
	v_add_co_u32 v39, s22, v39, -1
	v_cndmask_b32_e64 v164, 0, 1, s22
	v_not_b32_e32 v172, v162
	v_cmp_gt_i32_e64 s22, 0, v162
	v_not_b32_e32 v162, v163
	v_lshlrev_b32_e32 v169, 26, v40
	v_cmp_ne_u32_e32 vcc_lo, 0, v164
	v_ashrrev_i32_e32 v172, 31, v172
	v_lshlrev_b32_e32 v164, 25, v40
	v_ashrrev_i32_e32 v162, 31, v162
	v_xor_b32_e32 v39, vcc_lo, v39
	v_cmp_gt_i32_e32 vcc_lo, 0, v163
	v_not_b32_e32 v163, v167
	v_xor_b32_e32 v172, s22, v172
	v_cmp_gt_i32_e64 s22, 0, v167
	v_and_b32_e32 v39, exec_lo, v39
	v_not_b32_e32 v167, v168
	v_ashrrev_i32_e32 v163, 31, v163
	v_xor_b32_e32 v162, vcc_lo, v162
	v_cmp_gt_i32_e32 vcc_lo, 0, v168
	v_and_b32_e32 v39, v39, v172
	v_not_b32_e32 v168, v169
	v_ashrrev_i32_e32 v167, 31, v167
	v_xor_b32_e32 v163, s22, v163
	v_cmp_gt_i32_e64 s22, 0, v169
	v_and_b32_e32 v39, v39, v162
	v_not_b32_e32 v162, v164
	v_ashrrev_i32_e32 v168, 31, v168
	v_xor_b32_e32 v167, vcc_lo, v167
	v_cmp_gt_i32_e32 vcc_lo, 0, v164
	v_and_b32_e32 v39, v39, v163
	v_ashrrev_i32_e32 v162, 31, v162
	v_xor_b32_e32 v163, s22, v168
	v_mad_u32_u24 v164, v40, 36, v132
	v_mul_u32_u24_e32 v40, 36, v40
	v_and_b32_e32 v39, v39, v167
	v_xor_b32_e32 v167, vcc_lo, v162
	ds_read_b32 v162, v164 offset:544
	v_add_nc_u32_e32 v164, v132, v40
	v_and_b32_e32 v39, v39, v163
	; wave barrier
	v_and_b32_e32 v39, v39, v167
	v_mbcnt_lo_u32_b32 v163, v39, 0
	v_cmp_ne_u32_e64 s22, 0, v39
	v_cmp_eq_u32_e32 vcc_lo, 0, v163
	s_and_b32 s23, s22, vcc_lo
	s_and_saveexec_b32 s22, s23
	s_cbranch_execz .LBB604_144
; %bb.143:                              ;   in Loop: Header=BB604_100 Depth=2
	s_waitcnt lgkmcnt(0)
	v_bcnt_u32_b32 v39, v39, v162
	ds_write_b32 v164, v39 offset:544
.LBB604_144:                            ;   in Loop: Header=BB604_100 Depth=2
	;; [unrolled: 63-line block ×9, first 2 shown]
	s_or_b32 exec_lo, exec_lo, s22
	v_xor_b32_e32 v179, 0x80000000, v179
	; wave barrier
	v_lshrrev_b32_e32 v39, s61, v179
	v_and_b32_e32 v40, s62, v39
	v_and_b32_e32 v39, 1, v40
	v_lshlrev_b32_e32 v196, 30, v40
	v_lshlrev_b32_e32 v197, 29, v40
	;; [unrolled: 1-line block ×4, first 2 shown]
	v_add_co_u32 v39, s22, v39, -1
	v_cndmask_b32_e64 v198, 0, 1, s22
	v_not_b32_e32 v202, v196
	v_cmp_gt_i32_e64 s22, 0, v196
	v_not_b32_e32 v196, v197
	v_lshlrev_b32_e32 v201, 26, v40
	v_cmp_ne_u32_e32 vcc_lo, 0, v198
	v_ashrrev_i32_e32 v202, 31, v202
	v_lshlrev_b32_e32 v198, 25, v40
	v_ashrrev_i32_e32 v196, 31, v196
	v_xor_b32_e32 v39, vcc_lo, v39
	v_cmp_gt_i32_e32 vcc_lo, 0, v197
	v_not_b32_e32 v197, v199
	v_xor_b32_e32 v202, s22, v202
	v_cmp_gt_i32_e64 s22, 0, v199
	v_and_b32_e32 v39, exec_lo, v39
	v_not_b32_e32 v199, v200
	v_ashrrev_i32_e32 v197, 31, v197
	v_xor_b32_e32 v196, vcc_lo, v196
	v_cmp_gt_i32_e32 vcc_lo, 0, v200
	v_and_b32_e32 v39, v39, v202
	v_not_b32_e32 v200, v201
	v_ashrrev_i32_e32 v199, 31, v199
	v_xor_b32_e32 v197, s22, v197
	v_cmp_gt_i32_e64 s22, 0, v201
	v_and_b32_e32 v39, v39, v196
	v_not_b32_e32 v196, v198
	v_ashrrev_i32_e32 v200, 31, v200
	v_xor_b32_e32 v199, vcc_lo, v199
	v_cmp_gt_i32_e32 vcc_lo, 0, v198
	v_and_b32_e32 v39, v39, v197
	v_ashrrev_i32_e32 v196, 31, v196
	v_xor_b32_e32 v197, s22, v200
	v_mad_u32_u24 v198, v40, 36, v132
	v_mul_u32_u24_e32 v40, 36, v40
	v_and_b32_e32 v39, v39, v199
	v_xor_b32_e32 v196, vcc_lo, v196
	v_add_nc_u32_e32 v199, v132, v40
	v_and_b32_e32 v39, v39, v197
	ds_read_b32 v197, v198 offset:544
	; wave barrier
	v_and_b32_e32 v39, v39, v196
	v_mbcnt_lo_u32_b32 v198, v39, 0
	v_cmp_ne_u32_e64 s22, 0, v39
	v_cmp_eq_u32_e32 vcc_lo, 0, v198
	s_and_b32 s23, s22, vcc_lo
	s_and_saveexec_b32 s22, s23
	s_cbranch_execz .LBB604_160
; %bb.159:                              ;   in Loop: Header=BB604_100 Depth=2
	s_waitcnt lgkmcnt(0)
	v_bcnt_u32_b32 v39, v39, v197
	ds_write_b32 v199, v39 offset:544
.LBB604_160:                            ;   in Loop: Header=BB604_100 Depth=2
	s_or_b32 exec_lo, exec_lo, s22
	v_xor_b32_e32 v196, 0x80000000, v174
	; wave barrier
	v_lshrrev_b32_e32 v39, s61, v196
	v_and_b32_e32 v40, s62, v39
	v_and_b32_e32 v39, 1, v40
	v_lshlrev_b32_e32 v174, 30, v40
	v_lshlrev_b32_e32 v200, 29, v40
	v_lshlrev_b32_e32 v202, 28, v40
	v_lshlrev_b32_e32 v203, 27, v40
	v_add_co_u32 v39, s22, v39, -1
	v_cndmask_b32_e64 v201, 0, 1, s22
	v_not_b32_e32 v205, v174
	v_cmp_gt_i32_e64 s22, 0, v174
	v_not_b32_e32 v174, v200
	v_lshlrev_b32_e32 v204, 26, v40
	v_cmp_ne_u32_e32 vcc_lo, 0, v201
	v_ashrrev_i32_e32 v205, 31, v205
	v_lshlrev_b32_e32 v201, 25, v40
	v_ashrrev_i32_e32 v174, 31, v174
	v_xor_b32_e32 v39, vcc_lo, v39
	v_cmp_gt_i32_e32 vcc_lo, 0, v200
	v_not_b32_e32 v200, v202
	v_xor_b32_e32 v205, s22, v205
	v_cmp_gt_i32_e64 s22, 0, v202
	v_and_b32_e32 v39, exec_lo, v39
	v_not_b32_e32 v202, v203
	v_ashrrev_i32_e32 v200, 31, v200
	v_xor_b32_e32 v174, vcc_lo, v174
	v_cmp_gt_i32_e32 vcc_lo, 0, v203
	v_and_b32_e32 v39, v39, v205
	v_not_b32_e32 v203, v204
	v_ashrrev_i32_e32 v202, 31, v202
	v_xor_b32_e32 v200, s22, v200
	v_cmp_gt_i32_e64 s22, 0, v204
	v_and_b32_e32 v39, v39, v174
	v_not_b32_e32 v174, v201
	v_ashrrev_i32_e32 v203, 31, v203
	v_xor_b32_e32 v202, vcc_lo, v202
	v_cmp_gt_i32_e32 vcc_lo, 0, v201
	v_and_b32_e32 v39, v39, v200
	v_ashrrev_i32_e32 v174, 31, v174
	v_xor_b32_e32 v200, s22, v203
	v_mad_u32_u24 v201, v40, 36, v132
	v_mul_u32_u24_e32 v40, 36, v40
	v_and_b32_e32 v39, v39, v202
	v_xor_b32_e32 v174, vcc_lo, v174
	ds_read_b32 v201, v201 offset:544
	v_and_b32_e32 v39, v39, v200
	; wave barrier
	v_and_b32_e32 v39, v39, v174
	v_add_nc_u32_e32 v174, v132, v40
	v_mbcnt_lo_u32_b32 v202, v39, 0
	v_cmp_ne_u32_e64 s22, 0, v39
	v_cmp_eq_u32_e32 vcc_lo, 0, v202
	s_and_b32 s23, s22, vcc_lo
	s_and_saveexec_b32 s22, s23
	s_cbranch_execz .LBB604_162
; %bb.161:                              ;   in Loop: Header=BB604_100 Depth=2
	s_waitcnt lgkmcnt(0)
	v_bcnt_u32_b32 v39, v39, v201
	ds_write_b32 v174, v39 offset:544
.LBB604_162:                            ;   in Loop: Header=BB604_100 Depth=2
	s_or_b32 exec_lo, exec_lo, s22
	v_xor_b32_e32 v200, 0x80000000, v170
	; wave barrier
	v_lshrrev_b32_e32 v39, s61, v200
	v_and_b32_e32 v40, s62, v39
	v_and_b32_e32 v39, 1, v40
	v_lshlrev_b32_e32 v170, 30, v40
	v_lshlrev_b32_e32 v203, 29, v40
	v_lshlrev_b32_e32 v205, 28, v40
	v_lshlrev_b32_e32 v206, 27, v40
	v_add_co_u32 v39, s22, v39, -1
	v_cndmask_b32_e64 v204, 0, 1, s22
	v_not_b32_e32 v208, v170
	v_cmp_gt_i32_e64 s22, 0, v170
	v_not_b32_e32 v170, v203
	v_lshlrev_b32_e32 v207, 26, v40
	v_cmp_ne_u32_e32 vcc_lo, 0, v204
	v_ashrrev_i32_e32 v208, 31, v208
	v_lshlrev_b32_e32 v204, 25, v40
	v_ashrrev_i32_e32 v170, 31, v170
	v_xor_b32_e32 v39, vcc_lo, v39
	v_cmp_gt_i32_e32 vcc_lo, 0, v203
	v_not_b32_e32 v203, v205
	v_xor_b32_e32 v208, s22, v208
	v_cmp_gt_i32_e64 s22, 0, v205
	v_and_b32_e32 v39, exec_lo, v39
	v_not_b32_e32 v205, v206
	v_ashrrev_i32_e32 v203, 31, v203
	v_xor_b32_e32 v170, vcc_lo, v170
	v_cmp_gt_i32_e32 vcc_lo, 0, v206
	v_and_b32_e32 v39, v39, v208
	v_not_b32_e32 v206, v207
	v_ashrrev_i32_e32 v205, 31, v205
	v_xor_b32_e32 v203, s22, v203
	v_cmp_gt_i32_e64 s22, 0, v207
	v_and_b32_e32 v39, v39, v170
	v_not_b32_e32 v170, v204
	v_ashrrev_i32_e32 v206, 31, v206
	v_xor_b32_e32 v205, vcc_lo, v205
	v_cmp_gt_i32_e32 vcc_lo, 0, v204
	v_and_b32_e32 v39, v39, v203
	v_ashrrev_i32_e32 v170, 31, v170
	v_xor_b32_e32 v203, s22, v206
	v_mad_u32_u24 v204, v40, 36, v132
	v_mul_u32_u24_e32 v40, 36, v40
	v_and_b32_e32 v39, v39, v205
	v_xor_b32_e32 v170, vcc_lo, v170
	ds_read_b32 v204, v204 offset:544
	v_and_b32_e32 v39, v39, v203
	; wave barrier
	v_and_b32_e32 v39, v39, v170
	v_add_nc_u32_e32 v170, v132, v40
	;; [unrolled: 63-line block ×3, first 2 shown]
	v_mbcnt_lo_u32_b32 v208, v39, 0
	v_cmp_ne_u32_e64 s22, 0, v39
	v_cmp_eq_u32_e32 vcc_lo, 0, v208
	s_and_b32 s23, s22, vcc_lo
	s_and_saveexec_b32 s22, s23
	s_cbranch_execz .LBB604_166
; %bb.165:                              ;   in Loop: Header=BB604_100 Depth=2
	s_waitcnt lgkmcnt(0)
	v_bcnt_u32_b32 v39, v39, v207
	ds_write_b32 v165, v39 offset:544
.LBB604_166:                            ;   in Loop: Header=BB604_100 Depth=2
	s_or_b32 exec_lo, exec_lo, s22
	v_xor_b32_e32 v206, 0x80000000, v42
	; wave barrier
	v_lshrrev_b32_e32 v39, s61, v206
	v_and_b32_e32 v40, s62, v39
	v_and_b32_e32 v39, 1, v40
	v_lshlrev_b32_e32 v42, 30, v40
	v_lshlrev_b32_e32 v209, 29, v40
	;; [unrolled: 1-line block ×4, first 2 shown]
	v_add_co_u32 v39, s22, v39, -1
	v_cndmask_b32_e64 v210, 0, 1, s22
	v_not_b32_e32 v214, v42
	v_cmp_gt_i32_e64 s22, 0, v42
	v_not_b32_e32 v42, v209
	v_lshlrev_b32_e32 v213, 26, v40
	v_cmp_ne_u32_e32 vcc_lo, 0, v210
	v_ashrrev_i32_e32 v214, 31, v214
	v_lshlrev_b32_e32 v210, 25, v40
	v_ashrrev_i32_e32 v42, 31, v42
	v_xor_b32_e32 v39, vcc_lo, v39
	v_cmp_gt_i32_e32 vcc_lo, 0, v209
	v_not_b32_e32 v209, v211
	v_xor_b32_e32 v214, s22, v214
	v_cmp_gt_i32_e64 s22, 0, v211
	v_and_b32_e32 v39, exec_lo, v39
	v_not_b32_e32 v211, v212
	v_ashrrev_i32_e32 v209, 31, v209
	v_xor_b32_e32 v42, vcc_lo, v42
	v_cmp_gt_i32_e32 vcc_lo, 0, v212
	v_and_b32_e32 v39, v39, v214
	v_not_b32_e32 v212, v213
	v_ashrrev_i32_e32 v211, 31, v211
	v_xor_b32_e32 v209, s22, v209
	v_cmp_gt_i32_e64 s22, 0, v213
	v_and_b32_e32 v39, v39, v42
	v_not_b32_e32 v42, v210
	v_ashrrev_i32_e32 v212, 31, v212
	v_xor_b32_e32 v211, vcc_lo, v211
	v_cmp_gt_i32_e32 vcc_lo, 0, v210
	v_and_b32_e32 v39, v39, v209
	v_ashrrev_i32_e32 v42, 31, v42
	v_xor_b32_e32 v209, s22, v212
	v_mad_u32_u24 v210, v40, 36, v132
	v_mul_u32_u24_e32 v40, 36, v40
	v_and_b32_e32 v39, v39, v211
	v_xor_b32_e32 v42, vcc_lo, v42
	ds_read_b32 v210, v210 offset:544
	v_add_nc_u32_e32 v212, v132, v40
	v_and_b32_e32 v39, v39, v209
	; wave barrier
	v_and_b32_e32 v39, v39, v42
	v_mbcnt_lo_u32_b32 v211, v39, 0
	v_cmp_ne_u32_e64 s22, 0, v39
	v_cmp_eq_u32_e32 vcc_lo, 0, v211
	s_and_b32 s23, s22, vcc_lo
	s_and_saveexec_b32 s22, s23
	s_cbranch_execz .LBB604_168
; %bb.167:                              ;   in Loop: Header=BB604_100 Depth=2
	s_waitcnt lgkmcnt(0)
	v_bcnt_u32_b32 v39, v39, v210
	ds_write_b32 v212, v39 offset:544
.LBB604_168:                            ;   in Loop: Header=BB604_100 Depth=2
	s_or_b32 exec_lo, exec_lo, s22
	v_xor_b32_e32 v209, 0x80000000, v41
	; wave barrier
	v_lshrrev_b32_e32 v39, s61, v209
	v_and_b32_e32 v40, s62, v39
	v_and_b32_e32 v39, 1, v40
	v_lshlrev_b32_e32 v41, 30, v40
	v_lshlrev_b32_e32 v42, 29, v40
	;; [unrolled: 1-line block ×4, first 2 shown]
	v_add_co_u32 v39, s22, v39, -1
	v_cndmask_b32_e64 v213, 0, 1, s22
	v_not_b32_e32 v217, v41
	v_cmp_gt_i32_e64 s22, 0, v41
	v_not_b32_e32 v41, v42
	v_lshlrev_b32_e32 v216, 26, v40
	v_cmp_ne_u32_e32 vcc_lo, 0, v213
	v_ashrrev_i32_e32 v217, 31, v217
	v_lshlrev_b32_e32 v213, 25, v40
	v_ashrrev_i32_e32 v41, 31, v41
	v_xor_b32_e32 v39, vcc_lo, v39
	v_cmp_gt_i32_e32 vcc_lo, 0, v42
	v_not_b32_e32 v42, v214
	v_xor_b32_e32 v217, s22, v217
	v_cmp_gt_i32_e64 s22, 0, v214
	v_and_b32_e32 v39, exec_lo, v39
	v_not_b32_e32 v214, v215
	v_ashrrev_i32_e32 v42, 31, v42
	v_xor_b32_e32 v41, vcc_lo, v41
	v_cmp_gt_i32_e32 vcc_lo, 0, v215
	v_and_b32_e32 v39, v39, v217
	v_not_b32_e32 v215, v216
	v_ashrrev_i32_e32 v214, 31, v214
	v_xor_b32_e32 v42, s22, v42
	v_cmp_gt_i32_e64 s22, 0, v216
	v_and_b32_e32 v39, v39, v41
	v_not_b32_e32 v41, v213
	v_ashrrev_i32_e32 v215, 31, v215
	v_xor_b32_e32 v214, vcc_lo, v214
	v_cmp_gt_i32_e32 vcc_lo, 0, v213
	v_and_b32_e32 v39, v39, v42
	v_ashrrev_i32_e32 v41, 31, v41
	v_xor_b32_e32 v42, s22, v215
	v_mad_u32_u24 v213, v40, 36, v132
	v_mul_u32_u24_e32 v40, 36, v40
	v_and_b32_e32 v39, v39, v214
	v_xor_b32_e32 v41, vcc_lo, v41
	ds_read_b32 v213, v213 offset:544
	v_add_nc_u32_e32 v215, v132, v40
	v_and_b32_e32 v39, v39, v42
	; wave barrier
	v_and_b32_e32 v39, v39, v41
	v_mbcnt_lo_u32_b32 v214, v39, 0
	v_cmp_ne_u32_e64 s22, 0, v39
	v_cmp_eq_u32_e32 vcc_lo, 0, v214
	s_and_b32 s23, s22, vcc_lo
	s_and_saveexec_b32 s22, s23
	s_cbranch_execz .LBB604_170
; %bb.169:                              ;   in Loop: Header=BB604_100 Depth=2
	s_waitcnt lgkmcnt(0)
	v_bcnt_u32_b32 v39, v39, v213
	ds_write_b32 v215, v39 offset:544
.LBB604_170:                            ;   in Loop: Header=BB604_100 Depth=2
	s_or_b32 exec_lo, exec_lo, s22
	v_lshrrev_b32_e32 v39, s61, v3
	; wave barrier
	v_and_b32_e32 v40, s62, v39
	v_and_b32_e32 v39, 1, v40
	v_lshlrev_b32_e32 v41, 30, v40
	v_lshlrev_b32_e32 v42, 29, v40
	;; [unrolled: 1-line block ×4, first 2 shown]
	v_add_co_u32 v39, s22, v39, -1
	v_cndmask_b32_e64 v216, 0, 1, s22
	v_not_b32_e32 v220, v41
	v_cmp_gt_i32_e64 s22, 0, v41
	v_not_b32_e32 v41, v42
	v_lshlrev_b32_e32 v219, 26, v40
	v_cmp_ne_u32_e32 vcc_lo, 0, v216
	v_ashrrev_i32_e32 v220, 31, v220
	v_lshlrev_b32_e32 v216, 25, v40
	v_ashrrev_i32_e32 v41, 31, v41
	v_xor_b32_e32 v39, vcc_lo, v39
	v_cmp_gt_i32_e32 vcc_lo, 0, v42
	v_not_b32_e32 v42, v217
	v_xor_b32_e32 v220, s22, v220
	v_cmp_gt_i32_e64 s22, 0, v217
	v_and_b32_e32 v39, exec_lo, v39
	v_not_b32_e32 v217, v218
	v_ashrrev_i32_e32 v42, 31, v42
	v_xor_b32_e32 v41, vcc_lo, v41
	v_cmp_gt_i32_e32 vcc_lo, 0, v218
	v_and_b32_e32 v39, v39, v220
	v_not_b32_e32 v218, v219
	v_ashrrev_i32_e32 v217, 31, v217
	v_xor_b32_e32 v42, s22, v42
	v_cmp_gt_i32_e64 s22, 0, v219
	v_and_b32_e32 v39, v39, v41
	v_not_b32_e32 v41, v216
	v_ashrrev_i32_e32 v218, 31, v218
	v_xor_b32_e32 v217, vcc_lo, v217
	v_cmp_gt_i32_e32 vcc_lo, 0, v216
	v_and_b32_e32 v39, v39, v42
	v_ashrrev_i32_e32 v41, 31, v41
	v_xor_b32_e32 v42, s22, v218
	v_mad_u32_u24 v216, v40, 36, v132
	v_mul_u32_u24_e32 v40, 36, v40
	v_and_b32_e32 v39, v39, v217
	v_xor_b32_e32 v41, vcc_lo, v41
	ds_read_b32 v216, v216 offset:544
	v_add_nc_u32_e32 v218, v132, v40
	v_and_b32_e32 v39, v39, v42
	; wave barrier
	v_and_b32_e32 v39, v39, v41
	v_mbcnt_lo_u32_b32 v217, v39, 0
	v_cmp_ne_u32_e64 s22, 0, v39
	v_cmp_eq_u32_e32 vcc_lo, 0, v217
	s_and_b32 s23, s22, vcc_lo
	s_and_saveexec_b32 s22, s23
	s_cbranch_execz .LBB604_172
; %bb.171:                              ;   in Loop: Header=BB604_100 Depth=2
	s_waitcnt lgkmcnt(0)
	v_bcnt_u32_b32 v39, v39, v216
	ds_write_b32 v218, v39 offset:544
.LBB604_172:                            ;   in Loop: Header=BB604_100 Depth=2
	s_or_b32 exec_lo, exec_lo, s22
	; wave barrier
	s_waitcnt lgkmcnt(0)
	s_barrier
	buffer_gl0_inv
	ds_read2_b32 v[41:42], v68 offset0:136 offset1:137
	ds_read2_b32 v[39:40], v68 offset0:138 offset1:139
	ds_read_b32 v219, v68 offset:560
	s_waitcnt lgkmcnt(1)
	v_add3_u32 v220, v42, v41, v39
	s_waitcnt lgkmcnt(0)
	v_add3_u32 v219, v220, v40, v219
	v_mov_b32_dpp v220, v219 row_shr:1 row_mask:0xf bank_mask:0xf
	v_cndmask_b32_e64 v220, v220, 0, s5
	v_add_nc_u32_e32 v219, v220, v219
	v_mov_b32_dpp v220, v219 row_shr:2 row_mask:0xf bank_mask:0xf
	v_cndmask_b32_e64 v220, 0, v220, s15
	v_add_nc_u32_e32 v219, v219, v220
	v_mov_b32_dpp v220, v219 row_shr:4 row_mask:0xf bank_mask:0xf
	v_cndmask_b32_e64 v220, 0, v220, s16
	v_add_nc_u32_e32 v219, v219, v220
	v_mov_b32_dpp v220, v219 row_shr:8 row_mask:0xf bank_mask:0xf
	v_cndmask_b32_e64 v220, 0, v220, s17
	v_add_nc_u32_e32 v219, v219, v220
	ds_swizzle_b32 v220, v219 offset:swizzle(BROADCAST,32,15)
	s_waitcnt lgkmcnt(0)
	v_cndmask_b32_e64 v220, v220, 0, s18
	v_add_nc_u32_e32 v219, v219, v220
	s_and_saveexec_b32 s22, s4
; %bb.173:                              ;   in Loop: Header=BB604_100 Depth=2
	ds_write_b32 v62, v219 offset:512
; %bb.174:                              ;   in Loop: Header=BB604_100 Depth=2
	s_or_b32 exec_lo, exec_lo, s22
	s_waitcnt lgkmcnt(0)
	s_barrier
	buffer_gl0_inv
	s_and_saveexec_b32 s22, s11
	s_cbranch_execz .LBB604_176
; %bb.175:                              ;   in Loop: Header=BB604_100 Depth=2
	ds_read_b32 v220, v69 offset:512
	s_waitcnt lgkmcnt(0)
	v_mov_b32_dpp v221, v220 row_shr:1 row_mask:0xf bank_mask:0xf
	v_cndmask_b32_e64 v221, v221, 0, s19
	v_add_nc_u32_e32 v220, v221, v220
	v_mov_b32_dpp v221, v220 row_shr:2 row_mask:0xf bank_mask:0xf
	v_cndmask_b32_e64 v221, 0, v221, s20
	v_add_nc_u32_e32 v220, v220, v221
	;; [unrolled: 3-line block ×3, first 2 shown]
	ds_write_b32 v69, v220 offset:512
.LBB604_176:                            ;   in Loop: Header=BB604_100 Depth=2
	s_or_b32 exec_lo, exec_lo, s22
	v_mov_b32_e32 v220, 0
	s_waitcnt lgkmcnt(0)
	s_barrier
	buffer_gl0_inv
	s_and_saveexec_b32 s22, s10
; %bb.177:                              ;   in Loop: Header=BB604_100 Depth=2
	ds_read_b32 v220, v62 offset:508
; %bb.178:                              ;   in Loop: Header=BB604_100 Depth=2
	s_or_b32 exec_lo, exec_lo, s22
	s_waitcnt lgkmcnt(0)
	v_add_nc_u32_e32 v219, v220, v219
	ds_bpermute_b32 v219, v131, v219
	s_waitcnt lgkmcnt(0)
	v_cndmask_b32_e64 v219, v219, v220, s14
	v_cndmask_b32_e64 v219, v219, 0, s12
	v_add_nc_u32_e32 v41, v219, v41
	v_add_nc_u32_e32 v42, v41, v42
	;; [unrolled: 1-line block ×4, first 2 shown]
	ds_write2_b32 v68, v219, v41 offset0:136 offset1:137
	ds_write2_b32 v68, v42, v39 offset0:138 offset1:139
	ds_write_b32 v68, v40 offset:560
	s_waitcnt lgkmcnt(0)
	s_barrier
	buffer_gl0_inv
	ds_read_b32 v41, v156 offset:544
	ds_read_b32 v42, v160 offset:544
	;; [unrolled: 1-line block ×17, first 2 shown]
	s_and_saveexec_b32 s22, s7
	s_cbranch_execz .LBB604_182
; %bb.179:                              ;   in Loop: Header=BB604_100 Depth=2
	ds_read_b32 v148, v71 offset:544
	v_mov_b32_e32 v151, 0x1100
	s_and_saveexec_b32 s23, s13
; %bb.180:                              ;   in Loop: Header=BB604_100 Depth=2
	ds_read_b32 v151, v70 offset:544
; %bb.181:                              ;   in Loop: Header=BB604_100 Depth=2
	s_or_b32 exec_lo, exec_lo, s23
	s_waitcnt lgkmcnt(0)
	v_sub_nc_u32_e32 v151, v151, v148
.LBB604_182:                            ;   in Loop: Header=BB604_100 Depth=2
	s_or_b32 exec_lo, exec_lo, s22
	s_waitcnt lgkmcnt(0)
	s_barrier
	buffer_gl0_inv
	s_and_saveexec_b32 s22, s7
	s_cbranch_execz .LBB604_184
; %bb.183:                              ;   in Loop: Header=BB604_100 Depth=2
	ds_read_b32 v165, v43
	s_waitcnt lgkmcnt(0)
	v_sub_nc_u32_e32 v165, v165, v148
	ds_write_b32 v43, v165
.LBB604_184:                            ;   in Loop: Header=BB604_100 Depth=2
	s_or_b32 exec_lo, exec_lo, s22
	v_add_nc_u32_e32 v175, v41, v155
	v_add3_u32 v174, v159, v158, v42
	v_add3_u32 v170, v163, v162, v160
	;; [unrolled: 1-line block ×5, first 2 shown]
	v_lshlrev_b32_e32 v172, 2, v175
	v_lshlrev_b32_e32 v173, 2, v174
	v_add3_u32 v158, v214, v213, v39
	v_lshlrev_b32_e32 v39, 2, v170
	v_add3_u32 v167, v178, v177, v180
	v_add3_u32 v164, v188, v187, v189
	v_add3_u32 v163, v191, v190, v192
	v_add3_u32 v155, v211, v210, v156
	v_add3_u32 v156, v217, v216, v40
	ds_write_b32 v172, v153 offset:512
	ds_write_b32 v173, v154 offset:512
	v_lshlrev_b32_e32 v40, 2, v169
	ds_write_b32 v39, v157 offset:512
	v_lshlrev_b32_e32 v39, 2, v165
	v_add3_u32 v162, v194, v193, v195
	v_lshlrev_b32_e32 v153, 2, v168
	v_add3_u32 v160, v198, v197, v199
	;; [unrolled: 2-line block ×3, first 2 shown]
	v_add3_u32 v42, v205, v204, v221
	ds_write_b32 v40, v161 offset:512
	ds_write_b32 v153, v166 offset:512
	;; [unrolled: 1-line block ×3, first 2 shown]
	v_lshlrev_b32_e32 v40, 2, v164
	ds_write_b32 v39, v176 offset:512
	v_lshlrev_b32_e32 v39, 2, v163
	v_lshlrev_b32_e32 v153, 2, v162
	;; [unrolled: 1-line block ×3, first 2 shown]
	v_add3_u32 v41, v208, v207, v222
	ds_write_b32 v40, v181 offset:512
	v_lshlrev_b32_e32 v40, 2, v159
	ds_write_b32 v39, v186 offset:512
	ds_write_b32 v153, v184 offset:512
	;; [unrolled: 1-line block ×3, first 2 shown]
	v_lshlrev_b32_e32 v39, 2, v42
	v_cmp_lt_u32_e32 vcc_lo, v0, v152
	v_lshlrev_b32_e32 v153, 2, v155
	ds_write_b32 v40, v196 offset:512
	v_lshlrev_b32_e32 v40, 2, v41
	ds_write_b32 v39, v200 offset:512
	v_lshlrev_b32_e32 v39, 2, v156
	v_lshlrev_b32_e32 v154, 2, v158
	ds_write_b32 v40, v203 offset:512
	ds_write_b32 v153, v206 offset:512
	ds_write_b32 v154, v209 offset:512
	ds_write_b32 v39, v3 offset:512
	s_waitcnt lgkmcnt(0)
	s_barrier
	buffer_gl0_inv
	s_and_saveexec_b32 s23, vcc_lo
	s_cbranch_execnz .LBB604_257
; %bb.185:                              ;   in Loop: Header=BB604_100 Depth=2
	s_or_b32 exec_lo, exec_lo, s23
	v_cmp_lt_u32_e64 s22, v44, v152
	s_and_saveexec_b32 s24, s22
	s_cbranch_execnz .LBB604_258
.LBB604_186:                            ;   in Loop: Header=BB604_100 Depth=2
	s_or_b32 exec_lo, exec_lo, s24
	v_cmp_lt_u32_e64 s23, v47, v152
	s_and_saveexec_b32 s25, s23
	s_cbranch_execnz .LBB604_259
.LBB604_187:                            ;   in Loop: Header=BB604_100 Depth=2
	s_or_b32 exec_lo, exec_lo, s25
	v_cmp_lt_u32_e64 s24, v48, v152
	s_and_saveexec_b32 s26, s24
	s_cbranch_execnz .LBB604_260
.LBB604_188:                            ;   in Loop: Header=BB604_100 Depth=2
	s_or_b32 exec_lo, exec_lo, s26
	v_cmp_lt_u32_e64 s25, v49, v152
	s_and_saveexec_b32 s27, s25
	s_cbranch_execnz .LBB604_261
.LBB604_189:                            ;   in Loop: Header=BB604_100 Depth=2
	s_or_b32 exec_lo, exec_lo, s27
	v_cmp_lt_u32_e64 s26, v50, v152
	s_and_saveexec_b32 s29, s26
	s_cbranch_execnz .LBB604_262
.LBB604_190:                            ;   in Loop: Header=BB604_100 Depth=2
	s_or_b32 exec_lo, exec_lo, s29
	v_cmp_lt_u32_e64 s27, v51, v152
	s_and_saveexec_b32 s30, s27
	s_cbranch_execnz .LBB604_263
.LBB604_191:                            ;   in Loop: Header=BB604_100 Depth=2
	s_or_b32 exec_lo, exec_lo, s30
	v_cmp_lt_u32_e64 s29, v52, v152
	s_and_saveexec_b32 s31, s29
	s_cbranch_execnz .LBB604_264
.LBB604_192:                            ;   in Loop: Header=BB604_100 Depth=2
	s_or_b32 exec_lo, exec_lo, s31
	v_cmp_lt_u32_e64 s30, v53, v152
	s_and_saveexec_b32 s33, s30
	s_cbranch_execnz .LBB604_265
.LBB604_193:                            ;   in Loop: Header=BB604_100 Depth=2
	s_or_b32 exec_lo, exec_lo, s33
	v_cmp_lt_u32_e64 s31, v54, v152
	s_and_saveexec_b32 s34, s31
	s_cbranch_execnz .LBB604_266
.LBB604_194:                            ;   in Loop: Header=BB604_100 Depth=2
	s_or_b32 exec_lo, exec_lo, s34
	v_cmp_lt_u32_e64 s33, v55, v152
	s_and_saveexec_b32 s35, s33
	s_cbranch_execnz .LBB604_267
.LBB604_195:                            ;   in Loop: Header=BB604_100 Depth=2
	s_or_b32 exec_lo, exec_lo, s35
	v_cmp_lt_u32_e64 s34, v56, v152
	s_and_saveexec_b32 s36, s34
	s_cbranch_execnz .LBB604_268
.LBB604_196:                            ;   in Loop: Header=BB604_100 Depth=2
	s_or_b32 exec_lo, exec_lo, s36
	v_cmp_lt_u32_e64 s35, v57, v152
	s_and_saveexec_b32 s37, s35
	s_cbranch_execnz .LBB604_269
.LBB604_197:                            ;   in Loop: Header=BB604_100 Depth=2
	s_or_b32 exec_lo, exec_lo, s37
	v_cmp_lt_u32_e64 s36, v58, v152
	s_and_saveexec_b32 s38, s36
	s_cbranch_execnz .LBB604_270
.LBB604_198:                            ;   in Loop: Header=BB604_100 Depth=2
	s_or_b32 exec_lo, exec_lo, s38
	v_cmp_lt_u32_e64 s37, v59, v152
	s_and_saveexec_b32 s39, s37
	s_cbranch_execnz .LBB604_271
.LBB604_199:                            ;   in Loop: Header=BB604_100 Depth=2
	s_or_b32 exec_lo, exec_lo, s39
	v_cmp_lt_u32_e64 s38, v60, v152
	s_and_saveexec_b32 s40, s38
	s_cbranch_execnz .LBB604_272
.LBB604_200:                            ;   in Loop: Header=BB604_100 Depth=2
	s_or_b32 exec_lo, exec_lo, s40
	v_cmp_lt_u32_e64 s39, v61, v152
	s_and_saveexec_b32 s65, s39
	s_cbranch_execz .LBB604_202
.LBB604_201:                            ;   in Loop: Header=BB604_100 Depth=2
	ds_read_b32 v153, v69 offset:16896
	s_waitcnt lgkmcnt(0)
	v_lshrrev_b32_e32 v3, s61, v153
	v_and_b32_e32 v3, s62, v3
	v_lshlrev_b32_e32 v3, 2, v3
	ds_read_b32 v3, v3
	s_waitcnt lgkmcnt(0)
	v_add_nc_u32_e32 v3, v3, v61
	v_lshlrev_b64 v[39:40], 2, v[3:4]
	v_xor_b32_e32 v3, 0x80000000, v153
	v_add_co_u32 v39, s40, s46, v39
	v_add_co_ci_u32_e64 v40, null, s47, v40, s40
	global_store_dword v[39:40], v3, off
.LBB604_202:                            ;   in Loop: Header=BB604_100 Depth=2
	s_or_b32 exec_lo, exec_lo, s65
	s_lshl_b64 s[66:67], s[50:51], 3
	v_add_co_u32 v39, s40, v110, s66
	v_add_co_ci_u32_e64 v40, null, s67, v111, s40
	v_cmp_lt_u32_e64 s40, v109, v152
	s_and_saveexec_b32 s50, s40
	s_xor_b32 s40, exec_lo, s50
	s_cbranch_execnz .LBB604_273
; %bb.203:                              ;   in Loop: Header=BB604_100 Depth=2
	s_or_b32 exec_lo, exec_lo, s40
	s_mov_b32 s50, exec_lo
	v_cmpx_lt_u32_e64 v112, v152
	s_cbranch_execnz .LBB604_274
.LBB604_204:                            ;   in Loop: Header=BB604_100 Depth=2
	s_or_b32 exec_lo, exec_lo, s50
	s_mov_b32 s50, exec_lo
	v_cmpx_lt_u32_e64 v113, v152
	s_cbranch_execnz .LBB604_275
.LBB604_205:                            ;   in Loop: Header=BB604_100 Depth=2
	s_or_b32 exec_lo, exec_lo, s50
	s_mov_b32 s50, exec_lo
	v_cmpx_lt_u32_e64 v114, v152
	s_cbranch_execnz .LBB604_276
.LBB604_206:                            ;   in Loop: Header=BB604_100 Depth=2
	s_or_b32 exec_lo, exec_lo, s50
	s_mov_b32 s50, exec_lo
	v_cmpx_lt_u32_e64 v115, v152
	s_cbranch_execnz .LBB604_277
.LBB604_207:                            ;   in Loop: Header=BB604_100 Depth=2
	s_or_b32 exec_lo, exec_lo, s50
	s_mov_b32 s50, exec_lo
	v_cmpx_lt_u32_e64 v116, v152
	s_cbranch_execnz .LBB604_278
.LBB604_208:                            ;   in Loop: Header=BB604_100 Depth=2
	s_or_b32 exec_lo, exec_lo, s50
	s_mov_b32 s50, exec_lo
	v_cmpx_lt_u32_e64 v117, v152
	s_cbranch_execnz .LBB604_279
.LBB604_209:                            ;   in Loop: Header=BB604_100 Depth=2
	s_or_b32 exec_lo, exec_lo, s50
	s_mov_b32 s50, exec_lo
	v_cmpx_lt_u32_e64 v118, v152
	s_cbranch_execnz .LBB604_280
.LBB604_210:                            ;   in Loop: Header=BB604_100 Depth=2
	s_or_b32 exec_lo, exec_lo, s50
	s_mov_b32 s50, exec_lo
	v_cmpx_lt_u32_e64 v119, v152
	s_cbranch_execnz .LBB604_281
.LBB604_211:                            ;   in Loop: Header=BB604_100 Depth=2
	s_or_b32 exec_lo, exec_lo, s50
	s_mov_b32 s50, exec_lo
	v_cmpx_lt_u32_e64 v120, v152
	s_cbranch_execnz .LBB604_282
.LBB604_212:                            ;   in Loop: Header=BB604_100 Depth=2
	s_or_b32 exec_lo, exec_lo, s50
	s_mov_b32 s50, exec_lo
	v_cmpx_lt_u32_e64 v121, v152
	s_cbranch_execnz .LBB604_283
.LBB604_213:                            ;   in Loop: Header=BB604_100 Depth=2
	s_or_b32 exec_lo, exec_lo, s50
	s_mov_b32 s50, exec_lo
	v_cmpx_lt_u32_e64 v122, v152
	s_cbranch_execnz .LBB604_284
.LBB604_214:                            ;   in Loop: Header=BB604_100 Depth=2
	s_or_b32 exec_lo, exec_lo, s50
	s_mov_b32 s50, exec_lo
	v_cmpx_lt_u32_e64 v123, v152
	s_cbranch_execnz .LBB604_285
.LBB604_215:                            ;   in Loop: Header=BB604_100 Depth=2
	s_or_b32 exec_lo, exec_lo, s50
	s_mov_b32 s50, exec_lo
	v_cmpx_lt_u32_e64 v124, v152
	s_cbranch_execnz .LBB604_286
.LBB604_216:                            ;   in Loop: Header=BB604_100 Depth=2
	s_or_b32 exec_lo, exec_lo, s50
	s_mov_b32 s50, exec_lo
	v_cmpx_lt_u32_e64 v126, v152
	s_cbranch_execnz .LBB604_287
.LBB604_217:                            ;   in Loop: Header=BB604_100 Depth=2
	s_or_b32 exec_lo, exec_lo, s50
	s_mov_b32 s50, exec_lo
	v_cmpx_lt_u32_e64 v127, v152
	s_cbranch_execnz .LBB604_288
.LBB604_218:                            ;   in Loop: Header=BB604_100 Depth=2
	s_or_b32 exec_lo, exec_lo, s50
	s_mov_b32 s50, exec_lo
	v_cmpx_lt_u32_e64 v128, v152
	s_cbranch_execnz .LBB604_289
.LBB604_219:                            ;   in Loop: Header=BB604_100 Depth=2
	s_or_b32 exec_lo, exec_lo, s50
	s_and_saveexec_b32 s40, vcc_lo
	s_cbranch_execnz .LBB604_290
.LBB604_220:                            ;   in Loop: Header=BB604_100 Depth=2
	s_or_b32 exec_lo, exec_lo, s40
	s_and_saveexec_b32 s40, s22
	s_cbranch_execnz .LBB604_291
.LBB604_221:                            ;   in Loop: Header=BB604_100 Depth=2
	s_or_b32 exec_lo, exec_lo, s40
	s_and_saveexec_b32 s40, s23
	s_cbranch_execnz .LBB604_292
.LBB604_222:                            ;   in Loop: Header=BB604_100 Depth=2
	s_or_b32 exec_lo, exec_lo, s40
	s_and_saveexec_b32 s40, s24
	s_cbranch_execnz .LBB604_293
.LBB604_223:                            ;   in Loop: Header=BB604_100 Depth=2
	s_or_b32 exec_lo, exec_lo, s40
	s_and_saveexec_b32 s40, s25
	s_cbranch_execnz .LBB604_294
.LBB604_224:                            ;   in Loop: Header=BB604_100 Depth=2
	s_or_b32 exec_lo, exec_lo, s40
	s_and_saveexec_b32 s40, s26
	s_cbranch_execnz .LBB604_295
.LBB604_225:                            ;   in Loop: Header=BB604_100 Depth=2
	s_or_b32 exec_lo, exec_lo, s40
	s_and_saveexec_b32 s40, s27
	s_cbranch_execnz .LBB604_296
.LBB604_226:                            ;   in Loop: Header=BB604_100 Depth=2
	s_or_b32 exec_lo, exec_lo, s40
	s_and_saveexec_b32 s40, s29
	s_cbranch_execnz .LBB604_297
.LBB604_227:                            ;   in Loop: Header=BB604_100 Depth=2
	s_or_b32 exec_lo, exec_lo, s40
	s_and_saveexec_b32 s40, s30
	s_cbranch_execnz .LBB604_298
.LBB604_228:                            ;   in Loop: Header=BB604_100 Depth=2
	s_or_b32 exec_lo, exec_lo, s40
	s_and_saveexec_b32 s40, s31
	s_cbranch_execnz .LBB604_299
.LBB604_229:                            ;   in Loop: Header=BB604_100 Depth=2
	s_or_b32 exec_lo, exec_lo, s40
	s_and_saveexec_b32 s40, s33
	s_cbranch_execnz .LBB604_300
.LBB604_230:                            ;   in Loop: Header=BB604_100 Depth=2
	s_or_b32 exec_lo, exec_lo, s40
	s_and_saveexec_b32 s40, s34
	s_cbranch_execnz .LBB604_301
.LBB604_231:                            ;   in Loop: Header=BB604_100 Depth=2
	s_or_b32 exec_lo, exec_lo, s40
	s_and_saveexec_b32 s40, s35
	s_cbranch_execnz .LBB604_302
.LBB604_232:                            ;   in Loop: Header=BB604_100 Depth=2
	s_or_b32 exec_lo, exec_lo, s40
	s_and_saveexec_b32 s40, s36
	s_cbranch_execnz .LBB604_303
.LBB604_233:                            ;   in Loop: Header=BB604_100 Depth=2
	s_or_b32 exec_lo, exec_lo, s40
	s_and_saveexec_b32 s40, s37
	s_cbranch_execnz .LBB604_304
.LBB604_234:                            ;   in Loop: Header=BB604_100 Depth=2
	s_or_b32 exec_lo, exec_lo, s40
	s_and_saveexec_b32 s40, s38
	s_cbranch_execnz .LBB604_305
.LBB604_235:                            ;   in Loop: Header=BB604_100 Depth=2
	s_or_b32 exec_lo, exec_lo, s40
	s_and_saveexec_b32 s40, s39
	s_cbranch_execz .LBB604_237
.LBB604_236:                            ;   in Loop: Header=BB604_100 Depth=2
	ds_read_b32 v3, v69 offset:16896
	s_waitcnt lgkmcnt(0)
	v_lshrrev_b32_e32 v3, s61, v3
	v_and_b32_e32 v133, s62, v3
.LBB604_237:                            ;   in Loop: Header=BB604_100 Depth=2
	s_or_b32 exec_lo, exec_lo, s40
	v_lshlrev_b32_e32 v3, 3, v175
	v_lshlrev_b32_e32 v39, 3, v174
	s_waitcnt vmcnt(0)
	s_waitcnt_vscnt null, 0x0
	s_barrier
	buffer_gl0_inv
	ds_write_b64 v3, v[37:38] offset:512
	ds_write_b64 v39, v[35:36] offset:512
	v_lshlrev_b32_e32 v3, 3, v170
	v_lshlrev_b32_e32 v39, 3, v169
	v_lshlrev_b32_e32 v40, 3, v168
	v_lshlrev_b32_e32 v152, 3, v167
	v_lshlrev_b32_e32 v153, 3, v165
	ds_write_b64 v3, v[33:34] offset:512
	ds_write_b64 v39, v[31:32] offset:512
	ds_write_b64 v40, v[29:30] offset:512
	ds_write_b64 v152, v[25:26] offset:512
	ds_write_b64 v153, v[21:22] offset:512
	v_lshlrev_b32_e32 v3, 3, v164
	v_lshlrev_b32_e32 v39, 3, v163
	v_lshlrev_b32_e32 v40, 3, v162
	v_lshlrev_b32_e32 v152, 3, v160
	v_lshlrev_b32_e32 v153, 3, v159
	ds_write_b64 v3, v[17:18] offset:512
	ds_write_b64 v39, v[27:28] offset:512
	ds_write_b64 v40, v[23:24] offset:512
	;; [unrolled: 10-line block ×3, first 2 shown]
	ds_write_b64 v41, v[7:8] offset:512
	ds_write_b64 v42, v[5:6] offset:512
	s_waitcnt lgkmcnt(0)
	s_barrier
	buffer_gl0_inv
	s_and_saveexec_b32 s40, vcc_lo
	s_cbranch_execnz .LBB604_306
; %bb.238:                              ;   in Loop: Header=BB604_100 Depth=2
	s_or_b32 exec_lo, exec_lo, s40
	s_and_saveexec_b32 s40, s22
	s_cbranch_execnz .LBB604_307
.LBB604_239:                            ;   in Loop: Header=BB604_100 Depth=2
	s_or_b32 exec_lo, exec_lo, s40
	s_and_saveexec_b32 s22, s23
	s_cbranch_execnz .LBB604_308
.LBB604_240:                            ;   in Loop: Header=BB604_100 Depth=2
	s_or_b32 exec_lo, exec_lo, s22
	s_and_saveexec_b32 s22, s24
	s_cbranch_execnz .LBB604_309
.LBB604_241:                            ;   in Loop: Header=BB604_100 Depth=2
	s_or_b32 exec_lo, exec_lo, s22
	s_and_saveexec_b32 s22, s25
	s_cbranch_execnz .LBB604_310
.LBB604_242:                            ;   in Loop: Header=BB604_100 Depth=2
	s_or_b32 exec_lo, exec_lo, s22
	s_and_saveexec_b32 s22, s26
	s_cbranch_execnz .LBB604_311
.LBB604_243:                            ;   in Loop: Header=BB604_100 Depth=2
	s_or_b32 exec_lo, exec_lo, s22
	s_and_saveexec_b32 s22, s27
	s_cbranch_execnz .LBB604_312
.LBB604_244:                            ;   in Loop: Header=BB604_100 Depth=2
	s_or_b32 exec_lo, exec_lo, s22
	s_and_saveexec_b32 s22, s29
	s_cbranch_execnz .LBB604_313
.LBB604_245:                            ;   in Loop: Header=BB604_100 Depth=2
	s_or_b32 exec_lo, exec_lo, s22
	s_and_saveexec_b32 s22, s30
	s_cbranch_execnz .LBB604_314
.LBB604_246:                            ;   in Loop: Header=BB604_100 Depth=2
	s_or_b32 exec_lo, exec_lo, s22
	s_and_saveexec_b32 s22, s31
	s_cbranch_execnz .LBB604_315
.LBB604_247:                            ;   in Loop: Header=BB604_100 Depth=2
	s_or_b32 exec_lo, exec_lo, s22
	s_and_saveexec_b32 s22, s33
	s_cbranch_execnz .LBB604_316
.LBB604_248:                            ;   in Loop: Header=BB604_100 Depth=2
	s_or_b32 exec_lo, exec_lo, s22
	s_and_saveexec_b32 s22, s34
	s_cbranch_execnz .LBB604_317
.LBB604_249:                            ;   in Loop: Header=BB604_100 Depth=2
	s_or_b32 exec_lo, exec_lo, s22
	s_and_saveexec_b32 s22, s35
	s_cbranch_execnz .LBB604_318
.LBB604_250:                            ;   in Loop: Header=BB604_100 Depth=2
	s_or_b32 exec_lo, exec_lo, s22
	s_and_saveexec_b32 s22, s36
	s_cbranch_execnz .LBB604_319
.LBB604_251:                            ;   in Loop: Header=BB604_100 Depth=2
	s_or_b32 exec_lo, exec_lo, s22
	s_and_saveexec_b32 s22, s37
	s_cbranch_execnz .LBB604_320
.LBB604_252:                            ;   in Loop: Header=BB604_100 Depth=2
	s_or_b32 exec_lo, exec_lo, s22
	s_and_saveexec_b32 s22, s38
	s_cbranch_execnz .LBB604_321
.LBB604_253:                            ;   in Loop: Header=BB604_100 Depth=2
	s_or_b32 exec_lo, exec_lo, s22
	s_and_saveexec_b32 s22, s39
	s_cbranch_execz .LBB604_255
.LBB604_254:                            ;   in Loop: Header=BB604_100 Depth=2
	v_lshlrev_b32_e32 v3, 2, v133
	v_add_nc_u32_e32 v39, v69, v43
	ds_read_b32 v3, v3
	ds_read_b64 v[39:40], v39 offset:33280
	s_waitcnt lgkmcnt(1)
	v_add_nc_u32_e32 v3, v3, v61
	v_lshlrev_b64 v[41:42], 3, v[3:4]
	v_add_co_u32 v41, vcc_lo, s52, v41
	v_add_co_ci_u32_e64 v42, null, s53, v42, vcc_lo
	s_waitcnt lgkmcnt(0)
	global_store_dwordx2 v[41:42], v[39:40], off
.LBB604_255:                            ;   in Loop: Header=BB604_100 Depth=2
	s_or_b32 exec_lo, exec_lo, s22
	s_waitcnt_vscnt null, 0x0
	s_barrier
	buffer_gl0_inv
	s_and_saveexec_b32 s22, s7
	s_cbranch_execz .LBB604_99
; %bb.256:                              ;   in Loop: Header=BB604_100 Depth=2
	ds_read_b32 v3, v43
	s_waitcnt lgkmcnt(0)
	v_add3_u32 v3, v148, v151, v3
	ds_write_b32 v43, v3
	s_branch .LBB604_99
.LBB604_257:                            ;   in Loop: Header=BB604_100 Depth=2
	ds_read_b32 v153, v69 offset:512
	s_waitcnt lgkmcnt(0)
	v_lshrrev_b32_e32 v3, s61, v153
	v_and_b32_e32 v3, s62, v3
	v_lshlrev_b32_e32 v3, 2, v3
	ds_read_b32 v3, v3
	s_waitcnt lgkmcnt(0)
	v_add_nc_u32_e32 v3, v3, v0
	v_lshlrev_b64 v[39:40], 2, v[3:4]
	v_xor_b32_e32 v3, 0x80000000, v153
	v_add_co_u32 v39, s22, s46, v39
	v_add_co_ci_u32_e64 v40, null, s47, v40, s22
	global_store_dword v[39:40], v3, off
	s_or_b32 exec_lo, exec_lo, s23
	v_cmp_lt_u32_e64 s22, v44, v152
	s_and_saveexec_b32 s24, s22
	s_cbranch_execz .LBB604_186
.LBB604_258:                            ;   in Loop: Header=BB604_100 Depth=2
	ds_read_b32 v153, v69 offset:1536
	s_waitcnt lgkmcnt(0)
	v_lshrrev_b32_e32 v3, s61, v153
	v_and_b32_e32 v3, s62, v3
	v_lshlrev_b32_e32 v3, 2, v3
	ds_read_b32 v3, v3
	s_waitcnt lgkmcnt(0)
	v_add_nc_u32_e32 v3, v3, v44
	v_lshlrev_b64 v[39:40], 2, v[3:4]
	v_xor_b32_e32 v3, 0x80000000, v153
	v_add_co_u32 v39, s23, s46, v39
	v_add_co_ci_u32_e64 v40, null, s47, v40, s23
	global_store_dword v[39:40], v3, off
	s_or_b32 exec_lo, exec_lo, s24
	v_cmp_lt_u32_e64 s23, v47, v152
	s_and_saveexec_b32 s25, s23
	s_cbranch_execz .LBB604_187
.LBB604_259:                            ;   in Loop: Header=BB604_100 Depth=2
	ds_read_b32 v153, v69 offset:2560
	s_waitcnt lgkmcnt(0)
	v_lshrrev_b32_e32 v3, s61, v153
	v_and_b32_e32 v3, s62, v3
	v_lshlrev_b32_e32 v3, 2, v3
	ds_read_b32 v3, v3
	s_waitcnt lgkmcnt(0)
	v_add_nc_u32_e32 v3, v3, v47
	v_lshlrev_b64 v[39:40], 2, v[3:4]
	v_xor_b32_e32 v3, 0x80000000, v153
	v_add_co_u32 v39, s24, s46, v39
	v_add_co_ci_u32_e64 v40, null, s47, v40, s24
	global_store_dword v[39:40], v3, off
	s_or_b32 exec_lo, exec_lo, s25
	v_cmp_lt_u32_e64 s24, v48, v152
	s_and_saveexec_b32 s26, s24
	s_cbranch_execz .LBB604_188
.LBB604_260:                            ;   in Loop: Header=BB604_100 Depth=2
	ds_read_b32 v153, v69 offset:3584
	s_waitcnt lgkmcnt(0)
	v_lshrrev_b32_e32 v3, s61, v153
	v_and_b32_e32 v3, s62, v3
	v_lshlrev_b32_e32 v3, 2, v3
	ds_read_b32 v3, v3
	s_waitcnt lgkmcnt(0)
	v_add_nc_u32_e32 v3, v3, v48
	v_lshlrev_b64 v[39:40], 2, v[3:4]
	v_xor_b32_e32 v3, 0x80000000, v153
	v_add_co_u32 v39, s25, s46, v39
	v_add_co_ci_u32_e64 v40, null, s47, v40, s25
	global_store_dword v[39:40], v3, off
	s_or_b32 exec_lo, exec_lo, s26
	v_cmp_lt_u32_e64 s25, v49, v152
	s_and_saveexec_b32 s27, s25
	s_cbranch_execz .LBB604_189
.LBB604_261:                            ;   in Loop: Header=BB604_100 Depth=2
	ds_read_b32 v153, v69 offset:4608
	s_waitcnt lgkmcnt(0)
	v_lshrrev_b32_e32 v3, s61, v153
	v_and_b32_e32 v3, s62, v3
	v_lshlrev_b32_e32 v3, 2, v3
	ds_read_b32 v3, v3
	s_waitcnt lgkmcnt(0)
	v_add_nc_u32_e32 v3, v3, v49
	v_lshlrev_b64 v[39:40], 2, v[3:4]
	v_xor_b32_e32 v3, 0x80000000, v153
	v_add_co_u32 v39, s26, s46, v39
	v_add_co_ci_u32_e64 v40, null, s47, v40, s26
	global_store_dword v[39:40], v3, off
	s_or_b32 exec_lo, exec_lo, s27
	v_cmp_lt_u32_e64 s26, v50, v152
	s_and_saveexec_b32 s29, s26
	s_cbranch_execz .LBB604_190
.LBB604_262:                            ;   in Loop: Header=BB604_100 Depth=2
	ds_read_b32 v153, v69 offset:5632
	s_waitcnt lgkmcnt(0)
	v_lshrrev_b32_e32 v3, s61, v153
	v_and_b32_e32 v3, s62, v3
	v_lshlrev_b32_e32 v3, 2, v3
	ds_read_b32 v3, v3
	s_waitcnt lgkmcnt(0)
	v_add_nc_u32_e32 v3, v3, v50
	v_lshlrev_b64 v[39:40], 2, v[3:4]
	v_xor_b32_e32 v3, 0x80000000, v153
	v_add_co_u32 v39, s27, s46, v39
	v_add_co_ci_u32_e64 v40, null, s47, v40, s27
	global_store_dword v[39:40], v3, off
	s_or_b32 exec_lo, exec_lo, s29
	v_cmp_lt_u32_e64 s27, v51, v152
	s_and_saveexec_b32 s30, s27
	s_cbranch_execz .LBB604_191
.LBB604_263:                            ;   in Loop: Header=BB604_100 Depth=2
	ds_read_b32 v153, v69 offset:6656
	s_waitcnt lgkmcnt(0)
	v_lshrrev_b32_e32 v3, s61, v153
	v_and_b32_e32 v3, s62, v3
	v_lshlrev_b32_e32 v3, 2, v3
	ds_read_b32 v3, v3
	s_waitcnt lgkmcnt(0)
	v_add_nc_u32_e32 v3, v3, v51
	v_lshlrev_b64 v[39:40], 2, v[3:4]
	v_xor_b32_e32 v3, 0x80000000, v153
	v_add_co_u32 v39, s29, s46, v39
	v_add_co_ci_u32_e64 v40, null, s47, v40, s29
	global_store_dword v[39:40], v3, off
	s_or_b32 exec_lo, exec_lo, s30
	v_cmp_lt_u32_e64 s29, v52, v152
	s_and_saveexec_b32 s31, s29
	s_cbranch_execz .LBB604_192
.LBB604_264:                            ;   in Loop: Header=BB604_100 Depth=2
	ds_read_b32 v153, v69 offset:7680
	s_waitcnt lgkmcnt(0)
	v_lshrrev_b32_e32 v3, s61, v153
	v_and_b32_e32 v3, s62, v3
	v_lshlrev_b32_e32 v3, 2, v3
	ds_read_b32 v3, v3
	s_waitcnt lgkmcnt(0)
	v_add_nc_u32_e32 v3, v3, v52
	v_lshlrev_b64 v[39:40], 2, v[3:4]
	v_xor_b32_e32 v3, 0x80000000, v153
	v_add_co_u32 v39, s30, s46, v39
	v_add_co_ci_u32_e64 v40, null, s47, v40, s30
	global_store_dword v[39:40], v3, off
	s_or_b32 exec_lo, exec_lo, s31
	v_cmp_lt_u32_e64 s30, v53, v152
	s_and_saveexec_b32 s33, s30
	s_cbranch_execz .LBB604_193
.LBB604_265:                            ;   in Loop: Header=BB604_100 Depth=2
	ds_read_b32 v153, v69 offset:8704
	s_waitcnt lgkmcnt(0)
	v_lshrrev_b32_e32 v3, s61, v153
	v_and_b32_e32 v3, s62, v3
	v_lshlrev_b32_e32 v3, 2, v3
	ds_read_b32 v3, v3
	s_waitcnt lgkmcnt(0)
	v_add_nc_u32_e32 v3, v3, v53
	v_lshlrev_b64 v[39:40], 2, v[3:4]
	v_xor_b32_e32 v3, 0x80000000, v153
	v_add_co_u32 v39, s31, s46, v39
	v_add_co_ci_u32_e64 v40, null, s47, v40, s31
	global_store_dword v[39:40], v3, off
	s_or_b32 exec_lo, exec_lo, s33
	v_cmp_lt_u32_e64 s31, v54, v152
	s_and_saveexec_b32 s34, s31
	s_cbranch_execz .LBB604_194
.LBB604_266:                            ;   in Loop: Header=BB604_100 Depth=2
	ds_read_b32 v153, v69 offset:9728
	s_waitcnt lgkmcnt(0)
	v_lshrrev_b32_e32 v3, s61, v153
	v_and_b32_e32 v3, s62, v3
	v_lshlrev_b32_e32 v3, 2, v3
	ds_read_b32 v3, v3
	s_waitcnt lgkmcnt(0)
	v_add_nc_u32_e32 v3, v3, v54
	v_lshlrev_b64 v[39:40], 2, v[3:4]
	v_xor_b32_e32 v3, 0x80000000, v153
	v_add_co_u32 v39, s33, s46, v39
	v_add_co_ci_u32_e64 v40, null, s47, v40, s33
	global_store_dword v[39:40], v3, off
	s_or_b32 exec_lo, exec_lo, s34
	v_cmp_lt_u32_e64 s33, v55, v152
	s_and_saveexec_b32 s35, s33
	s_cbranch_execz .LBB604_195
.LBB604_267:                            ;   in Loop: Header=BB604_100 Depth=2
	ds_read_b32 v153, v69 offset:10752
	s_waitcnt lgkmcnt(0)
	v_lshrrev_b32_e32 v3, s61, v153
	v_and_b32_e32 v3, s62, v3
	v_lshlrev_b32_e32 v3, 2, v3
	ds_read_b32 v3, v3
	s_waitcnt lgkmcnt(0)
	v_add_nc_u32_e32 v3, v3, v55
	v_lshlrev_b64 v[39:40], 2, v[3:4]
	v_xor_b32_e32 v3, 0x80000000, v153
	v_add_co_u32 v39, s34, s46, v39
	v_add_co_ci_u32_e64 v40, null, s47, v40, s34
	global_store_dword v[39:40], v3, off
	s_or_b32 exec_lo, exec_lo, s35
	v_cmp_lt_u32_e64 s34, v56, v152
	s_and_saveexec_b32 s36, s34
	s_cbranch_execz .LBB604_196
.LBB604_268:                            ;   in Loop: Header=BB604_100 Depth=2
	ds_read_b32 v153, v69 offset:11776
	s_waitcnt lgkmcnt(0)
	v_lshrrev_b32_e32 v3, s61, v153
	v_and_b32_e32 v3, s62, v3
	v_lshlrev_b32_e32 v3, 2, v3
	ds_read_b32 v3, v3
	s_waitcnt lgkmcnt(0)
	v_add_nc_u32_e32 v3, v3, v56
	v_lshlrev_b64 v[39:40], 2, v[3:4]
	v_xor_b32_e32 v3, 0x80000000, v153
	v_add_co_u32 v39, s35, s46, v39
	v_add_co_ci_u32_e64 v40, null, s47, v40, s35
	global_store_dword v[39:40], v3, off
	s_or_b32 exec_lo, exec_lo, s36
	v_cmp_lt_u32_e64 s35, v57, v152
	s_and_saveexec_b32 s37, s35
	s_cbranch_execz .LBB604_197
.LBB604_269:                            ;   in Loop: Header=BB604_100 Depth=2
	ds_read_b32 v153, v69 offset:12800
	s_waitcnt lgkmcnt(0)
	v_lshrrev_b32_e32 v3, s61, v153
	v_and_b32_e32 v3, s62, v3
	v_lshlrev_b32_e32 v3, 2, v3
	ds_read_b32 v3, v3
	s_waitcnt lgkmcnt(0)
	v_add_nc_u32_e32 v3, v3, v57
	v_lshlrev_b64 v[39:40], 2, v[3:4]
	v_xor_b32_e32 v3, 0x80000000, v153
	v_add_co_u32 v39, s36, s46, v39
	v_add_co_ci_u32_e64 v40, null, s47, v40, s36
	global_store_dword v[39:40], v3, off
	s_or_b32 exec_lo, exec_lo, s37
	v_cmp_lt_u32_e64 s36, v58, v152
	s_and_saveexec_b32 s38, s36
	s_cbranch_execz .LBB604_198
.LBB604_270:                            ;   in Loop: Header=BB604_100 Depth=2
	ds_read_b32 v153, v69 offset:13824
	s_waitcnt lgkmcnt(0)
	v_lshrrev_b32_e32 v3, s61, v153
	v_and_b32_e32 v3, s62, v3
	v_lshlrev_b32_e32 v3, 2, v3
	ds_read_b32 v3, v3
	s_waitcnt lgkmcnt(0)
	v_add_nc_u32_e32 v3, v3, v58
	v_lshlrev_b64 v[39:40], 2, v[3:4]
	v_xor_b32_e32 v3, 0x80000000, v153
	v_add_co_u32 v39, s37, s46, v39
	v_add_co_ci_u32_e64 v40, null, s47, v40, s37
	global_store_dword v[39:40], v3, off
	s_or_b32 exec_lo, exec_lo, s38
	v_cmp_lt_u32_e64 s37, v59, v152
	s_and_saveexec_b32 s39, s37
	s_cbranch_execz .LBB604_199
.LBB604_271:                            ;   in Loop: Header=BB604_100 Depth=2
	ds_read_b32 v153, v69 offset:14848
	s_waitcnt lgkmcnt(0)
	v_lshrrev_b32_e32 v3, s61, v153
	v_and_b32_e32 v3, s62, v3
	v_lshlrev_b32_e32 v3, 2, v3
	ds_read_b32 v3, v3
	s_waitcnt lgkmcnt(0)
	v_add_nc_u32_e32 v3, v3, v59
	v_lshlrev_b64 v[39:40], 2, v[3:4]
	v_xor_b32_e32 v3, 0x80000000, v153
	v_add_co_u32 v39, s38, s46, v39
	v_add_co_ci_u32_e64 v40, null, s47, v40, s38
	global_store_dword v[39:40], v3, off
	s_or_b32 exec_lo, exec_lo, s39
	v_cmp_lt_u32_e64 s38, v60, v152
	s_and_saveexec_b32 s40, s38
	s_cbranch_execz .LBB604_200
.LBB604_272:                            ;   in Loop: Header=BB604_100 Depth=2
	ds_read_b32 v153, v69 offset:15872
	s_waitcnt lgkmcnt(0)
	v_lshrrev_b32_e32 v3, s61, v153
	v_and_b32_e32 v3, s62, v3
	v_lshlrev_b32_e32 v3, 2, v3
	ds_read_b32 v3, v3
	s_waitcnt lgkmcnt(0)
	v_add_nc_u32_e32 v3, v3, v60
	v_lshlrev_b64 v[39:40], 2, v[3:4]
	v_xor_b32_e32 v3, 0x80000000, v153
	v_add_co_u32 v39, s39, s46, v39
	v_add_co_ci_u32_e64 v40, null, s47, v40, s39
	global_store_dword v[39:40], v3, off
	s_or_b32 exec_lo, exec_lo, s40
	v_cmp_lt_u32_e64 s39, v61, v152
	s_and_saveexec_b32 s65, s39
	s_cbranch_execnz .LBB604_201
	s_branch .LBB604_202
.LBB604_273:                            ;   in Loop: Header=BB604_100 Depth=2
	global_load_dwordx2 v[37:38], v[39:40], off
	s_or_b32 exec_lo, exec_lo, s40
	s_mov_b32 s50, exec_lo
	v_cmpx_lt_u32_e64 v112, v152
	s_cbranch_execz .LBB604_204
.LBB604_274:                            ;   in Loop: Header=BB604_100 Depth=2
	global_load_dwordx2 v[35:36], v[39:40], off offset:256
	s_or_b32 exec_lo, exec_lo, s50
	s_mov_b32 s50, exec_lo
	v_cmpx_lt_u32_e64 v113, v152
	s_cbranch_execz .LBB604_205
.LBB604_275:                            ;   in Loop: Header=BB604_100 Depth=2
	global_load_dwordx2 v[33:34], v[39:40], off offset:512
	s_or_b32 exec_lo, exec_lo, s50
	s_mov_b32 s50, exec_lo
	v_cmpx_lt_u32_e64 v114, v152
	s_cbranch_execz .LBB604_206
.LBB604_276:                            ;   in Loop: Header=BB604_100 Depth=2
	global_load_dwordx2 v[31:32], v[39:40], off offset:768
	s_or_b32 exec_lo, exec_lo, s50
	s_mov_b32 s50, exec_lo
	v_cmpx_lt_u32_e64 v115, v152
	s_cbranch_execz .LBB604_207
.LBB604_277:                            ;   in Loop: Header=BB604_100 Depth=2
	global_load_dwordx2 v[29:30], v[39:40], off offset:1024
	s_or_b32 exec_lo, exec_lo, s50
	s_mov_b32 s50, exec_lo
	v_cmpx_lt_u32_e64 v116, v152
	s_cbranch_execz .LBB604_208
.LBB604_278:                            ;   in Loop: Header=BB604_100 Depth=2
	global_load_dwordx2 v[25:26], v[39:40], off offset:1280
	s_or_b32 exec_lo, exec_lo, s50
	s_mov_b32 s50, exec_lo
	v_cmpx_lt_u32_e64 v117, v152
	s_cbranch_execz .LBB604_209
.LBB604_279:                            ;   in Loop: Header=BB604_100 Depth=2
	global_load_dwordx2 v[21:22], v[39:40], off offset:1536
	s_or_b32 exec_lo, exec_lo, s50
	s_mov_b32 s50, exec_lo
	v_cmpx_lt_u32_e64 v118, v152
	s_cbranch_execz .LBB604_210
.LBB604_280:                            ;   in Loop: Header=BB604_100 Depth=2
	global_load_dwordx2 v[17:18], v[39:40], off offset:1792
	s_or_b32 exec_lo, exec_lo, s50
	s_mov_b32 s50, exec_lo
	v_cmpx_lt_u32_e64 v119, v152
	s_cbranch_execz .LBB604_211
.LBB604_281:                            ;   in Loop: Header=BB604_100 Depth=2
	v_add_co_u32 v27, s40, 0x800, v39
	v_add_co_ci_u32_e64 v28, null, 0, v40, s40
	global_load_dwordx2 v[27:28], v[27:28], off
	s_or_b32 exec_lo, exec_lo, s50
	s_mov_b32 s50, exec_lo
	v_cmpx_lt_u32_e64 v120, v152
	s_cbranch_execz .LBB604_212
.LBB604_282:                            ;   in Loop: Header=BB604_100 Depth=2
	v_add_co_u32 v23, s40, 0x800, v39
	v_add_co_ci_u32_e64 v24, null, 0, v40, s40
	global_load_dwordx2 v[23:24], v[23:24], off offset:256
	s_or_b32 exec_lo, exec_lo, s50
	s_mov_b32 s50, exec_lo
	v_cmpx_lt_u32_e64 v121, v152
	s_cbranch_execz .LBB604_213
.LBB604_283:                            ;   in Loop: Header=BB604_100 Depth=2
	v_add_co_u32 v19, s40, 0x800, v39
	v_add_co_ci_u32_e64 v20, null, 0, v40, s40
	global_load_dwordx2 v[19:20], v[19:20], off offset:512
	s_or_b32 exec_lo, exec_lo, s50
	s_mov_b32 s50, exec_lo
	v_cmpx_lt_u32_e64 v122, v152
	s_cbranch_execz .LBB604_214
.LBB604_284:                            ;   in Loop: Header=BB604_100 Depth=2
	v_add_co_u32 v15, s40, 0x800, v39
	v_add_co_ci_u32_e64 v16, null, 0, v40, s40
	global_load_dwordx2 v[15:16], v[15:16], off offset:768
	s_or_b32 exec_lo, exec_lo, s50
	s_mov_b32 s50, exec_lo
	v_cmpx_lt_u32_e64 v123, v152
	s_cbranch_execz .LBB604_215
.LBB604_285:                            ;   in Loop: Header=BB604_100 Depth=2
	v_add_co_u32 v13, s40, 0x800, v39
	v_add_co_ci_u32_e64 v14, null, 0, v40, s40
	global_load_dwordx2 v[13:14], v[13:14], off offset:1024
	s_or_b32 exec_lo, exec_lo, s50
	s_mov_b32 s50, exec_lo
	v_cmpx_lt_u32_e64 v124, v152
	s_cbranch_execz .LBB604_216
.LBB604_286:                            ;   in Loop: Header=BB604_100 Depth=2
	v_add_co_u32 v11, s40, 0x800, v39
	v_add_co_ci_u32_e64 v12, null, 0, v40, s40
	global_load_dwordx2 v[11:12], v[11:12], off offset:1280
	s_or_b32 exec_lo, exec_lo, s50
	s_mov_b32 s50, exec_lo
	v_cmpx_lt_u32_e64 v126, v152
	s_cbranch_execz .LBB604_217
.LBB604_287:                            ;   in Loop: Header=BB604_100 Depth=2
	v_add_co_u32 v9, s40, 0x800, v39
	v_add_co_ci_u32_e64 v10, null, 0, v40, s40
	global_load_dwordx2 v[9:10], v[9:10], off offset:1536
	s_or_b32 exec_lo, exec_lo, s50
	s_mov_b32 s50, exec_lo
	v_cmpx_lt_u32_e64 v127, v152
	s_cbranch_execz .LBB604_218
.LBB604_288:                            ;   in Loop: Header=BB604_100 Depth=2
	v_add_co_u32 v7, s40, 0x800, v39
	v_add_co_ci_u32_e64 v8, null, 0, v40, s40
	global_load_dwordx2 v[7:8], v[7:8], off offset:1792
	s_or_b32 exec_lo, exec_lo, s50
	s_mov_b32 s50, exec_lo
	v_cmpx_lt_u32_e64 v128, v152
	s_cbranch_execz .LBB604_219
.LBB604_289:                            ;   in Loop: Header=BB604_100 Depth=2
	v_add_co_u32 v5, s40, 0x1000, v39
	v_add_co_ci_u32_e64 v6, null, 0, v40, s40
	global_load_dwordx2 v[5:6], v[5:6], off
	s_or_b32 exec_lo, exec_lo, s50
	s_and_saveexec_b32 s40, vcc_lo
	s_cbranch_execz .LBB604_220
.LBB604_290:                            ;   in Loop: Header=BB604_100 Depth=2
	ds_read_b32 v3, v69 offset:512
	s_waitcnt lgkmcnt(0)
	v_lshrrev_b32_e32 v3, s61, v3
	v_and_b32_e32 v150, s62, v3
	s_or_b32 exec_lo, exec_lo, s40
	s_and_saveexec_b32 s40, s22
	s_cbranch_execz .LBB604_221
.LBB604_291:                            ;   in Loop: Header=BB604_100 Depth=2
	ds_read_b32 v3, v69 offset:1536
	s_waitcnt lgkmcnt(0)
	v_lshrrev_b32_e32 v3, s61, v3
	v_and_b32_e32 v149, s62, v3
	s_or_b32 exec_lo, exec_lo, s40
	s_and_saveexec_b32 s40, s23
	s_cbranch_execz .LBB604_222
.LBB604_292:                            ;   in Loop: Header=BB604_100 Depth=2
	ds_read_b32 v3, v69 offset:2560
	s_waitcnt lgkmcnt(0)
	v_lshrrev_b32_e32 v3, s61, v3
	v_and_b32_e32 v147, s62, v3
	s_or_b32 exec_lo, exec_lo, s40
	s_and_saveexec_b32 s40, s24
	s_cbranch_execz .LBB604_223
.LBB604_293:                            ;   in Loop: Header=BB604_100 Depth=2
	ds_read_b32 v3, v69 offset:3584
	s_waitcnt lgkmcnt(0)
	v_lshrrev_b32_e32 v3, s61, v3
	v_and_b32_e32 v146, s62, v3
	s_or_b32 exec_lo, exec_lo, s40
	s_and_saveexec_b32 s40, s25
	s_cbranch_execz .LBB604_224
.LBB604_294:                            ;   in Loop: Header=BB604_100 Depth=2
	ds_read_b32 v3, v69 offset:4608
	s_waitcnt lgkmcnt(0)
	v_lshrrev_b32_e32 v3, s61, v3
	v_and_b32_e32 v145, s62, v3
	s_or_b32 exec_lo, exec_lo, s40
	s_and_saveexec_b32 s40, s26
	s_cbranch_execz .LBB604_225
.LBB604_295:                            ;   in Loop: Header=BB604_100 Depth=2
	ds_read_b32 v3, v69 offset:5632
	s_waitcnt lgkmcnt(0)
	v_lshrrev_b32_e32 v3, s61, v3
	v_and_b32_e32 v144, s62, v3
	s_or_b32 exec_lo, exec_lo, s40
	s_and_saveexec_b32 s40, s27
	s_cbranch_execz .LBB604_226
.LBB604_296:                            ;   in Loop: Header=BB604_100 Depth=2
	ds_read_b32 v3, v69 offset:6656
	s_waitcnt lgkmcnt(0)
	v_lshrrev_b32_e32 v3, s61, v3
	v_and_b32_e32 v143, s62, v3
	s_or_b32 exec_lo, exec_lo, s40
	s_and_saveexec_b32 s40, s29
	s_cbranch_execz .LBB604_227
.LBB604_297:                            ;   in Loop: Header=BB604_100 Depth=2
	ds_read_b32 v3, v69 offset:7680
	s_waitcnt lgkmcnt(0)
	v_lshrrev_b32_e32 v3, s61, v3
	v_and_b32_e32 v142, s62, v3
	s_or_b32 exec_lo, exec_lo, s40
	s_and_saveexec_b32 s40, s30
	s_cbranch_execz .LBB604_228
.LBB604_298:                            ;   in Loop: Header=BB604_100 Depth=2
	ds_read_b32 v3, v69 offset:8704
	s_waitcnt lgkmcnt(0)
	v_lshrrev_b32_e32 v3, s61, v3
	v_and_b32_e32 v141, s62, v3
	s_or_b32 exec_lo, exec_lo, s40
	s_and_saveexec_b32 s40, s31
	s_cbranch_execz .LBB604_229
.LBB604_299:                            ;   in Loop: Header=BB604_100 Depth=2
	ds_read_b32 v3, v69 offset:9728
	s_waitcnt lgkmcnt(0)
	v_lshrrev_b32_e32 v3, s61, v3
	v_and_b32_e32 v140, s62, v3
	s_or_b32 exec_lo, exec_lo, s40
	s_and_saveexec_b32 s40, s33
	s_cbranch_execz .LBB604_230
.LBB604_300:                            ;   in Loop: Header=BB604_100 Depth=2
	ds_read_b32 v3, v69 offset:10752
	s_waitcnt lgkmcnt(0)
	v_lshrrev_b32_e32 v3, s61, v3
	v_and_b32_e32 v139, s62, v3
	s_or_b32 exec_lo, exec_lo, s40
	s_and_saveexec_b32 s40, s34
	s_cbranch_execz .LBB604_231
.LBB604_301:                            ;   in Loop: Header=BB604_100 Depth=2
	ds_read_b32 v3, v69 offset:11776
	s_waitcnt lgkmcnt(0)
	v_lshrrev_b32_e32 v3, s61, v3
	v_and_b32_e32 v138, s62, v3
	s_or_b32 exec_lo, exec_lo, s40
	s_and_saveexec_b32 s40, s35
	s_cbranch_execz .LBB604_232
.LBB604_302:                            ;   in Loop: Header=BB604_100 Depth=2
	ds_read_b32 v3, v69 offset:12800
	s_waitcnt lgkmcnt(0)
	v_lshrrev_b32_e32 v3, s61, v3
	v_and_b32_e32 v137, s62, v3
	s_or_b32 exec_lo, exec_lo, s40
	s_and_saveexec_b32 s40, s36
	s_cbranch_execz .LBB604_233
.LBB604_303:                            ;   in Loop: Header=BB604_100 Depth=2
	ds_read_b32 v3, v69 offset:13824
	s_waitcnt lgkmcnt(0)
	v_lshrrev_b32_e32 v3, s61, v3
	v_and_b32_e32 v136, s62, v3
	s_or_b32 exec_lo, exec_lo, s40
	s_and_saveexec_b32 s40, s37
	s_cbranch_execz .LBB604_234
.LBB604_304:                            ;   in Loop: Header=BB604_100 Depth=2
	ds_read_b32 v3, v69 offset:14848
	s_waitcnt lgkmcnt(0)
	v_lshrrev_b32_e32 v3, s61, v3
	v_and_b32_e32 v135, s62, v3
	s_or_b32 exec_lo, exec_lo, s40
	s_and_saveexec_b32 s40, s38
	s_cbranch_execz .LBB604_235
.LBB604_305:                            ;   in Loop: Header=BB604_100 Depth=2
	ds_read_b32 v3, v69 offset:15872
	s_waitcnt lgkmcnt(0)
	v_lshrrev_b32_e32 v3, s61, v3
	v_and_b32_e32 v134, s62, v3
	s_or_b32 exec_lo, exec_lo, s40
	s_and_saveexec_b32 s40, s39
	s_cbranch_execnz .LBB604_236
	s_branch .LBB604_237
.LBB604_306:                            ;   in Loop: Header=BB604_100 Depth=2
	v_lshlrev_b32_e32 v3, 2, v150
	v_add_nc_u32_e32 v39, v69, v43
	ds_read_b32 v3, v3
	ds_read_b64 v[39:40], v39 offset:512
	s_waitcnt lgkmcnt(1)
	v_add_nc_u32_e32 v3, v3, v0
	v_lshlrev_b64 v[41:42], 3, v[3:4]
	v_add_co_u32 v41, vcc_lo, s52, v41
	v_add_co_ci_u32_e64 v42, null, s53, v42, vcc_lo
	s_waitcnt lgkmcnt(0)
	global_store_dwordx2 v[41:42], v[39:40], off
	s_or_b32 exec_lo, exec_lo, s40
	s_and_saveexec_b32 s40, s22
	s_cbranch_execz .LBB604_239
.LBB604_307:                            ;   in Loop: Header=BB604_100 Depth=2
	v_lshlrev_b32_e32 v3, 2, v149
	v_add_nc_u32_e32 v39, v69, v43
	ds_read_b32 v3, v3
	ds_read_b64 v[39:40], v39 offset:2560
	s_waitcnt lgkmcnt(1)
	v_add_nc_u32_e32 v3, v3, v44
	v_lshlrev_b64 v[41:42], 3, v[3:4]
	v_add_co_u32 v41, vcc_lo, s52, v41
	v_add_co_ci_u32_e64 v42, null, s53, v42, vcc_lo
	s_waitcnt lgkmcnt(0)
	global_store_dwordx2 v[41:42], v[39:40], off
	s_or_b32 exec_lo, exec_lo, s40
	s_and_saveexec_b32 s22, s23
	s_cbranch_execz .LBB604_240
.LBB604_308:                            ;   in Loop: Header=BB604_100 Depth=2
	v_lshlrev_b32_e32 v3, 2, v147
	v_add_nc_u32_e32 v39, v69, v43
	ds_read_b32 v3, v3
	ds_read_b64 v[39:40], v39 offset:4608
	s_waitcnt lgkmcnt(1)
	v_add_nc_u32_e32 v3, v3, v47
	v_lshlrev_b64 v[41:42], 3, v[3:4]
	v_add_co_u32 v41, vcc_lo, s52, v41
	v_add_co_ci_u32_e64 v42, null, s53, v42, vcc_lo
	s_waitcnt lgkmcnt(0)
	global_store_dwordx2 v[41:42], v[39:40], off
	s_or_b32 exec_lo, exec_lo, s22
	s_and_saveexec_b32 s22, s24
	s_cbranch_execz .LBB604_241
.LBB604_309:                            ;   in Loop: Header=BB604_100 Depth=2
	v_lshlrev_b32_e32 v3, 2, v146
	v_add_nc_u32_e32 v39, v69, v43
	ds_read_b32 v3, v3
	ds_read_b64 v[39:40], v39 offset:6656
	s_waitcnt lgkmcnt(1)
	v_add_nc_u32_e32 v3, v3, v48
	v_lshlrev_b64 v[41:42], 3, v[3:4]
	v_add_co_u32 v41, vcc_lo, s52, v41
	v_add_co_ci_u32_e64 v42, null, s53, v42, vcc_lo
	s_waitcnt lgkmcnt(0)
	global_store_dwordx2 v[41:42], v[39:40], off
	s_or_b32 exec_lo, exec_lo, s22
	s_and_saveexec_b32 s22, s25
	s_cbranch_execz .LBB604_242
.LBB604_310:                            ;   in Loop: Header=BB604_100 Depth=2
	v_lshlrev_b32_e32 v3, 2, v145
	v_add_nc_u32_e32 v39, v69, v43
	ds_read_b32 v3, v3
	ds_read_b64 v[39:40], v39 offset:8704
	s_waitcnt lgkmcnt(1)
	v_add_nc_u32_e32 v3, v3, v49
	v_lshlrev_b64 v[41:42], 3, v[3:4]
	v_add_co_u32 v41, vcc_lo, s52, v41
	v_add_co_ci_u32_e64 v42, null, s53, v42, vcc_lo
	s_waitcnt lgkmcnt(0)
	global_store_dwordx2 v[41:42], v[39:40], off
	s_or_b32 exec_lo, exec_lo, s22
	s_and_saveexec_b32 s22, s26
	s_cbranch_execz .LBB604_243
.LBB604_311:                            ;   in Loop: Header=BB604_100 Depth=2
	v_lshlrev_b32_e32 v3, 2, v144
	v_add_nc_u32_e32 v39, v69, v43
	ds_read_b32 v3, v3
	ds_read_b64 v[39:40], v39 offset:10752
	s_waitcnt lgkmcnt(1)
	v_add_nc_u32_e32 v3, v3, v50
	v_lshlrev_b64 v[41:42], 3, v[3:4]
	v_add_co_u32 v41, vcc_lo, s52, v41
	v_add_co_ci_u32_e64 v42, null, s53, v42, vcc_lo
	s_waitcnt lgkmcnt(0)
	global_store_dwordx2 v[41:42], v[39:40], off
	s_or_b32 exec_lo, exec_lo, s22
	s_and_saveexec_b32 s22, s27
	s_cbranch_execz .LBB604_244
.LBB604_312:                            ;   in Loop: Header=BB604_100 Depth=2
	v_lshlrev_b32_e32 v3, 2, v143
	v_add_nc_u32_e32 v39, v69, v43
	ds_read_b32 v3, v3
	ds_read_b64 v[39:40], v39 offset:12800
	s_waitcnt lgkmcnt(1)
	v_add_nc_u32_e32 v3, v3, v51
	v_lshlrev_b64 v[41:42], 3, v[3:4]
	v_add_co_u32 v41, vcc_lo, s52, v41
	v_add_co_ci_u32_e64 v42, null, s53, v42, vcc_lo
	s_waitcnt lgkmcnt(0)
	global_store_dwordx2 v[41:42], v[39:40], off
	s_or_b32 exec_lo, exec_lo, s22
	s_and_saveexec_b32 s22, s29
	s_cbranch_execz .LBB604_245
.LBB604_313:                            ;   in Loop: Header=BB604_100 Depth=2
	v_lshlrev_b32_e32 v3, 2, v142
	v_add_nc_u32_e32 v39, v69, v43
	ds_read_b32 v3, v3
	ds_read_b64 v[39:40], v39 offset:14848
	s_waitcnt lgkmcnt(1)
	v_add_nc_u32_e32 v3, v3, v52
	v_lshlrev_b64 v[41:42], 3, v[3:4]
	v_add_co_u32 v41, vcc_lo, s52, v41
	v_add_co_ci_u32_e64 v42, null, s53, v42, vcc_lo
	s_waitcnt lgkmcnt(0)
	global_store_dwordx2 v[41:42], v[39:40], off
	s_or_b32 exec_lo, exec_lo, s22
	s_and_saveexec_b32 s22, s30
	s_cbranch_execz .LBB604_246
.LBB604_314:                            ;   in Loop: Header=BB604_100 Depth=2
	v_lshlrev_b32_e32 v3, 2, v141
	v_add_nc_u32_e32 v39, v69, v43
	ds_read_b32 v3, v3
	ds_read_b64 v[39:40], v39 offset:16896
	s_waitcnt lgkmcnt(1)
	v_add_nc_u32_e32 v3, v3, v53
	v_lshlrev_b64 v[41:42], 3, v[3:4]
	v_add_co_u32 v41, vcc_lo, s52, v41
	v_add_co_ci_u32_e64 v42, null, s53, v42, vcc_lo
	s_waitcnt lgkmcnt(0)
	global_store_dwordx2 v[41:42], v[39:40], off
	s_or_b32 exec_lo, exec_lo, s22
	s_and_saveexec_b32 s22, s31
	s_cbranch_execz .LBB604_247
.LBB604_315:                            ;   in Loop: Header=BB604_100 Depth=2
	v_lshlrev_b32_e32 v3, 2, v140
	v_add_nc_u32_e32 v39, v69, v43
	ds_read_b32 v3, v3
	ds_read_b64 v[39:40], v39 offset:18944
	s_waitcnt lgkmcnt(1)
	v_add_nc_u32_e32 v3, v3, v54
	v_lshlrev_b64 v[41:42], 3, v[3:4]
	v_add_co_u32 v41, vcc_lo, s52, v41
	v_add_co_ci_u32_e64 v42, null, s53, v42, vcc_lo
	s_waitcnt lgkmcnt(0)
	global_store_dwordx2 v[41:42], v[39:40], off
	s_or_b32 exec_lo, exec_lo, s22
	s_and_saveexec_b32 s22, s33
	s_cbranch_execz .LBB604_248
.LBB604_316:                            ;   in Loop: Header=BB604_100 Depth=2
	v_lshlrev_b32_e32 v3, 2, v139
	v_add_nc_u32_e32 v39, v69, v43
	ds_read_b32 v3, v3
	ds_read_b64 v[39:40], v39 offset:20992
	s_waitcnt lgkmcnt(1)
	v_add_nc_u32_e32 v3, v3, v55
	v_lshlrev_b64 v[41:42], 3, v[3:4]
	v_add_co_u32 v41, vcc_lo, s52, v41
	v_add_co_ci_u32_e64 v42, null, s53, v42, vcc_lo
	s_waitcnt lgkmcnt(0)
	global_store_dwordx2 v[41:42], v[39:40], off
	s_or_b32 exec_lo, exec_lo, s22
	s_and_saveexec_b32 s22, s34
	s_cbranch_execz .LBB604_249
.LBB604_317:                            ;   in Loop: Header=BB604_100 Depth=2
	v_lshlrev_b32_e32 v3, 2, v138
	v_add_nc_u32_e32 v39, v69, v43
	ds_read_b32 v3, v3
	ds_read_b64 v[39:40], v39 offset:23040
	s_waitcnt lgkmcnt(1)
	v_add_nc_u32_e32 v3, v3, v56
	v_lshlrev_b64 v[41:42], 3, v[3:4]
	v_add_co_u32 v41, vcc_lo, s52, v41
	v_add_co_ci_u32_e64 v42, null, s53, v42, vcc_lo
	s_waitcnt lgkmcnt(0)
	global_store_dwordx2 v[41:42], v[39:40], off
	s_or_b32 exec_lo, exec_lo, s22
	s_and_saveexec_b32 s22, s35
	s_cbranch_execz .LBB604_250
.LBB604_318:                            ;   in Loop: Header=BB604_100 Depth=2
	v_lshlrev_b32_e32 v3, 2, v137
	v_add_nc_u32_e32 v39, v69, v43
	ds_read_b32 v3, v3
	ds_read_b64 v[39:40], v39 offset:25088
	s_waitcnt lgkmcnt(1)
	v_add_nc_u32_e32 v3, v3, v57
	v_lshlrev_b64 v[41:42], 3, v[3:4]
	v_add_co_u32 v41, vcc_lo, s52, v41
	v_add_co_ci_u32_e64 v42, null, s53, v42, vcc_lo
	s_waitcnt lgkmcnt(0)
	global_store_dwordx2 v[41:42], v[39:40], off
	s_or_b32 exec_lo, exec_lo, s22
	s_and_saveexec_b32 s22, s36
	s_cbranch_execz .LBB604_251
.LBB604_319:                            ;   in Loop: Header=BB604_100 Depth=2
	v_lshlrev_b32_e32 v3, 2, v136
	v_add_nc_u32_e32 v39, v69, v43
	ds_read_b32 v3, v3
	ds_read_b64 v[39:40], v39 offset:27136
	s_waitcnt lgkmcnt(1)
	v_add_nc_u32_e32 v3, v3, v58
	v_lshlrev_b64 v[41:42], 3, v[3:4]
	v_add_co_u32 v41, vcc_lo, s52, v41
	v_add_co_ci_u32_e64 v42, null, s53, v42, vcc_lo
	s_waitcnt lgkmcnt(0)
	global_store_dwordx2 v[41:42], v[39:40], off
	s_or_b32 exec_lo, exec_lo, s22
	s_and_saveexec_b32 s22, s37
	s_cbranch_execz .LBB604_252
.LBB604_320:                            ;   in Loop: Header=BB604_100 Depth=2
	v_lshlrev_b32_e32 v3, 2, v135
	v_add_nc_u32_e32 v39, v69, v43
	ds_read_b32 v3, v3
	ds_read_b64 v[39:40], v39 offset:29184
	s_waitcnt lgkmcnt(1)
	v_add_nc_u32_e32 v3, v3, v59
	v_lshlrev_b64 v[41:42], 3, v[3:4]
	v_add_co_u32 v41, vcc_lo, s52, v41
	v_add_co_ci_u32_e64 v42, null, s53, v42, vcc_lo
	s_waitcnt lgkmcnt(0)
	global_store_dwordx2 v[41:42], v[39:40], off
	s_or_b32 exec_lo, exec_lo, s22
	s_and_saveexec_b32 s22, s38
	s_cbranch_execz .LBB604_253
.LBB604_321:                            ;   in Loop: Header=BB604_100 Depth=2
	v_lshlrev_b32_e32 v3, 2, v134
	v_add_nc_u32_e32 v39, v69, v43
	ds_read_b32 v3, v3
	ds_read_b64 v[39:40], v39 offset:31232
	s_waitcnt lgkmcnt(1)
	v_add_nc_u32_e32 v3, v3, v60
	v_lshlrev_b64 v[41:42], 3, v[3:4]
	v_add_co_u32 v41, vcc_lo, s52, v41
	v_add_co_ci_u32_e64 v42, null, s53, v42, vcc_lo
	s_waitcnt lgkmcnt(0)
	global_store_dwordx2 v[41:42], v[39:40], off
	s_or_b32 exec_lo, exec_lo, s22
	s_and_saveexec_b32 s22, s39
	s_cbranch_execnz .LBB604_254
	s_branch .LBB604_255
.LBB604_322:                            ;   in Loop: Header=BB604_12 Depth=1
	s_waitcnt lgkmcnt(0)
	s_mov_b32 s5, 0
	s_barrier
.LBB604_323:                            ;   in Loop: Header=BB604_12 Depth=1
	s_and_b32 vcc_lo, exec_lo, s5
	s_cbranch_vccz .LBB604_633
; %bb.324:                              ;   in Loop: Header=BB604_12 Depth=1
	s_mov_b32 s5, s60
	s_mov_b32 s50, s58
	s_barrier
	buffer_gl0_inv
                                        ; implicit-def: $vgpr3
                                        ; implicit-def: $vgpr5
                                        ; implicit-def: $vgpr6
                                        ; implicit-def: $vgpr7
                                        ; implicit-def: $vgpr8
                                        ; implicit-def: $vgpr9
                                        ; implicit-def: $vgpr10
                                        ; implicit-def: $vgpr11
                                        ; implicit-def: $vgpr12
                                        ; implicit-def: $vgpr13
                                        ; implicit-def: $vgpr14
                                        ; implicit-def: $vgpr15
                                        ; implicit-def: $vgpr16
                                        ; implicit-def: $vgpr17
                                        ; implicit-def: $vgpr18
                                        ; implicit-def: $vgpr19
                                        ; implicit-def: $vgpr20
	s_branch .LBB604_326
.LBB604_325:                            ;   in Loop: Header=BB604_326 Depth=2
	s_or_b32 exec_lo, exec_lo, s16
	s_addk_i32 s5, 0xef00
	s_cmp_ge_u32 s15, s59
	s_mov_b32 s50, s15
	s_cbranch_scc1 .LBB604_398
.LBB604_326:                            ;   Parent Loop BB604_12 Depth=1
                                        ; =>  This Inner Loop Header: Depth=2
	s_add_i32 s15, s50, 0x1100
	s_mov_b32 s16, -1
	s_cmp_gt_u32 s15, s59
                                        ; implicit-def: $vgpr21
                                        ; implicit-def: $vgpr22
                                        ; implicit-def: $vgpr25
                                        ; implicit-def: $vgpr23
                                        ; implicit-def: $vgpr27
                                        ; implicit-def: $vgpr24
                                        ; implicit-def: $vgpr29
                                        ; implicit-def: $vgpr26
                                        ; implicit-def: $vgpr31
                                        ; implicit-def: $vgpr28
                                        ; implicit-def: $vgpr33
                                        ; implicit-def: $vgpr30
                                        ; implicit-def: $vgpr34
                                        ; implicit-def: $vgpr32
                                        ; implicit-def: $vgpr35
                                        ; implicit-def: $vgpr36
                                        ; implicit-def: $vgpr37
	s_cbranch_scc1 .LBB604_328
; %bb.327:                              ;   in Loop: Header=BB604_326 Depth=2
	s_lshl_b64 s[16:17], s[50:51], 2
	v_add_co_u32 v33, vcc_lo, v72, s16
	v_add_co_ci_u32_e64 v34, null, s17, v73, vcc_lo
	s_mov_b32 s16, 0
	v_add_co_u32 v23, vcc_lo, 0x800, v33
	v_add_co_ci_u32_e64 v24, null, 0, v34, vcc_lo
	v_add_co_u32 v35, vcc_lo, v33, 0x1000
	v_add_co_ci_u32_e64 v36, null, 0, v34, vcc_lo
	;; [unrolled: 2-line block ×9, first 2 shown]
	s_clause 0x7
	global_load_dword v21, v[33:34], off
	global_load_dword v22, v[33:34], off offset:1024
	global_load_dword v23, v[23:24], off offset:1024
	;; [unrolled: 1-line block ×7, first 2 shown]
	v_add_co_u32 v41, vcc_lo, 0x3800, v33
	v_add_co_ci_u32_e64 v42, null, 0, v34, vcc_lo
	v_add_co_u32 v131, vcc_lo, v33, 0x4000
	v_add_co_ci_u32_e64 v132, null, 0, v34, vcc_lo
	s_clause 0x8
	global_load_dword v25, v[35:36], off offset:-2048
	global_load_dword v27, v[35:36], off
	global_load_dword v29, v[37:38], off offset:-2048
	global_load_dword v31, v[37:38], off
	;; [unrolled: 2-line block ×3, first 2 shown]
	global_load_dword v35, v[131:132], off offset:-2048
	global_load_dword v36, v[41:42], off offset:1024
	global_load_dword v37, v[131:132], off
.LBB604_328:                            ;   in Loop: Header=BB604_326 Depth=2
	s_andn2_b32 vcc_lo, exec_lo, s16
	s_movk_i32 s16, 0x1100
	s_cbranch_vccnz .LBB604_348
; %bb.329:                              ;   in Loop: Header=BB604_326 Depth=2
	s_lshl_b64 s[16:17], s[50:51], 2
	s_mov_b32 s18, exec_lo
	s_add_u32 s16, s46, s16
	s_addc_u32 s17, s47, s17
	v_cmpx_gt_u32_e64 s5, v0
	s_cbranch_execnz .LBB604_382
; %bb.330:                              ;   in Loop: Header=BB604_326 Depth=2
	s_or_b32 exec_lo, exec_lo, s18
	s_mov_b32 s18, exec_lo
	v_cmpx_gt_u32_e64 s5, v44
	s_cbranch_execnz .LBB604_383
.LBB604_331:                            ;   in Loop: Header=BB604_326 Depth=2
	s_or_b32 exec_lo, exec_lo, s18
	s_mov_b32 s18, exec_lo
	v_cmpx_gt_u32_e64 s5, v47
	s_cbranch_execnz .LBB604_384
.LBB604_332:                            ;   in Loop: Header=BB604_326 Depth=2
	s_or_b32 exec_lo, exec_lo, s18
	s_mov_b32 s18, exec_lo
	v_cmpx_gt_u32_e64 s5, v48
	s_cbranch_execnz .LBB604_385
.LBB604_333:                            ;   in Loop: Header=BB604_326 Depth=2
	s_or_b32 exec_lo, exec_lo, s18
	s_mov_b32 s18, exec_lo
	v_cmpx_gt_u32_e64 s5, v49
	s_cbranch_execnz .LBB604_386
.LBB604_334:                            ;   in Loop: Header=BB604_326 Depth=2
	s_or_b32 exec_lo, exec_lo, s18
	s_mov_b32 s18, exec_lo
	v_cmpx_gt_u32_e64 s5, v50
	s_cbranch_execnz .LBB604_387
.LBB604_335:                            ;   in Loop: Header=BB604_326 Depth=2
	s_or_b32 exec_lo, exec_lo, s18
	s_mov_b32 s18, exec_lo
	v_cmpx_gt_u32_e64 s5, v51
	s_cbranch_execnz .LBB604_388
.LBB604_336:                            ;   in Loop: Header=BB604_326 Depth=2
	s_or_b32 exec_lo, exec_lo, s18
	s_mov_b32 s18, exec_lo
	v_cmpx_gt_u32_e64 s5, v52
	s_cbranch_execnz .LBB604_389
.LBB604_337:                            ;   in Loop: Header=BB604_326 Depth=2
	s_or_b32 exec_lo, exec_lo, s18
	s_mov_b32 s18, exec_lo
	v_cmpx_gt_u32_e64 s5, v53
	s_cbranch_execnz .LBB604_390
.LBB604_338:                            ;   in Loop: Header=BB604_326 Depth=2
	s_or_b32 exec_lo, exec_lo, s18
	s_mov_b32 s18, exec_lo
	v_cmpx_gt_u32_e64 s5, v54
	s_cbranch_execnz .LBB604_391
.LBB604_339:                            ;   in Loop: Header=BB604_326 Depth=2
	s_or_b32 exec_lo, exec_lo, s18
	s_mov_b32 s18, exec_lo
	v_cmpx_gt_u32_e64 s5, v55
	s_cbranch_execnz .LBB604_392
.LBB604_340:                            ;   in Loop: Header=BB604_326 Depth=2
	s_or_b32 exec_lo, exec_lo, s18
	s_mov_b32 s18, exec_lo
	v_cmpx_gt_u32_e64 s5, v56
	s_cbranch_execnz .LBB604_393
.LBB604_341:                            ;   in Loop: Header=BB604_326 Depth=2
	s_or_b32 exec_lo, exec_lo, s18
	s_mov_b32 s18, exec_lo
	v_cmpx_gt_u32_e64 s5, v57
	s_cbranch_execnz .LBB604_394
.LBB604_342:                            ;   in Loop: Header=BB604_326 Depth=2
	s_or_b32 exec_lo, exec_lo, s18
	s_mov_b32 s18, exec_lo
	v_cmpx_gt_u32_e64 s5, v58
	s_cbranch_execnz .LBB604_395
.LBB604_343:                            ;   in Loop: Header=BB604_326 Depth=2
	s_or_b32 exec_lo, exec_lo, s18
	s_mov_b32 s18, exec_lo
	v_cmpx_gt_u32_e64 s5, v59
	s_cbranch_execnz .LBB604_396
.LBB604_344:                            ;   in Loop: Header=BB604_326 Depth=2
	s_or_b32 exec_lo, exec_lo, s18
	s_mov_b32 s18, exec_lo
	v_cmpx_gt_u32_e64 s5, v60
	s_cbranch_execnz .LBB604_397
.LBB604_345:                            ;   in Loop: Header=BB604_326 Depth=2
	s_or_b32 exec_lo, exec_lo, s18
	s_mov_b32 s18, exec_lo
	v_cmpx_gt_u32_e64 s5, v61
	s_cbranch_execz .LBB604_347
.LBB604_346:                            ;   in Loop: Header=BB604_326 Depth=2
	global_load_dword v3, v107, s[16:17]
.LBB604_347:                            ;   in Loop: Header=BB604_326 Depth=2
	s_or_b32 exec_lo, exec_lo, s18
	s_waitcnt vmcnt(0)
	v_mov_b32_e32 v21, v20
	v_mov_b32_e32 v22, v19
	;; [unrolled: 1-line block ×17, first 2 shown]
	s_mov_b32 s16, s5
.LBB604_348:                            ;   in Loop: Header=BB604_326 Depth=2
	s_waitcnt vmcnt(0)
	v_mov_b32_e32 v3, v37
	v_mov_b32_e32 v5, v36
	;; [unrolled: 1-line block ×17, first 2 shown]
	s_mov_b32 s17, exec_lo
	v_cmpx_gt_u32_e64 s16, v0
	s_cbranch_execnz .LBB604_365
; %bb.349:                              ;   in Loop: Header=BB604_326 Depth=2
	s_or_b32 exec_lo, exec_lo, s17
	s_mov_b32 s17, exec_lo
	v_cmpx_gt_u32_e64 s16, v44
	s_cbranch_execnz .LBB604_366
.LBB604_350:                            ;   in Loop: Header=BB604_326 Depth=2
	s_or_b32 exec_lo, exec_lo, s17
	s_mov_b32 s17, exec_lo
	v_cmpx_gt_u32_e64 s16, v47
	s_cbranch_execnz .LBB604_367
.LBB604_351:                            ;   in Loop: Header=BB604_326 Depth=2
	s_or_b32 exec_lo, exec_lo, s17
	s_mov_b32 s17, exec_lo
	v_cmpx_gt_u32_e64 s16, v48
	s_cbranch_execnz .LBB604_368
.LBB604_352:                            ;   in Loop: Header=BB604_326 Depth=2
	s_or_b32 exec_lo, exec_lo, s17
	s_mov_b32 s17, exec_lo
	v_cmpx_gt_u32_e64 s16, v49
	s_cbranch_execnz .LBB604_369
.LBB604_353:                            ;   in Loop: Header=BB604_326 Depth=2
	s_or_b32 exec_lo, exec_lo, s17
	s_mov_b32 s17, exec_lo
	v_cmpx_gt_u32_e64 s16, v50
	s_cbranch_execnz .LBB604_370
.LBB604_354:                            ;   in Loop: Header=BB604_326 Depth=2
	s_or_b32 exec_lo, exec_lo, s17
	s_mov_b32 s17, exec_lo
	v_cmpx_gt_u32_e64 s16, v51
	s_cbranch_execnz .LBB604_371
.LBB604_355:                            ;   in Loop: Header=BB604_326 Depth=2
	s_or_b32 exec_lo, exec_lo, s17
	s_mov_b32 s17, exec_lo
	v_cmpx_gt_u32_e64 s16, v52
	s_cbranch_execnz .LBB604_372
.LBB604_356:                            ;   in Loop: Header=BB604_326 Depth=2
	s_or_b32 exec_lo, exec_lo, s17
	s_mov_b32 s17, exec_lo
	v_cmpx_gt_u32_e64 s16, v53
	s_cbranch_execnz .LBB604_373
.LBB604_357:                            ;   in Loop: Header=BB604_326 Depth=2
	s_or_b32 exec_lo, exec_lo, s17
	s_mov_b32 s17, exec_lo
	v_cmpx_gt_u32_e64 s16, v54
	s_cbranch_execnz .LBB604_374
.LBB604_358:                            ;   in Loop: Header=BB604_326 Depth=2
	s_or_b32 exec_lo, exec_lo, s17
	s_mov_b32 s17, exec_lo
	v_cmpx_gt_u32_e64 s16, v55
	s_cbranch_execnz .LBB604_375
.LBB604_359:                            ;   in Loop: Header=BB604_326 Depth=2
	s_or_b32 exec_lo, exec_lo, s17
	s_mov_b32 s17, exec_lo
	v_cmpx_gt_u32_e64 s16, v56
	s_cbranch_execnz .LBB604_376
.LBB604_360:                            ;   in Loop: Header=BB604_326 Depth=2
	s_or_b32 exec_lo, exec_lo, s17
	s_mov_b32 s17, exec_lo
	v_cmpx_gt_u32_e64 s16, v57
	s_cbranch_execnz .LBB604_377
.LBB604_361:                            ;   in Loop: Header=BB604_326 Depth=2
	s_or_b32 exec_lo, exec_lo, s17
	s_mov_b32 s17, exec_lo
	v_cmpx_gt_u32_e64 s16, v58
	s_cbranch_execnz .LBB604_378
.LBB604_362:                            ;   in Loop: Header=BB604_326 Depth=2
	s_or_b32 exec_lo, exec_lo, s17
	s_mov_b32 s17, exec_lo
	v_cmpx_gt_u32_e64 s16, v59
	s_cbranch_execnz .LBB604_379
.LBB604_363:                            ;   in Loop: Header=BB604_326 Depth=2
	s_or_b32 exec_lo, exec_lo, s17
	s_mov_b32 s17, exec_lo
	v_cmpx_gt_u32_e64 s16, v60
	s_cbranch_execnz .LBB604_380
.LBB604_364:                            ;   in Loop: Header=BB604_326 Depth=2
	s_or_b32 exec_lo, exec_lo, s17
	v_cmp_gt_u32_e32 vcc_lo, s16, v61
	s_and_saveexec_b32 s16, vcc_lo
	s_cbranch_execz .LBB604_325
	s_branch .LBB604_381
.LBB604_365:                            ;   in Loop: Header=BB604_326 Depth=2
	v_xor_b32_e32 v21, 0x80000000, v20
	v_lshrrev_b32_e32 v21, s61, v21
	v_and_b32_e32 v21, s62, v21
	v_lshl_or_b32 v21, v21, 4, v63
	ds_add_u32 v21, v85
	s_or_b32 exec_lo, exec_lo, s17
	s_mov_b32 s17, exec_lo
	v_cmpx_gt_u32_e64 s16, v44
	s_cbranch_execz .LBB604_350
.LBB604_366:                            ;   in Loop: Header=BB604_326 Depth=2
	v_xor_b32_e32 v21, 0x80000000, v19
	v_lshrrev_b32_e32 v21, s61, v21
	v_and_b32_e32 v21, s62, v21
	v_lshl_or_b32 v21, v21, 4, v63
	ds_add_u32 v21, v85
	s_or_b32 exec_lo, exec_lo, s17
	s_mov_b32 s17, exec_lo
	v_cmpx_gt_u32_e64 s16, v47
	s_cbranch_execz .LBB604_351
.LBB604_367:                            ;   in Loop: Header=BB604_326 Depth=2
	v_xor_b32_e32 v21, 0x80000000, v18
	v_lshrrev_b32_e32 v21, s61, v21
	v_and_b32_e32 v21, s62, v21
	v_lshl_or_b32 v21, v21, 4, v63
	ds_add_u32 v21, v85
	s_or_b32 exec_lo, exec_lo, s17
	s_mov_b32 s17, exec_lo
	v_cmpx_gt_u32_e64 s16, v48
	s_cbranch_execz .LBB604_352
.LBB604_368:                            ;   in Loop: Header=BB604_326 Depth=2
	v_xor_b32_e32 v21, 0x80000000, v17
	v_lshrrev_b32_e32 v21, s61, v21
	v_and_b32_e32 v21, s62, v21
	v_lshl_or_b32 v21, v21, 4, v63
	ds_add_u32 v21, v85
	s_or_b32 exec_lo, exec_lo, s17
	s_mov_b32 s17, exec_lo
	v_cmpx_gt_u32_e64 s16, v49
	s_cbranch_execz .LBB604_353
.LBB604_369:                            ;   in Loop: Header=BB604_326 Depth=2
	v_xor_b32_e32 v21, 0x80000000, v16
	v_lshrrev_b32_e32 v21, s61, v21
	v_and_b32_e32 v21, s62, v21
	v_lshl_or_b32 v21, v21, 4, v63
	ds_add_u32 v21, v85
	s_or_b32 exec_lo, exec_lo, s17
	s_mov_b32 s17, exec_lo
	v_cmpx_gt_u32_e64 s16, v50
	s_cbranch_execz .LBB604_354
.LBB604_370:                            ;   in Loop: Header=BB604_326 Depth=2
	v_xor_b32_e32 v21, 0x80000000, v15
	v_lshrrev_b32_e32 v21, s61, v21
	v_and_b32_e32 v21, s62, v21
	v_lshl_or_b32 v21, v21, 4, v63
	ds_add_u32 v21, v85
	s_or_b32 exec_lo, exec_lo, s17
	s_mov_b32 s17, exec_lo
	v_cmpx_gt_u32_e64 s16, v51
	s_cbranch_execz .LBB604_355
.LBB604_371:                            ;   in Loop: Header=BB604_326 Depth=2
	v_xor_b32_e32 v21, 0x80000000, v14
	v_lshrrev_b32_e32 v21, s61, v21
	v_and_b32_e32 v21, s62, v21
	v_lshl_or_b32 v21, v21, 4, v63
	ds_add_u32 v21, v85
	s_or_b32 exec_lo, exec_lo, s17
	s_mov_b32 s17, exec_lo
	v_cmpx_gt_u32_e64 s16, v52
	s_cbranch_execz .LBB604_356
.LBB604_372:                            ;   in Loop: Header=BB604_326 Depth=2
	v_xor_b32_e32 v21, 0x80000000, v13
	v_lshrrev_b32_e32 v21, s61, v21
	v_and_b32_e32 v21, s62, v21
	v_lshl_or_b32 v21, v21, 4, v63
	ds_add_u32 v21, v85
	s_or_b32 exec_lo, exec_lo, s17
	s_mov_b32 s17, exec_lo
	v_cmpx_gt_u32_e64 s16, v53
	s_cbranch_execz .LBB604_357
.LBB604_373:                            ;   in Loop: Header=BB604_326 Depth=2
	v_xor_b32_e32 v21, 0x80000000, v12
	v_lshrrev_b32_e32 v21, s61, v21
	v_and_b32_e32 v21, s62, v21
	v_lshl_or_b32 v21, v21, 4, v63
	ds_add_u32 v21, v85
	s_or_b32 exec_lo, exec_lo, s17
	s_mov_b32 s17, exec_lo
	v_cmpx_gt_u32_e64 s16, v54
	s_cbranch_execz .LBB604_358
.LBB604_374:                            ;   in Loop: Header=BB604_326 Depth=2
	v_xor_b32_e32 v21, 0x80000000, v11
	v_lshrrev_b32_e32 v21, s61, v21
	v_and_b32_e32 v21, s62, v21
	v_lshl_or_b32 v21, v21, 4, v63
	ds_add_u32 v21, v85
	s_or_b32 exec_lo, exec_lo, s17
	s_mov_b32 s17, exec_lo
	v_cmpx_gt_u32_e64 s16, v55
	s_cbranch_execz .LBB604_359
.LBB604_375:                            ;   in Loop: Header=BB604_326 Depth=2
	v_xor_b32_e32 v21, 0x80000000, v10
	v_lshrrev_b32_e32 v21, s61, v21
	v_and_b32_e32 v21, s62, v21
	v_lshl_or_b32 v21, v21, 4, v63
	ds_add_u32 v21, v85
	s_or_b32 exec_lo, exec_lo, s17
	s_mov_b32 s17, exec_lo
	v_cmpx_gt_u32_e64 s16, v56
	s_cbranch_execz .LBB604_360
.LBB604_376:                            ;   in Loop: Header=BB604_326 Depth=2
	v_xor_b32_e32 v21, 0x80000000, v9
	v_lshrrev_b32_e32 v21, s61, v21
	v_and_b32_e32 v21, s62, v21
	v_lshl_or_b32 v21, v21, 4, v63
	ds_add_u32 v21, v85
	s_or_b32 exec_lo, exec_lo, s17
	s_mov_b32 s17, exec_lo
	v_cmpx_gt_u32_e64 s16, v57
	s_cbranch_execz .LBB604_361
.LBB604_377:                            ;   in Loop: Header=BB604_326 Depth=2
	v_xor_b32_e32 v21, 0x80000000, v8
	v_lshrrev_b32_e32 v21, s61, v21
	v_and_b32_e32 v21, s62, v21
	v_lshl_or_b32 v21, v21, 4, v63
	ds_add_u32 v21, v85
	s_or_b32 exec_lo, exec_lo, s17
	s_mov_b32 s17, exec_lo
	v_cmpx_gt_u32_e64 s16, v58
	s_cbranch_execz .LBB604_362
.LBB604_378:                            ;   in Loop: Header=BB604_326 Depth=2
	v_xor_b32_e32 v21, 0x80000000, v7
	v_lshrrev_b32_e32 v21, s61, v21
	v_and_b32_e32 v21, s62, v21
	v_lshl_or_b32 v21, v21, 4, v63
	ds_add_u32 v21, v85
	s_or_b32 exec_lo, exec_lo, s17
	s_mov_b32 s17, exec_lo
	v_cmpx_gt_u32_e64 s16, v59
	s_cbranch_execz .LBB604_363
.LBB604_379:                            ;   in Loop: Header=BB604_326 Depth=2
	v_xor_b32_e32 v21, 0x80000000, v6
	v_lshrrev_b32_e32 v21, s61, v21
	v_and_b32_e32 v21, s62, v21
	v_lshl_or_b32 v21, v21, 4, v63
	ds_add_u32 v21, v85
	s_or_b32 exec_lo, exec_lo, s17
	s_mov_b32 s17, exec_lo
	v_cmpx_gt_u32_e64 s16, v60
	s_cbranch_execz .LBB604_364
.LBB604_380:                            ;   in Loop: Header=BB604_326 Depth=2
	v_xor_b32_e32 v21, 0x80000000, v5
	v_lshrrev_b32_e32 v21, s61, v21
	v_and_b32_e32 v21, s62, v21
	v_lshl_or_b32 v21, v21, 4, v63
	ds_add_u32 v21, v85
	s_or_b32 exec_lo, exec_lo, s17
	v_cmp_gt_u32_e32 vcc_lo, s16, v61
	s_and_saveexec_b32 s16, vcc_lo
	s_cbranch_execz .LBB604_325
.LBB604_381:                            ;   in Loop: Header=BB604_326 Depth=2
	v_xor_b32_e32 v21, 0x80000000, v3
	v_lshrrev_b32_e32 v21, s61, v21
	v_and_b32_e32 v21, s62, v21
	v_lshl_or_b32 v21, v21, 4, v63
	ds_add_u32 v21, v85
	s_branch .LBB604_325
.LBB604_382:                            ;   in Loop: Header=BB604_326 Depth=2
	global_load_dword v20, v91, s[16:17]
	s_or_b32 exec_lo, exec_lo, s18
	s_mov_b32 s18, exec_lo
	v_cmpx_gt_u32_e64 s5, v44
	s_cbranch_execz .LBB604_331
.LBB604_383:                            ;   in Loop: Header=BB604_326 Depth=2
	global_load_dword v19, v91, s[16:17] offset:1024
	s_or_b32 exec_lo, exec_lo, s18
	s_mov_b32 s18, exec_lo
	v_cmpx_gt_u32_e64 s5, v47
	s_cbranch_execz .LBB604_332
.LBB604_384:                            ;   in Loop: Header=BB604_326 Depth=2
	global_load_dword v18, v92, s[16:17]
	s_or_b32 exec_lo, exec_lo, s18
	s_mov_b32 s18, exec_lo
	v_cmpx_gt_u32_e64 s5, v48
	s_cbranch_execz .LBB604_333
.LBB604_385:                            ;   in Loop: Header=BB604_326 Depth=2
	global_load_dword v17, v93, s[16:17]
	s_or_b32 exec_lo, exec_lo, s18
	s_mov_b32 s18, exec_lo
	v_cmpx_gt_u32_e64 s5, v49
	s_cbranch_execz .LBB604_334
.LBB604_386:                            ;   in Loop: Header=BB604_326 Depth=2
	global_load_dword v16, v94, s[16:17]
	s_or_b32 exec_lo, exec_lo, s18
	s_mov_b32 s18, exec_lo
	v_cmpx_gt_u32_e64 s5, v50
	s_cbranch_execz .LBB604_335
.LBB604_387:                            ;   in Loop: Header=BB604_326 Depth=2
	global_load_dword v15, v95, s[16:17]
	s_or_b32 exec_lo, exec_lo, s18
	s_mov_b32 s18, exec_lo
	v_cmpx_gt_u32_e64 s5, v51
	s_cbranch_execz .LBB604_336
.LBB604_388:                            ;   in Loop: Header=BB604_326 Depth=2
	global_load_dword v14, v96, s[16:17]
	s_or_b32 exec_lo, exec_lo, s18
	s_mov_b32 s18, exec_lo
	v_cmpx_gt_u32_e64 s5, v52
	s_cbranch_execz .LBB604_337
.LBB604_389:                            ;   in Loop: Header=BB604_326 Depth=2
	global_load_dword v13, v97, s[16:17]
	s_or_b32 exec_lo, exec_lo, s18
	s_mov_b32 s18, exec_lo
	v_cmpx_gt_u32_e64 s5, v53
	s_cbranch_execz .LBB604_338
.LBB604_390:                            ;   in Loop: Header=BB604_326 Depth=2
	global_load_dword v12, v98, s[16:17]
	s_or_b32 exec_lo, exec_lo, s18
	s_mov_b32 s18, exec_lo
	v_cmpx_gt_u32_e64 s5, v54
	s_cbranch_execz .LBB604_339
.LBB604_391:                            ;   in Loop: Header=BB604_326 Depth=2
	global_load_dword v11, v99, s[16:17]
	s_or_b32 exec_lo, exec_lo, s18
	s_mov_b32 s18, exec_lo
	v_cmpx_gt_u32_e64 s5, v55
	s_cbranch_execz .LBB604_340
.LBB604_392:                            ;   in Loop: Header=BB604_326 Depth=2
	global_load_dword v10, v100, s[16:17]
	s_or_b32 exec_lo, exec_lo, s18
	s_mov_b32 s18, exec_lo
	v_cmpx_gt_u32_e64 s5, v56
	s_cbranch_execz .LBB604_341
.LBB604_393:                            ;   in Loop: Header=BB604_326 Depth=2
	global_load_dword v9, v101, s[16:17]
	s_or_b32 exec_lo, exec_lo, s18
	s_mov_b32 s18, exec_lo
	v_cmpx_gt_u32_e64 s5, v57
	s_cbranch_execz .LBB604_342
.LBB604_394:                            ;   in Loop: Header=BB604_326 Depth=2
	global_load_dword v8, v102, s[16:17]
	s_or_b32 exec_lo, exec_lo, s18
	s_mov_b32 s18, exec_lo
	v_cmpx_gt_u32_e64 s5, v58
	s_cbranch_execz .LBB604_343
.LBB604_395:                            ;   in Loop: Header=BB604_326 Depth=2
	global_load_dword v7, v103, s[16:17]
	s_or_b32 exec_lo, exec_lo, s18
	s_mov_b32 s18, exec_lo
	v_cmpx_gt_u32_e64 s5, v59
	s_cbranch_execz .LBB604_344
.LBB604_396:                            ;   in Loop: Header=BB604_326 Depth=2
	global_load_dword v6, v104, s[16:17]
	s_or_b32 exec_lo, exec_lo, s18
	s_mov_b32 s18, exec_lo
	v_cmpx_gt_u32_e64 s5, v60
	s_cbranch_execz .LBB604_345
.LBB604_397:                            ;   in Loop: Header=BB604_326 Depth=2
	global_load_dword v5, v105, s[16:17]
	s_or_b32 exec_lo, exec_lo, s18
	s_mov_b32 s18, exec_lo
	v_cmpx_gt_u32_e64 s5, v61
	s_cbranch_execnz .LBB604_346
	s_branch .LBB604_347
.LBB604_398:                            ;   in Loop: Header=BB604_12 Depth=1
	v_mov_b32_e32 v3, 0
	s_waitcnt lgkmcnt(0)
	s_barrier
	buffer_gl0_inv
	s_and_saveexec_b32 s5, s7
	s_cbranch_execz .LBB604_400
; %bb.399:                              ;   in Loop: Header=BB604_12 Depth=1
	ds_read2_b64 v[5:8], v64 offset1:1
	s_waitcnt lgkmcnt(0)
	v_add_nc_u32_e32 v3, v6, v5
	v_add3_u32 v3, v3, v7, v8
.LBB604_400:                            ;   in Loop: Header=BB604_12 Depth=1
	s_or_b32 exec_lo, exec_lo, s5
	v_mov_b32_dpp v5, v3 row_shr:1 row_mask:0xf bank_mask:0xf
	v_cmp_eq_u32_e64 s5, 0, v86
	v_cmp_lt_u32_e64 s15, 1, v86
	v_cmp_lt_u32_e64 s16, 3, v86
	;; [unrolled: 1-line block ×3, first 2 shown]
	v_cmp_eq_u32_e64 s18, 0, v88
	v_cndmask_b32_e64 v5, v5, 0, s5
	v_add_nc_u32_e32 v3, v5, v3
	v_mov_b32_dpp v5, v3 row_shr:2 row_mask:0xf bank_mask:0xf
	v_cndmask_b32_e64 v5, 0, v5, s15
	v_add_nc_u32_e32 v3, v3, v5
	v_mov_b32_dpp v5, v3 row_shr:4 row_mask:0xf bank_mask:0xf
	;; [unrolled: 3-line block ×3, first 2 shown]
	v_cndmask_b32_e64 v5, 0, v5, s17
	v_add_nc_u32_e32 v3, v3, v5
	ds_swizzle_b32 v5, v3 offset:swizzle(BROADCAST,32,15)
	s_waitcnt lgkmcnt(0)
	v_and_b32_e32 v5, v87, v5
	v_add_nc_u32_e32 v3, v3, v5
	s_and_saveexec_b32 s19, s8
; %bb.401:                              ;   in Loop: Header=BB604_12 Depth=1
	ds_write_b32 v65, v3
; %bb.402:                              ;   in Loop: Header=BB604_12 Depth=1
	s_or_b32 exec_lo, exec_lo, s19
	s_waitcnt lgkmcnt(0)
	s_barrier
	buffer_gl0_inv
	s_and_saveexec_b32 s19, s9
	s_cbranch_execz .LBB604_404
; %bb.403:                              ;   in Loop: Header=BB604_12 Depth=1
	ds_read_b32 v5, v66
	v_cmp_ne_u32_e32 vcc_lo, 0, v89
	s_waitcnt lgkmcnt(0)
	v_mov_b32_dpp v6, v5 row_shr:1 row_mask:0xf bank_mask:0xf
	v_cndmask_b32_e32 v6, 0, v6, vcc_lo
	v_cmp_lt_u32_e32 vcc_lo, 1, v89
	v_add_nc_u32_e32 v5, v6, v5
	v_mov_b32_dpp v6, v5 row_shr:2 row_mask:0xf bank_mask:0xf
	v_cndmask_b32_e32 v6, 0, v6, vcc_lo
	v_add_nc_u32_e32 v5, v5, v6
	ds_write_b32 v66, v5
.LBB604_404:                            ;   in Loop: Header=BB604_12 Depth=1
	s_or_b32 exec_lo, exec_lo, s19
	v_mov_b32_e32 v5, 0
	s_waitcnt lgkmcnt(0)
	s_barrier
	buffer_gl0_inv
	s_and_saveexec_b32 s19, s10
; %bb.405:                              ;   in Loop: Header=BB604_12 Depth=1
	ds_read_b32 v5, v67
; %bb.406:                              ;   in Loop: Header=BB604_12 Depth=1
	s_or_b32 exec_lo, exec_lo, s19
	v_cmp_gt_i32_e32 vcc_lo, 0, v90
	s_waitcnt lgkmcnt(0)
	v_add_nc_u32_e32 v3, v5, v3
	s_barrier
	buffer_gl0_inv
	v_cndmask_b32_e32 v6, v90, v82, vcc_lo
	v_lshlrev_b32_e32 v131, 2, v6
	ds_bpermute_b32 v3, v131, v3
	s_and_saveexec_b32 s19, s7
	s_cbranch_execz .LBB604_408
; %bb.407:                              ;   in Loop: Header=BB604_12 Depth=1
	s_waitcnt lgkmcnt(0)
	v_cndmask_b32_e64 v3, v3, v5, s14
	v_add_nc_u32_e32 v3, s58, v3
	ds_write_b32 v43, v3
.LBB604_408:                            ;   in Loop: Header=BB604_12 Depth=1
	s_or_b32 exec_lo, exec_lo, s19
	s_load_dwordx2 s[20:21], s[56:57], 0x0
	v_add_co_u32 v132, vcc_lo, v74, v106
	v_add_co_ci_u32_e64 v133, null, 0, v75, vcc_lo
	v_add_co_u32 v134, vcc_lo, v76, v125
	v_add_co_ci_u32_e64 v135, null, 0, v77, vcc_lo
	s_mov_b32 s63, s60
	s_mov_b32 s50, s58
                                        ; implicit-def: $vgpr7_vgpr8
                                        ; implicit-def: $vgpr9_vgpr10
                                        ; implicit-def: $vgpr11_vgpr12
                                        ; implicit-def: $vgpr13_vgpr14
                                        ; implicit-def: $vgpr15_vgpr16
                                        ; implicit-def: $vgpr19_vgpr20
                                        ; implicit-def: $vgpr23_vgpr24
                                        ; implicit-def: $vgpr27_vgpr28
                                        ; implicit-def: $vgpr17_vgpr18
                                        ; implicit-def: $vgpr21_vgpr22
                                        ; implicit-def: $vgpr25_vgpr26
                                        ; implicit-def: $vgpr29_vgpr30
                                        ; implicit-def: $vgpr31_vgpr32
                                        ; implicit-def: $vgpr33_vgpr34
                                        ; implicit-def: $vgpr35_vgpr36
                                        ; implicit-def: $vgpr37_vgpr38
                                        ; implicit-def: $vgpr137
                                        ; implicit-def: $vgpr138
                                        ; implicit-def: $vgpr139
                                        ; implicit-def: $vgpr140
                                        ; implicit-def: $vgpr141
                                        ; implicit-def: $vgpr142
                                        ; implicit-def: $vgpr143
                                        ; implicit-def: $vgpr144
                                        ; implicit-def: $vgpr145
                                        ; implicit-def: $vgpr146
                                        ; implicit-def: $vgpr147
                                        ; implicit-def: $vgpr148
                                        ; implicit-def: $vgpr149
                                        ; implicit-def: $vgpr150
                                        ; implicit-def: $vgpr151
                                        ; implicit-def: $vgpr153
                                        ; implicit-def: $vgpr154
                                        ; implicit-def: $vgpr152
                                        ; implicit-def: $vgpr155
	s_waitcnt lgkmcnt(0)
	s_cmp_lt_u32 s28, s21
	s_cselect_b32 s19, 14, 20
	s_add_u32 s22, s56, s19
	s_addc_u32 s23, s57, 0
	s_cmp_lt_u32 s6, s20
	global_load_ushort v3, v4, s[22:23]
	s_cselect_b32 s19, 12, 18
	s_add_u32 s20, s56, s19
	s_addc_u32 s21, s57, 0
	v_cmp_eq_u32_e64 s19, 0, v108
	global_load_ushort v5, v4, s[20:21]
	v_cmp_lt_u32_e64 s20, 1, v108
	v_cmp_lt_u32_e64 s21, 3, v108
	s_waitcnt vmcnt(1)
	v_mad_u32_u24 v3, v2, v3, v1
	s_waitcnt vmcnt(0)
	v_mad_u64_u32 v[5:6], null, v3, v5, v[0:1]
	v_lshrrev_b32_e32 v3, 3, v5
                                        ; implicit-def: $vgpr5_vgpr6
	v_and_b32_e32 v136, 0x1ffffffc, v3
	s_branch .LBB604_410
.LBB604_409:                            ;   in Loop: Header=BB604_410 Depth=2
	s_or_b32 exec_lo, exec_lo, s22
	s_addk_i32 s63, 0xef00
	s_cmp_lt_u32 s64, s59
	s_mov_b32 s50, s64
	s_cbranch_scc0 .LBB604_632
.LBB604_410:                            ;   Parent Loop BB604_12 Depth=1
                                        ; =>  This Inner Loop Header: Depth=2
	s_add_i32 s64, s50, 0x1100
	s_cmp_gt_u32 s64, s59
	s_cbranch_scc1 .LBB604_412
; %bb.411:                              ;   in Loop: Header=BB604_410 Depth=2
	s_lshl_b64 s[22:23], s[50:51], 2
	v_add_co_u32 v39, vcc_lo, v134, s22
	v_add_co_ci_u32_e64 v40, null, s23, v135, vcc_lo
	s_mov_b32 s22, -1
	s_clause 0xf
	global_load_dword v157, v[39:40], off
	global_load_dword v158, v[39:40], off offset:128
	global_load_dword v161, v[39:40], off offset:256
	;; [unrolled: 1-line block ×15, first 2 shown]
	s_movk_i32 s23, 0x1100
	s_cbranch_execz .LBB604_413
	s_branch .LBB604_446
.LBB604_412:                            ;   in Loop: Header=BB604_410 Depth=2
	s_mov_b32 s22, 0
                                        ; implicit-def: $vgpr157
                                        ; implicit-def: $vgpr158
                                        ; implicit-def: $vgpr161
                                        ; implicit-def: $vgpr165
                                        ; implicit-def: $vgpr170
                                        ; implicit-def: $vgpr175
                                        ; implicit-def: $vgpr180
                                        ; implicit-def: $vgpr185
                                        ; implicit-def: $vgpr190
                                        ; implicit-def: $vgpr188
                                        ; implicit-def: $vgpr183
                                        ; implicit-def: $vgpr178
                                        ; implicit-def: $vgpr174
                                        ; implicit-def: $vgpr169
                                        ; implicit-def: $vgpr42
                                        ; implicit-def: $vgpr41
	s_movk_i32 s23, 0x1100
.LBB604_413:                            ;   in Loop: Header=BB604_410 Depth=2
	s_lshl_b64 s[22:23], s[50:51], 2
	s_waitcnt vmcnt(14)
	v_bfrev_b32_e32 v158, -2
	v_add_co_u32 v39, vcc_lo, v134, s22
	v_add_co_ci_u32_e64 v40, null, s23, v135, vcc_lo
	v_bfrev_b32_e32 v157, -2
	s_mov_b32 s22, exec_lo
	v_cmpx_gt_u32_e64 s63, v109
	s_cbranch_execz .LBB604_415
; %bb.414:                              ;   in Loop: Header=BB604_410 Depth=2
	global_load_dword v157, v[39:40], off
.LBB604_415:                            ;   in Loop: Header=BB604_410 Depth=2
	s_or_b32 exec_lo, exec_lo, s22
	s_mov_b32 s22, exec_lo
	v_cmpx_gt_u32_e64 s63, v112
	s_cbranch_execz .LBB604_417
; %bb.416:                              ;   in Loop: Header=BB604_410 Depth=2
	global_load_dword v158, v[39:40], off offset:128
.LBB604_417:                            ;   in Loop: Header=BB604_410 Depth=2
	s_or_b32 exec_lo, exec_lo, s22
	s_waitcnt vmcnt(12)
	v_bfrev_b32_e32 v165, -2
	v_bfrev_b32_e32 v161, -2
	s_mov_b32 s22, exec_lo
	v_cmpx_gt_u32_e64 s63, v113
	s_cbranch_execz .LBB604_419
; %bb.418:                              ;   in Loop: Header=BB604_410 Depth=2
	global_load_dword v161, v[39:40], off offset:256
.LBB604_419:                            ;   in Loop: Header=BB604_410 Depth=2
	s_or_b32 exec_lo, exec_lo, s22
	s_mov_b32 s22, exec_lo
	v_cmpx_gt_u32_e64 s63, v114
	s_cbranch_execz .LBB604_421
; %bb.420:                              ;   in Loop: Header=BB604_410 Depth=2
	global_load_dword v165, v[39:40], off offset:384
.LBB604_421:                            ;   in Loop: Header=BB604_410 Depth=2
	s_or_b32 exec_lo, exec_lo, s22
	s_waitcnt vmcnt(10)
	v_bfrev_b32_e32 v175, -2
	v_bfrev_b32_e32 v170, -2
	s_mov_b32 s22, exec_lo
	v_cmpx_gt_u32_e64 s63, v115
	s_cbranch_execz .LBB604_423
; %bb.422:                              ;   in Loop: Header=BB604_410 Depth=2
	global_load_dword v170, v[39:40], off offset:512
.LBB604_423:                            ;   in Loop: Header=BB604_410 Depth=2
	;; [unrolled: 17-line block ×7, first 2 shown]
	s_or_b32 exec_lo, exec_lo, s22
	s_mov_b32 s22, exec_lo
	v_cmpx_gt_u32_e64 s63, v127
	s_cbranch_execz .LBB604_445
; %bb.444:                              ;   in Loop: Header=BB604_410 Depth=2
	global_load_dword v41, v[39:40], off offset:1920
.LBB604_445:                            ;   in Loop: Header=BB604_410 Depth=2
	s_or_b32 exec_lo, exec_lo, s22
	v_cmp_gt_u32_e64 s22, s63, v128
	s_sub_i32 s23, s59, s50
.LBB604_446:                            ;   in Loop: Header=BB604_410 Depth=2
	v_mov_b32_e32 v3, -1
	v_mov_b32_e32 v156, s63
	s_and_saveexec_b32 s24, s22
	s_cbranch_execz .LBB604_448
; %bb.447:                              ;   in Loop: Header=BB604_410 Depth=2
	s_lshl_b64 s[26:27], s[50:51], 2
	v_mov_b32_e32 v156, s23
	v_add_co_u32 v3, vcc_lo, v134, s26
	v_add_co_ci_u32_e64 v40, null, s27, v135, vcc_lo
	v_add_co_u32 v39, vcc_lo, 0x800, v3
	v_add_co_ci_u32_e64 v40, null, 0, v40, vcc_lo
	global_load_dword v3, v[39:40], off
	s_waitcnt vmcnt(0)
	v_xor_b32_e32 v3, 0x80000000, v3
.LBB604_448:                            ;   in Loop: Header=BB604_410 Depth=2
	s_or_b32 exec_lo, exec_lo, s24
	s_waitcnt vmcnt(15)
	v_xor_b32_e32 v157, 0x80000000, v157
	ds_write2_b32 v68, v4, v4 offset0:136 offset1:137
	ds_write2_b32 v68, v4, v4 offset0:138 offset1:139
	ds_write_b32 v68, v4 offset:560
	s_waitcnt vmcnt(0) lgkmcnt(0)
	s_barrier
	v_lshrrev_b32_e32 v39, s61, v157
	buffer_gl0_inv
	; wave barrier
	v_and_b32_e32 v40, s62, v39
	v_and_b32_e32 v39, 1, v40
	v_lshlrev_b32_e32 v159, 30, v40
	v_lshlrev_b32_e32 v160, 29, v40
	;; [unrolled: 1-line block ×4, first 2 shown]
	v_add_co_u32 v39, s22, v39, -1
	v_cndmask_b32_e64 v162, 0, 1, s22
	v_not_b32_e32 v167, v159
	v_cmp_gt_i32_e64 s22, 0, v159
	v_not_b32_e32 v159, v160
	v_lshlrev_b32_e32 v166, 26, v40
	v_cmp_ne_u32_e32 vcc_lo, 0, v162
	v_ashrrev_i32_e32 v167, 31, v167
	v_lshlrev_b32_e32 v162, 25, v40
	v_ashrrev_i32_e32 v159, 31, v159
	v_mul_u32_u24_e32 v40, 36, v40
	v_xor_b32_e32 v39, vcc_lo, v39
	v_cmp_gt_i32_e32 vcc_lo, 0, v160
	v_not_b32_e32 v160, v163
	v_xor_b32_e32 v167, s22, v167
	v_cmp_gt_i32_e64 s22, 0, v163
	v_and_b32_e32 v39, exec_lo, v39
	v_not_b32_e32 v163, v164
	v_ashrrev_i32_e32 v160, 31, v160
	v_xor_b32_e32 v159, vcc_lo, v159
	v_cmp_gt_i32_e32 vcc_lo, 0, v164
	v_and_b32_e32 v39, v39, v167
	v_not_b32_e32 v164, v166
	v_ashrrev_i32_e32 v163, 31, v163
	v_xor_b32_e32 v160, s22, v160
	v_cmp_gt_i32_e64 s22, 0, v166
	v_and_b32_e32 v39, v39, v159
	v_not_b32_e32 v159, v162
	v_ashrrev_i32_e32 v164, 31, v164
	v_xor_b32_e32 v163, vcc_lo, v163
	v_cmp_gt_i32_e32 vcc_lo, 0, v162
	v_and_b32_e32 v39, v39, v160
	v_ashrrev_i32_e32 v159, 31, v159
	v_xor_b32_e32 v160, s22, v164
	v_and_b32_e32 v39, v39, v163
	v_xor_b32_e32 v159, vcc_lo, v159
	v_and_b32_e32 v39, v39, v160
	v_add_nc_u32_e32 v160, v136, v40
	v_and_b32_e32 v39, v39, v159
	v_mbcnt_lo_u32_b32 v159, v39, 0
	v_cmp_ne_u32_e64 s22, 0, v39
	v_cmp_eq_u32_e32 vcc_lo, 0, v159
	s_and_b32 s23, s22, vcc_lo
	s_and_saveexec_b32 s22, s23
; %bb.449:                              ;   in Loop: Header=BB604_410 Depth=2
	v_bcnt_u32_b32 v39, v39, 0
	ds_write_b32 v160, v39 offset:544
; %bb.450:                              ;   in Loop: Header=BB604_410 Depth=2
	s_or_b32 exec_lo, exec_lo, s22
	v_xor_b32_e32 v158, 0x80000000, v158
	; wave barrier
	v_lshrrev_b32_e32 v39, s61, v158
	v_and_b32_e32 v40, s62, v39
	v_and_b32_e32 v39, 1, v40
	v_lshlrev_b32_e32 v162, 30, v40
	v_lshlrev_b32_e32 v163, 29, v40
	v_lshlrev_b32_e32 v166, 28, v40
	v_lshlrev_b32_e32 v167, 27, v40
	v_add_co_u32 v39, s22, v39, -1
	v_cndmask_b32_e64 v164, 0, 1, s22
	v_not_b32_e32 v171, v162
	v_cmp_gt_i32_e64 s22, 0, v162
	v_not_b32_e32 v162, v163
	v_lshlrev_b32_e32 v168, 26, v40
	v_cmp_ne_u32_e32 vcc_lo, 0, v164
	v_ashrrev_i32_e32 v171, 31, v171
	v_lshlrev_b32_e32 v164, 25, v40
	v_ashrrev_i32_e32 v162, 31, v162
	v_xor_b32_e32 v39, vcc_lo, v39
	v_cmp_gt_i32_e32 vcc_lo, 0, v163
	v_not_b32_e32 v163, v166
	v_xor_b32_e32 v171, s22, v171
	v_cmp_gt_i32_e64 s22, 0, v166
	v_and_b32_e32 v39, exec_lo, v39
	v_not_b32_e32 v166, v167
	v_ashrrev_i32_e32 v163, 31, v163
	v_xor_b32_e32 v162, vcc_lo, v162
	v_cmp_gt_i32_e32 vcc_lo, 0, v167
	v_and_b32_e32 v39, v39, v171
	v_not_b32_e32 v167, v168
	v_ashrrev_i32_e32 v166, 31, v166
	v_xor_b32_e32 v163, s22, v163
	v_cmp_gt_i32_e64 s22, 0, v168
	v_and_b32_e32 v39, v39, v162
	v_not_b32_e32 v162, v164
	v_ashrrev_i32_e32 v167, 31, v167
	v_xor_b32_e32 v166, vcc_lo, v166
	v_cmp_gt_i32_e32 vcc_lo, 0, v164
	v_and_b32_e32 v39, v39, v163
	v_ashrrev_i32_e32 v162, 31, v162
	v_xor_b32_e32 v163, s22, v167
	v_mad_u32_u24 v164, v40, 36, v136
	v_mul_u32_u24_e32 v40, 36, v40
	v_and_b32_e32 v39, v39, v166
	v_xor_b32_e32 v166, vcc_lo, v162
	ds_read_b32 v162, v164 offset:544
	v_add_nc_u32_e32 v164, v136, v40
	v_and_b32_e32 v39, v39, v163
	; wave barrier
	v_and_b32_e32 v39, v39, v166
	v_mbcnt_lo_u32_b32 v163, v39, 0
	v_cmp_ne_u32_e64 s22, 0, v39
	v_cmp_eq_u32_e32 vcc_lo, 0, v163
	s_and_b32 s23, s22, vcc_lo
	s_and_saveexec_b32 s22, s23
	s_cbranch_execz .LBB604_452
; %bb.451:                              ;   in Loop: Header=BB604_410 Depth=2
	s_waitcnt lgkmcnt(0)
	v_bcnt_u32_b32 v39, v39, v162
	ds_write_b32 v164, v39 offset:544
.LBB604_452:                            ;   in Loop: Header=BB604_410 Depth=2
	s_or_b32 exec_lo, exec_lo, s22
	v_xor_b32_e32 v161, 0x80000000, v161
	; wave barrier
	v_lshrrev_b32_e32 v39, s61, v161
	v_and_b32_e32 v40, s62, v39
	v_and_b32_e32 v39, 1, v40
	v_lshlrev_b32_e32 v166, 30, v40
	v_lshlrev_b32_e32 v167, 29, v40
	v_lshlrev_b32_e32 v171, 28, v40
	v_lshlrev_b32_e32 v172, 27, v40
	v_add_co_u32 v39, s22, v39, -1
	v_cndmask_b32_e64 v168, 0, 1, s22
	v_not_b32_e32 v176, v166
	v_cmp_gt_i32_e64 s22, 0, v166
	v_not_b32_e32 v166, v167
	v_lshlrev_b32_e32 v173, 26, v40
	v_cmp_ne_u32_e32 vcc_lo, 0, v168
	v_ashrrev_i32_e32 v176, 31, v176
	v_lshlrev_b32_e32 v168, 25, v40
	v_ashrrev_i32_e32 v166, 31, v166
	v_xor_b32_e32 v39, vcc_lo, v39
	v_cmp_gt_i32_e32 vcc_lo, 0, v167
	v_not_b32_e32 v167, v171
	v_xor_b32_e32 v176, s22, v176
	v_cmp_gt_i32_e64 s22, 0, v171
	v_and_b32_e32 v39, exec_lo, v39
	v_not_b32_e32 v171, v172
	v_ashrrev_i32_e32 v167, 31, v167
	v_xor_b32_e32 v166, vcc_lo, v166
	v_cmp_gt_i32_e32 vcc_lo, 0, v172
	v_and_b32_e32 v39, v39, v176
	v_not_b32_e32 v172, v173
	v_ashrrev_i32_e32 v171, 31, v171
	v_xor_b32_e32 v167, s22, v167
	v_cmp_gt_i32_e64 s22, 0, v173
	v_and_b32_e32 v39, v39, v166
	v_not_b32_e32 v166, v168
	v_ashrrev_i32_e32 v172, 31, v172
	v_xor_b32_e32 v171, vcc_lo, v171
	v_cmp_gt_i32_e32 vcc_lo, 0, v168
	v_and_b32_e32 v39, v39, v167
	v_ashrrev_i32_e32 v166, 31, v166
	v_xor_b32_e32 v167, s22, v172
	v_mad_u32_u24 v168, v40, 36, v136
	v_mul_u32_u24_e32 v40, 36, v40
	v_and_b32_e32 v39, v39, v171
	v_xor_b32_e32 v171, vcc_lo, v166
	ds_read_b32 v166, v168 offset:544
	v_add_nc_u32_e32 v168, v136, v40
	v_and_b32_e32 v39, v39, v167
	; wave barrier
	v_and_b32_e32 v39, v39, v171
	v_mbcnt_lo_u32_b32 v167, v39, 0
	v_cmp_ne_u32_e64 s22, 0, v39
	v_cmp_eq_u32_e32 vcc_lo, 0, v167
	s_and_b32 s23, s22, vcc_lo
	s_and_saveexec_b32 s22, s23
	s_cbranch_execz .LBB604_454
; %bb.453:                              ;   in Loop: Header=BB604_410 Depth=2
	s_waitcnt lgkmcnt(0)
	v_bcnt_u32_b32 v39, v39, v166
	ds_write_b32 v168, v39 offset:544
.LBB604_454:                            ;   in Loop: Header=BB604_410 Depth=2
	s_or_b32 exec_lo, exec_lo, s22
	v_xor_b32_e32 v165, 0x80000000, v165
	; wave barrier
	v_lshrrev_b32_e32 v39, s61, v165
	v_and_b32_e32 v40, s62, v39
	v_and_b32_e32 v39, 1, v40
	v_lshlrev_b32_e32 v171, 30, v40
	v_lshlrev_b32_e32 v172, 29, v40
	v_lshlrev_b32_e32 v176, 28, v40
	v_lshlrev_b32_e32 v177, 27, v40
	v_add_co_u32 v39, s22, v39, -1
	v_cndmask_b32_e64 v173, 0, 1, s22
	v_not_b32_e32 v181, v171
	v_cmp_gt_i32_e64 s22, 0, v171
	v_not_b32_e32 v171, v172
	v_lshlrev_b32_e32 v179, 26, v40
	v_cmp_ne_u32_e32 vcc_lo, 0, v173
	v_ashrrev_i32_e32 v181, 31, v181
	v_lshlrev_b32_e32 v173, 25, v40
	v_ashrrev_i32_e32 v171, 31, v171
	v_xor_b32_e32 v39, vcc_lo, v39
	v_cmp_gt_i32_e32 vcc_lo, 0, v172
	v_not_b32_e32 v172, v176
	v_xor_b32_e32 v181, s22, v181
	v_cmp_gt_i32_e64 s22, 0, v176
	v_and_b32_e32 v39, exec_lo, v39
	v_not_b32_e32 v176, v177
	v_ashrrev_i32_e32 v172, 31, v172
	v_xor_b32_e32 v171, vcc_lo, v171
	v_cmp_gt_i32_e32 vcc_lo, 0, v177
	v_and_b32_e32 v39, v39, v181
	v_not_b32_e32 v177, v179
	v_ashrrev_i32_e32 v176, 31, v176
	v_xor_b32_e32 v172, s22, v172
	v_cmp_gt_i32_e64 s22, 0, v179
	v_and_b32_e32 v39, v39, v171
	v_not_b32_e32 v171, v173
	v_ashrrev_i32_e32 v177, 31, v177
	v_xor_b32_e32 v176, vcc_lo, v176
	v_cmp_gt_i32_e32 vcc_lo, 0, v173
	v_and_b32_e32 v39, v39, v172
	v_ashrrev_i32_e32 v171, 31, v171
	v_xor_b32_e32 v172, s22, v177
	v_mad_u32_u24 v173, v40, 36, v136
	v_mul_u32_u24_e32 v40, 36, v40
	v_and_b32_e32 v39, v39, v176
	v_xor_b32_e32 v176, vcc_lo, v171
	ds_read_b32 v171, v173 offset:544
	v_add_nc_u32_e32 v173, v136, v40
	v_and_b32_e32 v39, v39, v172
	; wave barrier
	v_and_b32_e32 v39, v39, v176
	v_mbcnt_lo_u32_b32 v172, v39, 0
	v_cmp_ne_u32_e64 s22, 0, v39
	v_cmp_eq_u32_e32 vcc_lo, 0, v172
	s_and_b32 s23, s22, vcc_lo
	s_and_saveexec_b32 s22, s23
	s_cbranch_execz .LBB604_456
; %bb.455:                              ;   in Loop: Header=BB604_410 Depth=2
	s_waitcnt lgkmcnt(0)
	v_bcnt_u32_b32 v39, v39, v171
	ds_write_b32 v173, v39 offset:544
.LBB604_456:                            ;   in Loop: Header=BB604_410 Depth=2
	s_or_b32 exec_lo, exec_lo, s22
	v_xor_b32_e32 v170, 0x80000000, v170
	; wave barrier
	v_lshrrev_b32_e32 v39, s61, v170
	v_and_b32_e32 v40, s62, v39
	v_and_b32_e32 v39, 1, v40
	v_lshlrev_b32_e32 v176, 30, v40
	v_lshlrev_b32_e32 v177, 29, v40
	v_lshlrev_b32_e32 v181, 28, v40
	v_lshlrev_b32_e32 v182, 27, v40
	v_add_co_u32 v39, s22, v39, -1
	v_cndmask_b32_e64 v179, 0, 1, s22
	v_not_b32_e32 v186, v176
	v_cmp_gt_i32_e64 s22, 0, v176
	v_not_b32_e32 v176, v177
	v_lshlrev_b32_e32 v184, 26, v40
	v_cmp_ne_u32_e32 vcc_lo, 0, v179
	v_ashrrev_i32_e32 v186, 31, v186
	v_lshlrev_b32_e32 v179, 25, v40
	v_ashrrev_i32_e32 v176, 31, v176
	v_xor_b32_e32 v39, vcc_lo, v39
	v_cmp_gt_i32_e32 vcc_lo, 0, v177
	v_not_b32_e32 v177, v181
	v_xor_b32_e32 v186, s22, v186
	v_cmp_gt_i32_e64 s22, 0, v181
	v_and_b32_e32 v39, exec_lo, v39
	v_not_b32_e32 v181, v182
	v_ashrrev_i32_e32 v177, 31, v177
	v_xor_b32_e32 v176, vcc_lo, v176
	v_cmp_gt_i32_e32 vcc_lo, 0, v182
	v_and_b32_e32 v39, v39, v186
	v_not_b32_e32 v182, v184
	v_ashrrev_i32_e32 v181, 31, v181
	v_xor_b32_e32 v177, s22, v177
	v_cmp_gt_i32_e64 s22, 0, v184
	v_and_b32_e32 v39, v39, v176
	v_not_b32_e32 v176, v179
	v_ashrrev_i32_e32 v182, 31, v182
	v_xor_b32_e32 v181, vcc_lo, v181
	v_cmp_gt_i32_e32 vcc_lo, 0, v179
	v_and_b32_e32 v39, v39, v177
	v_ashrrev_i32_e32 v176, 31, v176
	v_xor_b32_e32 v177, s22, v182
	v_mad_u32_u24 v179, v40, 36, v136
	v_mul_u32_u24_e32 v40, 36, v40
	v_and_b32_e32 v39, v39, v181
	v_xor_b32_e32 v181, vcc_lo, v176
	ds_read_b32 v176, v179 offset:544
	v_add_nc_u32_e32 v179, v136, v40
	v_and_b32_e32 v39, v39, v177
	; wave barrier
	v_and_b32_e32 v39, v39, v181
	v_mbcnt_lo_u32_b32 v177, v39, 0
	v_cmp_ne_u32_e64 s22, 0, v39
	v_cmp_eq_u32_e32 vcc_lo, 0, v177
	s_and_b32 s23, s22, vcc_lo
	s_and_saveexec_b32 s22, s23
	s_cbranch_execz .LBB604_458
; %bb.457:                              ;   in Loop: Header=BB604_410 Depth=2
	s_waitcnt lgkmcnt(0)
	v_bcnt_u32_b32 v39, v39, v176
	ds_write_b32 v179, v39 offset:544
.LBB604_458:                            ;   in Loop: Header=BB604_410 Depth=2
	s_or_b32 exec_lo, exec_lo, s22
	v_xor_b32_e32 v175, 0x80000000, v175
	; wave barrier
	v_lshrrev_b32_e32 v39, s61, v175
	v_and_b32_e32 v40, s62, v39
	v_and_b32_e32 v39, 1, v40
	v_lshlrev_b32_e32 v181, 30, v40
	v_lshlrev_b32_e32 v182, 29, v40
	v_lshlrev_b32_e32 v186, 28, v40
	v_lshlrev_b32_e32 v187, 27, v40
	v_add_co_u32 v39, s22, v39, -1
	v_cndmask_b32_e64 v184, 0, 1, s22
	v_not_b32_e32 v191, v181
	v_cmp_gt_i32_e64 s22, 0, v181
	v_not_b32_e32 v181, v182
	v_lshlrev_b32_e32 v189, 26, v40
	v_cmp_ne_u32_e32 vcc_lo, 0, v184
	v_ashrrev_i32_e32 v191, 31, v191
	v_lshlrev_b32_e32 v184, 25, v40
	v_ashrrev_i32_e32 v181, 31, v181
	v_xor_b32_e32 v39, vcc_lo, v39
	v_cmp_gt_i32_e32 vcc_lo, 0, v182
	v_not_b32_e32 v182, v186
	v_xor_b32_e32 v191, s22, v191
	v_cmp_gt_i32_e64 s22, 0, v186
	v_and_b32_e32 v39, exec_lo, v39
	v_not_b32_e32 v186, v187
	v_ashrrev_i32_e32 v182, 31, v182
	v_xor_b32_e32 v181, vcc_lo, v181
	v_cmp_gt_i32_e32 vcc_lo, 0, v187
	v_and_b32_e32 v39, v39, v191
	v_not_b32_e32 v187, v189
	v_ashrrev_i32_e32 v186, 31, v186
	v_xor_b32_e32 v182, s22, v182
	v_cmp_gt_i32_e64 s22, 0, v189
	v_and_b32_e32 v39, v39, v181
	v_not_b32_e32 v181, v184
	v_ashrrev_i32_e32 v187, 31, v187
	v_xor_b32_e32 v186, vcc_lo, v186
	v_cmp_gt_i32_e32 vcc_lo, 0, v184
	v_and_b32_e32 v39, v39, v182
	v_ashrrev_i32_e32 v181, 31, v181
	v_xor_b32_e32 v182, s22, v187
	v_mad_u32_u24 v184, v40, 36, v136
	v_mul_u32_u24_e32 v40, 36, v40
	v_and_b32_e32 v39, v39, v186
	v_xor_b32_e32 v186, vcc_lo, v181
	ds_read_b32 v181, v184 offset:544
	v_add_nc_u32_e32 v184, v136, v40
	v_and_b32_e32 v39, v39, v182
	; wave barrier
	v_and_b32_e32 v39, v39, v186
	v_mbcnt_lo_u32_b32 v182, v39, 0
	v_cmp_ne_u32_e64 s22, 0, v39
	v_cmp_eq_u32_e32 vcc_lo, 0, v182
	s_and_b32 s23, s22, vcc_lo
	s_and_saveexec_b32 s22, s23
	s_cbranch_execz .LBB604_460
; %bb.459:                              ;   in Loop: Header=BB604_410 Depth=2
	s_waitcnt lgkmcnt(0)
	v_bcnt_u32_b32 v39, v39, v181
	ds_write_b32 v184, v39 offset:544
.LBB604_460:                            ;   in Loop: Header=BB604_410 Depth=2
	s_or_b32 exec_lo, exec_lo, s22
	v_xor_b32_e32 v180, 0x80000000, v180
	; wave barrier
	v_lshrrev_b32_e32 v39, s61, v180
	v_and_b32_e32 v40, s62, v39
	v_and_b32_e32 v39, 1, v40
	v_lshlrev_b32_e32 v186, 30, v40
	v_lshlrev_b32_e32 v187, 29, v40
	v_lshlrev_b32_e32 v191, 28, v40
	v_lshlrev_b32_e32 v192, 27, v40
	v_add_co_u32 v39, s22, v39, -1
	v_cndmask_b32_e64 v189, 0, 1, s22
	v_not_b32_e32 v194, v186
	v_cmp_gt_i32_e64 s22, 0, v186
	v_not_b32_e32 v186, v187
	v_lshlrev_b32_e32 v193, 26, v40
	v_cmp_ne_u32_e32 vcc_lo, 0, v189
	v_ashrrev_i32_e32 v194, 31, v194
	v_lshlrev_b32_e32 v189, 25, v40
	v_ashrrev_i32_e32 v186, 31, v186
	v_xor_b32_e32 v39, vcc_lo, v39
	v_cmp_gt_i32_e32 vcc_lo, 0, v187
	v_not_b32_e32 v187, v191
	v_xor_b32_e32 v194, s22, v194
	v_cmp_gt_i32_e64 s22, 0, v191
	v_and_b32_e32 v39, exec_lo, v39
	v_not_b32_e32 v191, v192
	v_ashrrev_i32_e32 v187, 31, v187
	v_xor_b32_e32 v186, vcc_lo, v186
	v_cmp_gt_i32_e32 vcc_lo, 0, v192
	v_and_b32_e32 v39, v39, v194
	v_not_b32_e32 v192, v193
	v_ashrrev_i32_e32 v191, 31, v191
	v_xor_b32_e32 v187, s22, v187
	v_cmp_gt_i32_e64 s22, 0, v193
	v_and_b32_e32 v39, v39, v186
	v_not_b32_e32 v186, v189
	v_ashrrev_i32_e32 v192, 31, v192
	v_xor_b32_e32 v191, vcc_lo, v191
	v_cmp_gt_i32_e32 vcc_lo, 0, v189
	v_and_b32_e32 v39, v39, v187
	v_ashrrev_i32_e32 v186, 31, v186
	v_xor_b32_e32 v187, s22, v192
	v_mad_u32_u24 v189, v40, 36, v136
	v_mul_u32_u24_e32 v40, 36, v40
	v_and_b32_e32 v39, v39, v191
	v_xor_b32_e32 v191, vcc_lo, v186
	ds_read_b32 v186, v189 offset:544
	v_add_nc_u32_e32 v189, v136, v40
	v_and_b32_e32 v39, v39, v187
	; wave barrier
	v_and_b32_e32 v39, v39, v191
	v_mbcnt_lo_u32_b32 v187, v39, 0
	v_cmp_ne_u32_e64 s22, 0, v39
	v_cmp_eq_u32_e32 vcc_lo, 0, v187
	s_and_b32 s23, s22, vcc_lo
	s_and_saveexec_b32 s22, s23
	s_cbranch_execz .LBB604_462
; %bb.461:                              ;   in Loop: Header=BB604_410 Depth=2
	s_waitcnt lgkmcnt(0)
	v_bcnt_u32_b32 v39, v39, v186
	ds_write_b32 v189, v39 offset:544
.LBB604_462:                            ;   in Loop: Header=BB604_410 Depth=2
	s_or_b32 exec_lo, exec_lo, s22
	v_xor_b32_e32 v185, 0x80000000, v185
	; wave barrier
	v_lshrrev_b32_e32 v39, s61, v185
	v_and_b32_e32 v40, s62, v39
	v_and_b32_e32 v39, 1, v40
	v_lshlrev_b32_e32 v191, 30, v40
	v_lshlrev_b32_e32 v192, 29, v40
	v_lshlrev_b32_e32 v194, 28, v40
	v_lshlrev_b32_e32 v195, 27, v40
	v_add_co_u32 v39, s22, v39, -1
	v_cndmask_b32_e64 v193, 0, 1, s22
	v_not_b32_e32 v197, v191
	v_cmp_gt_i32_e64 s22, 0, v191
	v_not_b32_e32 v191, v192
	v_lshlrev_b32_e32 v196, 26, v40
	v_cmp_ne_u32_e32 vcc_lo, 0, v193
	v_ashrrev_i32_e32 v197, 31, v197
	v_lshlrev_b32_e32 v193, 25, v40
	v_ashrrev_i32_e32 v191, 31, v191
	v_xor_b32_e32 v39, vcc_lo, v39
	v_cmp_gt_i32_e32 vcc_lo, 0, v192
	v_not_b32_e32 v192, v194
	v_xor_b32_e32 v197, s22, v197
	v_cmp_gt_i32_e64 s22, 0, v194
	v_and_b32_e32 v39, exec_lo, v39
	v_not_b32_e32 v194, v195
	v_ashrrev_i32_e32 v192, 31, v192
	v_xor_b32_e32 v191, vcc_lo, v191
	v_cmp_gt_i32_e32 vcc_lo, 0, v195
	v_and_b32_e32 v39, v39, v197
	v_not_b32_e32 v195, v196
	v_ashrrev_i32_e32 v194, 31, v194
	v_xor_b32_e32 v192, s22, v192
	v_cmp_gt_i32_e64 s22, 0, v196
	v_and_b32_e32 v39, v39, v191
	v_not_b32_e32 v191, v193
	v_ashrrev_i32_e32 v195, 31, v195
	v_xor_b32_e32 v194, vcc_lo, v194
	v_cmp_gt_i32_e32 vcc_lo, 0, v193
	v_and_b32_e32 v39, v39, v192
	v_ashrrev_i32_e32 v191, 31, v191
	v_xor_b32_e32 v192, s22, v195
	v_mad_u32_u24 v193, v40, 36, v136
	v_mul_u32_u24_e32 v40, 36, v40
	v_and_b32_e32 v39, v39, v194
	v_xor_b32_e32 v194, vcc_lo, v191
	ds_read_b32 v191, v193 offset:544
	v_add_nc_u32_e32 v193, v136, v40
	v_and_b32_e32 v39, v39, v192
	; wave barrier
	v_and_b32_e32 v39, v39, v194
	v_mbcnt_lo_u32_b32 v192, v39, 0
	v_cmp_ne_u32_e64 s22, 0, v39
	v_cmp_eq_u32_e32 vcc_lo, 0, v192
	s_and_b32 s23, s22, vcc_lo
	s_and_saveexec_b32 s22, s23
	s_cbranch_execz .LBB604_464
; %bb.463:                              ;   in Loop: Header=BB604_410 Depth=2
	s_waitcnt lgkmcnt(0)
	v_bcnt_u32_b32 v39, v39, v191
	ds_write_b32 v193, v39 offset:544
.LBB604_464:                            ;   in Loop: Header=BB604_410 Depth=2
	s_or_b32 exec_lo, exec_lo, s22
	v_xor_b32_e32 v190, 0x80000000, v190
	; wave barrier
	v_lshrrev_b32_e32 v39, s61, v190
	v_and_b32_e32 v40, s62, v39
	v_and_b32_e32 v39, 1, v40
	v_lshlrev_b32_e32 v194, 30, v40
	v_lshlrev_b32_e32 v195, 29, v40
	v_lshlrev_b32_e32 v197, 28, v40
	v_lshlrev_b32_e32 v198, 27, v40
	v_add_co_u32 v39, s22, v39, -1
	v_cndmask_b32_e64 v196, 0, 1, s22
	v_not_b32_e32 v200, v194
	v_cmp_gt_i32_e64 s22, 0, v194
	v_not_b32_e32 v194, v195
	v_lshlrev_b32_e32 v199, 26, v40
	v_cmp_ne_u32_e32 vcc_lo, 0, v196
	v_ashrrev_i32_e32 v200, 31, v200
	v_lshlrev_b32_e32 v196, 25, v40
	v_ashrrev_i32_e32 v194, 31, v194
	v_xor_b32_e32 v39, vcc_lo, v39
	v_cmp_gt_i32_e32 vcc_lo, 0, v195
	v_not_b32_e32 v195, v197
	v_xor_b32_e32 v200, s22, v200
	v_cmp_gt_i32_e64 s22, 0, v197
	v_and_b32_e32 v39, exec_lo, v39
	v_not_b32_e32 v197, v198
	v_ashrrev_i32_e32 v195, 31, v195
	v_xor_b32_e32 v194, vcc_lo, v194
	v_cmp_gt_i32_e32 vcc_lo, 0, v198
	v_and_b32_e32 v39, v39, v200
	v_not_b32_e32 v198, v199
	v_ashrrev_i32_e32 v197, 31, v197
	v_xor_b32_e32 v195, s22, v195
	v_cmp_gt_i32_e64 s22, 0, v199
	v_and_b32_e32 v39, v39, v194
	v_not_b32_e32 v194, v196
	v_ashrrev_i32_e32 v198, 31, v198
	v_xor_b32_e32 v197, vcc_lo, v197
	v_cmp_gt_i32_e32 vcc_lo, 0, v196
	v_and_b32_e32 v39, v39, v195
	v_ashrrev_i32_e32 v194, 31, v194
	v_xor_b32_e32 v195, s22, v198
	v_mad_u32_u24 v196, v40, 36, v136
	v_mul_u32_u24_e32 v40, 36, v40
	v_and_b32_e32 v39, v39, v197
	v_xor_b32_e32 v197, vcc_lo, v194
	ds_read_b32 v194, v196 offset:544
	v_add_nc_u32_e32 v196, v136, v40
	v_and_b32_e32 v39, v39, v195
	; wave barrier
	v_and_b32_e32 v39, v39, v197
	v_mbcnt_lo_u32_b32 v195, v39, 0
	v_cmp_ne_u32_e64 s22, 0, v39
	v_cmp_eq_u32_e32 vcc_lo, 0, v195
	s_and_b32 s23, s22, vcc_lo
	s_and_saveexec_b32 s22, s23
	s_cbranch_execz .LBB604_466
; %bb.465:                              ;   in Loop: Header=BB604_410 Depth=2
	s_waitcnt lgkmcnt(0)
	v_bcnt_u32_b32 v39, v39, v194
	ds_write_b32 v196, v39 offset:544
.LBB604_466:                            ;   in Loop: Header=BB604_410 Depth=2
	s_or_b32 exec_lo, exec_lo, s22
	v_xor_b32_e32 v188, 0x80000000, v188
	; wave barrier
	v_lshrrev_b32_e32 v39, s61, v188
	v_and_b32_e32 v40, s62, v39
	v_and_b32_e32 v39, 1, v40
	v_lshlrev_b32_e32 v197, 30, v40
	v_lshlrev_b32_e32 v198, 29, v40
	v_lshlrev_b32_e32 v200, 28, v40
	v_lshlrev_b32_e32 v201, 27, v40
	v_add_co_u32 v39, s22, v39, -1
	v_cndmask_b32_e64 v199, 0, 1, s22
	v_not_b32_e32 v203, v197
	v_cmp_gt_i32_e64 s22, 0, v197
	v_not_b32_e32 v197, v198
	v_lshlrev_b32_e32 v202, 26, v40
	v_cmp_ne_u32_e32 vcc_lo, 0, v199
	v_ashrrev_i32_e32 v203, 31, v203
	v_lshlrev_b32_e32 v199, 25, v40
	v_ashrrev_i32_e32 v197, 31, v197
	v_xor_b32_e32 v39, vcc_lo, v39
	v_cmp_gt_i32_e32 vcc_lo, 0, v198
	v_not_b32_e32 v198, v200
	v_xor_b32_e32 v203, s22, v203
	v_cmp_gt_i32_e64 s22, 0, v200
	v_and_b32_e32 v39, exec_lo, v39
	v_not_b32_e32 v200, v201
	v_ashrrev_i32_e32 v198, 31, v198
	v_xor_b32_e32 v197, vcc_lo, v197
	v_cmp_gt_i32_e32 vcc_lo, 0, v201
	v_and_b32_e32 v39, v39, v203
	v_not_b32_e32 v201, v202
	v_ashrrev_i32_e32 v200, 31, v200
	v_xor_b32_e32 v198, s22, v198
	v_cmp_gt_i32_e64 s22, 0, v202
	v_and_b32_e32 v39, v39, v197
	v_not_b32_e32 v197, v199
	v_ashrrev_i32_e32 v201, 31, v201
	v_xor_b32_e32 v200, vcc_lo, v200
	v_cmp_gt_i32_e32 vcc_lo, 0, v199
	v_and_b32_e32 v39, v39, v198
	v_ashrrev_i32_e32 v197, 31, v197
	v_xor_b32_e32 v198, s22, v201
	v_mad_u32_u24 v199, v40, 36, v136
	v_mul_u32_u24_e32 v40, 36, v40
	v_and_b32_e32 v39, v39, v200
	v_xor_b32_e32 v200, vcc_lo, v197
	ds_read_b32 v197, v199 offset:544
	v_add_nc_u32_e32 v199, v136, v40
	v_and_b32_e32 v39, v39, v198
	; wave barrier
	v_and_b32_e32 v39, v39, v200
	v_mbcnt_lo_u32_b32 v198, v39, 0
	v_cmp_ne_u32_e64 s22, 0, v39
	v_cmp_eq_u32_e32 vcc_lo, 0, v198
	s_and_b32 s23, s22, vcc_lo
	s_and_saveexec_b32 s22, s23
	s_cbranch_execz .LBB604_468
; %bb.467:                              ;   in Loop: Header=BB604_410 Depth=2
	s_waitcnt lgkmcnt(0)
	v_bcnt_u32_b32 v39, v39, v197
	ds_write_b32 v199, v39 offset:544
.LBB604_468:                            ;   in Loop: Header=BB604_410 Depth=2
	s_or_b32 exec_lo, exec_lo, s22
	v_xor_b32_e32 v183, 0x80000000, v183
	; wave barrier
	v_lshrrev_b32_e32 v39, s61, v183
	v_and_b32_e32 v40, s62, v39
	v_and_b32_e32 v39, 1, v40
	v_lshlrev_b32_e32 v200, 30, v40
	v_lshlrev_b32_e32 v201, 29, v40
	v_lshlrev_b32_e32 v203, 28, v40
	v_lshlrev_b32_e32 v204, 27, v40
	v_add_co_u32 v39, s22, v39, -1
	v_cndmask_b32_e64 v202, 0, 1, s22
	v_not_b32_e32 v206, v200
	v_cmp_gt_i32_e64 s22, 0, v200
	v_not_b32_e32 v200, v201
	v_lshlrev_b32_e32 v205, 26, v40
	v_cmp_ne_u32_e32 vcc_lo, 0, v202
	v_ashrrev_i32_e32 v206, 31, v206
	v_lshlrev_b32_e32 v202, 25, v40
	v_ashrrev_i32_e32 v200, 31, v200
	v_xor_b32_e32 v39, vcc_lo, v39
	v_cmp_gt_i32_e32 vcc_lo, 0, v201
	v_not_b32_e32 v201, v203
	v_xor_b32_e32 v206, s22, v206
	v_cmp_gt_i32_e64 s22, 0, v203
	v_and_b32_e32 v39, exec_lo, v39
	v_not_b32_e32 v203, v204
	v_ashrrev_i32_e32 v201, 31, v201
	v_xor_b32_e32 v200, vcc_lo, v200
	v_cmp_gt_i32_e32 vcc_lo, 0, v204
	v_and_b32_e32 v39, v39, v206
	v_not_b32_e32 v204, v205
	v_ashrrev_i32_e32 v203, 31, v203
	v_xor_b32_e32 v201, s22, v201
	v_cmp_gt_i32_e64 s22, 0, v205
	v_and_b32_e32 v39, v39, v200
	v_not_b32_e32 v200, v202
	v_ashrrev_i32_e32 v204, 31, v204
	v_xor_b32_e32 v203, vcc_lo, v203
	v_cmp_gt_i32_e32 vcc_lo, 0, v202
	v_and_b32_e32 v39, v39, v201
	v_ashrrev_i32_e32 v200, 31, v200
	v_xor_b32_e32 v201, s22, v204
	v_mad_u32_u24 v202, v40, 36, v136
	v_mul_u32_u24_e32 v40, 36, v40
	v_and_b32_e32 v39, v39, v203
	v_xor_b32_e32 v200, vcc_lo, v200
	v_add_nc_u32_e32 v203, v136, v40
	v_and_b32_e32 v39, v39, v201
	ds_read_b32 v201, v202 offset:544
	; wave barrier
	v_and_b32_e32 v39, v39, v200
	v_mbcnt_lo_u32_b32 v202, v39, 0
	v_cmp_ne_u32_e64 s22, 0, v39
	v_cmp_eq_u32_e32 vcc_lo, 0, v202
	s_and_b32 s23, s22, vcc_lo
	s_and_saveexec_b32 s22, s23
	s_cbranch_execz .LBB604_470
; %bb.469:                              ;   in Loop: Header=BB604_410 Depth=2
	s_waitcnt lgkmcnt(0)
	v_bcnt_u32_b32 v39, v39, v201
	ds_write_b32 v203, v39 offset:544
.LBB604_470:                            ;   in Loop: Header=BB604_410 Depth=2
	s_or_b32 exec_lo, exec_lo, s22
	v_xor_b32_e32 v200, 0x80000000, v178
	; wave barrier
	v_lshrrev_b32_e32 v39, s61, v200
	v_and_b32_e32 v40, s62, v39
	v_and_b32_e32 v39, 1, v40
	v_lshlrev_b32_e32 v178, 30, v40
	v_lshlrev_b32_e32 v204, 29, v40
	v_lshlrev_b32_e32 v206, 28, v40
	v_lshlrev_b32_e32 v207, 27, v40
	v_add_co_u32 v39, s22, v39, -1
	v_cndmask_b32_e64 v205, 0, 1, s22
	v_not_b32_e32 v209, v178
	v_cmp_gt_i32_e64 s22, 0, v178
	v_not_b32_e32 v178, v204
	v_lshlrev_b32_e32 v208, 26, v40
	v_cmp_ne_u32_e32 vcc_lo, 0, v205
	v_ashrrev_i32_e32 v209, 31, v209
	v_lshlrev_b32_e32 v205, 25, v40
	v_ashrrev_i32_e32 v178, 31, v178
	v_xor_b32_e32 v39, vcc_lo, v39
	v_cmp_gt_i32_e32 vcc_lo, 0, v204
	v_not_b32_e32 v204, v206
	v_xor_b32_e32 v209, s22, v209
	v_cmp_gt_i32_e64 s22, 0, v206
	v_and_b32_e32 v39, exec_lo, v39
	v_not_b32_e32 v206, v207
	v_ashrrev_i32_e32 v204, 31, v204
	v_xor_b32_e32 v178, vcc_lo, v178
	v_cmp_gt_i32_e32 vcc_lo, 0, v207
	v_and_b32_e32 v39, v39, v209
	v_not_b32_e32 v207, v208
	v_ashrrev_i32_e32 v206, 31, v206
	v_xor_b32_e32 v204, s22, v204
	v_cmp_gt_i32_e64 s22, 0, v208
	v_and_b32_e32 v39, v39, v178
	v_not_b32_e32 v178, v205
	v_ashrrev_i32_e32 v207, 31, v207
	v_xor_b32_e32 v206, vcc_lo, v206
	v_cmp_gt_i32_e32 vcc_lo, 0, v205
	v_and_b32_e32 v39, v39, v204
	v_ashrrev_i32_e32 v178, 31, v178
	v_xor_b32_e32 v204, s22, v207
	v_mad_u32_u24 v205, v40, 36, v136
	v_mul_u32_u24_e32 v40, 36, v40
	v_and_b32_e32 v39, v39, v206
	v_xor_b32_e32 v178, vcc_lo, v178
	ds_read_b32 v205, v205 offset:544
	v_and_b32_e32 v39, v39, v204
	; wave barrier
	v_and_b32_e32 v39, v39, v178
	v_add_nc_u32_e32 v178, v136, v40
	v_mbcnt_lo_u32_b32 v206, v39, 0
	v_cmp_ne_u32_e64 s22, 0, v39
	v_cmp_eq_u32_e32 vcc_lo, 0, v206
	s_and_b32 s23, s22, vcc_lo
	s_and_saveexec_b32 s22, s23
	s_cbranch_execz .LBB604_472
; %bb.471:                              ;   in Loop: Header=BB604_410 Depth=2
	s_waitcnt lgkmcnt(0)
	v_bcnt_u32_b32 v39, v39, v205
	ds_write_b32 v178, v39 offset:544
.LBB604_472:                            ;   in Loop: Header=BB604_410 Depth=2
	s_or_b32 exec_lo, exec_lo, s22
	v_xor_b32_e32 v204, 0x80000000, v174
	; wave barrier
	v_lshrrev_b32_e32 v39, s61, v204
	v_and_b32_e32 v40, s62, v39
	v_and_b32_e32 v39, 1, v40
	v_lshlrev_b32_e32 v174, 30, v40
	v_lshlrev_b32_e32 v207, 29, v40
	v_lshlrev_b32_e32 v209, 28, v40
	v_lshlrev_b32_e32 v210, 27, v40
	v_add_co_u32 v39, s22, v39, -1
	v_cndmask_b32_e64 v208, 0, 1, s22
	v_not_b32_e32 v212, v174
	v_cmp_gt_i32_e64 s22, 0, v174
	v_not_b32_e32 v174, v207
	v_lshlrev_b32_e32 v211, 26, v40
	v_cmp_ne_u32_e32 vcc_lo, 0, v208
	v_ashrrev_i32_e32 v212, 31, v212
	v_lshlrev_b32_e32 v208, 25, v40
	v_ashrrev_i32_e32 v174, 31, v174
	v_xor_b32_e32 v39, vcc_lo, v39
	v_cmp_gt_i32_e32 vcc_lo, 0, v207
	v_not_b32_e32 v207, v209
	v_xor_b32_e32 v212, s22, v212
	v_cmp_gt_i32_e64 s22, 0, v209
	v_and_b32_e32 v39, exec_lo, v39
	v_not_b32_e32 v209, v210
	v_ashrrev_i32_e32 v207, 31, v207
	v_xor_b32_e32 v174, vcc_lo, v174
	v_cmp_gt_i32_e32 vcc_lo, 0, v210
	v_and_b32_e32 v39, v39, v212
	v_not_b32_e32 v210, v211
	v_ashrrev_i32_e32 v209, 31, v209
	v_xor_b32_e32 v207, s22, v207
	v_cmp_gt_i32_e64 s22, 0, v211
	v_and_b32_e32 v39, v39, v174
	v_not_b32_e32 v174, v208
	v_ashrrev_i32_e32 v210, 31, v210
	v_xor_b32_e32 v209, vcc_lo, v209
	v_cmp_gt_i32_e32 vcc_lo, 0, v208
	v_and_b32_e32 v39, v39, v207
	v_ashrrev_i32_e32 v174, 31, v174
	v_xor_b32_e32 v207, s22, v210
	v_mad_u32_u24 v208, v40, 36, v136
	v_mul_u32_u24_e32 v40, 36, v40
	v_and_b32_e32 v39, v39, v209
	v_xor_b32_e32 v174, vcc_lo, v174
	ds_read_b32 v208, v208 offset:544
	v_and_b32_e32 v39, v39, v207
	; wave barrier
	v_and_b32_e32 v39, v39, v174
	v_add_nc_u32_e32 v174, v136, v40
	;; [unrolled: 63-line block ×3, first 2 shown]
	v_mbcnt_lo_u32_b32 v212, v39, 0
	v_cmp_ne_u32_e64 s22, 0, v39
	v_cmp_eq_u32_e32 vcc_lo, 0, v212
	s_and_b32 s23, s22, vcc_lo
	s_and_saveexec_b32 s22, s23
	s_cbranch_execz .LBB604_476
; %bb.475:                              ;   in Loop: Header=BB604_410 Depth=2
	s_waitcnt lgkmcnt(0)
	v_bcnt_u32_b32 v39, v39, v211
	ds_write_b32 v169, v39 offset:544
.LBB604_476:                            ;   in Loop: Header=BB604_410 Depth=2
	s_or_b32 exec_lo, exec_lo, s22
	v_xor_b32_e32 v210, 0x80000000, v42
	; wave barrier
	v_lshrrev_b32_e32 v39, s61, v210
	v_and_b32_e32 v40, s62, v39
	v_and_b32_e32 v39, 1, v40
	v_lshlrev_b32_e32 v42, 30, v40
	v_lshlrev_b32_e32 v213, 29, v40
	;; [unrolled: 1-line block ×4, first 2 shown]
	v_add_co_u32 v39, s22, v39, -1
	v_cndmask_b32_e64 v214, 0, 1, s22
	v_not_b32_e32 v218, v42
	v_cmp_gt_i32_e64 s22, 0, v42
	v_not_b32_e32 v42, v213
	v_lshlrev_b32_e32 v217, 26, v40
	v_cmp_ne_u32_e32 vcc_lo, 0, v214
	v_ashrrev_i32_e32 v218, 31, v218
	v_lshlrev_b32_e32 v214, 25, v40
	v_ashrrev_i32_e32 v42, 31, v42
	v_xor_b32_e32 v39, vcc_lo, v39
	v_cmp_gt_i32_e32 vcc_lo, 0, v213
	v_not_b32_e32 v213, v215
	v_xor_b32_e32 v218, s22, v218
	v_cmp_gt_i32_e64 s22, 0, v215
	v_and_b32_e32 v39, exec_lo, v39
	v_not_b32_e32 v215, v216
	v_ashrrev_i32_e32 v213, 31, v213
	v_xor_b32_e32 v42, vcc_lo, v42
	v_cmp_gt_i32_e32 vcc_lo, 0, v216
	v_and_b32_e32 v39, v39, v218
	v_not_b32_e32 v216, v217
	v_ashrrev_i32_e32 v215, 31, v215
	v_xor_b32_e32 v213, s22, v213
	v_cmp_gt_i32_e64 s22, 0, v217
	v_and_b32_e32 v39, v39, v42
	v_not_b32_e32 v42, v214
	v_ashrrev_i32_e32 v216, 31, v216
	v_xor_b32_e32 v215, vcc_lo, v215
	v_cmp_gt_i32_e32 vcc_lo, 0, v214
	v_and_b32_e32 v39, v39, v213
	v_ashrrev_i32_e32 v42, 31, v42
	v_xor_b32_e32 v213, s22, v216
	v_mad_u32_u24 v214, v40, 36, v136
	v_mul_u32_u24_e32 v40, 36, v40
	v_and_b32_e32 v39, v39, v215
	v_xor_b32_e32 v42, vcc_lo, v42
	ds_read_b32 v214, v214 offset:544
	v_add_nc_u32_e32 v216, v136, v40
	v_and_b32_e32 v39, v39, v213
	; wave barrier
	v_and_b32_e32 v39, v39, v42
	v_mbcnt_lo_u32_b32 v215, v39, 0
	v_cmp_ne_u32_e64 s22, 0, v39
	v_cmp_eq_u32_e32 vcc_lo, 0, v215
	s_and_b32 s23, s22, vcc_lo
	s_and_saveexec_b32 s22, s23
	s_cbranch_execz .LBB604_478
; %bb.477:                              ;   in Loop: Header=BB604_410 Depth=2
	s_waitcnt lgkmcnt(0)
	v_bcnt_u32_b32 v39, v39, v214
	ds_write_b32 v216, v39 offset:544
.LBB604_478:                            ;   in Loop: Header=BB604_410 Depth=2
	s_or_b32 exec_lo, exec_lo, s22
	v_xor_b32_e32 v213, 0x80000000, v41
	; wave barrier
	v_lshrrev_b32_e32 v39, s61, v213
	v_and_b32_e32 v40, s62, v39
	v_and_b32_e32 v39, 1, v40
	v_lshlrev_b32_e32 v41, 30, v40
	v_lshlrev_b32_e32 v42, 29, v40
	;; [unrolled: 1-line block ×4, first 2 shown]
	v_add_co_u32 v39, s22, v39, -1
	v_cndmask_b32_e64 v217, 0, 1, s22
	v_not_b32_e32 v221, v41
	v_cmp_gt_i32_e64 s22, 0, v41
	v_not_b32_e32 v41, v42
	v_lshlrev_b32_e32 v220, 26, v40
	v_cmp_ne_u32_e32 vcc_lo, 0, v217
	v_ashrrev_i32_e32 v221, 31, v221
	v_lshlrev_b32_e32 v217, 25, v40
	v_ashrrev_i32_e32 v41, 31, v41
	v_xor_b32_e32 v39, vcc_lo, v39
	v_cmp_gt_i32_e32 vcc_lo, 0, v42
	v_not_b32_e32 v42, v218
	v_xor_b32_e32 v221, s22, v221
	v_cmp_gt_i32_e64 s22, 0, v218
	v_and_b32_e32 v39, exec_lo, v39
	v_not_b32_e32 v218, v219
	v_ashrrev_i32_e32 v42, 31, v42
	v_xor_b32_e32 v41, vcc_lo, v41
	v_cmp_gt_i32_e32 vcc_lo, 0, v219
	v_and_b32_e32 v39, v39, v221
	v_not_b32_e32 v219, v220
	v_ashrrev_i32_e32 v218, 31, v218
	v_xor_b32_e32 v42, s22, v42
	v_cmp_gt_i32_e64 s22, 0, v220
	v_and_b32_e32 v39, v39, v41
	v_not_b32_e32 v41, v217
	v_ashrrev_i32_e32 v219, 31, v219
	v_xor_b32_e32 v218, vcc_lo, v218
	v_cmp_gt_i32_e32 vcc_lo, 0, v217
	v_and_b32_e32 v39, v39, v42
	v_ashrrev_i32_e32 v41, 31, v41
	v_xor_b32_e32 v42, s22, v219
	v_mad_u32_u24 v217, v40, 36, v136
	v_mul_u32_u24_e32 v40, 36, v40
	v_and_b32_e32 v39, v39, v218
	v_xor_b32_e32 v41, vcc_lo, v41
	ds_read_b32 v217, v217 offset:544
	v_add_nc_u32_e32 v219, v136, v40
	v_and_b32_e32 v39, v39, v42
	; wave barrier
	v_and_b32_e32 v39, v39, v41
	v_mbcnt_lo_u32_b32 v218, v39, 0
	v_cmp_ne_u32_e64 s22, 0, v39
	v_cmp_eq_u32_e32 vcc_lo, 0, v218
	s_and_b32 s23, s22, vcc_lo
	s_and_saveexec_b32 s22, s23
	s_cbranch_execz .LBB604_480
; %bb.479:                              ;   in Loop: Header=BB604_410 Depth=2
	s_waitcnt lgkmcnt(0)
	v_bcnt_u32_b32 v39, v39, v217
	ds_write_b32 v219, v39 offset:544
.LBB604_480:                            ;   in Loop: Header=BB604_410 Depth=2
	s_or_b32 exec_lo, exec_lo, s22
	v_lshrrev_b32_e32 v39, s61, v3
	; wave barrier
	v_and_b32_e32 v40, s62, v39
	v_and_b32_e32 v39, 1, v40
	v_lshlrev_b32_e32 v41, 30, v40
	v_lshlrev_b32_e32 v42, 29, v40
	;; [unrolled: 1-line block ×4, first 2 shown]
	v_add_co_u32 v39, s22, v39, -1
	v_cndmask_b32_e64 v220, 0, 1, s22
	v_not_b32_e32 v224, v41
	v_cmp_gt_i32_e64 s22, 0, v41
	v_not_b32_e32 v41, v42
	v_lshlrev_b32_e32 v223, 26, v40
	v_cmp_ne_u32_e32 vcc_lo, 0, v220
	v_ashrrev_i32_e32 v224, 31, v224
	v_lshlrev_b32_e32 v220, 25, v40
	v_ashrrev_i32_e32 v41, 31, v41
	v_xor_b32_e32 v39, vcc_lo, v39
	v_cmp_gt_i32_e32 vcc_lo, 0, v42
	v_not_b32_e32 v42, v221
	v_xor_b32_e32 v224, s22, v224
	v_cmp_gt_i32_e64 s22, 0, v221
	v_and_b32_e32 v39, exec_lo, v39
	v_not_b32_e32 v221, v222
	v_ashrrev_i32_e32 v42, 31, v42
	v_xor_b32_e32 v41, vcc_lo, v41
	v_cmp_gt_i32_e32 vcc_lo, 0, v222
	v_and_b32_e32 v39, v39, v224
	v_not_b32_e32 v222, v223
	v_ashrrev_i32_e32 v221, 31, v221
	v_xor_b32_e32 v42, s22, v42
	v_cmp_gt_i32_e64 s22, 0, v223
	v_and_b32_e32 v39, v39, v41
	v_not_b32_e32 v41, v220
	v_ashrrev_i32_e32 v222, 31, v222
	v_xor_b32_e32 v221, vcc_lo, v221
	v_cmp_gt_i32_e32 vcc_lo, 0, v220
	v_and_b32_e32 v39, v39, v42
	v_ashrrev_i32_e32 v41, 31, v41
	v_xor_b32_e32 v42, s22, v222
	v_mad_u32_u24 v220, v40, 36, v136
	v_mul_u32_u24_e32 v40, 36, v40
	v_and_b32_e32 v39, v39, v221
	v_xor_b32_e32 v41, vcc_lo, v41
	ds_read_b32 v220, v220 offset:544
	v_add_nc_u32_e32 v222, v136, v40
	v_and_b32_e32 v39, v39, v42
	; wave barrier
	v_and_b32_e32 v39, v39, v41
	v_mbcnt_lo_u32_b32 v221, v39, 0
	v_cmp_ne_u32_e64 s22, 0, v39
	v_cmp_eq_u32_e32 vcc_lo, 0, v221
	s_and_b32 s23, s22, vcc_lo
	s_and_saveexec_b32 s22, s23
	s_cbranch_execz .LBB604_482
; %bb.481:                              ;   in Loop: Header=BB604_410 Depth=2
	s_waitcnt lgkmcnt(0)
	v_bcnt_u32_b32 v39, v39, v220
	ds_write_b32 v222, v39 offset:544
.LBB604_482:                            ;   in Loop: Header=BB604_410 Depth=2
	s_or_b32 exec_lo, exec_lo, s22
	; wave barrier
	s_waitcnt lgkmcnt(0)
	s_barrier
	buffer_gl0_inv
	ds_read2_b32 v[41:42], v68 offset0:136 offset1:137
	ds_read2_b32 v[39:40], v68 offset0:138 offset1:139
	ds_read_b32 v223, v68 offset:560
	s_waitcnt lgkmcnt(1)
	v_add3_u32 v224, v42, v41, v39
	s_waitcnt lgkmcnt(0)
	v_add3_u32 v223, v224, v40, v223
	v_mov_b32_dpp v224, v223 row_shr:1 row_mask:0xf bank_mask:0xf
	v_cndmask_b32_e64 v224, v224, 0, s5
	v_add_nc_u32_e32 v223, v224, v223
	v_mov_b32_dpp v224, v223 row_shr:2 row_mask:0xf bank_mask:0xf
	v_cndmask_b32_e64 v224, 0, v224, s15
	v_add_nc_u32_e32 v223, v223, v224
	;; [unrolled: 3-line block ×4, first 2 shown]
	ds_swizzle_b32 v224, v223 offset:swizzle(BROADCAST,32,15)
	s_waitcnt lgkmcnt(0)
	v_cndmask_b32_e64 v224, v224, 0, s18
	v_add_nc_u32_e32 v223, v223, v224
	s_and_saveexec_b32 s22, s4
; %bb.483:                              ;   in Loop: Header=BB604_410 Depth=2
	ds_write_b32 v62, v223 offset:512
; %bb.484:                              ;   in Loop: Header=BB604_410 Depth=2
	s_or_b32 exec_lo, exec_lo, s22
	s_waitcnt lgkmcnt(0)
	s_barrier
	buffer_gl0_inv
	s_and_saveexec_b32 s22, s11
	s_cbranch_execz .LBB604_486
; %bb.485:                              ;   in Loop: Header=BB604_410 Depth=2
	ds_read_b32 v224, v69 offset:512
	s_waitcnt lgkmcnt(0)
	v_mov_b32_dpp v225, v224 row_shr:1 row_mask:0xf bank_mask:0xf
	v_cndmask_b32_e64 v225, v225, 0, s19
	v_add_nc_u32_e32 v224, v225, v224
	v_mov_b32_dpp v225, v224 row_shr:2 row_mask:0xf bank_mask:0xf
	v_cndmask_b32_e64 v225, 0, v225, s20
	v_add_nc_u32_e32 v224, v224, v225
	;; [unrolled: 3-line block ×3, first 2 shown]
	ds_write_b32 v69, v224 offset:512
.LBB604_486:                            ;   in Loop: Header=BB604_410 Depth=2
	s_or_b32 exec_lo, exec_lo, s22
	v_mov_b32_e32 v224, 0
	s_waitcnt lgkmcnt(0)
	s_barrier
	buffer_gl0_inv
	s_and_saveexec_b32 s22, s10
; %bb.487:                              ;   in Loop: Header=BB604_410 Depth=2
	ds_read_b32 v224, v62 offset:508
; %bb.488:                              ;   in Loop: Header=BB604_410 Depth=2
	s_or_b32 exec_lo, exec_lo, s22
	s_waitcnt lgkmcnt(0)
	v_add_nc_u32_e32 v223, v224, v223
	ds_bpermute_b32 v223, v131, v223
	s_waitcnt lgkmcnt(0)
	v_cndmask_b32_e64 v223, v223, v224, s14
	v_cndmask_b32_e64 v223, v223, 0, s12
	v_add_nc_u32_e32 v41, v223, v41
	v_add_nc_u32_e32 v42, v41, v42
	;; [unrolled: 1-line block ×4, first 2 shown]
	ds_write2_b32 v68, v223, v41 offset0:136 offset1:137
	ds_write2_b32 v68, v42, v39 offset0:138 offset1:139
	ds_write_b32 v68, v40 offset:560
	s_waitcnt lgkmcnt(0)
	s_barrier
	buffer_gl0_inv
	ds_read_b32 v41, v160 offset:544
	ds_read_b32 v42, v164 offset:544
	;; [unrolled: 1-line block ×17, first 2 shown]
	s_and_saveexec_b32 s22, s7
	s_cbranch_execz .LBB604_492
; %bb.489:                              ;   in Loop: Header=BB604_410 Depth=2
	ds_read_b32 v152, v71 offset:544
	v_mov_b32_e32 v155, 0x1100
	s_and_saveexec_b32 s23, s13
; %bb.490:                              ;   in Loop: Header=BB604_410 Depth=2
	ds_read_b32 v155, v70 offset:544
; %bb.491:                              ;   in Loop: Header=BB604_410 Depth=2
	s_or_b32 exec_lo, exec_lo, s23
	s_waitcnt lgkmcnt(0)
	v_sub_nc_u32_e32 v155, v155, v152
.LBB604_492:                            ;   in Loop: Header=BB604_410 Depth=2
	s_or_b32 exec_lo, exec_lo, s22
	s_waitcnt lgkmcnt(0)
	s_barrier
	buffer_gl0_inv
	s_and_saveexec_b32 s22, s7
	s_cbranch_execz .LBB604_494
; %bb.493:                              ;   in Loop: Header=BB604_410 Depth=2
	ds_read_b32 v169, v43
	s_waitcnt lgkmcnt(0)
	v_sub_nc_u32_e32 v169, v169, v152
	ds_write_b32 v43, v169
.LBB604_494:                            ;   in Loop: Header=BB604_410 Depth=2
	s_or_b32 exec_lo, exec_lo, s22
	v_add_nc_u32_e32 v179, v41, v159
	v_add3_u32 v178, v163, v162, v42
	v_add3_u32 v174, v167, v166, v164
	v_add3_u32 v173, v172, v171, v168
	v_add3_u32 v172, v177, v176, v223
	v_add3_u32 v169, v187, v186, v189
	v_lshlrev_b32_e32 v176, 2, v179
	v_lshlrev_b32_e32 v177, 2, v178
	v_add3_u32 v162, v218, v217, v39
	v_lshlrev_b32_e32 v39, 2, v174
	v_add3_u32 v171, v182, v181, v184
	v_add3_u32 v168, v192, v191, v193
	v_add3_u32 v167, v195, v194, v196
	v_add3_u32 v159, v215, v214, v160
	v_add3_u32 v160, v221, v220, v40
	ds_write_b32 v176, v157 offset:512
	ds_write_b32 v177, v158 offset:512
	v_lshlrev_b32_e32 v40, 2, v173
	ds_write_b32 v39, v161 offset:512
	v_lshlrev_b32_e32 v39, 2, v169
	v_add3_u32 v166, v198, v197, v199
	v_lshlrev_b32_e32 v157, 2, v172
	v_add3_u32 v164, v202, v201, v203
	;; [unrolled: 2-line block ×3, first 2 shown]
	v_add3_u32 v42, v209, v208, v225
	ds_write_b32 v40, v165 offset:512
	ds_write_b32 v157, v170 offset:512
	;; [unrolled: 1-line block ×3, first 2 shown]
	v_lshlrev_b32_e32 v40, 2, v168
	ds_write_b32 v39, v180 offset:512
	v_lshlrev_b32_e32 v39, 2, v167
	v_lshlrev_b32_e32 v157, 2, v166
	;; [unrolled: 1-line block ×3, first 2 shown]
	v_add3_u32 v41, v212, v211, v226
	ds_write_b32 v40, v185 offset:512
	v_lshlrev_b32_e32 v40, 2, v163
	ds_write_b32 v39, v190 offset:512
	ds_write_b32 v157, v188 offset:512
	;; [unrolled: 1-line block ×3, first 2 shown]
	v_lshlrev_b32_e32 v39, 2, v42
	v_cmp_lt_u32_e32 vcc_lo, v0, v156
	v_lshlrev_b32_e32 v157, 2, v159
	ds_write_b32 v40, v200 offset:512
	v_lshlrev_b32_e32 v40, 2, v41
	ds_write_b32 v39, v204 offset:512
	v_lshlrev_b32_e32 v39, 2, v160
	v_lshlrev_b32_e32 v158, 2, v162
	ds_write_b32 v40, v207 offset:512
	ds_write_b32 v157, v210 offset:512
	;; [unrolled: 1-line block ×4, first 2 shown]
	s_waitcnt lgkmcnt(0)
	s_barrier
	buffer_gl0_inv
	s_and_saveexec_b32 s23, vcc_lo
	s_cbranch_execnz .LBB604_567
; %bb.495:                              ;   in Loop: Header=BB604_410 Depth=2
	s_or_b32 exec_lo, exec_lo, s23
	v_cmp_lt_u32_e64 s22, v44, v156
	s_and_saveexec_b32 s24, s22
	s_cbranch_execnz .LBB604_568
.LBB604_496:                            ;   in Loop: Header=BB604_410 Depth=2
	s_or_b32 exec_lo, exec_lo, s24
	v_cmp_lt_u32_e64 s23, v47, v156
	s_and_saveexec_b32 s25, s23
	s_cbranch_execnz .LBB604_569
.LBB604_497:                            ;   in Loop: Header=BB604_410 Depth=2
	s_or_b32 exec_lo, exec_lo, s25
	v_cmp_lt_u32_e64 s24, v48, v156
	s_and_saveexec_b32 s26, s24
	s_cbranch_execnz .LBB604_570
.LBB604_498:                            ;   in Loop: Header=BB604_410 Depth=2
	s_or_b32 exec_lo, exec_lo, s26
	v_cmp_lt_u32_e64 s25, v49, v156
	s_and_saveexec_b32 s27, s25
	s_cbranch_execnz .LBB604_571
.LBB604_499:                            ;   in Loop: Header=BB604_410 Depth=2
	s_or_b32 exec_lo, exec_lo, s27
	v_cmp_lt_u32_e64 s26, v50, v156
	s_and_saveexec_b32 s29, s26
	s_cbranch_execnz .LBB604_572
.LBB604_500:                            ;   in Loop: Header=BB604_410 Depth=2
	s_or_b32 exec_lo, exec_lo, s29
	v_cmp_lt_u32_e64 s27, v51, v156
	s_and_saveexec_b32 s30, s27
	s_cbranch_execnz .LBB604_573
.LBB604_501:                            ;   in Loop: Header=BB604_410 Depth=2
	s_or_b32 exec_lo, exec_lo, s30
	v_cmp_lt_u32_e64 s29, v52, v156
	s_and_saveexec_b32 s31, s29
	s_cbranch_execnz .LBB604_574
.LBB604_502:                            ;   in Loop: Header=BB604_410 Depth=2
	s_or_b32 exec_lo, exec_lo, s31
	v_cmp_lt_u32_e64 s30, v53, v156
	s_and_saveexec_b32 s33, s30
	s_cbranch_execnz .LBB604_575
.LBB604_503:                            ;   in Loop: Header=BB604_410 Depth=2
	s_or_b32 exec_lo, exec_lo, s33
	v_cmp_lt_u32_e64 s31, v54, v156
	s_and_saveexec_b32 s34, s31
	s_cbranch_execnz .LBB604_576
.LBB604_504:                            ;   in Loop: Header=BB604_410 Depth=2
	s_or_b32 exec_lo, exec_lo, s34
	v_cmp_lt_u32_e64 s33, v55, v156
	s_and_saveexec_b32 s35, s33
	s_cbranch_execnz .LBB604_577
.LBB604_505:                            ;   in Loop: Header=BB604_410 Depth=2
	s_or_b32 exec_lo, exec_lo, s35
	v_cmp_lt_u32_e64 s34, v56, v156
	s_and_saveexec_b32 s36, s34
	s_cbranch_execnz .LBB604_578
.LBB604_506:                            ;   in Loop: Header=BB604_410 Depth=2
	s_or_b32 exec_lo, exec_lo, s36
	v_cmp_lt_u32_e64 s35, v57, v156
	s_and_saveexec_b32 s37, s35
	s_cbranch_execnz .LBB604_579
.LBB604_507:                            ;   in Loop: Header=BB604_410 Depth=2
	s_or_b32 exec_lo, exec_lo, s37
	v_cmp_lt_u32_e64 s36, v58, v156
	s_and_saveexec_b32 s38, s36
	s_cbranch_execnz .LBB604_580
.LBB604_508:                            ;   in Loop: Header=BB604_410 Depth=2
	s_or_b32 exec_lo, exec_lo, s38
	v_cmp_lt_u32_e64 s37, v59, v156
	s_and_saveexec_b32 s39, s37
	s_cbranch_execnz .LBB604_581
.LBB604_509:                            ;   in Loop: Header=BB604_410 Depth=2
	s_or_b32 exec_lo, exec_lo, s39
	v_cmp_lt_u32_e64 s38, v60, v156
	s_and_saveexec_b32 s40, s38
	s_cbranch_execnz .LBB604_582
.LBB604_510:                            ;   in Loop: Header=BB604_410 Depth=2
	s_or_b32 exec_lo, exec_lo, s40
	v_cmp_lt_u32_e64 s39, v61, v156
	s_and_saveexec_b32 s65, s39
	s_cbranch_execz .LBB604_512
.LBB604_511:                            ;   in Loop: Header=BB604_410 Depth=2
	ds_read_b32 v157, v69 offset:16896
	s_waitcnt lgkmcnt(0)
	v_lshrrev_b32_e32 v3, s61, v157
	v_and_b32_e32 v3, s62, v3
	v_lshlrev_b32_e32 v3, 2, v3
	ds_read_b32 v3, v3
	s_waitcnt lgkmcnt(0)
	v_add_nc_u32_e32 v3, v3, v61
	v_lshlrev_b64 v[39:40], 2, v[3:4]
	v_xor_b32_e32 v3, 0x80000000, v157
	v_add_co_u32 v39, s40, s48, v39
	v_add_co_ci_u32_e64 v40, null, s49, v40, s40
	global_store_dword v[39:40], v3, off
.LBB604_512:                            ;   in Loop: Header=BB604_410 Depth=2
	s_or_b32 exec_lo, exec_lo, s65
	s_lshl_b64 s[66:67], s[50:51], 3
	v_add_co_u32 v39, s40, v132, s66
	v_add_co_ci_u32_e64 v40, null, s67, v133, s40
	v_cmp_lt_u32_e64 s40, v109, v156
	s_and_saveexec_b32 s50, s40
	s_xor_b32 s40, exec_lo, s50
	s_cbranch_execnz .LBB604_583
; %bb.513:                              ;   in Loop: Header=BB604_410 Depth=2
	s_or_b32 exec_lo, exec_lo, s40
	s_mov_b32 s50, exec_lo
	v_cmpx_lt_u32_e64 v112, v156
	s_cbranch_execnz .LBB604_584
.LBB604_514:                            ;   in Loop: Header=BB604_410 Depth=2
	s_or_b32 exec_lo, exec_lo, s50
	s_mov_b32 s50, exec_lo
	v_cmpx_lt_u32_e64 v113, v156
	s_cbranch_execnz .LBB604_585
.LBB604_515:                            ;   in Loop: Header=BB604_410 Depth=2
	s_or_b32 exec_lo, exec_lo, s50
	s_mov_b32 s50, exec_lo
	v_cmpx_lt_u32_e64 v114, v156
	s_cbranch_execnz .LBB604_586
.LBB604_516:                            ;   in Loop: Header=BB604_410 Depth=2
	s_or_b32 exec_lo, exec_lo, s50
	s_mov_b32 s50, exec_lo
	v_cmpx_lt_u32_e64 v115, v156
	s_cbranch_execnz .LBB604_587
.LBB604_517:                            ;   in Loop: Header=BB604_410 Depth=2
	s_or_b32 exec_lo, exec_lo, s50
	s_mov_b32 s50, exec_lo
	v_cmpx_lt_u32_e64 v116, v156
	s_cbranch_execnz .LBB604_588
.LBB604_518:                            ;   in Loop: Header=BB604_410 Depth=2
	s_or_b32 exec_lo, exec_lo, s50
	s_mov_b32 s50, exec_lo
	v_cmpx_lt_u32_e64 v117, v156
	s_cbranch_execnz .LBB604_589
.LBB604_519:                            ;   in Loop: Header=BB604_410 Depth=2
	s_or_b32 exec_lo, exec_lo, s50
	s_mov_b32 s50, exec_lo
	v_cmpx_lt_u32_e64 v118, v156
	s_cbranch_execnz .LBB604_590
.LBB604_520:                            ;   in Loop: Header=BB604_410 Depth=2
	s_or_b32 exec_lo, exec_lo, s50
	s_mov_b32 s50, exec_lo
	v_cmpx_lt_u32_e64 v119, v156
	s_cbranch_execnz .LBB604_591
.LBB604_521:                            ;   in Loop: Header=BB604_410 Depth=2
	s_or_b32 exec_lo, exec_lo, s50
	s_mov_b32 s50, exec_lo
	v_cmpx_lt_u32_e64 v120, v156
	s_cbranch_execnz .LBB604_592
.LBB604_522:                            ;   in Loop: Header=BB604_410 Depth=2
	s_or_b32 exec_lo, exec_lo, s50
	s_mov_b32 s50, exec_lo
	v_cmpx_lt_u32_e64 v121, v156
	s_cbranch_execnz .LBB604_593
.LBB604_523:                            ;   in Loop: Header=BB604_410 Depth=2
	s_or_b32 exec_lo, exec_lo, s50
	s_mov_b32 s50, exec_lo
	v_cmpx_lt_u32_e64 v122, v156
	s_cbranch_execnz .LBB604_594
.LBB604_524:                            ;   in Loop: Header=BB604_410 Depth=2
	s_or_b32 exec_lo, exec_lo, s50
	s_mov_b32 s50, exec_lo
	v_cmpx_lt_u32_e64 v123, v156
	s_cbranch_execnz .LBB604_595
.LBB604_525:                            ;   in Loop: Header=BB604_410 Depth=2
	s_or_b32 exec_lo, exec_lo, s50
	s_mov_b32 s50, exec_lo
	v_cmpx_lt_u32_e64 v124, v156
	s_cbranch_execnz .LBB604_596
.LBB604_526:                            ;   in Loop: Header=BB604_410 Depth=2
	s_or_b32 exec_lo, exec_lo, s50
	s_mov_b32 s50, exec_lo
	v_cmpx_lt_u32_e64 v126, v156
	s_cbranch_execnz .LBB604_597
.LBB604_527:                            ;   in Loop: Header=BB604_410 Depth=2
	s_or_b32 exec_lo, exec_lo, s50
	s_mov_b32 s50, exec_lo
	v_cmpx_lt_u32_e64 v127, v156
	s_cbranch_execnz .LBB604_598
.LBB604_528:                            ;   in Loop: Header=BB604_410 Depth=2
	s_or_b32 exec_lo, exec_lo, s50
	s_mov_b32 s50, exec_lo
	v_cmpx_lt_u32_e64 v128, v156
	s_cbranch_execnz .LBB604_599
.LBB604_529:                            ;   in Loop: Header=BB604_410 Depth=2
	s_or_b32 exec_lo, exec_lo, s50
	s_and_saveexec_b32 s40, vcc_lo
	s_cbranch_execnz .LBB604_600
.LBB604_530:                            ;   in Loop: Header=BB604_410 Depth=2
	s_or_b32 exec_lo, exec_lo, s40
	s_and_saveexec_b32 s40, s22
	s_cbranch_execnz .LBB604_601
.LBB604_531:                            ;   in Loop: Header=BB604_410 Depth=2
	s_or_b32 exec_lo, exec_lo, s40
	s_and_saveexec_b32 s40, s23
	s_cbranch_execnz .LBB604_602
.LBB604_532:                            ;   in Loop: Header=BB604_410 Depth=2
	s_or_b32 exec_lo, exec_lo, s40
	s_and_saveexec_b32 s40, s24
	s_cbranch_execnz .LBB604_603
.LBB604_533:                            ;   in Loop: Header=BB604_410 Depth=2
	s_or_b32 exec_lo, exec_lo, s40
	s_and_saveexec_b32 s40, s25
	s_cbranch_execnz .LBB604_604
.LBB604_534:                            ;   in Loop: Header=BB604_410 Depth=2
	s_or_b32 exec_lo, exec_lo, s40
	s_and_saveexec_b32 s40, s26
	s_cbranch_execnz .LBB604_605
.LBB604_535:                            ;   in Loop: Header=BB604_410 Depth=2
	s_or_b32 exec_lo, exec_lo, s40
	s_and_saveexec_b32 s40, s27
	s_cbranch_execnz .LBB604_606
.LBB604_536:                            ;   in Loop: Header=BB604_410 Depth=2
	s_or_b32 exec_lo, exec_lo, s40
	s_and_saveexec_b32 s40, s29
	s_cbranch_execnz .LBB604_607
.LBB604_537:                            ;   in Loop: Header=BB604_410 Depth=2
	s_or_b32 exec_lo, exec_lo, s40
	s_and_saveexec_b32 s40, s30
	s_cbranch_execnz .LBB604_608
.LBB604_538:                            ;   in Loop: Header=BB604_410 Depth=2
	s_or_b32 exec_lo, exec_lo, s40
	s_and_saveexec_b32 s40, s31
	s_cbranch_execnz .LBB604_609
.LBB604_539:                            ;   in Loop: Header=BB604_410 Depth=2
	s_or_b32 exec_lo, exec_lo, s40
	s_and_saveexec_b32 s40, s33
	s_cbranch_execnz .LBB604_610
.LBB604_540:                            ;   in Loop: Header=BB604_410 Depth=2
	s_or_b32 exec_lo, exec_lo, s40
	s_and_saveexec_b32 s40, s34
	s_cbranch_execnz .LBB604_611
.LBB604_541:                            ;   in Loop: Header=BB604_410 Depth=2
	s_or_b32 exec_lo, exec_lo, s40
	s_and_saveexec_b32 s40, s35
	s_cbranch_execnz .LBB604_612
.LBB604_542:                            ;   in Loop: Header=BB604_410 Depth=2
	s_or_b32 exec_lo, exec_lo, s40
	s_and_saveexec_b32 s40, s36
	s_cbranch_execnz .LBB604_613
.LBB604_543:                            ;   in Loop: Header=BB604_410 Depth=2
	s_or_b32 exec_lo, exec_lo, s40
	s_and_saveexec_b32 s40, s37
	s_cbranch_execnz .LBB604_614
.LBB604_544:                            ;   in Loop: Header=BB604_410 Depth=2
	s_or_b32 exec_lo, exec_lo, s40
	s_and_saveexec_b32 s40, s38
	s_cbranch_execnz .LBB604_615
.LBB604_545:                            ;   in Loop: Header=BB604_410 Depth=2
	s_or_b32 exec_lo, exec_lo, s40
	s_and_saveexec_b32 s40, s39
	s_cbranch_execz .LBB604_547
.LBB604_546:                            ;   in Loop: Header=BB604_410 Depth=2
	ds_read_b32 v3, v69 offset:16896
	s_waitcnt lgkmcnt(0)
	v_lshrrev_b32_e32 v3, s61, v3
	v_and_b32_e32 v137, s62, v3
.LBB604_547:                            ;   in Loop: Header=BB604_410 Depth=2
	s_or_b32 exec_lo, exec_lo, s40
	v_lshlrev_b32_e32 v3, 3, v179
	v_lshlrev_b32_e32 v39, 3, v178
	s_waitcnt vmcnt(0)
	s_waitcnt_vscnt null, 0x0
	s_barrier
	buffer_gl0_inv
	ds_write_b64 v3, v[37:38] offset:512
	ds_write_b64 v39, v[35:36] offset:512
	v_lshlrev_b32_e32 v3, 3, v174
	v_lshlrev_b32_e32 v39, 3, v173
	v_lshlrev_b32_e32 v40, 3, v172
	v_lshlrev_b32_e32 v156, 3, v171
	v_lshlrev_b32_e32 v157, 3, v169
	ds_write_b64 v3, v[33:34] offset:512
	ds_write_b64 v39, v[31:32] offset:512
	ds_write_b64 v40, v[29:30] offset:512
	ds_write_b64 v156, v[25:26] offset:512
	ds_write_b64 v157, v[21:22] offset:512
	v_lshlrev_b32_e32 v3, 3, v168
	v_lshlrev_b32_e32 v39, 3, v167
	v_lshlrev_b32_e32 v40, 3, v166
	v_lshlrev_b32_e32 v156, 3, v164
	v_lshlrev_b32_e32 v157, 3, v163
	ds_write_b64 v3, v[17:18] offset:512
	ds_write_b64 v39, v[27:28] offset:512
	ds_write_b64 v40, v[23:24] offset:512
	;; [unrolled: 10-line block ×3, first 2 shown]
	ds_write_b64 v41, v[7:8] offset:512
	ds_write_b64 v42, v[5:6] offset:512
	s_waitcnt lgkmcnt(0)
	s_barrier
	buffer_gl0_inv
	s_and_saveexec_b32 s40, vcc_lo
	s_cbranch_execnz .LBB604_616
; %bb.548:                              ;   in Loop: Header=BB604_410 Depth=2
	s_or_b32 exec_lo, exec_lo, s40
	s_and_saveexec_b32 s40, s22
	s_cbranch_execnz .LBB604_617
.LBB604_549:                            ;   in Loop: Header=BB604_410 Depth=2
	s_or_b32 exec_lo, exec_lo, s40
	s_and_saveexec_b32 s22, s23
	s_cbranch_execnz .LBB604_618
.LBB604_550:                            ;   in Loop: Header=BB604_410 Depth=2
	s_or_b32 exec_lo, exec_lo, s22
	s_and_saveexec_b32 s22, s24
	s_cbranch_execnz .LBB604_619
.LBB604_551:                            ;   in Loop: Header=BB604_410 Depth=2
	s_or_b32 exec_lo, exec_lo, s22
	s_and_saveexec_b32 s22, s25
	s_cbranch_execnz .LBB604_620
.LBB604_552:                            ;   in Loop: Header=BB604_410 Depth=2
	s_or_b32 exec_lo, exec_lo, s22
	s_and_saveexec_b32 s22, s26
	s_cbranch_execnz .LBB604_621
.LBB604_553:                            ;   in Loop: Header=BB604_410 Depth=2
	s_or_b32 exec_lo, exec_lo, s22
	s_and_saveexec_b32 s22, s27
	s_cbranch_execnz .LBB604_622
.LBB604_554:                            ;   in Loop: Header=BB604_410 Depth=2
	s_or_b32 exec_lo, exec_lo, s22
	s_and_saveexec_b32 s22, s29
	s_cbranch_execnz .LBB604_623
.LBB604_555:                            ;   in Loop: Header=BB604_410 Depth=2
	s_or_b32 exec_lo, exec_lo, s22
	s_and_saveexec_b32 s22, s30
	s_cbranch_execnz .LBB604_624
.LBB604_556:                            ;   in Loop: Header=BB604_410 Depth=2
	s_or_b32 exec_lo, exec_lo, s22
	s_and_saveexec_b32 s22, s31
	s_cbranch_execnz .LBB604_625
.LBB604_557:                            ;   in Loop: Header=BB604_410 Depth=2
	s_or_b32 exec_lo, exec_lo, s22
	s_and_saveexec_b32 s22, s33
	s_cbranch_execnz .LBB604_626
.LBB604_558:                            ;   in Loop: Header=BB604_410 Depth=2
	s_or_b32 exec_lo, exec_lo, s22
	s_and_saveexec_b32 s22, s34
	s_cbranch_execnz .LBB604_627
.LBB604_559:                            ;   in Loop: Header=BB604_410 Depth=2
	s_or_b32 exec_lo, exec_lo, s22
	s_and_saveexec_b32 s22, s35
	s_cbranch_execnz .LBB604_628
.LBB604_560:                            ;   in Loop: Header=BB604_410 Depth=2
	s_or_b32 exec_lo, exec_lo, s22
	s_and_saveexec_b32 s22, s36
	s_cbranch_execnz .LBB604_629
.LBB604_561:                            ;   in Loop: Header=BB604_410 Depth=2
	s_or_b32 exec_lo, exec_lo, s22
	s_and_saveexec_b32 s22, s37
	s_cbranch_execnz .LBB604_630
.LBB604_562:                            ;   in Loop: Header=BB604_410 Depth=2
	s_or_b32 exec_lo, exec_lo, s22
	s_and_saveexec_b32 s22, s38
	s_cbranch_execnz .LBB604_631
.LBB604_563:                            ;   in Loop: Header=BB604_410 Depth=2
	s_or_b32 exec_lo, exec_lo, s22
	s_and_saveexec_b32 s22, s39
	s_cbranch_execz .LBB604_565
.LBB604_564:                            ;   in Loop: Header=BB604_410 Depth=2
	v_lshlrev_b32_e32 v3, 2, v137
	v_add_nc_u32_e32 v39, v69, v43
	ds_read_b32 v3, v3
	ds_read_b64 v[39:40], v39 offset:33280
	s_waitcnt lgkmcnt(1)
	v_add_nc_u32_e32 v3, v3, v61
	v_lshlrev_b64 v[41:42], 3, v[3:4]
	v_add_co_u32 v41, vcc_lo, s54, v41
	v_add_co_ci_u32_e64 v42, null, s55, v42, vcc_lo
	s_waitcnt lgkmcnt(0)
	global_store_dwordx2 v[41:42], v[39:40], off
.LBB604_565:                            ;   in Loop: Header=BB604_410 Depth=2
	s_or_b32 exec_lo, exec_lo, s22
	s_waitcnt_vscnt null, 0x0
	s_barrier
	buffer_gl0_inv
	s_and_saveexec_b32 s22, s7
	s_cbranch_execz .LBB604_409
; %bb.566:                              ;   in Loop: Header=BB604_410 Depth=2
	ds_read_b32 v3, v43
	s_waitcnt lgkmcnt(0)
	v_add3_u32 v3, v152, v155, v3
	ds_write_b32 v43, v3
	s_branch .LBB604_409
.LBB604_567:                            ;   in Loop: Header=BB604_410 Depth=2
	ds_read_b32 v157, v69 offset:512
	s_waitcnt lgkmcnt(0)
	v_lshrrev_b32_e32 v3, s61, v157
	v_and_b32_e32 v3, s62, v3
	v_lshlrev_b32_e32 v3, 2, v3
	ds_read_b32 v3, v3
	s_waitcnt lgkmcnt(0)
	v_add_nc_u32_e32 v3, v3, v0
	v_lshlrev_b64 v[39:40], 2, v[3:4]
	v_xor_b32_e32 v3, 0x80000000, v157
	v_add_co_u32 v39, s22, s48, v39
	v_add_co_ci_u32_e64 v40, null, s49, v40, s22
	global_store_dword v[39:40], v3, off
	s_or_b32 exec_lo, exec_lo, s23
	v_cmp_lt_u32_e64 s22, v44, v156
	s_and_saveexec_b32 s24, s22
	s_cbranch_execz .LBB604_496
.LBB604_568:                            ;   in Loop: Header=BB604_410 Depth=2
	ds_read_b32 v157, v69 offset:1536
	s_waitcnt lgkmcnt(0)
	v_lshrrev_b32_e32 v3, s61, v157
	v_and_b32_e32 v3, s62, v3
	v_lshlrev_b32_e32 v3, 2, v3
	ds_read_b32 v3, v3
	s_waitcnt lgkmcnt(0)
	v_add_nc_u32_e32 v3, v3, v44
	v_lshlrev_b64 v[39:40], 2, v[3:4]
	v_xor_b32_e32 v3, 0x80000000, v157
	v_add_co_u32 v39, s23, s48, v39
	v_add_co_ci_u32_e64 v40, null, s49, v40, s23
	global_store_dword v[39:40], v3, off
	s_or_b32 exec_lo, exec_lo, s24
	v_cmp_lt_u32_e64 s23, v47, v156
	s_and_saveexec_b32 s25, s23
	s_cbranch_execz .LBB604_497
.LBB604_569:                            ;   in Loop: Header=BB604_410 Depth=2
	ds_read_b32 v157, v69 offset:2560
	s_waitcnt lgkmcnt(0)
	v_lshrrev_b32_e32 v3, s61, v157
	v_and_b32_e32 v3, s62, v3
	v_lshlrev_b32_e32 v3, 2, v3
	ds_read_b32 v3, v3
	s_waitcnt lgkmcnt(0)
	v_add_nc_u32_e32 v3, v3, v47
	v_lshlrev_b64 v[39:40], 2, v[3:4]
	v_xor_b32_e32 v3, 0x80000000, v157
	v_add_co_u32 v39, s24, s48, v39
	v_add_co_ci_u32_e64 v40, null, s49, v40, s24
	global_store_dword v[39:40], v3, off
	s_or_b32 exec_lo, exec_lo, s25
	v_cmp_lt_u32_e64 s24, v48, v156
	s_and_saveexec_b32 s26, s24
	s_cbranch_execz .LBB604_498
.LBB604_570:                            ;   in Loop: Header=BB604_410 Depth=2
	ds_read_b32 v157, v69 offset:3584
	s_waitcnt lgkmcnt(0)
	v_lshrrev_b32_e32 v3, s61, v157
	v_and_b32_e32 v3, s62, v3
	v_lshlrev_b32_e32 v3, 2, v3
	ds_read_b32 v3, v3
	s_waitcnt lgkmcnt(0)
	v_add_nc_u32_e32 v3, v3, v48
	v_lshlrev_b64 v[39:40], 2, v[3:4]
	v_xor_b32_e32 v3, 0x80000000, v157
	v_add_co_u32 v39, s25, s48, v39
	v_add_co_ci_u32_e64 v40, null, s49, v40, s25
	global_store_dword v[39:40], v3, off
	s_or_b32 exec_lo, exec_lo, s26
	v_cmp_lt_u32_e64 s25, v49, v156
	s_and_saveexec_b32 s27, s25
	s_cbranch_execz .LBB604_499
.LBB604_571:                            ;   in Loop: Header=BB604_410 Depth=2
	ds_read_b32 v157, v69 offset:4608
	s_waitcnt lgkmcnt(0)
	v_lshrrev_b32_e32 v3, s61, v157
	v_and_b32_e32 v3, s62, v3
	v_lshlrev_b32_e32 v3, 2, v3
	ds_read_b32 v3, v3
	s_waitcnt lgkmcnt(0)
	v_add_nc_u32_e32 v3, v3, v49
	v_lshlrev_b64 v[39:40], 2, v[3:4]
	v_xor_b32_e32 v3, 0x80000000, v157
	v_add_co_u32 v39, s26, s48, v39
	v_add_co_ci_u32_e64 v40, null, s49, v40, s26
	global_store_dword v[39:40], v3, off
	s_or_b32 exec_lo, exec_lo, s27
	v_cmp_lt_u32_e64 s26, v50, v156
	s_and_saveexec_b32 s29, s26
	s_cbranch_execz .LBB604_500
.LBB604_572:                            ;   in Loop: Header=BB604_410 Depth=2
	ds_read_b32 v157, v69 offset:5632
	s_waitcnt lgkmcnt(0)
	v_lshrrev_b32_e32 v3, s61, v157
	v_and_b32_e32 v3, s62, v3
	v_lshlrev_b32_e32 v3, 2, v3
	ds_read_b32 v3, v3
	s_waitcnt lgkmcnt(0)
	v_add_nc_u32_e32 v3, v3, v50
	v_lshlrev_b64 v[39:40], 2, v[3:4]
	v_xor_b32_e32 v3, 0x80000000, v157
	v_add_co_u32 v39, s27, s48, v39
	v_add_co_ci_u32_e64 v40, null, s49, v40, s27
	global_store_dword v[39:40], v3, off
	s_or_b32 exec_lo, exec_lo, s29
	v_cmp_lt_u32_e64 s27, v51, v156
	s_and_saveexec_b32 s30, s27
	s_cbranch_execz .LBB604_501
.LBB604_573:                            ;   in Loop: Header=BB604_410 Depth=2
	ds_read_b32 v157, v69 offset:6656
	s_waitcnt lgkmcnt(0)
	v_lshrrev_b32_e32 v3, s61, v157
	v_and_b32_e32 v3, s62, v3
	v_lshlrev_b32_e32 v3, 2, v3
	ds_read_b32 v3, v3
	s_waitcnt lgkmcnt(0)
	v_add_nc_u32_e32 v3, v3, v51
	v_lshlrev_b64 v[39:40], 2, v[3:4]
	v_xor_b32_e32 v3, 0x80000000, v157
	v_add_co_u32 v39, s29, s48, v39
	v_add_co_ci_u32_e64 v40, null, s49, v40, s29
	global_store_dword v[39:40], v3, off
	s_or_b32 exec_lo, exec_lo, s30
	v_cmp_lt_u32_e64 s29, v52, v156
	s_and_saveexec_b32 s31, s29
	s_cbranch_execz .LBB604_502
.LBB604_574:                            ;   in Loop: Header=BB604_410 Depth=2
	ds_read_b32 v157, v69 offset:7680
	s_waitcnt lgkmcnt(0)
	v_lshrrev_b32_e32 v3, s61, v157
	v_and_b32_e32 v3, s62, v3
	v_lshlrev_b32_e32 v3, 2, v3
	ds_read_b32 v3, v3
	s_waitcnt lgkmcnt(0)
	v_add_nc_u32_e32 v3, v3, v52
	v_lshlrev_b64 v[39:40], 2, v[3:4]
	v_xor_b32_e32 v3, 0x80000000, v157
	v_add_co_u32 v39, s30, s48, v39
	v_add_co_ci_u32_e64 v40, null, s49, v40, s30
	global_store_dword v[39:40], v3, off
	s_or_b32 exec_lo, exec_lo, s31
	v_cmp_lt_u32_e64 s30, v53, v156
	s_and_saveexec_b32 s33, s30
	s_cbranch_execz .LBB604_503
.LBB604_575:                            ;   in Loop: Header=BB604_410 Depth=2
	ds_read_b32 v157, v69 offset:8704
	s_waitcnt lgkmcnt(0)
	v_lshrrev_b32_e32 v3, s61, v157
	v_and_b32_e32 v3, s62, v3
	v_lshlrev_b32_e32 v3, 2, v3
	ds_read_b32 v3, v3
	s_waitcnt lgkmcnt(0)
	v_add_nc_u32_e32 v3, v3, v53
	v_lshlrev_b64 v[39:40], 2, v[3:4]
	v_xor_b32_e32 v3, 0x80000000, v157
	v_add_co_u32 v39, s31, s48, v39
	v_add_co_ci_u32_e64 v40, null, s49, v40, s31
	global_store_dword v[39:40], v3, off
	s_or_b32 exec_lo, exec_lo, s33
	v_cmp_lt_u32_e64 s31, v54, v156
	s_and_saveexec_b32 s34, s31
	s_cbranch_execz .LBB604_504
.LBB604_576:                            ;   in Loop: Header=BB604_410 Depth=2
	ds_read_b32 v157, v69 offset:9728
	s_waitcnt lgkmcnt(0)
	v_lshrrev_b32_e32 v3, s61, v157
	v_and_b32_e32 v3, s62, v3
	v_lshlrev_b32_e32 v3, 2, v3
	ds_read_b32 v3, v3
	s_waitcnt lgkmcnt(0)
	v_add_nc_u32_e32 v3, v3, v54
	v_lshlrev_b64 v[39:40], 2, v[3:4]
	v_xor_b32_e32 v3, 0x80000000, v157
	v_add_co_u32 v39, s33, s48, v39
	v_add_co_ci_u32_e64 v40, null, s49, v40, s33
	global_store_dword v[39:40], v3, off
	s_or_b32 exec_lo, exec_lo, s34
	v_cmp_lt_u32_e64 s33, v55, v156
	s_and_saveexec_b32 s35, s33
	s_cbranch_execz .LBB604_505
.LBB604_577:                            ;   in Loop: Header=BB604_410 Depth=2
	ds_read_b32 v157, v69 offset:10752
	s_waitcnt lgkmcnt(0)
	v_lshrrev_b32_e32 v3, s61, v157
	v_and_b32_e32 v3, s62, v3
	v_lshlrev_b32_e32 v3, 2, v3
	ds_read_b32 v3, v3
	s_waitcnt lgkmcnt(0)
	v_add_nc_u32_e32 v3, v3, v55
	v_lshlrev_b64 v[39:40], 2, v[3:4]
	v_xor_b32_e32 v3, 0x80000000, v157
	v_add_co_u32 v39, s34, s48, v39
	v_add_co_ci_u32_e64 v40, null, s49, v40, s34
	global_store_dword v[39:40], v3, off
	s_or_b32 exec_lo, exec_lo, s35
	v_cmp_lt_u32_e64 s34, v56, v156
	s_and_saveexec_b32 s36, s34
	s_cbranch_execz .LBB604_506
.LBB604_578:                            ;   in Loop: Header=BB604_410 Depth=2
	ds_read_b32 v157, v69 offset:11776
	s_waitcnt lgkmcnt(0)
	v_lshrrev_b32_e32 v3, s61, v157
	v_and_b32_e32 v3, s62, v3
	v_lshlrev_b32_e32 v3, 2, v3
	ds_read_b32 v3, v3
	s_waitcnt lgkmcnt(0)
	v_add_nc_u32_e32 v3, v3, v56
	v_lshlrev_b64 v[39:40], 2, v[3:4]
	v_xor_b32_e32 v3, 0x80000000, v157
	v_add_co_u32 v39, s35, s48, v39
	v_add_co_ci_u32_e64 v40, null, s49, v40, s35
	global_store_dword v[39:40], v3, off
	s_or_b32 exec_lo, exec_lo, s36
	v_cmp_lt_u32_e64 s35, v57, v156
	s_and_saveexec_b32 s37, s35
	s_cbranch_execz .LBB604_507
.LBB604_579:                            ;   in Loop: Header=BB604_410 Depth=2
	ds_read_b32 v157, v69 offset:12800
	s_waitcnt lgkmcnt(0)
	v_lshrrev_b32_e32 v3, s61, v157
	v_and_b32_e32 v3, s62, v3
	v_lshlrev_b32_e32 v3, 2, v3
	ds_read_b32 v3, v3
	s_waitcnt lgkmcnt(0)
	v_add_nc_u32_e32 v3, v3, v57
	v_lshlrev_b64 v[39:40], 2, v[3:4]
	v_xor_b32_e32 v3, 0x80000000, v157
	v_add_co_u32 v39, s36, s48, v39
	v_add_co_ci_u32_e64 v40, null, s49, v40, s36
	global_store_dword v[39:40], v3, off
	s_or_b32 exec_lo, exec_lo, s37
	v_cmp_lt_u32_e64 s36, v58, v156
	s_and_saveexec_b32 s38, s36
	s_cbranch_execz .LBB604_508
.LBB604_580:                            ;   in Loop: Header=BB604_410 Depth=2
	ds_read_b32 v157, v69 offset:13824
	s_waitcnt lgkmcnt(0)
	v_lshrrev_b32_e32 v3, s61, v157
	v_and_b32_e32 v3, s62, v3
	v_lshlrev_b32_e32 v3, 2, v3
	ds_read_b32 v3, v3
	s_waitcnt lgkmcnt(0)
	v_add_nc_u32_e32 v3, v3, v58
	v_lshlrev_b64 v[39:40], 2, v[3:4]
	v_xor_b32_e32 v3, 0x80000000, v157
	v_add_co_u32 v39, s37, s48, v39
	v_add_co_ci_u32_e64 v40, null, s49, v40, s37
	global_store_dword v[39:40], v3, off
	s_or_b32 exec_lo, exec_lo, s38
	v_cmp_lt_u32_e64 s37, v59, v156
	s_and_saveexec_b32 s39, s37
	s_cbranch_execz .LBB604_509
.LBB604_581:                            ;   in Loop: Header=BB604_410 Depth=2
	ds_read_b32 v157, v69 offset:14848
	s_waitcnt lgkmcnt(0)
	v_lshrrev_b32_e32 v3, s61, v157
	v_and_b32_e32 v3, s62, v3
	v_lshlrev_b32_e32 v3, 2, v3
	ds_read_b32 v3, v3
	s_waitcnt lgkmcnt(0)
	v_add_nc_u32_e32 v3, v3, v59
	v_lshlrev_b64 v[39:40], 2, v[3:4]
	v_xor_b32_e32 v3, 0x80000000, v157
	v_add_co_u32 v39, s38, s48, v39
	v_add_co_ci_u32_e64 v40, null, s49, v40, s38
	global_store_dword v[39:40], v3, off
	s_or_b32 exec_lo, exec_lo, s39
	v_cmp_lt_u32_e64 s38, v60, v156
	s_and_saveexec_b32 s40, s38
	s_cbranch_execz .LBB604_510
.LBB604_582:                            ;   in Loop: Header=BB604_410 Depth=2
	ds_read_b32 v157, v69 offset:15872
	s_waitcnt lgkmcnt(0)
	v_lshrrev_b32_e32 v3, s61, v157
	v_and_b32_e32 v3, s62, v3
	v_lshlrev_b32_e32 v3, 2, v3
	ds_read_b32 v3, v3
	s_waitcnt lgkmcnt(0)
	v_add_nc_u32_e32 v3, v3, v60
	v_lshlrev_b64 v[39:40], 2, v[3:4]
	v_xor_b32_e32 v3, 0x80000000, v157
	v_add_co_u32 v39, s39, s48, v39
	v_add_co_ci_u32_e64 v40, null, s49, v40, s39
	global_store_dword v[39:40], v3, off
	s_or_b32 exec_lo, exec_lo, s40
	v_cmp_lt_u32_e64 s39, v61, v156
	s_and_saveexec_b32 s65, s39
	s_cbranch_execnz .LBB604_511
	s_branch .LBB604_512
.LBB604_583:                            ;   in Loop: Header=BB604_410 Depth=2
	global_load_dwordx2 v[37:38], v[39:40], off
	s_or_b32 exec_lo, exec_lo, s40
	s_mov_b32 s50, exec_lo
	v_cmpx_lt_u32_e64 v112, v156
	s_cbranch_execz .LBB604_514
.LBB604_584:                            ;   in Loop: Header=BB604_410 Depth=2
	global_load_dwordx2 v[35:36], v[39:40], off offset:256
	s_or_b32 exec_lo, exec_lo, s50
	s_mov_b32 s50, exec_lo
	v_cmpx_lt_u32_e64 v113, v156
	s_cbranch_execz .LBB604_515
.LBB604_585:                            ;   in Loop: Header=BB604_410 Depth=2
	global_load_dwordx2 v[33:34], v[39:40], off offset:512
	s_or_b32 exec_lo, exec_lo, s50
	s_mov_b32 s50, exec_lo
	v_cmpx_lt_u32_e64 v114, v156
	s_cbranch_execz .LBB604_516
.LBB604_586:                            ;   in Loop: Header=BB604_410 Depth=2
	global_load_dwordx2 v[31:32], v[39:40], off offset:768
	s_or_b32 exec_lo, exec_lo, s50
	s_mov_b32 s50, exec_lo
	v_cmpx_lt_u32_e64 v115, v156
	s_cbranch_execz .LBB604_517
.LBB604_587:                            ;   in Loop: Header=BB604_410 Depth=2
	global_load_dwordx2 v[29:30], v[39:40], off offset:1024
	s_or_b32 exec_lo, exec_lo, s50
	s_mov_b32 s50, exec_lo
	v_cmpx_lt_u32_e64 v116, v156
	s_cbranch_execz .LBB604_518
.LBB604_588:                            ;   in Loop: Header=BB604_410 Depth=2
	global_load_dwordx2 v[25:26], v[39:40], off offset:1280
	s_or_b32 exec_lo, exec_lo, s50
	s_mov_b32 s50, exec_lo
	v_cmpx_lt_u32_e64 v117, v156
	s_cbranch_execz .LBB604_519
.LBB604_589:                            ;   in Loop: Header=BB604_410 Depth=2
	global_load_dwordx2 v[21:22], v[39:40], off offset:1536
	s_or_b32 exec_lo, exec_lo, s50
	s_mov_b32 s50, exec_lo
	v_cmpx_lt_u32_e64 v118, v156
	s_cbranch_execz .LBB604_520
.LBB604_590:                            ;   in Loop: Header=BB604_410 Depth=2
	global_load_dwordx2 v[17:18], v[39:40], off offset:1792
	s_or_b32 exec_lo, exec_lo, s50
	s_mov_b32 s50, exec_lo
	v_cmpx_lt_u32_e64 v119, v156
	s_cbranch_execz .LBB604_521
.LBB604_591:                            ;   in Loop: Header=BB604_410 Depth=2
	v_add_co_u32 v27, s40, 0x800, v39
	v_add_co_ci_u32_e64 v28, null, 0, v40, s40
	global_load_dwordx2 v[27:28], v[27:28], off
	s_or_b32 exec_lo, exec_lo, s50
	s_mov_b32 s50, exec_lo
	v_cmpx_lt_u32_e64 v120, v156
	s_cbranch_execz .LBB604_522
.LBB604_592:                            ;   in Loop: Header=BB604_410 Depth=2
	v_add_co_u32 v23, s40, 0x800, v39
	v_add_co_ci_u32_e64 v24, null, 0, v40, s40
	global_load_dwordx2 v[23:24], v[23:24], off offset:256
	s_or_b32 exec_lo, exec_lo, s50
	s_mov_b32 s50, exec_lo
	v_cmpx_lt_u32_e64 v121, v156
	s_cbranch_execz .LBB604_523
.LBB604_593:                            ;   in Loop: Header=BB604_410 Depth=2
	v_add_co_u32 v19, s40, 0x800, v39
	v_add_co_ci_u32_e64 v20, null, 0, v40, s40
	global_load_dwordx2 v[19:20], v[19:20], off offset:512
	s_or_b32 exec_lo, exec_lo, s50
	s_mov_b32 s50, exec_lo
	v_cmpx_lt_u32_e64 v122, v156
	s_cbranch_execz .LBB604_524
.LBB604_594:                            ;   in Loop: Header=BB604_410 Depth=2
	v_add_co_u32 v15, s40, 0x800, v39
	v_add_co_ci_u32_e64 v16, null, 0, v40, s40
	global_load_dwordx2 v[15:16], v[15:16], off offset:768
	s_or_b32 exec_lo, exec_lo, s50
	s_mov_b32 s50, exec_lo
	v_cmpx_lt_u32_e64 v123, v156
	s_cbranch_execz .LBB604_525
.LBB604_595:                            ;   in Loop: Header=BB604_410 Depth=2
	v_add_co_u32 v13, s40, 0x800, v39
	v_add_co_ci_u32_e64 v14, null, 0, v40, s40
	global_load_dwordx2 v[13:14], v[13:14], off offset:1024
	s_or_b32 exec_lo, exec_lo, s50
	s_mov_b32 s50, exec_lo
	v_cmpx_lt_u32_e64 v124, v156
	s_cbranch_execz .LBB604_526
.LBB604_596:                            ;   in Loop: Header=BB604_410 Depth=2
	v_add_co_u32 v11, s40, 0x800, v39
	v_add_co_ci_u32_e64 v12, null, 0, v40, s40
	global_load_dwordx2 v[11:12], v[11:12], off offset:1280
	s_or_b32 exec_lo, exec_lo, s50
	s_mov_b32 s50, exec_lo
	v_cmpx_lt_u32_e64 v126, v156
	s_cbranch_execz .LBB604_527
.LBB604_597:                            ;   in Loop: Header=BB604_410 Depth=2
	v_add_co_u32 v9, s40, 0x800, v39
	v_add_co_ci_u32_e64 v10, null, 0, v40, s40
	global_load_dwordx2 v[9:10], v[9:10], off offset:1536
	s_or_b32 exec_lo, exec_lo, s50
	s_mov_b32 s50, exec_lo
	v_cmpx_lt_u32_e64 v127, v156
	s_cbranch_execz .LBB604_528
.LBB604_598:                            ;   in Loop: Header=BB604_410 Depth=2
	v_add_co_u32 v7, s40, 0x800, v39
	v_add_co_ci_u32_e64 v8, null, 0, v40, s40
	global_load_dwordx2 v[7:8], v[7:8], off offset:1792
	s_or_b32 exec_lo, exec_lo, s50
	s_mov_b32 s50, exec_lo
	v_cmpx_lt_u32_e64 v128, v156
	s_cbranch_execz .LBB604_529
.LBB604_599:                            ;   in Loop: Header=BB604_410 Depth=2
	v_add_co_u32 v5, s40, 0x1000, v39
	v_add_co_ci_u32_e64 v6, null, 0, v40, s40
	global_load_dwordx2 v[5:6], v[5:6], off
	s_or_b32 exec_lo, exec_lo, s50
	s_and_saveexec_b32 s40, vcc_lo
	s_cbranch_execz .LBB604_530
.LBB604_600:                            ;   in Loop: Header=BB604_410 Depth=2
	ds_read_b32 v3, v69 offset:512
	s_waitcnt lgkmcnt(0)
	v_lshrrev_b32_e32 v3, s61, v3
	v_and_b32_e32 v154, s62, v3
	s_or_b32 exec_lo, exec_lo, s40
	s_and_saveexec_b32 s40, s22
	s_cbranch_execz .LBB604_531
.LBB604_601:                            ;   in Loop: Header=BB604_410 Depth=2
	ds_read_b32 v3, v69 offset:1536
	s_waitcnt lgkmcnt(0)
	v_lshrrev_b32_e32 v3, s61, v3
	v_and_b32_e32 v153, s62, v3
	s_or_b32 exec_lo, exec_lo, s40
	s_and_saveexec_b32 s40, s23
	s_cbranch_execz .LBB604_532
.LBB604_602:                            ;   in Loop: Header=BB604_410 Depth=2
	ds_read_b32 v3, v69 offset:2560
	s_waitcnt lgkmcnt(0)
	v_lshrrev_b32_e32 v3, s61, v3
	v_and_b32_e32 v151, s62, v3
	s_or_b32 exec_lo, exec_lo, s40
	s_and_saveexec_b32 s40, s24
	s_cbranch_execz .LBB604_533
.LBB604_603:                            ;   in Loop: Header=BB604_410 Depth=2
	ds_read_b32 v3, v69 offset:3584
	s_waitcnt lgkmcnt(0)
	v_lshrrev_b32_e32 v3, s61, v3
	v_and_b32_e32 v150, s62, v3
	s_or_b32 exec_lo, exec_lo, s40
	s_and_saveexec_b32 s40, s25
	s_cbranch_execz .LBB604_534
.LBB604_604:                            ;   in Loop: Header=BB604_410 Depth=2
	ds_read_b32 v3, v69 offset:4608
	s_waitcnt lgkmcnt(0)
	v_lshrrev_b32_e32 v3, s61, v3
	v_and_b32_e32 v149, s62, v3
	s_or_b32 exec_lo, exec_lo, s40
	s_and_saveexec_b32 s40, s26
	s_cbranch_execz .LBB604_535
.LBB604_605:                            ;   in Loop: Header=BB604_410 Depth=2
	ds_read_b32 v3, v69 offset:5632
	s_waitcnt lgkmcnt(0)
	v_lshrrev_b32_e32 v3, s61, v3
	v_and_b32_e32 v148, s62, v3
	s_or_b32 exec_lo, exec_lo, s40
	s_and_saveexec_b32 s40, s27
	s_cbranch_execz .LBB604_536
.LBB604_606:                            ;   in Loop: Header=BB604_410 Depth=2
	ds_read_b32 v3, v69 offset:6656
	s_waitcnt lgkmcnt(0)
	v_lshrrev_b32_e32 v3, s61, v3
	v_and_b32_e32 v147, s62, v3
	s_or_b32 exec_lo, exec_lo, s40
	s_and_saveexec_b32 s40, s29
	s_cbranch_execz .LBB604_537
.LBB604_607:                            ;   in Loop: Header=BB604_410 Depth=2
	ds_read_b32 v3, v69 offset:7680
	s_waitcnt lgkmcnt(0)
	v_lshrrev_b32_e32 v3, s61, v3
	v_and_b32_e32 v146, s62, v3
	s_or_b32 exec_lo, exec_lo, s40
	s_and_saveexec_b32 s40, s30
	s_cbranch_execz .LBB604_538
.LBB604_608:                            ;   in Loop: Header=BB604_410 Depth=2
	ds_read_b32 v3, v69 offset:8704
	s_waitcnt lgkmcnt(0)
	v_lshrrev_b32_e32 v3, s61, v3
	v_and_b32_e32 v145, s62, v3
	s_or_b32 exec_lo, exec_lo, s40
	s_and_saveexec_b32 s40, s31
	s_cbranch_execz .LBB604_539
.LBB604_609:                            ;   in Loop: Header=BB604_410 Depth=2
	ds_read_b32 v3, v69 offset:9728
	s_waitcnt lgkmcnt(0)
	v_lshrrev_b32_e32 v3, s61, v3
	v_and_b32_e32 v144, s62, v3
	s_or_b32 exec_lo, exec_lo, s40
	s_and_saveexec_b32 s40, s33
	s_cbranch_execz .LBB604_540
.LBB604_610:                            ;   in Loop: Header=BB604_410 Depth=2
	ds_read_b32 v3, v69 offset:10752
	s_waitcnt lgkmcnt(0)
	v_lshrrev_b32_e32 v3, s61, v3
	v_and_b32_e32 v143, s62, v3
	s_or_b32 exec_lo, exec_lo, s40
	s_and_saveexec_b32 s40, s34
	s_cbranch_execz .LBB604_541
.LBB604_611:                            ;   in Loop: Header=BB604_410 Depth=2
	ds_read_b32 v3, v69 offset:11776
	s_waitcnt lgkmcnt(0)
	v_lshrrev_b32_e32 v3, s61, v3
	v_and_b32_e32 v142, s62, v3
	s_or_b32 exec_lo, exec_lo, s40
	s_and_saveexec_b32 s40, s35
	s_cbranch_execz .LBB604_542
.LBB604_612:                            ;   in Loop: Header=BB604_410 Depth=2
	ds_read_b32 v3, v69 offset:12800
	s_waitcnt lgkmcnt(0)
	v_lshrrev_b32_e32 v3, s61, v3
	v_and_b32_e32 v141, s62, v3
	s_or_b32 exec_lo, exec_lo, s40
	s_and_saveexec_b32 s40, s36
	s_cbranch_execz .LBB604_543
.LBB604_613:                            ;   in Loop: Header=BB604_410 Depth=2
	ds_read_b32 v3, v69 offset:13824
	s_waitcnt lgkmcnt(0)
	v_lshrrev_b32_e32 v3, s61, v3
	v_and_b32_e32 v140, s62, v3
	s_or_b32 exec_lo, exec_lo, s40
	s_and_saveexec_b32 s40, s37
	s_cbranch_execz .LBB604_544
.LBB604_614:                            ;   in Loop: Header=BB604_410 Depth=2
	ds_read_b32 v3, v69 offset:14848
	s_waitcnt lgkmcnt(0)
	v_lshrrev_b32_e32 v3, s61, v3
	v_and_b32_e32 v139, s62, v3
	s_or_b32 exec_lo, exec_lo, s40
	s_and_saveexec_b32 s40, s38
	s_cbranch_execz .LBB604_545
.LBB604_615:                            ;   in Loop: Header=BB604_410 Depth=2
	ds_read_b32 v3, v69 offset:15872
	s_waitcnt lgkmcnt(0)
	v_lshrrev_b32_e32 v3, s61, v3
	v_and_b32_e32 v138, s62, v3
	s_or_b32 exec_lo, exec_lo, s40
	s_and_saveexec_b32 s40, s39
	s_cbranch_execnz .LBB604_546
	s_branch .LBB604_547
.LBB604_616:                            ;   in Loop: Header=BB604_410 Depth=2
	v_lshlrev_b32_e32 v3, 2, v154
	v_add_nc_u32_e32 v39, v69, v43
	ds_read_b32 v3, v3
	ds_read_b64 v[39:40], v39 offset:512
	s_waitcnt lgkmcnt(1)
	v_add_nc_u32_e32 v3, v3, v0
	v_lshlrev_b64 v[41:42], 3, v[3:4]
	v_add_co_u32 v41, vcc_lo, s54, v41
	v_add_co_ci_u32_e64 v42, null, s55, v42, vcc_lo
	s_waitcnt lgkmcnt(0)
	global_store_dwordx2 v[41:42], v[39:40], off
	s_or_b32 exec_lo, exec_lo, s40
	s_and_saveexec_b32 s40, s22
	s_cbranch_execz .LBB604_549
.LBB604_617:                            ;   in Loop: Header=BB604_410 Depth=2
	v_lshlrev_b32_e32 v3, 2, v153
	v_add_nc_u32_e32 v39, v69, v43
	ds_read_b32 v3, v3
	ds_read_b64 v[39:40], v39 offset:2560
	s_waitcnt lgkmcnt(1)
	v_add_nc_u32_e32 v3, v3, v44
	v_lshlrev_b64 v[41:42], 3, v[3:4]
	v_add_co_u32 v41, vcc_lo, s54, v41
	v_add_co_ci_u32_e64 v42, null, s55, v42, vcc_lo
	s_waitcnt lgkmcnt(0)
	global_store_dwordx2 v[41:42], v[39:40], off
	s_or_b32 exec_lo, exec_lo, s40
	s_and_saveexec_b32 s22, s23
	s_cbranch_execz .LBB604_550
.LBB604_618:                            ;   in Loop: Header=BB604_410 Depth=2
	v_lshlrev_b32_e32 v3, 2, v151
	v_add_nc_u32_e32 v39, v69, v43
	ds_read_b32 v3, v3
	ds_read_b64 v[39:40], v39 offset:4608
	s_waitcnt lgkmcnt(1)
	v_add_nc_u32_e32 v3, v3, v47
	v_lshlrev_b64 v[41:42], 3, v[3:4]
	v_add_co_u32 v41, vcc_lo, s54, v41
	v_add_co_ci_u32_e64 v42, null, s55, v42, vcc_lo
	s_waitcnt lgkmcnt(0)
	global_store_dwordx2 v[41:42], v[39:40], off
	s_or_b32 exec_lo, exec_lo, s22
	s_and_saveexec_b32 s22, s24
	s_cbranch_execz .LBB604_551
.LBB604_619:                            ;   in Loop: Header=BB604_410 Depth=2
	v_lshlrev_b32_e32 v3, 2, v150
	v_add_nc_u32_e32 v39, v69, v43
	ds_read_b32 v3, v3
	ds_read_b64 v[39:40], v39 offset:6656
	s_waitcnt lgkmcnt(1)
	v_add_nc_u32_e32 v3, v3, v48
	v_lshlrev_b64 v[41:42], 3, v[3:4]
	v_add_co_u32 v41, vcc_lo, s54, v41
	v_add_co_ci_u32_e64 v42, null, s55, v42, vcc_lo
	s_waitcnt lgkmcnt(0)
	global_store_dwordx2 v[41:42], v[39:40], off
	s_or_b32 exec_lo, exec_lo, s22
	s_and_saveexec_b32 s22, s25
	s_cbranch_execz .LBB604_552
.LBB604_620:                            ;   in Loop: Header=BB604_410 Depth=2
	v_lshlrev_b32_e32 v3, 2, v149
	v_add_nc_u32_e32 v39, v69, v43
	ds_read_b32 v3, v3
	ds_read_b64 v[39:40], v39 offset:8704
	s_waitcnt lgkmcnt(1)
	v_add_nc_u32_e32 v3, v3, v49
	v_lshlrev_b64 v[41:42], 3, v[3:4]
	v_add_co_u32 v41, vcc_lo, s54, v41
	v_add_co_ci_u32_e64 v42, null, s55, v42, vcc_lo
	s_waitcnt lgkmcnt(0)
	global_store_dwordx2 v[41:42], v[39:40], off
	s_or_b32 exec_lo, exec_lo, s22
	s_and_saveexec_b32 s22, s26
	s_cbranch_execz .LBB604_553
.LBB604_621:                            ;   in Loop: Header=BB604_410 Depth=2
	v_lshlrev_b32_e32 v3, 2, v148
	v_add_nc_u32_e32 v39, v69, v43
	ds_read_b32 v3, v3
	ds_read_b64 v[39:40], v39 offset:10752
	s_waitcnt lgkmcnt(1)
	v_add_nc_u32_e32 v3, v3, v50
	v_lshlrev_b64 v[41:42], 3, v[3:4]
	v_add_co_u32 v41, vcc_lo, s54, v41
	v_add_co_ci_u32_e64 v42, null, s55, v42, vcc_lo
	s_waitcnt lgkmcnt(0)
	global_store_dwordx2 v[41:42], v[39:40], off
	s_or_b32 exec_lo, exec_lo, s22
	s_and_saveexec_b32 s22, s27
	s_cbranch_execz .LBB604_554
.LBB604_622:                            ;   in Loop: Header=BB604_410 Depth=2
	v_lshlrev_b32_e32 v3, 2, v147
	v_add_nc_u32_e32 v39, v69, v43
	ds_read_b32 v3, v3
	ds_read_b64 v[39:40], v39 offset:12800
	s_waitcnt lgkmcnt(1)
	v_add_nc_u32_e32 v3, v3, v51
	v_lshlrev_b64 v[41:42], 3, v[3:4]
	v_add_co_u32 v41, vcc_lo, s54, v41
	v_add_co_ci_u32_e64 v42, null, s55, v42, vcc_lo
	s_waitcnt lgkmcnt(0)
	global_store_dwordx2 v[41:42], v[39:40], off
	s_or_b32 exec_lo, exec_lo, s22
	s_and_saveexec_b32 s22, s29
	s_cbranch_execz .LBB604_555
.LBB604_623:                            ;   in Loop: Header=BB604_410 Depth=2
	v_lshlrev_b32_e32 v3, 2, v146
	v_add_nc_u32_e32 v39, v69, v43
	ds_read_b32 v3, v3
	ds_read_b64 v[39:40], v39 offset:14848
	s_waitcnt lgkmcnt(1)
	v_add_nc_u32_e32 v3, v3, v52
	v_lshlrev_b64 v[41:42], 3, v[3:4]
	v_add_co_u32 v41, vcc_lo, s54, v41
	v_add_co_ci_u32_e64 v42, null, s55, v42, vcc_lo
	s_waitcnt lgkmcnt(0)
	global_store_dwordx2 v[41:42], v[39:40], off
	s_or_b32 exec_lo, exec_lo, s22
	s_and_saveexec_b32 s22, s30
	s_cbranch_execz .LBB604_556
.LBB604_624:                            ;   in Loop: Header=BB604_410 Depth=2
	v_lshlrev_b32_e32 v3, 2, v145
	v_add_nc_u32_e32 v39, v69, v43
	ds_read_b32 v3, v3
	ds_read_b64 v[39:40], v39 offset:16896
	s_waitcnt lgkmcnt(1)
	v_add_nc_u32_e32 v3, v3, v53
	v_lshlrev_b64 v[41:42], 3, v[3:4]
	v_add_co_u32 v41, vcc_lo, s54, v41
	v_add_co_ci_u32_e64 v42, null, s55, v42, vcc_lo
	s_waitcnt lgkmcnt(0)
	global_store_dwordx2 v[41:42], v[39:40], off
	s_or_b32 exec_lo, exec_lo, s22
	s_and_saveexec_b32 s22, s31
	s_cbranch_execz .LBB604_557
.LBB604_625:                            ;   in Loop: Header=BB604_410 Depth=2
	v_lshlrev_b32_e32 v3, 2, v144
	v_add_nc_u32_e32 v39, v69, v43
	ds_read_b32 v3, v3
	ds_read_b64 v[39:40], v39 offset:18944
	s_waitcnt lgkmcnt(1)
	v_add_nc_u32_e32 v3, v3, v54
	v_lshlrev_b64 v[41:42], 3, v[3:4]
	v_add_co_u32 v41, vcc_lo, s54, v41
	v_add_co_ci_u32_e64 v42, null, s55, v42, vcc_lo
	s_waitcnt lgkmcnt(0)
	global_store_dwordx2 v[41:42], v[39:40], off
	s_or_b32 exec_lo, exec_lo, s22
	s_and_saveexec_b32 s22, s33
	s_cbranch_execz .LBB604_558
.LBB604_626:                            ;   in Loop: Header=BB604_410 Depth=2
	v_lshlrev_b32_e32 v3, 2, v143
	v_add_nc_u32_e32 v39, v69, v43
	ds_read_b32 v3, v3
	ds_read_b64 v[39:40], v39 offset:20992
	s_waitcnt lgkmcnt(1)
	v_add_nc_u32_e32 v3, v3, v55
	v_lshlrev_b64 v[41:42], 3, v[3:4]
	v_add_co_u32 v41, vcc_lo, s54, v41
	v_add_co_ci_u32_e64 v42, null, s55, v42, vcc_lo
	s_waitcnt lgkmcnt(0)
	global_store_dwordx2 v[41:42], v[39:40], off
	s_or_b32 exec_lo, exec_lo, s22
	s_and_saveexec_b32 s22, s34
	s_cbranch_execz .LBB604_559
.LBB604_627:                            ;   in Loop: Header=BB604_410 Depth=2
	v_lshlrev_b32_e32 v3, 2, v142
	v_add_nc_u32_e32 v39, v69, v43
	ds_read_b32 v3, v3
	ds_read_b64 v[39:40], v39 offset:23040
	s_waitcnt lgkmcnt(1)
	v_add_nc_u32_e32 v3, v3, v56
	v_lshlrev_b64 v[41:42], 3, v[3:4]
	v_add_co_u32 v41, vcc_lo, s54, v41
	v_add_co_ci_u32_e64 v42, null, s55, v42, vcc_lo
	s_waitcnt lgkmcnt(0)
	global_store_dwordx2 v[41:42], v[39:40], off
	s_or_b32 exec_lo, exec_lo, s22
	s_and_saveexec_b32 s22, s35
	s_cbranch_execz .LBB604_560
.LBB604_628:                            ;   in Loop: Header=BB604_410 Depth=2
	v_lshlrev_b32_e32 v3, 2, v141
	v_add_nc_u32_e32 v39, v69, v43
	ds_read_b32 v3, v3
	ds_read_b64 v[39:40], v39 offset:25088
	s_waitcnt lgkmcnt(1)
	v_add_nc_u32_e32 v3, v3, v57
	v_lshlrev_b64 v[41:42], 3, v[3:4]
	v_add_co_u32 v41, vcc_lo, s54, v41
	v_add_co_ci_u32_e64 v42, null, s55, v42, vcc_lo
	s_waitcnt lgkmcnt(0)
	global_store_dwordx2 v[41:42], v[39:40], off
	s_or_b32 exec_lo, exec_lo, s22
	s_and_saveexec_b32 s22, s36
	s_cbranch_execz .LBB604_561
.LBB604_629:                            ;   in Loop: Header=BB604_410 Depth=2
	v_lshlrev_b32_e32 v3, 2, v140
	v_add_nc_u32_e32 v39, v69, v43
	ds_read_b32 v3, v3
	ds_read_b64 v[39:40], v39 offset:27136
	s_waitcnt lgkmcnt(1)
	v_add_nc_u32_e32 v3, v3, v58
	v_lshlrev_b64 v[41:42], 3, v[3:4]
	v_add_co_u32 v41, vcc_lo, s54, v41
	v_add_co_ci_u32_e64 v42, null, s55, v42, vcc_lo
	s_waitcnt lgkmcnt(0)
	global_store_dwordx2 v[41:42], v[39:40], off
	s_or_b32 exec_lo, exec_lo, s22
	s_and_saveexec_b32 s22, s37
	s_cbranch_execz .LBB604_562
.LBB604_630:                            ;   in Loop: Header=BB604_410 Depth=2
	v_lshlrev_b32_e32 v3, 2, v139
	v_add_nc_u32_e32 v39, v69, v43
	ds_read_b32 v3, v3
	ds_read_b64 v[39:40], v39 offset:29184
	s_waitcnt lgkmcnt(1)
	v_add_nc_u32_e32 v3, v3, v59
	v_lshlrev_b64 v[41:42], 3, v[3:4]
	v_add_co_u32 v41, vcc_lo, s54, v41
	v_add_co_ci_u32_e64 v42, null, s55, v42, vcc_lo
	s_waitcnt lgkmcnt(0)
	global_store_dwordx2 v[41:42], v[39:40], off
	s_or_b32 exec_lo, exec_lo, s22
	s_and_saveexec_b32 s22, s38
	s_cbranch_execz .LBB604_563
.LBB604_631:                            ;   in Loop: Header=BB604_410 Depth=2
	v_lshlrev_b32_e32 v3, 2, v138
	v_add_nc_u32_e32 v39, v69, v43
	ds_read_b32 v3, v3
	ds_read_b64 v[39:40], v39 offset:31232
	s_waitcnt lgkmcnt(1)
	v_add_nc_u32_e32 v3, v3, v60
	v_lshlrev_b64 v[41:42], 3, v[3:4]
	v_add_co_u32 v41, vcc_lo, s54, v41
	v_add_co_ci_u32_e64 v42, null, s55, v42, vcc_lo
	s_waitcnt lgkmcnt(0)
	global_store_dwordx2 v[41:42], v[39:40], off
	s_or_b32 exec_lo, exec_lo, s22
	s_and_saveexec_b32 s22, s39
	s_cbranch_execnz .LBB604_564
	s_branch .LBB604_565
.LBB604_632:                            ;   in Loop: Header=BB604_12 Depth=1
	s_waitcnt lgkmcnt(0)
	s_barrier
.LBB604_633:                            ;   in Loop: Header=BB604_12 Depth=1
	s_mov_b32 s5, 0
.LBB604_634:                            ;   in Loop: Header=BB604_12 Depth=1
	s_andn2_b32 vcc_lo, exec_lo, s5
	s_cbranch_vccnz .LBB604_11
; %bb.635:                              ;   in Loop: Header=BB604_12 Depth=1
	s_and_b32 vcc_lo, exec_lo, s43
	s_mov_b32 s5, -1
	s_cbranch_vccz .LBB604_945
; %bb.636:                              ;   in Loop: Header=BB604_12 Depth=1
	s_mov_b32 s5, s60
	s_mov_b32 s50, s58
	s_barrier
	buffer_gl0_inv
                                        ; implicit-def: $vgpr3
                                        ; implicit-def: $vgpr5
                                        ; implicit-def: $vgpr6
                                        ; implicit-def: $vgpr7
                                        ; implicit-def: $vgpr8
                                        ; implicit-def: $vgpr9
                                        ; implicit-def: $vgpr10
                                        ; implicit-def: $vgpr11
                                        ; implicit-def: $vgpr12
                                        ; implicit-def: $vgpr13
                                        ; implicit-def: $vgpr14
                                        ; implicit-def: $vgpr15
                                        ; implicit-def: $vgpr16
                                        ; implicit-def: $vgpr17
                                        ; implicit-def: $vgpr18
                                        ; implicit-def: $vgpr19
                                        ; implicit-def: $vgpr20
	s_branch .LBB604_638
.LBB604_637:                            ;   in Loop: Header=BB604_638 Depth=2
	s_or_b32 exec_lo, exec_lo, s16
	s_addk_i32 s5, 0xef00
	s_cmp_ge_u32 s15, s59
	s_mov_b32 s50, s15
	s_cbranch_scc1 .LBB604_710
.LBB604_638:                            ;   Parent Loop BB604_12 Depth=1
                                        ; =>  This Inner Loop Header: Depth=2
	s_add_i32 s15, s50, 0x1100
	s_mov_b32 s16, -1
	s_cmp_gt_u32 s15, s59
                                        ; implicit-def: $vgpr21
                                        ; implicit-def: $vgpr22
                                        ; implicit-def: $vgpr25
                                        ; implicit-def: $vgpr23
                                        ; implicit-def: $vgpr27
                                        ; implicit-def: $vgpr24
                                        ; implicit-def: $vgpr29
                                        ; implicit-def: $vgpr26
                                        ; implicit-def: $vgpr31
                                        ; implicit-def: $vgpr28
                                        ; implicit-def: $vgpr33
                                        ; implicit-def: $vgpr30
                                        ; implicit-def: $vgpr34
                                        ; implicit-def: $vgpr32
                                        ; implicit-def: $vgpr35
                                        ; implicit-def: $vgpr36
                                        ; implicit-def: $vgpr37
	s_cbranch_scc1 .LBB604_640
; %bb.639:                              ;   in Loop: Header=BB604_638 Depth=2
	s_lshl_b64 s[16:17], s[50:51], 2
	v_add_co_u32 v33, vcc_lo, v78, s16
	v_add_co_ci_u32_e64 v34, null, s17, v79, vcc_lo
	s_mov_b32 s16, 0
	v_add_co_u32 v23, vcc_lo, 0x800, v33
	v_add_co_ci_u32_e64 v24, null, 0, v34, vcc_lo
	v_add_co_u32 v35, vcc_lo, v33, 0x1000
	v_add_co_ci_u32_e64 v36, null, 0, v34, vcc_lo
	;; [unrolled: 2-line block ×9, first 2 shown]
	s_clause 0x7
	global_load_dword v21, v[33:34], off
	global_load_dword v22, v[33:34], off offset:1024
	global_load_dword v23, v[23:24], off offset:1024
	;; [unrolled: 1-line block ×7, first 2 shown]
	v_add_co_u32 v41, vcc_lo, 0x3800, v33
	v_add_co_ci_u32_e64 v42, null, 0, v34, vcc_lo
	v_add_co_u32 v131, vcc_lo, v33, 0x4000
	v_add_co_ci_u32_e64 v132, null, 0, v34, vcc_lo
	s_clause 0x8
	global_load_dword v25, v[35:36], off offset:-2048
	global_load_dword v27, v[35:36], off
	global_load_dword v29, v[37:38], off offset:-2048
	global_load_dword v31, v[37:38], off
	;; [unrolled: 2-line block ×3, first 2 shown]
	global_load_dword v35, v[131:132], off offset:-2048
	global_load_dword v36, v[41:42], off offset:1024
	global_load_dword v37, v[131:132], off
.LBB604_640:                            ;   in Loop: Header=BB604_638 Depth=2
	s_andn2_b32 vcc_lo, exec_lo, s16
	s_movk_i32 s16, 0x1100
	s_cbranch_vccnz .LBB604_660
; %bb.641:                              ;   in Loop: Header=BB604_638 Depth=2
	s_lshl_b64 s[16:17], s[50:51], 2
	s_mov_b32 s18, exec_lo
	s_add_u32 s16, s44, s16
	s_addc_u32 s17, s45, s17
	v_cmpx_gt_u32_e64 s5, v0
	s_cbranch_execnz .LBB604_694
; %bb.642:                              ;   in Loop: Header=BB604_638 Depth=2
	s_or_b32 exec_lo, exec_lo, s18
	s_mov_b32 s18, exec_lo
	v_cmpx_gt_u32_e64 s5, v44
	s_cbranch_execnz .LBB604_695
.LBB604_643:                            ;   in Loop: Header=BB604_638 Depth=2
	s_or_b32 exec_lo, exec_lo, s18
	s_mov_b32 s18, exec_lo
	v_cmpx_gt_u32_e64 s5, v47
	s_cbranch_execnz .LBB604_696
.LBB604_644:                            ;   in Loop: Header=BB604_638 Depth=2
	s_or_b32 exec_lo, exec_lo, s18
	s_mov_b32 s18, exec_lo
	v_cmpx_gt_u32_e64 s5, v48
	s_cbranch_execnz .LBB604_697
.LBB604_645:                            ;   in Loop: Header=BB604_638 Depth=2
	s_or_b32 exec_lo, exec_lo, s18
	s_mov_b32 s18, exec_lo
	v_cmpx_gt_u32_e64 s5, v49
	s_cbranch_execnz .LBB604_698
.LBB604_646:                            ;   in Loop: Header=BB604_638 Depth=2
	s_or_b32 exec_lo, exec_lo, s18
	s_mov_b32 s18, exec_lo
	v_cmpx_gt_u32_e64 s5, v50
	s_cbranch_execnz .LBB604_699
.LBB604_647:                            ;   in Loop: Header=BB604_638 Depth=2
	s_or_b32 exec_lo, exec_lo, s18
	s_mov_b32 s18, exec_lo
	v_cmpx_gt_u32_e64 s5, v51
	s_cbranch_execnz .LBB604_700
.LBB604_648:                            ;   in Loop: Header=BB604_638 Depth=2
	s_or_b32 exec_lo, exec_lo, s18
	s_mov_b32 s18, exec_lo
	v_cmpx_gt_u32_e64 s5, v52
	s_cbranch_execnz .LBB604_701
.LBB604_649:                            ;   in Loop: Header=BB604_638 Depth=2
	s_or_b32 exec_lo, exec_lo, s18
	s_mov_b32 s18, exec_lo
	v_cmpx_gt_u32_e64 s5, v53
	s_cbranch_execnz .LBB604_702
.LBB604_650:                            ;   in Loop: Header=BB604_638 Depth=2
	s_or_b32 exec_lo, exec_lo, s18
	s_mov_b32 s18, exec_lo
	v_cmpx_gt_u32_e64 s5, v54
	s_cbranch_execnz .LBB604_703
.LBB604_651:                            ;   in Loop: Header=BB604_638 Depth=2
	s_or_b32 exec_lo, exec_lo, s18
	s_mov_b32 s18, exec_lo
	v_cmpx_gt_u32_e64 s5, v55
	s_cbranch_execnz .LBB604_704
.LBB604_652:                            ;   in Loop: Header=BB604_638 Depth=2
	s_or_b32 exec_lo, exec_lo, s18
	s_mov_b32 s18, exec_lo
	v_cmpx_gt_u32_e64 s5, v56
	s_cbranch_execnz .LBB604_705
.LBB604_653:                            ;   in Loop: Header=BB604_638 Depth=2
	s_or_b32 exec_lo, exec_lo, s18
	s_mov_b32 s18, exec_lo
	v_cmpx_gt_u32_e64 s5, v57
	s_cbranch_execnz .LBB604_706
.LBB604_654:                            ;   in Loop: Header=BB604_638 Depth=2
	s_or_b32 exec_lo, exec_lo, s18
	s_mov_b32 s18, exec_lo
	v_cmpx_gt_u32_e64 s5, v58
	s_cbranch_execnz .LBB604_707
.LBB604_655:                            ;   in Loop: Header=BB604_638 Depth=2
	s_or_b32 exec_lo, exec_lo, s18
	s_mov_b32 s18, exec_lo
	v_cmpx_gt_u32_e64 s5, v59
	s_cbranch_execnz .LBB604_708
.LBB604_656:                            ;   in Loop: Header=BB604_638 Depth=2
	s_or_b32 exec_lo, exec_lo, s18
	s_mov_b32 s18, exec_lo
	v_cmpx_gt_u32_e64 s5, v60
	s_cbranch_execnz .LBB604_709
.LBB604_657:                            ;   in Loop: Header=BB604_638 Depth=2
	s_or_b32 exec_lo, exec_lo, s18
	s_mov_b32 s18, exec_lo
	v_cmpx_gt_u32_e64 s5, v61
	s_cbranch_execz .LBB604_659
.LBB604_658:                            ;   in Loop: Header=BB604_638 Depth=2
	global_load_dword v3, v107, s[16:17]
.LBB604_659:                            ;   in Loop: Header=BB604_638 Depth=2
	s_or_b32 exec_lo, exec_lo, s18
	s_waitcnt vmcnt(0)
	v_mov_b32_e32 v21, v20
	v_mov_b32_e32 v22, v19
	;; [unrolled: 1-line block ×17, first 2 shown]
	s_mov_b32 s16, s5
.LBB604_660:                            ;   in Loop: Header=BB604_638 Depth=2
	s_waitcnt vmcnt(0)
	v_mov_b32_e32 v3, v37
	v_mov_b32_e32 v5, v36
	;; [unrolled: 1-line block ×17, first 2 shown]
	s_mov_b32 s17, exec_lo
	v_cmpx_gt_u32_e64 s16, v0
	s_cbranch_execnz .LBB604_677
; %bb.661:                              ;   in Loop: Header=BB604_638 Depth=2
	s_or_b32 exec_lo, exec_lo, s17
	s_mov_b32 s17, exec_lo
	v_cmpx_gt_u32_e64 s16, v44
	s_cbranch_execnz .LBB604_678
.LBB604_662:                            ;   in Loop: Header=BB604_638 Depth=2
	s_or_b32 exec_lo, exec_lo, s17
	s_mov_b32 s17, exec_lo
	v_cmpx_gt_u32_e64 s16, v47
	s_cbranch_execnz .LBB604_679
.LBB604_663:                            ;   in Loop: Header=BB604_638 Depth=2
	s_or_b32 exec_lo, exec_lo, s17
	s_mov_b32 s17, exec_lo
	v_cmpx_gt_u32_e64 s16, v48
	s_cbranch_execnz .LBB604_680
.LBB604_664:                            ;   in Loop: Header=BB604_638 Depth=2
	s_or_b32 exec_lo, exec_lo, s17
	s_mov_b32 s17, exec_lo
	v_cmpx_gt_u32_e64 s16, v49
	s_cbranch_execnz .LBB604_681
.LBB604_665:                            ;   in Loop: Header=BB604_638 Depth=2
	s_or_b32 exec_lo, exec_lo, s17
	s_mov_b32 s17, exec_lo
	v_cmpx_gt_u32_e64 s16, v50
	s_cbranch_execnz .LBB604_682
.LBB604_666:                            ;   in Loop: Header=BB604_638 Depth=2
	s_or_b32 exec_lo, exec_lo, s17
	s_mov_b32 s17, exec_lo
	v_cmpx_gt_u32_e64 s16, v51
	s_cbranch_execnz .LBB604_683
.LBB604_667:                            ;   in Loop: Header=BB604_638 Depth=2
	s_or_b32 exec_lo, exec_lo, s17
	s_mov_b32 s17, exec_lo
	v_cmpx_gt_u32_e64 s16, v52
	s_cbranch_execnz .LBB604_684
.LBB604_668:                            ;   in Loop: Header=BB604_638 Depth=2
	s_or_b32 exec_lo, exec_lo, s17
	s_mov_b32 s17, exec_lo
	v_cmpx_gt_u32_e64 s16, v53
	s_cbranch_execnz .LBB604_685
.LBB604_669:                            ;   in Loop: Header=BB604_638 Depth=2
	s_or_b32 exec_lo, exec_lo, s17
	s_mov_b32 s17, exec_lo
	v_cmpx_gt_u32_e64 s16, v54
	s_cbranch_execnz .LBB604_686
.LBB604_670:                            ;   in Loop: Header=BB604_638 Depth=2
	s_or_b32 exec_lo, exec_lo, s17
	s_mov_b32 s17, exec_lo
	v_cmpx_gt_u32_e64 s16, v55
	s_cbranch_execnz .LBB604_687
.LBB604_671:                            ;   in Loop: Header=BB604_638 Depth=2
	s_or_b32 exec_lo, exec_lo, s17
	s_mov_b32 s17, exec_lo
	v_cmpx_gt_u32_e64 s16, v56
	s_cbranch_execnz .LBB604_688
.LBB604_672:                            ;   in Loop: Header=BB604_638 Depth=2
	s_or_b32 exec_lo, exec_lo, s17
	s_mov_b32 s17, exec_lo
	v_cmpx_gt_u32_e64 s16, v57
	s_cbranch_execnz .LBB604_689
.LBB604_673:                            ;   in Loop: Header=BB604_638 Depth=2
	s_or_b32 exec_lo, exec_lo, s17
	s_mov_b32 s17, exec_lo
	v_cmpx_gt_u32_e64 s16, v58
	s_cbranch_execnz .LBB604_690
.LBB604_674:                            ;   in Loop: Header=BB604_638 Depth=2
	s_or_b32 exec_lo, exec_lo, s17
	s_mov_b32 s17, exec_lo
	v_cmpx_gt_u32_e64 s16, v59
	s_cbranch_execnz .LBB604_691
.LBB604_675:                            ;   in Loop: Header=BB604_638 Depth=2
	s_or_b32 exec_lo, exec_lo, s17
	s_mov_b32 s17, exec_lo
	v_cmpx_gt_u32_e64 s16, v60
	s_cbranch_execnz .LBB604_692
.LBB604_676:                            ;   in Loop: Header=BB604_638 Depth=2
	s_or_b32 exec_lo, exec_lo, s17
	v_cmp_gt_u32_e32 vcc_lo, s16, v61
	s_and_saveexec_b32 s16, vcc_lo
	s_cbranch_execz .LBB604_637
	s_branch .LBB604_693
.LBB604_677:                            ;   in Loop: Header=BB604_638 Depth=2
	v_xor_b32_e32 v21, 0x80000000, v20
	v_lshrrev_b32_e32 v21, s41, v21
	v_and_b32_e32 v21, s62, v21
	v_lshl_or_b32 v21, v21, 4, v63
	ds_add_u32 v21, v85
	s_or_b32 exec_lo, exec_lo, s17
	s_mov_b32 s17, exec_lo
	v_cmpx_gt_u32_e64 s16, v44
	s_cbranch_execz .LBB604_662
.LBB604_678:                            ;   in Loop: Header=BB604_638 Depth=2
	v_xor_b32_e32 v21, 0x80000000, v19
	v_lshrrev_b32_e32 v21, s41, v21
	v_and_b32_e32 v21, s62, v21
	v_lshl_or_b32 v21, v21, 4, v63
	ds_add_u32 v21, v85
	s_or_b32 exec_lo, exec_lo, s17
	s_mov_b32 s17, exec_lo
	v_cmpx_gt_u32_e64 s16, v47
	s_cbranch_execz .LBB604_663
.LBB604_679:                            ;   in Loop: Header=BB604_638 Depth=2
	v_xor_b32_e32 v21, 0x80000000, v18
	v_lshrrev_b32_e32 v21, s41, v21
	v_and_b32_e32 v21, s62, v21
	v_lshl_or_b32 v21, v21, 4, v63
	ds_add_u32 v21, v85
	s_or_b32 exec_lo, exec_lo, s17
	s_mov_b32 s17, exec_lo
	v_cmpx_gt_u32_e64 s16, v48
	s_cbranch_execz .LBB604_664
.LBB604_680:                            ;   in Loop: Header=BB604_638 Depth=2
	v_xor_b32_e32 v21, 0x80000000, v17
	v_lshrrev_b32_e32 v21, s41, v21
	v_and_b32_e32 v21, s62, v21
	v_lshl_or_b32 v21, v21, 4, v63
	ds_add_u32 v21, v85
	s_or_b32 exec_lo, exec_lo, s17
	s_mov_b32 s17, exec_lo
	v_cmpx_gt_u32_e64 s16, v49
	s_cbranch_execz .LBB604_665
.LBB604_681:                            ;   in Loop: Header=BB604_638 Depth=2
	v_xor_b32_e32 v21, 0x80000000, v16
	v_lshrrev_b32_e32 v21, s41, v21
	v_and_b32_e32 v21, s62, v21
	v_lshl_or_b32 v21, v21, 4, v63
	ds_add_u32 v21, v85
	s_or_b32 exec_lo, exec_lo, s17
	s_mov_b32 s17, exec_lo
	v_cmpx_gt_u32_e64 s16, v50
	s_cbranch_execz .LBB604_666
.LBB604_682:                            ;   in Loop: Header=BB604_638 Depth=2
	v_xor_b32_e32 v21, 0x80000000, v15
	v_lshrrev_b32_e32 v21, s41, v21
	v_and_b32_e32 v21, s62, v21
	v_lshl_or_b32 v21, v21, 4, v63
	ds_add_u32 v21, v85
	s_or_b32 exec_lo, exec_lo, s17
	s_mov_b32 s17, exec_lo
	v_cmpx_gt_u32_e64 s16, v51
	s_cbranch_execz .LBB604_667
.LBB604_683:                            ;   in Loop: Header=BB604_638 Depth=2
	v_xor_b32_e32 v21, 0x80000000, v14
	v_lshrrev_b32_e32 v21, s41, v21
	v_and_b32_e32 v21, s62, v21
	v_lshl_or_b32 v21, v21, 4, v63
	ds_add_u32 v21, v85
	s_or_b32 exec_lo, exec_lo, s17
	s_mov_b32 s17, exec_lo
	v_cmpx_gt_u32_e64 s16, v52
	s_cbranch_execz .LBB604_668
.LBB604_684:                            ;   in Loop: Header=BB604_638 Depth=2
	v_xor_b32_e32 v21, 0x80000000, v13
	v_lshrrev_b32_e32 v21, s41, v21
	v_and_b32_e32 v21, s62, v21
	v_lshl_or_b32 v21, v21, 4, v63
	ds_add_u32 v21, v85
	s_or_b32 exec_lo, exec_lo, s17
	s_mov_b32 s17, exec_lo
	v_cmpx_gt_u32_e64 s16, v53
	s_cbranch_execz .LBB604_669
.LBB604_685:                            ;   in Loop: Header=BB604_638 Depth=2
	v_xor_b32_e32 v21, 0x80000000, v12
	v_lshrrev_b32_e32 v21, s41, v21
	v_and_b32_e32 v21, s62, v21
	v_lshl_or_b32 v21, v21, 4, v63
	ds_add_u32 v21, v85
	s_or_b32 exec_lo, exec_lo, s17
	s_mov_b32 s17, exec_lo
	v_cmpx_gt_u32_e64 s16, v54
	s_cbranch_execz .LBB604_670
.LBB604_686:                            ;   in Loop: Header=BB604_638 Depth=2
	v_xor_b32_e32 v21, 0x80000000, v11
	v_lshrrev_b32_e32 v21, s41, v21
	v_and_b32_e32 v21, s62, v21
	v_lshl_or_b32 v21, v21, 4, v63
	ds_add_u32 v21, v85
	s_or_b32 exec_lo, exec_lo, s17
	s_mov_b32 s17, exec_lo
	v_cmpx_gt_u32_e64 s16, v55
	s_cbranch_execz .LBB604_671
.LBB604_687:                            ;   in Loop: Header=BB604_638 Depth=2
	v_xor_b32_e32 v21, 0x80000000, v10
	v_lshrrev_b32_e32 v21, s41, v21
	v_and_b32_e32 v21, s62, v21
	v_lshl_or_b32 v21, v21, 4, v63
	ds_add_u32 v21, v85
	s_or_b32 exec_lo, exec_lo, s17
	s_mov_b32 s17, exec_lo
	v_cmpx_gt_u32_e64 s16, v56
	s_cbranch_execz .LBB604_672
.LBB604_688:                            ;   in Loop: Header=BB604_638 Depth=2
	v_xor_b32_e32 v21, 0x80000000, v9
	v_lshrrev_b32_e32 v21, s41, v21
	v_and_b32_e32 v21, s62, v21
	v_lshl_or_b32 v21, v21, 4, v63
	ds_add_u32 v21, v85
	s_or_b32 exec_lo, exec_lo, s17
	s_mov_b32 s17, exec_lo
	v_cmpx_gt_u32_e64 s16, v57
	s_cbranch_execz .LBB604_673
.LBB604_689:                            ;   in Loop: Header=BB604_638 Depth=2
	v_xor_b32_e32 v21, 0x80000000, v8
	v_lshrrev_b32_e32 v21, s41, v21
	v_and_b32_e32 v21, s62, v21
	v_lshl_or_b32 v21, v21, 4, v63
	ds_add_u32 v21, v85
	s_or_b32 exec_lo, exec_lo, s17
	s_mov_b32 s17, exec_lo
	v_cmpx_gt_u32_e64 s16, v58
	s_cbranch_execz .LBB604_674
.LBB604_690:                            ;   in Loop: Header=BB604_638 Depth=2
	v_xor_b32_e32 v21, 0x80000000, v7
	v_lshrrev_b32_e32 v21, s41, v21
	v_and_b32_e32 v21, s62, v21
	v_lshl_or_b32 v21, v21, 4, v63
	ds_add_u32 v21, v85
	s_or_b32 exec_lo, exec_lo, s17
	s_mov_b32 s17, exec_lo
	v_cmpx_gt_u32_e64 s16, v59
	s_cbranch_execz .LBB604_675
.LBB604_691:                            ;   in Loop: Header=BB604_638 Depth=2
	v_xor_b32_e32 v21, 0x80000000, v6
	v_lshrrev_b32_e32 v21, s41, v21
	v_and_b32_e32 v21, s62, v21
	v_lshl_or_b32 v21, v21, 4, v63
	ds_add_u32 v21, v85
	s_or_b32 exec_lo, exec_lo, s17
	s_mov_b32 s17, exec_lo
	v_cmpx_gt_u32_e64 s16, v60
	s_cbranch_execz .LBB604_676
.LBB604_692:                            ;   in Loop: Header=BB604_638 Depth=2
	v_xor_b32_e32 v21, 0x80000000, v5
	v_lshrrev_b32_e32 v21, s41, v21
	v_and_b32_e32 v21, s62, v21
	v_lshl_or_b32 v21, v21, 4, v63
	ds_add_u32 v21, v85
	s_or_b32 exec_lo, exec_lo, s17
	v_cmp_gt_u32_e32 vcc_lo, s16, v61
	s_and_saveexec_b32 s16, vcc_lo
	s_cbranch_execz .LBB604_637
.LBB604_693:                            ;   in Loop: Header=BB604_638 Depth=2
	v_xor_b32_e32 v21, 0x80000000, v3
	v_lshrrev_b32_e32 v21, s41, v21
	v_and_b32_e32 v21, s62, v21
	v_lshl_or_b32 v21, v21, 4, v63
	ds_add_u32 v21, v85
	s_branch .LBB604_637
.LBB604_694:                            ;   in Loop: Header=BB604_638 Depth=2
	global_load_dword v20, v91, s[16:17]
	s_or_b32 exec_lo, exec_lo, s18
	s_mov_b32 s18, exec_lo
	v_cmpx_gt_u32_e64 s5, v44
	s_cbranch_execz .LBB604_643
.LBB604_695:                            ;   in Loop: Header=BB604_638 Depth=2
	global_load_dword v19, v91, s[16:17] offset:1024
	s_or_b32 exec_lo, exec_lo, s18
	s_mov_b32 s18, exec_lo
	v_cmpx_gt_u32_e64 s5, v47
	s_cbranch_execz .LBB604_644
.LBB604_696:                            ;   in Loop: Header=BB604_638 Depth=2
	global_load_dword v18, v92, s[16:17]
	s_or_b32 exec_lo, exec_lo, s18
	s_mov_b32 s18, exec_lo
	v_cmpx_gt_u32_e64 s5, v48
	s_cbranch_execz .LBB604_645
.LBB604_697:                            ;   in Loop: Header=BB604_638 Depth=2
	global_load_dword v17, v93, s[16:17]
	s_or_b32 exec_lo, exec_lo, s18
	s_mov_b32 s18, exec_lo
	v_cmpx_gt_u32_e64 s5, v49
	s_cbranch_execz .LBB604_646
.LBB604_698:                            ;   in Loop: Header=BB604_638 Depth=2
	global_load_dword v16, v94, s[16:17]
	s_or_b32 exec_lo, exec_lo, s18
	s_mov_b32 s18, exec_lo
	v_cmpx_gt_u32_e64 s5, v50
	s_cbranch_execz .LBB604_647
.LBB604_699:                            ;   in Loop: Header=BB604_638 Depth=2
	global_load_dword v15, v95, s[16:17]
	s_or_b32 exec_lo, exec_lo, s18
	s_mov_b32 s18, exec_lo
	v_cmpx_gt_u32_e64 s5, v51
	s_cbranch_execz .LBB604_648
.LBB604_700:                            ;   in Loop: Header=BB604_638 Depth=2
	global_load_dword v14, v96, s[16:17]
	s_or_b32 exec_lo, exec_lo, s18
	s_mov_b32 s18, exec_lo
	v_cmpx_gt_u32_e64 s5, v52
	s_cbranch_execz .LBB604_649
.LBB604_701:                            ;   in Loop: Header=BB604_638 Depth=2
	global_load_dword v13, v97, s[16:17]
	s_or_b32 exec_lo, exec_lo, s18
	s_mov_b32 s18, exec_lo
	v_cmpx_gt_u32_e64 s5, v53
	s_cbranch_execz .LBB604_650
.LBB604_702:                            ;   in Loop: Header=BB604_638 Depth=2
	global_load_dword v12, v98, s[16:17]
	s_or_b32 exec_lo, exec_lo, s18
	s_mov_b32 s18, exec_lo
	v_cmpx_gt_u32_e64 s5, v54
	s_cbranch_execz .LBB604_651
.LBB604_703:                            ;   in Loop: Header=BB604_638 Depth=2
	global_load_dword v11, v99, s[16:17]
	s_or_b32 exec_lo, exec_lo, s18
	s_mov_b32 s18, exec_lo
	v_cmpx_gt_u32_e64 s5, v55
	s_cbranch_execz .LBB604_652
.LBB604_704:                            ;   in Loop: Header=BB604_638 Depth=2
	global_load_dword v10, v100, s[16:17]
	s_or_b32 exec_lo, exec_lo, s18
	s_mov_b32 s18, exec_lo
	v_cmpx_gt_u32_e64 s5, v56
	s_cbranch_execz .LBB604_653
.LBB604_705:                            ;   in Loop: Header=BB604_638 Depth=2
	global_load_dword v9, v101, s[16:17]
	s_or_b32 exec_lo, exec_lo, s18
	s_mov_b32 s18, exec_lo
	v_cmpx_gt_u32_e64 s5, v57
	s_cbranch_execz .LBB604_654
.LBB604_706:                            ;   in Loop: Header=BB604_638 Depth=2
	global_load_dword v8, v102, s[16:17]
	s_or_b32 exec_lo, exec_lo, s18
	s_mov_b32 s18, exec_lo
	v_cmpx_gt_u32_e64 s5, v58
	s_cbranch_execz .LBB604_655
.LBB604_707:                            ;   in Loop: Header=BB604_638 Depth=2
	global_load_dword v7, v103, s[16:17]
	s_or_b32 exec_lo, exec_lo, s18
	s_mov_b32 s18, exec_lo
	v_cmpx_gt_u32_e64 s5, v59
	s_cbranch_execz .LBB604_656
.LBB604_708:                            ;   in Loop: Header=BB604_638 Depth=2
	global_load_dword v6, v104, s[16:17]
	s_or_b32 exec_lo, exec_lo, s18
	s_mov_b32 s18, exec_lo
	v_cmpx_gt_u32_e64 s5, v60
	s_cbranch_execz .LBB604_657
.LBB604_709:                            ;   in Loop: Header=BB604_638 Depth=2
	global_load_dword v5, v105, s[16:17]
	s_or_b32 exec_lo, exec_lo, s18
	s_mov_b32 s18, exec_lo
	v_cmpx_gt_u32_e64 s5, v61
	s_cbranch_execnz .LBB604_658
	s_branch .LBB604_659
.LBB604_710:                            ;   in Loop: Header=BB604_12 Depth=1
	v_mov_b32_e32 v3, 0
	s_waitcnt lgkmcnt(0)
	s_barrier
	buffer_gl0_inv
	s_and_saveexec_b32 s5, s7
	s_cbranch_execz .LBB604_712
; %bb.711:                              ;   in Loop: Header=BB604_12 Depth=1
	ds_read2_b64 v[5:8], v64 offset1:1
	s_waitcnt lgkmcnt(0)
	v_add_nc_u32_e32 v3, v6, v5
	v_add3_u32 v3, v3, v7, v8
.LBB604_712:                            ;   in Loop: Header=BB604_12 Depth=1
	s_or_b32 exec_lo, exec_lo, s5
	v_mov_b32_dpp v5, v3 row_shr:1 row_mask:0xf bank_mask:0xf
	v_cmp_eq_u32_e64 s5, 0, v86
	v_cmp_lt_u32_e64 s15, 1, v86
	v_cmp_lt_u32_e64 s16, 3, v86
	;; [unrolled: 1-line block ×3, first 2 shown]
	v_cmp_eq_u32_e64 s18, 0, v88
	v_cndmask_b32_e64 v5, v5, 0, s5
	v_add_nc_u32_e32 v3, v5, v3
	v_mov_b32_dpp v5, v3 row_shr:2 row_mask:0xf bank_mask:0xf
	v_cndmask_b32_e64 v5, 0, v5, s15
	v_add_nc_u32_e32 v3, v3, v5
	v_mov_b32_dpp v5, v3 row_shr:4 row_mask:0xf bank_mask:0xf
	;; [unrolled: 3-line block ×3, first 2 shown]
	v_cndmask_b32_e64 v5, 0, v5, s17
	v_add_nc_u32_e32 v3, v3, v5
	ds_swizzle_b32 v5, v3 offset:swizzle(BROADCAST,32,15)
	s_waitcnt lgkmcnt(0)
	v_and_b32_e32 v5, v87, v5
	v_add_nc_u32_e32 v3, v3, v5
	s_and_saveexec_b32 s19, s8
; %bb.713:                              ;   in Loop: Header=BB604_12 Depth=1
	ds_write_b32 v65, v3
; %bb.714:                              ;   in Loop: Header=BB604_12 Depth=1
	s_or_b32 exec_lo, exec_lo, s19
	s_waitcnt lgkmcnt(0)
	s_barrier
	buffer_gl0_inv
	s_and_saveexec_b32 s19, s9
	s_cbranch_execz .LBB604_716
; %bb.715:                              ;   in Loop: Header=BB604_12 Depth=1
	ds_read_b32 v5, v66
	v_cmp_ne_u32_e32 vcc_lo, 0, v89
	s_waitcnt lgkmcnt(0)
	v_mov_b32_dpp v6, v5 row_shr:1 row_mask:0xf bank_mask:0xf
	v_cndmask_b32_e32 v6, 0, v6, vcc_lo
	v_cmp_lt_u32_e32 vcc_lo, 1, v89
	v_add_nc_u32_e32 v5, v6, v5
	v_mov_b32_dpp v6, v5 row_shr:2 row_mask:0xf bank_mask:0xf
	v_cndmask_b32_e32 v6, 0, v6, vcc_lo
	v_add_nc_u32_e32 v5, v5, v6
	ds_write_b32 v66, v5
.LBB604_716:                            ;   in Loop: Header=BB604_12 Depth=1
	s_or_b32 exec_lo, exec_lo, s19
	v_mov_b32_e32 v5, 0
	s_waitcnt lgkmcnt(0)
	s_barrier
	buffer_gl0_inv
	s_and_saveexec_b32 s19, s10
; %bb.717:                              ;   in Loop: Header=BB604_12 Depth=1
	ds_read_b32 v5, v67
; %bb.718:                              ;   in Loop: Header=BB604_12 Depth=1
	s_or_b32 exec_lo, exec_lo, s19
	v_cmp_gt_i32_e32 vcc_lo, 0, v90
	s_waitcnt lgkmcnt(0)
	v_add_nc_u32_e32 v3, v5, v3
	s_barrier
	buffer_gl0_inv
	v_cndmask_b32_e32 v6, v90, v82, vcc_lo
	v_lshlrev_b32_e32 v131, 2, v6
	ds_bpermute_b32 v3, v131, v3
	s_and_saveexec_b32 s19, s7
	s_cbranch_execz .LBB604_720
; %bb.719:                              ;   in Loop: Header=BB604_12 Depth=1
	s_waitcnt lgkmcnt(0)
	v_cndmask_b32_e64 v3, v3, v5, s14
	v_add_nc_u32_e32 v3, s58, v3
	ds_write_b32 v43, v3
.LBB604_720:                            ;   in Loop: Header=BB604_12 Depth=1
	s_or_b32 exec_lo, exec_lo, s19
	s_load_dwordx2 s[20:21], s[56:57], 0x0
	v_add_co_u32 v132, vcc_lo, v80, v106
	v_add_co_ci_u32_e64 v133, null, 0, v81, vcc_lo
	v_add_co_u32 v134, vcc_lo, v83, v125
	v_add_co_ci_u32_e64 v135, null, 0, v84, vcc_lo
	s_mov_b32 s63, s60
	s_mov_b32 s50, s58
                                        ; implicit-def: $vgpr7_vgpr8
                                        ; implicit-def: $vgpr9_vgpr10
                                        ; implicit-def: $vgpr11_vgpr12
                                        ; implicit-def: $vgpr13_vgpr14
                                        ; implicit-def: $vgpr15_vgpr16
                                        ; implicit-def: $vgpr19_vgpr20
                                        ; implicit-def: $vgpr23_vgpr24
                                        ; implicit-def: $vgpr27_vgpr28
                                        ; implicit-def: $vgpr17_vgpr18
                                        ; implicit-def: $vgpr21_vgpr22
                                        ; implicit-def: $vgpr25_vgpr26
                                        ; implicit-def: $vgpr29_vgpr30
                                        ; implicit-def: $vgpr31_vgpr32
                                        ; implicit-def: $vgpr33_vgpr34
                                        ; implicit-def: $vgpr35_vgpr36
                                        ; implicit-def: $vgpr37_vgpr38
                                        ; implicit-def: $vgpr137
                                        ; implicit-def: $vgpr138
                                        ; implicit-def: $vgpr139
                                        ; implicit-def: $vgpr140
                                        ; implicit-def: $vgpr141
                                        ; implicit-def: $vgpr142
                                        ; implicit-def: $vgpr143
                                        ; implicit-def: $vgpr144
                                        ; implicit-def: $vgpr145
                                        ; implicit-def: $vgpr146
                                        ; implicit-def: $vgpr147
                                        ; implicit-def: $vgpr148
                                        ; implicit-def: $vgpr149
                                        ; implicit-def: $vgpr150
                                        ; implicit-def: $vgpr151
                                        ; implicit-def: $vgpr153
                                        ; implicit-def: $vgpr154
                                        ; implicit-def: $vgpr152
                                        ; implicit-def: $vgpr155
	s_waitcnt lgkmcnt(0)
	s_cmp_lt_u32 s28, s21
	s_cselect_b32 s19, 14, 20
	s_add_u32 s22, s56, s19
	s_addc_u32 s23, s57, 0
	s_cmp_lt_u32 s6, s20
	global_load_ushort v3, v4, s[22:23]
	s_cselect_b32 s19, 12, 18
	s_add_u32 s20, s56, s19
	s_addc_u32 s21, s57, 0
	v_cmp_eq_u32_e64 s19, 0, v108
	global_load_ushort v5, v4, s[20:21]
	v_cmp_lt_u32_e64 s20, 1, v108
	v_cmp_lt_u32_e64 s21, 3, v108
	s_waitcnt vmcnt(1)
	v_mad_u32_u24 v3, v2, v3, v1
	s_waitcnt vmcnt(0)
	v_mad_u64_u32 v[5:6], null, v3, v5, v[0:1]
	v_lshrrev_b32_e32 v3, 3, v5
                                        ; implicit-def: $vgpr5_vgpr6
	v_and_b32_e32 v136, 0x1ffffffc, v3
	s_branch .LBB604_722
.LBB604_721:                            ;   in Loop: Header=BB604_722 Depth=2
	s_or_b32 exec_lo, exec_lo, s22
	s_addk_i32 s63, 0xef00
	s_cmp_lt_u32 s64, s59
	s_mov_b32 s50, s64
	s_cbranch_scc0 .LBB604_944
.LBB604_722:                            ;   Parent Loop BB604_12 Depth=1
                                        ; =>  This Inner Loop Header: Depth=2
	s_add_i32 s64, s50, 0x1100
	s_cmp_gt_u32 s64, s59
	s_cbranch_scc1 .LBB604_724
; %bb.723:                              ;   in Loop: Header=BB604_722 Depth=2
	s_lshl_b64 s[22:23], s[50:51], 2
	v_add_co_u32 v39, vcc_lo, v134, s22
	v_add_co_ci_u32_e64 v40, null, s23, v135, vcc_lo
	s_mov_b32 s22, -1
	s_clause 0xf
	global_load_dword v157, v[39:40], off
	global_load_dword v158, v[39:40], off offset:128
	global_load_dword v161, v[39:40], off offset:256
	;; [unrolled: 1-line block ×15, first 2 shown]
	s_movk_i32 s23, 0x1100
	s_cbranch_execz .LBB604_725
	s_branch .LBB604_758
.LBB604_724:                            ;   in Loop: Header=BB604_722 Depth=2
	s_mov_b32 s22, 0
                                        ; implicit-def: $vgpr157
                                        ; implicit-def: $vgpr158
                                        ; implicit-def: $vgpr161
                                        ; implicit-def: $vgpr165
                                        ; implicit-def: $vgpr170
                                        ; implicit-def: $vgpr175
                                        ; implicit-def: $vgpr180
                                        ; implicit-def: $vgpr185
                                        ; implicit-def: $vgpr190
                                        ; implicit-def: $vgpr188
                                        ; implicit-def: $vgpr183
                                        ; implicit-def: $vgpr178
                                        ; implicit-def: $vgpr174
                                        ; implicit-def: $vgpr169
                                        ; implicit-def: $vgpr42
                                        ; implicit-def: $vgpr41
	s_movk_i32 s23, 0x1100
.LBB604_725:                            ;   in Loop: Header=BB604_722 Depth=2
	s_lshl_b64 s[22:23], s[50:51], 2
	s_waitcnt vmcnt(14)
	v_bfrev_b32_e32 v158, -2
	v_add_co_u32 v39, vcc_lo, v134, s22
	v_add_co_ci_u32_e64 v40, null, s23, v135, vcc_lo
	v_bfrev_b32_e32 v157, -2
	s_mov_b32 s22, exec_lo
	v_cmpx_gt_u32_e64 s63, v109
	s_cbranch_execz .LBB604_727
; %bb.726:                              ;   in Loop: Header=BB604_722 Depth=2
	global_load_dword v157, v[39:40], off
.LBB604_727:                            ;   in Loop: Header=BB604_722 Depth=2
	s_or_b32 exec_lo, exec_lo, s22
	s_mov_b32 s22, exec_lo
	v_cmpx_gt_u32_e64 s63, v112
	s_cbranch_execz .LBB604_729
; %bb.728:                              ;   in Loop: Header=BB604_722 Depth=2
	global_load_dword v158, v[39:40], off offset:128
.LBB604_729:                            ;   in Loop: Header=BB604_722 Depth=2
	s_or_b32 exec_lo, exec_lo, s22
	s_waitcnt vmcnt(12)
	v_bfrev_b32_e32 v165, -2
	v_bfrev_b32_e32 v161, -2
	s_mov_b32 s22, exec_lo
	v_cmpx_gt_u32_e64 s63, v113
	s_cbranch_execz .LBB604_731
; %bb.730:                              ;   in Loop: Header=BB604_722 Depth=2
	global_load_dword v161, v[39:40], off offset:256
.LBB604_731:                            ;   in Loop: Header=BB604_722 Depth=2
	s_or_b32 exec_lo, exec_lo, s22
	s_mov_b32 s22, exec_lo
	v_cmpx_gt_u32_e64 s63, v114
	s_cbranch_execz .LBB604_733
; %bb.732:                              ;   in Loop: Header=BB604_722 Depth=2
	global_load_dword v165, v[39:40], off offset:384
.LBB604_733:                            ;   in Loop: Header=BB604_722 Depth=2
	s_or_b32 exec_lo, exec_lo, s22
	s_waitcnt vmcnt(10)
	v_bfrev_b32_e32 v175, -2
	v_bfrev_b32_e32 v170, -2
	s_mov_b32 s22, exec_lo
	v_cmpx_gt_u32_e64 s63, v115
	s_cbranch_execz .LBB604_735
; %bb.734:                              ;   in Loop: Header=BB604_722 Depth=2
	global_load_dword v170, v[39:40], off offset:512
.LBB604_735:                            ;   in Loop: Header=BB604_722 Depth=2
	;; [unrolled: 17-line block ×7, first 2 shown]
	s_or_b32 exec_lo, exec_lo, s22
	s_mov_b32 s22, exec_lo
	v_cmpx_gt_u32_e64 s63, v127
	s_cbranch_execz .LBB604_757
; %bb.756:                              ;   in Loop: Header=BB604_722 Depth=2
	global_load_dword v41, v[39:40], off offset:1920
.LBB604_757:                            ;   in Loop: Header=BB604_722 Depth=2
	s_or_b32 exec_lo, exec_lo, s22
	v_cmp_gt_u32_e64 s22, s63, v128
	s_sub_i32 s23, s59, s50
.LBB604_758:                            ;   in Loop: Header=BB604_722 Depth=2
	v_mov_b32_e32 v3, -1
	v_mov_b32_e32 v156, s63
	s_and_saveexec_b32 s24, s22
	s_cbranch_execz .LBB604_760
; %bb.759:                              ;   in Loop: Header=BB604_722 Depth=2
	s_lshl_b64 s[26:27], s[50:51], 2
	v_mov_b32_e32 v156, s23
	v_add_co_u32 v3, vcc_lo, v134, s26
	v_add_co_ci_u32_e64 v40, null, s27, v135, vcc_lo
	v_add_co_u32 v39, vcc_lo, 0x800, v3
	v_add_co_ci_u32_e64 v40, null, 0, v40, vcc_lo
	global_load_dword v3, v[39:40], off
	s_waitcnt vmcnt(0)
	v_xor_b32_e32 v3, 0x80000000, v3
.LBB604_760:                            ;   in Loop: Header=BB604_722 Depth=2
	s_or_b32 exec_lo, exec_lo, s24
	s_waitcnt vmcnt(15)
	v_xor_b32_e32 v157, 0x80000000, v157
	ds_write2_b32 v68, v4, v4 offset0:136 offset1:137
	ds_write2_b32 v68, v4, v4 offset0:138 offset1:139
	ds_write_b32 v68, v4 offset:560
	s_waitcnt vmcnt(0) lgkmcnt(0)
	s_barrier
	v_lshrrev_b32_e32 v39, s41, v157
	buffer_gl0_inv
	; wave barrier
	v_and_b32_e32 v40, s62, v39
	v_and_b32_e32 v39, 1, v40
	v_lshlrev_b32_e32 v159, 30, v40
	v_lshlrev_b32_e32 v160, 29, v40
	v_lshlrev_b32_e32 v163, 28, v40
	v_lshlrev_b32_e32 v164, 27, v40
	v_add_co_u32 v39, s22, v39, -1
	v_cndmask_b32_e64 v162, 0, 1, s22
	v_not_b32_e32 v167, v159
	v_cmp_gt_i32_e64 s22, 0, v159
	v_not_b32_e32 v159, v160
	v_lshlrev_b32_e32 v166, 26, v40
	v_cmp_ne_u32_e32 vcc_lo, 0, v162
	v_ashrrev_i32_e32 v167, 31, v167
	v_lshlrev_b32_e32 v162, 25, v40
	v_ashrrev_i32_e32 v159, 31, v159
	v_mul_u32_u24_e32 v40, 36, v40
	v_xor_b32_e32 v39, vcc_lo, v39
	v_cmp_gt_i32_e32 vcc_lo, 0, v160
	v_not_b32_e32 v160, v163
	v_xor_b32_e32 v167, s22, v167
	v_cmp_gt_i32_e64 s22, 0, v163
	v_and_b32_e32 v39, exec_lo, v39
	v_not_b32_e32 v163, v164
	v_ashrrev_i32_e32 v160, 31, v160
	v_xor_b32_e32 v159, vcc_lo, v159
	v_cmp_gt_i32_e32 vcc_lo, 0, v164
	v_and_b32_e32 v39, v39, v167
	v_not_b32_e32 v164, v166
	v_ashrrev_i32_e32 v163, 31, v163
	v_xor_b32_e32 v160, s22, v160
	v_cmp_gt_i32_e64 s22, 0, v166
	v_and_b32_e32 v39, v39, v159
	v_not_b32_e32 v159, v162
	v_ashrrev_i32_e32 v164, 31, v164
	v_xor_b32_e32 v163, vcc_lo, v163
	v_cmp_gt_i32_e32 vcc_lo, 0, v162
	v_and_b32_e32 v39, v39, v160
	v_ashrrev_i32_e32 v159, 31, v159
	v_xor_b32_e32 v160, s22, v164
	v_and_b32_e32 v39, v39, v163
	v_xor_b32_e32 v159, vcc_lo, v159
	v_and_b32_e32 v39, v39, v160
	v_add_nc_u32_e32 v160, v136, v40
	v_and_b32_e32 v39, v39, v159
	v_mbcnt_lo_u32_b32 v159, v39, 0
	v_cmp_ne_u32_e64 s22, 0, v39
	v_cmp_eq_u32_e32 vcc_lo, 0, v159
	s_and_b32 s23, s22, vcc_lo
	s_and_saveexec_b32 s22, s23
; %bb.761:                              ;   in Loop: Header=BB604_722 Depth=2
	v_bcnt_u32_b32 v39, v39, 0
	ds_write_b32 v160, v39 offset:544
; %bb.762:                              ;   in Loop: Header=BB604_722 Depth=2
	s_or_b32 exec_lo, exec_lo, s22
	v_xor_b32_e32 v158, 0x80000000, v158
	; wave barrier
	v_lshrrev_b32_e32 v39, s41, v158
	v_and_b32_e32 v40, s62, v39
	v_and_b32_e32 v39, 1, v40
	v_lshlrev_b32_e32 v162, 30, v40
	v_lshlrev_b32_e32 v163, 29, v40
	v_lshlrev_b32_e32 v166, 28, v40
	v_lshlrev_b32_e32 v167, 27, v40
	v_add_co_u32 v39, s22, v39, -1
	v_cndmask_b32_e64 v164, 0, 1, s22
	v_not_b32_e32 v171, v162
	v_cmp_gt_i32_e64 s22, 0, v162
	v_not_b32_e32 v162, v163
	v_lshlrev_b32_e32 v168, 26, v40
	v_cmp_ne_u32_e32 vcc_lo, 0, v164
	v_ashrrev_i32_e32 v171, 31, v171
	v_lshlrev_b32_e32 v164, 25, v40
	v_ashrrev_i32_e32 v162, 31, v162
	v_xor_b32_e32 v39, vcc_lo, v39
	v_cmp_gt_i32_e32 vcc_lo, 0, v163
	v_not_b32_e32 v163, v166
	v_xor_b32_e32 v171, s22, v171
	v_cmp_gt_i32_e64 s22, 0, v166
	v_and_b32_e32 v39, exec_lo, v39
	v_not_b32_e32 v166, v167
	v_ashrrev_i32_e32 v163, 31, v163
	v_xor_b32_e32 v162, vcc_lo, v162
	v_cmp_gt_i32_e32 vcc_lo, 0, v167
	v_and_b32_e32 v39, v39, v171
	v_not_b32_e32 v167, v168
	v_ashrrev_i32_e32 v166, 31, v166
	v_xor_b32_e32 v163, s22, v163
	v_cmp_gt_i32_e64 s22, 0, v168
	v_and_b32_e32 v39, v39, v162
	v_not_b32_e32 v162, v164
	v_ashrrev_i32_e32 v167, 31, v167
	v_xor_b32_e32 v166, vcc_lo, v166
	v_cmp_gt_i32_e32 vcc_lo, 0, v164
	v_and_b32_e32 v39, v39, v163
	v_ashrrev_i32_e32 v162, 31, v162
	v_xor_b32_e32 v163, s22, v167
	v_mad_u32_u24 v164, v40, 36, v136
	v_mul_u32_u24_e32 v40, 36, v40
	v_and_b32_e32 v39, v39, v166
	v_xor_b32_e32 v166, vcc_lo, v162
	ds_read_b32 v162, v164 offset:544
	v_add_nc_u32_e32 v164, v136, v40
	v_and_b32_e32 v39, v39, v163
	; wave barrier
	v_and_b32_e32 v39, v39, v166
	v_mbcnt_lo_u32_b32 v163, v39, 0
	v_cmp_ne_u32_e64 s22, 0, v39
	v_cmp_eq_u32_e32 vcc_lo, 0, v163
	s_and_b32 s23, s22, vcc_lo
	s_and_saveexec_b32 s22, s23
	s_cbranch_execz .LBB604_764
; %bb.763:                              ;   in Loop: Header=BB604_722 Depth=2
	s_waitcnt lgkmcnt(0)
	v_bcnt_u32_b32 v39, v39, v162
	ds_write_b32 v164, v39 offset:544
.LBB604_764:                            ;   in Loop: Header=BB604_722 Depth=2
	s_or_b32 exec_lo, exec_lo, s22
	v_xor_b32_e32 v161, 0x80000000, v161
	; wave barrier
	v_lshrrev_b32_e32 v39, s41, v161
	v_and_b32_e32 v40, s62, v39
	v_and_b32_e32 v39, 1, v40
	v_lshlrev_b32_e32 v166, 30, v40
	v_lshlrev_b32_e32 v167, 29, v40
	v_lshlrev_b32_e32 v171, 28, v40
	v_lshlrev_b32_e32 v172, 27, v40
	v_add_co_u32 v39, s22, v39, -1
	v_cndmask_b32_e64 v168, 0, 1, s22
	v_not_b32_e32 v176, v166
	v_cmp_gt_i32_e64 s22, 0, v166
	v_not_b32_e32 v166, v167
	v_lshlrev_b32_e32 v173, 26, v40
	v_cmp_ne_u32_e32 vcc_lo, 0, v168
	v_ashrrev_i32_e32 v176, 31, v176
	v_lshlrev_b32_e32 v168, 25, v40
	v_ashrrev_i32_e32 v166, 31, v166
	v_xor_b32_e32 v39, vcc_lo, v39
	v_cmp_gt_i32_e32 vcc_lo, 0, v167
	v_not_b32_e32 v167, v171
	v_xor_b32_e32 v176, s22, v176
	v_cmp_gt_i32_e64 s22, 0, v171
	v_and_b32_e32 v39, exec_lo, v39
	v_not_b32_e32 v171, v172
	v_ashrrev_i32_e32 v167, 31, v167
	v_xor_b32_e32 v166, vcc_lo, v166
	v_cmp_gt_i32_e32 vcc_lo, 0, v172
	v_and_b32_e32 v39, v39, v176
	v_not_b32_e32 v172, v173
	v_ashrrev_i32_e32 v171, 31, v171
	v_xor_b32_e32 v167, s22, v167
	v_cmp_gt_i32_e64 s22, 0, v173
	v_and_b32_e32 v39, v39, v166
	v_not_b32_e32 v166, v168
	v_ashrrev_i32_e32 v172, 31, v172
	v_xor_b32_e32 v171, vcc_lo, v171
	v_cmp_gt_i32_e32 vcc_lo, 0, v168
	v_and_b32_e32 v39, v39, v167
	v_ashrrev_i32_e32 v166, 31, v166
	v_xor_b32_e32 v167, s22, v172
	v_mad_u32_u24 v168, v40, 36, v136
	v_mul_u32_u24_e32 v40, 36, v40
	v_and_b32_e32 v39, v39, v171
	v_xor_b32_e32 v171, vcc_lo, v166
	ds_read_b32 v166, v168 offset:544
	v_add_nc_u32_e32 v168, v136, v40
	v_and_b32_e32 v39, v39, v167
	; wave barrier
	v_and_b32_e32 v39, v39, v171
	v_mbcnt_lo_u32_b32 v167, v39, 0
	v_cmp_ne_u32_e64 s22, 0, v39
	v_cmp_eq_u32_e32 vcc_lo, 0, v167
	s_and_b32 s23, s22, vcc_lo
	s_and_saveexec_b32 s22, s23
	s_cbranch_execz .LBB604_766
; %bb.765:                              ;   in Loop: Header=BB604_722 Depth=2
	s_waitcnt lgkmcnt(0)
	v_bcnt_u32_b32 v39, v39, v166
	ds_write_b32 v168, v39 offset:544
.LBB604_766:                            ;   in Loop: Header=BB604_722 Depth=2
	;; [unrolled: 63-line block ×9, first 2 shown]
	s_or_b32 exec_lo, exec_lo, s22
	v_xor_b32_e32 v183, 0x80000000, v183
	; wave barrier
	v_lshrrev_b32_e32 v39, s41, v183
	v_and_b32_e32 v40, s62, v39
	v_and_b32_e32 v39, 1, v40
	v_lshlrev_b32_e32 v200, 30, v40
	v_lshlrev_b32_e32 v201, 29, v40
	;; [unrolled: 1-line block ×4, first 2 shown]
	v_add_co_u32 v39, s22, v39, -1
	v_cndmask_b32_e64 v202, 0, 1, s22
	v_not_b32_e32 v206, v200
	v_cmp_gt_i32_e64 s22, 0, v200
	v_not_b32_e32 v200, v201
	v_lshlrev_b32_e32 v205, 26, v40
	v_cmp_ne_u32_e32 vcc_lo, 0, v202
	v_ashrrev_i32_e32 v206, 31, v206
	v_lshlrev_b32_e32 v202, 25, v40
	v_ashrrev_i32_e32 v200, 31, v200
	v_xor_b32_e32 v39, vcc_lo, v39
	v_cmp_gt_i32_e32 vcc_lo, 0, v201
	v_not_b32_e32 v201, v203
	v_xor_b32_e32 v206, s22, v206
	v_cmp_gt_i32_e64 s22, 0, v203
	v_and_b32_e32 v39, exec_lo, v39
	v_not_b32_e32 v203, v204
	v_ashrrev_i32_e32 v201, 31, v201
	v_xor_b32_e32 v200, vcc_lo, v200
	v_cmp_gt_i32_e32 vcc_lo, 0, v204
	v_and_b32_e32 v39, v39, v206
	v_not_b32_e32 v204, v205
	v_ashrrev_i32_e32 v203, 31, v203
	v_xor_b32_e32 v201, s22, v201
	v_cmp_gt_i32_e64 s22, 0, v205
	v_and_b32_e32 v39, v39, v200
	v_not_b32_e32 v200, v202
	v_ashrrev_i32_e32 v204, 31, v204
	v_xor_b32_e32 v203, vcc_lo, v203
	v_cmp_gt_i32_e32 vcc_lo, 0, v202
	v_and_b32_e32 v39, v39, v201
	v_ashrrev_i32_e32 v200, 31, v200
	v_xor_b32_e32 v201, s22, v204
	v_mad_u32_u24 v202, v40, 36, v136
	v_mul_u32_u24_e32 v40, 36, v40
	v_and_b32_e32 v39, v39, v203
	v_xor_b32_e32 v200, vcc_lo, v200
	v_add_nc_u32_e32 v203, v136, v40
	v_and_b32_e32 v39, v39, v201
	ds_read_b32 v201, v202 offset:544
	; wave barrier
	v_and_b32_e32 v39, v39, v200
	v_mbcnt_lo_u32_b32 v202, v39, 0
	v_cmp_ne_u32_e64 s22, 0, v39
	v_cmp_eq_u32_e32 vcc_lo, 0, v202
	s_and_b32 s23, s22, vcc_lo
	s_and_saveexec_b32 s22, s23
	s_cbranch_execz .LBB604_782
; %bb.781:                              ;   in Loop: Header=BB604_722 Depth=2
	s_waitcnt lgkmcnt(0)
	v_bcnt_u32_b32 v39, v39, v201
	ds_write_b32 v203, v39 offset:544
.LBB604_782:                            ;   in Loop: Header=BB604_722 Depth=2
	s_or_b32 exec_lo, exec_lo, s22
	v_xor_b32_e32 v200, 0x80000000, v178
	; wave barrier
	v_lshrrev_b32_e32 v39, s41, v200
	v_and_b32_e32 v40, s62, v39
	v_and_b32_e32 v39, 1, v40
	v_lshlrev_b32_e32 v178, 30, v40
	v_lshlrev_b32_e32 v204, 29, v40
	v_lshlrev_b32_e32 v206, 28, v40
	v_lshlrev_b32_e32 v207, 27, v40
	v_add_co_u32 v39, s22, v39, -1
	v_cndmask_b32_e64 v205, 0, 1, s22
	v_not_b32_e32 v209, v178
	v_cmp_gt_i32_e64 s22, 0, v178
	v_not_b32_e32 v178, v204
	v_lshlrev_b32_e32 v208, 26, v40
	v_cmp_ne_u32_e32 vcc_lo, 0, v205
	v_ashrrev_i32_e32 v209, 31, v209
	v_lshlrev_b32_e32 v205, 25, v40
	v_ashrrev_i32_e32 v178, 31, v178
	v_xor_b32_e32 v39, vcc_lo, v39
	v_cmp_gt_i32_e32 vcc_lo, 0, v204
	v_not_b32_e32 v204, v206
	v_xor_b32_e32 v209, s22, v209
	v_cmp_gt_i32_e64 s22, 0, v206
	v_and_b32_e32 v39, exec_lo, v39
	v_not_b32_e32 v206, v207
	v_ashrrev_i32_e32 v204, 31, v204
	v_xor_b32_e32 v178, vcc_lo, v178
	v_cmp_gt_i32_e32 vcc_lo, 0, v207
	v_and_b32_e32 v39, v39, v209
	v_not_b32_e32 v207, v208
	v_ashrrev_i32_e32 v206, 31, v206
	v_xor_b32_e32 v204, s22, v204
	v_cmp_gt_i32_e64 s22, 0, v208
	v_and_b32_e32 v39, v39, v178
	v_not_b32_e32 v178, v205
	v_ashrrev_i32_e32 v207, 31, v207
	v_xor_b32_e32 v206, vcc_lo, v206
	v_cmp_gt_i32_e32 vcc_lo, 0, v205
	v_and_b32_e32 v39, v39, v204
	v_ashrrev_i32_e32 v178, 31, v178
	v_xor_b32_e32 v204, s22, v207
	v_mad_u32_u24 v205, v40, 36, v136
	v_mul_u32_u24_e32 v40, 36, v40
	v_and_b32_e32 v39, v39, v206
	v_xor_b32_e32 v178, vcc_lo, v178
	ds_read_b32 v205, v205 offset:544
	v_and_b32_e32 v39, v39, v204
	; wave barrier
	v_and_b32_e32 v39, v39, v178
	v_add_nc_u32_e32 v178, v136, v40
	v_mbcnt_lo_u32_b32 v206, v39, 0
	v_cmp_ne_u32_e64 s22, 0, v39
	v_cmp_eq_u32_e32 vcc_lo, 0, v206
	s_and_b32 s23, s22, vcc_lo
	s_and_saveexec_b32 s22, s23
	s_cbranch_execz .LBB604_784
; %bb.783:                              ;   in Loop: Header=BB604_722 Depth=2
	s_waitcnt lgkmcnt(0)
	v_bcnt_u32_b32 v39, v39, v205
	ds_write_b32 v178, v39 offset:544
.LBB604_784:                            ;   in Loop: Header=BB604_722 Depth=2
	s_or_b32 exec_lo, exec_lo, s22
	v_xor_b32_e32 v204, 0x80000000, v174
	; wave barrier
	v_lshrrev_b32_e32 v39, s41, v204
	v_and_b32_e32 v40, s62, v39
	v_and_b32_e32 v39, 1, v40
	v_lshlrev_b32_e32 v174, 30, v40
	v_lshlrev_b32_e32 v207, 29, v40
	v_lshlrev_b32_e32 v209, 28, v40
	v_lshlrev_b32_e32 v210, 27, v40
	v_add_co_u32 v39, s22, v39, -1
	v_cndmask_b32_e64 v208, 0, 1, s22
	v_not_b32_e32 v212, v174
	v_cmp_gt_i32_e64 s22, 0, v174
	v_not_b32_e32 v174, v207
	v_lshlrev_b32_e32 v211, 26, v40
	v_cmp_ne_u32_e32 vcc_lo, 0, v208
	v_ashrrev_i32_e32 v212, 31, v212
	v_lshlrev_b32_e32 v208, 25, v40
	v_ashrrev_i32_e32 v174, 31, v174
	v_xor_b32_e32 v39, vcc_lo, v39
	v_cmp_gt_i32_e32 vcc_lo, 0, v207
	v_not_b32_e32 v207, v209
	v_xor_b32_e32 v212, s22, v212
	v_cmp_gt_i32_e64 s22, 0, v209
	v_and_b32_e32 v39, exec_lo, v39
	v_not_b32_e32 v209, v210
	v_ashrrev_i32_e32 v207, 31, v207
	v_xor_b32_e32 v174, vcc_lo, v174
	v_cmp_gt_i32_e32 vcc_lo, 0, v210
	v_and_b32_e32 v39, v39, v212
	v_not_b32_e32 v210, v211
	v_ashrrev_i32_e32 v209, 31, v209
	v_xor_b32_e32 v207, s22, v207
	v_cmp_gt_i32_e64 s22, 0, v211
	v_and_b32_e32 v39, v39, v174
	v_not_b32_e32 v174, v208
	v_ashrrev_i32_e32 v210, 31, v210
	v_xor_b32_e32 v209, vcc_lo, v209
	v_cmp_gt_i32_e32 vcc_lo, 0, v208
	v_and_b32_e32 v39, v39, v207
	v_ashrrev_i32_e32 v174, 31, v174
	v_xor_b32_e32 v207, s22, v210
	v_mad_u32_u24 v208, v40, 36, v136
	v_mul_u32_u24_e32 v40, 36, v40
	v_and_b32_e32 v39, v39, v209
	v_xor_b32_e32 v174, vcc_lo, v174
	ds_read_b32 v208, v208 offset:544
	v_and_b32_e32 v39, v39, v207
	; wave barrier
	v_and_b32_e32 v39, v39, v174
	v_add_nc_u32_e32 v174, v136, v40
	;; [unrolled: 63-line block ×3, first 2 shown]
	v_mbcnt_lo_u32_b32 v212, v39, 0
	v_cmp_ne_u32_e64 s22, 0, v39
	v_cmp_eq_u32_e32 vcc_lo, 0, v212
	s_and_b32 s23, s22, vcc_lo
	s_and_saveexec_b32 s22, s23
	s_cbranch_execz .LBB604_788
; %bb.787:                              ;   in Loop: Header=BB604_722 Depth=2
	s_waitcnt lgkmcnt(0)
	v_bcnt_u32_b32 v39, v39, v211
	ds_write_b32 v169, v39 offset:544
.LBB604_788:                            ;   in Loop: Header=BB604_722 Depth=2
	s_or_b32 exec_lo, exec_lo, s22
	v_xor_b32_e32 v210, 0x80000000, v42
	; wave barrier
	v_lshrrev_b32_e32 v39, s41, v210
	v_and_b32_e32 v40, s62, v39
	v_and_b32_e32 v39, 1, v40
	v_lshlrev_b32_e32 v42, 30, v40
	v_lshlrev_b32_e32 v213, 29, v40
	;; [unrolled: 1-line block ×4, first 2 shown]
	v_add_co_u32 v39, s22, v39, -1
	v_cndmask_b32_e64 v214, 0, 1, s22
	v_not_b32_e32 v218, v42
	v_cmp_gt_i32_e64 s22, 0, v42
	v_not_b32_e32 v42, v213
	v_lshlrev_b32_e32 v217, 26, v40
	v_cmp_ne_u32_e32 vcc_lo, 0, v214
	v_ashrrev_i32_e32 v218, 31, v218
	v_lshlrev_b32_e32 v214, 25, v40
	v_ashrrev_i32_e32 v42, 31, v42
	v_xor_b32_e32 v39, vcc_lo, v39
	v_cmp_gt_i32_e32 vcc_lo, 0, v213
	v_not_b32_e32 v213, v215
	v_xor_b32_e32 v218, s22, v218
	v_cmp_gt_i32_e64 s22, 0, v215
	v_and_b32_e32 v39, exec_lo, v39
	v_not_b32_e32 v215, v216
	v_ashrrev_i32_e32 v213, 31, v213
	v_xor_b32_e32 v42, vcc_lo, v42
	v_cmp_gt_i32_e32 vcc_lo, 0, v216
	v_and_b32_e32 v39, v39, v218
	v_not_b32_e32 v216, v217
	v_ashrrev_i32_e32 v215, 31, v215
	v_xor_b32_e32 v213, s22, v213
	v_cmp_gt_i32_e64 s22, 0, v217
	v_and_b32_e32 v39, v39, v42
	v_not_b32_e32 v42, v214
	v_ashrrev_i32_e32 v216, 31, v216
	v_xor_b32_e32 v215, vcc_lo, v215
	v_cmp_gt_i32_e32 vcc_lo, 0, v214
	v_and_b32_e32 v39, v39, v213
	v_ashrrev_i32_e32 v42, 31, v42
	v_xor_b32_e32 v213, s22, v216
	v_mad_u32_u24 v214, v40, 36, v136
	v_mul_u32_u24_e32 v40, 36, v40
	v_and_b32_e32 v39, v39, v215
	v_xor_b32_e32 v42, vcc_lo, v42
	ds_read_b32 v214, v214 offset:544
	v_add_nc_u32_e32 v216, v136, v40
	v_and_b32_e32 v39, v39, v213
	; wave barrier
	v_and_b32_e32 v39, v39, v42
	v_mbcnt_lo_u32_b32 v215, v39, 0
	v_cmp_ne_u32_e64 s22, 0, v39
	v_cmp_eq_u32_e32 vcc_lo, 0, v215
	s_and_b32 s23, s22, vcc_lo
	s_and_saveexec_b32 s22, s23
	s_cbranch_execz .LBB604_790
; %bb.789:                              ;   in Loop: Header=BB604_722 Depth=2
	s_waitcnt lgkmcnt(0)
	v_bcnt_u32_b32 v39, v39, v214
	ds_write_b32 v216, v39 offset:544
.LBB604_790:                            ;   in Loop: Header=BB604_722 Depth=2
	s_or_b32 exec_lo, exec_lo, s22
	v_xor_b32_e32 v213, 0x80000000, v41
	; wave barrier
	v_lshrrev_b32_e32 v39, s41, v213
	v_and_b32_e32 v40, s62, v39
	v_and_b32_e32 v39, 1, v40
	v_lshlrev_b32_e32 v41, 30, v40
	v_lshlrev_b32_e32 v42, 29, v40
	;; [unrolled: 1-line block ×4, first 2 shown]
	v_add_co_u32 v39, s22, v39, -1
	v_cndmask_b32_e64 v217, 0, 1, s22
	v_not_b32_e32 v221, v41
	v_cmp_gt_i32_e64 s22, 0, v41
	v_not_b32_e32 v41, v42
	v_lshlrev_b32_e32 v220, 26, v40
	v_cmp_ne_u32_e32 vcc_lo, 0, v217
	v_ashrrev_i32_e32 v221, 31, v221
	v_lshlrev_b32_e32 v217, 25, v40
	v_ashrrev_i32_e32 v41, 31, v41
	v_xor_b32_e32 v39, vcc_lo, v39
	v_cmp_gt_i32_e32 vcc_lo, 0, v42
	v_not_b32_e32 v42, v218
	v_xor_b32_e32 v221, s22, v221
	v_cmp_gt_i32_e64 s22, 0, v218
	v_and_b32_e32 v39, exec_lo, v39
	v_not_b32_e32 v218, v219
	v_ashrrev_i32_e32 v42, 31, v42
	v_xor_b32_e32 v41, vcc_lo, v41
	v_cmp_gt_i32_e32 vcc_lo, 0, v219
	v_and_b32_e32 v39, v39, v221
	v_not_b32_e32 v219, v220
	v_ashrrev_i32_e32 v218, 31, v218
	v_xor_b32_e32 v42, s22, v42
	v_cmp_gt_i32_e64 s22, 0, v220
	v_and_b32_e32 v39, v39, v41
	v_not_b32_e32 v41, v217
	v_ashrrev_i32_e32 v219, 31, v219
	v_xor_b32_e32 v218, vcc_lo, v218
	v_cmp_gt_i32_e32 vcc_lo, 0, v217
	v_and_b32_e32 v39, v39, v42
	v_ashrrev_i32_e32 v41, 31, v41
	v_xor_b32_e32 v42, s22, v219
	v_mad_u32_u24 v217, v40, 36, v136
	v_mul_u32_u24_e32 v40, 36, v40
	v_and_b32_e32 v39, v39, v218
	v_xor_b32_e32 v41, vcc_lo, v41
	ds_read_b32 v217, v217 offset:544
	v_add_nc_u32_e32 v219, v136, v40
	v_and_b32_e32 v39, v39, v42
	; wave barrier
	v_and_b32_e32 v39, v39, v41
	v_mbcnt_lo_u32_b32 v218, v39, 0
	v_cmp_ne_u32_e64 s22, 0, v39
	v_cmp_eq_u32_e32 vcc_lo, 0, v218
	s_and_b32 s23, s22, vcc_lo
	s_and_saveexec_b32 s22, s23
	s_cbranch_execz .LBB604_792
; %bb.791:                              ;   in Loop: Header=BB604_722 Depth=2
	s_waitcnt lgkmcnt(0)
	v_bcnt_u32_b32 v39, v39, v217
	ds_write_b32 v219, v39 offset:544
.LBB604_792:                            ;   in Loop: Header=BB604_722 Depth=2
	s_or_b32 exec_lo, exec_lo, s22
	v_lshrrev_b32_e32 v39, s41, v3
	; wave barrier
	v_and_b32_e32 v40, s62, v39
	v_and_b32_e32 v39, 1, v40
	v_lshlrev_b32_e32 v41, 30, v40
	v_lshlrev_b32_e32 v42, 29, v40
	;; [unrolled: 1-line block ×4, first 2 shown]
	v_add_co_u32 v39, s22, v39, -1
	v_cndmask_b32_e64 v220, 0, 1, s22
	v_not_b32_e32 v224, v41
	v_cmp_gt_i32_e64 s22, 0, v41
	v_not_b32_e32 v41, v42
	v_lshlrev_b32_e32 v223, 26, v40
	v_cmp_ne_u32_e32 vcc_lo, 0, v220
	v_ashrrev_i32_e32 v224, 31, v224
	v_lshlrev_b32_e32 v220, 25, v40
	v_ashrrev_i32_e32 v41, 31, v41
	v_xor_b32_e32 v39, vcc_lo, v39
	v_cmp_gt_i32_e32 vcc_lo, 0, v42
	v_not_b32_e32 v42, v221
	v_xor_b32_e32 v224, s22, v224
	v_cmp_gt_i32_e64 s22, 0, v221
	v_and_b32_e32 v39, exec_lo, v39
	v_not_b32_e32 v221, v222
	v_ashrrev_i32_e32 v42, 31, v42
	v_xor_b32_e32 v41, vcc_lo, v41
	v_cmp_gt_i32_e32 vcc_lo, 0, v222
	v_and_b32_e32 v39, v39, v224
	v_not_b32_e32 v222, v223
	v_ashrrev_i32_e32 v221, 31, v221
	v_xor_b32_e32 v42, s22, v42
	v_cmp_gt_i32_e64 s22, 0, v223
	v_and_b32_e32 v39, v39, v41
	v_not_b32_e32 v41, v220
	v_ashrrev_i32_e32 v222, 31, v222
	v_xor_b32_e32 v221, vcc_lo, v221
	v_cmp_gt_i32_e32 vcc_lo, 0, v220
	v_and_b32_e32 v39, v39, v42
	v_ashrrev_i32_e32 v41, 31, v41
	v_xor_b32_e32 v42, s22, v222
	v_mad_u32_u24 v220, v40, 36, v136
	v_mul_u32_u24_e32 v40, 36, v40
	v_and_b32_e32 v39, v39, v221
	v_xor_b32_e32 v41, vcc_lo, v41
	ds_read_b32 v220, v220 offset:544
	v_add_nc_u32_e32 v222, v136, v40
	v_and_b32_e32 v39, v39, v42
	; wave barrier
	v_and_b32_e32 v39, v39, v41
	v_mbcnt_lo_u32_b32 v221, v39, 0
	v_cmp_ne_u32_e64 s22, 0, v39
	v_cmp_eq_u32_e32 vcc_lo, 0, v221
	s_and_b32 s23, s22, vcc_lo
	s_and_saveexec_b32 s22, s23
	s_cbranch_execz .LBB604_794
; %bb.793:                              ;   in Loop: Header=BB604_722 Depth=2
	s_waitcnt lgkmcnt(0)
	v_bcnt_u32_b32 v39, v39, v220
	ds_write_b32 v222, v39 offset:544
.LBB604_794:                            ;   in Loop: Header=BB604_722 Depth=2
	s_or_b32 exec_lo, exec_lo, s22
	; wave barrier
	s_waitcnt lgkmcnt(0)
	s_barrier
	buffer_gl0_inv
	ds_read2_b32 v[41:42], v68 offset0:136 offset1:137
	ds_read2_b32 v[39:40], v68 offset0:138 offset1:139
	ds_read_b32 v223, v68 offset:560
	s_waitcnt lgkmcnt(1)
	v_add3_u32 v224, v42, v41, v39
	s_waitcnt lgkmcnt(0)
	v_add3_u32 v223, v224, v40, v223
	v_mov_b32_dpp v224, v223 row_shr:1 row_mask:0xf bank_mask:0xf
	v_cndmask_b32_e64 v224, v224, 0, s5
	v_add_nc_u32_e32 v223, v224, v223
	v_mov_b32_dpp v224, v223 row_shr:2 row_mask:0xf bank_mask:0xf
	v_cndmask_b32_e64 v224, 0, v224, s15
	v_add_nc_u32_e32 v223, v223, v224
	;; [unrolled: 3-line block ×4, first 2 shown]
	ds_swizzle_b32 v224, v223 offset:swizzle(BROADCAST,32,15)
	s_waitcnt lgkmcnt(0)
	v_cndmask_b32_e64 v224, v224, 0, s18
	v_add_nc_u32_e32 v223, v223, v224
	s_and_saveexec_b32 s22, s4
; %bb.795:                              ;   in Loop: Header=BB604_722 Depth=2
	ds_write_b32 v62, v223 offset:512
; %bb.796:                              ;   in Loop: Header=BB604_722 Depth=2
	s_or_b32 exec_lo, exec_lo, s22
	s_waitcnt lgkmcnt(0)
	s_barrier
	buffer_gl0_inv
	s_and_saveexec_b32 s22, s11
	s_cbranch_execz .LBB604_798
; %bb.797:                              ;   in Loop: Header=BB604_722 Depth=2
	ds_read_b32 v224, v69 offset:512
	s_waitcnt lgkmcnt(0)
	v_mov_b32_dpp v225, v224 row_shr:1 row_mask:0xf bank_mask:0xf
	v_cndmask_b32_e64 v225, v225, 0, s19
	v_add_nc_u32_e32 v224, v225, v224
	v_mov_b32_dpp v225, v224 row_shr:2 row_mask:0xf bank_mask:0xf
	v_cndmask_b32_e64 v225, 0, v225, s20
	v_add_nc_u32_e32 v224, v224, v225
	;; [unrolled: 3-line block ×3, first 2 shown]
	ds_write_b32 v69, v224 offset:512
.LBB604_798:                            ;   in Loop: Header=BB604_722 Depth=2
	s_or_b32 exec_lo, exec_lo, s22
	v_mov_b32_e32 v224, 0
	s_waitcnt lgkmcnt(0)
	s_barrier
	buffer_gl0_inv
	s_and_saveexec_b32 s22, s10
; %bb.799:                              ;   in Loop: Header=BB604_722 Depth=2
	ds_read_b32 v224, v62 offset:508
; %bb.800:                              ;   in Loop: Header=BB604_722 Depth=2
	s_or_b32 exec_lo, exec_lo, s22
	s_waitcnt lgkmcnt(0)
	v_add_nc_u32_e32 v223, v224, v223
	ds_bpermute_b32 v223, v131, v223
	s_waitcnt lgkmcnt(0)
	v_cndmask_b32_e64 v223, v223, v224, s14
	v_cndmask_b32_e64 v223, v223, 0, s12
	v_add_nc_u32_e32 v41, v223, v41
	v_add_nc_u32_e32 v42, v41, v42
	;; [unrolled: 1-line block ×4, first 2 shown]
	ds_write2_b32 v68, v223, v41 offset0:136 offset1:137
	ds_write2_b32 v68, v42, v39 offset0:138 offset1:139
	ds_write_b32 v68, v40 offset:560
	s_waitcnt lgkmcnt(0)
	s_barrier
	buffer_gl0_inv
	ds_read_b32 v41, v160 offset:544
	ds_read_b32 v42, v164 offset:544
	;; [unrolled: 1-line block ×17, first 2 shown]
	s_and_saveexec_b32 s22, s7
	s_cbranch_execz .LBB604_804
; %bb.801:                              ;   in Loop: Header=BB604_722 Depth=2
	ds_read_b32 v152, v71 offset:544
	v_mov_b32_e32 v155, 0x1100
	s_and_saveexec_b32 s23, s13
; %bb.802:                              ;   in Loop: Header=BB604_722 Depth=2
	ds_read_b32 v155, v70 offset:544
; %bb.803:                              ;   in Loop: Header=BB604_722 Depth=2
	s_or_b32 exec_lo, exec_lo, s23
	s_waitcnt lgkmcnt(0)
	v_sub_nc_u32_e32 v155, v155, v152
.LBB604_804:                            ;   in Loop: Header=BB604_722 Depth=2
	s_or_b32 exec_lo, exec_lo, s22
	s_waitcnt lgkmcnt(0)
	s_barrier
	buffer_gl0_inv
	s_and_saveexec_b32 s22, s7
	s_cbranch_execz .LBB604_806
; %bb.805:                              ;   in Loop: Header=BB604_722 Depth=2
	ds_read_b32 v169, v43
	s_waitcnt lgkmcnt(0)
	v_sub_nc_u32_e32 v169, v169, v152
	ds_write_b32 v43, v169
.LBB604_806:                            ;   in Loop: Header=BB604_722 Depth=2
	s_or_b32 exec_lo, exec_lo, s22
	v_add_nc_u32_e32 v179, v41, v159
	v_add3_u32 v178, v163, v162, v42
	v_add3_u32 v174, v167, v166, v164
	;; [unrolled: 1-line block ×5, first 2 shown]
	v_lshlrev_b32_e32 v176, 2, v179
	v_lshlrev_b32_e32 v177, 2, v178
	v_add3_u32 v162, v218, v217, v39
	v_lshlrev_b32_e32 v39, 2, v174
	v_add3_u32 v171, v182, v181, v184
	v_add3_u32 v168, v192, v191, v193
	;; [unrolled: 1-line block ×5, first 2 shown]
	ds_write_b32 v176, v157 offset:512
	ds_write_b32 v177, v158 offset:512
	v_lshlrev_b32_e32 v40, 2, v173
	ds_write_b32 v39, v161 offset:512
	v_lshlrev_b32_e32 v39, 2, v169
	v_add3_u32 v166, v198, v197, v199
	v_lshlrev_b32_e32 v157, 2, v172
	v_add3_u32 v164, v202, v201, v203
	;; [unrolled: 2-line block ×3, first 2 shown]
	v_add3_u32 v42, v209, v208, v225
	ds_write_b32 v40, v165 offset:512
	ds_write_b32 v157, v170 offset:512
	;; [unrolled: 1-line block ×3, first 2 shown]
	v_lshlrev_b32_e32 v40, 2, v168
	ds_write_b32 v39, v180 offset:512
	v_lshlrev_b32_e32 v39, 2, v167
	v_lshlrev_b32_e32 v157, 2, v166
	;; [unrolled: 1-line block ×3, first 2 shown]
	v_add3_u32 v41, v212, v211, v226
	ds_write_b32 v40, v185 offset:512
	v_lshlrev_b32_e32 v40, 2, v163
	ds_write_b32 v39, v190 offset:512
	ds_write_b32 v157, v188 offset:512
	;; [unrolled: 1-line block ×3, first 2 shown]
	v_lshlrev_b32_e32 v39, 2, v42
	v_cmp_lt_u32_e32 vcc_lo, v0, v156
	v_lshlrev_b32_e32 v157, 2, v159
	ds_write_b32 v40, v200 offset:512
	v_lshlrev_b32_e32 v40, 2, v41
	ds_write_b32 v39, v204 offset:512
	v_lshlrev_b32_e32 v39, 2, v160
	v_lshlrev_b32_e32 v158, 2, v162
	ds_write_b32 v40, v207 offset:512
	ds_write_b32 v157, v210 offset:512
	;; [unrolled: 1-line block ×4, first 2 shown]
	s_waitcnt lgkmcnt(0)
	s_barrier
	buffer_gl0_inv
	s_and_saveexec_b32 s23, vcc_lo
	s_cbranch_execnz .LBB604_879
; %bb.807:                              ;   in Loop: Header=BB604_722 Depth=2
	s_or_b32 exec_lo, exec_lo, s23
	v_cmp_lt_u32_e64 s22, v44, v156
	s_and_saveexec_b32 s24, s22
	s_cbranch_execnz .LBB604_880
.LBB604_808:                            ;   in Loop: Header=BB604_722 Depth=2
	s_or_b32 exec_lo, exec_lo, s24
	v_cmp_lt_u32_e64 s23, v47, v156
	s_and_saveexec_b32 s25, s23
	s_cbranch_execnz .LBB604_881
.LBB604_809:                            ;   in Loop: Header=BB604_722 Depth=2
	s_or_b32 exec_lo, exec_lo, s25
	v_cmp_lt_u32_e64 s24, v48, v156
	s_and_saveexec_b32 s26, s24
	s_cbranch_execnz .LBB604_882
.LBB604_810:                            ;   in Loop: Header=BB604_722 Depth=2
	s_or_b32 exec_lo, exec_lo, s26
	v_cmp_lt_u32_e64 s25, v49, v156
	s_and_saveexec_b32 s27, s25
	s_cbranch_execnz .LBB604_883
.LBB604_811:                            ;   in Loop: Header=BB604_722 Depth=2
	s_or_b32 exec_lo, exec_lo, s27
	v_cmp_lt_u32_e64 s26, v50, v156
	s_and_saveexec_b32 s29, s26
	s_cbranch_execnz .LBB604_884
.LBB604_812:                            ;   in Loop: Header=BB604_722 Depth=2
	s_or_b32 exec_lo, exec_lo, s29
	v_cmp_lt_u32_e64 s27, v51, v156
	s_and_saveexec_b32 s30, s27
	s_cbranch_execnz .LBB604_885
.LBB604_813:                            ;   in Loop: Header=BB604_722 Depth=2
	s_or_b32 exec_lo, exec_lo, s30
	v_cmp_lt_u32_e64 s29, v52, v156
	s_and_saveexec_b32 s31, s29
	s_cbranch_execnz .LBB604_886
.LBB604_814:                            ;   in Loop: Header=BB604_722 Depth=2
	s_or_b32 exec_lo, exec_lo, s31
	v_cmp_lt_u32_e64 s30, v53, v156
	s_and_saveexec_b32 s33, s30
	s_cbranch_execnz .LBB604_887
.LBB604_815:                            ;   in Loop: Header=BB604_722 Depth=2
	s_or_b32 exec_lo, exec_lo, s33
	v_cmp_lt_u32_e64 s31, v54, v156
	s_and_saveexec_b32 s34, s31
	s_cbranch_execnz .LBB604_888
.LBB604_816:                            ;   in Loop: Header=BB604_722 Depth=2
	s_or_b32 exec_lo, exec_lo, s34
	v_cmp_lt_u32_e64 s33, v55, v156
	s_and_saveexec_b32 s35, s33
	s_cbranch_execnz .LBB604_889
.LBB604_817:                            ;   in Loop: Header=BB604_722 Depth=2
	s_or_b32 exec_lo, exec_lo, s35
	v_cmp_lt_u32_e64 s34, v56, v156
	s_and_saveexec_b32 s36, s34
	s_cbranch_execnz .LBB604_890
.LBB604_818:                            ;   in Loop: Header=BB604_722 Depth=2
	s_or_b32 exec_lo, exec_lo, s36
	v_cmp_lt_u32_e64 s35, v57, v156
	s_and_saveexec_b32 s37, s35
	s_cbranch_execnz .LBB604_891
.LBB604_819:                            ;   in Loop: Header=BB604_722 Depth=2
	s_or_b32 exec_lo, exec_lo, s37
	v_cmp_lt_u32_e64 s36, v58, v156
	s_and_saveexec_b32 s38, s36
	s_cbranch_execnz .LBB604_892
.LBB604_820:                            ;   in Loop: Header=BB604_722 Depth=2
	s_or_b32 exec_lo, exec_lo, s38
	v_cmp_lt_u32_e64 s37, v59, v156
	s_and_saveexec_b32 s39, s37
	s_cbranch_execnz .LBB604_893
.LBB604_821:                            ;   in Loop: Header=BB604_722 Depth=2
	s_or_b32 exec_lo, exec_lo, s39
	v_cmp_lt_u32_e64 s38, v60, v156
	s_and_saveexec_b32 s40, s38
	s_cbranch_execnz .LBB604_894
.LBB604_822:                            ;   in Loop: Header=BB604_722 Depth=2
	s_or_b32 exec_lo, exec_lo, s40
	v_cmp_lt_u32_e64 s39, v61, v156
	s_and_saveexec_b32 s65, s39
	s_cbranch_execz .LBB604_824
.LBB604_823:                            ;   in Loop: Header=BB604_722 Depth=2
	ds_read_b32 v157, v69 offset:16896
	s_waitcnt lgkmcnt(0)
	v_lshrrev_b32_e32 v3, s41, v157
	v_and_b32_e32 v3, s62, v3
	v_lshlrev_b32_e32 v3, 2, v3
	ds_read_b32 v3, v3
	s_waitcnt lgkmcnt(0)
	v_add_nc_u32_e32 v3, v3, v61
	v_lshlrev_b64 v[39:40], 2, v[3:4]
	v_xor_b32_e32 v3, 0x80000000, v157
	v_add_co_u32 v39, s40, s46, v39
	v_add_co_ci_u32_e64 v40, null, s47, v40, s40
	global_store_dword v[39:40], v3, off
.LBB604_824:                            ;   in Loop: Header=BB604_722 Depth=2
	s_or_b32 exec_lo, exec_lo, s65
	s_lshl_b64 s[66:67], s[50:51], 3
	v_add_co_u32 v39, s40, v132, s66
	v_add_co_ci_u32_e64 v40, null, s67, v133, s40
	v_cmp_lt_u32_e64 s40, v109, v156
	s_and_saveexec_b32 s50, s40
	s_xor_b32 s40, exec_lo, s50
	s_cbranch_execnz .LBB604_895
; %bb.825:                              ;   in Loop: Header=BB604_722 Depth=2
	s_or_b32 exec_lo, exec_lo, s40
	s_mov_b32 s50, exec_lo
	v_cmpx_lt_u32_e64 v112, v156
	s_cbranch_execnz .LBB604_896
.LBB604_826:                            ;   in Loop: Header=BB604_722 Depth=2
	s_or_b32 exec_lo, exec_lo, s50
	s_mov_b32 s50, exec_lo
	v_cmpx_lt_u32_e64 v113, v156
	s_cbranch_execnz .LBB604_897
.LBB604_827:                            ;   in Loop: Header=BB604_722 Depth=2
	s_or_b32 exec_lo, exec_lo, s50
	s_mov_b32 s50, exec_lo
	v_cmpx_lt_u32_e64 v114, v156
	s_cbranch_execnz .LBB604_898
.LBB604_828:                            ;   in Loop: Header=BB604_722 Depth=2
	s_or_b32 exec_lo, exec_lo, s50
	s_mov_b32 s50, exec_lo
	v_cmpx_lt_u32_e64 v115, v156
	s_cbranch_execnz .LBB604_899
.LBB604_829:                            ;   in Loop: Header=BB604_722 Depth=2
	s_or_b32 exec_lo, exec_lo, s50
	s_mov_b32 s50, exec_lo
	v_cmpx_lt_u32_e64 v116, v156
	s_cbranch_execnz .LBB604_900
.LBB604_830:                            ;   in Loop: Header=BB604_722 Depth=2
	s_or_b32 exec_lo, exec_lo, s50
	s_mov_b32 s50, exec_lo
	v_cmpx_lt_u32_e64 v117, v156
	s_cbranch_execnz .LBB604_901
.LBB604_831:                            ;   in Loop: Header=BB604_722 Depth=2
	s_or_b32 exec_lo, exec_lo, s50
	s_mov_b32 s50, exec_lo
	v_cmpx_lt_u32_e64 v118, v156
	s_cbranch_execnz .LBB604_902
.LBB604_832:                            ;   in Loop: Header=BB604_722 Depth=2
	s_or_b32 exec_lo, exec_lo, s50
	s_mov_b32 s50, exec_lo
	v_cmpx_lt_u32_e64 v119, v156
	s_cbranch_execnz .LBB604_903
.LBB604_833:                            ;   in Loop: Header=BB604_722 Depth=2
	s_or_b32 exec_lo, exec_lo, s50
	s_mov_b32 s50, exec_lo
	v_cmpx_lt_u32_e64 v120, v156
	s_cbranch_execnz .LBB604_904
.LBB604_834:                            ;   in Loop: Header=BB604_722 Depth=2
	s_or_b32 exec_lo, exec_lo, s50
	s_mov_b32 s50, exec_lo
	v_cmpx_lt_u32_e64 v121, v156
	s_cbranch_execnz .LBB604_905
.LBB604_835:                            ;   in Loop: Header=BB604_722 Depth=2
	s_or_b32 exec_lo, exec_lo, s50
	s_mov_b32 s50, exec_lo
	v_cmpx_lt_u32_e64 v122, v156
	s_cbranch_execnz .LBB604_906
.LBB604_836:                            ;   in Loop: Header=BB604_722 Depth=2
	s_or_b32 exec_lo, exec_lo, s50
	s_mov_b32 s50, exec_lo
	v_cmpx_lt_u32_e64 v123, v156
	s_cbranch_execnz .LBB604_907
.LBB604_837:                            ;   in Loop: Header=BB604_722 Depth=2
	s_or_b32 exec_lo, exec_lo, s50
	s_mov_b32 s50, exec_lo
	v_cmpx_lt_u32_e64 v124, v156
	s_cbranch_execnz .LBB604_908
.LBB604_838:                            ;   in Loop: Header=BB604_722 Depth=2
	s_or_b32 exec_lo, exec_lo, s50
	s_mov_b32 s50, exec_lo
	v_cmpx_lt_u32_e64 v126, v156
	s_cbranch_execnz .LBB604_909
.LBB604_839:                            ;   in Loop: Header=BB604_722 Depth=2
	s_or_b32 exec_lo, exec_lo, s50
	s_mov_b32 s50, exec_lo
	v_cmpx_lt_u32_e64 v127, v156
	s_cbranch_execnz .LBB604_910
.LBB604_840:                            ;   in Loop: Header=BB604_722 Depth=2
	s_or_b32 exec_lo, exec_lo, s50
	s_mov_b32 s50, exec_lo
	v_cmpx_lt_u32_e64 v128, v156
	s_cbranch_execnz .LBB604_911
.LBB604_841:                            ;   in Loop: Header=BB604_722 Depth=2
	s_or_b32 exec_lo, exec_lo, s50
	s_and_saveexec_b32 s40, vcc_lo
	s_cbranch_execnz .LBB604_912
.LBB604_842:                            ;   in Loop: Header=BB604_722 Depth=2
	s_or_b32 exec_lo, exec_lo, s40
	s_and_saveexec_b32 s40, s22
	s_cbranch_execnz .LBB604_913
.LBB604_843:                            ;   in Loop: Header=BB604_722 Depth=2
	s_or_b32 exec_lo, exec_lo, s40
	s_and_saveexec_b32 s40, s23
	s_cbranch_execnz .LBB604_914
.LBB604_844:                            ;   in Loop: Header=BB604_722 Depth=2
	s_or_b32 exec_lo, exec_lo, s40
	s_and_saveexec_b32 s40, s24
	s_cbranch_execnz .LBB604_915
.LBB604_845:                            ;   in Loop: Header=BB604_722 Depth=2
	s_or_b32 exec_lo, exec_lo, s40
	s_and_saveexec_b32 s40, s25
	s_cbranch_execnz .LBB604_916
.LBB604_846:                            ;   in Loop: Header=BB604_722 Depth=2
	s_or_b32 exec_lo, exec_lo, s40
	s_and_saveexec_b32 s40, s26
	s_cbranch_execnz .LBB604_917
.LBB604_847:                            ;   in Loop: Header=BB604_722 Depth=2
	s_or_b32 exec_lo, exec_lo, s40
	s_and_saveexec_b32 s40, s27
	s_cbranch_execnz .LBB604_918
.LBB604_848:                            ;   in Loop: Header=BB604_722 Depth=2
	s_or_b32 exec_lo, exec_lo, s40
	s_and_saveexec_b32 s40, s29
	s_cbranch_execnz .LBB604_919
.LBB604_849:                            ;   in Loop: Header=BB604_722 Depth=2
	s_or_b32 exec_lo, exec_lo, s40
	s_and_saveexec_b32 s40, s30
	s_cbranch_execnz .LBB604_920
.LBB604_850:                            ;   in Loop: Header=BB604_722 Depth=2
	s_or_b32 exec_lo, exec_lo, s40
	s_and_saveexec_b32 s40, s31
	s_cbranch_execnz .LBB604_921
.LBB604_851:                            ;   in Loop: Header=BB604_722 Depth=2
	s_or_b32 exec_lo, exec_lo, s40
	s_and_saveexec_b32 s40, s33
	s_cbranch_execnz .LBB604_922
.LBB604_852:                            ;   in Loop: Header=BB604_722 Depth=2
	s_or_b32 exec_lo, exec_lo, s40
	s_and_saveexec_b32 s40, s34
	s_cbranch_execnz .LBB604_923
.LBB604_853:                            ;   in Loop: Header=BB604_722 Depth=2
	s_or_b32 exec_lo, exec_lo, s40
	s_and_saveexec_b32 s40, s35
	s_cbranch_execnz .LBB604_924
.LBB604_854:                            ;   in Loop: Header=BB604_722 Depth=2
	s_or_b32 exec_lo, exec_lo, s40
	s_and_saveexec_b32 s40, s36
	s_cbranch_execnz .LBB604_925
.LBB604_855:                            ;   in Loop: Header=BB604_722 Depth=2
	s_or_b32 exec_lo, exec_lo, s40
	s_and_saveexec_b32 s40, s37
	s_cbranch_execnz .LBB604_926
.LBB604_856:                            ;   in Loop: Header=BB604_722 Depth=2
	s_or_b32 exec_lo, exec_lo, s40
	s_and_saveexec_b32 s40, s38
	s_cbranch_execnz .LBB604_927
.LBB604_857:                            ;   in Loop: Header=BB604_722 Depth=2
	s_or_b32 exec_lo, exec_lo, s40
	s_and_saveexec_b32 s40, s39
	s_cbranch_execz .LBB604_859
.LBB604_858:                            ;   in Loop: Header=BB604_722 Depth=2
	ds_read_b32 v3, v69 offset:16896
	s_waitcnt lgkmcnt(0)
	v_lshrrev_b32_e32 v3, s41, v3
	v_and_b32_e32 v137, s62, v3
.LBB604_859:                            ;   in Loop: Header=BB604_722 Depth=2
	s_or_b32 exec_lo, exec_lo, s40
	v_lshlrev_b32_e32 v3, 3, v179
	v_lshlrev_b32_e32 v39, 3, v178
	s_waitcnt vmcnt(0)
	s_waitcnt_vscnt null, 0x0
	s_barrier
	buffer_gl0_inv
	ds_write_b64 v3, v[37:38] offset:512
	ds_write_b64 v39, v[35:36] offset:512
	v_lshlrev_b32_e32 v3, 3, v174
	v_lshlrev_b32_e32 v39, 3, v173
	v_lshlrev_b32_e32 v40, 3, v172
	v_lshlrev_b32_e32 v156, 3, v171
	v_lshlrev_b32_e32 v157, 3, v169
	ds_write_b64 v3, v[33:34] offset:512
	ds_write_b64 v39, v[31:32] offset:512
	ds_write_b64 v40, v[29:30] offset:512
	ds_write_b64 v156, v[25:26] offset:512
	ds_write_b64 v157, v[21:22] offset:512
	v_lshlrev_b32_e32 v3, 3, v168
	v_lshlrev_b32_e32 v39, 3, v167
	v_lshlrev_b32_e32 v40, 3, v166
	v_lshlrev_b32_e32 v156, 3, v164
	v_lshlrev_b32_e32 v157, 3, v163
	ds_write_b64 v3, v[17:18] offset:512
	ds_write_b64 v39, v[27:28] offset:512
	ds_write_b64 v40, v[23:24] offset:512
	;; [unrolled: 10-line block ×3, first 2 shown]
	ds_write_b64 v41, v[7:8] offset:512
	ds_write_b64 v42, v[5:6] offset:512
	s_waitcnt lgkmcnt(0)
	s_barrier
	buffer_gl0_inv
	s_and_saveexec_b32 s40, vcc_lo
	s_cbranch_execnz .LBB604_928
; %bb.860:                              ;   in Loop: Header=BB604_722 Depth=2
	s_or_b32 exec_lo, exec_lo, s40
	s_and_saveexec_b32 s40, s22
	s_cbranch_execnz .LBB604_929
.LBB604_861:                            ;   in Loop: Header=BB604_722 Depth=2
	s_or_b32 exec_lo, exec_lo, s40
	s_and_saveexec_b32 s22, s23
	s_cbranch_execnz .LBB604_930
.LBB604_862:                            ;   in Loop: Header=BB604_722 Depth=2
	s_or_b32 exec_lo, exec_lo, s22
	s_and_saveexec_b32 s22, s24
	s_cbranch_execnz .LBB604_931
.LBB604_863:                            ;   in Loop: Header=BB604_722 Depth=2
	s_or_b32 exec_lo, exec_lo, s22
	s_and_saveexec_b32 s22, s25
	s_cbranch_execnz .LBB604_932
.LBB604_864:                            ;   in Loop: Header=BB604_722 Depth=2
	s_or_b32 exec_lo, exec_lo, s22
	s_and_saveexec_b32 s22, s26
	s_cbranch_execnz .LBB604_933
.LBB604_865:                            ;   in Loop: Header=BB604_722 Depth=2
	s_or_b32 exec_lo, exec_lo, s22
	s_and_saveexec_b32 s22, s27
	s_cbranch_execnz .LBB604_934
.LBB604_866:                            ;   in Loop: Header=BB604_722 Depth=2
	s_or_b32 exec_lo, exec_lo, s22
	s_and_saveexec_b32 s22, s29
	s_cbranch_execnz .LBB604_935
.LBB604_867:                            ;   in Loop: Header=BB604_722 Depth=2
	s_or_b32 exec_lo, exec_lo, s22
	s_and_saveexec_b32 s22, s30
	s_cbranch_execnz .LBB604_936
.LBB604_868:                            ;   in Loop: Header=BB604_722 Depth=2
	s_or_b32 exec_lo, exec_lo, s22
	s_and_saveexec_b32 s22, s31
	s_cbranch_execnz .LBB604_937
.LBB604_869:                            ;   in Loop: Header=BB604_722 Depth=2
	s_or_b32 exec_lo, exec_lo, s22
	s_and_saveexec_b32 s22, s33
	s_cbranch_execnz .LBB604_938
.LBB604_870:                            ;   in Loop: Header=BB604_722 Depth=2
	s_or_b32 exec_lo, exec_lo, s22
	s_and_saveexec_b32 s22, s34
	s_cbranch_execnz .LBB604_939
.LBB604_871:                            ;   in Loop: Header=BB604_722 Depth=2
	s_or_b32 exec_lo, exec_lo, s22
	s_and_saveexec_b32 s22, s35
	s_cbranch_execnz .LBB604_940
.LBB604_872:                            ;   in Loop: Header=BB604_722 Depth=2
	s_or_b32 exec_lo, exec_lo, s22
	s_and_saveexec_b32 s22, s36
	s_cbranch_execnz .LBB604_941
.LBB604_873:                            ;   in Loop: Header=BB604_722 Depth=2
	s_or_b32 exec_lo, exec_lo, s22
	s_and_saveexec_b32 s22, s37
	s_cbranch_execnz .LBB604_942
.LBB604_874:                            ;   in Loop: Header=BB604_722 Depth=2
	s_or_b32 exec_lo, exec_lo, s22
	s_and_saveexec_b32 s22, s38
	s_cbranch_execnz .LBB604_943
.LBB604_875:                            ;   in Loop: Header=BB604_722 Depth=2
	s_or_b32 exec_lo, exec_lo, s22
	s_and_saveexec_b32 s22, s39
	s_cbranch_execz .LBB604_877
.LBB604_876:                            ;   in Loop: Header=BB604_722 Depth=2
	v_lshlrev_b32_e32 v3, 2, v137
	v_add_nc_u32_e32 v39, v69, v43
	ds_read_b32 v3, v3
	ds_read_b64 v[39:40], v39 offset:33280
	s_waitcnt lgkmcnt(1)
	v_add_nc_u32_e32 v3, v3, v61
	v_lshlrev_b64 v[41:42], 3, v[3:4]
	v_add_co_u32 v41, vcc_lo, s52, v41
	v_add_co_ci_u32_e64 v42, null, s53, v42, vcc_lo
	s_waitcnt lgkmcnt(0)
	global_store_dwordx2 v[41:42], v[39:40], off
.LBB604_877:                            ;   in Loop: Header=BB604_722 Depth=2
	s_or_b32 exec_lo, exec_lo, s22
	s_waitcnt_vscnt null, 0x0
	s_barrier
	buffer_gl0_inv
	s_and_saveexec_b32 s22, s7
	s_cbranch_execz .LBB604_721
; %bb.878:                              ;   in Loop: Header=BB604_722 Depth=2
	ds_read_b32 v3, v43
	s_waitcnt lgkmcnt(0)
	v_add3_u32 v3, v152, v155, v3
	ds_write_b32 v43, v3
	s_branch .LBB604_721
.LBB604_879:                            ;   in Loop: Header=BB604_722 Depth=2
	ds_read_b32 v157, v69 offset:512
	s_waitcnt lgkmcnt(0)
	v_lshrrev_b32_e32 v3, s41, v157
	v_and_b32_e32 v3, s62, v3
	v_lshlrev_b32_e32 v3, 2, v3
	ds_read_b32 v3, v3
	s_waitcnt lgkmcnt(0)
	v_add_nc_u32_e32 v3, v3, v0
	v_lshlrev_b64 v[39:40], 2, v[3:4]
	v_xor_b32_e32 v3, 0x80000000, v157
	v_add_co_u32 v39, s22, s46, v39
	v_add_co_ci_u32_e64 v40, null, s47, v40, s22
	global_store_dword v[39:40], v3, off
	s_or_b32 exec_lo, exec_lo, s23
	v_cmp_lt_u32_e64 s22, v44, v156
	s_and_saveexec_b32 s24, s22
	s_cbranch_execz .LBB604_808
.LBB604_880:                            ;   in Loop: Header=BB604_722 Depth=2
	ds_read_b32 v157, v69 offset:1536
	s_waitcnt lgkmcnt(0)
	v_lshrrev_b32_e32 v3, s41, v157
	v_and_b32_e32 v3, s62, v3
	v_lshlrev_b32_e32 v3, 2, v3
	ds_read_b32 v3, v3
	s_waitcnt lgkmcnt(0)
	v_add_nc_u32_e32 v3, v3, v44
	v_lshlrev_b64 v[39:40], 2, v[3:4]
	v_xor_b32_e32 v3, 0x80000000, v157
	v_add_co_u32 v39, s23, s46, v39
	v_add_co_ci_u32_e64 v40, null, s47, v40, s23
	global_store_dword v[39:40], v3, off
	s_or_b32 exec_lo, exec_lo, s24
	v_cmp_lt_u32_e64 s23, v47, v156
	s_and_saveexec_b32 s25, s23
	s_cbranch_execz .LBB604_809
.LBB604_881:                            ;   in Loop: Header=BB604_722 Depth=2
	ds_read_b32 v157, v69 offset:2560
	s_waitcnt lgkmcnt(0)
	v_lshrrev_b32_e32 v3, s41, v157
	v_and_b32_e32 v3, s62, v3
	v_lshlrev_b32_e32 v3, 2, v3
	ds_read_b32 v3, v3
	s_waitcnt lgkmcnt(0)
	v_add_nc_u32_e32 v3, v3, v47
	v_lshlrev_b64 v[39:40], 2, v[3:4]
	v_xor_b32_e32 v3, 0x80000000, v157
	v_add_co_u32 v39, s24, s46, v39
	v_add_co_ci_u32_e64 v40, null, s47, v40, s24
	global_store_dword v[39:40], v3, off
	s_or_b32 exec_lo, exec_lo, s25
	v_cmp_lt_u32_e64 s24, v48, v156
	s_and_saveexec_b32 s26, s24
	s_cbranch_execz .LBB604_810
.LBB604_882:                            ;   in Loop: Header=BB604_722 Depth=2
	ds_read_b32 v157, v69 offset:3584
	s_waitcnt lgkmcnt(0)
	v_lshrrev_b32_e32 v3, s41, v157
	v_and_b32_e32 v3, s62, v3
	v_lshlrev_b32_e32 v3, 2, v3
	ds_read_b32 v3, v3
	s_waitcnt lgkmcnt(0)
	v_add_nc_u32_e32 v3, v3, v48
	v_lshlrev_b64 v[39:40], 2, v[3:4]
	v_xor_b32_e32 v3, 0x80000000, v157
	v_add_co_u32 v39, s25, s46, v39
	v_add_co_ci_u32_e64 v40, null, s47, v40, s25
	global_store_dword v[39:40], v3, off
	s_or_b32 exec_lo, exec_lo, s26
	v_cmp_lt_u32_e64 s25, v49, v156
	s_and_saveexec_b32 s27, s25
	s_cbranch_execz .LBB604_811
.LBB604_883:                            ;   in Loop: Header=BB604_722 Depth=2
	ds_read_b32 v157, v69 offset:4608
	s_waitcnt lgkmcnt(0)
	v_lshrrev_b32_e32 v3, s41, v157
	v_and_b32_e32 v3, s62, v3
	v_lshlrev_b32_e32 v3, 2, v3
	ds_read_b32 v3, v3
	s_waitcnt lgkmcnt(0)
	v_add_nc_u32_e32 v3, v3, v49
	v_lshlrev_b64 v[39:40], 2, v[3:4]
	v_xor_b32_e32 v3, 0x80000000, v157
	v_add_co_u32 v39, s26, s46, v39
	v_add_co_ci_u32_e64 v40, null, s47, v40, s26
	global_store_dword v[39:40], v3, off
	s_or_b32 exec_lo, exec_lo, s27
	v_cmp_lt_u32_e64 s26, v50, v156
	s_and_saveexec_b32 s29, s26
	s_cbranch_execz .LBB604_812
.LBB604_884:                            ;   in Loop: Header=BB604_722 Depth=2
	ds_read_b32 v157, v69 offset:5632
	s_waitcnt lgkmcnt(0)
	v_lshrrev_b32_e32 v3, s41, v157
	v_and_b32_e32 v3, s62, v3
	v_lshlrev_b32_e32 v3, 2, v3
	ds_read_b32 v3, v3
	s_waitcnt lgkmcnt(0)
	v_add_nc_u32_e32 v3, v3, v50
	v_lshlrev_b64 v[39:40], 2, v[3:4]
	v_xor_b32_e32 v3, 0x80000000, v157
	v_add_co_u32 v39, s27, s46, v39
	v_add_co_ci_u32_e64 v40, null, s47, v40, s27
	global_store_dword v[39:40], v3, off
	s_or_b32 exec_lo, exec_lo, s29
	v_cmp_lt_u32_e64 s27, v51, v156
	s_and_saveexec_b32 s30, s27
	s_cbranch_execz .LBB604_813
.LBB604_885:                            ;   in Loop: Header=BB604_722 Depth=2
	ds_read_b32 v157, v69 offset:6656
	s_waitcnt lgkmcnt(0)
	v_lshrrev_b32_e32 v3, s41, v157
	v_and_b32_e32 v3, s62, v3
	v_lshlrev_b32_e32 v3, 2, v3
	ds_read_b32 v3, v3
	s_waitcnt lgkmcnt(0)
	v_add_nc_u32_e32 v3, v3, v51
	v_lshlrev_b64 v[39:40], 2, v[3:4]
	v_xor_b32_e32 v3, 0x80000000, v157
	v_add_co_u32 v39, s29, s46, v39
	v_add_co_ci_u32_e64 v40, null, s47, v40, s29
	global_store_dword v[39:40], v3, off
	s_or_b32 exec_lo, exec_lo, s30
	v_cmp_lt_u32_e64 s29, v52, v156
	s_and_saveexec_b32 s31, s29
	s_cbranch_execz .LBB604_814
.LBB604_886:                            ;   in Loop: Header=BB604_722 Depth=2
	ds_read_b32 v157, v69 offset:7680
	s_waitcnt lgkmcnt(0)
	v_lshrrev_b32_e32 v3, s41, v157
	v_and_b32_e32 v3, s62, v3
	v_lshlrev_b32_e32 v3, 2, v3
	ds_read_b32 v3, v3
	s_waitcnt lgkmcnt(0)
	v_add_nc_u32_e32 v3, v3, v52
	v_lshlrev_b64 v[39:40], 2, v[3:4]
	v_xor_b32_e32 v3, 0x80000000, v157
	v_add_co_u32 v39, s30, s46, v39
	v_add_co_ci_u32_e64 v40, null, s47, v40, s30
	global_store_dword v[39:40], v3, off
	s_or_b32 exec_lo, exec_lo, s31
	v_cmp_lt_u32_e64 s30, v53, v156
	s_and_saveexec_b32 s33, s30
	s_cbranch_execz .LBB604_815
.LBB604_887:                            ;   in Loop: Header=BB604_722 Depth=2
	ds_read_b32 v157, v69 offset:8704
	s_waitcnt lgkmcnt(0)
	v_lshrrev_b32_e32 v3, s41, v157
	v_and_b32_e32 v3, s62, v3
	v_lshlrev_b32_e32 v3, 2, v3
	ds_read_b32 v3, v3
	s_waitcnt lgkmcnt(0)
	v_add_nc_u32_e32 v3, v3, v53
	v_lshlrev_b64 v[39:40], 2, v[3:4]
	v_xor_b32_e32 v3, 0x80000000, v157
	v_add_co_u32 v39, s31, s46, v39
	v_add_co_ci_u32_e64 v40, null, s47, v40, s31
	global_store_dword v[39:40], v3, off
	s_or_b32 exec_lo, exec_lo, s33
	v_cmp_lt_u32_e64 s31, v54, v156
	s_and_saveexec_b32 s34, s31
	s_cbranch_execz .LBB604_816
.LBB604_888:                            ;   in Loop: Header=BB604_722 Depth=2
	ds_read_b32 v157, v69 offset:9728
	s_waitcnt lgkmcnt(0)
	v_lshrrev_b32_e32 v3, s41, v157
	v_and_b32_e32 v3, s62, v3
	v_lshlrev_b32_e32 v3, 2, v3
	ds_read_b32 v3, v3
	s_waitcnt lgkmcnt(0)
	v_add_nc_u32_e32 v3, v3, v54
	v_lshlrev_b64 v[39:40], 2, v[3:4]
	v_xor_b32_e32 v3, 0x80000000, v157
	v_add_co_u32 v39, s33, s46, v39
	v_add_co_ci_u32_e64 v40, null, s47, v40, s33
	global_store_dword v[39:40], v3, off
	s_or_b32 exec_lo, exec_lo, s34
	v_cmp_lt_u32_e64 s33, v55, v156
	s_and_saveexec_b32 s35, s33
	s_cbranch_execz .LBB604_817
.LBB604_889:                            ;   in Loop: Header=BB604_722 Depth=2
	ds_read_b32 v157, v69 offset:10752
	s_waitcnt lgkmcnt(0)
	v_lshrrev_b32_e32 v3, s41, v157
	v_and_b32_e32 v3, s62, v3
	v_lshlrev_b32_e32 v3, 2, v3
	ds_read_b32 v3, v3
	s_waitcnt lgkmcnt(0)
	v_add_nc_u32_e32 v3, v3, v55
	v_lshlrev_b64 v[39:40], 2, v[3:4]
	v_xor_b32_e32 v3, 0x80000000, v157
	v_add_co_u32 v39, s34, s46, v39
	v_add_co_ci_u32_e64 v40, null, s47, v40, s34
	global_store_dword v[39:40], v3, off
	s_or_b32 exec_lo, exec_lo, s35
	v_cmp_lt_u32_e64 s34, v56, v156
	s_and_saveexec_b32 s36, s34
	s_cbranch_execz .LBB604_818
.LBB604_890:                            ;   in Loop: Header=BB604_722 Depth=2
	ds_read_b32 v157, v69 offset:11776
	s_waitcnt lgkmcnt(0)
	v_lshrrev_b32_e32 v3, s41, v157
	v_and_b32_e32 v3, s62, v3
	v_lshlrev_b32_e32 v3, 2, v3
	ds_read_b32 v3, v3
	s_waitcnt lgkmcnt(0)
	v_add_nc_u32_e32 v3, v3, v56
	v_lshlrev_b64 v[39:40], 2, v[3:4]
	v_xor_b32_e32 v3, 0x80000000, v157
	v_add_co_u32 v39, s35, s46, v39
	v_add_co_ci_u32_e64 v40, null, s47, v40, s35
	global_store_dword v[39:40], v3, off
	s_or_b32 exec_lo, exec_lo, s36
	v_cmp_lt_u32_e64 s35, v57, v156
	s_and_saveexec_b32 s37, s35
	s_cbranch_execz .LBB604_819
.LBB604_891:                            ;   in Loop: Header=BB604_722 Depth=2
	ds_read_b32 v157, v69 offset:12800
	s_waitcnt lgkmcnt(0)
	v_lshrrev_b32_e32 v3, s41, v157
	v_and_b32_e32 v3, s62, v3
	v_lshlrev_b32_e32 v3, 2, v3
	ds_read_b32 v3, v3
	s_waitcnt lgkmcnt(0)
	v_add_nc_u32_e32 v3, v3, v57
	v_lshlrev_b64 v[39:40], 2, v[3:4]
	v_xor_b32_e32 v3, 0x80000000, v157
	v_add_co_u32 v39, s36, s46, v39
	v_add_co_ci_u32_e64 v40, null, s47, v40, s36
	global_store_dword v[39:40], v3, off
	s_or_b32 exec_lo, exec_lo, s37
	v_cmp_lt_u32_e64 s36, v58, v156
	s_and_saveexec_b32 s38, s36
	s_cbranch_execz .LBB604_820
.LBB604_892:                            ;   in Loop: Header=BB604_722 Depth=2
	ds_read_b32 v157, v69 offset:13824
	s_waitcnt lgkmcnt(0)
	v_lshrrev_b32_e32 v3, s41, v157
	v_and_b32_e32 v3, s62, v3
	v_lshlrev_b32_e32 v3, 2, v3
	ds_read_b32 v3, v3
	s_waitcnt lgkmcnt(0)
	v_add_nc_u32_e32 v3, v3, v58
	v_lshlrev_b64 v[39:40], 2, v[3:4]
	v_xor_b32_e32 v3, 0x80000000, v157
	v_add_co_u32 v39, s37, s46, v39
	v_add_co_ci_u32_e64 v40, null, s47, v40, s37
	global_store_dword v[39:40], v3, off
	s_or_b32 exec_lo, exec_lo, s38
	v_cmp_lt_u32_e64 s37, v59, v156
	s_and_saveexec_b32 s39, s37
	s_cbranch_execz .LBB604_821
.LBB604_893:                            ;   in Loop: Header=BB604_722 Depth=2
	ds_read_b32 v157, v69 offset:14848
	s_waitcnt lgkmcnt(0)
	v_lshrrev_b32_e32 v3, s41, v157
	v_and_b32_e32 v3, s62, v3
	v_lshlrev_b32_e32 v3, 2, v3
	ds_read_b32 v3, v3
	s_waitcnt lgkmcnt(0)
	v_add_nc_u32_e32 v3, v3, v59
	v_lshlrev_b64 v[39:40], 2, v[3:4]
	v_xor_b32_e32 v3, 0x80000000, v157
	v_add_co_u32 v39, s38, s46, v39
	v_add_co_ci_u32_e64 v40, null, s47, v40, s38
	global_store_dword v[39:40], v3, off
	s_or_b32 exec_lo, exec_lo, s39
	v_cmp_lt_u32_e64 s38, v60, v156
	s_and_saveexec_b32 s40, s38
	s_cbranch_execz .LBB604_822
.LBB604_894:                            ;   in Loop: Header=BB604_722 Depth=2
	ds_read_b32 v157, v69 offset:15872
	s_waitcnt lgkmcnt(0)
	v_lshrrev_b32_e32 v3, s41, v157
	v_and_b32_e32 v3, s62, v3
	v_lshlrev_b32_e32 v3, 2, v3
	ds_read_b32 v3, v3
	s_waitcnt lgkmcnt(0)
	v_add_nc_u32_e32 v3, v3, v60
	v_lshlrev_b64 v[39:40], 2, v[3:4]
	v_xor_b32_e32 v3, 0x80000000, v157
	v_add_co_u32 v39, s39, s46, v39
	v_add_co_ci_u32_e64 v40, null, s47, v40, s39
	global_store_dword v[39:40], v3, off
	s_or_b32 exec_lo, exec_lo, s40
	v_cmp_lt_u32_e64 s39, v61, v156
	s_and_saveexec_b32 s65, s39
	s_cbranch_execnz .LBB604_823
	s_branch .LBB604_824
.LBB604_895:                            ;   in Loop: Header=BB604_722 Depth=2
	global_load_dwordx2 v[37:38], v[39:40], off
	s_or_b32 exec_lo, exec_lo, s40
	s_mov_b32 s50, exec_lo
	v_cmpx_lt_u32_e64 v112, v156
	s_cbranch_execz .LBB604_826
.LBB604_896:                            ;   in Loop: Header=BB604_722 Depth=2
	global_load_dwordx2 v[35:36], v[39:40], off offset:256
	s_or_b32 exec_lo, exec_lo, s50
	s_mov_b32 s50, exec_lo
	v_cmpx_lt_u32_e64 v113, v156
	s_cbranch_execz .LBB604_827
.LBB604_897:                            ;   in Loop: Header=BB604_722 Depth=2
	global_load_dwordx2 v[33:34], v[39:40], off offset:512
	s_or_b32 exec_lo, exec_lo, s50
	s_mov_b32 s50, exec_lo
	v_cmpx_lt_u32_e64 v114, v156
	s_cbranch_execz .LBB604_828
.LBB604_898:                            ;   in Loop: Header=BB604_722 Depth=2
	global_load_dwordx2 v[31:32], v[39:40], off offset:768
	s_or_b32 exec_lo, exec_lo, s50
	s_mov_b32 s50, exec_lo
	v_cmpx_lt_u32_e64 v115, v156
	s_cbranch_execz .LBB604_829
.LBB604_899:                            ;   in Loop: Header=BB604_722 Depth=2
	global_load_dwordx2 v[29:30], v[39:40], off offset:1024
	s_or_b32 exec_lo, exec_lo, s50
	s_mov_b32 s50, exec_lo
	v_cmpx_lt_u32_e64 v116, v156
	s_cbranch_execz .LBB604_830
.LBB604_900:                            ;   in Loop: Header=BB604_722 Depth=2
	global_load_dwordx2 v[25:26], v[39:40], off offset:1280
	s_or_b32 exec_lo, exec_lo, s50
	s_mov_b32 s50, exec_lo
	v_cmpx_lt_u32_e64 v117, v156
	s_cbranch_execz .LBB604_831
.LBB604_901:                            ;   in Loop: Header=BB604_722 Depth=2
	global_load_dwordx2 v[21:22], v[39:40], off offset:1536
	s_or_b32 exec_lo, exec_lo, s50
	s_mov_b32 s50, exec_lo
	v_cmpx_lt_u32_e64 v118, v156
	s_cbranch_execz .LBB604_832
.LBB604_902:                            ;   in Loop: Header=BB604_722 Depth=2
	global_load_dwordx2 v[17:18], v[39:40], off offset:1792
	s_or_b32 exec_lo, exec_lo, s50
	s_mov_b32 s50, exec_lo
	v_cmpx_lt_u32_e64 v119, v156
	s_cbranch_execz .LBB604_833
.LBB604_903:                            ;   in Loop: Header=BB604_722 Depth=2
	v_add_co_u32 v27, s40, 0x800, v39
	v_add_co_ci_u32_e64 v28, null, 0, v40, s40
	global_load_dwordx2 v[27:28], v[27:28], off
	s_or_b32 exec_lo, exec_lo, s50
	s_mov_b32 s50, exec_lo
	v_cmpx_lt_u32_e64 v120, v156
	s_cbranch_execz .LBB604_834
.LBB604_904:                            ;   in Loop: Header=BB604_722 Depth=2
	v_add_co_u32 v23, s40, 0x800, v39
	v_add_co_ci_u32_e64 v24, null, 0, v40, s40
	global_load_dwordx2 v[23:24], v[23:24], off offset:256
	s_or_b32 exec_lo, exec_lo, s50
	s_mov_b32 s50, exec_lo
	v_cmpx_lt_u32_e64 v121, v156
	s_cbranch_execz .LBB604_835
.LBB604_905:                            ;   in Loop: Header=BB604_722 Depth=2
	v_add_co_u32 v19, s40, 0x800, v39
	v_add_co_ci_u32_e64 v20, null, 0, v40, s40
	global_load_dwordx2 v[19:20], v[19:20], off offset:512
	s_or_b32 exec_lo, exec_lo, s50
	s_mov_b32 s50, exec_lo
	v_cmpx_lt_u32_e64 v122, v156
	s_cbranch_execz .LBB604_836
.LBB604_906:                            ;   in Loop: Header=BB604_722 Depth=2
	v_add_co_u32 v15, s40, 0x800, v39
	v_add_co_ci_u32_e64 v16, null, 0, v40, s40
	global_load_dwordx2 v[15:16], v[15:16], off offset:768
	s_or_b32 exec_lo, exec_lo, s50
	s_mov_b32 s50, exec_lo
	v_cmpx_lt_u32_e64 v123, v156
	s_cbranch_execz .LBB604_837
.LBB604_907:                            ;   in Loop: Header=BB604_722 Depth=2
	v_add_co_u32 v13, s40, 0x800, v39
	v_add_co_ci_u32_e64 v14, null, 0, v40, s40
	global_load_dwordx2 v[13:14], v[13:14], off offset:1024
	s_or_b32 exec_lo, exec_lo, s50
	s_mov_b32 s50, exec_lo
	v_cmpx_lt_u32_e64 v124, v156
	s_cbranch_execz .LBB604_838
.LBB604_908:                            ;   in Loop: Header=BB604_722 Depth=2
	v_add_co_u32 v11, s40, 0x800, v39
	v_add_co_ci_u32_e64 v12, null, 0, v40, s40
	global_load_dwordx2 v[11:12], v[11:12], off offset:1280
	s_or_b32 exec_lo, exec_lo, s50
	s_mov_b32 s50, exec_lo
	v_cmpx_lt_u32_e64 v126, v156
	s_cbranch_execz .LBB604_839
.LBB604_909:                            ;   in Loop: Header=BB604_722 Depth=2
	v_add_co_u32 v9, s40, 0x800, v39
	v_add_co_ci_u32_e64 v10, null, 0, v40, s40
	global_load_dwordx2 v[9:10], v[9:10], off offset:1536
	s_or_b32 exec_lo, exec_lo, s50
	s_mov_b32 s50, exec_lo
	v_cmpx_lt_u32_e64 v127, v156
	s_cbranch_execz .LBB604_840
.LBB604_910:                            ;   in Loop: Header=BB604_722 Depth=2
	v_add_co_u32 v7, s40, 0x800, v39
	v_add_co_ci_u32_e64 v8, null, 0, v40, s40
	global_load_dwordx2 v[7:8], v[7:8], off offset:1792
	s_or_b32 exec_lo, exec_lo, s50
	s_mov_b32 s50, exec_lo
	v_cmpx_lt_u32_e64 v128, v156
	s_cbranch_execz .LBB604_841
.LBB604_911:                            ;   in Loop: Header=BB604_722 Depth=2
	v_add_co_u32 v5, s40, 0x1000, v39
	v_add_co_ci_u32_e64 v6, null, 0, v40, s40
	global_load_dwordx2 v[5:6], v[5:6], off
	s_or_b32 exec_lo, exec_lo, s50
	s_and_saveexec_b32 s40, vcc_lo
	s_cbranch_execz .LBB604_842
.LBB604_912:                            ;   in Loop: Header=BB604_722 Depth=2
	ds_read_b32 v3, v69 offset:512
	s_waitcnt lgkmcnt(0)
	v_lshrrev_b32_e32 v3, s41, v3
	v_and_b32_e32 v154, s62, v3
	s_or_b32 exec_lo, exec_lo, s40
	s_and_saveexec_b32 s40, s22
	s_cbranch_execz .LBB604_843
.LBB604_913:                            ;   in Loop: Header=BB604_722 Depth=2
	ds_read_b32 v3, v69 offset:1536
	s_waitcnt lgkmcnt(0)
	v_lshrrev_b32_e32 v3, s41, v3
	v_and_b32_e32 v153, s62, v3
	s_or_b32 exec_lo, exec_lo, s40
	s_and_saveexec_b32 s40, s23
	s_cbranch_execz .LBB604_844
.LBB604_914:                            ;   in Loop: Header=BB604_722 Depth=2
	ds_read_b32 v3, v69 offset:2560
	s_waitcnt lgkmcnt(0)
	v_lshrrev_b32_e32 v3, s41, v3
	v_and_b32_e32 v151, s62, v3
	s_or_b32 exec_lo, exec_lo, s40
	s_and_saveexec_b32 s40, s24
	s_cbranch_execz .LBB604_845
.LBB604_915:                            ;   in Loop: Header=BB604_722 Depth=2
	ds_read_b32 v3, v69 offset:3584
	s_waitcnt lgkmcnt(0)
	v_lshrrev_b32_e32 v3, s41, v3
	v_and_b32_e32 v150, s62, v3
	s_or_b32 exec_lo, exec_lo, s40
	s_and_saveexec_b32 s40, s25
	s_cbranch_execz .LBB604_846
.LBB604_916:                            ;   in Loop: Header=BB604_722 Depth=2
	ds_read_b32 v3, v69 offset:4608
	s_waitcnt lgkmcnt(0)
	v_lshrrev_b32_e32 v3, s41, v3
	v_and_b32_e32 v149, s62, v3
	s_or_b32 exec_lo, exec_lo, s40
	s_and_saveexec_b32 s40, s26
	s_cbranch_execz .LBB604_847
.LBB604_917:                            ;   in Loop: Header=BB604_722 Depth=2
	ds_read_b32 v3, v69 offset:5632
	s_waitcnt lgkmcnt(0)
	v_lshrrev_b32_e32 v3, s41, v3
	v_and_b32_e32 v148, s62, v3
	s_or_b32 exec_lo, exec_lo, s40
	s_and_saveexec_b32 s40, s27
	s_cbranch_execz .LBB604_848
.LBB604_918:                            ;   in Loop: Header=BB604_722 Depth=2
	ds_read_b32 v3, v69 offset:6656
	s_waitcnt lgkmcnt(0)
	v_lshrrev_b32_e32 v3, s41, v3
	v_and_b32_e32 v147, s62, v3
	s_or_b32 exec_lo, exec_lo, s40
	s_and_saveexec_b32 s40, s29
	s_cbranch_execz .LBB604_849
.LBB604_919:                            ;   in Loop: Header=BB604_722 Depth=2
	ds_read_b32 v3, v69 offset:7680
	s_waitcnt lgkmcnt(0)
	v_lshrrev_b32_e32 v3, s41, v3
	v_and_b32_e32 v146, s62, v3
	s_or_b32 exec_lo, exec_lo, s40
	s_and_saveexec_b32 s40, s30
	s_cbranch_execz .LBB604_850
.LBB604_920:                            ;   in Loop: Header=BB604_722 Depth=2
	ds_read_b32 v3, v69 offset:8704
	s_waitcnt lgkmcnt(0)
	v_lshrrev_b32_e32 v3, s41, v3
	v_and_b32_e32 v145, s62, v3
	s_or_b32 exec_lo, exec_lo, s40
	s_and_saveexec_b32 s40, s31
	s_cbranch_execz .LBB604_851
.LBB604_921:                            ;   in Loop: Header=BB604_722 Depth=2
	ds_read_b32 v3, v69 offset:9728
	s_waitcnt lgkmcnt(0)
	v_lshrrev_b32_e32 v3, s41, v3
	v_and_b32_e32 v144, s62, v3
	s_or_b32 exec_lo, exec_lo, s40
	s_and_saveexec_b32 s40, s33
	s_cbranch_execz .LBB604_852
.LBB604_922:                            ;   in Loop: Header=BB604_722 Depth=2
	ds_read_b32 v3, v69 offset:10752
	s_waitcnt lgkmcnt(0)
	v_lshrrev_b32_e32 v3, s41, v3
	v_and_b32_e32 v143, s62, v3
	s_or_b32 exec_lo, exec_lo, s40
	s_and_saveexec_b32 s40, s34
	s_cbranch_execz .LBB604_853
.LBB604_923:                            ;   in Loop: Header=BB604_722 Depth=2
	ds_read_b32 v3, v69 offset:11776
	s_waitcnt lgkmcnt(0)
	v_lshrrev_b32_e32 v3, s41, v3
	v_and_b32_e32 v142, s62, v3
	s_or_b32 exec_lo, exec_lo, s40
	s_and_saveexec_b32 s40, s35
	s_cbranch_execz .LBB604_854
.LBB604_924:                            ;   in Loop: Header=BB604_722 Depth=2
	ds_read_b32 v3, v69 offset:12800
	s_waitcnt lgkmcnt(0)
	v_lshrrev_b32_e32 v3, s41, v3
	v_and_b32_e32 v141, s62, v3
	s_or_b32 exec_lo, exec_lo, s40
	s_and_saveexec_b32 s40, s36
	s_cbranch_execz .LBB604_855
.LBB604_925:                            ;   in Loop: Header=BB604_722 Depth=2
	ds_read_b32 v3, v69 offset:13824
	s_waitcnt lgkmcnt(0)
	v_lshrrev_b32_e32 v3, s41, v3
	v_and_b32_e32 v140, s62, v3
	s_or_b32 exec_lo, exec_lo, s40
	s_and_saveexec_b32 s40, s37
	s_cbranch_execz .LBB604_856
.LBB604_926:                            ;   in Loop: Header=BB604_722 Depth=2
	ds_read_b32 v3, v69 offset:14848
	s_waitcnt lgkmcnt(0)
	v_lshrrev_b32_e32 v3, s41, v3
	v_and_b32_e32 v139, s62, v3
	s_or_b32 exec_lo, exec_lo, s40
	s_and_saveexec_b32 s40, s38
	s_cbranch_execz .LBB604_857
.LBB604_927:                            ;   in Loop: Header=BB604_722 Depth=2
	ds_read_b32 v3, v69 offset:15872
	s_waitcnt lgkmcnt(0)
	v_lshrrev_b32_e32 v3, s41, v3
	v_and_b32_e32 v138, s62, v3
	s_or_b32 exec_lo, exec_lo, s40
	s_and_saveexec_b32 s40, s39
	s_cbranch_execnz .LBB604_858
	s_branch .LBB604_859
.LBB604_928:                            ;   in Loop: Header=BB604_722 Depth=2
	v_lshlrev_b32_e32 v3, 2, v154
	v_add_nc_u32_e32 v39, v69, v43
	ds_read_b32 v3, v3
	ds_read_b64 v[39:40], v39 offset:512
	s_waitcnt lgkmcnt(1)
	v_add_nc_u32_e32 v3, v3, v0
	v_lshlrev_b64 v[41:42], 3, v[3:4]
	v_add_co_u32 v41, vcc_lo, s52, v41
	v_add_co_ci_u32_e64 v42, null, s53, v42, vcc_lo
	s_waitcnt lgkmcnt(0)
	global_store_dwordx2 v[41:42], v[39:40], off
	s_or_b32 exec_lo, exec_lo, s40
	s_and_saveexec_b32 s40, s22
	s_cbranch_execz .LBB604_861
.LBB604_929:                            ;   in Loop: Header=BB604_722 Depth=2
	v_lshlrev_b32_e32 v3, 2, v153
	v_add_nc_u32_e32 v39, v69, v43
	ds_read_b32 v3, v3
	ds_read_b64 v[39:40], v39 offset:2560
	s_waitcnt lgkmcnt(1)
	v_add_nc_u32_e32 v3, v3, v44
	v_lshlrev_b64 v[41:42], 3, v[3:4]
	v_add_co_u32 v41, vcc_lo, s52, v41
	v_add_co_ci_u32_e64 v42, null, s53, v42, vcc_lo
	s_waitcnt lgkmcnt(0)
	global_store_dwordx2 v[41:42], v[39:40], off
	s_or_b32 exec_lo, exec_lo, s40
	s_and_saveexec_b32 s22, s23
	s_cbranch_execz .LBB604_862
.LBB604_930:                            ;   in Loop: Header=BB604_722 Depth=2
	v_lshlrev_b32_e32 v3, 2, v151
	v_add_nc_u32_e32 v39, v69, v43
	ds_read_b32 v3, v3
	ds_read_b64 v[39:40], v39 offset:4608
	s_waitcnt lgkmcnt(1)
	v_add_nc_u32_e32 v3, v3, v47
	v_lshlrev_b64 v[41:42], 3, v[3:4]
	v_add_co_u32 v41, vcc_lo, s52, v41
	v_add_co_ci_u32_e64 v42, null, s53, v42, vcc_lo
	s_waitcnt lgkmcnt(0)
	global_store_dwordx2 v[41:42], v[39:40], off
	s_or_b32 exec_lo, exec_lo, s22
	s_and_saveexec_b32 s22, s24
	s_cbranch_execz .LBB604_863
.LBB604_931:                            ;   in Loop: Header=BB604_722 Depth=2
	v_lshlrev_b32_e32 v3, 2, v150
	v_add_nc_u32_e32 v39, v69, v43
	ds_read_b32 v3, v3
	ds_read_b64 v[39:40], v39 offset:6656
	s_waitcnt lgkmcnt(1)
	v_add_nc_u32_e32 v3, v3, v48
	v_lshlrev_b64 v[41:42], 3, v[3:4]
	v_add_co_u32 v41, vcc_lo, s52, v41
	v_add_co_ci_u32_e64 v42, null, s53, v42, vcc_lo
	s_waitcnt lgkmcnt(0)
	global_store_dwordx2 v[41:42], v[39:40], off
	s_or_b32 exec_lo, exec_lo, s22
	s_and_saveexec_b32 s22, s25
	s_cbranch_execz .LBB604_864
.LBB604_932:                            ;   in Loop: Header=BB604_722 Depth=2
	v_lshlrev_b32_e32 v3, 2, v149
	v_add_nc_u32_e32 v39, v69, v43
	ds_read_b32 v3, v3
	ds_read_b64 v[39:40], v39 offset:8704
	s_waitcnt lgkmcnt(1)
	v_add_nc_u32_e32 v3, v3, v49
	v_lshlrev_b64 v[41:42], 3, v[3:4]
	v_add_co_u32 v41, vcc_lo, s52, v41
	v_add_co_ci_u32_e64 v42, null, s53, v42, vcc_lo
	s_waitcnt lgkmcnt(0)
	global_store_dwordx2 v[41:42], v[39:40], off
	s_or_b32 exec_lo, exec_lo, s22
	s_and_saveexec_b32 s22, s26
	s_cbranch_execz .LBB604_865
.LBB604_933:                            ;   in Loop: Header=BB604_722 Depth=2
	v_lshlrev_b32_e32 v3, 2, v148
	v_add_nc_u32_e32 v39, v69, v43
	ds_read_b32 v3, v3
	ds_read_b64 v[39:40], v39 offset:10752
	s_waitcnt lgkmcnt(1)
	v_add_nc_u32_e32 v3, v3, v50
	v_lshlrev_b64 v[41:42], 3, v[3:4]
	v_add_co_u32 v41, vcc_lo, s52, v41
	v_add_co_ci_u32_e64 v42, null, s53, v42, vcc_lo
	s_waitcnt lgkmcnt(0)
	global_store_dwordx2 v[41:42], v[39:40], off
	s_or_b32 exec_lo, exec_lo, s22
	s_and_saveexec_b32 s22, s27
	s_cbranch_execz .LBB604_866
.LBB604_934:                            ;   in Loop: Header=BB604_722 Depth=2
	v_lshlrev_b32_e32 v3, 2, v147
	v_add_nc_u32_e32 v39, v69, v43
	ds_read_b32 v3, v3
	ds_read_b64 v[39:40], v39 offset:12800
	s_waitcnt lgkmcnt(1)
	v_add_nc_u32_e32 v3, v3, v51
	v_lshlrev_b64 v[41:42], 3, v[3:4]
	v_add_co_u32 v41, vcc_lo, s52, v41
	v_add_co_ci_u32_e64 v42, null, s53, v42, vcc_lo
	s_waitcnt lgkmcnt(0)
	global_store_dwordx2 v[41:42], v[39:40], off
	s_or_b32 exec_lo, exec_lo, s22
	s_and_saveexec_b32 s22, s29
	s_cbranch_execz .LBB604_867
.LBB604_935:                            ;   in Loop: Header=BB604_722 Depth=2
	v_lshlrev_b32_e32 v3, 2, v146
	v_add_nc_u32_e32 v39, v69, v43
	ds_read_b32 v3, v3
	ds_read_b64 v[39:40], v39 offset:14848
	s_waitcnt lgkmcnt(1)
	v_add_nc_u32_e32 v3, v3, v52
	v_lshlrev_b64 v[41:42], 3, v[3:4]
	v_add_co_u32 v41, vcc_lo, s52, v41
	v_add_co_ci_u32_e64 v42, null, s53, v42, vcc_lo
	s_waitcnt lgkmcnt(0)
	global_store_dwordx2 v[41:42], v[39:40], off
	s_or_b32 exec_lo, exec_lo, s22
	s_and_saveexec_b32 s22, s30
	s_cbranch_execz .LBB604_868
.LBB604_936:                            ;   in Loop: Header=BB604_722 Depth=2
	v_lshlrev_b32_e32 v3, 2, v145
	v_add_nc_u32_e32 v39, v69, v43
	ds_read_b32 v3, v3
	ds_read_b64 v[39:40], v39 offset:16896
	s_waitcnt lgkmcnt(1)
	v_add_nc_u32_e32 v3, v3, v53
	v_lshlrev_b64 v[41:42], 3, v[3:4]
	v_add_co_u32 v41, vcc_lo, s52, v41
	v_add_co_ci_u32_e64 v42, null, s53, v42, vcc_lo
	s_waitcnt lgkmcnt(0)
	global_store_dwordx2 v[41:42], v[39:40], off
	s_or_b32 exec_lo, exec_lo, s22
	s_and_saveexec_b32 s22, s31
	s_cbranch_execz .LBB604_869
.LBB604_937:                            ;   in Loop: Header=BB604_722 Depth=2
	v_lshlrev_b32_e32 v3, 2, v144
	v_add_nc_u32_e32 v39, v69, v43
	ds_read_b32 v3, v3
	ds_read_b64 v[39:40], v39 offset:18944
	s_waitcnt lgkmcnt(1)
	v_add_nc_u32_e32 v3, v3, v54
	v_lshlrev_b64 v[41:42], 3, v[3:4]
	v_add_co_u32 v41, vcc_lo, s52, v41
	v_add_co_ci_u32_e64 v42, null, s53, v42, vcc_lo
	s_waitcnt lgkmcnt(0)
	global_store_dwordx2 v[41:42], v[39:40], off
	s_or_b32 exec_lo, exec_lo, s22
	s_and_saveexec_b32 s22, s33
	s_cbranch_execz .LBB604_870
.LBB604_938:                            ;   in Loop: Header=BB604_722 Depth=2
	v_lshlrev_b32_e32 v3, 2, v143
	v_add_nc_u32_e32 v39, v69, v43
	ds_read_b32 v3, v3
	ds_read_b64 v[39:40], v39 offset:20992
	s_waitcnt lgkmcnt(1)
	v_add_nc_u32_e32 v3, v3, v55
	v_lshlrev_b64 v[41:42], 3, v[3:4]
	v_add_co_u32 v41, vcc_lo, s52, v41
	v_add_co_ci_u32_e64 v42, null, s53, v42, vcc_lo
	s_waitcnt lgkmcnt(0)
	global_store_dwordx2 v[41:42], v[39:40], off
	s_or_b32 exec_lo, exec_lo, s22
	s_and_saveexec_b32 s22, s34
	s_cbranch_execz .LBB604_871
.LBB604_939:                            ;   in Loop: Header=BB604_722 Depth=2
	v_lshlrev_b32_e32 v3, 2, v142
	v_add_nc_u32_e32 v39, v69, v43
	ds_read_b32 v3, v3
	ds_read_b64 v[39:40], v39 offset:23040
	s_waitcnt lgkmcnt(1)
	v_add_nc_u32_e32 v3, v3, v56
	v_lshlrev_b64 v[41:42], 3, v[3:4]
	v_add_co_u32 v41, vcc_lo, s52, v41
	v_add_co_ci_u32_e64 v42, null, s53, v42, vcc_lo
	s_waitcnt lgkmcnt(0)
	global_store_dwordx2 v[41:42], v[39:40], off
	s_or_b32 exec_lo, exec_lo, s22
	s_and_saveexec_b32 s22, s35
	s_cbranch_execz .LBB604_872
.LBB604_940:                            ;   in Loop: Header=BB604_722 Depth=2
	v_lshlrev_b32_e32 v3, 2, v141
	v_add_nc_u32_e32 v39, v69, v43
	ds_read_b32 v3, v3
	ds_read_b64 v[39:40], v39 offset:25088
	s_waitcnt lgkmcnt(1)
	v_add_nc_u32_e32 v3, v3, v57
	v_lshlrev_b64 v[41:42], 3, v[3:4]
	v_add_co_u32 v41, vcc_lo, s52, v41
	v_add_co_ci_u32_e64 v42, null, s53, v42, vcc_lo
	s_waitcnt lgkmcnt(0)
	global_store_dwordx2 v[41:42], v[39:40], off
	s_or_b32 exec_lo, exec_lo, s22
	s_and_saveexec_b32 s22, s36
	s_cbranch_execz .LBB604_873
.LBB604_941:                            ;   in Loop: Header=BB604_722 Depth=2
	v_lshlrev_b32_e32 v3, 2, v140
	v_add_nc_u32_e32 v39, v69, v43
	ds_read_b32 v3, v3
	ds_read_b64 v[39:40], v39 offset:27136
	s_waitcnt lgkmcnt(1)
	v_add_nc_u32_e32 v3, v3, v58
	v_lshlrev_b64 v[41:42], 3, v[3:4]
	v_add_co_u32 v41, vcc_lo, s52, v41
	v_add_co_ci_u32_e64 v42, null, s53, v42, vcc_lo
	s_waitcnt lgkmcnt(0)
	global_store_dwordx2 v[41:42], v[39:40], off
	s_or_b32 exec_lo, exec_lo, s22
	s_and_saveexec_b32 s22, s37
	s_cbranch_execz .LBB604_874
.LBB604_942:                            ;   in Loop: Header=BB604_722 Depth=2
	v_lshlrev_b32_e32 v3, 2, v139
	v_add_nc_u32_e32 v39, v69, v43
	ds_read_b32 v3, v3
	ds_read_b64 v[39:40], v39 offset:29184
	s_waitcnt lgkmcnt(1)
	v_add_nc_u32_e32 v3, v3, v59
	v_lshlrev_b64 v[41:42], 3, v[3:4]
	v_add_co_u32 v41, vcc_lo, s52, v41
	v_add_co_ci_u32_e64 v42, null, s53, v42, vcc_lo
	s_waitcnt lgkmcnt(0)
	global_store_dwordx2 v[41:42], v[39:40], off
	s_or_b32 exec_lo, exec_lo, s22
	s_and_saveexec_b32 s22, s38
	s_cbranch_execz .LBB604_875
.LBB604_943:                            ;   in Loop: Header=BB604_722 Depth=2
	v_lshlrev_b32_e32 v3, 2, v138
	v_add_nc_u32_e32 v39, v69, v43
	ds_read_b32 v3, v3
	ds_read_b64 v[39:40], v39 offset:31232
	s_waitcnt lgkmcnt(1)
	v_add_nc_u32_e32 v3, v3, v60
	v_lshlrev_b64 v[41:42], 3, v[3:4]
	v_add_co_u32 v41, vcc_lo, s52, v41
	v_add_co_ci_u32_e64 v42, null, s53, v42, vcc_lo
	s_waitcnt lgkmcnt(0)
	global_store_dwordx2 v[41:42], v[39:40], off
	s_or_b32 exec_lo, exec_lo, s22
	s_and_saveexec_b32 s22, s39
	s_cbranch_execnz .LBB604_876
	s_branch .LBB604_877
.LBB604_944:                            ;   in Loop: Header=BB604_12 Depth=1
	s_waitcnt lgkmcnt(0)
	s_mov_b32 s5, 0
	s_barrier
.LBB604_945:                            ;   in Loop: Header=BB604_12 Depth=1
	s_and_b32 vcc_lo, exec_lo, s5
	s_cbranch_vccz .LBB604_11
; %bb.946:                              ;   in Loop: Header=BB604_12 Depth=1
	s_mov_b32 s5, s60
	s_mov_b32 s50, s58
	s_barrier
	buffer_gl0_inv
                                        ; implicit-def: $vgpr3
                                        ; implicit-def: $vgpr5
                                        ; implicit-def: $vgpr6
                                        ; implicit-def: $vgpr7
                                        ; implicit-def: $vgpr8
                                        ; implicit-def: $vgpr9
                                        ; implicit-def: $vgpr10
                                        ; implicit-def: $vgpr11
                                        ; implicit-def: $vgpr12
                                        ; implicit-def: $vgpr13
                                        ; implicit-def: $vgpr14
                                        ; implicit-def: $vgpr15
                                        ; implicit-def: $vgpr16
                                        ; implicit-def: $vgpr17
                                        ; implicit-def: $vgpr18
                                        ; implicit-def: $vgpr19
                                        ; implicit-def: $vgpr20
	s_branch .LBB604_948
.LBB604_947:                            ;   in Loop: Header=BB604_948 Depth=2
	s_or_b32 exec_lo, exec_lo, s16
	s_addk_i32 s5, 0xef00
	s_cmp_ge_u32 s15, s59
	s_mov_b32 s50, s15
	s_cbranch_scc1 .LBB604_1020
.LBB604_948:                            ;   Parent Loop BB604_12 Depth=1
                                        ; =>  This Inner Loop Header: Depth=2
	s_add_i32 s15, s50, 0x1100
	s_mov_b32 s16, -1
	s_cmp_gt_u32 s15, s59
                                        ; implicit-def: $vgpr21
                                        ; implicit-def: $vgpr22
                                        ; implicit-def: $vgpr25
                                        ; implicit-def: $vgpr23
                                        ; implicit-def: $vgpr27
                                        ; implicit-def: $vgpr24
                                        ; implicit-def: $vgpr29
                                        ; implicit-def: $vgpr26
                                        ; implicit-def: $vgpr31
                                        ; implicit-def: $vgpr28
                                        ; implicit-def: $vgpr33
                                        ; implicit-def: $vgpr30
                                        ; implicit-def: $vgpr34
                                        ; implicit-def: $vgpr32
                                        ; implicit-def: $vgpr35
                                        ; implicit-def: $vgpr36
                                        ; implicit-def: $vgpr37
	s_cbranch_scc1 .LBB604_950
; %bb.949:                              ;   in Loop: Header=BB604_948 Depth=2
	s_lshl_b64 s[16:17], s[50:51], 2
	v_add_co_u32 v33, vcc_lo, v78, s16
	v_add_co_ci_u32_e64 v34, null, s17, v79, vcc_lo
	s_mov_b32 s16, 0
	v_add_co_u32 v23, vcc_lo, 0x800, v33
	v_add_co_ci_u32_e64 v24, null, 0, v34, vcc_lo
	v_add_co_u32 v35, vcc_lo, v33, 0x1000
	v_add_co_ci_u32_e64 v36, null, 0, v34, vcc_lo
	;; [unrolled: 2-line block ×9, first 2 shown]
	s_clause 0x7
	global_load_dword v21, v[33:34], off
	global_load_dword v22, v[33:34], off offset:1024
	global_load_dword v23, v[23:24], off offset:1024
	;; [unrolled: 1-line block ×7, first 2 shown]
	v_add_co_u32 v41, vcc_lo, 0x3800, v33
	v_add_co_ci_u32_e64 v42, null, 0, v34, vcc_lo
	v_add_co_u32 v131, vcc_lo, v33, 0x4000
	v_add_co_ci_u32_e64 v132, null, 0, v34, vcc_lo
	s_clause 0x8
	global_load_dword v25, v[35:36], off offset:-2048
	global_load_dword v27, v[35:36], off
	global_load_dword v29, v[37:38], off offset:-2048
	global_load_dword v31, v[37:38], off
	;; [unrolled: 2-line block ×3, first 2 shown]
	global_load_dword v35, v[131:132], off offset:-2048
	global_load_dword v36, v[41:42], off offset:1024
	global_load_dword v37, v[131:132], off
.LBB604_950:                            ;   in Loop: Header=BB604_948 Depth=2
	s_andn2_b32 vcc_lo, exec_lo, s16
	s_movk_i32 s16, 0x1100
	s_cbranch_vccnz .LBB604_970
; %bb.951:                              ;   in Loop: Header=BB604_948 Depth=2
	s_lshl_b64 s[16:17], s[50:51], 2
	s_mov_b32 s18, exec_lo
	s_add_u32 s16, s44, s16
	s_addc_u32 s17, s45, s17
	v_cmpx_gt_u32_e64 s5, v0
	s_cbranch_execnz .LBB604_1004
; %bb.952:                              ;   in Loop: Header=BB604_948 Depth=2
	s_or_b32 exec_lo, exec_lo, s18
	s_mov_b32 s18, exec_lo
	v_cmpx_gt_u32_e64 s5, v44
	s_cbranch_execnz .LBB604_1005
.LBB604_953:                            ;   in Loop: Header=BB604_948 Depth=2
	s_or_b32 exec_lo, exec_lo, s18
	s_mov_b32 s18, exec_lo
	v_cmpx_gt_u32_e64 s5, v47
	s_cbranch_execnz .LBB604_1006
.LBB604_954:                            ;   in Loop: Header=BB604_948 Depth=2
	s_or_b32 exec_lo, exec_lo, s18
	s_mov_b32 s18, exec_lo
	v_cmpx_gt_u32_e64 s5, v48
	s_cbranch_execnz .LBB604_1007
.LBB604_955:                            ;   in Loop: Header=BB604_948 Depth=2
	s_or_b32 exec_lo, exec_lo, s18
	s_mov_b32 s18, exec_lo
	v_cmpx_gt_u32_e64 s5, v49
	s_cbranch_execnz .LBB604_1008
.LBB604_956:                            ;   in Loop: Header=BB604_948 Depth=2
	s_or_b32 exec_lo, exec_lo, s18
	s_mov_b32 s18, exec_lo
	v_cmpx_gt_u32_e64 s5, v50
	s_cbranch_execnz .LBB604_1009
.LBB604_957:                            ;   in Loop: Header=BB604_948 Depth=2
	s_or_b32 exec_lo, exec_lo, s18
	s_mov_b32 s18, exec_lo
	v_cmpx_gt_u32_e64 s5, v51
	s_cbranch_execnz .LBB604_1010
.LBB604_958:                            ;   in Loop: Header=BB604_948 Depth=2
	s_or_b32 exec_lo, exec_lo, s18
	s_mov_b32 s18, exec_lo
	v_cmpx_gt_u32_e64 s5, v52
	s_cbranch_execnz .LBB604_1011
.LBB604_959:                            ;   in Loop: Header=BB604_948 Depth=2
	s_or_b32 exec_lo, exec_lo, s18
	s_mov_b32 s18, exec_lo
	v_cmpx_gt_u32_e64 s5, v53
	s_cbranch_execnz .LBB604_1012
.LBB604_960:                            ;   in Loop: Header=BB604_948 Depth=2
	s_or_b32 exec_lo, exec_lo, s18
	s_mov_b32 s18, exec_lo
	v_cmpx_gt_u32_e64 s5, v54
	s_cbranch_execnz .LBB604_1013
.LBB604_961:                            ;   in Loop: Header=BB604_948 Depth=2
	s_or_b32 exec_lo, exec_lo, s18
	s_mov_b32 s18, exec_lo
	v_cmpx_gt_u32_e64 s5, v55
	s_cbranch_execnz .LBB604_1014
.LBB604_962:                            ;   in Loop: Header=BB604_948 Depth=2
	s_or_b32 exec_lo, exec_lo, s18
	s_mov_b32 s18, exec_lo
	v_cmpx_gt_u32_e64 s5, v56
	s_cbranch_execnz .LBB604_1015
.LBB604_963:                            ;   in Loop: Header=BB604_948 Depth=2
	s_or_b32 exec_lo, exec_lo, s18
	s_mov_b32 s18, exec_lo
	v_cmpx_gt_u32_e64 s5, v57
	s_cbranch_execnz .LBB604_1016
.LBB604_964:                            ;   in Loop: Header=BB604_948 Depth=2
	s_or_b32 exec_lo, exec_lo, s18
	s_mov_b32 s18, exec_lo
	v_cmpx_gt_u32_e64 s5, v58
	s_cbranch_execnz .LBB604_1017
.LBB604_965:                            ;   in Loop: Header=BB604_948 Depth=2
	s_or_b32 exec_lo, exec_lo, s18
	s_mov_b32 s18, exec_lo
	v_cmpx_gt_u32_e64 s5, v59
	s_cbranch_execnz .LBB604_1018
.LBB604_966:                            ;   in Loop: Header=BB604_948 Depth=2
	s_or_b32 exec_lo, exec_lo, s18
	s_mov_b32 s18, exec_lo
	v_cmpx_gt_u32_e64 s5, v60
	s_cbranch_execnz .LBB604_1019
.LBB604_967:                            ;   in Loop: Header=BB604_948 Depth=2
	s_or_b32 exec_lo, exec_lo, s18
	s_mov_b32 s18, exec_lo
	v_cmpx_gt_u32_e64 s5, v61
	s_cbranch_execz .LBB604_969
.LBB604_968:                            ;   in Loop: Header=BB604_948 Depth=2
	global_load_dword v3, v107, s[16:17]
.LBB604_969:                            ;   in Loop: Header=BB604_948 Depth=2
	s_or_b32 exec_lo, exec_lo, s18
	s_waitcnt vmcnt(0)
	v_mov_b32_e32 v21, v20
	v_mov_b32_e32 v22, v19
	;; [unrolled: 1-line block ×17, first 2 shown]
	s_mov_b32 s16, s5
.LBB604_970:                            ;   in Loop: Header=BB604_948 Depth=2
	s_waitcnt vmcnt(0)
	v_mov_b32_e32 v3, v37
	v_mov_b32_e32 v5, v36
	;; [unrolled: 1-line block ×17, first 2 shown]
	s_mov_b32 s17, exec_lo
	v_cmpx_gt_u32_e64 s16, v0
	s_cbranch_execnz .LBB604_987
; %bb.971:                              ;   in Loop: Header=BB604_948 Depth=2
	s_or_b32 exec_lo, exec_lo, s17
	s_mov_b32 s17, exec_lo
	v_cmpx_gt_u32_e64 s16, v44
	s_cbranch_execnz .LBB604_988
.LBB604_972:                            ;   in Loop: Header=BB604_948 Depth=2
	s_or_b32 exec_lo, exec_lo, s17
	s_mov_b32 s17, exec_lo
	v_cmpx_gt_u32_e64 s16, v47
	s_cbranch_execnz .LBB604_989
.LBB604_973:                            ;   in Loop: Header=BB604_948 Depth=2
	s_or_b32 exec_lo, exec_lo, s17
	s_mov_b32 s17, exec_lo
	v_cmpx_gt_u32_e64 s16, v48
	s_cbranch_execnz .LBB604_990
.LBB604_974:                            ;   in Loop: Header=BB604_948 Depth=2
	s_or_b32 exec_lo, exec_lo, s17
	s_mov_b32 s17, exec_lo
	v_cmpx_gt_u32_e64 s16, v49
	s_cbranch_execnz .LBB604_991
.LBB604_975:                            ;   in Loop: Header=BB604_948 Depth=2
	s_or_b32 exec_lo, exec_lo, s17
	s_mov_b32 s17, exec_lo
	v_cmpx_gt_u32_e64 s16, v50
	s_cbranch_execnz .LBB604_992
.LBB604_976:                            ;   in Loop: Header=BB604_948 Depth=2
	s_or_b32 exec_lo, exec_lo, s17
	s_mov_b32 s17, exec_lo
	v_cmpx_gt_u32_e64 s16, v51
	s_cbranch_execnz .LBB604_993
.LBB604_977:                            ;   in Loop: Header=BB604_948 Depth=2
	s_or_b32 exec_lo, exec_lo, s17
	s_mov_b32 s17, exec_lo
	v_cmpx_gt_u32_e64 s16, v52
	s_cbranch_execnz .LBB604_994
.LBB604_978:                            ;   in Loop: Header=BB604_948 Depth=2
	s_or_b32 exec_lo, exec_lo, s17
	s_mov_b32 s17, exec_lo
	v_cmpx_gt_u32_e64 s16, v53
	s_cbranch_execnz .LBB604_995
.LBB604_979:                            ;   in Loop: Header=BB604_948 Depth=2
	s_or_b32 exec_lo, exec_lo, s17
	s_mov_b32 s17, exec_lo
	v_cmpx_gt_u32_e64 s16, v54
	s_cbranch_execnz .LBB604_996
.LBB604_980:                            ;   in Loop: Header=BB604_948 Depth=2
	s_or_b32 exec_lo, exec_lo, s17
	s_mov_b32 s17, exec_lo
	v_cmpx_gt_u32_e64 s16, v55
	s_cbranch_execnz .LBB604_997
.LBB604_981:                            ;   in Loop: Header=BB604_948 Depth=2
	s_or_b32 exec_lo, exec_lo, s17
	s_mov_b32 s17, exec_lo
	v_cmpx_gt_u32_e64 s16, v56
	s_cbranch_execnz .LBB604_998
.LBB604_982:                            ;   in Loop: Header=BB604_948 Depth=2
	s_or_b32 exec_lo, exec_lo, s17
	s_mov_b32 s17, exec_lo
	v_cmpx_gt_u32_e64 s16, v57
	s_cbranch_execnz .LBB604_999
.LBB604_983:                            ;   in Loop: Header=BB604_948 Depth=2
	s_or_b32 exec_lo, exec_lo, s17
	s_mov_b32 s17, exec_lo
	v_cmpx_gt_u32_e64 s16, v58
	s_cbranch_execnz .LBB604_1000
.LBB604_984:                            ;   in Loop: Header=BB604_948 Depth=2
	s_or_b32 exec_lo, exec_lo, s17
	s_mov_b32 s17, exec_lo
	v_cmpx_gt_u32_e64 s16, v59
	s_cbranch_execnz .LBB604_1001
.LBB604_985:                            ;   in Loop: Header=BB604_948 Depth=2
	s_or_b32 exec_lo, exec_lo, s17
	s_mov_b32 s17, exec_lo
	v_cmpx_gt_u32_e64 s16, v60
	s_cbranch_execnz .LBB604_1002
.LBB604_986:                            ;   in Loop: Header=BB604_948 Depth=2
	s_or_b32 exec_lo, exec_lo, s17
	v_cmp_gt_u32_e32 vcc_lo, s16, v61
	s_and_saveexec_b32 s16, vcc_lo
	s_cbranch_execz .LBB604_947
	s_branch .LBB604_1003
.LBB604_987:                            ;   in Loop: Header=BB604_948 Depth=2
	v_xor_b32_e32 v21, 0x80000000, v20
	v_lshrrev_b32_e32 v21, s41, v21
	v_and_b32_e32 v21, s62, v21
	v_lshl_or_b32 v21, v21, 4, v63
	ds_add_u32 v21, v85
	s_or_b32 exec_lo, exec_lo, s17
	s_mov_b32 s17, exec_lo
	v_cmpx_gt_u32_e64 s16, v44
	s_cbranch_execz .LBB604_972
.LBB604_988:                            ;   in Loop: Header=BB604_948 Depth=2
	v_xor_b32_e32 v21, 0x80000000, v19
	v_lshrrev_b32_e32 v21, s41, v21
	v_and_b32_e32 v21, s62, v21
	v_lshl_or_b32 v21, v21, 4, v63
	ds_add_u32 v21, v85
	s_or_b32 exec_lo, exec_lo, s17
	s_mov_b32 s17, exec_lo
	v_cmpx_gt_u32_e64 s16, v47
	s_cbranch_execz .LBB604_973
.LBB604_989:                            ;   in Loop: Header=BB604_948 Depth=2
	v_xor_b32_e32 v21, 0x80000000, v18
	v_lshrrev_b32_e32 v21, s41, v21
	v_and_b32_e32 v21, s62, v21
	v_lshl_or_b32 v21, v21, 4, v63
	ds_add_u32 v21, v85
	s_or_b32 exec_lo, exec_lo, s17
	s_mov_b32 s17, exec_lo
	v_cmpx_gt_u32_e64 s16, v48
	s_cbranch_execz .LBB604_974
.LBB604_990:                            ;   in Loop: Header=BB604_948 Depth=2
	v_xor_b32_e32 v21, 0x80000000, v17
	v_lshrrev_b32_e32 v21, s41, v21
	v_and_b32_e32 v21, s62, v21
	v_lshl_or_b32 v21, v21, 4, v63
	ds_add_u32 v21, v85
	s_or_b32 exec_lo, exec_lo, s17
	s_mov_b32 s17, exec_lo
	v_cmpx_gt_u32_e64 s16, v49
	s_cbranch_execz .LBB604_975
.LBB604_991:                            ;   in Loop: Header=BB604_948 Depth=2
	v_xor_b32_e32 v21, 0x80000000, v16
	v_lshrrev_b32_e32 v21, s41, v21
	v_and_b32_e32 v21, s62, v21
	v_lshl_or_b32 v21, v21, 4, v63
	ds_add_u32 v21, v85
	s_or_b32 exec_lo, exec_lo, s17
	s_mov_b32 s17, exec_lo
	v_cmpx_gt_u32_e64 s16, v50
	s_cbranch_execz .LBB604_976
.LBB604_992:                            ;   in Loop: Header=BB604_948 Depth=2
	v_xor_b32_e32 v21, 0x80000000, v15
	v_lshrrev_b32_e32 v21, s41, v21
	v_and_b32_e32 v21, s62, v21
	v_lshl_or_b32 v21, v21, 4, v63
	ds_add_u32 v21, v85
	s_or_b32 exec_lo, exec_lo, s17
	s_mov_b32 s17, exec_lo
	v_cmpx_gt_u32_e64 s16, v51
	s_cbranch_execz .LBB604_977
.LBB604_993:                            ;   in Loop: Header=BB604_948 Depth=2
	v_xor_b32_e32 v21, 0x80000000, v14
	v_lshrrev_b32_e32 v21, s41, v21
	v_and_b32_e32 v21, s62, v21
	v_lshl_or_b32 v21, v21, 4, v63
	ds_add_u32 v21, v85
	s_or_b32 exec_lo, exec_lo, s17
	s_mov_b32 s17, exec_lo
	v_cmpx_gt_u32_e64 s16, v52
	s_cbranch_execz .LBB604_978
.LBB604_994:                            ;   in Loop: Header=BB604_948 Depth=2
	v_xor_b32_e32 v21, 0x80000000, v13
	v_lshrrev_b32_e32 v21, s41, v21
	v_and_b32_e32 v21, s62, v21
	v_lshl_or_b32 v21, v21, 4, v63
	ds_add_u32 v21, v85
	s_or_b32 exec_lo, exec_lo, s17
	s_mov_b32 s17, exec_lo
	v_cmpx_gt_u32_e64 s16, v53
	s_cbranch_execz .LBB604_979
.LBB604_995:                            ;   in Loop: Header=BB604_948 Depth=2
	v_xor_b32_e32 v21, 0x80000000, v12
	v_lshrrev_b32_e32 v21, s41, v21
	v_and_b32_e32 v21, s62, v21
	v_lshl_or_b32 v21, v21, 4, v63
	ds_add_u32 v21, v85
	s_or_b32 exec_lo, exec_lo, s17
	s_mov_b32 s17, exec_lo
	v_cmpx_gt_u32_e64 s16, v54
	s_cbranch_execz .LBB604_980
.LBB604_996:                            ;   in Loop: Header=BB604_948 Depth=2
	v_xor_b32_e32 v21, 0x80000000, v11
	v_lshrrev_b32_e32 v21, s41, v21
	v_and_b32_e32 v21, s62, v21
	v_lshl_or_b32 v21, v21, 4, v63
	ds_add_u32 v21, v85
	s_or_b32 exec_lo, exec_lo, s17
	s_mov_b32 s17, exec_lo
	v_cmpx_gt_u32_e64 s16, v55
	s_cbranch_execz .LBB604_981
.LBB604_997:                            ;   in Loop: Header=BB604_948 Depth=2
	v_xor_b32_e32 v21, 0x80000000, v10
	v_lshrrev_b32_e32 v21, s41, v21
	v_and_b32_e32 v21, s62, v21
	v_lshl_or_b32 v21, v21, 4, v63
	ds_add_u32 v21, v85
	s_or_b32 exec_lo, exec_lo, s17
	s_mov_b32 s17, exec_lo
	v_cmpx_gt_u32_e64 s16, v56
	s_cbranch_execz .LBB604_982
.LBB604_998:                            ;   in Loop: Header=BB604_948 Depth=2
	v_xor_b32_e32 v21, 0x80000000, v9
	v_lshrrev_b32_e32 v21, s41, v21
	v_and_b32_e32 v21, s62, v21
	v_lshl_or_b32 v21, v21, 4, v63
	ds_add_u32 v21, v85
	s_or_b32 exec_lo, exec_lo, s17
	s_mov_b32 s17, exec_lo
	v_cmpx_gt_u32_e64 s16, v57
	s_cbranch_execz .LBB604_983
.LBB604_999:                            ;   in Loop: Header=BB604_948 Depth=2
	v_xor_b32_e32 v21, 0x80000000, v8
	v_lshrrev_b32_e32 v21, s41, v21
	v_and_b32_e32 v21, s62, v21
	v_lshl_or_b32 v21, v21, 4, v63
	ds_add_u32 v21, v85
	s_or_b32 exec_lo, exec_lo, s17
	s_mov_b32 s17, exec_lo
	v_cmpx_gt_u32_e64 s16, v58
	s_cbranch_execz .LBB604_984
.LBB604_1000:                           ;   in Loop: Header=BB604_948 Depth=2
	v_xor_b32_e32 v21, 0x80000000, v7
	v_lshrrev_b32_e32 v21, s41, v21
	v_and_b32_e32 v21, s62, v21
	v_lshl_or_b32 v21, v21, 4, v63
	ds_add_u32 v21, v85
	s_or_b32 exec_lo, exec_lo, s17
	s_mov_b32 s17, exec_lo
	v_cmpx_gt_u32_e64 s16, v59
	s_cbranch_execz .LBB604_985
.LBB604_1001:                           ;   in Loop: Header=BB604_948 Depth=2
	v_xor_b32_e32 v21, 0x80000000, v6
	v_lshrrev_b32_e32 v21, s41, v21
	v_and_b32_e32 v21, s62, v21
	v_lshl_or_b32 v21, v21, 4, v63
	ds_add_u32 v21, v85
	s_or_b32 exec_lo, exec_lo, s17
	s_mov_b32 s17, exec_lo
	v_cmpx_gt_u32_e64 s16, v60
	s_cbranch_execz .LBB604_986
.LBB604_1002:                           ;   in Loop: Header=BB604_948 Depth=2
	v_xor_b32_e32 v21, 0x80000000, v5
	v_lshrrev_b32_e32 v21, s41, v21
	v_and_b32_e32 v21, s62, v21
	v_lshl_or_b32 v21, v21, 4, v63
	ds_add_u32 v21, v85
	s_or_b32 exec_lo, exec_lo, s17
	v_cmp_gt_u32_e32 vcc_lo, s16, v61
	s_and_saveexec_b32 s16, vcc_lo
	s_cbranch_execz .LBB604_947
.LBB604_1003:                           ;   in Loop: Header=BB604_948 Depth=2
	v_xor_b32_e32 v21, 0x80000000, v3
	v_lshrrev_b32_e32 v21, s41, v21
	v_and_b32_e32 v21, s62, v21
	v_lshl_or_b32 v21, v21, 4, v63
	ds_add_u32 v21, v85
	s_branch .LBB604_947
.LBB604_1004:                           ;   in Loop: Header=BB604_948 Depth=2
	global_load_dword v20, v91, s[16:17]
	s_or_b32 exec_lo, exec_lo, s18
	s_mov_b32 s18, exec_lo
	v_cmpx_gt_u32_e64 s5, v44
	s_cbranch_execz .LBB604_953
.LBB604_1005:                           ;   in Loop: Header=BB604_948 Depth=2
	global_load_dword v19, v91, s[16:17] offset:1024
	s_or_b32 exec_lo, exec_lo, s18
	s_mov_b32 s18, exec_lo
	v_cmpx_gt_u32_e64 s5, v47
	s_cbranch_execz .LBB604_954
.LBB604_1006:                           ;   in Loop: Header=BB604_948 Depth=2
	global_load_dword v18, v92, s[16:17]
	s_or_b32 exec_lo, exec_lo, s18
	s_mov_b32 s18, exec_lo
	v_cmpx_gt_u32_e64 s5, v48
	s_cbranch_execz .LBB604_955
.LBB604_1007:                           ;   in Loop: Header=BB604_948 Depth=2
	global_load_dword v17, v93, s[16:17]
	s_or_b32 exec_lo, exec_lo, s18
	s_mov_b32 s18, exec_lo
	v_cmpx_gt_u32_e64 s5, v49
	s_cbranch_execz .LBB604_956
.LBB604_1008:                           ;   in Loop: Header=BB604_948 Depth=2
	global_load_dword v16, v94, s[16:17]
	s_or_b32 exec_lo, exec_lo, s18
	s_mov_b32 s18, exec_lo
	v_cmpx_gt_u32_e64 s5, v50
	s_cbranch_execz .LBB604_957
.LBB604_1009:                           ;   in Loop: Header=BB604_948 Depth=2
	global_load_dword v15, v95, s[16:17]
	s_or_b32 exec_lo, exec_lo, s18
	s_mov_b32 s18, exec_lo
	v_cmpx_gt_u32_e64 s5, v51
	s_cbranch_execz .LBB604_958
.LBB604_1010:                           ;   in Loop: Header=BB604_948 Depth=2
	global_load_dword v14, v96, s[16:17]
	s_or_b32 exec_lo, exec_lo, s18
	s_mov_b32 s18, exec_lo
	v_cmpx_gt_u32_e64 s5, v52
	s_cbranch_execz .LBB604_959
.LBB604_1011:                           ;   in Loop: Header=BB604_948 Depth=2
	global_load_dword v13, v97, s[16:17]
	s_or_b32 exec_lo, exec_lo, s18
	s_mov_b32 s18, exec_lo
	v_cmpx_gt_u32_e64 s5, v53
	s_cbranch_execz .LBB604_960
.LBB604_1012:                           ;   in Loop: Header=BB604_948 Depth=2
	global_load_dword v12, v98, s[16:17]
	s_or_b32 exec_lo, exec_lo, s18
	s_mov_b32 s18, exec_lo
	v_cmpx_gt_u32_e64 s5, v54
	s_cbranch_execz .LBB604_961
.LBB604_1013:                           ;   in Loop: Header=BB604_948 Depth=2
	global_load_dword v11, v99, s[16:17]
	s_or_b32 exec_lo, exec_lo, s18
	s_mov_b32 s18, exec_lo
	v_cmpx_gt_u32_e64 s5, v55
	s_cbranch_execz .LBB604_962
.LBB604_1014:                           ;   in Loop: Header=BB604_948 Depth=2
	global_load_dword v10, v100, s[16:17]
	s_or_b32 exec_lo, exec_lo, s18
	s_mov_b32 s18, exec_lo
	v_cmpx_gt_u32_e64 s5, v56
	s_cbranch_execz .LBB604_963
.LBB604_1015:                           ;   in Loop: Header=BB604_948 Depth=2
	global_load_dword v9, v101, s[16:17]
	s_or_b32 exec_lo, exec_lo, s18
	s_mov_b32 s18, exec_lo
	v_cmpx_gt_u32_e64 s5, v57
	s_cbranch_execz .LBB604_964
.LBB604_1016:                           ;   in Loop: Header=BB604_948 Depth=2
	global_load_dword v8, v102, s[16:17]
	s_or_b32 exec_lo, exec_lo, s18
	s_mov_b32 s18, exec_lo
	v_cmpx_gt_u32_e64 s5, v58
	s_cbranch_execz .LBB604_965
.LBB604_1017:                           ;   in Loop: Header=BB604_948 Depth=2
	global_load_dword v7, v103, s[16:17]
	s_or_b32 exec_lo, exec_lo, s18
	s_mov_b32 s18, exec_lo
	v_cmpx_gt_u32_e64 s5, v59
	s_cbranch_execz .LBB604_966
.LBB604_1018:                           ;   in Loop: Header=BB604_948 Depth=2
	global_load_dword v6, v104, s[16:17]
	s_or_b32 exec_lo, exec_lo, s18
	s_mov_b32 s18, exec_lo
	v_cmpx_gt_u32_e64 s5, v60
	s_cbranch_execz .LBB604_967
.LBB604_1019:                           ;   in Loop: Header=BB604_948 Depth=2
	global_load_dword v5, v105, s[16:17]
	s_or_b32 exec_lo, exec_lo, s18
	s_mov_b32 s18, exec_lo
	v_cmpx_gt_u32_e64 s5, v61
	s_cbranch_execnz .LBB604_968
	s_branch .LBB604_969
.LBB604_1020:                           ;   in Loop: Header=BB604_12 Depth=1
	v_mov_b32_e32 v3, 0
	s_waitcnt lgkmcnt(0)
	s_barrier
	buffer_gl0_inv
	s_and_saveexec_b32 s5, s7
	s_cbranch_execz .LBB604_1022
; %bb.1021:                             ;   in Loop: Header=BB604_12 Depth=1
	ds_read2_b64 v[5:8], v64 offset1:1
	s_waitcnt lgkmcnt(0)
	v_add_nc_u32_e32 v3, v6, v5
	v_add3_u32 v3, v3, v7, v8
.LBB604_1022:                           ;   in Loop: Header=BB604_12 Depth=1
	s_or_b32 exec_lo, exec_lo, s5
	v_mov_b32_dpp v5, v3 row_shr:1 row_mask:0xf bank_mask:0xf
	v_cmp_eq_u32_e64 s5, 0, v86
	v_cmp_lt_u32_e64 s15, 1, v86
	v_cmp_lt_u32_e64 s16, 3, v86
	;; [unrolled: 1-line block ×3, first 2 shown]
	v_cmp_eq_u32_e64 s18, 0, v88
	v_cndmask_b32_e64 v5, v5, 0, s5
	v_add_nc_u32_e32 v3, v5, v3
	v_mov_b32_dpp v5, v3 row_shr:2 row_mask:0xf bank_mask:0xf
	v_cndmask_b32_e64 v5, 0, v5, s15
	v_add_nc_u32_e32 v3, v3, v5
	v_mov_b32_dpp v5, v3 row_shr:4 row_mask:0xf bank_mask:0xf
	;; [unrolled: 3-line block ×3, first 2 shown]
	v_cndmask_b32_e64 v5, 0, v5, s17
	v_add_nc_u32_e32 v3, v3, v5
	ds_swizzle_b32 v5, v3 offset:swizzle(BROADCAST,32,15)
	s_waitcnt lgkmcnt(0)
	v_and_b32_e32 v5, v87, v5
	v_add_nc_u32_e32 v3, v3, v5
	s_and_saveexec_b32 s19, s8
; %bb.1023:                             ;   in Loop: Header=BB604_12 Depth=1
	ds_write_b32 v65, v3
; %bb.1024:                             ;   in Loop: Header=BB604_12 Depth=1
	s_or_b32 exec_lo, exec_lo, s19
	s_waitcnt lgkmcnt(0)
	s_barrier
	buffer_gl0_inv
	s_and_saveexec_b32 s19, s9
	s_cbranch_execz .LBB604_1026
; %bb.1025:                             ;   in Loop: Header=BB604_12 Depth=1
	ds_read_b32 v5, v66
	v_cmp_ne_u32_e32 vcc_lo, 0, v89
	s_waitcnt lgkmcnt(0)
	v_mov_b32_dpp v6, v5 row_shr:1 row_mask:0xf bank_mask:0xf
	v_cndmask_b32_e32 v6, 0, v6, vcc_lo
	v_cmp_lt_u32_e32 vcc_lo, 1, v89
	v_add_nc_u32_e32 v5, v6, v5
	v_mov_b32_dpp v6, v5 row_shr:2 row_mask:0xf bank_mask:0xf
	v_cndmask_b32_e32 v6, 0, v6, vcc_lo
	v_add_nc_u32_e32 v5, v5, v6
	ds_write_b32 v66, v5
.LBB604_1026:                           ;   in Loop: Header=BB604_12 Depth=1
	s_or_b32 exec_lo, exec_lo, s19
	v_mov_b32_e32 v5, 0
	s_waitcnt lgkmcnt(0)
	s_barrier
	buffer_gl0_inv
	s_and_saveexec_b32 s19, s10
; %bb.1027:                             ;   in Loop: Header=BB604_12 Depth=1
	ds_read_b32 v5, v67
; %bb.1028:                             ;   in Loop: Header=BB604_12 Depth=1
	s_or_b32 exec_lo, exec_lo, s19
	v_cmp_gt_i32_e32 vcc_lo, 0, v90
	s_waitcnt lgkmcnt(0)
	v_add_nc_u32_e32 v3, v5, v3
	s_barrier
	buffer_gl0_inv
	v_cndmask_b32_e32 v6, v90, v82, vcc_lo
	v_lshlrev_b32_e32 v131, 2, v6
	ds_bpermute_b32 v3, v131, v3
	s_and_saveexec_b32 s19, s7
	s_cbranch_execz .LBB604_1030
; %bb.1029:                             ;   in Loop: Header=BB604_12 Depth=1
	s_waitcnt lgkmcnt(0)
	v_cndmask_b32_e64 v3, v3, v5, s14
	v_add_nc_u32_e32 v3, s58, v3
	ds_write_b32 v43, v3
.LBB604_1030:                           ;   in Loop: Header=BB604_12 Depth=1
	s_or_b32 exec_lo, exec_lo, s19
	s_load_dwordx2 s[20:21], s[56:57], 0x0
	v_add_co_u32 v132, vcc_lo, v80, v106
	v_add_co_ci_u32_e64 v133, null, 0, v81, vcc_lo
	v_add_co_u32 v134, vcc_lo, v83, v125
	v_add_co_ci_u32_e64 v135, null, 0, v84, vcc_lo
	s_mov_b32 s63, s60
	s_mov_b32 s50, s58
                                        ; implicit-def: $vgpr7_vgpr8
                                        ; implicit-def: $vgpr9_vgpr10
                                        ; implicit-def: $vgpr11_vgpr12
                                        ; implicit-def: $vgpr13_vgpr14
                                        ; implicit-def: $vgpr15_vgpr16
                                        ; implicit-def: $vgpr19_vgpr20
                                        ; implicit-def: $vgpr23_vgpr24
                                        ; implicit-def: $vgpr27_vgpr28
                                        ; implicit-def: $vgpr17_vgpr18
                                        ; implicit-def: $vgpr21_vgpr22
                                        ; implicit-def: $vgpr25_vgpr26
                                        ; implicit-def: $vgpr29_vgpr30
                                        ; implicit-def: $vgpr31_vgpr32
                                        ; implicit-def: $vgpr33_vgpr34
                                        ; implicit-def: $vgpr35_vgpr36
                                        ; implicit-def: $vgpr37_vgpr38
                                        ; implicit-def: $vgpr137
                                        ; implicit-def: $vgpr138
                                        ; implicit-def: $vgpr139
                                        ; implicit-def: $vgpr140
                                        ; implicit-def: $vgpr141
                                        ; implicit-def: $vgpr142
                                        ; implicit-def: $vgpr143
                                        ; implicit-def: $vgpr144
                                        ; implicit-def: $vgpr145
                                        ; implicit-def: $vgpr146
                                        ; implicit-def: $vgpr147
                                        ; implicit-def: $vgpr148
                                        ; implicit-def: $vgpr149
                                        ; implicit-def: $vgpr150
                                        ; implicit-def: $vgpr151
                                        ; implicit-def: $vgpr153
                                        ; implicit-def: $vgpr154
                                        ; implicit-def: $vgpr152
                                        ; implicit-def: $vgpr155
	s_waitcnt lgkmcnt(0)
	s_cmp_lt_u32 s28, s21
	s_cselect_b32 s19, 14, 20
	s_add_u32 s22, s56, s19
	s_addc_u32 s23, s57, 0
	s_cmp_lt_u32 s6, s20
	global_load_ushort v3, v4, s[22:23]
	s_cselect_b32 s19, 12, 18
	s_add_u32 s20, s56, s19
	s_addc_u32 s21, s57, 0
	v_cmp_eq_u32_e64 s19, 0, v108
	global_load_ushort v5, v4, s[20:21]
	v_cmp_lt_u32_e64 s20, 1, v108
	v_cmp_lt_u32_e64 s21, 3, v108
	s_waitcnt vmcnt(1)
	v_mad_u32_u24 v3, v2, v3, v1
	s_waitcnt vmcnt(0)
	v_mad_u64_u32 v[5:6], null, v3, v5, v[0:1]
	v_lshrrev_b32_e32 v3, 3, v5
                                        ; implicit-def: $vgpr5_vgpr6
	v_and_b32_e32 v136, 0x1ffffffc, v3
	s_branch .LBB604_1032
.LBB604_1031:                           ;   in Loop: Header=BB604_1032 Depth=2
	s_or_b32 exec_lo, exec_lo, s22
	s_addk_i32 s63, 0xef00
	s_cmp_lt_u32 s64, s59
	s_mov_b32 s50, s64
	s_cbranch_scc0 .LBB604_10
.LBB604_1032:                           ;   Parent Loop BB604_12 Depth=1
                                        ; =>  This Inner Loop Header: Depth=2
	s_add_i32 s64, s50, 0x1100
	s_cmp_gt_u32 s64, s59
	s_cbranch_scc1 .LBB604_1034
; %bb.1033:                             ;   in Loop: Header=BB604_1032 Depth=2
	s_lshl_b64 s[22:23], s[50:51], 2
	v_add_co_u32 v39, vcc_lo, v134, s22
	v_add_co_ci_u32_e64 v40, null, s23, v135, vcc_lo
	s_mov_b32 s22, -1
	s_clause 0xf
	global_load_dword v157, v[39:40], off
	global_load_dword v158, v[39:40], off offset:128
	global_load_dword v161, v[39:40], off offset:256
	;; [unrolled: 1-line block ×15, first 2 shown]
	s_movk_i32 s23, 0x1100
	s_cbranch_execz .LBB604_1035
	s_branch .LBB604_1068
.LBB604_1034:                           ;   in Loop: Header=BB604_1032 Depth=2
	s_mov_b32 s22, 0
                                        ; implicit-def: $vgpr157
                                        ; implicit-def: $vgpr158
                                        ; implicit-def: $vgpr161
                                        ; implicit-def: $vgpr165
                                        ; implicit-def: $vgpr170
                                        ; implicit-def: $vgpr175
                                        ; implicit-def: $vgpr180
                                        ; implicit-def: $vgpr185
                                        ; implicit-def: $vgpr190
                                        ; implicit-def: $vgpr188
                                        ; implicit-def: $vgpr183
                                        ; implicit-def: $vgpr178
                                        ; implicit-def: $vgpr174
                                        ; implicit-def: $vgpr169
                                        ; implicit-def: $vgpr42
                                        ; implicit-def: $vgpr41
	s_movk_i32 s23, 0x1100
.LBB604_1035:                           ;   in Loop: Header=BB604_1032 Depth=2
	s_lshl_b64 s[22:23], s[50:51], 2
	s_waitcnt vmcnt(14)
	v_bfrev_b32_e32 v158, -2
	v_add_co_u32 v39, vcc_lo, v134, s22
	v_add_co_ci_u32_e64 v40, null, s23, v135, vcc_lo
	v_bfrev_b32_e32 v157, -2
	s_mov_b32 s22, exec_lo
	v_cmpx_gt_u32_e64 s63, v109
	s_cbranch_execz .LBB604_1037
; %bb.1036:                             ;   in Loop: Header=BB604_1032 Depth=2
	global_load_dword v157, v[39:40], off
.LBB604_1037:                           ;   in Loop: Header=BB604_1032 Depth=2
	s_or_b32 exec_lo, exec_lo, s22
	s_mov_b32 s22, exec_lo
	v_cmpx_gt_u32_e64 s63, v112
	s_cbranch_execz .LBB604_1039
; %bb.1038:                             ;   in Loop: Header=BB604_1032 Depth=2
	global_load_dword v158, v[39:40], off offset:128
.LBB604_1039:                           ;   in Loop: Header=BB604_1032 Depth=2
	s_or_b32 exec_lo, exec_lo, s22
	s_waitcnt vmcnt(12)
	v_bfrev_b32_e32 v165, -2
	v_bfrev_b32_e32 v161, -2
	s_mov_b32 s22, exec_lo
	v_cmpx_gt_u32_e64 s63, v113
	s_cbranch_execz .LBB604_1041
; %bb.1040:                             ;   in Loop: Header=BB604_1032 Depth=2
	global_load_dword v161, v[39:40], off offset:256
.LBB604_1041:                           ;   in Loop: Header=BB604_1032 Depth=2
	s_or_b32 exec_lo, exec_lo, s22
	s_mov_b32 s22, exec_lo
	v_cmpx_gt_u32_e64 s63, v114
	s_cbranch_execz .LBB604_1043
; %bb.1042:                             ;   in Loop: Header=BB604_1032 Depth=2
	global_load_dword v165, v[39:40], off offset:384
.LBB604_1043:                           ;   in Loop: Header=BB604_1032 Depth=2
	s_or_b32 exec_lo, exec_lo, s22
	s_waitcnt vmcnt(10)
	v_bfrev_b32_e32 v175, -2
	v_bfrev_b32_e32 v170, -2
	s_mov_b32 s22, exec_lo
	v_cmpx_gt_u32_e64 s63, v115
	s_cbranch_execz .LBB604_1045
; %bb.1044:                             ;   in Loop: Header=BB604_1032 Depth=2
	global_load_dword v170, v[39:40], off offset:512
.LBB604_1045:                           ;   in Loop: Header=BB604_1032 Depth=2
	;; [unrolled: 17-line block ×7, first 2 shown]
	s_or_b32 exec_lo, exec_lo, s22
	s_mov_b32 s22, exec_lo
	v_cmpx_gt_u32_e64 s63, v127
	s_cbranch_execz .LBB604_1067
; %bb.1066:                             ;   in Loop: Header=BB604_1032 Depth=2
	global_load_dword v41, v[39:40], off offset:1920
.LBB604_1067:                           ;   in Loop: Header=BB604_1032 Depth=2
	s_or_b32 exec_lo, exec_lo, s22
	v_cmp_gt_u32_e64 s22, s63, v128
	s_sub_i32 s23, s59, s50
.LBB604_1068:                           ;   in Loop: Header=BB604_1032 Depth=2
	v_mov_b32_e32 v3, -1
	v_mov_b32_e32 v156, s63
	s_and_saveexec_b32 s24, s22
	s_cbranch_execz .LBB604_1070
; %bb.1069:                             ;   in Loop: Header=BB604_1032 Depth=2
	s_lshl_b64 s[26:27], s[50:51], 2
	v_mov_b32_e32 v156, s23
	v_add_co_u32 v3, vcc_lo, v134, s26
	v_add_co_ci_u32_e64 v40, null, s27, v135, vcc_lo
	v_add_co_u32 v39, vcc_lo, 0x800, v3
	v_add_co_ci_u32_e64 v40, null, 0, v40, vcc_lo
	global_load_dword v3, v[39:40], off
	s_waitcnt vmcnt(0)
	v_xor_b32_e32 v3, 0x80000000, v3
.LBB604_1070:                           ;   in Loop: Header=BB604_1032 Depth=2
	s_or_b32 exec_lo, exec_lo, s24
	s_waitcnt vmcnt(15)
	v_xor_b32_e32 v157, 0x80000000, v157
	ds_write2_b32 v68, v4, v4 offset0:136 offset1:137
	ds_write2_b32 v68, v4, v4 offset0:138 offset1:139
	ds_write_b32 v68, v4 offset:560
	s_waitcnt vmcnt(0) lgkmcnt(0)
	s_barrier
	v_lshrrev_b32_e32 v39, s41, v157
	buffer_gl0_inv
	; wave barrier
	v_and_b32_e32 v40, s62, v39
	v_and_b32_e32 v39, 1, v40
	v_lshlrev_b32_e32 v159, 30, v40
	v_lshlrev_b32_e32 v160, 29, v40
	;; [unrolled: 1-line block ×4, first 2 shown]
	v_add_co_u32 v39, s22, v39, -1
	v_cndmask_b32_e64 v162, 0, 1, s22
	v_not_b32_e32 v167, v159
	v_cmp_gt_i32_e64 s22, 0, v159
	v_not_b32_e32 v159, v160
	v_lshlrev_b32_e32 v166, 26, v40
	v_cmp_ne_u32_e32 vcc_lo, 0, v162
	v_ashrrev_i32_e32 v167, 31, v167
	v_lshlrev_b32_e32 v162, 25, v40
	v_ashrrev_i32_e32 v159, 31, v159
	v_mul_u32_u24_e32 v40, 36, v40
	v_xor_b32_e32 v39, vcc_lo, v39
	v_cmp_gt_i32_e32 vcc_lo, 0, v160
	v_not_b32_e32 v160, v163
	v_xor_b32_e32 v167, s22, v167
	v_cmp_gt_i32_e64 s22, 0, v163
	v_and_b32_e32 v39, exec_lo, v39
	v_not_b32_e32 v163, v164
	v_ashrrev_i32_e32 v160, 31, v160
	v_xor_b32_e32 v159, vcc_lo, v159
	v_cmp_gt_i32_e32 vcc_lo, 0, v164
	v_and_b32_e32 v39, v39, v167
	v_not_b32_e32 v164, v166
	v_ashrrev_i32_e32 v163, 31, v163
	v_xor_b32_e32 v160, s22, v160
	v_cmp_gt_i32_e64 s22, 0, v166
	v_and_b32_e32 v39, v39, v159
	v_not_b32_e32 v159, v162
	v_ashrrev_i32_e32 v164, 31, v164
	v_xor_b32_e32 v163, vcc_lo, v163
	v_cmp_gt_i32_e32 vcc_lo, 0, v162
	v_and_b32_e32 v39, v39, v160
	v_ashrrev_i32_e32 v159, 31, v159
	v_xor_b32_e32 v160, s22, v164
	v_and_b32_e32 v39, v39, v163
	v_xor_b32_e32 v159, vcc_lo, v159
	v_and_b32_e32 v39, v39, v160
	v_add_nc_u32_e32 v160, v136, v40
	v_and_b32_e32 v39, v39, v159
	v_mbcnt_lo_u32_b32 v159, v39, 0
	v_cmp_ne_u32_e64 s22, 0, v39
	v_cmp_eq_u32_e32 vcc_lo, 0, v159
	s_and_b32 s23, s22, vcc_lo
	s_and_saveexec_b32 s22, s23
; %bb.1071:                             ;   in Loop: Header=BB604_1032 Depth=2
	v_bcnt_u32_b32 v39, v39, 0
	ds_write_b32 v160, v39 offset:544
; %bb.1072:                             ;   in Loop: Header=BB604_1032 Depth=2
	s_or_b32 exec_lo, exec_lo, s22
	v_xor_b32_e32 v158, 0x80000000, v158
	; wave barrier
	v_lshrrev_b32_e32 v39, s41, v158
	v_and_b32_e32 v40, s62, v39
	v_and_b32_e32 v39, 1, v40
	v_lshlrev_b32_e32 v162, 30, v40
	v_lshlrev_b32_e32 v163, 29, v40
	v_lshlrev_b32_e32 v166, 28, v40
	v_lshlrev_b32_e32 v167, 27, v40
	v_add_co_u32 v39, s22, v39, -1
	v_cndmask_b32_e64 v164, 0, 1, s22
	v_not_b32_e32 v171, v162
	v_cmp_gt_i32_e64 s22, 0, v162
	v_not_b32_e32 v162, v163
	v_lshlrev_b32_e32 v168, 26, v40
	v_cmp_ne_u32_e32 vcc_lo, 0, v164
	v_ashrrev_i32_e32 v171, 31, v171
	v_lshlrev_b32_e32 v164, 25, v40
	v_ashrrev_i32_e32 v162, 31, v162
	v_xor_b32_e32 v39, vcc_lo, v39
	v_cmp_gt_i32_e32 vcc_lo, 0, v163
	v_not_b32_e32 v163, v166
	v_xor_b32_e32 v171, s22, v171
	v_cmp_gt_i32_e64 s22, 0, v166
	v_and_b32_e32 v39, exec_lo, v39
	v_not_b32_e32 v166, v167
	v_ashrrev_i32_e32 v163, 31, v163
	v_xor_b32_e32 v162, vcc_lo, v162
	v_cmp_gt_i32_e32 vcc_lo, 0, v167
	v_and_b32_e32 v39, v39, v171
	v_not_b32_e32 v167, v168
	v_ashrrev_i32_e32 v166, 31, v166
	v_xor_b32_e32 v163, s22, v163
	v_cmp_gt_i32_e64 s22, 0, v168
	v_and_b32_e32 v39, v39, v162
	v_not_b32_e32 v162, v164
	v_ashrrev_i32_e32 v167, 31, v167
	v_xor_b32_e32 v166, vcc_lo, v166
	v_cmp_gt_i32_e32 vcc_lo, 0, v164
	v_and_b32_e32 v39, v39, v163
	v_ashrrev_i32_e32 v162, 31, v162
	v_xor_b32_e32 v163, s22, v167
	v_mad_u32_u24 v164, v40, 36, v136
	v_mul_u32_u24_e32 v40, 36, v40
	v_and_b32_e32 v39, v39, v166
	v_xor_b32_e32 v166, vcc_lo, v162
	ds_read_b32 v162, v164 offset:544
	v_add_nc_u32_e32 v164, v136, v40
	v_and_b32_e32 v39, v39, v163
	; wave barrier
	v_and_b32_e32 v39, v39, v166
	v_mbcnt_lo_u32_b32 v163, v39, 0
	v_cmp_ne_u32_e64 s22, 0, v39
	v_cmp_eq_u32_e32 vcc_lo, 0, v163
	s_and_b32 s23, s22, vcc_lo
	s_and_saveexec_b32 s22, s23
	s_cbranch_execz .LBB604_1074
; %bb.1073:                             ;   in Loop: Header=BB604_1032 Depth=2
	s_waitcnt lgkmcnt(0)
	v_bcnt_u32_b32 v39, v39, v162
	ds_write_b32 v164, v39 offset:544
.LBB604_1074:                           ;   in Loop: Header=BB604_1032 Depth=2
	s_or_b32 exec_lo, exec_lo, s22
	v_xor_b32_e32 v161, 0x80000000, v161
	; wave barrier
	v_lshrrev_b32_e32 v39, s41, v161
	v_and_b32_e32 v40, s62, v39
	v_and_b32_e32 v39, 1, v40
	v_lshlrev_b32_e32 v166, 30, v40
	v_lshlrev_b32_e32 v167, 29, v40
	v_lshlrev_b32_e32 v171, 28, v40
	v_lshlrev_b32_e32 v172, 27, v40
	v_add_co_u32 v39, s22, v39, -1
	v_cndmask_b32_e64 v168, 0, 1, s22
	v_not_b32_e32 v176, v166
	v_cmp_gt_i32_e64 s22, 0, v166
	v_not_b32_e32 v166, v167
	v_lshlrev_b32_e32 v173, 26, v40
	v_cmp_ne_u32_e32 vcc_lo, 0, v168
	v_ashrrev_i32_e32 v176, 31, v176
	v_lshlrev_b32_e32 v168, 25, v40
	v_ashrrev_i32_e32 v166, 31, v166
	v_xor_b32_e32 v39, vcc_lo, v39
	v_cmp_gt_i32_e32 vcc_lo, 0, v167
	v_not_b32_e32 v167, v171
	v_xor_b32_e32 v176, s22, v176
	v_cmp_gt_i32_e64 s22, 0, v171
	v_and_b32_e32 v39, exec_lo, v39
	v_not_b32_e32 v171, v172
	v_ashrrev_i32_e32 v167, 31, v167
	v_xor_b32_e32 v166, vcc_lo, v166
	v_cmp_gt_i32_e32 vcc_lo, 0, v172
	v_and_b32_e32 v39, v39, v176
	v_not_b32_e32 v172, v173
	v_ashrrev_i32_e32 v171, 31, v171
	v_xor_b32_e32 v167, s22, v167
	v_cmp_gt_i32_e64 s22, 0, v173
	v_and_b32_e32 v39, v39, v166
	v_not_b32_e32 v166, v168
	v_ashrrev_i32_e32 v172, 31, v172
	v_xor_b32_e32 v171, vcc_lo, v171
	v_cmp_gt_i32_e32 vcc_lo, 0, v168
	v_and_b32_e32 v39, v39, v167
	v_ashrrev_i32_e32 v166, 31, v166
	v_xor_b32_e32 v167, s22, v172
	v_mad_u32_u24 v168, v40, 36, v136
	v_mul_u32_u24_e32 v40, 36, v40
	v_and_b32_e32 v39, v39, v171
	v_xor_b32_e32 v171, vcc_lo, v166
	ds_read_b32 v166, v168 offset:544
	v_add_nc_u32_e32 v168, v136, v40
	v_and_b32_e32 v39, v39, v167
	; wave barrier
	v_and_b32_e32 v39, v39, v171
	v_mbcnt_lo_u32_b32 v167, v39, 0
	v_cmp_ne_u32_e64 s22, 0, v39
	v_cmp_eq_u32_e32 vcc_lo, 0, v167
	s_and_b32 s23, s22, vcc_lo
	s_and_saveexec_b32 s22, s23
	s_cbranch_execz .LBB604_1076
; %bb.1075:                             ;   in Loop: Header=BB604_1032 Depth=2
	s_waitcnt lgkmcnt(0)
	v_bcnt_u32_b32 v39, v39, v166
	ds_write_b32 v168, v39 offset:544
.LBB604_1076:                           ;   in Loop: Header=BB604_1032 Depth=2
	;; [unrolled: 63-line block ×9, first 2 shown]
	s_or_b32 exec_lo, exec_lo, s22
	v_xor_b32_e32 v183, 0x80000000, v183
	; wave barrier
	v_lshrrev_b32_e32 v39, s41, v183
	v_and_b32_e32 v40, s62, v39
	v_and_b32_e32 v39, 1, v40
	v_lshlrev_b32_e32 v200, 30, v40
	v_lshlrev_b32_e32 v201, 29, v40
	;; [unrolled: 1-line block ×4, first 2 shown]
	v_add_co_u32 v39, s22, v39, -1
	v_cndmask_b32_e64 v202, 0, 1, s22
	v_not_b32_e32 v206, v200
	v_cmp_gt_i32_e64 s22, 0, v200
	v_not_b32_e32 v200, v201
	v_lshlrev_b32_e32 v205, 26, v40
	v_cmp_ne_u32_e32 vcc_lo, 0, v202
	v_ashrrev_i32_e32 v206, 31, v206
	v_lshlrev_b32_e32 v202, 25, v40
	v_ashrrev_i32_e32 v200, 31, v200
	v_xor_b32_e32 v39, vcc_lo, v39
	v_cmp_gt_i32_e32 vcc_lo, 0, v201
	v_not_b32_e32 v201, v203
	v_xor_b32_e32 v206, s22, v206
	v_cmp_gt_i32_e64 s22, 0, v203
	v_and_b32_e32 v39, exec_lo, v39
	v_not_b32_e32 v203, v204
	v_ashrrev_i32_e32 v201, 31, v201
	v_xor_b32_e32 v200, vcc_lo, v200
	v_cmp_gt_i32_e32 vcc_lo, 0, v204
	v_and_b32_e32 v39, v39, v206
	v_not_b32_e32 v204, v205
	v_ashrrev_i32_e32 v203, 31, v203
	v_xor_b32_e32 v201, s22, v201
	v_cmp_gt_i32_e64 s22, 0, v205
	v_and_b32_e32 v39, v39, v200
	v_not_b32_e32 v200, v202
	v_ashrrev_i32_e32 v204, 31, v204
	v_xor_b32_e32 v203, vcc_lo, v203
	v_cmp_gt_i32_e32 vcc_lo, 0, v202
	v_and_b32_e32 v39, v39, v201
	v_ashrrev_i32_e32 v200, 31, v200
	v_xor_b32_e32 v201, s22, v204
	v_mad_u32_u24 v202, v40, 36, v136
	v_mul_u32_u24_e32 v40, 36, v40
	v_and_b32_e32 v39, v39, v203
	v_xor_b32_e32 v200, vcc_lo, v200
	v_add_nc_u32_e32 v203, v136, v40
	v_and_b32_e32 v39, v39, v201
	ds_read_b32 v201, v202 offset:544
	; wave barrier
	v_and_b32_e32 v39, v39, v200
	v_mbcnt_lo_u32_b32 v202, v39, 0
	v_cmp_ne_u32_e64 s22, 0, v39
	v_cmp_eq_u32_e32 vcc_lo, 0, v202
	s_and_b32 s23, s22, vcc_lo
	s_and_saveexec_b32 s22, s23
	s_cbranch_execz .LBB604_1092
; %bb.1091:                             ;   in Loop: Header=BB604_1032 Depth=2
	s_waitcnt lgkmcnt(0)
	v_bcnt_u32_b32 v39, v39, v201
	ds_write_b32 v203, v39 offset:544
.LBB604_1092:                           ;   in Loop: Header=BB604_1032 Depth=2
	s_or_b32 exec_lo, exec_lo, s22
	v_xor_b32_e32 v200, 0x80000000, v178
	; wave barrier
	v_lshrrev_b32_e32 v39, s41, v200
	v_and_b32_e32 v40, s62, v39
	v_and_b32_e32 v39, 1, v40
	v_lshlrev_b32_e32 v178, 30, v40
	v_lshlrev_b32_e32 v204, 29, v40
	v_lshlrev_b32_e32 v206, 28, v40
	v_lshlrev_b32_e32 v207, 27, v40
	v_add_co_u32 v39, s22, v39, -1
	v_cndmask_b32_e64 v205, 0, 1, s22
	v_not_b32_e32 v209, v178
	v_cmp_gt_i32_e64 s22, 0, v178
	v_not_b32_e32 v178, v204
	v_lshlrev_b32_e32 v208, 26, v40
	v_cmp_ne_u32_e32 vcc_lo, 0, v205
	v_ashrrev_i32_e32 v209, 31, v209
	v_lshlrev_b32_e32 v205, 25, v40
	v_ashrrev_i32_e32 v178, 31, v178
	v_xor_b32_e32 v39, vcc_lo, v39
	v_cmp_gt_i32_e32 vcc_lo, 0, v204
	v_not_b32_e32 v204, v206
	v_xor_b32_e32 v209, s22, v209
	v_cmp_gt_i32_e64 s22, 0, v206
	v_and_b32_e32 v39, exec_lo, v39
	v_not_b32_e32 v206, v207
	v_ashrrev_i32_e32 v204, 31, v204
	v_xor_b32_e32 v178, vcc_lo, v178
	v_cmp_gt_i32_e32 vcc_lo, 0, v207
	v_and_b32_e32 v39, v39, v209
	v_not_b32_e32 v207, v208
	v_ashrrev_i32_e32 v206, 31, v206
	v_xor_b32_e32 v204, s22, v204
	v_cmp_gt_i32_e64 s22, 0, v208
	v_and_b32_e32 v39, v39, v178
	v_not_b32_e32 v178, v205
	v_ashrrev_i32_e32 v207, 31, v207
	v_xor_b32_e32 v206, vcc_lo, v206
	v_cmp_gt_i32_e32 vcc_lo, 0, v205
	v_and_b32_e32 v39, v39, v204
	v_ashrrev_i32_e32 v178, 31, v178
	v_xor_b32_e32 v204, s22, v207
	v_mad_u32_u24 v205, v40, 36, v136
	v_mul_u32_u24_e32 v40, 36, v40
	v_and_b32_e32 v39, v39, v206
	v_xor_b32_e32 v178, vcc_lo, v178
	ds_read_b32 v205, v205 offset:544
	v_and_b32_e32 v39, v39, v204
	; wave barrier
	v_and_b32_e32 v39, v39, v178
	v_add_nc_u32_e32 v178, v136, v40
	v_mbcnt_lo_u32_b32 v206, v39, 0
	v_cmp_ne_u32_e64 s22, 0, v39
	v_cmp_eq_u32_e32 vcc_lo, 0, v206
	s_and_b32 s23, s22, vcc_lo
	s_and_saveexec_b32 s22, s23
	s_cbranch_execz .LBB604_1094
; %bb.1093:                             ;   in Loop: Header=BB604_1032 Depth=2
	s_waitcnt lgkmcnt(0)
	v_bcnt_u32_b32 v39, v39, v205
	ds_write_b32 v178, v39 offset:544
.LBB604_1094:                           ;   in Loop: Header=BB604_1032 Depth=2
	s_or_b32 exec_lo, exec_lo, s22
	v_xor_b32_e32 v204, 0x80000000, v174
	; wave barrier
	v_lshrrev_b32_e32 v39, s41, v204
	v_and_b32_e32 v40, s62, v39
	v_and_b32_e32 v39, 1, v40
	v_lshlrev_b32_e32 v174, 30, v40
	v_lshlrev_b32_e32 v207, 29, v40
	v_lshlrev_b32_e32 v209, 28, v40
	v_lshlrev_b32_e32 v210, 27, v40
	v_add_co_u32 v39, s22, v39, -1
	v_cndmask_b32_e64 v208, 0, 1, s22
	v_not_b32_e32 v212, v174
	v_cmp_gt_i32_e64 s22, 0, v174
	v_not_b32_e32 v174, v207
	v_lshlrev_b32_e32 v211, 26, v40
	v_cmp_ne_u32_e32 vcc_lo, 0, v208
	v_ashrrev_i32_e32 v212, 31, v212
	v_lshlrev_b32_e32 v208, 25, v40
	v_ashrrev_i32_e32 v174, 31, v174
	v_xor_b32_e32 v39, vcc_lo, v39
	v_cmp_gt_i32_e32 vcc_lo, 0, v207
	v_not_b32_e32 v207, v209
	v_xor_b32_e32 v212, s22, v212
	v_cmp_gt_i32_e64 s22, 0, v209
	v_and_b32_e32 v39, exec_lo, v39
	v_not_b32_e32 v209, v210
	v_ashrrev_i32_e32 v207, 31, v207
	v_xor_b32_e32 v174, vcc_lo, v174
	v_cmp_gt_i32_e32 vcc_lo, 0, v210
	v_and_b32_e32 v39, v39, v212
	v_not_b32_e32 v210, v211
	v_ashrrev_i32_e32 v209, 31, v209
	v_xor_b32_e32 v207, s22, v207
	v_cmp_gt_i32_e64 s22, 0, v211
	v_and_b32_e32 v39, v39, v174
	v_not_b32_e32 v174, v208
	v_ashrrev_i32_e32 v210, 31, v210
	v_xor_b32_e32 v209, vcc_lo, v209
	v_cmp_gt_i32_e32 vcc_lo, 0, v208
	v_and_b32_e32 v39, v39, v207
	v_ashrrev_i32_e32 v174, 31, v174
	v_xor_b32_e32 v207, s22, v210
	v_mad_u32_u24 v208, v40, 36, v136
	v_mul_u32_u24_e32 v40, 36, v40
	v_and_b32_e32 v39, v39, v209
	v_xor_b32_e32 v174, vcc_lo, v174
	ds_read_b32 v208, v208 offset:544
	v_and_b32_e32 v39, v39, v207
	; wave barrier
	v_and_b32_e32 v39, v39, v174
	v_add_nc_u32_e32 v174, v136, v40
	;; [unrolled: 63-line block ×3, first 2 shown]
	v_mbcnt_lo_u32_b32 v212, v39, 0
	v_cmp_ne_u32_e64 s22, 0, v39
	v_cmp_eq_u32_e32 vcc_lo, 0, v212
	s_and_b32 s23, s22, vcc_lo
	s_and_saveexec_b32 s22, s23
	s_cbranch_execz .LBB604_1098
; %bb.1097:                             ;   in Loop: Header=BB604_1032 Depth=2
	s_waitcnt lgkmcnt(0)
	v_bcnt_u32_b32 v39, v39, v211
	ds_write_b32 v169, v39 offset:544
.LBB604_1098:                           ;   in Loop: Header=BB604_1032 Depth=2
	s_or_b32 exec_lo, exec_lo, s22
	v_xor_b32_e32 v210, 0x80000000, v42
	; wave barrier
	v_lshrrev_b32_e32 v39, s41, v210
	v_and_b32_e32 v40, s62, v39
	v_and_b32_e32 v39, 1, v40
	v_lshlrev_b32_e32 v42, 30, v40
	v_lshlrev_b32_e32 v213, 29, v40
	v_lshlrev_b32_e32 v215, 28, v40
	v_lshlrev_b32_e32 v216, 27, v40
	v_add_co_u32 v39, s22, v39, -1
	v_cndmask_b32_e64 v214, 0, 1, s22
	v_not_b32_e32 v218, v42
	v_cmp_gt_i32_e64 s22, 0, v42
	v_not_b32_e32 v42, v213
	v_lshlrev_b32_e32 v217, 26, v40
	v_cmp_ne_u32_e32 vcc_lo, 0, v214
	v_ashrrev_i32_e32 v218, 31, v218
	v_lshlrev_b32_e32 v214, 25, v40
	v_ashrrev_i32_e32 v42, 31, v42
	v_xor_b32_e32 v39, vcc_lo, v39
	v_cmp_gt_i32_e32 vcc_lo, 0, v213
	v_not_b32_e32 v213, v215
	v_xor_b32_e32 v218, s22, v218
	v_cmp_gt_i32_e64 s22, 0, v215
	v_and_b32_e32 v39, exec_lo, v39
	v_not_b32_e32 v215, v216
	v_ashrrev_i32_e32 v213, 31, v213
	v_xor_b32_e32 v42, vcc_lo, v42
	v_cmp_gt_i32_e32 vcc_lo, 0, v216
	v_and_b32_e32 v39, v39, v218
	v_not_b32_e32 v216, v217
	v_ashrrev_i32_e32 v215, 31, v215
	v_xor_b32_e32 v213, s22, v213
	v_cmp_gt_i32_e64 s22, 0, v217
	v_and_b32_e32 v39, v39, v42
	v_not_b32_e32 v42, v214
	v_ashrrev_i32_e32 v216, 31, v216
	v_xor_b32_e32 v215, vcc_lo, v215
	v_cmp_gt_i32_e32 vcc_lo, 0, v214
	v_and_b32_e32 v39, v39, v213
	v_ashrrev_i32_e32 v42, 31, v42
	v_xor_b32_e32 v213, s22, v216
	v_mad_u32_u24 v214, v40, 36, v136
	v_mul_u32_u24_e32 v40, 36, v40
	v_and_b32_e32 v39, v39, v215
	v_xor_b32_e32 v42, vcc_lo, v42
	ds_read_b32 v214, v214 offset:544
	v_add_nc_u32_e32 v216, v136, v40
	v_and_b32_e32 v39, v39, v213
	; wave barrier
	v_and_b32_e32 v39, v39, v42
	v_mbcnt_lo_u32_b32 v215, v39, 0
	v_cmp_ne_u32_e64 s22, 0, v39
	v_cmp_eq_u32_e32 vcc_lo, 0, v215
	s_and_b32 s23, s22, vcc_lo
	s_and_saveexec_b32 s22, s23
	s_cbranch_execz .LBB604_1100
; %bb.1099:                             ;   in Loop: Header=BB604_1032 Depth=2
	s_waitcnt lgkmcnt(0)
	v_bcnt_u32_b32 v39, v39, v214
	ds_write_b32 v216, v39 offset:544
.LBB604_1100:                           ;   in Loop: Header=BB604_1032 Depth=2
	s_or_b32 exec_lo, exec_lo, s22
	v_xor_b32_e32 v213, 0x80000000, v41
	; wave barrier
	v_lshrrev_b32_e32 v39, s41, v213
	v_and_b32_e32 v40, s62, v39
	v_and_b32_e32 v39, 1, v40
	v_lshlrev_b32_e32 v41, 30, v40
	v_lshlrev_b32_e32 v42, 29, v40
	;; [unrolled: 1-line block ×4, first 2 shown]
	v_add_co_u32 v39, s22, v39, -1
	v_cndmask_b32_e64 v217, 0, 1, s22
	v_not_b32_e32 v221, v41
	v_cmp_gt_i32_e64 s22, 0, v41
	v_not_b32_e32 v41, v42
	v_lshlrev_b32_e32 v220, 26, v40
	v_cmp_ne_u32_e32 vcc_lo, 0, v217
	v_ashrrev_i32_e32 v221, 31, v221
	v_lshlrev_b32_e32 v217, 25, v40
	v_ashrrev_i32_e32 v41, 31, v41
	v_xor_b32_e32 v39, vcc_lo, v39
	v_cmp_gt_i32_e32 vcc_lo, 0, v42
	v_not_b32_e32 v42, v218
	v_xor_b32_e32 v221, s22, v221
	v_cmp_gt_i32_e64 s22, 0, v218
	v_and_b32_e32 v39, exec_lo, v39
	v_not_b32_e32 v218, v219
	v_ashrrev_i32_e32 v42, 31, v42
	v_xor_b32_e32 v41, vcc_lo, v41
	v_cmp_gt_i32_e32 vcc_lo, 0, v219
	v_and_b32_e32 v39, v39, v221
	v_not_b32_e32 v219, v220
	v_ashrrev_i32_e32 v218, 31, v218
	v_xor_b32_e32 v42, s22, v42
	v_cmp_gt_i32_e64 s22, 0, v220
	v_and_b32_e32 v39, v39, v41
	v_not_b32_e32 v41, v217
	v_ashrrev_i32_e32 v219, 31, v219
	v_xor_b32_e32 v218, vcc_lo, v218
	v_cmp_gt_i32_e32 vcc_lo, 0, v217
	v_and_b32_e32 v39, v39, v42
	v_ashrrev_i32_e32 v41, 31, v41
	v_xor_b32_e32 v42, s22, v219
	v_mad_u32_u24 v217, v40, 36, v136
	v_mul_u32_u24_e32 v40, 36, v40
	v_and_b32_e32 v39, v39, v218
	v_xor_b32_e32 v41, vcc_lo, v41
	ds_read_b32 v217, v217 offset:544
	v_add_nc_u32_e32 v219, v136, v40
	v_and_b32_e32 v39, v39, v42
	; wave barrier
	v_and_b32_e32 v39, v39, v41
	v_mbcnt_lo_u32_b32 v218, v39, 0
	v_cmp_ne_u32_e64 s22, 0, v39
	v_cmp_eq_u32_e32 vcc_lo, 0, v218
	s_and_b32 s23, s22, vcc_lo
	s_and_saveexec_b32 s22, s23
	s_cbranch_execz .LBB604_1102
; %bb.1101:                             ;   in Loop: Header=BB604_1032 Depth=2
	s_waitcnt lgkmcnt(0)
	v_bcnt_u32_b32 v39, v39, v217
	ds_write_b32 v219, v39 offset:544
.LBB604_1102:                           ;   in Loop: Header=BB604_1032 Depth=2
	s_or_b32 exec_lo, exec_lo, s22
	v_lshrrev_b32_e32 v39, s41, v3
	; wave barrier
	v_and_b32_e32 v40, s62, v39
	v_and_b32_e32 v39, 1, v40
	v_lshlrev_b32_e32 v41, 30, v40
	v_lshlrev_b32_e32 v42, 29, v40
	;; [unrolled: 1-line block ×4, first 2 shown]
	v_add_co_u32 v39, s22, v39, -1
	v_cndmask_b32_e64 v220, 0, 1, s22
	v_not_b32_e32 v224, v41
	v_cmp_gt_i32_e64 s22, 0, v41
	v_not_b32_e32 v41, v42
	v_lshlrev_b32_e32 v223, 26, v40
	v_cmp_ne_u32_e32 vcc_lo, 0, v220
	v_ashrrev_i32_e32 v224, 31, v224
	v_lshlrev_b32_e32 v220, 25, v40
	v_ashrrev_i32_e32 v41, 31, v41
	v_xor_b32_e32 v39, vcc_lo, v39
	v_cmp_gt_i32_e32 vcc_lo, 0, v42
	v_not_b32_e32 v42, v221
	v_xor_b32_e32 v224, s22, v224
	v_cmp_gt_i32_e64 s22, 0, v221
	v_and_b32_e32 v39, exec_lo, v39
	v_not_b32_e32 v221, v222
	v_ashrrev_i32_e32 v42, 31, v42
	v_xor_b32_e32 v41, vcc_lo, v41
	v_cmp_gt_i32_e32 vcc_lo, 0, v222
	v_and_b32_e32 v39, v39, v224
	v_not_b32_e32 v222, v223
	v_ashrrev_i32_e32 v221, 31, v221
	v_xor_b32_e32 v42, s22, v42
	v_cmp_gt_i32_e64 s22, 0, v223
	v_and_b32_e32 v39, v39, v41
	v_not_b32_e32 v41, v220
	v_ashrrev_i32_e32 v222, 31, v222
	v_xor_b32_e32 v221, vcc_lo, v221
	v_cmp_gt_i32_e32 vcc_lo, 0, v220
	v_and_b32_e32 v39, v39, v42
	v_ashrrev_i32_e32 v41, 31, v41
	v_xor_b32_e32 v42, s22, v222
	v_mad_u32_u24 v220, v40, 36, v136
	v_mul_u32_u24_e32 v40, 36, v40
	v_and_b32_e32 v39, v39, v221
	v_xor_b32_e32 v41, vcc_lo, v41
	ds_read_b32 v220, v220 offset:544
	v_add_nc_u32_e32 v222, v136, v40
	v_and_b32_e32 v39, v39, v42
	; wave barrier
	v_and_b32_e32 v39, v39, v41
	v_mbcnt_lo_u32_b32 v221, v39, 0
	v_cmp_ne_u32_e64 s22, 0, v39
	v_cmp_eq_u32_e32 vcc_lo, 0, v221
	s_and_b32 s23, s22, vcc_lo
	s_and_saveexec_b32 s22, s23
	s_cbranch_execz .LBB604_1104
; %bb.1103:                             ;   in Loop: Header=BB604_1032 Depth=2
	s_waitcnt lgkmcnt(0)
	v_bcnt_u32_b32 v39, v39, v220
	ds_write_b32 v222, v39 offset:544
.LBB604_1104:                           ;   in Loop: Header=BB604_1032 Depth=2
	s_or_b32 exec_lo, exec_lo, s22
	; wave barrier
	s_waitcnt lgkmcnt(0)
	s_barrier
	buffer_gl0_inv
	ds_read2_b32 v[41:42], v68 offset0:136 offset1:137
	ds_read2_b32 v[39:40], v68 offset0:138 offset1:139
	ds_read_b32 v223, v68 offset:560
	s_waitcnt lgkmcnt(1)
	v_add3_u32 v224, v42, v41, v39
	s_waitcnt lgkmcnt(0)
	v_add3_u32 v223, v224, v40, v223
	v_mov_b32_dpp v224, v223 row_shr:1 row_mask:0xf bank_mask:0xf
	v_cndmask_b32_e64 v224, v224, 0, s5
	v_add_nc_u32_e32 v223, v224, v223
	v_mov_b32_dpp v224, v223 row_shr:2 row_mask:0xf bank_mask:0xf
	v_cndmask_b32_e64 v224, 0, v224, s15
	v_add_nc_u32_e32 v223, v223, v224
	;; [unrolled: 3-line block ×4, first 2 shown]
	ds_swizzle_b32 v224, v223 offset:swizzle(BROADCAST,32,15)
	s_waitcnt lgkmcnt(0)
	v_cndmask_b32_e64 v224, v224, 0, s18
	v_add_nc_u32_e32 v223, v223, v224
	s_and_saveexec_b32 s22, s4
; %bb.1105:                             ;   in Loop: Header=BB604_1032 Depth=2
	ds_write_b32 v62, v223 offset:512
; %bb.1106:                             ;   in Loop: Header=BB604_1032 Depth=2
	s_or_b32 exec_lo, exec_lo, s22
	s_waitcnt lgkmcnt(0)
	s_barrier
	buffer_gl0_inv
	s_and_saveexec_b32 s22, s11
	s_cbranch_execz .LBB604_1108
; %bb.1107:                             ;   in Loop: Header=BB604_1032 Depth=2
	ds_read_b32 v224, v69 offset:512
	s_waitcnt lgkmcnt(0)
	v_mov_b32_dpp v225, v224 row_shr:1 row_mask:0xf bank_mask:0xf
	v_cndmask_b32_e64 v225, v225, 0, s19
	v_add_nc_u32_e32 v224, v225, v224
	v_mov_b32_dpp v225, v224 row_shr:2 row_mask:0xf bank_mask:0xf
	v_cndmask_b32_e64 v225, 0, v225, s20
	v_add_nc_u32_e32 v224, v224, v225
	;; [unrolled: 3-line block ×3, first 2 shown]
	ds_write_b32 v69, v224 offset:512
.LBB604_1108:                           ;   in Loop: Header=BB604_1032 Depth=2
	s_or_b32 exec_lo, exec_lo, s22
	v_mov_b32_e32 v224, 0
	s_waitcnt lgkmcnt(0)
	s_barrier
	buffer_gl0_inv
	s_and_saveexec_b32 s22, s10
; %bb.1109:                             ;   in Loop: Header=BB604_1032 Depth=2
	ds_read_b32 v224, v62 offset:508
; %bb.1110:                             ;   in Loop: Header=BB604_1032 Depth=2
	s_or_b32 exec_lo, exec_lo, s22
	s_waitcnt lgkmcnt(0)
	v_add_nc_u32_e32 v223, v224, v223
	ds_bpermute_b32 v223, v131, v223
	s_waitcnt lgkmcnt(0)
	v_cndmask_b32_e64 v223, v223, v224, s14
	v_cndmask_b32_e64 v223, v223, 0, s12
	v_add_nc_u32_e32 v41, v223, v41
	v_add_nc_u32_e32 v42, v41, v42
	;; [unrolled: 1-line block ×4, first 2 shown]
	ds_write2_b32 v68, v223, v41 offset0:136 offset1:137
	ds_write2_b32 v68, v42, v39 offset0:138 offset1:139
	ds_write_b32 v68, v40 offset:560
	s_waitcnt lgkmcnt(0)
	s_barrier
	buffer_gl0_inv
	ds_read_b32 v41, v160 offset:544
	ds_read_b32 v42, v164 offset:544
	;; [unrolled: 1-line block ×17, first 2 shown]
	s_and_saveexec_b32 s22, s7
	s_cbranch_execz .LBB604_1114
; %bb.1111:                             ;   in Loop: Header=BB604_1032 Depth=2
	ds_read_b32 v152, v71 offset:544
	v_mov_b32_e32 v155, 0x1100
	s_and_saveexec_b32 s23, s13
; %bb.1112:                             ;   in Loop: Header=BB604_1032 Depth=2
	ds_read_b32 v155, v70 offset:544
; %bb.1113:                             ;   in Loop: Header=BB604_1032 Depth=2
	s_or_b32 exec_lo, exec_lo, s23
	s_waitcnt lgkmcnt(0)
	v_sub_nc_u32_e32 v155, v155, v152
.LBB604_1114:                           ;   in Loop: Header=BB604_1032 Depth=2
	s_or_b32 exec_lo, exec_lo, s22
	s_waitcnt lgkmcnt(0)
	s_barrier
	buffer_gl0_inv
	s_and_saveexec_b32 s22, s7
	s_cbranch_execz .LBB604_1116
; %bb.1115:                             ;   in Loop: Header=BB604_1032 Depth=2
	ds_read_b32 v169, v43
	s_waitcnt lgkmcnt(0)
	v_sub_nc_u32_e32 v169, v169, v152
	ds_write_b32 v43, v169
.LBB604_1116:                           ;   in Loop: Header=BB604_1032 Depth=2
	s_or_b32 exec_lo, exec_lo, s22
	v_add_nc_u32_e32 v179, v41, v159
	v_add3_u32 v178, v163, v162, v42
	v_add3_u32 v174, v167, v166, v164
	;; [unrolled: 1-line block ×5, first 2 shown]
	v_lshlrev_b32_e32 v176, 2, v179
	v_lshlrev_b32_e32 v177, 2, v178
	v_add3_u32 v162, v218, v217, v39
	v_lshlrev_b32_e32 v39, 2, v174
	v_add3_u32 v171, v182, v181, v184
	v_add3_u32 v168, v192, v191, v193
	;; [unrolled: 1-line block ×4, first 2 shown]
	ds_write_b32 v176, v157 offset:512
	ds_write_b32 v177, v158 offset:512
	v_lshlrev_b32_e32 v40, 2, v173
	ds_write_b32 v39, v161 offset:512
	v_lshlrev_b32_e32 v39, 2, v169
	v_add3_u32 v166, v198, v197, v199
	v_lshlrev_b32_e32 v157, 2, v172
	v_add3_u32 v164, v202, v201, v203
	v_lshlrev_b32_e32 v158, 2, v171
	v_add3_u32 v163, v206, v205, v224
	v_add3_u32 v42, v209, v208, v225
	ds_write_b32 v40, v165 offset:512
	ds_write_b32 v157, v170 offset:512
	;; [unrolled: 1-line block ×3, first 2 shown]
	v_lshlrev_b32_e32 v40, 2, v168
	ds_write_b32 v39, v180 offset:512
	v_lshlrev_b32_e32 v39, 2, v167
	v_lshlrev_b32_e32 v157, 2, v166
	;; [unrolled: 1-line block ×3, first 2 shown]
	v_add3_u32 v41, v212, v211, v226
	ds_write_b32 v40, v185 offset:512
	v_lshlrev_b32_e32 v40, 2, v163
	ds_write_b32 v39, v190 offset:512
	ds_write_b32 v157, v188 offset:512
	;; [unrolled: 1-line block ×3, first 2 shown]
	v_lshlrev_b32_e32 v39, 2, v42
	v_add3_u32 v160, v215, v214, v160
	v_cmp_lt_u32_e32 vcc_lo, v0, v156
	ds_write_b32 v40, v200 offset:512
	v_lshlrev_b32_e32 v40, 2, v41
	ds_write_b32 v39, v204 offset:512
	v_lshlrev_b32_e32 v39, 2, v159
	v_lshlrev_b32_e32 v157, 2, v160
	;; [unrolled: 1-line block ×3, first 2 shown]
	ds_write_b32 v40, v207 offset:512
	ds_write_b32 v157, v210 offset:512
	;; [unrolled: 1-line block ×4, first 2 shown]
	s_waitcnt lgkmcnt(0)
	s_barrier
	buffer_gl0_inv
	s_and_saveexec_b32 s23, vcc_lo
	s_cbranch_execnz .LBB604_1189
; %bb.1117:                             ;   in Loop: Header=BB604_1032 Depth=2
	s_or_b32 exec_lo, exec_lo, s23
	v_cmp_lt_u32_e64 s22, v44, v156
	s_and_saveexec_b32 s24, s22
	s_cbranch_execnz .LBB604_1190
.LBB604_1118:                           ;   in Loop: Header=BB604_1032 Depth=2
	s_or_b32 exec_lo, exec_lo, s24
	v_cmp_lt_u32_e64 s23, v47, v156
	s_and_saveexec_b32 s25, s23
	s_cbranch_execnz .LBB604_1191
.LBB604_1119:                           ;   in Loop: Header=BB604_1032 Depth=2
	s_or_b32 exec_lo, exec_lo, s25
	v_cmp_lt_u32_e64 s24, v48, v156
	s_and_saveexec_b32 s26, s24
	s_cbranch_execnz .LBB604_1192
.LBB604_1120:                           ;   in Loop: Header=BB604_1032 Depth=2
	s_or_b32 exec_lo, exec_lo, s26
	v_cmp_lt_u32_e64 s25, v49, v156
	s_and_saveexec_b32 s27, s25
	s_cbranch_execnz .LBB604_1193
.LBB604_1121:                           ;   in Loop: Header=BB604_1032 Depth=2
	s_or_b32 exec_lo, exec_lo, s27
	v_cmp_lt_u32_e64 s26, v50, v156
	s_and_saveexec_b32 s29, s26
	s_cbranch_execnz .LBB604_1194
.LBB604_1122:                           ;   in Loop: Header=BB604_1032 Depth=2
	s_or_b32 exec_lo, exec_lo, s29
	v_cmp_lt_u32_e64 s27, v51, v156
	s_and_saveexec_b32 s30, s27
	s_cbranch_execnz .LBB604_1195
.LBB604_1123:                           ;   in Loop: Header=BB604_1032 Depth=2
	s_or_b32 exec_lo, exec_lo, s30
	v_cmp_lt_u32_e64 s29, v52, v156
	s_and_saveexec_b32 s31, s29
	s_cbranch_execnz .LBB604_1196
.LBB604_1124:                           ;   in Loop: Header=BB604_1032 Depth=2
	s_or_b32 exec_lo, exec_lo, s31
	v_cmp_lt_u32_e64 s30, v53, v156
	s_and_saveexec_b32 s33, s30
	s_cbranch_execnz .LBB604_1197
.LBB604_1125:                           ;   in Loop: Header=BB604_1032 Depth=2
	s_or_b32 exec_lo, exec_lo, s33
	v_cmp_lt_u32_e64 s31, v54, v156
	s_and_saveexec_b32 s34, s31
	s_cbranch_execnz .LBB604_1198
.LBB604_1126:                           ;   in Loop: Header=BB604_1032 Depth=2
	s_or_b32 exec_lo, exec_lo, s34
	v_cmp_lt_u32_e64 s33, v55, v156
	s_and_saveexec_b32 s35, s33
	s_cbranch_execnz .LBB604_1199
.LBB604_1127:                           ;   in Loop: Header=BB604_1032 Depth=2
	s_or_b32 exec_lo, exec_lo, s35
	v_cmp_lt_u32_e64 s34, v56, v156
	s_and_saveexec_b32 s36, s34
	s_cbranch_execnz .LBB604_1200
.LBB604_1128:                           ;   in Loop: Header=BB604_1032 Depth=2
	s_or_b32 exec_lo, exec_lo, s36
	v_cmp_lt_u32_e64 s35, v57, v156
	s_and_saveexec_b32 s37, s35
	s_cbranch_execnz .LBB604_1201
.LBB604_1129:                           ;   in Loop: Header=BB604_1032 Depth=2
	s_or_b32 exec_lo, exec_lo, s37
	v_cmp_lt_u32_e64 s36, v58, v156
	s_and_saveexec_b32 s38, s36
	s_cbranch_execnz .LBB604_1202
.LBB604_1130:                           ;   in Loop: Header=BB604_1032 Depth=2
	s_or_b32 exec_lo, exec_lo, s38
	v_cmp_lt_u32_e64 s37, v59, v156
	s_and_saveexec_b32 s39, s37
	s_cbranch_execnz .LBB604_1203
.LBB604_1131:                           ;   in Loop: Header=BB604_1032 Depth=2
	s_or_b32 exec_lo, exec_lo, s39
	v_cmp_lt_u32_e64 s38, v60, v156
	s_and_saveexec_b32 s40, s38
	s_cbranch_execnz .LBB604_1204
.LBB604_1132:                           ;   in Loop: Header=BB604_1032 Depth=2
	s_or_b32 exec_lo, exec_lo, s40
	v_cmp_lt_u32_e64 s39, v61, v156
	s_and_saveexec_b32 s65, s39
	s_cbranch_execz .LBB604_1134
.LBB604_1133:                           ;   in Loop: Header=BB604_1032 Depth=2
	ds_read_b32 v157, v69 offset:16896
	s_waitcnt lgkmcnt(0)
	v_lshrrev_b32_e32 v3, s41, v157
	v_and_b32_e32 v3, s62, v3
	v_lshlrev_b32_e32 v3, 2, v3
	ds_read_b32 v3, v3
	s_waitcnt lgkmcnt(0)
	v_add_nc_u32_e32 v3, v3, v61
	v_lshlrev_b64 v[39:40], 2, v[3:4]
	v_xor_b32_e32 v3, 0x80000000, v157
	v_add_co_u32 v39, s40, s48, v39
	v_add_co_ci_u32_e64 v40, null, s49, v40, s40
	global_store_dword v[39:40], v3, off
.LBB604_1134:                           ;   in Loop: Header=BB604_1032 Depth=2
	s_or_b32 exec_lo, exec_lo, s65
	s_lshl_b64 s[66:67], s[50:51], 3
	v_add_co_u32 v39, s40, v132, s66
	v_add_co_ci_u32_e64 v40, null, s67, v133, s40
	v_cmp_lt_u32_e64 s40, v109, v156
	s_and_saveexec_b32 s50, s40
	s_xor_b32 s40, exec_lo, s50
	s_cbranch_execnz .LBB604_1205
; %bb.1135:                             ;   in Loop: Header=BB604_1032 Depth=2
	s_or_b32 exec_lo, exec_lo, s40
	s_mov_b32 s50, exec_lo
	v_cmpx_lt_u32_e64 v112, v156
	s_cbranch_execnz .LBB604_1206
.LBB604_1136:                           ;   in Loop: Header=BB604_1032 Depth=2
	s_or_b32 exec_lo, exec_lo, s50
	s_mov_b32 s50, exec_lo
	v_cmpx_lt_u32_e64 v113, v156
	s_cbranch_execnz .LBB604_1207
.LBB604_1137:                           ;   in Loop: Header=BB604_1032 Depth=2
	s_or_b32 exec_lo, exec_lo, s50
	s_mov_b32 s50, exec_lo
	v_cmpx_lt_u32_e64 v114, v156
	s_cbranch_execnz .LBB604_1208
.LBB604_1138:                           ;   in Loop: Header=BB604_1032 Depth=2
	s_or_b32 exec_lo, exec_lo, s50
	s_mov_b32 s50, exec_lo
	v_cmpx_lt_u32_e64 v115, v156
	s_cbranch_execnz .LBB604_1209
.LBB604_1139:                           ;   in Loop: Header=BB604_1032 Depth=2
	s_or_b32 exec_lo, exec_lo, s50
	s_mov_b32 s50, exec_lo
	v_cmpx_lt_u32_e64 v116, v156
	s_cbranch_execnz .LBB604_1210
.LBB604_1140:                           ;   in Loop: Header=BB604_1032 Depth=2
	s_or_b32 exec_lo, exec_lo, s50
	s_mov_b32 s50, exec_lo
	v_cmpx_lt_u32_e64 v117, v156
	s_cbranch_execnz .LBB604_1211
.LBB604_1141:                           ;   in Loop: Header=BB604_1032 Depth=2
	s_or_b32 exec_lo, exec_lo, s50
	s_mov_b32 s50, exec_lo
	v_cmpx_lt_u32_e64 v118, v156
	s_cbranch_execnz .LBB604_1212
.LBB604_1142:                           ;   in Loop: Header=BB604_1032 Depth=2
	s_or_b32 exec_lo, exec_lo, s50
	s_mov_b32 s50, exec_lo
	v_cmpx_lt_u32_e64 v119, v156
	s_cbranch_execnz .LBB604_1213
.LBB604_1143:                           ;   in Loop: Header=BB604_1032 Depth=2
	s_or_b32 exec_lo, exec_lo, s50
	s_mov_b32 s50, exec_lo
	v_cmpx_lt_u32_e64 v120, v156
	s_cbranch_execnz .LBB604_1214
.LBB604_1144:                           ;   in Loop: Header=BB604_1032 Depth=2
	s_or_b32 exec_lo, exec_lo, s50
	s_mov_b32 s50, exec_lo
	v_cmpx_lt_u32_e64 v121, v156
	s_cbranch_execnz .LBB604_1215
.LBB604_1145:                           ;   in Loop: Header=BB604_1032 Depth=2
	s_or_b32 exec_lo, exec_lo, s50
	s_mov_b32 s50, exec_lo
	v_cmpx_lt_u32_e64 v122, v156
	s_cbranch_execnz .LBB604_1216
.LBB604_1146:                           ;   in Loop: Header=BB604_1032 Depth=2
	s_or_b32 exec_lo, exec_lo, s50
	s_mov_b32 s50, exec_lo
	v_cmpx_lt_u32_e64 v123, v156
	s_cbranch_execnz .LBB604_1217
.LBB604_1147:                           ;   in Loop: Header=BB604_1032 Depth=2
	s_or_b32 exec_lo, exec_lo, s50
	s_mov_b32 s50, exec_lo
	v_cmpx_lt_u32_e64 v124, v156
	s_cbranch_execnz .LBB604_1218
.LBB604_1148:                           ;   in Loop: Header=BB604_1032 Depth=2
	s_or_b32 exec_lo, exec_lo, s50
	s_mov_b32 s50, exec_lo
	v_cmpx_lt_u32_e64 v126, v156
	s_cbranch_execnz .LBB604_1219
.LBB604_1149:                           ;   in Loop: Header=BB604_1032 Depth=2
	s_or_b32 exec_lo, exec_lo, s50
	s_mov_b32 s50, exec_lo
	v_cmpx_lt_u32_e64 v127, v156
	s_cbranch_execnz .LBB604_1220
.LBB604_1150:                           ;   in Loop: Header=BB604_1032 Depth=2
	s_or_b32 exec_lo, exec_lo, s50
	s_mov_b32 s50, exec_lo
	v_cmpx_lt_u32_e64 v128, v156
	s_cbranch_execnz .LBB604_1221
.LBB604_1151:                           ;   in Loop: Header=BB604_1032 Depth=2
	s_or_b32 exec_lo, exec_lo, s50
	s_and_saveexec_b32 s40, vcc_lo
	s_cbranch_execnz .LBB604_1222
.LBB604_1152:                           ;   in Loop: Header=BB604_1032 Depth=2
	s_or_b32 exec_lo, exec_lo, s40
	s_and_saveexec_b32 s40, s22
	s_cbranch_execnz .LBB604_1223
.LBB604_1153:                           ;   in Loop: Header=BB604_1032 Depth=2
	s_or_b32 exec_lo, exec_lo, s40
	s_and_saveexec_b32 s40, s23
	s_cbranch_execnz .LBB604_1224
.LBB604_1154:                           ;   in Loop: Header=BB604_1032 Depth=2
	s_or_b32 exec_lo, exec_lo, s40
	s_and_saveexec_b32 s40, s24
	s_cbranch_execnz .LBB604_1225
.LBB604_1155:                           ;   in Loop: Header=BB604_1032 Depth=2
	s_or_b32 exec_lo, exec_lo, s40
	s_and_saveexec_b32 s40, s25
	s_cbranch_execnz .LBB604_1226
.LBB604_1156:                           ;   in Loop: Header=BB604_1032 Depth=2
	s_or_b32 exec_lo, exec_lo, s40
	s_and_saveexec_b32 s40, s26
	s_cbranch_execnz .LBB604_1227
.LBB604_1157:                           ;   in Loop: Header=BB604_1032 Depth=2
	s_or_b32 exec_lo, exec_lo, s40
	s_and_saveexec_b32 s40, s27
	s_cbranch_execnz .LBB604_1228
.LBB604_1158:                           ;   in Loop: Header=BB604_1032 Depth=2
	s_or_b32 exec_lo, exec_lo, s40
	s_and_saveexec_b32 s40, s29
	s_cbranch_execnz .LBB604_1229
.LBB604_1159:                           ;   in Loop: Header=BB604_1032 Depth=2
	s_or_b32 exec_lo, exec_lo, s40
	s_and_saveexec_b32 s40, s30
	s_cbranch_execnz .LBB604_1230
.LBB604_1160:                           ;   in Loop: Header=BB604_1032 Depth=2
	s_or_b32 exec_lo, exec_lo, s40
	s_and_saveexec_b32 s40, s31
	s_cbranch_execnz .LBB604_1231
.LBB604_1161:                           ;   in Loop: Header=BB604_1032 Depth=2
	s_or_b32 exec_lo, exec_lo, s40
	s_and_saveexec_b32 s40, s33
	s_cbranch_execnz .LBB604_1232
.LBB604_1162:                           ;   in Loop: Header=BB604_1032 Depth=2
	s_or_b32 exec_lo, exec_lo, s40
	s_and_saveexec_b32 s40, s34
	s_cbranch_execnz .LBB604_1233
.LBB604_1163:                           ;   in Loop: Header=BB604_1032 Depth=2
	s_or_b32 exec_lo, exec_lo, s40
	s_and_saveexec_b32 s40, s35
	s_cbranch_execnz .LBB604_1234
.LBB604_1164:                           ;   in Loop: Header=BB604_1032 Depth=2
	s_or_b32 exec_lo, exec_lo, s40
	s_and_saveexec_b32 s40, s36
	s_cbranch_execnz .LBB604_1235
.LBB604_1165:                           ;   in Loop: Header=BB604_1032 Depth=2
	s_or_b32 exec_lo, exec_lo, s40
	s_and_saveexec_b32 s40, s37
	s_cbranch_execnz .LBB604_1236
.LBB604_1166:                           ;   in Loop: Header=BB604_1032 Depth=2
	s_or_b32 exec_lo, exec_lo, s40
	s_and_saveexec_b32 s40, s38
	s_cbranch_execnz .LBB604_1237
.LBB604_1167:                           ;   in Loop: Header=BB604_1032 Depth=2
	s_or_b32 exec_lo, exec_lo, s40
	s_and_saveexec_b32 s40, s39
	s_cbranch_execz .LBB604_1169
.LBB604_1168:                           ;   in Loop: Header=BB604_1032 Depth=2
	ds_read_b32 v3, v69 offset:16896
	s_waitcnt lgkmcnt(0)
	v_lshrrev_b32_e32 v3, s41, v3
	v_and_b32_e32 v137, s62, v3
.LBB604_1169:                           ;   in Loop: Header=BB604_1032 Depth=2
	s_or_b32 exec_lo, exec_lo, s40
	v_lshlrev_b32_e32 v3, 3, v179
	v_lshlrev_b32_e32 v39, 3, v178
	s_waitcnt vmcnt(0)
	s_waitcnt_vscnt null, 0x0
	s_barrier
	buffer_gl0_inv
	ds_write_b64 v3, v[37:38] offset:512
	v_lshlrev_b32_e32 v3, 3, v174
	ds_write_b64 v39, v[35:36] offset:512
	v_lshlrev_b32_e32 v39, 3, v173
	v_lshlrev_b32_e32 v40, 3, v172
	;; [unrolled: 1-line block ×3, first 2 shown]
	ds_write_b64 v3, v[33:34] offset:512
	v_lshlrev_b32_e32 v3, 3, v169
	ds_write_b64 v39, v[31:32] offset:512
	ds_write_b64 v40, v[29:30] offset:512
	;; [unrolled: 1-line block ×3, first 2 shown]
	v_lshlrev_b32_e32 v39, 3, v168
	v_lshlrev_b32_e32 v40, 3, v166
	;; [unrolled: 1-line block ×3, first 2 shown]
	ds_write_b64 v3, v[21:22] offset:512
	v_lshlrev_b32_e32 v3, 3, v167
	ds_write_b64 v39, v[17:18] offset:512
	v_lshlrev_b32_e32 v39, 3, v163
	ds_write_b64 v3, v[27:28] offset:512
	ds_write_b64 v40, v[23:24] offset:512
	;; [unrolled: 1-line block ×3, first 2 shown]
	v_lshlrev_b32_e32 v3, 3, v42
	ds_write_b64 v39, v[15:16] offset:512
	v_lshlrev_b32_e32 v39, 3, v41
	v_lshlrev_b32_e32 v40, 3, v160
	;; [unrolled: 1-line block ×3, first 2 shown]
	ds_write_b64 v3, v[13:14] offset:512
	v_lshlrev_b32_e32 v3, 3, v159
	ds_write_b64 v39, v[11:12] offset:512
	ds_write_b64 v40, v[9:10] offset:512
	;; [unrolled: 1-line block ×3, first 2 shown]
	v_add_nc_u32_e32 v39, v69, v43
	ds_write_b64 v3, v[5:6] offset:512
	s_waitcnt lgkmcnt(0)
	s_barrier
	buffer_gl0_inv
	s_and_saveexec_b32 s40, vcc_lo
	s_cbranch_execnz .LBB604_1238
; %bb.1170:                             ;   in Loop: Header=BB604_1032 Depth=2
	s_or_b32 exec_lo, exec_lo, s40
	s_and_saveexec_b32 s40, s22
	s_cbranch_execnz .LBB604_1239
.LBB604_1171:                           ;   in Loop: Header=BB604_1032 Depth=2
	s_or_b32 exec_lo, exec_lo, s40
	s_and_saveexec_b32 s22, s23
	s_cbranch_execnz .LBB604_1240
.LBB604_1172:                           ;   in Loop: Header=BB604_1032 Depth=2
	s_or_b32 exec_lo, exec_lo, s22
	s_and_saveexec_b32 s22, s24
	s_cbranch_execnz .LBB604_1241
.LBB604_1173:                           ;   in Loop: Header=BB604_1032 Depth=2
	s_or_b32 exec_lo, exec_lo, s22
	s_and_saveexec_b32 s22, s25
	s_cbranch_execnz .LBB604_1242
.LBB604_1174:                           ;   in Loop: Header=BB604_1032 Depth=2
	s_or_b32 exec_lo, exec_lo, s22
	s_and_saveexec_b32 s22, s26
	s_cbranch_execnz .LBB604_1243
.LBB604_1175:                           ;   in Loop: Header=BB604_1032 Depth=2
	s_or_b32 exec_lo, exec_lo, s22
	s_and_saveexec_b32 s22, s27
	s_cbranch_execnz .LBB604_1244
.LBB604_1176:                           ;   in Loop: Header=BB604_1032 Depth=2
	s_or_b32 exec_lo, exec_lo, s22
	s_and_saveexec_b32 s22, s29
	s_cbranch_execnz .LBB604_1245
.LBB604_1177:                           ;   in Loop: Header=BB604_1032 Depth=2
	s_or_b32 exec_lo, exec_lo, s22
	s_and_saveexec_b32 s22, s30
	s_cbranch_execnz .LBB604_1246
.LBB604_1178:                           ;   in Loop: Header=BB604_1032 Depth=2
	s_or_b32 exec_lo, exec_lo, s22
	s_and_saveexec_b32 s22, s31
	s_cbranch_execnz .LBB604_1247
.LBB604_1179:                           ;   in Loop: Header=BB604_1032 Depth=2
	s_or_b32 exec_lo, exec_lo, s22
	s_and_saveexec_b32 s22, s33
	s_cbranch_execnz .LBB604_1248
.LBB604_1180:                           ;   in Loop: Header=BB604_1032 Depth=2
	s_or_b32 exec_lo, exec_lo, s22
	s_and_saveexec_b32 s22, s34
	s_cbranch_execnz .LBB604_1249
.LBB604_1181:                           ;   in Loop: Header=BB604_1032 Depth=2
	s_or_b32 exec_lo, exec_lo, s22
	s_and_saveexec_b32 s22, s35
	s_cbranch_execnz .LBB604_1250
.LBB604_1182:                           ;   in Loop: Header=BB604_1032 Depth=2
	s_or_b32 exec_lo, exec_lo, s22
	s_and_saveexec_b32 s22, s36
	s_cbranch_execnz .LBB604_1251
.LBB604_1183:                           ;   in Loop: Header=BB604_1032 Depth=2
	s_or_b32 exec_lo, exec_lo, s22
	s_and_saveexec_b32 s22, s37
	s_cbranch_execnz .LBB604_1252
.LBB604_1184:                           ;   in Loop: Header=BB604_1032 Depth=2
	s_or_b32 exec_lo, exec_lo, s22
	s_and_saveexec_b32 s22, s38
	s_cbranch_execnz .LBB604_1253
.LBB604_1185:                           ;   in Loop: Header=BB604_1032 Depth=2
	s_or_b32 exec_lo, exec_lo, s22
	s_and_saveexec_b32 s22, s39
	s_cbranch_execz .LBB604_1187
.LBB604_1186:                           ;   in Loop: Header=BB604_1032 Depth=2
	v_lshlrev_b32_e32 v3, 2, v137
	ds_read_b32 v3, v3
	ds_read_b64 v[39:40], v39 offset:33280
	s_waitcnt lgkmcnt(1)
	v_add_nc_u32_e32 v3, v3, v61
	v_lshlrev_b64 v[41:42], 3, v[3:4]
	v_add_co_u32 v41, vcc_lo, s54, v41
	v_add_co_ci_u32_e64 v42, null, s55, v42, vcc_lo
	s_waitcnt lgkmcnt(0)
	global_store_dwordx2 v[41:42], v[39:40], off
.LBB604_1187:                           ;   in Loop: Header=BB604_1032 Depth=2
	s_or_b32 exec_lo, exec_lo, s22
	s_waitcnt_vscnt null, 0x0
	s_barrier
	buffer_gl0_inv
	s_and_saveexec_b32 s22, s7
	s_cbranch_execz .LBB604_1031
; %bb.1188:                             ;   in Loop: Header=BB604_1032 Depth=2
	ds_read_b32 v3, v43
	s_waitcnt lgkmcnt(0)
	v_add3_u32 v3, v152, v155, v3
	ds_write_b32 v43, v3
	s_branch .LBB604_1031
.LBB604_1189:                           ;   in Loop: Header=BB604_1032 Depth=2
	ds_read_b32 v157, v69 offset:512
	s_waitcnt lgkmcnt(0)
	v_lshrrev_b32_e32 v3, s41, v157
	v_and_b32_e32 v3, s62, v3
	v_lshlrev_b32_e32 v3, 2, v3
	ds_read_b32 v3, v3
	s_waitcnt lgkmcnt(0)
	v_add_nc_u32_e32 v3, v3, v0
	v_lshlrev_b64 v[39:40], 2, v[3:4]
	v_xor_b32_e32 v3, 0x80000000, v157
	v_add_co_u32 v39, s22, s48, v39
	v_add_co_ci_u32_e64 v40, null, s49, v40, s22
	global_store_dword v[39:40], v3, off
	s_or_b32 exec_lo, exec_lo, s23
	v_cmp_lt_u32_e64 s22, v44, v156
	s_and_saveexec_b32 s24, s22
	s_cbranch_execz .LBB604_1118
.LBB604_1190:                           ;   in Loop: Header=BB604_1032 Depth=2
	ds_read_b32 v157, v69 offset:1536
	s_waitcnt lgkmcnt(0)
	v_lshrrev_b32_e32 v3, s41, v157
	v_and_b32_e32 v3, s62, v3
	v_lshlrev_b32_e32 v3, 2, v3
	ds_read_b32 v3, v3
	s_waitcnt lgkmcnt(0)
	v_add_nc_u32_e32 v3, v3, v44
	v_lshlrev_b64 v[39:40], 2, v[3:4]
	v_xor_b32_e32 v3, 0x80000000, v157
	v_add_co_u32 v39, s23, s48, v39
	v_add_co_ci_u32_e64 v40, null, s49, v40, s23
	global_store_dword v[39:40], v3, off
	s_or_b32 exec_lo, exec_lo, s24
	v_cmp_lt_u32_e64 s23, v47, v156
	s_and_saveexec_b32 s25, s23
	s_cbranch_execz .LBB604_1119
.LBB604_1191:                           ;   in Loop: Header=BB604_1032 Depth=2
	ds_read_b32 v157, v69 offset:2560
	s_waitcnt lgkmcnt(0)
	v_lshrrev_b32_e32 v3, s41, v157
	v_and_b32_e32 v3, s62, v3
	v_lshlrev_b32_e32 v3, 2, v3
	ds_read_b32 v3, v3
	s_waitcnt lgkmcnt(0)
	v_add_nc_u32_e32 v3, v3, v47
	v_lshlrev_b64 v[39:40], 2, v[3:4]
	v_xor_b32_e32 v3, 0x80000000, v157
	v_add_co_u32 v39, s24, s48, v39
	v_add_co_ci_u32_e64 v40, null, s49, v40, s24
	global_store_dword v[39:40], v3, off
	s_or_b32 exec_lo, exec_lo, s25
	v_cmp_lt_u32_e64 s24, v48, v156
	s_and_saveexec_b32 s26, s24
	s_cbranch_execz .LBB604_1120
.LBB604_1192:                           ;   in Loop: Header=BB604_1032 Depth=2
	ds_read_b32 v157, v69 offset:3584
	s_waitcnt lgkmcnt(0)
	v_lshrrev_b32_e32 v3, s41, v157
	v_and_b32_e32 v3, s62, v3
	v_lshlrev_b32_e32 v3, 2, v3
	ds_read_b32 v3, v3
	s_waitcnt lgkmcnt(0)
	v_add_nc_u32_e32 v3, v3, v48
	v_lshlrev_b64 v[39:40], 2, v[3:4]
	v_xor_b32_e32 v3, 0x80000000, v157
	v_add_co_u32 v39, s25, s48, v39
	v_add_co_ci_u32_e64 v40, null, s49, v40, s25
	global_store_dword v[39:40], v3, off
	s_or_b32 exec_lo, exec_lo, s26
	v_cmp_lt_u32_e64 s25, v49, v156
	s_and_saveexec_b32 s27, s25
	s_cbranch_execz .LBB604_1121
.LBB604_1193:                           ;   in Loop: Header=BB604_1032 Depth=2
	ds_read_b32 v157, v69 offset:4608
	s_waitcnt lgkmcnt(0)
	v_lshrrev_b32_e32 v3, s41, v157
	v_and_b32_e32 v3, s62, v3
	v_lshlrev_b32_e32 v3, 2, v3
	ds_read_b32 v3, v3
	s_waitcnt lgkmcnt(0)
	v_add_nc_u32_e32 v3, v3, v49
	v_lshlrev_b64 v[39:40], 2, v[3:4]
	v_xor_b32_e32 v3, 0x80000000, v157
	v_add_co_u32 v39, s26, s48, v39
	v_add_co_ci_u32_e64 v40, null, s49, v40, s26
	global_store_dword v[39:40], v3, off
	s_or_b32 exec_lo, exec_lo, s27
	v_cmp_lt_u32_e64 s26, v50, v156
	s_and_saveexec_b32 s29, s26
	s_cbranch_execz .LBB604_1122
.LBB604_1194:                           ;   in Loop: Header=BB604_1032 Depth=2
	ds_read_b32 v157, v69 offset:5632
	s_waitcnt lgkmcnt(0)
	v_lshrrev_b32_e32 v3, s41, v157
	v_and_b32_e32 v3, s62, v3
	v_lshlrev_b32_e32 v3, 2, v3
	ds_read_b32 v3, v3
	s_waitcnt lgkmcnt(0)
	v_add_nc_u32_e32 v3, v3, v50
	v_lshlrev_b64 v[39:40], 2, v[3:4]
	v_xor_b32_e32 v3, 0x80000000, v157
	v_add_co_u32 v39, s27, s48, v39
	v_add_co_ci_u32_e64 v40, null, s49, v40, s27
	global_store_dword v[39:40], v3, off
	s_or_b32 exec_lo, exec_lo, s29
	v_cmp_lt_u32_e64 s27, v51, v156
	s_and_saveexec_b32 s30, s27
	s_cbranch_execz .LBB604_1123
.LBB604_1195:                           ;   in Loop: Header=BB604_1032 Depth=2
	ds_read_b32 v157, v69 offset:6656
	s_waitcnt lgkmcnt(0)
	v_lshrrev_b32_e32 v3, s41, v157
	v_and_b32_e32 v3, s62, v3
	v_lshlrev_b32_e32 v3, 2, v3
	ds_read_b32 v3, v3
	s_waitcnt lgkmcnt(0)
	v_add_nc_u32_e32 v3, v3, v51
	v_lshlrev_b64 v[39:40], 2, v[3:4]
	v_xor_b32_e32 v3, 0x80000000, v157
	v_add_co_u32 v39, s29, s48, v39
	v_add_co_ci_u32_e64 v40, null, s49, v40, s29
	global_store_dword v[39:40], v3, off
	s_or_b32 exec_lo, exec_lo, s30
	v_cmp_lt_u32_e64 s29, v52, v156
	s_and_saveexec_b32 s31, s29
	s_cbranch_execz .LBB604_1124
.LBB604_1196:                           ;   in Loop: Header=BB604_1032 Depth=2
	ds_read_b32 v157, v69 offset:7680
	s_waitcnt lgkmcnt(0)
	v_lshrrev_b32_e32 v3, s41, v157
	v_and_b32_e32 v3, s62, v3
	v_lshlrev_b32_e32 v3, 2, v3
	ds_read_b32 v3, v3
	s_waitcnt lgkmcnt(0)
	v_add_nc_u32_e32 v3, v3, v52
	v_lshlrev_b64 v[39:40], 2, v[3:4]
	v_xor_b32_e32 v3, 0x80000000, v157
	v_add_co_u32 v39, s30, s48, v39
	v_add_co_ci_u32_e64 v40, null, s49, v40, s30
	global_store_dword v[39:40], v3, off
	s_or_b32 exec_lo, exec_lo, s31
	v_cmp_lt_u32_e64 s30, v53, v156
	s_and_saveexec_b32 s33, s30
	s_cbranch_execz .LBB604_1125
.LBB604_1197:                           ;   in Loop: Header=BB604_1032 Depth=2
	ds_read_b32 v157, v69 offset:8704
	s_waitcnt lgkmcnt(0)
	v_lshrrev_b32_e32 v3, s41, v157
	v_and_b32_e32 v3, s62, v3
	v_lshlrev_b32_e32 v3, 2, v3
	ds_read_b32 v3, v3
	s_waitcnt lgkmcnt(0)
	v_add_nc_u32_e32 v3, v3, v53
	v_lshlrev_b64 v[39:40], 2, v[3:4]
	v_xor_b32_e32 v3, 0x80000000, v157
	v_add_co_u32 v39, s31, s48, v39
	v_add_co_ci_u32_e64 v40, null, s49, v40, s31
	global_store_dword v[39:40], v3, off
	s_or_b32 exec_lo, exec_lo, s33
	v_cmp_lt_u32_e64 s31, v54, v156
	s_and_saveexec_b32 s34, s31
	s_cbranch_execz .LBB604_1126
.LBB604_1198:                           ;   in Loop: Header=BB604_1032 Depth=2
	ds_read_b32 v157, v69 offset:9728
	s_waitcnt lgkmcnt(0)
	v_lshrrev_b32_e32 v3, s41, v157
	v_and_b32_e32 v3, s62, v3
	v_lshlrev_b32_e32 v3, 2, v3
	ds_read_b32 v3, v3
	s_waitcnt lgkmcnt(0)
	v_add_nc_u32_e32 v3, v3, v54
	v_lshlrev_b64 v[39:40], 2, v[3:4]
	v_xor_b32_e32 v3, 0x80000000, v157
	v_add_co_u32 v39, s33, s48, v39
	v_add_co_ci_u32_e64 v40, null, s49, v40, s33
	global_store_dword v[39:40], v3, off
	s_or_b32 exec_lo, exec_lo, s34
	v_cmp_lt_u32_e64 s33, v55, v156
	s_and_saveexec_b32 s35, s33
	s_cbranch_execz .LBB604_1127
.LBB604_1199:                           ;   in Loop: Header=BB604_1032 Depth=2
	ds_read_b32 v157, v69 offset:10752
	s_waitcnt lgkmcnt(0)
	v_lshrrev_b32_e32 v3, s41, v157
	v_and_b32_e32 v3, s62, v3
	v_lshlrev_b32_e32 v3, 2, v3
	ds_read_b32 v3, v3
	s_waitcnt lgkmcnt(0)
	v_add_nc_u32_e32 v3, v3, v55
	v_lshlrev_b64 v[39:40], 2, v[3:4]
	v_xor_b32_e32 v3, 0x80000000, v157
	v_add_co_u32 v39, s34, s48, v39
	v_add_co_ci_u32_e64 v40, null, s49, v40, s34
	global_store_dword v[39:40], v3, off
	s_or_b32 exec_lo, exec_lo, s35
	v_cmp_lt_u32_e64 s34, v56, v156
	s_and_saveexec_b32 s36, s34
	s_cbranch_execz .LBB604_1128
.LBB604_1200:                           ;   in Loop: Header=BB604_1032 Depth=2
	ds_read_b32 v157, v69 offset:11776
	s_waitcnt lgkmcnt(0)
	v_lshrrev_b32_e32 v3, s41, v157
	v_and_b32_e32 v3, s62, v3
	v_lshlrev_b32_e32 v3, 2, v3
	ds_read_b32 v3, v3
	s_waitcnt lgkmcnt(0)
	v_add_nc_u32_e32 v3, v3, v56
	v_lshlrev_b64 v[39:40], 2, v[3:4]
	v_xor_b32_e32 v3, 0x80000000, v157
	v_add_co_u32 v39, s35, s48, v39
	v_add_co_ci_u32_e64 v40, null, s49, v40, s35
	global_store_dword v[39:40], v3, off
	s_or_b32 exec_lo, exec_lo, s36
	v_cmp_lt_u32_e64 s35, v57, v156
	s_and_saveexec_b32 s37, s35
	s_cbranch_execz .LBB604_1129
.LBB604_1201:                           ;   in Loop: Header=BB604_1032 Depth=2
	ds_read_b32 v157, v69 offset:12800
	s_waitcnt lgkmcnt(0)
	v_lshrrev_b32_e32 v3, s41, v157
	v_and_b32_e32 v3, s62, v3
	v_lshlrev_b32_e32 v3, 2, v3
	ds_read_b32 v3, v3
	s_waitcnt lgkmcnt(0)
	v_add_nc_u32_e32 v3, v3, v57
	v_lshlrev_b64 v[39:40], 2, v[3:4]
	v_xor_b32_e32 v3, 0x80000000, v157
	v_add_co_u32 v39, s36, s48, v39
	v_add_co_ci_u32_e64 v40, null, s49, v40, s36
	global_store_dword v[39:40], v3, off
	s_or_b32 exec_lo, exec_lo, s37
	v_cmp_lt_u32_e64 s36, v58, v156
	s_and_saveexec_b32 s38, s36
	s_cbranch_execz .LBB604_1130
.LBB604_1202:                           ;   in Loop: Header=BB604_1032 Depth=2
	ds_read_b32 v157, v69 offset:13824
	s_waitcnt lgkmcnt(0)
	v_lshrrev_b32_e32 v3, s41, v157
	v_and_b32_e32 v3, s62, v3
	v_lshlrev_b32_e32 v3, 2, v3
	ds_read_b32 v3, v3
	s_waitcnt lgkmcnt(0)
	v_add_nc_u32_e32 v3, v3, v58
	v_lshlrev_b64 v[39:40], 2, v[3:4]
	v_xor_b32_e32 v3, 0x80000000, v157
	v_add_co_u32 v39, s37, s48, v39
	v_add_co_ci_u32_e64 v40, null, s49, v40, s37
	global_store_dword v[39:40], v3, off
	s_or_b32 exec_lo, exec_lo, s38
	v_cmp_lt_u32_e64 s37, v59, v156
	s_and_saveexec_b32 s39, s37
	s_cbranch_execz .LBB604_1131
.LBB604_1203:                           ;   in Loop: Header=BB604_1032 Depth=2
	ds_read_b32 v157, v69 offset:14848
	s_waitcnt lgkmcnt(0)
	v_lshrrev_b32_e32 v3, s41, v157
	v_and_b32_e32 v3, s62, v3
	v_lshlrev_b32_e32 v3, 2, v3
	ds_read_b32 v3, v3
	s_waitcnt lgkmcnt(0)
	v_add_nc_u32_e32 v3, v3, v59
	v_lshlrev_b64 v[39:40], 2, v[3:4]
	v_xor_b32_e32 v3, 0x80000000, v157
	v_add_co_u32 v39, s38, s48, v39
	v_add_co_ci_u32_e64 v40, null, s49, v40, s38
	global_store_dword v[39:40], v3, off
	s_or_b32 exec_lo, exec_lo, s39
	v_cmp_lt_u32_e64 s38, v60, v156
	s_and_saveexec_b32 s40, s38
	s_cbranch_execz .LBB604_1132
.LBB604_1204:                           ;   in Loop: Header=BB604_1032 Depth=2
	ds_read_b32 v157, v69 offset:15872
	s_waitcnt lgkmcnt(0)
	v_lshrrev_b32_e32 v3, s41, v157
	v_and_b32_e32 v3, s62, v3
	v_lshlrev_b32_e32 v3, 2, v3
	ds_read_b32 v3, v3
	s_waitcnt lgkmcnt(0)
	v_add_nc_u32_e32 v3, v3, v60
	v_lshlrev_b64 v[39:40], 2, v[3:4]
	v_xor_b32_e32 v3, 0x80000000, v157
	v_add_co_u32 v39, s39, s48, v39
	v_add_co_ci_u32_e64 v40, null, s49, v40, s39
	global_store_dword v[39:40], v3, off
	s_or_b32 exec_lo, exec_lo, s40
	v_cmp_lt_u32_e64 s39, v61, v156
	s_and_saveexec_b32 s65, s39
	s_cbranch_execnz .LBB604_1133
	s_branch .LBB604_1134
.LBB604_1205:                           ;   in Loop: Header=BB604_1032 Depth=2
	global_load_dwordx2 v[37:38], v[39:40], off
	s_or_b32 exec_lo, exec_lo, s40
	s_mov_b32 s50, exec_lo
	v_cmpx_lt_u32_e64 v112, v156
	s_cbranch_execz .LBB604_1136
.LBB604_1206:                           ;   in Loop: Header=BB604_1032 Depth=2
	global_load_dwordx2 v[35:36], v[39:40], off offset:256
	s_or_b32 exec_lo, exec_lo, s50
	s_mov_b32 s50, exec_lo
	v_cmpx_lt_u32_e64 v113, v156
	s_cbranch_execz .LBB604_1137
.LBB604_1207:                           ;   in Loop: Header=BB604_1032 Depth=2
	global_load_dwordx2 v[33:34], v[39:40], off offset:512
	s_or_b32 exec_lo, exec_lo, s50
	s_mov_b32 s50, exec_lo
	v_cmpx_lt_u32_e64 v114, v156
	s_cbranch_execz .LBB604_1138
.LBB604_1208:                           ;   in Loop: Header=BB604_1032 Depth=2
	global_load_dwordx2 v[31:32], v[39:40], off offset:768
	s_or_b32 exec_lo, exec_lo, s50
	s_mov_b32 s50, exec_lo
	v_cmpx_lt_u32_e64 v115, v156
	s_cbranch_execz .LBB604_1139
.LBB604_1209:                           ;   in Loop: Header=BB604_1032 Depth=2
	global_load_dwordx2 v[29:30], v[39:40], off offset:1024
	s_or_b32 exec_lo, exec_lo, s50
	s_mov_b32 s50, exec_lo
	v_cmpx_lt_u32_e64 v116, v156
	s_cbranch_execz .LBB604_1140
.LBB604_1210:                           ;   in Loop: Header=BB604_1032 Depth=2
	global_load_dwordx2 v[25:26], v[39:40], off offset:1280
	s_or_b32 exec_lo, exec_lo, s50
	s_mov_b32 s50, exec_lo
	v_cmpx_lt_u32_e64 v117, v156
	s_cbranch_execz .LBB604_1141
.LBB604_1211:                           ;   in Loop: Header=BB604_1032 Depth=2
	global_load_dwordx2 v[21:22], v[39:40], off offset:1536
	s_or_b32 exec_lo, exec_lo, s50
	s_mov_b32 s50, exec_lo
	v_cmpx_lt_u32_e64 v118, v156
	s_cbranch_execz .LBB604_1142
.LBB604_1212:                           ;   in Loop: Header=BB604_1032 Depth=2
	global_load_dwordx2 v[17:18], v[39:40], off offset:1792
	s_or_b32 exec_lo, exec_lo, s50
	s_mov_b32 s50, exec_lo
	v_cmpx_lt_u32_e64 v119, v156
	s_cbranch_execz .LBB604_1143
.LBB604_1213:                           ;   in Loop: Header=BB604_1032 Depth=2
	v_add_co_u32 v27, s40, 0x800, v39
	v_add_co_ci_u32_e64 v28, null, 0, v40, s40
	global_load_dwordx2 v[27:28], v[27:28], off
	s_or_b32 exec_lo, exec_lo, s50
	s_mov_b32 s50, exec_lo
	v_cmpx_lt_u32_e64 v120, v156
	s_cbranch_execz .LBB604_1144
.LBB604_1214:                           ;   in Loop: Header=BB604_1032 Depth=2
	v_add_co_u32 v23, s40, 0x800, v39
	v_add_co_ci_u32_e64 v24, null, 0, v40, s40
	global_load_dwordx2 v[23:24], v[23:24], off offset:256
	s_or_b32 exec_lo, exec_lo, s50
	s_mov_b32 s50, exec_lo
	v_cmpx_lt_u32_e64 v121, v156
	s_cbranch_execz .LBB604_1145
.LBB604_1215:                           ;   in Loop: Header=BB604_1032 Depth=2
	v_add_co_u32 v19, s40, 0x800, v39
	v_add_co_ci_u32_e64 v20, null, 0, v40, s40
	global_load_dwordx2 v[19:20], v[19:20], off offset:512
	s_or_b32 exec_lo, exec_lo, s50
	s_mov_b32 s50, exec_lo
	v_cmpx_lt_u32_e64 v122, v156
	s_cbranch_execz .LBB604_1146
.LBB604_1216:                           ;   in Loop: Header=BB604_1032 Depth=2
	v_add_co_u32 v15, s40, 0x800, v39
	v_add_co_ci_u32_e64 v16, null, 0, v40, s40
	global_load_dwordx2 v[15:16], v[15:16], off offset:768
	s_or_b32 exec_lo, exec_lo, s50
	s_mov_b32 s50, exec_lo
	v_cmpx_lt_u32_e64 v123, v156
	s_cbranch_execz .LBB604_1147
.LBB604_1217:                           ;   in Loop: Header=BB604_1032 Depth=2
	v_add_co_u32 v13, s40, 0x800, v39
	v_add_co_ci_u32_e64 v14, null, 0, v40, s40
	global_load_dwordx2 v[13:14], v[13:14], off offset:1024
	s_or_b32 exec_lo, exec_lo, s50
	s_mov_b32 s50, exec_lo
	v_cmpx_lt_u32_e64 v124, v156
	s_cbranch_execz .LBB604_1148
.LBB604_1218:                           ;   in Loop: Header=BB604_1032 Depth=2
	v_add_co_u32 v11, s40, 0x800, v39
	v_add_co_ci_u32_e64 v12, null, 0, v40, s40
	global_load_dwordx2 v[11:12], v[11:12], off offset:1280
	s_or_b32 exec_lo, exec_lo, s50
	s_mov_b32 s50, exec_lo
	v_cmpx_lt_u32_e64 v126, v156
	s_cbranch_execz .LBB604_1149
.LBB604_1219:                           ;   in Loop: Header=BB604_1032 Depth=2
	v_add_co_u32 v9, s40, 0x800, v39
	v_add_co_ci_u32_e64 v10, null, 0, v40, s40
	global_load_dwordx2 v[9:10], v[9:10], off offset:1536
	s_or_b32 exec_lo, exec_lo, s50
	s_mov_b32 s50, exec_lo
	v_cmpx_lt_u32_e64 v127, v156
	s_cbranch_execz .LBB604_1150
.LBB604_1220:                           ;   in Loop: Header=BB604_1032 Depth=2
	v_add_co_u32 v7, s40, 0x800, v39
	v_add_co_ci_u32_e64 v8, null, 0, v40, s40
	global_load_dwordx2 v[7:8], v[7:8], off offset:1792
	s_or_b32 exec_lo, exec_lo, s50
	s_mov_b32 s50, exec_lo
	v_cmpx_lt_u32_e64 v128, v156
	s_cbranch_execz .LBB604_1151
.LBB604_1221:                           ;   in Loop: Header=BB604_1032 Depth=2
	v_add_co_u32 v5, s40, 0x1000, v39
	v_add_co_ci_u32_e64 v6, null, 0, v40, s40
	global_load_dwordx2 v[5:6], v[5:6], off
	s_or_b32 exec_lo, exec_lo, s50
	s_and_saveexec_b32 s40, vcc_lo
	s_cbranch_execz .LBB604_1152
.LBB604_1222:                           ;   in Loop: Header=BB604_1032 Depth=2
	ds_read_b32 v3, v69 offset:512
	s_waitcnt lgkmcnt(0)
	v_lshrrev_b32_e32 v3, s41, v3
	v_and_b32_e32 v154, s62, v3
	s_or_b32 exec_lo, exec_lo, s40
	s_and_saveexec_b32 s40, s22
	s_cbranch_execz .LBB604_1153
.LBB604_1223:                           ;   in Loop: Header=BB604_1032 Depth=2
	ds_read_b32 v3, v69 offset:1536
	s_waitcnt lgkmcnt(0)
	v_lshrrev_b32_e32 v3, s41, v3
	v_and_b32_e32 v153, s62, v3
	s_or_b32 exec_lo, exec_lo, s40
	s_and_saveexec_b32 s40, s23
	s_cbranch_execz .LBB604_1154
.LBB604_1224:                           ;   in Loop: Header=BB604_1032 Depth=2
	ds_read_b32 v3, v69 offset:2560
	s_waitcnt lgkmcnt(0)
	v_lshrrev_b32_e32 v3, s41, v3
	v_and_b32_e32 v151, s62, v3
	s_or_b32 exec_lo, exec_lo, s40
	s_and_saveexec_b32 s40, s24
	s_cbranch_execz .LBB604_1155
.LBB604_1225:                           ;   in Loop: Header=BB604_1032 Depth=2
	ds_read_b32 v3, v69 offset:3584
	s_waitcnt lgkmcnt(0)
	v_lshrrev_b32_e32 v3, s41, v3
	v_and_b32_e32 v150, s62, v3
	s_or_b32 exec_lo, exec_lo, s40
	s_and_saveexec_b32 s40, s25
	s_cbranch_execz .LBB604_1156
.LBB604_1226:                           ;   in Loop: Header=BB604_1032 Depth=2
	ds_read_b32 v3, v69 offset:4608
	s_waitcnt lgkmcnt(0)
	v_lshrrev_b32_e32 v3, s41, v3
	v_and_b32_e32 v149, s62, v3
	s_or_b32 exec_lo, exec_lo, s40
	s_and_saveexec_b32 s40, s26
	s_cbranch_execz .LBB604_1157
.LBB604_1227:                           ;   in Loop: Header=BB604_1032 Depth=2
	ds_read_b32 v3, v69 offset:5632
	s_waitcnt lgkmcnt(0)
	v_lshrrev_b32_e32 v3, s41, v3
	v_and_b32_e32 v148, s62, v3
	s_or_b32 exec_lo, exec_lo, s40
	s_and_saveexec_b32 s40, s27
	s_cbranch_execz .LBB604_1158
.LBB604_1228:                           ;   in Loop: Header=BB604_1032 Depth=2
	ds_read_b32 v3, v69 offset:6656
	s_waitcnt lgkmcnt(0)
	v_lshrrev_b32_e32 v3, s41, v3
	v_and_b32_e32 v147, s62, v3
	s_or_b32 exec_lo, exec_lo, s40
	s_and_saveexec_b32 s40, s29
	s_cbranch_execz .LBB604_1159
.LBB604_1229:                           ;   in Loop: Header=BB604_1032 Depth=2
	ds_read_b32 v3, v69 offset:7680
	s_waitcnt lgkmcnt(0)
	v_lshrrev_b32_e32 v3, s41, v3
	v_and_b32_e32 v146, s62, v3
	s_or_b32 exec_lo, exec_lo, s40
	s_and_saveexec_b32 s40, s30
	s_cbranch_execz .LBB604_1160
.LBB604_1230:                           ;   in Loop: Header=BB604_1032 Depth=2
	ds_read_b32 v3, v69 offset:8704
	s_waitcnt lgkmcnt(0)
	v_lshrrev_b32_e32 v3, s41, v3
	v_and_b32_e32 v145, s62, v3
	s_or_b32 exec_lo, exec_lo, s40
	s_and_saveexec_b32 s40, s31
	s_cbranch_execz .LBB604_1161
.LBB604_1231:                           ;   in Loop: Header=BB604_1032 Depth=2
	ds_read_b32 v3, v69 offset:9728
	s_waitcnt lgkmcnt(0)
	v_lshrrev_b32_e32 v3, s41, v3
	v_and_b32_e32 v144, s62, v3
	s_or_b32 exec_lo, exec_lo, s40
	s_and_saveexec_b32 s40, s33
	s_cbranch_execz .LBB604_1162
.LBB604_1232:                           ;   in Loop: Header=BB604_1032 Depth=2
	ds_read_b32 v3, v69 offset:10752
	s_waitcnt lgkmcnt(0)
	v_lshrrev_b32_e32 v3, s41, v3
	v_and_b32_e32 v143, s62, v3
	s_or_b32 exec_lo, exec_lo, s40
	s_and_saveexec_b32 s40, s34
	s_cbranch_execz .LBB604_1163
.LBB604_1233:                           ;   in Loop: Header=BB604_1032 Depth=2
	ds_read_b32 v3, v69 offset:11776
	s_waitcnt lgkmcnt(0)
	v_lshrrev_b32_e32 v3, s41, v3
	v_and_b32_e32 v142, s62, v3
	s_or_b32 exec_lo, exec_lo, s40
	s_and_saveexec_b32 s40, s35
	s_cbranch_execz .LBB604_1164
.LBB604_1234:                           ;   in Loop: Header=BB604_1032 Depth=2
	ds_read_b32 v3, v69 offset:12800
	s_waitcnt lgkmcnt(0)
	v_lshrrev_b32_e32 v3, s41, v3
	v_and_b32_e32 v141, s62, v3
	s_or_b32 exec_lo, exec_lo, s40
	s_and_saveexec_b32 s40, s36
	s_cbranch_execz .LBB604_1165
.LBB604_1235:                           ;   in Loop: Header=BB604_1032 Depth=2
	ds_read_b32 v3, v69 offset:13824
	s_waitcnt lgkmcnt(0)
	v_lshrrev_b32_e32 v3, s41, v3
	v_and_b32_e32 v140, s62, v3
	s_or_b32 exec_lo, exec_lo, s40
	s_and_saveexec_b32 s40, s37
	s_cbranch_execz .LBB604_1166
.LBB604_1236:                           ;   in Loop: Header=BB604_1032 Depth=2
	ds_read_b32 v3, v69 offset:14848
	s_waitcnt lgkmcnt(0)
	v_lshrrev_b32_e32 v3, s41, v3
	v_and_b32_e32 v139, s62, v3
	s_or_b32 exec_lo, exec_lo, s40
	s_and_saveexec_b32 s40, s38
	s_cbranch_execz .LBB604_1167
.LBB604_1237:                           ;   in Loop: Header=BB604_1032 Depth=2
	ds_read_b32 v3, v69 offset:15872
	s_waitcnt lgkmcnt(0)
	v_lshrrev_b32_e32 v3, s41, v3
	v_and_b32_e32 v138, s62, v3
	s_or_b32 exec_lo, exec_lo, s40
	s_and_saveexec_b32 s40, s39
	s_cbranch_execnz .LBB604_1168
	s_branch .LBB604_1169
.LBB604_1238:                           ;   in Loop: Header=BB604_1032 Depth=2
	v_lshlrev_b32_e32 v3, 2, v154
	ds_read_b32 v3, v3
	ds_read_b64 v[40:41], v39 offset:512
	s_waitcnt lgkmcnt(1)
	v_add_nc_u32_e32 v3, v3, v0
	v_lshlrev_b64 v[156:157], 3, v[3:4]
	v_add_co_u32 v156, vcc_lo, s54, v156
	v_add_co_ci_u32_e64 v157, null, s55, v157, vcc_lo
	s_waitcnt lgkmcnt(0)
	global_store_dwordx2 v[156:157], v[40:41], off
	s_or_b32 exec_lo, exec_lo, s40
	s_and_saveexec_b32 s40, s22
	s_cbranch_execz .LBB604_1171
.LBB604_1239:                           ;   in Loop: Header=BB604_1032 Depth=2
	v_lshlrev_b32_e32 v3, 2, v153
	ds_read_b32 v3, v3
	ds_read_b64 v[40:41], v39 offset:2560
	s_waitcnt lgkmcnt(1)
	v_add_nc_u32_e32 v3, v3, v44
	v_lshlrev_b64 v[156:157], 3, v[3:4]
	v_add_co_u32 v156, vcc_lo, s54, v156
	v_add_co_ci_u32_e64 v157, null, s55, v157, vcc_lo
	s_waitcnt lgkmcnt(0)
	global_store_dwordx2 v[156:157], v[40:41], off
	s_or_b32 exec_lo, exec_lo, s40
	s_and_saveexec_b32 s22, s23
	s_cbranch_execz .LBB604_1172
.LBB604_1240:                           ;   in Loop: Header=BB604_1032 Depth=2
	v_lshlrev_b32_e32 v3, 2, v151
	ds_read_b32 v3, v3
	ds_read_b64 v[40:41], v39 offset:4608
	s_waitcnt lgkmcnt(1)
	v_add_nc_u32_e32 v3, v3, v47
	v_lshlrev_b64 v[156:157], 3, v[3:4]
	v_add_co_u32 v156, vcc_lo, s54, v156
	v_add_co_ci_u32_e64 v157, null, s55, v157, vcc_lo
	s_waitcnt lgkmcnt(0)
	global_store_dwordx2 v[156:157], v[40:41], off
	s_or_b32 exec_lo, exec_lo, s22
	s_and_saveexec_b32 s22, s24
	s_cbranch_execz .LBB604_1173
.LBB604_1241:                           ;   in Loop: Header=BB604_1032 Depth=2
	v_lshlrev_b32_e32 v3, 2, v150
	ds_read_b32 v3, v3
	ds_read_b64 v[40:41], v39 offset:6656
	s_waitcnt lgkmcnt(1)
	v_add_nc_u32_e32 v3, v3, v48
	v_lshlrev_b64 v[156:157], 3, v[3:4]
	v_add_co_u32 v156, vcc_lo, s54, v156
	v_add_co_ci_u32_e64 v157, null, s55, v157, vcc_lo
	s_waitcnt lgkmcnt(0)
	global_store_dwordx2 v[156:157], v[40:41], off
	s_or_b32 exec_lo, exec_lo, s22
	s_and_saveexec_b32 s22, s25
	s_cbranch_execz .LBB604_1174
.LBB604_1242:                           ;   in Loop: Header=BB604_1032 Depth=2
	v_lshlrev_b32_e32 v3, 2, v149
	ds_read_b32 v3, v3
	ds_read_b64 v[40:41], v39 offset:8704
	s_waitcnt lgkmcnt(1)
	v_add_nc_u32_e32 v3, v3, v49
	v_lshlrev_b64 v[156:157], 3, v[3:4]
	v_add_co_u32 v156, vcc_lo, s54, v156
	v_add_co_ci_u32_e64 v157, null, s55, v157, vcc_lo
	s_waitcnt lgkmcnt(0)
	global_store_dwordx2 v[156:157], v[40:41], off
	s_or_b32 exec_lo, exec_lo, s22
	s_and_saveexec_b32 s22, s26
	s_cbranch_execz .LBB604_1175
.LBB604_1243:                           ;   in Loop: Header=BB604_1032 Depth=2
	v_lshlrev_b32_e32 v3, 2, v148
	ds_read_b32 v3, v3
	ds_read_b64 v[40:41], v39 offset:10752
	s_waitcnt lgkmcnt(1)
	v_add_nc_u32_e32 v3, v3, v50
	v_lshlrev_b64 v[156:157], 3, v[3:4]
	v_add_co_u32 v156, vcc_lo, s54, v156
	v_add_co_ci_u32_e64 v157, null, s55, v157, vcc_lo
	s_waitcnt lgkmcnt(0)
	global_store_dwordx2 v[156:157], v[40:41], off
	s_or_b32 exec_lo, exec_lo, s22
	s_and_saveexec_b32 s22, s27
	s_cbranch_execz .LBB604_1176
.LBB604_1244:                           ;   in Loop: Header=BB604_1032 Depth=2
	v_lshlrev_b32_e32 v3, 2, v147
	ds_read_b32 v3, v3
	ds_read_b64 v[40:41], v39 offset:12800
	s_waitcnt lgkmcnt(1)
	v_add_nc_u32_e32 v3, v3, v51
	v_lshlrev_b64 v[156:157], 3, v[3:4]
	v_add_co_u32 v156, vcc_lo, s54, v156
	v_add_co_ci_u32_e64 v157, null, s55, v157, vcc_lo
	s_waitcnt lgkmcnt(0)
	global_store_dwordx2 v[156:157], v[40:41], off
	s_or_b32 exec_lo, exec_lo, s22
	s_and_saveexec_b32 s22, s29
	s_cbranch_execz .LBB604_1177
.LBB604_1245:                           ;   in Loop: Header=BB604_1032 Depth=2
	v_lshlrev_b32_e32 v3, 2, v146
	ds_read_b32 v3, v3
	ds_read_b64 v[40:41], v39 offset:14848
	s_waitcnt lgkmcnt(1)
	v_add_nc_u32_e32 v3, v3, v52
	v_lshlrev_b64 v[156:157], 3, v[3:4]
	v_add_co_u32 v156, vcc_lo, s54, v156
	v_add_co_ci_u32_e64 v157, null, s55, v157, vcc_lo
	s_waitcnt lgkmcnt(0)
	global_store_dwordx2 v[156:157], v[40:41], off
	s_or_b32 exec_lo, exec_lo, s22
	s_and_saveexec_b32 s22, s30
	s_cbranch_execz .LBB604_1178
.LBB604_1246:                           ;   in Loop: Header=BB604_1032 Depth=2
	v_lshlrev_b32_e32 v3, 2, v145
	ds_read_b32 v3, v3
	ds_read_b64 v[40:41], v39 offset:16896
	s_waitcnt lgkmcnt(1)
	v_add_nc_u32_e32 v3, v3, v53
	v_lshlrev_b64 v[156:157], 3, v[3:4]
	v_add_co_u32 v156, vcc_lo, s54, v156
	v_add_co_ci_u32_e64 v157, null, s55, v157, vcc_lo
	s_waitcnt lgkmcnt(0)
	global_store_dwordx2 v[156:157], v[40:41], off
	s_or_b32 exec_lo, exec_lo, s22
	s_and_saveexec_b32 s22, s31
	s_cbranch_execz .LBB604_1179
.LBB604_1247:                           ;   in Loop: Header=BB604_1032 Depth=2
	v_lshlrev_b32_e32 v3, 2, v144
	ds_read_b32 v3, v3
	ds_read_b64 v[40:41], v39 offset:18944
	s_waitcnt lgkmcnt(1)
	v_add_nc_u32_e32 v3, v3, v54
	v_lshlrev_b64 v[156:157], 3, v[3:4]
	v_add_co_u32 v156, vcc_lo, s54, v156
	v_add_co_ci_u32_e64 v157, null, s55, v157, vcc_lo
	s_waitcnt lgkmcnt(0)
	global_store_dwordx2 v[156:157], v[40:41], off
	s_or_b32 exec_lo, exec_lo, s22
	s_and_saveexec_b32 s22, s33
	s_cbranch_execz .LBB604_1180
.LBB604_1248:                           ;   in Loop: Header=BB604_1032 Depth=2
	v_lshlrev_b32_e32 v3, 2, v143
	ds_read_b32 v3, v3
	ds_read_b64 v[40:41], v39 offset:20992
	s_waitcnt lgkmcnt(1)
	v_add_nc_u32_e32 v3, v3, v55
	v_lshlrev_b64 v[156:157], 3, v[3:4]
	v_add_co_u32 v156, vcc_lo, s54, v156
	v_add_co_ci_u32_e64 v157, null, s55, v157, vcc_lo
	s_waitcnt lgkmcnt(0)
	global_store_dwordx2 v[156:157], v[40:41], off
	s_or_b32 exec_lo, exec_lo, s22
	s_and_saveexec_b32 s22, s34
	s_cbranch_execz .LBB604_1181
.LBB604_1249:                           ;   in Loop: Header=BB604_1032 Depth=2
	v_lshlrev_b32_e32 v3, 2, v142
	ds_read_b32 v3, v3
	ds_read_b64 v[40:41], v39 offset:23040
	s_waitcnt lgkmcnt(1)
	v_add_nc_u32_e32 v3, v3, v56
	v_lshlrev_b64 v[156:157], 3, v[3:4]
	v_add_co_u32 v156, vcc_lo, s54, v156
	v_add_co_ci_u32_e64 v157, null, s55, v157, vcc_lo
	s_waitcnt lgkmcnt(0)
	global_store_dwordx2 v[156:157], v[40:41], off
	s_or_b32 exec_lo, exec_lo, s22
	s_and_saveexec_b32 s22, s35
	s_cbranch_execz .LBB604_1182
.LBB604_1250:                           ;   in Loop: Header=BB604_1032 Depth=2
	v_lshlrev_b32_e32 v3, 2, v141
	ds_read_b32 v3, v3
	ds_read_b64 v[40:41], v39 offset:25088
	s_waitcnt lgkmcnt(1)
	v_add_nc_u32_e32 v3, v3, v57
	v_lshlrev_b64 v[156:157], 3, v[3:4]
	v_add_co_u32 v156, vcc_lo, s54, v156
	v_add_co_ci_u32_e64 v157, null, s55, v157, vcc_lo
	s_waitcnt lgkmcnt(0)
	global_store_dwordx2 v[156:157], v[40:41], off
	s_or_b32 exec_lo, exec_lo, s22
	s_and_saveexec_b32 s22, s36
	s_cbranch_execz .LBB604_1183
.LBB604_1251:                           ;   in Loop: Header=BB604_1032 Depth=2
	v_lshlrev_b32_e32 v3, 2, v140
	ds_read_b32 v3, v3
	ds_read_b64 v[40:41], v39 offset:27136
	s_waitcnt lgkmcnt(1)
	v_add_nc_u32_e32 v3, v3, v58
	v_lshlrev_b64 v[156:157], 3, v[3:4]
	v_add_co_u32 v156, vcc_lo, s54, v156
	v_add_co_ci_u32_e64 v157, null, s55, v157, vcc_lo
	s_waitcnt lgkmcnt(0)
	global_store_dwordx2 v[156:157], v[40:41], off
	s_or_b32 exec_lo, exec_lo, s22
	s_and_saveexec_b32 s22, s37
	s_cbranch_execz .LBB604_1184
.LBB604_1252:                           ;   in Loop: Header=BB604_1032 Depth=2
	v_lshlrev_b32_e32 v3, 2, v139
	ds_read_b32 v3, v3
	ds_read_b64 v[40:41], v39 offset:29184
	s_waitcnt lgkmcnt(1)
	v_add_nc_u32_e32 v3, v3, v59
	v_lshlrev_b64 v[156:157], 3, v[3:4]
	v_add_co_u32 v156, vcc_lo, s54, v156
	v_add_co_ci_u32_e64 v157, null, s55, v157, vcc_lo
	s_waitcnt lgkmcnt(0)
	global_store_dwordx2 v[156:157], v[40:41], off
	s_or_b32 exec_lo, exec_lo, s22
	s_and_saveexec_b32 s22, s38
	s_cbranch_execz .LBB604_1185
.LBB604_1253:                           ;   in Loop: Header=BB604_1032 Depth=2
	v_lshlrev_b32_e32 v3, 2, v138
	ds_read_b32 v3, v3
	ds_read_b64 v[40:41], v39 offset:31232
	s_waitcnt lgkmcnt(1)
	v_add_nc_u32_e32 v3, v3, v60
	v_lshlrev_b64 v[156:157], 3, v[3:4]
	v_add_co_u32 v156, vcc_lo, s54, v156
	v_add_co_ci_u32_e64 v157, null, s55, v157, vcc_lo
	s_waitcnt lgkmcnt(0)
	global_store_dwordx2 v[156:157], v[40:41], off
	s_or_b32 exec_lo, exec_lo, s22
	s_and_saveexec_b32 s22, s39
	s_cbranch_execnz .LBB604_1186
	s_branch .LBB604_1187
.LBB604_1254:
	s_endpgm
	.section	.rodata,"a",@progbits
	.p2align	6, 0x0
	.amdhsa_kernel _ZN7rocprim17ROCPRIM_400000_NS6detail17trampoline_kernelINS0_14default_configENS1_36segmented_radix_sort_config_selectorIilEEZNS1_25segmented_radix_sort_implIS3_Lb0EPKiPiPKlPlN2at6native12_GLOBAL__N_18offset_tEEE10hipError_tPvRmT1_PNSt15iterator_traitsISK_E10value_typeET2_T3_PNSL_ISQ_E10value_typeET4_jRbjT5_SW_jjP12ihipStream_tbEUlT_E_NS1_11comp_targetILNS1_3genE8ELNS1_11target_archE1030ELNS1_3gpuE2ELNS1_3repE0EEENS1_30default_config_static_selectorELNS0_4arch9wavefront6targetE0EEEvSK_
		.amdhsa_group_segment_fixed_size 35344
		.amdhsa_private_segment_fixed_size 196
		.amdhsa_kernarg_size 352
		.amdhsa_user_sgpr_count 6
		.amdhsa_user_sgpr_private_segment_buffer 1
		.amdhsa_user_sgpr_dispatch_ptr 0
		.amdhsa_user_sgpr_queue_ptr 0
		.amdhsa_user_sgpr_kernarg_segment_ptr 1
		.amdhsa_user_sgpr_dispatch_id 0
		.amdhsa_user_sgpr_flat_scratch_init 0
		.amdhsa_user_sgpr_private_segment_size 0
		.amdhsa_wavefront_size32 1
		.amdhsa_uses_dynamic_stack 0
		.amdhsa_system_sgpr_private_segment_wavefront_offset 1
		.amdhsa_system_sgpr_workgroup_id_x 1
		.amdhsa_system_sgpr_workgroup_id_y 1
		.amdhsa_system_sgpr_workgroup_id_z 0
		.amdhsa_system_sgpr_workgroup_info 0
		.amdhsa_system_vgpr_workitem_id 2
		.amdhsa_next_free_vgpr 248
		.amdhsa_next_free_sgpr 68
		.amdhsa_reserve_vcc 1
		.amdhsa_reserve_flat_scratch 0
		.amdhsa_float_round_mode_32 0
		.amdhsa_float_round_mode_16_64 0
		.amdhsa_float_denorm_mode_32 3
		.amdhsa_float_denorm_mode_16_64 3
		.amdhsa_dx10_clamp 1
		.amdhsa_ieee_mode 1
		.amdhsa_fp16_overflow 0
		.amdhsa_workgroup_processor_mode 1
		.amdhsa_memory_ordered 1
		.amdhsa_forward_progress 1
		.amdhsa_shared_vgpr_count 0
		.amdhsa_exception_fp_ieee_invalid_op 0
		.amdhsa_exception_fp_denorm_src 0
		.amdhsa_exception_fp_ieee_div_zero 0
		.amdhsa_exception_fp_ieee_overflow 0
		.amdhsa_exception_fp_ieee_underflow 0
		.amdhsa_exception_fp_ieee_inexact 0
		.amdhsa_exception_int_div_zero 0
	.end_amdhsa_kernel
	.section	.text._ZN7rocprim17ROCPRIM_400000_NS6detail17trampoline_kernelINS0_14default_configENS1_36segmented_radix_sort_config_selectorIilEEZNS1_25segmented_radix_sort_implIS3_Lb0EPKiPiPKlPlN2at6native12_GLOBAL__N_18offset_tEEE10hipError_tPvRmT1_PNSt15iterator_traitsISK_E10value_typeET2_T3_PNSL_ISQ_E10value_typeET4_jRbjT5_SW_jjP12ihipStream_tbEUlT_E_NS1_11comp_targetILNS1_3genE8ELNS1_11target_archE1030ELNS1_3gpuE2ELNS1_3repE0EEENS1_30default_config_static_selectorELNS0_4arch9wavefront6targetE0EEEvSK_,"axG",@progbits,_ZN7rocprim17ROCPRIM_400000_NS6detail17trampoline_kernelINS0_14default_configENS1_36segmented_radix_sort_config_selectorIilEEZNS1_25segmented_radix_sort_implIS3_Lb0EPKiPiPKlPlN2at6native12_GLOBAL__N_18offset_tEEE10hipError_tPvRmT1_PNSt15iterator_traitsISK_E10value_typeET2_T3_PNSL_ISQ_E10value_typeET4_jRbjT5_SW_jjP12ihipStream_tbEUlT_E_NS1_11comp_targetILNS1_3genE8ELNS1_11target_archE1030ELNS1_3gpuE2ELNS1_3repE0EEENS1_30default_config_static_selectorELNS0_4arch9wavefront6targetE0EEEvSK_,comdat
.Lfunc_end604:
	.size	_ZN7rocprim17ROCPRIM_400000_NS6detail17trampoline_kernelINS0_14default_configENS1_36segmented_radix_sort_config_selectorIilEEZNS1_25segmented_radix_sort_implIS3_Lb0EPKiPiPKlPlN2at6native12_GLOBAL__N_18offset_tEEE10hipError_tPvRmT1_PNSt15iterator_traitsISK_E10value_typeET2_T3_PNSL_ISQ_E10value_typeET4_jRbjT5_SW_jjP12ihipStream_tbEUlT_E_NS1_11comp_targetILNS1_3genE8ELNS1_11target_archE1030ELNS1_3gpuE2ELNS1_3repE0EEENS1_30default_config_static_selectorELNS0_4arch9wavefront6targetE0EEEvSK_, .Lfunc_end604-_ZN7rocprim17ROCPRIM_400000_NS6detail17trampoline_kernelINS0_14default_configENS1_36segmented_radix_sort_config_selectorIilEEZNS1_25segmented_radix_sort_implIS3_Lb0EPKiPiPKlPlN2at6native12_GLOBAL__N_18offset_tEEE10hipError_tPvRmT1_PNSt15iterator_traitsISK_E10value_typeET2_T3_PNSL_ISQ_E10value_typeET4_jRbjT5_SW_jjP12ihipStream_tbEUlT_E_NS1_11comp_targetILNS1_3genE8ELNS1_11target_archE1030ELNS1_3gpuE2ELNS1_3repE0EEENS1_30default_config_static_selectorELNS0_4arch9wavefront6targetE0EEEvSK_
                                        ; -- End function
	.set _ZN7rocprim17ROCPRIM_400000_NS6detail17trampoline_kernelINS0_14default_configENS1_36segmented_radix_sort_config_selectorIilEEZNS1_25segmented_radix_sort_implIS3_Lb0EPKiPiPKlPlN2at6native12_GLOBAL__N_18offset_tEEE10hipError_tPvRmT1_PNSt15iterator_traitsISK_E10value_typeET2_T3_PNSL_ISQ_E10value_typeET4_jRbjT5_SW_jjP12ihipStream_tbEUlT_E_NS1_11comp_targetILNS1_3genE8ELNS1_11target_archE1030ELNS1_3gpuE2ELNS1_3repE0EEENS1_30default_config_static_selectorELNS0_4arch9wavefront6targetE0EEEvSK_.num_vgpr, max(227, .L_ZN7rocprim17ROCPRIM_400000_NS6detail40segmented_radix_sort_single_block_helperIilLj256ELj17ELb0EE4sortIPKiPiPKlPlEEbT_T0_T1_T2_jjjjRNS3_12storage_typeE.num_vgpr)
	.set _ZN7rocprim17ROCPRIM_400000_NS6detail17trampoline_kernelINS0_14default_configENS1_36segmented_radix_sort_config_selectorIilEEZNS1_25segmented_radix_sort_implIS3_Lb0EPKiPiPKlPlN2at6native12_GLOBAL__N_18offset_tEEE10hipError_tPvRmT1_PNSt15iterator_traitsISK_E10value_typeET2_T3_PNSL_ISQ_E10value_typeET4_jRbjT5_SW_jjP12ihipStream_tbEUlT_E_NS1_11comp_targetILNS1_3genE8ELNS1_11target_archE1030ELNS1_3gpuE2ELNS1_3repE0EEENS1_30default_config_static_selectorELNS0_4arch9wavefront6targetE0EEEvSK_.num_agpr, max(0, .L_ZN7rocprim17ROCPRIM_400000_NS6detail40segmented_radix_sort_single_block_helperIilLj256ELj17ELb0EE4sortIPKiPiPKlPlEEbT_T0_T1_T2_jjjjRNS3_12storage_typeE.num_agpr)
	.set _ZN7rocprim17ROCPRIM_400000_NS6detail17trampoline_kernelINS0_14default_configENS1_36segmented_radix_sort_config_selectorIilEEZNS1_25segmented_radix_sort_implIS3_Lb0EPKiPiPKlPlN2at6native12_GLOBAL__N_18offset_tEEE10hipError_tPvRmT1_PNSt15iterator_traitsISK_E10value_typeET2_T3_PNSL_ISQ_E10value_typeET4_jRbjT5_SW_jjP12ihipStream_tbEUlT_E_NS1_11comp_targetILNS1_3genE8ELNS1_11target_archE1030ELNS1_3gpuE2ELNS1_3repE0EEENS1_30default_config_static_selectorELNS0_4arch9wavefront6targetE0EEEvSK_.numbered_sgpr, max(68, .L_ZN7rocprim17ROCPRIM_400000_NS6detail40segmented_radix_sort_single_block_helperIilLj256ELj17ELb0EE4sortIPKiPiPKlPlEEbT_T0_T1_T2_jjjjRNS3_12storage_typeE.numbered_sgpr)
	.set _ZN7rocprim17ROCPRIM_400000_NS6detail17trampoline_kernelINS0_14default_configENS1_36segmented_radix_sort_config_selectorIilEEZNS1_25segmented_radix_sort_implIS3_Lb0EPKiPiPKlPlN2at6native12_GLOBAL__N_18offset_tEEE10hipError_tPvRmT1_PNSt15iterator_traitsISK_E10value_typeET2_T3_PNSL_ISQ_E10value_typeET4_jRbjT5_SW_jjP12ihipStream_tbEUlT_E_NS1_11comp_targetILNS1_3genE8ELNS1_11target_archE1030ELNS1_3gpuE2ELNS1_3repE0EEENS1_30default_config_static_selectorELNS0_4arch9wavefront6targetE0EEEvSK_.num_named_barrier, max(0, .L_ZN7rocprim17ROCPRIM_400000_NS6detail40segmented_radix_sort_single_block_helperIilLj256ELj17ELb0EE4sortIPKiPiPKlPlEEbT_T0_T1_T2_jjjjRNS3_12storage_typeE.num_named_barrier)
	.set _ZN7rocprim17ROCPRIM_400000_NS6detail17trampoline_kernelINS0_14default_configENS1_36segmented_radix_sort_config_selectorIilEEZNS1_25segmented_radix_sort_implIS3_Lb0EPKiPiPKlPlN2at6native12_GLOBAL__N_18offset_tEEE10hipError_tPvRmT1_PNSt15iterator_traitsISK_E10value_typeET2_T3_PNSL_ISQ_E10value_typeET4_jRbjT5_SW_jjP12ihipStream_tbEUlT_E_NS1_11comp_targetILNS1_3genE8ELNS1_11target_archE1030ELNS1_3gpuE2ELNS1_3repE0EEENS1_30default_config_static_selectorELNS0_4arch9wavefront6targetE0EEEvSK_.private_seg_size, 0+max(.L_ZN7rocprim17ROCPRIM_400000_NS6detail40segmented_radix_sort_single_block_helperIilLj256ELj17ELb0EE4sortIPKiPiPKlPlEEbT_T0_T1_T2_jjjjRNS3_12storage_typeE.private_seg_size)
	.set _ZN7rocprim17ROCPRIM_400000_NS6detail17trampoline_kernelINS0_14default_configENS1_36segmented_radix_sort_config_selectorIilEEZNS1_25segmented_radix_sort_implIS3_Lb0EPKiPiPKlPlN2at6native12_GLOBAL__N_18offset_tEEE10hipError_tPvRmT1_PNSt15iterator_traitsISK_E10value_typeET2_T3_PNSL_ISQ_E10value_typeET4_jRbjT5_SW_jjP12ihipStream_tbEUlT_E_NS1_11comp_targetILNS1_3genE8ELNS1_11target_archE1030ELNS1_3gpuE2ELNS1_3repE0EEENS1_30default_config_static_selectorELNS0_4arch9wavefront6targetE0EEEvSK_.uses_vcc, or(1, .L_ZN7rocprim17ROCPRIM_400000_NS6detail40segmented_radix_sort_single_block_helperIilLj256ELj17ELb0EE4sortIPKiPiPKlPlEEbT_T0_T1_T2_jjjjRNS3_12storage_typeE.uses_vcc)
	.set _ZN7rocprim17ROCPRIM_400000_NS6detail17trampoline_kernelINS0_14default_configENS1_36segmented_radix_sort_config_selectorIilEEZNS1_25segmented_radix_sort_implIS3_Lb0EPKiPiPKlPlN2at6native12_GLOBAL__N_18offset_tEEE10hipError_tPvRmT1_PNSt15iterator_traitsISK_E10value_typeET2_T3_PNSL_ISQ_E10value_typeET4_jRbjT5_SW_jjP12ihipStream_tbEUlT_E_NS1_11comp_targetILNS1_3genE8ELNS1_11target_archE1030ELNS1_3gpuE2ELNS1_3repE0EEENS1_30default_config_static_selectorELNS0_4arch9wavefront6targetE0EEEvSK_.uses_flat_scratch, or(0, .L_ZN7rocprim17ROCPRIM_400000_NS6detail40segmented_radix_sort_single_block_helperIilLj256ELj17ELb0EE4sortIPKiPiPKlPlEEbT_T0_T1_T2_jjjjRNS3_12storage_typeE.uses_flat_scratch)
	.set _ZN7rocprim17ROCPRIM_400000_NS6detail17trampoline_kernelINS0_14default_configENS1_36segmented_radix_sort_config_selectorIilEEZNS1_25segmented_radix_sort_implIS3_Lb0EPKiPiPKlPlN2at6native12_GLOBAL__N_18offset_tEEE10hipError_tPvRmT1_PNSt15iterator_traitsISK_E10value_typeET2_T3_PNSL_ISQ_E10value_typeET4_jRbjT5_SW_jjP12ihipStream_tbEUlT_E_NS1_11comp_targetILNS1_3genE8ELNS1_11target_archE1030ELNS1_3gpuE2ELNS1_3repE0EEENS1_30default_config_static_selectorELNS0_4arch9wavefront6targetE0EEEvSK_.has_dyn_sized_stack, or(0, .L_ZN7rocprim17ROCPRIM_400000_NS6detail40segmented_radix_sort_single_block_helperIilLj256ELj17ELb0EE4sortIPKiPiPKlPlEEbT_T0_T1_T2_jjjjRNS3_12storage_typeE.has_dyn_sized_stack)
	.set _ZN7rocprim17ROCPRIM_400000_NS6detail17trampoline_kernelINS0_14default_configENS1_36segmented_radix_sort_config_selectorIilEEZNS1_25segmented_radix_sort_implIS3_Lb0EPKiPiPKlPlN2at6native12_GLOBAL__N_18offset_tEEE10hipError_tPvRmT1_PNSt15iterator_traitsISK_E10value_typeET2_T3_PNSL_ISQ_E10value_typeET4_jRbjT5_SW_jjP12ihipStream_tbEUlT_E_NS1_11comp_targetILNS1_3genE8ELNS1_11target_archE1030ELNS1_3gpuE2ELNS1_3repE0EEENS1_30default_config_static_selectorELNS0_4arch9wavefront6targetE0EEEvSK_.has_recursion, or(0, .L_ZN7rocprim17ROCPRIM_400000_NS6detail40segmented_radix_sort_single_block_helperIilLj256ELj17ELb0EE4sortIPKiPiPKlPlEEbT_T0_T1_T2_jjjjRNS3_12storage_typeE.has_recursion)
	.set _ZN7rocprim17ROCPRIM_400000_NS6detail17trampoline_kernelINS0_14default_configENS1_36segmented_radix_sort_config_selectorIilEEZNS1_25segmented_radix_sort_implIS3_Lb0EPKiPiPKlPlN2at6native12_GLOBAL__N_18offset_tEEE10hipError_tPvRmT1_PNSt15iterator_traitsISK_E10value_typeET2_T3_PNSL_ISQ_E10value_typeET4_jRbjT5_SW_jjP12ihipStream_tbEUlT_E_NS1_11comp_targetILNS1_3genE8ELNS1_11target_archE1030ELNS1_3gpuE2ELNS1_3repE0EEENS1_30default_config_static_selectorELNS0_4arch9wavefront6targetE0EEEvSK_.has_indirect_call, or(0, .L_ZN7rocprim17ROCPRIM_400000_NS6detail40segmented_radix_sort_single_block_helperIilLj256ELj17ELb0EE4sortIPKiPiPKlPlEEbT_T0_T1_T2_jjjjRNS3_12storage_typeE.has_indirect_call)
	.section	.AMDGPU.csdata,"",@progbits
; Kernel info:
; codeLenInByte = 63528
; TotalNumSgprs: 70
; NumVgprs: 248
; ScratchSize: 196
; MemoryBound: 0
; FloatMode: 240
; IeeeMode: 1
; LDSByteSize: 35344 bytes/workgroup (compile time only)
; SGPRBlocks: 0
; VGPRBlocks: 30
; NumSGPRsForWavesPerEU: 70
; NumVGPRsForWavesPerEU: 248
; Occupancy: 4
; WaveLimiterHint : 1
; COMPUTE_PGM_RSRC2:SCRATCH_EN: 1
; COMPUTE_PGM_RSRC2:USER_SGPR: 6
; COMPUTE_PGM_RSRC2:TRAP_HANDLER: 0
; COMPUTE_PGM_RSRC2:TGID_X_EN: 1
; COMPUTE_PGM_RSRC2:TGID_Y_EN: 1
; COMPUTE_PGM_RSRC2:TGID_Z_EN: 0
; COMPUTE_PGM_RSRC2:TIDIG_COMP_CNT: 2
	.section	.text._ZN7rocprim17ROCPRIM_400000_NS6detail17trampoline_kernelINS0_14default_configENS1_36segmented_radix_sort_config_selectorIilEEZNS1_25segmented_radix_sort_implIS3_Lb0EPKiPiPKlPlN2at6native12_GLOBAL__N_18offset_tEEE10hipError_tPvRmT1_PNSt15iterator_traitsISK_E10value_typeET2_T3_PNSL_ISQ_E10value_typeET4_jRbjT5_SW_jjP12ihipStream_tbEUlT_E0_NS1_11comp_targetILNS1_3genE0ELNS1_11target_archE4294967295ELNS1_3gpuE0ELNS1_3repE0EEENS1_60segmented_radix_sort_warp_sort_medium_config_static_selectorELNS0_4arch9wavefront6targetE0EEEvSK_,"axG",@progbits,_ZN7rocprim17ROCPRIM_400000_NS6detail17trampoline_kernelINS0_14default_configENS1_36segmented_radix_sort_config_selectorIilEEZNS1_25segmented_radix_sort_implIS3_Lb0EPKiPiPKlPlN2at6native12_GLOBAL__N_18offset_tEEE10hipError_tPvRmT1_PNSt15iterator_traitsISK_E10value_typeET2_T3_PNSL_ISQ_E10value_typeET4_jRbjT5_SW_jjP12ihipStream_tbEUlT_E0_NS1_11comp_targetILNS1_3genE0ELNS1_11target_archE4294967295ELNS1_3gpuE0ELNS1_3repE0EEENS1_60segmented_radix_sort_warp_sort_medium_config_static_selectorELNS0_4arch9wavefront6targetE0EEEvSK_,comdat
	.globl	_ZN7rocprim17ROCPRIM_400000_NS6detail17trampoline_kernelINS0_14default_configENS1_36segmented_radix_sort_config_selectorIilEEZNS1_25segmented_radix_sort_implIS3_Lb0EPKiPiPKlPlN2at6native12_GLOBAL__N_18offset_tEEE10hipError_tPvRmT1_PNSt15iterator_traitsISK_E10value_typeET2_T3_PNSL_ISQ_E10value_typeET4_jRbjT5_SW_jjP12ihipStream_tbEUlT_E0_NS1_11comp_targetILNS1_3genE0ELNS1_11target_archE4294967295ELNS1_3gpuE0ELNS1_3repE0EEENS1_60segmented_radix_sort_warp_sort_medium_config_static_selectorELNS0_4arch9wavefront6targetE0EEEvSK_ ; -- Begin function _ZN7rocprim17ROCPRIM_400000_NS6detail17trampoline_kernelINS0_14default_configENS1_36segmented_radix_sort_config_selectorIilEEZNS1_25segmented_radix_sort_implIS3_Lb0EPKiPiPKlPlN2at6native12_GLOBAL__N_18offset_tEEE10hipError_tPvRmT1_PNSt15iterator_traitsISK_E10value_typeET2_T3_PNSL_ISQ_E10value_typeET4_jRbjT5_SW_jjP12ihipStream_tbEUlT_E0_NS1_11comp_targetILNS1_3genE0ELNS1_11target_archE4294967295ELNS1_3gpuE0ELNS1_3repE0EEENS1_60segmented_radix_sort_warp_sort_medium_config_static_selectorELNS0_4arch9wavefront6targetE0EEEvSK_
	.p2align	8
	.type	_ZN7rocprim17ROCPRIM_400000_NS6detail17trampoline_kernelINS0_14default_configENS1_36segmented_radix_sort_config_selectorIilEEZNS1_25segmented_radix_sort_implIS3_Lb0EPKiPiPKlPlN2at6native12_GLOBAL__N_18offset_tEEE10hipError_tPvRmT1_PNSt15iterator_traitsISK_E10value_typeET2_T3_PNSL_ISQ_E10value_typeET4_jRbjT5_SW_jjP12ihipStream_tbEUlT_E0_NS1_11comp_targetILNS1_3genE0ELNS1_11target_archE4294967295ELNS1_3gpuE0ELNS1_3repE0EEENS1_60segmented_radix_sort_warp_sort_medium_config_static_selectorELNS0_4arch9wavefront6targetE0EEEvSK_,@function
_ZN7rocprim17ROCPRIM_400000_NS6detail17trampoline_kernelINS0_14default_configENS1_36segmented_radix_sort_config_selectorIilEEZNS1_25segmented_radix_sort_implIS3_Lb0EPKiPiPKlPlN2at6native12_GLOBAL__N_18offset_tEEE10hipError_tPvRmT1_PNSt15iterator_traitsISK_E10value_typeET2_T3_PNSL_ISQ_E10value_typeET4_jRbjT5_SW_jjP12ihipStream_tbEUlT_E0_NS1_11comp_targetILNS1_3genE0ELNS1_11target_archE4294967295ELNS1_3gpuE0ELNS1_3repE0EEENS1_60segmented_radix_sort_warp_sort_medium_config_static_selectorELNS0_4arch9wavefront6targetE0EEEvSK_: ; @_ZN7rocprim17ROCPRIM_400000_NS6detail17trampoline_kernelINS0_14default_configENS1_36segmented_radix_sort_config_selectorIilEEZNS1_25segmented_radix_sort_implIS3_Lb0EPKiPiPKlPlN2at6native12_GLOBAL__N_18offset_tEEE10hipError_tPvRmT1_PNSt15iterator_traitsISK_E10value_typeET2_T3_PNSL_ISQ_E10value_typeET4_jRbjT5_SW_jjP12ihipStream_tbEUlT_E0_NS1_11comp_targetILNS1_3genE0ELNS1_11target_archE4294967295ELNS1_3gpuE0ELNS1_3repE0EEENS1_60segmented_radix_sort_warp_sort_medium_config_static_selectorELNS0_4arch9wavefront6targetE0EEEvSK_
; %bb.0:
	.section	.rodata,"a",@progbits
	.p2align	6, 0x0
	.amdhsa_kernel _ZN7rocprim17ROCPRIM_400000_NS6detail17trampoline_kernelINS0_14default_configENS1_36segmented_radix_sort_config_selectorIilEEZNS1_25segmented_radix_sort_implIS3_Lb0EPKiPiPKlPlN2at6native12_GLOBAL__N_18offset_tEEE10hipError_tPvRmT1_PNSt15iterator_traitsISK_E10value_typeET2_T3_PNSL_ISQ_E10value_typeET4_jRbjT5_SW_jjP12ihipStream_tbEUlT_E0_NS1_11comp_targetILNS1_3genE0ELNS1_11target_archE4294967295ELNS1_3gpuE0ELNS1_3repE0EEENS1_60segmented_radix_sort_warp_sort_medium_config_static_selectorELNS0_4arch9wavefront6targetE0EEEvSK_
		.amdhsa_group_segment_fixed_size 0
		.amdhsa_private_segment_fixed_size 0
		.amdhsa_kernarg_size 88
		.amdhsa_user_sgpr_count 6
		.amdhsa_user_sgpr_private_segment_buffer 1
		.amdhsa_user_sgpr_dispatch_ptr 0
		.amdhsa_user_sgpr_queue_ptr 0
		.amdhsa_user_sgpr_kernarg_segment_ptr 1
		.amdhsa_user_sgpr_dispatch_id 0
		.amdhsa_user_sgpr_flat_scratch_init 0
		.amdhsa_user_sgpr_private_segment_size 0
		.amdhsa_wavefront_size32 1
		.amdhsa_uses_dynamic_stack 0
		.amdhsa_system_sgpr_private_segment_wavefront_offset 0
		.amdhsa_system_sgpr_workgroup_id_x 1
		.amdhsa_system_sgpr_workgroup_id_y 0
		.amdhsa_system_sgpr_workgroup_id_z 0
		.amdhsa_system_sgpr_workgroup_info 0
		.amdhsa_system_vgpr_workitem_id 0
		.amdhsa_next_free_vgpr 1
		.amdhsa_next_free_sgpr 1
		.amdhsa_reserve_vcc 0
		.amdhsa_reserve_flat_scratch 0
		.amdhsa_float_round_mode_32 0
		.amdhsa_float_round_mode_16_64 0
		.amdhsa_float_denorm_mode_32 3
		.amdhsa_float_denorm_mode_16_64 3
		.amdhsa_dx10_clamp 1
		.amdhsa_ieee_mode 1
		.amdhsa_fp16_overflow 0
		.amdhsa_workgroup_processor_mode 1
		.amdhsa_memory_ordered 1
		.amdhsa_forward_progress 1
		.amdhsa_shared_vgpr_count 0
		.amdhsa_exception_fp_ieee_invalid_op 0
		.amdhsa_exception_fp_denorm_src 0
		.amdhsa_exception_fp_ieee_div_zero 0
		.amdhsa_exception_fp_ieee_overflow 0
		.amdhsa_exception_fp_ieee_underflow 0
		.amdhsa_exception_fp_ieee_inexact 0
		.amdhsa_exception_int_div_zero 0
	.end_amdhsa_kernel
	.section	.text._ZN7rocprim17ROCPRIM_400000_NS6detail17trampoline_kernelINS0_14default_configENS1_36segmented_radix_sort_config_selectorIilEEZNS1_25segmented_radix_sort_implIS3_Lb0EPKiPiPKlPlN2at6native12_GLOBAL__N_18offset_tEEE10hipError_tPvRmT1_PNSt15iterator_traitsISK_E10value_typeET2_T3_PNSL_ISQ_E10value_typeET4_jRbjT5_SW_jjP12ihipStream_tbEUlT_E0_NS1_11comp_targetILNS1_3genE0ELNS1_11target_archE4294967295ELNS1_3gpuE0ELNS1_3repE0EEENS1_60segmented_radix_sort_warp_sort_medium_config_static_selectorELNS0_4arch9wavefront6targetE0EEEvSK_,"axG",@progbits,_ZN7rocprim17ROCPRIM_400000_NS6detail17trampoline_kernelINS0_14default_configENS1_36segmented_radix_sort_config_selectorIilEEZNS1_25segmented_radix_sort_implIS3_Lb0EPKiPiPKlPlN2at6native12_GLOBAL__N_18offset_tEEE10hipError_tPvRmT1_PNSt15iterator_traitsISK_E10value_typeET2_T3_PNSL_ISQ_E10value_typeET4_jRbjT5_SW_jjP12ihipStream_tbEUlT_E0_NS1_11comp_targetILNS1_3genE0ELNS1_11target_archE4294967295ELNS1_3gpuE0ELNS1_3repE0EEENS1_60segmented_radix_sort_warp_sort_medium_config_static_selectorELNS0_4arch9wavefront6targetE0EEEvSK_,comdat
.Lfunc_end605:
	.size	_ZN7rocprim17ROCPRIM_400000_NS6detail17trampoline_kernelINS0_14default_configENS1_36segmented_radix_sort_config_selectorIilEEZNS1_25segmented_radix_sort_implIS3_Lb0EPKiPiPKlPlN2at6native12_GLOBAL__N_18offset_tEEE10hipError_tPvRmT1_PNSt15iterator_traitsISK_E10value_typeET2_T3_PNSL_ISQ_E10value_typeET4_jRbjT5_SW_jjP12ihipStream_tbEUlT_E0_NS1_11comp_targetILNS1_3genE0ELNS1_11target_archE4294967295ELNS1_3gpuE0ELNS1_3repE0EEENS1_60segmented_radix_sort_warp_sort_medium_config_static_selectorELNS0_4arch9wavefront6targetE0EEEvSK_, .Lfunc_end605-_ZN7rocprim17ROCPRIM_400000_NS6detail17trampoline_kernelINS0_14default_configENS1_36segmented_radix_sort_config_selectorIilEEZNS1_25segmented_radix_sort_implIS3_Lb0EPKiPiPKlPlN2at6native12_GLOBAL__N_18offset_tEEE10hipError_tPvRmT1_PNSt15iterator_traitsISK_E10value_typeET2_T3_PNSL_ISQ_E10value_typeET4_jRbjT5_SW_jjP12ihipStream_tbEUlT_E0_NS1_11comp_targetILNS1_3genE0ELNS1_11target_archE4294967295ELNS1_3gpuE0ELNS1_3repE0EEENS1_60segmented_radix_sort_warp_sort_medium_config_static_selectorELNS0_4arch9wavefront6targetE0EEEvSK_
                                        ; -- End function
	.set _ZN7rocprim17ROCPRIM_400000_NS6detail17trampoline_kernelINS0_14default_configENS1_36segmented_radix_sort_config_selectorIilEEZNS1_25segmented_radix_sort_implIS3_Lb0EPKiPiPKlPlN2at6native12_GLOBAL__N_18offset_tEEE10hipError_tPvRmT1_PNSt15iterator_traitsISK_E10value_typeET2_T3_PNSL_ISQ_E10value_typeET4_jRbjT5_SW_jjP12ihipStream_tbEUlT_E0_NS1_11comp_targetILNS1_3genE0ELNS1_11target_archE4294967295ELNS1_3gpuE0ELNS1_3repE0EEENS1_60segmented_radix_sort_warp_sort_medium_config_static_selectorELNS0_4arch9wavefront6targetE0EEEvSK_.num_vgpr, 0
	.set _ZN7rocprim17ROCPRIM_400000_NS6detail17trampoline_kernelINS0_14default_configENS1_36segmented_radix_sort_config_selectorIilEEZNS1_25segmented_radix_sort_implIS3_Lb0EPKiPiPKlPlN2at6native12_GLOBAL__N_18offset_tEEE10hipError_tPvRmT1_PNSt15iterator_traitsISK_E10value_typeET2_T3_PNSL_ISQ_E10value_typeET4_jRbjT5_SW_jjP12ihipStream_tbEUlT_E0_NS1_11comp_targetILNS1_3genE0ELNS1_11target_archE4294967295ELNS1_3gpuE0ELNS1_3repE0EEENS1_60segmented_radix_sort_warp_sort_medium_config_static_selectorELNS0_4arch9wavefront6targetE0EEEvSK_.num_agpr, 0
	.set _ZN7rocprim17ROCPRIM_400000_NS6detail17trampoline_kernelINS0_14default_configENS1_36segmented_radix_sort_config_selectorIilEEZNS1_25segmented_radix_sort_implIS3_Lb0EPKiPiPKlPlN2at6native12_GLOBAL__N_18offset_tEEE10hipError_tPvRmT1_PNSt15iterator_traitsISK_E10value_typeET2_T3_PNSL_ISQ_E10value_typeET4_jRbjT5_SW_jjP12ihipStream_tbEUlT_E0_NS1_11comp_targetILNS1_3genE0ELNS1_11target_archE4294967295ELNS1_3gpuE0ELNS1_3repE0EEENS1_60segmented_radix_sort_warp_sort_medium_config_static_selectorELNS0_4arch9wavefront6targetE0EEEvSK_.numbered_sgpr, 0
	.set _ZN7rocprim17ROCPRIM_400000_NS6detail17trampoline_kernelINS0_14default_configENS1_36segmented_radix_sort_config_selectorIilEEZNS1_25segmented_radix_sort_implIS3_Lb0EPKiPiPKlPlN2at6native12_GLOBAL__N_18offset_tEEE10hipError_tPvRmT1_PNSt15iterator_traitsISK_E10value_typeET2_T3_PNSL_ISQ_E10value_typeET4_jRbjT5_SW_jjP12ihipStream_tbEUlT_E0_NS1_11comp_targetILNS1_3genE0ELNS1_11target_archE4294967295ELNS1_3gpuE0ELNS1_3repE0EEENS1_60segmented_radix_sort_warp_sort_medium_config_static_selectorELNS0_4arch9wavefront6targetE0EEEvSK_.num_named_barrier, 0
	.set _ZN7rocprim17ROCPRIM_400000_NS6detail17trampoline_kernelINS0_14default_configENS1_36segmented_radix_sort_config_selectorIilEEZNS1_25segmented_radix_sort_implIS3_Lb0EPKiPiPKlPlN2at6native12_GLOBAL__N_18offset_tEEE10hipError_tPvRmT1_PNSt15iterator_traitsISK_E10value_typeET2_T3_PNSL_ISQ_E10value_typeET4_jRbjT5_SW_jjP12ihipStream_tbEUlT_E0_NS1_11comp_targetILNS1_3genE0ELNS1_11target_archE4294967295ELNS1_3gpuE0ELNS1_3repE0EEENS1_60segmented_radix_sort_warp_sort_medium_config_static_selectorELNS0_4arch9wavefront6targetE0EEEvSK_.private_seg_size, 0
	.set _ZN7rocprim17ROCPRIM_400000_NS6detail17trampoline_kernelINS0_14default_configENS1_36segmented_radix_sort_config_selectorIilEEZNS1_25segmented_radix_sort_implIS3_Lb0EPKiPiPKlPlN2at6native12_GLOBAL__N_18offset_tEEE10hipError_tPvRmT1_PNSt15iterator_traitsISK_E10value_typeET2_T3_PNSL_ISQ_E10value_typeET4_jRbjT5_SW_jjP12ihipStream_tbEUlT_E0_NS1_11comp_targetILNS1_3genE0ELNS1_11target_archE4294967295ELNS1_3gpuE0ELNS1_3repE0EEENS1_60segmented_radix_sort_warp_sort_medium_config_static_selectorELNS0_4arch9wavefront6targetE0EEEvSK_.uses_vcc, 0
	.set _ZN7rocprim17ROCPRIM_400000_NS6detail17trampoline_kernelINS0_14default_configENS1_36segmented_radix_sort_config_selectorIilEEZNS1_25segmented_radix_sort_implIS3_Lb0EPKiPiPKlPlN2at6native12_GLOBAL__N_18offset_tEEE10hipError_tPvRmT1_PNSt15iterator_traitsISK_E10value_typeET2_T3_PNSL_ISQ_E10value_typeET4_jRbjT5_SW_jjP12ihipStream_tbEUlT_E0_NS1_11comp_targetILNS1_3genE0ELNS1_11target_archE4294967295ELNS1_3gpuE0ELNS1_3repE0EEENS1_60segmented_radix_sort_warp_sort_medium_config_static_selectorELNS0_4arch9wavefront6targetE0EEEvSK_.uses_flat_scratch, 0
	.set _ZN7rocprim17ROCPRIM_400000_NS6detail17trampoline_kernelINS0_14default_configENS1_36segmented_radix_sort_config_selectorIilEEZNS1_25segmented_radix_sort_implIS3_Lb0EPKiPiPKlPlN2at6native12_GLOBAL__N_18offset_tEEE10hipError_tPvRmT1_PNSt15iterator_traitsISK_E10value_typeET2_T3_PNSL_ISQ_E10value_typeET4_jRbjT5_SW_jjP12ihipStream_tbEUlT_E0_NS1_11comp_targetILNS1_3genE0ELNS1_11target_archE4294967295ELNS1_3gpuE0ELNS1_3repE0EEENS1_60segmented_radix_sort_warp_sort_medium_config_static_selectorELNS0_4arch9wavefront6targetE0EEEvSK_.has_dyn_sized_stack, 0
	.set _ZN7rocprim17ROCPRIM_400000_NS6detail17trampoline_kernelINS0_14default_configENS1_36segmented_radix_sort_config_selectorIilEEZNS1_25segmented_radix_sort_implIS3_Lb0EPKiPiPKlPlN2at6native12_GLOBAL__N_18offset_tEEE10hipError_tPvRmT1_PNSt15iterator_traitsISK_E10value_typeET2_T3_PNSL_ISQ_E10value_typeET4_jRbjT5_SW_jjP12ihipStream_tbEUlT_E0_NS1_11comp_targetILNS1_3genE0ELNS1_11target_archE4294967295ELNS1_3gpuE0ELNS1_3repE0EEENS1_60segmented_radix_sort_warp_sort_medium_config_static_selectorELNS0_4arch9wavefront6targetE0EEEvSK_.has_recursion, 0
	.set _ZN7rocprim17ROCPRIM_400000_NS6detail17trampoline_kernelINS0_14default_configENS1_36segmented_radix_sort_config_selectorIilEEZNS1_25segmented_radix_sort_implIS3_Lb0EPKiPiPKlPlN2at6native12_GLOBAL__N_18offset_tEEE10hipError_tPvRmT1_PNSt15iterator_traitsISK_E10value_typeET2_T3_PNSL_ISQ_E10value_typeET4_jRbjT5_SW_jjP12ihipStream_tbEUlT_E0_NS1_11comp_targetILNS1_3genE0ELNS1_11target_archE4294967295ELNS1_3gpuE0ELNS1_3repE0EEENS1_60segmented_radix_sort_warp_sort_medium_config_static_selectorELNS0_4arch9wavefront6targetE0EEEvSK_.has_indirect_call, 0
	.section	.AMDGPU.csdata,"",@progbits
; Kernel info:
; codeLenInByte = 0
; TotalNumSgprs: 0
; NumVgprs: 0
; ScratchSize: 0
; MemoryBound: 0
; FloatMode: 240
; IeeeMode: 1
; LDSByteSize: 0 bytes/workgroup (compile time only)
; SGPRBlocks: 0
; VGPRBlocks: 0
; NumSGPRsForWavesPerEU: 1
; NumVGPRsForWavesPerEU: 1
; Occupancy: 16
; WaveLimiterHint : 0
; COMPUTE_PGM_RSRC2:SCRATCH_EN: 0
; COMPUTE_PGM_RSRC2:USER_SGPR: 6
; COMPUTE_PGM_RSRC2:TRAP_HANDLER: 0
; COMPUTE_PGM_RSRC2:TGID_X_EN: 1
; COMPUTE_PGM_RSRC2:TGID_Y_EN: 0
; COMPUTE_PGM_RSRC2:TGID_Z_EN: 0
; COMPUTE_PGM_RSRC2:TIDIG_COMP_CNT: 0
	.section	.text._ZN7rocprim17ROCPRIM_400000_NS6detail17trampoline_kernelINS0_14default_configENS1_36segmented_radix_sort_config_selectorIilEEZNS1_25segmented_radix_sort_implIS3_Lb0EPKiPiPKlPlN2at6native12_GLOBAL__N_18offset_tEEE10hipError_tPvRmT1_PNSt15iterator_traitsISK_E10value_typeET2_T3_PNSL_ISQ_E10value_typeET4_jRbjT5_SW_jjP12ihipStream_tbEUlT_E0_NS1_11comp_targetILNS1_3genE5ELNS1_11target_archE942ELNS1_3gpuE9ELNS1_3repE0EEENS1_60segmented_radix_sort_warp_sort_medium_config_static_selectorELNS0_4arch9wavefront6targetE0EEEvSK_,"axG",@progbits,_ZN7rocprim17ROCPRIM_400000_NS6detail17trampoline_kernelINS0_14default_configENS1_36segmented_radix_sort_config_selectorIilEEZNS1_25segmented_radix_sort_implIS3_Lb0EPKiPiPKlPlN2at6native12_GLOBAL__N_18offset_tEEE10hipError_tPvRmT1_PNSt15iterator_traitsISK_E10value_typeET2_T3_PNSL_ISQ_E10value_typeET4_jRbjT5_SW_jjP12ihipStream_tbEUlT_E0_NS1_11comp_targetILNS1_3genE5ELNS1_11target_archE942ELNS1_3gpuE9ELNS1_3repE0EEENS1_60segmented_radix_sort_warp_sort_medium_config_static_selectorELNS0_4arch9wavefront6targetE0EEEvSK_,comdat
	.globl	_ZN7rocprim17ROCPRIM_400000_NS6detail17trampoline_kernelINS0_14default_configENS1_36segmented_radix_sort_config_selectorIilEEZNS1_25segmented_radix_sort_implIS3_Lb0EPKiPiPKlPlN2at6native12_GLOBAL__N_18offset_tEEE10hipError_tPvRmT1_PNSt15iterator_traitsISK_E10value_typeET2_T3_PNSL_ISQ_E10value_typeET4_jRbjT5_SW_jjP12ihipStream_tbEUlT_E0_NS1_11comp_targetILNS1_3genE5ELNS1_11target_archE942ELNS1_3gpuE9ELNS1_3repE0EEENS1_60segmented_radix_sort_warp_sort_medium_config_static_selectorELNS0_4arch9wavefront6targetE0EEEvSK_ ; -- Begin function _ZN7rocprim17ROCPRIM_400000_NS6detail17trampoline_kernelINS0_14default_configENS1_36segmented_radix_sort_config_selectorIilEEZNS1_25segmented_radix_sort_implIS3_Lb0EPKiPiPKlPlN2at6native12_GLOBAL__N_18offset_tEEE10hipError_tPvRmT1_PNSt15iterator_traitsISK_E10value_typeET2_T3_PNSL_ISQ_E10value_typeET4_jRbjT5_SW_jjP12ihipStream_tbEUlT_E0_NS1_11comp_targetILNS1_3genE5ELNS1_11target_archE942ELNS1_3gpuE9ELNS1_3repE0EEENS1_60segmented_radix_sort_warp_sort_medium_config_static_selectorELNS0_4arch9wavefront6targetE0EEEvSK_
	.p2align	8
	.type	_ZN7rocprim17ROCPRIM_400000_NS6detail17trampoline_kernelINS0_14default_configENS1_36segmented_radix_sort_config_selectorIilEEZNS1_25segmented_radix_sort_implIS3_Lb0EPKiPiPKlPlN2at6native12_GLOBAL__N_18offset_tEEE10hipError_tPvRmT1_PNSt15iterator_traitsISK_E10value_typeET2_T3_PNSL_ISQ_E10value_typeET4_jRbjT5_SW_jjP12ihipStream_tbEUlT_E0_NS1_11comp_targetILNS1_3genE5ELNS1_11target_archE942ELNS1_3gpuE9ELNS1_3repE0EEENS1_60segmented_radix_sort_warp_sort_medium_config_static_selectorELNS0_4arch9wavefront6targetE0EEEvSK_,@function
_ZN7rocprim17ROCPRIM_400000_NS6detail17trampoline_kernelINS0_14default_configENS1_36segmented_radix_sort_config_selectorIilEEZNS1_25segmented_radix_sort_implIS3_Lb0EPKiPiPKlPlN2at6native12_GLOBAL__N_18offset_tEEE10hipError_tPvRmT1_PNSt15iterator_traitsISK_E10value_typeET2_T3_PNSL_ISQ_E10value_typeET4_jRbjT5_SW_jjP12ihipStream_tbEUlT_E0_NS1_11comp_targetILNS1_3genE5ELNS1_11target_archE942ELNS1_3gpuE9ELNS1_3repE0EEENS1_60segmented_radix_sort_warp_sort_medium_config_static_selectorELNS0_4arch9wavefront6targetE0EEEvSK_: ; @_ZN7rocprim17ROCPRIM_400000_NS6detail17trampoline_kernelINS0_14default_configENS1_36segmented_radix_sort_config_selectorIilEEZNS1_25segmented_radix_sort_implIS3_Lb0EPKiPiPKlPlN2at6native12_GLOBAL__N_18offset_tEEE10hipError_tPvRmT1_PNSt15iterator_traitsISK_E10value_typeET2_T3_PNSL_ISQ_E10value_typeET4_jRbjT5_SW_jjP12ihipStream_tbEUlT_E0_NS1_11comp_targetILNS1_3genE5ELNS1_11target_archE942ELNS1_3gpuE9ELNS1_3repE0EEENS1_60segmented_radix_sort_warp_sort_medium_config_static_selectorELNS0_4arch9wavefront6targetE0EEEvSK_
; %bb.0:
	.section	.rodata,"a",@progbits
	.p2align	6, 0x0
	.amdhsa_kernel _ZN7rocprim17ROCPRIM_400000_NS6detail17trampoline_kernelINS0_14default_configENS1_36segmented_radix_sort_config_selectorIilEEZNS1_25segmented_radix_sort_implIS3_Lb0EPKiPiPKlPlN2at6native12_GLOBAL__N_18offset_tEEE10hipError_tPvRmT1_PNSt15iterator_traitsISK_E10value_typeET2_T3_PNSL_ISQ_E10value_typeET4_jRbjT5_SW_jjP12ihipStream_tbEUlT_E0_NS1_11comp_targetILNS1_3genE5ELNS1_11target_archE942ELNS1_3gpuE9ELNS1_3repE0EEENS1_60segmented_radix_sort_warp_sort_medium_config_static_selectorELNS0_4arch9wavefront6targetE0EEEvSK_
		.amdhsa_group_segment_fixed_size 0
		.amdhsa_private_segment_fixed_size 0
		.amdhsa_kernarg_size 88
		.amdhsa_user_sgpr_count 6
		.amdhsa_user_sgpr_private_segment_buffer 1
		.amdhsa_user_sgpr_dispatch_ptr 0
		.amdhsa_user_sgpr_queue_ptr 0
		.amdhsa_user_sgpr_kernarg_segment_ptr 1
		.amdhsa_user_sgpr_dispatch_id 0
		.amdhsa_user_sgpr_flat_scratch_init 0
		.amdhsa_user_sgpr_private_segment_size 0
		.amdhsa_wavefront_size32 1
		.amdhsa_uses_dynamic_stack 0
		.amdhsa_system_sgpr_private_segment_wavefront_offset 0
		.amdhsa_system_sgpr_workgroup_id_x 1
		.amdhsa_system_sgpr_workgroup_id_y 0
		.amdhsa_system_sgpr_workgroup_id_z 0
		.amdhsa_system_sgpr_workgroup_info 0
		.amdhsa_system_vgpr_workitem_id 0
		.amdhsa_next_free_vgpr 1
		.amdhsa_next_free_sgpr 1
		.amdhsa_reserve_vcc 0
		.amdhsa_reserve_flat_scratch 0
		.amdhsa_float_round_mode_32 0
		.amdhsa_float_round_mode_16_64 0
		.amdhsa_float_denorm_mode_32 3
		.amdhsa_float_denorm_mode_16_64 3
		.amdhsa_dx10_clamp 1
		.amdhsa_ieee_mode 1
		.amdhsa_fp16_overflow 0
		.amdhsa_workgroup_processor_mode 1
		.amdhsa_memory_ordered 1
		.amdhsa_forward_progress 1
		.amdhsa_shared_vgpr_count 0
		.amdhsa_exception_fp_ieee_invalid_op 0
		.amdhsa_exception_fp_denorm_src 0
		.amdhsa_exception_fp_ieee_div_zero 0
		.amdhsa_exception_fp_ieee_overflow 0
		.amdhsa_exception_fp_ieee_underflow 0
		.amdhsa_exception_fp_ieee_inexact 0
		.amdhsa_exception_int_div_zero 0
	.end_amdhsa_kernel
	.section	.text._ZN7rocprim17ROCPRIM_400000_NS6detail17trampoline_kernelINS0_14default_configENS1_36segmented_radix_sort_config_selectorIilEEZNS1_25segmented_radix_sort_implIS3_Lb0EPKiPiPKlPlN2at6native12_GLOBAL__N_18offset_tEEE10hipError_tPvRmT1_PNSt15iterator_traitsISK_E10value_typeET2_T3_PNSL_ISQ_E10value_typeET4_jRbjT5_SW_jjP12ihipStream_tbEUlT_E0_NS1_11comp_targetILNS1_3genE5ELNS1_11target_archE942ELNS1_3gpuE9ELNS1_3repE0EEENS1_60segmented_radix_sort_warp_sort_medium_config_static_selectorELNS0_4arch9wavefront6targetE0EEEvSK_,"axG",@progbits,_ZN7rocprim17ROCPRIM_400000_NS6detail17trampoline_kernelINS0_14default_configENS1_36segmented_radix_sort_config_selectorIilEEZNS1_25segmented_radix_sort_implIS3_Lb0EPKiPiPKlPlN2at6native12_GLOBAL__N_18offset_tEEE10hipError_tPvRmT1_PNSt15iterator_traitsISK_E10value_typeET2_T3_PNSL_ISQ_E10value_typeET4_jRbjT5_SW_jjP12ihipStream_tbEUlT_E0_NS1_11comp_targetILNS1_3genE5ELNS1_11target_archE942ELNS1_3gpuE9ELNS1_3repE0EEENS1_60segmented_radix_sort_warp_sort_medium_config_static_selectorELNS0_4arch9wavefront6targetE0EEEvSK_,comdat
.Lfunc_end606:
	.size	_ZN7rocprim17ROCPRIM_400000_NS6detail17trampoline_kernelINS0_14default_configENS1_36segmented_radix_sort_config_selectorIilEEZNS1_25segmented_radix_sort_implIS3_Lb0EPKiPiPKlPlN2at6native12_GLOBAL__N_18offset_tEEE10hipError_tPvRmT1_PNSt15iterator_traitsISK_E10value_typeET2_T3_PNSL_ISQ_E10value_typeET4_jRbjT5_SW_jjP12ihipStream_tbEUlT_E0_NS1_11comp_targetILNS1_3genE5ELNS1_11target_archE942ELNS1_3gpuE9ELNS1_3repE0EEENS1_60segmented_radix_sort_warp_sort_medium_config_static_selectorELNS0_4arch9wavefront6targetE0EEEvSK_, .Lfunc_end606-_ZN7rocprim17ROCPRIM_400000_NS6detail17trampoline_kernelINS0_14default_configENS1_36segmented_radix_sort_config_selectorIilEEZNS1_25segmented_radix_sort_implIS3_Lb0EPKiPiPKlPlN2at6native12_GLOBAL__N_18offset_tEEE10hipError_tPvRmT1_PNSt15iterator_traitsISK_E10value_typeET2_T3_PNSL_ISQ_E10value_typeET4_jRbjT5_SW_jjP12ihipStream_tbEUlT_E0_NS1_11comp_targetILNS1_3genE5ELNS1_11target_archE942ELNS1_3gpuE9ELNS1_3repE0EEENS1_60segmented_radix_sort_warp_sort_medium_config_static_selectorELNS0_4arch9wavefront6targetE0EEEvSK_
                                        ; -- End function
	.set _ZN7rocprim17ROCPRIM_400000_NS6detail17trampoline_kernelINS0_14default_configENS1_36segmented_radix_sort_config_selectorIilEEZNS1_25segmented_radix_sort_implIS3_Lb0EPKiPiPKlPlN2at6native12_GLOBAL__N_18offset_tEEE10hipError_tPvRmT1_PNSt15iterator_traitsISK_E10value_typeET2_T3_PNSL_ISQ_E10value_typeET4_jRbjT5_SW_jjP12ihipStream_tbEUlT_E0_NS1_11comp_targetILNS1_3genE5ELNS1_11target_archE942ELNS1_3gpuE9ELNS1_3repE0EEENS1_60segmented_radix_sort_warp_sort_medium_config_static_selectorELNS0_4arch9wavefront6targetE0EEEvSK_.num_vgpr, 0
	.set _ZN7rocprim17ROCPRIM_400000_NS6detail17trampoline_kernelINS0_14default_configENS1_36segmented_radix_sort_config_selectorIilEEZNS1_25segmented_radix_sort_implIS3_Lb0EPKiPiPKlPlN2at6native12_GLOBAL__N_18offset_tEEE10hipError_tPvRmT1_PNSt15iterator_traitsISK_E10value_typeET2_T3_PNSL_ISQ_E10value_typeET4_jRbjT5_SW_jjP12ihipStream_tbEUlT_E0_NS1_11comp_targetILNS1_3genE5ELNS1_11target_archE942ELNS1_3gpuE9ELNS1_3repE0EEENS1_60segmented_radix_sort_warp_sort_medium_config_static_selectorELNS0_4arch9wavefront6targetE0EEEvSK_.num_agpr, 0
	.set _ZN7rocprim17ROCPRIM_400000_NS6detail17trampoline_kernelINS0_14default_configENS1_36segmented_radix_sort_config_selectorIilEEZNS1_25segmented_radix_sort_implIS3_Lb0EPKiPiPKlPlN2at6native12_GLOBAL__N_18offset_tEEE10hipError_tPvRmT1_PNSt15iterator_traitsISK_E10value_typeET2_T3_PNSL_ISQ_E10value_typeET4_jRbjT5_SW_jjP12ihipStream_tbEUlT_E0_NS1_11comp_targetILNS1_3genE5ELNS1_11target_archE942ELNS1_3gpuE9ELNS1_3repE0EEENS1_60segmented_radix_sort_warp_sort_medium_config_static_selectorELNS0_4arch9wavefront6targetE0EEEvSK_.numbered_sgpr, 0
	.set _ZN7rocprim17ROCPRIM_400000_NS6detail17trampoline_kernelINS0_14default_configENS1_36segmented_radix_sort_config_selectorIilEEZNS1_25segmented_radix_sort_implIS3_Lb0EPKiPiPKlPlN2at6native12_GLOBAL__N_18offset_tEEE10hipError_tPvRmT1_PNSt15iterator_traitsISK_E10value_typeET2_T3_PNSL_ISQ_E10value_typeET4_jRbjT5_SW_jjP12ihipStream_tbEUlT_E0_NS1_11comp_targetILNS1_3genE5ELNS1_11target_archE942ELNS1_3gpuE9ELNS1_3repE0EEENS1_60segmented_radix_sort_warp_sort_medium_config_static_selectorELNS0_4arch9wavefront6targetE0EEEvSK_.num_named_barrier, 0
	.set _ZN7rocprim17ROCPRIM_400000_NS6detail17trampoline_kernelINS0_14default_configENS1_36segmented_radix_sort_config_selectorIilEEZNS1_25segmented_radix_sort_implIS3_Lb0EPKiPiPKlPlN2at6native12_GLOBAL__N_18offset_tEEE10hipError_tPvRmT1_PNSt15iterator_traitsISK_E10value_typeET2_T3_PNSL_ISQ_E10value_typeET4_jRbjT5_SW_jjP12ihipStream_tbEUlT_E0_NS1_11comp_targetILNS1_3genE5ELNS1_11target_archE942ELNS1_3gpuE9ELNS1_3repE0EEENS1_60segmented_radix_sort_warp_sort_medium_config_static_selectorELNS0_4arch9wavefront6targetE0EEEvSK_.private_seg_size, 0
	.set _ZN7rocprim17ROCPRIM_400000_NS6detail17trampoline_kernelINS0_14default_configENS1_36segmented_radix_sort_config_selectorIilEEZNS1_25segmented_radix_sort_implIS3_Lb0EPKiPiPKlPlN2at6native12_GLOBAL__N_18offset_tEEE10hipError_tPvRmT1_PNSt15iterator_traitsISK_E10value_typeET2_T3_PNSL_ISQ_E10value_typeET4_jRbjT5_SW_jjP12ihipStream_tbEUlT_E0_NS1_11comp_targetILNS1_3genE5ELNS1_11target_archE942ELNS1_3gpuE9ELNS1_3repE0EEENS1_60segmented_radix_sort_warp_sort_medium_config_static_selectorELNS0_4arch9wavefront6targetE0EEEvSK_.uses_vcc, 0
	.set _ZN7rocprim17ROCPRIM_400000_NS6detail17trampoline_kernelINS0_14default_configENS1_36segmented_radix_sort_config_selectorIilEEZNS1_25segmented_radix_sort_implIS3_Lb0EPKiPiPKlPlN2at6native12_GLOBAL__N_18offset_tEEE10hipError_tPvRmT1_PNSt15iterator_traitsISK_E10value_typeET2_T3_PNSL_ISQ_E10value_typeET4_jRbjT5_SW_jjP12ihipStream_tbEUlT_E0_NS1_11comp_targetILNS1_3genE5ELNS1_11target_archE942ELNS1_3gpuE9ELNS1_3repE0EEENS1_60segmented_radix_sort_warp_sort_medium_config_static_selectorELNS0_4arch9wavefront6targetE0EEEvSK_.uses_flat_scratch, 0
	.set _ZN7rocprim17ROCPRIM_400000_NS6detail17trampoline_kernelINS0_14default_configENS1_36segmented_radix_sort_config_selectorIilEEZNS1_25segmented_radix_sort_implIS3_Lb0EPKiPiPKlPlN2at6native12_GLOBAL__N_18offset_tEEE10hipError_tPvRmT1_PNSt15iterator_traitsISK_E10value_typeET2_T3_PNSL_ISQ_E10value_typeET4_jRbjT5_SW_jjP12ihipStream_tbEUlT_E0_NS1_11comp_targetILNS1_3genE5ELNS1_11target_archE942ELNS1_3gpuE9ELNS1_3repE0EEENS1_60segmented_radix_sort_warp_sort_medium_config_static_selectorELNS0_4arch9wavefront6targetE0EEEvSK_.has_dyn_sized_stack, 0
	.set _ZN7rocprim17ROCPRIM_400000_NS6detail17trampoline_kernelINS0_14default_configENS1_36segmented_radix_sort_config_selectorIilEEZNS1_25segmented_radix_sort_implIS3_Lb0EPKiPiPKlPlN2at6native12_GLOBAL__N_18offset_tEEE10hipError_tPvRmT1_PNSt15iterator_traitsISK_E10value_typeET2_T3_PNSL_ISQ_E10value_typeET4_jRbjT5_SW_jjP12ihipStream_tbEUlT_E0_NS1_11comp_targetILNS1_3genE5ELNS1_11target_archE942ELNS1_3gpuE9ELNS1_3repE0EEENS1_60segmented_radix_sort_warp_sort_medium_config_static_selectorELNS0_4arch9wavefront6targetE0EEEvSK_.has_recursion, 0
	.set _ZN7rocprim17ROCPRIM_400000_NS6detail17trampoline_kernelINS0_14default_configENS1_36segmented_radix_sort_config_selectorIilEEZNS1_25segmented_radix_sort_implIS3_Lb0EPKiPiPKlPlN2at6native12_GLOBAL__N_18offset_tEEE10hipError_tPvRmT1_PNSt15iterator_traitsISK_E10value_typeET2_T3_PNSL_ISQ_E10value_typeET4_jRbjT5_SW_jjP12ihipStream_tbEUlT_E0_NS1_11comp_targetILNS1_3genE5ELNS1_11target_archE942ELNS1_3gpuE9ELNS1_3repE0EEENS1_60segmented_radix_sort_warp_sort_medium_config_static_selectorELNS0_4arch9wavefront6targetE0EEEvSK_.has_indirect_call, 0
	.section	.AMDGPU.csdata,"",@progbits
; Kernel info:
; codeLenInByte = 0
; TotalNumSgprs: 0
; NumVgprs: 0
; ScratchSize: 0
; MemoryBound: 0
; FloatMode: 240
; IeeeMode: 1
; LDSByteSize: 0 bytes/workgroup (compile time only)
; SGPRBlocks: 0
; VGPRBlocks: 0
; NumSGPRsForWavesPerEU: 1
; NumVGPRsForWavesPerEU: 1
; Occupancy: 16
; WaveLimiterHint : 0
; COMPUTE_PGM_RSRC2:SCRATCH_EN: 0
; COMPUTE_PGM_RSRC2:USER_SGPR: 6
; COMPUTE_PGM_RSRC2:TRAP_HANDLER: 0
; COMPUTE_PGM_RSRC2:TGID_X_EN: 1
; COMPUTE_PGM_RSRC2:TGID_Y_EN: 0
; COMPUTE_PGM_RSRC2:TGID_Z_EN: 0
; COMPUTE_PGM_RSRC2:TIDIG_COMP_CNT: 0
	.section	.text._ZN7rocprim17ROCPRIM_400000_NS6detail17trampoline_kernelINS0_14default_configENS1_36segmented_radix_sort_config_selectorIilEEZNS1_25segmented_radix_sort_implIS3_Lb0EPKiPiPKlPlN2at6native12_GLOBAL__N_18offset_tEEE10hipError_tPvRmT1_PNSt15iterator_traitsISK_E10value_typeET2_T3_PNSL_ISQ_E10value_typeET4_jRbjT5_SW_jjP12ihipStream_tbEUlT_E0_NS1_11comp_targetILNS1_3genE4ELNS1_11target_archE910ELNS1_3gpuE8ELNS1_3repE0EEENS1_60segmented_radix_sort_warp_sort_medium_config_static_selectorELNS0_4arch9wavefront6targetE0EEEvSK_,"axG",@progbits,_ZN7rocprim17ROCPRIM_400000_NS6detail17trampoline_kernelINS0_14default_configENS1_36segmented_radix_sort_config_selectorIilEEZNS1_25segmented_radix_sort_implIS3_Lb0EPKiPiPKlPlN2at6native12_GLOBAL__N_18offset_tEEE10hipError_tPvRmT1_PNSt15iterator_traitsISK_E10value_typeET2_T3_PNSL_ISQ_E10value_typeET4_jRbjT5_SW_jjP12ihipStream_tbEUlT_E0_NS1_11comp_targetILNS1_3genE4ELNS1_11target_archE910ELNS1_3gpuE8ELNS1_3repE0EEENS1_60segmented_radix_sort_warp_sort_medium_config_static_selectorELNS0_4arch9wavefront6targetE0EEEvSK_,comdat
	.globl	_ZN7rocprim17ROCPRIM_400000_NS6detail17trampoline_kernelINS0_14default_configENS1_36segmented_radix_sort_config_selectorIilEEZNS1_25segmented_radix_sort_implIS3_Lb0EPKiPiPKlPlN2at6native12_GLOBAL__N_18offset_tEEE10hipError_tPvRmT1_PNSt15iterator_traitsISK_E10value_typeET2_T3_PNSL_ISQ_E10value_typeET4_jRbjT5_SW_jjP12ihipStream_tbEUlT_E0_NS1_11comp_targetILNS1_3genE4ELNS1_11target_archE910ELNS1_3gpuE8ELNS1_3repE0EEENS1_60segmented_radix_sort_warp_sort_medium_config_static_selectorELNS0_4arch9wavefront6targetE0EEEvSK_ ; -- Begin function _ZN7rocprim17ROCPRIM_400000_NS6detail17trampoline_kernelINS0_14default_configENS1_36segmented_radix_sort_config_selectorIilEEZNS1_25segmented_radix_sort_implIS3_Lb0EPKiPiPKlPlN2at6native12_GLOBAL__N_18offset_tEEE10hipError_tPvRmT1_PNSt15iterator_traitsISK_E10value_typeET2_T3_PNSL_ISQ_E10value_typeET4_jRbjT5_SW_jjP12ihipStream_tbEUlT_E0_NS1_11comp_targetILNS1_3genE4ELNS1_11target_archE910ELNS1_3gpuE8ELNS1_3repE0EEENS1_60segmented_radix_sort_warp_sort_medium_config_static_selectorELNS0_4arch9wavefront6targetE0EEEvSK_
	.p2align	8
	.type	_ZN7rocprim17ROCPRIM_400000_NS6detail17trampoline_kernelINS0_14default_configENS1_36segmented_radix_sort_config_selectorIilEEZNS1_25segmented_radix_sort_implIS3_Lb0EPKiPiPKlPlN2at6native12_GLOBAL__N_18offset_tEEE10hipError_tPvRmT1_PNSt15iterator_traitsISK_E10value_typeET2_T3_PNSL_ISQ_E10value_typeET4_jRbjT5_SW_jjP12ihipStream_tbEUlT_E0_NS1_11comp_targetILNS1_3genE4ELNS1_11target_archE910ELNS1_3gpuE8ELNS1_3repE0EEENS1_60segmented_radix_sort_warp_sort_medium_config_static_selectorELNS0_4arch9wavefront6targetE0EEEvSK_,@function
_ZN7rocprim17ROCPRIM_400000_NS6detail17trampoline_kernelINS0_14default_configENS1_36segmented_radix_sort_config_selectorIilEEZNS1_25segmented_radix_sort_implIS3_Lb0EPKiPiPKlPlN2at6native12_GLOBAL__N_18offset_tEEE10hipError_tPvRmT1_PNSt15iterator_traitsISK_E10value_typeET2_T3_PNSL_ISQ_E10value_typeET4_jRbjT5_SW_jjP12ihipStream_tbEUlT_E0_NS1_11comp_targetILNS1_3genE4ELNS1_11target_archE910ELNS1_3gpuE8ELNS1_3repE0EEENS1_60segmented_radix_sort_warp_sort_medium_config_static_selectorELNS0_4arch9wavefront6targetE0EEEvSK_: ; @_ZN7rocprim17ROCPRIM_400000_NS6detail17trampoline_kernelINS0_14default_configENS1_36segmented_radix_sort_config_selectorIilEEZNS1_25segmented_radix_sort_implIS3_Lb0EPKiPiPKlPlN2at6native12_GLOBAL__N_18offset_tEEE10hipError_tPvRmT1_PNSt15iterator_traitsISK_E10value_typeET2_T3_PNSL_ISQ_E10value_typeET4_jRbjT5_SW_jjP12ihipStream_tbEUlT_E0_NS1_11comp_targetILNS1_3genE4ELNS1_11target_archE910ELNS1_3gpuE8ELNS1_3repE0EEENS1_60segmented_radix_sort_warp_sort_medium_config_static_selectorELNS0_4arch9wavefront6targetE0EEEvSK_
; %bb.0:
	.section	.rodata,"a",@progbits
	.p2align	6, 0x0
	.amdhsa_kernel _ZN7rocprim17ROCPRIM_400000_NS6detail17trampoline_kernelINS0_14default_configENS1_36segmented_radix_sort_config_selectorIilEEZNS1_25segmented_radix_sort_implIS3_Lb0EPKiPiPKlPlN2at6native12_GLOBAL__N_18offset_tEEE10hipError_tPvRmT1_PNSt15iterator_traitsISK_E10value_typeET2_T3_PNSL_ISQ_E10value_typeET4_jRbjT5_SW_jjP12ihipStream_tbEUlT_E0_NS1_11comp_targetILNS1_3genE4ELNS1_11target_archE910ELNS1_3gpuE8ELNS1_3repE0EEENS1_60segmented_radix_sort_warp_sort_medium_config_static_selectorELNS0_4arch9wavefront6targetE0EEEvSK_
		.amdhsa_group_segment_fixed_size 0
		.amdhsa_private_segment_fixed_size 0
		.amdhsa_kernarg_size 88
		.amdhsa_user_sgpr_count 6
		.amdhsa_user_sgpr_private_segment_buffer 1
		.amdhsa_user_sgpr_dispatch_ptr 0
		.amdhsa_user_sgpr_queue_ptr 0
		.amdhsa_user_sgpr_kernarg_segment_ptr 1
		.amdhsa_user_sgpr_dispatch_id 0
		.amdhsa_user_sgpr_flat_scratch_init 0
		.amdhsa_user_sgpr_private_segment_size 0
		.amdhsa_wavefront_size32 1
		.amdhsa_uses_dynamic_stack 0
		.amdhsa_system_sgpr_private_segment_wavefront_offset 0
		.amdhsa_system_sgpr_workgroup_id_x 1
		.amdhsa_system_sgpr_workgroup_id_y 0
		.amdhsa_system_sgpr_workgroup_id_z 0
		.amdhsa_system_sgpr_workgroup_info 0
		.amdhsa_system_vgpr_workitem_id 0
		.amdhsa_next_free_vgpr 1
		.amdhsa_next_free_sgpr 1
		.amdhsa_reserve_vcc 0
		.amdhsa_reserve_flat_scratch 0
		.amdhsa_float_round_mode_32 0
		.amdhsa_float_round_mode_16_64 0
		.amdhsa_float_denorm_mode_32 3
		.amdhsa_float_denorm_mode_16_64 3
		.amdhsa_dx10_clamp 1
		.amdhsa_ieee_mode 1
		.amdhsa_fp16_overflow 0
		.amdhsa_workgroup_processor_mode 1
		.amdhsa_memory_ordered 1
		.amdhsa_forward_progress 1
		.amdhsa_shared_vgpr_count 0
		.amdhsa_exception_fp_ieee_invalid_op 0
		.amdhsa_exception_fp_denorm_src 0
		.amdhsa_exception_fp_ieee_div_zero 0
		.amdhsa_exception_fp_ieee_overflow 0
		.amdhsa_exception_fp_ieee_underflow 0
		.amdhsa_exception_fp_ieee_inexact 0
		.amdhsa_exception_int_div_zero 0
	.end_amdhsa_kernel
	.section	.text._ZN7rocprim17ROCPRIM_400000_NS6detail17trampoline_kernelINS0_14default_configENS1_36segmented_radix_sort_config_selectorIilEEZNS1_25segmented_radix_sort_implIS3_Lb0EPKiPiPKlPlN2at6native12_GLOBAL__N_18offset_tEEE10hipError_tPvRmT1_PNSt15iterator_traitsISK_E10value_typeET2_T3_PNSL_ISQ_E10value_typeET4_jRbjT5_SW_jjP12ihipStream_tbEUlT_E0_NS1_11comp_targetILNS1_3genE4ELNS1_11target_archE910ELNS1_3gpuE8ELNS1_3repE0EEENS1_60segmented_radix_sort_warp_sort_medium_config_static_selectorELNS0_4arch9wavefront6targetE0EEEvSK_,"axG",@progbits,_ZN7rocprim17ROCPRIM_400000_NS6detail17trampoline_kernelINS0_14default_configENS1_36segmented_radix_sort_config_selectorIilEEZNS1_25segmented_radix_sort_implIS3_Lb0EPKiPiPKlPlN2at6native12_GLOBAL__N_18offset_tEEE10hipError_tPvRmT1_PNSt15iterator_traitsISK_E10value_typeET2_T3_PNSL_ISQ_E10value_typeET4_jRbjT5_SW_jjP12ihipStream_tbEUlT_E0_NS1_11comp_targetILNS1_3genE4ELNS1_11target_archE910ELNS1_3gpuE8ELNS1_3repE0EEENS1_60segmented_radix_sort_warp_sort_medium_config_static_selectorELNS0_4arch9wavefront6targetE0EEEvSK_,comdat
.Lfunc_end607:
	.size	_ZN7rocprim17ROCPRIM_400000_NS6detail17trampoline_kernelINS0_14default_configENS1_36segmented_radix_sort_config_selectorIilEEZNS1_25segmented_radix_sort_implIS3_Lb0EPKiPiPKlPlN2at6native12_GLOBAL__N_18offset_tEEE10hipError_tPvRmT1_PNSt15iterator_traitsISK_E10value_typeET2_T3_PNSL_ISQ_E10value_typeET4_jRbjT5_SW_jjP12ihipStream_tbEUlT_E0_NS1_11comp_targetILNS1_3genE4ELNS1_11target_archE910ELNS1_3gpuE8ELNS1_3repE0EEENS1_60segmented_radix_sort_warp_sort_medium_config_static_selectorELNS0_4arch9wavefront6targetE0EEEvSK_, .Lfunc_end607-_ZN7rocprim17ROCPRIM_400000_NS6detail17trampoline_kernelINS0_14default_configENS1_36segmented_radix_sort_config_selectorIilEEZNS1_25segmented_radix_sort_implIS3_Lb0EPKiPiPKlPlN2at6native12_GLOBAL__N_18offset_tEEE10hipError_tPvRmT1_PNSt15iterator_traitsISK_E10value_typeET2_T3_PNSL_ISQ_E10value_typeET4_jRbjT5_SW_jjP12ihipStream_tbEUlT_E0_NS1_11comp_targetILNS1_3genE4ELNS1_11target_archE910ELNS1_3gpuE8ELNS1_3repE0EEENS1_60segmented_radix_sort_warp_sort_medium_config_static_selectorELNS0_4arch9wavefront6targetE0EEEvSK_
                                        ; -- End function
	.set _ZN7rocprim17ROCPRIM_400000_NS6detail17trampoline_kernelINS0_14default_configENS1_36segmented_radix_sort_config_selectorIilEEZNS1_25segmented_radix_sort_implIS3_Lb0EPKiPiPKlPlN2at6native12_GLOBAL__N_18offset_tEEE10hipError_tPvRmT1_PNSt15iterator_traitsISK_E10value_typeET2_T3_PNSL_ISQ_E10value_typeET4_jRbjT5_SW_jjP12ihipStream_tbEUlT_E0_NS1_11comp_targetILNS1_3genE4ELNS1_11target_archE910ELNS1_3gpuE8ELNS1_3repE0EEENS1_60segmented_radix_sort_warp_sort_medium_config_static_selectorELNS0_4arch9wavefront6targetE0EEEvSK_.num_vgpr, 0
	.set _ZN7rocprim17ROCPRIM_400000_NS6detail17trampoline_kernelINS0_14default_configENS1_36segmented_radix_sort_config_selectorIilEEZNS1_25segmented_radix_sort_implIS3_Lb0EPKiPiPKlPlN2at6native12_GLOBAL__N_18offset_tEEE10hipError_tPvRmT1_PNSt15iterator_traitsISK_E10value_typeET2_T3_PNSL_ISQ_E10value_typeET4_jRbjT5_SW_jjP12ihipStream_tbEUlT_E0_NS1_11comp_targetILNS1_3genE4ELNS1_11target_archE910ELNS1_3gpuE8ELNS1_3repE0EEENS1_60segmented_radix_sort_warp_sort_medium_config_static_selectorELNS0_4arch9wavefront6targetE0EEEvSK_.num_agpr, 0
	.set _ZN7rocprim17ROCPRIM_400000_NS6detail17trampoline_kernelINS0_14default_configENS1_36segmented_radix_sort_config_selectorIilEEZNS1_25segmented_radix_sort_implIS3_Lb0EPKiPiPKlPlN2at6native12_GLOBAL__N_18offset_tEEE10hipError_tPvRmT1_PNSt15iterator_traitsISK_E10value_typeET2_T3_PNSL_ISQ_E10value_typeET4_jRbjT5_SW_jjP12ihipStream_tbEUlT_E0_NS1_11comp_targetILNS1_3genE4ELNS1_11target_archE910ELNS1_3gpuE8ELNS1_3repE0EEENS1_60segmented_radix_sort_warp_sort_medium_config_static_selectorELNS0_4arch9wavefront6targetE0EEEvSK_.numbered_sgpr, 0
	.set _ZN7rocprim17ROCPRIM_400000_NS6detail17trampoline_kernelINS0_14default_configENS1_36segmented_radix_sort_config_selectorIilEEZNS1_25segmented_radix_sort_implIS3_Lb0EPKiPiPKlPlN2at6native12_GLOBAL__N_18offset_tEEE10hipError_tPvRmT1_PNSt15iterator_traitsISK_E10value_typeET2_T3_PNSL_ISQ_E10value_typeET4_jRbjT5_SW_jjP12ihipStream_tbEUlT_E0_NS1_11comp_targetILNS1_3genE4ELNS1_11target_archE910ELNS1_3gpuE8ELNS1_3repE0EEENS1_60segmented_radix_sort_warp_sort_medium_config_static_selectorELNS0_4arch9wavefront6targetE0EEEvSK_.num_named_barrier, 0
	.set _ZN7rocprim17ROCPRIM_400000_NS6detail17trampoline_kernelINS0_14default_configENS1_36segmented_radix_sort_config_selectorIilEEZNS1_25segmented_radix_sort_implIS3_Lb0EPKiPiPKlPlN2at6native12_GLOBAL__N_18offset_tEEE10hipError_tPvRmT1_PNSt15iterator_traitsISK_E10value_typeET2_T3_PNSL_ISQ_E10value_typeET4_jRbjT5_SW_jjP12ihipStream_tbEUlT_E0_NS1_11comp_targetILNS1_3genE4ELNS1_11target_archE910ELNS1_3gpuE8ELNS1_3repE0EEENS1_60segmented_radix_sort_warp_sort_medium_config_static_selectorELNS0_4arch9wavefront6targetE0EEEvSK_.private_seg_size, 0
	.set _ZN7rocprim17ROCPRIM_400000_NS6detail17trampoline_kernelINS0_14default_configENS1_36segmented_radix_sort_config_selectorIilEEZNS1_25segmented_radix_sort_implIS3_Lb0EPKiPiPKlPlN2at6native12_GLOBAL__N_18offset_tEEE10hipError_tPvRmT1_PNSt15iterator_traitsISK_E10value_typeET2_T3_PNSL_ISQ_E10value_typeET4_jRbjT5_SW_jjP12ihipStream_tbEUlT_E0_NS1_11comp_targetILNS1_3genE4ELNS1_11target_archE910ELNS1_3gpuE8ELNS1_3repE0EEENS1_60segmented_radix_sort_warp_sort_medium_config_static_selectorELNS0_4arch9wavefront6targetE0EEEvSK_.uses_vcc, 0
	.set _ZN7rocprim17ROCPRIM_400000_NS6detail17trampoline_kernelINS0_14default_configENS1_36segmented_radix_sort_config_selectorIilEEZNS1_25segmented_radix_sort_implIS3_Lb0EPKiPiPKlPlN2at6native12_GLOBAL__N_18offset_tEEE10hipError_tPvRmT1_PNSt15iterator_traitsISK_E10value_typeET2_T3_PNSL_ISQ_E10value_typeET4_jRbjT5_SW_jjP12ihipStream_tbEUlT_E0_NS1_11comp_targetILNS1_3genE4ELNS1_11target_archE910ELNS1_3gpuE8ELNS1_3repE0EEENS1_60segmented_radix_sort_warp_sort_medium_config_static_selectorELNS0_4arch9wavefront6targetE0EEEvSK_.uses_flat_scratch, 0
	.set _ZN7rocprim17ROCPRIM_400000_NS6detail17trampoline_kernelINS0_14default_configENS1_36segmented_radix_sort_config_selectorIilEEZNS1_25segmented_radix_sort_implIS3_Lb0EPKiPiPKlPlN2at6native12_GLOBAL__N_18offset_tEEE10hipError_tPvRmT1_PNSt15iterator_traitsISK_E10value_typeET2_T3_PNSL_ISQ_E10value_typeET4_jRbjT5_SW_jjP12ihipStream_tbEUlT_E0_NS1_11comp_targetILNS1_3genE4ELNS1_11target_archE910ELNS1_3gpuE8ELNS1_3repE0EEENS1_60segmented_radix_sort_warp_sort_medium_config_static_selectorELNS0_4arch9wavefront6targetE0EEEvSK_.has_dyn_sized_stack, 0
	.set _ZN7rocprim17ROCPRIM_400000_NS6detail17trampoline_kernelINS0_14default_configENS1_36segmented_radix_sort_config_selectorIilEEZNS1_25segmented_radix_sort_implIS3_Lb0EPKiPiPKlPlN2at6native12_GLOBAL__N_18offset_tEEE10hipError_tPvRmT1_PNSt15iterator_traitsISK_E10value_typeET2_T3_PNSL_ISQ_E10value_typeET4_jRbjT5_SW_jjP12ihipStream_tbEUlT_E0_NS1_11comp_targetILNS1_3genE4ELNS1_11target_archE910ELNS1_3gpuE8ELNS1_3repE0EEENS1_60segmented_radix_sort_warp_sort_medium_config_static_selectorELNS0_4arch9wavefront6targetE0EEEvSK_.has_recursion, 0
	.set _ZN7rocprim17ROCPRIM_400000_NS6detail17trampoline_kernelINS0_14default_configENS1_36segmented_radix_sort_config_selectorIilEEZNS1_25segmented_radix_sort_implIS3_Lb0EPKiPiPKlPlN2at6native12_GLOBAL__N_18offset_tEEE10hipError_tPvRmT1_PNSt15iterator_traitsISK_E10value_typeET2_T3_PNSL_ISQ_E10value_typeET4_jRbjT5_SW_jjP12ihipStream_tbEUlT_E0_NS1_11comp_targetILNS1_3genE4ELNS1_11target_archE910ELNS1_3gpuE8ELNS1_3repE0EEENS1_60segmented_radix_sort_warp_sort_medium_config_static_selectorELNS0_4arch9wavefront6targetE0EEEvSK_.has_indirect_call, 0
	.section	.AMDGPU.csdata,"",@progbits
; Kernel info:
; codeLenInByte = 0
; TotalNumSgprs: 0
; NumVgprs: 0
; ScratchSize: 0
; MemoryBound: 0
; FloatMode: 240
; IeeeMode: 1
; LDSByteSize: 0 bytes/workgroup (compile time only)
; SGPRBlocks: 0
; VGPRBlocks: 0
; NumSGPRsForWavesPerEU: 1
; NumVGPRsForWavesPerEU: 1
; Occupancy: 16
; WaveLimiterHint : 0
; COMPUTE_PGM_RSRC2:SCRATCH_EN: 0
; COMPUTE_PGM_RSRC2:USER_SGPR: 6
; COMPUTE_PGM_RSRC2:TRAP_HANDLER: 0
; COMPUTE_PGM_RSRC2:TGID_X_EN: 1
; COMPUTE_PGM_RSRC2:TGID_Y_EN: 0
; COMPUTE_PGM_RSRC2:TGID_Z_EN: 0
; COMPUTE_PGM_RSRC2:TIDIG_COMP_CNT: 0
	.section	.text._ZN7rocprim17ROCPRIM_400000_NS6detail17trampoline_kernelINS0_14default_configENS1_36segmented_radix_sort_config_selectorIilEEZNS1_25segmented_radix_sort_implIS3_Lb0EPKiPiPKlPlN2at6native12_GLOBAL__N_18offset_tEEE10hipError_tPvRmT1_PNSt15iterator_traitsISK_E10value_typeET2_T3_PNSL_ISQ_E10value_typeET4_jRbjT5_SW_jjP12ihipStream_tbEUlT_E0_NS1_11comp_targetILNS1_3genE3ELNS1_11target_archE908ELNS1_3gpuE7ELNS1_3repE0EEENS1_60segmented_radix_sort_warp_sort_medium_config_static_selectorELNS0_4arch9wavefront6targetE0EEEvSK_,"axG",@progbits,_ZN7rocprim17ROCPRIM_400000_NS6detail17trampoline_kernelINS0_14default_configENS1_36segmented_radix_sort_config_selectorIilEEZNS1_25segmented_radix_sort_implIS3_Lb0EPKiPiPKlPlN2at6native12_GLOBAL__N_18offset_tEEE10hipError_tPvRmT1_PNSt15iterator_traitsISK_E10value_typeET2_T3_PNSL_ISQ_E10value_typeET4_jRbjT5_SW_jjP12ihipStream_tbEUlT_E0_NS1_11comp_targetILNS1_3genE3ELNS1_11target_archE908ELNS1_3gpuE7ELNS1_3repE0EEENS1_60segmented_radix_sort_warp_sort_medium_config_static_selectorELNS0_4arch9wavefront6targetE0EEEvSK_,comdat
	.globl	_ZN7rocprim17ROCPRIM_400000_NS6detail17trampoline_kernelINS0_14default_configENS1_36segmented_radix_sort_config_selectorIilEEZNS1_25segmented_radix_sort_implIS3_Lb0EPKiPiPKlPlN2at6native12_GLOBAL__N_18offset_tEEE10hipError_tPvRmT1_PNSt15iterator_traitsISK_E10value_typeET2_T3_PNSL_ISQ_E10value_typeET4_jRbjT5_SW_jjP12ihipStream_tbEUlT_E0_NS1_11comp_targetILNS1_3genE3ELNS1_11target_archE908ELNS1_3gpuE7ELNS1_3repE0EEENS1_60segmented_radix_sort_warp_sort_medium_config_static_selectorELNS0_4arch9wavefront6targetE0EEEvSK_ ; -- Begin function _ZN7rocprim17ROCPRIM_400000_NS6detail17trampoline_kernelINS0_14default_configENS1_36segmented_radix_sort_config_selectorIilEEZNS1_25segmented_radix_sort_implIS3_Lb0EPKiPiPKlPlN2at6native12_GLOBAL__N_18offset_tEEE10hipError_tPvRmT1_PNSt15iterator_traitsISK_E10value_typeET2_T3_PNSL_ISQ_E10value_typeET4_jRbjT5_SW_jjP12ihipStream_tbEUlT_E0_NS1_11comp_targetILNS1_3genE3ELNS1_11target_archE908ELNS1_3gpuE7ELNS1_3repE0EEENS1_60segmented_radix_sort_warp_sort_medium_config_static_selectorELNS0_4arch9wavefront6targetE0EEEvSK_
	.p2align	8
	.type	_ZN7rocprim17ROCPRIM_400000_NS6detail17trampoline_kernelINS0_14default_configENS1_36segmented_radix_sort_config_selectorIilEEZNS1_25segmented_radix_sort_implIS3_Lb0EPKiPiPKlPlN2at6native12_GLOBAL__N_18offset_tEEE10hipError_tPvRmT1_PNSt15iterator_traitsISK_E10value_typeET2_T3_PNSL_ISQ_E10value_typeET4_jRbjT5_SW_jjP12ihipStream_tbEUlT_E0_NS1_11comp_targetILNS1_3genE3ELNS1_11target_archE908ELNS1_3gpuE7ELNS1_3repE0EEENS1_60segmented_radix_sort_warp_sort_medium_config_static_selectorELNS0_4arch9wavefront6targetE0EEEvSK_,@function
_ZN7rocprim17ROCPRIM_400000_NS6detail17trampoline_kernelINS0_14default_configENS1_36segmented_radix_sort_config_selectorIilEEZNS1_25segmented_radix_sort_implIS3_Lb0EPKiPiPKlPlN2at6native12_GLOBAL__N_18offset_tEEE10hipError_tPvRmT1_PNSt15iterator_traitsISK_E10value_typeET2_T3_PNSL_ISQ_E10value_typeET4_jRbjT5_SW_jjP12ihipStream_tbEUlT_E0_NS1_11comp_targetILNS1_3genE3ELNS1_11target_archE908ELNS1_3gpuE7ELNS1_3repE0EEENS1_60segmented_radix_sort_warp_sort_medium_config_static_selectorELNS0_4arch9wavefront6targetE0EEEvSK_: ; @_ZN7rocprim17ROCPRIM_400000_NS6detail17trampoline_kernelINS0_14default_configENS1_36segmented_radix_sort_config_selectorIilEEZNS1_25segmented_radix_sort_implIS3_Lb0EPKiPiPKlPlN2at6native12_GLOBAL__N_18offset_tEEE10hipError_tPvRmT1_PNSt15iterator_traitsISK_E10value_typeET2_T3_PNSL_ISQ_E10value_typeET4_jRbjT5_SW_jjP12ihipStream_tbEUlT_E0_NS1_11comp_targetILNS1_3genE3ELNS1_11target_archE908ELNS1_3gpuE7ELNS1_3repE0EEENS1_60segmented_radix_sort_warp_sort_medium_config_static_selectorELNS0_4arch9wavefront6targetE0EEEvSK_
; %bb.0:
	.section	.rodata,"a",@progbits
	.p2align	6, 0x0
	.amdhsa_kernel _ZN7rocprim17ROCPRIM_400000_NS6detail17trampoline_kernelINS0_14default_configENS1_36segmented_radix_sort_config_selectorIilEEZNS1_25segmented_radix_sort_implIS3_Lb0EPKiPiPKlPlN2at6native12_GLOBAL__N_18offset_tEEE10hipError_tPvRmT1_PNSt15iterator_traitsISK_E10value_typeET2_T3_PNSL_ISQ_E10value_typeET4_jRbjT5_SW_jjP12ihipStream_tbEUlT_E0_NS1_11comp_targetILNS1_3genE3ELNS1_11target_archE908ELNS1_3gpuE7ELNS1_3repE0EEENS1_60segmented_radix_sort_warp_sort_medium_config_static_selectorELNS0_4arch9wavefront6targetE0EEEvSK_
		.amdhsa_group_segment_fixed_size 0
		.amdhsa_private_segment_fixed_size 0
		.amdhsa_kernarg_size 88
		.amdhsa_user_sgpr_count 6
		.amdhsa_user_sgpr_private_segment_buffer 1
		.amdhsa_user_sgpr_dispatch_ptr 0
		.amdhsa_user_sgpr_queue_ptr 0
		.amdhsa_user_sgpr_kernarg_segment_ptr 1
		.amdhsa_user_sgpr_dispatch_id 0
		.amdhsa_user_sgpr_flat_scratch_init 0
		.amdhsa_user_sgpr_private_segment_size 0
		.amdhsa_wavefront_size32 1
		.amdhsa_uses_dynamic_stack 0
		.amdhsa_system_sgpr_private_segment_wavefront_offset 0
		.amdhsa_system_sgpr_workgroup_id_x 1
		.amdhsa_system_sgpr_workgroup_id_y 0
		.amdhsa_system_sgpr_workgroup_id_z 0
		.amdhsa_system_sgpr_workgroup_info 0
		.amdhsa_system_vgpr_workitem_id 0
		.amdhsa_next_free_vgpr 1
		.amdhsa_next_free_sgpr 1
		.amdhsa_reserve_vcc 0
		.amdhsa_reserve_flat_scratch 0
		.amdhsa_float_round_mode_32 0
		.amdhsa_float_round_mode_16_64 0
		.amdhsa_float_denorm_mode_32 3
		.amdhsa_float_denorm_mode_16_64 3
		.amdhsa_dx10_clamp 1
		.amdhsa_ieee_mode 1
		.amdhsa_fp16_overflow 0
		.amdhsa_workgroup_processor_mode 1
		.amdhsa_memory_ordered 1
		.amdhsa_forward_progress 1
		.amdhsa_shared_vgpr_count 0
		.amdhsa_exception_fp_ieee_invalid_op 0
		.amdhsa_exception_fp_denorm_src 0
		.amdhsa_exception_fp_ieee_div_zero 0
		.amdhsa_exception_fp_ieee_overflow 0
		.amdhsa_exception_fp_ieee_underflow 0
		.amdhsa_exception_fp_ieee_inexact 0
		.amdhsa_exception_int_div_zero 0
	.end_amdhsa_kernel
	.section	.text._ZN7rocprim17ROCPRIM_400000_NS6detail17trampoline_kernelINS0_14default_configENS1_36segmented_radix_sort_config_selectorIilEEZNS1_25segmented_radix_sort_implIS3_Lb0EPKiPiPKlPlN2at6native12_GLOBAL__N_18offset_tEEE10hipError_tPvRmT1_PNSt15iterator_traitsISK_E10value_typeET2_T3_PNSL_ISQ_E10value_typeET4_jRbjT5_SW_jjP12ihipStream_tbEUlT_E0_NS1_11comp_targetILNS1_3genE3ELNS1_11target_archE908ELNS1_3gpuE7ELNS1_3repE0EEENS1_60segmented_radix_sort_warp_sort_medium_config_static_selectorELNS0_4arch9wavefront6targetE0EEEvSK_,"axG",@progbits,_ZN7rocprim17ROCPRIM_400000_NS6detail17trampoline_kernelINS0_14default_configENS1_36segmented_radix_sort_config_selectorIilEEZNS1_25segmented_radix_sort_implIS3_Lb0EPKiPiPKlPlN2at6native12_GLOBAL__N_18offset_tEEE10hipError_tPvRmT1_PNSt15iterator_traitsISK_E10value_typeET2_T3_PNSL_ISQ_E10value_typeET4_jRbjT5_SW_jjP12ihipStream_tbEUlT_E0_NS1_11comp_targetILNS1_3genE3ELNS1_11target_archE908ELNS1_3gpuE7ELNS1_3repE0EEENS1_60segmented_radix_sort_warp_sort_medium_config_static_selectorELNS0_4arch9wavefront6targetE0EEEvSK_,comdat
.Lfunc_end608:
	.size	_ZN7rocprim17ROCPRIM_400000_NS6detail17trampoline_kernelINS0_14default_configENS1_36segmented_radix_sort_config_selectorIilEEZNS1_25segmented_radix_sort_implIS3_Lb0EPKiPiPKlPlN2at6native12_GLOBAL__N_18offset_tEEE10hipError_tPvRmT1_PNSt15iterator_traitsISK_E10value_typeET2_T3_PNSL_ISQ_E10value_typeET4_jRbjT5_SW_jjP12ihipStream_tbEUlT_E0_NS1_11comp_targetILNS1_3genE3ELNS1_11target_archE908ELNS1_3gpuE7ELNS1_3repE0EEENS1_60segmented_radix_sort_warp_sort_medium_config_static_selectorELNS0_4arch9wavefront6targetE0EEEvSK_, .Lfunc_end608-_ZN7rocprim17ROCPRIM_400000_NS6detail17trampoline_kernelINS0_14default_configENS1_36segmented_radix_sort_config_selectorIilEEZNS1_25segmented_radix_sort_implIS3_Lb0EPKiPiPKlPlN2at6native12_GLOBAL__N_18offset_tEEE10hipError_tPvRmT1_PNSt15iterator_traitsISK_E10value_typeET2_T3_PNSL_ISQ_E10value_typeET4_jRbjT5_SW_jjP12ihipStream_tbEUlT_E0_NS1_11comp_targetILNS1_3genE3ELNS1_11target_archE908ELNS1_3gpuE7ELNS1_3repE0EEENS1_60segmented_radix_sort_warp_sort_medium_config_static_selectorELNS0_4arch9wavefront6targetE0EEEvSK_
                                        ; -- End function
	.set _ZN7rocprim17ROCPRIM_400000_NS6detail17trampoline_kernelINS0_14default_configENS1_36segmented_radix_sort_config_selectorIilEEZNS1_25segmented_radix_sort_implIS3_Lb0EPKiPiPKlPlN2at6native12_GLOBAL__N_18offset_tEEE10hipError_tPvRmT1_PNSt15iterator_traitsISK_E10value_typeET2_T3_PNSL_ISQ_E10value_typeET4_jRbjT5_SW_jjP12ihipStream_tbEUlT_E0_NS1_11comp_targetILNS1_3genE3ELNS1_11target_archE908ELNS1_3gpuE7ELNS1_3repE0EEENS1_60segmented_radix_sort_warp_sort_medium_config_static_selectorELNS0_4arch9wavefront6targetE0EEEvSK_.num_vgpr, 0
	.set _ZN7rocprim17ROCPRIM_400000_NS6detail17trampoline_kernelINS0_14default_configENS1_36segmented_radix_sort_config_selectorIilEEZNS1_25segmented_radix_sort_implIS3_Lb0EPKiPiPKlPlN2at6native12_GLOBAL__N_18offset_tEEE10hipError_tPvRmT1_PNSt15iterator_traitsISK_E10value_typeET2_T3_PNSL_ISQ_E10value_typeET4_jRbjT5_SW_jjP12ihipStream_tbEUlT_E0_NS1_11comp_targetILNS1_3genE3ELNS1_11target_archE908ELNS1_3gpuE7ELNS1_3repE0EEENS1_60segmented_radix_sort_warp_sort_medium_config_static_selectorELNS0_4arch9wavefront6targetE0EEEvSK_.num_agpr, 0
	.set _ZN7rocprim17ROCPRIM_400000_NS6detail17trampoline_kernelINS0_14default_configENS1_36segmented_radix_sort_config_selectorIilEEZNS1_25segmented_radix_sort_implIS3_Lb0EPKiPiPKlPlN2at6native12_GLOBAL__N_18offset_tEEE10hipError_tPvRmT1_PNSt15iterator_traitsISK_E10value_typeET2_T3_PNSL_ISQ_E10value_typeET4_jRbjT5_SW_jjP12ihipStream_tbEUlT_E0_NS1_11comp_targetILNS1_3genE3ELNS1_11target_archE908ELNS1_3gpuE7ELNS1_3repE0EEENS1_60segmented_radix_sort_warp_sort_medium_config_static_selectorELNS0_4arch9wavefront6targetE0EEEvSK_.numbered_sgpr, 0
	.set _ZN7rocprim17ROCPRIM_400000_NS6detail17trampoline_kernelINS0_14default_configENS1_36segmented_radix_sort_config_selectorIilEEZNS1_25segmented_radix_sort_implIS3_Lb0EPKiPiPKlPlN2at6native12_GLOBAL__N_18offset_tEEE10hipError_tPvRmT1_PNSt15iterator_traitsISK_E10value_typeET2_T3_PNSL_ISQ_E10value_typeET4_jRbjT5_SW_jjP12ihipStream_tbEUlT_E0_NS1_11comp_targetILNS1_3genE3ELNS1_11target_archE908ELNS1_3gpuE7ELNS1_3repE0EEENS1_60segmented_radix_sort_warp_sort_medium_config_static_selectorELNS0_4arch9wavefront6targetE0EEEvSK_.num_named_barrier, 0
	.set _ZN7rocprim17ROCPRIM_400000_NS6detail17trampoline_kernelINS0_14default_configENS1_36segmented_radix_sort_config_selectorIilEEZNS1_25segmented_radix_sort_implIS3_Lb0EPKiPiPKlPlN2at6native12_GLOBAL__N_18offset_tEEE10hipError_tPvRmT1_PNSt15iterator_traitsISK_E10value_typeET2_T3_PNSL_ISQ_E10value_typeET4_jRbjT5_SW_jjP12ihipStream_tbEUlT_E0_NS1_11comp_targetILNS1_3genE3ELNS1_11target_archE908ELNS1_3gpuE7ELNS1_3repE0EEENS1_60segmented_radix_sort_warp_sort_medium_config_static_selectorELNS0_4arch9wavefront6targetE0EEEvSK_.private_seg_size, 0
	.set _ZN7rocprim17ROCPRIM_400000_NS6detail17trampoline_kernelINS0_14default_configENS1_36segmented_radix_sort_config_selectorIilEEZNS1_25segmented_radix_sort_implIS3_Lb0EPKiPiPKlPlN2at6native12_GLOBAL__N_18offset_tEEE10hipError_tPvRmT1_PNSt15iterator_traitsISK_E10value_typeET2_T3_PNSL_ISQ_E10value_typeET4_jRbjT5_SW_jjP12ihipStream_tbEUlT_E0_NS1_11comp_targetILNS1_3genE3ELNS1_11target_archE908ELNS1_3gpuE7ELNS1_3repE0EEENS1_60segmented_radix_sort_warp_sort_medium_config_static_selectorELNS0_4arch9wavefront6targetE0EEEvSK_.uses_vcc, 0
	.set _ZN7rocprim17ROCPRIM_400000_NS6detail17trampoline_kernelINS0_14default_configENS1_36segmented_radix_sort_config_selectorIilEEZNS1_25segmented_radix_sort_implIS3_Lb0EPKiPiPKlPlN2at6native12_GLOBAL__N_18offset_tEEE10hipError_tPvRmT1_PNSt15iterator_traitsISK_E10value_typeET2_T3_PNSL_ISQ_E10value_typeET4_jRbjT5_SW_jjP12ihipStream_tbEUlT_E0_NS1_11comp_targetILNS1_3genE3ELNS1_11target_archE908ELNS1_3gpuE7ELNS1_3repE0EEENS1_60segmented_radix_sort_warp_sort_medium_config_static_selectorELNS0_4arch9wavefront6targetE0EEEvSK_.uses_flat_scratch, 0
	.set _ZN7rocprim17ROCPRIM_400000_NS6detail17trampoline_kernelINS0_14default_configENS1_36segmented_radix_sort_config_selectorIilEEZNS1_25segmented_radix_sort_implIS3_Lb0EPKiPiPKlPlN2at6native12_GLOBAL__N_18offset_tEEE10hipError_tPvRmT1_PNSt15iterator_traitsISK_E10value_typeET2_T3_PNSL_ISQ_E10value_typeET4_jRbjT5_SW_jjP12ihipStream_tbEUlT_E0_NS1_11comp_targetILNS1_3genE3ELNS1_11target_archE908ELNS1_3gpuE7ELNS1_3repE0EEENS1_60segmented_radix_sort_warp_sort_medium_config_static_selectorELNS0_4arch9wavefront6targetE0EEEvSK_.has_dyn_sized_stack, 0
	.set _ZN7rocprim17ROCPRIM_400000_NS6detail17trampoline_kernelINS0_14default_configENS1_36segmented_radix_sort_config_selectorIilEEZNS1_25segmented_radix_sort_implIS3_Lb0EPKiPiPKlPlN2at6native12_GLOBAL__N_18offset_tEEE10hipError_tPvRmT1_PNSt15iterator_traitsISK_E10value_typeET2_T3_PNSL_ISQ_E10value_typeET4_jRbjT5_SW_jjP12ihipStream_tbEUlT_E0_NS1_11comp_targetILNS1_3genE3ELNS1_11target_archE908ELNS1_3gpuE7ELNS1_3repE0EEENS1_60segmented_radix_sort_warp_sort_medium_config_static_selectorELNS0_4arch9wavefront6targetE0EEEvSK_.has_recursion, 0
	.set _ZN7rocprim17ROCPRIM_400000_NS6detail17trampoline_kernelINS0_14default_configENS1_36segmented_radix_sort_config_selectorIilEEZNS1_25segmented_radix_sort_implIS3_Lb0EPKiPiPKlPlN2at6native12_GLOBAL__N_18offset_tEEE10hipError_tPvRmT1_PNSt15iterator_traitsISK_E10value_typeET2_T3_PNSL_ISQ_E10value_typeET4_jRbjT5_SW_jjP12ihipStream_tbEUlT_E0_NS1_11comp_targetILNS1_3genE3ELNS1_11target_archE908ELNS1_3gpuE7ELNS1_3repE0EEENS1_60segmented_radix_sort_warp_sort_medium_config_static_selectorELNS0_4arch9wavefront6targetE0EEEvSK_.has_indirect_call, 0
	.section	.AMDGPU.csdata,"",@progbits
; Kernel info:
; codeLenInByte = 0
; TotalNumSgprs: 0
; NumVgprs: 0
; ScratchSize: 0
; MemoryBound: 0
; FloatMode: 240
; IeeeMode: 1
; LDSByteSize: 0 bytes/workgroup (compile time only)
; SGPRBlocks: 0
; VGPRBlocks: 0
; NumSGPRsForWavesPerEU: 1
; NumVGPRsForWavesPerEU: 1
; Occupancy: 16
; WaveLimiterHint : 0
; COMPUTE_PGM_RSRC2:SCRATCH_EN: 0
; COMPUTE_PGM_RSRC2:USER_SGPR: 6
; COMPUTE_PGM_RSRC2:TRAP_HANDLER: 0
; COMPUTE_PGM_RSRC2:TGID_X_EN: 1
; COMPUTE_PGM_RSRC2:TGID_Y_EN: 0
; COMPUTE_PGM_RSRC2:TGID_Z_EN: 0
; COMPUTE_PGM_RSRC2:TIDIG_COMP_CNT: 0
	.section	.text._ZN7rocprim17ROCPRIM_400000_NS6detail17trampoline_kernelINS0_14default_configENS1_36segmented_radix_sort_config_selectorIilEEZNS1_25segmented_radix_sort_implIS3_Lb0EPKiPiPKlPlN2at6native12_GLOBAL__N_18offset_tEEE10hipError_tPvRmT1_PNSt15iterator_traitsISK_E10value_typeET2_T3_PNSL_ISQ_E10value_typeET4_jRbjT5_SW_jjP12ihipStream_tbEUlT_E0_NS1_11comp_targetILNS1_3genE2ELNS1_11target_archE906ELNS1_3gpuE6ELNS1_3repE0EEENS1_60segmented_radix_sort_warp_sort_medium_config_static_selectorELNS0_4arch9wavefront6targetE0EEEvSK_,"axG",@progbits,_ZN7rocprim17ROCPRIM_400000_NS6detail17trampoline_kernelINS0_14default_configENS1_36segmented_radix_sort_config_selectorIilEEZNS1_25segmented_radix_sort_implIS3_Lb0EPKiPiPKlPlN2at6native12_GLOBAL__N_18offset_tEEE10hipError_tPvRmT1_PNSt15iterator_traitsISK_E10value_typeET2_T3_PNSL_ISQ_E10value_typeET4_jRbjT5_SW_jjP12ihipStream_tbEUlT_E0_NS1_11comp_targetILNS1_3genE2ELNS1_11target_archE906ELNS1_3gpuE6ELNS1_3repE0EEENS1_60segmented_radix_sort_warp_sort_medium_config_static_selectorELNS0_4arch9wavefront6targetE0EEEvSK_,comdat
	.globl	_ZN7rocprim17ROCPRIM_400000_NS6detail17trampoline_kernelINS0_14default_configENS1_36segmented_radix_sort_config_selectorIilEEZNS1_25segmented_radix_sort_implIS3_Lb0EPKiPiPKlPlN2at6native12_GLOBAL__N_18offset_tEEE10hipError_tPvRmT1_PNSt15iterator_traitsISK_E10value_typeET2_T3_PNSL_ISQ_E10value_typeET4_jRbjT5_SW_jjP12ihipStream_tbEUlT_E0_NS1_11comp_targetILNS1_3genE2ELNS1_11target_archE906ELNS1_3gpuE6ELNS1_3repE0EEENS1_60segmented_radix_sort_warp_sort_medium_config_static_selectorELNS0_4arch9wavefront6targetE0EEEvSK_ ; -- Begin function _ZN7rocprim17ROCPRIM_400000_NS6detail17trampoline_kernelINS0_14default_configENS1_36segmented_radix_sort_config_selectorIilEEZNS1_25segmented_radix_sort_implIS3_Lb0EPKiPiPKlPlN2at6native12_GLOBAL__N_18offset_tEEE10hipError_tPvRmT1_PNSt15iterator_traitsISK_E10value_typeET2_T3_PNSL_ISQ_E10value_typeET4_jRbjT5_SW_jjP12ihipStream_tbEUlT_E0_NS1_11comp_targetILNS1_3genE2ELNS1_11target_archE906ELNS1_3gpuE6ELNS1_3repE0EEENS1_60segmented_radix_sort_warp_sort_medium_config_static_selectorELNS0_4arch9wavefront6targetE0EEEvSK_
	.p2align	8
	.type	_ZN7rocprim17ROCPRIM_400000_NS6detail17trampoline_kernelINS0_14default_configENS1_36segmented_radix_sort_config_selectorIilEEZNS1_25segmented_radix_sort_implIS3_Lb0EPKiPiPKlPlN2at6native12_GLOBAL__N_18offset_tEEE10hipError_tPvRmT1_PNSt15iterator_traitsISK_E10value_typeET2_T3_PNSL_ISQ_E10value_typeET4_jRbjT5_SW_jjP12ihipStream_tbEUlT_E0_NS1_11comp_targetILNS1_3genE2ELNS1_11target_archE906ELNS1_3gpuE6ELNS1_3repE0EEENS1_60segmented_radix_sort_warp_sort_medium_config_static_selectorELNS0_4arch9wavefront6targetE0EEEvSK_,@function
_ZN7rocprim17ROCPRIM_400000_NS6detail17trampoline_kernelINS0_14default_configENS1_36segmented_radix_sort_config_selectorIilEEZNS1_25segmented_radix_sort_implIS3_Lb0EPKiPiPKlPlN2at6native12_GLOBAL__N_18offset_tEEE10hipError_tPvRmT1_PNSt15iterator_traitsISK_E10value_typeET2_T3_PNSL_ISQ_E10value_typeET4_jRbjT5_SW_jjP12ihipStream_tbEUlT_E0_NS1_11comp_targetILNS1_3genE2ELNS1_11target_archE906ELNS1_3gpuE6ELNS1_3repE0EEENS1_60segmented_radix_sort_warp_sort_medium_config_static_selectorELNS0_4arch9wavefront6targetE0EEEvSK_: ; @_ZN7rocprim17ROCPRIM_400000_NS6detail17trampoline_kernelINS0_14default_configENS1_36segmented_radix_sort_config_selectorIilEEZNS1_25segmented_radix_sort_implIS3_Lb0EPKiPiPKlPlN2at6native12_GLOBAL__N_18offset_tEEE10hipError_tPvRmT1_PNSt15iterator_traitsISK_E10value_typeET2_T3_PNSL_ISQ_E10value_typeET4_jRbjT5_SW_jjP12ihipStream_tbEUlT_E0_NS1_11comp_targetILNS1_3genE2ELNS1_11target_archE906ELNS1_3gpuE6ELNS1_3repE0EEENS1_60segmented_radix_sort_warp_sort_medium_config_static_selectorELNS0_4arch9wavefront6targetE0EEEvSK_
; %bb.0:
	.section	.rodata,"a",@progbits
	.p2align	6, 0x0
	.amdhsa_kernel _ZN7rocprim17ROCPRIM_400000_NS6detail17trampoline_kernelINS0_14default_configENS1_36segmented_radix_sort_config_selectorIilEEZNS1_25segmented_radix_sort_implIS3_Lb0EPKiPiPKlPlN2at6native12_GLOBAL__N_18offset_tEEE10hipError_tPvRmT1_PNSt15iterator_traitsISK_E10value_typeET2_T3_PNSL_ISQ_E10value_typeET4_jRbjT5_SW_jjP12ihipStream_tbEUlT_E0_NS1_11comp_targetILNS1_3genE2ELNS1_11target_archE906ELNS1_3gpuE6ELNS1_3repE0EEENS1_60segmented_radix_sort_warp_sort_medium_config_static_selectorELNS0_4arch9wavefront6targetE0EEEvSK_
		.amdhsa_group_segment_fixed_size 0
		.amdhsa_private_segment_fixed_size 0
		.amdhsa_kernarg_size 88
		.amdhsa_user_sgpr_count 6
		.amdhsa_user_sgpr_private_segment_buffer 1
		.amdhsa_user_sgpr_dispatch_ptr 0
		.amdhsa_user_sgpr_queue_ptr 0
		.amdhsa_user_sgpr_kernarg_segment_ptr 1
		.amdhsa_user_sgpr_dispatch_id 0
		.amdhsa_user_sgpr_flat_scratch_init 0
		.amdhsa_user_sgpr_private_segment_size 0
		.amdhsa_wavefront_size32 1
		.amdhsa_uses_dynamic_stack 0
		.amdhsa_system_sgpr_private_segment_wavefront_offset 0
		.amdhsa_system_sgpr_workgroup_id_x 1
		.amdhsa_system_sgpr_workgroup_id_y 0
		.amdhsa_system_sgpr_workgroup_id_z 0
		.amdhsa_system_sgpr_workgroup_info 0
		.amdhsa_system_vgpr_workitem_id 0
		.amdhsa_next_free_vgpr 1
		.amdhsa_next_free_sgpr 1
		.amdhsa_reserve_vcc 0
		.amdhsa_reserve_flat_scratch 0
		.amdhsa_float_round_mode_32 0
		.amdhsa_float_round_mode_16_64 0
		.amdhsa_float_denorm_mode_32 3
		.amdhsa_float_denorm_mode_16_64 3
		.amdhsa_dx10_clamp 1
		.amdhsa_ieee_mode 1
		.amdhsa_fp16_overflow 0
		.amdhsa_workgroup_processor_mode 1
		.amdhsa_memory_ordered 1
		.amdhsa_forward_progress 1
		.amdhsa_shared_vgpr_count 0
		.amdhsa_exception_fp_ieee_invalid_op 0
		.amdhsa_exception_fp_denorm_src 0
		.amdhsa_exception_fp_ieee_div_zero 0
		.amdhsa_exception_fp_ieee_overflow 0
		.amdhsa_exception_fp_ieee_underflow 0
		.amdhsa_exception_fp_ieee_inexact 0
		.amdhsa_exception_int_div_zero 0
	.end_amdhsa_kernel
	.section	.text._ZN7rocprim17ROCPRIM_400000_NS6detail17trampoline_kernelINS0_14default_configENS1_36segmented_radix_sort_config_selectorIilEEZNS1_25segmented_radix_sort_implIS3_Lb0EPKiPiPKlPlN2at6native12_GLOBAL__N_18offset_tEEE10hipError_tPvRmT1_PNSt15iterator_traitsISK_E10value_typeET2_T3_PNSL_ISQ_E10value_typeET4_jRbjT5_SW_jjP12ihipStream_tbEUlT_E0_NS1_11comp_targetILNS1_3genE2ELNS1_11target_archE906ELNS1_3gpuE6ELNS1_3repE0EEENS1_60segmented_radix_sort_warp_sort_medium_config_static_selectorELNS0_4arch9wavefront6targetE0EEEvSK_,"axG",@progbits,_ZN7rocprim17ROCPRIM_400000_NS6detail17trampoline_kernelINS0_14default_configENS1_36segmented_radix_sort_config_selectorIilEEZNS1_25segmented_radix_sort_implIS3_Lb0EPKiPiPKlPlN2at6native12_GLOBAL__N_18offset_tEEE10hipError_tPvRmT1_PNSt15iterator_traitsISK_E10value_typeET2_T3_PNSL_ISQ_E10value_typeET4_jRbjT5_SW_jjP12ihipStream_tbEUlT_E0_NS1_11comp_targetILNS1_3genE2ELNS1_11target_archE906ELNS1_3gpuE6ELNS1_3repE0EEENS1_60segmented_radix_sort_warp_sort_medium_config_static_selectorELNS0_4arch9wavefront6targetE0EEEvSK_,comdat
.Lfunc_end609:
	.size	_ZN7rocprim17ROCPRIM_400000_NS6detail17trampoline_kernelINS0_14default_configENS1_36segmented_radix_sort_config_selectorIilEEZNS1_25segmented_radix_sort_implIS3_Lb0EPKiPiPKlPlN2at6native12_GLOBAL__N_18offset_tEEE10hipError_tPvRmT1_PNSt15iterator_traitsISK_E10value_typeET2_T3_PNSL_ISQ_E10value_typeET4_jRbjT5_SW_jjP12ihipStream_tbEUlT_E0_NS1_11comp_targetILNS1_3genE2ELNS1_11target_archE906ELNS1_3gpuE6ELNS1_3repE0EEENS1_60segmented_radix_sort_warp_sort_medium_config_static_selectorELNS0_4arch9wavefront6targetE0EEEvSK_, .Lfunc_end609-_ZN7rocprim17ROCPRIM_400000_NS6detail17trampoline_kernelINS0_14default_configENS1_36segmented_radix_sort_config_selectorIilEEZNS1_25segmented_radix_sort_implIS3_Lb0EPKiPiPKlPlN2at6native12_GLOBAL__N_18offset_tEEE10hipError_tPvRmT1_PNSt15iterator_traitsISK_E10value_typeET2_T3_PNSL_ISQ_E10value_typeET4_jRbjT5_SW_jjP12ihipStream_tbEUlT_E0_NS1_11comp_targetILNS1_3genE2ELNS1_11target_archE906ELNS1_3gpuE6ELNS1_3repE0EEENS1_60segmented_radix_sort_warp_sort_medium_config_static_selectorELNS0_4arch9wavefront6targetE0EEEvSK_
                                        ; -- End function
	.set _ZN7rocprim17ROCPRIM_400000_NS6detail17trampoline_kernelINS0_14default_configENS1_36segmented_radix_sort_config_selectorIilEEZNS1_25segmented_radix_sort_implIS3_Lb0EPKiPiPKlPlN2at6native12_GLOBAL__N_18offset_tEEE10hipError_tPvRmT1_PNSt15iterator_traitsISK_E10value_typeET2_T3_PNSL_ISQ_E10value_typeET4_jRbjT5_SW_jjP12ihipStream_tbEUlT_E0_NS1_11comp_targetILNS1_3genE2ELNS1_11target_archE906ELNS1_3gpuE6ELNS1_3repE0EEENS1_60segmented_radix_sort_warp_sort_medium_config_static_selectorELNS0_4arch9wavefront6targetE0EEEvSK_.num_vgpr, 0
	.set _ZN7rocprim17ROCPRIM_400000_NS6detail17trampoline_kernelINS0_14default_configENS1_36segmented_radix_sort_config_selectorIilEEZNS1_25segmented_radix_sort_implIS3_Lb0EPKiPiPKlPlN2at6native12_GLOBAL__N_18offset_tEEE10hipError_tPvRmT1_PNSt15iterator_traitsISK_E10value_typeET2_T3_PNSL_ISQ_E10value_typeET4_jRbjT5_SW_jjP12ihipStream_tbEUlT_E0_NS1_11comp_targetILNS1_3genE2ELNS1_11target_archE906ELNS1_3gpuE6ELNS1_3repE0EEENS1_60segmented_radix_sort_warp_sort_medium_config_static_selectorELNS0_4arch9wavefront6targetE0EEEvSK_.num_agpr, 0
	.set _ZN7rocprim17ROCPRIM_400000_NS6detail17trampoline_kernelINS0_14default_configENS1_36segmented_radix_sort_config_selectorIilEEZNS1_25segmented_radix_sort_implIS3_Lb0EPKiPiPKlPlN2at6native12_GLOBAL__N_18offset_tEEE10hipError_tPvRmT1_PNSt15iterator_traitsISK_E10value_typeET2_T3_PNSL_ISQ_E10value_typeET4_jRbjT5_SW_jjP12ihipStream_tbEUlT_E0_NS1_11comp_targetILNS1_3genE2ELNS1_11target_archE906ELNS1_3gpuE6ELNS1_3repE0EEENS1_60segmented_radix_sort_warp_sort_medium_config_static_selectorELNS0_4arch9wavefront6targetE0EEEvSK_.numbered_sgpr, 0
	.set _ZN7rocprim17ROCPRIM_400000_NS6detail17trampoline_kernelINS0_14default_configENS1_36segmented_radix_sort_config_selectorIilEEZNS1_25segmented_radix_sort_implIS3_Lb0EPKiPiPKlPlN2at6native12_GLOBAL__N_18offset_tEEE10hipError_tPvRmT1_PNSt15iterator_traitsISK_E10value_typeET2_T3_PNSL_ISQ_E10value_typeET4_jRbjT5_SW_jjP12ihipStream_tbEUlT_E0_NS1_11comp_targetILNS1_3genE2ELNS1_11target_archE906ELNS1_3gpuE6ELNS1_3repE0EEENS1_60segmented_radix_sort_warp_sort_medium_config_static_selectorELNS0_4arch9wavefront6targetE0EEEvSK_.num_named_barrier, 0
	.set _ZN7rocprim17ROCPRIM_400000_NS6detail17trampoline_kernelINS0_14default_configENS1_36segmented_radix_sort_config_selectorIilEEZNS1_25segmented_radix_sort_implIS3_Lb0EPKiPiPKlPlN2at6native12_GLOBAL__N_18offset_tEEE10hipError_tPvRmT1_PNSt15iterator_traitsISK_E10value_typeET2_T3_PNSL_ISQ_E10value_typeET4_jRbjT5_SW_jjP12ihipStream_tbEUlT_E0_NS1_11comp_targetILNS1_3genE2ELNS1_11target_archE906ELNS1_3gpuE6ELNS1_3repE0EEENS1_60segmented_radix_sort_warp_sort_medium_config_static_selectorELNS0_4arch9wavefront6targetE0EEEvSK_.private_seg_size, 0
	.set _ZN7rocprim17ROCPRIM_400000_NS6detail17trampoline_kernelINS0_14default_configENS1_36segmented_radix_sort_config_selectorIilEEZNS1_25segmented_radix_sort_implIS3_Lb0EPKiPiPKlPlN2at6native12_GLOBAL__N_18offset_tEEE10hipError_tPvRmT1_PNSt15iterator_traitsISK_E10value_typeET2_T3_PNSL_ISQ_E10value_typeET4_jRbjT5_SW_jjP12ihipStream_tbEUlT_E0_NS1_11comp_targetILNS1_3genE2ELNS1_11target_archE906ELNS1_3gpuE6ELNS1_3repE0EEENS1_60segmented_radix_sort_warp_sort_medium_config_static_selectorELNS0_4arch9wavefront6targetE0EEEvSK_.uses_vcc, 0
	.set _ZN7rocprim17ROCPRIM_400000_NS6detail17trampoline_kernelINS0_14default_configENS1_36segmented_radix_sort_config_selectorIilEEZNS1_25segmented_radix_sort_implIS3_Lb0EPKiPiPKlPlN2at6native12_GLOBAL__N_18offset_tEEE10hipError_tPvRmT1_PNSt15iterator_traitsISK_E10value_typeET2_T3_PNSL_ISQ_E10value_typeET4_jRbjT5_SW_jjP12ihipStream_tbEUlT_E0_NS1_11comp_targetILNS1_3genE2ELNS1_11target_archE906ELNS1_3gpuE6ELNS1_3repE0EEENS1_60segmented_radix_sort_warp_sort_medium_config_static_selectorELNS0_4arch9wavefront6targetE0EEEvSK_.uses_flat_scratch, 0
	.set _ZN7rocprim17ROCPRIM_400000_NS6detail17trampoline_kernelINS0_14default_configENS1_36segmented_radix_sort_config_selectorIilEEZNS1_25segmented_radix_sort_implIS3_Lb0EPKiPiPKlPlN2at6native12_GLOBAL__N_18offset_tEEE10hipError_tPvRmT1_PNSt15iterator_traitsISK_E10value_typeET2_T3_PNSL_ISQ_E10value_typeET4_jRbjT5_SW_jjP12ihipStream_tbEUlT_E0_NS1_11comp_targetILNS1_3genE2ELNS1_11target_archE906ELNS1_3gpuE6ELNS1_3repE0EEENS1_60segmented_radix_sort_warp_sort_medium_config_static_selectorELNS0_4arch9wavefront6targetE0EEEvSK_.has_dyn_sized_stack, 0
	.set _ZN7rocprim17ROCPRIM_400000_NS6detail17trampoline_kernelINS0_14default_configENS1_36segmented_radix_sort_config_selectorIilEEZNS1_25segmented_radix_sort_implIS3_Lb0EPKiPiPKlPlN2at6native12_GLOBAL__N_18offset_tEEE10hipError_tPvRmT1_PNSt15iterator_traitsISK_E10value_typeET2_T3_PNSL_ISQ_E10value_typeET4_jRbjT5_SW_jjP12ihipStream_tbEUlT_E0_NS1_11comp_targetILNS1_3genE2ELNS1_11target_archE906ELNS1_3gpuE6ELNS1_3repE0EEENS1_60segmented_radix_sort_warp_sort_medium_config_static_selectorELNS0_4arch9wavefront6targetE0EEEvSK_.has_recursion, 0
	.set _ZN7rocprim17ROCPRIM_400000_NS6detail17trampoline_kernelINS0_14default_configENS1_36segmented_radix_sort_config_selectorIilEEZNS1_25segmented_radix_sort_implIS3_Lb0EPKiPiPKlPlN2at6native12_GLOBAL__N_18offset_tEEE10hipError_tPvRmT1_PNSt15iterator_traitsISK_E10value_typeET2_T3_PNSL_ISQ_E10value_typeET4_jRbjT5_SW_jjP12ihipStream_tbEUlT_E0_NS1_11comp_targetILNS1_3genE2ELNS1_11target_archE906ELNS1_3gpuE6ELNS1_3repE0EEENS1_60segmented_radix_sort_warp_sort_medium_config_static_selectorELNS0_4arch9wavefront6targetE0EEEvSK_.has_indirect_call, 0
	.section	.AMDGPU.csdata,"",@progbits
; Kernel info:
; codeLenInByte = 0
; TotalNumSgprs: 0
; NumVgprs: 0
; ScratchSize: 0
; MemoryBound: 0
; FloatMode: 240
; IeeeMode: 1
; LDSByteSize: 0 bytes/workgroup (compile time only)
; SGPRBlocks: 0
; VGPRBlocks: 0
; NumSGPRsForWavesPerEU: 1
; NumVGPRsForWavesPerEU: 1
; Occupancy: 16
; WaveLimiterHint : 0
; COMPUTE_PGM_RSRC2:SCRATCH_EN: 0
; COMPUTE_PGM_RSRC2:USER_SGPR: 6
; COMPUTE_PGM_RSRC2:TRAP_HANDLER: 0
; COMPUTE_PGM_RSRC2:TGID_X_EN: 1
; COMPUTE_PGM_RSRC2:TGID_Y_EN: 0
; COMPUTE_PGM_RSRC2:TGID_Z_EN: 0
; COMPUTE_PGM_RSRC2:TIDIG_COMP_CNT: 0
	.section	.text._ZN7rocprim17ROCPRIM_400000_NS6detail17trampoline_kernelINS0_14default_configENS1_36segmented_radix_sort_config_selectorIilEEZNS1_25segmented_radix_sort_implIS3_Lb0EPKiPiPKlPlN2at6native12_GLOBAL__N_18offset_tEEE10hipError_tPvRmT1_PNSt15iterator_traitsISK_E10value_typeET2_T3_PNSL_ISQ_E10value_typeET4_jRbjT5_SW_jjP12ihipStream_tbEUlT_E0_NS1_11comp_targetILNS1_3genE10ELNS1_11target_archE1201ELNS1_3gpuE5ELNS1_3repE0EEENS1_60segmented_radix_sort_warp_sort_medium_config_static_selectorELNS0_4arch9wavefront6targetE0EEEvSK_,"axG",@progbits,_ZN7rocprim17ROCPRIM_400000_NS6detail17trampoline_kernelINS0_14default_configENS1_36segmented_radix_sort_config_selectorIilEEZNS1_25segmented_radix_sort_implIS3_Lb0EPKiPiPKlPlN2at6native12_GLOBAL__N_18offset_tEEE10hipError_tPvRmT1_PNSt15iterator_traitsISK_E10value_typeET2_T3_PNSL_ISQ_E10value_typeET4_jRbjT5_SW_jjP12ihipStream_tbEUlT_E0_NS1_11comp_targetILNS1_3genE10ELNS1_11target_archE1201ELNS1_3gpuE5ELNS1_3repE0EEENS1_60segmented_radix_sort_warp_sort_medium_config_static_selectorELNS0_4arch9wavefront6targetE0EEEvSK_,comdat
	.globl	_ZN7rocprim17ROCPRIM_400000_NS6detail17trampoline_kernelINS0_14default_configENS1_36segmented_radix_sort_config_selectorIilEEZNS1_25segmented_radix_sort_implIS3_Lb0EPKiPiPKlPlN2at6native12_GLOBAL__N_18offset_tEEE10hipError_tPvRmT1_PNSt15iterator_traitsISK_E10value_typeET2_T3_PNSL_ISQ_E10value_typeET4_jRbjT5_SW_jjP12ihipStream_tbEUlT_E0_NS1_11comp_targetILNS1_3genE10ELNS1_11target_archE1201ELNS1_3gpuE5ELNS1_3repE0EEENS1_60segmented_radix_sort_warp_sort_medium_config_static_selectorELNS0_4arch9wavefront6targetE0EEEvSK_ ; -- Begin function _ZN7rocprim17ROCPRIM_400000_NS6detail17trampoline_kernelINS0_14default_configENS1_36segmented_radix_sort_config_selectorIilEEZNS1_25segmented_radix_sort_implIS3_Lb0EPKiPiPKlPlN2at6native12_GLOBAL__N_18offset_tEEE10hipError_tPvRmT1_PNSt15iterator_traitsISK_E10value_typeET2_T3_PNSL_ISQ_E10value_typeET4_jRbjT5_SW_jjP12ihipStream_tbEUlT_E0_NS1_11comp_targetILNS1_3genE10ELNS1_11target_archE1201ELNS1_3gpuE5ELNS1_3repE0EEENS1_60segmented_radix_sort_warp_sort_medium_config_static_selectorELNS0_4arch9wavefront6targetE0EEEvSK_
	.p2align	8
	.type	_ZN7rocprim17ROCPRIM_400000_NS6detail17trampoline_kernelINS0_14default_configENS1_36segmented_radix_sort_config_selectorIilEEZNS1_25segmented_radix_sort_implIS3_Lb0EPKiPiPKlPlN2at6native12_GLOBAL__N_18offset_tEEE10hipError_tPvRmT1_PNSt15iterator_traitsISK_E10value_typeET2_T3_PNSL_ISQ_E10value_typeET4_jRbjT5_SW_jjP12ihipStream_tbEUlT_E0_NS1_11comp_targetILNS1_3genE10ELNS1_11target_archE1201ELNS1_3gpuE5ELNS1_3repE0EEENS1_60segmented_radix_sort_warp_sort_medium_config_static_selectorELNS0_4arch9wavefront6targetE0EEEvSK_,@function
_ZN7rocprim17ROCPRIM_400000_NS6detail17trampoline_kernelINS0_14default_configENS1_36segmented_radix_sort_config_selectorIilEEZNS1_25segmented_radix_sort_implIS3_Lb0EPKiPiPKlPlN2at6native12_GLOBAL__N_18offset_tEEE10hipError_tPvRmT1_PNSt15iterator_traitsISK_E10value_typeET2_T3_PNSL_ISQ_E10value_typeET4_jRbjT5_SW_jjP12ihipStream_tbEUlT_E0_NS1_11comp_targetILNS1_3genE10ELNS1_11target_archE1201ELNS1_3gpuE5ELNS1_3repE0EEENS1_60segmented_radix_sort_warp_sort_medium_config_static_selectorELNS0_4arch9wavefront6targetE0EEEvSK_: ; @_ZN7rocprim17ROCPRIM_400000_NS6detail17trampoline_kernelINS0_14default_configENS1_36segmented_radix_sort_config_selectorIilEEZNS1_25segmented_radix_sort_implIS3_Lb0EPKiPiPKlPlN2at6native12_GLOBAL__N_18offset_tEEE10hipError_tPvRmT1_PNSt15iterator_traitsISK_E10value_typeET2_T3_PNSL_ISQ_E10value_typeET4_jRbjT5_SW_jjP12ihipStream_tbEUlT_E0_NS1_11comp_targetILNS1_3genE10ELNS1_11target_archE1201ELNS1_3gpuE5ELNS1_3repE0EEENS1_60segmented_radix_sort_warp_sort_medium_config_static_selectorELNS0_4arch9wavefront6targetE0EEEvSK_
; %bb.0:
	.section	.rodata,"a",@progbits
	.p2align	6, 0x0
	.amdhsa_kernel _ZN7rocprim17ROCPRIM_400000_NS6detail17trampoline_kernelINS0_14default_configENS1_36segmented_radix_sort_config_selectorIilEEZNS1_25segmented_radix_sort_implIS3_Lb0EPKiPiPKlPlN2at6native12_GLOBAL__N_18offset_tEEE10hipError_tPvRmT1_PNSt15iterator_traitsISK_E10value_typeET2_T3_PNSL_ISQ_E10value_typeET4_jRbjT5_SW_jjP12ihipStream_tbEUlT_E0_NS1_11comp_targetILNS1_3genE10ELNS1_11target_archE1201ELNS1_3gpuE5ELNS1_3repE0EEENS1_60segmented_radix_sort_warp_sort_medium_config_static_selectorELNS0_4arch9wavefront6targetE0EEEvSK_
		.amdhsa_group_segment_fixed_size 0
		.amdhsa_private_segment_fixed_size 0
		.amdhsa_kernarg_size 88
		.amdhsa_user_sgpr_count 6
		.amdhsa_user_sgpr_private_segment_buffer 1
		.amdhsa_user_sgpr_dispatch_ptr 0
		.amdhsa_user_sgpr_queue_ptr 0
		.amdhsa_user_sgpr_kernarg_segment_ptr 1
		.amdhsa_user_sgpr_dispatch_id 0
		.amdhsa_user_sgpr_flat_scratch_init 0
		.amdhsa_user_sgpr_private_segment_size 0
		.amdhsa_wavefront_size32 1
		.amdhsa_uses_dynamic_stack 0
		.amdhsa_system_sgpr_private_segment_wavefront_offset 0
		.amdhsa_system_sgpr_workgroup_id_x 1
		.amdhsa_system_sgpr_workgroup_id_y 0
		.amdhsa_system_sgpr_workgroup_id_z 0
		.amdhsa_system_sgpr_workgroup_info 0
		.amdhsa_system_vgpr_workitem_id 0
		.amdhsa_next_free_vgpr 1
		.amdhsa_next_free_sgpr 1
		.amdhsa_reserve_vcc 0
		.amdhsa_reserve_flat_scratch 0
		.amdhsa_float_round_mode_32 0
		.amdhsa_float_round_mode_16_64 0
		.amdhsa_float_denorm_mode_32 3
		.amdhsa_float_denorm_mode_16_64 3
		.amdhsa_dx10_clamp 1
		.amdhsa_ieee_mode 1
		.amdhsa_fp16_overflow 0
		.amdhsa_workgroup_processor_mode 1
		.amdhsa_memory_ordered 1
		.amdhsa_forward_progress 1
		.amdhsa_shared_vgpr_count 0
		.amdhsa_exception_fp_ieee_invalid_op 0
		.amdhsa_exception_fp_denorm_src 0
		.amdhsa_exception_fp_ieee_div_zero 0
		.amdhsa_exception_fp_ieee_overflow 0
		.amdhsa_exception_fp_ieee_underflow 0
		.amdhsa_exception_fp_ieee_inexact 0
		.amdhsa_exception_int_div_zero 0
	.end_amdhsa_kernel
	.section	.text._ZN7rocprim17ROCPRIM_400000_NS6detail17trampoline_kernelINS0_14default_configENS1_36segmented_radix_sort_config_selectorIilEEZNS1_25segmented_radix_sort_implIS3_Lb0EPKiPiPKlPlN2at6native12_GLOBAL__N_18offset_tEEE10hipError_tPvRmT1_PNSt15iterator_traitsISK_E10value_typeET2_T3_PNSL_ISQ_E10value_typeET4_jRbjT5_SW_jjP12ihipStream_tbEUlT_E0_NS1_11comp_targetILNS1_3genE10ELNS1_11target_archE1201ELNS1_3gpuE5ELNS1_3repE0EEENS1_60segmented_radix_sort_warp_sort_medium_config_static_selectorELNS0_4arch9wavefront6targetE0EEEvSK_,"axG",@progbits,_ZN7rocprim17ROCPRIM_400000_NS6detail17trampoline_kernelINS0_14default_configENS1_36segmented_radix_sort_config_selectorIilEEZNS1_25segmented_radix_sort_implIS3_Lb0EPKiPiPKlPlN2at6native12_GLOBAL__N_18offset_tEEE10hipError_tPvRmT1_PNSt15iterator_traitsISK_E10value_typeET2_T3_PNSL_ISQ_E10value_typeET4_jRbjT5_SW_jjP12ihipStream_tbEUlT_E0_NS1_11comp_targetILNS1_3genE10ELNS1_11target_archE1201ELNS1_3gpuE5ELNS1_3repE0EEENS1_60segmented_radix_sort_warp_sort_medium_config_static_selectorELNS0_4arch9wavefront6targetE0EEEvSK_,comdat
.Lfunc_end610:
	.size	_ZN7rocprim17ROCPRIM_400000_NS6detail17trampoline_kernelINS0_14default_configENS1_36segmented_radix_sort_config_selectorIilEEZNS1_25segmented_radix_sort_implIS3_Lb0EPKiPiPKlPlN2at6native12_GLOBAL__N_18offset_tEEE10hipError_tPvRmT1_PNSt15iterator_traitsISK_E10value_typeET2_T3_PNSL_ISQ_E10value_typeET4_jRbjT5_SW_jjP12ihipStream_tbEUlT_E0_NS1_11comp_targetILNS1_3genE10ELNS1_11target_archE1201ELNS1_3gpuE5ELNS1_3repE0EEENS1_60segmented_radix_sort_warp_sort_medium_config_static_selectorELNS0_4arch9wavefront6targetE0EEEvSK_, .Lfunc_end610-_ZN7rocprim17ROCPRIM_400000_NS6detail17trampoline_kernelINS0_14default_configENS1_36segmented_radix_sort_config_selectorIilEEZNS1_25segmented_radix_sort_implIS3_Lb0EPKiPiPKlPlN2at6native12_GLOBAL__N_18offset_tEEE10hipError_tPvRmT1_PNSt15iterator_traitsISK_E10value_typeET2_T3_PNSL_ISQ_E10value_typeET4_jRbjT5_SW_jjP12ihipStream_tbEUlT_E0_NS1_11comp_targetILNS1_3genE10ELNS1_11target_archE1201ELNS1_3gpuE5ELNS1_3repE0EEENS1_60segmented_radix_sort_warp_sort_medium_config_static_selectorELNS0_4arch9wavefront6targetE0EEEvSK_
                                        ; -- End function
	.set _ZN7rocprim17ROCPRIM_400000_NS6detail17trampoline_kernelINS0_14default_configENS1_36segmented_radix_sort_config_selectorIilEEZNS1_25segmented_radix_sort_implIS3_Lb0EPKiPiPKlPlN2at6native12_GLOBAL__N_18offset_tEEE10hipError_tPvRmT1_PNSt15iterator_traitsISK_E10value_typeET2_T3_PNSL_ISQ_E10value_typeET4_jRbjT5_SW_jjP12ihipStream_tbEUlT_E0_NS1_11comp_targetILNS1_3genE10ELNS1_11target_archE1201ELNS1_3gpuE5ELNS1_3repE0EEENS1_60segmented_radix_sort_warp_sort_medium_config_static_selectorELNS0_4arch9wavefront6targetE0EEEvSK_.num_vgpr, 0
	.set _ZN7rocprim17ROCPRIM_400000_NS6detail17trampoline_kernelINS0_14default_configENS1_36segmented_radix_sort_config_selectorIilEEZNS1_25segmented_radix_sort_implIS3_Lb0EPKiPiPKlPlN2at6native12_GLOBAL__N_18offset_tEEE10hipError_tPvRmT1_PNSt15iterator_traitsISK_E10value_typeET2_T3_PNSL_ISQ_E10value_typeET4_jRbjT5_SW_jjP12ihipStream_tbEUlT_E0_NS1_11comp_targetILNS1_3genE10ELNS1_11target_archE1201ELNS1_3gpuE5ELNS1_3repE0EEENS1_60segmented_radix_sort_warp_sort_medium_config_static_selectorELNS0_4arch9wavefront6targetE0EEEvSK_.num_agpr, 0
	.set _ZN7rocprim17ROCPRIM_400000_NS6detail17trampoline_kernelINS0_14default_configENS1_36segmented_radix_sort_config_selectorIilEEZNS1_25segmented_radix_sort_implIS3_Lb0EPKiPiPKlPlN2at6native12_GLOBAL__N_18offset_tEEE10hipError_tPvRmT1_PNSt15iterator_traitsISK_E10value_typeET2_T3_PNSL_ISQ_E10value_typeET4_jRbjT5_SW_jjP12ihipStream_tbEUlT_E0_NS1_11comp_targetILNS1_3genE10ELNS1_11target_archE1201ELNS1_3gpuE5ELNS1_3repE0EEENS1_60segmented_radix_sort_warp_sort_medium_config_static_selectorELNS0_4arch9wavefront6targetE0EEEvSK_.numbered_sgpr, 0
	.set _ZN7rocprim17ROCPRIM_400000_NS6detail17trampoline_kernelINS0_14default_configENS1_36segmented_radix_sort_config_selectorIilEEZNS1_25segmented_radix_sort_implIS3_Lb0EPKiPiPKlPlN2at6native12_GLOBAL__N_18offset_tEEE10hipError_tPvRmT1_PNSt15iterator_traitsISK_E10value_typeET2_T3_PNSL_ISQ_E10value_typeET4_jRbjT5_SW_jjP12ihipStream_tbEUlT_E0_NS1_11comp_targetILNS1_3genE10ELNS1_11target_archE1201ELNS1_3gpuE5ELNS1_3repE0EEENS1_60segmented_radix_sort_warp_sort_medium_config_static_selectorELNS0_4arch9wavefront6targetE0EEEvSK_.num_named_barrier, 0
	.set _ZN7rocprim17ROCPRIM_400000_NS6detail17trampoline_kernelINS0_14default_configENS1_36segmented_radix_sort_config_selectorIilEEZNS1_25segmented_radix_sort_implIS3_Lb0EPKiPiPKlPlN2at6native12_GLOBAL__N_18offset_tEEE10hipError_tPvRmT1_PNSt15iterator_traitsISK_E10value_typeET2_T3_PNSL_ISQ_E10value_typeET4_jRbjT5_SW_jjP12ihipStream_tbEUlT_E0_NS1_11comp_targetILNS1_3genE10ELNS1_11target_archE1201ELNS1_3gpuE5ELNS1_3repE0EEENS1_60segmented_radix_sort_warp_sort_medium_config_static_selectorELNS0_4arch9wavefront6targetE0EEEvSK_.private_seg_size, 0
	.set _ZN7rocprim17ROCPRIM_400000_NS6detail17trampoline_kernelINS0_14default_configENS1_36segmented_radix_sort_config_selectorIilEEZNS1_25segmented_radix_sort_implIS3_Lb0EPKiPiPKlPlN2at6native12_GLOBAL__N_18offset_tEEE10hipError_tPvRmT1_PNSt15iterator_traitsISK_E10value_typeET2_T3_PNSL_ISQ_E10value_typeET4_jRbjT5_SW_jjP12ihipStream_tbEUlT_E0_NS1_11comp_targetILNS1_3genE10ELNS1_11target_archE1201ELNS1_3gpuE5ELNS1_3repE0EEENS1_60segmented_radix_sort_warp_sort_medium_config_static_selectorELNS0_4arch9wavefront6targetE0EEEvSK_.uses_vcc, 0
	.set _ZN7rocprim17ROCPRIM_400000_NS6detail17trampoline_kernelINS0_14default_configENS1_36segmented_radix_sort_config_selectorIilEEZNS1_25segmented_radix_sort_implIS3_Lb0EPKiPiPKlPlN2at6native12_GLOBAL__N_18offset_tEEE10hipError_tPvRmT1_PNSt15iterator_traitsISK_E10value_typeET2_T3_PNSL_ISQ_E10value_typeET4_jRbjT5_SW_jjP12ihipStream_tbEUlT_E0_NS1_11comp_targetILNS1_3genE10ELNS1_11target_archE1201ELNS1_3gpuE5ELNS1_3repE0EEENS1_60segmented_radix_sort_warp_sort_medium_config_static_selectorELNS0_4arch9wavefront6targetE0EEEvSK_.uses_flat_scratch, 0
	.set _ZN7rocprim17ROCPRIM_400000_NS6detail17trampoline_kernelINS0_14default_configENS1_36segmented_radix_sort_config_selectorIilEEZNS1_25segmented_radix_sort_implIS3_Lb0EPKiPiPKlPlN2at6native12_GLOBAL__N_18offset_tEEE10hipError_tPvRmT1_PNSt15iterator_traitsISK_E10value_typeET2_T3_PNSL_ISQ_E10value_typeET4_jRbjT5_SW_jjP12ihipStream_tbEUlT_E0_NS1_11comp_targetILNS1_3genE10ELNS1_11target_archE1201ELNS1_3gpuE5ELNS1_3repE0EEENS1_60segmented_radix_sort_warp_sort_medium_config_static_selectorELNS0_4arch9wavefront6targetE0EEEvSK_.has_dyn_sized_stack, 0
	.set _ZN7rocprim17ROCPRIM_400000_NS6detail17trampoline_kernelINS0_14default_configENS1_36segmented_radix_sort_config_selectorIilEEZNS1_25segmented_radix_sort_implIS3_Lb0EPKiPiPKlPlN2at6native12_GLOBAL__N_18offset_tEEE10hipError_tPvRmT1_PNSt15iterator_traitsISK_E10value_typeET2_T3_PNSL_ISQ_E10value_typeET4_jRbjT5_SW_jjP12ihipStream_tbEUlT_E0_NS1_11comp_targetILNS1_3genE10ELNS1_11target_archE1201ELNS1_3gpuE5ELNS1_3repE0EEENS1_60segmented_radix_sort_warp_sort_medium_config_static_selectorELNS0_4arch9wavefront6targetE0EEEvSK_.has_recursion, 0
	.set _ZN7rocprim17ROCPRIM_400000_NS6detail17trampoline_kernelINS0_14default_configENS1_36segmented_radix_sort_config_selectorIilEEZNS1_25segmented_radix_sort_implIS3_Lb0EPKiPiPKlPlN2at6native12_GLOBAL__N_18offset_tEEE10hipError_tPvRmT1_PNSt15iterator_traitsISK_E10value_typeET2_T3_PNSL_ISQ_E10value_typeET4_jRbjT5_SW_jjP12ihipStream_tbEUlT_E0_NS1_11comp_targetILNS1_3genE10ELNS1_11target_archE1201ELNS1_3gpuE5ELNS1_3repE0EEENS1_60segmented_radix_sort_warp_sort_medium_config_static_selectorELNS0_4arch9wavefront6targetE0EEEvSK_.has_indirect_call, 0
	.section	.AMDGPU.csdata,"",@progbits
; Kernel info:
; codeLenInByte = 0
; TotalNumSgprs: 0
; NumVgprs: 0
; ScratchSize: 0
; MemoryBound: 0
; FloatMode: 240
; IeeeMode: 1
; LDSByteSize: 0 bytes/workgroup (compile time only)
; SGPRBlocks: 0
; VGPRBlocks: 0
; NumSGPRsForWavesPerEU: 1
; NumVGPRsForWavesPerEU: 1
; Occupancy: 16
; WaveLimiterHint : 0
; COMPUTE_PGM_RSRC2:SCRATCH_EN: 0
; COMPUTE_PGM_RSRC2:USER_SGPR: 6
; COMPUTE_PGM_RSRC2:TRAP_HANDLER: 0
; COMPUTE_PGM_RSRC2:TGID_X_EN: 1
; COMPUTE_PGM_RSRC2:TGID_Y_EN: 0
; COMPUTE_PGM_RSRC2:TGID_Z_EN: 0
; COMPUTE_PGM_RSRC2:TIDIG_COMP_CNT: 0
	.section	.text._ZN7rocprim17ROCPRIM_400000_NS6detail17trampoline_kernelINS0_14default_configENS1_36segmented_radix_sort_config_selectorIilEEZNS1_25segmented_radix_sort_implIS3_Lb0EPKiPiPKlPlN2at6native12_GLOBAL__N_18offset_tEEE10hipError_tPvRmT1_PNSt15iterator_traitsISK_E10value_typeET2_T3_PNSL_ISQ_E10value_typeET4_jRbjT5_SW_jjP12ihipStream_tbEUlT_E0_NS1_11comp_targetILNS1_3genE10ELNS1_11target_archE1200ELNS1_3gpuE4ELNS1_3repE0EEENS1_60segmented_radix_sort_warp_sort_medium_config_static_selectorELNS0_4arch9wavefront6targetE0EEEvSK_,"axG",@progbits,_ZN7rocprim17ROCPRIM_400000_NS6detail17trampoline_kernelINS0_14default_configENS1_36segmented_radix_sort_config_selectorIilEEZNS1_25segmented_radix_sort_implIS3_Lb0EPKiPiPKlPlN2at6native12_GLOBAL__N_18offset_tEEE10hipError_tPvRmT1_PNSt15iterator_traitsISK_E10value_typeET2_T3_PNSL_ISQ_E10value_typeET4_jRbjT5_SW_jjP12ihipStream_tbEUlT_E0_NS1_11comp_targetILNS1_3genE10ELNS1_11target_archE1200ELNS1_3gpuE4ELNS1_3repE0EEENS1_60segmented_radix_sort_warp_sort_medium_config_static_selectorELNS0_4arch9wavefront6targetE0EEEvSK_,comdat
	.globl	_ZN7rocprim17ROCPRIM_400000_NS6detail17trampoline_kernelINS0_14default_configENS1_36segmented_radix_sort_config_selectorIilEEZNS1_25segmented_radix_sort_implIS3_Lb0EPKiPiPKlPlN2at6native12_GLOBAL__N_18offset_tEEE10hipError_tPvRmT1_PNSt15iterator_traitsISK_E10value_typeET2_T3_PNSL_ISQ_E10value_typeET4_jRbjT5_SW_jjP12ihipStream_tbEUlT_E0_NS1_11comp_targetILNS1_3genE10ELNS1_11target_archE1200ELNS1_3gpuE4ELNS1_3repE0EEENS1_60segmented_radix_sort_warp_sort_medium_config_static_selectorELNS0_4arch9wavefront6targetE0EEEvSK_ ; -- Begin function _ZN7rocprim17ROCPRIM_400000_NS6detail17trampoline_kernelINS0_14default_configENS1_36segmented_radix_sort_config_selectorIilEEZNS1_25segmented_radix_sort_implIS3_Lb0EPKiPiPKlPlN2at6native12_GLOBAL__N_18offset_tEEE10hipError_tPvRmT1_PNSt15iterator_traitsISK_E10value_typeET2_T3_PNSL_ISQ_E10value_typeET4_jRbjT5_SW_jjP12ihipStream_tbEUlT_E0_NS1_11comp_targetILNS1_3genE10ELNS1_11target_archE1200ELNS1_3gpuE4ELNS1_3repE0EEENS1_60segmented_radix_sort_warp_sort_medium_config_static_selectorELNS0_4arch9wavefront6targetE0EEEvSK_
	.p2align	8
	.type	_ZN7rocprim17ROCPRIM_400000_NS6detail17trampoline_kernelINS0_14default_configENS1_36segmented_radix_sort_config_selectorIilEEZNS1_25segmented_radix_sort_implIS3_Lb0EPKiPiPKlPlN2at6native12_GLOBAL__N_18offset_tEEE10hipError_tPvRmT1_PNSt15iterator_traitsISK_E10value_typeET2_T3_PNSL_ISQ_E10value_typeET4_jRbjT5_SW_jjP12ihipStream_tbEUlT_E0_NS1_11comp_targetILNS1_3genE10ELNS1_11target_archE1200ELNS1_3gpuE4ELNS1_3repE0EEENS1_60segmented_radix_sort_warp_sort_medium_config_static_selectorELNS0_4arch9wavefront6targetE0EEEvSK_,@function
_ZN7rocprim17ROCPRIM_400000_NS6detail17trampoline_kernelINS0_14default_configENS1_36segmented_radix_sort_config_selectorIilEEZNS1_25segmented_radix_sort_implIS3_Lb0EPKiPiPKlPlN2at6native12_GLOBAL__N_18offset_tEEE10hipError_tPvRmT1_PNSt15iterator_traitsISK_E10value_typeET2_T3_PNSL_ISQ_E10value_typeET4_jRbjT5_SW_jjP12ihipStream_tbEUlT_E0_NS1_11comp_targetILNS1_3genE10ELNS1_11target_archE1200ELNS1_3gpuE4ELNS1_3repE0EEENS1_60segmented_radix_sort_warp_sort_medium_config_static_selectorELNS0_4arch9wavefront6targetE0EEEvSK_: ; @_ZN7rocprim17ROCPRIM_400000_NS6detail17trampoline_kernelINS0_14default_configENS1_36segmented_radix_sort_config_selectorIilEEZNS1_25segmented_radix_sort_implIS3_Lb0EPKiPiPKlPlN2at6native12_GLOBAL__N_18offset_tEEE10hipError_tPvRmT1_PNSt15iterator_traitsISK_E10value_typeET2_T3_PNSL_ISQ_E10value_typeET4_jRbjT5_SW_jjP12ihipStream_tbEUlT_E0_NS1_11comp_targetILNS1_3genE10ELNS1_11target_archE1200ELNS1_3gpuE4ELNS1_3repE0EEENS1_60segmented_radix_sort_warp_sort_medium_config_static_selectorELNS0_4arch9wavefront6targetE0EEEvSK_
; %bb.0:
	.section	.rodata,"a",@progbits
	.p2align	6, 0x0
	.amdhsa_kernel _ZN7rocprim17ROCPRIM_400000_NS6detail17trampoline_kernelINS0_14default_configENS1_36segmented_radix_sort_config_selectorIilEEZNS1_25segmented_radix_sort_implIS3_Lb0EPKiPiPKlPlN2at6native12_GLOBAL__N_18offset_tEEE10hipError_tPvRmT1_PNSt15iterator_traitsISK_E10value_typeET2_T3_PNSL_ISQ_E10value_typeET4_jRbjT5_SW_jjP12ihipStream_tbEUlT_E0_NS1_11comp_targetILNS1_3genE10ELNS1_11target_archE1200ELNS1_3gpuE4ELNS1_3repE0EEENS1_60segmented_radix_sort_warp_sort_medium_config_static_selectorELNS0_4arch9wavefront6targetE0EEEvSK_
		.amdhsa_group_segment_fixed_size 0
		.amdhsa_private_segment_fixed_size 0
		.amdhsa_kernarg_size 88
		.amdhsa_user_sgpr_count 6
		.amdhsa_user_sgpr_private_segment_buffer 1
		.amdhsa_user_sgpr_dispatch_ptr 0
		.amdhsa_user_sgpr_queue_ptr 0
		.amdhsa_user_sgpr_kernarg_segment_ptr 1
		.amdhsa_user_sgpr_dispatch_id 0
		.amdhsa_user_sgpr_flat_scratch_init 0
		.amdhsa_user_sgpr_private_segment_size 0
		.amdhsa_wavefront_size32 1
		.amdhsa_uses_dynamic_stack 0
		.amdhsa_system_sgpr_private_segment_wavefront_offset 0
		.amdhsa_system_sgpr_workgroup_id_x 1
		.amdhsa_system_sgpr_workgroup_id_y 0
		.amdhsa_system_sgpr_workgroup_id_z 0
		.amdhsa_system_sgpr_workgroup_info 0
		.amdhsa_system_vgpr_workitem_id 0
		.amdhsa_next_free_vgpr 1
		.amdhsa_next_free_sgpr 1
		.amdhsa_reserve_vcc 0
		.amdhsa_reserve_flat_scratch 0
		.amdhsa_float_round_mode_32 0
		.amdhsa_float_round_mode_16_64 0
		.amdhsa_float_denorm_mode_32 3
		.amdhsa_float_denorm_mode_16_64 3
		.amdhsa_dx10_clamp 1
		.amdhsa_ieee_mode 1
		.amdhsa_fp16_overflow 0
		.amdhsa_workgroup_processor_mode 1
		.amdhsa_memory_ordered 1
		.amdhsa_forward_progress 1
		.amdhsa_shared_vgpr_count 0
		.amdhsa_exception_fp_ieee_invalid_op 0
		.amdhsa_exception_fp_denorm_src 0
		.amdhsa_exception_fp_ieee_div_zero 0
		.amdhsa_exception_fp_ieee_overflow 0
		.amdhsa_exception_fp_ieee_underflow 0
		.amdhsa_exception_fp_ieee_inexact 0
		.amdhsa_exception_int_div_zero 0
	.end_amdhsa_kernel
	.section	.text._ZN7rocprim17ROCPRIM_400000_NS6detail17trampoline_kernelINS0_14default_configENS1_36segmented_radix_sort_config_selectorIilEEZNS1_25segmented_radix_sort_implIS3_Lb0EPKiPiPKlPlN2at6native12_GLOBAL__N_18offset_tEEE10hipError_tPvRmT1_PNSt15iterator_traitsISK_E10value_typeET2_T3_PNSL_ISQ_E10value_typeET4_jRbjT5_SW_jjP12ihipStream_tbEUlT_E0_NS1_11comp_targetILNS1_3genE10ELNS1_11target_archE1200ELNS1_3gpuE4ELNS1_3repE0EEENS1_60segmented_radix_sort_warp_sort_medium_config_static_selectorELNS0_4arch9wavefront6targetE0EEEvSK_,"axG",@progbits,_ZN7rocprim17ROCPRIM_400000_NS6detail17trampoline_kernelINS0_14default_configENS1_36segmented_radix_sort_config_selectorIilEEZNS1_25segmented_radix_sort_implIS3_Lb0EPKiPiPKlPlN2at6native12_GLOBAL__N_18offset_tEEE10hipError_tPvRmT1_PNSt15iterator_traitsISK_E10value_typeET2_T3_PNSL_ISQ_E10value_typeET4_jRbjT5_SW_jjP12ihipStream_tbEUlT_E0_NS1_11comp_targetILNS1_3genE10ELNS1_11target_archE1200ELNS1_3gpuE4ELNS1_3repE0EEENS1_60segmented_radix_sort_warp_sort_medium_config_static_selectorELNS0_4arch9wavefront6targetE0EEEvSK_,comdat
.Lfunc_end611:
	.size	_ZN7rocprim17ROCPRIM_400000_NS6detail17trampoline_kernelINS0_14default_configENS1_36segmented_radix_sort_config_selectorIilEEZNS1_25segmented_radix_sort_implIS3_Lb0EPKiPiPKlPlN2at6native12_GLOBAL__N_18offset_tEEE10hipError_tPvRmT1_PNSt15iterator_traitsISK_E10value_typeET2_T3_PNSL_ISQ_E10value_typeET4_jRbjT5_SW_jjP12ihipStream_tbEUlT_E0_NS1_11comp_targetILNS1_3genE10ELNS1_11target_archE1200ELNS1_3gpuE4ELNS1_3repE0EEENS1_60segmented_radix_sort_warp_sort_medium_config_static_selectorELNS0_4arch9wavefront6targetE0EEEvSK_, .Lfunc_end611-_ZN7rocprim17ROCPRIM_400000_NS6detail17trampoline_kernelINS0_14default_configENS1_36segmented_radix_sort_config_selectorIilEEZNS1_25segmented_radix_sort_implIS3_Lb0EPKiPiPKlPlN2at6native12_GLOBAL__N_18offset_tEEE10hipError_tPvRmT1_PNSt15iterator_traitsISK_E10value_typeET2_T3_PNSL_ISQ_E10value_typeET4_jRbjT5_SW_jjP12ihipStream_tbEUlT_E0_NS1_11comp_targetILNS1_3genE10ELNS1_11target_archE1200ELNS1_3gpuE4ELNS1_3repE0EEENS1_60segmented_radix_sort_warp_sort_medium_config_static_selectorELNS0_4arch9wavefront6targetE0EEEvSK_
                                        ; -- End function
	.set _ZN7rocprim17ROCPRIM_400000_NS6detail17trampoline_kernelINS0_14default_configENS1_36segmented_radix_sort_config_selectorIilEEZNS1_25segmented_radix_sort_implIS3_Lb0EPKiPiPKlPlN2at6native12_GLOBAL__N_18offset_tEEE10hipError_tPvRmT1_PNSt15iterator_traitsISK_E10value_typeET2_T3_PNSL_ISQ_E10value_typeET4_jRbjT5_SW_jjP12ihipStream_tbEUlT_E0_NS1_11comp_targetILNS1_3genE10ELNS1_11target_archE1200ELNS1_3gpuE4ELNS1_3repE0EEENS1_60segmented_radix_sort_warp_sort_medium_config_static_selectorELNS0_4arch9wavefront6targetE0EEEvSK_.num_vgpr, 0
	.set _ZN7rocprim17ROCPRIM_400000_NS6detail17trampoline_kernelINS0_14default_configENS1_36segmented_radix_sort_config_selectorIilEEZNS1_25segmented_radix_sort_implIS3_Lb0EPKiPiPKlPlN2at6native12_GLOBAL__N_18offset_tEEE10hipError_tPvRmT1_PNSt15iterator_traitsISK_E10value_typeET2_T3_PNSL_ISQ_E10value_typeET4_jRbjT5_SW_jjP12ihipStream_tbEUlT_E0_NS1_11comp_targetILNS1_3genE10ELNS1_11target_archE1200ELNS1_3gpuE4ELNS1_3repE0EEENS1_60segmented_radix_sort_warp_sort_medium_config_static_selectorELNS0_4arch9wavefront6targetE0EEEvSK_.num_agpr, 0
	.set _ZN7rocprim17ROCPRIM_400000_NS6detail17trampoline_kernelINS0_14default_configENS1_36segmented_radix_sort_config_selectorIilEEZNS1_25segmented_radix_sort_implIS3_Lb0EPKiPiPKlPlN2at6native12_GLOBAL__N_18offset_tEEE10hipError_tPvRmT1_PNSt15iterator_traitsISK_E10value_typeET2_T3_PNSL_ISQ_E10value_typeET4_jRbjT5_SW_jjP12ihipStream_tbEUlT_E0_NS1_11comp_targetILNS1_3genE10ELNS1_11target_archE1200ELNS1_3gpuE4ELNS1_3repE0EEENS1_60segmented_radix_sort_warp_sort_medium_config_static_selectorELNS0_4arch9wavefront6targetE0EEEvSK_.numbered_sgpr, 0
	.set _ZN7rocprim17ROCPRIM_400000_NS6detail17trampoline_kernelINS0_14default_configENS1_36segmented_radix_sort_config_selectorIilEEZNS1_25segmented_radix_sort_implIS3_Lb0EPKiPiPKlPlN2at6native12_GLOBAL__N_18offset_tEEE10hipError_tPvRmT1_PNSt15iterator_traitsISK_E10value_typeET2_T3_PNSL_ISQ_E10value_typeET4_jRbjT5_SW_jjP12ihipStream_tbEUlT_E0_NS1_11comp_targetILNS1_3genE10ELNS1_11target_archE1200ELNS1_3gpuE4ELNS1_3repE0EEENS1_60segmented_radix_sort_warp_sort_medium_config_static_selectorELNS0_4arch9wavefront6targetE0EEEvSK_.num_named_barrier, 0
	.set _ZN7rocprim17ROCPRIM_400000_NS6detail17trampoline_kernelINS0_14default_configENS1_36segmented_radix_sort_config_selectorIilEEZNS1_25segmented_radix_sort_implIS3_Lb0EPKiPiPKlPlN2at6native12_GLOBAL__N_18offset_tEEE10hipError_tPvRmT1_PNSt15iterator_traitsISK_E10value_typeET2_T3_PNSL_ISQ_E10value_typeET4_jRbjT5_SW_jjP12ihipStream_tbEUlT_E0_NS1_11comp_targetILNS1_3genE10ELNS1_11target_archE1200ELNS1_3gpuE4ELNS1_3repE0EEENS1_60segmented_radix_sort_warp_sort_medium_config_static_selectorELNS0_4arch9wavefront6targetE0EEEvSK_.private_seg_size, 0
	.set _ZN7rocprim17ROCPRIM_400000_NS6detail17trampoline_kernelINS0_14default_configENS1_36segmented_radix_sort_config_selectorIilEEZNS1_25segmented_radix_sort_implIS3_Lb0EPKiPiPKlPlN2at6native12_GLOBAL__N_18offset_tEEE10hipError_tPvRmT1_PNSt15iterator_traitsISK_E10value_typeET2_T3_PNSL_ISQ_E10value_typeET4_jRbjT5_SW_jjP12ihipStream_tbEUlT_E0_NS1_11comp_targetILNS1_3genE10ELNS1_11target_archE1200ELNS1_3gpuE4ELNS1_3repE0EEENS1_60segmented_radix_sort_warp_sort_medium_config_static_selectorELNS0_4arch9wavefront6targetE0EEEvSK_.uses_vcc, 0
	.set _ZN7rocprim17ROCPRIM_400000_NS6detail17trampoline_kernelINS0_14default_configENS1_36segmented_radix_sort_config_selectorIilEEZNS1_25segmented_radix_sort_implIS3_Lb0EPKiPiPKlPlN2at6native12_GLOBAL__N_18offset_tEEE10hipError_tPvRmT1_PNSt15iterator_traitsISK_E10value_typeET2_T3_PNSL_ISQ_E10value_typeET4_jRbjT5_SW_jjP12ihipStream_tbEUlT_E0_NS1_11comp_targetILNS1_3genE10ELNS1_11target_archE1200ELNS1_3gpuE4ELNS1_3repE0EEENS1_60segmented_radix_sort_warp_sort_medium_config_static_selectorELNS0_4arch9wavefront6targetE0EEEvSK_.uses_flat_scratch, 0
	.set _ZN7rocprim17ROCPRIM_400000_NS6detail17trampoline_kernelINS0_14default_configENS1_36segmented_radix_sort_config_selectorIilEEZNS1_25segmented_radix_sort_implIS3_Lb0EPKiPiPKlPlN2at6native12_GLOBAL__N_18offset_tEEE10hipError_tPvRmT1_PNSt15iterator_traitsISK_E10value_typeET2_T3_PNSL_ISQ_E10value_typeET4_jRbjT5_SW_jjP12ihipStream_tbEUlT_E0_NS1_11comp_targetILNS1_3genE10ELNS1_11target_archE1200ELNS1_3gpuE4ELNS1_3repE0EEENS1_60segmented_radix_sort_warp_sort_medium_config_static_selectorELNS0_4arch9wavefront6targetE0EEEvSK_.has_dyn_sized_stack, 0
	.set _ZN7rocprim17ROCPRIM_400000_NS6detail17trampoline_kernelINS0_14default_configENS1_36segmented_radix_sort_config_selectorIilEEZNS1_25segmented_radix_sort_implIS3_Lb0EPKiPiPKlPlN2at6native12_GLOBAL__N_18offset_tEEE10hipError_tPvRmT1_PNSt15iterator_traitsISK_E10value_typeET2_T3_PNSL_ISQ_E10value_typeET4_jRbjT5_SW_jjP12ihipStream_tbEUlT_E0_NS1_11comp_targetILNS1_3genE10ELNS1_11target_archE1200ELNS1_3gpuE4ELNS1_3repE0EEENS1_60segmented_radix_sort_warp_sort_medium_config_static_selectorELNS0_4arch9wavefront6targetE0EEEvSK_.has_recursion, 0
	.set _ZN7rocprim17ROCPRIM_400000_NS6detail17trampoline_kernelINS0_14default_configENS1_36segmented_radix_sort_config_selectorIilEEZNS1_25segmented_radix_sort_implIS3_Lb0EPKiPiPKlPlN2at6native12_GLOBAL__N_18offset_tEEE10hipError_tPvRmT1_PNSt15iterator_traitsISK_E10value_typeET2_T3_PNSL_ISQ_E10value_typeET4_jRbjT5_SW_jjP12ihipStream_tbEUlT_E0_NS1_11comp_targetILNS1_3genE10ELNS1_11target_archE1200ELNS1_3gpuE4ELNS1_3repE0EEENS1_60segmented_radix_sort_warp_sort_medium_config_static_selectorELNS0_4arch9wavefront6targetE0EEEvSK_.has_indirect_call, 0
	.section	.AMDGPU.csdata,"",@progbits
; Kernel info:
; codeLenInByte = 0
; TotalNumSgprs: 0
; NumVgprs: 0
; ScratchSize: 0
; MemoryBound: 0
; FloatMode: 240
; IeeeMode: 1
; LDSByteSize: 0 bytes/workgroup (compile time only)
; SGPRBlocks: 0
; VGPRBlocks: 0
; NumSGPRsForWavesPerEU: 1
; NumVGPRsForWavesPerEU: 1
; Occupancy: 16
; WaveLimiterHint : 0
; COMPUTE_PGM_RSRC2:SCRATCH_EN: 0
; COMPUTE_PGM_RSRC2:USER_SGPR: 6
; COMPUTE_PGM_RSRC2:TRAP_HANDLER: 0
; COMPUTE_PGM_RSRC2:TGID_X_EN: 1
; COMPUTE_PGM_RSRC2:TGID_Y_EN: 0
; COMPUTE_PGM_RSRC2:TGID_Z_EN: 0
; COMPUTE_PGM_RSRC2:TIDIG_COMP_CNT: 0
	.section	.text._ZN7rocprim17ROCPRIM_400000_NS6detail17trampoline_kernelINS0_14default_configENS1_36segmented_radix_sort_config_selectorIilEEZNS1_25segmented_radix_sort_implIS3_Lb0EPKiPiPKlPlN2at6native12_GLOBAL__N_18offset_tEEE10hipError_tPvRmT1_PNSt15iterator_traitsISK_E10value_typeET2_T3_PNSL_ISQ_E10value_typeET4_jRbjT5_SW_jjP12ihipStream_tbEUlT_E0_NS1_11comp_targetILNS1_3genE9ELNS1_11target_archE1100ELNS1_3gpuE3ELNS1_3repE0EEENS1_60segmented_radix_sort_warp_sort_medium_config_static_selectorELNS0_4arch9wavefront6targetE0EEEvSK_,"axG",@progbits,_ZN7rocprim17ROCPRIM_400000_NS6detail17trampoline_kernelINS0_14default_configENS1_36segmented_radix_sort_config_selectorIilEEZNS1_25segmented_radix_sort_implIS3_Lb0EPKiPiPKlPlN2at6native12_GLOBAL__N_18offset_tEEE10hipError_tPvRmT1_PNSt15iterator_traitsISK_E10value_typeET2_T3_PNSL_ISQ_E10value_typeET4_jRbjT5_SW_jjP12ihipStream_tbEUlT_E0_NS1_11comp_targetILNS1_3genE9ELNS1_11target_archE1100ELNS1_3gpuE3ELNS1_3repE0EEENS1_60segmented_radix_sort_warp_sort_medium_config_static_selectorELNS0_4arch9wavefront6targetE0EEEvSK_,comdat
	.globl	_ZN7rocprim17ROCPRIM_400000_NS6detail17trampoline_kernelINS0_14default_configENS1_36segmented_radix_sort_config_selectorIilEEZNS1_25segmented_radix_sort_implIS3_Lb0EPKiPiPKlPlN2at6native12_GLOBAL__N_18offset_tEEE10hipError_tPvRmT1_PNSt15iterator_traitsISK_E10value_typeET2_T3_PNSL_ISQ_E10value_typeET4_jRbjT5_SW_jjP12ihipStream_tbEUlT_E0_NS1_11comp_targetILNS1_3genE9ELNS1_11target_archE1100ELNS1_3gpuE3ELNS1_3repE0EEENS1_60segmented_radix_sort_warp_sort_medium_config_static_selectorELNS0_4arch9wavefront6targetE0EEEvSK_ ; -- Begin function _ZN7rocprim17ROCPRIM_400000_NS6detail17trampoline_kernelINS0_14default_configENS1_36segmented_radix_sort_config_selectorIilEEZNS1_25segmented_radix_sort_implIS3_Lb0EPKiPiPKlPlN2at6native12_GLOBAL__N_18offset_tEEE10hipError_tPvRmT1_PNSt15iterator_traitsISK_E10value_typeET2_T3_PNSL_ISQ_E10value_typeET4_jRbjT5_SW_jjP12ihipStream_tbEUlT_E0_NS1_11comp_targetILNS1_3genE9ELNS1_11target_archE1100ELNS1_3gpuE3ELNS1_3repE0EEENS1_60segmented_radix_sort_warp_sort_medium_config_static_selectorELNS0_4arch9wavefront6targetE0EEEvSK_
	.p2align	8
	.type	_ZN7rocprim17ROCPRIM_400000_NS6detail17trampoline_kernelINS0_14default_configENS1_36segmented_radix_sort_config_selectorIilEEZNS1_25segmented_radix_sort_implIS3_Lb0EPKiPiPKlPlN2at6native12_GLOBAL__N_18offset_tEEE10hipError_tPvRmT1_PNSt15iterator_traitsISK_E10value_typeET2_T3_PNSL_ISQ_E10value_typeET4_jRbjT5_SW_jjP12ihipStream_tbEUlT_E0_NS1_11comp_targetILNS1_3genE9ELNS1_11target_archE1100ELNS1_3gpuE3ELNS1_3repE0EEENS1_60segmented_radix_sort_warp_sort_medium_config_static_selectorELNS0_4arch9wavefront6targetE0EEEvSK_,@function
_ZN7rocprim17ROCPRIM_400000_NS6detail17trampoline_kernelINS0_14default_configENS1_36segmented_radix_sort_config_selectorIilEEZNS1_25segmented_radix_sort_implIS3_Lb0EPKiPiPKlPlN2at6native12_GLOBAL__N_18offset_tEEE10hipError_tPvRmT1_PNSt15iterator_traitsISK_E10value_typeET2_T3_PNSL_ISQ_E10value_typeET4_jRbjT5_SW_jjP12ihipStream_tbEUlT_E0_NS1_11comp_targetILNS1_3genE9ELNS1_11target_archE1100ELNS1_3gpuE3ELNS1_3repE0EEENS1_60segmented_radix_sort_warp_sort_medium_config_static_selectorELNS0_4arch9wavefront6targetE0EEEvSK_: ; @_ZN7rocprim17ROCPRIM_400000_NS6detail17trampoline_kernelINS0_14default_configENS1_36segmented_radix_sort_config_selectorIilEEZNS1_25segmented_radix_sort_implIS3_Lb0EPKiPiPKlPlN2at6native12_GLOBAL__N_18offset_tEEE10hipError_tPvRmT1_PNSt15iterator_traitsISK_E10value_typeET2_T3_PNSL_ISQ_E10value_typeET4_jRbjT5_SW_jjP12ihipStream_tbEUlT_E0_NS1_11comp_targetILNS1_3genE9ELNS1_11target_archE1100ELNS1_3gpuE3ELNS1_3repE0EEENS1_60segmented_radix_sort_warp_sort_medium_config_static_selectorELNS0_4arch9wavefront6targetE0EEEvSK_
; %bb.0:
	.section	.rodata,"a",@progbits
	.p2align	6, 0x0
	.amdhsa_kernel _ZN7rocprim17ROCPRIM_400000_NS6detail17trampoline_kernelINS0_14default_configENS1_36segmented_radix_sort_config_selectorIilEEZNS1_25segmented_radix_sort_implIS3_Lb0EPKiPiPKlPlN2at6native12_GLOBAL__N_18offset_tEEE10hipError_tPvRmT1_PNSt15iterator_traitsISK_E10value_typeET2_T3_PNSL_ISQ_E10value_typeET4_jRbjT5_SW_jjP12ihipStream_tbEUlT_E0_NS1_11comp_targetILNS1_3genE9ELNS1_11target_archE1100ELNS1_3gpuE3ELNS1_3repE0EEENS1_60segmented_radix_sort_warp_sort_medium_config_static_selectorELNS0_4arch9wavefront6targetE0EEEvSK_
		.amdhsa_group_segment_fixed_size 0
		.amdhsa_private_segment_fixed_size 0
		.amdhsa_kernarg_size 88
		.amdhsa_user_sgpr_count 6
		.amdhsa_user_sgpr_private_segment_buffer 1
		.amdhsa_user_sgpr_dispatch_ptr 0
		.amdhsa_user_sgpr_queue_ptr 0
		.amdhsa_user_sgpr_kernarg_segment_ptr 1
		.amdhsa_user_sgpr_dispatch_id 0
		.amdhsa_user_sgpr_flat_scratch_init 0
		.amdhsa_user_sgpr_private_segment_size 0
		.amdhsa_wavefront_size32 1
		.amdhsa_uses_dynamic_stack 0
		.amdhsa_system_sgpr_private_segment_wavefront_offset 0
		.amdhsa_system_sgpr_workgroup_id_x 1
		.amdhsa_system_sgpr_workgroup_id_y 0
		.amdhsa_system_sgpr_workgroup_id_z 0
		.amdhsa_system_sgpr_workgroup_info 0
		.amdhsa_system_vgpr_workitem_id 0
		.amdhsa_next_free_vgpr 1
		.amdhsa_next_free_sgpr 1
		.amdhsa_reserve_vcc 0
		.amdhsa_reserve_flat_scratch 0
		.amdhsa_float_round_mode_32 0
		.amdhsa_float_round_mode_16_64 0
		.amdhsa_float_denorm_mode_32 3
		.amdhsa_float_denorm_mode_16_64 3
		.amdhsa_dx10_clamp 1
		.amdhsa_ieee_mode 1
		.amdhsa_fp16_overflow 0
		.amdhsa_workgroup_processor_mode 1
		.amdhsa_memory_ordered 1
		.amdhsa_forward_progress 1
		.amdhsa_shared_vgpr_count 0
		.amdhsa_exception_fp_ieee_invalid_op 0
		.amdhsa_exception_fp_denorm_src 0
		.amdhsa_exception_fp_ieee_div_zero 0
		.amdhsa_exception_fp_ieee_overflow 0
		.amdhsa_exception_fp_ieee_underflow 0
		.amdhsa_exception_fp_ieee_inexact 0
		.amdhsa_exception_int_div_zero 0
	.end_amdhsa_kernel
	.section	.text._ZN7rocprim17ROCPRIM_400000_NS6detail17trampoline_kernelINS0_14default_configENS1_36segmented_radix_sort_config_selectorIilEEZNS1_25segmented_radix_sort_implIS3_Lb0EPKiPiPKlPlN2at6native12_GLOBAL__N_18offset_tEEE10hipError_tPvRmT1_PNSt15iterator_traitsISK_E10value_typeET2_T3_PNSL_ISQ_E10value_typeET4_jRbjT5_SW_jjP12ihipStream_tbEUlT_E0_NS1_11comp_targetILNS1_3genE9ELNS1_11target_archE1100ELNS1_3gpuE3ELNS1_3repE0EEENS1_60segmented_radix_sort_warp_sort_medium_config_static_selectorELNS0_4arch9wavefront6targetE0EEEvSK_,"axG",@progbits,_ZN7rocprim17ROCPRIM_400000_NS6detail17trampoline_kernelINS0_14default_configENS1_36segmented_radix_sort_config_selectorIilEEZNS1_25segmented_radix_sort_implIS3_Lb0EPKiPiPKlPlN2at6native12_GLOBAL__N_18offset_tEEE10hipError_tPvRmT1_PNSt15iterator_traitsISK_E10value_typeET2_T3_PNSL_ISQ_E10value_typeET4_jRbjT5_SW_jjP12ihipStream_tbEUlT_E0_NS1_11comp_targetILNS1_3genE9ELNS1_11target_archE1100ELNS1_3gpuE3ELNS1_3repE0EEENS1_60segmented_radix_sort_warp_sort_medium_config_static_selectorELNS0_4arch9wavefront6targetE0EEEvSK_,comdat
.Lfunc_end612:
	.size	_ZN7rocprim17ROCPRIM_400000_NS6detail17trampoline_kernelINS0_14default_configENS1_36segmented_radix_sort_config_selectorIilEEZNS1_25segmented_radix_sort_implIS3_Lb0EPKiPiPKlPlN2at6native12_GLOBAL__N_18offset_tEEE10hipError_tPvRmT1_PNSt15iterator_traitsISK_E10value_typeET2_T3_PNSL_ISQ_E10value_typeET4_jRbjT5_SW_jjP12ihipStream_tbEUlT_E0_NS1_11comp_targetILNS1_3genE9ELNS1_11target_archE1100ELNS1_3gpuE3ELNS1_3repE0EEENS1_60segmented_radix_sort_warp_sort_medium_config_static_selectorELNS0_4arch9wavefront6targetE0EEEvSK_, .Lfunc_end612-_ZN7rocprim17ROCPRIM_400000_NS6detail17trampoline_kernelINS0_14default_configENS1_36segmented_radix_sort_config_selectorIilEEZNS1_25segmented_radix_sort_implIS3_Lb0EPKiPiPKlPlN2at6native12_GLOBAL__N_18offset_tEEE10hipError_tPvRmT1_PNSt15iterator_traitsISK_E10value_typeET2_T3_PNSL_ISQ_E10value_typeET4_jRbjT5_SW_jjP12ihipStream_tbEUlT_E0_NS1_11comp_targetILNS1_3genE9ELNS1_11target_archE1100ELNS1_3gpuE3ELNS1_3repE0EEENS1_60segmented_radix_sort_warp_sort_medium_config_static_selectorELNS0_4arch9wavefront6targetE0EEEvSK_
                                        ; -- End function
	.set _ZN7rocprim17ROCPRIM_400000_NS6detail17trampoline_kernelINS0_14default_configENS1_36segmented_radix_sort_config_selectorIilEEZNS1_25segmented_radix_sort_implIS3_Lb0EPKiPiPKlPlN2at6native12_GLOBAL__N_18offset_tEEE10hipError_tPvRmT1_PNSt15iterator_traitsISK_E10value_typeET2_T3_PNSL_ISQ_E10value_typeET4_jRbjT5_SW_jjP12ihipStream_tbEUlT_E0_NS1_11comp_targetILNS1_3genE9ELNS1_11target_archE1100ELNS1_3gpuE3ELNS1_3repE0EEENS1_60segmented_radix_sort_warp_sort_medium_config_static_selectorELNS0_4arch9wavefront6targetE0EEEvSK_.num_vgpr, 0
	.set _ZN7rocprim17ROCPRIM_400000_NS6detail17trampoline_kernelINS0_14default_configENS1_36segmented_radix_sort_config_selectorIilEEZNS1_25segmented_radix_sort_implIS3_Lb0EPKiPiPKlPlN2at6native12_GLOBAL__N_18offset_tEEE10hipError_tPvRmT1_PNSt15iterator_traitsISK_E10value_typeET2_T3_PNSL_ISQ_E10value_typeET4_jRbjT5_SW_jjP12ihipStream_tbEUlT_E0_NS1_11comp_targetILNS1_3genE9ELNS1_11target_archE1100ELNS1_3gpuE3ELNS1_3repE0EEENS1_60segmented_radix_sort_warp_sort_medium_config_static_selectorELNS0_4arch9wavefront6targetE0EEEvSK_.num_agpr, 0
	.set _ZN7rocprim17ROCPRIM_400000_NS6detail17trampoline_kernelINS0_14default_configENS1_36segmented_radix_sort_config_selectorIilEEZNS1_25segmented_radix_sort_implIS3_Lb0EPKiPiPKlPlN2at6native12_GLOBAL__N_18offset_tEEE10hipError_tPvRmT1_PNSt15iterator_traitsISK_E10value_typeET2_T3_PNSL_ISQ_E10value_typeET4_jRbjT5_SW_jjP12ihipStream_tbEUlT_E0_NS1_11comp_targetILNS1_3genE9ELNS1_11target_archE1100ELNS1_3gpuE3ELNS1_3repE0EEENS1_60segmented_radix_sort_warp_sort_medium_config_static_selectorELNS0_4arch9wavefront6targetE0EEEvSK_.numbered_sgpr, 0
	.set _ZN7rocprim17ROCPRIM_400000_NS6detail17trampoline_kernelINS0_14default_configENS1_36segmented_radix_sort_config_selectorIilEEZNS1_25segmented_radix_sort_implIS3_Lb0EPKiPiPKlPlN2at6native12_GLOBAL__N_18offset_tEEE10hipError_tPvRmT1_PNSt15iterator_traitsISK_E10value_typeET2_T3_PNSL_ISQ_E10value_typeET4_jRbjT5_SW_jjP12ihipStream_tbEUlT_E0_NS1_11comp_targetILNS1_3genE9ELNS1_11target_archE1100ELNS1_3gpuE3ELNS1_3repE0EEENS1_60segmented_radix_sort_warp_sort_medium_config_static_selectorELNS0_4arch9wavefront6targetE0EEEvSK_.num_named_barrier, 0
	.set _ZN7rocprim17ROCPRIM_400000_NS6detail17trampoline_kernelINS0_14default_configENS1_36segmented_radix_sort_config_selectorIilEEZNS1_25segmented_radix_sort_implIS3_Lb0EPKiPiPKlPlN2at6native12_GLOBAL__N_18offset_tEEE10hipError_tPvRmT1_PNSt15iterator_traitsISK_E10value_typeET2_T3_PNSL_ISQ_E10value_typeET4_jRbjT5_SW_jjP12ihipStream_tbEUlT_E0_NS1_11comp_targetILNS1_3genE9ELNS1_11target_archE1100ELNS1_3gpuE3ELNS1_3repE0EEENS1_60segmented_radix_sort_warp_sort_medium_config_static_selectorELNS0_4arch9wavefront6targetE0EEEvSK_.private_seg_size, 0
	.set _ZN7rocprim17ROCPRIM_400000_NS6detail17trampoline_kernelINS0_14default_configENS1_36segmented_radix_sort_config_selectorIilEEZNS1_25segmented_radix_sort_implIS3_Lb0EPKiPiPKlPlN2at6native12_GLOBAL__N_18offset_tEEE10hipError_tPvRmT1_PNSt15iterator_traitsISK_E10value_typeET2_T3_PNSL_ISQ_E10value_typeET4_jRbjT5_SW_jjP12ihipStream_tbEUlT_E0_NS1_11comp_targetILNS1_3genE9ELNS1_11target_archE1100ELNS1_3gpuE3ELNS1_3repE0EEENS1_60segmented_radix_sort_warp_sort_medium_config_static_selectorELNS0_4arch9wavefront6targetE0EEEvSK_.uses_vcc, 0
	.set _ZN7rocprim17ROCPRIM_400000_NS6detail17trampoline_kernelINS0_14default_configENS1_36segmented_radix_sort_config_selectorIilEEZNS1_25segmented_radix_sort_implIS3_Lb0EPKiPiPKlPlN2at6native12_GLOBAL__N_18offset_tEEE10hipError_tPvRmT1_PNSt15iterator_traitsISK_E10value_typeET2_T3_PNSL_ISQ_E10value_typeET4_jRbjT5_SW_jjP12ihipStream_tbEUlT_E0_NS1_11comp_targetILNS1_3genE9ELNS1_11target_archE1100ELNS1_3gpuE3ELNS1_3repE0EEENS1_60segmented_radix_sort_warp_sort_medium_config_static_selectorELNS0_4arch9wavefront6targetE0EEEvSK_.uses_flat_scratch, 0
	.set _ZN7rocprim17ROCPRIM_400000_NS6detail17trampoline_kernelINS0_14default_configENS1_36segmented_radix_sort_config_selectorIilEEZNS1_25segmented_radix_sort_implIS3_Lb0EPKiPiPKlPlN2at6native12_GLOBAL__N_18offset_tEEE10hipError_tPvRmT1_PNSt15iterator_traitsISK_E10value_typeET2_T3_PNSL_ISQ_E10value_typeET4_jRbjT5_SW_jjP12ihipStream_tbEUlT_E0_NS1_11comp_targetILNS1_3genE9ELNS1_11target_archE1100ELNS1_3gpuE3ELNS1_3repE0EEENS1_60segmented_radix_sort_warp_sort_medium_config_static_selectorELNS0_4arch9wavefront6targetE0EEEvSK_.has_dyn_sized_stack, 0
	.set _ZN7rocprim17ROCPRIM_400000_NS6detail17trampoline_kernelINS0_14default_configENS1_36segmented_radix_sort_config_selectorIilEEZNS1_25segmented_radix_sort_implIS3_Lb0EPKiPiPKlPlN2at6native12_GLOBAL__N_18offset_tEEE10hipError_tPvRmT1_PNSt15iterator_traitsISK_E10value_typeET2_T3_PNSL_ISQ_E10value_typeET4_jRbjT5_SW_jjP12ihipStream_tbEUlT_E0_NS1_11comp_targetILNS1_3genE9ELNS1_11target_archE1100ELNS1_3gpuE3ELNS1_3repE0EEENS1_60segmented_radix_sort_warp_sort_medium_config_static_selectorELNS0_4arch9wavefront6targetE0EEEvSK_.has_recursion, 0
	.set _ZN7rocprim17ROCPRIM_400000_NS6detail17trampoline_kernelINS0_14default_configENS1_36segmented_radix_sort_config_selectorIilEEZNS1_25segmented_radix_sort_implIS3_Lb0EPKiPiPKlPlN2at6native12_GLOBAL__N_18offset_tEEE10hipError_tPvRmT1_PNSt15iterator_traitsISK_E10value_typeET2_T3_PNSL_ISQ_E10value_typeET4_jRbjT5_SW_jjP12ihipStream_tbEUlT_E0_NS1_11comp_targetILNS1_3genE9ELNS1_11target_archE1100ELNS1_3gpuE3ELNS1_3repE0EEENS1_60segmented_radix_sort_warp_sort_medium_config_static_selectorELNS0_4arch9wavefront6targetE0EEEvSK_.has_indirect_call, 0
	.section	.AMDGPU.csdata,"",@progbits
; Kernel info:
; codeLenInByte = 0
; TotalNumSgprs: 0
; NumVgprs: 0
; ScratchSize: 0
; MemoryBound: 0
; FloatMode: 240
; IeeeMode: 1
; LDSByteSize: 0 bytes/workgroup (compile time only)
; SGPRBlocks: 0
; VGPRBlocks: 0
; NumSGPRsForWavesPerEU: 1
; NumVGPRsForWavesPerEU: 1
; Occupancy: 16
; WaveLimiterHint : 0
; COMPUTE_PGM_RSRC2:SCRATCH_EN: 0
; COMPUTE_PGM_RSRC2:USER_SGPR: 6
; COMPUTE_PGM_RSRC2:TRAP_HANDLER: 0
; COMPUTE_PGM_RSRC2:TGID_X_EN: 1
; COMPUTE_PGM_RSRC2:TGID_Y_EN: 0
; COMPUTE_PGM_RSRC2:TGID_Z_EN: 0
; COMPUTE_PGM_RSRC2:TIDIG_COMP_CNT: 0
	.text
	.p2align	2                               ; -- Begin function _ZN7rocprim17ROCPRIM_400000_NS6detail26segmented_warp_sort_helperINS1_20WarpSortHelperConfigILj32ELj4ELj256EEEilLi256ELb0EvE4sortIPKiPiPKlPlEEvT_T0_T1_T2_jjjjRNS5_12storage_typeE
	.type	_ZN7rocprim17ROCPRIM_400000_NS6detail26segmented_warp_sort_helperINS1_20WarpSortHelperConfigILj32ELj4ELj256EEEilLi256ELb0EvE4sortIPKiPiPKlPlEEvT_T0_T1_T2_jjjjRNS5_12storage_typeE,@function
_ZN7rocprim17ROCPRIM_400000_NS6detail26segmented_warp_sort_helperINS1_20WarpSortHelperConfigILj32ELj4ELj256EEEilLi256ELb0EvE4sortIPKiPiPKlPlEEvT_T0_T1_T2_jjjjRNS5_12storage_typeE: ; @_ZN7rocprim17ROCPRIM_400000_NS6detail26segmented_warp_sort_helperINS1_20WarpSortHelperConfigILj32ELj4ELj256EEEilLi256ELb0EvE4sortIPKiPiPKlPlEEvT_T0_T1_T2_jjjjRNS5_12storage_typeE
; %bb.0:
	s_waitcnt vmcnt(0) expcnt(0) lgkmcnt(0)
	v_mov_b32_e32 v14, v9
	v_mov_b32_e32 v9, 0
	v_mbcnt_lo_u32_b32 v15, -1, 0
	v_bfrev_b32_e32 v37, -2
	v_bfrev_b32_e32 v39, -2
	v_sub_nc_u32_e32 v14, v14, v8
	v_lshlrev_b64 v[32:33], 2, v[8:9]
	v_lshlrev_b32_e32 v16, 4, v15
	v_lshlrev_b32_e32 v30, 2, v15
	v_add_co_u32 v0, vcc_lo, v0, v32
	v_add_co_ci_u32_e64 v1, null, v1, v33, vcc_lo
	v_add_co_u32 v0, vcc_lo, v0, v16
	v_add_co_ci_u32_e64 v1, null, 0, v1, vcc_lo
	v_cmp_lt_u32_e32 vcc_lo, v30, v14
	s_and_saveexec_b32 s4, vcc_lo
	s_cbranch_execz .LBB613_2
; %bb.1:
	flat_load_dword v39, v[0:1]
.LBB613_2:
	s_or_b32 exec_lo, exec_lo, s4
	v_or_b32_e32 v15, 1, v30
	v_cmp_lt_u32_e64 s4, v15, v14
	s_and_saveexec_b32 s5, s4
	s_cbranch_execz .LBB613_4
; %bb.3:
	flat_load_dword v37, v[0:1] offset:4
.LBB613_4:
	s_or_b32 exec_lo, exec_lo, s5
	v_or_b32_e32 v15, 2, v30
	v_bfrev_b32_e32 v38, -2
	v_bfrev_b32_e32 v24, -2
	v_cmp_lt_u32_e64 s5, v15, v14
	s_and_saveexec_b32 s6, s5
	s_cbranch_execz .LBB613_6
; %bb.5:
	flat_load_dword v24, v[0:1] offset:8
.LBB613_6:
	s_or_b32 exec_lo, exec_lo, s6
	v_or_b32_e32 v15, 3, v30
	v_cmp_lt_u32_e64 s6, v15, v14
	s_and_saveexec_b32 s7, s6
	s_cbranch_execz .LBB613_8
; %bb.7:
	flat_load_dword v38, v[0:1] offset:12
.LBB613_8:
	s_or_b32 exec_lo, exec_lo, s7
	v_lshlrev_b64 v[0:1], 3, v[8:9]
	v_lshlrev_b32_e32 v36, 3, v30
	v_mov_b32_e32 v8, 0
	v_mov_b32_e32 v9, 0
	; wave barrier
	v_add_co_u32 v14, s7, v4, v0
	v_add_co_ci_u32_e64 v15, null, v5, v1, s7
	v_mov_b32_e32 v4, 0
	v_add_co_u32 v16, s7, v14, v36
	v_mov_b32_e32 v5, 0
	v_add_co_ci_u32_e64 v17, null, 0, v15, s7
	s_and_saveexec_b32 s7, vcc_lo
	s_cbranch_execz .LBB613_10
; %bb.9:
	flat_load_dwordx2 v[4:5], v[16:17]
.LBB613_10:
	s_or_b32 exec_lo, exec_lo, s7
	s_mov_b32 s7, 0
	v_mov_b32_e32 v18, s7
	v_mov_b32_e32 v19, s7
	;; [unrolled: 1-line block ×6, first 2 shown]
	s_and_saveexec_b32 s10, s4
	s_cbranch_execz .LBB613_12
; %bb.11:
	flat_load_dwordx2 v[18:19], v[16:17] offset:8
	v_mov_b32_e32 v22, s7
	v_mov_b32_e32 v23, s7
	;; [unrolled: 1-line block ×4, first 2 shown]
	s_waitcnt vmcnt(0) lgkmcnt(0)
	v_mov_b32_e32 v8, v18
	v_mov_b32_e32 v9, v19
.LBB613_12:
	s_or_b32 exec_lo, exec_lo, s10
	v_mov_b32_e32 v20, 0
	v_mov_b32_e32 v14, 0
	;; [unrolled: 1-line block ×4, first 2 shown]
	s_and_saveexec_b32 s7, s5
	s_cbranch_execz .LBB613_14
; %bb.13:
	flat_load_dwordx2 v[22:23], v[16:17] offset:16
	s_mov_b32 s10, 0
	v_mov_b32_e32 v34, s10
	v_mov_b32_e32 v35, s10
	s_waitcnt vmcnt(0) lgkmcnt(0)
	v_mov_b32_e32 v14, v22
	v_mov_b32_e32 v15, v23
.LBB613_14:
	s_or_b32 exec_lo, exec_lo, s7
	s_and_saveexec_b32 s7, s6
	s_cbranch_execz .LBB613_16
; %bb.15:
	flat_load_dwordx2 v[34:35], v[16:17] offset:24
	s_waitcnt vmcnt(0) lgkmcnt(0)
	v_mov_b32_e32 v20, v34
	v_mov_b32_e32 v21, v35
.LBB613_16:
	s_or_b32 exec_lo, exec_lo, s7
	v_cmp_ne_u32_e64 s7, 0, v10
	v_cmp_ne_u32_e64 s10, 32, v11
	v_bfe_u32 v17, v31, 10, 10
	v_bfe_u32 v25, v31, 20, 10
	v_and_b32_e32 v16, 0x3ff, v31
	s_or_b32 s7, s7, s10
	; wave barrier
	s_and_saveexec_b32 s10, s7
	s_xor_b32 s17, exec_lo, s10
	s_cbranch_execz .LBB613_80
; %bb.17:
	s_load_dwordx2 s[10:11], s[8:9], 0x0
	v_mov_b32_e32 v26, 0
	v_lshlrev_b32_e64 v10, v10, -1
	s_waitcnt lgkmcnt(0)
	s_cmp_lt_u32 s13, s11
	s_cselect_b32 s7, 14, 20
	s_add_u32 s14, s8, s7
	s_addc_u32 s15, s9, 0
	s_cmp_lt_u32 s12, s10
	global_load_ushort v27, v26, s[14:15]
	s_cselect_b32 s7, 12, 18
	s_add_u32 s10, s8, s7
	s_addc_u32 s11, s9, 0
	global_load_ushort v26, v26, s[10:11]
	s_mov_b32 s11, exec_lo
	s_waitcnt vmcnt(1)
	v_mad_u32_u24 v17, v25, v27, v17
	v_lshlrev_b32_e64 v25, v11, -1
	v_xor_b32_e32 v10, v25, v10
	s_waitcnt vmcnt(0)
	v_mul_lo_u32 v17, v17, v26
	v_add_lshl_u32 v11, v17, v16, 2
	v_cmpx_gt_u32_e32 0x400, v11
	s_cbranch_execz .LBB613_29
; %bb.18:
	v_and_b32_e32 v14, v37, v10
	v_and_b32_e32 v15, v39, v10
	;; [unrolled: 1-line block ×4, first 2 shown]
	v_mov_b32_e32 v31, v24
	s_mov_b32 s14, exec_lo
	v_cmp_gt_u32_e64 s7, v15, v14
	v_cndmask_b32_e64 v17, v19, v5, s7
	v_cndmask_b32_e64 v16, v18, v4, s7
	;; [unrolled: 1-line block ×4, first 2 shown]
	v_mov_b32_e32 v18, v22
	v_mov_b32_e32 v19, v23
	v_cmpx_gt_u32_e64 v8, v9
	s_cbranch_execz .LBB613_20
; %bb.19:
	v_mov_b32_e32 v18, v34
	v_mov_b32_e32 v19, v35
	;; [unrolled: 1-line block ×7, first 2 shown]
.LBB613_20:
	s_or_b32 exec_lo, exec_lo, s14
	v_cndmask_b32_e64 v5, v37, v39, s7
	v_mov_b32_e32 v20, v34
	v_mov_b32_e32 v29, v21
	;; [unrolled: 1-line block ×4, first 2 shown]
	v_and_b32_e32 v4, v5, v10
	v_mov_b32_e32 v28, v20
	v_mov_b32_e32 v27, v19
	;; [unrolled: 1-line block ×4, first 2 shown]
	v_cmp_le_u32_e64 s10, v4, v8
	v_mov_b32_e32 v24, v16
                                        ; implicit-def: $vgpr48
	s_and_saveexec_b32 s14, s10
	s_xor_b32 s10, exec_lo, s14
; %bb.21:
	v_and_b32_e32 v48, v31, v10
                                        ; implicit-def: $vgpr22_vgpr23_vgpr24_vgpr25_vgpr26_vgpr27_vgpr28_vgpr29
                                        ; implicit-def: $vgpr8
; %bb.22:
	s_or_saveexec_b32 s10, s10
	v_mov_b32_e32 v21, v35
	v_mov_b32_e32 v25, v5
	s_xor_b32 exec_lo, exec_lo, s10
	s_cbranch_execz .LBB613_24
; %bb.23:
	v_mov_b32_e32 v24, v18
	v_mov_b32_e32 v25, v19
	;; [unrolled: 1-line block ×18, first 2 shown]
.LBB613_24:
	s_or_b32 exec_lo, exec_lo, s10
	v_cndmask_b32_e64 v22, v39, v37, s7
	v_and_b32_e32 v23, v38, v10
	s_mov_b32 s14, exec_lo
	v_and_b32_e32 v5, v22, v10
	v_cmp_gt_u32_e64 s7, v5, v4
	v_cndmask_b32_e64 v9, v17, v15, s7
	v_cndmask_b32_e64 v8, v16, v14, s7
	;; [unrolled: 1-line block ×4, first 2 shown]
	v_mov_b32_e32 v16, v31
	v_cmpx_gt_u32_e64 v48, v23
	s_cbranch_execz .LBB613_26
; %bb.25:
	v_mov_b32_e32 v14, v18
	v_mov_b32_e32 v15, v19
	;; [unrolled: 1-line block ×9, first 2 shown]
.LBB613_26:
	s_or_b32 exec_lo, exec_lo, s14
	v_cndmask_b32_e64 v37, v25, v22, s7
	v_mov_b32_e32 v14, v18
	v_mov_b32_e32 v15, v19
	;; [unrolled: 1-line block ×3, first 2 shown]
	s_mov_b32 s14, exec_lo
	v_and_b32_e32 v17, v37, v10
	v_cmpx_gt_u32_e64 v17, v48
; %bb.27:
	v_mov_b32_e32 v15, v9
	v_mov_b32_e32 v14, v8
	;; [unrolled: 1-line block ×6, first 2 shown]
; %bb.28:
	s_or_b32 exec_lo, exec_lo, s14
	v_cndmask_b32_e64 v39, v22, v25, s7
.LBB613_29:
	s_or_b32 exec_lo, exec_lo, s11
	v_and_b32_e32 v17, 0xffffff80, v11
	v_or_b32_e32 v11, 4, v30
	v_mov_b32_e32 v18, 0
	v_and_b32_e32 v29, 0x78, v30
	s_mov_b32 s10, exec_lo
	v_sub_nc_u32_e64 v16, 0x400, v17 clamp
	v_lshlrev_b64 v[22:23], 3, v[17:18]
	v_lshlrev_b64 v[17:18], 2, v[17:18]
	v_min_u32_e32 v27, v16, v11
	v_and_b32_e32 v11, 4, v30
	v_add_nc_u32_e32 v19, 4, v27
	v_min_u32_e32 v31, v16, v11
	v_add_co_u32 v11, null, v12, v22
	v_add_co_u32 v12, s7, v12, v17
	v_min_u32_e32 v28, v16, v19
	v_sub_nc_u32_e32 v19, v27, v29
	v_add_co_u32 v11, null, 0x1000, v11
	v_add_co_ci_u32_e64 v13, null, v13, v18, s7
	v_sub_nc_u32_e32 v22, v28, v27
	v_lshl_add_u32 v13, v30, 2, v12
	v_lshl_add_u32 v17, v30, 3, v11
	v_min_u32_e32 v18, v31, v19
	ds_write2_b32 v13, v39, v37 offset1:1
	ds_write2_b64 v17, v[4:5], v[8:9] offset1:1
	ds_write2_b32 v13, v24, v38 offset0:2 offset1:3
	ds_write2_b64 v17, v[14:15], v[20:21] offset0:2 offset1:3
	v_sub_nc_u32_e64 v34, v31, v22 clamp
	; wave barrier
	v_cmpx_lt_u32_e64 v34, v18
	s_cbranch_execz .LBB613_33
; %bb.30:
	v_lshlrev_b32_e32 v19, 2, v29
	v_lshlrev_b32_e32 v22, 2, v27
	s_mov_b32 s11, 0
	v_add_co_u32 v19, null, v12, v19
	v_add_co_u32 v22, null, v12, v22
	.p2align	6
.LBB613_31:                             ; =>This Inner Loop Header: Depth=1
	v_add_nc_u32_e32 v23, v18, v34
	v_lshrrev_b32_e32 v23, 1, v23
	v_xad_u32 v25, v23, -1, v31
	v_lshl_add_u32 v26, v23, 2, v19
	v_add_nc_u32_e32 v35, 1, v23
	v_lshl_add_u32 v25, v25, 2, v22
	ds_read_b32 v26, v26
	ds_read_b32 v25, v25
	s_waitcnt lgkmcnt(1)
	v_and_b32_e32 v26, v26, v10
	s_waitcnt lgkmcnt(0)
	v_and_b32_e32 v25, v25, v10
	v_cmp_gt_u32_e64 s7, v26, v25
	v_cndmask_b32_e64 v18, v18, v23, s7
	v_cndmask_b32_e64 v34, v35, v34, s7
	v_cmp_ge_u32_e64 s7, v34, v18
	s_or_b32 s11, s7, s11
	s_andn2_b32 exec_lo, exec_lo, s11
	s_cbranch_execnz .LBB613_31
; %bb.32:
	s_or_b32 exec_lo, exec_lo, s11
.LBB613_33:
	s_or_b32 exec_lo, exec_lo, s10
	v_add_nc_u32_e32 v31, v27, v31
	v_add_nc_u32_e32 v35, v34, v29
	;; [unrolled: 1-line block ×5, first 2 shown]
	v_sub_nc_u32_e32 v31, v31, v34
	v_cmp_le_u32_e64 s7, v35, v27
	v_add_nc_u32_e32 v26, 16, v17
	v_add_nc_u32_e32 v18, 12, v13
	;; [unrolled: 1-line block ×3, first 2 shown]
	v_cmp_le_u32_e64 s10, v31, v28
	s_or_b32 s7, s7, s10
	s_and_saveexec_b32 s18, s7
	s_cbranch_execz .LBB613_39
; %bb.34:
	v_cmp_lt_u32_e64 s7, v35, v27
                                        ; implicit-def: $vgpr24
	s_and_saveexec_b32 s10, s7
; %bb.35:
	v_lshl_add_u32 v4, v35, 2, v12
	ds_read_b32 v24, v4
; %bb.36:
	s_or_b32 exec_lo, exec_lo, s10
	v_cmp_ge_u32_e64 s10, v31, v28
	s_mov_b32 s14, exec_lo
                                        ; implicit-def: $vgpr29
	v_cmpx_lt_u32_e64 v31, v28
; %bb.37:
	v_lshl_add_u32 v4, v31, 2, v12
	ds_read_b32 v29, v4
; %bb.38:
	s_or_b32 exec_lo, exec_lo, s14
	s_waitcnt lgkmcnt(0)
	v_and_b32_e32 v4, v29, v10
	v_and_b32_e32 v5, v24, v10
	v_cmp_le_u32_e64 s11, v5, v4
	s_and_b32 s7, s7, s11
	s_or_b32 s7, s10, s7
	v_cndmask_b32_e64 v4, v31, v35, s7
	v_cndmask_b32_e64 v5, v28, v27, s7
	;; [unrolled: 1-line block ×3, first 2 shown]
	v_add_nc_u32_e32 v8, 1, v4
	v_add_nc_u32_e32 v5, -1, v5
	v_lshl_add_u32 v4, v4, 3, v11
	v_min_u32_e32 v5, v8, v5
	v_lshl_add_u32 v5, v5, 2, v12
	ds_read_b32 v5, v5
	s_waitcnt lgkmcnt(0)
	v_cndmask_b32_e64 v34, v5, v29, s7
	v_cndmask_b32_e64 v37, v24, v5, s7
	;; [unrolled: 1-line block ×4, first 2 shown]
	v_and_b32_e32 v9, v34, v10
	v_and_b32_e32 v14, v37, v10
	v_cmp_lt_u32_e64 s10, v5, v27
	v_cmp_ge_u32_e64 s14, v8, v28
	v_cmp_le_u32_e64 s11, v14, v9
	s_and_b32 s10, s10, s11
	s_or_b32 s10, s14, s10
	v_cndmask_b32_e64 v9, v8, v5, s10
	v_cndmask_b32_e64 v14, v28, v27, s10
	v_add_nc_u32_e32 v15, 1, v9
	v_add_nc_u32_e32 v14, -1, v14
	v_cndmask_b32_e64 v5, v5, v15, s10
	v_min_u32_e32 v14, v15, v14
	v_cndmask_b32_e64 v8, v15, v8, s10
	v_cmp_lt_u32_e64 s11, v5, v27
	v_lshl_add_u32 v14, v14, 2, v12
	v_cmp_ge_u32_e64 s15, v8, v28
	ds_read_b32 v14, v14
	s_waitcnt lgkmcnt(0)
	v_cndmask_b32_e64 v31, v14, v34, s10
	v_cndmask_b32_e64 v35, v37, v14, s10
	;; [unrolled: 1-line block ×3, first 2 shown]
	v_and_b32_e32 v14, v31, v10
	v_and_b32_e32 v20, v35, v10
	v_cmp_le_u32_e64 s14, v20, v14
	s_and_b32 s11, s11, s14
	s_or_b32 s11, s15, s11
	v_cndmask_b32_e64 v14, v8, v5, s11
	v_cndmask_b32_e64 v15, v28, v27, s11
	;; [unrolled: 1-line block ×3, first 2 shown]
	v_add_nc_u32_e32 v20, 1, v14
	v_add_nc_u32_e32 v15, -1, v15
	v_lshl_add_u32 v14, v14, 3, v11
	v_cndmask_b32_e64 v5, v5, v20, s11
	v_min_u32_e32 v15, v20, v15
	v_cndmask_b32_e64 v8, v20, v8, s11
	v_cmp_lt_u32_e64 s14, v5, v27
	v_lshl_add_u32 v15, v15, 2, v12
	v_cmp_ge_u32_e64 s16, v8, v28
	ds_read_b32 v15, v15
	s_waitcnt lgkmcnt(0)
	v_cndmask_b32_e64 v38, v15, v31, s11
	v_cndmask_b32_e64 v48, v35, v15, s11
	v_and_b32_e32 v15, v38, v10
	v_and_b32_e32 v21, v48, v10
	v_cmp_le_u32_e64 s15, v21, v15
	s_and_b32 s14, s14, s15
	s_or_b32 s14, s16, s14
	v_cndmask_b32_e64 v5, v8, v5, s14
	v_lshl_add_u32 v8, v9, 3, v11
	v_cndmask_b32_e64 v38, v38, v48, s14
	v_lshl_add_u32 v20, v5, 3, v11
	ds_read_b64 v[4:5], v4
	ds_read_b64 v[8:9], v8
	;; [unrolled: 1-line block ×4, first 2 shown]
.LBB613_39:
	s_or_b32 exec_lo, exec_lo, s18
	v_and_b32_e32 v29, 0x70, v30
	v_and_b32_e32 v31, 12, v30
	s_mov_b32 s10, exec_lo
	; wave barrier
	v_or_b32_e32 v27, 8, v29
	v_min_u32_e32 v31, v16, v31
	ds_write_b32 v13, v39
	s_waitcnt lgkmcnt(4)
	ds_write_b64 v17, v[4:5]
	ds_write_b32 v22, v37
	s_waitcnt lgkmcnt(5)
	ds_write_b64 v23, v[8:9]
	;; [unrolled: 3-line block ×4, first 2 shown]
	v_min_u32_e32 v27, v16, v27
	; wave barrier
	v_add_nc_u32_e32 v28, 8, v27
	v_sub_nc_u32_e32 v35, v27, v29
	v_min_u32_e32 v28, v16, v28
	v_min_u32_e32 v35, v31, v35
	v_sub_nc_u32_e32 v34, v28, v27
	v_sub_nc_u32_e64 v34, v31, v34 clamp
	v_cmpx_lt_u32_e64 v34, v35
	s_cbranch_execz .LBB613_43
; %bb.40:
	v_lshlrev_b32_e32 v48, 2, v29
	v_lshlrev_b32_e32 v49, 2, v27
	s_mov_b32 s11, 0
	v_add_co_u32 v48, null, v12, v48
	v_add_co_u32 v49, null, v12, v49
	.p2align	6
.LBB613_41:                             ; =>This Inner Loop Header: Depth=1
	v_add_nc_u32_e32 v50, v35, v34
	v_lshrrev_b32_e32 v50, 1, v50
	v_xad_u32 v51, v50, -1, v31
	v_lshl_add_u32 v52, v50, 2, v48
	v_add_nc_u32_e32 v53, 1, v50
	v_lshl_add_u32 v51, v51, 2, v49
	ds_read_b32 v52, v52
	ds_read_b32 v51, v51
	s_waitcnt lgkmcnt(1)
	v_and_b32_e32 v52, v52, v10
	s_waitcnt lgkmcnt(0)
	v_and_b32_e32 v51, v51, v10
	v_cmp_gt_u32_e64 s7, v52, v51
	v_cndmask_b32_e64 v35, v35, v50, s7
	v_cndmask_b32_e64 v34, v53, v34, s7
	v_cmp_ge_u32_e64 s7, v34, v35
	s_or_b32 s11, s7, s11
	s_andn2_b32 exec_lo, exec_lo, s11
	s_cbranch_execnz .LBB613_41
; %bb.42:
	s_or_b32 exec_lo, exec_lo, s11
.LBB613_43:
	s_or_b32 exec_lo, exec_lo, s10
	v_add_nc_u32_e32 v31, v27, v31
	v_add_nc_u32_e32 v35, v34, v29
	v_sub_nc_u32_e32 v31, v31, v34
	v_cmp_le_u32_e64 s7, v35, v27
	v_cmp_le_u32_e64 s10, v31, v28
	s_or_b32 s7, s7, s10
	s_and_saveexec_b32 s18, s7
	s_cbranch_execz .LBB613_49
; %bb.44:
	v_cmp_lt_u32_e64 s7, v35, v27
                                        ; implicit-def: $vgpr24
	s_and_saveexec_b32 s10, s7
; %bb.45:
	v_lshl_add_u32 v4, v35, 2, v12
	ds_read_b32 v24, v4
; %bb.46:
	s_or_b32 exec_lo, exec_lo, s10
	v_cmp_ge_u32_e64 s10, v31, v28
	s_mov_b32 s14, exec_lo
                                        ; implicit-def: $vgpr29
	v_cmpx_lt_u32_e64 v31, v28
; %bb.47:
	v_lshl_add_u32 v4, v31, 2, v12
	ds_read_b32 v29, v4
; %bb.48:
	s_or_b32 exec_lo, exec_lo, s14
	s_waitcnt lgkmcnt(0)
	v_and_b32_e32 v4, v29, v10
	v_and_b32_e32 v5, v24, v10
	v_cmp_le_u32_e64 s11, v5, v4
	s_and_b32 s7, s7, s11
	s_or_b32 s7, s10, s7
	v_cndmask_b32_e64 v4, v31, v35, s7
	v_cndmask_b32_e64 v5, v28, v27, s7
	;; [unrolled: 1-line block ×3, first 2 shown]
	v_add_nc_u32_e32 v8, 1, v4
	v_add_nc_u32_e32 v5, -1, v5
	v_lshl_add_u32 v4, v4, 3, v11
	v_min_u32_e32 v5, v8, v5
	v_lshl_add_u32 v5, v5, 2, v12
	ds_read_b32 v5, v5
	s_waitcnt lgkmcnt(0)
	v_cndmask_b32_e64 v34, v5, v29, s7
	v_cndmask_b32_e64 v37, v24, v5, s7
	;; [unrolled: 1-line block ×4, first 2 shown]
	v_and_b32_e32 v9, v34, v10
	v_and_b32_e32 v14, v37, v10
	v_cmp_lt_u32_e64 s10, v5, v27
	v_cmp_ge_u32_e64 s14, v8, v28
	v_cmp_le_u32_e64 s11, v14, v9
	s_and_b32 s10, s10, s11
	s_or_b32 s10, s14, s10
	v_cndmask_b32_e64 v9, v8, v5, s10
	v_cndmask_b32_e64 v14, v28, v27, s10
	v_add_nc_u32_e32 v15, 1, v9
	v_add_nc_u32_e32 v14, -1, v14
	v_cndmask_b32_e64 v5, v5, v15, s10
	v_min_u32_e32 v14, v15, v14
	v_cndmask_b32_e64 v8, v15, v8, s10
	v_cmp_lt_u32_e64 s11, v5, v27
	v_lshl_add_u32 v14, v14, 2, v12
	v_cmp_ge_u32_e64 s15, v8, v28
	ds_read_b32 v14, v14
	s_waitcnt lgkmcnt(0)
	v_cndmask_b32_e64 v31, v14, v34, s10
	v_cndmask_b32_e64 v35, v37, v14, s10
	;; [unrolled: 1-line block ×3, first 2 shown]
	v_and_b32_e32 v14, v31, v10
	v_and_b32_e32 v20, v35, v10
	v_cmp_le_u32_e64 s14, v20, v14
	s_and_b32 s11, s11, s14
	s_or_b32 s11, s15, s11
	v_cndmask_b32_e64 v14, v8, v5, s11
	v_cndmask_b32_e64 v15, v28, v27, s11
	;; [unrolled: 1-line block ×3, first 2 shown]
	v_add_nc_u32_e32 v20, 1, v14
	v_add_nc_u32_e32 v15, -1, v15
	v_lshl_add_u32 v14, v14, 3, v11
	v_cndmask_b32_e64 v5, v5, v20, s11
	v_min_u32_e32 v15, v20, v15
	v_cndmask_b32_e64 v8, v20, v8, s11
	v_cmp_lt_u32_e64 s14, v5, v27
	v_lshl_add_u32 v15, v15, 2, v12
	v_cmp_ge_u32_e64 s16, v8, v28
	ds_read_b32 v15, v15
	s_waitcnt lgkmcnt(0)
	v_cndmask_b32_e64 v38, v15, v31, s11
	v_cndmask_b32_e64 v48, v35, v15, s11
	v_and_b32_e32 v15, v38, v10
	v_and_b32_e32 v21, v48, v10
	v_cmp_le_u32_e64 s15, v21, v15
	s_and_b32 s14, s14, s15
	s_or_b32 s14, s16, s14
	v_cndmask_b32_e64 v5, v8, v5, s14
	v_lshl_add_u32 v8, v9, 3, v11
	v_cndmask_b32_e64 v38, v38, v48, s14
	v_lshl_add_u32 v20, v5, 3, v11
	ds_read_b64 v[4:5], v4
	ds_read_b64 v[8:9], v8
	;; [unrolled: 1-line block ×4, first 2 shown]
.LBB613_49:
	s_or_b32 exec_lo, exec_lo, s18
	v_and_b32_e32 v29, 0x60, v30
	v_and_b32_e32 v31, 28, v30
	s_mov_b32 s10, exec_lo
	; wave barrier
	v_or_b32_e32 v27, 16, v29
	v_min_u32_e32 v31, v16, v31
	ds_write_b32 v13, v39
	s_waitcnt lgkmcnt(4)
	ds_write_b64 v17, v[4:5]
	ds_write_b32 v22, v37
	s_waitcnt lgkmcnt(5)
	ds_write_b64 v23, v[8:9]
	;; [unrolled: 3-line block ×4, first 2 shown]
	v_min_u32_e32 v27, v16, v27
	; wave barrier
	v_add_nc_u32_e32 v28, 16, v27
	v_sub_nc_u32_e32 v35, v27, v29
	v_min_u32_e32 v28, v16, v28
	v_min_u32_e32 v35, v31, v35
	v_sub_nc_u32_e32 v34, v28, v27
	v_sub_nc_u32_e64 v34, v31, v34 clamp
	v_cmpx_lt_u32_e64 v34, v35
	s_cbranch_execz .LBB613_53
; %bb.50:
	v_lshlrev_b32_e32 v48, 2, v29
	v_lshlrev_b32_e32 v49, 2, v27
	s_mov_b32 s11, 0
	v_add_co_u32 v48, null, v12, v48
	v_add_co_u32 v49, null, v12, v49
	.p2align	6
.LBB613_51:                             ; =>This Inner Loop Header: Depth=1
	v_add_nc_u32_e32 v50, v35, v34
	v_lshrrev_b32_e32 v50, 1, v50
	v_xad_u32 v51, v50, -1, v31
	v_lshl_add_u32 v52, v50, 2, v48
	v_add_nc_u32_e32 v53, 1, v50
	v_lshl_add_u32 v51, v51, 2, v49
	ds_read_b32 v52, v52
	ds_read_b32 v51, v51
	s_waitcnt lgkmcnt(1)
	v_and_b32_e32 v52, v52, v10
	s_waitcnt lgkmcnt(0)
	v_and_b32_e32 v51, v51, v10
	v_cmp_gt_u32_e64 s7, v52, v51
	v_cndmask_b32_e64 v35, v35, v50, s7
	v_cndmask_b32_e64 v34, v53, v34, s7
	v_cmp_ge_u32_e64 s7, v34, v35
	s_or_b32 s11, s7, s11
	s_andn2_b32 exec_lo, exec_lo, s11
	s_cbranch_execnz .LBB613_51
; %bb.52:
	s_or_b32 exec_lo, exec_lo, s11
.LBB613_53:
	s_or_b32 exec_lo, exec_lo, s10
	v_add_nc_u32_e32 v31, v27, v31
	v_add_nc_u32_e32 v35, v34, v29
	v_sub_nc_u32_e32 v31, v31, v34
	v_cmp_le_u32_e64 s7, v35, v27
	v_cmp_le_u32_e64 s10, v31, v28
	s_or_b32 s7, s7, s10
	s_and_saveexec_b32 s18, s7
	s_cbranch_execz .LBB613_59
; %bb.54:
	v_cmp_lt_u32_e64 s7, v35, v27
                                        ; implicit-def: $vgpr24
	s_and_saveexec_b32 s10, s7
; %bb.55:
	v_lshl_add_u32 v4, v35, 2, v12
	ds_read_b32 v24, v4
; %bb.56:
	s_or_b32 exec_lo, exec_lo, s10
	v_cmp_ge_u32_e64 s10, v31, v28
	s_mov_b32 s14, exec_lo
                                        ; implicit-def: $vgpr29
	v_cmpx_lt_u32_e64 v31, v28
; %bb.57:
	v_lshl_add_u32 v4, v31, 2, v12
	ds_read_b32 v29, v4
; %bb.58:
	s_or_b32 exec_lo, exec_lo, s14
	s_waitcnt lgkmcnt(0)
	v_and_b32_e32 v4, v29, v10
	v_and_b32_e32 v5, v24, v10
	v_cmp_le_u32_e64 s11, v5, v4
	s_and_b32 s7, s7, s11
	s_or_b32 s7, s10, s7
	v_cndmask_b32_e64 v4, v31, v35, s7
	v_cndmask_b32_e64 v5, v28, v27, s7
	;; [unrolled: 1-line block ×3, first 2 shown]
	v_add_nc_u32_e32 v8, 1, v4
	v_add_nc_u32_e32 v5, -1, v5
	v_lshl_add_u32 v4, v4, 3, v11
	v_min_u32_e32 v5, v8, v5
	v_lshl_add_u32 v5, v5, 2, v12
	ds_read_b32 v5, v5
	s_waitcnt lgkmcnt(0)
	v_cndmask_b32_e64 v34, v5, v29, s7
	v_cndmask_b32_e64 v37, v24, v5, s7
	;; [unrolled: 1-line block ×4, first 2 shown]
	v_and_b32_e32 v9, v34, v10
	v_and_b32_e32 v14, v37, v10
	v_cmp_lt_u32_e64 s10, v5, v27
	v_cmp_ge_u32_e64 s14, v8, v28
	v_cmp_le_u32_e64 s11, v14, v9
	s_and_b32 s10, s10, s11
	s_or_b32 s10, s14, s10
	v_cndmask_b32_e64 v9, v8, v5, s10
	v_cndmask_b32_e64 v14, v28, v27, s10
	v_add_nc_u32_e32 v15, 1, v9
	v_add_nc_u32_e32 v14, -1, v14
	v_cndmask_b32_e64 v5, v5, v15, s10
	v_min_u32_e32 v14, v15, v14
	v_cndmask_b32_e64 v8, v15, v8, s10
	v_cmp_lt_u32_e64 s11, v5, v27
	v_lshl_add_u32 v14, v14, 2, v12
	v_cmp_ge_u32_e64 s15, v8, v28
	ds_read_b32 v14, v14
	s_waitcnt lgkmcnt(0)
	v_cndmask_b32_e64 v31, v14, v34, s10
	v_cndmask_b32_e64 v35, v37, v14, s10
	;; [unrolled: 1-line block ×3, first 2 shown]
	v_and_b32_e32 v14, v31, v10
	v_and_b32_e32 v20, v35, v10
	v_cmp_le_u32_e64 s14, v20, v14
	s_and_b32 s11, s11, s14
	s_or_b32 s11, s15, s11
	v_cndmask_b32_e64 v14, v8, v5, s11
	v_cndmask_b32_e64 v15, v28, v27, s11
	;; [unrolled: 1-line block ×3, first 2 shown]
	v_add_nc_u32_e32 v20, 1, v14
	v_add_nc_u32_e32 v15, -1, v15
	v_lshl_add_u32 v14, v14, 3, v11
	v_cndmask_b32_e64 v5, v5, v20, s11
	v_min_u32_e32 v15, v20, v15
	v_cndmask_b32_e64 v8, v20, v8, s11
	v_cmp_lt_u32_e64 s14, v5, v27
	v_lshl_add_u32 v15, v15, 2, v12
	v_cmp_ge_u32_e64 s16, v8, v28
	ds_read_b32 v15, v15
	s_waitcnt lgkmcnt(0)
	v_cndmask_b32_e64 v38, v15, v31, s11
	v_cndmask_b32_e64 v48, v35, v15, s11
	v_and_b32_e32 v15, v38, v10
	v_and_b32_e32 v21, v48, v10
	v_cmp_le_u32_e64 s15, v21, v15
	s_and_b32 s14, s14, s15
	s_or_b32 s14, s16, s14
	v_cndmask_b32_e64 v5, v8, v5, s14
	v_lshl_add_u32 v8, v9, 3, v11
	v_cndmask_b32_e64 v38, v38, v48, s14
	v_lshl_add_u32 v20, v5, 3, v11
	ds_read_b64 v[4:5], v4
	ds_read_b64 v[8:9], v8
	;; [unrolled: 1-line block ×4, first 2 shown]
.LBB613_59:
	s_or_b32 exec_lo, exec_lo, s18
	v_and_b32_e32 v29, 64, v30
	v_and_b32_e32 v31, 60, v30
	s_mov_b32 s10, exec_lo
	; wave barrier
	v_or_b32_e32 v27, 32, v29
	v_min_u32_e32 v31, v16, v31
	ds_write_b32 v13, v39
	s_waitcnt lgkmcnt(4)
	ds_write_b64 v17, v[4:5]
	ds_write_b32 v22, v37
	s_waitcnt lgkmcnt(5)
	ds_write_b64 v23, v[8:9]
	;; [unrolled: 3-line block ×4, first 2 shown]
	v_min_u32_e32 v27, v16, v27
	; wave barrier
	v_add_nc_u32_e32 v28, 32, v27
	v_sub_nc_u32_e32 v35, v27, v29
	v_min_u32_e32 v28, v16, v28
	v_min_u32_e32 v35, v31, v35
	v_sub_nc_u32_e32 v34, v28, v27
	v_sub_nc_u32_e64 v34, v31, v34 clamp
	v_cmpx_lt_u32_e64 v34, v35
	s_cbranch_execz .LBB613_63
; %bb.60:
	v_lshlrev_b32_e32 v48, 2, v29
	v_lshlrev_b32_e32 v49, 2, v27
	s_mov_b32 s11, 0
	v_add_co_u32 v48, null, v12, v48
	v_add_co_u32 v49, null, v12, v49
	.p2align	6
.LBB613_61:                             ; =>This Inner Loop Header: Depth=1
	v_add_nc_u32_e32 v50, v35, v34
	v_lshrrev_b32_e32 v50, 1, v50
	v_xad_u32 v51, v50, -1, v31
	v_lshl_add_u32 v52, v50, 2, v48
	v_add_nc_u32_e32 v53, 1, v50
	v_lshl_add_u32 v51, v51, 2, v49
	ds_read_b32 v52, v52
	ds_read_b32 v51, v51
	s_waitcnt lgkmcnt(1)
	v_and_b32_e32 v52, v52, v10
	s_waitcnt lgkmcnt(0)
	v_and_b32_e32 v51, v51, v10
	v_cmp_gt_u32_e64 s7, v52, v51
	v_cndmask_b32_e64 v35, v35, v50, s7
	v_cndmask_b32_e64 v34, v53, v34, s7
	v_cmp_ge_u32_e64 s7, v34, v35
	s_or_b32 s11, s7, s11
	s_andn2_b32 exec_lo, exec_lo, s11
	s_cbranch_execnz .LBB613_61
; %bb.62:
	s_or_b32 exec_lo, exec_lo, s11
.LBB613_63:
	s_or_b32 exec_lo, exec_lo, s10
	v_add_nc_u32_e32 v31, v27, v31
	v_add_nc_u32_e32 v35, v34, v29
	v_sub_nc_u32_e32 v31, v31, v34
	v_cmp_le_u32_e64 s7, v35, v27
	v_cmp_le_u32_e64 s10, v31, v28
	s_or_b32 s7, s7, s10
	s_and_saveexec_b32 s18, s7
	s_cbranch_execz .LBB613_69
; %bb.64:
	v_cmp_lt_u32_e64 s7, v35, v27
                                        ; implicit-def: $vgpr24
	s_and_saveexec_b32 s10, s7
; %bb.65:
	v_lshl_add_u32 v4, v35, 2, v12
	ds_read_b32 v24, v4
; %bb.66:
	s_or_b32 exec_lo, exec_lo, s10
	v_cmp_ge_u32_e64 s10, v31, v28
	s_mov_b32 s14, exec_lo
                                        ; implicit-def: $vgpr29
	v_cmpx_lt_u32_e64 v31, v28
; %bb.67:
	v_lshl_add_u32 v4, v31, 2, v12
	ds_read_b32 v29, v4
; %bb.68:
	s_or_b32 exec_lo, exec_lo, s14
	s_waitcnt lgkmcnt(0)
	v_and_b32_e32 v4, v29, v10
	v_and_b32_e32 v5, v24, v10
	v_cmp_le_u32_e64 s11, v5, v4
	s_and_b32 s7, s7, s11
	s_or_b32 s7, s10, s7
	v_cndmask_b32_e64 v4, v31, v35, s7
	v_cndmask_b32_e64 v5, v28, v27, s7
	;; [unrolled: 1-line block ×3, first 2 shown]
	v_add_nc_u32_e32 v8, 1, v4
	v_add_nc_u32_e32 v5, -1, v5
	v_lshl_add_u32 v4, v4, 3, v11
	v_min_u32_e32 v5, v8, v5
	v_lshl_add_u32 v5, v5, 2, v12
	ds_read_b32 v5, v5
	s_waitcnt lgkmcnt(0)
	v_cndmask_b32_e64 v34, v5, v29, s7
	v_cndmask_b32_e64 v37, v24, v5, s7
	v_cndmask_b32_e64 v5, v35, v8, s7
	v_cndmask_b32_e64 v8, v8, v31, s7
	v_and_b32_e32 v9, v34, v10
	v_and_b32_e32 v14, v37, v10
	v_cmp_lt_u32_e64 s10, v5, v27
	v_cmp_ge_u32_e64 s14, v8, v28
	v_cmp_le_u32_e64 s11, v14, v9
	s_and_b32 s10, s10, s11
	s_or_b32 s10, s14, s10
	v_cndmask_b32_e64 v9, v8, v5, s10
	v_cndmask_b32_e64 v14, v28, v27, s10
	v_add_nc_u32_e32 v15, 1, v9
	v_add_nc_u32_e32 v14, -1, v14
	v_cndmask_b32_e64 v5, v5, v15, s10
	v_min_u32_e32 v14, v15, v14
	v_cndmask_b32_e64 v8, v15, v8, s10
	v_cmp_lt_u32_e64 s11, v5, v27
	v_lshl_add_u32 v14, v14, 2, v12
	v_cmp_ge_u32_e64 s15, v8, v28
	ds_read_b32 v14, v14
	s_waitcnt lgkmcnt(0)
	v_cndmask_b32_e64 v31, v14, v34, s10
	v_cndmask_b32_e64 v35, v37, v14, s10
	;; [unrolled: 1-line block ×3, first 2 shown]
	v_and_b32_e32 v14, v31, v10
	v_and_b32_e32 v20, v35, v10
	v_cmp_le_u32_e64 s14, v20, v14
	s_and_b32 s11, s11, s14
	s_or_b32 s11, s15, s11
	v_cndmask_b32_e64 v14, v8, v5, s11
	v_cndmask_b32_e64 v15, v28, v27, s11
	;; [unrolled: 1-line block ×3, first 2 shown]
	v_add_nc_u32_e32 v20, 1, v14
	v_add_nc_u32_e32 v15, -1, v15
	v_lshl_add_u32 v14, v14, 3, v11
	v_cndmask_b32_e64 v5, v5, v20, s11
	v_min_u32_e32 v15, v20, v15
	v_cndmask_b32_e64 v8, v20, v8, s11
	v_cmp_lt_u32_e64 s14, v5, v27
	v_lshl_add_u32 v15, v15, 2, v12
	v_cmp_ge_u32_e64 s16, v8, v28
	ds_read_b32 v15, v15
	s_waitcnt lgkmcnt(0)
	v_cndmask_b32_e64 v38, v15, v31, s11
	v_cndmask_b32_e64 v48, v35, v15, s11
	v_and_b32_e32 v15, v38, v10
	v_and_b32_e32 v21, v48, v10
	v_cmp_le_u32_e64 s15, v21, v15
	s_and_b32 s14, s14, s15
	s_or_b32 s14, s16, s14
	v_cndmask_b32_e64 v5, v8, v5, s14
	v_lshl_add_u32 v8, v9, 3, v11
	v_cndmask_b32_e64 v38, v38, v48, s14
	v_lshl_add_u32 v20, v5, 3, v11
	ds_read_b64 v[4:5], v4
	ds_read_b64 v[8:9], v8
	;; [unrolled: 1-line block ×4, first 2 shown]
.LBB613_69:
	s_or_b32 exec_lo, exec_lo, s18
	v_min_u32_e32 v27, 64, v16
	; wave barrier
	ds_write_b32 v13, v39
	s_waitcnt lgkmcnt(4)
	ds_write_b64 v17, v[4:5]
	s_mov_b32 s10, exec_lo
	v_add_nc_u32_e32 v28, 64, v27
	ds_write_b32 v22, v37
	s_waitcnt lgkmcnt(5)
	ds_write_b64 v23, v[8:9]
	ds_write_b32 v25, v24
	s_waitcnt lgkmcnt(6)
	ds_write_b64 v26, v[14:15]
	;; [unrolled: 3-line block ×3, first 2 shown]
	; wave barrier
	v_min_u32_e32 v28, v16, v28
	v_min_u32_e32 v16, v16, v30
	v_sub_nc_u32_e32 v29, v28, v27
	v_min_u32_e32 v17, v16, v27
	v_sub_nc_u32_e64 v13, v16, v29 clamp
	v_cmpx_lt_u32_e64 v13, v17
	s_cbranch_execz .LBB613_73
; %bb.70:
	v_lshlrev_b32_e32 v18, 2, v27
	s_mov_b32 s11, 0
	v_add_co_u32 v18, null, v12, v18
	.p2align	6
.LBB613_71:                             ; =>This Inner Loop Header: Depth=1
	v_add_nc_u32_e32 v19, v17, v13
	v_lshrrev_b32_e32 v19, 1, v19
	v_xad_u32 v22, v19, -1, v16
	v_lshl_add_u32 v23, v19, 2, v12
	v_add_nc_u32_e32 v25, 1, v19
	v_lshl_add_u32 v22, v22, 2, v18
	ds_read_b32 v23, v23
	ds_read_b32 v22, v22
	s_waitcnt lgkmcnt(1)
	v_and_b32_e32 v23, v23, v10
	s_waitcnt lgkmcnt(0)
	v_and_b32_e32 v22, v22, v10
	v_cmp_gt_u32_e64 s7, v23, v22
	v_cndmask_b32_e64 v17, v17, v19, s7
	v_cndmask_b32_e64 v13, v25, v13, s7
	v_cmp_ge_u32_e64 s7, v13, v17
	s_or_b32 s11, s7, s11
	s_andn2_b32 exec_lo, exec_lo, s11
	s_cbranch_execnz .LBB613_71
; %bb.72:
	s_or_b32 exec_lo, exec_lo, s11
.LBB613_73:
	s_or_b32 exec_lo, exec_lo, s10
	v_add_nc_u32_e32 v16, v27, v16
	v_cmp_le_u32_e64 s7, v13, v27
	v_sub_nc_u32_e32 v18, v16, v13
	v_cmp_le_u32_e64 s10, v18, v28
	s_or_b32 s7, s7, s10
	s_and_saveexec_b32 s18, s7
	s_cbranch_execz .LBB613_79
; %bb.74:
	v_cmp_lt_u32_e64 s7, v13, v27
                                        ; implicit-def: $vgpr16
	s_and_saveexec_b32 s10, s7
; %bb.75:
	v_lshl_add_u32 v4, v13, 2, v12
	ds_read_b32 v16, v4
; %bb.76:
	s_or_b32 exec_lo, exec_lo, s10
	v_cmp_ge_u32_e64 s10, v18, v28
	s_mov_b32 s14, exec_lo
                                        ; implicit-def: $vgpr17
	v_cmpx_lt_u32_e64 v18, v28
; %bb.77:
	v_lshl_add_u32 v4, v18, 2, v12
	ds_read_b32 v17, v4
; %bb.78:
	s_or_b32 exec_lo, exec_lo, s14
	s_waitcnt lgkmcnt(0)
	v_and_b32_e32 v4, v17, v10
	v_and_b32_e32 v5, v16, v10
	v_cmp_le_u32_e64 s11, v5, v4
	s_and_b32 s7, s7, s11
	s_or_b32 s7, s10, s7
	v_cndmask_b32_e64 v4, v18, v13, s7
	v_cndmask_b32_e64 v5, v28, v27, s7
	;; [unrolled: 1-line block ×3, first 2 shown]
	v_add_nc_u32_e32 v8, 1, v4
	v_add_nc_u32_e32 v5, -1, v5
	v_lshl_add_u32 v4, v4, 3, v11
	v_min_u32_e32 v5, v8, v5
	v_lshl_add_u32 v5, v5, 2, v12
	ds_read_b32 v5, v5
	s_waitcnt lgkmcnt(0)
	v_cndmask_b32_e64 v19, v5, v17, s7
	v_cndmask_b32_e64 v22, v16, v5, s7
	v_cndmask_b32_e64 v5, v13, v8, s7
	v_cndmask_b32_e64 v8, v8, v18, s7
	v_and_b32_e32 v9, v19, v10
	v_and_b32_e32 v13, v22, v10
	v_cmp_lt_u32_e64 s10, v5, v27
	v_cmp_ge_u32_e64 s14, v8, v28
	v_cmp_le_u32_e64 s11, v13, v9
	s_and_b32 s10, s10, s11
	s_or_b32 s10, s14, s10
	v_cndmask_b32_e64 v9, v8, v5, s10
	v_cndmask_b32_e64 v13, v28, v27, s10
	;; [unrolled: 1-line block ×3, first 2 shown]
	v_add_nc_u32_e32 v14, 1, v9
	v_add_nc_u32_e32 v13, -1, v13
	v_cndmask_b32_e64 v5, v5, v14, s10
	v_min_u32_e32 v13, v14, v13
	v_cndmask_b32_e64 v8, v14, v8, s10
	v_cmp_lt_u32_e64 s11, v5, v27
	v_lshl_add_u32 v13, v13, 2, v12
	v_cmp_ge_u32_e64 s15, v8, v28
	ds_read_b32 v13, v13
	s_waitcnt lgkmcnt(0)
	v_cndmask_b32_e64 v18, v13, v19, s10
	v_cndmask_b32_e64 v13, v22, v13, s10
	v_and_b32_e32 v15, v18, v10
	v_and_b32_e32 v20, v13, v10
	v_cmp_le_u32_e64 s14, v20, v15
	s_and_b32 s11, s11, s14
	s_or_b32 s11, s15, s11
	v_cndmask_b32_e64 v14, v8, v5, s11
	v_cndmask_b32_e64 v15, v28, v27, s11
	;; [unrolled: 1-line block ×3, first 2 shown]
	v_add_nc_u32_e32 v20, 1, v14
	v_add_nc_u32_e32 v15, -1, v15
	v_cndmask_b32_e64 v5, v5, v20, s11
	v_min_u32_e32 v15, v20, v15
	v_cndmask_b32_e64 v8, v20, v8, s11
	v_cmp_lt_u32_e64 s14, v5, v27
	v_lshl_add_u32 v12, v15, 2, v12
	v_cmp_ge_u32_e64 s16, v8, v28
	ds_read_b32 v12, v12
	s_waitcnt lgkmcnt(0)
	v_cndmask_b32_e64 v23, v12, v18, s11
	v_cndmask_b32_e64 v12, v13, v12, s11
	v_and_b32_e32 v15, v23, v10
	v_and_b32_e32 v10, v12, v10
	v_cmp_le_u32_e64 s15, v10, v15
	v_lshl_add_u32 v10, v14, 3, v11
	s_and_b32 s14, s14, s15
	s_or_b32 s14, s16, s14
	v_cndmask_b32_e64 v5, v8, v5, s14
	v_lshl_add_u32 v8, v9, 3, v11
	v_cndmask_b32_e64 v38, v23, v12, s14
	v_lshl_add_u32 v11, v5, 3, v11
	ds_read_b64 v[4:5], v4
	ds_read_b64 v[8:9], v8
	;; [unrolled: 1-line block ×4, first 2 shown]
.LBB613_79:
	s_or_b32 exec_lo, exec_lo, s18
	; wave barrier
	s_waitcnt lgkmcnt(0)
	s_waitcnt_vscnt null, 0x0
	s_barrier
                                        ; implicit-def: $vgpr12
                                        ; implicit-def: $vgpr13
                                        ; implicit-def: $vgpr17
                                        ; implicit-def: $vgpr25
                                        ; implicit-def: $vgpr16
                                        ; implicit-def: $vgpr34_vgpr35
                                        ; implicit-def: $vgpr22_vgpr23
                                        ; implicit-def: $vgpr18_vgpr19
.LBB613_80:
	s_andn2_saveexec_b32 s14, s17
	s_cbranch_execz .LBB613_136
; %bb.81:
	s_load_dwordx2 s[10:11], s[8:9], 0x0
	v_mov_b32_e32 v11, 0
	s_waitcnt lgkmcnt(0)
	s_cmp_lt_u32 s13, s11
	s_cselect_b32 s7, 14, 20
	s_add_u32 s16, s8, s7
	s_addc_u32 s17, s9, 0
	s_cmp_lt_u32 s12, s10
	global_load_ushort v10, v11, s[16:17]
	s_cselect_b32 s7, 12, 18
	s_mov_b32 s10, exec_lo
	s_add_u32 s8, s8, s7
	s_addc_u32 s9, s9, 0
	global_load_ushort v26, v11, s[8:9]
	s_waitcnt vmcnt(1)
	v_mad_u32_u24 v10, v25, v10, v17
	s_waitcnt vmcnt(0)
	v_mul_lo_u32 v10, v10, v26
	v_add_lshl_u32 v10, v10, v16, 2
	v_cmpx_gt_u32_e32 0x400, v10
	s_cbranch_execz .LBB613_85
; %bb.82:
	v_cmp_gt_i32_e64 s7, v39, v37
	v_max_i32_e32 v8, v39, v37
	v_cmp_gt_i32_e64 s8, v24, v38
	v_min_i32_e32 v15, v24, v38
	v_min_i32_e32 v16, v39, v37
	v_cndmask_b32_e64 v9, v5, v19, s7
	v_cndmask_b32_e64 v5, v19, v5, s7
	;; [unrolled: 1-line block ×3, first 2 shown]
	v_cmp_gt_i32_e64 s9, v8, v15
	v_max_i32_e32 v17, v24, v38
	v_cndmask_b32_e64 v14, v4, v18, s7
	v_cndmask_b32_e64 v4, v18, v4, s7
	;; [unrolled: 1-line block ×6, first 2 shown]
	v_cmp_lt_i32_e64 s7, v15, v16
	v_max_i32_e32 v19, v8, v15
	v_cmp_gt_i32_e64 s8, v8, v17
	v_min_i32_e32 v18, v8, v15
	v_cndmask_b32_e64 v24, v21, v4, s9
	v_cndmask_b32_e64 v15, v4, v21, s9
	;; [unrolled: 1-line block ×13, first 2 shown]
	v_mov_b32_e32 v24, v22
	s_mov_b32 s11, exec_lo
	v_cmpx_gt_i32_e64 v37, v22
	s_cbranch_execz .LBB613_84
; %bb.83:
	v_mov_b32_e32 v26, v15
	v_mov_b32_e32 v25, v14
	;; [unrolled: 1-line block ×8, first 2 shown]
.LBB613_84:
	s_or_b32 exec_lo, exec_lo, s11
	v_cndmask_b32_e64 v39, v16, v18, s7
	v_cndmask_b32_e64 v38, v17, v19, s8
.LBB613_85:
	s_or_b32 exec_lo, exec_lo, s10
	v_and_b32_e32 v10, 0xffffff80, v10
	v_or_b32_e32 v17, 4, v30
	v_and_b32_e32 v22, 4, v30
	v_and_b32_e32 v28, 0x78, v30
	s_mov_b32 s8, exec_lo
	v_sub_nc_u32_e64 v16, 0x400, v10 clamp
	v_min_u32_e32 v26, v16, v17
	v_lshlrev_b64 v[17:18], 3, v[10:11]
	v_lshlrev_b64 v[18:19], 2, v[10:11]
	v_min_u32_e32 v29, v16, v22
	v_add_nc_u32_e32 v23, 4, v26
	v_add_co_u32 v10, null, v12, v17
	v_add_co_u32 v11, s7, v12, v18
	v_min_u32_e32 v27, v16, v23
	v_sub_nc_u32_e32 v17, v26, v28
	v_add_co_u32 v10, null, 0x1000, v10
	v_add_co_ci_u32_e64 v12, null, v13, v19, s7
	v_sub_nc_u32_e32 v18, v27, v26
	v_lshl_add_u32 v12, v30, 2, v11
	v_lshl_add_u32 v13, v30, 3, v10
	v_min_u32_e32 v17, v29, v17
	ds_write2_b32 v12, v39, v37 offset1:1
	ds_write2_b64 v13, v[4:5], v[8:9] offset1:1
	ds_write2_b32 v12, v24, v38 offset0:2 offset1:3
	ds_write2_b64 v13, v[14:15], v[20:21] offset0:2 offset1:3
	v_sub_nc_u32_e64 v31, v29, v18 clamp
	; wave barrier
	v_cmpx_lt_u32_e64 v31, v17
	s_cbranch_execz .LBB613_89
; %bb.86:
	v_lshlrev_b32_e32 v18, 2, v28
	v_lshlrev_b32_e32 v19, 2, v26
	s_mov_b32 s9, 0
	v_add_co_u32 v18, null, v11, v18
	v_add_co_u32 v19, null, v11, v19
	.p2align	6
.LBB613_87:                             ; =>This Inner Loop Header: Depth=1
	v_add_nc_u32_e32 v22, v17, v31
	v_lshrrev_b32_e32 v22, 1, v22
	v_xad_u32 v23, v22, -1, v29
	v_lshl_add_u32 v25, v22, 2, v18
	v_add_nc_u32_e32 v34, 1, v22
	v_lshl_add_u32 v23, v23, 2, v19
	ds_read_b32 v25, v25
	ds_read_b32 v23, v23
	s_waitcnt lgkmcnt(0)
	v_cmp_gt_i32_e64 s7, v25, v23
	v_cndmask_b32_e64 v17, v17, v22, s7
	v_cndmask_b32_e64 v31, v34, v31, s7
	v_cmp_ge_u32_e64 s7, v31, v17
	s_or_b32 s9, s7, s9
	s_andn2_b32 exec_lo, exec_lo, s9
	s_cbranch_execnz .LBB613_87
; %bb.88:
	s_or_b32 exec_lo, exec_lo, s9
.LBB613_89:
	s_or_b32 exec_lo, exec_lo, s8
	v_add_nc_u32_e32 v29, v26, v29
	v_add_nc_u32_e32 v34, v31, v28
	;; [unrolled: 1-line block ×5, first 2 shown]
	v_sub_nc_u32_e32 v29, v29, v31
	v_cmp_le_u32_e64 s7, v34, v26
	v_add_nc_u32_e32 v25, 16, v13
	v_add_nc_u32_e32 v17, 12, v12
	;; [unrolled: 1-line block ×3, first 2 shown]
	v_cmp_le_u32_e64 s8, v29, v27
	s_or_b32 s7, s7, s8
	s_and_saveexec_b32 s13, s7
	s_cbranch_execz .LBB613_95
; %bb.90:
	v_cmp_lt_u32_e64 s7, v34, v26
                                        ; implicit-def: $vgpr24
	s_and_saveexec_b32 s8, s7
; %bb.91:
	v_lshl_add_u32 v4, v34, 2, v11
	ds_read_b32 v24, v4
; %bb.92:
	s_or_b32 exec_lo, exec_lo, s8
	v_cmp_ge_u32_e64 s8, v29, v27
	s_mov_b32 s10, exec_lo
                                        ; implicit-def: $vgpr28
	v_cmpx_lt_u32_e64 v29, v27
; %bb.93:
	v_lshl_add_u32 v4, v29, 2, v11
	ds_read_b32 v28, v4
; %bb.94:
	s_or_b32 exec_lo, exec_lo, s10
	s_waitcnt lgkmcnt(0)
	v_cmp_le_i32_e64 s9, v24, v28
	s_and_b32 s7, s7, s9
	s_or_b32 s7, s8, s7
	v_cndmask_b32_e64 v4, v29, v34, s7
	v_cndmask_b32_e64 v5, v27, v26, s7
	;; [unrolled: 1-line block ×3, first 2 shown]
	v_add_nc_u32_e32 v8, 1, v4
	v_add_nc_u32_e32 v5, -1, v5
	v_lshl_add_u32 v4, v4, 3, v10
	v_cndmask_b32_e64 v9, v34, v8, s7
	v_min_u32_e32 v5, v8, v5
	v_cmp_lt_u32_e64 s8, v9, v26
	v_lshl_add_u32 v5, v5, 2, v11
	ds_read_b32 v5, v5
	s_waitcnt lgkmcnt(0)
	v_cndmask_b32_e64 v31, v5, v28, s7
	v_cndmask_b32_e64 v34, v24, v5, s7
	;; [unrolled: 1-line block ×3, first 2 shown]
	v_cmp_le_i32_e64 s9, v34, v31
	v_cmp_ge_u32_e64 s10, v5, v27
	s_and_b32 s8, s8, s9
	s_or_b32 s8, s10, s8
	v_cndmask_b32_e64 v8, v5, v9, s8
	v_cndmask_b32_e64 v14, v27, v26, s8
	v_cndmask_b32_e64 v37, v31, v34, s8
	v_add_nc_u32_e32 v15, 1, v8
	v_add_nc_u32_e32 v14, -1, v14
	v_lshl_add_u32 v8, v8, 3, v10
	v_cndmask_b32_e64 v9, v9, v15, s8
	v_min_u32_e32 v14, v15, v14
	v_cndmask_b32_e64 v5, v15, v5, s8
	v_cmp_lt_u32_e64 s9, v9, v26
	v_lshl_add_u32 v14, v14, 2, v11
	v_cmp_ge_u32_e64 s11, v5, v27
	ds_read_b32 v14, v14
	s_waitcnt lgkmcnt(0)
	v_cndmask_b32_e64 v29, v14, v31, s8
	v_cndmask_b32_e64 v35, v34, v14, s8
	v_cmp_le_i32_e64 s10, v35, v29
	s_and_b32 s9, s9, s10
	s_or_b32 s9, s11, s9
	v_cndmask_b32_e64 v14, v5, v9, s9
	v_cndmask_b32_e64 v15, v27, v26, s9
	;; [unrolled: 1-line block ×3, first 2 shown]
	v_add_nc_u32_e32 v20, 1, v14
	v_add_nc_u32_e32 v15, -1, v15
	v_lshl_add_u32 v14, v14, 3, v10
	v_cndmask_b32_e64 v9, v9, v20, s9
	v_min_u32_e32 v15, v20, v15
	v_cndmask_b32_e64 v5, v20, v5, s9
	v_cmp_lt_u32_e64 s10, v9, v26
	v_lshl_add_u32 v15, v15, 2, v11
	v_cmp_ge_u32_e64 s12, v5, v27
	ds_read_b32 v15, v15
	s_waitcnt lgkmcnt(0)
	v_cndmask_b32_e64 v38, v15, v29, s9
	v_cndmask_b32_e64 v48, v35, v15, s9
	v_cmp_le_i32_e64 s11, v48, v38
	s_and_b32 s10, s10, s11
	s_or_b32 s10, s12, s10
	v_cndmask_b32_e64 v5, v5, v9, s10
	v_cndmask_b32_e64 v38, v38, v48, s10
	v_lshl_add_u32 v20, v5, 3, v10
	ds_read_b64 v[4:5], v4
	ds_read_b64 v[8:9], v8
	;; [unrolled: 1-line block ×4, first 2 shown]
.LBB613_95:
	s_or_b32 exec_lo, exec_lo, s13
	v_and_b32_e32 v28, 0x70, v30
	v_and_b32_e32 v29, 12, v30
	s_mov_b32 s8, exec_lo
	; wave barrier
	v_or_b32_e32 v26, 8, v28
	v_min_u32_e32 v29, v16, v29
	ds_write_b32 v12, v39
	s_waitcnt lgkmcnt(4)
	ds_write_b64 v13, v[4:5]
	ds_write_b32 v19, v37
	s_waitcnt lgkmcnt(5)
	ds_write_b64 v22, v[8:9]
	;; [unrolled: 3-line block ×4, first 2 shown]
	v_min_u32_e32 v26, v16, v26
	; wave barrier
	v_add_nc_u32_e32 v27, 8, v26
	v_sub_nc_u32_e32 v34, v26, v28
	v_min_u32_e32 v27, v16, v27
	v_min_u32_e32 v34, v29, v34
	v_sub_nc_u32_e32 v31, v27, v26
	v_sub_nc_u32_e64 v31, v29, v31 clamp
	v_cmpx_lt_u32_e64 v31, v34
	s_cbranch_execz .LBB613_99
; %bb.96:
	v_lshlrev_b32_e32 v35, 2, v28
	v_lshlrev_b32_e32 v48, 2, v26
	s_mov_b32 s9, 0
	v_add_co_u32 v35, null, v11, v35
	v_add_co_u32 v48, null, v11, v48
	.p2align	6
.LBB613_97:                             ; =>This Inner Loop Header: Depth=1
	v_add_nc_u32_e32 v49, v34, v31
	v_lshrrev_b32_e32 v49, 1, v49
	v_xad_u32 v50, v49, -1, v29
	v_lshl_add_u32 v51, v49, 2, v35
	v_add_nc_u32_e32 v52, 1, v49
	v_lshl_add_u32 v50, v50, 2, v48
	ds_read_b32 v51, v51
	ds_read_b32 v50, v50
	s_waitcnt lgkmcnt(0)
	v_cmp_gt_i32_e64 s7, v51, v50
	v_cndmask_b32_e64 v34, v34, v49, s7
	v_cndmask_b32_e64 v31, v52, v31, s7
	v_cmp_ge_u32_e64 s7, v31, v34
	s_or_b32 s9, s7, s9
	s_andn2_b32 exec_lo, exec_lo, s9
	s_cbranch_execnz .LBB613_97
; %bb.98:
	s_or_b32 exec_lo, exec_lo, s9
.LBB613_99:
	s_or_b32 exec_lo, exec_lo, s8
	v_add_nc_u32_e32 v29, v26, v29
	v_add_nc_u32_e32 v34, v31, v28
	v_sub_nc_u32_e32 v29, v29, v31
	v_cmp_le_u32_e64 s7, v34, v26
	v_cmp_le_u32_e64 s8, v29, v27
	s_or_b32 s7, s7, s8
	s_and_saveexec_b32 s13, s7
	s_cbranch_execz .LBB613_105
; %bb.100:
	v_cmp_lt_u32_e64 s7, v34, v26
                                        ; implicit-def: $vgpr24
	s_and_saveexec_b32 s8, s7
; %bb.101:
	v_lshl_add_u32 v4, v34, 2, v11
	ds_read_b32 v24, v4
; %bb.102:
	s_or_b32 exec_lo, exec_lo, s8
	v_cmp_ge_u32_e64 s8, v29, v27
	s_mov_b32 s10, exec_lo
                                        ; implicit-def: $vgpr28
	v_cmpx_lt_u32_e64 v29, v27
; %bb.103:
	v_lshl_add_u32 v4, v29, 2, v11
	ds_read_b32 v28, v4
; %bb.104:
	s_or_b32 exec_lo, exec_lo, s10
	s_waitcnt lgkmcnt(0)
	v_cmp_le_i32_e64 s9, v24, v28
	s_and_b32 s7, s7, s9
	s_or_b32 s7, s8, s7
	v_cndmask_b32_e64 v4, v29, v34, s7
	v_cndmask_b32_e64 v5, v27, v26, s7
	;; [unrolled: 1-line block ×3, first 2 shown]
	v_add_nc_u32_e32 v8, 1, v4
	v_add_nc_u32_e32 v5, -1, v5
	v_lshl_add_u32 v4, v4, 3, v10
	v_cndmask_b32_e64 v9, v34, v8, s7
	v_min_u32_e32 v5, v8, v5
	v_cmp_lt_u32_e64 s8, v9, v26
	v_lshl_add_u32 v5, v5, 2, v11
	ds_read_b32 v5, v5
	s_waitcnt lgkmcnt(0)
	v_cndmask_b32_e64 v31, v5, v28, s7
	v_cndmask_b32_e64 v34, v24, v5, s7
	;; [unrolled: 1-line block ×3, first 2 shown]
	v_cmp_le_i32_e64 s9, v34, v31
	v_cmp_ge_u32_e64 s10, v5, v27
	s_and_b32 s8, s8, s9
	s_or_b32 s8, s10, s8
	v_cndmask_b32_e64 v8, v5, v9, s8
	v_cndmask_b32_e64 v14, v27, v26, s8
	;; [unrolled: 1-line block ×3, first 2 shown]
	v_add_nc_u32_e32 v15, 1, v8
	v_add_nc_u32_e32 v14, -1, v14
	v_lshl_add_u32 v8, v8, 3, v10
	v_cndmask_b32_e64 v9, v9, v15, s8
	v_min_u32_e32 v14, v15, v14
	v_cndmask_b32_e64 v5, v15, v5, s8
	v_cmp_lt_u32_e64 s9, v9, v26
	v_lshl_add_u32 v14, v14, 2, v11
	v_cmp_ge_u32_e64 s11, v5, v27
	ds_read_b32 v14, v14
	s_waitcnt lgkmcnt(0)
	v_cndmask_b32_e64 v29, v14, v31, s8
	v_cndmask_b32_e64 v35, v34, v14, s8
	v_cmp_le_i32_e64 s10, v35, v29
	s_and_b32 s9, s9, s10
	s_or_b32 s9, s11, s9
	v_cndmask_b32_e64 v14, v5, v9, s9
	v_cndmask_b32_e64 v15, v27, v26, s9
	;; [unrolled: 1-line block ×3, first 2 shown]
	v_add_nc_u32_e32 v20, 1, v14
	v_add_nc_u32_e32 v15, -1, v15
	v_lshl_add_u32 v14, v14, 3, v10
	v_cndmask_b32_e64 v9, v9, v20, s9
	v_min_u32_e32 v15, v20, v15
	v_cndmask_b32_e64 v5, v20, v5, s9
	v_cmp_lt_u32_e64 s10, v9, v26
	v_lshl_add_u32 v15, v15, 2, v11
	v_cmp_ge_u32_e64 s12, v5, v27
	ds_read_b32 v15, v15
	s_waitcnt lgkmcnt(0)
	v_cndmask_b32_e64 v38, v15, v29, s9
	v_cndmask_b32_e64 v48, v35, v15, s9
	v_cmp_le_i32_e64 s11, v48, v38
	s_and_b32 s10, s10, s11
	s_or_b32 s10, s12, s10
	v_cndmask_b32_e64 v5, v5, v9, s10
	v_cndmask_b32_e64 v38, v38, v48, s10
	v_lshl_add_u32 v20, v5, 3, v10
	ds_read_b64 v[4:5], v4
	ds_read_b64 v[8:9], v8
	;; [unrolled: 1-line block ×4, first 2 shown]
.LBB613_105:
	s_or_b32 exec_lo, exec_lo, s13
	v_and_b32_e32 v28, 0x60, v30
	v_and_b32_e32 v29, 28, v30
	s_mov_b32 s8, exec_lo
	; wave barrier
	v_or_b32_e32 v26, 16, v28
	v_min_u32_e32 v29, v16, v29
	ds_write_b32 v12, v39
	s_waitcnt lgkmcnt(4)
	ds_write_b64 v13, v[4:5]
	ds_write_b32 v19, v37
	s_waitcnt lgkmcnt(5)
	ds_write_b64 v22, v[8:9]
	;; [unrolled: 3-line block ×4, first 2 shown]
	v_min_u32_e32 v26, v16, v26
	; wave barrier
	v_add_nc_u32_e32 v27, 16, v26
	v_sub_nc_u32_e32 v34, v26, v28
	v_min_u32_e32 v27, v16, v27
	v_min_u32_e32 v34, v29, v34
	v_sub_nc_u32_e32 v31, v27, v26
	v_sub_nc_u32_e64 v31, v29, v31 clamp
	v_cmpx_lt_u32_e64 v31, v34
	s_cbranch_execz .LBB613_109
; %bb.106:
	v_lshlrev_b32_e32 v35, 2, v28
	v_lshlrev_b32_e32 v48, 2, v26
	s_mov_b32 s9, 0
	v_add_co_u32 v35, null, v11, v35
	v_add_co_u32 v48, null, v11, v48
	.p2align	6
.LBB613_107:                            ; =>This Inner Loop Header: Depth=1
	v_add_nc_u32_e32 v49, v34, v31
	v_lshrrev_b32_e32 v49, 1, v49
	v_xad_u32 v50, v49, -1, v29
	v_lshl_add_u32 v51, v49, 2, v35
	v_add_nc_u32_e32 v52, 1, v49
	v_lshl_add_u32 v50, v50, 2, v48
	ds_read_b32 v51, v51
	ds_read_b32 v50, v50
	s_waitcnt lgkmcnt(0)
	v_cmp_gt_i32_e64 s7, v51, v50
	v_cndmask_b32_e64 v34, v34, v49, s7
	v_cndmask_b32_e64 v31, v52, v31, s7
	v_cmp_ge_u32_e64 s7, v31, v34
	s_or_b32 s9, s7, s9
	s_andn2_b32 exec_lo, exec_lo, s9
	s_cbranch_execnz .LBB613_107
; %bb.108:
	s_or_b32 exec_lo, exec_lo, s9
.LBB613_109:
	s_or_b32 exec_lo, exec_lo, s8
	v_add_nc_u32_e32 v29, v26, v29
	v_add_nc_u32_e32 v34, v31, v28
	v_sub_nc_u32_e32 v29, v29, v31
	v_cmp_le_u32_e64 s7, v34, v26
	v_cmp_le_u32_e64 s8, v29, v27
	s_or_b32 s7, s7, s8
	s_and_saveexec_b32 s13, s7
	s_cbranch_execz .LBB613_115
; %bb.110:
	v_cmp_lt_u32_e64 s7, v34, v26
                                        ; implicit-def: $vgpr24
	s_and_saveexec_b32 s8, s7
; %bb.111:
	v_lshl_add_u32 v4, v34, 2, v11
	ds_read_b32 v24, v4
; %bb.112:
	s_or_b32 exec_lo, exec_lo, s8
	v_cmp_ge_u32_e64 s8, v29, v27
	s_mov_b32 s10, exec_lo
                                        ; implicit-def: $vgpr28
	v_cmpx_lt_u32_e64 v29, v27
; %bb.113:
	v_lshl_add_u32 v4, v29, 2, v11
	ds_read_b32 v28, v4
; %bb.114:
	s_or_b32 exec_lo, exec_lo, s10
	s_waitcnt lgkmcnt(0)
	v_cmp_le_i32_e64 s9, v24, v28
	s_and_b32 s7, s7, s9
	s_or_b32 s7, s8, s7
	v_cndmask_b32_e64 v4, v29, v34, s7
	v_cndmask_b32_e64 v5, v27, v26, s7
	;; [unrolled: 1-line block ×3, first 2 shown]
	v_add_nc_u32_e32 v8, 1, v4
	v_add_nc_u32_e32 v5, -1, v5
	v_lshl_add_u32 v4, v4, 3, v10
	v_cndmask_b32_e64 v9, v34, v8, s7
	v_min_u32_e32 v5, v8, v5
	v_cmp_lt_u32_e64 s8, v9, v26
	v_lshl_add_u32 v5, v5, 2, v11
	ds_read_b32 v5, v5
	s_waitcnt lgkmcnt(0)
	v_cndmask_b32_e64 v31, v5, v28, s7
	v_cndmask_b32_e64 v34, v24, v5, s7
	;; [unrolled: 1-line block ×3, first 2 shown]
	v_cmp_le_i32_e64 s9, v34, v31
	v_cmp_ge_u32_e64 s10, v5, v27
	s_and_b32 s8, s8, s9
	s_or_b32 s8, s10, s8
	v_cndmask_b32_e64 v8, v5, v9, s8
	v_cndmask_b32_e64 v14, v27, v26, s8
	;; [unrolled: 1-line block ×3, first 2 shown]
	v_add_nc_u32_e32 v15, 1, v8
	v_add_nc_u32_e32 v14, -1, v14
	v_lshl_add_u32 v8, v8, 3, v10
	v_cndmask_b32_e64 v9, v9, v15, s8
	v_min_u32_e32 v14, v15, v14
	v_cndmask_b32_e64 v5, v15, v5, s8
	v_cmp_lt_u32_e64 s9, v9, v26
	v_lshl_add_u32 v14, v14, 2, v11
	v_cmp_ge_u32_e64 s11, v5, v27
	ds_read_b32 v14, v14
	s_waitcnt lgkmcnt(0)
	v_cndmask_b32_e64 v29, v14, v31, s8
	v_cndmask_b32_e64 v35, v34, v14, s8
	v_cmp_le_i32_e64 s10, v35, v29
	s_and_b32 s9, s9, s10
	s_or_b32 s9, s11, s9
	v_cndmask_b32_e64 v14, v5, v9, s9
	v_cndmask_b32_e64 v15, v27, v26, s9
	v_cndmask_b32_e64 v24, v29, v35, s9
	v_add_nc_u32_e32 v20, 1, v14
	v_add_nc_u32_e32 v15, -1, v15
	v_lshl_add_u32 v14, v14, 3, v10
	v_cndmask_b32_e64 v9, v9, v20, s9
	v_min_u32_e32 v15, v20, v15
	v_cndmask_b32_e64 v5, v20, v5, s9
	v_cmp_lt_u32_e64 s10, v9, v26
	v_lshl_add_u32 v15, v15, 2, v11
	v_cmp_ge_u32_e64 s12, v5, v27
	ds_read_b32 v15, v15
	s_waitcnt lgkmcnt(0)
	v_cndmask_b32_e64 v38, v15, v29, s9
	v_cndmask_b32_e64 v48, v35, v15, s9
	v_cmp_le_i32_e64 s11, v48, v38
	s_and_b32 s10, s10, s11
	s_or_b32 s10, s12, s10
	v_cndmask_b32_e64 v5, v5, v9, s10
	v_cndmask_b32_e64 v38, v38, v48, s10
	v_lshl_add_u32 v20, v5, 3, v10
	ds_read_b64 v[4:5], v4
	ds_read_b64 v[8:9], v8
	;; [unrolled: 1-line block ×4, first 2 shown]
.LBB613_115:
	s_or_b32 exec_lo, exec_lo, s13
	v_and_b32_e32 v28, 64, v30
	v_and_b32_e32 v29, 60, v30
	s_mov_b32 s8, exec_lo
	; wave barrier
	v_or_b32_e32 v26, 32, v28
	v_min_u32_e32 v29, v16, v29
	ds_write_b32 v12, v39
	s_waitcnt lgkmcnt(4)
	ds_write_b64 v13, v[4:5]
	ds_write_b32 v19, v37
	s_waitcnt lgkmcnt(5)
	ds_write_b64 v22, v[8:9]
	;; [unrolled: 3-line block ×4, first 2 shown]
	v_min_u32_e32 v26, v16, v26
	; wave barrier
	v_add_nc_u32_e32 v27, 32, v26
	v_sub_nc_u32_e32 v34, v26, v28
	v_min_u32_e32 v27, v16, v27
	v_min_u32_e32 v34, v29, v34
	v_sub_nc_u32_e32 v31, v27, v26
	v_sub_nc_u32_e64 v31, v29, v31 clamp
	v_cmpx_lt_u32_e64 v31, v34
	s_cbranch_execz .LBB613_119
; %bb.116:
	v_lshlrev_b32_e32 v35, 2, v28
	v_lshlrev_b32_e32 v48, 2, v26
	s_mov_b32 s9, 0
	v_add_co_u32 v35, null, v11, v35
	v_add_co_u32 v48, null, v11, v48
	.p2align	6
.LBB613_117:                            ; =>This Inner Loop Header: Depth=1
	v_add_nc_u32_e32 v49, v34, v31
	v_lshrrev_b32_e32 v49, 1, v49
	v_xad_u32 v50, v49, -1, v29
	v_lshl_add_u32 v51, v49, 2, v35
	v_add_nc_u32_e32 v52, 1, v49
	v_lshl_add_u32 v50, v50, 2, v48
	ds_read_b32 v51, v51
	ds_read_b32 v50, v50
	s_waitcnt lgkmcnt(0)
	v_cmp_gt_i32_e64 s7, v51, v50
	v_cndmask_b32_e64 v34, v34, v49, s7
	v_cndmask_b32_e64 v31, v52, v31, s7
	v_cmp_ge_u32_e64 s7, v31, v34
	s_or_b32 s9, s7, s9
	s_andn2_b32 exec_lo, exec_lo, s9
	s_cbranch_execnz .LBB613_117
; %bb.118:
	s_or_b32 exec_lo, exec_lo, s9
.LBB613_119:
	s_or_b32 exec_lo, exec_lo, s8
	v_add_nc_u32_e32 v29, v26, v29
	v_add_nc_u32_e32 v34, v31, v28
	v_sub_nc_u32_e32 v29, v29, v31
	v_cmp_le_u32_e64 s7, v34, v26
	v_cmp_le_u32_e64 s8, v29, v27
	s_or_b32 s7, s7, s8
	s_and_saveexec_b32 s13, s7
	s_cbranch_execz .LBB613_125
; %bb.120:
	v_cmp_lt_u32_e64 s7, v34, v26
                                        ; implicit-def: $vgpr24
	s_and_saveexec_b32 s8, s7
; %bb.121:
	v_lshl_add_u32 v4, v34, 2, v11
	ds_read_b32 v24, v4
; %bb.122:
	s_or_b32 exec_lo, exec_lo, s8
	v_cmp_ge_u32_e64 s8, v29, v27
	s_mov_b32 s10, exec_lo
                                        ; implicit-def: $vgpr28
	v_cmpx_lt_u32_e64 v29, v27
; %bb.123:
	v_lshl_add_u32 v4, v29, 2, v11
	ds_read_b32 v28, v4
; %bb.124:
	s_or_b32 exec_lo, exec_lo, s10
	s_waitcnt lgkmcnt(0)
	v_cmp_le_i32_e64 s9, v24, v28
	s_and_b32 s7, s7, s9
	s_or_b32 s7, s8, s7
	v_cndmask_b32_e64 v4, v29, v34, s7
	v_cndmask_b32_e64 v5, v27, v26, s7
	;; [unrolled: 1-line block ×3, first 2 shown]
	v_add_nc_u32_e32 v8, 1, v4
	v_add_nc_u32_e32 v5, -1, v5
	v_lshl_add_u32 v4, v4, 3, v10
	v_cndmask_b32_e64 v9, v34, v8, s7
	v_min_u32_e32 v5, v8, v5
	v_cmp_lt_u32_e64 s8, v9, v26
	v_lshl_add_u32 v5, v5, 2, v11
	ds_read_b32 v5, v5
	s_waitcnt lgkmcnt(0)
	v_cndmask_b32_e64 v31, v5, v28, s7
	v_cndmask_b32_e64 v34, v24, v5, s7
	;; [unrolled: 1-line block ×3, first 2 shown]
	v_cmp_le_i32_e64 s9, v34, v31
	v_cmp_ge_u32_e64 s10, v5, v27
	s_and_b32 s8, s8, s9
	s_or_b32 s8, s10, s8
	v_cndmask_b32_e64 v8, v5, v9, s8
	v_cndmask_b32_e64 v14, v27, v26, s8
	;; [unrolled: 1-line block ×3, first 2 shown]
	v_add_nc_u32_e32 v15, 1, v8
	v_add_nc_u32_e32 v14, -1, v14
	v_lshl_add_u32 v8, v8, 3, v10
	v_cndmask_b32_e64 v9, v9, v15, s8
	v_min_u32_e32 v14, v15, v14
	v_cndmask_b32_e64 v5, v15, v5, s8
	v_cmp_lt_u32_e64 s9, v9, v26
	v_lshl_add_u32 v14, v14, 2, v11
	v_cmp_ge_u32_e64 s11, v5, v27
	ds_read_b32 v14, v14
	s_waitcnt lgkmcnt(0)
	v_cndmask_b32_e64 v29, v14, v31, s8
	v_cndmask_b32_e64 v35, v34, v14, s8
	v_cmp_le_i32_e64 s10, v35, v29
	s_and_b32 s9, s9, s10
	s_or_b32 s9, s11, s9
	v_cndmask_b32_e64 v14, v5, v9, s9
	v_cndmask_b32_e64 v15, v27, v26, s9
	;; [unrolled: 1-line block ×3, first 2 shown]
	v_add_nc_u32_e32 v20, 1, v14
	v_add_nc_u32_e32 v15, -1, v15
	v_lshl_add_u32 v14, v14, 3, v10
	v_cndmask_b32_e64 v9, v9, v20, s9
	v_min_u32_e32 v15, v20, v15
	v_cndmask_b32_e64 v5, v20, v5, s9
	v_cmp_lt_u32_e64 s10, v9, v26
	v_lshl_add_u32 v15, v15, 2, v11
	v_cmp_ge_u32_e64 s12, v5, v27
	ds_read_b32 v15, v15
	s_waitcnt lgkmcnt(0)
	v_cndmask_b32_e64 v38, v15, v29, s9
	v_cndmask_b32_e64 v48, v35, v15, s9
	v_cmp_le_i32_e64 s11, v48, v38
	s_and_b32 s10, s10, s11
	s_or_b32 s10, s12, s10
	v_cndmask_b32_e64 v5, v5, v9, s10
	v_cndmask_b32_e64 v38, v38, v48, s10
	v_lshl_add_u32 v20, v5, 3, v10
	ds_read_b64 v[4:5], v4
	ds_read_b64 v[8:9], v8
	;; [unrolled: 1-line block ×4, first 2 shown]
.LBB613_125:
	s_or_b32 exec_lo, exec_lo, s13
	v_min_u32_e32 v26, 64, v16
	; wave barrier
	ds_write_b32 v12, v39
	s_waitcnt lgkmcnt(4)
	ds_write_b64 v13, v[4:5]
	s_mov_b32 s8, exec_lo
	v_add_nc_u32_e32 v27, 64, v26
	ds_write_b32 v19, v37
	s_waitcnt lgkmcnt(5)
	ds_write_b64 v22, v[8:9]
	ds_write_b32 v23, v24
	s_waitcnt lgkmcnt(6)
	ds_write_b64 v25, v[14:15]
	;; [unrolled: 3-line block ×3, first 2 shown]
	; wave barrier
	v_min_u32_e32 v27, v16, v27
	v_min_u32_e32 v16, v16, v30
	v_sub_nc_u32_e32 v28, v27, v26
	v_min_u32_e32 v13, v16, v26
	v_sub_nc_u32_e64 v12, v16, v28 clamp
	v_cmpx_lt_u32_e64 v12, v13
	s_cbranch_execz .LBB613_129
; %bb.126:
	v_lshlrev_b32_e32 v17, 2, v26
	s_mov_b32 s9, 0
	v_add_co_u32 v17, null, v11, v17
	.p2align	6
.LBB613_127:                            ; =>This Inner Loop Header: Depth=1
	v_add_nc_u32_e32 v18, v13, v12
	v_lshrrev_b32_e32 v18, 1, v18
	v_xad_u32 v19, v18, -1, v16
	v_lshl_add_u32 v22, v18, 2, v11
	v_add_nc_u32_e32 v23, 1, v18
	v_lshl_add_u32 v19, v19, 2, v17
	ds_read_b32 v22, v22
	ds_read_b32 v19, v19
	s_waitcnt lgkmcnt(0)
	v_cmp_gt_i32_e64 s7, v22, v19
	v_cndmask_b32_e64 v13, v13, v18, s7
	v_cndmask_b32_e64 v12, v23, v12, s7
	v_cmp_ge_u32_e64 s7, v12, v13
	s_or_b32 s9, s7, s9
	s_andn2_b32 exec_lo, exec_lo, s9
	s_cbranch_execnz .LBB613_127
; %bb.128:
	s_or_b32 exec_lo, exec_lo, s9
.LBB613_129:
	s_or_b32 exec_lo, exec_lo, s8
	v_add_nc_u32_e32 v13, v26, v16
	v_cmp_le_u32_e64 s7, v12, v26
	v_sub_nc_u32_e32 v17, v13, v12
	v_cmp_le_u32_e64 s8, v17, v27
	s_or_b32 s7, s7, s8
	s_and_saveexec_b32 s13, s7
	s_cbranch_execz .LBB613_135
; %bb.130:
	v_cmp_lt_u32_e64 s7, v12, v26
                                        ; implicit-def: $vgpr13
	s_and_saveexec_b32 s8, s7
; %bb.131:
	v_lshl_add_u32 v4, v12, 2, v11
	ds_read_b32 v13, v4
; %bb.132:
	s_or_b32 exec_lo, exec_lo, s8
	v_cmp_ge_u32_e64 s8, v17, v27
	s_mov_b32 s10, exec_lo
                                        ; implicit-def: $vgpr16
	v_cmpx_lt_u32_e64 v17, v27
; %bb.133:
	v_lshl_add_u32 v4, v17, 2, v11
	ds_read_b32 v16, v4
; %bb.134:
	s_or_b32 exec_lo, exec_lo, s10
	s_waitcnt lgkmcnt(0)
	v_cmp_le_i32_e64 s9, v13, v16
	s_and_b32 s7, s7, s9
	s_or_b32 s7, s8, s7
	v_cndmask_b32_e64 v4, v17, v12, s7
	v_cndmask_b32_e64 v5, v27, v26, s7
	;; [unrolled: 1-line block ×3, first 2 shown]
	v_add_nc_u32_e32 v8, 1, v4
	v_add_nc_u32_e32 v5, -1, v5
	v_lshl_add_u32 v4, v4, 3, v10
	v_cndmask_b32_e64 v9, v12, v8, s7
	v_min_u32_e32 v5, v8, v5
	v_cmp_lt_u32_e64 s8, v9, v26
	v_lshl_add_u32 v5, v5, 2, v11
	ds_read_b32 v5, v5
	s_waitcnt lgkmcnt(0)
	v_cndmask_b32_e64 v12, v5, v16, s7
	v_cndmask_b32_e64 v18, v13, v5, s7
	;; [unrolled: 1-line block ×3, first 2 shown]
	v_cmp_le_i32_e64 s9, v18, v12
	v_cmp_ge_u32_e64 s10, v5, v27
	s_and_b32 s8, s8, s9
	s_or_b32 s8, s10, s8
	v_cndmask_b32_e64 v8, v5, v9, s8
	v_cndmask_b32_e64 v14, v27, v26, s8
	;; [unrolled: 1-line block ×3, first 2 shown]
	v_add_nc_u32_e32 v15, 1, v8
	v_add_nc_u32_e32 v14, -1, v14
	v_lshl_add_u32 v8, v8, 3, v10
	v_cndmask_b32_e64 v9, v9, v15, s8
	v_min_u32_e32 v14, v15, v14
	v_cndmask_b32_e64 v5, v15, v5, s8
	v_cmp_lt_u32_e64 s9, v9, v26
	v_lshl_add_u32 v14, v14, 2, v11
	v_cmp_ge_u32_e64 s11, v5, v27
	ds_read_b32 v14, v14
	s_waitcnt lgkmcnt(0)
	v_cndmask_b32_e64 v17, v14, v12, s8
	v_cndmask_b32_e64 v19, v18, v14, s8
	v_cmp_le_i32_e64 s10, v19, v17
	s_and_b32 s9, s9, s10
	s_or_b32 s9, s11, s9
	v_cndmask_b32_e64 v14, v5, v9, s9
	v_cndmask_b32_e64 v15, v27, v26, s9
	;; [unrolled: 1-line block ×3, first 2 shown]
	v_add_nc_u32_e32 v20, 1, v14
	v_add_nc_u32_e32 v15, -1, v15
	v_lshl_add_u32 v14, v14, 3, v10
	v_cndmask_b32_e64 v9, v9, v20, s9
	v_min_u32_e32 v15, v20, v15
	v_cndmask_b32_e64 v5, v20, v5, s9
	v_cmp_lt_u32_e64 s10, v9, v26
	v_lshl_add_u32 v11, v15, 2, v11
	v_cmp_ge_u32_e64 s12, v5, v27
	ds_read_b32 v11, v11
	s_waitcnt lgkmcnt(0)
	v_cndmask_b32_e64 v22, v11, v17, s9
	v_cndmask_b32_e64 v11, v19, v11, s9
	v_cmp_le_i32_e64 s11, v11, v22
	s_and_b32 s10, s10, s11
	s_or_b32 s10, s12, s10
	v_cndmask_b32_e64 v5, v5, v9, s10
	v_cndmask_b32_e64 v38, v22, v11, s10
	v_lshl_add_u32 v10, v5, 3, v10
	ds_read_b64 v[4:5], v4
	ds_read_b64 v[8:9], v8
	;; [unrolled: 1-line block ×4, first 2 shown]
.LBB613_135:
	s_or_b32 exec_lo, exec_lo, s13
	; wave barrier
	s_waitcnt lgkmcnt(0)
	s_waitcnt_vscnt null, 0x0
	s_barrier
.LBB613_136:
	s_or_b32 exec_lo, exec_lo, s14
	v_lshlrev_b32_e32 v10, 2, v30
	v_add_co_u32 v2, s7, v2, v32
	v_add_co_ci_u32_e64 v3, null, v3, v33, s7
	s_waitcnt vmcnt(0) lgkmcnt(0)
	s_waitcnt_vscnt null, 0x0
	buffer_gl0_inv
	v_add_co_u32 v2, s7, v2, v10
	v_add_co_ci_u32_e64 v3, null, 0, v3, s7
	; wave barrier
	s_and_saveexec_b32 s7, vcc_lo
	s_cbranch_execnz .LBB613_146
; %bb.137:
	s_or_b32 exec_lo, exec_lo, s7
	s_and_saveexec_b32 s7, s4
	s_cbranch_execnz .LBB613_147
.LBB613_138:
	s_or_b32 exec_lo, exec_lo, s7
	s_and_saveexec_b32 s7, s5
	s_cbranch_execnz .LBB613_148
.LBB613_139:
	s_or_b32 exec_lo, exec_lo, s7
	s_and_saveexec_b32 s7, s6
	s_cbranch_execz .LBB613_141
.LBB613_140:
	flat_store_dword v[2:3], v38 offset:12
.LBB613_141:
	s_or_b32 exec_lo, exec_lo, s7
	v_add_co_u32 v0, s7, v6, v0
	v_add_co_ci_u32_e64 v1, null, v7, v1, s7
	v_add_co_u32 v0, s7, v0, v36
	v_add_co_ci_u32_e64 v1, null, 0, v1, s7
	; wave barrier
	s_and_saveexec_b32 s7, vcc_lo
	s_cbranch_execnz .LBB613_149
; %bb.142:
	s_or_b32 exec_lo, exec_lo, s7
	s_and_saveexec_b32 s7, s4
	s_cbranch_execnz .LBB613_150
.LBB613_143:
	s_or_b32 exec_lo, exec_lo, s7
	s_and_saveexec_b32 s4, s5
	s_cbranch_execnz .LBB613_151
.LBB613_144:
	s_or_b32 exec_lo, exec_lo, s4
	s_and_saveexec_b32 s4, s6
	s_cbranch_execnz .LBB613_152
.LBB613_145:
	s_or_b32 exec_lo, exec_lo, s4
	s_waitcnt lgkmcnt(0)
	s_setpc_b64 s[30:31]
.LBB613_146:
	flat_store_dword v[2:3], v39
	s_or_b32 exec_lo, exec_lo, s7
	s_and_saveexec_b32 s7, s4
	s_cbranch_execz .LBB613_138
.LBB613_147:
	flat_store_dword v[2:3], v37 offset:4
	s_or_b32 exec_lo, exec_lo, s7
	s_and_saveexec_b32 s7, s5
	s_cbranch_execz .LBB613_139
.LBB613_148:
	flat_store_dword v[2:3], v24 offset:8
	s_or_b32 exec_lo, exec_lo, s7
	s_and_saveexec_b32 s7, s6
	s_cbranch_execnz .LBB613_140
	s_branch .LBB613_141
.LBB613_149:
	flat_store_dwordx2 v[0:1], v[4:5]
	s_or_b32 exec_lo, exec_lo, s7
	s_and_saveexec_b32 s7, s4
	s_cbranch_execz .LBB613_143
.LBB613_150:
	flat_store_dwordx2 v[0:1], v[8:9] offset:8
	s_or_b32 exec_lo, exec_lo, s7
	s_and_saveexec_b32 s4, s5
	s_cbranch_execz .LBB613_144
.LBB613_151:
	flat_store_dwordx2 v[0:1], v[14:15] offset:16
	s_or_b32 exec_lo, exec_lo, s4
	s_and_saveexec_b32 s4, s6
	s_cbranch_execz .LBB613_145
.LBB613_152:
	flat_store_dwordx2 v[0:1], v[20:21] offset:24
	s_or_b32 exec_lo, exec_lo, s4
	s_waitcnt lgkmcnt(0)
	s_setpc_b64 s[30:31]
.Lfunc_end613:
	.size	_ZN7rocprim17ROCPRIM_400000_NS6detail26segmented_warp_sort_helperINS1_20WarpSortHelperConfigILj32ELj4ELj256EEEilLi256ELb0EvE4sortIPKiPiPKlPlEEvT_T0_T1_T2_jjjjRNS5_12storage_typeE, .Lfunc_end613-_ZN7rocprim17ROCPRIM_400000_NS6detail26segmented_warp_sort_helperINS1_20WarpSortHelperConfigILj32ELj4ELj256EEEilLi256ELb0EvE4sortIPKiPiPKlPlEEvT_T0_T1_T2_jjjjRNS5_12storage_typeE
                                        ; -- End function
	.set .L_ZN7rocprim17ROCPRIM_400000_NS6detail26segmented_warp_sort_helperINS1_20WarpSortHelperConfigILj32ELj4ELj256EEEilLi256ELb0EvE4sortIPKiPiPKlPlEEvT_T0_T1_T2_jjjjRNS5_12storage_typeE.num_vgpr, 54
	.set .L_ZN7rocprim17ROCPRIM_400000_NS6detail26segmented_warp_sort_helperINS1_20WarpSortHelperConfigILj32ELj4ELj256EEEilLi256ELb0EvE4sortIPKiPiPKlPlEEvT_T0_T1_T2_jjjjRNS5_12storage_typeE.num_agpr, 0
	.set .L_ZN7rocprim17ROCPRIM_400000_NS6detail26segmented_warp_sort_helperINS1_20WarpSortHelperConfigILj32ELj4ELj256EEEilLi256ELb0EvE4sortIPKiPiPKlPlEEvT_T0_T1_T2_jjjjRNS5_12storage_typeE.numbered_sgpr, 32
	.set .L_ZN7rocprim17ROCPRIM_400000_NS6detail26segmented_warp_sort_helperINS1_20WarpSortHelperConfigILj32ELj4ELj256EEEilLi256ELb0EvE4sortIPKiPiPKlPlEEvT_T0_T1_T2_jjjjRNS5_12storage_typeE.num_named_barrier, 0
	.set .L_ZN7rocprim17ROCPRIM_400000_NS6detail26segmented_warp_sort_helperINS1_20WarpSortHelperConfigILj32ELj4ELj256EEEilLi256ELb0EvE4sortIPKiPiPKlPlEEvT_T0_T1_T2_jjjjRNS5_12storage_typeE.private_seg_size, 0
	.set .L_ZN7rocprim17ROCPRIM_400000_NS6detail26segmented_warp_sort_helperINS1_20WarpSortHelperConfigILj32ELj4ELj256EEEilLi256ELb0EvE4sortIPKiPiPKlPlEEvT_T0_T1_T2_jjjjRNS5_12storage_typeE.uses_vcc, 1
	.set .L_ZN7rocprim17ROCPRIM_400000_NS6detail26segmented_warp_sort_helperINS1_20WarpSortHelperConfigILj32ELj4ELj256EEEilLi256ELb0EvE4sortIPKiPiPKlPlEEvT_T0_T1_T2_jjjjRNS5_12storage_typeE.uses_flat_scratch, 0
	.set .L_ZN7rocprim17ROCPRIM_400000_NS6detail26segmented_warp_sort_helperINS1_20WarpSortHelperConfigILj32ELj4ELj256EEEilLi256ELb0EvE4sortIPKiPiPKlPlEEvT_T0_T1_T2_jjjjRNS5_12storage_typeE.has_dyn_sized_stack, 0
	.set .L_ZN7rocprim17ROCPRIM_400000_NS6detail26segmented_warp_sort_helperINS1_20WarpSortHelperConfigILj32ELj4ELj256EEEilLi256ELb0EvE4sortIPKiPiPKlPlEEvT_T0_T1_T2_jjjjRNS5_12storage_typeE.has_recursion, 0
	.set .L_ZN7rocprim17ROCPRIM_400000_NS6detail26segmented_warp_sort_helperINS1_20WarpSortHelperConfigILj32ELj4ELj256EEEilLi256ELb0EvE4sortIPKiPiPKlPlEEvT_T0_T1_T2_jjjjRNS5_12storage_typeE.has_indirect_call, 0
	.section	.AMDGPU.csdata,"",@progbits
; Function info:
; codeLenInByte = 11084
; TotalNumSgprs: 34
; NumVgprs: 54
; ScratchSize: 0
; MemoryBound: 1
	.section	.text._ZN7rocprim17ROCPRIM_400000_NS6detail17trampoline_kernelINS0_14default_configENS1_36segmented_radix_sort_config_selectorIilEEZNS1_25segmented_radix_sort_implIS3_Lb0EPKiPiPKlPlN2at6native12_GLOBAL__N_18offset_tEEE10hipError_tPvRmT1_PNSt15iterator_traitsISK_E10value_typeET2_T3_PNSL_ISQ_E10value_typeET4_jRbjT5_SW_jjP12ihipStream_tbEUlT_E0_NS1_11comp_targetILNS1_3genE8ELNS1_11target_archE1030ELNS1_3gpuE2ELNS1_3repE0EEENS1_60segmented_radix_sort_warp_sort_medium_config_static_selectorELNS0_4arch9wavefront6targetE0EEEvSK_,"axG",@progbits,_ZN7rocprim17ROCPRIM_400000_NS6detail17trampoline_kernelINS0_14default_configENS1_36segmented_radix_sort_config_selectorIilEEZNS1_25segmented_radix_sort_implIS3_Lb0EPKiPiPKlPlN2at6native12_GLOBAL__N_18offset_tEEE10hipError_tPvRmT1_PNSt15iterator_traitsISK_E10value_typeET2_T3_PNSL_ISQ_E10value_typeET4_jRbjT5_SW_jjP12ihipStream_tbEUlT_E0_NS1_11comp_targetILNS1_3genE8ELNS1_11target_archE1030ELNS1_3gpuE2ELNS1_3repE0EEENS1_60segmented_radix_sort_warp_sort_medium_config_static_selectorELNS0_4arch9wavefront6targetE0EEEvSK_,comdat
	.globl	_ZN7rocprim17ROCPRIM_400000_NS6detail17trampoline_kernelINS0_14default_configENS1_36segmented_radix_sort_config_selectorIilEEZNS1_25segmented_radix_sort_implIS3_Lb0EPKiPiPKlPlN2at6native12_GLOBAL__N_18offset_tEEE10hipError_tPvRmT1_PNSt15iterator_traitsISK_E10value_typeET2_T3_PNSL_ISQ_E10value_typeET4_jRbjT5_SW_jjP12ihipStream_tbEUlT_E0_NS1_11comp_targetILNS1_3genE8ELNS1_11target_archE1030ELNS1_3gpuE2ELNS1_3repE0EEENS1_60segmented_radix_sort_warp_sort_medium_config_static_selectorELNS0_4arch9wavefront6targetE0EEEvSK_ ; -- Begin function _ZN7rocprim17ROCPRIM_400000_NS6detail17trampoline_kernelINS0_14default_configENS1_36segmented_radix_sort_config_selectorIilEEZNS1_25segmented_radix_sort_implIS3_Lb0EPKiPiPKlPlN2at6native12_GLOBAL__N_18offset_tEEE10hipError_tPvRmT1_PNSt15iterator_traitsISK_E10value_typeET2_T3_PNSL_ISQ_E10value_typeET4_jRbjT5_SW_jjP12ihipStream_tbEUlT_E0_NS1_11comp_targetILNS1_3genE8ELNS1_11target_archE1030ELNS1_3gpuE2ELNS1_3repE0EEENS1_60segmented_radix_sort_warp_sort_medium_config_static_selectorELNS0_4arch9wavefront6targetE0EEEvSK_
	.p2align	8
	.type	_ZN7rocprim17ROCPRIM_400000_NS6detail17trampoline_kernelINS0_14default_configENS1_36segmented_radix_sort_config_selectorIilEEZNS1_25segmented_radix_sort_implIS3_Lb0EPKiPiPKlPlN2at6native12_GLOBAL__N_18offset_tEEE10hipError_tPvRmT1_PNSt15iterator_traitsISK_E10value_typeET2_T3_PNSL_ISQ_E10value_typeET4_jRbjT5_SW_jjP12ihipStream_tbEUlT_E0_NS1_11comp_targetILNS1_3genE8ELNS1_11target_archE1030ELNS1_3gpuE2ELNS1_3repE0EEENS1_60segmented_radix_sort_warp_sort_medium_config_static_selectorELNS0_4arch9wavefront6targetE0EEEvSK_,@function
_ZN7rocprim17ROCPRIM_400000_NS6detail17trampoline_kernelINS0_14default_configENS1_36segmented_radix_sort_config_selectorIilEEZNS1_25segmented_radix_sort_implIS3_Lb0EPKiPiPKlPlN2at6native12_GLOBAL__N_18offset_tEEE10hipError_tPvRmT1_PNSt15iterator_traitsISK_E10value_typeET2_T3_PNSL_ISQ_E10value_typeET4_jRbjT5_SW_jjP12ihipStream_tbEUlT_E0_NS1_11comp_targetILNS1_3genE8ELNS1_11target_archE1030ELNS1_3gpuE2ELNS1_3repE0EEENS1_60segmented_radix_sort_warp_sort_medium_config_static_selectorELNS0_4arch9wavefront6targetE0EEEvSK_: ; @_ZN7rocprim17ROCPRIM_400000_NS6detail17trampoline_kernelINS0_14default_configENS1_36segmented_radix_sort_config_selectorIilEEZNS1_25segmented_radix_sort_implIS3_Lb0EPKiPiPKlPlN2at6native12_GLOBAL__N_18offset_tEEE10hipError_tPvRmT1_PNSt15iterator_traitsISK_E10value_typeET2_T3_PNSL_ISQ_E10value_typeET4_jRbjT5_SW_jjP12ihipStream_tbEUlT_E0_NS1_11comp_targetILNS1_3genE8ELNS1_11target_archE1030ELNS1_3gpuE2ELNS1_3repE0EEENS1_60segmented_radix_sort_warp_sort_medium_config_static_selectorELNS0_4arch9wavefront6targetE0EEEvSK_
; %bb.0:
	s_add_u32 s0, s0, s8
	s_load_dword s8, s[4:5], 0x64
	s_addc_u32 s1, s1, 0
	s_mov_b32 s32, 0
	s_waitcnt lgkmcnt(0)
	s_lshr_b32 s9, s8, 16
	s_and_b32 s8, s8, 0xffff
	v_mad_u32_u24 v3, v2, s9, v1
	s_load_dword s9, s[4:5], 0x34
	v_mad_u64_u32 v[3:4], null, v3, s8, v[0:1]
	s_mov_b32 s8, exec_lo
	v_lshrrev_b32_e32 v3, 5, v3
	v_lshl_add_u32 v3, s6, 3, v3
	s_waitcnt lgkmcnt(0)
	v_cmpx_gt_u32_e64 s9, v3
	s_cbranch_execz .LBB614_6
; %bb.1:
	s_clause 0x1
	s_load_dwordx2 s[12:13], s[4:5], 0x38
	s_load_dwordx4 s[8:11], s[4:5], 0x40
	v_mov_b32_e32 v4, 0
	v_lshlrev_b64 v[3:4], 2, v[3:4]
	s_waitcnt lgkmcnt(0)
	v_add_co_u32 v3, vcc_lo, s12, v3
	v_add_co_ci_u32_e64 v4, null, s13, v4, vcc_lo
	global_load_dword v3, v[3:4], off
	s_waitcnt vmcnt(0)
	v_add_nc_u32_e32 v4, s9, v3
	v_add_nc_u32_e32 v3, s11, v3
	v_mul_lo_u32 v40, v4, s8
	v_mul_lo_u32 v41, v3, s10
	v_cmp_gt_u32_e32 vcc_lo, v41, v40
	s_and_b32 exec_lo, exec_lo, vcc_lo
	s_cbranch_execz .LBB614_6
; %bb.2:
	s_clause 0x3
	s_load_dword s8, s[4:5], 0x30
	s_load_dwordx4 s[36:39], s[4:5], 0x20
	s_load_dwordx8 s[20:27], s[4:5], 0x0
	s_load_dwordx2 s[28:29], s[4:5], 0x50
	v_lshlrev_b32_e32 v43, 20, v2
	v_lshlrev_b32_e32 v44, 10, v1
	s_waitcnt lgkmcnt(0)
	s_bitcmp0_b32 s8, 0
	s_mov_b32 s8, -1
	s_cbranch_scc0 .LBB614_4
; %bb.3:
	s_mov_b64 s[10:11], src_shared_base
	v_or3_b32 v31, v0, v44, v43
	v_mov_b32_e32 v42, v0
	v_mov_b32_e32 v0, s20
	;; [unrolled: 1-line block ×15, first 2 shown]
	s_add_u32 s8, s4, 0x58
	s_addc_u32 s9, s5, 0
	s_getpc_b64 s[14:15]
	s_add_u32 s14, s14, _ZN7rocprim17ROCPRIM_400000_NS6detail26segmented_warp_sort_helperINS1_20WarpSortHelperConfigILj32ELj4ELj256EEEilLi256ELb0EvE4sortIPKiPiPKlPlEEvT_T0_T1_T2_jjjjRNS5_12storage_typeE@rel32@lo+4
	s_addc_u32 s15, s15, _ZN7rocprim17ROCPRIM_400000_NS6detail26segmented_warp_sort_helperINS1_20WarpSortHelperConfigILj32ELj4ELj256EEEilLi256ELb0EvE4sortIPKiPiPKlPlEEvT_T0_T1_T2_jjjjRNS5_12storage_typeE@rel32@hi+12
	s_mov_b32 s12, s6
	s_mov_b32 s13, s7
	s_mov_b64 s[22:23], s[4:5]
	s_mov_b32 s19, s7
	s_mov_b32 s33, s6
	s_swappc_b64 s[30:31], s[14:15]
	v_mov_b32_e32 v0, v42
	s_mov_b32 s6, s33
	s_mov_b32 s7, s19
	s_mov_b64 s[4:5], s[22:23]
	s_mov_b32 s8, 0
.LBB614_4:
	s_andn2_b32 vcc_lo, exec_lo, s8
	s_cbranch_vccnz .LBB614_6
; %bb.5:
	s_mov_b64 s[10:11], src_shared_base
	v_or3_b32 v31, v0, v44, v43
	v_mov_b32_e32 v0, s20
	v_mov_b32_e32 v1, s21
	;; [unrolled: 1-line block ×14, first 2 shown]
	s_add_u32 s8, s4, 0x58
	s_addc_u32 s9, s5, 0
	s_getpc_b64 s[4:5]
	s_add_u32 s4, s4, _ZN7rocprim17ROCPRIM_400000_NS6detail26segmented_warp_sort_helperINS1_20WarpSortHelperConfigILj32ELj4ELj256EEEilLi256ELb0EvE4sortIPKiPiPKlPlEEvT_T0_T1_T2_jjjjRNS5_12storage_typeE@rel32@lo+4
	s_addc_u32 s5, s5, _ZN7rocprim17ROCPRIM_400000_NS6detail26segmented_warp_sort_helperINS1_20WarpSortHelperConfigILj32ELj4ELj256EEEilLi256ELb0EvE4sortIPKiPiPKlPlEEvT_T0_T1_T2_jjjjRNS5_12storage_typeE@rel32@hi+12
	s_mov_b32 s12, s6
	s_mov_b32 s13, s7
	s_swappc_b64 s[30:31], s[4:5]
.LBB614_6:
	s_endpgm
	.section	.rodata,"a",@progbits
	.p2align	6, 0x0
	.amdhsa_kernel _ZN7rocprim17ROCPRIM_400000_NS6detail17trampoline_kernelINS0_14default_configENS1_36segmented_radix_sort_config_selectorIilEEZNS1_25segmented_radix_sort_implIS3_Lb0EPKiPiPKlPlN2at6native12_GLOBAL__N_18offset_tEEE10hipError_tPvRmT1_PNSt15iterator_traitsISK_E10value_typeET2_T3_PNSL_ISQ_E10value_typeET4_jRbjT5_SW_jjP12ihipStream_tbEUlT_E0_NS1_11comp_targetILNS1_3genE8ELNS1_11target_archE1030ELNS1_3gpuE2ELNS1_3repE0EEENS1_60segmented_radix_sort_warp_sort_medium_config_static_selectorELNS0_4arch9wavefront6targetE0EEEvSK_
		.amdhsa_group_segment_fixed_size 12288
		.amdhsa_private_segment_fixed_size 0
		.amdhsa_kernarg_size 344
		.amdhsa_user_sgpr_count 6
		.amdhsa_user_sgpr_private_segment_buffer 1
		.amdhsa_user_sgpr_dispatch_ptr 0
		.amdhsa_user_sgpr_queue_ptr 0
		.amdhsa_user_sgpr_kernarg_segment_ptr 1
		.amdhsa_user_sgpr_dispatch_id 0
		.amdhsa_user_sgpr_flat_scratch_init 0
		.amdhsa_user_sgpr_private_segment_size 0
		.amdhsa_wavefront_size32 1
		.amdhsa_uses_dynamic_stack 0
		.amdhsa_system_sgpr_private_segment_wavefront_offset 0
		.amdhsa_system_sgpr_workgroup_id_x 1
		.amdhsa_system_sgpr_workgroup_id_y 1
		.amdhsa_system_sgpr_workgroup_id_z 0
		.amdhsa_system_sgpr_workgroup_info 0
		.amdhsa_system_vgpr_workitem_id 2
		.amdhsa_next_free_vgpr 54
		.amdhsa_next_free_sgpr 40
		.amdhsa_reserve_vcc 1
		.amdhsa_reserve_flat_scratch 0
		.amdhsa_float_round_mode_32 0
		.amdhsa_float_round_mode_16_64 0
		.amdhsa_float_denorm_mode_32 3
		.amdhsa_float_denorm_mode_16_64 3
		.amdhsa_dx10_clamp 1
		.amdhsa_ieee_mode 1
		.amdhsa_fp16_overflow 0
		.amdhsa_workgroup_processor_mode 1
		.amdhsa_memory_ordered 1
		.amdhsa_forward_progress 1
		.amdhsa_shared_vgpr_count 0
		.amdhsa_exception_fp_ieee_invalid_op 0
		.amdhsa_exception_fp_denorm_src 0
		.amdhsa_exception_fp_ieee_div_zero 0
		.amdhsa_exception_fp_ieee_overflow 0
		.amdhsa_exception_fp_ieee_underflow 0
		.amdhsa_exception_fp_ieee_inexact 0
		.amdhsa_exception_int_div_zero 0
	.end_amdhsa_kernel
	.section	.text._ZN7rocprim17ROCPRIM_400000_NS6detail17trampoline_kernelINS0_14default_configENS1_36segmented_radix_sort_config_selectorIilEEZNS1_25segmented_radix_sort_implIS3_Lb0EPKiPiPKlPlN2at6native12_GLOBAL__N_18offset_tEEE10hipError_tPvRmT1_PNSt15iterator_traitsISK_E10value_typeET2_T3_PNSL_ISQ_E10value_typeET4_jRbjT5_SW_jjP12ihipStream_tbEUlT_E0_NS1_11comp_targetILNS1_3genE8ELNS1_11target_archE1030ELNS1_3gpuE2ELNS1_3repE0EEENS1_60segmented_radix_sort_warp_sort_medium_config_static_selectorELNS0_4arch9wavefront6targetE0EEEvSK_,"axG",@progbits,_ZN7rocprim17ROCPRIM_400000_NS6detail17trampoline_kernelINS0_14default_configENS1_36segmented_radix_sort_config_selectorIilEEZNS1_25segmented_radix_sort_implIS3_Lb0EPKiPiPKlPlN2at6native12_GLOBAL__N_18offset_tEEE10hipError_tPvRmT1_PNSt15iterator_traitsISK_E10value_typeET2_T3_PNSL_ISQ_E10value_typeET4_jRbjT5_SW_jjP12ihipStream_tbEUlT_E0_NS1_11comp_targetILNS1_3genE8ELNS1_11target_archE1030ELNS1_3gpuE2ELNS1_3repE0EEENS1_60segmented_radix_sort_warp_sort_medium_config_static_selectorELNS0_4arch9wavefront6targetE0EEEvSK_,comdat
.Lfunc_end614:
	.size	_ZN7rocprim17ROCPRIM_400000_NS6detail17trampoline_kernelINS0_14default_configENS1_36segmented_radix_sort_config_selectorIilEEZNS1_25segmented_radix_sort_implIS3_Lb0EPKiPiPKlPlN2at6native12_GLOBAL__N_18offset_tEEE10hipError_tPvRmT1_PNSt15iterator_traitsISK_E10value_typeET2_T3_PNSL_ISQ_E10value_typeET4_jRbjT5_SW_jjP12ihipStream_tbEUlT_E0_NS1_11comp_targetILNS1_3genE8ELNS1_11target_archE1030ELNS1_3gpuE2ELNS1_3repE0EEENS1_60segmented_radix_sort_warp_sort_medium_config_static_selectorELNS0_4arch9wavefront6targetE0EEEvSK_, .Lfunc_end614-_ZN7rocprim17ROCPRIM_400000_NS6detail17trampoline_kernelINS0_14default_configENS1_36segmented_radix_sort_config_selectorIilEEZNS1_25segmented_radix_sort_implIS3_Lb0EPKiPiPKlPlN2at6native12_GLOBAL__N_18offset_tEEE10hipError_tPvRmT1_PNSt15iterator_traitsISK_E10value_typeET2_T3_PNSL_ISQ_E10value_typeET4_jRbjT5_SW_jjP12ihipStream_tbEUlT_E0_NS1_11comp_targetILNS1_3genE8ELNS1_11target_archE1030ELNS1_3gpuE2ELNS1_3repE0EEENS1_60segmented_radix_sort_warp_sort_medium_config_static_selectorELNS0_4arch9wavefront6targetE0EEEvSK_
                                        ; -- End function
	.set _ZN7rocprim17ROCPRIM_400000_NS6detail17trampoline_kernelINS0_14default_configENS1_36segmented_radix_sort_config_selectorIilEEZNS1_25segmented_radix_sort_implIS3_Lb0EPKiPiPKlPlN2at6native12_GLOBAL__N_18offset_tEEE10hipError_tPvRmT1_PNSt15iterator_traitsISK_E10value_typeET2_T3_PNSL_ISQ_E10value_typeET4_jRbjT5_SW_jjP12ihipStream_tbEUlT_E0_NS1_11comp_targetILNS1_3genE8ELNS1_11target_archE1030ELNS1_3gpuE2ELNS1_3repE0EEENS1_60segmented_radix_sort_warp_sort_medium_config_static_selectorELNS0_4arch9wavefront6targetE0EEEvSK_.num_vgpr, max(45, .L_ZN7rocprim17ROCPRIM_400000_NS6detail26segmented_warp_sort_helperINS1_20WarpSortHelperConfigILj32ELj4ELj256EEEilLi256ELb0EvE4sortIPKiPiPKlPlEEvT_T0_T1_T2_jjjjRNS5_12storage_typeE.num_vgpr)
	.set _ZN7rocprim17ROCPRIM_400000_NS6detail17trampoline_kernelINS0_14default_configENS1_36segmented_radix_sort_config_selectorIilEEZNS1_25segmented_radix_sort_implIS3_Lb0EPKiPiPKlPlN2at6native12_GLOBAL__N_18offset_tEEE10hipError_tPvRmT1_PNSt15iterator_traitsISK_E10value_typeET2_T3_PNSL_ISQ_E10value_typeET4_jRbjT5_SW_jjP12ihipStream_tbEUlT_E0_NS1_11comp_targetILNS1_3genE8ELNS1_11target_archE1030ELNS1_3gpuE2ELNS1_3repE0EEENS1_60segmented_radix_sort_warp_sort_medium_config_static_selectorELNS0_4arch9wavefront6targetE0EEEvSK_.num_agpr, max(0, .L_ZN7rocprim17ROCPRIM_400000_NS6detail26segmented_warp_sort_helperINS1_20WarpSortHelperConfigILj32ELj4ELj256EEEilLi256ELb0EvE4sortIPKiPiPKlPlEEvT_T0_T1_T2_jjjjRNS5_12storage_typeE.num_agpr)
	.set _ZN7rocprim17ROCPRIM_400000_NS6detail17trampoline_kernelINS0_14default_configENS1_36segmented_radix_sort_config_selectorIilEEZNS1_25segmented_radix_sort_implIS3_Lb0EPKiPiPKlPlN2at6native12_GLOBAL__N_18offset_tEEE10hipError_tPvRmT1_PNSt15iterator_traitsISK_E10value_typeET2_T3_PNSL_ISQ_E10value_typeET4_jRbjT5_SW_jjP12ihipStream_tbEUlT_E0_NS1_11comp_targetILNS1_3genE8ELNS1_11target_archE1030ELNS1_3gpuE2ELNS1_3repE0EEENS1_60segmented_radix_sort_warp_sort_medium_config_static_selectorELNS0_4arch9wavefront6targetE0EEEvSK_.numbered_sgpr, max(40, .L_ZN7rocprim17ROCPRIM_400000_NS6detail26segmented_warp_sort_helperINS1_20WarpSortHelperConfigILj32ELj4ELj256EEEilLi256ELb0EvE4sortIPKiPiPKlPlEEvT_T0_T1_T2_jjjjRNS5_12storage_typeE.numbered_sgpr)
	.set _ZN7rocprim17ROCPRIM_400000_NS6detail17trampoline_kernelINS0_14default_configENS1_36segmented_radix_sort_config_selectorIilEEZNS1_25segmented_radix_sort_implIS3_Lb0EPKiPiPKlPlN2at6native12_GLOBAL__N_18offset_tEEE10hipError_tPvRmT1_PNSt15iterator_traitsISK_E10value_typeET2_T3_PNSL_ISQ_E10value_typeET4_jRbjT5_SW_jjP12ihipStream_tbEUlT_E0_NS1_11comp_targetILNS1_3genE8ELNS1_11target_archE1030ELNS1_3gpuE2ELNS1_3repE0EEENS1_60segmented_radix_sort_warp_sort_medium_config_static_selectorELNS0_4arch9wavefront6targetE0EEEvSK_.num_named_barrier, max(0, .L_ZN7rocprim17ROCPRIM_400000_NS6detail26segmented_warp_sort_helperINS1_20WarpSortHelperConfigILj32ELj4ELj256EEEilLi256ELb0EvE4sortIPKiPiPKlPlEEvT_T0_T1_T2_jjjjRNS5_12storage_typeE.num_named_barrier)
	.set _ZN7rocprim17ROCPRIM_400000_NS6detail17trampoline_kernelINS0_14default_configENS1_36segmented_radix_sort_config_selectorIilEEZNS1_25segmented_radix_sort_implIS3_Lb0EPKiPiPKlPlN2at6native12_GLOBAL__N_18offset_tEEE10hipError_tPvRmT1_PNSt15iterator_traitsISK_E10value_typeET2_T3_PNSL_ISQ_E10value_typeET4_jRbjT5_SW_jjP12ihipStream_tbEUlT_E0_NS1_11comp_targetILNS1_3genE8ELNS1_11target_archE1030ELNS1_3gpuE2ELNS1_3repE0EEENS1_60segmented_radix_sort_warp_sort_medium_config_static_selectorELNS0_4arch9wavefront6targetE0EEEvSK_.private_seg_size, 0+max(.L_ZN7rocprim17ROCPRIM_400000_NS6detail26segmented_warp_sort_helperINS1_20WarpSortHelperConfigILj32ELj4ELj256EEEilLi256ELb0EvE4sortIPKiPiPKlPlEEvT_T0_T1_T2_jjjjRNS5_12storage_typeE.private_seg_size)
	.set _ZN7rocprim17ROCPRIM_400000_NS6detail17trampoline_kernelINS0_14default_configENS1_36segmented_radix_sort_config_selectorIilEEZNS1_25segmented_radix_sort_implIS3_Lb0EPKiPiPKlPlN2at6native12_GLOBAL__N_18offset_tEEE10hipError_tPvRmT1_PNSt15iterator_traitsISK_E10value_typeET2_T3_PNSL_ISQ_E10value_typeET4_jRbjT5_SW_jjP12ihipStream_tbEUlT_E0_NS1_11comp_targetILNS1_3genE8ELNS1_11target_archE1030ELNS1_3gpuE2ELNS1_3repE0EEENS1_60segmented_radix_sort_warp_sort_medium_config_static_selectorELNS0_4arch9wavefront6targetE0EEEvSK_.uses_vcc, or(1, .L_ZN7rocprim17ROCPRIM_400000_NS6detail26segmented_warp_sort_helperINS1_20WarpSortHelperConfigILj32ELj4ELj256EEEilLi256ELb0EvE4sortIPKiPiPKlPlEEvT_T0_T1_T2_jjjjRNS5_12storage_typeE.uses_vcc)
	.set _ZN7rocprim17ROCPRIM_400000_NS6detail17trampoline_kernelINS0_14default_configENS1_36segmented_radix_sort_config_selectorIilEEZNS1_25segmented_radix_sort_implIS3_Lb0EPKiPiPKlPlN2at6native12_GLOBAL__N_18offset_tEEE10hipError_tPvRmT1_PNSt15iterator_traitsISK_E10value_typeET2_T3_PNSL_ISQ_E10value_typeET4_jRbjT5_SW_jjP12ihipStream_tbEUlT_E0_NS1_11comp_targetILNS1_3genE8ELNS1_11target_archE1030ELNS1_3gpuE2ELNS1_3repE0EEENS1_60segmented_radix_sort_warp_sort_medium_config_static_selectorELNS0_4arch9wavefront6targetE0EEEvSK_.uses_flat_scratch, or(0, .L_ZN7rocprim17ROCPRIM_400000_NS6detail26segmented_warp_sort_helperINS1_20WarpSortHelperConfigILj32ELj4ELj256EEEilLi256ELb0EvE4sortIPKiPiPKlPlEEvT_T0_T1_T2_jjjjRNS5_12storage_typeE.uses_flat_scratch)
	.set _ZN7rocprim17ROCPRIM_400000_NS6detail17trampoline_kernelINS0_14default_configENS1_36segmented_radix_sort_config_selectorIilEEZNS1_25segmented_radix_sort_implIS3_Lb0EPKiPiPKlPlN2at6native12_GLOBAL__N_18offset_tEEE10hipError_tPvRmT1_PNSt15iterator_traitsISK_E10value_typeET2_T3_PNSL_ISQ_E10value_typeET4_jRbjT5_SW_jjP12ihipStream_tbEUlT_E0_NS1_11comp_targetILNS1_3genE8ELNS1_11target_archE1030ELNS1_3gpuE2ELNS1_3repE0EEENS1_60segmented_radix_sort_warp_sort_medium_config_static_selectorELNS0_4arch9wavefront6targetE0EEEvSK_.has_dyn_sized_stack, or(0, .L_ZN7rocprim17ROCPRIM_400000_NS6detail26segmented_warp_sort_helperINS1_20WarpSortHelperConfigILj32ELj4ELj256EEEilLi256ELb0EvE4sortIPKiPiPKlPlEEvT_T0_T1_T2_jjjjRNS5_12storage_typeE.has_dyn_sized_stack)
	.set _ZN7rocprim17ROCPRIM_400000_NS6detail17trampoline_kernelINS0_14default_configENS1_36segmented_radix_sort_config_selectorIilEEZNS1_25segmented_radix_sort_implIS3_Lb0EPKiPiPKlPlN2at6native12_GLOBAL__N_18offset_tEEE10hipError_tPvRmT1_PNSt15iterator_traitsISK_E10value_typeET2_T3_PNSL_ISQ_E10value_typeET4_jRbjT5_SW_jjP12ihipStream_tbEUlT_E0_NS1_11comp_targetILNS1_3genE8ELNS1_11target_archE1030ELNS1_3gpuE2ELNS1_3repE0EEENS1_60segmented_radix_sort_warp_sort_medium_config_static_selectorELNS0_4arch9wavefront6targetE0EEEvSK_.has_recursion, or(0, .L_ZN7rocprim17ROCPRIM_400000_NS6detail26segmented_warp_sort_helperINS1_20WarpSortHelperConfigILj32ELj4ELj256EEEilLi256ELb0EvE4sortIPKiPiPKlPlEEvT_T0_T1_T2_jjjjRNS5_12storage_typeE.has_recursion)
	.set _ZN7rocprim17ROCPRIM_400000_NS6detail17trampoline_kernelINS0_14default_configENS1_36segmented_radix_sort_config_selectorIilEEZNS1_25segmented_radix_sort_implIS3_Lb0EPKiPiPKlPlN2at6native12_GLOBAL__N_18offset_tEEE10hipError_tPvRmT1_PNSt15iterator_traitsISK_E10value_typeET2_T3_PNSL_ISQ_E10value_typeET4_jRbjT5_SW_jjP12ihipStream_tbEUlT_E0_NS1_11comp_targetILNS1_3genE8ELNS1_11target_archE1030ELNS1_3gpuE2ELNS1_3repE0EEENS1_60segmented_radix_sort_warp_sort_medium_config_static_selectorELNS0_4arch9wavefront6targetE0EEEvSK_.has_indirect_call, or(0, .L_ZN7rocprim17ROCPRIM_400000_NS6detail26segmented_warp_sort_helperINS1_20WarpSortHelperConfigILj32ELj4ELj256EEEilLi256ELb0EvE4sortIPKiPiPKlPlEEvT_T0_T1_T2_jjjjRNS5_12storage_typeE.has_indirect_call)
	.section	.AMDGPU.csdata,"",@progbits
; Kernel info:
; codeLenInByte = 524
; TotalNumSgprs: 42
; NumVgprs: 54
; ScratchSize: 0
; MemoryBound: 0
; FloatMode: 240
; IeeeMode: 1
; LDSByteSize: 12288 bytes/workgroup (compile time only)
; SGPRBlocks: 0
; VGPRBlocks: 6
; NumSGPRsForWavesPerEU: 42
; NumVGPRsForWavesPerEU: 54
; Occupancy: 16
; WaveLimiterHint : 0
; COMPUTE_PGM_RSRC2:SCRATCH_EN: 0
; COMPUTE_PGM_RSRC2:USER_SGPR: 6
; COMPUTE_PGM_RSRC2:TRAP_HANDLER: 0
; COMPUTE_PGM_RSRC2:TGID_X_EN: 1
; COMPUTE_PGM_RSRC2:TGID_Y_EN: 1
; COMPUTE_PGM_RSRC2:TGID_Z_EN: 0
; COMPUTE_PGM_RSRC2:TIDIG_COMP_CNT: 2
	.section	.text._ZN7rocprim17ROCPRIM_400000_NS6detail17trampoline_kernelINS0_14default_configENS1_36segmented_radix_sort_config_selectorIilEEZNS1_25segmented_radix_sort_implIS3_Lb0EPKiPiPKlPlN2at6native12_GLOBAL__N_18offset_tEEE10hipError_tPvRmT1_PNSt15iterator_traitsISK_E10value_typeET2_T3_PNSL_ISQ_E10value_typeET4_jRbjT5_SW_jjP12ihipStream_tbEUlT_E1_NS1_11comp_targetILNS1_3genE0ELNS1_11target_archE4294967295ELNS1_3gpuE0ELNS1_3repE0EEENS1_59segmented_radix_sort_warp_sort_small_config_static_selectorELNS0_4arch9wavefront6targetE0EEEvSK_,"axG",@progbits,_ZN7rocprim17ROCPRIM_400000_NS6detail17trampoline_kernelINS0_14default_configENS1_36segmented_radix_sort_config_selectorIilEEZNS1_25segmented_radix_sort_implIS3_Lb0EPKiPiPKlPlN2at6native12_GLOBAL__N_18offset_tEEE10hipError_tPvRmT1_PNSt15iterator_traitsISK_E10value_typeET2_T3_PNSL_ISQ_E10value_typeET4_jRbjT5_SW_jjP12ihipStream_tbEUlT_E1_NS1_11comp_targetILNS1_3genE0ELNS1_11target_archE4294967295ELNS1_3gpuE0ELNS1_3repE0EEENS1_59segmented_radix_sort_warp_sort_small_config_static_selectorELNS0_4arch9wavefront6targetE0EEEvSK_,comdat
	.globl	_ZN7rocprim17ROCPRIM_400000_NS6detail17trampoline_kernelINS0_14default_configENS1_36segmented_radix_sort_config_selectorIilEEZNS1_25segmented_radix_sort_implIS3_Lb0EPKiPiPKlPlN2at6native12_GLOBAL__N_18offset_tEEE10hipError_tPvRmT1_PNSt15iterator_traitsISK_E10value_typeET2_T3_PNSL_ISQ_E10value_typeET4_jRbjT5_SW_jjP12ihipStream_tbEUlT_E1_NS1_11comp_targetILNS1_3genE0ELNS1_11target_archE4294967295ELNS1_3gpuE0ELNS1_3repE0EEENS1_59segmented_radix_sort_warp_sort_small_config_static_selectorELNS0_4arch9wavefront6targetE0EEEvSK_ ; -- Begin function _ZN7rocprim17ROCPRIM_400000_NS6detail17trampoline_kernelINS0_14default_configENS1_36segmented_radix_sort_config_selectorIilEEZNS1_25segmented_radix_sort_implIS3_Lb0EPKiPiPKlPlN2at6native12_GLOBAL__N_18offset_tEEE10hipError_tPvRmT1_PNSt15iterator_traitsISK_E10value_typeET2_T3_PNSL_ISQ_E10value_typeET4_jRbjT5_SW_jjP12ihipStream_tbEUlT_E1_NS1_11comp_targetILNS1_3genE0ELNS1_11target_archE4294967295ELNS1_3gpuE0ELNS1_3repE0EEENS1_59segmented_radix_sort_warp_sort_small_config_static_selectorELNS0_4arch9wavefront6targetE0EEEvSK_
	.p2align	8
	.type	_ZN7rocprim17ROCPRIM_400000_NS6detail17trampoline_kernelINS0_14default_configENS1_36segmented_radix_sort_config_selectorIilEEZNS1_25segmented_radix_sort_implIS3_Lb0EPKiPiPKlPlN2at6native12_GLOBAL__N_18offset_tEEE10hipError_tPvRmT1_PNSt15iterator_traitsISK_E10value_typeET2_T3_PNSL_ISQ_E10value_typeET4_jRbjT5_SW_jjP12ihipStream_tbEUlT_E1_NS1_11comp_targetILNS1_3genE0ELNS1_11target_archE4294967295ELNS1_3gpuE0ELNS1_3repE0EEENS1_59segmented_radix_sort_warp_sort_small_config_static_selectorELNS0_4arch9wavefront6targetE0EEEvSK_,@function
_ZN7rocprim17ROCPRIM_400000_NS6detail17trampoline_kernelINS0_14default_configENS1_36segmented_radix_sort_config_selectorIilEEZNS1_25segmented_radix_sort_implIS3_Lb0EPKiPiPKlPlN2at6native12_GLOBAL__N_18offset_tEEE10hipError_tPvRmT1_PNSt15iterator_traitsISK_E10value_typeET2_T3_PNSL_ISQ_E10value_typeET4_jRbjT5_SW_jjP12ihipStream_tbEUlT_E1_NS1_11comp_targetILNS1_3genE0ELNS1_11target_archE4294967295ELNS1_3gpuE0ELNS1_3repE0EEENS1_59segmented_radix_sort_warp_sort_small_config_static_selectorELNS0_4arch9wavefront6targetE0EEEvSK_: ; @_ZN7rocprim17ROCPRIM_400000_NS6detail17trampoline_kernelINS0_14default_configENS1_36segmented_radix_sort_config_selectorIilEEZNS1_25segmented_radix_sort_implIS3_Lb0EPKiPiPKlPlN2at6native12_GLOBAL__N_18offset_tEEE10hipError_tPvRmT1_PNSt15iterator_traitsISK_E10value_typeET2_T3_PNSL_ISQ_E10value_typeET4_jRbjT5_SW_jjP12ihipStream_tbEUlT_E1_NS1_11comp_targetILNS1_3genE0ELNS1_11target_archE4294967295ELNS1_3gpuE0ELNS1_3repE0EEENS1_59segmented_radix_sort_warp_sort_small_config_static_selectorELNS0_4arch9wavefront6targetE0EEEvSK_
; %bb.0:
	.section	.rodata,"a",@progbits
	.p2align	6, 0x0
	.amdhsa_kernel _ZN7rocprim17ROCPRIM_400000_NS6detail17trampoline_kernelINS0_14default_configENS1_36segmented_radix_sort_config_selectorIilEEZNS1_25segmented_radix_sort_implIS3_Lb0EPKiPiPKlPlN2at6native12_GLOBAL__N_18offset_tEEE10hipError_tPvRmT1_PNSt15iterator_traitsISK_E10value_typeET2_T3_PNSL_ISQ_E10value_typeET4_jRbjT5_SW_jjP12ihipStream_tbEUlT_E1_NS1_11comp_targetILNS1_3genE0ELNS1_11target_archE4294967295ELNS1_3gpuE0ELNS1_3repE0EEENS1_59segmented_radix_sort_warp_sort_small_config_static_selectorELNS0_4arch9wavefront6targetE0EEEvSK_
		.amdhsa_group_segment_fixed_size 0
		.amdhsa_private_segment_fixed_size 0
		.amdhsa_kernarg_size 88
		.amdhsa_user_sgpr_count 6
		.amdhsa_user_sgpr_private_segment_buffer 1
		.amdhsa_user_sgpr_dispatch_ptr 0
		.amdhsa_user_sgpr_queue_ptr 0
		.amdhsa_user_sgpr_kernarg_segment_ptr 1
		.amdhsa_user_sgpr_dispatch_id 0
		.amdhsa_user_sgpr_flat_scratch_init 0
		.amdhsa_user_sgpr_private_segment_size 0
		.amdhsa_wavefront_size32 1
		.amdhsa_uses_dynamic_stack 0
		.amdhsa_system_sgpr_private_segment_wavefront_offset 0
		.amdhsa_system_sgpr_workgroup_id_x 1
		.amdhsa_system_sgpr_workgroup_id_y 0
		.amdhsa_system_sgpr_workgroup_id_z 0
		.amdhsa_system_sgpr_workgroup_info 0
		.amdhsa_system_vgpr_workitem_id 0
		.amdhsa_next_free_vgpr 1
		.amdhsa_next_free_sgpr 1
		.amdhsa_reserve_vcc 0
		.amdhsa_reserve_flat_scratch 0
		.amdhsa_float_round_mode_32 0
		.amdhsa_float_round_mode_16_64 0
		.amdhsa_float_denorm_mode_32 3
		.amdhsa_float_denorm_mode_16_64 3
		.amdhsa_dx10_clamp 1
		.amdhsa_ieee_mode 1
		.amdhsa_fp16_overflow 0
		.amdhsa_workgroup_processor_mode 1
		.amdhsa_memory_ordered 1
		.amdhsa_forward_progress 1
		.amdhsa_shared_vgpr_count 0
		.amdhsa_exception_fp_ieee_invalid_op 0
		.amdhsa_exception_fp_denorm_src 0
		.amdhsa_exception_fp_ieee_div_zero 0
		.amdhsa_exception_fp_ieee_overflow 0
		.amdhsa_exception_fp_ieee_underflow 0
		.amdhsa_exception_fp_ieee_inexact 0
		.amdhsa_exception_int_div_zero 0
	.end_amdhsa_kernel
	.section	.text._ZN7rocprim17ROCPRIM_400000_NS6detail17trampoline_kernelINS0_14default_configENS1_36segmented_radix_sort_config_selectorIilEEZNS1_25segmented_radix_sort_implIS3_Lb0EPKiPiPKlPlN2at6native12_GLOBAL__N_18offset_tEEE10hipError_tPvRmT1_PNSt15iterator_traitsISK_E10value_typeET2_T3_PNSL_ISQ_E10value_typeET4_jRbjT5_SW_jjP12ihipStream_tbEUlT_E1_NS1_11comp_targetILNS1_3genE0ELNS1_11target_archE4294967295ELNS1_3gpuE0ELNS1_3repE0EEENS1_59segmented_radix_sort_warp_sort_small_config_static_selectorELNS0_4arch9wavefront6targetE0EEEvSK_,"axG",@progbits,_ZN7rocprim17ROCPRIM_400000_NS6detail17trampoline_kernelINS0_14default_configENS1_36segmented_radix_sort_config_selectorIilEEZNS1_25segmented_radix_sort_implIS3_Lb0EPKiPiPKlPlN2at6native12_GLOBAL__N_18offset_tEEE10hipError_tPvRmT1_PNSt15iterator_traitsISK_E10value_typeET2_T3_PNSL_ISQ_E10value_typeET4_jRbjT5_SW_jjP12ihipStream_tbEUlT_E1_NS1_11comp_targetILNS1_3genE0ELNS1_11target_archE4294967295ELNS1_3gpuE0ELNS1_3repE0EEENS1_59segmented_radix_sort_warp_sort_small_config_static_selectorELNS0_4arch9wavefront6targetE0EEEvSK_,comdat
.Lfunc_end615:
	.size	_ZN7rocprim17ROCPRIM_400000_NS6detail17trampoline_kernelINS0_14default_configENS1_36segmented_radix_sort_config_selectorIilEEZNS1_25segmented_radix_sort_implIS3_Lb0EPKiPiPKlPlN2at6native12_GLOBAL__N_18offset_tEEE10hipError_tPvRmT1_PNSt15iterator_traitsISK_E10value_typeET2_T3_PNSL_ISQ_E10value_typeET4_jRbjT5_SW_jjP12ihipStream_tbEUlT_E1_NS1_11comp_targetILNS1_3genE0ELNS1_11target_archE4294967295ELNS1_3gpuE0ELNS1_3repE0EEENS1_59segmented_radix_sort_warp_sort_small_config_static_selectorELNS0_4arch9wavefront6targetE0EEEvSK_, .Lfunc_end615-_ZN7rocprim17ROCPRIM_400000_NS6detail17trampoline_kernelINS0_14default_configENS1_36segmented_radix_sort_config_selectorIilEEZNS1_25segmented_radix_sort_implIS3_Lb0EPKiPiPKlPlN2at6native12_GLOBAL__N_18offset_tEEE10hipError_tPvRmT1_PNSt15iterator_traitsISK_E10value_typeET2_T3_PNSL_ISQ_E10value_typeET4_jRbjT5_SW_jjP12ihipStream_tbEUlT_E1_NS1_11comp_targetILNS1_3genE0ELNS1_11target_archE4294967295ELNS1_3gpuE0ELNS1_3repE0EEENS1_59segmented_radix_sort_warp_sort_small_config_static_selectorELNS0_4arch9wavefront6targetE0EEEvSK_
                                        ; -- End function
	.set _ZN7rocprim17ROCPRIM_400000_NS6detail17trampoline_kernelINS0_14default_configENS1_36segmented_radix_sort_config_selectorIilEEZNS1_25segmented_radix_sort_implIS3_Lb0EPKiPiPKlPlN2at6native12_GLOBAL__N_18offset_tEEE10hipError_tPvRmT1_PNSt15iterator_traitsISK_E10value_typeET2_T3_PNSL_ISQ_E10value_typeET4_jRbjT5_SW_jjP12ihipStream_tbEUlT_E1_NS1_11comp_targetILNS1_3genE0ELNS1_11target_archE4294967295ELNS1_3gpuE0ELNS1_3repE0EEENS1_59segmented_radix_sort_warp_sort_small_config_static_selectorELNS0_4arch9wavefront6targetE0EEEvSK_.num_vgpr, 0
	.set _ZN7rocprim17ROCPRIM_400000_NS6detail17trampoline_kernelINS0_14default_configENS1_36segmented_radix_sort_config_selectorIilEEZNS1_25segmented_radix_sort_implIS3_Lb0EPKiPiPKlPlN2at6native12_GLOBAL__N_18offset_tEEE10hipError_tPvRmT1_PNSt15iterator_traitsISK_E10value_typeET2_T3_PNSL_ISQ_E10value_typeET4_jRbjT5_SW_jjP12ihipStream_tbEUlT_E1_NS1_11comp_targetILNS1_3genE0ELNS1_11target_archE4294967295ELNS1_3gpuE0ELNS1_3repE0EEENS1_59segmented_radix_sort_warp_sort_small_config_static_selectorELNS0_4arch9wavefront6targetE0EEEvSK_.num_agpr, 0
	.set _ZN7rocprim17ROCPRIM_400000_NS6detail17trampoline_kernelINS0_14default_configENS1_36segmented_radix_sort_config_selectorIilEEZNS1_25segmented_radix_sort_implIS3_Lb0EPKiPiPKlPlN2at6native12_GLOBAL__N_18offset_tEEE10hipError_tPvRmT1_PNSt15iterator_traitsISK_E10value_typeET2_T3_PNSL_ISQ_E10value_typeET4_jRbjT5_SW_jjP12ihipStream_tbEUlT_E1_NS1_11comp_targetILNS1_3genE0ELNS1_11target_archE4294967295ELNS1_3gpuE0ELNS1_3repE0EEENS1_59segmented_radix_sort_warp_sort_small_config_static_selectorELNS0_4arch9wavefront6targetE0EEEvSK_.numbered_sgpr, 0
	.set _ZN7rocprim17ROCPRIM_400000_NS6detail17trampoline_kernelINS0_14default_configENS1_36segmented_radix_sort_config_selectorIilEEZNS1_25segmented_radix_sort_implIS3_Lb0EPKiPiPKlPlN2at6native12_GLOBAL__N_18offset_tEEE10hipError_tPvRmT1_PNSt15iterator_traitsISK_E10value_typeET2_T3_PNSL_ISQ_E10value_typeET4_jRbjT5_SW_jjP12ihipStream_tbEUlT_E1_NS1_11comp_targetILNS1_3genE0ELNS1_11target_archE4294967295ELNS1_3gpuE0ELNS1_3repE0EEENS1_59segmented_radix_sort_warp_sort_small_config_static_selectorELNS0_4arch9wavefront6targetE0EEEvSK_.num_named_barrier, 0
	.set _ZN7rocprim17ROCPRIM_400000_NS6detail17trampoline_kernelINS0_14default_configENS1_36segmented_radix_sort_config_selectorIilEEZNS1_25segmented_radix_sort_implIS3_Lb0EPKiPiPKlPlN2at6native12_GLOBAL__N_18offset_tEEE10hipError_tPvRmT1_PNSt15iterator_traitsISK_E10value_typeET2_T3_PNSL_ISQ_E10value_typeET4_jRbjT5_SW_jjP12ihipStream_tbEUlT_E1_NS1_11comp_targetILNS1_3genE0ELNS1_11target_archE4294967295ELNS1_3gpuE0ELNS1_3repE0EEENS1_59segmented_radix_sort_warp_sort_small_config_static_selectorELNS0_4arch9wavefront6targetE0EEEvSK_.private_seg_size, 0
	.set _ZN7rocprim17ROCPRIM_400000_NS6detail17trampoline_kernelINS0_14default_configENS1_36segmented_radix_sort_config_selectorIilEEZNS1_25segmented_radix_sort_implIS3_Lb0EPKiPiPKlPlN2at6native12_GLOBAL__N_18offset_tEEE10hipError_tPvRmT1_PNSt15iterator_traitsISK_E10value_typeET2_T3_PNSL_ISQ_E10value_typeET4_jRbjT5_SW_jjP12ihipStream_tbEUlT_E1_NS1_11comp_targetILNS1_3genE0ELNS1_11target_archE4294967295ELNS1_3gpuE0ELNS1_3repE0EEENS1_59segmented_radix_sort_warp_sort_small_config_static_selectorELNS0_4arch9wavefront6targetE0EEEvSK_.uses_vcc, 0
	.set _ZN7rocprim17ROCPRIM_400000_NS6detail17trampoline_kernelINS0_14default_configENS1_36segmented_radix_sort_config_selectorIilEEZNS1_25segmented_radix_sort_implIS3_Lb0EPKiPiPKlPlN2at6native12_GLOBAL__N_18offset_tEEE10hipError_tPvRmT1_PNSt15iterator_traitsISK_E10value_typeET2_T3_PNSL_ISQ_E10value_typeET4_jRbjT5_SW_jjP12ihipStream_tbEUlT_E1_NS1_11comp_targetILNS1_3genE0ELNS1_11target_archE4294967295ELNS1_3gpuE0ELNS1_3repE0EEENS1_59segmented_radix_sort_warp_sort_small_config_static_selectorELNS0_4arch9wavefront6targetE0EEEvSK_.uses_flat_scratch, 0
	.set _ZN7rocprim17ROCPRIM_400000_NS6detail17trampoline_kernelINS0_14default_configENS1_36segmented_radix_sort_config_selectorIilEEZNS1_25segmented_radix_sort_implIS3_Lb0EPKiPiPKlPlN2at6native12_GLOBAL__N_18offset_tEEE10hipError_tPvRmT1_PNSt15iterator_traitsISK_E10value_typeET2_T3_PNSL_ISQ_E10value_typeET4_jRbjT5_SW_jjP12ihipStream_tbEUlT_E1_NS1_11comp_targetILNS1_3genE0ELNS1_11target_archE4294967295ELNS1_3gpuE0ELNS1_3repE0EEENS1_59segmented_radix_sort_warp_sort_small_config_static_selectorELNS0_4arch9wavefront6targetE0EEEvSK_.has_dyn_sized_stack, 0
	.set _ZN7rocprim17ROCPRIM_400000_NS6detail17trampoline_kernelINS0_14default_configENS1_36segmented_radix_sort_config_selectorIilEEZNS1_25segmented_radix_sort_implIS3_Lb0EPKiPiPKlPlN2at6native12_GLOBAL__N_18offset_tEEE10hipError_tPvRmT1_PNSt15iterator_traitsISK_E10value_typeET2_T3_PNSL_ISQ_E10value_typeET4_jRbjT5_SW_jjP12ihipStream_tbEUlT_E1_NS1_11comp_targetILNS1_3genE0ELNS1_11target_archE4294967295ELNS1_3gpuE0ELNS1_3repE0EEENS1_59segmented_radix_sort_warp_sort_small_config_static_selectorELNS0_4arch9wavefront6targetE0EEEvSK_.has_recursion, 0
	.set _ZN7rocprim17ROCPRIM_400000_NS6detail17trampoline_kernelINS0_14default_configENS1_36segmented_radix_sort_config_selectorIilEEZNS1_25segmented_radix_sort_implIS3_Lb0EPKiPiPKlPlN2at6native12_GLOBAL__N_18offset_tEEE10hipError_tPvRmT1_PNSt15iterator_traitsISK_E10value_typeET2_T3_PNSL_ISQ_E10value_typeET4_jRbjT5_SW_jjP12ihipStream_tbEUlT_E1_NS1_11comp_targetILNS1_3genE0ELNS1_11target_archE4294967295ELNS1_3gpuE0ELNS1_3repE0EEENS1_59segmented_radix_sort_warp_sort_small_config_static_selectorELNS0_4arch9wavefront6targetE0EEEvSK_.has_indirect_call, 0
	.section	.AMDGPU.csdata,"",@progbits
; Kernel info:
; codeLenInByte = 0
; TotalNumSgprs: 0
; NumVgprs: 0
; ScratchSize: 0
; MemoryBound: 0
; FloatMode: 240
; IeeeMode: 1
; LDSByteSize: 0 bytes/workgroup (compile time only)
; SGPRBlocks: 0
; VGPRBlocks: 0
; NumSGPRsForWavesPerEU: 1
; NumVGPRsForWavesPerEU: 1
; Occupancy: 16
; WaveLimiterHint : 0
; COMPUTE_PGM_RSRC2:SCRATCH_EN: 0
; COMPUTE_PGM_RSRC2:USER_SGPR: 6
; COMPUTE_PGM_RSRC2:TRAP_HANDLER: 0
; COMPUTE_PGM_RSRC2:TGID_X_EN: 1
; COMPUTE_PGM_RSRC2:TGID_Y_EN: 0
; COMPUTE_PGM_RSRC2:TGID_Z_EN: 0
; COMPUTE_PGM_RSRC2:TIDIG_COMP_CNT: 0
	.section	.text._ZN7rocprim17ROCPRIM_400000_NS6detail17trampoline_kernelINS0_14default_configENS1_36segmented_radix_sort_config_selectorIilEEZNS1_25segmented_radix_sort_implIS3_Lb0EPKiPiPKlPlN2at6native12_GLOBAL__N_18offset_tEEE10hipError_tPvRmT1_PNSt15iterator_traitsISK_E10value_typeET2_T3_PNSL_ISQ_E10value_typeET4_jRbjT5_SW_jjP12ihipStream_tbEUlT_E1_NS1_11comp_targetILNS1_3genE5ELNS1_11target_archE942ELNS1_3gpuE9ELNS1_3repE0EEENS1_59segmented_radix_sort_warp_sort_small_config_static_selectorELNS0_4arch9wavefront6targetE0EEEvSK_,"axG",@progbits,_ZN7rocprim17ROCPRIM_400000_NS6detail17trampoline_kernelINS0_14default_configENS1_36segmented_radix_sort_config_selectorIilEEZNS1_25segmented_radix_sort_implIS3_Lb0EPKiPiPKlPlN2at6native12_GLOBAL__N_18offset_tEEE10hipError_tPvRmT1_PNSt15iterator_traitsISK_E10value_typeET2_T3_PNSL_ISQ_E10value_typeET4_jRbjT5_SW_jjP12ihipStream_tbEUlT_E1_NS1_11comp_targetILNS1_3genE5ELNS1_11target_archE942ELNS1_3gpuE9ELNS1_3repE0EEENS1_59segmented_radix_sort_warp_sort_small_config_static_selectorELNS0_4arch9wavefront6targetE0EEEvSK_,comdat
	.globl	_ZN7rocprim17ROCPRIM_400000_NS6detail17trampoline_kernelINS0_14default_configENS1_36segmented_radix_sort_config_selectorIilEEZNS1_25segmented_radix_sort_implIS3_Lb0EPKiPiPKlPlN2at6native12_GLOBAL__N_18offset_tEEE10hipError_tPvRmT1_PNSt15iterator_traitsISK_E10value_typeET2_T3_PNSL_ISQ_E10value_typeET4_jRbjT5_SW_jjP12ihipStream_tbEUlT_E1_NS1_11comp_targetILNS1_3genE5ELNS1_11target_archE942ELNS1_3gpuE9ELNS1_3repE0EEENS1_59segmented_radix_sort_warp_sort_small_config_static_selectorELNS0_4arch9wavefront6targetE0EEEvSK_ ; -- Begin function _ZN7rocprim17ROCPRIM_400000_NS6detail17trampoline_kernelINS0_14default_configENS1_36segmented_radix_sort_config_selectorIilEEZNS1_25segmented_radix_sort_implIS3_Lb0EPKiPiPKlPlN2at6native12_GLOBAL__N_18offset_tEEE10hipError_tPvRmT1_PNSt15iterator_traitsISK_E10value_typeET2_T3_PNSL_ISQ_E10value_typeET4_jRbjT5_SW_jjP12ihipStream_tbEUlT_E1_NS1_11comp_targetILNS1_3genE5ELNS1_11target_archE942ELNS1_3gpuE9ELNS1_3repE0EEENS1_59segmented_radix_sort_warp_sort_small_config_static_selectorELNS0_4arch9wavefront6targetE0EEEvSK_
	.p2align	8
	.type	_ZN7rocprim17ROCPRIM_400000_NS6detail17trampoline_kernelINS0_14default_configENS1_36segmented_radix_sort_config_selectorIilEEZNS1_25segmented_radix_sort_implIS3_Lb0EPKiPiPKlPlN2at6native12_GLOBAL__N_18offset_tEEE10hipError_tPvRmT1_PNSt15iterator_traitsISK_E10value_typeET2_T3_PNSL_ISQ_E10value_typeET4_jRbjT5_SW_jjP12ihipStream_tbEUlT_E1_NS1_11comp_targetILNS1_3genE5ELNS1_11target_archE942ELNS1_3gpuE9ELNS1_3repE0EEENS1_59segmented_radix_sort_warp_sort_small_config_static_selectorELNS0_4arch9wavefront6targetE0EEEvSK_,@function
_ZN7rocprim17ROCPRIM_400000_NS6detail17trampoline_kernelINS0_14default_configENS1_36segmented_radix_sort_config_selectorIilEEZNS1_25segmented_radix_sort_implIS3_Lb0EPKiPiPKlPlN2at6native12_GLOBAL__N_18offset_tEEE10hipError_tPvRmT1_PNSt15iterator_traitsISK_E10value_typeET2_T3_PNSL_ISQ_E10value_typeET4_jRbjT5_SW_jjP12ihipStream_tbEUlT_E1_NS1_11comp_targetILNS1_3genE5ELNS1_11target_archE942ELNS1_3gpuE9ELNS1_3repE0EEENS1_59segmented_radix_sort_warp_sort_small_config_static_selectorELNS0_4arch9wavefront6targetE0EEEvSK_: ; @_ZN7rocprim17ROCPRIM_400000_NS6detail17trampoline_kernelINS0_14default_configENS1_36segmented_radix_sort_config_selectorIilEEZNS1_25segmented_radix_sort_implIS3_Lb0EPKiPiPKlPlN2at6native12_GLOBAL__N_18offset_tEEE10hipError_tPvRmT1_PNSt15iterator_traitsISK_E10value_typeET2_T3_PNSL_ISQ_E10value_typeET4_jRbjT5_SW_jjP12ihipStream_tbEUlT_E1_NS1_11comp_targetILNS1_3genE5ELNS1_11target_archE942ELNS1_3gpuE9ELNS1_3repE0EEENS1_59segmented_radix_sort_warp_sort_small_config_static_selectorELNS0_4arch9wavefront6targetE0EEEvSK_
; %bb.0:
	.section	.rodata,"a",@progbits
	.p2align	6, 0x0
	.amdhsa_kernel _ZN7rocprim17ROCPRIM_400000_NS6detail17trampoline_kernelINS0_14default_configENS1_36segmented_radix_sort_config_selectorIilEEZNS1_25segmented_radix_sort_implIS3_Lb0EPKiPiPKlPlN2at6native12_GLOBAL__N_18offset_tEEE10hipError_tPvRmT1_PNSt15iterator_traitsISK_E10value_typeET2_T3_PNSL_ISQ_E10value_typeET4_jRbjT5_SW_jjP12ihipStream_tbEUlT_E1_NS1_11comp_targetILNS1_3genE5ELNS1_11target_archE942ELNS1_3gpuE9ELNS1_3repE0EEENS1_59segmented_radix_sort_warp_sort_small_config_static_selectorELNS0_4arch9wavefront6targetE0EEEvSK_
		.amdhsa_group_segment_fixed_size 0
		.amdhsa_private_segment_fixed_size 0
		.amdhsa_kernarg_size 88
		.amdhsa_user_sgpr_count 6
		.amdhsa_user_sgpr_private_segment_buffer 1
		.amdhsa_user_sgpr_dispatch_ptr 0
		.amdhsa_user_sgpr_queue_ptr 0
		.amdhsa_user_sgpr_kernarg_segment_ptr 1
		.amdhsa_user_sgpr_dispatch_id 0
		.amdhsa_user_sgpr_flat_scratch_init 0
		.amdhsa_user_sgpr_private_segment_size 0
		.amdhsa_wavefront_size32 1
		.amdhsa_uses_dynamic_stack 0
		.amdhsa_system_sgpr_private_segment_wavefront_offset 0
		.amdhsa_system_sgpr_workgroup_id_x 1
		.amdhsa_system_sgpr_workgroup_id_y 0
		.amdhsa_system_sgpr_workgroup_id_z 0
		.amdhsa_system_sgpr_workgroup_info 0
		.amdhsa_system_vgpr_workitem_id 0
		.amdhsa_next_free_vgpr 1
		.amdhsa_next_free_sgpr 1
		.amdhsa_reserve_vcc 0
		.amdhsa_reserve_flat_scratch 0
		.amdhsa_float_round_mode_32 0
		.amdhsa_float_round_mode_16_64 0
		.amdhsa_float_denorm_mode_32 3
		.amdhsa_float_denorm_mode_16_64 3
		.amdhsa_dx10_clamp 1
		.amdhsa_ieee_mode 1
		.amdhsa_fp16_overflow 0
		.amdhsa_workgroup_processor_mode 1
		.amdhsa_memory_ordered 1
		.amdhsa_forward_progress 1
		.amdhsa_shared_vgpr_count 0
		.amdhsa_exception_fp_ieee_invalid_op 0
		.amdhsa_exception_fp_denorm_src 0
		.amdhsa_exception_fp_ieee_div_zero 0
		.amdhsa_exception_fp_ieee_overflow 0
		.amdhsa_exception_fp_ieee_underflow 0
		.amdhsa_exception_fp_ieee_inexact 0
		.amdhsa_exception_int_div_zero 0
	.end_amdhsa_kernel
	.section	.text._ZN7rocprim17ROCPRIM_400000_NS6detail17trampoline_kernelINS0_14default_configENS1_36segmented_radix_sort_config_selectorIilEEZNS1_25segmented_radix_sort_implIS3_Lb0EPKiPiPKlPlN2at6native12_GLOBAL__N_18offset_tEEE10hipError_tPvRmT1_PNSt15iterator_traitsISK_E10value_typeET2_T3_PNSL_ISQ_E10value_typeET4_jRbjT5_SW_jjP12ihipStream_tbEUlT_E1_NS1_11comp_targetILNS1_3genE5ELNS1_11target_archE942ELNS1_3gpuE9ELNS1_3repE0EEENS1_59segmented_radix_sort_warp_sort_small_config_static_selectorELNS0_4arch9wavefront6targetE0EEEvSK_,"axG",@progbits,_ZN7rocprim17ROCPRIM_400000_NS6detail17trampoline_kernelINS0_14default_configENS1_36segmented_radix_sort_config_selectorIilEEZNS1_25segmented_radix_sort_implIS3_Lb0EPKiPiPKlPlN2at6native12_GLOBAL__N_18offset_tEEE10hipError_tPvRmT1_PNSt15iterator_traitsISK_E10value_typeET2_T3_PNSL_ISQ_E10value_typeET4_jRbjT5_SW_jjP12ihipStream_tbEUlT_E1_NS1_11comp_targetILNS1_3genE5ELNS1_11target_archE942ELNS1_3gpuE9ELNS1_3repE0EEENS1_59segmented_radix_sort_warp_sort_small_config_static_selectorELNS0_4arch9wavefront6targetE0EEEvSK_,comdat
.Lfunc_end616:
	.size	_ZN7rocprim17ROCPRIM_400000_NS6detail17trampoline_kernelINS0_14default_configENS1_36segmented_radix_sort_config_selectorIilEEZNS1_25segmented_radix_sort_implIS3_Lb0EPKiPiPKlPlN2at6native12_GLOBAL__N_18offset_tEEE10hipError_tPvRmT1_PNSt15iterator_traitsISK_E10value_typeET2_T3_PNSL_ISQ_E10value_typeET4_jRbjT5_SW_jjP12ihipStream_tbEUlT_E1_NS1_11comp_targetILNS1_3genE5ELNS1_11target_archE942ELNS1_3gpuE9ELNS1_3repE0EEENS1_59segmented_radix_sort_warp_sort_small_config_static_selectorELNS0_4arch9wavefront6targetE0EEEvSK_, .Lfunc_end616-_ZN7rocprim17ROCPRIM_400000_NS6detail17trampoline_kernelINS0_14default_configENS1_36segmented_radix_sort_config_selectorIilEEZNS1_25segmented_radix_sort_implIS3_Lb0EPKiPiPKlPlN2at6native12_GLOBAL__N_18offset_tEEE10hipError_tPvRmT1_PNSt15iterator_traitsISK_E10value_typeET2_T3_PNSL_ISQ_E10value_typeET4_jRbjT5_SW_jjP12ihipStream_tbEUlT_E1_NS1_11comp_targetILNS1_3genE5ELNS1_11target_archE942ELNS1_3gpuE9ELNS1_3repE0EEENS1_59segmented_radix_sort_warp_sort_small_config_static_selectorELNS0_4arch9wavefront6targetE0EEEvSK_
                                        ; -- End function
	.set _ZN7rocprim17ROCPRIM_400000_NS6detail17trampoline_kernelINS0_14default_configENS1_36segmented_radix_sort_config_selectorIilEEZNS1_25segmented_radix_sort_implIS3_Lb0EPKiPiPKlPlN2at6native12_GLOBAL__N_18offset_tEEE10hipError_tPvRmT1_PNSt15iterator_traitsISK_E10value_typeET2_T3_PNSL_ISQ_E10value_typeET4_jRbjT5_SW_jjP12ihipStream_tbEUlT_E1_NS1_11comp_targetILNS1_3genE5ELNS1_11target_archE942ELNS1_3gpuE9ELNS1_3repE0EEENS1_59segmented_radix_sort_warp_sort_small_config_static_selectorELNS0_4arch9wavefront6targetE0EEEvSK_.num_vgpr, 0
	.set _ZN7rocprim17ROCPRIM_400000_NS6detail17trampoline_kernelINS0_14default_configENS1_36segmented_radix_sort_config_selectorIilEEZNS1_25segmented_radix_sort_implIS3_Lb0EPKiPiPKlPlN2at6native12_GLOBAL__N_18offset_tEEE10hipError_tPvRmT1_PNSt15iterator_traitsISK_E10value_typeET2_T3_PNSL_ISQ_E10value_typeET4_jRbjT5_SW_jjP12ihipStream_tbEUlT_E1_NS1_11comp_targetILNS1_3genE5ELNS1_11target_archE942ELNS1_3gpuE9ELNS1_3repE0EEENS1_59segmented_radix_sort_warp_sort_small_config_static_selectorELNS0_4arch9wavefront6targetE0EEEvSK_.num_agpr, 0
	.set _ZN7rocprim17ROCPRIM_400000_NS6detail17trampoline_kernelINS0_14default_configENS1_36segmented_radix_sort_config_selectorIilEEZNS1_25segmented_radix_sort_implIS3_Lb0EPKiPiPKlPlN2at6native12_GLOBAL__N_18offset_tEEE10hipError_tPvRmT1_PNSt15iterator_traitsISK_E10value_typeET2_T3_PNSL_ISQ_E10value_typeET4_jRbjT5_SW_jjP12ihipStream_tbEUlT_E1_NS1_11comp_targetILNS1_3genE5ELNS1_11target_archE942ELNS1_3gpuE9ELNS1_3repE0EEENS1_59segmented_radix_sort_warp_sort_small_config_static_selectorELNS0_4arch9wavefront6targetE0EEEvSK_.numbered_sgpr, 0
	.set _ZN7rocprim17ROCPRIM_400000_NS6detail17trampoline_kernelINS0_14default_configENS1_36segmented_radix_sort_config_selectorIilEEZNS1_25segmented_radix_sort_implIS3_Lb0EPKiPiPKlPlN2at6native12_GLOBAL__N_18offset_tEEE10hipError_tPvRmT1_PNSt15iterator_traitsISK_E10value_typeET2_T3_PNSL_ISQ_E10value_typeET4_jRbjT5_SW_jjP12ihipStream_tbEUlT_E1_NS1_11comp_targetILNS1_3genE5ELNS1_11target_archE942ELNS1_3gpuE9ELNS1_3repE0EEENS1_59segmented_radix_sort_warp_sort_small_config_static_selectorELNS0_4arch9wavefront6targetE0EEEvSK_.num_named_barrier, 0
	.set _ZN7rocprim17ROCPRIM_400000_NS6detail17trampoline_kernelINS0_14default_configENS1_36segmented_radix_sort_config_selectorIilEEZNS1_25segmented_radix_sort_implIS3_Lb0EPKiPiPKlPlN2at6native12_GLOBAL__N_18offset_tEEE10hipError_tPvRmT1_PNSt15iterator_traitsISK_E10value_typeET2_T3_PNSL_ISQ_E10value_typeET4_jRbjT5_SW_jjP12ihipStream_tbEUlT_E1_NS1_11comp_targetILNS1_3genE5ELNS1_11target_archE942ELNS1_3gpuE9ELNS1_3repE0EEENS1_59segmented_radix_sort_warp_sort_small_config_static_selectorELNS0_4arch9wavefront6targetE0EEEvSK_.private_seg_size, 0
	.set _ZN7rocprim17ROCPRIM_400000_NS6detail17trampoline_kernelINS0_14default_configENS1_36segmented_radix_sort_config_selectorIilEEZNS1_25segmented_radix_sort_implIS3_Lb0EPKiPiPKlPlN2at6native12_GLOBAL__N_18offset_tEEE10hipError_tPvRmT1_PNSt15iterator_traitsISK_E10value_typeET2_T3_PNSL_ISQ_E10value_typeET4_jRbjT5_SW_jjP12ihipStream_tbEUlT_E1_NS1_11comp_targetILNS1_3genE5ELNS1_11target_archE942ELNS1_3gpuE9ELNS1_3repE0EEENS1_59segmented_radix_sort_warp_sort_small_config_static_selectorELNS0_4arch9wavefront6targetE0EEEvSK_.uses_vcc, 0
	.set _ZN7rocprim17ROCPRIM_400000_NS6detail17trampoline_kernelINS0_14default_configENS1_36segmented_radix_sort_config_selectorIilEEZNS1_25segmented_radix_sort_implIS3_Lb0EPKiPiPKlPlN2at6native12_GLOBAL__N_18offset_tEEE10hipError_tPvRmT1_PNSt15iterator_traitsISK_E10value_typeET2_T3_PNSL_ISQ_E10value_typeET4_jRbjT5_SW_jjP12ihipStream_tbEUlT_E1_NS1_11comp_targetILNS1_3genE5ELNS1_11target_archE942ELNS1_3gpuE9ELNS1_3repE0EEENS1_59segmented_radix_sort_warp_sort_small_config_static_selectorELNS0_4arch9wavefront6targetE0EEEvSK_.uses_flat_scratch, 0
	.set _ZN7rocprim17ROCPRIM_400000_NS6detail17trampoline_kernelINS0_14default_configENS1_36segmented_radix_sort_config_selectorIilEEZNS1_25segmented_radix_sort_implIS3_Lb0EPKiPiPKlPlN2at6native12_GLOBAL__N_18offset_tEEE10hipError_tPvRmT1_PNSt15iterator_traitsISK_E10value_typeET2_T3_PNSL_ISQ_E10value_typeET4_jRbjT5_SW_jjP12ihipStream_tbEUlT_E1_NS1_11comp_targetILNS1_3genE5ELNS1_11target_archE942ELNS1_3gpuE9ELNS1_3repE0EEENS1_59segmented_radix_sort_warp_sort_small_config_static_selectorELNS0_4arch9wavefront6targetE0EEEvSK_.has_dyn_sized_stack, 0
	.set _ZN7rocprim17ROCPRIM_400000_NS6detail17trampoline_kernelINS0_14default_configENS1_36segmented_radix_sort_config_selectorIilEEZNS1_25segmented_radix_sort_implIS3_Lb0EPKiPiPKlPlN2at6native12_GLOBAL__N_18offset_tEEE10hipError_tPvRmT1_PNSt15iterator_traitsISK_E10value_typeET2_T3_PNSL_ISQ_E10value_typeET4_jRbjT5_SW_jjP12ihipStream_tbEUlT_E1_NS1_11comp_targetILNS1_3genE5ELNS1_11target_archE942ELNS1_3gpuE9ELNS1_3repE0EEENS1_59segmented_radix_sort_warp_sort_small_config_static_selectorELNS0_4arch9wavefront6targetE0EEEvSK_.has_recursion, 0
	.set _ZN7rocprim17ROCPRIM_400000_NS6detail17trampoline_kernelINS0_14default_configENS1_36segmented_radix_sort_config_selectorIilEEZNS1_25segmented_radix_sort_implIS3_Lb0EPKiPiPKlPlN2at6native12_GLOBAL__N_18offset_tEEE10hipError_tPvRmT1_PNSt15iterator_traitsISK_E10value_typeET2_T3_PNSL_ISQ_E10value_typeET4_jRbjT5_SW_jjP12ihipStream_tbEUlT_E1_NS1_11comp_targetILNS1_3genE5ELNS1_11target_archE942ELNS1_3gpuE9ELNS1_3repE0EEENS1_59segmented_radix_sort_warp_sort_small_config_static_selectorELNS0_4arch9wavefront6targetE0EEEvSK_.has_indirect_call, 0
	.section	.AMDGPU.csdata,"",@progbits
; Kernel info:
; codeLenInByte = 0
; TotalNumSgprs: 0
; NumVgprs: 0
; ScratchSize: 0
; MemoryBound: 0
; FloatMode: 240
; IeeeMode: 1
; LDSByteSize: 0 bytes/workgroup (compile time only)
; SGPRBlocks: 0
; VGPRBlocks: 0
; NumSGPRsForWavesPerEU: 1
; NumVGPRsForWavesPerEU: 1
; Occupancy: 16
; WaveLimiterHint : 0
; COMPUTE_PGM_RSRC2:SCRATCH_EN: 0
; COMPUTE_PGM_RSRC2:USER_SGPR: 6
; COMPUTE_PGM_RSRC2:TRAP_HANDLER: 0
; COMPUTE_PGM_RSRC2:TGID_X_EN: 1
; COMPUTE_PGM_RSRC2:TGID_Y_EN: 0
; COMPUTE_PGM_RSRC2:TGID_Z_EN: 0
; COMPUTE_PGM_RSRC2:TIDIG_COMP_CNT: 0
	.section	.text._ZN7rocprim17ROCPRIM_400000_NS6detail17trampoline_kernelINS0_14default_configENS1_36segmented_radix_sort_config_selectorIilEEZNS1_25segmented_radix_sort_implIS3_Lb0EPKiPiPKlPlN2at6native12_GLOBAL__N_18offset_tEEE10hipError_tPvRmT1_PNSt15iterator_traitsISK_E10value_typeET2_T3_PNSL_ISQ_E10value_typeET4_jRbjT5_SW_jjP12ihipStream_tbEUlT_E1_NS1_11comp_targetILNS1_3genE4ELNS1_11target_archE910ELNS1_3gpuE8ELNS1_3repE0EEENS1_59segmented_radix_sort_warp_sort_small_config_static_selectorELNS0_4arch9wavefront6targetE0EEEvSK_,"axG",@progbits,_ZN7rocprim17ROCPRIM_400000_NS6detail17trampoline_kernelINS0_14default_configENS1_36segmented_radix_sort_config_selectorIilEEZNS1_25segmented_radix_sort_implIS3_Lb0EPKiPiPKlPlN2at6native12_GLOBAL__N_18offset_tEEE10hipError_tPvRmT1_PNSt15iterator_traitsISK_E10value_typeET2_T3_PNSL_ISQ_E10value_typeET4_jRbjT5_SW_jjP12ihipStream_tbEUlT_E1_NS1_11comp_targetILNS1_3genE4ELNS1_11target_archE910ELNS1_3gpuE8ELNS1_3repE0EEENS1_59segmented_radix_sort_warp_sort_small_config_static_selectorELNS0_4arch9wavefront6targetE0EEEvSK_,comdat
	.globl	_ZN7rocprim17ROCPRIM_400000_NS6detail17trampoline_kernelINS0_14default_configENS1_36segmented_radix_sort_config_selectorIilEEZNS1_25segmented_radix_sort_implIS3_Lb0EPKiPiPKlPlN2at6native12_GLOBAL__N_18offset_tEEE10hipError_tPvRmT1_PNSt15iterator_traitsISK_E10value_typeET2_T3_PNSL_ISQ_E10value_typeET4_jRbjT5_SW_jjP12ihipStream_tbEUlT_E1_NS1_11comp_targetILNS1_3genE4ELNS1_11target_archE910ELNS1_3gpuE8ELNS1_3repE0EEENS1_59segmented_radix_sort_warp_sort_small_config_static_selectorELNS0_4arch9wavefront6targetE0EEEvSK_ ; -- Begin function _ZN7rocprim17ROCPRIM_400000_NS6detail17trampoline_kernelINS0_14default_configENS1_36segmented_radix_sort_config_selectorIilEEZNS1_25segmented_radix_sort_implIS3_Lb0EPKiPiPKlPlN2at6native12_GLOBAL__N_18offset_tEEE10hipError_tPvRmT1_PNSt15iterator_traitsISK_E10value_typeET2_T3_PNSL_ISQ_E10value_typeET4_jRbjT5_SW_jjP12ihipStream_tbEUlT_E1_NS1_11comp_targetILNS1_3genE4ELNS1_11target_archE910ELNS1_3gpuE8ELNS1_3repE0EEENS1_59segmented_radix_sort_warp_sort_small_config_static_selectorELNS0_4arch9wavefront6targetE0EEEvSK_
	.p2align	8
	.type	_ZN7rocprim17ROCPRIM_400000_NS6detail17trampoline_kernelINS0_14default_configENS1_36segmented_radix_sort_config_selectorIilEEZNS1_25segmented_radix_sort_implIS3_Lb0EPKiPiPKlPlN2at6native12_GLOBAL__N_18offset_tEEE10hipError_tPvRmT1_PNSt15iterator_traitsISK_E10value_typeET2_T3_PNSL_ISQ_E10value_typeET4_jRbjT5_SW_jjP12ihipStream_tbEUlT_E1_NS1_11comp_targetILNS1_3genE4ELNS1_11target_archE910ELNS1_3gpuE8ELNS1_3repE0EEENS1_59segmented_radix_sort_warp_sort_small_config_static_selectorELNS0_4arch9wavefront6targetE0EEEvSK_,@function
_ZN7rocprim17ROCPRIM_400000_NS6detail17trampoline_kernelINS0_14default_configENS1_36segmented_radix_sort_config_selectorIilEEZNS1_25segmented_radix_sort_implIS3_Lb0EPKiPiPKlPlN2at6native12_GLOBAL__N_18offset_tEEE10hipError_tPvRmT1_PNSt15iterator_traitsISK_E10value_typeET2_T3_PNSL_ISQ_E10value_typeET4_jRbjT5_SW_jjP12ihipStream_tbEUlT_E1_NS1_11comp_targetILNS1_3genE4ELNS1_11target_archE910ELNS1_3gpuE8ELNS1_3repE0EEENS1_59segmented_radix_sort_warp_sort_small_config_static_selectorELNS0_4arch9wavefront6targetE0EEEvSK_: ; @_ZN7rocprim17ROCPRIM_400000_NS6detail17trampoline_kernelINS0_14default_configENS1_36segmented_radix_sort_config_selectorIilEEZNS1_25segmented_radix_sort_implIS3_Lb0EPKiPiPKlPlN2at6native12_GLOBAL__N_18offset_tEEE10hipError_tPvRmT1_PNSt15iterator_traitsISK_E10value_typeET2_T3_PNSL_ISQ_E10value_typeET4_jRbjT5_SW_jjP12ihipStream_tbEUlT_E1_NS1_11comp_targetILNS1_3genE4ELNS1_11target_archE910ELNS1_3gpuE8ELNS1_3repE0EEENS1_59segmented_radix_sort_warp_sort_small_config_static_selectorELNS0_4arch9wavefront6targetE0EEEvSK_
; %bb.0:
	.section	.rodata,"a",@progbits
	.p2align	6, 0x0
	.amdhsa_kernel _ZN7rocprim17ROCPRIM_400000_NS6detail17trampoline_kernelINS0_14default_configENS1_36segmented_radix_sort_config_selectorIilEEZNS1_25segmented_radix_sort_implIS3_Lb0EPKiPiPKlPlN2at6native12_GLOBAL__N_18offset_tEEE10hipError_tPvRmT1_PNSt15iterator_traitsISK_E10value_typeET2_T3_PNSL_ISQ_E10value_typeET4_jRbjT5_SW_jjP12ihipStream_tbEUlT_E1_NS1_11comp_targetILNS1_3genE4ELNS1_11target_archE910ELNS1_3gpuE8ELNS1_3repE0EEENS1_59segmented_radix_sort_warp_sort_small_config_static_selectorELNS0_4arch9wavefront6targetE0EEEvSK_
		.amdhsa_group_segment_fixed_size 0
		.amdhsa_private_segment_fixed_size 0
		.amdhsa_kernarg_size 88
		.amdhsa_user_sgpr_count 6
		.amdhsa_user_sgpr_private_segment_buffer 1
		.amdhsa_user_sgpr_dispatch_ptr 0
		.amdhsa_user_sgpr_queue_ptr 0
		.amdhsa_user_sgpr_kernarg_segment_ptr 1
		.amdhsa_user_sgpr_dispatch_id 0
		.amdhsa_user_sgpr_flat_scratch_init 0
		.amdhsa_user_sgpr_private_segment_size 0
		.amdhsa_wavefront_size32 1
		.amdhsa_uses_dynamic_stack 0
		.amdhsa_system_sgpr_private_segment_wavefront_offset 0
		.amdhsa_system_sgpr_workgroup_id_x 1
		.amdhsa_system_sgpr_workgroup_id_y 0
		.amdhsa_system_sgpr_workgroup_id_z 0
		.amdhsa_system_sgpr_workgroup_info 0
		.amdhsa_system_vgpr_workitem_id 0
		.amdhsa_next_free_vgpr 1
		.amdhsa_next_free_sgpr 1
		.amdhsa_reserve_vcc 0
		.amdhsa_reserve_flat_scratch 0
		.amdhsa_float_round_mode_32 0
		.amdhsa_float_round_mode_16_64 0
		.amdhsa_float_denorm_mode_32 3
		.amdhsa_float_denorm_mode_16_64 3
		.amdhsa_dx10_clamp 1
		.amdhsa_ieee_mode 1
		.amdhsa_fp16_overflow 0
		.amdhsa_workgroup_processor_mode 1
		.amdhsa_memory_ordered 1
		.amdhsa_forward_progress 1
		.amdhsa_shared_vgpr_count 0
		.amdhsa_exception_fp_ieee_invalid_op 0
		.amdhsa_exception_fp_denorm_src 0
		.amdhsa_exception_fp_ieee_div_zero 0
		.amdhsa_exception_fp_ieee_overflow 0
		.amdhsa_exception_fp_ieee_underflow 0
		.amdhsa_exception_fp_ieee_inexact 0
		.amdhsa_exception_int_div_zero 0
	.end_amdhsa_kernel
	.section	.text._ZN7rocprim17ROCPRIM_400000_NS6detail17trampoline_kernelINS0_14default_configENS1_36segmented_radix_sort_config_selectorIilEEZNS1_25segmented_radix_sort_implIS3_Lb0EPKiPiPKlPlN2at6native12_GLOBAL__N_18offset_tEEE10hipError_tPvRmT1_PNSt15iterator_traitsISK_E10value_typeET2_T3_PNSL_ISQ_E10value_typeET4_jRbjT5_SW_jjP12ihipStream_tbEUlT_E1_NS1_11comp_targetILNS1_3genE4ELNS1_11target_archE910ELNS1_3gpuE8ELNS1_3repE0EEENS1_59segmented_radix_sort_warp_sort_small_config_static_selectorELNS0_4arch9wavefront6targetE0EEEvSK_,"axG",@progbits,_ZN7rocprim17ROCPRIM_400000_NS6detail17trampoline_kernelINS0_14default_configENS1_36segmented_radix_sort_config_selectorIilEEZNS1_25segmented_radix_sort_implIS3_Lb0EPKiPiPKlPlN2at6native12_GLOBAL__N_18offset_tEEE10hipError_tPvRmT1_PNSt15iterator_traitsISK_E10value_typeET2_T3_PNSL_ISQ_E10value_typeET4_jRbjT5_SW_jjP12ihipStream_tbEUlT_E1_NS1_11comp_targetILNS1_3genE4ELNS1_11target_archE910ELNS1_3gpuE8ELNS1_3repE0EEENS1_59segmented_radix_sort_warp_sort_small_config_static_selectorELNS0_4arch9wavefront6targetE0EEEvSK_,comdat
.Lfunc_end617:
	.size	_ZN7rocprim17ROCPRIM_400000_NS6detail17trampoline_kernelINS0_14default_configENS1_36segmented_radix_sort_config_selectorIilEEZNS1_25segmented_radix_sort_implIS3_Lb0EPKiPiPKlPlN2at6native12_GLOBAL__N_18offset_tEEE10hipError_tPvRmT1_PNSt15iterator_traitsISK_E10value_typeET2_T3_PNSL_ISQ_E10value_typeET4_jRbjT5_SW_jjP12ihipStream_tbEUlT_E1_NS1_11comp_targetILNS1_3genE4ELNS1_11target_archE910ELNS1_3gpuE8ELNS1_3repE0EEENS1_59segmented_radix_sort_warp_sort_small_config_static_selectorELNS0_4arch9wavefront6targetE0EEEvSK_, .Lfunc_end617-_ZN7rocprim17ROCPRIM_400000_NS6detail17trampoline_kernelINS0_14default_configENS1_36segmented_radix_sort_config_selectorIilEEZNS1_25segmented_radix_sort_implIS3_Lb0EPKiPiPKlPlN2at6native12_GLOBAL__N_18offset_tEEE10hipError_tPvRmT1_PNSt15iterator_traitsISK_E10value_typeET2_T3_PNSL_ISQ_E10value_typeET4_jRbjT5_SW_jjP12ihipStream_tbEUlT_E1_NS1_11comp_targetILNS1_3genE4ELNS1_11target_archE910ELNS1_3gpuE8ELNS1_3repE0EEENS1_59segmented_radix_sort_warp_sort_small_config_static_selectorELNS0_4arch9wavefront6targetE0EEEvSK_
                                        ; -- End function
	.set _ZN7rocprim17ROCPRIM_400000_NS6detail17trampoline_kernelINS0_14default_configENS1_36segmented_radix_sort_config_selectorIilEEZNS1_25segmented_radix_sort_implIS3_Lb0EPKiPiPKlPlN2at6native12_GLOBAL__N_18offset_tEEE10hipError_tPvRmT1_PNSt15iterator_traitsISK_E10value_typeET2_T3_PNSL_ISQ_E10value_typeET4_jRbjT5_SW_jjP12ihipStream_tbEUlT_E1_NS1_11comp_targetILNS1_3genE4ELNS1_11target_archE910ELNS1_3gpuE8ELNS1_3repE0EEENS1_59segmented_radix_sort_warp_sort_small_config_static_selectorELNS0_4arch9wavefront6targetE0EEEvSK_.num_vgpr, 0
	.set _ZN7rocprim17ROCPRIM_400000_NS6detail17trampoline_kernelINS0_14default_configENS1_36segmented_radix_sort_config_selectorIilEEZNS1_25segmented_radix_sort_implIS3_Lb0EPKiPiPKlPlN2at6native12_GLOBAL__N_18offset_tEEE10hipError_tPvRmT1_PNSt15iterator_traitsISK_E10value_typeET2_T3_PNSL_ISQ_E10value_typeET4_jRbjT5_SW_jjP12ihipStream_tbEUlT_E1_NS1_11comp_targetILNS1_3genE4ELNS1_11target_archE910ELNS1_3gpuE8ELNS1_3repE0EEENS1_59segmented_radix_sort_warp_sort_small_config_static_selectorELNS0_4arch9wavefront6targetE0EEEvSK_.num_agpr, 0
	.set _ZN7rocprim17ROCPRIM_400000_NS6detail17trampoline_kernelINS0_14default_configENS1_36segmented_radix_sort_config_selectorIilEEZNS1_25segmented_radix_sort_implIS3_Lb0EPKiPiPKlPlN2at6native12_GLOBAL__N_18offset_tEEE10hipError_tPvRmT1_PNSt15iterator_traitsISK_E10value_typeET2_T3_PNSL_ISQ_E10value_typeET4_jRbjT5_SW_jjP12ihipStream_tbEUlT_E1_NS1_11comp_targetILNS1_3genE4ELNS1_11target_archE910ELNS1_3gpuE8ELNS1_3repE0EEENS1_59segmented_radix_sort_warp_sort_small_config_static_selectorELNS0_4arch9wavefront6targetE0EEEvSK_.numbered_sgpr, 0
	.set _ZN7rocprim17ROCPRIM_400000_NS6detail17trampoline_kernelINS0_14default_configENS1_36segmented_radix_sort_config_selectorIilEEZNS1_25segmented_radix_sort_implIS3_Lb0EPKiPiPKlPlN2at6native12_GLOBAL__N_18offset_tEEE10hipError_tPvRmT1_PNSt15iterator_traitsISK_E10value_typeET2_T3_PNSL_ISQ_E10value_typeET4_jRbjT5_SW_jjP12ihipStream_tbEUlT_E1_NS1_11comp_targetILNS1_3genE4ELNS1_11target_archE910ELNS1_3gpuE8ELNS1_3repE0EEENS1_59segmented_radix_sort_warp_sort_small_config_static_selectorELNS0_4arch9wavefront6targetE0EEEvSK_.num_named_barrier, 0
	.set _ZN7rocprim17ROCPRIM_400000_NS6detail17trampoline_kernelINS0_14default_configENS1_36segmented_radix_sort_config_selectorIilEEZNS1_25segmented_radix_sort_implIS3_Lb0EPKiPiPKlPlN2at6native12_GLOBAL__N_18offset_tEEE10hipError_tPvRmT1_PNSt15iterator_traitsISK_E10value_typeET2_T3_PNSL_ISQ_E10value_typeET4_jRbjT5_SW_jjP12ihipStream_tbEUlT_E1_NS1_11comp_targetILNS1_3genE4ELNS1_11target_archE910ELNS1_3gpuE8ELNS1_3repE0EEENS1_59segmented_radix_sort_warp_sort_small_config_static_selectorELNS0_4arch9wavefront6targetE0EEEvSK_.private_seg_size, 0
	.set _ZN7rocprim17ROCPRIM_400000_NS6detail17trampoline_kernelINS0_14default_configENS1_36segmented_radix_sort_config_selectorIilEEZNS1_25segmented_radix_sort_implIS3_Lb0EPKiPiPKlPlN2at6native12_GLOBAL__N_18offset_tEEE10hipError_tPvRmT1_PNSt15iterator_traitsISK_E10value_typeET2_T3_PNSL_ISQ_E10value_typeET4_jRbjT5_SW_jjP12ihipStream_tbEUlT_E1_NS1_11comp_targetILNS1_3genE4ELNS1_11target_archE910ELNS1_3gpuE8ELNS1_3repE0EEENS1_59segmented_radix_sort_warp_sort_small_config_static_selectorELNS0_4arch9wavefront6targetE0EEEvSK_.uses_vcc, 0
	.set _ZN7rocprim17ROCPRIM_400000_NS6detail17trampoline_kernelINS0_14default_configENS1_36segmented_radix_sort_config_selectorIilEEZNS1_25segmented_radix_sort_implIS3_Lb0EPKiPiPKlPlN2at6native12_GLOBAL__N_18offset_tEEE10hipError_tPvRmT1_PNSt15iterator_traitsISK_E10value_typeET2_T3_PNSL_ISQ_E10value_typeET4_jRbjT5_SW_jjP12ihipStream_tbEUlT_E1_NS1_11comp_targetILNS1_3genE4ELNS1_11target_archE910ELNS1_3gpuE8ELNS1_3repE0EEENS1_59segmented_radix_sort_warp_sort_small_config_static_selectorELNS0_4arch9wavefront6targetE0EEEvSK_.uses_flat_scratch, 0
	.set _ZN7rocprim17ROCPRIM_400000_NS6detail17trampoline_kernelINS0_14default_configENS1_36segmented_radix_sort_config_selectorIilEEZNS1_25segmented_radix_sort_implIS3_Lb0EPKiPiPKlPlN2at6native12_GLOBAL__N_18offset_tEEE10hipError_tPvRmT1_PNSt15iterator_traitsISK_E10value_typeET2_T3_PNSL_ISQ_E10value_typeET4_jRbjT5_SW_jjP12ihipStream_tbEUlT_E1_NS1_11comp_targetILNS1_3genE4ELNS1_11target_archE910ELNS1_3gpuE8ELNS1_3repE0EEENS1_59segmented_radix_sort_warp_sort_small_config_static_selectorELNS0_4arch9wavefront6targetE0EEEvSK_.has_dyn_sized_stack, 0
	.set _ZN7rocprim17ROCPRIM_400000_NS6detail17trampoline_kernelINS0_14default_configENS1_36segmented_radix_sort_config_selectorIilEEZNS1_25segmented_radix_sort_implIS3_Lb0EPKiPiPKlPlN2at6native12_GLOBAL__N_18offset_tEEE10hipError_tPvRmT1_PNSt15iterator_traitsISK_E10value_typeET2_T3_PNSL_ISQ_E10value_typeET4_jRbjT5_SW_jjP12ihipStream_tbEUlT_E1_NS1_11comp_targetILNS1_3genE4ELNS1_11target_archE910ELNS1_3gpuE8ELNS1_3repE0EEENS1_59segmented_radix_sort_warp_sort_small_config_static_selectorELNS0_4arch9wavefront6targetE0EEEvSK_.has_recursion, 0
	.set _ZN7rocprim17ROCPRIM_400000_NS6detail17trampoline_kernelINS0_14default_configENS1_36segmented_radix_sort_config_selectorIilEEZNS1_25segmented_radix_sort_implIS3_Lb0EPKiPiPKlPlN2at6native12_GLOBAL__N_18offset_tEEE10hipError_tPvRmT1_PNSt15iterator_traitsISK_E10value_typeET2_T3_PNSL_ISQ_E10value_typeET4_jRbjT5_SW_jjP12ihipStream_tbEUlT_E1_NS1_11comp_targetILNS1_3genE4ELNS1_11target_archE910ELNS1_3gpuE8ELNS1_3repE0EEENS1_59segmented_radix_sort_warp_sort_small_config_static_selectorELNS0_4arch9wavefront6targetE0EEEvSK_.has_indirect_call, 0
	.section	.AMDGPU.csdata,"",@progbits
; Kernel info:
; codeLenInByte = 0
; TotalNumSgprs: 0
; NumVgprs: 0
; ScratchSize: 0
; MemoryBound: 0
; FloatMode: 240
; IeeeMode: 1
; LDSByteSize: 0 bytes/workgroup (compile time only)
; SGPRBlocks: 0
; VGPRBlocks: 0
; NumSGPRsForWavesPerEU: 1
; NumVGPRsForWavesPerEU: 1
; Occupancy: 16
; WaveLimiterHint : 0
; COMPUTE_PGM_RSRC2:SCRATCH_EN: 0
; COMPUTE_PGM_RSRC2:USER_SGPR: 6
; COMPUTE_PGM_RSRC2:TRAP_HANDLER: 0
; COMPUTE_PGM_RSRC2:TGID_X_EN: 1
; COMPUTE_PGM_RSRC2:TGID_Y_EN: 0
; COMPUTE_PGM_RSRC2:TGID_Z_EN: 0
; COMPUTE_PGM_RSRC2:TIDIG_COMP_CNT: 0
	.section	.text._ZN7rocprim17ROCPRIM_400000_NS6detail17trampoline_kernelINS0_14default_configENS1_36segmented_radix_sort_config_selectorIilEEZNS1_25segmented_radix_sort_implIS3_Lb0EPKiPiPKlPlN2at6native12_GLOBAL__N_18offset_tEEE10hipError_tPvRmT1_PNSt15iterator_traitsISK_E10value_typeET2_T3_PNSL_ISQ_E10value_typeET4_jRbjT5_SW_jjP12ihipStream_tbEUlT_E1_NS1_11comp_targetILNS1_3genE3ELNS1_11target_archE908ELNS1_3gpuE7ELNS1_3repE0EEENS1_59segmented_radix_sort_warp_sort_small_config_static_selectorELNS0_4arch9wavefront6targetE0EEEvSK_,"axG",@progbits,_ZN7rocprim17ROCPRIM_400000_NS6detail17trampoline_kernelINS0_14default_configENS1_36segmented_radix_sort_config_selectorIilEEZNS1_25segmented_radix_sort_implIS3_Lb0EPKiPiPKlPlN2at6native12_GLOBAL__N_18offset_tEEE10hipError_tPvRmT1_PNSt15iterator_traitsISK_E10value_typeET2_T3_PNSL_ISQ_E10value_typeET4_jRbjT5_SW_jjP12ihipStream_tbEUlT_E1_NS1_11comp_targetILNS1_3genE3ELNS1_11target_archE908ELNS1_3gpuE7ELNS1_3repE0EEENS1_59segmented_radix_sort_warp_sort_small_config_static_selectorELNS0_4arch9wavefront6targetE0EEEvSK_,comdat
	.globl	_ZN7rocprim17ROCPRIM_400000_NS6detail17trampoline_kernelINS0_14default_configENS1_36segmented_radix_sort_config_selectorIilEEZNS1_25segmented_radix_sort_implIS3_Lb0EPKiPiPKlPlN2at6native12_GLOBAL__N_18offset_tEEE10hipError_tPvRmT1_PNSt15iterator_traitsISK_E10value_typeET2_T3_PNSL_ISQ_E10value_typeET4_jRbjT5_SW_jjP12ihipStream_tbEUlT_E1_NS1_11comp_targetILNS1_3genE3ELNS1_11target_archE908ELNS1_3gpuE7ELNS1_3repE0EEENS1_59segmented_radix_sort_warp_sort_small_config_static_selectorELNS0_4arch9wavefront6targetE0EEEvSK_ ; -- Begin function _ZN7rocprim17ROCPRIM_400000_NS6detail17trampoline_kernelINS0_14default_configENS1_36segmented_radix_sort_config_selectorIilEEZNS1_25segmented_radix_sort_implIS3_Lb0EPKiPiPKlPlN2at6native12_GLOBAL__N_18offset_tEEE10hipError_tPvRmT1_PNSt15iterator_traitsISK_E10value_typeET2_T3_PNSL_ISQ_E10value_typeET4_jRbjT5_SW_jjP12ihipStream_tbEUlT_E1_NS1_11comp_targetILNS1_3genE3ELNS1_11target_archE908ELNS1_3gpuE7ELNS1_3repE0EEENS1_59segmented_radix_sort_warp_sort_small_config_static_selectorELNS0_4arch9wavefront6targetE0EEEvSK_
	.p2align	8
	.type	_ZN7rocprim17ROCPRIM_400000_NS6detail17trampoline_kernelINS0_14default_configENS1_36segmented_radix_sort_config_selectorIilEEZNS1_25segmented_radix_sort_implIS3_Lb0EPKiPiPKlPlN2at6native12_GLOBAL__N_18offset_tEEE10hipError_tPvRmT1_PNSt15iterator_traitsISK_E10value_typeET2_T3_PNSL_ISQ_E10value_typeET4_jRbjT5_SW_jjP12ihipStream_tbEUlT_E1_NS1_11comp_targetILNS1_3genE3ELNS1_11target_archE908ELNS1_3gpuE7ELNS1_3repE0EEENS1_59segmented_radix_sort_warp_sort_small_config_static_selectorELNS0_4arch9wavefront6targetE0EEEvSK_,@function
_ZN7rocprim17ROCPRIM_400000_NS6detail17trampoline_kernelINS0_14default_configENS1_36segmented_radix_sort_config_selectorIilEEZNS1_25segmented_radix_sort_implIS3_Lb0EPKiPiPKlPlN2at6native12_GLOBAL__N_18offset_tEEE10hipError_tPvRmT1_PNSt15iterator_traitsISK_E10value_typeET2_T3_PNSL_ISQ_E10value_typeET4_jRbjT5_SW_jjP12ihipStream_tbEUlT_E1_NS1_11comp_targetILNS1_3genE3ELNS1_11target_archE908ELNS1_3gpuE7ELNS1_3repE0EEENS1_59segmented_radix_sort_warp_sort_small_config_static_selectorELNS0_4arch9wavefront6targetE0EEEvSK_: ; @_ZN7rocprim17ROCPRIM_400000_NS6detail17trampoline_kernelINS0_14default_configENS1_36segmented_radix_sort_config_selectorIilEEZNS1_25segmented_radix_sort_implIS3_Lb0EPKiPiPKlPlN2at6native12_GLOBAL__N_18offset_tEEE10hipError_tPvRmT1_PNSt15iterator_traitsISK_E10value_typeET2_T3_PNSL_ISQ_E10value_typeET4_jRbjT5_SW_jjP12ihipStream_tbEUlT_E1_NS1_11comp_targetILNS1_3genE3ELNS1_11target_archE908ELNS1_3gpuE7ELNS1_3repE0EEENS1_59segmented_radix_sort_warp_sort_small_config_static_selectorELNS0_4arch9wavefront6targetE0EEEvSK_
; %bb.0:
	.section	.rodata,"a",@progbits
	.p2align	6, 0x0
	.amdhsa_kernel _ZN7rocprim17ROCPRIM_400000_NS6detail17trampoline_kernelINS0_14default_configENS1_36segmented_radix_sort_config_selectorIilEEZNS1_25segmented_radix_sort_implIS3_Lb0EPKiPiPKlPlN2at6native12_GLOBAL__N_18offset_tEEE10hipError_tPvRmT1_PNSt15iterator_traitsISK_E10value_typeET2_T3_PNSL_ISQ_E10value_typeET4_jRbjT5_SW_jjP12ihipStream_tbEUlT_E1_NS1_11comp_targetILNS1_3genE3ELNS1_11target_archE908ELNS1_3gpuE7ELNS1_3repE0EEENS1_59segmented_radix_sort_warp_sort_small_config_static_selectorELNS0_4arch9wavefront6targetE0EEEvSK_
		.amdhsa_group_segment_fixed_size 0
		.amdhsa_private_segment_fixed_size 0
		.amdhsa_kernarg_size 88
		.amdhsa_user_sgpr_count 6
		.amdhsa_user_sgpr_private_segment_buffer 1
		.amdhsa_user_sgpr_dispatch_ptr 0
		.amdhsa_user_sgpr_queue_ptr 0
		.amdhsa_user_sgpr_kernarg_segment_ptr 1
		.amdhsa_user_sgpr_dispatch_id 0
		.amdhsa_user_sgpr_flat_scratch_init 0
		.amdhsa_user_sgpr_private_segment_size 0
		.amdhsa_wavefront_size32 1
		.amdhsa_uses_dynamic_stack 0
		.amdhsa_system_sgpr_private_segment_wavefront_offset 0
		.amdhsa_system_sgpr_workgroup_id_x 1
		.amdhsa_system_sgpr_workgroup_id_y 0
		.amdhsa_system_sgpr_workgroup_id_z 0
		.amdhsa_system_sgpr_workgroup_info 0
		.amdhsa_system_vgpr_workitem_id 0
		.amdhsa_next_free_vgpr 1
		.amdhsa_next_free_sgpr 1
		.amdhsa_reserve_vcc 0
		.amdhsa_reserve_flat_scratch 0
		.amdhsa_float_round_mode_32 0
		.amdhsa_float_round_mode_16_64 0
		.amdhsa_float_denorm_mode_32 3
		.amdhsa_float_denorm_mode_16_64 3
		.amdhsa_dx10_clamp 1
		.amdhsa_ieee_mode 1
		.amdhsa_fp16_overflow 0
		.amdhsa_workgroup_processor_mode 1
		.amdhsa_memory_ordered 1
		.amdhsa_forward_progress 1
		.amdhsa_shared_vgpr_count 0
		.amdhsa_exception_fp_ieee_invalid_op 0
		.amdhsa_exception_fp_denorm_src 0
		.amdhsa_exception_fp_ieee_div_zero 0
		.amdhsa_exception_fp_ieee_overflow 0
		.amdhsa_exception_fp_ieee_underflow 0
		.amdhsa_exception_fp_ieee_inexact 0
		.amdhsa_exception_int_div_zero 0
	.end_amdhsa_kernel
	.section	.text._ZN7rocprim17ROCPRIM_400000_NS6detail17trampoline_kernelINS0_14default_configENS1_36segmented_radix_sort_config_selectorIilEEZNS1_25segmented_radix_sort_implIS3_Lb0EPKiPiPKlPlN2at6native12_GLOBAL__N_18offset_tEEE10hipError_tPvRmT1_PNSt15iterator_traitsISK_E10value_typeET2_T3_PNSL_ISQ_E10value_typeET4_jRbjT5_SW_jjP12ihipStream_tbEUlT_E1_NS1_11comp_targetILNS1_3genE3ELNS1_11target_archE908ELNS1_3gpuE7ELNS1_3repE0EEENS1_59segmented_radix_sort_warp_sort_small_config_static_selectorELNS0_4arch9wavefront6targetE0EEEvSK_,"axG",@progbits,_ZN7rocprim17ROCPRIM_400000_NS6detail17trampoline_kernelINS0_14default_configENS1_36segmented_radix_sort_config_selectorIilEEZNS1_25segmented_radix_sort_implIS3_Lb0EPKiPiPKlPlN2at6native12_GLOBAL__N_18offset_tEEE10hipError_tPvRmT1_PNSt15iterator_traitsISK_E10value_typeET2_T3_PNSL_ISQ_E10value_typeET4_jRbjT5_SW_jjP12ihipStream_tbEUlT_E1_NS1_11comp_targetILNS1_3genE3ELNS1_11target_archE908ELNS1_3gpuE7ELNS1_3repE0EEENS1_59segmented_radix_sort_warp_sort_small_config_static_selectorELNS0_4arch9wavefront6targetE0EEEvSK_,comdat
.Lfunc_end618:
	.size	_ZN7rocprim17ROCPRIM_400000_NS6detail17trampoline_kernelINS0_14default_configENS1_36segmented_radix_sort_config_selectorIilEEZNS1_25segmented_radix_sort_implIS3_Lb0EPKiPiPKlPlN2at6native12_GLOBAL__N_18offset_tEEE10hipError_tPvRmT1_PNSt15iterator_traitsISK_E10value_typeET2_T3_PNSL_ISQ_E10value_typeET4_jRbjT5_SW_jjP12ihipStream_tbEUlT_E1_NS1_11comp_targetILNS1_3genE3ELNS1_11target_archE908ELNS1_3gpuE7ELNS1_3repE0EEENS1_59segmented_radix_sort_warp_sort_small_config_static_selectorELNS0_4arch9wavefront6targetE0EEEvSK_, .Lfunc_end618-_ZN7rocprim17ROCPRIM_400000_NS6detail17trampoline_kernelINS0_14default_configENS1_36segmented_radix_sort_config_selectorIilEEZNS1_25segmented_radix_sort_implIS3_Lb0EPKiPiPKlPlN2at6native12_GLOBAL__N_18offset_tEEE10hipError_tPvRmT1_PNSt15iterator_traitsISK_E10value_typeET2_T3_PNSL_ISQ_E10value_typeET4_jRbjT5_SW_jjP12ihipStream_tbEUlT_E1_NS1_11comp_targetILNS1_3genE3ELNS1_11target_archE908ELNS1_3gpuE7ELNS1_3repE0EEENS1_59segmented_radix_sort_warp_sort_small_config_static_selectorELNS0_4arch9wavefront6targetE0EEEvSK_
                                        ; -- End function
	.set _ZN7rocprim17ROCPRIM_400000_NS6detail17trampoline_kernelINS0_14default_configENS1_36segmented_radix_sort_config_selectorIilEEZNS1_25segmented_radix_sort_implIS3_Lb0EPKiPiPKlPlN2at6native12_GLOBAL__N_18offset_tEEE10hipError_tPvRmT1_PNSt15iterator_traitsISK_E10value_typeET2_T3_PNSL_ISQ_E10value_typeET4_jRbjT5_SW_jjP12ihipStream_tbEUlT_E1_NS1_11comp_targetILNS1_3genE3ELNS1_11target_archE908ELNS1_3gpuE7ELNS1_3repE0EEENS1_59segmented_radix_sort_warp_sort_small_config_static_selectorELNS0_4arch9wavefront6targetE0EEEvSK_.num_vgpr, 0
	.set _ZN7rocprim17ROCPRIM_400000_NS6detail17trampoline_kernelINS0_14default_configENS1_36segmented_radix_sort_config_selectorIilEEZNS1_25segmented_radix_sort_implIS3_Lb0EPKiPiPKlPlN2at6native12_GLOBAL__N_18offset_tEEE10hipError_tPvRmT1_PNSt15iterator_traitsISK_E10value_typeET2_T3_PNSL_ISQ_E10value_typeET4_jRbjT5_SW_jjP12ihipStream_tbEUlT_E1_NS1_11comp_targetILNS1_3genE3ELNS1_11target_archE908ELNS1_3gpuE7ELNS1_3repE0EEENS1_59segmented_radix_sort_warp_sort_small_config_static_selectorELNS0_4arch9wavefront6targetE0EEEvSK_.num_agpr, 0
	.set _ZN7rocprim17ROCPRIM_400000_NS6detail17trampoline_kernelINS0_14default_configENS1_36segmented_radix_sort_config_selectorIilEEZNS1_25segmented_radix_sort_implIS3_Lb0EPKiPiPKlPlN2at6native12_GLOBAL__N_18offset_tEEE10hipError_tPvRmT1_PNSt15iterator_traitsISK_E10value_typeET2_T3_PNSL_ISQ_E10value_typeET4_jRbjT5_SW_jjP12ihipStream_tbEUlT_E1_NS1_11comp_targetILNS1_3genE3ELNS1_11target_archE908ELNS1_3gpuE7ELNS1_3repE0EEENS1_59segmented_radix_sort_warp_sort_small_config_static_selectorELNS0_4arch9wavefront6targetE0EEEvSK_.numbered_sgpr, 0
	.set _ZN7rocprim17ROCPRIM_400000_NS6detail17trampoline_kernelINS0_14default_configENS1_36segmented_radix_sort_config_selectorIilEEZNS1_25segmented_radix_sort_implIS3_Lb0EPKiPiPKlPlN2at6native12_GLOBAL__N_18offset_tEEE10hipError_tPvRmT1_PNSt15iterator_traitsISK_E10value_typeET2_T3_PNSL_ISQ_E10value_typeET4_jRbjT5_SW_jjP12ihipStream_tbEUlT_E1_NS1_11comp_targetILNS1_3genE3ELNS1_11target_archE908ELNS1_3gpuE7ELNS1_3repE0EEENS1_59segmented_radix_sort_warp_sort_small_config_static_selectorELNS0_4arch9wavefront6targetE0EEEvSK_.num_named_barrier, 0
	.set _ZN7rocprim17ROCPRIM_400000_NS6detail17trampoline_kernelINS0_14default_configENS1_36segmented_radix_sort_config_selectorIilEEZNS1_25segmented_radix_sort_implIS3_Lb0EPKiPiPKlPlN2at6native12_GLOBAL__N_18offset_tEEE10hipError_tPvRmT1_PNSt15iterator_traitsISK_E10value_typeET2_T3_PNSL_ISQ_E10value_typeET4_jRbjT5_SW_jjP12ihipStream_tbEUlT_E1_NS1_11comp_targetILNS1_3genE3ELNS1_11target_archE908ELNS1_3gpuE7ELNS1_3repE0EEENS1_59segmented_radix_sort_warp_sort_small_config_static_selectorELNS0_4arch9wavefront6targetE0EEEvSK_.private_seg_size, 0
	.set _ZN7rocprim17ROCPRIM_400000_NS6detail17trampoline_kernelINS0_14default_configENS1_36segmented_radix_sort_config_selectorIilEEZNS1_25segmented_radix_sort_implIS3_Lb0EPKiPiPKlPlN2at6native12_GLOBAL__N_18offset_tEEE10hipError_tPvRmT1_PNSt15iterator_traitsISK_E10value_typeET2_T3_PNSL_ISQ_E10value_typeET4_jRbjT5_SW_jjP12ihipStream_tbEUlT_E1_NS1_11comp_targetILNS1_3genE3ELNS1_11target_archE908ELNS1_3gpuE7ELNS1_3repE0EEENS1_59segmented_radix_sort_warp_sort_small_config_static_selectorELNS0_4arch9wavefront6targetE0EEEvSK_.uses_vcc, 0
	.set _ZN7rocprim17ROCPRIM_400000_NS6detail17trampoline_kernelINS0_14default_configENS1_36segmented_radix_sort_config_selectorIilEEZNS1_25segmented_radix_sort_implIS3_Lb0EPKiPiPKlPlN2at6native12_GLOBAL__N_18offset_tEEE10hipError_tPvRmT1_PNSt15iterator_traitsISK_E10value_typeET2_T3_PNSL_ISQ_E10value_typeET4_jRbjT5_SW_jjP12ihipStream_tbEUlT_E1_NS1_11comp_targetILNS1_3genE3ELNS1_11target_archE908ELNS1_3gpuE7ELNS1_3repE0EEENS1_59segmented_radix_sort_warp_sort_small_config_static_selectorELNS0_4arch9wavefront6targetE0EEEvSK_.uses_flat_scratch, 0
	.set _ZN7rocprim17ROCPRIM_400000_NS6detail17trampoline_kernelINS0_14default_configENS1_36segmented_radix_sort_config_selectorIilEEZNS1_25segmented_radix_sort_implIS3_Lb0EPKiPiPKlPlN2at6native12_GLOBAL__N_18offset_tEEE10hipError_tPvRmT1_PNSt15iterator_traitsISK_E10value_typeET2_T3_PNSL_ISQ_E10value_typeET4_jRbjT5_SW_jjP12ihipStream_tbEUlT_E1_NS1_11comp_targetILNS1_3genE3ELNS1_11target_archE908ELNS1_3gpuE7ELNS1_3repE0EEENS1_59segmented_radix_sort_warp_sort_small_config_static_selectorELNS0_4arch9wavefront6targetE0EEEvSK_.has_dyn_sized_stack, 0
	.set _ZN7rocprim17ROCPRIM_400000_NS6detail17trampoline_kernelINS0_14default_configENS1_36segmented_radix_sort_config_selectorIilEEZNS1_25segmented_radix_sort_implIS3_Lb0EPKiPiPKlPlN2at6native12_GLOBAL__N_18offset_tEEE10hipError_tPvRmT1_PNSt15iterator_traitsISK_E10value_typeET2_T3_PNSL_ISQ_E10value_typeET4_jRbjT5_SW_jjP12ihipStream_tbEUlT_E1_NS1_11comp_targetILNS1_3genE3ELNS1_11target_archE908ELNS1_3gpuE7ELNS1_3repE0EEENS1_59segmented_radix_sort_warp_sort_small_config_static_selectorELNS0_4arch9wavefront6targetE0EEEvSK_.has_recursion, 0
	.set _ZN7rocprim17ROCPRIM_400000_NS6detail17trampoline_kernelINS0_14default_configENS1_36segmented_radix_sort_config_selectorIilEEZNS1_25segmented_radix_sort_implIS3_Lb0EPKiPiPKlPlN2at6native12_GLOBAL__N_18offset_tEEE10hipError_tPvRmT1_PNSt15iterator_traitsISK_E10value_typeET2_T3_PNSL_ISQ_E10value_typeET4_jRbjT5_SW_jjP12ihipStream_tbEUlT_E1_NS1_11comp_targetILNS1_3genE3ELNS1_11target_archE908ELNS1_3gpuE7ELNS1_3repE0EEENS1_59segmented_radix_sort_warp_sort_small_config_static_selectorELNS0_4arch9wavefront6targetE0EEEvSK_.has_indirect_call, 0
	.section	.AMDGPU.csdata,"",@progbits
; Kernel info:
; codeLenInByte = 0
; TotalNumSgprs: 0
; NumVgprs: 0
; ScratchSize: 0
; MemoryBound: 0
; FloatMode: 240
; IeeeMode: 1
; LDSByteSize: 0 bytes/workgroup (compile time only)
; SGPRBlocks: 0
; VGPRBlocks: 0
; NumSGPRsForWavesPerEU: 1
; NumVGPRsForWavesPerEU: 1
; Occupancy: 16
; WaveLimiterHint : 0
; COMPUTE_PGM_RSRC2:SCRATCH_EN: 0
; COMPUTE_PGM_RSRC2:USER_SGPR: 6
; COMPUTE_PGM_RSRC2:TRAP_HANDLER: 0
; COMPUTE_PGM_RSRC2:TGID_X_EN: 1
; COMPUTE_PGM_RSRC2:TGID_Y_EN: 0
; COMPUTE_PGM_RSRC2:TGID_Z_EN: 0
; COMPUTE_PGM_RSRC2:TIDIG_COMP_CNT: 0
	.section	.text._ZN7rocprim17ROCPRIM_400000_NS6detail17trampoline_kernelINS0_14default_configENS1_36segmented_radix_sort_config_selectorIilEEZNS1_25segmented_radix_sort_implIS3_Lb0EPKiPiPKlPlN2at6native12_GLOBAL__N_18offset_tEEE10hipError_tPvRmT1_PNSt15iterator_traitsISK_E10value_typeET2_T3_PNSL_ISQ_E10value_typeET4_jRbjT5_SW_jjP12ihipStream_tbEUlT_E1_NS1_11comp_targetILNS1_3genE2ELNS1_11target_archE906ELNS1_3gpuE6ELNS1_3repE0EEENS1_59segmented_radix_sort_warp_sort_small_config_static_selectorELNS0_4arch9wavefront6targetE0EEEvSK_,"axG",@progbits,_ZN7rocprim17ROCPRIM_400000_NS6detail17trampoline_kernelINS0_14default_configENS1_36segmented_radix_sort_config_selectorIilEEZNS1_25segmented_radix_sort_implIS3_Lb0EPKiPiPKlPlN2at6native12_GLOBAL__N_18offset_tEEE10hipError_tPvRmT1_PNSt15iterator_traitsISK_E10value_typeET2_T3_PNSL_ISQ_E10value_typeET4_jRbjT5_SW_jjP12ihipStream_tbEUlT_E1_NS1_11comp_targetILNS1_3genE2ELNS1_11target_archE906ELNS1_3gpuE6ELNS1_3repE0EEENS1_59segmented_radix_sort_warp_sort_small_config_static_selectorELNS0_4arch9wavefront6targetE0EEEvSK_,comdat
	.globl	_ZN7rocprim17ROCPRIM_400000_NS6detail17trampoline_kernelINS0_14default_configENS1_36segmented_radix_sort_config_selectorIilEEZNS1_25segmented_radix_sort_implIS3_Lb0EPKiPiPKlPlN2at6native12_GLOBAL__N_18offset_tEEE10hipError_tPvRmT1_PNSt15iterator_traitsISK_E10value_typeET2_T3_PNSL_ISQ_E10value_typeET4_jRbjT5_SW_jjP12ihipStream_tbEUlT_E1_NS1_11comp_targetILNS1_3genE2ELNS1_11target_archE906ELNS1_3gpuE6ELNS1_3repE0EEENS1_59segmented_radix_sort_warp_sort_small_config_static_selectorELNS0_4arch9wavefront6targetE0EEEvSK_ ; -- Begin function _ZN7rocprim17ROCPRIM_400000_NS6detail17trampoline_kernelINS0_14default_configENS1_36segmented_radix_sort_config_selectorIilEEZNS1_25segmented_radix_sort_implIS3_Lb0EPKiPiPKlPlN2at6native12_GLOBAL__N_18offset_tEEE10hipError_tPvRmT1_PNSt15iterator_traitsISK_E10value_typeET2_T3_PNSL_ISQ_E10value_typeET4_jRbjT5_SW_jjP12ihipStream_tbEUlT_E1_NS1_11comp_targetILNS1_3genE2ELNS1_11target_archE906ELNS1_3gpuE6ELNS1_3repE0EEENS1_59segmented_radix_sort_warp_sort_small_config_static_selectorELNS0_4arch9wavefront6targetE0EEEvSK_
	.p2align	8
	.type	_ZN7rocprim17ROCPRIM_400000_NS6detail17trampoline_kernelINS0_14default_configENS1_36segmented_radix_sort_config_selectorIilEEZNS1_25segmented_radix_sort_implIS3_Lb0EPKiPiPKlPlN2at6native12_GLOBAL__N_18offset_tEEE10hipError_tPvRmT1_PNSt15iterator_traitsISK_E10value_typeET2_T3_PNSL_ISQ_E10value_typeET4_jRbjT5_SW_jjP12ihipStream_tbEUlT_E1_NS1_11comp_targetILNS1_3genE2ELNS1_11target_archE906ELNS1_3gpuE6ELNS1_3repE0EEENS1_59segmented_radix_sort_warp_sort_small_config_static_selectorELNS0_4arch9wavefront6targetE0EEEvSK_,@function
_ZN7rocprim17ROCPRIM_400000_NS6detail17trampoline_kernelINS0_14default_configENS1_36segmented_radix_sort_config_selectorIilEEZNS1_25segmented_radix_sort_implIS3_Lb0EPKiPiPKlPlN2at6native12_GLOBAL__N_18offset_tEEE10hipError_tPvRmT1_PNSt15iterator_traitsISK_E10value_typeET2_T3_PNSL_ISQ_E10value_typeET4_jRbjT5_SW_jjP12ihipStream_tbEUlT_E1_NS1_11comp_targetILNS1_3genE2ELNS1_11target_archE906ELNS1_3gpuE6ELNS1_3repE0EEENS1_59segmented_radix_sort_warp_sort_small_config_static_selectorELNS0_4arch9wavefront6targetE0EEEvSK_: ; @_ZN7rocprim17ROCPRIM_400000_NS6detail17trampoline_kernelINS0_14default_configENS1_36segmented_radix_sort_config_selectorIilEEZNS1_25segmented_radix_sort_implIS3_Lb0EPKiPiPKlPlN2at6native12_GLOBAL__N_18offset_tEEE10hipError_tPvRmT1_PNSt15iterator_traitsISK_E10value_typeET2_T3_PNSL_ISQ_E10value_typeET4_jRbjT5_SW_jjP12ihipStream_tbEUlT_E1_NS1_11comp_targetILNS1_3genE2ELNS1_11target_archE906ELNS1_3gpuE6ELNS1_3repE0EEENS1_59segmented_radix_sort_warp_sort_small_config_static_selectorELNS0_4arch9wavefront6targetE0EEEvSK_
; %bb.0:
	.section	.rodata,"a",@progbits
	.p2align	6, 0x0
	.amdhsa_kernel _ZN7rocprim17ROCPRIM_400000_NS6detail17trampoline_kernelINS0_14default_configENS1_36segmented_radix_sort_config_selectorIilEEZNS1_25segmented_radix_sort_implIS3_Lb0EPKiPiPKlPlN2at6native12_GLOBAL__N_18offset_tEEE10hipError_tPvRmT1_PNSt15iterator_traitsISK_E10value_typeET2_T3_PNSL_ISQ_E10value_typeET4_jRbjT5_SW_jjP12ihipStream_tbEUlT_E1_NS1_11comp_targetILNS1_3genE2ELNS1_11target_archE906ELNS1_3gpuE6ELNS1_3repE0EEENS1_59segmented_radix_sort_warp_sort_small_config_static_selectorELNS0_4arch9wavefront6targetE0EEEvSK_
		.amdhsa_group_segment_fixed_size 0
		.amdhsa_private_segment_fixed_size 0
		.amdhsa_kernarg_size 88
		.amdhsa_user_sgpr_count 6
		.amdhsa_user_sgpr_private_segment_buffer 1
		.amdhsa_user_sgpr_dispatch_ptr 0
		.amdhsa_user_sgpr_queue_ptr 0
		.amdhsa_user_sgpr_kernarg_segment_ptr 1
		.amdhsa_user_sgpr_dispatch_id 0
		.amdhsa_user_sgpr_flat_scratch_init 0
		.amdhsa_user_sgpr_private_segment_size 0
		.amdhsa_wavefront_size32 1
		.amdhsa_uses_dynamic_stack 0
		.amdhsa_system_sgpr_private_segment_wavefront_offset 0
		.amdhsa_system_sgpr_workgroup_id_x 1
		.amdhsa_system_sgpr_workgroup_id_y 0
		.amdhsa_system_sgpr_workgroup_id_z 0
		.amdhsa_system_sgpr_workgroup_info 0
		.amdhsa_system_vgpr_workitem_id 0
		.amdhsa_next_free_vgpr 1
		.amdhsa_next_free_sgpr 1
		.amdhsa_reserve_vcc 0
		.amdhsa_reserve_flat_scratch 0
		.amdhsa_float_round_mode_32 0
		.amdhsa_float_round_mode_16_64 0
		.amdhsa_float_denorm_mode_32 3
		.amdhsa_float_denorm_mode_16_64 3
		.amdhsa_dx10_clamp 1
		.amdhsa_ieee_mode 1
		.amdhsa_fp16_overflow 0
		.amdhsa_workgroup_processor_mode 1
		.amdhsa_memory_ordered 1
		.amdhsa_forward_progress 1
		.amdhsa_shared_vgpr_count 0
		.amdhsa_exception_fp_ieee_invalid_op 0
		.amdhsa_exception_fp_denorm_src 0
		.amdhsa_exception_fp_ieee_div_zero 0
		.amdhsa_exception_fp_ieee_overflow 0
		.amdhsa_exception_fp_ieee_underflow 0
		.amdhsa_exception_fp_ieee_inexact 0
		.amdhsa_exception_int_div_zero 0
	.end_amdhsa_kernel
	.section	.text._ZN7rocprim17ROCPRIM_400000_NS6detail17trampoline_kernelINS0_14default_configENS1_36segmented_radix_sort_config_selectorIilEEZNS1_25segmented_radix_sort_implIS3_Lb0EPKiPiPKlPlN2at6native12_GLOBAL__N_18offset_tEEE10hipError_tPvRmT1_PNSt15iterator_traitsISK_E10value_typeET2_T3_PNSL_ISQ_E10value_typeET4_jRbjT5_SW_jjP12ihipStream_tbEUlT_E1_NS1_11comp_targetILNS1_3genE2ELNS1_11target_archE906ELNS1_3gpuE6ELNS1_3repE0EEENS1_59segmented_radix_sort_warp_sort_small_config_static_selectorELNS0_4arch9wavefront6targetE0EEEvSK_,"axG",@progbits,_ZN7rocprim17ROCPRIM_400000_NS6detail17trampoline_kernelINS0_14default_configENS1_36segmented_radix_sort_config_selectorIilEEZNS1_25segmented_radix_sort_implIS3_Lb0EPKiPiPKlPlN2at6native12_GLOBAL__N_18offset_tEEE10hipError_tPvRmT1_PNSt15iterator_traitsISK_E10value_typeET2_T3_PNSL_ISQ_E10value_typeET4_jRbjT5_SW_jjP12ihipStream_tbEUlT_E1_NS1_11comp_targetILNS1_3genE2ELNS1_11target_archE906ELNS1_3gpuE6ELNS1_3repE0EEENS1_59segmented_radix_sort_warp_sort_small_config_static_selectorELNS0_4arch9wavefront6targetE0EEEvSK_,comdat
.Lfunc_end619:
	.size	_ZN7rocprim17ROCPRIM_400000_NS6detail17trampoline_kernelINS0_14default_configENS1_36segmented_radix_sort_config_selectorIilEEZNS1_25segmented_radix_sort_implIS3_Lb0EPKiPiPKlPlN2at6native12_GLOBAL__N_18offset_tEEE10hipError_tPvRmT1_PNSt15iterator_traitsISK_E10value_typeET2_T3_PNSL_ISQ_E10value_typeET4_jRbjT5_SW_jjP12ihipStream_tbEUlT_E1_NS1_11comp_targetILNS1_3genE2ELNS1_11target_archE906ELNS1_3gpuE6ELNS1_3repE0EEENS1_59segmented_radix_sort_warp_sort_small_config_static_selectorELNS0_4arch9wavefront6targetE0EEEvSK_, .Lfunc_end619-_ZN7rocprim17ROCPRIM_400000_NS6detail17trampoline_kernelINS0_14default_configENS1_36segmented_radix_sort_config_selectorIilEEZNS1_25segmented_radix_sort_implIS3_Lb0EPKiPiPKlPlN2at6native12_GLOBAL__N_18offset_tEEE10hipError_tPvRmT1_PNSt15iterator_traitsISK_E10value_typeET2_T3_PNSL_ISQ_E10value_typeET4_jRbjT5_SW_jjP12ihipStream_tbEUlT_E1_NS1_11comp_targetILNS1_3genE2ELNS1_11target_archE906ELNS1_3gpuE6ELNS1_3repE0EEENS1_59segmented_radix_sort_warp_sort_small_config_static_selectorELNS0_4arch9wavefront6targetE0EEEvSK_
                                        ; -- End function
	.set _ZN7rocprim17ROCPRIM_400000_NS6detail17trampoline_kernelINS0_14default_configENS1_36segmented_radix_sort_config_selectorIilEEZNS1_25segmented_radix_sort_implIS3_Lb0EPKiPiPKlPlN2at6native12_GLOBAL__N_18offset_tEEE10hipError_tPvRmT1_PNSt15iterator_traitsISK_E10value_typeET2_T3_PNSL_ISQ_E10value_typeET4_jRbjT5_SW_jjP12ihipStream_tbEUlT_E1_NS1_11comp_targetILNS1_3genE2ELNS1_11target_archE906ELNS1_3gpuE6ELNS1_3repE0EEENS1_59segmented_radix_sort_warp_sort_small_config_static_selectorELNS0_4arch9wavefront6targetE0EEEvSK_.num_vgpr, 0
	.set _ZN7rocprim17ROCPRIM_400000_NS6detail17trampoline_kernelINS0_14default_configENS1_36segmented_radix_sort_config_selectorIilEEZNS1_25segmented_radix_sort_implIS3_Lb0EPKiPiPKlPlN2at6native12_GLOBAL__N_18offset_tEEE10hipError_tPvRmT1_PNSt15iterator_traitsISK_E10value_typeET2_T3_PNSL_ISQ_E10value_typeET4_jRbjT5_SW_jjP12ihipStream_tbEUlT_E1_NS1_11comp_targetILNS1_3genE2ELNS1_11target_archE906ELNS1_3gpuE6ELNS1_3repE0EEENS1_59segmented_radix_sort_warp_sort_small_config_static_selectorELNS0_4arch9wavefront6targetE0EEEvSK_.num_agpr, 0
	.set _ZN7rocprim17ROCPRIM_400000_NS6detail17trampoline_kernelINS0_14default_configENS1_36segmented_radix_sort_config_selectorIilEEZNS1_25segmented_radix_sort_implIS3_Lb0EPKiPiPKlPlN2at6native12_GLOBAL__N_18offset_tEEE10hipError_tPvRmT1_PNSt15iterator_traitsISK_E10value_typeET2_T3_PNSL_ISQ_E10value_typeET4_jRbjT5_SW_jjP12ihipStream_tbEUlT_E1_NS1_11comp_targetILNS1_3genE2ELNS1_11target_archE906ELNS1_3gpuE6ELNS1_3repE0EEENS1_59segmented_radix_sort_warp_sort_small_config_static_selectorELNS0_4arch9wavefront6targetE0EEEvSK_.numbered_sgpr, 0
	.set _ZN7rocprim17ROCPRIM_400000_NS6detail17trampoline_kernelINS0_14default_configENS1_36segmented_radix_sort_config_selectorIilEEZNS1_25segmented_radix_sort_implIS3_Lb0EPKiPiPKlPlN2at6native12_GLOBAL__N_18offset_tEEE10hipError_tPvRmT1_PNSt15iterator_traitsISK_E10value_typeET2_T3_PNSL_ISQ_E10value_typeET4_jRbjT5_SW_jjP12ihipStream_tbEUlT_E1_NS1_11comp_targetILNS1_3genE2ELNS1_11target_archE906ELNS1_3gpuE6ELNS1_3repE0EEENS1_59segmented_radix_sort_warp_sort_small_config_static_selectorELNS0_4arch9wavefront6targetE0EEEvSK_.num_named_barrier, 0
	.set _ZN7rocprim17ROCPRIM_400000_NS6detail17trampoline_kernelINS0_14default_configENS1_36segmented_radix_sort_config_selectorIilEEZNS1_25segmented_radix_sort_implIS3_Lb0EPKiPiPKlPlN2at6native12_GLOBAL__N_18offset_tEEE10hipError_tPvRmT1_PNSt15iterator_traitsISK_E10value_typeET2_T3_PNSL_ISQ_E10value_typeET4_jRbjT5_SW_jjP12ihipStream_tbEUlT_E1_NS1_11comp_targetILNS1_3genE2ELNS1_11target_archE906ELNS1_3gpuE6ELNS1_3repE0EEENS1_59segmented_radix_sort_warp_sort_small_config_static_selectorELNS0_4arch9wavefront6targetE0EEEvSK_.private_seg_size, 0
	.set _ZN7rocprim17ROCPRIM_400000_NS6detail17trampoline_kernelINS0_14default_configENS1_36segmented_radix_sort_config_selectorIilEEZNS1_25segmented_radix_sort_implIS3_Lb0EPKiPiPKlPlN2at6native12_GLOBAL__N_18offset_tEEE10hipError_tPvRmT1_PNSt15iterator_traitsISK_E10value_typeET2_T3_PNSL_ISQ_E10value_typeET4_jRbjT5_SW_jjP12ihipStream_tbEUlT_E1_NS1_11comp_targetILNS1_3genE2ELNS1_11target_archE906ELNS1_3gpuE6ELNS1_3repE0EEENS1_59segmented_radix_sort_warp_sort_small_config_static_selectorELNS0_4arch9wavefront6targetE0EEEvSK_.uses_vcc, 0
	.set _ZN7rocprim17ROCPRIM_400000_NS6detail17trampoline_kernelINS0_14default_configENS1_36segmented_radix_sort_config_selectorIilEEZNS1_25segmented_radix_sort_implIS3_Lb0EPKiPiPKlPlN2at6native12_GLOBAL__N_18offset_tEEE10hipError_tPvRmT1_PNSt15iterator_traitsISK_E10value_typeET2_T3_PNSL_ISQ_E10value_typeET4_jRbjT5_SW_jjP12ihipStream_tbEUlT_E1_NS1_11comp_targetILNS1_3genE2ELNS1_11target_archE906ELNS1_3gpuE6ELNS1_3repE0EEENS1_59segmented_radix_sort_warp_sort_small_config_static_selectorELNS0_4arch9wavefront6targetE0EEEvSK_.uses_flat_scratch, 0
	.set _ZN7rocprim17ROCPRIM_400000_NS6detail17trampoline_kernelINS0_14default_configENS1_36segmented_radix_sort_config_selectorIilEEZNS1_25segmented_radix_sort_implIS3_Lb0EPKiPiPKlPlN2at6native12_GLOBAL__N_18offset_tEEE10hipError_tPvRmT1_PNSt15iterator_traitsISK_E10value_typeET2_T3_PNSL_ISQ_E10value_typeET4_jRbjT5_SW_jjP12ihipStream_tbEUlT_E1_NS1_11comp_targetILNS1_3genE2ELNS1_11target_archE906ELNS1_3gpuE6ELNS1_3repE0EEENS1_59segmented_radix_sort_warp_sort_small_config_static_selectorELNS0_4arch9wavefront6targetE0EEEvSK_.has_dyn_sized_stack, 0
	.set _ZN7rocprim17ROCPRIM_400000_NS6detail17trampoline_kernelINS0_14default_configENS1_36segmented_radix_sort_config_selectorIilEEZNS1_25segmented_radix_sort_implIS3_Lb0EPKiPiPKlPlN2at6native12_GLOBAL__N_18offset_tEEE10hipError_tPvRmT1_PNSt15iterator_traitsISK_E10value_typeET2_T3_PNSL_ISQ_E10value_typeET4_jRbjT5_SW_jjP12ihipStream_tbEUlT_E1_NS1_11comp_targetILNS1_3genE2ELNS1_11target_archE906ELNS1_3gpuE6ELNS1_3repE0EEENS1_59segmented_radix_sort_warp_sort_small_config_static_selectorELNS0_4arch9wavefront6targetE0EEEvSK_.has_recursion, 0
	.set _ZN7rocprim17ROCPRIM_400000_NS6detail17trampoline_kernelINS0_14default_configENS1_36segmented_radix_sort_config_selectorIilEEZNS1_25segmented_radix_sort_implIS3_Lb0EPKiPiPKlPlN2at6native12_GLOBAL__N_18offset_tEEE10hipError_tPvRmT1_PNSt15iterator_traitsISK_E10value_typeET2_T3_PNSL_ISQ_E10value_typeET4_jRbjT5_SW_jjP12ihipStream_tbEUlT_E1_NS1_11comp_targetILNS1_3genE2ELNS1_11target_archE906ELNS1_3gpuE6ELNS1_3repE0EEENS1_59segmented_radix_sort_warp_sort_small_config_static_selectorELNS0_4arch9wavefront6targetE0EEEvSK_.has_indirect_call, 0
	.section	.AMDGPU.csdata,"",@progbits
; Kernel info:
; codeLenInByte = 0
; TotalNumSgprs: 0
; NumVgprs: 0
; ScratchSize: 0
; MemoryBound: 0
; FloatMode: 240
; IeeeMode: 1
; LDSByteSize: 0 bytes/workgroup (compile time only)
; SGPRBlocks: 0
; VGPRBlocks: 0
; NumSGPRsForWavesPerEU: 1
; NumVGPRsForWavesPerEU: 1
; Occupancy: 16
; WaveLimiterHint : 0
; COMPUTE_PGM_RSRC2:SCRATCH_EN: 0
; COMPUTE_PGM_RSRC2:USER_SGPR: 6
; COMPUTE_PGM_RSRC2:TRAP_HANDLER: 0
; COMPUTE_PGM_RSRC2:TGID_X_EN: 1
; COMPUTE_PGM_RSRC2:TGID_Y_EN: 0
; COMPUTE_PGM_RSRC2:TGID_Z_EN: 0
; COMPUTE_PGM_RSRC2:TIDIG_COMP_CNT: 0
	.section	.text._ZN7rocprim17ROCPRIM_400000_NS6detail17trampoline_kernelINS0_14default_configENS1_36segmented_radix_sort_config_selectorIilEEZNS1_25segmented_radix_sort_implIS3_Lb0EPKiPiPKlPlN2at6native12_GLOBAL__N_18offset_tEEE10hipError_tPvRmT1_PNSt15iterator_traitsISK_E10value_typeET2_T3_PNSL_ISQ_E10value_typeET4_jRbjT5_SW_jjP12ihipStream_tbEUlT_E1_NS1_11comp_targetILNS1_3genE10ELNS1_11target_archE1201ELNS1_3gpuE5ELNS1_3repE0EEENS1_59segmented_radix_sort_warp_sort_small_config_static_selectorELNS0_4arch9wavefront6targetE0EEEvSK_,"axG",@progbits,_ZN7rocprim17ROCPRIM_400000_NS6detail17trampoline_kernelINS0_14default_configENS1_36segmented_radix_sort_config_selectorIilEEZNS1_25segmented_radix_sort_implIS3_Lb0EPKiPiPKlPlN2at6native12_GLOBAL__N_18offset_tEEE10hipError_tPvRmT1_PNSt15iterator_traitsISK_E10value_typeET2_T3_PNSL_ISQ_E10value_typeET4_jRbjT5_SW_jjP12ihipStream_tbEUlT_E1_NS1_11comp_targetILNS1_3genE10ELNS1_11target_archE1201ELNS1_3gpuE5ELNS1_3repE0EEENS1_59segmented_radix_sort_warp_sort_small_config_static_selectorELNS0_4arch9wavefront6targetE0EEEvSK_,comdat
	.globl	_ZN7rocprim17ROCPRIM_400000_NS6detail17trampoline_kernelINS0_14default_configENS1_36segmented_radix_sort_config_selectorIilEEZNS1_25segmented_radix_sort_implIS3_Lb0EPKiPiPKlPlN2at6native12_GLOBAL__N_18offset_tEEE10hipError_tPvRmT1_PNSt15iterator_traitsISK_E10value_typeET2_T3_PNSL_ISQ_E10value_typeET4_jRbjT5_SW_jjP12ihipStream_tbEUlT_E1_NS1_11comp_targetILNS1_3genE10ELNS1_11target_archE1201ELNS1_3gpuE5ELNS1_3repE0EEENS1_59segmented_radix_sort_warp_sort_small_config_static_selectorELNS0_4arch9wavefront6targetE0EEEvSK_ ; -- Begin function _ZN7rocprim17ROCPRIM_400000_NS6detail17trampoline_kernelINS0_14default_configENS1_36segmented_radix_sort_config_selectorIilEEZNS1_25segmented_radix_sort_implIS3_Lb0EPKiPiPKlPlN2at6native12_GLOBAL__N_18offset_tEEE10hipError_tPvRmT1_PNSt15iterator_traitsISK_E10value_typeET2_T3_PNSL_ISQ_E10value_typeET4_jRbjT5_SW_jjP12ihipStream_tbEUlT_E1_NS1_11comp_targetILNS1_3genE10ELNS1_11target_archE1201ELNS1_3gpuE5ELNS1_3repE0EEENS1_59segmented_radix_sort_warp_sort_small_config_static_selectorELNS0_4arch9wavefront6targetE0EEEvSK_
	.p2align	8
	.type	_ZN7rocprim17ROCPRIM_400000_NS6detail17trampoline_kernelINS0_14default_configENS1_36segmented_radix_sort_config_selectorIilEEZNS1_25segmented_radix_sort_implIS3_Lb0EPKiPiPKlPlN2at6native12_GLOBAL__N_18offset_tEEE10hipError_tPvRmT1_PNSt15iterator_traitsISK_E10value_typeET2_T3_PNSL_ISQ_E10value_typeET4_jRbjT5_SW_jjP12ihipStream_tbEUlT_E1_NS1_11comp_targetILNS1_3genE10ELNS1_11target_archE1201ELNS1_3gpuE5ELNS1_3repE0EEENS1_59segmented_radix_sort_warp_sort_small_config_static_selectorELNS0_4arch9wavefront6targetE0EEEvSK_,@function
_ZN7rocprim17ROCPRIM_400000_NS6detail17trampoline_kernelINS0_14default_configENS1_36segmented_radix_sort_config_selectorIilEEZNS1_25segmented_radix_sort_implIS3_Lb0EPKiPiPKlPlN2at6native12_GLOBAL__N_18offset_tEEE10hipError_tPvRmT1_PNSt15iterator_traitsISK_E10value_typeET2_T3_PNSL_ISQ_E10value_typeET4_jRbjT5_SW_jjP12ihipStream_tbEUlT_E1_NS1_11comp_targetILNS1_3genE10ELNS1_11target_archE1201ELNS1_3gpuE5ELNS1_3repE0EEENS1_59segmented_radix_sort_warp_sort_small_config_static_selectorELNS0_4arch9wavefront6targetE0EEEvSK_: ; @_ZN7rocprim17ROCPRIM_400000_NS6detail17trampoline_kernelINS0_14default_configENS1_36segmented_radix_sort_config_selectorIilEEZNS1_25segmented_radix_sort_implIS3_Lb0EPKiPiPKlPlN2at6native12_GLOBAL__N_18offset_tEEE10hipError_tPvRmT1_PNSt15iterator_traitsISK_E10value_typeET2_T3_PNSL_ISQ_E10value_typeET4_jRbjT5_SW_jjP12ihipStream_tbEUlT_E1_NS1_11comp_targetILNS1_3genE10ELNS1_11target_archE1201ELNS1_3gpuE5ELNS1_3repE0EEENS1_59segmented_radix_sort_warp_sort_small_config_static_selectorELNS0_4arch9wavefront6targetE0EEEvSK_
; %bb.0:
	.section	.rodata,"a",@progbits
	.p2align	6, 0x0
	.amdhsa_kernel _ZN7rocprim17ROCPRIM_400000_NS6detail17trampoline_kernelINS0_14default_configENS1_36segmented_radix_sort_config_selectorIilEEZNS1_25segmented_radix_sort_implIS3_Lb0EPKiPiPKlPlN2at6native12_GLOBAL__N_18offset_tEEE10hipError_tPvRmT1_PNSt15iterator_traitsISK_E10value_typeET2_T3_PNSL_ISQ_E10value_typeET4_jRbjT5_SW_jjP12ihipStream_tbEUlT_E1_NS1_11comp_targetILNS1_3genE10ELNS1_11target_archE1201ELNS1_3gpuE5ELNS1_3repE0EEENS1_59segmented_radix_sort_warp_sort_small_config_static_selectorELNS0_4arch9wavefront6targetE0EEEvSK_
		.amdhsa_group_segment_fixed_size 0
		.amdhsa_private_segment_fixed_size 0
		.amdhsa_kernarg_size 88
		.amdhsa_user_sgpr_count 6
		.amdhsa_user_sgpr_private_segment_buffer 1
		.amdhsa_user_sgpr_dispatch_ptr 0
		.amdhsa_user_sgpr_queue_ptr 0
		.amdhsa_user_sgpr_kernarg_segment_ptr 1
		.amdhsa_user_sgpr_dispatch_id 0
		.amdhsa_user_sgpr_flat_scratch_init 0
		.amdhsa_user_sgpr_private_segment_size 0
		.amdhsa_wavefront_size32 1
		.amdhsa_uses_dynamic_stack 0
		.amdhsa_system_sgpr_private_segment_wavefront_offset 0
		.amdhsa_system_sgpr_workgroup_id_x 1
		.amdhsa_system_sgpr_workgroup_id_y 0
		.amdhsa_system_sgpr_workgroup_id_z 0
		.amdhsa_system_sgpr_workgroup_info 0
		.amdhsa_system_vgpr_workitem_id 0
		.amdhsa_next_free_vgpr 1
		.amdhsa_next_free_sgpr 1
		.amdhsa_reserve_vcc 0
		.amdhsa_reserve_flat_scratch 0
		.amdhsa_float_round_mode_32 0
		.amdhsa_float_round_mode_16_64 0
		.amdhsa_float_denorm_mode_32 3
		.amdhsa_float_denorm_mode_16_64 3
		.amdhsa_dx10_clamp 1
		.amdhsa_ieee_mode 1
		.amdhsa_fp16_overflow 0
		.amdhsa_workgroup_processor_mode 1
		.amdhsa_memory_ordered 1
		.amdhsa_forward_progress 1
		.amdhsa_shared_vgpr_count 0
		.amdhsa_exception_fp_ieee_invalid_op 0
		.amdhsa_exception_fp_denorm_src 0
		.amdhsa_exception_fp_ieee_div_zero 0
		.amdhsa_exception_fp_ieee_overflow 0
		.amdhsa_exception_fp_ieee_underflow 0
		.amdhsa_exception_fp_ieee_inexact 0
		.amdhsa_exception_int_div_zero 0
	.end_amdhsa_kernel
	.section	.text._ZN7rocprim17ROCPRIM_400000_NS6detail17trampoline_kernelINS0_14default_configENS1_36segmented_radix_sort_config_selectorIilEEZNS1_25segmented_radix_sort_implIS3_Lb0EPKiPiPKlPlN2at6native12_GLOBAL__N_18offset_tEEE10hipError_tPvRmT1_PNSt15iterator_traitsISK_E10value_typeET2_T3_PNSL_ISQ_E10value_typeET4_jRbjT5_SW_jjP12ihipStream_tbEUlT_E1_NS1_11comp_targetILNS1_3genE10ELNS1_11target_archE1201ELNS1_3gpuE5ELNS1_3repE0EEENS1_59segmented_radix_sort_warp_sort_small_config_static_selectorELNS0_4arch9wavefront6targetE0EEEvSK_,"axG",@progbits,_ZN7rocprim17ROCPRIM_400000_NS6detail17trampoline_kernelINS0_14default_configENS1_36segmented_radix_sort_config_selectorIilEEZNS1_25segmented_radix_sort_implIS3_Lb0EPKiPiPKlPlN2at6native12_GLOBAL__N_18offset_tEEE10hipError_tPvRmT1_PNSt15iterator_traitsISK_E10value_typeET2_T3_PNSL_ISQ_E10value_typeET4_jRbjT5_SW_jjP12ihipStream_tbEUlT_E1_NS1_11comp_targetILNS1_3genE10ELNS1_11target_archE1201ELNS1_3gpuE5ELNS1_3repE0EEENS1_59segmented_radix_sort_warp_sort_small_config_static_selectorELNS0_4arch9wavefront6targetE0EEEvSK_,comdat
.Lfunc_end620:
	.size	_ZN7rocprim17ROCPRIM_400000_NS6detail17trampoline_kernelINS0_14default_configENS1_36segmented_radix_sort_config_selectorIilEEZNS1_25segmented_radix_sort_implIS3_Lb0EPKiPiPKlPlN2at6native12_GLOBAL__N_18offset_tEEE10hipError_tPvRmT1_PNSt15iterator_traitsISK_E10value_typeET2_T3_PNSL_ISQ_E10value_typeET4_jRbjT5_SW_jjP12ihipStream_tbEUlT_E1_NS1_11comp_targetILNS1_3genE10ELNS1_11target_archE1201ELNS1_3gpuE5ELNS1_3repE0EEENS1_59segmented_radix_sort_warp_sort_small_config_static_selectorELNS0_4arch9wavefront6targetE0EEEvSK_, .Lfunc_end620-_ZN7rocprim17ROCPRIM_400000_NS6detail17trampoline_kernelINS0_14default_configENS1_36segmented_radix_sort_config_selectorIilEEZNS1_25segmented_radix_sort_implIS3_Lb0EPKiPiPKlPlN2at6native12_GLOBAL__N_18offset_tEEE10hipError_tPvRmT1_PNSt15iterator_traitsISK_E10value_typeET2_T3_PNSL_ISQ_E10value_typeET4_jRbjT5_SW_jjP12ihipStream_tbEUlT_E1_NS1_11comp_targetILNS1_3genE10ELNS1_11target_archE1201ELNS1_3gpuE5ELNS1_3repE0EEENS1_59segmented_radix_sort_warp_sort_small_config_static_selectorELNS0_4arch9wavefront6targetE0EEEvSK_
                                        ; -- End function
	.set _ZN7rocprim17ROCPRIM_400000_NS6detail17trampoline_kernelINS0_14default_configENS1_36segmented_radix_sort_config_selectorIilEEZNS1_25segmented_radix_sort_implIS3_Lb0EPKiPiPKlPlN2at6native12_GLOBAL__N_18offset_tEEE10hipError_tPvRmT1_PNSt15iterator_traitsISK_E10value_typeET2_T3_PNSL_ISQ_E10value_typeET4_jRbjT5_SW_jjP12ihipStream_tbEUlT_E1_NS1_11comp_targetILNS1_3genE10ELNS1_11target_archE1201ELNS1_3gpuE5ELNS1_3repE0EEENS1_59segmented_radix_sort_warp_sort_small_config_static_selectorELNS0_4arch9wavefront6targetE0EEEvSK_.num_vgpr, 0
	.set _ZN7rocprim17ROCPRIM_400000_NS6detail17trampoline_kernelINS0_14default_configENS1_36segmented_radix_sort_config_selectorIilEEZNS1_25segmented_radix_sort_implIS3_Lb0EPKiPiPKlPlN2at6native12_GLOBAL__N_18offset_tEEE10hipError_tPvRmT1_PNSt15iterator_traitsISK_E10value_typeET2_T3_PNSL_ISQ_E10value_typeET4_jRbjT5_SW_jjP12ihipStream_tbEUlT_E1_NS1_11comp_targetILNS1_3genE10ELNS1_11target_archE1201ELNS1_3gpuE5ELNS1_3repE0EEENS1_59segmented_radix_sort_warp_sort_small_config_static_selectorELNS0_4arch9wavefront6targetE0EEEvSK_.num_agpr, 0
	.set _ZN7rocprim17ROCPRIM_400000_NS6detail17trampoline_kernelINS0_14default_configENS1_36segmented_radix_sort_config_selectorIilEEZNS1_25segmented_radix_sort_implIS3_Lb0EPKiPiPKlPlN2at6native12_GLOBAL__N_18offset_tEEE10hipError_tPvRmT1_PNSt15iterator_traitsISK_E10value_typeET2_T3_PNSL_ISQ_E10value_typeET4_jRbjT5_SW_jjP12ihipStream_tbEUlT_E1_NS1_11comp_targetILNS1_3genE10ELNS1_11target_archE1201ELNS1_3gpuE5ELNS1_3repE0EEENS1_59segmented_radix_sort_warp_sort_small_config_static_selectorELNS0_4arch9wavefront6targetE0EEEvSK_.numbered_sgpr, 0
	.set _ZN7rocprim17ROCPRIM_400000_NS6detail17trampoline_kernelINS0_14default_configENS1_36segmented_radix_sort_config_selectorIilEEZNS1_25segmented_radix_sort_implIS3_Lb0EPKiPiPKlPlN2at6native12_GLOBAL__N_18offset_tEEE10hipError_tPvRmT1_PNSt15iterator_traitsISK_E10value_typeET2_T3_PNSL_ISQ_E10value_typeET4_jRbjT5_SW_jjP12ihipStream_tbEUlT_E1_NS1_11comp_targetILNS1_3genE10ELNS1_11target_archE1201ELNS1_3gpuE5ELNS1_3repE0EEENS1_59segmented_radix_sort_warp_sort_small_config_static_selectorELNS0_4arch9wavefront6targetE0EEEvSK_.num_named_barrier, 0
	.set _ZN7rocprim17ROCPRIM_400000_NS6detail17trampoline_kernelINS0_14default_configENS1_36segmented_radix_sort_config_selectorIilEEZNS1_25segmented_radix_sort_implIS3_Lb0EPKiPiPKlPlN2at6native12_GLOBAL__N_18offset_tEEE10hipError_tPvRmT1_PNSt15iterator_traitsISK_E10value_typeET2_T3_PNSL_ISQ_E10value_typeET4_jRbjT5_SW_jjP12ihipStream_tbEUlT_E1_NS1_11comp_targetILNS1_3genE10ELNS1_11target_archE1201ELNS1_3gpuE5ELNS1_3repE0EEENS1_59segmented_radix_sort_warp_sort_small_config_static_selectorELNS0_4arch9wavefront6targetE0EEEvSK_.private_seg_size, 0
	.set _ZN7rocprim17ROCPRIM_400000_NS6detail17trampoline_kernelINS0_14default_configENS1_36segmented_radix_sort_config_selectorIilEEZNS1_25segmented_radix_sort_implIS3_Lb0EPKiPiPKlPlN2at6native12_GLOBAL__N_18offset_tEEE10hipError_tPvRmT1_PNSt15iterator_traitsISK_E10value_typeET2_T3_PNSL_ISQ_E10value_typeET4_jRbjT5_SW_jjP12ihipStream_tbEUlT_E1_NS1_11comp_targetILNS1_3genE10ELNS1_11target_archE1201ELNS1_3gpuE5ELNS1_3repE0EEENS1_59segmented_radix_sort_warp_sort_small_config_static_selectorELNS0_4arch9wavefront6targetE0EEEvSK_.uses_vcc, 0
	.set _ZN7rocprim17ROCPRIM_400000_NS6detail17trampoline_kernelINS0_14default_configENS1_36segmented_radix_sort_config_selectorIilEEZNS1_25segmented_radix_sort_implIS3_Lb0EPKiPiPKlPlN2at6native12_GLOBAL__N_18offset_tEEE10hipError_tPvRmT1_PNSt15iterator_traitsISK_E10value_typeET2_T3_PNSL_ISQ_E10value_typeET4_jRbjT5_SW_jjP12ihipStream_tbEUlT_E1_NS1_11comp_targetILNS1_3genE10ELNS1_11target_archE1201ELNS1_3gpuE5ELNS1_3repE0EEENS1_59segmented_radix_sort_warp_sort_small_config_static_selectorELNS0_4arch9wavefront6targetE0EEEvSK_.uses_flat_scratch, 0
	.set _ZN7rocprim17ROCPRIM_400000_NS6detail17trampoline_kernelINS0_14default_configENS1_36segmented_radix_sort_config_selectorIilEEZNS1_25segmented_radix_sort_implIS3_Lb0EPKiPiPKlPlN2at6native12_GLOBAL__N_18offset_tEEE10hipError_tPvRmT1_PNSt15iterator_traitsISK_E10value_typeET2_T3_PNSL_ISQ_E10value_typeET4_jRbjT5_SW_jjP12ihipStream_tbEUlT_E1_NS1_11comp_targetILNS1_3genE10ELNS1_11target_archE1201ELNS1_3gpuE5ELNS1_3repE0EEENS1_59segmented_radix_sort_warp_sort_small_config_static_selectorELNS0_4arch9wavefront6targetE0EEEvSK_.has_dyn_sized_stack, 0
	.set _ZN7rocprim17ROCPRIM_400000_NS6detail17trampoline_kernelINS0_14default_configENS1_36segmented_radix_sort_config_selectorIilEEZNS1_25segmented_radix_sort_implIS3_Lb0EPKiPiPKlPlN2at6native12_GLOBAL__N_18offset_tEEE10hipError_tPvRmT1_PNSt15iterator_traitsISK_E10value_typeET2_T3_PNSL_ISQ_E10value_typeET4_jRbjT5_SW_jjP12ihipStream_tbEUlT_E1_NS1_11comp_targetILNS1_3genE10ELNS1_11target_archE1201ELNS1_3gpuE5ELNS1_3repE0EEENS1_59segmented_radix_sort_warp_sort_small_config_static_selectorELNS0_4arch9wavefront6targetE0EEEvSK_.has_recursion, 0
	.set _ZN7rocprim17ROCPRIM_400000_NS6detail17trampoline_kernelINS0_14default_configENS1_36segmented_radix_sort_config_selectorIilEEZNS1_25segmented_radix_sort_implIS3_Lb0EPKiPiPKlPlN2at6native12_GLOBAL__N_18offset_tEEE10hipError_tPvRmT1_PNSt15iterator_traitsISK_E10value_typeET2_T3_PNSL_ISQ_E10value_typeET4_jRbjT5_SW_jjP12ihipStream_tbEUlT_E1_NS1_11comp_targetILNS1_3genE10ELNS1_11target_archE1201ELNS1_3gpuE5ELNS1_3repE0EEENS1_59segmented_radix_sort_warp_sort_small_config_static_selectorELNS0_4arch9wavefront6targetE0EEEvSK_.has_indirect_call, 0
	.section	.AMDGPU.csdata,"",@progbits
; Kernel info:
; codeLenInByte = 0
; TotalNumSgprs: 0
; NumVgprs: 0
; ScratchSize: 0
; MemoryBound: 0
; FloatMode: 240
; IeeeMode: 1
; LDSByteSize: 0 bytes/workgroup (compile time only)
; SGPRBlocks: 0
; VGPRBlocks: 0
; NumSGPRsForWavesPerEU: 1
; NumVGPRsForWavesPerEU: 1
; Occupancy: 16
; WaveLimiterHint : 0
; COMPUTE_PGM_RSRC2:SCRATCH_EN: 0
; COMPUTE_PGM_RSRC2:USER_SGPR: 6
; COMPUTE_PGM_RSRC2:TRAP_HANDLER: 0
; COMPUTE_PGM_RSRC2:TGID_X_EN: 1
; COMPUTE_PGM_RSRC2:TGID_Y_EN: 0
; COMPUTE_PGM_RSRC2:TGID_Z_EN: 0
; COMPUTE_PGM_RSRC2:TIDIG_COMP_CNT: 0
	.section	.text._ZN7rocprim17ROCPRIM_400000_NS6detail17trampoline_kernelINS0_14default_configENS1_36segmented_radix_sort_config_selectorIilEEZNS1_25segmented_radix_sort_implIS3_Lb0EPKiPiPKlPlN2at6native12_GLOBAL__N_18offset_tEEE10hipError_tPvRmT1_PNSt15iterator_traitsISK_E10value_typeET2_T3_PNSL_ISQ_E10value_typeET4_jRbjT5_SW_jjP12ihipStream_tbEUlT_E1_NS1_11comp_targetILNS1_3genE10ELNS1_11target_archE1200ELNS1_3gpuE4ELNS1_3repE0EEENS1_59segmented_radix_sort_warp_sort_small_config_static_selectorELNS0_4arch9wavefront6targetE0EEEvSK_,"axG",@progbits,_ZN7rocprim17ROCPRIM_400000_NS6detail17trampoline_kernelINS0_14default_configENS1_36segmented_radix_sort_config_selectorIilEEZNS1_25segmented_radix_sort_implIS3_Lb0EPKiPiPKlPlN2at6native12_GLOBAL__N_18offset_tEEE10hipError_tPvRmT1_PNSt15iterator_traitsISK_E10value_typeET2_T3_PNSL_ISQ_E10value_typeET4_jRbjT5_SW_jjP12ihipStream_tbEUlT_E1_NS1_11comp_targetILNS1_3genE10ELNS1_11target_archE1200ELNS1_3gpuE4ELNS1_3repE0EEENS1_59segmented_radix_sort_warp_sort_small_config_static_selectorELNS0_4arch9wavefront6targetE0EEEvSK_,comdat
	.globl	_ZN7rocprim17ROCPRIM_400000_NS6detail17trampoline_kernelINS0_14default_configENS1_36segmented_radix_sort_config_selectorIilEEZNS1_25segmented_radix_sort_implIS3_Lb0EPKiPiPKlPlN2at6native12_GLOBAL__N_18offset_tEEE10hipError_tPvRmT1_PNSt15iterator_traitsISK_E10value_typeET2_T3_PNSL_ISQ_E10value_typeET4_jRbjT5_SW_jjP12ihipStream_tbEUlT_E1_NS1_11comp_targetILNS1_3genE10ELNS1_11target_archE1200ELNS1_3gpuE4ELNS1_3repE0EEENS1_59segmented_radix_sort_warp_sort_small_config_static_selectorELNS0_4arch9wavefront6targetE0EEEvSK_ ; -- Begin function _ZN7rocprim17ROCPRIM_400000_NS6detail17trampoline_kernelINS0_14default_configENS1_36segmented_radix_sort_config_selectorIilEEZNS1_25segmented_radix_sort_implIS3_Lb0EPKiPiPKlPlN2at6native12_GLOBAL__N_18offset_tEEE10hipError_tPvRmT1_PNSt15iterator_traitsISK_E10value_typeET2_T3_PNSL_ISQ_E10value_typeET4_jRbjT5_SW_jjP12ihipStream_tbEUlT_E1_NS1_11comp_targetILNS1_3genE10ELNS1_11target_archE1200ELNS1_3gpuE4ELNS1_3repE0EEENS1_59segmented_radix_sort_warp_sort_small_config_static_selectorELNS0_4arch9wavefront6targetE0EEEvSK_
	.p2align	8
	.type	_ZN7rocprim17ROCPRIM_400000_NS6detail17trampoline_kernelINS0_14default_configENS1_36segmented_radix_sort_config_selectorIilEEZNS1_25segmented_radix_sort_implIS3_Lb0EPKiPiPKlPlN2at6native12_GLOBAL__N_18offset_tEEE10hipError_tPvRmT1_PNSt15iterator_traitsISK_E10value_typeET2_T3_PNSL_ISQ_E10value_typeET4_jRbjT5_SW_jjP12ihipStream_tbEUlT_E1_NS1_11comp_targetILNS1_3genE10ELNS1_11target_archE1200ELNS1_3gpuE4ELNS1_3repE0EEENS1_59segmented_radix_sort_warp_sort_small_config_static_selectorELNS0_4arch9wavefront6targetE0EEEvSK_,@function
_ZN7rocprim17ROCPRIM_400000_NS6detail17trampoline_kernelINS0_14default_configENS1_36segmented_radix_sort_config_selectorIilEEZNS1_25segmented_radix_sort_implIS3_Lb0EPKiPiPKlPlN2at6native12_GLOBAL__N_18offset_tEEE10hipError_tPvRmT1_PNSt15iterator_traitsISK_E10value_typeET2_T3_PNSL_ISQ_E10value_typeET4_jRbjT5_SW_jjP12ihipStream_tbEUlT_E1_NS1_11comp_targetILNS1_3genE10ELNS1_11target_archE1200ELNS1_3gpuE4ELNS1_3repE0EEENS1_59segmented_radix_sort_warp_sort_small_config_static_selectorELNS0_4arch9wavefront6targetE0EEEvSK_: ; @_ZN7rocprim17ROCPRIM_400000_NS6detail17trampoline_kernelINS0_14default_configENS1_36segmented_radix_sort_config_selectorIilEEZNS1_25segmented_radix_sort_implIS3_Lb0EPKiPiPKlPlN2at6native12_GLOBAL__N_18offset_tEEE10hipError_tPvRmT1_PNSt15iterator_traitsISK_E10value_typeET2_T3_PNSL_ISQ_E10value_typeET4_jRbjT5_SW_jjP12ihipStream_tbEUlT_E1_NS1_11comp_targetILNS1_3genE10ELNS1_11target_archE1200ELNS1_3gpuE4ELNS1_3repE0EEENS1_59segmented_radix_sort_warp_sort_small_config_static_selectorELNS0_4arch9wavefront6targetE0EEEvSK_
; %bb.0:
	.section	.rodata,"a",@progbits
	.p2align	6, 0x0
	.amdhsa_kernel _ZN7rocprim17ROCPRIM_400000_NS6detail17trampoline_kernelINS0_14default_configENS1_36segmented_radix_sort_config_selectorIilEEZNS1_25segmented_radix_sort_implIS3_Lb0EPKiPiPKlPlN2at6native12_GLOBAL__N_18offset_tEEE10hipError_tPvRmT1_PNSt15iterator_traitsISK_E10value_typeET2_T3_PNSL_ISQ_E10value_typeET4_jRbjT5_SW_jjP12ihipStream_tbEUlT_E1_NS1_11comp_targetILNS1_3genE10ELNS1_11target_archE1200ELNS1_3gpuE4ELNS1_3repE0EEENS1_59segmented_radix_sort_warp_sort_small_config_static_selectorELNS0_4arch9wavefront6targetE0EEEvSK_
		.amdhsa_group_segment_fixed_size 0
		.amdhsa_private_segment_fixed_size 0
		.amdhsa_kernarg_size 88
		.amdhsa_user_sgpr_count 6
		.amdhsa_user_sgpr_private_segment_buffer 1
		.amdhsa_user_sgpr_dispatch_ptr 0
		.amdhsa_user_sgpr_queue_ptr 0
		.amdhsa_user_sgpr_kernarg_segment_ptr 1
		.amdhsa_user_sgpr_dispatch_id 0
		.amdhsa_user_sgpr_flat_scratch_init 0
		.amdhsa_user_sgpr_private_segment_size 0
		.amdhsa_wavefront_size32 1
		.amdhsa_uses_dynamic_stack 0
		.amdhsa_system_sgpr_private_segment_wavefront_offset 0
		.amdhsa_system_sgpr_workgroup_id_x 1
		.amdhsa_system_sgpr_workgroup_id_y 0
		.amdhsa_system_sgpr_workgroup_id_z 0
		.amdhsa_system_sgpr_workgroup_info 0
		.amdhsa_system_vgpr_workitem_id 0
		.amdhsa_next_free_vgpr 1
		.amdhsa_next_free_sgpr 1
		.amdhsa_reserve_vcc 0
		.amdhsa_reserve_flat_scratch 0
		.amdhsa_float_round_mode_32 0
		.amdhsa_float_round_mode_16_64 0
		.amdhsa_float_denorm_mode_32 3
		.amdhsa_float_denorm_mode_16_64 3
		.amdhsa_dx10_clamp 1
		.amdhsa_ieee_mode 1
		.amdhsa_fp16_overflow 0
		.amdhsa_workgroup_processor_mode 1
		.amdhsa_memory_ordered 1
		.amdhsa_forward_progress 1
		.amdhsa_shared_vgpr_count 0
		.amdhsa_exception_fp_ieee_invalid_op 0
		.amdhsa_exception_fp_denorm_src 0
		.amdhsa_exception_fp_ieee_div_zero 0
		.amdhsa_exception_fp_ieee_overflow 0
		.amdhsa_exception_fp_ieee_underflow 0
		.amdhsa_exception_fp_ieee_inexact 0
		.amdhsa_exception_int_div_zero 0
	.end_amdhsa_kernel
	.section	.text._ZN7rocprim17ROCPRIM_400000_NS6detail17trampoline_kernelINS0_14default_configENS1_36segmented_radix_sort_config_selectorIilEEZNS1_25segmented_radix_sort_implIS3_Lb0EPKiPiPKlPlN2at6native12_GLOBAL__N_18offset_tEEE10hipError_tPvRmT1_PNSt15iterator_traitsISK_E10value_typeET2_T3_PNSL_ISQ_E10value_typeET4_jRbjT5_SW_jjP12ihipStream_tbEUlT_E1_NS1_11comp_targetILNS1_3genE10ELNS1_11target_archE1200ELNS1_3gpuE4ELNS1_3repE0EEENS1_59segmented_radix_sort_warp_sort_small_config_static_selectorELNS0_4arch9wavefront6targetE0EEEvSK_,"axG",@progbits,_ZN7rocprim17ROCPRIM_400000_NS6detail17trampoline_kernelINS0_14default_configENS1_36segmented_radix_sort_config_selectorIilEEZNS1_25segmented_radix_sort_implIS3_Lb0EPKiPiPKlPlN2at6native12_GLOBAL__N_18offset_tEEE10hipError_tPvRmT1_PNSt15iterator_traitsISK_E10value_typeET2_T3_PNSL_ISQ_E10value_typeET4_jRbjT5_SW_jjP12ihipStream_tbEUlT_E1_NS1_11comp_targetILNS1_3genE10ELNS1_11target_archE1200ELNS1_3gpuE4ELNS1_3repE0EEENS1_59segmented_radix_sort_warp_sort_small_config_static_selectorELNS0_4arch9wavefront6targetE0EEEvSK_,comdat
.Lfunc_end621:
	.size	_ZN7rocprim17ROCPRIM_400000_NS6detail17trampoline_kernelINS0_14default_configENS1_36segmented_radix_sort_config_selectorIilEEZNS1_25segmented_radix_sort_implIS3_Lb0EPKiPiPKlPlN2at6native12_GLOBAL__N_18offset_tEEE10hipError_tPvRmT1_PNSt15iterator_traitsISK_E10value_typeET2_T3_PNSL_ISQ_E10value_typeET4_jRbjT5_SW_jjP12ihipStream_tbEUlT_E1_NS1_11comp_targetILNS1_3genE10ELNS1_11target_archE1200ELNS1_3gpuE4ELNS1_3repE0EEENS1_59segmented_radix_sort_warp_sort_small_config_static_selectorELNS0_4arch9wavefront6targetE0EEEvSK_, .Lfunc_end621-_ZN7rocprim17ROCPRIM_400000_NS6detail17trampoline_kernelINS0_14default_configENS1_36segmented_radix_sort_config_selectorIilEEZNS1_25segmented_radix_sort_implIS3_Lb0EPKiPiPKlPlN2at6native12_GLOBAL__N_18offset_tEEE10hipError_tPvRmT1_PNSt15iterator_traitsISK_E10value_typeET2_T3_PNSL_ISQ_E10value_typeET4_jRbjT5_SW_jjP12ihipStream_tbEUlT_E1_NS1_11comp_targetILNS1_3genE10ELNS1_11target_archE1200ELNS1_3gpuE4ELNS1_3repE0EEENS1_59segmented_radix_sort_warp_sort_small_config_static_selectorELNS0_4arch9wavefront6targetE0EEEvSK_
                                        ; -- End function
	.set _ZN7rocprim17ROCPRIM_400000_NS6detail17trampoline_kernelINS0_14default_configENS1_36segmented_radix_sort_config_selectorIilEEZNS1_25segmented_radix_sort_implIS3_Lb0EPKiPiPKlPlN2at6native12_GLOBAL__N_18offset_tEEE10hipError_tPvRmT1_PNSt15iterator_traitsISK_E10value_typeET2_T3_PNSL_ISQ_E10value_typeET4_jRbjT5_SW_jjP12ihipStream_tbEUlT_E1_NS1_11comp_targetILNS1_3genE10ELNS1_11target_archE1200ELNS1_3gpuE4ELNS1_3repE0EEENS1_59segmented_radix_sort_warp_sort_small_config_static_selectorELNS0_4arch9wavefront6targetE0EEEvSK_.num_vgpr, 0
	.set _ZN7rocprim17ROCPRIM_400000_NS6detail17trampoline_kernelINS0_14default_configENS1_36segmented_radix_sort_config_selectorIilEEZNS1_25segmented_radix_sort_implIS3_Lb0EPKiPiPKlPlN2at6native12_GLOBAL__N_18offset_tEEE10hipError_tPvRmT1_PNSt15iterator_traitsISK_E10value_typeET2_T3_PNSL_ISQ_E10value_typeET4_jRbjT5_SW_jjP12ihipStream_tbEUlT_E1_NS1_11comp_targetILNS1_3genE10ELNS1_11target_archE1200ELNS1_3gpuE4ELNS1_3repE0EEENS1_59segmented_radix_sort_warp_sort_small_config_static_selectorELNS0_4arch9wavefront6targetE0EEEvSK_.num_agpr, 0
	.set _ZN7rocprim17ROCPRIM_400000_NS6detail17trampoline_kernelINS0_14default_configENS1_36segmented_radix_sort_config_selectorIilEEZNS1_25segmented_radix_sort_implIS3_Lb0EPKiPiPKlPlN2at6native12_GLOBAL__N_18offset_tEEE10hipError_tPvRmT1_PNSt15iterator_traitsISK_E10value_typeET2_T3_PNSL_ISQ_E10value_typeET4_jRbjT5_SW_jjP12ihipStream_tbEUlT_E1_NS1_11comp_targetILNS1_3genE10ELNS1_11target_archE1200ELNS1_3gpuE4ELNS1_3repE0EEENS1_59segmented_radix_sort_warp_sort_small_config_static_selectorELNS0_4arch9wavefront6targetE0EEEvSK_.numbered_sgpr, 0
	.set _ZN7rocprim17ROCPRIM_400000_NS6detail17trampoline_kernelINS0_14default_configENS1_36segmented_radix_sort_config_selectorIilEEZNS1_25segmented_radix_sort_implIS3_Lb0EPKiPiPKlPlN2at6native12_GLOBAL__N_18offset_tEEE10hipError_tPvRmT1_PNSt15iterator_traitsISK_E10value_typeET2_T3_PNSL_ISQ_E10value_typeET4_jRbjT5_SW_jjP12ihipStream_tbEUlT_E1_NS1_11comp_targetILNS1_3genE10ELNS1_11target_archE1200ELNS1_3gpuE4ELNS1_3repE0EEENS1_59segmented_radix_sort_warp_sort_small_config_static_selectorELNS0_4arch9wavefront6targetE0EEEvSK_.num_named_barrier, 0
	.set _ZN7rocprim17ROCPRIM_400000_NS6detail17trampoline_kernelINS0_14default_configENS1_36segmented_radix_sort_config_selectorIilEEZNS1_25segmented_radix_sort_implIS3_Lb0EPKiPiPKlPlN2at6native12_GLOBAL__N_18offset_tEEE10hipError_tPvRmT1_PNSt15iterator_traitsISK_E10value_typeET2_T3_PNSL_ISQ_E10value_typeET4_jRbjT5_SW_jjP12ihipStream_tbEUlT_E1_NS1_11comp_targetILNS1_3genE10ELNS1_11target_archE1200ELNS1_3gpuE4ELNS1_3repE0EEENS1_59segmented_radix_sort_warp_sort_small_config_static_selectorELNS0_4arch9wavefront6targetE0EEEvSK_.private_seg_size, 0
	.set _ZN7rocprim17ROCPRIM_400000_NS6detail17trampoline_kernelINS0_14default_configENS1_36segmented_radix_sort_config_selectorIilEEZNS1_25segmented_radix_sort_implIS3_Lb0EPKiPiPKlPlN2at6native12_GLOBAL__N_18offset_tEEE10hipError_tPvRmT1_PNSt15iterator_traitsISK_E10value_typeET2_T3_PNSL_ISQ_E10value_typeET4_jRbjT5_SW_jjP12ihipStream_tbEUlT_E1_NS1_11comp_targetILNS1_3genE10ELNS1_11target_archE1200ELNS1_3gpuE4ELNS1_3repE0EEENS1_59segmented_radix_sort_warp_sort_small_config_static_selectorELNS0_4arch9wavefront6targetE0EEEvSK_.uses_vcc, 0
	.set _ZN7rocprim17ROCPRIM_400000_NS6detail17trampoline_kernelINS0_14default_configENS1_36segmented_radix_sort_config_selectorIilEEZNS1_25segmented_radix_sort_implIS3_Lb0EPKiPiPKlPlN2at6native12_GLOBAL__N_18offset_tEEE10hipError_tPvRmT1_PNSt15iterator_traitsISK_E10value_typeET2_T3_PNSL_ISQ_E10value_typeET4_jRbjT5_SW_jjP12ihipStream_tbEUlT_E1_NS1_11comp_targetILNS1_3genE10ELNS1_11target_archE1200ELNS1_3gpuE4ELNS1_3repE0EEENS1_59segmented_radix_sort_warp_sort_small_config_static_selectorELNS0_4arch9wavefront6targetE0EEEvSK_.uses_flat_scratch, 0
	.set _ZN7rocprim17ROCPRIM_400000_NS6detail17trampoline_kernelINS0_14default_configENS1_36segmented_radix_sort_config_selectorIilEEZNS1_25segmented_radix_sort_implIS3_Lb0EPKiPiPKlPlN2at6native12_GLOBAL__N_18offset_tEEE10hipError_tPvRmT1_PNSt15iterator_traitsISK_E10value_typeET2_T3_PNSL_ISQ_E10value_typeET4_jRbjT5_SW_jjP12ihipStream_tbEUlT_E1_NS1_11comp_targetILNS1_3genE10ELNS1_11target_archE1200ELNS1_3gpuE4ELNS1_3repE0EEENS1_59segmented_radix_sort_warp_sort_small_config_static_selectorELNS0_4arch9wavefront6targetE0EEEvSK_.has_dyn_sized_stack, 0
	.set _ZN7rocprim17ROCPRIM_400000_NS6detail17trampoline_kernelINS0_14default_configENS1_36segmented_radix_sort_config_selectorIilEEZNS1_25segmented_radix_sort_implIS3_Lb0EPKiPiPKlPlN2at6native12_GLOBAL__N_18offset_tEEE10hipError_tPvRmT1_PNSt15iterator_traitsISK_E10value_typeET2_T3_PNSL_ISQ_E10value_typeET4_jRbjT5_SW_jjP12ihipStream_tbEUlT_E1_NS1_11comp_targetILNS1_3genE10ELNS1_11target_archE1200ELNS1_3gpuE4ELNS1_3repE0EEENS1_59segmented_radix_sort_warp_sort_small_config_static_selectorELNS0_4arch9wavefront6targetE0EEEvSK_.has_recursion, 0
	.set _ZN7rocprim17ROCPRIM_400000_NS6detail17trampoline_kernelINS0_14default_configENS1_36segmented_radix_sort_config_selectorIilEEZNS1_25segmented_radix_sort_implIS3_Lb0EPKiPiPKlPlN2at6native12_GLOBAL__N_18offset_tEEE10hipError_tPvRmT1_PNSt15iterator_traitsISK_E10value_typeET2_T3_PNSL_ISQ_E10value_typeET4_jRbjT5_SW_jjP12ihipStream_tbEUlT_E1_NS1_11comp_targetILNS1_3genE10ELNS1_11target_archE1200ELNS1_3gpuE4ELNS1_3repE0EEENS1_59segmented_radix_sort_warp_sort_small_config_static_selectorELNS0_4arch9wavefront6targetE0EEEvSK_.has_indirect_call, 0
	.section	.AMDGPU.csdata,"",@progbits
; Kernel info:
; codeLenInByte = 0
; TotalNumSgprs: 0
; NumVgprs: 0
; ScratchSize: 0
; MemoryBound: 0
; FloatMode: 240
; IeeeMode: 1
; LDSByteSize: 0 bytes/workgroup (compile time only)
; SGPRBlocks: 0
; VGPRBlocks: 0
; NumSGPRsForWavesPerEU: 1
; NumVGPRsForWavesPerEU: 1
; Occupancy: 16
; WaveLimiterHint : 0
; COMPUTE_PGM_RSRC2:SCRATCH_EN: 0
; COMPUTE_PGM_RSRC2:USER_SGPR: 6
; COMPUTE_PGM_RSRC2:TRAP_HANDLER: 0
; COMPUTE_PGM_RSRC2:TGID_X_EN: 1
; COMPUTE_PGM_RSRC2:TGID_Y_EN: 0
; COMPUTE_PGM_RSRC2:TGID_Z_EN: 0
; COMPUTE_PGM_RSRC2:TIDIG_COMP_CNT: 0
	.section	.text._ZN7rocprim17ROCPRIM_400000_NS6detail17trampoline_kernelINS0_14default_configENS1_36segmented_radix_sort_config_selectorIilEEZNS1_25segmented_radix_sort_implIS3_Lb0EPKiPiPKlPlN2at6native12_GLOBAL__N_18offset_tEEE10hipError_tPvRmT1_PNSt15iterator_traitsISK_E10value_typeET2_T3_PNSL_ISQ_E10value_typeET4_jRbjT5_SW_jjP12ihipStream_tbEUlT_E1_NS1_11comp_targetILNS1_3genE9ELNS1_11target_archE1100ELNS1_3gpuE3ELNS1_3repE0EEENS1_59segmented_radix_sort_warp_sort_small_config_static_selectorELNS0_4arch9wavefront6targetE0EEEvSK_,"axG",@progbits,_ZN7rocprim17ROCPRIM_400000_NS6detail17trampoline_kernelINS0_14default_configENS1_36segmented_radix_sort_config_selectorIilEEZNS1_25segmented_radix_sort_implIS3_Lb0EPKiPiPKlPlN2at6native12_GLOBAL__N_18offset_tEEE10hipError_tPvRmT1_PNSt15iterator_traitsISK_E10value_typeET2_T3_PNSL_ISQ_E10value_typeET4_jRbjT5_SW_jjP12ihipStream_tbEUlT_E1_NS1_11comp_targetILNS1_3genE9ELNS1_11target_archE1100ELNS1_3gpuE3ELNS1_3repE0EEENS1_59segmented_radix_sort_warp_sort_small_config_static_selectorELNS0_4arch9wavefront6targetE0EEEvSK_,comdat
	.globl	_ZN7rocprim17ROCPRIM_400000_NS6detail17trampoline_kernelINS0_14default_configENS1_36segmented_radix_sort_config_selectorIilEEZNS1_25segmented_radix_sort_implIS3_Lb0EPKiPiPKlPlN2at6native12_GLOBAL__N_18offset_tEEE10hipError_tPvRmT1_PNSt15iterator_traitsISK_E10value_typeET2_T3_PNSL_ISQ_E10value_typeET4_jRbjT5_SW_jjP12ihipStream_tbEUlT_E1_NS1_11comp_targetILNS1_3genE9ELNS1_11target_archE1100ELNS1_3gpuE3ELNS1_3repE0EEENS1_59segmented_radix_sort_warp_sort_small_config_static_selectorELNS0_4arch9wavefront6targetE0EEEvSK_ ; -- Begin function _ZN7rocprim17ROCPRIM_400000_NS6detail17trampoline_kernelINS0_14default_configENS1_36segmented_radix_sort_config_selectorIilEEZNS1_25segmented_radix_sort_implIS3_Lb0EPKiPiPKlPlN2at6native12_GLOBAL__N_18offset_tEEE10hipError_tPvRmT1_PNSt15iterator_traitsISK_E10value_typeET2_T3_PNSL_ISQ_E10value_typeET4_jRbjT5_SW_jjP12ihipStream_tbEUlT_E1_NS1_11comp_targetILNS1_3genE9ELNS1_11target_archE1100ELNS1_3gpuE3ELNS1_3repE0EEENS1_59segmented_radix_sort_warp_sort_small_config_static_selectorELNS0_4arch9wavefront6targetE0EEEvSK_
	.p2align	8
	.type	_ZN7rocprim17ROCPRIM_400000_NS6detail17trampoline_kernelINS0_14default_configENS1_36segmented_radix_sort_config_selectorIilEEZNS1_25segmented_radix_sort_implIS3_Lb0EPKiPiPKlPlN2at6native12_GLOBAL__N_18offset_tEEE10hipError_tPvRmT1_PNSt15iterator_traitsISK_E10value_typeET2_T3_PNSL_ISQ_E10value_typeET4_jRbjT5_SW_jjP12ihipStream_tbEUlT_E1_NS1_11comp_targetILNS1_3genE9ELNS1_11target_archE1100ELNS1_3gpuE3ELNS1_3repE0EEENS1_59segmented_radix_sort_warp_sort_small_config_static_selectorELNS0_4arch9wavefront6targetE0EEEvSK_,@function
_ZN7rocprim17ROCPRIM_400000_NS6detail17trampoline_kernelINS0_14default_configENS1_36segmented_radix_sort_config_selectorIilEEZNS1_25segmented_radix_sort_implIS3_Lb0EPKiPiPKlPlN2at6native12_GLOBAL__N_18offset_tEEE10hipError_tPvRmT1_PNSt15iterator_traitsISK_E10value_typeET2_T3_PNSL_ISQ_E10value_typeET4_jRbjT5_SW_jjP12ihipStream_tbEUlT_E1_NS1_11comp_targetILNS1_3genE9ELNS1_11target_archE1100ELNS1_3gpuE3ELNS1_3repE0EEENS1_59segmented_radix_sort_warp_sort_small_config_static_selectorELNS0_4arch9wavefront6targetE0EEEvSK_: ; @_ZN7rocprim17ROCPRIM_400000_NS6detail17trampoline_kernelINS0_14default_configENS1_36segmented_radix_sort_config_selectorIilEEZNS1_25segmented_radix_sort_implIS3_Lb0EPKiPiPKlPlN2at6native12_GLOBAL__N_18offset_tEEE10hipError_tPvRmT1_PNSt15iterator_traitsISK_E10value_typeET2_T3_PNSL_ISQ_E10value_typeET4_jRbjT5_SW_jjP12ihipStream_tbEUlT_E1_NS1_11comp_targetILNS1_3genE9ELNS1_11target_archE1100ELNS1_3gpuE3ELNS1_3repE0EEENS1_59segmented_radix_sort_warp_sort_small_config_static_selectorELNS0_4arch9wavefront6targetE0EEEvSK_
; %bb.0:
	.section	.rodata,"a",@progbits
	.p2align	6, 0x0
	.amdhsa_kernel _ZN7rocprim17ROCPRIM_400000_NS6detail17trampoline_kernelINS0_14default_configENS1_36segmented_radix_sort_config_selectorIilEEZNS1_25segmented_radix_sort_implIS3_Lb0EPKiPiPKlPlN2at6native12_GLOBAL__N_18offset_tEEE10hipError_tPvRmT1_PNSt15iterator_traitsISK_E10value_typeET2_T3_PNSL_ISQ_E10value_typeET4_jRbjT5_SW_jjP12ihipStream_tbEUlT_E1_NS1_11comp_targetILNS1_3genE9ELNS1_11target_archE1100ELNS1_3gpuE3ELNS1_3repE0EEENS1_59segmented_radix_sort_warp_sort_small_config_static_selectorELNS0_4arch9wavefront6targetE0EEEvSK_
		.amdhsa_group_segment_fixed_size 0
		.amdhsa_private_segment_fixed_size 0
		.amdhsa_kernarg_size 88
		.amdhsa_user_sgpr_count 6
		.amdhsa_user_sgpr_private_segment_buffer 1
		.amdhsa_user_sgpr_dispatch_ptr 0
		.amdhsa_user_sgpr_queue_ptr 0
		.amdhsa_user_sgpr_kernarg_segment_ptr 1
		.amdhsa_user_sgpr_dispatch_id 0
		.amdhsa_user_sgpr_flat_scratch_init 0
		.amdhsa_user_sgpr_private_segment_size 0
		.amdhsa_wavefront_size32 1
		.amdhsa_uses_dynamic_stack 0
		.amdhsa_system_sgpr_private_segment_wavefront_offset 0
		.amdhsa_system_sgpr_workgroup_id_x 1
		.amdhsa_system_sgpr_workgroup_id_y 0
		.amdhsa_system_sgpr_workgroup_id_z 0
		.amdhsa_system_sgpr_workgroup_info 0
		.amdhsa_system_vgpr_workitem_id 0
		.amdhsa_next_free_vgpr 1
		.amdhsa_next_free_sgpr 1
		.amdhsa_reserve_vcc 0
		.amdhsa_reserve_flat_scratch 0
		.amdhsa_float_round_mode_32 0
		.amdhsa_float_round_mode_16_64 0
		.amdhsa_float_denorm_mode_32 3
		.amdhsa_float_denorm_mode_16_64 3
		.amdhsa_dx10_clamp 1
		.amdhsa_ieee_mode 1
		.amdhsa_fp16_overflow 0
		.amdhsa_workgroup_processor_mode 1
		.amdhsa_memory_ordered 1
		.amdhsa_forward_progress 1
		.amdhsa_shared_vgpr_count 0
		.amdhsa_exception_fp_ieee_invalid_op 0
		.amdhsa_exception_fp_denorm_src 0
		.amdhsa_exception_fp_ieee_div_zero 0
		.amdhsa_exception_fp_ieee_overflow 0
		.amdhsa_exception_fp_ieee_underflow 0
		.amdhsa_exception_fp_ieee_inexact 0
		.amdhsa_exception_int_div_zero 0
	.end_amdhsa_kernel
	.section	.text._ZN7rocprim17ROCPRIM_400000_NS6detail17trampoline_kernelINS0_14default_configENS1_36segmented_radix_sort_config_selectorIilEEZNS1_25segmented_radix_sort_implIS3_Lb0EPKiPiPKlPlN2at6native12_GLOBAL__N_18offset_tEEE10hipError_tPvRmT1_PNSt15iterator_traitsISK_E10value_typeET2_T3_PNSL_ISQ_E10value_typeET4_jRbjT5_SW_jjP12ihipStream_tbEUlT_E1_NS1_11comp_targetILNS1_3genE9ELNS1_11target_archE1100ELNS1_3gpuE3ELNS1_3repE0EEENS1_59segmented_radix_sort_warp_sort_small_config_static_selectorELNS0_4arch9wavefront6targetE0EEEvSK_,"axG",@progbits,_ZN7rocprim17ROCPRIM_400000_NS6detail17trampoline_kernelINS0_14default_configENS1_36segmented_radix_sort_config_selectorIilEEZNS1_25segmented_radix_sort_implIS3_Lb0EPKiPiPKlPlN2at6native12_GLOBAL__N_18offset_tEEE10hipError_tPvRmT1_PNSt15iterator_traitsISK_E10value_typeET2_T3_PNSL_ISQ_E10value_typeET4_jRbjT5_SW_jjP12ihipStream_tbEUlT_E1_NS1_11comp_targetILNS1_3genE9ELNS1_11target_archE1100ELNS1_3gpuE3ELNS1_3repE0EEENS1_59segmented_radix_sort_warp_sort_small_config_static_selectorELNS0_4arch9wavefront6targetE0EEEvSK_,comdat
.Lfunc_end622:
	.size	_ZN7rocprim17ROCPRIM_400000_NS6detail17trampoline_kernelINS0_14default_configENS1_36segmented_radix_sort_config_selectorIilEEZNS1_25segmented_radix_sort_implIS3_Lb0EPKiPiPKlPlN2at6native12_GLOBAL__N_18offset_tEEE10hipError_tPvRmT1_PNSt15iterator_traitsISK_E10value_typeET2_T3_PNSL_ISQ_E10value_typeET4_jRbjT5_SW_jjP12ihipStream_tbEUlT_E1_NS1_11comp_targetILNS1_3genE9ELNS1_11target_archE1100ELNS1_3gpuE3ELNS1_3repE0EEENS1_59segmented_radix_sort_warp_sort_small_config_static_selectorELNS0_4arch9wavefront6targetE0EEEvSK_, .Lfunc_end622-_ZN7rocprim17ROCPRIM_400000_NS6detail17trampoline_kernelINS0_14default_configENS1_36segmented_radix_sort_config_selectorIilEEZNS1_25segmented_radix_sort_implIS3_Lb0EPKiPiPKlPlN2at6native12_GLOBAL__N_18offset_tEEE10hipError_tPvRmT1_PNSt15iterator_traitsISK_E10value_typeET2_T3_PNSL_ISQ_E10value_typeET4_jRbjT5_SW_jjP12ihipStream_tbEUlT_E1_NS1_11comp_targetILNS1_3genE9ELNS1_11target_archE1100ELNS1_3gpuE3ELNS1_3repE0EEENS1_59segmented_radix_sort_warp_sort_small_config_static_selectorELNS0_4arch9wavefront6targetE0EEEvSK_
                                        ; -- End function
	.set _ZN7rocprim17ROCPRIM_400000_NS6detail17trampoline_kernelINS0_14default_configENS1_36segmented_radix_sort_config_selectorIilEEZNS1_25segmented_radix_sort_implIS3_Lb0EPKiPiPKlPlN2at6native12_GLOBAL__N_18offset_tEEE10hipError_tPvRmT1_PNSt15iterator_traitsISK_E10value_typeET2_T3_PNSL_ISQ_E10value_typeET4_jRbjT5_SW_jjP12ihipStream_tbEUlT_E1_NS1_11comp_targetILNS1_3genE9ELNS1_11target_archE1100ELNS1_3gpuE3ELNS1_3repE0EEENS1_59segmented_radix_sort_warp_sort_small_config_static_selectorELNS0_4arch9wavefront6targetE0EEEvSK_.num_vgpr, 0
	.set _ZN7rocprim17ROCPRIM_400000_NS6detail17trampoline_kernelINS0_14default_configENS1_36segmented_radix_sort_config_selectorIilEEZNS1_25segmented_radix_sort_implIS3_Lb0EPKiPiPKlPlN2at6native12_GLOBAL__N_18offset_tEEE10hipError_tPvRmT1_PNSt15iterator_traitsISK_E10value_typeET2_T3_PNSL_ISQ_E10value_typeET4_jRbjT5_SW_jjP12ihipStream_tbEUlT_E1_NS1_11comp_targetILNS1_3genE9ELNS1_11target_archE1100ELNS1_3gpuE3ELNS1_3repE0EEENS1_59segmented_radix_sort_warp_sort_small_config_static_selectorELNS0_4arch9wavefront6targetE0EEEvSK_.num_agpr, 0
	.set _ZN7rocprim17ROCPRIM_400000_NS6detail17trampoline_kernelINS0_14default_configENS1_36segmented_radix_sort_config_selectorIilEEZNS1_25segmented_radix_sort_implIS3_Lb0EPKiPiPKlPlN2at6native12_GLOBAL__N_18offset_tEEE10hipError_tPvRmT1_PNSt15iterator_traitsISK_E10value_typeET2_T3_PNSL_ISQ_E10value_typeET4_jRbjT5_SW_jjP12ihipStream_tbEUlT_E1_NS1_11comp_targetILNS1_3genE9ELNS1_11target_archE1100ELNS1_3gpuE3ELNS1_3repE0EEENS1_59segmented_radix_sort_warp_sort_small_config_static_selectorELNS0_4arch9wavefront6targetE0EEEvSK_.numbered_sgpr, 0
	.set _ZN7rocprim17ROCPRIM_400000_NS6detail17trampoline_kernelINS0_14default_configENS1_36segmented_radix_sort_config_selectorIilEEZNS1_25segmented_radix_sort_implIS3_Lb0EPKiPiPKlPlN2at6native12_GLOBAL__N_18offset_tEEE10hipError_tPvRmT1_PNSt15iterator_traitsISK_E10value_typeET2_T3_PNSL_ISQ_E10value_typeET4_jRbjT5_SW_jjP12ihipStream_tbEUlT_E1_NS1_11comp_targetILNS1_3genE9ELNS1_11target_archE1100ELNS1_3gpuE3ELNS1_3repE0EEENS1_59segmented_radix_sort_warp_sort_small_config_static_selectorELNS0_4arch9wavefront6targetE0EEEvSK_.num_named_barrier, 0
	.set _ZN7rocprim17ROCPRIM_400000_NS6detail17trampoline_kernelINS0_14default_configENS1_36segmented_radix_sort_config_selectorIilEEZNS1_25segmented_radix_sort_implIS3_Lb0EPKiPiPKlPlN2at6native12_GLOBAL__N_18offset_tEEE10hipError_tPvRmT1_PNSt15iterator_traitsISK_E10value_typeET2_T3_PNSL_ISQ_E10value_typeET4_jRbjT5_SW_jjP12ihipStream_tbEUlT_E1_NS1_11comp_targetILNS1_3genE9ELNS1_11target_archE1100ELNS1_3gpuE3ELNS1_3repE0EEENS1_59segmented_radix_sort_warp_sort_small_config_static_selectorELNS0_4arch9wavefront6targetE0EEEvSK_.private_seg_size, 0
	.set _ZN7rocprim17ROCPRIM_400000_NS6detail17trampoline_kernelINS0_14default_configENS1_36segmented_radix_sort_config_selectorIilEEZNS1_25segmented_radix_sort_implIS3_Lb0EPKiPiPKlPlN2at6native12_GLOBAL__N_18offset_tEEE10hipError_tPvRmT1_PNSt15iterator_traitsISK_E10value_typeET2_T3_PNSL_ISQ_E10value_typeET4_jRbjT5_SW_jjP12ihipStream_tbEUlT_E1_NS1_11comp_targetILNS1_3genE9ELNS1_11target_archE1100ELNS1_3gpuE3ELNS1_3repE0EEENS1_59segmented_radix_sort_warp_sort_small_config_static_selectorELNS0_4arch9wavefront6targetE0EEEvSK_.uses_vcc, 0
	.set _ZN7rocprim17ROCPRIM_400000_NS6detail17trampoline_kernelINS0_14default_configENS1_36segmented_radix_sort_config_selectorIilEEZNS1_25segmented_radix_sort_implIS3_Lb0EPKiPiPKlPlN2at6native12_GLOBAL__N_18offset_tEEE10hipError_tPvRmT1_PNSt15iterator_traitsISK_E10value_typeET2_T3_PNSL_ISQ_E10value_typeET4_jRbjT5_SW_jjP12ihipStream_tbEUlT_E1_NS1_11comp_targetILNS1_3genE9ELNS1_11target_archE1100ELNS1_3gpuE3ELNS1_3repE0EEENS1_59segmented_radix_sort_warp_sort_small_config_static_selectorELNS0_4arch9wavefront6targetE0EEEvSK_.uses_flat_scratch, 0
	.set _ZN7rocprim17ROCPRIM_400000_NS6detail17trampoline_kernelINS0_14default_configENS1_36segmented_radix_sort_config_selectorIilEEZNS1_25segmented_radix_sort_implIS3_Lb0EPKiPiPKlPlN2at6native12_GLOBAL__N_18offset_tEEE10hipError_tPvRmT1_PNSt15iterator_traitsISK_E10value_typeET2_T3_PNSL_ISQ_E10value_typeET4_jRbjT5_SW_jjP12ihipStream_tbEUlT_E1_NS1_11comp_targetILNS1_3genE9ELNS1_11target_archE1100ELNS1_3gpuE3ELNS1_3repE0EEENS1_59segmented_radix_sort_warp_sort_small_config_static_selectorELNS0_4arch9wavefront6targetE0EEEvSK_.has_dyn_sized_stack, 0
	.set _ZN7rocprim17ROCPRIM_400000_NS6detail17trampoline_kernelINS0_14default_configENS1_36segmented_radix_sort_config_selectorIilEEZNS1_25segmented_radix_sort_implIS3_Lb0EPKiPiPKlPlN2at6native12_GLOBAL__N_18offset_tEEE10hipError_tPvRmT1_PNSt15iterator_traitsISK_E10value_typeET2_T3_PNSL_ISQ_E10value_typeET4_jRbjT5_SW_jjP12ihipStream_tbEUlT_E1_NS1_11comp_targetILNS1_3genE9ELNS1_11target_archE1100ELNS1_3gpuE3ELNS1_3repE0EEENS1_59segmented_radix_sort_warp_sort_small_config_static_selectorELNS0_4arch9wavefront6targetE0EEEvSK_.has_recursion, 0
	.set _ZN7rocprim17ROCPRIM_400000_NS6detail17trampoline_kernelINS0_14default_configENS1_36segmented_radix_sort_config_selectorIilEEZNS1_25segmented_radix_sort_implIS3_Lb0EPKiPiPKlPlN2at6native12_GLOBAL__N_18offset_tEEE10hipError_tPvRmT1_PNSt15iterator_traitsISK_E10value_typeET2_T3_PNSL_ISQ_E10value_typeET4_jRbjT5_SW_jjP12ihipStream_tbEUlT_E1_NS1_11comp_targetILNS1_3genE9ELNS1_11target_archE1100ELNS1_3gpuE3ELNS1_3repE0EEENS1_59segmented_radix_sort_warp_sort_small_config_static_selectorELNS0_4arch9wavefront6targetE0EEEvSK_.has_indirect_call, 0
	.section	.AMDGPU.csdata,"",@progbits
; Kernel info:
; codeLenInByte = 0
; TotalNumSgprs: 0
; NumVgprs: 0
; ScratchSize: 0
; MemoryBound: 0
; FloatMode: 240
; IeeeMode: 1
; LDSByteSize: 0 bytes/workgroup (compile time only)
; SGPRBlocks: 0
; VGPRBlocks: 0
; NumSGPRsForWavesPerEU: 1
; NumVGPRsForWavesPerEU: 1
; Occupancy: 16
; WaveLimiterHint : 0
; COMPUTE_PGM_RSRC2:SCRATCH_EN: 0
; COMPUTE_PGM_RSRC2:USER_SGPR: 6
; COMPUTE_PGM_RSRC2:TRAP_HANDLER: 0
; COMPUTE_PGM_RSRC2:TGID_X_EN: 1
; COMPUTE_PGM_RSRC2:TGID_Y_EN: 0
; COMPUTE_PGM_RSRC2:TGID_Z_EN: 0
; COMPUTE_PGM_RSRC2:TIDIG_COMP_CNT: 0
	.section	.text._ZN7rocprim17ROCPRIM_400000_NS6detail17trampoline_kernelINS0_14default_configENS1_36segmented_radix_sort_config_selectorIilEEZNS1_25segmented_radix_sort_implIS3_Lb0EPKiPiPKlPlN2at6native12_GLOBAL__N_18offset_tEEE10hipError_tPvRmT1_PNSt15iterator_traitsISK_E10value_typeET2_T3_PNSL_ISQ_E10value_typeET4_jRbjT5_SW_jjP12ihipStream_tbEUlT_E1_NS1_11comp_targetILNS1_3genE8ELNS1_11target_archE1030ELNS1_3gpuE2ELNS1_3repE0EEENS1_59segmented_radix_sort_warp_sort_small_config_static_selectorELNS0_4arch9wavefront6targetE0EEEvSK_,"axG",@progbits,_ZN7rocprim17ROCPRIM_400000_NS6detail17trampoline_kernelINS0_14default_configENS1_36segmented_radix_sort_config_selectorIilEEZNS1_25segmented_radix_sort_implIS3_Lb0EPKiPiPKlPlN2at6native12_GLOBAL__N_18offset_tEEE10hipError_tPvRmT1_PNSt15iterator_traitsISK_E10value_typeET2_T3_PNSL_ISQ_E10value_typeET4_jRbjT5_SW_jjP12ihipStream_tbEUlT_E1_NS1_11comp_targetILNS1_3genE8ELNS1_11target_archE1030ELNS1_3gpuE2ELNS1_3repE0EEENS1_59segmented_radix_sort_warp_sort_small_config_static_selectorELNS0_4arch9wavefront6targetE0EEEvSK_,comdat
	.globl	_ZN7rocprim17ROCPRIM_400000_NS6detail17trampoline_kernelINS0_14default_configENS1_36segmented_radix_sort_config_selectorIilEEZNS1_25segmented_radix_sort_implIS3_Lb0EPKiPiPKlPlN2at6native12_GLOBAL__N_18offset_tEEE10hipError_tPvRmT1_PNSt15iterator_traitsISK_E10value_typeET2_T3_PNSL_ISQ_E10value_typeET4_jRbjT5_SW_jjP12ihipStream_tbEUlT_E1_NS1_11comp_targetILNS1_3genE8ELNS1_11target_archE1030ELNS1_3gpuE2ELNS1_3repE0EEENS1_59segmented_radix_sort_warp_sort_small_config_static_selectorELNS0_4arch9wavefront6targetE0EEEvSK_ ; -- Begin function _ZN7rocprim17ROCPRIM_400000_NS6detail17trampoline_kernelINS0_14default_configENS1_36segmented_radix_sort_config_selectorIilEEZNS1_25segmented_radix_sort_implIS3_Lb0EPKiPiPKlPlN2at6native12_GLOBAL__N_18offset_tEEE10hipError_tPvRmT1_PNSt15iterator_traitsISK_E10value_typeET2_T3_PNSL_ISQ_E10value_typeET4_jRbjT5_SW_jjP12ihipStream_tbEUlT_E1_NS1_11comp_targetILNS1_3genE8ELNS1_11target_archE1030ELNS1_3gpuE2ELNS1_3repE0EEENS1_59segmented_radix_sort_warp_sort_small_config_static_selectorELNS0_4arch9wavefront6targetE0EEEvSK_
	.p2align	8
	.type	_ZN7rocprim17ROCPRIM_400000_NS6detail17trampoline_kernelINS0_14default_configENS1_36segmented_radix_sort_config_selectorIilEEZNS1_25segmented_radix_sort_implIS3_Lb0EPKiPiPKlPlN2at6native12_GLOBAL__N_18offset_tEEE10hipError_tPvRmT1_PNSt15iterator_traitsISK_E10value_typeET2_T3_PNSL_ISQ_E10value_typeET4_jRbjT5_SW_jjP12ihipStream_tbEUlT_E1_NS1_11comp_targetILNS1_3genE8ELNS1_11target_archE1030ELNS1_3gpuE2ELNS1_3repE0EEENS1_59segmented_radix_sort_warp_sort_small_config_static_selectorELNS0_4arch9wavefront6targetE0EEEvSK_,@function
_ZN7rocprim17ROCPRIM_400000_NS6detail17trampoline_kernelINS0_14default_configENS1_36segmented_radix_sort_config_selectorIilEEZNS1_25segmented_radix_sort_implIS3_Lb0EPKiPiPKlPlN2at6native12_GLOBAL__N_18offset_tEEE10hipError_tPvRmT1_PNSt15iterator_traitsISK_E10value_typeET2_T3_PNSL_ISQ_E10value_typeET4_jRbjT5_SW_jjP12ihipStream_tbEUlT_E1_NS1_11comp_targetILNS1_3genE8ELNS1_11target_archE1030ELNS1_3gpuE2ELNS1_3repE0EEENS1_59segmented_radix_sort_warp_sort_small_config_static_selectorELNS0_4arch9wavefront6targetE0EEEvSK_: ; @_ZN7rocprim17ROCPRIM_400000_NS6detail17trampoline_kernelINS0_14default_configENS1_36segmented_radix_sort_config_selectorIilEEZNS1_25segmented_radix_sort_implIS3_Lb0EPKiPiPKlPlN2at6native12_GLOBAL__N_18offset_tEEE10hipError_tPvRmT1_PNSt15iterator_traitsISK_E10value_typeET2_T3_PNSL_ISQ_E10value_typeET4_jRbjT5_SW_jjP12ihipStream_tbEUlT_E1_NS1_11comp_targetILNS1_3genE8ELNS1_11target_archE1030ELNS1_3gpuE2ELNS1_3repE0EEENS1_59segmented_radix_sort_warp_sort_small_config_static_selectorELNS0_4arch9wavefront6targetE0EEEvSK_
; %bb.0:
	s_add_u32 s0, s0, s8
	s_load_dword s8, s[4:5], 0x64
	s_addc_u32 s1, s1, 0
	s_mov_b32 s32, 0
	s_waitcnt lgkmcnt(0)
	s_lshr_b32 s9, s8, 16
	s_and_b32 s8, s8, 0xffff
	v_mad_u32_u24 v3, v2, s9, v1
	s_load_dword s9, s[4:5], 0x34
	v_mad_u64_u32 v[3:4], null, v3, s8, v[0:1]
	s_mov_b32 s8, exec_lo
	v_lshrrev_b32_e32 v3, 5, v3
	v_lshl_add_u32 v3, s6, 3, v3
	s_waitcnt lgkmcnt(0)
	v_cmpx_gt_u32_e64 s9, v3
	s_cbranch_execz .LBB623_6
; %bb.1:
	s_clause 0x1
	s_load_dwordx2 s[12:13], s[4:5], 0x38
	s_load_dwordx4 s[8:11], s[4:5], 0x40
	v_mov_b32_e32 v4, 0
	v_lshlrev_b64 v[3:4], 2, v[3:4]
	s_waitcnt lgkmcnt(0)
	v_sub_co_u32 v3, vcc_lo, s12, v3
	v_sub_co_ci_u32_e64 v4, null, s13, v4, vcc_lo
	global_load_dword v3, v[3:4], off offset:-4
	s_waitcnt vmcnt(0)
	v_add_nc_u32_e32 v4, s9, v3
	v_add_nc_u32_e32 v3, s11, v3
	v_mul_lo_u32 v40, v4, s8
	v_mul_lo_u32 v41, v3, s10
	v_cmp_gt_u32_e32 vcc_lo, v41, v40
	s_and_b32 exec_lo, exec_lo, vcc_lo
	s_cbranch_execz .LBB623_6
; %bb.2:
	s_clause 0x3
	s_load_dword s8, s[4:5], 0x30
	s_load_dwordx4 s[36:39], s[4:5], 0x20
	s_load_dwordx8 s[20:27], s[4:5], 0x0
	s_load_dwordx2 s[28:29], s[4:5], 0x50
	v_lshlrev_b32_e32 v43, 20, v2
	v_lshlrev_b32_e32 v44, 10, v1
	s_waitcnt lgkmcnt(0)
	s_bitcmp0_b32 s8, 0
	s_mov_b32 s8, -1
	s_cbranch_scc0 .LBB623_4
; %bb.3:
	s_mov_b64 s[10:11], src_shared_base
	v_or3_b32 v31, v0, v44, v43
	v_mov_b32_e32 v42, v0
	v_mov_b32_e32 v0, s20
	;; [unrolled: 1-line block ×15, first 2 shown]
	s_add_u32 s8, s4, 0x58
	s_addc_u32 s9, s5, 0
	s_getpc_b64 s[14:15]
	s_add_u32 s14, s14, _ZN7rocprim17ROCPRIM_400000_NS6detail26segmented_warp_sort_helperINS1_20WarpSortHelperConfigILj32ELj4ELj256EEEilLi256ELb0EvE4sortIPKiPiPKlPlEEvT_T0_T1_T2_jjjjRNS5_12storage_typeE@rel32@lo+4
	s_addc_u32 s15, s15, _ZN7rocprim17ROCPRIM_400000_NS6detail26segmented_warp_sort_helperINS1_20WarpSortHelperConfigILj32ELj4ELj256EEEilLi256ELb0EvE4sortIPKiPiPKlPlEEvT_T0_T1_T2_jjjjRNS5_12storage_typeE@rel32@hi+12
	s_mov_b32 s12, s6
	s_mov_b32 s13, s7
	s_mov_b64 s[22:23], s[4:5]
	s_mov_b32 s19, s7
	s_mov_b32 s33, s6
	s_swappc_b64 s[30:31], s[14:15]
	v_mov_b32_e32 v0, v42
	s_mov_b32 s6, s33
	s_mov_b32 s7, s19
	s_mov_b64 s[4:5], s[22:23]
	s_mov_b32 s8, 0
.LBB623_4:
	s_andn2_b32 vcc_lo, exec_lo, s8
	s_cbranch_vccnz .LBB623_6
; %bb.5:
	s_mov_b64 s[10:11], src_shared_base
	v_or3_b32 v31, v0, v44, v43
	v_mov_b32_e32 v0, s20
	v_mov_b32_e32 v1, s21
	;; [unrolled: 1-line block ×14, first 2 shown]
	s_add_u32 s8, s4, 0x58
	s_addc_u32 s9, s5, 0
	s_getpc_b64 s[4:5]
	s_add_u32 s4, s4, _ZN7rocprim17ROCPRIM_400000_NS6detail26segmented_warp_sort_helperINS1_20WarpSortHelperConfigILj32ELj4ELj256EEEilLi256ELb0EvE4sortIPKiPiPKlPlEEvT_T0_T1_T2_jjjjRNS5_12storage_typeE@rel32@lo+4
	s_addc_u32 s5, s5, _ZN7rocprim17ROCPRIM_400000_NS6detail26segmented_warp_sort_helperINS1_20WarpSortHelperConfigILj32ELj4ELj256EEEilLi256ELb0EvE4sortIPKiPiPKlPlEEvT_T0_T1_T2_jjjjRNS5_12storage_typeE@rel32@hi+12
	s_mov_b32 s12, s6
	s_mov_b32 s13, s7
	s_swappc_b64 s[30:31], s[4:5]
.LBB623_6:
	s_endpgm
	.section	.rodata,"a",@progbits
	.p2align	6, 0x0
	.amdhsa_kernel _ZN7rocprim17ROCPRIM_400000_NS6detail17trampoline_kernelINS0_14default_configENS1_36segmented_radix_sort_config_selectorIilEEZNS1_25segmented_radix_sort_implIS3_Lb0EPKiPiPKlPlN2at6native12_GLOBAL__N_18offset_tEEE10hipError_tPvRmT1_PNSt15iterator_traitsISK_E10value_typeET2_T3_PNSL_ISQ_E10value_typeET4_jRbjT5_SW_jjP12ihipStream_tbEUlT_E1_NS1_11comp_targetILNS1_3genE8ELNS1_11target_archE1030ELNS1_3gpuE2ELNS1_3repE0EEENS1_59segmented_radix_sort_warp_sort_small_config_static_selectorELNS0_4arch9wavefront6targetE0EEEvSK_
		.amdhsa_group_segment_fixed_size 12288
		.amdhsa_private_segment_fixed_size 0
		.amdhsa_kernarg_size 344
		.amdhsa_user_sgpr_count 6
		.amdhsa_user_sgpr_private_segment_buffer 1
		.amdhsa_user_sgpr_dispatch_ptr 0
		.amdhsa_user_sgpr_queue_ptr 0
		.amdhsa_user_sgpr_kernarg_segment_ptr 1
		.amdhsa_user_sgpr_dispatch_id 0
		.amdhsa_user_sgpr_flat_scratch_init 0
		.amdhsa_user_sgpr_private_segment_size 0
		.amdhsa_wavefront_size32 1
		.amdhsa_uses_dynamic_stack 0
		.amdhsa_system_sgpr_private_segment_wavefront_offset 0
		.amdhsa_system_sgpr_workgroup_id_x 1
		.amdhsa_system_sgpr_workgroup_id_y 1
		.amdhsa_system_sgpr_workgroup_id_z 0
		.amdhsa_system_sgpr_workgroup_info 0
		.amdhsa_system_vgpr_workitem_id 2
		.amdhsa_next_free_vgpr 54
		.amdhsa_next_free_sgpr 40
		.amdhsa_reserve_vcc 1
		.amdhsa_reserve_flat_scratch 0
		.amdhsa_float_round_mode_32 0
		.amdhsa_float_round_mode_16_64 0
		.amdhsa_float_denorm_mode_32 3
		.amdhsa_float_denorm_mode_16_64 3
		.amdhsa_dx10_clamp 1
		.amdhsa_ieee_mode 1
		.amdhsa_fp16_overflow 0
		.amdhsa_workgroup_processor_mode 1
		.amdhsa_memory_ordered 1
		.amdhsa_forward_progress 1
		.amdhsa_shared_vgpr_count 0
		.amdhsa_exception_fp_ieee_invalid_op 0
		.amdhsa_exception_fp_denorm_src 0
		.amdhsa_exception_fp_ieee_div_zero 0
		.amdhsa_exception_fp_ieee_overflow 0
		.amdhsa_exception_fp_ieee_underflow 0
		.amdhsa_exception_fp_ieee_inexact 0
		.amdhsa_exception_int_div_zero 0
	.end_amdhsa_kernel
	.section	.text._ZN7rocprim17ROCPRIM_400000_NS6detail17trampoline_kernelINS0_14default_configENS1_36segmented_radix_sort_config_selectorIilEEZNS1_25segmented_radix_sort_implIS3_Lb0EPKiPiPKlPlN2at6native12_GLOBAL__N_18offset_tEEE10hipError_tPvRmT1_PNSt15iterator_traitsISK_E10value_typeET2_T3_PNSL_ISQ_E10value_typeET4_jRbjT5_SW_jjP12ihipStream_tbEUlT_E1_NS1_11comp_targetILNS1_3genE8ELNS1_11target_archE1030ELNS1_3gpuE2ELNS1_3repE0EEENS1_59segmented_radix_sort_warp_sort_small_config_static_selectorELNS0_4arch9wavefront6targetE0EEEvSK_,"axG",@progbits,_ZN7rocprim17ROCPRIM_400000_NS6detail17trampoline_kernelINS0_14default_configENS1_36segmented_radix_sort_config_selectorIilEEZNS1_25segmented_radix_sort_implIS3_Lb0EPKiPiPKlPlN2at6native12_GLOBAL__N_18offset_tEEE10hipError_tPvRmT1_PNSt15iterator_traitsISK_E10value_typeET2_T3_PNSL_ISQ_E10value_typeET4_jRbjT5_SW_jjP12ihipStream_tbEUlT_E1_NS1_11comp_targetILNS1_3genE8ELNS1_11target_archE1030ELNS1_3gpuE2ELNS1_3repE0EEENS1_59segmented_radix_sort_warp_sort_small_config_static_selectorELNS0_4arch9wavefront6targetE0EEEvSK_,comdat
.Lfunc_end623:
	.size	_ZN7rocprim17ROCPRIM_400000_NS6detail17trampoline_kernelINS0_14default_configENS1_36segmented_radix_sort_config_selectorIilEEZNS1_25segmented_radix_sort_implIS3_Lb0EPKiPiPKlPlN2at6native12_GLOBAL__N_18offset_tEEE10hipError_tPvRmT1_PNSt15iterator_traitsISK_E10value_typeET2_T3_PNSL_ISQ_E10value_typeET4_jRbjT5_SW_jjP12ihipStream_tbEUlT_E1_NS1_11comp_targetILNS1_3genE8ELNS1_11target_archE1030ELNS1_3gpuE2ELNS1_3repE0EEENS1_59segmented_radix_sort_warp_sort_small_config_static_selectorELNS0_4arch9wavefront6targetE0EEEvSK_, .Lfunc_end623-_ZN7rocprim17ROCPRIM_400000_NS6detail17trampoline_kernelINS0_14default_configENS1_36segmented_radix_sort_config_selectorIilEEZNS1_25segmented_radix_sort_implIS3_Lb0EPKiPiPKlPlN2at6native12_GLOBAL__N_18offset_tEEE10hipError_tPvRmT1_PNSt15iterator_traitsISK_E10value_typeET2_T3_PNSL_ISQ_E10value_typeET4_jRbjT5_SW_jjP12ihipStream_tbEUlT_E1_NS1_11comp_targetILNS1_3genE8ELNS1_11target_archE1030ELNS1_3gpuE2ELNS1_3repE0EEENS1_59segmented_radix_sort_warp_sort_small_config_static_selectorELNS0_4arch9wavefront6targetE0EEEvSK_
                                        ; -- End function
	.set _ZN7rocprim17ROCPRIM_400000_NS6detail17trampoline_kernelINS0_14default_configENS1_36segmented_radix_sort_config_selectorIilEEZNS1_25segmented_radix_sort_implIS3_Lb0EPKiPiPKlPlN2at6native12_GLOBAL__N_18offset_tEEE10hipError_tPvRmT1_PNSt15iterator_traitsISK_E10value_typeET2_T3_PNSL_ISQ_E10value_typeET4_jRbjT5_SW_jjP12ihipStream_tbEUlT_E1_NS1_11comp_targetILNS1_3genE8ELNS1_11target_archE1030ELNS1_3gpuE2ELNS1_3repE0EEENS1_59segmented_radix_sort_warp_sort_small_config_static_selectorELNS0_4arch9wavefront6targetE0EEEvSK_.num_vgpr, max(45, .L_ZN7rocprim17ROCPRIM_400000_NS6detail26segmented_warp_sort_helperINS1_20WarpSortHelperConfigILj32ELj4ELj256EEEilLi256ELb0EvE4sortIPKiPiPKlPlEEvT_T0_T1_T2_jjjjRNS5_12storage_typeE.num_vgpr)
	.set _ZN7rocprim17ROCPRIM_400000_NS6detail17trampoline_kernelINS0_14default_configENS1_36segmented_radix_sort_config_selectorIilEEZNS1_25segmented_radix_sort_implIS3_Lb0EPKiPiPKlPlN2at6native12_GLOBAL__N_18offset_tEEE10hipError_tPvRmT1_PNSt15iterator_traitsISK_E10value_typeET2_T3_PNSL_ISQ_E10value_typeET4_jRbjT5_SW_jjP12ihipStream_tbEUlT_E1_NS1_11comp_targetILNS1_3genE8ELNS1_11target_archE1030ELNS1_3gpuE2ELNS1_3repE0EEENS1_59segmented_radix_sort_warp_sort_small_config_static_selectorELNS0_4arch9wavefront6targetE0EEEvSK_.num_agpr, max(0, .L_ZN7rocprim17ROCPRIM_400000_NS6detail26segmented_warp_sort_helperINS1_20WarpSortHelperConfigILj32ELj4ELj256EEEilLi256ELb0EvE4sortIPKiPiPKlPlEEvT_T0_T1_T2_jjjjRNS5_12storage_typeE.num_agpr)
	.set _ZN7rocprim17ROCPRIM_400000_NS6detail17trampoline_kernelINS0_14default_configENS1_36segmented_radix_sort_config_selectorIilEEZNS1_25segmented_radix_sort_implIS3_Lb0EPKiPiPKlPlN2at6native12_GLOBAL__N_18offset_tEEE10hipError_tPvRmT1_PNSt15iterator_traitsISK_E10value_typeET2_T3_PNSL_ISQ_E10value_typeET4_jRbjT5_SW_jjP12ihipStream_tbEUlT_E1_NS1_11comp_targetILNS1_3genE8ELNS1_11target_archE1030ELNS1_3gpuE2ELNS1_3repE0EEENS1_59segmented_radix_sort_warp_sort_small_config_static_selectorELNS0_4arch9wavefront6targetE0EEEvSK_.numbered_sgpr, max(40, .L_ZN7rocprim17ROCPRIM_400000_NS6detail26segmented_warp_sort_helperINS1_20WarpSortHelperConfigILj32ELj4ELj256EEEilLi256ELb0EvE4sortIPKiPiPKlPlEEvT_T0_T1_T2_jjjjRNS5_12storage_typeE.numbered_sgpr)
	.set _ZN7rocprim17ROCPRIM_400000_NS6detail17trampoline_kernelINS0_14default_configENS1_36segmented_radix_sort_config_selectorIilEEZNS1_25segmented_radix_sort_implIS3_Lb0EPKiPiPKlPlN2at6native12_GLOBAL__N_18offset_tEEE10hipError_tPvRmT1_PNSt15iterator_traitsISK_E10value_typeET2_T3_PNSL_ISQ_E10value_typeET4_jRbjT5_SW_jjP12ihipStream_tbEUlT_E1_NS1_11comp_targetILNS1_3genE8ELNS1_11target_archE1030ELNS1_3gpuE2ELNS1_3repE0EEENS1_59segmented_radix_sort_warp_sort_small_config_static_selectorELNS0_4arch9wavefront6targetE0EEEvSK_.num_named_barrier, max(0, .L_ZN7rocprim17ROCPRIM_400000_NS6detail26segmented_warp_sort_helperINS1_20WarpSortHelperConfigILj32ELj4ELj256EEEilLi256ELb0EvE4sortIPKiPiPKlPlEEvT_T0_T1_T2_jjjjRNS5_12storage_typeE.num_named_barrier)
	.set _ZN7rocprim17ROCPRIM_400000_NS6detail17trampoline_kernelINS0_14default_configENS1_36segmented_radix_sort_config_selectorIilEEZNS1_25segmented_radix_sort_implIS3_Lb0EPKiPiPKlPlN2at6native12_GLOBAL__N_18offset_tEEE10hipError_tPvRmT1_PNSt15iterator_traitsISK_E10value_typeET2_T3_PNSL_ISQ_E10value_typeET4_jRbjT5_SW_jjP12ihipStream_tbEUlT_E1_NS1_11comp_targetILNS1_3genE8ELNS1_11target_archE1030ELNS1_3gpuE2ELNS1_3repE0EEENS1_59segmented_radix_sort_warp_sort_small_config_static_selectorELNS0_4arch9wavefront6targetE0EEEvSK_.private_seg_size, 0+max(.L_ZN7rocprim17ROCPRIM_400000_NS6detail26segmented_warp_sort_helperINS1_20WarpSortHelperConfigILj32ELj4ELj256EEEilLi256ELb0EvE4sortIPKiPiPKlPlEEvT_T0_T1_T2_jjjjRNS5_12storage_typeE.private_seg_size)
	.set _ZN7rocprim17ROCPRIM_400000_NS6detail17trampoline_kernelINS0_14default_configENS1_36segmented_radix_sort_config_selectorIilEEZNS1_25segmented_radix_sort_implIS3_Lb0EPKiPiPKlPlN2at6native12_GLOBAL__N_18offset_tEEE10hipError_tPvRmT1_PNSt15iterator_traitsISK_E10value_typeET2_T3_PNSL_ISQ_E10value_typeET4_jRbjT5_SW_jjP12ihipStream_tbEUlT_E1_NS1_11comp_targetILNS1_3genE8ELNS1_11target_archE1030ELNS1_3gpuE2ELNS1_3repE0EEENS1_59segmented_radix_sort_warp_sort_small_config_static_selectorELNS0_4arch9wavefront6targetE0EEEvSK_.uses_vcc, or(1, .L_ZN7rocprim17ROCPRIM_400000_NS6detail26segmented_warp_sort_helperINS1_20WarpSortHelperConfigILj32ELj4ELj256EEEilLi256ELb0EvE4sortIPKiPiPKlPlEEvT_T0_T1_T2_jjjjRNS5_12storage_typeE.uses_vcc)
	.set _ZN7rocprim17ROCPRIM_400000_NS6detail17trampoline_kernelINS0_14default_configENS1_36segmented_radix_sort_config_selectorIilEEZNS1_25segmented_radix_sort_implIS3_Lb0EPKiPiPKlPlN2at6native12_GLOBAL__N_18offset_tEEE10hipError_tPvRmT1_PNSt15iterator_traitsISK_E10value_typeET2_T3_PNSL_ISQ_E10value_typeET4_jRbjT5_SW_jjP12ihipStream_tbEUlT_E1_NS1_11comp_targetILNS1_3genE8ELNS1_11target_archE1030ELNS1_3gpuE2ELNS1_3repE0EEENS1_59segmented_radix_sort_warp_sort_small_config_static_selectorELNS0_4arch9wavefront6targetE0EEEvSK_.uses_flat_scratch, or(0, .L_ZN7rocprim17ROCPRIM_400000_NS6detail26segmented_warp_sort_helperINS1_20WarpSortHelperConfigILj32ELj4ELj256EEEilLi256ELb0EvE4sortIPKiPiPKlPlEEvT_T0_T1_T2_jjjjRNS5_12storage_typeE.uses_flat_scratch)
	.set _ZN7rocprim17ROCPRIM_400000_NS6detail17trampoline_kernelINS0_14default_configENS1_36segmented_radix_sort_config_selectorIilEEZNS1_25segmented_radix_sort_implIS3_Lb0EPKiPiPKlPlN2at6native12_GLOBAL__N_18offset_tEEE10hipError_tPvRmT1_PNSt15iterator_traitsISK_E10value_typeET2_T3_PNSL_ISQ_E10value_typeET4_jRbjT5_SW_jjP12ihipStream_tbEUlT_E1_NS1_11comp_targetILNS1_3genE8ELNS1_11target_archE1030ELNS1_3gpuE2ELNS1_3repE0EEENS1_59segmented_radix_sort_warp_sort_small_config_static_selectorELNS0_4arch9wavefront6targetE0EEEvSK_.has_dyn_sized_stack, or(0, .L_ZN7rocprim17ROCPRIM_400000_NS6detail26segmented_warp_sort_helperINS1_20WarpSortHelperConfigILj32ELj4ELj256EEEilLi256ELb0EvE4sortIPKiPiPKlPlEEvT_T0_T1_T2_jjjjRNS5_12storage_typeE.has_dyn_sized_stack)
	.set _ZN7rocprim17ROCPRIM_400000_NS6detail17trampoline_kernelINS0_14default_configENS1_36segmented_radix_sort_config_selectorIilEEZNS1_25segmented_radix_sort_implIS3_Lb0EPKiPiPKlPlN2at6native12_GLOBAL__N_18offset_tEEE10hipError_tPvRmT1_PNSt15iterator_traitsISK_E10value_typeET2_T3_PNSL_ISQ_E10value_typeET4_jRbjT5_SW_jjP12ihipStream_tbEUlT_E1_NS1_11comp_targetILNS1_3genE8ELNS1_11target_archE1030ELNS1_3gpuE2ELNS1_3repE0EEENS1_59segmented_radix_sort_warp_sort_small_config_static_selectorELNS0_4arch9wavefront6targetE0EEEvSK_.has_recursion, or(0, .L_ZN7rocprim17ROCPRIM_400000_NS6detail26segmented_warp_sort_helperINS1_20WarpSortHelperConfigILj32ELj4ELj256EEEilLi256ELb0EvE4sortIPKiPiPKlPlEEvT_T0_T1_T2_jjjjRNS5_12storage_typeE.has_recursion)
	.set _ZN7rocprim17ROCPRIM_400000_NS6detail17trampoline_kernelINS0_14default_configENS1_36segmented_radix_sort_config_selectorIilEEZNS1_25segmented_radix_sort_implIS3_Lb0EPKiPiPKlPlN2at6native12_GLOBAL__N_18offset_tEEE10hipError_tPvRmT1_PNSt15iterator_traitsISK_E10value_typeET2_T3_PNSL_ISQ_E10value_typeET4_jRbjT5_SW_jjP12ihipStream_tbEUlT_E1_NS1_11comp_targetILNS1_3genE8ELNS1_11target_archE1030ELNS1_3gpuE2ELNS1_3repE0EEENS1_59segmented_radix_sort_warp_sort_small_config_static_selectorELNS0_4arch9wavefront6targetE0EEEvSK_.has_indirect_call, or(0, .L_ZN7rocprim17ROCPRIM_400000_NS6detail26segmented_warp_sort_helperINS1_20WarpSortHelperConfigILj32ELj4ELj256EEEilLi256ELb0EvE4sortIPKiPiPKlPlEEvT_T0_T1_T2_jjjjRNS5_12storage_typeE.has_indirect_call)
	.section	.AMDGPU.csdata,"",@progbits
; Kernel info:
; codeLenInByte = 524
; TotalNumSgprs: 42
; NumVgprs: 54
; ScratchSize: 0
; MemoryBound: 0
; FloatMode: 240
; IeeeMode: 1
; LDSByteSize: 12288 bytes/workgroup (compile time only)
; SGPRBlocks: 0
; VGPRBlocks: 6
; NumSGPRsForWavesPerEU: 42
; NumVGPRsForWavesPerEU: 54
; Occupancy: 16
; WaveLimiterHint : 0
; COMPUTE_PGM_RSRC2:SCRATCH_EN: 0
; COMPUTE_PGM_RSRC2:USER_SGPR: 6
; COMPUTE_PGM_RSRC2:TRAP_HANDLER: 0
; COMPUTE_PGM_RSRC2:TGID_X_EN: 1
; COMPUTE_PGM_RSRC2:TGID_Y_EN: 1
; COMPUTE_PGM_RSRC2:TGID_Z_EN: 0
; COMPUTE_PGM_RSRC2:TIDIG_COMP_CNT: 2
	.section	.text._ZN7rocprim17ROCPRIM_400000_NS6detail17trampoline_kernelINS0_14default_configENS1_36segmented_radix_sort_config_selectorIilEEZNS1_25segmented_radix_sort_implIS3_Lb0EPKiPiPKlPlN2at6native12_GLOBAL__N_18offset_tEEE10hipError_tPvRmT1_PNSt15iterator_traitsISK_E10value_typeET2_T3_PNSL_ISQ_E10value_typeET4_jRbjT5_SW_jjP12ihipStream_tbEUlT_E2_NS1_11comp_targetILNS1_3genE0ELNS1_11target_archE4294967295ELNS1_3gpuE0ELNS1_3repE0EEENS1_30default_config_static_selectorELNS0_4arch9wavefront6targetE0EEEvSK_,"axG",@progbits,_ZN7rocprim17ROCPRIM_400000_NS6detail17trampoline_kernelINS0_14default_configENS1_36segmented_radix_sort_config_selectorIilEEZNS1_25segmented_radix_sort_implIS3_Lb0EPKiPiPKlPlN2at6native12_GLOBAL__N_18offset_tEEE10hipError_tPvRmT1_PNSt15iterator_traitsISK_E10value_typeET2_T3_PNSL_ISQ_E10value_typeET4_jRbjT5_SW_jjP12ihipStream_tbEUlT_E2_NS1_11comp_targetILNS1_3genE0ELNS1_11target_archE4294967295ELNS1_3gpuE0ELNS1_3repE0EEENS1_30default_config_static_selectorELNS0_4arch9wavefront6targetE0EEEvSK_,comdat
	.globl	_ZN7rocprim17ROCPRIM_400000_NS6detail17trampoline_kernelINS0_14default_configENS1_36segmented_radix_sort_config_selectorIilEEZNS1_25segmented_radix_sort_implIS3_Lb0EPKiPiPKlPlN2at6native12_GLOBAL__N_18offset_tEEE10hipError_tPvRmT1_PNSt15iterator_traitsISK_E10value_typeET2_T3_PNSL_ISQ_E10value_typeET4_jRbjT5_SW_jjP12ihipStream_tbEUlT_E2_NS1_11comp_targetILNS1_3genE0ELNS1_11target_archE4294967295ELNS1_3gpuE0ELNS1_3repE0EEENS1_30default_config_static_selectorELNS0_4arch9wavefront6targetE0EEEvSK_ ; -- Begin function _ZN7rocprim17ROCPRIM_400000_NS6detail17trampoline_kernelINS0_14default_configENS1_36segmented_radix_sort_config_selectorIilEEZNS1_25segmented_radix_sort_implIS3_Lb0EPKiPiPKlPlN2at6native12_GLOBAL__N_18offset_tEEE10hipError_tPvRmT1_PNSt15iterator_traitsISK_E10value_typeET2_T3_PNSL_ISQ_E10value_typeET4_jRbjT5_SW_jjP12ihipStream_tbEUlT_E2_NS1_11comp_targetILNS1_3genE0ELNS1_11target_archE4294967295ELNS1_3gpuE0ELNS1_3repE0EEENS1_30default_config_static_selectorELNS0_4arch9wavefront6targetE0EEEvSK_
	.p2align	8
	.type	_ZN7rocprim17ROCPRIM_400000_NS6detail17trampoline_kernelINS0_14default_configENS1_36segmented_radix_sort_config_selectorIilEEZNS1_25segmented_radix_sort_implIS3_Lb0EPKiPiPKlPlN2at6native12_GLOBAL__N_18offset_tEEE10hipError_tPvRmT1_PNSt15iterator_traitsISK_E10value_typeET2_T3_PNSL_ISQ_E10value_typeET4_jRbjT5_SW_jjP12ihipStream_tbEUlT_E2_NS1_11comp_targetILNS1_3genE0ELNS1_11target_archE4294967295ELNS1_3gpuE0ELNS1_3repE0EEENS1_30default_config_static_selectorELNS0_4arch9wavefront6targetE0EEEvSK_,@function
_ZN7rocprim17ROCPRIM_400000_NS6detail17trampoline_kernelINS0_14default_configENS1_36segmented_radix_sort_config_selectorIilEEZNS1_25segmented_radix_sort_implIS3_Lb0EPKiPiPKlPlN2at6native12_GLOBAL__N_18offset_tEEE10hipError_tPvRmT1_PNSt15iterator_traitsISK_E10value_typeET2_T3_PNSL_ISQ_E10value_typeET4_jRbjT5_SW_jjP12ihipStream_tbEUlT_E2_NS1_11comp_targetILNS1_3genE0ELNS1_11target_archE4294967295ELNS1_3gpuE0ELNS1_3repE0EEENS1_30default_config_static_selectorELNS0_4arch9wavefront6targetE0EEEvSK_: ; @_ZN7rocprim17ROCPRIM_400000_NS6detail17trampoline_kernelINS0_14default_configENS1_36segmented_radix_sort_config_selectorIilEEZNS1_25segmented_radix_sort_implIS3_Lb0EPKiPiPKlPlN2at6native12_GLOBAL__N_18offset_tEEE10hipError_tPvRmT1_PNSt15iterator_traitsISK_E10value_typeET2_T3_PNSL_ISQ_E10value_typeET4_jRbjT5_SW_jjP12ihipStream_tbEUlT_E2_NS1_11comp_targetILNS1_3genE0ELNS1_11target_archE4294967295ELNS1_3gpuE0ELNS1_3repE0EEENS1_30default_config_static_selectorELNS0_4arch9wavefront6targetE0EEEvSK_
; %bb.0:
	.section	.rodata,"a",@progbits
	.p2align	6, 0x0
	.amdhsa_kernel _ZN7rocprim17ROCPRIM_400000_NS6detail17trampoline_kernelINS0_14default_configENS1_36segmented_radix_sort_config_selectorIilEEZNS1_25segmented_radix_sort_implIS3_Lb0EPKiPiPKlPlN2at6native12_GLOBAL__N_18offset_tEEE10hipError_tPvRmT1_PNSt15iterator_traitsISK_E10value_typeET2_T3_PNSL_ISQ_E10value_typeET4_jRbjT5_SW_jjP12ihipStream_tbEUlT_E2_NS1_11comp_targetILNS1_3genE0ELNS1_11target_archE4294967295ELNS1_3gpuE0ELNS1_3repE0EEENS1_30default_config_static_selectorELNS0_4arch9wavefront6targetE0EEEvSK_
		.amdhsa_group_segment_fixed_size 0
		.amdhsa_private_segment_fixed_size 0
		.amdhsa_kernarg_size 80
		.amdhsa_user_sgpr_count 6
		.amdhsa_user_sgpr_private_segment_buffer 1
		.amdhsa_user_sgpr_dispatch_ptr 0
		.amdhsa_user_sgpr_queue_ptr 0
		.amdhsa_user_sgpr_kernarg_segment_ptr 1
		.amdhsa_user_sgpr_dispatch_id 0
		.amdhsa_user_sgpr_flat_scratch_init 0
		.amdhsa_user_sgpr_private_segment_size 0
		.amdhsa_wavefront_size32 1
		.amdhsa_uses_dynamic_stack 0
		.amdhsa_system_sgpr_private_segment_wavefront_offset 0
		.amdhsa_system_sgpr_workgroup_id_x 1
		.amdhsa_system_sgpr_workgroup_id_y 0
		.amdhsa_system_sgpr_workgroup_id_z 0
		.amdhsa_system_sgpr_workgroup_info 0
		.amdhsa_system_vgpr_workitem_id 0
		.amdhsa_next_free_vgpr 1
		.amdhsa_next_free_sgpr 1
		.amdhsa_reserve_vcc 0
		.amdhsa_reserve_flat_scratch 0
		.amdhsa_float_round_mode_32 0
		.amdhsa_float_round_mode_16_64 0
		.amdhsa_float_denorm_mode_32 3
		.amdhsa_float_denorm_mode_16_64 3
		.amdhsa_dx10_clamp 1
		.amdhsa_ieee_mode 1
		.amdhsa_fp16_overflow 0
		.amdhsa_workgroup_processor_mode 1
		.amdhsa_memory_ordered 1
		.amdhsa_forward_progress 1
		.amdhsa_shared_vgpr_count 0
		.amdhsa_exception_fp_ieee_invalid_op 0
		.amdhsa_exception_fp_denorm_src 0
		.amdhsa_exception_fp_ieee_div_zero 0
		.amdhsa_exception_fp_ieee_overflow 0
		.amdhsa_exception_fp_ieee_underflow 0
		.amdhsa_exception_fp_ieee_inexact 0
		.amdhsa_exception_int_div_zero 0
	.end_amdhsa_kernel
	.section	.text._ZN7rocprim17ROCPRIM_400000_NS6detail17trampoline_kernelINS0_14default_configENS1_36segmented_radix_sort_config_selectorIilEEZNS1_25segmented_radix_sort_implIS3_Lb0EPKiPiPKlPlN2at6native12_GLOBAL__N_18offset_tEEE10hipError_tPvRmT1_PNSt15iterator_traitsISK_E10value_typeET2_T3_PNSL_ISQ_E10value_typeET4_jRbjT5_SW_jjP12ihipStream_tbEUlT_E2_NS1_11comp_targetILNS1_3genE0ELNS1_11target_archE4294967295ELNS1_3gpuE0ELNS1_3repE0EEENS1_30default_config_static_selectorELNS0_4arch9wavefront6targetE0EEEvSK_,"axG",@progbits,_ZN7rocprim17ROCPRIM_400000_NS6detail17trampoline_kernelINS0_14default_configENS1_36segmented_radix_sort_config_selectorIilEEZNS1_25segmented_radix_sort_implIS3_Lb0EPKiPiPKlPlN2at6native12_GLOBAL__N_18offset_tEEE10hipError_tPvRmT1_PNSt15iterator_traitsISK_E10value_typeET2_T3_PNSL_ISQ_E10value_typeET4_jRbjT5_SW_jjP12ihipStream_tbEUlT_E2_NS1_11comp_targetILNS1_3genE0ELNS1_11target_archE4294967295ELNS1_3gpuE0ELNS1_3repE0EEENS1_30default_config_static_selectorELNS0_4arch9wavefront6targetE0EEEvSK_,comdat
.Lfunc_end624:
	.size	_ZN7rocprim17ROCPRIM_400000_NS6detail17trampoline_kernelINS0_14default_configENS1_36segmented_radix_sort_config_selectorIilEEZNS1_25segmented_radix_sort_implIS3_Lb0EPKiPiPKlPlN2at6native12_GLOBAL__N_18offset_tEEE10hipError_tPvRmT1_PNSt15iterator_traitsISK_E10value_typeET2_T3_PNSL_ISQ_E10value_typeET4_jRbjT5_SW_jjP12ihipStream_tbEUlT_E2_NS1_11comp_targetILNS1_3genE0ELNS1_11target_archE4294967295ELNS1_3gpuE0ELNS1_3repE0EEENS1_30default_config_static_selectorELNS0_4arch9wavefront6targetE0EEEvSK_, .Lfunc_end624-_ZN7rocprim17ROCPRIM_400000_NS6detail17trampoline_kernelINS0_14default_configENS1_36segmented_radix_sort_config_selectorIilEEZNS1_25segmented_radix_sort_implIS3_Lb0EPKiPiPKlPlN2at6native12_GLOBAL__N_18offset_tEEE10hipError_tPvRmT1_PNSt15iterator_traitsISK_E10value_typeET2_T3_PNSL_ISQ_E10value_typeET4_jRbjT5_SW_jjP12ihipStream_tbEUlT_E2_NS1_11comp_targetILNS1_3genE0ELNS1_11target_archE4294967295ELNS1_3gpuE0ELNS1_3repE0EEENS1_30default_config_static_selectorELNS0_4arch9wavefront6targetE0EEEvSK_
                                        ; -- End function
	.set _ZN7rocprim17ROCPRIM_400000_NS6detail17trampoline_kernelINS0_14default_configENS1_36segmented_radix_sort_config_selectorIilEEZNS1_25segmented_radix_sort_implIS3_Lb0EPKiPiPKlPlN2at6native12_GLOBAL__N_18offset_tEEE10hipError_tPvRmT1_PNSt15iterator_traitsISK_E10value_typeET2_T3_PNSL_ISQ_E10value_typeET4_jRbjT5_SW_jjP12ihipStream_tbEUlT_E2_NS1_11comp_targetILNS1_3genE0ELNS1_11target_archE4294967295ELNS1_3gpuE0ELNS1_3repE0EEENS1_30default_config_static_selectorELNS0_4arch9wavefront6targetE0EEEvSK_.num_vgpr, 0
	.set _ZN7rocprim17ROCPRIM_400000_NS6detail17trampoline_kernelINS0_14default_configENS1_36segmented_radix_sort_config_selectorIilEEZNS1_25segmented_radix_sort_implIS3_Lb0EPKiPiPKlPlN2at6native12_GLOBAL__N_18offset_tEEE10hipError_tPvRmT1_PNSt15iterator_traitsISK_E10value_typeET2_T3_PNSL_ISQ_E10value_typeET4_jRbjT5_SW_jjP12ihipStream_tbEUlT_E2_NS1_11comp_targetILNS1_3genE0ELNS1_11target_archE4294967295ELNS1_3gpuE0ELNS1_3repE0EEENS1_30default_config_static_selectorELNS0_4arch9wavefront6targetE0EEEvSK_.num_agpr, 0
	.set _ZN7rocprim17ROCPRIM_400000_NS6detail17trampoline_kernelINS0_14default_configENS1_36segmented_radix_sort_config_selectorIilEEZNS1_25segmented_radix_sort_implIS3_Lb0EPKiPiPKlPlN2at6native12_GLOBAL__N_18offset_tEEE10hipError_tPvRmT1_PNSt15iterator_traitsISK_E10value_typeET2_T3_PNSL_ISQ_E10value_typeET4_jRbjT5_SW_jjP12ihipStream_tbEUlT_E2_NS1_11comp_targetILNS1_3genE0ELNS1_11target_archE4294967295ELNS1_3gpuE0ELNS1_3repE0EEENS1_30default_config_static_selectorELNS0_4arch9wavefront6targetE0EEEvSK_.numbered_sgpr, 0
	.set _ZN7rocprim17ROCPRIM_400000_NS6detail17trampoline_kernelINS0_14default_configENS1_36segmented_radix_sort_config_selectorIilEEZNS1_25segmented_radix_sort_implIS3_Lb0EPKiPiPKlPlN2at6native12_GLOBAL__N_18offset_tEEE10hipError_tPvRmT1_PNSt15iterator_traitsISK_E10value_typeET2_T3_PNSL_ISQ_E10value_typeET4_jRbjT5_SW_jjP12ihipStream_tbEUlT_E2_NS1_11comp_targetILNS1_3genE0ELNS1_11target_archE4294967295ELNS1_3gpuE0ELNS1_3repE0EEENS1_30default_config_static_selectorELNS0_4arch9wavefront6targetE0EEEvSK_.num_named_barrier, 0
	.set _ZN7rocprim17ROCPRIM_400000_NS6detail17trampoline_kernelINS0_14default_configENS1_36segmented_radix_sort_config_selectorIilEEZNS1_25segmented_radix_sort_implIS3_Lb0EPKiPiPKlPlN2at6native12_GLOBAL__N_18offset_tEEE10hipError_tPvRmT1_PNSt15iterator_traitsISK_E10value_typeET2_T3_PNSL_ISQ_E10value_typeET4_jRbjT5_SW_jjP12ihipStream_tbEUlT_E2_NS1_11comp_targetILNS1_3genE0ELNS1_11target_archE4294967295ELNS1_3gpuE0ELNS1_3repE0EEENS1_30default_config_static_selectorELNS0_4arch9wavefront6targetE0EEEvSK_.private_seg_size, 0
	.set _ZN7rocprim17ROCPRIM_400000_NS6detail17trampoline_kernelINS0_14default_configENS1_36segmented_radix_sort_config_selectorIilEEZNS1_25segmented_radix_sort_implIS3_Lb0EPKiPiPKlPlN2at6native12_GLOBAL__N_18offset_tEEE10hipError_tPvRmT1_PNSt15iterator_traitsISK_E10value_typeET2_T3_PNSL_ISQ_E10value_typeET4_jRbjT5_SW_jjP12ihipStream_tbEUlT_E2_NS1_11comp_targetILNS1_3genE0ELNS1_11target_archE4294967295ELNS1_3gpuE0ELNS1_3repE0EEENS1_30default_config_static_selectorELNS0_4arch9wavefront6targetE0EEEvSK_.uses_vcc, 0
	.set _ZN7rocprim17ROCPRIM_400000_NS6detail17trampoline_kernelINS0_14default_configENS1_36segmented_radix_sort_config_selectorIilEEZNS1_25segmented_radix_sort_implIS3_Lb0EPKiPiPKlPlN2at6native12_GLOBAL__N_18offset_tEEE10hipError_tPvRmT1_PNSt15iterator_traitsISK_E10value_typeET2_T3_PNSL_ISQ_E10value_typeET4_jRbjT5_SW_jjP12ihipStream_tbEUlT_E2_NS1_11comp_targetILNS1_3genE0ELNS1_11target_archE4294967295ELNS1_3gpuE0ELNS1_3repE0EEENS1_30default_config_static_selectorELNS0_4arch9wavefront6targetE0EEEvSK_.uses_flat_scratch, 0
	.set _ZN7rocprim17ROCPRIM_400000_NS6detail17trampoline_kernelINS0_14default_configENS1_36segmented_radix_sort_config_selectorIilEEZNS1_25segmented_radix_sort_implIS3_Lb0EPKiPiPKlPlN2at6native12_GLOBAL__N_18offset_tEEE10hipError_tPvRmT1_PNSt15iterator_traitsISK_E10value_typeET2_T3_PNSL_ISQ_E10value_typeET4_jRbjT5_SW_jjP12ihipStream_tbEUlT_E2_NS1_11comp_targetILNS1_3genE0ELNS1_11target_archE4294967295ELNS1_3gpuE0ELNS1_3repE0EEENS1_30default_config_static_selectorELNS0_4arch9wavefront6targetE0EEEvSK_.has_dyn_sized_stack, 0
	.set _ZN7rocprim17ROCPRIM_400000_NS6detail17trampoline_kernelINS0_14default_configENS1_36segmented_radix_sort_config_selectorIilEEZNS1_25segmented_radix_sort_implIS3_Lb0EPKiPiPKlPlN2at6native12_GLOBAL__N_18offset_tEEE10hipError_tPvRmT1_PNSt15iterator_traitsISK_E10value_typeET2_T3_PNSL_ISQ_E10value_typeET4_jRbjT5_SW_jjP12ihipStream_tbEUlT_E2_NS1_11comp_targetILNS1_3genE0ELNS1_11target_archE4294967295ELNS1_3gpuE0ELNS1_3repE0EEENS1_30default_config_static_selectorELNS0_4arch9wavefront6targetE0EEEvSK_.has_recursion, 0
	.set _ZN7rocprim17ROCPRIM_400000_NS6detail17trampoline_kernelINS0_14default_configENS1_36segmented_radix_sort_config_selectorIilEEZNS1_25segmented_radix_sort_implIS3_Lb0EPKiPiPKlPlN2at6native12_GLOBAL__N_18offset_tEEE10hipError_tPvRmT1_PNSt15iterator_traitsISK_E10value_typeET2_T3_PNSL_ISQ_E10value_typeET4_jRbjT5_SW_jjP12ihipStream_tbEUlT_E2_NS1_11comp_targetILNS1_3genE0ELNS1_11target_archE4294967295ELNS1_3gpuE0ELNS1_3repE0EEENS1_30default_config_static_selectorELNS0_4arch9wavefront6targetE0EEEvSK_.has_indirect_call, 0
	.section	.AMDGPU.csdata,"",@progbits
; Kernel info:
; codeLenInByte = 0
; TotalNumSgprs: 0
; NumVgprs: 0
; ScratchSize: 0
; MemoryBound: 0
; FloatMode: 240
; IeeeMode: 1
; LDSByteSize: 0 bytes/workgroup (compile time only)
; SGPRBlocks: 0
; VGPRBlocks: 0
; NumSGPRsForWavesPerEU: 1
; NumVGPRsForWavesPerEU: 1
; Occupancy: 16
; WaveLimiterHint : 0
; COMPUTE_PGM_RSRC2:SCRATCH_EN: 0
; COMPUTE_PGM_RSRC2:USER_SGPR: 6
; COMPUTE_PGM_RSRC2:TRAP_HANDLER: 0
; COMPUTE_PGM_RSRC2:TGID_X_EN: 1
; COMPUTE_PGM_RSRC2:TGID_Y_EN: 0
; COMPUTE_PGM_RSRC2:TGID_Z_EN: 0
; COMPUTE_PGM_RSRC2:TIDIG_COMP_CNT: 0
	.section	.text._ZN7rocprim17ROCPRIM_400000_NS6detail17trampoline_kernelINS0_14default_configENS1_36segmented_radix_sort_config_selectorIilEEZNS1_25segmented_radix_sort_implIS3_Lb0EPKiPiPKlPlN2at6native12_GLOBAL__N_18offset_tEEE10hipError_tPvRmT1_PNSt15iterator_traitsISK_E10value_typeET2_T3_PNSL_ISQ_E10value_typeET4_jRbjT5_SW_jjP12ihipStream_tbEUlT_E2_NS1_11comp_targetILNS1_3genE5ELNS1_11target_archE942ELNS1_3gpuE9ELNS1_3repE0EEENS1_30default_config_static_selectorELNS0_4arch9wavefront6targetE0EEEvSK_,"axG",@progbits,_ZN7rocprim17ROCPRIM_400000_NS6detail17trampoline_kernelINS0_14default_configENS1_36segmented_radix_sort_config_selectorIilEEZNS1_25segmented_radix_sort_implIS3_Lb0EPKiPiPKlPlN2at6native12_GLOBAL__N_18offset_tEEE10hipError_tPvRmT1_PNSt15iterator_traitsISK_E10value_typeET2_T3_PNSL_ISQ_E10value_typeET4_jRbjT5_SW_jjP12ihipStream_tbEUlT_E2_NS1_11comp_targetILNS1_3genE5ELNS1_11target_archE942ELNS1_3gpuE9ELNS1_3repE0EEENS1_30default_config_static_selectorELNS0_4arch9wavefront6targetE0EEEvSK_,comdat
	.globl	_ZN7rocprim17ROCPRIM_400000_NS6detail17trampoline_kernelINS0_14default_configENS1_36segmented_radix_sort_config_selectorIilEEZNS1_25segmented_radix_sort_implIS3_Lb0EPKiPiPKlPlN2at6native12_GLOBAL__N_18offset_tEEE10hipError_tPvRmT1_PNSt15iterator_traitsISK_E10value_typeET2_T3_PNSL_ISQ_E10value_typeET4_jRbjT5_SW_jjP12ihipStream_tbEUlT_E2_NS1_11comp_targetILNS1_3genE5ELNS1_11target_archE942ELNS1_3gpuE9ELNS1_3repE0EEENS1_30default_config_static_selectorELNS0_4arch9wavefront6targetE0EEEvSK_ ; -- Begin function _ZN7rocprim17ROCPRIM_400000_NS6detail17trampoline_kernelINS0_14default_configENS1_36segmented_radix_sort_config_selectorIilEEZNS1_25segmented_radix_sort_implIS3_Lb0EPKiPiPKlPlN2at6native12_GLOBAL__N_18offset_tEEE10hipError_tPvRmT1_PNSt15iterator_traitsISK_E10value_typeET2_T3_PNSL_ISQ_E10value_typeET4_jRbjT5_SW_jjP12ihipStream_tbEUlT_E2_NS1_11comp_targetILNS1_3genE5ELNS1_11target_archE942ELNS1_3gpuE9ELNS1_3repE0EEENS1_30default_config_static_selectorELNS0_4arch9wavefront6targetE0EEEvSK_
	.p2align	8
	.type	_ZN7rocprim17ROCPRIM_400000_NS6detail17trampoline_kernelINS0_14default_configENS1_36segmented_radix_sort_config_selectorIilEEZNS1_25segmented_radix_sort_implIS3_Lb0EPKiPiPKlPlN2at6native12_GLOBAL__N_18offset_tEEE10hipError_tPvRmT1_PNSt15iterator_traitsISK_E10value_typeET2_T3_PNSL_ISQ_E10value_typeET4_jRbjT5_SW_jjP12ihipStream_tbEUlT_E2_NS1_11comp_targetILNS1_3genE5ELNS1_11target_archE942ELNS1_3gpuE9ELNS1_3repE0EEENS1_30default_config_static_selectorELNS0_4arch9wavefront6targetE0EEEvSK_,@function
_ZN7rocprim17ROCPRIM_400000_NS6detail17trampoline_kernelINS0_14default_configENS1_36segmented_radix_sort_config_selectorIilEEZNS1_25segmented_radix_sort_implIS3_Lb0EPKiPiPKlPlN2at6native12_GLOBAL__N_18offset_tEEE10hipError_tPvRmT1_PNSt15iterator_traitsISK_E10value_typeET2_T3_PNSL_ISQ_E10value_typeET4_jRbjT5_SW_jjP12ihipStream_tbEUlT_E2_NS1_11comp_targetILNS1_3genE5ELNS1_11target_archE942ELNS1_3gpuE9ELNS1_3repE0EEENS1_30default_config_static_selectorELNS0_4arch9wavefront6targetE0EEEvSK_: ; @_ZN7rocprim17ROCPRIM_400000_NS6detail17trampoline_kernelINS0_14default_configENS1_36segmented_radix_sort_config_selectorIilEEZNS1_25segmented_radix_sort_implIS3_Lb0EPKiPiPKlPlN2at6native12_GLOBAL__N_18offset_tEEE10hipError_tPvRmT1_PNSt15iterator_traitsISK_E10value_typeET2_T3_PNSL_ISQ_E10value_typeET4_jRbjT5_SW_jjP12ihipStream_tbEUlT_E2_NS1_11comp_targetILNS1_3genE5ELNS1_11target_archE942ELNS1_3gpuE9ELNS1_3repE0EEENS1_30default_config_static_selectorELNS0_4arch9wavefront6targetE0EEEvSK_
; %bb.0:
	.section	.rodata,"a",@progbits
	.p2align	6, 0x0
	.amdhsa_kernel _ZN7rocprim17ROCPRIM_400000_NS6detail17trampoline_kernelINS0_14default_configENS1_36segmented_radix_sort_config_selectorIilEEZNS1_25segmented_radix_sort_implIS3_Lb0EPKiPiPKlPlN2at6native12_GLOBAL__N_18offset_tEEE10hipError_tPvRmT1_PNSt15iterator_traitsISK_E10value_typeET2_T3_PNSL_ISQ_E10value_typeET4_jRbjT5_SW_jjP12ihipStream_tbEUlT_E2_NS1_11comp_targetILNS1_3genE5ELNS1_11target_archE942ELNS1_3gpuE9ELNS1_3repE0EEENS1_30default_config_static_selectorELNS0_4arch9wavefront6targetE0EEEvSK_
		.amdhsa_group_segment_fixed_size 0
		.amdhsa_private_segment_fixed_size 0
		.amdhsa_kernarg_size 80
		.amdhsa_user_sgpr_count 6
		.amdhsa_user_sgpr_private_segment_buffer 1
		.amdhsa_user_sgpr_dispatch_ptr 0
		.amdhsa_user_sgpr_queue_ptr 0
		.amdhsa_user_sgpr_kernarg_segment_ptr 1
		.amdhsa_user_sgpr_dispatch_id 0
		.amdhsa_user_sgpr_flat_scratch_init 0
		.amdhsa_user_sgpr_private_segment_size 0
		.amdhsa_wavefront_size32 1
		.amdhsa_uses_dynamic_stack 0
		.amdhsa_system_sgpr_private_segment_wavefront_offset 0
		.amdhsa_system_sgpr_workgroup_id_x 1
		.amdhsa_system_sgpr_workgroup_id_y 0
		.amdhsa_system_sgpr_workgroup_id_z 0
		.amdhsa_system_sgpr_workgroup_info 0
		.amdhsa_system_vgpr_workitem_id 0
		.amdhsa_next_free_vgpr 1
		.amdhsa_next_free_sgpr 1
		.amdhsa_reserve_vcc 0
		.amdhsa_reserve_flat_scratch 0
		.amdhsa_float_round_mode_32 0
		.amdhsa_float_round_mode_16_64 0
		.amdhsa_float_denorm_mode_32 3
		.amdhsa_float_denorm_mode_16_64 3
		.amdhsa_dx10_clamp 1
		.amdhsa_ieee_mode 1
		.amdhsa_fp16_overflow 0
		.amdhsa_workgroup_processor_mode 1
		.amdhsa_memory_ordered 1
		.amdhsa_forward_progress 1
		.amdhsa_shared_vgpr_count 0
		.amdhsa_exception_fp_ieee_invalid_op 0
		.amdhsa_exception_fp_denorm_src 0
		.amdhsa_exception_fp_ieee_div_zero 0
		.amdhsa_exception_fp_ieee_overflow 0
		.amdhsa_exception_fp_ieee_underflow 0
		.amdhsa_exception_fp_ieee_inexact 0
		.amdhsa_exception_int_div_zero 0
	.end_amdhsa_kernel
	.section	.text._ZN7rocprim17ROCPRIM_400000_NS6detail17trampoline_kernelINS0_14default_configENS1_36segmented_radix_sort_config_selectorIilEEZNS1_25segmented_radix_sort_implIS3_Lb0EPKiPiPKlPlN2at6native12_GLOBAL__N_18offset_tEEE10hipError_tPvRmT1_PNSt15iterator_traitsISK_E10value_typeET2_T3_PNSL_ISQ_E10value_typeET4_jRbjT5_SW_jjP12ihipStream_tbEUlT_E2_NS1_11comp_targetILNS1_3genE5ELNS1_11target_archE942ELNS1_3gpuE9ELNS1_3repE0EEENS1_30default_config_static_selectorELNS0_4arch9wavefront6targetE0EEEvSK_,"axG",@progbits,_ZN7rocprim17ROCPRIM_400000_NS6detail17trampoline_kernelINS0_14default_configENS1_36segmented_radix_sort_config_selectorIilEEZNS1_25segmented_radix_sort_implIS3_Lb0EPKiPiPKlPlN2at6native12_GLOBAL__N_18offset_tEEE10hipError_tPvRmT1_PNSt15iterator_traitsISK_E10value_typeET2_T3_PNSL_ISQ_E10value_typeET4_jRbjT5_SW_jjP12ihipStream_tbEUlT_E2_NS1_11comp_targetILNS1_3genE5ELNS1_11target_archE942ELNS1_3gpuE9ELNS1_3repE0EEENS1_30default_config_static_selectorELNS0_4arch9wavefront6targetE0EEEvSK_,comdat
.Lfunc_end625:
	.size	_ZN7rocprim17ROCPRIM_400000_NS6detail17trampoline_kernelINS0_14default_configENS1_36segmented_radix_sort_config_selectorIilEEZNS1_25segmented_radix_sort_implIS3_Lb0EPKiPiPKlPlN2at6native12_GLOBAL__N_18offset_tEEE10hipError_tPvRmT1_PNSt15iterator_traitsISK_E10value_typeET2_T3_PNSL_ISQ_E10value_typeET4_jRbjT5_SW_jjP12ihipStream_tbEUlT_E2_NS1_11comp_targetILNS1_3genE5ELNS1_11target_archE942ELNS1_3gpuE9ELNS1_3repE0EEENS1_30default_config_static_selectorELNS0_4arch9wavefront6targetE0EEEvSK_, .Lfunc_end625-_ZN7rocprim17ROCPRIM_400000_NS6detail17trampoline_kernelINS0_14default_configENS1_36segmented_radix_sort_config_selectorIilEEZNS1_25segmented_radix_sort_implIS3_Lb0EPKiPiPKlPlN2at6native12_GLOBAL__N_18offset_tEEE10hipError_tPvRmT1_PNSt15iterator_traitsISK_E10value_typeET2_T3_PNSL_ISQ_E10value_typeET4_jRbjT5_SW_jjP12ihipStream_tbEUlT_E2_NS1_11comp_targetILNS1_3genE5ELNS1_11target_archE942ELNS1_3gpuE9ELNS1_3repE0EEENS1_30default_config_static_selectorELNS0_4arch9wavefront6targetE0EEEvSK_
                                        ; -- End function
	.set _ZN7rocprim17ROCPRIM_400000_NS6detail17trampoline_kernelINS0_14default_configENS1_36segmented_radix_sort_config_selectorIilEEZNS1_25segmented_radix_sort_implIS3_Lb0EPKiPiPKlPlN2at6native12_GLOBAL__N_18offset_tEEE10hipError_tPvRmT1_PNSt15iterator_traitsISK_E10value_typeET2_T3_PNSL_ISQ_E10value_typeET4_jRbjT5_SW_jjP12ihipStream_tbEUlT_E2_NS1_11comp_targetILNS1_3genE5ELNS1_11target_archE942ELNS1_3gpuE9ELNS1_3repE0EEENS1_30default_config_static_selectorELNS0_4arch9wavefront6targetE0EEEvSK_.num_vgpr, 0
	.set _ZN7rocprim17ROCPRIM_400000_NS6detail17trampoline_kernelINS0_14default_configENS1_36segmented_radix_sort_config_selectorIilEEZNS1_25segmented_radix_sort_implIS3_Lb0EPKiPiPKlPlN2at6native12_GLOBAL__N_18offset_tEEE10hipError_tPvRmT1_PNSt15iterator_traitsISK_E10value_typeET2_T3_PNSL_ISQ_E10value_typeET4_jRbjT5_SW_jjP12ihipStream_tbEUlT_E2_NS1_11comp_targetILNS1_3genE5ELNS1_11target_archE942ELNS1_3gpuE9ELNS1_3repE0EEENS1_30default_config_static_selectorELNS0_4arch9wavefront6targetE0EEEvSK_.num_agpr, 0
	.set _ZN7rocprim17ROCPRIM_400000_NS6detail17trampoline_kernelINS0_14default_configENS1_36segmented_radix_sort_config_selectorIilEEZNS1_25segmented_radix_sort_implIS3_Lb0EPKiPiPKlPlN2at6native12_GLOBAL__N_18offset_tEEE10hipError_tPvRmT1_PNSt15iterator_traitsISK_E10value_typeET2_T3_PNSL_ISQ_E10value_typeET4_jRbjT5_SW_jjP12ihipStream_tbEUlT_E2_NS1_11comp_targetILNS1_3genE5ELNS1_11target_archE942ELNS1_3gpuE9ELNS1_3repE0EEENS1_30default_config_static_selectorELNS0_4arch9wavefront6targetE0EEEvSK_.numbered_sgpr, 0
	.set _ZN7rocprim17ROCPRIM_400000_NS6detail17trampoline_kernelINS0_14default_configENS1_36segmented_radix_sort_config_selectorIilEEZNS1_25segmented_radix_sort_implIS3_Lb0EPKiPiPKlPlN2at6native12_GLOBAL__N_18offset_tEEE10hipError_tPvRmT1_PNSt15iterator_traitsISK_E10value_typeET2_T3_PNSL_ISQ_E10value_typeET4_jRbjT5_SW_jjP12ihipStream_tbEUlT_E2_NS1_11comp_targetILNS1_3genE5ELNS1_11target_archE942ELNS1_3gpuE9ELNS1_3repE0EEENS1_30default_config_static_selectorELNS0_4arch9wavefront6targetE0EEEvSK_.num_named_barrier, 0
	.set _ZN7rocprim17ROCPRIM_400000_NS6detail17trampoline_kernelINS0_14default_configENS1_36segmented_radix_sort_config_selectorIilEEZNS1_25segmented_radix_sort_implIS3_Lb0EPKiPiPKlPlN2at6native12_GLOBAL__N_18offset_tEEE10hipError_tPvRmT1_PNSt15iterator_traitsISK_E10value_typeET2_T3_PNSL_ISQ_E10value_typeET4_jRbjT5_SW_jjP12ihipStream_tbEUlT_E2_NS1_11comp_targetILNS1_3genE5ELNS1_11target_archE942ELNS1_3gpuE9ELNS1_3repE0EEENS1_30default_config_static_selectorELNS0_4arch9wavefront6targetE0EEEvSK_.private_seg_size, 0
	.set _ZN7rocprim17ROCPRIM_400000_NS6detail17trampoline_kernelINS0_14default_configENS1_36segmented_radix_sort_config_selectorIilEEZNS1_25segmented_radix_sort_implIS3_Lb0EPKiPiPKlPlN2at6native12_GLOBAL__N_18offset_tEEE10hipError_tPvRmT1_PNSt15iterator_traitsISK_E10value_typeET2_T3_PNSL_ISQ_E10value_typeET4_jRbjT5_SW_jjP12ihipStream_tbEUlT_E2_NS1_11comp_targetILNS1_3genE5ELNS1_11target_archE942ELNS1_3gpuE9ELNS1_3repE0EEENS1_30default_config_static_selectorELNS0_4arch9wavefront6targetE0EEEvSK_.uses_vcc, 0
	.set _ZN7rocprim17ROCPRIM_400000_NS6detail17trampoline_kernelINS0_14default_configENS1_36segmented_radix_sort_config_selectorIilEEZNS1_25segmented_radix_sort_implIS3_Lb0EPKiPiPKlPlN2at6native12_GLOBAL__N_18offset_tEEE10hipError_tPvRmT1_PNSt15iterator_traitsISK_E10value_typeET2_T3_PNSL_ISQ_E10value_typeET4_jRbjT5_SW_jjP12ihipStream_tbEUlT_E2_NS1_11comp_targetILNS1_3genE5ELNS1_11target_archE942ELNS1_3gpuE9ELNS1_3repE0EEENS1_30default_config_static_selectorELNS0_4arch9wavefront6targetE0EEEvSK_.uses_flat_scratch, 0
	.set _ZN7rocprim17ROCPRIM_400000_NS6detail17trampoline_kernelINS0_14default_configENS1_36segmented_radix_sort_config_selectorIilEEZNS1_25segmented_radix_sort_implIS3_Lb0EPKiPiPKlPlN2at6native12_GLOBAL__N_18offset_tEEE10hipError_tPvRmT1_PNSt15iterator_traitsISK_E10value_typeET2_T3_PNSL_ISQ_E10value_typeET4_jRbjT5_SW_jjP12ihipStream_tbEUlT_E2_NS1_11comp_targetILNS1_3genE5ELNS1_11target_archE942ELNS1_3gpuE9ELNS1_3repE0EEENS1_30default_config_static_selectorELNS0_4arch9wavefront6targetE0EEEvSK_.has_dyn_sized_stack, 0
	.set _ZN7rocprim17ROCPRIM_400000_NS6detail17trampoline_kernelINS0_14default_configENS1_36segmented_radix_sort_config_selectorIilEEZNS1_25segmented_radix_sort_implIS3_Lb0EPKiPiPKlPlN2at6native12_GLOBAL__N_18offset_tEEE10hipError_tPvRmT1_PNSt15iterator_traitsISK_E10value_typeET2_T3_PNSL_ISQ_E10value_typeET4_jRbjT5_SW_jjP12ihipStream_tbEUlT_E2_NS1_11comp_targetILNS1_3genE5ELNS1_11target_archE942ELNS1_3gpuE9ELNS1_3repE0EEENS1_30default_config_static_selectorELNS0_4arch9wavefront6targetE0EEEvSK_.has_recursion, 0
	.set _ZN7rocprim17ROCPRIM_400000_NS6detail17trampoline_kernelINS0_14default_configENS1_36segmented_radix_sort_config_selectorIilEEZNS1_25segmented_radix_sort_implIS3_Lb0EPKiPiPKlPlN2at6native12_GLOBAL__N_18offset_tEEE10hipError_tPvRmT1_PNSt15iterator_traitsISK_E10value_typeET2_T3_PNSL_ISQ_E10value_typeET4_jRbjT5_SW_jjP12ihipStream_tbEUlT_E2_NS1_11comp_targetILNS1_3genE5ELNS1_11target_archE942ELNS1_3gpuE9ELNS1_3repE0EEENS1_30default_config_static_selectorELNS0_4arch9wavefront6targetE0EEEvSK_.has_indirect_call, 0
	.section	.AMDGPU.csdata,"",@progbits
; Kernel info:
; codeLenInByte = 0
; TotalNumSgprs: 0
; NumVgprs: 0
; ScratchSize: 0
; MemoryBound: 0
; FloatMode: 240
; IeeeMode: 1
; LDSByteSize: 0 bytes/workgroup (compile time only)
; SGPRBlocks: 0
; VGPRBlocks: 0
; NumSGPRsForWavesPerEU: 1
; NumVGPRsForWavesPerEU: 1
; Occupancy: 16
; WaveLimiterHint : 0
; COMPUTE_PGM_RSRC2:SCRATCH_EN: 0
; COMPUTE_PGM_RSRC2:USER_SGPR: 6
; COMPUTE_PGM_RSRC2:TRAP_HANDLER: 0
; COMPUTE_PGM_RSRC2:TGID_X_EN: 1
; COMPUTE_PGM_RSRC2:TGID_Y_EN: 0
; COMPUTE_PGM_RSRC2:TGID_Z_EN: 0
; COMPUTE_PGM_RSRC2:TIDIG_COMP_CNT: 0
	.section	.text._ZN7rocprim17ROCPRIM_400000_NS6detail17trampoline_kernelINS0_14default_configENS1_36segmented_radix_sort_config_selectorIilEEZNS1_25segmented_radix_sort_implIS3_Lb0EPKiPiPKlPlN2at6native12_GLOBAL__N_18offset_tEEE10hipError_tPvRmT1_PNSt15iterator_traitsISK_E10value_typeET2_T3_PNSL_ISQ_E10value_typeET4_jRbjT5_SW_jjP12ihipStream_tbEUlT_E2_NS1_11comp_targetILNS1_3genE4ELNS1_11target_archE910ELNS1_3gpuE8ELNS1_3repE0EEENS1_30default_config_static_selectorELNS0_4arch9wavefront6targetE0EEEvSK_,"axG",@progbits,_ZN7rocprim17ROCPRIM_400000_NS6detail17trampoline_kernelINS0_14default_configENS1_36segmented_radix_sort_config_selectorIilEEZNS1_25segmented_radix_sort_implIS3_Lb0EPKiPiPKlPlN2at6native12_GLOBAL__N_18offset_tEEE10hipError_tPvRmT1_PNSt15iterator_traitsISK_E10value_typeET2_T3_PNSL_ISQ_E10value_typeET4_jRbjT5_SW_jjP12ihipStream_tbEUlT_E2_NS1_11comp_targetILNS1_3genE4ELNS1_11target_archE910ELNS1_3gpuE8ELNS1_3repE0EEENS1_30default_config_static_selectorELNS0_4arch9wavefront6targetE0EEEvSK_,comdat
	.globl	_ZN7rocprim17ROCPRIM_400000_NS6detail17trampoline_kernelINS0_14default_configENS1_36segmented_radix_sort_config_selectorIilEEZNS1_25segmented_radix_sort_implIS3_Lb0EPKiPiPKlPlN2at6native12_GLOBAL__N_18offset_tEEE10hipError_tPvRmT1_PNSt15iterator_traitsISK_E10value_typeET2_T3_PNSL_ISQ_E10value_typeET4_jRbjT5_SW_jjP12ihipStream_tbEUlT_E2_NS1_11comp_targetILNS1_3genE4ELNS1_11target_archE910ELNS1_3gpuE8ELNS1_3repE0EEENS1_30default_config_static_selectorELNS0_4arch9wavefront6targetE0EEEvSK_ ; -- Begin function _ZN7rocprim17ROCPRIM_400000_NS6detail17trampoline_kernelINS0_14default_configENS1_36segmented_radix_sort_config_selectorIilEEZNS1_25segmented_radix_sort_implIS3_Lb0EPKiPiPKlPlN2at6native12_GLOBAL__N_18offset_tEEE10hipError_tPvRmT1_PNSt15iterator_traitsISK_E10value_typeET2_T3_PNSL_ISQ_E10value_typeET4_jRbjT5_SW_jjP12ihipStream_tbEUlT_E2_NS1_11comp_targetILNS1_3genE4ELNS1_11target_archE910ELNS1_3gpuE8ELNS1_3repE0EEENS1_30default_config_static_selectorELNS0_4arch9wavefront6targetE0EEEvSK_
	.p2align	8
	.type	_ZN7rocprim17ROCPRIM_400000_NS6detail17trampoline_kernelINS0_14default_configENS1_36segmented_radix_sort_config_selectorIilEEZNS1_25segmented_radix_sort_implIS3_Lb0EPKiPiPKlPlN2at6native12_GLOBAL__N_18offset_tEEE10hipError_tPvRmT1_PNSt15iterator_traitsISK_E10value_typeET2_T3_PNSL_ISQ_E10value_typeET4_jRbjT5_SW_jjP12ihipStream_tbEUlT_E2_NS1_11comp_targetILNS1_3genE4ELNS1_11target_archE910ELNS1_3gpuE8ELNS1_3repE0EEENS1_30default_config_static_selectorELNS0_4arch9wavefront6targetE0EEEvSK_,@function
_ZN7rocprim17ROCPRIM_400000_NS6detail17trampoline_kernelINS0_14default_configENS1_36segmented_radix_sort_config_selectorIilEEZNS1_25segmented_radix_sort_implIS3_Lb0EPKiPiPKlPlN2at6native12_GLOBAL__N_18offset_tEEE10hipError_tPvRmT1_PNSt15iterator_traitsISK_E10value_typeET2_T3_PNSL_ISQ_E10value_typeET4_jRbjT5_SW_jjP12ihipStream_tbEUlT_E2_NS1_11comp_targetILNS1_3genE4ELNS1_11target_archE910ELNS1_3gpuE8ELNS1_3repE0EEENS1_30default_config_static_selectorELNS0_4arch9wavefront6targetE0EEEvSK_: ; @_ZN7rocprim17ROCPRIM_400000_NS6detail17trampoline_kernelINS0_14default_configENS1_36segmented_radix_sort_config_selectorIilEEZNS1_25segmented_radix_sort_implIS3_Lb0EPKiPiPKlPlN2at6native12_GLOBAL__N_18offset_tEEE10hipError_tPvRmT1_PNSt15iterator_traitsISK_E10value_typeET2_T3_PNSL_ISQ_E10value_typeET4_jRbjT5_SW_jjP12ihipStream_tbEUlT_E2_NS1_11comp_targetILNS1_3genE4ELNS1_11target_archE910ELNS1_3gpuE8ELNS1_3repE0EEENS1_30default_config_static_selectorELNS0_4arch9wavefront6targetE0EEEvSK_
; %bb.0:
	.section	.rodata,"a",@progbits
	.p2align	6, 0x0
	.amdhsa_kernel _ZN7rocprim17ROCPRIM_400000_NS6detail17trampoline_kernelINS0_14default_configENS1_36segmented_radix_sort_config_selectorIilEEZNS1_25segmented_radix_sort_implIS3_Lb0EPKiPiPKlPlN2at6native12_GLOBAL__N_18offset_tEEE10hipError_tPvRmT1_PNSt15iterator_traitsISK_E10value_typeET2_T3_PNSL_ISQ_E10value_typeET4_jRbjT5_SW_jjP12ihipStream_tbEUlT_E2_NS1_11comp_targetILNS1_3genE4ELNS1_11target_archE910ELNS1_3gpuE8ELNS1_3repE0EEENS1_30default_config_static_selectorELNS0_4arch9wavefront6targetE0EEEvSK_
		.amdhsa_group_segment_fixed_size 0
		.amdhsa_private_segment_fixed_size 0
		.amdhsa_kernarg_size 80
		.amdhsa_user_sgpr_count 6
		.amdhsa_user_sgpr_private_segment_buffer 1
		.amdhsa_user_sgpr_dispatch_ptr 0
		.amdhsa_user_sgpr_queue_ptr 0
		.amdhsa_user_sgpr_kernarg_segment_ptr 1
		.amdhsa_user_sgpr_dispatch_id 0
		.amdhsa_user_sgpr_flat_scratch_init 0
		.amdhsa_user_sgpr_private_segment_size 0
		.amdhsa_wavefront_size32 1
		.amdhsa_uses_dynamic_stack 0
		.amdhsa_system_sgpr_private_segment_wavefront_offset 0
		.amdhsa_system_sgpr_workgroup_id_x 1
		.amdhsa_system_sgpr_workgroup_id_y 0
		.amdhsa_system_sgpr_workgroup_id_z 0
		.amdhsa_system_sgpr_workgroup_info 0
		.amdhsa_system_vgpr_workitem_id 0
		.amdhsa_next_free_vgpr 1
		.amdhsa_next_free_sgpr 1
		.amdhsa_reserve_vcc 0
		.amdhsa_reserve_flat_scratch 0
		.amdhsa_float_round_mode_32 0
		.amdhsa_float_round_mode_16_64 0
		.amdhsa_float_denorm_mode_32 3
		.amdhsa_float_denorm_mode_16_64 3
		.amdhsa_dx10_clamp 1
		.amdhsa_ieee_mode 1
		.amdhsa_fp16_overflow 0
		.amdhsa_workgroup_processor_mode 1
		.amdhsa_memory_ordered 1
		.amdhsa_forward_progress 1
		.amdhsa_shared_vgpr_count 0
		.amdhsa_exception_fp_ieee_invalid_op 0
		.amdhsa_exception_fp_denorm_src 0
		.amdhsa_exception_fp_ieee_div_zero 0
		.amdhsa_exception_fp_ieee_overflow 0
		.amdhsa_exception_fp_ieee_underflow 0
		.amdhsa_exception_fp_ieee_inexact 0
		.amdhsa_exception_int_div_zero 0
	.end_amdhsa_kernel
	.section	.text._ZN7rocprim17ROCPRIM_400000_NS6detail17trampoline_kernelINS0_14default_configENS1_36segmented_radix_sort_config_selectorIilEEZNS1_25segmented_radix_sort_implIS3_Lb0EPKiPiPKlPlN2at6native12_GLOBAL__N_18offset_tEEE10hipError_tPvRmT1_PNSt15iterator_traitsISK_E10value_typeET2_T3_PNSL_ISQ_E10value_typeET4_jRbjT5_SW_jjP12ihipStream_tbEUlT_E2_NS1_11comp_targetILNS1_3genE4ELNS1_11target_archE910ELNS1_3gpuE8ELNS1_3repE0EEENS1_30default_config_static_selectorELNS0_4arch9wavefront6targetE0EEEvSK_,"axG",@progbits,_ZN7rocprim17ROCPRIM_400000_NS6detail17trampoline_kernelINS0_14default_configENS1_36segmented_radix_sort_config_selectorIilEEZNS1_25segmented_radix_sort_implIS3_Lb0EPKiPiPKlPlN2at6native12_GLOBAL__N_18offset_tEEE10hipError_tPvRmT1_PNSt15iterator_traitsISK_E10value_typeET2_T3_PNSL_ISQ_E10value_typeET4_jRbjT5_SW_jjP12ihipStream_tbEUlT_E2_NS1_11comp_targetILNS1_3genE4ELNS1_11target_archE910ELNS1_3gpuE8ELNS1_3repE0EEENS1_30default_config_static_selectorELNS0_4arch9wavefront6targetE0EEEvSK_,comdat
.Lfunc_end626:
	.size	_ZN7rocprim17ROCPRIM_400000_NS6detail17trampoline_kernelINS0_14default_configENS1_36segmented_radix_sort_config_selectorIilEEZNS1_25segmented_radix_sort_implIS3_Lb0EPKiPiPKlPlN2at6native12_GLOBAL__N_18offset_tEEE10hipError_tPvRmT1_PNSt15iterator_traitsISK_E10value_typeET2_T3_PNSL_ISQ_E10value_typeET4_jRbjT5_SW_jjP12ihipStream_tbEUlT_E2_NS1_11comp_targetILNS1_3genE4ELNS1_11target_archE910ELNS1_3gpuE8ELNS1_3repE0EEENS1_30default_config_static_selectorELNS0_4arch9wavefront6targetE0EEEvSK_, .Lfunc_end626-_ZN7rocprim17ROCPRIM_400000_NS6detail17trampoline_kernelINS0_14default_configENS1_36segmented_radix_sort_config_selectorIilEEZNS1_25segmented_radix_sort_implIS3_Lb0EPKiPiPKlPlN2at6native12_GLOBAL__N_18offset_tEEE10hipError_tPvRmT1_PNSt15iterator_traitsISK_E10value_typeET2_T3_PNSL_ISQ_E10value_typeET4_jRbjT5_SW_jjP12ihipStream_tbEUlT_E2_NS1_11comp_targetILNS1_3genE4ELNS1_11target_archE910ELNS1_3gpuE8ELNS1_3repE0EEENS1_30default_config_static_selectorELNS0_4arch9wavefront6targetE0EEEvSK_
                                        ; -- End function
	.set _ZN7rocprim17ROCPRIM_400000_NS6detail17trampoline_kernelINS0_14default_configENS1_36segmented_radix_sort_config_selectorIilEEZNS1_25segmented_radix_sort_implIS3_Lb0EPKiPiPKlPlN2at6native12_GLOBAL__N_18offset_tEEE10hipError_tPvRmT1_PNSt15iterator_traitsISK_E10value_typeET2_T3_PNSL_ISQ_E10value_typeET4_jRbjT5_SW_jjP12ihipStream_tbEUlT_E2_NS1_11comp_targetILNS1_3genE4ELNS1_11target_archE910ELNS1_3gpuE8ELNS1_3repE0EEENS1_30default_config_static_selectorELNS0_4arch9wavefront6targetE0EEEvSK_.num_vgpr, 0
	.set _ZN7rocprim17ROCPRIM_400000_NS6detail17trampoline_kernelINS0_14default_configENS1_36segmented_radix_sort_config_selectorIilEEZNS1_25segmented_radix_sort_implIS3_Lb0EPKiPiPKlPlN2at6native12_GLOBAL__N_18offset_tEEE10hipError_tPvRmT1_PNSt15iterator_traitsISK_E10value_typeET2_T3_PNSL_ISQ_E10value_typeET4_jRbjT5_SW_jjP12ihipStream_tbEUlT_E2_NS1_11comp_targetILNS1_3genE4ELNS1_11target_archE910ELNS1_3gpuE8ELNS1_3repE0EEENS1_30default_config_static_selectorELNS0_4arch9wavefront6targetE0EEEvSK_.num_agpr, 0
	.set _ZN7rocprim17ROCPRIM_400000_NS6detail17trampoline_kernelINS0_14default_configENS1_36segmented_radix_sort_config_selectorIilEEZNS1_25segmented_radix_sort_implIS3_Lb0EPKiPiPKlPlN2at6native12_GLOBAL__N_18offset_tEEE10hipError_tPvRmT1_PNSt15iterator_traitsISK_E10value_typeET2_T3_PNSL_ISQ_E10value_typeET4_jRbjT5_SW_jjP12ihipStream_tbEUlT_E2_NS1_11comp_targetILNS1_3genE4ELNS1_11target_archE910ELNS1_3gpuE8ELNS1_3repE0EEENS1_30default_config_static_selectorELNS0_4arch9wavefront6targetE0EEEvSK_.numbered_sgpr, 0
	.set _ZN7rocprim17ROCPRIM_400000_NS6detail17trampoline_kernelINS0_14default_configENS1_36segmented_radix_sort_config_selectorIilEEZNS1_25segmented_radix_sort_implIS3_Lb0EPKiPiPKlPlN2at6native12_GLOBAL__N_18offset_tEEE10hipError_tPvRmT1_PNSt15iterator_traitsISK_E10value_typeET2_T3_PNSL_ISQ_E10value_typeET4_jRbjT5_SW_jjP12ihipStream_tbEUlT_E2_NS1_11comp_targetILNS1_3genE4ELNS1_11target_archE910ELNS1_3gpuE8ELNS1_3repE0EEENS1_30default_config_static_selectorELNS0_4arch9wavefront6targetE0EEEvSK_.num_named_barrier, 0
	.set _ZN7rocprim17ROCPRIM_400000_NS6detail17trampoline_kernelINS0_14default_configENS1_36segmented_radix_sort_config_selectorIilEEZNS1_25segmented_radix_sort_implIS3_Lb0EPKiPiPKlPlN2at6native12_GLOBAL__N_18offset_tEEE10hipError_tPvRmT1_PNSt15iterator_traitsISK_E10value_typeET2_T3_PNSL_ISQ_E10value_typeET4_jRbjT5_SW_jjP12ihipStream_tbEUlT_E2_NS1_11comp_targetILNS1_3genE4ELNS1_11target_archE910ELNS1_3gpuE8ELNS1_3repE0EEENS1_30default_config_static_selectorELNS0_4arch9wavefront6targetE0EEEvSK_.private_seg_size, 0
	.set _ZN7rocprim17ROCPRIM_400000_NS6detail17trampoline_kernelINS0_14default_configENS1_36segmented_radix_sort_config_selectorIilEEZNS1_25segmented_radix_sort_implIS3_Lb0EPKiPiPKlPlN2at6native12_GLOBAL__N_18offset_tEEE10hipError_tPvRmT1_PNSt15iterator_traitsISK_E10value_typeET2_T3_PNSL_ISQ_E10value_typeET4_jRbjT5_SW_jjP12ihipStream_tbEUlT_E2_NS1_11comp_targetILNS1_3genE4ELNS1_11target_archE910ELNS1_3gpuE8ELNS1_3repE0EEENS1_30default_config_static_selectorELNS0_4arch9wavefront6targetE0EEEvSK_.uses_vcc, 0
	.set _ZN7rocprim17ROCPRIM_400000_NS6detail17trampoline_kernelINS0_14default_configENS1_36segmented_radix_sort_config_selectorIilEEZNS1_25segmented_radix_sort_implIS3_Lb0EPKiPiPKlPlN2at6native12_GLOBAL__N_18offset_tEEE10hipError_tPvRmT1_PNSt15iterator_traitsISK_E10value_typeET2_T3_PNSL_ISQ_E10value_typeET4_jRbjT5_SW_jjP12ihipStream_tbEUlT_E2_NS1_11comp_targetILNS1_3genE4ELNS1_11target_archE910ELNS1_3gpuE8ELNS1_3repE0EEENS1_30default_config_static_selectorELNS0_4arch9wavefront6targetE0EEEvSK_.uses_flat_scratch, 0
	.set _ZN7rocprim17ROCPRIM_400000_NS6detail17trampoline_kernelINS0_14default_configENS1_36segmented_radix_sort_config_selectorIilEEZNS1_25segmented_radix_sort_implIS3_Lb0EPKiPiPKlPlN2at6native12_GLOBAL__N_18offset_tEEE10hipError_tPvRmT1_PNSt15iterator_traitsISK_E10value_typeET2_T3_PNSL_ISQ_E10value_typeET4_jRbjT5_SW_jjP12ihipStream_tbEUlT_E2_NS1_11comp_targetILNS1_3genE4ELNS1_11target_archE910ELNS1_3gpuE8ELNS1_3repE0EEENS1_30default_config_static_selectorELNS0_4arch9wavefront6targetE0EEEvSK_.has_dyn_sized_stack, 0
	.set _ZN7rocprim17ROCPRIM_400000_NS6detail17trampoline_kernelINS0_14default_configENS1_36segmented_radix_sort_config_selectorIilEEZNS1_25segmented_radix_sort_implIS3_Lb0EPKiPiPKlPlN2at6native12_GLOBAL__N_18offset_tEEE10hipError_tPvRmT1_PNSt15iterator_traitsISK_E10value_typeET2_T3_PNSL_ISQ_E10value_typeET4_jRbjT5_SW_jjP12ihipStream_tbEUlT_E2_NS1_11comp_targetILNS1_3genE4ELNS1_11target_archE910ELNS1_3gpuE8ELNS1_3repE0EEENS1_30default_config_static_selectorELNS0_4arch9wavefront6targetE0EEEvSK_.has_recursion, 0
	.set _ZN7rocprim17ROCPRIM_400000_NS6detail17trampoline_kernelINS0_14default_configENS1_36segmented_radix_sort_config_selectorIilEEZNS1_25segmented_radix_sort_implIS3_Lb0EPKiPiPKlPlN2at6native12_GLOBAL__N_18offset_tEEE10hipError_tPvRmT1_PNSt15iterator_traitsISK_E10value_typeET2_T3_PNSL_ISQ_E10value_typeET4_jRbjT5_SW_jjP12ihipStream_tbEUlT_E2_NS1_11comp_targetILNS1_3genE4ELNS1_11target_archE910ELNS1_3gpuE8ELNS1_3repE0EEENS1_30default_config_static_selectorELNS0_4arch9wavefront6targetE0EEEvSK_.has_indirect_call, 0
	.section	.AMDGPU.csdata,"",@progbits
; Kernel info:
; codeLenInByte = 0
; TotalNumSgprs: 0
; NumVgprs: 0
; ScratchSize: 0
; MemoryBound: 0
; FloatMode: 240
; IeeeMode: 1
; LDSByteSize: 0 bytes/workgroup (compile time only)
; SGPRBlocks: 0
; VGPRBlocks: 0
; NumSGPRsForWavesPerEU: 1
; NumVGPRsForWavesPerEU: 1
; Occupancy: 16
; WaveLimiterHint : 0
; COMPUTE_PGM_RSRC2:SCRATCH_EN: 0
; COMPUTE_PGM_RSRC2:USER_SGPR: 6
; COMPUTE_PGM_RSRC2:TRAP_HANDLER: 0
; COMPUTE_PGM_RSRC2:TGID_X_EN: 1
; COMPUTE_PGM_RSRC2:TGID_Y_EN: 0
; COMPUTE_PGM_RSRC2:TGID_Z_EN: 0
; COMPUTE_PGM_RSRC2:TIDIG_COMP_CNT: 0
	.section	.text._ZN7rocprim17ROCPRIM_400000_NS6detail17trampoline_kernelINS0_14default_configENS1_36segmented_radix_sort_config_selectorIilEEZNS1_25segmented_radix_sort_implIS3_Lb0EPKiPiPKlPlN2at6native12_GLOBAL__N_18offset_tEEE10hipError_tPvRmT1_PNSt15iterator_traitsISK_E10value_typeET2_T3_PNSL_ISQ_E10value_typeET4_jRbjT5_SW_jjP12ihipStream_tbEUlT_E2_NS1_11comp_targetILNS1_3genE3ELNS1_11target_archE908ELNS1_3gpuE7ELNS1_3repE0EEENS1_30default_config_static_selectorELNS0_4arch9wavefront6targetE0EEEvSK_,"axG",@progbits,_ZN7rocprim17ROCPRIM_400000_NS6detail17trampoline_kernelINS0_14default_configENS1_36segmented_radix_sort_config_selectorIilEEZNS1_25segmented_radix_sort_implIS3_Lb0EPKiPiPKlPlN2at6native12_GLOBAL__N_18offset_tEEE10hipError_tPvRmT1_PNSt15iterator_traitsISK_E10value_typeET2_T3_PNSL_ISQ_E10value_typeET4_jRbjT5_SW_jjP12ihipStream_tbEUlT_E2_NS1_11comp_targetILNS1_3genE3ELNS1_11target_archE908ELNS1_3gpuE7ELNS1_3repE0EEENS1_30default_config_static_selectorELNS0_4arch9wavefront6targetE0EEEvSK_,comdat
	.globl	_ZN7rocprim17ROCPRIM_400000_NS6detail17trampoline_kernelINS0_14default_configENS1_36segmented_radix_sort_config_selectorIilEEZNS1_25segmented_radix_sort_implIS3_Lb0EPKiPiPKlPlN2at6native12_GLOBAL__N_18offset_tEEE10hipError_tPvRmT1_PNSt15iterator_traitsISK_E10value_typeET2_T3_PNSL_ISQ_E10value_typeET4_jRbjT5_SW_jjP12ihipStream_tbEUlT_E2_NS1_11comp_targetILNS1_3genE3ELNS1_11target_archE908ELNS1_3gpuE7ELNS1_3repE0EEENS1_30default_config_static_selectorELNS0_4arch9wavefront6targetE0EEEvSK_ ; -- Begin function _ZN7rocprim17ROCPRIM_400000_NS6detail17trampoline_kernelINS0_14default_configENS1_36segmented_radix_sort_config_selectorIilEEZNS1_25segmented_radix_sort_implIS3_Lb0EPKiPiPKlPlN2at6native12_GLOBAL__N_18offset_tEEE10hipError_tPvRmT1_PNSt15iterator_traitsISK_E10value_typeET2_T3_PNSL_ISQ_E10value_typeET4_jRbjT5_SW_jjP12ihipStream_tbEUlT_E2_NS1_11comp_targetILNS1_3genE3ELNS1_11target_archE908ELNS1_3gpuE7ELNS1_3repE0EEENS1_30default_config_static_selectorELNS0_4arch9wavefront6targetE0EEEvSK_
	.p2align	8
	.type	_ZN7rocprim17ROCPRIM_400000_NS6detail17trampoline_kernelINS0_14default_configENS1_36segmented_radix_sort_config_selectorIilEEZNS1_25segmented_radix_sort_implIS3_Lb0EPKiPiPKlPlN2at6native12_GLOBAL__N_18offset_tEEE10hipError_tPvRmT1_PNSt15iterator_traitsISK_E10value_typeET2_T3_PNSL_ISQ_E10value_typeET4_jRbjT5_SW_jjP12ihipStream_tbEUlT_E2_NS1_11comp_targetILNS1_3genE3ELNS1_11target_archE908ELNS1_3gpuE7ELNS1_3repE0EEENS1_30default_config_static_selectorELNS0_4arch9wavefront6targetE0EEEvSK_,@function
_ZN7rocprim17ROCPRIM_400000_NS6detail17trampoline_kernelINS0_14default_configENS1_36segmented_radix_sort_config_selectorIilEEZNS1_25segmented_radix_sort_implIS3_Lb0EPKiPiPKlPlN2at6native12_GLOBAL__N_18offset_tEEE10hipError_tPvRmT1_PNSt15iterator_traitsISK_E10value_typeET2_T3_PNSL_ISQ_E10value_typeET4_jRbjT5_SW_jjP12ihipStream_tbEUlT_E2_NS1_11comp_targetILNS1_3genE3ELNS1_11target_archE908ELNS1_3gpuE7ELNS1_3repE0EEENS1_30default_config_static_selectorELNS0_4arch9wavefront6targetE0EEEvSK_: ; @_ZN7rocprim17ROCPRIM_400000_NS6detail17trampoline_kernelINS0_14default_configENS1_36segmented_radix_sort_config_selectorIilEEZNS1_25segmented_radix_sort_implIS3_Lb0EPKiPiPKlPlN2at6native12_GLOBAL__N_18offset_tEEE10hipError_tPvRmT1_PNSt15iterator_traitsISK_E10value_typeET2_T3_PNSL_ISQ_E10value_typeET4_jRbjT5_SW_jjP12ihipStream_tbEUlT_E2_NS1_11comp_targetILNS1_3genE3ELNS1_11target_archE908ELNS1_3gpuE7ELNS1_3repE0EEENS1_30default_config_static_selectorELNS0_4arch9wavefront6targetE0EEEvSK_
; %bb.0:
	.section	.rodata,"a",@progbits
	.p2align	6, 0x0
	.amdhsa_kernel _ZN7rocprim17ROCPRIM_400000_NS6detail17trampoline_kernelINS0_14default_configENS1_36segmented_radix_sort_config_selectorIilEEZNS1_25segmented_radix_sort_implIS3_Lb0EPKiPiPKlPlN2at6native12_GLOBAL__N_18offset_tEEE10hipError_tPvRmT1_PNSt15iterator_traitsISK_E10value_typeET2_T3_PNSL_ISQ_E10value_typeET4_jRbjT5_SW_jjP12ihipStream_tbEUlT_E2_NS1_11comp_targetILNS1_3genE3ELNS1_11target_archE908ELNS1_3gpuE7ELNS1_3repE0EEENS1_30default_config_static_selectorELNS0_4arch9wavefront6targetE0EEEvSK_
		.amdhsa_group_segment_fixed_size 0
		.amdhsa_private_segment_fixed_size 0
		.amdhsa_kernarg_size 80
		.amdhsa_user_sgpr_count 6
		.amdhsa_user_sgpr_private_segment_buffer 1
		.amdhsa_user_sgpr_dispatch_ptr 0
		.amdhsa_user_sgpr_queue_ptr 0
		.amdhsa_user_sgpr_kernarg_segment_ptr 1
		.amdhsa_user_sgpr_dispatch_id 0
		.amdhsa_user_sgpr_flat_scratch_init 0
		.amdhsa_user_sgpr_private_segment_size 0
		.amdhsa_wavefront_size32 1
		.amdhsa_uses_dynamic_stack 0
		.amdhsa_system_sgpr_private_segment_wavefront_offset 0
		.amdhsa_system_sgpr_workgroup_id_x 1
		.amdhsa_system_sgpr_workgroup_id_y 0
		.amdhsa_system_sgpr_workgroup_id_z 0
		.amdhsa_system_sgpr_workgroup_info 0
		.amdhsa_system_vgpr_workitem_id 0
		.amdhsa_next_free_vgpr 1
		.amdhsa_next_free_sgpr 1
		.amdhsa_reserve_vcc 0
		.amdhsa_reserve_flat_scratch 0
		.amdhsa_float_round_mode_32 0
		.amdhsa_float_round_mode_16_64 0
		.amdhsa_float_denorm_mode_32 3
		.amdhsa_float_denorm_mode_16_64 3
		.amdhsa_dx10_clamp 1
		.amdhsa_ieee_mode 1
		.amdhsa_fp16_overflow 0
		.amdhsa_workgroup_processor_mode 1
		.amdhsa_memory_ordered 1
		.amdhsa_forward_progress 1
		.amdhsa_shared_vgpr_count 0
		.amdhsa_exception_fp_ieee_invalid_op 0
		.amdhsa_exception_fp_denorm_src 0
		.amdhsa_exception_fp_ieee_div_zero 0
		.amdhsa_exception_fp_ieee_overflow 0
		.amdhsa_exception_fp_ieee_underflow 0
		.amdhsa_exception_fp_ieee_inexact 0
		.amdhsa_exception_int_div_zero 0
	.end_amdhsa_kernel
	.section	.text._ZN7rocprim17ROCPRIM_400000_NS6detail17trampoline_kernelINS0_14default_configENS1_36segmented_radix_sort_config_selectorIilEEZNS1_25segmented_radix_sort_implIS3_Lb0EPKiPiPKlPlN2at6native12_GLOBAL__N_18offset_tEEE10hipError_tPvRmT1_PNSt15iterator_traitsISK_E10value_typeET2_T3_PNSL_ISQ_E10value_typeET4_jRbjT5_SW_jjP12ihipStream_tbEUlT_E2_NS1_11comp_targetILNS1_3genE3ELNS1_11target_archE908ELNS1_3gpuE7ELNS1_3repE0EEENS1_30default_config_static_selectorELNS0_4arch9wavefront6targetE0EEEvSK_,"axG",@progbits,_ZN7rocprim17ROCPRIM_400000_NS6detail17trampoline_kernelINS0_14default_configENS1_36segmented_radix_sort_config_selectorIilEEZNS1_25segmented_radix_sort_implIS3_Lb0EPKiPiPKlPlN2at6native12_GLOBAL__N_18offset_tEEE10hipError_tPvRmT1_PNSt15iterator_traitsISK_E10value_typeET2_T3_PNSL_ISQ_E10value_typeET4_jRbjT5_SW_jjP12ihipStream_tbEUlT_E2_NS1_11comp_targetILNS1_3genE3ELNS1_11target_archE908ELNS1_3gpuE7ELNS1_3repE0EEENS1_30default_config_static_selectorELNS0_4arch9wavefront6targetE0EEEvSK_,comdat
.Lfunc_end627:
	.size	_ZN7rocprim17ROCPRIM_400000_NS6detail17trampoline_kernelINS0_14default_configENS1_36segmented_radix_sort_config_selectorIilEEZNS1_25segmented_radix_sort_implIS3_Lb0EPKiPiPKlPlN2at6native12_GLOBAL__N_18offset_tEEE10hipError_tPvRmT1_PNSt15iterator_traitsISK_E10value_typeET2_T3_PNSL_ISQ_E10value_typeET4_jRbjT5_SW_jjP12ihipStream_tbEUlT_E2_NS1_11comp_targetILNS1_3genE3ELNS1_11target_archE908ELNS1_3gpuE7ELNS1_3repE0EEENS1_30default_config_static_selectorELNS0_4arch9wavefront6targetE0EEEvSK_, .Lfunc_end627-_ZN7rocprim17ROCPRIM_400000_NS6detail17trampoline_kernelINS0_14default_configENS1_36segmented_radix_sort_config_selectorIilEEZNS1_25segmented_radix_sort_implIS3_Lb0EPKiPiPKlPlN2at6native12_GLOBAL__N_18offset_tEEE10hipError_tPvRmT1_PNSt15iterator_traitsISK_E10value_typeET2_T3_PNSL_ISQ_E10value_typeET4_jRbjT5_SW_jjP12ihipStream_tbEUlT_E2_NS1_11comp_targetILNS1_3genE3ELNS1_11target_archE908ELNS1_3gpuE7ELNS1_3repE0EEENS1_30default_config_static_selectorELNS0_4arch9wavefront6targetE0EEEvSK_
                                        ; -- End function
	.set _ZN7rocprim17ROCPRIM_400000_NS6detail17trampoline_kernelINS0_14default_configENS1_36segmented_radix_sort_config_selectorIilEEZNS1_25segmented_radix_sort_implIS3_Lb0EPKiPiPKlPlN2at6native12_GLOBAL__N_18offset_tEEE10hipError_tPvRmT1_PNSt15iterator_traitsISK_E10value_typeET2_T3_PNSL_ISQ_E10value_typeET4_jRbjT5_SW_jjP12ihipStream_tbEUlT_E2_NS1_11comp_targetILNS1_3genE3ELNS1_11target_archE908ELNS1_3gpuE7ELNS1_3repE0EEENS1_30default_config_static_selectorELNS0_4arch9wavefront6targetE0EEEvSK_.num_vgpr, 0
	.set _ZN7rocprim17ROCPRIM_400000_NS6detail17trampoline_kernelINS0_14default_configENS1_36segmented_radix_sort_config_selectorIilEEZNS1_25segmented_radix_sort_implIS3_Lb0EPKiPiPKlPlN2at6native12_GLOBAL__N_18offset_tEEE10hipError_tPvRmT1_PNSt15iterator_traitsISK_E10value_typeET2_T3_PNSL_ISQ_E10value_typeET4_jRbjT5_SW_jjP12ihipStream_tbEUlT_E2_NS1_11comp_targetILNS1_3genE3ELNS1_11target_archE908ELNS1_3gpuE7ELNS1_3repE0EEENS1_30default_config_static_selectorELNS0_4arch9wavefront6targetE0EEEvSK_.num_agpr, 0
	.set _ZN7rocprim17ROCPRIM_400000_NS6detail17trampoline_kernelINS0_14default_configENS1_36segmented_radix_sort_config_selectorIilEEZNS1_25segmented_radix_sort_implIS3_Lb0EPKiPiPKlPlN2at6native12_GLOBAL__N_18offset_tEEE10hipError_tPvRmT1_PNSt15iterator_traitsISK_E10value_typeET2_T3_PNSL_ISQ_E10value_typeET4_jRbjT5_SW_jjP12ihipStream_tbEUlT_E2_NS1_11comp_targetILNS1_3genE3ELNS1_11target_archE908ELNS1_3gpuE7ELNS1_3repE0EEENS1_30default_config_static_selectorELNS0_4arch9wavefront6targetE0EEEvSK_.numbered_sgpr, 0
	.set _ZN7rocprim17ROCPRIM_400000_NS6detail17trampoline_kernelINS0_14default_configENS1_36segmented_radix_sort_config_selectorIilEEZNS1_25segmented_radix_sort_implIS3_Lb0EPKiPiPKlPlN2at6native12_GLOBAL__N_18offset_tEEE10hipError_tPvRmT1_PNSt15iterator_traitsISK_E10value_typeET2_T3_PNSL_ISQ_E10value_typeET4_jRbjT5_SW_jjP12ihipStream_tbEUlT_E2_NS1_11comp_targetILNS1_3genE3ELNS1_11target_archE908ELNS1_3gpuE7ELNS1_3repE0EEENS1_30default_config_static_selectorELNS0_4arch9wavefront6targetE0EEEvSK_.num_named_barrier, 0
	.set _ZN7rocprim17ROCPRIM_400000_NS6detail17trampoline_kernelINS0_14default_configENS1_36segmented_radix_sort_config_selectorIilEEZNS1_25segmented_radix_sort_implIS3_Lb0EPKiPiPKlPlN2at6native12_GLOBAL__N_18offset_tEEE10hipError_tPvRmT1_PNSt15iterator_traitsISK_E10value_typeET2_T3_PNSL_ISQ_E10value_typeET4_jRbjT5_SW_jjP12ihipStream_tbEUlT_E2_NS1_11comp_targetILNS1_3genE3ELNS1_11target_archE908ELNS1_3gpuE7ELNS1_3repE0EEENS1_30default_config_static_selectorELNS0_4arch9wavefront6targetE0EEEvSK_.private_seg_size, 0
	.set _ZN7rocprim17ROCPRIM_400000_NS6detail17trampoline_kernelINS0_14default_configENS1_36segmented_radix_sort_config_selectorIilEEZNS1_25segmented_radix_sort_implIS3_Lb0EPKiPiPKlPlN2at6native12_GLOBAL__N_18offset_tEEE10hipError_tPvRmT1_PNSt15iterator_traitsISK_E10value_typeET2_T3_PNSL_ISQ_E10value_typeET4_jRbjT5_SW_jjP12ihipStream_tbEUlT_E2_NS1_11comp_targetILNS1_3genE3ELNS1_11target_archE908ELNS1_3gpuE7ELNS1_3repE0EEENS1_30default_config_static_selectorELNS0_4arch9wavefront6targetE0EEEvSK_.uses_vcc, 0
	.set _ZN7rocprim17ROCPRIM_400000_NS6detail17trampoline_kernelINS0_14default_configENS1_36segmented_radix_sort_config_selectorIilEEZNS1_25segmented_radix_sort_implIS3_Lb0EPKiPiPKlPlN2at6native12_GLOBAL__N_18offset_tEEE10hipError_tPvRmT1_PNSt15iterator_traitsISK_E10value_typeET2_T3_PNSL_ISQ_E10value_typeET4_jRbjT5_SW_jjP12ihipStream_tbEUlT_E2_NS1_11comp_targetILNS1_3genE3ELNS1_11target_archE908ELNS1_3gpuE7ELNS1_3repE0EEENS1_30default_config_static_selectorELNS0_4arch9wavefront6targetE0EEEvSK_.uses_flat_scratch, 0
	.set _ZN7rocprim17ROCPRIM_400000_NS6detail17trampoline_kernelINS0_14default_configENS1_36segmented_radix_sort_config_selectorIilEEZNS1_25segmented_radix_sort_implIS3_Lb0EPKiPiPKlPlN2at6native12_GLOBAL__N_18offset_tEEE10hipError_tPvRmT1_PNSt15iterator_traitsISK_E10value_typeET2_T3_PNSL_ISQ_E10value_typeET4_jRbjT5_SW_jjP12ihipStream_tbEUlT_E2_NS1_11comp_targetILNS1_3genE3ELNS1_11target_archE908ELNS1_3gpuE7ELNS1_3repE0EEENS1_30default_config_static_selectorELNS0_4arch9wavefront6targetE0EEEvSK_.has_dyn_sized_stack, 0
	.set _ZN7rocprim17ROCPRIM_400000_NS6detail17trampoline_kernelINS0_14default_configENS1_36segmented_radix_sort_config_selectorIilEEZNS1_25segmented_radix_sort_implIS3_Lb0EPKiPiPKlPlN2at6native12_GLOBAL__N_18offset_tEEE10hipError_tPvRmT1_PNSt15iterator_traitsISK_E10value_typeET2_T3_PNSL_ISQ_E10value_typeET4_jRbjT5_SW_jjP12ihipStream_tbEUlT_E2_NS1_11comp_targetILNS1_3genE3ELNS1_11target_archE908ELNS1_3gpuE7ELNS1_3repE0EEENS1_30default_config_static_selectorELNS0_4arch9wavefront6targetE0EEEvSK_.has_recursion, 0
	.set _ZN7rocprim17ROCPRIM_400000_NS6detail17trampoline_kernelINS0_14default_configENS1_36segmented_radix_sort_config_selectorIilEEZNS1_25segmented_radix_sort_implIS3_Lb0EPKiPiPKlPlN2at6native12_GLOBAL__N_18offset_tEEE10hipError_tPvRmT1_PNSt15iterator_traitsISK_E10value_typeET2_T3_PNSL_ISQ_E10value_typeET4_jRbjT5_SW_jjP12ihipStream_tbEUlT_E2_NS1_11comp_targetILNS1_3genE3ELNS1_11target_archE908ELNS1_3gpuE7ELNS1_3repE0EEENS1_30default_config_static_selectorELNS0_4arch9wavefront6targetE0EEEvSK_.has_indirect_call, 0
	.section	.AMDGPU.csdata,"",@progbits
; Kernel info:
; codeLenInByte = 0
; TotalNumSgprs: 0
; NumVgprs: 0
; ScratchSize: 0
; MemoryBound: 0
; FloatMode: 240
; IeeeMode: 1
; LDSByteSize: 0 bytes/workgroup (compile time only)
; SGPRBlocks: 0
; VGPRBlocks: 0
; NumSGPRsForWavesPerEU: 1
; NumVGPRsForWavesPerEU: 1
; Occupancy: 16
; WaveLimiterHint : 0
; COMPUTE_PGM_RSRC2:SCRATCH_EN: 0
; COMPUTE_PGM_RSRC2:USER_SGPR: 6
; COMPUTE_PGM_RSRC2:TRAP_HANDLER: 0
; COMPUTE_PGM_RSRC2:TGID_X_EN: 1
; COMPUTE_PGM_RSRC2:TGID_Y_EN: 0
; COMPUTE_PGM_RSRC2:TGID_Z_EN: 0
; COMPUTE_PGM_RSRC2:TIDIG_COMP_CNT: 0
	.section	.text._ZN7rocprim17ROCPRIM_400000_NS6detail17trampoline_kernelINS0_14default_configENS1_36segmented_radix_sort_config_selectorIilEEZNS1_25segmented_radix_sort_implIS3_Lb0EPKiPiPKlPlN2at6native12_GLOBAL__N_18offset_tEEE10hipError_tPvRmT1_PNSt15iterator_traitsISK_E10value_typeET2_T3_PNSL_ISQ_E10value_typeET4_jRbjT5_SW_jjP12ihipStream_tbEUlT_E2_NS1_11comp_targetILNS1_3genE2ELNS1_11target_archE906ELNS1_3gpuE6ELNS1_3repE0EEENS1_30default_config_static_selectorELNS0_4arch9wavefront6targetE0EEEvSK_,"axG",@progbits,_ZN7rocprim17ROCPRIM_400000_NS6detail17trampoline_kernelINS0_14default_configENS1_36segmented_radix_sort_config_selectorIilEEZNS1_25segmented_radix_sort_implIS3_Lb0EPKiPiPKlPlN2at6native12_GLOBAL__N_18offset_tEEE10hipError_tPvRmT1_PNSt15iterator_traitsISK_E10value_typeET2_T3_PNSL_ISQ_E10value_typeET4_jRbjT5_SW_jjP12ihipStream_tbEUlT_E2_NS1_11comp_targetILNS1_3genE2ELNS1_11target_archE906ELNS1_3gpuE6ELNS1_3repE0EEENS1_30default_config_static_selectorELNS0_4arch9wavefront6targetE0EEEvSK_,comdat
	.globl	_ZN7rocprim17ROCPRIM_400000_NS6detail17trampoline_kernelINS0_14default_configENS1_36segmented_radix_sort_config_selectorIilEEZNS1_25segmented_radix_sort_implIS3_Lb0EPKiPiPKlPlN2at6native12_GLOBAL__N_18offset_tEEE10hipError_tPvRmT1_PNSt15iterator_traitsISK_E10value_typeET2_T3_PNSL_ISQ_E10value_typeET4_jRbjT5_SW_jjP12ihipStream_tbEUlT_E2_NS1_11comp_targetILNS1_3genE2ELNS1_11target_archE906ELNS1_3gpuE6ELNS1_3repE0EEENS1_30default_config_static_selectorELNS0_4arch9wavefront6targetE0EEEvSK_ ; -- Begin function _ZN7rocprim17ROCPRIM_400000_NS6detail17trampoline_kernelINS0_14default_configENS1_36segmented_radix_sort_config_selectorIilEEZNS1_25segmented_radix_sort_implIS3_Lb0EPKiPiPKlPlN2at6native12_GLOBAL__N_18offset_tEEE10hipError_tPvRmT1_PNSt15iterator_traitsISK_E10value_typeET2_T3_PNSL_ISQ_E10value_typeET4_jRbjT5_SW_jjP12ihipStream_tbEUlT_E2_NS1_11comp_targetILNS1_3genE2ELNS1_11target_archE906ELNS1_3gpuE6ELNS1_3repE0EEENS1_30default_config_static_selectorELNS0_4arch9wavefront6targetE0EEEvSK_
	.p2align	8
	.type	_ZN7rocprim17ROCPRIM_400000_NS6detail17trampoline_kernelINS0_14default_configENS1_36segmented_radix_sort_config_selectorIilEEZNS1_25segmented_radix_sort_implIS3_Lb0EPKiPiPKlPlN2at6native12_GLOBAL__N_18offset_tEEE10hipError_tPvRmT1_PNSt15iterator_traitsISK_E10value_typeET2_T3_PNSL_ISQ_E10value_typeET4_jRbjT5_SW_jjP12ihipStream_tbEUlT_E2_NS1_11comp_targetILNS1_3genE2ELNS1_11target_archE906ELNS1_3gpuE6ELNS1_3repE0EEENS1_30default_config_static_selectorELNS0_4arch9wavefront6targetE0EEEvSK_,@function
_ZN7rocprim17ROCPRIM_400000_NS6detail17trampoline_kernelINS0_14default_configENS1_36segmented_radix_sort_config_selectorIilEEZNS1_25segmented_radix_sort_implIS3_Lb0EPKiPiPKlPlN2at6native12_GLOBAL__N_18offset_tEEE10hipError_tPvRmT1_PNSt15iterator_traitsISK_E10value_typeET2_T3_PNSL_ISQ_E10value_typeET4_jRbjT5_SW_jjP12ihipStream_tbEUlT_E2_NS1_11comp_targetILNS1_3genE2ELNS1_11target_archE906ELNS1_3gpuE6ELNS1_3repE0EEENS1_30default_config_static_selectorELNS0_4arch9wavefront6targetE0EEEvSK_: ; @_ZN7rocprim17ROCPRIM_400000_NS6detail17trampoline_kernelINS0_14default_configENS1_36segmented_radix_sort_config_selectorIilEEZNS1_25segmented_radix_sort_implIS3_Lb0EPKiPiPKlPlN2at6native12_GLOBAL__N_18offset_tEEE10hipError_tPvRmT1_PNSt15iterator_traitsISK_E10value_typeET2_T3_PNSL_ISQ_E10value_typeET4_jRbjT5_SW_jjP12ihipStream_tbEUlT_E2_NS1_11comp_targetILNS1_3genE2ELNS1_11target_archE906ELNS1_3gpuE6ELNS1_3repE0EEENS1_30default_config_static_selectorELNS0_4arch9wavefront6targetE0EEEvSK_
; %bb.0:
	.section	.rodata,"a",@progbits
	.p2align	6, 0x0
	.amdhsa_kernel _ZN7rocprim17ROCPRIM_400000_NS6detail17trampoline_kernelINS0_14default_configENS1_36segmented_radix_sort_config_selectorIilEEZNS1_25segmented_radix_sort_implIS3_Lb0EPKiPiPKlPlN2at6native12_GLOBAL__N_18offset_tEEE10hipError_tPvRmT1_PNSt15iterator_traitsISK_E10value_typeET2_T3_PNSL_ISQ_E10value_typeET4_jRbjT5_SW_jjP12ihipStream_tbEUlT_E2_NS1_11comp_targetILNS1_3genE2ELNS1_11target_archE906ELNS1_3gpuE6ELNS1_3repE0EEENS1_30default_config_static_selectorELNS0_4arch9wavefront6targetE0EEEvSK_
		.amdhsa_group_segment_fixed_size 0
		.amdhsa_private_segment_fixed_size 0
		.amdhsa_kernarg_size 80
		.amdhsa_user_sgpr_count 6
		.amdhsa_user_sgpr_private_segment_buffer 1
		.amdhsa_user_sgpr_dispatch_ptr 0
		.amdhsa_user_sgpr_queue_ptr 0
		.amdhsa_user_sgpr_kernarg_segment_ptr 1
		.amdhsa_user_sgpr_dispatch_id 0
		.amdhsa_user_sgpr_flat_scratch_init 0
		.amdhsa_user_sgpr_private_segment_size 0
		.amdhsa_wavefront_size32 1
		.amdhsa_uses_dynamic_stack 0
		.amdhsa_system_sgpr_private_segment_wavefront_offset 0
		.amdhsa_system_sgpr_workgroup_id_x 1
		.amdhsa_system_sgpr_workgroup_id_y 0
		.amdhsa_system_sgpr_workgroup_id_z 0
		.amdhsa_system_sgpr_workgroup_info 0
		.amdhsa_system_vgpr_workitem_id 0
		.amdhsa_next_free_vgpr 1
		.amdhsa_next_free_sgpr 1
		.amdhsa_reserve_vcc 0
		.amdhsa_reserve_flat_scratch 0
		.amdhsa_float_round_mode_32 0
		.amdhsa_float_round_mode_16_64 0
		.amdhsa_float_denorm_mode_32 3
		.amdhsa_float_denorm_mode_16_64 3
		.amdhsa_dx10_clamp 1
		.amdhsa_ieee_mode 1
		.amdhsa_fp16_overflow 0
		.amdhsa_workgroup_processor_mode 1
		.amdhsa_memory_ordered 1
		.amdhsa_forward_progress 1
		.amdhsa_shared_vgpr_count 0
		.amdhsa_exception_fp_ieee_invalid_op 0
		.amdhsa_exception_fp_denorm_src 0
		.amdhsa_exception_fp_ieee_div_zero 0
		.amdhsa_exception_fp_ieee_overflow 0
		.amdhsa_exception_fp_ieee_underflow 0
		.amdhsa_exception_fp_ieee_inexact 0
		.amdhsa_exception_int_div_zero 0
	.end_amdhsa_kernel
	.section	.text._ZN7rocprim17ROCPRIM_400000_NS6detail17trampoline_kernelINS0_14default_configENS1_36segmented_radix_sort_config_selectorIilEEZNS1_25segmented_radix_sort_implIS3_Lb0EPKiPiPKlPlN2at6native12_GLOBAL__N_18offset_tEEE10hipError_tPvRmT1_PNSt15iterator_traitsISK_E10value_typeET2_T3_PNSL_ISQ_E10value_typeET4_jRbjT5_SW_jjP12ihipStream_tbEUlT_E2_NS1_11comp_targetILNS1_3genE2ELNS1_11target_archE906ELNS1_3gpuE6ELNS1_3repE0EEENS1_30default_config_static_selectorELNS0_4arch9wavefront6targetE0EEEvSK_,"axG",@progbits,_ZN7rocprim17ROCPRIM_400000_NS6detail17trampoline_kernelINS0_14default_configENS1_36segmented_radix_sort_config_selectorIilEEZNS1_25segmented_radix_sort_implIS3_Lb0EPKiPiPKlPlN2at6native12_GLOBAL__N_18offset_tEEE10hipError_tPvRmT1_PNSt15iterator_traitsISK_E10value_typeET2_T3_PNSL_ISQ_E10value_typeET4_jRbjT5_SW_jjP12ihipStream_tbEUlT_E2_NS1_11comp_targetILNS1_3genE2ELNS1_11target_archE906ELNS1_3gpuE6ELNS1_3repE0EEENS1_30default_config_static_selectorELNS0_4arch9wavefront6targetE0EEEvSK_,comdat
.Lfunc_end628:
	.size	_ZN7rocprim17ROCPRIM_400000_NS6detail17trampoline_kernelINS0_14default_configENS1_36segmented_radix_sort_config_selectorIilEEZNS1_25segmented_radix_sort_implIS3_Lb0EPKiPiPKlPlN2at6native12_GLOBAL__N_18offset_tEEE10hipError_tPvRmT1_PNSt15iterator_traitsISK_E10value_typeET2_T3_PNSL_ISQ_E10value_typeET4_jRbjT5_SW_jjP12ihipStream_tbEUlT_E2_NS1_11comp_targetILNS1_3genE2ELNS1_11target_archE906ELNS1_3gpuE6ELNS1_3repE0EEENS1_30default_config_static_selectorELNS0_4arch9wavefront6targetE0EEEvSK_, .Lfunc_end628-_ZN7rocprim17ROCPRIM_400000_NS6detail17trampoline_kernelINS0_14default_configENS1_36segmented_radix_sort_config_selectorIilEEZNS1_25segmented_radix_sort_implIS3_Lb0EPKiPiPKlPlN2at6native12_GLOBAL__N_18offset_tEEE10hipError_tPvRmT1_PNSt15iterator_traitsISK_E10value_typeET2_T3_PNSL_ISQ_E10value_typeET4_jRbjT5_SW_jjP12ihipStream_tbEUlT_E2_NS1_11comp_targetILNS1_3genE2ELNS1_11target_archE906ELNS1_3gpuE6ELNS1_3repE0EEENS1_30default_config_static_selectorELNS0_4arch9wavefront6targetE0EEEvSK_
                                        ; -- End function
	.set _ZN7rocprim17ROCPRIM_400000_NS6detail17trampoline_kernelINS0_14default_configENS1_36segmented_radix_sort_config_selectorIilEEZNS1_25segmented_radix_sort_implIS3_Lb0EPKiPiPKlPlN2at6native12_GLOBAL__N_18offset_tEEE10hipError_tPvRmT1_PNSt15iterator_traitsISK_E10value_typeET2_T3_PNSL_ISQ_E10value_typeET4_jRbjT5_SW_jjP12ihipStream_tbEUlT_E2_NS1_11comp_targetILNS1_3genE2ELNS1_11target_archE906ELNS1_3gpuE6ELNS1_3repE0EEENS1_30default_config_static_selectorELNS0_4arch9wavefront6targetE0EEEvSK_.num_vgpr, 0
	.set _ZN7rocprim17ROCPRIM_400000_NS6detail17trampoline_kernelINS0_14default_configENS1_36segmented_radix_sort_config_selectorIilEEZNS1_25segmented_radix_sort_implIS3_Lb0EPKiPiPKlPlN2at6native12_GLOBAL__N_18offset_tEEE10hipError_tPvRmT1_PNSt15iterator_traitsISK_E10value_typeET2_T3_PNSL_ISQ_E10value_typeET4_jRbjT5_SW_jjP12ihipStream_tbEUlT_E2_NS1_11comp_targetILNS1_3genE2ELNS1_11target_archE906ELNS1_3gpuE6ELNS1_3repE0EEENS1_30default_config_static_selectorELNS0_4arch9wavefront6targetE0EEEvSK_.num_agpr, 0
	.set _ZN7rocprim17ROCPRIM_400000_NS6detail17trampoline_kernelINS0_14default_configENS1_36segmented_radix_sort_config_selectorIilEEZNS1_25segmented_radix_sort_implIS3_Lb0EPKiPiPKlPlN2at6native12_GLOBAL__N_18offset_tEEE10hipError_tPvRmT1_PNSt15iterator_traitsISK_E10value_typeET2_T3_PNSL_ISQ_E10value_typeET4_jRbjT5_SW_jjP12ihipStream_tbEUlT_E2_NS1_11comp_targetILNS1_3genE2ELNS1_11target_archE906ELNS1_3gpuE6ELNS1_3repE0EEENS1_30default_config_static_selectorELNS0_4arch9wavefront6targetE0EEEvSK_.numbered_sgpr, 0
	.set _ZN7rocprim17ROCPRIM_400000_NS6detail17trampoline_kernelINS0_14default_configENS1_36segmented_radix_sort_config_selectorIilEEZNS1_25segmented_radix_sort_implIS3_Lb0EPKiPiPKlPlN2at6native12_GLOBAL__N_18offset_tEEE10hipError_tPvRmT1_PNSt15iterator_traitsISK_E10value_typeET2_T3_PNSL_ISQ_E10value_typeET4_jRbjT5_SW_jjP12ihipStream_tbEUlT_E2_NS1_11comp_targetILNS1_3genE2ELNS1_11target_archE906ELNS1_3gpuE6ELNS1_3repE0EEENS1_30default_config_static_selectorELNS0_4arch9wavefront6targetE0EEEvSK_.num_named_barrier, 0
	.set _ZN7rocprim17ROCPRIM_400000_NS6detail17trampoline_kernelINS0_14default_configENS1_36segmented_radix_sort_config_selectorIilEEZNS1_25segmented_radix_sort_implIS3_Lb0EPKiPiPKlPlN2at6native12_GLOBAL__N_18offset_tEEE10hipError_tPvRmT1_PNSt15iterator_traitsISK_E10value_typeET2_T3_PNSL_ISQ_E10value_typeET4_jRbjT5_SW_jjP12ihipStream_tbEUlT_E2_NS1_11comp_targetILNS1_3genE2ELNS1_11target_archE906ELNS1_3gpuE6ELNS1_3repE0EEENS1_30default_config_static_selectorELNS0_4arch9wavefront6targetE0EEEvSK_.private_seg_size, 0
	.set _ZN7rocprim17ROCPRIM_400000_NS6detail17trampoline_kernelINS0_14default_configENS1_36segmented_radix_sort_config_selectorIilEEZNS1_25segmented_radix_sort_implIS3_Lb0EPKiPiPKlPlN2at6native12_GLOBAL__N_18offset_tEEE10hipError_tPvRmT1_PNSt15iterator_traitsISK_E10value_typeET2_T3_PNSL_ISQ_E10value_typeET4_jRbjT5_SW_jjP12ihipStream_tbEUlT_E2_NS1_11comp_targetILNS1_3genE2ELNS1_11target_archE906ELNS1_3gpuE6ELNS1_3repE0EEENS1_30default_config_static_selectorELNS0_4arch9wavefront6targetE0EEEvSK_.uses_vcc, 0
	.set _ZN7rocprim17ROCPRIM_400000_NS6detail17trampoline_kernelINS0_14default_configENS1_36segmented_radix_sort_config_selectorIilEEZNS1_25segmented_radix_sort_implIS3_Lb0EPKiPiPKlPlN2at6native12_GLOBAL__N_18offset_tEEE10hipError_tPvRmT1_PNSt15iterator_traitsISK_E10value_typeET2_T3_PNSL_ISQ_E10value_typeET4_jRbjT5_SW_jjP12ihipStream_tbEUlT_E2_NS1_11comp_targetILNS1_3genE2ELNS1_11target_archE906ELNS1_3gpuE6ELNS1_3repE0EEENS1_30default_config_static_selectorELNS0_4arch9wavefront6targetE0EEEvSK_.uses_flat_scratch, 0
	.set _ZN7rocprim17ROCPRIM_400000_NS6detail17trampoline_kernelINS0_14default_configENS1_36segmented_radix_sort_config_selectorIilEEZNS1_25segmented_radix_sort_implIS3_Lb0EPKiPiPKlPlN2at6native12_GLOBAL__N_18offset_tEEE10hipError_tPvRmT1_PNSt15iterator_traitsISK_E10value_typeET2_T3_PNSL_ISQ_E10value_typeET4_jRbjT5_SW_jjP12ihipStream_tbEUlT_E2_NS1_11comp_targetILNS1_3genE2ELNS1_11target_archE906ELNS1_3gpuE6ELNS1_3repE0EEENS1_30default_config_static_selectorELNS0_4arch9wavefront6targetE0EEEvSK_.has_dyn_sized_stack, 0
	.set _ZN7rocprim17ROCPRIM_400000_NS6detail17trampoline_kernelINS0_14default_configENS1_36segmented_radix_sort_config_selectorIilEEZNS1_25segmented_radix_sort_implIS3_Lb0EPKiPiPKlPlN2at6native12_GLOBAL__N_18offset_tEEE10hipError_tPvRmT1_PNSt15iterator_traitsISK_E10value_typeET2_T3_PNSL_ISQ_E10value_typeET4_jRbjT5_SW_jjP12ihipStream_tbEUlT_E2_NS1_11comp_targetILNS1_3genE2ELNS1_11target_archE906ELNS1_3gpuE6ELNS1_3repE0EEENS1_30default_config_static_selectorELNS0_4arch9wavefront6targetE0EEEvSK_.has_recursion, 0
	.set _ZN7rocprim17ROCPRIM_400000_NS6detail17trampoline_kernelINS0_14default_configENS1_36segmented_radix_sort_config_selectorIilEEZNS1_25segmented_radix_sort_implIS3_Lb0EPKiPiPKlPlN2at6native12_GLOBAL__N_18offset_tEEE10hipError_tPvRmT1_PNSt15iterator_traitsISK_E10value_typeET2_T3_PNSL_ISQ_E10value_typeET4_jRbjT5_SW_jjP12ihipStream_tbEUlT_E2_NS1_11comp_targetILNS1_3genE2ELNS1_11target_archE906ELNS1_3gpuE6ELNS1_3repE0EEENS1_30default_config_static_selectorELNS0_4arch9wavefront6targetE0EEEvSK_.has_indirect_call, 0
	.section	.AMDGPU.csdata,"",@progbits
; Kernel info:
; codeLenInByte = 0
; TotalNumSgprs: 0
; NumVgprs: 0
; ScratchSize: 0
; MemoryBound: 0
; FloatMode: 240
; IeeeMode: 1
; LDSByteSize: 0 bytes/workgroup (compile time only)
; SGPRBlocks: 0
; VGPRBlocks: 0
; NumSGPRsForWavesPerEU: 1
; NumVGPRsForWavesPerEU: 1
; Occupancy: 16
; WaveLimiterHint : 0
; COMPUTE_PGM_RSRC2:SCRATCH_EN: 0
; COMPUTE_PGM_RSRC2:USER_SGPR: 6
; COMPUTE_PGM_RSRC2:TRAP_HANDLER: 0
; COMPUTE_PGM_RSRC2:TGID_X_EN: 1
; COMPUTE_PGM_RSRC2:TGID_Y_EN: 0
; COMPUTE_PGM_RSRC2:TGID_Z_EN: 0
; COMPUTE_PGM_RSRC2:TIDIG_COMP_CNT: 0
	.section	.text._ZN7rocprim17ROCPRIM_400000_NS6detail17trampoline_kernelINS0_14default_configENS1_36segmented_radix_sort_config_selectorIilEEZNS1_25segmented_radix_sort_implIS3_Lb0EPKiPiPKlPlN2at6native12_GLOBAL__N_18offset_tEEE10hipError_tPvRmT1_PNSt15iterator_traitsISK_E10value_typeET2_T3_PNSL_ISQ_E10value_typeET4_jRbjT5_SW_jjP12ihipStream_tbEUlT_E2_NS1_11comp_targetILNS1_3genE10ELNS1_11target_archE1201ELNS1_3gpuE5ELNS1_3repE0EEENS1_30default_config_static_selectorELNS0_4arch9wavefront6targetE0EEEvSK_,"axG",@progbits,_ZN7rocprim17ROCPRIM_400000_NS6detail17trampoline_kernelINS0_14default_configENS1_36segmented_radix_sort_config_selectorIilEEZNS1_25segmented_radix_sort_implIS3_Lb0EPKiPiPKlPlN2at6native12_GLOBAL__N_18offset_tEEE10hipError_tPvRmT1_PNSt15iterator_traitsISK_E10value_typeET2_T3_PNSL_ISQ_E10value_typeET4_jRbjT5_SW_jjP12ihipStream_tbEUlT_E2_NS1_11comp_targetILNS1_3genE10ELNS1_11target_archE1201ELNS1_3gpuE5ELNS1_3repE0EEENS1_30default_config_static_selectorELNS0_4arch9wavefront6targetE0EEEvSK_,comdat
	.globl	_ZN7rocprim17ROCPRIM_400000_NS6detail17trampoline_kernelINS0_14default_configENS1_36segmented_radix_sort_config_selectorIilEEZNS1_25segmented_radix_sort_implIS3_Lb0EPKiPiPKlPlN2at6native12_GLOBAL__N_18offset_tEEE10hipError_tPvRmT1_PNSt15iterator_traitsISK_E10value_typeET2_T3_PNSL_ISQ_E10value_typeET4_jRbjT5_SW_jjP12ihipStream_tbEUlT_E2_NS1_11comp_targetILNS1_3genE10ELNS1_11target_archE1201ELNS1_3gpuE5ELNS1_3repE0EEENS1_30default_config_static_selectorELNS0_4arch9wavefront6targetE0EEEvSK_ ; -- Begin function _ZN7rocprim17ROCPRIM_400000_NS6detail17trampoline_kernelINS0_14default_configENS1_36segmented_radix_sort_config_selectorIilEEZNS1_25segmented_radix_sort_implIS3_Lb0EPKiPiPKlPlN2at6native12_GLOBAL__N_18offset_tEEE10hipError_tPvRmT1_PNSt15iterator_traitsISK_E10value_typeET2_T3_PNSL_ISQ_E10value_typeET4_jRbjT5_SW_jjP12ihipStream_tbEUlT_E2_NS1_11comp_targetILNS1_3genE10ELNS1_11target_archE1201ELNS1_3gpuE5ELNS1_3repE0EEENS1_30default_config_static_selectorELNS0_4arch9wavefront6targetE0EEEvSK_
	.p2align	8
	.type	_ZN7rocprim17ROCPRIM_400000_NS6detail17trampoline_kernelINS0_14default_configENS1_36segmented_radix_sort_config_selectorIilEEZNS1_25segmented_radix_sort_implIS3_Lb0EPKiPiPKlPlN2at6native12_GLOBAL__N_18offset_tEEE10hipError_tPvRmT1_PNSt15iterator_traitsISK_E10value_typeET2_T3_PNSL_ISQ_E10value_typeET4_jRbjT5_SW_jjP12ihipStream_tbEUlT_E2_NS1_11comp_targetILNS1_3genE10ELNS1_11target_archE1201ELNS1_3gpuE5ELNS1_3repE0EEENS1_30default_config_static_selectorELNS0_4arch9wavefront6targetE0EEEvSK_,@function
_ZN7rocprim17ROCPRIM_400000_NS6detail17trampoline_kernelINS0_14default_configENS1_36segmented_radix_sort_config_selectorIilEEZNS1_25segmented_radix_sort_implIS3_Lb0EPKiPiPKlPlN2at6native12_GLOBAL__N_18offset_tEEE10hipError_tPvRmT1_PNSt15iterator_traitsISK_E10value_typeET2_T3_PNSL_ISQ_E10value_typeET4_jRbjT5_SW_jjP12ihipStream_tbEUlT_E2_NS1_11comp_targetILNS1_3genE10ELNS1_11target_archE1201ELNS1_3gpuE5ELNS1_3repE0EEENS1_30default_config_static_selectorELNS0_4arch9wavefront6targetE0EEEvSK_: ; @_ZN7rocprim17ROCPRIM_400000_NS6detail17trampoline_kernelINS0_14default_configENS1_36segmented_radix_sort_config_selectorIilEEZNS1_25segmented_radix_sort_implIS3_Lb0EPKiPiPKlPlN2at6native12_GLOBAL__N_18offset_tEEE10hipError_tPvRmT1_PNSt15iterator_traitsISK_E10value_typeET2_T3_PNSL_ISQ_E10value_typeET4_jRbjT5_SW_jjP12ihipStream_tbEUlT_E2_NS1_11comp_targetILNS1_3genE10ELNS1_11target_archE1201ELNS1_3gpuE5ELNS1_3repE0EEENS1_30default_config_static_selectorELNS0_4arch9wavefront6targetE0EEEvSK_
; %bb.0:
	.section	.rodata,"a",@progbits
	.p2align	6, 0x0
	.amdhsa_kernel _ZN7rocprim17ROCPRIM_400000_NS6detail17trampoline_kernelINS0_14default_configENS1_36segmented_radix_sort_config_selectorIilEEZNS1_25segmented_radix_sort_implIS3_Lb0EPKiPiPKlPlN2at6native12_GLOBAL__N_18offset_tEEE10hipError_tPvRmT1_PNSt15iterator_traitsISK_E10value_typeET2_T3_PNSL_ISQ_E10value_typeET4_jRbjT5_SW_jjP12ihipStream_tbEUlT_E2_NS1_11comp_targetILNS1_3genE10ELNS1_11target_archE1201ELNS1_3gpuE5ELNS1_3repE0EEENS1_30default_config_static_selectorELNS0_4arch9wavefront6targetE0EEEvSK_
		.amdhsa_group_segment_fixed_size 0
		.amdhsa_private_segment_fixed_size 0
		.amdhsa_kernarg_size 80
		.amdhsa_user_sgpr_count 6
		.amdhsa_user_sgpr_private_segment_buffer 1
		.amdhsa_user_sgpr_dispatch_ptr 0
		.amdhsa_user_sgpr_queue_ptr 0
		.amdhsa_user_sgpr_kernarg_segment_ptr 1
		.amdhsa_user_sgpr_dispatch_id 0
		.amdhsa_user_sgpr_flat_scratch_init 0
		.amdhsa_user_sgpr_private_segment_size 0
		.amdhsa_wavefront_size32 1
		.amdhsa_uses_dynamic_stack 0
		.amdhsa_system_sgpr_private_segment_wavefront_offset 0
		.amdhsa_system_sgpr_workgroup_id_x 1
		.amdhsa_system_sgpr_workgroup_id_y 0
		.amdhsa_system_sgpr_workgroup_id_z 0
		.amdhsa_system_sgpr_workgroup_info 0
		.amdhsa_system_vgpr_workitem_id 0
		.amdhsa_next_free_vgpr 1
		.amdhsa_next_free_sgpr 1
		.amdhsa_reserve_vcc 0
		.amdhsa_reserve_flat_scratch 0
		.amdhsa_float_round_mode_32 0
		.amdhsa_float_round_mode_16_64 0
		.amdhsa_float_denorm_mode_32 3
		.amdhsa_float_denorm_mode_16_64 3
		.amdhsa_dx10_clamp 1
		.amdhsa_ieee_mode 1
		.amdhsa_fp16_overflow 0
		.amdhsa_workgroup_processor_mode 1
		.amdhsa_memory_ordered 1
		.amdhsa_forward_progress 1
		.amdhsa_shared_vgpr_count 0
		.amdhsa_exception_fp_ieee_invalid_op 0
		.amdhsa_exception_fp_denorm_src 0
		.amdhsa_exception_fp_ieee_div_zero 0
		.amdhsa_exception_fp_ieee_overflow 0
		.amdhsa_exception_fp_ieee_underflow 0
		.amdhsa_exception_fp_ieee_inexact 0
		.amdhsa_exception_int_div_zero 0
	.end_amdhsa_kernel
	.section	.text._ZN7rocprim17ROCPRIM_400000_NS6detail17trampoline_kernelINS0_14default_configENS1_36segmented_radix_sort_config_selectorIilEEZNS1_25segmented_radix_sort_implIS3_Lb0EPKiPiPKlPlN2at6native12_GLOBAL__N_18offset_tEEE10hipError_tPvRmT1_PNSt15iterator_traitsISK_E10value_typeET2_T3_PNSL_ISQ_E10value_typeET4_jRbjT5_SW_jjP12ihipStream_tbEUlT_E2_NS1_11comp_targetILNS1_3genE10ELNS1_11target_archE1201ELNS1_3gpuE5ELNS1_3repE0EEENS1_30default_config_static_selectorELNS0_4arch9wavefront6targetE0EEEvSK_,"axG",@progbits,_ZN7rocprim17ROCPRIM_400000_NS6detail17trampoline_kernelINS0_14default_configENS1_36segmented_radix_sort_config_selectorIilEEZNS1_25segmented_radix_sort_implIS3_Lb0EPKiPiPKlPlN2at6native12_GLOBAL__N_18offset_tEEE10hipError_tPvRmT1_PNSt15iterator_traitsISK_E10value_typeET2_T3_PNSL_ISQ_E10value_typeET4_jRbjT5_SW_jjP12ihipStream_tbEUlT_E2_NS1_11comp_targetILNS1_3genE10ELNS1_11target_archE1201ELNS1_3gpuE5ELNS1_3repE0EEENS1_30default_config_static_selectorELNS0_4arch9wavefront6targetE0EEEvSK_,comdat
.Lfunc_end629:
	.size	_ZN7rocprim17ROCPRIM_400000_NS6detail17trampoline_kernelINS0_14default_configENS1_36segmented_radix_sort_config_selectorIilEEZNS1_25segmented_radix_sort_implIS3_Lb0EPKiPiPKlPlN2at6native12_GLOBAL__N_18offset_tEEE10hipError_tPvRmT1_PNSt15iterator_traitsISK_E10value_typeET2_T3_PNSL_ISQ_E10value_typeET4_jRbjT5_SW_jjP12ihipStream_tbEUlT_E2_NS1_11comp_targetILNS1_3genE10ELNS1_11target_archE1201ELNS1_3gpuE5ELNS1_3repE0EEENS1_30default_config_static_selectorELNS0_4arch9wavefront6targetE0EEEvSK_, .Lfunc_end629-_ZN7rocprim17ROCPRIM_400000_NS6detail17trampoline_kernelINS0_14default_configENS1_36segmented_radix_sort_config_selectorIilEEZNS1_25segmented_radix_sort_implIS3_Lb0EPKiPiPKlPlN2at6native12_GLOBAL__N_18offset_tEEE10hipError_tPvRmT1_PNSt15iterator_traitsISK_E10value_typeET2_T3_PNSL_ISQ_E10value_typeET4_jRbjT5_SW_jjP12ihipStream_tbEUlT_E2_NS1_11comp_targetILNS1_3genE10ELNS1_11target_archE1201ELNS1_3gpuE5ELNS1_3repE0EEENS1_30default_config_static_selectorELNS0_4arch9wavefront6targetE0EEEvSK_
                                        ; -- End function
	.set _ZN7rocprim17ROCPRIM_400000_NS6detail17trampoline_kernelINS0_14default_configENS1_36segmented_radix_sort_config_selectorIilEEZNS1_25segmented_radix_sort_implIS3_Lb0EPKiPiPKlPlN2at6native12_GLOBAL__N_18offset_tEEE10hipError_tPvRmT1_PNSt15iterator_traitsISK_E10value_typeET2_T3_PNSL_ISQ_E10value_typeET4_jRbjT5_SW_jjP12ihipStream_tbEUlT_E2_NS1_11comp_targetILNS1_3genE10ELNS1_11target_archE1201ELNS1_3gpuE5ELNS1_3repE0EEENS1_30default_config_static_selectorELNS0_4arch9wavefront6targetE0EEEvSK_.num_vgpr, 0
	.set _ZN7rocprim17ROCPRIM_400000_NS6detail17trampoline_kernelINS0_14default_configENS1_36segmented_radix_sort_config_selectorIilEEZNS1_25segmented_radix_sort_implIS3_Lb0EPKiPiPKlPlN2at6native12_GLOBAL__N_18offset_tEEE10hipError_tPvRmT1_PNSt15iterator_traitsISK_E10value_typeET2_T3_PNSL_ISQ_E10value_typeET4_jRbjT5_SW_jjP12ihipStream_tbEUlT_E2_NS1_11comp_targetILNS1_3genE10ELNS1_11target_archE1201ELNS1_3gpuE5ELNS1_3repE0EEENS1_30default_config_static_selectorELNS0_4arch9wavefront6targetE0EEEvSK_.num_agpr, 0
	.set _ZN7rocprim17ROCPRIM_400000_NS6detail17trampoline_kernelINS0_14default_configENS1_36segmented_radix_sort_config_selectorIilEEZNS1_25segmented_radix_sort_implIS3_Lb0EPKiPiPKlPlN2at6native12_GLOBAL__N_18offset_tEEE10hipError_tPvRmT1_PNSt15iterator_traitsISK_E10value_typeET2_T3_PNSL_ISQ_E10value_typeET4_jRbjT5_SW_jjP12ihipStream_tbEUlT_E2_NS1_11comp_targetILNS1_3genE10ELNS1_11target_archE1201ELNS1_3gpuE5ELNS1_3repE0EEENS1_30default_config_static_selectorELNS0_4arch9wavefront6targetE0EEEvSK_.numbered_sgpr, 0
	.set _ZN7rocprim17ROCPRIM_400000_NS6detail17trampoline_kernelINS0_14default_configENS1_36segmented_radix_sort_config_selectorIilEEZNS1_25segmented_radix_sort_implIS3_Lb0EPKiPiPKlPlN2at6native12_GLOBAL__N_18offset_tEEE10hipError_tPvRmT1_PNSt15iterator_traitsISK_E10value_typeET2_T3_PNSL_ISQ_E10value_typeET4_jRbjT5_SW_jjP12ihipStream_tbEUlT_E2_NS1_11comp_targetILNS1_3genE10ELNS1_11target_archE1201ELNS1_3gpuE5ELNS1_3repE0EEENS1_30default_config_static_selectorELNS0_4arch9wavefront6targetE0EEEvSK_.num_named_barrier, 0
	.set _ZN7rocprim17ROCPRIM_400000_NS6detail17trampoline_kernelINS0_14default_configENS1_36segmented_radix_sort_config_selectorIilEEZNS1_25segmented_radix_sort_implIS3_Lb0EPKiPiPKlPlN2at6native12_GLOBAL__N_18offset_tEEE10hipError_tPvRmT1_PNSt15iterator_traitsISK_E10value_typeET2_T3_PNSL_ISQ_E10value_typeET4_jRbjT5_SW_jjP12ihipStream_tbEUlT_E2_NS1_11comp_targetILNS1_3genE10ELNS1_11target_archE1201ELNS1_3gpuE5ELNS1_3repE0EEENS1_30default_config_static_selectorELNS0_4arch9wavefront6targetE0EEEvSK_.private_seg_size, 0
	.set _ZN7rocprim17ROCPRIM_400000_NS6detail17trampoline_kernelINS0_14default_configENS1_36segmented_radix_sort_config_selectorIilEEZNS1_25segmented_radix_sort_implIS3_Lb0EPKiPiPKlPlN2at6native12_GLOBAL__N_18offset_tEEE10hipError_tPvRmT1_PNSt15iterator_traitsISK_E10value_typeET2_T3_PNSL_ISQ_E10value_typeET4_jRbjT5_SW_jjP12ihipStream_tbEUlT_E2_NS1_11comp_targetILNS1_3genE10ELNS1_11target_archE1201ELNS1_3gpuE5ELNS1_3repE0EEENS1_30default_config_static_selectorELNS0_4arch9wavefront6targetE0EEEvSK_.uses_vcc, 0
	.set _ZN7rocprim17ROCPRIM_400000_NS6detail17trampoline_kernelINS0_14default_configENS1_36segmented_radix_sort_config_selectorIilEEZNS1_25segmented_radix_sort_implIS3_Lb0EPKiPiPKlPlN2at6native12_GLOBAL__N_18offset_tEEE10hipError_tPvRmT1_PNSt15iterator_traitsISK_E10value_typeET2_T3_PNSL_ISQ_E10value_typeET4_jRbjT5_SW_jjP12ihipStream_tbEUlT_E2_NS1_11comp_targetILNS1_3genE10ELNS1_11target_archE1201ELNS1_3gpuE5ELNS1_3repE0EEENS1_30default_config_static_selectorELNS0_4arch9wavefront6targetE0EEEvSK_.uses_flat_scratch, 0
	.set _ZN7rocprim17ROCPRIM_400000_NS6detail17trampoline_kernelINS0_14default_configENS1_36segmented_radix_sort_config_selectorIilEEZNS1_25segmented_radix_sort_implIS3_Lb0EPKiPiPKlPlN2at6native12_GLOBAL__N_18offset_tEEE10hipError_tPvRmT1_PNSt15iterator_traitsISK_E10value_typeET2_T3_PNSL_ISQ_E10value_typeET4_jRbjT5_SW_jjP12ihipStream_tbEUlT_E2_NS1_11comp_targetILNS1_3genE10ELNS1_11target_archE1201ELNS1_3gpuE5ELNS1_3repE0EEENS1_30default_config_static_selectorELNS0_4arch9wavefront6targetE0EEEvSK_.has_dyn_sized_stack, 0
	.set _ZN7rocprim17ROCPRIM_400000_NS6detail17trampoline_kernelINS0_14default_configENS1_36segmented_radix_sort_config_selectorIilEEZNS1_25segmented_radix_sort_implIS3_Lb0EPKiPiPKlPlN2at6native12_GLOBAL__N_18offset_tEEE10hipError_tPvRmT1_PNSt15iterator_traitsISK_E10value_typeET2_T3_PNSL_ISQ_E10value_typeET4_jRbjT5_SW_jjP12ihipStream_tbEUlT_E2_NS1_11comp_targetILNS1_3genE10ELNS1_11target_archE1201ELNS1_3gpuE5ELNS1_3repE0EEENS1_30default_config_static_selectorELNS0_4arch9wavefront6targetE0EEEvSK_.has_recursion, 0
	.set _ZN7rocprim17ROCPRIM_400000_NS6detail17trampoline_kernelINS0_14default_configENS1_36segmented_radix_sort_config_selectorIilEEZNS1_25segmented_radix_sort_implIS3_Lb0EPKiPiPKlPlN2at6native12_GLOBAL__N_18offset_tEEE10hipError_tPvRmT1_PNSt15iterator_traitsISK_E10value_typeET2_T3_PNSL_ISQ_E10value_typeET4_jRbjT5_SW_jjP12ihipStream_tbEUlT_E2_NS1_11comp_targetILNS1_3genE10ELNS1_11target_archE1201ELNS1_3gpuE5ELNS1_3repE0EEENS1_30default_config_static_selectorELNS0_4arch9wavefront6targetE0EEEvSK_.has_indirect_call, 0
	.section	.AMDGPU.csdata,"",@progbits
; Kernel info:
; codeLenInByte = 0
; TotalNumSgprs: 0
; NumVgprs: 0
; ScratchSize: 0
; MemoryBound: 0
; FloatMode: 240
; IeeeMode: 1
; LDSByteSize: 0 bytes/workgroup (compile time only)
; SGPRBlocks: 0
; VGPRBlocks: 0
; NumSGPRsForWavesPerEU: 1
; NumVGPRsForWavesPerEU: 1
; Occupancy: 16
; WaveLimiterHint : 0
; COMPUTE_PGM_RSRC2:SCRATCH_EN: 0
; COMPUTE_PGM_RSRC2:USER_SGPR: 6
; COMPUTE_PGM_RSRC2:TRAP_HANDLER: 0
; COMPUTE_PGM_RSRC2:TGID_X_EN: 1
; COMPUTE_PGM_RSRC2:TGID_Y_EN: 0
; COMPUTE_PGM_RSRC2:TGID_Z_EN: 0
; COMPUTE_PGM_RSRC2:TIDIG_COMP_CNT: 0
	.section	.text._ZN7rocprim17ROCPRIM_400000_NS6detail17trampoline_kernelINS0_14default_configENS1_36segmented_radix_sort_config_selectorIilEEZNS1_25segmented_radix_sort_implIS3_Lb0EPKiPiPKlPlN2at6native12_GLOBAL__N_18offset_tEEE10hipError_tPvRmT1_PNSt15iterator_traitsISK_E10value_typeET2_T3_PNSL_ISQ_E10value_typeET4_jRbjT5_SW_jjP12ihipStream_tbEUlT_E2_NS1_11comp_targetILNS1_3genE10ELNS1_11target_archE1200ELNS1_3gpuE4ELNS1_3repE0EEENS1_30default_config_static_selectorELNS0_4arch9wavefront6targetE0EEEvSK_,"axG",@progbits,_ZN7rocprim17ROCPRIM_400000_NS6detail17trampoline_kernelINS0_14default_configENS1_36segmented_radix_sort_config_selectorIilEEZNS1_25segmented_radix_sort_implIS3_Lb0EPKiPiPKlPlN2at6native12_GLOBAL__N_18offset_tEEE10hipError_tPvRmT1_PNSt15iterator_traitsISK_E10value_typeET2_T3_PNSL_ISQ_E10value_typeET4_jRbjT5_SW_jjP12ihipStream_tbEUlT_E2_NS1_11comp_targetILNS1_3genE10ELNS1_11target_archE1200ELNS1_3gpuE4ELNS1_3repE0EEENS1_30default_config_static_selectorELNS0_4arch9wavefront6targetE0EEEvSK_,comdat
	.globl	_ZN7rocprim17ROCPRIM_400000_NS6detail17trampoline_kernelINS0_14default_configENS1_36segmented_radix_sort_config_selectorIilEEZNS1_25segmented_radix_sort_implIS3_Lb0EPKiPiPKlPlN2at6native12_GLOBAL__N_18offset_tEEE10hipError_tPvRmT1_PNSt15iterator_traitsISK_E10value_typeET2_T3_PNSL_ISQ_E10value_typeET4_jRbjT5_SW_jjP12ihipStream_tbEUlT_E2_NS1_11comp_targetILNS1_3genE10ELNS1_11target_archE1200ELNS1_3gpuE4ELNS1_3repE0EEENS1_30default_config_static_selectorELNS0_4arch9wavefront6targetE0EEEvSK_ ; -- Begin function _ZN7rocprim17ROCPRIM_400000_NS6detail17trampoline_kernelINS0_14default_configENS1_36segmented_radix_sort_config_selectorIilEEZNS1_25segmented_radix_sort_implIS3_Lb0EPKiPiPKlPlN2at6native12_GLOBAL__N_18offset_tEEE10hipError_tPvRmT1_PNSt15iterator_traitsISK_E10value_typeET2_T3_PNSL_ISQ_E10value_typeET4_jRbjT5_SW_jjP12ihipStream_tbEUlT_E2_NS1_11comp_targetILNS1_3genE10ELNS1_11target_archE1200ELNS1_3gpuE4ELNS1_3repE0EEENS1_30default_config_static_selectorELNS0_4arch9wavefront6targetE0EEEvSK_
	.p2align	8
	.type	_ZN7rocprim17ROCPRIM_400000_NS6detail17trampoline_kernelINS0_14default_configENS1_36segmented_radix_sort_config_selectorIilEEZNS1_25segmented_radix_sort_implIS3_Lb0EPKiPiPKlPlN2at6native12_GLOBAL__N_18offset_tEEE10hipError_tPvRmT1_PNSt15iterator_traitsISK_E10value_typeET2_T3_PNSL_ISQ_E10value_typeET4_jRbjT5_SW_jjP12ihipStream_tbEUlT_E2_NS1_11comp_targetILNS1_3genE10ELNS1_11target_archE1200ELNS1_3gpuE4ELNS1_3repE0EEENS1_30default_config_static_selectorELNS0_4arch9wavefront6targetE0EEEvSK_,@function
_ZN7rocprim17ROCPRIM_400000_NS6detail17trampoline_kernelINS0_14default_configENS1_36segmented_radix_sort_config_selectorIilEEZNS1_25segmented_radix_sort_implIS3_Lb0EPKiPiPKlPlN2at6native12_GLOBAL__N_18offset_tEEE10hipError_tPvRmT1_PNSt15iterator_traitsISK_E10value_typeET2_T3_PNSL_ISQ_E10value_typeET4_jRbjT5_SW_jjP12ihipStream_tbEUlT_E2_NS1_11comp_targetILNS1_3genE10ELNS1_11target_archE1200ELNS1_3gpuE4ELNS1_3repE0EEENS1_30default_config_static_selectorELNS0_4arch9wavefront6targetE0EEEvSK_: ; @_ZN7rocprim17ROCPRIM_400000_NS6detail17trampoline_kernelINS0_14default_configENS1_36segmented_radix_sort_config_selectorIilEEZNS1_25segmented_radix_sort_implIS3_Lb0EPKiPiPKlPlN2at6native12_GLOBAL__N_18offset_tEEE10hipError_tPvRmT1_PNSt15iterator_traitsISK_E10value_typeET2_T3_PNSL_ISQ_E10value_typeET4_jRbjT5_SW_jjP12ihipStream_tbEUlT_E2_NS1_11comp_targetILNS1_3genE10ELNS1_11target_archE1200ELNS1_3gpuE4ELNS1_3repE0EEENS1_30default_config_static_selectorELNS0_4arch9wavefront6targetE0EEEvSK_
; %bb.0:
	.section	.rodata,"a",@progbits
	.p2align	6, 0x0
	.amdhsa_kernel _ZN7rocprim17ROCPRIM_400000_NS6detail17trampoline_kernelINS0_14default_configENS1_36segmented_radix_sort_config_selectorIilEEZNS1_25segmented_radix_sort_implIS3_Lb0EPKiPiPKlPlN2at6native12_GLOBAL__N_18offset_tEEE10hipError_tPvRmT1_PNSt15iterator_traitsISK_E10value_typeET2_T3_PNSL_ISQ_E10value_typeET4_jRbjT5_SW_jjP12ihipStream_tbEUlT_E2_NS1_11comp_targetILNS1_3genE10ELNS1_11target_archE1200ELNS1_3gpuE4ELNS1_3repE0EEENS1_30default_config_static_selectorELNS0_4arch9wavefront6targetE0EEEvSK_
		.amdhsa_group_segment_fixed_size 0
		.amdhsa_private_segment_fixed_size 0
		.amdhsa_kernarg_size 80
		.amdhsa_user_sgpr_count 6
		.amdhsa_user_sgpr_private_segment_buffer 1
		.amdhsa_user_sgpr_dispatch_ptr 0
		.amdhsa_user_sgpr_queue_ptr 0
		.amdhsa_user_sgpr_kernarg_segment_ptr 1
		.amdhsa_user_sgpr_dispatch_id 0
		.amdhsa_user_sgpr_flat_scratch_init 0
		.amdhsa_user_sgpr_private_segment_size 0
		.amdhsa_wavefront_size32 1
		.amdhsa_uses_dynamic_stack 0
		.amdhsa_system_sgpr_private_segment_wavefront_offset 0
		.amdhsa_system_sgpr_workgroup_id_x 1
		.amdhsa_system_sgpr_workgroup_id_y 0
		.amdhsa_system_sgpr_workgroup_id_z 0
		.amdhsa_system_sgpr_workgroup_info 0
		.amdhsa_system_vgpr_workitem_id 0
		.amdhsa_next_free_vgpr 1
		.amdhsa_next_free_sgpr 1
		.amdhsa_reserve_vcc 0
		.amdhsa_reserve_flat_scratch 0
		.amdhsa_float_round_mode_32 0
		.amdhsa_float_round_mode_16_64 0
		.amdhsa_float_denorm_mode_32 3
		.amdhsa_float_denorm_mode_16_64 3
		.amdhsa_dx10_clamp 1
		.amdhsa_ieee_mode 1
		.amdhsa_fp16_overflow 0
		.amdhsa_workgroup_processor_mode 1
		.amdhsa_memory_ordered 1
		.amdhsa_forward_progress 1
		.amdhsa_shared_vgpr_count 0
		.amdhsa_exception_fp_ieee_invalid_op 0
		.amdhsa_exception_fp_denorm_src 0
		.amdhsa_exception_fp_ieee_div_zero 0
		.amdhsa_exception_fp_ieee_overflow 0
		.amdhsa_exception_fp_ieee_underflow 0
		.amdhsa_exception_fp_ieee_inexact 0
		.amdhsa_exception_int_div_zero 0
	.end_amdhsa_kernel
	.section	.text._ZN7rocprim17ROCPRIM_400000_NS6detail17trampoline_kernelINS0_14default_configENS1_36segmented_radix_sort_config_selectorIilEEZNS1_25segmented_radix_sort_implIS3_Lb0EPKiPiPKlPlN2at6native12_GLOBAL__N_18offset_tEEE10hipError_tPvRmT1_PNSt15iterator_traitsISK_E10value_typeET2_T3_PNSL_ISQ_E10value_typeET4_jRbjT5_SW_jjP12ihipStream_tbEUlT_E2_NS1_11comp_targetILNS1_3genE10ELNS1_11target_archE1200ELNS1_3gpuE4ELNS1_3repE0EEENS1_30default_config_static_selectorELNS0_4arch9wavefront6targetE0EEEvSK_,"axG",@progbits,_ZN7rocprim17ROCPRIM_400000_NS6detail17trampoline_kernelINS0_14default_configENS1_36segmented_radix_sort_config_selectorIilEEZNS1_25segmented_radix_sort_implIS3_Lb0EPKiPiPKlPlN2at6native12_GLOBAL__N_18offset_tEEE10hipError_tPvRmT1_PNSt15iterator_traitsISK_E10value_typeET2_T3_PNSL_ISQ_E10value_typeET4_jRbjT5_SW_jjP12ihipStream_tbEUlT_E2_NS1_11comp_targetILNS1_3genE10ELNS1_11target_archE1200ELNS1_3gpuE4ELNS1_3repE0EEENS1_30default_config_static_selectorELNS0_4arch9wavefront6targetE0EEEvSK_,comdat
.Lfunc_end630:
	.size	_ZN7rocprim17ROCPRIM_400000_NS6detail17trampoline_kernelINS0_14default_configENS1_36segmented_radix_sort_config_selectorIilEEZNS1_25segmented_radix_sort_implIS3_Lb0EPKiPiPKlPlN2at6native12_GLOBAL__N_18offset_tEEE10hipError_tPvRmT1_PNSt15iterator_traitsISK_E10value_typeET2_T3_PNSL_ISQ_E10value_typeET4_jRbjT5_SW_jjP12ihipStream_tbEUlT_E2_NS1_11comp_targetILNS1_3genE10ELNS1_11target_archE1200ELNS1_3gpuE4ELNS1_3repE0EEENS1_30default_config_static_selectorELNS0_4arch9wavefront6targetE0EEEvSK_, .Lfunc_end630-_ZN7rocprim17ROCPRIM_400000_NS6detail17trampoline_kernelINS0_14default_configENS1_36segmented_radix_sort_config_selectorIilEEZNS1_25segmented_radix_sort_implIS3_Lb0EPKiPiPKlPlN2at6native12_GLOBAL__N_18offset_tEEE10hipError_tPvRmT1_PNSt15iterator_traitsISK_E10value_typeET2_T3_PNSL_ISQ_E10value_typeET4_jRbjT5_SW_jjP12ihipStream_tbEUlT_E2_NS1_11comp_targetILNS1_3genE10ELNS1_11target_archE1200ELNS1_3gpuE4ELNS1_3repE0EEENS1_30default_config_static_selectorELNS0_4arch9wavefront6targetE0EEEvSK_
                                        ; -- End function
	.set _ZN7rocprim17ROCPRIM_400000_NS6detail17trampoline_kernelINS0_14default_configENS1_36segmented_radix_sort_config_selectorIilEEZNS1_25segmented_radix_sort_implIS3_Lb0EPKiPiPKlPlN2at6native12_GLOBAL__N_18offset_tEEE10hipError_tPvRmT1_PNSt15iterator_traitsISK_E10value_typeET2_T3_PNSL_ISQ_E10value_typeET4_jRbjT5_SW_jjP12ihipStream_tbEUlT_E2_NS1_11comp_targetILNS1_3genE10ELNS1_11target_archE1200ELNS1_3gpuE4ELNS1_3repE0EEENS1_30default_config_static_selectorELNS0_4arch9wavefront6targetE0EEEvSK_.num_vgpr, 0
	.set _ZN7rocprim17ROCPRIM_400000_NS6detail17trampoline_kernelINS0_14default_configENS1_36segmented_radix_sort_config_selectorIilEEZNS1_25segmented_radix_sort_implIS3_Lb0EPKiPiPKlPlN2at6native12_GLOBAL__N_18offset_tEEE10hipError_tPvRmT1_PNSt15iterator_traitsISK_E10value_typeET2_T3_PNSL_ISQ_E10value_typeET4_jRbjT5_SW_jjP12ihipStream_tbEUlT_E2_NS1_11comp_targetILNS1_3genE10ELNS1_11target_archE1200ELNS1_3gpuE4ELNS1_3repE0EEENS1_30default_config_static_selectorELNS0_4arch9wavefront6targetE0EEEvSK_.num_agpr, 0
	.set _ZN7rocprim17ROCPRIM_400000_NS6detail17trampoline_kernelINS0_14default_configENS1_36segmented_radix_sort_config_selectorIilEEZNS1_25segmented_radix_sort_implIS3_Lb0EPKiPiPKlPlN2at6native12_GLOBAL__N_18offset_tEEE10hipError_tPvRmT1_PNSt15iterator_traitsISK_E10value_typeET2_T3_PNSL_ISQ_E10value_typeET4_jRbjT5_SW_jjP12ihipStream_tbEUlT_E2_NS1_11comp_targetILNS1_3genE10ELNS1_11target_archE1200ELNS1_3gpuE4ELNS1_3repE0EEENS1_30default_config_static_selectorELNS0_4arch9wavefront6targetE0EEEvSK_.numbered_sgpr, 0
	.set _ZN7rocprim17ROCPRIM_400000_NS6detail17trampoline_kernelINS0_14default_configENS1_36segmented_radix_sort_config_selectorIilEEZNS1_25segmented_radix_sort_implIS3_Lb0EPKiPiPKlPlN2at6native12_GLOBAL__N_18offset_tEEE10hipError_tPvRmT1_PNSt15iterator_traitsISK_E10value_typeET2_T3_PNSL_ISQ_E10value_typeET4_jRbjT5_SW_jjP12ihipStream_tbEUlT_E2_NS1_11comp_targetILNS1_3genE10ELNS1_11target_archE1200ELNS1_3gpuE4ELNS1_3repE0EEENS1_30default_config_static_selectorELNS0_4arch9wavefront6targetE0EEEvSK_.num_named_barrier, 0
	.set _ZN7rocprim17ROCPRIM_400000_NS6detail17trampoline_kernelINS0_14default_configENS1_36segmented_radix_sort_config_selectorIilEEZNS1_25segmented_radix_sort_implIS3_Lb0EPKiPiPKlPlN2at6native12_GLOBAL__N_18offset_tEEE10hipError_tPvRmT1_PNSt15iterator_traitsISK_E10value_typeET2_T3_PNSL_ISQ_E10value_typeET4_jRbjT5_SW_jjP12ihipStream_tbEUlT_E2_NS1_11comp_targetILNS1_3genE10ELNS1_11target_archE1200ELNS1_3gpuE4ELNS1_3repE0EEENS1_30default_config_static_selectorELNS0_4arch9wavefront6targetE0EEEvSK_.private_seg_size, 0
	.set _ZN7rocprim17ROCPRIM_400000_NS6detail17trampoline_kernelINS0_14default_configENS1_36segmented_radix_sort_config_selectorIilEEZNS1_25segmented_radix_sort_implIS3_Lb0EPKiPiPKlPlN2at6native12_GLOBAL__N_18offset_tEEE10hipError_tPvRmT1_PNSt15iterator_traitsISK_E10value_typeET2_T3_PNSL_ISQ_E10value_typeET4_jRbjT5_SW_jjP12ihipStream_tbEUlT_E2_NS1_11comp_targetILNS1_3genE10ELNS1_11target_archE1200ELNS1_3gpuE4ELNS1_3repE0EEENS1_30default_config_static_selectorELNS0_4arch9wavefront6targetE0EEEvSK_.uses_vcc, 0
	.set _ZN7rocprim17ROCPRIM_400000_NS6detail17trampoline_kernelINS0_14default_configENS1_36segmented_radix_sort_config_selectorIilEEZNS1_25segmented_radix_sort_implIS3_Lb0EPKiPiPKlPlN2at6native12_GLOBAL__N_18offset_tEEE10hipError_tPvRmT1_PNSt15iterator_traitsISK_E10value_typeET2_T3_PNSL_ISQ_E10value_typeET4_jRbjT5_SW_jjP12ihipStream_tbEUlT_E2_NS1_11comp_targetILNS1_3genE10ELNS1_11target_archE1200ELNS1_3gpuE4ELNS1_3repE0EEENS1_30default_config_static_selectorELNS0_4arch9wavefront6targetE0EEEvSK_.uses_flat_scratch, 0
	.set _ZN7rocprim17ROCPRIM_400000_NS6detail17trampoline_kernelINS0_14default_configENS1_36segmented_radix_sort_config_selectorIilEEZNS1_25segmented_radix_sort_implIS3_Lb0EPKiPiPKlPlN2at6native12_GLOBAL__N_18offset_tEEE10hipError_tPvRmT1_PNSt15iterator_traitsISK_E10value_typeET2_T3_PNSL_ISQ_E10value_typeET4_jRbjT5_SW_jjP12ihipStream_tbEUlT_E2_NS1_11comp_targetILNS1_3genE10ELNS1_11target_archE1200ELNS1_3gpuE4ELNS1_3repE0EEENS1_30default_config_static_selectorELNS0_4arch9wavefront6targetE0EEEvSK_.has_dyn_sized_stack, 0
	.set _ZN7rocprim17ROCPRIM_400000_NS6detail17trampoline_kernelINS0_14default_configENS1_36segmented_radix_sort_config_selectorIilEEZNS1_25segmented_radix_sort_implIS3_Lb0EPKiPiPKlPlN2at6native12_GLOBAL__N_18offset_tEEE10hipError_tPvRmT1_PNSt15iterator_traitsISK_E10value_typeET2_T3_PNSL_ISQ_E10value_typeET4_jRbjT5_SW_jjP12ihipStream_tbEUlT_E2_NS1_11comp_targetILNS1_3genE10ELNS1_11target_archE1200ELNS1_3gpuE4ELNS1_3repE0EEENS1_30default_config_static_selectorELNS0_4arch9wavefront6targetE0EEEvSK_.has_recursion, 0
	.set _ZN7rocprim17ROCPRIM_400000_NS6detail17trampoline_kernelINS0_14default_configENS1_36segmented_radix_sort_config_selectorIilEEZNS1_25segmented_radix_sort_implIS3_Lb0EPKiPiPKlPlN2at6native12_GLOBAL__N_18offset_tEEE10hipError_tPvRmT1_PNSt15iterator_traitsISK_E10value_typeET2_T3_PNSL_ISQ_E10value_typeET4_jRbjT5_SW_jjP12ihipStream_tbEUlT_E2_NS1_11comp_targetILNS1_3genE10ELNS1_11target_archE1200ELNS1_3gpuE4ELNS1_3repE0EEENS1_30default_config_static_selectorELNS0_4arch9wavefront6targetE0EEEvSK_.has_indirect_call, 0
	.section	.AMDGPU.csdata,"",@progbits
; Kernel info:
; codeLenInByte = 0
; TotalNumSgprs: 0
; NumVgprs: 0
; ScratchSize: 0
; MemoryBound: 0
; FloatMode: 240
; IeeeMode: 1
; LDSByteSize: 0 bytes/workgroup (compile time only)
; SGPRBlocks: 0
; VGPRBlocks: 0
; NumSGPRsForWavesPerEU: 1
; NumVGPRsForWavesPerEU: 1
; Occupancy: 16
; WaveLimiterHint : 0
; COMPUTE_PGM_RSRC2:SCRATCH_EN: 0
; COMPUTE_PGM_RSRC2:USER_SGPR: 6
; COMPUTE_PGM_RSRC2:TRAP_HANDLER: 0
; COMPUTE_PGM_RSRC2:TGID_X_EN: 1
; COMPUTE_PGM_RSRC2:TGID_Y_EN: 0
; COMPUTE_PGM_RSRC2:TGID_Z_EN: 0
; COMPUTE_PGM_RSRC2:TIDIG_COMP_CNT: 0
	.section	.text._ZN7rocprim17ROCPRIM_400000_NS6detail17trampoline_kernelINS0_14default_configENS1_36segmented_radix_sort_config_selectorIilEEZNS1_25segmented_radix_sort_implIS3_Lb0EPKiPiPKlPlN2at6native12_GLOBAL__N_18offset_tEEE10hipError_tPvRmT1_PNSt15iterator_traitsISK_E10value_typeET2_T3_PNSL_ISQ_E10value_typeET4_jRbjT5_SW_jjP12ihipStream_tbEUlT_E2_NS1_11comp_targetILNS1_3genE9ELNS1_11target_archE1100ELNS1_3gpuE3ELNS1_3repE0EEENS1_30default_config_static_selectorELNS0_4arch9wavefront6targetE0EEEvSK_,"axG",@progbits,_ZN7rocprim17ROCPRIM_400000_NS6detail17trampoline_kernelINS0_14default_configENS1_36segmented_radix_sort_config_selectorIilEEZNS1_25segmented_radix_sort_implIS3_Lb0EPKiPiPKlPlN2at6native12_GLOBAL__N_18offset_tEEE10hipError_tPvRmT1_PNSt15iterator_traitsISK_E10value_typeET2_T3_PNSL_ISQ_E10value_typeET4_jRbjT5_SW_jjP12ihipStream_tbEUlT_E2_NS1_11comp_targetILNS1_3genE9ELNS1_11target_archE1100ELNS1_3gpuE3ELNS1_3repE0EEENS1_30default_config_static_selectorELNS0_4arch9wavefront6targetE0EEEvSK_,comdat
	.globl	_ZN7rocprim17ROCPRIM_400000_NS6detail17trampoline_kernelINS0_14default_configENS1_36segmented_radix_sort_config_selectorIilEEZNS1_25segmented_radix_sort_implIS3_Lb0EPKiPiPKlPlN2at6native12_GLOBAL__N_18offset_tEEE10hipError_tPvRmT1_PNSt15iterator_traitsISK_E10value_typeET2_T3_PNSL_ISQ_E10value_typeET4_jRbjT5_SW_jjP12ihipStream_tbEUlT_E2_NS1_11comp_targetILNS1_3genE9ELNS1_11target_archE1100ELNS1_3gpuE3ELNS1_3repE0EEENS1_30default_config_static_selectorELNS0_4arch9wavefront6targetE0EEEvSK_ ; -- Begin function _ZN7rocprim17ROCPRIM_400000_NS6detail17trampoline_kernelINS0_14default_configENS1_36segmented_radix_sort_config_selectorIilEEZNS1_25segmented_radix_sort_implIS3_Lb0EPKiPiPKlPlN2at6native12_GLOBAL__N_18offset_tEEE10hipError_tPvRmT1_PNSt15iterator_traitsISK_E10value_typeET2_T3_PNSL_ISQ_E10value_typeET4_jRbjT5_SW_jjP12ihipStream_tbEUlT_E2_NS1_11comp_targetILNS1_3genE9ELNS1_11target_archE1100ELNS1_3gpuE3ELNS1_3repE0EEENS1_30default_config_static_selectorELNS0_4arch9wavefront6targetE0EEEvSK_
	.p2align	8
	.type	_ZN7rocprim17ROCPRIM_400000_NS6detail17trampoline_kernelINS0_14default_configENS1_36segmented_radix_sort_config_selectorIilEEZNS1_25segmented_radix_sort_implIS3_Lb0EPKiPiPKlPlN2at6native12_GLOBAL__N_18offset_tEEE10hipError_tPvRmT1_PNSt15iterator_traitsISK_E10value_typeET2_T3_PNSL_ISQ_E10value_typeET4_jRbjT5_SW_jjP12ihipStream_tbEUlT_E2_NS1_11comp_targetILNS1_3genE9ELNS1_11target_archE1100ELNS1_3gpuE3ELNS1_3repE0EEENS1_30default_config_static_selectorELNS0_4arch9wavefront6targetE0EEEvSK_,@function
_ZN7rocprim17ROCPRIM_400000_NS6detail17trampoline_kernelINS0_14default_configENS1_36segmented_radix_sort_config_selectorIilEEZNS1_25segmented_radix_sort_implIS3_Lb0EPKiPiPKlPlN2at6native12_GLOBAL__N_18offset_tEEE10hipError_tPvRmT1_PNSt15iterator_traitsISK_E10value_typeET2_T3_PNSL_ISQ_E10value_typeET4_jRbjT5_SW_jjP12ihipStream_tbEUlT_E2_NS1_11comp_targetILNS1_3genE9ELNS1_11target_archE1100ELNS1_3gpuE3ELNS1_3repE0EEENS1_30default_config_static_selectorELNS0_4arch9wavefront6targetE0EEEvSK_: ; @_ZN7rocprim17ROCPRIM_400000_NS6detail17trampoline_kernelINS0_14default_configENS1_36segmented_radix_sort_config_selectorIilEEZNS1_25segmented_radix_sort_implIS3_Lb0EPKiPiPKlPlN2at6native12_GLOBAL__N_18offset_tEEE10hipError_tPvRmT1_PNSt15iterator_traitsISK_E10value_typeET2_T3_PNSL_ISQ_E10value_typeET4_jRbjT5_SW_jjP12ihipStream_tbEUlT_E2_NS1_11comp_targetILNS1_3genE9ELNS1_11target_archE1100ELNS1_3gpuE3ELNS1_3repE0EEENS1_30default_config_static_selectorELNS0_4arch9wavefront6targetE0EEEvSK_
; %bb.0:
	.section	.rodata,"a",@progbits
	.p2align	6, 0x0
	.amdhsa_kernel _ZN7rocprim17ROCPRIM_400000_NS6detail17trampoline_kernelINS0_14default_configENS1_36segmented_radix_sort_config_selectorIilEEZNS1_25segmented_radix_sort_implIS3_Lb0EPKiPiPKlPlN2at6native12_GLOBAL__N_18offset_tEEE10hipError_tPvRmT1_PNSt15iterator_traitsISK_E10value_typeET2_T3_PNSL_ISQ_E10value_typeET4_jRbjT5_SW_jjP12ihipStream_tbEUlT_E2_NS1_11comp_targetILNS1_3genE9ELNS1_11target_archE1100ELNS1_3gpuE3ELNS1_3repE0EEENS1_30default_config_static_selectorELNS0_4arch9wavefront6targetE0EEEvSK_
		.amdhsa_group_segment_fixed_size 0
		.amdhsa_private_segment_fixed_size 0
		.amdhsa_kernarg_size 80
		.amdhsa_user_sgpr_count 6
		.amdhsa_user_sgpr_private_segment_buffer 1
		.amdhsa_user_sgpr_dispatch_ptr 0
		.amdhsa_user_sgpr_queue_ptr 0
		.amdhsa_user_sgpr_kernarg_segment_ptr 1
		.amdhsa_user_sgpr_dispatch_id 0
		.amdhsa_user_sgpr_flat_scratch_init 0
		.amdhsa_user_sgpr_private_segment_size 0
		.amdhsa_wavefront_size32 1
		.amdhsa_uses_dynamic_stack 0
		.amdhsa_system_sgpr_private_segment_wavefront_offset 0
		.amdhsa_system_sgpr_workgroup_id_x 1
		.amdhsa_system_sgpr_workgroup_id_y 0
		.amdhsa_system_sgpr_workgroup_id_z 0
		.amdhsa_system_sgpr_workgroup_info 0
		.amdhsa_system_vgpr_workitem_id 0
		.amdhsa_next_free_vgpr 1
		.amdhsa_next_free_sgpr 1
		.amdhsa_reserve_vcc 0
		.amdhsa_reserve_flat_scratch 0
		.amdhsa_float_round_mode_32 0
		.amdhsa_float_round_mode_16_64 0
		.amdhsa_float_denorm_mode_32 3
		.amdhsa_float_denorm_mode_16_64 3
		.amdhsa_dx10_clamp 1
		.amdhsa_ieee_mode 1
		.amdhsa_fp16_overflow 0
		.amdhsa_workgroup_processor_mode 1
		.amdhsa_memory_ordered 1
		.amdhsa_forward_progress 1
		.amdhsa_shared_vgpr_count 0
		.amdhsa_exception_fp_ieee_invalid_op 0
		.amdhsa_exception_fp_denorm_src 0
		.amdhsa_exception_fp_ieee_div_zero 0
		.amdhsa_exception_fp_ieee_overflow 0
		.amdhsa_exception_fp_ieee_underflow 0
		.amdhsa_exception_fp_ieee_inexact 0
		.amdhsa_exception_int_div_zero 0
	.end_amdhsa_kernel
	.section	.text._ZN7rocprim17ROCPRIM_400000_NS6detail17trampoline_kernelINS0_14default_configENS1_36segmented_radix_sort_config_selectorIilEEZNS1_25segmented_radix_sort_implIS3_Lb0EPKiPiPKlPlN2at6native12_GLOBAL__N_18offset_tEEE10hipError_tPvRmT1_PNSt15iterator_traitsISK_E10value_typeET2_T3_PNSL_ISQ_E10value_typeET4_jRbjT5_SW_jjP12ihipStream_tbEUlT_E2_NS1_11comp_targetILNS1_3genE9ELNS1_11target_archE1100ELNS1_3gpuE3ELNS1_3repE0EEENS1_30default_config_static_selectorELNS0_4arch9wavefront6targetE0EEEvSK_,"axG",@progbits,_ZN7rocprim17ROCPRIM_400000_NS6detail17trampoline_kernelINS0_14default_configENS1_36segmented_radix_sort_config_selectorIilEEZNS1_25segmented_radix_sort_implIS3_Lb0EPKiPiPKlPlN2at6native12_GLOBAL__N_18offset_tEEE10hipError_tPvRmT1_PNSt15iterator_traitsISK_E10value_typeET2_T3_PNSL_ISQ_E10value_typeET4_jRbjT5_SW_jjP12ihipStream_tbEUlT_E2_NS1_11comp_targetILNS1_3genE9ELNS1_11target_archE1100ELNS1_3gpuE3ELNS1_3repE0EEENS1_30default_config_static_selectorELNS0_4arch9wavefront6targetE0EEEvSK_,comdat
.Lfunc_end631:
	.size	_ZN7rocprim17ROCPRIM_400000_NS6detail17trampoline_kernelINS0_14default_configENS1_36segmented_radix_sort_config_selectorIilEEZNS1_25segmented_radix_sort_implIS3_Lb0EPKiPiPKlPlN2at6native12_GLOBAL__N_18offset_tEEE10hipError_tPvRmT1_PNSt15iterator_traitsISK_E10value_typeET2_T3_PNSL_ISQ_E10value_typeET4_jRbjT5_SW_jjP12ihipStream_tbEUlT_E2_NS1_11comp_targetILNS1_3genE9ELNS1_11target_archE1100ELNS1_3gpuE3ELNS1_3repE0EEENS1_30default_config_static_selectorELNS0_4arch9wavefront6targetE0EEEvSK_, .Lfunc_end631-_ZN7rocprim17ROCPRIM_400000_NS6detail17trampoline_kernelINS0_14default_configENS1_36segmented_radix_sort_config_selectorIilEEZNS1_25segmented_radix_sort_implIS3_Lb0EPKiPiPKlPlN2at6native12_GLOBAL__N_18offset_tEEE10hipError_tPvRmT1_PNSt15iterator_traitsISK_E10value_typeET2_T3_PNSL_ISQ_E10value_typeET4_jRbjT5_SW_jjP12ihipStream_tbEUlT_E2_NS1_11comp_targetILNS1_3genE9ELNS1_11target_archE1100ELNS1_3gpuE3ELNS1_3repE0EEENS1_30default_config_static_selectorELNS0_4arch9wavefront6targetE0EEEvSK_
                                        ; -- End function
	.set _ZN7rocprim17ROCPRIM_400000_NS6detail17trampoline_kernelINS0_14default_configENS1_36segmented_radix_sort_config_selectorIilEEZNS1_25segmented_radix_sort_implIS3_Lb0EPKiPiPKlPlN2at6native12_GLOBAL__N_18offset_tEEE10hipError_tPvRmT1_PNSt15iterator_traitsISK_E10value_typeET2_T3_PNSL_ISQ_E10value_typeET4_jRbjT5_SW_jjP12ihipStream_tbEUlT_E2_NS1_11comp_targetILNS1_3genE9ELNS1_11target_archE1100ELNS1_3gpuE3ELNS1_3repE0EEENS1_30default_config_static_selectorELNS0_4arch9wavefront6targetE0EEEvSK_.num_vgpr, 0
	.set _ZN7rocprim17ROCPRIM_400000_NS6detail17trampoline_kernelINS0_14default_configENS1_36segmented_radix_sort_config_selectorIilEEZNS1_25segmented_radix_sort_implIS3_Lb0EPKiPiPKlPlN2at6native12_GLOBAL__N_18offset_tEEE10hipError_tPvRmT1_PNSt15iterator_traitsISK_E10value_typeET2_T3_PNSL_ISQ_E10value_typeET4_jRbjT5_SW_jjP12ihipStream_tbEUlT_E2_NS1_11comp_targetILNS1_3genE9ELNS1_11target_archE1100ELNS1_3gpuE3ELNS1_3repE0EEENS1_30default_config_static_selectorELNS0_4arch9wavefront6targetE0EEEvSK_.num_agpr, 0
	.set _ZN7rocprim17ROCPRIM_400000_NS6detail17trampoline_kernelINS0_14default_configENS1_36segmented_radix_sort_config_selectorIilEEZNS1_25segmented_radix_sort_implIS3_Lb0EPKiPiPKlPlN2at6native12_GLOBAL__N_18offset_tEEE10hipError_tPvRmT1_PNSt15iterator_traitsISK_E10value_typeET2_T3_PNSL_ISQ_E10value_typeET4_jRbjT5_SW_jjP12ihipStream_tbEUlT_E2_NS1_11comp_targetILNS1_3genE9ELNS1_11target_archE1100ELNS1_3gpuE3ELNS1_3repE0EEENS1_30default_config_static_selectorELNS0_4arch9wavefront6targetE0EEEvSK_.numbered_sgpr, 0
	.set _ZN7rocprim17ROCPRIM_400000_NS6detail17trampoline_kernelINS0_14default_configENS1_36segmented_radix_sort_config_selectorIilEEZNS1_25segmented_radix_sort_implIS3_Lb0EPKiPiPKlPlN2at6native12_GLOBAL__N_18offset_tEEE10hipError_tPvRmT1_PNSt15iterator_traitsISK_E10value_typeET2_T3_PNSL_ISQ_E10value_typeET4_jRbjT5_SW_jjP12ihipStream_tbEUlT_E2_NS1_11comp_targetILNS1_3genE9ELNS1_11target_archE1100ELNS1_3gpuE3ELNS1_3repE0EEENS1_30default_config_static_selectorELNS0_4arch9wavefront6targetE0EEEvSK_.num_named_barrier, 0
	.set _ZN7rocprim17ROCPRIM_400000_NS6detail17trampoline_kernelINS0_14default_configENS1_36segmented_radix_sort_config_selectorIilEEZNS1_25segmented_radix_sort_implIS3_Lb0EPKiPiPKlPlN2at6native12_GLOBAL__N_18offset_tEEE10hipError_tPvRmT1_PNSt15iterator_traitsISK_E10value_typeET2_T3_PNSL_ISQ_E10value_typeET4_jRbjT5_SW_jjP12ihipStream_tbEUlT_E2_NS1_11comp_targetILNS1_3genE9ELNS1_11target_archE1100ELNS1_3gpuE3ELNS1_3repE0EEENS1_30default_config_static_selectorELNS0_4arch9wavefront6targetE0EEEvSK_.private_seg_size, 0
	.set _ZN7rocprim17ROCPRIM_400000_NS6detail17trampoline_kernelINS0_14default_configENS1_36segmented_radix_sort_config_selectorIilEEZNS1_25segmented_radix_sort_implIS3_Lb0EPKiPiPKlPlN2at6native12_GLOBAL__N_18offset_tEEE10hipError_tPvRmT1_PNSt15iterator_traitsISK_E10value_typeET2_T3_PNSL_ISQ_E10value_typeET4_jRbjT5_SW_jjP12ihipStream_tbEUlT_E2_NS1_11comp_targetILNS1_3genE9ELNS1_11target_archE1100ELNS1_3gpuE3ELNS1_3repE0EEENS1_30default_config_static_selectorELNS0_4arch9wavefront6targetE0EEEvSK_.uses_vcc, 0
	.set _ZN7rocprim17ROCPRIM_400000_NS6detail17trampoline_kernelINS0_14default_configENS1_36segmented_radix_sort_config_selectorIilEEZNS1_25segmented_radix_sort_implIS3_Lb0EPKiPiPKlPlN2at6native12_GLOBAL__N_18offset_tEEE10hipError_tPvRmT1_PNSt15iterator_traitsISK_E10value_typeET2_T3_PNSL_ISQ_E10value_typeET4_jRbjT5_SW_jjP12ihipStream_tbEUlT_E2_NS1_11comp_targetILNS1_3genE9ELNS1_11target_archE1100ELNS1_3gpuE3ELNS1_3repE0EEENS1_30default_config_static_selectorELNS0_4arch9wavefront6targetE0EEEvSK_.uses_flat_scratch, 0
	.set _ZN7rocprim17ROCPRIM_400000_NS6detail17trampoline_kernelINS0_14default_configENS1_36segmented_radix_sort_config_selectorIilEEZNS1_25segmented_radix_sort_implIS3_Lb0EPKiPiPKlPlN2at6native12_GLOBAL__N_18offset_tEEE10hipError_tPvRmT1_PNSt15iterator_traitsISK_E10value_typeET2_T3_PNSL_ISQ_E10value_typeET4_jRbjT5_SW_jjP12ihipStream_tbEUlT_E2_NS1_11comp_targetILNS1_3genE9ELNS1_11target_archE1100ELNS1_3gpuE3ELNS1_3repE0EEENS1_30default_config_static_selectorELNS0_4arch9wavefront6targetE0EEEvSK_.has_dyn_sized_stack, 0
	.set _ZN7rocprim17ROCPRIM_400000_NS6detail17trampoline_kernelINS0_14default_configENS1_36segmented_radix_sort_config_selectorIilEEZNS1_25segmented_radix_sort_implIS3_Lb0EPKiPiPKlPlN2at6native12_GLOBAL__N_18offset_tEEE10hipError_tPvRmT1_PNSt15iterator_traitsISK_E10value_typeET2_T3_PNSL_ISQ_E10value_typeET4_jRbjT5_SW_jjP12ihipStream_tbEUlT_E2_NS1_11comp_targetILNS1_3genE9ELNS1_11target_archE1100ELNS1_3gpuE3ELNS1_3repE0EEENS1_30default_config_static_selectorELNS0_4arch9wavefront6targetE0EEEvSK_.has_recursion, 0
	.set _ZN7rocprim17ROCPRIM_400000_NS6detail17trampoline_kernelINS0_14default_configENS1_36segmented_radix_sort_config_selectorIilEEZNS1_25segmented_radix_sort_implIS3_Lb0EPKiPiPKlPlN2at6native12_GLOBAL__N_18offset_tEEE10hipError_tPvRmT1_PNSt15iterator_traitsISK_E10value_typeET2_T3_PNSL_ISQ_E10value_typeET4_jRbjT5_SW_jjP12ihipStream_tbEUlT_E2_NS1_11comp_targetILNS1_3genE9ELNS1_11target_archE1100ELNS1_3gpuE3ELNS1_3repE0EEENS1_30default_config_static_selectorELNS0_4arch9wavefront6targetE0EEEvSK_.has_indirect_call, 0
	.section	.AMDGPU.csdata,"",@progbits
; Kernel info:
; codeLenInByte = 0
; TotalNumSgprs: 0
; NumVgprs: 0
; ScratchSize: 0
; MemoryBound: 0
; FloatMode: 240
; IeeeMode: 1
; LDSByteSize: 0 bytes/workgroup (compile time only)
; SGPRBlocks: 0
; VGPRBlocks: 0
; NumSGPRsForWavesPerEU: 1
; NumVGPRsForWavesPerEU: 1
; Occupancy: 16
; WaveLimiterHint : 0
; COMPUTE_PGM_RSRC2:SCRATCH_EN: 0
; COMPUTE_PGM_RSRC2:USER_SGPR: 6
; COMPUTE_PGM_RSRC2:TRAP_HANDLER: 0
; COMPUTE_PGM_RSRC2:TGID_X_EN: 1
; COMPUTE_PGM_RSRC2:TGID_Y_EN: 0
; COMPUTE_PGM_RSRC2:TGID_Z_EN: 0
; COMPUTE_PGM_RSRC2:TIDIG_COMP_CNT: 0
	.section	.text._ZN7rocprim17ROCPRIM_400000_NS6detail17trampoline_kernelINS0_14default_configENS1_36segmented_radix_sort_config_selectorIilEEZNS1_25segmented_radix_sort_implIS3_Lb0EPKiPiPKlPlN2at6native12_GLOBAL__N_18offset_tEEE10hipError_tPvRmT1_PNSt15iterator_traitsISK_E10value_typeET2_T3_PNSL_ISQ_E10value_typeET4_jRbjT5_SW_jjP12ihipStream_tbEUlT_E2_NS1_11comp_targetILNS1_3genE8ELNS1_11target_archE1030ELNS1_3gpuE2ELNS1_3repE0EEENS1_30default_config_static_selectorELNS0_4arch9wavefront6targetE0EEEvSK_,"axG",@progbits,_ZN7rocprim17ROCPRIM_400000_NS6detail17trampoline_kernelINS0_14default_configENS1_36segmented_radix_sort_config_selectorIilEEZNS1_25segmented_radix_sort_implIS3_Lb0EPKiPiPKlPlN2at6native12_GLOBAL__N_18offset_tEEE10hipError_tPvRmT1_PNSt15iterator_traitsISK_E10value_typeET2_T3_PNSL_ISQ_E10value_typeET4_jRbjT5_SW_jjP12ihipStream_tbEUlT_E2_NS1_11comp_targetILNS1_3genE8ELNS1_11target_archE1030ELNS1_3gpuE2ELNS1_3repE0EEENS1_30default_config_static_selectorELNS0_4arch9wavefront6targetE0EEEvSK_,comdat
	.globl	_ZN7rocprim17ROCPRIM_400000_NS6detail17trampoline_kernelINS0_14default_configENS1_36segmented_radix_sort_config_selectorIilEEZNS1_25segmented_radix_sort_implIS3_Lb0EPKiPiPKlPlN2at6native12_GLOBAL__N_18offset_tEEE10hipError_tPvRmT1_PNSt15iterator_traitsISK_E10value_typeET2_T3_PNSL_ISQ_E10value_typeET4_jRbjT5_SW_jjP12ihipStream_tbEUlT_E2_NS1_11comp_targetILNS1_3genE8ELNS1_11target_archE1030ELNS1_3gpuE2ELNS1_3repE0EEENS1_30default_config_static_selectorELNS0_4arch9wavefront6targetE0EEEvSK_ ; -- Begin function _ZN7rocprim17ROCPRIM_400000_NS6detail17trampoline_kernelINS0_14default_configENS1_36segmented_radix_sort_config_selectorIilEEZNS1_25segmented_radix_sort_implIS3_Lb0EPKiPiPKlPlN2at6native12_GLOBAL__N_18offset_tEEE10hipError_tPvRmT1_PNSt15iterator_traitsISK_E10value_typeET2_T3_PNSL_ISQ_E10value_typeET4_jRbjT5_SW_jjP12ihipStream_tbEUlT_E2_NS1_11comp_targetILNS1_3genE8ELNS1_11target_archE1030ELNS1_3gpuE2ELNS1_3repE0EEENS1_30default_config_static_selectorELNS0_4arch9wavefront6targetE0EEEvSK_
	.p2align	8
	.type	_ZN7rocprim17ROCPRIM_400000_NS6detail17trampoline_kernelINS0_14default_configENS1_36segmented_radix_sort_config_selectorIilEEZNS1_25segmented_radix_sort_implIS3_Lb0EPKiPiPKlPlN2at6native12_GLOBAL__N_18offset_tEEE10hipError_tPvRmT1_PNSt15iterator_traitsISK_E10value_typeET2_T3_PNSL_ISQ_E10value_typeET4_jRbjT5_SW_jjP12ihipStream_tbEUlT_E2_NS1_11comp_targetILNS1_3genE8ELNS1_11target_archE1030ELNS1_3gpuE2ELNS1_3repE0EEENS1_30default_config_static_selectorELNS0_4arch9wavefront6targetE0EEEvSK_,@function
_ZN7rocprim17ROCPRIM_400000_NS6detail17trampoline_kernelINS0_14default_configENS1_36segmented_radix_sort_config_selectorIilEEZNS1_25segmented_radix_sort_implIS3_Lb0EPKiPiPKlPlN2at6native12_GLOBAL__N_18offset_tEEE10hipError_tPvRmT1_PNSt15iterator_traitsISK_E10value_typeET2_T3_PNSL_ISQ_E10value_typeET4_jRbjT5_SW_jjP12ihipStream_tbEUlT_E2_NS1_11comp_targetILNS1_3genE8ELNS1_11target_archE1030ELNS1_3gpuE2ELNS1_3repE0EEENS1_30default_config_static_selectorELNS0_4arch9wavefront6targetE0EEEvSK_: ; @_ZN7rocprim17ROCPRIM_400000_NS6detail17trampoline_kernelINS0_14default_configENS1_36segmented_radix_sort_config_selectorIilEEZNS1_25segmented_radix_sort_implIS3_Lb0EPKiPiPKlPlN2at6native12_GLOBAL__N_18offset_tEEE10hipError_tPvRmT1_PNSt15iterator_traitsISK_E10value_typeET2_T3_PNSL_ISQ_E10value_typeET4_jRbjT5_SW_jjP12ihipStream_tbEUlT_E2_NS1_11comp_targetILNS1_3genE8ELNS1_11target_archE1030ELNS1_3gpuE2ELNS1_3repE0EEENS1_30default_config_static_selectorELNS0_4arch9wavefront6targetE0EEEvSK_
; %bb.0:
	s_add_u32 s0, s0, s8
	s_load_dwordx4 s[8:11], s[4:5], 0x34
	s_addc_u32 s1, s1, 0
	s_mov_b32 s32, 0
	s_waitcnt lgkmcnt(0)
	s_add_i32 s58, s9, s6
	s_add_i32 s59, s11, s6
	s_mul_i32 s58, s58, s8
	s_mul_i32 s59, s59, s10
	s_cmp_le_u32 s59, s58
	s_cbranch_scc1 .LBB632_1262
; %bb.1:
	s_clause 0x3
	s_load_dword s8, s[4:5], 0x30
	s_load_dwordx4 s[52:55], s[4:5], 0x20
	s_load_dwordx4 s[40:43], s[4:5], 0x44
	s_load_dwordx8 s[44:51], s[4:5], 0x0
	s_waitcnt lgkmcnt(0)
	s_bitcmp1_b32 s8, 0
	s_mov_b32 s8, -1
	s_cselect_b32 s43, -1, 0
	s_sub_i32 s60, s59, s58
	s_cmpk_lt_u32 s60, 0x1101
	s_cbranch_scc0 .LBB632_15
; %bb.2:
	s_cmpk_lt_u32 s60, 0x81
	s_cbranch_scc0 .LBB632_9
; %bb.3:
	s_load_dword s8, s[4:5], 0x5c
	s_mov_b32 s19, exec_lo
	s_waitcnt lgkmcnt(0)
	s_lshr_b32 s9, s8, 16
	s_and_b32 s8, s8, 0xffff
	v_mad_u32_u24 v3, v2, s9, v1
	v_mad_u64_u32 v[3:4], null, v3, s8, v[0:1]
	v_cmpx_gt_u32_e32 32, v3
	s_cbranch_execz .LBB632_8
; %bb.4:
	v_cndmask_b32_e64 v3, 0, 1, s43
	s_and_b32 s8, s40, 1
	v_cmp_ne_u32_e32 vcc_lo, s8, v3
	s_mov_b32 s8, -1
	s_cbranch_vccnz .LBB632_6
; %bb.5:
	v_lshlrev_b32_e32 v3, 20, v2
	v_lshlrev_b32_e32 v4, 10, v1
	s_mov_b64 s[10:11], src_shared_base
	v_mov_b32_e32 v40, v0
	v_mov_b32_e32 v41, v1
	;; [unrolled: 1-line block ×3, first 2 shown]
	v_or3_b32 v31, v0, v4, v3
	v_mov_b32_e32 v0, s44
	v_mov_b32_e32 v42, v2
	;; [unrolled: 1-line block ×14, first 2 shown]
	s_add_u32 s8, s4, 0x50
	s_addc_u32 s9, s5, 0
	s_getpc_b64 s[14:15]
	s_add_u32 s14, s14, _ZN7rocprim17ROCPRIM_400000_NS6detail26segmented_warp_sort_helperINS1_20WarpSortHelperConfigILj32ELj4ELj256EEEilLi256ELb0EvE4sortIPKiPiPKlPlEEvT_T0_T1_T2_jjjjRNS5_12storage_typeE@rel32@lo+4
	s_addc_u32 s15, s15, _ZN7rocprim17ROCPRIM_400000_NS6detail26segmented_warp_sort_helperINS1_20WarpSortHelperConfigILj32ELj4ELj256EEEilLi256ELb0EvE4sortIPKiPiPKlPlEEvT_T0_T1_T2_jjjjRNS5_12storage_typeE@rel32@hi+12
	s_mov_b32 s12, s6
	s_mov_b32 s13, s7
	s_mov_b64 s[20:21], s[4:5]
	s_mov_b32 s22, s7
	s_mov_b32 s23, s6
	s_swappc_b64 s[30:31], s[14:15]
	v_mov_b32_e32 v1, v41
	v_mov_b32_e32 v2, v42
	;; [unrolled: 1-line block ×3, first 2 shown]
	s_mov_b32 s6, s23
	s_mov_b32 s7, s22
	s_mov_b64 s[4:5], s[20:21]
	s_mov_b32 s8, 0
.LBB632_6:
	s_andn2_b32 vcc_lo, exec_lo, s8
	s_cbranch_vccnz .LBB632_8
; %bb.7:
	v_lshlrev_b32_e32 v3, 20, v2
	v_lshlrev_b32_e32 v4, 10, v1
	s_mov_b64 s[10:11], src_shared_base
	v_mov_b32_e32 v40, v0
	v_mov_b32_e32 v41, v1
	;; [unrolled: 1-line block ×3, first 2 shown]
	v_or3_b32 v31, v0, v4, v3
	v_mov_b32_e32 v0, s44
	v_mov_b32_e32 v42, v2
	;; [unrolled: 1-line block ×14, first 2 shown]
	s_add_u32 s8, s4, 0x50
	s_addc_u32 s9, s5, 0
	s_getpc_b64 s[14:15]
	s_add_u32 s14, s14, _ZN7rocprim17ROCPRIM_400000_NS6detail26segmented_warp_sort_helperINS1_20WarpSortHelperConfigILj32ELj4ELj256EEEilLi256ELb0EvE4sortIPKiPiPKlPlEEvT_T0_T1_T2_jjjjRNS5_12storage_typeE@rel32@lo+4
	s_addc_u32 s15, s15, _ZN7rocprim17ROCPRIM_400000_NS6detail26segmented_warp_sort_helperINS1_20WarpSortHelperConfigILj32ELj4ELj256EEEilLi256ELb0EvE4sortIPKiPiPKlPlEEvT_T0_T1_T2_jjjjRNS5_12storage_typeE@rel32@hi+12
	s_mov_b32 s12, s6
	s_mov_b32 s13, s7
	s_mov_b64 s[20:21], s[4:5]
	s_mov_b32 s23, s7
	s_mov_b32 s22, s6
	s_swappc_b64 s[30:31], s[14:15]
	v_mov_b32_e32 v1, v41
	v_mov_b32_e32 v2, v42
	;; [unrolled: 1-line block ×3, first 2 shown]
	s_mov_b32 s6, s22
	s_mov_b32 s7, s23
	s_mov_b64 s[4:5], s[20:21]
.LBB632_8:
	s_or_b32 exec_lo, exec_lo, s19
	s_mov_b32 s8, 0
.LBB632_9:
	s_andn2_b32 vcc_lo, exec_lo, s8
	s_cbranch_vccnz .LBB632_14
; %bb.10:
	v_cndmask_b32_e64 v3, 0, 1, s43
	s_and_b32 s8, s40, 1
	v_lshlrev_b32_e32 v41, 20, v2
	v_lshlrev_b32_e32 v42, 10, v1
	v_cmp_ne_u32_e32 vcc_lo, s8, v3
	s_mov_b32 s8, -1
	s_cbranch_vccnz .LBB632_12
; %bb.11:
	s_mov_b64 s[10:11], src_shared_base
	v_or3_b32 v31, v0, v42, v41
	v_mov_b32_e32 v40, v0
	v_mov_b32_e32 v0, s44
	;; [unrolled: 1-line block ×17, first 2 shown]
	s_add_u32 s8, s4, 0x50
	s_addc_u32 s9, s5, 0
	s_getpc_b64 s[14:15]
	s_add_u32 s14, s14, _ZN7rocprim17ROCPRIM_400000_NS6detail40segmented_radix_sort_single_block_helperIilLj256ELj17ELb0EE4sortIPKiPiPKlPlEEbT_T0_T1_T2_jjjjRNS3_12storage_typeE@rel32@lo+4
	s_addc_u32 s15, s15, _ZN7rocprim17ROCPRIM_400000_NS6detail40segmented_radix_sort_single_block_helperIilLj256ELj17ELb0EE4sortIPKiPiPKlPlEEbT_T0_T1_T2_jjjjRNS3_12storage_typeE@rel32@hi+12
	s_mov_b32 s12, s6
	s_mov_b32 s13, s7
	s_mov_b64 s[28:29], s[4:5]
	s_mov_b32 s33, s7
	s_mov_b32 s34, s6
	s_swappc_b64 s[30:31], s[14:15]
	v_mov_b32_e32 v1, v43
	v_mov_b32_e32 v2, v44
	;; [unrolled: 1-line block ×3, first 2 shown]
	s_mov_b32 s6, s34
	s_mov_b32 s7, s33
	s_mov_b64 s[4:5], s[28:29]
	s_mov_b32 s8, 0
.LBB632_12:
	s_andn2_b32 vcc_lo, exec_lo, s8
	s_cbranch_vccnz .LBB632_14
; %bb.13:
	s_mov_b64 s[10:11], src_shared_base
	v_or3_b32 v31, v0, v42, v41
	v_mov_b32_e32 v40, v0
	v_mov_b32_e32 v0, s44
	;; [unrolled: 1-line block ×17, first 2 shown]
	s_add_u32 s8, s4, 0x50
	s_addc_u32 s9, s5, 0
	s_getpc_b64 s[14:15]
	s_add_u32 s14, s14, _ZN7rocprim17ROCPRIM_400000_NS6detail40segmented_radix_sort_single_block_helperIilLj256ELj17ELb0EE4sortIPKiPiPKlPlEEbT_T0_T1_T2_jjjjRNS3_12storage_typeE@rel32@lo+4
	s_addc_u32 s15, s15, _ZN7rocprim17ROCPRIM_400000_NS6detail40segmented_radix_sort_single_block_helperIilLj256ELj17ELb0EE4sortIPKiPiPKlPlEEbT_T0_T1_T2_jjjjRNS3_12storage_typeE@rel32@hi+12
	s_mov_b32 s12, s6
	s_mov_b32 s13, s7
	s_mov_b64 s[28:29], s[4:5]
	s_mov_b32 s34, s7
	s_mov_b32 s33, s6
	s_swappc_b64 s[30:31], s[14:15]
	v_mov_b32_e32 v1, v41
	v_mov_b32_e32 v2, v42
	;; [unrolled: 1-line block ×3, first 2 shown]
	s_mov_b32 s6, s33
	s_mov_b32 s7, s34
	s_mov_b64 s[4:5], s[28:29]
.LBB632_14:
	s_mov_b32 s8, 0
.LBB632_15:
	s_andn2_b32 vcc_lo, exec_lo, s8
	s_cbranch_vccnz .LBB632_1262
; %bb.16:
	s_cmp_ge_u32 s41, s42
	s_cbranch_scc1 .LBB632_1262
; %bb.17:
	v_and_b32_e32 v5, 0xe0, v0
	v_lshlrev_b32_e32 v43, 2, v0
	v_and_b32_e32 v3, 3, v0
	v_lshrrev_b32_e32 v7, 3, v0
	s_add_u32 s56, s4, 0x50
	v_min_u32_e32 v6, 0x60, v5
	v_mad_u32_u24 v64, v0, 12, v43
	v_lshlrev_b32_e32 v63, 2, v3
	v_mul_u32_u24_e32 v3, 17, v5
	v_or_b32_e32 v5, 31, v5
	v_or_b32_e32 v6, 31, v6
	v_add_nc_u32_e32 v68, v64, v43
	v_and_b32_e32 v62, 28, v7
	v_add_nc_u32_e32 v7, 1, v0
	v_cmp_eq_u32_e64 s4, v0, v5
	v_cmp_eq_u32_e64 s9, v0, v6
	v_lshlrev_b32_e32 v6, 4, v0
	v_lshlrev_b32_e32 v5, 3, v3
	v_mul_u32_u24_e32 v70, 36, v7
	v_cmp_ne_u32_e64 s14, 0x80, v7
	v_mbcnt_lo_u32_b32 v82, -1, 0
	v_sub_nc_u32_e32 v69, v68, v6
	v_lshlrev_b32_e32 v6, 2, v3
	v_add_co_u32 v7, s15, s54, v5
	v_add_co_ci_u32_e64 v8, null, s55, 0, s15
	v_add_co_u32 v9, s15, s48, v6
	v_add_co_ci_u32_e64 v10, null, s49, 0, s15
	;; [unrolled: 2-line block ×3, first 2 shown]
	v_add_co_u32 v74, s15, s52, v5
	v_lshlrev_b32_e32 v106, 3, v82
	v_add_co_ci_u32_e64 v75, null, s53, 0, s15
	v_add_co_u32 v76, s15, s46, v6
	v_lshlrev_b32_e32 v125, 2, v82
	v_add_co_ci_u32_e64 v77, null, s47, 0, s15
	v_add_co_u32 v78, s15, s44, v43
	v_or_b32_e32 v47, 0x200, v0
	v_or_b32_e32 v48, 0x300, v0
	;; [unrolled: 1-line block ×16, first 2 shown]
	v_add_co_ci_u32_e64 v79, null, s45, 0, s15
	v_add_co_u32 v80, s15, s50, v5
	v_add_co_u32 v110, vcc_lo, v7, v106
	v_add_co_u32 v45, s8, s48, v43
	v_add_co_ci_u32_e64 v81, null, s51, 0, s15
	v_add_co_u32 v83, s15, s44, v6
	v_add_co_ci_u32_e64 v111, null, 0, v8, vcc_lo
	v_add_co_u32 v129, vcc_lo, v9, v125
	v_mov_b32_e32 v4, 0
	v_or_b32_e32 v44, 0x100, v0
	v_add_co_ci_u32_e64 v46, null, s49, 0, s8
	v_cmp_gt_u32_e64 s8, 0x80, v0
	v_or_b32_e32 v65, 0x8a00, v62
	v_cmp_gt_u32_e64 s10, 4, v0
	v_add_nc_u32_e32 v66, 0x8a00, v43
	v_cmp_lt_u32_e64 s11, 31, v0
	v_add_nc_u32_e32 v67, 0x89fc, v62
	v_cmp_gt_u32_e64 s12, 8, v0
	v_cmp_eq_u32_e64 s13, 0, v0
	v_lshl_add_u32 v71, v0, 5, v69
	v_add_co_ci_u32_e64 v84, null, s45, 0, s15
	v_mov_b32_e32 v85, 1
	v_and_b32_e32 v86, 15, v82
	v_bfe_i32 v87, v82, 4, 1
	v_and_b32_e32 v88, 16, v82
	v_and_b32_e32 v89, 3, v82
	v_sub_co_u32 v90, s15, v82, 1
	v_lshlrev_b32_e32 v91, 2, v0
	v_lshlrev_b32_e32 v92, 2, v47
	;; [unrolled: 1-line block ×16, first 2 shown]
	v_and_b32_e32 v108, 7, v82
	v_add_nc_u32_e32 v112, 32, v109
	v_add_nc_u32_e32 v113, 64, v109
	;; [unrolled: 1-line block ×16, first 2 shown]
	v_add_co_ci_u32_e64 v130, null, 0, v10, vcc_lo
	s_addc_u32 s57, s5, 0
	s_mov_b32 s51, 0
	s_mov_b32 s61, s41
	s_branch .LBB632_20
.LBB632_18:                             ;   in Loop: Header=BB632_20 Depth=1
	s_waitcnt lgkmcnt(0)
	s_barrier
.LBB632_19:                             ;   in Loop: Header=BB632_20 Depth=1
	s_add_i32 s61, s61, 7
	buffer_gl0_inv
	s_cmp_ge_u32 s61, s42
	s_cbranch_scc1 .LBB632_1262
.LBB632_20:                             ; =>This Loop Header: Depth=1
                                        ;     Child Loop BB632_24 Depth 2
                                        ;     Child Loop BB632_108 Depth 2
	;; [unrolled: 1-line block ×8, first 2 shown]
	s_sub_i32 s5, s42, s61
	s_xor_b32 s43, s43, -1
	s_min_u32 s5, s5, 7
	ds_write2st64_b32 v43, v4, v4 offset1:4
	s_lshl_b32 s5, -1, s5
	s_waitcnt lgkmcnt(0)
	s_waitcnt_vscnt null, 0x0
	s_not_b32 s62, s5
	s_cmp_lg_u32 s61, s41
	s_mov_b32 s5, -1
	s_cbranch_scc0 .LBB632_642
; %bb.21:                               ;   in Loop: Header=BB632_20 Depth=1
	s_and_b32 vcc_lo, exec_lo, s43
	s_cbranch_vccz .LBB632_331
; %bb.22:                               ;   in Loop: Header=BB632_20 Depth=1
	s_mov_b32 s5, s60
	s_mov_b32 s50, s58
	s_barrier
	buffer_gl0_inv
                                        ; implicit-def: $vgpr3
                                        ; implicit-def: $vgpr5
                                        ; implicit-def: $vgpr6
                                        ; implicit-def: $vgpr7
                                        ; implicit-def: $vgpr8
                                        ; implicit-def: $vgpr9
                                        ; implicit-def: $vgpr10
                                        ; implicit-def: $vgpr11
                                        ; implicit-def: $vgpr12
                                        ; implicit-def: $vgpr13
                                        ; implicit-def: $vgpr14
                                        ; implicit-def: $vgpr15
                                        ; implicit-def: $vgpr16
                                        ; implicit-def: $vgpr17
                                        ; implicit-def: $vgpr18
                                        ; implicit-def: $vgpr19
                                        ; implicit-def: $vgpr20
	s_branch .LBB632_24
.LBB632_23:                             ;   in Loop: Header=BB632_24 Depth=2
	s_or_b32 exec_lo, exec_lo, s16
	s_addk_i32 s5, 0xef00
	s_cmp_ge_u32 s18, s59
	s_mov_b32 s50, s18
	s_cbranch_scc1 .LBB632_96
.LBB632_24:                             ;   Parent Loop BB632_20 Depth=1
                                        ; =>  This Inner Loop Header: Depth=2
	s_add_i32 s18, s50, 0x1100
	s_mov_b32 s16, -1
	s_cmp_gt_u32 s18, s59
                                        ; implicit-def: $vgpr21
                                        ; implicit-def: $vgpr22
                                        ; implicit-def: $vgpr25
                                        ; implicit-def: $vgpr23
                                        ; implicit-def: $vgpr27
                                        ; implicit-def: $vgpr24
                                        ; implicit-def: $vgpr29
                                        ; implicit-def: $vgpr26
                                        ; implicit-def: $vgpr31
                                        ; implicit-def: $vgpr28
                                        ; implicit-def: $vgpr33
                                        ; implicit-def: $vgpr30
                                        ; implicit-def: $vgpr34
                                        ; implicit-def: $vgpr32
                                        ; implicit-def: $vgpr35
                                        ; implicit-def: $vgpr36
                                        ; implicit-def: $vgpr37
	s_cbranch_scc1 .LBB632_26
; %bb.25:                               ;   in Loop: Header=BB632_24 Depth=2
	s_lshl_b64 s[16:17], s[50:51], 2
	v_add_co_u32 v33, vcc_lo, v45, s16
	v_add_co_ci_u32_e64 v34, null, s17, v46, vcc_lo
	s_mov_b32 s16, 0
	v_add_co_u32 v23, vcc_lo, 0x800, v33
	v_add_co_ci_u32_e64 v24, null, 0, v34, vcc_lo
	v_add_co_u32 v35, vcc_lo, v33, 0x1000
	v_add_co_ci_u32_e64 v36, null, 0, v34, vcc_lo
	;; [unrolled: 2-line block ×9, first 2 shown]
	s_clause 0x7
	global_load_dword v21, v[33:34], off
	global_load_dword v22, v[33:34], off offset:1024
	global_load_dword v23, v[23:24], off offset:1024
	;; [unrolled: 1-line block ×7, first 2 shown]
	v_add_co_u32 v41, vcc_lo, 0x3800, v33
	v_add_co_ci_u32_e64 v42, null, 0, v34, vcc_lo
	v_add_co_u32 v131, vcc_lo, v33, 0x4000
	v_add_co_ci_u32_e64 v132, null, 0, v34, vcc_lo
	s_clause 0x8
	global_load_dword v25, v[35:36], off offset:-2048
	global_load_dword v27, v[35:36], off
	global_load_dword v29, v[37:38], off offset:-2048
	global_load_dword v31, v[37:38], off
	;; [unrolled: 2-line block ×3, first 2 shown]
	global_load_dword v35, v[131:132], off offset:-2048
	global_load_dword v36, v[41:42], off offset:1024
	global_load_dword v37, v[131:132], off
.LBB632_26:                             ;   in Loop: Header=BB632_24 Depth=2
	s_andn2_b32 vcc_lo, exec_lo, s16
	s_movk_i32 s16, 0x1100
	s_cbranch_vccnz .LBB632_46
; %bb.27:                               ;   in Loop: Header=BB632_24 Depth=2
	s_lshl_b64 s[16:17], s[50:51], 2
	s_mov_b32 s19, exec_lo
	s_add_u32 s16, s48, s16
	s_addc_u32 s17, s49, s17
	v_cmpx_gt_u32_e64 s5, v0
	s_cbranch_execnz .LBB632_80
; %bb.28:                               ;   in Loop: Header=BB632_24 Depth=2
	s_or_b32 exec_lo, exec_lo, s19
	s_mov_b32 s19, exec_lo
	v_cmpx_gt_u32_e64 s5, v44
	s_cbranch_execnz .LBB632_81
.LBB632_29:                             ;   in Loop: Header=BB632_24 Depth=2
	s_or_b32 exec_lo, exec_lo, s19
	s_mov_b32 s19, exec_lo
	v_cmpx_gt_u32_e64 s5, v47
	s_cbranch_execnz .LBB632_82
.LBB632_30:                             ;   in Loop: Header=BB632_24 Depth=2
	s_or_b32 exec_lo, exec_lo, s19
	s_mov_b32 s19, exec_lo
	v_cmpx_gt_u32_e64 s5, v48
	s_cbranch_execnz .LBB632_83
.LBB632_31:                             ;   in Loop: Header=BB632_24 Depth=2
	s_or_b32 exec_lo, exec_lo, s19
	s_mov_b32 s19, exec_lo
	v_cmpx_gt_u32_e64 s5, v49
	s_cbranch_execnz .LBB632_84
.LBB632_32:                             ;   in Loop: Header=BB632_24 Depth=2
	s_or_b32 exec_lo, exec_lo, s19
	s_mov_b32 s19, exec_lo
	v_cmpx_gt_u32_e64 s5, v50
	s_cbranch_execnz .LBB632_85
.LBB632_33:                             ;   in Loop: Header=BB632_24 Depth=2
	s_or_b32 exec_lo, exec_lo, s19
	s_mov_b32 s19, exec_lo
	v_cmpx_gt_u32_e64 s5, v51
	s_cbranch_execnz .LBB632_86
.LBB632_34:                             ;   in Loop: Header=BB632_24 Depth=2
	s_or_b32 exec_lo, exec_lo, s19
	s_mov_b32 s19, exec_lo
	v_cmpx_gt_u32_e64 s5, v52
	s_cbranch_execnz .LBB632_87
.LBB632_35:                             ;   in Loop: Header=BB632_24 Depth=2
	s_or_b32 exec_lo, exec_lo, s19
	s_mov_b32 s19, exec_lo
	v_cmpx_gt_u32_e64 s5, v53
	s_cbranch_execnz .LBB632_88
.LBB632_36:                             ;   in Loop: Header=BB632_24 Depth=2
	s_or_b32 exec_lo, exec_lo, s19
	s_mov_b32 s19, exec_lo
	v_cmpx_gt_u32_e64 s5, v54
	s_cbranch_execnz .LBB632_89
.LBB632_37:                             ;   in Loop: Header=BB632_24 Depth=2
	s_or_b32 exec_lo, exec_lo, s19
	s_mov_b32 s19, exec_lo
	v_cmpx_gt_u32_e64 s5, v55
	s_cbranch_execnz .LBB632_90
.LBB632_38:                             ;   in Loop: Header=BB632_24 Depth=2
	s_or_b32 exec_lo, exec_lo, s19
	s_mov_b32 s19, exec_lo
	v_cmpx_gt_u32_e64 s5, v56
	s_cbranch_execnz .LBB632_91
.LBB632_39:                             ;   in Loop: Header=BB632_24 Depth=2
	s_or_b32 exec_lo, exec_lo, s19
	s_mov_b32 s19, exec_lo
	v_cmpx_gt_u32_e64 s5, v57
	s_cbranch_execnz .LBB632_92
.LBB632_40:                             ;   in Loop: Header=BB632_24 Depth=2
	s_or_b32 exec_lo, exec_lo, s19
	s_mov_b32 s19, exec_lo
	v_cmpx_gt_u32_e64 s5, v58
	s_cbranch_execnz .LBB632_93
.LBB632_41:                             ;   in Loop: Header=BB632_24 Depth=2
	s_or_b32 exec_lo, exec_lo, s19
	s_mov_b32 s19, exec_lo
	v_cmpx_gt_u32_e64 s5, v59
	s_cbranch_execnz .LBB632_94
.LBB632_42:                             ;   in Loop: Header=BB632_24 Depth=2
	s_or_b32 exec_lo, exec_lo, s19
	s_mov_b32 s19, exec_lo
	v_cmpx_gt_u32_e64 s5, v60
	s_cbranch_execnz .LBB632_95
.LBB632_43:                             ;   in Loop: Header=BB632_24 Depth=2
	s_or_b32 exec_lo, exec_lo, s19
	s_mov_b32 s19, exec_lo
	v_cmpx_gt_u32_e64 s5, v61
	s_cbranch_execz .LBB632_45
.LBB632_44:                             ;   in Loop: Header=BB632_24 Depth=2
	global_load_dword v3, v107, s[16:17]
.LBB632_45:                             ;   in Loop: Header=BB632_24 Depth=2
	s_or_b32 exec_lo, exec_lo, s19
	s_waitcnt vmcnt(0)
	v_mov_b32_e32 v21, v20
	v_mov_b32_e32 v22, v19
	;; [unrolled: 1-line block ×17, first 2 shown]
	s_mov_b32 s16, s5
.LBB632_46:                             ;   in Loop: Header=BB632_24 Depth=2
	s_waitcnt vmcnt(0)
	v_mov_b32_e32 v3, v37
	v_mov_b32_e32 v5, v36
	;; [unrolled: 1-line block ×17, first 2 shown]
	s_mov_b32 s17, exec_lo
	v_cmpx_gt_u32_e64 s16, v0
	s_cbranch_execnz .LBB632_63
; %bb.47:                               ;   in Loop: Header=BB632_24 Depth=2
	s_or_b32 exec_lo, exec_lo, s17
	s_mov_b32 s17, exec_lo
	v_cmpx_gt_u32_e64 s16, v44
	s_cbranch_execnz .LBB632_64
.LBB632_48:                             ;   in Loop: Header=BB632_24 Depth=2
	s_or_b32 exec_lo, exec_lo, s17
	s_mov_b32 s17, exec_lo
	v_cmpx_gt_u32_e64 s16, v47
	s_cbranch_execnz .LBB632_65
.LBB632_49:                             ;   in Loop: Header=BB632_24 Depth=2
	s_or_b32 exec_lo, exec_lo, s17
	s_mov_b32 s17, exec_lo
	v_cmpx_gt_u32_e64 s16, v48
	s_cbranch_execnz .LBB632_66
.LBB632_50:                             ;   in Loop: Header=BB632_24 Depth=2
	s_or_b32 exec_lo, exec_lo, s17
	s_mov_b32 s17, exec_lo
	v_cmpx_gt_u32_e64 s16, v49
	s_cbranch_execnz .LBB632_67
.LBB632_51:                             ;   in Loop: Header=BB632_24 Depth=2
	s_or_b32 exec_lo, exec_lo, s17
	s_mov_b32 s17, exec_lo
	v_cmpx_gt_u32_e64 s16, v50
	s_cbranch_execnz .LBB632_68
.LBB632_52:                             ;   in Loop: Header=BB632_24 Depth=2
	s_or_b32 exec_lo, exec_lo, s17
	s_mov_b32 s17, exec_lo
	v_cmpx_gt_u32_e64 s16, v51
	s_cbranch_execnz .LBB632_69
.LBB632_53:                             ;   in Loop: Header=BB632_24 Depth=2
	s_or_b32 exec_lo, exec_lo, s17
	s_mov_b32 s17, exec_lo
	v_cmpx_gt_u32_e64 s16, v52
	s_cbranch_execnz .LBB632_70
.LBB632_54:                             ;   in Loop: Header=BB632_24 Depth=2
	s_or_b32 exec_lo, exec_lo, s17
	s_mov_b32 s17, exec_lo
	v_cmpx_gt_u32_e64 s16, v53
	s_cbranch_execnz .LBB632_71
.LBB632_55:                             ;   in Loop: Header=BB632_24 Depth=2
	s_or_b32 exec_lo, exec_lo, s17
	s_mov_b32 s17, exec_lo
	v_cmpx_gt_u32_e64 s16, v54
	s_cbranch_execnz .LBB632_72
.LBB632_56:                             ;   in Loop: Header=BB632_24 Depth=2
	s_or_b32 exec_lo, exec_lo, s17
	s_mov_b32 s17, exec_lo
	v_cmpx_gt_u32_e64 s16, v55
	s_cbranch_execnz .LBB632_73
.LBB632_57:                             ;   in Loop: Header=BB632_24 Depth=2
	s_or_b32 exec_lo, exec_lo, s17
	s_mov_b32 s17, exec_lo
	v_cmpx_gt_u32_e64 s16, v56
	s_cbranch_execnz .LBB632_74
.LBB632_58:                             ;   in Loop: Header=BB632_24 Depth=2
	s_or_b32 exec_lo, exec_lo, s17
	s_mov_b32 s17, exec_lo
	v_cmpx_gt_u32_e64 s16, v57
	s_cbranch_execnz .LBB632_75
.LBB632_59:                             ;   in Loop: Header=BB632_24 Depth=2
	s_or_b32 exec_lo, exec_lo, s17
	s_mov_b32 s17, exec_lo
	v_cmpx_gt_u32_e64 s16, v58
	s_cbranch_execnz .LBB632_76
.LBB632_60:                             ;   in Loop: Header=BB632_24 Depth=2
	s_or_b32 exec_lo, exec_lo, s17
	s_mov_b32 s17, exec_lo
	v_cmpx_gt_u32_e64 s16, v59
	s_cbranch_execnz .LBB632_77
.LBB632_61:                             ;   in Loop: Header=BB632_24 Depth=2
	s_or_b32 exec_lo, exec_lo, s17
	s_mov_b32 s17, exec_lo
	v_cmpx_gt_u32_e64 s16, v60
	s_cbranch_execnz .LBB632_78
.LBB632_62:                             ;   in Loop: Header=BB632_24 Depth=2
	s_or_b32 exec_lo, exec_lo, s17
	v_cmp_gt_u32_e32 vcc_lo, s16, v61
	s_and_saveexec_b32 s16, vcc_lo
	s_cbranch_execz .LBB632_23
	s_branch .LBB632_79
.LBB632_63:                             ;   in Loop: Header=BB632_24 Depth=2
	v_xor_b32_e32 v21, 0x80000000, v20
	v_lshrrev_b32_e32 v21, s61, v21
	v_and_b32_e32 v21, s62, v21
	v_lshl_or_b32 v21, v21, 4, v63
	ds_add_u32 v21, v85
	s_or_b32 exec_lo, exec_lo, s17
	s_mov_b32 s17, exec_lo
	v_cmpx_gt_u32_e64 s16, v44
	s_cbranch_execz .LBB632_48
.LBB632_64:                             ;   in Loop: Header=BB632_24 Depth=2
	v_xor_b32_e32 v21, 0x80000000, v19
	v_lshrrev_b32_e32 v21, s61, v21
	v_and_b32_e32 v21, s62, v21
	v_lshl_or_b32 v21, v21, 4, v63
	ds_add_u32 v21, v85
	s_or_b32 exec_lo, exec_lo, s17
	s_mov_b32 s17, exec_lo
	v_cmpx_gt_u32_e64 s16, v47
	s_cbranch_execz .LBB632_49
.LBB632_65:                             ;   in Loop: Header=BB632_24 Depth=2
	v_xor_b32_e32 v21, 0x80000000, v18
	v_lshrrev_b32_e32 v21, s61, v21
	v_and_b32_e32 v21, s62, v21
	v_lshl_or_b32 v21, v21, 4, v63
	ds_add_u32 v21, v85
	s_or_b32 exec_lo, exec_lo, s17
	s_mov_b32 s17, exec_lo
	v_cmpx_gt_u32_e64 s16, v48
	s_cbranch_execz .LBB632_50
.LBB632_66:                             ;   in Loop: Header=BB632_24 Depth=2
	v_xor_b32_e32 v21, 0x80000000, v17
	v_lshrrev_b32_e32 v21, s61, v21
	v_and_b32_e32 v21, s62, v21
	v_lshl_or_b32 v21, v21, 4, v63
	ds_add_u32 v21, v85
	s_or_b32 exec_lo, exec_lo, s17
	s_mov_b32 s17, exec_lo
	v_cmpx_gt_u32_e64 s16, v49
	s_cbranch_execz .LBB632_51
.LBB632_67:                             ;   in Loop: Header=BB632_24 Depth=2
	v_xor_b32_e32 v21, 0x80000000, v16
	v_lshrrev_b32_e32 v21, s61, v21
	v_and_b32_e32 v21, s62, v21
	v_lshl_or_b32 v21, v21, 4, v63
	ds_add_u32 v21, v85
	s_or_b32 exec_lo, exec_lo, s17
	s_mov_b32 s17, exec_lo
	v_cmpx_gt_u32_e64 s16, v50
	s_cbranch_execz .LBB632_52
.LBB632_68:                             ;   in Loop: Header=BB632_24 Depth=2
	v_xor_b32_e32 v21, 0x80000000, v15
	v_lshrrev_b32_e32 v21, s61, v21
	v_and_b32_e32 v21, s62, v21
	v_lshl_or_b32 v21, v21, 4, v63
	ds_add_u32 v21, v85
	s_or_b32 exec_lo, exec_lo, s17
	s_mov_b32 s17, exec_lo
	v_cmpx_gt_u32_e64 s16, v51
	s_cbranch_execz .LBB632_53
.LBB632_69:                             ;   in Loop: Header=BB632_24 Depth=2
	v_xor_b32_e32 v21, 0x80000000, v14
	v_lshrrev_b32_e32 v21, s61, v21
	v_and_b32_e32 v21, s62, v21
	v_lshl_or_b32 v21, v21, 4, v63
	ds_add_u32 v21, v85
	s_or_b32 exec_lo, exec_lo, s17
	s_mov_b32 s17, exec_lo
	v_cmpx_gt_u32_e64 s16, v52
	s_cbranch_execz .LBB632_54
.LBB632_70:                             ;   in Loop: Header=BB632_24 Depth=2
	v_xor_b32_e32 v21, 0x80000000, v13
	v_lshrrev_b32_e32 v21, s61, v21
	v_and_b32_e32 v21, s62, v21
	v_lshl_or_b32 v21, v21, 4, v63
	ds_add_u32 v21, v85
	s_or_b32 exec_lo, exec_lo, s17
	s_mov_b32 s17, exec_lo
	v_cmpx_gt_u32_e64 s16, v53
	s_cbranch_execz .LBB632_55
.LBB632_71:                             ;   in Loop: Header=BB632_24 Depth=2
	v_xor_b32_e32 v21, 0x80000000, v12
	v_lshrrev_b32_e32 v21, s61, v21
	v_and_b32_e32 v21, s62, v21
	v_lshl_or_b32 v21, v21, 4, v63
	ds_add_u32 v21, v85
	s_or_b32 exec_lo, exec_lo, s17
	s_mov_b32 s17, exec_lo
	v_cmpx_gt_u32_e64 s16, v54
	s_cbranch_execz .LBB632_56
.LBB632_72:                             ;   in Loop: Header=BB632_24 Depth=2
	v_xor_b32_e32 v21, 0x80000000, v11
	v_lshrrev_b32_e32 v21, s61, v21
	v_and_b32_e32 v21, s62, v21
	v_lshl_or_b32 v21, v21, 4, v63
	ds_add_u32 v21, v85
	s_or_b32 exec_lo, exec_lo, s17
	s_mov_b32 s17, exec_lo
	v_cmpx_gt_u32_e64 s16, v55
	s_cbranch_execz .LBB632_57
.LBB632_73:                             ;   in Loop: Header=BB632_24 Depth=2
	v_xor_b32_e32 v21, 0x80000000, v10
	v_lshrrev_b32_e32 v21, s61, v21
	v_and_b32_e32 v21, s62, v21
	v_lshl_or_b32 v21, v21, 4, v63
	ds_add_u32 v21, v85
	s_or_b32 exec_lo, exec_lo, s17
	s_mov_b32 s17, exec_lo
	v_cmpx_gt_u32_e64 s16, v56
	s_cbranch_execz .LBB632_58
.LBB632_74:                             ;   in Loop: Header=BB632_24 Depth=2
	v_xor_b32_e32 v21, 0x80000000, v9
	v_lshrrev_b32_e32 v21, s61, v21
	v_and_b32_e32 v21, s62, v21
	v_lshl_or_b32 v21, v21, 4, v63
	ds_add_u32 v21, v85
	s_or_b32 exec_lo, exec_lo, s17
	s_mov_b32 s17, exec_lo
	v_cmpx_gt_u32_e64 s16, v57
	s_cbranch_execz .LBB632_59
.LBB632_75:                             ;   in Loop: Header=BB632_24 Depth=2
	v_xor_b32_e32 v21, 0x80000000, v8
	v_lshrrev_b32_e32 v21, s61, v21
	v_and_b32_e32 v21, s62, v21
	v_lshl_or_b32 v21, v21, 4, v63
	ds_add_u32 v21, v85
	s_or_b32 exec_lo, exec_lo, s17
	s_mov_b32 s17, exec_lo
	v_cmpx_gt_u32_e64 s16, v58
	s_cbranch_execz .LBB632_60
.LBB632_76:                             ;   in Loop: Header=BB632_24 Depth=2
	v_xor_b32_e32 v21, 0x80000000, v7
	v_lshrrev_b32_e32 v21, s61, v21
	v_and_b32_e32 v21, s62, v21
	v_lshl_or_b32 v21, v21, 4, v63
	ds_add_u32 v21, v85
	s_or_b32 exec_lo, exec_lo, s17
	s_mov_b32 s17, exec_lo
	v_cmpx_gt_u32_e64 s16, v59
	s_cbranch_execz .LBB632_61
.LBB632_77:                             ;   in Loop: Header=BB632_24 Depth=2
	v_xor_b32_e32 v21, 0x80000000, v6
	v_lshrrev_b32_e32 v21, s61, v21
	v_and_b32_e32 v21, s62, v21
	v_lshl_or_b32 v21, v21, 4, v63
	ds_add_u32 v21, v85
	s_or_b32 exec_lo, exec_lo, s17
	s_mov_b32 s17, exec_lo
	v_cmpx_gt_u32_e64 s16, v60
	s_cbranch_execz .LBB632_62
.LBB632_78:                             ;   in Loop: Header=BB632_24 Depth=2
	v_xor_b32_e32 v21, 0x80000000, v5
	v_lshrrev_b32_e32 v21, s61, v21
	v_and_b32_e32 v21, s62, v21
	v_lshl_or_b32 v21, v21, 4, v63
	ds_add_u32 v21, v85
	s_or_b32 exec_lo, exec_lo, s17
	v_cmp_gt_u32_e32 vcc_lo, s16, v61
	s_and_saveexec_b32 s16, vcc_lo
	s_cbranch_execz .LBB632_23
.LBB632_79:                             ;   in Loop: Header=BB632_24 Depth=2
	v_xor_b32_e32 v21, 0x80000000, v3
	v_lshrrev_b32_e32 v21, s61, v21
	v_and_b32_e32 v21, s62, v21
	v_lshl_or_b32 v21, v21, 4, v63
	ds_add_u32 v21, v85
	s_branch .LBB632_23
.LBB632_80:                             ;   in Loop: Header=BB632_24 Depth=2
	global_load_dword v20, v91, s[16:17]
	s_or_b32 exec_lo, exec_lo, s19
	s_mov_b32 s19, exec_lo
	v_cmpx_gt_u32_e64 s5, v44
	s_cbranch_execz .LBB632_29
.LBB632_81:                             ;   in Loop: Header=BB632_24 Depth=2
	global_load_dword v19, v91, s[16:17] offset:1024
	s_or_b32 exec_lo, exec_lo, s19
	s_mov_b32 s19, exec_lo
	v_cmpx_gt_u32_e64 s5, v47
	s_cbranch_execz .LBB632_30
.LBB632_82:                             ;   in Loop: Header=BB632_24 Depth=2
	global_load_dword v18, v92, s[16:17]
	s_or_b32 exec_lo, exec_lo, s19
	s_mov_b32 s19, exec_lo
	v_cmpx_gt_u32_e64 s5, v48
	s_cbranch_execz .LBB632_31
.LBB632_83:                             ;   in Loop: Header=BB632_24 Depth=2
	global_load_dword v17, v93, s[16:17]
	s_or_b32 exec_lo, exec_lo, s19
	s_mov_b32 s19, exec_lo
	v_cmpx_gt_u32_e64 s5, v49
	s_cbranch_execz .LBB632_32
.LBB632_84:                             ;   in Loop: Header=BB632_24 Depth=2
	global_load_dword v16, v94, s[16:17]
	s_or_b32 exec_lo, exec_lo, s19
	s_mov_b32 s19, exec_lo
	v_cmpx_gt_u32_e64 s5, v50
	s_cbranch_execz .LBB632_33
.LBB632_85:                             ;   in Loop: Header=BB632_24 Depth=2
	global_load_dword v15, v95, s[16:17]
	s_or_b32 exec_lo, exec_lo, s19
	s_mov_b32 s19, exec_lo
	v_cmpx_gt_u32_e64 s5, v51
	s_cbranch_execz .LBB632_34
.LBB632_86:                             ;   in Loop: Header=BB632_24 Depth=2
	global_load_dword v14, v96, s[16:17]
	s_or_b32 exec_lo, exec_lo, s19
	s_mov_b32 s19, exec_lo
	v_cmpx_gt_u32_e64 s5, v52
	s_cbranch_execz .LBB632_35
.LBB632_87:                             ;   in Loop: Header=BB632_24 Depth=2
	global_load_dword v13, v97, s[16:17]
	s_or_b32 exec_lo, exec_lo, s19
	s_mov_b32 s19, exec_lo
	v_cmpx_gt_u32_e64 s5, v53
	s_cbranch_execz .LBB632_36
.LBB632_88:                             ;   in Loop: Header=BB632_24 Depth=2
	global_load_dword v12, v98, s[16:17]
	s_or_b32 exec_lo, exec_lo, s19
	s_mov_b32 s19, exec_lo
	v_cmpx_gt_u32_e64 s5, v54
	s_cbranch_execz .LBB632_37
.LBB632_89:                             ;   in Loop: Header=BB632_24 Depth=2
	global_load_dword v11, v99, s[16:17]
	s_or_b32 exec_lo, exec_lo, s19
	s_mov_b32 s19, exec_lo
	v_cmpx_gt_u32_e64 s5, v55
	s_cbranch_execz .LBB632_38
.LBB632_90:                             ;   in Loop: Header=BB632_24 Depth=2
	global_load_dword v10, v100, s[16:17]
	s_or_b32 exec_lo, exec_lo, s19
	s_mov_b32 s19, exec_lo
	v_cmpx_gt_u32_e64 s5, v56
	s_cbranch_execz .LBB632_39
.LBB632_91:                             ;   in Loop: Header=BB632_24 Depth=2
	global_load_dword v9, v101, s[16:17]
	s_or_b32 exec_lo, exec_lo, s19
	s_mov_b32 s19, exec_lo
	v_cmpx_gt_u32_e64 s5, v57
	s_cbranch_execz .LBB632_40
.LBB632_92:                             ;   in Loop: Header=BB632_24 Depth=2
	global_load_dword v8, v102, s[16:17]
	s_or_b32 exec_lo, exec_lo, s19
	s_mov_b32 s19, exec_lo
	v_cmpx_gt_u32_e64 s5, v58
	s_cbranch_execz .LBB632_41
.LBB632_93:                             ;   in Loop: Header=BB632_24 Depth=2
	global_load_dword v7, v103, s[16:17]
	s_or_b32 exec_lo, exec_lo, s19
	s_mov_b32 s19, exec_lo
	v_cmpx_gt_u32_e64 s5, v59
	s_cbranch_execz .LBB632_42
.LBB632_94:                             ;   in Loop: Header=BB632_24 Depth=2
	global_load_dword v6, v104, s[16:17]
	s_or_b32 exec_lo, exec_lo, s19
	s_mov_b32 s19, exec_lo
	v_cmpx_gt_u32_e64 s5, v60
	s_cbranch_execz .LBB632_43
.LBB632_95:                             ;   in Loop: Header=BB632_24 Depth=2
	global_load_dword v5, v105, s[16:17]
	s_or_b32 exec_lo, exec_lo, s19
	s_mov_b32 s19, exec_lo
	v_cmpx_gt_u32_e64 s5, v61
	s_cbranch_execnz .LBB632_44
	s_branch .LBB632_45
.LBB632_96:                             ;   in Loop: Header=BB632_20 Depth=1
	v_mov_b32_e32 v3, 0
	s_waitcnt lgkmcnt(0)
	s_barrier
	buffer_gl0_inv
	s_and_saveexec_b32 s5, s8
	s_cbranch_execz .LBB632_98
; %bb.97:                               ;   in Loop: Header=BB632_20 Depth=1
	ds_read2_b64 v[5:8], v64 offset1:1
	s_waitcnt lgkmcnt(0)
	v_add_nc_u32_e32 v3, v6, v5
	v_add3_u32 v3, v3, v7, v8
.LBB632_98:                             ;   in Loop: Header=BB632_20 Depth=1
	s_or_b32 exec_lo, exec_lo, s5
	v_mov_b32_dpp v5, v3 row_shr:1 row_mask:0xf bank_mask:0xf
	v_cmp_eq_u32_e64 s5, 0, v86
	v_cmp_lt_u32_e64 s16, 1, v86
	v_cmp_lt_u32_e64 s17, 3, v86
	;; [unrolled: 1-line block ×3, first 2 shown]
	v_cmp_eq_u32_e64 s19, 0, v88
	v_cndmask_b32_e64 v5, v5, 0, s5
	v_add_nc_u32_e32 v3, v5, v3
	v_mov_b32_dpp v5, v3 row_shr:2 row_mask:0xf bank_mask:0xf
	v_cndmask_b32_e64 v5, 0, v5, s16
	v_add_nc_u32_e32 v3, v3, v5
	v_mov_b32_dpp v5, v3 row_shr:4 row_mask:0xf bank_mask:0xf
	;; [unrolled: 3-line block ×3, first 2 shown]
	v_cndmask_b32_e64 v5, 0, v5, s18
	v_add_nc_u32_e32 v3, v3, v5
	ds_swizzle_b32 v5, v3 offset:swizzle(BROADCAST,32,15)
	s_waitcnt lgkmcnt(0)
	v_and_b32_e32 v5, v87, v5
	v_add_nc_u32_e32 v3, v3, v5
	s_and_saveexec_b32 s20, s9
; %bb.99:                               ;   in Loop: Header=BB632_20 Depth=1
	ds_write_b32 v65, v3
; %bb.100:                              ;   in Loop: Header=BB632_20 Depth=1
	s_or_b32 exec_lo, exec_lo, s20
	s_waitcnt lgkmcnt(0)
	s_barrier
	buffer_gl0_inv
	s_and_saveexec_b32 s20, s10
	s_cbranch_execz .LBB632_102
; %bb.101:                              ;   in Loop: Header=BB632_20 Depth=1
	ds_read_b32 v5, v66
	v_cmp_ne_u32_e32 vcc_lo, 0, v89
	s_waitcnt lgkmcnt(0)
	v_mov_b32_dpp v6, v5 row_shr:1 row_mask:0xf bank_mask:0xf
	v_cndmask_b32_e32 v6, 0, v6, vcc_lo
	v_cmp_lt_u32_e32 vcc_lo, 1, v89
	v_add_nc_u32_e32 v5, v6, v5
	v_mov_b32_dpp v6, v5 row_shr:2 row_mask:0xf bank_mask:0xf
	v_cndmask_b32_e32 v6, 0, v6, vcc_lo
	v_add_nc_u32_e32 v5, v5, v6
	ds_write_b32 v66, v5
.LBB632_102:                            ;   in Loop: Header=BB632_20 Depth=1
	s_or_b32 exec_lo, exec_lo, s20
	v_mov_b32_e32 v5, 0
	s_waitcnt lgkmcnt(0)
	s_barrier
	buffer_gl0_inv
	s_and_saveexec_b32 s20, s11
; %bb.103:                              ;   in Loop: Header=BB632_20 Depth=1
	ds_read_b32 v5, v67
; %bb.104:                              ;   in Loop: Header=BB632_20 Depth=1
	s_or_b32 exec_lo, exec_lo, s20
	v_cmp_gt_i32_e32 vcc_lo, 0, v90
	s_waitcnt lgkmcnt(0)
	v_add_nc_u32_e32 v3, v5, v3
	s_barrier
	buffer_gl0_inv
	v_cndmask_b32_e32 v6, v90, v82, vcc_lo
	v_lshlrev_b32_e32 v131, 2, v6
	ds_bpermute_b32 v3, v131, v3
	s_and_saveexec_b32 s20, s8
	s_cbranch_execz .LBB632_106
; %bb.105:                              ;   in Loop: Header=BB632_20 Depth=1
	s_waitcnt lgkmcnt(0)
	v_cndmask_b32_e64 v3, v3, v5, s15
	v_add_nc_u32_e32 v3, s58, v3
	ds_write_b32 v43, v3
.LBB632_106:                            ;   in Loop: Header=BB632_20 Depth=1
	s_or_b32 exec_lo, exec_lo, s20
	s_clause 0x1
	s_load_dword s20, s[56:57], 0x4
	s_load_dword s22, s[56:57], 0xc
	s_mov_b32 s63, s60
	s_mov_b32 s50, s58
                                        ; implicit-def: $vgpr7_vgpr8
                                        ; implicit-def: $vgpr9_vgpr10
                                        ; implicit-def: $vgpr11_vgpr12
                                        ; implicit-def: $vgpr13_vgpr14
                                        ; implicit-def: $vgpr15_vgpr16
                                        ; implicit-def: $vgpr19_vgpr20
                                        ; implicit-def: $vgpr23_vgpr24
                                        ; implicit-def: $vgpr27_vgpr28
                                        ; implicit-def: $vgpr17_vgpr18
                                        ; implicit-def: $vgpr21_vgpr22
                                        ; implicit-def: $vgpr25_vgpr26
                                        ; implicit-def: $vgpr29_vgpr30
                                        ; implicit-def: $vgpr31_vgpr32
                                        ; implicit-def: $vgpr33_vgpr34
                                        ; implicit-def: $vgpr35_vgpr36
                                        ; implicit-def: $vgpr37_vgpr38
                                        ; implicit-def: $vgpr133
                                        ; implicit-def: $vgpr134
                                        ; implicit-def: $vgpr135
                                        ; implicit-def: $vgpr136
                                        ; implicit-def: $vgpr137
                                        ; implicit-def: $vgpr138
                                        ; implicit-def: $vgpr139
                                        ; implicit-def: $vgpr140
                                        ; implicit-def: $vgpr141
                                        ; implicit-def: $vgpr142
                                        ; implicit-def: $vgpr143
                                        ; implicit-def: $vgpr144
                                        ; implicit-def: $vgpr145
                                        ; implicit-def: $vgpr146
                                        ; implicit-def: $vgpr147
                                        ; implicit-def: $vgpr149
                                        ; implicit-def: $vgpr150
                                        ; implicit-def: $vgpr148
                                        ; implicit-def: $vgpr151
	s_waitcnt lgkmcnt(0)
	s_cmp_lt_u32 s7, s20
	s_cselect_b32 s20, 14, 20
	s_add_u32 s20, s56, s20
	s_addc_u32 s21, s57, 0
	global_load_ushort v3, v4, s[20:21]
	s_and_b32 s20, s22, 0xffff
	v_cmp_lt_u32_e64 s21, 1, v108
	v_cmp_lt_u32_e64 s22, 3, v108
	s_waitcnt vmcnt(0)
	v_mad_u32_u24 v3, v2, v3, v1
	v_mad_u64_u32 v[5:6], null, v3, s20, v[0:1]
	v_cmp_eq_u32_e64 s20, 0, v108
	v_lshrrev_b32_e32 v3, 3, v5
                                        ; implicit-def: $vgpr5_vgpr6
	v_and_b32_e32 v132, 0x1ffffffc, v3
	s_branch .LBB632_108
.LBB632_107:                            ;   in Loop: Header=BB632_108 Depth=2
	s_or_b32 exec_lo, exec_lo, s23
	s_addk_i32 s63, 0xef00
	s_cmp_lt_u32 s64, s59
	s_mov_b32 s50, s64
	s_cbranch_scc0 .LBB632_330
.LBB632_108:                            ;   Parent Loop BB632_20 Depth=1
                                        ; =>  This Inner Loop Header: Depth=2
	s_add_i32 s64, s50, 0x1100
	s_cmp_gt_u32 s64, s59
	s_cbranch_scc1 .LBB632_110
; %bb.109:                              ;   in Loop: Header=BB632_108 Depth=2
	s_lshl_b64 s[24:25], s[50:51], 2
	s_mov_b32 s23, -1
	v_add_co_u32 v39, vcc_lo, v129, s24
	v_add_co_ci_u32_e64 v40, null, s25, v130, vcc_lo
	s_clause 0xf
	global_load_dword v153, v[39:40], off
	global_load_dword v154, v[39:40], off offset:128
	global_load_dword v157, v[39:40], off offset:256
	;; [unrolled: 1-line block ×15, first 2 shown]
	s_movk_i32 s24, 0x1100
	s_cbranch_execz .LBB632_111
	s_branch .LBB632_144
.LBB632_110:                            ;   in Loop: Header=BB632_108 Depth=2
	s_mov_b32 s23, 0
                                        ; implicit-def: $vgpr153
                                        ; implicit-def: $vgpr154
                                        ; implicit-def: $vgpr157
                                        ; implicit-def: $vgpr161
                                        ; implicit-def: $vgpr166
                                        ; implicit-def: $vgpr171
                                        ; implicit-def: $vgpr176
                                        ; implicit-def: $vgpr181
                                        ; implicit-def: $vgpr186
                                        ; implicit-def: $vgpr184
                                        ; implicit-def: $vgpr179
                                        ; implicit-def: $vgpr174
                                        ; implicit-def: $vgpr170
                                        ; implicit-def: $vgpr165
                                        ; implicit-def: $vgpr42
                                        ; implicit-def: $vgpr41
	s_movk_i32 s24, 0x1100
.LBB632_111:                            ;   in Loop: Header=BB632_108 Depth=2
	s_lshl_b64 s[24:25], s[50:51], 2
	s_waitcnt vmcnt(14)
	v_bfrev_b32_e32 v154, -2
	v_add_co_u32 v39, vcc_lo, v129, s24
	v_add_co_ci_u32_e64 v40, null, s25, v130, vcc_lo
	v_bfrev_b32_e32 v153, -2
	s_mov_b32 s23, exec_lo
	v_cmpx_gt_u32_e64 s63, v109
	s_cbranch_execz .LBB632_113
; %bb.112:                              ;   in Loop: Header=BB632_108 Depth=2
	global_load_dword v153, v[39:40], off
.LBB632_113:                            ;   in Loop: Header=BB632_108 Depth=2
	s_or_b32 exec_lo, exec_lo, s23
	s_mov_b32 s23, exec_lo
	v_cmpx_gt_u32_e64 s63, v112
	s_cbranch_execz .LBB632_115
; %bb.114:                              ;   in Loop: Header=BB632_108 Depth=2
	global_load_dword v154, v[39:40], off offset:128
.LBB632_115:                            ;   in Loop: Header=BB632_108 Depth=2
	s_or_b32 exec_lo, exec_lo, s23
	s_waitcnt vmcnt(12)
	v_bfrev_b32_e32 v161, -2
	v_bfrev_b32_e32 v157, -2
	s_mov_b32 s23, exec_lo
	v_cmpx_gt_u32_e64 s63, v113
	s_cbranch_execz .LBB632_117
; %bb.116:                              ;   in Loop: Header=BB632_108 Depth=2
	global_load_dword v157, v[39:40], off offset:256
.LBB632_117:                            ;   in Loop: Header=BB632_108 Depth=2
	s_or_b32 exec_lo, exec_lo, s23
	s_mov_b32 s23, exec_lo
	v_cmpx_gt_u32_e64 s63, v114
	s_cbranch_execz .LBB632_119
; %bb.118:                              ;   in Loop: Header=BB632_108 Depth=2
	global_load_dword v161, v[39:40], off offset:384
.LBB632_119:                            ;   in Loop: Header=BB632_108 Depth=2
	s_or_b32 exec_lo, exec_lo, s23
	s_waitcnt vmcnt(10)
	v_bfrev_b32_e32 v171, -2
	v_bfrev_b32_e32 v166, -2
	s_mov_b32 s23, exec_lo
	v_cmpx_gt_u32_e64 s63, v115
	s_cbranch_execz .LBB632_121
; %bb.120:                              ;   in Loop: Header=BB632_108 Depth=2
	global_load_dword v166, v[39:40], off offset:512
.LBB632_121:                            ;   in Loop: Header=BB632_108 Depth=2
	s_or_b32 exec_lo, exec_lo, s23
	s_mov_b32 s23, exec_lo
	v_cmpx_gt_u32_e64 s63, v116
	s_cbranch_execz .LBB632_123
; %bb.122:                              ;   in Loop: Header=BB632_108 Depth=2
	global_load_dword v171, v[39:40], off offset:640
.LBB632_123:                            ;   in Loop: Header=BB632_108 Depth=2
	s_or_b32 exec_lo, exec_lo, s23
	s_waitcnt vmcnt(8)
	v_bfrev_b32_e32 v181, -2
	v_bfrev_b32_e32 v176, -2
	s_mov_b32 s23, exec_lo
	v_cmpx_gt_u32_e64 s63, v117
	s_cbranch_execz .LBB632_125
; %bb.124:                              ;   in Loop: Header=BB632_108 Depth=2
	global_load_dword v176, v[39:40], off offset:768
.LBB632_125:                            ;   in Loop: Header=BB632_108 Depth=2
	s_or_b32 exec_lo, exec_lo, s23
	s_mov_b32 s23, exec_lo
	v_cmpx_gt_u32_e64 s63, v118
	s_cbranch_execz .LBB632_127
; %bb.126:                              ;   in Loop: Header=BB632_108 Depth=2
	global_load_dword v181, v[39:40], off offset:896
.LBB632_127:                            ;   in Loop: Header=BB632_108 Depth=2
	s_or_b32 exec_lo, exec_lo, s23
	s_waitcnt vmcnt(6)
	v_bfrev_b32_e32 v184, -2
	v_bfrev_b32_e32 v186, -2
	s_mov_b32 s23, exec_lo
	v_cmpx_gt_u32_e64 s63, v119
	s_cbranch_execz .LBB632_129
; %bb.128:                              ;   in Loop: Header=BB632_108 Depth=2
	global_load_dword v186, v[39:40], off offset:1024
.LBB632_129:                            ;   in Loop: Header=BB632_108 Depth=2
	s_or_b32 exec_lo, exec_lo, s23
	s_mov_b32 s23, exec_lo
	v_cmpx_gt_u32_e64 s63, v120
	s_cbranch_execz .LBB632_131
; %bb.130:                              ;   in Loop: Header=BB632_108 Depth=2
	global_load_dword v184, v[39:40], off offset:1152
.LBB632_131:                            ;   in Loop: Header=BB632_108 Depth=2
	s_or_b32 exec_lo, exec_lo, s23
	s_waitcnt vmcnt(4)
	v_bfrev_b32_e32 v174, -2
	v_bfrev_b32_e32 v179, -2
	s_mov_b32 s23, exec_lo
	v_cmpx_gt_u32_e64 s63, v121
	s_cbranch_execz .LBB632_133
; %bb.132:                              ;   in Loop: Header=BB632_108 Depth=2
	global_load_dword v179, v[39:40], off offset:1280
.LBB632_133:                            ;   in Loop: Header=BB632_108 Depth=2
	s_or_b32 exec_lo, exec_lo, s23
	s_mov_b32 s23, exec_lo
	v_cmpx_gt_u32_e64 s63, v122
	s_cbranch_execz .LBB632_135
; %bb.134:                              ;   in Loop: Header=BB632_108 Depth=2
	global_load_dword v174, v[39:40], off offset:1408
.LBB632_135:                            ;   in Loop: Header=BB632_108 Depth=2
	s_or_b32 exec_lo, exec_lo, s23
	s_waitcnt vmcnt(2)
	v_bfrev_b32_e32 v165, -2
	v_bfrev_b32_e32 v170, -2
	s_mov_b32 s23, exec_lo
	v_cmpx_gt_u32_e64 s63, v123
	s_cbranch_execz .LBB632_137
; %bb.136:                              ;   in Loop: Header=BB632_108 Depth=2
	global_load_dword v170, v[39:40], off offset:1536
.LBB632_137:                            ;   in Loop: Header=BB632_108 Depth=2
	s_or_b32 exec_lo, exec_lo, s23
	s_mov_b32 s23, exec_lo
	v_cmpx_gt_u32_e64 s63, v124
	s_cbranch_execz .LBB632_139
; %bb.138:                              ;   in Loop: Header=BB632_108 Depth=2
	global_load_dword v165, v[39:40], off offset:1664
.LBB632_139:                            ;   in Loop: Header=BB632_108 Depth=2
	s_or_b32 exec_lo, exec_lo, s23
	s_waitcnt vmcnt(0)
	v_bfrev_b32_e32 v41, -2
	v_bfrev_b32_e32 v42, -2
	s_mov_b32 s23, exec_lo
	v_cmpx_gt_u32_e64 s63, v126
	s_cbranch_execz .LBB632_141
; %bb.140:                              ;   in Loop: Header=BB632_108 Depth=2
	global_load_dword v42, v[39:40], off offset:1792
.LBB632_141:                            ;   in Loop: Header=BB632_108 Depth=2
	s_or_b32 exec_lo, exec_lo, s23
	s_mov_b32 s23, exec_lo
	v_cmpx_gt_u32_e64 s63, v127
	s_cbranch_execz .LBB632_143
; %bb.142:                              ;   in Loop: Header=BB632_108 Depth=2
	global_load_dword v41, v[39:40], off offset:1920
.LBB632_143:                            ;   in Loop: Header=BB632_108 Depth=2
	s_or_b32 exec_lo, exec_lo, s23
	v_cmp_gt_u32_e64 s23, s63, v128
	s_sub_i32 s24, s59, s50
.LBB632_144:                            ;   in Loop: Header=BB632_108 Depth=2
	v_mov_b32_e32 v3, -1
	v_mov_b32_e32 v152, s63
	s_and_saveexec_b32 s25, s23
	s_cbranch_execz .LBB632_146
; %bb.145:                              ;   in Loop: Header=BB632_108 Depth=2
	s_lshl_b64 s[26:27], s[50:51], 2
	v_mov_b32_e32 v152, s24
	v_add_co_u32 v3, vcc_lo, v129, s26
	v_add_co_ci_u32_e64 v40, null, s27, v130, vcc_lo
	v_add_co_u32 v39, vcc_lo, 0x800, v3
	v_add_co_ci_u32_e64 v40, null, 0, v40, vcc_lo
	global_load_dword v3, v[39:40], off
	s_waitcnt vmcnt(0)
	v_xor_b32_e32 v3, 0x80000000, v3
.LBB632_146:                            ;   in Loop: Header=BB632_108 Depth=2
	s_or_b32 exec_lo, exec_lo, s25
	s_waitcnt vmcnt(15)
	v_xor_b32_e32 v153, 0x80000000, v153
	ds_write2_b32 v68, v4, v4 offset0:136 offset1:137
	ds_write2_b32 v68, v4, v4 offset0:138 offset1:139
	ds_write_b32 v68, v4 offset:560
	s_waitcnt vmcnt(0) lgkmcnt(0)
	s_barrier
	v_lshrrev_b32_e32 v39, s61, v153
	buffer_gl0_inv
	; wave barrier
	v_and_b32_e32 v40, s62, v39
	v_and_b32_e32 v39, 1, v40
	v_lshlrev_b32_e32 v155, 30, v40
	v_lshlrev_b32_e32 v156, 29, v40
	;; [unrolled: 1-line block ×4, first 2 shown]
	v_add_co_u32 v39, s23, v39, -1
	v_cndmask_b32_e64 v158, 0, 1, s23
	v_not_b32_e32 v163, v155
	v_cmp_gt_i32_e64 s23, 0, v155
	v_not_b32_e32 v155, v156
	v_lshlrev_b32_e32 v162, 26, v40
	v_cmp_ne_u32_e32 vcc_lo, 0, v158
	v_ashrrev_i32_e32 v163, 31, v163
	v_lshlrev_b32_e32 v158, 25, v40
	v_ashrrev_i32_e32 v155, 31, v155
	v_mul_u32_u24_e32 v40, 36, v40
	v_xor_b32_e32 v39, vcc_lo, v39
	v_cmp_gt_i32_e32 vcc_lo, 0, v156
	v_not_b32_e32 v156, v159
	v_xor_b32_e32 v163, s23, v163
	v_cmp_gt_i32_e64 s23, 0, v159
	v_and_b32_e32 v39, exec_lo, v39
	v_not_b32_e32 v159, v160
	v_ashrrev_i32_e32 v156, 31, v156
	v_xor_b32_e32 v155, vcc_lo, v155
	v_cmp_gt_i32_e32 vcc_lo, 0, v160
	v_and_b32_e32 v39, v39, v163
	v_not_b32_e32 v160, v162
	v_ashrrev_i32_e32 v159, 31, v159
	v_xor_b32_e32 v156, s23, v156
	v_cmp_gt_i32_e64 s23, 0, v162
	v_and_b32_e32 v39, v39, v155
	v_not_b32_e32 v155, v158
	v_ashrrev_i32_e32 v160, 31, v160
	v_xor_b32_e32 v159, vcc_lo, v159
	v_cmp_gt_i32_e32 vcc_lo, 0, v158
	v_and_b32_e32 v39, v39, v156
	v_ashrrev_i32_e32 v155, 31, v155
	v_xor_b32_e32 v156, s23, v160
	v_and_b32_e32 v39, v39, v159
	v_xor_b32_e32 v155, vcc_lo, v155
	v_and_b32_e32 v39, v39, v156
	v_add_nc_u32_e32 v156, v132, v40
	v_and_b32_e32 v39, v39, v155
	v_mbcnt_lo_u32_b32 v155, v39, 0
	v_cmp_ne_u32_e64 s23, 0, v39
	v_cmp_eq_u32_e32 vcc_lo, 0, v155
	s_and_b32 s24, s23, vcc_lo
	s_and_saveexec_b32 s23, s24
; %bb.147:                              ;   in Loop: Header=BB632_108 Depth=2
	v_bcnt_u32_b32 v39, v39, 0
	ds_write_b32 v156, v39 offset:544
; %bb.148:                              ;   in Loop: Header=BB632_108 Depth=2
	s_or_b32 exec_lo, exec_lo, s23
	v_xor_b32_e32 v154, 0x80000000, v154
	; wave barrier
	v_lshrrev_b32_e32 v39, s61, v154
	v_and_b32_e32 v40, s62, v39
	v_and_b32_e32 v39, 1, v40
	v_lshlrev_b32_e32 v158, 30, v40
	v_lshlrev_b32_e32 v159, 29, v40
	v_lshlrev_b32_e32 v162, 28, v40
	v_lshlrev_b32_e32 v163, 27, v40
	v_add_co_u32 v39, s23, v39, -1
	v_cndmask_b32_e64 v160, 0, 1, s23
	v_not_b32_e32 v167, v158
	v_cmp_gt_i32_e64 s23, 0, v158
	v_not_b32_e32 v158, v159
	v_lshlrev_b32_e32 v164, 26, v40
	v_cmp_ne_u32_e32 vcc_lo, 0, v160
	v_ashrrev_i32_e32 v167, 31, v167
	v_lshlrev_b32_e32 v160, 25, v40
	v_ashrrev_i32_e32 v158, 31, v158
	v_xor_b32_e32 v39, vcc_lo, v39
	v_cmp_gt_i32_e32 vcc_lo, 0, v159
	v_not_b32_e32 v159, v162
	v_xor_b32_e32 v167, s23, v167
	v_cmp_gt_i32_e64 s23, 0, v162
	v_and_b32_e32 v39, exec_lo, v39
	v_not_b32_e32 v162, v163
	v_ashrrev_i32_e32 v159, 31, v159
	v_xor_b32_e32 v158, vcc_lo, v158
	v_cmp_gt_i32_e32 vcc_lo, 0, v163
	v_and_b32_e32 v39, v39, v167
	v_not_b32_e32 v163, v164
	v_ashrrev_i32_e32 v162, 31, v162
	v_xor_b32_e32 v159, s23, v159
	v_cmp_gt_i32_e64 s23, 0, v164
	v_and_b32_e32 v39, v39, v158
	v_not_b32_e32 v158, v160
	v_ashrrev_i32_e32 v163, 31, v163
	v_xor_b32_e32 v162, vcc_lo, v162
	v_cmp_gt_i32_e32 vcc_lo, 0, v160
	v_and_b32_e32 v39, v39, v159
	v_ashrrev_i32_e32 v158, 31, v158
	v_xor_b32_e32 v159, s23, v163
	v_mad_u32_u24 v160, v40, 36, v132
	v_mul_u32_u24_e32 v40, 36, v40
	v_and_b32_e32 v39, v39, v162
	v_xor_b32_e32 v162, vcc_lo, v158
	ds_read_b32 v158, v160 offset:544
	v_add_nc_u32_e32 v160, v132, v40
	v_and_b32_e32 v39, v39, v159
	; wave barrier
	v_and_b32_e32 v39, v39, v162
	v_mbcnt_lo_u32_b32 v159, v39, 0
	v_cmp_ne_u32_e64 s23, 0, v39
	v_cmp_eq_u32_e32 vcc_lo, 0, v159
	s_and_b32 s24, s23, vcc_lo
	s_and_saveexec_b32 s23, s24
	s_cbranch_execz .LBB632_150
; %bb.149:                              ;   in Loop: Header=BB632_108 Depth=2
	s_waitcnt lgkmcnt(0)
	v_bcnt_u32_b32 v39, v39, v158
	ds_write_b32 v160, v39 offset:544
.LBB632_150:                            ;   in Loop: Header=BB632_108 Depth=2
	s_or_b32 exec_lo, exec_lo, s23
	v_xor_b32_e32 v157, 0x80000000, v157
	; wave barrier
	v_lshrrev_b32_e32 v39, s61, v157
	v_and_b32_e32 v40, s62, v39
	v_and_b32_e32 v39, 1, v40
	v_lshlrev_b32_e32 v162, 30, v40
	v_lshlrev_b32_e32 v163, 29, v40
	v_lshlrev_b32_e32 v167, 28, v40
	v_lshlrev_b32_e32 v168, 27, v40
	v_add_co_u32 v39, s23, v39, -1
	v_cndmask_b32_e64 v164, 0, 1, s23
	v_not_b32_e32 v172, v162
	v_cmp_gt_i32_e64 s23, 0, v162
	v_not_b32_e32 v162, v163
	v_lshlrev_b32_e32 v169, 26, v40
	v_cmp_ne_u32_e32 vcc_lo, 0, v164
	v_ashrrev_i32_e32 v172, 31, v172
	v_lshlrev_b32_e32 v164, 25, v40
	v_ashrrev_i32_e32 v162, 31, v162
	v_xor_b32_e32 v39, vcc_lo, v39
	v_cmp_gt_i32_e32 vcc_lo, 0, v163
	v_not_b32_e32 v163, v167
	v_xor_b32_e32 v172, s23, v172
	v_cmp_gt_i32_e64 s23, 0, v167
	v_and_b32_e32 v39, exec_lo, v39
	v_not_b32_e32 v167, v168
	v_ashrrev_i32_e32 v163, 31, v163
	v_xor_b32_e32 v162, vcc_lo, v162
	v_cmp_gt_i32_e32 vcc_lo, 0, v168
	v_and_b32_e32 v39, v39, v172
	v_not_b32_e32 v168, v169
	v_ashrrev_i32_e32 v167, 31, v167
	v_xor_b32_e32 v163, s23, v163
	v_cmp_gt_i32_e64 s23, 0, v169
	v_and_b32_e32 v39, v39, v162
	v_not_b32_e32 v162, v164
	v_ashrrev_i32_e32 v168, 31, v168
	v_xor_b32_e32 v167, vcc_lo, v167
	v_cmp_gt_i32_e32 vcc_lo, 0, v164
	v_and_b32_e32 v39, v39, v163
	v_ashrrev_i32_e32 v162, 31, v162
	v_xor_b32_e32 v163, s23, v168
	v_mad_u32_u24 v164, v40, 36, v132
	v_mul_u32_u24_e32 v40, 36, v40
	v_and_b32_e32 v39, v39, v167
	v_xor_b32_e32 v167, vcc_lo, v162
	ds_read_b32 v162, v164 offset:544
	v_add_nc_u32_e32 v164, v132, v40
	v_and_b32_e32 v39, v39, v163
	; wave barrier
	v_and_b32_e32 v39, v39, v167
	v_mbcnt_lo_u32_b32 v163, v39, 0
	v_cmp_ne_u32_e64 s23, 0, v39
	v_cmp_eq_u32_e32 vcc_lo, 0, v163
	s_and_b32 s24, s23, vcc_lo
	s_and_saveexec_b32 s23, s24
	s_cbranch_execz .LBB632_152
; %bb.151:                              ;   in Loop: Header=BB632_108 Depth=2
	s_waitcnt lgkmcnt(0)
	v_bcnt_u32_b32 v39, v39, v162
	ds_write_b32 v164, v39 offset:544
.LBB632_152:                            ;   in Loop: Header=BB632_108 Depth=2
	;; [unrolled: 63-line block ×9, first 2 shown]
	s_or_b32 exec_lo, exec_lo, s23
	v_xor_b32_e32 v179, 0x80000000, v179
	; wave barrier
	v_lshrrev_b32_e32 v39, s61, v179
	v_and_b32_e32 v40, s62, v39
	v_and_b32_e32 v39, 1, v40
	v_lshlrev_b32_e32 v196, 30, v40
	v_lshlrev_b32_e32 v197, 29, v40
	v_lshlrev_b32_e32 v199, 28, v40
	v_lshlrev_b32_e32 v200, 27, v40
	v_add_co_u32 v39, s23, v39, -1
	v_cndmask_b32_e64 v198, 0, 1, s23
	v_not_b32_e32 v202, v196
	v_cmp_gt_i32_e64 s23, 0, v196
	v_not_b32_e32 v196, v197
	v_lshlrev_b32_e32 v201, 26, v40
	v_cmp_ne_u32_e32 vcc_lo, 0, v198
	v_ashrrev_i32_e32 v202, 31, v202
	v_lshlrev_b32_e32 v198, 25, v40
	v_ashrrev_i32_e32 v196, 31, v196
	v_xor_b32_e32 v39, vcc_lo, v39
	v_cmp_gt_i32_e32 vcc_lo, 0, v197
	v_not_b32_e32 v197, v199
	v_xor_b32_e32 v202, s23, v202
	v_cmp_gt_i32_e64 s23, 0, v199
	v_and_b32_e32 v39, exec_lo, v39
	v_not_b32_e32 v199, v200
	v_ashrrev_i32_e32 v197, 31, v197
	v_xor_b32_e32 v196, vcc_lo, v196
	v_cmp_gt_i32_e32 vcc_lo, 0, v200
	v_and_b32_e32 v39, v39, v202
	v_not_b32_e32 v200, v201
	v_ashrrev_i32_e32 v199, 31, v199
	v_xor_b32_e32 v197, s23, v197
	v_cmp_gt_i32_e64 s23, 0, v201
	v_and_b32_e32 v39, v39, v196
	v_not_b32_e32 v196, v198
	v_ashrrev_i32_e32 v200, 31, v200
	v_xor_b32_e32 v199, vcc_lo, v199
	v_cmp_gt_i32_e32 vcc_lo, 0, v198
	v_and_b32_e32 v39, v39, v197
	v_ashrrev_i32_e32 v196, 31, v196
	v_xor_b32_e32 v197, s23, v200
	v_mad_u32_u24 v198, v40, 36, v132
	v_mul_u32_u24_e32 v40, 36, v40
	v_and_b32_e32 v39, v39, v199
	v_xor_b32_e32 v196, vcc_lo, v196
	v_add_nc_u32_e32 v199, v132, v40
	v_and_b32_e32 v39, v39, v197
	ds_read_b32 v197, v198 offset:544
	; wave barrier
	v_and_b32_e32 v39, v39, v196
	v_mbcnt_lo_u32_b32 v198, v39, 0
	v_cmp_ne_u32_e64 s23, 0, v39
	v_cmp_eq_u32_e32 vcc_lo, 0, v198
	s_and_b32 s24, s23, vcc_lo
	s_and_saveexec_b32 s23, s24
	s_cbranch_execz .LBB632_168
; %bb.167:                              ;   in Loop: Header=BB632_108 Depth=2
	s_waitcnt lgkmcnt(0)
	v_bcnt_u32_b32 v39, v39, v197
	ds_write_b32 v199, v39 offset:544
.LBB632_168:                            ;   in Loop: Header=BB632_108 Depth=2
	s_or_b32 exec_lo, exec_lo, s23
	v_xor_b32_e32 v196, 0x80000000, v174
	; wave barrier
	v_lshrrev_b32_e32 v39, s61, v196
	v_and_b32_e32 v40, s62, v39
	v_and_b32_e32 v39, 1, v40
	v_lshlrev_b32_e32 v174, 30, v40
	v_lshlrev_b32_e32 v200, 29, v40
	v_lshlrev_b32_e32 v202, 28, v40
	v_lshlrev_b32_e32 v203, 27, v40
	v_add_co_u32 v39, s23, v39, -1
	v_cndmask_b32_e64 v201, 0, 1, s23
	v_not_b32_e32 v205, v174
	v_cmp_gt_i32_e64 s23, 0, v174
	v_not_b32_e32 v174, v200
	v_lshlrev_b32_e32 v204, 26, v40
	v_cmp_ne_u32_e32 vcc_lo, 0, v201
	v_ashrrev_i32_e32 v205, 31, v205
	v_lshlrev_b32_e32 v201, 25, v40
	v_ashrrev_i32_e32 v174, 31, v174
	v_xor_b32_e32 v39, vcc_lo, v39
	v_cmp_gt_i32_e32 vcc_lo, 0, v200
	v_not_b32_e32 v200, v202
	v_xor_b32_e32 v205, s23, v205
	v_cmp_gt_i32_e64 s23, 0, v202
	v_and_b32_e32 v39, exec_lo, v39
	v_not_b32_e32 v202, v203
	v_ashrrev_i32_e32 v200, 31, v200
	v_xor_b32_e32 v174, vcc_lo, v174
	v_cmp_gt_i32_e32 vcc_lo, 0, v203
	v_and_b32_e32 v39, v39, v205
	v_not_b32_e32 v203, v204
	v_ashrrev_i32_e32 v202, 31, v202
	v_xor_b32_e32 v200, s23, v200
	v_cmp_gt_i32_e64 s23, 0, v204
	v_and_b32_e32 v39, v39, v174
	v_not_b32_e32 v174, v201
	v_ashrrev_i32_e32 v203, 31, v203
	v_xor_b32_e32 v202, vcc_lo, v202
	v_cmp_gt_i32_e32 vcc_lo, 0, v201
	v_and_b32_e32 v39, v39, v200
	v_ashrrev_i32_e32 v174, 31, v174
	v_xor_b32_e32 v200, s23, v203
	v_mad_u32_u24 v201, v40, 36, v132
	v_mul_u32_u24_e32 v40, 36, v40
	v_and_b32_e32 v39, v39, v202
	v_xor_b32_e32 v174, vcc_lo, v174
	ds_read_b32 v201, v201 offset:544
	v_and_b32_e32 v39, v39, v200
	; wave barrier
	v_and_b32_e32 v39, v39, v174
	v_add_nc_u32_e32 v174, v132, v40
	v_mbcnt_lo_u32_b32 v202, v39, 0
	v_cmp_ne_u32_e64 s23, 0, v39
	v_cmp_eq_u32_e32 vcc_lo, 0, v202
	s_and_b32 s24, s23, vcc_lo
	s_and_saveexec_b32 s23, s24
	s_cbranch_execz .LBB632_170
; %bb.169:                              ;   in Loop: Header=BB632_108 Depth=2
	s_waitcnt lgkmcnt(0)
	v_bcnt_u32_b32 v39, v39, v201
	ds_write_b32 v174, v39 offset:544
.LBB632_170:                            ;   in Loop: Header=BB632_108 Depth=2
	s_or_b32 exec_lo, exec_lo, s23
	v_xor_b32_e32 v200, 0x80000000, v170
	; wave barrier
	v_lshrrev_b32_e32 v39, s61, v200
	v_and_b32_e32 v40, s62, v39
	v_and_b32_e32 v39, 1, v40
	v_lshlrev_b32_e32 v170, 30, v40
	v_lshlrev_b32_e32 v203, 29, v40
	v_lshlrev_b32_e32 v205, 28, v40
	v_lshlrev_b32_e32 v206, 27, v40
	v_add_co_u32 v39, s23, v39, -1
	v_cndmask_b32_e64 v204, 0, 1, s23
	v_not_b32_e32 v208, v170
	v_cmp_gt_i32_e64 s23, 0, v170
	v_not_b32_e32 v170, v203
	v_lshlrev_b32_e32 v207, 26, v40
	v_cmp_ne_u32_e32 vcc_lo, 0, v204
	v_ashrrev_i32_e32 v208, 31, v208
	v_lshlrev_b32_e32 v204, 25, v40
	v_ashrrev_i32_e32 v170, 31, v170
	v_xor_b32_e32 v39, vcc_lo, v39
	v_cmp_gt_i32_e32 vcc_lo, 0, v203
	v_not_b32_e32 v203, v205
	v_xor_b32_e32 v208, s23, v208
	v_cmp_gt_i32_e64 s23, 0, v205
	v_and_b32_e32 v39, exec_lo, v39
	v_not_b32_e32 v205, v206
	v_ashrrev_i32_e32 v203, 31, v203
	v_xor_b32_e32 v170, vcc_lo, v170
	v_cmp_gt_i32_e32 vcc_lo, 0, v206
	v_and_b32_e32 v39, v39, v208
	v_not_b32_e32 v206, v207
	v_ashrrev_i32_e32 v205, 31, v205
	v_xor_b32_e32 v203, s23, v203
	v_cmp_gt_i32_e64 s23, 0, v207
	v_and_b32_e32 v39, v39, v170
	v_not_b32_e32 v170, v204
	v_ashrrev_i32_e32 v206, 31, v206
	v_xor_b32_e32 v205, vcc_lo, v205
	v_cmp_gt_i32_e32 vcc_lo, 0, v204
	v_and_b32_e32 v39, v39, v203
	v_ashrrev_i32_e32 v170, 31, v170
	v_xor_b32_e32 v203, s23, v206
	v_mad_u32_u24 v204, v40, 36, v132
	v_mul_u32_u24_e32 v40, 36, v40
	v_and_b32_e32 v39, v39, v205
	v_xor_b32_e32 v170, vcc_lo, v170
	ds_read_b32 v204, v204 offset:544
	v_and_b32_e32 v39, v39, v203
	; wave barrier
	v_and_b32_e32 v39, v39, v170
	v_add_nc_u32_e32 v170, v132, v40
	;; [unrolled: 63-line block ×3, first 2 shown]
	v_mbcnt_lo_u32_b32 v208, v39, 0
	v_cmp_ne_u32_e64 s23, 0, v39
	v_cmp_eq_u32_e32 vcc_lo, 0, v208
	s_and_b32 s24, s23, vcc_lo
	s_and_saveexec_b32 s23, s24
	s_cbranch_execz .LBB632_174
; %bb.173:                              ;   in Loop: Header=BB632_108 Depth=2
	s_waitcnt lgkmcnt(0)
	v_bcnt_u32_b32 v39, v39, v207
	ds_write_b32 v165, v39 offset:544
.LBB632_174:                            ;   in Loop: Header=BB632_108 Depth=2
	s_or_b32 exec_lo, exec_lo, s23
	v_xor_b32_e32 v206, 0x80000000, v42
	; wave barrier
	v_lshrrev_b32_e32 v39, s61, v206
	v_and_b32_e32 v40, s62, v39
	v_and_b32_e32 v39, 1, v40
	v_lshlrev_b32_e32 v42, 30, v40
	v_lshlrev_b32_e32 v209, 29, v40
	;; [unrolled: 1-line block ×4, first 2 shown]
	v_add_co_u32 v39, s23, v39, -1
	v_cndmask_b32_e64 v210, 0, 1, s23
	v_not_b32_e32 v214, v42
	v_cmp_gt_i32_e64 s23, 0, v42
	v_not_b32_e32 v42, v209
	v_lshlrev_b32_e32 v213, 26, v40
	v_cmp_ne_u32_e32 vcc_lo, 0, v210
	v_ashrrev_i32_e32 v214, 31, v214
	v_lshlrev_b32_e32 v210, 25, v40
	v_ashrrev_i32_e32 v42, 31, v42
	v_xor_b32_e32 v39, vcc_lo, v39
	v_cmp_gt_i32_e32 vcc_lo, 0, v209
	v_not_b32_e32 v209, v211
	v_xor_b32_e32 v214, s23, v214
	v_cmp_gt_i32_e64 s23, 0, v211
	v_and_b32_e32 v39, exec_lo, v39
	v_not_b32_e32 v211, v212
	v_ashrrev_i32_e32 v209, 31, v209
	v_xor_b32_e32 v42, vcc_lo, v42
	v_cmp_gt_i32_e32 vcc_lo, 0, v212
	v_and_b32_e32 v39, v39, v214
	v_not_b32_e32 v212, v213
	v_ashrrev_i32_e32 v211, 31, v211
	v_xor_b32_e32 v209, s23, v209
	v_cmp_gt_i32_e64 s23, 0, v213
	v_and_b32_e32 v39, v39, v42
	v_not_b32_e32 v42, v210
	v_ashrrev_i32_e32 v212, 31, v212
	v_xor_b32_e32 v211, vcc_lo, v211
	v_cmp_gt_i32_e32 vcc_lo, 0, v210
	v_and_b32_e32 v39, v39, v209
	v_ashrrev_i32_e32 v42, 31, v42
	v_xor_b32_e32 v209, s23, v212
	v_mad_u32_u24 v210, v40, 36, v132
	v_mul_u32_u24_e32 v40, 36, v40
	v_and_b32_e32 v39, v39, v211
	v_xor_b32_e32 v42, vcc_lo, v42
	ds_read_b32 v210, v210 offset:544
	v_add_nc_u32_e32 v212, v132, v40
	v_and_b32_e32 v39, v39, v209
	; wave barrier
	v_and_b32_e32 v39, v39, v42
	v_mbcnt_lo_u32_b32 v211, v39, 0
	v_cmp_ne_u32_e64 s23, 0, v39
	v_cmp_eq_u32_e32 vcc_lo, 0, v211
	s_and_b32 s24, s23, vcc_lo
	s_and_saveexec_b32 s23, s24
	s_cbranch_execz .LBB632_176
; %bb.175:                              ;   in Loop: Header=BB632_108 Depth=2
	s_waitcnt lgkmcnt(0)
	v_bcnt_u32_b32 v39, v39, v210
	ds_write_b32 v212, v39 offset:544
.LBB632_176:                            ;   in Loop: Header=BB632_108 Depth=2
	s_or_b32 exec_lo, exec_lo, s23
	v_xor_b32_e32 v209, 0x80000000, v41
	; wave barrier
	v_lshrrev_b32_e32 v39, s61, v209
	v_and_b32_e32 v40, s62, v39
	v_and_b32_e32 v39, 1, v40
	v_lshlrev_b32_e32 v41, 30, v40
	v_lshlrev_b32_e32 v42, 29, v40
	;; [unrolled: 1-line block ×4, first 2 shown]
	v_add_co_u32 v39, s23, v39, -1
	v_cndmask_b32_e64 v213, 0, 1, s23
	v_not_b32_e32 v217, v41
	v_cmp_gt_i32_e64 s23, 0, v41
	v_not_b32_e32 v41, v42
	v_lshlrev_b32_e32 v216, 26, v40
	v_cmp_ne_u32_e32 vcc_lo, 0, v213
	v_ashrrev_i32_e32 v217, 31, v217
	v_lshlrev_b32_e32 v213, 25, v40
	v_ashrrev_i32_e32 v41, 31, v41
	v_xor_b32_e32 v39, vcc_lo, v39
	v_cmp_gt_i32_e32 vcc_lo, 0, v42
	v_not_b32_e32 v42, v214
	v_xor_b32_e32 v217, s23, v217
	v_cmp_gt_i32_e64 s23, 0, v214
	v_and_b32_e32 v39, exec_lo, v39
	v_not_b32_e32 v214, v215
	v_ashrrev_i32_e32 v42, 31, v42
	v_xor_b32_e32 v41, vcc_lo, v41
	v_cmp_gt_i32_e32 vcc_lo, 0, v215
	v_and_b32_e32 v39, v39, v217
	v_not_b32_e32 v215, v216
	v_ashrrev_i32_e32 v214, 31, v214
	v_xor_b32_e32 v42, s23, v42
	v_cmp_gt_i32_e64 s23, 0, v216
	v_and_b32_e32 v39, v39, v41
	v_not_b32_e32 v41, v213
	v_ashrrev_i32_e32 v215, 31, v215
	v_xor_b32_e32 v214, vcc_lo, v214
	v_cmp_gt_i32_e32 vcc_lo, 0, v213
	v_and_b32_e32 v39, v39, v42
	v_ashrrev_i32_e32 v41, 31, v41
	v_xor_b32_e32 v42, s23, v215
	v_mad_u32_u24 v213, v40, 36, v132
	v_mul_u32_u24_e32 v40, 36, v40
	v_and_b32_e32 v39, v39, v214
	v_xor_b32_e32 v41, vcc_lo, v41
	ds_read_b32 v213, v213 offset:544
	v_add_nc_u32_e32 v215, v132, v40
	v_and_b32_e32 v39, v39, v42
	; wave barrier
	v_and_b32_e32 v39, v39, v41
	v_mbcnt_lo_u32_b32 v214, v39, 0
	v_cmp_ne_u32_e64 s23, 0, v39
	v_cmp_eq_u32_e32 vcc_lo, 0, v214
	s_and_b32 s24, s23, vcc_lo
	s_and_saveexec_b32 s23, s24
	s_cbranch_execz .LBB632_178
; %bb.177:                              ;   in Loop: Header=BB632_108 Depth=2
	s_waitcnt lgkmcnt(0)
	v_bcnt_u32_b32 v39, v39, v213
	ds_write_b32 v215, v39 offset:544
.LBB632_178:                            ;   in Loop: Header=BB632_108 Depth=2
	s_or_b32 exec_lo, exec_lo, s23
	v_lshrrev_b32_e32 v39, s61, v3
	; wave barrier
	v_and_b32_e32 v40, s62, v39
	v_and_b32_e32 v39, 1, v40
	v_lshlrev_b32_e32 v41, 30, v40
	v_lshlrev_b32_e32 v42, 29, v40
	;; [unrolled: 1-line block ×4, first 2 shown]
	v_add_co_u32 v39, s23, v39, -1
	v_cndmask_b32_e64 v216, 0, 1, s23
	v_not_b32_e32 v220, v41
	v_cmp_gt_i32_e64 s23, 0, v41
	v_not_b32_e32 v41, v42
	v_lshlrev_b32_e32 v219, 26, v40
	v_cmp_ne_u32_e32 vcc_lo, 0, v216
	v_ashrrev_i32_e32 v220, 31, v220
	v_lshlrev_b32_e32 v216, 25, v40
	v_ashrrev_i32_e32 v41, 31, v41
	v_xor_b32_e32 v39, vcc_lo, v39
	v_cmp_gt_i32_e32 vcc_lo, 0, v42
	v_not_b32_e32 v42, v217
	v_xor_b32_e32 v220, s23, v220
	v_cmp_gt_i32_e64 s23, 0, v217
	v_and_b32_e32 v39, exec_lo, v39
	v_not_b32_e32 v217, v218
	v_ashrrev_i32_e32 v42, 31, v42
	v_xor_b32_e32 v41, vcc_lo, v41
	v_cmp_gt_i32_e32 vcc_lo, 0, v218
	v_and_b32_e32 v39, v39, v220
	v_not_b32_e32 v218, v219
	v_ashrrev_i32_e32 v217, 31, v217
	v_xor_b32_e32 v42, s23, v42
	v_cmp_gt_i32_e64 s23, 0, v219
	v_and_b32_e32 v39, v39, v41
	v_not_b32_e32 v41, v216
	v_ashrrev_i32_e32 v218, 31, v218
	v_xor_b32_e32 v217, vcc_lo, v217
	v_cmp_gt_i32_e32 vcc_lo, 0, v216
	v_and_b32_e32 v39, v39, v42
	v_ashrrev_i32_e32 v41, 31, v41
	v_xor_b32_e32 v42, s23, v218
	v_mad_u32_u24 v216, v40, 36, v132
	v_mul_u32_u24_e32 v40, 36, v40
	v_and_b32_e32 v39, v39, v217
	v_xor_b32_e32 v41, vcc_lo, v41
	ds_read_b32 v216, v216 offset:544
	v_add_nc_u32_e32 v218, v132, v40
	v_and_b32_e32 v39, v39, v42
	; wave barrier
	v_and_b32_e32 v39, v39, v41
	v_mbcnt_lo_u32_b32 v217, v39, 0
	v_cmp_ne_u32_e64 s23, 0, v39
	v_cmp_eq_u32_e32 vcc_lo, 0, v217
	s_and_b32 s24, s23, vcc_lo
	s_and_saveexec_b32 s23, s24
	s_cbranch_execz .LBB632_180
; %bb.179:                              ;   in Loop: Header=BB632_108 Depth=2
	s_waitcnt lgkmcnt(0)
	v_bcnt_u32_b32 v39, v39, v216
	ds_write_b32 v218, v39 offset:544
.LBB632_180:                            ;   in Loop: Header=BB632_108 Depth=2
	s_or_b32 exec_lo, exec_lo, s23
	; wave barrier
	s_waitcnt lgkmcnt(0)
	s_barrier
	buffer_gl0_inv
	ds_read2_b32 v[41:42], v68 offset0:136 offset1:137
	ds_read2_b32 v[39:40], v68 offset0:138 offset1:139
	ds_read_b32 v219, v68 offset:560
	s_waitcnt lgkmcnt(1)
	v_add3_u32 v220, v42, v41, v39
	s_waitcnt lgkmcnt(0)
	v_add3_u32 v219, v220, v40, v219
	v_mov_b32_dpp v220, v219 row_shr:1 row_mask:0xf bank_mask:0xf
	v_cndmask_b32_e64 v220, v220, 0, s5
	v_add_nc_u32_e32 v219, v220, v219
	v_mov_b32_dpp v220, v219 row_shr:2 row_mask:0xf bank_mask:0xf
	v_cndmask_b32_e64 v220, 0, v220, s16
	v_add_nc_u32_e32 v219, v219, v220
	v_mov_b32_dpp v220, v219 row_shr:4 row_mask:0xf bank_mask:0xf
	v_cndmask_b32_e64 v220, 0, v220, s17
	v_add_nc_u32_e32 v219, v219, v220
	v_mov_b32_dpp v220, v219 row_shr:8 row_mask:0xf bank_mask:0xf
	v_cndmask_b32_e64 v220, 0, v220, s18
	v_add_nc_u32_e32 v219, v219, v220
	ds_swizzle_b32 v220, v219 offset:swizzle(BROADCAST,32,15)
	s_waitcnt lgkmcnt(0)
	v_cndmask_b32_e64 v220, v220, 0, s19
	v_add_nc_u32_e32 v219, v219, v220
	s_and_saveexec_b32 s23, s4
; %bb.181:                              ;   in Loop: Header=BB632_108 Depth=2
	ds_write_b32 v62, v219 offset:512
; %bb.182:                              ;   in Loop: Header=BB632_108 Depth=2
	s_or_b32 exec_lo, exec_lo, s23
	s_waitcnt lgkmcnt(0)
	s_barrier
	buffer_gl0_inv
	s_and_saveexec_b32 s23, s12
	s_cbranch_execz .LBB632_184
; %bb.183:                              ;   in Loop: Header=BB632_108 Depth=2
	ds_read_b32 v220, v69 offset:512
	s_waitcnt lgkmcnt(0)
	v_mov_b32_dpp v221, v220 row_shr:1 row_mask:0xf bank_mask:0xf
	v_cndmask_b32_e64 v221, v221, 0, s20
	v_add_nc_u32_e32 v220, v221, v220
	v_mov_b32_dpp v221, v220 row_shr:2 row_mask:0xf bank_mask:0xf
	v_cndmask_b32_e64 v221, 0, v221, s21
	v_add_nc_u32_e32 v220, v220, v221
	;; [unrolled: 3-line block ×3, first 2 shown]
	ds_write_b32 v69, v220 offset:512
.LBB632_184:                            ;   in Loop: Header=BB632_108 Depth=2
	s_or_b32 exec_lo, exec_lo, s23
	v_mov_b32_e32 v220, 0
	s_waitcnt lgkmcnt(0)
	s_barrier
	buffer_gl0_inv
	s_and_saveexec_b32 s23, s11
; %bb.185:                              ;   in Loop: Header=BB632_108 Depth=2
	ds_read_b32 v220, v62 offset:508
; %bb.186:                              ;   in Loop: Header=BB632_108 Depth=2
	s_or_b32 exec_lo, exec_lo, s23
	s_waitcnt lgkmcnt(0)
	v_add_nc_u32_e32 v219, v220, v219
	ds_bpermute_b32 v219, v131, v219
	s_waitcnt lgkmcnt(0)
	v_cndmask_b32_e64 v219, v219, v220, s15
	v_cndmask_b32_e64 v219, v219, 0, s13
	v_add_nc_u32_e32 v41, v219, v41
	v_add_nc_u32_e32 v42, v41, v42
	;; [unrolled: 1-line block ×4, first 2 shown]
	ds_write2_b32 v68, v219, v41 offset0:136 offset1:137
	ds_write2_b32 v68, v42, v39 offset0:138 offset1:139
	ds_write_b32 v68, v40 offset:560
	s_waitcnt lgkmcnt(0)
	s_barrier
	buffer_gl0_inv
	ds_read_b32 v41, v156 offset:544
	ds_read_b32 v42, v160 offset:544
	;; [unrolled: 1-line block ×17, first 2 shown]
	s_and_saveexec_b32 s23, s8
	s_cbranch_execz .LBB632_190
; %bb.187:                              ;   in Loop: Header=BB632_108 Depth=2
	ds_read_b32 v148, v71 offset:544
	v_mov_b32_e32 v151, 0x1100
	s_and_saveexec_b32 s24, s14
; %bb.188:                              ;   in Loop: Header=BB632_108 Depth=2
	ds_read_b32 v151, v70 offset:544
; %bb.189:                              ;   in Loop: Header=BB632_108 Depth=2
	s_or_b32 exec_lo, exec_lo, s24
	s_waitcnt lgkmcnt(0)
	v_sub_nc_u32_e32 v151, v151, v148
.LBB632_190:                            ;   in Loop: Header=BB632_108 Depth=2
	s_or_b32 exec_lo, exec_lo, s23
	s_waitcnt lgkmcnt(0)
	s_barrier
	buffer_gl0_inv
	s_and_saveexec_b32 s23, s8
	s_cbranch_execz .LBB632_192
; %bb.191:                              ;   in Loop: Header=BB632_108 Depth=2
	ds_read_b32 v165, v43
	s_waitcnt lgkmcnt(0)
	v_sub_nc_u32_e32 v165, v165, v148
	ds_write_b32 v43, v165
.LBB632_192:                            ;   in Loop: Header=BB632_108 Depth=2
	s_or_b32 exec_lo, exec_lo, s23
	v_add_nc_u32_e32 v175, v41, v155
	v_add3_u32 v174, v159, v158, v42
	v_add3_u32 v170, v163, v162, v160
	;; [unrolled: 1-line block ×5, first 2 shown]
	v_lshlrev_b32_e32 v172, 2, v175
	v_lshlrev_b32_e32 v173, 2, v174
	v_add3_u32 v158, v214, v213, v39
	v_lshlrev_b32_e32 v39, 2, v170
	v_add3_u32 v167, v178, v177, v180
	v_add3_u32 v164, v188, v187, v189
	;; [unrolled: 1-line block ×5, first 2 shown]
	ds_write_b32 v172, v153 offset:512
	ds_write_b32 v173, v154 offset:512
	v_lshlrev_b32_e32 v40, 2, v169
	ds_write_b32 v39, v157 offset:512
	v_lshlrev_b32_e32 v39, 2, v165
	v_add3_u32 v162, v194, v193, v195
	v_lshlrev_b32_e32 v153, 2, v168
	v_add3_u32 v160, v198, v197, v199
	;; [unrolled: 2-line block ×3, first 2 shown]
	v_add3_u32 v42, v205, v204, v221
	ds_write_b32 v40, v161 offset:512
	ds_write_b32 v153, v166 offset:512
	;; [unrolled: 1-line block ×3, first 2 shown]
	v_lshlrev_b32_e32 v40, 2, v164
	ds_write_b32 v39, v176 offset:512
	v_lshlrev_b32_e32 v39, 2, v163
	v_lshlrev_b32_e32 v153, 2, v162
	;; [unrolled: 1-line block ×3, first 2 shown]
	v_add3_u32 v41, v208, v207, v222
	ds_write_b32 v40, v181 offset:512
	v_lshlrev_b32_e32 v40, 2, v159
	ds_write_b32 v39, v186 offset:512
	ds_write_b32 v153, v184 offset:512
	;; [unrolled: 1-line block ×3, first 2 shown]
	v_lshlrev_b32_e32 v39, 2, v42
	v_cmp_lt_u32_e32 vcc_lo, v0, v152
	v_lshlrev_b32_e32 v153, 2, v155
	ds_write_b32 v40, v196 offset:512
	v_lshlrev_b32_e32 v40, 2, v41
	ds_write_b32 v39, v200 offset:512
	v_lshlrev_b32_e32 v39, 2, v156
	v_lshlrev_b32_e32 v154, 2, v158
	ds_write_b32 v40, v203 offset:512
	ds_write_b32 v153, v206 offset:512
	;; [unrolled: 1-line block ×4, first 2 shown]
	s_waitcnt lgkmcnt(0)
	s_barrier
	buffer_gl0_inv
	s_and_saveexec_b32 s24, vcc_lo
	s_cbranch_execnz .LBB632_265
; %bb.193:                              ;   in Loop: Header=BB632_108 Depth=2
	s_or_b32 exec_lo, exec_lo, s24
	v_cmp_lt_u32_e64 s23, v44, v152
	s_and_saveexec_b32 s25, s23
	s_cbranch_execnz .LBB632_266
.LBB632_194:                            ;   in Loop: Header=BB632_108 Depth=2
	s_or_b32 exec_lo, exec_lo, s25
	v_cmp_lt_u32_e64 s24, v47, v152
	s_and_saveexec_b32 s26, s24
	s_cbranch_execnz .LBB632_267
.LBB632_195:                            ;   in Loop: Header=BB632_108 Depth=2
	s_or_b32 exec_lo, exec_lo, s26
	v_cmp_lt_u32_e64 s25, v48, v152
	s_and_saveexec_b32 s27, s25
	s_cbranch_execnz .LBB632_268
.LBB632_196:                            ;   in Loop: Header=BB632_108 Depth=2
	s_or_b32 exec_lo, exec_lo, s27
	v_cmp_lt_u32_e64 s26, v49, v152
	s_and_saveexec_b32 s28, s26
	s_cbranch_execnz .LBB632_269
.LBB632_197:                            ;   in Loop: Header=BB632_108 Depth=2
	s_or_b32 exec_lo, exec_lo, s28
	v_cmp_lt_u32_e64 s27, v50, v152
	s_and_saveexec_b32 s29, s27
	s_cbranch_execnz .LBB632_270
.LBB632_198:                            ;   in Loop: Header=BB632_108 Depth=2
	s_or_b32 exec_lo, exec_lo, s29
	v_cmp_lt_u32_e64 s28, v51, v152
	s_and_saveexec_b32 s30, s28
	s_cbranch_execnz .LBB632_271
.LBB632_199:                            ;   in Loop: Header=BB632_108 Depth=2
	s_or_b32 exec_lo, exec_lo, s30
	v_cmp_lt_u32_e64 s29, v52, v152
	s_and_saveexec_b32 s31, s29
	s_cbranch_execnz .LBB632_272
.LBB632_200:                            ;   in Loop: Header=BB632_108 Depth=2
	s_or_b32 exec_lo, exec_lo, s31
	v_cmp_lt_u32_e64 s30, v53, v152
	s_and_saveexec_b32 s33, s30
	s_cbranch_execnz .LBB632_273
.LBB632_201:                            ;   in Loop: Header=BB632_108 Depth=2
	s_or_b32 exec_lo, exec_lo, s33
	v_cmp_lt_u32_e64 s31, v54, v152
	s_and_saveexec_b32 s34, s31
	s_cbranch_execnz .LBB632_274
.LBB632_202:                            ;   in Loop: Header=BB632_108 Depth=2
	s_or_b32 exec_lo, exec_lo, s34
	v_cmp_lt_u32_e64 s33, v55, v152
	s_and_saveexec_b32 s35, s33
	s_cbranch_execnz .LBB632_275
.LBB632_203:                            ;   in Loop: Header=BB632_108 Depth=2
	s_or_b32 exec_lo, exec_lo, s35
	v_cmp_lt_u32_e64 s34, v56, v152
	s_and_saveexec_b32 s36, s34
	s_cbranch_execnz .LBB632_276
.LBB632_204:                            ;   in Loop: Header=BB632_108 Depth=2
	s_or_b32 exec_lo, exec_lo, s36
	v_cmp_lt_u32_e64 s35, v57, v152
	s_and_saveexec_b32 s37, s35
	s_cbranch_execnz .LBB632_277
.LBB632_205:                            ;   in Loop: Header=BB632_108 Depth=2
	s_or_b32 exec_lo, exec_lo, s37
	v_cmp_lt_u32_e64 s36, v58, v152
	s_and_saveexec_b32 s38, s36
	s_cbranch_execnz .LBB632_278
.LBB632_206:                            ;   in Loop: Header=BB632_108 Depth=2
	s_or_b32 exec_lo, exec_lo, s38
	v_cmp_lt_u32_e64 s37, v59, v152
	s_and_saveexec_b32 s39, s37
	s_cbranch_execnz .LBB632_279
.LBB632_207:                            ;   in Loop: Header=BB632_108 Depth=2
	s_or_b32 exec_lo, exec_lo, s39
	v_cmp_lt_u32_e64 s38, v60, v152
	s_and_saveexec_b32 s40, s38
	s_cbranch_execnz .LBB632_280
.LBB632_208:                            ;   in Loop: Header=BB632_108 Depth=2
	s_or_b32 exec_lo, exec_lo, s40
	v_cmp_lt_u32_e64 s39, v61, v152
	s_and_saveexec_b32 s65, s39
	s_cbranch_execz .LBB632_210
.LBB632_209:                            ;   in Loop: Header=BB632_108 Depth=2
	ds_read_b32 v153, v69 offset:16896
	s_waitcnt lgkmcnt(0)
	v_lshrrev_b32_e32 v3, s61, v153
	v_and_b32_e32 v3, s62, v3
	v_lshlrev_b32_e32 v3, 2, v3
	ds_read_b32 v3, v3
	s_waitcnt lgkmcnt(0)
	v_add_nc_u32_e32 v3, v3, v61
	v_lshlrev_b64 v[39:40], 2, v[3:4]
	v_xor_b32_e32 v3, 0x80000000, v153
	v_add_co_u32 v39, s40, s46, v39
	v_add_co_ci_u32_e64 v40, null, s47, v40, s40
	global_store_dword v[39:40], v3, off
.LBB632_210:                            ;   in Loop: Header=BB632_108 Depth=2
	s_or_b32 exec_lo, exec_lo, s65
	s_lshl_b64 s[66:67], s[50:51], 3
	v_add_co_u32 v39, s40, v110, s66
	v_add_co_ci_u32_e64 v40, null, s67, v111, s40
	v_cmp_lt_u32_e64 s40, v109, v152
	s_and_saveexec_b32 s50, s40
	s_xor_b32 s40, exec_lo, s50
	s_cbranch_execnz .LBB632_281
; %bb.211:                              ;   in Loop: Header=BB632_108 Depth=2
	s_or_b32 exec_lo, exec_lo, s40
	s_mov_b32 s50, exec_lo
	v_cmpx_lt_u32_e64 v112, v152
	s_cbranch_execnz .LBB632_282
.LBB632_212:                            ;   in Loop: Header=BB632_108 Depth=2
	s_or_b32 exec_lo, exec_lo, s50
	s_mov_b32 s50, exec_lo
	v_cmpx_lt_u32_e64 v113, v152
	s_cbranch_execnz .LBB632_283
.LBB632_213:                            ;   in Loop: Header=BB632_108 Depth=2
	s_or_b32 exec_lo, exec_lo, s50
	s_mov_b32 s50, exec_lo
	v_cmpx_lt_u32_e64 v114, v152
	s_cbranch_execnz .LBB632_284
.LBB632_214:                            ;   in Loop: Header=BB632_108 Depth=2
	s_or_b32 exec_lo, exec_lo, s50
	s_mov_b32 s50, exec_lo
	v_cmpx_lt_u32_e64 v115, v152
	s_cbranch_execnz .LBB632_285
.LBB632_215:                            ;   in Loop: Header=BB632_108 Depth=2
	s_or_b32 exec_lo, exec_lo, s50
	s_mov_b32 s50, exec_lo
	v_cmpx_lt_u32_e64 v116, v152
	s_cbranch_execnz .LBB632_286
.LBB632_216:                            ;   in Loop: Header=BB632_108 Depth=2
	s_or_b32 exec_lo, exec_lo, s50
	s_mov_b32 s50, exec_lo
	v_cmpx_lt_u32_e64 v117, v152
	s_cbranch_execnz .LBB632_287
.LBB632_217:                            ;   in Loop: Header=BB632_108 Depth=2
	s_or_b32 exec_lo, exec_lo, s50
	s_mov_b32 s50, exec_lo
	v_cmpx_lt_u32_e64 v118, v152
	s_cbranch_execnz .LBB632_288
.LBB632_218:                            ;   in Loop: Header=BB632_108 Depth=2
	s_or_b32 exec_lo, exec_lo, s50
	s_mov_b32 s50, exec_lo
	v_cmpx_lt_u32_e64 v119, v152
	s_cbranch_execnz .LBB632_289
.LBB632_219:                            ;   in Loop: Header=BB632_108 Depth=2
	s_or_b32 exec_lo, exec_lo, s50
	s_mov_b32 s50, exec_lo
	v_cmpx_lt_u32_e64 v120, v152
	s_cbranch_execnz .LBB632_290
.LBB632_220:                            ;   in Loop: Header=BB632_108 Depth=2
	s_or_b32 exec_lo, exec_lo, s50
	s_mov_b32 s50, exec_lo
	v_cmpx_lt_u32_e64 v121, v152
	s_cbranch_execnz .LBB632_291
.LBB632_221:                            ;   in Loop: Header=BB632_108 Depth=2
	s_or_b32 exec_lo, exec_lo, s50
	s_mov_b32 s50, exec_lo
	v_cmpx_lt_u32_e64 v122, v152
	s_cbranch_execnz .LBB632_292
.LBB632_222:                            ;   in Loop: Header=BB632_108 Depth=2
	s_or_b32 exec_lo, exec_lo, s50
	s_mov_b32 s50, exec_lo
	v_cmpx_lt_u32_e64 v123, v152
	s_cbranch_execnz .LBB632_293
.LBB632_223:                            ;   in Loop: Header=BB632_108 Depth=2
	s_or_b32 exec_lo, exec_lo, s50
	s_mov_b32 s50, exec_lo
	v_cmpx_lt_u32_e64 v124, v152
	s_cbranch_execnz .LBB632_294
.LBB632_224:                            ;   in Loop: Header=BB632_108 Depth=2
	s_or_b32 exec_lo, exec_lo, s50
	s_mov_b32 s50, exec_lo
	v_cmpx_lt_u32_e64 v126, v152
	s_cbranch_execnz .LBB632_295
.LBB632_225:                            ;   in Loop: Header=BB632_108 Depth=2
	s_or_b32 exec_lo, exec_lo, s50
	s_mov_b32 s50, exec_lo
	v_cmpx_lt_u32_e64 v127, v152
	s_cbranch_execnz .LBB632_296
.LBB632_226:                            ;   in Loop: Header=BB632_108 Depth=2
	s_or_b32 exec_lo, exec_lo, s50
	s_mov_b32 s50, exec_lo
	v_cmpx_lt_u32_e64 v128, v152
	s_cbranch_execnz .LBB632_297
.LBB632_227:                            ;   in Loop: Header=BB632_108 Depth=2
	s_or_b32 exec_lo, exec_lo, s50
	s_and_saveexec_b32 s40, vcc_lo
	s_cbranch_execnz .LBB632_298
.LBB632_228:                            ;   in Loop: Header=BB632_108 Depth=2
	s_or_b32 exec_lo, exec_lo, s40
	s_and_saveexec_b32 s40, s23
	s_cbranch_execnz .LBB632_299
.LBB632_229:                            ;   in Loop: Header=BB632_108 Depth=2
	s_or_b32 exec_lo, exec_lo, s40
	s_and_saveexec_b32 s40, s24
	s_cbranch_execnz .LBB632_300
.LBB632_230:                            ;   in Loop: Header=BB632_108 Depth=2
	s_or_b32 exec_lo, exec_lo, s40
	s_and_saveexec_b32 s40, s25
	s_cbranch_execnz .LBB632_301
.LBB632_231:                            ;   in Loop: Header=BB632_108 Depth=2
	s_or_b32 exec_lo, exec_lo, s40
	s_and_saveexec_b32 s40, s26
	s_cbranch_execnz .LBB632_302
.LBB632_232:                            ;   in Loop: Header=BB632_108 Depth=2
	s_or_b32 exec_lo, exec_lo, s40
	s_and_saveexec_b32 s40, s27
	s_cbranch_execnz .LBB632_303
.LBB632_233:                            ;   in Loop: Header=BB632_108 Depth=2
	s_or_b32 exec_lo, exec_lo, s40
	s_and_saveexec_b32 s40, s28
	s_cbranch_execnz .LBB632_304
.LBB632_234:                            ;   in Loop: Header=BB632_108 Depth=2
	s_or_b32 exec_lo, exec_lo, s40
	s_and_saveexec_b32 s40, s29
	s_cbranch_execnz .LBB632_305
.LBB632_235:                            ;   in Loop: Header=BB632_108 Depth=2
	s_or_b32 exec_lo, exec_lo, s40
	s_and_saveexec_b32 s40, s30
	s_cbranch_execnz .LBB632_306
.LBB632_236:                            ;   in Loop: Header=BB632_108 Depth=2
	s_or_b32 exec_lo, exec_lo, s40
	s_and_saveexec_b32 s40, s31
	s_cbranch_execnz .LBB632_307
.LBB632_237:                            ;   in Loop: Header=BB632_108 Depth=2
	s_or_b32 exec_lo, exec_lo, s40
	s_and_saveexec_b32 s40, s33
	s_cbranch_execnz .LBB632_308
.LBB632_238:                            ;   in Loop: Header=BB632_108 Depth=2
	s_or_b32 exec_lo, exec_lo, s40
	s_and_saveexec_b32 s40, s34
	s_cbranch_execnz .LBB632_309
.LBB632_239:                            ;   in Loop: Header=BB632_108 Depth=2
	s_or_b32 exec_lo, exec_lo, s40
	s_and_saveexec_b32 s40, s35
	s_cbranch_execnz .LBB632_310
.LBB632_240:                            ;   in Loop: Header=BB632_108 Depth=2
	s_or_b32 exec_lo, exec_lo, s40
	s_and_saveexec_b32 s40, s36
	s_cbranch_execnz .LBB632_311
.LBB632_241:                            ;   in Loop: Header=BB632_108 Depth=2
	s_or_b32 exec_lo, exec_lo, s40
	s_and_saveexec_b32 s40, s37
	s_cbranch_execnz .LBB632_312
.LBB632_242:                            ;   in Loop: Header=BB632_108 Depth=2
	s_or_b32 exec_lo, exec_lo, s40
	s_and_saveexec_b32 s40, s38
	s_cbranch_execnz .LBB632_313
.LBB632_243:                            ;   in Loop: Header=BB632_108 Depth=2
	s_or_b32 exec_lo, exec_lo, s40
	s_and_saveexec_b32 s40, s39
	s_cbranch_execz .LBB632_245
.LBB632_244:                            ;   in Loop: Header=BB632_108 Depth=2
	ds_read_b32 v3, v69 offset:16896
	s_waitcnt lgkmcnt(0)
	v_lshrrev_b32_e32 v3, s61, v3
	v_and_b32_e32 v133, s62, v3
.LBB632_245:                            ;   in Loop: Header=BB632_108 Depth=2
	s_or_b32 exec_lo, exec_lo, s40
	v_lshlrev_b32_e32 v3, 3, v175
	v_lshlrev_b32_e32 v39, 3, v174
	s_waitcnt vmcnt(0)
	s_waitcnt_vscnt null, 0x0
	s_barrier
	buffer_gl0_inv
	ds_write_b64 v3, v[37:38] offset:512
	ds_write_b64 v39, v[35:36] offset:512
	v_lshlrev_b32_e32 v3, 3, v170
	v_lshlrev_b32_e32 v39, 3, v169
	v_lshlrev_b32_e32 v40, 3, v168
	v_lshlrev_b32_e32 v152, 3, v167
	v_lshlrev_b32_e32 v153, 3, v165
	ds_write_b64 v3, v[33:34] offset:512
	ds_write_b64 v39, v[31:32] offset:512
	ds_write_b64 v40, v[29:30] offset:512
	ds_write_b64 v152, v[25:26] offset:512
	ds_write_b64 v153, v[21:22] offset:512
	v_lshlrev_b32_e32 v3, 3, v164
	v_lshlrev_b32_e32 v39, 3, v163
	v_lshlrev_b32_e32 v40, 3, v162
	v_lshlrev_b32_e32 v152, 3, v160
	v_lshlrev_b32_e32 v153, 3, v159
	ds_write_b64 v3, v[17:18] offset:512
	ds_write_b64 v39, v[27:28] offset:512
	ds_write_b64 v40, v[23:24] offset:512
	;; [unrolled: 10-line block ×3, first 2 shown]
	ds_write_b64 v41, v[7:8] offset:512
	ds_write_b64 v42, v[5:6] offset:512
	s_waitcnt lgkmcnt(0)
	s_barrier
	buffer_gl0_inv
	s_and_saveexec_b32 s40, vcc_lo
	s_cbranch_execnz .LBB632_314
; %bb.246:                              ;   in Loop: Header=BB632_108 Depth=2
	s_or_b32 exec_lo, exec_lo, s40
	s_and_saveexec_b32 s40, s23
	s_cbranch_execnz .LBB632_315
.LBB632_247:                            ;   in Loop: Header=BB632_108 Depth=2
	s_or_b32 exec_lo, exec_lo, s40
	s_and_saveexec_b32 s23, s24
	s_cbranch_execnz .LBB632_316
.LBB632_248:                            ;   in Loop: Header=BB632_108 Depth=2
	s_or_b32 exec_lo, exec_lo, s23
	s_and_saveexec_b32 s23, s25
	s_cbranch_execnz .LBB632_317
.LBB632_249:                            ;   in Loop: Header=BB632_108 Depth=2
	s_or_b32 exec_lo, exec_lo, s23
	s_and_saveexec_b32 s23, s26
	s_cbranch_execnz .LBB632_318
.LBB632_250:                            ;   in Loop: Header=BB632_108 Depth=2
	s_or_b32 exec_lo, exec_lo, s23
	s_and_saveexec_b32 s23, s27
	s_cbranch_execnz .LBB632_319
.LBB632_251:                            ;   in Loop: Header=BB632_108 Depth=2
	s_or_b32 exec_lo, exec_lo, s23
	s_and_saveexec_b32 s23, s28
	s_cbranch_execnz .LBB632_320
.LBB632_252:                            ;   in Loop: Header=BB632_108 Depth=2
	s_or_b32 exec_lo, exec_lo, s23
	s_and_saveexec_b32 s23, s29
	s_cbranch_execnz .LBB632_321
.LBB632_253:                            ;   in Loop: Header=BB632_108 Depth=2
	s_or_b32 exec_lo, exec_lo, s23
	s_and_saveexec_b32 s23, s30
	s_cbranch_execnz .LBB632_322
.LBB632_254:                            ;   in Loop: Header=BB632_108 Depth=2
	s_or_b32 exec_lo, exec_lo, s23
	s_and_saveexec_b32 s23, s31
	s_cbranch_execnz .LBB632_323
.LBB632_255:                            ;   in Loop: Header=BB632_108 Depth=2
	s_or_b32 exec_lo, exec_lo, s23
	s_and_saveexec_b32 s23, s33
	s_cbranch_execnz .LBB632_324
.LBB632_256:                            ;   in Loop: Header=BB632_108 Depth=2
	s_or_b32 exec_lo, exec_lo, s23
	s_and_saveexec_b32 s23, s34
	s_cbranch_execnz .LBB632_325
.LBB632_257:                            ;   in Loop: Header=BB632_108 Depth=2
	s_or_b32 exec_lo, exec_lo, s23
	s_and_saveexec_b32 s23, s35
	s_cbranch_execnz .LBB632_326
.LBB632_258:                            ;   in Loop: Header=BB632_108 Depth=2
	s_or_b32 exec_lo, exec_lo, s23
	s_and_saveexec_b32 s23, s36
	s_cbranch_execnz .LBB632_327
.LBB632_259:                            ;   in Loop: Header=BB632_108 Depth=2
	s_or_b32 exec_lo, exec_lo, s23
	s_and_saveexec_b32 s23, s37
	s_cbranch_execnz .LBB632_328
.LBB632_260:                            ;   in Loop: Header=BB632_108 Depth=2
	s_or_b32 exec_lo, exec_lo, s23
	s_and_saveexec_b32 s23, s38
	s_cbranch_execnz .LBB632_329
.LBB632_261:                            ;   in Loop: Header=BB632_108 Depth=2
	s_or_b32 exec_lo, exec_lo, s23
	s_and_saveexec_b32 s23, s39
	s_cbranch_execz .LBB632_263
.LBB632_262:                            ;   in Loop: Header=BB632_108 Depth=2
	v_lshlrev_b32_e32 v3, 2, v133
	v_add_nc_u32_e32 v39, v69, v43
	ds_read_b32 v3, v3
	ds_read_b64 v[39:40], v39 offset:33280
	s_waitcnt lgkmcnt(1)
	v_add_nc_u32_e32 v3, v3, v61
	v_lshlrev_b64 v[41:42], 3, v[3:4]
	v_add_co_u32 v41, vcc_lo, s52, v41
	v_add_co_ci_u32_e64 v42, null, s53, v42, vcc_lo
	s_waitcnt lgkmcnt(0)
	global_store_dwordx2 v[41:42], v[39:40], off
.LBB632_263:                            ;   in Loop: Header=BB632_108 Depth=2
	s_or_b32 exec_lo, exec_lo, s23
	s_waitcnt_vscnt null, 0x0
	s_barrier
	buffer_gl0_inv
	s_and_saveexec_b32 s23, s8
	s_cbranch_execz .LBB632_107
; %bb.264:                              ;   in Loop: Header=BB632_108 Depth=2
	ds_read_b32 v3, v43
	s_waitcnt lgkmcnt(0)
	v_add3_u32 v3, v148, v151, v3
	ds_write_b32 v43, v3
	s_branch .LBB632_107
.LBB632_265:                            ;   in Loop: Header=BB632_108 Depth=2
	ds_read_b32 v153, v69 offset:512
	s_waitcnt lgkmcnt(0)
	v_lshrrev_b32_e32 v3, s61, v153
	v_and_b32_e32 v3, s62, v3
	v_lshlrev_b32_e32 v3, 2, v3
	ds_read_b32 v3, v3
	s_waitcnt lgkmcnt(0)
	v_add_nc_u32_e32 v3, v3, v0
	v_lshlrev_b64 v[39:40], 2, v[3:4]
	v_xor_b32_e32 v3, 0x80000000, v153
	v_add_co_u32 v39, s23, s46, v39
	v_add_co_ci_u32_e64 v40, null, s47, v40, s23
	global_store_dword v[39:40], v3, off
	s_or_b32 exec_lo, exec_lo, s24
	v_cmp_lt_u32_e64 s23, v44, v152
	s_and_saveexec_b32 s25, s23
	s_cbranch_execz .LBB632_194
.LBB632_266:                            ;   in Loop: Header=BB632_108 Depth=2
	ds_read_b32 v153, v69 offset:1536
	s_waitcnt lgkmcnt(0)
	v_lshrrev_b32_e32 v3, s61, v153
	v_and_b32_e32 v3, s62, v3
	v_lshlrev_b32_e32 v3, 2, v3
	ds_read_b32 v3, v3
	s_waitcnt lgkmcnt(0)
	v_add_nc_u32_e32 v3, v3, v44
	v_lshlrev_b64 v[39:40], 2, v[3:4]
	v_xor_b32_e32 v3, 0x80000000, v153
	v_add_co_u32 v39, s24, s46, v39
	v_add_co_ci_u32_e64 v40, null, s47, v40, s24
	global_store_dword v[39:40], v3, off
	s_or_b32 exec_lo, exec_lo, s25
	v_cmp_lt_u32_e64 s24, v47, v152
	s_and_saveexec_b32 s26, s24
	s_cbranch_execz .LBB632_195
.LBB632_267:                            ;   in Loop: Header=BB632_108 Depth=2
	ds_read_b32 v153, v69 offset:2560
	s_waitcnt lgkmcnt(0)
	v_lshrrev_b32_e32 v3, s61, v153
	v_and_b32_e32 v3, s62, v3
	v_lshlrev_b32_e32 v3, 2, v3
	ds_read_b32 v3, v3
	s_waitcnt lgkmcnt(0)
	v_add_nc_u32_e32 v3, v3, v47
	v_lshlrev_b64 v[39:40], 2, v[3:4]
	v_xor_b32_e32 v3, 0x80000000, v153
	v_add_co_u32 v39, s25, s46, v39
	v_add_co_ci_u32_e64 v40, null, s47, v40, s25
	global_store_dword v[39:40], v3, off
	s_or_b32 exec_lo, exec_lo, s26
	v_cmp_lt_u32_e64 s25, v48, v152
	s_and_saveexec_b32 s27, s25
	s_cbranch_execz .LBB632_196
.LBB632_268:                            ;   in Loop: Header=BB632_108 Depth=2
	ds_read_b32 v153, v69 offset:3584
	s_waitcnt lgkmcnt(0)
	v_lshrrev_b32_e32 v3, s61, v153
	v_and_b32_e32 v3, s62, v3
	v_lshlrev_b32_e32 v3, 2, v3
	ds_read_b32 v3, v3
	s_waitcnt lgkmcnt(0)
	v_add_nc_u32_e32 v3, v3, v48
	v_lshlrev_b64 v[39:40], 2, v[3:4]
	v_xor_b32_e32 v3, 0x80000000, v153
	v_add_co_u32 v39, s26, s46, v39
	v_add_co_ci_u32_e64 v40, null, s47, v40, s26
	global_store_dword v[39:40], v3, off
	s_or_b32 exec_lo, exec_lo, s27
	v_cmp_lt_u32_e64 s26, v49, v152
	s_and_saveexec_b32 s28, s26
	s_cbranch_execz .LBB632_197
.LBB632_269:                            ;   in Loop: Header=BB632_108 Depth=2
	ds_read_b32 v153, v69 offset:4608
	s_waitcnt lgkmcnt(0)
	v_lshrrev_b32_e32 v3, s61, v153
	v_and_b32_e32 v3, s62, v3
	v_lshlrev_b32_e32 v3, 2, v3
	ds_read_b32 v3, v3
	s_waitcnt lgkmcnt(0)
	v_add_nc_u32_e32 v3, v3, v49
	v_lshlrev_b64 v[39:40], 2, v[3:4]
	v_xor_b32_e32 v3, 0x80000000, v153
	v_add_co_u32 v39, s27, s46, v39
	v_add_co_ci_u32_e64 v40, null, s47, v40, s27
	global_store_dword v[39:40], v3, off
	s_or_b32 exec_lo, exec_lo, s28
	v_cmp_lt_u32_e64 s27, v50, v152
	s_and_saveexec_b32 s29, s27
	s_cbranch_execz .LBB632_198
.LBB632_270:                            ;   in Loop: Header=BB632_108 Depth=2
	ds_read_b32 v153, v69 offset:5632
	s_waitcnt lgkmcnt(0)
	v_lshrrev_b32_e32 v3, s61, v153
	v_and_b32_e32 v3, s62, v3
	v_lshlrev_b32_e32 v3, 2, v3
	ds_read_b32 v3, v3
	s_waitcnt lgkmcnt(0)
	v_add_nc_u32_e32 v3, v3, v50
	v_lshlrev_b64 v[39:40], 2, v[3:4]
	v_xor_b32_e32 v3, 0x80000000, v153
	v_add_co_u32 v39, s28, s46, v39
	v_add_co_ci_u32_e64 v40, null, s47, v40, s28
	global_store_dword v[39:40], v3, off
	s_or_b32 exec_lo, exec_lo, s29
	v_cmp_lt_u32_e64 s28, v51, v152
	s_and_saveexec_b32 s30, s28
	s_cbranch_execz .LBB632_199
.LBB632_271:                            ;   in Loop: Header=BB632_108 Depth=2
	ds_read_b32 v153, v69 offset:6656
	s_waitcnt lgkmcnt(0)
	v_lshrrev_b32_e32 v3, s61, v153
	v_and_b32_e32 v3, s62, v3
	v_lshlrev_b32_e32 v3, 2, v3
	ds_read_b32 v3, v3
	s_waitcnt lgkmcnt(0)
	v_add_nc_u32_e32 v3, v3, v51
	v_lshlrev_b64 v[39:40], 2, v[3:4]
	v_xor_b32_e32 v3, 0x80000000, v153
	v_add_co_u32 v39, s29, s46, v39
	v_add_co_ci_u32_e64 v40, null, s47, v40, s29
	global_store_dword v[39:40], v3, off
	s_or_b32 exec_lo, exec_lo, s30
	v_cmp_lt_u32_e64 s29, v52, v152
	s_and_saveexec_b32 s31, s29
	s_cbranch_execz .LBB632_200
.LBB632_272:                            ;   in Loop: Header=BB632_108 Depth=2
	ds_read_b32 v153, v69 offset:7680
	s_waitcnt lgkmcnt(0)
	v_lshrrev_b32_e32 v3, s61, v153
	v_and_b32_e32 v3, s62, v3
	v_lshlrev_b32_e32 v3, 2, v3
	ds_read_b32 v3, v3
	s_waitcnt lgkmcnt(0)
	v_add_nc_u32_e32 v3, v3, v52
	v_lshlrev_b64 v[39:40], 2, v[3:4]
	v_xor_b32_e32 v3, 0x80000000, v153
	v_add_co_u32 v39, s30, s46, v39
	v_add_co_ci_u32_e64 v40, null, s47, v40, s30
	global_store_dword v[39:40], v3, off
	s_or_b32 exec_lo, exec_lo, s31
	v_cmp_lt_u32_e64 s30, v53, v152
	s_and_saveexec_b32 s33, s30
	s_cbranch_execz .LBB632_201
.LBB632_273:                            ;   in Loop: Header=BB632_108 Depth=2
	ds_read_b32 v153, v69 offset:8704
	s_waitcnt lgkmcnt(0)
	v_lshrrev_b32_e32 v3, s61, v153
	v_and_b32_e32 v3, s62, v3
	v_lshlrev_b32_e32 v3, 2, v3
	ds_read_b32 v3, v3
	s_waitcnt lgkmcnt(0)
	v_add_nc_u32_e32 v3, v3, v53
	v_lshlrev_b64 v[39:40], 2, v[3:4]
	v_xor_b32_e32 v3, 0x80000000, v153
	v_add_co_u32 v39, s31, s46, v39
	v_add_co_ci_u32_e64 v40, null, s47, v40, s31
	global_store_dword v[39:40], v3, off
	s_or_b32 exec_lo, exec_lo, s33
	v_cmp_lt_u32_e64 s31, v54, v152
	s_and_saveexec_b32 s34, s31
	s_cbranch_execz .LBB632_202
.LBB632_274:                            ;   in Loop: Header=BB632_108 Depth=2
	ds_read_b32 v153, v69 offset:9728
	s_waitcnt lgkmcnt(0)
	v_lshrrev_b32_e32 v3, s61, v153
	v_and_b32_e32 v3, s62, v3
	v_lshlrev_b32_e32 v3, 2, v3
	ds_read_b32 v3, v3
	s_waitcnt lgkmcnt(0)
	v_add_nc_u32_e32 v3, v3, v54
	v_lshlrev_b64 v[39:40], 2, v[3:4]
	v_xor_b32_e32 v3, 0x80000000, v153
	v_add_co_u32 v39, s33, s46, v39
	v_add_co_ci_u32_e64 v40, null, s47, v40, s33
	global_store_dword v[39:40], v3, off
	s_or_b32 exec_lo, exec_lo, s34
	v_cmp_lt_u32_e64 s33, v55, v152
	s_and_saveexec_b32 s35, s33
	s_cbranch_execz .LBB632_203
.LBB632_275:                            ;   in Loop: Header=BB632_108 Depth=2
	ds_read_b32 v153, v69 offset:10752
	s_waitcnt lgkmcnt(0)
	v_lshrrev_b32_e32 v3, s61, v153
	v_and_b32_e32 v3, s62, v3
	v_lshlrev_b32_e32 v3, 2, v3
	ds_read_b32 v3, v3
	s_waitcnt lgkmcnt(0)
	v_add_nc_u32_e32 v3, v3, v55
	v_lshlrev_b64 v[39:40], 2, v[3:4]
	v_xor_b32_e32 v3, 0x80000000, v153
	v_add_co_u32 v39, s34, s46, v39
	v_add_co_ci_u32_e64 v40, null, s47, v40, s34
	global_store_dword v[39:40], v3, off
	s_or_b32 exec_lo, exec_lo, s35
	v_cmp_lt_u32_e64 s34, v56, v152
	s_and_saveexec_b32 s36, s34
	s_cbranch_execz .LBB632_204
.LBB632_276:                            ;   in Loop: Header=BB632_108 Depth=2
	ds_read_b32 v153, v69 offset:11776
	s_waitcnt lgkmcnt(0)
	v_lshrrev_b32_e32 v3, s61, v153
	v_and_b32_e32 v3, s62, v3
	v_lshlrev_b32_e32 v3, 2, v3
	ds_read_b32 v3, v3
	s_waitcnt lgkmcnt(0)
	v_add_nc_u32_e32 v3, v3, v56
	v_lshlrev_b64 v[39:40], 2, v[3:4]
	v_xor_b32_e32 v3, 0x80000000, v153
	v_add_co_u32 v39, s35, s46, v39
	v_add_co_ci_u32_e64 v40, null, s47, v40, s35
	global_store_dword v[39:40], v3, off
	s_or_b32 exec_lo, exec_lo, s36
	v_cmp_lt_u32_e64 s35, v57, v152
	s_and_saveexec_b32 s37, s35
	s_cbranch_execz .LBB632_205
.LBB632_277:                            ;   in Loop: Header=BB632_108 Depth=2
	ds_read_b32 v153, v69 offset:12800
	s_waitcnt lgkmcnt(0)
	v_lshrrev_b32_e32 v3, s61, v153
	v_and_b32_e32 v3, s62, v3
	v_lshlrev_b32_e32 v3, 2, v3
	ds_read_b32 v3, v3
	s_waitcnt lgkmcnt(0)
	v_add_nc_u32_e32 v3, v3, v57
	v_lshlrev_b64 v[39:40], 2, v[3:4]
	v_xor_b32_e32 v3, 0x80000000, v153
	v_add_co_u32 v39, s36, s46, v39
	v_add_co_ci_u32_e64 v40, null, s47, v40, s36
	global_store_dword v[39:40], v3, off
	s_or_b32 exec_lo, exec_lo, s37
	v_cmp_lt_u32_e64 s36, v58, v152
	s_and_saveexec_b32 s38, s36
	s_cbranch_execz .LBB632_206
.LBB632_278:                            ;   in Loop: Header=BB632_108 Depth=2
	ds_read_b32 v153, v69 offset:13824
	s_waitcnt lgkmcnt(0)
	v_lshrrev_b32_e32 v3, s61, v153
	v_and_b32_e32 v3, s62, v3
	v_lshlrev_b32_e32 v3, 2, v3
	ds_read_b32 v3, v3
	s_waitcnt lgkmcnt(0)
	v_add_nc_u32_e32 v3, v3, v58
	v_lshlrev_b64 v[39:40], 2, v[3:4]
	v_xor_b32_e32 v3, 0x80000000, v153
	v_add_co_u32 v39, s37, s46, v39
	v_add_co_ci_u32_e64 v40, null, s47, v40, s37
	global_store_dword v[39:40], v3, off
	s_or_b32 exec_lo, exec_lo, s38
	v_cmp_lt_u32_e64 s37, v59, v152
	s_and_saveexec_b32 s39, s37
	s_cbranch_execz .LBB632_207
.LBB632_279:                            ;   in Loop: Header=BB632_108 Depth=2
	ds_read_b32 v153, v69 offset:14848
	s_waitcnt lgkmcnt(0)
	v_lshrrev_b32_e32 v3, s61, v153
	v_and_b32_e32 v3, s62, v3
	v_lshlrev_b32_e32 v3, 2, v3
	ds_read_b32 v3, v3
	s_waitcnt lgkmcnt(0)
	v_add_nc_u32_e32 v3, v3, v59
	v_lshlrev_b64 v[39:40], 2, v[3:4]
	v_xor_b32_e32 v3, 0x80000000, v153
	v_add_co_u32 v39, s38, s46, v39
	v_add_co_ci_u32_e64 v40, null, s47, v40, s38
	global_store_dword v[39:40], v3, off
	s_or_b32 exec_lo, exec_lo, s39
	v_cmp_lt_u32_e64 s38, v60, v152
	s_and_saveexec_b32 s40, s38
	s_cbranch_execz .LBB632_208
.LBB632_280:                            ;   in Loop: Header=BB632_108 Depth=2
	ds_read_b32 v153, v69 offset:15872
	s_waitcnt lgkmcnt(0)
	v_lshrrev_b32_e32 v3, s61, v153
	v_and_b32_e32 v3, s62, v3
	v_lshlrev_b32_e32 v3, 2, v3
	ds_read_b32 v3, v3
	s_waitcnt lgkmcnt(0)
	v_add_nc_u32_e32 v3, v3, v60
	v_lshlrev_b64 v[39:40], 2, v[3:4]
	v_xor_b32_e32 v3, 0x80000000, v153
	v_add_co_u32 v39, s39, s46, v39
	v_add_co_ci_u32_e64 v40, null, s47, v40, s39
	global_store_dword v[39:40], v3, off
	s_or_b32 exec_lo, exec_lo, s40
	v_cmp_lt_u32_e64 s39, v61, v152
	s_and_saveexec_b32 s65, s39
	s_cbranch_execnz .LBB632_209
	s_branch .LBB632_210
.LBB632_281:                            ;   in Loop: Header=BB632_108 Depth=2
	global_load_dwordx2 v[37:38], v[39:40], off
	s_or_b32 exec_lo, exec_lo, s40
	s_mov_b32 s50, exec_lo
	v_cmpx_lt_u32_e64 v112, v152
	s_cbranch_execz .LBB632_212
.LBB632_282:                            ;   in Loop: Header=BB632_108 Depth=2
	global_load_dwordx2 v[35:36], v[39:40], off offset:256
	s_or_b32 exec_lo, exec_lo, s50
	s_mov_b32 s50, exec_lo
	v_cmpx_lt_u32_e64 v113, v152
	s_cbranch_execz .LBB632_213
.LBB632_283:                            ;   in Loop: Header=BB632_108 Depth=2
	global_load_dwordx2 v[33:34], v[39:40], off offset:512
	s_or_b32 exec_lo, exec_lo, s50
	s_mov_b32 s50, exec_lo
	v_cmpx_lt_u32_e64 v114, v152
	s_cbranch_execz .LBB632_214
.LBB632_284:                            ;   in Loop: Header=BB632_108 Depth=2
	global_load_dwordx2 v[31:32], v[39:40], off offset:768
	s_or_b32 exec_lo, exec_lo, s50
	s_mov_b32 s50, exec_lo
	v_cmpx_lt_u32_e64 v115, v152
	s_cbranch_execz .LBB632_215
.LBB632_285:                            ;   in Loop: Header=BB632_108 Depth=2
	global_load_dwordx2 v[29:30], v[39:40], off offset:1024
	s_or_b32 exec_lo, exec_lo, s50
	s_mov_b32 s50, exec_lo
	v_cmpx_lt_u32_e64 v116, v152
	s_cbranch_execz .LBB632_216
.LBB632_286:                            ;   in Loop: Header=BB632_108 Depth=2
	global_load_dwordx2 v[25:26], v[39:40], off offset:1280
	s_or_b32 exec_lo, exec_lo, s50
	s_mov_b32 s50, exec_lo
	v_cmpx_lt_u32_e64 v117, v152
	s_cbranch_execz .LBB632_217
.LBB632_287:                            ;   in Loop: Header=BB632_108 Depth=2
	global_load_dwordx2 v[21:22], v[39:40], off offset:1536
	s_or_b32 exec_lo, exec_lo, s50
	s_mov_b32 s50, exec_lo
	v_cmpx_lt_u32_e64 v118, v152
	s_cbranch_execz .LBB632_218
.LBB632_288:                            ;   in Loop: Header=BB632_108 Depth=2
	global_load_dwordx2 v[17:18], v[39:40], off offset:1792
	s_or_b32 exec_lo, exec_lo, s50
	s_mov_b32 s50, exec_lo
	v_cmpx_lt_u32_e64 v119, v152
	s_cbranch_execz .LBB632_219
.LBB632_289:                            ;   in Loop: Header=BB632_108 Depth=2
	v_add_co_u32 v27, s40, 0x800, v39
	v_add_co_ci_u32_e64 v28, null, 0, v40, s40
	global_load_dwordx2 v[27:28], v[27:28], off
	s_or_b32 exec_lo, exec_lo, s50
	s_mov_b32 s50, exec_lo
	v_cmpx_lt_u32_e64 v120, v152
	s_cbranch_execz .LBB632_220
.LBB632_290:                            ;   in Loop: Header=BB632_108 Depth=2
	v_add_co_u32 v23, s40, 0x800, v39
	v_add_co_ci_u32_e64 v24, null, 0, v40, s40
	global_load_dwordx2 v[23:24], v[23:24], off offset:256
	s_or_b32 exec_lo, exec_lo, s50
	s_mov_b32 s50, exec_lo
	v_cmpx_lt_u32_e64 v121, v152
	s_cbranch_execz .LBB632_221
.LBB632_291:                            ;   in Loop: Header=BB632_108 Depth=2
	v_add_co_u32 v19, s40, 0x800, v39
	v_add_co_ci_u32_e64 v20, null, 0, v40, s40
	global_load_dwordx2 v[19:20], v[19:20], off offset:512
	s_or_b32 exec_lo, exec_lo, s50
	s_mov_b32 s50, exec_lo
	v_cmpx_lt_u32_e64 v122, v152
	s_cbranch_execz .LBB632_222
.LBB632_292:                            ;   in Loop: Header=BB632_108 Depth=2
	v_add_co_u32 v15, s40, 0x800, v39
	v_add_co_ci_u32_e64 v16, null, 0, v40, s40
	global_load_dwordx2 v[15:16], v[15:16], off offset:768
	s_or_b32 exec_lo, exec_lo, s50
	s_mov_b32 s50, exec_lo
	v_cmpx_lt_u32_e64 v123, v152
	s_cbranch_execz .LBB632_223
.LBB632_293:                            ;   in Loop: Header=BB632_108 Depth=2
	v_add_co_u32 v13, s40, 0x800, v39
	v_add_co_ci_u32_e64 v14, null, 0, v40, s40
	global_load_dwordx2 v[13:14], v[13:14], off offset:1024
	s_or_b32 exec_lo, exec_lo, s50
	s_mov_b32 s50, exec_lo
	v_cmpx_lt_u32_e64 v124, v152
	s_cbranch_execz .LBB632_224
.LBB632_294:                            ;   in Loop: Header=BB632_108 Depth=2
	v_add_co_u32 v11, s40, 0x800, v39
	v_add_co_ci_u32_e64 v12, null, 0, v40, s40
	global_load_dwordx2 v[11:12], v[11:12], off offset:1280
	s_or_b32 exec_lo, exec_lo, s50
	s_mov_b32 s50, exec_lo
	v_cmpx_lt_u32_e64 v126, v152
	s_cbranch_execz .LBB632_225
.LBB632_295:                            ;   in Loop: Header=BB632_108 Depth=2
	v_add_co_u32 v9, s40, 0x800, v39
	v_add_co_ci_u32_e64 v10, null, 0, v40, s40
	global_load_dwordx2 v[9:10], v[9:10], off offset:1536
	s_or_b32 exec_lo, exec_lo, s50
	s_mov_b32 s50, exec_lo
	v_cmpx_lt_u32_e64 v127, v152
	s_cbranch_execz .LBB632_226
.LBB632_296:                            ;   in Loop: Header=BB632_108 Depth=2
	v_add_co_u32 v7, s40, 0x800, v39
	v_add_co_ci_u32_e64 v8, null, 0, v40, s40
	global_load_dwordx2 v[7:8], v[7:8], off offset:1792
	s_or_b32 exec_lo, exec_lo, s50
	s_mov_b32 s50, exec_lo
	v_cmpx_lt_u32_e64 v128, v152
	s_cbranch_execz .LBB632_227
.LBB632_297:                            ;   in Loop: Header=BB632_108 Depth=2
	v_add_co_u32 v5, s40, 0x1000, v39
	v_add_co_ci_u32_e64 v6, null, 0, v40, s40
	global_load_dwordx2 v[5:6], v[5:6], off
	s_or_b32 exec_lo, exec_lo, s50
	s_and_saveexec_b32 s40, vcc_lo
	s_cbranch_execz .LBB632_228
.LBB632_298:                            ;   in Loop: Header=BB632_108 Depth=2
	ds_read_b32 v3, v69 offset:512
	s_waitcnt lgkmcnt(0)
	v_lshrrev_b32_e32 v3, s61, v3
	v_and_b32_e32 v150, s62, v3
	s_or_b32 exec_lo, exec_lo, s40
	s_and_saveexec_b32 s40, s23
	s_cbranch_execz .LBB632_229
.LBB632_299:                            ;   in Loop: Header=BB632_108 Depth=2
	ds_read_b32 v3, v69 offset:1536
	s_waitcnt lgkmcnt(0)
	v_lshrrev_b32_e32 v3, s61, v3
	v_and_b32_e32 v149, s62, v3
	s_or_b32 exec_lo, exec_lo, s40
	s_and_saveexec_b32 s40, s24
	s_cbranch_execz .LBB632_230
.LBB632_300:                            ;   in Loop: Header=BB632_108 Depth=2
	ds_read_b32 v3, v69 offset:2560
	s_waitcnt lgkmcnt(0)
	v_lshrrev_b32_e32 v3, s61, v3
	v_and_b32_e32 v147, s62, v3
	s_or_b32 exec_lo, exec_lo, s40
	s_and_saveexec_b32 s40, s25
	s_cbranch_execz .LBB632_231
.LBB632_301:                            ;   in Loop: Header=BB632_108 Depth=2
	ds_read_b32 v3, v69 offset:3584
	s_waitcnt lgkmcnt(0)
	v_lshrrev_b32_e32 v3, s61, v3
	v_and_b32_e32 v146, s62, v3
	s_or_b32 exec_lo, exec_lo, s40
	s_and_saveexec_b32 s40, s26
	s_cbranch_execz .LBB632_232
.LBB632_302:                            ;   in Loop: Header=BB632_108 Depth=2
	ds_read_b32 v3, v69 offset:4608
	s_waitcnt lgkmcnt(0)
	v_lshrrev_b32_e32 v3, s61, v3
	v_and_b32_e32 v145, s62, v3
	s_or_b32 exec_lo, exec_lo, s40
	s_and_saveexec_b32 s40, s27
	s_cbranch_execz .LBB632_233
.LBB632_303:                            ;   in Loop: Header=BB632_108 Depth=2
	ds_read_b32 v3, v69 offset:5632
	s_waitcnt lgkmcnt(0)
	v_lshrrev_b32_e32 v3, s61, v3
	v_and_b32_e32 v144, s62, v3
	s_or_b32 exec_lo, exec_lo, s40
	s_and_saveexec_b32 s40, s28
	s_cbranch_execz .LBB632_234
.LBB632_304:                            ;   in Loop: Header=BB632_108 Depth=2
	ds_read_b32 v3, v69 offset:6656
	s_waitcnt lgkmcnt(0)
	v_lshrrev_b32_e32 v3, s61, v3
	v_and_b32_e32 v143, s62, v3
	s_or_b32 exec_lo, exec_lo, s40
	s_and_saveexec_b32 s40, s29
	s_cbranch_execz .LBB632_235
.LBB632_305:                            ;   in Loop: Header=BB632_108 Depth=2
	ds_read_b32 v3, v69 offset:7680
	s_waitcnt lgkmcnt(0)
	v_lshrrev_b32_e32 v3, s61, v3
	v_and_b32_e32 v142, s62, v3
	s_or_b32 exec_lo, exec_lo, s40
	s_and_saveexec_b32 s40, s30
	s_cbranch_execz .LBB632_236
.LBB632_306:                            ;   in Loop: Header=BB632_108 Depth=2
	ds_read_b32 v3, v69 offset:8704
	s_waitcnt lgkmcnt(0)
	v_lshrrev_b32_e32 v3, s61, v3
	v_and_b32_e32 v141, s62, v3
	s_or_b32 exec_lo, exec_lo, s40
	s_and_saveexec_b32 s40, s31
	s_cbranch_execz .LBB632_237
.LBB632_307:                            ;   in Loop: Header=BB632_108 Depth=2
	ds_read_b32 v3, v69 offset:9728
	s_waitcnt lgkmcnt(0)
	v_lshrrev_b32_e32 v3, s61, v3
	v_and_b32_e32 v140, s62, v3
	s_or_b32 exec_lo, exec_lo, s40
	s_and_saveexec_b32 s40, s33
	s_cbranch_execz .LBB632_238
.LBB632_308:                            ;   in Loop: Header=BB632_108 Depth=2
	ds_read_b32 v3, v69 offset:10752
	s_waitcnt lgkmcnt(0)
	v_lshrrev_b32_e32 v3, s61, v3
	v_and_b32_e32 v139, s62, v3
	s_or_b32 exec_lo, exec_lo, s40
	s_and_saveexec_b32 s40, s34
	s_cbranch_execz .LBB632_239
.LBB632_309:                            ;   in Loop: Header=BB632_108 Depth=2
	ds_read_b32 v3, v69 offset:11776
	s_waitcnt lgkmcnt(0)
	v_lshrrev_b32_e32 v3, s61, v3
	v_and_b32_e32 v138, s62, v3
	s_or_b32 exec_lo, exec_lo, s40
	s_and_saveexec_b32 s40, s35
	s_cbranch_execz .LBB632_240
.LBB632_310:                            ;   in Loop: Header=BB632_108 Depth=2
	ds_read_b32 v3, v69 offset:12800
	s_waitcnt lgkmcnt(0)
	v_lshrrev_b32_e32 v3, s61, v3
	v_and_b32_e32 v137, s62, v3
	s_or_b32 exec_lo, exec_lo, s40
	s_and_saveexec_b32 s40, s36
	s_cbranch_execz .LBB632_241
.LBB632_311:                            ;   in Loop: Header=BB632_108 Depth=2
	ds_read_b32 v3, v69 offset:13824
	s_waitcnt lgkmcnt(0)
	v_lshrrev_b32_e32 v3, s61, v3
	v_and_b32_e32 v136, s62, v3
	s_or_b32 exec_lo, exec_lo, s40
	s_and_saveexec_b32 s40, s37
	s_cbranch_execz .LBB632_242
.LBB632_312:                            ;   in Loop: Header=BB632_108 Depth=2
	ds_read_b32 v3, v69 offset:14848
	s_waitcnt lgkmcnt(0)
	v_lshrrev_b32_e32 v3, s61, v3
	v_and_b32_e32 v135, s62, v3
	s_or_b32 exec_lo, exec_lo, s40
	s_and_saveexec_b32 s40, s38
	s_cbranch_execz .LBB632_243
.LBB632_313:                            ;   in Loop: Header=BB632_108 Depth=2
	ds_read_b32 v3, v69 offset:15872
	s_waitcnt lgkmcnt(0)
	v_lshrrev_b32_e32 v3, s61, v3
	v_and_b32_e32 v134, s62, v3
	s_or_b32 exec_lo, exec_lo, s40
	s_and_saveexec_b32 s40, s39
	s_cbranch_execnz .LBB632_244
	s_branch .LBB632_245
.LBB632_314:                            ;   in Loop: Header=BB632_108 Depth=2
	v_lshlrev_b32_e32 v3, 2, v150
	v_add_nc_u32_e32 v39, v69, v43
	ds_read_b32 v3, v3
	ds_read_b64 v[39:40], v39 offset:512
	s_waitcnt lgkmcnt(1)
	v_add_nc_u32_e32 v3, v3, v0
	v_lshlrev_b64 v[41:42], 3, v[3:4]
	v_add_co_u32 v41, vcc_lo, s52, v41
	v_add_co_ci_u32_e64 v42, null, s53, v42, vcc_lo
	s_waitcnt lgkmcnt(0)
	global_store_dwordx2 v[41:42], v[39:40], off
	s_or_b32 exec_lo, exec_lo, s40
	s_and_saveexec_b32 s40, s23
	s_cbranch_execz .LBB632_247
.LBB632_315:                            ;   in Loop: Header=BB632_108 Depth=2
	v_lshlrev_b32_e32 v3, 2, v149
	v_add_nc_u32_e32 v39, v69, v43
	ds_read_b32 v3, v3
	ds_read_b64 v[39:40], v39 offset:2560
	s_waitcnt lgkmcnt(1)
	v_add_nc_u32_e32 v3, v3, v44
	v_lshlrev_b64 v[41:42], 3, v[3:4]
	v_add_co_u32 v41, vcc_lo, s52, v41
	v_add_co_ci_u32_e64 v42, null, s53, v42, vcc_lo
	s_waitcnt lgkmcnt(0)
	global_store_dwordx2 v[41:42], v[39:40], off
	s_or_b32 exec_lo, exec_lo, s40
	s_and_saveexec_b32 s23, s24
	s_cbranch_execz .LBB632_248
.LBB632_316:                            ;   in Loop: Header=BB632_108 Depth=2
	v_lshlrev_b32_e32 v3, 2, v147
	v_add_nc_u32_e32 v39, v69, v43
	ds_read_b32 v3, v3
	ds_read_b64 v[39:40], v39 offset:4608
	s_waitcnt lgkmcnt(1)
	v_add_nc_u32_e32 v3, v3, v47
	v_lshlrev_b64 v[41:42], 3, v[3:4]
	v_add_co_u32 v41, vcc_lo, s52, v41
	v_add_co_ci_u32_e64 v42, null, s53, v42, vcc_lo
	s_waitcnt lgkmcnt(0)
	global_store_dwordx2 v[41:42], v[39:40], off
	s_or_b32 exec_lo, exec_lo, s23
	s_and_saveexec_b32 s23, s25
	s_cbranch_execz .LBB632_249
.LBB632_317:                            ;   in Loop: Header=BB632_108 Depth=2
	v_lshlrev_b32_e32 v3, 2, v146
	v_add_nc_u32_e32 v39, v69, v43
	ds_read_b32 v3, v3
	ds_read_b64 v[39:40], v39 offset:6656
	s_waitcnt lgkmcnt(1)
	v_add_nc_u32_e32 v3, v3, v48
	v_lshlrev_b64 v[41:42], 3, v[3:4]
	v_add_co_u32 v41, vcc_lo, s52, v41
	v_add_co_ci_u32_e64 v42, null, s53, v42, vcc_lo
	s_waitcnt lgkmcnt(0)
	global_store_dwordx2 v[41:42], v[39:40], off
	s_or_b32 exec_lo, exec_lo, s23
	s_and_saveexec_b32 s23, s26
	s_cbranch_execz .LBB632_250
.LBB632_318:                            ;   in Loop: Header=BB632_108 Depth=2
	v_lshlrev_b32_e32 v3, 2, v145
	v_add_nc_u32_e32 v39, v69, v43
	ds_read_b32 v3, v3
	ds_read_b64 v[39:40], v39 offset:8704
	s_waitcnt lgkmcnt(1)
	v_add_nc_u32_e32 v3, v3, v49
	v_lshlrev_b64 v[41:42], 3, v[3:4]
	v_add_co_u32 v41, vcc_lo, s52, v41
	v_add_co_ci_u32_e64 v42, null, s53, v42, vcc_lo
	s_waitcnt lgkmcnt(0)
	global_store_dwordx2 v[41:42], v[39:40], off
	s_or_b32 exec_lo, exec_lo, s23
	s_and_saveexec_b32 s23, s27
	s_cbranch_execz .LBB632_251
.LBB632_319:                            ;   in Loop: Header=BB632_108 Depth=2
	v_lshlrev_b32_e32 v3, 2, v144
	v_add_nc_u32_e32 v39, v69, v43
	ds_read_b32 v3, v3
	ds_read_b64 v[39:40], v39 offset:10752
	s_waitcnt lgkmcnt(1)
	v_add_nc_u32_e32 v3, v3, v50
	v_lshlrev_b64 v[41:42], 3, v[3:4]
	v_add_co_u32 v41, vcc_lo, s52, v41
	v_add_co_ci_u32_e64 v42, null, s53, v42, vcc_lo
	s_waitcnt lgkmcnt(0)
	global_store_dwordx2 v[41:42], v[39:40], off
	s_or_b32 exec_lo, exec_lo, s23
	s_and_saveexec_b32 s23, s28
	s_cbranch_execz .LBB632_252
.LBB632_320:                            ;   in Loop: Header=BB632_108 Depth=2
	v_lshlrev_b32_e32 v3, 2, v143
	v_add_nc_u32_e32 v39, v69, v43
	ds_read_b32 v3, v3
	ds_read_b64 v[39:40], v39 offset:12800
	s_waitcnt lgkmcnt(1)
	v_add_nc_u32_e32 v3, v3, v51
	v_lshlrev_b64 v[41:42], 3, v[3:4]
	v_add_co_u32 v41, vcc_lo, s52, v41
	v_add_co_ci_u32_e64 v42, null, s53, v42, vcc_lo
	s_waitcnt lgkmcnt(0)
	global_store_dwordx2 v[41:42], v[39:40], off
	s_or_b32 exec_lo, exec_lo, s23
	s_and_saveexec_b32 s23, s29
	s_cbranch_execz .LBB632_253
.LBB632_321:                            ;   in Loop: Header=BB632_108 Depth=2
	v_lshlrev_b32_e32 v3, 2, v142
	v_add_nc_u32_e32 v39, v69, v43
	ds_read_b32 v3, v3
	ds_read_b64 v[39:40], v39 offset:14848
	s_waitcnt lgkmcnt(1)
	v_add_nc_u32_e32 v3, v3, v52
	v_lshlrev_b64 v[41:42], 3, v[3:4]
	v_add_co_u32 v41, vcc_lo, s52, v41
	v_add_co_ci_u32_e64 v42, null, s53, v42, vcc_lo
	s_waitcnt lgkmcnt(0)
	global_store_dwordx2 v[41:42], v[39:40], off
	s_or_b32 exec_lo, exec_lo, s23
	s_and_saveexec_b32 s23, s30
	s_cbranch_execz .LBB632_254
.LBB632_322:                            ;   in Loop: Header=BB632_108 Depth=2
	v_lshlrev_b32_e32 v3, 2, v141
	v_add_nc_u32_e32 v39, v69, v43
	ds_read_b32 v3, v3
	ds_read_b64 v[39:40], v39 offset:16896
	s_waitcnt lgkmcnt(1)
	v_add_nc_u32_e32 v3, v3, v53
	v_lshlrev_b64 v[41:42], 3, v[3:4]
	v_add_co_u32 v41, vcc_lo, s52, v41
	v_add_co_ci_u32_e64 v42, null, s53, v42, vcc_lo
	s_waitcnt lgkmcnt(0)
	global_store_dwordx2 v[41:42], v[39:40], off
	s_or_b32 exec_lo, exec_lo, s23
	s_and_saveexec_b32 s23, s31
	s_cbranch_execz .LBB632_255
.LBB632_323:                            ;   in Loop: Header=BB632_108 Depth=2
	v_lshlrev_b32_e32 v3, 2, v140
	v_add_nc_u32_e32 v39, v69, v43
	ds_read_b32 v3, v3
	ds_read_b64 v[39:40], v39 offset:18944
	s_waitcnt lgkmcnt(1)
	v_add_nc_u32_e32 v3, v3, v54
	v_lshlrev_b64 v[41:42], 3, v[3:4]
	v_add_co_u32 v41, vcc_lo, s52, v41
	v_add_co_ci_u32_e64 v42, null, s53, v42, vcc_lo
	s_waitcnt lgkmcnt(0)
	global_store_dwordx2 v[41:42], v[39:40], off
	s_or_b32 exec_lo, exec_lo, s23
	s_and_saveexec_b32 s23, s33
	s_cbranch_execz .LBB632_256
.LBB632_324:                            ;   in Loop: Header=BB632_108 Depth=2
	v_lshlrev_b32_e32 v3, 2, v139
	v_add_nc_u32_e32 v39, v69, v43
	ds_read_b32 v3, v3
	ds_read_b64 v[39:40], v39 offset:20992
	s_waitcnt lgkmcnt(1)
	v_add_nc_u32_e32 v3, v3, v55
	v_lshlrev_b64 v[41:42], 3, v[3:4]
	v_add_co_u32 v41, vcc_lo, s52, v41
	v_add_co_ci_u32_e64 v42, null, s53, v42, vcc_lo
	s_waitcnt lgkmcnt(0)
	global_store_dwordx2 v[41:42], v[39:40], off
	s_or_b32 exec_lo, exec_lo, s23
	s_and_saveexec_b32 s23, s34
	s_cbranch_execz .LBB632_257
.LBB632_325:                            ;   in Loop: Header=BB632_108 Depth=2
	v_lshlrev_b32_e32 v3, 2, v138
	v_add_nc_u32_e32 v39, v69, v43
	ds_read_b32 v3, v3
	ds_read_b64 v[39:40], v39 offset:23040
	s_waitcnt lgkmcnt(1)
	v_add_nc_u32_e32 v3, v3, v56
	v_lshlrev_b64 v[41:42], 3, v[3:4]
	v_add_co_u32 v41, vcc_lo, s52, v41
	v_add_co_ci_u32_e64 v42, null, s53, v42, vcc_lo
	s_waitcnt lgkmcnt(0)
	global_store_dwordx2 v[41:42], v[39:40], off
	s_or_b32 exec_lo, exec_lo, s23
	s_and_saveexec_b32 s23, s35
	s_cbranch_execz .LBB632_258
.LBB632_326:                            ;   in Loop: Header=BB632_108 Depth=2
	v_lshlrev_b32_e32 v3, 2, v137
	v_add_nc_u32_e32 v39, v69, v43
	ds_read_b32 v3, v3
	ds_read_b64 v[39:40], v39 offset:25088
	s_waitcnt lgkmcnt(1)
	v_add_nc_u32_e32 v3, v3, v57
	v_lshlrev_b64 v[41:42], 3, v[3:4]
	v_add_co_u32 v41, vcc_lo, s52, v41
	v_add_co_ci_u32_e64 v42, null, s53, v42, vcc_lo
	s_waitcnt lgkmcnt(0)
	global_store_dwordx2 v[41:42], v[39:40], off
	s_or_b32 exec_lo, exec_lo, s23
	s_and_saveexec_b32 s23, s36
	s_cbranch_execz .LBB632_259
.LBB632_327:                            ;   in Loop: Header=BB632_108 Depth=2
	v_lshlrev_b32_e32 v3, 2, v136
	v_add_nc_u32_e32 v39, v69, v43
	ds_read_b32 v3, v3
	ds_read_b64 v[39:40], v39 offset:27136
	s_waitcnt lgkmcnt(1)
	v_add_nc_u32_e32 v3, v3, v58
	v_lshlrev_b64 v[41:42], 3, v[3:4]
	v_add_co_u32 v41, vcc_lo, s52, v41
	v_add_co_ci_u32_e64 v42, null, s53, v42, vcc_lo
	s_waitcnt lgkmcnt(0)
	global_store_dwordx2 v[41:42], v[39:40], off
	s_or_b32 exec_lo, exec_lo, s23
	s_and_saveexec_b32 s23, s37
	s_cbranch_execz .LBB632_260
.LBB632_328:                            ;   in Loop: Header=BB632_108 Depth=2
	v_lshlrev_b32_e32 v3, 2, v135
	v_add_nc_u32_e32 v39, v69, v43
	ds_read_b32 v3, v3
	ds_read_b64 v[39:40], v39 offset:29184
	s_waitcnt lgkmcnt(1)
	v_add_nc_u32_e32 v3, v3, v59
	v_lshlrev_b64 v[41:42], 3, v[3:4]
	v_add_co_u32 v41, vcc_lo, s52, v41
	v_add_co_ci_u32_e64 v42, null, s53, v42, vcc_lo
	s_waitcnt lgkmcnt(0)
	global_store_dwordx2 v[41:42], v[39:40], off
	s_or_b32 exec_lo, exec_lo, s23
	s_and_saveexec_b32 s23, s38
	s_cbranch_execz .LBB632_261
.LBB632_329:                            ;   in Loop: Header=BB632_108 Depth=2
	v_lshlrev_b32_e32 v3, 2, v134
	v_add_nc_u32_e32 v39, v69, v43
	ds_read_b32 v3, v3
	ds_read_b64 v[39:40], v39 offset:31232
	s_waitcnt lgkmcnt(1)
	v_add_nc_u32_e32 v3, v3, v60
	v_lshlrev_b64 v[41:42], 3, v[3:4]
	v_add_co_u32 v41, vcc_lo, s52, v41
	v_add_co_ci_u32_e64 v42, null, s53, v42, vcc_lo
	s_waitcnt lgkmcnt(0)
	global_store_dwordx2 v[41:42], v[39:40], off
	s_or_b32 exec_lo, exec_lo, s23
	s_and_saveexec_b32 s23, s39
	s_cbranch_execnz .LBB632_262
	s_branch .LBB632_263
.LBB632_330:                            ;   in Loop: Header=BB632_20 Depth=1
	s_waitcnt lgkmcnt(0)
	s_mov_b32 s5, 0
	s_barrier
.LBB632_331:                            ;   in Loop: Header=BB632_20 Depth=1
	s_and_b32 vcc_lo, exec_lo, s5
	s_cbranch_vccz .LBB632_641
; %bb.332:                              ;   in Loop: Header=BB632_20 Depth=1
	s_mov_b32 s5, s60
	s_mov_b32 s50, s58
	s_barrier
	buffer_gl0_inv
                                        ; implicit-def: $vgpr3
                                        ; implicit-def: $vgpr5
                                        ; implicit-def: $vgpr6
                                        ; implicit-def: $vgpr7
                                        ; implicit-def: $vgpr8
                                        ; implicit-def: $vgpr9
                                        ; implicit-def: $vgpr10
                                        ; implicit-def: $vgpr11
                                        ; implicit-def: $vgpr12
                                        ; implicit-def: $vgpr13
                                        ; implicit-def: $vgpr14
                                        ; implicit-def: $vgpr15
                                        ; implicit-def: $vgpr16
                                        ; implicit-def: $vgpr17
                                        ; implicit-def: $vgpr18
                                        ; implicit-def: $vgpr19
                                        ; implicit-def: $vgpr20
	s_branch .LBB632_334
.LBB632_333:                            ;   in Loop: Header=BB632_334 Depth=2
	s_or_b32 exec_lo, exec_lo, s16
	s_addk_i32 s5, 0xef00
	s_cmp_ge_u32 s18, s59
	s_mov_b32 s50, s18
	s_cbranch_scc1 .LBB632_406
.LBB632_334:                            ;   Parent Loop BB632_20 Depth=1
                                        ; =>  This Inner Loop Header: Depth=2
	s_add_i32 s18, s50, 0x1100
	s_mov_b32 s16, -1
	s_cmp_gt_u32 s18, s59
                                        ; implicit-def: $vgpr21
                                        ; implicit-def: $vgpr22
                                        ; implicit-def: $vgpr25
                                        ; implicit-def: $vgpr23
                                        ; implicit-def: $vgpr27
                                        ; implicit-def: $vgpr24
                                        ; implicit-def: $vgpr29
                                        ; implicit-def: $vgpr26
                                        ; implicit-def: $vgpr31
                                        ; implicit-def: $vgpr28
                                        ; implicit-def: $vgpr33
                                        ; implicit-def: $vgpr30
                                        ; implicit-def: $vgpr34
                                        ; implicit-def: $vgpr32
                                        ; implicit-def: $vgpr35
                                        ; implicit-def: $vgpr36
                                        ; implicit-def: $vgpr37
	s_cbranch_scc1 .LBB632_336
; %bb.335:                              ;   in Loop: Header=BB632_334 Depth=2
	s_lshl_b64 s[16:17], s[50:51], 2
	v_add_co_u32 v33, vcc_lo, v72, s16
	v_add_co_ci_u32_e64 v34, null, s17, v73, vcc_lo
	s_mov_b32 s16, 0
	v_add_co_u32 v23, vcc_lo, 0x800, v33
	v_add_co_ci_u32_e64 v24, null, 0, v34, vcc_lo
	v_add_co_u32 v35, vcc_lo, v33, 0x1000
	v_add_co_ci_u32_e64 v36, null, 0, v34, vcc_lo
	;; [unrolled: 2-line block ×9, first 2 shown]
	s_clause 0x7
	global_load_dword v21, v[33:34], off
	global_load_dword v22, v[33:34], off offset:1024
	global_load_dword v23, v[23:24], off offset:1024
	;; [unrolled: 1-line block ×7, first 2 shown]
	v_add_co_u32 v41, vcc_lo, 0x3800, v33
	v_add_co_ci_u32_e64 v42, null, 0, v34, vcc_lo
	v_add_co_u32 v131, vcc_lo, v33, 0x4000
	v_add_co_ci_u32_e64 v132, null, 0, v34, vcc_lo
	s_clause 0x8
	global_load_dword v25, v[35:36], off offset:-2048
	global_load_dword v27, v[35:36], off
	global_load_dword v29, v[37:38], off offset:-2048
	global_load_dword v31, v[37:38], off
	;; [unrolled: 2-line block ×3, first 2 shown]
	global_load_dword v35, v[131:132], off offset:-2048
	global_load_dword v36, v[41:42], off offset:1024
	global_load_dword v37, v[131:132], off
.LBB632_336:                            ;   in Loop: Header=BB632_334 Depth=2
	s_andn2_b32 vcc_lo, exec_lo, s16
	s_movk_i32 s16, 0x1100
	s_cbranch_vccnz .LBB632_356
; %bb.337:                              ;   in Loop: Header=BB632_334 Depth=2
	s_lshl_b64 s[16:17], s[50:51], 2
	s_mov_b32 s19, exec_lo
	s_add_u32 s16, s46, s16
	s_addc_u32 s17, s47, s17
	v_cmpx_gt_u32_e64 s5, v0
	s_cbranch_execnz .LBB632_390
; %bb.338:                              ;   in Loop: Header=BB632_334 Depth=2
	s_or_b32 exec_lo, exec_lo, s19
	s_mov_b32 s19, exec_lo
	v_cmpx_gt_u32_e64 s5, v44
	s_cbranch_execnz .LBB632_391
.LBB632_339:                            ;   in Loop: Header=BB632_334 Depth=2
	s_or_b32 exec_lo, exec_lo, s19
	s_mov_b32 s19, exec_lo
	v_cmpx_gt_u32_e64 s5, v47
	s_cbranch_execnz .LBB632_392
.LBB632_340:                            ;   in Loop: Header=BB632_334 Depth=2
	s_or_b32 exec_lo, exec_lo, s19
	s_mov_b32 s19, exec_lo
	v_cmpx_gt_u32_e64 s5, v48
	s_cbranch_execnz .LBB632_393
.LBB632_341:                            ;   in Loop: Header=BB632_334 Depth=2
	s_or_b32 exec_lo, exec_lo, s19
	s_mov_b32 s19, exec_lo
	v_cmpx_gt_u32_e64 s5, v49
	s_cbranch_execnz .LBB632_394
.LBB632_342:                            ;   in Loop: Header=BB632_334 Depth=2
	s_or_b32 exec_lo, exec_lo, s19
	s_mov_b32 s19, exec_lo
	v_cmpx_gt_u32_e64 s5, v50
	s_cbranch_execnz .LBB632_395
.LBB632_343:                            ;   in Loop: Header=BB632_334 Depth=2
	s_or_b32 exec_lo, exec_lo, s19
	s_mov_b32 s19, exec_lo
	v_cmpx_gt_u32_e64 s5, v51
	s_cbranch_execnz .LBB632_396
.LBB632_344:                            ;   in Loop: Header=BB632_334 Depth=2
	s_or_b32 exec_lo, exec_lo, s19
	s_mov_b32 s19, exec_lo
	v_cmpx_gt_u32_e64 s5, v52
	s_cbranch_execnz .LBB632_397
.LBB632_345:                            ;   in Loop: Header=BB632_334 Depth=2
	s_or_b32 exec_lo, exec_lo, s19
	s_mov_b32 s19, exec_lo
	v_cmpx_gt_u32_e64 s5, v53
	s_cbranch_execnz .LBB632_398
.LBB632_346:                            ;   in Loop: Header=BB632_334 Depth=2
	s_or_b32 exec_lo, exec_lo, s19
	s_mov_b32 s19, exec_lo
	v_cmpx_gt_u32_e64 s5, v54
	s_cbranch_execnz .LBB632_399
.LBB632_347:                            ;   in Loop: Header=BB632_334 Depth=2
	s_or_b32 exec_lo, exec_lo, s19
	s_mov_b32 s19, exec_lo
	v_cmpx_gt_u32_e64 s5, v55
	s_cbranch_execnz .LBB632_400
.LBB632_348:                            ;   in Loop: Header=BB632_334 Depth=2
	s_or_b32 exec_lo, exec_lo, s19
	s_mov_b32 s19, exec_lo
	v_cmpx_gt_u32_e64 s5, v56
	s_cbranch_execnz .LBB632_401
.LBB632_349:                            ;   in Loop: Header=BB632_334 Depth=2
	s_or_b32 exec_lo, exec_lo, s19
	s_mov_b32 s19, exec_lo
	v_cmpx_gt_u32_e64 s5, v57
	s_cbranch_execnz .LBB632_402
.LBB632_350:                            ;   in Loop: Header=BB632_334 Depth=2
	s_or_b32 exec_lo, exec_lo, s19
	s_mov_b32 s19, exec_lo
	v_cmpx_gt_u32_e64 s5, v58
	s_cbranch_execnz .LBB632_403
.LBB632_351:                            ;   in Loop: Header=BB632_334 Depth=2
	s_or_b32 exec_lo, exec_lo, s19
	s_mov_b32 s19, exec_lo
	v_cmpx_gt_u32_e64 s5, v59
	s_cbranch_execnz .LBB632_404
.LBB632_352:                            ;   in Loop: Header=BB632_334 Depth=2
	s_or_b32 exec_lo, exec_lo, s19
	s_mov_b32 s19, exec_lo
	v_cmpx_gt_u32_e64 s5, v60
	s_cbranch_execnz .LBB632_405
.LBB632_353:                            ;   in Loop: Header=BB632_334 Depth=2
	s_or_b32 exec_lo, exec_lo, s19
	s_mov_b32 s19, exec_lo
	v_cmpx_gt_u32_e64 s5, v61
	s_cbranch_execz .LBB632_355
.LBB632_354:                            ;   in Loop: Header=BB632_334 Depth=2
	global_load_dword v3, v107, s[16:17]
.LBB632_355:                            ;   in Loop: Header=BB632_334 Depth=2
	s_or_b32 exec_lo, exec_lo, s19
	s_waitcnt vmcnt(0)
	v_mov_b32_e32 v21, v20
	v_mov_b32_e32 v22, v19
	;; [unrolled: 1-line block ×17, first 2 shown]
	s_mov_b32 s16, s5
.LBB632_356:                            ;   in Loop: Header=BB632_334 Depth=2
	s_waitcnt vmcnt(0)
	v_mov_b32_e32 v3, v37
	v_mov_b32_e32 v5, v36
	;; [unrolled: 1-line block ×17, first 2 shown]
	s_mov_b32 s17, exec_lo
	v_cmpx_gt_u32_e64 s16, v0
	s_cbranch_execnz .LBB632_373
; %bb.357:                              ;   in Loop: Header=BB632_334 Depth=2
	s_or_b32 exec_lo, exec_lo, s17
	s_mov_b32 s17, exec_lo
	v_cmpx_gt_u32_e64 s16, v44
	s_cbranch_execnz .LBB632_374
.LBB632_358:                            ;   in Loop: Header=BB632_334 Depth=2
	s_or_b32 exec_lo, exec_lo, s17
	s_mov_b32 s17, exec_lo
	v_cmpx_gt_u32_e64 s16, v47
	s_cbranch_execnz .LBB632_375
.LBB632_359:                            ;   in Loop: Header=BB632_334 Depth=2
	s_or_b32 exec_lo, exec_lo, s17
	s_mov_b32 s17, exec_lo
	v_cmpx_gt_u32_e64 s16, v48
	s_cbranch_execnz .LBB632_376
.LBB632_360:                            ;   in Loop: Header=BB632_334 Depth=2
	s_or_b32 exec_lo, exec_lo, s17
	s_mov_b32 s17, exec_lo
	v_cmpx_gt_u32_e64 s16, v49
	s_cbranch_execnz .LBB632_377
.LBB632_361:                            ;   in Loop: Header=BB632_334 Depth=2
	s_or_b32 exec_lo, exec_lo, s17
	s_mov_b32 s17, exec_lo
	v_cmpx_gt_u32_e64 s16, v50
	s_cbranch_execnz .LBB632_378
.LBB632_362:                            ;   in Loop: Header=BB632_334 Depth=2
	s_or_b32 exec_lo, exec_lo, s17
	s_mov_b32 s17, exec_lo
	v_cmpx_gt_u32_e64 s16, v51
	s_cbranch_execnz .LBB632_379
.LBB632_363:                            ;   in Loop: Header=BB632_334 Depth=2
	s_or_b32 exec_lo, exec_lo, s17
	s_mov_b32 s17, exec_lo
	v_cmpx_gt_u32_e64 s16, v52
	s_cbranch_execnz .LBB632_380
.LBB632_364:                            ;   in Loop: Header=BB632_334 Depth=2
	s_or_b32 exec_lo, exec_lo, s17
	s_mov_b32 s17, exec_lo
	v_cmpx_gt_u32_e64 s16, v53
	s_cbranch_execnz .LBB632_381
.LBB632_365:                            ;   in Loop: Header=BB632_334 Depth=2
	s_or_b32 exec_lo, exec_lo, s17
	s_mov_b32 s17, exec_lo
	v_cmpx_gt_u32_e64 s16, v54
	s_cbranch_execnz .LBB632_382
.LBB632_366:                            ;   in Loop: Header=BB632_334 Depth=2
	s_or_b32 exec_lo, exec_lo, s17
	s_mov_b32 s17, exec_lo
	v_cmpx_gt_u32_e64 s16, v55
	s_cbranch_execnz .LBB632_383
.LBB632_367:                            ;   in Loop: Header=BB632_334 Depth=2
	s_or_b32 exec_lo, exec_lo, s17
	s_mov_b32 s17, exec_lo
	v_cmpx_gt_u32_e64 s16, v56
	s_cbranch_execnz .LBB632_384
.LBB632_368:                            ;   in Loop: Header=BB632_334 Depth=2
	s_or_b32 exec_lo, exec_lo, s17
	s_mov_b32 s17, exec_lo
	v_cmpx_gt_u32_e64 s16, v57
	s_cbranch_execnz .LBB632_385
.LBB632_369:                            ;   in Loop: Header=BB632_334 Depth=2
	s_or_b32 exec_lo, exec_lo, s17
	s_mov_b32 s17, exec_lo
	v_cmpx_gt_u32_e64 s16, v58
	s_cbranch_execnz .LBB632_386
.LBB632_370:                            ;   in Loop: Header=BB632_334 Depth=2
	s_or_b32 exec_lo, exec_lo, s17
	s_mov_b32 s17, exec_lo
	v_cmpx_gt_u32_e64 s16, v59
	s_cbranch_execnz .LBB632_387
.LBB632_371:                            ;   in Loop: Header=BB632_334 Depth=2
	s_or_b32 exec_lo, exec_lo, s17
	s_mov_b32 s17, exec_lo
	v_cmpx_gt_u32_e64 s16, v60
	s_cbranch_execnz .LBB632_388
.LBB632_372:                            ;   in Loop: Header=BB632_334 Depth=2
	s_or_b32 exec_lo, exec_lo, s17
	v_cmp_gt_u32_e32 vcc_lo, s16, v61
	s_and_saveexec_b32 s16, vcc_lo
	s_cbranch_execz .LBB632_333
	s_branch .LBB632_389
.LBB632_373:                            ;   in Loop: Header=BB632_334 Depth=2
	v_xor_b32_e32 v21, 0x80000000, v20
	v_lshrrev_b32_e32 v21, s61, v21
	v_and_b32_e32 v21, s62, v21
	v_lshl_or_b32 v21, v21, 4, v63
	ds_add_u32 v21, v85
	s_or_b32 exec_lo, exec_lo, s17
	s_mov_b32 s17, exec_lo
	v_cmpx_gt_u32_e64 s16, v44
	s_cbranch_execz .LBB632_358
.LBB632_374:                            ;   in Loop: Header=BB632_334 Depth=2
	v_xor_b32_e32 v21, 0x80000000, v19
	v_lshrrev_b32_e32 v21, s61, v21
	v_and_b32_e32 v21, s62, v21
	v_lshl_or_b32 v21, v21, 4, v63
	ds_add_u32 v21, v85
	s_or_b32 exec_lo, exec_lo, s17
	s_mov_b32 s17, exec_lo
	v_cmpx_gt_u32_e64 s16, v47
	s_cbranch_execz .LBB632_359
.LBB632_375:                            ;   in Loop: Header=BB632_334 Depth=2
	v_xor_b32_e32 v21, 0x80000000, v18
	v_lshrrev_b32_e32 v21, s61, v21
	v_and_b32_e32 v21, s62, v21
	v_lshl_or_b32 v21, v21, 4, v63
	ds_add_u32 v21, v85
	s_or_b32 exec_lo, exec_lo, s17
	s_mov_b32 s17, exec_lo
	v_cmpx_gt_u32_e64 s16, v48
	s_cbranch_execz .LBB632_360
.LBB632_376:                            ;   in Loop: Header=BB632_334 Depth=2
	v_xor_b32_e32 v21, 0x80000000, v17
	v_lshrrev_b32_e32 v21, s61, v21
	v_and_b32_e32 v21, s62, v21
	v_lshl_or_b32 v21, v21, 4, v63
	ds_add_u32 v21, v85
	s_or_b32 exec_lo, exec_lo, s17
	s_mov_b32 s17, exec_lo
	v_cmpx_gt_u32_e64 s16, v49
	s_cbranch_execz .LBB632_361
.LBB632_377:                            ;   in Loop: Header=BB632_334 Depth=2
	v_xor_b32_e32 v21, 0x80000000, v16
	v_lshrrev_b32_e32 v21, s61, v21
	v_and_b32_e32 v21, s62, v21
	v_lshl_or_b32 v21, v21, 4, v63
	ds_add_u32 v21, v85
	s_or_b32 exec_lo, exec_lo, s17
	s_mov_b32 s17, exec_lo
	v_cmpx_gt_u32_e64 s16, v50
	s_cbranch_execz .LBB632_362
.LBB632_378:                            ;   in Loop: Header=BB632_334 Depth=2
	v_xor_b32_e32 v21, 0x80000000, v15
	v_lshrrev_b32_e32 v21, s61, v21
	v_and_b32_e32 v21, s62, v21
	v_lshl_or_b32 v21, v21, 4, v63
	ds_add_u32 v21, v85
	s_or_b32 exec_lo, exec_lo, s17
	s_mov_b32 s17, exec_lo
	v_cmpx_gt_u32_e64 s16, v51
	s_cbranch_execz .LBB632_363
.LBB632_379:                            ;   in Loop: Header=BB632_334 Depth=2
	v_xor_b32_e32 v21, 0x80000000, v14
	v_lshrrev_b32_e32 v21, s61, v21
	v_and_b32_e32 v21, s62, v21
	v_lshl_or_b32 v21, v21, 4, v63
	ds_add_u32 v21, v85
	s_or_b32 exec_lo, exec_lo, s17
	s_mov_b32 s17, exec_lo
	v_cmpx_gt_u32_e64 s16, v52
	s_cbranch_execz .LBB632_364
.LBB632_380:                            ;   in Loop: Header=BB632_334 Depth=2
	v_xor_b32_e32 v21, 0x80000000, v13
	v_lshrrev_b32_e32 v21, s61, v21
	v_and_b32_e32 v21, s62, v21
	v_lshl_or_b32 v21, v21, 4, v63
	ds_add_u32 v21, v85
	s_or_b32 exec_lo, exec_lo, s17
	s_mov_b32 s17, exec_lo
	v_cmpx_gt_u32_e64 s16, v53
	s_cbranch_execz .LBB632_365
.LBB632_381:                            ;   in Loop: Header=BB632_334 Depth=2
	v_xor_b32_e32 v21, 0x80000000, v12
	v_lshrrev_b32_e32 v21, s61, v21
	v_and_b32_e32 v21, s62, v21
	v_lshl_or_b32 v21, v21, 4, v63
	ds_add_u32 v21, v85
	s_or_b32 exec_lo, exec_lo, s17
	s_mov_b32 s17, exec_lo
	v_cmpx_gt_u32_e64 s16, v54
	s_cbranch_execz .LBB632_366
.LBB632_382:                            ;   in Loop: Header=BB632_334 Depth=2
	v_xor_b32_e32 v21, 0x80000000, v11
	v_lshrrev_b32_e32 v21, s61, v21
	v_and_b32_e32 v21, s62, v21
	v_lshl_or_b32 v21, v21, 4, v63
	ds_add_u32 v21, v85
	s_or_b32 exec_lo, exec_lo, s17
	s_mov_b32 s17, exec_lo
	v_cmpx_gt_u32_e64 s16, v55
	s_cbranch_execz .LBB632_367
.LBB632_383:                            ;   in Loop: Header=BB632_334 Depth=2
	v_xor_b32_e32 v21, 0x80000000, v10
	v_lshrrev_b32_e32 v21, s61, v21
	v_and_b32_e32 v21, s62, v21
	v_lshl_or_b32 v21, v21, 4, v63
	ds_add_u32 v21, v85
	s_or_b32 exec_lo, exec_lo, s17
	s_mov_b32 s17, exec_lo
	v_cmpx_gt_u32_e64 s16, v56
	s_cbranch_execz .LBB632_368
.LBB632_384:                            ;   in Loop: Header=BB632_334 Depth=2
	v_xor_b32_e32 v21, 0x80000000, v9
	v_lshrrev_b32_e32 v21, s61, v21
	v_and_b32_e32 v21, s62, v21
	v_lshl_or_b32 v21, v21, 4, v63
	ds_add_u32 v21, v85
	s_or_b32 exec_lo, exec_lo, s17
	s_mov_b32 s17, exec_lo
	v_cmpx_gt_u32_e64 s16, v57
	s_cbranch_execz .LBB632_369
.LBB632_385:                            ;   in Loop: Header=BB632_334 Depth=2
	v_xor_b32_e32 v21, 0x80000000, v8
	v_lshrrev_b32_e32 v21, s61, v21
	v_and_b32_e32 v21, s62, v21
	v_lshl_or_b32 v21, v21, 4, v63
	ds_add_u32 v21, v85
	s_or_b32 exec_lo, exec_lo, s17
	s_mov_b32 s17, exec_lo
	v_cmpx_gt_u32_e64 s16, v58
	s_cbranch_execz .LBB632_370
.LBB632_386:                            ;   in Loop: Header=BB632_334 Depth=2
	v_xor_b32_e32 v21, 0x80000000, v7
	v_lshrrev_b32_e32 v21, s61, v21
	v_and_b32_e32 v21, s62, v21
	v_lshl_or_b32 v21, v21, 4, v63
	ds_add_u32 v21, v85
	s_or_b32 exec_lo, exec_lo, s17
	s_mov_b32 s17, exec_lo
	v_cmpx_gt_u32_e64 s16, v59
	s_cbranch_execz .LBB632_371
.LBB632_387:                            ;   in Loop: Header=BB632_334 Depth=2
	v_xor_b32_e32 v21, 0x80000000, v6
	v_lshrrev_b32_e32 v21, s61, v21
	v_and_b32_e32 v21, s62, v21
	v_lshl_or_b32 v21, v21, 4, v63
	ds_add_u32 v21, v85
	s_or_b32 exec_lo, exec_lo, s17
	s_mov_b32 s17, exec_lo
	v_cmpx_gt_u32_e64 s16, v60
	s_cbranch_execz .LBB632_372
.LBB632_388:                            ;   in Loop: Header=BB632_334 Depth=2
	v_xor_b32_e32 v21, 0x80000000, v5
	v_lshrrev_b32_e32 v21, s61, v21
	v_and_b32_e32 v21, s62, v21
	v_lshl_or_b32 v21, v21, 4, v63
	ds_add_u32 v21, v85
	s_or_b32 exec_lo, exec_lo, s17
	v_cmp_gt_u32_e32 vcc_lo, s16, v61
	s_and_saveexec_b32 s16, vcc_lo
	s_cbranch_execz .LBB632_333
.LBB632_389:                            ;   in Loop: Header=BB632_334 Depth=2
	v_xor_b32_e32 v21, 0x80000000, v3
	v_lshrrev_b32_e32 v21, s61, v21
	v_and_b32_e32 v21, s62, v21
	v_lshl_or_b32 v21, v21, 4, v63
	ds_add_u32 v21, v85
	s_branch .LBB632_333
.LBB632_390:                            ;   in Loop: Header=BB632_334 Depth=2
	global_load_dword v20, v91, s[16:17]
	s_or_b32 exec_lo, exec_lo, s19
	s_mov_b32 s19, exec_lo
	v_cmpx_gt_u32_e64 s5, v44
	s_cbranch_execz .LBB632_339
.LBB632_391:                            ;   in Loop: Header=BB632_334 Depth=2
	global_load_dword v19, v91, s[16:17] offset:1024
	s_or_b32 exec_lo, exec_lo, s19
	s_mov_b32 s19, exec_lo
	v_cmpx_gt_u32_e64 s5, v47
	s_cbranch_execz .LBB632_340
.LBB632_392:                            ;   in Loop: Header=BB632_334 Depth=2
	global_load_dword v18, v92, s[16:17]
	s_or_b32 exec_lo, exec_lo, s19
	s_mov_b32 s19, exec_lo
	v_cmpx_gt_u32_e64 s5, v48
	s_cbranch_execz .LBB632_341
.LBB632_393:                            ;   in Loop: Header=BB632_334 Depth=2
	global_load_dword v17, v93, s[16:17]
	s_or_b32 exec_lo, exec_lo, s19
	s_mov_b32 s19, exec_lo
	v_cmpx_gt_u32_e64 s5, v49
	s_cbranch_execz .LBB632_342
.LBB632_394:                            ;   in Loop: Header=BB632_334 Depth=2
	global_load_dword v16, v94, s[16:17]
	s_or_b32 exec_lo, exec_lo, s19
	s_mov_b32 s19, exec_lo
	v_cmpx_gt_u32_e64 s5, v50
	s_cbranch_execz .LBB632_343
.LBB632_395:                            ;   in Loop: Header=BB632_334 Depth=2
	global_load_dword v15, v95, s[16:17]
	s_or_b32 exec_lo, exec_lo, s19
	s_mov_b32 s19, exec_lo
	v_cmpx_gt_u32_e64 s5, v51
	s_cbranch_execz .LBB632_344
.LBB632_396:                            ;   in Loop: Header=BB632_334 Depth=2
	global_load_dword v14, v96, s[16:17]
	s_or_b32 exec_lo, exec_lo, s19
	s_mov_b32 s19, exec_lo
	v_cmpx_gt_u32_e64 s5, v52
	s_cbranch_execz .LBB632_345
.LBB632_397:                            ;   in Loop: Header=BB632_334 Depth=2
	global_load_dword v13, v97, s[16:17]
	s_or_b32 exec_lo, exec_lo, s19
	s_mov_b32 s19, exec_lo
	v_cmpx_gt_u32_e64 s5, v53
	s_cbranch_execz .LBB632_346
.LBB632_398:                            ;   in Loop: Header=BB632_334 Depth=2
	global_load_dword v12, v98, s[16:17]
	s_or_b32 exec_lo, exec_lo, s19
	s_mov_b32 s19, exec_lo
	v_cmpx_gt_u32_e64 s5, v54
	s_cbranch_execz .LBB632_347
.LBB632_399:                            ;   in Loop: Header=BB632_334 Depth=2
	global_load_dword v11, v99, s[16:17]
	s_or_b32 exec_lo, exec_lo, s19
	s_mov_b32 s19, exec_lo
	v_cmpx_gt_u32_e64 s5, v55
	s_cbranch_execz .LBB632_348
.LBB632_400:                            ;   in Loop: Header=BB632_334 Depth=2
	global_load_dword v10, v100, s[16:17]
	s_or_b32 exec_lo, exec_lo, s19
	s_mov_b32 s19, exec_lo
	v_cmpx_gt_u32_e64 s5, v56
	s_cbranch_execz .LBB632_349
.LBB632_401:                            ;   in Loop: Header=BB632_334 Depth=2
	global_load_dword v9, v101, s[16:17]
	s_or_b32 exec_lo, exec_lo, s19
	s_mov_b32 s19, exec_lo
	v_cmpx_gt_u32_e64 s5, v57
	s_cbranch_execz .LBB632_350
.LBB632_402:                            ;   in Loop: Header=BB632_334 Depth=2
	global_load_dword v8, v102, s[16:17]
	s_or_b32 exec_lo, exec_lo, s19
	s_mov_b32 s19, exec_lo
	v_cmpx_gt_u32_e64 s5, v58
	s_cbranch_execz .LBB632_351
.LBB632_403:                            ;   in Loop: Header=BB632_334 Depth=2
	global_load_dword v7, v103, s[16:17]
	s_or_b32 exec_lo, exec_lo, s19
	s_mov_b32 s19, exec_lo
	v_cmpx_gt_u32_e64 s5, v59
	s_cbranch_execz .LBB632_352
.LBB632_404:                            ;   in Loop: Header=BB632_334 Depth=2
	global_load_dword v6, v104, s[16:17]
	s_or_b32 exec_lo, exec_lo, s19
	s_mov_b32 s19, exec_lo
	v_cmpx_gt_u32_e64 s5, v60
	s_cbranch_execz .LBB632_353
.LBB632_405:                            ;   in Loop: Header=BB632_334 Depth=2
	global_load_dword v5, v105, s[16:17]
	s_or_b32 exec_lo, exec_lo, s19
	s_mov_b32 s19, exec_lo
	v_cmpx_gt_u32_e64 s5, v61
	s_cbranch_execnz .LBB632_354
	s_branch .LBB632_355
.LBB632_406:                            ;   in Loop: Header=BB632_20 Depth=1
	v_mov_b32_e32 v3, 0
	s_waitcnt lgkmcnt(0)
	s_barrier
	buffer_gl0_inv
	s_and_saveexec_b32 s5, s8
	s_cbranch_execz .LBB632_408
; %bb.407:                              ;   in Loop: Header=BB632_20 Depth=1
	ds_read2_b64 v[5:8], v64 offset1:1
	s_waitcnt lgkmcnt(0)
	v_add_nc_u32_e32 v3, v6, v5
	v_add3_u32 v3, v3, v7, v8
.LBB632_408:                            ;   in Loop: Header=BB632_20 Depth=1
	s_or_b32 exec_lo, exec_lo, s5
	v_mov_b32_dpp v5, v3 row_shr:1 row_mask:0xf bank_mask:0xf
	v_cmp_eq_u32_e64 s5, 0, v86
	v_cmp_lt_u32_e64 s16, 1, v86
	v_cmp_lt_u32_e64 s17, 3, v86
	v_cmp_lt_u32_e64 s18, 7, v86
	v_cmp_eq_u32_e64 s19, 0, v88
	v_cndmask_b32_e64 v5, v5, 0, s5
	v_add_nc_u32_e32 v3, v5, v3
	v_mov_b32_dpp v5, v3 row_shr:2 row_mask:0xf bank_mask:0xf
	v_cndmask_b32_e64 v5, 0, v5, s16
	v_add_nc_u32_e32 v3, v3, v5
	v_mov_b32_dpp v5, v3 row_shr:4 row_mask:0xf bank_mask:0xf
	;; [unrolled: 3-line block ×3, first 2 shown]
	v_cndmask_b32_e64 v5, 0, v5, s18
	v_add_nc_u32_e32 v3, v3, v5
	ds_swizzle_b32 v5, v3 offset:swizzle(BROADCAST,32,15)
	s_waitcnt lgkmcnt(0)
	v_and_b32_e32 v5, v87, v5
	v_add_nc_u32_e32 v3, v3, v5
	s_and_saveexec_b32 s20, s9
; %bb.409:                              ;   in Loop: Header=BB632_20 Depth=1
	ds_write_b32 v65, v3
; %bb.410:                              ;   in Loop: Header=BB632_20 Depth=1
	s_or_b32 exec_lo, exec_lo, s20
	s_waitcnt lgkmcnt(0)
	s_barrier
	buffer_gl0_inv
	s_and_saveexec_b32 s20, s10
	s_cbranch_execz .LBB632_412
; %bb.411:                              ;   in Loop: Header=BB632_20 Depth=1
	ds_read_b32 v5, v66
	v_cmp_ne_u32_e32 vcc_lo, 0, v89
	s_waitcnt lgkmcnt(0)
	v_mov_b32_dpp v6, v5 row_shr:1 row_mask:0xf bank_mask:0xf
	v_cndmask_b32_e32 v6, 0, v6, vcc_lo
	v_cmp_lt_u32_e32 vcc_lo, 1, v89
	v_add_nc_u32_e32 v5, v6, v5
	v_mov_b32_dpp v6, v5 row_shr:2 row_mask:0xf bank_mask:0xf
	v_cndmask_b32_e32 v6, 0, v6, vcc_lo
	v_add_nc_u32_e32 v5, v5, v6
	ds_write_b32 v66, v5
.LBB632_412:                            ;   in Loop: Header=BB632_20 Depth=1
	s_or_b32 exec_lo, exec_lo, s20
	v_mov_b32_e32 v5, 0
	s_waitcnt lgkmcnt(0)
	s_barrier
	buffer_gl0_inv
	s_and_saveexec_b32 s20, s11
; %bb.413:                              ;   in Loop: Header=BB632_20 Depth=1
	ds_read_b32 v5, v67
; %bb.414:                              ;   in Loop: Header=BB632_20 Depth=1
	s_or_b32 exec_lo, exec_lo, s20
	v_cmp_gt_i32_e32 vcc_lo, 0, v90
	s_waitcnt lgkmcnt(0)
	v_add_nc_u32_e32 v3, v5, v3
	s_barrier
	buffer_gl0_inv
	v_cndmask_b32_e32 v6, v90, v82, vcc_lo
	v_lshlrev_b32_e32 v131, 2, v6
	ds_bpermute_b32 v3, v131, v3
	s_and_saveexec_b32 s20, s8
	s_cbranch_execz .LBB632_416
; %bb.415:                              ;   in Loop: Header=BB632_20 Depth=1
	s_waitcnt lgkmcnt(0)
	v_cndmask_b32_e64 v3, v3, v5, s15
	v_add_nc_u32_e32 v3, s58, v3
	ds_write_b32 v43, v3
.LBB632_416:                            ;   in Loop: Header=BB632_20 Depth=1
	s_or_b32 exec_lo, exec_lo, s20
	s_load_dwordx2 s[20:21], s[56:57], 0x0
	v_add_co_u32 v132, vcc_lo, v74, v106
	v_add_co_ci_u32_e64 v133, null, 0, v75, vcc_lo
	v_add_co_u32 v134, vcc_lo, v76, v125
	v_add_co_ci_u32_e64 v135, null, 0, v77, vcc_lo
	s_mov_b32 s63, s60
	s_mov_b32 s50, s58
                                        ; implicit-def: $vgpr7_vgpr8
                                        ; implicit-def: $vgpr9_vgpr10
                                        ; implicit-def: $vgpr11_vgpr12
                                        ; implicit-def: $vgpr13_vgpr14
                                        ; implicit-def: $vgpr15_vgpr16
                                        ; implicit-def: $vgpr19_vgpr20
                                        ; implicit-def: $vgpr23_vgpr24
                                        ; implicit-def: $vgpr27_vgpr28
                                        ; implicit-def: $vgpr17_vgpr18
                                        ; implicit-def: $vgpr21_vgpr22
                                        ; implicit-def: $vgpr25_vgpr26
                                        ; implicit-def: $vgpr29_vgpr30
                                        ; implicit-def: $vgpr31_vgpr32
                                        ; implicit-def: $vgpr33_vgpr34
                                        ; implicit-def: $vgpr35_vgpr36
                                        ; implicit-def: $vgpr37_vgpr38
                                        ; implicit-def: $vgpr137
                                        ; implicit-def: $vgpr138
                                        ; implicit-def: $vgpr139
                                        ; implicit-def: $vgpr140
                                        ; implicit-def: $vgpr141
                                        ; implicit-def: $vgpr142
                                        ; implicit-def: $vgpr143
                                        ; implicit-def: $vgpr144
                                        ; implicit-def: $vgpr145
                                        ; implicit-def: $vgpr146
                                        ; implicit-def: $vgpr147
                                        ; implicit-def: $vgpr148
                                        ; implicit-def: $vgpr149
                                        ; implicit-def: $vgpr150
                                        ; implicit-def: $vgpr151
                                        ; implicit-def: $vgpr153
                                        ; implicit-def: $vgpr154
                                        ; implicit-def: $vgpr152
                                        ; implicit-def: $vgpr155
	s_waitcnt lgkmcnt(0)
	s_cmp_lt_u32 s7, s21
	s_cselect_b32 s21, 14, 20
	s_add_u32 s22, s56, s21
	s_addc_u32 s23, s57, 0
	s_cmp_lt_u32 s6, s20
	global_load_ushort v3, v4, s[22:23]
	s_cselect_b32 s20, 12, 18
	s_add_u32 s20, s56, s20
	s_addc_u32 s21, s57, 0
	global_load_ushort v5, v4, s[20:21]
	v_cmp_eq_u32_e64 s20, 0, v108
	v_cmp_lt_u32_e64 s21, 1, v108
	v_cmp_lt_u32_e64 s22, 3, v108
	s_waitcnt vmcnt(1)
	v_mad_u32_u24 v3, v2, v3, v1
	s_waitcnt vmcnt(0)
	v_mad_u64_u32 v[5:6], null, v3, v5, v[0:1]
	v_lshrrev_b32_e32 v3, 3, v5
                                        ; implicit-def: $vgpr5_vgpr6
	v_and_b32_e32 v136, 0x1ffffffc, v3
	s_branch .LBB632_418
.LBB632_417:                            ;   in Loop: Header=BB632_418 Depth=2
	s_or_b32 exec_lo, exec_lo, s23
	s_addk_i32 s63, 0xef00
	s_cmp_lt_u32 s64, s59
	s_mov_b32 s50, s64
	s_cbranch_scc0 .LBB632_640
.LBB632_418:                            ;   Parent Loop BB632_20 Depth=1
                                        ; =>  This Inner Loop Header: Depth=2
	s_add_i32 s64, s50, 0x1100
	s_cmp_gt_u32 s64, s59
	s_cbranch_scc1 .LBB632_420
; %bb.419:                              ;   in Loop: Header=BB632_418 Depth=2
	s_lshl_b64 s[24:25], s[50:51], 2
	s_mov_b32 s23, -1
	v_add_co_u32 v39, vcc_lo, v134, s24
	v_add_co_ci_u32_e64 v40, null, s25, v135, vcc_lo
	s_clause 0xf
	global_load_dword v157, v[39:40], off
	global_load_dword v158, v[39:40], off offset:128
	global_load_dword v161, v[39:40], off offset:256
	;; [unrolled: 1-line block ×15, first 2 shown]
	s_movk_i32 s24, 0x1100
	s_cbranch_execz .LBB632_421
	s_branch .LBB632_454
.LBB632_420:                            ;   in Loop: Header=BB632_418 Depth=2
	s_mov_b32 s23, 0
                                        ; implicit-def: $vgpr157
                                        ; implicit-def: $vgpr158
                                        ; implicit-def: $vgpr161
                                        ; implicit-def: $vgpr165
                                        ; implicit-def: $vgpr170
                                        ; implicit-def: $vgpr175
                                        ; implicit-def: $vgpr180
                                        ; implicit-def: $vgpr185
                                        ; implicit-def: $vgpr190
                                        ; implicit-def: $vgpr188
                                        ; implicit-def: $vgpr183
                                        ; implicit-def: $vgpr178
                                        ; implicit-def: $vgpr174
                                        ; implicit-def: $vgpr169
                                        ; implicit-def: $vgpr42
                                        ; implicit-def: $vgpr41
	s_movk_i32 s24, 0x1100
.LBB632_421:                            ;   in Loop: Header=BB632_418 Depth=2
	s_lshl_b64 s[24:25], s[50:51], 2
	s_waitcnt vmcnt(14)
	v_bfrev_b32_e32 v158, -2
	v_add_co_u32 v39, vcc_lo, v134, s24
	v_add_co_ci_u32_e64 v40, null, s25, v135, vcc_lo
	v_bfrev_b32_e32 v157, -2
	s_mov_b32 s23, exec_lo
	v_cmpx_gt_u32_e64 s63, v109
	s_cbranch_execz .LBB632_423
; %bb.422:                              ;   in Loop: Header=BB632_418 Depth=2
	global_load_dword v157, v[39:40], off
.LBB632_423:                            ;   in Loop: Header=BB632_418 Depth=2
	s_or_b32 exec_lo, exec_lo, s23
	s_mov_b32 s23, exec_lo
	v_cmpx_gt_u32_e64 s63, v112
	s_cbranch_execz .LBB632_425
; %bb.424:                              ;   in Loop: Header=BB632_418 Depth=2
	global_load_dword v158, v[39:40], off offset:128
.LBB632_425:                            ;   in Loop: Header=BB632_418 Depth=2
	s_or_b32 exec_lo, exec_lo, s23
	s_waitcnt vmcnt(12)
	v_bfrev_b32_e32 v165, -2
	v_bfrev_b32_e32 v161, -2
	s_mov_b32 s23, exec_lo
	v_cmpx_gt_u32_e64 s63, v113
	s_cbranch_execz .LBB632_427
; %bb.426:                              ;   in Loop: Header=BB632_418 Depth=2
	global_load_dword v161, v[39:40], off offset:256
.LBB632_427:                            ;   in Loop: Header=BB632_418 Depth=2
	s_or_b32 exec_lo, exec_lo, s23
	s_mov_b32 s23, exec_lo
	v_cmpx_gt_u32_e64 s63, v114
	s_cbranch_execz .LBB632_429
; %bb.428:                              ;   in Loop: Header=BB632_418 Depth=2
	global_load_dword v165, v[39:40], off offset:384
.LBB632_429:                            ;   in Loop: Header=BB632_418 Depth=2
	s_or_b32 exec_lo, exec_lo, s23
	s_waitcnt vmcnt(10)
	v_bfrev_b32_e32 v175, -2
	v_bfrev_b32_e32 v170, -2
	s_mov_b32 s23, exec_lo
	v_cmpx_gt_u32_e64 s63, v115
	s_cbranch_execz .LBB632_431
; %bb.430:                              ;   in Loop: Header=BB632_418 Depth=2
	global_load_dword v170, v[39:40], off offset:512
.LBB632_431:                            ;   in Loop: Header=BB632_418 Depth=2
	;; [unrolled: 17-line block ×7, first 2 shown]
	s_or_b32 exec_lo, exec_lo, s23
	s_mov_b32 s23, exec_lo
	v_cmpx_gt_u32_e64 s63, v127
	s_cbranch_execz .LBB632_453
; %bb.452:                              ;   in Loop: Header=BB632_418 Depth=2
	global_load_dword v41, v[39:40], off offset:1920
.LBB632_453:                            ;   in Loop: Header=BB632_418 Depth=2
	s_or_b32 exec_lo, exec_lo, s23
	v_cmp_gt_u32_e64 s23, s63, v128
	s_sub_i32 s24, s59, s50
.LBB632_454:                            ;   in Loop: Header=BB632_418 Depth=2
	v_mov_b32_e32 v3, -1
	v_mov_b32_e32 v156, s63
	s_and_saveexec_b32 s25, s23
	s_cbranch_execz .LBB632_456
; %bb.455:                              ;   in Loop: Header=BB632_418 Depth=2
	s_lshl_b64 s[26:27], s[50:51], 2
	v_mov_b32_e32 v156, s24
	v_add_co_u32 v3, vcc_lo, v134, s26
	v_add_co_ci_u32_e64 v40, null, s27, v135, vcc_lo
	v_add_co_u32 v39, vcc_lo, 0x800, v3
	v_add_co_ci_u32_e64 v40, null, 0, v40, vcc_lo
	global_load_dword v3, v[39:40], off
	s_waitcnt vmcnt(0)
	v_xor_b32_e32 v3, 0x80000000, v3
.LBB632_456:                            ;   in Loop: Header=BB632_418 Depth=2
	s_or_b32 exec_lo, exec_lo, s25
	s_waitcnt vmcnt(15)
	v_xor_b32_e32 v157, 0x80000000, v157
	ds_write2_b32 v68, v4, v4 offset0:136 offset1:137
	ds_write2_b32 v68, v4, v4 offset0:138 offset1:139
	ds_write_b32 v68, v4 offset:560
	s_waitcnt vmcnt(0) lgkmcnt(0)
	s_barrier
	v_lshrrev_b32_e32 v39, s61, v157
	buffer_gl0_inv
	; wave barrier
	v_and_b32_e32 v40, s62, v39
	v_and_b32_e32 v39, 1, v40
	v_lshlrev_b32_e32 v159, 30, v40
	v_lshlrev_b32_e32 v160, 29, v40
	v_lshlrev_b32_e32 v163, 28, v40
	v_lshlrev_b32_e32 v164, 27, v40
	v_add_co_u32 v39, s23, v39, -1
	v_cndmask_b32_e64 v162, 0, 1, s23
	v_not_b32_e32 v167, v159
	v_cmp_gt_i32_e64 s23, 0, v159
	v_not_b32_e32 v159, v160
	v_lshlrev_b32_e32 v166, 26, v40
	v_cmp_ne_u32_e32 vcc_lo, 0, v162
	v_ashrrev_i32_e32 v167, 31, v167
	v_lshlrev_b32_e32 v162, 25, v40
	v_ashrrev_i32_e32 v159, 31, v159
	v_mul_u32_u24_e32 v40, 36, v40
	v_xor_b32_e32 v39, vcc_lo, v39
	v_cmp_gt_i32_e32 vcc_lo, 0, v160
	v_not_b32_e32 v160, v163
	v_xor_b32_e32 v167, s23, v167
	v_cmp_gt_i32_e64 s23, 0, v163
	v_and_b32_e32 v39, exec_lo, v39
	v_not_b32_e32 v163, v164
	v_ashrrev_i32_e32 v160, 31, v160
	v_xor_b32_e32 v159, vcc_lo, v159
	v_cmp_gt_i32_e32 vcc_lo, 0, v164
	v_and_b32_e32 v39, v39, v167
	v_not_b32_e32 v164, v166
	v_ashrrev_i32_e32 v163, 31, v163
	v_xor_b32_e32 v160, s23, v160
	v_cmp_gt_i32_e64 s23, 0, v166
	v_and_b32_e32 v39, v39, v159
	v_not_b32_e32 v159, v162
	v_ashrrev_i32_e32 v164, 31, v164
	v_xor_b32_e32 v163, vcc_lo, v163
	v_cmp_gt_i32_e32 vcc_lo, 0, v162
	v_and_b32_e32 v39, v39, v160
	v_ashrrev_i32_e32 v159, 31, v159
	v_xor_b32_e32 v160, s23, v164
	v_and_b32_e32 v39, v39, v163
	v_xor_b32_e32 v159, vcc_lo, v159
	v_and_b32_e32 v39, v39, v160
	v_add_nc_u32_e32 v160, v136, v40
	v_and_b32_e32 v39, v39, v159
	v_mbcnt_lo_u32_b32 v159, v39, 0
	v_cmp_ne_u32_e64 s23, 0, v39
	v_cmp_eq_u32_e32 vcc_lo, 0, v159
	s_and_b32 s24, s23, vcc_lo
	s_and_saveexec_b32 s23, s24
; %bb.457:                              ;   in Loop: Header=BB632_418 Depth=2
	v_bcnt_u32_b32 v39, v39, 0
	ds_write_b32 v160, v39 offset:544
; %bb.458:                              ;   in Loop: Header=BB632_418 Depth=2
	s_or_b32 exec_lo, exec_lo, s23
	v_xor_b32_e32 v158, 0x80000000, v158
	; wave barrier
	v_lshrrev_b32_e32 v39, s61, v158
	v_and_b32_e32 v40, s62, v39
	v_and_b32_e32 v39, 1, v40
	v_lshlrev_b32_e32 v162, 30, v40
	v_lshlrev_b32_e32 v163, 29, v40
	v_lshlrev_b32_e32 v166, 28, v40
	v_lshlrev_b32_e32 v167, 27, v40
	v_add_co_u32 v39, s23, v39, -1
	v_cndmask_b32_e64 v164, 0, 1, s23
	v_not_b32_e32 v171, v162
	v_cmp_gt_i32_e64 s23, 0, v162
	v_not_b32_e32 v162, v163
	v_lshlrev_b32_e32 v168, 26, v40
	v_cmp_ne_u32_e32 vcc_lo, 0, v164
	v_ashrrev_i32_e32 v171, 31, v171
	v_lshlrev_b32_e32 v164, 25, v40
	v_ashrrev_i32_e32 v162, 31, v162
	v_xor_b32_e32 v39, vcc_lo, v39
	v_cmp_gt_i32_e32 vcc_lo, 0, v163
	v_not_b32_e32 v163, v166
	v_xor_b32_e32 v171, s23, v171
	v_cmp_gt_i32_e64 s23, 0, v166
	v_and_b32_e32 v39, exec_lo, v39
	v_not_b32_e32 v166, v167
	v_ashrrev_i32_e32 v163, 31, v163
	v_xor_b32_e32 v162, vcc_lo, v162
	v_cmp_gt_i32_e32 vcc_lo, 0, v167
	v_and_b32_e32 v39, v39, v171
	v_not_b32_e32 v167, v168
	v_ashrrev_i32_e32 v166, 31, v166
	v_xor_b32_e32 v163, s23, v163
	v_cmp_gt_i32_e64 s23, 0, v168
	v_and_b32_e32 v39, v39, v162
	v_not_b32_e32 v162, v164
	v_ashrrev_i32_e32 v167, 31, v167
	v_xor_b32_e32 v166, vcc_lo, v166
	v_cmp_gt_i32_e32 vcc_lo, 0, v164
	v_and_b32_e32 v39, v39, v163
	v_ashrrev_i32_e32 v162, 31, v162
	v_xor_b32_e32 v163, s23, v167
	v_mad_u32_u24 v164, v40, 36, v136
	v_mul_u32_u24_e32 v40, 36, v40
	v_and_b32_e32 v39, v39, v166
	v_xor_b32_e32 v166, vcc_lo, v162
	ds_read_b32 v162, v164 offset:544
	v_add_nc_u32_e32 v164, v136, v40
	v_and_b32_e32 v39, v39, v163
	; wave barrier
	v_and_b32_e32 v39, v39, v166
	v_mbcnt_lo_u32_b32 v163, v39, 0
	v_cmp_ne_u32_e64 s23, 0, v39
	v_cmp_eq_u32_e32 vcc_lo, 0, v163
	s_and_b32 s24, s23, vcc_lo
	s_and_saveexec_b32 s23, s24
	s_cbranch_execz .LBB632_460
; %bb.459:                              ;   in Loop: Header=BB632_418 Depth=2
	s_waitcnt lgkmcnt(0)
	v_bcnt_u32_b32 v39, v39, v162
	ds_write_b32 v164, v39 offset:544
.LBB632_460:                            ;   in Loop: Header=BB632_418 Depth=2
	s_or_b32 exec_lo, exec_lo, s23
	v_xor_b32_e32 v161, 0x80000000, v161
	; wave barrier
	v_lshrrev_b32_e32 v39, s61, v161
	v_and_b32_e32 v40, s62, v39
	v_and_b32_e32 v39, 1, v40
	v_lshlrev_b32_e32 v166, 30, v40
	v_lshlrev_b32_e32 v167, 29, v40
	v_lshlrev_b32_e32 v171, 28, v40
	v_lshlrev_b32_e32 v172, 27, v40
	v_add_co_u32 v39, s23, v39, -1
	v_cndmask_b32_e64 v168, 0, 1, s23
	v_not_b32_e32 v176, v166
	v_cmp_gt_i32_e64 s23, 0, v166
	v_not_b32_e32 v166, v167
	v_lshlrev_b32_e32 v173, 26, v40
	v_cmp_ne_u32_e32 vcc_lo, 0, v168
	v_ashrrev_i32_e32 v176, 31, v176
	v_lshlrev_b32_e32 v168, 25, v40
	v_ashrrev_i32_e32 v166, 31, v166
	v_xor_b32_e32 v39, vcc_lo, v39
	v_cmp_gt_i32_e32 vcc_lo, 0, v167
	v_not_b32_e32 v167, v171
	v_xor_b32_e32 v176, s23, v176
	v_cmp_gt_i32_e64 s23, 0, v171
	v_and_b32_e32 v39, exec_lo, v39
	v_not_b32_e32 v171, v172
	v_ashrrev_i32_e32 v167, 31, v167
	v_xor_b32_e32 v166, vcc_lo, v166
	v_cmp_gt_i32_e32 vcc_lo, 0, v172
	v_and_b32_e32 v39, v39, v176
	v_not_b32_e32 v172, v173
	v_ashrrev_i32_e32 v171, 31, v171
	v_xor_b32_e32 v167, s23, v167
	v_cmp_gt_i32_e64 s23, 0, v173
	v_and_b32_e32 v39, v39, v166
	v_not_b32_e32 v166, v168
	v_ashrrev_i32_e32 v172, 31, v172
	v_xor_b32_e32 v171, vcc_lo, v171
	v_cmp_gt_i32_e32 vcc_lo, 0, v168
	v_and_b32_e32 v39, v39, v167
	v_ashrrev_i32_e32 v166, 31, v166
	v_xor_b32_e32 v167, s23, v172
	v_mad_u32_u24 v168, v40, 36, v136
	v_mul_u32_u24_e32 v40, 36, v40
	v_and_b32_e32 v39, v39, v171
	v_xor_b32_e32 v171, vcc_lo, v166
	ds_read_b32 v166, v168 offset:544
	v_add_nc_u32_e32 v168, v136, v40
	v_and_b32_e32 v39, v39, v167
	; wave barrier
	v_and_b32_e32 v39, v39, v171
	v_mbcnt_lo_u32_b32 v167, v39, 0
	v_cmp_ne_u32_e64 s23, 0, v39
	v_cmp_eq_u32_e32 vcc_lo, 0, v167
	s_and_b32 s24, s23, vcc_lo
	s_and_saveexec_b32 s23, s24
	s_cbranch_execz .LBB632_462
; %bb.461:                              ;   in Loop: Header=BB632_418 Depth=2
	s_waitcnt lgkmcnt(0)
	v_bcnt_u32_b32 v39, v39, v166
	ds_write_b32 v168, v39 offset:544
.LBB632_462:                            ;   in Loop: Header=BB632_418 Depth=2
	;; [unrolled: 63-line block ×9, first 2 shown]
	s_or_b32 exec_lo, exec_lo, s23
	v_xor_b32_e32 v183, 0x80000000, v183
	; wave barrier
	v_lshrrev_b32_e32 v39, s61, v183
	v_and_b32_e32 v40, s62, v39
	v_and_b32_e32 v39, 1, v40
	v_lshlrev_b32_e32 v200, 30, v40
	v_lshlrev_b32_e32 v201, 29, v40
	v_lshlrev_b32_e32 v203, 28, v40
	v_lshlrev_b32_e32 v204, 27, v40
	v_add_co_u32 v39, s23, v39, -1
	v_cndmask_b32_e64 v202, 0, 1, s23
	v_not_b32_e32 v206, v200
	v_cmp_gt_i32_e64 s23, 0, v200
	v_not_b32_e32 v200, v201
	v_lshlrev_b32_e32 v205, 26, v40
	v_cmp_ne_u32_e32 vcc_lo, 0, v202
	v_ashrrev_i32_e32 v206, 31, v206
	v_lshlrev_b32_e32 v202, 25, v40
	v_ashrrev_i32_e32 v200, 31, v200
	v_xor_b32_e32 v39, vcc_lo, v39
	v_cmp_gt_i32_e32 vcc_lo, 0, v201
	v_not_b32_e32 v201, v203
	v_xor_b32_e32 v206, s23, v206
	v_cmp_gt_i32_e64 s23, 0, v203
	v_and_b32_e32 v39, exec_lo, v39
	v_not_b32_e32 v203, v204
	v_ashrrev_i32_e32 v201, 31, v201
	v_xor_b32_e32 v200, vcc_lo, v200
	v_cmp_gt_i32_e32 vcc_lo, 0, v204
	v_and_b32_e32 v39, v39, v206
	v_not_b32_e32 v204, v205
	v_ashrrev_i32_e32 v203, 31, v203
	v_xor_b32_e32 v201, s23, v201
	v_cmp_gt_i32_e64 s23, 0, v205
	v_and_b32_e32 v39, v39, v200
	v_not_b32_e32 v200, v202
	v_ashrrev_i32_e32 v204, 31, v204
	v_xor_b32_e32 v203, vcc_lo, v203
	v_cmp_gt_i32_e32 vcc_lo, 0, v202
	v_and_b32_e32 v39, v39, v201
	v_ashrrev_i32_e32 v200, 31, v200
	v_xor_b32_e32 v201, s23, v204
	v_mad_u32_u24 v202, v40, 36, v136
	v_mul_u32_u24_e32 v40, 36, v40
	v_and_b32_e32 v39, v39, v203
	v_xor_b32_e32 v200, vcc_lo, v200
	v_add_nc_u32_e32 v203, v136, v40
	v_and_b32_e32 v39, v39, v201
	ds_read_b32 v201, v202 offset:544
	; wave barrier
	v_and_b32_e32 v39, v39, v200
	v_mbcnt_lo_u32_b32 v202, v39, 0
	v_cmp_ne_u32_e64 s23, 0, v39
	v_cmp_eq_u32_e32 vcc_lo, 0, v202
	s_and_b32 s24, s23, vcc_lo
	s_and_saveexec_b32 s23, s24
	s_cbranch_execz .LBB632_478
; %bb.477:                              ;   in Loop: Header=BB632_418 Depth=2
	s_waitcnt lgkmcnt(0)
	v_bcnt_u32_b32 v39, v39, v201
	ds_write_b32 v203, v39 offset:544
.LBB632_478:                            ;   in Loop: Header=BB632_418 Depth=2
	s_or_b32 exec_lo, exec_lo, s23
	v_xor_b32_e32 v200, 0x80000000, v178
	; wave barrier
	v_lshrrev_b32_e32 v39, s61, v200
	v_and_b32_e32 v40, s62, v39
	v_and_b32_e32 v39, 1, v40
	v_lshlrev_b32_e32 v178, 30, v40
	v_lshlrev_b32_e32 v204, 29, v40
	v_lshlrev_b32_e32 v206, 28, v40
	v_lshlrev_b32_e32 v207, 27, v40
	v_add_co_u32 v39, s23, v39, -1
	v_cndmask_b32_e64 v205, 0, 1, s23
	v_not_b32_e32 v209, v178
	v_cmp_gt_i32_e64 s23, 0, v178
	v_not_b32_e32 v178, v204
	v_lshlrev_b32_e32 v208, 26, v40
	v_cmp_ne_u32_e32 vcc_lo, 0, v205
	v_ashrrev_i32_e32 v209, 31, v209
	v_lshlrev_b32_e32 v205, 25, v40
	v_ashrrev_i32_e32 v178, 31, v178
	v_xor_b32_e32 v39, vcc_lo, v39
	v_cmp_gt_i32_e32 vcc_lo, 0, v204
	v_not_b32_e32 v204, v206
	v_xor_b32_e32 v209, s23, v209
	v_cmp_gt_i32_e64 s23, 0, v206
	v_and_b32_e32 v39, exec_lo, v39
	v_not_b32_e32 v206, v207
	v_ashrrev_i32_e32 v204, 31, v204
	v_xor_b32_e32 v178, vcc_lo, v178
	v_cmp_gt_i32_e32 vcc_lo, 0, v207
	v_and_b32_e32 v39, v39, v209
	v_not_b32_e32 v207, v208
	v_ashrrev_i32_e32 v206, 31, v206
	v_xor_b32_e32 v204, s23, v204
	v_cmp_gt_i32_e64 s23, 0, v208
	v_and_b32_e32 v39, v39, v178
	v_not_b32_e32 v178, v205
	v_ashrrev_i32_e32 v207, 31, v207
	v_xor_b32_e32 v206, vcc_lo, v206
	v_cmp_gt_i32_e32 vcc_lo, 0, v205
	v_and_b32_e32 v39, v39, v204
	v_ashrrev_i32_e32 v178, 31, v178
	v_xor_b32_e32 v204, s23, v207
	v_mad_u32_u24 v205, v40, 36, v136
	v_mul_u32_u24_e32 v40, 36, v40
	v_and_b32_e32 v39, v39, v206
	v_xor_b32_e32 v178, vcc_lo, v178
	ds_read_b32 v205, v205 offset:544
	v_and_b32_e32 v39, v39, v204
	; wave barrier
	v_and_b32_e32 v39, v39, v178
	v_add_nc_u32_e32 v178, v136, v40
	v_mbcnt_lo_u32_b32 v206, v39, 0
	v_cmp_ne_u32_e64 s23, 0, v39
	v_cmp_eq_u32_e32 vcc_lo, 0, v206
	s_and_b32 s24, s23, vcc_lo
	s_and_saveexec_b32 s23, s24
	s_cbranch_execz .LBB632_480
; %bb.479:                              ;   in Loop: Header=BB632_418 Depth=2
	s_waitcnt lgkmcnt(0)
	v_bcnt_u32_b32 v39, v39, v205
	ds_write_b32 v178, v39 offset:544
.LBB632_480:                            ;   in Loop: Header=BB632_418 Depth=2
	s_or_b32 exec_lo, exec_lo, s23
	v_xor_b32_e32 v204, 0x80000000, v174
	; wave barrier
	v_lshrrev_b32_e32 v39, s61, v204
	v_and_b32_e32 v40, s62, v39
	v_and_b32_e32 v39, 1, v40
	v_lshlrev_b32_e32 v174, 30, v40
	v_lshlrev_b32_e32 v207, 29, v40
	v_lshlrev_b32_e32 v209, 28, v40
	v_lshlrev_b32_e32 v210, 27, v40
	v_add_co_u32 v39, s23, v39, -1
	v_cndmask_b32_e64 v208, 0, 1, s23
	v_not_b32_e32 v212, v174
	v_cmp_gt_i32_e64 s23, 0, v174
	v_not_b32_e32 v174, v207
	v_lshlrev_b32_e32 v211, 26, v40
	v_cmp_ne_u32_e32 vcc_lo, 0, v208
	v_ashrrev_i32_e32 v212, 31, v212
	v_lshlrev_b32_e32 v208, 25, v40
	v_ashrrev_i32_e32 v174, 31, v174
	v_xor_b32_e32 v39, vcc_lo, v39
	v_cmp_gt_i32_e32 vcc_lo, 0, v207
	v_not_b32_e32 v207, v209
	v_xor_b32_e32 v212, s23, v212
	v_cmp_gt_i32_e64 s23, 0, v209
	v_and_b32_e32 v39, exec_lo, v39
	v_not_b32_e32 v209, v210
	v_ashrrev_i32_e32 v207, 31, v207
	v_xor_b32_e32 v174, vcc_lo, v174
	v_cmp_gt_i32_e32 vcc_lo, 0, v210
	v_and_b32_e32 v39, v39, v212
	v_not_b32_e32 v210, v211
	v_ashrrev_i32_e32 v209, 31, v209
	v_xor_b32_e32 v207, s23, v207
	v_cmp_gt_i32_e64 s23, 0, v211
	v_and_b32_e32 v39, v39, v174
	v_not_b32_e32 v174, v208
	v_ashrrev_i32_e32 v210, 31, v210
	v_xor_b32_e32 v209, vcc_lo, v209
	v_cmp_gt_i32_e32 vcc_lo, 0, v208
	v_and_b32_e32 v39, v39, v207
	v_ashrrev_i32_e32 v174, 31, v174
	v_xor_b32_e32 v207, s23, v210
	v_mad_u32_u24 v208, v40, 36, v136
	v_mul_u32_u24_e32 v40, 36, v40
	v_and_b32_e32 v39, v39, v209
	v_xor_b32_e32 v174, vcc_lo, v174
	ds_read_b32 v208, v208 offset:544
	v_and_b32_e32 v39, v39, v207
	; wave barrier
	v_and_b32_e32 v39, v39, v174
	v_add_nc_u32_e32 v174, v136, v40
	;; [unrolled: 63-line block ×3, first 2 shown]
	v_mbcnt_lo_u32_b32 v212, v39, 0
	v_cmp_ne_u32_e64 s23, 0, v39
	v_cmp_eq_u32_e32 vcc_lo, 0, v212
	s_and_b32 s24, s23, vcc_lo
	s_and_saveexec_b32 s23, s24
	s_cbranch_execz .LBB632_484
; %bb.483:                              ;   in Loop: Header=BB632_418 Depth=2
	s_waitcnt lgkmcnt(0)
	v_bcnt_u32_b32 v39, v39, v211
	ds_write_b32 v169, v39 offset:544
.LBB632_484:                            ;   in Loop: Header=BB632_418 Depth=2
	s_or_b32 exec_lo, exec_lo, s23
	v_xor_b32_e32 v210, 0x80000000, v42
	; wave barrier
	v_lshrrev_b32_e32 v39, s61, v210
	v_and_b32_e32 v40, s62, v39
	v_and_b32_e32 v39, 1, v40
	v_lshlrev_b32_e32 v42, 30, v40
	v_lshlrev_b32_e32 v213, 29, v40
	;; [unrolled: 1-line block ×4, first 2 shown]
	v_add_co_u32 v39, s23, v39, -1
	v_cndmask_b32_e64 v214, 0, 1, s23
	v_not_b32_e32 v218, v42
	v_cmp_gt_i32_e64 s23, 0, v42
	v_not_b32_e32 v42, v213
	v_lshlrev_b32_e32 v217, 26, v40
	v_cmp_ne_u32_e32 vcc_lo, 0, v214
	v_ashrrev_i32_e32 v218, 31, v218
	v_lshlrev_b32_e32 v214, 25, v40
	v_ashrrev_i32_e32 v42, 31, v42
	v_xor_b32_e32 v39, vcc_lo, v39
	v_cmp_gt_i32_e32 vcc_lo, 0, v213
	v_not_b32_e32 v213, v215
	v_xor_b32_e32 v218, s23, v218
	v_cmp_gt_i32_e64 s23, 0, v215
	v_and_b32_e32 v39, exec_lo, v39
	v_not_b32_e32 v215, v216
	v_ashrrev_i32_e32 v213, 31, v213
	v_xor_b32_e32 v42, vcc_lo, v42
	v_cmp_gt_i32_e32 vcc_lo, 0, v216
	v_and_b32_e32 v39, v39, v218
	v_not_b32_e32 v216, v217
	v_ashrrev_i32_e32 v215, 31, v215
	v_xor_b32_e32 v213, s23, v213
	v_cmp_gt_i32_e64 s23, 0, v217
	v_and_b32_e32 v39, v39, v42
	v_not_b32_e32 v42, v214
	v_ashrrev_i32_e32 v216, 31, v216
	v_xor_b32_e32 v215, vcc_lo, v215
	v_cmp_gt_i32_e32 vcc_lo, 0, v214
	v_and_b32_e32 v39, v39, v213
	v_ashrrev_i32_e32 v42, 31, v42
	v_xor_b32_e32 v213, s23, v216
	v_mad_u32_u24 v214, v40, 36, v136
	v_mul_u32_u24_e32 v40, 36, v40
	v_and_b32_e32 v39, v39, v215
	v_xor_b32_e32 v42, vcc_lo, v42
	ds_read_b32 v214, v214 offset:544
	v_add_nc_u32_e32 v216, v136, v40
	v_and_b32_e32 v39, v39, v213
	; wave barrier
	v_and_b32_e32 v39, v39, v42
	v_mbcnt_lo_u32_b32 v215, v39, 0
	v_cmp_ne_u32_e64 s23, 0, v39
	v_cmp_eq_u32_e32 vcc_lo, 0, v215
	s_and_b32 s24, s23, vcc_lo
	s_and_saveexec_b32 s23, s24
	s_cbranch_execz .LBB632_486
; %bb.485:                              ;   in Loop: Header=BB632_418 Depth=2
	s_waitcnt lgkmcnt(0)
	v_bcnt_u32_b32 v39, v39, v214
	ds_write_b32 v216, v39 offset:544
.LBB632_486:                            ;   in Loop: Header=BB632_418 Depth=2
	s_or_b32 exec_lo, exec_lo, s23
	v_xor_b32_e32 v213, 0x80000000, v41
	; wave barrier
	v_lshrrev_b32_e32 v39, s61, v213
	v_and_b32_e32 v40, s62, v39
	v_and_b32_e32 v39, 1, v40
	v_lshlrev_b32_e32 v41, 30, v40
	v_lshlrev_b32_e32 v42, 29, v40
	;; [unrolled: 1-line block ×4, first 2 shown]
	v_add_co_u32 v39, s23, v39, -1
	v_cndmask_b32_e64 v217, 0, 1, s23
	v_not_b32_e32 v221, v41
	v_cmp_gt_i32_e64 s23, 0, v41
	v_not_b32_e32 v41, v42
	v_lshlrev_b32_e32 v220, 26, v40
	v_cmp_ne_u32_e32 vcc_lo, 0, v217
	v_ashrrev_i32_e32 v221, 31, v221
	v_lshlrev_b32_e32 v217, 25, v40
	v_ashrrev_i32_e32 v41, 31, v41
	v_xor_b32_e32 v39, vcc_lo, v39
	v_cmp_gt_i32_e32 vcc_lo, 0, v42
	v_not_b32_e32 v42, v218
	v_xor_b32_e32 v221, s23, v221
	v_cmp_gt_i32_e64 s23, 0, v218
	v_and_b32_e32 v39, exec_lo, v39
	v_not_b32_e32 v218, v219
	v_ashrrev_i32_e32 v42, 31, v42
	v_xor_b32_e32 v41, vcc_lo, v41
	v_cmp_gt_i32_e32 vcc_lo, 0, v219
	v_and_b32_e32 v39, v39, v221
	v_not_b32_e32 v219, v220
	v_ashrrev_i32_e32 v218, 31, v218
	v_xor_b32_e32 v42, s23, v42
	v_cmp_gt_i32_e64 s23, 0, v220
	v_and_b32_e32 v39, v39, v41
	v_not_b32_e32 v41, v217
	v_ashrrev_i32_e32 v219, 31, v219
	v_xor_b32_e32 v218, vcc_lo, v218
	v_cmp_gt_i32_e32 vcc_lo, 0, v217
	v_and_b32_e32 v39, v39, v42
	v_ashrrev_i32_e32 v41, 31, v41
	v_xor_b32_e32 v42, s23, v219
	v_mad_u32_u24 v217, v40, 36, v136
	v_mul_u32_u24_e32 v40, 36, v40
	v_and_b32_e32 v39, v39, v218
	v_xor_b32_e32 v41, vcc_lo, v41
	ds_read_b32 v217, v217 offset:544
	v_add_nc_u32_e32 v219, v136, v40
	v_and_b32_e32 v39, v39, v42
	; wave barrier
	v_and_b32_e32 v39, v39, v41
	v_mbcnt_lo_u32_b32 v218, v39, 0
	v_cmp_ne_u32_e64 s23, 0, v39
	v_cmp_eq_u32_e32 vcc_lo, 0, v218
	s_and_b32 s24, s23, vcc_lo
	s_and_saveexec_b32 s23, s24
	s_cbranch_execz .LBB632_488
; %bb.487:                              ;   in Loop: Header=BB632_418 Depth=2
	s_waitcnt lgkmcnt(0)
	v_bcnt_u32_b32 v39, v39, v217
	ds_write_b32 v219, v39 offset:544
.LBB632_488:                            ;   in Loop: Header=BB632_418 Depth=2
	s_or_b32 exec_lo, exec_lo, s23
	v_lshrrev_b32_e32 v39, s61, v3
	; wave barrier
	v_and_b32_e32 v40, s62, v39
	v_and_b32_e32 v39, 1, v40
	v_lshlrev_b32_e32 v41, 30, v40
	v_lshlrev_b32_e32 v42, 29, v40
	;; [unrolled: 1-line block ×4, first 2 shown]
	v_add_co_u32 v39, s23, v39, -1
	v_cndmask_b32_e64 v220, 0, 1, s23
	v_not_b32_e32 v224, v41
	v_cmp_gt_i32_e64 s23, 0, v41
	v_not_b32_e32 v41, v42
	v_lshlrev_b32_e32 v223, 26, v40
	v_cmp_ne_u32_e32 vcc_lo, 0, v220
	v_ashrrev_i32_e32 v224, 31, v224
	v_lshlrev_b32_e32 v220, 25, v40
	v_ashrrev_i32_e32 v41, 31, v41
	v_xor_b32_e32 v39, vcc_lo, v39
	v_cmp_gt_i32_e32 vcc_lo, 0, v42
	v_not_b32_e32 v42, v221
	v_xor_b32_e32 v224, s23, v224
	v_cmp_gt_i32_e64 s23, 0, v221
	v_and_b32_e32 v39, exec_lo, v39
	v_not_b32_e32 v221, v222
	v_ashrrev_i32_e32 v42, 31, v42
	v_xor_b32_e32 v41, vcc_lo, v41
	v_cmp_gt_i32_e32 vcc_lo, 0, v222
	v_and_b32_e32 v39, v39, v224
	v_not_b32_e32 v222, v223
	v_ashrrev_i32_e32 v221, 31, v221
	v_xor_b32_e32 v42, s23, v42
	v_cmp_gt_i32_e64 s23, 0, v223
	v_and_b32_e32 v39, v39, v41
	v_not_b32_e32 v41, v220
	v_ashrrev_i32_e32 v222, 31, v222
	v_xor_b32_e32 v221, vcc_lo, v221
	v_cmp_gt_i32_e32 vcc_lo, 0, v220
	v_and_b32_e32 v39, v39, v42
	v_ashrrev_i32_e32 v41, 31, v41
	v_xor_b32_e32 v42, s23, v222
	v_mad_u32_u24 v220, v40, 36, v136
	v_mul_u32_u24_e32 v40, 36, v40
	v_and_b32_e32 v39, v39, v221
	v_xor_b32_e32 v41, vcc_lo, v41
	ds_read_b32 v220, v220 offset:544
	v_add_nc_u32_e32 v222, v136, v40
	v_and_b32_e32 v39, v39, v42
	; wave barrier
	v_and_b32_e32 v39, v39, v41
	v_mbcnt_lo_u32_b32 v221, v39, 0
	v_cmp_ne_u32_e64 s23, 0, v39
	v_cmp_eq_u32_e32 vcc_lo, 0, v221
	s_and_b32 s24, s23, vcc_lo
	s_and_saveexec_b32 s23, s24
	s_cbranch_execz .LBB632_490
; %bb.489:                              ;   in Loop: Header=BB632_418 Depth=2
	s_waitcnt lgkmcnt(0)
	v_bcnt_u32_b32 v39, v39, v220
	ds_write_b32 v222, v39 offset:544
.LBB632_490:                            ;   in Loop: Header=BB632_418 Depth=2
	s_or_b32 exec_lo, exec_lo, s23
	; wave barrier
	s_waitcnt lgkmcnt(0)
	s_barrier
	buffer_gl0_inv
	ds_read2_b32 v[41:42], v68 offset0:136 offset1:137
	ds_read2_b32 v[39:40], v68 offset0:138 offset1:139
	ds_read_b32 v223, v68 offset:560
	s_waitcnt lgkmcnt(1)
	v_add3_u32 v224, v42, v41, v39
	s_waitcnt lgkmcnt(0)
	v_add3_u32 v223, v224, v40, v223
	v_mov_b32_dpp v224, v223 row_shr:1 row_mask:0xf bank_mask:0xf
	v_cndmask_b32_e64 v224, v224, 0, s5
	v_add_nc_u32_e32 v223, v224, v223
	v_mov_b32_dpp v224, v223 row_shr:2 row_mask:0xf bank_mask:0xf
	v_cndmask_b32_e64 v224, 0, v224, s16
	v_add_nc_u32_e32 v223, v223, v224
	;; [unrolled: 3-line block ×4, first 2 shown]
	ds_swizzle_b32 v224, v223 offset:swizzle(BROADCAST,32,15)
	s_waitcnt lgkmcnt(0)
	v_cndmask_b32_e64 v224, v224, 0, s19
	v_add_nc_u32_e32 v223, v223, v224
	s_and_saveexec_b32 s23, s4
; %bb.491:                              ;   in Loop: Header=BB632_418 Depth=2
	ds_write_b32 v62, v223 offset:512
; %bb.492:                              ;   in Loop: Header=BB632_418 Depth=2
	s_or_b32 exec_lo, exec_lo, s23
	s_waitcnt lgkmcnt(0)
	s_barrier
	buffer_gl0_inv
	s_and_saveexec_b32 s23, s12
	s_cbranch_execz .LBB632_494
; %bb.493:                              ;   in Loop: Header=BB632_418 Depth=2
	ds_read_b32 v224, v69 offset:512
	s_waitcnt lgkmcnt(0)
	v_mov_b32_dpp v225, v224 row_shr:1 row_mask:0xf bank_mask:0xf
	v_cndmask_b32_e64 v225, v225, 0, s20
	v_add_nc_u32_e32 v224, v225, v224
	v_mov_b32_dpp v225, v224 row_shr:2 row_mask:0xf bank_mask:0xf
	v_cndmask_b32_e64 v225, 0, v225, s21
	v_add_nc_u32_e32 v224, v224, v225
	;; [unrolled: 3-line block ×3, first 2 shown]
	ds_write_b32 v69, v224 offset:512
.LBB632_494:                            ;   in Loop: Header=BB632_418 Depth=2
	s_or_b32 exec_lo, exec_lo, s23
	v_mov_b32_e32 v224, 0
	s_waitcnt lgkmcnt(0)
	s_barrier
	buffer_gl0_inv
	s_and_saveexec_b32 s23, s11
; %bb.495:                              ;   in Loop: Header=BB632_418 Depth=2
	ds_read_b32 v224, v62 offset:508
; %bb.496:                              ;   in Loop: Header=BB632_418 Depth=2
	s_or_b32 exec_lo, exec_lo, s23
	s_waitcnt lgkmcnt(0)
	v_add_nc_u32_e32 v223, v224, v223
	ds_bpermute_b32 v223, v131, v223
	s_waitcnt lgkmcnt(0)
	v_cndmask_b32_e64 v223, v223, v224, s15
	v_cndmask_b32_e64 v223, v223, 0, s13
	v_add_nc_u32_e32 v41, v223, v41
	v_add_nc_u32_e32 v42, v41, v42
	;; [unrolled: 1-line block ×4, first 2 shown]
	ds_write2_b32 v68, v223, v41 offset0:136 offset1:137
	ds_write2_b32 v68, v42, v39 offset0:138 offset1:139
	ds_write_b32 v68, v40 offset:560
	s_waitcnt lgkmcnt(0)
	s_barrier
	buffer_gl0_inv
	ds_read_b32 v41, v160 offset:544
	ds_read_b32 v42, v164 offset:544
	;; [unrolled: 1-line block ×17, first 2 shown]
	s_and_saveexec_b32 s23, s8
	s_cbranch_execz .LBB632_500
; %bb.497:                              ;   in Loop: Header=BB632_418 Depth=2
	ds_read_b32 v152, v71 offset:544
	v_mov_b32_e32 v155, 0x1100
	s_and_saveexec_b32 s24, s14
; %bb.498:                              ;   in Loop: Header=BB632_418 Depth=2
	ds_read_b32 v155, v70 offset:544
; %bb.499:                              ;   in Loop: Header=BB632_418 Depth=2
	s_or_b32 exec_lo, exec_lo, s24
	s_waitcnt lgkmcnt(0)
	v_sub_nc_u32_e32 v155, v155, v152
.LBB632_500:                            ;   in Loop: Header=BB632_418 Depth=2
	s_or_b32 exec_lo, exec_lo, s23
	s_waitcnt lgkmcnt(0)
	s_barrier
	buffer_gl0_inv
	s_and_saveexec_b32 s23, s8
	s_cbranch_execz .LBB632_502
; %bb.501:                              ;   in Loop: Header=BB632_418 Depth=2
	ds_read_b32 v169, v43
	s_waitcnt lgkmcnt(0)
	v_sub_nc_u32_e32 v169, v169, v152
	ds_write_b32 v43, v169
.LBB632_502:                            ;   in Loop: Header=BB632_418 Depth=2
	s_or_b32 exec_lo, exec_lo, s23
	v_add_nc_u32_e32 v179, v41, v159
	v_add3_u32 v178, v163, v162, v42
	v_add3_u32 v174, v167, v166, v164
	v_add3_u32 v173, v172, v171, v168
	v_add3_u32 v172, v177, v176, v223
	v_add3_u32 v169, v187, v186, v189
	v_lshlrev_b32_e32 v176, 2, v179
	v_lshlrev_b32_e32 v177, 2, v178
	v_add3_u32 v162, v218, v217, v39
	v_lshlrev_b32_e32 v39, 2, v174
	v_add3_u32 v171, v182, v181, v184
	v_add3_u32 v168, v192, v191, v193
	;; [unrolled: 1-line block ×5, first 2 shown]
	ds_write_b32 v176, v157 offset:512
	ds_write_b32 v177, v158 offset:512
	v_lshlrev_b32_e32 v40, 2, v173
	ds_write_b32 v39, v161 offset:512
	v_lshlrev_b32_e32 v39, 2, v169
	v_add3_u32 v166, v198, v197, v199
	v_lshlrev_b32_e32 v157, 2, v172
	v_add3_u32 v164, v202, v201, v203
	v_lshlrev_b32_e32 v158, 2, v171
	v_add3_u32 v163, v206, v205, v224
	v_add3_u32 v42, v209, v208, v225
	ds_write_b32 v40, v165 offset:512
	ds_write_b32 v157, v170 offset:512
	;; [unrolled: 1-line block ×3, first 2 shown]
	v_lshlrev_b32_e32 v40, 2, v168
	ds_write_b32 v39, v180 offset:512
	v_lshlrev_b32_e32 v39, 2, v167
	v_lshlrev_b32_e32 v157, 2, v166
	v_lshlrev_b32_e32 v158, 2, v164
	v_add3_u32 v41, v212, v211, v226
	ds_write_b32 v40, v185 offset:512
	v_lshlrev_b32_e32 v40, 2, v163
	ds_write_b32 v39, v190 offset:512
	ds_write_b32 v157, v188 offset:512
	ds_write_b32 v158, v183 offset:512
	v_lshlrev_b32_e32 v39, 2, v42
	v_cmp_lt_u32_e32 vcc_lo, v0, v156
	v_lshlrev_b32_e32 v157, 2, v159
	ds_write_b32 v40, v200 offset:512
	v_lshlrev_b32_e32 v40, 2, v41
	ds_write_b32 v39, v204 offset:512
	v_lshlrev_b32_e32 v39, 2, v160
	v_lshlrev_b32_e32 v158, 2, v162
	ds_write_b32 v40, v207 offset:512
	ds_write_b32 v157, v210 offset:512
	;; [unrolled: 1-line block ×4, first 2 shown]
	s_waitcnt lgkmcnt(0)
	s_barrier
	buffer_gl0_inv
	s_and_saveexec_b32 s24, vcc_lo
	s_cbranch_execnz .LBB632_575
; %bb.503:                              ;   in Loop: Header=BB632_418 Depth=2
	s_or_b32 exec_lo, exec_lo, s24
	v_cmp_lt_u32_e64 s23, v44, v156
	s_and_saveexec_b32 s25, s23
	s_cbranch_execnz .LBB632_576
.LBB632_504:                            ;   in Loop: Header=BB632_418 Depth=2
	s_or_b32 exec_lo, exec_lo, s25
	v_cmp_lt_u32_e64 s24, v47, v156
	s_and_saveexec_b32 s26, s24
	s_cbranch_execnz .LBB632_577
.LBB632_505:                            ;   in Loop: Header=BB632_418 Depth=2
	s_or_b32 exec_lo, exec_lo, s26
	v_cmp_lt_u32_e64 s25, v48, v156
	s_and_saveexec_b32 s27, s25
	s_cbranch_execnz .LBB632_578
.LBB632_506:                            ;   in Loop: Header=BB632_418 Depth=2
	s_or_b32 exec_lo, exec_lo, s27
	v_cmp_lt_u32_e64 s26, v49, v156
	s_and_saveexec_b32 s28, s26
	s_cbranch_execnz .LBB632_579
.LBB632_507:                            ;   in Loop: Header=BB632_418 Depth=2
	s_or_b32 exec_lo, exec_lo, s28
	v_cmp_lt_u32_e64 s27, v50, v156
	s_and_saveexec_b32 s29, s27
	s_cbranch_execnz .LBB632_580
.LBB632_508:                            ;   in Loop: Header=BB632_418 Depth=2
	s_or_b32 exec_lo, exec_lo, s29
	v_cmp_lt_u32_e64 s28, v51, v156
	s_and_saveexec_b32 s30, s28
	s_cbranch_execnz .LBB632_581
.LBB632_509:                            ;   in Loop: Header=BB632_418 Depth=2
	s_or_b32 exec_lo, exec_lo, s30
	v_cmp_lt_u32_e64 s29, v52, v156
	s_and_saveexec_b32 s31, s29
	s_cbranch_execnz .LBB632_582
.LBB632_510:                            ;   in Loop: Header=BB632_418 Depth=2
	s_or_b32 exec_lo, exec_lo, s31
	v_cmp_lt_u32_e64 s30, v53, v156
	s_and_saveexec_b32 s33, s30
	s_cbranch_execnz .LBB632_583
.LBB632_511:                            ;   in Loop: Header=BB632_418 Depth=2
	s_or_b32 exec_lo, exec_lo, s33
	v_cmp_lt_u32_e64 s31, v54, v156
	s_and_saveexec_b32 s34, s31
	s_cbranch_execnz .LBB632_584
.LBB632_512:                            ;   in Loop: Header=BB632_418 Depth=2
	s_or_b32 exec_lo, exec_lo, s34
	v_cmp_lt_u32_e64 s33, v55, v156
	s_and_saveexec_b32 s35, s33
	s_cbranch_execnz .LBB632_585
.LBB632_513:                            ;   in Loop: Header=BB632_418 Depth=2
	s_or_b32 exec_lo, exec_lo, s35
	v_cmp_lt_u32_e64 s34, v56, v156
	s_and_saveexec_b32 s36, s34
	s_cbranch_execnz .LBB632_586
.LBB632_514:                            ;   in Loop: Header=BB632_418 Depth=2
	s_or_b32 exec_lo, exec_lo, s36
	v_cmp_lt_u32_e64 s35, v57, v156
	s_and_saveexec_b32 s37, s35
	s_cbranch_execnz .LBB632_587
.LBB632_515:                            ;   in Loop: Header=BB632_418 Depth=2
	s_or_b32 exec_lo, exec_lo, s37
	v_cmp_lt_u32_e64 s36, v58, v156
	s_and_saveexec_b32 s38, s36
	s_cbranch_execnz .LBB632_588
.LBB632_516:                            ;   in Loop: Header=BB632_418 Depth=2
	s_or_b32 exec_lo, exec_lo, s38
	v_cmp_lt_u32_e64 s37, v59, v156
	s_and_saveexec_b32 s39, s37
	s_cbranch_execnz .LBB632_589
.LBB632_517:                            ;   in Loop: Header=BB632_418 Depth=2
	s_or_b32 exec_lo, exec_lo, s39
	v_cmp_lt_u32_e64 s38, v60, v156
	s_and_saveexec_b32 s40, s38
	s_cbranch_execnz .LBB632_590
.LBB632_518:                            ;   in Loop: Header=BB632_418 Depth=2
	s_or_b32 exec_lo, exec_lo, s40
	v_cmp_lt_u32_e64 s39, v61, v156
	s_and_saveexec_b32 s65, s39
	s_cbranch_execz .LBB632_520
.LBB632_519:                            ;   in Loop: Header=BB632_418 Depth=2
	ds_read_b32 v157, v69 offset:16896
	s_waitcnt lgkmcnt(0)
	v_lshrrev_b32_e32 v3, s61, v157
	v_and_b32_e32 v3, s62, v3
	v_lshlrev_b32_e32 v3, 2, v3
	ds_read_b32 v3, v3
	s_waitcnt lgkmcnt(0)
	v_add_nc_u32_e32 v3, v3, v61
	v_lshlrev_b64 v[39:40], 2, v[3:4]
	v_xor_b32_e32 v3, 0x80000000, v157
	v_add_co_u32 v39, s40, s48, v39
	v_add_co_ci_u32_e64 v40, null, s49, v40, s40
	global_store_dword v[39:40], v3, off
.LBB632_520:                            ;   in Loop: Header=BB632_418 Depth=2
	s_or_b32 exec_lo, exec_lo, s65
	s_lshl_b64 s[66:67], s[50:51], 3
	v_add_co_u32 v39, s40, v132, s66
	v_add_co_ci_u32_e64 v40, null, s67, v133, s40
	v_cmp_lt_u32_e64 s40, v109, v156
	s_and_saveexec_b32 s50, s40
	s_xor_b32 s40, exec_lo, s50
	s_cbranch_execnz .LBB632_591
; %bb.521:                              ;   in Loop: Header=BB632_418 Depth=2
	s_or_b32 exec_lo, exec_lo, s40
	s_mov_b32 s50, exec_lo
	v_cmpx_lt_u32_e64 v112, v156
	s_cbranch_execnz .LBB632_592
.LBB632_522:                            ;   in Loop: Header=BB632_418 Depth=2
	s_or_b32 exec_lo, exec_lo, s50
	s_mov_b32 s50, exec_lo
	v_cmpx_lt_u32_e64 v113, v156
	s_cbranch_execnz .LBB632_593
.LBB632_523:                            ;   in Loop: Header=BB632_418 Depth=2
	s_or_b32 exec_lo, exec_lo, s50
	s_mov_b32 s50, exec_lo
	v_cmpx_lt_u32_e64 v114, v156
	s_cbranch_execnz .LBB632_594
.LBB632_524:                            ;   in Loop: Header=BB632_418 Depth=2
	s_or_b32 exec_lo, exec_lo, s50
	s_mov_b32 s50, exec_lo
	v_cmpx_lt_u32_e64 v115, v156
	s_cbranch_execnz .LBB632_595
.LBB632_525:                            ;   in Loop: Header=BB632_418 Depth=2
	s_or_b32 exec_lo, exec_lo, s50
	s_mov_b32 s50, exec_lo
	v_cmpx_lt_u32_e64 v116, v156
	s_cbranch_execnz .LBB632_596
.LBB632_526:                            ;   in Loop: Header=BB632_418 Depth=2
	s_or_b32 exec_lo, exec_lo, s50
	s_mov_b32 s50, exec_lo
	v_cmpx_lt_u32_e64 v117, v156
	s_cbranch_execnz .LBB632_597
.LBB632_527:                            ;   in Loop: Header=BB632_418 Depth=2
	s_or_b32 exec_lo, exec_lo, s50
	s_mov_b32 s50, exec_lo
	v_cmpx_lt_u32_e64 v118, v156
	s_cbranch_execnz .LBB632_598
.LBB632_528:                            ;   in Loop: Header=BB632_418 Depth=2
	s_or_b32 exec_lo, exec_lo, s50
	s_mov_b32 s50, exec_lo
	v_cmpx_lt_u32_e64 v119, v156
	s_cbranch_execnz .LBB632_599
.LBB632_529:                            ;   in Loop: Header=BB632_418 Depth=2
	s_or_b32 exec_lo, exec_lo, s50
	s_mov_b32 s50, exec_lo
	v_cmpx_lt_u32_e64 v120, v156
	s_cbranch_execnz .LBB632_600
.LBB632_530:                            ;   in Loop: Header=BB632_418 Depth=2
	s_or_b32 exec_lo, exec_lo, s50
	s_mov_b32 s50, exec_lo
	v_cmpx_lt_u32_e64 v121, v156
	s_cbranch_execnz .LBB632_601
.LBB632_531:                            ;   in Loop: Header=BB632_418 Depth=2
	s_or_b32 exec_lo, exec_lo, s50
	s_mov_b32 s50, exec_lo
	v_cmpx_lt_u32_e64 v122, v156
	s_cbranch_execnz .LBB632_602
.LBB632_532:                            ;   in Loop: Header=BB632_418 Depth=2
	s_or_b32 exec_lo, exec_lo, s50
	s_mov_b32 s50, exec_lo
	v_cmpx_lt_u32_e64 v123, v156
	s_cbranch_execnz .LBB632_603
.LBB632_533:                            ;   in Loop: Header=BB632_418 Depth=2
	s_or_b32 exec_lo, exec_lo, s50
	s_mov_b32 s50, exec_lo
	v_cmpx_lt_u32_e64 v124, v156
	s_cbranch_execnz .LBB632_604
.LBB632_534:                            ;   in Loop: Header=BB632_418 Depth=2
	s_or_b32 exec_lo, exec_lo, s50
	s_mov_b32 s50, exec_lo
	v_cmpx_lt_u32_e64 v126, v156
	s_cbranch_execnz .LBB632_605
.LBB632_535:                            ;   in Loop: Header=BB632_418 Depth=2
	s_or_b32 exec_lo, exec_lo, s50
	s_mov_b32 s50, exec_lo
	v_cmpx_lt_u32_e64 v127, v156
	s_cbranch_execnz .LBB632_606
.LBB632_536:                            ;   in Loop: Header=BB632_418 Depth=2
	s_or_b32 exec_lo, exec_lo, s50
	s_mov_b32 s50, exec_lo
	v_cmpx_lt_u32_e64 v128, v156
	s_cbranch_execnz .LBB632_607
.LBB632_537:                            ;   in Loop: Header=BB632_418 Depth=2
	s_or_b32 exec_lo, exec_lo, s50
	s_and_saveexec_b32 s40, vcc_lo
	s_cbranch_execnz .LBB632_608
.LBB632_538:                            ;   in Loop: Header=BB632_418 Depth=2
	s_or_b32 exec_lo, exec_lo, s40
	s_and_saveexec_b32 s40, s23
	s_cbranch_execnz .LBB632_609
.LBB632_539:                            ;   in Loop: Header=BB632_418 Depth=2
	s_or_b32 exec_lo, exec_lo, s40
	s_and_saveexec_b32 s40, s24
	s_cbranch_execnz .LBB632_610
.LBB632_540:                            ;   in Loop: Header=BB632_418 Depth=2
	s_or_b32 exec_lo, exec_lo, s40
	s_and_saveexec_b32 s40, s25
	s_cbranch_execnz .LBB632_611
.LBB632_541:                            ;   in Loop: Header=BB632_418 Depth=2
	s_or_b32 exec_lo, exec_lo, s40
	s_and_saveexec_b32 s40, s26
	s_cbranch_execnz .LBB632_612
.LBB632_542:                            ;   in Loop: Header=BB632_418 Depth=2
	s_or_b32 exec_lo, exec_lo, s40
	s_and_saveexec_b32 s40, s27
	s_cbranch_execnz .LBB632_613
.LBB632_543:                            ;   in Loop: Header=BB632_418 Depth=2
	s_or_b32 exec_lo, exec_lo, s40
	s_and_saveexec_b32 s40, s28
	s_cbranch_execnz .LBB632_614
.LBB632_544:                            ;   in Loop: Header=BB632_418 Depth=2
	s_or_b32 exec_lo, exec_lo, s40
	s_and_saveexec_b32 s40, s29
	s_cbranch_execnz .LBB632_615
.LBB632_545:                            ;   in Loop: Header=BB632_418 Depth=2
	s_or_b32 exec_lo, exec_lo, s40
	s_and_saveexec_b32 s40, s30
	s_cbranch_execnz .LBB632_616
.LBB632_546:                            ;   in Loop: Header=BB632_418 Depth=2
	s_or_b32 exec_lo, exec_lo, s40
	s_and_saveexec_b32 s40, s31
	s_cbranch_execnz .LBB632_617
.LBB632_547:                            ;   in Loop: Header=BB632_418 Depth=2
	s_or_b32 exec_lo, exec_lo, s40
	s_and_saveexec_b32 s40, s33
	s_cbranch_execnz .LBB632_618
.LBB632_548:                            ;   in Loop: Header=BB632_418 Depth=2
	s_or_b32 exec_lo, exec_lo, s40
	s_and_saveexec_b32 s40, s34
	s_cbranch_execnz .LBB632_619
.LBB632_549:                            ;   in Loop: Header=BB632_418 Depth=2
	s_or_b32 exec_lo, exec_lo, s40
	s_and_saveexec_b32 s40, s35
	s_cbranch_execnz .LBB632_620
.LBB632_550:                            ;   in Loop: Header=BB632_418 Depth=2
	s_or_b32 exec_lo, exec_lo, s40
	s_and_saveexec_b32 s40, s36
	s_cbranch_execnz .LBB632_621
.LBB632_551:                            ;   in Loop: Header=BB632_418 Depth=2
	s_or_b32 exec_lo, exec_lo, s40
	s_and_saveexec_b32 s40, s37
	s_cbranch_execnz .LBB632_622
.LBB632_552:                            ;   in Loop: Header=BB632_418 Depth=2
	s_or_b32 exec_lo, exec_lo, s40
	s_and_saveexec_b32 s40, s38
	s_cbranch_execnz .LBB632_623
.LBB632_553:                            ;   in Loop: Header=BB632_418 Depth=2
	s_or_b32 exec_lo, exec_lo, s40
	s_and_saveexec_b32 s40, s39
	s_cbranch_execz .LBB632_555
.LBB632_554:                            ;   in Loop: Header=BB632_418 Depth=2
	ds_read_b32 v3, v69 offset:16896
	s_waitcnt lgkmcnt(0)
	v_lshrrev_b32_e32 v3, s61, v3
	v_and_b32_e32 v137, s62, v3
.LBB632_555:                            ;   in Loop: Header=BB632_418 Depth=2
	s_or_b32 exec_lo, exec_lo, s40
	v_lshlrev_b32_e32 v3, 3, v179
	v_lshlrev_b32_e32 v39, 3, v178
	s_waitcnt vmcnt(0)
	s_waitcnt_vscnt null, 0x0
	s_barrier
	buffer_gl0_inv
	ds_write_b64 v3, v[37:38] offset:512
	ds_write_b64 v39, v[35:36] offset:512
	v_lshlrev_b32_e32 v3, 3, v174
	v_lshlrev_b32_e32 v39, 3, v173
	v_lshlrev_b32_e32 v40, 3, v172
	v_lshlrev_b32_e32 v156, 3, v171
	v_lshlrev_b32_e32 v157, 3, v169
	ds_write_b64 v3, v[33:34] offset:512
	ds_write_b64 v39, v[31:32] offset:512
	ds_write_b64 v40, v[29:30] offset:512
	ds_write_b64 v156, v[25:26] offset:512
	ds_write_b64 v157, v[21:22] offset:512
	v_lshlrev_b32_e32 v3, 3, v168
	v_lshlrev_b32_e32 v39, 3, v167
	v_lshlrev_b32_e32 v40, 3, v166
	v_lshlrev_b32_e32 v156, 3, v164
	v_lshlrev_b32_e32 v157, 3, v163
	ds_write_b64 v3, v[17:18] offset:512
	ds_write_b64 v39, v[27:28] offset:512
	ds_write_b64 v40, v[23:24] offset:512
	;; [unrolled: 10-line block ×3, first 2 shown]
	ds_write_b64 v41, v[7:8] offset:512
	ds_write_b64 v42, v[5:6] offset:512
	s_waitcnt lgkmcnt(0)
	s_barrier
	buffer_gl0_inv
	s_and_saveexec_b32 s40, vcc_lo
	s_cbranch_execnz .LBB632_624
; %bb.556:                              ;   in Loop: Header=BB632_418 Depth=2
	s_or_b32 exec_lo, exec_lo, s40
	s_and_saveexec_b32 s40, s23
	s_cbranch_execnz .LBB632_625
.LBB632_557:                            ;   in Loop: Header=BB632_418 Depth=2
	s_or_b32 exec_lo, exec_lo, s40
	s_and_saveexec_b32 s23, s24
	s_cbranch_execnz .LBB632_626
.LBB632_558:                            ;   in Loop: Header=BB632_418 Depth=2
	s_or_b32 exec_lo, exec_lo, s23
	s_and_saveexec_b32 s23, s25
	s_cbranch_execnz .LBB632_627
.LBB632_559:                            ;   in Loop: Header=BB632_418 Depth=2
	s_or_b32 exec_lo, exec_lo, s23
	s_and_saveexec_b32 s23, s26
	s_cbranch_execnz .LBB632_628
.LBB632_560:                            ;   in Loop: Header=BB632_418 Depth=2
	s_or_b32 exec_lo, exec_lo, s23
	s_and_saveexec_b32 s23, s27
	s_cbranch_execnz .LBB632_629
.LBB632_561:                            ;   in Loop: Header=BB632_418 Depth=2
	s_or_b32 exec_lo, exec_lo, s23
	s_and_saveexec_b32 s23, s28
	s_cbranch_execnz .LBB632_630
.LBB632_562:                            ;   in Loop: Header=BB632_418 Depth=2
	s_or_b32 exec_lo, exec_lo, s23
	s_and_saveexec_b32 s23, s29
	s_cbranch_execnz .LBB632_631
.LBB632_563:                            ;   in Loop: Header=BB632_418 Depth=2
	s_or_b32 exec_lo, exec_lo, s23
	s_and_saveexec_b32 s23, s30
	s_cbranch_execnz .LBB632_632
.LBB632_564:                            ;   in Loop: Header=BB632_418 Depth=2
	s_or_b32 exec_lo, exec_lo, s23
	s_and_saveexec_b32 s23, s31
	s_cbranch_execnz .LBB632_633
.LBB632_565:                            ;   in Loop: Header=BB632_418 Depth=2
	s_or_b32 exec_lo, exec_lo, s23
	s_and_saveexec_b32 s23, s33
	s_cbranch_execnz .LBB632_634
.LBB632_566:                            ;   in Loop: Header=BB632_418 Depth=2
	s_or_b32 exec_lo, exec_lo, s23
	s_and_saveexec_b32 s23, s34
	s_cbranch_execnz .LBB632_635
.LBB632_567:                            ;   in Loop: Header=BB632_418 Depth=2
	s_or_b32 exec_lo, exec_lo, s23
	s_and_saveexec_b32 s23, s35
	s_cbranch_execnz .LBB632_636
.LBB632_568:                            ;   in Loop: Header=BB632_418 Depth=2
	s_or_b32 exec_lo, exec_lo, s23
	s_and_saveexec_b32 s23, s36
	s_cbranch_execnz .LBB632_637
.LBB632_569:                            ;   in Loop: Header=BB632_418 Depth=2
	s_or_b32 exec_lo, exec_lo, s23
	s_and_saveexec_b32 s23, s37
	s_cbranch_execnz .LBB632_638
.LBB632_570:                            ;   in Loop: Header=BB632_418 Depth=2
	s_or_b32 exec_lo, exec_lo, s23
	s_and_saveexec_b32 s23, s38
	s_cbranch_execnz .LBB632_639
.LBB632_571:                            ;   in Loop: Header=BB632_418 Depth=2
	s_or_b32 exec_lo, exec_lo, s23
	s_and_saveexec_b32 s23, s39
	s_cbranch_execz .LBB632_573
.LBB632_572:                            ;   in Loop: Header=BB632_418 Depth=2
	v_lshlrev_b32_e32 v3, 2, v137
	v_add_nc_u32_e32 v39, v69, v43
	ds_read_b32 v3, v3
	ds_read_b64 v[39:40], v39 offset:33280
	s_waitcnt lgkmcnt(1)
	v_add_nc_u32_e32 v3, v3, v61
	v_lshlrev_b64 v[41:42], 3, v[3:4]
	v_add_co_u32 v41, vcc_lo, s54, v41
	v_add_co_ci_u32_e64 v42, null, s55, v42, vcc_lo
	s_waitcnt lgkmcnt(0)
	global_store_dwordx2 v[41:42], v[39:40], off
.LBB632_573:                            ;   in Loop: Header=BB632_418 Depth=2
	s_or_b32 exec_lo, exec_lo, s23
	s_waitcnt_vscnt null, 0x0
	s_barrier
	buffer_gl0_inv
	s_and_saveexec_b32 s23, s8
	s_cbranch_execz .LBB632_417
; %bb.574:                              ;   in Loop: Header=BB632_418 Depth=2
	ds_read_b32 v3, v43
	s_waitcnt lgkmcnt(0)
	v_add3_u32 v3, v152, v155, v3
	ds_write_b32 v43, v3
	s_branch .LBB632_417
.LBB632_575:                            ;   in Loop: Header=BB632_418 Depth=2
	ds_read_b32 v157, v69 offset:512
	s_waitcnt lgkmcnt(0)
	v_lshrrev_b32_e32 v3, s61, v157
	v_and_b32_e32 v3, s62, v3
	v_lshlrev_b32_e32 v3, 2, v3
	ds_read_b32 v3, v3
	s_waitcnt lgkmcnt(0)
	v_add_nc_u32_e32 v3, v3, v0
	v_lshlrev_b64 v[39:40], 2, v[3:4]
	v_xor_b32_e32 v3, 0x80000000, v157
	v_add_co_u32 v39, s23, s48, v39
	v_add_co_ci_u32_e64 v40, null, s49, v40, s23
	global_store_dword v[39:40], v3, off
	s_or_b32 exec_lo, exec_lo, s24
	v_cmp_lt_u32_e64 s23, v44, v156
	s_and_saveexec_b32 s25, s23
	s_cbranch_execz .LBB632_504
.LBB632_576:                            ;   in Loop: Header=BB632_418 Depth=2
	ds_read_b32 v157, v69 offset:1536
	s_waitcnt lgkmcnt(0)
	v_lshrrev_b32_e32 v3, s61, v157
	v_and_b32_e32 v3, s62, v3
	v_lshlrev_b32_e32 v3, 2, v3
	ds_read_b32 v3, v3
	s_waitcnt lgkmcnt(0)
	v_add_nc_u32_e32 v3, v3, v44
	v_lshlrev_b64 v[39:40], 2, v[3:4]
	v_xor_b32_e32 v3, 0x80000000, v157
	v_add_co_u32 v39, s24, s48, v39
	v_add_co_ci_u32_e64 v40, null, s49, v40, s24
	global_store_dword v[39:40], v3, off
	s_or_b32 exec_lo, exec_lo, s25
	v_cmp_lt_u32_e64 s24, v47, v156
	s_and_saveexec_b32 s26, s24
	s_cbranch_execz .LBB632_505
.LBB632_577:                            ;   in Loop: Header=BB632_418 Depth=2
	ds_read_b32 v157, v69 offset:2560
	s_waitcnt lgkmcnt(0)
	v_lshrrev_b32_e32 v3, s61, v157
	v_and_b32_e32 v3, s62, v3
	v_lshlrev_b32_e32 v3, 2, v3
	ds_read_b32 v3, v3
	s_waitcnt lgkmcnt(0)
	v_add_nc_u32_e32 v3, v3, v47
	v_lshlrev_b64 v[39:40], 2, v[3:4]
	v_xor_b32_e32 v3, 0x80000000, v157
	v_add_co_u32 v39, s25, s48, v39
	v_add_co_ci_u32_e64 v40, null, s49, v40, s25
	global_store_dword v[39:40], v3, off
	s_or_b32 exec_lo, exec_lo, s26
	v_cmp_lt_u32_e64 s25, v48, v156
	s_and_saveexec_b32 s27, s25
	s_cbranch_execz .LBB632_506
.LBB632_578:                            ;   in Loop: Header=BB632_418 Depth=2
	ds_read_b32 v157, v69 offset:3584
	s_waitcnt lgkmcnt(0)
	v_lshrrev_b32_e32 v3, s61, v157
	v_and_b32_e32 v3, s62, v3
	v_lshlrev_b32_e32 v3, 2, v3
	ds_read_b32 v3, v3
	s_waitcnt lgkmcnt(0)
	v_add_nc_u32_e32 v3, v3, v48
	v_lshlrev_b64 v[39:40], 2, v[3:4]
	v_xor_b32_e32 v3, 0x80000000, v157
	v_add_co_u32 v39, s26, s48, v39
	v_add_co_ci_u32_e64 v40, null, s49, v40, s26
	global_store_dword v[39:40], v3, off
	s_or_b32 exec_lo, exec_lo, s27
	v_cmp_lt_u32_e64 s26, v49, v156
	s_and_saveexec_b32 s28, s26
	s_cbranch_execz .LBB632_507
.LBB632_579:                            ;   in Loop: Header=BB632_418 Depth=2
	ds_read_b32 v157, v69 offset:4608
	s_waitcnt lgkmcnt(0)
	v_lshrrev_b32_e32 v3, s61, v157
	v_and_b32_e32 v3, s62, v3
	v_lshlrev_b32_e32 v3, 2, v3
	ds_read_b32 v3, v3
	s_waitcnt lgkmcnt(0)
	v_add_nc_u32_e32 v3, v3, v49
	v_lshlrev_b64 v[39:40], 2, v[3:4]
	v_xor_b32_e32 v3, 0x80000000, v157
	v_add_co_u32 v39, s27, s48, v39
	v_add_co_ci_u32_e64 v40, null, s49, v40, s27
	global_store_dword v[39:40], v3, off
	s_or_b32 exec_lo, exec_lo, s28
	v_cmp_lt_u32_e64 s27, v50, v156
	s_and_saveexec_b32 s29, s27
	s_cbranch_execz .LBB632_508
.LBB632_580:                            ;   in Loop: Header=BB632_418 Depth=2
	ds_read_b32 v157, v69 offset:5632
	s_waitcnt lgkmcnt(0)
	v_lshrrev_b32_e32 v3, s61, v157
	v_and_b32_e32 v3, s62, v3
	v_lshlrev_b32_e32 v3, 2, v3
	ds_read_b32 v3, v3
	s_waitcnt lgkmcnt(0)
	v_add_nc_u32_e32 v3, v3, v50
	v_lshlrev_b64 v[39:40], 2, v[3:4]
	v_xor_b32_e32 v3, 0x80000000, v157
	v_add_co_u32 v39, s28, s48, v39
	v_add_co_ci_u32_e64 v40, null, s49, v40, s28
	global_store_dword v[39:40], v3, off
	s_or_b32 exec_lo, exec_lo, s29
	v_cmp_lt_u32_e64 s28, v51, v156
	s_and_saveexec_b32 s30, s28
	s_cbranch_execz .LBB632_509
.LBB632_581:                            ;   in Loop: Header=BB632_418 Depth=2
	ds_read_b32 v157, v69 offset:6656
	s_waitcnt lgkmcnt(0)
	v_lshrrev_b32_e32 v3, s61, v157
	v_and_b32_e32 v3, s62, v3
	v_lshlrev_b32_e32 v3, 2, v3
	ds_read_b32 v3, v3
	s_waitcnt lgkmcnt(0)
	v_add_nc_u32_e32 v3, v3, v51
	v_lshlrev_b64 v[39:40], 2, v[3:4]
	v_xor_b32_e32 v3, 0x80000000, v157
	v_add_co_u32 v39, s29, s48, v39
	v_add_co_ci_u32_e64 v40, null, s49, v40, s29
	global_store_dword v[39:40], v3, off
	s_or_b32 exec_lo, exec_lo, s30
	v_cmp_lt_u32_e64 s29, v52, v156
	s_and_saveexec_b32 s31, s29
	s_cbranch_execz .LBB632_510
.LBB632_582:                            ;   in Loop: Header=BB632_418 Depth=2
	ds_read_b32 v157, v69 offset:7680
	s_waitcnt lgkmcnt(0)
	v_lshrrev_b32_e32 v3, s61, v157
	v_and_b32_e32 v3, s62, v3
	v_lshlrev_b32_e32 v3, 2, v3
	ds_read_b32 v3, v3
	s_waitcnt lgkmcnt(0)
	v_add_nc_u32_e32 v3, v3, v52
	v_lshlrev_b64 v[39:40], 2, v[3:4]
	v_xor_b32_e32 v3, 0x80000000, v157
	v_add_co_u32 v39, s30, s48, v39
	v_add_co_ci_u32_e64 v40, null, s49, v40, s30
	global_store_dword v[39:40], v3, off
	s_or_b32 exec_lo, exec_lo, s31
	v_cmp_lt_u32_e64 s30, v53, v156
	s_and_saveexec_b32 s33, s30
	s_cbranch_execz .LBB632_511
.LBB632_583:                            ;   in Loop: Header=BB632_418 Depth=2
	ds_read_b32 v157, v69 offset:8704
	s_waitcnt lgkmcnt(0)
	v_lshrrev_b32_e32 v3, s61, v157
	v_and_b32_e32 v3, s62, v3
	v_lshlrev_b32_e32 v3, 2, v3
	ds_read_b32 v3, v3
	s_waitcnt lgkmcnt(0)
	v_add_nc_u32_e32 v3, v3, v53
	v_lshlrev_b64 v[39:40], 2, v[3:4]
	v_xor_b32_e32 v3, 0x80000000, v157
	v_add_co_u32 v39, s31, s48, v39
	v_add_co_ci_u32_e64 v40, null, s49, v40, s31
	global_store_dword v[39:40], v3, off
	s_or_b32 exec_lo, exec_lo, s33
	v_cmp_lt_u32_e64 s31, v54, v156
	s_and_saveexec_b32 s34, s31
	s_cbranch_execz .LBB632_512
.LBB632_584:                            ;   in Loop: Header=BB632_418 Depth=2
	ds_read_b32 v157, v69 offset:9728
	s_waitcnt lgkmcnt(0)
	v_lshrrev_b32_e32 v3, s61, v157
	v_and_b32_e32 v3, s62, v3
	v_lshlrev_b32_e32 v3, 2, v3
	ds_read_b32 v3, v3
	s_waitcnt lgkmcnt(0)
	v_add_nc_u32_e32 v3, v3, v54
	v_lshlrev_b64 v[39:40], 2, v[3:4]
	v_xor_b32_e32 v3, 0x80000000, v157
	v_add_co_u32 v39, s33, s48, v39
	v_add_co_ci_u32_e64 v40, null, s49, v40, s33
	global_store_dword v[39:40], v3, off
	s_or_b32 exec_lo, exec_lo, s34
	v_cmp_lt_u32_e64 s33, v55, v156
	s_and_saveexec_b32 s35, s33
	s_cbranch_execz .LBB632_513
.LBB632_585:                            ;   in Loop: Header=BB632_418 Depth=2
	ds_read_b32 v157, v69 offset:10752
	s_waitcnt lgkmcnt(0)
	v_lshrrev_b32_e32 v3, s61, v157
	v_and_b32_e32 v3, s62, v3
	v_lshlrev_b32_e32 v3, 2, v3
	ds_read_b32 v3, v3
	s_waitcnt lgkmcnt(0)
	v_add_nc_u32_e32 v3, v3, v55
	v_lshlrev_b64 v[39:40], 2, v[3:4]
	v_xor_b32_e32 v3, 0x80000000, v157
	v_add_co_u32 v39, s34, s48, v39
	v_add_co_ci_u32_e64 v40, null, s49, v40, s34
	global_store_dword v[39:40], v3, off
	s_or_b32 exec_lo, exec_lo, s35
	v_cmp_lt_u32_e64 s34, v56, v156
	s_and_saveexec_b32 s36, s34
	s_cbranch_execz .LBB632_514
.LBB632_586:                            ;   in Loop: Header=BB632_418 Depth=2
	ds_read_b32 v157, v69 offset:11776
	s_waitcnt lgkmcnt(0)
	v_lshrrev_b32_e32 v3, s61, v157
	v_and_b32_e32 v3, s62, v3
	v_lshlrev_b32_e32 v3, 2, v3
	ds_read_b32 v3, v3
	s_waitcnt lgkmcnt(0)
	v_add_nc_u32_e32 v3, v3, v56
	v_lshlrev_b64 v[39:40], 2, v[3:4]
	v_xor_b32_e32 v3, 0x80000000, v157
	v_add_co_u32 v39, s35, s48, v39
	v_add_co_ci_u32_e64 v40, null, s49, v40, s35
	global_store_dword v[39:40], v3, off
	s_or_b32 exec_lo, exec_lo, s36
	v_cmp_lt_u32_e64 s35, v57, v156
	s_and_saveexec_b32 s37, s35
	s_cbranch_execz .LBB632_515
.LBB632_587:                            ;   in Loop: Header=BB632_418 Depth=2
	ds_read_b32 v157, v69 offset:12800
	s_waitcnt lgkmcnt(0)
	v_lshrrev_b32_e32 v3, s61, v157
	v_and_b32_e32 v3, s62, v3
	v_lshlrev_b32_e32 v3, 2, v3
	ds_read_b32 v3, v3
	s_waitcnt lgkmcnt(0)
	v_add_nc_u32_e32 v3, v3, v57
	v_lshlrev_b64 v[39:40], 2, v[3:4]
	v_xor_b32_e32 v3, 0x80000000, v157
	v_add_co_u32 v39, s36, s48, v39
	v_add_co_ci_u32_e64 v40, null, s49, v40, s36
	global_store_dword v[39:40], v3, off
	s_or_b32 exec_lo, exec_lo, s37
	v_cmp_lt_u32_e64 s36, v58, v156
	s_and_saveexec_b32 s38, s36
	s_cbranch_execz .LBB632_516
.LBB632_588:                            ;   in Loop: Header=BB632_418 Depth=2
	ds_read_b32 v157, v69 offset:13824
	s_waitcnt lgkmcnt(0)
	v_lshrrev_b32_e32 v3, s61, v157
	v_and_b32_e32 v3, s62, v3
	v_lshlrev_b32_e32 v3, 2, v3
	ds_read_b32 v3, v3
	s_waitcnt lgkmcnt(0)
	v_add_nc_u32_e32 v3, v3, v58
	v_lshlrev_b64 v[39:40], 2, v[3:4]
	v_xor_b32_e32 v3, 0x80000000, v157
	v_add_co_u32 v39, s37, s48, v39
	v_add_co_ci_u32_e64 v40, null, s49, v40, s37
	global_store_dword v[39:40], v3, off
	s_or_b32 exec_lo, exec_lo, s38
	v_cmp_lt_u32_e64 s37, v59, v156
	s_and_saveexec_b32 s39, s37
	s_cbranch_execz .LBB632_517
.LBB632_589:                            ;   in Loop: Header=BB632_418 Depth=2
	ds_read_b32 v157, v69 offset:14848
	s_waitcnt lgkmcnt(0)
	v_lshrrev_b32_e32 v3, s61, v157
	v_and_b32_e32 v3, s62, v3
	v_lshlrev_b32_e32 v3, 2, v3
	ds_read_b32 v3, v3
	s_waitcnt lgkmcnt(0)
	v_add_nc_u32_e32 v3, v3, v59
	v_lshlrev_b64 v[39:40], 2, v[3:4]
	v_xor_b32_e32 v3, 0x80000000, v157
	v_add_co_u32 v39, s38, s48, v39
	v_add_co_ci_u32_e64 v40, null, s49, v40, s38
	global_store_dword v[39:40], v3, off
	s_or_b32 exec_lo, exec_lo, s39
	v_cmp_lt_u32_e64 s38, v60, v156
	s_and_saveexec_b32 s40, s38
	s_cbranch_execz .LBB632_518
.LBB632_590:                            ;   in Loop: Header=BB632_418 Depth=2
	ds_read_b32 v157, v69 offset:15872
	s_waitcnt lgkmcnt(0)
	v_lshrrev_b32_e32 v3, s61, v157
	v_and_b32_e32 v3, s62, v3
	v_lshlrev_b32_e32 v3, 2, v3
	ds_read_b32 v3, v3
	s_waitcnt lgkmcnt(0)
	v_add_nc_u32_e32 v3, v3, v60
	v_lshlrev_b64 v[39:40], 2, v[3:4]
	v_xor_b32_e32 v3, 0x80000000, v157
	v_add_co_u32 v39, s39, s48, v39
	v_add_co_ci_u32_e64 v40, null, s49, v40, s39
	global_store_dword v[39:40], v3, off
	s_or_b32 exec_lo, exec_lo, s40
	v_cmp_lt_u32_e64 s39, v61, v156
	s_and_saveexec_b32 s65, s39
	s_cbranch_execnz .LBB632_519
	s_branch .LBB632_520
.LBB632_591:                            ;   in Loop: Header=BB632_418 Depth=2
	global_load_dwordx2 v[37:38], v[39:40], off
	s_or_b32 exec_lo, exec_lo, s40
	s_mov_b32 s50, exec_lo
	v_cmpx_lt_u32_e64 v112, v156
	s_cbranch_execz .LBB632_522
.LBB632_592:                            ;   in Loop: Header=BB632_418 Depth=2
	global_load_dwordx2 v[35:36], v[39:40], off offset:256
	s_or_b32 exec_lo, exec_lo, s50
	s_mov_b32 s50, exec_lo
	v_cmpx_lt_u32_e64 v113, v156
	s_cbranch_execz .LBB632_523
.LBB632_593:                            ;   in Loop: Header=BB632_418 Depth=2
	global_load_dwordx2 v[33:34], v[39:40], off offset:512
	s_or_b32 exec_lo, exec_lo, s50
	s_mov_b32 s50, exec_lo
	v_cmpx_lt_u32_e64 v114, v156
	s_cbranch_execz .LBB632_524
.LBB632_594:                            ;   in Loop: Header=BB632_418 Depth=2
	global_load_dwordx2 v[31:32], v[39:40], off offset:768
	s_or_b32 exec_lo, exec_lo, s50
	s_mov_b32 s50, exec_lo
	v_cmpx_lt_u32_e64 v115, v156
	s_cbranch_execz .LBB632_525
.LBB632_595:                            ;   in Loop: Header=BB632_418 Depth=2
	global_load_dwordx2 v[29:30], v[39:40], off offset:1024
	s_or_b32 exec_lo, exec_lo, s50
	s_mov_b32 s50, exec_lo
	v_cmpx_lt_u32_e64 v116, v156
	s_cbranch_execz .LBB632_526
.LBB632_596:                            ;   in Loop: Header=BB632_418 Depth=2
	global_load_dwordx2 v[25:26], v[39:40], off offset:1280
	s_or_b32 exec_lo, exec_lo, s50
	s_mov_b32 s50, exec_lo
	v_cmpx_lt_u32_e64 v117, v156
	s_cbranch_execz .LBB632_527
.LBB632_597:                            ;   in Loop: Header=BB632_418 Depth=2
	global_load_dwordx2 v[21:22], v[39:40], off offset:1536
	s_or_b32 exec_lo, exec_lo, s50
	s_mov_b32 s50, exec_lo
	v_cmpx_lt_u32_e64 v118, v156
	s_cbranch_execz .LBB632_528
.LBB632_598:                            ;   in Loop: Header=BB632_418 Depth=2
	global_load_dwordx2 v[17:18], v[39:40], off offset:1792
	s_or_b32 exec_lo, exec_lo, s50
	s_mov_b32 s50, exec_lo
	v_cmpx_lt_u32_e64 v119, v156
	s_cbranch_execz .LBB632_529
.LBB632_599:                            ;   in Loop: Header=BB632_418 Depth=2
	v_add_co_u32 v27, s40, 0x800, v39
	v_add_co_ci_u32_e64 v28, null, 0, v40, s40
	global_load_dwordx2 v[27:28], v[27:28], off
	s_or_b32 exec_lo, exec_lo, s50
	s_mov_b32 s50, exec_lo
	v_cmpx_lt_u32_e64 v120, v156
	s_cbranch_execz .LBB632_530
.LBB632_600:                            ;   in Loop: Header=BB632_418 Depth=2
	v_add_co_u32 v23, s40, 0x800, v39
	v_add_co_ci_u32_e64 v24, null, 0, v40, s40
	global_load_dwordx2 v[23:24], v[23:24], off offset:256
	s_or_b32 exec_lo, exec_lo, s50
	s_mov_b32 s50, exec_lo
	v_cmpx_lt_u32_e64 v121, v156
	s_cbranch_execz .LBB632_531
.LBB632_601:                            ;   in Loop: Header=BB632_418 Depth=2
	v_add_co_u32 v19, s40, 0x800, v39
	v_add_co_ci_u32_e64 v20, null, 0, v40, s40
	global_load_dwordx2 v[19:20], v[19:20], off offset:512
	s_or_b32 exec_lo, exec_lo, s50
	s_mov_b32 s50, exec_lo
	v_cmpx_lt_u32_e64 v122, v156
	s_cbranch_execz .LBB632_532
.LBB632_602:                            ;   in Loop: Header=BB632_418 Depth=2
	v_add_co_u32 v15, s40, 0x800, v39
	v_add_co_ci_u32_e64 v16, null, 0, v40, s40
	global_load_dwordx2 v[15:16], v[15:16], off offset:768
	s_or_b32 exec_lo, exec_lo, s50
	s_mov_b32 s50, exec_lo
	v_cmpx_lt_u32_e64 v123, v156
	s_cbranch_execz .LBB632_533
.LBB632_603:                            ;   in Loop: Header=BB632_418 Depth=2
	v_add_co_u32 v13, s40, 0x800, v39
	v_add_co_ci_u32_e64 v14, null, 0, v40, s40
	global_load_dwordx2 v[13:14], v[13:14], off offset:1024
	s_or_b32 exec_lo, exec_lo, s50
	s_mov_b32 s50, exec_lo
	v_cmpx_lt_u32_e64 v124, v156
	s_cbranch_execz .LBB632_534
.LBB632_604:                            ;   in Loop: Header=BB632_418 Depth=2
	v_add_co_u32 v11, s40, 0x800, v39
	v_add_co_ci_u32_e64 v12, null, 0, v40, s40
	global_load_dwordx2 v[11:12], v[11:12], off offset:1280
	s_or_b32 exec_lo, exec_lo, s50
	s_mov_b32 s50, exec_lo
	v_cmpx_lt_u32_e64 v126, v156
	s_cbranch_execz .LBB632_535
.LBB632_605:                            ;   in Loop: Header=BB632_418 Depth=2
	v_add_co_u32 v9, s40, 0x800, v39
	v_add_co_ci_u32_e64 v10, null, 0, v40, s40
	global_load_dwordx2 v[9:10], v[9:10], off offset:1536
	s_or_b32 exec_lo, exec_lo, s50
	s_mov_b32 s50, exec_lo
	v_cmpx_lt_u32_e64 v127, v156
	s_cbranch_execz .LBB632_536
.LBB632_606:                            ;   in Loop: Header=BB632_418 Depth=2
	v_add_co_u32 v7, s40, 0x800, v39
	v_add_co_ci_u32_e64 v8, null, 0, v40, s40
	global_load_dwordx2 v[7:8], v[7:8], off offset:1792
	s_or_b32 exec_lo, exec_lo, s50
	s_mov_b32 s50, exec_lo
	v_cmpx_lt_u32_e64 v128, v156
	s_cbranch_execz .LBB632_537
.LBB632_607:                            ;   in Loop: Header=BB632_418 Depth=2
	v_add_co_u32 v5, s40, 0x1000, v39
	v_add_co_ci_u32_e64 v6, null, 0, v40, s40
	global_load_dwordx2 v[5:6], v[5:6], off
	s_or_b32 exec_lo, exec_lo, s50
	s_and_saveexec_b32 s40, vcc_lo
	s_cbranch_execz .LBB632_538
.LBB632_608:                            ;   in Loop: Header=BB632_418 Depth=2
	ds_read_b32 v3, v69 offset:512
	s_waitcnt lgkmcnt(0)
	v_lshrrev_b32_e32 v3, s61, v3
	v_and_b32_e32 v154, s62, v3
	s_or_b32 exec_lo, exec_lo, s40
	s_and_saveexec_b32 s40, s23
	s_cbranch_execz .LBB632_539
.LBB632_609:                            ;   in Loop: Header=BB632_418 Depth=2
	ds_read_b32 v3, v69 offset:1536
	s_waitcnt lgkmcnt(0)
	v_lshrrev_b32_e32 v3, s61, v3
	v_and_b32_e32 v153, s62, v3
	s_or_b32 exec_lo, exec_lo, s40
	s_and_saveexec_b32 s40, s24
	s_cbranch_execz .LBB632_540
.LBB632_610:                            ;   in Loop: Header=BB632_418 Depth=2
	ds_read_b32 v3, v69 offset:2560
	s_waitcnt lgkmcnt(0)
	v_lshrrev_b32_e32 v3, s61, v3
	v_and_b32_e32 v151, s62, v3
	s_or_b32 exec_lo, exec_lo, s40
	s_and_saveexec_b32 s40, s25
	s_cbranch_execz .LBB632_541
.LBB632_611:                            ;   in Loop: Header=BB632_418 Depth=2
	ds_read_b32 v3, v69 offset:3584
	s_waitcnt lgkmcnt(0)
	v_lshrrev_b32_e32 v3, s61, v3
	v_and_b32_e32 v150, s62, v3
	s_or_b32 exec_lo, exec_lo, s40
	s_and_saveexec_b32 s40, s26
	s_cbranch_execz .LBB632_542
.LBB632_612:                            ;   in Loop: Header=BB632_418 Depth=2
	ds_read_b32 v3, v69 offset:4608
	s_waitcnt lgkmcnt(0)
	v_lshrrev_b32_e32 v3, s61, v3
	v_and_b32_e32 v149, s62, v3
	s_or_b32 exec_lo, exec_lo, s40
	s_and_saveexec_b32 s40, s27
	s_cbranch_execz .LBB632_543
.LBB632_613:                            ;   in Loop: Header=BB632_418 Depth=2
	ds_read_b32 v3, v69 offset:5632
	s_waitcnt lgkmcnt(0)
	v_lshrrev_b32_e32 v3, s61, v3
	v_and_b32_e32 v148, s62, v3
	s_or_b32 exec_lo, exec_lo, s40
	s_and_saveexec_b32 s40, s28
	s_cbranch_execz .LBB632_544
.LBB632_614:                            ;   in Loop: Header=BB632_418 Depth=2
	ds_read_b32 v3, v69 offset:6656
	s_waitcnt lgkmcnt(0)
	v_lshrrev_b32_e32 v3, s61, v3
	v_and_b32_e32 v147, s62, v3
	s_or_b32 exec_lo, exec_lo, s40
	s_and_saveexec_b32 s40, s29
	s_cbranch_execz .LBB632_545
.LBB632_615:                            ;   in Loop: Header=BB632_418 Depth=2
	ds_read_b32 v3, v69 offset:7680
	s_waitcnt lgkmcnt(0)
	v_lshrrev_b32_e32 v3, s61, v3
	v_and_b32_e32 v146, s62, v3
	s_or_b32 exec_lo, exec_lo, s40
	s_and_saveexec_b32 s40, s30
	s_cbranch_execz .LBB632_546
.LBB632_616:                            ;   in Loop: Header=BB632_418 Depth=2
	ds_read_b32 v3, v69 offset:8704
	s_waitcnt lgkmcnt(0)
	v_lshrrev_b32_e32 v3, s61, v3
	v_and_b32_e32 v145, s62, v3
	s_or_b32 exec_lo, exec_lo, s40
	s_and_saveexec_b32 s40, s31
	s_cbranch_execz .LBB632_547
.LBB632_617:                            ;   in Loop: Header=BB632_418 Depth=2
	ds_read_b32 v3, v69 offset:9728
	s_waitcnt lgkmcnt(0)
	v_lshrrev_b32_e32 v3, s61, v3
	v_and_b32_e32 v144, s62, v3
	s_or_b32 exec_lo, exec_lo, s40
	s_and_saveexec_b32 s40, s33
	s_cbranch_execz .LBB632_548
.LBB632_618:                            ;   in Loop: Header=BB632_418 Depth=2
	ds_read_b32 v3, v69 offset:10752
	s_waitcnt lgkmcnt(0)
	v_lshrrev_b32_e32 v3, s61, v3
	v_and_b32_e32 v143, s62, v3
	s_or_b32 exec_lo, exec_lo, s40
	s_and_saveexec_b32 s40, s34
	s_cbranch_execz .LBB632_549
.LBB632_619:                            ;   in Loop: Header=BB632_418 Depth=2
	ds_read_b32 v3, v69 offset:11776
	s_waitcnt lgkmcnt(0)
	v_lshrrev_b32_e32 v3, s61, v3
	v_and_b32_e32 v142, s62, v3
	s_or_b32 exec_lo, exec_lo, s40
	s_and_saveexec_b32 s40, s35
	s_cbranch_execz .LBB632_550
.LBB632_620:                            ;   in Loop: Header=BB632_418 Depth=2
	ds_read_b32 v3, v69 offset:12800
	s_waitcnt lgkmcnt(0)
	v_lshrrev_b32_e32 v3, s61, v3
	v_and_b32_e32 v141, s62, v3
	s_or_b32 exec_lo, exec_lo, s40
	s_and_saveexec_b32 s40, s36
	s_cbranch_execz .LBB632_551
.LBB632_621:                            ;   in Loop: Header=BB632_418 Depth=2
	ds_read_b32 v3, v69 offset:13824
	s_waitcnt lgkmcnt(0)
	v_lshrrev_b32_e32 v3, s61, v3
	v_and_b32_e32 v140, s62, v3
	s_or_b32 exec_lo, exec_lo, s40
	s_and_saveexec_b32 s40, s37
	s_cbranch_execz .LBB632_552
.LBB632_622:                            ;   in Loop: Header=BB632_418 Depth=2
	ds_read_b32 v3, v69 offset:14848
	s_waitcnt lgkmcnt(0)
	v_lshrrev_b32_e32 v3, s61, v3
	v_and_b32_e32 v139, s62, v3
	s_or_b32 exec_lo, exec_lo, s40
	s_and_saveexec_b32 s40, s38
	s_cbranch_execz .LBB632_553
.LBB632_623:                            ;   in Loop: Header=BB632_418 Depth=2
	ds_read_b32 v3, v69 offset:15872
	s_waitcnt lgkmcnt(0)
	v_lshrrev_b32_e32 v3, s61, v3
	v_and_b32_e32 v138, s62, v3
	s_or_b32 exec_lo, exec_lo, s40
	s_and_saveexec_b32 s40, s39
	s_cbranch_execnz .LBB632_554
	s_branch .LBB632_555
.LBB632_624:                            ;   in Loop: Header=BB632_418 Depth=2
	v_lshlrev_b32_e32 v3, 2, v154
	v_add_nc_u32_e32 v39, v69, v43
	ds_read_b32 v3, v3
	ds_read_b64 v[39:40], v39 offset:512
	s_waitcnt lgkmcnt(1)
	v_add_nc_u32_e32 v3, v3, v0
	v_lshlrev_b64 v[41:42], 3, v[3:4]
	v_add_co_u32 v41, vcc_lo, s54, v41
	v_add_co_ci_u32_e64 v42, null, s55, v42, vcc_lo
	s_waitcnt lgkmcnt(0)
	global_store_dwordx2 v[41:42], v[39:40], off
	s_or_b32 exec_lo, exec_lo, s40
	s_and_saveexec_b32 s40, s23
	s_cbranch_execz .LBB632_557
.LBB632_625:                            ;   in Loop: Header=BB632_418 Depth=2
	v_lshlrev_b32_e32 v3, 2, v153
	v_add_nc_u32_e32 v39, v69, v43
	ds_read_b32 v3, v3
	ds_read_b64 v[39:40], v39 offset:2560
	s_waitcnt lgkmcnt(1)
	v_add_nc_u32_e32 v3, v3, v44
	v_lshlrev_b64 v[41:42], 3, v[3:4]
	v_add_co_u32 v41, vcc_lo, s54, v41
	v_add_co_ci_u32_e64 v42, null, s55, v42, vcc_lo
	s_waitcnt lgkmcnt(0)
	global_store_dwordx2 v[41:42], v[39:40], off
	s_or_b32 exec_lo, exec_lo, s40
	s_and_saveexec_b32 s23, s24
	s_cbranch_execz .LBB632_558
.LBB632_626:                            ;   in Loop: Header=BB632_418 Depth=2
	v_lshlrev_b32_e32 v3, 2, v151
	v_add_nc_u32_e32 v39, v69, v43
	ds_read_b32 v3, v3
	ds_read_b64 v[39:40], v39 offset:4608
	s_waitcnt lgkmcnt(1)
	v_add_nc_u32_e32 v3, v3, v47
	v_lshlrev_b64 v[41:42], 3, v[3:4]
	v_add_co_u32 v41, vcc_lo, s54, v41
	v_add_co_ci_u32_e64 v42, null, s55, v42, vcc_lo
	s_waitcnt lgkmcnt(0)
	global_store_dwordx2 v[41:42], v[39:40], off
	s_or_b32 exec_lo, exec_lo, s23
	s_and_saveexec_b32 s23, s25
	s_cbranch_execz .LBB632_559
.LBB632_627:                            ;   in Loop: Header=BB632_418 Depth=2
	v_lshlrev_b32_e32 v3, 2, v150
	v_add_nc_u32_e32 v39, v69, v43
	ds_read_b32 v3, v3
	ds_read_b64 v[39:40], v39 offset:6656
	s_waitcnt lgkmcnt(1)
	v_add_nc_u32_e32 v3, v3, v48
	v_lshlrev_b64 v[41:42], 3, v[3:4]
	v_add_co_u32 v41, vcc_lo, s54, v41
	v_add_co_ci_u32_e64 v42, null, s55, v42, vcc_lo
	s_waitcnt lgkmcnt(0)
	global_store_dwordx2 v[41:42], v[39:40], off
	s_or_b32 exec_lo, exec_lo, s23
	s_and_saveexec_b32 s23, s26
	s_cbranch_execz .LBB632_560
.LBB632_628:                            ;   in Loop: Header=BB632_418 Depth=2
	v_lshlrev_b32_e32 v3, 2, v149
	v_add_nc_u32_e32 v39, v69, v43
	ds_read_b32 v3, v3
	ds_read_b64 v[39:40], v39 offset:8704
	s_waitcnt lgkmcnt(1)
	v_add_nc_u32_e32 v3, v3, v49
	v_lshlrev_b64 v[41:42], 3, v[3:4]
	v_add_co_u32 v41, vcc_lo, s54, v41
	v_add_co_ci_u32_e64 v42, null, s55, v42, vcc_lo
	s_waitcnt lgkmcnt(0)
	global_store_dwordx2 v[41:42], v[39:40], off
	s_or_b32 exec_lo, exec_lo, s23
	s_and_saveexec_b32 s23, s27
	s_cbranch_execz .LBB632_561
.LBB632_629:                            ;   in Loop: Header=BB632_418 Depth=2
	v_lshlrev_b32_e32 v3, 2, v148
	v_add_nc_u32_e32 v39, v69, v43
	ds_read_b32 v3, v3
	ds_read_b64 v[39:40], v39 offset:10752
	s_waitcnt lgkmcnt(1)
	v_add_nc_u32_e32 v3, v3, v50
	v_lshlrev_b64 v[41:42], 3, v[3:4]
	v_add_co_u32 v41, vcc_lo, s54, v41
	v_add_co_ci_u32_e64 v42, null, s55, v42, vcc_lo
	s_waitcnt lgkmcnt(0)
	global_store_dwordx2 v[41:42], v[39:40], off
	s_or_b32 exec_lo, exec_lo, s23
	s_and_saveexec_b32 s23, s28
	s_cbranch_execz .LBB632_562
.LBB632_630:                            ;   in Loop: Header=BB632_418 Depth=2
	v_lshlrev_b32_e32 v3, 2, v147
	v_add_nc_u32_e32 v39, v69, v43
	ds_read_b32 v3, v3
	ds_read_b64 v[39:40], v39 offset:12800
	s_waitcnt lgkmcnt(1)
	v_add_nc_u32_e32 v3, v3, v51
	v_lshlrev_b64 v[41:42], 3, v[3:4]
	v_add_co_u32 v41, vcc_lo, s54, v41
	v_add_co_ci_u32_e64 v42, null, s55, v42, vcc_lo
	s_waitcnt lgkmcnt(0)
	global_store_dwordx2 v[41:42], v[39:40], off
	s_or_b32 exec_lo, exec_lo, s23
	s_and_saveexec_b32 s23, s29
	s_cbranch_execz .LBB632_563
.LBB632_631:                            ;   in Loop: Header=BB632_418 Depth=2
	v_lshlrev_b32_e32 v3, 2, v146
	v_add_nc_u32_e32 v39, v69, v43
	ds_read_b32 v3, v3
	ds_read_b64 v[39:40], v39 offset:14848
	s_waitcnt lgkmcnt(1)
	v_add_nc_u32_e32 v3, v3, v52
	v_lshlrev_b64 v[41:42], 3, v[3:4]
	v_add_co_u32 v41, vcc_lo, s54, v41
	v_add_co_ci_u32_e64 v42, null, s55, v42, vcc_lo
	s_waitcnt lgkmcnt(0)
	global_store_dwordx2 v[41:42], v[39:40], off
	s_or_b32 exec_lo, exec_lo, s23
	s_and_saveexec_b32 s23, s30
	s_cbranch_execz .LBB632_564
.LBB632_632:                            ;   in Loop: Header=BB632_418 Depth=2
	v_lshlrev_b32_e32 v3, 2, v145
	v_add_nc_u32_e32 v39, v69, v43
	ds_read_b32 v3, v3
	ds_read_b64 v[39:40], v39 offset:16896
	s_waitcnt lgkmcnt(1)
	v_add_nc_u32_e32 v3, v3, v53
	v_lshlrev_b64 v[41:42], 3, v[3:4]
	v_add_co_u32 v41, vcc_lo, s54, v41
	v_add_co_ci_u32_e64 v42, null, s55, v42, vcc_lo
	s_waitcnt lgkmcnt(0)
	global_store_dwordx2 v[41:42], v[39:40], off
	s_or_b32 exec_lo, exec_lo, s23
	s_and_saveexec_b32 s23, s31
	s_cbranch_execz .LBB632_565
.LBB632_633:                            ;   in Loop: Header=BB632_418 Depth=2
	v_lshlrev_b32_e32 v3, 2, v144
	v_add_nc_u32_e32 v39, v69, v43
	ds_read_b32 v3, v3
	ds_read_b64 v[39:40], v39 offset:18944
	s_waitcnt lgkmcnt(1)
	v_add_nc_u32_e32 v3, v3, v54
	v_lshlrev_b64 v[41:42], 3, v[3:4]
	v_add_co_u32 v41, vcc_lo, s54, v41
	v_add_co_ci_u32_e64 v42, null, s55, v42, vcc_lo
	s_waitcnt lgkmcnt(0)
	global_store_dwordx2 v[41:42], v[39:40], off
	s_or_b32 exec_lo, exec_lo, s23
	s_and_saveexec_b32 s23, s33
	s_cbranch_execz .LBB632_566
.LBB632_634:                            ;   in Loop: Header=BB632_418 Depth=2
	v_lshlrev_b32_e32 v3, 2, v143
	v_add_nc_u32_e32 v39, v69, v43
	ds_read_b32 v3, v3
	ds_read_b64 v[39:40], v39 offset:20992
	s_waitcnt lgkmcnt(1)
	v_add_nc_u32_e32 v3, v3, v55
	v_lshlrev_b64 v[41:42], 3, v[3:4]
	v_add_co_u32 v41, vcc_lo, s54, v41
	v_add_co_ci_u32_e64 v42, null, s55, v42, vcc_lo
	s_waitcnt lgkmcnt(0)
	global_store_dwordx2 v[41:42], v[39:40], off
	s_or_b32 exec_lo, exec_lo, s23
	s_and_saveexec_b32 s23, s34
	s_cbranch_execz .LBB632_567
.LBB632_635:                            ;   in Loop: Header=BB632_418 Depth=2
	v_lshlrev_b32_e32 v3, 2, v142
	v_add_nc_u32_e32 v39, v69, v43
	ds_read_b32 v3, v3
	ds_read_b64 v[39:40], v39 offset:23040
	s_waitcnt lgkmcnt(1)
	v_add_nc_u32_e32 v3, v3, v56
	v_lshlrev_b64 v[41:42], 3, v[3:4]
	v_add_co_u32 v41, vcc_lo, s54, v41
	v_add_co_ci_u32_e64 v42, null, s55, v42, vcc_lo
	s_waitcnt lgkmcnt(0)
	global_store_dwordx2 v[41:42], v[39:40], off
	s_or_b32 exec_lo, exec_lo, s23
	s_and_saveexec_b32 s23, s35
	s_cbranch_execz .LBB632_568
.LBB632_636:                            ;   in Loop: Header=BB632_418 Depth=2
	v_lshlrev_b32_e32 v3, 2, v141
	v_add_nc_u32_e32 v39, v69, v43
	ds_read_b32 v3, v3
	ds_read_b64 v[39:40], v39 offset:25088
	s_waitcnt lgkmcnt(1)
	v_add_nc_u32_e32 v3, v3, v57
	v_lshlrev_b64 v[41:42], 3, v[3:4]
	v_add_co_u32 v41, vcc_lo, s54, v41
	v_add_co_ci_u32_e64 v42, null, s55, v42, vcc_lo
	s_waitcnt lgkmcnt(0)
	global_store_dwordx2 v[41:42], v[39:40], off
	s_or_b32 exec_lo, exec_lo, s23
	s_and_saveexec_b32 s23, s36
	s_cbranch_execz .LBB632_569
.LBB632_637:                            ;   in Loop: Header=BB632_418 Depth=2
	v_lshlrev_b32_e32 v3, 2, v140
	v_add_nc_u32_e32 v39, v69, v43
	ds_read_b32 v3, v3
	ds_read_b64 v[39:40], v39 offset:27136
	s_waitcnt lgkmcnt(1)
	v_add_nc_u32_e32 v3, v3, v58
	v_lshlrev_b64 v[41:42], 3, v[3:4]
	v_add_co_u32 v41, vcc_lo, s54, v41
	v_add_co_ci_u32_e64 v42, null, s55, v42, vcc_lo
	s_waitcnt lgkmcnt(0)
	global_store_dwordx2 v[41:42], v[39:40], off
	s_or_b32 exec_lo, exec_lo, s23
	s_and_saveexec_b32 s23, s37
	s_cbranch_execz .LBB632_570
.LBB632_638:                            ;   in Loop: Header=BB632_418 Depth=2
	v_lshlrev_b32_e32 v3, 2, v139
	v_add_nc_u32_e32 v39, v69, v43
	ds_read_b32 v3, v3
	ds_read_b64 v[39:40], v39 offset:29184
	s_waitcnt lgkmcnt(1)
	v_add_nc_u32_e32 v3, v3, v59
	v_lshlrev_b64 v[41:42], 3, v[3:4]
	v_add_co_u32 v41, vcc_lo, s54, v41
	v_add_co_ci_u32_e64 v42, null, s55, v42, vcc_lo
	s_waitcnt lgkmcnt(0)
	global_store_dwordx2 v[41:42], v[39:40], off
	s_or_b32 exec_lo, exec_lo, s23
	s_and_saveexec_b32 s23, s38
	s_cbranch_execz .LBB632_571
.LBB632_639:                            ;   in Loop: Header=BB632_418 Depth=2
	v_lshlrev_b32_e32 v3, 2, v138
	v_add_nc_u32_e32 v39, v69, v43
	ds_read_b32 v3, v3
	ds_read_b64 v[39:40], v39 offset:31232
	s_waitcnt lgkmcnt(1)
	v_add_nc_u32_e32 v3, v3, v60
	v_lshlrev_b64 v[41:42], 3, v[3:4]
	v_add_co_u32 v41, vcc_lo, s54, v41
	v_add_co_ci_u32_e64 v42, null, s55, v42, vcc_lo
	s_waitcnt lgkmcnt(0)
	global_store_dwordx2 v[41:42], v[39:40], off
	s_or_b32 exec_lo, exec_lo, s23
	s_and_saveexec_b32 s23, s39
	s_cbranch_execnz .LBB632_572
	s_branch .LBB632_573
.LBB632_640:                            ;   in Loop: Header=BB632_20 Depth=1
	s_waitcnt lgkmcnt(0)
	s_barrier
.LBB632_641:                            ;   in Loop: Header=BB632_20 Depth=1
	s_mov_b32 s5, 0
.LBB632_642:                            ;   in Loop: Header=BB632_20 Depth=1
	s_andn2_b32 vcc_lo, exec_lo, s5
	s_cbranch_vccnz .LBB632_19
; %bb.643:                              ;   in Loop: Header=BB632_20 Depth=1
	s_and_b32 vcc_lo, exec_lo, s43
	s_mov_b32 s5, -1
	s_cbranch_vccz .LBB632_953
; %bb.644:                              ;   in Loop: Header=BB632_20 Depth=1
	s_mov_b32 s5, s60
	s_mov_b32 s50, s58
	s_barrier
	buffer_gl0_inv
                                        ; implicit-def: $vgpr3
                                        ; implicit-def: $vgpr5
                                        ; implicit-def: $vgpr6
                                        ; implicit-def: $vgpr7
                                        ; implicit-def: $vgpr8
                                        ; implicit-def: $vgpr9
                                        ; implicit-def: $vgpr10
                                        ; implicit-def: $vgpr11
                                        ; implicit-def: $vgpr12
                                        ; implicit-def: $vgpr13
                                        ; implicit-def: $vgpr14
                                        ; implicit-def: $vgpr15
                                        ; implicit-def: $vgpr16
                                        ; implicit-def: $vgpr17
                                        ; implicit-def: $vgpr18
                                        ; implicit-def: $vgpr19
                                        ; implicit-def: $vgpr20
	s_branch .LBB632_646
.LBB632_645:                            ;   in Loop: Header=BB632_646 Depth=2
	s_or_b32 exec_lo, exec_lo, s16
	s_addk_i32 s5, 0xef00
	s_cmp_ge_u32 s18, s59
	s_mov_b32 s50, s18
	s_cbranch_scc1 .LBB632_718
.LBB632_646:                            ;   Parent Loop BB632_20 Depth=1
                                        ; =>  This Inner Loop Header: Depth=2
	s_add_i32 s18, s50, 0x1100
	s_mov_b32 s16, -1
	s_cmp_gt_u32 s18, s59
                                        ; implicit-def: $vgpr21
                                        ; implicit-def: $vgpr22
                                        ; implicit-def: $vgpr25
                                        ; implicit-def: $vgpr23
                                        ; implicit-def: $vgpr27
                                        ; implicit-def: $vgpr24
                                        ; implicit-def: $vgpr29
                                        ; implicit-def: $vgpr26
                                        ; implicit-def: $vgpr31
                                        ; implicit-def: $vgpr28
                                        ; implicit-def: $vgpr33
                                        ; implicit-def: $vgpr30
                                        ; implicit-def: $vgpr34
                                        ; implicit-def: $vgpr32
                                        ; implicit-def: $vgpr35
                                        ; implicit-def: $vgpr36
                                        ; implicit-def: $vgpr37
	s_cbranch_scc1 .LBB632_648
; %bb.647:                              ;   in Loop: Header=BB632_646 Depth=2
	s_lshl_b64 s[16:17], s[50:51], 2
	v_add_co_u32 v33, vcc_lo, v78, s16
	v_add_co_ci_u32_e64 v34, null, s17, v79, vcc_lo
	s_mov_b32 s16, 0
	v_add_co_u32 v23, vcc_lo, 0x800, v33
	v_add_co_ci_u32_e64 v24, null, 0, v34, vcc_lo
	v_add_co_u32 v35, vcc_lo, v33, 0x1000
	v_add_co_ci_u32_e64 v36, null, 0, v34, vcc_lo
	;; [unrolled: 2-line block ×9, first 2 shown]
	s_clause 0x7
	global_load_dword v21, v[33:34], off
	global_load_dword v22, v[33:34], off offset:1024
	global_load_dword v23, v[23:24], off offset:1024
	;; [unrolled: 1-line block ×7, first 2 shown]
	v_add_co_u32 v41, vcc_lo, 0x3800, v33
	v_add_co_ci_u32_e64 v42, null, 0, v34, vcc_lo
	v_add_co_u32 v131, vcc_lo, v33, 0x4000
	v_add_co_ci_u32_e64 v132, null, 0, v34, vcc_lo
	s_clause 0x8
	global_load_dword v25, v[35:36], off offset:-2048
	global_load_dword v27, v[35:36], off
	global_load_dword v29, v[37:38], off offset:-2048
	global_load_dword v31, v[37:38], off
	;; [unrolled: 2-line block ×3, first 2 shown]
	global_load_dword v35, v[131:132], off offset:-2048
	global_load_dword v36, v[41:42], off offset:1024
	global_load_dword v37, v[131:132], off
.LBB632_648:                            ;   in Loop: Header=BB632_646 Depth=2
	s_andn2_b32 vcc_lo, exec_lo, s16
	s_movk_i32 s16, 0x1100
	s_cbranch_vccnz .LBB632_668
; %bb.649:                              ;   in Loop: Header=BB632_646 Depth=2
	s_lshl_b64 s[16:17], s[50:51], 2
	s_mov_b32 s19, exec_lo
	s_add_u32 s16, s44, s16
	s_addc_u32 s17, s45, s17
	v_cmpx_gt_u32_e64 s5, v0
	s_cbranch_execnz .LBB632_702
; %bb.650:                              ;   in Loop: Header=BB632_646 Depth=2
	s_or_b32 exec_lo, exec_lo, s19
	s_mov_b32 s19, exec_lo
	v_cmpx_gt_u32_e64 s5, v44
	s_cbranch_execnz .LBB632_703
.LBB632_651:                            ;   in Loop: Header=BB632_646 Depth=2
	s_or_b32 exec_lo, exec_lo, s19
	s_mov_b32 s19, exec_lo
	v_cmpx_gt_u32_e64 s5, v47
	s_cbranch_execnz .LBB632_704
.LBB632_652:                            ;   in Loop: Header=BB632_646 Depth=2
	s_or_b32 exec_lo, exec_lo, s19
	s_mov_b32 s19, exec_lo
	v_cmpx_gt_u32_e64 s5, v48
	s_cbranch_execnz .LBB632_705
.LBB632_653:                            ;   in Loop: Header=BB632_646 Depth=2
	s_or_b32 exec_lo, exec_lo, s19
	s_mov_b32 s19, exec_lo
	v_cmpx_gt_u32_e64 s5, v49
	s_cbranch_execnz .LBB632_706
.LBB632_654:                            ;   in Loop: Header=BB632_646 Depth=2
	s_or_b32 exec_lo, exec_lo, s19
	s_mov_b32 s19, exec_lo
	v_cmpx_gt_u32_e64 s5, v50
	s_cbranch_execnz .LBB632_707
.LBB632_655:                            ;   in Loop: Header=BB632_646 Depth=2
	s_or_b32 exec_lo, exec_lo, s19
	s_mov_b32 s19, exec_lo
	v_cmpx_gt_u32_e64 s5, v51
	s_cbranch_execnz .LBB632_708
.LBB632_656:                            ;   in Loop: Header=BB632_646 Depth=2
	s_or_b32 exec_lo, exec_lo, s19
	s_mov_b32 s19, exec_lo
	v_cmpx_gt_u32_e64 s5, v52
	s_cbranch_execnz .LBB632_709
.LBB632_657:                            ;   in Loop: Header=BB632_646 Depth=2
	s_or_b32 exec_lo, exec_lo, s19
	s_mov_b32 s19, exec_lo
	v_cmpx_gt_u32_e64 s5, v53
	s_cbranch_execnz .LBB632_710
.LBB632_658:                            ;   in Loop: Header=BB632_646 Depth=2
	s_or_b32 exec_lo, exec_lo, s19
	s_mov_b32 s19, exec_lo
	v_cmpx_gt_u32_e64 s5, v54
	s_cbranch_execnz .LBB632_711
.LBB632_659:                            ;   in Loop: Header=BB632_646 Depth=2
	s_or_b32 exec_lo, exec_lo, s19
	s_mov_b32 s19, exec_lo
	v_cmpx_gt_u32_e64 s5, v55
	s_cbranch_execnz .LBB632_712
.LBB632_660:                            ;   in Loop: Header=BB632_646 Depth=2
	s_or_b32 exec_lo, exec_lo, s19
	s_mov_b32 s19, exec_lo
	v_cmpx_gt_u32_e64 s5, v56
	s_cbranch_execnz .LBB632_713
.LBB632_661:                            ;   in Loop: Header=BB632_646 Depth=2
	s_or_b32 exec_lo, exec_lo, s19
	s_mov_b32 s19, exec_lo
	v_cmpx_gt_u32_e64 s5, v57
	s_cbranch_execnz .LBB632_714
.LBB632_662:                            ;   in Loop: Header=BB632_646 Depth=2
	s_or_b32 exec_lo, exec_lo, s19
	s_mov_b32 s19, exec_lo
	v_cmpx_gt_u32_e64 s5, v58
	s_cbranch_execnz .LBB632_715
.LBB632_663:                            ;   in Loop: Header=BB632_646 Depth=2
	s_or_b32 exec_lo, exec_lo, s19
	s_mov_b32 s19, exec_lo
	v_cmpx_gt_u32_e64 s5, v59
	s_cbranch_execnz .LBB632_716
.LBB632_664:                            ;   in Loop: Header=BB632_646 Depth=2
	s_or_b32 exec_lo, exec_lo, s19
	s_mov_b32 s19, exec_lo
	v_cmpx_gt_u32_e64 s5, v60
	s_cbranch_execnz .LBB632_717
.LBB632_665:                            ;   in Loop: Header=BB632_646 Depth=2
	s_or_b32 exec_lo, exec_lo, s19
	s_mov_b32 s19, exec_lo
	v_cmpx_gt_u32_e64 s5, v61
	s_cbranch_execz .LBB632_667
.LBB632_666:                            ;   in Loop: Header=BB632_646 Depth=2
	global_load_dword v3, v107, s[16:17]
.LBB632_667:                            ;   in Loop: Header=BB632_646 Depth=2
	s_or_b32 exec_lo, exec_lo, s19
	s_waitcnt vmcnt(0)
	v_mov_b32_e32 v21, v20
	v_mov_b32_e32 v22, v19
	;; [unrolled: 1-line block ×17, first 2 shown]
	s_mov_b32 s16, s5
.LBB632_668:                            ;   in Loop: Header=BB632_646 Depth=2
	s_waitcnt vmcnt(0)
	v_mov_b32_e32 v3, v37
	v_mov_b32_e32 v5, v36
	;; [unrolled: 1-line block ×17, first 2 shown]
	s_mov_b32 s17, exec_lo
	v_cmpx_gt_u32_e64 s16, v0
	s_cbranch_execnz .LBB632_685
; %bb.669:                              ;   in Loop: Header=BB632_646 Depth=2
	s_or_b32 exec_lo, exec_lo, s17
	s_mov_b32 s17, exec_lo
	v_cmpx_gt_u32_e64 s16, v44
	s_cbranch_execnz .LBB632_686
.LBB632_670:                            ;   in Loop: Header=BB632_646 Depth=2
	s_or_b32 exec_lo, exec_lo, s17
	s_mov_b32 s17, exec_lo
	v_cmpx_gt_u32_e64 s16, v47
	s_cbranch_execnz .LBB632_687
.LBB632_671:                            ;   in Loop: Header=BB632_646 Depth=2
	s_or_b32 exec_lo, exec_lo, s17
	s_mov_b32 s17, exec_lo
	v_cmpx_gt_u32_e64 s16, v48
	s_cbranch_execnz .LBB632_688
.LBB632_672:                            ;   in Loop: Header=BB632_646 Depth=2
	s_or_b32 exec_lo, exec_lo, s17
	s_mov_b32 s17, exec_lo
	v_cmpx_gt_u32_e64 s16, v49
	s_cbranch_execnz .LBB632_689
.LBB632_673:                            ;   in Loop: Header=BB632_646 Depth=2
	s_or_b32 exec_lo, exec_lo, s17
	s_mov_b32 s17, exec_lo
	v_cmpx_gt_u32_e64 s16, v50
	s_cbranch_execnz .LBB632_690
.LBB632_674:                            ;   in Loop: Header=BB632_646 Depth=2
	s_or_b32 exec_lo, exec_lo, s17
	s_mov_b32 s17, exec_lo
	v_cmpx_gt_u32_e64 s16, v51
	s_cbranch_execnz .LBB632_691
.LBB632_675:                            ;   in Loop: Header=BB632_646 Depth=2
	s_or_b32 exec_lo, exec_lo, s17
	s_mov_b32 s17, exec_lo
	v_cmpx_gt_u32_e64 s16, v52
	s_cbranch_execnz .LBB632_692
.LBB632_676:                            ;   in Loop: Header=BB632_646 Depth=2
	s_or_b32 exec_lo, exec_lo, s17
	s_mov_b32 s17, exec_lo
	v_cmpx_gt_u32_e64 s16, v53
	s_cbranch_execnz .LBB632_693
.LBB632_677:                            ;   in Loop: Header=BB632_646 Depth=2
	s_or_b32 exec_lo, exec_lo, s17
	s_mov_b32 s17, exec_lo
	v_cmpx_gt_u32_e64 s16, v54
	s_cbranch_execnz .LBB632_694
.LBB632_678:                            ;   in Loop: Header=BB632_646 Depth=2
	s_or_b32 exec_lo, exec_lo, s17
	s_mov_b32 s17, exec_lo
	v_cmpx_gt_u32_e64 s16, v55
	s_cbranch_execnz .LBB632_695
.LBB632_679:                            ;   in Loop: Header=BB632_646 Depth=2
	s_or_b32 exec_lo, exec_lo, s17
	s_mov_b32 s17, exec_lo
	v_cmpx_gt_u32_e64 s16, v56
	s_cbranch_execnz .LBB632_696
.LBB632_680:                            ;   in Loop: Header=BB632_646 Depth=2
	s_or_b32 exec_lo, exec_lo, s17
	s_mov_b32 s17, exec_lo
	v_cmpx_gt_u32_e64 s16, v57
	s_cbranch_execnz .LBB632_697
.LBB632_681:                            ;   in Loop: Header=BB632_646 Depth=2
	s_or_b32 exec_lo, exec_lo, s17
	s_mov_b32 s17, exec_lo
	v_cmpx_gt_u32_e64 s16, v58
	s_cbranch_execnz .LBB632_698
.LBB632_682:                            ;   in Loop: Header=BB632_646 Depth=2
	s_or_b32 exec_lo, exec_lo, s17
	s_mov_b32 s17, exec_lo
	v_cmpx_gt_u32_e64 s16, v59
	s_cbranch_execnz .LBB632_699
.LBB632_683:                            ;   in Loop: Header=BB632_646 Depth=2
	s_or_b32 exec_lo, exec_lo, s17
	s_mov_b32 s17, exec_lo
	v_cmpx_gt_u32_e64 s16, v60
	s_cbranch_execnz .LBB632_700
.LBB632_684:                            ;   in Loop: Header=BB632_646 Depth=2
	s_or_b32 exec_lo, exec_lo, s17
	v_cmp_gt_u32_e32 vcc_lo, s16, v61
	s_and_saveexec_b32 s16, vcc_lo
	s_cbranch_execz .LBB632_645
	s_branch .LBB632_701
.LBB632_685:                            ;   in Loop: Header=BB632_646 Depth=2
	v_xor_b32_e32 v21, 0x80000000, v20
	v_lshrrev_b32_e32 v21, s41, v21
	v_and_b32_e32 v21, s62, v21
	v_lshl_or_b32 v21, v21, 4, v63
	ds_add_u32 v21, v85
	s_or_b32 exec_lo, exec_lo, s17
	s_mov_b32 s17, exec_lo
	v_cmpx_gt_u32_e64 s16, v44
	s_cbranch_execz .LBB632_670
.LBB632_686:                            ;   in Loop: Header=BB632_646 Depth=2
	v_xor_b32_e32 v21, 0x80000000, v19
	v_lshrrev_b32_e32 v21, s41, v21
	v_and_b32_e32 v21, s62, v21
	v_lshl_or_b32 v21, v21, 4, v63
	ds_add_u32 v21, v85
	s_or_b32 exec_lo, exec_lo, s17
	s_mov_b32 s17, exec_lo
	v_cmpx_gt_u32_e64 s16, v47
	s_cbranch_execz .LBB632_671
.LBB632_687:                            ;   in Loop: Header=BB632_646 Depth=2
	v_xor_b32_e32 v21, 0x80000000, v18
	v_lshrrev_b32_e32 v21, s41, v21
	v_and_b32_e32 v21, s62, v21
	v_lshl_or_b32 v21, v21, 4, v63
	ds_add_u32 v21, v85
	s_or_b32 exec_lo, exec_lo, s17
	s_mov_b32 s17, exec_lo
	v_cmpx_gt_u32_e64 s16, v48
	s_cbranch_execz .LBB632_672
.LBB632_688:                            ;   in Loop: Header=BB632_646 Depth=2
	v_xor_b32_e32 v21, 0x80000000, v17
	v_lshrrev_b32_e32 v21, s41, v21
	v_and_b32_e32 v21, s62, v21
	v_lshl_or_b32 v21, v21, 4, v63
	ds_add_u32 v21, v85
	s_or_b32 exec_lo, exec_lo, s17
	s_mov_b32 s17, exec_lo
	v_cmpx_gt_u32_e64 s16, v49
	s_cbranch_execz .LBB632_673
.LBB632_689:                            ;   in Loop: Header=BB632_646 Depth=2
	v_xor_b32_e32 v21, 0x80000000, v16
	v_lshrrev_b32_e32 v21, s41, v21
	v_and_b32_e32 v21, s62, v21
	v_lshl_or_b32 v21, v21, 4, v63
	ds_add_u32 v21, v85
	s_or_b32 exec_lo, exec_lo, s17
	s_mov_b32 s17, exec_lo
	v_cmpx_gt_u32_e64 s16, v50
	s_cbranch_execz .LBB632_674
.LBB632_690:                            ;   in Loop: Header=BB632_646 Depth=2
	v_xor_b32_e32 v21, 0x80000000, v15
	v_lshrrev_b32_e32 v21, s41, v21
	v_and_b32_e32 v21, s62, v21
	v_lshl_or_b32 v21, v21, 4, v63
	ds_add_u32 v21, v85
	s_or_b32 exec_lo, exec_lo, s17
	s_mov_b32 s17, exec_lo
	v_cmpx_gt_u32_e64 s16, v51
	s_cbranch_execz .LBB632_675
.LBB632_691:                            ;   in Loop: Header=BB632_646 Depth=2
	v_xor_b32_e32 v21, 0x80000000, v14
	v_lshrrev_b32_e32 v21, s41, v21
	v_and_b32_e32 v21, s62, v21
	v_lshl_or_b32 v21, v21, 4, v63
	ds_add_u32 v21, v85
	s_or_b32 exec_lo, exec_lo, s17
	s_mov_b32 s17, exec_lo
	v_cmpx_gt_u32_e64 s16, v52
	s_cbranch_execz .LBB632_676
.LBB632_692:                            ;   in Loop: Header=BB632_646 Depth=2
	v_xor_b32_e32 v21, 0x80000000, v13
	v_lshrrev_b32_e32 v21, s41, v21
	v_and_b32_e32 v21, s62, v21
	v_lshl_or_b32 v21, v21, 4, v63
	ds_add_u32 v21, v85
	s_or_b32 exec_lo, exec_lo, s17
	s_mov_b32 s17, exec_lo
	v_cmpx_gt_u32_e64 s16, v53
	s_cbranch_execz .LBB632_677
.LBB632_693:                            ;   in Loop: Header=BB632_646 Depth=2
	v_xor_b32_e32 v21, 0x80000000, v12
	v_lshrrev_b32_e32 v21, s41, v21
	v_and_b32_e32 v21, s62, v21
	v_lshl_or_b32 v21, v21, 4, v63
	ds_add_u32 v21, v85
	s_or_b32 exec_lo, exec_lo, s17
	s_mov_b32 s17, exec_lo
	v_cmpx_gt_u32_e64 s16, v54
	s_cbranch_execz .LBB632_678
.LBB632_694:                            ;   in Loop: Header=BB632_646 Depth=2
	v_xor_b32_e32 v21, 0x80000000, v11
	v_lshrrev_b32_e32 v21, s41, v21
	v_and_b32_e32 v21, s62, v21
	v_lshl_or_b32 v21, v21, 4, v63
	ds_add_u32 v21, v85
	s_or_b32 exec_lo, exec_lo, s17
	s_mov_b32 s17, exec_lo
	v_cmpx_gt_u32_e64 s16, v55
	s_cbranch_execz .LBB632_679
.LBB632_695:                            ;   in Loop: Header=BB632_646 Depth=2
	v_xor_b32_e32 v21, 0x80000000, v10
	v_lshrrev_b32_e32 v21, s41, v21
	v_and_b32_e32 v21, s62, v21
	v_lshl_or_b32 v21, v21, 4, v63
	ds_add_u32 v21, v85
	s_or_b32 exec_lo, exec_lo, s17
	s_mov_b32 s17, exec_lo
	v_cmpx_gt_u32_e64 s16, v56
	s_cbranch_execz .LBB632_680
.LBB632_696:                            ;   in Loop: Header=BB632_646 Depth=2
	v_xor_b32_e32 v21, 0x80000000, v9
	v_lshrrev_b32_e32 v21, s41, v21
	v_and_b32_e32 v21, s62, v21
	v_lshl_or_b32 v21, v21, 4, v63
	ds_add_u32 v21, v85
	s_or_b32 exec_lo, exec_lo, s17
	s_mov_b32 s17, exec_lo
	v_cmpx_gt_u32_e64 s16, v57
	s_cbranch_execz .LBB632_681
.LBB632_697:                            ;   in Loop: Header=BB632_646 Depth=2
	v_xor_b32_e32 v21, 0x80000000, v8
	v_lshrrev_b32_e32 v21, s41, v21
	v_and_b32_e32 v21, s62, v21
	v_lshl_or_b32 v21, v21, 4, v63
	ds_add_u32 v21, v85
	s_or_b32 exec_lo, exec_lo, s17
	s_mov_b32 s17, exec_lo
	v_cmpx_gt_u32_e64 s16, v58
	s_cbranch_execz .LBB632_682
.LBB632_698:                            ;   in Loop: Header=BB632_646 Depth=2
	v_xor_b32_e32 v21, 0x80000000, v7
	v_lshrrev_b32_e32 v21, s41, v21
	v_and_b32_e32 v21, s62, v21
	v_lshl_or_b32 v21, v21, 4, v63
	ds_add_u32 v21, v85
	s_or_b32 exec_lo, exec_lo, s17
	s_mov_b32 s17, exec_lo
	v_cmpx_gt_u32_e64 s16, v59
	s_cbranch_execz .LBB632_683
.LBB632_699:                            ;   in Loop: Header=BB632_646 Depth=2
	v_xor_b32_e32 v21, 0x80000000, v6
	v_lshrrev_b32_e32 v21, s41, v21
	v_and_b32_e32 v21, s62, v21
	v_lshl_or_b32 v21, v21, 4, v63
	ds_add_u32 v21, v85
	s_or_b32 exec_lo, exec_lo, s17
	s_mov_b32 s17, exec_lo
	v_cmpx_gt_u32_e64 s16, v60
	s_cbranch_execz .LBB632_684
.LBB632_700:                            ;   in Loop: Header=BB632_646 Depth=2
	v_xor_b32_e32 v21, 0x80000000, v5
	v_lshrrev_b32_e32 v21, s41, v21
	v_and_b32_e32 v21, s62, v21
	v_lshl_or_b32 v21, v21, 4, v63
	ds_add_u32 v21, v85
	s_or_b32 exec_lo, exec_lo, s17
	v_cmp_gt_u32_e32 vcc_lo, s16, v61
	s_and_saveexec_b32 s16, vcc_lo
	s_cbranch_execz .LBB632_645
.LBB632_701:                            ;   in Loop: Header=BB632_646 Depth=2
	v_xor_b32_e32 v21, 0x80000000, v3
	v_lshrrev_b32_e32 v21, s41, v21
	v_and_b32_e32 v21, s62, v21
	v_lshl_or_b32 v21, v21, 4, v63
	ds_add_u32 v21, v85
	s_branch .LBB632_645
.LBB632_702:                            ;   in Loop: Header=BB632_646 Depth=2
	global_load_dword v20, v91, s[16:17]
	s_or_b32 exec_lo, exec_lo, s19
	s_mov_b32 s19, exec_lo
	v_cmpx_gt_u32_e64 s5, v44
	s_cbranch_execz .LBB632_651
.LBB632_703:                            ;   in Loop: Header=BB632_646 Depth=2
	global_load_dword v19, v91, s[16:17] offset:1024
	s_or_b32 exec_lo, exec_lo, s19
	s_mov_b32 s19, exec_lo
	v_cmpx_gt_u32_e64 s5, v47
	s_cbranch_execz .LBB632_652
.LBB632_704:                            ;   in Loop: Header=BB632_646 Depth=2
	global_load_dword v18, v92, s[16:17]
	s_or_b32 exec_lo, exec_lo, s19
	s_mov_b32 s19, exec_lo
	v_cmpx_gt_u32_e64 s5, v48
	s_cbranch_execz .LBB632_653
.LBB632_705:                            ;   in Loop: Header=BB632_646 Depth=2
	global_load_dword v17, v93, s[16:17]
	s_or_b32 exec_lo, exec_lo, s19
	s_mov_b32 s19, exec_lo
	v_cmpx_gt_u32_e64 s5, v49
	s_cbranch_execz .LBB632_654
.LBB632_706:                            ;   in Loop: Header=BB632_646 Depth=2
	global_load_dword v16, v94, s[16:17]
	s_or_b32 exec_lo, exec_lo, s19
	s_mov_b32 s19, exec_lo
	v_cmpx_gt_u32_e64 s5, v50
	s_cbranch_execz .LBB632_655
.LBB632_707:                            ;   in Loop: Header=BB632_646 Depth=2
	global_load_dword v15, v95, s[16:17]
	s_or_b32 exec_lo, exec_lo, s19
	s_mov_b32 s19, exec_lo
	v_cmpx_gt_u32_e64 s5, v51
	s_cbranch_execz .LBB632_656
.LBB632_708:                            ;   in Loop: Header=BB632_646 Depth=2
	global_load_dword v14, v96, s[16:17]
	s_or_b32 exec_lo, exec_lo, s19
	s_mov_b32 s19, exec_lo
	v_cmpx_gt_u32_e64 s5, v52
	s_cbranch_execz .LBB632_657
.LBB632_709:                            ;   in Loop: Header=BB632_646 Depth=2
	global_load_dword v13, v97, s[16:17]
	s_or_b32 exec_lo, exec_lo, s19
	s_mov_b32 s19, exec_lo
	v_cmpx_gt_u32_e64 s5, v53
	s_cbranch_execz .LBB632_658
.LBB632_710:                            ;   in Loop: Header=BB632_646 Depth=2
	global_load_dword v12, v98, s[16:17]
	s_or_b32 exec_lo, exec_lo, s19
	s_mov_b32 s19, exec_lo
	v_cmpx_gt_u32_e64 s5, v54
	s_cbranch_execz .LBB632_659
.LBB632_711:                            ;   in Loop: Header=BB632_646 Depth=2
	global_load_dword v11, v99, s[16:17]
	s_or_b32 exec_lo, exec_lo, s19
	s_mov_b32 s19, exec_lo
	v_cmpx_gt_u32_e64 s5, v55
	s_cbranch_execz .LBB632_660
.LBB632_712:                            ;   in Loop: Header=BB632_646 Depth=2
	global_load_dword v10, v100, s[16:17]
	s_or_b32 exec_lo, exec_lo, s19
	s_mov_b32 s19, exec_lo
	v_cmpx_gt_u32_e64 s5, v56
	s_cbranch_execz .LBB632_661
.LBB632_713:                            ;   in Loop: Header=BB632_646 Depth=2
	global_load_dword v9, v101, s[16:17]
	s_or_b32 exec_lo, exec_lo, s19
	s_mov_b32 s19, exec_lo
	v_cmpx_gt_u32_e64 s5, v57
	s_cbranch_execz .LBB632_662
.LBB632_714:                            ;   in Loop: Header=BB632_646 Depth=2
	global_load_dword v8, v102, s[16:17]
	s_or_b32 exec_lo, exec_lo, s19
	s_mov_b32 s19, exec_lo
	v_cmpx_gt_u32_e64 s5, v58
	s_cbranch_execz .LBB632_663
.LBB632_715:                            ;   in Loop: Header=BB632_646 Depth=2
	global_load_dword v7, v103, s[16:17]
	s_or_b32 exec_lo, exec_lo, s19
	s_mov_b32 s19, exec_lo
	v_cmpx_gt_u32_e64 s5, v59
	s_cbranch_execz .LBB632_664
.LBB632_716:                            ;   in Loop: Header=BB632_646 Depth=2
	global_load_dword v6, v104, s[16:17]
	s_or_b32 exec_lo, exec_lo, s19
	s_mov_b32 s19, exec_lo
	v_cmpx_gt_u32_e64 s5, v60
	s_cbranch_execz .LBB632_665
.LBB632_717:                            ;   in Loop: Header=BB632_646 Depth=2
	global_load_dword v5, v105, s[16:17]
	s_or_b32 exec_lo, exec_lo, s19
	s_mov_b32 s19, exec_lo
	v_cmpx_gt_u32_e64 s5, v61
	s_cbranch_execnz .LBB632_666
	s_branch .LBB632_667
.LBB632_718:                            ;   in Loop: Header=BB632_20 Depth=1
	v_mov_b32_e32 v3, 0
	s_waitcnt lgkmcnt(0)
	s_barrier
	buffer_gl0_inv
	s_and_saveexec_b32 s5, s8
	s_cbranch_execz .LBB632_720
; %bb.719:                              ;   in Loop: Header=BB632_20 Depth=1
	ds_read2_b64 v[5:8], v64 offset1:1
	s_waitcnt lgkmcnt(0)
	v_add_nc_u32_e32 v3, v6, v5
	v_add3_u32 v3, v3, v7, v8
.LBB632_720:                            ;   in Loop: Header=BB632_20 Depth=1
	s_or_b32 exec_lo, exec_lo, s5
	v_mov_b32_dpp v5, v3 row_shr:1 row_mask:0xf bank_mask:0xf
	v_cmp_eq_u32_e64 s5, 0, v86
	v_cmp_lt_u32_e64 s16, 1, v86
	v_cmp_lt_u32_e64 s17, 3, v86
	v_cmp_lt_u32_e64 s18, 7, v86
	v_cmp_eq_u32_e64 s19, 0, v88
	v_cndmask_b32_e64 v5, v5, 0, s5
	v_add_nc_u32_e32 v3, v5, v3
	v_mov_b32_dpp v5, v3 row_shr:2 row_mask:0xf bank_mask:0xf
	v_cndmask_b32_e64 v5, 0, v5, s16
	v_add_nc_u32_e32 v3, v3, v5
	v_mov_b32_dpp v5, v3 row_shr:4 row_mask:0xf bank_mask:0xf
	;; [unrolled: 3-line block ×3, first 2 shown]
	v_cndmask_b32_e64 v5, 0, v5, s18
	v_add_nc_u32_e32 v3, v3, v5
	ds_swizzle_b32 v5, v3 offset:swizzle(BROADCAST,32,15)
	s_waitcnt lgkmcnt(0)
	v_and_b32_e32 v5, v87, v5
	v_add_nc_u32_e32 v3, v3, v5
	s_and_saveexec_b32 s20, s9
; %bb.721:                              ;   in Loop: Header=BB632_20 Depth=1
	ds_write_b32 v65, v3
; %bb.722:                              ;   in Loop: Header=BB632_20 Depth=1
	s_or_b32 exec_lo, exec_lo, s20
	s_waitcnt lgkmcnt(0)
	s_barrier
	buffer_gl0_inv
	s_and_saveexec_b32 s20, s10
	s_cbranch_execz .LBB632_724
; %bb.723:                              ;   in Loop: Header=BB632_20 Depth=1
	ds_read_b32 v5, v66
	v_cmp_ne_u32_e32 vcc_lo, 0, v89
	s_waitcnt lgkmcnt(0)
	v_mov_b32_dpp v6, v5 row_shr:1 row_mask:0xf bank_mask:0xf
	v_cndmask_b32_e32 v6, 0, v6, vcc_lo
	v_cmp_lt_u32_e32 vcc_lo, 1, v89
	v_add_nc_u32_e32 v5, v6, v5
	v_mov_b32_dpp v6, v5 row_shr:2 row_mask:0xf bank_mask:0xf
	v_cndmask_b32_e32 v6, 0, v6, vcc_lo
	v_add_nc_u32_e32 v5, v5, v6
	ds_write_b32 v66, v5
.LBB632_724:                            ;   in Loop: Header=BB632_20 Depth=1
	s_or_b32 exec_lo, exec_lo, s20
	v_mov_b32_e32 v5, 0
	s_waitcnt lgkmcnt(0)
	s_barrier
	buffer_gl0_inv
	s_and_saveexec_b32 s20, s11
; %bb.725:                              ;   in Loop: Header=BB632_20 Depth=1
	ds_read_b32 v5, v67
; %bb.726:                              ;   in Loop: Header=BB632_20 Depth=1
	s_or_b32 exec_lo, exec_lo, s20
	v_cmp_gt_i32_e32 vcc_lo, 0, v90
	s_waitcnt lgkmcnt(0)
	v_add_nc_u32_e32 v3, v5, v3
	s_barrier
	buffer_gl0_inv
	v_cndmask_b32_e32 v6, v90, v82, vcc_lo
	v_lshlrev_b32_e32 v131, 2, v6
	ds_bpermute_b32 v3, v131, v3
	s_and_saveexec_b32 s20, s8
	s_cbranch_execz .LBB632_728
; %bb.727:                              ;   in Loop: Header=BB632_20 Depth=1
	s_waitcnt lgkmcnt(0)
	v_cndmask_b32_e64 v3, v3, v5, s15
	v_add_nc_u32_e32 v3, s58, v3
	ds_write_b32 v43, v3
.LBB632_728:                            ;   in Loop: Header=BB632_20 Depth=1
	s_or_b32 exec_lo, exec_lo, s20
	s_load_dwordx2 s[20:21], s[56:57], 0x0
	v_add_co_u32 v132, vcc_lo, v80, v106
	v_add_co_ci_u32_e64 v133, null, 0, v81, vcc_lo
	v_add_co_u32 v134, vcc_lo, v83, v125
	v_add_co_ci_u32_e64 v135, null, 0, v84, vcc_lo
	s_mov_b32 s63, s60
	s_mov_b32 s50, s58
                                        ; implicit-def: $vgpr7_vgpr8
                                        ; implicit-def: $vgpr9_vgpr10
                                        ; implicit-def: $vgpr11_vgpr12
                                        ; implicit-def: $vgpr13_vgpr14
                                        ; implicit-def: $vgpr15_vgpr16
                                        ; implicit-def: $vgpr19_vgpr20
                                        ; implicit-def: $vgpr23_vgpr24
                                        ; implicit-def: $vgpr27_vgpr28
                                        ; implicit-def: $vgpr17_vgpr18
                                        ; implicit-def: $vgpr21_vgpr22
                                        ; implicit-def: $vgpr25_vgpr26
                                        ; implicit-def: $vgpr29_vgpr30
                                        ; implicit-def: $vgpr31_vgpr32
                                        ; implicit-def: $vgpr33_vgpr34
                                        ; implicit-def: $vgpr35_vgpr36
                                        ; implicit-def: $vgpr37_vgpr38
                                        ; implicit-def: $vgpr137
                                        ; implicit-def: $vgpr138
                                        ; implicit-def: $vgpr139
                                        ; implicit-def: $vgpr140
                                        ; implicit-def: $vgpr141
                                        ; implicit-def: $vgpr142
                                        ; implicit-def: $vgpr143
                                        ; implicit-def: $vgpr144
                                        ; implicit-def: $vgpr145
                                        ; implicit-def: $vgpr146
                                        ; implicit-def: $vgpr147
                                        ; implicit-def: $vgpr148
                                        ; implicit-def: $vgpr149
                                        ; implicit-def: $vgpr150
                                        ; implicit-def: $vgpr151
                                        ; implicit-def: $vgpr153
                                        ; implicit-def: $vgpr154
                                        ; implicit-def: $vgpr152
                                        ; implicit-def: $vgpr155
	s_waitcnt lgkmcnt(0)
	s_cmp_lt_u32 s7, s21
	s_cselect_b32 s21, 14, 20
	s_add_u32 s22, s56, s21
	s_addc_u32 s23, s57, 0
	s_cmp_lt_u32 s6, s20
	global_load_ushort v3, v4, s[22:23]
	s_cselect_b32 s20, 12, 18
	s_add_u32 s20, s56, s20
	s_addc_u32 s21, s57, 0
	global_load_ushort v5, v4, s[20:21]
	v_cmp_eq_u32_e64 s20, 0, v108
	v_cmp_lt_u32_e64 s21, 1, v108
	v_cmp_lt_u32_e64 s22, 3, v108
	s_waitcnt vmcnt(1)
	v_mad_u32_u24 v3, v2, v3, v1
	s_waitcnt vmcnt(0)
	v_mad_u64_u32 v[5:6], null, v3, v5, v[0:1]
	v_lshrrev_b32_e32 v3, 3, v5
                                        ; implicit-def: $vgpr5_vgpr6
	v_and_b32_e32 v136, 0x1ffffffc, v3
	s_branch .LBB632_730
.LBB632_729:                            ;   in Loop: Header=BB632_730 Depth=2
	s_or_b32 exec_lo, exec_lo, s23
	s_addk_i32 s63, 0xef00
	s_cmp_lt_u32 s64, s59
	s_mov_b32 s50, s64
	s_cbranch_scc0 .LBB632_952
.LBB632_730:                            ;   Parent Loop BB632_20 Depth=1
                                        ; =>  This Inner Loop Header: Depth=2
	s_add_i32 s64, s50, 0x1100
	s_cmp_gt_u32 s64, s59
	s_cbranch_scc1 .LBB632_732
; %bb.731:                              ;   in Loop: Header=BB632_730 Depth=2
	s_lshl_b64 s[24:25], s[50:51], 2
	s_mov_b32 s23, -1
	v_add_co_u32 v39, vcc_lo, v134, s24
	v_add_co_ci_u32_e64 v40, null, s25, v135, vcc_lo
	s_clause 0xf
	global_load_dword v157, v[39:40], off
	global_load_dword v158, v[39:40], off offset:128
	global_load_dword v161, v[39:40], off offset:256
	;; [unrolled: 1-line block ×15, first 2 shown]
	s_movk_i32 s24, 0x1100
	s_cbranch_execz .LBB632_733
	s_branch .LBB632_766
.LBB632_732:                            ;   in Loop: Header=BB632_730 Depth=2
	s_mov_b32 s23, 0
                                        ; implicit-def: $vgpr157
                                        ; implicit-def: $vgpr158
                                        ; implicit-def: $vgpr161
                                        ; implicit-def: $vgpr165
                                        ; implicit-def: $vgpr170
                                        ; implicit-def: $vgpr175
                                        ; implicit-def: $vgpr180
                                        ; implicit-def: $vgpr185
                                        ; implicit-def: $vgpr190
                                        ; implicit-def: $vgpr188
                                        ; implicit-def: $vgpr183
                                        ; implicit-def: $vgpr178
                                        ; implicit-def: $vgpr174
                                        ; implicit-def: $vgpr169
                                        ; implicit-def: $vgpr42
                                        ; implicit-def: $vgpr41
	s_movk_i32 s24, 0x1100
.LBB632_733:                            ;   in Loop: Header=BB632_730 Depth=2
	s_lshl_b64 s[24:25], s[50:51], 2
	s_waitcnt vmcnt(14)
	v_bfrev_b32_e32 v158, -2
	v_add_co_u32 v39, vcc_lo, v134, s24
	v_add_co_ci_u32_e64 v40, null, s25, v135, vcc_lo
	v_bfrev_b32_e32 v157, -2
	s_mov_b32 s23, exec_lo
	v_cmpx_gt_u32_e64 s63, v109
	s_cbranch_execz .LBB632_735
; %bb.734:                              ;   in Loop: Header=BB632_730 Depth=2
	global_load_dword v157, v[39:40], off
.LBB632_735:                            ;   in Loop: Header=BB632_730 Depth=2
	s_or_b32 exec_lo, exec_lo, s23
	s_mov_b32 s23, exec_lo
	v_cmpx_gt_u32_e64 s63, v112
	s_cbranch_execz .LBB632_737
; %bb.736:                              ;   in Loop: Header=BB632_730 Depth=2
	global_load_dword v158, v[39:40], off offset:128
.LBB632_737:                            ;   in Loop: Header=BB632_730 Depth=2
	s_or_b32 exec_lo, exec_lo, s23
	s_waitcnt vmcnt(12)
	v_bfrev_b32_e32 v165, -2
	v_bfrev_b32_e32 v161, -2
	s_mov_b32 s23, exec_lo
	v_cmpx_gt_u32_e64 s63, v113
	s_cbranch_execz .LBB632_739
; %bb.738:                              ;   in Loop: Header=BB632_730 Depth=2
	global_load_dword v161, v[39:40], off offset:256
.LBB632_739:                            ;   in Loop: Header=BB632_730 Depth=2
	s_or_b32 exec_lo, exec_lo, s23
	s_mov_b32 s23, exec_lo
	v_cmpx_gt_u32_e64 s63, v114
	s_cbranch_execz .LBB632_741
; %bb.740:                              ;   in Loop: Header=BB632_730 Depth=2
	global_load_dword v165, v[39:40], off offset:384
.LBB632_741:                            ;   in Loop: Header=BB632_730 Depth=2
	s_or_b32 exec_lo, exec_lo, s23
	s_waitcnt vmcnt(10)
	v_bfrev_b32_e32 v175, -2
	v_bfrev_b32_e32 v170, -2
	s_mov_b32 s23, exec_lo
	v_cmpx_gt_u32_e64 s63, v115
	s_cbranch_execz .LBB632_743
; %bb.742:                              ;   in Loop: Header=BB632_730 Depth=2
	global_load_dword v170, v[39:40], off offset:512
.LBB632_743:                            ;   in Loop: Header=BB632_730 Depth=2
	;; [unrolled: 17-line block ×7, first 2 shown]
	s_or_b32 exec_lo, exec_lo, s23
	s_mov_b32 s23, exec_lo
	v_cmpx_gt_u32_e64 s63, v127
	s_cbranch_execz .LBB632_765
; %bb.764:                              ;   in Loop: Header=BB632_730 Depth=2
	global_load_dword v41, v[39:40], off offset:1920
.LBB632_765:                            ;   in Loop: Header=BB632_730 Depth=2
	s_or_b32 exec_lo, exec_lo, s23
	v_cmp_gt_u32_e64 s23, s63, v128
	s_sub_i32 s24, s59, s50
.LBB632_766:                            ;   in Loop: Header=BB632_730 Depth=2
	v_mov_b32_e32 v3, -1
	v_mov_b32_e32 v156, s63
	s_and_saveexec_b32 s25, s23
	s_cbranch_execz .LBB632_768
; %bb.767:                              ;   in Loop: Header=BB632_730 Depth=2
	s_lshl_b64 s[26:27], s[50:51], 2
	v_mov_b32_e32 v156, s24
	v_add_co_u32 v3, vcc_lo, v134, s26
	v_add_co_ci_u32_e64 v40, null, s27, v135, vcc_lo
	v_add_co_u32 v39, vcc_lo, 0x800, v3
	v_add_co_ci_u32_e64 v40, null, 0, v40, vcc_lo
	global_load_dword v3, v[39:40], off
	s_waitcnt vmcnt(0)
	v_xor_b32_e32 v3, 0x80000000, v3
.LBB632_768:                            ;   in Loop: Header=BB632_730 Depth=2
	s_or_b32 exec_lo, exec_lo, s25
	s_waitcnt vmcnt(15)
	v_xor_b32_e32 v157, 0x80000000, v157
	ds_write2_b32 v68, v4, v4 offset0:136 offset1:137
	ds_write2_b32 v68, v4, v4 offset0:138 offset1:139
	ds_write_b32 v68, v4 offset:560
	s_waitcnt vmcnt(0) lgkmcnt(0)
	s_barrier
	v_lshrrev_b32_e32 v39, s41, v157
	buffer_gl0_inv
	; wave barrier
	v_and_b32_e32 v40, s62, v39
	v_and_b32_e32 v39, 1, v40
	v_lshlrev_b32_e32 v159, 30, v40
	v_lshlrev_b32_e32 v160, 29, v40
	v_lshlrev_b32_e32 v163, 28, v40
	v_lshlrev_b32_e32 v164, 27, v40
	v_add_co_u32 v39, s23, v39, -1
	v_cndmask_b32_e64 v162, 0, 1, s23
	v_not_b32_e32 v167, v159
	v_cmp_gt_i32_e64 s23, 0, v159
	v_not_b32_e32 v159, v160
	v_lshlrev_b32_e32 v166, 26, v40
	v_cmp_ne_u32_e32 vcc_lo, 0, v162
	v_ashrrev_i32_e32 v167, 31, v167
	v_lshlrev_b32_e32 v162, 25, v40
	v_ashrrev_i32_e32 v159, 31, v159
	v_mul_u32_u24_e32 v40, 36, v40
	v_xor_b32_e32 v39, vcc_lo, v39
	v_cmp_gt_i32_e32 vcc_lo, 0, v160
	v_not_b32_e32 v160, v163
	v_xor_b32_e32 v167, s23, v167
	v_cmp_gt_i32_e64 s23, 0, v163
	v_and_b32_e32 v39, exec_lo, v39
	v_not_b32_e32 v163, v164
	v_ashrrev_i32_e32 v160, 31, v160
	v_xor_b32_e32 v159, vcc_lo, v159
	v_cmp_gt_i32_e32 vcc_lo, 0, v164
	v_and_b32_e32 v39, v39, v167
	v_not_b32_e32 v164, v166
	v_ashrrev_i32_e32 v163, 31, v163
	v_xor_b32_e32 v160, s23, v160
	v_cmp_gt_i32_e64 s23, 0, v166
	v_and_b32_e32 v39, v39, v159
	v_not_b32_e32 v159, v162
	v_ashrrev_i32_e32 v164, 31, v164
	v_xor_b32_e32 v163, vcc_lo, v163
	v_cmp_gt_i32_e32 vcc_lo, 0, v162
	v_and_b32_e32 v39, v39, v160
	v_ashrrev_i32_e32 v159, 31, v159
	v_xor_b32_e32 v160, s23, v164
	v_and_b32_e32 v39, v39, v163
	v_xor_b32_e32 v159, vcc_lo, v159
	v_and_b32_e32 v39, v39, v160
	v_add_nc_u32_e32 v160, v136, v40
	v_and_b32_e32 v39, v39, v159
	v_mbcnt_lo_u32_b32 v159, v39, 0
	v_cmp_ne_u32_e64 s23, 0, v39
	v_cmp_eq_u32_e32 vcc_lo, 0, v159
	s_and_b32 s24, s23, vcc_lo
	s_and_saveexec_b32 s23, s24
; %bb.769:                              ;   in Loop: Header=BB632_730 Depth=2
	v_bcnt_u32_b32 v39, v39, 0
	ds_write_b32 v160, v39 offset:544
; %bb.770:                              ;   in Loop: Header=BB632_730 Depth=2
	s_or_b32 exec_lo, exec_lo, s23
	v_xor_b32_e32 v158, 0x80000000, v158
	; wave barrier
	v_lshrrev_b32_e32 v39, s41, v158
	v_and_b32_e32 v40, s62, v39
	v_and_b32_e32 v39, 1, v40
	v_lshlrev_b32_e32 v162, 30, v40
	v_lshlrev_b32_e32 v163, 29, v40
	v_lshlrev_b32_e32 v166, 28, v40
	v_lshlrev_b32_e32 v167, 27, v40
	v_add_co_u32 v39, s23, v39, -1
	v_cndmask_b32_e64 v164, 0, 1, s23
	v_not_b32_e32 v171, v162
	v_cmp_gt_i32_e64 s23, 0, v162
	v_not_b32_e32 v162, v163
	v_lshlrev_b32_e32 v168, 26, v40
	v_cmp_ne_u32_e32 vcc_lo, 0, v164
	v_ashrrev_i32_e32 v171, 31, v171
	v_lshlrev_b32_e32 v164, 25, v40
	v_ashrrev_i32_e32 v162, 31, v162
	v_xor_b32_e32 v39, vcc_lo, v39
	v_cmp_gt_i32_e32 vcc_lo, 0, v163
	v_not_b32_e32 v163, v166
	v_xor_b32_e32 v171, s23, v171
	v_cmp_gt_i32_e64 s23, 0, v166
	v_and_b32_e32 v39, exec_lo, v39
	v_not_b32_e32 v166, v167
	v_ashrrev_i32_e32 v163, 31, v163
	v_xor_b32_e32 v162, vcc_lo, v162
	v_cmp_gt_i32_e32 vcc_lo, 0, v167
	v_and_b32_e32 v39, v39, v171
	v_not_b32_e32 v167, v168
	v_ashrrev_i32_e32 v166, 31, v166
	v_xor_b32_e32 v163, s23, v163
	v_cmp_gt_i32_e64 s23, 0, v168
	v_and_b32_e32 v39, v39, v162
	v_not_b32_e32 v162, v164
	v_ashrrev_i32_e32 v167, 31, v167
	v_xor_b32_e32 v166, vcc_lo, v166
	v_cmp_gt_i32_e32 vcc_lo, 0, v164
	v_and_b32_e32 v39, v39, v163
	v_ashrrev_i32_e32 v162, 31, v162
	v_xor_b32_e32 v163, s23, v167
	v_mad_u32_u24 v164, v40, 36, v136
	v_mul_u32_u24_e32 v40, 36, v40
	v_and_b32_e32 v39, v39, v166
	v_xor_b32_e32 v166, vcc_lo, v162
	ds_read_b32 v162, v164 offset:544
	v_add_nc_u32_e32 v164, v136, v40
	v_and_b32_e32 v39, v39, v163
	; wave barrier
	v_and_b32_e32 v39, v39, v166
	v_mbcnt_lo_u32_b32 v163, v39, 0
	v_cmp_ne_u32_e64 s23, 0, v39
	v_cmp_eq_u32_e32 vcc_lo, 0, v163
	s_and_b32 s24, s23, vcc_lo
	s_and_saveexec_b32 s23, s24
	s_cbranch_execz .LBB632_772
; %bb.771:                              ;   in Loop: Header=BB632_730 Depth=2
	s_waitcnt lgkmcnt(0)
	v_bcnt_u32_b32 v39, v39, v162
	ds_write_b32 v164, v39 offset:544
.LBB632_772:                            ;   in Loop: Header=BB632_730 Depth=2
	s_or_b32 exec_lo, exec_lo, s23
	v_xor_b32_e32 v161, 0x80000000, v161
	; wave barrier
	v_lshrrev_b32_e32 v39, s41, v161
	v_and_b32_e32 v40, s62, v39
	v_and_b32_e32 v39, 1, v40
	v_lshlrev_b32_e32 v166, 30, v40
	v_lshlrev_b32_e32 v167, 29, v40
	v_lshlrev_b32_e32 v171, 28, v40
	v_lshlrev_b32_e32 v172, 27, v40
	v_add_co_u32 v39, s23, v39, -1
	v_cndmask_b32_e64 v168, 0, 1, s23
	v_not_b32_e32 v176, v166
	v_cmp_gt_i32_e64 s23, 0, v166
	v_not_b32_e32 v166, v167
	v_lshlrev_b32_e32 v173, 26, v40
	v_cmp_ne_u32_e32 vcc_lo, 0, v168
	v_ashrrev_i32_e32 v176, 31, v176
	v_lshlrev_b32_e32 v168, 25, v40
	v_ashrrev_i32_e32 v166, 31, v166
	v_xor_b32_e32 v39, vcc_lo, v39
	v_cmp_gt_i32_e32 vcc_lo, 0, v167
	v_not_b32_e32 v167, v171
	v_xor_b32_e32 v176, s23, v176
	v_cmp_gt_i32_e64 s23, 0, v171
	v_and_b32_e32 v39, exec_lo, v39
	v_not_b32_e32 v171, v172
	v_ashrrev_i32_e32 v167, 31, v167
	v_xor_b32_e32 v166, vcc_lo, v166
	v_cmp_gt_i32_e32 vcc_lo, 0, v172
	v_and_b32_e32 v39, v39, v176
	v_not_b32_e32 v172, v173
	v_ashrrev_i32_e32 v171, 31, v171
	v_xor_b32_e32 v167, s23, v167
	v_cmp_gt_i32_e64 s23, 0, v173
	v_and_b32_e32 v39, v39, v166
	v_not_b32_e32 v166, v168
	v_ashrrev_i32_e32 v172, 31, v172
	v_xor_b32_e32 v171, vcc_lo, v171
	v_cmp_gt_i32_e32 vcc_lo, 0, v168
	v_and_b32_e32 v39, v39, v167
	v_ashrrev_i32_e32 v166, 31, v166
	v_xor_b32_e32 v167, s23, v172
	v_mad_u32_u24 v168, v40, 36, v136
	v_mul_u32_u24_e32 v40, 36, v40
	v_and_b32_e32 v39, v39, v171
	v_xor_b32_e32 v171, vcc_lo, v166
	ds_read_b32 v166, v168 offset:544
	v_add_nc_u32_e32 v168, v136, v40
	v_and_b32_e32 v39, v39, v167
	; wave barrier
	v_and_b32_e32 v39, v39, v171
	v_mbcnt_lo_u32_b32 v167, v39, 0
	v_cmp_ne_u32_e64 s23, 0, v39
	v_cmp_eq_u32_e32 vcc_lo, 0, v167
	s_and_b32 s24, s23, vcc_lo
	s_and_saveexec_b32 s23, s24
	s_cbranch_execz .LBB632_774
; %bb.773:                              ;   in Loop: Header=BB632_730 Depth=2
	s_waitcnt lgkmcnt(0)
	v_bcnt_u32_b32 v39, v39, v166
	ds_write_b32 v168, v39 offset:544
.LBB632_774:                            ;   in Loop: Header=BB632_730 Depth=2
	;; [unrolled: 63-line block ×9, first 2 shown]
	s_or_b32 exec_lo, exec_lo, s23
	v_xor_b32_e32 v183, 0x80000000, v183
	; wave barrier
	v_lshrrev_b32_e32 v39, s41, v183
	v_and_b32_e32 v40, s62, v39
	v_and_b32_e32 v39, 1, v40
	v_lshlrev_b32_e32 v200, 30, v40
	v_lshlrev_b32_e32 v201, 29, v40
	;; [unrolled: 1-line block ×4, first 2 shown]
	v_add_co_u32 v39, s23, v39, -1
	v_cndmask_b32_e64 v202, 0, 1, s23
	v_not_b32_e32 v206, v200
	v_cmp_gt_i32_e64 s23, 0, v200
	v_not_b32_e32 v200, v201
	v_lshlrev_b32_e32 v205, 26, v40
	v_cmp_ne_u32_e32 vcc_lo, 0, v202
	v_ashrrev_i32_e32 v206, 31, v206
	v_lshlrev_b32_e32 v202, 25, v40
	v_ashrrev_i32_e32 v200, 31, v200
	v_xor_b32_e32 v39, vcc_lo, v39
	v_cmp_gt_i32_e32 vcc_lo, 0, v201
	v_not_b32_e32 v201, v203
	v_xor_b32_e32 v206, s23, v206
	v_cmp_gt_i32_e64 s23, 0, v203
	v_and_b32_e32 v39, exec_lo, v39
	v_not_b32_e32 v203, v204
	v_ashrrev_i32_e32 v201, 31, v201
	v_xor_b32_e32 v200, vcc_lo, v200
	v_cmp_gt_i32_e32 vcc_lo, 0, v204
	v_and_b32_e32 v39, v39, v206
	v_not_b32_e32 v204, v205
	v_ashrrev_i32_e32 v203, 31, v203
	v_xor_b32_e32 v201, s23, v201
	v_cmp_gt_i32_e64 s23, 0, v205
	v_and_b32_e32 v39, v39, v200
	v_not_b32_e32 v200, v202
	v_ashrrev_i32_e32 v204, 31, v204
	v_xor_b32_e32 v203, vcc_lo, v203
	v_cmp_gt_i32_e32 vcc_lo, 0, v202
	v_and_b32_e32 v39, v39, v201
	v_ashrrev_i32_e32 v200, 31, v200
	v_xor_b32_e32 v201, s23, v204
	v_mad_u32_u24 v202, v40, 36, v136
	v_mul_u32_u24_e32 v40, 36, v40
	v_and_b32_e32 v39, v39, v203
	v_xor_b32_e32 v200, vcc_lo, v200
	v_add_nc_u32_e32 v203, v136, v40
	v_and_b32_e32 v39, v39, v201
	ds_read_b32 v201, v202 offset:544
	; wave barrier
	v_and_b32_e32 v39, v39, v200
	v_mbcnt_lo_u32_b32 v202, v39, 0
	v_cmp_ne_u32_e64 s23, 0, v39
	v_cmp_eq_u32_e32 vcc_lo, 0, v202
	s_and_b32 s24, s23, vcc_lo
	s_and_saveexec_b32 s23, s24
	s_cbranch_execz .LBB632_790
; %bb.789:                              ;   in Loop: Header=BB632_730 Depth=2
	s_waitcnt lgkmcnt(0)
	v_bcnt_u32_b32 v39, v39, v201
	ds_write_b32 v203, v39 offset:544
.LBB632_790:                            ;   in Loop: Header=BB632_730 Depth=2
	s_or_b32 exec_lo, exec_lo, s23
	v_xor_b32_e32 v200, 0x80000000, v178
	; wave barrier
	v_lshrrev_b32_e32 v39, s41, v200
	v_and_b32_e32 v40, s62, v39
	v_and_b32_e32 v39, 1, v40
	v_lshlrev_b32_e32 v178, 30, v40
	v_lshlrev_b32_e32 v204, 29, v40
	v_lshlrev_b32_e32 v206, 28, v40
	v_lshlrev_b32_e32 v207, 27, v40
	v_add_co_u32 v39, s23, v39, -1
	v_cndmask_b32_e64 v205, 0, 1, s23
	v_not_b32_e32 v209, v178
	v_cmp_gt_i32_e64 s23, 0, v178
	v_not_b32_e32 v178, v204
	v_lshlrev_b32_e32 v208, 26, v40
	v_cmp_ne_u32_e32 vcc_lo, 0, v205
	v_ashrrev_i32_e32 v209, 31, v209
	v_lshlrev_b32_e32 v205, 25, v40
	v_ashrrev_i32_e32 v178, 31, v178
	v_xor_b32_e32 v39, vcc_lo, v39
	v_cmp_gt_i32_e32 vcc_lo, 0, v204
	v_not_b32_e32 v204, v206
	v_xor_b32_e32 v209, s23, v209
	v_cmp_gt_i32_e64 s23, 0, v206
	v_and_b32_e32 v39, exec_lo, v39
	v_not_b32_e32 v206, v207
	v_ashrrev_i32_e32 v204, 31, v204
	v_xor_b32_e32 v178, vcc_lo, v178
	v_cmp_gt_i32_e32 vcc_lo, 0, v207
	v_and_b32_e32 v39, v39, v209
	v_not_b32_e32 v207, v208
	v_ashrrev_i32_e32 v206, 31, v206
	v_xor_b32_e32 v204, s23, v204
	v_cmp_gt_i32_e64 s23, 0, v208
	v_and_b32_e32 v39, v39, v178
	v_not_b32_e32 v178, v205
	v_ashrrev_i32_e32 v207, 31, v207
	v_xor_b32_e32 v206, vcc_lo, v206
	v_cmp_gt_i32_e32 vcc_lo, 0, v205
	v_and_b32_e32 v39, v39, v204
	v_ashrrev_i32_e32 v178, 31, v178
	v_xor_b32_e32 v204, s23, v207
	v_mad_u32_u24 v205, v40, 36, v136
	v_mul_u32_u24_e32 v40, 36, v40
	v_and_b32_e32 v39, v39, v206
	v_xor_b32_e32 v178, vcc_lo, v178
	ds_read_b32 v205, v205 offset:544
	v_and_b32_e32 v39, v39, v204
	; wave barrier
	v_and_b32_e32 v39, v39, v178
	v_add_nc_u32_e32 v178, v136, v40
	v_mbcnt_lo_u32_b32 v206, v39, 0
	v_cmp_ne_u32_e64 s23, 0, v39
	v_cmp_eq_u32_e32 vcc_lo, 0, v206
	s_and_b32 s24, s23, vcc_lo
	s_and_saveexec_b32 s23, s24
	s_cbranch_execz .LBB632_792
; %bb.791:                              ;   in Loop: Header=BB632_730 Depth=2
	s_waitcnt lgkmcnt(0)
	v_bcnt_u32_b32 v39, v39, v205
	ds_write_b32 v178, v39 offset:544
.LBB632_792:                            ;   in Loop: Header=BB632_730 Depth=2
	s_or_b32 exec_lo, exec_lo, s23
	v_xor_b32_e32 v204, 0x80000000, v174
	; wave barrier
	v_lshrrev_b32_e32 v39, s41, v204
	v_and_b32_e32 v40, s62, v39
	v_and_b32_e32 v39, 1, v40
	v_lshlrev_b32_e32 v174, 30, v40
	v_lshlrev_b32_e32 v207, 29, v40
	v_lshlrev_b32_e32 v209, 28, v40
	v_lshlrev_b32_e32 v210, 27, v40
	v_add_co_u32 v39, s23, v39, -1
	v_cndmask_b32_e64 v208, 0, 1, s23
	v_not_b32_e32 v212, v174
	v_cmp_gt_i32_e64 s23, 0, v174
	v_not_b32_e32 v174, v207
	v_lshlrev_b32_e32 v211, 26, v40
	v_cmp_ne_u32_e32 vcc_lo, 0, v208
	v_ashrrev_i32_e32 v212, 31, v212
	v_lshlrev_b32_e32 v208, 25, v40
	v_ashrrev_i32_e32 v174, 31, v174
	v_xor_b32_e32 v39, vcc_lo, v39
	v_cmp_gt_i32_e32 vcc_lo, 0, v207
	v_not_b32_e32 v207, v209
	v_xor_b32_e32 v212, s23, v212
	v_cmp_gt_i32_e64 s23, 0, v209
	v_and_b32_e32 v39, exec_lo, v39
	v_not_b32_e32 v209, v210
	v_ashrrev_i32_e32 v207, 31, v207
	v_xor_b32_e32 v174, vcc_lo, v174
	v_cmp_gt_i32_e32 vcc_lo, 0, v210
	v_and_b32_e32 v39, v39, v212
	v_not_b32_e32 v210, v211
	v_ashrrev_i32_e32 v209, 31, v209
	v_xor_b32_e32 v207, s23, v207
	v_cmp_gt_i32_e64 s23, 0, v211
	v_and_b32_e32 v39, v39, v174
	v_not_b32_e32 v174, v208
	v_ashrrev_i32_e32 v210, 31, v210
	v_xor_b32_e32 v209, vcc_lo, v209
	v_cmp_gt_i32_e32 vcc_lo, 0, v208
	v_and_b32_e32 v39, v39, v207
	v_ashrrev_i32_e32 v174, 31, v174
	v_xor_b32_e32 v207, s23, v210
	v_mad_u32_u24 v208, v40, 36, v136
	v_mul_u32_u24_e32 v40, 36, v40
	v_and_b32_e32 v39, v39, v209
	v_xor_b32_e32 v174, vcc_lo, v174
	ds_read_b32 v208, v208 offset:544
	v_and_b32_e32 v39, v39, v207
	; wave barrier
	v_and_b32_e32 v39, v39, v174
	v_add_nc_u32_e32 v174, v136, v40
	v_mbcnt_lo_u32_b32 v209, v39, 0
	v_cmp_ne_u32_e64 s23, 0, v39
	v_cmp_eq_u32_e32 vcc_lo, 0, v209
	s_and_b32 s24, s23, vcc_lo
	s_and_saveexec_b32 s23, s24
	s_cbranch_execz .LBB632_794
; %bb.793:                              ;   in Loop: Header=BB632_730 Depth=2
	s_waitcnt lgkmcnt(0)
	v_bcnt_u32_b32 v39, v39, v208
	ds_write_b32 v174, v39 offset:544
.LBB632_794:                            ;   in Loop: Header=BB632_730 Depth=2
	s_or_b32 exec_lo, exec_lo, s23
	v_xor_b32_e32 v207, 0x80000000, v169
	; wave barrier
	v_lshrrev_b32_e32 v39, s41, v207
	v_and_b32_e32 v40, s62, v39
	v_and_b32_e32 v39, 1, v40
	v_lshlrev_b32_e32 v169, 30, v40
	v_lshlrev_b32_e32 v210, 29, v40
	v_lshlrev_b32_e32 v212, 28, v40
	v_lshlrev_b32_e32 v213, 27, v40
	v_add_co_u32 v39, s23, v39, -1
	v_cndmask_b32_e64 v211, 0, 1, s23
	v_not_b32_e32 v215, v169
	v_cmp_gt_i32_e64 s23, 0, v169
	v_not_b32_e32 v169, v210
	v_lshlrev_b32_e32 v214, 26, v40
	v_cmp_ne_u32_e32 vcc_lo, 0, v211
	v_ashrrev_i32_e32 v215, 31, v215
	v_lshlrev_b32_e32 v211, 25, v40
	v_ashrrev_i32_e32 v169, 31, v169
	v_xor_b32_e32 v39, vcc_lo, v39
	v_cmp_gt_i32_e32 vcc_lo, 0, v210
	v_not_b32_e32 v210, v212
	v_xor_b32_e32 v215, s23, v215
	v_cmp_gt_i32_e64 s23, 0, v212
	v_and_b32_e32 v39, exec_lo, v39
	v_not_b32_e32 v212, v213
	v_ashrrev_i32_e32 v210, 31, v210
	v_xor_b32_e32 v169, vcc_lo, v169
	v_cmp_gt_i32_e32 vcc_lo, 0, v213
	v_and_b32_e32 v39, v39, v215
	v_not_b32_e32 v213, v214
	v_ashrrev_i32_e32 v212, 31, v212
	v_xor_b32_e32 v210, s23, v210
	v_cmp_gt_i32_e64 s23, 0, v214
	v_and_b32_e32 v39, v39, v169
	v_not_b32_e32 v169, v211
	v_ashrrev_i32_e32 v213, 31, v213
	v_xor_b32_e32 v212, vcc_lo, v212
	v_cmp_gt_i32_e32 vcc_lo, 0, v211
	v_and_b32_e32 v39, v39, v210
	v_ashrrev_i32_e32 v169, 31, v169
	v_xor_b32_e32 v210, s23, v213
	v_mad_u32_u24 v211, v40, 36, v136
	v_mul_u32_u24_e32 v40, 36, v40
	v_and_b32_e32 v39, v39, v212
	v_xor_b32_e32 v169, vcc_lo, v169
	ds_read_b32 v211, v211 offset:544
	v_and_b32_e32 v39, v39, v210
	; wave barrier
	v_and_b32_e32 v39, v39, v169
	v_add_nc_u32_e32 v169, v136, v40
	v_mbcnt_lo_u32_b32 v212, v39, 0
	v_cmp_ne_u32_e64 s23, 0, v39
	v_cmp_eq_u32_e32 vcc_lo, 0, v212
	s_and_b32 s24, s23, vcc_lo
	s_and_saveexec_b32 s23, s24
	s_cbranch_execz .LBB632_796
; %bb.795:                              ;   in Loop: Header=BB632_730 Depth=2
	s_waitcnt lgkmcnt(0)
	v_bcnt_u32_b32 v39, v39, v211
	ds_write_b32 v169, v39 offset:544
.LBB632_796:                            ;   in Loop: Header=BB632_730 Depth=2
	s_or_b32 exec_lo, exec_lo, s23
	v_xor_b32_e32 v210, 0x80000000, v42
	; wave barrier
	v_lshrrev_b32_e32 v39, s41, v210
	v_and_b32_e32 v40, s62, v39
	v_and_b32_e32 v39, 1, v40
	v_lshlrev_b32_e32 v42, 30, v40
	v_lshlrev_b32_e32 v213, 29, v40
	;; [unrolled: 1-line block ×4, first 2 shown]
	v_add_co_u32 v39, s23, v39, -1
	v_cndmask_b32_e64 v214, 0, 1, s23
	v_not_b32_e32 v218, v42
	v_cmp_gt_i32_e64 s23, 0, v42
	v_not_b32_e32 v42, v213
	v_lshlrev_b32_e32 v217, 26, v40
	v_cmp_ne_u32_e32 vcc_lo, 0, v214
	v_ashrrev_i32_e32 v218, 31, v218
	v_lshlrev_b32_e32 v214, 25, v40
	v_ashrrev_i32_e32 v42, 31, v42
	v_xor_b32_e32 v39, vcc_lo, v39
	v_cmp_gt_i32_e32 vcc_lo, 0, v213
	v_not_b32_e32 v213, v215
	v_xor_b32_e32 v218, s23, v218
	v_cmp_gt_i32_e64 s23, 0, v215
	v_and_b32_e32 v39, exec_lo, v39
	v_not_b32_e32 v215, v216
	v_ashrrev_i32_e32 v213, 31, v213
	v_xor_b32_e32 v42, vcc_lo, v42
	v_cmp_gt_i32_e32 vcc_lo, 0, v216
	v_and_b32_e32 v39, v39, v218
	v_not_b32_e32 v216, v217
	v_ashrrev_i32_e32 v215, 31, v215
	v_xor_b32_e32 v213, s23, v213
	v_cmp_gt_i32_e64 s23, 0, v217
	v_and_b32_e32 v39, v39, v42
	v_not_b32_e32 v42, v214
	v_ashrrev_i32_e32 v216, 31, v216
	v_xor_b32_e32 v215, vcc_lo, v215
	v_cmp_gt_i32_e32 vcc_lo, 0, v214
	v_and_b32_e32 v39, v39, v213
	v_ashrrev_i32_e32 v42, 31, v42
	v_xor_b32_e32 v213, s23, v216
	v_mad_u32_u24 v214, v40, 36, v136
	v_mul_u32_u24_e32 v40, 36, v40
	v_and_b32_e32 v39, v39, v215
	v_xor_b32_e32 v42, vcc_lo, v42
	ds_read_b32 v214, v214 offset:544
	v_add_nc_u32_e32 v216, v136, v40
	v_and_b32_e32 v39, v39, v213
	; wave barrier
	v_and_b32_e32 v39, v39, v42
	v_mbcnt_lo_u32_b32 v215, v39, 0
	v_cmp_ne_u32_e64 s23, 0, v39
	v_cmp_eq_u32_e32 vcc_lo, 0, v215
	s_and_b32 s24, s23, vcc_lo
	s_and_saveexec_b32 s23, s24
	s_cbranch_execz .LBB632_798
; %bb.797:                              ;   in Loop: Header=BB632_730 Depth=2
	s_waitcnt lgkmcnt(0)
	v_bcnt_u32_b32 v39, v39, v214
	ds_write_b32 v216, v39 offset:544
.LBB632_798:                            ;   in Loop: Header=BB632_730 Depth=2
	s_or_b32 exec_lo, exec_lo, s23
	v_xor_b32_e32 v213, 0x80000000, v41
	; wave barrier
	v_lshrrev_b32_e32 v39, s41, v213
	v_and_b32_e32 v40, s62, v39
	v_and_b32_e32 v39, 1, v40
	v_lshlrev_b32_e32 v41, 30, v40
	v_lshlrev_b32_e32 v42, 29, v40
	;; [unrolled: 1-line block ×4, first 2 shown]
	v_add_co_u32 v39, s23, v39, -1
	v_cndmask_b32_e64 v217, 0, 1, s23
	v_not_b32_e32 v221, v41
	v_cmp_gt_i32_e64 s23, 0, v41
	v_not_b32_e32 v41, v42
	v_lshlrev_b32_e32 v220, 26, v40
	v_cmp_ne_u32_e32 vcc_lo, 0, v217
	v_ashrrev_i32_e32 v221, 31, v221
	v_lshlrev_b32_e32 v217, 25, v40
	v_ashrrev_i32_e32 v41, 31, v41
	v_xor_b32_e32 v39, vcc_lo, v39
	v_cmp_gt_i32_e32 vcc_lo, 0, v42
	v_not_b32_e32 v42, v218
	v_xor_b32_e32 v221, s23, v221
	v_cmp_gt_i32_e64 s23, 0, v218
	v_and_b32_e32 v39, exec_lo, v39
	v_not_b32_e32 v218, v219
	v_ashrrev_i32_e32 v42, 31, v42
	v_xor_b32_e32 v41, vcc_lo, v41
	v_cmp_gt_i32_e32 vcc_lo, 0, v219
	v_and_b32_e32 v39, v39, v221
	v_not_b32_e32 v219, v220
	v_ashrrev_i32_e32 v218, 31, v218
	v_xor_b32_e32 v42, s23, v42
	v_cmp_gt_i32_e64 s23, 0, v220
	v_and_b32_e32 v39, v39, v41
	v_not_b32_e32 v41, v217
	v_ashrrev_i32_e32 v219, 31, v219
	v_xor_b32_e32 v218, vcc_lo, v218
	v_cmp_gt_i32_e32 vcc_lo, 0, v217
	v_and_b32_e32 v39, v39, v42
	v_ashrrev_i32_e32 v41, 31, v41
	v_xor_b32_e32 v42, s23, v219
	v_mad_u32_u24 v217, v40, 36, v136
	v_mul_u32_u24_e32 v40, 36, v40
	v_and_b32_e32 v39, v39, v218
	v_xor_b32_e32 v41, vcc_lo, v41
	ds_read_b32 v217, v217 offset:544
	v_add_nc_u32_e32 v219, v136, v40
	v_and_b32_e32 v39, v39, v42
	; wave barrier
	v_and_b32_e32 v39, v39, v41
	v_mbcnt_lo_u32_b32 v218, v39, 0
	v_cmp_ne_u32_e64 s23, 0, v39
	v_cmp_eq_u32_e32 vcc_lo, 0, v218
	s_and_b32 s24, s23, vcc_lo
	s_and_saveexec_b32 s23, s24
	s_cbranch_execz .LBB632_800
; %bb.799:                              ;   in Loop: Header=BB632_730 Depth=2
	s_waitcnt lgkmcnt(0)
	v_bcnt_u32_b32 v39, v39, v217
	ds_write_b32 v219, v39 offset:544
.LBB632_800:                            ;   in Loop: Header=BB632_730 Depth=2
	s_or_b32 exec_lo, exec_lo, s23
	v_lshrrev_b32_e32 v39, s41, v3
	; wave barrier
	v_and_b32_e32 v40, s62, v39
	v_and_b32_e32 v39, 1, v40
	v_lshlrev_b32_e32 v41, 30, v40
	v_lshlrev_b32_e32 v42, 29, v40
	v_lshlrev_b32_e32 v221, 28, v40
	v_lshlrev_b32_e32 v222, 27, v40
	v_add_co_u32 v39, s23, v39, -1
	v_cndmask_b32_e64 v220, 0, 1, s23
	v_not_b32_e32 v224, v41
	v_cmp_gt_i32_e64 s23, 0, v41
	v_not_b32_e32 v41, v42
	v_lshlrev_b32_e32 v223, 26, v40
	v_cmp_ne_u32_e32 vcc_lo, 0, v220
	v_ashrrev_i32_e32 v224, 31, v224
	v_lshlrev_b32_e32 v220, 25, v40
	v_ashrrev_i32_e32 v41, 31, v41
	v_xor_b32_e32 v39, vcc_lo, v39
	v_cmp_gt_i32_e32 vcc_lo, 0, v42
	v_not_b32_e32 v42, v221
	v_xor_b32_e32 v224, s23, v224
	v_cmp_gt_i32_e64 s23, 0, v221
	v_and_b32_e32 v39, exec_lo, v39
	v_not_b32_e32 v221, v222
	v_ashrrev_i32_e32 v42, 31, v42
	v_xor_b32_e32 v41, vcc_lo, v41
	v_cmp_gt_i32_e32 vcc_lo, 0, v222
	v_and_b32_e32 v39, v39, v224
	v_not_b32_e32 v222, v223
	v_ashrrev_i32_e32 v221, 31, v221
	v_xor_b32_e32 v42, s23, v42
	v_cmp_gt_i32_e64 s23, 0, v223
	v_and_b32_e32 v39, v39, v41
	v_not_b32_e32 v41, v220
	v_ashrrev_i32_e32 v222, 31, v222
	v_xor_b32_e32 v221, vcc_lo, v221
	v_cmp_gt_i32_e32 vcc_lo, 0, v220
	v_and_b32_e32 v39, v39, v42
	v_ashrrev_i32_e32 v41, 31, v41
	v_xor_b32_e32 v42, s23, v222
	v_mad_u32_u24 v220, v40, 36, v136
	v_mul_u32_u24_e32 v40, 36, v40
	v_and_b32_e32 v39, v39, v221
	v_xor_b32_e32 v41, vcc_lo, v41
	ds_read_b32 v220, v220 offset:544
	v_add_nc_u32_e32 v222, v136, v40
	v_and_b32_e32 v39, v39, v42
	; wave barrier
	v_and_b32_e32 v39, v39, v41
	v_mbcnt_lo_u32_b32 v221, v39, 0
	v_cmp_ne_u32_e64 s23, 0, v39
	v_cmp_eq_u32_e32 vcc_lo, 0, v221
	s_and_b32 s24, s23, vcc_lo
	s_and_saveexec_b32 s23, s24
	s_cbranch_execz .LBB632_802
; %bb.801:                              ;   in Loop: Header=BB632_730 Depth=2
	s_waitcnt lgkmcnt(0)
	v_bcnt_u32_b32 v39, v39, v220
	ds_write_b32 v222, v39 offset:544
.LBB632_802:                            ;   in Loop: Header=BB632_730 Depth=2
	s_or_b32 exec_lo, exec_lo, s23
	; wave barrier
	s_waitcnt lgkmcnt(0)
	s_barrier
	buffer_gl0_inv
	ds_read2_b32 v[41:42], v68 offset0:136 offset1:137
	ds_read2_b32 v[39:40], v68 offset0:138 offset1:139
	ds_read_b32 v223, v68 offset:560
	s_waitcnt lgkmcnt(1)
	v_add3_u32 v224, v42, v41, v39
	s_waitcnt lgkmcnt(0)
	v_add3_u32 v223, v224, v40, v223
	v_mov_b32_dpp v224, v223 row_shr:1 row_mask:0xf bank_mask:0xf
	v_cndmask_b32_e64 v224, v224, 0, s5
	v_add_nc_u32_e32 v223, v224, v223
	v_mov_b32_dpp v224, v223 row_shr:2 row_mask:0xf bank_mask:0xf
	v_cndmask_b32_e64 v224, 0, v224, s16
	v_add_nc_u32_e32 v223, v223, v224
	;; [unrolled: 3-line block ×4, first 2 shown]
	ds_swizzle_b32 v224, v223 offset:swizzle(BROADCAST,32,15)
	s_waitcnt lgkmcnt(0)
	v_cndmask_b32_e64 v224, v224, 0, s19
	v_add_nc_u32_e32 v223, v223, v224
	s_and_saveexec_b32 s23, s4
; %bb.803:                              ;   in Loop: Header=BB632_730 Depth=2
	ds_write_b32 v62, v223 offset:512
; %bb.804:                              ;   in Loop: Header=BB632_730 Depth=2
	s_or_b32 exec_lo, exec_lo, s23
	s_waitcnt lgkmcnt(0)
	s_barrier
	buffer_gl0_inv
	s_and_saveexec_b32 s23, s12
	s_cbranch_execz .LBB632_806
; %bb.805:                              ;   in Loop: Header=BB632_730 Depth=2
	ds_read_b32 v224, v69 offset:512
	s_waitcnt lgkmcnt(0)
	v_mov_b32_dpp v225, v224 row_shr:1 row_mask:0xf bank_mask:0xf
	v_cndmask_b32_e64 v225, v225, 0, s20
	v_add_nc_u32_e32 v224, v225, v224
	v_mov_b32_dpp v225, v224 row_shr:2 row_mask:0xf bank_mask:0xf
	v_cndmask_b32_e64 v225, 0, v225, s21
	v_add_nc_u32_e32 v224, v224, v225
	;; [unrolled: 3-line block ×3, first 2 shown]
	ds_write_b32 v69, v224 offset:512
.LBB632_806:                            ;   in Loop: Header=BB632_730 Depth=2
	s_or_b32 exec_lo, exec_lo, s23
	v_mov_b32_e32 v224, 0
	s_waitcnt lgkmcnt(0)
	s_barrier
	buffer_gl0_inv
	s_and_saveexec_b32 s23, s11
; %bb.807:                              ;   in Loop: Header=BB632_730 Depth=2
	ds_read_b32 v224, v62 offset:508
; %bb.808:                              ;   in Loop: Header=BB632_730 Depth=2
	s_or_b32 exec_lo, exec_lo, s23
	s_waitcnt lgkmcnt(0)
	v_add_nc_u32_e32 v223, v224, v223
	ds_bpermute_b32 v223, v131, v223
	s_waitcnt lgkmcnt(0)
	v_cndmask_b32_e64 v223, v223, v224, s15
	v_cndmask_b32_e64 v223, v223, 0, s13
	v_add_nc_u32_e32 v41, v223, v41
	v_add_nc_u32_e32 v42, v41, v42
	;; [unrolled: 1-line block ×4, first 2 shown]
	ds_write2_b32 v68, v223, v41 offset0:136 offset1:137
	ds_write2_b32 v68, v42, v39 offset0:138 offset1:139
	ds_write_b32 v68, v40 offset:560
	s_waitcnt lgkmcnt(0)
	s_barrier
	buffer_gl0_inv
	ds_read_b32 v41, v160 offset:544
	ds_read_b32 v42, v164 offset:544
	;; [unrolled: 1-line block ×17, first 2 shown]
	s_and_saveexec_b32 s23, s8
	s_cbranch_execz .LBB632_812
; %bb.809:                              ;   in Loop: Header=BB632_730 Depth=2
	ds_read_b32 v152, v71 offset:544
	v_mov_b32_e32 v155, 0x1100
	s_and_saveexec_b32 s24, s14
; %bb.810:                              ;   in Loop: Header=BB632_730 Depth=2
	ds_read_b32 v155, v70 offset:544
; %bb.811:                              ;   in Loop: Header=BB632_730 Depth=2
	s_or_b32 exec_lo, exec_lo, s24
	s_waitcnt lgkmcnt(0)
	v_sub_nc_u32_e32 v155, v155, v152
.LBB632_812:                            ;   in Loop: Header=BB632_730 Depth=2
	s_or_b32 exec_lo, exec_lo, s23
	s_waitcnt lgkmcnt(0)
	s_barrier
	buffer_gl0_inv
	s_and_saveexec_b32 s23, s8
	s_cbranch_execz .LBB632_814
; %bb.813:                              ;   in Loop: Header=BB632_730 Depth=2
	ds_read_b32 v169, v43
	s_waitcnt lgkmcnt(0)
	v_sub_nc_u32_e32 v169, v169, v152
	ds_write_b32 v43, v169
.LBB632_814:                            ;   in Loop: Header=BB632_730 Depth=2
	s_or_b32 exec_lo, exec_lo, s23
	v_add_nc_u32_e32 v179, v41, v159
	v_add3_u32 v178, v163, v162, v42
	v_add3_u32 v174, v167, v166, v164
	;; [unrolled: 1-line block ×5, first 2 shown]
	v_lshlrev_b32_e32 v176, 2, v179
	v_lshlrev_b32_e32 v177, 2, v178
	v_add3_u32 v162, v218, v217, v39
	v_lshlrev_b32_e32 v39, 2, v174
	v_add3_u32 v171, v182, v181, v184
	v_add3_u32 v168, v192, v191, v193
	;; [unrolled: 1-line block ×5, first 2 shown]
	ds_write_b32 v176, v157 offset:512
	ds_write_b32 v177, v158 offset:512
	v_lshlrev_b32_e32 v40, 2, v173
	ds_write_b32 v39, v161 offset:512
	v_lshlrev_b32_e32 v39, 2, v169
	v_add3_u32 v166, v198, v197, v199
	v_lshlrev_b32_e32 v157, 2, v172
	v_add3_u32 v164, v202, v201, v203
	v_lshlrev_b32_e32 v158, 2, v171
	v_add3_u32 v163, v206, v205, v224
	v_add3_u32 v42, v209, v208, v225
	ds_write_b32 v40, v165 offset:512
	ds_write_b32 v157, v170 offset:512
	;; [unrolled: 1-line block ×3, first 2 shown]
	v_lshlrev_b32_e32 v40, 2, v168
	ds_write_b32 v39, v180 offset:512
	v_lshlrev_b32_e32 v39, 2, v167
	v_lshlrev_b32_e32 v157, 2, v166
	;; [unrolled: 1-line block ×3, first 2 shown]
	v_add3_u32 v41, v212, v211, v226
	ds_write_b32 v40, v185 offset:512
	v_lshlrev_b32_e32 v40, 2, v163
	ds_write_b32 v39, v190 offset:512
	ds_write_b32 v157, v188 offset:512
	;; [unrolled: 1-line block ×3, first 2 shown]
	v_lshlrev_b32_e32 v39, 2, v42
	v_cmp_lt_u32_e32 vcc_lo, v0, v156
	v_lshlrev_b32_e32 v157, 2, v159
	ds_write_b32 v40, v200 offset:512
	v_lshlrev_b32_e32 v40, 2, v41
	ds_write_b32 v39, v204 offset:512
	v_lshlrev_b32_e32 v39, 2, v160
	v_lshlrev_b32_e32 v158, 2, v162
	ds_write_b32 v40, v207 offset:512
	ds_write_b32 v157, v210 offset:512
	;; [unrolled: 1-line block ×4, first 2 shown]
	s_waitcnt lgkmcnt(0)
	s_barrier
	buffer_gl0_inv
	s_and_saveexec_b32 s24, vcc_lo
	s_cbranch_execnz .LBB632_887
; %bb.815:                              ;   in Loop: Header=BB632_730 Depth=2
	s_or_b32 exec_lo, exec_lo, s24
	v_cmp_lt_u32_e64 s23, v44, v156
	s_and_saveexec_b32 s25, s23
	s_cbranch_execnz .LBB632_888
.LBB632_816:                            ;   in Loop: Header=BB632_730 Depth=2
	s_or_b32 exec_lo, exec_lo, s25
	v_cmp_lt_u32_e64 s24, v47, v156
	s_and_saveexec_b32 s26, s24
	s_cbranch_execnz .LBB632_889
.LBB632_817:                            ;   in Loop: Header=BB632_730 Depth=2
	s_or_b32 exec_lo, exec_lo, s26
	v_cmp_lt_u32_e64 s25, v48, v156
	s_and_saveexec_b32 s27, s25
	s_cbranch_execnz .LBB632_890
.LBB632_818:                            ;   in Loop: Header=BB632_730 Depth=2
	s_or_b32 exec_lo, exec_lo, s27
	v_cmp_lt_u32_e64 s26, v49, v156
	s_and_saveexec_b32 s28, s26
	s_cbranch_execnz .LBB632_891
.LBB632_819:                            ;   in Loop: Header=BB632_730 Depth=2
	s_or_b32 exec_lo, exec_lo, s28
	v_cmp_lt_u32_e64 s27, v50, v156
	s_and_saveexec_b32 s29, s27
	s_cbranch_execnz .LBB632_892
.LBB632_820:                            ;   in Loop: Header=BB632_730 Depth=2
	s_or_b32 exec_lo, exec_lo, s29
	v_cmp_lt_u32_e64 s28, v51, v156
	s_and_saveexec_b32 s30, s28
	s_cbranch_execnz .LBB632_893
.LBB632_821:                            ;   in Loop: Header=BB632_730 Depth=2
	s_or_b32 exec_lo, exec_lo, s30
	v_cmp_lt_u32_e64 s29, v52, v156
	s_and_saveexec_b32 s31, s29
	s_cbranch_execnz .LBB632_894
.LBB632_822:                            ;   in Loop: Header=BB632_730 Depth=2
	s_or_b32 exec_lo, exec_lo, s31
	v_cmp_lt_u32_e64 s30, v53, v156
	s_and_saveexec_b32 s33, s30
	s_cbranch_execnz .LBB632_895
.LBB632_823:                            ;   in Loop: Header=BB632_730 Depth=2
	s_or_b32 exec_lo, exec_lo, s33
	v_cmp_lt_u32_e64 s31, v54, v156
	s_and_saveexec_b32 s34, s31
	s_cbranch_execnz .LBB632_896
.LBB632_824:                            ;   in Loop: Header=BB632_730 Depth=2
	s_or_b32 exec_lo, exec_lo, s34
	v_cmp_lt_u32_e64 s33, v55, v156
	s_and_saveexec_b32 s35, s33
	s_cbranch_execnz .LBB632_897
.LBB632_825:                            ;   in Loop: Header=BB632_730 Depth=2
	s_or_b32 exec_lo, exec_lo, s35
	v_cmp_lt_u32_e64 s34, v56, v156
	s_and_saveexec_b32 s36, s34
	s_cbranch_execnz .LBB632_898
.LBB632_826:                            ;   in Loop: Header=BB632_730 Depth=2
	s_or_b32 exec_lo, exec_lo, s36
	v_cmp_lt_u32_e64 s35, v57, v156
	s_and_saveexec_b32 s37, s35
	s_cbranch_execnz .LBB632_899
.LBB632_827:                            ;   in Loop: Header=BB632_730 Depth=2
	s_or_b32 exec_lo, exec_lo, s37
	v_cmp_lt_u32_e64 s36, v58, v156
	s_and_saveexec_b32 s38, s36
	s_cbranch_execnz .LBB632_900
.LBB632_828:                            ;   in Loop: Header=BB632_730 Depth=2
	s_or_b32 exec_lo, exec_lo, s38
	v_cmp_lt_u32_e64 s37, v59, v156
	s_and_saveexec_b32 s39, s37
	s_cbranch_execnz .LBB632_901
.LBB632_829:                            ;   in Loop: Header=BB632_730 Depth=2
	s_or_b32 exec_lo, exec_lo, s39
	v_cmp_lt_u32_e64 s38, v60, v156
	s_and_saveexec_b32 s40, s38
	s_cbranch_execnz .LBB632_902
.LBB632_830:                            ;   in Loop: Header=BB632_730 Depth=2
	s_or_b32 exec_lo, exec_lo, s40
	v_cmp_lt_u32_e64 s39, v61, v156
	s_and_saveexec_b32 s65, s39
	s_cbranch_execz .LBB632_832
.LBB632_831:                            ;   in Loop: Header=BB632_730 Depth=2
	ds_read_b32 v157, v69 offset:16896
	s_waitcnt lgkmcnt(0)
	v_lshrrev_b32_e32 v3, s41, v157
	v_and_b32_e32 v3, s62, v3
	v_lshlrev_b32_e32 v3, 2, v3
	ds_read_b32 v3, v3
	s_waitcnt lgkmcnt(0)
	v_add_nc_u32_e32 v3, v3, v61
	v_lshlrev_b64 v[39:40], 2, v[3:4]
	v_xor_b32_e32 v3, 0x80000000, v157
	v_add_co_u32 v39, s40, s46, v39
	v_add_co_ci_u32_e64 v40, null, s47, v40, s40
	global_store_dword v[39:40], v3, off
.LBB632_832:                            ;   in Loop: Header=BB632_730 Depth=2
	s_or_b32 exec_lo, exec_lo, s65
	s_lshl_b64 s[66:67], s[50:51], 3
	v_add_co_u32 v39, s40, v132, s66
	v_add_co_ci_u32_e64 v40, null, s67, v133, s40
	v_cmp_lt_u32_e64 s40, v109, v156
	s_and_saveexec_b32 s50, s40
	s_xor_b32 s40, exec_lo, s50
	s_cbranch_execnz .LBB632_903
; %bb.833:                              ;   in Loop: Header=BB632_730 Depth=2
	s_or_b32 exec_lo, exec_lo, s40
	s_mov_b32 s50, exec_lo
	v_cmpx_lt_u32_e64 v112, v156
	s_cbranch_execnz .LBB632_904
.LBB632_834:                            ;   in Loop: Header=BB632_730 Depth=2
	s_or_b32 exec_lo, exec_lo, s50
	s_mov_b32 s50, exec_lo
	v_cmpx_lt_u32_e64 v113, v156
	s_cbranch_execnz .LBB632_905
.LBB632_835:                            ;   in Loop: Header=BB632_730 Depth=2
	s_or_b32 exec_lo, exec_lo, s50
	s_mov_b32 s50, exec_lo
	v_cmpx_lt_u32_e64 v114, v156
	s_cbranch_execnz .LBB632_906
.LBB632_836:                            ;   in Loop: Header=BB632_730 Depth=2
	s_or_b32 exec_lo, exec_lo, s50
	s_mov_b32 s50, exec_lo
	v_cmpx_lt_u32_e64 v115, v156
	s_cbranch_execnz .LBB632_907
.LBB632_837:                            ;   in Loop: Header=BB632_730 Depth=2
	s_or_b32 exec_lo, exec_lo, s50
	s_mov_b32 s50, exec_lo
	v_cmpx_lt_u32_e64 v116, v156
	s_cbranch_execnz .LBB632_908
.LBB632_838:                            ;   in Loop: Header=BB632_730 Depth=2
	s_or_b32 exec_lo, exec_lo, s50
	s_mov_b32 s50, exec_lo
	v_cmpx_lt_u32_e64 v117, v156
	s_cbranch_execnz .LBB632_909
.LBB632_839:                            ;   in Loop: Header=BB632_730 Depth=2
	s_or_b32 exec_lo, exec_lo, s50
	s_mov_b32 s50, exec_lo
	v_cmpx_lt_u32_e64 v118, v156
	s_cbranch_execnz .LBB632_910
.LBB632_840:                            ;   in Loop: Header=BB632_730 Depth=2
	s_or_b32 exec_lo, exec_lo, s50
	s_mov_b32 s50, exec_lo
	v_cmpx_lt_u32_e64 v119, v156
	s_cbranch_execnz .LBB632_911
.LBB632_841:                            ;   in Loop: Header=BB632_730 Depth=2
	s_or_b32 exec_lo, exec_lo, s50
	s_mov_b32 s50, exec_lo
	v_cmpx_lt_u32_e64 v120, v156
	s_cbranch_execnz .LBB632_912
.LBB632_842:                            ;   in Loop: Header=BB632_730 Depth=2
	s_or_b32 exec_lo, exec_lo, s50
	s_mov_b32 s50, exec_lo
	v_cmpx_lt_u32_e64 v121, v156
	s_cbranch_execnz .LBB632_913
.LBB632_843:                            ;   in Loop: Header=BB632_730 Depth=2
	s_or_b32 exec_lo, exec_lo, s50
	s_mov_b32 s50, exec_lo
	v_cmpx_lt_u32_e64 v122, v156
	s_cbranch_execnz .LBB632_914
.LBB632_844:                            ;   in Loop: Header=BB632_730 Depth=2
	s_or_b32 exec_lo, exec_lo, s50
	s_mov_b32 s50, exec_lo
	v_cmpx_lt_u32_e64 v123, v156
	s_cbranch_execnz .LBB632_915
.LBB632_845:                            ;   in Loop: Header=BB632_730 Depth=2
	s_or_b32 exec_lo, exec_lo, s50
	s_mov_b32 s50, exec_lo
	v_cmpx_lt_u32_e64 v124, v156
	s_cbranch_execnz .LBB632_916
.LBB632_846:                            ;   in Loop: Header=BB632_730 Depth=2
	s_or_b32 exec_lo, exec_lo, s50
	s_mov_b32 s50, exec_lo
	v_cmpx_lt_u32_e64 v126, v156
	s_cbranch_execnz .LBB632_917
.LBB632_847:                            ;   in Loop: Header=BB632_730 Depth=2
	s_or_b32 exec_lo, exec_lo, s50
	s_mov_b32 s50, exec_lo
	v_cmpx_lt_u32_e64 v127, v156
	s_cbranch_execnz .LBB632_918
.LBB632_848:                            ;   in Loop: Header=BB632_730 Depth=2
	s_or_b32 exec_lo, exec_lo, s50
	s_mov_b32 s50, exec_lo
	v_cmpx_lt_u32_e64 v128, v156
	s_cbranch_execnz .LBB632_919
.LBB632_849:                            ;   in Loop: Header=BB632_730 Depth=2
	s_or_b32 exec_lo, exec_lo, s50
	s_and_saveexec_b32 s40, vcc_lo
	s_cbranch_execnz .LBB632_920
.LBB632_850:                            ;   in Loop: Header=BB632_730 Depth=2
	s_or_b32 exec_lo, exec_lo, s40
	s_and_saveexec_b32 s40, s23
	s_cbranch_execnz .LBB632_921
.LBB632_851:                            ;   in Loop: Header=BB632_730 Depth=2
	s_or_b32 exec_lo, exec_lo, s40
	s_and_saveexec_b32 s40, s24
	s_cbranch_execnz .LBB632_922
.LBB632_852:                            ;   in Loop: Header=BB632_730 Depth=2
	s_or_b32 exec_lo, exec_lo, s40
	s_and_saveexec_b32 s40, s25
	s_cbranch_execnz .LBB632_923
.LBB632_853:                            ;   in Loop: Header=BB632_730 Depth=2
	s_or_b32 exec_lo, exec_lo, s40
	s_and_saveexec_b32 s40, s26
	s_cbranch_execnz .LBB632_924
.LBB632_854:                            ;   in Loop: Header=BB632_730 Depth=2
	s_or_b32 exec_lo, exec_lo, s40
	s_and_saveexec_b32 s40, s27
	s_cbranch_execnz .LBB632_925
.LBB632_855:                            ;   in Loop: Header=BB632_730 Depth=2
	s_or_b32 exec_lo, exec_lo, s40
	s_and_saveexec_b32 s40, s28
	s_cbranch_execnz .LBB632_926
.LBB632_856:                            ;   in Loop: Header=BB632_730 Depth=2
	s_or_b32 exec_lo, exec_lo, s40
	s_and_saveexec_b32 s40, s29
	s_cbranch_execnz .LBB632_927
.LBB632_857:                            ;   in Loop: Header=BB632_730 Depth=2
	s_or_b32 exec_lo, exec_lo, s40
	s_and_saveexec_b32 s40, s30
	s_cbranch_execnz .LBB632_928
.LBB632_858:                            ;   in Loop: Header=BB632_730 Depth=2
	s_or_b32 exec_lo, exec_lo, s40
	s_and_saveexec_b32 s40, s31
	s_cbranch_execnz .LBB632_929
.LBB632_859:                            ;   in Loop: Header=BB632_730 Depth=2
	s_or_b32 exec_lo, exec_lo, s40
	s_and_saveexec_b32 s40, s33
	s_cbranch_execnz .LBB632_930
.LBB632_860:                            ;   in Loop: Header=BB632_730 Depth=2
	s_or_b32 exec_lo, exec_lo, s40
	s_and_saveexec_b32 s40, s34
	s_cbranch_execnz .LBB632_931
.LBB632_861:                            ;   in Loop: Header=BB632_730 Depth=2
	s_or_b32 exec_lo, exec_lo, s40
	s_and_saveexec_b32 s40, s35
	s_cbranch_execnz .LBB632_932
.LBB632_862:                            ;   in Loop: Header=BB632_730 Depth=2
	s_or_b32 exec_lo, exec_lo, s40
	s_and_saveexec_b32 s40, s36
	s_cbranch_execnz .LBB632_933
.LBB632_863:                            ;   in Loop: Header=BB632_730 Depth=2
	s_or_b32 exec_lo, exec_lo, s40
	s_and_saveexec_b32 s40, s37
	s_cbranch_execnz .LBB632_934
.LBB632_864:                            ;   in Loop: Header=BB632_730 Depth=2
	s_or_b32 exec_lo, exec_lo, s40
	s_and_saveexec_b32 s40, s38
	s_cbranch_execnz .LBB632_935
.LBB632_865:                            ;   in Loop: Header=BB632_730 Depth=2
	s_or_b32 exec_lo, exec_lo, s40
	s_and_saveexec_b32 s40, s39
	s_cbranch_execz .LBB632_867
.LBB632_866:                            ;   in Loop: Header=BB632_730 Depth=2
	ds_read_b32 v3, v69 offset:16896
	s_waitcnt lgkmcnt(0)
	v_lshrrev_b32_e32 v3, s41, v3
	v_and_b32_e32 v137, s62, v3
.LBB632_867:                            ;   in Loop: Header=BB632_730 Depth=2
	s_or_b32 exec_lo, exec_lo, s40
	v_lshlrev_b32_e32 v3, 3, v179
	v_lshlrev_b32_e32 v39, 3, v178
	s_waitcnt vmcnt(0)
	s_waitcnt_vscnt null, 0x0
	s_barrier
	buffer_gl0_inv
	ds_write_b64 v3, v[37:38] offset:512
	ds_write_b64 v39, v[35:36] offset:512
	v_lshlrev_b32_e32 v3, 3, v174
	v_lshlrev_b32_e32 v39, 3, v173
	v_lshlrev_b32_e32 v40, 3, v172
	v_lshlrev_b32_e32 v156, 3, v171
	v_lshlrev_b32_e32 v157, 3, v169
	ds_write_b64 v3, v[33:34] offset:512
	ds_write_b64 v39, v[31:32] offset:512
	ds_write_b64 v40, v[29:30] offset:512
	ds_write_b64 v156, v[25:26] offset:512
	ds_write_b64 v157, v[21:22] offset:512
	v_lshlrev_b32_e32 v3, 3, v168
	v_lshlrev_b32_e32 v39, 3, v167
	v_lshlrev_b32_e32 v40, 3, v166
	v_lshlrev_b32_e32 v156, 3, v164
	v_lshlrev_b32_e32 v157, 3, v163
	ds_write_b64 v3, v[17:18] offset:512
	ds_write_b64 v39, v[27:28] offset:512
	ds_write_b64 v40, v[23:24] offset:512
	;; [unrolled: 10-line block ×3, first 2 shown]
	ds_write_b64 v41, v[7:8] offset:512
	ds_write_b64 v42, v[5:6] offset:512
	s_waitcnt lgkmcnt(0)
	s_barrier
	buffer_gl0_inv
	s_and_saveexec_b32 s40, vcc_lo
	s_cbranch_execnz .LBB632_936
; %bb.868:                              ;   in Loop: Header=BB632_730 Depth=2
	s_or_b32 exec_lo, exec_lo, s40
	s_and_saveexec_b32 s40, s23
	s_cbranch_execnz .LBB632_937
.LBB632_869:                            ;   in Loop: Header=BB632_730 Depth=2
	s_or_b32 exec_lo, exec_lo, s40
	s_and_saveexec_b32 s23, s24
	s_cbranch_execnz .LBB632_938
.LBB632_870:                            ;   in Loop: Header=BB632_730 Depth=2
	s_or_b32 exec_lo, exec_lo, s23
	s_and_saveexec_b32 s23, s25
	s_cbranch_execnz .LBB632_939
.LBB632_871:                            ;   in Loop: Header=BB632_730 Depth=2
	s_or_b32 exec_lo, exec_lo, s23
	s_and_saveexec_b32 s23, s26
	s_cbranch_execnz .LBB632_940
.LBB632_872:                            ;   in Loop: Header=BB632_730 Depth=2
	s_or_b32 exec_lo, exec_lo, s23
	s_and_saveexec_b32 s23, s27
	s_cbranch_execnz .LBB632_941
.LBB632_873:                            ;   in Loop: Header=BB632_730 Depth=2
	s_or_b32 exec_lo, exec_lo, s23
	s_and_saveexec_b32 s23, s28
	s_cbranch_execnz .LBB632_942
.LBB632_874:                            ;   in Loop: Header=BB632_730 Depth=2
	s_or_b32 exec_lo, exec_lo, s23
	s_and_saveexec_b32 s23, s29
	s_cbranch_execnz .LBB632_943
.LBB632_875:                            ;   in Loop: Header=BB632_730 Depth=2
	s_or_b32 exec_lo, exec_lo, s23
	s_and_saveexec_b32 s23, s30
	s_cbranch_execnz .LBB632_944
.LBB632_876:                            ;   in Loop: Header=BB632_730 Depth=2
	s_or_b32 exec_lo, exec_lo, s23
	s_and_saveexec_b32 s23, s31
	s_cbranch_execnz .LBB632_945
.LBB632_877:                            ;   in Loop: Header=BB632_730 Depth=2
	s_or_b32 exec_lo, exec_lo, s23
	s_and_saveexec_b32 s23, s33
	s_cbranch_execnz .LBB632_946
.LBB632_878:                            ;   in Loop: Header=BB632_730 Depth=2
	s_or_b32 exec_lo, exec_lo, s23
	s_and_saveexec_b32 s23, s34
	s_cbranch_execnz .LBB632_947
.LBB632_879:                            ;   in Loop: Header=BB632_730 Depth=2
	s_or_b32 exec_lo, exec_lo, s23
	s_and_saveexec_b32 s23, s35
	s_cbranch_execnz .LBB632_948
.LBB632_880:                            ;   in Loop: Header=BB632_730 Depth=2
	s_or_b32 exec_lo, exec_lo, s23
	s_and_saveexec_b32 s23, s36
	s_cbranch_execnz .LBB632_949
.LBB632_881:                            ;   in Loop: Header=BB632_730 Depth=2
	s_or_b32 exec_lo, exec_lo, s23
	s_and_saveexec_b32 s23, s37
	s_cbranch_execnz .LBB632_950
.LBB632_882:                            ;   in Loop: Header=BB632_730 Depth=2
	s_or_b32 exec_lo, exec_lo, s23
	s_and_saveexec_b32 s23, s38
	s_cbranch_execnz .LBB632_951
.LBB632_883:                            ;   in Loop: Header=BB632_730 Depth=2
	s_or_b32 exec_lo, exec_lo, s23
	s_and_saveexec_b32 s23, s39
	s_cbranch_execz .LBB632_885
.LBB632_884:                            ;   in Loop: Header=BB632_730 Depth=2
	v_lshlrev_b32_e32 v3, 2, v137
	v_add_nc_u32_e32 v39, v69, v43
	ds_read_b32 v3, v3
	ds_read_b64 v[39:40], v39 offset:33280
	s_waitcnt lgkmcnt(1)
	v_add_nc_u32_e32 v3, v3, v61
	v_lshlrev_b64 v[41:42], 3, v[3:4]
	v_add_co_u32 v41, vcc_lo, s52, v41
	v_add_co_ci_u32_e64 v42, null, s53, v42, vcc_lo
	s_waitcnt lgkmcnt(0)
	global_store_dwordx2 v[41:42], v[39:40], off
.LBB632_885:                            ;   in Loop: Header=BB632_730 Depth=2
	s_or_b32 exec_lo, exec_lo, s23
	s_waitcnt_vscnt null, 0x0
	s_barrier
	buffer_gl0_inv
	s_and_saveexec_b32 s23, s8
	s_cbranch_execz .LBB632_729
; %bb.886:                              ;   in Loop: Header=BB632_730 Depth=2
	ds_read_b32 v3, v43
	s_waitcnt lgkmcnt(0)
	v_add3_u32 v3, v152, v155, v3
	ds_write_b32 v43, v3
	s_branch .LBB632_729
.LBB632_887:                            ;   in Loop: Header=BB632_730 Depth=2
	ds_read_b32 v157, v69 offset:512
	s_waitcnt lgkmcnt(0)
	v_lshrrev_b32_e32 v3, s41, v157
	v_and_b32_e32 v3, s62, v3
	v_lshlrev_b32_e32 v3, 2, v3
	ds_read_b32 v3, v3
	s_waitcnt lgkmcnt(0)
	v_add_nc_u32_e32 v3, v3, v0
	v_lshlrev_b64 v[39:40], 2, v[3:4]
	v_xor_b32_e32 v3, 0x80000000, v157
	v_add_co_u32 v39, s23, s46, v39
	v_add_co_ci_u32_e64 v40, null, s47, v40, s23
	global_store_dword v[39:40], v3, off
	s_or_b32 exec_lo, exec_lo, s24
	v_cmp_lt_u32_e64 s23, v44, v156
	s_and_saveexec_b32 s25, s23
	s_cbranch_execz .LBB632_816
.LBB632_888:                            ;   in Loop: Header=BB632_730 Depth=2
	ds_read_b32 v157, v69 offset:1536
	s_waitcnt lgkmcnt(0)
	v_lshrrev_b32_e32 v3, s41, v157
	v_and_b32_e32 v3, s62, v3
	v_lshlrev_b32_e32 v3, 2, v3
	ds_read_b32 v3, v3
	s_waitcnt lgkmcnt(0)
	v_add_nc_u32_e32 v3, v3, v44
	v_lshlrev_b64 v[39:40], 2, v[3:4]
	v_xor_b32_e32 v3, 0x80000000, v157
	v_add_co_u32 v39, s24, s46, v39
	v_add_co_ci_u32_e64 v40, null, s47, v40, s24
	global_store_dword v[39:40], v3, off
	s_or_b32 exec_lo, exec_lo, s25
	v_cmp_lt_u32_e64 s24, v47, v156
	s_and_saveexec_b32 s26, s24
	s_cbranch_execz .LBB632_817
.LBB632_889:                            ;   in Loop: Header=BB632_730 Depth=2
	ds_read_b32 v157, v69 offset:2560
	s_waitcnt lgkmcnt(0)
	v_lshrrev_b32_e32 v3, s41, v157
	v_and_b32_e32 v3, s62, v3
	v_lshlrev_b32_e32 v3, 2, v3
	ds_read_b32 v3, v3
	s_waitcnt lgkmcnt(0)
	v_add_nc_u32_e32 v3, v3, v47
	v_lshlrev_b64 v[39:40], 2, v[3:4]
	v_xor_b32_e32 v3, 0x80000000, v157
	v_add_co_u32 v39, s25, s46, v39
	v_add_co_ci_u32_e64 v40, null, s47, v40, s25
	global_store_dword v[39:40], v3, off
	s_or_b32 exec_lo, exec_lo, s26
	v_cmp_lt_u32_e64 s25, v48, v156
	s_and_saveexec_b32 s27, s25
	s_cbranch_execz .LBB632_818
.LBB632_890:                            ;   in Loop: Header=BB632_730 Depth=2
	ds_read_b32 v157, v69 offset:3584
	s_waitcnt lgkmcnt(0)
	v_lshrrev_b32_e32 v3, s41, v157
	v_and_b32_e32 v3, s62, v3
	v_lshlrev_b32_e32 v3, 2, v3
	ds_read_b32 v3, v3
	s_waitcnt lgkmcnt(0)
	v_add_nc_u32_e32 v3, v3, v48
	v_lshlrev_b64 v[39:40], 2, v[3:4]
	v_xor_b32_e32 v3, 0x80000000, v157
	v_add_co_u32 v39, s26, s46, v39
	v_add_co_ci_u32_e64 v40, null, s47, v40, s26
	global_store_dword v[39:40], v3, off
	s_or_b32 exec_lo, exec_lo, s27
	v_cmp_lt_u32_e64 s26, v49, v156
	s_and_saveexec_b32 s28, s26
	s_cbranch_execz .LBB632_819
.LBB632_891:                            ;   in Loop: Header=BB632_730 Depth=2
	ds_read_b32 v157, v69 offset:4608
	s_waitcnt lgkmcnt(0)
	v_lshrrev_b32_e32 v3, s41, v157
	v_and_b32_e32 v3, s62, v3
	v_lshlrev_b32_e32 v3, 2, v3
	ds_read_b32 v3, v3
	s_waitcnt lgkmcnt(0)
	v_add_nc_u32_e32 v3, v3, v49
	v_lshlrev_b64 v[39:40], 2, v[3:4]
	v_xor_b32_e32 v3, 0x80000000, v157
	v_add_co_u32 v39, s27, s46, v39
	v_add_co_ci_u32_e64 v40, null, s47, v40, s27
	global_store_dword v[39:40], v3, off
	s_or_b32 exec_lo, exec_lo, s28
	v_cmp_lt_u32_e64 s27, v50, v156
	s_and_saveexec_b32 s29, s27
	s_cbranch_execz .LBB632_820
.LBB632_892:                            ;   in Loop: Header=BB632_730 Depth=2
	ds_read_b32 v157, v69 offset:5632
	s_waitcnt lgkmcnt(0)
	v_lshrrev_b32_e32 v3, s41, v157
	v_and_b32_e32 v3, s62, v3
	v_lshlrev_b32_e32 v3, 2, v3
	ds_read_b32 v3, v3
	s_waitcnt lgkmcnt(0)
	v_add_nc_u32_e32 v3, v3, v50
	v_lshlrev_b64 v[39:40], 2, v[3:4]
	v_xor_b32_e32 v3, 0x80000000, v157
	v_add_co_u32 v39, s28, s46, v39
	v_add_co_ci_u32_e64 v40, null, s47, v40, s28
	global_store_dword v[39:40], v3, off
	s_or_b32 exec_lo, exec_lo, s29
	v_cmp_lt_u32_e64 s28, v51, v156
	s_and_saveexec_b32 s30, s28
	s_cbranch_execz .LBB632_821
.LBB632_893:                            ;   in Loop: Header=BB632_730 Depth=2
	ds_read_b32 v157, v69 offset:6656
	s_waitcnt lgkmcnt(0)
	v_lshrrev_b32_e32 v3, s41, v157
	v_and_b32_e32 v3, s62, v3
	v_lshlrev_b32_e32 v3, 2, v3
	ds_read_b32 v3, v3
	s_waitcnt lgkmcnt(0)
	v_add_nc_u32_e32 v3, v3, v51
	v_lshlrev_b64 v[39:40], 2, v[3:4]
	v_xor_b32_e32 v3, 0x80000000, v157
	v_add_co_u32 v39, s29, s46, v39
	v_add_co_ci_u32_e64 v40, null, s47, v40, s29
	global_store_dword v[39:40], v3, off
	s_or_b32 exec_lo, exec_lo, s30
	v_cmp_lt_u32_e64 s29, v52, v156
	s_and_saveexec_b32 s31, s29
	s_cbranch_execz .LBB632_822
.LBB632_894:                            ;   in Loop: Header=BB632_730 Depth=2
	ds_read_b32 v157, v69 offset:7680
	s_waitcnt lgkmcnt(0)
	v_lshrrev_b32_e32 v3, s41, v157
	v_and_b32_e32 v3, s62, v3
	v_lshlrev_b32_e32 v3, 2, v3
	ds_read_b32 v3, v3
	s_waitcnt lgkmcnt(0)
	v_add_nc_u32_e32 v3, v3, v52
	v_lshlrev_b64 v[39:40], 2, v[3:4]
	v_xor_b32_e32 v3, 0x80000000, v157
	v_add_co_u32 v39, s30, s46, v39
	v_add_co_ci_u32_e64 v40, null, s47, v40, s30
	global_store_dword v[39:40], v3, off
	s_or_b32 exec_lo, exec_lo, s31
	v_cmp_lt_u32_e64 s30, v53, v156
	s_and_saveexec_b32 s33, s30
	s_cbranch_execz .LBB632_823
.LBB632_895:                            ;   in Loop: Header=BB632_730 Depth=2
	ds_read_b32 v157, v69 offset:8704
	s_waitcnt lgkmcnt(0)
	v_lshrrev_b32_e32 v3, s41, v157
	v_and_b32_e32 v3, s62, v3
	v_lshlrev_b32_e32 v3, 2, v3
	ds_read_b32 v3, v3
	s_waitcnt lgkmcnt(0)
	v_add_nc_u32_e32 v3, v3, v53
	v_lshlrev_b64 v[39:40], 2, v[3:4]
	v_xor_b32_e32 v3, 0x80000000, v157
	v_add_co_u32 v39, s31, s46, v39
	v_add_co_ci_u32_e64 v40, null, s47, v40, s31
	global_store_dword v[39:40], v3, off
	s_or_b32 exec_lo, exec_lo, s33
	v_cmp_lt_u32_e64 s31, v54, v156
	s_and_saveexec_b32 s34, s31
	s_cbranch_execz .LBB632_824
.LBB632_896:                            ;   in Loop: Header=BB632_730 Depth=2
	ds_read_b32 v157, v69 offset:9728
	s_waitcnt lgkmcnt(0)
	v_lshrrev_b32_e32 v3, s41, v157
	v_and_b32_e32 v3, s62, v3
	v_lshlrev_b32_e32 v3, 2, v3
	ds_read_b32 v3, v3
	s_waitcnt lgkmcnt(0)
	v_add_nc_u32_e32 v3, v3, v54
	v_lshlrev_b64 v[39:40], 2, v[3:4]
	v_xor_b32_e32 v3, 0x80000000, v157
	v_add_co_u32 v39, s33, s46, v39
	v_add_co_ci_u32_e64 v40, null, s47, v40, s33
	global_store_dword v[39:40], v3, off
	s_or_b32 exec_lo, exec_lo, s34
	v_cmp_lt_u32_e64 s33, v55, v156
	s_and_saveexec_b32 s35, s33
	s_cbranch_execz .LBB632_825
.LBB632_897:                            ;   in Loop: Header=BB632_730 Depth=2
	ds_read_b32 v157, v69 offset:10752
	s_waitcnt lgkmcnt(0)
	v_lshrrev_b32_e32 v3, s41, v157
	v_and_b32_e32 v3, s62, v3
	v_lshlrev_b32_e32 v3, 2, v3
	ds_read_b32 v3, v3
	s_waitcnt lgkmcnt(0)
	v_add_nc_u32_e32 v3, v3, v55
	v_lshlrev_b64 v[39:40], 2, v[3:4]
	v_xor_b32_e32 v3, 0x80000000, v157
	v_add_co_u32 v39, s34, s46, v39
	v_add_co_ci_u32_e64 v40, null, s47, v40, s34
	global_store_dword v[39:40], v3, off
	s_or_b32 exec_lo, exec_lo, s35
	v_cmp_lt_u32_e64 s34, v56, v156
	s_and_saveexec_b32 s36, s34
	s_cbranch_execz .LBB632_826
.LBB632_898:                            ;   in Loop: Header=BB632_730 Depth=2
	ds_read_b32 v157, v69 offset:11776
	s_waitcnt lgkmcnt(0)
	v_lshrrev_b32_e32 v3, s41, v157
	v_and_b32_e32 v3, s62, v3
	v_lshlrev_b32_e32 v3, 2, v3
	ds_read_b32 v3, v3
	s_waitcnt lgkmcnt(0)
	v_add_nc_u32_e32 v3, v3, v56
	v_lshlrev_b64 v[39:40], 2, v[3:4]
	v_xor_b32_e32 v3, 0x80000000, v157
	v_add_co_u32 v39, s35, s46, v39
	v_add_co_ci_u32_e64 v40, null, s47, v40, s35
	global_store_dword v[39:40], v3, off
	s_or_b32 exec_lo, exec_lo, s36
	v_cmp_lt_u32_e64 s35, v57, v156
	s_and_saveexec_b32 s37, s35
	s_cbranch_execz .LBB632_827
.LBB632_899:                            ;   in Loop: Header=BB632_730 Depth=2
	ds_read_b32 v157, v69 offset:12800
	s_waitcnt lgkmcnt(0)
	v_lshrrev_b32_e32 v3, s41, v157
	v_and_b32_e32 v3, s62, v3
	v_lshlrev_b32_e32 v3, 2, v3
	ds_read_b32 v3, v3
	s_waitcnt lgkmcnt(0)
	v_add_nc_u32_e32 v3, v3, v57
	v_lshlrev_b64 v[39:40], 2, v[3:4]
	v_xor_b32_e32 v3, 0x80000000, v157
	v_add_co_u32 v39, s36, s46, v39
	v_add_co_ci_u32_e64 v40, null, s47, v40, s36
	global_store_dword v[39:40], v3, off
	s_or_b32 exec_lo, exec_lo, s37
	v_cmp_lt_u32_e64 s36, v58, v156
	s_and_saveexec_b32 s38, s36
	s_cbranch_execz .LBB632_828
.LBB632_900:                            ;   in Loop: Header=BB632_730 Depth=2
	ds_read_b32 v157, v69 offset:13824
	s_waitcnt lgkmcnt(0)
	v_lshrrev_b32_e32 v3, s41, v157
	v_and_b32_e32 v3, s62, v3
	v_lshlrev_b32_e32 v3, 2, v3
	ds_read_b32 v3, v3
	s_waitcnt lgkmcnt(0)
	v_add_nc_u32_e32 v3, v3, v58
	v_lshlrev_b64 v[39:40], 2, v[3:4]
	v_xor_b32_e32 v3, 0x80000000, v157
	v_add_co_u32 v39, s37, s46, v39
	v_add_co_ci_u32_e64 v40, null, s47, v40, s37
	global_store_dword v[39:40], v3, off
	s_or_b32 exec_lo, exec_lo, s38
	v_cmp_lt_u32_e64 s37, v59, v156
	s_and_saveexec_b32 s39, s37
	s_cbranch_execz .LBB632_829
.LBB632_901:                            ;   in Loop: Header=BB632_730 Depth=2
	ds_read_b32 v157, v69 offset:14848
	s_waitcnt lgkmcnt(0)
	v_lshrrev_b32_e32 v3, s41, v157
	v_and_b32_e32 v3, s62, v3
	v_lshlrev_b32_e32 v3, 2, v3
	ds_read_b32 v3, v3
	s_waitcnt lgkmcnt(0)
	v_add_nc_u32_e32 v3, v3, v59
	v_lshlrev_b64 v[39:40], 2, v[3:4]
	v_xor_b32_e32 v3, 0x80000000, v157
	v_add_co_u32 v39, s38, s46, v39
	v_add_co_ci_u32_e64 v40, null, s47, v40, s38
	global_store_dword v[39:40], v3, off
	s_or_b32 exec_lo, exec_lo, s39
	v_cmp_lt_u32_e64 s38, v60, v156
	s_and_saveexec_b32 s40, s38
	s_cbranch_execz .LBB632_830
.LBB632_902:                            ;   in Loop: Header=BB632_730 Depth=2
	ds_read_b32 v157, v69 offset:15872
	s_waitcnt lgkmcnt(0)
	v_lshrrev_b32_e32 v3, s41, v157
	v_and_b32_e32 v3, s62, v3
	v_lshlrev_b32_e32 v3, 2, v3
	ds_read_b32 v3, v3
	s_waitcnt lgkmcnt(0)
	v_add_nc_u32_e32 v3, v3, v60
	v_lshlrev_b64 v[39:40], 2, v[3:4]
	v_xor_b32_e32 v3, 0x80000000, v157
	v_add_co_u32 v39, s39, s46, v39
	v_add_co_ci_u32_e64 v40, null, s47, v40, s39
	global_store_dword v[39:40], v3, off
	s_or_b32 exec_lo, exec_lo, s40
	v_cmp_lt_u32_e64 s39, v61, v156
	s_and_saveexec_b32 s65, s39
	s_cbranch_execnz .LBB632_831
	s_branch .LBB632_832
.LBB632_903:                            ;   in Loop: Header=BB632_730 Depth=2
	global_load_dwordx2 v[37:38], v[39:40], off
	s_or_b32 exec_lo, exec_lo, s40
	s_mov_b32 s50, exec_lo
	v_cmpx_lt_u32_e64 v112, v156
	s_cbranch_execz .LBB632_834
.LBB632_904:                            ;   in Loop: Header=BB632_730 Depth=2
	global_load_dwordx2 v[35:36], v[39:40], off offset:256
	s_or_b32 exec_lo, exec_lo, s50
	s_mov_b32 s50, exec_lo
	v_cmpx_lt_u32_e64 v113, v156
	s_cbranch_execz .LBB632_835
.LBB632_905:                            ;   in Loop: Header=BB632_730 Depth=2
	global_load_dwordx2 v[33:34], v[39:40], off offset:512
	s_or_b32 exec_lo, exec_lo, s50
	s_mov_b32 s50, exec_lo
	v_cmpx_lt_u32_e64 v114, v156
	s_cbranch_execz .LBB632_836
.LBB632_906:                            ;   in Loop: Header=BB632_730 Depth=2
	global_load_dwordx2 v[31:32], v[39:40], off offset:768
	s_or_b32 exec_lo, exec_lo, s50
	s_mov_b32 s50, exec_lo
	v_cmpx_lt_u32_e64 v115, v156
	s_cbranch_execz .LBB632_837
.LBB632_907:                            ;   in Loop: Header=BB632_730 Depth=2
	global_load_dwordx2 v[29:30], v[39:40], off offset:1024
	s_or_b32 exec_lo, exec_lo, s50
	s_mov_b32 s50, exec_lo
	v_cmpx_lt_u32_e64 v116, v156
	s_cbranch_execz .LBB632_838
.LBB632_908:                            ;   in Loop: Header=BB632_730 Depth=2
	global_load_dwordx2 v[25:26], v[39:40], off offset:1280
	s_or_b32 exec_lo, exec_lo, s50
	s_mov_b32 s50, exec_lo
	v_cmpx_lt_u32_e64 v117, v156
	s_cbranch_execz .LBB632_839
.LBB632_909:                            ;   in Loop: Header=BB632_730 Depth=2
	global_load_dwordx2 v[21:22], v[39:40], off offset:1536
	s_or_b32 exec_lo, exec_lo, s50
	s_mov_b32 s50, exec_lo
	v_cmpx_lt_u32_e64 v118, v156
	s_cbranch_execz .LBB632_840
.LBB632_910:                            ;   in Loop: Header=BB632_730 Depth=2
	global_load_dwordx2 v[17:18], v[39:40], off offset:1792
	s_or_b32 exec_lo, exec_lo, s50
	s_mov_b32 s50, exec_lo
	v_cmpx_lt_u32_e64 v119, v156
	s_cbranch_execz .LBB632_841
.LBB632_911:                            ;   in Loop: Header=BB632_730 Depth=2
	v_add_co_u32 v27, s40, 0x800, v39
	v_add_co_ci_u32_e64 v28, null, 0, v40, s40
	global_load_dwordx2 v[27:28], v[27:28], off
	s_or_b32 exec_lo, exec_lo, s50
	s_mov_b32 s50, exec_lo
	v_cmpx_lt_u32_e64 v120, v156
	s_cbranch_execz .LBB632_842
.LBB632_912:                            ;   in Loop: Header=BB632_730 Depth=2
	v_add_co_u32 v23, s40, 0x800, v39
	v_add_co_ci_u32_e64 v24, null, 0, v40, s40
	global_load_dwordx2 v[23:24], v[23:24], off offset:256
	s_or_b32 exec_lo, exec_lo, s50
	s_mov_b32 s50, exec_lo
	v_cmpx_lt_u32_e64 v121, v156
	s_cbranch_execz .LBB632_843
.LBB632_913:                            ;   in Loop: Header=BB632_730 Depth=2
	v_add_co_u32 v19, s40, 0x800, v39
	v_add_co_ci_u32_e64 v20, null, 0, v40, s40
	global_load_dwordx2 v[19:20], v[19:20], off offset:512
	s_or_b32 exec_lo, exec_lo, s50
	s_mov_b32 s50, exec_lo
	v_cmpx_lt_u32_e64 v122, v156
	s_cbranch_execz .LBB632_844
.LBB632_914:                            ;   in Loop: Header=BB632_730 Depth=2
	v_add_co_u32 v15, s40, 0x800, v39
	v_add_co_ci_u32_e64 v16, null, 0, v40, s40
	global_load_dwordx2 v[15:16], v[15:16], off offset:768
	s_or_b32 exec_lo, exec_lo, s50
	s_mov_b32 s50, exec_lo
	v_cmpx_lt_u32_e64 v123, v156
	s_cbranch_execz .LBB632_845
.LBB632_915:                            ;   in Loop: Header=BB632_730 Depth=2
	v_add_co_u32 v13, s40, 0x800, v39
	v_add_co_ci_u32_e64 v14, null, 0, v40, s40
	global_load_dwordx2 v[13:14], v[13:14], off offset:1024
	s_or_b32 exec_lo, exec_lo, s50
	s_mov_b32 s50, exec_lo
	v_cmpx_lt_u32_e64 v124, v156
	s_cbranch_execz .LBB632_846
.LBB632_916:                            ;   in Loop: Header=BB632_730 Depth=2
	v_add_co_u32 v11, s40, 0x800, v39
	v_add_co_ci_u32_e64 v12, null, 0, v40, s40
	global_load_dwordx2 v[11:12], v[11:12], off offset:1280
	s_or_b32 exec_lo, exec_lo, s50
	s_mov_b32 s50, exec_lo
	v_cmpx_lt_u32_e64 v126, v156
	s_cbranch_execz .LBB632_847
.LBB632_917:                            ;   in Loop: Header=BB632_730 Depth=2
	v_add_co_u32 v9, s40, 0x800, v39
	v_add_co_ci_u32_e64 v10, null, 0, v40, s40
	global_load_dwordx2 v[9:10], v[9:10], off offset:1536
	s_or_b32 exec_lo, exec_lo, s50
	s_mov_b32 s50, exec_lo
	v_cmpx_lt_u32_e64 v127, v156
	s_cbranch_execz .LBB632_848
.LBB632_918:                            ;   in Loop: Header=BB632_730 Depth=2
	v_add_co_u32 v7, s40, 0x800, v39
	v_add_co_ci_u32_e64 v8, null, 0, v40, s40
	global_load_dwordx2 v[7:8], v[7:8], off offset:1792
	s_or_b32 exec_lo, exec_lo, s50
	s_mov_b32 s50, exec_lo
	v_cmpx_lt_u32_e64 v128, v156
	s_cbranch_execz .LBB632_849
.LBB632_919:                            ;   in Loop: Header=BB632_730 Depth=2
	v_add_co_u32 v5, s40, 0x1000, v39
	v_add_co_ci_u32_e64 v6, null, 0, v40, s40
	global_load_dwordx2 v[5:6], v[5:6], off
	s_or_b32 exec_lo, exec_lo, s50
	s_and_saveexec_b32 s40, vcc_lo
	s_cbranch_execz .LBB632_850
.LBB632_920:                            ;   in Loop: Header=BB632_730 Depth=2
	ds_read_b32 v3, v69 offset:512
	s_waitcnt lgkmcnt(0)
	v_lshrrev_b32_e32 v3, s41, v3
	v_and_b32_e32 v154, s62, v3
	s_or_b32 exec_lo, exec_lo, s40
	s_and_saveexec_b32 s40, s23
	s_cbranch_execz .LBB632_851
.LBB632_921:                            ;   in Loop: Header=BB632_730 Depth=2
	ds_read_b32 v3, v69 offset:1536
	s_waitcnt lgkmcnt(0)
	v_lshrrev_b32_e32 v3, s41, v3
	v_and_b32_e32 v153, s62, v3
	s_or_b32 exec_lo, exec_lo, s40
	s_and_saveexec_b32 s40, s24
	s_cbranch_execz .LBB632_852
.LBB632_922:                            ;   in Loop: Header=BB632_730 Depth=2
	ds_read_b32 v3, v69 offset:2560
	s_waitcnt lgkmcnt(0)
	v_lshrrev_b32_e32 v3, s41, v3
	v_and_b32_e32 v151, s62, v3
	s_or_b32 exec_lo, exec_lo, s40
	s_and_saveexec_b32 s40, s25
	s_cbranch_execz .LBB632_853
.LBB632_923:                            ;   in Loop: Header=BB632_730 Depth=2
	ds_read_b32 v3, v69 offset:3584
	s_waitcnt lgkmcnt(0)
	v_lshrrev_b32_e32 v3, s41, v3
	v_and_b32_e32 v150, s62, v3
	s_or_b32 exec_lo, exec_lo, s40
	s_and_saveexec_b32 s40, s26
	s_cbranch_execz .LBB632_854
.LBB632_924:                            ;   in Loop: Header=BB632_730 Depth=2
	ds_read_b32 v3, v69 offset:4608
	s_waitcnt lgkmcnt(0)
	v_lshrrev_b32_e32 v3, s41, v3
	v_and_b32_e32 v149, s62, v3
	s_or_b32 exec_lo, exec_lo, s40
	s_and_saveexec_b32 s40, s27
	s_cbranch_execz .LBB632_855
.LBB632_925:                            ;   in Loop: Header=BB632_730 Depth=2
	ds_read_b32 v3, v69 offset:5632
	s_waitcnt lgkmcnt(0)
	v_lshrrev_b32_e32 v3, s41, v3
	v_and_b32_e32 v148, s62, v3
	s_or_b32 exec_lo, exec_lo, s40
	s_and_saveexec_b32 s40, s28
	s_cbranch_execz .LBB632_856
.LBB632_926:                            ;   in Loop: Header=BB632_730 Depth=2
	ds_read_b32 v3, v69 offset:6656
	s_waitcnt lgkmcnt(0)
	v_lshrrev_b32_e32 v3, s41, v3
	v_and_b32_e32 v147, s62, v3
	s_or_b32 exec_lo, exec_lo, s40
	s_and_saveexec_b32 s40, s29
	s_cbranch_execz .LBB632_857
.LBB632_927:                            ;   in Loop: Header=BB632_730 Depth=2
	ds_read_b32 v3, v69 offset:7680
	s_waitcnt lgkmcnt(0)
	v_lshrrev_b32_e32 v3, s41, v3
	v_and_b32_e32 v146, s62, v3
	s_or_b32 exec_lo, exec_lo, s40
	s_and_saveexec_b32 s40, s30
	s_cbranch_execz .LBB632_858
.LBB632_928:                            ;   in Loop: Header=BB632_730 Depth=2
	ds_read_b32 v3, v69 offset:8704
	s_waitcnt lgkmcnt(0)
	v_lshrrev_b32_e32 v3, s41, v3
	v_and_b32_e32 v145, s62, v3
	s_or_b32 exec_lo, exec_lo, s40
	s_and_saveexec_b32 s40, s31
	s_cbranch_execz .LBB632_859
.LBB632_929:                            ;   in Loop: Header=BB632_730 Depth=2
	ds_read_b32 v3, v69 offset:9728
	s_waitcnt lgkmcnt(0)
	v_lshrrev_b32_e32 v3, s41, v3
	v_and_b32_e32 v144, s62, v3
	s_or_b32 exec_lo, exec_lo, s40
	s_and_saveexec_b32 s40, s33
	s_cbranch_execz .LBB632_860
.LBB632_930:                            ;   in Loop: Header=BB632_730 Depth=2
	ds_read_b32 v3, v69 offset:10752
	s_waitcnt lgkmcnt(0)
	v_lshrrev_b32_e32 v3, s41, v3
	v_and_b32_e32 v143, s62, v3
	s_or_b32 exec_lo, exec_lo, s40
	s_and_saveexec_b32 s40, s34
	s_cbranch_execz .LBB632_861
.LBB632_931:                            ;   in Loop: Header=BB632_730 Depth=2
	ds_read_b32 v3, v69 offset:11776
	s_waitcnt lgkmcnt(0)
	v_lshrrev_b32_e32 v3, s41, v3
	v_and_b32_e32 v142, s62, v3
	s_or_b32 exec_lo, exec_lo, s40
	s_and_saveexec_b32 s40, s35
	s_cbranch_execz .LBB632_862
.LBB632_932:                            ;   in Loop: Header=BB632_730 Depth=2
	ds_read_b32 v3, v69 offset:12800
	s_waitcnt lgkmcnt(0)
	v_lshrrev_b32_e32 v3, s41, v3
	v_and_b32_e32 v141, s62, v3
	s_or_b32 exec_lo, exec_lo, s40
	s_and_saveexec_b32 s40, s36
	s_cbranch_execz .LBB632_863
.LBB632_933:                            ;   in Loop: Header=BB632_730 Depth=2
	ds_read_b32 v3, v69 offset:13824
	s_waitcnt lgkmcnt(0)
	v_lshrrev_b32_e32 v3, s41, v3
	v_and_b32_e32 v140, s62, v3
	s_or_b32 exec_lo, exec_lo, s40
	s_and_saveexec_b32 s40, s37
	s_cbranch_execz .LBB632_864
.LBB632_934:                            ;   in Loop: Header=BB632_730 Depth=2
	ds_read_b32 v3, v69 offset:14848
	s_waitcnt lgkmcnt(0)
	v_lshrrev_b32_e32 v3, s41, v3
	v_and_b32_e32 v139, s62, v3
	s_or_b32 exec_lo, exec_lo, s40
	s_and_saveexec_b32 s40, s38
	s_cbranch_execz .LBB632_865
.LBB632_935:                            ;   in Loop: Header=BB632_730 Depth=2
	ds_read_b32 v3, v69 offset:15872
	s_waitcnt lgkmcnt(0)
	v_lshrrev_b32_e32 v3, s41, v3
	v_and_b32_e32 v138, s62, v3
	s_or_b32 exec_lo, exec_lo, s40
	s_and_saveexec_b32 s40, s39
	s_cbranch_execnz .LBB632_866
	s_branch .LBB632_867
.LBB632_936:                            ;   in Loop: Header=BB632_730 Depth=2
	v_lshlrev_b32_e32 v3, 2, v154
	v_add_nc_u32_e32 v39, v69, v43
	ds_read_b32 v3, v3
	ds_read_b64 v[39:40], v39 offset:512
	s_waitcnt lgkmcnt(1)
	v_add_nc_u32_e32 v3, v3, v0
	v_lshlrev_b64 v[41:42], 3, v[3:4]
	v_add_co_u32 v41, vcc_lo, s52, v41
	v_add_co_ci_u32_e64 v42, null, s53, v42, vcc_lo
	s_waitcnt lgkmcnt(0)
	global_store_dwordx2 v[41:42], v[39:40], off
	s_or_b32 exec_lo, exec_lo, s40
	s_and_saveexec_b32 s40, s23
	s_cbranch_execz .LBB632_869
.LBB632_937:                            ;   in Loop: Header=BB632_730 Depth=2
	v_lshlrev_b32_e32 v3, 2, v153
	v_add_nc_u32_e32 v39, v69, v43
	ds_read_b32 v3, v3
	ds_read_b64 v[39:40], v39 offset:2560
	s_waitcnt lgkmcnt(1)
	v_add_nc_u32_e32 v3, v3, v44
	v_lshlrev_b64 v[41:42], 3, v[3:4]
	v_add_co_u32 v41, vcc_lo, s52, v41
	v_add_co_ci_u32_e64 v42, null, s53, v42, vcc_lo
	s_waitcnt lgkmcnt(0)
	global_store_dwordx2 v[41:42], v[39:40], off
	s_or_b32 exec_lo, exec_lo, s40
	s_and_saveexec_b32 s23, s24
	s_cbranch_execz .LBB632_870
.LBB632_938:                            ;   in Loop: Header=BB632_730 Depth=2
	v_lshlrev_b32_e32 v3, 2, v151
	v_add_nc_u32_e32 v39, v69, v43
	ds_read_b32 v3, v3
	ds_read_b64 v[39:40], v39 offset:4608
	s_waitcnt lgkmcnt(1)
	v_add_nc_u32_e32 v3, v3, v47
	v_lshlrev_b64 v[41:42], 3, v[3:4]
	v_add_co_u32 v41, vcc_lo, s52, v41
	v_add_co_ci_u32_e64 v42, null, s53, v42, vcc_lo
	s_waitcnt lgkmcnt(0)
	global_store_dwordx2 v[41:42], v[39:40], off
	s_or_b32 exec_lo, exec_lo, s23
	s_and_saveexec_b32 s23, s25
	s_cbranch_execz .LBB632_871
.LBB632_939:                            ;   in Loop: Header=BB632_730 Depth=2
	v_lshlrev_b32_e32 v3, 2, v150
	v_add_nc_u32_e32 v39, v69, v43
	ds_read_b32 v3, v3
	ds_read_b64 v[39:40], v39 offset:6656
	s_waitcnt lgkmcnt(1)
	v_add_nc_u32_e32 v3, v3, v48
	v_lshlrev_b64 v[41:42], 3, v[3:4]
	v_add_co_u32 v41, vcc_lo, s52, v41
	v_add_co_ci_u32_e64 v42, null, s53, v42, vcc_lo
	s_waitcnt lgkmcnt(0)
	global_store_dwordx2 v[41:42], v[39:40], off
	s_or_b32 exec_lo, exec_lo, s23
	s_and_saveexec_b32 s23, s26
	s_cbranch_execz .LBB632_872
.LBB632_940:                            ;   in Loop: Header=BB632_730 Depth=2
	v_lshlrev_b32_e32 v3, 2, v149
	v_add_nc_u32_e32 v39, v69, v43
	ds_read_b32 v3, v3
	ds_read_b64 v[39:40], v39 offset:8704
	s_waitcnt lgkmcnt(1)
	v_add_nc_u32_e32 v3, v3, v49
	v_lshlrev_b64 v[41:42], 3, v[3:4]
	v_add_co_u32 v41, vcc_lo, s52, v41
	v_add_co_ci_u32_e64 v42, null, s53, v42, vcc_lo
	s_waitcnt lgkmcnt(0)
	global_store_dwordx2 v[41:42], v[39:40], off
	s_or_b32 exec_lo, exec_lo, s23
	s_and_saveexec_b32 s23, s27
	s_cbranch_execz .LBB632_873
.LBB632_941:                            ;   in Loop: Header=BB632_730 Depth=2
	v_lshlrev_b32_e32 v3, 2, v148
	v_add_nc_u32_e32 v39, v69, v43
	ds_read_b32 v3, v3
	ds_read_b64 v[39:40], v39 offset:10752
	s_waitcnt lgkmcnt(1)
	v_add_nc_u32_e32 v3, v3, v50
	v_lshlrev_b64 v[41:42], 3, v[3:4]
	v_add_co_u32 v41, vcc_lo, s52, v41
	v_add_co_ci_u32_e64 v42, null, s53, v42, vcc_lo
	s_waitcnt lgkmcnt(0)
	global_store_dwordx2 v[41:42], v[39:40], off
	s_or_b32 exec_lo, exec_lo, s23
	s_and_saveexec_b32 s23, s28
	s_cbranch_execz .LBB632_874
.LBB632_942:                            ;   in Loop: Header=BB632_730 Depth=2
	v_lshlrev_b32_e32 v3, 2, v147
	v_add_nc_u32_e32 v39, v69, v43
	ds_read_b32 v3, v3
	ds_read_b64 v[39:40], v39 offset:12800
	s_waitcnt lgkmcnt(1)
	v_add_nc_u32_e32 v3, v3, v51
	v_lshlrev_b64 v[41:42], 3, v[3:4]
	v_add_co_u32 v41, vcc_lo, s52, v41
	v_add_co_ci_u32_e64 v42, null, s53, v42, vcc_lo
	s_waitcnt lgkmcnt(0)
	global_store_dwordx2 v[41:42], v[39:40], off
	s_or_b32 exec_lo, exec_lo, s23
	s_and_saveexec_b32 s23, s29
	s_cbranch_execz .LBB632_875
.LBB632_943:                            ;   in Loop: Header=BB632_730 Depth=2
	v_lshlrev_b32_e32 v3, 2, v146
	v_add_nc_u32_e32 v39, v69, v43
	ds_read_b32 v3, v3
	ds_read_b64 v[39:40], v39 offset:14848
	s_waitcnt lgkmcnt(1)
	v_add_nc_u32_e32 v3, v3, v52
	v_lshlrev_b64 v[41:42], 3, v[3:4]
	v_add_co_u32 v41, vcc_lo, s52, v41
	v_add_co_ci_u32_e64 v42, null, s53, v42, vcc_lo
	s_waitcnt lgkmcnt(0)
	global_store_dwordx2 v[41:42], v[39:40], off
	s_or_b32 exec_lo, exec_lo, s23
	s_and_saveexec_b32 s23, s30
	s_cbranch_execz .LBB632_876
.LBB632_944:                            ;   in Loop: Header=BB632_730 Depth=2
	v_lshlrev_b32_e32 v3, 2, v145
	v_add_nc_u32_e32 v39, v69, v43
	ds_read_b32 v3, v3
	ds_read_b64 v[39:40], v39 offset:16896
	s_waitcnt lgkmcnt(1)
	v_add_nc_u32_e32 v3, v3, v53
	v_lshlrev_b64 v[41:42], 3, v[3:4]
	v_add_co_u32 v41, vcc_lo, s52, v41
	v_add_co_ci_u32_e64 v42, null, s53, v42, vcc_lo
	s_waitcnt lgkmcnt(0)
	global_store_dwordx2 v[41:42], v[39:40], off
	s_or_b32 exec_lo, exec_lo, s23
	s_and_saveexec_b32 s23, s31
	s_cbranch_execz .LBB632_877
.LBB632_945:                            ;   in Loop: Header=BB632_730 Depth=2
	v_lshlrev_b32_e32 v3, 2, v144
	v_add_nc_u32_e32 v39, v69, v43
	ds_read_b32 v3, v3
	ds_read_b64 v[39:40], v39 offset:18944
	s_waitcnt lgkmcnt(1)
	v_add_nc_u32_e32 v3, v3, v54
	v_lshlrev_b64 v[41:42], 3, v[3:4]
	v_add_co_u32 v41, vcc_lo, s52, v41
	v_add_co_ci_u32_e64 v42, null, s53, v42, vcc_lo
	s_waitcnt lgkmcnt(0)
	global_store_dwordx2 v[41:42], v[39:40], off
	s_or_b32 exec_lo, exec_lo, s23
	s_and_saveexec_b32 s23, s33
	s_cbranch_execz .LBB632_878
.LBB632_946:                            ;   in Loop: Header=BB632_730 Depth=2
	v_lshlrev_b32_e32 v3, 2, v143
	v_add_nc_u32_e32 v39, v69, v43
	ds_read_b32 v3, v3
	ds_read_b64 v[39:40], v39 offset:20992
	s_waitcnt lgkmcnt(1)
	v_add_nc_u32_e32 v3, v3, v55
	v_lshlrev_b64 v[41:42], 3, v[3:4]
	v_add_co_u32 v41, vcc_lo, s52, v41
	v_add_co_ci_u32_e64 v42, null, s53, v42, vcc_lo
	s_waitcnt lgkmcnt(0)
	global_store_dwordx2 v[41:42], v[39:40], off
	s_or_b32 exec_lo, exec_lo, s23
	s_and_saveexec_b32 s23, s34
	s_cbranch_execz .LBB632_879
.LBB632_947:                            ;   in Loop: Header=BB632_730 Depth=2
	v_lshlrev_b32_e32 v3, 2, v142
	v_add_nc_u32_e32 v39, v69, v43
	ds_read_b32 v3, v3
	ds_read_b64 v[39:40], v39 offset:23040
	s_waitcnt lgkmcnt(1)
	v_add_nc_u32_e32 v3, v3, v56
	v_lshlrev_b64 v[41:42], 3, v[3:4]
	v_add_co_u32 v41, vcc_lo, s52, v41
	v_add_co_ci_u32_e64 v42, null, s53, v42, vcc_lo
	s_waitcnt lgkmcnt(0)
	global_store_dwordx2 v[41:42], v[39:40], off
	s_or_b32 exec_lo, exec_lo, s23
	s_and_saveexec_b32 s23, s35
	s_cbranch_execz .LBB632_880
.LBB632_948:                            ;   in Loop: Header=BB632_730 Depth=2
	v_lshlrev_b32_e32 v3, 2, v141
	v_add_nc_u32_e32 v39, v69, v43
	ds_read_b32 v3, v3
	ds_read_b64 v[39:40], v39 offset:25088
	s_waitcnt lgkmcnt(1)
	v_add_nc_u32_e32 v3, v3, v57
	v_lshlrev_b64 v[41:42], 3, v[3:4]
	v_add_co_u32 v41, vcc_lo, s52, v41
	v_add_co_ci_u32_e64 v42, null, s53, v42, vcc_lo
	s_waitcnt lgkmcnt(0)
	global_store_dwordx2 v[41:42], v[39:40], off
	s_or_b32 exec_lo, exec_lo, s23
	s_and_saveexec_b32 s23, s36
	s_cbranch_execz .LBB632_881
.LBB632_949:                            ;   in Loop: Header=BB632_730 Depth=2
	v_lshlrev_b32_e32 v3, 2, v140
	v_add_nc_u32_e32 v39, v69, v43
	ds_read_b32 v3, v3
	ds_read_b64 v[39:40], v39 offset:27136
	s_waitcnt lgkmcnt(1)
	v_add_nc_u32_e32 v3, v3, v58
	v_lshlrev_b64 v[41:42], 3, v[3:4]
	v_add_co_u32 v41, vcc_lo, s52, v41
	v_add_co_ci_u32_e64 v42, null, s53, v42, vcc_lo
	s_waitcnt lgkmcnt(0)
	global_store_dwordx2 v[41:42], v[39:40], off
	s_or_b32 exec_lo, exec_lo, s23
	s_and_saveexec_b32 s23, s37
	s_cbranch_execz .LBB632_882
.LBB632_950:                            ;   in Loop: Header=BB632_730 Depth=2
	v_lshlrev_b32_e32 v3, 2, v139
	v_add_nc_u32_e32 v39, v69, v43
	ds_read_b32 v3, v3
	ds_read_b64 v[39:40], v39 offset:29184
	s_waitcnt lgkmcnt(1)
	v_add_nc_u32_e32 v3, v3, v59
	v_lshlrev_b64 v[41:42], 3, v[3:4]
	v_add_co_u32 v41, vcc_lo, s52, v41
	v_add_co_ci_u32_e64 v42, null, s53, v42, vcc_lo
	s_waitcnt lgkmcnt(0)
	global_store_dwordx2 v[41:42], v[39:40], off
	s_or_b32 exec_lo, exec_lo, s23
	s_and_saveexec_b32 s23, s38
	s_cbranch_execz .LBB632_883
.LBB632_951:                            ;   in Loop: Header=BB632_730 Depth=2
	v_lshlrev_b32_e32 v3, 2, v138
	v_add_nc_u32_e32 v39, v69, v43
	ds_read_b32 v3, v3
	ds_read_b64 v[39:40], v39 offset:31232
	s_waitcnt lgkmcnt(1)
	v_add_nc_u32_e32 v3, v3, v60
	v_lshlrev_b64 v[41:42], 3, v[3:4]
	v_add_co_u32 v41, vcc_lo, s52, v41
	v_add_co_ci_u32_e64 v42, null, s53, v42, vcc_lo
	s_waitcnt lgkmcnt(0)
	global_store_dwordx2 v[41:42], v[39:40], off
	s_or_b32 exec_lo, exec_lo, s23
	s_and_saveexec_b32 s23, s39
	s_cbranch_execnz .LBB632_884
	s_branch .LBB632_885
.LBB632_952:                            ;   in Loop: Header=BB632_20 Depth=1
	s_waitcnt lgkmcnt(0)
	s_mov_b32 s5, 0
	s_barrier
.LBB632_953:                            ;   in Loop: Header=BB632_20 Depth=1
	s_and_b32 vcc_lo, exec_lo, s5
	s_cbranch_vccz .LBB632_19
; %bb.954:                              ;   in Loop: Header=BB632_20 Depth=1
	s_mov_b32 s5, s60
	s_mov_b32 s50, s58
	s_barrier
	buffer_gl0_inv
                                        ; implicit-def: $vgpr3
                                        ; implicit-def: $vgpr5
                                        ; implicit-def: $vgpr6
                                        ; implicit-def: $vgpr7
                                        ; implicit-def: $vgpr8
                                        ; implicit-def: $vgpr9
                                        ; implicit-def: $vgpr10
                                        ; implicit-def: $vgpr11
                                        ; implicit-def: $vgpr12
                                        ; implicit-def: $vgpr13
                                        ; implicit-def: $vgpr14
                                        ; implicit-def: $vgpr15
                                        ; implicit-def: $vgpr16
                                        ; implicit-def: $vgpr17
                                        ; implicit-def: $vgpr18
                                        ; implicit-def: $vgpr19
                                        ; implicit-def: $vgpr20
	s_branch .LBB632_956
.LBB632_955:                            ;   in Loop: Header=BB632_956 Depth=2
	s_or_b32 exec_lo, exec_lo, s16
	s_addk_i32 s5, 0xef00
	s_cmp_ge_u32 s18, s59
	s_mov_b32 s50, s18
	s_cbranch_scc1 .LBB632_1028
.LBB632_956:                            ;   Parent Loop BB632_20 Depth=1
                                        ; =>  This Inner Loop Header: Depth=2
	s_add_i32 s18, s50, 0x1100
	s_mov_b32 s16, -1
	s_cmp_gt_u32 s18, s59
                                        ; implicit-def: $vgpr21
                                        ; implicit-def: $vgpr22
                                        ; implicit-def: $vgpr25
                                        ; implicit-def: $vgpr23
                                        ; implicit-def: $vgpr27
                                        ; implicit-def: $vgpr24
                                        ; implicit-def: $vgpr29
                                        ; implicit-def: $vgpr26
                                        ; implicit-def: $vgpr31
                                        ; implicit-def: $vgpr28
                                        ; implicit-def: $vgpr33
                                        ; implicit-def: $vgpr30
                                        ; implicit-def: $vgpr34
                                        ; implicit-def: $vgpr32
                                        ; implicit-def: $vgpr35
                                        ; implicit-def: $vgpr36
                                        ; implicit-def: $vgpr37
	s_cbranch_scc1 .LBB632_958
; %bb.957:                              ;   in Loop: Header=BB632_956 Depth=2
	s_lshl_b64 s[16:17], s[50:51], 2
	v_add_co_u32 v33, vcc_lo, v78, s16
	v_add_co_ci_u32_e64 v34, null, s17, v79, vcc_lo
	s_mov_b32 s16, 0
	v_add_co_u32 v23, vcc_lo, 0x800, v33
	v_add_co_ci_u32_e64 v24, null, 0, v34, vcc_lo
	v_add_co_u32 v35, vcc_lo, v33, 0x1000
	v_add_co_ci_u32_e64 v36, null, 0, v34, vcc_lo
	;; [unrolled: 2-line block ×9, first 2 shown]
	s_clause 0x7
	global_load_dword v21, v[33:34], off
	global_load_dword v22, v[33:34], off offset:1024
	global_load_dword v23, v[23:24], off offset:1024
	;; [unrolled: 1-line block ×7, first 2 shown]
	v_add_co_u32 v41, vcc_lo, 0x3800, v33
	v_add_co_ci_u32_e64 v42, null, 0, v34, vcc_lo
	v_add_co_u32 v131, vcc_lo, v33, 0x4000
	v_add_co_ci_u32_e64 v132, null, 0, v34, vcc_lo
	s_clause 0x8
	global_load_dword v25, v[35:36], off offset:-2048
	global_load_dword v27, v[35:36], off
	global_load_dword v29, v[37:38], off offset:-2048
	global_load_dword v31, v[37:38], off
	;; [unrolled: 2-line block ×3, first 2 shown]
	global_load_dword v35, v[131:132], off offset:-2048
	global_load_dword v36, v[41:42], off offset:1024
	global_load_dword v37, v[131:132], off
.LBB632_958:                            ;   in Loop: Header=BB632_956 Depth=2
	s_andn2_b32 vcc_lo, exec_lo, s16
	s_movk_i32 s16, 0x1100
	s_cbranch_vccnz .LBB632_978
; %bb.959:                              ;   in Loop: Header=BB632_956 Depth=2
	s_lshl_b64 s[16:17], s[50:51], 2
	s_mov_b32 s19, exec_lo
	s_add_u32 s16, s44, s16
	s_addc_u32 s17, s45, s17
	v_cmpx_gt_u32_e64 s5, v0
	s_cbranch_execnz .LBB632_1012
; %bb.960:                              ;   in Loop: Header=BB632_956 Depth=2
	s_or_b32 exec_lo, exec_lo, s19
	s_mov_b32 s19, exec_lo
	v_cmpx_gt_u32_e64 s5, v44
	s_cbranch_execnz .LBB632_1013
.LBB632_961:                            ;   in Loop: Header=BB632_956 Depth=2
	s_or_b32 exec_lo, exec_lo, s19
	s_mov_b32 s19, exec_lo
	v_cmpx_gt_u32_e64 s5, v47
	s_cbranch_execnz .LBB632_1014
.LBB632_962:                            ;   in Loop: Header=BB632_956 Depth=2
	s_or_b32 exec_lo, exec_lo, s19
	s_mov_b32 s19, exec_lo
	v_cmpx_gt_u32_e64 s5, v48
	s_cbranch_execnz .LBB632_1015
.LBB632_963:                            ;   in Loop: Header=BB632_956 Depth=2
	s_or_b32 exec_lo, exec_lo, s19
	s_mov_b32 s19, exec_lo
	v_cmpx_gt_u32_e64 s5, v49
	s_cbranch_execnz .LBB632_1016
.LBB632_964:                            ;   in Loop: Header=BB632_956 Depth=2
	s_or_b32 exec_lo, exec_lo, s19
	s_mov_b32 s19, exec_lo
	v_cmpx_gt_u32_e64 s5, v50
	s_cbranch_execnz .LBB632_1017
.LBB632_965:                            ;   in Loop: Header=BB632_956 Depth=2
	s_or_b32 exec_lo, exec_lo, s19
	s_mov_b32 s19, exec_lo
	v_cmpx_gt_u32_e64 s5, v51
	s_cbranch_execnz .LBB632_1018
.LBB632_966:                            ;   in Loop: Header=BB632_956 Depth=2
	s_or_b32 exec_lo, exec_lo, s19
	s_mov_b32 s19, exec_lo
	v_cmpx_gt_u32_e64 s5, v52
	s_cbranch_execnz .LBB632_1019
.LBB632_967:                            ;   in Loop: Header=BB632_956 Depth=2
	s_or_b32 exec_lo, exec_lo, s19
	s_mov_b32 s19, exec_lo
	v_cmpx_gt_u32_e64 s5, v53
	s_cbranch_execnz .LBB632_1020
.LBB632_968:                            ;   in Loop: Header=BB632_956 Depth=2
	s_or_b32 exec_lo, exec_lo, s19
	s_mov_b32 s19, exec_lo
	v_cmpx_gt_u32_e64 s5, v54
	s_cbranch_execnz .LBB632_1021
.LBB632_969:                            ;   in Loop: Header=BB632_956 Depth=2
	s_or_b32 exec_lo, exec_lo, s19
	s_mov_b32 s19, exec_lo
	v_cmpx_gt_u32_e64 s5, v55
	s_cbranch_execnz .LBB632_1022
.LBB632_970:                            ;   in Loop: Header=BB632_956 Depth=2
	s_or_b32 exec_lo, exec_lo, s19
	s_mov_b32 s19, exec_lo
	v_cmpx_gt_u32_e64 s5, v56
	s_cbranch_execnz .LBB632_1023
.LBB632_971:                            ;   in Loop: Header=BB632_956 Depth=2
	s_or_b32 exec_lo, exec_lo, s19
	s_mov_b32 s19, exec_lo
	v_cmpx_gt_u32_e64 s5, v57
	s_cbranch_execnz .LBB632_1024
.LBB632_972:                            ;   in Loop: Header=BB632_956 Depth=2
	s_or_b32 exec_lo, exec_lo, s19
	s_mov_b32 s19, exec_lo
	v_cmpx_gt_u32_e64 s5, v58
	s_cbranch_execnz .LBB632_1025
.LBB632_973:                            ;   in Loop: Header=BB632_956 Depth=2
	s_or_b32 exec_lo, exec_lo, s19
	s_mov_b32 s19, exec_lo
	v_cmpx_gt_u32_e64 s5, v59
	s_cbranch_execnz .LBB632_1026
.LBB632_974:                            ;   in Loop: Header=BB632_956 Depth=2
	s_or_b32 exec_lo, exec_lo, s19
	s_mov_b32 s19, exec_lo
	v_cmpx_gt_u32_e64 s5, v60
	s_cbranch_execnz .LBB632_1027
.LBB632_975:                            ;   in Loop: Header=BB632_956 Depth=2
	s_or_b32 exec_lo, exec_lo, s19
	s_mov_b32 s19, exec_lo
	v_cmpx_gt_u32_e64 s5, v61
	s_cbranch_execz .LBB632_977
.LBB632_976:                            ;   in Loop: Header=BB632_956 Depth=2
	global_load_dword v3, v107, s[16:17]
.LBB632_977:                            ;   in Loop: Header=BB632_956 Depth=2
	s_or_b32 exec_lo, exec_lo, s19
	s_waitcnt vmcnt(0)
	v_mov_b32_e32 v21, v20
	v_mov_b32_e32 v22, v19
	;; [unrolled: 1-line block ×17, first 2 shown]
	s_mov_b32 s16, s5
.LBB632_978:                            ;   in Loop: Header=BB632_956 Depth=2
	s_waitcnt vmcnt(0)
	v_mov_b32_e32 v3, v37
	v_mov_b32_e32 v5, v36
	;; [unrolled: 1-line block ×17, first 2 shown]
	s_mov_b32 s17, exec_lo
	v_cmpx_gt_u32_e64 s16, v0
	s_cbranch_execnz .LBB632_995
; %bb.979:                              ;   in Loop: Header=BB632_956 Depth=2
	s_or_b32 exec_lo, exec_lo, s17
	s_mov_b32 s17, exec_lo
	v_cmpx_gt_u32_e64 s16, v44
	s_cbranch_execnz .LBB632_996
.LBB632_980:                            ;   in Loop: Header=BB632_956 Depth=2
	s_or_b32 exec_lo, exec_lo, s17
	s_mov_b32 s17, exec_lo
	v_cmpx_gt_u32_e64 s16, v47
	s_cbranch_execnz .LBB632_997
.LBB632_981:                            ;   in Loop: Header=BB632_956 Depth=2
	s_or_b32 exec_lo, exec_lo, s17
	s_mov_b32 s17, exec_lo
	v_cmpx_gt_u32_e64 s16, v48
	s_cbranch_execnz .LBB632_998
.LBB632_982:                            ;   in Loop: Header=BB632_956 Depth=2
	s_or_b32 exec_lo, exec_lo, s17
	s_mov_b32 s17, exec_lo
	v_cmpx_gt_u32_e64 s16, v49
	s_cbranch_execnz .LBB632_999
.LBB632_983:                            ;   in Loop: Header=BB632_956 Depth=2
	s_or_b32 exec_lo, exec_lo, s17
	s_mov_b32 s17, exec_lo
	v_cmpx_gt_u32_e64 s16, v50
	s_cbranch_execnz .LBB632_1000
.LBB632_984:                            ;   in Loop: Header=BB632_956 Depth=2
	s_or_b32 exec_lo, exec_lo, s17
	s_mov_b32 s17, exec_lo
	v_cmpx_gt_u32_e64 s16, v51
	s_cbranch_execnz .LBB632_1001
.LBB632_985:                            ;   in Loop: Header=BB632_956 Depth=2
	s_or_b32 exec_lo, exec_lo, s17
	s_mov_b32 s17, exec_lo
	v_cmpx_gt_u32_e64 s16, v52
	s_cbranch_execnz .LBB632_1002
.LBB632_986:                            ;   in Loop: Header=BB632_956 Depth=2
	s_or_b32 exec_lo, exec_lo, s17
	s_mov_b32 s17, exec_lo
	v_cmpx_gt_u32_e64 s16, v53
	s_cbranch_execnz .LBB632_1003
.LBB632_987:                            ;   in Loop: Header=BB632_956 Depth=2
	s_or_b32 exec_lo, exec_lo, s17
	s_mov_b32 s17, exec_lo
	v_cmpx_gt_u32_e64 s16, v54
	s_cbranch_execnz .LBB632_1004
.LBB632_988:                            ;   in Loop: Header=BB632_956 Depth=2
	s_or_b32 exec_lo, exec_lo, s17
	s_mov_b32 s17, exec_lo
	v_cmpx_gt_u32_e64 s16, v55
	s_cbranch_execnz .LBB632_1005
.LBB632_989:                            ;   in Loop: Header=BB632_956 Depth=2
	s_or_b32 exec_lo, exec_lo, s17
	s_mov_b32 s17, exec_lo
	v_cmpx_gt_u32_e64 s16, v56
	s_cbranch_execnz .LBB632_1006
.LBB632_990:                            ;   in Loop: Header=BB632_956 Depth=2
	s_or_b32 exec_lo, exec_lo, s17
	s_mov_b32 s17, exec_lo
	v_cmpx_gt_u32_e64 s16, v57
	s_cbranch_execnz .LBB632_1007
.LBB632_991:                            ;   in Loop: Header=BB632_956 Depth=2
	s_or_b32 exec_lo, exec_lo, s17
	s_mov_b32 s17, exec_lo
	v_cmpx_gt_u32_e64 s16, v58
	s_cbranch_execnz .LBB632_1008
.LBB632_992:                            ;   in Loop: Header=BB632_956 Depth=2
	s_or_b32 exec_lo, exec_lo, s17
	s_mov_b32 s17, exec_lo
	v_cmpx_gt_u32_e64 s16, v59
	s_cbranch_execnz .LBB632_1009
.LBB632_993:                            ;   in Loop: Header=BB632_956 Depth=2
	s_or_b32 exec_lo, exec_lo, s17
	s_mov_b32 s17, exec_lo
	v_cmpx_gt_u32_e64 s16, v60
	s_cbranch_execnz .LBB632_1010
.LBB632_994:                            ;   in Loop: Header=BB632_956 Depth=2
	s_or_b32 exec_lo, exec_lo, s17
	v_cmp_gt_u32_e32 vcc_lo, s16, v61
	s_and_saveexec_b32 s16, vcc_lo
	s_cbranch_execz .LBB632_955
	s_branch .LBB632_1011
.LBB632_995:                            ;   in Loop: Header=BB632_956 Depth=2
	v_xor_b32_e32 v21, 0x80000000, v20
	v_lshrrev_b32_e32 v21, s41, v21
	v_and_b32_e32 v21, s62, v21
	v_lshl_or_b32 v21, v21, 4, v63
	ds_add_u32 v21, v85
	s_or_b32 exec_lo, exec_lo, s17
	s_mov_b32 s17, exec_lo
	v_cmpx_gt_u32_e64 s16, v44
	s_cbranch_execz .LBB632_980
.LBB632_996:                            ;   in Loop: Header=BB632_956 Depth=2
	v_xor_b32_e32 v21, 0x80000000, v19
	v_lshrrev_b32_e32 v21, s41, v21
	v_and_b32_e32 v21, s62, v21
	v_lshl_or_b32 v21, v21, 4, v63
	ds_add_u32 v21, v85
	s_or_b32 exec_lo, exec_lo, s17
	s_mov_b32 s17, exec_lo
	v_cmpx_gt_u32_e64 s16, v47
	s_cbranch_execz .LBB632_981
.LBB632_997:                            ;   in Loop: Header=BB632_956 Depth=2
	v_xor_b32_e32 v21, 0x80000000, v18
	v_lshrrev_b32_e32 v21, s41, v21
	v_and_b32_e32 v21, s62, v21
	v_lshl_or_b32 v21, v21, 4, v63
	ds_add_u32 v21, v85
	s_or_b32 exec_lo, exec_lo, s17
	s_mov_b32 s17, exec_lo
	v_cmpx_gt_u32_e64 s16, v48
	s_cbranch_execz .LBB632_982
.LBB632_998:                            ;   in Loop: Header=BB632_956 Depth=2
	v_xor_b32_e32 v21, 0x80000000, v17
	v_lshrrev_b32_e32 v21, s41, v21
	v_and_b32_e32 v21, s62, v21
	v_lshl_or_b32 v21, v21, 4, v63
	ds_add_u32 v21, v85
	s_or_b32 exec_lo, exec_lo, s17
	s_mov_b32 s17, exec_lo
	v_cmpx_gt_u32_e64 s16, v49
	s_cbranch_execz .LBB632_983
.LBB632_999:                            ;   in Loop: Header=BB632_956 Depth=2
	v_xor_b32_e32 v21, 0x80000000, v16
	v_lshrrev_b32_e32 v21, s41, v21
	v_and_b32_e32 v21, s62, v21
	v_lshl_or_b32 v21, v21, 4, v63
	ds_add_u32 v21, v85
	s_or_b32 exec_lo, exec_lo, s17
	s_mov_b32 s17, exec_lo
	v_cmpx_gt_u32_e64 s16, v50
	s_cbranch_execz .LBB632_984
.LBB632_1000:                           ;   in Loop: Header=BB632_956 Depth=2
	v_xor_b32_e32 v21, 0x80000000, v15
	v_lshrrev_b32_e32 v21, s41, v21
	v_and_b32_e32 v21, s62, v21
	v_lshl_or_b32 v21, v21, 4, v63
	ds_add_u32 v21, v85
	s_or_b32 exec_lo, exec_lo, s17
	s_mov_b32 s17, exec_lo
	v_cmpx_gt_u32_e64 s16, v51
	s_cbranch_execz .LBB632_985
.LBB632_1001:                           ;   in Loop: Header=BB632_956 Depth=2
	v_xor_b32_e32 v21, 0x80000000, v14
	v_lshrrev_b32_e32 v21, s41, v21
	v_and_b32_e32 v21, s62, v21
	v_lshl_or_b32 v21, v21, 4, v63
	ds_add_u32 v21, v85
	s_or_b32 exec_lo, exec_lo, s17
	s_mov_b32 s17, exec_lo
	v_cmpx_gt_u32_e64 s16, v52
	s_cbranch_execz .LBB632_986
.LBB632_1002:                           ;   in Loop: Header=BB632_956 Depth=2
	v_xor_b32_e32 v21, 0x80000000, v13
	v_lshrrev_b32_e32 v21, s41, v21
	v_and_b32_e32 v21, s62, v21
	v_lshl_or_b32 v21, v21, 4, v63
	ds_add_u32 v21, v85
	s_or_b32 exec_lo, exec_lo, s17
	s_mov_b32 s17, exec_lo
	v_cmpx_gt_u32_e64 s16, v53
	s_cbranch_execz .LBB632_987
.LBB632_1003:                           ;   in Loop: Header=BB632_956 Depth=2
	v_xor_b32_e32 v21, 0x80000000, v12
	v_lshrrev_b32_e32 v21, s41, v21
	v_and_b32_e32 v21, s62, v21
	v_lshl_or_b32 v21, v21, 4, v63
	ds_add_u32 v21, v85
	s_or_b32 exec_lo, exec_lo, s17
	s_mov_b32 s17, exec_lo
	v_cmpx_gt_u32_e64 s16, v54
	s_cbranch_execz .LBB632_988
.LBB632_1004:                           ;   in Loop: Header=BB632_956 Depth=2
	v_xor_b32_e32 v21, 0x80000000, v11
	v_lshrrev_b32_e32 v21, s41, v21
	v_and_b32_e32 v21, s62, v21
	v_lshl_or_b32 v21, v21, 4, v63
	ds_add_u32 v21, v85
	s_or_b32 exec_lo, exec_lo, s17
	s_mov_b32 s17, exec_lo
	v_cmpx_gt_u32_e64 s16, v55
	s_cbranch_execz .LBB632_989
.LBB632_1005:                           ;   in Loop: Header=BB632_956 Depth=2
	v_xor_b32_e32 v21, 0x80000000, v10
	v_lshrrev_b32_e32 v21, s41, v21
	v_and_b32_e32 v21, s62, v21
	v_lshl_or_b32 v21, v21, 4, v63
	ds_add_u32 v21, v85
	s_or_b32 exec_lo, exec_lo, s17
	s_mov_b32 s17, exec_lo
	v_cmpx_gt_u32_e64 s16, v56
	s_cbranch_execz .LBB632_990
.LBB632_1006:                           ;   in Loop: Header=BB632_956 Depth=2
	v_xor_b32_e32 v21, 0x80000000, v9
	v_lshrrev_b32_e32 v21, s41, v21
	v_and_b32_e32 v21, s62, v21
	v_lshl_or_b32 v21, v21, 4, v63
	ds_add_u32 v21, v85
	s_or_b32 exec_lo, exec_lo, s17
	s_mov_b32 s17, exec_lo
	v_cmpx_gt_u32_e64 s16, v57
	s_cbranch_execz .LBB632_991
.LBB632_1007:                           ;   in Loop: Header=BB632_956 Depth=2
	v_xor_b32_e32 v21, 0x80000000, v8
	v_lshrrev_b32_e32 v21, s41, v21
	v_and_b32_e32 v21, s62, v21
	v_lshl_or_b32 v21, v21, 4, v63
	ds_add_u32 v21, v85
	s_or_b32 exec_lo, exec_lo, s17
	s_mov_b32 s17, exec_lo
	v_cmpx_gt_u32_e64 s16, v58
	s_cbranch_execz .LBB632_992
.LBB632_1008:                           ;   in Loop: Header=BB632_956 Depth=2
	v_xor_b32_e32 v21, 0x80000000, v7
	v_lshrrev_b32_e32 v21, s41, v21
	v_and_b32_e32 v21, s62, v21
	v_lshl_or_b32 v21, v21, 4, v63
	ds_add_u32 v21, v85
	s_or_b32 exec_lo, exec_lo, s17
	s_mov_b32 s17, exec_lo
	v_cmpx_gt_u32_e64 s16, v59
	s_cbranch_execz .LBB632_993
.LBB632_1009:                           ;   in Loop: Header=BB632_956 Depth=2
	v_xor_b32_e32 v21, 0x80000000, v6
	v_lshrrev_b32_e32 v21, s41, v21
	v_and_b32_e32 v21, s62, v21
	v_lshl_or_b32 v21, v21, 4, v63
	ds_add_u32 v21, v85
	s_or_b32 exec_lo, exec_lo, s17
	s_mov_b32 s17, exec_lo
	v_cmpx_gt_u32_e64 s16, v60
	s_cbranch_execz .LBB632_994
.LBB632_1010:                           ;   in Loop: Header=BB632_956 Depth=2
	v_xor_b32_e32 v21, 0x80000000, v5
	v_lshrrev_b32_e32 v21, s41, v21
	v_and_b32_e32 v21, s62, v21
	v_lshl_or_b32 v21, v21, 4, v63
	ds_add_u32 v21, v85
	s_or_b32 exec_lo, exec_lo, s17
	v_cmp_gt_u32_e32 vcc_lo, s16, v61
	s_and_saveexec_b32 s16, vcc_lo
	s_cbranch_execz .LBB632_955
.LBB632_1011:                           ;   in Loop: Header=BB632_956 Depth=2
	v_xor_b32_e32 v21, 0x80000000, v3
	v_lshrrev_b32_e32 v21, s41, v21
	v_and_b32_e32 v21, s62, v21
	v_lshl_or_b32 v21, v21, 4, v63
	ds_add_u32 v21, v85
	s_branch .LBB632_955
.LBB632_1012:                           ;   in Loop: Header=BB632_956 Depth=2
	global_load_dword v20, v91, s[16:17]
	s_or_b32 exec_lo, exec_lo, s19
	s_mov_b32 s19, exec_lo
	v_cmpx_gt_u32_e64 s5, v44
	s_cbranch_execz .LBB632_961
.LBB632_1013:                           ;   in Loop: Header=BB632_956 Depth=2
	global_load_dword v19, v91, s[16:17] offset:1024
	s_or_b32 exec_lo, exec_lo, s19
	s_mov_b32 s19, exec_lo
	v_cmpx_gt_u32_e64 s5, v47
	s_cbranch_execz .LBB632_962
.LBB632_1014:                           ;   in Loop: Header=BB632_956 Depth=2
	global_load_dword v18, v92, s[16:17]
	s_or_b32 exec_lo, exec_lo, s19
	s_mov_b32 s19, exec_lo
	v_cmpx_gt_u32_e64 s5, v48
	s_cbranch_execz .LBB632_963
.LBB632_1015:                           ;   in Loop: Header=BB632_956 Depth=2
	global_load_dword v17, v93, s[16:17]
	s_or_b32 exec_lo, exec_lo, s19
	s_mov_b32 s19, exec_lo
	v_cmpx_gt_u32_e64 s5, v49
	s_cbranch_execz .LBB632_964
.LBB632_1016:                           ;   in Loop: Header=BB632_956 Depth=2
	global_load_dword v16, v94, s[16:17]
	s_or_b32 exec_lo, exec_lo, s19
	s_mov_b32 s19, exec_lo
	v_cmpx_gt_u32_e64 s5, v50
	s_cbranch_execz .LBB632_965
.LBB632_1017:                           ;   in Loop: Header=BB632_956 Depth=2
	global_load_dword v15, v95, s[16:17]
	s_or_b32 exec_lo, exec_lo, s19
	s_mov_b32 s19, exec_lo
	v_cmpx_gt_u32_e64 s5, v51
	s_cbranch_execz .LBB632_966
.LBB632_1018:                           ;   in Loop: Header=BB632_956 Depth=2
	global_load_dword v14, v96, s[16:17]
	s_or_b32 exec_lo, exec_lo, s19
	s_mov_b32 s19, exec_lo
	v_cmpx_gt_u32_e64 s5, v52
	s_cbranch_execz .LBB632_967
.LBB632_1019:                           ;   in Loop: Header=BB632_956 Depth=2
	global_load_dword v13, v97, s[16:17]
	s_or_b32 exec_lo, exec_lo, s19
	s_mov_b32 s19, exec_lo
	v_cmpx_gt_u32_e64 s5, v53
	s_cbranch_execz .LBB632_968
.LBB632_1020:                           ;   in Loop: Header=BB632_956 Depth=2
	global_load_dword v12, v98, s[16:17]
	s_or_b32 exec_lo, exec_lo, s19
	s_mov_b32 s19, exec_lo
	v_cmpx_gt_u32_e64 s5, v54
	s_cbranch_execz .LBB632_969
.LBB632_1021:                           ;   in Loop: Header=BB632_956 Depth=2
	global_load_dword v11, v99, s[16:17]
	s_or_b32 exec_lo, exec_lo, s19
	s_mov_b32 s19, exec_lo
	v_cmpx_gt_u32_e64 s5, v55
	s_cbranch_execz .LBB632_970
.LBB632_1022:                           ;   in Loop: Header=BB632_956 Depth=2
	global_load_dword v10, v100, s[16:17]
	s_or_b32 exec_lo, exec_lo, s19
	s_mov_b32 s19, exec_lo
	v_cmpx_gt_u32_e64 s5, v56
	s_cbranch_execz .LBB632_971
.LBB632_1023:                           ;   in Loop: Header=BB632_956 Depth=2
	global_load_dword v9, v101, s[16:17]
	s_or_b32 exec_lo, exec_lo, s19
	s_mov_b32 s19, exec_lo
	v_cmpx_gt_u32_e64 s5, v57
	s_cbranch_execz .LBB632_972
.LBB632_1024:                           ;   in Loop: Header=BB632_956 Depth=2
	global_load_dword v8, v102, s[16:17]
	s_or_b32 exec_lo, exec_lo, s19
	s_mov_b32 s19, exec_lo
	v_cmpx_gt_u32_e64 s5, v58
	s_cbranch_execz .LBB632_973
.LBB632_1025:                           ;   in Loop: Header=BB632_956 Depth=2
	global_load_dword v7, v103, s[16:17]
	s_or_b32 exec_lo, exec_lo, s19
	s_mov_b32 s19, exec_lo
	v_cmpx_gt_u32_e64 s5, v59
	s_cbranch_execz .LBB632_974
.LBB632_1026:                           ;   in Loop: Header=BB632_956 Depth=2
	global_load_dword v6, v104, s[16:17]
	s_or_b32 exec_lo, exec_lo, s19
	s_mov_b32 s19, exec_lo
	v_cmpx_gt_u32_e64 s5, v60
	s_cbranch_execz .LBB632_975
.LBB632_1027:                           ;   in Loop: Header=BB632_956 Depth=2
	global_load_dword v5, v105, s[16:17]
	s_or_b32 exec_lo, exec_lo, s19
	s_mov_b32 s19, exec_lo
	v_cmpx_gt_u32_e64 s5, v61
	s_cbranch_execnz .LBB632_976
	s_branch .LBB632_977
.LBB632_1028:                           ;   in Loop: Header=BB632_20 Depth=1
	v_mov_b32_e32 v3, 0
	s_waitcnt lgkmcnt(0)
	s_barrier
	buffer_gl0_inv
	s_and_saveexec_b32 s5, s8
	s_cbranch_execz .LBB632_1030
; %bb.1029:                             ;   in Loop: Header=BB632_20 Depth=1
	ds_read2_b64 v[5:8], v64 offset1:1
	s_waitcnt lgkmcnt(0)
	v_add_nc_u32_e32 v3, v6, v5
	v_add3_u32 v3, v3, v7, v8
.LBB632_1030:                           ;   in Loop: Header=BB632_20 Depth=1
	s_or_b32 exec_lo, exec_lo, s5
	v_mov_b32_dpp v5, v3 row_shr:1 row_mask:0xf bank_mask:0xf
	v_cmp_eq_u32_e64 s5, 0, v86
	v_cmp_lt_u32_e64 s16, 1, v86
	v_cmp_lt_u32_e64 s17, 3, v86
	;; [unrolled: 1-line block ×3, first 2 shown]
	v_cmp_eq_u32_e64 s19, 0, v88
	v_cndmask_b32_e64 v5, v5, 0, s5
	v_add_nc_u32_e32 v3, v5, v3
	v_mov_b32_dpp v5, v3 row_shr:2 row_mask:0xf bank_mask:0xf
	v_cndmask_b32_e64 v5, 0, v5, s16
	v_add_nc_u32_e32 v3, v3, v5
	v_mov_b32_dpp v5, v3 row_shr:4 row_mask:0xf bank_mask:0xf
	;; [unrolled: 3-line block ×3, first 2 shown]
	v_cndmask_b32_e64 v5, 0, v5, s18
	v_add_nc_u32_e32 v3, v3, v5
	ds_swizzle_b32 v5, v3 offset:swizzle(BROADCAST,32,15)
	s_waitcnt lgkmcnt(0)
	v_and_b32_e32 v5, v87, v5
	v_add_nc_u32_e32 v3, v3, v5
	s_and_saveexec_b32 s20, s9
; %bb.1031:                             ;   in Loop: Header=BB632_20 Depth=1
	ds_write_b32 v65, v3
; %bb.1032:                             ;   in Loop: Header=BB632_20 Depth=1
	s_or_b32 exec_lo, exec_lo, s20
	s_waitcnt lgkmcnt(0)
	s_barrier
	buffer_gl0_inv
	s_and_saveexec_b32 s20, s10
	s_cbranch_execz .LBB632_1034
; %bb.1033:                             ;   in Loop: Header=BB632_20 Depth=1
	ds_read_b32 v5, v66
	v_cmp_ne_u32_e32 vcc_lo, 0, v89
	s_waitcnt lgkmcnt(0)
	v_mov_b32_dpp v6, v5 row_shr:1 row_mask:0xf bank_mask:0xf
	v_cndmask_b32_e32 v6, 0, v6, vcc_lo
	v_cmp_lt_u32_e32 vcc_lo, 1, v89
	v_add_nc_u32_e32 v5, v6, v5
	v_mov_b32_dpp v6, v5 row_shr:2 row_mask:0xf bank_mask:0xf
	v_cndmask_b32_e32 v6, 0, v6, vcc_lo
	v_add_nc_u32_e32 v5, v5, v6
	ds_write_b32 v66, v5
.LBB632_1034:                           ;   in Loop: Header=BB632_20 Depth=1
	s_or_b32 exec_lo, exec_lo, s20
	v_mov_b32_e32 v5, 0
	s_waitcnt lgkmcnt(0)
	s_barrier
	buffer_gl0_inv
	s_and_saveexec_b32 s20, s11
; %bb.1035:                             ;   in Loop: Header=BB632_20 Depth=1
	ds_read_b32 v5, v67
; %bb.1036:                             ;   in Loop: Header=BB632_20 Depth=1
	s_or_b32 exec_lo, exec_lo, s20
	v_cmp_gt_i32_e32 vcc_lo, 0, v90
	s_waitcnt lgkmcnt(0)
	v_add_nc_u32_e32 v3, v5, v3
	s_barrier
	buffer_gl0_inv
	v_cndmask_b32_e32 v6, v90, v82, vcc_lo
	v_lshlrev_b32_e32 v131, 2, v6
	ds_bpermute_b32 v3, v131, v3
	s_and_saveexec_b32 s20, s8
	s_cbranch_execz .LBB632_1038
; %bb.1037:                             ;   in Loop: Header=BB632_20 Depth=1
	s_waitcnt lgkmcnt(0)
	v_cndmask_b32_e64 v3, v3, v5, s15
	v_add_nc_u32_e32 v3, s58, v3
	ds_write_b32 v43, v3
.LBB632_1038:                           ;   in Loop: Header=BB632_20 Depth=1
	s_or_b32 exec_lo, exec_lo, s20
	s_load_dwordx2 s[20:21], s[56:57], 0x0
	v_add_co_u32 v132, vcc_lo, v80, v106
	v_add_co_ci_u32_e64 v133, null, 0, v81, vcc_lo
	v_add_co_u32 v134, vcc_lo, v83, v125
	v_add_co_ci_u32_e64 v135, null, 0, v84, vcc_lo
	s_mov_b32 s63, s60
	s_mov_b32 s50, s58
                                        ; implicit-def: $vgpr7_vgpr8
                                        ; implicit-def: $vgpr9_vgpr10
                                        ; implicit-def: $vgpr11_vgpr12
                                        ; implicit-def: $vgpr13_vgpr14
                                        ; implicit-def: $vgpr15_vgpr16
                                        ; implicit-def: $vgpr19_vgpr20
                                        ; implicit-def: $vgpr23_vgpr24
                                        ; implicit-def: $vgpr27_vgpr28
                                        ; implicit-def: $vgpr17_vgpr18
                                        ; implicit-def: $vgpr21_vgpr22
                                        ; implicit-def: $vgpr25_vgpr26
                                        ; implicit-def: $vgpr29_vgpr30
                                        ; implicit-def: $vgpr31_vgpr32
                                        ; implicit-def: $vgpr33_vgpr34
                                        ; implicit-def: $vgpr35_vgpr36
                                        ; implicit-def: $vgpr37_vgpr38
                                        ; implicit-def: $vgpr137
                                        ; implicit-def: $vgpr138
                                        ; implicit-def: $vgpr139
                                        ; implicit-def: $vgpr140
                                        ; implicit-def: $vgpr141
                                        ; implicit-def: $vgpr142
                                        ; implicit-def: $vgpr143
                                        ; implicit-def: $vgpr144
                                        ; implicit-def: $vgpr145
                                        ; implicit-def: $vgpr146
                                        ; implicit-def: $vgpr147
                                        ; implicit-def: $vgpr148
                                        ; implicit-def: $vgpr149
                                        ; implicit-def: $vgpr150
                                        ; implicit-def: $vgpr151
                                        ; implicit-def: $vgpr153
                                        ; implicit-def: $vgpr154
                                        ; implicit-def: $vgpr152
                                        ; implicit-def: $vgpr155
	s_waitcnt lgkmcnt(0)
	s_cmp_lt_u32 s7, s21
	s_cselect_b32 s21, 14, 20
	s_add_u32 s22, s56, s21
	s_addc_u32 s23, s57, 0
	s_cmp_lt_u32 s6, s20
	global_load_ushort v3, v4, s[22:23]
	s_cselect_b32 s20, 12, 18
	s_add_u32 s20, s56, s20
	s_addc_u32 s21, s57, 0
	global_load_ushort v5, v4, s[20:21]
	v_cmp_eq_u32_e64 s20, 0, v108
	v_cmp_lt_u32_e64 s21, 1, v108
	v_cmp_lt_u32_e64 s22, 3, v108
	s_waitcnt vmcnt(1)
	v_mad_u32_u24 v3, v2, v3, v1
	s_waitcnt vmcnt(0)
	v_mad_u64_u32 v[5:6], null, v3, v5, v[0:1]
	v_lshrrev_b32_e32 v3, 3, v5
                                        ; implicit-def: $vgpr5_vgpr6
	v_and_b32_e32 v136, 0x1ffffffc, v3
	s_branch .LBB632_1040
.LBB632_1039:                           ;   in Loop: Header=BB632_1040 Depth=2
	s_or_b32 exec_lo, exec_lo, s23
	s_addk_i32 s63, 0xef00
	s_cmp_lt_u32 s64, s59
	s_mov_b32 s50, s64
	s_cbranch_scc0 .LBB632_18
.LBB632_1040:                           ;   Parent Loop BB632_20 Depth=1
                                        ; =>  This Inner Loop Header: Depth=2
	s_add_i32 s64, s50, 0x1100
	s_cmp_gt_u32 s64, s59
	s_cbranch_scc1 .LBB632_1042
; %bb.1041:                             ;   in Loop: Header=BB632_1040 Depth=2
	s_lshl_b64 s[24:25], s[50:51], 2
	s_mov_b32 s23, -1
	v_add_co_u32 v39, vcc_lo, v134, s24
	v_add_co_ci_u32_e64 v40, null, s25, v135, vcc_lo
	s_clause 0xf
	global_load_dword v157, v[39:40], off
	global_load_dword v158, v[39:40], off offset:128
	global_load_dword v161, v[39:40], off offset:256
	;; [unrolled: 1-line block ×15, first 2 shown]
	s_movk_i32 s24, 0x1100
	s_cbranch_execz .LBB632_1043
	s_branch .LBB632_1076
.LBB632_1042:                           ;   in Loop: Header=BB632_1040 Depth=2
	s_mov_b32 s23, 0
                                        ; implicit-def: $vgpr157
                                        ; implicit-def: $vgpr158
                                        ; implicit-def: $vgpr161
                                        ; implicit-def: $vgpr165
                                        ; implicit-def: $vgpr170
                                        ; implicit-def: $vgpr175
                                        ; implicit-def: $vgpr180
                                        ; implicit-def: $vgpr185
                                        ; implicit-def: $vgpr190
                                        ; implicit-def: $vgpr188
                                        ; implicit-def: $vgpr183
                                        ; implicit-def: $vgpr178
                                        ; implicit-def: $vgpr174
                                        ; implicit-def: $vgpr169
                                        ; implicit-def: $vgpr42
                                        ; implicit-def: $vgpr41
	s_movk_i32 s24, 0x1100
.LBB632_1043:                           ;   in Loop: Header=BB632_1040 Depth=2
	s_lshl_b64 s[24:25], s[50:51], 2
	s_waitcnt vmcnt(14)
	v_bfrev_b32_e32 v158, -2
	v_add_co_u32 v39, vcc_lo, v134, s24
	v_add_co_ci_u32_e64 v40, null, s25, v135, vcc_lo
	v_bfrev_b32_e32 v157, -2
	s_mov_b32 s23, exec_lo
	v_cmpx_gt_u32_e64 s63, v109
	s_cbranch_execz .LBB632_1045
; %bb.1044:                             ;   in Loop: Header=BB632_1040 Depth=2
	global_load_dword v157, v[39:40], off
.LBB632_1045:                           ;   in Loop: Header=BB632_1040 Depth=2
	s_or_b32 exec_lo, exec_lo, s23
	s_mov_b32 s23, exec_lo
	v_cmpx_gt_u32_e64 s63, v112
	s_cbranch_execz .LBB632_1047
; %bb.1046:                             ;   in Loop: Header=BB632_1040 Depth=2
	global_load_dword v158, v[39:40], off offset:128
.LBB632_1047:                           ;   in Loop: Header=BB632_1040 Depth=2
	s_or_b32 exec_lo, exec_lo, s23
	s_waitcnt vmcnt(12)
	v_bfrev_b32_e32 v165, -2
	v_bfrev_b32_e32 v161, -2
	s_mov_b32 s23, exec_lo
	v_cmpx_gt_u32_e64 s63, v113
	s_cbranch_execz .LBB632_1049
; %bb.1048:                             ;   in Loop: Header=BB632_1040 Depth=2
	global_load_dword v161, v[39:40], off offset:256
.LBB632_1049:                           ;   in Loop: Header=BB632_1040 Depth=2
	s_or_b32 exec_lo, exec_lo, s23
	s_mov_b32 s23, exec_lo
	v_cmpx_gt_u32_e64 s63, v114
	s_cbranch_execz .LBB632_1051
; %bb.1050:                             ;   in Loop: Header=BB632_1040 Depth=2
	global_load_dword v165, v[39:40], off offset:384
.LBB632_1051:                           ;   in Loop: Header=BB632_1040 Depth=2
	s_or_b32 exec_lo, exec_lo, s23
	s_waitcnt vmcnt(10)
	v_bfrev_b32_e32 v175, -2
	v_bfrev_b32_e32 v170, -2
	s_mov_b32 s23, exec_lo
	v_cmpx_gt_u32_e64 s63, v115
	s_cbranch_execz .LBB632_1053
; %bb.1052:                             ;   in Loop: Header=BB632_1040 Depth=2
	global_load_dword v170, v[39:40], off offset:512
.LBB632_1053:                           ;   in Loop: Header=BB632_1040 Depth=2
	;; [unrolled: 17-line block ×7, first 2 shown]
	s_or_b32 exec_lo, exec_lo, s23
	s_mov_b32 s23, exec_lo
	v_cmpx_gt_u32_e64 s63, v127
	s_cbranch_execz .LBB632_1075
; %bb.1074:                             ;   in Loop: Header=BB632_1040 Depth=2
	global_load_dword v41, v[39:40], off offset:1920
.LBB632_1075:                           ;   in Loop: Header=BB632_1040 Depth=2
	s_or_b32 exec_lo, exec_lo, s23
	v_cmp_gt_u32_e64 s23, s63, v128
	s_sub_i32 s24, s59, s50
.LBB632_1076:                           ;   in Loop: Header=BB632_1040 Depth=2
	v_mov_b32_e32 v3, -1
	v_mov_b32_e32 v156, s63
	s_and_saveexec_b32 s25, s23
	s_cbranch_execz .LBB632_1078
; %bb.1077:                             ;   in Loop: Header=BB632_1040 Depth=2
	s_lshl_b64 s[26:27], s[50:51], 2
	v_mov_b32_e32 v156, s24
	v_add_co_u32 v3, vcc_lo, v134, s26
	v_add_co_ci_u32_e64 v40, null, s27, v135, vcc_lo
	v_add_co_u32 v39, vcc_lo, 0x800, v3
	v_add_co_ci_u32_e64 v40, null, 0, v40, vcc_lo
	global_load_dword v3, v[39:40], off
	s_waitcnt vmcnt(0)
	v_xor_b32_e32 v3, 0x80000000, v3
.LBB632_1078:                           ;   in Loop: Header=BB632_1040 Depth=2
	s_or_b32 exec_lo, exec_lo, s25
	s_waitcnt vmcnt(15)
	v_xor_b32_e32 v157, 0x80000000, v157
	ds_write2_b32 v68, v4, v4 offset0:136 offset1:137
	ds_write2_b32 v68, v4, v4 offset0:138 offset1:139
	ds_write_b32 v68, v4 offset:560
	s_waitcnt vmcnt(0) lgkmcnt(0)
	s_barrier
	v_lshrrev_b32_e32 v39, s41, v157
	buffer_gl0_inv
	; wave barrier
	v_and_b32_e32 v40, s62, v39
	v_and_b32_e32 v39, 1, v40
	v_lshlrev_b32_e32 v159, 30, v40
	v_lshlrev_b32_e32 v160, 29, v40
	;; [unrolled: 1-line block ×4, first 2 shown]
	v_add_co_u32 v39, s23, v39, -1
	v_cndmask_b32_e64 v162, 0, 1, s23
	v_not_b32_e32 v167, v159
	v_cmp_gt_i32_e64 s23, 0, v159
	v_not_b32_e32 v159, v160
	v_lshlrev_b32_e32 v166, 26, v40
	v_cmp_ne_u32_e32 vcc_lo, 0, v162
	v_ashrrev_i32_e32 v167, 31, v167
	v_lshlrev_b32_e32 v162, 25, v40
	v_ashrrev_i32_e32 v159, 31, v159
	v_mul_u32_u24_e32 v40, 36, v40
	v_xor_b32_e32 v39, vcc_lo, v39
	v_cmp_gt_i32_e32 vcc_lo, 0, v160
	v_not_b32_e32 v160, v163
	v_xor_b32_e32 v167, s23, v167
	v_cmp_gt_i32_e64 s23, 0, v163
	v_and_b32_e32 v39, exec_lo, v39
	v_not_b32_e32 v163, v164
	v_ashrrev_i32_e32 v160, 31, v160
	v_xor_b32_e32 v159, vcc_lo, v159
	v_cmp_gt_i32_e32 vcc_lo, 0, v164
	v_and_b32_e32 v39, v39, v167
	v_not_b32_e32 v164, v166
	v_ashrrev_i32_e32 v163, 31, v163
	v_xor_b32_e32 v160, s23, v160
	v_cmp_gt_i32_e64 s23, 0, v166
	v_and_b32_e32 v39, v39, v159
	v_not_b32_e32 v159, v162
	v_ashrrev_i32_e32 v164, 31, v164
	v_xor_b32_e32 v163, vcc_lo, v163
	v_cmp_gt_i32_e32 vcc_lo, 0, v162
	v_and_b32_e32 v39, v39, v160
	v_ashrrev_i32_e32 v159, 31, v159
	v_xor_b32_e32 v160, s23, v164
	v_and_b32_e32 v39, v39, v163
	v_xor_b32_e32 v159, vcc_lo, v159
	v_and_b32_e32 v39, v39, v160
	v_add_nc_u32_e32 v160, v136, v40
	v_and_b32_e32 v39, v39, v159
	v_mbcnt_lo_u32_b32 v159, v39, 0
	v_cmp_ne_u32_e64 s23, 0, v39
	v_cmp_eq_u32_e32 vcc_lo, 0, v159
	s_and_b32 s24, s23, vcc_lo
	s_and_saveexec_b32 s23, s24
; %bb.1079:                             ;   in Loop: Header=BB632_1040 Depth=2
	v_bcnt_u32_b32 v39, v39, 0
	ds_write_b32 v160, v39 offset:544
; %bb.1080:                             ;   in Loop: Header=BB632_1040 Depth=2
	s_or_b32 exec_lo, exec_lo, s23
	v_xor_b32_e32 v158, 0x80000000, v158
	; wave barrier
	v_lshrrev_b32_e32 v39, s41, v158
	v_and_b32_e32 v40, s62, v39
	v_and_b32_e32 v39, 1, v40
	v_lshlrev_b32_e32 v162, 30, v40
	v_lshlrev_b32_e32 v163, 29, v40
	v_lshlrev_b32_e32 v166, 28, v40
	v_lshlrev_b32_e32 v167, 27, v40
	v_add_co_u32 v39, s23, v39, -1
	v_cndmask_b32_e64 v164, 0, 1, s23
	v_not_b32_e32 v171, v162
	v_cmp_gt_i32_e64 s23, 0, v162
	v_not_b32_e32 v162, v163
	v_lshlrev_b32_e32 v168, 26, v40
	v_cmp_ne_u32_e32 vcc_lo, 0, v164
	v_ashrrev_i32_e32 v171, 31, v171
	v_lshlrev_b32_e32 v164, 25, v40
	v_ashrrev_i32_e32 v162, 31, v162
	v_xor_b32_e32 v39, vcc_lo, v39
	v_cmp_gt_i32_e32 vcc_lo, 0, v163
	v_not_b32_e32 v163, v166
	v_xor_b32_e32 v171, s23, v171
	v_cmp_gt_i32_e64 s23, 0, v166
	v_and_b32_e32 v39, exec_lo, v39
	v_not_b32_e32 v166, v167
	v_ashrrev_i32_e32 v163, 31, v163
	v_xor_b32_e32 v162, vcc_lo, v162
	v_cmp_gt_i32_e32 vcc_lo, 0, v167
	v_and_b32_e32 v39, v39, v171
	v_not_b32_e32 v167, v168
	v_ashrrev_i32_e32 v166, 31, v166
	v_xor_b32_e32 v163, s23, v163
	v_cmp_gt_i32_e64 s23, 0, v168
	v_and_b32_e32 v39, v39, v162
	v_not_b32_e32 v162, v164
	v_ashrrev_i32_e32 v167, 31, v167
	v_xor_b32_e32 v166, vcc_lo, v166
	v_cmp_gt_i32_e32 vcc_lo, 0, v164
	v_and_b32_e32 v39, v39, v163
	v_ashrrev_i32_e32 v162, 31, v162
	v_xor_b32_e32 v163, s23, v167
	v_mad_u32_u24 v164, v40, 36, v136
	v_mul_u32_u24_e32 v40, 36, v40
	v_and_b32_e32 v39, v39, v166
	v_xor_b32_e32 v166, vcc_lo, v162
	ds_read_b32 v162, v164 offset:544
	v_add_nc_u32_e32 v164, v136, v40
	v_and_b32_e32 v39, v39, v163
	; wave barrier
	v_and_b32_e32 v39, v39, v166
	v_mbcnt_lo_u32_b32 v163, v39, 0
	v_cmp_ne_u32_e64 s23, 0, v39
	v_cmp_eq_u32_e32 vcc_lo, 0, v163
	s_and_b32 s24, s23, vcc_lo
	s_and_saveexec_b32 s23, s24
	s_cbranch_execz .LBB632_1082
; %bb.1081:                             ;   in Loop: Header=BB632_1040 Depth=2
	s_waitcnt lgkmcnt(0)
	v_bcnt_u32_b32 v39, v39, v162
	ds_write_b32 v164, v39 offset:544
.LBB632_1082:                           ;   in Loop: Header=BB632_1040 Depth=2
	s_or_b32 exec_lo, exec_lo, s23
	v_xor_b32_e32 v161, 0x80000000, v161
	; wave barrier
	v_lshrrev_b32_e32 v39, s41, v161
	v_and_b32_e32 v40, s62, v39
	v_and_b32_e32 v39, 1, v40
	v_lshlrev_b32_e32 v166, 30, v40
	v_lshlrev_b32_e32 v167, 29, v40
	v_lshlrev_b32_e32 v171, 28, v40
	v_lshlrev_b32_e32 v172, 27, v40
	v_add_co_u32 v39, s23, v39, -1
	v_cndmask_b32_e64 v168, 0, 1, s23
	v_not_b32_e32 v176, v166
	v_cmp_gt_i32_e64 s23, 0, v166
	v_not_b32_e32 v166, v167
	v_lshlrev_b32_e32 v173, 26, v40
	v_cmp_ne_u32_e32 vcc_lo, 0, v168
	v_ashrrev_i32_e32 v176, 31, v176
	v_lshlrev_b32_e32 v168, 25, v40
	v_ashrrev_i32_e32 v166, 31, v166
	v_xor_b32_e32 v39, vcc_lo, v39
	v_cmp_gt_i32_e32 vcc_lo, 0, v167
	v_not_b32_e32 v167, v171
	v_xor_b32_e32 v176, s23, v176
	v_cmp_gt_i32_e64 s23, 0, v171
	v_and_b32_e32 v39, exec_lo, v39
	v_not_b32_e32 v171, v172
	v_ashrrev_i32_e32 v167, 31, v167
	v_xor_b32_e32 v166, vcc_lo, v166
	v_cmp_gt_i32_e32 vcc_lo, 0, v172
	v_and_b32_e32 v39, v39, v176
	v_not_b32_e32 v172, v173
	v_ashrrev_i32_e32 v171, 31, v171
	v_xor_b32_e32 v167, s23, v167
	v_cmp_gt_i32_e64 s23, 0, v173
	v_and_b32_e32 v39, v39, v166
	v_not_b32_e32 v166, v168
	v_ashrrev_i32_e32 v172, 31, v172
	v_xor_b32_e32 v171, vcc_lo, v171
	v_cmp_gt_i32_e32 vcc_lo, 0, v168
	v_and_b32_e32 v39, v39, v167
	v_ashrrev_i32_e32 v166, 31, v166
	v_xor_b32_e32 v167, s23, v172
	v_mad_u32_u24 v168, v40, 36, v136
	v_mul_u32_u24_e32 v40, 36, v40
	v_and_b32_e32 v39, v39, v171
	v_xor_b32_e32 v171, vcc_lo, v166
	ds_read_b32 v166, v168 offset:544
	v_add_nc_u32_e32 v168, v136, v40
	v_and_b32_e32 v39, v39, v167
	; wave barrier
	v_and_b32_e32 v39, v39, v171
	v_mbcnt_lo_u32_b32 v167, v39, 0
	v_cmp_ne_u32_e64 s23, 0, v39
	v_cmp_eq_u32_e32 vcc_lo, 0, v167
	s_and_b32 s24, s23, vcc_lo
	s_and_saveexec_b32 s23, s24
	s_cbranch_execz .LBB632_1084
; %bb.1083:                             ;   in Loop: Header=BB632_1040 Depth=2
	s_waitcnt lgkmcnt(0)
	v_bcnt_u32_b32 v39, v39, v166
	ds_write_b32 v168, v39 offset:544
.LBB632_1084:                           ;   in Loop: Header=BB632_1040 Depth=2
	;; [unrolled: 63-line block ×9, first 2 shown]
	s_or_b32 exec_lo, exec_lo, s23
	v_xor_b32_e32 v183, 0x80000000, v183
	; wave barrier
	v_lshrrev_b32_e32 v39, s41, v183
	v_and_b32_e32 v40, s62, v39
	v_and_b32_e32 v39, 1, v40
	v_lshlrev_b32_e32 v200, 30, v40
	v_lshlrev_b32_e32 v201, 29, v40
	;; [unrolled: 1-line block ×4, first 2 shown]
	v_add_co_u32 v39, s23, v39, -1
	v_cndmask_b32_e64 v202, 0, 1, s23
	v_not_b32_e32 v206, v200
	v_cmp_gt_i32_e64 s23, 0, v200
	v_not_b32_e32 v200, v201
	v_lshlrev_b32_e32 v205, 26, v40
	v_cmp_ne_u32_e32 vcc_lo, 0, v202
	v_ashrrev_i32_e32 v206, 31, v206
	v_lshlrev_b32_e32 v202, 25, v40
	v_ashrrev_i32_e32 v200, 31, v200
	v_xor_b32_e32 v39, vcc_lo, v39
	v_cmp_gt_i32_e32 vcc_lo, 0, v201
	v_not_b32_e32 v201, v203
	v_xor_b32_e32 v206, s23, v206
	v_cmp_gt_i32_e64 s23, 0, v203
	v_and_b32_e32 v39, exec_lo, v39
	v_not_b32_e32 v203, v204
	v_ashrrev_i32_e32 v201, 31, v201
	v_xor_b32_e32 v200, vcc_lo, v200
	v_cmp_gt_i32_e32 vcc_lo, 0, v204
	v_and_b32_e32 v39, v39, v206
	v_not_b32_e32 v204, v205
	v_ashrrev_i32_e32 v203, 31, v203
	v_xor_b32_e32 v201, s23, v201
	v_cmp_gt_i32_e64 s23, 0, v205
	v_and_b32_e32 v39, v39, v200
	v_not_b32_e32 v200, v202
	v_ashrrev_i32_e32 v204, 31, v204
	v_xor_b32_e32 v203, vcc_lo, v203
	v_cmp_gt_i32_e32 vcc_lo, 0, v202
	v_and_b32_e32 v39, v39, v201
	v_ashrrev_i32_e32 v200, 31, v200
	v_xor_b32_e32 v201, s23, v204
	v_mad_u32_u24 v202, v40, 36, v136
	v_mul_u32_u24_e32 v40, 36, v40
	v_and_b32_e32 v39, v39, v203
	v_xor_b32_e32 v200, vcc_lo, v200
	v_add_nc_u32_e32 v203, v136, v40
	v_and_b32_e32 v39, v39, v201
	ds_read_b32 v201, v202 offset:544
	; wave barrier
	v_and_b32_e32 v39, v39, v200
	v_mbcnt_lo_u32_b32 v202, v39, 0
	v_cmp_ne_u32_e64 s23, 0, v39
	v_cmp_eq_u32_e32 vcc_lo, 0, v202
	s_and_b32 s24, s23, vcc_lo
	s_and_saveexec_b32 s23, s24
	s_cbranch_execz .LBB632_1100
; %bb.1099:                             ;   in Loop: Header=BB632_1040 Depth=2
	s_waitcnt lgkmcnt(0)
	v_bcnt_u32_b32 v39, v39, v201
	ds_write_b32 v203, v39 offset:544
.LBB632_1100:                           ;   in Loop: Header=BB632_1040 Depth=2
	s_or_b32 exec_lo, exec_lo, s23
	v_xor_b32_e32 v200, 0x80000000, v178
	; wave barrier
	v_lshrrev_b32_e32 v39, s41, v200
	v_and_b32_e32 v40, s62, v39
	v_and_b32_e32 v39, 1, v40
	v_lshlrev_b32_e32 v178, 30, v40
	v_lshlrev_b32_e32 v204, 29, v40
	v_lshlrev_b32_e32 v206, 28, v40
	v_lshlrev_b32_e32 v207, 27, v40
	v_add_co_u32 v39, s23, v39, -1
	v_cndmask_b32_e64 v205, 0, 1, s23
	v_not_b32_e32 v209, v178
	v_cmp_gt_i32_e64 s23, 0, v178
	v_not_b32_e32 v178, v204
	v_lshlrev_b32_e32 v208, 26, v40
	v_cmp_ne_u32_e32 vcc_lo, 0, v205
	v_ashrrev_i32_e32 v209, 31, v209
	v_lshlrev_b32_e32 v205, 25, v40
	v_ashrrev_i32_e32 v178, 31, v178
	v_xor_b32_e32 v39, vcc_lo, v39
	v_cmp_gt_i32_e32 vcc_lo, 0, v204
	v_not_b32_e32 v204, v206
	v_xor_b32_e32 v209, s23, v209
	v_cmp_gt_i32_e64 s23, 0, v206
	v_and_b32_e32 v39, exec_lo, v39
	v_not_b32_e32 v206, v207
	v_ashrrev_i32_e32 v204, 31, v204
	v_xor_b32_e32 v178, vcc_lo, v178
	v_cmp_gt_i32_e32 vcc_lo, 0, v207
	v_and_b32_e32 v39, v39, v209
	v_not_b32_e32 v207, v208
	v_ashrrev_i32_e32 v206, 31, v206
	v_xor_b32_e32 v204, s23, v204
	v_cmp_gt_i32_e64 s23, 0, v208
	v_and_b32_e32 v39, v39, v178
	v_not_b32_e32 v178, v205
	v_ashrrev_i32_e32 v207, 31, v207
	v_xor_b32_e32 v206, vcc_lo, v206
	v_cmp_gt_i32_e32 vcc_lo, 0, v205
	v_and_b32_e32 v39, v39, v204
	v_ashrrev_i32_e32 v178, 31, v178
	v_xor_b32_e32 v204, s23, v207
	v_mad_u32_u24 v205, v40, 36, v136
	v_mul_u32_u24_e32 v40, 36, v40
	v_and_b32_e32 v39, v39, v206
	v_xor_b32_e32 v178, vcc_lo, v178
	ds_read_b32 v205, v205 offset:544
	v_and_b32_e32 v39, v39, v204
	; wave barrier
	v_and_b32_e32 v39, v39, v178
	v_add_nc_u32_e32 v178, v136, v40
	v_mbcnt_lo_u32_b32 v206, v39, 0
	v_cmp_ne_u32_e64 s23, 0, v39
	v_cmp_eq_u32_e32 vcc_lo, 0, v206
	s_and_b32 s24, s23, vcc_lo
	s_and_saveexec_b32 s23, s24
	s_cbranch_execz .LBB632_1102
; %bb.1101:                             ;   in Loop: Header=BB632_1040 Depth=2
	s_waitcnt lgkmcnt(0)
	v_bcnt_u32_b32 v39, v39, v205
	ds_write_b32 v178, v39 offset:544
.LBB632_1102:                           ;   in Loop: Header=BB632_1040 Depth=2
	s_or_b32 exec_lo, exec_lo, s23
	v_xor_b32_e32 v204, 0x80000000, v174
	; wave barrier
	v_lshrrev_b32_e32 v39, s41, v204
	v_and_b32_e32 v40, s62, v39
	v_and_b32_e32 v39, 1, v40
	v_lshlrev_b32_e32 v174, 30, v40
	v_lshlrev_b32_e32 v207, 29, v40
	v_lshlrev_b32_e32 v209, 28, v40
	v_lshlrev_b32_e32 v210, 27, v40
	v_add_co_u32 v39, s23, v39, -1
	v_cndmask_b32_e64 v208, 0, 1, s23
	v_not_b32_e32 v212, v174
	v_cmp_gt_i32_e64 s23, 0, v174
	v_not_b32_e32 v174, v207
	v_lshlrev_b32_e32 v211, 26, v40
	v_cmp_ne_u32_e32 vcc_lo, 0, v208
	v_ashrrev_i32_e32 v212, 31, v212
	v_lshlrev_b32_e32 v208, 25, v40
	v_ashrrev_i32_e32 v174, 31, v174
	v_xor_b32_e32 v39, vcc_lo, v39
	v_cmp_gt_i32_e32 vcc_lo, 0, v207
	v_not_b32_e32 v207, v209
	v_xor_b32_e32 v212, s23, v212
	v_cmp_gt_i32_e64 s23, 0, v209
	v_and_b32_e32 v39, exec_lo, v39
	v_not_b32_e32 v209, v210
	v_ashrrev_i32_e32 v207, 31, v207
	v_xor_b32_e32 v174, vcc_lo, v174
	v_cmp_gt_i32_e32 vcc_lo, 0, v210
	v_and_b32_e32 v39, v39, v212
	v_not_b32_e32 v210, v211
	v_ashrrev_i32_e32 v209, 31, v209
	v_xor_b32_e32 v207, s23, v207
	v_cmp_gt_i32_e64 s23, 0, v211
	v_and_b32_e32 v39, v39, v174
	v_not_b32_e32 v174, v208
	v_ashrrev_i32_e32 v210, 31, v210
	v_xor_b32_e32 v209, vcc_lo, v209
	v_cmp_gt_i32_e32 vcc_lo, 0, v208
	v_and_b32_e32 v39, v39, v207
	v_ashrrev_i32_e32 v174, 31, v174
	v_xor_b32_e32 v207, s23, v210
	v_mad_u32_u24 v208, v40, 36, v136
	v_mul_u32_u24_e32 v40, 36, v40
	v_and_b32_e32 v39, v39, v209
	v_xor_b32_e32 v174, vcc_lo, v174
	ds_read_b32 v208, v208 offset:544
	v_and_b32_e32 v39, v39, v207
	; wave barrier
	v_and_b32_e32 v39, v39, v174
	v_add_nc_u32_e32 v174, v136, v40
	;; [unrolled: 63-line block ×3, first 2 shown]
	v_mbcnt_lo_u32_b32 v212, v39, 0
	v_cmp_ne_u32_e64 s23, 0, v39
	v_cmp_eq_u32_e32 vcc_lo, 0, v212
	s_and_b32 s24, s23, vcc_lo
	s_and_saveexec_b32 s23, s24
	s_cbranch_execz .LBB632_1106
; %bb.1105:                             ;   in Loop: Header=BB632_1040 Depth=2
	s_waitcnt lgkmcnt(0)
	v_bcnt_u32_b32 v39, v39, v211
	ds_write_b32 v169, v39 offset:544
.LBB632_1106:                           ;   in Loop: Header=BB632_1040 Depth=2
	s_or_b32 exec_lo, exec_lo, s23
	v_xor_b32_e32 v210, 0x80000000, v42
	; wave barrier
	v_lshrrev_b32_e32 v39, s41, v210
	v_and_b32_e32 v40, s62, v39
	v_and_b32_e32 v39, 1, v40
	v_lshlrev_b32_e32 v42, 30, v40
	v_lshlrev_b32_e32 v213, 29, v40
	;; [unrolled: 1-line block ×4, first 2 shown]
	v_add_co_u32 v39, s23, v39, -1
	v_cndmask_b32_e64 v214, 0, 1, s23
	v_not_b32_e32 v218, v42
	v_cmp_gt_i32_e64 s23, 0, v42
	v_not_b32_e32 v42, v213
	v_lshlrev_b32_e32 v217, 26, v40
	v_cmp_ne_u32_e32 vcc_lo, 0, v214
	v_ashrrev_i32_e32 v218, 31, v218
	v_lshlrev_b32_e32 v214, 25, v40
	v_ashrrev_i32_e32 v42, 31, v42
	v_xor_b32_e32 v39, vcc_lo, v39
	v_cmp_gt_i32_e32 vcc_lo, 0, v213
	v_not_b32_e32 v213, v215
	v_xor_b32_e32 v218, s23, v218
	v_cmp_gt_i32_e64 s23, 0, v215
	v_and_b32_e32 v39, exec_lo, v39
	v_not_b32_e32 v215, v216
	v_ashrrev_i32_e32 v213, 31, v213
	v_xor_b32_e32 v42, vcc_lo, v42
	v_cmp_gt_i32_e32 vcc_lo, 0, v216
	v_and_b32_e32 v39, v39, v218
	v_not_b32_e32 v216, v217
	v_ashrrev_i32_e32 v215, 31, v215
	v_xor_b32_e32 v213, s23, v213
	v_cmp_gt_i32_e64 s23, 0, v217
	v_and_b32_e32 v39, v39, v42
	v_not_b32_e32 v42, v214
	v_ashrrev_i32_e32 v216, 31, v216
	v_xor_b32_e32 v215, vcc_lo, v215
	v_cmp_gt_i32_e32 vcc_lo, 0, v214
	v_and_b32_e32 v39, v39, v213
	v_ashrrev_i32_e32 v42, 31, v42
	v_xor_b32_e32 v213, s23, v216
	v_mad_u32_u24 v214, v40, 36, v136
	v_mul_u32_u24_e32 v40, 36, v40
	v_and_b32_e32 v39, v39, v215
	v_xor_b32_e32 v42, vcc_lo, v42
	ds_read_b32 v214, v214 offset:544
	v_add_nc_u32_e32 v216, v136, v40
	v_and_b32_e32 v39, v39, v213
	; wave barrier
	v_and_b32_e32 v39, v39, v42
	v_mbcnt_lo_u32_b32 v215, v39, 0
	v_cmp_ne_u32_e64 s23, 0, v39
	v_cmp_eq_u32_e32 vcc_lo, 0, v215
	s_and_b32 s24, s23, vcc_lo
	s_and_saveexec_b32 s23, s24
	s_cbranch_execz .LBB632_1108
; %bb.1107:                             ;   in Loop: Header=BB632_1040 Depth=2
	s_waitcnt lgkmcnt(0)
	v_bcnt_u32_b32 v39, v39, v214
	ds_write_b32 v216, v39 offset:544
.LBB632_1108:                           ;   in Loop: Header=BB632_1040 Depth=2
	s_or_b32 exec_lo, exec_lo, s23
	v_xor_b32_e32 v213, 0x80000000, v41
	; wave barrier
	v_lshrrev_b32_e32 v39, s41, v213
	v_and_b32_e32 v40, s62, v39
	v_and_b32_e32 v39, 1, v40
	v_lshlrev_b32_e32 v41, 30, v40
	v_lshlrev_b32_e32 v42, 29, v40
	;; [unrolled: 1-line block ×4, first 2 shown]
	v_add_co_u32 v39, s23, v39, -1
	v_cndmask_b32_e64 v217, 0, 1, s23
	v_not_b32_e32 v221, v41
	v_cmp_gt_i32_e64 s23, 0, v41
	v_not_b32_e32 v41, v42
	v_lshlrev_b32_e32 v220, 26, v40
	v_cmp_ne_u32_e32 vcc_lo, 0, v217
	v_ashrrev_i32_e32 v221, 31, v221
	v_lshlrev_b32_e32 v217, 25, v40
	v_ashrrev_i32_e32 v41, 31, v41
	v_xor_b32_e32 v39, vcc_lo, v39
	v_cmp_gt_i32_e32 vcc_lo, 0, v42
	v_not_b32_e32 v42, v218
	v_xor_b32_e32 v221, s23, v221
	v_cmp_gt_i32_e64 s23, 0, v218
	v_and_b32_e32 v39, exec_lo, v39
	v_not_b32_e32 v218, v219
	v_ashrrev_i32_e32 v42, 31, v42
	v_xor_b32_e32 v41, vcc_lo, v41
	v_cmp_gt_i32_e32 vcc_lo, 0, v219
	v_and_b32_e32 v39, v39, v221
	v_not_b32_e32 v219, v220
	v_ashrrev_i32_e32 v218, 31, v218
	v_xor_b32_e32 v42, s23, v42
	v_cmp_gt_i32_e64 s23, 0, v220
	v_and_b32_e32 v39, v39, v41
	v_not_b32_e32 v41, v217
	v_ashrrev_i32_e32 v219, 31, v219
	v_xor_b32_e32 v218, vcc_lo, v218
	v_cmp_gt_i32_e32 vcc_lo, 0, v217
	v_and_b32_e32 v39, v39, v42
	v_ashrrev_i32_e32 v41, 31, v41
	v_xor_b32_e32 v42, s23, v219
	v_mad_u32_u24 v217, v40, 36, v136
	v_mul_u32_u24_e32 v40, 36, v40
	v_and_b32_e32 v39, v39, v218
	v_xor_b32_e32 v41, vcc_lo, v41
	ds_read_b32 v217, v217 offset:544
	v_add_nc_u32_e32 v219, v136, v40
	v_and_b32_e32 v39, v39, v42
	; wave barrier
	v_and_b32_e32 v39, v39, v41
	v_mbcnt_lo_u32_b32 v218, v39, 0
	v_cmp_ne_u32_e64 s23, 0, v39
	v_cmp_eq_u32_e32 vcc_lo, 0, v218
	s_and_b32 s24, s23, vcc_lo
	s_and_saveexec_b32 s23, s24
	s_cbranch_execz .LBB632_1110
; %bb.1109:                             ;   in Loop: Header=BB632_1040 Depth=2
	s_waitcnt lgkmcnt(0)
	v_bcnt_u32_b32 v39, v39, v217
	ds_write_b32 v219, v39 offset:544
.LBB632_1110:                           ;   in Loop: Header=BB632_1040 Depth=2
	s_or_b32 exec_lo, exec_lo, s23
	v_lshrrev_b32_e32 v39, s41, v3
	; wave barrier
	v_and_b32_e32 v40, s62, v39
	v_and_b32_e32 v39, 1, v40
	v_lshlrev_b32_e32 v41, 30, v40
	v_lshlrev_b32_e32 v42, 29, v40
	;; [unrolled: 1-line block ×4, first 2 shown]
	v_add_co_u32 v39, s23, v39, -1
	v_cndmask_b32_e64 v220, 0, 1, s23
	v_not_b32_e32 v224, v41
	v_cmp_gt_i32_e64 s23, 0, v41
	v_not_b32_e32 v41, v42
	v_lshlrev_b32_e32 v223, 26, v40
	v_cmp_ne_u32_e32 vcc_lo, 0, v220
	v_ashrrev_i32_e32 v224, 31, v224
	v_lshlrev_b32_e32 v220, 25, v40
	v_ashrrev_i32_e32 v41, 31, v41
	v_xor_b32_e32 v39, vcc_lo, v39
	v_cmp_gt_i32_e32 vcc_lo, 0, v42
	v_not_b32_e32 v42, v221
	v_xor_b32_e32 v224, s23, v224
	v_cmp_gt_i32_e64 s23, 0, v221
	v_and_b32_e32 v39, exec_lo, v39
	v_not_b32_e32 v221, v222
	v_ashrrev_i32_e32 v42, 31, v42
	v_xor_b32_e32 v41, vcc_lo, v41
	v_cmp_gt_i32_e32 vcc_lo, 0, v222
	v_and_b32_e32 v39, v39, v224
	v_not_b32_e32 v222, v223
	v_ashrrev_i32_e32 v221, 31, v221
	v_xor_b32_e32 v42, s23, v42
	v_cmp_gt_i32_e64 s23, 0, v223
	v_and_b32_e32 v39, v39, v41
	v_not_b32_e32 v41, v220
	v_ashrrev_i32_e32 v222, 31, v222
	v_xor_b32_e32 v221, vcc_lo, v221
	v_cmp_gt_i32_e32 vcc_lo, 0, v220
	v_and_b32_e32 v39, v39, v42
	v_ashrrev_i32_e32 v41, 31, v41
	v_xor_b32_e32 v42, s23, v222
	v_mad_u32_u24 v220, v40, 36, v136
	v_mul_u32_u24_e32 v40, 36, v40
	v_and_b32_e32 v39, v39, v221
	v_xor_b32_e32 v41, vcc_lo, v41
	ds_read_b32 v220, v220 offset:544
	v_add_nc_u32_e32 v222, v136, v40
	v_and_b32_e32 v39, v39, v42
	; wave barrier
	v_and_b32_e32 v39, v39, v41
	v_mbcnt_lo_u32_b32 v221, v39, 0
	v_cmp_ne_u32_e64 s23, 0, v39
	v_cmp_eq_u32_e32 vcc_lo, 0, v221
	s_and_b32 s24, s23, vcc_lo
	s_and_saveexec_b32 s23, s24
	s_cbranch_execz .LBB632_1112
; %bb.1111:                             ;   in Loop: Header=BB632_1040 Depth=2
	s_waitcnt lgkmcnt(0)
	v_bcnt_u32_b32 v39, v39, v220
	ds_write_b32 v222, v39 offset:544
.LBB632_1112:                           ;   in Loop: Header=BB632_1040 Depth=2
	s_or_b32 exec_lo, exec_lo, s23
	; wave barrier
	s_waitcnt lgkmcnt(0)
	s_barrier
	buffer_gl0_inv
	ds_read2_b32 v[41:42], v68 offset0:136 offset1:137
	ds_read2_b32 v[39:40], v68 offset0:138 offset1:139
	ds_read_b32 v223, v68 offset:560
	s_waitcnt lgkmcnt(1)
	v_add3_u32 v224, v42, v41, v39
	s_waitcnt lgkmcnt(0)
	v_add3_u32 v223, v224, v40, v223
	v_mov_b32_dpp v224, v223 row_shr:1 row_mask:0xf bank_mask:0xf
	v_cndmask_b32_e64 v224, v224, 0, s5
	v_add_nc_u32_e32 v223, v224, v223
	v_mov_b32_dpp v224, v223 row_shr:2 row_mask:0xf bank_mask:0xf
	v_cndmask_b32_e64 v224, 0, v224, s16
	v_add_nc_u32_e32 v223, v223, v224
	;; [unrolled: 3-line block ×4, first 2 shown]
	ds_swizzle_b32 v224, v223 offset:swizzle(BROADCAST,32,15)
	s_waitcnt lgkmcnt(0)
	v_cndmask_b32_e64 v224, v224, 0, s19
	v_add_nc_u32_e32 v223, v223, v224
	s_and_saveexec_b32 s23, s4
; %bb.1113:                             ;   in Loop: Header=BB632_1040 Depth=2
	ds_write_b32 v62, v223 offset:512
; %bb.1114:                             ;   in Loop: Header=BB632_1040 Depth=2
	s_or_b32 exec_lo, exec_lo, s23
	s_waitcnt lgkmcnt(0)
	s_barrier
	buffer_gl0_inv
	s_and_saveexec_b32 s23, s12
	s_cbranch_execz .LBB632_1116
; %bb.1115:                             ;   in Loop: Header=BB632_1040 Depth=2
	ds_read_b32 v224, v69 offset:512
	s_waitcnt lgkmcnt(0)
	v_mov_b32_dpp v225, v224 row_shr:1 row_mask:0xf bank_mask:0xf
	v_cndmask_b32_e64 v225, v225, 0, s20
	v_add_nc_u32_e32 v224, v225, v224
	v_mov_b32_dpp v225, v224 row_shr:2 row_mask:0xf bank_mask:0xf
	v_cndmask_b32_e64 v225, 0, v225, s21
	v_add_nc_u32_e32 v224, v224, v225
	;; [unrolled: 3-line block ×3, first 2 shown]
	ds_write_b32 v69, v224 offset:512
.LBB632_1116:                           ;   in Loop: Header=BB632_1040 Depth=2
	s_or_b32 exec_lo, exec_lo, s23
	v_mov_b32_e32 v224, 0
	s_waitcnt lgkmcnt(0)
	s_barrier
	buffer_gl0_inv
	s_and_saveexec_b32 s23, s11
; %bb.1117:                             ;   in Loop: Header=BB632_1040 Depth=2
	ds_read_b32 v224, v62 offset:508
; %bb.1118:                             ;   in Loop: Header=BB632_1040 Depth=2
	s_or_b32 exec_lo, exec_lo, s23
	s_waitcnt lgkmcnt(0)
	v_add_nc_u32_e32 v223, v224, v223
	ds_bpermute_b32 v223, v131, v223
	s_waitcnt lgkmcnt(0)
	v_cndmask_b32_e64 v223, v223, v224, s15
	v_cndmask_b32_e64 v223, v223, 0, s13
	v_add_nc_u32_e32 v41, v223, v41
	v_add_nc_u32_e32 v42, v41, v42
	;; [unrolled: 1-line block ×4, first 2 shown]
	ds_write2_b32 v68, v223, v41 offset0:136 offset1:137
	ds_write2_b32 v68, v42, v39 offset0:138 offset1:139
	ds_write_b32 v68, v40 offset:560
	s_waitcnt lgkmcnt(0)
	s_barrier
	buffer_gl0_inv
	ds_read_b32 v41, v160 offset:544
	ds_read_b32 v42, v164 offset:544
	;; [unrolled: 1-line block ×17, first 2 shown]
	s_and_saveexec_b32 s23, s8
	s_cbranch_execz .LBB632_1122
; %bb.1119:                             ;   in Loop: Header=BB632_1040 Depth=2
	ds_read_b32 v152, v71 offset:544
	v_mov_b32_e32 v155, 0x1100
	s_and_saveexec_b32 s24, s14
; %bb.1120:                             ;   in Loop: Header=BB632_1040 Depth=2
	ds_read_b32 v155, v70 offset:544
; %bb.1121:                             ;   in Loop: Header=BB632_1040 Depth=2
	s_or_b32 exec_lo, exec_lo, s24
	s_waitcnt lgkmcnt(0)
	v_sub_nc_u32_e32 v155, v155, v152
.LBB632_1122:                           ;   in Loop: Header=BB632_1040 Depth=2
	s_or_b32 exec_lo, exec_lo, s23
	s_waitcnt lgkmcnt(0)
	s_barrier
	buffer_gl0_inv
	s_and_saveexec_b32 s23, s8
	s_cbranch_execz .LBB632_1124
; %bb.1123:                             ;   in Loop: Header=BB632_1040 Depth=2
	ds_read_b32 v169, v43
	s_waitcnt lgkmcnt(0)
	v_sub_nc_u32_e32 v169, v169, v152
	ds_write_b32 v43, v169
.LBB632_1124:                           ;   in Loop: Header=BB632_1040 Depth=2
	s_or_b32 exec_lo, exec_lo, s23
	v_add_nc_u32_e32 v179, v41, v159
	v_add3_u32 v178, v163, v162, v42
	v_add3_u32 v174, v167, v166, v164
	;; [unrolled: 1-line block ×5, first 2 shown]
	v_lshlrev_b32_e32 v176, 2, v179
	v_lshlrev_b32_e32 v177, 2, v178
	v_add3_u32 v162, v218, v217, v39
	v_lshlrev_b32_e32 v39, 2, v174
	v_add3_u32 v171, v182, v181, v184
	v_add3_u32 v168, v192, v191, v193
	;; [unrolled: 1-line block ×4, first 2 shown]
	ds_write_b32 v176, v157 offset:512
	ds_write_b32 v177, v158 offset:512
	v_lshlrev_b32_e32 v40, 2, v173
	ds_write_b32 v39, v161 offset:512
	v_lshlrev_b32_e32 v39, 2, v169
	v_add3_u32 v166, v198, v197, v199
	v_lshlrev_b32_e32 v157, 2, v172
	v_add3_u32 v164, v202, v201, v203
	v_lshlrev_b32_e32 v158, 2, v171
	v_add3_u32 v163, v206, v205, v224
	v_add3_u32 v42, v209, v208, v225
	ds_write_b32 v40, v165 offset:512
	ds_write_b32 v157, v170 offset:512
	;; [unrolled: 1-line block ×3, first 2 shown]
	v_lshlrev_b32_e32 v40, 2, v168
	ds_write_b32 v39, v180 offset:512
	v_lshlrev_b32_e32 v39, 2, v167
	v_lshlrev_b32_e32 v157, 2, v166
	;; [unrolled: 1-line block ×3, first 2 shown]
	v_add3_u32 v41, v212, v211, v226
	ds_write_b32 v40, v185 offset:512
	v_lshlrev_b32_e32 v40, 2, v163
	ds_write_b32 v39, v190 offset:512
	ds_write_b32 v157, v188 offset:512
	;; [unrolled: 1-line block ×3, first 2 shown]
	v_lshlrev_b32_e32 v39, 2, v42
	v_add3_u32 v160, v215, v214, v160
	v_cmp_lt_u32_e32 vcc_lo, v0, v156
	ds_write_b32 v40, v200 offset:512
	v_lshlrev_b32_e32 v40, 2, v41
	ds_write_b32 v39, v204 offset:512
	v_lshlrev_b32_e32 v39, 2, v159
	v_lshlrev_b32_e32 v157, 2, v160
	;; [unrolled: 1-line block ×3, first 2 shown]
	ds_write_b32 v40, v207 offset:512
	ds_write_b32 v157, v210 offset:512
	;; [unrolled: 1-line block ×4, first 2 shown]
	s_waitcnt lgkmcnt(0)
	s_barrier
	buffer_gl0_inv
	s_and_saveexec_b32 s24, vcc_lo
	s_cbranch_execnz .LBB632_1197
; %bb.1125:                             ;   in Loop: Header=BB632_1040 Depth=2
	s_or_b32 exec_lo, exec_lo, s24
	v_cmp_lt_u32_e64 s23, v44, v156
	s_and_saveexec_b32 s25, s23
	s_cbranch_execnz .LBB632_1198
.LBB632_1126:                           ;   in Loop: Header=BB632_1040 Depth=2
	s_or_b32 exec_lo, exec_lo, s25
	v_cmp_lt_u32_e64 s24, v47, v156
	s_and_saveexec_b32 s26, s24
	s_cbranch_execnz .LBB632_1199
.LBB632_1127:                           ;   in Loop: Header=BB632_1040 Depth=2
	s_or_b32 exec_lo, exec_lo, s26
	v_cmp_lt_u32_e64 s25, v48, v156
	s_and_saveexec_b32 s27, s25
	s_cbranch_execnz .LBB632_1200
.LBB632_1128:                           ;   in Loop: Header=BB632_1040 Depth=2
	s_or_b32 exec_lo, exec_lo, s27
	v_cmp_lt_u32_e64 s26, v49, v156
	s_and_saveexec_b32 s28, s26
	s_cbranch_execnz .LBB632_1201
.LBB632_1129:                           ;   in Loop: Header=BB632_1040 Depth=2
	s_or_b32 exec_lo, exec_lo, s28
	v_cmp_lt_u32_e64 s27, v50, v156
	s_and_saveexec_b32 s29, s27
	s_cbranch_execnz .LBB632_1202
.LBB632_1130:                           ;   in Loop: Header=BB632_1040 Depth=2
	s_or_b32 exec_lo, exec_lo, s29
	v_cmp_lt_u32_e64 s28, v51, v156
	s_and_saveexec_b32 s30, s28
	s_cbranch_execnz .LBB632_1203
.LBB632_1131:                           ;   in Loop: Header=BB632_1040 Depth=2
	s_or_b32 exec_lo, exec_lo, s30
	v_cmp_lt_u32_e64 s29, v52, v156
	s_and_saveexec_b32 s31, s29
	s_cbranch_execnz .LBB632_1204
.LBB632_1132:                           ;   in Loop: Header=BB632_1040 Depth=2
	s_or_b32 exec_lo, exec_lo, s31
	v_cmp_lt_u32_e64 s30, v53, v156
	s_and_saveexec_b32 s33, s30
	s_cbranch_execnz .LBB632_1205
.LBB632_1133:                           ;   in Loop: Header=BB632_1040 Depth=2
	s_or_b32 exec_lo, exec_lo, s33
	v_cmp_lt_u32_e64 s31, v54, v156
	s_and_saveexec_b32 s34, s31
	s_cbranch_execnz .LBB632_1206
.LBB632_1134:                           ;   in Loop: Header=BB632_1040 Depth=2
	s_or_b32 exec_lo, exec_lo, s34
	v_cmp_lt_u32_e64 s33, v55, v156
	s_and_saveexec_b32 s35, s33
	s_cbranch_execnz .LBB632_1207
.LBB632_1135:                           ;   in Loop: Header=BB632_1040 Depth=2
	s_or_b32 exec_lo, exec_lo, s35
	v_cmp_lt_u32_e64 s34, v56, v156
	s_and_saveexec_b32 s36, s34
	s_cbranch_execnz .LBB632_1208
.LBB632_1136:                           ;   in Loop: Header=BB632_1040 Depth=2
	s_or_b32 exec_lo, exec_lo, s36
	v_cmp_lt_u32_e64 s35, v57, v156
	s_and_saveexec_b32 s37, s35
	s_cbranch_execnz .LBB632_1209
.LBB632_1137:                           ;   in Loop: Header=BB632_1040 Depth=2
	s_or_b32 exec_lo, exec_lo, s37
	v_cmp_lt_u32_e64 s36, v58, v156
	s_and_saveexec_b32 s38, s36
	s_cbranch_execnz .LBB632_1210
.LBB632_1138:                           ;   in Loop: Header=BB632_1040 Depth=2
	s_or_b32 exec_lo, exec_lo, s38
	v_cmp_lt_u32_e64 s37, v59, v156
	s_and_saveexec_b32 s39, s37
	s_cbranch_execnz .LBB632_1211
.LBB632_1139:                           ;   in Loop: Header=BB632_1040 Depth=2
	s_or_b32 exec_lo, exec_lo, s39
	v_cmp_lt_u32_e64 s38, v60, v156
	s_and_saveexec_b32 s40, s38
	s_cbranch_execnz .LBB632_1212
.LBB632_1140:                           ;   in Loop: Header=BB632_1040 Depth=2
	s_or_b32 exec_lo, exec_lo, s40
	v_cmp_lt_u32_e64 s39, v61, v156
	s_and_saveexec_b32 s65, s39
	s_cbranch_execz .LBB632_1142
.LBB632_1141:                           ;   in Loop: Header=BB632_1040 Depth=2
	ds_read_b32 v157, v69 offset:16896
	s_waitcnt lgkmcnt(0)
	v_lshrrev_b32_e32 v3, s41, v157
	v_and_b32_e32 v3, s62, v3
	v_lshlrev_b32_e32 v3, 2, v3
	ds_read_b32 v3, v3
	s_waitcnt lgkmcnt(0)
	v_add_nc_u32_e32 v3, v3, v61
	v_lshlrev_b64 v[39:40], 2, v[3:4]
	v_xor_b32_e32 v3, 0x80000000, v157
	v_add_co_u32 v39, s40, s48, v39
	v_add_co_ci_u32_e64 v40, null, s49, v40, s40
	global_store_dword v[39:40], v3, off
.LBB632_1142:                           ;   in Loop: Header=BB632_1040 Depth=2
	s_or_b32 exec_lo, exec_lo, s65
	s_lshl_b64 s[66:67], s[50:51], 3
	v_add_co_u32 v39, s40, v132, s66
	v_add_co_ci_u32_e64 v40, null, s67, v133, s40
	v_cmp_lt_u32_e64 s40, v109, v156
	s_and_saveexec_b32 s50, s40
	s_xor_b32 s40, exec_lo, s50
	s_cbranch_execnz .LBB632_1213
; %bb.1143:                             ;   in Loop: Header=BB632_1040 Depth=2
	s_or_b32 exec_lo, exec_lo, s40
	s_mov_b32 s50, exec_lo
	v_cmpx_lt_u32_e64 v112, v156
	s_cbranch_execnz .LBB632_1214
.LBB632_1144:                           ;   in Loop: Header=BB632_1040 Depth=2
	s_or_b32 exec_lo, exec_lo, s50
	s_mov_b32 s50, exec_lo
	v_cmpx_lt_u32_e64 v113, v156
	s_cbranch_execnz .LBB632_1215
.LBB632_1145:                           ;   in Loop: Header=BB632_1040 Depth=2
	s_or_b32 exec_lo, exec_lo, s50
	s_mov_b32 s50, exec_lo
	v_cmpx_lt_u32_e64 v114, v156
	s_cbranch_execnz .LBB632_1216
.LBB632_1146:                           ;   in Loop: Header=BB632_1040 Depth=2
	s_or_b32 exec_lo, exec_lo, s50
	s_mov_b32 s50, exec_lo
	v_cmpx_lt_u32_e64 v115, v156
	s_cbranch_execnz .LBB632_1217
.LBB632_1147:                           ;   in Loop: Header=BB632_1040 Depth=2
	s_or_b32 exec_lo, exec_lo, s50
	s_mov_b32 s50, exec_lo
	v_cmpx_lt_u32_e64 v116, v156
	s_cbranch_execnz .LBB632_1218
.LBB632_1148:                           ;   in Loop: Header=BB632_1040 Depth=2
	s_or_b32 exec_lo, exec_lo, s50
	s_mov_b32 s50, exec_lo
	v_cmpx_lt_u32_e64 v117, v156
	s_cbranch_execnz .LBB632_1219
.LBB632_1149:                           ;   in Loop: Header=BB632_1040 Depth=2
	s_or_b32 exec_lo, exec_lo, s50
	s_mov_b32 s50, exec_lo
	v_cmpx_lt_u32_e64 v118, v156
	s_cbranch_execnz .LBB632_1220
.LBB632_1150:                           ;   in Loop: Header=BB632_1040 Depth=2
	s_or_b32 exec_lo, exec_lo, s50
	s_mov_b32 s50, exec_lo
	v_cmpx_lt_u32_e64 v119, v156
	s_cbranch_execnz .LBB632_1221
.LBB632_1151:                           ;   in Loop: Header=BB632_1040 Depth=2
	s_or_b32 exec_lo, exec_lo, s50
	s_mov_b32 s50, exec_lo
	v_cmpx_lt_u32_e64 v120, v156
	s_cbranch_execnz .LBB632_1222
.LBB632_1152:                           ;   in Loop: Header=BB632_1040 Depth=2
	s_or_b32 exec_lo, exec_lo, s50
	s_mov_b32 s50, exec_lo
	v_cmpx_lt_u32_e64 v121, v156
	s_cbranch_execnz .LBB632_1223
.LBB632_1153:                           ;   in Loop: Header=BB632_1040 Depth=2
	s_or_b32 exec_lo, exec_lo, s50
	s_mov_b32 s50, exec_lo
	v_cmpx_lt_u32_e64 v122, v156
	s_cbranch_execnz .LBB632_1224
.LBB632_1154:                           ;   in Loop: Header=BB632_1040 Depth=2
	s_or_b32 exec_lo, exec_lo, s50
	s_mov_b32 s50, exec_lo
	v_cmpx_lt_u32_e64 v123, v156
	s_cbranch_execnz .LBB632_1225
.LBB632_1155:                           ;   in Loop: Header=BB632_1040 Depth=2
	s_or_b32 exec_lo, exec_lo, s50
	s_mov_b32 s50, exec_lo
	v_cmpx_lt_u32_e64 v124, v156
	s_cbranch_execnz .LBB632_1226
.LBB632_1156:                           ;   in Loop: Header=BB632_1040 Depth=2
	s_or_b32 exec_lo, exec_lo, s50
	s_mov_b32 s50, exec_lo
	v_cmpx_lt_u32_e64 v126, v156
	s_cbranch_execnz .LBB632_1227
.LBB632_1157:                           ;   in Loop: Header=BB632_1040 Depth=2
	s_or_b32 exec_lo, exec_lo, s50
	s_mov_b32 s50, exec_lo
	v_cmpx_lt_u32_e64 v127, v156
	s_cbranch_execnz .LBB632_1228
.LBB632_1158:                           ;   in Loop: Header=BB632_1040 Depth=2
	s_or_b32 exec_lo, exec_lo, s50
	s_mov_b32 s50, exec_lo
	v_cmpx_lt_u32_e64 v128, v156
	s_cbranch_execnz .LBB632_1229
.LBB632_1159:                           ;   in Loop: Header=BB632_1040 Depth=2
	s_or_b32 exec_lo, exec_lo, s50
	s_and_saveexec_b32 s40, vcc_lo
	s_cbranch_execnz .LBB632_1230
.LBB632_1160:                           ;   in Loop: Header=BB632_1040 Depth=2
	s_or_b32 exec_lo, exec_lo, s40
	s_and_saveexec_b32 s40, s23
	s_cbranch_execnz .LBB632_1231
.LBB632_1161:                           ;   in Loop: Header=BB632_1040 Depth=2
	s_or_b32 exec_lo, exec_lo, s40
	s_and_saveexec_b32 s40, s24
	s_cbranch_execnz .LBB632_1232
.LBB632_1162:                           ;   in Loop: Header=BB632_1040 Depth=2
	s_or_b32 exec_lo, exec_lo, s40
	s_and_saveexec_b32 s40, s25
	s_cbranch_execnz .LBB632_1233
.LBB632_1163:                           ;   in Loop: Header=BB632_1040 Depth=2
	s_or_b32 exec_lo, exec_lo, s40
	s_and_saveexec_b32 s40, s26
	s_cbranch_execnz .LBB632_1234
.LBB632_1164:                           ;   in Loop: Header=BB632_1040 Depth=2
	s_or_b32 exec_lo, exec_lo, s40
	s_and_saveexec_b32 s40, s27
	s_cbranch_execnz .LBB632_1235
.LBB632_1165:                           ;   in Loop: Header=BB632_1040 Depth=2
	s_or_b32 exec_lo, exec_lo, s40
	s_and_saveexec_b32 s40, s28
	s_cbranch_execnz .LBB632_1236
.LBB632_1166:                           ;   in Loop: Header=BB632_1040 Depth=2
	s_or_b32 exec_lo, exec_lo, s40
	s_and_saveexec_b32 s40, s29
	s_cbranch_execnz .LBB632_1237
.LBB632_1167:                           ;   in Loop: Header=BB632_1040 Depth=2
	s_or_b32 exec_lo, exec_lo, s40
	s_and_saveexec_b32 s40, s30
	s_cbranch_execnz .LBB632_1238
.LBB632_1168:                           ;   in Loop: Header=BB632_1040 Depth=2
	s_or_b32 exec_lo, exec_lo, s40
	s_and_saveexec_b32 s40, s31
	s_cbranch_execnz .LBB632_1239
.LBB632_1169:                           ;   in Loop: Header=BB632_1040 Depth=2
	s_or_b32 exec_lo, exec_lo, s40
	s_and_saveexec_b32 s40, s33
	s_cbranch_execnz .LBB632_1240
.LBB632_1170:                           ;   in Loop: Header=BB632_1040 Depth=2
	s_or_b32 exec_lo, exec_lo, s40
	s_and_saveexec_b32 s40, s34
	s_cbranch_execnz .LBB632_1241
.LBB632_1171:                           ;   in Loop: Header=BB632_1040 Depth=2
	s_or_b32 exec_lo, exec_lo, s40
	s_and_saveexec_b32 s40, s35
	s_cbranch_execnz .LBB632_1242
.LBB632_1172:                           ;   in Loop: Header=BB632_1040 Depth=2
	s_or_b32 exec_lo, exec_lo, s40
	s_and_saveexec_b32 s40, s36
	s_cbranch_execnz .LBB632_1243
.LBB632_1173:                           ;   in Loop: Header=BB632_1040 Depth=2
	s_or_b32 exec_lo, exec_lo, s40
	s_and_saveexec_b32 s40, s37
	s_cbranch_execnz .LBB632_1244
.LBB632_1174:                           ;   in Loop: Header=BB632_1040 Depth=2
	s_or_b32 exec_lo, exec_lo, s40
	s_and_saveexec_b32 s40, s38
	s_cbranch_execnz .LBB632_1245
.LBB632_1175:                           ;   in Loop: Header=BB632_1040 Depth=2
	s_or_b32 exec_lo, exec_lo, s40
	s_and_saveexec_b32 s40, s39
	s_cbranch_execz .LBB632_1177
.LBB632_1176:                           ;   in Loop: Header=BB632_1040 Depth=2
	ds_read_b32 v3, v69 offset:16896
	s_waitcnt lgkmcnt(0)
	v_lshrrev_b32_e32 v3, s41, v3
	v_and_b32_e32 v137, s62, v3
.LBB632_1177:                           ;   in Loop: Header=BB632_1040 Depth=2
	s_or_b32 exec_lo, exec_lo, s40
	v_lshlrev_b32_e32 v3, 3, v179
	v_lshlrev_b32_e32 v39, 3, v178
	s_waitcnt vmcnt(0)
	s_waitcnt_vscnt null, 0x0
	s_barrier
	buffer_gl0_inv
	ds_write_b64 v3, v[37:38] offset:512
	v_lshlrev_b32_e32 v3, 3, v174
	ds_write_b64 v39, v[35:36] offset:512
	v_lshlrev_b32_e32 v39, 3, v173
	v_lshlrev_b32_e32 v40, 3, v172
	;; [unrolled: 1-line block ×3, first 2 shown]
	ds_write_b64 v3, v[33:34] offset:512
	v_lshlrev_b32_e32 v3, 3, v169
	ds_write_b64 v39, v[31:32] offset:512
	ds_write_b64 v40, v[29:30] offset:512
	;; [unrolled: 1-line block ×3, first 2 shown]
	v_lshlrev_b32_e32 v39, 3, v168
	v_lshlrev_b32_e32 v40, 3, v166
	v_lshlrev_b32_e32 v156, 3, v164
	ds_write_b64 v3, v[21:22] offset:512
	v_lshlrev_b32_e32 v3, 3, v167
	ds_write_b64 v39, v[17:18] offset:512
	v_lshlrev_b32_e32 v39, 3, v163
	ds_write_b64 v3, v[27:28] offset:512
	ds_write_b64 v40, v[23:24] offset:512
	;; [unrolled: 1-line block ×3, first 2 shown]
	v_lshlrev_b32_e32 v3, 3, v42
	ds_write_b64 v39, v[15:16] offset:512
	v_lshlrev_b32_e32 v39, 3, v41
	v_lshlrev_b32_e32 v40, 3, v160
	;; [unrolled: 1-line block ×3, first 2 shown]
	ds_write_b64 v3, v[13:14] offset:512
	v_lshlrev_b32_e32 v3, 3, v159
	ds_write_b64 v39, v[11:12] offset:512
	ds_write_b64 v40, v[9:10] offset:512
	;; [unrolled: 1-line block ×3, first 2 shown]
	v_add_nc_u32_e32 v39, v69, v43
	ds_write_b64 v3, v[5:6] offset:512
	s_waitcnt lgkmcnt(0)
	s_barrier
	buffer_gl0_inv
	s_and_saveexec_b32 s40, vcc_lo
	s_cbranch_execnz .LBB632_1246
; %bb.1178:                             ;   in Loop: Header=BB632_1040 Depth=2
	s_or_b32 exec_lo, exec_lo, s40
	s_and_saveexec_b32 s40, s23
	s_cbranch_execnz .LBB632_1247
.LBB632_1179:                           ;   in Loop: Header=BB632_1040 Depth=2
	s_or_b32 exec_lo, exec_lo, s40
	s_and_saveexec_b32 s23, s24
	s_cbranch_execnz .LBB632_1248
.LBB632_1180:                           ;   in Loop: Header=BB632_1040 Depth=2
	s_or_b32 exec_lo, exec_lo, s23
	s_and_saveexec_b32 s23, s25
	s_cbranch_execnz .LBB632_1249
.LBB632_1181:                           ;   in Loop: Header=BB632_1040 Depth=2
	s_or_b32 exec_lo, exec_lo, s23
	s_and_saveexec_b32 s23, s26
	s_cbranch_execnz .LBB632_1250
.LBB632_1182:                           ;   in Loop: Header=BB632_1040 Depth=2
	s_or_b32 exec_lo, exec_lo, s23
	s_and_saveexec_b32 s23, s27
	s_cbranch_execnz .LBB632_1251
.LBB632_1183:                           ;   in Loop: Header=BB632_1040 Depth=2
	s_or_b32 exec_lo, exec_lo, s23
	s_and_saveexec_b32 s23, s28
	s_cbranch_execnz .LBB632_1252
.LBB632_1184:                           ;   in Loop: Header=BB632_1040 Depth=2
	s_or_b32 exec_lo, exec_lo, s23
	s_and_saveexec_b32 s23, s29
	s_cbranch_execnz .LBB632_1253
.LBB632_1185:                           ;   in Loop: Header=BB632_1040 Depth=2
	s_or_b32 exec_lo, exec_lo, s23
	s_and_saveexec_b32 s23, s30
	s_cbranch_execnz .LBB632_1254
.LBB632_1186:                           ;   in Loop: Header=BB632_1040 Depth=2
	s_or_b32 exec_lo, exec_lo, s23
	s_and_saveexec_b32 s23, s31
	s_cbranch_execnz .LBB632_1255
.LBB632_1187:                           ;   in Loop: Header=BB632_1040 Depth=2
	s_or_b32 exec_lo, exec_lo, s23
	s_and_saveexec_b32 s23, s33
	s_cbranch_execnz .LBB632_1256
.LBB632_1188:                           ;   in Loop: Header=BB632_1040 Depth=2
	s_or_b32 exec_lo, exec_lo, s23
	s_and_saveexec_b32 s23, s34
	s_cbranch_execnz .LBB632_1257
.LBB632_1189:                           ;   in Loop: Header=BB632_1040 Depth=2
	s_or_b32 exec_lo, exec_lo, s23
	s_and_saveexec_b32 s23, s35
	s_cbranch_execnz .LBB632_1258
.LBB632_1190:                           ;   in Loop: Header=BB632_1040 Depth=2
	s_or_b32 exec_lo, exec_lo, s23
	s_and_saveexec_b32 s23, s36
	s_cbranch_execnz .LBB632_1259
.LBB632_1191:                           ;   in Loop: Header=BB632_1040 Depth=2
	s_or_b32 exec_lo, exec_lo, s23
	s_and_saveexec_b32 s23, s37
	s_cbranch_execnz .LBB632_1260
.LBB632_1192:                           ;   in Loop: Header=BB632_1040 Depth=2
	s_or_b32 exec_lo, exec_lo, s23
	s_and_saveexec_b32 s23, s38
	s_cbranch_execnz .LBB632_1261
.LBB632_1193:                           ;   in Loop: Header=BB632_1040 Depth=2
	s_or_b32 exec_lo, exec_lo, s23
	s_and_saveexec_b32 s23, s39
	s_cbranch_execz .LBB632_1195
.LBB632_1194:                           ;   in Loop: Header=BB632_1040 Depth=2
	v_lshlrev_b32_e32 v3, 2, v137
	ds_read_b32 v3, v3
	ds_read_b64 v[39:40], v39 offset:33280
	s_waitcnt lgkmcnt(1)
	v_add_nc_u32_e32 v3, v3, v61
	v_lshlrev_b64 v[41:42], 3, v[3:4]
	v_add_co_u32 v41, vcc_lo, s54, v41
	v_add_co_ci_u32_e64 v42, null, s55, v42, vcc_lo
	s_waitcnt lgkmcnt(0)
	global_store_dwordx2 v[41:42], v[39:40], off
.LBB632_1195:                           ;   in Loop: Header=BB632_1040 Depth=2
	s_or_b32 exec_lo, exec_lo, s23
	s_waitcnt_vscnt null, 0x0
	s_barrier
	buffer_gl0_inv
	s_and_saveexec_b32 s23, s8
	s_cbranch_execz .LBB632_1039
; %bb.1196:                             ;   in Loop: Header=BB632_1040 Depth=2
	ds_read_b32 v3, v43
	s_waitcnt lgkmcnt(0)
	v_add3_u32 v3, v152, v155, v3
	ds_write_b32 v43, v3
	s_branch .LBB632_1039
.LBB632_1197:                           ;   in Loop: Header=BB632_1040 Depth=2
	ds_read_b32 v157, v69 offset:512
	s_waitcnt lgkmcnt(0)
	v_lshrrev_b32_e32 v3, s41, v157
	v_and_b32_e32 v3, s62, v3
	v_lshlrev_b32_e32 v3, 2, v3
	ds_read_b32 v3, v3
	s_waitcnt lgkmcnt(0)
	v_add_nc_u32_e32 v3, v3, v0
	v_lshlrev_b64 v[39:40], 2, v[3:4]
	v_xor_b32_e32 v3, 0x80000000, v157
	v_add_co_u32 v39, s23, s48, v39
	v_add_co_ci_u32_e64 v40, null, s49, v40, s23
	global_store_dword v[39:40], v3, off
	s_or_b32 exec_lo, exec_lo, s24
	v_cmp_lt_u32_e64 s23, v44, v156
	s_and_saveexec_b32 s25, s23
	s_cbranch_execz .LBB632_1126
.LBB632_1198:                           ;   in Loop: Header=BB632_1040 Depth=2
	ds_read_b32 v157, v69 offset:1536
	s_waitcnt lgkmcnt(0)
	v_lshrrev_b32_e32 v3, s41, v157
	v_and_b32_e32 v3, s62, v3
	v_lshlrev_b32_e32 v3, 2, v3
	ds_read_b32 v3, v3
	s_waitcnt lgkmcnt(0)
	v_add_nc_u32_e32 v3, v3, v44
	v_lshlrev_b64 v[39:40], 2, v[3:4]
	v_xor_b32_e32 v3, 0x80000000, v157
	v_add_co_u32 v39, s24, s48, v39
	v_add_co_ci_u32_e64 v40, null, s49, v40, s24
	global_store_dword v[39:40], v3, off
	s_or_b32 exec_lo, exec_lo, s25
	v_cmp_lt_u32_e64 s24, v47, v156
	s_and_saveexec_b32 s26, s24
	s_cbranch_execz .LBB632_1127
.LBB632_1199:                           ;   in Loop: Header=BB632_1040 Depth=2
	ds_read_b32 v157, v69 offset:2560
	s_waitcnt lgkmcnt(0)
	v_lshrrev_b32_e32 v3, s41, v157
	v_and_b32_e32 v3, s62, v3
	v_lshlrev_b32_e32 v3, 2, v3
	ds_read_b32 v3, v3
	s_waitcnt lgkmcnt(0)
	v_add_nc_u32_e32 v3, v3, v47
	v_lshlrev_b64 v[39:40], 2, v[3:4]
	v_xor_b32_e32 v3, 0x80000000, v157
	v_add_co_u32 v39, s25, s48, v39
	v_add_co_ci_u32_e64 v40, null, s49, v40, s25
	global_store_dword v[39:40], v3, off
	s_or_b32 exec_lo, exec_lo, s26
	v_cmp_lt_u32_e64 s25, v48, v156
	s_and_saveexec_b32 s27, s25
	s_cbranch_execz .LBB632_1128
.LBB632_1200:                           ;   in Loop: Header=BB632_1040 Depth=2
	ds_read_b32 v157, v69 offset:3584
	s_waitcnt lgkmcnt(0)
	v_lshrrev_b32_e32 v3, s41, v157
	v_and_b32_e32 v3, s62, v3
	v_lshlrev_b32_e32 v3, 2, v3
	ds_read_b32 v3, v3
	s_waitcnt lgkmcnt(0)
	v_add_nc_u32_e32 v3, v3, v48
	v_lshlrev_b64 v[39:40], 2, v[3:4]
	v_xor_b32_e32 v3, 0x80000000, v157
	v_add_co_u32 v39, s26, s48, v39
	v_add_co_ci_u32_e64 v40, null, s49, v40, s26
	global_store_dword v[39:40], v3, off
	s_or_b32 exec_lo, exec_lo, s27
	v_cmp_lt_u32_e64 s26, v49, v156
	s_and_saveexec_b32 s28, s26
	s_cbranch_execz .LBB632_1129
.LBB632_1201:                           ;   in Loop: Header=BB632_1040 Depth=2
	ds_read_b32 v157, v69 offset:4608
	s_waitcnt lgkmcnt(0)
	v_lshrrev_b32_e32 v3, s41, v157
	v_and_b32_e32 v3, s62, v3
	v_lshlrev_b32_e32 v3, 2, v3
	ds_read_b32 v3, v3
	s_waitcnt lgkmcnt(0)
	v_add_nc_u32_e32 v3, v3, v49
	v_lshlrev_b64 v[39:40], 2, v[3:4]
	v_xor_b32_e32 v3, 0x80000000, v157
	v_add_co_u32 v39, s27, s48, v39
	v_add_co_ci_u32_e64 v40, null, s49, v40, s27
	global_store_dword v[39:40], v3, off
	s_or_b32 exec_lo, exec_lo, s28
	v_cmp_lt_u32_e64 s27, v50, v156
	s_and_saveexec_b32 s29, s27
	s_cbranch_execz .LBB632_1130
.LBB632_1202:                           ;   in Loop: Header=BB632_1040 Depth=2
	ds_read_b32 v157, v69 offset:5632
	s_waitcnt lgkmcnt(0)
	v_lshrrev_b32_e32 v3, s41, v157
	v_and_b32_e32 v3, s62, v3
	v_lshlrev_b32_e32 v3, 2, v3
	ds_read_b32 v3, v3
	s_waitcnt lgkmcnt(0)
	v_add_nc_u32_e32 v3, v3, v50
	v_lshlrev_b64 v[39:40], 2, v[3:4]
	v_xor_b32_e32 v3, 0x80000000, v157
	v_add_co_u32 v39, s28, s48, v39
	v_add_co_ci_u32_e64 v40, null, s49, v40, s28
	global_store_dword v[39:40], v3, off
	s_or_b32 exec_lo, exec_lo, s29
	v_cmp_lt_u32_e64 s28, v51, v156
	s_and_saveexec_b32 s30, s28
	s_cbranch_execz .LBB632_1131
.LBB632_1203:                           ;   in Loop: Header=BB632_1040 Depth=2
	ds_read_b32 v157, v69 offset:6656
	s_waitcnt lgkmcnt(0)
	v_lshrrev_b32_e32 v3, s41, v157
	v_and_b32_e32 v3, s62, v3
	v_lshlrev_b32_e32 v3, 2, v3
	ds_read_b32 v3, v3
	s_waitcnt lgkmcnt(0)
	v_add_nc_u32_e32 v3, v3, v51
	v_lshlrev_b64 v[39:40], 2, v[3:4]
	v_xor_b32_e32 v3, 0x80000000, v157
	v_add_co_u32 v39, s29, s48, v39
	v_add_co_ci_u32_e64 v40, null, s49, v40, s29
	global_store_dword v[39:40], v3, off
	s_or_b32 exec_lo, exec_lo, s30
	v_cmp_lt_u32_e64 s29, v52, v156
	s_and_saveexec_b32 s31, s29
	s_cbranch_execz .LBB632_1132
.LBB632_1204:                           ;   in Loop: Header=BB632_1040 Depth=2
	ds_read_b32 v157, v69 offset:7680
	s_waitcnt lgkmcnt(0)
	v_lshrrev_b32_e32 v3, s41, v157
	v_and_b32_e32 v3, s62, v3
	v_lshlrev_b32_e32 v3, 2, v3
	ds_read_b32 v3, v3
	s_waitcnt lgkmcnt(0)
	v_add_nc_u32_e32 v3, v3, v52
	v_lshlrev_b64 v[39:40], 2, v[3:4]
	v_xor_b32_e32 v3, 0x80000000, v157
	v_add_co_u32 v39, s30, s48, v39
	v_add_co_ci_u32_e64 v40, null, s49, v40, s30
	global_store_dword v[39:40], v3, off
	s_or_b32 exec_lo, exec_lo, s31
	v_cmp_lt_u32_e64 s30, v53, v156
	s_and_saveexec_b32 s33, s30
	s_cbranch_execz .LBB632_1133
.LBB632_1205:                           ;   in Loop: Header=BB632_1040 Depth=2
	ds_read_b32 v157, v69 offset:8704
	s_waitcnt lgkmcnt(0)
	v_lshrrev_b32_e32 v3, s41, v157
	v_and_b32_e32 v3, s62, v3
	v_lshlrev_b32_e32 v3, 2, v3
	ds_read_b32 v3, v3
	s_waitcnt lgkmcnt(0)
	v_add_nc_u32_e32 v3, v3, v53
	v_lshlrev_b64 v[39:40], 2, v[3:4]
	v_xor_b32_e32 v3, 0x80000000, v157
	v_add_co_u32 v39, s31, s48, v39
	v_add_co_ci_u32_e64 v40, null, s49, v40, s31
	global_store_dword v[39:40], v3, off
	s_or_b32 exec_lo, exec_lo, s33
	v_cmp_lt_u32_e64 s31, v54, v156
	s_and_saveexec_b32 s34, s31
	s_cbranch_execz .LBB632_1134
.LBB632_1206:                           ;   in Loop: Header=BB632_1040 Depth=2
	ds_read_b32 v157, v69 offset:9728
	s_waitcnt lgkmcnt(0)
	v_lshrrev_b32_e32 v3, s41, v157
	v_and_b32_e32 v3, s62, v3
	v_lshlrev_b32_e32 v3, 2, v3
	ds_read_b32 v3, v3
	s_waitcnt lgkmcnt(0)
	v_add_nc_u32_e32 v3, v3, v54
	v_lshlrev_b64 v[39:40], 2, v[3:4]
	v_xor_b32_e32 v3, 0x80000000, v157
	v_add_co_u32 v39, s33, s48, v39
	v_add_co_ci_u32_e64 v40, null, s49, v40, s33
	global_store_dword v[39:40], v3, off
	s_or_b32 exec_lo, exec_lo, s34
	v_cmp_lt_u32_e64 s33, v55, v156
	s_and_saveexec_b32 s35, s33
	s_cbranch_execz .LBB632_1135
.LBB632_1207:                           ;   in Loop: Header=BB632_1040 Depth=2
	ds_read_b32 v157, v69 offset:10752
	s_waitcnt lgkmcnt(0)
	v_lshrrev_b32_e32 v3, s41, v157
	v_and_b32_e32 v3, s62, v3
	v_lshlrev_b32_e32 v3, 2, v3
	ds_read_b32 v3, v3
	s_waitcnt lgkmcnt(0)
	v_add_nc_u32_e32 v3, v3, v55
	v_lshlrev_b64 v[39:40], 2, v[3:4]
	v_xor_b32_e32 v3, 0x80000000, v157
	v_add_co_u32 v39, s34, s48, v39
	v_add_co_ci_u32_e64 v40, null, s49, v40, s34
	global_store_dword v[39:40], v3, off
	s_or_b32 exec_lo, exec_lo, s35
	v_cmp_lt_u32_e64 s34, v56, v156
	s_and_saveexec_b32 s36, s34
	s_cbranch_execz .LBB632_1136
.LBB632_1208:                           ;   in Loop: Header=BB632_1040 Depth=2
	ds_read_b32 v157, v69 offset:11776
	s_waitcnt lgkmcnt(0)
	v_lshrrev_b32_e32 v3, s41, v157
	v_and_b32_e32 v3, s62, v3
	v_lshlrev_b32_e32 v3, 2, v3
	ds_read_b32 v3, v3
	s_waitcnt lgkmcnt(0)
	v_add_nc_u32_e32 v3, v3, v56
	v_lshlrev_b64 v[39:40], 2, v[3:4]
	v_xor_b32_e32 v3, 0x80000000, v157
	v_add_co_u32 v39, s35, s48, v39
	v_add_co_ci_u32_e64 v40, null, s49, v40, s35
	global_store_dword v[39:40], v3, off
	s_or_b32 exec_lo, exec_lo, s36
	v_cmp_lt_u32_e64 s35, v57, v156
	s_and_saveexec_b32 s37, s35
	s_cbranch_execz .LBB632_1137
.LBB632_1209:                           ;   in Loop: Header=BB632_1040 Depth=2
	ds_read_b32 v157, v69 offset:12800
	s_waitcnt lgkmcnt(0)
	v_lshrrev_b32_e32 v3, s41, v157
	v_and_b32_e32 v3, s62, v3
	v_lshlrev_b32_e32 v3, 2, v3
	ds_read_b32 v3, v3
	s_waitcnt lgkmcnt(0)
	v_add_nc_u32_e32 v3, v3, v57
	v_lshlrev_b64 v[39:40], 2, v[3:4]
	v_xor_b32_e32 v3, 0x80000000, v157
	v_add_co_u32 v39, s36, s48, v39
	v_add_co_ci_u32_e64 v40, null, s49, v40, s36
	global_store_dword v[39:40], v3, off
	s_or_b32 exec_lo, exec_lo, s37
	v_cmp_lt_u32_e64 s36, v58, v156
	s_and_saveexec_b32 s38, s36
	s_cbranch_execz .LBB632_1138
.LBB632_1210:                           ;   in Loop: Header=BB632_1040 Depth=2
	ds_read_b32 v157, v69 offset:13824
	s_waitcnt lgkmcnt(0)
	v_lshrrev_b32_e32 v3, s41, v157
	v_and_b32_e32 v3, s62, v3
	v_lshlrev_b32_e32 v3, 2, v3
	ds_read_b32 v3, v3
	s_waitcnt lgkmcnt(0)
	v_add_nc_u32_e32 v3, v3, v58
	v_lshlrev_b64 v[39:40], 2, v[3:4]
	v_xor_b32_e32 v3, 0x80000000, v157
	v_add_co_u32 v39, s37, s48, v39
	v_add_co_ci_u32_e64 v40, null, s49, v40, s37
	global_store_dword v[39:40], v3, off
	s_or_b32 exec_lo, exec_lo, s38
	v_cmp_lt_u32_e64 s37, v59, v156
	s_and_saveexec_b32 s39, s37
	s_cbranch_execz .LBB632_1139
.LBB632_1211:                           ;   in Loop: Header=BB632_1040 Depth=2
	ds_read_b32 v157, v69 offset:14848
	s_waitcnt lgkmcnt(0)
	v_lshrrev_b32_e32 v3, s41, v157
	v_and_b32_e32 v3, s62, v3
	v_lshlrev_b32_e32 v3, 2, v3
	ds_read_b32 v3, v3
	s_waitcnt lgkmcnt(0)
	v_add_nc_u32_e32 v3, v3, v59
	v_lshlrev_b64 v[39:40], 2, v[3:4]
	v_xor_b32_e32 v3, 0x80000000, v157
	v_add_co_u32 v39, s38, s48, v39
	v_add_co_ci_u32_e64 v40, null, s49, v40, s38
	global_store_dword v[39:40], v3, off
	s_or_b32 exec_lo, exec_lo, s39
	v_cmp_lt_u32_e64 s38, v60, v156
	s_and_saveexec_b32 s40, s38
	s_cbranch_execz .LBB632_1140
.LBB632_1212:                           ;   in Loop: Header=BB632_1040 Depth=2
	ds_read_b32 v157, v69 offset:15872
	s_waitcnt lgkmcnt(0)
	v_lshrrev_b32_e32 v3, s41, v157
	v_and_b32_e32 v3, s62, v3
	v_lshlrev_b32_e32 v3, 2, v3
	ds_read_b32 v3, v3
	s_waitcnt lgkmcnt(0)
	v_add_nc_u32_e32 v3, v3, v60
	v_lshlrev_b64 v[39:40], 2, v[3:4]
	v_xor_b32_e32 v3, 0x80000000, v157
	v_add_co_u32 v39, s39, s48, v39
	v_add_co_ci_u32_e64 v40, null, s49, v40, s39
	global_store_dword v[39:40], v3, off
	s_or_b32 exec_lo, exec_lo, s40
	v_cmp_lt_u32_e64 s39, v61, v156
	s_and_saveexec_b32 s65, s39
	s_cbranch_execnz .LBB632_1141
	s_branch .LBB632_1142
.LBB632_1213:                           ;   in Loop: Header=BB632_1040 Depth=2
	global_load_dwordx2 v[37:38], v[39:40], off
	s_or_b32 exec_lo, exec_lo, s40
	s_mov_b32 s50, exec_lo
	v_cmpx_lt_u32_e64 v112, v156
	s_cbranch_execz .LBB632_1144
.LBB632_1214:                           ;   in Loop: Header=BB632_1040 Depth=2
	global_load_dwordx2 v[35:36], v[39:40], off offset:256
	s_or_b32 exec_lo, exec_lo, s50
	s_mov_b32 s50, exec_lo
	v_cmpx_lt_u32_e64 v113, v156
	s_cbranch_execz .LBB632_1145
.LBB632_1215:                           ;   in Loop: Header=BB632_1040 Depth=2
	global_load_dwordx2 v[33:34], v[39:40], off offset:512
	s_or_b32 exec_lo, exec_lo, s50
	s_mov_b32 s50, exec_lo
	v_cmpx_lt_u32_e64 v114, v156
	s_cbranch_execz .LBB632_1146
.LBB632_1216:                           ;   in Loop: Header=BB632_1040 Depth=2
	global_load_dwordx2 v[31:32], v[39:40], off offset:768
	s_or_b32 exec_lo, exec_lo, s50
	s_mov_b32 s50, exec_lo
	v_cmpx_lt_u32_e64 v115, v156
	s_cbranch_execz .LBB632_1147
.LBB632_1217:                           ;   in Loop: Header=BB632_1040 Depth=2
	global_load_dwordx2 v[29:30], v[39:40], off offset:1024
	s_or_b32 exec_lo, exec_lo, s50
	s_mov_b32 s50, exec_lo
	v_cmpx_lt_u32_e64 v116, v156
	s_cbranch_execz .LBB632_1148
.LBB632_1218:                           ;   in Loop: Header=BB632_1040 Depth=2
	global_load_dwordx2 v[25:26], v[39:40], off offset:1280
	s_or_b32 exec_lo, exec_lo, s50
	s_mov_b32 s50, exec_lo
	v_cmpx_lt_u32_e64 v117, v156
	s_cbranch_execz .LBB632_1149
.LBB632_1219:                           ;   in Loop: Header=BB632_1040 Depth=2
	global_load_dwordx2 v[21:22], v[39:40], off offset:1536
	s_or_b32 exec_lo, exec_lo, s50
	s_mov_b32 s50, exec_lo
	v_cmpx_lt_u32_e64 v118, v156
	s_cbranch_execz .LBB632_1150
.LBB632_1220:                           ;   in Loop: Header=BB632_1040 Depth=2
	global_load_dwordx2 v[17:18], v[39:40], off offset:1792
	s_or_b32 exec_lo, exec_lo, s50
	s_mov_b32 s50, exec_lo
	v_cmpx_lt_u32_e64 v119, v156
	s_cbranch_execz .LBB632_1151
.LBB632_1221:                           ;   in Loop: Header=BB632_1040 Depth=2
	v_add_co_u32 v27, s40, 0x800, v39
	v_add_co_ci_u32_e64 v28, null, 0, v40, s40
	global_load_dwordx2 v[27:28], v[27:28], off
	s_or_b32 exec_lo, exec_lo, s50
	s_mov_b32 s50, exec_lo
	v_cmpx_lt_u32_e64 v120, v156
	s_cbranch_execz .LBB632_1152
.LBB632_1222:                           ;   in Loop: Header=BB632_1040 Depth=2
	v_add_co_u32 v23, s40, 0x800, v39
	v_add_co_ci_u32_e64 v24, null, 0, v40, s40
	global_load_dwordx2 v[23:24], v[23:24], off offset:256
	s_or_b32 exec_lo, exec_lo, s50
	s_mov_b32 s50, exec_lo
	v_cmpx_lt_u32_e64 v121, v156
	s_cbranch_execz .LBB632_1153
.LBB632_1223:                           ;   in Loop: Header=BB632_1040 Depth=2
	v_add_co_u32 v19, s40, 0x800, v39
	v_add_co_ci_u32_e64 v20, null, 0, v40, s40
	global_load_dwordx2 v[19:20], v[19:20], off offset:512
	s_or_b32 exec_lo, exec_lo, s50
	s_mov_b32 s50, exec_lo
	v_cmpx_lt_u32_e64 v122, v156
	s_cbranch_execz .LBB632_1154
.LBB632_1224:                           ;   in Loop: Header=BB632_1040 Depth=2
	v_add_co_u32 v15, s40, 0x800, v39
	v_add_co_ci_u32_e64 v16, null, 0, v40, s40
	global_load_dwordx2 v[15:16], v[15:16], off offset:768
	s_or_b32 exec_lo, exec_lo, s50
	s_mov_b32 s50, exec_lo
	v_cmpx_lt_u32_e64 v123, v156
	s_cbranch_execz .LBB632_1155
.LBB632_1225:                           ;   in Loop: Header=BB632_1040 Depth=2
	v_add_co_u32 v13, s40, 0x800, v39
	v_add_co_ci_u32_e64 v14, null, 0, v40, s40
	global_load_dwordx2 v[13:14], v[13:14], off offset:1024
	s_or_b32 exec_lo, exec_lo, s50
	s_mov_b32 s50, exec_lo
	v_cmpx_lt_u32_e64 v124, v156
	s_cbranch_execz .LBB632_1156
.LBB632_1226:                           ;   in Loop: Header=BB632_1040 Depth=2
	v_add_co_u32 v11, s40, 0x800, v39
	v_add_co_ci_u32_e64 v12, null, 0, v40, s40
	global_load_dwordx2 v[11:12], v[11:12], off offset:1280
	s_or_b32 exec_lo, exec_lo, s50
	s_mov_b32 s50, exec_lo
	v_cmpx_lt_u32_e64 v126, v156
	s_cbranch_execz .LBB632_1157
.LBB632_1227:                           ;   in Loop: Header=BB632_1040 Depth=2
	v_add_co_u32 v9, s40, 0x800, v39
	v_add_co_ci_u32_e64 v10, null, 0, v40, s40
	global_load_dwordx2 v[9:10], v[9:10], off offset:1536
	s_or_b32 exec_lo, exec_lo, s50
	s_mov_b32 s50, exec_lo
	v_cmpx_lt_u32_e64 v127, v156
	s_cbranch_execz .LBB632_1158
.LBB632_1228:                           ;   in Loop: Header=BB632_1040 Depth=2
	v_add_co_u32 v7, s40, 0x800, v39
	v_add_co_ci_u32_e64 v8, null, 0, v40, s40
	global_load_dwordx2 v[7:8], v[7:8], off offset:1792
	s_or_b32 exec_lo, exec_lo, s50
	s_mov_b32 s50, exec_lo
	v_cmpx_lt_u32_e64 v128, v156
	s_cbranch_execz .LBB632_1159
.LBB632_1229:                           ;   in Loop: Header=BB632_1040 Depth=2
	v_add_co_u32 v5, s40, 0x1000, v39
	v_add_co_ci_u32_e64 v6, null, 0, v40, s40
	global_load_dwordx2 v[5:6], v[5:6], off
	s_or_b32 exec_lo, exec_lo, s50
	s_and_saveexec_b32 s40, vcc_lo
	s_cbranch_execz .LBB632_1160
.LBB632_1230:                           ;   in Loop: Header=BB632_1040 Depth=2
	ds_read_b32 v3, v69 offset:512
	s_waitcnt lgkmcnt(0)
	v_lshrrev_b32_e32 v3, s41, v3
	v_and_b32_e32 v154, s62, v3
	s_or_b32 exec_lo, exec_lo, s40
	s_and_saveexec_b32 s40, s23
	s_cbranch_execz .LBB632_1161
.LBB632_1231:                           ;   in Loop: Header=BB632_1040 Depth=2
	ds_read_b32 v3, v69 offset:1536
	s_waitcnt lgkmcnt(0)
	v_lshrrev_b32_e32 v3, s41, v3
	v_and_b32_e32 v153, s62, v3
	s_or_b32 exec_lo, exec_lo, s40
	s_and_saveexec_b32 s40, s24
	s_cbranch_execz .LBB632_1162
.LBB632_1232:                           ;   in Loop: Header=BB632_1040 Depth=2
	ds_read_b32 v3, v69 offset:2560
	s_waitcnt lgkmcnt(0)
	v_lshrrev_b32_e32 v3, s41, v3
	v_and_b32_e32 v151, s62, v3
	s_or_b32 exec_lo, exec_lo, s40
	s_and_saveexec_b32 s40, s25
	s_cbranch_execz .LBB632_1163
.LBB632_1233:                           ;   in Loop: Header=BB632_1040 Depth=2
	ds_read_b32 v3, v69 offset:3584
	s_waitcnt lgkmcnt(0)
	v_lshrrev_b32_e32 v3, s41, v3
	v_and_b32_e32 v150, s62, v3
	s_or_b32 exec_lo, exec_lo, s40
	s_and_saveexec_b32 s40, s26
	s_cbranch_execz .LBB632_1164
.LBB632_1234:                           ;   in Loop: Header=BB632_1040 Depth=2
	ds_read_b32 v3, v69 offset:4608
	s_waitcnt lgkmcnt(0)
	v_lshrrev_b32_e32 v3, s41, v3
	v_and_b32_e32 v149, s62, v3
	s_or_b32 exec_lo, exec_lo, s40
	s_and_saveexec_b32 s40, s27
	s_cbranch_execz .LBB632_1165
.LBB632_1235:                           ;   in Loop: Header=BB632_1040 Depth=2
	ds_read_b32 v3, v69 offset:5632
	s_waitcnt lgkmcnt(0)
	v_lshrrev_b32_e32 v3, s41, v3
	v_and_b32_e32 v148, s62, v3
	s_or_b32 exec_lo, exec_lo, s40
	s_and_saveexec_b32 s40, s28
	s_cbranch_execz .LBB632_1166
.LBB632_1236:                           ;   in Loop: Header=BB632_1040 Depth=2
	ds_read_b32 v3, v69 offset:6656
	s_waitcnt lgkmcnt(0)
	v_lshrrev_b32_e32 v3, s41, v3
	v_and_b32_e32 v147, s62, v3
	s_or_b32 exec_lo, exec_lo, s40
	s_and_saveexec_b32 s40, s29
	s_cbranch_execz .LBB632_1167
.LBB632_1237:                           ;   in Loop: Header=BB632_1040 Depth=2
	ds_read_b32 v3, v69 offset:7680
	s_waitcnt lgkmcnt(0)
	v_lshrrev_b32_e32 v3, s41, v3
	v_and_b32_e32 v146, s62, v3
	s_or_b32 exec_lo, exec_lo, s40
	s_and_saveexec_b32 s40, s30
	s_cbranch_execz .LBB632_1168
.LBB632_1238:                           ;   in Loop: Header=BB632_1040 Depth=2
	ds_read_b32 v3, v69 offset:8704
	s_waitcnt lgkmcnt(0)
	v_lshrrev_b32_e32 v3, s41, v3
	v_and_b32_e32 v145, s62, v3
	s_or_b32 exec_lo, exec_lo, s40
	s_and_saveexec_b32 s40, s31
	s_cbranch_execz .LBB632_1169
.LBB632_1239:                           ;   in Loop: Header=BB632_1040 Depth=2
	ds_read_b32 v3, v69 offset:9728
	s_waitcnt lgkmcnt(0)
	v_lshrrev_b32_e32 v3, s41, v3
	v_and_b32_e32 v144, s62, v3
	s_or_b32 exec_lo, exec_lo, s40
	s_and_saveexec_b32 s40, s33
	s_cbranch_execz .LBB632_1170
.LBB632_1240:                           ;   in Loop: Header=BB632_1040 Depth=2
	ds_read_b32 v3, v69 offset:10752
	s_waitcnt lgkmcnt(0)
	v_lshrrev_b32_e32 v3, s41, v3
	v_and_b32_e32 v143, s62, v3
	s_or_b32 exec_lo, exec_lo, s40
	s_and_saveexec_b32 s40, s34
	s_cbranch_execz .LBB632_1171
.LBB632_1241:                           ;   in Loop: Header=BB632_1040 Depth=2
	ds_read_b32 v3, v69 offset:11776
	s_waitcnt lgkmcnt(0)
	v_lshrrev_b32_e32 v3, s41, v3
	v_and_b32_e32 v142, s62, v3
	s_or_b32 exec_lo, exec_lo, s40
	s_and_saveexec_b32 s40, s35
	s_cbranch_execz .LBB632_1172
.LBB632_1242:                           ;   in Loop: Header=BB632_1040 Depth=2
	ds_read_b32 v3, v69 offset:12800
	s_waitcnt lgkmcnt(0)
	v_lshrrev_b32_e32 v3, s41, v3
	v_and_b32_e32 v141, s62, v3
	s_or_b32 exec_lo, exec_lo, s40
	s_and_saveexec_b32 s40, s36
	s_cbranch_execz .LBB632_1173
.LBB632_1243:                           ;   in Loop: Header=BB632_1040 Depth=2
	ds_read_b32 v3, v69 offset:13824
	s_waitcnt lgkmcnt(0)
	v_lshrrev_b32_e32 v3, s41, v3
	v_and_b32_e32 v140, s62, v3
	s_or_b32 exec_lo, exec_lo, s40
	s_and_saveexec_b32 s40, s37
	s_cbranch_execz .LBB632_1174
.LBB632_1244:                           ;   in Loop: Header=BB632_1040 Depth=2
	ds_read_b32 v3, v69 offset:14848
	s_waitcnt lgkmcnt(0)
	v_lshrrev_b32_e32 v3, s41, v3
	v_and_b32_e32 v139, s62, v3
	s_or_b32 exec_lo, exec_lo, s40
	s_and_saveexec_b32 s40, s38
	s_cbranch_execz .LBB632_1175
.LBB632_1245:                           ;   in Loop: Header=BB632_1040 Depth=2
	ds_read_b32 v3, v69 offset:15872
	s_waitcnt lgkmcnt(0)
	v_lshrrev_b32_e32 v3, s41, v3
	v_and_b32_e32 v138, s62, v3
	s_or_b32 exec_lo, exec_lo, s40
	s_and_saveexec_b32 s40, s39
	s_cbranch_execnz .LBB632_1176
	s_branch .LBB632_1177
.LBB632_1246:                           ;   in Loop: Header=BB632_1040 Depth=2
	v_lshlrev_b32_e32 v3, 2, v154
	ds_read_b32 v3, v3
	ds_read_b64 v[40:41], v39 offset:512
	s_waitcnt lgkmcnt(1)
	v_add_nc_u32_e32 v3, v3, v0
	v_lshlrev_b64 v[156:157], 3, v[3:4]
	v_add_co_u32 v156, vcc_lo, s54, v156
	v_add_co_ci_u32_e64 v157, null, s55, v157, vcc_lo
	s_waitcnt lgkmcnt(0)
	global_store_dwordx2 v[156:157], v[40:41], off
	s_or_b32 exec_lo, exec_lo, s40
	s_and_saveexec_b32 s40, s23
	s_cbranch_execz .LBB632_1179
.LBB632_1247:                           ;   in Loop: Header=BB632_1040 Depth=2
	v_lshlrev_b32_e32 v3, 2, v153
	ds_read_b32 v3, v3
	ds_read_b64 v[40:41], v39 offset:2560
	s_waitcnt lgkmcnt(1)
	v_add_nc_u32_e32 v3, v3, v44
	v_lshlrev_b64 v[156:157], 3, v[3:4]
	v_add_co_u32 v156, vcc_lo, s54, v156
	v_add_co_ci_u32_e64 v157, null, s55, v157, vcc_lo
	s_waitcnt lgkmcnt(0)
	global_store_dwordx2 v[156:157], v[40:41], off
	s_or_b32 exec_lo, exec_lo, s40
	s_and_saveexec_b32 s23, s24
	s_cbranch_execz .LBB632_1180
.LBB632_1248:                           ;   in Loop: Header=BB632_1040 Depth=2
	v_lshlrev_b32_e32 v3, 2, v151
	ds_read_b32 v3, v3
	ds_read_b64 v[40:41], v39 offset:4608
	s_waitcnt lgkmcnt(1)
	v_add_nc_u32_e32 v3, v3, v47
	v_lshlrev_b64 v[156:157], 3, v[3:4]
	v_add_co_u32 v156, vcc_lo, s54, v156
	v_add_co_ci_u32_e64 v157, null, s55, v157, vcc_lo
	s_waitcnt lgkmcnt(0)
	global_store_dwordx2 v[156:157], v[40:41], off
	s_or_b32 exec_lo, exec_lo, s23
	s_and_saveexec_b32 s23, s25
	s_cbranch_execz .LBB632_1181
.LBB632_1249:                           ;   in Loop: Header=BB632_1040 Depth=2
	v_lshlrev_b32_e32 v3, 2, v150
	ds_read_b32 v3, v3
	ds_read_b64 v[40:41], v39 offset:6656
	s_waitcnt lgkmcnt(1)
	v_add_nc_u32_e32 v3, v3, v48
	v_lshlrev_b64 v[156:157], 3, v[3:4]
	v_add_co_u32 v156, vcc_lo, s54, v156
	v_add_co_ci_u32_e64 v157, null, s55, v157, vcc_lo
	s_waitcnt lgkmcnt(0)
	global_store_dwordx2 v[156:157], v[40:41], off
	s_or_b32 exec_lo, exec_lo, s23
	s_and_saveexec_b32 s23, s26
	s_cbranch_execz .LBB632_1182
.LBB632_1250:                           ;   in Loop: Header=BB632_1040 Depth=2
	v_lshlrev_b32_e32 v3, 2, v149
	ds_read_b32 v3, v3
	ds_read_b64 v[40:41], v39 offset:8704
	s_waitcnt lgkmcnt(1)
	v_add_nc_u32_e32 v3, v3, v49
	v_lshlrev_b64 v[156:157], 3, v[3:4]
	v_add_co_u32 v156, vcc_lo, s54, v156
	v_add_co_ci_u32_e64 v157, null, s55, v157, vcc_lo
	s_waitcnt lgkmcnt(0)
	global_store_dwordx2 v[156:157], v[40:41], off
	s_or_b32 exec_lo, exec_lo, s23
	s_and_saveexec_b32 s23, s27
	s_cbranch_execz .LBB632_1183
.LBB632_1251:                           ;   in Loop: Header=BB632_1040 Depth=2
	v_lshlrev_b32_e32 v3, 2, v148
	ds_read_b32 v3, v3
	ds_read_b64 v[40:41], v39 offset:10752
	s_waitcnt lgkmcnt(1)
	v_add_nc_u32_e32 v3, v3, v50
	v_lshlrev_b64 v[156:157], 3, v[3:4]
	v_add_co_u32 v156, vcc_lo, s54, v156
	v_add_co_ci_u32_e64 v157, null, s55, v157, vcc_lo
	s_waitcnt lgkmcnt(0)
	global_store_dwordx2 v[156:157], v[40:41], off
	s_or_b32 exec_lo, exec_lo, s23
	s_and_saveexec_b32 s23, s28
	s_cbranch_execz .LBB632_1184
.LBB632_1252:                           ;   in Loop: Header=BB632_1040 Depth=2
	v_lshlrev_b32_e32 v3, 2, v147
	ds_read_b32 v3, v3
	ds_read_b64 v[40:41], v39 offset:12800
	s_waitcnt lgkmcnt(1)
	v_add_nc_u32_e32 v3, v3, v51
	v_lshlrev_b64 v[156:157], 3, v[3:4]
	v_add_co_u32 v156, vcc_lo, s54, v156
	v_add_co_ci_u32_e64 v157, null, s55, v157, vcc_lo
	s_waitcnt lgkmcnt(0)
	global_store_dwordx2 v[156:157], v[40:41], off
	s_or_b32 exec_lo, exec_lo, s23
	s_and_saveexec_b32 s23, s29
	s_cbranch_execz .LBB632_1185
.LBB632_1253:                           ;   in Loop: Header=BB632_1040 Depth=2
	v_lshlrev_b32_e32 v3, 2, v146
	ds_read_b32 v3, v3
	ds_read_b64 v[40:41], v39 offset:14848
	s_waitcnt lgkmcnt(1)
	v_add_nc_u32_e32 v3, v3, v52
	v_lshlrev_b64 v[156:157], 3, v[3:4]
	v_add_co_u32 v156, vcc_lo, s54, v156
	v_add_co_ci_u32_e64 v157, null, s55, v157, vcc_lo
	s_waitcnt lgkmcnt(0)
	global_store_dwordx2 v[156:157], v[40:41], off
	s_or_b32 exec_lo, exec_lo, s23
	s_and_saveexec_b32 s23, s30
	s_cbranch_execz .LBB632_1186
.LBB632_1254:                           ;   in Loop: Header=BB632_1040 Depth=2
	v_lshlrev_b32_e32 v3, 2, v145
	ds_read_b32 v3, v3
	ds_read_b64 v[40:41], v39 offset:16896
	s_waitcnt lgkmcnt(1)
	v_add_nc_u32_e32 v3, v3, v53
	v_lshlrev_b64 v[156:157], 3, v[3:4]
	v_add_co_u32 v156, vcc_lo, s54, v156
	v_add_co_ci_u32_e64 v157, null, s55, v157, vcc_lo
	s_waitcnt lgkmcnt(0)
	global_store_dwordx2 v[156:157], v[40:41], off
	s_or_b32 exec_lo, exec_lo, s23
	s_and_saveexec_b32 s23, s31
	s_cbranch_execz .LBB632_1187
.LBB632_1255:                           ;   in Loop: Header=BB632_1040 Depth=2
	v_lshlrev_b32_e32 v3, 2, v144
	ds_read_b32 v3, v3
	ds_read_b64 v[40:41], v39 offset:18944
	s_waitcnt lgkmcnt(1)
	v_add_nc_u32_e32 v3, v3, v54
	v_lshlrev_b64 v[156:157], 3, v[3:4]
	v_add_co_u32 v156, vcc_lo, s54, v156
	v_add_co_ci_u32_e64 v157, null, s55, v157, vcc_lo
	s_waitcnt lgkmcnt(0)
	global_store_dwordx2 v[156:157], v[40:41], off
	s_or_b32 exec_lo, exec_lo, s23
	s_and_saveexec_b32 s23, s33
	s_cbranch_execz .LBB632_1188
.LBB632_1256:                           ;   in Loop: Header=BB632_1040 Depth=2
	v_lshlrev_b32_e32 v3, 2, v143
	ds_read_b32 v3, v3
	ds_read_b64 v[40:41], v39 offset:20992
	s_waitcnt lgkmcnt(1)
	v_add_nc_u32_e32 v3, v3, v55
	v_lshlrev_b64 v[156:157], 3, v[3:4]
	v_add_co_u32 v156, vcc_lo, s54, v156
	v_add_co_ci_u32_e64 v157, null, s55, v157, vcc_lo
	s_waitcnt lgkmcnt(0)
	global_store_dwordx2 v[156:157], v[40:41], off
	s_or_b32 exec_lo, exec_lo, s23
	s_and_saveexec_b32 s23, s34
	s_cbranch_execz .LBB632_1189
.LBB632_1257:                           ;   in Loop: Header=BB632_1040 Depth=2
	v_lshlrev_b32_e32 v3, 2, v142
	ds_read_b32 v3, v3
	ds_read_b64 v[40:41], v39 offset:23040
	s_waitcnt lgkmcnt(1)
	v_add_nc_u32_e32 v3, v3, v56
	v_lshlrev_b64 v[156:157], 3, v[3:4]
	v_add_co_u32 v156, vcc_lo, s54, v156
	v_add_co_ci_u32_e64 v157, null, s55, v157, vcc_lo
	s_waitcnt lgkmcnt(0)
	global_store_dwordx2 v[156:157], v[40:41], off
	s_or_b32 exec_lo, exec_lo, s23
	s_and_saveexec_b32 s23, s35
	s_cbranch_execz .LBB632_1190
.LBB632_1258:                           ;   in Loop: Header=BB632_1040 Depth=2
	v_lshlrev_b32_e32 v3, 2, v141
	ds_read_b32 v3, v3
	ds_read_b64 v[40:41], v39 offset:25088
	s_waitcnt lgkmcnt(1)
	v_add_nc_u32_e32 v3, v3, v57
	v_lshlrev_b64 v[156:157], 3, v[3:4]
	v_add_co_u32 v156, vcc_lo, s54, v156
	v_add_co_ci_u32_e64 v157, null, s55, v157, vcc_lo
	s_waitcnt lgkmcnt(0)
	global_store_dwordx2 v[156:157], v[40:41], off
	s_or_b32 exec_lo, exec_lo, s23
	s_and_saveexec_b32 s23, s36
	s_cbranch_execz .LBB632_1191
.LBB632_1259:                           ;   in Loop: Header=BB632_1040 Depth=2
	v_lshlrev_b32_e32 v3, 2, v140
	ds_read_b32 v3, v3
	ds_read_b64 v[40:41], v39 offset:27136
	s_waitcnt lgkmcnt(1)
	v_add_nc_u32_e32 v3, v3, v58
	v_lshlrev_b64 v[156:157], 3, v[3:4]
	v_add_co_u32 v156, vcc_lo, s54, v156
	v_add_co_ci_u32_e64 v157, null, s55, v157, vcc_lo
	s_waitcnt lgkmcnt(0)
	global_store_dwordx2 v[156:157], v[40:41], off
	s_or_b32 exec_lo, exec_lo, s23
	s_and_saveexec_b32 s23, s37
	s_cbranch_execz .LBB632_1192
.LBB632_1260:                           ;   in Loop: Header=BB632_1040 Depth=2
	v_lshlrev_b32_e32 v3, 2, v139
	ds_read_b32 v3, v3
	ds_read_b64 v[40:41], v39 offset:29184
	s_waitcnt lgkmcnt(1)
	v_add_nc_u32_e32 v3, v3, v59
	v_lshlrev_b64 v[156:157], 3, v[3:4]
	v_add_co_u32 v156, vcc_lo, s54, v156
	v_add_co_ci_u32_e64 v157, null, s55, v157, vcc_lo
	s_waitcnt lgkmcnt(0)
	global_store_dwordx2 v[156:157], v[40:41], off
	s_or_b32 exec_lo, exec_lo, s23
	s_and_saveexec_b32 s23, s38
	s_cbranch_execz .LBB632_1193
.LBB632_1261:                           ;   in Loop: Header=BB632_1040 Depth=2
	v_lshlrev_b32_e32 v3, 2, v138
	ds_read_b32 v3, v3
	ds_read_b64 v[40:41], v39 offset:31232
	s_waitcnt lgkmcnt(1)
	v_add_nc_u32_e32 v3, v3, v60
	v_lshlrev_b64 v[156:157], 3, v[3:4]
	v_add_co_u32 v156, vcc_lo, s54, v156
	v_add_co_ci_u32_e64 v157, null, s55, v157, vcc_lo
	s_waitcnt lgkmcnt(0)
	global_store_dwordx2 v[156:157], v[40:41], off
	s_or_b32 exec_lo, exec_lo, s23
	s_and_saveexec_b32 s23, s39
	s_cbranch_execnz .LBB632_1194
	s_branch .LBB632_1195
.LBB632_1262:
	s_endpgm
	.section	.rodata,"a",@progbits
	.p2align	6, 0x0
	.amdhsa_kernel _ZN7rocprim17ROCPRIM_400000_NS6detail17trampoline_kernelINS0_14default_configENS1_36segmented_radix_sort_config_selectorIilEEZNS1_25segmented_radix_sort_implIS3_Lb0EPKiPiPKlPlN2at6native12_GLOBAL__N_18offset_tEEE10hipError_tPvRmT1_PNSt15iterator_traitsISK_E10value_typeET2_T3_PNSL_ISQ_E10value_typeET4_jRbjT5_SW_jjP12ihipStream_tbEUlT_E2_NS1_11comp_targetILNS1_3genE8ELNS1_11target_archE1030ELNS1_3gpuE2ELNS1_3repE0EEENS1_30default_config_static_selectorELNS0_4arch9wavefront6targetE0EEEvSK_
		.amdhsa_group_segment_fixed_size 35344
		.amdhsa_private_segment_fixed_size 196
		.amdhsa_kernarg_size 336
		.amdhsa_user_sgpr_count 6
		.amdhsa_user_sgpr_private_segment_buffer 1
		.amdhsa_user_sgpr_dispatch_ptr 0
		.amdhsa_user_sgpr_queue_ptr 0
		.amdhsa_user_sgpr_kernarg_segment_ptr 1
		.amdhsa_user_sgpr_dispatch_id 0
		.amdhsa_user_sgpr_flat_scratch_init 0
		.amdhsa_user_sgpr_private_segment_size 0
		.amdhsa_wavefront_size32 1
		.amdhsa_uses_dynamic_stack 0
		.amdhsa_system_sgpr_private_segment_wavefront_offset 1
		.amdhsa_system_sgpr_workgroup_id_x 1
		.amdhsa_system_sgpr_workgroup_id_y 1
		.amdhsa_system_sgpr_workgroup_id_z 0
		.amdhsa_system_sgpr_workgroup_info 0
		.amdhsa_system_vgpr_workitem_id 2
		.amdhsa_next_free_vgpr 248
		.amdhsa_next_free_sgpr 68
		.amdhsa_reserve_vcc 1
		.amdhsa_reserve_flat_scratch 0
		.amdhsa_float_round_mode_32 0
		.amdhsa_float_round_mode_16_64 0
		.amdhsa_float_denorm_mode_32 3
		.amdhsa_float_denorm_mode_16_64 3
		.amdhsa_dx10_clamp 1
		.amdhsa_ieee_mode 1
		.amdhsa_fp16_overflow 0
		.amdhsa_workgroup_processor_mode 1
		.amdhsa_memory_ordered 1
		.amdhsa_forward_progress 1
		.amdhsa_shared_vgpr_count 0
		.amdhsa_exception_fp_ieee_invalid_op 0
		.amdhsa_exception_fp_denorm_src 0
		.amdhsa_exception_fp_ieee_div_zero 0
		.amdhsa_exception_fp_ieee_overflow 0
		.amdhsa_exception_fp_ieee_underflow 0
		.amdhsa_exception_fp_ieee_inexact 0
		.amdhsa_exception_int_div_zero 0
	.end_amdhsa_kernel
	.section	.text._ZN7rocprim17ROCPRIM_400000_NS6detail17trampoline_kernelINS0_14default_configENS1_36segmented_radix_sort_config_selectorIilEEZNS1_25segmented_radix_sort_implIS3_Lb0EPKiPiPKlPlN2at6native12_GLOBAL__N_18offset_tEEE10hipError_tPvRmT1_PNSt15iterator_traitsISK_E10value_typeET2_T3_PNSL_ISQ_E10value_typeET4_jRbjT5_SW_jjP12ihipStream_tbEUlT_E2_NS1_11comp_targetILNS1_3genE8ELNS1_11target_archE1030ELNS1_3gpuE2ELNS1_3repE0EEENS1_30default_config_static_selectorELNS0_4arch9wavefront6targetE0EEEvSK_,"axG",@progbits,_ZN7rocprim17ROCPRIM_400000_NS6detail17trampoline_kernelINS0_14default_configENS1_36segmented_radix_sort_config_selectorIilEEZNS1_25segmented_radix_sort_implIS3_Lb0EPKiPiPKlPlN2at6native12_GLOBAL__N_18offset_tEEE10hipError_tPvRmT1_PNSt15iterator_traitsISK_E10value_typeET2_T3_PNSL_ISQ_E10value_typeET4_jRbjT5_SW_jjP12ihipStream_tbEUlT_E2_NS1_11comp_targetILNS1_3genE8ELNS1_11target_archE1030ELNS1_3gpuE2ELNS1_3repE0EEENS1_30default_config_static_selectorELNS0_4arch9wavefront6targetE0EEEvSK_,comdat
.Lfunc_end632:
	.size	_ZN7rocprim17ROCPRIM_400000_NS6detail17trampoline_kernelINS0_14default_configENS1_36segmented_radix_sort_config_selectorIilEEZNS1_25segmented_radix_sort_implIS3_Lb0EPKiPiPKlPlN2at6native12_GLOBAL__N_18offset_tEEE10hipError_tPvRmT1_PNSt15iterator_traitsISK_E10value_typeET2_T3_PNSL_ISQ_E10value_typeET4_jRbjT5_SW_jjP12ihipStream_tbEUlT_E2_NS1_11comp_targetILNS1_3genE8ELNS1_11target_archE1030ELNS1_3gpuE2ELNS1_3repE0EEENS1_30default_config_static_selectorELNS0_4arch9wavefront6targetE0EEEvSK_, .Lfunc_end632-_ZN7rocprim17ROCPRIM_400000_NS6detail17trampoline_kernelINS0_14default_configENS1_36segmented_radix_sort_config_selectorIilEEZNS1_25segmented_radix_sort_implIS3_Lb0EPKiPiPKlPlN2at6native12_GLOBAL__N_18offset_tEEE10hipError_tPvRmT1_PNSt15iterator_traitsISK_E10value_typeET2_T3_PNSL_ISQ_E10value_typeET4_jRbjT5_SW_jjP12ihipStream_tbEUlT_E2_NS1_11comp_targetILNS1_3genE8ELNS1_11target_archE1030ELNS1_3gpuE2ELNS1_3repE0EEENS1_30default_config_static_selectorELNS0_4arch9wavefront6targetE0EEEvSK_
                                        ; -- End function
	.set _ZN7rocprim17ROCPRIM_400000_NS6detail17trampoline_kernelINS0_14default_configENS1_36segmented_radix_sort_config_selectorIilEEZNS1_25segmented_radix_sort_implIS3_Lb0EPKiPiPKlPlN2at6native12_GLOBAL__N_18offset_tEEE10hipError_tPvRmT1_PNSt15iterator_traitsISK_E10value_typeET2_T3_PNSL_ISQ_E10value_typeET4_jRbjT5_SW_jjP12ihipStream_tbEUlT_E2_NS1_11comp_targetILNS1_3genE8ELNS1_11target_archE1030ELNS1_3gpuE2ELNS1_3repE0EEENS1_30default_config_static_selectorELNS0_4arch9wavefront6targetE0EEEvSK_.num_vgpr, max(227, .L_ZN7rocprim17ROCPRIM_400000_NS6detail26segmented_warp_sort_helperINS1_20WarpSortHelperConfigILj32ELj4ELj256EEEilLi256ELb0EvE4sortIPKiPiPKlPlEEvT_T0_T1_T2_jjjjRNS5_12storage_typeE.num_vgpr, .L_ZN7rocprim17ROCPRIM_400000_NS6detail40segmented_radix_sort_single_block_helperIilLj256ELj17ELb0EE4sortIPKiPiPKlPlEEbT_T0_T1_T2_jjjjRNS3_12storage_typeE.num_vgpr)
	.set _ZN7rocprim17ROCPRIM_400000_NS6detail17trampoline_kernelINS0_14default_configENS1_36segmented_radix_sort_config_selectorIilEEZNS1_25segmented_radix_sort_implIS3_Lb0EPKiPiPKlPlN2at6native12_GLOBAL__N_18offset_tEEE10hipError_tPvRmT1_PNSt15iterator_traitsISK_E10value_typeET2_T3_PNSL_ISQ_E10value_typeET4_jRbjT5_SW_jjP12ihipStream_tbEUlT_E2_NS1_11comp_targetILNS1_3genE8ELNS1_11target_archE1030ELNS1_3gpuE2ELNS1_3repE0EEENS1_30default_config_static_selectorELNS0_4arch9wavefront6targetE0EEEvSK_.num_agpr, max(0, .L_ZN7rocprim17ROCPRIM_400000_NS6detail26segmented_warp_sort_helperINS1_20WarpSortHelperConfigILj32ELj4ELj256EEEilLi256ELb0EvE4sortIPKiPiPKlPlEEvT_T0_T1_T2_jjjjRNS5_12storage_typeE.num_agpr, .L_ZN7rocprim17ROCPRIM_400000_NS6detail40segmented_radix_sort_single_block_helperIilLj256ELj17ELb0EE4sortIPKiPiPKlPlEEbT_T0_T1_T2_jjjjRNS3_12storage_typeE.num_agpr)
	.set _ZN7rocprim17ROCPRIM_400000_NS6detail17trampoline_kernelINS0_14default_configENS1_36segmented_radix_sort_config_selectorIilEEZNS1_25segmented_radix_sort_implIS3_Lb0EPKiPiPKlPlN2at6native12_GLOBAL__N_18offset_tEEE10hipError_tPvRmT1_PNSt15iterator_traitsISK_E10value_typeET2_T3_PNSL_ISQ_E10value_typeET4_jRbjT5_SW_jjP12ihipStream_tbEUlT_E2_NS1_11comp_targetILNS1_3genE8ELNS1_11target_archE1030ELNS1_3gpuE2ELNS1_3repE0EEENS1_30default_config_static_selectorELNS0_4arch9wavefront6targetE0EEEvSK_.numbered_sgpr, max(68, .L_ZN7rocprim17ROCPRIM_400000_NS6detail26segmented_warp_sort_helperINS1_20WarpSortHelperConfigILj32ELj4ELj256EEEilLi256ELb0EvE4sortIPKiPiPKlPlEEvT_T0_T1_T2_jjjjRNS5_12storage_typeE.numbered_sgpr, .L_ZN7rocprim17ROCPRIM_400000_NS6detail40segmented_radix_sort_single_block_helperIilLj256ELj17ELb0EE4sortIPKiPiPKlPlEEbT_T0_T1_T2_jjjjRNS3_12storage_typeE.numbered_sgpr)
	.set _ZN7rocprim17ROCPRIM_400000_NS6detail17trampoline_kernelINS0_14default_configENS1_36segmented_radix_sort_config_selectorIilEEZNS1_25segmented_radix_sort_implIS3_Lb0EPKiPiPKlPlN2at6native12_GLOBAL__N_18offset_tEEE10hipError_tPvRmT1_PNSt15iterator_traitsISK_E10value_typeET2_T3_PNSL_ISQ_E10value_typeET4_jRbjT5_SW_jjP12ihipStream_tbEUlT_E2_NS1_11comp_targetILNS1_3genE8ELNS1_11target_archE1030ELNS1_3gpuE2ELNS1_3repE0EEENS1_30default_config_static_selectorELNS0_4arch9wavefront6targetE0EEEvSK_.num_named_barrier, max(0, .L_ZN7rocprim17ROCPRIM_400000_NS6detail26segmented_warp_sort_helperINS1_20WarpSortHelperConfigILj32ELj4ELj256EEEilLi256ELb0EvE4sortIPKiPiPKlPlEEvT_T0_T1_T2_jjjjRNS5_12storage_typeE.num_named_barrier, .L_ZN7rocprim17ROCPRIM_400000_NS6detail40segmented_radix_sort_single_block_helperIilLj256ELj17ELb0EE4sortIPKiPiPKlPlEEbT_T0_T1_T2_jjjjRNS3_12storage_typeE.num_named_barrier)
	.set _ZN7rocprim17ROCPRIM_400000_NS6detail17trampoline_kernelINS0_14default_configENS1_36segmented_radix_sort_config_selectorIilEEZNS1_25segmented_radix_sort_implIS3_Lb0EPKiPiPKlPlN2at6native12_GLOBAL__N_18offset_tEEE10hipError_tPvRmT1_PNSt15iterator_traitsISK_E10value_typeET2_T3_PNSL_ISQ_E10value_typeET4_jRbjT5_SW_jjP12ihipStream_tbEUlT_E2_NS1_11comp_targetILNS1_3genE8ELNS1_11target_archE1030ELNS1_3gpuE2ELNS1_3repE0EEENS1_30default_config_static_selectorELNS0_4arch9wavefront6targetE0EEEvSK_.private_seg_size, 0+max(.L_ZN7rocprim17ROCPRIM_400000_NS6detail26segmented_warp_sort_helperINS1_20WarpSortHelperConfigILj32ELj4ELj256EEEilLi256ELb0EvE4sortIPKiPiPKlPlEEvT_T0_T1_T2_jjjjRNS5_12storage_typeE.private_seg_size, .L_ZN7rocprim17ROCPRIM_400000_NS6detail40segmented_radix_sort_single_block_helperIilLj256ELj17ELb0EE4sortIPKiPiPKlPlEEbT_T0_T1_T2_jjjjRNS3_12storage_typeE.private_seg_size)
	.set _ZN7rocprim17ROCPRIM_400000_NS6detail17trampoline_kernelINS0_14default_configENS1_36segmented_radix_sort_config_selectorIilEEZNS1_25segmented_radix_sort_implIS3_Lb0EPKiPiPKlPlN2at6native12_GLOBAL__N_18offset_tEEE10hipError_tPvRmT1_PNSt15iterator_traitsISK_E10value_typeET2_T3_PNSL_ISQ_E10value_typeET4_jRbjT5_SW_jjP12ihipStream_tbEUlT_E2_NS1_11comp_targetILNS1_3genE8ELNS1_11target_archE1030ELNS1_3gpuE2ELNS1_3repE0EEENS1_30default_config_static_selectorELNS0_4arch9wavefront6targetE0EEEvSK_.uses_vcc, or(1, .L_ZN7rocprim17ROCPRIM_400000_NS6detail26segmented_warp_sort_helperINS1_20WarpSortHelperConfigILj32ELj4ELj256EEEilLi256ELb0EvE4sortIPKiPiPKlPlEEvT_T0_T1_T2_jjjjRNS5_12storage_typeE.uses_vcc, .L_ZN7rocprim17ROCPRIM_400000_NS6detail40segmented_radix_sort_single_block_helperIilLj256ELj17ELb0EE4sortIPKiPiPKlPlEEbT_T0_T1_T2_jjjjRNS3_12storage_typeE.uses_vcc)
	.set _ZN7rocprim17ROCPRIM_400000_NS6detail17trampoline_kernelINS0_14default_configENS1_36segmented_radix_sort_config_selectorIilEEZNS1_25segmented_radix_sort_implIS3_Lb0EPKiPiPKlPlN2at6native12_GLOBAL__N_18offset_tEEE10hipError_tPvRmT1_PNSt15iterator_traitsISK_E10value_typeET2_T3_PNSL_ISQ_E10value_typeET4_jRbjT5_SW_jjP12ihipStream_tbEUlT_E2_NS1_11comp_targetILNS1_3genE8ELNS1_11target_archE1030ELNS1_3gpuE2ELNS1_3repE0EEENS1_30default_config_static_selectorELNS0_4arch9wavefront6targetE0EEEvSK_.uses_flat_scratch, or(0, .L_ZN7rocprim17ROCPRIM_400000_NS6detail26segmented_warp_sort_helperINS1_20WarpSortHelperConfigILj32ELj4ELj256EEEilLi256ELb0EvE4sortIPKiPiPKlPlEEvT_T0_T1_T2_jjjjRNS5_12storage_typeE.uses_flat_scratch, .L_ZN7rocprim17ROCPRIM_400000_NS6detail40segmented_radix_sort_single_block_helperIilLj256ELj17ELb0EE4sortIPKiPiPKlPlEEbT_T0_T1_T2_jjjjRNS3_12storage_typeE.uses_flat_scratch)
	.set _ZN7rocprim17ROCPRIM_400000_NS6detail17trampoline_kernelINS0_14default_configENS1_36segmented_radix_sort_config_selectorIilEEZNS1_25segmented_radix_sort_implIS3_Lb0EPKiPiPKlPlN2at6native12_GLOBAL__N_18offset_tEEE10hipError_tPvRmT1_PNSt15iterator_traitsISK_E10value_typeET2_T3_PNSL_ISQ_E10value_typeET4_jRbjT5_SW_jjP12ihipStream_tbEUlT_E2_NS1_11comp_targetILNS1_3genE8ELNS1_11target_archE1030ELNS1_3gpuE2ELNS1_3repE0EEENS1_30default_config_static_selectorELNS0_4arch9wavefront6targetE0EEEvSK_.has_dyn_sized_stack, or(0, .L_ZN7rocprim17ROCPRIM_400000_NS6detail26segmented_warp_sort_helperINS1_20WarpSortHelperConfigILj32ELj4ELj256EEEilLi256ELb0EvE4sortIPKiPiPKlPlEEvT_T0_T1_T2_jjjjRNS5_12storage_typeE.has_dyn_sized_stack, .L_ZN7rocprim17ROCPRIM_400000_NS6detail40segmented_radix_sort_single_block_helperIilLj256ELj17ELb0EE4sortIPKiPiPKlPlEEbT_T0_T1_T2_jjjjRNS3_12storage_typeE.has_dyn_sized_stack)
	.set _ZN7rocprim17ROCPRIM_400000_NS6detail17trampoline_kernelINS0_14default_configENS1_36segmented_radix_sort_config_selectorIilEEZNS1_25segmented_radix_sort_implIS3_Lb0EPKiPiPKlPlN2at6native12_GLOBAL__N_18offset_tEEE10hipError_tPvRmT1_PNSt15iterator_traitsISK_E10value_typeET2_T3_PNSL_ISQ_E10value_typeET4_jRbjT5_SW_jjP12ihipStream_tbEUlT_E2_NS1_11comp_targetILNS1_3genE8ELNS1_11target_archE1030ELNS1_3gpuE2ELNS1_3repE0EEENS1_30default_config_static_selectorELNS0_4arch9wavefront6targetE0EEEvSK_.has_recursion, or(0, .L_ZN7rocprim17ROCPRIM_400000_NS6detail26segmented_warp_sort_helperINS1_20WarpSortHelperConfigILj32ELj4ELj256EEEilLi256ELb0EvE4sortIPKiPiPKlPlEEvT_T0_T1_T2_jjjjRNS5_12storage_typeE.has_recursion, .L_ZN7rocprim17ROCPRIM_400000_NS6detail40segmented_radix_sort_single_block_helperIilLj256ELj17ELb0EE4sortIPKiPiPKlPlEEbT_T0_T1_T2_jjjjRNS3_12storage_typeE.has_recursion)
	.set _ZN7rocprim17ROCPRIM_400000_NS6detail17trampoline_kernelINS0_14default_configENS1_36segmented_radix_sort_config_selectorIilEEZNS1_25segmented_radix_sort_implIS3_Lb0EPKiPiPKlPlN2at6native12_GLOBAL__N_18offset_tEEE10hipError_tPvRmT1_PNSt15iterator_traitsISK_E10value_typeET2_T3_PNSL_ISQ_E10value_typeET4_jRbjT5_SW_jjP12ihipStream_tbEUlT_E2_NS1_11comp_targetILNS1_3genE8ELNS1_11target_archE1030ELNS1_3gpuE2ELNS1_3repE0EEENS1_30default_config_static_selectorELNS0_4arch9wavefront6targetE0EEEvSK_.has_indirect_call, or(0, .L_ZN7rocprim17ROCPRIM_400000_NS6detail26segmented_warp_sort_helperINS1_20WarpSortHelperConfigILj32ELj4ELj256EEEilLi256ELb0EvE4sortIPKiPiPKlPlEEvT_T0_T1_T2_jjjjRNS5_12storage_typeE.has_indirect_call, .L_ZN7rocprim17ROCPRIM_400000_NS6detail40segmented_radix_sort_single_block_helperIilLj256ELj17ELb0EE4sortIPKiPiPKlPlEEbT_T0_T1_T2_jjjjRNS3_12storage_typeE.has_indirect_call)
	.section	.AMDGPU.csdata,"",@progbits
; Kernel info:
; codeLenInByte = 63952
; TotalNumSgprs: 70
; NumVgprs: 248
; ScratchSize: 196
; MemoryBound: 0
; FloatMode: 240
; IeeeMode: 1
; LDSByteSize: 35344 bytes/workgroup (compile time only)
; SGPRBlocks: 0
; VGPRBlocks: 30
; NumSGPRsForWavesPerEU: 70
; NumVGPRsForWavesPerEU: 248
; Occupancy: 4
; WaveLimiterHint : 1
; COMPUTE_PGM_RSRC2:SCRATCH_EN: 1
; COMPUTE_PGM_RSRC2:USER_SGPR: 6
; COMPUTE_PGM_RSRC2:TRAP_HANDLER: 0
; COMPUTE_PGM_RSRC2:TGID_X_EN: 1
; COMPUTE_PGM_RSRC2:TGID_Y_EN: 1
; COMPUTE_PGM_RSRC2:TGID_Z_EN: 0
; COMPUTE_PGM_RSRC2:TIDIG_COMP_CNT: 2
	.section	.text._ZN2at6native12_GLOBAL__N_123sort_postprocess_kernelIlEEvPKT_PS3_PlPK15HIP_vector_typeIiLj2EEii,"axG",@progbits,_ZN2at6native12_GLOBAL__N_123sort_postprocess_kernelIlEEvPKT_PS3_PlPK15HIP_vector_typeIiLj2EEii,comdat
	.globl	_ZN2at6native12_GLOBAL__N_123sort_postprocess_kernelIlEEvPKT_PS3_PlPK15HIP_vector_typeIiLj2EEii ; -- Begin function _ZN2at6native12_GLOBAL__N_123sort_postprocess_kernelIlEEvPKT_PS3_PlPK15HIP_vector_typeIiLj2EEii
	.p2align	8
	.type	_ZN2at6native12_GLOBAL__N_123sort_postprocess_kernelIlEEvPKT_PS3_PlPK15HIP_vector_typeIiLj2EEii,@function
_ZN2at6native12_GLOBAL__N_123sort_postprocess_kernelIlEEvPKT_PS3_PlPK15HIP_vector_typeIiLj2EEii: ; @_ZN2at6native12_GLOBAL__N_123sort_postprocess_kernelIlEEvPKT_PS3_PlPK15HIP_vector_typeIiLj2EEii
; %bb.0:
	s_clause 0x1
	s_load_dword s2, s[4:5], 0x34
	s_load_dwordx2 s[8:9], s[4:5], 0x20
	s_add_u32 s0, s4, 40
	s_addc_u32 s1, s5, 0
	s_waitcnt lgkmcnt(0)
	s_and_b32 s15, s2, 0xffff
	s_mul_i32 s13, s15, s6
	s_mul_hi_u32 s12, s15, s6
	v_add_co_u32 v1, s2, s13, v0
	v_add_co_ci_u32_e64 v2, null, s12, 0, s2
	s_mul_i32 s2, s9, s8
	s_ashr_i32 s3, s2, 31
	v_cmp_gt_i64_e32 vcc_lo, s[2:3], v[1:2]
	v_mov_b32_e32 v1, 0
	s_and_saveexec_b32 s6, vcc_lo
	s_cbranch_execz .LBB633_3
; %bb.1:
	s_abs_i32 s14, s9
	s_load_dword s0, s[0:1], 0x0
	v_cvt_f32_u32_e32 v2, s14
	s_sub_i32 s1, 0, s14
	s_load_dwordx8 s[4:11], s[4:5], 0x0
	v_rcp_iflag_f32_e32 v2, v2
	v_mul_f32_e32 v2, 0x4f7ffffe, v2
	v_cvt_u32_f32_e32 v2, v2
	v_mul_lo_u32 v3, s1, v2
	s_waitcnt lgkmcnt(0)
	s_mul_i32 s1, s0, s15
	s_mov_b32 s15, 0
	v_mul_hi_u32 v3, v2, v3
	v_add_nc_u32_e32 v2, v2, v3
.LBB633_2:                              ; =>This Inner Loop Header: Depth=1
	v_add_nc_u32_e32 v3, s13, v0
	v_sub_nc_u32_e32 v4, 0, v3
	v_ashrrev_i32_e32 v6, 31, v3
	v_max_i32_e32 v4, v3, v4
	v_add_nc_u32_e32 v3, v3, v6
	v_mul_hi_u32 v5, v4, v2
	v_mul_lo_u32 v5, v5, s14
	v_sub_nc_u32_e32 v4, v4, v5
	v_subrev_nc_u32_e32 v5, s14, v4
	v_cmp_le_u32_e32 vcc_lo, s14, v4
	v_cndmask_b32_e32 v4, v4, v5, vcc_lo
	v_subrev_nc_u32_e32 v5, s14, v4
	v_cmp_le_u32_e32 vcc_lo, s14, v4
	v_cndmask_b32_e32 v4, v4, v5, vcc_lo
	v_xor_b32_e32 v4, v4, v6
	v_sub_nc_u32_e32 v3, v3, v4
	v_sub_nc_u32_e32 v5, v4, v6
	v_ashrrev_i32_e32 v4, 31, v3
	v_ashrrev_i32_e32 v6, 31, v5
	v_lshlrev_b64 v[3:4], 3, v[3:4]
	v_lshlrev_b64 v[5:6], 3, v[5:6]
	v_add_co_u32 v7, vcc_lo, s10, v3
	v_add_co_ci_u32_e64 v8, null, s11, v4, vcc_lo
	v_add_co_u32 v7, vcc_lo, v7, v5
	v_add_co_ci_u32_e64 v8, null, v8, v6, vcc_lo
	;; [unrolled: 2-line block ×3, first 2 shown]
	global_load_dword v7, v[7:8], off offset:4
	v_add_co_u32 v9, vcc_lo, s8, v3
	v_add_co_ci_u32_e64 v10, null, s9, v4, vcc_lo
	v_add_co_u32 v9, vcc_lo, v9, v5
	v_add_co_ci_u32_e64 v10, null, v10, v6, vcc_lo
	s_waitcnt vmcnt(0)
	v_ashrrev_i32_e32 v8, 31, v7
	v_lshlrev_b64 v[11:12], 3, v[7:8]
	global_store_dwordx2 v[9:10], v[7:8], off
	v_add_co_u32 v11, vcc_lo, v13, v11
	v_add_co_ci_u32_e64 v12, null, v14, v12, vcc_lo
	v_add_co_u32 v0, vcc_lo, v0, s1
	v_add_co_ci_u32_e64 v1, null, 0, v1, vcc_lo
	global_load_dwordx2 v[7:8], v[11:12], off
	v_add_co_u32 v9, vcc_lo, s13, v0
	v_add_co_ci_u32_e64 v10, null, s12, v1, vcc_lo
	v_add_co_u32 v3, vcc_lo, s6, v3
	v_add_co_ci_u32_e64 v4, null, s7, v4, vcc_lo
	v_cmp_le_i64_e32 vcc_lo, s[2:3], v[9:10]
	v_add_co_u32 v3, s0, v3, v5
	v_add_co_ci_u32_e64 v4, null, v4, v6, s0
	s_or_b32 s15, vcc_lo, s15
	s_waitcnt vmcnt(0)
	global_store_dwordx2 v[3:4], v[7:8], off
	s_andn2_b32 exec_lo, exec_lo, s15
	s_cbranch_execnz .LBB633_2
.LBB633_3:
	s_endpgm
	.section	.rodata,"a",@progbits
	.p2align	6, 0x0
	.amdhsa_kernel _ZN2at6native12_GLOBAL__N_123sort_postprocess_kernelIlEEvPKT_PS3_PlPK15HIP_vector_typeIiLj2EEii
		.amdhsa_group_segment_fixed_size 0
		.amdhsa_private_segment_fixed_size 0
		.amdhsa_kernarg_size 296
		.amdhsa_user_sgpr_count 6
		.amdhsa_user_sgpr_private_segment_buffer 1
		.amdhsa_user_sgpr_dispatch_ptr 0
		.amdhsa_user_sgpr_queue_ptr 0
		.amdhsa_user_sgpr_kernarg_segment_ptr 1
		.amdhsa_user_sgpr_dispatch_id 0
		.amdhsa_user_sgpr_flat_scratch_init 0
		.amdhsa_user_sgpr_private_segment_size 0
		.amdhsa_wavefront_size32 1
		.amdhsa_uses_dynamic_stack 0
		.amdhsa_system_sgpr_private_segment_wavefront_offset 0
		.amdhsa_system_sgpr_workgroup_id_x 1
		.amdhsa_system_sgpr_workgroup_id_y 0
		.amdhsa_system_sgpr_workgroup_id_z 0
		.amdhsa_system_sgpr_workgroup_info 0
		.amdhsa_system_vgpr_workitem_id 0
		.amdhsa_next_free_vgpr 15
		.amdhsa_next_free_sgpr 16
		.amdhsa_reserve_vcc 1
		.amdhsa_reserve_flat_scratch 0
		.amdhsa_float_round_mode_32 0
		.amdhsa_float_round_mode_16_64 0
		.amdhsa_float_denorm_mode_32 3
		.amdhsa_float_denorm_mode_16_64 3
		.amdhsa_dx10_clamp 1
		.amdhsa_ieee_mode 1
		.amdhsa_fp16_overflow 0
		.amdhsa_workgroup_processor_mode 1
		.amdhsa_memory_ordered 1
		.amdhsa_forward_progress 1
		.amdhsa_shared_vgpr_count 0
		.amdhsa_exception_fp_ieee_invalid_op 0
		.amdhsa_exception_fp_denorm_src 0
		.amdhsa_exception_fp_ieee_div_zero 0
		.amdhsa_exception_fp_ieee_overflow 0
		.amdhsa_exception_fp_ieee_underflow 0
		.amdhsa_exception_fp_ieee_inexact 0
		.amdhsa_exception_int_div_zero 0
	.end_amdhsa_kernel
	.section	.text._ZN2at6native12_GLOBAL__N_123sort_postprocess_kernelIlEEvPKT_PS3_PlPK15HIP_vector_typeIiLj2EEii,"axG",@progbits,_ZN2at6native12_GLOBAL__N_123sort_postprocess_kernelIlEEvPKT_PS3_PlPK15HIP_vector_typeIiLj2EEii,comdat
.Lfunc_end633:
	.size	_ZN2at6native12_GLOBAL__N_123sort_postprocess_kernelIlEEvPKT_PS3_PlPK15HIP_vector_typeIiLj2EEii, .Lfunc_end633-_ZN2at6native12_GLOBAL__N_123sort_postprocess_kernelIlEEvPKT_PS3_PlPK15HIP_vector_typeIiLj2EEii
                                        ; -- End function
	.set _ZN2at6native12_GLOBAL__N_123sort_postprocess_kernelIlEEvPKT_PS3_PlPK15HIP_vector_typeIiLj2EEii.num_vgpr, 15
	.set _ZN2at6native12_GLOBAL__N_123sort_postprocess_kernelIlEEvPKT_PS3_PlPK15HIP_vector_typeIiLj2EEii.num_agpr, 0
	.set _ZN2at6native12_GLOBAL__N_123sort_postprocess_kernelIlEEvPKT_PS3_PlPK15HIP_vector_typeIiLj2EEii.numbered_sgpr, 16
	.set _ZN2at6native12_GLOBAL__N_123sort_postprocess_kernelIlEEvPKT_PS3_PlPK15HIP_vector_typeIiLj2EEii.num_named_barrier, 0
	.set _ZN2at6native12_GLOBAL__N_123sort_postprocess_kernelIlEEvPKT_PS3_PlPK15HIP_vector_typeIiLj2EEii.private_seg_size, 0
	.set _ZN2at6native12_GLOBAL__N_123sort_postprocess_kernelIlEEvPKT_PS3_PlPK15HIP_vector_typeIiLj2EEii.uses_vcc, 1
	.set _ZN2at6native12_GLOBAL__N_123sort_postprocess_kernelIlEEvPKT_PS3_PlPK15HIP_vector_typeIiLj2EEii.uses_flat_scratch, 0
	.set _ZN2at6native12_GLOBAL__N_123sort_postprocess_kernelIlEEvPKT_PS3_PlPK15HIP_vector_typeIiLj2EEii.has_dyn_sized_stack, 0
	.set _ZN2at6native12_GLOBAL__N_123sort_postprocess_kernelIlEEvPKT_PS3_PlPK15HIP_vector_typeIiLj2EEii.has_recursion, 0
	.set _ZN2at6native12_GLOBAL__N_123sort_postprocess_kernelIlEEvPKT_PS3_PlPK15HIP_vector_typeIiLj2EEii.has_indirect_call, 0
	.section	.AMDGPU.csdata,"",@progbits
; Kernel info:
; codeLenInByte = 496
; TotalNumSgprs: 18
; NumVgprs: 15
; ScratchSize: 0
; MemoryBound: 0
; FloatMode: 240
; IeeeMode: 1
; LDSByteSize: 0 bytes/workgroup (compile time only)
; SGPRBlocks: 0
; VGPRBlocks: 1
; NumSGPRsForWavesPerEU: 18
; NumVGPRsForWavesPerEU: 15
; Occupancy: 16
; WaveLimiterHint : 1
; COMPUTE_PGM_RSRC2:SCRATCH_EN: 0
; COMPUTE_PGM_RSRC2:USER_SGPR: 6
; COMPUTE_PGM_RSRC2:TRAP_HANDLER: 0
; COMPUTE_PGM_RSRC2:TGID_X_EN: 1
; COMPUTE_PGM_RSRC2:TGID_Y_EN: 0
; COMPUTE_PGM_RSRC2:TGID_Z_EN: 0
; COMPUTE_PGM_RSRC2:TIDIG_COMP_CNT: 0
	.section	.text._ZN7rocprim17ROCPRIM_400000_NS6detail17trampoline_kernelINS0_13select_configILj256ELj13ELNS0_17block_load_methodE3ELS4_3ELS4_3ELNS0_20block_scan_algorithmE0ELj4294967295EEENS1_25partition_config_selectorILNS1_17partition_subalgoE4EjNS0_10empty_typeEbEEZZNS1_14partition_implILS8_4ELb0ES6_15HIP_vector_typeIjLj2EENS0_17counting_iteratorIjlEEPS9_SG_NS0_5tupleIJPjSI_NS0_16reverse_iteratorISI_EEEEENSH_IJSG_SG_SG_EEES9_SI_JZNS1_25segmented_radix_sort_implINS0_14default_configELb1EPKlPlSQ_SR_N2at6native12_GLOBAL__N_18offset_tEEE10hipError_tPvRmT1_PNSt15iterator_traitsISZ_E10value_typeET2_T3_PNS10_IS15_E10value_typeET4_jRbjT5_S1B_jjP12ihipStream_tbEUljE_ZNSN_ISO_Lb1ESQ_SR_SQ_SR_SV_EESW_SX_SY_SZ_S13_S14_S15_S18_S19_jS1A_jS1B_S1B_jjS1D_bEUljE0_EEESW_SX_SY_S15_S19_S1B_T6_T7_T9_mT8_S1D_bDpT10_ENKUlT_T0_E_clISt17integral_constantIbLb0EES1R_EEDaS1M_S1N_EUlS1M_E_NS1_11comp_targetILNS1_3genE0ELNS1_11target_archE4294967295ELNS1_3gpuE0ELNS1_3repE0EEENS1_30default_config_static_selectorELNS0_4arch9wavefront6targetE0EEEvSZ_,"axG",@progbits,_ZN7rocprim17ROCPRIM_400000_NS6detail17trampoline_kernelINS0_13select_configILj256ELj13ELNS0_17block_load_methodE3ELS4_3ELS4_3ELNS0_20block_scan_algorithmE0ELj4294967295EEENS1_25partition_config_selectorILNS1_17partition_subalgoE4EjNS0_10empty_typeEbEEZZNS1_14partition_implILS8_4ELb0ES6_15HIP_vector_typeIjLj2EENS0_17counting_iteratorIjlEEPS9_SG_NS0_5tupleIJPjSI_NS0_16reverse_iteratorISI_EEEEENSH_IJSG_SG_SG_EEES9_SI_JZNS1_25segmented_radix_sort_implINS0_14default_configELb1EPKlPlSQ_SR_N2at6native12_GLOBAL__N_18offset_tEEE10hipError_tPvRmT1_PNSt15iterator_traitsISZ_E10value_typeET2_T3_PNS10_IS15_E10value_typeET4_jRbjT5_S1B_jjP12ihipStream_tbEUljE_ZNSN_ISO_Lb1ESQ_SR_SQ_SR_SV_EESW_SX_SY_SZ_S13_S14_S15_S18_S19_jS1A_jS1B_S1B_jjS1D_bEUljE0_EEESW_SX_SY_S15_S19_S1B_T6_T7_T9_mT8_S1D_bDpT10_ENKUlT_T0_E_clISt17integral_constantIbLb0EES1R_EEDaS1M_S1N_EUlS1M_E_NS1_11comp_targetILNS1_3genE0ELNS1_11target_archE4294967295ELNS1_3gpuE0ELNS1_3repE0EEENS1_30default_config_static_selectorELNS0_4arch9wavefront6targetE0EEEvSZ_,comdat
	.globl	_ZN7rocprim17ROCPRIM_400000_NS6detail17trampoline_kernelINS0_13select_configILj256ELj13ELNS0_17block_load_methodE3ELS4_3ELS4_3ELNS0_20block_scan_algorithmE0ELj4294967295EEENS1_25partition_config_selectorILNS1_17partition_subalgoE4EjNS0_10empty_typeEbEEZZNS1_14partition_implILS8_4ELb0ES6_15HIP_vector_typeIjLj2EENS0_17counting_iteratorIjlEEPS9_SG_NS0_5tupleIJPjSI_NS0_16reverse_iteratorISI_EEEEENSH_IJSG_SG_SG_EEES9_SI_JZNS1_25segmented_radix_sort_implINS0_14default_configELb1EPKlPlSQ_SR_N2at6native12_GLOBAL__N_18offset_tEEE10hipError_tPvRmT1_PNSt15iterator_traitsISZ_E10value_typeET2_T3_PNS10_IS15_E10value_typeET4_jRbjT5_S1B_jjP12ihipStream_tbEUljE_ZNSN_ISO_Lb1ESQ_SR_SQ_SR_SV_EESW_SX_SY_SZ_S13_S14_S15_S18_S19_jS1A_jS1B_S1B_jjS1D_bEUljE0_EEESW_SX_SY_S15_S19_S1B_T6_T7_T9_mT8_S1D_bDpT10_ENKUlT_T0_E_clISt17integral_constantIbLb0EES1R_EEDaS1M_S1N_EUlS1M_E_NS1_11comp_targetILNS1_3genE0ELNS1_11target_archE4294967295ELNS1_3gpuE0ELNS1_3repE0EEENS1_30default_config_static_selectorELNS0_4arch9wavefront6targetE0EEEvSZ_ ; -- Begin function _ZN7rocprim17ROCPRIM_400000_NS6detail17trampoline_kernelINS0_13select_configILj256ELj13ELNS0_17block_load_methodE3ELS4_3ELS4_3ELNS0_20block_scan_algorithmE0ELj4294967295EEENS1_25partition_config_selectorILNS1_17partition_subalgoE4EjNS0_10empty_typeEbEEZZNS1_14partition_implILS8_4ELb0ES6_15HIP_vector_typeIjLj2EENS0_17counting_iteratorIjlEEPS9_SG_NS0_5tupleIJPjSI_NS0_16reverse_iteratorISI_EEEEENSH_IJSG_SG_SG_EEES9_SI_JZNS1_25segmented_radix_sort_implINS0_14default_configELb1EPKlPlSQ_SR_N2at6native12_GLOBAL__N_18offset_tEEE10hipError_tPvRmT1_PNSt15iterator_traitsISZ_E10value_typeET2_T3_PNS10_IS15_E10value_typeET4_jRbjT5_S1B_jjP12ihipStream_tbEUljE_ZNSN_ISO_Lb1ESQ_SR_SQ_SR_SV_EESW_SX_SY_SZ_S13_S14_S15_S18_S19_jS1A_jS1B_S1B_jjS1D_bEUljE0_EEESW_SX_SY_S15_S19_S1B_T6_T7_T9_mT8_S1D_bDpT10_ENKUlT_T0_E_clISt17integral_constantIbLb0EES1R_EEDaS1M_S1N_EUlS1M_E_NS1_11comp_targetILNS1_3genE0ELNS1_11target_archE4294967295ELNS1_3gpuE0ELNS1_3repE0EEENS1_30default_config_static_selectorELNS0_4arch9wavefront6targetE0EEEvSZ_
	.p2align	8
	.type	_ZN7rocprim17ROCPRIM_400000_NS6detail17trampoline_kernelINS0_13select_configILj256ELj13ELNS0_17block_load_methodE3ELS4_3ELS4_3ELNS0_20block_scan_algorithmE0ELj4294967295EEENS1_25partition_config_selectorILNS1_17partition_subalgoE4EjNS0_10empty_typeEbEEZZNS1_14partition_implILS8_4ELb0ES6_15HIP_vector_typeIjLj2EENS0_17counting_iteratorIjlEEPS9_SG_NS0_5tupleIJPjSI_NS0_16reverse_iteratorISI_EEEEENSH_IJSG_SG_SG_EEES9_SI_JZNS1_25segmented_radix_sort_implINS0_14default_configELb1EPKlPlSQ_SR_N2at6native12_GLOBAL__N_18offset_tEEE10hipError_tPvRmT1_PNSt15iterator_traitsISZ_E10value_typeET2_T3_PNS10_IS15_E10value_typeET4_jRbjT5_S1B_jjP12ihipStream_tbEUljE_ZNSN_ISO_Lb1ESQ_SR_SQ_SR_SV_EESW_SX_SY_SZ_S13_S14_S15_S18_S19_jS1A_jS1B_S1B_jjS1D_bEUljE0_EEESW_SX_SY_S15_S19_S1B_T6_T7_T9_mT8_S1D_bDpT10_ENKUlT_T0_E_clISt17integral_constantIbLb0EES1R_EEDaS1M_S1N_EUlS1M_E_NS1_11comp_targetILNS1_3genE0ELNS1_11target_archE4294967295ELNS1_3gpuE0ELNS1_3repE0EEENS1_30default_config_static_selectorELNS0_4arch9wavefront6targetE0EEEvSZ_,@function
_ZN7rocprim17ROCPRIM_400000_NS6detail17trampoline_kernelINS0_13select_configILj256ELj13ELNS0_17block_load_methodE3ELS4_3ELS4_3ELNS0_20block_scan_algorithmE0ELj4294967295EEENS1_25partition_config_selectorILNS1_17partition_subalgoE4EjNS0_10empty_typeEbEEZZNS1_14partition_implILS8_4ELb0ES6_15HIP_vector_typeIjLj2EENS0_17counting_iteratorIjlEEPS9_SG_NS0_5tupleIJPjSI_NS0_16reverse_iteratorISI_EEEEENSH_IJSG_SG_SG_EEES9_SI_JZNS1_25segmented_radix_sort_implINS0_14default_configELb1EPKlPlSQ_SR_N2at6native12_GLOBAL__N_18offset_tEEE10hipError_tPvRmT1_PNSt15iterator_traitsISZ_E10value_typeET2_T3_PNS10_IS15_E10value_typeET4_jRbjT5_S1B_jjP12ihipStream_tbEUljE_ZNSN_ISO_Lb1ESQ_SR_SQ_SR_SV_EESW_SX_SY_SZ_S13_S14_S15_S18_S19_jS1A_jS1B_S1B_jjS1D_bEUljE0_EEESW_SX_SY_S15_S19_S1B_T6_T7_T9_mT8_S1D_bDpT10_ENKUlT_T0_E_clISt17integral_constantIbLb0EES1R_EEDaS1M_S1N_EUlS1M_E_NS1_11comp_targetILNS1_3genE0ELNS1_11target_archE4294967295ELNS1_3gpuE0ELNS1_3repE0EEENS1_30default_config_static_selectorELNS0_4arch9wavefront6targetE0EEEvSZ_: ; @_ZN7rocprim17ROCPRIM_400000_NS6detail17trampoline_kernelINS0_13select_configILj256ELj13ELNS0_17block_load_methodE3ELS4_3ELS4_3ELNS0_20block_scan_algorithmE0ELj4294967295EEENS1_25partition_config_selectorILNS1_17partition_subalgoE4EjNS0_10empty_typeEbEEZZNS1_14partition_implILS8_4ELb0ES6_15HIP_vector_typeIjLj2EENS0_17counting_iteratorIjlEEPS9_SG_NS0_5tupleIJPjSI_NS0_16reverse_iteratorISI_EEEEENSH_IJSG_SG_SG_EEES9_SI_JZNS1_25segmented_radix_sort_implINS0_14default_configELb1EPKlPlSQ_SR_N2at6native12_GLOBAL__N_18offset_tEEE10hipError_tPvRmT1_PNSt15iterator_traitsISZ_E10value_typeET2_T3_PNS10_IS15_E10value_typeET4_jRbjT5_S1B_jjP12ihipStream_tbEUljE_ZNSN_ISO_Lb1ESQ_SR_SQ_SR_SV_EESW_SX_SY_SZ_S13_S14_S15_S18_S19_jS1A_jS1B_S1B_jjS1D_bEUljE0_EEESW_SX_SY_S15_S19_S1B_T6_T7_T9_mT8_S1D_bDpT10_ENKUlT_T0_E_clISt17integral_constantIbLb0EES1R_EEDaS1M_S1N_EUlS1M_E_NS1_11comp_targetILNS1_3genE0ELNS1_11target_archE4294967295ELNS1_3gpuE0ELNS1_3repE0EEENS1_30default_config_static_selectorELNS0_4arch9wavefront6targetE0EEEvSZ_
; %bb.0:
	.section	.rodata,"a",@progbits
	.p2align	6, 0x0
	.amdhsa_kernel _ZN7rocprim17ROCPRIM_400000_NS6detail17trampoline_kernelINS0_13select_configILj256ELj13ELNS0_17block_load_methodE3ELS4_3ELS4_3ELNS0_20block_scan_algorithmE0ELj4294967295EEENS1_25partition_config_selectorILNS1_17partition_subalgoE4EjNS0_10empty_typeEbEEZZNS1_14partition_implILS8_4ELb0ES6_15HIP_vector_typeIjLj2EENS0_17counting_iteratorIjlEEPS9_SG_NS0_5tupleIJPjSI_NS0_16reverse_iteratorISI_EEEEENSH_IJSG_SG_SG_EEES9_SI_JZNS1_25segmented_radix_sort_implINS0_14default_configELb1EPKlPlSQ_SR_N2at6native12_GLOBAL__N_18offset_tEEE10hipError_tPvRmT1_PNSt15iterator_traitsISZ_E10value_typeET2_T3_PNS10_IS15_E10value_typeET4_jRbjT5_S1B_jjP12ihipStream_tbEUljE_ZNSN_ISO_Lb1ESQ_SR_SQ_SR_SV_EESW_SX_SY_SZ_S13_S14_S15_S18_S19_jS1A_jS1B_S1B_jjS1D_bEUljE0_EEESW_SX_SY_S15_S19_S1B_T6_T7_T9_mT8_S1D_bDpT10_ENKUlT_T0_E_clISt17integral_constantIbLb0EES1R_EEDaS1M_S1N_EUlS1M_E_NS1_11comp_targetILNS1_3genE0ELNS1_11target_archE4294967295ELNS1_3gpuE0ELNS1_3repE0EEENS1_30default_config_static_selectorELNS0_4arch9wavefront6targetE0EEEvSZ_
		.amdhsa_group_segment_fixed_size 0
		.amdhsa_private_segment_fixed_size 0
		.amdhsa_kernarg_size 176
		.amdhsa_user_sgpr_count 6
		.amdhsa_user_sgpr_private_segment_buffer 1
		.amdhsa_user_sgpr_dispatch_ptr 0
		.amdhsa_user_sgpr_queue_ptr 0
		.amdhsa_user_sgpr_kernarg_segment_ptr 1
		.amdhsa_user_sgpr_dispatch_id 0
		.amdhsa_user_sgpr_flat_scratch_init 0
		.amdhsa_user_sgpr_private_segment_size 0
		.amdhsa_wavefront_size32 1
		.amdhsa_uses_dynamic_stack 0
		.amdhsa_system_sgpr_private_segment_wavefront_offset 0
		.amdhsa_system_sgpr_workgroup_id_x 1
		.amdhsa_system_sgpr_workgroup_id_y 0
		.amdhsa_system_sgpr_workgroup_id_z 0
		.amdhsa_system_sgpr_workgroup_info 0
		.amdhsa_system_vgpr_workitem_id 0
		.amdhsa_next_free_vgpr 1
		.amdhsa_next_free_sgpr 1
		.amdhsa_reserve_vcc 0
		.amdhsa_reserve_flat_scratch 0
		.amdhsa_float_round_mode_32 0
		.amdhsa_float_round_mode_16_64 0
		.amdhsa_float_denorm_mode_32 3
		.amdhsa_float_denorm_mode_16_64 3
		.amdhsa_dx10_clamp 1
		.amdhsa_ieee_mode 1
		.amdhsa_fp16_overflow 0
		.amdhsa_workgroup_processor_mode 1
		.amdhsa_memory_ordered 1
		.amdhsa_forward_progress 1
		.amdhsa_shared_vgpr_count 0
		.amdhsa_exception_fp_ieee_invalid_op 0
		.amdhsa_exception_fp_denorm_src 0
		.amdhsa_exception_fp_ieee_div_zero 0
		.amdhsa_exception_fp_ieee_overflow 0
		.amdhsa_exception_fp_ieee_underflow 0
		.amdhsa_exception_fp_ieee_inexact 0
		.amdhsa_exception_int_div_zero 0
	.end_amdhsa_kernel
	.section	.text._ZN7rocprim17ROCPRIM_400000_NS6detail17trampoline_kernelINS0_13select_configILj256ELj13ELNS0_17block_load_methodE3ELS4_3ELS4_3ELNS0_20block_scan_algorithmE0ELj4294967295EEENS1_25partition_config_selectorILNS1_17partition_subalgoE4EjNS0_10empty_typeEbEEZZNS1_14partition_implILS8_4ELb0ES6_15HIP_vector_typeIjLj2EENS0_17counting_iteratorIjlEEPS9_SG_NS0_5tupleIJPjSI_NS0_16reverse_iteratorISI_EEEEENSH_IJSG_SG_SG_EEES9_SI_JZNS1_25segmented_radix_sort_implINS0_14default_configELb1EPKlPlSQ_SR_N2at6native12_GLOBAL__N_18offset_tEEE10hipError_tPvRmT1_PNSt15iterator_traitsISZ_E10value_typeET2_T3_PNS10_IS15_E10value_typeET4_jRbjT5_S1B_jjP12ihipStream_tbEUljE_ZNSN_ISO_Lb1ESQ_SR_SQ_SR_SV_EESW_SX_SY_SZ_S13_S14_S15_S18_S19_jS1A_jS1B_S1B_jjS1D_bEUljE0_EEESW_SX_SY_S15_S19_S1B_T6_T7_T9_mT8_S1D_bDpT10_ENKUlT_T0_E_clISt17integral_constantIbLb0EES1R_EEDaS1M_S1N_EUlS1M_E_NS1_11comp_targetILNS1_3genE0ELNS1_11target_archE4294967295ELNS1_3gpuE0ELNS1_3repE0EEENS1_30default_config_static_selectorELNS0_4arch9wavefront6targetE0EEEvSZ_,"axG",@progbits,_ZN7rocprim17ROCPRIM_400000_NS6detail17trampoline_kernelINS0_13select_configILj256ELj13ELNS0_17block_load_methodE3ELS4_3ELS4_3ELNS0_20block_scan_algorithmE0ELj4294967295EEENS1_25partition_config_selectorILNS1_17partition_subalgoE4EjNS0_10empty_typeEbEEZZNS1_14partition_implILS8_4ELb0ES6_15HIP_vector_typeIjLj2EENS0_17counting_iteratorIjlEEPS9_SG_NS0_5tupleIJPjSI_NS0_16reverse_iteratorISI_EEEEENSH_IJSG_SG_SG_EEES9_SI_JZNS1_25segmented_radix_sort_implINS0_14default_configELb1EPKlPlSQ_SR_N2at6native12_GLOBAL__N_18offset_tEEE10hipError_tPvRmT1_PNSt15iterator_traitsISZ_E10value_typeET2_T3_PNS10_IS15_E10value_typeET4_jRbjT5_S1B_jjP12ihipStream_tbEUljE_ZNSN_ISO_Lb1ESQ_SR_SQ_SR_SV_EESW_SX_SY_SZ_S13_S14_S15_S18_S19_jS1A_jS1B_S1B_jjS1D_bEUljE0_EEESW_SX_SY_S15_S19_S1B_T6_T7_T9_mT8_S1D_bDpT10_ENKUlT_T0_E_clISt17integral_constantIbLb0EES1R_EEDaS1M_S1N_EUlS1M_E_NS1_11comp_targetILNS1_3genE0ELNS1_11target_archE4294967295ELNS1_3gpuE0ELNS1_3repE0EEENS1_30default_config_static_selectorELNS0_4arch9wavefront6targetE0EEEvSZ_,comdat
.Lfunc_end634:
	.size	_ZN7rocprim17ROCPRIM_400000_NS6detail17trampoline_kernelINS0_13select_configILj256ELj13ELNS0_17block_load_methodE3ELS4_3ELS4_3ELNS0_20block_scan_algorithmE0ELj4294967295EEENS1_25partition_config_selectorILNS1_17partition_subalgoE4EjNS0_10empty_typeEbEEZZNS1_14partition_implILS8_4ELb0ES6_15HIP_vector_typeIjLj2EENS0_17counting_iteratorIjlEEPS9_SG_NS0_5tupleIJPjSI_NS0_16reverse_iteratorISI_EEEEENSH_IJSG_SG_SG_EEES9_SI_JZNS1_25segmented_radix_sort_implINS0_14default_configELb1EPKlPlSQ_SR_N2at6native12_GLOBAL__N_18offset_tEEE10hipError_tPvRmT1_PNSt15iterator_traitsISZ_E10value_typeET2_T3_PNS10_IS15_E10value_typeET4_jRbjT5_S1B_jjP12ihipStream_tbEUljE_ZNSN_ISO_Lb1ESQ_SR_SQ_SR_SV_EESW_SX_SY_SZ_S13_S14_S15_S18_S19_jS1A_jS1B_S1B_jjS1D_bEUljE0_EEESW_SX_SY_S15_S19_S1B_T6_T7_T9_mT8_S1D_bDpT10_ENKUlT_T0_E_clISt17integral_constantIbLb0EES1R_EEDaS1M_S1N_EUlS1M_E_NS1_11comp_targetILNS1_3genE0ELNS1_11target_archE4294967295ELNS1_3gpuE0ELNS1_3repE0EEENS1_30default_config_static_selectorELNS0_4arch9wavefront6targetE0EEEvSZ_, .Lfunc_end634-_ZN7rocprim17ROCPRIM_400000_NS6detail17trampoline_kernelINS0_13select_configILj256ELj13ELNS0_17block_load_methodE3ELS4_3ELS4_3ELNS0_20block_scan_algorithmE0ELj4294967295EEENS1_25partition_config_selectorILNS1_17partition_subalgoE4EjNS0_10empty_typeEbEEZZNS1_14partition_implILS8_4ELb0ES6_15HIP_vector_typeIjLj2EENS0_17counting_iteratorIjlEEPS9_SG_NS0_5tupleIJPjSI_NS0_16reverse_iteratorISI_EEEEENSH_IJSG_SG_SG_EEES9_SI_JZNS1_25segmented_radix_sort_implINS0_14default_configELb1EPKlPlSQ_SR_N2at6native12_GLOBAL__N_18offset_tEEE10hipError_tPvRmT1_PNSt15iterator_traitsISZ_E10value_typeET2_T3_PNS10_IS15_E10value_typeET4_jRbjT5_S1B_jjP12ihipStream_tbEUljE_ZNSN_ISO_Lb1ESQ_SR_SQ_SR_SV_EESW_SX_SY_SZ_S13_S14_S15_S18_S19_jS1A_jS1B_S1B_jjS1D_bEUljE0_EEESW_SX_SY_S15_S19_S1B_T6_T7_T9_mT8_S1D_bDpT10_ENKUlT_T0_E_clISt17integral_constantIbLb0EES1R_EEDaS1M_S1N_EUlS1M_E_NS1_11comp_targetILNS1_3genE0ELNS1_11target_archE4294967295ELNS1_3gpuE0ELNS1_3repE0EEENS1_30default_config_static_selectorELNS0_4arch9wavefront6targetE0EEEvSZ_
                                        ; -- End function
	.set _ZN7rocprim17ROCPRIM_400000_NS6detail17trampoline_kernelINS0_13select_configILj256ELj13ELNS0_17block_load_methodE3ELS4_3ELS4_3ELNS0_20block_scan_algorithmE0ELj4294967295EEENS1_25partition_config_selectorILNS1_17partition_subalgoE4EjNS0_10empty_typeEbEEZZNS1_14partition_implILS8_4ELb0ES6_15HIP_vector_typeIjLj2EENS0_17counting_iteratorIjlEEPS9_SG_NS0_5tupleIJPjSI_NS0_16reverse_iteratorISI_EEEEENSH_IJSG_SG_SG_EEES9_SI_JZNS1_25segmented_radix_sort_implINS0_14default_configELb1EPKlPlSQ_SR_N2at6native12_GLOBAL__N_18offset_tEEE10hipError_tPvRmT1_PNSt15iterator_traitsISZ_E10value_typeET2_T3_PNS10_IS15_E10value_typeET4_jRbjT5_S1B_jjP12ihipStream_tbEUljE_ZNSN_ISO_Lb1ESQ_SR_SQ_SR_SV_EESW_SX_SY_SZ_S13_S14_S15_S18_S19_jS1A_jS1B_S1B_jjS1D_bEUljE0_EEESW_SX_SY_S15_S19_S1B_T6_T7_T9_mT8_S1D_bDpT10_ENKUlT_T0_E_clISt17integral_constantIbLb0EES1R_EEDaS1M_S1N_EUlS1M_E_NS1_11comp_targetILNS1_3genE0ELNS1_11target_archE4294967295ELNS1_3gpuE0ELNS1_3repE0EEENS1_30default_config_static_selectorELNS0_4arch9wavefront6targetE0EEEvSZ_.num_vgpr, 0
	.set _ZN7rocprim17ROCPRIM_400000_NS6detail17trampoline_kernelINS0_13select_configILj256ELj13ELNS0_17block_load_methodE3ELS4_3ELS4_3ELNS0_20block_scan_algorithmE0ELj4294967295EEENS1_25partition_config_selectorILNS1_17partition_subalgoE4EjNS0_10empty_typeEbEEZZNS1_14partition_implILS8_4ELb0ES6_15HIP_vector_typeIjLj2EENS0_17counting_iteratorIjlEEPS9_SG_NS0_5tupleIJPjSI_NS0_16reverse_iteratorISI_EEEEENSH_IJSG_SG_SG_EEES9_SI_JZNS1_25segmented_radix_sort_implINS0_14default_configELb1EPKlPlSQ_SR_N2at6native12_GLOBAL__N_18offset_tEEE10hipError_tPvRmT1_PNSt15iterator_traitsISZ_E10value_typeET2_T3_PNS10_IS15_E10value_typeET4_jRbjT5_S1B_jjP12ihipStream_tbEUljE_ZNSN_ISO_Lb1ESQ_SR_SQ_SR_SV_EESW_SX_SY_SZ_S13_S14_S15_S18_S19_jS1A_jS1B_S1B_jjS1D_bEUljE0_EEESW_SX_SY_S15_S19_S1B_T6_T7_T9_mT8_S1D_bDpT10_ENKUlT_T0_E_clISt17integral_constantIbLb0EES1R_EEDaS1M_S1N_EUlS1M_E_NS1_11comp_targetILNS1_3genE0ELNS1_11target_archE4294967295ELNS1_3gpuE0ELNS1_3repE0EEENS1_30default_config_static_selectorELNS0_4arch9wavefront6targetE0EEEvSZ_.num_agpr, 0
	.set _ZN7rocprim17ROCPRIM_400000_NS6detail17trampoline_kernelINS0_13select_configILj256ELj13ELNS0_17block_load_methodE3ELS4_3ELS4_3ELNS0_20block_scan_algorithmE0ELj4294967295EEENS1_25partition_config_selectorILNS1_17partition_subalgoE4EjNS0_10empty_typeEbEEZZNS1_14partition_implILS8_4ELb0ES6_15HIP_vector_typeIjLj2EENS0_17counting_iteratorIjlEEPS9_SG_NS0_5tupleIJPjSI_NS0_16reverse_iteratorISI_EEEEENSH_IJSG_SG_SG_EEES9_SI_JZNS1_25segmented_radix_sort_implINS0_14default_configELb1EPKlPlSQ_SR_N2at6native12_GLOBAL__N_18offset_tEEE10hipError_tPvRmT1_PNSt15iterator_traitsISZ_E10value_typeET2_T3_PNS10_IS15_E10value_typeET4_jRbjT5_S1B_jjP12ihipStream_tbEUljE_ZNSN_ISO_Lb1ESQ_SR_SQ_SR_SV_EESW_SX_SY_SZ_S13_S14_S15_S18_S19_jS1A_jS1B_S1B_jjS1D_bEUljE0_EEESW_SX_SY_S15_S19_S1B_T6_T7_T9_mT8_S1D_bDpT10_ENKUlT_T0_E_clISt17integral_constantIbLb0EES1R_EEDaS1M_S1N_EUlS1M_E_NS1_11comp_targetILNS1_3genE0ELNS1_11target_archE4294967295ELNS1_3gpuE0ELNS1_3repE0EEENS1_30default_config_static_selectorELNS0_4arch9wavefront6targetE0EEEvSZ_.numbered_sgpr, 0
	.set _ZN7rocprim17ROCPRIM_400000_NS6detail17trampoline_kernelINS0_13select_configILj256ELj13ELNS0_17block_load_methodE3ELS4_3ELS4_3ELNS0_20block_scan_algorithmE0ELj4294967295EEENS1_25partition_config_selectorILNS1_17partition_subalgoE4EjNS0_10empty_typeEbEEZZNS1_14partition_implILS8_4ELb0ES6_15HIP_vector_typeIjLj2EENS0_17counting_iteratorIjlEEPS9_SG_NS0_5tupleIJPjSI_NS0_16reverse_iteratorISI_EEEEENSH_IJSG_SG_SG_EEES9_SI_JZNS1_25segmented_radix_sort_implINS0_14default_configELb1EPKlPlSQ_SR_N2at6native12_GLOBAL__N_18offset_tEEE10hipError_tPvRmT1_PNSt15iterator_traitsISZ_E10value_typeET2_T3_PNS10_IS15_E10value_typeET4_jRbjT5_S1B_jjP12ihipStream_tbEUljE_ZNSN_ISO_Lb1ESQ_SR_SQ_SR_SV_EESW_SX_SY_SZ_S13_S14_S15_S18_S19_jS1A_jS1B_S1B_jjS1D_bEUljE0_EEESW_SX_SY_S15_S19_S1B_T6_T7_T9_mT8_S1D_bDpT10_ENKUlT_T0_E_clISt17integral_constantIbLb0EES1R_EEDaS1M_S1N_EUlS1M_E_NS1_11comp_targetILNS1_3genE0ELNS1_11target_archE4294967295ELNS1_3gpuE0ELNS1_3repE0EEENS1_30default_config_static_selectorELNS0_4arch9wavefront6targetE0EEEvSZ_.num_named_barrier, 0
	.set _ZN7rocprim17ROCPRIM_400000_NS6detail17trampoline_kernelINS0_13select_configILj256ELj13ELNS0_17block_load_methodE3ELS4_3ELS4_3ELNS0_20block_scan_algorithmE0ELj4294967295EEENS1_25partition_config_selectorILNS1_17partition_subalgoE4EjNS0_10empty_typeEbEEZZNS1_14partition_implILS8_4ELb0ES6_15HIP_vector_typeIjLj2EENS0_17counting_iteratorIjlEEPS9_SG_NS0_5tupleIJPjSI_NS0_16reverse_iteratorISI_EEEEENSH_IJSG_SG_SG_EEES9_SI_JZNS1_25segmented_radix_sort_implINS0_14default_configELb1EPKlPlSQ_SR_N2at6native12_GLOBAL__N_18offset_tEEE10hipError_tPvRmT1_PNSt15iterator_traitsISZ_E10value_typeET2_T3_PNS10_IS15_E10value_typeET4_jRbjT5_S1B_jjP12ihipStream_tbEUljE_ZNSN_ISO_Lb1ESQ_SR_SQ_SR_SV_EESW_SX_SY_SZ_S13_S14_S15_S18_S19_jS1A_jS1B_S1B_jjS1D_bEUljE0_EEESW_SX_SY_S15_S19_S1B_T6_T7_T9_mT8_S1D_bDpT10_ENKUlT_T0_E_clISt17integral_constantIbLb0EES1R_EEDaS1M_S1N_EUlS1M_E_NS1_11comp_targetILNS1_3genE0ELNS1_11target_archE4294967295ELNS1_3gpuE0ELNS1_3repE0EEENS1_30default_config_static_selectorELNS0_4arch9wavefront6targetE0EEEvSZ_.private_seg_size, 0
	.set _ZN7rocprim17ROCPRIM_400000_NS6detail17trampoline_kernelINS0_13select_configILj256ELj13ELNS0_17block_load_methodE3ELS4_3ELS4_3ELNS0_20block_scan_algorithmE0ELj4294967295EEENS1_25partition_config_selectorILNS1_17partition_subalgoE4EjNS0_10empty_typeEbEEZZNS1_14partition_implILS8_4ELb0ES6_15HIP_vector_typeIjLj2EENS0_17counting_iteratorIjlEEPS9_SG_NS0_5tupleIJPjSI_NS0_16reverse_iteratorISI_EEEEENSH_IJSG_SG_SG_EEES9_SI_JZNS1_25segmented_radix_sort_implINS0_14default_configELb1EPKlPlSQ_SR_N2at6native12_GLOBAL__N_18offset_tEEE10hipError_tPvRmT1_PNSt15iterator_traitsISZ_E10value_typeET2_T3_PNS10_IS15_E10value_typeET4_jRbjT5_S1B_jjP12ihipStream_tbEUljE_ZNSN_ISO_Lb1ESQ_SR_SQ_SR_SV_EESW_SX_SY_SZ_S13_S14_S15_S18_S19_jS1A_jS1B_S1B_jjS1D_bEUljE0_EEESW_SX_SY_S15_S19_S1B_T6_T7_T9_mT8_S1D_bDpT10_ENKUlT_T0_E_clISt17integral_constantIbLb0EES1R_EEDaS1M_S1N_EUlS1M_E_NS1_11comp_targetILNS1_3genE0ELNS1_11target_archE4294967295ELNS1_3gpuE0ELNS1_3repE0EEENS1_30default_config_static_selectorELNS0_4arch9wavefront6targetE0EEEvSZ_.uses_vcc, 0
	.set _ZN7rocprim17ROCPRIM_400000_NS6detail17trampoline_kernelINS0_13select_configILj256ELj13ELNS0_17block_load_methodE3ELS4_3ELS4_3ELNS0_20block_scan_algorithmE0ELj4294967295EEENS1_25partition_config_selectorILNS1_17partition_subalgoE4EjNS0_10empty_typeEbEEZZNS1_14partition_implILS8_4ELb0ES6_15HIP_vector_typeIjLj2EENS0_17counting_iteratorIjlEEPS9_SG_NS0_5tupleIJPjSI_NS0_16reverse_iteratorISI_EEEEENSH_IJSG_SG_SG_EEES9_SI_JZNS1_25segmented_radix_sort_implINS0_14default_configELb1EPKlPlSQ_SR_N2at6native12_GLOBAL__N_18offset_tEEE10hipError_tPvRmT1_PNSt15iterator_traitsISZ_E10value_typeET2_T3_PNS10_IS15_E10value_typeET4_jRbjT5_S1B_jjP12ihipStream_tbEUljE_ZNSN_ISO_Lb1ESQ_SR_SQ_SR_SV_EESW_SX_SY_SZ_S13_S14_S15_S18_S19_jS1A_jS1B_S1B_jjS1D_bEUljE0_EEESW_SX_SY_S15_S19_S1B_T6_T7_T9_mT8_S1D_bDpT10_ENKUlT_T0_E_clISt17integral_constantIbLb0EES1R_EEDaS1M_S1N_EUlS1M_E_NS1_11comp_targetILNS1_3genE0ELNS1_11target_archE4294967295ELNS1_3gpuE0ELNS1_3repE0EEENS1_30default_config_static_selectorELNS0_4arch9wavefront6targetE0EEEvSZ_.uses_flat_scratch, 0
	.set _ZN7rocprim17ROCPRIM_400000_NS6detail17trampoline_kernelINS0_13select_configILj256ELj13ELNS0_17block_load_methodE3ELS4_3ELS4_3ELNS0_20block_scan_algorithmE0ELj4294967295EEENS1_25partition_config_selectorILNS1_17partition_subalgoE4EjNS0_10empty_typeEbEEZZNS1_14partition_implILS8_4ELb0ES6_15HIP_vector_typeIjLj2EENS0_17counting_iteratorIjlEEPS9_SG_NS0_5tupleIJPjSI_NS0_16reverse_iteratorISI_EEEEENSH_IJSG_SG_SG_EEES9_SI_JZNS1_25segmented_radix_sort_implINS0_14default_configELb1EPKlPlSQ_SR_N2at6native12_GLOBAL__N_18offset_tEEE10hipError_tPvRmT1_PNSt15iterator_traitsISZ_E10value_typeET2_T3_PNS10_IS15_E10value_typeET4_jRbjT5_S1B_jjP12ihipStream_tbEUljE_ZNSN_ISO_Lb1ESQ_SR_SQ_SR_SV_EESW_SX_SY_SZ_S13_S14_S15_S18_S19_jS1A_jS1B_S1B_jjS1D_bEUljE0_EEESW_SX_SY_S15_S19_S1B_T6_T7_T9_mT8_S1D_bDpT10_ENKUlT_T0_E_clISt17integral_constantIbLb0EES1R_EEDaS1M_S1N_EUlS1M_E_NS1_11comp_targetILNS1_3genE0ELNS1_11target_archE4294967295ELNS1_3gpuE0ELNS1_3repE0EEENS1_30default_config_static_selectorELNS0_4arch9wavefront6targetE0EEEvSZ_.has_dyn_sized_stack, 0
	.set _ZN7rocprim17ROCPRIM_400000_NS6detail17trampoline_kernelINS0_13select_configILj256ELj13ELNS0_17block_load_methodE3ELS4_3ELS4_3ELNS0_20block_scan_algorithmE0ELj4294967295EEENS1_25partition_config_selectorILNS1_17partition_subalgoE4EjNS0_10empty_typeEbEEZZNS1_14partition_implILS8_4ELb0ES6_15HIP_vector_typeIjLj2EENS0_17counting_iteratorIjlEEPS9_SG_NS0_5tupleIJPjSI_NS0_16reverse_iteratorISI_EEEEENSH_IJSG_SG_SG_EEES9_SI_JZNS1_25segmented_radix_sort_implINS0_14default_configELb1EPKlPlSQ_SR_N2at6native12_GLOBAL__N_18offset_tEEE10hipError_tPvRmT1_PNSt15iterator_traitsISZ_E10value_typeET2_T3_PNS10_IS15_E10value_typeET4_jRbjT5_S1B_jjP12ihipStream_tbEUljE_ZNSN_ISO_Lb1ESQ_SR_SQ_SR_SV_EESW_SX_SY_SZ_S13_S14_S15_S18_S19_jS1A_jS1B_S1B_jjS1D_bEUljE0_EEESW_SX_SY_S15_S19_S1B_T6_T7_T9_mT8_S1D_bDpT10_ENKUlT_T0_E_clISt17integral_constantIbLb0EES1R_EEDaS1M_S1N_EUlS1M_E_NS1_11comp_targetILNS1_3genE0ELNS1_11target_archE4294967295ELNS1_3gpuE0ELNS1_3repE0EEENS1_30default_config_static_selectorELNS0_4arch9wavefront6targetE0EEEvSZ_.has_recursion, 0
	.set _ZN7rocprim17ROCPRIM_400000_NS6detail17trampoline_kernelINS0_13select_configILj256ELj13ELNS0_17block_load_methodE3ELS4_3ELS4_3ELNS0_20block_scan_algorithmE0ELj4294967295EEENS1_25partition_config_selectorILNS1_17partition_subalgoE4EjNS0_10empty_typeEbEEZZNS1_14partition_implILS8_4ELb0ES6_15HIP_vector_typeIjLj2EENS0_17counting_iteratorIjlEEPS9_SG_NS0_5tupleIJPjSI_NS0_16reverse_iteratorISI_EEEEENSH_IJSG_SG_SG_EEES9_SI_JZNS1_25segmented_radix_sort_implINS0_14default_configELb1EPKlPlSQ_SR_N2at6native12_GLOBAL__N_18offset_tEEE10hipError_tPvRmT1_PNSt15iterator_traitsISZ_E10value_typeET2_T3_PNS10_IS15_E10value_typeET4_jRbjT5_S1B_jjP12ihipStream_tbEUljE_ZNSN_ISO_Lb1ESQ_SR_SQ_SR_SV_EESW_SX_SY_SZ_S13_S14_S15_S18_S19_jS1A_jS1B_S1B_jjS1D_bEUljE0_EEESW_SX_SY_S15_S19_S1B_T6_T7_T9_mT8_S1D_bDpT10_ENKUlT_T0_E_clISt17integral_constantIbLb0EES1R_EEDaS1M_S1N_EUlS1M_E_NS1_11comp_targetILNS1_3genE0ELNS1_11target_archE4294967295ELNS1_3gpuE0ELNS1_3repE0EEENS1_30default_config_static_selectorELNS0_4arch9wavefront6targetE0EEEvSZ_.has_indirect_call, 0
	.section	.AMDGPU.csdata,"",@progbits
; Kernel info:
; codeLenInByte = 0
; TotalNumSgprs: 0
; NumVgprs: 0
; ScratchSize: 0
; MemoryBound: 0
; FloatMode: 240
; IeeeMode: 1
; LDSByteSize: 0 bytes/workgroup (compile time only)
; SGPRBlocks: 0
; VGPRBlocks: 0
; NumSGPRsForWavesPerEU: 1
; NumVGPRsForWavesPerEU: 1
; Occupancy: 16
; WaveLimiterHint : 0
; COMPUTE_PGM_RSRC2:SCRATCH_EN: 0
; COMPUTE_PGM_RSRC2:USER_SGPR: 6
; COMPUTE_PGM_RSRC2:TRAP_HANDLER: 0
; COMPUTE_PGM_RSRC2:TGID_X_EN: 1
; COMPUTE_PGM_RSRC2:TGID_Y_EN: 0
; COMPUTE_PGM_RSRC2:TGID_Z_EN: 0
; COMPUTE_PGM_RSRC2:TIDIG_COMP_CNT: 0
	.section	.text._ZN7rocprim17ROCPRIM_400000_NS6detail17trampoline_kernelINS0_13select_configILj256ELj13ELNS0_17block_load_methodE3ELS4_3ELS4_3ELNS0_20block_scan_algorithmE0ELj4294967295EEENS1_25partition_config_selectorILNS1_17partition_subalgoE4EjNS0_10empty_typeEbEEZZNS1_14partition_implILS8_4ELb0ES6_15HIP_vector_typeIjLj2EENS0_17counting_iteratorIjlEEPS9_SG_NS0_5tupleIJPjSI_NS0_16reverse_iteratorISI_EEEEENSH_IJSG_SG_SG_EEES9_SI_JZNS1_25segmented_radix_sort_implINS0_14default_configELb1EPKlPlSQ_SR_N2at6native12_GLOBAL__N_18offset_tEEE10hipError_tPvRmT1_PNSt15iterator_traitsISZ_E10value_typeET2_T3_PNS10_IS15_E10value_typeET4_jRbjT5_S1B_jjP12ihipStream_tbEUljE_ZNSN_ISO_Lb1ESQ_SR_SQ_SR_SV_EESW_SX_SY_SZ_S13_S14_S15_S18_S19_jS1A_jS1B_S1B_jjS1D_bEUljE0_EEESW_SX_SY_S15_S19_S1B_T6_T7_T9_mT8_S1D_bDpT10_ENKUlT_T0_E_clISt17integral_constantIbLb0EES1R_EEDaS1M_S1N_EUlS1M_E_NS1_11comp_targetILNS1_3genE5ELNS1_11target_archE942ELNS1_3gpuE9ELNS1_3repE0EEENS1_30default_config_static_selectorELNS0_4arch9wavefront6targetE0EEEvSZ_,"axG",@progbits,_ZN7rocprim17ROCPRIM_400000_NS6detail17trampoline_kernelINS0_13select_configILj256ELj13ELNS0_17block_load_methodE3ELS4_3ELS4_3ELNS0_20block_scan_algorithmE0ELj4294967295EEENS1_25partition_config_selectorILNS1_17partition_subalgoE4EjNS0_10empty_typeEbEEZZNS1_14partition_implILS8_4ELb0ES6_15HIP_vector_typeIjLj2EENS0_17counting_iteratorIjlEEPS9_SG_NS0_5tupleIJPjSI_NS0_16reverse_iteratorISI_EEEEENSH_IJSG_SG_SG_EEES9_SI_JZNS1_25segmented_radix_sort_implINS0_14default_configELb1EPKlPlSQ_SR_N2at6native12_GLOBAL__N_18offset_tEEE10hipError_tPvRmT1_PNSt15iterator_traitsISZ_E10value_typeET2_T3_PNS10_IS15_E10value_typeET4_jRbjT5_S1B_jjP12ihipStream_tbEUljE_ZNSN_ISO_Lb1ESQ_SR_SQ_SR_SV_EESW_SX_SY_SZ_S13_S14_S15_S18_S19_jS1A_jS1B_S1B_jjS1D_bEUljE0_EEESW_SX_SY_S15_S19_S1B_T6_T7_T9_mT8_S1D_bDpT10_ENKUlT_T0_E_clISt17integral_constantIbLb0EES1R_EEDaS1M_S1N_EUlS1M_E_NS1_11comp_targetILNS1_3genE5ELNS1_11target_archE942ELNS1_3gpuE9ELNS1_3repE0EEENS1_30default_config_static_selectorELNS0_4arch9wavefront6targetE0EEEvSZ_,comdat
	.globl	_ZN7rocprim17ROCPRIM_400000_NS6detail17trampoline_kernelINS0_13select_configILj256ELj13ELNS0_17block_load_methodE3ELS4_3ELS4_3ELNS0_20block_scan_algorithmE0ELj4294967295EEENS1_25partition_config_selectorILNS1_17partition_subalgoE4EjNS0_10empty_typeEbEEZZNS1_14partition_implILS8_4ELb0ES6_15HIP_vector_typeIjLj2EENS0_17counting_iteratorIjlEEPS9_SG_NS0_5tupleIJPjSI_NS0_16reverse_iteratorISI_EEEEENSH_IJSG_SG_SG_EEES9_SI_JZNS1_25segmented_radix_sort_implINS0_14default_configELb1EPKlPlSQ_SR_N2at6native12_GLOBAL__N_18offset_tEEE10hipError_tPvRmT1_PNSt15iterator_traitsISZ_E10value_typeET2_T3_PNS10_IS15_E10value_typeET4_jRbjT5_S1B_jjP12ihipStream_tbEUljE_ZNSN_ISO_Lb1ESQ_SR_SQ_SR_SV_EESW_SX_SY_SZ_S13_S14_S15_S18_S19_jS1A_jS1B_S1B_jjS1D_bEUljE0_EEESW_SX_SY_S15_S19_S1B_T6_T7_T9_mT8_S1D_bDpT10_ENKUlT_T0_E_clISt17integral_constantIbLb0EES1R_EEDaS1M_S1N_EUlS1M_E_NS1_11comp_targetILNS1_3genE5ELNS1_11target_archE942ELNS1_3gpuE9ELNS1_3repE0EEENS1_30default_config_static_selectorELNS0_4arch9wavefront6targetE0EEEvSZ_ ; -- Begin function _ZN7rocprim17ROCPRIM_400000_NS6detail17trampoline_kernelINS0_13select_configILj256ELj13ELNS0_17block_load_methodE3ELS4_3ELS4_3ELNS0_20block_scan_algorithmE0ELj4294967295EEENS1_25partition_config_selectorILNS1_17partition_subalgoE4EjNS0_10empty_typeEbEEZZNS1_14partition_implILS8_4ELb0ES6_15HIP_vector_typeIjLj2EENS0_17counting_iteratorIjlEEPS9_SG_NS0_5tupleIJPjSI_NS0_16reverse_iteratorISI_EEEEENSH_IJSG_SG_SG_EEES9_SI_JZNS1_25segmented_radix_sort_implINS0_14default_configELb1EPKlPlSQ_SR_N2at6native12_GLOBAL__N_18offset_tEEE10hipError_tPvRmT1_PNSt15iterator_traitsISZ_E10value_typeET2_T3_PNS10_IS15_E10value_typeET4_jRbjT5_S1B_jjP12ihipStream_tbEUljE_ZNSN_ISO_Lb1ESQ_SR_SQ_SR_SV_EESW_SX_SY_SZ_S13_S14_S15_S18_S19_jS1A_jS1B_S1B_jjS1D_bEUljE0_EEESW_SX_SY_S15_S19_S1B_T6_T7_T9_mT8_S1D_bDpT10_ENKUlT_T0_E_clISt17integral_constantIbLb0EES1R_EEDaS1M_S1N_EUlS1M_E_NS1_11comp_targetILNS1_3genE5ELNS1_11target_archE942ELNS1_3gpuE9ELNS1_3repE0EEENS1_30default_config_static_selectorELNS0_4arch9wavefront6targetE0EEEvSZ_
	.p2align	8
	.type	_ZN7rocprim17ROCPRIM_400000_NS6detail17trampoline_kernelINS0_13select_configILj256ELj13ELNS0_17block_load_methodE3ELS4_3ELS4_3ELNS0_20block_scan_algorithmE0ELj4294967295EEENS1_25partition_config_selectorILNS1_17partition_subalgoE4EjNS0_10empty_typeEbEEZZNS1_14partition_implILS8_4ELb0ES6_15HIP_vector_typeIjLj2EENS0_17counting_iteratorIjlEEPS9_SG_NS0_5tupleIJPjSI_NS0_16reverse_iteratorISI_EEEEENSH_IJSG_SG_SG_EEES9_SI_JZNS1_25segmented_radix_sort_implINS0_14default_configELb1EPKlPlSQ_SR_N2at6native12_GLOBAL__N_18offset_tEEE10hipError_tPvRmT1_PNSt15iterator_traitsISZ_E10value_typeET2_T3_PNS10_IS15_E10value_typeET4_jRbjT5_S1B_jjP12ihipStream_tbEUljE_ZNSN_ISO_Lb1ESQ_SR_SQ_SR_SV_EESW_SX_SY_SZ_S13_S14_S15_S18_S19_jS1A_jS1B_S1B_jjS1D_bEUljE0_EEESW_SX_SY_S15_S19_S1B_T6_T7_T9_mT8_S1D_bDpT10_ENKUlT_T0_E_clISt17integral_constantIbLb0EES1R_EEDaS1M_S1N_EUlS1M_E_NS1_11comp_targetILNS1_3genE5ELNS1_11target_archE942ELNS1_3gpuE9ELNS1_3repE0EEENS1_30default_config_static_selectorELNS0_4arch9wavefront6targetE0EEEvSZ_,@function
_ZN7rocprim17ROCPRIM_400000_NS6detail17trampoline_kernelINS0_13select_configILj256ELj13ELNS0_17block_load_methodE3ELS4_3ELS4_3ELNS0_20block_scan_algorithmE0ELj4294967295EEENS1_25partition_config_selectorILNS1_17partition_subalgoE4EjNS0_10empty_typeEbEEZZNS1_14partition_implILS8_4ELb0ES6_15HIP_vector_typeIjLj2EENS0_17counting_iteratorIjlEEPS9_SG_NS0_5tupleIJPjSI_NS0_16reverse_iteratorISI_EEEEENSH_IJSG_SG_SG_EEES9_SI_JZNS1_25segmented_radix_sort_implINS0_14default_configELb1EPKlPlSQ_SR_N2at6native12_GLOBAL__N_18offset_tEEE10hipError_tPvRmT1_PNSt15iterator_traitsISZ_E10value_typeET2_T3_PNS10_IS15_E10value_typeET4_jRbjT5_S1B_jjP12ihipStream_tbEUljE_ZNSN_ISO_Lb1ESQ_SR_SQ_SR_SV_EESW_SX_SY_SZ_S13_S14_S15_S18_S19_jS1A_jS1B_S1B_jjS1D_bEUljE0_EEESW_SX_SY_S15_S19_S1B_T6_T7_T9_mT8_S1D_bDpT10_ENKUlT_T0_E_clISt17integral_constantIbLb0EES1R_EEDaS1M_S1N_EUlS1M_E_NS1_11comp_targetILNS1_3genE5ELNS1_11target_archE942ELNS1_3gpuE9ELNS1_3repE0EEENS1_30default_config_static_selectorELNS0_4arch9wavefront6targetE0EEEvSZ_: ; @_ZN7rocprim17ROCPRIM_400000_NS6detail17trampoline_kernelINS0_13select_configILj256ELj13ELNS0_17block_load_methodE3ELS4_3ELS4_3ELNS0_20block_scan_algorithmE0ELj4294967295EEENS1_25partition_config_selectorILNS1_17partition_subalgoE4EjNS0_10empty_typeEbEEZZNS1_14partition_implILS8_4ELb0ES6_15HIP_vector_typeIjLj2EENS0_17counting_iteratorIjlEEPS9_SG_NS0_5tupleIJPjSI_NS0_16reverse_iteratorISI_EEEEENSH_IJSG_SG_SG_EEES9_SI_JZNS1_25segmented_radix_sort_implINS0_14default_configELb1EPKlPlSQ_SR_N2at6native12_GLOBAL__N_18offset_tEEE10hipError_tPvRmT1_PNSt15iterator_traitsISZ_E10value_typeET2_T3_PNS10_IS15_E10value_typeET4_jRbjT5_S1B_jjP12ihipStream_tbEUljE_ZNSN_ISO_Lb1ESQ_SR_SQ_SR_SV_EESW_SX_SY_SZ_S13_S14_S15_S18_S19_jS1A_jS1B_S1B_jjS1D_bEUljE0_EEESW_SX_SY_S15_S19_S1B_T6_T7_T9_mT8_S1D_bDpT10_ENKUlT_T0_E_clISt17integral_constantIbLb0EES1R_EEDaS1M_S1N_EUlS1M_E_NS1_11comp_targetILNS1_3genE5ELNS1_11target_archE942ELNS1_3gpuE9ELNS1_3repE0EEENS1_30default_config_static_selectorELNS0_4arch9wavefront6targetE0EEEvSZ_
; %bb.0:
	.section	.rodata,"a",@progbits
	.p2align	6, 0x0
	.amdhsa_kernel _ZN7rocprim17ROCPRIM_400000_NS6detail17trampoline_kernelINS0_13select_configILj256ELj13ELNS0_17block_load_methodE3ELS4_3ELS4_3ELNS0_20block_scan_algorithmE0ELj4294967295EEENS1_25partition_config_selectorILNS1_17partition_subalgoE4EjNS0_10empty_typeEbEEZZNS1_14partition_implILS8_4ELb0ES6_15HIP_vector_typeIjLj2EENS0_17counting_iteratorIjlEEPS9_SG_NS0_5tupleIJPjSI_NS0_16reverse_iteratorISI_EEEEENSH_IJSG_SG_SG_EEES9_SI_JZNS1_25segmented_radix_sort_implINS0_14default_configELb1EPKlPlSQ_SR_N2at6native12_GLOBAL__N_18offset_tEEE10hipError_tPvRmT1_PNSt15iterator_traitsISZ_E10value_typeET2_T3_PNS10_IS15_E10value_typeET4_jRbjT5_S1B_jjP12ihipStream_tbEUljE_ZNSN_ISO_Lb1ESQ_SR_SQ_SR_SV_EESW_SX_SY_SZ_S13_S14_S15_S18_S19_jS1A_jS1B_S1B_jjS1D_bEUljE0_EEESW_SX_SY_S15_S19_S1B_T6_T7_T9_mT8_S1D_bDpT10_ENKUlT_T0_E_clISt17integral_constantIbLb0EES1R_EEDaS1M_S1N_EUlS1M_E_NS1_11comp_targetILNS1_3genE5ELNS1_11target_archE942ELNS1_3gpuE9ELNS1_3repE0EEENS1_30default_config_static_selectorELNS0_4arch9wavefront6targetE0EEEvSZ_
		.amdhsa_group_segment_fixed_size 0
		.amdhsa_private_segment_fixed_size 0
		.amdhsa_kernarg_size 176
		.amdhsa_user_sgpr_count 6
		.amdhsa_user_sgpr_private_segment_buffer 1
		.amdhsa_user_sgpr_dispatch_ptr 0
		.amdhsa_user_sgpr_queue_ptr 0
		.amdhsa_user_sgpr_kernarg_segment_ptr 1
		.amdhsa_user_sgpr_dispatch_id 0
		.amdhsa_user_sgpr_flat_scratch_init 0
		.amdhsa_user_sgpr_private_segment_size 0
		.amdhsa_wavefront_size32 1
		.amdhsa_uses_dynamic_stack 0
		.amdhsa_system_sgpr_private_segment_wavefront_offset 0
		.amdhsa_system_sgpr_workgroup_id_x 1
		.amdhsa_system_sgpr_workgroup_id_y 0
		.amdhsa_system_sgpr_workgroup_id_z 0
		.amdhsa_system_sgpr_workgroup_info 0
		.amdhsa_system_vgpr_workitem_id 0
		.amdhsa_next_free_vgpr 1
		.amdhsa_next_free_sgpr 1
		.amdhsa_reserve_vcc 0
		.amdhsa_reserve_flat_scratch 0
		.amdhsa_float_round_mode_32 0
		.amdhsa_float_round_mode_16_64 0
		.amdhsa_float_denorm_mode_32 3
		.amdhsa_float_denorm_mode_16_64 3
		.amdhsa_dx10_clamp 1
		.amdhsa_ieee_mode 1
		.amdhsa_fp16_overflow 0
		.amdhsa_workgroup_processor_mode 1
		.amdhsa_memory_ordered 1
		.amdhsa_forward_progress 1
		.amdhsa_shared_vgpr_count 0
		.amdhsa_exception_fp_ieee_invalid_op 0
		.amdhsa_exception_fp_denorm_src 0
		.amdhsa_exception_fp_ieee_div_zero 0
		.amdhsa_exception_fp_ieee_overflow 0
		.amdhsa_exception_fp_ieee_underflow 0
		.amdhsa_exception_fp_ieee_inexact 0
		.amdhsa_exception_int_div_zero 0
	.end_amdhsa_kernel
	.section	.text._ZN7rocprim17ROCPRIM_400000_NS6detail17trampoline_kernelINS0_13select_configILj256ELj13ELNS0_17block_load_methodE3ELS4_3ELS4_3ELNS0_20block_scan_algorithmE0ELj4294967295EEENS1_25partition_config_selectorILNS1_17partition_subalgoE4EjNS0_10empty_typeEbEEZZNS1_14partition_implILS8_4ELb0ES6_15HIP_vector_typeIjLj2EENS0_17counting_iteratorIjlEEPS9_SG_NS0_5tupleIJPjSI_NS0_16reverse_iteratorISI_EEEEENSH_IJSG_SG_SG_EEES9_SI_JZNS1_25segmented_radix_sort_implINS0_14default_configELb1EPKlPlSQ_SR_N2at6native12_GLOBAL__N_18offset_tEEE10hipError_tPvRmT1_PNSt15iterator_traitsISZ_E10value_typeET2_T3_PNS10_IS15_E10value_typeET4_jRbjT5_S1B_jjP12ihipStream_tbEUljE_ZNSN_ISO_Lb1ESQ_SR_SQ_SR_SV_EESW_SX_SY_SZ_S13_S14_S15_S18_S19_jS1A_jS1B_S1B_jjS1D_bEUljE0_EEESW_SX_SY_S15_S19_S1B_T6_T7_T9_mT8_S1D_bDpT10_ENKUlT_T0_E_clISt17integral_constantIbLb0EES1R_EEDaS1M_S1N_EUlS1M_E_NS1_11comp_targetILNS1_3genE5ELNS1_11target_archE942ELNS1_3gpuE9ELNS1_3repE0EEENS1_30default_config_static_selectorELNS0_4arch9wavefront6targetE0EEEvSZ_,"axG",@progbits,_ZN7rocprim17ROCPRIM_400000_NS6detail17trampoline_kernelINS0_13select_configILj256ELj13ELNS0_17block_load_methodE3ELS4_3ELS4_3ELNS0_20block_scan_algorithmE0ELj4294967295EEENS1_25partition_config_selectorILNS1_17partition_subalgoE4EjNS0_10empty_typeEbEEZZNS1_14partition_implILS8_4ELb0ES6_15HIP_vector_typeIjLj2EENS0_17counting_iteratorIjlEEPS9_SG_NS0_5tupleIJPjSI_NS0_16reverse_iteratorISI_EEEEENSH_IJSG_SG_SG_EEES9_SI_JZNS1_25segmented_radix_sort_implINS0_14default_configELb1EPKlPlSQ_SR_N2at6native12_GLOBAL__N_18offset_tEEE10hipError_tPvRmT1_PNSt15iterator_traitsISZ_E10value_typeET2_T3_PNS10_IS15_E10value_typeET4_jRbjT5_S1B_jjP12ihipStream_tbEUljE_ZNSN_ISO_Lb1ESQ_SR_SQ_SR_SV_EESW_SX_SY_SZ_S13_S14_S15_S18_S19_jS1A_jS1B_S1B_jjS1D_bEUljE0_EEESW_SX_SY_S15_S19_S1B_T6_T7_T9_mT8_S1D_bDpT10_ENKUlT_T0_E_clISt17integral_constantIbLb0EES1R_EEDaS1M_S1N_EUlS1M_E_NS1_11comp_targetILNS1_3genE5ELNS1_11target_archE942ELNS1_3gpuE9ELNS1_3repE0EEENS1_30default_config_static_selectorELNS0_4arch9wavefront6targetE0EEEvSZ_,comdat
.Lfunc_end635:
	.size	_ZN7rocprim17ROCPRIM_400000_NS6detail17trampoline_kernelINS0_13select_configILj256ELj13ELNS0_17block_load_methodE3ELS4_3ELS4_3ELNS0_20block_scan_algorithmE0ELj4294967295EEENS1_25partition_config_selectorILNS1_17partition_subalgoE4EjNS0_10empty_typeEbEEZZNS1_14partition_implILS8_4ELb0ES6_15HIP_vector_typeIjLj2EENS0_17counting_iteratorIjlEEPS9_SG_NS0_5tupleIJPjSI_NS0_16reverse_iteratorISI_EEEEENSH_IJSG_SG_SG_EEES9_SI_JZNS1_25segmented_radix_sort_implINS0_14default_configELb1EPKlPlSQ_SR_N2at6native12_GLOBAL__N_18offset_tEEE10hipError_tPvRmT1_PNSt15iterator_traitsISZ_E10value_typeET2_T3_PNS10_IS15_E10value_typeET4_jRbjT5_S1B_jjP12ihipStream_tbEUljE_ZNSN_ISO_Lb1ESQ_SR_SQ_SR_SV_EESW_SX_SY_SZ_S13_S14_S15_S18_S19_jS1A_jS1B_S1B_jjS1D_bEUljE0_EEESW_SX_SY_S15_S19_S1B_T6_T7_T9_mT8_S1D_bDpT10_ENKUlT_T0_E_clISt17integral_constantIbLb0EES1R_EEDaS1M_S1N_EUlS1M_E_NS1_11comp_targetILNS1_3genE5ELNS1_11target_archE942ELNS1_3gpuE9ELNS1_3repE0EEENS1_30default_config_static_selectorELNS0_4arch9wavefront6targetE0EEEvSZ_, .Lfunc_end635-_ZN7rocprim17ROCPRIM_400000_NS6detail17trampoline_kernelINS0_13select_configILj256ELj13ELNS0_17block_load_methodE3ELS4_3ELS4_3ELNS0_20block_scan_algorithmE0ELj4294967295EEENS1_25partition_config_selectorILNS1_17partition_subalgoE4EjNS0_10empty_typeEbEEZZNS1_14partition_implILS8_4ELb0ES6_15HIP_vector_typeIjLj2EENS0_17counting_iteratorIjlEEPS9_SG_NS0_5tupleIJPjSI_NS0_16reverse_iteratorISI_EEEEENSH_IJSG_SG_SG_EEES9_SI_JZNS1_25segmented_radix_sort_implINS0_14default_configELb1EPKlPlSQ_SR_N2at6native12_GLOBAL__N_18offset_tEEE10hipError_tPvRmT1_PNSt15iterator_traitsISZ_E10value_typeET2_T3_PNS10_IS15_E10value_typeET4_jRbjT5_S1B_jjP12ihipStream_tbEUljE_ZNSN_ISO_Lb1ESQ_SR_SQ_SR_SV_EESW_SX_SY_SZ_S13_S14_S15_S18_S19_jS1A_jS1B_S1B_jjS1D_bEUljE0_EEESW_SX_SY_S15_S19_S1B_T6_T7_T9_mT8_S1D_bDpT10_ENKUlT_T0_E_clISt17integral_constantIbLb0EES1R_EEDaS1M_S1N_EUlS1M_E_NS1_11comp_targetILNS1_3genE5ELNS1_11target_archE942ELNS1_3gpuE9ELNS1_3repE0EEENS1_30default_config_static_selectorELNS0_4arch9wavefront6targetE0EEEvSZ_
                                        ; -- End function
	.set _ZN7rocprim17ROCPRIM_400000_NS6detail17trampoline_kernelINS0_13select_configILj256ELj13ELNS0_17block_load_methodE3ELS4_3ELS4_3ELNS0_20block_scan_algorithmE0ELj4294967295EEENS1_25partition_config_selectorILNS1_17partition_subalgoE4EjNS0_10empty_typeEbEEZZNS1_14partition_implILS8_4ELb0ES6_15HIP_vector_typeIjLj2EENS0_17counting_iteratorIjlEEPS9_SG_NS0_5tupleIJPjSI_NS0_16reverse_iteratorISI_EEEEENSH_IJSG_SG_SG_EEES9_SI_JZNS1_25segmented_radix_sort_implINS0_14default_configELb1EPKlPlSQ_SR_N2at6native12_GLOBAL__N_18offset_tEEE10hipError_tPvRmT1_PNSt15iterator_traitsISZ_E10value_typeET2_T3_PNS10_IS15_E10value_typeET4_jRbjT5_S1B_jjP12ihipStream_tbEUljE_ZNSN_ISO_Lb1ESQ_SR_SQ_SR_SV_EESW_SX_SY_SZ_S13_S14_S15_S18_S19_jS1A_jS1B_S1B_jjS1D_bEUljE0_EEESW_SX_SY_S15_S19_S1B_T6_T7_T9_mT8_S1D_bDpT10_ENKUlT_T0_E_clISt17integral_constantIbLb0EES1R_EEDaS1M_S1N_EUlS1M_E_NS1_11comp_targetILNS1_3genE5ELNS1_11target_archE942ELNS1_3gpuE9ELNS1_3repE0EEENS1_30default_config_static_selectorELNS0_4arch9wavefront6targetE0EEEvSZ_.num_vgpr, 0
	.set _ZN7rocprim17ROCPRIM_400000_NS6detail17trampoline_kernelINS0_13select_configILj256ELj13ELNS0_17block_load_methodE3ELS4_3ELS4_3ELNS0_20block_scan_algorithmE0ELj4294967295EEENS1_25partition_config_selectorILNS1_17partition_subalgoE4EjNS0_10empty_typeEbEEZZNS1_14partition_implILS8_4ELb0ES6_15HIP_vector_typeIjLj2EENS0_17counting_iteratorIjlEEPS9_SG_NS0_5tupleIJPjSI_NS0_16reverse_iteratorISI_EEEEENSH_IJSG_SG_SG_EEES9_SI_JZNS1_25segmented_radix_sort_implINS0_14default_configELb1EPKlPlSQ_SR_N2at6native12_GLOBAL__N_18offset_tEEE10hipError_tPvRmT1_PNSt15iterator_traitsISZ_E10value_typeET2_T3_PNS10_IS15_E10value_typeET4_jRbjT5_S1B_jjP12ihipStream_tbEUljE_ZNSN_ISO_Lb1ESQ_SR_SQ_SR_SV_EESW_SX_SY_SZ_S13_S14_S15_S18_S19_jS1A_jS1B_S1B_jjS1D_bEUljE0_EEESW_SX_SY_S15_S19_S1B_T6_T7_T9_mT8_S1D_bDpT10_ENKUlT_T0_E_clISt17integral_constantIbLb0EES1R_EEDaS1M_S1N_EUlS1M_E_NS1_11comp_targetILNS1_3genE5ELNS1_11target_archE942ELNS1_3gpuE9ELNS1_3repE0EEENS1_30default_config_static_selectorELNS0_4arch9wavefront6targetE0EEEvSZ_.num_agpr, 0
	.set _ZN7rocprim17ROCPRIM_400000_NS6detail17trampoline_kernelINS0_13select_configILj256ELj13ELNS0_17block_load_methodE3ELS4_3ELS4_3ELNS0_20block_scan_algorithmE0ELj4294967295EEENS1_25partition_config_selectorILNS1_17partition_subalgoE4EjNS0_10empty_typeEbEEZZNS1_14partition_implILS8_4ELb0ES6_15HIP_vector_typeIjLj2EENS0_17counting_iteratorIjlEEPS9_SG_NS0_5tupleIJPjSI_NS0_16reverse_iteratorISI_EEEEENSH_IJSG_SG_SG_EEES9_SI_JZNS1_25segmented_radix_sort_implINS0_14default_configELb1EPKlPlSQ_SR_N2at6native12_GLOBAL__N_18offset_tEEE10hipError_tPvRmT1_PNSt15iterator_traitsISZ_E10value_typeET2_T3_PNS10_IS15_E10value_typeET4_jRbjT5_S1B_jjP12ihipStream_tbEUljE_ZNSN_ISO_Lb1ESQ_SR_SQ_SR_SV_EESW_SX_SY_SZ_S13_S14_S15_S18_S19_jS1A_jS1B_S1B_jjS1D_bEUljE0_EEESW_SX_SY_S15_S19_S1B_T6_T7_T9_mT8_S1D_bDpT10_ENKUlT_T0_E_clISt17integral_constantIbLb0EES1R_EEDaS1M_S1N_EUlS1M_E_NS1_11comp_targetILNS1_3genE5ELNS1_11target_archE942ELNS1_3gpuE9ELNS1_3repE0EEENS1_30default_config_static_selectorELNS0_4arch9wavefront6targetE0EEEvSZ_.numbered_sgpr, 0
	.set _ZN7rocprim17ROCPRIM_400000_NS6detail17trampoline_kernelINS0_13select_configILj256ELj13ELNS0_17block_load_methodE3ELS4_3ELS4_3ELNS0_20block_scan_algorithmE0ELj4294967295EEENS1_25partition_config_selectorILNS1_17partition_subalgoE4EjNS0_10empty_typeEbEEZZNS1_14partition_implILS8_4ELb0ES6_15HIP_vector_typeIjLj2EENS0_17counting_iteratorIjlEEPS9_SG_NS0_5tupleIJPjSI_NS0_16reverse_iteratorISI_EEEEENSH_IJSG_SG_SG_EEES9_SI_JZNS1_25segmented_radix_sort_implINS0_14default_configELb1EPKlPlSQ_SR_N2at6native12_GLOBAL__N_18offset_tEEE10hipError_tPvRmT1_PNSt15iterator_traitsISZ_E10value_typeET2_T3_PNS10_IS15_E10value_typeET4_jRbjT5_S1B_jjP12ihipStream_tbEUljE_ZNSN_ISO_Lb1ESQ_SR_SQ_SR_SV_EESW_SX_SY_SZ_S13_S14_S15_S18_S19_jS1A_jS1B_S1B_jjS1D_bEUljE0_EEESW_SX_SY_S15_S19_S1B_T6_T7_T9_mT8_S1D_bDpT10_ENKUlT_T0_E_clISt17integral_constantIbLb0EES1R_EEDaS1M_S1N_EUlS1M_E_NS1_11comp_targetILNS1_3genE5ELNS1_11target_archE942ELNS1_3gpuE9ELNS1_3repE0EEENS1_30default_config_static_selectorELNS0_4arch9wavefront6targetE0EEEvSZ_.num_named_barrier, 0
	.set _ZN7rocprim17ROCPRIM_400000_NS6detail17trampoline_kernelINS0_13select_configILj256ELj13ELNS0_17block_load_methodE3ELS4_3ELS4_3ELNS0_20block_scan_algorithmE0ELj4294967295EEENS1_25partition_config_selectorILNS1_17partition_subalgoE4EjNS0_10empty_typeEbEEZZNS1_14partition_implILS8_4ELb0ES6_15HIP_vector_typeIjLj2EENS0_17counting_iteratorIjlEEPS9_SG_NS0_5tupleIJPjSI_NS0_16reverse_iteratorISI_EEEEENSH_IJSG_SG_SG_EEES9_SI_JZNS1_25segmented_radix_sort_implINS0_14default_configELb1EPKlPlSQ_SR_N2at6native12_GLOBAL__N_18offset_tEEE10hipError_tPvRmT1_PNSt15iterator_traitsISZ_E10value_typeET2_T3_PNS10_IS15_E10value_typeET4_jRbjT5_S1B_jjP12ihipStream_tbEUljE_ZNSN_ISO_Lb1ESQ_SR_SQ_SR_SV_EESW_SX_SY_SZ_S13_S14_S15_S18_S19_jS1A_jS1B_S1B_jjS1D_bEUljE0_EEESW_SX_SY_S15_S19_S1B_T6_T7_T9_mT8_S1D_bDpT10_ENKUlT_T0_E_clISt17integral_constantIbLb0EES1R_EEDaS1M_S1N_EUlS1M_E_NS1_11comp_targetILNS1_3genE5ELNS1_11target_archE942ELNS1_3gpuE9ELNS1_3repE0EEENS1_30default_config_static_selectorELNS0_4arch9wavefront6targetE0EEEvSZ_.private_seg_size, 0
	.set _ZN7rocprim17ROCPRIM_400000_NS6detail17trampoline_kernelINS0_13select_configILj256ELj13ELNS0_17block_load_methodE3ELS4_3ELS4_3ELNS0_20block_scan_algorithmE0ELj4294967295EEENS1_25partition_config_selectorILNS1_17partition_subalgoE4EjNS0_10empty_typeEbEEZZNS1_14partition_implILS8_4ELb0ES6_15HIP_vector_typeIjLj2EENS0_17counting_iteratorIjlEEPS9_SG_NS0_5tupleIJPjSI_NS0_16reverse_iteratorISI_EEEEENSH_IJSG_SG_SG_EEES9_SI_JZNS1_25segmented_radix_sort_implINS0_14default_configELb1EPKlPlSQ_SR_N2at6native12_GLOBAL__N_18offset_tEEE10hipError_tPvRmT1_PNSt15iterator_traitsISZ_E10value_typeET2_T3_PNS10_IS15_E10value_typeET4_jRbjT5_S1B_jjP12ihipStream_tbEUljE_ZNSN_ISO_Lb1ESQ_SR_SQ_SR_SV_EESW_SX_SY_SZ_S13_S14_S15_S18_S19_jS1A_jS1B_S1B_jjS1D_bEUljE0_EEESW_SX_SY_S15_S19_S1B_T6_T7_T9_mT8_S1D_bDpT10_ENKUlT_T0_E_clISt17integral_constantIbLb0EES1R_EEDaS1M_S1N_EUlS1M_E_NS1_11comp_targetILNS1_3genE5ELNS1_11target_archE942ELNS1_3gpuE9ELNS1_3repE0EEENS1_30default_config_static_selectorELNS0_4arch9wavefront6targetE0EEEvSZ_.uses_vcc, 0
	.set _ZN7rocprim17ROCPRIM_400000_NS6detail17trampoline_kernelINS0_13select_configILj256ELj13ELNS0_17block_load_methodE3ELS4_3ELS4_3ELNS0_20block_scan_algorithmE0ELj4294967295EEENS1_25partition_config_selectorILNS1_17partition_subalgoE4EjNS0_10empty_typeEbEEZZNS1_14partition_implILS8_4ELb0ES6_15HIP_vector_typeIjLj2EENS0_17counting_iteratorIjlEEPS9_SG_NS0_5tupleIJPjSI_NS0_16reverse_iteratorISI_EEEEENSH_IJSG_SG_SG_EEES9_SI_JZNS1_25segmented_radix_sort_implINS0_14default_configELb1EPKlPlSQ_SR_N2at6native12_GLOBAL__N_18offset_tEEE10hipError_tPvRmT1_PNSt15iterator_traitsISZ_E10value_typeET2_T3_PNS10_IS15_E10value_typeET4_jRbjT5_S1B_jjP12ihipStream_tbEUljE_ZNSN_ISO_Lb1ESQ_SR_SQ_SR_SV_EESW_SX_SY_SZ_S13_S14_S15_S18_S19_jS1A_jS1B_S1B_jjS1D_bEUljE0_EEESW_SX_SY_S15_S19_S1B_T6_T7_T9_mT8_S1D_bDpT10_ENKUlT_T0_E_clISt17integral_constantIbLb0EES1R_EEDaS1M_S1N_EUlS1M_E_NS1_11comp_targetILNS1_3genE5ELNS1_11target_archE942ELNS1_3gpuE9ELNS1_3repE0EEENS1_30default_config_static_selectorELNS0_4arch9wavefront6targetE0EEEvSZ_.uses_flat_scratch, 0
	.set _ZN7rocprim17ROCPRIM_400000_NS6detail17trampoline_kernelINS0_13select_configILj256ELj13ELNS0_17block_load_methodE3ELS4_3ELS4_3ELNS0_20block_scan_algorithmE0ELj4294967295EEENS1_25partition_config_selectorILNS1_17partition_subalgoE4EjNS0_10empty_typeEbEEZZNS1_14partition_implILS8_4ELb0ES6_15HIP_vector_typeIjLj2EENS0_17counting_iteratorIjlEEPS9_SG_NS0_5tupleIJPjSI_NS0_16reverse_iteratorISI_EEEEENSH_IJSG_SG_SG_EEES9_SI_JZNS1_25segmented_radix_sort_implINS0_14default_configELb1EPKlPlSQ_SR_N2at6native12_GLOBAL__N_18offset_tEEE10hipError_tPvRmT1_PNSt15iterator_traitsISZ_E10value_typeET2_T3_PNS10_IS15_E10value_typeET4_jRbjT5_S1B_jjP12ihipStream_tbEUljE_ZNSN_ISO_Lb1ESQ_SR_SQ_SR_SV_EESW_SX_SY_SZ_S13_S14_S15_S18_S19_jS1A_jS1B_S1B_jjS1D_bEUljE0_EEESW_SX_SY_S15_S19_S1B_T6_T7_T9_mT8_S1D_bDpT10_ENKUlT_T0_E_clISt17integral_constantIbLb0EES1R_EEDaS1M_S1N_EUlS1M_E_NS1_11comp_targetILNS1_3genE5ELNS1_11target_archE942ELNS1_3gpuE9ELNS1_3repE0EEENS1_30default_config_static_selectorELNS0_4arch9wavefront6targetE0EEEvSZ_.has_dyn_sized_stack, 0
	.set _ZN7rocprim17ROCPRIM_400000_NS6detail17trampoline_kernelINS0_13select_configILj256ELj13ELNS0_17block_load_methodE3ELS4_3ELS4_3ELNS0_20block_scan_algorithmE0ELj4294967295EEENS1_25partition_config_selectorILNS1_17partition_subalgoE4EjNS0_10empty_typeEbEEZZNS1_14partition_implILS8_4ELb0ES6_15HIP_vector_typeIjLj2EENS0_17counting_iteratorIjlEEPS9_SG_NS0_5tupleIJPjSI_NS0_16reverse_iteratorISI_EEEEENSH_IJSG_SG_SG_EEES9_SI_JZNS1_25segmented_radix_sort_implINS0_14default_configELb1EPKlPlSQ_SR_N2at6native12_GLOBAL__N_18offset_tEEE10hipError_tPvRmT1_PNSt15iterator_traitsISZ_E10value_typeET2_T3_PNS10_IS15_E10value_typeET4_jRbjT5_S1B_jjP12ihipStream_tbEUljE_ZNSN_ISO_Lb1ESQ_SR_SQ_SR_SV_EESW_SX_SY_SZ_S13_S14_S15_S18_S19_jS1A_jS1B_S1B_jjS1D_bEUljE0_EEESW_SX_SY_S15_S19_S1B_T6_T7_T9_mT8_S1D_bDpT10_ENKUlT_T0_E_clISt17integral_constantIbLb0EES1R_EEDaS1M_S1N_EUlS1M_E_NS1_11comp_targetILNS1_3genE5ELNS1_11target_archE942ELNS1_3gpuE9ELNS1_3repE0EEENS1_30default_config_static_selectorELNS0_4arch9wavefront6targetE0EEEvSZ_.has_recursion, 0
	.set _ZN7rocprim17ROCPRIM_400000_NS6detail17trampoline_kernelINS0_13select_configILj256ELj13ELNS0_17block_load_methodE3ELS4_3ELS4_3ELNS0_20block_scan_algorithmE0ELj4294967295EEENS1_25partition_config_selectorILNS1_17partition_subalgoE4EjNS0_10empty_typeEbEEZZNS1_14partition_implILS8_4ELb0ES6_15HIP_vector_typeIjLj2EENS0_17counting_iteratorIjlEEPS9_SG_NS0_5tupleIJPjSI_NS0_16reverse_iteratorISI_EEEEENSH_IJSG_SG_SG_EEES9_SI_JZNS1_25segmented_radix_sort_implINS0_14default_configELb1EPKlPlSQ_SR_N2at6native12_GLOBAL__N_18offset_tEEE10hipError_tPvRmT1_PNSt15iterator_traitsISZ_E10value_typeET2_T3_PNS10_IS15_E10value_typeET4_jRbjT5_S1B_jjP12ihipStream_tbEUljE_ZNSN_ISO_Lb1ESQ_SR_SQ_SR_SV_EESW_SX_SY_SZ_S13_S14_S15_S18_S19_jS1A_jS1B_S1B_jjS1D_bEUljE0_EEESW_SX_SY_S15_S19_S1B_T6_T7_T9_mT8_S1D_bDpT10_ENKUlT_T0_E_clISt17integral_constantIbLb0EES1R_EEDaS1M_S1N_EUlS1M_E_NS1_11comp_targetILNS1_3genE5ELNS1_11target_archE942ELNS1_3gpuE9ELNS1_3repE0EEENS1_30default_config_static_selectorELNS0_4arch9wavefront6targetE0EEEvSZ_.has_indirect_call, 0
	.section	.AMDGPU.csdata,"",@progbits
; Kernel info:
; codeLenInByte = 0
; TotalNumSgprs: 0
; NumVgprs: 0
; ScratchSize: 0
; MemoryBound: 0
; FloatMode: 240
; IeeeMode: 1
; LDSByteSize: 0 bytes/workgroup (compile time only)
; SGPRBlocks: 0
; VGPRBlocks: 0
; NumSGPRsForWavesPerEU: 1
; NumVGPRsForWavesPerEU: 1
; Occupancy: 16
; WaveLimiterHint : 0
; COMPUTE_PGM_RSRC2:SCRATCH_EN: 0
; COMPUTE_PGM_RSRC2:USER_SGPR: 6
; COMPUTE_PGM_RSRC2:TRAP_HANDLER: 0
; COMPUTE_PGM_RSRC2:TGID_X_EN: 1
; COMPUTE_PGM_RSRC2:TGID_Y_EN: 0
; COMPUTE_PGM_RSRC2:TGID_Z_EN: 0
; COMPUTE_PGM_RSRC2:TIDIG_COMP_CNT: 0
	.section	.text._ZN7rocprim17ROCPRIM_400000_NS6detail17trampoline_kernelINS0_13select_configILj256ELj13ELNS0_17block_load_methodE3ELS4_3ELS4_3ELNS0_20block_scan_algorithmE0ELj4294967295EEENS1_25partition_config_selectorILNS1_17partition_subalgoE4EjNS0_10empty_typeEbEEZZNS1_14partition_implILS8_4ELb0ES6_15HIP_vector_typeIjLj2EENS0_17counting_iteratorIjlEEPS9_SG_NS0_5tupleIJPjSI_NS0_16reverse_iteratorISI_EEEEENSH_IJSG_SG_SG_EEES9_SI_JZNS1_25segmented_radix_sort_implINS0_14default_configELb1EPKlPlSQ_SR_N2at6native12_GLOBAL__N_18offset_tEEE10hipError_tPvRmT1_PNSt15iterator_traitsISZ_E10value_typeET2_T3_PNS10_IS15_E10value_typeET4_jRbjT5_S1B_jjP12ihipStream_tbEUljE_ZNSN_ISO_Lb1ESQ_SR_SQ_SR_SV_EESW_SX_SY_SZ_S13_S14_S15_S18_S19_jS1A_jS1B_S1B_jjS1D_bEUljE0_EEESW_SX_SY_S15_S19_S1B_T6_T7_T9_mT8_S1D_bDpT10_ENKUlT_T0_E_clISt17integral_constantIbLb0EES1R_EEDaS1M_S1N_EUlS1M_E_NS1_11comp_targetILNS1_3genE4ELNS1_11target_archE910ELNS1_3gpuE8ELNS1_3repE0EEENS1_30default_config_static_selectorELNS0_4arch9wavefront6targetE0EEEvSZ_,"axG",@progbits,_ZN7rocprim17ROCPRIM_400000_NS6detail17trampoline_kernelINS0_13select_configILj256ELj13ELNS0_17block_load_methodE3ELS4_3ELS4_3ELNS0_20block_scan_algorithmE0ELj4294967295EEENS1_25partition_config_selectorILNS1_17partition_subalgoE4EjNS0_10empty_typeEbEEZZNS1_14partition_implILS8_4ELb0ES6_15HIP_vector_typeIjLj2EENS0_17counting_iteratorIjlEEPS9_SG_NS0_5tupleIJPjSI_NS0_16reverse_iteratorISI_EEEEENSH_IJSG_SG_SG_EEES9_SI_JZNS1_25segmented_radix_sort_implINS0_14default_configELb1EPKlPlSQ_SR_N2at6native12_GLOBAL__N_18offset_tEEE10hipError_tPvRmT1_PNSt15iterator_traitsISZ_E10value_typeET2_T3_PNS10_IS15_E10value_typeET4_jRbjT5_S1B_jjP12ihipStream_tbEUljE_ZNSN_ISO_Lb1ESQ_SR_SQ_SR_SV_EESW_SX_SY_SZ_S13_S14_S15_S18_S19_jS1A_jS1B_S1B_jjS1D_bEUljE0_EEESW_SX_SY_S15_S19_S1B_T6_T7_T9_mT8_S1D_bDpT10_ENKUlT_T0_E_clISt17integral_constantIbLb0EES1R_EEDaS1M_S1N_EUlS1M_E_NS1_11comp_targetILNS1_3genE4ELNS1_11target_archE910ELNS1_3gpuE8ELNS1_3repE0EEENS1_30default_config_static_selectorELNS0_4arch9wavefront6targetE0EEEvSZ_,comdat
	.globl	_ZN7rocprim17ROCPRIM_400000_NS6detail17trampoline_kernelINS0_13select_configILj256ELj13ELNS0_17block_load_methodE3ELS4_3ELS4_3ELNS0_20block_scan_algorithmE0ELj4294967295EEENS1_25partition_config_selectorILNS1_17partition_subalgoE4EjNS0_10empty_typeEbEEZZNS1_14partition_implILS8_4ELb0ES6_15HIP_vector_typeIjLj2EENS0_17counting_iteratorIjlEEPS9_SG_NS0_5tupleIJPjSI_NS0_16reverse_iteratorISI_EEEEENSH_IJSG_SG_SG_EEES9_SI_JZNS1_25segmented_radix_sort_implINS0_14default_configELb1EPKlPlSQ_SR_N2at6native12_GLOBAL__N_18offset_tEEE10hipError_tPvRmT1_PNSt15iterator_traitsISZ_E10value_typeET2_T3_PNS10_IS15_E10value_typeET4_jRbjT5_S1B_jjP12ihipStream_tbEUljE_ZNSN_ISO_Lb1ESQ_SR_SQ_SR_SV_EESW_SX_SY_SZ_S13_S14_S15_S18_S19_jS1A_jS1B_S1B_jjS1D_bEUljE0_EEESW_SX_SY_S15_S19_S1B_T6_T7_T9_mT8_S1D_bDpT10_ENKUlT_T0_E_clISt17integral_constantIbLb0EES1R_EEDaS1M_S1N_EUlS1M_E_NS1_11comp_targetILNS1_3genE4ELNS1_11target_archE910ELNS1_3gpuE8ELNS1_3repE0EEENS1_30default_config_static_selectorELNS0_4arch9wavefront6targetE0EEEvSZ_ ; -- Begin function _ZN7rocprim17ROCPRIM_400000_NS6detail17trampoline_kernelINS0_13select_configILj256ELj13ELNS0_17block_load_methodE3ELS4_3ELS4_3ELNS0_20block_scan_algorithmE0ELj4294967295EEENS1_25partition_config_selectorILNS1_17partition_subalgoE4EjNS0_10empty_typeEbEEZZNS1_14partition_implILS8_4ELb0ES6_15HIP_vector_typeIjLj2EENS0_17counting_iteratorIjlEEPS9_SG_NS0_5tupleIJPjSI_NS0_16reverse_iteratorISI_EEEEENSH_IJSG_SG_SG_EEES9_SI_JZNS1_25segmented_radix_sort_implINS0_14default_configELb1EPKlPlSQ_SR_N2at6native12_GLOBAL__N_18offset_tEEE10hipError_tPvRmT1_PNSt15iterator_traitsISZ_E10value_typeET2_T3_PNS10_IS15_E10value_typeET4_jRbjT5_S1B_jjP12ihipStream_tbEUljE_ZNSN_ISO_Lb1ESQ_SR_SQ_SR_SV_EESW_SX_SY_SZ_S13_S14_S15_S18_S19_jS1A_jS1B_S1B_jjS1D_bEUljE0_EEESW_SX_SY_S15_S19_S1B_T6_T7_T9_mT8_S1D_bDpT10_ENKUlT_T0_E_clISt17integral_constantIbLb0EES1R_EEDaS1M_S1N_EUlS1M_E_NS1_11comp_targetILNS1_3genE4ELNS1_11target_archE910ELNS1_3gpuE8ELNS1_3repE0EEENS1_30default_config_static_selectorELNS0_4arch9wavefront6targetE0EEEvSZ_
	.p2align	8
	.type	_ZN7rocprim17ROCPRIM_400000_NS6detail17trampoline_kernelINS0_13select_configILj256ELj13ELNS0_17block_load_methodE3ELS4_3ELS4_3ELNS0_20block_scan_algorithmE0ELj4294967295EEENS1_25partition_config_selectorILNS1_17partition_subalgoE4EjNS0_10empty_typeEbEEZZNS1_14partition_implILS8_4ELb0ES6_15HIP_vector_typeIjLj2EENS0_17counting_iteratorIjlEEPS9_SG_NS0_5tupleIJPjSI_NS0_16reverse_iteratorISI_EEEEENSH_IJSG_SG_SG_EEES9_SI_JZNS1_25segmented_radix_sort_implINS0_14default_configELb1EPKlPlSQ_SR_N2at6native12_GLOBAL__N_18offset_tEEE10hipError_tPvRmT1_PNSt15iterator_traitsISZ_E10value_typeET2_T3_PNS10_IS15_E10value_typeET4_jRbjT5_S1B_jjP12ihipStream_tbEUljE_ZNSN_ISO_Lb1ESQ_SR_SQ_SR_SV_EESW_SX_SY_SZ_S13_S14_S15_S18_S19_jS1A_jS1B_S1B_jjS1D_bEUljE0_EEESW_SX_SY_S15_S19_S1B_T6_T7_T9_mT8_S1D_bDpT10_ENKUlT_T0_E_clISt17integral_constantIbLb0EES1R_EEDaS1M_S1N_EUlS1M_E_NS1_11comp_targetILNS1_3genE4ELNS1_11target_archE910ELNS1_3gpuE8ELNS1_3repE0EEENS1_30default_config_static_selectorELNS0_4arch9wavefront6targetE0EEEvSZ_,@function
_ZN7rocprim17ROCPRIM_400000_NS6detail17trampoline_kernelINS0_13select_configILj256ELj13ELNS0_17block_load_methodE3ELS4_3ELS4_3ELNS0_20block_scan_algorithmE0ELj4294967295EEENS1_25partition_config_selectorILNS1_17partition_subalgoE4EjNS0_10empty_typeEbEEZZNS1_14partition_implILS8_4ELb0ES6_15HIP_vector_typeIjLj2EENS0_17counting_iteratorIjlEEPS9_SG_NS0_5tupleIJPjSI_NS0_16reverse_iteratorISI_EEEEENSH_IJSG_SG_SG_EEES9_SI_JZNS1_25segmented_radix_sort_implINS0_14default_configELb1EPKlPlSQ_SR_N2at6native12_GLOBAL__N_18offset_tEEE10hipError_tPvRmT1_PNSt15iterator_traitsISZ_E10value_typeET2_T3_PNS10_IS15_E10value_typeET4_jRbjT5_S1B_jjP12ihipStream_tbEUljE_ZNSN_ISO_Lb1ESQ_SR_SQ_SR_SV_EESW_SX_SY_SZ_S13_S14_S15_S18_S19_jS1A_jS1B_S1B_jjS1D_bEUljE0_EEESW_SX_SY_S15_S19_S1B_T6_T7_T9_mT8_S1D_bDpT10_ENKUlT_T0_E_clISt17integral_constantIbLb0EES1R_EEDaS1M_S1N_EUlS1M_E_NS1_11comp_targetILNS1_3genE4ELNS1_11target_archE910ELNS1_3gpuE8ELNS1_3repE0EEENS1_30default_config_static_selectorELNS0_4arch9wavefront6targetE0EEEvSZ_: ; @_ZN7rocprim17ROCPRIM_400000_NS6detail17trampoline_kernelINS0_13select_configILj256ELj13ELNS0_17block_load_methodE3ELS4_3ELS4_3ELNS0_20block_scan_algorithmE0ELj4294967295EEENS1_25partition_config_selectorILNS1_17partition_subalgoE4EjNS0_10empty_typeEbEEZZNS1_14partition_implILS8_4ELb0ES6_15HIP_vector_typeIjLj2EENS0_17counting_iteratorIjlEEPS9_SG_NS0_5tupleIJPjSI_NS0_16reverse_iteratorISI_EEEEENSH_IJSG_SG_SG_EEES9_SI_JZNS1_25segmented_radix_sort_implINS0_14default_configELb1EPKlPlSQ_SR_N2at6native12_GLOBAL__N_18offset_tEEE10hipError_tPvRmT1_PNSt15iterator_traitsISZ_E10value_typeET2_T3_PNS10_IS15_E10value_typeET4_jRbjT5_S1B_jjP12ihipStream_tbEUljE_ZNSN_ISO_Lb1ESQ_SR_SQ_SR_SV_EESW_SX_SY_SZ_S13_S14_S15_S18_S19_jS1A_jS1B_S1B_jjS1D_bEUljE0_EEESW_SX_SY_S15_S19_S1B_T6_T7_T9_mT8_S1D_bDpT10_ENKUlT_T0_E_clISt17integral_constantIbLb0EES1R_EEDaS1M_S1N_EUlS1M_E_NS1_11comp_targetILNS1_3genE4ELNS1_11target_archE910ELNS1_3gpuE8ELNS1_3repE0EEENS1_30default_config_static_selectorELNS0_4arch9wavefront6targetE0EEEvSZ_
; %bb.0:
	.section	.rodata,"a",@progbits
	.p2align	6, 0x0
	.amdhsa_kernel _ZN7rocprim17ROCPRIM_400000_NS6detail17trampoline_kernelINS0_13select_configILj256ELj13ELNS0_17block_load_methodE3ELS4_3ELS4_3ELNS0_20block_scan_algorithmE0ELj4294967295EEENS1_25partition_config_selectorILNS1_17partition_subalgoE4EjNS0_10empty_typeEbEEZZNS1_14partition_implILS8_4ELb0ES6_15HIP_vector_typeIjLj2EENS0_17counting_iteratorIjlEEPS9_SG_NS0_5tupleIJPjSI_NS0_16reverse_iteratorISI_EEEEENSH_IJSG_SG_SG_EEES9_SI_JZNS1_25segmented_radix_sort_implINS0_14default_configELb1EPKlPlSQ_SR_N2at6native12_GLOBAL__N_18offset_tEEE10hipError_tPvRmT1_PNSt15iterator_traitsISZ_E10value_typeET2_T3_PNS10_IS15_E10value_typeET4_jRbjT5_S1B_jjP12ihipStream_tbEUljE_ZNSN_ISO_Lb1ESQ_SR_SQ_SR_SV_EESW_SX_SY_SZ_S13_S14_S15_S18_S19_jS1A_jS1B_S1B_jjS1D_bEUljE0_EEESW_SX_SY_S15_S19_S1B_T6_T7_T9_mT8_S1D_bDpT10_ENKUlT_T0_E_clISt17integral_constantIbLb0EES1R_EEDaS1M_S1N_EUlS1M_E_NS1_11comp_targetILNS1_3genE4ELNS1_11target_archE910ELNS1_3gpuE8ELNS1_3repE0EEENS1_30default_config_static_selectorELNS0_4arch9wavefront6targetE0EEEvSZ_
		.amdhsa_group_segment_fixed_size 0
		.amdhsa_private_segment_fixed_size 0
		.amdhsa_kernarg_size 176
		.amdhsa_user_sgpr_count 6
		.amdhsa_user_sgpr_private_segment_buffer 1
		.amdhsa_user_sgpr_dispatch_ptr 0
		.amdhsa_user_sgpr_queue_ptr 0
		.amdhsa_user_sgpr_kernarg_segment_ptr 1
		.amdhsa_user_sgpr_dispatch_id 0
		.amdhsa_user_sgpr_flat_scratch_init 0
		.amdhsa_user_sgpr_private_segment_size 0
		.amdhsa_wavefront_size32 1
		.amdhsa_uses_dynamic_stack 0
		.amdhsa_system_sgpr_private_segment_wavefront_offset 0
		.amdhsa_system_sgpr_workgroup_id_x 1
		.amdhsa_system_sgpr_workgroup_id_y 0
		.amdhsa_system_sgpr_workgroup_id_z 0
		.amdhsa_system_sgpr_workgroup_info 0
		.amdhsa_system_vgpr_workitem_id 0
		.amdhsa_next_free_vgpr 1
		.amdhsa_next_free_sgpr 1
		.amdhsa_reserve_vcc 0
		.amdhsa_reserve_flat_scratch 0
		.amdhsa_float_round_mode_32 0
		.amdhsa_float_round_mode_16_64 0
		.amdhsa_float_denorm_mode_32 3
		.amdhsa_float_denorm_mode_16_64 3
		.amdhsa_dx10_clamp 1
		.amdhsa_ieee_mode 1
		.amdhsa_fp16_overflow 0
		.amdhsa_workgroup_processor_mode 1
		.amdhsa_memory_ordered 1
		.amdhsa_forward_progress 1
		.amdhsa_shared_vgpr_count 0
		.amdhsa_exception_fp_ieee_invalid_op 0
		.amdhsa_exception_fp_denorm_src 0
		.amdhsa_exception_fp_ieee_div_zero 0
		.amdhsa_exception_fp_ieee_overflow 0
		.amdhsa_exception_fp_ieee_underflow 0
		.amdhsa_exception_fp_ieee_inexact 0
		.amdhsa_exception_int_div_zero 0
	.end_amdhsa_kernel
	.section	.text._ZN7rocprim17ROCPRIM_400000_NS6detail17trampoline_kernelINS0_13select_configILj256ELj13ELNS0_17block_load_methodE3ELS4_3ELS4_3ELNS0_20block_scan_algorithmE0ELj4294967295EEENS1_25partition_config_selectorILNS1_17partition_subalgoE4EjNS0_10empty_typeEbEEZZNS1_14partition_implILS8_4ELb0ES6_15HIP_vector_typeIjLj2EENS0_17counting_iteratorIjlEEPS9_SG_NS0_5tupleIJPjSI_NS0_16reverse_iteratorISI_EEEEENSH_IJSG_SG_SG_EEES9_SI_JZNS1_25segmented_radix_sort_implINS0_14default_configELb1EPKlPlSQ_SR_N2at6native12_GLOBAL__N_18offset_tEEE10hipError_tPvRmT1_PNSt15iterator_traitsISZ_E10value_typeET2_T3_PNS10_IS15_E10value_typeET4_jRbjT5_S1B_jjP12ihipStream_tbEUljE_ZNSN_ISO_Lb1ESQ_SR_SQ_SR_SV_EESW_SX_SY_SZ_S13_S14_S15_S18_S19_jS1A_jS1B_S1B_jjS1D_bEUljE0_EEESW_SX_SY_S15_S19_S1B_T6_T7_T9_mT8_S1D_bDpT10_ENKUlT_T0_E_clISt17integral_constantIbLb0EES1R_EEDaS1M_S1N_EUlS1M_E_NS1_11comp_targetILNS1_3genE4ELNS1_11target_archE910ELNS1_3gpuE8ELNS1_3repE0EEENS1_30default_config_static_selectorELNS0_4arch9wavefront6targetE0EEEvSZ_,"axG",@progbits,_ZN7rocprim17ROCPRIM_400000_NS6detail17trampoline_kernelINS0_13select_configILj256ELj13ELNS0_17block_load_methodE3ELS4_3ELS4_3ELNS0_20block_scan_algorithmE0ELj4294967295EEENS1_25partition_config_selectorILNS1_17partition_subalgoE4EjNS0_10empty_typeEbEEZZNS1_14partition_implILS8_4ELb0ES6_15HIP_vector_typeIjLj2EENS0_17counting_iteratorIjlEEPS9_SG_NS0_5tupleIJPjSI_NS0_16reverse_iteratorISI_EEEEENSH_IJSG_SG_SG_EEES9_SI_JZNS1_25segmented_radix_sort_implINS0_14default_configELb1EPKlPlSQ_SR_N2at6native12_GLOBAL__N_18offset_tEEE10hipError_tPvRmT1_PNSt15iterator_traitsISZ_E10value_typeET2_T3_PNS10_IS15_E10value_typeET4_jRbjT5_S1B_jjP12ihipStream_tbEUljE_ZNSN_ISO_Lb1ESQ_SR_SQ_SR_SV_EESW_SX_SY_SZ_S13_S14_S15_S18_S19_jS1A_jS1B_S1B_jjS1D_bEUljE0_EEESW_SX_SY_S15_S19_S1B_T6_T7_T9_mT8_S1D_bDpT10_ENKUlT_T0_E_clISt17integral_constantIbLb0EES1R_EEDaS1M_S1N_EUlS1M_E_NS1_11comp_targetILNS1_3genE4ELNS1_11target_archE910ELNS1_3gpuE8ELNS1_3repE0EEENS1_30default_config_static_selectorELNS0_4arch9wavefront6targetE0EEEvSZ_,comdat
.Lfunc_end636:
	.size	_ZN7rocprim17ROCPRIM_400000_NS6detail17trampoline_kernelINS0_13select_configILj256ELj13ELNS0_17block_load_methodE3ELS4_3ELS4_3ELNS0_20block_scan_algorithmE0ELj4294967295EEENS1_25partition_config_selectorILNS1_17partition_subalgoE4EjNS0_10empty_typeEbEEZZNS1_14partition_implILS8_4ELb0ES6_15HIP_vector_typeIjLj2EENS0_17counting_iteratorIjlEEPS9_SG_NS0_5tupleIJPjSI_NS0_16reverse_iteratorISI_EEEEENSH_IJSG_SG_SG_EEES9_SI_JZNS1_25segmented_radix_sort_implINS0_14default_configELb1EPKlPlSQ_SR_N2at6native12_GLOBAL__N_18offset_tEEE10hipError_tPvRmT1_PNSt15iterator_traitsISZ_E10value_typeET2_T3_PNS10_IS15_E10value_typeET4_jRbjT5_S1B_jjP12ihipStream_tbEUljE_ZNSN_ISO_Lb1ESQ_SR_SQ_SR_SV_EESW_SX_SY_SZ_S13_S14_S15_S18_S19_jS1A_jS1B_S1B_jjS1D_bEUljE0_EEESW_SX_SY_S15_S19_S1B_T6_T7_T9_mT8_S1D_bDpT10_ENKUlT_T0_E_clISt17integral_constantIbLb0EES1R_EEDaS1M_S1N_EUlS1M_E_NS1_11comp_targetILNS1_3genE4ELNS1_11target_archE910ELNS1_3gpuE8ELNS1_3repE0EEENS1_30default_config_static_selectorELNS0_4arch9wavefront6targetE0EEEvSZ_, .Lfunc_end636-_ZN7rocprim17ROCPRIM_400000_NS6detail17trampoline_kernelINS0_13select_configILj256ELj13ELNS0_17block_load_methodE3ELS4_3ELS4_3ELNS0_20block_scan_algorithmE0ELj4294967295EEENS1_25partition_config_selectorILNS1_17partition_subalgoE4EjNS0_10empty_typeEbEEZZNS1_14partition_implILS8_4ELb0ES6_15HIP_vector_typeIjLj2EENS0_17counting_iteratorIjlEEPS9_SG_NS0_5tupleIJPjSI_NS0_16reverse_iteratorISI_EEEEENSH_IJSG_SG_SG_EEES9_SI_JZNS1_25segmented_radix_sort_implINS0_14default_configELb1EPKlPlSQ_SR_N2at6native12_GLOBAL__N_18offset_tEEE10hipError_tPvRmT1_PNSt15iterator_traitsISZ_E10value_typeET2_T3_PNS10_IS15_E10value_typeET4_jRbjT5_S1B_jjP12ihipStream_tbEUljE_ZNSN_ISO_Lb1ESQ_SR_SQ_SR_SV_EESW_SX_SY_SZ_S13_S14_S15_S18_S19_jS1A_jS1B_S1B_jjS1D_bEUljE0_EEESW_SX_SY_S15_S19_S1B_T6_T7_T9_mT8_S1D_bDpT10_ENKUlT_T0_E_clISt17integral_constantIbLb0EES1R_EEDaS1M_S1N_EUlS1M_E_NS1_11comp_targetILNS1_3genE4ELNS1_11target_archE910ELNS1_3gpuE8ELNS1_3repE0EEENS1_30default_config_static_selectorELNS0_4arch9wavefront6targetE0EEEvSZ_
                                        ; -- End function
	.set _ZN7rocprim17ROCPRIM_400000_NS6detail17trampoline_kernelINS0_13select_configILj256ELj13ELNS0_17block_load_methodE3ELS4_3ELS4_3ELNS0_20block_scan_algorithmE0ELj4294967295EEENS1_25partition_config_selectorILNS1_17partition_subalgoE4EjNS0_10empty_typeEbEEZZNS1_14partition_implILS8_4ELb0ES6_15HIP_vector_typeIjLj2EENS0_17counting_iteratorIjlEEPS9_SG_NS0_5tupleIJPjSI_NS0_16reverse_iteratorISI_EEEEENSH_IJSG_SG_SG_EEES9_SI_JZNS1_25segmented_radix_sort_implINS0_14default_configELb1EPKlPlSQ_SR_N2at6native12_GLOBAL__N_18offset_tEEE10hipError_tPvRmT1_PNSt15iterator_traitsISZ_E10value_typeET2_T3_PNS10_IS15_E10value_typeET4_jRbjT5_S1B_jjP12ihipStream_tbEUljE_ZNSN_ISO_Lb1ESQ_SR_SQ_SR_SV_EESW_SX_SY_SZ_S13_S14_S15_S18_S19_jS1A_jS1B_S1B_jjS1D_bEUljE0_EEESW_SX_SY_S15_S19_S1B_T6_T7_T9_mT8_S1D_bDpT10_ENKUlT_T0_E_clISt17integral_constantIbLb0EES1R_EEDaS1M_S1N_EUlS1M_E_NS1_11comp_targetILNS1_3genE4ELNS1_11target_archE910ELNS1_3gpuE8ELNS1_3repE0EEENS1_30default_config_static_selectorELNS0_4arch9wavefront6targetE0EEEvSZ_.num_vgpr, 0
	.set _ZN7rocprim17ROCPRIM_400000_NS6detail17trampoline_kernelINS0_13select_configILj256ELj13ELNS0_17block_load_methodE3ELS4_3ELS4_3ELNS0_20block_scan_algorithmE0ELj4294967295EEENS1_25partition_config_selectorILNS1_17partition_subalgoE4EjNS0_10empty_typeEbEEZZNS1_14partition_implILS8_4ELb0ES6_15HIP_vector_typeIjLj2EENS0_17counting_iteratorIjlEEPS9_SG_NS0_5tupleIJPjSI_NS0_16reverse_iteratorISI_EEEEENSH_IJSG_SG_SG_EEES9_SI_JZNS1_25segmented_radix_sort_implINS0_14default_configELb1EPKlPlSQ_SR_N2at6native12_GLOBAL__N_18offset_tEEE10hipError_tPvRmT1_PNSt15iterator_traitsISZ_E10value_typeET2_T3_PNS10_IS15_E10value_typeET4_jRbjT5_S1B_jjP12ihipStream_tbEUljE_ZNSN_ISO_Lb1ESQ_SR_SQ_SR_SV_EESW_SX_SY_SZ_S13_S14_S15_S18_S19_jS1A_jS1B_S1B_jjS1D_bEUljE0_EEESW_SX_SY_S15_S19_S1B_T6_T7_T9_mT8_S1D_bDpT10_ENKUlT_T0_E_clISt17integral_constantIbLb0EES1R_EEDaS1M_S1N_EUlS1M_E_NS1_11comp_targetILNS1_3genE4ELNS1_11target_archE910ELNS1_3gpuE8ELNS1_3repE0EEENS1_30default_config_static_selectorELNS0_4arch9wavefront6targetE0EEEvSZ_.num_agpr, 0
	.set _ZN7rocprim17ROCPRIM_400000_NS6detail17trampoline_kernelINS0_13select_configILj256ELj13ELNS0_17block_load_methodE3ELS4_3ELS4_3ELNS0_20block_scan_algorithmE0ELj4294967295EEENS1_25partition_config_selectorILNS1_17partition_subalgoE4EjNS0_10empty_typeEbEEZZNS1_14partition_implILS8_4ELb0ES6_15HIP_vector_typeIjLj2EENS0_17counting_iteratorIjlEEPS9_SG_NS0_5tupleIJPjSI_NS0_16reverse_iteratorISI_EEEEENSH_IJSG_SG_SG_EEES9_SI_JZNS1_25segmented_radix_sort_implINS0_14default_configELb1EPKlPlSQ_SR_N2at6native12_GLOBAL__N_18offset_tEEE10hipError_tPvRmT1_PNSt15iterator_traitsISZ_E10value_typeET2_T3_PNS10_IS15_E10value_typeET4_jRbjT5_S1B_jjP12ihipStream_tbEUljE_ZNSN_ISO_Lb1ESQ_SR_SQ_SR_SV_EESW_SX_SY_SZ_S13_S14_S15_S18_S19_jS1A_jS1B_S1B_jjS1D_bEUljE0_EEESW_SX_SY_S15_S19_S1B_T6_T7_T9_mT8_S1D_bDpT10_ENKUlT_T0_E_clISt17integral_constantIbLb0EES1R_EEDaS1M_S1N_EUlS1M_E_NS1_11comp_targetILNS1_3genE4ELNS1_11target_archE910ELNS1_3gpuE8ELNS1_3repE0EEENS1_30default_config_static_selectorELNS0_4arch9wavefront6targetE0EEEvSZ_.numbered_sgpr, 0
	.set _ZN7rocprim17ROCPRIM_400000_NS6detail17trampoline_kernelINS0_13select_configILj256ELj13ELNS0_17block_load_methodE3ELS4_3ELS4_3ELNS0_20block_scan_algorithmE0ELj4294967295EEENS1_25partition_config_selectorILNS1_17partition_subalgoE4EjNS0_10empty_typeEbEEZZNS1_14partition_implILS8_4ELb0ES6_15HIP_vector_typeIjLj2EENS0_17counting_iteratorIjlEEPS9_SG_NS0_5tupleIJPjSI_NS0_16reverse_iteratorISI_EEEEENSH_IJSG_SG_SG_EEES9_SI_JZNS1_25segmented_radix_sort_implINS0_14default_configELb1EPKlPlSQ_SR_N2at6native12_GLOBAL__N_18offset_tEEE10hipError_tPvRmT1_PNSt15iterator_traitsISZ_E10value_typeET2_T3_PNS10_IS15_E10value_typeET4_jRbjT5_S1B_jjP12ihipStream_tbEUljE_ZNSN_ISO_Lb1ESQ_SR_SQ_SR_SV_EESW_SX_SY_SZ_S13_S14_S15_S18_S19_jS1A_jS1B_S1B_jjS1D_bEUljE0_EEESW_SX_SY_S15_S19_S1B_T6_T7_T9_mT8_S1D_bDpT10_ENKUlT_T0_E_clISt17integral_constantIbLb0EES1R_EEDaS1M_S1N_EUlS1M_E_NS1_11comp_targetILNS1_3genE4ELNS1_11target_archE910ELNS1_3gpuE8ELNS1_3repE0EEENS1_30default_config_static_selectorELNS0_4arch9wavefront6targetE0EEEvSZ_.num_named_barrier, 0
	.set _ZN7rocprim17ROCPRIM_400000_NS6detail17trampoline_kernelINS0_13select_configILj256ELj13ELNS0_17block_load_methodE3ELS4_3ELS4_3ELNS0_20block_scan_algorithmE0ELj4294967295EEENS1_25partition_config_selectorILNS1_17partition_subalgoE4EjNS0_10empty_typeEbEEZZNS1_14partition_implILS8_4ELb0ES6_15HIP_vector_typeIjLj2EENS0_17counting_iteratorIjlEEPS9_SG_NS0_5tupleIJPjSI_NS0_16reverse_iteratorISI_EEEEENSH_IJSG_SG_SG_EEES9_SI_JZNS1_25segmented_radix_sort_implINS0_14default_configELb1EPKlPlSQ_SR_N2at6native12_GLOBAL__N_18offset_tEEE10hipError_tPvRmT1_PNSt15iterator_traitsISZ_E10value_typeET2_T3_PNS10_IS15_E10value_typeET4_jRbjT5_S1B_jjP12ihipStream_tbEUljE_ZNSN_ISO_Lb1ESQ_SR_SQ_SR_SV_EESW_SX_SY_SZ_S13_S14_S15_S18_S19_jS1A_jS1B_S1B_jjS1D_bEUljE0_EEESW_SX_SY_S15_S19_S1B_T6_T7_T9_mT8_S1D_bDpT10_ENKUlT_T0_E_clISt17integral_constantIbLb0EES1R_EEDaS1M_S1N_EUlS1M_E_NS1_11comp_targetILNS1_3genE4ELNS1_11target_archE910ELNS1_3gpuE8ELNS1_3repE0EEENS1_30default_config_static_selectorELNS0_4arch9wavefront6targetE0EEEvSZ_.private_seg_size, 0
	.set _ZN7rocprim17ROCPRIM_400000_NS6detail17trampoline_kernelINS0_13select_configILj256ELj13ELNS0_17block_load_methodE3ELS4_3ELS4_3ELNS0_20block_scan_algorithmE0ELj4294967295EEENS1_25partition_config_selectorILNS1_17partition_subalgoE4EjNS0_10empty_typeEbEEZZNS1_14partition_implILS8_4ELb0ES6_15HIP_vector_typeIjLj2EENS0_17counting_iteratorIjlEEPS9_SG_NS0_5tupleIJPjSI_NS0_16reverse_iteratorISI_EEEEENSH_IJSG_SG_SG_EEES9_SI_JZNS1_25segmented_radix_sort_implINS0_14default_configELb1EPKlPlSQ_SR_N2at6native12_GLOBAL__N_18offset_tEEE10hipError_tPvRmT1_PNSt15iterator_traitsISZ_E10value_typeET2_T3_PNS10_IS15_E10value_typeET4_jRbjT5_S1B_jjP12ihipStream_tbEUljE_ZNSN_ISO_Lb1ESQ_SR_SQ_SR_SV_EESW_SX_SY_SZ_S13_S14_S15_S18_S19_jS1A_jS1B_S1B_jjS1D_bEUljE0_EEESW_SX_SY_S15_S19_S1B_T6_T7_T9_mT8_S1D_bDpT10_ENKUlT_T0_E_clISt17integral_constantIbLb0EES1R_EEDaS1M_S1N_EUlS1M_E_NS1_11comp_targetILNS1_3genE4ELNS1_11target_archE910ELNS1_3gpuE8ELNS1_3repE0EEENS1_30default_config_static_selectorELNS0_4arch9wavefront6targetE0EEEvSZ_.uses_vcc, 0
	.set _ZN7rocprim17ROCPRIM_400000_NS6detail17trampoline_kernelINS0_13select_configILj256ELj13ELNS0_17block_load_methodE3ELS4_3ELS4_3ELNS0_20block_scan_algorithmE0ELj4294967295EEENS1_25partition_config_selectorILNS1_17partition_subalgoE4EjNS0_10empty_typeEbEEZZNS1_14partition_implILS8_4ELb0ES6_15HIP_vector_typeIjLj2EENS0_17counting_iteratorIjlEEPS9_SG_NS0_5tupleIJPjSI_NS0_16reverse_iteratorISI_EEEEENSH_IJSG_SG_SG_EEES9_SI_JZNS1_25segmented_radix_sort_implINS0_14default_configELb1EPKlPlSQ_SR_N2at6native12_GLOBAL__N_18offset_tEEE10hipError_tPvRmT1_PNSt15iterator_traitsISZ_E10value_typeET2_T3_PNS10_IS15_E10value_typeET4_jRbjT5_S1B_jjP12ihipStream_tbEUljE_ZNSN_ISO_Lb1ESQ_SR_SQ_SR_SV_EESW_SX_SY_SZ_S13_S14_S15_S18_S19_jS1A_jS1B_S1B_jjS1D_bEUljE0_EEESW_SX_SY_S15_S19_S1B_T6_T7_T9_mT8_S1D_bDpT10_ENKUlT_T0_E_clISt17integral_constantIbLb0EES1R_EEDaS1M_S1N_EUlS1M_E_NS1_11comp_targetILNS1_3genE4ELNS1_11target_archE910ELNS1_3gpuE8ELNS1_3repE0EEENS1_30default_config_static_selectorELNS0_4arch9wavefront6targetE0EEEvSZ_.uses_flat_scratch, 0
	.set _ZN7rocprim17ROCPRIM_400000_NS6detail17trampoline_kernelINS0_13select_configILj256ELj13ELNS0_17block_load_methodE3ELS4_3ELS4_3ELNS0_20block_scan_algorithmE0ELj4294967295EEENS1_25partition_config_selectorILNS1_17partition_subalgoE4EjNS0_10empty_typeEbEEZZNS1_14partition_implILS8_4ELb0ES6_15HIP_vector_typeIjLj2EENS0_17counting_iteratorIjlEEPS9_SG_NS0_5tupleIJPjSI_NS0_16reverse_iteratorISI_EEEEENSH_IJSG_SG_SG_EEES9_SI_JZNS1_25segmented_radix_sort_implINS0_14default_configELb1EPKlPlSQ_SR_N2at6native12_GLOBAL__N_18offset_tEEE10hipError_tPvRmT1_PNSt15iterator_traitsISZ_E10value_typeET2_T3_PNS10_IS15_E10value_typeET4_jRbjT5_S1B_jjP12ihipStream_tbEUljE_ZNSN_ISO_Lb1ESQ_SR_SQ_SR_SV_EESW_SX_SY_SZ_S13_S14_S15_S18_S19_jS1A_jS1B_S1B_jjS1D_bEUljE0_EEESW_SX_SY_S15_S19_S1B_T6_T7_T9_mT8_S1D_bDpT10_ENKUlT_T0_E_clISt17integral_constantIbLb0EES1R_EEDaS1M_S1N_EUlS1M_E_NS1_11comp_targetILNS1_3genE4ELNS1_11target_archE910ELNS1_3gpuE8ELNS1_3repE0EEENS1_30default_config_static_selectorELNS0_4arch9wavefront6targetE0EEEvSZ_.has_dyn_sized_stack, 0
	.set _ZN7rocprim17ROCPRIM_400000_NS6detail17trampoline_kernelINS0_13select_configILj256ELj13ELNS0_17block_load_methodE3ELS4_3ELS4_3ELNS0_20block_scan_algorithmE0ELj4294967295EEENS1_25partition_config_selectorILNS1_17partition_subalgoE4EjNS0_10empty_typeEbEEZZNS1_14partition_implILS8_4ELb0ES6_15HIP_vector_typeIjLj2EENS0_17counting_iteratorIjlEEPS9_SG_NS0_5tupleIJPjSI_NS0_16reverse_iteratorISI_EEEEENSH_IJSG_SG_SG_EEES9_SI_JZNS1_25segmented_radix_sort_implINS0_14default_configELb1EPKlPlSQ_SR_N2at6native12_GLOBAL__N_18offset_tEEE10hipError_tPvRmT1_PNSt15iterator_traitsISZ_E10value_typeET2_T3_PNS10_IS15_E10value_typeET4_jRbjT5_S1B_jjP12ihipStream_tbEUljE_ZNSN_ISO_Lb1ESQ_SR_SQ_SR_SV_EESW_SX_SY_SZ_S13_S14_S15_S18_S19_jS1A_jS1B_S1B_jjS1D_bEUljE0_EEESW_SX_SY_S15_S19_S1B_T6_T7_T9_mT8_S1D_bDpT10_ENKUlT_T0_E_clISt17integral_constantIbLb0EES1R_EEDaS1M_S1N_EUlS1M_E_NS1_11comp_targetILNS1_3genE4ELNS1_11target_archE910ELNS1_3gpuE8ELNS1_3repE0EEENS1_30default_config_static_selectorELNS0_4arch9wavefront6targetE0EEEvSZ_.has_recursion, 0
	.set _ZN7rocprim17ROCPRIM_400000_NS6detail17trampoline_kernelINS0_13select_configILj256ELj13ELNS0_17block_load_methodE3ELS4_3ELS4_3ELNS0_20block_scan_algorithmE0ELj4294967295EEENS1_25partition_config_selectorILNS1_17partition_subalgoE4EjNS0_10empty_typeEbEEZZNS1_14partition_implILS8_4ELb0ES6_15HIP_vector_typeIjLj2EENS0_17counting_iteratorIjlEEPS9_SG_NS0_5tupleIJPjSI_NS0_16reverse_iteratorISI_EEEEENSH_IJSG_SG_SG_EEES9_SI_JZNS1_25segmented_radix_sort_implINS0_14default_configELb1EPKlPlSQ_SR_N2at6native12_GLOBAL__N_18offset_tEEE10hipError_tPvRmT1_PNSt15iterator_traitsISZ_E10value_typeET2_T3_PNS10_IS15_E10value_typeET4_jRbjT5_S1B_jjP12ihipStream_tbEUljE_ZNSN_ISO_Lb1ESQ_SR_SQ_SR_SV_EESW_SX_SY_SZ_S13_S14_S15_S18_S19_jS1A_jS1B_S1B_jjS1D_bEUljE0_EEESW_SX_SY_S15_S19_S1B_T6_T7_T9_mT8_S1D_bDpT10_ENKUlT_T0_E_clISt17integral_constantIbLb0EES1R_EEDaS1M_S1N_EUlS1M_E_NS1_11comp_targetILNS1_3genE4ELNS1_11target_archE910ELNS1_3gpuE8ELNS1_3repE0EEENS1_30default_config_static_selectorELNS0_4arch9wavefront6targetE0EEEvSZ_.has_indirect_call, 0
	.section	.AMDGPU.csdata,"",@progbits
; Kernel info:
; codeLenInByte = 0
; TotalNumSgprs: 0
; NumVgprs: 0
; ScratchSize: 0
; MemoryBound: 0
; FloatMode: 240
; IeeeMode: 1
; LDSByteSize: 0 bytes/workgroup (compile time only)
; SGPRBlocks: 0
; VGPRBlocks: 0
; NumSGPRsForWavesPerEU: 1
; NumVGPRsForWavesPerEU: 1
; Occupancy: 16
; WaveLimiterHint : 0
; COMPUTE_PGM_RSRC2:SCRATCH_EN: 0
; COMPUTE_PGM_RSRC2:USER_SGPR: 6
; COMPUTE_PGM_RSRC2:TRAP_HANDLER: 0
; COMPUTE_PGM_RSRC2:TGID_X_EN: 1
; COMPUTE_PGM_RSRC2:TGID_Y_EN: 0
; COMPUTE_PGM_RSRC2:TGID_Z_EN: 0
; COMPUTE_PGM_RSRC2:TIDIG_COMP_CNT: 0
	.section	.text._ZN7rocprim17ROCPRIM_400000_NS6detail17trampoline_kernelINS0_13select_configILj256ELj13ELNS0_17block_load_methodE3ELS4_3ELS4_3ELNS0_20block_scan_algorithmE0ELj4294967295EEENS1_25partition_config_selectorILNS1_17partition_subalgoE4EjNS0_10empty_typeEbEEZZNS1_14partition_implILS8_4ELb0ES6_15HIP_vector_typeIjLj2EENS0_17counting_iteratorIjlEEPS9_SG_NS0_5tupleIJPjSI_NS0_16reverse_iteratorISI_EEEEENSH_IJSG_SG_SG_EEES9_SI_JZNS1_25segmented_radix_sort_implINS0_14default_configELb1EPKlPlSQ_SR_N2at6native12_GLOBAL__N_18offset_tEEE10hipError_tPvRmT1_PNSt15iterator_traitsISZ_E10value_typeET2_T3_PNS10_IS15_E10value_typeET4_jRbjT5_S1B_jjP12ihipStream_tbEUljE_ZNSN_ISO_Lb1ESQ_SR_SQ_SR_SV_EESW_SX_SY_SZ_S13_S14_S15_S18_S19_jS1A_jS1B_S1B_jjS1D_bEUljE0_EEESW_SX_SY_S15_S19_S1B_T6_T7_T9_mT8_S1D_bDpT10_ENKUlT_T0_E_clISt17integral_constantIbLb0EES1R_EEDaS1M_S1N_EUlS1M_E_NS1_11comp_targetILNS1_3genE3ELNS1_11target_archE908ELNS1_3gpuE7ELNS1_3repE0EEENS1_30default_config_static_selectorELNS0_4arch9wavefront6targetE0EEEvSZ_,"axG",@progbits,_ZN7rocprim17ROCPRIM_400000_NS6detail17trampoline_kernelINS0_13select_configILj256ELj13ELNS0_17block_load_methodE3ELS4_3ELS4_3ELNS0_20block_scan_algorithmE0ELj4294967295EEENS1_25partition_config_selectorILNS1_17partition_subalgoE4EjNS0_10empty_typeEbEEZZNS1_14partition_implILS8_4ELb0ES6_15HIP_vector_typeIjLj2EENS0_17counting_iteratorIjlEEPS9_SG_NS0_5tupleIJPjSI_NS0_16reverse_iteratorISI_EEEEENSH_IJSG_SG_SG_EEES9_SI_JZNS1_25segmented_radix_sort_implINS0_14default_configELb1EPKlPlSQ_SR_N2at6native12_GLOBAL__N_18offset_tEEE10hipError_tPvRmT1_PNSt15iterator_traitsISZ_E10value_typeET2_T3_PNS10_IS15_E10value_typeET4_jRbjT5_S1B_jjP12ihipStream_tbEUljE_ZNSN_ISO_Lb1ESQ_SR_SQ_SR_SV_EESW_SX_SY_SZ_S13_S14_S15_S18_S19_jS1A_jS1B_S1B_jjS1D_bEUljE0_EEESW_SX_SY_S15_S19_S1B_T6_T7_T9_mT8_S1D_bDpT10_ENKUlT_T0_E_clISt17integral_constantIbLb0EES1R_EEDaS1M_S1N_EUlS1M_E_NS1_11comp_targetILNS1_3genE3ELNS1_11target_archE908ELNS1_3gpuE7ELNS1_3repE0EEENS1_30default_config_static_selectorELNS0_4arch9wavefront6targetE0EEEvSZ_,comdat
	.globl	_ZN7rocprim17ROCPRIM_400000_NS6detail17trampoline_kernelINS0_13select_configILj256ELj13ELNS0_17block_load_methodE3ELS4_3ELS4_3ELNS0_20block_scan_algorithmE0ELj4294967295EEENS1_25partition_config_selectorILNS1_17partition_subalgoE4EjNS0_10empty_typeEbEEZZNS1_14partition_implILS8_4ELb0ES6_15HIP_vector_typeIjLj2EENS0_17counting_iteratorIjlEEPS9_SG_NS0_5tupleIJPjSI_NS0_16reverse_iteratorISI_EEEEENSH_IJSG_SG_SG_EEES9_SI_JZNS1_25segmented_radix_sort_implINS0_14default_configELb1EPKlPlSQ_SR_N2at6native12_GLOBAL__N_18offset_tEEE10hipError_tPvRmT1_PNSt15iterator_traitsISZ_E10value_typeET2_T3_PNS10_IS15_E10value_typeET4_jRbjT5_S1B_jjP12ihipStream_tbEUljE_ZNSN_ISO_Lb1ESQ_SR_SQ_SR_SV_EESW_SX_SY_SZ_S13_S14_S15_S18_S19_jS1A_jS1B_S1B_jjS1D_bEUljE0_EEESW_SX_SY_S15_S19_S1B_T6_T7_T9_mT8_S1D_bDpT10_ENKUlT_T0_E_clISt17integral_constantIbLb0EES1R_EEDaS1M_S1N_EUlS1M_E_NS1_11comp_targetILNS1_3genE3ELNS1_11target_archE908ELNS1_3gpuE7ELNS1_3repE0EEENS1_30default_config_static_selectorELNS0_4arch9wavefront6targetE0EEEvSZ_ ; -- Begin function _ZN7rocprim17ROCPRIM_400000_NS6detail17trampoline_kernelINS0_13select_configILj256ELj13ELNS0_17block_load_methodE3ELS4_3ELS4_3ELNS0_20block_scan_algorithmE0ELj4294967295EEENS1_25partition_config_selectorILNS1_17partition_subalgoE4EjNS0_10empty_typeEbEEZZNS1_14partition_implILS8_4ELb0ES6_15HIP_vector_typeIjLj2EENS0_17counting_iteratorIjlEEPS9_SG_NS0_5tupleIJPjSI_NS0_16reverse_iteratorISI_EEEEENSH_IJSG_SG_SG_EEES9_SI_JZNS1_25segmented_radix_sort_implINS0_14default_configELb1EPKlPlSQ_SR_N2at6native12_GLOBAL__N_18offset_tEEE10hipError_tPvRmT1_PNSt15iterator_traitsISZ_E10value_typeET2_T3_PNS10_IS15_E10value_typeET4_jRbjT5_S1B_jjP12ihipStream_tbEUljE_ZNSN_ISO_Lb1ESQ_SR_SQ_SR_SV_EESW_SX_SY_SZ_S13_S14_S15_S18_S19_jS1A_jS1B_S1B_jjS1D_bEUljE0_EEESW_SX_SY_S15_S19_S1B_T6_T7_T9_mT8_S1D_bDpT10_ENKUlT_T0_E_clISt17integral_constantIbLb0EES1R_EEDaS1M_S1N_EUlS1M_E_NS1_11comp_targetILNS1_3genE3ELNS1_11target_archE908ELNS1_3gpuE7ELNS1_3repE0EEENS1_30default_config_static_selectorELNS0_4arch9wavefront6targetE0EEEvSZ_
	.p2align	8
	.type	_ZN7rocprim17ROCPRIM_400000_NS6detail17trampoline_kernelINS0_13select_configILj256ELj13ELNS0_17block_load_methodE3ELS4_3ELS4_3ELNS0_20block_scan_algorithmE0ELj4294967295EEENS1_25partition_config_selectorILNS1_17partition_subalgoE4EjNS0_10empty_typeEbEEZZNS1_14partition_implILS8_4ELb0ES6_15HIP_vector_typeIjLj2EENS0_17counting_iteratorIjlEEPS9_SG_NS0_5tupleIJPjSI_NS0_16reverse_iteratorISI_EEEEENSH_IJSG_SG_SG_EEES9_SI_JZNS1_25segmented_radix_sort_implINS0_14default_configELb1EPKlPlSQ_SR_N2at6native12_GLOBAL__N_18offset_tEEE10hipError_tPvRmT1_PNSt15iterator_traitsISZ_E10value_typeET2_T3_PNS10_IS15_E10value_typeET4_jRbjT5_S1B_jjP12ihipStream_tbEUljE_ZNSN_ISO_Lb1ESQ_SR_SQ_SR_SV_EESW_SX_SY_SZ_S13_S14_S15_S18_S19_jS1A_jS1B_S1B_jjS1D_bEUljE0_EEESW_SX_SY_S15_S19_S1B_T6_T7_T9_mT8_S1D_bDpT10_ENKUlT_T0_E_clISt17integral_constantIbLb0EES1R_EEDaS1M_S1N_EUlS1M_E_NS1_11comp_targetILNS1_3genE3ELNS1_11target_archE908ELNS1_3gpuE7ELNS1_3repE0EEENS1_30default_config_static_selectorELNS0_4arch9wavefront6targetE0EEEvSZ_,@function
_ZN7rocprim17ROCPRIM_400000_NS6detail17trampoline_kernelINS0_13select_configILj256ELj13ELNS0_17block_load_methodE3ELS4_3ELS4_3ELNS0_20block_scan_algorithmE0ELj4294967295EEENS1_25partition_config_selectorILNS1_17partition_subalgoE4EjNS0_10empty_typeEbEEZZNS1_14partition_implILS8_4ELb0ES6_15HIP_vector_typeIjLj2EENS0_17counting_iteratorIjlEEPS9_SG_NS0_5tupleIJPjSI_NS0_16reverse_iteratorISI_EEEEENSH_IJSG_SG_SG_EEES9_SI_JZNS1_25segmented_radix_sort_implINS0_14default_configELb1EPKlPlSQ_SR_N2at6native12_GLOBAL__N_18offset_tEEE10hipError_tPvRmT1_PNSt15iterator_traitsISZ_E10value_typeET2_T3_PNS10_IS15_E10value_typeET4_jRbjT5_S1B_jjP12ihipStream_tbEUljE_ZNSN_ISO_Lb1ESQ_SR_SQ_SR_SV_EESW_SX_SY_SZ_S13_S14_S15_S18_S19_jS1A_jS1B_S1B_jjS1D_bEUljE0_EEESW_SX_SY_S15_S19_S1B_T6_T7_T9_mT8_S1D_bDpT10_ENKUlT_T0_E_clISt17integral_constantIbLb0EES1R_EEDaS1M_S1N_EUlS1M_E_NS1_11comp_targetILNS1_3genE3ELNS1_11target_archE908ELNS1_3gpuE7ELNS1_3repE0EEENS1_30default_config_static_selectorELNS0_4arch9wavefront6targetE0EEEvSZ_: ; @_ZN7rocprim17ROCPRIM_400000_NS6detail17trampoline_kernelINS0_13select_configILj256ELj13ELNS0_17block_load_methodE3ELS4_3ELS4_3ELNS0_20block_scan_algorithmE0ELj4294967295EEENS1_25partition_config_selectorILNS1_17partition_subalgoE4EjNS0_10empty_typeEbEEZZNS1_14partition_implILS8_4ELb0ES6_15HIP_vector_typeIjLj2EENS0_17counting_iteratorIjlEEPS9_SG_NS0_5tupleIJPjSI_NS0_16reverse_iteratorISI_EEEEENSH_IJSG_SG_SG_EEES9_SI_JZNS1_25segmented_radix_sort_implINS0_14default_configELb1EPKlPlSQ_SR_N2at6native12_GLOBAL__N_18offset_tEEE10hipError_tPvRmT1_PNSt15iterator_traitsISZ_E10value_typeET2_T3_PNS10_IS15_E10value_typeET4_jRbjT5_S1B_jjP12ihipStream_tbEUljE_ZNSN_ISO_Lb1ESQ_SR_SQ_SR_SV_EESW_SX_SY_SZ_S13_S14_S15_S18_S19_jS1A_jS1B_S1B_jjS1D_bEUljE0_EEESW_SX_SY_S15_S19_S1B_T6_T7_T9_mT8_S1D_bDpT10_ENKUlT_T0_E_clISt17integral_constantIbLb0EES1R_EEDaS1M_S1N_EUlS1M_E_NS1_11comp_targetILNS1_3genE3ELNS1_11target_archE908ELNS1_3gpuE7ELNS1_3repE0EEENS1_30default_config_static_selectorELNS0_4arch9wavefront6targetE0EEEvSZ_
; %bb.0:
	.section	.rodata,"a",@progbits
	.p2align	6, 0x0
	.amdhsa_kernel _ZN7rocprim17ROCPRIM_400000_NS6detail17trampoline_kernelINS0_13select_configILj256ELj13ELNS0_17block_load_methodE3ELS4_3ELS4_3ELNS0_20block_scan_algorithmE0ELj4294967295EEENS1_25partition_config_selectorILNS1_17partition_subalgoE4EjNS0_10empty_typeEbEEZZNS1_14partition_implILS8_4ELb0ES6_15HIP_vector_typeIjLj2EENS0_17counting_iteratorIjlEEPS9_SG_NS0_5tupleIJPjSI_NS0_16reverse_iteratorISI_EEEEENSH_IJSG_SG_SG_EEES9_SI_JZNS1_25segmented_radix_sort_implINS0_14default_configELb1EPKlPlSQ_SR_N2at6native12_GLOBAL__N_18offset_tEEE10hipError_tPvRmT1_PNSt15iterator_traitsISZ_E10value_typeET2_T3_PNS10_IS15_E10value_typeET4_jRbjT5_S1B_jjP12ihipStream_tbEUljE_ZNSN_ISO_Lb1ESQ_SR_SQ_SR_SV_EESW_SX_SY_SZ_S13_S14_S15_S18_S19_jS1A_jS1B_S1B_jjS1D_bEUljE0_EEESW_SX_SY_S15_S19_S1B_T6_T7_T9_mT8_S1D_bDpT10_ENKUlT_T0_E_clISt17integral_constantIbLb0EES1R_EEDaS1M_S1N_EUlS1M_E_NS1_11comp_targetILNS1_3genE3ELNS1_11target_archE908ELNS1_3gpuE7ELNS1_3repE0EEENS1_30default_config_static_selectorELNS0_4arch9wavefront6targetE0EEEvSZ_
		.amdhsa_group_segment_fixed_size 0
		.amdhsa_private_segment_fixed_size 0
		.amdhsa_kernarg_size 176
		.amdhsa_user_sgpr_count 6
		.amdhsa_user_sgpr_private_segment_buffer 1
		.amdhsa_user_sgpr_dispatch_ptr 0
		.amdhsa_user_sgpr_queue_ptr 0
		.amdhsa_user_sgpr_kernarg_segment_ptr 1
		.amdhsa_user_sgpr_dispatch_id 0
		.amdhsa_user_sgpr_flat_scratch_init 0
		.amdhsa_user_sgpr_private_segment_size 0
		.amdhsa_wavefront_size32 1
		.amdhsa_uses_dynamic_stack 0
		.amdhsa_system_sgpr_private_segment_wavefront_offset 0
		.amdhsa_system_sgpr_workgroup_id_x 1
		.amdhsa_system_sgpr_workgroup_id_y 0
		.amdhsa_system_sgpr_workgroup_id_z 0
		.amdhsa_system_sgpr_workgroup_info 0
		.amdhsa_system_vgpr_workitem_id 0
		.amdhsa_next_free_vgpr 1
		.amdhsa_next_free_sgpr 1
		.amdhsa_reserve_vcc 0
		.amdhsa_reserve_flat_scratch 0
		.amdhsa_float_round_mode_32 0
		.amdhsa_float_round_mode_16_64 0
		.amdhsa_float_denorm_mode_32 3
		.amdhsa_float_denorm_mode_16_64 3
		.amdhsa_dx10_clamp 1
		.amdhsa_ieee_mode 1
		.amdhsa_fp16_overflow 0
		.amdhsa_workgroup_processor_mode 1
		.amdhsa_memory_ordered 1
		.amdhsa_forward_progress 1
		.amdhsa_shared_vgpr_count 0
		.amdhsa_exception_fp_ieee_invalid_op 0
		.amdhsa_exception_fp_denorm_src 0
		.amdhsa_exception_fp_ieee_div_zero 0
		.amdhsa_exception_fp_ieee_overflow 0
		.amdhsa_exception_fp_ieee_underflow 0
		.amdhsa_exception_fp_ieee_inexact 0
		.amdhsa_exception_int_div_zero 0
	.end_amdhsa_kernel
	.section	.text._ZN7rocprim17ROCPRIM_400000_NS6detail17trampoline_kernelINS0_13select_configILj256ELj13ELNS0_17block_load_methodE3ELS4_3ELS4_3ELNS0_20block_scan_algorithmE0ELj4294967295EEENS1_25partition_config_selectorILNS1_17partition_subalgoE4EjNS0_10empty_typeEbEEZZNS1_14partition_implILS8_4ELb0ES6_15HIP_vector_typeIjLj2EENS0_17counting_iteratorIjlEEPS9_SG_NS0_5tupleIJPjSI_NS0_16reverse_iteratorISI_EEEEENSH_IJSG_SG_SG_EEES9_SI_JZNS1_25segmented_radix_sort_implINS0_14default_configELb1EPKlPlSQ_SR_N2at6native12_GLOBAL__N_18offset_tEEE10hipError_tPvRmT1_PNSt15iterator_traitsISZ_E10value_typeET2_T3_PNS10_IS15_E10value_typeET4_jRbjT5_S1B_jjP12ihipStream_tbEUljE_ZNSN_ISO_Lb1ESQ_SR_SQ_SR_SV_EESW_SX_SY_SZ_S13_S14_S15_S18_S19_jS1A_jS1B_S1B_jjS1D_bEUljE0_EEESW_SX_SY_S15_S19_S1B_T6_T7_T9_mT8_S1D_bDpT10_ENKUlT_T0_E_clISt17integral_constantIbLb0EES1R_EEDaS1M_S1N_EUlS1M_E_NS1_11comp_targetILNS1_3genE3ELNS1_11target_archE908ELNS1_3gpuE7ELNS1_3repE0EEENS1_30default_config_static_selectorELNS0_4arch9wavefront6targetE0EEEvSZ_,"axG",@progbits,_ZN7rocprim17ROCPRIM_400000_NS6detail17trampoline_kernelINS0_13select_configILj256ELj13ELNS0_17block_load_methodE3ELS4_3ELS4_3ELNS0_20block_scan_algorithmE0ELj4294967295EEENS1_25partition_config_selectorILNS1_17partition_subalgoE4EjNS0_10empty_typeEbEEZZNS1_14partition_implILS8_4ELb0ES6_15HIP_vector_typeIjLj2EENS0_17counting_iteratorIjlEEPS9_SG_NS0_5tupleIJPjSI_NS0_16reverse_iteratorISI_EEEEENSH_IJSG_SG_SG_EEES9_SI_JZNS1_25segmented_radix_sort_implINS0_14default_configELb1EPKlPlSQ_SR_N2at6native12_GLOBAL__N_18offset_tEEE10hipError_tPvRmT1_PNSt15iterator_traitsISZ_E10value_typeET2_T3_PNS10_IS15_E10value_typeET4_jRbjT5_S1B_jjP12ihipStream_tbEUljE_ZNSN_ISO_Lb1ESQ_SR_SQ_SR_SV_EESW_SX_SY_SZ_S13_S14_S15_S18_S19_jS1A_jS1B_S1B_jjS1D_bEUljE0_EEESW_SX_SY_S15_S19_S1B_T6_T7_T9_mT8_S1D_bDpT10_ENKUlT_T0_E_clISt17integral_constantIbLb0EES1R_EEDaS1M_S1N_EUlS1M_E_NS1_11comp_targetILNS1_3genE3ELNS1_11target_archE908ELNS1_3gpuE7ELNS1_3repE0EEENS1_30default_config_static_selectorELNS0_4arch9wavefront6targetE0EEEvSZ_,comdat
.Lfunc_end637:
	.size	_ZN7rocprim17ROCPRIM_400000_NS6detail17trampoline_kernelINS0_13select_configILj256ELj13ELNS0_17block_load_methodE3ELS4_3ELS4_3ELNS0_20block_scan_algorithmE0ELj4294967295EEENS1_25partition_config_selectorILNS1_17partition_subalgoE4EjNS0_10empty_typeEbEEZZNS1_14partition_implILS8_4ELb0ES6_15HIP_vector_typeIjLj2EENS0_17counting_iteratorIjlEEPS9_SG_NS0_5tupleIJPjSI_NS0_16reverse_iteratorISI_EEEEENSH_IJSG_SG_SG_EEES9_SI_JZNS1_25segmented_radix_sort_implINS0_14default_configELb1EPKlPlSQ_SR_N2at6native12_GLOBAL__N_18offset_tEEE10hipError_tPvRmT1_PNSt15iterator_traitsISZ_E10value_typeET2_T3_PNS10_IS15_E10value_typeET4_jRbjT5_S1B_jjP12ihipStream_tbEUljE_ZNSN_ISO_Lb1ESQ_SR_SQ_SR_SV_EESW_SX_SY_SZ_S13_S14_S15_S18_S19_jS1A_jS1B_S1B_jjS1D_bEUljE0_EEESW_SX_SY_S15_S19_S1B_T6_T7_T9_mT8_S1D_bDpT10_ENKUlT_T0_E_clISt17integral_constantIbLb0EES1R_EEDaS1M_S1N_EUlS1M_E_NS1_11comp_targetILNS1_3genE3ELNS1_11target_archE908ELNS1_3gpuE7ELNS1_3repE0EEENS1_30default_config_static_selectorELNS0_4arch9wavefront6targetE0EEEvSZ_, .Lfunc_end637-_ZN7rocprim17ROCPRIM_400000_NS6detail17trampoline_kernelINS0_13select_configILj256ELj13ELNS0_17block_load_methodE3ELS4_3ELS4_3ELNS0_20block_scan_algorithmE0ELj4294967295EEENS1_25partition_config_selectorILNS1_17partition_subalgoE4EjNS0_10empty_typeEbEEZZNS1_14partition_implILS8_4ELb0ES6_15HIP_vector_typeIjLj2EENS0_17counting_iteratorIjlEEPS9_SG_NS0_5tupleIJPjSI_NS0_16reverse_iteratorISI_EEEEENSH_IJSG_SG_SG_EEES9_SI_JZNS1_25segmented_radix_sort_implINS0_14default_configELb1EPKlPlSQ_SR_N2at6native12_GLOBAL__N_18offset_tEEE10hipError_tPvRmT1_PNSt15iterator_traitsISZ_E10value_typeET2_T3_PNS10_IS15_E10value_typeET4_jRbjT5_S1B_jjP12ihipStream_tbEUljE_ZNSN_ISO_Lb1ESQ_SR_SQ_SR_SV_EESW_SX_SY_SZ_S13_S14_S15_S18_S19_jS1A_jS1B_S1B_jjS1D_bEUljE0_EEESW_SX_SY_S15_S19_S1B_T6_T7_T9_mT8_S1D_bDpT10_ENKUlT_T0_E_clISt17integral_constantIbLb0EES1R_EEDaS1M_S1N_EUlS1M_E_NS1_11comp_targetILNS1_3genE3ELNS1_11target_archE908ELNS1_3gpuE7ELNS1_3repE0EEENS1_30default_config_static_selectorELNS0_4arch9wavefront6targetE0EEEvSZ_
                                        ; -- End function
	.set _ZN7rocprim17ROCPRIM_400000_NS6detail17trampoline_kernelINS0_13select_configILj256ELj13ELNS0_17block_load_methodE3ELS4_3ELS4_3ELNS0_20block_scan_algorithmE0ELj4294967295EEENS1_25partition_config_selectorILNS1_17partition_subalgoE4EjNS0_10empty_typeEbEEZZNS1_14partition_implILS8_4ELb0ES6_15HIP_vector_typeIjLj2EENS0_17counting_iteratorIjlEEPS9_SG_NS0_5tupleIJPjSI_NS0_16reverse_iteratorISI_EEEEENSH_IJSG_SG_SG_EEES9_SI_JZNS1_25segmented_radix_sort_implINS0_14default_configELb1EPKlPlSQ_SR_N2at6native12_GLOBAL__N_18offset_tEEE10hipError_tPvRmT1_PNSt15iterator_traitsISZ_E10value_typeET2_T3_PNS10_IS15_E10value_typeET4_jRbjT5_S1B_jjP12ihipStream_tbEUljE_ZNSN_ISO_Lb1ESQ_SR_SQ_SR_SV_EESW_SX_SY_SZ_S13_S14_S15_S18_S19_jS1A_jS1B_S1B_jjS1D_bEUljE0_EEESW_SX_SY_S15_S19_S1B_T6_T7_T9_mT8_S1D_bDpT10_ENKUlT_T0_E_clISt17integral_constantIbLb0EES1R_EEDaS1M_S1N_EUlS1M_E_NS1_11comp_targetILNS1_3genE3ELNS1_11target_archE908ELNS1_3gpuE7ELNS1_3repE0EEENS1_30default_config_static_selectorELNS0_4arch9wavefront6targetE0EEEvSZ_.num_vgpr, 0
	.set _ZN7rocprim17ROCPRIM_400000_NS6detail17trampoline_kernelINS0_13select_configILj256ELj13ELNS0_17block_load_methodE3ELS4_3ELS4_3ELNS0_20block_scan_algorithmE0ELj4294967295EEENS1_25partition_config_selectorILNS1_17partition_subalgoE4EjNS0_10empty_typeEbEEZZNS1_14partition_implILS8_4ELb0ES6_15HIP_vector_typeIjLj2EENS0_17counting_iteratorIjlEEPS9_SG_NS0_5tupleIJPjSI_NS0_16reverse_iteratorISI_EEEEENSH_IJSG_SG_SG_EEES9_SI_JZNS1_25segmented_radix_sort_implINS0_14default_configELb1EPKlPlSQ_SR_N2at6native12_GLOBAL__N_18offset_tEEE10hipError_tPvRmT1_PNSt15iterator_traitsISZ_E10value_typeET2_T3_PNS10_IS15_E10value_typeET4_jRbjT5_S1B_jjP12ihipStream_tbEUljE_ZNSN_ISO_Lb1ESQ_SR_SQ_SR_SV_EESW_SX_SY_SZ_S13_S14_S15_S18_S19_jS1A_jS1B_S1B_jjS1D_bEUljE0_EEESW_SX_SY_S15_S19_S1B_T6_T7_T9_mT8_S1D_bDpT10_ENKUlT_T0_E_clISt17integral_constantIbLb0EES1R_EEDaS1M_S1N_EUlS1M_E_NS1_11comp_targetILNS1_3genE3ELNS1_11target_archE908ELNS1_3gpuE7ELNS1_3repE0EEENS1_30default_config_static_selectorELNS0_4arch9wavefront6targetE0EEEvSZ_.num_agpr, 0
	.set _ZN7rocprim17ROCPRIM_400000_NS6detail17trampoline_kernelINS0_13select_configILj256ELj13ELNS0_17block_load_methodE3ELS4_3ELS4_3ELNS0_20block_scan_algorithmE0ELj4294967295EEENS1_25partition_config_selectorILNS1_17partition_subalgoE4EjNS0_10empty_typeEbEEZZNS1_14partition_implILS8_4ELb0ES6_15HIP_vector_typeIjLj2EENS0_17counting_iteratorIjlEEPS9_SG_NS0_5tupleIJPjSI_NS0_16reverse_iteratorISI_EEEEENSH_IJSG_SG_SG_EEES9_SI_JZNS1_25segmented_radix_sort_implINS0_14default_configELb1EPKlPlSQ_SR_N2at6native12_GLOBAL__N_18offset_tEEE10hipError_tPvRmT1_PNSt15iterator_traitsISZ_E10value_typeET2_T3_PNS10_IS15_E10value_typeET4_jRbjT5_S1B_jjP12ihipStream_tbEUljE_ZNSN_ISO_Lb1ESQ_SR_SQ_SR_SV_EESW_SX_SY_SZ_S13_S14_S15_S18_S19_jS1A_jS1B_S1B_jjS1D_bEUljE0_EEESW_SX_SY_S15_S19_S1B_T6_T7_T9_mT8_S1D_bDpT10_ENKUlT_T0_E_clISt17integral_constantIbLb0EES1R_EEDaS1M_S1N_EUlS1M_E_NS1_11comp_targetILNS1_3genE3ELNS1_11target_archE908ELNS1_3gpuE7ELNS1_3repE0EEENS1_30default_config_static_selectorELNS0_4arch9wavefront6targetE0EEEvSZ_.numbered_sgpr, 0
	.set _ZN7rocprim17ROCPRIM_400000_NS6detail17trampoline_kernelINS0_13select_configILj256ELj13ELNS0_17block_load_methodE3ELS4_3ELS4_3ELNS0_20block_scan_algorithmE0ELj4294967295EEENS1_25partition_config_selectorILNS1_17partition_subalgoE4EjNS0_10empty_typeEbEEZZNS1_14partition_implILS8_4ELb0ES6_15HIP_vector_typeIjLj2EENS0_17counting_iteratorIjlEEPS9_SG_NS0_5tupleIJPjSI_NS0_16reverse_iteratorISI_EEEEENSH_IJSG_SG_SG_EEES9_SI_JZNS1_25segmented_radix_sort_implINS0_14default_configELb1EPKlPlSQ_SR_N2at6native12_GLOBAL__N_18offset_tEEE10hipError_tPvRmT1_PNSt15iterator_traitsISZ_E10value_typeET2_T3_PNS10_IS15_E10value_typeET4_jRbjT5_S1B_jjP12ihipStream_tbEUljE_ZNSN_ISO_Lb1ESQ_SR_SQ_SR_SV_EESW_SX_SY_SZ_S13_S14_S15_S18_S19_jS1A_jS1B_S1B_jjS1D_bEUljE0_EEESW_SX_SY_S15_S19_S1B_T6_T7_T9_mT8_S1D_bDpT10_ENKUlT_T0_E_clISt17integral_constantIbLb0EES1R_EEDaS1M_S1N_EUlS1M_E_NS1_11comp_targetILNS1_3genE3ELNS1_11target_archE908ELNS1_3gpuE7ELNS1_3repE0EEENS1_30default_config_static_selectorELNS0_4arch9wavefront6targetE0EEEvSZ_.num_named_barrier, 0
	.set _ZN7rocprim17ROCPRIM_400000_NS6detail17trampoline_kernelINS0_13select_configILj256ELj13ELNS0_17block_load_methodE3ELS4_3ELS4_3ELNS0_20block_scan_algorithmE0ELj4294967295EEENS1_25partition_config_selectorILNS1_17partition_subalgoE4EjNS0_10empty_typeEbEEZZNS1_14partition_implILS8_4ELb0ES6_15HIP_vector_typeIjLj2EENS0_17counting_iteratorIjlEEPS9_SG_NS0_5tupleIJPjSI_NS0_16reverse_iteratorISI_EEEEENSH_IJSG_SG_SG_EEES9_SI_JZNS1_25segmented_radix_sort_implINS0_14default_configELb1EPKlPlSQ_SR_N2at6native12_GLOBAL__N_18offset_tEEE10hipError_tPvRmT1_PNSt15iterator_traitsISZ_E10value_typeET2_T3_PNS10_IS15_E10value_typeET4_jRbjT5_S1B_jjP12ihipStream_tbEUljE_ZNSN_ISO_Lb1ESQ_SR_SQ_SR_SV_EESW_SX_SY_SZ_S13_S14_S15_S18_S19_jS1A_jS1B_S1B_jjS1D_bEUljE0_EEESW_SX_SY_S15_S19_S1B_T6_T7_T9_mT8_S1D_bDpT10_ENKUlT_T0_E_clISt17integral_constantIbLb0EES1R_EEDaS1M_S1N_EUlS1M_E_NS1_11comp_targetILNS1_3genE3ELNS1_11target_archE908ELNS1_3gpuE7ELNS1_3repE0EEENS1_30default_config_static_selectorELNS0_4arch9wavefront6targetE0EEEvSZ_.private_seg_size, 0
	.set _ZN7rocprim17ROCPRIM_400000_NS6detail17trampoline_kernelINS0_13select_configILj256ELj13ELNS0_17block_load_methodE3ELS4_3ELS4_3ELNS0_20block_scan_algorithmE0ELj4294967295EEENS1_25partition_config_selectorILNS1_17partition_subalgoE4EjNS0_10empty_typeEbEEZZNS1_14partition_implILS8_4ELb0ES6_15HIP_vector_typeIjLj2EENS0_17counting_iteratorIjlEEPS9_SG_NS0_5tupleIJPjSI_NS0_16reverse_iteratorISI_EEEEENSH_IJSG_SG_SG_EEES9_SI_JZNS1_25segmented_radix_sort_implINS0_14default_configELb1EPKlPlSQ_SR_N2at6native12_GLOBAL__N_18offset_tEEE10hipError_tPvRmT1_PNSt15iterator_traitsISZ_E10value_typeET2_T3_PNS10_IS15_E10value_typeET4_jRbjT5_S1B_jjP12ihipStream_tbEUljE_ZNSN_ISO_Lb1ESQ_SR_SQ_SR_SV_EESW_SX_SY_SZ_S13_S14_S15_S18_S19_jS1A_jS1B_S1B_jjS1D_bEUljE0_EEESW_SX_SY_S15_S19_S1B_T6_T7_T9_mT8_S1D_bDpT10_ENKUlT_T0_E_clISt17integral_constantIbLb0EES1R_EEDaS1M_S1N_EUlS1M_E_NS1_11comp_targetILNS1_3genE3ELNS1_11target_archE908ELNS1_3gpuE7ELNS1_3repE0EEENS1_30default_config_static_selectorELNS0_4arch9wavefront6targetE0EEEvSZ_.uses_vcc, 0
	.set _ZN7rocprim17ROCPRIM_400000_NS6detail17trampoline_kernelINS0_13select_configILj256ELj13ELNS0_17block_load_methodE3ELS4_3ELS4_3ELNS0_20block_scan_algorithmE0ELj4294967295EEENS1_25partition_config_selectorILNS1_17partition_subalgoE4EjNS0_10empty_typeEbEEZZNS1_14partition_implILS8_4ELb0ES6_15HIP_vector_typeIjLj2EENS0_17counting_iteratorIjlEEPS9_SG_NS0_5tupleIJPjSI_NS0_16reverse_iteratorISI_EEEEENSH_IJSG_SG_SG_EEES9_SI_JZNS1_25segmented_radix_sort_implINS0_14default_configELb1EPKlPlSQ_SR_N2at6native12_GLOBAL__N_18offset_tEEE10hipError_tPvRmT1_PNSt15iterator_traitsISZ_E10value_typeET2_T3_PNS10_IS15_E10value_typeET4_jRbjT5_S1B_jjP12ihipStream_tbEUljE_ZNSN_ISO_Lb1ESQ_SR_SQ_SR_SV_EESW_SX_SY_SZ_S13_S14_S15_S18_S19_jS1A_jS1B_S1B_jjS1D_bEUljE0_EEESW_SX_SY_S15_S19_S1B_T6_T7_T9_mT8_S1D_bDpT10_ENKUlT_T0_E_clISt17integral_constantIbLb0EES1R_EEDaS1M_S1N_EUlS1M_E_NS1_11comp_targetILNS1_3genE3ELNS1_11target_archE908ELNS1_3gpuE7ELNS1_3repE0EEENS1_30default_config_static_selectorELNS0_4arch9wavefront6targetE0EEEvSZ_.uses_flat_scratch, 0
	.set _ZN7rocprim17ROCPRIM_400000_NS6detail17trampoline_kernelINS0_13select_configILj256ELj13ELNS0_17block_load_methodE3ELS4_3ELS4_3ELNS0_20block_scan_algorithmE0ELj4294967295EEENS1_25partition_config_selectorILNS1_17partition_subalgoE4EjNS0_10empty_typeEbEEZZNS1_14partition_implILS8_4ELb0ES6_15HIP_vector_typeIjLj2EENS0_17counting_iteratorIjlEEPS9_SG_NS0_5tupleIJPjSI_NS0_16reverse_iteratorISI_EEEEENSH_IJSG_SG_SG_EEES9_SI_JZNS1_25segmented_radix_sort_implINS0_14default_configELb1EPKlPlSQ_SR_N2at6native12_GLOBAL__N_18offset_tEEE10hipError_tPvRmT1_PNSt15iterator_traitsISZ_E10value_typeET2_T3_PNS10_IS15_E10value_typeET4_jRbjT5_S1B_jjP12ihipStream_tbEUljE_ZNSN_ISO_Lb1ESQ_SR_SQ_SR_SV_EESW_SX_SY_SZ_S13_S14_S15_S18_S19_jS1A_jS1B_S1B_jjS1D_bEUljE0_EEESW_SX_SY_S15_S19_S1B_T6_T7_T9_mT8_S1D_bDpT10_ENKUlT_T0_E_clISt17integral_constantIbLb0EES1R_EEDaS1M_S1N_EUlS1M_E_NS1_11comp_targetILNS1_3genE3ELNS1_11target_archE908ELNS1_3gpuE7ELNS1_3repE0EEENS1_30default_config_static_selectorELNS0_4arch9wavefront6targetE0EEEvSZ_.has_dyn_sized_stack, 0
	.set _ZN7rocprim17ROCPRIM_400000_NS6detail17trampoline_kernelINS0_13select_configILj256ELj13ELNS0_17block_load_methodE3ELS4_3ELS4_3ELNS0_20block_scan_algorithmE0ELj4294967295EEENS1_25partition_config_selectorILNS1_17partition_subalgoE4EjNS0_10empty_typeEbEEZZNS1_14partition_implILS8_4ELb0ES6_15HIP_vector_typeIjLj2EENS0_17counting_iteratorIjlEEPS9_SG_NS0_5tupleIJPjSI_NS0_16reverse_iteratorISI_EEEEENSH_IJSG_SG_SG_EEES9_SI_JZNS1_25segmented_radix_sort_implINS0_14default_configELb1EPKlPlSQ_SR_N2at6native12_GLOBAL__N_18offset_tEEE10hipError_tPvRmT1_PNSt15iterator_traitsISZ_E10value_typeET2_T3_PNS10_IS15_E10value_typeET4_jRbjT5_S1B_jjP12ihipStream_tbEUljE_ZNSN_ISO_Lb1ESQ_SR_SQ_SR_SV_EESW_SX_SY_SZ_S13_S14_S15_S18_S19_jS1A_jS1B_S1B_jjS1D_bEUljE0_EEESW_SX_SY_S15_S19_S1B_T6_T7_T9_mT8_S1D_bDpT10_ENKUlT_T0_E_clISt17integral_constantIbLb0EES1R_EEDaS1M_S1N_EUlS1M_E_NS1_11comp_targetILNS1_3genE3ELNS1_11target_archE908ELNS1_3gpuE7ELNS1_3repE0EEENS1_30default_config_static_selectorELNS0_4arch9wavefront6targetE0EEEvSZ_.has_recursion, 0
	.set _ZN7rocprim17ROCPRIM_400000_NS6detail17trampoline_kernelINS0_13select_configILj256ELj13ELNS0_17block_load_methodE3ELS4_3ELS4_3ELNS0_20block_scan_algorithmE0ELj4294967295EEENS1_25partition_config_selectorILNS1_17partition_subalgoE4EjNS0_10empty_typeEbEEZZNS1_14partition_implILS8_4ELb0ES6_15HIP_vector_typeIjLj2EENS0_17counting_iteratorIjlEEPS9_SG_NS0_5tupleIJPjSI_NS0_16reverse_iteratorISI_EEEEENSH_IJSG_SG_SG_EEES9_SI_JZNS1_25segmented_radix_sort_implINS0_14default_configELb1EPKlPlSQ_SR_N2at6native12_GLOBAL__N_18offset_tEEE10hipError_tPvRmT1_PNSt15iterator_traitsISZ_E10value_typeET2_T3_PNS10_IS15_E10value_typeET4_jRbjT5_S1B_jjP12ihipStream_tbEUljE_ZNSN_ISO_Lb1ESQ_SR_SQ_SR_SV_EESW_SX_SY_SZ_S13_S14_S15_S18_S19_jS1A_jS1B_S1B_jjS1D_bEUljE0_EEESW_SX_SY_S15_S19_S1B_T6_T7_T9_mT8_S1D_bDpT10_ENKUlT_T0_E_clISt17integral_constantIbLb0EES1R_EEDaS1M_S1N_EUlS1M_E_NS1_11comp_targetILNS1_3genE3ELNS1_11target_archE908ELNS1_3gpuE7ELNS1_3repE0EEENS1_30default_config_static_selectorELNS0_4arch9wavefront6targetE0EEEvSZ_.has_indirect_call, 0
	.section	.AMDGPU.csdata,"",@progbits
; Kernel info:
; codeLenInByte = 0
; TotalNumSgprs: 0
; NumVgprs: 0
; ScratchSize: 0
; MemoryBound: 0
; FloatMode: 240
; IeeeMode: 1
; LDSByteSize: 0 bytes/workgroup (compile time only)
; SGPRBlocks: 0
; VGPRBlocks: 0
; NumSGPRsForWavesPerEU: 1
; NumVGPRsForWavesPerEU: 1
; Occupancy: 16
; WaveLimiterHint : 0
; COMPUTE_PGM_RSRC2:SCRATCH_EN: 0
; COMPUTE_PGM_RSRC2:USER_SGPR: 6
; COMPUTE_PGM_RSRC2:TRAP_HANDLER: 0
; COMPUTE_PGM_RSRC2:TGID_X_EN: 1
; COMPUTE_PGM_RSRC2:TGID_Y_EN: 0
; COMPUTE_PGM_RSRC2:TGID_Z_EN: 0
; COMPUTE_PGM_RSRC2:TIDIG_COMP_CNT: 0
	.section	.text._ZN7rocprim17ROCPRIM_400000_NS6detail17trampoline_kernelINS0_13select_configILj256ELj13ELNS0_17block_load_methodE3ELS4_3ELS4_3ELNS0_20block_scan_algorithmE0ELj4294967295EEENS1_25partition_config_selectorILNS1_17partition_subalgoE4EjNS0_10empty_typeEbEEZZNS1_14partition_implILS8_4ELb0ES6_15HIP_vector_typeIjLj2EENS0_17counting_iteratorIjlEEPS9_SG_NS0_5tupleIJPjSI_NS0_16reverse_iteratorISI_EEEEENSH_IJSG_SG_SG_EEES9_SI_JZNS1_25segmented_radix_sort_implINS0_14default_configELb1EPKlPlSQ_SR_N2at6native12_GLOBAL__N_18offset_tEEE10hipError_tPvRmT1_PNSt15iterator_traitsISZ_E10value_typeET2_T3_PNS10_IS15_E10value_typeET4_jRbjT5_S1B_jjP12ihipStream_tbEUljE_ZNSN_ISO_Lb1ESQ_SR_SQ_SR_SV_EESW_SX_SY_SZ_S13_S14_S15_S18_S19_jS1A_jS1B_S1B_jjS1D_bEUljE0_EEESW_SX_SY_S15_S19_S1B_T6_T7_T9_mT8_S1D_bDpT10_ENKUlT_T0_E_clISt17integral_constantIbLb0EES1R_EEDaS1M_S1N_EUlS1M_E_NS1_11comp_targetILNS1_3genE2ELNS1_11target_archE906ELNS1_3gpuE6ELNS1_3repE0EEENS1_30default_config_static_selectorELNS0_4arch9wavefront6targetE0EEEvSZ_,"axG",@progbits,_ZN7rocprim17ROCPRIM_400000_NS6detail17trampoline_kernelINS0_13select_configILj256ELj13ELNS0_17block_load_methodE3ELS4_3ELS4_3ELNS0_20block_scan_algorithmE0ELj4294967295EEENS1_25partition_config_selectorILNS1_17partition_subalgoE4EjNS0_10empty_typeEbEEZZNS1_14partition_implILS8_4ELb0ES6_15HIP_vector_typeIjLj2EENS0_17counting_iteratorIjlEEPS9_SG_NS0_5tupleIJPjSI_NS0_16reverse_iteratorISI_EEEEENSH_IJSG_SG_SG_EEES9_SI_JZNS1_25segmented_radix_sort_implINS0_14default_configELb1EPKlPlSQ_SR_N2at6native12_GLOBAL__N_18offset_tEEE10hipError_tPvRmT1_PNSt15iterator_traitsISZ_E10value_typeET2_T3_PNS10_IS15_E10value_typeET4_jRbjT5_S1B_jjP12ihipStream_tbEUljE_ZNSN_ISO_Lb1ESQ_SR_SQ_SR_SV_EESW_SX_SY_SZ_S13_S14_S15_S18_S19_jS1A_jS1B_S1B_jjS1D_bEUljE0_EEESW_SX_SY_S15_S19_S1B_T6_T7_T9_mT8_S1D_bDpT10_ENKUlT_T0_E_clISt17integral_constantIbLb0EES1R_EEDaS1M_S1N_EUlS1M_E_NS1_11comp_targetILNS1_3genE2ELNS1_11target_archE906ELNS1_3gpuE6ELNS1_3repE0EEENS1_30default_config_static_selectorELNS0_4arch9wavefront6targetE0EEEvSZ_,comdat
	.globl	_ZN7rocprim17ROCPRIM_400000_NS6detail17trampoline_kernelINS0_13select_configILj256ELj13ELNS0_17block_load_methodE3ELS4_3ELS4_3ELNS0_20block_scan_algorithmE0ELj4294967295EEENS1_25partition_config_selectorILNS1_17partition_subalgoE4EjNS0_10empty_typeEbEEZZNS1_14partition_implILS8_4ELb0ES6_15HIP_vector_typeIjLj2EENS0_17counting_iteratorIjlEEPS9_SG_NS0_5tupleIJPjSI_NS0_16reverse_iteratorISI_EEEEENSH_IJSG_SG_SG_EEES9_SI_JZNS1_25segmented_radix_sort_implINS0_14default_configELb1EPKlPlSQ_SR_N2at6native12_GLOBAL__N_18offset_tEEE10hipError_tPvRmT1_PNSt15iterator_traitsISZ_E10value_typeET2_T3_PNS10_IS15_E10value_typeET4_jRbjT5_S1B_jjP12ihipStream_tbEUljE_ZNSN_ISO_Lb1ESQ_SR_SQ_SR_SV_EESW_SX_SY_SZ_S13_S14_S15_S18_S19_jS1A_jS1B_S1B_jjS1D_bEUljE0_EEESW_SX_SY_S15_S19_S1B_T6_T7_T9_mT8_S1D_bDpT10_ENKUlT_T0_E_clISt17integral_constantIbLb0EES1R_EEDaS1M_S1N_EUlS1M_E_NS1_11comp_targetILNS1_3genE2ELNS1_11target_archE906ELNS1_3gpuE6ELNS1_3repE0EEENS1_30default_config_static_selectorELNS0_4arch9wavefront6targetE0EEEvSZ_ ; -- Begin function _ZN7rocprim17ROCPRIM_400000_NS6detail17trampoline_kernelINS0_13select_configILj256ELj13ELNS0_17block_load_methodE3ELS4_3ELS4_3ELNS0_20block_scan_algorithmE0ELj4294967295EEENS1_25partition_config_selectorILNS1_17partition_subalgoE4EjNS0_10empty_typeEbEEZZNS1_14partition_implILS8_4ELb0ES6_15HIP_vector_typeIjLj2EENS0_17counting_iteratorIjlEEPS9_SG_NS0_5tupleIJPjSI_NS0_16reverse_iteratorISI_EEEEENSH_IJSG_SG_SG_EEES9_SI_JZNS1_25segmented_radix_sort_implINS0_14default_configELb1EPKlPlSQ_SR_N2at6native12_GLOBAL__N_18offset_tEEE10hipError_tPvRmT1_PNSt15iterator_traitsISZ_E10value_typeET2_T3_PNS10_IS15_E10value_typeET4_jRbjT5_S1B_jjP12ihipStream_tbEUljE_ZNSN_ISO_Lb1ESQ_SR_SQ_SR_SV_EESW_SX_SY_SZ_S13_S14_S15_S18_S19_jS1A_jS1B_S1B_jjS1D_bEUljE0_EEESW_SX_SY_S15_S19_S1B_T6_T7_T9_mT8_S1D_bDpT10_ENKUlT_T0_E_clISt17integral_constantIbLb0EES1R_EEDaS1M_S1N_EUlS1M_E_NS1_11comp_targetILNS1_3genE2ELNS1_11target_archE906ELNS1_3gpuE6ELNS1_3repE0EEENS1_30default_config_static_selectorELNS0_4arch9wavefront6targetE0EEEvSZ_
	.p2align	8
	.type	_ZN7rocprim17ROCPRIM_400000_NS6detail17trampoline_kernelINS0_13select_configILj256ELj13ELNS0_17block_load_methodE3ELS4_3ELS4_3ELNS0_20block_scan_algorithmE0ELj4294967295EEENS1_25partition_config_selectorILNS1_17partition_subalgoE4EjNS0_10empty_typeEbEEZZNS1_14partition_implILS8_4ELb0ES6_15HIP_vector_typeIjLj2EENS0_17counting_iteratorIjlEEPS9_SG_NS0_5tupleIJPjSI_NS0_16reverse_iteratorISI_EEEEENSH_IJSG_SG_SG_EEES9_SI_JZNS1_25segmented_radix_sort_implINS0_14default_configELb1EPKlPlSQ_SR_N2at6native12_GLOBAL__N_18offset_tEEE10hipError_tPvRmT1_PNSt15iterator_traitsISZ_E10value_typeET2_T3_PNS10_IS15_E10value_typeET4_jRbjT5_S1B_jjP12ihipStream_tbEUljE_ZNSN_ISO_Lb1ESQ_SR_SQ_SR_SV_EESW_SX_SY_SZ_S13_S14_S15_S18_S19_jS1A_jS1B_S1B_jjS1D_bEUljE0_EEESW_SX_SY_S15_S19_S1B_T6_T7_T9_mT8_S1D_bDpT10_ENKUlT_T0_E_clISt17integral_constantIbLb0EES1R_EEDaS1M_S1N_EUlS1M_E_NS1_11comp_targetILNS1_3genE2ELNS1_11target_archE906ELNS1_3gpuE6ELNS1_3repE0EEENS1_30default_config_static_selectorELNS0_4arch9wavefront6targetE0EEEvSZ_,@function
_ZN7rocprim17ROCPRIM_400000_NS6detail17trampoline_kernelINS0_13select_configILj256ELj13ELNS0_17block_load_methodE3ELS4_3ELS4_3ELNS0_20block_scan_algorithmE0ELj4294967295EEENS1_25partition_config_selectorILNS1_17partition_subalgoE4EjNS0_10empty_typeEbEEZZNS1_14partition_implILS8_4ELb0ES6_15HIP_vector_typeIjLj2EENS0_17counting_iteratorIjlEEPS9_SG_NS0_5tupleIJPjSI_NS0_16reverse_iteratorISI_EEEEENSH_IJSG_SG_SG_EEES9_SI_JZNS1_25segmented_radix_sort_implINS0_14default_configELb1EPKlPlSQ_SR_N2at6native12_GLOBAL__N_18offset_tEEE10hipError_tPvRmT1_PNSt15iterator_traitsISZ_E10value_typeET2_T3_PNS10_IS15_E10value_typeET4_jRbjT5_S1B_jjP12ihipStream_tbEUljE_ZNSN_ISO_Lb1ESQ_SR_SQ_SR_SV_EESW_SX_SY_SZ_S13_S14_S15_S18_S19_jS1A_jS1B_S1B_jjS1D_bEUljE0_EEESW_SX_SY_S15_S19_S1B_T6_T7_T9_mT8_S1D_bDpT10_ENKUlT_T0_E_clISt17integral_constantIbLb0EES1R_EEDaS1M_S1N_EUlS1M_E_NS1_11comp_targetILNS1_3genE2ELNS1_11target_archE906ELNS1_3gpuE6ELNS1_3repE0EEENS1_30default_config_static_selectorELNS0_4arch9wavefront6targetE0EEEvSZ_: ; @_ZN7rocprim17ROCPRIM_400000_NS6detail17trampoline_kernelINS0_13select_configILj256ELj13ELNS0_17block_load_methodE3ELS4_3ELS4_3ELNS0_20block_scan_algorithmE0ELj4294967295EEENS1_25partition_config_selectorILNS1_17partition_subalgoE4EjNS0_10empty_typeEbEEZZNS1_14partition_implILS8_4ELb0ES6_15HIP_vector_typeIjLj2EENS0_17counting_iteratorIjlEEPS9_SG_NS0_5tupleIJPjSI_NS0_16reverse_iteratorISI_EEEEENSH_IJSG_SG_SG_EEES9_SI_JZNS1_25segmented_radix_sort_implINS0_14default_configELb1EPKlPlSQ_SR_N2at6native12_GLOBAL__N_18offset_tEEE10hipError_tPvRmT1_PNSt15iterator_traitsISZ_E10value_typeET2_T3_PNS10_IS15_E10value_typeET4_jRbjT5_S1B_jjP12ihipStream_tbEUljE_ZNSN_ISO_Lb1ESQ_SR_SQ_SR_SV_EESW_SX_SY_SZ_S13_S14_S15_S18_S19_jS1A_jS1B_S1B_jjS1D_bEUljE0_EEESW_SX_SY_S15_S19_S1B_T6_T7_T9_mT8_S1D_bDpT10_ENKUlT_T0_E_clISt17integral_constantIbLb0EES1R_EEDaS1M_S1N_EUlS1M_E_NS1_11comp_targetILNS1_3genE2ELNS1_11target_archE906ELNS1_3gpuE6ELNS1_3repE0EEENS1_30default_config_static_selectorELNS0_4arch9wavefront6targetE0EEEvSZ_
; %bb.0:
	.section	.rodata,"a",@progbits
	.p2align	6, 0x0
	.amdhsa_kernel _ZN7rocprim17ROCPRIM_400000_NS6detail17trampoline_kernelINS0_13select_configILj256ELj13ELNS0_17block_load_methodE3ELS4_3ELS4_3ELNS0_20block_scan_algorithmE0ELj4294967295EEENS1_25partition_config_selectorILNS1_17partition_subalgoE4EjNS0_10empty_typeEbEEZZNS1_14partition_implILS8_4ELb0ES6_15HIP_vector_typeIjLj2EENS0_17counting_iteratorIjlEEPS9_SG_NS0_5tupleIJPjSI_NS0_16reverse_iteratorISI_EEEEENSH_IJSG_SG_SG_EEES9_SI_JZNS1_25segmented_radix_sort_implINS0_14default_configELb1EPKlPlSQ_SR_N2at6native12_GLOBAL__N_18offset_tEEE10hipError_tPvRmT1_PNSt15iterator_traitsISZ_E10value_typeET2_T3_PNS10_IS15_E10value_typeET4_jRbjT5_S1B_jjP12ihipStream_tbEUljE_ZNSN_ISO_Lb1ESQ_SR_SQ_SR_SV_EESW_SX_SY_SZ_S13_S14_S15_S18_S19_jS1A_jS1B_S1B_jjS1D_bEUljE0_EEESW_SX_SY_S15_S19_S1B_T6_T7_T9_mT8_S1D_bDpT10_ENKUlT_T0_E_clISt17integral_constantIbLb0EES1R_EEDaS1M_S1N_EUlS1M_E_NS1_11comp_targetILNS1_3genE2ELNS1_11target_archE906ELNS1_3gpuE6ELNS1_3repE0EEENS1_30default_config_static_selectorELNS0_4arch9wavefront6targetE0EEEvSZ_
		.amdhsa_group_segment_fixed_size 0
		.amdhsa_private_segment_fixed_size 0
		.amdhsa_kernarg_size 176
		.amdhsa_user_sgpr_count 6
		.amdhsa_user_sgpr_private_segment_buffer 1
		.amdhsa_user_sgpr_dispatch_ptr 0
		.amdhsa_user_sgpr_queue_ptr 0
		.amdhsa_user_sgpr_kernarg_segment_ptr 1
		.amdhsa_user_sgpr_dispatch_id 0
		.amdhsa_user_sgpr_flat_scratch_init 0
		.amdhsa_user_sgpr_private_segment_size 0
		.amdhsa_wavefront_size32 1
		.amdhsa_uses_dynamic_stack 0
		.amdhsa_system_sgpr_private_segment_wavefront_offset 0
		.amdhsa_system_sgpr_workgroup_id_x 1
		.amdhsa_system_sgpr_workgroup_id_y 0
		.amdhsa_system_sgpr_workgroup_id_z 0
		.amdhsa_system_sgpr_workgroup_info 0
		.amdhsa_system_vgpr_workitem_id 0
		.amdhsa_next_free_vgpr 1
		.amdhsa_next_free_sgpr 1
		.amdhsa_reserve_vcc 0
		.amdhsa_reserve_flat_scratch 0
		.amdhsa_float_round_mode_32 0
		.amdhsa_float_round_mode_16_64 0
		.amdhsa_float_denorm_mode_32 3
		.amdhsa_float_denorm_mode_16_64 3
		.amdhsa_dx10_clamp 1
		.amdhsa_ieee_mode 1
		.amdhsa_fp16_overflow 0
		.amdhsa_workgroup_processor_mode 1
		.amdhsa_memory_ordered 1
		.amdhsa_forward_progress 1
		.amdhsa_shared_vgpr_count 0
		.amdhsa_exception_fp_ieee_invalid_op 0
		.amdhsa_exception_fp_denorm_src 0
		.amdhsa_exception_fp_ieee_div_zero 0
		.amdhsa_exception_fp_ieee_overflow 0
		.amdhsa_exception_fp_ieee_underflow 0
		.amdhsa_exception_fp_ieee_inexact 0
		.amdhsa_exception_int_div_zero 0
	.end_amdhsa_kernel
	.section	.text._ZN7rocprim17ROCPRIM_400000_NS6detail17trampoline_kernelINS0_13select_configILj256ELj13ELNS0_17block_load_methodE3ELS4_3ELS4_3ELNS0_20block_scan_algorithmE0ELj4294967295EEENS1_25partition_config_selectorILNS1_17partition_subalgoE4EjNS0_10empty_typeEbEEZZNS1_14partition_implILS8_4ELb0ES6_15HIP_vector_typeIjLj2EENS0_17counting_iteratorIjlEEPS9_SG_NS0_5tupleIJPjSI_NS0_16reverse_iteratorISI_EEEEENSH_IJSG_SG_SG_EEES9_SI_JZNS1_25segmented_radix_sort_implINS0_14default_configELb1EPKlPlSQ_SR_N2at6native12_GLOBAL__N_18offset_tEEE10hipError_tPvRmT1_PNSt15iterator_traitsISZ_E10value_typeET2_T3_PNS10_IS15_E10value_typeET4_jRbjT5_S1B_jjP12ihipStream_tbEUljE_ZNSN_ISO_Lb1ESQ_SR_SQ_SR_SV_EESW_SX_SY_SZ_S13_S14_S15_S18_S19_jS1A_jS1B_S1B_jjS1D_bEUljE0_EEESW_SX_SY_S15_S19_S1B_T6_T7_T9_mT8_S1D_bDpT10_ENKUlT_T0_E_clISt17integral_constantIbLb0EES1R_EEDaS1M_S1N_EUlS1M_E_NS1_11comp_targetILNS1_3genE2ELNS1_11target_archE906ELNS1_3gpuE6ELNS1_3repE0EEENS1_30default_config_static_selectorELNS0_4arch9wavefront6targetE0EEEvSZ_,"axG",@progbits,_ZN7rocprim17ROCPRIM_400000_NS6detail17trampoline_kernelINS0_13select_configILj256ELj13ELNS0_17block_load_methodE3ELS4_3ELS4_3ELNS0_20block_scan_algorithmE0ELj4294967295EEENS1_25partition_config_selectorILNS1_17partition_subalgoE4EjNS0_10empty_typeEbEEZZNS1_14partition_implILS8_4ELb0ES6_15HIP_vector_typeIjLj2EENS0_17counting_iteratorIjlEEPS9_SG_NS0_5tupleIJPjSI_NS0_16reverse_iteratorISI_EEEEENSH_IJSG_SG_SG_EEES9_SI_JZNS1_25segmented_radix_sort_implINS0_14default_configELb1EPKlPlSQ_SR_N2at6native12_GLOBAL__N_18offset_tEEE10hipError_tPvRmT1_PNSt15iterator_traitsISZ_E10value_typeET2_T3_PNS10_IS15_E10value_typeET4_jRbjT5_S1B_jjP12ihipStream_tbEUljE_ZNSN_ISO_Lb1ESQ_SR_SQ_SR_SV_EESW_SX_SY_SZ_S13_S14_S15_S18_S19_jS1A_jS1B_S1B_jjS1D_bEUljE0_EEESW_SX_SY_S15_S19_S1B_T6_T7_T9_mT8_S1D_bDpT10_ENKUlT_T0_E_clISt17integral_constantIbLb0EES1R_EEDaS1M_S1N_EUlS1M_E_NS1_11comp_targetILNS1_3genE2ELNS1_11target_archE906ELNS1_3gpuE6ELNS1_3repE0EEENS1_30default_config_static_selectorELNS0_4arch9wavefront6targetE0EEEvSZ_,comdat
.Lfunc_end638:
	.size	_ZN7rocprim17ROCPRIM_400000_NS6detail17trampoline_kernelINS0_13select_configILj256ELj13ELNS0_17block_load_methodE3ELS4_3ELS4_3ELNS0_20block_scan_algorithmE0ELj4294967295EEENS1_25partition_config_selectorILNS1_17partition_subalgoE4EjNS0_10empty_typeEbEEZZNS1_14partition_implILS8_4ELb0ES6_15HIP_vector_typeIjLj2EENS0_17counting_iteratorIjlEEPS9_SG_NS0_5tupleIJPjSI_NS0_16reverse_iteratorISI_EEEEENSH_IJSG_SG_SG_EEES9_SI_JZNS1_25segmented_radix_sort_implINS0_14default_configELb1EPKlPlSQ_SR_N2at6native12_GLOBAL__N_18offset_tEEE10hipError_tPvRmT1_PNSt15iterator_traitsISZ_E10value_typeET2_T3_PNS10_IS15_E10value_typeET4_jRbjT5_S1B_jjP12ihipStream_tbEUljE_ZNSN_ISO_Lb1ESQ_SR_SQ_SR_SV_EESW_SX_SY_SZ_S13_S14_S15_S18_S19_jS1A_jS1B_S1B_jjS1D_bEUljE0_EEESW_SX_SY_S15_S19_S1B_T6_T7_T9_mT8_S1D_bDpT10_ENKUlT_T0_E_clISt17integral_constantIbLb0EES1R_EEDaS1M_S1N_EUlS1M_E_NS1_11comp_targetILNS1_3genE2ELNS1_11target_archE906ELNS1_3gpuE6ELNS1_3repE0EEENS1_30default_config_static_selectorELNS0_4arch9wavefront6targetE0EEEvSZ_, .Lfunc_end638-_ZN7rocprim17ROCPRIM_400000_NS6detail17trampoline_kernelINS0_13select_configILj256ELj13ELNS0_17block_load_methodE3ELS4_3ELS4_3ELNS0_20block_scan_algorithmE0ELj4294967295EEENS1_25partition_config_selectorILNS1_17partition_subalgoE4EjNS0_10empty_typeEbEEZZNS1_14partition_implILS8_4ELb0ES6_15HIP_vector_typeIjLj2EENS0_17counting_iteratorIjlEEPS9_SG_NS0_5tupleIJPjSI_NS0_16reverse_iteratorISI_EEEEENSH_IJSG_SG_SG_EEES9_SI_JZNS1_25segmented_radix_sort_implINS0_14default_configELb1EPKlPlSQ_SR_N2at6native12_GLOBAL__N_18offset_tEEE10hipError_tPvRmT1_PNSt15iterator_traitsISZ_E10value_typeET2_T3_PNS10_IS15_E10value_typeET4_jRbjT5_S1B_jjP12ihipStream_tbEUljE_ZNSN_ISO_Lb1ESQ_SR_SQ_SR_SV_EESW_SX_SY_SZ_S13_S14_S15_S18_S19_jS1A_jS1B_S1B_jjS1D_bEUljE0_EEESW_SX_SY_S15_S19_S1B_T6_T7_T9_mT8_S1D_bDpT10_ENKUlT_T0_E_clISt17integral_constantIbLb0EES1R_EEDaS1M_S1N_EUlS1M_E_NS1_11comp_targetILNS1_3genE2ELNS1_11target_archE906ELNS1_3gpuE6ELNS1_3repE0EEENS1_30default_config_static_selectorELNS0_4arch9wavefront6targetE0EEEvSZ_
                                        ; -- End function
	.set _ZN7rocprim17ROCPRIM_400000_NS6detail17trampoline_kernelINS0_13select_configILj256ELj13ELNS0_17block_load_methodE3ELS4_3ELS4_3ELNS0_20block_scan_algorithmE0ELj4294967295EEENS1_25partition_config_selectorILNS1_17partition_subalgoE4EjNS0_10empty_typeEbEEZZNS1_14partition_implILS8_4ELb0ES6_15HIP_vector_typeIjLj2EENS0_17counting_iteratorIjlEEPS9_SG_NS0_5tupleIJPjSI_NS0_16reverse_iteratorISI_EEEEENSH_IJSG_SG_SG_EEES9_SI_JZNS1_25segmented_radix_sort_implINS0_14default_configELb1EPKlPlSQ_SR_N2at6native12_GLOBAL__N_18offset_tEEE10hipError_tPvRmT1_PNSt15iterator_traitsISZ_E10value_typeET2_T3_PNS10_IS15_E10value_typeET4_jRbjT5_S1B_jjP12ihipStream_tbEUljE_ZNSN_ISO_Lb1ESQ_SR_SQ_SR_SV_EESW_SX_SY_SZ_S13_S14_S15_S18_S19_jS1A_jS1B_S1B_jjS1D_bEUljE0_EEESW_SX_SY_S15_S19_S1B_T6_T7_T9_mT8_S1D_bDpT10_ENKUlT_T0_E_clISt17integral_constantIbLb0EES1R_EEDaS1M_S1N_EUlS1M_E_NS1_11comp_targetILNS1_3genE2ELNS1_11target_archE906ELNS1_3gpuE6ELNS1_3repE0EEENS1_30default_config_static_selectorELNS0_4arch9wavefront6targetE0EEEvSZ_.num_vgpr, 0
	.set _ZN7rocprim17ROCPRIM_400000_NS6detail17trampoline_kernelINS0_13select_configILj256ELj13ELNS0_17block_load_methodE3ELS4_3ELS4_3ELNS0_20block_scan_algorithmE0ELj4294967295EEENS1_25partition_config_selectorILNS1_17partition_subalgoE4EjNS0_10empty_typeEbEEZZNS1_14partition_implILS8_4ELb0ES6_15HIP_vector_typeIjLj2EENS0_17counting_iteratorIjlEEPS9_SG_NS0_5tupleIJPjSI_NS0_16reverse_iteratorISI_EEEEENSH_IJSG_SG_SG_EEES9_SI_JZNS1_25segmented_radix_sort_implINS0_14default_configELb1EPKlPlSQ_SR_N2at6native12_GLOBAL__N_18offset_tEEE10hipError_tPvRmT1_PNSt15iterator_traitsISZ_E10value_typeET2_T3_PNS10_IS15_E10value_typeET4_jRbjT5_S1B_jjP12ihipStream_tbEUljE_ZNSN_ISO_Lb1ESQ_SR_SQ_SR_SV_EESW_SX_SY_SZ_S13_S14_S15_S18_S19_jS1A_jS1B_S1B_jjS1D_bEUljE0_EEESW_SX_SY_S15_S19_S1B_T6_T7_T9_mT8_S1D_bDpT10_ENKUlT_T0_E_clISt17integral_constantIbLb0EES1R_EEDaS1M_S1N_EUlS1M_E_NS1_11comp_targetILNS1_3genE2ELNS1_11target_archE906ELNS1_3gpuE6ELNS1_3repE0EEENS1_30default_config_static_selectorELNS0_4arch9wavefront6targetE0EEEvSZ_.num_agpr, 0
	.set _ZN7rocprim17ROCPRIM_400000_NS6detail17trampoline_kernelINS0_13select_configILj256ELj13ELNS0_17block_load_methodE3ELS4_3ELS4_3ELNS0_20block_scan_algorithmE0ELj4294967295EEENS1_25partition_config_selectorILNS1_17partition_subalgoE4EjNS0_10empty_typeEbEEZZNS1_14partition_implILS8_4ELb0ES6_15HIP_vector_typeIjLj2EENS0_17counting_iteratorIjlEEPS9_SG_NS0_5tupleIJPjSI_NS0_16reverse_iteratorISI_EEEEENSH_IJSG_SG_SG_EEES9_SI_JZNS1_25segmented_radix_sort_implINS0_14default_configELb1EPKlPlSQ_SR_N2at6native12_GLOBAL__N_18offset_tEEE10hipError_tPvRmT1_PNSt15iterator_traitsISZ_E10value_typeET2_T3_PNS10_IS15_E10value_typeET4_jRbjT5_S1B_jjP12ihipStream_tbEUljE_ZNSN_ISO_Lb1ESQ_SR_SQ_SR_SV_EESW_SX_SY_SZ_S13_S14_S15_S18_S19_jS1A_jS1B_S1B_jjS1D_bEUljE0_EEESW_SX_SY_S15_S19_S1B_T6_T7_T9_mT8_S1D_bDpT10_ENKUlT_T0_E_clISt17integral_constantIbLb0EES1R_EEDaS1M_S1N_EUlS1M_E_NS1_11comp_targetILNS1_3genE2ELNS1_11target_archE906ELNS1_3gpuE6ELNS1_3repE0EEENS1_30default_config_static_selectorELNS0_4arch9wavefront6targetE0EEEvSZ_.numbered_sgpr, 0
	.set _ZN7rocprim17ROCPRIM_400000_NS6detail17trampoline_kernelINS0_13select_configILj256ELj13ELNS0_17block_load_methodE3ELS4_3ELS4_3ELNS0_20block_scan_algorithmE0ELj4294967295EEENS1_25partition_config_selectorILNS1_17partition_subalgoE4EjNS0_10empty_typeEbEEZZNS1_14partition_implILS8_4ELb0ES6_15HIP_vector_typeIjLj2EENS0_17counting_iteratorIjlEEPS9_SG_NS0_5tupleIJPjSI_NS0_16reverse_iteratorISI_EEEEENSH_IJSG_SG_SG_EEES9_SI_JZNS1_25segmented_radix_sort_implINS0_14default_configELb1EPKlPlSQ_SR_N2at6native12_GLOBAL__N_18offset_tEEE10hipError_tPvRmT1_PNSt15iterator_traitsISZ_E10value_typeET2_T3_PNS10_IS15_E10value_typeET4_jRbjT5_S1B_jjP12ihipStream_tbEUljE_ZNSN_ISO_Lb1ESQ_SR_SQ_SR_SV_EESW_SX_SY_SZ_S13_S14_S15_S18_S19_jS1A_jS1B_S1B_jjS1D_bEUljE0_EEESW_SX_SY_S15_S19_S1B_T6_T7_T9_mT8_S1D_bDpT10_ENKUlT_T0_E_clISt17integral_constantIbLb0EES1R_EEDaS1M_S1N_EUlS1M_E_NS1_11comp_targetILNS1_3genE2ELNS1_11target_archE906ELNS1_3gpuE6ELNS1_3repE0EEENS1_30default_config_static_selectorELNS0_4arch9wavefront6targetE0EEEvSZ_.num_named_barrier, 0
	.set _ZN7rocprim17ROCPRIM_400000_NS6detail17trampoline_kernelINS0_13select_configILj256ELj13ELNS0_17block_load_methodE3ELS4_3ELS4_3ELNS0_20block_scan_algorithmE0ELj4294967295EEENS1_25partition_config_selectorILNS1_17partition_subalgoE4EjNS0_10empty_typeEbEEZZNS1_14partition_implILS8_4ELb0ES6_15HIP_vector_typeIjLj2EENS0_17counting_iteratorIjlEEPS9_SG_NS0_5tupleIJPjSI_NS0_16reverse_iteratorISI_EEEEENSH_IJSG_SG_SG_EEES9_SI_JZNS1_25segmented_radix_sort_implINS0_14default_configELb1EPKlPlSQ_SR_N2at6native12_GLOBAL__N_18offset_tEEE10hipError_tPvRmT1_PNSt15iterator_traitsISZ_E10value_typeET2_T3_PNS10_IS15_E10value_typeET4_jRbjT5_S1B_jjP12ihipStream_tbEUljE_ZNSN_ISO_Lb1ESQ_SR_SQ_SR_SV_EESW_SX_SY_SZ_S13_S14_S15_S18_S19_jS1A_jS1B_S1B_jjS1D_bEUljE0_EEESW_SX_SY_S15_S19_S1B_T6_T7_T9_mT8_S1D_bDpT10_ENKUlT_T0_E_clISt17integral_constantIbLb0EES1R_EEDaS1M_S1N_EUlS1M_E_NS1_11comp_targetILNS1_3genE2ELNS1_11target_archE906ELNS1_3gpuE6ELNS1_3repE0EEENS1_30default_config_static_selectorELNS0_4arch9wavefront6targetE0EEEvSZ_.private_seg_size, 0
	.set _ZN7rocprim17ROCPRIM_400000_NS6detail17trampoline_kernelINS0_13select_configILj256ELj13ELNS0_17block_load_methodE3ELS4_3ELS4_3ELNS0_20block_scan_algorithmE0ELj4294967295EEENS1_25partition_config_selectorILNS1_17partition_subalgoE4EjNS0_10empty_typeEbEEZZNS1_14partition_implILS8_4ELb0ES6_15HIP_vector_typeIjLj2EENS0_17counting_iteratorIjlEEPS9_SG_NS0_5tupleIJPjSI_NS0_16reverse_iteratorISI_EEEEENSH_IJSG_SG_SG_EEES9_SI_JZNS1_25segmented_radix_sort_implINS0_14default_configELb1EPKlPlSQ_SR_N2at6native12_GLOBAL__N_18offset_tEEE10hipError_tPvRmT1_PNSt15iterator_traitsISZ_E10value_typeET2_T3_PNS10_IS15_E10value_typeET4_jRbjT5_S1B_jjP12ihipStream_tbEUljE_ZNSN_ISO_Lb1ESQ_SR_SQ_SR_SV_EESW_SX_SY_SZ_S13_S14_S15_S18_S19_jS1A_jS1B_S1B_jjS1D_bEUljE0_EEESW_SX_SY_S15_S19_S1B_T6_T7_T9_mT8_S1D_bDpT10_ENKUlT_T0_E_clISt17integral_constantIbLb0EES1R_EEDaS1M_S1N_EUlS1M_E_NS1_11comp_targetILNS1_3genE2ELNS1_11target_archE906ELNS1_3gpuE6ELNS1_3repE0EEENS1_30default_config_static_selectorELNS0_4arch9wavefront6targetE0EEEvSZ_.uses_vcc, 0
	.set _ZN7rocprim17ROCPRIM_400000_NS6detail17trampoline_kernelINS0_13select_configILj256ELj13ELNS0_17block_load_methodE3ELS4_3ELS4_3ELNS0_20block_scan_algorithmE0ELj4294967295EEENS1_25partition_config_selectorILNS1_17partition_subalgoE4EjNS0_10empty_typeEbEEZZNS1_14partition_implILS8_4ELb0ES6_15HIP_vector_typeIjLj2EENS0_17counting_iteratorIjlEEPS9_SG_NS0_5tupleIJPjSI_NS0_16reverse_iteratorISI_EEEEENSH_IJSG_SG_SG_EEES9_SI_JZNS1_25segmented_radix_sort_implINS0_14default_configELb1EPKlPlSQ_SR_N2at6native12_GLOBAL__N_18offset_tEEE10hipError_tPvRmT1_PNSt15iterator_traitsISZ_E10value_typeET2_T3_PNS10_IS15_E10value_typeET4_jRbjT5_S1B_jjP12ihipStream_tbEUljE_ZNSN_ISO_Lb1ESQ_SR_SQ_SR_SV_EESW_SX_SY_SZ_S13_S14_S15_S18_S19_jS1A_jS1B_S1B_jjS1D_bEUljE0_EEESW_SX_SY_S15_S19_S1B_T6_T7_T9_mT8_S1D_bDpT10_ENKUlT_T0_E_clISt17integral_constantIbLb0EES1R_EEDaS1M_S1N_EUlS1M_E_NS1_11comp_targetILNS1_3genE2ELNS1_11target_archE906ELNS1_3gpuE6ELNS1_3repE0EEENS1_30default_config_static_selectorELNS0_4arch9wavefront6targetE0EEEvSZ_.uses_flat_scratch, 0
	.set _ZN7rocprim17ROCPRIM_400000_NS6detail17trampoline_kernelINS0_13select_configILj256ELj13ELNS0_17block_load_methodE3ELS4_3ELS4_3ELNS0_20block_scan_algorithmE0ELj4294967295EEENS1_25partition_config_selectorILNS1_17partition_subalgoE4EjNS0_10empty_typeEbEEZZNS1_14partition_implILS8_4ELb0ES6_15HIP_vector_typeIjLj2EENS0_17counting_iteratorIjlEEPS9_SG_NS0_5tupleIJPjSI_NS0_16reverse_iteratorISI_EEEEENSH_IJSG_SG_SG_EEES9_SI_JZNS1_25segmented_radix_sort_implINS0_14default_configELb1EPKlPlSQ_SR_N2at6native12_GLOBAL__N_18offset_tEEE10hipError_tPvRmT1_PNSt15iterator_traitsISZ_E10value_typeET2_T3_PNS10_IS15_E10value_typeET4_jRbjT5_S1B_jjP12ihipStream_tbEUljE_ZNSN_ISO_Lb1ESQ_SR_SQ_SR_SV_EESW_SX_SY_SZ_S13_S14_S15_S18_S19_jS1A_jS1B_S1B_jjS1D_bEUljE0_EEESW_SX_SY_S15_S19_S1B_T6_T7_T9_mT8_S1D_bDpT10_ENKUlT_T0_E_clISt17integral_constantIbLb0EES1R_EEDaS1M_S1N_EUlS1M_E_NS1_11comp_targetILNS1_3genE2ELNS1_11target_archE906ELNS1_3gpuE6ELNS1_3repE0EEENS1_30default_config_static_selectorELNS0_4arch9wavefront6targetE0EEEvSZ_.has_dyn_sized_stack, 0
	.set _ZN7rocprim17ROCPRIM_400000_NS6detail17trampoline_kernelINS0_13select_configILj256ELj13ELNS0_17block_load_methodE3ELS4_3ELS4_3ELNS0_20block_scan_algorithmE0ELj4294967295EEENS1_25partition_config_selectorILNS1_17partition_subalgoE4EjNS0_10empty_typeEbEEZZNS1_14partition_implILS8_4ELb0ES6_15HIP_vector_typeIjLj2EENS0_17counting_iteratorIjlEEPS9_SG_NS0_5tupleIJPjSI_NS0_16reverse_iteratorISI_EEEEENSH_IJSG_SG_SG_EEES9_SI_JZNS1_25segmented_radix_sort_implINS0_14default_configELb1EPKlPlSQ_SR_N2at6native12_GLOBAL__N_18offset_tEEE10hipError_tPvRmT1_PNSt15iterator_traitsISZ_E10value_typeET2_T3_PNS10_IS15_E10value_typeET4_jRbjT5_S1B_jjP12ihipStream_tbEUljE_ZNSN_ISO_Lb1ESQ_SR_SQ_SR_SV_EESW_SX_SY_SZ_S13_S14_S15_S18_S19_jS1A_jS1B_S1B_jjS1D_bEUljE0_EEESW_SX_SY_S15_S19_S1B_T6_T7_T9_mT8_S1D_bDpT10_ENKUlT_T0_E_clISt17integral_constantIbLb0EES1R_EEDaS1M_S1N_EUlS1M_E_NS1_11comp_targetILNS1_3genE2ELNS1_11target_archE906ELNS1_3gpuE6ELNS1_3repE0EEENS1_30default_config_static_selectorELNS0_4arch9wavefront6targetE0EEEvSZ_.has_recursion, 0
	.set _ZN7rocprim17ROCPRIM_400000_NS6detail17trampoline_kernelINS0_13select_configILj256ELj13ELNS0_17block_load_methodE3ELS4_3ELS4_3ELNS0_20block_scan_algorithmE0ELj4294967295EEENS1_25partition_config_selectorILNS1_17partition_subalgoE4EjNS0_10empty_typeEbEEZZNS1_14partition_implILS8_4ELb0ES6_15HIP_vector_typeIjLj2EENS0_17counting_iteratorIjlEEPS9_SG_NS0_5tupleIJPjSI_NS0_16reverse_iteratorISI_EEEEENSH_IJSG_SG_SG_EEES9_SI_JZNS1_25segmented_radix_sort_implINS0_14default_configELb1EPKlPlSQ_SR_N2at6native12_GLOBAL__N_18offset_tEEE10hipError_tPvRmT1_PNSt15iterator_traitsISZ_E10value_typeET2_T3_PNS10_IS15_E10value_typeET4_jRbjT5_S1B_jjP12ihipStream_tbEUljE_ZNSN_ISO_Lb1ESQ_SR_SQ_SR_SV_EESW_SX_SY_SZ_S13_S14_S15_S18_S19_jS1A_jS1B_S1B_jjS1D_bEUljE0_EEESW_SX_SY_S15_S19_S1B_T6_T7_T9_mT8_S1D_bDpT10_ENKUlT_T0_E_clISt17integral_constantIbLb0EES1R_EEDaS1M_S1N_EUlS1M_E_NS1_11comp_targetILNS1_3genE2ELNS1_11target_archE906ELNS1_3gpuE6ELNS1_3repE0EEENS1_30default_config_static_selectorELNS0_4arch9wavefront6targetE0EEEvSZ_.has_indirect_call, 0
	.section	.AMDGPU.csdata,"",@progbits
; Kernel info:
; codeLenInByte = 0
; TotalNumSgprs: 0
; NumVgprs: 0
; ScratchSize: 0
; MemoryBound: 0
; FloatMode: 240
; IeeeMode: 1
; LDSByteSize: 0 bytes/workgroup (compile time only)
; SGPRBlocks: 0
; VGPRBlocks: 0
; NumSGPRsForWavesPerEU: 1
; NumVGPRsForWavesPerEU: 1
; Occupancy: 16
; WaveLimiterHint : 0
; COMPUTE_PGM_RSRC2:SCRATCH_EN: 0
; COMPUTE_PGM_RSRC2:USER_SGPR: 6
; COMPUTE_PGM_RSRC2:TRAP_HANDLER: 0
; COMPUTE_PGM_RSRC2:TGID_X_EN: 1
; COMPUTE_PGM_RSRC2:TGID_Y_EN: 0
; COMPUTE_PGM_RSRC2:TGID_Z_EN: 0
; COMPUTE_PGM_RSRC2:TIDIG_COMP_CNT: 0
	.section	.text._ZN7rocprim17ROCPRIM_400000_NS6detail17trampoline_kernelINS0_13select_configILj256ELj13ELNS0_17block_load_methodE3ELS4_3ELS4_3ELNS0_20block_scan_algorithmE0ELj4294967295EEENS1_25partition_config_selectorILNS1_17partition_subalgoE4EjNS0_10empty_typeEbEEZZNS1_14partition_implILS8_4ELb0ES6_15HIP_vector_typeIjLj2EENS0_17counting_iteratorIjlEEPS9_SG_NS0_5tupleIJPjSI_NS0_16reverse_iteratorISI_EEEEENSH_IJSG_SG_SG_EEES9_SI_JZNS1_25segmented_radix_sort_implINS0_14default_configELb1EPKlPlSQ_SR_N2at6native12_GLOBAL__N_18offset_tEEE10hipError_tPvRmT1_PNSt15iterator_traitsISZ_E10value_typeET2_T3_PNS10_IS15_E10value_typeET4_jRbjT5_S1B_jjP12ihipStream_tbEUljE_ZNSN_ISO_Lb1ESQ_SR_SQ_SR_SV_EESW_SX_SY_SZ_S13_S14_S15_S18_S19_jS1A_jS1B_S1B_jjS1D_bEUljE0_EEESW_SX_SY_S15_S19_S1B_T6_T7_T9_mT8_S1D_bDpT10_ENKUlT_T0_E_clISt17integral_constantIbLb0EES1R_EEDaS1M_S1N_EUlS1M_E_NS1_11comp_targetILNS1_3genE10ELNS1_11target_archE1200ELNS1_3gpuE4ELNS1_3repE0EEENS1_30default_config_static_selectorELNS0_4arch9wavefront6targetE0EEEvSZ_,"axG",@progbits,_ZN7rocprim17ROCPRIM_400000_NS6detail17trampoline_kernelINS0_13select_configILj256ELj13ELNS0_17block_load_methodE3ELS4_3ELS4_3ELNS0_20block_scan_algorithmE0ELj4294967295EEENS1_25partition_config_selectorILNS1_17partition_subalgoE4EjNS0_10empty_typeEbEEZZNS1_14partition_implILS8_4ELb0ES6_15HIP_vector_typeIjLj2EENS0_17counting_iteratorIjlEEPS9_SG_NS0_5tupleIJPjSI_NS0_16reverse_iteratorISI_EEEEENSH_IJSG_SG_SG_EEES9_SI_JZNS1_25segmented_radix_sort_implINS0_14default_configELb1EPKlPlSQ_SR_N2at6native12_GLOBAL__N_18offset_tEEE10hipError_tPvRmT1_PNSt15iterator_traitsISZ_E10value_typeET2_T3_PNS10_IS15_E10value_typeET4_jRbjT5_S1B_jjP12ihipStream_tbEUljE_ZNSN_ISO_Lb1ESQ_SR_SQ_SR_SV_EESW_SX_SY_SZ_S13_S14_S15_S18_S19_jS1A_jS1B_S1B_jjS1D_bEUljE0_EEESW_SX_SY_S15_S19_S1B_T6_T7_T9_mT8_S1D_bDpT10_ENKUlT_T0_E_clISt17integral_constantIbLb0EES1R_EEDaS1M_S1N_EUlS1M_E_NS1_11comp_targetILNS1_3genE10ELNS1_11target_archE1200ELNS1_3gpuE4ELNS1_3repE0EEENS1_30default_config_static_selectorELNS0_4arch9wavefront6targetE0EEEvSZ_,comdat
	.globl	_ZN7rocprim17ROCPRIM_400000_NS6detail17trampoline_kernelINS0_13select_configILj256ELj13ELNS0_17block_load_methodE3ELS4_3ELS4_3ELNS0_20block_scan_algorithmE0ELj4294967295EEENS1_25partition_config_selectorILNS1_17partition_subalgoE4EjNS0_10empty_typeEbEEZZNS1_14partition_implILS8_4ELb0ES6_15HIP_vector_typeIjLj2EENS0_17counting_iteratorIjlEEPS9_SG_NS0_5tupleIJPjSI_NS0_16reverse_iteratorISI_EEEEENSH_IJSG_SG_SG_EEES9_SI_JZNS1_25segmented_radix_sort_implINS0_14default_configELb1EPKlPlSQ_SR_N2at6native12_GLOBAL__N_18offset_tEEE10hipError_tPvRmT1_PNSt15iterator_traitsISZ_E10value_typeET2_T3_PNS10_IS15_E10value_typeET4_jRbjT5_S1B_jjP12ihipStream_tbEUljE_ZNSN_ISO_Lb1ESQ_SR_SQ_SR_SV_EESW_SX_SY_SZ_S13_S14_S15_S18_S19_jS1A_jS1B_S1B_jjS1D_bEUljE0_EEESW_SX_SY_S15_S19_S1B_T6_T7_T9_mT8_S1D_bDpT10_ENKUlT_T0_E_clISt17integral_constantIbLb0EES1R_EEDaS1M_S1N_EUlS1M_E_NS1_11comp_targetILNS1_3genE10ELNS1_11target_archE1200ELNS1_3gpuE4ELNS1_3repE0EEENS1_30default_config_static_selectorELNS0_4arch9wavefront6targetE0EEEvSZ_ ; -- Begin function _ZN7rocprim17ROCPRIM_400000_NS6detail17trampoline_kernelINS0_13select_configILj256ELj13ELNS0_17block_load_methodE3ELS4_3ELS4_3ELNS0_20block_scan_algorithmE0ELj4294967295EEENS1_25partition_config_selectorILNS1_17partition_subalgoE4EjNS0_10empty_typeEbEEZZNS1_14partition_implILS8_4ELb0ES6_15HIP_vector_typeIjLj2EENS0_17counting_iteratorIjlEEPS9_SG_NS0_5tupleIJPjSI_NS0_16reverse_iteratorISI_EEEEENSH_IJSG_SG_SG_EEES9_SI_JZNS1_25segmented_radix_sort_implINS0_14default_configELb1EPKlPlSQ_SR_N2at6native12_GLOBAL__N_18offset_tEEE10hipError_tPvRmT1_PNSt15iterator_traitsISZ_E10value_typeET2_T3_PNS10_IS15_E10value_typeET4_jRbjT5_S1B_jjP12ihipStream_tbEUljE_ZNSN_ISO_Lb1ESQ_SR_SQ_SR_SV_EESW_SX_SY_SZ_S13_S14_S15_S18_S19_jS1A_jS1B_S1B_jjS1D_bEUljE0_EEESW_SX_SY_S15_S19_S1B_T6_T7_T9_mT8_S1D_bDpT10_ENKUlT_T0_E_clISt17integral_constantIbLb0EES1R_EEDaS1M_S1N_EUlS1M_E_NS1_11comp_targetILNS1_3genE10ELNS1_11target_archE1200ELNS1_3gpuE4ELNS1_3repE0EEENS1_30default_config_static_selectorELNS0_4arch9wavefront6targetE0EEEvSZ_
	.p2align	8
	.type	_ZN7rocprim17ROCPRIM_400000_NS6detail17trampoline_kernelINS0_13select_configILj256ELj13ELNS0_17block_load_methodE3ELS4_3ELS4_3ELNS0_20block_scan_algorithmE0ELj4294967295EEENS1_25partition_config_selectorILNS1_17partition_subalgoE4EjNS0_10empty_typeEbEEZZNS1_14partition_implILS8_4ELb0ES6_15HIP_vector_typeIjLj2EENS0_17counting_iteratorIjlEEPS9_SG_NS0_5tupleIJPjSI_NS0_16reverse_iteratorISI_EEEEENSH_IJSG_SG_SG_EEES9_SI_JZNS1_25segmented_radix_sort_implINS0_14default_configELb1EPKlPlSQ_SR_N2at6native12_GLOBAL__N_18offset_tEEE10hipError_tPvRmT1_PNSt15iterator_traitsISZ_E10value_typeET2_T3_PNS10_IS15_E10value_typeET4_jRbjT5_S1B_jjP12ihipStream_tbEUljE_ZNSN_ISO_Lb1ESQ_SR_SQ_SR_SV_EESW_SX_SY_SZ_S13_S14_S15_S18_S19_jS1A_jS1B_S1B_jjS1D_bEUljE0_EEESW_SX_SY_S15_S19_S1B_T6_T7_T9_mT8_S1D_bDpT10_ENKUlT_T0_E_clISt17integral_constantIbLb0EES1R_EEDaS1M_S1N_EUlS1M_E_NS1_11comp_targetILNS1_3genE10ELNS1_11target_archE1200ELNS1_3gpuE4ELNS1_3repE0EEENS1_30default_config_static_selectorELNS0_4arch9wavefront6targetE0EEEvSZ_,@function
_ZN7rocprim17ROCPRIM_400000_NS6detail17trampoline_kernelINS0_13select_configILj256ELj13ELNS0_17block_load_methodE3ELS4_3ELS4_3ELNS0_20block_scan_algorithmE0ELj4294967295EEENS1_25partition_config_selectorILNS1_17partition_subalgoE4EjNS0_10empty_typeEbEEZZNS1_14partition_implILS8_4ELb0ES6_15HIP_vector_typeIjLj2EENS0_17counting_iteratorIjlEEPS9_SG_NS0_5tupleIJPjSI_NS0_16reverse_iteratorISI_EEEEENSH_IJSG_SG_SG_EEES9_SI_JZNS1_25segmented_radix_sort_implINS0_14default_configELb1EPKlPlSQ_SR_N2at6native12_GLOBAL__N_18offset_tEEE10hipError_tPvRmT1_PNSt15iterator_traitsISZ_E10value_typeET2_T3_PNS10_IS15_E10value_typeET4_jRbjT5_S1B_jjP12ihipStream_tbEUljE_ZNSN_ISO_Lb1ESQ_SR_SQ_SR_SV_EESW_SX_SY_SZ_S13_S14_S15_S18_S19_jS1A_jS1B_S1B_jjS1D_bEUljE0_EEESW_SX_SY_S15_S19_S1B_T6_T7_T9_mT8_S1D_bDpT10_ENKUlT_T0_E_clISt17integral_constantIbLb0EES1R_EEDaS1M_S1N_EUlS1M_E_NS1_11comp_targetILNS1_3genE10ELNS1_11target_archE1200ELNS1_3gpuE4ELNS1_3repE0EEENS1_30default_config_static_selectorELNS0_4arch9wavefront6targetE0EEEvSZ_: ; @_ZN7rocprim17ROCPRIM_400000_NS6detail17trampoline_kernelINS0_13select_configILj256ELj13ELNS0_17block_load_methodE3ELS4_3ELS4_3ELNS0_20block_scan_algorithmE0ELj4294967295EEENS1_25partition_config_selectorILNS1_17partition_subalgoE4EjNS0_10empty_typeEbEEZZNS1_14partition_implILS8_4ELb0ES6_15HIP_vector_typeIjLj2EENS0_17counting_iteratorIjlEEPS9_SG_NS0_5tupleIJPjSI_NS0_16reverse_iteratorISI_EEEEENSH_IJSG_SG_SG_EEES9_SI_JZNS1_25segmented_radix_sort_implINS0_14default_configELb1EPKlPlSQ_SR_N2at6native12_GLOBAL__N_18offset_tEEE10hipError_tPvRmT1_PNSt15iterator_traitsISZ_E10value_typeET2_T3_PNS10_IS15_E10value_typeET4_jRbjT5_S1B_jjP12ihipStream_tbEUljE_ZNSN_ISO_Lb1ESQ_SR_SQ_SR_SV_EESW_SX_SY_SZ_S13_S14_S15_S18_S19_jS1A_jS1B_S1B_jjS1D_bEUljE0_EEESW_SX_SY_S15_S19_S1B_T6_T7_T9_mT8_S1D_bDpT10_ENKUlT_T0_E_clISt17integral_constantIbLb0EES1R_EEDaS1M_S1N_EUlS1M_E_NS1_11comp_targetILNS1_3genE10ELNS1_11target_archE1200ELNS1_3gpuE4ELNS1_3repE0EEENS1_30default_config_static_selectorELNS0_4arch9wavefront6targetE0EEEvSZ_
; %bb.0:
	.section	.rodata,"a",@progbits
	.p2align	6, 0x0
	.amdhsa_kernel _ZN7rocprim17ROCPRIM_400000_NS6detail17trampoline_kernelINS0_13select_configILj256ELj13ELNS0_17block_load_methodE3ELS4_3ELS4_3ELNS0_20block_scan_algorithmE0ELj4294967295EEENS1_25partition_config_selectorILNS1_17partition_subalgoE4EjNS0_10empty_typeEbEEZZNS1_14partition_implILS8_4ELb0ES6_15HIP_vector_typeIjLj2EENS0_17counting_iteratorIjlEEPS9_SG_NS0_5tupleIJPjSI_NS0_16reverse_iteratorISI_EEEEENSH_IJSG_SG_SG_EEES9_SI_JZNS1_25segmented_radix_sort_implINS0_14default_configELb1EPKlPlSQ_SR_N2at6native12_GLOBAL__N_18offset_tEEE10hipError_tPvRmT1_PNSt15iterator_traitsISZ_E10value_typeET2_T3_PNS10_IS15_E10value_typeET4_jRbjT5_S1B_jjP12ihipStream_tbEUljE_ZNSN_ISO_Lb1ESQ_SR_SQ_SR_SV_EESW_SX_SY_SZ_S13_S14_S15_S18_S19_jS1A_jS1B_S1B_jjS1D_bEUljE0_EEESW_SX_SY_S15_S19_S1B_T6_T7_T9_mT8_S1D_bDpT10_ENKUlT_T0_E_clISt17integral_constantIbLb0EES1R_EEDaS1M_S1N_EUlS1M_E_NS1_11comp_targetILNS1_3genE10ELNS1_11target_archE1200ELNS1_3gpuE4ELNS1_3repE0EEENS1_30default_config_static_selectorELNS0_4arch9wavefront6targetE0EEEvSZ_
		.amdhsa_group_segment_fixed_size 0
		.amdhsa_private_segment_fixed_size 0
		.amdhsa_kernarg_size 176
		.amdhsa_user_sgpr_count 6
		.amdhsa_user_sgpr_private_segment_buffer 1
		.amdhsa_user_sgpr_dispatch_ptr 0
		.amdhsa_user_sgpr_queue_ptr 0
		.amdhsa_user_sgpr_kernarg_segment_ptr 1
		.amdhsa_user_sgpr_dispatch_id 0
		.amdhsa_user_sgpr_flat_scratch_init 0
		.amdhsa_user_sgpr_private_segment_size 0
		.amdhsa_wavefront_size32 1
		.amdhsa_uses_dynamic_stack 0
		.amdhsa_system_sgpr_private_segment_wavefront_offset 0
		.amdhsa_system_sgpr_workgroup_id_x 1
		.amdhsa_system_sgpr_workgroup_id_y 0
		.amdhsa_system_sgpr_workgroup_id_z 0
		.amdhsa_system_sgpr_workgroup_info 0
		.amdhsa_system_vgpr_workitem_id 0
		.amdhsa_next_free_vgpr 1
		.amdhsa_next_free_sgpr 1
		.amdhsa_reserve_vcc 0
		.amdhsa_reserve_flat_scratch 0
		.amdhsa_float_round_mode_32 0
		.amdhsa_float_round_mode_16_64 0
		.amdhsa_float_denorm_mode_32 3
		.amdhsa_float_denorm_mode_16_64 3
		.amdhsa_dx10_clamp 1
		.amdhsa_ieee_mode 1
		.amdhsa_fp16_overflow 0
		.amdhsa_workgroup_processor_mode 1
		.amdhsa_memory_ordered 1
		.amdhsa_forward_progress 1
		.amdhsa_shared_vgpr_count 0
		.amdhsa_exception_fp_ieee_invalid_op 0
		.amdhsa_exception_fp_denorm_src 0
		.amdhsa_exception_fp_ieee_div_zero 0
		.amdhsa_exception_fp_ieee_overflow 0
		.amdhsa_exception_fp_ieee_underflow 0
		.amdhsa_exception_fp_ieee_inexact 0
		.amdhsa_exception_int_div_zero 0
	.end_amdhsa_kernel
	.section	.text._ZN7rocprim17ROCPRIM_400000_NS6detail17trampoline_kernelINS0_13select_configILj256ELj13ELNS0_17block_load_methodE3ELS4_3ELS4_3ELNS0_20block_scan_algorithmE0ELj4294967295EEENS1_25partition_config_selectorILNS1_17partition_subalgoE4EjNS0_10empty_typeEbEEZZNS1_14partition_implILS8_4ELb0ES6_15HIP_vector_typeIjLj2EENS0_17counting_iteratorIjlEEPS9_SG_NS0_5tupleIJPjSI_NS0_16reverse_iteratorISI_EEEEENSH_IJSG_SG_SG_EEES9_SI_JZNS1_25segmented_radix_sort_implINS0_14default_configELb1EPKlPlSQ_SR_N2at6native12_GLOBAL__N_18offset_tEEE10hipError_tPvRmT1_PNSt15iterator_traitsISZ_E10value_typeET2_T3_PNS10_IS15_E10value_typeET4_jRbjT5_S1B_jjP12ihipStream_tbEUljE_ZNSN_ISO_Lb1ESQ_SR_SQ_SR_SV_EESW_SX_SY_SZ_S13_S14_S15_S18_S19_jS1A_jS1B_S1B_jjS1D_bEUljE0_EEESW_SX_SY_S15_S19_S1B_T6_T7_T9_mT8_S1D_bDpT10_ENKUlT_T0_E_clISt17integral_constantIbLb0EES1R_EEDaS1M_S1N_EUlS1M_E_NS1_11comp_targetILNS1_3genE10ELNS1_11target_archE1200ELNS1_3gpuE4ELNS1_3repE0EEENS1_30default_config_static_selectorELNS0_4arch9wavefront6targetE0EEEvSZ_,"axG",@progbits,_ZN7rocprim17ROCPRIM_400000_NS6detail17trampoline_kernelINS0_13select_configILj256ELj13ELNS0_17block_load_methodE3ELS4_3ELS4_3ELNS0_20block_scan_algorithmE0ELj4294967295EEENS1_25partition_config_selectorILNS1_17partition_subalgoE4EjNS0_10empty_typeEbEEZZNS1_14partition_implILS8_4ELb0ES6_15HIP_vector_typeIjLj2EENS0_17counting_iteratorIjlEEPS9_SG_NS0_5tupleIJPjSI_NS0_16reverse_iteratorISI_EEEEENSH_IJSG_SG_SG_EEES9_SI_JZNS1_25segmented_radix_sort_implINS0_14default_configELb1EPKlPlSQ_SR_N2at6native12_GLOBAL__N_18offset_tEEE10hipError_tPvRmT1_PNSt15iterator_traitsISZ_E10value_typeET2_T3_PNS10_IS15_E10value_typeET4_jRbjT5_S1B_jjP12ihipStream_tbEUljE_ZNSN_ISO_Lb1ESQ_SR_SQ_SR_SV_EESW_SX_SY_SZ_S13_S14_S15_S18_S19_jS1A_jS1B_S1B_jjS1D_bEUljE0_EEESW_SX_SY_S15_S19_S1B_T6_T7_T9_mT8_S1D_bDpT10_ENKUlT_T0_E_clISt17integral_constantIbLb0EES1R_EEDaS1M_S1N_EUlS1M_E_NS1_11comp_targetILNS1_3genE10ELNS1_11target_archE1200ELNS1_3gpuE4ELNS1_3repE0EEENS1_30default_config_static_selectorELNS0_4arch9wavefront6targetE0EEEvSZ_,comdat
.Lfunc_end639:
	.size	_ZN7rocprim17ROCPRIM_400000_NS6detail17trampoline_kernelINS0_13select_configILj256ELj13ELNS0_17block_load_methodE3ELS4_3ELS4_3ELNS0_20block_scan_algorithmE0ELj4294967295EEENS1_25partition_config_selectorILNS1_17partition_subalgoE4EjNS0_10empty_typeEbEEZZNS1_14partition_implILS8_4ELb0ES6_15HIP_vector_typeIjLj2EENS0_17counting_iteratorIjlEEPS9_SG_NS0_5tupleIJPjSI_NS0_16reverse_iteratorISI_EEEEENSH_IJSG_SG_SG_EEES9_SI_JZNS1_25segmented_radix_sort_implINS0_14default_configELb1EPKlPlSQ_SR_N2at6native12_GLOBAL__N_18offset_tEEE10hipError_tPvRmT1_PNSt15iterator_traitsISZ_E10value_typeET2_T3_PNS10_IS15_E10value_typeET4_jRbjT5_S1B_jjP12ihipStream_tbEUljE_ZNSN_ISO_Lb1ESQ_SR_SQ_SR_SV_EESW_SX_SY_SZ_S13_S14_S15_S18_S19_jS1A_jS1B_S1B_jjS1D_bEUljE0_EEESW_SX_SY_S15_S19_S1B_T6_T7_T9_mT8_S1D_bDpT10_ENKUlT_T0_E_clISt17integral_constantIbLb0EES1R_EEDaS1M_S1N_EUlS1M_E_NS1_11comp_targetILNS1_3genE10ELNS1_11target_archE1200ELNS1_3gpuE4ELNS1_3repE0EEENS1_30default_config_static_selectorELNS0_4arch9wavefront6targetE0EEEvSZ_, .Lfunc_end639-_ZN7rocprim17ROCPRIM_400000_NS6detail17trampoline_kernelINS0_13select_configILj256ELj13ELNS0_17block_load_methodE3ELS4_3ELS4_3ELNS0_20block_scan_algorithmE0ELj4294967295EEENS1_25partition_config_selectorILNS1_17partition_subalgoE4EjNS0_10empty_typeEbEEZZNS1_14partition_implILS8_4ELb0ES6_15HIP_vector_typeIjLj2EENS0_17counting_iteratorIjlEEPS9_SG_NS0_5tupleIJPjSI_NS0_16reverse_iteratorISI_EEEEENSH_IJSG_SG_SG_EEES9_SI_JZNS1_25segmented_radix_sort_implINS0_14default_configELb1EPKlPlSQ_SR_N2at6native12_GLOBAL__N_18offset_tEEE10hipError_tPvRmT1_PNSt15iterator_traitsISZ_E10value_typeET2_T3_PNS10_IS15_E10value_typeET4_jRbjT5_S1B_jjP12ihipStream_tbEUljE_ZNSN_ISO_Lb1ESQ_SR_SQ_SR_SV_EESW_SX_SY_SZ_S13_S14_S15_S18_S19_jS1A_jS1B_S1B_jjS1D_bEUljE0_EEESW_SX_SY_S15_S19_S1B_T6_T7_T9_mT8_S1D_bDpT10_ENKUlT_T0_E_clISt17integral_constantIbLb0EES1R_EEDaS1M_S1N_EUlS1M_E_NS1_11comp_targetILNS1_3genE10ELNS1_11target_archE1200ELNS1_3gpuE4ELNS1_3repE0EEENS1_30default_config_static_selectorELNS0_4arch9wavefront6targetE0EEEvSZ_
                                        ; -- End function
	.set _ZN7rocprim17ROCPRIM_400000_NS6detail17trampoline_kernelINS0_13select_configILj256ELj13ELNS0_17block_load_methodE3ELS4_3ELS4_3ELNS0_20block_scan_algorithmE0ELj4294967295EEENS1_25partition_config_selectorILNS1_17partition_subalgoE4EjNS0_10empty_typeEbEEZZNS1_14partition_implILS8_4ELb0ES6_15HIP_vector_typeIjLj2EENS0_17counting_iteratorIjlEEPS9_SG_NS0_5tupleIJPjSI_NS0_16reverse_iteratorISI_EEEEENSH_IJSG_SG_SG_EEES9_SI_JZNS1_25segmented_radix_sort_implINS0_14default_configELb1EPKlPlSQ_SR_N2at6native12_GLOBAL__N_18offset_tEEE10hipError_tPvRmT1_PNSt15iterator_traitsISZ_E10value_typeET2_T3_PNS10_IS15_E10value_typeET4_jRbjT5_S1B_jjP12ihipStream_tbEUljE_ZNSN_ISO_Lb1ESQ_SR_SQ_SR_SV_EESW_SX_SY_SZ_S13_S14_S15_S18_S19_jS1A_jS1B_S1B_jjS1D_bEUljE0_EEESW_SX_SY_S15_S19_S1B_T6_T7_T9_mT8_S1D_bDpT10_ENKUlT_T0_E_clISt17integral_constantIbLb0EES1R_EEDaS1M_S1N_EUlS1M_E_NS1_11comp_targetILNS1_3genE10ELNS1_11target_archE1200ELNS1_3gpuE4ELNS1_3repE0EEENS1_30default_config_static_selectorELNS0_4arch9wavefront6targetE0EEEvSZ_.num_vgpr, 0
	.set _ZN7rocprim17ROCPRIM_400000_NS6detail17trampoline_kernelINS0_13select_configILj256ELj13ELNS0_17block_load_methodE3ELS4_3ELS4_3ELNS0_20block_scan_algorithmE0ELj4294967295EEENS1_25partition_config_selectorILNS1_17partition_subalgoE4EjNS0_10empty_typeEbEEZZNS1_14partition_implILS8_4ELb0ES6_15HIP_vector_typeIjLj2EENS0_17counting_iteratorIjlEEPS9_SG_NS0_5tupleIJPjSI_NS0_16reverse_iteratorISI_EEEEENSH_IJSG_SG_SG_EEES9_SI_JZNS1_25segmented_radix_sort_implINS0_14default_configELb1EPKlPlSQ_SR_N2at6native12_GLOBAL__N_18offset_tEEE10hipError_tPvRmT1_PNSt15iterator_traitsISZ_E10value_typeET2_T3_PNS10_IS15_E10value_typeET4_jRbjT5_S1B_jjP12ihipStream_tbEUljE_ZNSN_ISO_Lb1ESQ_SR_SQ_SR_SV_EESW_SX_SY_SZ_S13_S14_S15_S18_S19_jS1A_jS1B_S1B_jjS1D_bEUljE0_EEESW_SX_SY_S15_S19_S1B_T6_T7_T9_mT8_S1D_bDpT10_ENKUlT_T0_E_clISt17integral_constantIbLb0EES1R_EEDaS1M_S1N_EUlS1M_E_NS1_11comp_targetILNS1_3genE10ELNS1_11target_archE1200ELNS1_3gpuE4ELNS1_3repE0EEENS1_30default_config_static_selectorELNS0_4arch9wavefront6targetE0EEEvSZ_.num_agpr, 0
	.set _ZN7rocprim17ROCPRIM_400000_NS6detail17trampoline_kernelINS0_13select_configILj256ELj13ELNS0_17block_load_methodE3ELS4_3ELS4_3ELNS0_20block_scan_algorithmE0ELj4294967295EEENS1_25partition_config_selectorILNS1_17partition_subalgoE4EjNS0_10empty_typeEbEEZZNS1_14partition_implILS8_4ELb0ES6_15HIP_vector_typeIjLj2EENS0_17counting_iteratorIjlEEPS9_SG_NS0_5tupleIJPjSI_NS0_16reverse_iteratorISI_EEEEENSH_IJSG_SG_SG_EEES9_SI_JZNS1_25segmented_radix_sort_implINS0_14default_configELb1EPKlPlSQ_SR_N2at6native12_GLOBAL__N_18offset_tEEE10hipError_tPvRmT1_PNSt15iterator_traitsISZ_E10value_typeET2_T3_PNS10_IS15_E10value_typeET4_jRbjT5_S1B_jjP12ihipStream_tbEUljE_ZNSN_ISO_Lb1ESQ_SR_SQ_SR_SV_EESW_SX_SY_SZ_S13_S14_S15_S18_S19_jS1A_jS1B_S1B_jjS1D_bEUljE0_EEESW_SX_SY_S15_S19_S1B_T6_T7_T9_mT8_S1D_bDpT10_ENKUlT_T0_E_clISt17integral_constantIbLb0EES1R_EEDaS1M_S1N_EUlS1M_E_NS1_11comp_targetILNS1_3genE10ELNS1_11target_archE1200ELNS1_3gpuE4ELNS1_3repE0EEENS1_30default_config_static_selectorELNS0_4arch9wavefront6targetE0EEEvSZ_.numbered_sgpr, 0
	.set _ZN7rocprim17ROCPRIM_400000_NS6detail17trampoline_kernelINS0_13select_configILj256ELj13ELNS0_17block_load_methodE3ELS4_3ELS4_3ELNS0_20block_scan_algorithmE0ELj4294967295EEENS1_25partition_config_selectorILNS1_17partition_subalgoE4EjNS0_10empty_typeEbEEZZNS1_14partition_implILS8_4ELb0ES6_15HIP_vector_typeIjLj2EENS0_17counting_iteratorIjlEEPS9_SG_NS0_5tupleIJPjSI_NS0_16reverse_iteratorISI_EEEEENSH_IJSG_SG_SG_EEES9_SI_JZNS1_25segmented_radix_sort_implINS0_14default_configELb1EPKlPlSQ_SR_N2at6native12_GLOBAL__N_18offset_tEEE10hipError_tPvRmT1_PNSt15iterator_traitsISZ_E10value_typeET2_T3_PNS10_IS15_E10value_typeET4_jRbjT5_S1B_jjP12ihipStream_tbEUljE_ZNSN_ISO_Lb1ESQ_SR_SQ_SR_SV_EESW_SX_SY_SZ_S13_S14_S15_S18_S19_jS1A_jS1B_S1B_jjS1D_bEUljE0_EEESW_SX_SY_S15_S19_S1B_T6_T7_T9_mT8_S1D_bDpT10_ENKUlT_T0_E_clISt17integral_constantIbLb0EES1R_EEDaS1M_S1N_EUlS1M_E_NS1_11comp_targetILNS1_3genE10ELNS1_11target_archE1200ELNS1_3gpuE4ELNS1_3repE0EEENS1_30default_config_static_selectorELNS0_4arch9wavefront6targetE0EEEvSZ_.num_named_barrier, 0
	.set _ZN7rocprim17ROCPRIM_400000_NS6detail17trampoline_kernelINS0_13select_configILj256ELj13ELNS0_17block_load_methodE3ELS4_3ELS4_3ELNS0_20block_scan_algorithmE0ELj4294967295EEENS1_25partition_config_selectorILNS1_17partition_subalgoE4EjNS0_10empty_typeEbEEZZNS1_14partition_implILS8_4ELb0ES6_15HIP_vector_typeIjLj2EENS0_17counting_iteratorIjlEEPS9_SG_NS0_5tupleIJPjSI_NS0_16reverse_iteratorISI_EEEEENSH_IJSG_SG_SG_EEES9_SI_JZNS1_25segmented_radix_sort_implINS0_14default_configELb1EPKlPlSQ_SR_N2at6native12_GLOBAL__N_18offset_tEEE10hipError_tPvRmT1_PNSt15iterator_traitsISZ_E10value_typeET2_T3_PNS10_IS15_E10value_typeET4_jRbjT5_S1B_jjP12ihipStream_tbEUljE_ZNSN_ISO_Lb1ESQ_SR_SQ_SR_SV_EESW_SX_SY_SZ_S13_S14_S15_S18_S19_jS1A_jS1B_S1B_jjS1D_bEUljE0_EEESW_SX_SY_S15_S19_S1B_T6_T7_T9_mT8_S1D_bDpT10_ENKUlT_T0_E_clISt17integral_constantIbLb0EES1R_EEDaS1M_S1N_EUlS1M_E_NS1_11comp_targetILNS1_3genE10ELNS1_11target_archE1200ELNS1_3gpuE4ELNS1_3repE0EEENS1_30default_config_static_selectorELNS0_4arch9wavefront6targetE0EEEvSZ_.private_seg_size, 0
	.set _ZN7rocprim17ROCPRIM_400000_NS6detail17trampoline_kernelINS0_13select_configILj256ELj13ELNS0_17block_load_methodE3ELS4_3ELS4_3ELNS0_20block_scan_algorithmE0ELj4294967295EEENS1_25partition_config_selectorILNS1_17partition_subalgoE4EjNS0_10empty_typeEbEEZZNS1_14partition_implILS8_4ELb0ES6_15HIP_vector_typeIjLj2EENS0_17counting_iteratorIjlEEPS9_SG_NS0_5tupleIJPjSI_NS0_16reverse_iteratorISI_EEEEENSH_IJSG_SG_SG_EEES9_SI_JZNS1_25segmented_radix_sort_implINS0_14default_configELb1EPKlPlSQ_SR_N2at6native12_GLOBAL__N_18offset_tEEE10hipError_tPvRmT1_PNSt15iterator_traitsISZ_E10value_typeET2_T3_PNS10_IS15_E10value_typeET4_jRbjT5_S1B_jjP12ihipStream_tbEUljE_ZNSN_ISO_Lb1ESQ_SR_SQ_SR_SV_EESW_SX_SY_SZ_S13_S14_S15_S18_S19_jS1A_jS1B_S1B_jjS1D_bEUljE0_EEESW_SX_SY_S15_S19_S1B_T6_T7_T9_mT8_S1D_bDpT10_ENKUlT_T0_E_clISt17integral_constantIbLb0EES1R_EEDaS1M_S1N_EUlS1M_E_NS1_11comp_targetILNS1_3genE10ELNS1_11target_archE1200ELNS1_3gpuE4ELNS1_3repE0EEENS1_30default_config_static_selectorELNS0_4arch9wavefront6targetE0EEEvSZ_.uses_vcc, 0
	.set _ZN7rocprim17ROCPRIM_400000_NS6detail17trampoline_kernelINS0_13select_configILj256ELj13ELNS0_17block_load_methodE3ELS4_3ELS4_3ELNS0_20block_scan_algorithmE0ELj4294967295EEENS1_25partition_config_selectorILNS1_17partition_subalgoE4EjNS0_10empty_typeEbEEZZNS1_14partition_implILS8_4ELb0ES6_15HIP_vector_typeIjLj2EENS0_17counting_iteratorIjlEEPS9_SG_NS0_5tupleIJPjSI_NS0_16reverse_iteratorISI_EEEEENSH_IJSG_SG_SG_EEES9_SI_JZNS1_25segmented_radix_sort_implINS0_14default_configELb1EPKlPlSQ_SR_N2at6native12_GLOBAL__N_18offset_tEEE10hipError_tPvRmT1_PNSt15iterator_traitsISZ_E10value_typeET2_T3_PNS10_IS15_E10value_typeET4_jRbjT5_S1B_jjP12ihipStream_tbEUljE_ZNSN_ISO_Lb1ESQ_SR_SQ_SR_SV_EESW_SX_SY_SZ_S13_S14_S15_S18_S19_jS1A_jS1B_S1B_jjS1D_bEUljE0_EEESW_SX_SY_S15_S19_S1B_T6_T7_T9_mT8_S1D_bDpT10_ENKUlT_T0_E_clISt17integral_constantIbLb0EES1R_EEDaS1M_S1N_EUlS1M_E_NS1_11comp_targetILNS1_3genE10ELNS1_11target_archE1200ELNS1_3gpuE4ELNS1_3repE0EEENS1_30default_config_static_selectorELNS0_4arch9wavefront6targetE0EEEvSZ_.uses_flat_scratch, 0
	.set _ZN7rocprim17ROCPRIM_400000_NS6detail17trampoline_kernelINS0_13select_configILj256ELj13ELNS0_17block_load_methodE3ELS4_3ELS4_3ELNS0_20block_scan_algorithmE0ELj4294967295EEENS1_25partition_config_selectorILNS1_17partition_subalgoE4EjNS0_10empty_typeEbEEZZNS1_14partition_implILS8_4ELb0ES6_15HIP_vector_typeIjLj2EENS0_17counting_iteratorIjlEEPS9_SG_NS0_5tupleIJPjSI_NS0_16reverse_iteratorISI_EEEEENSH_IJSG_SG_SG_EEES9_SI_JZNS1_25segmented_radix_sort_implINS0_14default_configELb1EPKlPlSQ_SR_N2at6native12_GLOBAL__N_18offset_tEEE10hipError_tPvRmT1_PNSt15iterator_traitsISZ_E10value_typeET2_T3_PNS10_IS15_E10value_typeET4_jRbjT5_S1B_jjP12ihipStream_tbEUljE_ZNSN_ISO_Lb1ESQ_SR_SQ_SR_SV_EESW_SX_SY_SZ_S13_S14_S15_S18_S19_jS1A_jS1B_S1B_jjS1D_bEUljE0_EEESW_SX_SY_S15_S19_S1B_T6_T7_T9_mT8_S1D_bDpT10_ENKUlT_T0_E_clISt17integral_constantIbLb0EES1R_EEDaS1M_S1N_EUlS1M_E_NS1_11comp_targetILNS1_3genE10ELNS1_11target_archE1200ELNS1_3gpuE4ELNS1_3repE0EEENS1_30default_config_static_selectorELNS0_4arch9wavefront6targetE0EEEvSZ_.has_dyn_sized_stack, 0
	.set _ZN7rocprim17ROCPRIM_400000_NS6detail17trampoline_kernelINS0_13select_configILj256ELj13ELNS0_17block_load_methodE3ELS4_3ELS4_3ELNS0_20block_scan_algorithmE0ELj4294967295EEENS1_25partition_config_selectorILNS1_17partition_subalgoE4EjNS0_10empty_typeEbEEZZNS1_14partition_implILS8_4ELb0ES6_15HIP_vector_typeIjLj2EENS0_17counting_iteratorIjlEEPS9_SG_NS0_5tupleIJPjSI_NS0_16reverse_iteratorISI_EEEEENSH_IJSG_SG_SG_EEES9_SI_JZNS1_25segmented_radix_sort_implINS0_14default_configELb1EPKlPlSQ_SR_N2at6native12_GLOBAL__N_18offset_tEEE10hipError_tPvRmT1_PNSt15iterator_traitsISZ_E10value_typeET2_T3_PNS10_IS15_E10value_typeET4_jRbjT5_S1B_jjP12ihipStream_tbEUljE_ZNSN_ISO_Lb1ESQ_SR_SQ_SR_SV_EESW_SX_SY_SZ_S13_S14_S15_S18_S19_jS1A_jS1B_S1B_jjS1D_bEUljE0_EEESW_SX_SY_S15_S19_S1B_T6_T7_T9_mT8_S1D_bDpT10_ENKUlT_T0_E_clISt17integral_constantIbLb0EES1R_EEDaS1M_S1N_EUlS1M_E_NS1_11comp_targetILNS1_3genE10ELNS1_11target_archE1200ELNS1_3gpuE4ELNS1_3repE0EEENS1_30default_config_static_selectorELNS0_4arch9wavefront6targetE0EEEvSZ_.has_recursion, 0
	.set _ZN7rocprim17ROCPRIM_400000_NS6detail17trampoline_kernelINS0_13select_configILj256ELj13ELNS0_17block_load_methodE3ELS4_3ELS4_3ELNS0_20block_scan_algorithmE0ELj4294967295EEENS1_25partition_config_selectorILNS1_17partition_subalgoE4EjNS0_10empty_typeEbEEZZNS1_14partition_implILS8_4ELb0ES6_15HIP_vector_typeIjLj2EENS0_17counting_iteratorIjlEEPS9_SG_NS0_5tupleIJPjSI_NS0_16reverse_iteratorISI_EEEEENSH_IJSG_SG_SG_EEES9_SI_JZNS1_25segmented_radix_sort_implINS0_14default_configELb1EPKlPlSQ_SR_N2at6native12_GLOBAL__N_18offset_tEEE10hipError_tPvRmT1_PNSt15iterator_traitsISZ_E10value_typeET2_T3_PNS10_IS15_E10value_typeET4_jRbjT5_S1B_jjP12ihipStream_tbEUljE_ZNSN_ISO_Lb1ESQ_SR_SQ_SR_SV_EESW_SX_SY_SZ_S13_S14_S15_S18_S19_jS1A_jS1B_S1B_jjS1D_bEUljE0_EEESW_SX_SY_S15_S19_S1B_T6_T7_T9_mT8_S1D_bDpT10_ENKUlT_T0_E_clISt17integral_constantIbLb0EES1R_EEDaS1M_S1N_EUlS1M_E_NS1_11comp_targetILNS1_3genE10ELNS1_11target_archE1200ELNS1_3gpuE4ELNS1_3repE0EEENS1_30default_config_static_selectorELNS0_4arch9wavefront6targetE0EEEvSZ_.has_indirect_call, 0
	.section	.AMDGPU.csdata,"",@progbits
; Kernel info:
; codeLenInByte = 0
; TotalNumSgprs: 0
; NumVgprs: 0
; ScratchSize: 0
; MemoryBound: 0
; FloatMode: 240
; IeeeMode: 1
; LDSByteSize: 0 bytes/workgroup (compile time only)
; SGPRBlocks: 0
; VGPRBlocks: 0
; NumSGPRsForWavesPerEU: 1
; NumVGPRsForWavesPerEU: 1
; Occupancy: 16
; WaveLimiterHint : 0
; COMPUTE_PGM_RSRC2:SCRATCH_EN: 0
; COMPUTE_PGM_RSRC2:USER_SGPR: 6
; COMPUTE_PGM_RSRC2:TRAP_HANDLER: 0
; COMPUTE_PGM_RSRC2:TGID_X_EN: 1
; COMPUTE_PGM_RSRC2:TGID_Y_EN: 0
; COMPUTE_PGM_RSRC2:TGID_Z_EN: 0
; COMPUTE_PGM_RSRC2:TIDIG_COMP_CNT: 0
	.section	.text._ZN7rocprim17ROCPRIM_400000_NS6detail17trampoline_kernelINS0_13select_configILj256ELj13ELNS0_17block_load_methodE3ELS4_3ELS4_3ELNS0_20block_scan_algorithmE0ELj4294967295EEENS1_25partition_config_selectorILNS1_17partition_subalgoE4EjNS0_10empty_typeEbEEZZNS1_14partition_implILS8_4ELb0ES6_15HIP_vector_typeIjLj2EENS0_17counting_iteratorIjlEEPS9_SG_NS0_5tupleIJPjSI_NS0_16reverse_iteratorISI_EEEEENSH_IJSG_SG_SG_EEES9_SI_JZNS1_25segmented_radix_sort_implINS0_14default_configELb1EPKlPlSQ_SR_N2at6native12_GLOBAL__N_18offset_tEEE10hipError_tPvRmT1_PNSt15iterator_traitsISZ_E10value_typeET2_T3_PNS10_IS15_E10value_typeET4_jRbjT5_S1B_jjP12ihipStream_tbEUljE_ZNSN_ISO_Lb1ESQ_SR_SQ_SR_SV_EESW_SX_SY_SZ_S13_S14_S15_S18_S19_jS1A_jS1B_S1B_jjS1D_bEUljE0_EEESW_SX_SY_S15_S19_S1B_T6_T7_T9_mT8_S1D_bDpT10_ENKUlT_T0_E_clISt17integral_constantIbLb0EES1R_EEDaS1M_S1N_EUlS1M_E_NS1_11comp_targetILNS1_3genE9ELNS1_11target_archE1100ELNS1_3gpuE3ELNS1_3repE0EEENS1_30default_config_static_selectorELNS0_4arch9wavefront6targetE0EEEvSZ_,"axG",@progbits,_ZN7rocprim17ROCPRIM_400000_NS6detail17trampoline_kernelINS0_13select_configILj256ELj13ELNS0_17block_load_methodE3ELS4_3ELS4_3ELNS0_20block_scan_algorithmE0ELj4294967295EEENS1_25partition_config_selectorILNS1_17partition_subalgoE4EjNS0_10empty_typeEbEEZZNS1_14partition_implILS8_4ELb0ES6_15HIP_vector_typeIjLj2EENS0_17counting_iteratorIjlEEPS9_SG_NS0_5tupleIJPjSI_NS0_16reverse_iteratorISI_EEEEENSH_IJSG_SG_SG_EEES9_SI_JZNS1_25segmented_radix_sort_implINS0_14default_configELb1EPKlPlSQ_SR_N2at6native12_GLOBAL__N_18offset_tEEE10hipError_tPvRmT1_PNSt15iterator_traitsISZ_E10value_typeET2_T3_PNS10_IS15_E10value_typeET4_jRbjT5_S1B_jjP12ihipStream_tbEUljE_ZNSN_ISO_Lb1ESQ_SR_SQ_SR_SV_EESW_SX_SY_SZ_S13_S14_S15_S18_S19_jS1A_jS1B_S1B_jjS1D_bEUljE0_EEESW_SX_SY_S15_S19_S1B_T6_T7_T9_mT8_S1D_bDpT10_ENKUlT_T0_E_clISt17integral_constantIbLb0EES1R_EEDaS1M_S1N_EUlS1M_E_NS1_11comp_targetILNS1_3genE9ELNS1_11target_archE1100ELNS1_3gpuE3ELNS1_3repE0EEENS1_30default_config_static_selectorELNS0_4arch9wavefront6targetE0EEEvSZ_,comdat
	.globl	_ZN7rocprim17ROCPRIM_400000_NS6detail17trampoline_kernelINS0_13select_configILj256ELj13ELNS0_17block_load_methodE3ELS4_3ELS4_3ELNS0_20block_scan_algorithmE0ELj4294967295EEENS1_25partition_config_selectorILNS1_17partition_subalgoE4EjNS0_10empty_typeEbEEZZNS1_14partition_implILS8_4ELb0ES6_15HIP_vector_typeIjLj2EENS0_17counting_iteratorIjlEEPS9_SG_NS0_5tupleIJPjSI_NS0_16reverse_iteratorISI_EEEEENSH_IJSG_SG_SG_EEES9_SI_JZNS1_25segmented_radix_sort_implINS0_14default_configELb1EPKlPlSQ_SR_N2at6native12_GLOBAL__N_18offset_tEEE10hipError_tPvRmT1_PNSt15iterator_traitsISZ_E10value_typeET2_T3_PNS10_IS15_E10value_typeET4_jRbjT5_S1B_jjP12ihipStream_tbEUljE_ZNSN_ISO_Lb1ESQ_SR_SQ_SR_SV_EESW_SX_SY_SZ_S13_S14_S15_S18_S19_jS1A_jS1B_S1B_jjS1D_bEUljE0_EEESW_SX_SY_S15_S19_S1B_T6_T7_T9_mT8_S1D_bDpT10_ENKUlT_T0_E_clISt17integral_constantIbLb0EES1R_EEDaS1M_S1N_EUlS1M_E_NS1_11comp_targetILNS1_3genE9ELNS1_11target_archE1100ELNS1_3gpuE3ELNS1_3repE0EEENS1_30default_config_static_selectorELNS0_4arch9wavefront6targetE0EEEvSZ_ ; -- Begin function _ZN7rocprim17ROCPRIM_400000_NS6detail17trampoline_kernelINS0_13select_configILj256ELj13ELNS0_17block_load_methodE3ELS4_3ELS4_3ELNS0_20block_scan_algorithmE0ELj4294967295EEENS1_25partition_config_selectorILNS1_17partition_subalgoE4EjNS0_10empty_typeEbEEZZNS1_14partition_implILS8_4ELb0ES6_15HIP_vector_typeIjLj2EENS0_17counting_iteratorIjlEEPS9_SG_NS0_5tupleIJPjSI_NS0_16reverse_iteratorISI_EEEEENSH_IJSG_SG_SG_EEES9_SI_JZNS1_25segmented_radix_sort_implINS0_14default_configELb1EPKlPlSQ_SR_N2at6native12_GLOBAL__N_18offset_tEEE10hipError_tPvRmT1_PNSt15iterator_traitsISZ_E10value_typeET2_T3_PNS10_IS15_E10value_typeET4_jRbjT5_S1B_jjP12ihipStream_tbEUljE_ZNSN_ISO_Lb1ESQ_SR_SQ_SR_SV_EESW_SX_SY_SZ_S13_S14_S15_S18_S19_jS1A_jS1B_S1B_jjS1D_bEUljE0_EEESW_SX_SY_S15_S19_S1B_T6_T7_T9_mT8_S1D_bDpT10_ENKUlT_T0_E_clISt17integral_constantIbLb0EES1R_EEDaS1M_S1N_EUlS1M_E_NS1_11comp_targetILNS1_3genE9ELNS1_11target_archE1100ELNS1_3gpuE3ELNS1_3repE0EEENS1_30default_config_static_selectorELNS0_4arch9wavefront6targetE0EEEvSZ_
	.p2align	8
	.type	_ZN7rocprim17ROCPRIM_400000_NS6detail17trampoline_kernelINS0_13select_configILj256ELj13ELNS0_17block_load_methodE3ELS4_3ELS4_3ELNS0_20block_scan_algorithmE0ELj4294967295EEENS1_25partition_config_selectorILNS1_17partition_subalgoE4EjNS0_10empty_typeEbEEZZNS1_14partition_implILS8_4ELb0ES6_15HIP_vector_typeIjLj2EENS0_17counting_iteratorIjlEEPS9_SG_NS0_5tupleIJPjSI_NS0_16reverse_iteratorISI_EEEEENSH_IJSG_SG_SG_EEES9_SI_JZNS1_25segmented_radix_sort_implINS0_14default_configELb1EPKlPlSQ_SR_N2at6native12_GLOBAL__N_18offset_tEEE10hipError_tPvRmT1_PNSt15iterator_traitsISZ_E10value_typeET2_T3_PNS10_IS15_E10value_typeET4_jRbjT5_S1B_jjP12ihipStream_tbEUljE_ZNSN_ISO_Lb1ESQ_SR_SQ_SR_SV_EESW_SX_SY_SZ_S13_S14_S15_S18_S19_jS1A_jS1B_S1B_jjS1D_bEUljE0_EEESW_SX_SY_S15_S19_S1B_T6_T7_T9_mT8_S1D_bDpT10_ENKUlT_T0_E_clISt17integral_constantIbLb0EES1R_EEDaS1M_S1N_EUlS1M_E_NS1_11comp_targetILNS1_3genE9ELNS1_11target_archE1100ELNS1_3gpuE3ELNS1_3repE0EEENS1_30default_config_static_selectorELNS0_4arch9wavefront6targetE0EEEvSZ_,@function
_ZN7rocprim17ROCPRIM_400000_NS6detail17trampoline_kernelINS0_13select_configILj256ELj13ELNS0_17block_load_methodE3ELS4_3ELS4_3ELNS0_20block_scan_algorithmE0ELj4294967295EEENS1_25partition_config_selectorILNS1_17partition_subalgoE4EjNS0_10empty_typeEbEEZZNS1_14partition_implILS8_4ELb0ES6_15HIP_vector_typeIjLj2EENS0_17counting_iteratorIjlEEPS9_SG_NS0_5tupleIJPjSI_NS0_16reverse_iteratorISI_EEEEENSH_IJSG_SG_SG_EEES9_SI_JZNS1_25segmented_radix_sort_implINS0_14default_configELb1EPKlPlSQ_SR_N2at6native12_GLOBAL__N_18offset_tEEE10hipError_tPvRmT1_PNSt15iterator_traitsISZ_E10value_typeET2_T3_PNS10_IS15_E10value_typeET4_jRbjT5_S1B_jjP12ihipStream_tbEUljE_ZNSN_ISO_Lb1ESQ_SR_SQ_SR_SV_EESW_SX_SY_SZ_S13_S14_S15_S18_S19_jS1A_jS1B_S1B_jjS1D_bEUljE0_EEESW_SX_SY_S15_S19_S1B_T6_T7_T9_mT8_S1D_bDpT10_ENKUlT_T0_E_clISt17integral_constantIbLb0EES1R_EEDaS1M_S1N_EUlS1M_E_NS1_11comp_targetILNS1_3genE9ELNS1_11target_archE1100ELNS1_3gpuE3ELNS1_3repE0EEENS1_30default_config_static_selectorELNS0_4arch9wavefront6targetE0EEEvSZ_: ; @_ZN7rocprim17ROCPRIM_400000_NS6detail17trampoline_kernelINS0_13select_configILj256ELj13ELNS0_17block_load_methodE3ELS4_3ELS4_3ELNS0_20block_scan_algorithmE0ELj4294967295EEENS1_25partition_config_selectorILNS1_17partition_subalgoE4EjNS0_10empty_typeEbEEZZNS1_14partition_implILS8_4ELb0ES6_15HIP_vector_typeIjLj2EENS0_17counting_iteratorIjlEEPS9_SG_NS0_5tupleIJPjSI_NS0_16reverse_iteratorISI_EEEEENSH_IJSG_SG_SG_EEES9_SI_JZNS1_25segmented_radix_sort_implINS0_14default_configELb1EPKlPlSQ_SR_N2at6native12_GLOBAL__N_18offset_tEEE10hipError_tPvRmT1_PNSt15iterator_traitsISZ_E10value_typeET2_T3_PNS10_IS15_E10value_typeET4_jRbjT5_S1B_jjP12ihipStream_tbEUljE_ZNSN_ISO_Lb1ESQ_SR_SQ_SR_SV_EESW_SX_SY_SZ_S13_S14_S15_S18_S19_jS1A_jS1B_S1B_jjS1D_bEUljE0_EEESW_SX_SY_S15_S19_S1B_T6_T7_T9_mT8_S1D_bDpT10_ENKUlT_T0_E_clISt17integral_constantIbLb0EES1R_EEDaS1M_S1N_EUlS1M_E_NS1_11comp_targetILNS1_3genE9ELNS1_11target_archE1100ELNS1_3gpuE3ELNS1_3repE0EEENS1_30default_config_static_selectorELNS0_4arch9wavefront6targetE0EEEvSZ_
; %bb.0:
	.section	.rodata,"a",@progbits
	.p2align	6, 0x0
	.amdhsa_kernel _ZN7rocprim17ROCPRIM_400000_NS6detail17trampoline_kernelINS0_13select_configILj256ELj13ELNS0_17block_load_methodE3ELS4_3ELS4_3ELNS0_20block_scan_algorithmE0ELj4294967295EEENS1_25partition_config_selectorILNS1_17partition_subalgoE4EjNS0_10empty_typeEbEEZZNS1_14partition_implILS8_4ELb0ES6_15HIP_vector_typeIjLj2EENS0_17counting_iteratorIjlEEPS9_SG_NS0_5tupleIJPjSI_NS0_16reverse_iteratorISI_EEEEENSH_IJSG_SG_SG_EEES9_SI_JZNS1_25segmented_radix_sort_implINS0_14default_configELb1EPKlPlSQ_SR_N2at6native12_GLOBAL__N_18offset_tEEE10hipError_tPvRmT1_PNSt15iterator_traitsISZ_E10value_typeET2_T3_PNS10_IS15_E10value_typeET4_jRbjT5_S1B_jjP12ihipStream_tbEUljE_ZNSN_ISO_Lb1ESQ_SR_SQ_SR_SV_EESW_SX_SY_SZ_S13_S14_S15_S18_S19_jS1A_jS1B_S1B_jjS1D_bEUljE0_EEESW_SX_SY_S15_S19_S1B_T6_T7_T9_mT8_S1D_bDpT10_ENKUlT_T0_E_clISt17integral_constantIbLb0EES1R_EEDaS1M_S1N_EUlS1M_E_NS1_11comp_targetILNS1_3genE9ELNS1_11target_archE1100ELNS1_3gpuE3ELNS1_3repE0EEENS1_30default_config_static_selectorELNS0_4arch9wavefront6targetE0EEEvSZ_
		.amdhsa_group_segment_fixed_size 0
		.amdhsa_private_segment_fixed_size 0
		.amdhsa_kernarg_size 176
		.amdhsa_user_sgpr_count 6
		.amdhsa_user_sgpr_private_segment_buffer 1
		.amdhsa_user_sgpr_dispatch_ptr 0
		.amdhsa_user_sgpr_queue_ptr 0
		.amdhsa_user_sgpr_kernarg_segment_ptr 1
		.amdhsa_user_sgpr_dispatch_id 0
		.amdhsa_user_sgpr_flat_scratch_init 0
		.amdhsa_user_sgpr_private_segment_size 0
		.amdhsa_wavefront_size32 1
		.amdhsa_uses_dynamic_stack 0
		.amdhsa_system_sgpr_private_segment_wavefront_offset 0
		.amdhsa_system_sgpr_workgroup_id_x 1
		.amdhsa_system_sgpr_workgroup_id_y 0
		.amdhsa_system_sgpr_workgroup_id_z 0
		.amdhsa_system_sgpr_workgroup_info 0
		.amdhsa_system_vgpr_workitem_id 0
		.amdhsa_next_free_vgpr 1
		.amdhsa_next_free_sgpr 1
		.amdhsa_reserve_vcc 0
		.amdhsa_reserve_flat_scratch 0
		.amdhsa_float_round_mode_32 0
		.amdhsa_float_round_mode_16_64 0
		.amdhsa_float_denorm_mode_32 3
		.amdhsa_float_denorm_mode_16_64 3
		.amdhsa_dx10_clamp 1
		.amdhsa_ieee_mode 1
		.amdhsa_fp16_overflow 0
		.amdhsa_workgroup_processor_mode 1
		.amdhsa_memory_ordered 1
		.amdhsa_forward_progress 1
		.amdhsa_shared_vgpr_count 0
		.amdhsa_exception_fp_ieee_invalid_op 0
		.amdhsa_exception_fp_denorm_src 0
		.amdhsa_exception_fp_ieee_div_zero 0
		.amdhsa_exception_fp_ieee_overflow 0
		.amdhsa_exception_fp_ieee_underflow 0
		.amdhsa_exception_fp_ieee_inexact 0
		.amdhsa_exception_int_div_zero 0
	.end_amdhsa_kernel
	.section	.text._ZN7rocprim17ROCPRIM_400000_NS6detail17trampoline_kernelINS0_13select_configILj256ELj13ELNS0_17block_load_methodE3ELS4_3ELS4_3ELNS0_20block_scan_algorithmE0ELj4294967295EEENS1_25partition_config_selectorILNS1_17partition_subalgoE4EjNS0_10empty_typeEbEEZZNS1_14partition_implILS8_4ELb0ES6_15HIP_vector_typeIjLj2EENS0_17counting_iteratorIjlEEPS9_SG_NS0_5tupleIJPjSI_NS0_16reverse_iteratorISI_EEEEENSH_IJSG_SG_SG_EEES9_SI_JZNS1_25segmented_radix_sort_implINS0_14default_configELb1EPKlPlSQ_SR_N2at6native12_GLOBAL__N_18offset_tEEE10hipError_tPvRmT1_PNSt15iterator_traitsISZ_E10value_typeET2_T3_PNS10_IS15_E10value_typeET4_jRbjT5_S1B_jjP12ihipStream_tbEUljE_ZNSN_ISO_Lb1ESQ_SR_SQ_SR_SV_EESW_SX_SY_SZ_S13_S14_S15_S18_S19_jS1A_jS1B_S1B_jjS1D_bEUljE0_EEESW_SX_SY_S15_S19_S1B_T6_T7_T9_mT8_S1D_bDpT10_ENKUlT_T0_E_clISt17integral_constantIbLb0EES1R_EEDaS1M_S1N_EUlS1M_E_NS1_11comp_targetILNS1_3genE9ELNS1_11target_archE1100ELNS1_3gpuE3ELNS1_3repE0EEENS1_30default_config_static_selectorELNS0_4arch9wavefront6targetE0EEEvSZ_,"axG",@progbits,_ZN7rocprim17ROCPRIM_400000_NS6detail17trampoline_kernelINS0_13select_configILj256ELj13ELNS0_17block_load_methodE3ELS4_3ELS4_3ELNS0_20block_scan_algorithmE0ELj4294967295EEENS1_25partition_config_selectorILNS1_17partition_subalgoE4EjNS0_10empty_typeEbEEZZNS1_14partition_implILS8_4ELb0ES6_15HIP_vector_typeIjLj2EENS0_17counting_iteratorIjlEEPS9_SG_NS0_5tupleIJPjSI_NS0_16reverse_iteratorISI_EEEEENSH_IJSG_SG_SG_EEES9_SI_JZNS1_25segmented_radix_sort_implINS0_14default_configELb1EPKlPlSQ_SR_N2at6native12_GLOBAL__N_18offset_tEEE10hipError_tPvRmT1_PNSt15iterator_traitsISZ_E10value_typeET2_T3_PNS10_IS15_E10value_typeET4_jRbjT5_S1B_jjP12ihipStream_tbEUljE_ZNSN_ISO_Lb1ESQ_SR_SQ_SR_SV_EESW_SX_SY_SZ_S13_S14_S15_S18_S19_jS1A_jS1B_S1B_jjS1D_bEUljE0_EEESW_SX_SY_S15_S19_S1B_T6_T7_T9_mT8_S1D_bDpT10_ENKUlT_T0_E_clISt17integral_constantIbLb0EES1R_EEDaS1M_S1N_EUlS1M_E_NS1_11comp_targetILNS1_3genE9ELNS1_11target_archE1100ELNS1_3gpuE3ELNS1_3repE0EEENS1_30default_config_static_selectorELNS0_4arch9wavefront6targetE0EEEvSZ_,comdat
.Lfunc_end640:
	.size	_ZN7rocprim17ROCPRIM_400000_NS6detail17trampoline_kernelINS0_13select_configILj256ELj13ELNS0_17block_load_methodE3ELS4_3ELS4_3ELNS0_20block_scan_algorithmE0ELj4294967295EEENS1_25partition_config_selectorILNS1_17partition_subalgoE4EjNS0_10empty_typeEbEEZZNS1_14partition_implILS8_4ELb0ES6_15HIP_vector_typeIjLj2EENS0_17counting_iteratorIjlEEPS9_SG_NS0_5tupleIJPjSI_NS0_16reverse_iteratorISI_EEEEENSH_IJSG_SG_SG_EEES9_SI_JZNS1_25segmented_radix_sort_implINS0_14default_configELb1EPKlPlSQ_SR_N2at6native12_GLOBAL__N_18offset_tEEE10hipError_tPvRmT1_PNSt15iterator_traitsISZ_E10value_typeET2_T3_PNS10_IS15_E10value_typeET4_jRbjT5_S1B_jjP12ihipStream_tbEUljE_ZNSN_ISO_Lb1ESQ_SR_SQ_SR_SV_EESW_SX_SY_SZ_S13_S14_S15_S18_S19_jS1A_jS1B_S1B_jjS1D_bEUljE0_EEESW_SX_SY_S15_S19_S1B_T6_T7_T9_mT8_S1D_bDpT10_ENKUlT_T0_E_clISt17integral_constantIbLb0EES1R_EEDaS1M_S1N_EUlS1M_E_NS1_11comp_targetILNS1_3genE9ELNS1_11target_archE1100ELNS1_3gpuE3ELNS1_3repE0EEENS1_30default_config_static_selectorELNS0_4arch9wavefront6targetE0EEEvSZ_, .Lfunc_end640-_ZN7rocprim17ROCPRIM_400000_NS6detail17trampoline_kernelINS0_13select_configILj256ELj13ELNS0_17block_load_methodE3ELS4_3ELS4_3ELNS0_20block_scan_algorithmE0ELj4294967295EEENS1_25partition_config_selectorILNS1_17partition_subalgoE4EjNS0_10empty_typeEbEEZZNS1_14partition_implILS8_4ELb0ES6_15HIP_vector_typeIjLj2EENS0_17counting_iteratorIjlEEPS9_SG_NS0_5tupleIJPjSI_NS0_16reverse_iteratorISI_EEEEENSH_IJSG_SG_SG_EEES9_SI_JZNS1_25segmented_radix_sort_implINS0_14default_configELb1EPKlPlSQ_SR_N2at6native12_GLOBAL__N_18offset_tEEE10hipError_tPvRmT1_PNSt15iterator_traitsISZ_E10value_typeET2_T3_PNS10_IS15_E10value_typeET4_jRbjT5_S1B_jjP12ihipStream_tbEUljE_ZNSN_ISO_Lb1ESQ_SR_SQ_SR_SV_EESW_SX_SY_SZ_S13_S14_S15_S18_S19_jS1A_jS1B_S1B_jjS1D_bEUljE0_EEESW_SX_SY_S15_S19_S1B_T6_T7_T9_mT8_S1D_bDpT10_ENKUlT_T0_E_clISt17integral_constantIbLb0EES1R_EEDaS1M_S1N_EUlS1M_E_NS1_11comp_targetILNS1_3genE9ELNS1_11target_archE1100ELNS1_3gpuE3ELNS1_3repE0EEENS1_30default_config_static_selectorELNS0_4arch9wavefront6targetE0EEEvSZ_
                                        ; -- End function
	.set _ZN7rocprim17ROCPRIM_400000_NS6detail17trampoline_kernelINS0_13select_configILj256ELj13ELNS0_17block_load_methodE3ELS4_3ELS4_3ELNS0_20block_scan_algorithmE0ELj4294967295EEENS1_25partition_config_selectorILNS1_17partition_subalgoE4EjNS0_10empty_typeEbEEZZNS1_14partition_implILS8_4ELb0ES6_15HIP_vector_typeIjLj2EENS0_17counting_iteratorIjlEEPS9_SG_NS0_5tupleIJPjSI_NS0_16reverse_iteratorISI_EEEEENSH_IJSG_SG_SG_EEES9_SI_JZNS1_25segmented_radix_sort_implINS0_14default_configELb1EPKlPlSQ_SR_N2at6native12_GLOBAL__N_18offset_tEEE10hipError_tPvRmT1_PNSt15iterator_traitsISZ_E10value_typeET2_T3_PNS10_IS15_E10value_typeET4_jRbjT5_S1B_jjP12ihipStream_tbEUljE_ZNSN_ISO_Lb1ESQ_SR_SQ_SR_SV_EESW_SX_SY_SZ_S13_S14_S15_S18_S19_jS1A_jS1B_S1B_jjS1D_bEUljE0_EEESW_SX_SY_S15_S19_S1B_T6_T7_T9_mT8_S1D_bDpT10_ENKUlT_T0_E_clISt17integral_constantIbLb0EES1R_EEDaS1M_S1N_EUlS1M_E_NS1_11comp_targetILNS1_3genE9ELNS1_11target_archE1100ELNS1_3gpuE3ELNS1_3repE0EEENS1_30default_config_static_selectorELNS0_4arch9wavefront6targetE0EEEvSZ_.num_vgpr, 0
	.set _ZN7rocprim17ROCPRIM_400000_NS6detail17trampoline_kernelINS0_13select_configILj256ELj13ELNS0_17block_load_methodE3ELS4_3ELS4_3ELNS0_20block_scan_algorithmE0ELj4294967295EEENS1_25partition_config_selectorILNS1_17partition_subalgoE4EjNS0_10empty_typeEbEEZZNS1_14partition_implILS8_4ELb0ES6_15HIP_vector_typeIjLj2EENS0_17counting_iteratorIjlEEPS9_SG_NS0_5tupleIJPjSI_NS0_16reverse_iteratorISI_EEEEENSH_IJSG_SG_SG_EEES9_SI_JZNS1_25segmented_radix_sort_implINS0_14default_configELb1EPKlPlSQ_SR_N2at6native12_GLOBAL__N_18offset_tEEE10hipError_tPvRmT1_PNSt15iterator_traitsISZ_E10value_typeET2_T3_PNS10_IS15_E10value_typeET4_jRbjT5_S1B_jjP12ihipStream_tbEUljE_ZNSN_ISO_Lb1ESQ_SR_SQ_SR_SV_EESW_SX_SY_SZ_S13_S14_S15_S18_S19_jS1A_jS1B_S1B_jjS1D_bEUljE0_EEESW_SX_SY_S15_S19_S1B_T6_T7_T9_mT8_S1D_bDpT10_ENKUlT_T0_E_clISt17integral_constantIbLb0EES1R_EEDaS1M_S1N_EUlS1M_E_NS1_11comp_targetILNS1_3genE9ELNS1_11target_archE1100ELNS1_3gpuE3ELNS1_3repE0EEENS1_30default_config_static_selectorELNS0_4arch9wavefront6targetE0EEEvSZ_.num_agpr, 0
	.set _ZN7rocprim17ROCPRIM_400000_NS6detail17trampoline_kernelINS0_13select_configILj256ELj13ELNS0_17block_load_methodE3ELS4_3ELS4_3ELNS0_20block_scan_algorithmE0ELj4294967295EEENS1_25partition_config_selectorILNS1_17partition_subalgoE4EjNS0_10empty_typeEbEEZZNS1_14partition_implILS8_4ELb0ES6_15HIP_vector_typeIjLj2EENS0_17counting_iteratorIjlEEPS9_SG_NS0_5tupleIJPjSI_NS0_16reverse_iteratorISI_EEEEENSH_IJSG_SG_SG_EEES9_SI_JZNS1_25segmented_radix_sort_implINS0_14default_configELb1EPKlPlSQ_SR_N2at6native12_GLOBAL__N_18offset_tEEE10hipError_tPvRmT1_PNSt15iterator_traitsISZ_E10value_typeET2_T3_PNS10_IS15_E10value_typeET4_jRbjT5_S1B_jjP12ihipStream_tbEUljE_ZNSN_ISO_Lb1ESQ_SR_SQ_SR_SV_EESW_SX_SY_SZ_S13_S14_S15_S18_S19_jS1A_jS1B_S1B_jjS1D_bEUljE0_EEESW_SX_SY_S15_S19_S1B_T6_T7_T9_mT8_S1D_bDpT10_ENKUlT_T0_E_clISt17integral_constantIbLb0EES1R_EEDaS1M_S1N_EUlS1M_E_NS1_11comp_targetILNS1_3genE9ELNS1_11target_archE1100ELNS1_3gpuE3ELNS1_3repE0EEENS1_30default_config_static_selectorELNS0_4arch9wavefront6targetE0EEEvSZ_.numbered_sgpr, 0
	.set _ZN7rocprim17ROCPRIM_400000_NS6detail17trampoline_kernelINS0_13select_configILj256ELj13ELNS0_17block_load_methodE3ELS4_3ELS4_3ELNS0_20block_scan_algorithmE0ELj4294967295EEENS1_25partition_config_selectorILNS1_17partition_subalgoE4EjNS0_10empty_typeEbEEZZNS1_14partition_implILS8_4ELb0ES6_15HIP_vector_typeIjLj2EENS0_17counting_iteratorIjlEEPS9_SG_NS0_5tupleIJPjSI_NS0_16reverse_iteratorISI_EEEEENSH_IJSG_SG_SG_EEES9_SI_JZNS1_25segmented_radix_sort_implINS0_14default_configELb1EPKlPlSQ_SR_N2at6native12_GLOBAL__N_18offset_tEEE10hipError_tPvRmT1_PNSt15iterator_traitsISZ_E10value_typeET2_T3_PNS10_IS15_E10value_typeET4_jRbjT5_S1B_jjP12ihipStream_tbEUljE_ZNSN_ISO_Lb1ESQ_SR_SQ_SR_SV_EESW_SX_SY_SZ_S13_S14_S15_S18_S19_jS1A_jS1B_S1B_jjS1D_bEUljE0_EEESW_SX_SY_S15_S19_S1B_T6_T7_T9_mT8_S1D_bDpT10_ENKUlT_T0_E_clISt17integral_constantIbLb0EES1R_EEDaS1M_S1N_EUlS1M_E_NS1_11comp_targetILNS1_3genE9ELNS1_11target_archE1100ELNS1_3gpuE3ELNS1_3repE0EEENS1_30default_config_static_selectorELNS0_4arch9wavefront6targetE0EEEvSZ_.num_named_barrier, 0
	.set _ZN7rocprim17ROCPRIM_400000_NS6detail17trampoline_kernelINS0_13select_configILj256ELj13ELNS0_17block_load_methodE3ELS4_3ELS4_3ELNS0_20block_scan_algorithmE0ELj4294967295EEENS1_25partition_config_selectorILNS1_17partition_subalgoE4EjNS0_10empty_typeEbEEZZNS1_14partition_implILS8_4ELb0ES6_15HIP_vector_typeIjLj2EENS0_17counting_iteratorIjlEEPS9_SG_NS0_5tupleIJPjSI_NS0_16reverse_iteratorISI_EEEEENSH_IJSG_SG_SG_EEES9_SI_JZNS1_25segmented_radix_sort_implINS0_14default_configELb1EPKlPlSQ_SR_N2at6native12_GLOBAL__N_18offset_tEEE10hipError_tPvRmT1_PNSt15iterator_traitsISZ_E10value_typeET2_T3_PNS10_IS15_E10value_typeET4_jRbjT5_S1B_jjP12ihipStream_tbEUljE_ZNSN_ISO_Lb1ESQ_SR_SQ_SR_SV_EESW_SX_SY_SZ_S13_S14_S15_S18_S19_jS1A_jS1B_S1B_jjS1D_bEUljE0_EEESW_SX_SY_S15_S19_S1B_T6_T7_T9_mT8_S1D_bDpT10_ENKUlT_T0_E_clISt17integral_constantIbLb0EES1R_EEDaS1M_S1N_EUlS1M_E_NS1_11comp_targetILNS1_3genE9ELNS1_11target_archE1100ELNS1_3gpuE3ELNS1_3repE0EEENS1_30default_config_static_selectorELNS0_4arch9wavefront6targetE0EEEvSZ_.private_seg_size, 0
	.set _ZN7rocprim17ROCPRIM_400000_NS6detail17trampoline_kernelINS0_13select_configILj256ELj13ELNS0_17block_load_methodE3ELS4_3ELS4_3ELNS0_20block_scan_algorithmE0ELj4294967295EEENS1_25partition_config_selectorILNS1_17partition_subalgoE4EjNS0_10empty_typeEbEEZZNS1_14partition_implILS8_4ELb0ES6_15HIP_vector_typeIjLj2EENS0_17counting_iteratorIjlEEPS9_SG_NS0_5tupleIJPjSI_NS0_16reverse_iteratorISI_EEEEENSH_IJSG_SG_SG_EEES9_SI_JZNS1_25segmented_radix_sort_implINS0_14default_configELb1EPKlPlSQ_SR_N2at6native12_GLOBAL__N_18offset_tEEE10hipError_tPvRmT1_PNSt15iterator_traitsISZ_E10value_typeET2_T3_PNS10_IS15_E10value_typeET4_jRbjT5_S1B_jjP12ihipStream_tbEUljE_ZNSN_ISO_Lb1ESQ_SR_SQ_SR_SV_EESW_SX_SY_SZ_S13_S14_S15_S18_S19_jS1A_jS1B_S1B_jjS1D_bEUljE0_EEESW_SX_SY_S15_S19_S1B_T6_T7_T9_mT8_S1D_bDpT10_ENKUlT_T0_E_clISt17integral_constantIbLb0EES1R_EEDaS1M_S1N_EUlS1M_E_NS1_11comp_targetILNS1_3genE9ELNS1_11target_archE1100ELNS1_3gpuE3ELNS1_3repE0EEENS1_30default_config_static_selectorELNS0_4arch9wavefront6targetE0EEEvSZ_.uses_vcc, 0
	.set _ZN7rocprim17ROCPRIM_400000_NS6detail17trampoline_kernelINS0_13select_configILj256ELj13ELNS0_17block_load_methodE3ELS4_3ELS4_3ELNS0_20block_scan_algorithmE0ELj4294967295EEENS1_25partition_config_selectorILNS1_17partition_subalgoE4EjNS0_10empty_typeEbEEZZNS1_14partition_implILS8_4ELb0ES6_15HIP_vector_typeIjLj2EENS0_17counting_iteratorIjlEEPS9_SG_NS0_5tupleIJPjSI_NS0_16reverse_iteratorISI_EEEEENSH_IJSG_SG_SG_EEES9_SI_JZNS1_25segmented_radix_sort_implINS0_14default_configELb1EPKlPlSQ_SR_N2at6native12_GLOBAL__N_18offset_tEEE10hipError_tPvRmT1_PNSt15iterator_traitsISZ_E10value_typeET2_T3_PNS10_IS15_E10value_typeET4_jRbjT5_S1B_jjP12ihipStream_tbEUljE_ZNSN_ISO_Lb1ESQ_SR_SQ_SR_SV_EESW_SX_SY_SZ_S13_S14_S15_S18_S19_jS1A_jS1B_S1B_jjS1D_bEUljE0_EEESW_SX_SY_S15_S19_S1B_T6_T7_T9_mT8_S1D_bDpT10_ENKUlT_T0_E_clISt17integral_constantIbLb0EES1R_EEDaS1M_S1N_EUlS1M_E_NS1_11comp_targetILNS1_3genE9ELNS1_11target_archE1100ELNS1_3gpuE3ELNS1_3repE0EEENS1_30default_config_static_selectorELNS0_4arch9wavefront6targetE0EEEvSZ_.uses_flat_scratch, 0
	.set _ZN7rocprim17ROCPRIM_400000_NS6detail17trampoline_kernelINS0_13select_configILj256ELj13ELNS0_17block_load_methodE3ELS4_3ELS4_3ELNS0_20block_scan_algorithmE0ELj4294967295EEENS1_25partition_config_selectorILNS1_17partition_subalgoE4EjNS0_10empty_typeEbEEZZNS1_14partition_implILS8_4ELb0ES6_15HIP_vector_typeIjLj2EENS0_17counting_iteratorIjlEEPS9_SG_NS0_5tupleIJPjSI_NS0_16reverse_iteratorISI_EEEEENSH_IJSG_SG_SG_EEES9_SI_JZNS1_25segmented_radix_sort_implINS0_14default_configELb1EPKlPlSQ_SR_N2at6native12_GLOBAL__N_18offset_tEEE10hipError_tPvRmT1_PNSt15iterator_traitsISZ_E10value_typeET2_T3_PNS10_IS15_E10value_typeET4_jRbjT5_S1B_jjP12ihipStream_tbEUljE_ZNSN_ISO_Lb1ESQ_SR_SQ_SR_SV_EESW_SX_SY_SZ_S13_S14_S15_S18_S19_jS1A_jS1B_S1B_jjS1D_bEUljE0_EEESW_SX_SY_S15_S19_S1B_T6_T7_T9_mT8_S1D_bDpT10_ENKUlT_T0_E_clISt17integral_constantIbLb0EES1R_EEDaS1M_S1N_EUlS1M_E_NS1_11comp_targetILNS1_3genE9ELNS1_11target_archE1100ELNS1_3gpuE3ELNS1_3repE0EEENS1_30default_config_static_selectorELNS0_4arch9wavefront6targetE0EEEvSZ_.has_dyn_sized_stack, 0
	.set _ZN7rocprim17ROCPRIM_400000_NS6detail17trampoline_kernelINS0_13select_configILj256ELj13ELNS0_17block_load_methodE3ELS4_3ELS4_3ELNS0_20block_scan_algorithmE0ELj4294967295EEENS1_25partition_config_selectorILNS1_17partition_subalgoE4EjNS0_10empty_typeEbEEZZNS1_14partition_implILS8_4ELb0ES6_15HIP_vector_typeIjLj2EENS0_17counting_iteratorIjlEEPS9_SG_NS0_5tupleIJPjSI_NS0_16reverse_iteratorISI_EEEEENSH_IJSG_SG_SG_EEES9_SI_JZNS1_25segmented_radix_sort_implINS0_14default_configELb1EPKlPlSQ_SR_N2at6native12_GLOBAL__N_18offset_tEEE10hipError_tPvRmT1_PNSt15iterator_traitsISZ_E10value_typeET2_T3_PNS10_IS15_E10value_typeET4_jRbjT5_S1B_jjP12ihipStream_tbEUljE_ZNSN_ISO_Lb1ESQ_SR_SQ_SR_SV_EESW_SX_SY_SZ_S13_S14_S15_S18_S19_jS1A_jS1B_S1B_jjS1D_bEUljE0_EEESW_SX_SY_S15_S19_S1B_T6_T7_T9_mT8_S1D_bDpT10_ENKUlT_T0_E_clISt17integral_constantIbLb0EES1R_EEDaS1M_S1N_EUlS1M_E_NS1_11comp_targetILNS1_3genE9ELNS1_11target_archE1100ELNS1_3gpuE3ELNS1_3repE0EEENS1_30default_config_static_selectorELNS0_4arch9wavefront6targetE0EEEvSZ_.has_recursion, 0
	.set _ZN7rocprim17ROCPRIM_400000_NS6detail17trampoline_kernelINS0_13select_configILj256ELj13ELNS0_17block_load_methodE3ELS4_3ELS4_3ELNS0_20block_scan_algorithmE0ELj4294967295EEENS1_25partition_config_selectorILNS1_17partition_subalgoE4EjNS0_10empty_typeEbEEZZNS1_14partition_implILS8_4ELb0ES6_15HIP_vector_typeIjLj2EENS0_17counting_iteratorIjlEEPS9_SG_NS0_5tupleIJPjSI_NS0_16reverse_iteratorISI_EEEEENSH_IJSG_SG_SG_EEES9_SI_JZNS1_25segmented_radix_sort_implINS0_14default_configELb1EPKlPlSQ_SR_N2at6native12_GLOBAL__N_18offset_tEEE10hipError_tPvRmT1_PNSt15iterator_traitsISZ_E10value_typeET2_T3_PNS10_IS15_E10value_typeET4_jRbjT5_S1B_jjP12ihipStream_tbEUljE_ZNSN_ISO_Lb1ESQ_SR_SQ_SR_SV_EESW_SX_SY_SZ_S13_S14_S15_S18_S19_jS1A_jS1B_S1B_jjS1D_bEUljE0_EEESW_SX_SY_S15_S19_S1B_T6_T7_T9_mT8_S1D_bDpT10_ENKUlT_T0_E_clISt17integral_constantIbLb0EES1R_EEDaS1M_S1N_EUlS1M_E_NS1_11comp_targetILNS1_3genE9ELNS1_11target_archE1100ELNS1_3gpuE3ELNS1_3repE0EEENS1_30default_config_static_selectorELNS0_4arch9wavefront6targetE0EEEvSZ_.has_indirect_call, 0
	.section	.AMDGPU.csdata,"",@progbits
; Kernel info:
; codeLenInByte = 0
; TotalNumSgprs: 0
; NumVgprs: 0
; ScratchSize: 0
; MemoryBound: 0
; FloatMode: 240
; IeeeMode: 1
; LDSByteSize: 0 bytes/workgroup (compile time only)
; SGPRBlocks: 0
; VGPRBlocks: 0
; NumSGPRsForWavesPerEU: 1
; NumVGPRsForWavesPerEU: 1
; Occupancy: 16
; WaveLimiterHint : 0
; COMPUTE_PGM_RSRC2:SCRATCH_EN: 0
; COMPUTE_PGM_RSRC2:USER_SGPR: 6
; COMPUTE_PGM_RSRC2:TRAP_HANDLER: 0
; COMPUTE_PGM_RSRC2:TGID_X_EN: 1
; COMPUTE_PGM_RSRC2:TGID_Y_EN: 0
; COMPUTE_PGM_RSRC2:TGID_Z_EN: 0
; COMPUTE_PGM_RSRC2:TIDIG_COMP_CNT: 0
	.section	.text._ZN7rocprim17ROCPRIM_400000_NS6detail17trampoline_kernelINS0_13select_configILj256ELj13ELNS0_17block_load_methodE3ELS4_3ELS4_3ELNS0_20block_scan_algorithmE0ELj4294967295EEENS1_25partition_config_selectorILNS1_17partition_subalgoE4EjNS0_10empty_typeEbEEZZNS1_14partition_implILS8_4ELb0ES6_15HIP_vector_typeIjLj2EENS0_17counting_iteratorIjlEEPS9_SG_NS0_5tupleIJPjSI_NS0_16reverse_iteratorISI_EEEEENSH_IJSG_SG_SG_EEES9_SI_JZNS1_25segmented_radix_sort_implINS0_14default_configELb1EPKlPlSQ_SR_N2at6native12_GLOBAL__N_18offset_tEEE10hipError_tPvRmT1_PNSt15iterator_traitsISZ_E10value_typeET2_T3_PNS10_IS15_E10value_typeET4_jRbjT5_S1B_jjP12ihipStream_tbEUljE_ZNSN_ISO_Lb1ESQ_SR_SQ_SR_SV_EESW_SX_SY_SZ_S13_S14_S15_S18_S19_jS1A_jS1B_S1B_jjS1D_bEUljE0_EEESW_SX_SY_S15_S19_S1B_T6_T7_T9_mT8_S1D_bDpT10_ENKUlT_T0_E_clISt17integral_constantIbLb0EES1R_EEDaS1M_S1N_EUlS1M_E_NS1_11comp_targetILNS1_3genE8ELNS1_11target_archE1030ELNS1_3gpuE2ELNS1_3repE0EEENS1_30default_config_static_selectorELNS0_4arch9wavefront6targetE0EEEvSZ_,"axG",@progbits,_ZN7rocprim17ROCPRIM_400000_NS6detail17trampoline_kernelINS0_13select_configILj256ELj13ELNS0_17block_load_methodE3ELS4_3ELS4_3ELNS0_20block_scan_algorithmE0ELj4294967295EEENS1_25partition_config_selectorILNS1_17partition_subalgoE4EjNS0_10empty_typeEbEEZZNS1_14partition_implILS8_4ELb0ES6_15HIP_vector_typeIjLj2EENS0_17counting_iteratorIjlEEPS9_SG_NS0_5tupleIJPjSI_NS0_16reverse_iteratorISI_EEEEENSH_IJSG_SG_SG_EEES9_SI_JZNS1_25segmented_radix_sort_implINS0_14default_configELb1EPKlPlSQ_SR_N2at6native12_GLOBAL__N_18offset_tEEE10hipError_tPvRmT1_PNSt15iterator_traitsISZ_E10value_typeET2_T3_PNS10_IS15_E10value_typeET4_jRbjT5_S1B_jjP12ihipStream_tbEUljE_ZNSN_ISO_Lb1ESQ_SR_SQ_SR_SV_EESW_SX_SY_SZ_S13_S14_S15_S18_S19_jS1A_jS1B_S1B_jjS1D_bEUljE0_EEESW_SX_SY_S15_S19_S1B_T6_T7_T9_mT8_S1D_bDpT10_ENKUlT_T0_E_clISt17integral_constantIbLb0EES1R_EEDaS1M_S1N_EUlS1M_E_NS1_11comp_targetILNS1_3genE8ELNS1_11target_archE1030ELNS1_3gpuE2ELNS1_3repE0EEENS1_30default_config_static_selectorELNS0_4arch9wavefront6targetE0EEEvSZ_,comdat
	.globl	_ZN7rocprim17ROCPRIM_400000_NS6detail17trampoline_kernelINS0_13select_configILj256ELj13ELNS0_17block_load_methodE3ELS4_3ELS4_3ELNS0_20block_scan_algorithmE0ELj4294967295EEENS1_25partition_config_selectorILNS1_17partition_subalgoE4EjNS0_10empty_typeEbEEZZNS1_14partition_implILS8_4ELb0ES6_15HIP_vector_typeIjLj2EENS0_17counting_iteratorIjlEEPS9_SG_NS0_5tupleIJPjSI_NS0_16reverse_iteratorISI_EEEEENSH_IJSG_SG_SG_EEES9_SI_JZNS1_25segmented_radix_sort_implINS0_14default_configELb1EPKlPlSQ_SR_N2at6native12_GLOBAL__N_18offset_tEEE10hipError_tPvRmT1_PNSt15iterator_traitsISZ_E10value_typeET2_T3_PNS10_IS15_E10value_typeET4_jRbjT5_S1B_jjP12ihipStream_tbEUljE_ZNSN_ISO_Lb1ESQ_SR_SQ_SR_SV_EESW_SX_SY_SZ_S13_S14_S15_S18_S19_jS1A_jS1B_S1B_jjS1D_bEUljE0_EEESW_SX_SY_S15_S19_S1B_T6_T7_T9_mT8_S1D_bDpT10_ENKUlT_T0_E_clISt17integral_constantIbLb0EES1R_EEDaS1M_S1N_EUlS1M_E_NS1_11comp_targetILNS1_3genE8ELNS1_11target_archE1030ELNS1_3gpuE2ELNS1_3repE0EEENS1_30default_config_static_selectorELNS0_4arch9wavefront6targetE0EEEvSZ_ ; -- Begin function _ZN7rocprim17ROCPRIM_400000_NS6detail17trampoline_kernelINS0_13select_configILj256ELj13ELNS0_17block_load_methodE3ELS4_3ELS4_3ELNS0_20block_scan_algorithmE0ELj4294967295EEENS1_25partition_config_selectorILNS1_17partition_subalgoE4EjNS0_10empty_typeEbEEZZNS1_14partition_implILS8_4ELb0ES6_15HIP_vector_typeIjLj2EENS0_17counting_iteratorIjlEEPS9_SG_NS0_5tupleIJPjSI_NS0_16reverse_iteratorISI_EEEEENSH_IJSG_SG_SG_EEES9_SI_JZNS1_25segmented_radix_sort_implINS0_14default_configELb1EPKlPlSQ_SR_N2at6native12_GLOBAL__N_18offset_tEEE10hipError_tPvRmT1_PNSt15iterator_traitsISZ_E10value_typeET2_T3_PNS10_IS15_E10value_typeET4_jRbjT5_S1B_jjP12ihipStream_tbEUljE_ZNSN_ISO_Lb1ESQ_SR_SQ_SR_SV_EESW_SX_SY_SZ_S13_S14_S15_S18_S19_jS1A_jS1B_S1B_jjS1D_bEUljE0_EEESW_SX_SY_S15_S19_S1B_T6_T7_T9_mT8_S1D_bDpT10_ENKUlT_T0_E_clISt17integral_constantIbLb0EES1R_EEDaS1M_S1N_EUlS1M_E_NS1_11comp_targetILNS1_3genE8ELNS1_11target_archE1030ELNS1_3gpuE2ELNS1_3repE0EEENS1_30default_config_static_selectorELNS0_4arch9wavefront6targetE0EEEvSZ_
	.p2align	8
	.type	_ZN7rocprim17ROCPRIM_400000_NS6detail17trampoline_kernelINS0_13select_configILj256ELj13ELNS0_17block_load_methodE3ELS4_3ELS4_3ELNS0_20block_scan_algorithmE0ELj4294967295EEENS1_25partition_config_selectorILNS1_17partition_subalgoE4EjNS0_10empty_typeEbEEZZNS1_14partition_implILS8_4ELb0ES6_15HIP_vector_typeIjLj2EENS0_17counting_iteratorIjlEEPS9_SG_NS0_5tupleIJPjSI_NS0_16reverse_iteratorISI_EEEEENSH_IJSG_SG_SG_EEES9_SI_JZNS1_25segmented_radix_sort_implINS0_14default_configELb1EPKlPlSQ_SR_N2at6native12_GLOBAL__N_18offset_tEEE10hipError_tPvRmT1_PNSt15iterator_traitsISZ_E10value_typeET2_T3_PNS10_IS15_E10value_typeET4_jRbjT5_S1B_jjP12ihipStream_tbEUljE_ZNSN_ISO_Lb1ESQ_SR_SQ_SR_SV_EESW_SX_SY_SZ_S13_S14_S15_S18_S19_jS1A_jS1B_S1B_jjS1D_bEUljE0_EEESW_SX_SY_S15_S19_S1B_T6_T7_T9_mT8_S1D_bDpT10_ENKUlT_T0_E_clISt17integral_constantIbLb0EES1R_EEDaS1M_S1N_EUlS1M_E_NS1_11comp_targetILNS1_3genE8ELNS1_11target_archE1030ELNS1_3gpuE2ELNS1_3repE0EEENS1_30default_config_static_selectorELNS0_4arch9wavefront6targetE0EEEvSZ_,@function
_ZN7rocprim17ROCPRIM_400000_NS6detail17trampoline_kernelINS0_13select_configILj256ELj13ELNS0_17block_load_methodE3ELS4_3ELS4_3ELNS0_20block_scan_algorithmE0ELj4294967295EEENS1_25partition_config_selectorILNS1_17partition_subalgoE4EjNS0_10empty_typeEbEEZZNS1_14partition_implILS8_4ELb0ES6_15HIP_vector_typeIjLj2EENS0_17counting_iteratorIjlEEPS9_SG_NS0_5tupleIJPjSI_NS0_16reverse_iteratorISI_EEEEENSH_IJSG_SG_SG_EEES9_SI_JZNS1_25segmented_radix_sort_implINS0_14default_configELb1EPKlPlSQ_SR_N2at6native12_GLOBAL__N_18offset_tEEE10hipError_tPvRmT1_PNSt15iterator_traitsISZ_E10value_typeET2_T3_PNS10_IS15_E10value_typeET4_jRbjT5_S1B_jjP12ihipStream_tbEUljE_ZNSN_ISO_Lb1ESQ_SR_SQ_SR_SV_EESW_SX_SY_SZ_S13_S14_S15_S18_S19_jS1A_jS1B_S1B_jjS1D_bEUljE0_EEESW_SX_SY_S15_S19_S1B_T6_T7_T9_mT8_S1D_bDpT10_ENKUlT_T0_E_clISt17integral_constantIbLb0EES1R_EEDaS1M_S1N_EUlS1M_E_NS1_11comp_targetILNS1_3genE8ELNS1_11target_archE1030ELNS1_3gpuE2ELNS1_3repE0EEENS1_30default_config_static_selectorELNS0_4arch9wavefront6targetE0EEEvSZ_: ; @_ZN7rocprim17ROCPRIM_400000_NS6detail17trampoline_kernelINS0_13select_configILj256ELj13ELNS0_17block_load_methodE3ELS4_3ELS4_3ELNS0_20block_scan_algorithmE0ELj4294967295EEENS1_25partition_config_selectorILNS1_17partition_subalgoE4EjNS0_10empty_typeEbEEZZNS1_14partition_implILS8_4ELb0ES6_15HIP_vector_typeIjLj2EENS0_17counting_iteratorIjlEEPS9_SG_NS0_5tupleIJPjSI_NS0_16reverse_iteratorISI_EEEEENSH_IJSG_SG_SG_EEES9_SI_JZNS1_25segmented_radix_sort_implINS0_14default_configELb1EPKlPlSQ_SR_N2at6native12_GLOBAL__N_18offset_tEEE10hipError_tPvRmT1_PNSt15iterator_traitsISZ_E10value_typeET2_T3_PNS10_IS15_E10value_typeET4_jRbjT5_S1B_jjP12ihipStream_tbEUljE_ZNSN_ISO_Lb1ESQ_SR_SQ_SR_SV_EESW_SX_SY_SZ_S13_S14_S15_S18_S19_jS1A_jS1B_S1B_jjS1D_bEUljE0_EEESW_SX_SY_S15_S19_S1B_T6_T7_T9_mT8_S1D_bDpT10_ENKUlT_T0_E_clISt17integral_constantIbLb0EES1R_EEDaS1M_S1N_EUlS1M_E_NS1_11comp_targetILNS1_3genE8ELNS1_11target_archE1030ELNS1_3gpuE2ELNS1_3repE0EEENS1_30default_config_static_selectorELNS0_4arch9wavefront6targetE0EEEvSZ_
; %bb.0:
	s_clause 0x6
	s_load_dword s3, s[4:5], 0x80
	s_load_dwordx2 s[34:35], s[4:5], 0x10
	s_load_dwordx2 s[0:1], s[4:5], 0x68
	s_load_dword s7, s[4:5], 0x8
	s_load_dwordx4 s[24:27], s[4:5], 0x58
	s_load_dwordx2 s[40:41], s[4:5], 0xa8
	s_load_dwordx8 s[16:23], s[4:5], 0x88
	s_mul_i32 s42, s6, 0xd00
	s_waitcnt lgkmcnt(0)
	s_mul_i32 s2, s3, 0xd00
	s_add_i32 s3, s3, -1
	s_add_u32 s8, s34, s2
	s_addc_u32 s9, s35, 0
	s_load_dwordx4 s[28:31], s[26:27], 0x0
	s_cmp_eq_u32 s6, s3
	v_cmp_gt_u64_e64 s1, s[0:1], s[8:9]
	s_cselect_b32 s33, -1, 0
	s_cmp_lg_u32 s6, s3
	s_cselect_b32 s3, -1, 0
	s_add_i32 s7, s7, s42
	s_or_b32 s1, s3, s1
	s_add_i32 s7, s7, s34
	s_and_b32 vcc_lo, exec_lo, s1
	v_add_nc_u32_e32 v1, s7, v0
	s_mov_b32 s3, -1
	v_add_nc_u32_e32 v2, 0x100, v1
	v_add_nc_u32_e32 v3, 0x200, v1
	;; [unrolled: 1-line block ×12, first 2 shown]
	s_cbranch_vccz .LBB641_2
; %bb.1:
	v_lshlrev_b32_e32 v14, 2, v0
	s_mov_b32 s3, 0
	ds_write2st64_b32 v14, v1, v2 offset1:4
	ds_write2st64_b32 v14, v3, v4 offset0:8 offset1:12
	ds_write2st64_b32 v14, v5, v6 offset0:16 offset1:20
	;; [unrolled: 1-line block ×5, first 2 shown]
	ds_write_b32 v14, v13 offset:12288
	s_waitcnt lgkmcnt(0)
	s_barrier
.LBB641_2:
	s_andn2_b32 vcc_lo, exec_lo, s3
	s_add_i32 s2, s2, s34
	s_cbranch_vccnz .LBB641_4
; %bb.3:
	v_lshlrev_b32_e32 v14, 2, v0
	ds_write2st64_b32 v14, v1, v2 offset1:4
	ds_write2st64_b32 v14, v3, v4 offset0:8 offset1:12
	ds_write2st64_b32 v14, v5, v6 offset0:16 offset1:20
	;; [unrolled: 1-line block ×5, first 2 shown]
	ds_write_b32 v14, v13 offset:12288
	s_waitcnt lgkmcnt(0)
	s_barrier
.LBB641_4:
	v_mul_u32_u24_e32 v29, 13, v0
	s_clause 0x1
	s_load_dwordx4 s[36:39], s[4:5], 0x28
	s_load_dwordx2 s[26:27], s[4:5], 0x38
	s_waitcnt lgkmcnt(0)
	buffer_gl0_inv
	v_cndmask_b32_e64 v27, 0, 1, s1
	s_sub_i32 s43, s0, s2
	v_lshlrev_b32_e32 v1, 2, v29
	s_andn2_b32 vcc_lo, exec_lo, s1
	ds_read_b32 v28, v1 offset:48
	ds_read2_b32 v[9:10], v1 offset0:10 offset1:11
	ds_read2_b32 v[11:12], v1 offset0:8 offset1:9
	;; [unrolled: 1-line block ×4, first 2 shown]
	ds_read2_b32 v[19:20], v1 offset1:1
	ds_read2_b32 v[17:18], v1 offset0:2 offset1:3
	s_waitcnt lgkmcnt(0)
	s_barrier
	buffer_gl0_inv
	s_cbranch_vccnz .LBB641_32
; %bb.5:
	v_add_nc_u32_e32 v1, s17, v19
	v_add_nc_u32_e32 v2, s19, v19
	s_mov_b32 s45, 0
	s_mov_b32 s44, 0
	s_mov_b32 s1, exec_lo
	v_mul_lo_u32 v1, v1, s16
	v_mul_lo_u32 v2, v2, s18
	v_sub_nc_u32_e32 v1, v1, v2
	v_cmp_lt_u32_e32 vcc_lo, s20, v1
	v_cmpx_ge_u32_e64 s20, v1
	s_cbranch_execz .LBB641_7
; %bb.6:
	v_add_nc_u32_e32 v1, s22, v19
	v_add_nc_u32_e32 v2, s40, v19
	v_mul_lo_u32 v1, v1, s21
	v_mul_lo_u32 v2, v2, s23
	v_sub_nc_u32_e32 v1, v1, v2
	v_cmp_lt_u32_e64 s0, s41, v1
	s_and_b32 s44, s0, exec_lo
.LBB641_7:
	s_or_b32 exec_lo, exec_lo, s1
	v_add_nc_u32_e32 v1, s17, v20
	v_add_nc_u32_e32 v2, s19, v20
	s_mov_b32 s2, exec_lo
	v_mul_lo_u32 v1, v1, s16
	v_mul_lo_u32 v2, v2, s18
	v_sub_nc_u32_e32 v1, v1, v2
	v_cmp_lt_u32_e64 s0, s20, v1
	v_cmpx_ge_u32_e64 s20, v1
	s_cbranch_execz .LBB641_9
; %bb.8:
	v_add_nc_u32_e32 v1, s22, v20
	v_add_nc_u32_e32 v2, s40, v20
	v_mul_lo_u32 v1, v1, s21
	v_mul_lo_u32 v2, v2, s23
	v_sub_nc_u32_e32 v1, v1, v2
	v_cmp_lt_u32_e64 s1, s41, v1
	s_and_b32 s45, s1, exec_lo
.LBB641_9:
	s_or_b32 exec_lo, exec_lo, s2
	v_add_nc_u32_e32 v1, s17, v17
	v_add_nc_u32_e32 v2, s19, v17
	s_mov_b32 s47, 0
	s_mov_b32 s46, 0
	s_mov_b32 s3, exec_lo
	v_mul_lo_u32 v1, v1, s16
	v_mul_lo_u32 v2, v2, s18
	v_sub_nc_u32_e32 v1, v1, v2
	v_cmp_lt_u32_e64 s1, s20, v1
	v_cmpx_ge_u32_e64 s20, v1
	s_cbranch_execz .LBB641_11
; %bb.10:
	v_add_nc_u32_e32 v1, s22, v17
	v_add_nc_u32_e32 v2, s40, v17
	v_mul_lo_u32 v1, v1, s21
	v_mul_lo_u32 v2, v2, s23
	v_sub_nc_u32_e32 v1, v1, v2
	v_cmp_lt_u32_e64 s2, s41, v1
	s_and_b32 s46, s2, exec_lo
.LBB641_11:
	s_or_b32 exec_lo, exec_lo, s3
	v_add_nc_u32_e32 v1, s17, v18
	v_add_nc_u32_e32 v2, s19, v18
	s_mov_b32 s7, exec_lo
	v_mul_lo_u32 v1, v1, s16
	v_mul_lo_u32 v2, v2, s18
	v_sub_nc_u32_e32 v1, v1, v2
	v_cmp_lt_u32_e64 s2, s20, v1
	v_cmpx_ge_u32_e64 s20, v1
	s_cbranch_execz .LBB641_13
; %bb.12:
	v_add_nc_u32_e32 v1, s22, v18
	v_add_nc_u32_e32 v2, s40, v18
	v_mul_lo_u32 v1, v1, s21
	v_mul_lo_u32 v2, v2, s23
	v_sub_nc_u32_e32 v1, v1, v2
	v_cmp_lt_u32_e64 s3, s41, v1
	s_and_b32 s47, s3, exec_lo
.LBB641_13:
	s_or_b32 exec_lo, exec_lo, s7
	v_add_nc_u32_e32 v1, s17, v15
	v_add_nc_u32_e32 v2, s19, v15
	s_mov_b32 s49, 0
	s_mov_b32 s48, 0
	s_mov_b32 s8, exec_lo
	v_mul_lo_u32 v1, v1, s16
	v_mul_lo_u32 v2, v2, s18
	v_sub_nc_u32_e32 v1, v1, v2
	v_cmp_lt_u32_e64 s3, s20, v1
	;; [unrolled: 40-line block ×6, first 2 shown]
	v_cmpx_ge_u32_e64 s20, v1
	s_cbranch_execz .LBB641_31
; %bb.30:
	v_add_nc_u32_e32 v1, s22, v28
	v_add_nc_u32_e32 v2, s40, v28
	v_mul_lo_u32 v1, v1, s21
	v_mul_lo_u32 v2, v2, s23
	v_sub_nc_u32_e32 v1, v1, v2
	v_cmp_lt_u32_e64 s15, s41, v1
	s_and_b32 s57, s15, exec_lo
.LBB641_31:
	s_or_b32 exec_lo, exec_lo, s58
	v_cndmask_b32_e64 v2, 0, 1, s0
	v_cndmask_b32_e64 v4, 0, 1, s2
	v_cndmask_b32_e64 v1, 0, 1, vcc_lo
	v_cndmask_b32_e64 v3, 0, 1, s1
	v_cndmask_b32_e64 v6, 0, 1, s7
	v_lshlrev_b16 v2, 8, v2
	v_lshlrev_b16 v4, 8, v4
	v_cndmask_b32_e64 v8, 0, 1, s9
	v_cndmask_b32_e64 v22, 0, 1, s11
	;; [unrolled: 1-line block ×3, first 2 shown]
	v_or_b32_e32 v1, v1, v2
	v_or_b32_sdwa v2, v3, v4 dst_sel:WORD_1 dst_unused:UNUSED_PAD src0_sel:DWORD src1_sel:DWORD
	v_cndmask_b32_e64 v3, 0, 1, s44
	v_cndmask_b32_e64 v5, 0, 1, s3
	;; [unrolled: 1-line block ×11, first 2 shown]
	v_or_b32_sdwa v30, v1, v2 dst_sel:DWORD dst_unused:UNUSED_PAD src0_sel:WORD_0 src1_sel:DWORD
	v_lshlrev_b16 v1, 8, v6
	v_lshlrev_b16 v2, 8, v8
	;; [unrolled: 1-line block ×5, first 2 shown]
	v_cndmask_b32_e64 v26, 0, 1, s53
	v_cndmask_b32_e64 v32, 0, 1, s51
	;; [unrolled: 1-line block ×5, first 2 shown]
	v_or_b32_e32 v1, v5, v1
	v_or_b32_sdwa v2, v7, v2 dst_sel:WORD_1 dst_unused:UNUSED_PAD src0_sel:DWORD src1_sel:DWORD
	v_or_b32_e32 v5, v21, v6
	v_or_b32_sdwa v6, v23, v8 dst_sel:WORD_1 dst_unused:UNUSED_PAD src0_sel:DWORD src1_sel:DWORD
	v_or_b32_e32 v3, v4, v3
	v_lshlrev_b16 v4, 8, v39
	v_lshlrev_b16 v7, 8, v36
	;; [unrolled: 1-line block ×5, first 2 shown]
	v_or_b32_sdwa v4, v40, v4 dst_sel:WORD_1 dst_unused:UNUSED_PAD src0_sel:DWORD src1_sel:DWORD
	v_or_b32_e32 v7, v38, v7
	v_or_b32_sdwa v8, v35, v8 dst_sel:WORD_1 dst_unused:UNUSED_PAD src0_sel:DWORD src1_sel:DWORD
	v_or_b32_e32 v21, v32, v21
	v_or_b32_sdwa v22, v26, v22 dst_sel:WORD_1 dst_unused:UNUSED_PAD src0_sel:DWORD src1_sel:DWORD
	v_cndmask_b32_e64 v34, 0, 1, s55
	v_cndmask_b32_e64 v37, 0, 1, s57
	v_or_b32_sdwa v32, v1, v2 dst_sel:DWORD dst_unused:UNUSED_PAD src0_sel:WORD_0 src1_sel:DWORD
	v_or_b32_sdwa v35, v5, v6 dst_sel:DWORD dst_unused:UNUSED_PAD src0_sel:WORD_0 src1_sel:DWORD
	v_or_b32_sdwa v36, v3, v4 dst_sel:DWORD dst_unused:UNUSED_PAD src0_sel:WORD_0 src1_sel:DWORD
	v_or_b32_sdwa v31, v7, v8 dst_sel:DWORD dst_unused:UNUSED_PAD src0_sel:WORD_0 src1_sel:DWORD
	v_or_b32_sdwa v33, v21, v22 dst_sel:DWORD dst_unused:UNUSED_PAD src0_sel:WORD_0 src1_sel:DWORD
	s_load_dwordx2 s[4:5], s[4:5], 0x78
	s_and_b32 vcc_lo, exec_lo, s54
	s_add_i32 s7, s43, 0xd00
	s_cbranch_vccnz .LBB641_33
	s_branch .LBB641_110
.LBB641_32:
                                        ; implicit-def: $vgpr37
                                        ; implicit-def: $vgpr34
                                        ; implicit-def: $vgpr33
                                        ; implicit-def: $vgpr31
                                        ; implicit-def: $vgpr36
                                        ; implicit-def: $vgpr35
                                        ; implicit-def: $vgpr32
                                        ; implicit-def: $vgpr30
	s_load_dwordx2 s[4:5], s[4:5], 0x78
	s_add_i32 s7, s43, 0xd00
	s_cbranch_execz .LBB641_110
.LBB641_33:
	v_mov_b32_e32 v2, 0
	v_mov_b32_e32 v1, 0
	s_mov_b32 s1, exec_lo
	v_cmpx_gt_u32_e64 s7, v29
	s_cbranch_execz .LBB641_37
; %bb.34:
	v_add_nc_u32_e32 v1, s17, v19
	v_add_nc_u32_e32 v2, s19, v19
	s_mov_b32 s3, 0
	s_mov_b32 s2, exec_lo
	v_mul_lo_u32 v1, v1, s16
	v_mul_lo_u32 v2, v2, s18
	v_sub_nc_u32_e32 v1, v1, v2
	v_cmp_lt_u32_e32 vcc_lo, s20, v1
	v_cmpx_ge_u32_e64 s20, v1
	s_cbranch_execz .LBB641_36
; %bb.35:
	v_add_nc_u32_e32 v1, s22, v19
	v_add_nc_u32_e32 v2, s40, v19
	v_mul_lo_u32 v1, v1, s21
	v_mul_lo_u32 v2, v2, s23
	v_sub_nc_u32_e32 v1, v1, v2
	v_cmp_lt_u32_e64 s0, s41, v1
	s_and_b32 s3, s0, exec_lo
.LBB641_36:
	s_or_b32 exec_lo, exec_lo, s2
	v_cndmask_b32_e64 v2, 0, 1, s3
	v_cndmask_b32_e64 v1, 0, 1, vcc_lo
.LBB641_37:
	s_or_b32 exec_lo, exec_lo, s1
	v_add_nc_u32_e32 v3, 1, v29
	v_lshlrev_b16 v21, 8, v2
	v_and_b32_e32 v6, 0xff, v1
	v_lshlrev_b16 v7, 8, 0
                                        ; implicit-def: $vgpr5
                                        ; implicit-def: $vgpr8
                                        ; implicit-def: $vgpr2
                                        ; implicit-def: $vgpr4
	v_cmp_le_u32_e32 vcc_lo, s7, v3
                                        ; implicit-def: $vgpr3
	s_and_saveexec_b32 s0, vcc_lo
	s_xor_b32 s0, exec_lo, s0
	s_cbranch_execz .LBB641_39
; %bb.38:
	v_mov_b32_e32 v1, 8
	v_mov_b32_e32 v2, 0xff
	v_mov_b32_e32 v5, 0
	v_and_b32_e32 v4, 0xffff, v7
	v_and_b32_e32 v3, 0xffff, v7
	v_lshrrev_b32_sdwa v1, v1, v21 dst_sel:BYTE_1 dst_unused:UNUSED_PAD src0_sel:DWORD src1_sel:WORD_0
	v_and_b32_sdwa v2, v21, v2 dst_sel:DWORD dst_unused:UNUSED_PAD src0_sel:WORD_0 src1_sel:DWORD
                                        ; implicit-def: $vgpr21
	v_or_b32_e32 v1, v2, v1
	v_and_b32_e32 v2, 0xffff, v7
                                        ; implicit-def: $vgpr7
	v_and_b32_e32 v8, 0xffff, v1
                                        ; implicit-def: $vgpr1
.LBB641_39:
	s_andn2_saveexec_b32 s1, s0
	s_cbranch_execz .LBB641_43
; %bb.40:
	v_add_nc_u32_e32 v2, s17, v20
	v_add_nc_u32_e32 v3, s19, v20
	s_mov_b32 s2, 0
	s_mov_b32 s3, exec_lo
	v_mul_lo_u32 v2, v2, s16
	v_mul_lo_u32 v3, v3, s18
	v_sub_nc_u32_e32 v2, v2, v3
	v_cmp_lt_u32_e32 vcc_lo, s20, v2
	v_cmpx_ge_u32_e64 s20, v2
	s_cbranch_execz .LBB641_42
; %bb.41:
	v_add_nc_u32_e32 v2, s22, v20
	v_add_nc_u32_e32 v3, s40, v20
	v_mul_lo_u32 v2, v2, s21
	v_mul_lo_u32 v3, v3, s23
	v_sub_nc_u32_e32 v2, v2, v3
	v_cmp_lt_u32_e64 s0, s41, v2
	s_and_b32 s2, s0, exec_lo
.LBB641_42:
	s_or_b32 exec_lo, exec_lo, s3
	v_mov_b32_e32 v2, 0xff
	v_mov_b32_e32 v3, 8
	v_cndmask_b32_e64 v4, 0, 1, vcc_lo
	v_mov_b32_e32 v5, 0
	v_and_b32_sdwa v2, v21, v2 dst_sel:DWORD dst_unused:UNUSED_PAD src0_sel:WORD_0 src1_sel:DWORD
	v_lshrrev_b32_sdwa v3, v3, v21 dst_sel:BYTE_1 dst_unused:UNUSED_PAD src0_sel:DWORD src1_sel:WORD_0
	v_lshlrev_b16 v4, 8, v4
	v_or_b32_e32 v2, v2, v3
	v_cndmask_b32_e64 v3, 0, 1, s2
	v_or_b32_sdwa v1, v1, v4 dst_sel:DWORD dst_unused:UNUSED_PAD src0_sel:BYTE_0 src1_sel:DWORD
	v_and_b32_e32 v4, 0xffff, v7
	v_and_b32_e32 v8, 0xffff, v2
	v_mov_b32_e32 v2, 0
	v_and_b32_e32 v6, 0xffff, v1
	v_lshl_or_b32 v8, v3, 16, v8
	v_and_b32_e32 v3, 0xffff, v7
.LBB641_43:
	s_or_b32 exec_lo, exec_lo, s1
	v_add_nc_u32_e32 v1, 2, v29
                                        ; implicit-def: $vgpr7
	v_cmp_le_u32_e32 vcc_lo, s7, v1
                                        ; implicit-def: $vgpr1
	s_and_saveexec_b32 s0, vcc_lo
	s_xor_b32 s0, exec_lo, s0
	s_cbranch_execz .LBB641_45
; %bb.44:
	v_lshrrev_b32_e32 v1, 24, v6
	v_mov_b32_e32 v7, 8
	v_and_b32_e32 v21, 0xff0000, v8
	v_perm_b32 v4, v4, v4, 0x3060504
	v_perm_b32 v1, v1, v6, 0x40c0100
	v_lshrrev_b32_sdwa v6, v7, v1 dst_sel:BYTE_1 dst_unused:UNUSED_PAD src0_sel:DWORD src1_sel:DWORD
	v_or_b32_sdwa v6, v1, v6 dst_sel:DWORD dst_unused:UNUSED_PAD src0_sel:BYTE_0 src1_sel:DWORD
	v_and_b32_e32 v6, 0xffff, v6
	v_and_or_b32 v7, 0xff000000, v1, v6
	v_perm_b32 v1, v8, v21, 0x3020504
                                        ; implicit-def: $vgpr6
                                        ; implicit-def: $vgpr8
.LBB641_45:
	s_andn2_saveexec_b32 s1, s0
	s_cbranch_execz .LBB641_49
; %bb.46:
	v_add_nc_u32_e32 v1, s17, v17
	v_add_nc_u32_e32 v7, s19, v17
	s_mov_b32 s2, 0
	s_mov_b32 s3, exec_lo
	v_mul_lo_u32 v1, v1, s16
	v_mul_lo_u32 v7, v7, s18
	v_sub_nc_u32_e32 v1, v1, v7
	v_cmp_lt_u32_e32 vcc_lo, s20, v1
	v_cmpx_ge_u32_e64 s20, v1
	s_cbranch_execz .LBB641_48
; %bb.47:
	v_add_nc_u32_e32 v1, s22, v17
	v_add_nc_u32_e32 v7, s40, v17
	v_mul_lo_u32 v1, v1, s21
	v_mul_lo_u32 v7, v7, s23
	v_sub_nc_u32_e32 v1, v1, v7
	v_cmp_lt_u32_e64 s0, s41, v1
	s_and_b32 s2, s0, exec_lo
.LBB641_48:
	s_or_b32 exec_lo, exec_lo, s3
	v_mov_b32_e32 v1, 8
	v_mov_b32_e32 v7, 24
	v_cndmask_b32_e64 v22, 0, 1, s2
	v_mov_b32_e32 v23, 0xff
	v_cndmask_b32_e64 v21, 0, 1, vcc_lo
	v_lshrrev_b32_sdwa v24, v1, v6 dst_sel:BYTE_1 dst_unused:UNUSED_PAD src0_sel:DWORD src1_sel:DWORD
	v_lshrrev_b32_sdwa v7, v7, v6 dst_sel:BYTE_1 dst_unused:UNUSED_PAD src0_sel:DWORD src1_sel:DWORD
	;; [unrolled: 1-line block ×3, first 2 shown]
	v_lshlrev_b16 v22, 8, v22
	v_and_b32_sdwa v23, v8, v23 dst_sel:DWORD dst_unused:UNUSED_PAD src0_sel:WORD_1 src1_sel:DWORD
	v_or_b32_sdwa v6, v6, v24 dst_sel:DWORD dst_unused:UNUSED_PAD src0_sel:BYTE_0 src1_sel:DWORD
	v_or_b32_sdwa v7, v21, v7 dst_sel:WORD_1 dst_unused:UNUSED_PAD src0_sel:DWORD src1_sel:DWORD
	v_or_b32_sdwa v1, v8, v1 dst_sel:DWORD dst_unused:UNUSED_PAD src0_sel:BYTE_0 src1_sel:DWORD
	v_or_b32_sdwa v8, v23, v22 dst_sel:WORD_1 dst_unused:UNUSED_PAD src0_sel:DWORD src1_sel:DWORD
	v_or_b32_sdwa v7, v6, v7 dst_sel:DWORD dst_unused:UNUSED_PAD src0_sel:WORD_0 src1_sel:DWORD
	v_or_b32_sdwa v1, v1, v8 dst_sel:DWORD dst_unused:UNUSED_PAD src0_sel:WORD_0 src1_sel:DWORD
.LBB641_49:
	s_or_b32 exec_lo, exec_lo, s1
	v_add_nc_u32_e32 v6, 3, v29
                                        ; implicit-def: $vgpr30
	v_cmp_le_u32_e32 vcc_lo, s7, v6
                                        ; implicit-def: $vgpr6
	s_and_saveexec_b32 s0, vcc_lo
	s_xor_b32 s0, exec_lo, s0
	s_cbranch_execz .LBB641_51
; %bb.50:
	v_mov_b32_e32 v6, 24
	v_mov_b32_e32 v8, 0xff
	;; [unrolled: 1-line block ×3, first 2 shown]
	v_and_b32_e32 v22, 0xff0000, v7
	v_perm_b32 v4, v4, v4, 0x3060504
	v_lshrrev_b32_sdwa v6, v6, v5 dst_sel:BYTE_1 dst_unused:UNUSED_PAD src0_sel:DWORD src1_sel:DWORD
	v_and_b32_sdwa v8, v5, v8 dst_sel:DWORD dst_unused:UNUSED_PAD src0_sel:WORD_1 src1_sel:DWORD
	v_lshrrev_b32_sdwa v5, v21, v5 dst_sel:BYTE_1 dst_unused:UNUSED_PAD src0_sel:DWORD src1_sel:DWORD
	v_perm_b32 v30, v7, v22, 0x3020504
	v_perm_b32 v3, v3, v3, 0x3060504
                                        ; implicit-def: $vgpr7
	v_or_b32_sdwa v6, v8, v6 dst_sel:WORD_1 dst_unused:UNUSED_PAD src0_sel:DWORD src1_sel:DWORD
	v_or_b32_sdwa v6, v5, v6 dst_sel:DWORD dst_unused:UNUSED_PAD src0_sel:WORD_0 src1_sel:DWORD
                                        ; implicit-def: $vgpr5
.LBB641_51:
	s_andn2_saveexec_b32 s1, s0
	s_cbranch_execz .LBB641_55
; %bb.52:
	v_add_nc_u32_e32 v6, s17, v18
	v_add_nc_u32_e32 v8, s19, v18
	s_mov_b32 s2, 0
	s_mov_b32 s3, exec_lo
	v_mul_lo_u32 v6, v6, s16
	v_mul_lo_u32 v8, v8, s18
	v_sub_nc_u32_e32 v6, v6, v8
	v_cmp_lt_u32_e32 vcc_lo, s20, v6
	v_cmpx_ge_u32_e64 s20, v6
	s_cbranch_execz .LBB641_54
; %bb.53:
	v_add_nc_u32_e32 v6, s22, v18
	v_add_nc_u32_e32 v8, s40, v18
	v_mul_lo_u32 v6, v6, s21
	v_mul_lo_u32 v8, v8, s23
	v_sub_nc_u32_e32 v6, v6, v8
	v_cmp_lt_u32_e64 s0, s41, v6
	s_and_b32 s2, s0, exec_lo
.LBB641_54:
	s_or_b32 exec_lo, exec_lo, s3
	v_mov_b32_e32 v6, 8
	v_cndmask_b32_e64 v8, 0, 1, vcc_lo
	v_mov_b32_e32 v21, 0xff
	v_mov_b32_e32 v22, 24
	v_cndmask_b32_e64 v23, 0, 1, s2
	v_lshrrev_b32_sdwa v24, v6, v7 dst_sel:BYTE_1 dst_unused:UNUSED_PAD src0_sel:DWORD src1_sel:DWORD
	v_lshlrev_b16 v8, 8, v8
	v_and_b32_sdwa v25, v7, v21 dst_sel:DWORD dst_unused:UNUSED_PAD src0_sel:WORD_1 src1_sel:DWORD
	v_lshrrev_b32_sdwa v22, v22, v5 dst_sel:BYTE_1 dst_unused:UNUSED_PAD src0_sel:DWORD src1_sel:DWORD
	v_and_b32_sdwa v21, v5, v21 dst_sel:DWORD dst_unused:UNUSED_PAD src0_sel:WORD_1 src1_sel:DWORD
	v_lshrrev_b32_sdwa v5, v6, v5 dst_sel:BYTE_1 dst_unused:UNUSED_PAD src0_sel:DWORD src1_sel:DWORD
	v_or_b32_sdwa v6, v7, v24 dst_sel:DWORD dst_unused:UNUSED_PAD src0_sel:BYTE_0 src1_sel:DWORD
	v_or_b32_sdwa v7, v25, v8 dst_sel:WORD_1 dst_unused:UNUSED_PAD src0_sel:DWORD src1_sel:DWORD
	v_or_b32_sdwa v8, v21, v22 dst_sel:WORD_1 dst_unused:UNUSED_PAD src0_sel:DWORD src1_sel:DWORD
	v_or_b32_e32 v5, v23, v5
	v_or_b32_sdwa v30, v6, v7 dst_sel:DWORD dst_unused:UNUSED_PAD src0_sel:WORD_0 src1_sel:DWORD
	v_or_b32_sdwa v6, v5, v8 dst_sel:DWORD dst_unused:UNUSED_PAD src0_sel:WORD_0 src1_sel:DWORD
.LBB641_55:
	s_or_b32 exec_lo, exec_lo, s1
	v_add_nc_u32_e32 v5, 4, v29
                                        ; implicit-def: $vgpr7
	v_cmp_le_u32_e32 vcc_lo, s7, v5
                                        ; implicit-def: $vgpr5
	s_and_saveexec_b32 s0, vcc_lo
	s_xor_b32 s0, exec_lo, s0
	s_cbranch_execz .LBB641_57
; %bb.56:
	v_mov_b32_e32 v5, 24
	v_mov_b32_e32 v7, 0xff
	;; [unrolled: 1-line block ×3, first 2 shown]
	v_perm_b32 v3, v3, v3, 0x3060504
	v_lshrrev_b32_sdwa v21, v5, v4 dst_sel:BYTE_1 dst_unused:UNUSED_PAD src0_sel:DWORD src1_sel:DWORD
	v_and_b32_sdwa v22, v4, v7 dst_sel:DWORD dst_unused:UNUSED_PAD src0_sel:WORD_1 src1_sel:DWORD
	v_lshrrev_b32_sdwa v5, v5, v6 dst_sel:BYTE_1 dst_unused:UNUSED_PAD src0_sel:DWORD src1_sel:DWORD
	v_and_b32_sdwa v7, v6, v7 dst_sel:DWORD dst_unused:UNUSED_PAD src0_sel:WORD_1 src1_sel:DWORD
	v_lshrrev_b32_sdwa v4, v8, v4 dst_sel:BYTE_1 dst_unused:UNUSED_PAD src0_sel:DWORD src1_sel:DWORD
	v_or_b32_sdwa v8, v22, v21 dst_sel:WORD_1 dst_unused:UNUSED_PAD src0_sel:DWORD src1_sel:DWORD
	v_or_b32_e32 v7, v7, v5
	v_or_b32_sdwa v5, v4, v8 dst_sel:DWORD dst_unused:UNUSED_PAD src0_sel:WORD_0 src1_sel:DWORD
                                        ; implicit-def: $vgpr4
	v_perm_b32 v7, v7, v6, 0x5040c00
                                        ; implicit-def: $vgpr6
.LBB641_57:
	s_andn2_saveexec_b32 s1, s0
	s_cbranch_execz .LBB641_61
; %bb.58:
	v_add_nc_u32_e32 v5, s17, v15
	v_add_nc_u32_e32 v7, s19, v15
	s_mov_b32 s2, 0
	s_mov_b32 s3, exec_lo
	v_mul_lo_u32 v5, v5, s16
	v_mul_lo_u32 v7, v7, s18
	v_sub_nc_u32_e32 v5, v5, v7
	v_cmp_lt_u32_e32 vcc_lo, s20, v5
	v_cmpx_ge_u32_e64 s20, v5
	s_cbranch_execz .LBB641_60
; %bb.59:
	v_add_nc_u32_e32 v5, s22, v15
	v_add_nc_u32_e32 v7, s40, v15
	v_mul_lo_u32 v5, v5, s21
	v_mul_lo_u32 v7, v7, s23
	v_sub_nc_u32_e32 v5, v5, v7
	v_cmp_lt_u32_e64 s0, s41, v5
	s_and_b32 s2, s0, exec_lo
.LBB641_60:
	s_or_b32 exec_lo, exec_lo, s3
	v_mov_b32_e32 v5, 24
	v_mov_b32_e32 v7, 0xff
	;; [unrolled: 1-line block ×3, first 2 shown]
	v_cndmask_b32_e64 v21, 0, 1, s2
	v_cndmask_b32_e64 v22, 0, 1, vcc_lo
	v_lshrrev_b32_sdwa v23, v5, v4 dst_sel:BYTE_1 dst_unused:UNUSED_PAD src0_sel:DWORD src1_sel:DWORD
	v_and_b32_sdwa v24, v4, v7 dst_sel:DWORD dst_unused:UNUSED_PAD src0_sel:WORD_1 src1_sel:DWORD
	v_lshrrev_b32_sdwa v4, v8, v4 dst_sel:BYTE_1 dst_unused:UNUSED_PAD src0_sel:DWORD src1_sel:DWORD
	v_lshlrev_b16 v8, 8, v21
	v_lshrrev_b32_sdwa v5, v5, v6 dst_sel:BYTE_1 dst_unused:UNUSED_PAD src0_sel:DWORD src1_sel:DWORD
	v_and_b32_sdwa v7, v6, v7 dst_sel:DWORD dst_unused:UNUSED_PAD src0_sel:WORD_1 src1_sel:DWORD
	v_or_b32_sdwa v21, v24, v23 dst_sel:WORD_1 dst_unused:UNUSED_PAD src0_sel:DWORD src1_sel:DWORD
	v_or_b32_e32 v4, v22, v4
	v_or_b32_sdwa v6, v6, v8 dst_sel:DWORD dst_unused:UNUSED_PAD src0_sel:BYTE_0 src1_sel:DWORD
	v_or_b32_sdwa v7, v7, v5 dst_sel:WORD_1 dst_unused:UNUSED_PAD src0_sel:DWORD src1_sel:DWORD
	v_or_b32_sdwa v5, v4, v21 dst_sel:DWORD dst_unused:UNUSED_PAD src0_sel:WORD_0 src1_sel:DWORD
	v_or_b32_sdwa v7, v6, v7 dst_sel:DWORD dst_unused:UNUSED_PAD src0_sel:WORD_0 src1_sel:DWORD
.LBB641_61:
	s_or_b32 exec_lo, exec_lo, s1
	v_add_nc_u32_e32 v4, 5, v29
                                        ; implicit-def: $vgpr6
	v_cmp_le_u32_e32 vcc_lo, s7, v4
                                        ; implicit-def: $vgpr4
	s_and_saveexec_b32 s0, vcc_lo
	s_xor_b32 s0, exec_lo, s0
	s_cbranch_execz .LBB641_63
; %bb.62:
	v_lshrrev_b32_e32 v4, 24, v7
	v_mov_b32_e32 v6, 8
	v_mov_b32_e32 v8, 0xff
	v_perm_b32 v3, v3, v3, 0x3060504
	v_perm_b32 v4, v4, v7, 0x40c0100
	v_mov_b32_e32 v7, 24
	v_and_b32_sdwa v8, v5, v8 dst_sel:DWORD dst_unused:UNUSED_PAD src0_sel:WORD_1 src1_sel:DWORD
	v_lshrrev_b32_sdwa v6, v6, v4 dst_sel:BYTE_1 dst_unused:UNUSED_PAD src0_sel:DWORD src1_sel:DWORD
	v_lshrrev_b32_sdwa v7, v7, v5 dst_sel:BYTE_1 dst_unused:UNUSED_PAD src0_sel:DWORD src1_sel:DWORD
	v_or_b32_sdwa v6, v4, v6 dst_sel:DWORD dst_unused:UNUSED_PAD src0_sel:BYTE_0 src1_sel:DWORD
	v_or_b32_e32 v7, v8, v7
	v_and_b32_e32 v8, 0xffff, v6
	v_perm_b32 v6, v7, v5, 0x5040c00
                                        ; implicit-def: $vgpr5
                                        ; implicit-def: $vgpr7
	v_and_or_b32 v4, 0xff000000, v4, v8
.LBB641_63:
	s_andn2_saveexec_b32 s1, s0
	s_cbranch_execz .LBB641_67
; %bb.64:
	v_add_nc_u32_e32 v4, s17, v16
	v_add_nc_u32_e32 v6, s19, v16
	s_mov_b32 s2, 0
	s_mov_b32 s3, exec_lo
	v_mul_lo_u32 v4, v4, s16
	v_mul_lo_u32 v6, v6, s18
	v_sub_nc_u32_e32 v4, v4, v6
	v_cmp_lt_u32_e32 vcc_lo, s20, v4
	v_cmpx_ge_u32_e64 s20, v4
	s_cbranch_execz .LBB641_66
; %bb.65:
	v_add_nc_u32_e32 v4, s22, v16
	v_add_nc_u32_e32 v6, s40, v16
	v_mul_lo_u32 v4, v4, s21
	v_mul_lo_u32 v6, v6, s23
	v_sub_nc_u32_e32 v4, v4, v6
	v_cmp_lt_u32_e64 s0, s41, v4
	s_and_b32 s2, s0, exec_lo
.LBB641_66:
	s_or_b32 exec_lo, exec_lo, s3
	v_cndmask_b32_e64 v4, 0, 1, vcc_lo
	v_mov_b32_e32 v6, 24
	v_mov_b32_e32 v8, 0xff
	;; [unrolled: 1-line block ×3, first 2 shown]
	v_cndmask_b32_e64 v22, 0, 1, s2
	v_lshlrev_b16 v4, 8, v4
	v_lshrrev_b32_sdwa v23, v6, v5 dst_sel:BYTE_1 dst_unused:UNUSED_PAD src0_sel:DWORD src1_sel:DWORD
	v_and_b32_sdwa v8, v5, v8 dst_sel:DWORD dst_unused:UNUSED_PAD src0_sel:WORD_1 src1_sel:DWORD
	v_lshrrev_b32_sdwa v21, v21, v7 dst_sel:BYTE_1 dst_unused:UNUSED_PAD src0_sel:DWORD src1_sel:DWORD
	v_lshrrev_b32_sdwa v6, v6, v7 dst_sel:BYTE_1 dst_unused:UNUSED_PAD src0_sel:DWORD src1_sel:DWORD
	v_or_b32_sdwa v4, v5, v4 dst_sel:DWORD dst_unused:UNUSED_PAD src0_sel:BYTE_0 src1_sel:DWORD
	v_or_b32_sdwa v5, v8, v23 dst_sel:WORD_1 dst_unused:UNUSED_PAD src0_sel:DWORD src1_sel:DWORD
	v_or_b32_sdwa v7, v7, v21 dst_sel:DWORD dst_unused:UNUSED_PAD src0_sel:BYTE_0 src1_sel:DWORD
	v_or_b32_sdwa v8, v22, v6 dst_sel:WORD_1 dst_unused:UNUSED_PAD src0_sel:DWORD src1_sel:DWORD
	v_or_b32_sdwa v6, v4, v5 dst_sel:DWORD dst_unused:UNUSED_PAD src0_sel:WORD_0 src1_sel:DWORD
	v_or_b32_sdwa v4, v7, v8 dst_sel:DWORD dst_unused:UNUSED_PAD src0_sel:WORD_0 src1_sel:DWORD
.LBB641_67:
	s_or_b32 exec_lo, exec_lo, s1
	v_add_nc_u32_e32 v5, 6, v29
                                        ; implicit-def: $vgpr31
	v_cmp_le_u32_e32 vcc_lo, s7, v5
                                        ; implicit-def: $vgpr5
	s_and_saveexec_b32 s0, vcc_lo
	s_xor_b32 s0, exec_lo, s0
	s_cbranch_execz .LBB641_69
; %bb.68:
	v_lshrrev_b32_e32 v5, 24, v6
	v_mov_b32_e32 v7, 8
	v_perm_b32 v3, v3, v3, 0x3060504
	v_perm_b32 v5, v5, v6, 0x40c0100
	v_lshrrev_b32_sdwa v6, v7, v5 dst_sel:BYTE_1 dst_unused:UNUSED_PAD src0_sel:DWORD src1_sel:DWORD
	v_and_b32_e32 v7, 0xff0000, v4
	v_or_b32_sdwa v6, v5, v6 dst_sel:DWORD dst_unused:UNUSED_PAD src0_sel:BYTE_0 src1_sel:DWORD
	v_perm_b32 v31, v4, v7, 0x3020504
                                        ; implicit-def: $vgpr4
	v_and_b32_e32 v6, 0xffff, v6
	v_and_or_b32 v5, 0xff000000, v5, v6
                                        ; implicit-def: $vgpr6
.LBB641_69:
	s_andn2_saveexec_b32 s1, s0
	s_cbranch_execz .LBB641_73
; %bb.70:
	v_add_nc_u32_e32 v5, s17, v13
	v_add_nc_u32_e32 v7, s19, v13
	s_mov_b32 s2, 0
	s_mov_b32 s3, exec_lo
	v_mul_lo_u32 v5, v5, s16
	v_mul_lo_u32 v7, v7, s18
	v_sub_nc_u32_e32 v5, v5, v7
	v_cmp_lt_u32_e32 vcc_lo, s20, v5
	v_cmpx_ge_u32_e64 s20, v5
	s_cbranch_execz .LBB641_72
; %bb.71:
	v_add_nc_u32_e32 v5, s22, v13
	v_add_nc_u32_e32 v7, s40, v13
	v_mul_lo_u32 v5, v5, s21
	v_mul_lo_u32 v7, v7, s23
	v_sub_nc_u32_e32 v5, v5, v7
	v_cmp_lt_u32_e64 s0, s41, v5
	s_and_b32 s2, s0, exec_lo
.LBB641_72:
	s_or_b32 exec_lo, exec_lo, s3
	v_mov_b32_e32 v5, 8
	v_mov_b32_e32 v7, 24
	v_cndmask_b32_e64 v21, 0, 1, s2
	v_mov_b32_e32 v22, 0xff
	v_cndmask_b32_e64 v8, 0, 1, vcc_lo
	v_lshrrev_b32_sdwa v23, v5, v6 dst_sel:BYTE_1 dst_unused:UNUSED_PAD src0_sel:DWORD src1_sel:DWORD
	v_lshrrev_b32_sdwa v7, v7, v6 dst_sel:BYTE_1 dst_unused:UNUSED_PAD src0_sel:DWORD src1_sel:DWORD
	;; [unrolled: 1-line block ×3, first 2 shown]
	v_lshlrev_b16 v21, 8, v21
	v_and_b32_sdwa v22, v4, v22 dst_sel:DWORD dst_unused:UNUSED_PAD src0_sel:WORD_1 src1_sel:DWORD
	v_or_b32_sdwa v6, v6, v23 dst_sel:DWORD dst_unused:UNUSED_PAD src0_sel:BYTE_0 src1_sel:DWORD
	v_or_b32_sdwa v7, v8, v7 dst_sel:WORD_1 dst_unused:UNUSED_PAD src0_sel:DWORD src1_sel:DWORD
	v_or_b32_sdwa v4, v4, v5 dst_sel:DWORD dst_unused:UNUSED_PAD src0_sel:BYTE_0 src1_sel:DWORD
	v_or_b32_sdwa v8, v22, v21 dst_sel:WORD_1 dst_unused:UNUSED_PAD src0_sel:DWORD src1_sel:DWORD
	v_or_b32_sdwa v5, v6, v7 dst_sel:DWORD dst_unused:UNUSED_PAD src0_sel:WORD_0 src1_sel:DWORD
	v_or_b32_sdwa v31, v4, v8 dst_sel:DWORD dst_unused:UNUSED_PAD src0_sel:WORD_0 src1_sel:DWORD
.LBB641_73:
	s_or_b32 exec_lo, exec_lo, s1
	v_add_nc_u32_e32 v4, 7, v29
                                        ; implicit-def: $vgpr32
	v_cmp_le_u32_e32 vcc_lo, s7, v4
                                        ; implicit-def: $vgpr4
	s_and_saveexec_b32 s0, vcc_lo
	s_xor_b32 s0, exec_lo, s0
	s_cbranch_execz .LBB641_75
; %bb.74:
	v_mov_b32_e32 v4, 24
	v_mov_b32_e32 v6, 0xff
	;; [unrolled: 1-line block ×3, first 2 shown]
	v_lshrrev_b32_sdwa v4, v4, v3 dst_sel:BYTE_1 dst_unused:UNUSED_PAD src0_sel:DWORD src1_sel:DWORD
	v_and_b32_sdwa v6, v3, v6 dst_sel:DWORD dst_unused:UNUSED_PAD src0_sel:WORD_1 src1_sel:DWORD
	v_lshrrev_b32_sdwa v3, v7, v3 dst_sel:BYTE_1 dst_unused:UNUSED_PAD src0_sel:DWORD src1_sel:DWORD
	v_and_b32_e32 v7, 0xff0000, v5
	v_or_b32_sdwa v4, v6, v4 dst_sel:WORD_1 dst_unused:UNUSED_PAD src0_sel:DWORD src1_sel:DWORD
	v_perm_b32 v32, v5, v7, 0x3020504
                                        ; implicit-def: $vgpr5
	v_or_b32_sdwa v4, v3, v4 dst_sel:DWORD dst_unused:UNUSED_PAD src0_sel:WORD_0 src1_sel:DWORD
                                        ; implicit-def: $vgpr3
.LBB641_75:
	s_andn2_saveexec_b32 s1, s0
	s_cbranch_execz .LBB641_79
; %bb.76:
	v_add_nc_u32_e32 v4, s17, v14
	v_add_nc_u32_e32 v6, s19, v14
	s_mov_b32 s2, 0
	s_mov_b32 s3, exec_lo
	v_mul_lo_u32 v4, v4, s16
	v_mul_lo_u32 v6, v6, s18
	v_sub_nc_u32_e32 v4, v4, v6
	v_cmp_lt_u32_e32 vcc_lo, s20, v4
	v_cmpx_ge_u32_e64 s20, v4
	s_cbranch_execz .LBB641_78
; %bb.77:
	v_add_nc_u32_e32 v4, s22, v14
	v_add_nc_u32_e32 v6, s40, v14
	v_mul_lo_u32 v4, v4, s21
	v_mul_lo_u32 v6, v6, s23
	v_sub_nc_u32_e32 v4, v4, v6
	v_cmp_lt_u32_e64 s0, s41, v4
	s_and_b32 s2, s0, exec_lo
.LBB641_78:
	s_or_b32 exec_lo, exec_lo, s3
	v_mov_b32_e32 v4, 8
	v_cndmask_b32_e64 v6, 0, 1, vcc_lo
	v_mov_b32_e32 v7, 0xff
	v_mov_b32_e32 v8, 24
	v_cndmask_b32_e64 v21, 0, 1, s2
	v_lshrrev_b32_sdwa v22, v4, v5 dst_sel:BYTE_1 dst_unused:UNUSED_PAD src0_sel:DWORD src1_sel:DWORD
	v_lshlrev_b16 v6, 8, v6
	v_and_b32_sdwa v23, v5, v7 dst_sel:DWORD dst_unused:UNUSED_PAD src0_sel:WORD_1 src1_sel:DWORD
	v_lshrrev_b32_sdwa v8, v8, v3 dst_sel:BYTE_1 dst_unused:UNUSED_PAD src0_sel:DWORD src1_sel:DWORD
	v_and_b32_sdwa v7, v3, v7 dst_sel:DWORD dst_unused:UNUSED_PAD src0_sel:WORD_1 src1_sel:DWORD
	v_lshrrev_b32_sdwa v3, v4, v3 dst_sel:BYTE_1 dst_unused:UNUSED_PAD src0_sel:DWORD src1_sel:DWORD
	v_or_b32_sdwa v4, v5, v22 dst_sel:DWORD dst_unused:UNUSED_PAD src0_sel:BYTE_0 src1_sel:DWORD
	v_or_b32_sdwa v5, v23, v6 dst_sel:WORD_1 dst_unused:UNUSED_PAD src0_sel:DWORD src1_sel:DWORD
	v_or_b32_sdwa v6, v7, v8 dst_sel:WORD_1 dst_unused:UNUSED_PAD src0_sel:DWORD src1_sel:DWORD
	v_or_b32_e32 v3, v21, v3
	v_or_b32_sdwa v32, v4, v5 dst_sel:DWORD dst_unused:UNUSED_PAD src0_sel:WORD_0 src1_sel:DWORD
	v_or_b32_sdwa v4, v3, v6 dst_sel:DWORD dst_unused:UNUSED_PAD src0_sel:WORD_0 src1_sel:DWORD
.LBB641_79:
	s_or_b32 exec_lo, exec_lo, s1
	v_add_nc_u32_e32 v3, 8, v29
                                        ; implicit-def: $vgpr5
	v_cmp_le_u32_e32 vcc_lo, s7, v3
                                        ; implicit-def: $vgpr3
	s_and_saveexec_b32 s0, vcc_lo
	s_xor_b32 s0, exec_lo, s0
	s_cbranch_execz .LBB641_81
; %bb.80:
	v_mov_b32_e32 v3, 24
	v_mov_b32_e32 v5, 0xff
	;; [unrolled: 1-line block ×3, first 2 shown]
	v_perm_b32 v1, v1, v1, 0x3060504
	v_lshrrev_b32_sdwa v7, v3, v4 dst_sel:BYTE_1 dst_unused:UNUSED_PAD src0_sel:DWORD src1_sel:DWORD
	v_lshrrev_b32_sdwa v3, v3, v2 dst_sel:BYTE_1 dst_unused:UNUSED_PAD src0_sel:DWORD src1_sel:DWORD
	v_and_b32_sdwa v8, v2, v5 dst_sel:DWORD dst_unused:UNUSED_PAD src0_sel:WORD_1 src1_sel:DWORD
	v_and_b32_sdwa v5, v4, v5 dst_sel:DWORD dst_unused:UNUSED_PAD src0_sel:WORD_1 src1_sel:DWORD
	v_lshrrev_b32_sdwa v2, v6, v2 dst_sel:BYTE_1 dst_unused:UNUSED_PAD src0_sel:DWORD src1_sel:DWORD
	v_or_b32_sdwa v3, v8, v3 dst_sel:WORD_1 dst_unused:UNUSED_PAD src0_sel:DWORD src1_sel:DWORD
	v_or_b32_e32 v5, v5, v7
	v_or_b32_sdwa v3, v2, v3 dst_sel:DWORD dst_unused:UNUSED_PAD src0_sel:WORD_0 src1_sel:DWORD
	v_perm_b32 v5, v5, v4, 0x5040c00
                                        ; implicit-def: $vgpr2
                                        ; implicit-def: $vgpr4
.LBB641_81:
	s_andn2_saveexec_b32 s1, s0
	s_cbranch_execz .LBB641_85
; %bb.82:
	v_add_nc_u32_e32 v3, s17, v11
	v_add_nc_u32_e32 v5, s19, v11
	s_mov_b32 s2, 0
	s_mov_b32 s3, exec_lo
	v_mul_lo_u32 v3, v3, s16
	v_mul_lo_u32 v5, v5, s18
	v_sub_nc_u32_e32 v3, v3, v5
	v_cmp_lt_u32_e32 vcc_lo, s20, v3
	v_cmpx_ge_u32_e64 s20, v3
	s_cbranch_execz .LBB641_84
; %bb.83:
	v_add_nc_u32_e32 v3, s22, v11
	v_add_nc_u32_e32 v5, s40, v11
	v_mul_lo_u32 v3, v3, s21
	v_mul_lo_u32 v5, v5, s23
	v_sub_nc_u32_e32 v3, v3, v5
	v_cmp_lt_u32_e64 s0, s41, v3
	s_and_b32 s2, s0, exec_lo
.LBB641_84:
	s_or_b32 exec_lo, exec_lo, s3
	v_mov_b32_e32 v3, 24
	v_mov_b32_e32 v5, 0xff
	;; [unrolled: 1-line block ×3, first 2 shown]
	v_cndmask_b32_e64 v7, 0, 1, s2
	v_cndmask_b32_e64 v8, 0, 1, vcc_lo
	v_lshrrev_b32_sdwa v21, v3, v2 dst_sel:BYTE_1 dst_unused:UNUSED_PAD src0_sel:DWORD src1_sel:DWORD
	v_and_b32_sdwa v22, v2, v5 dst_sel:DWORD dst_unused:UNUSED_PAD src0_sel:WORD_1 src1_sel:DWORD
	v_lshrrev_b32_sdwa v2, v6, v2 dst_sel:BYTE_1 dst_unused:UNUSED_PAD src0_sel:DWORD src1_sel:DWORD
	v_lshlrev_b16 v6, 8, v7
	v_lshrrev_b32_sdwa v3, v3, v4 dst_sel:BYTE_1 dst_unused:UNUSED_PAD src0_sel:DWORD src1_sel:DWORD
	v_and_b32_sdwa v5, v4, v5 dst_sel:DWORD dst_unused:UNUSED_PAD src0_sel:WORD_1 src1_sel:DWORD
	v_or_b32_sdwa v7, v22, v21 dst_sel:WORD_1 dst_unused:UNUSED_PAD src0_sel:DWORD src1_sel:DWORD
	v_or_b32_e32 v2, v8, v2
	v_or_b32_sdwa v4, v4, v6 dst_sel:DWORD dst_unused:UNUSED_PAD src0_sel:BYTE_0 src1_sel:DWORD
	v_or_b32_sdwa v5, v5, v3 dst_sel:WORD_1 dst_unused:UNUSED_PAD src0_sel:DWORD src1_sel:DWORD
	v_or_b32_sdwa v3, v2, v7 dst_sel:DWORD dst_unused:UNUSED_PAD src0_sel:WORD_0 src1_sel:DWORD
	v_or_b32_sdwa v5, v4, v5 dst_sel:DWORD dst_unused:UNUSED_PAD src0_sel:WORD_0 src1_sel:DWORD
.LBB641_85:
	s_or_b32 exec_lo, exec_lo, s1
	v_add_nc_u32_e32 v2, 9, v29
                                        ; implicit-def: $vgpr4
	v_cmp_le_u32_e32 vcc_lo, s7, v2
                                        ; implicit-def: $vgpr2
	s_and_saveexec_b32 s0, vcc_lo
	s_xor_b32 s0, exec_lo, s0
	s_cbranch_execz .LBB641_87
; %bb.86:
	v_lshrrev_b32_e32 v2, 24, v5
	v_mov_b32_e32 v4, 8
	v_mov_b32_e32 v6, 0xff
	v_perm_b32 v1, v1, v1, 0x3060504
	v_perm_b32 v2, v2, v5, 0x40c0100
	v_mov_b32_e32 v5, 24
	v_and_b32_sdwa v6, v3, v6 dst_sel:DWORD dst_unused:UNUSED_PAD src0_sel:WORD_1 src1_sel:DWORD
	v_lshrrev_b32_sdwa v4, v4, v2 dst_sel:BYTE_1 dst_unused:UNUSED_PAD src0_sel:DWORD src1_sel:DWORD
	v_lshrrev_b32_sdwa v5, v5, v3 dst_sel:BYTE_1 dst_unused:UNUSED_PAD src0_sel:DWORD src1_sel:DWORD
	v_or_b32_sdwa v4, v2, v4 dst_sel:DWORD dst_unused:UNUSED_PAD src0_sel:BYTE_0 src1_sel:DWORD
	v_or_b32_e32 v5, v6, v5
	v_and_b32_e32 v6, 0xffff, v4
	v_perm_b32 v4, v5, v3, 0x5040c00
                                        ; implicit-def: $vgpr3
                                        ; implicit-def: $vgpr5
	v_and_or_b32 v2, 0xff000000, v2, v6
.LBB641_87:
	s_andn2_saveexec_b32 s1, s0
	s_cbranch_execz .LBB641_91
; %bb.88:
	v_add_nc_u32_e32 v2, s17, v12
	v_add_nc_u32_e32 v4, s19, v12
	s_mov_b32 s2, 0
	s_mov_b32 s3, exec_lo
	v_mul_lo_u32 v2, v2, s16
	v_mul_lo_u32 v4, v4, s18
	v_sub_nc_u32_e32 v2, v2, v4
	v_cmp_lt_u32_e32 vcc_lo, s20, v2
	v_cmpx_ge_u32_e64 s20, v2
	s_cbranch_execz .LBB641_90
; %bb.89:
	v_add_nc_u32_e32 v2, s22, v12
	v_add_nc_u32_e32 v4, s40, v12
	v_mul_lo_u32 v2, v2, s21
	v_mul_lo_u32 v4, v4, s23
	v_sub_nc_u32_e32 v2, v2, v4
	v_cmp_lt_u32_e64 s0, s41, v2
	s_and_b32 s2, s0, exec_lo
.LBB641_90:
	s_or_b32 exec_lo, exec_lo, s3
	v_cndmask_b32_e64 v2, 0, 1, vcc_lo
	v_mov_b32_e32 v4, 24
	v_mov_b32_e32 v6, 0xff
	;; [unrolled: 1-line block ×3, first 2 shown]
	v_cndmask_b32_e64 v8, 0, 1, s2
	v_lshlrev_b16 v2, 8, v2
	v_lshrrev_b32_sdwa v21, v4, v3 dst_sel:BYTE_1 dst_unused:UNUSED_PAD src0_sel:DWORD src1_sel:DWORD
	v_and_b32_sdwa v6, v3, v6 dst_sel:DWORD dst_unused:UNUSED_PAD src0_sel:WORD_1 src1_sel:DWORD
	v_lshrrev_b32_sdwa v7, v7, v5 dst_sel:BYTE_1 dst_unused:UNUSED_PAD src0_sel:DWORD src1_sel:DWORD
	v_lshrrev_b32_sdwa v4, v4, v5 dst_sel:BYTE_1 dst_unused:UNUSED_PAD src0_sel:DWORD src1_sel:DWORD
	v_or_b32_sdwa v2, v3, v2 dst_sel:DWORD dst_unused:UNUSED_PAD src0_sel:BYTE_0 src1_sel:DWORD
	v_or_b32_sdwa v3, v6, v21 dst_sel:WORD_1 dst_unused:UNUSED_PAD src0_sel:DWORD src1_sel:DWORD
	v_or_b32_sdwa v5, v5, v7 dst_sel:DWORD dst_unused:UNUSED_PAD src0_sel:BYTE_0 src1_sel:DWORD
	v_or_b32_sdwa v6, v8, v4 dst_sel:WORD_1 dst_unused:UNUSED_PAD src0_sel:DWORD src1_sel:DWORD
	v_or_b32_sdwa v4, v2, v3 dst_sel:DWORD dst_unused:UNUSED_PAD src0_sel:WORD_0 src1_sel:DWORD
	v_or_b32_sdwa v2, v5, v6 dst_sel:DWORD dst_unused:UNUSED_PAD src0_sel:WORD_0 src1_sel:DWORD
.LBB641_91:
	s_or_b32 exec_lo, exec_lo, s1
	v_add_nc_u32_e32 v3, 10, v29
                                        ; implicit-def: $vgpr33
	v_cmp_le_u32_e32 vcc_lo, s7, v3
                                        ; implicit-def: $vgpr3
	s_and_saveexec_b32 s0, vcc_lo
	s_xor_b32 s0, exec_lo, s0
	s_cbranch_execz .LBB641_93
; %bb.92:
	v_lshrrev_b32_e32 v3, 24, v4
	v_mov_b32_e32 v5, 8
	v_perm_b32 v1, v1, v1, 0x3060504
	v_perm_b32 v3, v3, v4, 0x40c0100
	v_lshrrev_b32_sdwa v4, v5, v3 dst_sel:BYTE_1 dst_unused:UNUSED_PAD src0_sel:DWORD src1_sel:DWORD
	v_and_b32_e32 v5, 0xff0000, v2
	v_or_b32_sdwa v4, v3, v4 dst_sel:DWORD dst_unused:UNUSED_PAD src0_sel:BYTE_0 src1_sel:DWORD
	v_perm_b32 v33, v2, v5, 0x3020504
                                        ; implicit-def: $vgpr2
	v_and_b32_e32 v4, 0xffff, v4
	v_and_or_b32 v3, 0xff000000, v3, v4
                                        ; implicit-def: $vgpr4
.LBB641_93:
	s_andn2_saveexec_b32 s1, s0
	s_cbranch_execz .LBB641_97
; %bb.94:
	v_add_nc_u32_e32 v3, s17, v9
	v_add_nc_u32_e32 v5, s19, v9
	s_mov_b32 s2, 0
	s_mov_b32 s3, exec_lo
	v_mul_lo_u32 v3, v3, s16
	v_mul_lo_u32 v5, v5, s18
	v_sub_nc_u32_e32 v3, v3, v5
	v_cmp_lt_u32_e32 vcc_lo, s20, v3
	v_cmpx_ge_u32_e64 s20, v3
	s_cbranch_execz .LBB641_96
; %bb.95:
	v_add_nc_u32_e32 v3, s22, v9
	v_add_nc_u32_e32 v5, s40, v9
	v_mul_lo_u32 v3, v3, s21
	v_mul_lo_u32 v5, v5, s23
	v_sub_nc_u32_e32 v3, v3, v5
	v_cmp_lt_u32_e64 s0, s41, v3
	s_and_b32 s2, s0, exec_lo
.LBB641_96:
	s_or_b32 exec_lo, exec_lo, s3
	v_mov_b32_e32 v3, 8
	v_mov_b32_e32 v5, 24
	v_cndmask_b32_e64 v7, 0, 1, s2
	v_mov_b32_e32 v8, 0xff
	v_cndmask_b32_e64 v6, 0, 1, vcc_lo
	v_lshrrev_b32_sdwa v21, v3, v4 dst_sel:BYTE_1 dst_unused:UNUSED_PAD src0_sel:DWORD src1_sel:DWORD
	v_lshrrev_b32_sdwa v5, v5, v4 dst_sel:BYTE_1 dst_unused:UNUSED_PAD src0_sel:DWORD src1_sel:DWORD
	;; [unrolled: 1-line block ×3, first 2 shown]
	v_lshlrev_b16 v7, 8, v7
	v_and_b32_sdwa v8, v2, v8 dst_sel:DWORD dst_unused:UNUSED_PAD src0_sel:WORD_1 src1_sel:DWORD
	v_or_b32_sdwa v4, v4, v21 dst_sel:DWORD dst_unused:UNUSED_PAD src0_sel:BYTE_0 src1_sel:DWORD
	v_or_b32_sdwa v5, v6, v5 dst_sel:WORD_1 dst_unused:UNUSED_PAD src0_sel:DWORD src1_sel:DWORD
	v_or_b32_sdwa v2, v2, v3 dst_sel:DWORD dst_unused:UNUSED_PAD src0_sel:BYTE_0 src1_sel:DWORD
	v_or_b32_sdwa v6, v8, v7 dst_sel:WORD_1 dst_unused:UNUSED_PAD src0_sel:DWORD src1_sel:DWORD
	v_or_b32_sdwa v3, v4, v5 dst_sel:DWORD dst_unused:UNUSED_PAD src0_sel:WORD_0 src1_sel:DWORD
	v_or_b32_sdwa v33, v2, v6 dst_sel:DWORD dst_unused:UNUSED_PAD src0_sel:WORD_0 src1_sel:DWORD
.LBB641_97:
	s_or_b32 exec_lo, exec_lo, s1
	v_add_nc_u32_e32 v2, 11, v29
	v_mov_b32_e32 v34, 0
	s_mov_b32 s0, exec_lo
                                        ; implicit-def: $vgpr35
	v_cmpx_le_u32_e64 s7, v2
	s_xor_b32 s0, exec_lo, s0
; %bb.98:
	v_and_b32_e32 v2, 0xff0000, v3
	v_perm_b32 v1, v1, v1, 0x3060504
	v_perm_b32 v35, v3, v2, 0x3020504
                                        ; implicit-def: $vgpr3
; %bb.99:
	s_andn2_saveexec_b32 s1, s0
	s_cbranch_execz .LBB641_103
; %bb.100:
	v_add_nc_u32_e32 v2, s17, v10
	v_add_nc_u32_e32 v4, s19, v10
	s_mov_b32 s2, 0
	s_mov_b32 s3, exec_lo
	v_mul_lo_u32 v2, v2, s16
	v_mul_lo_u32 v4, v4, s18
	v_sub_nc_u32_e32 v2, v2, v4
	v_cmp_lt_u32_e32 vcc_lo, s20, v2
	v_cmpx_ge_u32_e64 s20, v2
	s_cbranch_execz .LBB641_102
; %bb.101:
	v_add_nc_u32_e32 v2, s22, v10
	v_add_nc_u32_e32 v4, s40, v10
	v_mul_lo_u32 v2, v2, s21
	v_mul_lo_u32 v4, v4, s23
	v_sub_nc_u32_e32 v2, v2, v4
	v_cmp_lt_u32_e64 s0, s41, v2
	s_and_b32 s2, s0, exec_lo
.LBB641_102:
	s_or_b32 exec_lo, exec_lo, s3
	v_mov_b32_e32 v2, 8
	v_cndmask_b32_e64 v4, 0, 1, vcc_lo
	v_mov_b32_e32 v5, 0xff
	v_cndmask_b32_e64 v34, 0, 1, s2
	v_lshrrev_b32_sdwa v2, v2, v3 dst_sel:BYTE_1 dst_unused:UNUSED_PAD src0_sel:DWORD src1_sel:DWORD
	v_lshlrev_b16 v4, 8, v4
	v_and_b32_sdwa v5, v3, v5 dst_sel:DWORD dst_unused:UNUSED_PAD src0_sel:WORD_1 src1_sel:DWORD
	v_or_b32_sdwa v2, v3, v2 dst_sel:DWORD dst_unused:UNUSED_PAD src0_sel:BYTE_0 src1_sel:DWORD
	v_or_b32_sdwa v3, v5, v4 dst_sel:WORD_1 dst_unused:UNUSED_PAD src0_sel:DWORD src1_sel:DWORD
	v_or_b32_sdwa v35, v2, v3 dst_sel:DWORD dst_unused:UNUSED_PAD src0_sel:WORD_0 src1_sel:DWORD
.LBB641_103:
	s_or_b32 exec_lo, exec_lo, s1
	v_add_nc_u32_e32 v2, 12, v29
	s_mov_b32 s0, exec_lo
                                        ; implicit-def: $vgpr36
	v_cmpx_le_u32_e64 s7, v2
	s_xor_b32 s0, exec_lo, s0
	s_cbranch_execz .LBB641_105
; %bb.104:
	v_mov_b32_e32 v2, 24
	v_mov_b32_e32 v3, 0xff
	;; [unrolled: 1-line block ×3, first 2 shown]
	v_lshrrev_b32_sdwa v2, v2, v1 dst_sel:BYTE_1 dst_unused:UNUSED_PAD src0_sel:DWORD src1_sel:DWORD
	v_and_b32_sdwa v3, v1, v3 dst_sel:DWORD dst_unused:UNUSED_PAD src0_sel:WORD_1 src1_sel:DWORD
	v_lshrrev_b32_sdwa v1, v4, v1 dst_sel:BYTE_1 dst_unused:UNUSED_PAD src0_sel:DWORD src1_sel:DWORD
	v_or_b32_sdwa v2, v3, v2 dst_sel:WORD_1 dst_unused:UNUSED_PAD src0_sel:DWORD src1_sel:DWORD
	v_or_b32_sdwa v36, v1, v2 dst_sel:DWORD dst_unused:UNUSED_PAD src0_sel:WORD_0 src1_sel:DWORD
                                        ; implicit-def: $vgpr1
.LBB641_105:
	s_or_saveexec_b32 s1, s0
	v_mov_b32_e32 v37, 0
	s_xor_b32 exec_lo, exec_lo, s1
	s_cbranch_execz .LBB641_109
; %bb.106:
	v_add_nc_u32_e32 v2, s17, v28
	v_add_nc_u32_e32 v3, s19, v28
	s_mov_b32 s2, 0
	s_mov_b32 s3, exec_lo
	v_mul_lo_u32 v2, v2, s16
	v_mul_lo_u32 v3, v3, s18
	v_sub_nc_u32_e32 v2, v2, v3
	v_cmp_lt_u32_e32 vcc_lo, s20, v2
	v_cmpx_ge_u32_e64 s20, v2
	s_cbranch_execz .LBB641_108
; %bb.107:
	v_add_nc_u32_e32 v2, s22, v28
	v_add_nc_u32_e32 v3, s40, v28
	v_mul_lo_u32 v2, v2, s21
	v_mul_lo_u32 v3, v3, s23
	v_sub_nc_u32_e32 v2, v2, v3
	v_cmp_lt_u32_e64 s0, s41, v2
	s_and_b32 s2, s0, exec_lo
.LBB641_108:
	s_or_b32 exec_lo, exec_lo, s3
	v_mov_b32_e32 v2, 24
	v_mov_b32_e32 v3, 0xff
	v_mov_b32_e32 v4, 8
	v_cndmask_b32_e64 v5, 0, 1, vcc_lo
	v_cndmask_b32_e64 v37, 0, 1, s2
	v_lshrrev_b32_sdwa v2, v2, v1 dst_sel:BYTE_1 dst_unused:UNUSED_PAD src0_sel:DWORD src1_sel:DWORD
	v_and_b32_sdwa v3, v1, v3 dst_sel:DWORD dst_unused:UNUSED_PAD src0_sel:WORD_1 src1_sel:DWORD
	v_lshrrev_b32_sdwa v1, v4, v1 dst_sel:BYTE_1 dst_unused:UNUSED_PAD src0_sel:DWORD src1_sel:DWORD
	v_or_b32_sdwa v2, v3, v2 dst_sel:WORD_1 dst_unused:UNUSED_PAD src0_sel:DWORD src1_sel:DWORD
	v_or_b32_e32 v1, v5, v1
	v_or_b32_sdwa v36, v1, v2 dst_sel:DWORD dst_unused:UNUSED_PAD src0_sel:WORD_0 src1_sel:DWORD
.LBB641_109:
	s_or_b32 exec_lo, exec_lo, s1
.LBB641_110:
	v_and_b32_e32 v60, 0xff, v30
	v_bfe_u32 v61, v36, 8, 8
	v_bfe_u32 v57, v30, 8, 8
	;; [unrolled: 1-line block ×4, first 2 shown]
	v_lshrrev_b32_e32 v43, 24, v36
	v_lshrrev_b32_e32 v42, 24, v30
	v_and_b32_e32 v56, 0xff, v31
	v_and_b32_e32 v54, 0xff, v32
	v_bfe_u32 v55, v31, 8, 8
	v_add3_u32 v1, v57, v60, v59
	v_add3_u32 v2, v58, v61, v43
	v_bfe_u32 v52, v32, 8, 8
	v_bfe_u32 v53, v31, 16, 8
	;; [unrolled: 1-line block ×3, first 2 shown]
	v_lshrrev_b32_e32 v41, 24, v31
	v_add3_u32 v1, v1, v42, v54
	v_add3_u32 v2, v2, v56, v55
	v_lshrrev_b32_e32 v40, 24, v32
	v_and_b32_e32 v51, 0xff, v33
	v_and_b32_e32 v49, 0xff, v35
	v_bfe_u32 v50, v33, 8, 8
	v_add3_u32 v1, v1, v52, v46
	v_add3_u32 v2, v2, v53, v41
	v_bfe_u32 v47, v35, 8, 8
	v_bfe_u32 v48, v33, 16, 8
	v_bfe_u32 v45, v35, 16, 8
	v_lshrrev_b32_e32 v39, 24, v33
	v_add3_u32 v1, v1, v40, v49
	v_add3_u32 v2, v2, v51, v50
	v_mbcnt_lo_u32_b32 v62, -1, 0
	v_lshrrev_b32_e32 v38, 24, v35
	v_and_b32_e32 v44, 0xff, v34
	v_and_b32_e32 v3, 0xff, v36
	;; [unrolled: 1-line block ×3, first 2 shown]
	v_add3_u32 v1, v1, v47, v45
	v_add3_u32 v2, v2, v48, v39
	v_and_b32_e32 v64, 15, v62
	v_and_b32_e32 v66, 16, v62
	v_lshrrev_b32_e32 v63, 5, v0
	v_add3_u32 v67, v1, v38, v3
	v_add3_u32 v68, v2, v44, v4
	v_cmp_eq_u32_e64 s1, 0, v64
	v_cmp_lt_u32_e64 s0, 1, v64
	v_cmp_lt_u32_e64 s2, 3, v64
	v_or_b32_e32 v65, 31, v0
	s_cmp_lg_u32 s6, 0
	s_mov_b32 s3, -1
	v_cmp_lt_u32_e32 vcc_lo, 7, v64
	s_cbranch_scc0 .LBB641_132
; %bb.111:
	v_mov_b32_dpp v1, v68 row_shr:1 row_mask:0xf bank_mask:0xf
	v_mov_b32_dpp v2, v67 row_shr:1 row_mask:0xf bank_mask:0xf
	s_mov_b32 s3, exec_lo
	v_add_nc_u32_e32 v1, v1, v68
	v_add_nc_u32_e32 v2, v2, v67
	v_cndmask_b32_e64 v1, v1, v68, s1
	v_cndmask_b32_e64 v2, v2, v67, s1
	v_mov_b32_dpp v3, v1 row_shr:2 row_mask:0xf bank_mask:0xf
	v_mov_b32_dpp v4, v2 row_shr:2 row_mask:0xf bank_mask:0xf
	v_add_nc_u32_e32 v3, v1, v3
	v_add_nc_u32_e32 v4, v2, v4
	v_cndmask_b32_e64 v1, v1, v3, s0
	v_cndmask_b32_e64 v2, v2, v4, s0
	v_mov_b32_dpp v3, v1 row_shr:4 row_mask:0xf bank_mask:0xf
	v_mov_b32_dpp v4, v2 row_shr:4 row_mask:0xf bank_mask:0xf
	;; [unrolled: 6-line block ×3, first 2 shown]
	v_add_nc_u32_e32 v3, v1, v3
	v_add_nc_u32_e32 v4, v2, v4
	v_cndmask_b32_e32 v1, v1, v3, vcc_lo
	v_cndmask_b32_e32 v2, v2, v4, vcc_lo
	v_cmp_eq_u32_e32 vcc_lo, 0, v66
	ds_swizzle_b32 v3, v1 offset:swizzle(BROADCAST,32,15)
	ds_swizzle_b32 v4, v2 offset:swizzle(BROADCAST,32,15)
	s_waitcnt lgkmcnt(0)
	v_add_nc_u32_e32 v3, v1, v3
	v_add_nc_u32_e32 v4, v2, v4
	v_cmpx_eq_u32_e64 v0, v65
	s_cbranch_execz .LBB641_113
; %bb.112:
	v_lshlrev_b32_e32 v7, 3, v63
	v_cndmask_b32_e32 v6, v3, v1, vcc_lo
	v_cndmask_b32_e32 v5, v4, v2, vcc_lo
	ds_write_b64 v7, v[5:6]
.LBB641_113:
	s_or_b32 exec_lo, exec_lo, s3
	s_mov_b32 s3, exec_lo
	s_waitcnt lgkmcnt(0)
	s_barrier
	buffer_gl0_inv
	v_cmpx_gt_u32_e32 8, v0
	s_cbranch_execz .LBB641_115
; %bb.114:
	v_lshlrev_b32_e32 v7, 3, v0
	v_and_b32_e32 v22, 7, v62
	ds_read_b64 v[5:6], v7
	v_cmp_eq_u32_e64 s2, 0, v22
	s_waitcnt lgkmcnt(0)
	v_mov_b32_dpp v8, v5 row_shr:1 row_mask:0xf bank_mask:0xf
	v_mov_b32_dpp v21, v6 row_shr:1 row_mask:0xf bank_mask:0xf
	v_add_nc_u32_e32 v8, v8, v5
	v_add_nc_u32_e32 v21, v21, v6
	v_cndmask_b32_e64 v5, v8, v5, s2
	v_cndmask_b32_e64 v6, v21, v6, s2
	v_cmp_lt_u32_e64 s2, 1, v22
	v_mov_b32_dpp v8, v5 row_shr:2 row_mask:0xf bank_mask:0xf
	v_mov_b32_dpp v21, v6 row_shr:2 row_mask:0xf bank_mask:0xf
	v_add_nc_u32_e32 v8, v5, v8
	v_add_nc_u32_e32 v21, v6, v21
	v_cndmask_b32_e64 v5, v5, v8, s2
	v_cndmask_b32_e64 v6, v6, v21, s2
	v_cmp_lt_u32_e64 s2, 3, v22
	v_mov_b32_dpp v8, v5 row_shr:4 row_mask:0xf bank_mask:0xf
	v_mov_b32_dpp v21, v6 row_shr:4 row_mask:0xf bank_mask:0xf
	v_cndmask_b32_e64 v8, 0, v8, s2
	v_cndmask_b32_e64 v21, 0, v21, s2
	v_add_nc_u32_e32 v5, v8, v5
	v_add_nc_u32_e32 v6, v21, v6
	ds_write_b64 v7, v[5:6]
.LBB641_115:
	s_or_b32 exec_lo, exec_lo, s3
	v_cndmask_b32_e32 v1, v3, v1, vcc_lo
	v_cndmask_b32_e32 v2, v4, v2, vcc_lo
	s_mov_b32 s3, exec_lo
	v_cmp_gt_u32_e32 vcc_lo, 32, v0
	s_waitcnt lgkmcnt(0)
	s_barrier
	buffer_gl0_inv
                                        ; implicit-def: $vgpr21
	v_cmpx_lt_u32_e32 31, v0
	s_cbranch_execz .LBB641_117
; %bb.116:
	v_lshl_add_u32 v3, v63, 3, -8
	ds_read_b64 v[21:22], v3
	s_waitcnt lgkmcnt(0)
	v_add_nc_u32_e32 v1, v22, v1
	v_add_nc_u32_e32 v2, v21, v2
.LBB641_117:
	s_or_b32 exec_lo, exec_lo, s3
	v_sub_co_u32 v3, s2, v62, 1
	v_cmp_gt_i32_e64 s3, 0, v3
	v_cndmask_b32_e64 v3, v3, v62, s3
	v_lshlrev_b32_e32 v3, 2, v3
	ds_bpermute_b32 v69, v3, v2
	ds_bpermute_b32 v70, v3, v1
	s_and_saveexec_b32 s3, vcc_lo
	s_cbranch_execz .LBB641_137
; %bb.118:
	v_mov_b32_e32 v4, 0
	ds_read_b64 v[1:2], v4 offset:56
	s_and_saveexec_b32 s8, s2
	s_cbranch_execz .LBB641_120
; %bb.119:
	s_add_i32 s10, s6, 32
	s_mov_b32 s11, 0
	v_mov_b32_e32 v3, 1
	s_lshl_b64 s[10:11], s[10:11], 4
	s_add_u32 s10, s4, s10
	s_addc_u32 s11, s5, s11
	v_mov_b32_e32 v5, s10
	v_mov_b32_e32 v6, s11
	s_waitcnt lgkmcnt(0)
	;;#ASMSTART
	global_store_dwordx4 v[5:6], v[1:4] off	
s_waitcnt vmcnt(0)
	;;#ASMEND
.LBB641_120:
	s_or_b32 exec_lo, exec_lo, s8
	v_xad_u32 v23, v62, -1, s6
	s_mov_b32 s9, 0
	v_add_nc_u32_e32 v3, 32, v23
	v_lshlrev_b64 v[5:6], 4, v[3:4]
	v_add_co_u32 v24, vcc_lo, s4, v5
	v_add_co_ci_u32_e64 v25, null, s5, v6, vcc_lo
	;;#ASMSTART
	global_load_dwordx4 v[5:8], v[24:25] off glc dlc	
s_waitcnt vmcnt(0)
	;;#ASMEND
	v_cmp_eq_u16_sdwa s10, v7, v4 src0_sel:BYTE_0 src1_sel:DWORD
	s_and_saveexec_b32 s8, s10
	s_cbranch_execz .LBB641_124
; %bb.121:
	v_mov_b32_e32 v3, 0
.LBB641_122:                            ; =>This Inner Loop Header: Depth=1
	;;#ASMSTART
	global_load_dwordx4 v[5:8], v[24:25] off glc dlc	
s_waitcnt vmcnt(0)
	;;#ASMEND
	v_cmp_ne_u16_sdwa s10, v7, v3 src0_sel:BYTE_0 src1_sel:DWORD
	s_or_b32 s9, s10, s9
	s_andn2_b32 exec_lo, exec_lo, s9
	s_cbranch_execnz .LBB641_122
; %bb.123:
	s_or_b32 exec_lo, exec_lo, s9
.LBB641_124:
	s_or_b32 exec_lo, exec_lo, s8
	v_cmp_ne_u32_e32 vcc_lo, 31, v62
	v_mov_b32_e32 v72, 2
	v_lshlrev_b32_e64 v73, v62, -1
	v_add_nc_u32_e32 v75, 2, v62
	v_add_nc_u32_e32 v77, 4, v62
	v_add_co_ci_u32_e64 v3, null, 0, v62, vcc_lo
	v_cmp_eq_u16_sdwa s8, v7, v72 src0_sel:BYTE_0 src1_sel:DWORD
	v_cmp_gt_u32_e32 vcc_lo, 30, v62
	v_add_nc_u32_e32 v79, 8, v62
	v_lshlrev_b32_e32 v71, 2, v3
	v_lshl_or_b32 v80, v62, 2, 64
	v_and_b32_e32 v8, s8, v73
	v_cndmask_b32_e64 v24, 0, 2, vcc_lo
	v_add_nc_u32_e32 v81, 16, v62
	ds_bpermute_b32 v3, v71, v6
	ds_bpermute_b32 v4, v71, v5
	v_or_b32_e32 v8, 0x80000000, v8
	v_add_lshl_u32 v74, v24, v62, 2
	v_ffbl_b32_e32 v8, v8
	v_cmp_lt_u32_e32 vcc_lo, v62, v8
	s_waitcnt lgkmcnt(1)
	v_add_nc_u32_e32 v3, v3, v6
	s_waitcnt lgkmcnt(0)
	v_add_nc_u32_e32 v4, v4, v5
	v_cndmask_b32_e32 v3, v6, v3, vcc_lo
	v_cndmask_b32_e32 v4, v5, v4, vcc_lo
	v_cmp_gt_u32_e32 vcc_lo, 28, v62
	ds_bpermute_b32 v5, v74, v3
	ds_bpermute_b32 v6, v74, v4
	v_cndmask_b32_e64 v24, 0, 4, vcc_lo
	v_cmp_gt_u32_e32 vcc_lo, v75, v8
	v_add_lshl_u32 v76, v24, v62, 2
	s_waitcnt lgkmcnt(1)
	v_add_nc_u32_e32 v5, v3, v5
	s_waitcnt lgkmcnt(0)
	v_add_nc_u32_e32 v6, v4, v6
	v_cndmask_b32_e32 v3, v5, v3, vcc_lo
	v_cndmask_b32_e32 v4, v6, v4, vcc_lo
	v_cmp_gt_u32_e32 vcc_lo, 24, v62
	ds_bpermute_b32 v5, v76, v3
	ds_bpermute_b32 v6, v76, v4
	v_cndmask_b32_e64 v24, 0, 8, vcc_lo
	v_cmp_gt_u32_e32 vcc_lo, v77, v8
	v_add_lshl_u32 v78, v24, v62, 2
	v_mov_b32_e32 v24, 0
	s_waitcnt lgkmcnt(1)
	v_add_nc_u32_e32 v5, v3, v5
	s_waitcnt lgkmcnt(0)
	v_add_nc_u32_e32 v6, v4, v6
	v_cndmask_b32_e32 v3, v5, v3, vcc_lo
	v_cndmask_b32_e32 v4, v6, v4, vcc_lo
	v_cmp_gt_u32_e32 vcc_lo, v79, v8
	ds_bpermute_b32 v5, v78, v3
	ds_bpermute_b32 v6, v78, v4
	s_waitcnt lgkmcnt(1)
	v_add_nc_u32_e32 v5, v3, v5
	s_waitcnt lgkmcnt(0)
	v_add_nc_u32_e32 v6, v4, v6
	v_cndmask_b32_e32 v3, v5, v3, vcc_lo
	v_cndmask_b32_e32 v4, v6, v4, vcc_lo
	v_cmp_le_u32_e32 vcc_lo, v81, v8
	ds_bpermute_b32 v6, v80, v3
	ds_bpermute_b32 v5, v80, v4
	s_waitcnt lgkmcnt(1)
	v_cndmask_b32_e32 v6, 0, v6, vcc_lo
	s_waitcnt lgkmcnt(0)
	v_cndmask_b32_e32 v5, 0, v5, vcc_lo
	v_add_nc_u32_e32 v6, v6, v3
	v_add_nc_u32_e32 v5, v5, v4
	s_branch .LBB641_128
.LBB641_125:                            ;   in Loop: Header=BB641_128 Depth=1
	s_or_b32 exec_lo, exec_lo, s9
.LBB641_126:                            ;   in Loop: Header=BB641_128 Depth=1
	s_or_b32 exec_lo, exec_lo, s8
	ds_bpermute_b32 v8, v71, v5
	ds_bpermute_b32 v25, v71, v6
	v_cmp_eq_u16_sdwa s8, v7, v72 src0_sel:BYTE_0 src1_sel:DWORD
	v_subrev_nc_u32_e32 v23, 32, v23
	v_and_or_b32 v26, s8, v73, 0x80000000
	s_mov_b32 s8, 0
	v_ffbl_b32_e32 v26, v26
	v_cmp_lt_u32_e32 vcc_lo, v62, v26
	s_waitcnt lgkmcnt(1)
	v_add_nc_u32_e32 v8, v8, v5
	s_waitcnt lgkmcnt(0)
	v_add_nc_u32_e32 v25, v25, v6
	v_cndmask_b32_e32 v5, v5, v8, vcc_lo
	v_cndmask_b32_e32 v6, v6, v25, vcc_lo
	v_cmp_gt_u32_e32 vcc_lo, v75, v26
	ds_bpermute_b32 v8, v74, v5
	ds_bpermute_b32 v25, v74, v6
	s_waitcnt lgkmcnt(1)
	v_add_nc_u32_e32 v8, v5, v8
	s_waitcnt lgkmcnt(0)
	v_add_nc_u32_e32 v25, v6, v25
	v_cndmask_b32_e32 v5, v8, v5, vcc_lo
	v_cndmask_b32_e32 v6, v25, v6, vcc_lo
	v_cmp_gt_u32_e32 vcc_lo, v77, v26
	ds_bpermute_b32 v8, v76, v5
	ds_bpermute_b32 v25, v76, v6
	;; [unrolled: 9-line block ×3, first 2 shown]
	s_waitcnt lgkmcnt(1)
	v_add_nc_u32_e32 v8, v5, v8
	s_waitcnt lgkmcnt(0)
	v_add_nc_u32_e32 v25, v6, v25
	v_cndmask_b32_e32 v5, v8, v5, vcc_lo
	v_cndmask_b32_e32 v6, v25, v6, vcc_lo
	v_cmp_le_u32_e32 vcc_lo, v81, v26
	ds_bpermute_b32 v8, v80, v5
	ds_bpermute_b32 v25, v80, v6
	s_waitcnt lgkmcnt(1)
	v_cndmask_b32_e32 v8, 0, v8, vcc_lo
	s_waitcnt lgkmcnt(0)
	v_cndmask_b32_e32 v25, 0, v25, vcc_lo
	v_add3_u32 v5, v5, v3, v8
	v_add3_u32 v6, v6, v4, v25
.LBB641_127:                            ;   in Loop: Header=BB641_128 Depth=1
	s_and_b32 vcc_lo, exec_lo, s8
	s_cbranch_vccnz .LBB641_133
.LBB641_128:                            ; =>This Loop Header: Depth=1
                                        ;     Child Loop BB641_131 Depth 2
	v_cmp_ne_u16_sdwa s8, v7, v72 src0_sel:BYTE_0 src1_sel:DWORD
	v_mov_b32_e32 v3, v5
	v_mov_b32_e32 v4, v6
                                        ; implicit-def: $vgpr7
                                        ; implicit-def: $vgpr5_vgpr6
	s_cmp_lg_u32 s8, exec_lo
	s_mov_b32 s8, -1
	s_cbranch_scc1 .LBB641_127
; %bb.129:                              ;   in Loop: Header=BB641_128 Depth=1
	v_lshlrev_b64 v[5:6], 4, v[23:24]
	v_add_co_u32 v25, vcc_lo, s4, v5
	v_add_co_ci_u32_e64 v26, null, s5, v6, vcc_lo
	;;#ASMSTART
	global_load_dwordx4 v[5:8], v[25:26] off glc dlc	
s_waitcnt vmcnt(0)
	;;#ASMEND
	v_cmp_eq_u16_sdwa s9, v7, v24 src0_sel:BYTE_0 src1_sel:DWORD
	s_and_saveexec_b32 s8, s9
	s_cbranch_execz .LBB641_126
; %bb.130:                              ;   in Loop: Header=BB641_128 Depth=1
	s_mov_b32 s9, 0
.LBB641_131:                            ;   Parent Loop BB641_128 Depth=1
                                        ; =>  This Inner Loop Header: Depth=2
	;;#ASMSTART
	global_load_dwordx4 v[5:8], v[25:26] off glc dlc	
s_waitcnt vmcnt(0)
	;;#ASMEND
	v_cmp_ne_u16_sdwa s10, v7, v24 src0_sel:BYTE_0 src1_sel:DWORD
	s_or_b32 s9, s10, s9
	s_andn2_b32 exec_lo, exec_lo, s9
	s_cbranch_execnz .LBB641_131
	s_branch .LBB641_125
.LBB641_132:
                                        ; implicit-def: $vgpr23
                                        ; implicit-def: $vgpr3
                                        ; implicit-def: $vgpr24
	s_and_b32 vcc_lo, exec_lo, s3
	s_cbranch_vccnz .LBB641_138
	s_branch .LBB641_147
.LBB641_133:
	s_and_saveexec_b32 s8, s2
	s_cbranch_execnz .LBB641_375
; %bb.134:
	s_or_b32 exec_lo, exec_lo, s8
	s_and_saveexec_b32 s6, s2
	s_cbranch_execnz .LBB641_376
.LBB641_135:
	s_or_b32 exec_lo, exec_lo, s6
	v_cmp_eq_u32_e32 vcc_lo, 0, v0
	s_and_b32 exec_lo, exec_lo, vcc_lo
.LBB641_136:
	v_mov_b32_e32 v1, 0
	ds_write_b64 v1, v[3:4] offset:56
.LBB641_137:
	s_or_b32 exec_lo, exec_lo, s3
	v_mov_b32_e32 v1, 0
	s_waitcnt lgkmcnt(0)
	s_barrier
	buffer_gl0_inv
	v_cndmask_b32_e64 v7, v69, v21, s2
	ds_read_b64 v[5:6], v1 offset:56
	s_waitcnt lgkmcnt(0)
	s_barrier
	buffer_gl0_inv
	ds_read_b128 v[1:4], v1 offset:13312
	v_cndmask_b32_e64 v8, v70, v22, s2
	v_cmp_eq_u32_e32 vcc_lo, 0, v0
	v_add_nc_u32_e32 v7, v5, v7
	v_add_nc_u32_e32 v8, v6, v8
	v_cndmask_b32_e32 v24, v7, v5, vcc_lo
	v_cndmask_b32_e32 v23, v8, v6, vcc_lo
	s_branch .LBB641_147
.LBB641_138:
	s_waitcnt lgkmcnt(0)
	v_mov_b32_dpp v1, v67 row_shr:1 row_mask:0xf bank_mask:0xf
	v_mov_b32_dpp v2, v68 row_shr:1 row_mask:0xf bank_mask:0xf
	v_cmp_lt_u32_e32 vcc_lo, 3, v64
	v_add_nc_u32_e32 v1, v1, v67
	v_add_nc_u32_e32 v2, v2, v68
	v_cndmask_b32_e64 v1, v1, v67, s1
	v_cndmask_b32_e64 v2, v2, v68, s1
	s_mov_b32 s1, exec_lo
	v_mov_b32_dpp v3, v1 row_shr:2 row_mask:0xf bank_mask:0xf
	v_mov_b32_dpp v4, v2 row_shr:2 row_mask:0xf bank_mask:0xf
	v_add_nc_u32_e32 v3, v1, v3
	v_add_nc_u32_e32 v4, v2, v4
	v_cndmask_b32_e64 v1, v1, v3, s0
	v_cndmask_b32_e64 v2, v2, v4, s0
	v_mov_b32_dpp v3, v1 row_shr:4 row_mask:0xf bank_mask:0xf
	v_mov_b32_dpp v4, v2 row_shr:4 row_mask:0xf bank_mask:0xf
	v_add_nc_u32_e32 v3, v1, v3
	v_add_nc_u32_e32 v4, v2, v4
	v_cndmask_b32_e32 v3, v1, v3, vcc_lo
	v_cndmask_b32_e32 v2, v2, v4, vcc_lo
	v_cmp_lt_u32_e32 vcc_lo, 7, v64
	v_mov_b32_dpp v1, v3 row_shr:8 row_mask:0xf bank_mask:0xf
	v_mov_b32_dpp v4, v2 row_shr:8 row_mask:0xf bank_mask:0xf
	v_add_nc_u32_e32 v5, v3, v1
	v_add_nc_u32_e32 v1, v2, v4
	v_cndmask_b32_e32 v1, v2, v1, vcc_lo
	v_cndmask_b32_e32 v2, v3, v5, vcc_lo
	v_cmp_eq_u32_e32 vcc_lo, 0, v66
	ds_swizzle_b32 v3, v1 offset:swizzle(BROADCAST,32,15)
	ds_swizzle_b32 v4, v2 offset:swizzle(BROADCAST,32,15)
	s_waitcnt lgkmcnt(1)
	v_add_nc_u32_e32 v3, v1, v3
	s_waitcnt lgkmcnt(0)
	v_add_nc_u32_e32 v4, v2, v4
	v_cmpx_eq_u32_e64 v0, v65
	s_cbranch_execz .LBB641_140
; %bb.139:
	v_cndmask_b32_e32 v5, v4, v2, vcc_lo
	v_cndmask_b32_e32 v6, v3, v1, vcc_lo
	v_lshlrev_b32_e32 v7, 3, v63
	ds_write_b64 v7, v[5:6]
.LBB641_140:
	s_or_b32 exec_lo, exec_lo, s1
	s_mov_b32 s1, exec_lo
	s_waitcnt lgkmcnt(0)
	s_barrier
	buffer_gl0_inv
	v_cmpx_gt_u32_e32 8, v0
	s_cbranch_execz .LBB641_142
; %bb.141:
	v_lshlrev_b32_e32 v7, 3, v0
	v_and_b32_e32 v22, 7, v62
	ds_read_b64 v[5:6], v7
	v_cmp_eq_u32_e64 s0, 0, v22
	s_waitcnt lgkmcnt(0)
	v_mov_b32_dpp v8, v5 row_shr:1 row_mask:0xf bank_mask:0xf
	v_mov_b32_dpp v21, v6 row_shr:1 row_mask:0xf bank_mask:0xf
	v_add_nc_u32_e32 v8, v8, v5
	v_add_nc_u32_e32 v21, v21, v6
	v_cndmask_b32_e64 v5, v8, v5, s0
	v_cndmask_b32_e64 v6, v21, v6, s0
	v_cmp_lt_u32_e64 s0, 1, v22
	v_mov_b32_dpp v8, v5 row_shr:2 row_mask:0xf bank_mask:0xf
	v_mov_b32_dpp v21, v6 row_shr:2 row_mask:0xf bank_mask:0xf
	v_add_nc_u32_e32 v8, v5, v8
	v_add_nc_u32_e32 v21, v6, v21
	v_cndmask_b32_e64 v5, v5, v8, s0
	v_cndmask_b32_e64 v6, v6, v21, s0
	v_cmp_lt_u32_e64 s0, 3, v22
	v_mov_b32_dpp v8, v5 row_shr:4 row_mask:0xf bank_mask:0xf
	v_mov_b32_dpp v21, v6 row_shr:4 row_mask:0xf bank_mask:0xf
	v_cndmask_b32_e64 v8, 0, v8, s0
	v_cndmask_b32_e64 v21, 0, v21, s0
	v_add_nc_u32_e32 v5, v8, v5
	v_add_nc_u32_e32 v6, v21, v6
	ds_write_b64 v7, v[5:6]
.LBB641_142:
	s_or_b32 exec_lo, exec_lo, s1
	v_mov_b32_e32 v7, 0
	v_mov_b32_e32 v5, 0
	;; [unrolled: 1-line block ×3, first 2 shown]
	s_mov_b32 s1, exec_lo
	s_waitcnt lgkmcnt(0)
	s_barrier
	buffer_gl0_inv
	v_cmpx_lt_u32_e32 31, v0
; %bb.143:
	v_lshl_add_u32 v5, v63, 3, -8
	ds_read_b64 v[5:6], v5
; %bb.144:
	s_or_b32 exec_lo, exec_lo, s1
	v_sub_co_u32 v8, s0, v62, 1
	v_cndmask_b32_e32 v2, v4, v2, vcc_lo
	v_cndmask_b32_e32 v1, v3, v1, vcc_lo
	v_cmp_eq_u32_e32 vcc_lo, 0, v0
	v_cmp_gt_i32_e64 s1, 0, v8
	s_waitcnt lgkmcnt(0)
	v_add_nc_u32_e32 v2, v5, v2
	v_add_nc_u32_e32 v1, v6, v1
	v_cndmask_b32_e64 v4, v8, v62, s1
	v_lshlrev_b32_e32 v3, 2, v4
	ds_bpermute_b32 v8, v3, v2
	ds_bpermute_b32 v21, v3, v1
	ds_read_b64 v[1:2], v7 offset:56
	s_and_saveexec_b32 s1, vcc_lo
	s_cbranch_execz .LBB641_146
; %bb.145:
	s_add_u32 s2, s4, 0x200
	s_addc_u32 s3, s5, 0
	v_mov_b32_e32 v3, 2
	v_mov_b32_e32 v23, s3
	;; [unrolled: 1-line block ×4, first 2 shown]
	s_waitcnt lgkmcnt(0)
	;;#ASMSTART
	global_store_dwordx4 v[22:23], v[1:4] off	
s_waitcnt vmcnt(0)
	;;#ASMEND
.LBB641_146:
	s_or_b32 exec_lo, exec_lo, s1
	s_waitcnt lgkmcnt(1)
	v_cndmask_b32_e64 v3, v21, v6, s0
	v_cndmask_b32_e64 v5, v8, v5, s0
	v_mov_b32_e32 v4, 0
	s_waitcnt lgkmcnt(0)
	s_barrier
	v_cndmask_b32_e64 v23, v3, 0, vcc_lo
	v_cndmask_b32_e64 v24, v5, 0, vcc_lo
	v_mov_b32_e32 v3, 0
	buffer_gl0_inv
.LBB641_147:
	v_add_nc_u32_e32 v61, v23, v61
	v_add_nc_u32_e32 v60, v24, v60
	s_waitcnt lgkmcnt(0)
	v_sub_nc_u32_e32 v23, v23, v4
	v_lshrrev_b32_e32 v26, 8, v36
	v_lshlrev_b32_e32 v66, 1, v1
	v_add_nc_u32_e32 v58, v61, v58
	v_sub_nc_u32_e32 v61, v61, v4
	v_add_nc_u32_e32 v57, v60, v57
	v_sub_nc_u32_e32 v24, v24, v3
	v_sub_nc_u32_e32 v60, v60, v3
	v_add_nc_u32_e32 v23, v23, v1
	v_add_nc_u32_e32 v61, v61, v1
	v_and_b32_e32 v26, 1, v26
	v_mov_b32_e32 v68, 1
	v_add3_u32 v29, v66, v2, v29
	v_add_nc_u32_e32 v73, v24, v23
	v_add_nc_u32_e32 v72, v61, v60
	v_cmp_eq_u32_e32 vcc_lo, 1, v26
	v_and_b32_sdwa v71, v68, v36 dst_sel:DWORD dst_unused:UNUSED_PAD src0_sel:DWORD src1_sel:WORD_1
	v_lshrrev_b32_e32 v25, 8, v30
	v_sub_nc_u32_e32 v73, v29, v73
	v_sub_nc_u32_e32 v72, v29, v72
	v_and_b32_e32 v67, 1, v30
	v_add_nc_u32_e32 v62, v58, v43
	v_and_b32_e32 v25, 1, v25
	v_cndmask_b32_e32 v23, v73, v23, vcc_lo
	v_add_nc_u32_e32 v72, 1, v72
	v_cmp_eq_u32_e32 vcc_lo, 1, v71
	v_sub_nc_u32_e32 v58, v58, v4
	v_add_nc_u32_e32 v59, v57, v59
	v_sub_nc_u32_e32 v57, v57, v3
	v_add_co_u32 v5, s0, s28, v3
	v_cndmask_b32_e32 v26, v72, v61, vcc_lo
	v_cmp_eq_u32_e32 vcc_lo, 1, v67
	v_add_nc_u32_e32 v58, v58, v1
	v_add_co_ci_u32_e64 v6, null, s29, 0, s0
	v_sub_co_u32 v64, s0, s30, v1
	v_cndmask_b32_e32 v67, v23, v24, vcc_lo
	v_cmp_eq_u32_e32 vcc_lo, 1, v25
	v_sub_co_ci_u32_e64 v65, null, s31, 0, s0
	v_and_b32_e32 v43, 1, v43
	v_add_nc_u32_e32 v56, v62, v56
	v_cndmask_b32_e32 v25, v26, v60, vcc_lo
	v_add_nc_u32_e32 v26, v58, v57
	v_add_co_u32 v23, vcc_lo, v64, v4
	v_add_co_ci_u32_e64 v24, null, 0, v65, vcc_lo
	v_sub_nc_u32_e32 v26, v29, v26
	v_sub_nc_u32_e32 v62, v62, v4
	v_and_b32_sdwa v30, v68, v30 dst_sel:DWORD dst_unused:UNUSED_PAD src0_sel:DWORD src1_sel:WORD_1
	v_cmp_eq_u32_e32 vcc_lo, 1, v43
	v_add_nc_u32_e32 v63, v59, v42
	v_add_nc_u32_e32 v26, 2, v26
	v_sub_nc_u32_e32 v59, v59, v3
	v_add_nc_u32_e32 v62, v62, v1
	v_add_nc_u32_e32 v55, v56, v55
	v_lshlrev_b32_e32 v60, 2, v67
	v_cndmask_b32_e32 v26, v26, v58, vcc_lo
	v_cmp_eq_u32_e32 vcc_lo, 1, v30
	v_lshlrev_b32_e32 v25, 2, v25
	v_sub_nc_u32_e32 v56, v56, v4
	v_add_nc_u32_e32 v43, v59, v62
	v_sub_nc_u32_e32 v58, v63, v3
	v_cndmask_b32_e32 v26, v26, v57, vcc_lo
	ds_write_b32 v60, v19
	v_add_nc_u32_e32 v56, v56, v1
	v_sub_nc_u32_e32 v19, v29, v43
	ds_write_b32 v25, v20
	v_lshlrev_b32_e32 v25, 2, v26
	v_and_b32_e32 v26, 1, v31
	v_lshrrev_b32_e32 v22, 8, v31
	v_add_nc_u32_e32 v54, v63, v54
	v_add_nc_u32_e32 v20, v58, v56
	;; [unrolled: 1-line block ×3, first 2 shown]
	v_and_b32_e32 v30, 1, v42
	v_sub_nc_u32_e32 v42, v55, v4
	v_cmp_eq_u32_e32 vcc_lo, 1, v26
	v_sub_nc_u32_e32 v20, v29, v20
	v_and_b32_e32 v22, 1, v22
	v_sub_nc_u32_e32 v26, v54, v3
	v_add_nc_u32_e32 v42, v42, v1
	v_cndmask_b32_e32 v19, v19, v62, vcc_lo
	v_cmp_eq_u32_e32 vcc_lo, 1, v30
	v_add_nc_u32_e32 v20, 4, v20
	v_and_b32_e32 v30, 1, v32
	v_add_nc_u32_e32 v43, v26, v42
	v_lshrrev_b32_e32 v21, 8, v32
	v_cndmask_b32_e32 v19, v19, v59, vcc_lo
	v_cmp_eq_u32_e32 vcc_lo, 1, v22
	v_add_nc_u32_e32 v53, v55, v53
	ds_write_b32 v25, v17
	v_and_b32_sdwa v25, v68, v31 dst_sel:DWORD dst_unused:UNUSED_PAD src0_sel:DWORD src1_sel:WORD_1
	v_lshlrev_b32_e32 v17, 2, v19
	v_cndmask_b32_e32 v20, v20, v56, vcc_lo
	v_sub_nc_u32_e32 v19, v29, v43
	v_cmp_eq_u32_e32 vcc_lo, 1, v30
	v_add_nc_u32_e32 v52, v54, v52
	v_add_nc_u32_e32 v69, v53, v41
	v_and_b32_e32 v21, 1, v21
	v_sub_nc_u32_e32 v22, v53, v4
	v_cndmask_b32_e32 v20, v20, v58, vcc_lo
	v_add_nc_u32_e32 v19, 5, v19
	v_cmp_eq_u32_e32 vcc_lo, 1, v25
	v_add_nc_u32_e32 v46, v52, v46
	v_sub_nc_u32_e32 v30, v52, v3
	v_sub_nc_u32_e32 v31, v69, v4
	v_add_nc_u32_e32 v22, v22, v1
	v_cndmask_b32_e32 v19, v19, v42, vcc_lo
	v_cmp_eq_u32_e32 vcc_lo, 1, v21
	v_sub_nc_u32_e32 v25, v46, v3
	v_add_nc_u32_e32 v31, v31, v1
	v_lshlrev_b32_e32 v20, 2, v20
	v_add_nc_u32_e32 v42, v30, v22
	v_cndmask_b32_e32 v19, v19, v26, vcc_lo
	ds_write_b32 v17, v18
	v_add_nc_u32_e32 v21, v25, v31
	ds_write_b32 v20, v15
	v_sub_nc_u32_e32 v17, v29, v42
	v_lshlrev_b32_e32 v15, 2, v19
	v_and_b32_e32 v19, 1, v41
	v_sub_nc_u32_e32 v18, v29, v21
	v_and_b32_e32 v21, 1, v33
	v_add_nc_u32_e32 v17, 6, v17
	v_add_nc_u32_e32 v51, v69, v51
	v_cmp_eq_u32_e32 vcc_lo, 1, v19
	v_and_b32_sdwa v20, v68, v32 dst_sel:DWORD dst_unused:UNUSED_PAD src0_sel:DWORD src1_sel:WORD_1
	v_add_nc_u32_e32 v18, 7, v18
	v_add_nc_u32_e32 v70, v46, v40
	v_sub_nc_u32_e32 v19, v51, v4
	v_cndmask_b32_e32 v17, v17, v22, vcc_lo
	v_cmp_eq_u32_e32 vcc_lo, 1, v21
	v_and_b32_e32 v22, 1, v40
	v_add_nc_u32_e32 v50, v51, v50
	v_sub_nc_u32_e32 v21, v70, v3
	v_add_nc_u32_e32 v19, v19, v1
	v_cndmask_b32_e32 v18, v18, v31, vcc_lo
	v_cmp_eq_u32_e32 vcc_lo, 1, v20
	v_lshrrev_b32_e32 v8, 8, v33
	v_add_nc_u32_e32 v49, v70, v49
	v_add_nc_u32_e32 v20, v21, v19
	ds_write_b32 v15, v16
	v_cndmask_b32_e32 v17, v17, v30, vcc_lo
	v_cmp_eq_u32_e32 vcc_lo, 1, v22
	v_sub_nc_u32_e32 v15, v50, v4
	v_add_nc_u32_e32 v48, v50, v48
	v_and_b32_e32 v8, 1, v8
	v_lshlrev_b32_e32 v16, 2, v17
	v_cndmask_b32_e32 v18, v18, v25, vcc_lo
	v_add_nc_u32_e32 v15, v15, v1
	v_add_nc_u32_e32 v47, v49, v47
	v_cmp_eq_u32_e32 vcc_lo, 1, v8
	v_lshrrev_b32_e32 v7, 8, v35
	v_lshlrev_b32_e32 v17, 2, v18
	v_sub_nc_u32_e32 v18, v29, v20
	v_sub_nc_u32_e32 v20, v49, v3
	ds_write_b32 v16, v13
	ds_write_b32 v17, v14
	v_and_b32_e32 v16, 1, v35
	v_add_nc_u32_e32 v13, 8, v18
	v_add_nc_u32_e32 v14, v20, v15
	v_sub_nc_u32_e32 v17, v48, v4
	v_add_nc_u32_e32 v74, v48, v39
	v_add_nc_u32_e32 v45, v47, v45
	v_cndmask_b32_e32 v8, v13, v19, vcc_lo
	v_sub_nc_u32_e32 v13, v29, v14
	v_sub_nc_u32_e32 v14, v47, v3
	v_add_nc_u32_e32 v17, v17, v1
	v_cmp_eq_u32_e32 vcc_lo, 1, v16
	v_and_b32_sdwa v16, v68, v33 dst_sel:DWORD dst_unused:UNUSED_PAD src0_sel:DWORD src1_sel:WORD_1
	v_add_nc_u32_e32 v44, v74, v44
	v_add_nc_u32_e32 v13, 9, v13
	v_and_b32_e32 v7, 1, v7
	v_cndmask_b32_e32 v8, v8, v21, vcc_lo
	v_add_nc_u32_e32 v18, v14, v17
	v_sub_nc_u32_e32 v19, v74, v4
	v_cmp_eq_u32_e32 vcc_lo, 1, v16
	v_add_nc_u32_e32 v61, v45, v38
	v_and_b32_e32 v25, 1, v37
	v_sub_nc_u32_e32 v16, v29, v18
	v_sub_nc_u32_e32 v18, v45, v3
	v_cndmask_b32_e32 v13, v13, v15, vcc_lo
	v_sub_nc_u32_e32 v15, v44, v4
	v_add_nc_u32_e32 v19, v19, v1
	v_cmp_eq_u32_e32 vcc_lo, 1, v7
	v_sub_nc_u32_e32 v3, v61, v3
	v_add_nc_u32_e32 v16, 10, v16
	v_add_nc_u32_e32 v15, v15, v1
	v_and_b32_sdwa v22, v68, v35 dst_sel:DWORD dst_unused:UNUSED_PAD src0_sel:DWORD src1_sel:WORD_1
	v_cndmask_b32_e32 v7, v13, v20, vcc_lo
	v_add_nc_u32_e32 v13, v18, v19
	v_and_b32_e32 v20, 1, v39
	v_add_nc_u32_e32 v21, v3, v15
	v_lshlrev_b32_e32 v8, 2, v8
	v_lshlrev_b32_e32 v7, 2, v7
	v_sub_nc_u32_e32 v13, v29, v13
	v_cmp_eq_u32_e32 vcc_lo, 1, v20
	v_and_b32_e32 v20, 1, v34
	v_add_nc_u32_e32 v13, 11, v13
	v_cndmask_b32_e32 v16, v16, v17, vcc_lo
	v_sub_nc_u32_e32 v17, v29, v21
	v_cmp_eq_u32_e32 vcc_lo, 1, v20
	v_and_b32_e32 v21, 1, v38
	v_add_nc_u32_e32 v17, 12, v17
	v_cndmask_b32_e32 v13, v13, v19, vcc_lo
	v_cmp_eq_u32_e32 vcc_lo, 1, v25
	v_and_b32_e32 v19, 1, v36
	v_cndmask_b32_e32 v15, v17, v15, vcc_lo
	v_cmp_eq_u32_e32 vcc_lo, 1, v22
	v_cndmask_b32_e32 v14, v16, v14, vcc_lo
	v_cmp_eq_u32_e32 vcc_lo, 1, v21
	v_lshlrev_b32_e32 v14, 2, v14
	v_cndmask_b32_e32 v13, v13, v18, vcc_lo
	v_cmp_eq_u32_e32 vcc_lo, 1, v19
	v_lshlrev_b32_e32 v13, 2, v13
	v_cndmask_b32_e32 v3, v15, v3, vcc_lo
	v_lshlrev_b32_e32 v3, 2, v3
	ds_write_b32 v8, v11
	ds_write_b32 v7, v12
	;; [unrolled: 1-line block ×5, first 2 shown]
	v_add_co_u32 v3, s0, v2, v66
	v_add_co_ci_u32_e64 v7, null, 0, 0, s0
	s_add_u32 s0, s34, s42
	v_add_co_u32 v3, vcc_lo, v3, v23
	v_add_co_ci_u32_e64 v7, null, v7, v24, vcc_lo
	s_addc_u32 s1, s35, 0
	v_add_co_u32 v3, vcc_lo, v3, v5
	v_add_co_ci_u32_e64 v9, null, v7, v6, vcc_lo
	v_lshlrev_b64 v[7:8], 2, v[23:24]
	v_sub_co_u32 v3, vcc_lo, s0, v3
	v_sub_co_ci_u32_e64 v11, null, s1, v9, vcc_lo
	v_lshlrev_b64 v[9:10], 2, v[5:6]
	v_add_co_u32 v7, vcc_lo, s38, v7
	v_add_co_ci_u32_e64 v8, null, s39, v8, vcc_lo
	v_cmp_ne_u32_e32 vcc_lo, 1, v27
	v_add_co_u32 v9, s0, s36, v9
	v_add_nc_u32_e32 v12, v1, v2
	v_add_co_ci_u32_e64 v10, null, s37, v10, s0
	s_and_b32 vcc_lo, exec_lo, vcc_lo
	s_mov_b32 s0, -1
	s_waitcnt lgkmcnt(0)
	s_barrier
	buffer_gl0_inv
	s_cbranch_vccz .LBB641_151
; %bb.148:
	s_and_b32 vcc_lo, exec_lo, s0
	s_cbranch_vccnz .LBB641_256
.LBB641_149:
	v_cmp_eq_u32_e32 vcc_lo, 0, v0
	s_and_b32 s0, vcc_lo, s33
	s_and_saveexec_b32 s1, s0
	s_cbranch_execnz .LBB641_374
.LBB641_150:
	s_endpgm
.LBB641_151:
	s_mov_b32 s0, exec_lo
	v_cmpx_ge_u32_e64 v0, v1
	s_xor_b32 s0, exec_lo, s0
	s_cbranch_execz .LBB641_157
; %bb.152:
	s_mov_b32 s1, exec_lo
	v_cmpx_ge_u32_e64 v0, v12
	s_xor_b32 s1, exec_lo, s1
	s_cbranch_execz .LBB641_154
; %bb.153:
	v_lshlrev_b32_e32 v13, 2, v0
	ds_read_b32 v15, v13
	v_add_co_u32 v13, vcc_lo, v3, v0
	v_add_co_ci_u32_e64 v14, null, 0, v11, vcc_lo
	v_lshlrev_b64 v[13:14], 2, v[13:14]
	v_sub_co_u32 v13, vcc_lo, s26, v13
	v_sub_co_ci_u32_e64 v14, null, s27, v14, vcc_lo
	s_waitcnt lgkmcnt(0)
	global_store_dword v[13:14], v15, off offset:-4
.LBB641_154:
	s_andn2_saveexec_b32 s1, s1
	s_cbranch_execz .LBB641_156
; %bb.155:
	v_lshlrev_b32_e32 v13, 2, v0
	v_readfirstlane_b32 s2, v7
	v_readfirstlane_b32 s3, v8
	ds_read_b32 v14, v13
	s_waitcnt lgkmcnt(0)
	global_store_dword v13, v14, s[2:3]
.LBB641_156:
	s_or_b32 exec_lo, exec_lo, s1
.LBB641_157:
	s_andn2_saveexec_b32 s0, s0
	s_cbranch_execz .LBB641_159
; %bb.158:
	v_lshlrev_b32_e32 v13, 2, v0
	v_readfirstlane_b32 s2, v9
	v_readfirstlane_b32 s3, v10
	ds_read_b32 v14, v13
	s_waitcnt lgkmcnt(0)
	global_store_dword v13, v14, s[2:3]
.LBB641_159:
	s_or_b32 exec_lo, exec_lo, s0
	v_or_b32_e32 v13, 0x100, v0
	s_mov_b32 s0, exec_lo
	v_cmpx_ge_u32_e64 v13, v1
	s_xor_b32 s0, exec_lo, s0
	s_cbranch_execz .LBB641_165
; %bb.160:
	s_mov_b32 s1, exec_lo
	v_cmpx_ge_u32_e64 v13, v12
	s_xor_b32 s1, exec_lo, s1
	s_cbranch_execz .LBB641_162
; %bb.161:
	v_lshlrev_b32_e32 v13, 2, v0
	ds_read_b32 v15, v13 offset:1024
	v_add_co_u32 v13, vcc_lo, v3, v0
	v_add_co_ci_u32_e64 v14, null, 0, v11, vcc_lo
	v_lshlrev_b64 v[13:14], 2, v[13:14]
	v_sub_co_u32 v13, vcc_lo, s26, v13
	v_sub_co_ci_u32_e64 v14, null, s27, v14, vcc_lo
	s_waitcnt lgkmcnt(0)
	global_store_dword v[13:14], v15, off offset:-1028
.LBB641_162:
	s_andn2_saveexec_b32 s1, s1
	s_cbranch_execz .LBB641_164
; %bb.163:
	v_lshlrev_b32_e32 v13, 2, v0
	v_readfirstlane_b32 s2, v7
	v_readfirstlane_b32 s3, v8
	ds_read_b32 v14, v13 offset:1024
	s_waitcnt lgkmcnt(0)
	global_store_dword v13, v14, s[2:3] offset:1024
.LBB641_164:
	s_or_b32 exec_lo, exec_lo, s1
.LBB641_165:
	s_andn2_saveexec_b32 s0, s0
	s_cbranch_execz .LBB641_167
; %bb.166:
	v_lshlrev_b32_e32 v13, 2, v0
	v_readfirstlane_b32 s2, v9
	v_readfirstlane_b32 s3, v10
	ds_read_b32 v14, v13 offset:1024
	s_waitcnt lgkmcnt(0)
	global_store_dword v13, v14, s[2:3] offset:1024
.LBB641_167:
	s_or_b32 exec_lo, exec_lo, s0
	v_or_b32_e32 v13, 0x200, v0
	s_mov_b32 s0, exec_lo
	v_cmpx_ge_u32_e64 v13, v1
	s_xor_b32 s0, exec_lo, s0
	s_cbranch_execz .LBB641_173
; %bb.168:
	s_mov_b32 s1, exec_lo
	v_cmpx_ge_u32_e64 v13, v12
	s_xor_b32 s1, exec_lo, s1
	s_cbranch_execz .LBB641_170
; %bb.169:
	v_lshlrev_b32_e32 v15, 2, v0
	v_add_co_u32 v13, vcc_lo, v3, v0
	v_add_co_ci_u32_e64 v14, null, 0, v11, vcc_lo
	ds_read_b32 v15, v15 offset:2048
	v_lshlrev_b64 v[13:14], 2, v[13:14]
	v_sub_co_u32 v13, vcc_lo, s26, v13
	v_sub_co_ci_u32_e64 v14, null, s27, v14, vcc_lo
	v_add_co_u32 v13, vcc_lo, 0xfffff800, v13
	v_add_co_ci_u32_e64 v14, null, -1, v14, vcc_lo
	s_waitcnt lgkmcnt(0)
	global_store_dword v[13:14], v15, off offset:-4
                                        ; implicit-def: $vgpr13
.LBB641_170:
	s_andn2_saveexec_b32 s1, s1
	s_cbranch_execz .LBB641_172
; %bb.171:
	v_lshlrev_b32_e32 v14, 2, v0
	v_lshlrev_b32_e32 v13, 2, v13
	v_readfirstlane_b32 s2, v7
	v_readfirstlane_b32 s3, v8
	ds_read_b32 v14, v14 offset:2048
	s_waitcnt lgkmcnt(0)
	global_store_dword v13, v14, s[2:3]
.LBB641_172:
	s_or_b32 exec_lo, exec_lo, s1
                                        ; implicit-def: $vgpr13
.LBB641_173:
	s_andn2_saveexec_b32 s0, s0
	s_cbranch_execz .LBB641_175
; %bb.174:
	v_lshlrev_b32_e32 v14, 2, v0
	v_lshlrev_b32_e32 v13, 2, v13
	v_readfirstlane_b32 s2, v9
	v_readfirstlane_b32 s3, v10
	ds_read_b32 v14, v14 offset:2048
	s_waitcnt lgkmcnt(0)
	global_store_dword v13, v14, s[2:3]
.LBB641_175:
	s_or_b32 exec_lo, exec_lo, s0
	v_or_b32_e32 v13, 0x300, v0
	s_mov_b32 s0, exec_lo
	v_cmpx_ge_u32_e64 v13, v1
	s_xor_b32 s0, exec_lo, s0
	s_cbranch_execz .LBB641_181
; %bb.176:
	s_mov_b32 s1, exec_lo
	v_cmpx_ge_u32_e64 v13, v12
	s_xor_b32 s1, exec_lo, s1
	s_cbranch_execz .LBB641_178
; %bb.177:
	v_lshlrev_b32_e32 v14, 2, v0
	v_add_co_u32 v13, vcc_lo, v3, v13
	ds_read_b32 v15, v14 offset:3072
	v_add_co_ci_u32_e64 v14, null, 0, v11, vcc_lo
	v_lshlrev_b64 v[13:14], 2, v[13:14]
	v_sub_co_u32 v13, vcc_lo, s26, v13
	v_sub_co_ci_u32_e64 v14, null, s27, v14, vcc_lo
	s_waitcnt lgkmcnt(0)
	global_store_dword v[13:14], v15, off offset:-4
                                        ; implicit-def: $vgpr13
.LBB641_178:
	s_andn2_saveexec_b32 s1, s1
	s_cbranch_execz .LBB641_180
; %bb.179:
	v_lshlrev_b32_e32 v14, 2, v0
	v_lshlrev_b32_e32 v13, 2, v13
	v_readfirstlane_b32 s2, v7
	v_readfirstlane_b32 s3, v8
	ds_read_b32 v14, v14 offset:3072
	s_waitcnt lgkmcnt(0)
	global_store_dword v13, v14, s[2:3]
.LBB641_180:
	s_or_b32 exec_lo, exec_lo, s1
                                        ; implicit-def: $vgpr13
.LBB641_181:
	s_andn2_saveexec_b32 s0, s0
	s_cbranch_execz .LBB641_183
; %bb.182:
	v_lshlrev_b32_e32 v14, 2, v0
	v_lshlrev_b32_e32 v13, 2, v13
	v_readfirstlane_b32 s2, v9
	v_readfirstlane_b32 s3, v10
	ds_read_b32 v14, v14 offset:3072
	s_waitcnt lgkmcnt(0)
	global_store_dword v13, v14, s[2:3]
.LBB641_183:
	s_or_b32 exec_lo, exec_lo, s0
	v_or_b32_e32 v13, 0x400, v0
	s_mov_b32 s0, exec_lo
	v_cmpx_ge_u32_e64 v13, v1
	s_xor_b32 s0, exec_lo, s0
	s_cbranch_execz .LBB641_189
; %bb.184:
	s_mov_b32 s1, exec_lo
	v_cmpx_ge_u32_e64 v13, v12
	s_xor_b32 s1, exec_lo, s1
	s_cbranch_execz .LBB641_186
; %bb.185:
	v_lshlrev_b32_e32 v14, 2, v0
	v_add_co_u32 v13, vcc_lo, v3, v13
	ds_read_b32 v15, v14 offset:4096
	v_add_co_ci_u32_e64 v14, null, 0, v11, vcc_lo
	v_lshlrev_b64 v[13:14], 2, v[13:14]
	v_sub_co_u32 v13, vcc_lo, s26, v13
	v_sub_co_ci_u32_e64 v14, null, s27, v14, vcc_lo
	s_waitcnt lgkmcnt(0)
	global_store_dword v[13:14], v15, off offset:-4
                                        ; implicit-def: $vgpr13
.LBB641_186:
	s_andn2_saveexec_b32 s1, s1
	s_cbranch_execz .LBB641_188
; %bb.187:
	v_lshlrev_b32_e32 v14, 2, v0
	v_lshlrev_b32_e32 v13, 2, v13
	v_readfirstlane_b32 s2, v7
	v_readfirstlane_b32 s3, v8
	ds_read_b32 v14, v14 offset:4096
	s_waitcnt lgkmcnt(0)
	global_store_dword v13, v14, s[2:3]
.LBB641_188:
	s_or_b32 exec_lo, exec_lo, s1
                                        ; implicit-def: $vgpr13
.LBB641_189:
	;; [unrolled: 48-line block ×10, first 2 shown]
	s_andn2_saveexec_b32 s0, s0
	s_cbranch_execz .LBB641_255
; %bb.254:
	v_lshlrev_b32_e32 v14, 2, v0
	v_lshlrev_b32_e32 v13, 2, v13
	v_readfirstlane_b32 s2, v9
	v_readfirstlane_b32 s3, v10
	ds_read_b32 v14, v14 offset:12288
	s_waitcnt lgkmcnt(0)
	global_store_dword v13, v14, s[2:3]
.LBB641_255:
	s_or_b32 exec_lo, exec_lo, s0
	s_branch .LBB641_149
.LBB641_256:
	s_mov_b32 s0, exec_lo
	v_cmpx_gt_u32_e64 s7, v0
	s_cbranch_execz .LBB641_265
; %bb.257:
	s_mov_b32 s1, exec_lo
	v_cmpx_ge_u32_e64 v0, v1
	s_xor_b32 s1, exec_lo, s1
	s_cbranch_execz .LBB641_263
; %bb.258:
	s_mov_b32 s2, exec_lo
	v_cmpx_ge_u32_e64 v0, v12
	s_xor_b32 s2, exec_lo, s2
	s_cbranch_execz .LBB641_260
; %bb.259:
	v_lshlrev_b32_e32 v13, 2, v0
	ds_read_b32 v15, v13
	v_add_co_u32 v13, vcc_lo, v3, v0
	v_add_co_ci_u32_e64 v14, null, 0, v11, vcc_lo
	v_lshlrev_b64 v[13:14], 2, v[13:14]
	v_sub_co_u32 v13, vcc_lo, s26, v13
	v_sub_co_ci_u32_e64 v14, null, s27, v14, vcc_lo
	s_waitcnt lgkmcnt(0)
	global_store_dword v[13:14], v15, off offset:-4
.LBB641_260:
	s_andn2_saveexec_b32 s2, s2
	s_cbranch_execz .LBB641_262
; %bb.261:
	v_lshlrev_b32_e32 v13, 2, v0
	v_readfirstlane_b32 s4, v7
	v_readfirstlane_b32 s5, v8
	ds_read_b32 v14, v13
	s_waitcnt lgkmcnt(0)
	global_store_dword v13, v14, s[4:5]
.LBB641_262:
	s_or_b32 exec_lo, exec_lo, s2
.LBB641_263:
	s_andn2_saveexec_b32 s1, s1
	s_cbranch_execz .LBB641_265
; %bb.264:
	v_lshlrev_b32_e32 v13, 2, v0
	v_readfirstlane_b32 s2, v9
	v_readfirstlane_b32 s3, v10
	ds_read_b32 v14, v13
	s_waitcnt lgkmcnt(0)
	global_store_dword v13, v14, s[2:3]
.LBB641_265:
	s_or_b32 exec_lo, exec_lo, s0
	v_or_b32_e32 v13, 0x100, v0
	s_mov_b32 s0, exec_lo
	v_cmpx_gt_u32_e64 s7, v13
	s_cbranch_execz .LBB641_274
; %bb.266:
	s_mov_b32 s1, exec_lo
	v_cmpx_ge_u32_e64 v13, v1
	s_xor_b32 s1, exec_lo, s1
	s_cbranch_execz .LBB641_272
; %bb.267:
	s_mov_b32 s2, exec_lo
	v_cmpx_ge_u32_e64 v13, v12
	s_xor_b32 s2, exec_lo, s2
	s_cbranch_execz .LBB641_269
; %bb.268:
	v_lshlrev_b32_e32 v13, 2, v0
	ds_read_b32 v15, v13 offset:1024
	v_add_co_u32 v13, vcc_lo, v3, v0
	v_add_co_ci_u32_e64 v14, null, 0, v11, vcc_lo
	v_lshlrev_b64 v[13:14], 2, v[13:14]
	v_sub_co_u32 v13, vcc_lo, s26, v13
	v_sub_co_ci_u32_e64 v14, null, s27, v14, vcc_lo
	s_waitcnt lgkmcnt(0)
	global_store_dword v[13:14], v15, off offset:-1028
.LBB641_269:
	s_andn2_saveexec_b32 s2, s2
	s_cbranch_execz .LBB641_271
; %bb.270:
	v_lshlrev_b32_e32 v13, 2, v0
	v_readfirstlane_b32 s4, v7
	v_readfirstlane_b32 s5, v8
	ds_read_b32 v14, v13 offset:1024
	s_waitcnt lgkmcnt(0)
	global_store_dword v13, v14, s[4:5] offset:1024
.LBB641_271:
	s_or_b32 exec_lo, exec_lo, s2
.LBB641_272:
	s_andn2_saveexec_b32 s1, s1
	s_cbranch_execz .LBB641_274
; %bb.273:
	v_lshlrev_b32_e32 v13, 2, v0
	v_readfirstlane_b32 s2, v9
	v_readfirstlane_b32 s3, v10
	ds_read_b32 v14, v13 offset:1024
	s_waitcnt lgkmcnt(0)
	global_store_dword v13, v14, s[2:3] offset:1024
.LBB641_274:
	s_or_b32 exec_lo, exec_lo, s0
	v_or_b32_e32 v13, 0x200, v0
	s_mov_b32 s0, exec_lo
	v_cmpx_gt_u32_e64 s7, v13
	s_cbranch_execz .LBB641_283
; %bb.275:
	s_mov_b32 s1, exec_lo
	v_cmpx_ge_u32_e64 v13, v1
	s_xor_b32 s1, exec_lo, s1
	s_cbranch_execz .LBB641_281
; %bb.276:
	s_mov_b32 s2, exec_lo
	v_cmpx_ge_u32_e64 v13, v12
	s_xor_b32 s2, exec_lo, s2
	s_cbranch_execz .LBB641_278
; %bb.277:
	v_lshlrev_b32_e32 v15, 2, v0
	v_add_co_u32 v13, vcc_lo, v3, v0
	v_add_co_ci_u32_e64 v14, null, 0, v11, vcc_lo
	ds_read_b32 v15, v15 offset:2048
	v_lshlrev_b64 v[13:14], 2, v[13:14]
	v_sub_co_u32 v13, vcc_lo, s26, v13
	v_sub_co_ci_u32_e64 v14, null, s27, v14, vcc_lo
	v_add_co_u32 v13, vcc_lo, 0xfffff800, v13
	v_add_co_ci_u32_e64 v14, null, -1, v14, vcc_lo
	s_waitcnt lgkmcnt(0)
	global_store_dword v[13:14], v15, off offset:-4
                                        ; implicit-def: $vgpr13
.LBB641_278:
	s_andn2_saveexec_b32 s2, s2
	s_cbranch_execz .LBB641_280
; %bb.279:
	v_lshlrev_b32_e32 v14, 2, v0
	v_lshlrev_b32_e32 v13, 2, v13
	v_readfirstlane_b32 s4, v7
	v_readfirstlane_b32 s5, v8
	ds_read_b32 v14, v14 offset:2048
	s_waitcnt lgkmcnt(0)
	global_store_dword v13, v14, s[4:5]
.LBB641_280:
	s_or_b32 exec_lo, exec_lo, s2
                                        ; implicit-def: $vgpr13
.LBB641_281:
	s_andn2_saveexec_b32 s1, s1
	s_cbranch_execz .LBB641_283
; %bb.282:
	v_lshlrev_b32_e32 v14, 2, v0
	v_lshlrev_b32_e32 v13, 2, v13
	v_readfirstlane_b32 s2, v9
	v_readfirstlane_b32 s3, v10
	ds_read_b32 v14, v14 offset:2048
	s_waitcnt lgkmcnt(0)
	global_store_dword v13, v14, s[2:3]
.LBB641_283:
	s_or_b32 exec_lo, exec_lo, s0
	v_or_b32_e32 v13, 0x300, v0
	s_mov_b32 s0, exec_lo
	v_cmpx_gt_u32_e64 s7, v13
	s_cbranch_execz .LBB641_292
; %bb.284:
	s_mov_b32 s1, exec_lo
	v_cmpx_ge_u32_e64 v13, v1
	s_xor_b32 s1, exec_lo, s1
	s_cbranch_execz .LBB641_290
; %bb.285:
	s_mov_b32 s2, exec_lo
	v_cmpx_ge_u32_e64 v13, v12
	s_xor_b32 s2, exec_lo, s2
	s_cbranch_execz .LBB641_287
; %bb.286:
	v_lshlrev_b32_e32 v14, 2, v0
	v_add_co_u32 v13, vcc_lo, v3, v13
	ds_read_b32 v15, v14 offset:3072
	v_add_co_ci_u32_e64 v14, null, 0, v11, vcc_lo
	v_lshlrev_b64 v[13:14], 2, v[13:14]
	v_sub_co_u32 v13, vcc_lo, s26, v13
	v_sub_co_ci_u32_e64 v14, null, s27, v14, vcc_lo
	s_waitcnt lgkmcnt(0)
	global_store_dword v[13:14], v15, off offset:-4
                                        ; implicit-def: $vgpr13
.LBB641_287:
	s_andn2_saveexec_b32 s2, s2
	s_cbranch_execz .LBB641_289
; %bb.288:
	v_lshlrev_b32_e32 v14, 2, v0
	v_lshlrev_b32_e32 v13, 2, v13
	v_readfirstlane_b32 s4, v7
	v_readfirstlane_b32 s5, v8
	ds_read_b32 v14, v14 offset:3072
	s_waitcnt lgkmcnt(0)
	global_store_dword v13, v14, s[4:5]
.LBB641_289:
	s_or_b32 exec_lo, exec_lo, s2
                                        ; implicit-def: $vgpr13
.LBB641_290:
	s_andn2_saveexec_b32 s1, s1
	s_cbranch_execz .LBB641_292
; %bb.291:
	v_lshlrev_b32_e32 v14, 2, v0
	v_lshlrev_b32_e32 v13, 2, v13
	v_readfirstlane_b32 s2, v9
	v_readfirstlane_b32 s3, v10
	ds_read_b32 v14, v14 offset:3072
	s_waitcnt lgkmcnt(0)
	global_store_dword v13, v14, s[2:3]
.LBB641_292:
	s_or_b32 exec_lo, exec_lo, s0
	v_or_b32_e32 v13, 0x400, v0
	s_mov_b32 s0, exec_lo
	v_cmpx_gt_u32_e64 s7, v13
	s_cbranch_execz .LBB641_301
; %bb.293:
	s_mov_b32 s1, exec_lo
	v_cmpx_ge_u32_e64 v13, v1
	s_xor_b32 s1, exec_lo, s1
	s_cbranch_execz .LBB641_299
; %bb.294:
	s_mov_b32 s2, exec_lo
	v_cmpx_ge_u32_e64 v13, v12
	s_xor_b32 s2, exec_lo, s2
	s_cbranch_execz .LBB641_296
; %bb.295:
	v_lshlrev_b32_e32 v14, 2, v0
	v_add_co_u32 v13, vcc_lo, v3, v13
	ds_read_b32 v15, v14 offset:4096
	v_add_co_ci_u32_e64 v14, null, 0, v11, vcc_lo
	v_lshlrev_b64 v[13:14], 2, v[13:14]
	v_sub_co_u32 v13, vcc_lo, s26, v13
	v_sub_co_ci_u32_e64 v14, null, s27, v14, vcc_lo
	s_waitcnt lgkmcnt(0)
	global_store_dword v[13:14], v15, off offset:-4
                                        ; implicit-def: $vgpr13
.LBB641_296:
	s_andn2_saveexec_b32 s2, s2
	s_cbranch_execz .LBB641_298
; %bb.297:
	v_lshlrev_b32_e32 v14, 2, v0
	v_lshlrev_b32_e32 v13, 2, v13
	v_readfirstlane_b32 s4, v7
	v_readfirstlane_b32 s5, v8
	ds_read_b32 v14, v14 offset:4096
	s_waitcnt lgkmcnt(0)
	global_store_dword v13, v14, s[4:5]
.LBB641_298:
	s_or_b32 exec_lo, exec_lo, s2
                                        ; implicit-def: $vgpr13
.LBB641_299:
	s_andn2_saveexec_b32 s1, s1
	s_cbranch_execz .LBB641_301
; %bb.300:
	v_lshlrev_b32_e32 v14, 2, v0
	v_lshlrev_b32_e32 v13, 2, v13
	v_readfirstlane_b32 s2, v9
	v_readfirstlane_b32 s3, v10
	ds_read_b32 v14, v14 offset:4096
	s_waitcnt lgkmcnt(0)
	global_store_dword v13, v14, s[2:3]
.LBB641_301:
	;; [unrolled: 52-line block ×9, first 2 shown]
	s_or_b32 exec_lo, exec_lo, s0
	v_or_b32_e32 v13, 0xc00, v0
	s_mov_b32 s0, exec_lo
	v_cmpx_gt_u32_e64 s7, v13
	s_cbranch_execz .LBB641_373
; %bb.365:
	s_mov_b32 s1, exec_lo
	v_cmpx_ge_u32_e64 v13, v1
	s_xor_b32 s1, exec_lo, s1
	s_cbranch_execz .LBB641_371
; %bb.366:
	s_mov_b32 s2, exec_lo
	v_cmpx_ge_u32_e64 v13, v12
	s_xor_b32 s2, exec_lo, s2
	s_cbranch_execz .LBB641_368
; %bb.367:
	v_lshlrev_b32_e32 v7, 2, v0
	ds_read_b32 v9, v7 offset:12288
	v_add_co_u32 v7, vcc_lo, v3, v13
	v_add_co_ci_u32_e64 v8, null, 0, v11, vcc_lo
                                        ; implicit-def: $vgpr13
	v_lshlrev_b64 v[7:8], 2, v[7:8]
	v_sub_co_u32 v7, vcc_lo, s26, v7
	v_sub_co_ci_u32_e64 v8, null, s27, v8, vcc_lo
	s_waitcnt lgkmcnt(0)
	global_store_dword v[7:8], v9, off offset:-4
                                        ; implicit-def: $vgpr7_vgpr8
.LBB641_368:
	s_andn2_saveexec_b32 s2, s2
	s_cbranch_execz .LBB641_370
; %bb.369:
	v_lshlrev_b32_e32 v3, 2, v0
	v_lshlrev_b32_e32 v9, 2, v13
	v_readfirstlane_b32 s4, v7
	v_readfirstlane_b32 s5, v8
	ds_read_b32 v3, v3 offset:12288
	s_waitcnt lgkmcnt(0)
	global_store_dword v9, v3, s[4:5]
.LBB641_370:
	s_or_b32 exec_lo, exec_lo, s2
                                        ; implicit-def: $vgpr13
                                        ; implicit-def: $vgpr9_vgpr10
.LBB641_371:
	s_andn2_saveexec_b32 s1, s1
	s_cbranch_execz .LBB641_373
; %bb.372:
	v_lshlrev_b32_e32 v3, 2, v0
	v_lshlrev_b32_e32 v7, 2, v13
	v_readfirstlane_b32 s2, v9
	v_readfirstlane_b32 s3, v10
	ds_read_b32 v3, v3 offset:12288
	s_waitcnt lgkmcnt(0)
	global_store_dword v7, v3, s[2:3]
.LBB641_373:
	s_or_b32 exec_lo, exec_lo, s0
	v_cmp_eq_u32_e32 vcc_lo, 0, v0
	s_and_b32 s0, vcc_lo, s33
	s_and_saveexec_b32 s1, s0
	s_cbranch_execz .LBB641_150
.LBB641_374:
	v_add_co_u32 v0, s0, s30, v2
	v_add_co_ci_u32_e64 v3, null, s31, 0, s0
	v_mov_b32_e32 v7, 0
	v_add_co_u32 v2, vcc_lo, v0, v4
	v_add_co_ci_u32_e64 v3, null, 0, v3, vcc_lo
	v_add_co_u32 v0, vcc_lo, v5, v1
	v_add_co_ci_u32_e64 v1, null, 0, v6, vcc_lo
	global_store_dwordx4 v7, v[0:3], s[24:25]
	s_endpgm
.LBB641_375:
	s_add_i32 s10, s6, 32
	s_mov_b32 s11, 0
	v_add_nc_u32_e32 v6, v4, v2
	s_lshl_b64 s[10:11], s[10:11], 4
	v_add_nc_u32_e32 v5, v3, v1
	s_add_u32 s10, s4, s10
	s_addc_u32 s11, s5, s11
	v_mov_b32_e32 v7, 2
	v_mov_b32_e32 v24, s11
	;; [unrolled: 1-line block ×4, first 2 shown]
	;;#ASMSTART
	global_store_dwordx4 v[23:24], v[5:8] off	
s_waitcnt vmcnt(0)
	;;#ASMEND
	s_or_b32 exec_lo, exec_lo, s8
	s_and_saveexec_b32 s6, s2
	s_cbranch_execz .LBB641_135
.LBB641_376:
	v_mov_b32_e32 v5, 0
	ds_write_b128 v5, v[1:4] offset:13312
	s_or_b32 exec_lo, exec_lo, s6
	v_cmp_eq_u32_e32 vcc_lo, 0, v0
	s_and_b32 exec_lo, exec_lo, vcc_lo
	s_cbranch_execnz .LBB641_136
	s_branch .LBB641_137
	.section	.rodata,"a",@progbits
	.p2align	6, 0x0
	.amdhsa_kernel _ZN7rocprim17ROCPRIM_400000_NS6detail17trampoline_kernelINS0_13select_configILj256ELj13ELNS0_17block_load_methodE3ELS4_3ELS4_3ELNS0_20block_scan_algorithmE0ELj4294967295EEENS1_25partition_config_selectorILNS1_17partition_subalgoE4EjNS0_10empty_typeEbEEZZNS1_14partition_implILS8_4ELb0ES6_15HIP_vector_typeIjLj2EENS0_17counting_iteratorIjlEEPS9_SG_NS0_5tupleIJPjSI_NS0_16reverse_iteratorISI_EEEEENSH_IJSG_SG_SG_EEES9_SI_JZNS1_25segmented_radix_sort_implINS0_14default_configELb1EPKlPlSQ_SR_N2at6native12_GLOBAL__N_18offset_tEEE10hipError_tPvRmT1_PNSt15iterator_traitsISZ_E10value_typeET2_T3_PNS10_IS15_E10value_typeET4_jRbjT5_S1B_jjP12ihipStream_tbEUljE_ZNSN_ISO_Lb1ESQ_SR_SQ_SR_SV_EESW_SX_SY_SZ_S13_S14_S15_S18_S19_jS1A_jS1B_S1B_jjS1D_bEUljE0_EEESW_SX_SY_S15_S19_S1B_T6_T7_T9_mT8_S1D_bDpT10_ENKUlT_T0_E_clISt17integral_constantIbLb0EES1R_EEDaS1M_S1N_EUlS1M_E_NS1_11comp_targetILNS1_3genE8ELNS1_11target_archE1030ELNS1_3gpuE2ELNS1_3repE0EEENS1_30default_config_static_selectorELNS0_4arch9wavefront6targetE0EEEvSZ_
		.amdhsa_group_segment_fixed_size 13328
		.amdhsa_private_segment_fixed_size 0
		.amdhsa_kernarg_size 176
		.amdhsa_user_sgpr_count 6
		.amdhsa_user_sgpr_private_segment_buffer 1
		.amdhsa_user_sgpr_dispatch_ptr 0
		.amdhsa_user_sgpr_queue_ptr 0
		.amdhsa_user_sgpr_kernarg_segment_ptr 1
		.amdhsa_user_sgpr_dispatch_id 0
		.amdhsa_user_sgpr_flat_scratch_init 0
		.amdhsa_user_sgpr_private_segment_size 0
		.amdhsa_wavefront_size32 1
		.amdhsa_uses_dynamic_stack 0
		.amdhsa_system_sgpr_private_segment_wavefront_offset 0
		.amdhsa_system_sgpr_workgroup_id_x 1
		.amdhsa_system_sgpr_workgroup_id_y 0
		.amdhsa_system_sgpr_workgroup_id_z 0
		.amdhsa_system_sgpr_workgroup_info 0
		.amdhsa_system_vgpr_workitem_id 0
		.amdhsa_next_free_vgpr 82
		.amdhsa_next_free_sgpr 59
		.amdhsa_reserve_vcc 1
		.amdhsa_reserve_flat_scratch 0
		.amdhsa_float_round_mode_32 0
		.amdhsa_float_round_mode_16_64 0
		.amdhsa_float_denorm_mode_32 3
		.amdhsa_float_denorm_mode_16_64 3
		.amdhsa_dx10_clamp 1
		.amdhsa_ieee_mode 1
		.amdhsa_fp16_overflow 0
		.amdhsa_workgroup_processor_mode 1
		.amdhsa_memory_ordered 1
		.amdhsa_forward_progress 1
		.amdhsa_shared_vgpr_count 0
		.amdhsa_exception_fp_ieee_invalid_op 0
		.amdhsa_exception_fp_denorm_src 0
		.amdhsa_exception_fp_ieee_div_zero 0
		.amdhsa_exception_fp_ieee_overflow 0
		.amdhsa_exception_fp_ieee_underflow 0
		.amdhsa_exception_fp_ieee_inexact 0
		.amdhsa_exception_int_div_zero 0
	.end_amdhsa_kernel
	.section	.text._ZN7rocprim17ROCPRIM_400000_NS6detail17trampoline_kernelINS0_13select_configILj256ELj13ELNS0_17block_load_methodE3ELS4_3ELS4_3ELNS0_20block_scan_algorithmE0ELj4294967295EEENS1_25partition_config_selectorILNS1_17partition_subalgoE4EjNS0_10empty_typeEbEEZZNS1_14partition_implILS8_4ELb0ES6_15HIP_vector_typeIjLj2EENS0_17counting_iteratorIjlEEPS9_SG_NS0_5tupleIJPjSI_NS0_16reverse_iteratorISI_EEEEENSH_IJSG_SG_SG_EEES9_SI_JZNS1_25segmented_radix_sort_implINS0_14default_configELb1EPKlPlSQ_SR_N2at6native12_GLOBAL__N_18offset_tEEE10hipError_tPvRmT1_PNSt15iterator_traitsISZ_E10value_typeET2_T3_PNS10_IS15_E10value_typeET4_jRbjT5_S1B_jjP12ihipStream_tbEUljE_ZNSN_ISO_Lb1ESQ_SR_SQ_SR_SV_EESW_SX_SY_SZ_S13_S14_S15_S18_S19_jS1A_jS1B_S1B_jjS1D_bEUljE0_EEESW_SX_SY_S15_S19_S1B_T6_T7_T9_mT8_S1D_bDpT10_ENKUlT_T0_E_clISt17integral_constantIbLb0EES1R_EEDaS1M_S1N_EUlS1M_E_NS1_11comp_targetILNS1_3genE8ELNS1_11target_archE1030ELNS1_3gpuE2ELNS1_3repE0EEENS1_30default_config_static_selectorELNS0_4arch9wavefront6targetE0EEEvSZ_,"axG",@progbits,_ZN7rocprim17ROCPRIM_400000_NS6detail17trampoline_kernelINS0_13select_configILj256ELj13ELNS0_17block_load_methodE3ELS4_3ELS4_3ELNS0_20block_scan_algorithmE0ELj4294967295EEENS1_25partition_config_selectorILNS1_17partition_subalgoE4EjNS0_10empty_typeEbEEZZNS1_14partition_implILS8_4ELb0ES6_15HIP_vector_typeIjLj2EENS0_17counting_iteratorIjlEEPS9_SG_NS0_5tupleIJPjSI_NS0_16reverse_iteratorISI_EEEEENSH_IJSG_SG_SG_EEES9_SI_JZNS1_25segmented_radix_sort_implINS0_14default_configELb1EPKlPlSQ_SR_N2at6native12_GLOBAL__N_18offset_tEEE10hipError_tPvRmT1_PNSt15iterator_traitsISZ_E10value_typeET2_T3_PNS10_IS15_E10value_typeET4_jRbjT5_S1B_jjP12ihipStream_tbEUljE_ZNSN_ISO_Lb1ESQ_SR_SQ_SR_SV_EESW_SX_SY_SZ_S13_S14_S15_S18_S19_jS1A_jS1B_S1B_jjS1D_bEUljE0_EEESW_SX_SY_S15_S19_S1B_T6_T7_T9_mT8_S1D_bDpT10_ENKUlT_T0_E_clISt17integral_constantIbLb0EES1R_EEDaS1M_S1N_EUlS1M_E_NS1_11comp_targetILNS1_3genE8ELNS1_11target_archE1030ELNS1_3gpuE2ELNS1_3repE0EEENS1_30default_config_static_selectorELNS0_4arch9wavefront6targetE0EEEvSZ_,comdat
.Lfunc_end641:
	.size	_ZN7rocprim17ROCPRIM_400000_NS6detail17trampoline_kernelINS0_13select_configILj256ELj13ELNS0_17block_load_methodE3ELS4_3ELS4_3ELNS0_20block_scan_algorithmE0ELj4294967295EEENS1_25partition_config_selectorILNS1_17partition_subalgoE4EjNS0_10empty_typeEbEEZZNS1_14partition_implILS8_4ELb0ES6_15HIP_vector_typeIjLj2EENS0_17counting_iteratorIjlEEPS9_SG_NS0_5tupleIJPjSI_NS0_16reverse_iteratorISI_EEEEENSH_IJSG_SG_SG_EEES9_SI_JZNS1_25segmented_radix_sort_implINS0_14default_configELb1EPKlPlSQ_SR_N2at6native12_GLOBAL__N_18offset_tEEE10hipError_tPvRmT1_PNSt15iterator_traitsISZ_E10value_typeET2_T3_PNS10_IS15_E10value_typeET4_jRbjT5_S1B_jjP12ihipStream_tbEUljE_ZNSN_ISO_Lb1ESQ_SR_SQ_SR_SV_EESW_SX_SY_SZ_S13_S14_S15_S18_S19_jS1A_jS1B_S1B_jjS1D_bEUljE0_EEESW_SX_SY_S15_S19_S1B_T6_T7_T9_mT8_S1D_bDpT10_ENKUlT_T0_E_clISt17integral_constantIbLb0EES1R_EEDaS1M_S1N_EUlS1M_E_NS1_11comp_targetILNS1_3genE8ELNS1_11target_archE1030ELNS1_3gpuE2ELNS1_3repE0EEENS1_30default_config_static_selectorELNS0_4arch9wavefront6targetE0EEEvSZ_, .Lfunc_end641-_ZN7rocprim17ROCPRIM_400000_NS6detail17trampoline_kernelINS0_13select_configILj256ELj13ELNS0_17block_load_methodE3ELS4_3ELS4_3ELNS0_20block_scan_algorithmE0ELj4294967295EEENS1_25partition_config_selectorILNS1_17partition_subalgoE4EjNS0_10empty_typeEbEEZZNS1_14partition_implILS8_4ELb0ES6_15HIP_vector_typeIjLj2EENS0_17counting_iteratorIjlEEPS9_SG_NS0_5tupleIJPjSI_NS0_16reverse_iteratorISI_EEEEENSH_IJSG_SG_SG_EEES9_SI_JZNS1_25segmented_radix_sort_implINS0_14default_configELb1EPKlPlSQ_SR_N2at6native12_GLOBAL__N_18offset_tEEE10hipError_tPvRmT1_PNSt15iterator_traitsISZ_E10value_typeET2_T3_PNS10_IS15_E10value_typeET4_jRbjT5_S1B_jjP12ihipStream_tbEUljE_ZNSN_ISO_Lb1ESQ_SR_SQ_SR_SV_EESW_SX_SY_SZ_S13_S14_S15_S18_S19_jS1A_jS1B_S1B_jjS1D_bEUljE0_EEESW_SX_SY_S15_S19_S1B_T6_T7_T9_mT8_S1D_bDpT10_ENKUlT_T0_E_clISt17integral_constantIbLb0EES1R_EEDaS1M_S1N_EUlS1M_E_NS1_11comp_targetILNS1_3genE8ELNS1_11target_archE1030ELNS1_3gpuE2ELNS1_3repE0EEENS1_30default_config_static_selectorELNS0_4arch9wavefront6targetE0EEEvSZ_
                                        ; -- End function
	.set _ZN7rocprim17ROCPRIM_400000_NS6detail17trampoline_kernelINS0_13select_configILj256ELj13ELNS0_17block_load_methodE3ELS4_3ELS4_3ELNS0_20block_scan_algorithmE0ELj4294967295EEENS1_25partition_config_selectorILNS1_17partition_subalgoE4EjNS0_10empty_typeEbEEZZNS1_14partition_implILS8_4ELb0ES6_15HIP_vector_typeIjLj2EENS0_17counting_iteratorIjlEEPS9_SG_NS0_5tupleIJPjSI_NS0_16reverse_iteratorISI_EEEEENSH_IJSG_SG_SG_EEES9_SI_JZNS1_25segmented_radix_sort_implINS0_14default_configELb1EPKlPlSQ_SR_N2at6native12_GLOBAL__N_18offset_tEEE10hipError_tPvRmT1_PNSt15iterator_traitsISZ_E10value_typeET2_T3_PNS10_IS15_E10value_typeET4_jRbjT5_S1B_jjP12ihipStream_tbEUljE_ZNSN_ISO_Lb1ESQ_SR_SQ_SR_SV_EESW_SX_SY_SZ_S13_S14_S15_S18_S19_jS1A_jS1B_S1B_jjS1D_bEUljE0_EEESW_SX_SY_S15_S19_S1B_T6_T7_T9_mT8_S1D_bDpT10_ENKUlT_T0_E_clISt17integral_constantIbLb0EES1R_EEDaS1M_S1N_EUlS1M_E_NS1_11comp_targetILNS1_3genE8ELNS1_11target_archE1030ELNS1_3gpuE2ELNS1_3repE0EEENS1_30default_config_static_selectorELNS0_4arch9wavefront6targetE0EEEvSZ_.num_vgpr, 82
	.set _ZN7rocprim17ROCPRIM_400000_NS6detail17trampoline_kernelINS0_13select_configILj256ELj13ELNS0_17block_load_methodE3ELS4_3ELS4_3ELNS0_20block_scan_algorithmE0ELj4294967295EEENS1_25partition_config_selectorILNS1_17partition_subalgoE4EjNS0_10empty_typeEbEEZZNS1_14partition_implILS8_4ELb0ES6_15HIP_vector_typeIjLj2EENS0_17counting_iteratorIjlEEPS9_SG_NS0_5tupleIJPjSI_NS0_16reverse_iteratorISI_EEEEENSH_IJSG_SG_SG_EEES9_SI_JZNS1_25segmented_radix_sort_implINS0_14default_configELb1EPKlPlSQ_SR_N2at6native12_GLOBAL__N_18offset_tEEE10hipError_tPvRmT1_PNSt15iterator_traitsISZ_E10value_typeET2_T3_PNS10_IS15_E10value_typeET4_jRbjT5_S1B_jjP12ihipStream_tbEUljE_ZNSN_ISO_Lb1ESQ_SR_SQ_SR_SV_EESW_SX_SY_SZ_S13_S14_S15_S18_S19_jS1A_jS1B_S1B_jjS1D_bEUljE0_EEESW_SX_SY_S15_S19_S1B_T6_T7_T9_mT8_S1D_bDpT10_ENKUlT_T0_E_clISt17integral_constantIbLb0EES1R_EEDaS1M_S1N_EUlS1M_E_NS1_11comp_targetILNS1_3genE8ELNS1_11target_archE1030ELNS1_3gpuE2ELNS1_3repE0EEENS1_30default_config_static_selectorELNS0_4arch9wavefront6targetE0EEEvSZ_.num_agpr, 0
	.set _ZN7rocprim17ROCPRIM_400000_NS6detail17trampoline_kernelINS0_13select_configILj256ELj13ELNS0_17block_load_methodE3ELS4_3ELS4_3ELNS0_20block_scan_algorithmE0ELj4294967295EEENS1_25partition_config_selectorILNS1_17partition_subalgoE4EjNS0_10empty_typeEbEEZZNS1_14partition_implILS8_4ELb0ES6_15HIP_vector_typeIjLj2EENS0_17counting_iteratorIjlEEPS9_SG_NS0_5tupleIJPjSI_NS0_16reverse_iteratorISI_EEEEENSH_IJSG_SG_SG_EEES9_SI_JZNS1_25segmented_radix_sort_implINS0_14default_configELb1EPKlPlSQ_SR_N2at6native12_GLOBAL__N_18offset_tEEE10hipError_tPvRmT1_PNSt15iterator_traitsISZ_E10value_typeET2_T3_PNS10_IS15_E10value_typeET4_jRbjT5_S1B_jjP12ihipStream_tbEUljE_ZNSN_ISO_Lb1ESQ_SR_SQ_SR_SV_EESW_SX_SY_SZ_S13_S14_S15_S18_S19_jS1A_jS1B_S1B_jjS1D_bEUljE0_EEESW_SX_SY_S15_S19_S1B_T6_T7_T9_mT8_S1D_bDpT10_ENKUlT_T0_E_clISt17integral_constantIbLb0EES1R_EEDaS1M_S1N_EUlS1M_E_NS1_11comp_targetILNS1_3genE8ELNS1_11target_archE1030ELNS1_3gpuE2ELNS1_3repE0EEENS1_30default_config_static_selectorELNS0_4arch9wavefront6targetE0EEEvSZ_.numbered_sgpr, 59
	.set _ZN7rocprim17ROCPRIM_400000_NS6detail17trampoline_kernelINS0_13select_configILj256ELj13ELNS0_17block_load_methodE3ELS4_3ELS4_3ELNS0_20block_scan_algorithmE0ELj4294967295EEENS1_25partition_config_selectorILNS1_17partition_subalgoE4EjNS0_10empty_typeEbEEZZNS1_14partition_implILS8_4ELb0ES6_15HIP_vector_typeIjLj2EENS0_17counting_iteratorIjlEEPS9_SG_NS0_5tupleIJPjSI_NS0_16reverse_iteratorISI_EEEEENSH_IJSG_SG_SG_EEES9_SI_JZNS1_25segmented_radix_sort_implINS0_14default_configELb1EPKlPlSQ_SR_N2at6native12_GLOBAL__N_18offset_tEEE10hipError_tPvRmT1_PNSt15iterator_traitsISZ_E10value_typeET2_T3_PNS10_IS15_E10value_typeET4_jRbjT5_S1B_jjP12ihipStream_tbEUljE_ZNSN_ISO_Lb1ESQ_SR_SQ_SR_SV_EESW_SX_SY_SZ_S13_S14_S15_S18_S19_jS1A_jS1B_S1B_jjS1D_bEUljE0_EEESW_SX_SY_S15_S19_S1B_T6_T7_T9_mT8_S1D_bDpT10_ENKUlT_T0_E_clISt17integral_constantIbLb0EES1R_EEDaS1M_S1N_EUlS1M_E_NS1_11comp_targetILNS1_3genE8ELNS1_11target_archE1030ELNS1_3gpuE2ELNS1_3repE0EEENS1_30default_config_static_selectorELNS0_4arch9wavefront6targetE0EEEvSZ_.num_named_barrier, 0
	.set _ZN7rocprim17ROCPRIM_400000_NS6detail17trampoline_kernelINS0_13select_configILj256ELj13ELNS0_17block_load_methodE3ELS4_3ELS4_3ELNS0_20block_scan_algorithmE0ELj4294967295EEENS1_25partition_config_selectorILNS1_17partition_subalgoE4EjNS0_10empty_typeEbEEZZNS1_14partition_implILS8_4ELb0ES6_15HIP_vector_typeIjLj2EENS0_17counting_iteratorIjlEEPS9_SG_NS0_5tupleIJPjSI_NS0_16reverse_iteratorISI_EEEEENSH_IJSG_SG_SG_EEES9_SI_JZNS1_25segmented_radix_sort_implINS0_14default_configELb1EPKlPlSQ_SR_N2at6native12_GLOBAL__N_18offset_tEEE10hipError_tPvRmT1_PNSt15iterator_traitsISZ_E10value_typeET2_T3_PNS10_IS15_E10value_typeET4_jRbjT5_S1B_jjP12ihipStream_tbEUljE_ZNSN_ISO_Lb1ESQ_SR_SQ_SR_SV_EESW_SX_SY_SZ_S13_S14_S15_S18_S19_jS1A_jS1B_S1B_jjS1D_bEUljE0_EEESW_SX_SY_S15_S19_S1B_T6_T7_T9_mT8_S1D_bDpT10_ENKUlT_T0_E_clISt17integral_constantIbLb0EES1R_EEDaS1M_S1N_EUlS1M_E_NS1_11comp_targetILNS1_3genE8ELNS1_11target_archE1030ELNS1_3gpuE2ELNS1_3repE0EEENS1_30default_config_static_selectorELNS0_4arch9wavefront6targetE0EEEvSZ_.private_seg_size, 0
	.set _ZN7rocprim17ROCPRIM_400000_NS6detail17trampoline_kernelINS0_13select_configILj256ELj13ELNS0_17block_load_methodE3ELS4_3ELS4_3ELNS0_20block_scan_algorithmE0ELj4294967295EEENS1_25partition_config_selectorILNS1_17partition_subalgoE4EjNS0_10empty_typeEbEEZZNS1_14partition_implILS8_4ELb0ES6_15HIP_vector_typeIjLj2EENS0_17counting_iteratorIjlEEPS9_SG_NS0_5tupleIJPjSI_NS0_16reverse_iteratorISI_EEEEENSH_IJSG_SG_SG_EEES9_SI_JZNS1_25segmented_radix_sort_implINS0_14default_configELb1EPKlPlSQ_SR_N2at6native12_GLOBAL__N_18offset_tEEE10hipError_tPvRmT1_PNSt15iterator_traitsISZ_E10value_typeET2_T3_PNS10_IS15_E10value_typeET4_jRbjT5_S1B_jjP12ihipStream_tbEUljE_ZNSN_ISO_Lb1ESQ_SR_SQ_SR_SV_EESW_SX_SY_SZ_S13_S14_S15_S18_S19_jS1A_jS1B_S1B_jjS1D_bEUljE0_EEESW_SX_SY_S15_S19_S1B_T6_T7_T9_mT8_S1D_bDpT10_ENKUlT_T0_E_clISt17integral_constantIbLb0EES1R_EEDaS1M_S1N_EUlS1M_E_NS1_11comp_targetILNS1_3genE8ELNS1_11target_archE1030ELNS1_3gpuE2ELNS1_3repE0EEENS1_30default_config_static_selectorELNS0_4arch9wavefront6targetE0EEEvSZ_.uses_vcc, 1
	.set _ZN7rocprim17ROCPRIM_400000_NS6detail17trampoline_kernelINS0_13select_configILj256ELj13ELNS0_17block_load_methodE3ELS4_3ELS4_3ELNS0_20block_scan_algorithmE0ELj4294967295EEENS1_25partition_config_selectorILNS1_17partition_subalgoE4EjNS0_10empty_typeEbEEZZNS1_14partition_implILS8_4ELb0ES6_15HIP_vector_typeIjLj2EENS0_17counting_iteratorIjlEEPS9_SG_NS0_5tupleIJPjSI_NS0_16reverse_iteratorISI_EEEEENSH_IJSG_SG_SG_EEES9_SI_JZNS1_25segmented_radix_sort_implINS0_14default_configELb1EPKlPlSQ_SR_N2at6native12_GLOBAL__N_18offset_tEEE10hipError_tPvRmT1_PNSt15iterator_traitsISZ_E10value_typeET2_T3_PNS10_IS15_E10value_typeET4_jRbjT5_S1B_jjP12ihipStream_tbEUljE_ZNSN_ISO_Lb1ESQ_SR_SQ_SR_SV_EESW_SX_SY_SZ_S13_S14_S15_S18_S19_jS1A_jS1B_S1B_jjS1D_bEUljE0_EEESW_SX_SY_S15_S19_S1B_T6_T7_T9_mT8_S1D_bDpT10_ENKUlT_T0_E_clISt17integral_constantIbLb0EES1R_EEDaS1M_S1N_EUlS1M_E_NS1_11comp_targetILNS1_3genE8ELNS1_11target_archE1030ELNS1_3gpuE2ELNS1_3repE0EEENS1_30default_config_static_selectorELNS0_4arch9wavefront6targetE0EEEvSZ_.uses_flat_scratch, 0
	.set _ZN7rocprim17ROCPRIM_400000_NS6detail17trampoline_kernelINS0_13select_configILj256ELj13ELNS0_17block_load_methodE3ELS4_3ELS4_3ELNS0_20block_scan_algorithmE0ELj4294967295EEENS1_25partition_config_selectorILNS1_17partition_subalgoE4EjNS0_10empty_typeEbEEZZNS1_14partition_implILS8_4ELb0ES6_15HIP_vector_typeIjLj2EENS0_17counting_iteratorIjlEEPS9_SG_NS0_5tupleIJPjSI_NS0_16reverse_iteratorISI_EEEEENSH_IJSG_SG_SG_EEES9_SI_JZNS1_25segmented_radix_sort_implINS0_14default_configELb1EPKlPlSQ_SR_N2at6native12_GLOBAL__N_18offset_tEEE10hipError_tPvRmT1_PNSt15iterator_traitsISZ_E10value_typeET2_T3_PNS10_IS15_E10value_typeET4_jRbjT5_S1B_jjP12ihipStream_tbEUljE_ZNSN_ISO_Lb1ESQ_SR_SQ_SR_SV_EESW_SX_SY_SZ_S13_S14_S15_S18_S19_jS1A_jS1B_S1B_jjS1D_bEUljE0_EEESW_SX_SY_S15_S19_S1B_T6_T7_T9_mT8_S1D_bDpT10_ENKUlT_T0_E_clISt17integral_constantIbLb0EES1R_EEDaS1M_S1N_EUlS1M_E_NS1_11comp_targetILNS1_3genE8ELNS1_11target_archE1030ELNS1_3gpuE2ELNS1_3repE0EEENS1_30default_config_static_selectorELNS0_4arch9wavefront6targetE0EEEvSZ_.has_dyn_sized_stack, 0
	.set _ZN7rocprim17ROCPRIM_400000_NS6detail17trampoline_kernelINS0_13select_configILj256ELj13ELNS0_17block_load_methodE3ELS4_3ELS4_3ELNS0_20block_scan_algorithmE0ELj4294967295EEENS1_25partition_config_selectorILNS1_17partition_subalgoE4EjNS0_10empty_typeEbEEZZNS1_14partition_implILS8_4ELb0ES6_15HIP_vector_typeIjLj2EENS0_17counting_iteratorIjlEEPS9_SG_NS0_5tupleIJPjSI_NS0_16reverse_iteratorISI_EEEEENSH_IJSG_SG_SG_EEES9_SI_JZNS1_25segmented_radix_sort_implINS0_14default_configELb1EPKlPlSQ_SR_N2at6native12_GLOBAL__N_18offset_tEEE10hipError_tPvRmT1_PNSt15iterator_traitsISZ_E10value_typeET2_T3_PNS10_IS15_E10value_typeET4_jRbjT5_S1B_jjP12ihipStream_tbEUljE_ZNSN_ISO_Lb1ESQ_SR_SQ_SR_SV_EESW_SX_SY_SZ_S13_S14_S15_S18_S19_jS1A_jS1B_S1B_jjS1D_bEUljE0_EEESW_SX_SY_S15_S19_S1B_T6_T7_T9_mT8_S1D_bDpT10_ENKUlT_T0_E_clISt17integral_constantIbLb0EES1R_EEDaS1M_S1N_EUlS1M_E_NS1_11comp_targetILNS1_3genE8ELNS1_11target_archE1030ELNS1_3gpuE2ELNS1_3repE0EEENS1_30default_config_static_selectorELNS0_4arch9wavefront6targetE0EEEvSZ_.has_recursion, 0
	.set _ZN7rocprim17ROCPRIM_400000_NS6detail17trampoline_kernelINS0_13select_configILj256ELj13ELNS0_17block_load_methodE3ELS4_3ELS4_3ELNS0_20block_scan_algorithmE0ELj4294967295EEENS1_25partition_config_selectorILNS1_17partition_subalgoE4EjNS0_10empty_typeEbEEZZNS1_14partition_implILS8_4ELb0ES6_15HIP_vector_typeIjLj2EENS0_17counting_iteratorIjlEEPS9_SG_NS0_5tupleIJPjSI_NS0_16reverse_iteratorISI_EEEEENSH_IJSG_SG_SG_EEES9_SI_JZNS1_25segmented_radix_sort_implINS0_14default_configELb1EPKlPlSQ_SR_N2at6native12_GLOBAL__N_18offset_tEEE10hipError_tPvRmT1_PNSt15iterator_traitsISZ_E10value_typeET2_T3_PNS10_IS15_E10value_typeET4_jRbjT5_S1B_jjP12ihipStream_tbEUljE_ZNSN_ISO_Lb1ESQ_SR_SQ_SR_SV_EESW_SX_SY_SZ_S13_S14_S15_S18_S19_jS1A_jS1B_S1B_jjS1D_bEUljE0_EEESW_SX_SY_S15_S19_S1B_T6_T7_T9_mT8_S1D_bDpT10_ENKUlT_T0_E_clISt17integral_constantIbLb0EES1R_EEDaS1M_S1N_EUlS1M_E_NS1_11comp_targetILNS1_3genE8ELNS1_11target_archE1030ELNS1_3gpuE2ELNS1_3repE0EEENS1_30default_config_static_selectorELNS0_4arch9wavefront6targetE0EEEvSZ_.has_indirect_call, 0
	.section	.AMDGPU.csdata,"",@progbits
; Kernel info:
; codeLenInByte = 16236
; TotalNumSgprs: 61
; NumVgprs: 82
; ScratchSize: 0
; MemoryBound: 0
; FloatMode: 240
; IeeeMode: 1
; LDSByteSize: 13328 bytes/workgroup (compile time only)
; SGPRBlocks: 0
; VGPRBlocks: 10
; NumSGPRsForWavesPerEU: 61
; NumVGPRsForWavesPerEU: 82
; Occupancy: 10
; WaveLimiterHint : 1
; COMPUTE_PGM_RSRC2:SCRATCH_EN: 0
; COMPUTE_PGM_RSRC2:USER_SGPR: 6
; COMPUTE_PGM_RSRC2:TRAP_HANDLER: 0
; COMPUTE_PGM_RSRC2:TGID_X_EN: 1
; COMPUTE_PGM_RSRC2:TGID_Y_EN: 0
; COMPUTE_PGM_RSRC2:TGID_Z_EN: 0
; COMPUTE_PGM_RSRC2:TIDIG_COMP_CNT: 0
	.section	.text._ZN7rocprim17ROCPRIM_400000_NS6detail17trampoline_kernelINS0_13select_configILj256ELj13ELNS0_17block_load_methodE3ELS4_3ELS4_3ELNS0_20block_scan_algorithmE0ELj4294967295EEENS1_25partition_config_selectorILNS1_17partition_subalgoE4EjNS0_10empty_typeEbEEZZNS1_14partition_implILS8_4ELb0ES6_15HIP_vector_typeIjLj2EENS0_17counting_iteratorIjlEEPS9_SG_NS0_5tupleIJPjSI_NS0_16reverse_iteratorISI_EEEEENSH_IJSG_SG_SG_EEES9_SI_JZNS1_25segmented_radix_sort_implINS0_14default_configELb1EPKlPlSQ_SR_N2at6native12_GLOBAL__N_18offset_tEEE10hipError_tPvRmT1_PNSt15iterator_traitsISZ_E10value_typeET2_T3_PNS10_IS15_E10value_typeET4_jRbjT5_S1B_jjP12ihipStream_tbEUljE_ZNSN_ISO_Lb1ESQ_SR_SQ_SR_SV_EESW_SX_SY_SZ_S13_S14_S15_S18_S19_jS1A_jS1B_S1B_jjS1D_bEUljE0_EEESW_SX_SY_S15_S19_S1B_T6_T7_T9_mT8_S1D_bDpT10_ENKUlT_T0_E_clISt17integral_constantIbLb1EES1R_EEDaS1M_S1N_EUlS1M_E_NS1_11comp_targetILNS1_3genE0ELNS1_11target_archE4294967295ELNS1_3gpuE0ELNS1_3repE0EEENS1_30default_config_static_selectorELNS0_4arch9wavefront6targetE0EEEvSZ_,"axG",@progbits,_ZN7rocprim17ROCPRIM_400000_NS6detail17trampoline_kernelINS0_13select_configILj256ELj13ELNS0_17block_load_methodE3ELS4_3ELS4_3ELNS0_20block_scan_algorithmE0ELj4294967295EEENS1_25partition_config_selectorILNS1_17partition_subalgoE4EjNS0_10empty_typeEbEEZZNS1_14partition_implILS8_4ELb0ES6_15HIP_vector_typeIjLj2EENS0_17counting_iteratorIjlEEPS9_SG_NS0_5tupleIJPjSI_NS0_16reverse_iteratorISI_EEEEENSH_IJSG_SG_SG_EEES9_SI_JZNS1_25segmented_radix_sort_implINS0_14default_configELb1EPKlPlSQ_SR_N2at6native12_GLOBAL__N_18offset_tEEE10hipError_tPvRmT1_PNSt15iterator_traitsISZ_E10value_typeET2_T3_PNS10_IS15_E10value_typeET4_jRbjT5_S1B_jjP12ihipStream_tbEUljE_ZNSN_ISO_Lb1ESQ_SR_SQ_SR_SV_EESW_SX_SY_SZ_S13_S14_S15_S18_S19_jS1A_jS1B_S1B_jjS1D_bEUljE0_EEESW_SX_SY_S15_S19_S1B_T6_T7_T9_mT8_S1D_bDpT10_ENKUlT_T0_E_clISt17integral_constantIbLb1EES1R_EEDaS1M_S1N_EUlS1M_E_NS1_11comp_targetILNS1_3genE0ELNS1_11target_archE4294967295ELNS1_3gpuE0ELNS1_3repE0EEENS1_30default_config_static_selectorELNS0_4arch9wavefront6targetE0EEEvSZ_,comdat
	.globl	_ZN7rocprim17ROCPRIM_400000_NS6detail17trampoline_kernelINS0_13select_configILj256ELj13ELNS0_17block_load_methodE3ELS4_3ELS4_3ELNS0_20block_scan_algorithmE0ELj4294967295EEENS1_25partition_config_selectorILNS1_17partition_subalgoE4EjNS0_10empty_typeEbEEZZNS1_14partition_implILS8_4ELb0ES6_15HIP_vector_typeIjLj2EENS0_17counting_iteratorIjlEEPS9_SG_NS0_5tupleIJPjSI_NS0_16reverse_iteratorISI_EEEEENSH_IJSG_SG_SG_EEES9_SI_JZNS1_25segmented_radix_sort_implINS0_14default_configELb1EPKlPlSQ_SR_N2at6native12_GLOBAL__N_18offset_tEEE10hipError_tPvRmT1_PNSt15iterator_traitsISZ_E10value_typeET2_T3_PNS10_IS15_E10value_typeET4_jRbjT5_S1B_jjP12ihipStream_tbEUljE_ZNSN_ISO_Lb1ESQ_SR_SQ_SR_SV_EESW_SX_SY_SZ_S13_S14_S15_S18_S19_jS1A_jS1B_S1B_jjS1D_bEUljE0_EEESW_SX_SY_S15_S19_S1B_T6_T7_T9_mT8_S1D_bDpT10_ENKUlT_T0_E_clISt17integral_constantIbLb1EES1R_EEDaS1M_S1N_EUlS1M_E_NS1_11comp_targetILNS1_3genE0ELNS1_11target_archE4294967295ELNS1_3gpuE0ELNS1_3repE0EEENS1_30default_config_static_selectorELNS0_4arch9wavefront6targetE0EEEvSZ_ ; -- Begin function _ZN7rocprim17ROCPRIM_400000_NS6detail17trampoline_kernelINS0_13select_configILj256ELj13ELNS0_17block_load_methodE3ELS4_3ELS4_3ELNS0_20block_scan_algorithmE0ELj4294967295EEENS1_25partition_config_selectorILNS1_17partition_subalgoE4EjNS0_10empty_typeEbEEZZNS1_14partition_implILS8_4ELb0ES6_15HIP_vector_typeIjLj2EENS0_17counting_iteratorIjlEEPS9_SG_NS0_5tupleIJPjSI_NS0_16reverse_iteratorISI_EEEEENSH_IJSG_SG_SG_EEES9_SI_JZNS1_25segmented_radix_sort_implINS0_14default_configELb1EPKlPlSQ_SR_N2at6native12_GLOBAL__N_18offset_tEEE10hipError_tPvRmT1_PNSt15iterator_traitsISZ_E10value_typeET2_T3_PNS10_IS15_E10value_typeET4_jRbjT5_S1B_jjP12ihipStream_tbEUljE_ZNSN_ISO_Lb1ESQ_SR_SQ_SR_SV_EESW_SX_SY_SZ_S13_S14_S15_S18_S19_jS1A_jS1B_S1B_jjS1D_bEUljE0_EEESW_SX_SY_S15_S19_S1B_T6_T7_T9_mT8_S1D_bDpT10_ENKUlT_T0_E_clISt17integral_constantIbLb1EES1R_EEDaS1M_S1N_EUlS1M_E_NS1_11comp_targetILNS1_3genE0ELNS1_11target_archE4294967295ELNS1_3gpuE0ELNS1_3repE0EEENS1_30default_config_static_selectorELNS0_4arch9wavefront6targetE0EEEvSZ_
	.p2align	8
	.type	_ZN7rocprim17ROCPRIM_400000_NS6detail17trampoline_kernelINS0_13select_configILj256ELj13ELNS0_17block_load_methodE3ELS4_3ELS4_3ELNS0_20block_scan_algorithmE0ELj4294967295EEENS1_25partition_config_selectorILNS1_17partition_subalgoE4EjNS0_10empty_typeEbEEZZNS1_14partition_implILS8_4ELb0ES6_15HIP_vector_typeIjLj2EENS0_17counting_iteratorIjlEEPS9_SG_NS0_5tupleIJPjSI_NS0_16reverse_iteratorISI_EEEEENSH_IJSG_SG_SG_EEES9_SI_JZNS1_25segmented_radix_sort_implINS0_14default_configELb1EPKlPlSQ_SR_N2at6native12_GLOBAL__N_18offset_tEEE10hipError_tPvRmT1_PNSt15iterator_traitsISZ_E10value_typeET2_T3_PNS10_IS15_E10value_typeET4_jRbjT5_S1B_jjP12ihipStream_tbEUljE_ZNSN_ISO_Lb1ESQ_SR_SQ_SR_SV_EESW_SX_SY_SZ_S13_S14_S15_S18_S19_jS1A_jS1B_S1B_jjS1D_bEUljE0_EEESW_SX_SY_S15_S19_S1B_T6_T7_T9_mT8_S1D_bDpT10_ENKUlT_T0_E_clISt17integral_constantIbLb1EES1R_EEDaS1M_S1N_EUlS1M_E_NS1_11comp_targetILNS1_3genE0ELNS1_11target_archE4294967295ELNS1_3gpuE0ELNS1_3repE0EEENS1_30default_config_static_selectorELNS0_4arch9wavefront6targetE0EEEvSZ_,@function
_ZN7rocprim17ROCPRIM_400000_NS6detail17trampoline_kernelINS0_13select_configILj256ELj13ELNS0_17block_load_methodE3ELS4_3ELS4_3ELNS0_20block_scan_algorithmE0ELj4294967295EEENS1_25partition_config_selectorILNS1_17partition_subalgoE4EjNS0_10empty_typeEbEEZZNS1_14partition_implILS8_4ELb0ES6_15HIP_vector_typeIjLj2EENS0_17counting_iteratorIjlEEPS9_SG_NS0_5tupleIJPjSI_NS0_16reverse_iteratorISI_EEEEENSH_IJSG_SG_SG_EEES9_SI_JZNS1_25segmented_radix_sort_implINS0_14default_configELb1EPKlPlSQ_SR_N2at6native12_GLOBAL__N_18offset_tEEE10hipError_tPvRmT1_PNSt15iterator_traitsISZ_E10value_typeET2_T3_PNS10_IS15_E10value_typeET4_jRbjT5_S1B_jjP12ihipStream_tbEUljE_ZNSN_ISO_Lb1ESQ_SR_SQ_SR_SV_EESW_SX_SY_SZ_S13_S14_S15_S18_S19_jS1A_jS1B_S1B_jjS1D_bEUljE0_EEESW_SX_SY_S15_S19_S1B_T6_T7_T9_mT8_S1D_bDpT10_ENKUlT_T0_E_clISt17integral_constantIbLb1EES1R_EEDaS1M_S1N_EUlS1M_E_NS1_11comp_targetILNS1_3genE0ELNS1_11target_archE4294967295ELNS1_3gpuE0ELNS1_3repE0EEENS1_30default_config_static_selectorELNS0_4arch9wavefront6targetE0EEEvSZ_: ; @_ZN7rocprim17ROCPRIM_400000_NS6detail17trampoline_kernelINS0_13select_configILj256ELj13ELNS0_17block_load_methodE3ELS4_3ELS4_3ELNS0_20block_scan_algorithmE0ELj4294967295EEENS1_25partition_config_selectorILNS1_17partition_subalgoE4EjNS0_10empty_typeEbEEZZNS1_14partition_implILS8_4ELb0ES6_15HIP_vector_typeIjLj2EENS0_17counting_iteratorIjlEEPS9_SG_NS0_5tupleIJPjSI_NS0_16reverse_iteratorISI_EEEEENSH_IJSG_SG_SG_EEES9_SI_JZNS1_25segmented_radix_sort_implINS0_14default_configELb1EPKlPlSQ_SR_N2at6native12_GLOBAL__N_18offset_tEEE10hipError_tPvRmT1_PNSt15iterator_traitsISZ_E10value_typeET2_T3_PNS10_IS15_E10value_typeET4_jRbjT5_S1B_jjP12ihipStream_tbEUljE_ZNSN_ISO_Lb1ESQ_SR_SQ_SR_SV_EESW_SX_SY_SZ_S13_S14_S15_S18_S19_jS1A_jS1B_S1B_jjS1D_bEUljE0_EEESW_SX_SY_S15_S19_S1B_T6_T7_T9_mT8_S1D_bDpT10_ENKUlT_T0_E_clISt17integral_constantIbLb1EES1R_EEDaS1M_S1N_EUlS1M_E_NS1_11comp_targetILNS1_3genE0ELNS1_11target_archE4294967295ELNS1_3gpuE0ELNS1_3repE0EEENS1_30default_config_static_selectorELNS0_4arch9wavefront6targetE0EEEvSZ_
; %bb.0:
	.section	.rodata,"a",@progbits
	.p2align	6, 0x0
	.amdhsa_kernel _ZN7rocprim17ROCPRIM_400000_NS6detail17trampoline_kernelINS0_13select_configILj256ELj13ELNS0_17block_load_methodE3ELS4_3ELS4_3ELNS0_20block_scan_algorithmE0ELj4294967295EEENS1_25partition_config_selectorILNS1_17partition_subalgoE4EjNS0_10empty_typeEbEEZZNS1_14partition_implILS8_4ELb0ES6_15HIP_vector_typeIjLj2EENS0_17counting_iteratorIjlEEPS9_SG_NS0_5tupleIJPjSI_NS0_16reverse_iteratorISI_EEEEENSH_IJSG_SG_SG_EEES9_SI_JZNS1_25segmented_radix_sort_implINS0_14default_configELb1EPKlPlSQ_SR_N2at6native12_GLOBAL__N_18offset_tEEE10hipError_tPvRmT1_PNSt15iterator_traitsISZ_E10value_typeET2_T3_PNS10_IS15_E10value_typeET4_jRbjT5_S1B_jjP12ihipStream_tbEUljE_ZNSN_ISO_Lb1ESQ_SR_SQ_SR_SV_EESW_SX_SY_SZ_S13_S14_S15_S18_S19_jS1A_jS1B_S1B_jjS1D_bEUljE0_EEESW_SX_SY_S15_S19_S1B_T6_T7_T9_mT8_S1D_bDpT10_ENKUlT_T0_E_clISt17integral_constantIbLb1EES1R_EEDaS1M_S1N_EUlS1M_E_NS1_11comp_targetILNS1_3genE0ELNS1_11target_archE4294967295ELNS1_3gpuE0ELNS1_3repE0EEENS1_30default_config_static_selectorELNS0_4arch9wavefront6targetE0EEEvSZ_
		.amdhsa_group_segment_fixed_size 0
		.amdhsa_private_segment_fixed_size 0
		.amdhsa_kernarg_size 184
		.amdhsa_user_sgpr_count 6
		.amdhsa_user_sgpr_private_segment_buffer 1
		.amdhsa_user_sgpr_dispatch_ptr 0
		.amdhsa_user_sgpr_queue_ptr 0
		.amdhsa_user_sgpr_kernarg_segment_ptr 1
		.amdhsa_user_sgpr_dispatch_id 0
		.amdhsa_user_sgpr_flat_scratch_init 0
		.amdhsa_user_sgpr_private_segment_size 0
		.amdhsa_wavefront_size32 1
		.amdhsa_uses_dynamic_stack 0
		.amdhsa_system_sgpr_private_segment_wavefront_offset 0
		.amdhsa_system_sgpr_workgroup_id_x 1
		.amdhsa_system_sgpr_workgroup_id_y 0
		.amdhsa_system_sgpr_workgroup_id_z 0
		.amdhsa_system_sgpr_workgroup_info 0
		.amdhsa_system_vgpr_workitem_id 0
		.amdhsa_next_free_vgpr 1
		.amdhsa_next_free_sgpr 1
		.amdhsa_reserve_vcc 0
		.amdhsa_reserve_flat_scratch 0
		.amdhsa_float_round_mode_32 0
		.amdhsa_float_round_mode_16_64 0
		.amdhsa_float_denorm_mode_32 3
		.amdhsa_float_denorm_mode_16_64 3
		.amdhsa_dx10_clamp 1
		.amdhsa_ieee_mode 1
		.amdhsa_fp16_overflow 0
		.amdhsa_workgroup_processor_mode 1
		.amdhsa_memory_ordered 1
		.amdhsa_forward_progress 1
		.amdhsa_shared_vgpr_count 0
		.amdhsa_exception_fp_ieee_invalid_op 0
		.amdhsa_exception_fp_denorm_src 0
		.amdhsa_exception_fp_ieee_div_zero 0
		.amdhsa_exception_fp_ieee_overflow 0
		.amdhsa_exception_fp_ieee_underflow 0
		.amdhsa_exception_fp_ieee_inexact 0
		.amdhsa_exception_int_div_zero 0
	.end_amdhsa_kernel
	.section	.text._ZN7rocprim17ROCPRIM_400000_NS6detail17trampoline_kernelINS0_13select_configILj256ELj13ELNS0_17block_load_methodE3ELS4_3ELS4_3ELNS0_20block_scan_algorithmE0ELj4294967295EEENS1_25partition_config_selectorILNS1_17partition_subalgoE4EjNS0_10empty_typeEbEEZZNS1_14partition_implILS8_4ELb0ES6_15HIP_vector_typeIjLj2EENS0_17counting_iteratorIjlEEPS9_SG_NS0_5tupleIJPjSI_NS0_16reverse_iteratorISI_EEEEENSH_IJSG_SG_SG_EEES9_SI_JZNS1_25segmented_radix_sort_implINS0_14default_configELb1EPKlPlSQ_SR_N2at6native12_GLOBAL__N_18offset_tEEE10hipError_tPvRmT1_PNSt15iterator_traitsISZ_E10value_typeET2_T3_PNS10_IS15_E10value_typeET4_jRbjT5_S1B_jjP12ihipStream_tbEUljE_ZNSN_ISO_Lb1ESQ_SR_SQ_SR_SV_EESW_SX_SY_SZ_S13_S14_S15_S18_S19_jS1A_jS1B_S1B_jjS1D_bEUljE0_EEESW_SX_SY_S15_S19_S1B_T6_T7_T9_mT8_S1D_bDpT10_ENKUlT_T0_E_clISt17integral_constantIbLb1EES1R_EEDaS1M_S1N_EUlS1M_E_NS1_11comp_targetILNS1_3genE0ELNS1_11target_archE4294967295ELNS1_3gpuE0ELNS1_3repE0EEENS1_30default_config_static_selectorELNS0_4arch9wavefront6targetE0EEEvSZ_,"axG",@progbits,_ZN7rocprim17ROCPRIM_400000_NS6detail17trampoline_kernelINS0_13select_configILj256ELj13ELNS0_17block_load_methodE3ELS4_3ELS4_3ELNS0_20block_scan_algorithmE0ELj4294967295EEENS1_25partition_config_selectorILNS1_17partition_subalgoE4EjNS0_10empty_typeEbEEZZNS1_14partition_implILS8_4ELb0ES6_15HIP_vector_typeIjLj2EENS0_17counting_iteratorIjlEEPS9_SG_NS0_5tupleIJPjSI_NS0_16reverse_iteratorISI_EEEEENSH_IJSG_SG_SG_EEES9_SI_JZNS1_25segmented_radix_sort_implINS0_14default_configELb1EPKlPlSQ_SR_N2at6native12_GLOBAL__N_18offset_tEEE10hipError_tPvRmT1_PNSt15iterator_traitsISZ_E10value_typeET2_T3_PNS10_IS15_E10value_typeET4_jRbjT5_S1B_jjP12ihipStream_tbEUljE_ZNSN_ISO_Lb1ESQ_SR_SQ_SR_SV_EESW_SX_SY_SZ_S13_S14_S15_S18_S19_jS1A_jS1B_S1B_jjS1D_bEUljE0_EEESW_SX_SY_S15_S19_S1B_T6_T7_T9_mT8_S1D_bDpT10_ENKUlT_T0_E_clISt17integral_constantIbLb1EES1R_EEDaS1M_S1N_EUlS1M_E_NS1_11comp_targetILNS1_3genE0ELNS1_11target_archE4294967295ELNS1_3gpuE0ELNS1_3repE0EEENS1_30default_config_static_selectorELNS0_4arch9wavefront6targetE0EEEvSZ_,comdat
.Lfunc_end642:
	.size	_ZN7rocprim17ROCPRIM_400000_NS6detail17trampoline_kernelINS0_13select_configILj256ELj13ELNS0_17block_load_methodE3ELS4_3ELS4_3ELNS0_20block_scan_algorithmE0ELj4294967295EEENS1_25partition_config_selectorILNS1_17partition_subalgoE4EjNS0_10empty_typeEbEEZZNS1_14partition_implILS8_4ELb0ES6_15HIP_vector_typeIjLj2EENS0_17counting_iteratorIjlEEPS9_SG_NS0_5tupleIJPjSI_NS0_16reverse_iteratorISI_EEEEENSH_IJSG_SG_SG_EEES9_SI_JZNS1_25segmented_radix_sort_implINS0_14default_configELb1EPKlPlSQ_SR_N2at6native12_GLOBAL__N_18offset_tEEE10hipError_tPvRmT1_PNSt15iterator_traitsISZ_E10value_typeET2_T3_PNS10_IS15_E10value_typeET4_jRbjT5_S1B_jjP12ihipStream_tbEUljE_ZNSN_ISO_Lb1ESQ_SR_SQ_SR_SV_EESW_SX_SY_SZ_S13_S14_S15_S18_S19_jS1A_jS1B_S1B_jjS1D_bEUljE0_EEESW_SX_SY_S15_S19_S1B_T6_T7_T9_mT8_S1D_bDpT10_ENKUlT_T0_E_clISt17integral_constantIbLb1EES1R_EEDaS1M_S1N_EUlS1M_E_NS1_11comp_targetILNS1_3genE0ELNS1_11target_archE4294967295ELNS1_3gpuE0ELNS1_3repE0EEENS1_30default_config_static_selectorELNS0_4arch9wavefront6targetE0EEEvSZ_, .Lfunc_end642-_ZN7rocprim17ROCPRIM_400000_NS6detail17trampoline_kernelINS0_13select_configILj256ELj13ELNS0_17block_load_methodE3ELS4_3ELS4_3ELNS0_20block_scan_algorithmE0ELj4294967295EEENS1_25partition_config_selectorILNS1_17partition_subalgoE4EjNS0_10empty_typeEbEEZZNS1_14partition_implILS8_4ELb0ES6_15HIP_vector_typeIjLj2EENS0_17counting_iteratorIjlEEPS9_SG_NS0_5tupleIJPjSI_NS0_16reverse_iteratorISI_EEEEENSH_IJSG_SG_SG_EEES9_SI_JZNS1_25segmented_radix_sort_implINS0_14default_configELb1EPKlPlSQ_SR_N2at6native12_GLOBAL__N_18offset_tEEE10hipError_tPvRmT1_PNSt15iterator_traitsISZ_E10value_typeET2_T3_PNS10_IS15_E10value_typeET4_jRbjT5_S1B_jjP12ihipStream_tbEUljE_ZNSN_ISO_Lb1ESQ_SR_SQ_SR_SV_EESW_SX_SY_SZ_S13_S14_S15_S18_S19_jS1A_jS1B_S1B_jjS1D_bEUljE0_EEESW_SX_SY_S15_S19_S1B_T6_T7_T9_mT8_S1D_bDpT10_ENKUlT_T0_E_clISt17integral_constantIbLb1EES1R_EEDaS1M_S1N_EUlS1M_E_NS1_11comp_targetILNS1_3genE0ELNS1_11target_archE4294967295ELNS1_3gpuE0ELNS1_3repE0EEENS1_30default_config_static_selectorELNS0_4arch9wavefront6targetE0EEEvSZ_
                                        ; -- End function
	.set _ZN7rocprim17ROCPRIM_400000_NS6detail17trampoline_kernelINS0_13select_configILj256ELj13ELNS0_17block_load_methodE3ELS4_3ELS4_3ELNS0_20block_scan_algorithmE0ELj4294967295EEENS1_25partition_config_selectorILNS1_17partition_subalgoE4EjNS0_10empty_typeEbEEZZNS1_14partition_implILS8_4ELb0ES6_15HIP_vector_typeIjLj2EENS0_17counting_iteratorIjlEEPS9_SG_NS0_5tupleIJPjSI_NS0_16reverse_iteratorISI_EEEEENSH_IJSG_SG_SG_EEES9_SI_JZNS1_25segmented_radix_sort_implINS0_14default_configELb1EPKlPlSQ_SR_N2at6native12_GLOBAL__N_18offset_tEEE10hipError_tPvRmT1_PNSt15iterator_traitsISZ_E10value_typeET2_T3_PNS10_IS15_E10value_typeET4_jRbjT5_S1B_jjP12ihipStream_tbEUljE_ZNSN_ISO_Lb1ESQ_SR_SQ_SR_SV_EESW_SX_SY_SZ_S13_S14_S15_S18_S19_jS1A_jS1B_S1B_jjS1D_bEUljE0_EEESW_SX_SY_S15_S19_S1B_T6_T7_T9_mT8_S1D_bDpT10_ENKUlT_T0_E_clISt17integral_constantIbLb1EES1R_EEDaS1M_S1N_EUlS1M_E_NS1_11comp_targetILNS1_3genE0ELNS1_11target_archE4294967295ELNS1_3gpuE0ELNS1_3repE0EEENS1_30default_config_static_selectorELNS0_4arch9wavefront6targetE0EEEvSZ_.num_vgpr, 0
	.set _ZN7rocprim17ROCPRIM_400000_NS6detail17trampoline_kernelINS0_13select_configILj256ELj13ELNS0_17block_load_methodE3ELS4_3ELS4_3ELNS0_20block_scan_algorithmE0ELj4294967295EEENS1_25partition_config_selectorILNS1_17partition_subalgoE4EjNS0_10empty_typeEbEEZZNS1_14partition_implILS8_4ELb0ES6_15HIP_vector_typeIjLj2EENS0_17counting_iteratorIjlEEPS9_SG_NS0_5tupleIJPjSI_NS0_16reverse_iteratorISI_EEEEENSH_IJSG_SG_SG_EEES9_SI_JZNS1_25segmented_radix_sort_implINS0_14default_configELb1EPKlPlSQ_SR_N2at6native12_GLOBAL__N_18offset_tEEE10hipError_tPvRmT1_PNSt15iterator_traitsISZ_E10value_typeET2_T3_PNS10_IS15_E10value_typeET4_jRbjT5_S1B_jjP12ihipStream_tbEUljE_ZNSN_ISO_Lb1ESQ_SR_SQ_SR_SV_EESW_SX_SY_SZ_S13_S14_S15_S18_S19_jS1A_jS1B_S1B_jjS1D_bEUljE0_EEESW_SX_SY_S15_S19_S1B_T6_T7_T9_mT8_S1D_bDpT10_ENKUlT_T0_E_clISt17integral_constantIbLb1EES1R_EEDaS1M_S1N_EUlS1M_E_NS1_11comp_targetILNS1_3genE0ELNS1_11target_archE4294967295ELNS1_3gpuE0ELNS1_3repE0EEENS1_30default_config_static_selectorELNS0_4arch9wavefront6targetE0EEEvSZ_.num_agpr, 0
	.set _ZN7rocprim17ROCPRIM_400000_NS6detail17trampoline_kernelINS0_13select_configILj256ELj13ELNS0_17block_load_methodE3ELS4_3ELS4_3ELNS0_20block_scan_algorithmE0ELj4294967295EEENS1_25partition_config_selectorILNS1_17partition_subalgoE4EjNS0_10empty_typeEbEEZZNS1_14partition_implILS8_4ELb0ES6_15HIP_vector_typeIjLj2EENS0_17counting_iteratorIjlEEPS9_SG_NS0_5tupleIJPjSI_NS0_16reverse_iteratorISI_EEEEENSH_IJSG_SG_SG_EEES9_SI_JZNS1_25segmented_radix_sort_implINS0_14default_configELb1EPKlPlSQ_SR_N2at6native12_GLOBAL__N_18offset_tEEE10hipError_tPvRmT1_PNSt15iterator_traitsISZ_E10value_typeET2_T3_PNS10_IS15_E10value_typeET4_jRbjT5_S1B_jjP12ihipStream_tbEUljE_ZNSN_ISO_Lb1ESQ_SR_SQ_SR_SV_EESW_SX_SY_SZ_S13_S14_S15_S18_S19_jS1A_jS1B_S1B_jjS1D_bEUljE0_EEESW_SX_SY_S15_S19_S1B_T6_T7_T9_mT8_S1D_bDpT10_ENKUlT_T0_E_clISt17integral_constantIbLb1EES1R_EEDaS1M_S1N_EUlS1M_E_NS1_11comp_targetILNS1_3genE0ELNS1_11target_archE4294967295ELNS1_3gpuE0ELNS1_3repE0EEENS1_30default_config_static_selectorELNS0_4arch9wavefront6targetE0EEEvSZ_.numbered_sgpr, 0
	.set _ZN7rocprim17ROCPRIM_400000_NS6detail17trampoline_kernelINS0_13select_configILj256ELj13ELNS0_17block_load_methodE3ELS4_3ELS4_3ELNS0_20block_scan_algorithmE0ELj4294967295EEENS1_25partition_config_selectorILNS1_17partition_subalgoE4EjNS0_10empty_typeEbEEZZNS1_14partition_implILS8_4ELb0ES6_15HIP_vector_typeIjLj2EENS0_17counting_iteratorIjlEEPS9_SG_NS0_5tupleIJPjSI_NS0_16reverse_iteratorISI_EEEEENSH_IJSG_SG_SG_EEES9_SI_JZNS1_25segmented_radix_sort_implINS0_14default_configELb1EPKlPlSQ_SR_N2at6native12_GLOBAL__N_18offset_tEEE10hipError_tPvRmT1_PNSt15iterator_traitsISZ_E10value_typeET2_T3_PNS10_IS15_E10value_typeET4_jRbjT5_S1B_jjP12ihipStream_tbEUljE_ZNSN_ISO_Lb1ESQ_SR_SQ_SR_SV_EESW_SX_SY_SZ_S13_S14_S15_S18_S19_jS1A_jS1B_S1B_jjS1D_bEUljE0_EEESW_SX_SY_S15_S19_S1B_T6_T7_T9_mT8_S1D_bDpT10_ENKUlT_T0_E_clISt17integral_constantIbLb1EES1R_EEDaS1M_S1N_EUlS1M_E_NS1_11comp_targetILNS1_3genE0ELNS1_11target_archE4294967295ELNS1_3gpuE0ELNS1_3repE0EEENS1_30default_config_static_selectorELNS0_4arch9wavefront6targetE0EEEvSZ_.num_named_barrier, 0
	.set _ZN7rocprim17ROCPRIM_400000_NS6detail17trampoline_kernelINS0_13select_configILj256ELj13ELNS0_17block_load_methodE3ELS4_3ELS4_3ELNS0_20block_scan_algorithmE0ELj4294967295EEENS1_25partition_config_selectorILNS1_17partition_subalgoE4EjNS0_10empty_typeEbEEZZNS1_14partition_implILS8_4ELb0ES6_15HIP_vector_typeIjLj2EENS0_17counting_iteratorIjlEEPS9_SG_NS0_5tupleIJPjSI_NS0_16reverse_iteratorISI_EEEEENSH_IJSG_SG_SG_EEES9_SI_JZNS1_25segmented_radix_sort_implINS0_14default_configELb1EPKlPlSQ_SR_N2at6native12_GLOBAL__N_18offset_tEEE10hipError_tPvRmT1_PNSt15iterator_traitsISZ_E10value_typeET2_T3_PNS10_IS15_E10value_typeET4_jRbjT5_S1B_jjP12ihipStream_tbEUljE_ZNSN_ISO_Lb1ESQ_SR_SQ_SR_SV_EESW_SX_SY_SZ_S13_S14_S15_S18_S19_jS1A_jS1B_S1B_jjS1D_bEUljE0_EEESW_SX_SY_S15_S19_S1B_T6_T7_T9_mT8_S1D_bDpT10_ENKUlT_T0_E_clISt17integral_constantIbLb1EES1R_EEDaS1M_S1N_EUlS1M_E_NS1_11comp_targetILNS1_3genE0ELNS1_11target_archE4294967295ELNS1_3gpuE0ELNS1_3repE0EEENS1_30default_config_static_selectorELNS0_4arch9wavefront6targetE0EEEvSZ_.private_seg_size, 0
	.set _ZN7rocprim17ROCPRIM_400000_NS6detail17trampoline_kernelINS0_13select_configILj256ELj13ELNS0_17block_load_methodE3ELS4_3ELS4_3ELNS0_20block_scan_algorithmE0ELj4294967295EEENS1_25partition_config_selectorILNS1_17partition_subalgoE4EjNS0_10empty_typeEbEEZZNS1_14partition_implILS8_4ELb0ES6_15HIP_vector_typeIjLj2EENS0_17counting_iteratorIjlEEPS9_SG_NS0_5tupleIJPjSI_NS0_16reverse_iteratorISI_EEEEENSH_IJSG_SG_SG_EEES9_SI_JZNS1_25segmented_radix_sort_implINS0_14default_configELb1EPKlPlSQ_SR_N2at6native12_GLOBAL__N_18offset_tEEE10hipError_tPvRmT1_PNSt15iterator_traitsISZ_E10value_typeET2_T3_PNS10_IS15_E10value_typeET4_jRbjT5_S1B_jjP12ihipStream_tbEUljE_ZNSN_ISO_Lb1ESQ_SR_SQ_SR_SV_EESW_SX_SY_SZ_S13_S14_S15_S18_S19_jS1A_jS1B_S1B_jjS1D_bEUljE0_EEESW_SX_SY_S15_S19_S1B_T6_T7_T9_mT8_S1D_bDpT10_ENKUlT_T0_E_clISt17integral_constantIbLb1EES1R_EEDaS1M_S1N_EUlS1M_E_NS1_11comp_targetILNS1_3genE0ELNS1_11target_archE4294967295ELNS1_3gpuE0ELNS1_3repE0EEENS1_30default_config_static_selectorELNS0_4arch9wavefront6targetE0EEEvSZ_.uses_vcc, 0
	.set _ZN7rocprim17ROCPRIM_400000_NS6detail17trampoline_kernelINS0_13select_configILj256ELj13ELNS0_17block_load_methodE3ELS4_3ELS4_3ELNS0_20block_scan_algorithmE0ELj4294967295EEENS1_25partition_config_selectorILNS1_17partition_subalgoE4EjNS0_10empty_typeEbEEZZNS1_14partition_implILS8_4ELb0ES6_15HIP_vector_typeIjLj2EENS0_17counting_iteratorIjlEEPS9_SG_NS0_5tupleIJPjSI_NS0_16reverse_iteratorISI_EEEEENSH_IJSG_SG_SG_EEES9_SI_JZNS1_25segmented_radix_sort_implINS0_14default_configELb1EPKlPlSQ_SR_N2at6native12_GLOBAL__N_18offset_tEEE10hipError_tPvRmT1_PNSt15iterator_traitsISZ_E10value_typeET2_T3_PNS10_IS15_E10value_typeET4_jRbjT5_S1B_jjP12ihipStream_tbEUljE_ZNSN_ISO_Lb1ESQ_SR_SQ_SR_SV_EESW_SX_SY_SZ_S13_S14_S15_S18_S19_jS1A_jS1B_S1B_jjS1D_bEUljE0_EEESW_SX_SY_S15_S19_S1B_T6_T7_T9_mT8_S1D_bDpT10_ENKUlT_T0_E_clISt17integral_constantIbLb1EES1R_EEDaS1M_S1N_EUlS1M_E_NS1_11comp_targetILNS1_3genE0ELNS1_11target_archE4294967295ELNS1_3gpuE0ELNS1_3repE0EEENS1_30default_config_static_selectorELNS0_4arch9wavefront6targetE0EEEvSZ_.uses_flat_scratch, 0
	.set _ZN7rocprim17ROCPRIM_400000_NS6detail17trampoline_kernelINS0_13select_configILj256ELj13ELNS0_17block_load_methodE3ELS4_3ELS4_3ELNS0_20block_scan_algorithmE0ELj4294967295EEENS1_25partition_config_selectorILNS1_17partition_subalgoE4EjNS0_10empty_typeEbEEZZNS1_14partition_implILS8_4ELb0ES6_15HIP_vector_typeIjLj2EENS0_17counting_iteratorIjlEEPS9_SG_NS0_5tupleIJPjSI_NS0_16reverse_iteratorISI_EEEEENSH_IJSG_SG_SG_EEES9_SI_JZNS1_25segmented_radix_sort_implINS0_14default_configELb1EPKlPlSQ_SR_N2at6native12_GLOBAL__N_18offset_tEEE10hipError_tPvRmT1_PNSt15iterator_traitsISZ_E10value_typeET2_T3_PNS10_IS15_E10value_typeET4_jRbjT5_S1B_jjP12ihipStream_tbEUljE_ZNSN_ISO_Lb1ESQ_SR_SQ_SR_SV_EESW_SX_SY_SZ_S13_S14_S15_S18_S19_jS1A_jS1B_S1B_jjS1D_bEUljE0_EEESW_SX_SY_S15_S19_S1B_T6_T7_T9_mT8_S1D_bDpT10_ENKUlT_T0_E_clISt17integral_constantIbLb1EES1R_EEDaS1M_S1N_EUlS1M_E_NS1_11comp_targetILNS1_3genE0ELNS1_11target_archE4294967295ELNS1_3gpuE0ELNS1_3repE0EEENS1_30default_config_static_selectorELNS0_4arch9wavefront6targetE0EEEvSZ_.has_dyn_sized_stack, 0
	.set _ZN7rocprim17ROCPRIM_400000_NS6detail17trampoline_kernelINS0_13select_configILj256ELj13ELNS0_17block_load_methodE3ELS4_3ELS4_3ELNS0_20block_scan_algorithmE0ELj4294967295EEENS1_25partition_config_selectorILNS1_17partition_subalgoE4EjNS0_10empty_typeEbEEZZNS1_14partition_implILS8_4ELb0ES6_15HIP_vector_typeIjLj2EENS0_17counting_iteratorIjlEEPS9_SG_NS0_5tupleIJPjSI_NS0_16reverse_iteratorISI_EEEEENSH_IJSG_SG_SG_EEES9_SI_JZNS1_25segmented_radix_sort_implINS0_14default_configELb1EPKlPlSQ_SR_N2at6native12_GLOBAL__N_18offset_tEEE10hipError_tPvRmT1_PNSt15iterator_traitsISZ_E10value_typeET2_T3_PNS10_IS15_E10value_typeET4_jRbjT5_S1B_jjP12ihipStream_tbEUljE_ZNSN_ISO_Lb1ESQ_SR_SQ_SR_SV_EESW_SX_SY_SZ_S13_S14_S15_S18_S19_jS1A_jS1B_S1B_jjS1D_bEUljE0_EEESW_SX_SY_S15_S19_S1B_T6_T7_T9_mT8_S1D_bDpT10_ENKUlT_T0_E_clISt17integral_constantIbLb1EES1R_EEDaS1M_S1N_EUlS1M_E_NS1_11comp_targetILNS1_3genE0ELNS1_11target_archE4294967295ELNS1_3gpuE0ELNS1_3repE0EEENS1_30default_config_static_selectorELNS0_4arch9wavefront6targetE0EEEvSZ_.has_recursion, 0
	.set _ZN7rocprim17ROCPRIM_400000_NS6detail17trampoline_kernelINS0_13select_configILj256ELj13ELNS0_17block_load_methodE3ELS4_3ELS4_3ELNS0_20block_scan_algorithmE0ELj4294967295EEENS1_25partition_config_selectorILNS1_17partition_subalgoE4EjNS0_10empty_typeEbEEZZNS1_14partition_implILS8_4ELb0ES6_15HIP_vector_typeIjLj2EENS0_17counting_iteratorIjlEEPS9_SG_NS0_5tupleIJPjSI_NS0_16reverse_iteratorISI_EEEEENSH_IJSG_SG_SG_EEES9_SI_JZNS1_25segmented_radix_sort_implINS0_14default_configELb1EPKlPlSQ_SR_N2at6native12_GLOBAL__N_18offset_tEEE10hipError_tPvRmT1_PNSt15iterator_traitsISZ_E10value_typeET2_T3_PNS10_IS15_E10value_typeET4_jRbjT5_S1B_jjP12ihipStream_tbEUljE_ZNSN_ISO_Lb1ESQ_SR_SQ_SR_SV_EESW_SX_SY_SZ_S13_S14_S15_S18_S19_jS1A_jS1B_S1B_jjS1D_bEUljE0_EEESW_SX_SY_S15_S19_S1B_T6_T7_T9_mT8_S1D_bDpT10_ENKUlT_T0_E_clISt17integral_constantIbLb1EES1R_EEDaS1M_S1N_EUlS1M_E_NS1_11comp_targetILNS1_3genE0ELNS1_11target_archE4294967295ELNS1_3gpuE0ELNS1_3repE0EEENS1_30default_config_static_selectorELNS0_4arch9wavefront6targetE0EEEvSZ_.has_indirect_call, 0
	.section	.AMDGPU.csdata,"",@progbits
; Kernel info:
; codeLenInByte = 0
; TotalNumSgprs: 0
; NumVgprs: 0
; ScratchSize: 0
; MemoryBound: 0
; FloatMode: 240
; IeeeMode: 1
; LDSByteSize: 0 bytes/workgroup (compile time only)
; SGPRBlocks: 0
; VGPRBlocks: 0
; NumSGPRsForWavesPerEU: 1
; NumVGPRsForWavesPerEU: 1
; Occupancy: 16
; WaveLimiterHint : 0
; COMPUTE_PGM_RSRC2:SCRATCH_EN: 0
; COMPUTE_PGM_RSRC2:USER_SGPR: 6
; COMPUTE_PGM_RSRC2:TRAP_HANDLER: 0
; COMPUTE_PGM_RSRC2:TGID_X_EN: 1
; COMPUTE_PGM_RSRC2:TGID_Y_EN: 0
; COMPUTE_PGM_RSRC2:TGID_Z_EN: 0
; COMPUTE_PGM_RSRC2:TIDIG_COMP_CNT: 0
	.section	.text._ZN7rocprim17ROCPRIM_400000_NS6detail17trampoline_kernelINS0_13select_configILj256ELj13ELNS0_17block_load_methodE3ELS4_3ELS4_3ELNS0_20block_scan_algorithmE0ELj4294967295EEENS1_25partition_config_selectorILNS1_17partition_subalgoE4EjNS0_10empty_typeEbEEZZNS1_14partition_implILS8_4ELb0ES6_15HIP_vector_typeIjLj2EENS0_17counting_iteratorIjlEEPS9_SG_NS0_5tupleIJPjSI_NS0_16reverse_iteratorISI_EEEEENSH_IJSG_SG_SG_EEES9_SI_JZNS1_25segmented_radix_sort_implINS0_14default_configELb1EPKlPlSQ_SR_N2at6native12_GLOBAL__N_18offset_tEEE10hipError_tPvRmT1_PNSt15iterator_traitsISZ_E10value_typeET2_T3_PNS10_IS15_E10value_typeET4_jRbjT5_S1B_jjP12ihipStream_tbEUljE_ZNSN_ISO_Lb1ESQ_SR_SQ_SR_SV_EESW_SX_SY_SZ_S13_S14_S15_S18_S19_jS1A_jS1B_S1B_jjS1D_bEUljE0_EEESW_SX_SY_S15_S19_S1B_T6_T7_T9_mT8_S1D_bDpT10_ENKUlT_T0_E_clISt17integral_constantIbLb1EES1R_EEDaS1M_S1N_EUlS1M_E_NS1_11comp_targetILNS1_3genE5ELNS1_11target_archE942ELNS1_3gpuE9ELNS1_3repE0EEENS1_30default_config_static_selectorELNS0_4arch9wavefront6targetE0EEEvSZ_,"axG",@progbits,_ZN7rocprim17ROCPRIM_400000_NS6detail17trampoline_kernelINS0_13select_configILj256ELj13ELNS0_17block_load_methodE3ELS4_3ELS4_3ELNS0_20block_scan_algorithmE0ELj4294967295EEENS1_25partition_config_selectorILNS1_17partition_subalgoE4EjNS0_10empty_typeEbEEZZNS1_14partition_implILS8_4ELb0ES6_15HIP_vector_typeIjLj2EENS0_17counting_iteratorIjlEEPS9_SG_NS0_5tupleIJPjSI_NS0_16reverse_iteratorISI_EEEEENSH_IJSG_SG_SG_EEES9_SI_JZNS1_25segmented_radix_sort_implINS0_14default_configELb1EPKlPlSQ_SR_N2at6native12_GLOBAL__N_18offset_tEEE10hipError_tPvRmT1_PNSt15iterator_traitsISZ_E10value_typeET2_T3_PNS10_IS15_E10value_typeET4_jRbjT5_S1B_jjP12ihipStream_tbEUljE_ZNSN_ISO_Lb1ESQ_SR_SQ_SR_SV_EESW_SX_SY_SZ_S13_S14_S15_S18_S19_jS1A_jS1B_S1B_jjS1D_bEUljE0_EEESW_SX_SY_S15_S19_S1B_T6_T7_T9_mT8_S1D_bDpT10_ENKUlT_T0_E_clISt17integral_constantIbLb1EES1R_EEDaS1M_S1N_EUlS1M_E_NS1_11comp_targetILNS1_3genE5ELNS1_11target_archE942ELNS1_3gpuE9ELNS1_3repE0EEENS1_30default_config_static_selectorELNS0_4arch9wavefront6targetE0EEEvSZ_,comdat
	.globl	_ZN7rocprim17ROCPRIM_400000_NS6detail17trampoline_kernelINS0_13select_configILj256ELj13ELNS0_17block_load_methodE3ELS4_3ELS4_3ELNS0_20block_scan_algorithmE0ELj4294967295EEENS1_25partition_config_selectorILNS1_17partition_subalgoE4EjNS0_10empty_typeEbEEZZNS1_14partition_implILS8_4ELb0ES6_15HIP_vector_typeIjLj2EENS0_17counting_iteratorIjlEEPS9_SG_NS0_5tupleIJPjSI_NS0_16reverse_iteratorISI_EEEEENSH_IJSG_SG_SG_EEES9_SI_JZNS1_25segmented_radix_sort_implINS0_14default_configELb1EPKlPlSQ_SR_N2at6native12_GLOBAL__N_18offset_tEEE10hipError_tPvRmT1_PNSt15iterator_traitsISZ_E10value_typeET2_T3_PNS10_IS15_E10value_typeET4_jRbjT5_S1B_jjP12ihipStream_tbEUljE_ZNSN_ISO_Lb1ESQ_SR_SQ_SR_SV_EESW_SX_SY_SZ_S13_S14_S15_S18_S19_jS1A_jS1B_S1B_jjS1D_bEUljE0_EEESW_SX_SY_S15_S19_S1B_T6_T7_T9_mT8_S1D_bDpT10_ENKUlT_T0_E_clISt17integral_constantIbLb1EES1R_EEDaS1M_S1N_EUlS1M_E_NS1_11comp_targetILNS1_3genE5ELNS1_11target_archE942ELNS1_3gpuE9ELNS1_3repE0EEENS1_30default_config_static_selectorELNS0_4arch9wavefront6targetE0EEEvSZ_ ; -- Begin function _ZN7rocprim17ROCPRIM_400000_NS6detail17trampoline_kernelINS0_13select_configILj256ELj13ELNS0_17block_load_methodE3ELS4_3ELS4_3ELNS0_20block_scan_algorithmE0ELj4294967295EEENS1_25partition_config_selectorILNS1_17partition_subalgoE4EjNS0_10empty_typeEbEEZZNS1_14partition_implILS8_4ELb0ES6_15HIP_vector_typeIjLj2EENS0_17counting_iteratorIjlEEPS9_SG_NS0_5tupleIJPjSI_NS0_16reverse_iteratorISI_EEEEENSH_IJSG_SG_SG_EEES9_SI_JZNS1_25segmented_radix_sort_implINS0_14default_configELb1EPKlPlSQ_SR_N2at6native12_GLOBAL__N_18offset_tEEE10hipError_tPvRmT1_PNSt15iterator_traitsISZ_E10value_typeET2_T3_PNS10_IS15_E10value_typeET4_jRbjT5_S1B_jjP12ihipStream_tbEUljE_ZNSN_ISO_Lb1ESQ_SR_SQ_SR_SV_EESW_SX_SY_SZ_S13_S14_S15_S18_S19_jS1A_jS1B_S1B_jjS1D_bEUljE0_EEESW_SX_SY_S15_S19_S1B_T6_T7_T9_mT8_S1D_bDpT10_ENKUlT_T0_E_clISt17integral_constantIbLb1EES1R_EEDaS1M_S1N_EUlS1M_E_NS1_11comp_targetILNS1_3genE5ELNS1_11target_archE942ELNS1_3gpuE9ELNS1_3repE0EEENS1_30default_config_static_selectorELNS0_4arch9wavefront6targetE0EEEvSZ_
	.p2align	8
	.type	_ZN7rocprim17ROCPRIM_400000_NS6detail17trampoline_kernelINS0_13select_configILj256ELj13ELNS0_17block_load_methodE3ELS4_3ELS4_3ELNS0_20block_scan_algorithmE0ELj4294967295EEENS1_25partition_config_selectorILNS1_17partition_subalgoE4EjNS0_10empty_typeEbEEZZNS1_14partition_implILS8_4ELb0ES6_15HIP_vector_typeIjLj2EENS0_17counting_iteratorIjlEEPS9_SG_NS0_5tupleIJPjSI_NS0_16reverse_iteratorISI_EEEEENSH_IJSG_SG_SG_EEES9_SI_JZNS1_25segmented_radix_sort_implINS0_14default_configELb1EPKlPlSQ_SR_N2at6native12_GLOBAL__N_18offset_tEEE10hipError_tPvRmT1_PNSt15iterator_traitsISZ_E10value_typeET2_T3_PNS10_IS15_E10value_typeET4_jRbjT5_S1B_jjP12ihipStream_tbEUljE_ZNSN_ISO_Lb1ESQ_SR_SQ_SR_SV_EESW_SX_SY_SZ_S13_S14_S15_S18_S19_jS1A_jS1B_S1B_jjS1D_bEUljE0_EEESW_SX_SY_S15_S19_S1B_T6_T7_T9_mT8_S1D_bDpT10_ENKUlT_T0_E_clISt17integral_constantIbLb1EES1R_EEDaS1M_S1N_EUlS1M_E_NS1_11comp_targetILNS1_3genE5ELNS1_11target_archE942ELNS1_3gpuE9ELNS1_3repE0EEENS1_30default_config_static_selectorELNS0_4arch9wavefront6targetE0EEEvSZ_,@function
_ZN7rocprim17ROCPRIM_400000_NS6detail17trampoline_kernelINS0_13select_configILj256ELj13ELNS0_17block_load_methodE3ELS4_3ELS4_3ELNS0_20block_scan_algorithmE0ELj4294967295EEENS1_25partition_config_selectorILNS1_17partition_subalgoE4EjNS0_10empty_typeEbEEZZNS1_14partition_implILS8_4ELb0ES6_15HIP_vector_typeIjLj2EENS0_17counting_iteratorIjlEEPS9_SG_NS0_5tupleIJPjSI_NS0_16reverse_iteratorISI_EEEEENSH_IJSG_SG_SG_EEES9_SI_JZNS1_25segmented_radix_sort_implINS0_14default_configELb1EPKlPlSQ_SR_N2at6native12_GLOBAL__N_18offset_tEEE10hipError_tPvRmT1_PNSt15iterator_traitsISZ_E10value_typeET2_T3_PNS10_IS15_E10value_typeET4_jRbjT5_S1B_jjP12ihipStream_tbEUljE_ZNSN_ISO_Lb1ESQ_SR_SQ_SR_SV_EESW_SX_SY_SZ_S13_S14_S15_S18_S19_jS1A_jS1B_S1B_jjS1D_bEUljE0_EEESW_SX_SY_S15_S19_S1B_T6_T7_T9_mT8_S1D_bDpT10_ENKUlT_T0_E_clISt17integral_constantIbLb1EES1R_EEDaS1M_S1N_EUlS1M_E_NS1_11comp_targetILNS1_3genE5ELNS1_11target_archE942ELNS1_3gpuE9ELNS1_3repE0EEENS1_30default_config_static_selectorELNS0_4arch9wavefront6targetE0EEEvSZ_: ; @_ZN7rocprim17ROCPRIM_400000_NS6detail17trampoline_kernelINS0_13select_configILj256ELj13ELNS0_17block_load_methodE3ELS4_3ELS4_3ELNS0_20block_scan_algorithmE0ELj4294967295EEENS1_25partition_config_selectorILNS1_17partition_subalgoE4EjNS0_10empty_typeEbEEZZNS1_14partition_implILS8_4ELb0ES6_15HIP_vector_typeIjLj2EENS0_17counting_iteratorIjlEEPS9_SG_NS0_5tupleIJPjSI_NS0_16reverse_iteratorISI_EEEEENSH_IJSG_SG_SG_EEES9_SI_JZNS1_25segmented_radix_sort_implINS0_14default_configELb1EPKlPlSQ_SR_N2at6native12_GLOBAL__N_18offset_tEEE10hipError_tPvRmT1_PNSt15iterator_traitsISZ_E10value_typeET2_T3_PNS10_IS15_E10value_typeET4_jRbjT5_S1B_jjP12ihipStream_tbEUljE_ZNSN_ISO_Lb1ESQ_SR_SQ_SR_SV_EESW_SX_SY_SZ_S13_S14_S15_S18_S19_jS1A_jS1B_S1B_jjS1D_bEUljE0_EEESW_SX_SY_S15_S19_S1B_T6_T7_T9_mT8_S1D_bDpT10_ENKUlT_T0_E_clISt17integral_constantIbLb1EES1R_EEDaS1M_S1N_EUlS1M_E_NS1_11comp_targetILNS1_3genE5ELNS1_11target_archE942ELNS1_3gpuE9ELNS1_3repE0EEENS1_30default_config_static_selectorELNS0_4arch9wavefront6targetE0EEEvSZ_
; %bb.0:
	.section	.rodata,"a",@progbits
	.p2align	6, 0x0
	.amdhsa_kernel _ZN7rocprim17ROCPRIM_400000_NS6detail17trampoline_kernelINS0_13select_configILj256ELj13ELNS0_17block_load_methodE3ELS4_3ELS4_3ELNS0_20block_scan_algorithmE0ELj4294967295EEENS1_25partition_config_selectorILNS1_17partition_subalgoE4EjNS0_10empty_typeEbEEZZNS1_14partition_implILS8_4ELb0ES6_15HIP_vector_typeIjLj2EENS0_17counting_iteratorIjlEEPS9_SG_NS0_5tupleIJPjSI_NS0_16reverse_iteratorISI_EEEEENSH_IJSG_SG_SG_EEES9_SI_JZNS1_25segmented_radix_sort_implINS0_14default_configELb1EPKlPlSQ_SR_N2at6native12_GLOBAL__N_18offset_tEEE10hipError_tPvRmT1_PNSt15iterator_traitsISZ_E10value_typeET2_T3_PNS10_IS15_E10value_typeET4_jRbjT5_S1B_jjP12ihipStream_tbEUljE_ZNSN_ISO_Lb1ESQ_SR_SQ_SR_SV_EESW_SX_SY_SZ_S13_S14_S15_S18_S19_jS1A_jS1B_S1B_jjS1D_bEUljE0_EEESW_SX_SY_S15_S19_S1B_T6_T7_T9_mT8_S1D_bDpT10_ENKUlT_T0_E_clISt17integral_constantIbLb1EES1R_EEDaS1M_S1N_EUlS1M_E_NS1_11comp_targetILNS1_3genE5ELNS1_11target_archE942ELNS1_3gpuE9ELNS1_3repE0EEENS1_30default_config_static_selectorELNS0_4arch9wavefront6targetE0EEEvSZ_
		.amdhsa_group_segment_fixed_size 0
		.amdhsa_private_segment_fixed_size 0
		.amdhsa_kernarg_size 184
		.amdhsa_user_sgpr_count 6
		.amdhsa_user_sgpr_private_segment_buffer 1
		.amdhsa_user_sgpr_dispatch_ptr 0
		.amdhsa_user_sgpr_queue_ptr 0
		.amdhsa_user_sgpr_kernarg_segment_ptr 1
		.amdhsa_user_sgpr_dispatch_id 0
		.amdhsa_user_sgpr_flat_scratch_init 0
		.amdhsa_user_sgpr_private_segment_size 0
		.amdhsa_wavefront_size32 1
		.amdhsa_uses_dynamic_stack 0
		.amdhsa_system_sgpr_private_segment_wavefront_offset 0
		.amdhsa_system_sgpr_workgroup_id_x 1
		.amdhsa_system_sgpr_workgroup_id_y 0
		.amdhsa_system_sgpr_workgroup_id_z 0
		.amdhsa_system_sgpr_workgroup_info 0
		.amdhsa_system_vgpr_workitem_id 0
		.amdhsa_next_free_vgpr 1
		.amdhsa_next_free_sgpr 1
		.amdhsa_reserve_vcc 0
		.amdhsa_reserve_flat_scratch 0
		.amdhsa_float_round_mode_32 0
		.amdhsa_float_round_mode_16_64 0
		.amdhsa_float_denorm_mode_32 3
		.amdhsa_float_denorm_mode_16_64 3
		.amdhsa_dx10_clamp 1
		.amdhsa_ieee_mode 1
		.amdhsa_fp16_overflow 0
		.amdhsa_workgroup_processor_mode 1
		.amdhsa_memory_ordered 1
		.amdhsa_forward_progress 1
		.amdhsa_shared_vgpr_count 0
		.amdhsa_exception_fp_ieee_invalid_op 0
		.amdhsa_exception_fp_denorm_src 0
		.amdhsa_exception_fp_ieee_div_zero 0
		.amdhsa_exception_fp_ieee_overflow 0
		.amdhsa_exception_fp_ieee_underflow 0
		.amdhsa_exception_fp_ieee_inexact 0
		.amdhsa_exception_int_div_zero 0
	.end_amdhsa_kernel
	.section	.text._ZN7rocprim17ROCPRIM_400000_NS6detail17trampoline_kernelINS0_13select_configILj256ELj13ELNS0_17block_load_methodE3ELS4_3ELS4_3ELNS0_20block_scan_algorithmE0ELj4294967295EEENS1_25partition_config_selectorILNS1_17partition_subalgoE4EjNS0_10empty_typeEbEEZZNS1_14partition_implILS8_4ELb0ES6_15HIP_vector_typeIjLj2EENS0_17counting_iteratorIjlEEPS9_SG_NS0_5tupleIJPjSI_NS0_16reverse_iteratorISI_EEEEENSH_IJSG_SG_SG_EEES9_SI_JZNS1_25segmented_radix_sort_implINS0_14default_configELb1EPKlPlSQ_SR_N2at6native12_GLOBAL__N_18offset_tEEE10hipError_tPvRmT1_PNSt15iterator_traitsISZ_E10value_typeET2_T3_PNS10_IS15_E10value_typeET4_jRbjT5_S1B_jjP12ihipStream_tbEUljE_ZNSN_ISO_Lb1ESQ_SR_SQ_SR_SV_EESW_SX_SY_SZ_S13_S14_S15_S18_S19_jS1A_jS1B_S1B_jjS1D_bEUljE0_EEESW_SX_SY_S15_S19_S1B_T6_T7_T9_mT8_S1D_bDpT10_ENKUlT_T0_E_clISt17integral_constantIbLb1EES1R_EEDaS1M_S1N_EUlS1M_E_NS1_11comp_targetILNS1_3genE5ELNS1_11target_archE942ELNS1_3gpuE9ELNS1_3repE0EEENS1_30default_config_static_selectorELNS0_4arch9wavefront6targetE0EEEvSZ_,"axG",@progbits,_ZN7rocprim17ROCPRIM_400000_NS6detail17trampoline_kernelINS0_13select_configILj256ELj13ELNS0_17block_load_methodE3ELS4_3ELS4_3ELNS0_20block_scan_algorithmE0ELj4294967295EEENS1_25partition_config_selectorILNS1_17partition_subalgoE4EjNS0_10empty_typeEbEEZZNS1_14partition_implILS8_4ELb0ES6_15HIP_vector_typeIjLj2EENS0_17counting_iteratorIjlEEPS9_SG_NS0_5tupleIJPjSI_NS0_16reverse_iteratorISI_EEEEENSH_IJSG_SG_SG_EEES9_SI_JZNS1_25segmented_radix_sort_implINS0_14default_configELb1EPKlPlSQ_SR_N2at6native12_GLOBAL__N_18offset_tEEE10hipError_tPvRmT1_PNSt15iterator_traitsISZ_E10value_typeET2_T3_PNS10_IS15_E10value_typeET4_jRbjT5_S1B_jjP12ihipStream_tbEUljE_ZNSN_ISO_Lb1ESQ_SR_SQ_SR_SV_EESW_SX_SY_SZ_S13_S14_S15_S18_S19_jS1A_jS1B_S1B_jjS1D_bEUljE0_EEESW_SX_SY_S15_S19_S1B_T6_T7_T9_mT8_S1D_bDpT10_ENKUlT_T0_E_clISt17integral_constantIbLb1EES1R_EEDaS1M_S1N_EUlS1M_E_NS1_11comp_targetILNS1_3genE5ELNS1_11target_archE942ELNS1_3gpuE9ELNS1_3repE0EEENS1_30default_config_static_selectorELNS0_4arch9wavefront6targetE0EEEvSZ_,comdat
.Lfunc_end643:
	.size	_ZN7rocprim17ROCPRIM_400000_NS6detail17trampoline_kernelINS0_13select_configILj256ELj13ELNS0_17block_load_methodE3ELS4_3ELS4_3ELNS0_20block_scan_algorithmE0ELj4294967295EEENS1_25partition_config_selectorILNS1_17partition_subalgoE4EjNS0_10empty_typeEbEEZZNS1_14partition_implILS8_4ELb0ES6_15HIP_vector_typeIjLj2EENS0_17counting_iteratorIjlEEPS9_SG_NS0_5tupleIJPjSI_NS0_16reverse_iteratorISI_EEEEENSH_IJSG_SG_SG_EEES9_SI_JZNS1_25segmented_radix_sort_implINS0_14default_configELb1EPKlPlSQ_SR_N2at6native12_GLOBAL__N_18offset_tEEE10hipError_tPvRmT1_PNSt15iterator_traitsISZ_E10value_typeET2_T3_PNS10_IS15_E10value_typeET4_jRbjT5_S1B_jjP12ihipStream_tbEUljE_ZNSN_ISO_Lb1ESQ_SR_SQ_SR_SV_EESW_SX_SY_SZ_S13_S14_S15_S18_S19_jS1A_jS1B_S1B_jjS1D_bEUljE0_EEESW_SX_SY_S15_S19_S1B_T6_T7_T9_mT8_S1D_bDpT10_ENKUlT_T0_E_clISt17integral_constantIbLb1EES1R_EEDaS1M_S1N_EUlS1M_E_NS1_11comp_targetILNS1_3genE5ELNS1_11target_archE942ELNS1_3gpuE9ELNS1_3repE0EEENS1_30default_config_static_selectorELNS0_4arch9wavefront6targetE0EEEvSZ_, .Lfunc_end643-_ZN7rocprim17ROCPRIM_400000_NS6detail17trampoline_kernelINS0_13select_configILj256ELj13ELNS0_17block_load_methodE3ELS4_3ELS4_3ELNS0_20block_scan_algorithmE0ELj4294967295EEENS1_25partition_config_selectorILNS1_17partition_subalgoE4EjNS0_10empty_typeEbEEZZNS1_14partition_implILS8_4ELb0ES6_15HIP_vector_typeIjLj2EENS0_17counting_iteratorIjlEEPS9_SG_NS0_5tupleIJPjSI_NS0_16reverse_iteratorISI_EEEEENSH_IJSG_SG_SG_EEES9_SI_JZNS1_25segmented_radix_sort_implINS0_14default_configELb1EPKlPlSQ_SR_N2at6native12_GLOBAL__N_18offset_tEEE10hipError_tPvRmT1_PNSt15iterator_traitsISZ_E10value_typeET2_T3_PNS10_IS15_E10value_typeET4_jRbjT5_S1B_jjP12ihipStream_tbEUljE_ZNSN_ISO_Lb1ESQ_SR_SQ_SR_SV_EESW_SX_SY_SZ_S13_S14_S15_S18_S19_jS1A_jS1B_S1B_jjS1D_bEUljE0_EEESW_SX_SY_S15_S19_S1B_T6_T7_T9_mT8_S1D_bDpT10_ENKUlT_T0_E_clISt17integral_constantIbLb1EES1R_EEDaS1M_S1N_EUlS1M_E_NS1_11comp_targetILNS1_3genE5ELNS1_11target_archE942ELNS1_3gpuE9ELNS1_3repE0EEENS1_30default_config_static_selectorELNS0_4arch9wavefront6targetE0EEEvSZ_
                                        ; -- End function
	.set _ZN7rocprim17ROCPRIM_400000_NS6detail17trampoline_kernelINS0_13select_configILj256ELj13ELNS0_17block_load_methodE3ELS4_3ELS4_3ELNS0_20block_scan_algorithmE0ELj4294967295EEENS1_25partition_config_selectorILNS1_17partition_subalgoE4EjNS0_10empty_typeEbEEZZNS1_14partition_implILS8_4ELb0ES6_15HIP_vector_typeIjLj2EENS0_17counting_iteratorIjlEEPS9_SG_NS0_5tupleIJPjSI_NS0_16reverse_iteratorISI_EEEEENSH_IJSG_SG_SG_EEES9_SI_JZNS1_25segmented_radix_sort_implINS0_14default_configELb1EPKlPlSQ_SR_N2at6native12_GLOBAL__N_18offset_tEEE10hipError_tPvRmT1_PNSt15iterator_traitsISZ_E10value_typeET2_T3_PNS10_IS15_E10value_typeET4_jRbjT5_S1B_jjP12ihipStream_tbEUljE_ZNSN_ISO_Lb1ESQ_SR_SQ_SR_SV_EESW_SX_SY_SZ_S13_S14_S15_S18_S19_jS1A_jS1B_S1B_jjS1D_bEUljE0_EEESW_SX_SY_S15_S19_S1B_T6_T7_T9_mT8_S1D_bDpT10_ENKUlT_T0_E_clISt17integral_constantIbLb1EES1R_EEDaS1M_S1N_EUlS1M_E_NS1_11comp_targetILNS1_3genE5ELNS1_11target_archE942ELNS1_3gpuE9ELNS1_3repE0EEENS1_30default_config_static_selectorELNS0_4arch9wavefront6targetE0EEEvSZ_.num_vgpr, 0
	.set _ZN7rocprim17ROCPRIM_400000_NS6detail17trampoline_kernelINS0_13select_configILj256ELj13ELNS0_17block_load_methodE3ELS4_3ELS4_3ELNS0_20block_scan_algorithmE0ELj4294967295EEENS1_25partition_config_selectorILNS1_17partition_subalgoE4EjNS0_10empty_typeEbEEZZNS1_14partition_implILS8_4ELb0ES6_15HIP_vector_typeIjLj2EENS0_17counting_iteratorIjlEEPS9_SG_NS0_5tupleIJPjSI_NS0_16reverse_iteratorISI_EEEEENSH_IJSG_SG_SG_EEES9_SI_JZNS1_25segmented_radix_sort_implINS0_14default_configELb1EPKlPlSQ_SR_N2at6native12_GLOBAL__N_18offset_tEEE10hipError_tPvRmT1_PNSt15iterator_traitsISZ_E10value_typeET2_T3_PNS10_IS15_E10value_typeET4_jRbjT5_S1B_jjP12ihipStream_tbEUljE_ZNSN_ISO_Lb1ESQ_SR_SQ_SR_SV_EESW_SX_SY_SZ_S13_S14_S15_S18_S19_jS1A_jS1B_S1B_jjS1D_bEUljE0_EEESW_SX_SY_S15_S19_S1B_T6_T7_T9_mT8_S1D_bDpT10_ENKUlT_T0_E_clISt17integral_constantIbLb1EES1R_EEDaS1M_S1N_EUlS1M_E_NS1_11comp_targetILNS1_3genE5ELNS1_11target_archE942ELNS1_3gpuE9ELNS1_3repE0EEENS1_30default_config_static_selectorELNS0_4arch9wavefront6targetE0EEEvSZ_.num_agpr, 0
	.set _ZN7rocprim17ROCPRIM_400000_NS6detail17trampoline_kernelINS0_13select_configILj256ELj13ELNS0_17block_load_methodE3ELS4_3ELS4_3ELNS0_20block_scan_algorithmE0ELj4294967295EEENS1_25partition_config_selectorILNS1_17partition_subalgoE4EjNS0_10empty_typeEbEEZZNS1_14partition_implILS8_4ELb0ES6_15HIP_vector_typeIjLj2EENS0_17counting_iteratorIjlEEPS9_SG_NS0_5tupleIJPjSI_NS0_16reverse_iteratorISI_EEEEENSH_IJSG_SG_SG_EEES9_SI_JZNS1_25segmented_radix_sort_implINS0_14default_configELb1EPKlPlSQ_SR_N2at6native12_GLOBAL__N_18offset_tEEE10hipError_tPvRmT1_PNSt15iterator_traitsISZ_E10value_typeET2_T3_PNS10_IS15_E10value_typeET4_jRbjT5_S1B_jjP12ihipStream_tbEUljE_ZNSN_ISO_Lb1ESQ_SR_SQ_SR_SV_EESW_SX_SY_SZ_S13_S14_S15_S18_S19_jS1A_jS1B_S1B_jjS1D_bEUljE0_EEESW_SX_SY_S15_S19_S1B_T6_T7_T9_mT8_S1D_bDpT10_ENKUlT_T0_E_clISt17integral_constantIbLb1EES1R_EEDaS1M_S1N_EUlS1M_E_NS1_11comp_targetILNS1_3genE5ELNS1_11target_archE942ELNS1_3gpuE9ELNS1_3repE0EEENS1_30default_config_static_selectorELNS0_4arch9wavefront6targetE0EEEvSZ_.numbered_sgpr, 0
	.set _ZN7rocprim17ROCPRIM_400000_NS6detail17trampoline_kernelINS0_13select_configILj256ELj13ELNS0_17block_load_methodE3ELS4_3ELS4_3ELNS0_20block_scan_algorithmE0ELj4294967295EEENS1_25partition_config_selectorILNS1_17partition_subalgoE4EjNS0_10empty_typeEbEEZZNS1_14partition_implILS8_4ELb0ES6_15HIP_vector_typeIjLj2EENS0_17counting_iteratorIjlEEPS9_SG_NS0_5tupleIJPjSI_NS0_16reverse_iteratorISI_EEEEENSH_IJSG_SG_SG_EEES9_SI_JZNS1_25segmented_radix_sort_implINS0_14default_configELb1EPKlPlSQ_SR_N2at6native12_GLOBAL__N_18offset_tEEE10hipError_tPvRmT1_PNSt15iterator_traitsISZ_E10value_typeET2_T3_PNS10_IS15_E10value_typeET4_jRbjT5_S1B_jjP12ihipStream_tbEUljE_ZNSN_ISO_Lb1ESQ_SR_SQ_SR_SV_EESW_SX_SY_SZ_S13_S14_S15_S18_S19_jS1A_jS1B_S1B_jjS1D_bEUljE0_EEESW_SX_SY_S15_S19_S1B_T6_T7_T9_mT8_S1D_bDpT10_ENKUlT_T0_E_clISt17integral_constantIbLb1EES1R_EEDaS1M_S1N_EUlS1M_E_NS1_11comp_targetILNS1_3genE5ELNS1_11target_archE942ELNS1_3gpuE9ELNS1_3repE0EEENS1_30default_config_static_selectorELNS0_4arch9wavefront6targetE0EEEvSZ_.num_named_barrier, 0
	.set _ZN7rocprim17ROCPRIM_400000_NS6detail17trampoline_kernelINS0_13select_configILj256ELj13ELNS0_17block_load_methodE3ELS4_3ELS4_3ELNS0_20block_scan_algorithmE0ELj4294967295EEENS1_25partition_config_selectorILNS1_17partition_subalgoE4EjNS0_10empty_typeEbEEZZNS1_14partition_implILS8_4ELb0ES6_15HIP_vector_typeIjLj2EENS0_17counting_iteratorIjlEEPS9_SG_NS0_5tupleIJPjSI_NS0_16reverse_iteratorISI_EEEEENSH_IJSG_SG_SG_EEES9_SI_JZNS1_25segmented_radix_sort_implINS0_14default_configELb1EPKlPlSQ_SR_N2at6native12_GLOBAL__N_18offset_tEEE10hipError_tPvRmT1_PNSt15iterator_traitsISZ_E10value_typeET2_T3_PNS10_IS15_E10value_typeET4_jRbjT5_S1B_jjP12ihipStream_tbEUljE_ZNSN_ISO_Lb1ESQ_SR_SQ_SR_SV_EESW_SX_SY_SZ_S13_S14_S15_S18_S19_jS1A_jS1B_S1B_jjS1D_bEUljE0_EEESW_SX_SY_S15_S19_S1B_T6_T7_T9_mT8_S1D_bDpT10_ENKUlT_T0_E_clISt17integral_constantIbLb1EES1R_EEDaS1M_S1N_EUlS1M_E_NS1_11comp_targetILNS1_3genE5ELNS1_11target_archE942ELNS1_3gpuE9ELNS1_3repE0EEENS1_30default_config_static_selectorELNS0_4arch9wavefront6targetE0EEEvSZ_.private_seg_size, 0
	.set _ZN7rocprim17ROCPRIM_400000_NS6detail17trampoline_kernelINS0_13select_configILj256ELj13ELNS0_17block_load_methodE3ELS4_3ELS4_3ELNS0_20block_scan_algorithmE0ELj4294967295EEENS1_25partition_config_selectorILNS1_17partition_subalgoE4EjNS0_10empty_typeEbEEZZNS1_14partition_implILS8_4ELb0ES6_15HIP_vector_typeIjLj2EENS0_17counting_iteratorIjlEEPS9_SG_NS0_5tupleIJPjSI_NS0_16reverse_iteratorISI_EEEEENSH_IJSG_SG_SG_EEES9_SI_JZNS1_25segmented_radix_sort_implINS0_14default_configELb1EPKlPlSQ_SR_N2at6native12_GLOBAL__N_18offset_tEEE10hipError_tPvRmT1_PNSt15iterator_traitsISZ_E10value_typeET2_T3_PNS10_IS15_E10value_typeET4_jRbjT5_S1B_jjP12ihipStream_tbEUljE_ZNSN_ISO_Lb1ESQ_SR_SQ_SR_SV_EESW_SX_SY_SZ_S13_S14_S15_S18_S19_jS1A_jS1B_S1B_jjS1D_bEUljE0_EEESW_SX_SY_S15_S19_S1B_T6_T7_T9_mT8_S1D_bDpT10_ENKUlT_T0_E_clISt17integral_constantIbLb1EES1R_EEDaS1M_S1N_EUlS1M_E_NS1_11comp_targetILNS1_3genE5ELNS1_11target_archE942ELNS1_3gpuE9ELNS1_3repE0EEENS1_30default_config_static_selectorELNS0_4arch9wavefront6targetE0EEEvSZ_.uses_vcc, 0
	.set _ZN7rocprim17ROCPRIM_400000_NS6detail17trampoline_kernelINS0_13select_configILj256ELj13ELNS0_17block_load_methodE3ELS4_3ELS4_3ELNS0_20block_scan_algorithmE0ELj4294967295EEENS1_25partition_config_selectorILNS1_17partition_subalgoE4EjNS0_10empty_typeEbEEZZNS1_14partition_implILS8_4ELb0ES6_15HIP_vector_typeIjLj2EENS0_17counting_iteratorIjlEEPS9_SG_NS0_5tupleIJPjSI_NS0_16reverse_iteratorISI_EEEEENSH_IJSG_SG_SG_EEES9_SI_JZNS1_25segmented_radix_sort_implINS0_14default_configELb1EPKlPlSQ_SR_N2at6native12_GLOBAL__N_18offset_tEEE10hipError_tPvRmT1_PNSt15iterator_traitsISZ_E10value_typeET2_T3_PNS10_IS15_E10value_typeET4_jRbjT5_S1B_jjP12ihipStream_tbEUljE_ZNSN_ISO_Lb1ESQ_SR_SQ_SR_SV_EESW_SX_SY_SZ_S13_S14_S15_S18_S19_jS1A_jS1B_S1B_jjS1D_bEUljE0_EEESW_SX_SY_S15_S19_S1B_T6_T7_T9_mT8_S1D_bDpT10_ENKUlT_T0_E_clISt17integral_constantIbLb1EES1R_EEDaS1M_S1N_EUlS1M_E_NS1_11comp_targetILNS1_3genE5ELNS1_11target_archE942ELNS1_3gpuE9ELNS1_3repE0EEENS1_30default_config_static_selectorELNS0_4arch9wavefront6targetE0EEEvSZ_.uses_flat_scratch, 0
	.set _ZN7rocprim17ROCPRIM_400000_NS6detail17trampoline_kernelINS0_13select_configILj256ELj13ELNS0_17block_load_methodE3ELS4_3ELS4_3ELNS0_20block_scan_algorithmE0ELj4294967295EEENS1_25partition_config_selectorILNS1_17partition_subalgoE4EjNS0_10empty_typeEbEEZZNS1_14partition_implILS8_4ELb0ES6_15HIP_vector_typeIjLj2EENS0_17counting_iteratorIjlEEPS9_SG_NS0_5tupleIJPjSI_NS0_16reverse_iteratorISI_EEEEENSH_IJSG_SG_SG_EEES9_SI_JZNS1_25segmented_radix_sort_implINS0_14default_configELb1EPKlPlSQ_SR_N2at6native12_GLOBAL__N_18offset_tEEE10hipError_tPvRmT1_PNSt15iterator_traitsISZ_E10value_typeET2_T3_PNS10_IS15_E10value_typeET4_jRbjT5_S1B_jjP12ihipStream_tbEUljE_ZNSN_ISO_Lb1ESQ_SR_SQ_SR_SV_EESW_SX_SY_SZ_S13_S14_S15_S18_S19_jS1A_jS1B_S1B_jjS1D_bEUljE0_EEESW_SX_SY_S15_S19_S1B_T6_T7_T9_mT8_S1D_bDpT10_ENKUlT_T0_E_clISt17integral_constantIbLb1EES1R_EEDaS1M_S1N_EUlS1M_E_NS1_11comp_targetILNS1_3genE5ELNS1_11target_archE942ELNS1_3gpuE9ELNS1_3repE0EEENS1_30default_config_static_selectorELNS0_4arch9wavefront6targetE0EEEvSZ_.has_dyn_sized_stack, 0
	.set _ZN7rocprim17ROCPRIM_400000_NS6detail17trampoline_kernelINS0_13select_configILj256ELj13ELNS0_17block_load_methodE3ELS4_3ELS4_3ELNS0_20block_scan_algorithmE0ELj4294967295EEENS1_25partition_config_selectorILNS1_17partition_subalgoE4EjNS0_10empty_typeEbEEZZNS1_14partition_implILS8_4ELb0ES6_15HIP_vector_typeIjLj2EENS0_17counting_iteratorIjlEEPS9_SG_NS0_5tupleIJPjSI_NS0_16reverse_iteratorISI_EEEEENSH_IJSG_SG_SG_EEES9_SI_JZNS1_25segmented_radix_sort_implINS0_14default_configELb1EPKlPlSQ_SR_N2at6native12_GLOBAL__N_18offset_tEEE10hipError_tPvRmT1_PNSt15iterator_traitsISZ_E10value_typeET2_T3_PNS10_IS15_E10value_typeET4_jRbjT5_S1B_jjP12ihipStream_tbEUljE_ZNSN_ISO_Lb1ESQ_SR_SQ_SR_SV_EESW_SX_SY_SZ_S13_S14_S15_S18_S19_jS1A_jS1B_S1B_jjS1D_bEUljE0_EEESW_SX_SY_S15_S19_S1B_T6_T7_T9_mT8_S1D_bDpT10_ENKUlT_T0_E_clISt17integral_constantIbLb1EES1R_EEDaS1M_S1N_EUlS1M_E_NS1_11comp_targetILNS1_3genE5ELNS1_11target_archE942ELNS1_3gpuE9ELNS1_3repE0EEENS1_30default_config_static_selectorELNS0_4arch9wavefront6targetE0EEEvSZ_.has_recursion, 0
	.set _ZN7rocprim17ROCPRIM_400000_NS6detail17trampoline_kernelINS0_13select_configILj256ELj13ELNS0_17block_load_methodE3ELS4_3ELS4_3ELNS0_20block_scan_algorithmE0ELj4294967295EEENS1_25partition_config_selectorILNS1_17partition_subalgoE4EjNS0_10empty_typeEbEEZZNS1_14partition_implILS8_4ELb0ES6_15HIP_vector_typeIjLj2EENS0_17counting_iteratorIjlEEPS9_SG_NS0_5tupleIJPjSI_NS0_16reverse_iteratorISI_EEEEENSH_IJSG_SG_SG_EEES9_SI_JZNS1_25segmented_radix_sort_implINS0_14default_configELb1EPKlPlSQ_SR_N2at6native12_GLOBAL__N_18offset_tEEE10hipError_tPvRmT1_PNSt15iterator_traitsISZ_E10value_typeET2_T3_PNS10_IS15_E10value_typeET4_jRbjT5_S1B_jjP12ihipStream_tbEUljE_ZNSN_ISO_Lb1ESQ_SR_SQ_SR_SV_EESW_SX_SY_SZ_S13_S14_S15_S18_S19_jS1A_jS1B_S1B_jjS1D_bEUljE0_EEESW_SX_SY_S15_S19_S1B_T6_T7_T9_mT8_S1D_bDpT10_ENKUlT_T0_E_clISt17integral_constantIbLb1EES1R_EEDaS1M_S1N_EUlS1M_E_NS1_11comp_targetILNS1_3genE5ELNS1_11target_archE942ELNS1_3gpuE9ELNS1_3repE0EEENS1_30default_config_static_selectorELNS0_4arch9wavefront6targetE0EEEvSZ_.has_indirect_call, 0
	.section	.AMDGPU.csdata,"",@progbits
; Kernel info:
; codeLenInByte = 0
; TotalNumSgprs: 0
; NumVgprs: 0
; ScratchSize: 0
; MemoryBound: 0
; FloatMode: 240
; IeeeMode: 1
; LDSByteSize: 0 bytes/workgroup (compile time only)
; SGPRBlocks: 0
; VGPRBlocks: 0
; NumSGPRsForWavesPerEU: 1
; NumVGPRsForWavesPerEU: 1
; Occupancy: 16
; WaveLimiterHint : 0
; COMPUTE_PGM_RSRC2:SCRATCH_EN: 0
; COMPUTE_PGM_RSRC2:USER_SGPR: 6
; COMPUTE_PGM_RSRC2:TRAP_HANDLER: 0
; COMPUTE_PGM_RSRC2:TGID_X_EN: 1
; COMPUTE_PGM_RSRC2:TGID_Y_EN: 0
; COMPUTE_PGM_RSRC2:TGID_Z_EN: 0
; COMPUTE_PGM_RSRC2:TIDIG_COMP_CNT: 0
	.section	.text._ZN7rocprim17ROCPRIM_400000_NS6detail17trampoline_kernelINS0_13select_configILj256ELj13ELNS0_17block_load_methodE3ELS4_3ELS4_3ELNS0_20block_scan_algorithmE0ELj4294967295EEENS1_25partition_config_selectorILNS1_17partition_subalgoE4EjNS0_10empty_typeEbEEZZNS1_14partition_implILS8_4ELb0ES6_15HIP_vector_typeIjLj2EENS0_17counting_iteratorIjlEEPS9_SG_NS0_5tupleIJPjSI_NS0_16reverse_iteratorISI_EEEEENSH_IJSG_SG_SG_EEES9_SI_JZNS1_25segmented_radix_sort_implINS0_14default_configELb1EPKlPlSQ_SR_N2at6native12_GLOBAL__N_18offset_tEEE10hipError_tPvRmT1_PNSt15iterator_traitsISZ_E10value_typeET2_T3_PNS10_IS15_E10value_typeET4_jRbjT5_S1B_jjP12ihipStream_tbEUljE_ZNSN_ISO_Lb1ESQ_SR_SQ_SR_SV_EESW_SX_SY_SZ_S13_S14_S15_S18_S19_jS1A_jS1B_S1B_jjS1D_bEUljE0_EEESW_SX_SY_S15_S19_S1B_T6_T7_T9_mT8_S1D_bDpT10_ENKUlT_T0_E_clISt17integral_constantIbLb1EES1R_EEDaS1M_S1N_EUlS1M_E_NS1_11comp_targetILNS1_3genE4ELNS1_11target_archE910ELNS1_3gpuE8ELNS1_3repE0EEENS1_30default_config_static_selectorELNS0_4arch9wavefront6targetE0EEEvSZ_,"axG",@progbits,_ZN7rocprim17ROCPRIM_400000_NS6detail17trampoline_kernelINS0_13select_configILj256ELj13ELNS0_17block_load_methodE3ELS4_3ELS4_3ELNS0_20block_scan_algorithmE0ELj4294967295EEENS1_25partition_config_selectorILNS1_17partition_subalgoE4EjNS0_10empty_typeEbEEZZNS1_14partition_implILS8_4ELb0ES6_15HIP_vector_typeIjLj2EENS0_17counting_iteratorIjlEEPS9_SG_NS0_5tupleIJPjSI_NS0_16reverse_iteratorISI_EEEEENSH_IJSG_SG_SG_EEES9_SI_JZNS1_25segmented_radix_sort_implINS0_14default_configELb1EPKlPlSQ_SR_N2at6native12_GLOBAL__N_18offset_tEEE10hipError_tPvRmT1_PNSt15iterator_traitsISZ_E10value_typeET2_T3_PNS10_IS15_E10value_typeET4_jRbjT5_S1B_jjP12ihipStream_tbEUljE_ZNSN_ISO_Lb1ESQ_SR_SQ_SR_SV_EESW_SX_SY_SZ_S13_S14_S15_S18_S19_jS1A_jS1B_S1B_jjS1D_bEUljE0_EEESW_SX_SY_S15_S19_S1B_T6_T7_T9_mT8_S1D_bDpT10_ENKUlT_T0_E_clISt17integral_constantIbLb1EES1R_EEDaS1M_S1N_EUlS1M_E_NS1_11comp_targetILNS1_3genE4ELNS1_11target_archE910ELNS1_3gpuE8ELNS1_3repE0EEENS1_30default_config_static_selectorELNS0_4arch9wavefront6targetE0EEEvSZ_,comdat
	.globl	_ZN7rocprim17ROCPRIM_400000_NS6detail17trampoline_kernelINS0_13select_configILj256ELj13ELNS0_17block_load_methodE3ELS4_3ELS4_3ELNS0_20block_scan_algorithmE0ELj4294967295EEENS1_25partition_config_selectorILNS1_17partition_subalgoE4EjNS0_10empty_typeEbEEZZNS1_14partition_implILS8_4ELb0ES6_15HIP_vector_typeIjLj2EENS0_17counting_iteratorIjlEEPS9_SG_NS0_5tupleIJPjSI_NS0_16reverse_iteratorISI_EEEEENSH_IJSG_SG_SG_EEES9_SI_JZNS1_25segmented_radix_sort_implINS0_14default_configELb1EPKlPlSQ_SR_N2at6native12_GLOBAL__N_18offset_tEEE10hipError_tPvRmT1_PNSt15iterator_traitsISZ_E10value_typeET2_T3_PNS10_IS15_E10value_typeET4_jRbjT5_S1B_jjP12ihipStream_tbEUljE_ZNSN_ISO_Lb1ESQ_SR_SQ_SR_SV_EESW_SX_SY_SZ_S13_S14_S15_S18_S19_jS1A_jS1B_S1B_jjS1D_bEUljE0_EEESW_SX_SY_S15_S19_S1B_T6_T7_T9_mT8_S1D_bDpT10_ENKUlT_T0_E_clISt17integral_constantIbLb1EES1R_EEDaS1M_S1N_EUlS1M_E_NS1_11comp_targetILNS1_3genE4ELNS1_11target_archE910ELNS1_3gpuE8ELNS1_3repE0EEENS1_30default_config_static_selectorELNS0_4arch9wavefront6targetE0EEEvSZ_ ; -- Begin function _ZN7rocprim17ROCPRIM_400000_NS6detail17trampoline_kernelINS0_13select_configILj256ELj13ELNS0_17block_load_methodE3ELS4_3ELS4_3ELNS0_20block_scan_algorithmE0ELj4294967295EEENS1_25partition_config_selectorILNS1_17partition_subalgoE4EjNS0_10empty_typeEbEEZZNS1_14partition_implILS8_4ELb0ES6_15HIP_vector_typeIjLj2EENS0_17counting_iteratorIjlEEPS9_SG_NS0_5tupleIJPjSI_NS0_16reverse_iteratorISI_EEEEENSH_IJSG_SG_SG_EEES9_SI_JZNS1_25segmented_radix_sort_implINS0_14default_configELb1EPKlPlSQ_SR_N2at6native12_GLOBAL__N_18offset_tEEE10hipError_tPvRmT1_PNSt15iterator_traitsISZ_E10value_typeET2_T3_PNS10_IS15_E10value_typeET4_jRbjT5_S1B_jjP12ihipStream_tbEUljE_ZNSN_ISO_Lb1ESQ_SR_SQ_SR_SV_EESW_SX_SY_SZ_S13_S14_S15_S18_S19_jS1A_jS1B_S1B_jjS1D_bEUljE0_EEESW_SX_SY_S15_S19_S1B_T6_T7_T9_mT8_S1D_bDpT10_ENKUlT_T0_E_clISt17integral_constantIbLb1EES1R_EEDaS1M_S1N_EUlS1M_E_NS1_11comp_targetILNS1_3genE4ELNS1_11target_archE910ELNS1_3gpuE8ELNS1_3repE0EEENS1_30default_config_static_selectorELNS0_4arch9wavefront6targetE0EEEvSZ_
	.p2align	8
	.type	_ZN7rocprim17ROCPRIM_400000_NS6detail17trampoline_kernelINS0_13select_configILj256ELj13ELNS0_17block_load_methodE3ELS4_3ELS4_3ELNS0_20block_scan_algorithmE0ELj4294967295EEENS1_25partition_config_selectorILNS1_17partition_subalgoE4EjNS0_10empty_typeEbEEZZNS1_14partition_implILS8_4ELb0ES6_15HIP_vector_typeIjLj2EENS0_17counting_iteratorIjlEEPS9_SG_NS0_5tupleIJPjSI_NS0_16reverse_iteratorISI_EEEEENSH_IJSG_SG_SG_EEES9_SI_JZNS1_25segmented_radix_sort_implINS0_14default_configELb1EPKlPlSQ_SR_N2at6native12_GLOBAL__N_18offset_tEEE10hipError_tPvRmT1_PNSt15iterator_traitsISZ_E10value_typeET2_T3_PNS10_IS15_E10value_typeET4_jRbjT5_S1B_jjP12ihipStream_tbEUljE_ZNSN_ISO_Lb1ESQ_SR_SQ_SR_SV_EESW_SX_SY_SZ_S13_S14_S15_S18_S19_jS1A_jS1B_S1B_jjS1D_bEUljE0_EEESW_SX_SY_S15_S19_S1B_T6_T7_T9_mT8_S1D_bDpT10_ENKUlT_T0_E_clISt17integral_constantIbLb1EES1R_EEDaS1M_S1N_EUlS1M_E_NS1_11comp_targetILNS1_3genE4ELNS1_11target_archE910ELNS1_3gpuE8ELNS1_3repE0EEENS1_30default_config_static_selectorELNS0_4arch9wavefront6targetE0EEEvSZ_,@function
_ZN7rocprim17ROCPRIM_400000_NS6detail17trampoline_kernelINS0_13select_configILj256ELj13ELNS0_17block_load_methodE3ELS4_3ELS4_3ELNS0_20block_scan_algorithmE0ELj4294967295EEENS1_25partition_config_selectorILNS1_17partition_subalgoE4EjNS0_10empty_typeEbEEZZNS1_14partition_implILS8_4ELb0ES6_15HIP_vector_typeIjLj2EENS0_17counting_iteratorIjlEEPS9_SG_NS0_5tupleIJPjSI_NS0_16reverse_iteratorISI_EEEEENSH_IJSG_SG_SG_EEES9_SI_JZNS1_25segmented_radix_sort_implINS0_14default_configELb1EPKlPlSQ_SR_N2at6native12_GLOBAL__N_18offset_tEEE10hipError_tPvRmT1_PNSt15iterator_traitsISZ_E10value_typeET2_T3_PNS10_IS15_E10value_typeET4_jRbjT5_S1B_jjP12ihipStream_tbEUljE_ZNSN_ISO_Lb1ESQ_SR_SQ_SR_SV_EESW_SX_SY_SZ_S13_S14_S15_S18_S19_jS1A_jS1B_S1B_jjS1D_bEUljE0_EEESW_SX_SY_S15_S19_S1B_T6_T7_T9_mT8_S1D_bDpT10_ENKUlT_T0_E_clISt17integral_constantIbLb1EES1R_EEDaS1M_S1N_EUlS1M_E_NS1_11comp_targetILNS1_3genE4ELNS1_11target_archE910ELNS1_3gpuE8ELNS1_3repE0EEENS1_30default_config_static_selectorELNS0_4arch9wavefront6targetE0EEEvSZ_: ; @_ZN7rocprim17ROCPRIM_400000_NS6detail17trampoline_kernelINS0_13select_configILj256ELj13ELNS0_17block_load_methodE3ELS4_3ELS4_3ELNS0_20block_scan_algorithmE0ELj4294967295EEENS1_25partition_config_selectorILNS1_17partition_subalgoE4EjNS0_10empty_typeEbEEZZNS1_14partition_implILS8_4ELb0ES6_15HIP_vector_typeIjLj2EENS0_17counting_iteratorIjlEEPS9_SG_NS0_5tupleIJPjSI_NS0_16reverse_iteratorISI_EEEEENSH_IJSG_SG_SG_EEES9_SI_JZNS1_25segmented_radix_sort_implINS0_14default_configELb1EPKlPlSQ_SR_N2at6native12_GLOBAL__N_18offset_tEEE10hipError_tPvRmT1_PNSt15iterator_traitsISZ_E10value_typeET2_T3_PNS10_IS15_E10value_typeET4_jRbjT5_S1B_jjP12ihipStream_tbEUljE_ZNSN_ISO_Lb1ESQ_SR_SQ_SR_SV_EESW_SX_SY_SZ_S13_S14_S15_S18_S19_jS1A_jS1B_S1B_jjS1D_bEUljE0_EEESW_SX_SY_S15_S19_S1B_T6_T7_T9_mT8_S1D_bDpT10_ENKUlT_T0_E_clISt17integral_constantIbLb1EES1R_EEDaS1M_S1N_EUlS1M_E_NS1_11comp_targetILNS1_3genE4ELNS1_11target_archE910ELNS1_3gpuE8ELNS1_3repE0EEENS1_30default_config_static_selectorELNS0_4arch9wavefront6targetE0EEEvSZ_
; %bb.0:
	.section	.rodata,"a",@progbits
	.p2align	6, 0x0
	.amdhsa_kernel _ZN7rocprim17ROCPRIM_400000_NS6detail17trampoline_kernelINS0_13select_configILj256ELj13ELNS0_17block_load_methodE3ELS4_3ELS4_3ELNS0_20block_scan_algorithmE0ELj4294967295EEENS1_25partition_config_selectorILNS1_17partition_subalgoE4EjNS0_10empty_typeEbEEZZNS1_14partition_implILS8_4ELb0ES6_15HIP_vector_typeIjLj2EENS0_17counting_iteratorIjlEEPS9_SG_NS0_5tupleIJPjSI_NS0_16reverse_iteratorISI_EEEEENSH_IJSG_SG_SG_EEES9_SI_JZNS1_25segmented_radix_sort_implINS0_14default_configELb1EPKlPlSQ_SR_N2at6native12_GLOBAL__N_18offset_tEEE10hipError_tPvRmT1_PNSt15iterator_traitsISZ_E10value_typeET2_T3_PNS10_IS15_E10value_typeET4_jRbjT5_S1B_jjP12ihipStream_tbEUljE_ZNSN_ISO_Lb1ESQ_SR_SQ_SR_SV_EESW_SX_SY_SZ_S13_S14_S15_S18_S19_jS1A_jS1B_S1B_jjS1D_bEUljE0_EEESW_SX_SY_S15_S19_S1B_T6_T7_T9_mT8_S1D_bDpT10_ENKUlT_T0_E_clISt17integral_constantIbLb1EES1R_EEDaS1M_S1N_EUlS1M_E_NS1_11comp_targetILNS1_3genE4ELNS1_11target_archE910ELNS1_3gpuE8ELNS1_3repE0EEENS1_30default_config_static_selectorELNS0_4arch9wavefront6targetE0EEEvSZ_
		.amdhsa_group_segment_fixed_size 0
		.amdhsa_private_segment_fixed_size 0
		.amdhsa_kernarg_size 184
		.amdhsa_user_sgpr_count 6
		.amdhsa_user_sgpr_private_segment_buffer 1
		.amdhsa_user_sgpr_dispatch_ptr 0
		.amdhsa_user_sgpr_queue_ptr 0
		.amdhsa_user_sgpr_kernarg_segment_ptr 1
		.amdhsa_user_sgpr_dispatch_id 0
		.amdhsa_user_sgpr_flat_scratch_init 0
		.amdhsa_user_sgpr_private_segment_size 0
		.amdhsa_wavefront_size32 1
		.amdhsa_uses_dynamic_stack 0
		.amdhsa_system_sgpr_private_segment_wavefront_offset 0
		.amdhsa_system_sgpr_workgroup_id_x 1
		.amdhsa_system_sgpr_workgroup_id_y 0
		.amdhsa_system_sgpr_workgroup_id_z 0
		.amdhsa_system_sgpr_workgroup_info 0
		.amdhsa_system_vgpr_workitem_id 0
		.amdhsa_next_free_vgpr 1
		.amdhsa_next_free_sgpr 1
		.amdhsa_reserve_vcc 0
		.amdhsa_reserve_flat_scratch 0
		.amdhsa_float_round_mode_32 0
		.amdhsa_float_round_mode_16_64 0
		.amdhsa_float_denorm_mode_32 3
		.amdhsa_float_denorm_mode_16_64 3
		.amdhsa_dx10_clamp 1
		.amdhsa_ieee_mode 1
		.amdhsa_fp16_overflow 0
		.amdhsa_workgroup_processor_mode 1
		.amdhsa_memory_ordered 1
		.amdhsa_forward_progress 1
		.amdhsa_shared_vgpr_count 0
		.amdhsa_exception_fp_ieee_invalid_op 0
		.amdhsa_exception_fp_denorm_src 0
		.amdhsa_exception_fp_ieee_div_zero 0
		.amdhsa_exception_fp_ieee_overflow 0
		.amdhsa_exception_fp_ieee_underflow 0
		.amdhsa_exception_fp_ieee_inexact 0
		.amdhsa_exception_int_div_zero 0
	.end_amdhsa_kernel
	.section	.text._ZN7rocprim17ROCPRIM_400000_NS6detail17trampoline_kernelINS0_13select_configILj256ELj13ELNS0_17block_load_methodE3ELS4_3ELS4_3ELNS0_20block_scan_algorithmE0ELj4294967295EEENS1_25partition_config_selectorILNS1_17partition_subalgoE4EjNS0_10empty_typeEbEEZZNS1_14partition_implILS8_4ELb0ES6_15HIP_vector_typeIjLj2EENS0_17counting_iteratorIjlEEPS9_SG_NS0_5tupleIJPjSI_NS0_16reverse_iteratorISI_EEEEENSH_IJSG_SG_SG_EEES9_SI_JZNS1_25segmented_radix_sort_implINS0_14default_configELb1EPKlPlSQ_SR_N2at6native12_GLOBAL__N_18offset_tEEE10hipError_tPvRmT1_PNSt15iterator_traitsISZ_E10value_typeET2_T3_PNS10_IS15_E10value_typeET4_jRbjT5_S1B_jjP12ihipStream_tbEUljE_ZNSN_ISO_Lb1ESQ_SR_SQ_SR_SV_EESW_SX_SY_SZ_S13_S14_S15_S18_S19_jS1A_jS1B_S1B_jjS1D_bEUljE0_EEESW_SX_SY_S15_S19_S1B_T6_T7_T9_mT8_S1D_bDpT10_ENKUlT_T0_E_clISt17integral_constantIbLb1EES1R_EEDaS1M_S1N_EUlS1M_E_NS1_11comp_targetILNS1_3genE4ELNS1_11target_archE910ELNS1_3gpuE8ELNS1_3repE0EEENS1_30default_config_static_selectorELNS0_4arch9wavefront6targetE0EEEvSZ_,"axG",@progbits,_ZN7rocprim17ROCPRIM_400000_NS6detail17trampoline_kernelINS0_13select_configILj256ELj13ELNS0_17block_load_methodE3ELS4_3ELS4_3ELNS0_20block_scan_algorithmE0ELj4294967295EEENS1_25partition_config_selectorILNS1_17partition_subalgoE4EjNS0_10empty_typeEbEEZZNS1_14partition_implILS8_4ELb0ES6_15HIP_vector_typeIjLj2EENS0_17counting_iteratorIjlEEPS9_SG_NS0_5tupleIJPjSI_NS0_16reverse_iteratorISI_EEEEENSH_IJSG_SG_SG_EEES9_SI_JZNS1_25segmented_radix_sort_implINS0_14default_configELb1EPKlPlSQ_SR_N2at6native12_GLOBAL__N_18offset_tEEE10hipError_tPvRmT1_PNSt15iterator_traitsISZ_E10value_typeET2_T3_PNS10_IS15_E10value_typeET4_jRbjT5_S1B_jjP12ihipStream_tbEUljE_ZNSN_ISO_Lb1ESQ_SR_SQ_SR_SV_EESW_SX_SY_SZ_S13_S14_S15_S18_S19_jS1A_jS1B_S1B_jjS1D_bEUljE0_EEESW_SX_SY_S15_S19_S1B_T6_T7_T9_mT8_S1D_bDpT10_ENKUlT_T0_E_clISt17integral_constantIbLb1EES1R_EEDaS1M_S1N_EUlS1M_E_NS1_11comp_targetILNS1_3genE4ELNS1_11target_archE910ELNS1_3gpuE8ELNS1_3repE0EEENS1_30default_config_static_selectorELNS0_4arch9wavefront6targetE0EEEvSZ_,comdat
.Lfunc_end644:
	.size	_ZN7rocprim17ROCPRIM_400000_NS6detail17trampoline_kernelINS0_13select_configILj256ELj13ELNS0_17block_load_methodE3ELS4_3ELS4_3ELNS0_20block_scan_algorithmE0ELj4294967295EEENS1_25partition_config_selectorILNS1_17partition_subalgoE4EjNS0_10empty_typeEbEEZZNS1_14partition_implILS8_4ELb0ES6_15HIP_vector_typeIjLj2EENS0_17counting_iteratorIjlEEPS9_SG_NS0_5tupleIJPjSI_NS0_16reverse_iteratorISI_EEEEENSH_IJSG_SG_SG_EEES9_SI_JZNS1_25segmented_radix_sort_implINS0_14default_configELb1EPKlPlSQ_SR_N2at6native12_GLOBAL__N_18offset_tEEE10hipError_tPvRmT1_PNSt15iterator_traitsISZ_E10value_typeET2_T3_PNS10_IS15_E10value_typeET4_jRbjT5_S1B_jjP12ihipStream_tbEUljE_ZNSN_ISO_Lb1ESQ_SR_SQ_SR_SV_EESW_SX_SY_SZ_S13_S14_S15_S18_S19_jS1A_jS1B_S1B_jjS1D_bEUljE0_EEESW_SX_SY_S15_S19_S1B_T6_T7_T9_mT8_S1D_bDpT10_ENKUlT_T0_E_clISt17integral_constantIbLb1EES1R_EEDaS1M_S1N_EUlS1M_E_NS1_11comp_targetILNS1_3genE4ELNS1_11target_archE910ELNS1_3gpuE8ELNS1_3repE0EEENS1_30default_config_static_selectorELNS0_4arch9wavefront6targetE0EEEvSZ_, .Lfunc_end644-_ZN7rocprim17ROCPRIM_400000_NS6detail17trampoline_kernelINS0_13select_configILj256ELj13ELNS0_17block_load_methodE3ELS4_3ELS4_3ELNS0_20block_scan_algorithmE0ELj4294967295EEENS1_25partition_config_selectorILNS1_17partition_subalgoE4EjNS0_10empty_typeEbEEZZNS1_14partition_implILS8_4ELb0ES6_15HIP_vector_typeIjLj2EENS0_17counting_iteratorIjlEEPS9_SG_NS0_5tupleIJPjSI_NS0_16reverse_iteratorISI_EEEEENSH_IJSG_SG_SG_EEES9_SI_JZNS1_25segmented_radix_sort_implINS0_14default_configELb1EPKlPlSQ_SR_N2at6native12_GLOBAL__N_18offset_tEEE10hipError_tPvRmT1_PNSt15iterator_traitsISZ_E10value_typeET2_T3_PNS10_IS15_E10value_typeET4_jRbjT5_S1B_jjP12ihipStream_tbEUljE_ZNSN_ISO_Lb1ESQ_SR_SQ_SR_SV_EESW_SX_SY_SZ_S13_S14_S15_S18_S19_jS1A_jS1B_S1B_jjS1D_bEUljE0_EEESW_SX_SY_S15_S19_S1B_T6_T7_T9_mT8_S1D_bDpT10_ENKUlT_T0_E_clISt17integral_constantIbLb1EES1R_EEDaS1M_S1N_EUlS1M_E_NS1_11comp_targetILNS1_3genE4ELNS1_11target_archE910ELNS1_3gpuE8ELNS1_3repE0EEENS1_30default_config_static_selectorELNS0_4arch9wavefront6targetE0EEEvSZ_
                                        ; -- End function
	.set _ZN7rocprim17ROCPRIM_400000_NS6detail17trampoline_kernelINS0_13select_configILj256ELj13ELNS0_17block_load_methodE3ELS4_3ELS4_3ELNS0_20block_scan_algorithmE0ELj4294967295EEENS1_25partition_config_selectorILNS1_17partition_subalgoE4EjNS0_10empty_typeEbEEZZNS1_14partition_implILS8_4ELb0ES6_15HIP_vector_typeIjLj2EENS0_17counting_iteratorIjlEEPS9_SG_NS0_5tupleIJPjSI_NS0_16reverse_iteratorISI_EEEEENSH_IJSG_SG_SG_EEES9_SI_JZNS1_25segmented_radix_sort_implINS0_14default_configELb1EPKlPlSQ_SR_N2at6native12_GLOBAL__N_18offset_tEEE10hipError_tPvRmT1_PNSt15iterator_traitsISZ_E10value_typeET2_T3_PNS10_IS15_E10value_typeET4_jRbjT5_S1B_jjP12ihipStream_tbEUljE_ZNSN_ISO_Lb1ESQ_SR_SQ_SR_SV_EESW_SX_SY_SZ_S13_S14_S15_S18_S19_jS1A_jS1B_S1B_jjS1D_bEUljE0_EEESW_SX_SY_S15_S19_S1B_T6_T7_T9_mT8_S1D_bDpT10_ENKUlT_T0_E_clISt17integral_constantIbLb1EES1R_EEDaS1M_S1N_EUlS1M_E_NS1_11comp_targetILNS1_3genE4ELNS1_11target_archE910ELNS1_3gpuE8ELNS1_3repE0EEENS1_30default_config_static_selectorELNS0_4arch9wavefront6targetE0EEEvSZ_.num_vgpr, 0
	.set _ZN7rocprim17ROCPRIM_400000_NS6detail17trampoline_kernelINS0_13select_configILj256ELj13ELNS0_17block_load_methodE3ELS4_3ELS4_3ELNS0_20block_scan_algorithmE0ELj4294967295EEENS1_25partition_config_selectorILNS1_17partition_subalgoE4EjNS0_10empty_typeEbEEZZNS1_14partition_implILS8_4ELb0ES6_15HIP_vector_typeIjLj2EENS0_17counting_iteratorIjlEEPS9_SG_NS0_5tupleIJPjSI_NS0_16reverse_iteratorISI_EEEEENSH_IJSG_SG_SG_EEES9_SI_JZNS1_25segmented_radix_sort_implINS0_14default_configELb1EPKlPlSQ_SR_N2at6native12_GLOBAL__N_18offset_tEEE10hipError_tPvRmT1_PNSt15iterator_traitsISZ_E10value_typeET2_T3_PNS10_IS15_E10value_typeET4_jRbjT5_S1B_jjP12ihipStream_tbEUljE_ZNSN_ISO_Lb1ESQ_SR_SQ_SR_SV_EESW_SX_SY_SZ_S13_S14_S15_S18_S19_jS1A_jS1B_S1B_jjS1D_bEUljE0_EEESW_SX_SY_S15_S19_S1B_T6_T7_T9_mT8_S1D_bDpT10_ENKUlT_T0_E_clISt17integral_constantIbLb1EES1R_EEDaS1M_S1N_EUlS1M_E_NS1_11comp_targetILNS1_3genE4ELNS1_11target_archE910ELNS1_3gpuE8ELNS1_3repE0EEENS1_30default_config_static_selectorELNS0_4arch9wavefront6targetE0EEEvSZ_.num_agpr, 0
	.set _ZN7rocprim17ROCPRIM_400000_NS6detail17trampoline_kernelINS0_13select_configILj256ELj13ELNS0_17block_load_methodE3ELS4_3ELS4_3ELNS0_20block_scan_algorithmE0ELj4294967295EEENS1_25partition_config_selectorILNS1_17partition_subalgoE4EjNS0_10empty_typeEbEEZZNS1_14partition_implILS8_4ELb0ES6_15HIP_vector_typeIjLj2EENS0_17counting_iteratorIjlEEPS9_SG_NS0_5tupleIJPjSI_NS0_16reverse_iteratorISI_EEEEENSH_IJSG_SG_SG_EEES9_SI_JZNS1_25segmented_radix_sort_implINS0_14default_configELb1EPKlPlSQ_SR_N2at6native12_GLOBAL__N_18offset_tEEE10hipError_tPvRmT1_PNSt15iterator_traitsISZ_E10value_typeET2_T3_PNS10_IS15_E10value_typeET4_jRbjT5_S1B_jjP12ihipStream_tbEUljE_ZNSN_ISO_Lb1ESQ_SR_SQ_SR_SV_EESW_SX_SY_SZ_S13_S14_S15_S18_S19_jS1A_jS1B_S1B_jjS1D_bEUljE0_EEESW_SX_SY_S15_S19_S1B_T6_T7_T9_mT8_S1D_bDpT10_ENKUlT_T0_E_clISt17integral_constantIbLb1EES1R_EEDaS1M_S1N_EUlS1M_E_NS1_11comp_targetILNS1_3genE4ELNS1_11target_archE910ELNS1_3gpuE8ELNS1_3repE0EEENS1_30default_config_static_selectorELNS0_4arch9wavefront6targetE0EEEvSZ_.numbered_sgpr, 0
	.set _ZN7rocprim17ROCPRIM_400000_NS6detail17trampoline_kernelINS0_13select_configILj256ELj13ELNS0_17block_load_methodE3ELS4_3ELS4_3ELNS0_20block_scan_algorithmE0ELj4294967295EEENS1_25partition_config_selectorILNS1_17partition_subalgoE4EjNS0_10empty_typeEbEEZZNS1_14partition_implILS8_4ELb0ES6_15HIP_vector_typeIjLj2EENS0_17counting_iteratorIjlEEPS9_SG_NS0_5tupleIJPjSI_NS0_16reverse_iteratorISI_EEEEENSH_IJSG_SG_SG_EEES9_SI_JZNS1_25segmented_radix_sort_implINS0_14default_configELb1EPKlPlSQ_SR_N2at6native12_GLOBAL__N_18offset_tEEE10hipError_tPvRmT1_PNSt15iterator_traitsISZ_E10value_typeET2_T3_PNS10_IS15_E10value_typeET4_jRbjT5_S1B_jjP12ihipStream_tbEUljE_ZNSN_ISO_Lb1ESQ_SR_SQ_SR_SV_EESW_SX_SY_SZ_S13_S14_S15_S18_S19_jS1A_jS1B_S1B_jjS1D_bEUljE0_EEESW_SX_SY_S15_S19_S1B_T6_T7_T9_mT8_S1D_bDpT10_ENKUlT_T0_E_clISt17integral_constantIbLb1EES1R_EEDaS1M_S1N_EUlS1M_E_NS1_11comp_targetILNS1_3genE4ELNS1_11target_archE910ELNS1_3gpuE8ELNS1_3repE0EEENS1_30default_config_static_selectorELNS0_4arch9wavefront6targetE0EEEvSZ_.num_named_barrier, 0
	.set _ZN7rocprim17ROCPRIM_400000_NS6detail17trampoline_kernelINS0_13select_configILj256ELj13ELNS0_17block_load_methodE3ELS4_3ELS4_3ELNS0_20block_scan_algorithmE0ELj4294967295EEENS1_25partition_config_selectorILNS1_17partition_subalgoE4EjNS0_10empty_typeEbEEZZNS1_14partition_implILS8_4ELb0ES6_15HIP_vector_typeIjLj2EENS0_17counting_iteratorIjlEEPS9_SG_NS0_5tupleIJPjSI_NS0_16reverse_iteratorISI_EEEEENSH_IJSG_SG_SG_EEES9_SI_JZNS1_25segmented_radix_sort_implINS0_14default_configELb1EPKlPlSQ_SR_N2at6native12_GLOBAL__N_18offset_tEEE10hipError_tPvRmT1_PNSt15iterator_traitsISZ_E10value_typeET2_T3_PNS10_IS15_E10value_typeET4_jRbjT5_S1B_jjP12ihipStream_tbEUljE_ZNSN_ISO_Lb1ESQ_SR_SQ_SR_SV_EESW_SX_SY_SZ_S13_S14_S15_S18_S19_jS1A_jS1B_S1B_jjS1D_bEUljE0_EEESW_SX_SY_S15_S19_S1B_T6_T7_T9_mT8_S1D_bDpT10_ENKUlT_T0_E_clISt17integral_constantIbLb1EES1R_EEDaS1M_S1N_EUlS1M_E_NS1_11comp_targetILNS1_3genE4ELNS1_11target_archE910ELNS1_3gpuE8ELNS1_3repE0EEENS1_30default_config_static_selectorELNS0_4arch9wavefront6targetE0EEEvSZ_.private_seg_size, 0
	.set _ZN7rocprim17ROCPRIM_400000_NS6detail17trampoline_kernelINS0_13select_configILj256ELj13ELNS0_17block_load_methodE3ELS4_3ELS4_3ELNS0_20block_scan_algorithmE0ELj4294967295EEENS1_25partition_config_selectorILNS1_17partition_subalgoE4EjNS0_10empty_typeEbEEZZNS1_14partition_implILS8_4ELb0ES6_15HIP_vector_typeIjLj2EENS0_17counting_iteratorIjlEEPS9_SG_NS0_5tupleIJPjSI_NS0_16reverse_iteratorISI_EEEEENSH_IJSG_SG_SG_EEES9_SI_JZNS1_25segmented_radix_sort_implINS0_14default_configELb1EPKlPlSQ_SR_N2at6native12_GLOBAL__N_18offset_tEEE10hipError_tPvRmT1_PNSt15iterator_traitsISZ_E10value_typeET2_T3_PNS10_IS15_E10value_typeET4_jRbjT5_S1B_jjP12ihipStream_tbEUljE_ZNSN_ISO_Lb1ESQ_SR_SQ_SR_SV_EESW_SX_SY_SZ_S13_S14_S15_S18_S19_jS1A_jS1B_S1B_jjS1D_bEUljE0_EEESW_SX_SY_S15_S19_S1B_T6_T7_T9_mT8_S1D_bDpT10_ENKUlT_T0_E_clISt17integral_constantIbLb1EES1R_EEDaS1M_S1N_EUlS1M_E_NS1_11comp_targetILNS1_3genE4ELNS1_11target_archE910ELNS1_3gpuE8ELNS1_3repE0EEENS1_30default_config_static_selectorELNS0_4arch9wavefront6targetE0EEEvSZ_.uses_vcc, 0
	.set _ZN7rocprim17ROCPRIM_400000_NS6detail17trampoline_kernelINS0_13select_configILj256ELj13ELNS0_17block_load_methodE3ELS4_3ELS4_3ELNS0_20block_scan_algorithmE0ELj4294967295EEENS1_25partition_config_selectorILNS1_17partition_subalgoE4EjNS0_10empty_typeEbEEZZNS1_14partition_implILS8_4ELb0ES6_15HIP_vector_typeIjLj2EENS0_17counting_iteratorIjlEEPS9_SG_NS0_5tupleIJPjSI_NS0_16reverse_iteratorISI_EEEEENSH_IJSG_SG_SG_EEES9_SI_JZNS1_25segmented_radix_sort_implINS0_14default_configELb1EPKlPlSQ_SR_N2at6native12_GLOBAL__N_18offset_tEEE10hipError_tPvRmT1_PNSt15iterator_traitsISZ_E10value_typeET2_T3_PNS10_IS15_E10value_typeET4_jRbjT5_S1B_jjP12ihipStream_tbEUljE_ZNSN_ISO_Lb1ESQ_SR_SQ_SR_SV_EESW_SX_SY_SZ_S13_S14_S15_S18_S19_jS1A_jS1B_S1B_jjS1D_bEUljE0_EEESW_SX_SY_S15_S19_S1B_T6_T7_T9_mT8_S1D_bDpT10_ENKUlT_T0_E_clISt17integral_constantIbLb1EES1R_EEDaS1M_S1N_EUlS1M_E_NS1_11comp_targetILNS1_3genE4ELNS1_11target_archE910ELNS1_3gpuE8ELNS1_3repE0EEENS1_30default_config_static_selectorELNS0_4arch9wavefront6targetE0EEEvSZ_.uses_flat_scratch, 0
	.set _ZN7rocprim17ROCPRIM_400000_NS6detail17trampoline_kernelINS0_13select_configILj256ELj13ELNS0_17block_load_methodE3ELS4_3ELS4_3ELNS0_20block_scan_algorithmE0ELj4294967295EEENS1_25partition_config_selectorILNS1_17partition_subalgoE4EjNS0_10empty_typeEbEEZZNS1_14partition_implILS8_4ELb0ES6_15HIP_vector_typeIjLj2EENS0_17counting_iteratorIjlEEPS9_SG_NS0_5tupleIJPjSI_NS0_16reverse_iteratorISI_EEEEENSH_IJSG_SG_SG_EEES9_SI_JZNS1_25segmented_radix_sort_implINS0_14default_configELb1EPKlPlSQ_SR_N2at6native12_GLOBAL__N_18offset_tEEE10hipError_tPvRmT1_PNSt15iterator_traitsISZ_E10value_typeET2_T3_PNS10_IS15_E10value_typeET4_jRbjT5_S1B_jjP12ihipStream_tbEUljE_ZNSN_ISO_Lb1ESQ_SR_SQ_SR_SV_EESW_SX_SY_SZ_S13_S14_S15_S18_S19_jS1A_jS1B_S1B_jjS1D_bEUljE0_EEESW_SX_SY_S15_S19_S1B_T6_T7_T9_mT8_S1D_bDpT10_ENKUlT_T0_E_clISt17integral_constantIbLb1EES1R_EEDaS1M_S1N_EUlS1M_E_NS1_11comp_targetILNS1_3genE4ELNS1_11target_archE910ELNS1_3gpuE8ELNS1_3repE0EEENS1_30default_config_static_selectorELNS0_4arch9wavefront6targetE0EEEvSZ_.has_dyn_sized_stack, 0
	.set _ZN7rocprim17ROCPRIM_400000_NS6detail17trampoline_kernelINS0_13select_configILj256ELj13ELNS0_17block_load_methodE3ELS4_3ELS4_3ELNS0_20block_scan_algorithmE0ELj4294967295EEENS1_25partition_config_selectorILNS1_17partition_subalgoE4EjNS0_10empty_typeEbEEZZNS1_14partition_implILS8_4ELb0ES6_15HIP_vector_typeIjLj2EENS0_17counting_iteratorIjlEEPS9_SG_NS0_5tupleIJPjSI_NS0_16reverse_iteratorISI_EEEEENSH_IJSG_SG_SG_EEES9_SI_JZNS1_25segmented_radix_sort_implINS0_14default_configELb1EPKlPlSQ_SR_N2at6native12_GLOBAL__N_18offset_tEEE10hipError_tPvRmT1_PNSt15iterator_traitsISZ_E10value_typeET2_T3_PNS10_IS15_E10value_typeET4_jRbjT5_S1B_jjP12ihipStream_tbEUljE_ZNSN_ISO_Lb1ESQ_SR_SQ_SR_SV_EESW_SX_SY_SZ_S13_S14_S15_S18_S19_jS1A_jS1B_S1B_jjS1D_bEUljE0_EEESW_SX_SY_S15_S19_S1B_T6_T7_T9_mT8_S1D_bDpT10_ENKUlT_T0_E_clISt17integral_constantIbLb1EES1R_EEDaS1M_S1N_EUlS1M_E_NS1_11comp_targetILNS1_3genE4ELNS1_11target_archE910ELNS1_3gpuE8ELNS1_3repE0EEENS1_30default_config_static_selectorELNS0_4arch9wavefront6targetE0EEEvSZ_.has_recursion, 0
	.set _ZN7rocprim17ROCPRIM_400000_NS6detail17trampoline_kernelINS0_13select_configILj256ELj13ELNS0_17block_load_methodE3ELS4_3ELS4_3ELNS0_20block_scan_algorithmE0ELj4294967295EEENS1_25partition_config_selectorILNS1_17partition_subalgoE4EjNS0_10empty_typeEbEEZZNS1_14partition_implILS8_4ELb0ES6_15HIP_vector_typeIjLj2EENS0_17counting_iteratorIjlEEPS9_SG_NS0_5tupleIJPjSI_NS0_16reverse_iteratorISI_EEEEENSH_IJSG_SG_SG_EEES9_SI_JZNS1_25segmented_radix_sort_implINS0_14default_configELb1EPKlPlSQ_SR_N2at6native12_GLOBAL__N_18offset_tEEE10hipError_tPvRmT1_PNSt15iterator_traitsISZ_E10value_typeET2_T3_PNS10_IS15_E10value_typeET4_jRbjT5_S1B_jjP12ihipStream_tbEUljE_ZNSN_ISO_Lb1ESQ_SR_SQ_SR_SV_EESW_SX_SY_SZ_S13_S14_S15_S18_S19_jS1A_jS1B_S1B_jjS1D_bEUljE0_EEESW_SX_SY_S15_S19_S1B_T6_T7_T9_mT8_S1D_bDpT10_ENKUlT_T0_E_clISt17integral_constantIbLb1EES1R_EEDaS1M_S1N_EUlS1M_E_NS1_11comp_targetILNS1_3genE4ELNS1_11target_archE910ELNS1_3gpuE8ELNS1_3repE0EEENS1_30default_config_static_selectorELNS0_4arch9wavefront6targetE0EEEvSZ_.has_indirect_call, 0
	.section	.AMDGPU.csdata,"",@progbits
; Kernel info:
; codeLenInByte = 0
; TotalNumSgprs: 0
; NumVgprs: 0
; ScratchSize: 0
; MemoryBound: 0
; FloatMode: 240
; IeeeMode: 1
; LDSByteSize: 0 bytes/workgroup (compile time only)
; SGPRBlocks: 0
; VGPRBlocks: 0
; NumSGPRsForWavesPerEU: 1
; NumVGPRsForWavesPerEU: 1
; Occupancy: 16
; WaveLimiterHint : 0
; COMPUTE_PGM_RSRC2:SCRATCH_EN: 0
; COMPUTE_PGM_RSRC2:USER_SGPR: 6
; COMPUTE_PGM_RSRC2:TRAP_HANDLER: 0
; COMPUTE_PGM_RSRC2:TGID_X_EN: 1
; COMPUTE_PGM_RSRC2:TGID_Y_EN: 0
; COMPUTE_PGM_RSRC2:TGID_Z_EN: 0
; COMPUTE_PGM_RSRC2:TIDIG_COMP_CNT: 0
	.section	.text._ZN7rocprim17ROCPRIM_400000_NS6detail17trampoline_kernelINS0_13select_configILj256ELj13ELNS0_17block_load_methodE3ELS4_3ELS4_3ELNS0_20block_scan_algorithmE0ELj4294967295EEENS1_25partition_config_selectorILNS1_17partition_subalgoE4EjNS0_10empty_typeEbEEZZNS1_14partition_implILS8_4ELb0ES6_15HIP_vector_typeIjLj2EENS0_17counting_iteratorIjlEEPS9_SG_NS0_5tupleIJPjSI_NS0_16reverse_iteratorISI_EEEEENSH_IJSG_SG_SG_EEES9_SI_JZNS1_25segmented_radix_sort_implINS0_14default_configELb1EPKlPlSQ_SR_N2at6native12_GLOBAL__N_18offset_tEEE10hipError_tPvRmT1_PNSt15iterator_traitsISZ_E10value_typeET2_T3_PNS10_IS15_E10value_typeET4_jRbjT5_S1B_jjP12ihipStream_tbEUljE_ZNSN_ISO_Lb1ESQ_SR_SQ_SR_SV_EESW_SX_SY_SZ_S13_S14_S15_S18_S19_jS1A_jS1B_S1B_jjS1D_bEUljE0_EEESW_SX_SY_S15_S19_S1B_T6_T7_T9_mT8_S1D_bDpT10_ENKUlT_T0_E_clISt17integral_constantIbLb1EES1R_EEDaS1M_S1N_EUlS1M_E_NS1_11comp_targetILNS1_3genE3ELNS1_11target_archE908ELNS1_3gpuE7ELNS1_3repE0EEENS1_30default_config_static_selectorELNS0_4arch9wavefront6targetE0EEEvSZ_,"axG",@progbits,_ZN7rocprim17ROCPRIM_400000_NS6detail17trampoline_kernelINS0_13select_configILj256ELj13ELNS0_17block_load_methodE3ELS4_3ELS4_3ELNS0_20block_scan_algorithmE0ELj4294967295EEENS1_25partition_config_selectorILNS1_17partition_subalgoE4EjNS0_10empty_typeEbEEZZNS1_14partition_implILS8_4ELb0ES6_15HIP_vector_typeIjLj2EENS0_17counting_iteratorIjlEEPS9_SG_NS0_5tupleIJPjSI_NS0_16reverse_iteratorISI_EEEEENSH_IJSG_SG_SG_EEES9_SI_JZNS1_25segmented_radix_sort_implINS0_14default_configELb1EPKlPlSQ_SR_N2at6native12_GLOBAL__N_18offset_tEEE10hipError_tPvRmT1_PNSt15iterator_traitsISZ_E10value_typeET2_T3_PNS10_IS15_E10value_typeET4_jRbjT5_S1B_jjP12ihipStream_tbEUljE_ZNSN_ISO_Lb1ESQ_SR_SQ_SR_SV_EESW_SX_SY_SZ_S13_S14_S15_S18_S19_jS1A_jS1B_S1B_jjS1D_bEUljE0_EEESW_SX_SY_S15_S19_S1B_T6_T7_T9_mT8_S1D_bDpT10_ENKUlT_T0_E_clISt17integral_constantIbLb1EES1R_EEDaS1M_S1N_EUlS1M_E_NS1_11comp_targetILNS1_3genE3ELNS1_11target_archE908ELNS1_3gpuE7ELNS1_3repE0EEENS1_30default_config_static_selectorELNS0_4arch9wavefront6targetE0EEEvSZ_,comdat
	.globl	_ZN7rocprim17ROCPRIM_400000_NS6detail17trampoline_kernelINS0_13select_configILj256ELj13ELNS0_17block_load_methodE3ELS4_3ELS4_3ELNS0_20block_scan_algorithmE0ELj4294967295EEENS1_25partition_config_selectorILNS1_17partition_subalgoE4EjNS0_10empty_typeEbEEZZNS1_14partition_implILS8_4ELb0ES6_15HIP_vector_typeIjLj2EENS0_17counting_iteratorIjlEEPS9_SG_NS0_5tupleIJPjSI_NS0_16reverse_iteratorISI_EEEEENSH_IJSG_SG_SG_EEES9_SI_JZNS1_25segmented_radix_sort_implINS0_14default_configELb1EPKlPlSQ_SR_N2at6native12_GLOBAL__N_18offset_tEEE10hipError_tPvRmT1_PNSt15iterator_traitsISZ_E10value_typeET2_T3_PNS10_IS15_E10value_typeET4_jRbjT5_S1B_jjP12ihipStream_tbEUljE_ZNSN_ISO_Lb1ESQ_SR_SQ_SR_SV_EESW_SX_SY_SZ_S13_S14_S15_S18_S19_jS1A_jS1B_S1B_jjS1D_bEUljE0_EEESW_SX_SY_S15_S19_S1B_T6_T7_T9_mT8_S1D_bDpT10_ENKUlT_T0_E_clISt17integral_constantIbLb1EES1R_EEDaS1M_S1N_EUlS1M_E_NS1_11comp_targetILNS1_3genE3ELNS1_11target_archE908ELNS1_3gpuE7ELNS1_3repE0EEENS1_30default_config_static_selectorELNS0_4arch9wavefront6targetE0EEEvSZ_ ; -- Begin function _ZN7rocprim17ROCPRIM_400000_NS6detail17trampoline_kernelINS0_13select_configILj256ELj13ELNS0_17block_load_methodE3ELS4_3ELS4_3ELNS0_20block_scan_algorithmE0ELj4294967295EEENS1_25partition_config_selectorILNS1_17partition_subalgoE4EjNS0_10empty_typeEbEEZZNS1_14partition_implILS8_4ELb0ES6_15HIP_vector_typeIjLj2EENS0_17counting_iteratorIjlEEPS9_SG_NS0_5tupleIJPjSI_NS0_16reverse_iteratorISI_EEEEENSH_IJSG_SG_SG_EEES9_SI_JZNS1_25segmented_radix_sort_implINS0_14default_configELb1EPKlPlSQ_SR_N2at6native12_GLOBAL__N_18offset_tEEE10hipError_tPvRmT1_PNSt15iterator_traitsISZ_E10value_typeET2_T3_PNS10_IS15_E10value_typeET4_jRbjT5_S1B_jjP12ihipStream_tbEUljE_ZNSN_ISO_Lb1ESQ_SR_SQ_SR_SV_EESW_SX_SY_SZ_S13_S14_S15_S18_S19_jS1A_jS1B_S1B_jjS1D_bEUljE0_EEESW_SX_SY_S15_S19_S1B_T6_T7_T9_mT8_S1D_bDpT10_ENKUlT_T0_E_clISt17integral_constantIbLb1EES1R_EEDaS1M_S1N_EUlS1M_E_NS1_11comp_targetILNS1_3genE3ELNS1_11target_archE908ELNS1_3gpuE7ELNS1_3repE0EEENS1_30default_config_static_selectorELNS0_4arch9wavefront6targetE0EEEvSZ_
	.p2align	8
	.type	_ZN7rocprim17ROCPRIM_400000_NS6detail17trampoline_kernelINS0_13select_configILj256ELj13ELNS0_17block_load_methodE3ELS4_3ELS4_3ELNS0_20block_scan_algorithmE0ELj4294967295EEENS1_25partition_config_selectorILNS1_17partition_subalgoE4EjNS0_10empty_typeEbEEZZNS1_14partition_implILS8_4ELb0ES6_15HIP_vector_typeIjLj2EENS0_17counting_iteratorIjlEEPS9_SG_NS0_5tupleIJPjSI_NS0_16reverse_iteratorISI_EEEEENSH_IJSG_SG_SG_EEES9_SI_JZNS1_25segmented_radix_sort_implINS0_14default_configELb1EPKlPlSQ_SR_N2at6native12_GLOBAL__N_18offset_tEEE10hipError_tPvRmT1_PNSt15iterator_traitsISZ_E10value_typeET2_T3_PNS10_IS15_E10value_typeET4_jRbjT5_S1B_jjP12ihipStream_tbEUljE_ZNSN_ISO_Lb1ESQ_SR_SQ_SR_SV_EESW_SX_SY_SZ_S13_S14_S15_S18_S19_jS1A_jS1B_S1B_jjS1D_bEUljE0_EEESW_SX_SY_S15_S19_S1B_T6_T7_T9_mT8_S1D_bDpT10_ENKUlT_T0_E_clISt17integral_constantIbLb1EES1R_EEDaS1M_S1N_EUlS1M_E_NS1_11comp_targetILNS1_3genE3ELNS1_11target_archE908ELNS1_3gpuE7ELNS1_3repE0EEENS1_30default_config_static_selectorELNS0_4arch9wavefront6targetE0EEEvSZ_,@function
_ZN7rocprim17ROCPRIM_400000_NS6detail17trampoline_kernelINS0_13select_configILj256ELj13ELNS0_17block_load_methodE3ELS4_3ELS4_3ELNS0_20block_scan_algorithmE0ELj4294967295EEENS1_25partition_config_selectorILNS1_17partition_subalgoE4EjNS0_10empty_typeEbEEZZNS1_14partition_implILS8_4ELb0ES6_15HIP_vector_typeIjLj2EENS0_17counting_iteratorIjlEEPS9_SG_NS0_5tupleIJPjSI_NS0_16reverse_iteratorISI_EEEEENSH_IJSG_SG_SG_EEES9_SI_JZNS1_25segmented_radix_sort_implINS0_14default_configELb1EPKlPlSQ_SR_N2at6native12_GLOBAL__N_18offset_tEEE10hipError_tPvRmT1_PNSt15iterator_traitsISZ_E10value_typeET2_T3_PNS10_IS15_E10value_typeET4_jRbjT5_S1B_jjP12ihipStream_tbEUljE_ZNSN_ISO_Lb1ESQ_SR_SQ_SR_SV_EESW_SX_SY_SZ_S13_S14_S15_S18_S19_jS1A_jS1B_S1B_jjS1D_bEUljE0_EEESW_SX_SY_S15_S19_S1B_T6_T7_T9_mT8_S1D_bDpT10_ENKUlT_T0_E_clISt17integral_constantIbLb1EES1R_EEDaS1M_S1N_EUlS1M_E_NS1_11comp_targetILNS1_3genE3ELNS1_11target_archE908ELNS1_3gpuE7ELNS1_3repE0EEENS1_30default_config_static_selectorELNS0_4arch9wavefront6targetE0EEEvSZ_: ; @_ZN7rocprim17ROCPRIM_400000_NS6detail17trampoline_kernelINS0_13select_configILj256ELj13ELNS0_17block_load_methodE3ELS4_3ELS4_3ELNS0_20block_scan_algorithmE0ELj4294967295EEENS1_25partition_config_selectorILNS1_17partition_subalgoE4EjNS0_10empty_typeEbEEZZNS1_14partition_implILS8_4ELb0ES6_15HIP_vector_typeIjLj2EENS0_17counting_iteratorIjlEEPS9_SG_NS0_5tupleIJPjSI_NS0_16reverse_iteratorISI_EEEEENSH_IJSG_SG_SG_EEES9_SI_JZNS1_25segmented_radix_sort_implINS0_14default_configELb1EPKlPlSQ_SR_N2at6native12_GLOBAL__N_18offset_tEEE10hipError_tPvRmT1_PNSt15iterator_traitsISZ_E10value_typeET2_T3_PNS10_IS15_E10value_typeET4_jRbjT5_S1B_jjP12ihipStream_tbEUljE_ZNSN_ISO_Lb1ESQ_SR_SQ_SR_SV_EESW_SX_SY_SZ_S13_S14_S15_S18_S19_jS1A_jS1B_S1B_jjS1D_bEUljE0_EEESW_SX_SY_S15_S19_S1B_T6_T7_T9_mT8_S1D_bDpT10_ENKUlT_T0_E_clISt17integral_constantIbLb1EES1R_EEDaS1M_S1N_EUlS1M_E_NS1_11comp_targetILNS1_3genE3ELNS1_11target_archE908ELNS1_3gpuE7ELNS1_3repE0EEENS1_30default_config_static_selectorELNS0_4arch9wavefront6targetE0EEEvSZ_
; %bb.0:
	.section	.rodata,"a",@progbits
	.p2align	6, 0x0
	.amdhsa_kernel _ZN7rocprim17ROCPRIM_400000_NS6detail17trampoline_kernelINS0_13select_configILj256ELj13ELNS0_17block_load_methodE3ELS4_3ELS4_3ELNS0_20block_scan_algorithmE0ELj4294967295EEENS1_25partition_config_selectorILNS1_17partition_subalgoE4EjNS0_10empty_typeEbEEZZNS1_14partition_implILS8_4ELb0ES6_15HIP_vector_typeIjLj2EENS0_17counting_iteratorIjlEEPS9_SG_NS0_5tupleIJPjSI_NS0_16reverse_iteratorISI_EEEEENSH_IJSG_SG_SG_EEES9_SI_JZNS1_25segmented_radix_sort_implINS0_14default_configELb1EPKlPlSQ_SR_N2at6native12_GLOBAL__N_18offset_tEEE10hipError_tPvRmT1_PNSt15iterator_traitsISZ_E10value_typeET2_T3_PNS10_IS15_E10value_typeET4_jRbjT5_S1B_jjP12ihipStream_tbEUljE_ZNSN_ISO_Lb1ESQ_SR_SQ_SR_SV_EESW_SX_SY_SZ_S13_S14_S15_S18_S19_jS1A_jS1B_S1B_jjS1D_bEUljE0_EEESW_SX_SY_S15_S19_S1B_T6_T7_T9_mT8_S1D_bDpT10_ENKUlT_T0_E_clISt17integral_constantIbLb1EES1R_EEDaS1M_S1N_EUlS1M_E_NS1_11comp_targetILNS1_3genE3ELNS1_11target_archE908ELNS1_3gpuE7ELNS1_3repE0EEENS1_30default_config_static_selectorELNS0_4arch9wavefront6targetE0EEEvSZ_
		.amdhsa_group_segment_fixed_size 0
		.amdhsa_private_segment_fixed_size 0
		.amdhsa_kernarg_size 184
		.amdhsa_user_sgpr_count 6
		.amdhsa_user_sgpr_private_segment_buffer 1
		.amdhsa_user_sgpr_dispatch_ptr 0
		.amdhsa_user_sgpr_queue_ptr 0
		.amdhsa_user_sgpr_kernarg_segment_ptr 1
		.amdhsa_user_sgpr_dispatch_id 0
		.amdhsa_user_sgpr_flat_scratch_init 0
		.amdhsa_user_sgpr_private_segment_size 0
		.amdhsa_wavefront_size32 1
		.amdhsa_uses_dynamic_stack 0
		.amdhsa_system_sgpr_private_segment_wavefront_offset 0
		.amdhsa_system_sgpr_workgroup_id_x 1
		.amdhsa_system_sgpr_workgroup_id_y 0
		.amdhsa_system_sgpr_workgroup_id_z 0
		.amdhsa_system_sgpr_workgroup_info 0
		.amdhsa_system_vgpr_workitem_id 0
		.amdhsa_next_free_vgpr 1
		.amdhsa_next_free_sgpr 1
		.amdhsa_reserve_vcc 0
		.amdhsa_reserve_flat_scratch 0
		.amdhsa_float_round_mode_32 0
		.amdhsa_float_round_mode_16_64 0
		.amdhsa_float_denorm_mode_32 3
		.amdhsa_float_denorm_mode_16_64 3
		.amdhsa_dx10_clamp 1
		.amdhsa_ieee_mode 1
		.amdhsa_fp16_overflow 0
		.amdhsa_workgroup_processor_mode 1
		.amdhsa_memory_ordered 1
		.amdhsa_forward_progress 1
		.amdhsa_shared_vgpr_count 0
		.amdhsa_exception_fp_ieee_invalid_op 0
		.amdhsa_exception_fp_denorm_src 0
		.amdhsa_exception_fp_ieee_div_zero 0
		.amdhsa_exception_fp_ieee_overflow 0
		.amdhsa_exception_fp_ieee_underflow 0
		.amdhsa_exception_fp_ieee_inexact 0
		.amdhsa_exception_int_div_zero 0
	.end_amdhsa_kernel
	.section	.text._ZN7rocprim17ROCPRIM_400000_NS6detail17trampoline_kernelINS0_13select_configILj256ELj13ELNS0_17block_load_methodE3ELS4_3ELS4_3ELNS0_20block_scan_algorithmE0ELj4294967295EEENS1_25partition_config_selectorILNS1_17partition_subalgoE4EjNS0_10empty_typeEbEEZZNS1_14partition_implILS8_4ELb0ES6_15HIP_vector_typeIjLj2EENS0_17counting_iteratorIjlEEPS9_SG_NS0_5tupleIJPjSI_NS0_16reverse_iteratorISI_EEEEENSH_IJSG_SG_SG_EEES9_SI_JZNS1_25segmented_radix_sort_implINS0_14default_configELb1EPKlPlSQ_SR_N2at6native12_GLOBAL__N_18offset_tEEE10hipError_tPvRmT1_PNSt15iterator_traitsISZ_E10value_typeET2_T3_PNS10_IS15_E10value_typeET4_jRbjT5_S1B_jjP12ihipStream_tbEUljE_ZNSN_ISO_Lb1ESQ_SR_SQ_SR_SV_EESW_SX_SY_SZ_S13_S14_S15_S18_S19_jS1A_jS1B_S1B_jjS1D_bEUljE0_EEESW_SX_SY_S15_S19_S1B_T6_T7_T9_mT8_S1D_bDpT10_ENKUlT_T0_E_clISt17integral_constantIbLb1EES1R_EEDaS1M_S1N_EUlS1M_E_NS1_11comp_targetILNS1_3genE3ELNS1_11target_archE908ELNS1_3gpuE7ELNS1_3repE0EEENS1_30default_config_static_selectorELNS0_4arch9wavefront6targetE0EEEvSZ_,"axG",@progbits,_ZN7rocprim17ROCPRIM_400000_NS6detail17trampoline_kernelINS0_13select_configILj256ELj13ELNS0_17block_load_methodE3ELS4_3ELS4_3ELNS0_20block_scan_algorithmE0ELj4294967295EEENS1_25partition_config_selectorILNS1_17partition_subalgoE4EjNS0_10empty_typeEbEEZZNS1_14partition_implILS8_4ELb0ES6_15HIP_vector_typeIjLj2EENS0_17counting_iteratorIjlEEPS9_SG_NS0_5tupleIJPjSI_NS0_16reverse_iteratorISI_EEEEENSH_IJSG_SG_SG_EEES9_SI_JZNS1_25segmented_radix_sort_implINS0_14default_configELb1EPKlPlSQ_SR_N2at6native12_GLOBAL__N_18offset_tEEE10hipError_tPvRmT1_PNSt15iterator_traitsISZ_E10value_typeET2_T3_PNS10_IS15_E10value_typeET4_jRbjT5_S1B_jjP12ihipStream_tbEUljE_ZNSN_ISO_Lb1ESQ_SR_SQ_SR_SV_EESW_SX_SY_SZ_S13_S14_S15_S18_S19_jS1A_jS1B_S1B_jjS1D_bEUljE0_EEESW_SX_SY_S15_S19_S1B_T6_T7_T9_mT8_S1D_bDpT10_ENKUlT_T0_E_clISt17integral_constantIbLb1EES1R_EEDaS1M_S1N_EUlS1M_E_NS1_11comp_targetILNS1_3genE3ELNS1_11target_archE908ELNS1_3gpuE7ELNS1_3repE0EEENS1_30default_config_static_selectorELNS0_4arch9wavefront6targetE0EEEvSZ_,comdat
.Lfunc_end645:
	.size	_ZN7rocprim17ROCPRIM_400000_NS6detail17trampoline_kernelINS0_13select_configILj256ELj13ELNS0_17block_load_methodE3ELS4_3ELS4_3ELNS0_20block_scan_algorithmE0ELj4294967295EEENS1_25partition_config_selectorILNS1_17partition_subalgoE4EjNS0_10empty_typeEbEEZZNS1_14partition_implILS8_4ELb0ES6_15HIP_vector_typeIjLj2EENS0_17counting_iteratorIjlEEPS9_SG_NS0_5tupleIJPjSI_NS0_16reverse_iteratorISI_EEEEENSH_IJSG_SG_SG_EEES9_SI_JZNS1_25segmented_radix_sort_implINS0_14default_configELb1EPKlPlSQ_SR_N2at6native12_GLOBAL__N_18offset_tEEE10hipError_tPvRmT1_PNSt15iterator_traitsISZ_E10value_typeET2_T3_PNS10_IS15_E10value_typeET4_jRbjT5_S1B_jjP12ihipStream_tbEUljE_ZNSN_ISO_Lb1ESQ_SR_SQ_SR_SV_EESW_SX_SY_SZ_S13_S14_S15_S18_S19_jS1A_jS1B_S1B_jjS1D_bEUljE0_EEESW_SX_SY_S15_S19_S1B_T6_T7_T9_mT8_S1D_bDpT10_ENKUlT_T0_E_clISt17integral_constantIbLb1EES1R_EEDaS1M_S1N_EUlS1M_E_NS1_11comp_targetILNS1_3genE3ELNS1_11target_archE908ELNS1_3gpuE7ELNS1_3repE0EEENS1_30default_config_static_selectorELNS0_4arch9wavefront6targetE0EEEvSZ_, .Lfunc_end645-_ZN7rocprim17ROCPRIM_400000_NS6detail17trampoline_kernelINS0_13select_configILj256ELj13ELNS0_17block_load_methodE3ELS4_3ELS4_3ELNS0_20block_scan_algorithmE0ELj4294967295EEENS1_25partition_config_selectorILNS1_17partition_subalgoE4EjNS0_10empty_typeEbEEZZNS1_14partition_implILS8_4ELb0ES6_15HIP_vector_typeIjLj2EENS0_17counting_iteratorIjlEEPS9_SG_NS0_5tupleIJPjSI_NS0_16reverse_iteratorISI_EEEEENSH_IJSG_SG_SG_EEES9_SI_JZNS1_25segmented_radix_sort_implINS0_14default_configELb1EPKlPlSQ_SR_N2at6native12_GLOBAL__N_18offset_tEEE10hipError_tPvRmT1_PNSt15iterator_traitsISZ_E10value_typeET2_T3_PNS10_IS15_E10value_typeET4_jRbjT5_S1B_jjP12ihipStream_tbEUljE_ZNSN_ISO_Lb1ESQ_SR_SQ_SR_SV_EESW_SX_SY_SZ_S13_S14_S15_S18_S19_jS1A_jS1B_S1B_jjS1D_bEUljE0_EEESW_SX_SY_S15_S19_S1B_T6_T7_T9_mT8_S1D_bDpT10_ENKUlT_T0_E_clISt17integral_constantIbLb1EES1R_EEDaS1M_S1N_EUlS1M_E_NS1_11comp_targetILNS1_3genE3ELNS1_11target_archE908ELNS1_3gpuE7ELNS1_3repE0EEENS1_30default_config_static_selectorELNS0_4arch9wavefront6targetE0EEEvSZ_
                                        ; -- End function
	.set _ZN7rocprim17ROCPRIM_400000_NS6detail17trampoline_kernelINS0_13select_configILj256ELj13ELNS0_17block_load_methodE3ELS4_3ELS4_3ELNS0_20block_scan_algorithmE0ELj4294967295EEENS1_25partition_config_selectorILNS1_17partition_subalgoE4EjNS0_10empty_typeEbEEZZNS1_14partition_implILS8_4ELb0ES6_15HIP_vector_typeIjLj2EENS0_17counting_iteratorIjlEEPS9_SG_NS0_5tupleIJPjSI_NS0_16reverse_iteratorISI_EEEEENSH_IJSG_SG_SG_EEES9_SI_JZNS1_25segmented_radix_sort_implINS0_14default_configELb1EPKlPlSQ_SR_N2at6native12_GLOBAL__N_18offset_tEEE10hipError_tPvRmT1_PNSt15iterator_traitsISZ_E10value_typeET2_T3_PNS10_IS15_E10value_typeET4_jRbjT5_S1B_jjP12ihipStream_tbEUljE_ZNSN_ISO_Lb1ESQ_SR_SQ_SR_SV_EESW_SX_SY_SZ_S13_S14_S15_S18_S19_jS1A_jS1B_S1B_jjS1D_bEUljE0_EEESW_SX_SY_S15_S19_S1B_T6_T7_T9_mT8_S1D_bDpT10_ENKUlT_T0_E_clISt17integral_constantIbLb1EES1R_EEDaS1M_S1N_EUlS1M_E_NS1_11comp_targetILNS1_3genE3ELNS1_11target_archE908ELNS1_3gpuE7ELNS1_3repE0EEENS1_30default_config_static_selectorELNS0_4arch9wavefront6targetE0EEEvSZ_.num_vgpr, 0
	.set _ZN7rocprim17ROCPRIM_400000_NS6detail17trampoline_kernelINS0_13select_configILj256ELj13ELNS0_17block_load_methodE3ELS4_3ELS4_3ELNS0_20block_scan_algorithmE0ELj4294967295EEENS1_25partition_config_selectorILNS1_17partition_subalgoE4EjNS0_10empty_typeEbEEZZNS1_14partition_implILS8_4ELb0ES6_15HIP_vector_typeIjLj2EENS0_17counting_iteratorIjlEEPS9_SG_NS0_5tupleIJPjSI_NS0_16reverse_iteratorISI_EEEEENSH_IJSG_SG_SG_EEES9_SI_JZNS1_25segmented_radix_sort_implINS0_14default_configELb1EPKlPlSQ_SR_N2at6native12_GLOBAL__N_18offset_tEEE10hipError_tPvRmT1_PNSt15iterator_traitsISZ_E10value_typeET2_T3_PNS10_IS15_E10value_typeET4_jRbjT5_S1B_jjP12ihipStream_tbEUljE_ZNSN_ISO_Lb1ESQ_SR_SQ_SR_SV_EESW_SX_SY_SZ_S13_S14_S15_S18_S19_jS1A_jS1B_S1B_jjS1D_bEUljE0_EEESW_SX_SY_S15_S19_S1B_T6_T7_T9_mT8_S1D_bDpT10_ENKUlT_T0_E_clISt17integral_constantIbLb1EES1R_EEDaS1M_S1N_EUlS1M_E_NS1_11comp_targetILNS1_3genE3ELNS1_11target_archE908ELNS1_3gpuE7ELNS1_3repE0EEENS1_30default_config_static_selectorELNS0_4arch9wavefront6targetE0EEEvSZ_.num_agpr, 0
	.set _ZN7rocprim17ROCPRIM_400000_NS6detail17trampoline_kernelINS0_13select_configILj256ELj13ELNS0_17block_load_methodE3ELS4_3ELS4_3ELNS0_20block_scan_algorithmE0ELj4294967295EEENS1_25partition_config_selectorILNS1_17partition_subalgoE4EjNS0_10empty_typeEbEEZZNS1_14partition_implILS8_4ELb0ES6_15HIP_vector_typeIjLj2EENS0_17counting_iteratorIjlEEPS9_SG_NS0_5tupleIJPjSI_NS0_16reverse_iteratorISI_EEEEENSH_IJSG_SG_SG_EEES9_SI_JZNS1_25segmented_radix_sort_implINS0_14default_configELb1EPKlPlSQ_SR_N2at6native12_GLOBAL__N_18offset_tEEE10hipError_tPvRmT1_PNSt15iterator_traitsISZ_E10value_typeET2_T3_PNS10_IS15_E10value_typeET4_jRbjT5_S1B_jjP12ihipStream_tbEUljE_ZNSN_ISO_Lb1ESQ_SR_SQ_SR_SV_EESW_SX_SY_SZ_S13_S14_S15_S18_S19_jS1A_jS1B_S1B_jjS1D_bEUljE0_EEESW_SX_SY_S15_S19_S1B_T6_T7_T9_mT8_S1D_bDpT10_ENKUlT_T0_E_clISt17integral_constantIbLb1EES1R_EEDaS1M_S1N_EUlS1M_E_NS1_11comp_targetILNS1_3genE3ELNS1_11target_archE908ELNS1_3gpuE7ELNS1_3repE0EEENS1_30default_config_static_selectorELNS0_4arch9wavefront6targetE0EEEvSZ_.numbered_sgpr, 0
	.set _ZN7rocprim17ROCPRIM_400000_NS6detail17trampoline_kernelINS0_13select_configILj256ELj13ELNS0_17block_load_methodE3ELS4_3ELS4_3ELNS0_20block_scan_algorithmE0ELj4294967295EEENS1_25partition_config_selectorILNS1_17partition_subalgoE4EjNS0_10empty_typeEbEEZZNS1_14partition_implILS8_4ELb0ES6_15HIP_vector_typeIjLj2EENS0_17counting_iteratorIjlEEPS9_SG_NS0_5tupleIJPjSI_NS0_16reverse_iteratorISI_EEEEENSH_IJSG_SG_SG_EEES9_SI_JZNS1_25segmented_radix_sort_implINS0_14default_configELb1EPKlPlSQ_SR_N2at6native12_GLOBAL__N_18offset_tEEE10hipError_tPvRmT1_PNSt15iterator_traitsISZ_E10value_typeET2_T3_PNS10_IS15_E10value_typeET4_jRbjT5_S1B_jjP12ihipStream_tbEUljE_ZNSN_ISO_Lb1ESQ_SR_SQ_SR_SV_EESW_SX_SY_SZ_S13_S14_S15_S18_S19_jS1A_jS1B_S1B_jjS1D_bEUljE0_EEESW_SX_SY_S15_S19_S1B_T6_T7_T9_mT8_S1D_bDpT10_ENKUlT_T0_E_clISt17integral_constantIbLb1EES1R_EEDaS1M_S1N_EUlS1M_E_NS1_11comp_targetILNS1_3genE3ELNS1_11target_archE908ELNS1_3gpuE7ELNS1_3repE0EEENS1_30default_config_static_selectorELNS0_4arch9wavefront6targetE0EEEvSZ_.num_named_barrier, 0
	.set _ZN7rocprim17ROCPRIM_400000_NS6detail17trampoline_kernelINS0_13select_configILj256ELj13ELNS0_17block_load_methodE3ELS4_3ELS4_3ELNS0_20block_scan_algorithmE0ELj4294967295EEENS1_25partition_config_selectorILNS1_17partition_subalgoE4EjNS0_10empty_typeEbEEZZNS1_14partition_implILS8_4ELb0ES6_15HIP_vector_typeIjLj2EENS0_17counting_iteratorIjlEEPS9_SG_NS0_5tupleIJPjSI_NS0_16reverse_iteratorISI_EEEEENSH_IJSG_SG_SG_EEES9_SI_JZNS1_25segmented_radix_sort_implINS0_14default_configELb1EPKlPlSQ_SR_N2at6native12_GLOBAL__N_18offset_tEEE10hipError_tPvRmT1_PNSt15iterator_traitsISZ_E10value_typeET2_T3_PNS10_IS15_E10value_typeET4_jRbjT5_S1B_jjP12ihipStream_tbEUljE_ZNSN_ISO_Lb1ESQ_SR_SQ_SR_SV_EESW_SX_SY_SZ_S13_S14_S15_S18_S19_jS1A_jS1B_S1B_jjS1D_bEUljE0_EEESW_SX_SY_S15_S19_S1B_T6_T7_T9_mT8_S1D_bDpT10_ENKUlT_T0_E_clISt17integral_constantIbLb1EES1R_EEDaS1M_S1N_EUlS1M_E_NS1_11comp_targetILNS1_3genE3ELNS1_11target_archE908ELNS1_3gpuE7ELNS1_3repE0EEENS1_30default_config_static_selectorELNS0_4arch9wavefront6targetE0EEEvSZ_.private_seg_size, 0
	.set _ZN7rocprim17ROCPRIM_400000_NS6detail17trampoline_kernelINS0_13select_configILj256ELj13ELNS0_17block_load_methodE3ELS4_3ELS4_3ELNS0_20block_scan_algorithmE0ELj4294967295EEENS1_25partition_config_selectorILNS1_17partition_subalgoE4EjNS0_10empty_typeEbEEZZNS1_14partition_implILS8_4ELb0ES6_15HIP_vector_typeIjLj2EENS0_17counting_iteratorIjlEEPS9_SG_NS0_5tupleIJPjSI_NS0_16reverse_iteratorISI_EEEEENSH_IJSG_SG_SG_EEES9_SI_JZNS1_25segmented_radix_sort_implINS0_14default_configELb1EPKlPlSQ_SR_N2at6native12_GLOBAL__N_18offset_tEEE10hipError_tPvRmT1_PNSt15iterator_traitsISZ_E10value_typeET2_T3_PNS10_IS15_E10value_typeET4_jRbjT5_S1B_jjP12ihipStream_tbEUljE_ZNSN_ISO_Lb1ESQ_SR_SQ_SR_SV_EESW_SX_SY_SZ_S13_S14_S15_S18_S19_jS1A_jS1B_S1B_jjS1D_bEUljE0_EEESW_SX_SY_S15_S19_S1B_T6_T7_T9_mT8_S1D_bDpT10_ENKUlT_T0_E_clISt17integral_constantIbLb1EES1R_EEDaS1M_S1N_EUlS1M_E_NS1_11comp_targetILNS1_3genE3ELNS1_11target_archE908ELNS1_3gpuE7ELNS1_3repE0EEENS1_30default_config_static_selectorELNS0_4arch9wavefront6targetE0EEEvSZ_.uses_vcc, 0
	.set _ZN7rocprim17ROCPRIM_400000_NS6detail17trampoline_kernelINS0_13select_configILj256ELj13ELNS0_17block_load_methodE3ELS4_3ELS4_3ELNS0_20block_scan_algorithmE0ELj4294967295EEENS1_25partition_config_selectorILNS1_17partition_subalgoE4EjNS0_10empty_typeEbEEZZNS1_14partition_implILS8_4ELb0ES6_15HIP_vector_typeIjLj2EENS0_17counting_iteratorIjlEEPS9_SG_NS0_5tupleIJPjSI_NS0_16reverse_iteratorISI_EEEEENSH_IJSG_SG_SG_EEES9_SI_JZNS1_25segmented_radix_sort_implINS0_14default_configELb1EPKlPlSQ_SR_N2at6native12_GLOBAL__N_18offset_tEEE10hipError_tPvRmT1_PNSt15iterator_traitsISZ_E10value_typeET2_T3_PNS10_IS15_E10value_typeET4_jRbjT5_S1B_jjP12ihipStream_tbEUljE_ZNSN_ISO_Lb1ESQ_SR_SQ_SR_SV_EESW_SX_SY_SZ_S13_S14_S15_S18_S19_jS1A_jS1B_S1B_jjS1D_bEUljE0_EEESW_SX_SY_S15_S19_S1B_T6_T7_T9_mT8_S1D_bDpT10_ENKUlT_T0_E_clISt17integral_constantIbLb1EES1R_EEDaS1M_S1N_EUlS1M_E_NS1_11comp_targetILNS1_3genE3ELNS1_11target_archE908ELNS1_3gpuE7ELNS1_3repE0EEENS1_30default_config_static_selectorELNS0_4arch9wavefront6targetE0EEEvSZ_.uses_flat_scratch, 0
	.set _ZN7rocprim17ROCPRIM_400000_NS6detail17trampoline_kernelINS0_13select_configILj256ELj13ELNS0_17block_load_methodE3ELS4_3ELS4_3ELNS0_20block_scan_algorithmE0ELj4294967295EEENS1_25partition_config_selectorILNS1_17partition_subalgoE4EjNS0_10empty_typeEbEEZZNS1_14partition_implILS8_4ELb0ES6_15HIP_vector_typeIjLj2EENS0_17counting_iteratorIjlEEPS9_SG_NS0_5tupleIJPjSI_NS0_16reverse_iteratorISI_EEEEENSH_IJSG_SG_SG_EEES9_SI_JZNS1_25segmented_radix_sort_implINS0_14default_configELb1EPKlPlSQ_SR_N2at6native12_GLOBAL__N_18offset_tEEE10hipError_tPvRmT1_PNSt15iterator_traitsISZ_E10value_typeET2_T3_PNS10_IS15_E10value_typeET4_jRbjT5_S1B_jjP12ihipStream_tbEUljE_ZNSN_ISO_Lb1ESQ_SR_SQ_SR_SV_EESW_SX_SY_SZ_S13_S14_S15_S18_S19_jS1A_jS1B_S1B_jjS1D_bEUljE0_EEESW_SX_SY_S15_S19_S1B_T6_T7_T9_mT8_S1D_bDpT10_ENKUlT_T0_E_clISt17integral_constantIbLb1EES1R_EEDaS1M_S1N_EUlS1M_E_NS1_11comp_targetILNS1_3genE3ELNS1_11target_archE908ELNS1_3gpuE7ELNS1_3repE0EEENS1_30default_config_static_selectorELNS0_4arch9wavefront6targetE0EEEvSZ_.has_dyn_sized_stack, 0
	.set _ZN7rocprim17ROCPRIM_400000_NS6detail17trampoline_kernelINS0_13select_configILj256ELj13ELNS0_17block_load_methodE3ELS4_3ELS4_3ELNS0_20block_scan_algorithmE0ELj4294967295EEENS1_25partition_config_selectorILNS1_17partition_subalgoE4EjNS0_10empty_typeEbEEZZNS1_14partition_implILS8_4ELb0ES6_15HIP_vector_typeIjLj2EENS0_17counting_iteratorIjlEEPS9_SG_NS0_5tupleIJPjSI_NS0_16reverse_iteratorISI_EEEEENSH_IJSG_SG_SG_EEES9_SI_JZNS1_25segmented_radix_sort_implINS0_14default_configELb1EPKlPlSQ_SR_N2at6native12_GLOBAL__N_18offset_tEEE10hipError_tPvRmT1_PNSt15iterator_traitsISZ_E10value_typeET2_T3_PNS10_IS15_E10value_typeET4_jRbjT5_S1B_jjP12ihipStream_tbEUljE_ZNSN_ISO_Lb1ESQ_SR_SQ_SR_SV_EESW_SX_SY_SZ_S13_S14_S15_S18_S19_jS1A_jS1B_S1B_jjS1D_bEUljE0_EEESW_SX_SY_S15_S19_S1B_T6_T7_T9_mT8_S1D_bDpT10_ENKUlT_T0_E_clISt17integral_constantIbLb1EES1R_EEDaS1M_S1N_EUlS1M_E_NS1_11comp_targetILNS1_3genE3ELNS1_11target_archE908ELNS1_3gpuE7ELNS1_3repE0EEENS1_30default_config_static_selectorELNS0_4arch9wavefront6targetE0EEEvSZ_.has_recursion, 0
	.set _ZN7rocprim17ROCPRIM_400000_NS6detail17trampoline_kernelINS0_13select_configILj256ELj13ELNS0_17block_load_methodE3ELS4_3ELS4_3ELNS0_20block_scan_algorithmE0ELj4294967295EEENS1_25partition_config_selectorILNS1_17partition_subalgoE4EjNS0_10empty_typeEbEEZZNS1_14partition_implILS8_4ELb0ES6_15HIP_vector_typeIjLj2EENS0_17counting_iteratorIjlEEPS9_SG_NS0_5tupleIJPjSI_NS0_16reverse_iteratorISI_EEEEENSH_IJSG_SG_SG_EEES9_SI_JZNS1_25segmented_radix_sort_implINS0_14default_configELb1EPKlPlSQ_SR_N2at6native12_GLOBAL__N_18offset_tEEE10hipError_tPvRmT1_PNSt15iterator_traitsISZ_E10value_typeET2_T3_PNS10_IS15_E10value_typeET4_jRbjT5_S1B_jjP12ihipStream_tbEUljE_ZNSN_ISO_Lb1ESQ_SR_SQ_SR_SV_EESW_SX_SY_SZ_S13_S14_S15_S18_S19_jS1A_jS1B_S1B_jjS1D_bEUljE0_EEESW_SX_SY_S15_S19_S1B_T6_T7_T9_mT8_S1D_bDpT10_ENKUlT_T0_E_clISt17integral_constantIbLb1EES1R_EEDaS1M_S1N_EUlS1M_E_NS1_11comp_targetILNS1_3genE3ELNS1_11target_archE908ELNS1_3gpuE7ELNS1_3repE0EEENS1_30default_config_static_selectorELNS0_4arch9wavefront6targetE0EEEvSZ_.has_indirect_call, 0
	.section	.AMDGPU.csdata,"",@progbits
; Kernel info:
; codeLenInByte = 0
; TotalNumSgprs: 0
; NumVgprs: 0
; ScratchSize: 0
; MemoryBound: 0
; FloatMode: 240
; IeeeMode: 1
; LDSByteSize: 0 bytes/workgroup (compile time only)
; SGPRBlocks: 0
; VGPRBlocks: 0
; NumSGPRsForWavesPerEU: 1
; NumVGPRsForWavesPerEU: 1
; Occupancy: 16
; WaveLimiterHint : 0
; COMPUTE_PGM_RSRC2:SCRATCH_EN: 0
; COMPUTE_PGM_RSRC2:USER_SGPR: 6
; COMPUTE_PGM_RSRC2:TRAP_HANDLER: 0
; COMPUTE_PGM_RSRC2:TGID_X_EN: 1
; COMPUTE_PGM_RSRC2:TGID_Y_EN: 0
; COMPUTE_PGM_RSRC2:TGID_Z_EN: 0
; COMPUTE_PGM_RSRC2:TIDIG_COMP_CNT: 0
	.section	.text._ZN7rocprim17ROCPRIM_400000_NS6detail17trampoline_kernelINS0_13select_configILj256ELj13ELNS0_17block_load_methodE3ELS4_3ELS4_3ELNS0_20block_scan_algorithmE0ELj4294967295EEENS1_25partition_config_selectorILNS1_17partition_subalgoE4EjNS0_10empty_typeEbEEZZNS1_14partition_implILS8_4ELb0ES6_15HIP_vector_typeIjLj2EENS0_17counting_iteratorIjlEEPS9_SG_NS0_5tupleIJPjSI_NS0_16reverse_iteratorISI_EEEEENSH_IJSG_SG_SG_EEES9_SI_JZNS1_25segmented_radix_sort_implINS0_14default_configELb1EPKlPlSQ_SR_N2at6native12_GLOBAL__N_18offset_tEEE10hipError_tPvRmT1_PNSt15iterator_traitsISZ_E10value_typeET2_T3_PNS10_IS15_E10value_typeET4_jRbjT5_S1B_jjP12ihipStream_tbEUljE_ZNSN_ISO_Lb1ESQ_SR_SQ_SR_SV_EESW_SX_SY_SZ_S13_S14_S15_S18_S19_jS1A_jS1B_S1B_jjS1D_bEUljE0_EEESW_SX_SY_S15_S19_S1B_T6_T7_T9_mT8_S1D_bDpT10_ENKUlT_T0_E_clISt17integral_constantIbLb1EES1R_EEDaS1M_S1N_EUlS1M_E_NS1_11comp_targetILNS1_3genE2ELNS1_11target_archE906ELNS1_3gpuE6ELNS1_3repE0EEENS1_30default_config_static_selectorELNS0_4arch9wavefront6targetE0EEEvSZ_,"axG",@progbits,_ZN7rocprim17ROCPRIM_400000_NS6detail17trampoline_kernelINS0_13select_configILj256ELj13ELNS0_17block_load_methodE3ELS4_3ELS4_3ELNS0_20block_scan_algorithmE0ELj4294967295EEENS1_25partition_config_selectorILNS1_17partition_subalgoE4EjNS0_10empty_typeEbEEZZNS1_14partition_implILS8_4ELb0ES6_15HIP_vector_typeIjLj2EENS0_17counting_iteratorIjlEEPS9_SG_NS0_5tupleIJPjSI_NS0_16reverse_iteratorISI_EEEEENSH_IJSG_SG_SG_EEES9_SI_JZNS1_25segmented_radix_sort_implINS0_14default_configELb1EPKlPlSQ_SR_N2at6native12_GLOBAL__N_18offset_tEEE10hipError_tPvRmT1_PNSt15iterator_traitsISZ_E10value_typeET2_T3_PNS10_IS15_E10value_typeET4_jRbjT5_S1B_jjP12ihipStream_tbEUljE_ZNSN_ISO_Lb1ESQ_SR_SQ_SR_SV_EESW_SX_SY_SZ_S13_S14_S15_S18_S19_jS1A_jS1B_S1B_jjS1D_bEUljE0_EEESW_SX_SY_S15_S19_S1B_T6_T7_T9_mT8_S1D_bDpT10_ENKUlT_T0_E_clISt17integral_constantIbLb1EES1R_EEDaS1M_S1N_EUlS1M_E_NS1_11comp_targetILNS1_3genE2ELNS1_11target_archE906ELNS1_3gpuE6ELNS1_3repE0EEENS1_30default_config_static_selectorELNS0_4arch9wavefront6targetE0EEEvSZ_,comdat
	.globl	_ZN7rocprim17ROCPRIM_400000_NS6detail17trampoline_kernelINS0_13select_configILj256ELj13ELNS0_17block_load_methodE3ELS4_3ELS4_3ELNS0_20block_scan_algorithmE0ELj4294967295EEENS1_25partition_config_selectorILNS1_17partition_subalgoE4EjNS0_10empty_typeEbEEZZNS1_14partition_implILS8_4ELb0ES6_15HIP_vector_typeIjLj2EENS0_17counting_iteratorIjlEEPS9_SG_NS0_5tupleIJPjSI_NS0_16reverse_iteratorISI_EEEEENSH_IJSG_SG_SG_EEES9_SI_JZNS1_25segmented_radix_sort_implINS0_14default_configELb1EPKlPlSQ_SR_N2at6native12_GLOBAL__N_18offset_tEEE10hipError_tPvRmT1_PNSt15iterator_traitsISZ_E10value_typeET2_T3_PNS10_IS15_E10value_typeET4_jRbjT5_S1B_jjP12ihipStream_tbEUljE_ZNSN_ISO_Lb1ESQ_SR_SQ_SR_SV_EESW_SX_SY_SZ_S13_S14_S15_S18_S19_jS1A_jS1B_S1B_jjS1D_bEUljE0_EEESW_SX_SY_S15_S19_S1B_T6_T7_T9_mT8_S1D_bDpT10_ENKUlT_T0_E_clISt17integral_constantIbLb1EES1R_EEDaS1M_S1N_EUlS1M_E_NS1_11comp_targetILNS1_3genE2ELNS1_11target_archE906ELNS1_3gpuE6ELNS1_3repE0EEENS1_30default_config_static_selectorELNS0_4arch9wavefront6targetE0EEEvSZ_ ; -- Begin function _ZN7rocprim17ROCPRIM_400000_NS6detail17trampoline_kernelINS0_13select_configILj256ELj13ELNS0_17block_load_methodE3ELS4_3ELS4_3ELNS0_20block_scan_algorithmE0ELj4294967295EEENS1_25partition_config_selectorILNS1_17partition_subalgoE4EjNS0_10empty_typeEbEEZZNS1_14partition_implILS8_4ELb0ES6_15HIP_vector_typeIjLj2EENS0_17counting_iteratorIjlEEPS9_SG_NS0_5tupleIJPjSI_NS0_16reverse_iteratorISI_EEEEENSH_IJSG_SG_SG_EEES9_SI_JZNS1_25segmented_radix_sort_implINS0_14default_configELb1EPKlPlSQ_SR_N2at6native12_GLOBAL__N_18offset_tEEE10hipError_tPvRmT1_PNSt15iterator_traitsISZ_E10value_typeET2_T3_PNS10_IS15_E10value_typeET4_jRbjT5_S1B_jjP12ihipStream_tbEUljE_ZNSN_ISO_Lb1ESQ_SR_SQ_SR_SV_EESW_SX_SY_SZ_S13_S14_S15_S18_S19_jS1A_jS1B_S1B_jjS1D_bEUljE0_EEESW_SX_SY_S15_S19_S1B_T6_T7_T9_mT8_S1D_bDpT10_ENKUlT_T0_E_clISt17integral_constantIbLb1EES1R_EEDaS1M_S1N_EUlS1M_E_NS1_11comp_targetILNS1_3genE2ELNS1_11target_archE906ELNS1_3gpuE6ELNS1_3repE0EEENS1_30default_config_static_selectorELNS0_4arch9wavefront6targetE0EEEvSZ_
	.p2align	8
	.type	_ZN7rocprim17ROCPRIM_400000_NS6detail17trampoline_kernelINS0_13select_configILj256ELj13ELNS0_17block_load_methodE3ELS4_3ELS4_3ELNS0_20block_scan_algorithmE0ELj4294967295EEENS1_25partition_config_selectorILNS1_17partition_subalgoE4EjNS0_10empty_typeEbEEZZNS1_14partition_implILS8_4ELb0ES6_15HIP_vector_typeIjLj2EENS0_17counting_iteratorIjlEEPS9_SG_NS0_5tupleIJPjSI_NS0_16reverse_iteratorISI_EEEEENSH_IJSG_SG_SG_EEES9_SI_JZNS1_25segmented_radix_sort_implINS0_14default_configELb1EPKlPlSQ_SR_N2at6native12_GLOBAL__N_18offset_tEEE10hipError_tPvRmT1_PNSt15iterator_traitsISZ_E10value_typeET2_T3_PNS10_IS15_E10value_typeET4_jRbjT5_S1B_jjP12ihipStream_tbEUljE_ZNSN_ISO_Lb1ESQ_SR_SQ_SR_SV_EESW_SX_SY_SZ_S13_S14_S15_S18_S19_jS1A_jS1B_S1B_jjS1D_bEUljE0_EEESW_SX_SY_S15_S19_S1B_T6_T7_T9_mT8_S1D_bDpT10_ENKUlT_T0_E_clISt17integral_constantIbLb1EES1R_EEDaS1M_S1N_EUlS1M_E_NS1_11comp_targetILNS1_3genE2ELNS1_11target_archE906ELNS1_3gpuE6ELNS1_3repE0EEENS1_30default_config_static_selectorELNS0_4arch9wavefront6targetE0EEEvSZ_,@function
_ZN7rocprim17ROCPRIM_400000_NS6detail17trampoline_kernelINS0_13select_configILj256ELj13ELNS0_17block_load_methodE3ELS4_3ELS4_3ELNS0_20block_scan_algorithmE0ELj4294967295EEENS1_25partition_config_selectorILNS1_17partition_subalgoE4EjNS0_10empty_typeEbEEZZNS1_14partition_implILS8_4ELb0ES6_15HIP_vector_typeIjLj2EENS0_17counting_iteratorIjlEEPS9_SG_NS0_5tupleIJPjSI_NS0_16reverse_iteratorISI_EEEEENSH_IJSG_SG_SG_EEES9_SI_JZNS1_25segmented_radix_sort_implINS0_14default_configELb1EPKlPlSQ_SR_N2at6native12_GLOBAL__N_18offset_tEEE10hipError_tPvRmT1_PNSt15iterator_traitsISZ_E10value_typeET2_T3_PNS10_IS15_E10value_typeET4_jRbjT5_S1B_jjP12ihipStream_tbEUljE_ZNSN_ISO_Lb1ESQ_SR_SQ_SR_SV_EESW_SX_SY_SZ_S13_S14_S15_S18_S19_jS1A_jS1B_S1B_jjS1D_bEUljE0_EEESW_SX_SY_S15_S19_S1B_T6_T7_T9_mT8_S1D_bDpT10_ENKUlT_T0_E_clISt17integral_constantIbLb1EES1R_EEDaS1M_S1N_EUlS1M_E_NS1_11comp_targetILNS1_3genE2ELNS1_11target_archE906ELNS1_3gpuE6ELNS1_3repE0EEENS1_30default_config_static_selectorELNS0_4arch9wavefront6targetE0EEEvSZ_: ; @_ZN7rocprim17ROCPRIM_400000_NS6detail17trampoline_kernelINS0_13select_configILj256ELj13ELNS0_17block_load_methodE3ELS4_3ELS4_3ELNS0_20block_scan_algorithmE0ELj4294967295EEENS1_25partition_config_selectorILNS1_17partition_subalgoE4EjNS0_10empty_typeEbEEZZNS1_14partition_implILS8_4ELb0ES6_15HIP_vector_typeIjLj2EENS0_17counting_iteratorIjlEEPS9_SG_NS0_5tupleIJPjSI_NS0_16reverse_iteratorISI_EEEEENSH_IJSG_SG_SG_EEES9_SI_JZNS1_25segmented_radix_sort_implINS0_14default_configELb1EPKlPlSQ_SR_N2at6native12_GLOBAL__N_18offset_tEEE10hipError_tPvRmT1_PNSt15iterator_traitsISZ_E10value_typeET2_T3_PNS10_IS15_E10value_typeET4_jRbjT5_S1B_jjP12ihipStream_tbEUljE_ZNSN_ISO_Lb1ESQ_SR_SQ_SR_SV_EESW_SX_SY_SZ_S13_S14_S15_S18_S19_jS1A_jS1B_S1B_jjS1D_bEUljE0_EEESW_SX_SY_S15_S19_S1B_T6_T7_T9_mT8_S1D_bDpT10_ENKUlT_T0_E_clISt17integral_constantIbLb1EES1R_EEDaS1M_S1N_EUlS1M_E_NS1_11comp_targetILNS1_3genE2ELNS1_11target_archE906ELNS1_3gpuE6ELNS1_3repE0EEENS1_30default_config_static_selectorELNS0_4arch9wavefront6targetE0EEEvSZ_
; %bb.0:
	.section	.rodata,"a",@progbits
	.p2align	6, 0x0
	.amdhsa_kernel _ZN7rocprim17ROCPRIM_400000_NS6detail17trampoline_kernelINS0_13select_configILj256ELj13ELNS0_17block_load_methodE3ELS4_3ELS4_3ELNS0_20block_scan_algorithmE0ELj4294967295EEENS1_25partition_config_selectorILNS1_17partition_subalgoE4EjNS0_10empty_typeEbEEZZNS1_14partition_implILS8_4ELb0ES6_15HIP_vector_typeIjLj2EENS0_17counting_iteratorIjlEEPS9_SG_NS0_5tupleIJPjSI_NS0_16reverse_iteratorISI_EEEEENSH_IJSG_SG_SG_EEES9_SI_JZNS1_25segmented_radix_sort_implINS0_14default_configELb1EPKlPlSQ_SR_N2at6native12_GLOBAL__N_18offset_tEEE10hipError_tPvRmT1_PNSt15iterator_traitsISZ_E10value_typeET2_T3_PNS10_IS15_E10value_typeET4_jRbjT5_S1B_jjP12ihipStream_tbEUljE_ZNSN_ISO_Lb1ESQ_SR_SQ_SR_SV_EESW_SX_SY_SZ_S13_S14_S15_S18_S19_jS1A_jS1B_S1B_jjS1D_bEUljE0_EEESW_SX_SY_S15_S19_S1B_T6_T7_T9_mT8_S1D_bDpT10_ENKUlT_T0_E_clISt17integral_constantIbLb1EES1R_EEDaS1M_S1N_EUlS1M_E_NS1_11comp_targetILNS1_3genE2ELNS1_11target_archE906ELNS1_3gpuE6ELNS1_3repE0EEENS1_30default_config_static_selectorELNS0_4arch9wavefront6targetE0EEEvSZ_
		.amdhsa_group_segment_fixed_size 0
		.amdhsa_private_segment_fixed_size 0
		.amdhsa_kernarg_size 184
		.amdhsa_user_sgpr_count 6
		.amdhsa_user_sgpr_private_segment_buffer 1
		.amdhsa_user_sgpr_dispatch_ptr 0
		.amdhsa_user_sgpr_queue_ptr 0
		.amdhsa_user_sgpr_kernarg_segment_ptr 1
		.amdhsa_user_sgpr_dispatch_id 0
		.amdhsa_user_sgpr_flat_scratch_init 0
		.amdhsa_user_sgpr_private_segment_size 0
		.amdhsa_wavefront_size32 1
		.amdhsa_uses_dynamic_stack 0
		.amdhsa_system_sgpr_private_segment_wavefront_offset 0
		.amdhsa_system_sgpr_workgroup_id_x 1
		.amdhsa_system_sgpr_workgroup_id_y 0
		.amdhsa_system_sgpr_workgroup_id_z 0
		.amdhsa_system_sgpr_workgroup_info 0
		.amdhsa_system_vgpr_workitem_id 0
		.amdhsa_next_free_vgpr 1
		.amdhsa_next_free_sgpr 1
		.amdhsa_reserve_vcc 0
		.amdhsa_reserve_flat_scratch 0
		.amdhsa_float_round_mode_32 0
		.amdhsa_float_round_mode_16_64 0
		.amdhsa_float_denorm_mode_32 3
		.amdhsa_float_denorm_mode_16_64 3
		.amdhsa_dx10_clamp 1
		.amdhsa_ieee_mode 1
		.amdhsa_fp16_overflow 0
		.amdhsa_workgroup_processor_mode 1
		.amdhsa_memory_ordered 1
		.amdhsa_forward_progress 1
		.amdhsa_shared_vgpr_count 0
		.amdhsa_exception_fp_ieee_invalid_op 0
		.amdhsa_exception_fp_denorm_src 0
		.amdhsa_exception_fp_ieee_div_zero 0
		.amdhsa_exception_fp_ieee_overflow 0
		.amdhsa_exception_fp_ieee_underflow 0
		.amdhsa_exception_fp_ieee_inexact 0
		.amdhsa_exception_int_div_zero 0
	.end_amdhsa_kernel
	.section	.text._ZN7rocprim17ROCPRIM_400000_NS6detail17trampoline_kernelINS0_13select_configILj256ELj13ELNS0_17block_load_methodE3ELS4_3ELS4_3ELNS0_20block_scan_algorithmE0ELj4294967295EEENS1_25partition_config_selectorILNS1_17partition_subalgoE4EjNS0_10empty_typeEbEEZZNS1_14partition_implILS8_4ELb0ES6_15HIP_vector_typeIjLj2EENS0_17counting_iteratorIjlEEPS9_SG_NS0_5tupleIJPjSI_NS0_16reverse_iteratorISI_EEEEENSH_IJSG_SG_SG_EEES9_SI_JZNS1_25segmented_radix_sort_implINS0_14default_configELb1EPKlPlSQ_SR_N2at6native12_GLOBAL__N_18offset_tEEE10hipError_tPvRmT1_PNSt15iterator_traitsISZ_E10value_typeET2_T3_PNS10_IS15_E10value_typeET4_jRbjT5_S1B_jjP12ihipStream_tbEUljE_ZNSN_ISO_Lb1ESQ_SR_SQ_SR_SV_EESW_SX_SY_SZ_S13_S14_S15_S18_S19_jS1A_jS1B_S1B_jjS1D_bEUljE0_EEESW_SX_SY_S15_S19_S1B_T6_T7_T9_mT8_S1D_bDpT10_ENKUlT_T0_E_clISt17integral_constantIbLb1EES1R_EEDaS1M_S1N_EUlS1M_E_NS1_11comp_targetILNS1_3genE2ELNS1_11target_archE906ELNS1_3gpuE6ELNS1_3repE0EEENS1_30default_config_static_selectorELNS0_4arch9wavefront6targetE0EEEvSZ_,"axG",@progbits,_ZN7rocprim17ROCPRIM_400000_NS6detail17trampoline_kernelINS0_13select_configILj256ELj13ELNS0_17block_load_methodE3ELS4_3ELS4_3ELNS0_20block_scan_algorithmE0ELj4294967295EEENS1_25partition_config_selectorILNS1_17partition_subalgoE4EjNS0_10empty_typeEbEEZZNS1_14partition_implILS8_4ELb0ES6_15HIP_vector_typeIjLj2EENS0_17counting_iteratorIjlEEPS9_SG_NS0_5tupleIJPjSI_NS0_16reverse_iteratorISI_EEEEENSH_IJSG_SG_SG_EEES9_SI_JZNS1_25segmented_radix_sort_implINS0_14default_configELb1EPKlPlSQ_SR_N2at6native12_GLOBAL__N_18offset_tEEE10hipError_tPvRmT1_PNSt15iterator_traitsISZ_E10value_typeET2_T3_PNS10_IS15_E10value_typeET4_jRbjT5_S1B_jjP12ihipStream_tbEUljE_ZNSN_ISO_Lb1ESQ_SR_SQ_SR_SV_EESW_SX_SY_SZ_S13_S14_S15_S18_S19_jS1A_jS1B_S1B_jjS1D_bEUljE0_EEESW_SX_SY_S15_S19_S1B_T6_T7_T9_mT8_S1D_bDpT10_ENKUlT_T0_E_clISt17integral_constantIbLb1EES1R_EEDaS1M_S1N_EUlS1M_E_NS1_11comp_targetILNS1_3genE2ELNS1_11target_archE906ELNS1_3gpuE6ELNS1_3repE0EEENS1_30default_config_static_selectorELNS0_4arch9wavefront6targetE0EEEvSZ_,comdat
.Lfunc_end646:
	.size	_ZN7rocprim17ROCPRIM_400000_NS6detail17trampoline_kernelINS0_13select_configILj256ELj13ELNS0_17block_load_methodE3ELS4_3ELS4_3ELNS0_20block_scan_algorithmE0ELj4294967295EEENS1_25partition_config_selectorILNS1_17partition_subalgoE4EjNS0_10empty_typeEbEEZZNS1_14partition_implILS8_4ELb0ES6_15HIP_vector_typeIjLj2EENS0_17counting_iteratorIjlEEPS9_SG_NS0_5tupleIJPjSI_NS0_16reverse_iteratorISI_EEEEENSH_IJSG_SG_SG_EEES9_SI_JZNS1_25segmented_radix_sort_implINS0_14default_configELb1EPKlPlSQ_SR_N2at6native12_GLOBAL__N_18offset_tEEE10hipError_tPvRmT1_PNSt15iterator_traitsISZ_E10value_typeET2_T3_PNS10_IS15_E10value_typeET4_jRbjT5_S1B_jjP12ihipStream_tbEUljE_ZNSN_ISO_Lb1ESQ_SR_SQ_SR_SV_EESW_SX_SY_SZ_S13_S14_S15_S18_S19_jS1A_jS1B_S1B_jjS1D_bEUljE0_EEESW_SX_SY_S15_S19_S1B_T6_T7_T9_mT8_S1D_bDpT10_ENKUlT_T0_E_clISt17integral_constantIbLb1EES1R_EEDaS1M_S1N_EUlS1M_E_NS1_11comp_targetILNS1_3genE2ELNS1_11target_archE906ELNS1_3gpuE6ELNS1_3repE0EEENS1_30default_config_static_selectorELNS0_4arch9wavefront6targetE0EEEvSZ_, .Lfunc_end646-_ZN7rocprim17ROCPRIM_400000_NS6detail17trampoline_kernelINS0_13select_configILj256ELj13ELNS0_17block_load_methodE3ELS4_3ELS4_3ELNS0_20block_scan_algorithmE0ELj4294967295EEENS1_25partition_config_selectorILNS1_17partition_subalgoE4EjNS0_10empty_typeEbEEZZNS1_14partition_implILS8_4ELb0ES6_15HIP_vector_typeIjLj2EENS0_17counting_iteratorIjlEEPS9_SG_NS0_5tupleIJPjSI_NS0_16reverse_iteratorISI_EEEEENSH_IJSG_SG_SG_EEES9_SI_JZNS1_25segmented_radix_sort_implINS0_14default_configELb1EPKlPlSQ_SR_N2at6native12_GLOBAL__N_18offset_tEEE10hipError_tPvRmT1_PNSt15iterator_traitsISZ_E10value_typeET2_T3_PNS10_IS15_E10value_typeET4_jRbjT5_S1B_jjP12ihipStream_tbEUljE_ZNSN_ISO_Lb1ESQ_SR_SQ_SR_SV_EESW_SX_SY_SZ_S13_S14_S15_S18_S19_jS1A_jS1B_S1B_jjS1D_bEUljE0_EEESW_SX_SY_S15_S19_S1B_T6_T7_T9_mT8_S1D_bDpT10_ENKUlT_T0_E_clISt17integral_constantIbLb1EES1R_EEDaS1M_S1N_EUlS1M_E_NS1_11comp_targetILNS1_3genE2ELNS1_11target_archE906ELNS1_3gpuE6ELNS1_3repE0EEENS1_30default_config_static_selectorELNS0_4arch9wavefront6targetE0EEEvSZ_
                                        ; -- End function
	.set _ZN7rocprim17ROCPRIM_400000_NS6detail17trampoline_kernelINS0_13select_configILj256ELj13ELNS0_17block_load_methodE3ELS4_3ELS4_3ELNS0_20block_scan_algorithmE0ELj4294967295EEENS1_25partition_config_selectorILNS1_17partition_subalgoE4EjNS0_10empty_typeEbEEZZNS1_14partition_implILS8_4ELb0ES6_15HIP_vector_typeIjLj2EENS0_17counting_iteratorIjlEEPS9_SG_NS0_5tupleIJPjSI_NS0_16reverse_iteratorISI_EEEEENSH_IJSG_SG_SG_EEES9_SI_JZNS1_25segmented_radix_sort_implINS0_14default_configELb1EPKlPlSQ_SR_N2at6native12_GLOBAL__N_18offset_tEEE10hipError_tPvRmT1_PNSt15iterator_traitsISZ_E10value_typeET2_T3_PNS10_IS15_E10value_typeET4_jRbjT5_S1B_jjP12ihipStream_tbEUljE_ZNSN_ISO_Lb1ESQ_SR_SQ_SR_SV_EESW_SX_SY_SZ_S13_S14_S15_S18_S19_jS1A_jS1B_S1B_jjS1D_bEUljE0_EEESW_SX_SY_S15_S19_S1B_T6_T7_T9_mT8_S1D_bDpT10_ENKUlT_T0_E_clISt17integral_constantIbLb1EES1R_EEDaS1M_S1N_EUlS1M_E_NS1_11comp_targetILNS1_3genE2ELNS1_11target_archE906ELNS1_3gpuE6ELNS1_3repE0EEENS1_30default_config_static_selectorELNS0_4arch9wavefront6targetE0EEEvSZ_.num_vgpr, 0
	.set _ZN7rocprim17ROCPRIM_400000_NS6detail17trampoline_kernelINS0_13select_configILj256ELj13ELNS0_17block_load_methodE3ELS4_3ELS4_3ELNS0_20block_scan_algorithmE0ELj4294967295EEENS1_25partition_config_selectorILNS1_17partition_subalgoE4EjNS0_10empty_typeEbEEZZNS1_14partition_implILS8_4ELb0ES6_15HIP_vector_typeIjLj2EENS0_17counting_iteratorIjlEEPS9_SG_NS0_5tupleIJPjSI_NS0_16reverse_iteratorISI_EEEEENSH_IJSG_SG_SG_EEES9_SI_JZNS1_25segmented_radix_sort_implINS0_14default_configELb1EPKlPlSQ_SR_N2at6native12_GLOBAL__N_18offset_tEEE10hipError_tPvRmT1_PNSt15iterator_traitsISZ_E10value_typeET2_T3_PNS10_IS15_E10value_typeET4_jRbjT5_S1B_jjP12ihipStream_tbEUljE_ZNSN_ISO_Lb1ESQ_SR_SQ_SR_SV_EESW_SX_SY_SZ_S13_S14_S15_S18_S19_jS1A_jS1B_S1B_jjS1D_bEUljE0_EEESW_SX_SY_S15_S19_S1B_T6_T7_T9_mT8_S1D_bDpT10_ENKUlT_T0_E_clISt17integral_constantIbLb1EES1R_EEDaS1M_S1N_EUlS1M_E_NS1_11comp_targetILNS1_3genE2ELNS1_11target_archE906ELNS1_3gpuE6ELNS1_3repE0EEENS1_30default_config_static_selectorELNS0_4arch9wavefront6targetE0EEEvSZ_.num_agpr, 0
	.set _ZN7rocprim17ROCPRIM_400000_NS6detail17trampoline_kernelINS0_13select_configILj256ELj13ELNS0_17block_load_methodE3ELS4_3ELS4_3ELNS0_20block_scan_algorithmE0ELj4294967295EEENS1_25partition_config_selectorILNS1_17partition_subalgoE4EjNS0_10empty_typeEbEEZZNS1_14partition_implILS8_4ELb0ES6_15HIP_vector_typeIjLj2EENS0_17counting_iteratorIjlEEPS9_SG_NS0_5tupleIJPjSI_NS0_16reverse_iteratorISI_EEEEENSH_IJSG_SG_SG_EEES9_SI_JZNS1_25segmented_radix_sort_implINS0_14default_configELb1EPKlPlSQ_SR_N2at6native12_GLOBAL__N_18offset_tEEE10hipError_tPvRmT1_PNSt15iterator_traitsISZ_E10value_typeET2_T3_PNS10_IS15_E10value_typeET4_jRbjT5_S1B_jjP12ihipStream_tbEUljE_ZNSN_ISO_Lb1ESQ_SR_SQ_SR_SV_EESW_SX_SY_SZ_S13_S14_S15_S18_S19_jS1A_jS1B_S1B_jjS1D_bEUljE0_EEESW_SX_SY_S15_S19_S1B_T6_T7_T9_mT8_S1D_bDpT10_ENKUlT_T0_E_clISt17integral_constantIbLb1EES1R_EEDaS1M_S1N_EUlS1M_E_NS1_11comp_targetILNS1_3genE2ELNS1_11target_archE906ELNS1_3gpuE6ELNS1_3repE0EEENS1_30default_config_static_selectorELNS0_4arch9wavefront6targetE0EEEvSZ_.numbered_sgpr, 0
	.set _ZN7rocprim17ROCPRIM_400000_NS6detail17trampoline_kernelINS0_13select_configILj256ELj13ELNS0_17block_load_methodE3ELS4_3ELS4_3ELNS0_20block_scan_algorithmE0ELj4294967295EEENS1_25partition_config_selectorILNS1_17partition_subalgoE4EjNS0_10empty_typeEbEEZZNS1_14partition_implILS8_4ELb0ES6_15HIP_vector_typeIjLj2EENS0_17counting_iteratorIjlEEPS9_SG_NS0_5tupleIJPjSI_NS0_16reverse_iteratorISI_EEEEENSH_IJSG_SG_SG_EEES9_SI_JZNS1_25segmented_radix_sort_implINS0_14default_configELb1EPKlPlSQ_SR_N2at6native12_GLOBAL__N_18offset_tEEE10hipError_tPvRmT1_PNSt15iterator_traitsISZ_E10value_typeET2_T3_PNS10_IS15_E10value_typeET4_jRbjT5_S1B_jjP12ihipStream_tbEUljE_ZNSN_ISO_Lb1ESQ_SR_SQ_SR_SV_EESW_SX_SY_SZ_S13_S14_S15_S18_S19_jS1A_jS1B_S1B_jjS1D_bEUljE0_EEESW_SX_SY_S15_S19_S1B_T6_T7_T9_mT8_S1D_bDpT10_ENKUlT_T0_E_clISt17integral_constantIbLb1EES1R_EEDaS1M_S1N_EUlS1M_E_NS1_11comp_targetILNS1_3genE2ELNS1_11target_archE906ELNS1_3gpuE6ELNS1_3repE0EEENS1_30default_config_static_selectorELNS0_4arch9wavefront6targetE0EEEvSZ_.num_named_barrier, 0
	.set _ZN7rocprim17ROCPRIM_400000_NS6detail17trampoline_kernelINS0_13select_configILj256ELj13ELNS0_17block_load_methodE3ELS4_3ELS4_3ELNS0_20block_scan_algorithmE0ELj4294967295EEENS1_25partition_config_selectorILNS1_17partition_subalgoE4EjNS0_10empty_typeEbEEZZNS1_14partition_implILS8_4ELb0ES6_15HIP_vector_typeIjLj2EENS0_17counting_iteratorIjlEEPS9_SG_NS0_5tupleIJPjSI_NS0_16reverse_iteratorISI_EEEEENSH_IJSG_SG_SG_EEES9_SI_JZNS1_25segmented_radix_sort_implINS0_14default_configELb1EPKlPlSQ_SR_N2at6native12_GLOBAL__N_18offset_tEEE10hipError_tPvRmT1_PNSt15iterator_traitsISZ_E10value_typeET2_T3_PNS10_IS15_E10value_typeET4_jRbjT5_S1B_jjP12ihipStream_tbEUljE_ZNSN_ISO_Lb1ESQ_SR_SQ_SR_SV_EESW_SX_SY_SZ_S13_S14_S15_S18_S19_jS1A_jS1B_S1B_jjS1D_bEUljE0_EEESW_SX_SY_S15_S19_S1B_T6_T7_T9_mT8_S1D_bDpT10_ENKUlT_T0_E_clISt17integral_constantIbLb1EES1R_EEDaS1M_S1N_EUlS1M_E_NS1_11comp_targetILNS1_3genE2ELNS1_11target_archE906ELNS1_3gpuE6ELNS1_3repE0EEENS1_30default_config_static_selectorELNS0_4arch9wavefront6targetE0EEEvSZ_.private_seg_size, 0
	.set _ZN7rocprim17ROCPRIM_400000_NS6detail17trampoline_kernelINS0_13select_configILj256ELj13ELNS0_17block_load_methodE3ELS4_3ELS4_3ELNS0_20block_scan_algorithmE0ELj4294967295EEENS1_25partition_config_selectorILNS1_17partition_subalgoE4EjNS0_10empty_typeEbEEZZNS1_14partition_implILS8_4ELb0ES6_15HIP_vector_typeIjLj2EENS0_17counting_iteratorIjlEEPS9_SG_NS0_5tupleIJPjSI_NS0_16reverse_iteratorISI_EEEEENSH_IJSG_SG_SG_EEES9_SI_JZNS1_25segmented_radix_sort_implINS0_14default_configELb1EPKlPlSQ_SR_N2at6native12_GLOBAL__N_18offset_tEEE10hipError_tPvRmT1_PNSt15iterator_traitsISZ_E10value_typeET2_T3_PNS10_IS15_E10value_typeET4_jRbjT5_S1B_jjP12ihipStream_tbEUljE_ZNSN_ISO_Lb1ESQ_SR_SQ_SR_SV_EESW_SX_SY_SZ_S13_S14_S15_S18_S19_jS1A_jS1B_S1B_jjS1D_bEUljE0_EEESW_SX_SY_S15_S19_S1B_T6_T7_T9_mT8_S1D_bDpT10_ENKUlT_T0_E_clISt17integral_constantIbLb1EES1R_EEDaS1M_S1N_EUlS1M_E_NS1_11comp_targetILNS1_3genE2ELNS1_11target_archE906ELNS1_3gpuE6ELNS1_3repE0EEENS1_30default_config_static_selectorELNS0_4arch9wavefront6targetE0EEEvSZ_.uses_vcc, 0
	.set _ZN7rocprim17ROCPRIM_400000_NS6detail17trampoline_kernelINS0_13select_configILj256ELj13ELNS0_17block_load_methodE3ELS4_3ELS4_3ELNS0_20block_scan_algorithmE0ELj4294967295EEENS1_25partition_config_selectorILNS1_17partition_subalgoE4EjNS0_10empty_typeEbEEZZNS1_14partition_implILS8_4ELb0ES6_15HIP_vector_typeIjLj2EENS0_17counting_iteratorIjlEEPS9_SG_NS0_5tupleIJPjSI_NS0_16reverse_iteratorISI_EEEEENSH_IJSG_SG_SG_EEES9_SI_JZNS1_25segmented_radix_sort_implINS0_14default_configELb1EPKlPlSQ_SR_N2at6native12_GLOBAL__N_18offset_tEEE10hipError_tPvRmT1_PNSt15iterator_traitsISZ_E10value_typeET2_T3_PNS10_IS15_E10value_typeET4_jRbjT5_S1B_jjP12ihipStream_tbEUljE_ZNSN_ISO_Lb1ESQ_SR_SQ_SR_SV_EESW_SX_SY_SZ_S13_S14_S15_S18_S19_jS1A_jS1B_S1B_jjS1D_bEUljE0_EEESW_SX_SY_S15_S19_S1B_T6_T7_T9_mT8_S1D_bDpT10_ENKUlT_T0_E_clISt17integral_constantIbLb1EES1R_EEDaS1M_S1N_EUlS1M_E_NS1_11comp_targetILNS1_3genE2ELNS1_11target_archE906ELNS1_3gpuE6ELNS1_3repE0EEENS1_30default_config_static_selectorELNS0_4arch9wavefront6targetE0EEEvSZ_.uses_flat_scratch, 0
	.set _ZN7rocprim17ROCPRIM_400000_NS6detail17trampoline_kernelINS0_13select_configILj256ELj13ELNS0_17block_load_methodE3ELS4_3ELS4_3ELNS0_20block_scan_algorithmE0ELj4294967295EEENS1_25partition_config_selectorILNS1_17partition_subalgoE4EjNS0_10empty_typeEbEEZZNS1_14partition_implILS8_4ELb0ES6_15HIP_vector_typeIjLj2EENS0_17counting_iteratorIjlEEPS9_SG_NS0_5tupleIJPjSI_NS0_16reverse_iteratorISI_EEEEENSH_IJSG_SG_SG_EEES9_SI_JZNS1_25segmented_radix_sort_implINS0_14default_configELb1EPKlPlSQ_SR_N2at6native12_GLOBAL__N_18offset_tEEE10hipError_tPvRmT1_PNSt15iterator_traitsISZ_E10value_typeET2_T3_PNS10_IS15_E10value_typeET4_jRbjT5_S1B_jjP12ihipStream_tbEUljE_ZNSN_ISO_Lb1ESQ_SR_SQ_SR_SV_EESW_SX_SY_SZ_S13_S14_S15_S18_S19_jS1A_jS1B_S1B_jjS1D_bEUljE0_EEESW_SX_SY_S15_S19_S1B_T6_T7_T9_mT8_S1D_bDpT10_ENKUlT_T0_E_clISt17integral_constantIbLb1EES1R_EEDaS1M_S1N_EUlS1M_E_NS1_11comp_targetILNS1_3genE2ELNS1_11target_archE906ELNS1_3gpuE6ELNS1_3repE0EEENS1_30default_config_static_selectorELNS0_4arch9wavefront6targetE0EEEvSZ_.has_dyn_sized_stack, 0
	.set _ZN7rocprim17ROCPRIM_400000_NS6detail17trampoline_kernelINS0_13select_configILj256ELj13ELNS0_17block_load_methodE3ELS4_3ELS4_3ELNS0_20block_scan_algorithmE0ELj4294967295EEENS1_25partition_config_selectorILNS1_17partition_subalgoE4EjNS0_10empty_typeEbEEZZNS1_14partition_implILS8_4ELb0ES6_15HIP_vector_typeIjLj2EENS0_17counting_iteratorIjlEEPS9_SG_NS0_5tupleIJPjSI_NS0_16reverse_iteratorISI_EEEEENSH_IJSG_SG_SG_EEES9_SI_JZNS1_25segmented_radix_sort_implINS0_14default_configELb1EPKlPlSQ_SR_N2at6native12_GLOBAL__N_18offset_tEEE10hipError_tPvRmT1_PNSt15iterator_traitsISZ_E10value_typeET2_T3_PNS10_IS15_E10value_typeET4_jRbjT5_S1B_jjP12ihipStream_tbEUljE_ZNSN_ISO_Lb1ESQ_SR_SQ_SR_SV_EESW_SX_SY_SZ_S13_S14_S15_S18_S19_jS1A_jS1B_S1B_jjS1D_bEUljE0_EEESW_SX_SY_S15_S19_S1B_T6_T7_T9_mT8_S1D_bDpT10_ENKUlT_T0_E_clISt17integral_constantIbLb1EES1R_EEDaS1M_S1N_EUlS1M_E_NS1_11comp_targetILNS1_3genE2ELNS1_11target_archE906ELNS1_3gpuE6ELNS1_3repE0EEENS1_30default_config_static_selectorELNS0_4arch9wavefront6targetE0EEEvSZ_.has_recursion, 0
	.set _ZN7rocprim17ROCPRIM_400000_NS6detail17trampoline_kernelINS0_13select_configILj256ELj13ELNS0_17block_load_methodE3ELS4_3ELS4_3ELNS0_20block_scan_algorithmE0ELj4294967295EEENS1_25partition_config_selectorILNS1_17partition_subalgoE4EjNS0_10empty_typeEbEEZZNS1_14partition_implILS8_4ELb0ES6_15HIP_vector_typeIjLj2EENS0_17counting_iteratorIjlEEPS9_SG_NS0_5tupleIJPjSI_NS0_16reverse_iteratorISI_EEEEENSH_IJSG_SG_SG_EEES9_SI_JZNS1_25segmented_radix_sort_implINS0_14default_configELb1EPKlPlSQ_SR_N2at6native12_GLOBAL__N_18offset_tEEE10hipError_tPvRmT1_PNSt15iterator_traitsISZ_E10value_typeET2_T3_PNS10_IS15_E10value_typeET4_jRbjT5_S1B_jjP12ihipStream_tbEUljE_ZNSN_ISO_Lb1ESQ_SR_SQ_SR_SV_EESW_SX_SY_SZ_S13_S14_S15_S18_S19_jS1A_jS1B_S1B_jjS1D_bEUljE0_EEESW_SX_SY_S15_S19_S1B_T6_T7_T9_mT8_S1D_bDpT10_ENKUlT_T0_E_clISt17integral_constantIbLb1EES1R_EEDaS1M_S1N_EUlS1M_E_NS1_11comp_targetILNS1_3genE2ELNS1_11target_archE906ELNS1_3gpuE6ELNS1_3repE0EEENS1_30default_config_static_selectorELNS0_4arch9wavefront6targetE0EEEvSZ_.has_indirect_call, 0
	.section	.AMDGPU.csdata,"",@progbits
; Kernel info:
; codeLenInByte = 0
; TotalNumSgprs: 0
; NumVgprs: 0
; ScratchSize: 0
; MemoryBound: 0
; FloatMode: 240
; IeeeMode: 1
; LDSByteSize: 0 bytes/workgroup (compile time only)
; SGPRBlocks: 0
; VGPRBlocks: 0
; NumSGPRsForWavesPerEU: 1
; NumVGPRsForWavesPerEU: 1
; Occupancy: 16
; WaveLimiterHint : 0
; COMPUTE_PGM_RSRC2:SCRATCH_EN: 0
; COMPUTE_PGM_RSRC2:USER_SGPR: 6
; COMPUTE_PGM_RSRC2:TRAP_HANDLER: 0
; COMPUTE_PGM_RSRC2:TGID_X_EN: 1
; COMPUTE_PGM_RSRC2:TGID_Y_EN: 0
; COMPUTE_PGM_RSRC2:TGID_Z_EN: 0
; COMPUTE_PGM_RSRC2:TIDIG_COMP_CNT: 0
	.section	.text._ZN7rocprim17ROCPRIM_400000_NS6detail17trampoline_kernelINS0_13select_configILj256ELj13ELNS0_17block_load_methodE3ELS4_3ELS4_3ELNS0_20block_scan_algorithmE0ELj4294967295EEENS1_25partition_config_selectorILNS1_17partition_subalgoE4EjNS0_10empty_typeEbEEZZNS1_14partition_implILS8_4ELb0ES6_15HIP_vector_typeIjLj2EENS0_17counting_iteratorIjlEEPS9_SG_NS0_5tupleIJPjSI_NS0_16reverse_iteratorISI_EEEEENSH_IJSG_SG_SG_EEES9_SI_JZNS1_25segmented_radix_sort_implINS0_14default_configELb1EPKlPlSQ_SR_N2at6native12_GLOBAL__N_18offset_tEEE10hipError_tPvRmT1_PNSt15iterator_traitsISZ_E10value_typeET2_T3_PNS10_IS15_E10value_typeET4_jRbjT5_S1B_jjP12ihipStream_tbEUljE_ZNSN_ISO_Lb1ESQ_SR_SQ_SR_SV_EESW_SX_SY_SZ_S13_S14_S15_S18_S19_jS1A_jS1B_S1B_jjS1D_bEUljE0_EEESW_SX_SY_S15_S19_S1B_T6_T7_T9_mT8_S1D_bDpT10_ENKUlT_T0_E_clISt17integral_constantIbLb1EES1R_EEDaS1M_S1N_EUlS1M_E_NS1_11comp_targetILNS1_3genE10ELNS1_11target_archE1200ELNS1_3gpuE4ELNS1_3repE0EEENS1_30default_config_static_selectorELNS0_4arch9wavefront6targetE0EEEvSZ_,"axG",@progbits,_ZN7rocprim17ROCPRIM_400000_NS6detail17trampoline_kernelINS0_13select_configILj256ELj13ELNS0_17block_load_methodE3ELS4_3ELS4_3ELNS0_20block_scan_algorithmE0ELj4294967295EEENS1_25partition_config_selectorILNS1_17partition_subalgoE4EjNS0_10empty_typeEbEEZZNS1_14partition_implILS8_4ELb0ES6_15HIP_vector_typeIjLj2EENS0_17counting_iteratorIjlEEPS9_SG_NS0_5tupleIJPjSI_NS0_16reverse_iteratorISI_EEEEENSH_IJSG_SG_SG_EEES9_SI_JZNS1_25segmented_radix_sort_implINS0_14default_configELb1EPKlPlSQ_SR_N2at6native12_GLOBAL__N_18offset_tEEE10hipError_tPvRmT1_PNSt15iterator_traitsISZ_E10value_typeET2_T3_PNS10_IS15_E10value_typeET4_jRbjT5_S1B_jjP12ihipStream_tbEUljE_ZNSN_ISO_Lb1ESQ_SR_SQ_SR_SV_EESW_SX_SY_SZ_S13_S14_S15_S18_S19_jS1A_jS1B_S1B_jjS1D_bEUljE0_EEESW_SX_SY_S15_S19_S1B_T6_T7_T9_mT8_S1D_bDpT10_ENKUlT_T0_E_clISt17integral_constantIbLb1EES1R_EEDaS1M_S1N_EUlS1M_E_NS1_11comp_targetILNS1_3genE10ELNS1_11target_archE1200ELNS1_3gpuE4ELNS1_3repE0EEENS1_30default_config_static_selectorELNS0_4arch9wavefront6targetE0EEEvSZ_,comdat
	.globl	_ZN7rocprim17ROCPRIM_400000_NS6detail17trampoline_kernelINS0_13select_configILj256ELj13ELNS0_17block_load_methodE3ELS4_3ELS4_3ELNS0_20block_scan_algorithmE0ELj4294967295EEENS1_25partition_config_selectorILNS1_17partition_subalgoE4EjNS0_10empty_typeEbEEZZNS1_14partition_implILS8_4ELb0ES6_15HIP_vector_typeIjLj2EENS0_17counting_iteratorIjlEEPS9_SG_NS0_5tupleIJPjSI_NS0_16reverse_iteratorISI_EEEEENSH_IJSG_SG_SG_EEES9_SI_JZNS1_25segmented_radix_sort_implINS0_14default_configELb1EPKlPlSQ_SR_N2at6native12_GLOBAL__N_18offset_tEEE10hipError_tPvRmT1_PNSt15iterator_traitsISZ_E10value_typeET2_T3_PNS10_IS15_E10value_typeET4_jRbjT5_S1B_jjP12ihipStream_tbEUljE_ZNSN_ISO_Lb1ESQ_SR_SQ_SR_SV_EESW_SX_SY_SZ_S13_S14_S15_S18_S19_jS1A_jS1B_S1B_jjS1D_bEUljE0_EEESW_SX_SY_S15_S19_S1B_T6_T7_T9_mT8_S1D_bDpT10_ENKUlT_T0_E_clISt17integral_constantIbLb1EES1R_EEDaS1M_S1N_EUlS1M_E_NS1_11comp_targetILNS1_3genE10ELNS1_11target_archE1200ELNS1_3gpuE4ELNS1_3repE0EEENS1_30default_config_static_selectorELNS0_4arch9wavefront6targetE0EEEvSZ_ ; -- Begin function _ZN7rocprim17ROCPRIM_400000_NS6detail17trampoline_kernelINS0_13select_configILj256ELj13ELNS0_17block_load_methodE3ELS4_3ELS4_3ELNS0_20block_scan_algorithmE0ELj4294967295EEENS1_25partition_config_selectorILNS1_17partition_subalgoE4EjNS0_10empty_typeEbEEZZNS1_14partition_implILS8_4ELb0ES6_15HIP_vector_typeIjLj2EENS0_17counting_iteratorIjlEEPS9_SG_NS0_5tupleIJPjSI_NS0_16reverse_iteratorISI_EEEEENSH_IJSG_SG_SG_EEES9_SI_JZNS1_25segmented_radix_sort_implINS0_14default_configELb1EPKlPlSQ_SR_N2at6native12_GLOBAL__N_18offset_tEEE10hipError_tPvRmT1_PNSt15iterator_traitsISZ_E10value_typeET2_T3_PNS10_IS15_E10value_typeET4_jRbjT5_S1B_jjP12ihipStream_tbEUljE_ZNSN_ISO_Lb1ESQ_SR_SQ_SR_SV_EESW_SX_SY_SZ_S13_S14_S15_S18_S19_jS1A_jS1B_S1B_jjS1D_bEUljE0_EEESW_SX_SY_S15_S19_S1B_T6_T7_T9_mT8_S1D_bDpT10_ENKUlT_T0_E_clISt17integral_constantIbLb1EES1R_EEDaS1M_S1N_EUlS1M_E_NS1_11comp_targetILNS1_3genE10ELNS1_11target_archE1200ELNS1_3gpuE4ELNS1_3repE0EEENS1_30default_config_static_selectorELNS0_4arch9wavefront6targetE0EEEvSZ_
	.p2align	8
	.type	_ZN7rocprim17ROCPRIM_400000_NS6detail17trampoline_kernelINS0_13select_configILj256ELj13ELNS0_17block_load_methodE3ELS4_3ELS4_3ELNS0_20block_scan_algorithmE0ELj4294967295EEENS1_25partition_config_selectorILNS1_17partition_subalgoE4EjNS0_10empty_typeEbEEZZNS1_14partition_implILS8_4ELb0ES6_15HIP_vector_typeIjLj2EENS0_17counting_iteratorIjlEEPS9_SG_NS0_5tupleIJPjSI_NS0_16reverse_iteratorISI_EEEEENSH_IJSG_SG_SG_EEES9_SI_JZNS1_25segmented_radix_sort_implINS0_14default_configELb1EPKlPlSQ_SR_N2at6native12_GLOBAL__N_18offset_tEEE10hipError_tPvRmT1_PNSt15iterator_traitsISZ_E10value_typeET2_T3_PNS10_IS15_E10value_typeET4_jRbjT5_S1B_jjP12ihipStream_tbEUljE_ZNSN_ISO_Lb1ESQ_SR_SQ_SR_SV_EESW_SX_SY_SZ_S13_S14_S15_S18_S19_jS1A_jS1B_S1B_jjS1D_bEUljE0_EEESW_SX_SY_S15_S19_S1B_T6_T7_T9_mT8_S1D_bDpT10_ENKUlT_T0_E_clISt17integral_constantIbLb1EES1R_EEDaS1M_S1N_EUlS1M_E_NS1_11comp_targetILNS1_3genE10ELNS1_11target_archE1200ELNS1_3gpuE4ELNS1_3repE0EEENS1_30default_config_static_selectorELNS0_4arch9wavefront6targetE0EEEvSZ_,@function
_ZN7rocprim17ROCPRIM_400000_NS6detail17trampoline_kernelINS0_13select_configILj256ELj13ELNS0_17block_load_methodE3ELS4_3ELS4_3ELNS0_20block_scan_algorithmE0ELj4294967295EEENS1_25partition_config_selectorILNS1_17partition_subalgoE4EjNS0_10empty_typeEbEEZZNS1_14partition_implILS8_4ELb0ES6_15HIP_vector_typeIjLj2EENS0_17counting_iteratorIjlEEPS9_SG_NS0_5tupleIJPjSI_NS0_16reverse_iteratorISI_EEEEENSH_IJSG_SG_SG_EEES9_SI_JZNS1_25segmented_radix_sort_implINS0_14default_configELb1EPKlPlSQ_SR_N2at6native12_GLOBAL__N_18offset_tEEE10hipError_tPvRmT1_PNSt15iterator_traitsISZ_E10value_typeET2_T3_PNS10_IS15_E10value_typeET4_jRbjT5_S1B_jjP12ihipStream_tbEUljE_ZNSN_ISO_Lb1ESQ_SR_SQ_SR_SV_EESW_SX_SY_SZ_S13_S14_S15_S18_S19_jS1A_jS1B_S1B_jjS1D_bEUljE0_EEESW_SX_SY_S15_S19_S1B_T6_T7_T9_mT8_S1D_bDpT10_ENKUlT_T0_E_clISt17integral_constantIbLb1EES1R_EEDaS1M_S1N_EUlS1M_E_NS1_11comp_targetILNS1_3genE10ELNS1_11target_archE1200ELNS1_3gpuE4ELNS1_3repE0EEENS1_30default_config_static_selectorELNS0_4arch9wavefront6targetE0EEEvSZ_: ; @_ZN7rocprim17ROCPRIM_400000_NS6detail17trampoline_kernelINS0_13select_configILj256ELj13ELNS0_17block_load_methodE3ELS4_3ELS4_3ELNS0_20block_scan_algorithmE0ELj4294967295EEENS1_25partition_config_selectorILNS1_17partition_subalgoE4EjNS0_10empty_typeEbEEZZNS1_14partition_implILS8_4ELb0ES6_15HIP_vector_typeIjLj2EENS0_17counting_iteratorIjlEEPS9_SG_NS0_5tupleIJPjSI_NS0_16reverse_iteratorISI_EEEEENSH_IJSG_SG_SG_EEES9_SI_JZNS1_25segmented_radix_sort_implINS0_14default_configELb1EPKlPlSQ_SR_N2at6native12_GLOBAL__N_18offset_tEEE10hipError_tPvRmT1_PNSt15iterator_traitsISZ_E10value_typeET2_T3_PNS10_IS15_E10value_typeET4_jRbjT5_S1B_jjP12ihipStream_tbEUljE_ZNSN_ISO_Lb1ESQ_SR_SQ_SR_SV_EESW_SX_SY_SZ_S13_S14_S15_S18_S19_jS1A_jS1B_S1B_jjS1D_bEUljE0_EEESW_SX_SY_S15_S19_S1B_T6_T7_T9_mT8_S1D_bDpT10_ENKUlT_T0_E_clISt17integral_constantIbLb1EES1R_EEDaS1M_S1N_EUlS1M_E_NS1_11comp_targetILNS1_3genE10ELNS1_11target_archE1200ELNS1_3gpuE4ELNS1_3repE0EEENS1_30default_config_static_selectorELNS0_4arch9wavefront6targetE0EEEvSZ_
; %bb.0:
	.section	.rodata,"a",@progbits
	.p2align	6, 0x0
	.amdhsa_kernel _ZN7rocprim17ROCPRIM_400000_NS6detail17trampoline_kernelINS0_13select_configILj256ELj13ELNS0_17block_load_methodE3ELS4_3ELS4_3ELNS0_20block_scan_algorithmE0ELj4294967295EEENS1_25partition_config_selectorILNS1_17partition_subalgoE4EjNS0_10empty_typeEbEEZZNS1_14partition_implILS8_4ELb0ES6_15HIP_vector_typeIjLj2EENS0_17counting_iteratorIjlEEPS9_SG_NS0_5tupleIJPjSI_NS0_16reverse_iteratorISI_EEEEENSH_IJSG_SG_SG_EEES9_SI_JZNS1_25segmented_radix_sort_implINS0_14default_configELb1EPKlPlSQ_SR_N2at6native12_GLOBAL__N_18offset_tEEE10hipError_tPvRmT1_PNSt15iterator_traitsISZ_E10value_typeET2_T3_PNS10_IS15_E10value_typeET4_jRbjT5_S1B_jjP12ihipStream_tbEUljE_ZNSN_ISO_Lb1ESQ_SR_SQ_SR_SV_EESW_SX_SY_SZ_S13_S14_S15_S18_S19_jS1A_jS1B_S1B_jjS1D_bEUljE0_EEESW_SX_SY_S15_S19_S1B_T6_T7_T9_mT8_S1D_bDpT10_ENKUlT_T0_E_clISt17integral_constantIbLb1EES1R_EEDaS1M_S1N_EUlS1M_E_NS1_11comp_targetILNS1_3genE10ELNS1_11target_archE1200ELNS1_3gpuE4ELNS1_3repE0EEENS1_30default_config_static_selectorELNS0_4arch9wavefront6targetE0EEEvSZ_
		.amdhsa_group_segment_fixed_size 0
		.amdhsa_private_segment_fixed_size 0
		.amdhsa_kernarg_size 184
		.amdhsa_user_sgpr_count 6
		.amdhsa_user_sgpr_private_segment_buffer 1
		.amdhsa_user_sgpr_dispatch_ptr 0
		.amdhsa_user_sgpr_queue_ptr 0
		.amdhsa_user_sgpr_kernarg_segment_ptr 1
		.amdhsa_user_sgpr_dispatch_id 0
		.amdhsa_user_sgpr_flat_scratch_init 0
		.amdhsa_user_sgpr_private_segment_size 0
		.amdhsa_wavefront_size32 1
		.amdhsa_uses_dynamic_stack 0
		.amdhsa_system_sgpr_private_segment_wavefront_offset 0
		.amdhsa_system_sgpr_workgroup_id_x 1
		.amdhsa_system_sgpr_workgroup_id_y 0
		.amdhsa_system_sgpr_workgroup_id_z 0
		.amdhsa_system_sgpr_workgroup_info 0
		.amdhsa_system_vgpr_workitem_id 0
		.amdhsa_next_free_vgpr 1
		.amdhsa_next_free_sgpr 1
		.amdhsa_reserve_vcc 0
		.amdhsa_reserve_flat_scratch 0
		.amdhsa_float_round_mode_32 0
		.amdhsa_float_round_mode_16_64 0
		.amdhsa_float_denorm_mode_32 3
		.amdhsa_float_denorm_mode_16_64 3
		.amdhsa_dx10_clamp 1
		.amdhsa_ieee_mode 1
		.amdhsa_fp16_overflow 0
		.amdhsa_workgroup_processor_mode 1
		.amdhsa_memory_ordered 1
		.amdhsa_forward_progress 1
		.amdhsa_shared_vgpr_count 0
		.amdhsa_exception_fp_ieee_invalid_op 0
		.amdhsa_exception_fp_denorm_src 0
		.amdhsa_exception_fp_ieee_div_zero 0
		.amdhsa_exception_fp_ieee_overflow 0
		.amdhsa_exception_fp_ieee_underflow 0
		.amdhsa_exception_fp_ieee_inexact 0
		.amdhsa_exception_int_div_zero 0
	.end_amdhsa_kernel
	.section	.text._ZN7rocprim17ROCPRIM_400000_NS6detail17trampoline_kernelINS0_13select_configILj256ELj13ELNS0_17block_load_methodE3ELS4_3ELS4_3ELNS0_20block_scan_algorithmE0ELj4294967295EEENS1_25partition_config_selectorILNS1_17partition_subalgoE4EjNS0_10empty_typeEbEEZZNS1_14partition_implILS8_4ELb0ES6_15HIP_vector_typeIjLj2EENS0_17counting_iteratorIjlEEPS9_SG_NS0_5tupleIJPjSI_NS0_16reverse_iteratorISI_EEEEENSH_IJSG_SG_SG_EEES9_SI_JZNS1_25segmented_radix_sort_implINS0_14default_configELb1EPKlPlSQ_SR_N2at6native12_GLOBAL__N_18offset_tEEE10hipError_tPvRmT1_PNSt15iterator_traitsISZ_E10value_typeET2_T3_PNS10_IS15_E10value_typeET4_jRbjT5_S1B_jjP12ihipStream_tbEUljE_ZNSN_ISO_Lb1ESQ_SR_SQ_SR_SV_EESW_SX_SY_SZ_S13_S14_S15_S18_S19_jS1A_jS1B_S1B_jjS1D_bEUljE0_EEESW_SX_SY_S15_S19_S1B_T6_T7_T9_mT8_S1D_bDpT10_ENKUlT_T0_E_clISt17integral_constantIbLb1EES1R_EEDaS1M_S1N_EUlS1M_E_NS1_11comp_targetILNS1_3genE10ELNS1_11target_archE1200ELNS1_3gpuE4ELNS1_3repE0EEENS1_30default_config_static_selectorELNS0_4arch9wavefront6targetE0EEEvSZ_,"axG",@progbits,_ZN7rocprim17ROCPRIM_400000_NS6detail17trampoline_kernelINS0_13select_configILj256ELj13ELNS0_17block_load_methodE3ELS4_3ELS4_3ELNS0_20block_scan_algorithmE0ELj4294967295EEENS1_25partition_config_selectorILNS1_17partition_subalgoE4EjNS0_10empty_typeEbEEZZNS1_14partition_implILS8_4ELb0ES6_15HIP_vector_typeIjLj2EENS0_17counting_iteratorIjlEEPS9_SG_NS0_5tupleIJPjSI_NS0_16reverse_iteratorISI_EEEEENSH_IJSG_SG_SG_EEES9_SI_JZNS1_25segmented_radix_sort_implINS0_14default_configELb1EPKlPlSQ_SR_N2at6native12_GLOBAL__N_18offset_tEEE10hipError_tPvRmT1_PNSt15iterator_traitsISZ_E10value_typeET2_T3_PNS10_IS15_E10value_typeET4_jRbjT5_S1B_jjP12ihipStream_tbEUljE_ZNSN_ISO_Lb1ESQ_SR_SQ_SR_SV_EESW_SX_SY_SZ_S13_S14_S15_S18_S19_jS1A_jS1B_S1B_jjS1D_bEUljE0_EEESW_SX_SY_S15_S19_S1B_T6_T7_T9_mT8_S1D_bDpT10_ENKUlT_T0_E_clISt17integral_constantIbLb1EES1R_EEDaS1M_S1N_EUlS1M_E_NS1_11comp_targetILNS1_3genE10ELNS1_11target_archE1200ELNS1_3gpuE4ELNS1_3repE0EEENS1_30default_config_static_selectorELNS0_4arch9wavefront6targetE0EEEvSZ_,comdat
.Lfunc_end647:
	.size	_ZN7rocprim17ROCPRIM_400000_NS6detail17trampoline_kernelINS0_13select_configILj256ELj13ELNS0_17block_load_methodE3ELS4_3ELS4_3ELNS0_20block_scan_algorithmE0ELj4294967295EEENS1_25partition_config_selectorILNS1_17partition_subalgoE4EjNS0_10empty_typeEbEEZZNS1_14partition_implILS8_4ELb0ES6_15HIP_vector_typeIjLj2EENS0_17counting_iteratorIjlEEPS9_SG_NS0_5tupleIJPjSI_NS0_16reverse_iteratorISI_EEEEENSH_IJSG_SG_SG_EEES9_SI_JZNS1_25segmented_radix_sort_implINS0_14default_configELb1EPKlPlSQ_SR_N2at6native12_GLOBAL__N_18offset_tEEE10hipError_tPvRmT1_PNSt15iterator_traitsISZ_E10value_typeET2_T3_PNS10_IS15_E10value_typeET4_jRbjT5_S1B_jjP12ihipStream_tbEUljE_ZNSN_ISO_Lb1ESQ_SR_SQ_SR_SV_EESW_SX_SY_SZ_S13_S14_S15_S18_S19_jS1A_jS1B_S1B_jjS1D_bEUljE0_EEESW_SX_SY_S15_S19_S1B_T6_T7_T9_mT8_S1D_bDpT10_ENKUlT_T0_E_clISt17integral_constantIbLb1EES1R_EEDaS1M_S1N_EUlS1M_E_NS1_11comp_targetILNS1_3genE10ELNS1_11target_archE1200ELNS1_3gpuE4ELNS1_3repE0EEENS1_30default_config_static_selectorELNS0_4arch9wavefront6targetE0EEEvSZ_, .Lfunc_end647-_ZN7rocprim17ROCPRIM_400000_NS6detail17trampoline_kernelINS0_13select_configILj256ELj13ELNS0_17block_load_methodE3ELS4_3ELS4_3ELNS0_20block_scan_algorithmE0ELj4294967295EEENS1_25partition_config_selectorILNS1_17partition_subalgoE4EjNS0_10empty_typeEbEEZZNS1_14partition_implILS8_4ELb0ES6_15HIP_vector_typeIjLj2EENS0_17counting_iteratorIjlEEPS9_SG_NS0_5tupleIJPjSI_NS0_16reverse_iteratorISI_EEEEENSH_IJSG_SG_SG_EEES9_SI_JZNS1_25segmented_radix_sort_implINS0_14default_configELb1EPKlPlSQ_SR_N2at6native12_GLOBAL__N_18offset_tEEE10hipError_tPvRmT1_PNSt15iterator_traitsISZ_E10value_typeET2_T3_PNS10_IS15_E10value_typeET4_jRbjT5_S1B_jjP12ihipStream_tbEUljE_ZNSN_ISO_Lb1ESQ_SR_SQ_SR_SV_EESW_SX_SY_SZ_S13_S14_S15_S18_S19_jS1A_jS1B_S1B_jjS1D_bEUljE0_EEESW_SX_SY_S15_S19_S1B_T6_T7_T9_mT8_S1D_bDpT10_ENKUlT_T0_E_clISt17integral_constantIbLb1EES1R_EEDaS1M_S1N_EUlS1M_E_NS1_11comp_targetILNS1_3genE10ELNS1_11target_archE1200ELNS1_3gpuE4ELNS1_3repE0EEENS1_30default_config_static_selectorELNS0_4arch9wavefront6targetE0EEEvSZ_
                                        ; -- End function
	.set _ZN7rocprim17ROCPRIM_400000_NS6detail17trampoline_kernelINS0_13select_configILj256ELj13ELNS0_17block_load_methodE3ELS4_3ELS4_3ELNS0_20block_scan_algorithmE0ELj4294967295EEENS1_25partition_config_selectorILNS1_17partition_subalgoE4EjNS0_10empty_typeEbEEZZNS1_14partition_implILS8_4ELb0ES6_15HIP_vector_typeIjLj2EENS0_17counting_iteratorIjlEEPS9_SG_NS0_5tupleIJPjSI_NS0_16reverse_iteratorISI_EEEEENSH_IJSG_SG_SG_EEES9_SI_JZNS1_25segmented_radix_sort_implINS0_14default_configELb1EPKlPlSQ_SR_N2at6native12_GLOBAL__N_18offset_tEEE10hipError_tPvRmT1_PNSt15iterator_traitsISZ_E10value_typeET2_T3_PNS10_IS15_E10value_typeET4_jRbjT5_S1B_jjP12ihipStream_tbEUljE_ZNSN_ISO_Lb1ESQ_SR_SQ_SR_SV_EESW_SX_SY_SZ_S13_S14_S15_S18_S19_jS1A_jS1B_S1B_jjS1D_bEUljE0_EEESW_SX_SY_S15_S19_S1B_T6_T7_T9_mT8_S1D_bDpT10_ENKUlT_T0_E_clISt17integral_constantIbLb1EES1R_EEDaS1M_S1N_EUlS1M_E_NS1_11comp_targetILNS1_3genE10ELNS1_11target_archE1200ELNS1_3gpuE4ELNS1_3repE0EEENS1_30default_config_static_selectorELNS0_4arch9wavefront6targetE0EEEvSZ_.num_vgpr, 0
	.set _ZN7rocprim17ROCPRIM_400000_NS6detail17trampoline_kernelINS0_13select_configILj256ELj13ELNS0_17block_load_methodE3ELS4_3ELS4_3ELNS0_20block_scan_algorithmE0ELj4294967295EEENS1_25partition_config_selectorILNS1_17partition_subalgoE4EjNS0_10empty_typeEbEEZZNS1_14partition_implILS8_4ELb0ES6_15HIP_vector_typeIjLj2EENS0_17counting_iteratorIjlEEPS9_SG_NS0_5tupleIJPjSI_NS0_16reverse_iteratorISI_EEEEENSH_IJSG_SG_SG_EEES9_SI_JZNS1_25segmented_radix_sort_implINS0_14default_configELb1EPKlPlSQ_SR_N2at6native12_GLOBAL__N_18offset_tEEE10hipError_tPvRmT1_PNSt15iterator_traitsISZ_E10value_typeET2_T3_PNS10_IS15_E10value_typeET4_jRbjT5_S1B_jjP12ihipStream_tbEUljE_ZNSN_ISO_Lb1ESQ_SR_SQ_SR_SV_EESW_SX_SY_SZ_S13_S14_S15_S18_S19_jS1A_jS1B_S1B_jjS1D_bEUljE0_EEESW_SX_SY_S15_S19_S1B_T6_T7_T9_mT8_S1D_bDpT10_ENKUlT_T0_E_clISt17integral_constantIbLb1EES1R_EEDaS1M_S1N_EUlS1M_E_NS1_11comp_targetILNS1_3genE10ELNS1_11target_archE1200ELNS1_3gpuE4ELNS1_3repE0EEENS1_30default_config_static_selectorELNS0_4arch9wavefront6targetE0EEEvSZ_.num_agpr, 0
	.set _ZN7rocprim17ROCPRIM_400000_NS6detail17trampoline_kernelINS0_13select_configILj256ELj13ELNS0_17block_load_methodE3ELS4_3ELS4_3ELNS0_20block_scan_algorithmE0ELj4294967295EEENS1_25partition_config_selectorILNS1_17partition_subalgoE4EjNS0_10empty_typeEbEEZZNS1_14partition_implILS8_4ELb0ES6_15HIP_vector_typeIjLj2EENS0_17counting_iteratorIjlEEPS9_SG_NS0_5tupleIJPjSI_NS0_16reverse_iteratorISI_EEEEENSH_IJSG_SG_SG_EEES9_SI_JZNS1_25segmented_radix_sort_implINS0_14default_configELb1EPKlPlSQ_SR_N2at6native12_GLOBAL__N_18offset_tEEE10hipError_tPvRmT1_PNSt15iterator_traitsISZ_E10value_typeET2_T3_PNS10_IS15_E10value_typeET4_jRbjT5_S1B_jjP12ihipStream_tbEUljE_ZNSN_ISO_Lb1ESQ_SR_SQ_SR_SV_EESW_SX_SY_SZ_S13_S14_S15_S18_S19_jS1A_jS1B_S1B_jjS1D_bEUljE0_EEESW_SX_SY_S15_S19_S1B_T6_T7_T9_mT8_S1D_bDpT10_ENKUlT_T0_E_clISt17integral_constantIbLb1EES1R_EEDaS1M_S1N_EUlS1M_E_NS1_11comp_targetILNS1_3genE10ELNS1_11target_archE1200ELNS1_3gpuE4ELNS1_3repE0EEENS1_30default_config_static_selectorELNS0_4arch9wavefront6targetE0EEEvSZ_.numbered_sgpr, 0
	.set _ZN7rocprim17ROCPRIM_400000_NS6detail17trampoline_kernelINS0_13select_configILj256ELj13ELNS0_17block_load_methodE3ELS4_3ELS4_3ELNS0_20block_scan_algorithmE0ELj4294967295EEENS1_25partition_config_selectorILNS1_17partition_subalgoE4EjNS0_10empty_typeEbEEZZNS1_14partition_implILS8_4ELb0ES6_15HIP_vector_typeIjLj2EENS0_17counting_iteratorIjlEEPS9_SG_NS0_5tupleIJPjSI_NS0_16reverse_iteratorISI_EEEEENSH_IJSG_SG_SG_EEES9_SI_JZNS1_25segmented_radix_sort_implINS0_14default_configELb1EPKlPlSQ_SR_N2at6native12_GLOBAL__N_18offset_tEEE10hipError_tPvRmT1_PNSt15iterator_traitsISZ_E10value_typeET2_T3_PNS10_IS15_E10value_typeET4_jRbjT5_S1B_jjP12ihipStream_tbEUljE_ZNSN_ISO_Lb1ESQ_SR_SQ_SR_SV_EESW_SX_SY_SZ_S13_S14_S15_S18_S19_jS1A_jS1B_S1B_jjS1D_bEUljE0_EEESW_SX_SY_S15_S19_S1B_T6_T7_T9_mT8_S1D_bDpT10_ENKUlT_T0_E_clISt17integral_constantIbLb1EES1R_EEDaS1M_S1N_EUlS1M_E_NS1_11comp_targetILNS1_3genE10ELNS1_11target_archE1200ELNS1_3gpuE4ELNS1_3repE0EEENS1_30default_config_static_selectorELNS0_4arch9wavefront6targetE0EEEvSZ_.num_named_barrier, 0
	.set _ZN7rocprim17ROCPRIM_400000_NS6detail17trampoline_kernelINS0_13select_configILj256ELj13ELNS0_17block_load_methodE3ELS4_3ELS4_3ELNS0_20block_scan_algorithmE0ELj4294967295EEENS1_25partition_config_selectorILNS1_17partition_subalgoE4EjNS0_10empty_typeEbEEZZNS1_14partition_implILS8_4ELb0ES6_15HIP_vector_typeIjLj2EENS0_17counting_iteratorIjlEEPS9_SG_NS0_5tupleIJPjSI_NS0_16reverse_iteratorISI_EEEEENSH_IJSG_SG_SG_EEES9_SI_JZNS1_25segmented_radix_sort_implINS0_14default_configELb1EPKlPlSQ_SR_N2at6native12_GLOBAL__N_18offset_tEEE10hipError_tPvRmT1_PNSt15iterator_traitsISZ_E10value_typeET2_T3_PNS10_IS15_E10value_typeET4_jRbjT5_S1B_jjP12ihipStream_tbEUljE_ZNSN_ISO_Lb1ESQ_SR_SQ_SR_SV_EESW_SX_SY_SZ_S13_S14_S15_S18_S19_jS1A_jS1B_S1B_jjS1D_bEUljE0_EEESW_SX_SY_S15_S19_S1B_T6_T7_T9_mT8_S1D_bDpT10_ENKUlT_T0_E_clISt17integral_constantIbLb1EES1R_EEDaS1M_S1N_EUlS1M_E_NS1_11comp_targetILNS1_3genE10ELNS1_11target_archE1200ELNS1_3gpuE4ELNS1_3repE0EEENS1_30default_config_static_selectorELNS0_4arch9wavefront6targetE0EEEvSZ_.private_seg_size, 0
	.set _ZN7rocprim17ROCPRIM_400000_NS6detail17trampoline_kernelINS0_13select_configILj256ELj13ELNS0_17block_load_methodE3ELS4_3ELS4_3ELNS0_20block_scan_algorithmE0ELj4294967295EEENS1_25partition_config_selectorILNS1_17partition_subalgoE4EjNS0_10empty_typeEbEEZZNS1_14partition_implILS8_4ELb0ES6_15HIP_vector_typeIjLj2EENS0_17counting_iteratorIjlEEPS9_SG_NS0_5tupleIJPjSI_NS0_16reverse_iteratorISI_EEEEENSH_IJSG_SG_SG_EEES9_SI_JZNS1_25segmented_radix_sort_implINS0_14default_configELb1EPKlPlSQ_SR_N2at6native12_GLOBAL__N_18offset_tEEE10hipError_tPvRmT1_PNSt15iterator_traitsISZ_E10value_typeET2_T3_PNS10_IS15_E10value_typeET4_jRbjT5_S1B_jjP12ihipStream_tbEUljE_ZNSN_ISO_Lb1ESQ_SR_SQ_SR_SV_EESW_SX_SY_SZ_S13_S14_S15_S18_S19_jS1A_jS1B_S1B_jjS1D_bEUljE0_EEESW_SX_SY_S15_S19_S1B_T6_T7_T9_mT8_S1D_bDpT10_ENKUlT_T0_E_clISt17integral_constantIbLb1EES1R_EEDaS1M_S1N_EUlS1M_E_NS1_11comp_targetILNS1_3genE10ELNS1_11target_archE1200ELNS1_3gpuE4ELNS1_3repE0EEENS1_30default_config_static_selectorELNS0_4arch9wavefront6targetE0EEEvSZ_.uses_vcc, 0
	.set _ZN7rocprim17ROCPRIM_400000_NS6detail17trampoline_kernelINS0_13select_configILj256ELj13ELNS0_17block_load_methodE3ELS4_3ELS4_3ELNS0_20block_scan_algorithmE0ELj4294967295EEENS1_25partition_config_selectorILNS1_17partition_subalgoE4EjNS0_10empty_typeEbEEZZNS1_14partition_implILS8_4ELb0ES6_15HIP_vector_typeIjLj2EENS0_17counting_iteratorIjlEEPS9_SG_NS0_5tupleIJPjSI_NS0_16reverse_iteratorISI_EEEEENSH_IJSG_SG_SG_EEES9_SI_JZNS1_25segmented_radix_sort_implINS0_14default_configELb1EPKlPlSQ_SR_N2at6native12_GLOBAL__N_18offset_tEEE10hipError_tPvRmT1_PNSt15iterator_traitsISZ_E10value_typeET2_T3_PNS10_IS15_E10value_typeET4_jRbjT5_S1B_jjP12ihipStream_tbEUljE_ZNSN_ISO_Lb1ESQ_SR_SQ_SR_SV_EESW_SX_SY_SZ_S13_S14_S15_S18_S19_jS1A_jS1B_S1B_jjS1D_bEUljE0_EEESW_SX_SY_S15_S19_S1B_T6_T7_T9_mT8_S1D_bDpT10_ENKUlT_T0_E_clISt17integral_constantIbLb1EES1R_EEDaS1M_S1N_EUlS1M_E_NS1_11comp_targetILNS1_3genE10ELNS1_11target_archE1200ELNS1_3gpuE4ELNS1_3repE0EEENS1_30default_config_static_selectorELNS0_4arch9wavefront6targetE0EEEvSZ_.uses_flat_scratch, 0
	.set _ZN7rocprim17ROCPRIM_400000_NS6detail17trampoline_kernelINS0_13select_configILj256ELj13ELNS0_17block_load_methodE3ELS4_3ELS4_3ELNS0_20block_scan_algorithmE0ELj4294967295EEENS1_25partition_config_selectorILNS1_17partition_subalgoE4EjNS0_10empty_typeEbEEZZNS1_14partition_implILS8_4ELb0ES6_15HIP_vector_typeIjLj2EENS0_17counting_iteratorIjlEEPS9_SG_NS0_5tupleIJPjSI_NS0_16reverse_iteratorISI_EEEEENSH_IJSG_SG_SG_EEES9_SI_JZNS1_25segmented_radix_sort_implINS0_14default_configELb1EPKlPlSQ_SR_N2at6native12_GLOBAL__N_18offset_tEEE10hipError_tPvRmT1_PNSt15iterator_traitsISZ_E10value_typeET2_T3_PNS10_IS15_E10value_typeET4_jRbjT5_S1B_jjP12ihipStream_tbEUljE_ZNSN_ISO_Lb1ESQ_SR_SQ_SR_SV_EESW_SX_SY_SZ_S13_S14_S15_S18_S19_jS1A_jS1B_S1B_jjS1D_bEUljE0_EEESW_SX_SY_S15_S19_S1B_T6_T7_T9_mT8_S1D_bDpT10_ENKUlT_T0_E_clISt17integral_constantIbLb1EES1R_EEDaS1M_S1N_EUlS1M_E_NS1_11comp_targetILNS1_3genE10ELNS1_11target_archE1200ELNS1_3gpuE4ELNS1_3repE0EEENS1_30default_config_static_selectorELNS0_4arch9wavefront6targetE0EEEvSZ_.has_dyn_sized_stack, 0
	.set _ZN7rocprim17ROCPRIM_400000_NS6detail17trampoline_kernelINS0_13select_configILj256ELj13ELNS0_17block_load_methodE3ELS4_3ELS4_3ELNS0_20block_scan_algorithmE0ELj4294967295EEENS1_25partition_config_selectorILNS1_17partition_subalgoE4EjNS0_10empty_typeEbEEZZNS1_14partition_implILS8_4ELb0ES6_15HIP_vector_typeIjLj2EENS0_17counting_iteratorIjlEEPS9_SG_NS0_5tupleIJPjSI_NS0_16reverse_iteratorISI_EEEEENSH_IJSG_SG_SG_EEES9_SI_JZNS1_25segmented_radix_sort_implINS0_14default_configELb1EPKlPlSQ_SR_N2at6native12_GLOBAL__N_18offset_tEEE10hipError_tPvRmT1_PNSt15iterator_traitsISZ_E10value_typeET2_T3_PNS10_IS15_E10value_typeET4_jRbjT5_S1B_jjP12ihipStream_tbEUljE_ZNSN_ISO_Lb1ESQ_SR_SQ_SR_SV_EESW_SX_SY_SZ_S13_S14_S15_S18_S19_jS1A_jS1B_S1B_jjS1D_bEUljE0_EEESW_SX_SY_S15_S19_S1B_T6_T7_T9_mT8_S1D_bDpT10_ENKUlT_T0_E_clISt17integral_constantIbLb1EES1R_EEDaS1M_S1N_EUlS1M_E_NS1_11comp_targetILNS1_3genE10ELNS1_11target_archE1200ELNS1_3gpuE4ELNS1_3repE0EEENS1_30default_config_static_selectorELNS0_4arch9wavefront6targetE0EEEvSZ_.has_recursion, 0
	.set _ZN7rocprim17ROCPRIM_400000_NS6detail17trampoline_kernelINS0_13select_configILj256ELj13ELNS0_17block_load_methodE3ELS4_3ELS4_3ELNS0_20block_scan_algorithmE0ELj4294967295EEENS1_25partition_config_selectorILNS1_17partition_subalgoE4EjNS0_10empty_typeEbEEZZNS1_14partition_implILS8_4ELb0ES6_15HIP_vector_typeIjLj2EENS0_17counting_iteratorIjlEEPS9_SG_NS0_5tupleIJPjSI_NS0_16reverse_iteratorISI_EEEEENSH_IJSG_SG_SG_EEES9_SI_JZNS1_25segmented_radix_sort_implINS0_14default_configELb1EPKlPlSQ_SR_N2at6native12_GLOBAL__N_18offset_tEEE10hipError_tPvRmT1_PNSt15iterator_traitsISZ_E10value_typeET2_T3_PNS10_IS15_E10value_typeET4_jRbjT5_S1B_jjP12ihipStream_tbEUljE_ZNSN_ISO_Lb1ESQ_SR_SQ_SR_SV_EESW_SX_SY_SZ_S13_S14_S15_S18_S19_jS1A_jS1B_S1B_jjS1D_bEUljE0_EEESW_SX_SY_S15_S19_S1B_T6_T7_T9_mT8_S1D_bDpT10_ENKUlT_T0_E_clISt17integral_constantIbLb1EES1R_EEDaS1M_S1N_EUlS1M_E_NS1_11comp_targetILNS1_3genE10ELNS1_11target_archE1200ELNS1_3gpuE4ELNS1_3repE0EEENS1_30default_config_static_selectorELNS0_4arch9wavefront6targetE0EEEvSZ_.has_indirect_call, 0
	.section	.AMDGPU.csdata,"",@progbits
; Kernel info:
; codeLenInByte = 0
; TotalNumSgprs: 0
; NumVgprs: 0
; ScratchSize: 0
; MemoryBound: 0
; FloatMode: 240
; IeeeMode: 1
; LDSByteSize: 0 bytes/workgroup (compile time only)
; SGPRBlocks: 0
; VGPRBlocks: 0
; NumSGPRsForWavesPerEU: 1
; NumVGPRsForWavesPerEU: 1
; Occupancy: 16
; WaveLimiterHint : 0
; COMPUTE_PGM_RSRC2:SCRATCH_EN: 0
; COMPUTE_PGM_RSRC2:USER_SGPR: 6
; COMPUTE_PGM_RSRC2:TRAP_HANDLER: 0
; COMPUTE_PGM_RSRC2:TGID_X_EN: 1
; COMPUTE_PGM_RSRC2:TGID_Y_EN: 0
; COMPUTE_PGM_RSRC2:TGID_Z_EN: 0
; COMPUTE_PGM_RSRC2:TIDIG_COMP_CNT: 0
	.section	.text._ZN7rocprim17ROCPRIM_400000_NS6detail17trampoline_kernelINS0_13select_configILj256ELj13ELNS0_17block_load_methodE3ELS4_3ELS4_3ELNS0_20block_scan_algorithmE0ELj4294967295EEENS1_25partition_config_selectorILNS1_17partition_subalgoE4EjNS0_10empty_typeEbEEZZNS1_14partition_implILS8_4ELb0ES6_15HIP_vector_typeIjLj2EENS0_17counting_iteratorIjlEEPS9_SG_NS0_5tupleIJPjSI_NS0_16reverse_iteratorISI_EEEEENSH_IJSG_SG_SG_EEES9_SI_JZNS1_25segmented_radix_sort_implINS0_14default_configELb1EPKlPlSQ_SR_N2at6native12_GLOBAL__N_18offset_tEEE10hipError_tPvRmT1_PNSt15iterator_traitsISZ_E10value_typeET2_T3_PNS10_IS15_E10value_typeET4_jRbjT5_S1B_jjP12ihipStream_tbEUljE_ZNSN_ISO_Lb1ESQ_SR_SQ_SR_SV_EESW_SX_SY_SZ_S13_S14_S15_S18_S19_jS1A_jS1B_S1B_jjS1D_bEUljE0_EEESW_SX_SY_S15_S19_S1B_T6_T7_T9_mT8_S1D_bDpT10_ENKUlT_T0_E_clISt17integral_constantIbLb1EES1R_EEDaS1M_S1N_EUlS1M_E_NS1_11comp_targetILNS1_3genE9ELNS1_11target_archE1100ELNS1_3gpuE3ELNS1_3repE0EEENS1_30default_config_static_selectorELNS0_4arch9wavefront6targetE0EEEvSZ_,"axG",@progbits,_ZN7rocprim17ROCPRIM_400000_NS6detail17trampoline_kernelINS0_13select_configILj256ELj13ELNS0_17block_load_methodE3ELS4_3ELS4_3ELNS0_20block_scan_algorithmE0ELj4294967295EEENS1_25partition_config_selectorILNS1_17partition_subalgoE4EjNS0_10empty_typeEbEEZZNS1_14partition_implILS8_4ELb0ES6_15HIP_vector_typeIjLj2EENS0_17counting_iteratorIjlEEPS9_SG_NS0_5tupleIJPjSI_NS0_16reverse_iteratorISI_EEEEENSH_IJSG_SG_SG_EEES9_SI_JZNS1_25segmented_radix_sort_implINS0_14default_configELb1EPKlPlSQ_SR_N2at6native12_GLOBAL__N_18offset_tEEE10hipError_tPvRmT1_PNSt15iterator_traitsISZ_E10value_typeET2_T3_PNS10_IS15_E10value_typeET4_jRbjT5_S1B_jjP12ihipStream_tbEUljE_ZNSN_ISO_Lb1ESQ_SR_SQ_SR_SV_EESW_SX_SY_SZ_S13_S14_S15_S18_S19_jS1A_jS1B_S1B_jjS1D_bEUljE0_EEESW_SX_SY_S15_S19_S1B_T6_T7_T9_mT8_S1D_bDpT10_ENKUlT_T0_E_clISt17integral_constantIbLb1EES1R_EEDaS1M_S1N_EUlS1M_E_NS1_11comp_targetILNS1_3genE9ELNS1_11target_archE1100ELNS1_3gpuE3ELNS1_3repE0EEENS1_30default_config_static_selectorELNS0_4arch9wavefront6targetE0EEEvSZ_,comdat
	.globl	_ZN7rocprim17ROCPRIM_400000_NS6detail17trampoline_kernelINS0_13select_configILj256ELj13ELNS0_17block_load_methodE3ELS4_3ELS4_3ELNS0_20block_scan_algorithmE0ELj4294967295EEENS1_25partition_config_selectorILNS1_17partition_subalgoE4EjNS0_10empty_typeEbEEZZNS1_14partition_implILS8_4ELb0ES6_15HIP_vector_typeIjLj2EENS0_17counting_iteratorIjlEEPS9_SG_NS0_5tupleIJPjSI_NS0_16reverse_iteratorISI_EEEEENSH_IJSG_SG_SG_EEES9_SI_JZNS1_25segmented_radix_sort_implINS0_14default_configELb1EPKlPlSQ_SR_N2at6native12_GLOBAL__N_18offset_tEEE10hipError_tPvRmT1_PNSt15iterator_traitsISZ_E10value_typeET2_T3_PNS10_IS15_E10value_typeET4_jRbjT5_S1B_jjP12ihipStream_tbEUljE_ZNSN_ISO_Lb1ESQ_SR_SQ_SR_SV_EESW_SX_SY_SZ_S13_S14_S15_S18_S19_jS1A_jS1B_S1B_jjS1D_bEUljE0_EEESW_SX_SY_S15_S19_S1B_T6_T7_T9_mT8_S1D_bDpT10_ENKUlT_T0_E_clISt17integral_constantIbLb1EES1R_EEDaS1M_S1N_EUlS1M_E_NS1_11comp_targetILNS1_3genE9ELNS1_11target_archE1100ELNS1_3gpuE3ELNS1_3repE0EEENS1_30default_config_static_selectorELNS0_4arch9wavefront6targetE0EEEvSZ_ ; -- Begin function _ZN7rocprim17ROCPRIM_400000_NS6detail17trampoline_kernelINS0_13select_configILj256ELj13ELNS0_17block_load_methodE3ELS4_3ELS4_3ELNS0_20block_scan_algorithmE0ELj4294967295EEENS1_25partition_config_selectorILNS1_17partition_subalgoE4EjNS0_10empty_typeEbEEZZNS1_14partition_implILS8_4ELb0ES6_15HIP_vector_typeIjLj2EENS0_17counting_iteratorIjlEEPS9_SG_NS0_5tupleIJPjSI_NS0_16reverse_iteratorISI_EEEEENSH_IJSG_SG_SG_EEES9_SI_JZNS1_25segmented_radix_sort_implINS0_14default_configELb1EPKlPlSQ_SR_N2at6native12_GLOBAL__N_18offset_tEEE10hipError_tPvRmT1_PNSt15iterator_traitsISZ_E10value_typeET2_T3_PNS10_IS15_E10value_typeET4_jRbjT5_S1B_jjP12ihipStream_tbEUljE_ZNSN_ISO_Lb1ESQ_SR_SQ_SR_SV_EESW_SX_SY_SZ_S13_S14_S15_S18_S19_jS1A_jS1B_S1B_jjS1D_bEUljE0_EEESW_SX_SY_S15_S19_S1B_T6_T7_T9_mT8_S1D_bDpT10_ENKUlT_T0_E_clISt17integral_constantIbLb1EES1R_EEDaS1M_S1N_EUlS1M_E_NS1_11comp_targetILNS1_3genE9ELNS1_11target_archE1100ELNS1_3gpuE3ELNS1_3repE0EEENS1_30default_config_static_selectorELNS0_4arch9wavefront6targetE0EEEvSZ_
	.p2align	8
	.type	_ZN7rocprim17ROCPRIM_400000_NS6detail17trampoline_kernelINS0_13select_configILj256ELj13ELNS0_17block_load_methodE3ELS4_3ELS4_3ELNS0_20block_scan_algorithmE0ELj4294967295EEENS1_25partition_config_selectorILNS1_17partition_subalgoE4EjNS0_10empty_typeEbEEZZNS1_14partition_implILS8_4ELb0ES6_15HIP_vector_typeIjLj2EENS0_17counting_iteratorIjlEEPS9_SG_NS0_5tupleIJPjSI_NS0_16reverse_iteratorISI_EEEEENSH_IJSG_SG_SG_EEES9_SI_JZNS1_25segmented_radix_sort_implINS0_14default_configELb1EPKlPlSQ_SR_N2at6native12_GLOBAL__N_18offset_tEEE10hipError_tPvRmT1_PNSt15iterator_traitsISZ_E10value_typeET2_T3_PNS10_IS15_E10value_typeET4_jRbjT5_S1B_jjP12ihipStream_tbEUljE_ZNSN_ISO_Lb1ESQ_SR_SQ_SR_SV_EESW_SX_SY_SZ_S13_S14_S15_S18_S19_jS1A_jS1B_S1B_jjS1D_bEUljE0_EEESW_SX_SY_S15_S19_S1B_T6_T7_T9_mT8_S1D_bDpT10_ENKUlT_T0_E_clISt17integral_constantIbLb1EES1R_EEDaS1M_S1N_EUlS1M_E_NS1_11comp_targetILNS1_3genE9ELNS1_11target_archE1100ELNS1_3gpuE3ELNS1_3repE0EEENS1_30default_config_static_selectorELNS0_4arch9wavefront6targetE0EEEvSZ_,@function
_ZN7rocprim17ROCPRIM_400000_NS6detail17trampoline_kernelINS0_13select_configILj256ELj13ELNS0_17block_load_methodE3ELS4_3ELS4_3ELNS0_20block_scan_algorithmE0ELj4294967295EEENS1_25partition_config_selectorILNS1_17partition_subalgoE4EjNS0_10empty_typeEbEEZZNS1_14partition_implILS8_4ELb0ES6_15HIP_vector_typeIjLj2EENS0_17counting_iteratorIjlEEPS9_SG_NS0_5tupleIJPjSI_NS0_16reverse_iteratorISI_EEEEENSH_IJSG_SG_SG_EEES9_SI_JZNS1_25segmented_radix_sort_implINS0_14default_configELb1EPKlPlSQ_SR_N2at6native12_GLOBAL__N_18offset_tEEE10hipError_tPvRmT1_PNSt15iterator_traitsISZ_E10value_typeET2_T3_PNS10_IS15_E10value_typeET4_jRbjT5_S1B_jjP12ihipStream_tbEUljE_ZNSN_ISO_Lb1ESQ_SR_SQ_SR_SV_EESW_SX_SY_SZ_S13_S14_S15_S18_S19_jS1A_jS1B_S1B_jjS1D_bEUljE0_EEESW_SX_SY_S15_S19_S1B_T6_T7_T9_mT8_S1D_bDpT10_ENKUlT_T0_E_clISt17integral_constantIbLb1EES1R_EEDaS1M_S1N_EUlS1M_E_NS1_11comp_targetILNS1_3genE9ELNS1_11target_archE1100ELNS1_3gpuE3ELNS1_3repE0EEENS1_30default_config_static_selectorELNS0_4arch9wavefront6targetE0EEEvSZ_: ; @_ZN7rocprim17ROCPRIM_400000_NS6detail17trampoline_kernelINS0_13select_configILj256ELj13ELNS0_17block_load_methodE3ELS4_3ELS4_3ELNS0_20block_scan_algorithmE0ELj4294967295EEENS1_25partition_config_selectorILNS1_17partition_subalgoE4EjNS0_10empty_typeEbEEZZNS1_14partition_implILS8_4ELb0ES6_15HIP_vector_typeIjLj2EENS0_17counting_iteratorIjlEEPS9_SG_NS0_5tupleIJPjSI_NS0_16reverse_iteratorISI_EEEEENSH_IJSG_SG_SG_EEES9_SI_JZNS1_25segmented_radix_sort_implINS0_14default_configELb1EPKlPlSQ_SR_N2at6native12_GLOBAL__N_18offset_tEEE10hipError_tPvRmT1_PNSt15iterator_traitsISZ_E10value_typeET2_T3_PNS10_IS15_E10value_typeET4_jRbjT5_S1B_jjP12ihipStream_tbEUljE_ZNSN_ISO_Lb1ESQ_SR_SQ_SR_SV_EESW_SX_SY_SZ_S13_S14_S15_S18_S19_jS1A_jS1B_S1B_jjS1D_bEUljE0_EEESW_SX_SY_S15_S19_S1B_T6_T7_T9_mT8_S1D_bDpT10_ENKUlT_T0_E_clISt17integral_constantIbLb1EES1R_EEDaS1M_S1N_EUlS1M_E_NS1_11comp_targetILNS1_3genE9ELNS1_11target_archE1100ELNS1_3gpuE3ELNS1_3repE0EEENS1_30default_config_static_selectorELNS0_4arch9wavefront6targetE0EEEvSZ_
; %bb.0:
	.section	.rodata,"a",@progbits
	.p2align	6, 0x0
	.amdhsa_kernel _ZN7rocprim17ROCPRIM_400000_NS6detail17trampoline_kernelINS0_13select_configILj256ELj13ELNS0_17block_load_methodE3ELS4_3ELS4_3ELNS0_20block_scan_algorithmE0ELj4294967295EEENS1_25partition_config_selectorILNS1_17partition_subalgoE4EjNS0_10empty_typeEbEEZZNS1_14partition_implILS8_4ELb0ES6_15HIP_vector_typeIjLj2EENS0_17counting_iteratorIjlEEPS9_SG_NS0_5tupleIJPjSI_NS0_16reverse_iteratorISI_EEEEENSH_IJSG_SG_SG_EEES9_SI_JZNS1_25segmented_radix_sort_implINS0_14default_configELb1EPKlPlSQ_SR_N2at6native12_GLOBAL__N_18offset_tEEE10hipError_tPvRmT1_PNSt15iterator_traitsISZ_E10value_typeET2_T3_PNS10_IS15_E10value_typeET4_jRbjT5_S1B_jjP12ihipStream_tbEUljE_ZNSN_ISO_Lb1ESQ_SR_SQ_SR_SV_EESW_SX_SY_SZ_S13_S14_S15_S18_S19_jS1A_jS1B_S1B_jjS1D_bEUljE0_EEESW_SX_SY_S15_S19_S1B_T6_T7_T9_mT8_S1D_bDpT10_ENKUlT_T0_E_clISt17integral_constantIbLb1EES1R_EEDaS1M_S1N_EUlS1M_E_NS1_11comp_targetILNS1_3genE9ELNS1_11target_archE1100ELNS1_3gpuE3ELNS1_3repE0EEENS1_30default_config_static_selectorELNS0_4arch9wavefront6targetE0EEEvSZ_
		.amdhsa_group_segment_fixed_size 0
		.amdhsa_private_segment_fixed_size 0
		.amdhsa_kernarg_size 184
		.amdhsa_user_sgpr_count 6
		.amdhsa_user_sgpr_private_segment_buffer 1
		.amdhsa_user_sgpr_dispatch_ptr 0
		.amdhsa_user_sgpr_queue_ptr 0
		.amdhsa_user_sgpr_kernarg_segment_ptr 1
		.amdhsa_user_sgpr_dispatch_id 0
		.amdhsa_user_sgpr_flat_scratch_init 0
		.amdhsa_user_sgpr_private_segment_size 0
		.amdhsa_wavefront_size32 1
		.amdhsa_uses_dynamic_stack 0
		.amdhsa_system_sgpr_private_segment_wavefront_offset 0
		.amdhsa_system_sgpr_workgroup_id_x 1
		.amdhsa_system_sgpr_workgroup_id_y 0
		.amdhsa_system_sgpr_workgroup_id_z 0
		.amdhsa_system_sgpr_workgroup_info 0
		.amdhsa_system_vgpr_workitem_id 0
		.amdhsa_next_free_vgpr 1
		.amdhsa_next_free_sgpr 1
		.amdhsa_reserve_vcc 0
		.amdhsa_reserve_flat_scratch 0
		.amdhsa_float_round_mode_32 0
		.amdhsa_float_round_mode_16_64 0
		.amdhsa_float_denorm_mode_32 3
		.amdhsa_float_denorm_mode_16_64 3
		.amdhsa_dx10_clamp 1
		.amdhsa_ieee_mode 1
		.amdhsa_fp16_overflow 0
		.amdhsa_workgroup_processor_mode 1
		.amdhsa_memory_ordered 1
		.amdhsa_forward_progress 1
		.amdhsa_shared_vgpr_count 0
		.amdhsa_exception_fp_ieee_invalid_op 0
		.amdhsa_exception_fp_denorm_src 0
		.amdhsa_exception_fp_ieee_div_zero 0
		.amdhsa_exception_fp_ieee_overflow 0
		.amdhsa_exception_fp_ieee_underflow 0
		.amdhsa_exception_fp_ieee_inexact 0
		.amdhsa_exception_int_div_zero 0
	.end_amdhsa_kernel
	.section	.text._ZN7rocprim17ROCPRIM_400000_NS6detail17trampoline_kernelINS0_13select_configILj256ELj13ELNS0_17block_load_methodE3ELS4_3ELS4_3ELNS0_20block_scan_algorithmE0ELj4294967295EEENS1_25partition_config_selectorILNS1_17partition_subalgoE4EjNS0_10empty_typeEbEEZZNS1_14partition_implILS8_4ELb0ES6_15HIP_vector_typeIjLj2EENS0_17counting_iteratorIjlEEPS9_SG_NS0_5tupleIJPjSI_NS0_16reverse_iteratorISI_EEEEENSH_IJSG_SG_SG_EEES9_SI_JZNS1_25segmented_radix_sort_implINS0_14default_configELb1EPKlPlSQ_SR_N2at6native12_GLOBAL__N_18offset_tEEE10hipError_tPvRmT1_PNSt15iterator_traitsISZ_E10value_typeET2_T3_PNS10_IS15_E10value_typeET4_jRbjT5_S1B_jjP12ihipStream_tbEUljE_ZNSN_ISO_Lb1ESQ_SR_SQ_SR_SV_EESW_SX_SY_SZ_S13_S14_S15_S18_S19_jS1A_jS1B_S1B_jjS1D_bEUljE0_EEESW_SX_SY_S15_S19_S1B_T6_T7_T9_mT8_S1D_bDpT10_ENKUlT_T0_E_clISt17integral_constantIbLb1EES1R_EEDaS1M_S1N_EUlS1M_E_NS1_11comp_targetILNS1_3genE9ELNS1_11target_archE1100ELNS1_3gpuE3ELNS1_3repE0EEENS1_30default_config_static_selectorELNS0_4arch9wavefront6targetE0EEEvSZ_,"axG",@progbits,_ZN7rocprim17ROCPRIM_400000_NS6detail17trampoline_kernelINS0_13select_configILj256ELj13ELNS0_17block_load_methodE3ELS4_3ELS4_3ELNS0_20block_scan_algorithmE0ELj4294967295EEENS1_25partition_config_selectorILNS1_17partition_subalgoE4EjNS0_10empty_typeEbEEZZNS1_14partition_implILS8_4ELb0ES6_15HIP_vector_typeIjLj2EENS0_17counting_iteratorIjlEEPS9_SG_NS0_5tupleIJPjSI_NS0_16reverse_iteratorISI_EEEEENSH_IJSG_SG_SG_EEES9_SI_JZNS1_25segmented_radix_sort_implINS0_14default_configELb1EPKlPlSQ_SR_N2at6native12_GLOBAL__N_18offset_tEEE10hipError_tPvRmT1_PNSt15iterator_traitsISZ_E10value_typeET2_T3_PNS10_IS15_E10value_typeET4_jRbjT5_S1B_jjP12ihipStream_tbEUljE_ZNSN_ISO_Lb1ESQ_SR_SQ_SR_SV_EESW_SX_SY_SZ_S13_S14_S15_S18_S19_jS1A_jS1B_S1B_jjS1D_bEUljE0_EEESW_SX_SY_S15_S19_S1B_T6_T7_T9_mT8_S1D_bDpT10_ENKUlT_T0_E_clISt17integral_constantIbLb1EES1R_EEDaS1M_S1N_EUlS1M_E_NS1_11comp_targetILNS1_3genE9ELNS1_11target_archE1100ELNS1_3gpuE3ELNS1_3repE0EEENS1_30default_config_static_selectorELNS0_4arch9wavefront6targetE0EEEvSZ_,comdat
.Lfunc_end648:
	.size	_ZN7rocprim17ROCPRIM_400000_NS6detail17trampoline_kernelINS0_13select_configILj256ELj13ELNS0_17block_load_methodE3ELS4_3ELS4_3ELNS0_20block_scan_algorithmE0ELj4294967295EEENS1_25partition_config_selectorILNS1_17partition_subalgoE4EjNS0_10empty_typeEbEEZZNS1_14partition_implILS8_4ELb0ES6_15HIP_vector_typeIjLj2EENS0_17counting_iteratorIjlEEPS9_SG_NS0_5tupleIJPjSI_NS0_16reverse_iteratorISI_EEEEENSH_IJSG_SG_SG_EEES9_SI_JZNS1_25segmented_radix_sort_implINS0_14default_configELb1EPKlPlSQ_SR_N2at6native12_GLOBAL__N_18offset_tEEE10hipError_tPvRmT1_PNSt15iterator_traitsISZ_E10value_typeET2_T3_PNS10_IS15_E10value_typeET4_jRbjT5_S1B_jjP12ihipStream_tbEUljE_ZNSN_ISO_Lb1ESQ_SR_SQ_SR_SV_EESW_SX_SY_SZ_S13_S14_S15_S18_S19_jS1A_jS1B_S1B_jjS1D_bEUljE0_EEESW_SX_SY_S15_S19_S1B_T6_T7_T9_mT8_S1D_bDpT10_ENKUlT_T0_E_clISt17integral_constantIbLb1EES1R_EEDaS1M_S1N_EUlS1M_E_NS1_11comp_targetILNS1_3genE9ELNS1_11target_archE1100ELNS1_3gpuE3ELNS1_3repE0EEENS1_30default_config_static_selectorELNS0_4arch9wavefront6targetE0EEEvSZ_, .Lfunc_end648-_ZN7rocprim17ROCPRIM_400000_NS6detail17trampoline_kernelINS0_13select_configILj256ELj13ELNS0_17block_load_methodE3ELS4_3ELS4_3ELNS0_20block_scan_algorithmE0ELj4294967295EEENS1_25partition_config_selectorILNS1_17partition_subalgoE4EjNS0_10empty_typeEbEEZZNS1_14partition_implILS8_4ELb0ES6_15HIP_vector_typeIjLj2EENS0_17counting_iteratorIjlEEPS9_SG_NS0_5tupleIJPjSI_NS0_16reverse_iteratorISI_EEEEENSH_IJSG_SG_SG_EEES9_SI_JZNS1_25segmented_radix_sort_implINS0_14default_configELb1EPKlPlSQ_SR_N2at6native12_GLOBAL__N_18offset_tEEE10hipError_tPvRmT1_PNSt15iterator_traitsISZ_E10value_typeET2_T3_PNS10_IS15_E10value_typeET4_jRbjT5_S1B_jjP12ihipStream_tbEUljE_ZNSN_ISO_Lb1ESQ_SR_SQ_SR_SV_EESW_SX_SY_SZ_S13_S14_S15_S18_S19_jS1A_jS1B_S1B_jjS1D_bEUljE0_EEESW_SX_SY_S15_S19_S1B_T6_T7_T9_mT8_S1D_bDpT10_ENKUlT_T0_E_clISt17integral_constantIbLb1EES1R_EEDaS1M_S1N_EUlS1M_E_NS1_11comp_targetILNS1_3genE9ELNS1_11target_archE1100ELNS1_3gpuE3ELNS1_3repE0EEENS1_30default_config_static_selectorELNS0_4arch9wavefront6targetE0EEEvSZ_
                                        ; -- End function
	.set _ZN7rocprim17ROCPRIM_400000_NS6detail17trampoline_kernelINS0_13select_configILj256ELj13ELNS0_17block_load_methodE3ELS4_3ELS4_3ELNS0_20block_scan_algorithmE0ELj4294967295EEENS1_25partition_config_selectorILNS1_17partition_subalgoE4EjNS0_10empty_typeEbEEZZNS1_14partition_implILS8_4ELb0ES6_15HIP_vector_typeIjLj2EENS0_17counting_iteratorIjlEEPS9_SG_NS0_5tupleIJPjSI_NS0_16reverse_iteratorISI_EEEEENSH_IJSG_SG_SG_EEES9_SI_JZNS1_25segmented_radix_sort_implINS0_14default_configELb1EPKlPlSQ_SR_N2at6native12_GLOBAL__N_18offset_tEEE10hipError_tPvRmT1_PNSt15iterator_traitsISZ_E10value_typeET2_T3_PNS10_IS15_E10value_typeET4_jRbjT5_S1B_jjP12ihipStream_tbEUljE_ZNSN_ISO_Lb1ESQ_SR_SQ_SR_SV_EESW_SX_SY_SZ_S13_S14_S15_S18_S19_jS1A_jS1B_S1B_jjS1D_bEUljE0_EEESW_SX_SY_S15_S19_S1B_T6_T7_T9_mT8_S1D_bDpT10_ENKUlT_T0_E_clISt17integral_constantIbLb1EES1R_EEDaS1M_S1N_EUlS1M_E_NS1_11comp_targetILNS1_3genE9ELNS1_11target_archE1100ELNS1_3gpuE3ELNS1_3repE0EEENS1_30default_config_static_selectorELNS0_4arch9wavefront6targetE0EEEvSZ_.num_vgpr, 0
	.set _ZN7rocprim17ROCPRIM_400000_NS6detail17trampoline_kernelINS0_13select_configILj256ELj13ELNS0_17block_load_methodE3ELS4_3ELS4_3ELNS0_20block_scan_algorithmE0ELj4294967295EEENS1_25partition_config_selectorILNS1_17partition_subalgoE4EjNS0_10empty_typeEbEEZZNS1_14partition_implILS8_4ELb0ES6_15HIP_vector_typeIjLj2EENS0_17counting_iteratorIjlEEPS9_SG_NS0_5tupleIJPjSI_NS0_16reverse_iteratorISI_EEEEENSH_IJSG_SG_SG_EEES9_SI_JZNS1_25segmented_radix_sort_implINS0_14default_configELb1EPKlPlSQ_SR_N2at6native12_GLOBAL__N_18offset_tEEE10hipError_tPvRmT1_PNSt15iterator_traitsISZ_E10value_typeET2_T3_PNS10_IS15_E10value_typeET4_jRbjT5_S1B_jjP12ihipStream_tbEUljE_ZNSN_ISO_Lb1ESQ_SR_SQ_SR_SV_EESW_SX_SY_SZ_S13_S14_S15_S18_S19_jS1A_jS1B_S1B_jjS1D_bEUljE0_EEESW_SX_SY_S15_S19_S1B_T6_T7_T9_mT8_S1D_bDpT10_ENKUlT_T0_E_clISt17integral_constantIbLb1EES1R_EEDaS1M_S1N_EUlS1M_E_NS1_11comp_targetILNS1_3genE9ELNS1_11target_archE1100ELNS1_3gpuE3ELNS1_3repE0EEENS1_30default_config_static_selectorELNS0_4arch9wavefront6targetE0EEEvSZ_.num_agpr, 0
	.set _ZN7rocprim17ROCPRIM_400000_NS6detail17trampoline_kernelINS0_13select_configILj256ELj13ELNS0_17block_load_methodE3ELS4_3ELS4_3ELNS0_20block_scan_algorithmE0ELj4294967295EEENS1_25partition_config_selectorILNS1_17partition_subalgoE4EjNS0_10empty_typeEbEEZZNS1_14partition_implILS8_4ELb0ES6_15HIP_vector_typeIjLj2EENS0_17counting_iteratorIjlEEPS9_SG_NS0_5tupleIJPjSI_NS0_16reverse_iteratorISI_EEEEENSH_IJSG_SG_SG_EEES9_SI_JZNS1_25segmented_radix_sort_implINS0_14default_configELb1EPKlPlSQ_SR_N2at6native12_GLOBAL__N_18offset_tEEE10hipError_tPvRmT1_PNSt15iterator_traitsISZ_E10value_typeET2_T3_PNS10_IS15_E10value_typeET4_jRbjT5_S1B_jjP12ihipStream_tbEUljE_ZNSN_ISO_Lb1ESQ_SR_SQ_SR_SV_EESW_SX_SY_SZ_S13_S14_S15_S18_S19_jS1A_jS1B_S1B_jjS1D_bEUljE0_EEESW_SX_SY_S15_S19_S1B_T6_T7_T9_mT8_S1D_bDpT10_ENKUlT_T0_E_clISt17integral_constantIbLb1EES1R_EEDaS1M_S1N_EUlS1M_E_NS1_11comp_targetILNS1_3genE9ELNS1_11target_archE1100ELNS1_3gpuE3ELNS1_3repE0EEENS1_30default_config_static_selectorELNS0_4arch9wavefront6targetE0EEEvSZ_.numbered_sgpr, 0
	.set _ZN7rocprim17ROCPRIM_400000_NS6detail17trampoline_kernelINS0_13select_configILj256ELj13ELNS0_17block_load_methodE3ELS4_3ELS4_3ELNS0_20block_scan_algorithmE0ELj4294967295EEENS1_25partition_config_selectorILNS1_17partition_subalgoE4EjNS0_10empty_typeEbEEZZNS1_14partition_implILS8_4ELb0ES6_15HIP_vector_typeIjLj2EENS0_17counting_iteratorIjlEEPS9_SG_NS0_5tupleIJPjSI_NS0_16reverse_iteratorISI_EEEEENSH_IJSG_SG_SG_EEES9_SI_JZNS1_25segmented_radix_sort_implINS0_14default_configELb1EPKlPlSQ_SR_N2at6native12_GLOBAL__N_18offset_tEEE10hipError_tPvRmT1_PNSt15iterator_traitsISZ_E10value_typeET2_T3_PNS10_IS15_E10value_typeET4_jRbjT5_S1B_jjP12ihipStream_tbEUljE_ZNSN_ISO_Lb1ESQ_SR_SQ_SR_SV_EESW_SX_SY_SZ_S13_S14_S15_S18_S19_jS1A_jS1B_S1B_jjS1D_bEUljE0_EEESW_SX_SY_S15_S19_S1B_T6_T7_T9_mT8_S1D_bDpT10_ENKUlT_T0_E_clISt17integral_constantIbLb1EES1R_EEDaS1M_S1N_EUlS1M_E_NS1_11comp_targetILNS1_3genE9ELNS1_11target_archE1100ELNS1_3gpuE3ELNS1_3repE0EEENS1_30default_config_static_selectorELNS0_4arch9wavefront6targetE0EEEvSZ_.num_named_barrier, 0
	.set _ZN7rocprim17ROCPRIM_400000_NS6detail17trampoline_kernelINS0_13select_configILj256ELj13ELNS0_17block_load_methodE3ELS4_3ELS4_3ELNS0_20block_scan_algorithmE0ELj4294967295EEENS1_25partition_config_selectorILNS1_17partition_subalgoE4EjNS0_10empty_typeEbEEZZNS1_14partition_implILS8_4ELb0ES6_15HIP_vector_typeIjLj2EENS0_17counting_iteratorIjlEEPS9_SG_NS0_5tupleIJPjSI_NS0_16reverse_iteratorISI_EEEEENSH_IJSG_SG_SG_EEES9_SI_JZNS1_25segmented_radix_sort_implINS0_14default_configELb1EPKlPlSQ_SR_N2at6native12_GLOBAL__N_18offset_tEEE10hipError_tPvRmT1_PNSt15iterator_traitsISZ_E10value_typeET2_T3_PNS10_IS15_E10value_typeET4_jRbjT5_S1B_jjP12ihipStream_tbEUljE_ZNSN_ISO_Lb1ESQ_SR_SQ_SR_SV_EESW_SX_SY_SZ_S13_S14_S15_S18_S19_jS1A_jS1B_S1B_jjS1D_bEUljE0_EEESW_SX_SY_S15_S19_S1B_T6_T7_T9_mT8_S1D_bDpT10_ENKUlT_T0_E_clISt17integral_constantIbLb1EES1R_EEDaS1M_S1N_EUlS1M_E_NS1_11comp_targetILNS1_3genE9ELNS1_11target_archE1100ELNS1_3gpuE3ELNS1_3repE0EEENS1_30default_config_static_selectorELNS0_4arch9wavefront6targetE0EEEvSZ_.private_seg_size, 0
	.set _ZN7rocprim17ROCPRIM_400000_NS6detail17trampoline_kernelINS0_13select_configILj256ELj13ELNS0_17block_load_methodE3ELS4_3ELS4_3ELNS0_20block_scan_algorithmE0ELj4294967295EEENS1_25partition_config_selectorILNS1_17partition_subalgoE4EjNS0_10empty_typeEbEEZZNS1_14partition_implILS8_4ELb0ES6_15HIP_vector_typeIjLj2EENS0_17counting_iteratorIjlEEPS9_SG_NS0_5tupleIJPjSI_NS0_16reverse_iteratorISI_EEEEENSH_IJSG_SG_SG_EEES9_SI_JZNS1_25segmented_radix_sort_implINS0_14default_configELb1EPKlPlSQ_SR_N2at6native12_GLOBAL__N_18offset_tEEE10hipError_tPvRmT1_PNSt15iterator_traitsISZ_E10value_typeET2_T3_PNS10_IS15_E10value_typeET4_jRbjT5_S1B_jjP12ihipStream_tbEUljE_ZNSN_ISO_Lb1ESQ_SR_SQ_SR_SV_EESW_SX_SY_SZ_S13_S14_S15_S18_S19_jS1A_jS1B_S1B_jjS1D_bEUljE0_EEESW_SX_SY_S15_S19_S1B_T6_T7_T9_mT8_S1D_bDpT10_ENKUlT_T0_E_clISt17integral_constantIbLb1EES1R_EEDaS1M_S1N_EUlS1M_E_NS1_11comp_targetILNS1_3genE9ELNS1_11target_archE1100ELNS1_3gpuE3ELNS1_3repE0EEENS1_30default_config_static_selectorELNS0_4arch9wavefront6targetE0EEEvSZ_.uses_vcc, 0
	.set _ZN7rocprim17ROCPRIM_400000_NS6detail17trampoline_kernelINS0_13select_configILj256ELj13ELNS0_17block_load_methodE3ELS4_3ELS4_3ELNS0_20block_scan_algorithmE0ELj4294967295EEENS1_25partition_config_selectorILNS1_17partition_subalgoE4EjNS0_10empty_typeEbEEZZNS1_14partition_implILS8_4ELb0ES6_15HIP_vector_typeIjLj2EENS0_17counting_iteratorIjlEEPS9_SG_NS0_5tupleIJPjSI_NS0_16reverse_iteratorISI_EEEEENSH_IJSG_SG_SG_EEES9_SI_JZNS1_25segmented_radix_sort_implINS0_14default_configELb1EPKlPlSQ_SR_N2at6native12_GLOBAL__N_18offset_tEEE10hipError_tPvRmT1_PNSt15iterator_traitsISZ_E10value_typeET2_T3_PNS10_IS15_E10value_typeET4_jRbjT5_S1B_jjP12ihipStream_tbEUljE_ZNSN_ISO_Lb1ESQ_SR_SQ_SR_SV_EESW_SX_SY_SZ_S13_S14_S15_S18_S19_jS1A_jS1B_S1B_jjS1D_bEUljE0_EEESW_SX_SY_S15_S19_S1B_T6_T7_T9_mT8_S1D_bDpT10_ENKUlT_T0_E_clISt17integral_constantIbLb1EES1R_EEDaS1M_S1N_EUlS1M_E_NS1_11comp_targetILNS1_3genE9ELNS1_11target_archE1100ELNS1_3gpuE3ELNS1_3repE0EEENS1_30default_config_static_selectorELNS0_4arch9wavefront6targetE0EEEvSZ_.uses_flat_scratch, 0
	.set _ZN7rocprim17ROCPRIM_400000_NS6detail17trampoline_kernelINS0_13select_configILj256ELj13ELNS0_17block_load_methodE3ELS4_3ELS4_3ELNS0_20block_scan_algorithmE0ELj4294967295EEENS1_25partition_config_selectorILNS1_17partition_subalgoE4EjNS0_10empty_typeEbEEZZNS1_14partition_implILS8_4ELb0ES6_15HIP_vector_typeIjLj2EENS0_17counting_iteratorIjlEEPS9_SG_NS0_5tupleIJPjSI_NS0_16reverse_iteratorISI_EEEEENSH_IJSG_SG_SG_EEES9_SI_JZNS1_25segmented_radix_sort_implINS0_14default_configELb1EPKlPlSQ_SR_N2at6native12_GLOBAL__N_18offset_tEEE10hipError_tPvRmT1_PNSt15iterator_traitsISZ_E10value_typeET2_T3_PNS10_IS15_E10value_typeET4_jRbjT5_S1B_jjP12ihipStream_tbEUljE_ZNSN_ISO_Lb1ESQ_SR_SQ_SR_SV_EESW_SX_SY_SZ_S13_S14_S15_S18_S19_jS1A_jS1B_S1B_jjS1D_bEUljE0_EEESW_SX_SY_S15_S19_S1B_T6_T7_T9_mT8_S1D_bDpT10_ENKUlT_T0_E_clISt17integral_constantIbLb1EES1R_EEDaS1M_S1N_EUlS1M_E_NS1_11comp_targetILNS1_3genE9ELNS1_11target_archE1100ELNS1_3gpuE3ELNS1_3repE0EEENS1_30default_config_static_selectorELNS0_4arch9wavefront6targetE0EEEvSZ_.has_dyn_sized_stack, 0
	.set _ZN7rocprim17ROCPRIM_400000_NS6detail17trampoline_kernelINS0_13select_configILj256ELj13ELNS0_17block_load_methodE3ELS4_3ELS4_3ELNS0_20block_scan_algorithmE0ELj4294967295EEENS1_25partition_config_selectorILNS1_17partition_subalgoE4EjNS0_10empty_typeEbEEZZNS1_14partition_implILS8_4ELb0ES6_15HIP_vector_typeIjLj2EENS0_17counting_iteratorIjlEEPS9_SG_NS0_5tupleIJPjSI_NS0_16reverse_iteratorISI_EEEEENSH_IJSG_SG_SG_EEES9_SI_JZNS1_25segmented_radix_sort_implINS0_14default_configELb1EPKlPlSQ_SR_N2at6native12_GLOBAL__N_18offset_tEEE10hipError_tPvRmT1_PNSt15iterator_traitsISZ_E10value_typeET2_T3_PNS10_IS15_E10value_typeET4_jRbjT5_S1B_jjP12ihipStream_tbEUljE_ZNSN_ISO_Lb1ESQ_SR_SQ_SR_SV_EESW_SX_SY_SZ_S13_S14_S15_S18_S19_jS1A_jS1B_S1B_jjS1D_bEUljE0_EEESW_SX_SY_S15_S19_S1B_T6_T7_T9_mT8_S1D_bDpT10_ENKUlT_T0_E_clISt17integral_constantIbLb1EES1R_EEDaS1M_S1N_EUlS1M_E_NS1_11comp_targetILNS1_3genE9ELNS1_11target_archE1100ELNS1_3gpuE3ELNS1_3repE0EEENS1_30default_config_static_selectorELNS0_4arch9wavefront6targetE0EEEvSZ_.has_recursion, 0
	.set _ZN7rocprim17ROCPRIM_400000_NS6detail17trampoline_kernelINS0_13select_configILj256ELj13ELNS0_17block_load_methodE3ELS4_3ELS4_3ELNS0_20block_scan_algorithmE0ELj4294967295EEENS1_25partition_config_selectorILNS1_17partition_subalgoE4EjNS0_10empty_typeEbEEZZNS1_14partition_implILS8_4ELb0ES6_15HIP_vector_typeIjLj2EENS0_17counting_iteratorIjlEEPS9_SG_NS0_5tupleIJPjSI_NS0_16reverse_iteratorISI_EEEEENSH_IJSG_SG_SG_EEES9_SI_JZNS1_25segmented_radix_sort_implINS0_14default_configELb1EPKlPlSQ_SR_N2at6native12_GLOBAL__N_18offset_tEEE10hipError_tPvRmT1_PNSt15iterator_traitsISZ_E10value_typeET2_T3_PNS10_IS15_E10value_typeET4_jRbjT5_S1B_jjP12ihipStream_tbEUljE_ZNSN_ISO_Lb1ESQ_SR_SQ_SR_SV_EESW_SX_SY_SZ_S13_S14_S15_S18_S19_jS1A_jS1B_S1B_jjS1D_bEUljE0_EEESW_SX_SY_S15_S19_S1B_T6_T7_T9_mT8_S1D_bDpT10_ENKUlT_T0_E_clISt17integral_constantIbLb1EES1R_EEDaS1M_S1N_EUlS1M_E_NS1_11comp_targetILNS1_3genE9ELNS1_11target_archE1100ELNS1_3gpuE3ELNS1_3repE0EEENS1_30default_config_static_selectorELNS0_4arch9wavefront6targetE0EEEvSZ_.has_indirect_call, 0
	.section	.AMDGPU.csdata,"",@progbits
; Kernel info:
; codeLenInByte = 0
; TotalNumSgprs: 0
; NumVgprs: 0
; ScratchSize: 0
; MemoryBound: 0
; FloatMode: 240
; IeeeMode: 1
; LDSByteSize: 0 bytes/workgroup (compile time only)
; SGPRBlocks: 0
; VGPRBlocks: 0
; NumSGPRsForWavesPerEU: 1
; NumVGPRsForWavesPerEU: 1
; Occupancy: 16
; WaveLimiterHint : 0
; COMPUTE_PGM_RSRC2:SCRATCH_EN: 0
; COMPUTE_PGM_RSRC2:USER_SGPR: 6
; COMPUTE_PGM_RSRC2:TRAP_HANDLER: 0
; COMPUTE_PGM_RSRC2:TGID_X_EN: 1
; COMPUTE_PGM_RSRC2:TGID_Y_EN: 0
; COMPUTE_PGM_RSRC2:TGID_Z_EN: 0
; COMPUTE_PGM_RSRC2:TIDIG_COMP_CNT: 0
	.section	.text._ZN7rocprim17ROCPRIM_400000_NS6detail17trampoline_kernelINS0_13select_configILj256ELj13ELNS0_17block_load_methodE3ELS4_3ELS4_3ELNS0_20block_scan_algorithmE0ELj4294967295EEENS1_25partition_config_selectorILNS1_17partition_subalgoE4EjNS0_10empty_typeEbEEZZNS1_14partition_implILS8_4ELb0ES6_15HIP_vector_typeIjLj2EENS0_17counting_iteratorIjlEEPS9_SG_NS0_5tupleIJPjSI_NS0_16reverse_iteratorISI_EEEEENSH_IJSG_SG_SG_EEES9_SI_JZNS1_25segmented_radix_sort_implINS0_14default_configELb1EPKlPlSQ_SR_N2at6native12_GLOBAL__N_18offset_tEEE10hipError_tPvRmT1_PNSt15iterator_traitsISZ_E10value_typeET2_T3_PNS10_IS15_E10value_typeET4_jRbjT5_S1B_jjP12ihipStream_tbEUljE_ZNSN_ISO_Lb1ESQ_SR_SQ_SR_SV_EESW_SX_SY_SZ_S13_S14_S15_S18_S19_jS1A_jS1B_S1B_jjS1D_bEUljE0_EEESW_SX_SY_S15_S19_S1B_T6_T7_T9_mT8_S1D_bDpT10_ENKUlT_T0_E_clISt17integral_constantIbLb1EES1R_EEDaS1M_S1N_EUlS1M_E_NS1_11comp_targetILNS1_3genE8ELNS1_11target_archE1030ELNS1_3gpuE2ELNS1_3repE0EEENS1_30default_config_static_selectorELNS0_4arch9wavefront6targetE0EEEvSZ_,"axG",@progbits,_ZN7rocprim17ROCPRIM_400000_NS6detail17trampoline_kernelINS0_13select_configILj256ELj13ELNS0_17block_load_methodE3ELS4_3ELS4_3ELNS0_20block_scan_algorithmE0ELj4294967295EEENS1_25partition_config_selectorILNS1_17partition_subalgoE4EjNS0_10empty_typeEbEEZZNS1_14partition_implILS8_4ELb0ES6_15HIP_vector_typeIjLj2EENS0_17counting_iteratorIjlEEPS9_SG_NS0_5tupleIJPjSI_NS0_16reverse_iteratorISI_EEEEENSH_IJSG_SG_SG_EEES9_SI_JZNS1_25segmented_radix_sort_implINS0_14default_configELb1EPKlPlSQ_SR_N2at6native12_GLOBAL__N_18offset_tEEE10hipError_tPvRmT1_PNSt15iterator_traitsISZ_E10value_typeET2_T3_PNS10_IS15_E10value_typeET4_jRbjT5_S1B_jjP12ihipStream_tbEUljE_ZNSN_ISO_Lb1ESQ_SR_SQ_SR_SV_EESW_SX_SY_SZ_S13_S14_S15_S18_S19_jS1A_jS1B_S1B_jjS1D_bEUljE0_EEESW_SX_SY_S15_S19_S1B_T6_T7_T9_mT8_S1D_bDpT10_ENKUlT_T0_E_clISt17integral_constantIbLb1EES1R_EEDaS1M_S1N_EUlS1M_E_NS1_11comp_targetILNS1_3genE8ELNS1_11target_archE1030ELNS1_3gpuE2ELNS1_3repE0EEENS1_30default_config_static_selectorELNS0_4arch9wavefront6targetE0EEEvSZ_,comdat
	.globl	_ZN7rocprim17ROCPRIM_400000_NS6detail17trampoline_kernelINS0_13select_configILj256ELj13ELNS0_17block_load_methodE3ELS4_3ELS4_3ELNS0_20block_scan_algorithmE0ELj4294967295EEENS1_25partition_config_selectorILNS1_17partition_subalgoE4EjNS0_10empty_typeEbEEZZNS1_14partition_implILS8_4ELb0ES6_15HIP_vector_typeIjLj2EENS0_17counting_iteratorIjlEEPS9_SG_NS0_5tupleIJPjSI_NS0_16reverse_iteratorISI_EEEEENSH_IJSG_SG_SG_EEES9_SI_JZNS1_25segmented_radix_sort_implINS0_14default_configELb1EPKlPlSQ_SR_N2at6native12_GLOBAL__N_18offset_tEEE10hipError_tPvRmT1_PNSt15iterator_traitsISZ_E10value_typeET2_T3_PNS10_IS15_E10value_typeET4_jRbjT5_S1B_jjP12ihipStream_tbEUljE_ZNSN_ISO_Lb1ESQ_SR_SQ_SR_SV_EESW_SX_SY_SZ_S13_S14_S15_S18_S19_jS1A_jS1B_S1B_jjS1D_bEUljE0_EEESW_SX_SY_S15_S19_S1B_T6_T7_T9_mT8_S1D_bDpT10_ENKUlT_T0_E_clISt17integral_constantIbLb1EES1R_EEDaS1M_S1N_EUlS1M_E_NS1_11comp_targetILNS1_3genE8ELNS1_11target_archE1030ELNS1_3gpuE2ELNS1_3repE0EEENS1_30default_config_static_selectorELNS0_4arch9wavefront6targetE0EEEvSZ_ ; -- Begin function _ZN7rocprim17ROCPRIM_400000_NS6detail17trampoline_kernelINS0_13select_configILj256ELj13ELNS0_17block_load_methodE3ELS4_3ELS4_3ELNS0_20block_scan_algorithmE0ELj4294967295EEENS1_25partition_config_selectorILNS1_17partition_subalgoE4EjNS0_10empty_typeEbEEZZNS1_14partition_implILS8_4ELb0ES6_15HIP_vector_typeIjLj2EENS0_17counting_iteratorIjlEEPS9_SG_NS0_5tupleIJPjSI_NS0_16reverse_iteratorISI_EEEEENSH_IJSG_SG_SG_EEES9_SI_JZNS1_25segmented_radix_sort_implINS0_14default_configELb1EPKlPlSQ_SR_N2at6native12_GLOBAL__N_18offset_tEEE10hipError_tPvRmT1_PNSt15iterator_traitsISZ_E10value_typeET2_T3_PNS10_IS15_E10value_typeET4_jRbjT5_S1B_jjP12ihipStream_tbEUljE_ZNSN_ISO_Lb1ESQ_SR_SQ_SR_SV_EESW_SX_SY_SZ_S13_S14_S15_S18_S19_jS1A_jS1B_S1B_jjS1D_bEUljE0_EEESW_SX_SY_S15_S19_S1B_T6_T7_T9_mT8_S1D_bDpT10_ENKUlT_T0_E_clISt17integral_constantIbLb1EES1R_EEDaS1M_S1N_EUlS1M_E_NS1_11comp_targetILNS1_3genE8ELNS1_11target_archE1030ELNS1_3gpuE2ELNS1_3repE0EEENS1_30default_config_static_selectorELNS0_4arch9wavefront6targetE0EEEvSZ_
	.p2align	8
	.type	_ZN7rocprim17ROCPRIM_400000_NS6detail17trampoline_kernelINS0_13select_configILj256ELj13ELNS0_17block_load_methodE3ELS4_3ELS4_3ELNS0_20block_scan_algorithmE0ELj4294967295EEENS1_25partition_config_selectorILNS1_17partition_subalgoE4EjNS0_10empty_typeEbEEZZNS1_14partition_implILS8_4ELb0ES6_15HIP_vector_typeIjLj2EENS0_17counting_iteratorIjlEEPS9_SG_NS0_5tupleIJPjSI_NS0_16reverse_iteratorISI_EEEEENSH_IJSG_SG_SG_EEES9_SI_JZNS1_25segmented_radix_sort_implINS0_14default_configELb1EPKlPlSQ_SR_N2at6native12_GLOBAL__N_18offset_tEEE10hipError_tPvRmT1_PNSt15iterator_traitsISZ_E10value_typeET2_T3_PNS10_IS15_E10value_typeET4_jRbjT5_S1B_jjP12ihipStream_tbEUljE_ZNSN_ISO_Lb1ESQ_SR_SQ_SR_SV_EESW_SX_SY_SZ_S13_S14_S15_S18_S19_jS1A_jS1B_S1B_jjS1D_bEUljE0_EEESW_SX_SY_S15_S19_S1B_T6_T7_T9_mT8_S1D_bDpT10_ENKUlT_T0_E_clISt17integral_constantIbLb1EES1R_EEDaS1M_S1N_EUlS1M_E_NS1_11comp_targetILNS1_3genE8ELNS1_11target_archE1030ELNS1_3gpuE2ELNS1_3repE0EEENS1_30default_config_static_selectorELNS0_4arch9wavefront6targetE0EEEvSZ_,@function
_ZN7rocprim17ROCPRIM_400000_NS6detail17trampoline_kernelINS0_13select_configILj256ELj13ELNS0_17block_load_methodE3ELS4_3ELS4_3ELNS0_20block_scan_algorithmE0ELj4294967295EEENS1_25partition_config_selectorILNS1_17partition_subalgoE4EjNS0_10empty_typeEbEEZZNS1_14partition_implILS8_4ELb0ES6_15HIP_vector_typeIjLj2EENS0_17counting_iteratorIjlEEPS9_SG_NS0_5tupleIJPjSI_NS0_16reverse_iteratorISI_EEEEENSH_IJSG_SG_SG_EEES9_SI_JZNS1_25segmented_radix_sort_implINS0_14default_configELb1EPKlPlSQ_SR_N2at6native12_GLOBAL__N_18offset_tEEE10hipError_tPvRmT1_PNSt15iterator_traitsISZ_E10value_typeET2_T3_PNS10_IS15_E10value_typeET4_jRbjT5_S1B_jjP12ihipStream_tbEUljE_ZNSN_ISO_Lb1ESQ_SR_SQ_SR_SV_EESW_SX_SY_SZ_S13_S14_S15_S18_S19_jS1A_jS1B_S1B_jjS1D_bEUljE0_EEESW_SX_SY_S15_S19_S1B_T6_T7_T9_mT8_S1D_bDpT10_ENKUlT_T0_E_clISt17integral_constantIbLb1EES1R_EEDaS1M_S1N_EUlS1M_E_NS1_11comp_targetILNS1_3genE8ELNS1_11target_archE1030ELNS1_3gpuE2ELNS1_3repE0EEENS1_30default_config_static_selectorELNS0_4arch9wavefront6targetE0EEEvSZ_: ; @_ZN7rocprim17ROCPRIM_400000_NS6detail17trampoline_kernelINS0_13select_configILj256ELj13ELNS0_17block_load_methodE3ELS4_3ELS4_3ELNS0_20block_scan_algorithmE0ELj4294967295EEENS1_25partition_config_selectorILNS1_17partition_subalgoE4EjNS0_10empty_typeEbEEZZNS1_14partition_implILS8_4ELb0ES6_15HIP_vector_typeIjLj2EENS0_17counting_iteratorIjlEEPS9_SG_NS0_5tupleIJPjSI_NS0_16reverse_iteratorISI_EEEEENSH_IJSG_SG_SG_EEES9_SI_JZNS1_25segmented_radix_sort_implINS0_14default_configELb1EPKlPlSQ_SR_N2at6native12_GLOBAL__N_18offset_tEEE10hipError_tPvRmT1_PNSt15iterator_traitsISZ_E10value_typeET2_T3_PNS10_IS15_E10value_typeET4_jRbjT5_S1B_jjP12ihipStream_tbEUljE_ZNSN_ISO_Lb1ESQ_SR_SQ_SR_SV_EESW_SX_SY_SZ_S13_S14_S15_S18_S19_jS1A_jS1B_S1B_jjS1D_bEUljE0_EEESW_SX_SY_S15_S19_S1B_T6_T7_T9_mT8_S1D_bDpT10_ENKUlT_T0_E_clISt17integral_constantIbLb1EES1R_EEDaS1M_S1N_EUlS1M_E_NS1_11comp_targetILNS1_3genE8ELNS1_11target_archE1030ELNS1_3gpuE2ELNS1_3repE0EEENS1_30default_config_static_selectorELNS0_4arch9wavefront6targetE0EEEvSZ_
; %bb.0:
	s_endpgm
	.section	.rodata,"a",@progbits
	.p2align	6, 0x0
	.amdhsa_kernel _ZN7rocprim17ROCPRIM_400000_NS6detail17trampoline_kernelINS0_13select_configILj256ELj13ELNS0_17block_load_methodE3ELS4_3ELS4_3ELNS0_20block_scan_algorithmE0ELj4294967295EEENS1_25partition_config_selectorILNS1_17partition_subalgoE4EjNS0_10empty_typeEbEEZZNS1_14partition_implILS8_4ELb0ES6_15HIP_vector_typeIjLj2EENS0_17counting_iteratorIjlEEPS9_SG_NS0_5tupleIJPjSI_NS0_16reverse_iteratorISI_EEEEENSH_IJSG_SG_SG_EEES9_SI_JZNS1_25segmented_radix_sort_implINS0_14default_configELb1EPKlPlSQ_SR_N2at6native12_GLOBAL__N_18offset_tEEE10hipError_tPvRmT1_PNSt15iterator_traitsISZ_E10value_typeET2_T3_PNS10_IS15_E10value_typeET4_jRbjT5_S1B_jjP12ihipStream_tbEUljE_ZNSN_ISO_Lb1ESQ_SR_SQ_SR_SV_EESW_SX_SY_SZ_S13_S14_S15_S18_S19_jS1A_jS1B_S1B_jjS1D_bEUljE0_EEESW_SX_SY_S15_S19_S1B_T6_T7_T9_mT8_S1D_bDpT10_ENKUlT_T0_E_clISt17integral_constantIbLb1EES1R_EEDaS1M_S1N_EUlS1M_E_NS1_11comp_targetILNS1_3genE8ELNS1_11target_archE1030ELNS1_3gpuE2ELNS1_3repE0EEENS1_30default_config_static_selectorELNS0_4arch9wavefront6targetE0EEEvSZ_
		.amdhsa_group_segment_fixed_size 0
		.amdhsa_private_segment_fixed_size 0
		.amdhsa_kernarg_size 184
		.amdhsa_user_sgpr_count 6
		.amdhsa_user_sgpr_private_segment_buffer 1
		.amdhsa_user_sgpr_dispatch_ptr 0
		.amdhsa_user_sgpr_queue_ptr 0
		.amdhsa_user_sgpr_kernarg_segment_ptr 1
		.amdhsa_user_sgpr_dispatch_id 0
		.amdhsa_user_sgpr_flat_scratch_init 0
		.amdhsa_user_sgpr_private_segment_size 0
		.amdhsa_wavefront_size32 1
		.amdhsa_uses_dynamic_stack 0
		.amdhsa_system_sgpr_private_segment_wavefront_offset 0
		.amdhsa_system_sgpr_workgroup_id_x 1
		.amdhsa_system_sgpr_workgroup_id_y 0
		.amdhsa_system_sgpr_workgroup_id_z 0
		.amdhsa_system_sgpr_workgroup_info 0
		.amdhsa_system_vgpr_workitem_id 0
		.amdhsa_next_free_vgpr 1
		.amdhsa_next_free_sgpr 1
		.amdhsa_reserve_vcc 0
		.amdhsa_reserve_flat_scratch 0
		.amdhsa_float_round_mode_32 0
		.amdhsa_float_round_mode_16_64 0
		.amdhsa_float_denorm_mode_32 3
		.amdhsa_float_denorm_mode_16_64 3
		.amdhsa_dx10_clamp 1
		.amdhsa_ieee_mode 1
		.amdhsa_fp16_overflow 0
		.amdhsa_workgroup_processor_mode 1
		.amdhsa_memory_ordered 1
		.amdhsa_forward_progress 1
		.amdhsa_shared_vgpr_count 0
		.amdhsa_exception_fp_ieee_invalid_op 0
		.amdhsa_exception_fp_denorm_src 0
		.amdhsa_exception_fp_ieee_div_zero 0
		.amdhsa_exception_fp_ieee_overflow 0
		.amdhsa_exception_fp_ieee_underflow 0
		.amdhsa_exception_fp_ieee_inexact 0
		.amdhsa_exception_int_div_zero 0
	.end_amdhsa_kernel
	.section	.text._ZN7rocprim17ROCPRIM_400000_NS6detail17trampoline_kernelINS0_13select_configILj256ELj13ELNS0_17block_load_methodE3ELS4_3ELS4_3ELNS0_20block_scan_algorithmE0ELj4294967295EEENS1_25partition_config_selectorILNS1_17partition_subalgoE4EjNS0_10empty_typeEbEEZZNS1_14partition_implILS8_4ELb0ES6_15HIP_vector_typeIjLj2EENS0_17counting_iteratorIjlEEPS9_SG_NS0_5tupleIJPjSI_NS0_16reverse_iteratorISI_EEEEENSH_IJSG_SG_SG_EEES9_SI_JZNS1_25segmented_radix_sort_implINS0_14default_configELb1EPKlPlSQ_SR_N2at6native12_GLOBAL__N_18offset_tEEE10hipError_tPvRmT1_PNSt15iterator_traitsISZ_E10value_typeET2_T3_PNS10_IS15_E10value_typeET4_jRbjT5_S1B_jjP12ihipStream_tbEUljE_ZNSN_ISO_Lb1ESQ_SR_SQ_SR_SV_EESW_SX_SY_SZ_S13_S14_S15_S18_S19_jS1A_jS1B_S1B_jjS1D_bEUljE0_EEESW_SX_SY_S15_S19_S1B_T6_T7_T9_mT8_S1D_bDpT10_ENKUlT_T0_E_clISt17integral_constantIbLb1EES1R_EEDaS1M_S1N_EUlS1M_E_NS1_11comp_targetILNS1_3genE8ELNS1_11target_archE1030ELNS1_3gpuE2ELNS1_3repE0EEENS1_30default_config_static_selectorELNS0_4arch9wavefront6targetE0EEEvSZ_,"axG",@progbits,_ZN7rocprim17ROCPRIM_400000_NS6detail17trampoline_kernelINS0_13select_configILj256ELj13ELNS0_17block_load_methodE3ELS4_3ELS4_3ELNS0_20block_scan_algorithmE0ELj4294967295EEENS1_25partition_config_selectorILNS1_17partition_subalgoE4EjNS0_10empty_typeEbEEZZNS1_14partition_implILS8_4ELb0ES6_15HIP_vector_typeIjLj2EENS0_17counting_iteratorIjlEEPS9_SG_NS0_5tupleIJPjSI_NS0_16reverse_iteratorISI_EEEEENSH_IJSG_SG_SG_EEES9_SI_JZNS1_25segmented_radix_sort_implINS0_14default_configELb1EPKlPlSQ_SR_N2at6native12_GLOBAL__N_18offset_tEEE10hipError_tPvRmT1_PNSt15iterator_traitsISZ_E10value_typeET2_T3_PNS10_IS15_E10value_typeET4_jRbjT5_S1B_jjP12ihipStream_tbEUljE_ZNSN_ISO_Lb1ESQ_SR_SQ_SR_SV_EESW_SX_SY_SZ_S13_S14_S15_S18_S19_jS1A_jS1B_S1B_jjS1D_bEUljE0_EEESW_SX_SY_S15_S19_S1B_T6_T7_T9_mT8_S1D_bDpT10_ENKUlT_T0_E_clISt17integral_constantIbLb1EES1R_EEDaS1M_S1N_EUlS1M_E_NS1_11comp_targetILNS1_3genE8ELNS1_11target_archE1030ELNS1_3gpuE2ELNS1_3repE0EEENS1_30default_config_static_selectorELNS0_4arch9wavefront6targetE0EEEvSZ_,comdat
.Lfunc_end649:
	.size	_ZN7rocprim17ROCPRIM_400000_NS6detail17trampoline_kernelINS0_13select_configILj256ELj13ELNS0_17block_load_methodE3ELS4_3ELS4_3ELNS0_20block_scan_algorithmE0ELj4294967295EEENS1_25partition_config_selectorILNS1_17partition_subalgoE4EjNS0_10empty_typeEbEEZZNS1_14partition_implILS8_4ELb0ES6_15HIP_vector_typeIjLj2EENS0_17counting_iteratorIjlEEPS9_SG_NS0_5tupleIJPjSI_NS0_16reverse_iteratorISI_EEEEENSH_IJSG_SG_SG_EEES9_SI_JZNS1_25segmented_radix_sort_implINS0_14default_configELb1EPKlPlSQ_SR_N2at6native12_GLOBAL__N_18offset_tEEE10hipError_tPvRmT1_PNSt15iterator_traitsISZ_E10value_typeET2_T3_PNS10_IS15_E10value_typeET4_jRbjT5_S1B_jjP12ihipStream_tbEUljE_ZNSN_ISO_Lb1ESQ_SR_SQ_SR_SV_EESW_SX_SY_SZ_S13_S14_S15_S18_S19_jS1A_jS1B_S1B_jjS1D_bEUljE0_EEESW_SX_SY_S15_S19_S1B_T6_T7_T9_mT8_S1D_bDpT10_ENKUlT_T0_E_clISt17integral_constantIbLb1EES1R_EEDaS1M_S1N_EUlS1M_E_NS1_11comp_targetILNS1_3genE8ELNS1_11target_archE1030ELNS1_3gpuE2ELNS1_3repE0EEENS1_30default_config_static_selectorELNS0_4arch9wavefront6targetE0EEEvSZ_, .Lfunc_end649-_ZN7rocprim17ROCPRIM_400000_NS6detail17trampoline_kernelINS0_13select_configILj256ELj13ELNS0_17block_load_methodE3ELS4_3ELS4_3ELNS0_20block_scan_algorithmE0ELj4294967295EEENS1_25partition_config_selectorILNS1_17partition_subalgoE4EjNS0_10empty_typeEbEEZZNS1_14partition_implILS8_4ELb0ES6_15HIP_vector_typeIjLj2EENS0_17counting_iteratorIjlEEPS9_SG_NS0_5tupleIJPjSI_NS0_16reverse_iteratorISI_EEEEENSH_IJSG_SG_SG_EEES9_SI_JZNS1_25segmented_radix_sort_implINS0_14default_configELb1EPKlPlSQ_SR_N2at6native12_GLOBAL__N_18offset_tEEE10hipError_tPvRmT1_PNSt15iterator_traitsISZ_E10value_typeET2_T3_PNS10_IS15_E10value_typeET4_jRbjT5_S1B_jjP12ihipStream_tbEUljE_ZNSN_ISO_Lb1ESQ_SR_SQ_SR_SV_EESW_SX_SY_SZ_S13_S14_S15_S18_S19_jS1A_jS1B_S1B_jjS1D_bEUljE0_EEESW_SX_SY_S15_S19_S1B_T6_T7_T9_mT8_S1D_bDpT10_ENKUlT_T0_E_clISt17integral_constantIbLb1EES1R_EEDaS1M_S1N_EUlS1M_E_NS1_11comp_targetILNS1_3genE8ELNS1_11target_archE1030ELNS1_3gpuE2ELNS1_3repE0EEENS1_30default_config_static_selectorELNS0_4arch9wavefront6targetE0EEEvSZ_
                                        ; -- End function
	.set _ZN7rocprim17ROCPRIM_400000_NS6detail17trampoline_kernelINS0_13select_configILj256ELj13ELNS0_17block_load_methodE3ELS4_3ELS4_3ELNS0_20block_scan_algorithmE0ELj4294967295EEENS1_25partition_config_selectorILNS1_17partition_subalgoE4EjNS0_10empty_typeEbEEZZNS1_14partition_implILS8_4ELb0ES6_15HIP_vector_typeIjLj2EENS0_17counting_iteratorIjlEEPS9_SG_NS0_5tupleIJPjSI_NS0_16reverse_iteratorISI_EEEEENSH_IJSG_SG_SG_EEES9_SI_JZNS1_25segmented_radix_sort_implINS0_14default_configELb1EPKlPlSQ_SR_N2at6native12_GLOBAL__N_18offset_tEEE10hipError_tPvRmT1_PNSt15iterator_traitsISZ_E10value_typeET2_T3_PNS10_IS15_E10value_typeET4_jRbjT5_S1B_jjP12ihipStream_tbEUljE_ZNSN_ISO_Lb1ESQ_SR_SQ_SR_SV_EESW_SX_SY_SZ_S13_S14_S15_S18_S19_jS1A_jS1B_S1B_jjS1D_bEUljE0_EEESW_SX_SY_S15_S19_S1B_T6_T7_T9_mT8_S1D_bDpT10_ENKUlT_T0_E_clISt17integral_constantIbLb1EES1R_EEDaS1M_S1N_EUlS1M_E_NS1_11comp_targetILNS1_3genE8ELNS1_11target_archE1030ELNS1_3gpuE2ELNS1_3repE0EEENS1_30default_config_static_selectorELNS0_4arch9wavefront6targetE0EEEvSZ_.num_vgpr, 0
	.set _ZN7rocprim17ROCPRIM_400000_NS6detail17trampoline_kernelINS0_13select_configILj256ELj13ELNS0_17block_load_methodE3ELS4_3ELS4_3ELNS0_20block_scan_algorithmE0ELj4294967295EEENS1_25partition_config_selectorILNS1_17partition_subalgoE4EjNS0_10empty_typeEbEEZZNS1_14partition_implILS8_4ELb0ES6_15HIP_vector_typeIjLj2EENS0_17counting_iteratorIjlEEPS9_SG_NS0_5tupleIJPjSI_NS0_16reverse_iteratorISI_EEEEENSH_IJSG_SG_SG_EEES9_SI_JZNS1_25segmented_radix_sort_implINS0_14default_configELb1EPKlPlSQ_SR_N2at6native12_GLOBAL__N_18offset_tEEE10hipError_tPvRmT1_PNSt15iterator_traitsISZ_E10value_typeET2_T3_PNS10_IS15_E10value_typeET4_jRbjT5_S1B_jjP12ihipStream_tbEUljE_ZNSN_ISO_Lb1ESQ_SR_SQ_SR_SV_EESW_SX_SY_SZ_S13_S14_S15_S18_S19_jS1A_jS1B_S1B_jjS1D_bEUljE0_EEESW_SX_SY_S15_S19_S1B_T6_T7_T9_mT8_S1D_bDpT10_ENKUlT_T0_E_clISt17integral_constantIbLb1EES1R_EEDaS1M_S1N_EUlS1M_E_NS1_11comp_targetILNS1_3genE8ELNS1_11target_archE1030ELNS1_3gpuE2ELNS1_3repE0EEENS1_30default_config_static_selectorELNS0_4arch9wavefront6targetE0EEEvSZ_.num_agpr, 0
	.set _ZN7rocprim17ROCPRIM_400000_NS6detail17trampoline_kernelINS0_13select_configILj256ELj13ELNS0_17block_load_methodE3ELS4_3ELS4_3ELNS0_20block_scan_algorithmE0ELj4294967295EEENS1_25partition_config_selectorILNS1_17partition_subalgoE4EjNS0_10empty_typeEbEEZZNS1_14partition_implILS8_4ELb0ES6_15HIP_vector_typeIjLj2EENS0_17counting_iteratorIjlEEPS9_SG_NS0_5tupleIJPjSI_NS0_16reverse_iteratorISI_EEEEENSH_IJSG_SG_SG_EEES9_SI_JZNS1_25segmented_radix_sort_implINS0_14default_configELb1EPKlPlSQ_SR_N2at6native12_GLOBAL__N_18offset_tEEE10hipError_tPvRmT1_PNSt15iterator_traitsISZ_E10value_typeET2_T3_PNS10_IS15_E10value_typeET4_jRbjT5_S1B_jjP12ihipStream_tbEUljE_ZNSN_ISO_Lb1ESQ_SR_SQ_SR_SV_EESW_SX_SY_SZ_S13_S14_S15_S18_S19_jS1A_jS1B_S1B_jjS1D_bEUljE0_EEESW_SX_SY_S15_S19_S1B_T6_T7_T9_mT8_S1D_bDpT10_ENKUlT_T0_E_clISt17integral_constantIbLb1EES1R_EEDaS1M_S1N_EUlS1M_E_NS1_11comp_targetILNS1_3genE8ELNS1_11target_archE1030ELNS1_3gpuE2ELNS1_3repE0EEENS1_30default_config_static_selectorELNS0_4arch9wavefront6targetE0EEEvSZ_.numbered_sgpr, 0
	.set _ZN7rocprim17ROCPRIM_400000_NS6detail17trampoline_kernelINS0_13select_configILj256ELj13ELNS0_17block_load_methodE3ELS4_3ELS4_3ELNS0_20block_scan_algorithmE0ELj4294967295EEENS1_25partition_config_selectorILNS1_17partition_subalgoE4EjNS0_10empty_typeEbEEZZNS1_14partition_implILS8_4ELb0ES6_15HIP_vector_typeIjLj2EENS0_17counting_iteratorIjlEEPS9_SG_NS0_5tupleIJPjSI_NS0_16reverse_iteratorISI_EEEEENSH_IJSG_SG_SG_EEES9_SI_JZNS1_25segmented_radix_sort_implINS0_14default_configELb1EPKlPlSQ_SR_N2at6native12_GLOBAL__N_18offset_tEEE10hipError_tPvRmT1_PNSt15iterator_traitsISZ_E10value_typeET2_T3_PNS10_IS15_E10value_typeET4_jRbjT5_S1B_jjP12ihipStream_tbEUljE_ZNSN_ISO_Lb1ESQ_SR_SQ_SR_SV_EESW_SX_SY_SZ_S13_S14_S15_S18_S19_jS1A_jS1B_S1B_jjS1D_bEUljE0_EEESW_SX_SY_S15_S19_S1B_T6_T7_T9_mT8_S1D_bDpT10_ENKUlT_T0_E_clISt17integral_constantIbLb1EES1R_EEDaS1M_S1N_EUlS1M_E_NS1_11comp_targetILNS1_3genE8ELNS1_11target_archE1030ELNS1_3gpuE2ELNS1_3repE0EEENS1_30default_config_static_selectorELNS0_4arch9wavefront6targetE0EEEvSZ_.num_named_barrier, 0
	.set _ZN7rocprim17ROCPRIM_400000_NS6detail17trampoline_kernelINS0_13select_configILj256ELj13ELNS0_17block_load_methodE3ELS4_3ELS4_3ELNS0_20block_scan_algorithmE0ELj4294967295EEENS1_25partition_config_selectorILNS1_17partition_subalgoE4EjNS0_10empty_typeEbEEZZNS1_14partition_implILS8_4ELb0ES6_15HIP_vector_typeIjLj2EENS0_17counting_iteratorIjlEEPS9_SG_NS0_5tupleIJPjSI_NS0_16reverse_iteratorISI_EEEEENSH_IJSG_SG_SG_EEES9_SI_JZNS1_25segmented_radix_sort_implINS0_14default_configELb1EPKlPlSQ_SR_N2at6native12_GLOBAL__N_18offset_tEEE10hipError_tPvRmT1_PNSt15iterator_traitsISZ_E10value_typeET2_T3_PNS10_IS15_E10value_typeET4_jRbjT5_S1B_jjP12ihipStream_tbEUljE_ZNSN_ISO_Lb1ESQ_SR_SQ_SR_SV_EESW_SX_SY_SZ_S13_S14_S15_S18_S19_jS1A_jS1B_S1B_jjS1D_bEUljE0_EEESW_SX_SY_S15_S19_S1B_T6_T7_T9_mT8_S1D_bDpT10_ENKUlT_T0_E_clISt17integral_constantIbLb1EES1R_EEDaS1M_S1N_EUlS1M_E_NS1_11comp_targetILNS1_3genE8ELNS1_11target_archE1030ELNS1_3gpuE2ELNS1_3repE0EEENS1_30default_config_static_selectorELNS0_4arch9wavefront6targetE0EEEvSZ_.private_seg_size, 0
	.set _ZN7rocprim17ROCPRIM_400000_NS6detail17trampoline_kernelINS0_13select_configILj256ELj13ELNS0_17block_load_methodE3ELS4_3ELS4_3ELNS0_20block_scan_algorithmE0ELj4294967295EEENS1_25partition_config_selectorILNS1_17partition_subalgoE4EjNS0_10empty_typeEbEEZZNS1_14partition_implILS8_4ELb0ES6_15HIP_vector_typeIjLj2EENS0_17counting_iteratorIjlEEPS9_SG_NS0_5tupleIJPjSI_NS0_16reverse_iteratorISI_EEEEENSH_IJSG_SG_SG_EEES9_SI_JZNS1_25segmented_radix_sort_implINS0_14default_configELb1EPKlPlSQ_SR_N2at6native12_GLOBAL__N_18offset_tEEE10hipError_tPvRmT1_PNSt15iterator_traitsISZ_E10value_typeET2_T3_PNS10_IS15_E10value_typeET4_jRbjT5_S1B_jjP12ihipStream_tbEUljE_ZNSN_ISO_Lb1ESQ_SR_SQ_SR_SV_EESW_SX_SY_SZ_S13_S14_S15_S18_S19_jS1A_jS1B_S1B_jjS1D_bEUljE0_EEESW_SX_SY_S15_S19_S1B_T6_T7_T9_mT8_S1D_bDpT10_ENKUlT_T0_E_clISt17integral_constantIbLb1EES1R_EEDaS1M_S1N_EUlS1M_E_NS1_11comp_targetILNS1_3genE8ELNS1_11target_archE1030ELNS1_3gpuE2ELNS1_3repE0EEENS1_30default_config_static_selectorELNS0_4arch9wavefront6targetE0EEEvSZ_.uses_vcc, 0
	.set _ZN7rocprim17ROCPRIM_400000_NS6detail17trampoline_kernelINS0_13select_configILj256ELj13ELNS0_17block_load_methodE3ELS4_3ELS4_3ELNS0_20block_scan_algorithmE0ELj4294967295EEENS1_25partition_config_selectorILNS1_17partition_subalgoE4EjNS0_10empty_typeEbEEZZNS1_14partition_implILS8_4ELb0ES6_15HIP_vector_typeIjLj2EENS0_17counting_iteratorIjlEEPS9_SG_NS0_5tupleIJPjSI_NS0_16reverse_iteratorISI_EEEEENSH_IJSG_SG_SG_EEES9_SI_JZNS1_25segmented_radix_sort_implINS0_14default_configELb1EPKlPlSQ_SR_N2at6native12_GLOBAL__N_18offset_tEEE10hipError_tPvRmT1_PNSt15iterator_traitsISZ_E10value_typeET2_T3_PNS10_IS15_E10value_typeET4_jRbjT5_S1B_jjP12ihipStream_tbEUljE_ZNSN_ISO_Lb1ESQ_SR_SQ_SR_SV_EESW_SX_SY_SZ_S13_S14_S15_S18_S19_jS1A_jS1B_S1B_jjS1D_bEUljE0_EEESW_SX_SY_S15_S19_S1B_T6_T7_T9_mT8_S1D_bDpT10_ENKUlT_T0_E_clISt17integral_constantIbLb1EES1R_EEDaS1M_S1N_EUlS1M_E_NS1_11comp_targetILNS1_3genE8ELNS1_11target_archE1030ELNS1_3gpuE2ELNS1_3repE0EEENS1_30default_config_static_selectorELNS0_4arch9wavefront6targetE0EEEvSZ_.uses_flat_scratch, 0
	.set _ZN7rocprim17ROCPRIM_400000_NS6detail17trampoline_kernelINS0_13select_configILj256ELj13ELNS0_17block_load_methodE3ELS4_3ELS4_3ELNS0_20block_scan_algorithmE0ELj4294967295EEENS1_25partition_config_selectorILNS1_17partition_subalgoE4EjNS0_10empty_typeEbEEZZNS1_14partition_implILS8_4ELb0ES6_15HIP_vector_typeIjLj2EENS0_17counting_iteratorIjlEEPS9_SG_NS0_5tupleIJPjSI_NS0_16reverse_iteratorISI_EEEEENSH_IJSG_SG_SG_EEES9_SI_JZNS1_25segmented_radix_sort_implINS0_14default_configELb1EPKlPlSQ_SR_N2at6native12_GLOBAL__N_18offset_tEEE10hipError_tPvRmT1_PNSt15iterator_traitsISZ_E10value_typeET2_T3_PNS10_IS15_E10value_typeET4_jRbjT5_S1B_jjP12ihipStream_tbEUljE_ZNSN_ISO_Lb1ESQ_SR_SQ_SR_SV_EESW_SX_SY_SZ_S13_S14_S15_S18_S19_jS1A_jS1B_S1B_jjS1D_bEUljE0_EEESW_SX_SY_S15_S19_S1B_T6_T7_T9_mT8_S1D_bDpT10_ENKUlT_T0_E_clISt17integral_constantIbLb1EES1R_EEDaS1M_S1N_EUlS1M_E_NS1_11comp_targetILNS1_3genE8ELNS1_11target_archE1030ELNS1_3gpuE2ELNS1_3repE0EEENS1_30default_config_static_selectorELNS0_4arch9wavefront6targetE0EEEvSZ_.has_dyn_sized_stack, 0
	.set _ZN7rocprim17ROCPRIM_400000_NS6detail17trampoline_kernelINS0_13select_configILj256ELj13ELNS0_17block_load_methodE3ELS4_3ELS4_3ELNS0_20block_scan_algorithmE0ELj4294967295EEENS1_25partition_config_selectorILNS1_17partition_subalgoE4EjNS0_10empty_typeEbEEZZNS1_14partition_implILS8_4ELb0ES6_15HIP_vector_typeIjLj2EENS0_17counting_iteratorIjlEEPS9_SG_NS0_5tupleIJPjSI_NS0_16reverse_iteratorISI_EEEEENSH_IJSG_SG_SG_EEES9_SI_JZNS1_25segmented_radix_sort_implINS0_14default_configELb1EPKlPlSQ_SR_N2at6native12_GLOBAL__N_18offset_tEEE10hipError_tPvRmT1_PNSt15iterator_traitsISZ_E10value_typeET2_T3_PNS10_IS15_E10value_typeET4_jRbjT5_S1B_jjP12ihipStream_tbEUljE_ZNSN_ISO_Lb1ESQ_SR_SQ_SR_SV_EESW_SX_SY_SZ_S13_S14_S15_S18_S19_jS1A_jS1B_S1B_jjS1D_bEUljE0_EEESW_SX_SY_S15_S19_S1B_T6_T7_T9_mT8_S1D_bDpT10_ENKUlT_T0_E_clISt17integral_constantIbLb1EES1R_EEDaS1M_S1N_EUlS1M_E_NS1_11comp_targetILNS1_3genE8ELNS1_11target_archE1030ELNS1_3gpuE2ELNS1_3repE0EEENS1_30default_config_static_selectorELNS0_4arch9wavefront6targetE0EEEvSZ_.has_recursion, 0
	.set _ZN7rocprim17ROCPRIM_400000_NS6detail17trampoline_kernelINS0_13select_configILj256ELj13ELNS0_17block_load_methodE3ELS4_3ELS4_3ELNS0_20block_scan_algorithmE0ELj4294967295EEENS1_25partition_config_selectorILNS1_17partition_subalgoE4EjNS0_10empty_typeEbEEZZNS1_14partition_implILS8_4ELb0ES6_15HIP_vector_typeIjLj2EENS0_17counting_iteratorIjlEEPS9_SG_NS0_5tupleIJPjSI_NS0_16reverse_iteratorISI_EEEEENSH_IJSG_SG_SG_EEES9_SI_JZNS1_25segmented_radix_sort_implINS0_14default_configELb1EPKlPlSQ_SR_N2at6native12_GLOBAL__N_18offset_tEEE10hipError_tPvRmT1_PNSt15iterator_traitsISZ_E10value_typeET2_T3_PNS10_IS15_E10value_typeET4_jRbjT5_S1B_jjP12ihipStream_tbEUljE_ZNSN_ISO_Lb1ESQ_SR_SQ_SR_SV_EESW_SX_SY_SZ_S13_S14_S15_S18_S19_jS1A_jS1B_S1B_jjS1D_bEUljE0_EEESW_SX_SY_S15_S19_S1B_T6_T7_T9_mT8_S1D_bDpT10_ENKUlT_T0_E_clISt17integral_constantIbLb1EES1R_EEDaS1M_S1N_EUlS1M_E_NS1_11comp_targetILNS1_3genE8ELNS1_11target_archE1030ELNS1_3gpuE2ELNS1_3repE0EEENS1_30default_config_static_selectorELNS0_4arch9wavefront6targetE0EEEvSZ_.has_indirect_call, 0
	.section	.AMDGPU.csdata,"",@progbits
; Kernel info:
; codeLenInByte = 4
; TotalNumSgprs: 0
; NumVgprs: 0
; ScratchSize: 0
; MemoryBound: 0
; FloatMode: 240
; IeeeMode: 1
; LDSByteSize: 0 bytes/workgroup (compile time only)
; SGPRBlocks: 0
; VGPRBlocks: 0
; NumSGPRsForWavesPerEU: 1
; NumVGPRsForWavesPerEU: 1
; Occupancy: 16
; WaveLimiterHint : 0
; COMPUTE_PGM_RSRC2:SCRATCH_EN: 0
; COMPUTE_PGM_RSRC2:USER_SGPR: 6
; COMPUTE_PGM_RSRC2:TRAP_HANDLER: 0
; COMPUTE_PGM_RSRC2:TGID_X_EN: 1
; COMPUTE_PGM_RSRC2:TGID_Y_EN: 0
; COMPUTE_PGM_RSRC2:TGID_Z_EN: 0
; COMPUTE_PGM_RSRC2:TIDIG_COMP_CNT: 0
	.section	.text._ZN7rocprim17ROCPRIM_400000_NS6detail17trampoline_kernelINS0_13select_configILj256ELj13ELNS0_17block_load_methodE3ELS4_3ELS4_3ELNS0_20block_scan_algorithmE0ELj4294967295EEENS1_25partition_config_selectorILNS1_17partition_subalgoE4EjNS0_10empty_typeEbEEZZNS1_14partition_implILS8_4ELb0ES6_15HIP_vector_typeIjLj2EENS0_17counting_iteratorIjlEEPS9_SG_NS0_5tupleIJPjSI_NS0_16reverse_iteratorISI_EEEEENSH_IJSG_SG_SG_EEES9_SI_JZNS1_25segmented_radix_sort_implINS0_14default_configELb1EPKlPlSQ_SR_N2at6native12_GLOBAL__N_18offset_tEEE10hipError_tPvRmT1_PNSt15iterator_traitsISZ_E10value_typeET2_T3_PNS10_IS15_E10value_typeET4_jRbjT5_S1B_jjP12ihipStream_tbEUljE_ZNSN_ISO_Lb1ESQ_SR_SQ_SR_SV_EESW_SX_SY_SZ_S13_S14_S15_S18_S19_jS1A_jS1B_S1B_jjS1D_bEUljE0_EEESW_SX_SY_S15_S19_S1B_T6_T7_T9_mT8_S1D_bDpT10_ENKUlT_T0_E_clISt17integral_constantIbLb1EES1Q_IbLb0EEEEDaS1M_S1N_EUlS1M_E_NS1_11comp_targetILNS1_3genE0ELNS1_11target_archE4294967295ELNS1_3gpuE0ELNS1_3repE0EEENS1_30default_config_static_selectorELNS0_4arch9wavefront6targetE0EEEvSZ_,"axG",@progbits,_ZN7rocprim17ROCPRIM_400000_NS6detail17trampoline_kernelINS0_13select_configILj256ELj13ELNS0_17block_load_methodE3ELS4_3ELS4_3ELNS0_20block_scan_algorithmE0ELj4294967295EEENS1_25partition_config_selectorILNS1_17partition_subalgoE4EjNS0_10empty_typeEbEEZZNS1_14partition_implILS8_4ELb0ES6_15HIP_vector_typeIjLj2EENS0_17counting_iteratorIjlEEPS9_SG_NS0_5tupleIJPjSI_NS0_16reverse_iteratorISI_EEEEENSH_IJSG_SG_SG_EEES9_SI_JZNS1_25segmented_radix_sort_implINS0_14default_configELb1EPKlPlSQ_SR_N2at6native12_GLOBAL__N_18offset_tEEE10hipError_tPvRmT1_PNSt15iterator_traitsISZ_E10value_typeET2_T3_PNS10_IS15_E10value_typeET4_jRbjT5_S1B_jjP12ihipStream_tbEUljE_ZNSN_ISO_Lb1ESQ_SR_SQ_SR_SV_EESW_SX_SY_SZ_S13_S14_S15_S18_S19_jS1A_jS1B_S1B_jjS1D_bEUljE0_EEESW_SX_SY_S15_S19_S1B_T6_T7_T9_mT8_S1D_bDpT10_ENKUlT_T0_E_clISt17integral_constantIbLb1EES1Q_IbLb0EEEEDaS1M_S1N_EUlS1M_E_NS1_11comp_targetILNS1_3genE0ELNS1_11target_archE4294967295ELNS1_3gpuE0ELNS1_3repE0EEENS1_30default_config_static_selectorELNS0_4arch9wavefront6targetE0EEEvSZ_,comdat
	.globl	_ZN7rocprim17ROCPRIM_400000_NS6detail17trampoline_kernelINS0_13select_configILj256ELj13ELNS0_17block_load_methodE3ELS4_3ELS4_3ELNS0_20block_scan_algorithmE0ELj4294967295EEENS1_25partition_config_selectorILNS1_17partition_subalgoE4EjNS0_10empty_typeEbEEZZNS1_14partition_implILS8_4ELb0ES6_15HIP_vector_typeIjLj2EENS0_17counting_iteratorIjlEEPS9_SG_NS0_5tupleIJPjSI_NS0_16reverse_iteratorISI_EEEEENSH_IJSG_SG_SG_EEES9_SI_JZNS1_25segmented_radix_sort_implINS0_14default_configELb1EPKlPlSQ_SR_N2at6native12_GLOBAL__N_18offset_tEEE10hipError_tPvRmT1_PNSt15iterator_traitsISZ_E10value_typeET2_T3_PNS10_IS15_E10value_typeET4_jRbjT5_S1B_jjP12ihipStream_tbEUljE_ZNSN_ISO_Lb1ESQ_SR_SQ_SR_SV_EESW_SX_SY_SZ_S13_S14_S15_S18_S19_jS1A_jS1B_S1B_jjS1D_bEUljE0_EEESW_SX_SY_S15_S19_S1B_T6_T7_T9_mT8_S1D_bDpT10_ENKUlT_T0_E_clISt17integral_constantIbLb1EES1Q_IbLb0EEEEDaS1M_S1N_EUlS1M_E_NS1_11comp_targetILNS1_3genE0ELNS1_11target_archE4294967295ELNS1_3gpuE0ELNS1_3repE0EEENS1_30default_config_static_selectorELNS0_4arch9wavefront6targetE0EEEvSZ_ ; -- Begin function _ZN7rocprim17ROCPRIM_400000_NS6detail17trampoline_kernelINS0_13select_configILj256ELj13ELNS0_17block_load_methodE3ELS4_3ELS4_3ELNS0_20block_scan_algorithmE0ELj4294967295EEENS1_25partition_config_selectorILNS1_17partition_subalgoE4EjNS0_10empty_typeEbEEZZNS1_14partition_implILS8_4ELb0ES6_15HIP_vector_typeIjLj2EENS0_17counting_iteratorIjlEEPS9_SG_NS0_5tupleIJPjSI_NS0_16reverse_iteratorISI_EEEEENSH_IJSG_SG_SG_EEES9_SI_JZNS1_25segmented_radix_sort_implINS0_14default_configELb1EPKlPlSQ_SR_N2at6native12_GLOBAL__N_18offset_tEEE10hipError_tPvRmT1_PNSt15iterator_traitsISZ_E10value_typeET2_T3_PNS10_IS15_E10value_typeET4_jRbjT5_S1B_jjP12ihipStream_tbEUljE_ZNSN_ISO_Lb1ESQ_SR_SQ_SR_SV_EESW_SX_SY_SZ_S13_S14_S15_S18_S19_jS1A_jS1B_S1B_jjS1D_bEUljE0_EEESW_SX_SY_S15_S19_S1B_T6_T7_T9_mT8_S1D_bDpT10_ENKUlT_T0_E_clISt17integral_constantIbLb1EES1Q_IbLb0EEEEDaS1M_S1N_EUlS1M_E_NS1_11comp_targetILNS1_3genE0ELNS1_11target_archE4294967295ELNS1_3gpuE0ELNS1_3repE0EEENS1_30default_config_static_selectorELNS0_4arch9wavefront6targetE0EEEvSZ_
	.p2align	8
	.type	_ZN7rocprim17ROCPRIM_400000_NS6detail17trampoline_kernelINS0_13select_configILj256ELj13ELNS0_17block_load_methodE3ELS4_3ELS4_3ELNS0_20block_scan_algorithmE0ELj4294967295EEENS1_25partition_config_selectorILNS1_17partition_subalgoE4EjNS0_10empty_typeEbEEZZNS1_14partition_implILS8_4ELb0ES6_15HIP_vector_typeIjLj2EENS0_17counting_iteratorIjlEEPS9_SG_NS0_5tupleIJPjSI_NS0_16reverse_iteratorISI_EEEEENSH_IJSG_SG_SG_EEES9_SI_JZNS1_25segmented_radix_sort_implINS0_14default_configELb1EPKlPlSQ_SR_N2at6native12_GLOBAL__N_18offset_tEEE10hipError_tPvRmT1_PNSt15iterator_traitsISZ_E10value_typeET2_T3_PNS10_IS15_E10value_typeET4_jRbjT5_S1B_jjP12ihipStream_tbEUljE_ZNSN_ISO_Lb1ESQ_SR_SQ_SR_SV_EESW_SX_SY_SZ_S13_S14_S15_S18_S19_jS1A_jS1B_S1B_jjS1D_bEUljE0_EEESW_SX_SY_S15_S19_S1B_T6_T7_T9_mT8_S1D_bDpT10_ENKUlT_T0_E_clISt17integral_constantIbLb1EES1Q_IbLb0EEEEDaS1M_S1N_EUlS1M_E_NS1_11comp_targetILNS1_3genE0ELNS1_11target_archE4294967295ELNS1_3gpuE0ELNS1_3repE0EEENS1_30default_config_static_selectorELNS0_4arch9wavefront6targetE0EEEvSZ_,@function
_ZN7rocprim17ROCPRIM_400000_NS6detail17trampoline_kernelINS0_13select_configILj256ELj13ELNS0_17block_load_methodE3ELS4_3ELS4_3ELNS0_20block_scan_algorithmE0ELj4294967295EEENS1_25partition_config_selectorILNS1_17partition_subalgoE4EjNS0_10empty_typeEbEEZZNS1_14partition_implILS8_4ELb0ES6_15HIP_vector_typeIjLj2EENS0_17counting_iteratorIjlEEPS9_SG_NS0_5tupleIJPjSI_NS0_16reverse_iteratorISI_EEEEENSH_IJSG_SG_SG_EEES9_SI_JZNS1_25segmented_radix_sort_implINS0_14default_configELb1EPKlPlSQ_SR_N2at6native12_GLOBAL__N_18offset_tEEE10hipError_tPvRmT1_PNSt15iterator_traitsISZ_E10value_typeET2_T3_PNS10_IS15_E10value_typeET4_jRbjT5_S1B_jjP12ihipStream_tbEUljE_ZNSN_ISO_Lb1ESQ_SR_SQ_SR_SV_EESW_SX_SY_SZ_S13_S14_S15_S18_S19_jS1A_jS1B_S1B_jjS1D_bEUljE0_EEESW_SX_SY_S15_S19_S1B_T6_T7_T9_mT8_S1D_bDpT10_ENKUlT_T0_E_clISt17integral_constantIbLb1EES1Q_IbLb0EEEEDaS1M_S1N_EUlS1M_E_NS1_11comp_targetILNS1_3genE0ELNS1_11target_archE4294967295ELNS1_3gpuE0ELNS1_3repE0EEENS1_30default_config_static_selectorELNS0_4arch9wavefront6targetE0EEEvSZ_: ; @_ZN7rocprim17ROCPRIM_400000_NS6detail17trampoline_kernelINS0_13select_configILj256ELj13ELNS0_17block_load_methodE3ELS4_3ELS4_3ELNS0_20block_scan_algorithmE0ELj4294967295EEENS1_25partition_config_selectorILNS1_17partition_subalgoE4EjNS0_10empty_typeEbEEZZNS1_14partition_implILS8_4ELb0ES6_15HIP_vector_typeIjLj2EENS0_17counting_iteratorIjlEEPS9_SG_NS0_5tupleIJPjSI_NS0_16reverse_iteratorISI_EEEEENSH_IJSG_SG_SG_EEES9_SI_JZNS1_25segmented_radix_sort_implINS0_14default_configELb1EPKlPlSQ_SR_N2at6native12_GLOBAL__N_18offset_tEEE10hipError_tPvRmT1_PNSt15iterator_traitsISZ_E10value_typeET2_T3_PNS10_IS15_E10value_typeET4_jRbjT5_S1B_jjP12ihipStream_tbEUljE_ZNSN_ISO_Lb1ESQ_SR_SQ_SR_SV_EESW_SX_SY_SZ_S13_S14_S15_S18_S19_jS1A_jS1B_S1B_jjS1D_bEUljE0_EEESW_SX_SY_S15_S19_S1B_T6_T7_T9_mT8_S1D_bDpT10_ENKUlT_T0_E_clISt17integral_constantIbLb1EES1Q_IbLb0EEEEDaS1M_S1N_EUlS1M_E_NS1_11comp_targetILNS1_3genE0ELNS1_11target_archE4294967295ELNS1_3gpuE0ELNS1_3repE0EEENS1_30default_config_static_selectorELNS0_4arch9wavefront6targetE0EEEvSZ_
; %bb.0:
	.section	.rodata,"a",@progbits
	.p2align	6, 0x0
	.amdhsa_kernel _ZN7rocprim17ROCPRIM_400000_NS6detail17trampoline_kernelINS0_13select_configILj256ELj13ELNS0_17block_load_methodE3ELS4_3ELS4_3ELNS0_20block_scan_algorithmE0ELj4294967295EEENS1_25partition_config_selectorILNS1_17partition_subalgoE4EjNS0_10empty_typeEbEEZZNS1_14partition_implILS8_4ELb0ES6_15HIP_vector_typeIjLj2EENS0_17counting_iteratorIjlEEPS9_SG_NS0_5tupleIJPjSI_NS0_16reverse_iteratorISI_EEEEENSH_IJSG_SG_SG_EEES9_SI_JZNS1_25segmented_radix_sort_implINS0_14default_configELb1EPKlPlSQ_SR_N2at6native12_GLOBAL__N_18offset_tEEE10hipError_tPvRmT1_PNSt15iterator_traitsISZ_E10value_typeET2_T3_PNS10_IS15_E10value_typeET4_jRbjT5_S1B_jjP12ihipStream_tbEUljE_ZNSN_ISO_Lb1ESQ_SR_SQ_SR_SV_EESW_SX_SY_SZ_S13_S14_S15_S18_S19_jS1A_jS1B_S1B_jjS1D_bEUljE0_EEESW_SX_SY_S15_S19_S1B_T6_T7_T9_mT8_S1D_bDpT10_ENKUlT_T0_E_clISt17integral_constantIbLb1EES1Q_IbLb0EEEEDaS1M_S1N_EUlS1M_E_NS1_11comp_targetILNS1_3genE0ELNS1_11target_archE4294967295ELNS1_3gpuE0ELNS1_3repE0EEENS1_30default_config_static_selectorELNS0_4arch9wavefront6targetE0EEEvSZ_
		.amdhsa_group_segment_fixed_size 0
		.amdhsa_private_segment_fixed_size 0
		.amdhsa_kernarg_size 176
		.amdhsa_user_sgpr_count 6
		.amdhsa_user_sgpr_private_segment_buffer 1
		.amdhsa_user_sgpr_dispatch_ptr 0
		.amdhsa_user_sgpr_queue_ptr 0
		.amdhsa_user_sgpr_kernarg_segment_ptr 1
		.amdhsa_user_sgpr_dispatch_id 0
		.amdhsa_user_sgpr_flat_scratch_init 0
		.amdhsa_user_sgpr_private_segment_size 0
		.amdhsa_wavefront_size32 1
		.amdhsa_uses_dynamic_stack 0
		.amdhsa_system_sgpr_private_segment_wavefront_offset 0
		.amdhsa_system_sgpr_workgroup_id_x 1
		.amdhsa_system_sgpr_workgroup_id_y 0
		.amdhsa_system_sgpr_workgroup_id_z 0
		.amdhsa_system_sgpr_workgroup_info 0
		.amdhsa_system_vgpr_workitem_id 0
		.amdhsa_next_free_vgpr 1
		.amdhsa_next_free_sgpr 1
		.amdhsa_reserve_vcc 0
		.amdhsa_reserve_flat_scratch 0
		.amdhsa_float_round_mode_32 0
		.amdhsa_float_round_mode_16_64 0
		.amdhsa_float_denorm_mode_32 3
		.amdhsa_float_denorm_mode_16_64 3
		.amdhsa_dx10_clamp 1
		.amdhsa_ieee_mode 1
		.amdhsa_fp16_overflow 0
		.amdhsa_workgroup_processor_mode 1
		.amdhsa_memory_ordered 1
		.amdhsa_forward_progress 1
		.amdhsa_shared_vgpr_count 0
		.amdhsa_exception_fp_ieee_invalid_op 0
		.amdhsa_exception_fp_denorm_src 0
		.amdhsa_exception_fp_ieee_div_zero 0
		.amdhsa_exception_fp_ieee_overflow 0
		.amdhsa_exception_fp_ieee_underflow 0
		.amdhsa_exception_fp_ieee_inexact 0
		.amdhsa_exception_int_div_zero 0
	.end_amdhsa_kernel
	.section	.text._ZN7rocprim17ROCPRIM_400000_NS6detail17trampoline_kernelINS0_13select_configILj256ELj13ELNS0_17block_load_methodE3ELS4_3ELS4_3ELNS0_20block_scan_algorithmE0ELj4294967295EEENS1_25partition_config_selectorILNS1_17partition_subalgoE4EjNS0_10empty_typeEbEEZZNS1_14partition_implILS8_4ELb0ES6_15HIP_vector_typeIjLj2EENS0_17counting_iteratorIjlEEPS9_SG_NS0_5tupleIJPjSI_NS0_16reverse_iteratorISI_EEEEENSH_IJSG_SG_SG_EEES9_SI_JZNS1_25segmented_radix_sort_implINS0_14default_configELb1EPKlPlSQ_SR_N2at6native12_GLOBAL__N_18offset_tEEE10hipError_tPvRmT1_PNSt15iterator_traitsISZ_E10value_typeET2_T3_PNS10_IS15_E10value_typeET4_jRbjT5_S1B_jjP12ihipStream_tbEUljE_ZNSN_ISO_Lb1ESQ_SR_SQ_SR_SV_EESW_SX_SY_SZ_S13_S14_S15_S18_S19_jS1A_jS1B_S1B_jjS1D_bEUljE0_EEESW_SX_SY_S15_S19_S1B_T6_T7_T9_mT8_S1D_bDpT10_ENKUlT_T0_E_clISt17integral_constantIbLb1EES1Q_IbLb0EEEEDaS1M_S1N_EUlS1M_E_NS1_11comp_targetILNS1_3genE0ELNS1_11target_archE4294967295ELNS1_3gpuE0ELNS1_3repE0EEENS1_30default_config_static_selectorELNS0_4arch9wavefront6targetE0EEEvSZ_,"axG",@progbits,_ZN7rocprim17ROCPRIM_400000_NS6detail17trampoline_kernelINS0_13select_configILj256ELj13ELNS0_17block_load_methodE3ELS4_3ELS4_3ELNS0_20block_scan_algorithmE0ELj4294967295EEENS1_25partition_config_selectorILNS1_17partition_subalgoE4EjNS0_10empty_typeEbEEZZNS1_14partition_implILS8_4ELb0ES6_15HIP_vector_typeIjLj2EENS0_17counting_iteratorIjlEEPS9_SG_NS0_5tupleIJPjSI_NS0_16reverse_iteratorISI_EEEEENSH_IJSG_SG_SG_EEES9_SI_JZNS1_25segmented_radix_sort_implINS0_14default_configELb1EPKlPlSQ_SR_N2at6native12_GLOBAL__N_18offset_tEEE10hipError_tPvRmT1_PNSt15iterator_traitsISZ_E10value_typeET2_T3_PNS10_IS15_E10value_typeET4_jRbjT5_S1B_jjP12ihipStream_tbEUljE_ZNSN_ISO_Lb1ESQ_SR_SQ_SR_SV_EESW_SX_SY_SZ_S13_S14_S15_S18_S19_jS1A_jS1B_S1B_jjS1D_bEUljE0_EEESW_SX_SY_S15_S19_S1B_T6_T7_T9_mT8_S1D_bDpT10_ENKUlT_T0_E_clISt17integral_constantIbLb1EES1Q_IbLb0EEEEDaS1M_S1N_EUlS1M_E_NS1_11comp_targetILNS1_3genE0ELNS1_11target_archE4294967295ELNS1_3gpuE0ELNS1_3repE0EEENS1_30default_config_static_selectorELNS0_4arch9wavefront6targetE0EEEvSZ_,comdat
.Lfunc_end650:
	.size	_ZN7rocprim17ROCPRIM_400000_NS6detail17trampoline_kernelINS0_13select_configILj256ELj13ELNS0_17block_load_methodE3ELS4_3ELS4_3ELNS0_20block_scan_algorithmE0ELj4294967295EEENS1_25partition_config_selectorILNS1_17partition_subalgoE4EjNS0_10empty_typeEbEEZZNS1_14partition_implILS8_4ELb0ES6_15HIP_vector_typeIjLj2EENS0_17counting_iteratorIjlEEPS9_SG_NS0_5tupleIJPjSI_NS0_16reverse_iteratorISI_EEEEENSH_IJSG_SG_SG_EEES9_SI_JZNS1_25segmented_radix_sort_implINS0_14default_configELb1EPKlPlSQ_SR_N2at6native12_GLOBAL__N_18offset_tEEE10hipError_tPvRmT1_PNSt15iterator_traitsISZ_E10value_typeET2_T3_PNS10_IS15_E10value_typeET4_jRbjT5_S1B_jjP12ihipStream_tbEUljE_ZNSN_ISO_Lb1ESQ_SR_SQ_SR_SV_EESW_SX_SY_SZ_S13_S14_S15_S18_S19_jS1A_jS1B_S1B_jjS1D_bEUljE0_EEESW_SX_SY_S15_S19_S1B_T6_T7_T9_mT8_S1D_bDpT10_ENKUlT_T0_E_clISt17integral_constantIbLb1EES1Q_IbLb0EEEEDaS1M_S1N_EUlS1M_E_NS1_11comp_targetILNS1_3genE0ELNS1_11target_archE4294967295ELNS1_3gpuE0ELNS1_3repE0EEENS1_30default_config_static_selectorELNS0_4arch9wavefront6targetE0EEEvSZ_, .Lfunc_end650-_ZN7rocprim17ROCPRIM_400000_NS6detail17trampoline_kernelINS0_13select_configILj256ELj13ELNS0_17block_load_methodE3ELS4_3ELS4_3ELNS0_20block_scan_algorithmE0ELj4294967295EEENS1_25partition_config_selectorILNS1_17partition_subalgoE4EjNS0_10empty_typeEbEEZZNS1_14partition_implILS8_4ELb0ES6_15HIP_vector_typeIjLj2EENS0_17counting_iteratorIjlEEPS9_SG_NS0_5tupleIJPjSI_NS0_16reverse_iteratorISI_EEEEENSH_IJSG_SG_SG_EEES9_SI_JZNS1_25segmented_radix_sort_implINS0_14default_configELb1EPKlPlSQ_SR_N2at6native12_GLOBAL__N_18offset_tEEE10hipError_tPvRmT1_PNSt15iterator_traitsISZ_E10value_typeET2_T3_PNS10_IS15_E10value_typeET4_jRbjT5_S1B_jjP12ihipStream_tbEUljE_ZNSN_ISO_Lb1ESQ_SR_SQ_SR_SV_EESW_SX_SY_SZ_S13_S14_S15_S18_S19_jS1A_jS1B_S1B_jjS1D_bEUljE0_EEESW_SX_SY_S15_S19_S1B_T6_T7_T9_mT8_S1D_bDpT10_ENKUlT_T0_E_clISt17integral_constantIbLb1EES1Q_IbLb0EEEEDaS1M_S1N_EUlS1M_E_NS1_11comp_targetILNS1_3genE0ELNS1_11target_archE4294967295ELNS1_3gpuE0ELNS1_3repE0EEENS1_30default_config_static_selectorELNS0_4arch9wavefront6targetE0EEEvSZ_
                                        ; -- End function
	.set _ZN7rocprim17ROCPRIM_400000_NS6detail17trampoline_kernelINS0_13select_configILj256ELj13ELNS0_17block_load_methodE3ELS4_3ELS4_3ELNS0_20block_scan_algorithmE0ELj4294967295EEENS1_25partition_config_selectorILNS1_17partition_subalgoE4EjNS0_10empty_typeEbEEZZNS1_14partition_implILS8_4ELb0ES6_15HIP_vector_typeIjLj2EENS0_17counting_iteratorIjlEEPS9_SG_NS0_5tupleIJPjSI_NS0_16reverse_iteratorISI_EEEEENSH_IJSG_SG_SG_EEES9_SI_JZNS1_25segmented_radix_sort_implINS0_14default_configELb1EPKlPlSQ_SR_N2at6native12_GLOBAL__N_18offset_tEEE10hipError_tPvRmT1_PNSt15iterator_traitsISZ_E10value_typeET2_T3_PNS10_IS15_E10value_typeET4_jRbjT5_S1B_jjP12ihipStream_tbEUljE_ZNSN_ISO_Lb1ESQ_SR_SQ_SR_SV_EESW_SX_SY_SZ_S13_S14_S15_S18_S19_jS1A_jS1B_S1B_jjS1D_bEUljE0_EEESW_SX_SY_S15_S19_S1B_T6_T7_T9_mT8_S1D_bDpT10_ENKUlT_T0_E_clISt17integral_constantIbLb1EES1Q_IbLb0EEEEDaS1M_S1N_EUlS1M_E_NS1_11comp_targetILNS1_3genE0ELNS1_11target_archE4294967295ELNS1_3gpuE0ELNS1_3repE0EEENS1_30default_config_static_selectorELNS0_4arch9wavefront6targetE0EEEvSZ_.num_vgpr, 0
	.set _ZN7rocprim17ROCPRIM_400000_NS6detail17trampoline_kernelINS0_13select_configILj256ELj13ELNS0_17block_load_methodE3ELS4_3ELS4_3ELNS0_20block_scan_algorithmE0ELj4294967295EEENS1_25partition_config_selectorILNS1_17partition_subalgoE4EjNS0_10empty_typeEbEEZZNS1_14partition_implILS8_4ELb0ES6_15HIP_vector_typeIjLj2EENS0_17counting_iteratorIjlEEPS9_SG_NS0_5tupleIJPjSI_NS0_16reverse_iteratorISI_EEEEENSH_IJSG_SG_SG_EEES9_SI_JZNS1_25segmented_radix_sort_implINS0_14default_configELb1EPKlPlSQ_SR_N2at6native12_GLOBAL__N_18offset_tEEE10hipError_tPvRmT1_PNSt15iterator_traitsISZ_E10value_typeET2_T3_PNS10_IS15_E10value_typeET4_jRbjT5_S1B_jjP12ihipStream_tbEUljE_ZNSN_ISO_Lb1ESQ_SR_SQ_SR_SV_EESW_SX_SY_SZ_S13_S14_S15_S18_S19_jS1A_jS1B_S1B_jjS1D_bEUljE0_EEESW_SX_SY_S15_S19_S1B_T6_T7_T9_mT8_S1D_bDpT10_ENKUlT_T0_E_clISt17integral_constantIbLb1EES1Q_IbLb0EEEEDaS1M_S1N_EUlS1M_E_NS1_11comp_targetILNS1_3genE0ELNS1_11target_archE4294967295ELNS1_3gpuE0ELNS1_3repE0EEENS1_30default_config_static_selectorELNS0_4arch9wavefront6targetE0EEEvSZ_.num_agpr, 0
	.set _ZN7rocprim17ROCPRIM_400000_NS6detail17trampoline_kernelINS0_13select_configILj256ELj13ELNS0_17block_load_methodE3ELS4_3ELS4_3ELNS0_20block_scan_algorithmE0ELj4294967295EEENS1_25partition_config_selectorILNS1_17partition_subalgoE4EjNS0_10empty_typeEbEEZZNS1_14partition_implILS8_4ELb0ES6_15HIP_vector_typeIjLj2EENS0_17counting_iteratorIjlEEPS9_SG_NS0_5tupleIJPjSI_NS0_16reverse_iteratorISI_EEEEENSH_IJSG_SG_SG_EEES9_SI_JZNS1_25segmented_radix_sort_implINS0_14default_configELb1EPKlPlSQ_SR_N2at6native12_GLOBAL__N_18offset_tEEE10hipError_tPvRmT1_PNSt15iterator_traitsISZ_E10value_typeET2_T3_PNS10_IS15_E10value_typeET4_jRbjT5_S1B_jjP12ihipStream_tbEUljE_ZNSN_ISO_Lb1ESQ_SR_SQ_SR_SV_EESW_SX_SY_SZ_S13_S14_S15_S18_S19_jS1A_jS1B_S1B_jjS1D_bEUljE0_EEESW_SX_SY_S15_S19_S1B_T6_T7_T9_mT8_S1D_bDpT10_ENKUlT_T0_E_clISt17integral_constantIbLb1EES1Q_IbLb0EEEEDaS1M_S1N_EUlS1M_E_NS1_11comp_targetILNS1_3genE0ELNS1_11target_archE4294967295ELNS1_3gpuE0ELNS1_3repE0EEENS1_30default_config_static_selectorELNS0_4arch9wavefront6targetE0EEEvSZ_.numbered_sgpr, 0
	.set _ZN7rocprim17ROCPRIM_400000_NS6detail17trampoline_kernelINS0_13select_configILj256ELj13ELNS0_17block_load_methodE3ELS4_3ELS4_3ELNS0_20block_scan_algorithmE0ELj4294967295EEENS1_25partition_config_selectorILNS1_17partition_subalgoE4EjNS0_10empty_typeEbEEZZNS1_14partition_implILS8_4ELb0ES6_15HIP_vector_typeIjLj2EENS0_17counting_iteratorIjlEEPS9_SG_NS0_5tupleIJPjSI_NS0_16reverse_iteratorISI_EEEEENSH_IJSG_SG_SG_EEES9_SI_JZNS1_25segmented_radix_sort_implINS0_14default_configELb1EPKlPlSQ_SR_N2at6native12_GLOBAL__N_18offset_tEEE10hipError_tPvRmT1_PNSt15iterator_traitsISZ_E10value_typeET2_T3_PNS10_IS15_E10value_typeET4_jRbjT5_S1B_jjP12ihipStream_tbEUljE_ZNSN_ISO_Lb1ESQ_SR_SQ_SR_SV_EESW_SX_SY_SZ_S13_S14_S15_S18_S19_jS1A_jS1B_S1B_jjS1D_bEUljE0_EEESW_SX_SY_S15_S19_S1B_T6_T7_T9_mT8_S1D_bDpT10_ENKUlT_T0_E_clISt17integral_constantIbLb1EES1Q_IbLb0EEEEDaS1M_S1N_EUlS1M_E_NS1_11comp_targetILNS1_3genE0ELNS1_11target_archE4294967295ELNS1_3gpuE0ELNS1_3repE0EEENS1_30default_config_static_selectorELNS0_4arch9wavefront6targetE0EEEvSZ_.num_named_barrier, 0
	.set _ZN7rocprim17ROCPRIM_400000_NS6detail17trampoline_kernelINS0_13select_configILj256ELj13ELNS0_17block_load_methodE3ELS4_3ELS4_3ELNS0_20block_scan_algorithmE0ELj4294967295EEENS1_25partition_config_selectorILNS1_17partition_subalgoE4EjNS0_10empty_typeEbEEZZNS1_14partition_implILS8_4ELb0ES6_15HIP_vector_typeIjLj2EENS0_17counting_iteratorIjlEEPS9_SG_NS0_5tupleIJPjSI_NS0_16reverse_iteratorISI_EEEEENSH_IJSG_SG_SG_EEES9_SI_JZNS1_25segmented_radix_sort_implINS0_14default_configELb1EPKlPlSQ_SR_N2at6native12_GLOBAL__N_18offset_tEEE10hipError_tPvRmT1_PNSt15iterator_traitsISZ_E10value_typeET2_T3_PNS10_IS15_E10value_typeET4_jRbjT5_S1B_jjP12ihipStream_tbEUljE_ZNSN_ISO_Lb1ESQ_SR_SQ_SR_SV_EESW_SX_SY_SZ_S13_S14_S15_S18_S19_jS1A_jS1B_S1B_jjS1D_bEUljE0_EEESW_SX_SY_S15_S19_S1B_T6_T7_T9_mT8_S1D_bDpT10_ENKUlT_T0_E_clISt17integral_constantIbLb1EES1Q_IbLb0EEEEDaS1M_S1N_EUlS1M_E_NS1_11comp_targetILNS1_3genE0ELNS1_11target_archE4294967295ELNS1_3gpuE0ELNS1_3repE0EEENS1_30default_config_static_selectorELNS0_4arch9wavefront6targetE0EEEvSZ_.private_seg_size, 0
	.set _ZN7rocprim17ROCPRIM_400000_NS6detail17trampoline_kernelINS0_13select_configILj256ELj13ELNS0_17block_load_methodE3ELS4_3ELS4_3ELNS0_20block_scan_algorithmE0ELj4294967295EEENS1_25partition_config_selectorILNS1_17partition_subalgoE4EjNS0_10empty_typeEbEEZZNS1_14partition_implILS8_4ELb0ES6_15HIP_vector_typeIjLj2EENS0_17counting_iteratorIjlEEPS9_SG_NS0_5tupleIJPjSI_NS0_16reverse_iteratorISI_EEEEENSH_IJSG_SG_SG_EEES9_SI_JZNS1_25segmented_radix_sort_implINS0_14default_configELb1EPKlPlSQ_SR_N2at6native12_GLOBAL__N_18offset_tEEE10hipError_tPvRmT1_PNSt15iterator_traitsISZ_E10value_typeET2_T3_PNS10_IS15_E10value_typeET4_jRbjT5_S1B_jjP12ihipStream_tbEUljE_ZNSN_ISO_Lb1ESQ_SR_SQ_SR_SV_EESW_SX_SY_SZ_S13_S14_S15_S18_S19_jS1A_jS1B_S1B_jjS1D_bEUljE0_EEESW_SX_SY_S15_S19_S1B_T6_T7_T9_mT8_S1D_bDpT10_ENKUlT_T0_E_clISt17integral_constantIbLb1EES1Q_IbLb0EEEEDaS1M_S1N_EUlS1M_E_NS1_11comp_targetILNS1_3genE0ELNS1_11target_archE4294967295ELNS1_3gpuE0ELNS1_3repE0EEENS1_30default_config_static_selectorELNS0_4arch9wavefront6targetE0EEEvSZ_.uses_vcc, 0
	.set _ZN7rocprim17ROCPRIM_400000_NS6detail17trampoline_kernelINS0_13select_configILj256ELj13ELNS0_17block_load_methodE3ELS4_3ELS4_3ELNS0_20block_scan_algorithmE0ELj4294967295EEENS1_25partition_config_selectorILNS1_17partition_subalgoE4EjNS0_10empty_typeEbEEZZNS1_14partition_implILS8_4ELb0ES6_15HIP_vector_typeIjLj2EENS0_17counting_iteratorIjlEEPS9_SG_NS0_5tupleIJPjSI_NS0_16reverse_iteratorISI_EEEEENSH_IJSG_SG_SG_EEES9_SI_JZNS1_25segmented_radix_sort_implINS0_14default_configELb1EPKlPlSQ_SR_N2at6native12_GLOBAL__N_18offset_tEEE10hipError_tPvRmT1_PNSt15iterator_traitsISZ_E10value_typeET2_T3_PNS10_IS15_E10value_typeET4_jRbjT5_S1B_jjP12ihipStream_tbEUljE_ZNSN_ISO_Lb1ESQ_SR_SQ_SR_SV_EESW_SX_SY_SZ_S13_S14_S15_S18_S19_jS1A_jS1B_S1B_jjS1D_bEUljE0_EEESW_SX_SY_S15_S19_S1B_T6_T7_T9_mT8_S1D_bDpT10_ENKUlT_T0_E_clISt17integral_constantIbLb1EES1Q_IbLb0EEEEDaS1M_S1N_EUlS1M_E_NS1_11comp_targetILNS1_3genE0ELNS1_11target_archE4294967295ELNS1_3gpuE0ELNS1_3repE0EEENS1_30default_config_static_selectorELNS0_4arch9wavefront6targetE0EEEvSZ_.uses_flat_scratch, 0
	.set _ZN7rocprim17ROCPRIM_400000_NS6detail17trampoline_kernelINS0_13select_configILj256ELj13ELNS0_17block_load_methodE3ELS4_3ELS4_3ELNS0_20block_scan_algorithmE0ELj4294967295EEENS1_25partition_config_selectorILNS1_17partition_subalgoE4EjNS0_10empty_typeEbEEZZNS1_14partition_implILS8_4ELb0ES6_15HIP_vector_typeIjLj2EENS0_17counting_iteratorIjlEEPS9_SG_NS0_5tupleIJPjSI_NS0_16reverse_iteratorISI_EEEEENSH_IJSG_SG_SG_EEES9_SI_JZNS1_25segmented_radix_sort_implINS0_14default_configELb1EPKlPlSQ_SR_N2at6native12_GLOBAL__N_18offset_tEEE10hipError_tPvRmT1_PNSt15iterator_traitsISZ_E10value_typeET2_T3_PNS10_IS15_E10value_typeET4_jRbjT5_S1B_jjP12ihipStream_tbEUljE_ZNSN_ISO_Lb1ESQ_SR_SQ_SR_SV_EESW_SX_SY_SZ_S13_S14_S15_S18_S19_jS1A_jS1B_S1B_jjS1D_bEUljE0_EEESW_SX_SY_S15_S19_S1B_T6_T7_T9_mT8_S1D_bDpT10_ENKUlT_T0_E_clISt17integral_constantIbLb1EES1Q_IbLb0EEEEDaS1M_S1N_EUlS1M_E_NS1_11comp_targetILNS1_3genE0ELNS1_11target_archE4294967295ELNS1_3gpuE0ELNS1_3repE0EEENS1_30default_config_static_selectorELNS0_4arch9wavefront6targetE0EEEvSZ_.has_dyn_sized_stack, 0
	.set _ZN7rocprim17ROCPRIM_400000_NS6detail17trampoline_kernelINS0_13select_configILj256ELj13ELNS0_17block_load_methodE3ELS4_3ELS4_3ELNS0_20block_scan_algorithmE0ELj4294967295EEENS1_25partition_config_selectorILNS1_17partition_subalgoE4EjNS0_10empty_typeEbEEZZNS1_14partition_implILS8_4ELb0ES6_15HIP_vector_typeIjLj2EENS0_17counting_iteratorIjlEEPS9_SG_NS0_5tupleIJPjSI_NS0_16reverse_iteratorISI_EEEEENSH_IJSG_SG_SG_EEES9_SI_JZNS1_25segmented_radix_sort_implINS0_14default_configELb1EPKlPlSQ_SR_N2at6native12_GLOBAL__N_18offset_tEEE10hipError_tPvRmT1_PNSt15iterator_traitsISZ_E10value_typeET2_T3_PNS10_IS15_E10value_typeET4_jRbjT5_S1B_jjP12ihipStream_tbEUljE_ZNSN_ISO_Lb1ESQ_SR_SQ_SR_SV_EESW_SX_SY_SZ_S13_S14_S15_S18_S19_jS1A_jS1B_S1B_jjS1D_bEUljE0_EEESW_SX_SY_S15_S19_S1B_T6_T7_T9_mT8_S1D_bDpT10_ENKUlT_T0_E_clISt17integral_constantIbLb1EES1Q_IbLb0EEEEDaS1M_S1N_EUlS1M_E_NS1_11comp_targetILNS1_3genE0ELNS1_11target_archE4294967295ELNS1_3gpuE0ELNS1_3repE0EEENS1_30default_config_static_selectorELNS0_4arch9wavefront6targetE0EEEvSZ_.has_recursion, 0
	.set _ZN7rocprim17ROCPRIM_400000_NS6detail17trampoline_kernelINS0_13select_configILj256ELj13ELNS0_17block_load_methodE3ELS4_3ELS4_3ELNS0_20block_scan_algorithmE0ELj4294967295EEENS1_25partition_config_selectorILNS1_17partition_subalgoE4EjNS0_10empty_typeEbEEZZNS1_14partition_implILS8_4ELb0ES6_15HIP_vector_typeIjLj2EENS0_17counting_iteratorIjlEEPS9_SG_NS0_5tupleIJPjSI_NS0_16reverse_iteratorISI_EEEEENSH_IJSG_SG_SG_EEES9_SI_JZNS1_25segmented_radix_sort_implINS0_14default_configELb1EPKlPlSQ_SR_N2at6native12_GLOBAL__N_18offset_tEEE10hipError_tPvRmT1_PNSt15iterator_traitsISZ_E10value_typeET2_T3_PNS10_IS15_E10value_typeET4_jRbjT5_S1B_jjP12ihipStream_tbEUljE_ZNSN_ISO_Lb1ESQ_SR_SQ_SR_SV_EESW_SX_SY_SZ_S13_S14_S15_S18_S19_jS1A_jS1B_S1B_jjS1D_bEUljE0_EEESW_SX_SY_S15_S19_S1B_T6_T7_T9_mT8_S1D_bDpT10_ENKUlT_T0_E_clISt17integral_constantIbLb1EES1Q_IbLb0EEEEDaS1M_S1N_EUlS1M_E_NS1_11comp_targetILNS1_3genE0ELNS1_11target_archE4294967295ELNS1_3gpuE0ELNS1_3repE0EEENS1_30default_config_static_selectorELNS0_4arch9wavefront6targetE0EEEvSZ_.has_indirect_call, 0
	.section	.AMDGPU.csdata,"",@progbits
; Kernel info:
; codeLenInByte = 0
; TotalNumSgprs: 0
; NumVgprs: 0
; ScratchSize: 0
; MemoryBound: 0
; FloatMode: 240
; IeeeMode: 1
; LDSByteSize: 0 bytes/workgroup (compile time only)
; SGPRBlocks: 0
; VGPRBlocks: 0
; NumSGPRsForWavesPerEU: 1
; NumVGPRsForWavesPerEU: 1
; Occupancy: 16
; WaveLimiterHint : 0
; COMPUTE_PGM_RSRC2:SCRATCH_EN: 0
; COMPUTE_PGM_RSRC2:USER_SGPR: 6
; COMPUTE_PGM_RSRC2:TRAP_HANDLER: 0
; COMPUTE_PGM_RSRC2:TGID_X_EN: 1
; COMPUTE_PGM_RSRC2:TGID_Y_EN: 0
; COMPUTE_PGM_RSRC2:TGID_Z_EN: 0
; COMPUTE_PGM_RSRC2:TIDIG_COMP_CNT: 0
	.section	.text._ZN7rocprim17ROCPRIM_400000_NS6detail17trampoline_kernelINS0_13select_configILj256ELj13ELNS0_17block_load_methodE3ELS4_3ELS4_3ELNS0_20block_scan_algorithmE0ELj4294967295EEENS1_25partition_config_selectorILNS1_17partition_subalgoE4EjNS0_10empty_typeEbEEZZNS1_14partition_implILS8_4ELb0ES6_15HIP_vector_typeIjLj2EENS0_17counting_iteratorIjlEEPS9_SG_NS0_5tupleIJPjSI_NS0_16reverse_iteratorISI_EEEEENSH_IJSG_SG_SG_EEES9_SI_JZNS1_25segmented_radix_sort_implINS0_14default_configELb1EPKlPlSQ_SR_N2at6native12_GLOBAL__N_18offset_tEEE10hipError_tPvRmT1_PNSt15iterator_traitsISZ_E10value_typeET2_T3_PNS10_IS15_E10value_typeET4_jRbjT5_S1B_jjP12ihipStream_tbEUljE_ZNSN_ISO_Lb1ESQ_SR_SQ_SR_SV_EESW_SX_SY_SZ_S13_S14_S15_S18_S19_jS1A_jS1B_S1B_jjS1D_bEUljE0_EEESW_SX_SY_S15_S19_S1B_T6_T7_T9_mT8_S1D_bDpT10_ENKUlT_T0_E_clISt17integral_constantIbLb1EES1Q_IbLb0EEEEDaS1M_S1N_EUlS1M_E_NS1_11comp_targetILNS1_3genE5ELNS1_11target_archE942ELNS1_3gpuE9ELNS1_3repE0EEENS1_30default_config_static_selectorELNS0_4arch9wavefront6targetE0EEEvSZ_,"axG",@progbits,_ZN7rocprim17ROCPRIM_400000_NS6detail17trampoline_kernelINS0_13select_configILj256ELj13ELNS0_17block_load_methodE3ELS4_3ELS4_3ELNS0_20block_scan_algorithmE0ELj4294967295EEENS1_25partition_config_selectorILNS1_17partition_subalgoE4EjNS0_10empty_typeEbEEZZNS1_14partition_implILS8_4ELb0ES6_15HIP_vector_typeIjLj2EENS0_17counting_iteratorIjlEEPS9_SG_NS0_5tupleIJPjSI_NS0_16reverse_iteratorISI_EEEEENSH_IJSG_SG_SG_EEES9_SI_JZNS1_25segmented_radix_sort_implINS0_14default_configELb1EPKlPlSQ_SR_N2at6native12_GLOBAL__N_18offset_tEEE10hipError_tPvRmT1_PNSt15iterator_traitsISZ_E10value_typeET2_T3_PNS10_IS15_E10value_typeET4_jRbjT5_S1B_jjP12ihipStream_tbEUljE_ZNSN_ISO_Lb1ESQ_SR_SQ_SR_SV_EESW_SX_SY_SZ_S13_S14_S15_S18_S19_jS1A_jS1B_S1B_jjS1D_bEUljE0_EEESW_SX_SY_S15_S19_S1B_T6_T7_T9_mT8_S1D_bDpT10_ENKUlT_T0_E_clISt17integral_constantIbLb1EES1Q_IbLb0EEEEDaS1M_S1N_EUlS1M_E_NS1_11comp_targetILNS1_3genE5ELNS1_11target_archE942ELNS1_3gpuE9ELNS1_3repE0EEENS1_30default_config_static_selectorELNS0_4arch9wavefront6targetE0EEEvSZ_,comdat
	.globl	_ZN7rocprim17ROCPRIM_400000_NS6detail17trampoline_kernelINS0_13select_configILj256ELj13ELNS0_17block_load_methodE3ELS4_3ELS4_3ELNS0_20block_scan_algorithmE0ELj4294967295EEENS1_25partition_config_selectorILNS1_17partition_subalgoE4EjNS0_10empty_typeEbEEZZNS1_14partition_implILS8_4ELb0ES6_15HIP_vector_typeIjLj2EENS0_17counting_iteratorIjlEEPS9_SG_NS0_5tupleIJPjSI_NS0_16reverse_iteratorISI_EEEEENSH_IJSG_SG_SG_EEES9_SI_JZNS1_25segmented_radix_sort_implINS0_14default_configELb1EPKlPlSQ_SR_N2at6native12_GLOBAL__N_18offset_tEEE10hipError_tPvRmT1_PNSt15iterator_traitsISZ_E10value_typeET2_T3_PNS10_IS15_E10value_typeET4_jRbjT5_S1B_jjP12ihipStream_tbEUljE_ZNSN_ISO_Lb1ESQ_SR_SQ_SR_SV_EESW_SX_SY_SZ_S13_S14_S15_S18_S19_jS1A_jS1B_S1B_jjS1D_bEUljE0_EEESW_SX_SY_S15_S19_S1B_T6_T7_T9_mT8_S1D_bDpT10_ENKUlT_T0_E_clISt17integral_constantIbLb1EES1Q_IbLb0EEEEDaS1M_S1N_EUlS1M_E_NS1_11comp_targetILNS1_3genE5ELNS1_11target_archE942ELNS1_3gpuE9ELNS1_3repE0EEENS1_30default_config_static_selectorELNS0_4arch9wavefront6targetE0EEEvSZ_ ; -- Begin function _ZN7rocprim17ROCPRIM_400000_NS6detail17trampoline_kernelINS0_13select_configILj256ELj13ELNS0_17block_load_methodE3ELS4_3ELS4_3ELNS0_20block_scan_algorithmE0ELj4294967295EEENS1_25partition_config_selectorILNS1_17partition_subalgoE4EjNS0_10empty_typeEbEEZZNS1_14partition_implILS8_4ELb0ES6_15HIP_vector_typeIjLj2EENS0_17counting_iteratorIjlEEPS9_SG_NS0_5tupleIJPjSI_NS0_16reverse_iteratorISI_EEEEENSH_IJSG_SG_SG_EEES9_SI_JZNS1_25segmented_radix_sort_implINS0_14default_configELb1EPKlPlSQ_SR_N2at6native12_GLOBAL__N_18offset_tEEE10hipError_tPvRmT1_PNSt15iterator_traitsISZ_E10value_typeET2_T3_PNS10_IS15_E10value_typeET4_jRbjT5_S1B_jjP12ihipStream_tbEUljE_ZNSN_ISO_Lb1ESQ_SR_SQ_SR_SV_EESW_SX_SY_SZ_S13_S14_S15_S18_S19_jS1A_jS1B_S1B_jjS1D_bEUljE0_EEESW_SX_SY_S15_S19_S1B_T6_T7_T9_mT8_S1D_bDpT10_ENKUlT_T0_E_clISt17integral_constantIbLb1EES1Q_IbLb0EEEEDaS1M_S1N_EUlS1M_E_NS1_11comp_targetILNS1_3genE5ELNS1_11target_archE942ELNS1_3gpuE9ELNS1_3repE0EEENS1_30default_config_static_selectorELNS0_4arch9wavefront6targetE0EEEvSZ_
	.p2align	8
	.type	_ZN7rocprim17ROCPRIM_400000_NS6detail17trampoline_kernelINS0_13select_configILj256ELj13ELNS0_17block_load_methodE3ELS4_3ELS4_3ELNS0_20block_scan_algorithmE0ELj4294967295EEENS1_25partition_config_selectorILNS1_17partition_subalgoE4EjNS0_10empty_typeEbEEZZNS1_14partition_implILS8_4ELb0ES6_15HIP_vector_typeIjLj2EENS0_17counting_iteratorIjlEEPS9_SG_NS0_5tupleIJPjSI_NS0_16reverse_iteratorISI_EEEEENSH_IJSG_SG_SG_EEES9_SI_JZNS1_25segmented_radix_sort_implINS0_14default_configELb1EPKlPlSQ_SR_N2at6native12_GLOBAL__N_18offset_tEEE10hipError_tPvRmT1_PNSt15iterator_traitsISZ_E10value_typeET2_T3_PNS10_IS15_E10value_typeET4_jRbjT5_S1B_jjP12ihipStream_tbEUljE_ZNSN_ISO_Lb1ESQ_SR_SQ_SR_SV_EESW_SX_SY_SZ_S13_S14_S15_S18_S19_jS1A_jS1B_S1B_jjS1D_bEUljE0_EEESW_SX_SY_S15_S19_S1B_T6_T7_T9_mT8_S1D_bDpT10_ENKUlT_T0_E_clISt17integral_constantIbLb1EES1Q_IbLb0EEEEDaS1M_S1N_EUlS1M_E_NS1_11comp_targetILNS1_3genE5ELNS1_11target_archE942ELNS1_3gpuE9ELNS1_3repE0EEENS1_30default_config_static_selectorELNS0_4arch9wavefront6targetE0EEEvSZ_,@function
_ZN7rocprim17ROCPRIM_400000_NS6detail17trampoline_kernelINS0_13select_configILj256ELj13ELNS0_17block_load_methodE3ELS4_3ELS4_3ELNS0_20block_scan_algorithmE0ELj4294967295EEENS1_25partition_config_selectorILNS1_17partition_subalgoE4EjNS0_10empty_typeEbEEZZNS1_14partition_implILS8_4ELb0ES6_15HIP_vector_typeIjLj2EENS0_17counting_iteratorIjlEEPS9_SG_NS0_5tupleIJPjSI_NS0_16reverse_iteratorISI_EEEEENSH_IJSG_SG_SG_EEES9_SI_JZNS1_25segmented_radix_sort_implINS0_14default_configELb1EPKlPlSQ_SR_N2at6native12_GLOBAL__N_18offset_tEEE10hipError_tPvRmT1_PNSt15iterator_traitsISZ_E10value_typeET2_T3_PNS10_IS15_E10value_typeET4_jRbjT5_S1B_jjP12ihipStream_tbEUljE_ZNSN_ISO_Lb1ESQ_SR_SQ_SR_SV_EESW_SX_SY_SZ_S13_S14_S15_S18_S19_jS1A_jS1B_S1B_jjS1D_bEUljE0_EEESW_SX_SY_S15_S19_S1B_T6_T7_T9_mT8_S1D_bDpT10_ENKUlT_T0_E_clISt17integral_constantIbLb1EES1Q_IbLb0EEEEDaS1M_S1N_EUlS1M_E_NS1_11comp_targetILNS1_3genE5ELNS1_11target_archE942ELNS1_3gpuE9ELNS1_3repE0EEENS1_30default_config_static_selectorELNS0_4arch9wavefront6targetE0EEEvSZ_: ; @_ZN7rocprim17ROCPRIM_400000_NS6detail17trampoline_kernelINS0_13select_configILj256ELj13ELNS0_17block_load_methodE3ELS4_3ELS4_3ELNS0_20block_scan_algorithmE0ELj4294967295EEENS1_25partition_config_selectorILNS1_17partition_subalgoE4EjNS0_10empty_typeEbEEZZNS1_14partition_implILS8_4ELb0ES6_15HIP_vector_typeIjLj2EENS0_17counting_iteratorIjlEEPS9_SG_NS0_5tupleIJPjSI_NS0_16reverse_iteratorISI_EEEEENSH_IJSG_SG_SG_EEES9_SI_JZNS1_25segmented_radix_sort_implINS0_14default_configELb1EPKlPlSQ_SR_N2at6native12_GLOBAL__N_18offset_tEEE10hipError_tPvRmT1_PNSt15iterator_traitsISZ_E10value_typeET2_T3_PNS10_IS15_E10value_typeET4_jRbjT5_S1B_jjP12ihipStream_tbEUljE_ZNSN_ISO_Lb1ESQ_SR_SQ_SR_SV_EESW_SX_SY_SZ_S13_S14_S15_S18_S19_jS1A_jS1B_S1B_jjS1D_bEUljE0_EEESW_SX_SY_S15_S19_S1B_T6_T7_T9_mT8_S1D_bDpT10_ENKUlT_T0_E_clISt17integral_constantIbLb1EES1Q_IbLb0EEEEDaS1M_S1N_EUlS1M_E_NS1_11comp_targetILNS1_3genE5ELNS1_11target_archE942ELNS1_3gpuE9ELNS1_3repE0EEENS1_30default_config_static_selectorELNS0_4arch9wavefront6targetE0EEEvSZ_
; %bb.0:
	.section	.rodata,"a",@progbits
	.p2align	6, 0x0
	.amdhsa_kernel _ZN7rocprim17ROCPRIM_400000_NS6detail17trampoline_kernelINS0_13select_configILj256ELj13ELNS0_17block_load_methodE3ELS4_3ELS4_3ELNS0_20block_scan_algorithmE0ELj4294967295EEENS1_25partition_config_selectorILNS1_17partition_subalgoE4EjNS0_10empty_typeEbEEZZNS1_14partition_implILS8_4ELb0ES6_15HIP_vector_typeIjLj2EENS0_17counting_iteratorIjlEEPS9_SG_NS0_5tupleIJPjSI_NS0_16reverse_iteratorISI_EEEEENSH_IJSG_SG_SG_EEES9_SI_JZNS1_25segmented_radix_sort_implINS0_14default_configELb1EPKlPlSQ_SR_N2at6native12_GLOBAL__N_18offset_tEEE10hipError_tPvRmT1_PNSt15iterator_traitsISZ_E10value_typeET2_T3_PNS10_IS15_E10value_typeET4_jRbjT5_S1B_jjP12ihipStream_tbEUljE_ZNSN_ISO_Lb1ESQ_SR_SQ_SR_SV_EESW_SX_SY_SZ_S13_S14_S15_S18_S19_jS1A_jS1B_S1B_jjS1D_bEUljE0_EEESW_SX_SY_S15_S19_S1B_T6_T7_T9_mT8_S1D_bDpT10_ENKUlT_T0_E_clISt17integral_constantIbLb1EES1Q_IbLb0EEEEDaS1M_S1N_EUlS1M_E_NS1_11comp_targetILNS1_3genE5ELNS1_11target_archE942ELNS1_3gpuE9ELNS1_3repE0EEENS1_30default_config_static_selectorELNS0_4arch9wavefront6targetE0EEEvSZ_
		.amdhsa_group_segment_fixed_size 0
		.amdhsa_private_segment_fixed_size 0
		.amdhsa_kernarg_size 176
		.amdhsa_user_sgpr_count 6
		.amdhsa_user_sgpr_private_segment_buffer 1
		.amdhsa_user_sgpr_dispatch_ptr 0
		.amdhsa_user_sgpr_queue_ptr 0
		.amdhsa_user_sgpr_kernarg_segment_ptr 1
		.amdhsa_user_sgpr_dispatch_id 0
		.amdhsa_user_sgpr_flat_scratch_init 0
		.amdhsa_user_sgpr_private_segment_size 0
		.amdhsa_wavefront_size32 1
		.amdhsa_uses_dynamic_stack 0
		.amdhsa_system_sgpr_private_segment_wavefront_offset 0
		.amdhsa_system_sgpr_workgroup_id_x 1
		.amdhsa_system_sgpr_workgroup_id_y 0
		.amdhsa_system_sgpr_workgroup_id_z 0
		.amdhsa_system_sgpr_workgroup_info 0
		.amdhsa_system_vgpr_workitem_id 0
		.amdhsa_next_free_vgpr 1
		.amdhsa_next_free_sgpr 1
		.amdhsa_reserve_vcc 0
		.amdhsa_reserve_flat_scratch 0
		.amdhsa_float_round_mode_32 0
		.amdhsa_float_round_mode_16_64 0
		.amdhsa_float_denorm_mode_32 3
		.amdhsa_float_denorm_mode_16_64 3
		.amdhsa_dx10_clamp 1
		.amdhsa_ieee_mode 1
		.amdhsa_fp16_overflow 0
		.amdhsa_workgroup_processor_mode 1
		.amdhsa_memory_ordered 1
		.amdhsa_forward_progress 1
		.amdhsa_shared_vgpr_count 0
		.amdhsa_exception_fp_ieee_invalid_op 0
		.amdhsa_exception_fp_denorm_src 0
		.amdhsa_exception_fp_ieee_div_zero 0
		.amdhsa_exception_fp_ieee_overflow 0
		.amdhsa_exception_fp_ieee_underflow 0
		.amdhsa_exception_fp_ieee_inexact 0
		.amdhsa_exception_int_div_zero 0
	.end_amdhsa_kernel
	.section	.text._ZN7rocprim17ROCPRIM_400000_NS6detail17trampoline_kernelINS0_13select_configILj256ELj13ELNS0_17block_load_methodE3ELS4_3ELS4_3ELNS0_20block_scan_algorithmE0ELj4294967295EEENS1_25partition_config_selectorILNS1_17partition_subalgoE4EjNS0_10empty_typeEbEEZZNS1_14partition_implILS8_4ELb0ES6_15HIP_vector_typeIjLj2EENS0_17counting_iteratorIjlEEPS9_SG_NS0_5tupleIJPjSI_NS0_16reverse_iteratorISI_EEEEENSH_IJSG_SG_SG_EEES9_SI_JZNS1_25segmented_radix_sort_implINS0_14default_configELb1EPKlPlSQ_SR_N2at6native12_GLOBAL__N_18offset_tEEE10hipError_tPvRmT1_PNSt15iterator_traitsISZ_E10value_typeET2_T3_PNS10_IS15_E10value_typeET4_jRbjT5_S1B_jjP12ihipStream_tbEUljE_ZNSN_ISO_Lb1ESQ_SR_SQ_SR_SV_EESW_SX_SY_SZ_S13_S14_S15_S18_S19_jS1A_jS1B_S1B_jjS1D_bEUljE0_EEESW_SX_SY_S15_S19_S1B_T6_T7_T9_mT8_S1D_bDpT10_ENKUlT_T0_E_clISt17integral_constantIbLb1EES1Q_IbLb0EEEEDaS1M_S1N_EUlS1M_E_NS1_11comp_targetILNS1_3genE5ELNS1_11target_archE942ELNS1_3gpuE9ELNS1_3repE0EEENS1_30default_config_static_selectorELNS0_4arch9wavefront6targetE0EEEvSZ_,"axG",@progbits,_ZN7rocprim17ROCPRIM_400000_NS6detail17trampoline_kernelINS0_13select_configILj256ELj13ELNS0_17block_load_methodE3ELS4_3ELS4_3ELNS0_20block_scan_algorithmE0ELj4294967295EEENS1_25partition_config_selectorILNS1_17partition_subalgoE4EjNS0_10empty_typeEbEEZZNS1_14partition_implILS8_4ELb0ES6_15HIP_vector_typeIjLj2EENS0_17counting_iteratorIjlEEPS9_SG_NS0_5tupleIJPjSI_NS0_16reverse_iteratorISI_EEEEENSH_IJSG_SG_SG_EEES9_SI_JZNS1_25segmented_radix_sort_implINS0_14default_configELb1EPKlPlSQ_SR_N2at6native12_GLOBAL__N_18offset_tEEE10hipError_tPvRmT1_PNSt15iterator_traitsISZ_E10value_typeET2_T3_PNS10_IS15_E10value_typeET4_jRbjT5_S1B_jjP12ihipStream_tbEUljE_ZNSN_ISO_Lb1ESQ_SR_SQ_SR_SV_EESW_SX_SY_SZ_S13_S14_S15_S18_S19_jS1A_jS1B_S1B_jjS1D_bEUljE0_EEESW_SX_SY_S15_S19_S1B_T6_T7_T9_mT8_S1D_bDpT10_ENKUlT_T0_E_clISt17integral_constantIbLb1EES1Q_IbLb0EEEEDaS1M_S1N_EUlS1M_E_NS1_11comp_targetILNS1_3genE5ELNS1_11target_archE942ELNS1_3gpuE9ELNS1_3repE0EEENS1_30default_config_static_selectorELNS0_4arch9wavefront6targetE0EEEvSZ_,comdat
.Lfunc_end651:
	.size	_ZN7rocprim17ROCPRIM_400000_NS6detail17trampoline_kernelINS0_13select_configILj256ELj13ELNS0_17block_load_methodE3ELS4_3ELS4_3ELNS0_20block_scan_algorithmE0ELj4294967295EEENS1_25partition_config_selectorILNS1_17partition_subalgoE4EjNS0_10empty_typeEbEEZZNS1_14partition_implILS8_4ELb0ES6_15HIP_vector_typeIjLj2EENS0_17counting_iteratorIjlEEPS9_SG_NS0_5tupleIJPjSI_NS0_16reverse_iteratorISI_EEEEENSH_IJSG_SG_SG_EEES9_SI_JZNS1_25segmented_radix_sort_implINS0_14default_configELb1EPKlPlSQ_SR_N2at6native12_GLOBAL__N_18offset_tEEE10hipError_tPvRmT1_PNSt15iterator_traitsISZ_E10value_typeET2_T3_PNS10_IS15_E10value_typeET4_jRbjT5_S1B_jjP12ihipStream_tbEUljE_ZNSN_ISO_Lb1ESQ_SR_SQ_SR_SV_EESW_SX_SY_SZ_S13_S14_S15_S18_S19_jS1A_jS1B_S1B_jjS1D_bEUljE0_EEESW_SX_SY_S15_S19_S1B_T6_T7_T9_mT8_S1D_bDpT10_ENKUlT_T0_E_clISt17integral_constantIbLb1EES1Q_IbLb0EEEEDaS1M_S1N_EUlS1M_E_NS1_11comp_targetILNS1_3genE5ELNS1_11target_archE942ELNS1_3gpuE9ELNS1_3repE0EEENS1_30default_config_static_selectorELNS0_4arch9wavefront6targetE0EEEvSZ_, .Lfunc_end651-_ZN7rocprim17ROCPRIM_400000_NS6detail17trampoline_kernelINS0_13select_configILj256ELj13ELNS0_17block_load_methodE3ELS4_3ELS4_3ELNS0_20block_scan_algorithmE0ELj4294967295EEENS1_25partition_config_selectorILNS1_17partition_subalgoE4EjNS0_10empty_typeEbEEZZNS1_14partition_implILS8_4ELb0ES6_15HIP_vector_typeIjLj2EENS0_17counting_iteratorIjlEEPS9_SG_NS0_5tupleIJPjSI_NS0_16reverse_iteratorISI_EEEEENSH_IJSG_SG_SG_EEES9_SI_JZNS1_25segmented_radix_sort_implINS0_14default_configELb1EPKlPlSQ_SR_N2at6native12_GLOBAL__N_18offset_tEEE10hipError_tPvRmT1_PNSt15iterator_traitsISZ_E10value_typeET2_T3_PNS10_IS15_E10value_typeET4_jRbjT5_S1B_jjP12ihipStream_tbEUljE_ZNSN_ISO_Lb1ESQ_SR_SQ_SR_SV_EESW_SX_SY_SZ_S13_S14_S15_S18_S19_jS1A_jS1B_S1B_jjS1D_bEUljE0_EEESW_SX_SY_S15_S19_S1B_T6_T7_T9_mT8_S1D_bDpT10_ENKUlT_T0_E_clISt17integral_constantIbLb1EES1Q_IbLb0EEEEDaS1M_S1N_EUlS1M_E_NS1_11comp_targetILNS1_3genE5ELNS1_11target_archE942ELNS1_3gpuE9ELNS1_3repE0EEENS1_30default_config_static_selectorELNS0_4arch9wavefront6targetE0EEEvSZ_
                                        ; -- End function
	.set _ZN7rocprim17ROCPRIM_400000_NS6detail17trampoline_kernelINS0_13select_configILj256ELj13ELNS0_17block_load_methodE3ELS4_3ELS4_3ELNS0_20block_scan_algorithmE0ELj4294967295EEENS1_25partition_config_selectorILNS1_17partition_subalgoE4EjNS0_10empty_typeEbEEZZNS1_14partition_implILS8_4ELb0ES6_15HIP_vector_typeIjLj2EENS0_17counting_iteratorIjlEEPS9_SG_NS0_5tupleIJPjSI_NS0_16reverse_iteratorISI_EEEEENSH_IJSG_SG_SG_EEES9_SI_JZNS1_25segmented_radix_sort_implINS0_14default_configELb1EPKlPlSQ_SR_N2at6native12_GLOBAL__N_18offset_tEEE10hipError_tPvRmT1_PNSt15iterator_traitsISZ_E10value_typeET2_T3_PNS10_IS15_E10value_typeET4_jRbjT5_S1B_jjP12ihipStream_tbEUljE_ZNSN_ISO_Lb1ESQ_SR_SQ_SR_SV_EESW_SX_SY_SZ_S13_S14_S15_S18_S19_jS1A_jS1B_S1B_jjS1D_bEUljE0_EEESW_SX_SY_S15_S19_S1B_T6_T7_T9_mT8_S1D_bDpT10_ENKUlT_T0_E_clISt17integral_constantIbLb1EES1Q_IbLb0EEEEDaS1M_S1N_EUlS1M_E_NS1_11comp_targetILNS1_3genE5ELNS1_11target_archE942ELNS1_3gpuE9ELNS1_3repE0EEENS1_30default_config_static_selectorELNS0_4arch9wavefront6targetE0EEEvSZ_.num_vgpr, 0
	.set _ZN7rocprim17ROCPRIM_400000_NS6detail17trampoline_kernelINS0_13select_configILj256ELj13ELNS0_17block_load_methodE3ELS4_3ELS4_3ELNS0_20block_scan_algorithmE0ELj4294967295EEENS1_25partition_config_selectorILNS1_17partition_subalgoE4EjNS0_10empty_typeEbEEZZNS1_14partition_implILS8_4ELb0ES6_15HIP_vector_typeIjLj2EENS0_17counting_iteratorIjlEEPS9_SG_NS0_5tupleIJPjSI_NS0_16reverse_iteratorISI_EEEEENSH_IJSG_SG_SG_EEES9_SI_JZNS1_25segmented_radix_sort_implINS0_14default_configELb1EPKlPlSQ_SR_N2at6native12_GLOBAL__N_18offset_tEEE10hipError_tPvRmT1_PNSt15iterator_traitsISZ_E10value_typeET2_T3_PNS10_IS15_E10value_typeET4_jRbjT5_S1B_jjP12ihipStream_tbEUljE_ZNSN_ISO_Lb1ESQ_SR_SQ_SR_SV_EESW_SX_SY_SZ_S13_S14_S15_S18_S19_jS1A_jS1B_S1B_jjS1D_bEUljE0_EEESW_SX_SY_S15_S19_S1B_T6_T7_T9_mT8_S1D_bDpT10_ENKUlT_T0_E_clISt17integral_constantIbLb1EES1Q_IbLb0EEEEDaS1M_S1N_EUlS1M_E_NS1_11comp_targetILNS1_3genE5ELNS1_11target_archE942ELNS1_3gpuE9ELNS1_3repE0EEENS1_30default_config_static_selectorELNS0_4arch9wavefront6targetE0EEEvSZ_.num_agpr, 0
	.set _ZN7rocprim17ROCPRIM_400000_NS6detail17trampoline_kernelINS0_13select_configILj256ELj13ELNS0_17block_load_methodE3ELS4_3ELS4_3ELNS0_20block_scan_algorithmE0ELj4294967295EEENS1_25partition_config_selectorILNS1_17partition_subalgoE4EjNS0_10empty_typeEbEEZZNS1_14partition_implILS8_4ELb0ES6_15HIP_vector_typeIjLj2EENS0_17counting_iteratorIjlEEPS9_SG_NS0_5tupleIJPjSI_NS0_16reverse_iteratorISI_EEEEENSH_IJSG_SG_SG_EEES9_SI_JZNS1_25segmented_radix_sort_implINS0_14default_configELb1EPKlPlSQ_SR_N2at6native12_GLOBAL__N_18offset_tEEE10hipError_tPvRmT1_PNSt15iterator_traitsISZ_E10value_typeET2_T3_PNS10_IS15_E10value_typeET4_jRbjT5_S1B_jjP12ihipStream_tbEUljE_ZNSN_ISO_Lb1ESQ_SR_SQ_SR_SV_EESW_SX_SY_SZ_S13_S14_S15_S18_S19_jS1A_jS1B_S1B_jjS1D_bEUljE0_EEESW_SX_SY_S15_S19_S1B_T6_T7_T9_mT8_S1D_bDpT10_ENKUlT_T0_E_clISt17integral_constantIbLb1EES1Q_IbLb0EEEEDaS1M_S1N_EUlS1M_E_NS1_11comp_targetILNS1_3genE5ELNS1_11target_archE942ELNS1_3gpuE9ELNS1_3repE0EEENS1_30default_config_static_selectorELNS0_4arch9wavefront6targetE0EEEvSZ_.numbered_sgpr, 0
	.set _ZN7rocprim17ROCPRIM_400000_NS6detail17trampoline_kernelINS0_13select_configILj256ELj13ELNS0_17block_load_methodE3ELS4_3ELS4_3ELNS0_20block_scan_algorithmE0ELj4294967295EEENS1_25partition_config_selectorILNS1_17partition_subalgoE4EjNS0_10empty_typeEbEEZZNS1_14partition_implILS8_4ELb0ES6_15HIP_vector_typeIjLj2EENS0_17counting_iteratorIjlEEPS9_SG_NS0_5tupleIJPjSI_NS0_16reverse_iteratorISI_EEEEENSH_IJSG_SG_SG_EEES9_SI_JZNS1_25segmented_radix_sort_implINS0_14default_configELb1EPKlPlSQ_SR_N2at6native12_GLOBAL__N_18offset_tEEE10hipError_tPvRmT1_PNSt15iterator_traitsISZ_E10value_typeET2_T3_PNS10_IS15_E10value_typeET4_jRbjT5_S1B_jjP12ihipStream_tbEUljE_ZNSN_ISO_Lb1ESQ_SR_SQ_SR_SV_EESW_SX_SY_SZ_S13_S14_S15_S18_S19_jS1A_jS1B_S1B_jjS1D_bEUljE0_EEESW_SX_SY_S15_S19_S1B_T6_T7_T9_mT8_S1D_bDpT10_ENKUlT_T0_E_clISt17integral_constantIbLb1EES1Q_IbLb0EEEEDaS1M_S1N_EUlS1M_E_NS1_11comp_targetILNS1_3genE5ELNS1_11target_archE942ELNS1_3gpuE9ELNS1_3repE0EEENS1_30default_config_static_selectorELNS0_4arch9wavefront6targetE0EEEvSZ_.num_named_barrier, 0
	.set _ZN7rocprim17ROCPRIM_400000_NS6detail17trampoline_kernelINS0_13select_configILj256ELj13ELNS0_17block_load_methodE3ELS4_3ELS4_3ELNS0_20block_scan_algorithmE0ELj4294967295EEENS1_25partition_config_selectorILNS1_17partition_subalgoE4EjNS0_10empty_typeEbEEZZNS1_14partition_implILS8_4ELb0ES6_15HIP_vector_typeIjLj2EENS0_17counting_iteratorIjlEEPS9_SG_NS0_5tupleIJPjSI_NS0_16reverse_iteratorISI_EEEEENSH_IJSG_SG_SG_EEES9_SI_JZNS1_25segmented_radix_sort_implINS0_14default_configELb1EPKlPlSQ_SR_N2at6native12_GLOBAL__N_18offset_tEEE10hipError_tPvRmT1_PNSt15iterator_traitsISZ_E10value_typeET2_T3_PNS10_IS15_E10value_typeET4_jRbjT5_S1B_jjP12ihipStream_tbEUljE_ZNSN_ISO_Lb1ESQ_SR_SQ_SR_SV_EESW_SX_SY_SZ_S13_S14_S15_S18_S19_jS1A_jS1B_S1B_jjS1D_bEUljE0_EEESW_SX_SY_S15_S19_S1B_T6_T7_T9_mT8_S1D_bDpT10_ENKUlT_T0_E_clISt17integral_constantIbLb1EES1Q_IbLb0EEEEDaS1M_S1N_EUlS1M_E_NS1_11comp_targetILNS1_3genE5ELNS1_11target_archE942ELNS1_3gpuE9ELNS1_3repE0EEENS1_30default_config_static_selectorELNS0_4arch9wavefront6targetE0EEEvSZ_.private_seg_size, 0
	.set _ZN7rocprim17ROCPRIM_400000_NS6detail17trampoline_kernelINS0_13select_configILj256ELj13ELNS0_17block_load_methodE3ELS4_3ELS4_3ELNS0_20block_scan_algorithmE0ELj4294967295EEENS1_25partition_config_selectorILNS1_17partition_subalgoE4EjNS0_10empty_typeEbEEZZNS1_14partition_implILS8_4ELb0ES6_15HIP_vector_typeIjLj2EENS0_17counting_iteratorIjlEEPS9_SG_NS0_5tupleIJPjSI_NS0_16reverse_iteratorISI_EEEEENSH_IJSG_SG_SG_EEES9_SI_JZNS1_25segmented_radix_sort_implINS0_14default_configELb1EPKlPlSQ_SR_N2at6native12_GLOBAL__N_18offset_tEEE10hipError_tPvRmT1_PNSt15iterator_traitsISZ_E10value_typeET2_T3_PNS10_IS15_E10value_typeET4_jRbjT5_S1B_jjP12ihipStream_tbEUljE_ZNSN_ISO_Lb1ESQ_SR_SQ_SR_SV_EESW_SX_SY_SZ_S13_S14_S15_S18_S19_jS1A_jS1B_S1B_jjS1D_bEUljE0_EEESW_SX_SY_S15_S19_S1B_T6_T7_T9_mT8_S1D_bDpT10_ENKUlT_T0_E_clISt17integral_constantIbLb1EES1Q_IbLb0EEEEDaS1M_S1N_EUlS1M_E_NS1_11comp_targetILNS1_3genE5ELNS1_11target_archE942ELNS1_3gpuE9ELNS1_3repE0EEENS1_30default_config_static_selectorELNS0_4arch9wavefront6targetE0EEEvSZ_.uses_vcc, 0
	.set _ZN7rocprim17ROCPRIM_400000_NS6detail17trampoline_kernelINS0_13select_configILj256ELj13ELNS0_17block_load_methodE3ELS4_3ELS4_3ELNS0_20block_scan_algorithmE0ELj4294967295EEENS1_25partition_config_selectorILNS1_17partition_subalgoE4EjNS0_10empty_typeEbEEZZNS1_14partition_implILS8_4ELb0ES6_15HIP_vector_typeIjLj2EENS0_17counting_iteratorIjlEEPS9_SG_NS0_5tupleIJPjSI_NS0_16reverse_iteratorISI_EEEEENSH_IJSG_SG_SG_EEES9_SI_JZNS1_25segmented_radix_sort_implINS0_14default_configELb1EPKlPlSQ_SR_N2at6native12_GLOBAL__N_18offset_tEEE10hipError_tPvRmT1_PNSt15iterator_traitsISZ_E10value_typeET2_T3_PNS10_IS15_E10value_typeET4_jRbjT5_S1B_jjP12ihipStream_tbEUljE_ZNSN_ISO_Lb1ESQ_SR_SQ_SR_SV_EESW_SX_SY_SZ_S13_S14_S15_S18_S19_jS1A_jS1B_S1B_jjS1D_bEUljE0_EEESW_SX_SY_S15_S19_S1B_T6_T7_T9_mT8_S1D_bDpT10_ENKUlT_T0_E_clISt17integral_constantIbLb1EES1Q_IbLb0EEEEDaS1M_S1N_EUlS1M_E_NS1_11comp_targetILNS1_3genE5ELNS1_11target_archE942ELNS1_3gpuE9ELNS1_3repE0EEENS1_30default_config_static_selectorELNS0_4arch9wavefront6targetE0EEEvSZ_.uses_flat_scratch, 0
	.set _ZN7rocprim17ROCPRIM_400000_NS6detail17trampoline_kernelINS0_13select_configILj256ELj13ELNS0_17block_load_methodE3ELS4_3ELS4_3ELNS0_20block_scan_algorithmE0ELj4294967295EEENS1_25partition_config_selectorILNS1_17partition_subalgoE4EjNS0_10empty_typeEbEEZZNS1_14partition_implILS8_4ELb0ES6_15HIP_vector_typeIjLj2EENS0_17counting_iteratorIjlEEPS9_SG_NS0_5tupleIJPjSI_NS0_16reverse_iteratorISI_EEEEENSH_IJSG_SG_SG_EEES9_SI_JZNS1_25segmented_radix_sort_implINS0_14default_configELb1EPKlPlSQ_SR_N2at6native12_GLOBAL__N_18offset_tEEE10hipError_tPvRmT1_PNSt15iterator_traitsISZ_E10value_typeET2_T3_PNS10_IS15_E10value_typeET4_jRbjT5_S1B_jjP12ihipStream_tbEUljE_ZNSN_ISO_Lb1ESQ_SR_SQ_SR_SV_EESW_SX_SY_SZ_S13_S14_S15_S18_S19_jS1A_jS1B_S1B_jjS1D_bEUljE0_EEESW_SX_SY_S15_S19_S1B_T6_T7_T9_mT8_S1D_bDpT10_ENKUlT_T0_E_clISt17integral_constantIbLb1EES1Q_IbLb0EEEEDaS1M_S1N_EUlS1M_E_NS1_11comp_targetILNS1_3genE5ELNS1_11target_archE942ELNS1_3gpuE9ELNS1_3repE0EEENS1_30default_config_static_selectorELNS0_4arch9wavefront6targetE0EEEvSZ_.has_dyn_sized_stack, 0
	.set _ZN7rocprim17ROCPRIM_400000_NS6detail17trampoline_kernelINS0_13select_configILj256ELj13ELNS0_17block_load_methodE3ELS4_3ELS4_3ELNS0_20block_scan_algorithmE0ELj4294967295EEENS1_25partition_config_selectorILNS1_17partition_subalgoE4EjNS0_10empty_typeEbEEZZNS1_14partition_implILS8_4ELb0ES6_15HIP_vector_typeIjLj2EENS0_17counting_iteratorIjlEEPS9_SG_NS0_5tupleIJPjSI_NS0_16reverse_iteratorISI_EEEEENSH_IJSG_SG_SG_EEES9_SI_JZNS1_25segmented_radix_sort_implINS0_14default_configELb1EPKlPlSQ_SR_N2at6native12_GLOBAL__N_18offset_tEEE10hipError_tPvRmT1_PNSt15iterator_traitsISZ_E10value_typeET2_T3_PNS10_IS15_E10value_typeET4_jRbjT5_S1B_jjP12ihipStream_tbEUljE_ZNSN_ISO_Lb1ESQ_SR_SQ_SR_SV_EESW_SX_SY_SZ_S13_S14_S15_S18_S19_jS1A_jS1B_S1B_jjS1D_bEUljE0_EEESW_SX_SY_S15_S19_S1B_T6_T7_T9_mT8_S1D_bDpT10_ENKUlT_T0_E_clISt17integral_constantIbLb1EES1Q_IbLb0EEEEDaS1M_S1N_EUlS1M_E_NS1_11comp_targetILNS1_3genE5ELNS1_11target_archE942ELNS1_3gpuE9ELNS1_3repE0EEENS1_30default_config_static_selectorELNS0_4arch9wavefront6targetE0EEEvSZ_.has_recursion, 0
	.set _ZN7rocprim17ROCPRIM_400000_NS6detail17trampoline_kernelINS0_13select_configILj256ELj13ELNS0_17block_load_methodE3ELS4_3ELS4_3ELNS0_20block_scan_algorithmE0ELj4294967295EEENS1_25partition_config_selectorILNS1_17partition_subalgoE4EjNS0_10empty_typeEbEEZZNS1_14partition_implILS8_4ELb0ES6_15HIP_vector_typeIjLj2EENS0_17counting_iteratorIjlEEPS9_SG_NS0_5tupleIJPjSI_NS0_16reverse_iteratorISI_EEEEENSH_IJSG_SG_SG_EEES9_SI_JZNS1_25segmented_radix_sort_implINS0_14default_configELb1EPKlPlSQ_SR_N2at6native12_GLOBAL__N_18offset_tEEE10hipError_tPvRmT1_PNSt15iterator_traitsISZ_E10value_typeET2_T3_PNS10_IS15_E10value_typeET4_jRbjT5_S1B_jjP12ihipStream_tbEUljE_ZNSN_ISO_Lb1ESQ_SR_SQ_SR_SV_EESW_SX_SY_SZ_S13_S14_S15_S18_S19_jS1A_jS1B_S1B_jjS1D_bEUljE0_EEESW_SX_SY_S15_S19_S1B_T6_T7_T9_mT8_S1D_bDpT10_ENKUlT_T0_E_clISt17integral_constantIbLb1EES1Q_IbLb0EEEEDaS1M_S1N_EUlS1M_E_NS1_11comp_targetILNS1_3genE5ELNS1_11target_archE942ELNS1_3gpuE9ELNS1_3repE0EEENS1_30default_config_static_selectorELNS0_4arch9wavefront6targetE0EEEvSZ_.has_indirect_call, 0
	.section	.AMDGPU.csdata,"",@progbits
; Kernel info:
; codeLenInByte = 0
; TotalNumSgprs: 0
; NumVgprs: 0
; ScratchSize: 0
; MemoryBound: 0
; FloatMode: 240
; IeeeMode: 1
; LDSByteSize: 0 bytes/workgroup (compile time only)
; SGPRBlocks: 0
; VGPRBlocks: 0
; NumSGPRsForWavesPerEU: 1
; NumVGPRsForWavesPerEU: 1
; Occupancy: 16
; WaveLimiterHint : 0
; COMPUTE_PGM_RSRC2:SCRATCH_EN: 0
; COMPUTE_PGM_RSRC2:USER_SGPR: 6
; COMPUTE_PGM_RSRC2:TRAP_HANDLER: 0
; COMPUTE_PGM_RSRC2:TGID_X_EN: 1
; COMPUTE_PGM_RSRC2:TGID_Y_EN: 0
; COMPUTE_PGM_RSRC2:TGID_Z_EN: 0
; COMPUTE_PGM_RSRC2:TIDIG_COMP_CNT: 0
	.section	.text._ZN7rocprim17ROCPRIM_400000_NS6detail17trampoline_kernelINS0_13select_configILj256ELj13ELNS0_17block_load_methodE3ELS4_3ELS4_3ELNS0_20block_scan_algorithmE0ELj4294967295EEENS1_25partition_config_selectorILNS1_17partition_subalgoE4EjNS0_10empty_typeEbEEZZNS1_14partition_implILS8_4ELb0ES6_15HIP_vector_typeIjLj2EENS0_17counting_iteratorIjlEEPS9_SG_NS0_5tupleIJPjSI_NS0_16reverse_iteratorISI_EEEEENSH_IJSG_SG_SG_EEES9_SI_JZNS1_25segmented_radix_sort_implINS0_14default_configELb1EPKlPlSQ_SR_N2at6native12_GLOBAL__N_18offset_tEEE10hipError_tPvRmT1_PNSt15iterator_traitsISZ_E10value_typeET2_T3_PNS10_IS15_E10value_typeET4_jRbjT5_S1B_jjP12ihipStream_tbEUljE_ZNSN_ISO_Lb1ESQ_SR_SQ_SR_SV_EESW_SX_SY_SZ_S13_S14_S15_S18_S19_jS1A_jS1B_S1B_jjS1D_bEUljE0_EEESW_SX_SY_S15_S19_S1B_T6_T7_T9_mT8_S1D_bDpT10_ENKUlT_T0_E_clISt17integral_constantIbLb1EES1Q_IbLb0EEEEDaS1M_S1N_EUlS1M_E_NS1_11comp_targetILNS1_3genE4ELNS1_11target_archE910ELNS1_3gpuE8ELNS1_3repE0EEENS1_30default_config_static_selectorELNS0_4arch9wavefront6targetE0EEEvSZ_,"axG",@progbits,_ZN7rocprim17ROCPRIM_400000_NS6detail17trampoline_kernelINS0_13select_configILj256ELj13ELNS0_17block_load_methodE3ELS4_3ELS4_3ELNS0_20block_scan_algorithmE0ELj4294967295EEENS1_25partition_config_selectorILNS1_17partition_subalgoE4EjNS0_10empty_typeEbEEZZNS1_14partition_implILS8_4ELb0ES6_15HIP_vector_typeIjLj2EENS0_17counting_iteratorIjlEEPS9_SG_NS0_5tupleIJPjSI_NS0_16reverse_iteratorISI_EEEEENSH_IJSG_SG_SG_EEES9_SI_JZNS1_25segmented_radix_sort_implINS0_14default_configELb1EPKlPlSQ_SR_N2at6native12_GLOBAL__N_18offset_tEEE10hipError_tPvRmT1_PNSt15iterator_traitsISZ_E10value_typeET2_T3_PNS10_IS15_E10value_typeET4_jRbjT5_S1B_jjP12ihipStream_tbEUljE_ZNSN_ISO_Lb1ESQ_SR_SQ_SR_SV_EESW_SX_SY_SZ_S13_S14_S15_S18_S19_jS1A_jS1B_S1B_jjS1D_bEUljE0_EEESW_SX_SY_S15_S19_S1B_T6_T7_T9_mT8_S1D_bDpT10_ENKUlT_T0_E_clISt17integral_constantIbLb1EES1Q_IbLb0EEEEDaS1M_S1N_EUlS1M_E_NS1_11comp_targetILNS1_3genE4ELNS1_11target_archE910ELNS1_3gpuE8ELNS1_3repE0EEENS1_30default_config_static_selectorELNS0_4arch9wavefront6targetE0EEEvSZ_,comdat
	.globl	_ZN7rocprim17ROCPRIM_400000_NS6detail17trampoline_kernelINS0_13select_configILj256ELj13ELNS0_17block_load_methodE3ELS4_3ELS4_3ELNS0_20block_scan_algorithmE0ELj4294967295EEENS1_25partition_config_selectorILNS1_17partition_subalgoE4EjNS0_10empty_typeEbEEZZNS1_14partition_implILS8_4ELb0ES6_15HIP_vector_typeIjLj2EENS0_17counting_iteratorIjlEEPS9_SG_NS0_5tupleIJPjSI_NS0_16reverse_iteratorISI_EEEEENSH_IJSG_SG_SG_EEES9_SI_JZNS1_25segmented_radix_sort_implINS0_14default_configELb1EPKlPlSQ_SR_N2at6native12_GLOBAL__N_18offset_tEEE10hipError_tPvRmT1_PNSt15iterator_traitsISZ_E10value_typeET2_T3_PNS10_IS15_E10value_typeET4_jRbjT5_S1B_jjP12ihipStream_tbEUljE_ZNSN_ISO_Lb1ESQ_SR_SQ_SR_SV_EESW_SX_SY_SZ_S13_S14_S15_S18_S19_jS1A_jS1B_S1B_jjS1D_bEUljE0_EEESW_SX_SY_S15_S19_S1B_T6_T7_T9_mT8_S1D_bDpT10_ENKUlT_T0_E_clISt17integral_constantIbLb1EES1Q_IbLb0EEEEDaS1M_S1N_EUlS1M_E_NS1_11comp_targetILNS1_3genE4ELNS1_11target_archE910ELNS1_3gpuE8ELNS1_3repE0EEENS1_30default_config_static_selectorELNS0_4arch9wavefront6targetE0EEEvSZ_ ; -- Begin function _ZN7rocprim17ROCPRIM_400000_NS6detail17trampoline_kernelINS0_13select_configILj256ELj13ELNS0_17block_load_methodE3ELS4_3ELS4_3ELNS0_20block_scan_algorithmE0ELj4294967295EEENS1_25partition_config_selectorILNS1_17partition_subalgoE4EjNS0_10empty_typeEbEEZZNS1_14partition_implILS8_4ELb0ES6_15HIP_vector_typeIjLj2EENS0_17counting_iteratorIjlEEPS9_SG_NS0_5tupleIJPjSI_NS0_16reverse_iteratorISI_EEEEENSH_IJSG_SG_SG_EEES9_SI_JZNS1_25segmented_radix_sort_implINS0_14default_configELb1EPKlPlSQ_SR_N2at6native12_GLOBAL__N_18offset_tEEE10hipError_tPvRmT1_PNSt15iterator_traitsISZ_E10value_typeET2_T3_PNS10_IS15_E10value_typeET4_jRbjT5_S1B_jjP12ihipStream_tbEUljE_ZNSN_ISO_Lb1ESQ_SR_SQ_SR_SV_EESW_SX_SY_SZ_S13_S14_S15_S18_S19_jS1A_jS1B_S1B_jjS1D_bEUljE0_EEESW_SX_SY_S15_S19_S1B_T6_T7_T9_mT8_S1D_bDpT10_ENKUlT_T0_E_clISt17integral_constantIbLb1EES1Q_IbLb0EEEEDaS1M_S1N_EUlS1M_E_NS1_11comp_targetILNS1_3genE4ELNS1_11target_archE910ELNS1_3gpuE8ELNS1_3repE0EEENS1_30default_config_static_selectorELNS0_4arch9wavefront6targetE0EEEvSZ_
	.p2align	8
	.type	_ZN7rocprim17ROCPRIM_400000_NS6detail17trampoline_kernelINS0_13select_configILj256ELj13ELNS0_17block_load_methodE3ELS4_3ELS4_3ELNS0_20block_scan_algorithmE0ELj4294967295EEENS1_25partition_config_selectorILNS1_17partition_subalgoE4EjNS0_10empty_typeEbEEZZNS1_14partition_implILS8_4ELb0ES6_15HIP_vector_typeIjLj2EENS0_17counting_iteratorIjlEEPS9_SG_NS0_5tupleIJPjSI_NS0_16reverse_iteratorISI_EEEEENSH_IJSG_SG_SG_EEES9_SI_JZNS1_25segmented_radix_sort_implINS0_14default_configELb1EPKlPlSQ_SR_N2at6native12_GLOBAL__N_18offset_tEEE10hipError_tPvRmT1_PNSt15iterator_traitsISZ_E10value_typeET2_T3_PNS10_IS15_E10value_typeET4_jRbjT5_S1B_jjP12ihipStream_tbEUljE_ZNSN_ISO_Lb1ESQ_SR_SQ_SR_SV_EESW_SX_SY_SZ_S13_S14_S15_S18_S19_jS1A_jS1B_S1B_jjS1D_bEUljE0_EEESW_SX_SY_S15_S19_S1B_T6_T7_T9_mT8_S1D_bDpT10_ENKUlT_T0_E_clISt17integral_constantIbLb1EES1Q_IbLb0EEEEDaS1M_S1N_EUlS1M_E_NS1_11comp_targetILNS1_3genE4ELNS1_11target_archE910ELNS1_3gpuE8ELNS1_3repE0EEENS1_30default_config_static_selectorELNS0_4arch9wavefront6targetE0EEEvSZ_,@function
_ZN7rocprim17ROCPRIM_400000_NS6detail17trampoline_kernelINS0_13select_configILj256ELj13ELNS0_17block_load_methodE3ELS4_3ELS4_3ELNS0_20block_scan_algorithmE0ELj4294967295EEENS1_25partition_config_selectorILNS1_17partition_subalgoE4EjNS0_10empty_typeEbEEZZNS1_14partition_implILS8_4ELb0ES6_15HIP_vector_typeIjLj2EENS0_17counting_iteratorIjlEEPS9_SG_NS0_5tupleIJPjSI_NS0_16reverse_iteratorISI_EEEEENSH_IJSG_SG_SG_EEES9_SI_JZNS1_25segmented_radix_sort_implINS0_14default_configELb1EPKlPlSQ_SR_N2at6native12_GLOBAL__N_18offset_tEEE10hipError_tPvRmT1_PNSt15iterator_traitsISZ_E10value_typeET2_T3_PNS10_IS15_E10value_typeET4_jRbjT5_S1B_jjP12ihipStream_tbEUljE_ZNSN_ISO_Lb1ESQ_SR_SQ_SR_SV_EESW_SX_SY_SZ_S13_S14_S15_S18_S19_jS1A_jS1B_S1B_jjS1D_bEUljE0_EEESW_SX_SY_S15_S19_S1B_T6_T7_T9_mT8_S1D_bDpT10_ENKUlT_T0_E_clISt17integral_constantIbLb1EES1Q_IbLb0EEEEDaS1M_S1N_EUlS1M_E_NS1_11comp_targetILNS1_3genE4ELNS1_11target_archE910ELNS1_3gpuE8ELNS1_3repE0EEENS1_30default_config_static_selectorELNS0_4arch9wavefront6targetE0EEEvSZ_: ; @_ZN7rocprim17ROCPRIM_400000_NS6detail17trampoline_kernelINS0_13select_configILj256ELj13ELNS0_17block_load_methodE3ELS4_3ELS4_3ELNS0_20block_scan_algorithmE0ELj4294967295EEENS1_25partition_config_selectorILNS1_17partition_subalgoE4EjNS0_10empty_typeEbEEZZNS1_14partition_implILS8_4ELb0ES6_15HIP_vector_typeIjLj2EENS0_17counting_iteratorIjlEEPS9_SG_NS0_5tupleIJPjSI_NS0_16reverse_iteratorISI_EEEEENSH_IJSG_SG_SG_EEES9_SI_JZNS1_25segmented_radix_sort_implINS0_14default_configELb1EPKlPlSQ_SR_N2at6native12_GLOBAL__N_18offset_tEEE10hipError_tPvRmT1_PNSt15iterator_traitsISZ_E10value_typeET2_T3_PNS10_IS15_E10value_typeET4_jRbjT5_S1B_jjP12ihipStream_tbEUljE_ZNSN_ISO_Lb1ESQ_SR_SQ_SR_SV_EESW_SX_SY_SZ_S13_S14_S15_S18_S19_jS1A_jS1B_S1B_jjS1D_bEUljE0_EEESW_SX_SY_S15_S19_S1B_T6_T7_T9_mT8_S1D_bDpT10_ENKUlT_T0_E_clISt17integral_constantIbLb1EES1Q_IbLb0EEEEDaS1M_S1N_EUlS1M_E_NS1_11comp_targetILNS1_3genE4ELNS1_11target_archE910ELNS1_3gpuE8ELNS1_3repE0EEENS1_30default_config_static_selectorELNS0_4arch9wavefront6targetE0EEEvSZ_
; %bb.0:
	.section	.rodata,"a",@progbits
	.p2align	6, 0x0
	.amdhsa_kernel _ZN7rocprim17ROCPRIM_400000_NS6detail17trampoline_kernelINS0_13select_configILj256ELj13ELNS0_17block_load_methodE3ELS4_3ELS4_3ELNS0_20block_scan_algorithmE0ELj4294967295EEENS1_25partition_config_selectorILNS1_17partition_subalgoE4EjNS0_10empty_typeEbEEZZNS1_14partition_implILS8_4ELb0ES6_15HIP_vector_typeIjLj2EENS0_17counting_iteratorIjlEEPS9_SG_NS0_5tupleIJPjSI_NS0_16reverse_iteratorISI_EEEEENSH_IJSG_SG_SG_EEES9_SI_JZNS1_25segmented_radix_sort_implINS0_14default_configELb1EPKlPlSQ_SR_N2at6native12_GLOBAL__N_18offset_tEEE10hipError_tPvRmT1_PNSt15iterator_traitsISZ_E10value_typeET2_T3_PNS10_IS15_E10value_typeET4_jRbjT5_S1B_jjP12ihipStream_tbEUljE_ZNSN_ISO_Lb1ESQ_SR_SQ_SR_SV_EESW_SX_SY_SZ_S13_S14_S15_S18_S19_jS1A_jS1B_S1B_jjS1D_bEUljE0_EEESW_SX_SY_S15_S19_S1B_T6_T7_T9_mT8_S1D_bDpT10_ENKUlT_T0_E_clISt17integral_constantIbLb1EES1Q_IbLb0EEEEDaS1M_S1N_EUlS1M_E_NS1_11comp_targetILNS1_3genE4ELNS1_11target_archE910ELNS1_3gpuE8ELNS1_3repE0EEENS1_30default_config_static_selectorELNS0_4arch9wavefront6targetE0EEEvSZ_
		.amdhsa_group_segment_fixed_size 0
		.amdhsa_private_segment_fixed_size 0
		.amdhsa_kernarg_size 176
		.amdhsa_user_sgpr_count 6
		.amdhsa_user_sgpr_private_segment_buffer 1
		.amdhsa_user_sgpr_dispatch_ptr 0
		.amdhsa_user_sgpr_queue_ptr 0
		.amdhsa_user_sgpr_kernarg_segment_ptr 1
		.amdhsa_user_sgpr_dispatch_id 0
		.amdhsa_user_sgpr_flat_scratch_init 0
		.amdhsa_user_sgpr_private_segment_size 0
		.amdhsa_wavefront_size32 1
		.amdhsa_uses_dynamic_stack 0
		.amdhsa_system_sgpr_private_segment_wavefront_offset 0
		.amdhsa_system_sgpr_workgroup_id_x 1
		.amdhsa_system_sgpr_workgroup_id_y 0
		.amdhsa_system_sgpr_workgroup_id_z 0
		.amdhsa_system_sgpr_workgroup_info 0
		.amdhsa_system_vgpr_workitem_id 0
		.amdhsa_next_free_vgpr 1
		.amdhsa_next_free_sgpr 1
		.amdhsa_reserve_vcc 0
		.amdhsa_reserve_flat_scratch 0
		.amdhsa_float_round_mode_32 0
		.amdhsa_float_round_mode_16_64 0
		.amdhsa_float_denorm_mode_32 3
		.amdhsa_float_denorm_mode_16_64 3
		.amdhsa_dx10_clamp 1
		.amdhsa_ieee_mode 1
		.amdhsa_fp16_overflow 0
		.amdhsa_workgroup_processor_mode 1
		.amdhsa_memory_ordered 1
		.amdhsa_forward_progress 1
		.amdhsa_shared_vgpr_count 0
		.amdhsa_exception_fp_ieee_invalid_op 0
		.amdhsa_exception_fp_denorm_src 0
		.amdhsa_exception_fp_ieee_div_zero 0
		.amdhsa_exception_fp_ieee_overflow 0
		.amdhsa_exception_fp_ieee_underflow 0
		.amdhsa_exception_fp_ieee_inexact 0
		.amdhsa_exception_int_div_zero 0
	.end_amdhsa_kernel
	.section	.text._ZN7rocprim17ROCPRIM_400000_NS6detail17trampoline_kernelINS0_13select_configILj256ELj13ELNS0_17block_load_methodE3ELS4_3ELS4_3ELNS0_20block_scan_algorithmE0ELj4294967295EEENS1_25partition_config_selectorILNS1_17partition_subalgoE4EjNS0_10empty_typeEbEEZZNS1_14partition_implILS8_4ELb0ES6_15HIP_vector_typeIjLj2EENS0_17counting_iteratorIjlEEPS9_SG_NS0_5tupleIJPjSI_NS0_16reverse_iteratorISI_EEEEENSH_IJSG_SG_SG_EEES9_SI_JZNS1_25segmented_radix_sort_implINS0_14default_configELb1EPKlPlSQ_SR_N2at6native12_GLOBAL__N_18offset_tEEE10hipError_tPvRmT1_PNSt15iterator_traitsISZ_E10value_typeET2_T3_PNS10_IS15_E10value_typeET4_jRbjT5_S1B_jjP12ihipStream_tbEUljE_ZNSN_ISO_Lb1ESQ_SR_SQ_SR_SV_EESW_SX_SY_SZ_S13_S14_S15_S18_S19_jS1A_jS1B_S1B_jjS1D_bEUljE0_EEESW_SX_SY_S15_S19_S1B_T6_T7_T9_mT8_S1D_bDpT10_ENKUlT_T0_E_clISt17integral_constantIbLb1EES1Q_IbLb0EEEEDaS1M_S1N_EUlS1M_E_NS1_11comp_targetILNS1_3genE4ELNS1_11target_archE910ELNS1_3gpuE8ELNS1_3repE0EEENS1_30default_config_static_selectorELNS0_4arch9wavefront6targetE0EEEvSZ_,"axG",@progbits,_ZN7rocprim17ROCPRIM_400000_NS6detail17trampoline_kernelINS0_13select_configILj256ELj13ELNS0_17block_load_methodE3ELS4_3ELS4_3ELNS0_20block_scan_algorithmE0ELj4294967295EEENS1_25partition_config_selectorILNS1_17partition_subalgoE4EjNS0_10empty_typeEbEEZZNS1_14partition_implILS8_4ELb0ES6_15HIP_vector_typeIjLj2EENS0_17counting_iteratorIjlEEPS9_SG_NS0_5tupleIJPjSI_NS0_16reverse_iteratorISI_EEEEENSH_IJSG_SG_SG_EEES9_SI_JZNS1_25segmented_radix_sort_implINS0_14default_configELb1EPKlPlSQ_SR_N2at6native12_GLOBAL__N_18offset_tEEE10hipError_tPvRmT1_PNSt15iterator_traitsISZ_E10value_typeET2_T3_PNS10_IS15_E10value_typeET4_jRbjT5_S1B_jjP12ihipStream_tbEUljE_ZNSN_ISO_Lb1ESQ_SR_SQ_SR_SV_EESW_SX_SY_SZ_S13_S14_S15_S18_S19_jS1A_jS1B_S1B_jjS1D_bEUljE0_EEESW_SX_SY_S15_S19_S1B_T6_T7_T9_mT8_S1D_bDpT10_ENKUlT_T0_E_clISt17integral_constantIbLb1EES1Q_IbLb0EEEEDaS1M_S1N_EUlS1M_E_NS1_11comp_targetILNS1_3genE4ELNS1_11target_archE910ELNS1_3gpuE8ELNS1_3repE0EEENS1_30default_config_static_selectorELNS0_4arch9wavefront6targetE0EEEvSZ_,comdat
.Lfunc_end652:
	.size	_ZN7rocprim17ROCPRIM_400000_NS6detail17trampoline_kernelINS0_13select_configILj256ELj13ELNS0_17block_load_methodE3ELS4_3ELS4_3ELNS0_20block_scan_algorithmE0ELj4294967295EEENS1_25partition_config_selectorILNS1_17partition_subalgoE4EjNS0_10empty_typeEbEEZZNS1_14partition_implILS8_4ELb0ES6_15HIP_vector_typeIjLj2EENS0_17counting_iteratorIjlEEPS9_SG_NS0_5tupleIJPjSI_NS0_16reverse_iteratorISI_EEEEENSH_IJSG_SG_SG_EEES9_SI_JZNS1_25segmented_radix_sort_implINS0_14default_configELb1EPKlPlSQ_SR_N2at6native12_GLOBAL__N_18offset_tEEE10hipError_tPvRmT1_PNSt15iterator_traitsISZ_E10value_typeET2_T3_PNS10_IS15_E10value_typeET4_jRbjT5_S1B_jjP12ihipStream_tbEUljE_ZNSN_ISO_Lb1ESQ_SR_SQ_SR_SV_EESW_SX_SY_SZ_S13_S14_S15_S18_S19_jS1A_jS1B_S1B_jjS1D_bEUljE0_EEESW_SX_SY_S15_S19_S1B_T6_T7_T9_mT8_S1D_bDpT10_ENKUlT_T0_E_clISt17integral_constantIbLb1EES1Q_IbLb0EEEEDaS1M_S1N_EUlS1M_E_NS1_11comp_targetILNS1_3genE4ELNS1_11target_archE910ELNS1_3gpuE8ELNS1_3repE0EEENS1_30default_config_static_selectorELNS0_4arch9wavefront6targetE0EEEvSZ_, .Lfunc_end652-_ZN7rocprim17ROCPRIM_400000_NS6detail17trampoline_kernelINS0_13select_configILj256ELj13ELNS0_17block_load_methodE3ELS4_3ELS4_3ELNS0_20block_scan_algorithmE0ELj4294967295EEENS1_25partition_config_selectorILNS1_17partition_subalgoE4EjNS0_10empty_typeEbEEZZNS1_14partition_implILS8_4ELb0ES6_15HIP_vector_typeIjLj2EENS0_17counting_iteratorIjlEEPS9_SG_NS0_5tupleIJPjSI_NS0_16reverse_iteratorISI_EEEEENSH_IJSG_SG_SG_EEES9_SI_JZNS1_25segmented_radix_sort_implINS0_14default_configELb1EPKlPlSQ_SR_N2at6native12_GLOBAL__N_18offset_tEEE10hipError_tPvRmT1_PNSt15iterator_traitsISZ_E10value_typeET2_T3_PNS10_IS15_E10value_typeET4_jRbjT5_S1B_jjP12ihipStream_tbEUljE_ZNSN_ISO_Lb1ESQ_SR_SQ_SR_SV_EESW_SX_SY_SZ_S13_S14_S15_S18_S19_jS1A_jS1B_S1B_jjS1D_bEUljE0_EEESW_SX_SY_S15_S19_S1B_T6_T7_T9_mT8_S1D_bDpT10_ENKUlT_T0_E_clISt17integral_constantIbLb1EES1Q_IbLb0EEEEDaS1M_S1N_EUlS1M_E_NS1_11comp_targetILNS1_3genE4ELNS1_11target_archE910ELNS1_3gpuE8ELNS1_3repE0EEENS1_30default_config_static_selectorELNS0_4arch9wavefront6targetE0EEEvSZ_
                                        ; -- End function
	.set _ZN7rocprim17ROCPRIM_400000_NS6detail17trampoline_kernelINS0_13select_configILj256ELj13ELNS0_17block_load_methodE3ELS4_3ELS4_3ELNS0_20block_scan_algorithmE0ELj4294967295EEENS1_25partition_config_selectorILNS1_17partition_subalgoE4EjNS0_10empty_typeEbEEZZNS1_14partition_implILS8_4ELb0ES6_15HIP_vector_typeIjLj2EENS0_17counting_iteratorIjlEEPS9_SG_NS0_5tupleIJPjSI_NS0_16reverse_iteratorISI_EEEEENSH_IJSG_SG_SG_EEES9_SI_JZNS1_25segmented_radix_sort_implINS0_14default_configELb1EPKlPlSQ_SR_N2at6native12_GLOBAL__N_18offset_tEEE10hipError_tPvRmT1_PNSt15iterator_traitsISZ_E10value_typeET2_T3_PNS10_IS15_E10value_typeET4_jRbjT5_S1B_jjP12ihipStream_tbEUljE_ZNSN_ISO_Lb1ESQ_SR_SQ_SR_SV_EESW_SX_SY_SZ_S13_S14_S15_S18_S19_jS1A_jS1B_S1B_jjS1D_bEUljE0_EEESW_SX_SY_S15_S19_S1B_T6_T7_T9_mT8_S1D_bDpT10_ENKUlT_T0_E_clISt17integral_constantIbLb1EES1Q_IbLb0EEEEDaS1M_S1N_EUlS1M_E_NS1_11comp_targetILNS1_3genE4ELNS1_11target_archE910ELNS1_3gpuE8ELNS1_3repE0EEENS1_30default_config_static_selectorELNS0_4arch9wavefront6targetE0EEEvSZ_.num_vgpr, 0
	.set _ZN7rocprim17ROCPRIM_400000_NS6detail17trampoline_kernelINS0_13select_configILj256ELj13ELNS0_17block_load_methodE3ELS4_3ELS4_3ELNS0_20block_scan_algorithmE0ELj4294967295EEENS1_25partition_config_selectorILNS1_17partition_subalgoE4EjNS0_10empty_typeEbEEZZNS1_14partition_implILS8_4ELb0ES6_15HIP_vector_typeIjLj2EENS0_17counting_iteratorIjlEEPS9_SG_NS0_5tupleIJPjSI_NS0_16reverse_iteratorISI_EEEEENSH_IJSG_SG_SG_EEES9_SI_JZNS1_25segmented_radix_sort_implINS0_14default_configELb1EPKlPlSQ_SR_N2at6native12_GLOBAL__N_18offset_tEEE10hipError_tPvRmT1_PNSt15iterator_traitsISZ_E10value_typeET2_T3_PNS10_IS15_E10value_typeET4_jRbjT5_S1B_jjP12ihipStream_tbEUljE_ZNSN_ISO_Lb1ESQ_SR_SQ_SR_SV_EESW_SX_SY_SZ_S13_S14_S15_S18_S19_jS1A_jS1B_S1B_jjS1D_bEUljE0_EEESW_SX_SY_S15_S19_S1B_T6_T7_T9_mT8_S1D_bDpT10_ENKUlT_T0_E_clISt17integral_constantIbLb1EES1Q_IbLb0EEEEDaS1M_S1N_EUlS1M_E_NS1_11comp_targetILNS1_3genE4ELNS1_11target_archE910ELNS1_3gpuE8ELNS1_3repE0EEENS1_30default_config_static_selectorELNS0_4arch9wavefront6targetE0EEEvSZ_.num_agpr, 0
	.set _ZN7rocprim17ROCPRIM_400000_NS6detail17trampoline_kernelINS0_13select_configILj256ELj13ELNS0_17block_load_methodE3ELS4_3ELS4_3ELNS0_20block_scan_algorithmE0ELj4294967295EEENS1_25partition_config_selectorILNS1_17partition_subalgoE4EjNS0_10empty_typeEbEEZZNS1_14partition_implILS8_4ELb0ES6_15HIP_vector_typeIjLj2EENS0_17counting_iteratorIjlEEPS9_SG_NS0_5tupleIJPjSI_NS0_16reverse_iteratorISI_EEEEENSH_IJSG_SG_SG_EEES9_SI_JZNS1_25segmented_radix_sort_implINS0_14default_configELb1EPKlPlSQ_SR_N2at6native12_GLOBAL__N_18offset_tEEE10hipError_tPvRmT1_PNSt15iterator_traitsISZ_E10value_typeET2_T3_PNS10_IS15_E10value_typeET4_jRbjT5_S1B_jjP12ihipStream_tbEUljE_ZNSN_ISO_Lb1ESQ_SR_SQ_SR_SV_EESW_SX_SY_SZ_S13_S14_S15_S18_S19_jS1A_jS1B_S1B_jjS1D_bEUljE0_EEESW_SX_SY_S15_S19_S1B_T6_T7_T9_mT8_S1D_bDpT10_ENKUlT_T0_E_clISt17integral_constantIbLb1EES1Q_IbLb0EEEEDaS1M_S1N_EUlS1M_E_NS1_11comp_targetILNS1_3genE4ELNS1_11target_archE910ELNS1_3gpuE8ELNS1_3repE0EEENS1_30default_config_static_selectorELNS0_4arch9wavefront6targetE0EEEvSZ_.numbered_sgpr, 0
	.set _ZN7rocprim17ROCPRIM_400000_NS6detail17trampoline_kernelINS0_13select_configILj256ELj13ELNS0_17block_load_methodE3ELS4_3ELS4_3ELNS0_20block_scan_algorithmE0ELj4294967295EEENS1_25partition_config_selectorILNS1_17partition_subalgoE4EjNS0_10empty_typeEbEEZZNS1_14partition_implILS8_4ELb0ES6_15HIP_vector_typeIjLj2EENS0_17counting_iteratorIjlEEPS9_SG_NS0_5tupleIJPjSI_NS0_16reverse_iteratorISI_EEEEENSH_IJSG_SG_SG_EEES9_SI_JZNS1_25segmented_radix_sort_implINS0_14default_configELb1EPKlPlSQ_SR_N2at6native12_GLOBAL__N_18offset_tEEE10hipError_tPvRmT1_PNSt15iterator_traitsISZ_E10value_typeET2_T3_PNS10_IS15_E10value_typeET4_jRbjT5_S1B_jjP12ihipStream_tbEUljE_ZNSN_ISO_Lb1ESQ_SR_SQ_SR_SV_EESW_SX_SY_SZ_S13_S14_S15_S18_S19_jS1A_jS1B_S1B_jjS1D_bEUljE0_EEESW_SX_SY_S15_S19_S1B_T6_T7_T9_mT8_S1D_bDpT10_ENKUlT_T0_E_clISt17integral_constantIbLb1EES1Q_IbLb0EEEEDaS1M_S1N_EUlS1M_E_NS1_11comp_targetILNS1_3genE4ELNS1_11target_archE910ELNS1_3gpuE8ELNS1_3repE0EEENS1_30default_config_static_selectorELNS0_4arch9wavefront6targetE0EEEvSZ_.num_named_barrier, 0
	.set _ZN7rocprim17ROCPRIM_400000_NS6detail17trampoline_kernelINS0_13select_configILj256ELj13ELNS0_17block_load_methodE3ELS4_3ELS4_3ELNS0_20block_scan_algorithmE0ELj4294967295EEENS1_25partition_config_selectorILNS1_17partition_subalgoE4EjNS0_10empty_typeEbEEZZNS1_14partition_implILS8_4ELb0ES6_15HIP_vector_typeIjLj2EENS0_17counting_iteratorIjlEEPS9_SG_NS0_5tupleIJPjSI_NS0_16reverse_iteratorISI_EEEEENSH_IJSG_SG_SG_EEES9_SI_JZNS1_25segmented_radix_sort_implINS0_14default_configELb1EPKlPlSQ_SR_N2at6native12_GLOBAL__N_18offset_tEEE10hipError_tPvRmT1_PNSt15iterator_traitsISZ_E10value_typeET2_T3_PNS10_IS15_E10value_typeET4_jRbjT5_S1B_jjP12ihipStream_tbEUljE_ZNSN_ISO_Lb1ESQ_SR_SQ_SR_SV_EESW_SX_SY_SZ_S13_S14_S15_S18_S19_jS1A_jS1B_S1B_jjS1D_bEUljE0_EEESW_SX_SY_S15_S19_S1B_T6_T7_T9_mT8_S1D_bDpT10_ENKUlT_T0_E_clISt17integral_constantIbLb1EES1Q_IbLb0EEEEDaS1M_S1N_EUlS1M_E_NS1_11comp_targetILNS1_3genE4ELNS1_11target_archE910ELNS1_3gpuE8ELNS1_3repE0EEENS1_30default_config_static_selectorELNS0_4arch9wavefront6targetE0EEEvSZ_.private_seg_size, 0
	.set _ZN7rocprim17ROCPRIM_400000_NS6detail17trampoline_kernelINS0_13select_configILj256ELj13ELNS0_17block_load_methodE3ELS4_3ELS4_3ELNS0_20block_scan_algorithmE0ELj4294967295EEENS1_25partition_config_selectorILNS1_17partition_subalgoE4EjNS0_10empty_typeEbEEZZNS1_14partition_implILS8_4ELb0ES6_15HIP_vector_typeIjLj2EENS0_17counting_iteratorIjlEEPS9_SG_NS0_5tupleIJPjSI_NS0_16reverse_iteratorISI_EEEEENSH_IJSG_SG_SG_EEES9_SI_JZNS1_25segmented_radix_sort_implINS0_14default_configELb1EPKlPlSQ_SR_N2at6native12_GLOBAL__N_18offset_tEEE10hipError_tPvRmT1_PNSt15iterator_traitsISZ_E10value_typeET2_T3_PNS10_IS15_E10value_typeET4_jRbjT5_S1B_jjP12ihipStream_tbEUljE_ZNSN_ISO_Lb1ESQ_SR_SQ_SR_SV_EESW_SX_SY_SZ_S13_S14_S15_S18_S19_jS1A_jS1B_S1B_jjS1D_bEUljE0_EEESW_SX_SY_S15_S19_S1B_T6_T7_T9_mT8_S1D_bDpT10_ENKUlT_T0_E_clISt17integral_constantIbLb1EES1Q_IbLb0EEEEDaS1M_S1N_EUlS1M_E_NS1_11comp_targetILNS1_3genE4ELNS1_11target_archE910ELNS1_3gpuE8ELNS1_3repE0EEENS1_30default_config_static_selectorELNS0_4arch9wavefront6targetE0EEEvSZ_.uses_vcc, 0
	.set _ZN7rocprim17ROCPRIM_400000_NS6detail17trampoline_kernelINS0_13select_configILj256ELj13ELNS0_17block_load_methodE3ELS4_3ELS4_3ELNS0_20block_scan_algorithmE0ELj4294967295EEENS1_25partition_config_selectorILNS1_17partition_subalgoE4EjNS0_10empty_typeEbEEZZNS1_14partition_implILS8_4ELb0ES6_15HIP_vector_typeIjLj2EENS0_17counting_iteratorIjlEEPS9_SG_NS0_5tupleIJPjSI_NS0_16reverse_iteratorISI_EEEEENSH_IJSG_SG_SG_EEES9_SI_JZNS1_25segmented_radix_sort_implINS0_14default_configELb1EPKlPlSQ_SR_N2at6native12_GLOBAL__N_18offset_tEEE10hipError_tPvRmT1_PNSt15iterator_traitsISZ_E10value_typeET2_T3_PNS10_IS15_E10value_typeET4_jRbjT5_S1B_jjP12ihipStream_tbEUljE_ZNSN_ISO_Lb1ESQ_SR_SQ_SR_SV_EESW_SX_SY_SZ_S13_S14_S15_S18_S19_jS1A_jS1B_S1B_jjS1D_bEUljE0_EEESW_SX_SY_S15_S19_S1B_T6_T7_T9_mT8_S1D_bDpT10_ENKUlT_T0_E_clISt17integral_constantIbLb1EES1Q_IbLb0EEEEDaS1M_S1N_EUlS1M_E_NS1_11comp_targetILNS1_3genE4ELNS1_11target_archE910ELNS1_3gpuE8ELNS1_3repE0EEENS1_30default_config_static_selectorELNS0_4arch9wavefront6targetE0EEEvSZ_.uses_flat_scratch, 0
	.set _ZN7rocprim17ROCPRIM_400000_NS6detail17trampoline_kernelINS0_13select_configILj256ELj13ELNS0_17block_load_methodE3ELS4_3ELS4_3ELNS0_20block_scan_algorithmE0ELj4294967295EEENS1_25partition_config_selectorILNS1_17partition_subalgoE4EjNS0_10empty_typeEbEEZZNS1_14partition_implILS8_4ELb0ES6_15HIP_vector_typeIjLj2EENS0_17counting_iteratorIjlEEPS9_SG_NS0_5tupleIJPjSI_NS0_16reverse_iteratorISI_EEEEENSH_IJSG_SG_SG_EEES9_SI_JZNS1_25segmented_radix_sort_implINS0_14default_configELb1EPKlPlSQ_SR_N2at6native12_GLOBAL__N_18offset_tEEE10hipError_tPvRmT1_PNSt15iterator_traitsISZ_E10value_typeET2_T3_PNS10_IS15_E10value_typeET4_jRbjT5_S1B_jjP12ihipStream_tbEUljE_ZNSN_ISO_Lb1ESQ_SR_SQ_SR_SV_EESW_SX_SY_SZ_S13_S14_S15_S18_S19_jS1A_jS1B_S1B_jjS1D_bEUljE0_EEESW_SX_SY_S15_S19_S1B_T6_T7_T9_mT8_S1D_bDpT10_ENKUlT_T0_E_clISt17integral_constantIbLb1EES1Q_IbLb0EEEEDaS1M_S1N_EUlS1M_E_NS1_11comp_targetILNS1_3genE4ELNS1_11target_archE910ELNS1_3gpuE8ELNS1_3repE0EEENS1_30default_config_static_selectorELNS0_4arch9wavefront6targetE0EEEvSZ_.has_dyn_sized_stack, 0
	.set _ZN7rocprim17ROCPRIM_400000_NS6detail17trampoline_kernelINS0_13select_configILj256ELj13ELNS0_17block_load_methodE3ELS4_3ELS4_3ELNS0_20block_scan_algorithmE0ELj4294967295EEENS1_25partition_config_selectorILNS1_17partition_subalgoE4EjNS0_10empty_typeEbEEZZNS1_14partition_implILS8_4ELb0ES6_15HIP_vector_typeIjLj2EENS0_17counting_iteratorIjlEEPS9_SG_NS0_5tupleIJPjSI_NS0_16reverse_iteratorISI_EEEEENSH_IJSG_SG_SG_EEES9_SI_JZNS1_25segmented_radix_sort_implINS0_14default_configELb1EPKlPlSQ_SR_N2at6native12_GLOBAL__N_18offset_tEEE10hipError_tPvRmT1_PNSt15iterator_traitsISZ_E10value_typeET2_T3_PNS10_IS15_E10value_typeET4_jRbjT5_S1B_jjP12ihipStream_tbEUljE_ZNSN_ISO_Lb1ESQ_SR_SQ_SR_SV_EESW_SX_SY_SZ_S13_S14_S15_S18_S19_jS1A_jS1B_S1B_jjS1D_bEUljE0_EEESW_SX_SY_S15_S19_S1B_T6_T7_T9_mT8_S1D_bDpT10_ENKUlT_T0_E_clISt17integral_constantIbLb1EES1Q_IbLb0EEEEDaS1M_S1N_EUlS1M_E_NS1_11comp_targetILNS1_3genE4ELNS1_11target_archE910ELNS1_3gpuE8ELNS1_3repE0EEENS1_30default_config_static_selectorELNS0_4arch9wavefront6targetE0EEEvSZ_.has_recursion, 0
	.set _ZN7rocprim17ROCPRIM_400000_NS6detail17trampoline_kernelINS0_13select_configILj256ELj13ELNS0_17block_load_methodE3ELS4_3ELS4_3ELNS0_20block_scan_algorithmE0ELj4294967295EEENS1_25partition_config_selectorILNS1_17partition_subalgoE4EjNS0_10empty_typeEbEEZZNS1_14partition_implILS8_4ELb0ES6_15HIP_vector_typeIjLj2EENS0_17counting_iteratorIjlEEPS9_SG_NS0_5tupleIJPjSI_NS0_16reverse_iteratorISI_EEEEENSH_IJSG_SG_SG_EEES9_SI_JZNS1_25segmented_radix_sort_implINS0_14default_configELb1EPKlPlSQ_SR_N2at6native12_GLOBAL__N_18offset_tEEE10hipError_tPvRmT1_PNSt15iterator_traitsISZ_E10value_typeET2_T3_PNS10_IS15_E10value_typeET4_jRbjT5_S1B_jjP12ihipStream_tbEUljE_ZNSN_ISO_Lb1ESQ_SR_SQ_SR_SV_EESW_SX_SY_SZ_S13_S14_S15_S18_S19_jS1A_jS1B_S1B_jjS1D_bEUljE0_EEESW_SX_SY_S15_S19_S1B_T6_T7_T9_mT8_S1D_bDpT10_ENKUlT_T0_E_clISt17integral_constantIbLb1EES1Q_IbLb0EEEEDaS1M_S1N_EUlS1M_E_NS1_11comp_targetILNS1_3genE4ELNS1_11target_archE910ELNS1_3gpuE8ELNS1_3repE0EEENS1_30default_config_static_selectorELNS0_4arch9wavefront6targetE0EEEvSZ_.has_indirect_call, 0
	.section	.AMDGPU.csdata,"",@progbits
; Kernel info:
; codeLenInByte = 0
; TotalNumSgprs: 0
; NumVgprs: 0
; ScratchSize: 0
; MemoryBound: 0
; FloatMode: 240
; IeeeMode: 1
; LDSByteSize: 0 bytes/workgroup (compile time only)
; SGPRBlocks: 0
; VGPRBlocks: 0
; NumSGPRsForWavesPerEU: 1
; NumVGPRsForWavesPerEU: 1
; Occupancy: 16
; WaveLimiterHint : 0
; COMPUTE_PGM_RSRC2:SCRATCH_EN: 0
; COMPUTE_PGM_RSRC2:USER_SGPR: 6
; COMPUTE_PGM_RSRC2:TRAP_HANDLER: 0
; COMPUTE_PGM_RSRC2:TGID_X_EN: 1
; COMPUTE_PGM_RSRC2:TGID_Y_EN: 0
; COMPUTE_PGM_RSRC2:TGID_Z_EN: 0
; COMPUTE_PGM_RSRC2:TIDIG_COMP_CNT: 0
	.section	.text._ZN7rocprim17ROCPRIM_400000_NS6detail17trampoline_kernelINS0_13select_configILj256ELj13ELNS0_17block_load_methodE3ELS4_3ELS4_3ELNS0_20block_scan_algorithmE0ELj4294967295EEENS1_25partition_config_selectorILNS1_17partition_subalgoE4EjNS0_10empty_typeEbEEZZNS1_14partition_implILS8_4ELb0ES6_15HIP_vector_typeIjLj2EENS0_17counting_iteratorIjlEEPS9_SG_NS0_5tupleIJPjSI_NS0_16reverse_iteratorISI_EEEEENSH_IJSG_SG_SG_EEES9_SI_JZNS1_25segmented_radix_sort_implINS0_14default_configELb1EPKlPlSQ_SR_N2at6native12_GLOBAL__N_18offset_tEEE10hipError_tPvRmT1_PNSt15iterator_traitsISZ_E10value_typeET2_T3_PNS10_IS15_E10value_typeET4_jRbjT5_S1B_jjP12ihipStream_tbEUljE_ZNSN_ISO_Lb1ESQ_SR_SQ_SR_SV_EESW_SX_SY_SZ_S13_S14_S15_S18_S19_jS1A_jS1B_S1B_jjS1D_bEUljE0_EEESW_SX_SY_S15_S19_S1B_T6_T7_T9_mT8_S1D_bDpT10_ENKUlT_T0_E_clISt17integral_constantIbLb1EES1Q_IbLb0EEEEDaS1M_S1N_EUlS1M_E_NS1_11comp_targetILNS1_3genE3ELNS1_11target_archE908ELNS1_3gpuE7ELNS1_3repE0EEENS1_30default_config_static_selectorELNS0_4arch9wavefront6targetE0EEEvSZ_,"axG",@progbits,_ZN7rocprim17ROCPRIM_400000_NS6detail17trampoline_kernelINS0_13select_configILj256ELj13ELNS0_17block_load_methodE3ELS4_3ELS4_3ELNS0_20block_scan_algorithmE0ELj4294967295EEENS1_25partition_config_selectorILNS1_17partition_subalgoE4EjNS0_10empty_typeEbEEZZNS1_14partition_implILS8_4ELb0ES6_15HIP_vector_typeIjLj2EENS0_17counting_iteratorIjlEEPS9_SG_NS0_5tupleIJPjSI_NS0_16reverse_iteratorISI_EEEEENSH_IJSG_SG_SG_EEES9_SI_JZNS1_25segmented_radix_sort_implINS0_14default_configELb1EPKlPlSQ_SR_N2at6native12_GLOBAL__N_18offset_tEEE10hipError_tPvRmT1_PNSt15iterator_traitsISZ_E10value_typeET2_T3_PNS10_IS15_E10value_typeET4_jRbjT5_S1B_jjP12ihipStream_tbEUljE_ZNSN_ISO_Lb1ESQ_SR_SQ_SR_SV_EESW_SX_SY_SZ_S13_S14_S15_S18_S19_jS1A_jS1B_S1B_jjS1D_bEUljE0_EEESW_SX_SY_S15_S19_S1B_T6_T7_T9_mT8_S1D_bDpT10_ENKUlT_T0_E_clISt17integral_constantIbLb1EES1Q_IbLb0EEEEDaS1M_S1N_EUlS1M_E_NS1_11comp_targetILNS1_3genE3ELNS1_11target_archE908ELNS1_3gpuE7ELNS1_3repE0EEENS1_30default_config_static_selectorELNS0_4arch9wavefront6targetE0EEEvSZ_,comdat
	.globl	_ZN7rocprim17ROCPRIM_400000_NS6detail17trampoline_kernelINS0_13select_configILj256ELj13ELNS0_17block_load_methodE3ELS4_3ELS4_3ELNS0_20block_scan_algorithmE0ELj4294967295EEENS1_25partition_config_selectorILNS1_17partition_subalgoE4EjNS0_10empty_typeEbEEZZNS1_14partition_implILS8_4ELb0ES6_15HIP_vector_typeIjLj2EENS0_17counting_iteratorIjlEEPS9_SG_NS0_5tupleIJPjSI_NS0_16reverse_iteratorISI_EEEEENSH_IJSG_SG_SG_EEES9_SI_JZNS1_25segmented_radix_sort_implINS0_14default_configELb1EPKlPlSQ_SR_N2at6native12_GLOBAL__N_18offset_tEEE10hipError_tPvRmT1_PNSt15iterator_traitsISZ_E10value_typeET2_T3_PNS10_IS15_E10value_typeET4_jRbjT5_S1B_jjP12ihipStream_tbEUljE_ZNSN_ISO_Lb1ESQ_SR_SQ_SR_SV_EESW_SX_SY_SZ_S13_S14_S15_S18_S19_jS1A_jS1B_S1B_jjS1D_bEUljE0_EEESW_SX_SY_S15_S19_S1B_T6_T7_T9_mT8_S1D_bDpT10_ENKUlT_T0_E_clISt17integral_constantIbLb1EES1Q_IbLb0EEEEDaS1M_S1N_EUlS1M_E_NS1_11comp_targetILNS1_3genE3ELNS1_11target_archE908ELNS1_3gpuE7ELNS1_3repE0EEENS1_30default_config_static_selectorELNS0_4arch9wavefront6targetE0EEEvSZ_ ; -- Begin function _ZN7rocprim17ROCPRIM_400000_NS6detail17trampoline_kernelINS0_13select_configILj256ELj13ELNS0_17block_load_methodE3ELS4_3ELS4_3ELNS0_20block_scan_algorithmE0ELj4294967295EEENS1_25partition_config_selectorILNS1_17partition_subalgoE4EjNS0_10empty_typeEbEEZZNS1_14partition_implILS8_4ELb0ES6_15HIP_vector_typeIjLj2EENS0_17counting_iteratorIjlEEPS9_SG_NS0_5tupleIJPjSI_NS0_16reverse_iteratorISI_EEEEENSH_IJSG_SG_SG_EEES9_SI_JZNS1_25segmented_radix_sort_implINS0_14default_configELb1EPKlPlSQ_SR_N2at6native12_GLOBAL__N_18offset_tEEE10hipError_tPvRmT1_PNSt15iterator_traitsISZ_E10value_typeET2_T3_PNS10_IS15_E10value_typeET4_jRbjT5_S1B_jjP12ihipStream_tbEUljE_ZNSN_ISO_Lb1ESQ_SR_SQ_SR_SV_EESW_SX_SY_SZ_S13_S14_S15_S18_S19_jS1A_jS1B_S1B_jjS1D_bEUljE0_EEESW_SX_SY_S15_S19_S1B_T6_T7_T9_mT8_S1D_bDpT10_ENKUlT_T0_E_clISt17integral_constantIbLb1EES1Q_IbLb0EEEEDaS1M_S1N_EUlS1M_E_NS1_11comp_targetILNS1_3genE3ELNS1_11target_archE908ELNS1_3gpuE7ELNS1_3repE0EEENS1_30default_config_static_selectorELNS0_4arch9wavefront6targetE0EEEvSZ_
	.p2align	8
	.type	_ZN7rocprim17ROCPRIM_400000_NS6detail17trampoline_kernelINS0_13select_configILj256ELj13ELNS0_17block_load_methodE3ELS4_3ELS4_3ELNS0_20block_scan_algorithmE0ELj4294967295EEENS1_25partition_config_selectorILNS1_17partition_subalgoE4EjNS0_10empty_typeEbEEZZNS1_14partition_implILS8_4ELb0ES6_15HIP_vector_typeIjLj2EENS0_17counting_iteratorIjlEEPS9_SG_NS0_5tupleIJPjSI_NS0_16reverse_iteratorISI_EEEEENSH_IJSG_SG_SG_EEES9_SI_JZNS1_25segmented_radix_sort_implINS0_14default_configELb1EPKlPlSQ_SR_N2at6native12_GLOBAL__N_18offset_tEEE10hipError_tPvRmT1_PNSt15iterator_traitsISZ_E10value_typeET2_T3_PNS10_IS15_E10value_typeET4_jRbjT5_S1B_jjP12ihipStream_tbEUljE_ZNSN_ISO_Lb1ESQ_SR_SQ_SR_SV_EESW_SX_SY_SZ_S13_S14_S15_S18_S19_jS1A_jS1B_S1B_jjS1D_bEUljE0_EEESW_SX_SY_S15_S19_S1B_T6_T7_T9_mT8_S1D_bDpT10_ENKUlT_T0_E_clISt17integral_constantIbLb1EES1Q_IbLb0EEEEDaS1M_S1N_EUlS1M_E_NS1_11comp_targetILNS1_3genE3ELNS1_11target_archE908ELNS1_3gpuE7ELNS1_3repE0EEENS1_30default_config_static_selectorELNS0_4arch9wavefront6targetE0EEEvSZ_,@function
_ZN7rocprim17ROCPRIM_400000_NS6detail17trampoline_kernelINS0_13select_configILj256ELj13ELNS0_17block_load_methodE3ELS4_3ELS4_3ELNS0_20block_scan_algorithmE0ELj4294967295EEENS1_25partition_config_selectorILNS1_17partition_subalgoE4EjNS0_10empty_typeEbEEZZNS1_14partition_implILS8_4ELb0ES6_15HIP_vector_typeIjLj2EENS0_17counting_iteratorIjlEEPS9_SG_NS0_5tupleIJPjSI_NS0_16reverse_iteratorISI_EEEEENSH_IJSG_SG_SG_EEES9_SI_JZNS1_25segmented_radix_sort_implINS0_14default_configELb1EPKlPlSQ_SR_N2at6native12_GLOBAL__N_18offset_tEEE10hipError_tPvRmT1_PNSt15iterator_traitsISZ_E10value_typeET2_T3_PNS10_IS15_E10value_typeET4_jRbjT5_S1B_jjP12ihipStream_tbEUljE_ZNSN_ISO_Lb1ESQ_SR_SQ_SR_SV_EESW_SX_SY_SZ_S13_S14_S15_S18_S19_jS1A_jS1B_S1B_jjS1D_bEUljE0_EEESW_SX_SY_S15_S19_S1B_T6_T7_T9_mT8_S1D_bDpT10_ENKUlT_T0_E_clISt17integral_constantIbLb1EES1Q_IbLb0EEEEDaS1M_S1N_EUlS1M_E_NS1_11comp_targetILNS1_3genE3ELNS1_11target_archE908ELNS1_3gpuE7ELNS1_3repE0EEENS1_30default_config_static_selectorELNS0_4arch9wavefront6targetE0EEEvSZ_: ; @_ZN7rocprim17ROCPRIM_400000_NS6detail17trampoline_kernelINS0_13select_configILj256ELj13ELNS0_17block_load_methodE3ELS4_3ELS4_3ELNS0_20block_scan_algorithmE0ELj4294967295EEENS1_25partition_config_selectorILNS1_17partition_subalgoE4EjNS0_10empty_typeEbEEZZNS1_14partition_implILS8_4ELb0ES6_15HIP_vector_typeIjLj2EENS0_17counting_iteratorIjlEEPS9_SG_NS0_5tupleIJPjSI_NS0_16reverse_iteratorISI_EEEEENSH_IJSG_SG_SG_EEES9_SI_JZNS1_25segmented_radix_sort_implINS0_14default_configELb1EPKlPlSQ_SR_N2at6native12_GLOBAL__N_18offset_tEEE10hipError_tPvRmT1_PNSt15iterator_traitsISZ_E10value_typeET2_T3_PNS10_IS15_E10value_typeET4_jRbjT5_S1B_jjP12ihipStream_tbEUljE_ZNSN_ISO_Lb1ESQ_SR_SQ_SR_SV_EESW_SX_SY_SZ_S13_S14_S15_S18_S19_jS1A_jS1B_S1B_jjS1D_bEUljE0_EEESW_SX_SY_S15_S19_S1B_T6_T7_T9_mT8_S1D_bDpT10_ENKUlT_T0_E_clISt17integral_constantIbLb1EES1Q_IbLb0EEEEDaS1M_S1N_EUlS1M_E_NS1_11comp_targetILNS1_3genE3ELNS1_11target_archE908ELNS1_3gpuE7ELNS1_3repE0EEENS1_30default_config_static_selectorELNS0_4arch9wavefront6targetE0EEEvSZ_
; %bb.0:
	.section	.rodata,"a",@progbits
	.p2align	6, 0x0
	.amdhsa_kernel _ZN7rocprim17ROCPRIM_400000_NS6detail17trampoline_kernelINS0_13select_configILj256ELj13ELNS0_17block_load_methodE3ELS4_3ELS4_3ELNS0_20block_scan_algorithmE0ELj4294967295EEENS1_25partition_config_selectorILNS1_17partition_subalgoE4EjNS0_10empty_typeEbEEZZNS1_14partition_implILS8_4ELb0ES6_15HIP_vector_typeIjLj2EENS0_17counting_iteratorIjlEEPS9_SG_NS0_5tupleIJPjSI_NS0_16reverse_iteratorISI_EEEEENSH_IJSG_SG_SG_EEES9_SI_JZNS1_25segmented_radix_sort_implINS0_14default_configELb1EPKlPlSQ_SR_N2at6native12_GLOBAL__N_18offset_tEEE10hipError_tPvRmT1_PNSt15iterator_traitsISZ_E10value_typeET2_T3_PNS10_IS15_E10value_typeET4_jRbjT5_S1B_jjP12ihipStream_tbEUljE_ZNSN_ISO_Lb1ESQ_SR_SQ_SR_SV_EESW_SX_SY_SZ_S13_S14_S15_S18_S19_jS1A_jS1B_S1B_jjS1D_bEUljE0_EEESW_SX_SY_S15_S19_S1B_T6_T7_T9_mT8_S1D_bDpT10_ENKUlT_T0_E_clISt17integral_constantIbLb1EES1Q_IbLb0EEEEDaS1M_S1N_EUlS1M_E_NS1_11comp_targetILNS1_3genE3ELNS1_11target_archE908ELNS1_3gpuE7ELNS1_3repE0EEENS1_30default_config_static_selectorELNS0_4arch9wavefront6targetE0EEEvSZ_
		.amdhsa_group_segment_fixed_size 0
		.amdhsa_private_segment_fixed_size 0
		.amdhsa_kernarg_size 176
		.amdhsa_user_sgpr_count 6
		.amdhsa_user_sgpr_private_segment_buffer 1
		.amdhsa_user_sgpr_dispatch_ptr 0
		.amdhsa_user_sgpr_queue_ptr 0
		.amdhsa_user_sgpr_kernarg_segment_ptr 1
		.amdhsa_user_sgpr_dispatch_id 0
		.amdhsa_user_sgpr_flat_scratch_init 0
		.amdhsa_user_sgpr_private_segment_size 0
		.amdhsa_wavefront_size32 1
		.amdhsa_uses_dynamic_stack 0
		.amdhsa_system_sgpr_private_segment_wavefront_offset 0
		.amdhsa_system_sgpr_workgroup_id_x 1
		.amdhsa_system_sgpr_workgroup_id_y 0
		.amdhsa_system_sgpr_workgroup_id_z 0
		.amdhsa_system_sgpr_workgroup_info 0
		.amdhsa_system_vgpr_workitem_id 0
		.amdhsa_next_free_vgpr 1
		.amdhsa_next_free_sgpr 1
		.amdhsa_reserve_vcc 0
		.amdhsa_reserve_flat_scratch 0
		.amdhsa_float_round_mode_32 0
		.amdhsa_float_round_mode_16_64 0
		.amdhsa_float_denorm_mode_32 3
		.amdhsa_float_denorm_mode_16_64 3
		.amdhsa_dx10_clamp 1
		.amdhsa_ieee_mode 1
		.amdhsa_fp16_overflow 0
		.amdhsa_workgroup_processor_mode 1
		.amdhsa_memory_ordered 1
		.amdhsa_forward_progress 1
		.amdhsa_shared_vgpr_count 0
		.amdhsa_exception_fp_ieee_invalid_op 0
		.amdhsa_exception_fp_denorm_src 0
		.amdhsa_exception_fp_ieee_div_zero 0
		.amdhsa_exception_fp_ieee_overflow 0
		.amdhsa_exception_fp_ieee_underflow 0
		.amdhsa_exception_fp_ieee_inexact 0
		.amdhsa_exception_int_div_zero 0
	.end_amdhsa_kernel
	.section	.text._ZN7rocprim17ROCPRIM_400000_NS6detail17trampoline_kernelINS0_13select_configILj256ELj13ELNS0_17block_load_methodE3ELS4_3ELS4_3ELNS0_20block_scan_algorithmE0ELj4294967295EEENS1_25partition_config_selectorILNS1_17partition_subalgoE4EjNS0_10empty_typeEbEEZZNS1_14partition_implILS8_4ELb0ES6_15HIP_vector_typeIjLj2EENS0_17counting_iteratorIjlEEPS9_SG_NS0_5tupleIJPjSI_NS0_16reverse_iteratorISI_EEEEENSH_IJSG_SG_SG_EEES9_SI_JZNS1_25segmented_radix_sort_implINS0_14default_configELb1EPKlPlSQ_SR_N2at6native12_GLOBAL__N_18offset_tEEE10hipError_tPvRmT1_PNSt15iterator_traitsISZ_E10value_typeET2_T3_PNS10_IS15_E10value_typeET4_jRbjT5_S1B_jjP12ihipStream_tbEUljE_ZNSN_ISO_Lb1ESQ_SR_SQ_SR_SV_EESW_SX_SY_SZ_S13_S14_S15_S18_S19_jS1A_jS1B_S1B_jjS1D_bEUljE0_EEESW_SX_SY_S15_S19_S1B_T6_T7_T9_mT8_S1D_bDpT10_ENKUlT_T0_E_clISt17integral_constantIbLb1EES1Q_IbLb0EEEEDaS1M_S1N_EUlS1M_E_NS1_11comp_targetILNS1_3genE3ELNS1_11target_archE908ELNS1_3gpuE7ELNS1_3repE0EEENS1_30default_config_static_selectorELNS0_4arch9wavefront6targetE0EEEvSZ_,"axG",@progbits,_ZN7rocprim17ROCPRIM_400000_NS6detail17trampoline_kernelINS0_13select_configILj256ELj13ELNS0_17block_load_methodE3ELS4_3ELS4_3ELNS0_20block_scan_algorithmE0ELj4294967295EEENS1_25partition_config_selectorILNS1_17partition_subalgoE4EjNS0_10empty_typeEbEEZZNS1_14partition_implILS8_4ELb0ES6_15HIP_vector_typeIjLj2EENS0_17counting_iteratorIjlEEPS9_SG_NS0_5tupleIJPjSI_NS0_16reverse_iteratorISI_EEEEENSH_IJSG_SG_SG_EEES9_SI_JZNS1_25segmented_radix_sort_implINS0_14default_configELb1EPKlPlSQ_SR_N2at6native12_GLOBAL__N_18offset_tEEE10hipError_tPvRmT1_PNSt15iterator_traitsISZ_E10value_typeET2_T3_PNS10_IS15_E10value_typeET4_jRbjT5_S1B_jjP12ihipStream_tbEUljE_ZNSN_ISO_Lb1ESQ_SR_SQ_SR_SV_EESW_SX_SY_SZ_S13_S14_S15_S18_S19_jS1A_jS1B_S1B_jjS1D_bEUljE0_EEESW_SX_SY_S15_S19_S1B_T6_T7_T9_mT8_S1D_bDpT10_ENKUlT_T0_E_clISt17integral_constantIbLb1EES1Q_IbLb0EEEEDaS1M_S1N_EUlS1M_E_NS1_11comp_targetILNS1_3genE3ELNS1_11target_archE908ELNS1_3gpuE7ELNS1_3repE0EEENS1_30default_config_static_selectorELNS0_4arch9wavefront6targetE0EEEvSZ_,comdat
.Lfunc_end653:
	.size	_ZN7rocprim17ROCPRIM_400000_NS6detail17trampoline_kernelINS0_13select_configILj256ELj13ELNS0_17block_load_methodE3ELS4_3ELS4_3ELNS0_20block_scan_algorithmE0ELj4294967295EEENS1_25partition_config_selectorILNS1_17partition_subalgoE4EjNS0_10empty_typeEbEEZZNS1_14partition_implILS8_4ELb0ES6_15HIP_vector_typeIjLj2EENS0_17counting_iteratorIjlEEPS9_SG_NS0_5tupleIJPjSI_NS0_16reverse_iteratorISI_EEEEENSH_IJSG_SG_SG_EEES9_SI_JZNS1_25segmented_radix_sort_implINS0_14default_configELb1EPKlPlSQ_SR_N2at6native12_GLOBAL__N_18offset_tEEE10hipError_tPvRmT1_PNSt15iterator_traitsISZ_E10value_typeET2_T3_PNS10_IS15_E10value_typeET4_jRbjT5_S1B_jjP12ihipStream_tbEUljE_ZNSN_ISO_Lb1ESQ_SR_SQ_SR_SV_EESW_SX_SY_SZ_S13_S14_S15_S18_S19_jS1A_jS1B_S1B_jjS1D_bEUljE0_EEESW_SX_SY_S15_S19_S1B_T6_T7_T9_mT8_S1D_bDpT10_ENKUlT_T0_E_clISt17integral_constantIbLb1EES1Q_IbLb0EEEEDaS1M_S1N_EUlS1M_E_NS1_11comp_targetILNS1_3genE3ELNS1_11target_archE908ELNS1_3gpuE7ELNS1_3repE0EEENS1_30default_config_static_selectorELNS0_4arch9wavefront6targetE0EEEvSZ_, .Lfunc_end653-_ZN7rocprim17ROCPRIM_400000_NS6detail17trampoline_kernelINS0_13select_configILj256ELj13ELNS0_17block_load_methodE3ELS4_3ELS4_3ELNS0_20block_scan_algorithmE0ELj4294967295EEENS1_25partition_config_selectorILNS1_17partition_subalgoE4EjNS0_10empty_typeEbEEZZNS1_14partition_implILS8_4ELb0ES6_15HIP_vector_typeIjLj2EENS0_17counting_iteratorIjlEEPS9_SG_NS0_5tupleIJPjSI_NS0_16reverse_iteratorISI_EEEEENSH_IJSG_SG_SG_EEES9_SI_JZNS1_25segmented_radix_sort_implINS0_14default_configELb1EPKlPlSQ_SR_N2at6native12_GLOBAL__N_18offset_tEEE10hipError_tPvRmT1_PNSt15iterator_traitsISZ_E10value_typeET2_T3_PNS10_IS15_E10value_typeET4_jRbjT5_S1B_jjP12ihipStream_tbEUljE_ZNSN_ISO_Lb1ESQ_SR_SQ_SR_SV_EESW_SX_SY_SZ_S13_S14_S15_S18_S19_jS1A_jS1B_S1B_jjS1D_bEUljE0_EEESW_SX_SY_S15_S19_S1B_T6_T7_T9_mT8_S1D_bDpT10_ENKUlT_T0_E_clISt17integral_constantIbLb1EES1Q_IbLb0EEEEDaS1M_S1N_EUlS1M_E_NS1_11comp_targetILNS1_3genE3ELNS1_11target_archE908ELNS1_3gpuE7ELNS1_3repE0EEENS1_30default_config_static_selectorELNS0_4arch9wavefront6targetE0EEEvSZ_
                                        ; -- End function
	.set _ZN7rocprim17ROCPRIM_400000_NS6detail17trampoline_kernelINS0_13select_configILj256ELj13ELNS0_17block_load_methodE3ELS4_3ELS4_3ELNS0_20block_scan_algorithmE0ELj4294967295EEENS1_25partition_config_selectorILNS1_17partition_subalgoE4EjNS0_10empty_typeEbEEZZNS1_14partition_implILS8_4ELb0ES6_15HIP_vector_typeIjLj2EENS0_17counting_iteratorIjlEEPS9_SG_NS0_5tupleIJPjSI_NS0_16reverse_iteratorISI_EEEEENSH_IJSG_SG_SG_EEES9_SI_JZNS1_25segmented_radix_sort_implINS0_14default_configELb1EPKlPlSQ_SR_N2at6native12_GLOBAL__N_18offset_tEEE10hipError_tPvRmT1_PNSt15iterator_traitsISZ_E10value_typeET2_T3_PNS10_IS15_E10value_typeET4_jRbjT5_S1B_jjP12ihipStream_tbEUljE_ZNSN_ISO_Lb1ESQ_SR_SQ_SR_SV_EESW_SX_SY_SZ_S13_S14_S15_S18_S19_jS1A_jS1B_S1B_jjS1D_bEUljE0_EEESW_SX_SY_S15_S19_S1B_T6_T7_T9_mT8_S1D_bDpT10_ENKUlT_T0_E_clISt17integral_constantIbLb1EES1Q_IbLb0EEEEDaS1M_S1N_EUlS1M_E_NS1_11comp_targetILNS1_3genE3ELNS1_11target_archE908ELNS1_3gpuE7ELNS1_3repE0EEENS1_30default_config_static_selectorELNS0_4arch9wavefront6targetE0EEEvSZ_.num_vgpr, 0
	.set _ZN7rocprim17ROCPRIM_400000_NS6detail17trampoline_kernelINS0_13select_configILj256ELj13ELNS0_17block_load_methodE3ELS4_3ELS4_3ELNS0_20block_scan_algorithmE0ELj4294967295EEENS1_25partition_config_selectorILNS1_17partition_subalgoE4EjNS0_10empty_typeEbEEZZNS1_14partition_implILS8_4ELb0ES6_15HIP_vector_typeIjLj2EENS0_17counting_iteratorIjlEEPS9_SG_NS0_5tupleIJPjSI_NS0_16reverse_iteratorISI_EEEEENSH_IJSG_SG_SG_EEES9_SI_JZNS1_25segmented_radix_sort_implINS0_14default_configELb1EPKlPlSQ_SR_N2at6native12_GLOBAL__N_18offset_tEEE10hipError_tPvRmT1_PNSt15iterator_traitsISZ_E10value_typeET2_T3_PNS10_IS15_E10value_typeET4_jRbjT5_S1B_jjP12ihipStream_tbEUljE_ZNSN_ISO_Lb1ESQ_SR_SQ_SR_SV_EESW_SX_SY_SZ_S13_S14_S15_S18_S19_jS1A_jS1B_S1B_jjS1D_bEUljE0_EEESW_SX_SY_S15_S19_S1B_T6_T7_T9_mT8_S1D_bDpT10_ENKUlT_T0_E_clISt17integral_constantIbLb1EES1Q_IbLb0EEEEDaS1M_S1N_EUlS1M_E_NS1_11comp_targetILNS1_3genE3ELNS1_11target_archE908ELNS1_3gpuE7ELNS1_3repE0EEENS1_30default_config_static_selectorELNS0_4arch9wavefront6targetE0EEEvSZ_.num_agpr, 0
	.set _ZN7rocprim17ROCPRIM_400000_NS6detail17trampoline_kernelINS0_13select_configILj256ELj13ELNS0_17block_load_methodE3ELS4_3ELS4_3ELNS0_20block_scan_algorithmE0ELj4294967295EEENS1_25partition_config_selectorILNS1_17partition_subalgoE4EjNS0_10empty_typeEbEEZZNS1_14partition_implILS8_4ELb0ES6_15HIP_vector_typeIjLj2EENS0_17counting_iteratorIjlEEPS9_SG_NS0_5tupleIJPjSI_NS0_16reverse_iteratorISI_EEEEENSH_IJSG_SG_SG_EEES9_SI_JZNS1_25segmented_radix_sort_implINS0_14default_configELb1EPKlPlSQ_SR_N2at6native12_GLOBAL__N_18offset_tEEE10hipError_tPvRmT1_PNSt15iterator_traitsISZ_E10value_typeET2_T3_PNS10_IS15_E10value_typeET4_jRbjT5_S1B_jjP12ihipStream_tbEUljE_ZNSN_ISO_Lb1ESQ_SR_SQ_SR_SV_EESW_SX_SY_SZ_S13_S14_S15_S18_S19_jS1A_jS1B_S1B_jjS1D_bEUljE0_EEESW_SX_SY_S15_S19_S1B_T6_T7_T9_mT8_S1D_bDpT10_ENKUlT_T0_E_clISt17integral_constantIbLb1EES1Q_IbLb0EEEEDaS1M_S1N_EUlS1M_E_NS1_11comp_targetILNS1_3genE3ELNS1_11target_archE908ELNS1_3gpuE7ELNS1_3repE0EEENS1_30default_config_static_selectorELNS0_4arch9wavefront6targetE0EEEvSZ_.numbered_sgpr, 0
	.set _ZN7rocprim17ROCPRIM_400000_NS6detail17trampoline_kernelINS0_13select_configILj256ELj13ELNS0_17block_load_methodE3ELS4_3ELS4_3ELNS0_20block_scan_algorithmE0ELj4294967295EEENS1_25partition_config_selectorILNS1_17partition_subalgoE4EjNS0_10empty_typeEbEEZZNS1_14partition_implILS8_4ELb0ES6_15HIP_vector_typeIjLj2EENS0_17counting_iteratorIjlEEPS9_SG_NS0_5tupleIJPjSI_NS0_16reverse_iteratorISI_EEEEENSH_IJSG_SG_SG_EEES9_SI_JZNS1_25segmented_radix_sort_implINS0_14default_configELb1EPKlPlSQ_SR_N2at6native12_GLOBAL__N_18offset_tEEE10hipError_tPvRmT1_PNSt15iterator_traitsISZ_E10value_typeET2_T3_PNS10_IS15_E10value_typeET4_jRbjT5_S1B_jjP12ihipStream_tbEUljE_ZNSN_ISO_Lb1ESQ_SR_SQ_SR_SV_EESW_SX_SY_SZ_S13_S14_S15_S18_S19_jS1A_jS1B_S1B_jjS1D_bEUljE0_EEESW_SX_SY_S15_S19_S1B_T6_T7_T9_mT8_S1D_bDpT10_ENKUlT_T0_E_clISt17integral_constantIbLb1EES1Q_IbLb0EEEEDaS1M_S1N_EUlS1M_E_NS1_11comp_targetILNS1_3genE3ELNS1_11target_archE908ELNS1_3gpuE7ELNS1_3repE0EEENS1_30default_config_static_selectorELNS0_4arch9wavefront6targetE0EEEvSZ_.num_named_barrier, 0
	.set _ZN7rocprim17ROCPRIM_400000_NS6detail17trampoline_kernelINS0_13select_configILj256ELj13ELNS0_17block_load_methodE3ELS4_3ELS4_3ELNS0_20block_scan_algorithmE0ELj4294967295EEENS1_25partition_config_selectorILNS1_17partition_subalgoE4EjNS0_10empty_typeEbEEZZNS1_14partition_implILS8_4ELb0ES6_15HIP_vector_typeIjLj2EENS0_17counting_iteratorIjlEEPS9_SG_NS0_5tupleIJPjSI_NS0_16reverse_iteratorISI_EEEEENSH_IJSG_SG_SG_EEES9_SI_JZNS1_25segmented_radix_sort_implINS0_14default_configELb1EPKlPlSQ_SR_N2at6native12_GLOBAL__N_18offset_tEEE10hipError_tPvRmT1_PNSt15iterator_traitsISZ_E10value_typeET2_T3_PNS10_IS15_E10value_typeET4_jRbjT5_S1B_jjP12ihipStream_tbEUljE_ZNSN_ISO_Lb1ESQ_SR_SQ_SR_SV_EESW_SX_SY_SZ_S13_S14_S15_S18_S19_jS1A_jS1B_S1B_jjS1D_bEUljE0_EEESW_SX_SY_S15_S19_S1B_T6_T7_T9_mT8_S1D_bDpT10_ENKUlT_T0_E_clISt17integral_constantIbLb1EES1Q_IbLb0EEEEDaS1M_S1N_EUlS1M_E_NS1_11comp_targetILNS1_3genE3ELNS1_11target_archE908ELNS1_3gpuE7ELNS1_3repE0EEENS1_30default_config_static_selectorELNS0_4arch9wavefront6targetE0EEEvSZ_.private_seg_size, 0
	.set _ZN7rocprim17ROCPRIM_400000_NS6detail17trampoline_kernelINS0_13select_configILj256ELj13ELNS0_17block_load_methodE3ELS4_3ELS4_3ELNS0_20block_scan_algorithmE0ELj4294967295EEENS1_25partition_config_selectorILNS1_17partition_subalgoE4EjNS0_10empty_typeEbEEZZNS1_14partition_implILS8_4ELb0ES6_15HIP_vector_typeIjLj2EENS0_17counting_iteratorIjlEEPS9_SG_NS0_5tupleIJPjSI_NS0_16reverse_iteratorISI_EEEEENSH_IJSG_SG_SG_EEES9_SI_JZNS1_25segmented_radix_sort_implINS0_14default_configELb1EPKlPlSQ_SR_N2at6native12_GLOBAL__N_18offset_tEEE10hipError_tPvRmT1_PNSt15iterator_traitsISZ_E10value_typeET2_T3_PNS10_IS15_E10value_typeET4_jRbjT5_S1B_jjP12ihipStream_tbEUljE_ZNSN_ISO_Lb1ESQ_SR_SQ_SR_SV_EESW_SX_SY_SZ_S13_S14_S15_S18_S19_jS1A_jS1B_S1B_jjS1D_bEUljE0_EEESW_SX_SY_S15_S19_S1B_T6_T7_T9_mT8_S1D_bDpT10_ENKUlT_T0_E_clISt17integral_constantIbLb1EES1Q_IbLb0EEEEDaS1M_S1N_EUlS1M_E_NS1_11comp_targetILNS1_3genE3ELNS1_11target_archE908ELNS1_3gpuE7ELNS1_3repE0EEENS1_30default_config_static_selectorELNS0_4arch9wavefront6targetE0EEEvSZ_.uses_vcc, 0
	.set _ZN7rocprim17ROCPRIM_400000_NS6detail17trampoline_kernelINS0_13select_configILj256ELj13ELNS0_17block_load_methodE3ELS4_3ELS4_3ELNS0_20block_scan_algorithmE0ELj4294967295EEENS1_25partition_config_selectorILNS1_17partition_subalgoE4EjNS0_10empty_typeEbEEZZNS1_14partition_implILS8_4ELb0ES6_15HIP_vector_typeIjLj2EENS0_17counting_iteratorIjlEEPS9_SG_NS0_5tupleIJPjSI_NS0_16reverse_iteratorISI_EEEEENSH_IJSG_SG_SG_EEES9_SI_JZNS1_25segmented_radix_sort_implINS0_14default_configELb1EPKlPlSQ_SR_N2at6native12_GLOBAL__N_18offset_tEEE10hipError_tPvRmT1_PNSt15iterator_traitsISZ_E10value_typeET2_T3_PNS10_IS15_E10value_typeET4_jRbjT5_S1B_jjP12ihipStream_tbEUljE_ZNSN_ISO_Lb1ESQ_SR_SQ_SR_SV_EESW_SX_SY_SZ_S13_S14_S15_S18_S19_jS1A_jS1B_S1B_jjS1D_bEUljE0_EEESW_SX_SY_S15_S19_S1B_T6_T7_T9_mT8_S1D_bDpT10_ENKUlT_T0_E_clISt17integral_constantIbLb1EES1Q_IbLb0EEEEDaS1M_S1N_EUlS1M_E_NS1_11comp_targetILNS1_3genE3ELNS1_11target_archE908ELNS1_3gpuE7ELNS1_3repE0EEENS1_30default_config_static_selectorELNS0_4arch9wavefront6targetE0EEEvSZ_.uses_flat_scratch, 0
	.set _ZN7rocprim17ROCPRIM_400000_NS6detail17trampoline_kernelINS0_13select_configILj256ELj13ELNS0_17block_load_methodE3ELS4_3ELS4_3ELNS0_20block_scan_algorithmE0ELj4294967295EEENS1_25partition_config_selectorILNS1_17partition_subalgoE4EjNS0_10empty_typeEbEEZZNS1_14partition_implILS8_4ELb0ES6_15HIP_vector_typeIjLj2EENS0_17counting_iteratorIjlEEPS9_SG_NS0_5tupleIJPjSI_NS0_16reverse_iteratorISI_EEEEENSH_IJSG_SG_SG_EEES9_SI_JZNS1_25segmented_radix_sort_implINS0_14default_configELb1EPKlPlSQ_SR_N2at6native12_GLOBAL__N_18offset_tEEE10hipError_tPvRmT1_PNSt15iterator_traitsISZ_E10value_typeET2_T3_PNS10_IS15_E10value_typeET4_jRbjT5_S1B_jjP12ihipStream_tbEUljE_ZNSN_ISO_Lb1ESQ_SR_SQ_SR_SV_EESW_SX_SY_SZ_S13_S14_S15_S18_S19_jS1A_jS1B_S1B_jjS1D_bEUljE0_EEESW_SX_SY_S15_S19_S1B_T6_T7_T9_mT8_S1D_bDpT10_ENKUlT_T0_E_clISt17integral_constantIbLb1EES1Q_IbLb0EEEEDaS1M_S1N_EUlS1M_E_NS1_11comp_targetILNS1_3genE3ELNS1_11target_archE908ELNS1_3gpuE7ELNS1_3repE0EEENS1_30default_config_static_selectorELNS0_4arch9wavefront6targetE0EEEvSZ_.has_dyn_sized_stack, 0
	.set _ZN7rocprim17ROCPRIM_400000_NS6detail17trampoline_kernelINS0_13select_configILj256ELj13ELNS0_17block_load_methodE3ELS4_3ELS4_3ELNS0_20block_scan_algorithmE0ELj4294967295EEENS1_25partition_config_selectorILNS1_17partition_subalgoE4EjNS0_10empty_typeEbEEZZNS1_14partition_implILS8_4ELb0ES6_15HIP_vector_typeIjLj2EENS0_17counting_iteratorIjlEEPS9_SG_NS0_5tupleIJPjSI_NS0_16reverse_iteratorISI_EEEEENSH_IJSG_SG_SG_EEES9_SI_JZNS1_25segmented_radix_sort_implINS0_14default_configELb1EPKlPlSQ_SR_N2at6native12_GLOBAL__N_18offset_tEEE10hipError_tPvRmT1_PNSt15iterator_traitsISZ_E10value_typeET2_T3_PNS10_IS15_E10value_typeET4_jRbjT5_S1B_jjP12ihipStream_tbEUljE_ZNSN_ISO_Lb1ESQ_SR_SQ_SR_SV_EESW_SX_SY_SZ_S13_S14_S15_S18_S19_jS1A_jS1B_S1B_jjS1D_bEUljE0_EEESW_SX_SY_S15_S19_S1B_T6_T7_T9_mT8_S1D_bDpT10_ENKUlT_T0_E_clISt17integral_constantIbLb1EES1Q_IbLb0EEEEDaS1M_S1N_EUlS1M_E_NS1_11comp_targetILNS1_3genE3ELNS1_11target_archE908ELNS1_3gpuE7ELNS1_3repE0EEENS1_30default_config_static_selectorELNS0_4arch9wavefront6targetE0EEEvSZ_.has_recursion, 0
	.set _ZN7rocprim17ROCPRIM_400000_NS6detail17trampoline_kernelINS0_13select_configILj256ELj13ELNS0_17block_load_methodE3ELS4_3ELS4_3ELNS0_20block_scan_algorithmE0ELj4294967295EEENS1_25partition_config_selectorILNS1_17partition_subalgoE4EjNS0_10empty_typeEbEEZZNS1_14partition_implILS8_4ELb0ES6_15HIP_vector_typeIjLj2EENS0_17counting_iteratorIjlEEPS9_SG_NS0_5tupleIJPjSI_NS0_16reverse_iteratorISI_EEEEENSH_IJSG_SG_SG_EEES9_SI_JZNS1_25segmented_radix_sort_implINS0_14default_configELb1EPKlPlSQ_SR_N2at6native12_GLOBAL__N_18offset_tEEE10hipError_tPvRmT1_PNSt15iterator_traitsISZ_E10value_typeET2_T3_PNS10_IS15_E10value_typeET4_jRbjT5_S1B_jjP12ihipStream_tbEUljE_ZNSN_ISO_Lb1ESQ_SR_SQ_SR_SV_EESW_SX_SY_SZ_S13_S14_S15_S18_S19_jS1A_jS1B_S1B_jjS1D_bEUljE0_EEESW_SX_SY_S15_S19_S1B_T6_T7_T9_mT8_S1D_bDpT10_ENKUlT_T0_E_clISt17integral_constantIbLb1EES1Q_IbLb0EEEEDaS1M_S1N_EUlS1M_E_NS1_11comp_targetILNS1_3genE3ELNS1_11target_archE908ELNS1_3gpuE7ELNS1_3repE0EEENS1_30default_config_static_selectorELNS0_4arch9wavefront6targetE0EEEvSZ_.has_indirect_call, 0
	.section	.AMDGPU.csdata,"",@progbits
; Kernel info:
; codeLenInByte = 0
; TotalNumSgprs: 0
; NumVgprs: 0
; ScratchSize: 0
; MemoryBound: 0
; FloatMode: 240
; IeeeMode: 1
; LDSByteSize: 0 bytes/workgroup (compile time only)
; SGPRBlocks: 0
; VGPRBlocks: 0
; NumSGPRsForWavesPerEU: 1
; NumVGPRsForWavesPerEU: 1
; Occupancy: 16
; WaveLimiterHint : 0
; COMPUTE_PGM_RSRC2:SCRATCH_EN: 0
; COMPUTE_PGM_RSRC2:USER_SGPR: 6
; COMPUTE_PGM_RSRC2:TRAP_HANDLER: 0
; COMPUTE_PGM_RSRC2:TGID_X_EN: 1
; COMPUTE_PGM_RSRC2:TGID_Y_EN: 0
; COMPUTE_PGM_RSRC2:TGID_Z_EN: 0
; COMPUTE_PGM_RSRC2:TIDIG_COMP_CNT: 0
	.section	.text._ZN7rocprim17ROCPRIM_400000_NS6detail17trampoline_kernelINS0_13select_configILj256ELj13ELNS0_17block_load_methodE3ELS4_3ELS4_3ELNS0_20block_scan_algorithmE0ELj4294967295EEENS1_25partition_config_selectorILNS1_17partition_subalgoE4EjNS0_10empty_typeEbEEZZNS1_14partition_implILS8_4ELb0ES6_15HIP_vector_typeIjLj2EENS0_17counting_iteratorIjlEEPS9_SG_NS0_5tupleIJPjSI_NS0_16reverse_iteratorISI_EEEEENSH_IJSG_SG_SG_EEES9_SI_JZNS1_25segmented_radix_sort_implINS0_14default_configELb1EPKlPlSQ_SR_N2at6native12_GLOBAL__N_18offset_tEEE10hipError_tPvRmT1_PNSt15iterator_traitsISZ_E10value_typeET2_T3_PNS10_IS15_E10value_typeET4_jRbjT5_S1B_jjP12ihipStream_tbEUljE_ZNSN_ISO_Lb1ESQ_SR_SQ_SR_SV_EESW_SX_SY_SZ_S13_S14_S15_S18_S19_jS1A_jS1B_S1B_jjS1D_bEUljE0_EEESW_SX_SY_S15_S19_S1B_T6_T7_T9_mT8_S1D_bDpT10_ENKUlT_T0_E_clISt17integral_constantIbLb1EES1Q_IbLb0EEEEDaS1M_S1N_EUlS1M_E_NS1_11comp_targetILNS1_3genE2ELNS1_11target_archE906ELNS1_3gpuE6ELNS1_3repE0EEENS1_30default_config_static_selectorELNS0_4arch9wavefront6targetE0EEEvSZ_,"axG",@progbits,_ZN7rocprim17ROCPRIM_400000_NS6detail17trampoline_kernelINS0_13select_configILj256ELj13ELNS0_17block_load_methodE3ELS4_3ELS4_3ELNS0_20block_scan_algorithmE0ELj4294967295EEENS1_25partition_config_selectorILNS1_17partition_subalgoE4EjNS0_10empty_typeEbEEZZNS1_14partition_implILS8_4ELb0ES6_15HIP_vector_typeIjLj2EENS0_17counting_iteratorIjlEEPS9_SG_NS0_5tupleIJPjSI_NS0_16reverse_iteratorISI_EEEEENSH_IJSG_SG_SG_EEES9_SI_JZNS1_25segmented_radix_sort_implINS0_14default_configELb1EPKlPlSQ_SR_N2at6native12_GLOBAL__N_18offset_tEEE10hipError_tPvRmT1_PNSt15iterator_traitsISZ_E10value_typeET2_T3_PNS10_IS15_E10value_typeET4_jRbjT5_S1B_jjP12ihipStream_tbEUljE_ZNSN_ISO_Lb1ESQ_SR_SQ_SR_SV_EESW_SX_SY_SZ_S13_S14_S15_S18_S19_jS1A_jS1B_S1B_jjS1D_bEUljE0_EEESW_SX_SY_S15_S19_S1B_T6_T7_T9_mT8_S1D_bDpT10_ENKUlT_T0_E_clISt17integral_constantIbLb1EES1Q_IbLb0EEEEDaS1M_S1N_EUlS1M_E_NS1_11comp_targetILNS1_3genE2ELNS1_11target_archE906ELNS1_3gpuE6ELNS1_3repE0EEENS1_30default_config_static_selectorELNS0_4arch9wavefront6targetE0EEEvSZ_,comdat
	.globl	_ZN7rocprim17ROCPRIM_400000_NS6detail17trampoline_kernelINS0_13select_configILj256ELj13ELNS0_17block_load_methodE3ELS4_3ELS4_3ELNS0_20block_scan_algorithmE0ELj4294967295EEENS1_25partition_config_selectorILNS1_17partition_subalgoE4EjNS0_10empty_typeEbEEZZNS1_14partition_implILS8_4ELb0ES6_15HIP_vector_typeIjLj2EENS0_17counting_iteratorIjlEEPS9_SG_NS0_5tupleIJPjSI_NS0_16reverse_iteratorISI_EEEEENSH_IJSG_SG_SG_EEES9_SI_JZNS1_25segmented_radix_sort_implINS0_14default_configELb1EPKlPlSQ_SR_N2at6native12_GLOBAL__N_18offset_tEEE10hipError_tPvRmT1_PNSt15iterator_traitsISZ_E10value_typeET2_T3_PNS10_IS15_E10value_typeET4_jRbjT5_S1B_jjP12ihipStream_tbEUljE_ZNSN_ISO_Lb1ESQ_SR_SQ_SR_SV_EESW_SX_SY_SZ_S13_S14_S15_S18_S19_jS1A_jS1B_S1B_jjS1D_bEUljE0_EEESW_SX_SY_S15_S19_S1B_T6_T7_T9_mT8_S1D_bDpT10_ENKUlT_T0_E_clISt17integral_constantIbLb1EES1Q_IbLb0EEEEDaS1M_S1N_EUlS1M_E_NS1_11comp_targetILNS1_3genE2ELNS1_11target_archE906ELNS1_3gpuE6ELNS1_3repE0EEENS1_30default_config_static_selectorELNS0_4arch9wavefront6targetE0EEEvSZ_ ; -- Begin function _ZN7rocprim17ROCPRIM_400000_NS6detail17trampoline_kernelINS0_13select_configILj256ELj13ELNS0_17block_load_methodE3ELS4_3ELS4_3ELNS0_20block_scan_algorithmE0ELj4294967295EEENS1_25partition_config_selectorILNS1_17partition_subalgoE4EjNS0_10empty_typeEbEEZZNS1_14partition_implILS8_4ELb0ES6_15HIP_vector_typeIjLj2EENS0_17counting_iteratorIjlEEPS9_SG_NS0_5tupleIJPjSI_NS0_16reverse_iteratorISI_EEEEENSH_IJSG_SG_SG_EEES9_SI_JZNS1_25segmented_radix_sort_implINS0_14default_configELb1EPKlPlSQ_SR_N2at6native12_GLOBAL__N_18offset_tEEE10hipError_tPvRmT1_PNSt15iterator_traitsISZ_E10value_typeET2_T3_PNS10_IS15_E10value_typeET4_jRbjT5_S1B_jjP12ihipStream_tbEUljE_ZNSN_ISO_Lb1ESQ_SR_SQ_SR_SV_EESW_SX_SY_SZ_S13_S14_S15_S18_S19_jS1A_jS1B_S1B_jjS1D_bEUljE0_EEESW_SX_SY_S15_S19_S1B_T6_T7_T9_mT8_S1D_bDpT10_ENKUlT_T0_E_clISt17integral_constantIbLb1EES1Q_IbLb0EEEEDaS1M_S1N_EUlS1M_E_NS1_11comp_targetILNS1_3genE2ELNS1_11target_archE906ELNS1_3gpuE6ELNS1_3repE0EEENS1_30default_config_static_selectorELNS0_4arch9wavefront6targetE0EEEvSZ_
	.p2align	8
	.type	_ZN7rocprim17ROCPRIM_400000_NS6detail17trampoline_kernelINS0_13select_configILj256ELj13ELNS0_17block_load_methodE3ELS4_3ELS4_3ELNS0_20block_scan_algorithmE0ELj4294967295EEENS1_25partition_config_selectorILNS1_17partition_subalgoE4EjNS0_10empty_typeEbEEZZNS1_14partition_implILS8_4ELb0ES6_15HIP_vector_typeIjLj2EENS0_17counting_iteratorIjlEEPS9_SG_NS0_5tupleIJPjSI_NS0_16reverse_iteratorISI_EEEEENSH_IJSG_SG_SG_EEES9_SI_JZNS1_25segmented_radix_sort_implINS0_14default_configELb1EPKlPlSQ_SR_N2at6native12_GLOBAL__N_18offset_tEEE10hipError_tPvRmT1_PNSt15iterator_traitsISZ_E10value_typeET2_T3_PNS10_IS15_E10value_typeET4_jRbjT5_S1B_jjP12ihipStream_tbEUljE_ZNSN_ISO_Lb1ESQ_SR_SQ_SR_SV_EESW_SX_SY_SZ_S13_S14_S15_S18_S19_jS1A_jS1B_S1B_jjS1D_bEUljE0_EEESW_SX_SY_S15_S19_S1B_T6_T7_T9_mT8_S1D_bDpT10_ENKUlT_T0_E_clISt17integral_constantIbLb1EES1Q_IbLb0EEEEDaS1M_S1N_EUlS1M_E_NS1_11comp_targetILNS1_3genE2ELNS1_11target_archE906ELNS1_3gpuE6ELNS1_3repE0EEENS1_30default_config_static_selectorELNS0_4arch9wavefront6targetE0EEEvSZ_,@function
_ZN7rocprim17ROCPRIM_400000_NS6detail17trampoline_kernelINS0_13select_configILj256ELj13ELNS0_17block_load_methodE3ELS4_3ELS4_3ELNS0_20block_scan_algorithmE0ELj4294967295EEENS1_25partition_config_selectorILNS1_17partition_subalgoE4EjNS0_10empty_typeEbEEZZNS1_14partition_implILS8_4ELb0ES6_15HIP_vector_typeIjLj2EENS0_17counting_iteratorIjlEEPS9_SG_NS0_5tupleIJPjSI_NS0_16reverse_iteratorISI_EEEEENSH_IJSG_SG_SG_EEES9_SI_JZNS1_25segmented_radix_sort_implINS0_14default_configELb1EPKlPlSQ_SR_N2at6native12_GLOBAL__N_18offset_tEEE10hipError_tPvRmT1_PNSt15iterator_traitsISZ_E10value_typeET2_T3_PNS10_IS15_E10value_typeET4_jRbjT5_S1B_jjP12ihipStream_tbEUljE_ZNSN_ISO_Lb1ESQ_SR_SQ_SR_SV_EESW_SX_SY_SZ_S13_S14_S15_S18_S19_jS1A_jS1B_S1B_jjS1D_bEUljE0_EEESW_SX_SY_S15_S19_S1B_T6_T7_T9_mT8_S1D_bDpT10_ENKUlT_T0_E_clISt17integral_constantIbLb1EES1Q_IbLb0EEEEDaS1M_S1N_EUlS1M_E_NS1_11comp_targetILNS1_3genE2ELNS1_11target_archE906ELNS1_3gpuE6ELNS1_3repE0EEENS1_30default_config_static_selectorELNS0_4arch9wavefront6targetE0EEEvSZ_: ; @_ZN7rocprim17ROCPRIM_400000_NS6detail17trampoline_kernelINS0_13select_configILj256ELj13ELNS0_17block_load_methodE3ELS4_3ELS4_3ELNS0_20block_scan_algorithmE0ELj4294967295EEENS1_25partition_config_selectorILNS1_17partition_subalgoE4EjNS0_10empty_typeEbEEZZNS1_14partition_implILS8_4ELb0ES6_15HIP_vector_typeIjLj2EENS0_17counting_iteratorIjlEEPS9_SG_NS0_5tupleIJPjSI_NS0_16reverse_iteratorISI_EEEEENSH_IJSG_SG_SG_EEES9_SI_JZNS1_25segmented_radix_sort_implINS0_14default_configELb1EPKlPlSQ_SR_N2at6native12_GLOBAL__N_18offset_tEEE10hipError_tPvRmT1_PNSt15iterator_traitsISZ_E10value_typeET2_T3_PNS10_IS15_E10value_typeET4_jRbjT5_S1B_jjP12ihipStream_tbEUljE_ZNSN_ISO_Lb1ESQ_SR_SQ_SR_SV_EESW_SX_SY_SZ_S13_S14_S15_S18_S19_jS1A_jS1B_S1B_jjS1D_bEUljE0_EEESW_SX_SY_S15_S19_S1B_T6_T7_T9_mT8_S1D_bDpT10_ENKUlT_T0_E_clISt17integral_constantIbLb1EES1Q_IbLb0EEEEDaS1M_S1N_EUlS1M_E_NS1_11comp_targetILNS1_3genE2ELNS1_11target_archE906ELNS1_3gpuE6ELNS1_3repE0EEENS1_30default_config_static_selectorELNS0_4arch9wavefront6targetE0EEEvSZ_
; %bb.0:
	.section	.rodata,"a",@progbits
	.p2align	6, 0x0
	.amdhsa_kernel _ZN7rocprim17ROCPRIM_400000_NS6detail17trampoline_kernelINS0_13select_configILj256ELj13ELNS0_17block_load_methodE3ELS4_3ELS4_3ELNS0_20block_scan_algorithmE0ELj4294967295EEENS1_25partition_config_selectorILNS1_17partition_subalgoE4EjNS0_10empty_typeEbEEZZNS1_14partition_implILS8_4ELb0ES6_15HIP_vector_typeIjLj2EENS0_17counting_iteratorIjlEEPS9_SG_NS0_5tupleIJPjSI_NS0_16reverse_iteratorISI_EEEEENSH_IJSG_SG_SG_EEES9_SI_JZNS1_25segmented_radix_sort_implINS0_14default_configELb1EPKlPlSQ_SR_N2at6native12_GLOBAL__N_18offset_tEEE10hipError_tPvRmT1_PNSt15iterator_traitsISZ_E10value_typeET2_T3_PNS10_IS15_E10value_typeET4_jRbjT5_S1B_jjP12ihipStream_tbEUljE_ZNSN_ISO_Lb1ESQ_SR_SQ_SR_SV_EESW_SX_SY_SZ_S13_S14_S15_S18_S19_jS1A_jS1B_S1B_jjS1D_bEUljE0_EEESW_SX_SY_S15_S19_S1B_T6_T7_T9_mT8_S1D_bDpT10_ENKUlT_T0_E_clISt17integral_constantIbLb1EES1Q_IbLb0EEEEDaS1M_S1N_EUlS1M_E_NS1_11comp_targetILNS1_3genE2ELNS1_11target_archE906ELNS1_3gpuE6ELNS1_3repE0EEENS1_30default_config_static_selectorELNS0_4arch9wavefront6targetE0EEEvSZ_
		.amdhsa_group_segment_fixed_size 0
		.amdhsa_private_segment_fixed_size 0
		.amdhsa_kernarg_size 176
		.amdhsa_user_sgpr_count 6
		.amdhsa_user_sgpr_private_segment_buffer 1
		.amdhsa_user_sgpr_dispatch_ptr 0
		.amdhsa_user_sgpr_queue_ptr 0
		.amdhsa_user_sgpr_kernarg_segment_ptr 1
		.amdhsa_user_sgpr_dispatch_id 0
		.amdhsa_user_sgpr_flat_scratch_init 0
		.amdhsa_user_sgpr_private_segment_size 0
		.amdhsa_wavefront_size32 1
		.amdhsa_uses_dynamic_stack 0
		.amdhsa_system_sgpr_private_segment_wavefront_offset 0
		.amdhsa_system_sgpr_workgroup_id_x 1
		.amdhsa_system_sgpr_workgroup_id_y 0
		.amdhsa_system_sgpr_workgroup_id_z 0
		.amdhsa_system_sgpr_workgroup_info 0
		.amdhsa_system_vgpr_workitem_id 0
		.amdhsa_next_free_vgpr 1
		.amdhsa_next_free_sgpr 1
		.amdhsa_reserve_vcc 0
		.amdhsa_reserve_flat_scratch 0
		.amdhsa_float_round_mode_32 0
		.amdhsa_float_round_mode_16_64 0
		.amdhsa_float_denorm_mode_32 3
		.amdhsa_float_denorm_mode_16_64 3
		.amdhsa_dx10_clamp 1
		.amdhsa_ieee_mode 1
		.amdhsa_fp16_overflow 0
		.amdhsa_workgroup_processor_mode 1
		.amdhsa_memory_ordered 1
		.amdhsa_forward_progress 1
		.amdhsa_shared_vgpr_count 0
		.amdhsa_exception_fp_ieee_invalid_op 0
		.amdhsa_exception_fp_denorm_src 0
		.amdhsa_exception_fp_ieee_div_zero 0
		.amdhsa_exception_fp_ieee_overflow 0
		.amdhsa_exception_fp_ieee_underflow 0
		.amdhsa_exception_fp_ieee_inexact 0
		.amdhsa_exception_int_div_zero 0
	.end_amdhsa_kernel
	.section	.text._ZN7rocprim17ROCPRIM_400000_NS6detail17trampoline_kernelINS0_13select_configILj256ELj13ELNS0_17block_load_methodE3ELS4_3ELS4_3ELNS0_20block_scan_algorithmE0ELj4294967295EEENS1_25partition_config_selectorILNS1_17partition_subalgoE4EjNS0_10empty_typeEbEEZZNS1_14partition_implILS8_4ELb0ES6_15HIP_vector_typeIjLj2EENS0_17counting_iteratorIjlEEPS9_SG_NS0_5tupleIJPjSI_NS0_16reverse_iteratorISI_EEEEENSH_IJSG_SG_SG_EEES9_SI_JZNS1_25segmented_radix_sort_implINS0_14default_configELb1EPKlPlSQ_SR_N2at6native12_GLOBAL__N_18offset_tEEE10hipError_tPvRmT1_PNSt15iterator_traitsISZ_E10value_typeET2_T3_PNS10_IS15_E10value_typeET4_jRbjT5_S1B_jjP12ihipStream_tbEUljE_ZNSN_ISO_Lb1ESQ_SR_SQ_SR_SV_EESW_SX_SY_SZ_S13_S14_S15_S18_S19_jS1A_jS1B_S1B_jjS1D_bEUljE0_EEESW_SX_SY_S15_S19_S1B_T6_T7_T9_mT8_S1D_bDpT10_ENKUlT_T0_E_clISt17integral_constantIbLb1EES1Q_IbLb0EEEEDaS1M_S1N_EUlS1M_E_NS1_11comp_targetILNS1_3genE2ELNS1_11target_archE906ELNS1_3gpuE6ELNS1_3repE0EEENS1_30default_config_static_selectorELNS0_4arch9wavefront6targetE0EEEvSZ_,"axG",@progbits,_ZN7rocprim17ROCPRIM_400000_NS6detail17trampoline_kernelINS0_13select_configILj256ELj13ELNS0_17block_load_methodE3ELS4_3ELS4_3ELNS0_20block_scan_algorithmE0ELj4294967295EEENS1_25partition_config_selectorILNS1_17partition_subalgoE4EjNS0_10empty_typeEbEEZZNS1_14partition_implILS8_4ELb0ES6_15HIP_vector_typeIjLj2EENS0_17counting_iteratorIjlEEPS9_SG_NS0_5tupleIJPjSI_NS0_16reverse_iteratorISI_EEEEENSH_IJSG_SG_SG_EEES9_SI_JZNS1_25segmented_radix_sort_implINS0_14default_configELb1EPKlPlSQ_SR_N2at6native12_GLOBAL__N_18offset_tEEE10hipError_tPvRmT1_PNSt15iterator_traitsISZ_E10value_typeET2_T3_PNS10_IS15_E10value_typeET4_jRbjT5_S1B_jjP12ihipStream_tbEUljE_ZNSN_ISO_Lb1ESQ_SR_SQ_SR_SV_EESW_SX_SY_SZ_S13_S14_S15_S18_S19_jS1A_jS1B_S1B_jjS1D_bEUljE0_EEESW_SX_SY_S15_S19_S1B_T6_T7_T9_mT8_S1D_bDpT10_ENKUlT_T0_E_clISt17integral_constantIbLb1EES1Q_IbLb0EEEEDaS1M_S1N_EUlS1M_E_NS1_11comp_targetILNS1_3genE2ELNS1_11target_archE906ELNS1_3gpuE6ELNS1_3repE0EEENS1_30default_config_static_selectorELNS0_4arch9wavefront6targetE0EEEvSZ_,comdat
.Lfunc_end654:
	.size	_ZN7rocprim17ROCPRIM_400000_NS6detail17trampoline_kernelINS0_13select_configILj256ELj13ELNS0_17block_load_methodE3ELS4_3ELS4_3ELNS0_20block_scan_algorithmE0ELj4294967295EEENS1_25partition_config_selectorILNS1_17partition_subalgoE4EjNS0_10empty_typeEbEEZZNS1_14partition_implILS8_4ELb0ES6_15HIP_vector_typeIjLj2EENS0_17counting_iteratorIjlEEPS9_SG_NS0_5tupleIJPjSI_NS0_16reverse_iteratorISI_EEEEENSH_IJSG_SG_SG_EEES9_SI_JZNS1_25segmented_radix_sort_implINS0_14default_configELb1EPKlPlSQ_SR_N2at6native12_GLOBAL__N_18offset_tEEE10hipError_tPvRmT1_PNSt15iterator_traitsISZ_E10value_typeET2_T3_PNS10_IS15_E10value_typeET4_jRbjT5_S1B_jjP12ihipStream_tbEUljE_ZNSN_ISO_Lb1ESQ_SR_SQ_SR_SV_EESW_SX_SY_SZ_S13_S14_S15_S18_S19_jS1A_jS1B_S1B_jjS1D_bEUljE0_EEESW_SX_SY_S15_S19_S1B_T6_T7_T9_mT8_S1D_bDpT10_ENKUlT_T0_E_clISt17integral_constantIbLb1EES1Q_IbLb0EEEEDaS1M_S1N_EUlS1M_E_NS1_11comp_targetILNS1_3genE2ELNS1_11target_archE906ELNS1_3gpuE6ELNS1_3repE0EEENS1_30default_config_static_selectorELNS0_4arch9wavefront6targetE0EEEvSZ_, .Lfunc_end654-_ZN7rocprim17ROCPRIM_400000_NS6detail17trampoline_kernelINS0_13select_configILj256ELj13ELNS0_17block_load_methodE3ELS4_3ELS4_3ELNS0_20block_scan_algorithmE0ELj4294967295EEENS1_25partition_config_selectorILNS1_17partition_subalgoE4EjNS0_10empty_typeEbEEZZNS1_14partition_implILS8_4ELb0ES6_15HIP_vector_typeIjLj2EENS0_17counting_iteratorIjlEEPS9_SG_NS0_5tupleIJPjSI_NS0_16reverse_iteratorISI_EEEEENSH_IJSG_SG_SG_EEES9_SI_JZNS1_25segmented_radix_sort_implINS0_14default_configELb1EPKlPlSQ_SR_N2at6native12_GLOBAL__N_18offset_tEEE10hipError_tPvRmT1_PNSt15iterator_traitsISZ_E10value_typeET2_T3_PNS10_IS15_E10value_typeET4_jRbjT5_S1B_jjP12ihipStream_tbEUljE_ZNSN_ISO_Lb1ESQ_SR_SQ_SR_SV_EESW_SX_SY_SZ_S13_S14_S15_S18_S19_jS1A_jS1B_S1B_jjS1D_bEUljE0_EEESW_SX_SY_S15_S19_S1B_T6_T7_T9_mT8_S1D_bDpT10_ENKUlT_T0_E_clISt17integral_constantIbLb1EES1Q_IbLb0EEEEDaS1M_S1N_EUlS1M_E_NS1_11comp_targetILNS1_3genE2ELNS1_11target_archE906ELNS1_3gpuE6ELNS1_3repE0EEENS1_30default_config_static_selectorELNS0_4arch9wavefront6targetE0EEEvSZ_
                                        ; -- End function
	.set _ZN7rocprim17ROCPRIM_400000_NS6detail17trampoline_kernelINS0_13select_configILj256ELj13ELNS0_17block_load_methodE3ELS4_3ELS4_3ELNS0_20block_scan_algorithmE0ELj4294967295EEENS1_25partition_config_selectorILNS1_17partition_subalgoE4EjNS0_10empty_typeEbEEZZNS1_14partition_implILS8_4ELb0ES6_15HIP_vector_typeIjLj2EENS0_17counting_iteratorIjlEEPS9_SG_NS0_5tupleIJPjSI_NS0_16reverse_iteratorISI_EEEEENSH_IJSG_SG_SG_EEES9_SI_JZNS1_25segmented_radix_sort_implINS0_14default_configELb1EPKlPlSQ_SR_N2at6native12_GLOBAL__N_18offset_tEEE10hipError_tPvRmT1_PNSt15iterator_traitsISZ_E10value_typeET2_T3_PNS10_IS15_E10value_typeET4_jRbjT5_S1B_jjP12ihipStream_tbEUljE_ZNSN_ISO_Lb1ESQ_SR_SQ_SR_SV_EESW_SX_SY_SZ_S13_S14_S15_S18_S19_jS1A_jS1B_S1B_jjS1D_bEUljE0_EEESW_SX_SY_S15_S19_S1B_T6_T7_T9_mT8_S1D_bDpT10_ENKUlT_T0_E_clISt17integral_constantIbLb1EES1Q_IbLb0EEEEDaS1M_S1N_EUlS1M_E_NS1_11comp_targetILNS1_3genE2ELNS1_11target_archE906ELNS1_3gpuE6ELNS1_3repE0EEENS1_30default_config_static_selectorELNS0_4arch9wavefront6targetE0EEEvSZ_.num_vgpr, 0
	.set _ZN7rocprim17ROCPRIM_400000_NS6detail17trampoline_kernelINS0_13select_configILj256ELj13ELNS0_17block_load_methodE3ELS4_3ELS4_3ELNS0_20block_scan_algorithmE0ELj4294967295EEENS1_25partition_config_selectorILNS1_17partition_subalgoE4EjNS0_10empty_typeEbEEZZNS1_14partition_implILS8_4ELb0ES6_15HIP_vector_typeIjLj2EENS0_17counting_iteratorIjlEEPS9_SG_NS0_5tupleIJPjSI_NS0_16reverse_iteratorISI_EEEEENSH_IJSG_SG_SG_EEES9_SI_JZNS1_25segmented_radix_sort_implINS0_14default_configELb1EPKlPlSQ_SR_N2at6native12_GLOBAL__N_18offset_tEEE10hipError_tPvRmT1_PNSt15iterator_traitsISZ_E10value_typeET2_T3_PNS10_IS15_E10value_typeET4_jRbjT5_S1B_jjP12ihipStream_tbEUljE_ZNSN_ISO_Lb1ESQ_SR_SQ_SR_SV_EESW_SX_SY_SZ_S13_S14_S15_S18_S19_jS1A_jS1B_S1B_jjS1D_bEUljE0_EEESW_SX_SY_S15_S19_S1B_T6_T7_T9_mT8_S1D_bDpT10_ENKUlT_T0_E_clISt17integral_constantIbLb1EES1Q_IbLb0EEEEDaS1M_S1N_EUlS1M_E_NS1_11comp_targetILNS1_3genE2ELNS1_11target_archE906ELNS1_3gpuE6ELNS1_3repE0EEENS1_30default_config_static_selectorELNS0_4arch9wavefront6targetE0EEEvSZ_.num_agpr, 0
	.set _ZN7rocprim17ROCPRIM_400000_NS6detail17trampoline_kernelINS0_13select_configILj256ELj13ELNS0_17block_load_methodE3ELS4_3ELS4_3ELNS0_20block_scan_algorithmE0ELj4294967295EEENS1_25partition_config_selectorILNS1_17partition_subalgoE4EjNS0_10empty_typeEbEEZZNS1_14partition_implILS8_4ELb0ES6_15HIP_vector_typeIjLj2EENS0_17counting_iteratorIjlEEPS9_SG_NS0_5tupleIJPjSI_NS0_16reverse_iteratorISI_EEEEENSH_IJSG_SG_SG_EEES9_SI_JZNS1_25segmented_radix_sort_implINS0_14default_configELb1EPKlPlSQ_SR_N2at6native12_GLOBAL__N_18offset_tEEE10hipError_tPvRmT1_PNSt15iterator_traitsISZ_E10value_typeET2_T3_PNS10_IS15_E10value_typeET4_jRbjT5_S1B_jjP12ihipStream_tbEUljE_ZNSN_ISO_Lb1ESQ_SR_SQ_SR_SV_EESW_SX_SY_SZ_S13_S14_S15_S18_S19_jS1A_jS1B_S1B_jjS1D_bEUljE0_EEESW_SX_SY_S15_S19_S1B_T6_T7_T9_mT8_S1D_bDpT10_ENKUlT_T0_E_clISt17integral_constantIbLb1EES1Q_IbLb0EEEEDaS1M_S1N_EUlS1M_E_NS1_11comp_targetILNS1_3genE2ELNS1_11target_archE906ELNS1_3gpuE6ELNS1_3repE0EEENS1_30default_config_static_selectorELNS0_4arch9wavefront6targetE0EEEvSZ_.numbered_sgpr, 0
	.set _ZN7rocprim17ROCPRIM_400000_NS6detail17trampoline_kernelINS0_13select_configILj256ELj13ELNS0_17block_load_methodE3ELS4_3ELS4_3ELNS0_20block_scan_algorithmE0ELj4294967295EEENS1_25partition_config_selectorILNS1_17partition_subalgoE4EjNS0_10empty_typeEbEEZZNS1_14partition_implILS8_4ELb0ES6_15HIP_vector_typeIjLj2EENS0_17counting_iteratorIjlEEPS9_SG_NS0_5tupleIJPjSI_NS0_16reverse_iteratorISI_EEEEENSH_IJSG_SG_SG_EEES9_SI_JZNS1_25segmented_radix_sort_implINS0_14default_configELb1EPKlPlSQ_SR_N2at6native12_GLOBAL__N_18offset_tEEE10hipError_tPvRmT1_PNSt15iterator_traitsISZ_E10value_typeET2_T3_PNS10_IS15_E10value_typeET4_jRbjT5_S1B_jjP12ihipStream_tbEUljE_ZNSN_ISO_Lb1ESQ_SR_SQ_SR_SV_EESW_SX_SY_SZ_S13_S14_S15_S18_S19_jS1A_jS1B_S1B_jjS1D_bEUljE0_EEESW_SX_SY_S15_S19_S1B_T6_T7_T9_mT8_S1D_bDpT10_ENKUlT_T0_E_clISt17integral_constantIbLb1EES1Q_IbLb0EEEEDaS1M_S1N_EUlS1M_E_NS1_11comp_targetILNS1_3genE2ELNS1_11target_archE906ELNS1_3gpuE6ELNS1_3repE0EEENS1_30default_config_static_selectorELNS0_4arch9wavefront6targetE0EEEvSZ_.num_named_barrier, 0
	.set _ZN7rocprim17ROCPRIM_400000_NS6detail17trampoline_kernelINS0_13select_configILj256ELj13ELNS0_17block_load_methodE3ELS4_3ELS4_3ELNS0_20block_scan_algorithmE0ELj4294967295EEENS1_25partition_config_selectorILNS1_17partition_subalgoE4EjNS0_10empty_typeEbEEZZNS1_14partition_implILS8_4ELb0ES6_15HIP_vector_typeIjLj2EENS0_17counting_iteratorIjlEEPS9_SG_NS0_5tupleIJPjSI_NS0_16reverse_iteratorISI_EEEEENSH_IJSG_SG_SG_EEES9_SI_JZNS1_25segmented_radix_sort_implINS0_14default_configELb1EPKlPlSQ_SR_N2at6native12_GLOBAL__N_18offset_tEEE10hipError_tPvRmT1_PNSt15iterator_traitsISZ_E10value_typeET2_T3_PNS10_IS15_E10value_typeET4_jRbjT5_S1B_jjP12ihipStream_tbEUljE_ZNSN_ISO_Lb1ESQ_SR_SQ_SR_SV_EESW_SX_SY_SZ_S13_S14_S15_S18_S19_jS1A_jS1B_S1B_jjS1D_bEUljE0_EEESW_SX_SY_S15_S19_S1B_T6_T7_T9_mT8_S1D_bDpT10_ENKUlT_T0_E_clISt17integral_constantIbLb1EES1Q_IbLb0EEEEDaS1M_S1N_EUlS1M_E_NS1_11comp_targetILNS1_3genE2ELNS1_11target_archE906ELNS1_3gpuE6ELNS1_3repE0EEENS1_30default_config_static_selectorELNS0_4arch9wavefront6targetE0EEEvSZ_.private_seg_size, 0
	.set _ZN7rocprim17ROCPRIM_400000_NS6detail17trampoline_kernelINS0_13select_configILj256ELj13ELNS0_17block_load_methodE3ELS4_3ELS4_3ELNS0_20block_scan_algorithmE0ELj4294967295EEENS1_25partition_config_selectorILNS1_17partition_subalgoE4EjNS0_10empty_typeEbEEZZNS1_14partition_implILS8_4ELb0ES6_15HIP_vector_typeIjLj2EENS0_17counting_iteratorIjlEEPS9_SG_NS0_5tupleIJPjSI_NS0_16reverse_iteratorISI_EEEEENSH_IJSG_SG_SG_EEES9_SI_JZNS1_25segmented_radix_sort_implINS0_14default_configELb1EPKlPlSQ_SR_N2at6native12_GLOBAL__N_18offset_tEEE10hipError_tPvRmT1_PNSt15iterator_traitsISZ_E10value_typeET2_T3_PNS10_IS15_E10value_typeET4_jRbjT5_S1B_jjP12ihipStream_tbEUljE_ZNSN_ISO_Lb1ESQ_SR_SQ_SR_SV_EESW_SX_SY_SZ_S13_S14_S15_S18_S19_jS1A_jS1B_S1B_jjS1D_bEUljE0_EEESW_SX_SY_S15_S19_S1B_T6_T7_T9_mT8_S1D_bDpT10_ENKUlT_T0_E_clISt17integral_constantIbLb1EES1Q_IbLb0EEEEDaS1M_S1N_EUlS1M_E_NS1_11comp_targetILNS1_3genE2ELNS1_11target_archE906ELNS1_3gpuE6ELNS1_3repE0EEENS1_30default_config_static_selectorELNS0_4arch9wavefront6targetE0EEEvSZ_.uses_vcc, 0
	.set _ZN7rocprim17ROCPRIM_400000_NS6detail17trampoline_kernelINS0_13select_configILj256ELj13ELNS0_17block_load_methodE3ELS4_3ELS4_3ELNS0_20block_scan_algorithmE0ELj4294967295EEENS1_25partition_config_selectorILNS1_17partition_subalgoE4EjNS0_10empty_typeEbEEZZNS1_14partition_implILS8_4ELb0ES6_15HIP_vector_typeIjLj2EENS0_17counting_iteratorIjlEEPS9_SG_NS0_5tupleIJPjSI_NS0_16reverse_iteratorISI_EEEEENSH_IJSG_SG_SG_EEES9_SI_JZNS1_25segmented_radix_sort_implINS0_14default_configELb1EPKlPlSQ_SR_N2at6native12_GLOBAL__N_18offset_tEEE10hipError_tPvRmT1_PNSt15iterator_traitsISZ_E10value_typeET2_T3_PNS10_IS15_E10value_typeET4_jRbjT5_S1B_jjP12ihipStream_tbEUljE_ZNSN_ISO_Lb1ESQ_SR_SQ_SR_SV_EESW_SX_SY_SZ_S13_S14_S15_S18_S19_jS1A_jS1B_S1B_jjS1D_bEUljE0_EEESW_SX_SY_S15_S19_S1B_T6_T7_T9_mT8_S1D_bDpT10_ENKUlT_T0_E_clISt17integral_constantIbLb1EES1Q_IbLb0EEEEDaS1M_S1N_EUlS1M_E_NS1_11comp_targetILNS1_3genE2ELNS1_11target_archE906ELNS1_3gpuE6ELNS1_3repE0EEENS1_30default_config_static_selectorELNS0_4arch9wavefront6targetE0EEEvSZ_.uses_flat_scratch, 0
	.set _ZN7rocprim17ROCPRIM_400000_NS6detail17trampoline_kernelINS0_13select_configILj256ELj13ELNS0_17block_load_methodE3ELS4_3ELS4_3ELNS0_20block_scan_algorithmE0ELj4294967295EEENS1_25partition_config_selectorILNS1_17partition_subalgoE4EjNS0_10empty_typeEbEEZZNS1_14partition_implILS8_4ELb0ES6_15HIP_vector_typeIjLj2EENS0_17counting_iteratorIjlEEPS9_SG_NS0_5tupleIJPjSI_NS0_16reverse_iteratorISI_EEEEENSH_IJSG_SG_SG_EEES9_SI_JZNS1_25segmented_radix_sort_implINS0_14default_configELb1EPKlPlSQ_SR_N2at6native12_GLOBAL__N_18offset_tEEE10hipError_tPvRmT1_PNSt15iterator_traitsISZ_E10value_typeET2_T3_PNS10_IS15_E10value_typeET4_jRbjT5_S1B_jjP12ihipStream_tbEUljE_ZNSN_ISO_Lb1ESQ_SR_SQ_SR_SV_EESW_SX_SY_SZ_S13_S14_S15_S18_S19_jS1A_jS1B_S1B_jjS1D_bEUljE0_EEESW_SX_SY_S15_S19_S1B_T6_T7_T9_mT8_S1D_bDpT10_ENKUlT_T0_E_clISt17integral_constantIbLb1EES1Q_IbLb0EEEEDaS1M_S1N_EUlS1M_E_NS1_11comp_targetILNS1_3genE2ELNS1_11target_archE906ELNS1_3gpuE6ELNS1_3repE0EEENS1_30default_config_static_selectorELNS0_4arch9wavefront6targetE0EEEvSZ_.has_dyn_sized_stack, 0
	.set _ZN7rocprim17ROCPRIM_400000_NS6detail17trampoline_kernelINS0_13select_configILj256ELj13ELNS0_17block_load_methodE3ELS4_3ELS4_3ELNS0_20block_scan_algorithmE0ELj4294967295EEENS1_25partition_config_selectorILNS1_17partition_subalgoE4EjNS0_10empty_typeEbEEZZNS1_14partition_implILS8_4ELb0ES6_15HIP_vector_typeIjLj2EENS0_17counting_iteratorIjlEEPS9_SG_NS0_5tupleIJPjSI_NS0_16reverse_iteratorISI_EEEEENSH_IJSG_SG_SG_EEES9_SI_JZNS1_25segmented_radix_sort_implINS0_14default_configELb1EPKlPlSQ_SR_N2at6native12_GLOBAL__N_18offset_tEEE10hipError_tPvRmT1_PNSt15iterator_traitsISZ_E10value_typeET2_T3_PNS10_IS15_E10value_typeET4_jRbjT5_S1B_jjP12ihipStream_tbEUljE_ZNSN_ISO_Lb1ESQ_SR_SQ_SR_SV_EESW_SX_SY_SZ_S13_S14_S15_S18_S19_jS1A_jS1B_S1B_jjS1D_bEUljE0_EEESW_SX_SY_S15_S19_S1B_T6_T7_T9_mT8_S1D_bDpT10_ENKUlT_T0_E_clISt17integral_constantIbLb1EES1Q_IbLb0EEEEDaS1M_S1N_EUlS1M_E_NS1_11comp_targetILNS1_3genE2ELNS1_11target_archE906ELNS1_3gpuE6ELNS1_3repE0EEENS1_30default_config_static_selectorELNS0_4arch9wavefront6targetE0EEEvSZ_.has_recursion, 0
	.set _ZN7rocprim17ROCPRIM_400000_NS6detail17trampoline_kernelINS0_13select_configILj256ELj13ELNS0_17block_load_methodE3ELS4_3ELS4_3ELNS0_20block_scan_algorithmE0ELj4294967295EEENS1_25partition_config_selectorILNS1_17partition_subalgoE4EjNS0_10empty_typeEbEEZZNS1_14partition_implILS8_4ELb0ES6_15HIP_vector_typeIjLj2EENS0_17counting_iteratorIjlEEPS9_SG_NS0_5tupleIJPjSI_NS0_16reverse_iteratorISI_EEEEENSH_IJSG_SG_SG_EEES9_SI_JZNS1_25segmented_radix_sort_implINS0_14default_configELb1EPKlPlSQ_SR_N2at6native12_GLOBAL__N_18offset_tEEE10hipError_tPvRmT1_PNSt15iterator_traitsISZ_E10value_typeET2_T3_PNS10_IS15_E10value_typeET4_jRbjT5_S1B_jjP12ihipStream_tbEUljE_ZNSN_ISO_Lb1ESQ_SR_SQ_SR_SV_EESW_SX_SY_SZ_S13_S14_S15_S18_S19_jS1A_jS1B_S1B_jjS1D_bEUljE0_EEESW_SX_SY_S15_S19_S1B_T6_T7_T9_mT8_S1D_bDpT10_ENKUlT_T0_E_clISt17integral_constantIbLb1EES1Q_IbLb0EEEEDaS1M_S1N_EUlS1M_E_NS1_11comp_targetILNS1_3genE2ELNS1_11target_archE906ELNS1_3gpuE6ELNS1_3repE0EEENS1_30default_config_static_selectorELNS0_4arch9wavefront6targetE0EEEvSZ_.has_indirect_call, 0
	.section	.AMDGPU.csdata,"",@progbits
; Kernel info:
; codeLenInByte = 0
; TotalNumSgprs: 0
; NumVgprs: 0
; ScratchSize: 0
; MemoryBound: 0
; FloatMode: 240
; IeeeMode: 1
; LDSByteSize: 0 bytes/workgroup (compile time only)
; SGPRBlocks: 0
; VGPRBlocks: 0
; NumSGPRsForWavesPerEU: 1
; NumVGPRsForWavesPerEU: 1
; Occupancy: 16
; WaveLimiterHint : 0
; COMPUTE_PGM_RSRC2:SCRATCH_EN: 0
; COMPUTE_PGM_RSRC2:USER_SGPR: 6
; COMPUTE_PGM_RSRC2:TRAP_HANDLER: 0
; COMPUTE_PGM_RSRC2:TGID_X_EN: 1
; COMPUTE_PGM_RSRC2:TGID_Y_EN: 0
; COMPUTE_PGM_RSRC2:TGID_Z_EN: 0
; COMPUTE_PGM_RSRC2:TIDIG_COMP_CNT: 0
	.section	.text._ZN7rocprim17ROCPRIM_400000_NS6detail17trampoline_kernelINS0_13select_configILj256ELj13ELNS0_17block_load_methodE3ELS4_3ELS4_3ELNS0_20block_scan_algorithmE0ELj4294967295EEENS1_25partition_config_selectorILNS1_17partition_subalgoE4EjNS0_10empty_typeEbEEZZNS1_14partition_implILS8_4ELb0ES6_15HIP_vector_typeIjLj2EENS0_17counting_iteratorIjlEEPS9_SG_NS0_5tupleIJPjSI_NS0_16reverse_iteratorISI_EEEEENSH_IJSG_SG_SG_EEES9_SI_JZNS1_25segmented_radix_sort_implINS0_14default_configELb1EPKlPlSQ_SR_N2at6native12_GLOBAL__N_18offset_tEEE10hipError_tPvRmT1_PNSt15iterator_traitsISZ_E10value_typeET2_T3_PNS10_IS15_E10value_typeET4_jRbjT5_S1B_jjP12ihipStream_tbEUljE_ZNSN_ISO_Lb1ESQ_SR_SQ_SR_SV_EESW_SX_SY_SZ_S13_S14_S15_S18_S19_jS1A_jS1B_S1B_jjS1D_bEUljE0_EEESW_SX_SY_S15_S19_S1B_T6_T7_T9_mT8_S1D_bDpT10_ENKUlT_T0_E_clISt17integral_constantIbLb1EES1Q_IbLb0EEEEDaS1M_S1N_EUlS1M_E_NS1_11comp_targetILNS1_3genE10ELNS1_11target_archE1200ELNS1_3gpuE4ELNS1_3repE0EEENS1_30default_config_static_selectorELNS0_4arch9wavefront6targetE0EEEvSZ_,"axG",@progbits,_ZN7rocprim17ROCPRIM_400000_NS6detail17trampoline_kernelINS0_13select_configILj256ELj13ELNS0_17block_load_methodE3ELS4_3ELS4_3ELNS0_20block_scan_algorithmE0ELj4294967295EEENS1_25partition_config_selectorILNS1_17partition_subalgoE4EjNS0_10empty_typeEbEEZZNS1_14partition_implILS8_4ELb0ES6_15HIP_vector_typeIjLj2EENS0_17counting_iteratorIjlEEPS9_SG_NS0_5tupleIJPjSI_NS0_16reverse_iteratorISI_EEEEENSH_IJSG_SG_SG_EEES9_SI_JZNS1_25segmented_radix_sort_implINS0_14default_configELb1EPKlPlSQ_SR_N2at6native12_GLOBAL__N_18offset_tEEE10hipError_tPvRmT1_PNSt15iterator_traitsISZ_E10value_typeET2_T3_PNS10_IS15_E10value_typeET4_jRbjT5_S1B_jjP12ihipStream_tbEUljE_ZNSN_ISO_Lb1ESQ_SR_SQ_SR_SV_EESW_SX_SY_SZ_S13_S14_S15_S18_S19_jS1A_jS1B_S1B_jjS1D_bEUljE0_EEESW_SX_SY_S15_S19_S1B_T6_T7_T9_mT8_S1D_bDpT10_ENKUlT_T0_E_clISt17integral_constantIbLb1EES1Q_IbLb0EEEEDaS1M_S1N_EUlS1M_E_NS1_11comp_targetILNS1_3genE10ELNS1_11target_archE1200ELNS1_3gpuE4ELNS1_3repE0EEENS1_30default_config_static_selectorELNS0_4arch9wavefront6targetE0EEEvSZ_,comdat
	.globl	_ZN7rocprim17ROCPRIM_400000_NS6detail17trampoline_kernelINS0_13select_configILj256ELj13ELNS0_17block_load_methodE3ELS4_3ELS4_3ELNS0_20block_scan_algorithmE0ELj4294967295EEENS1_25partition_config_selectorILNS1_17partition_subalgoE4EjNS0_10empty_typeEbEEZZNS1_14partition_implILS8_4ELb0ES6_15HIP_vector_typeIjLj2EENS0_17counting_iteratorIjlEEPS9_SG_NS0_5tupleIJPjSI_NS0_16reverse_iteratorISI_EEEEENSH_IJSG_SG_SG_EEES9_SI_JZNS1_25segmented_radix_sort_implINS0_14default_configELb1EPKlPlSQ_SR_N2at6native12_GLOBAL__N_18offset_tEEE10hipError_tPvRmT1_PNSt15iterator_traitsISZ_E10value_typeET2_T3_PNS10_IS15_E10value_typeET4_jRbjT5_S1B_jjP12ihipStream_tbEUljE_ZNSN_ISO_Lb1ESQ_SR_SQ_SR_SV_EESW_SX_SY_SZ_S13_S14_S15_S18_S19_jS1A_jS1B_S1B_jjS1D_bEUljE0_EEESW_SX_SY_S15_S19_S1B_T6_T7_T9_mT8_S1D_bDpT10_ENKUlT_T0_E_clISt17integral_constantIbLb1EES1Q_IbLb0EEEEDaS1M_S1N_EUlS1M_E_NS1_11comp_targetILNS1_3genE10ELNS1_11target_archE1200ELNS1_3gpuE4ELNS1_3repE0EEENS1_30default_config_static_selectorELNS0_4arch9wavefront6targetE0EEEvSZ_ ; -- Begin function _ZN7rocprim17ROCPRIM_400000_NS6detail17trampoline_kernelINS0_13select_configILj256ELj13ELNS0_17block_load_methodE3ELS4_3ELS4_3ELNS0_20block_scan_algorithmE0ELj4294967295EEENS1_25partition_config_selectorILNS1_17partition_subalgoE4EjNS0_10empty_typeEbEEZZNS1_14partition_implILS8_4ELb0ES6_15HIP_vector_typeIjLj2EENS0_17counting_iteratorIjlEEPS9_SG_NS0_5tupleIJPjSI_NS0_16reverse_iteratorISI_EEEEENSH_IJSG_SG_SG_EEES9_SI_JZNS1_25segmented_radix_sort_implINS0_14default_configELb1EPKlPlSQ_SR_N2at6native12_GLOBAL__N_18offset_tEEE10hipError_tPvRmT1_PNSt15iterator_traitsISZ_E10value_typeET2_T3_PNS10_IS15_E10value_typeET4_jRbjT5_S1B_jjP12ihipStream_tbEUljE_ZNSN_ISO_Lb1ESQ_SR_SQ_SR_SV_EESW_SX_SY_SZ_S13_S14_S15_S18_S19_jS1A_jS1B_S1B_jjS1D_bEUljE0_EEESW_SX_SY_S15_S19_S1B_T6_T7_T9_mT8_S1D_bDpT10_ENKUlT_T0_E_clISt17integral_constantIbLb1EES1Q_IbLb0EEEEDaS1M_S1N_EUlS1M_E_NS1_11comp_targetILNS1_3genE10ELNS1_11target_archE1200ELNS1_3gpuE4ELNS1_3repE0EEENS1_30default_config_static_selectorELNS0_4arch9wavefront6targetE0EEEvSZ_
	.p2align	8
	.type	_ZN7rocprim17ROCPRIM_400000_NS6detail17trampoline_kernelINS0_13select_configILj256ELj13ELNS0_17block_load_methodE3ELS4_3ELS4_3ELNS0_20block_scan_algorithmE0ELj4294967295EEENS1_25partition_config_selectorILNS1_17partition_subalgoE4EjNS0_10empty_typeEbEEZZNS1_14partition_implILS8_4ELb0ES6_15HIP_vector_typeIjLj2EENS0_17counting_iteratorIjlEEPS9_SG_NS0_5tupleIJPjSI_NS0_16reverse_iteratorISI_EEEEENSH_IJSG_SG_SG_EEES9_SI_JZNS1_25segmented_radix_sort_implINS0_14default_configELb1EPKlPlSQ_SR_N2at6native12_GLOBAL__N_18offset_tEEE10hipError_tPvRmT1_PNSt15iterator_traitsISZ_E10value_typeET2_T3_PNS10_IS15_E10value_typeET4_jRbjT5_S1B_jjP12ihipStream_tbEUljE_ZNSN_ISO_Lb1ESQ_SR_SQ_SR_SV_EESW_SX_SY_SZ_S13_S14_S15_S18_S19_jS1A_jS1B_S1B_jjS1D_bEUljE0_EEESW_SX_SY_S15_S19_S1B_T6_T7_T9_mT8_S1D_bDpT10_ENKUlT_T0_E_clISt17integral_constantIbLb1EES1Q_IbLb0EEEEDaS1M_S1N_EUlS1M_E_NS1_11comp_targetILNS1_3genE10ELNS1_11target_archE1200ELNS1_3gpuE4ELNS1_3repE0EEENS1_30default_config_static_selectorELNS0_4arch9wavefront6targetE0EEEvSZ_,@function
_ZN7rocprim17ROCPRIM_400000_NS6detail17trampoline_kernelINS0_13select_configILj256ELj13ELNS0_17block_load_methodE3ELS4_3ELS4_3ELNS0_20block_scan_algorithmE0ELj4294967295EEENS1_25partition_config_selectorILNS1_17partition_subalgoE4EjNS0_10empty_typeEbEEZZNS1_14partition_implILS8_4ELb0ES6_15HIP_vector_typeIjLj2EENS0_17counting_iteratorIjlEEPS9_SG_NS0_5tupleIJPjSI_NS0_16reverse_iteratorISI_EEEEENSH_IJSG_SG_SG_EEES9_SI_JZNS1_25segmented_radix_sort_implINS0_14default_configELb1EPKlPlSQ_SR_N2at6native12_GLOBAL__N_18offset_tEEE10hipError_tPvRmT1_PNSt15iterator_traitsISZ_E10value_typeET2_T3_PNS10_IS15_E10value_typeET4_jRbjT5_S1B_jjP12ihipStream_tbEUljE_ZNSN_ISO_Lb1ESQ_SR_SQ_SR_SV_EESW_SX_SY_SZ_S13_S14_S15_S18_S19_jS1A_jS1B_S1B_jjS1D_bEUljE0_EEESW_SX_SY_S15_S19_S1B_T6_T7_T9_mT8_S1D_bDpT10_ENKUlT_T0_E_clISt17integral_constantIbLb1EES1Q_IbLb0EEEEDaS1M_S1N_EUlS1M_E_NS1_11comp_targetILNS1_3genE10ELNS1_11target_archE1200ELNS1_3gpuE4ELNS1_3repE0EEENS1_30default_config_static_selectorELNS0_4arch9wavefront6targetE0EEEvSZ_: ; @_ZN7rocprim17ROCPRIM_400000_NS6detail17trampoline_kernelINS0_13select_configILj256ELj13ELNS0_17block_load_methodE3ELS4_3ELS4_3ELNS0_20block_scan_algorithmE0ELj4294967295EEENS1_25partition_config_selectorILNS1_17partition_subalgoE4EjNS0_10empty_typeEbEEZZNS1_14partition_implILS8_4ELb0ES6_15HIP_vector_typeIjLj2EENS0_17counting_iteratorIjlEEPS9_SG_NS0_5tupleIJPjSI_NS0_16reverse_iteratorISI_EEEEENSH_IJSG_SG_SG_EEES9_SI_JZNS1_25segmented_radix_sort_implINS0_14default_configELb1EPKlPlSQ_SR_N2at6native12_GLOBAL__N_18offset_tEEE10hipError_tPvRmT1_PNSt15iterator_traitsISZ_E10value_typeET2_T3_PNS10_IS15_E10value_typeET4_jRbjT5_S1B_jjP12ihipStream_tbEUljE_ZNSN_ISO_Lb1ESQ_SR_SQ_SR_SV_EESW_SX_SY_SZ_S13_S14_S15_S18_S19_jS1A_jS1B_S1B_jjS1D_bEUljE0_EEESW_SX_SY_S15_S19_S1B_T6_T7_T9_mT8_S1D_bDpT10_ENKUlT_T0_E_clISt17integral_constantIbLb1EES1Q_IbLb0EEEEDaS1M_S1N_EUlS1M_E_NS1_11comp_targetILNS1_3genE10ELNS1_11target_archE1200ELNS1_3gpuE4ELNS1_3repE0EEENS1_30default_config_static_selectorELNS0_4arch9wavefront6targetE0EEEvSZ_
; %bb.0:
	.section	.rodata,"a",@progbits
	.p2align	6, 0x0
	.amdhsa_kernel _ZN7rocprim17ROCPRIM_400000_NS6detail17trampoline_kernelINS0_13select_configILj256ELj13ELNS0_17block_load_methodE3ELS4_3ELS4_3ELNS0_20block_scan_algorithmE0ELj4294967295EEENS1_25partition_config_selectorILNS1_17partition_subalgoE4EjNS0_10empty_typeEbEEZZNS1_14partition_implILS8_4ELb0ES6_15HIP_vector_typeIjLj2EENS0_17counting_iteratorIjlEEPS9_SG_NS0_5tupleIJPjSI_NS0_16reverse_iteratorISI_EEEEENSH_IJSG_SG_SG_EEES9_SI_JZNS1_25segmented_radix_sort_implINS0_14default_configELb1EPKlPlSQ_SR_N2at6native12_GLOBAL__N_18offset_tEEE10hipError_tPvRmT1_PNSt15iterator_traitsISZ_E10value_typeET2_T3_PNS10_IS15_E10value_typeET4_jRbjT5_S1B_jjP12ihipStream_tbEUljE_ZNSN_ISO_Lb1ESQ_SR_SQ_SR_SV_EESW_SX_SY_SZ_S13_S14_S15_S18_S19_jS1A_jS1B_S1B_jjS1D_bEUljE0_EEESW_SX_SY_S15_S19_S1B_T6_T7_T9_mT8_S1D_bDpT10_ENKUlT_T0_E_clISt17integral_constantIbLb1EES1Q_IbLb0EEEEDaS1M_S1N_EUlS1M_E_NS1_11comp_targetILNS1_3genE10ELNS1_11target_archE1200ELNS1_3gpuE4ELNS1_3repE0EEENS1_30default_config_static_selectorELNS0_4arch9wavefront6targetE0EEEvSZ_
		.amdhsa_group_segment_fixed_size 0
		.amdhsa_private_segment_fixed_size 0
		.amdhsa_kernarg_size 176
		.amdhsa_user_sgpr_count 6
		.amdhsa_user_sgpr_private_segment_buffer 1
		.amdhsa_user_sgpr_dispatch_ptr 0
		.amdhsa_user_sgpr_queue_ptr 0
		.amdhsa_user_sgpr_kernarg_segment_ptr 1
		.amdhsa_user_sgpr_dispatch_id 0
		.amdhsa_user_sgpr_flat_scratch_init 0
		.amdhsa_user_sgpr_private_segment_size 0
		.amdhsa_wavefront_size32 1
		.amdhsa_uses_dynamic_stack 0
		.amdhsa_system_sgpr_private_segment_wavefront_offset 0
		.amdhsa_system_sgpr_workgroup_id_x 1
		.amdhsa_system_sgpr_workgroup_id_y 0
		.amdhsa_system_sgpr_workgroup_id_z 0
		.amdhsa_system_sgpr_workgroup_info 0
		.amdhsa_system_vgpr_workitem_id 0
		.amdhsa_next_free_vgpr 1
		.amdhsa_next_free_sgpr 1
		.amdhsa_reserve_vcc 0
		.amdhsa_reserve_flat_scratch 0
		.amdhsa_float_round_mode_32 0
		.amdhsa_float_round_mode_16_64 0
		.amdhsa_float_denorm_mode_32 3
		.amdhsa_float_denorm_mode_16_64 3
		.amdhsa_dx10_clamp 1
		.amdhsa_ieee_mode 1
		.amdhsa_fp16_overflow 0
		.amdhsa_workgroup_processor_mode 1
		.amdhsa_memory_ordered 1
		.amdhsa_forward_progress 1
		.amdhsa_shared_vgpr_count 0
		.amdhsa_exception_fp_ieee_invalid_op 0
		.amdhsa_exception_fp_denorm_src 0
		.amdhsa_exception_fp_ieee_div_zero 0
		.amdhsa_exception_fp_ieee_overflow 0
		.amdhsa_exception_fp_ieee_underflow 0
		.amdhsa_exception_fp_ieee_inexact 0
		.amdhsa_exception_int_div_zero 0
	.end_amdhsa_kernel
	.section	.text._ZN7rocprim17ROCPRIM_400000_NS6detail17trampoline_kernelINS0_13select_configILj256ELj13ELNS0_17block_load_methodE3ELS4_3ELS4_3ELNS0_20block_scan_algorithmE0ELj4294967295EEENS1_25partition_config_selectorILNS1_17partition_subalgoE4EjNS0_10empty_typeEbEEZZNS1_14partition_implILS8_4ELb0ES6_15HIP_vector_typeIjLj2EENS0_17counting_iteratorIjlEEPS9_SG_NS0_5tupleIJPjSI_NS0_16reverse_iteratorISI_EEEEENSH_IJSG_SG_SG_EEES9_SI_JZNS1_25segmented_radix_sort_implINS0_14default_configELb1EPKlPlSQ_SR_N2at6native12_GLOBAL__N_18offset_tEEE10hipError_tPvRmT1_PNSt15iterator_traitsISZ_E10value_typeET2_T3_PNS10_IS15_E10value_typeET4_jRbjT5_S1B_jjP12ihipStream_tbEUljE_ZNSN_ISO_Lb1ESQ_SR_SQ_SR_SV_EESW_SX_SY_SZ_S13_S14_S15_S18_S19_jS1A_jS1B_S1B_jjS1D_bEUljE0_EEESW_SX_SY_S15_S19_S1B_T6_T7_T9_mT8_S1D_bDpT10_ENKUlT_T0_E_clISt17integral_constantIbLb1EES1Q_IbLb0EEEEDaS1M_S1N_EUlS1M_E_NS1_11comp_targetILNS1_3genE10ELNS1_11target_archE1200ELNS1_3gpuE4ELNS1_3repE0EEENS1_30default_config_static_selectorELNS0_4arch9wavefront6targetE0EEEvSZ_,"axG",@progbits,_ZN7rocprim17ROCPRIM_400000_NS6detail17trampoline_kernelINS0_13select_configILj256ELj13ELNS0_17block_load_methodE3ELS4_3ELS4_3ELNS0_20block_scan_algorithmE0ELj4294967295EEENS1_25partition_config_selectorILNS1_17partition_subalgoE4EjNS0_10empty_typeEbEEZZNS1_14partition_implILS8_4ELb0ES6_15HIP_vector_typeIjLj2EENS0_17counting_iteratorIjlEEPS9_SG_NS0_5tupleIJPjSI_NS0_16reverse_iteratorISI_EEEEENSH_IJSG_SG_SG_EEES9_SI_JZNS1_25segmented_radix_sort_implINS0_14default_configELb1EPKlPlSQ_SR_N2at6native12_GLOBAL__N_18offset_tEEE10hipError_tPvRmT1_PNSt15iterator_traitsISZ_E10value_typeET2_T3_PNS10_IS15_E10value_typeET4_jRbjT5_S1B_jjP12ihipStream_tbEUljE_ZNSN_ISO_Lb1ESQ_SR_SQ_SR_SV_EESW_SX_SY_SZ_S13_S14_S15_S18_S19_jS1A_jS1B_S1B_jjS1D_bEUljE0_EEESW_SX_SY_S15_S19_S1B_T6_T7_T9_mT8_S1D_bDpT10_ENKUlT_T0_E_clISt17integral_constantIbLb1EES1Q_IbLb0EEEEDaS1M_S1N_EUlS1M_E_NS1_11comp_targetILNS1_3genE10ELNS1_11target_archE1200ELNS1_3gpuE4ELNS1_3repE0EEENS1_30default_config_static_selectorELNS0_4arch9wavefront6targetE0EEEvSZ_,comdat
.Lfunc_end655:
	.size	_ZN7rocprim17ROCPRIM_400000_NS6detail17trampoline_kernelINS0_13select_configILj256ELj13ELNS0_17block_load_methodE3ELS4_3ELS4_3ELNS0_20block_scan_algorithmE0ELj4294967295EEENS1_25partition_config_selectorILNS1_17partition_subalgoE4EjNS0_10empty_typeEbEEZZNS1_14partition_implILS8_4ELb0ES6_15HIP_vector_typeIjLj2EENS0_17counting_iteratorIjlEEPS9_SG_NS0_5tupleIJPjSI_NS0_16reverse_iteratorISI_EEEEENSH_IJSG_SG_SG_EEES9_SI_JZNS1_25segmented_radix_sort_implINS0_14default_configELb1EPKlPlSQ_SR_N2at6native12_GLOBAL__N_18offset_tEEE10hipError_tPvRmT1_PNSt15iterator_traitsISZ_E10value_typeET2_T3_PNS10_IS15_E10value_typeET4_jRbjT5_S1B_jjP12ihipStream_tbEUljE_ZNSN_ISO_Lb1ESQ_SR_SQ_SR_SV_EESW_SX_SY_SZ_S13_S14_S15_S18_S19_jS1A_jS1B_S1B_jjS1D_bEUljE0_EEESW_SX_SY_S15_S19_S1B_T6_T7_T9_mT8_S1D_bDpT10_ENKUlT_T0_E_clISt17integral_constantIbLb1EES1Q_IbLb0EEEEDaS1M_S1N_EUlS1M_E_NS1_11comp_targetILNS1_3genE10ELNS1_11target_archE1200ELNS1_3gpuE4ELNS1_3repE0EEENS1_30default_config_static_selectorELNS0_4arch9wavefront6targetE0EEEvSZ_, .Lfunc_end655-_ZN7rocprim17ROCPRIM_400000_NS6detail17trampoline_kernelINS0_13select_configILj256ELj13ELNS0_17block_load_methodE3ELS4_3ELS4_3ELNS0_20block_scan_algorithmE0ELj4294967295EEENS1_25partition_config_selectorILNS1_17partition_subalgoE4EjNS0_10empty_typeEbEEZZNS1_14partition_implILS8_4ELb0ES6_15HIP_vector_typeIjLj2EENS0_17counting_iteratorIjlEEPS9_SG_NS0_5tupleIJPjSI_NS0_16reverse_iteratorISI_EEEEENSH_IJSG_SG_SG_EEES9_SI_JZNS1_25segmented_radix_sort_implINS0_14default_configELb1EPKlPlSQ_SR_N2at6native12_GLOBAL__N_18offset_tEEE10hipError_tPvRmT1_PNSt15iterator_traitsISZ_E10value_typeET2_T3_PNS10_IS15_E10value_typeET4_jRbjT5_S1B_jjP12ihipStream_tbEUljE_ZNSN_ISO_Lb1ESQ_SR_SQ_SR_SV_EESW_SX_SY_SZ_S13_S14_S15_S18_S19_jS1A_jS1B_S1B_jjS1D_bEUljE0_EEESW_SX_SY_S15_S19_S1B_T6_T7_T9_mT8_S1D_bDpT10_ENKUlT_T0_E_clISt17integral_constantIbLb1EES1Q_IbLb0EEEEDaS1M_S1N_EUlS1M_E_NS1_11comp_targetILNS1_3genE10ELNS1_11target_archE1200ELNS1_3gpuE4ELNS1_3repE0EEENS1_30default_config_static_selectorELNS0_4arch9wavefront6targetE0EEEvSZ_
                                        ; -- End function
	.set _ZN7rocprim17ROCPRIM_400000_NS6detail17trampoline_kernelINS0_13select_configILj256ELj13ELNS0_17block_load_methodE3ELS4_3ELS4_3ELNS0_20block_scan_algorithmE0ELj4294967295EEENS1_25partition_config_selectorILNS1_17partition_subalgoE4EjNS0_10empty_typeEbEEZZNS1_14partition_implILS8_4ELb0ES6_15HIP_vector_typeIjLj2EENS0_17counting_iteratorIjlEEPS9_SG_NS0_5tupleIJPjSI_NS0_16reverse_iteratorISI_EEEEENSH_IJSG_SG_SG_EEES9_SI_JZNS1_25segmented_radix_sort_implINS0_14default_configELb1EPKlPlSQ_SR_N2at6native12_GLOBAL__N_18offset_tEEE10hipError_tPvRmT1_PNSt15iterator_traitsISZ_E10value_typeET2_T3_PNS10_IS15_E10value_typeET4_jRbjT5_S1B_jjP12ihipStream_tbEUljE_ZNSN_ISO_Lb1ESQ_SR_SQ_SR_SV_EESW_SX_SY_SZ_S13_S14_S15_S18_S19_jS1A_jS1B_S1B_jjS1D_bEUljE0_EEESW_SX_SY_S15_S19_S1B_T6_T7_T9_mT8_S1D_bDpT10_ENKUlT_T0_E_clISt17integral_constantIbLb1EES1Q_IbLb0EEEEDaS1M_S1N_EUlS1M_E_NS1_11comp_targetILNS1_3genE10ELNS1_11target_archE1200ELNS1_3gpuE4ELNS1_3repE0EEENS1_30default_config_static_selectorELNS0_4arch9wavefront6targetE0EEEvSZ_.num_vgpr, 0
	.set _ZN7rocprim17ROCPRIM_400000_NS6detail17trampoline_kernelINS0_13select_configILj256ELj13ELNS0_17block_load_methodE3ELS4_3ELS4_3ELNS0_20block_scan_algorithmE0ELj4294967295EEENS1_25partition_config_selectorILNS1_17partition_subalgoE4EjNS0_10empty_typeEbEEZZNS1_14partition_implILS8_4ELb0ES6_15HIP_vector_typeIjLj2EENS0_17counting_iteratorIjlEEPS9_SG_NS0_5tupleIJPjSI_NS0_16reverse_iteratorISI_EEEEENSH_IJSG_SG_SG_EEES9_SI_JZNS1_25segmented_radix_sort_implINS0_14default_configELb1EPKlPlSQ_SR_N2at6native12_GLOBAL__N_18offset_tEEE10hipError_tPvRmT1_PNSt15iterator_traitsISZ_E10value_typeET2_T3_PNS10_IS15_E10value_typeET4_jRbjT5_S1B_jjP12ihipStream_tbEUljE_ZNSN_ISO_Lb1ESQ_SR_SQ_SR_SV_EESW_SX_SY_SZ_S13_S14_S15_S18_S19_jS1A_jS1B_S1B_jjS1D_bEUljE0_EEESW_SX_SY_S15_S19_S1B_T6_T7_T9_mT8_S1D_bDpT10_ENKUlT_T0_E_clISt17integral_constantIbLb1EES1Q_IbLb0EEEEDaS1M_S1N_EUlS1M_E_NS1_11comp_targetILNS1_3genE10ELNS1_11target_archE1200ELNS1_3gpuE4ELNS1_3repE0EEENS1_30default_config_static_selectorELNS0_4arch9wavefront6targetE0EEEvSZ_.num_agpr, 0
	.set _ZN7rocprim17ROCPRIM_400000_NS6detail17trampoline_kernelINS0_13select_configILj256ELj13ELNS0_17block_load_methodE3ELS4_3ELS4_3ELNS0_20block_scan_algorithmE0ELj4294967295EEENS1_25partition_config_selectorILNS1_17partition_subalgoE4EjNS0_10empty_typeEbEEZZNS1_14partition_implILS8_4ELb0ES6_15HIP_vector_typeIjLj2EENS0_17counting_iteratorIjlEEPS9_SG_NS0_5tupleIJPjSI_NS0_16reverse_iteratorISI_EEEEENSH_IJSG_SG_SG_EEES9_SI_JZNS1_25segmented_radix_sort_implINS0_14default_configELb1EPKlPlSQ_SR_N2at6native12_GLOBAL__N_18offset_tEEE10hipError_tPvRmT1_PNSt15iterator_traitsISZ_E10value_typeET2_T3_PNS10_IS15_E10value_typeET4_jRbjT5_S1B_jjP12ihipStream_tbEUljE_ZNSN_ISO_Lb1ESQ_SR_SQ_SR_SV_EESW_SX_SY_SZ_S13_S14_S15_S18_S19_jS1A_jS1B_S1B_jjS1D_bEUljE0_EEESW_SX_SY_S15_S19_S1B_T6_T7_T9_mT8_S1D_bDpT10_ENKUlT_T0_E_clISt17integral_constantIbLb1EES1Q_IbLb0EEEEDaS1M_S1N_EUlS1M_E_NS1_11comp_targetILNS1_3genE10ELNS1_11target_archE1200ELNS1_3gpuE4ELNS1_3repE0EEENS1_30default_config_static_selectorELNS0_4arch9wavefront6targetE0EEEvSZ_.numbered_sgpr, 0
	.set _ZN7rocprim17ROCPRIM_400000_NS6detail17trampoline_kernelINS0_13select_configILj256ELj13ELNS0_17block_load_methodE3ELS4_3ELS4_3ELNS0_20block_scan_algorithmE0ELj4294967295EEENS1_25partition_config_selectorILNS1_17partition_subalgoE4EjNS0_10empty_typeEbEEZZNS1_14partition_implILS8_4ELb0ES6_15HIP_vector_typeIjLj2EENS0_17counting_iteratorIjlEEPS9_SG_NS0_5tupleIJPjSI_NS0_16reverse_iteratorISI_EEEEENSH_IJSG_SG_SG_EEES9_SI_JZNS1_25segmented_radix_sort_implINS0_14default_configELb1EPKlPlSQ_SR_N2at6native12_GLOBAL__N_18offset_tEEE10hipError_tPvRmT1_PNSt15iterator_traitsISZ_E10value_typeET2_T3_PNS10_IS15_E10value_typeET4_jRbjT5_S1B_jjP12ihipStream_tbEUljE_ZNSN_ISO_Lb1ESQ_SR_SQ_SR_SV_EESW_SX_SY_SZ_S13_S14_S15_S18_S19_jS1A_jS1B_S1B_jjS1D_bEUljE0_EEESW_SX_SY_S15_S19_S1B_T6_T7_T9_mT8_S1D_bDpT10_ENKUlT_T0_E_clISt17integral_constantIbLb1EES1Q_IbLb0EEEEDaS1M_S1N_EUlS1M_E_NS1_11comp_targetILNS1_3genE10ELNS1_11target_archE1200ELNS1_3gpuE4ELNS1_3repE0EEENS1_30default_config_static_selectorELNS0_4arch9wavefront6targetE0EEEvSZ_.num_named_barrier, 0
	.set _ZN7rocprim17ROCPRIM_400000_NS6detail17trampoline_kernelINS0_13select_configILj256ELj13ELNS0_17block_load_methodE3ELS4_3ELS4_3ELNS0_20block_scan_algorithmE0ELj4294967295EEENS1_25partition_config_selectorILNS1_17partition_subalgoE4EjNS0_10empty_typeEbEEZZNS1_14partition_implILS8_4ELb0ES6_15HIP_vector_typeIjLj2EENS0_17counting_iteratorIjlEEPS9_SG_NS0_5tupleIJPjSI_NS0_16reverse_iteratorISI_EEEEENSH_IJSG_SG_SG_EEES9_SI_JZNS1_25segmented_radix_sort_implINS0_14default_configELb1EPKlPlSQ_SR_N2at6native12_GLOBAL__N_18offset_tEEE10hipError_tPvRmT1_PNSt15iterator_traitsISZ_E10value_typeET2_T3_PNS10_IS15_E10value_typeET4_jRbjT5_S1B_jjP12ihipStream_tbEUljE_ZNSN_ISO_Lb1ESQ_SR_SQ_SR_SV_EESW_SX_SY_SZ_S13_S14_S15_S18_S19_jS1A_jS1B_S1B_jjS1D_bEUljE0_EEESW_SX_SY_S15_S19_S1B_T6_T7_T9_mT8_S1D_bDpT10_ENKUlT_T0_E_clISt17integral_constantIbLb1EES1Q_IbLb0EEEEDaS1M_S1N_EUlS1M_E_NS1_11comp_targetILNS1_3genE10ELNS1_11target_archE1200ELNS1_3gpuE4ELNS1_3repE0EEENS1_30default_config_static_selectorELNS0_4arch9wavefront6targetE0EEEvSZ_.private_seg_size, 0
	.set _ZN7rocprim17ROCPRIM_400000_NS6detail17trampoline_kernelINS0_13select_configILj256ELj13ELNS0_17block_load_methodE3ELS4_3ELS4_3ELNS0_20block_scan_algorithmE0ELj4294967295EEENS1_25partition_config_selectorILNS1_17partition_subalgoE4EjNS0_10empty_typeEbEEZZNS1_14partition_implILS8_4ELb0ES6_15HIP_vector_typeIjLj2EENS0_17counting_iteratorIjlEEPS9_SG_NS0_5tupleIJPjSI_NS0_16reverse_iteratorISI_EEEEENSH_IJSG_SG_SG_EEES9_SI_JZNS1_25segmented_radix_sort_implINS0_14default_configELb1EPKlPlSQ_SR_N2at6native12_GLOBAL__N_18offset_tEEE10hipError_tPvRmT1_PNSt15iterator_traitsISZ_E10value_typeET2_T3_PNS10_IS15_E10value_typeET4_jRbjT5_S1B_jjP12ihipStream_tbEUljE_ZNSN_ISO_Lb1ESQ_SR_SQ_SR_SV_EESW_SX_SY_SZ_S13_S14_S15_S18_S19_jS1A_jS1B_S1B_jjS1D_bEUljE0_EEESW_SX_SY_S15_S19_S1B_T6_T7_T9_mT8_S1D_bDpT10_ENKUlT_T0_E_clISt17integral_constantIbLb1EES1Q_IbLb0EEEEDaS1M_S1N_EUlS1M_E_NS1_11comp_targetILNS1_3genE10ELNS1_11target_archE1200ELNS1_3gpuE4ELNS1_3repE0EEENS1_30default_config_static_selectorELNS0_4arch9wavefront6targetE0EEEvSZ_.uses_vcc, 0
	.set _ZN7rocprim17ROCPRIM_400000_NS6detail17trampoline_kernelINS0_13select_configILj256ELj13ELNS0_17block_load_methodE3ELS4_3ELS4_3ELNS0_20block_scan_algorithmE0ELj4294967295EEENS1_25partition_config_selectorILNS1_17partition_subalgoE4EjNS0_10empty_typeEbEEZZNS1_14partition_implILS8_4ELb0ES6_15HIP_vector_typeIjLj2EENS0_17counting_iteratorIjlEEPS9_SG_NS0_5tupleIJPjSI_NS0_16reverse_iteratorISI_EEEEENSH_IJSG_SG_SG_EEES9_SI_JZNS1_25segmented_radix_sort_implINS0_14default_configELb1EPKlPlSQ_SR_N2at6native12_GLOBAL__N_18offset_tEEE10hipError_tPvRmT1_PNSt15iterator_traitsISZ_E10value_typeET2_T3_PNS10_IS15_E10value_typeET4_jRbjT5_S1B_jjP12ihipStream_tbEUljE_ZNSN_ISO_Lb1ESQ_SR_SQ_SR_SV_EESW_SX_SY_SZ_S13_S14_S15_S18_S19_jS1A_jS1B_S1B_jjS1D_bEUljE0_EEESW_SX_SY_S15_S19_S1B_T6_T7_T9_mT8_S1D_bDpT10_ENKUlT_T0_E_clISt17integral_constantIbLb1EES1Q_IbLb0EEEEDaS1M_S1N_EUlS1M_E_NS1_11comp_targetILNS1_3genE10ELNS1_11target_archE1200ELNS1_3gpuE4ELNS1_3repE0EEENS1_30default_config_static_selectorELNS0_4arch9wavefront6targetE0EEEvSZ_.uses_flat_scratch, 0
	.set _ZN7rocprim17ROCPRIM_400000_NS6detail17trampoline_kernelINS0_13select_configILj256ELj13ELNS0_17block_load_methodE3ELS4_3ELS4_3ELNS0_20block_scan_algorithmE0ELj4294967295EEENS1_25partition_config_selectorILNS1_17partition_subalgoE4EjNS0_10empty_typeEbEEZZNS1_14partition_implILS8_4ELb0ES6_15HIP_vector_typeIjLj2EENS0_17counting_iteratorIjlEEPS9_SG_NS0_5tupleIJPjSI_NS0_16reverse_iteratorISI_EEEEENSH_IJSG_SG_SG_EEES9_SI_JZNS1_25segmented_radix_sort_implINS0_14default_configELb1EPKlPlSQ_SR_N2at6native12_GLOBAL__N_18offset_tEEE10hipError_tPvRmT1_PNSt15iterator_traitsISZ_E10value_typeET2_T3_PNS10_IS15_E10value_typeET4_jRbjT5_S1B_jjP12ihipStream_tbEUljE_ZNSN_ISO_Lb1ESQ_SR_SQ_SR_SV_EESW_SX_SY_SZ_S13_S14_S15_S18_S19_jS1A_jS1B_S1B_jjS1D_bEUljE0_EEESW_SX_SY_S15_S19_S1B_T6_T7_T9_mT8_S1D_bDpT10_ENKUlT_T0_E_clISt17integral_constantIbLb1EES1Q_IbLb0EEEEDaS1M_S1N_EUlS1M_E_NS1_11comp_targetILNS1_3genE10ELNS1_11target_archE1200ELNS1_3gpuE4ELNS1_3repE0EEENS1_30default_config_static_selectorELNS0_4arch9wavefront6targetE0EEEvSZ_.has_dyn_sized_stack, 0
	.set _ZN7rocprim17ROCPRIM_400000_NS6detail17trampoline_kernelINS0_13select_configILj256ELj13ELNS0_17block_load_methodE3ELS4_3ELS4_3ELNS0_20block_scan_algorithmE0ELj4294967295EEENS1_25partition_config_selectorILNS1_17partition_subalgoE4EjNS0_10empty_typeEbEEZZNS1_14partition_implILS8_4ELb0ES6_15HIP_vector_typeIjLj2EENS0_17counting_iteratorIjlEEPS9_SG_NS0_5tupleIJPjSI_NS0_16reverse_iteratorISI_EEEEENSH_IJSG_SG_SG_EEES9_SI_JZNS1_25segmented_radix_sort_implINS0_14default_configELb1EPKlPlSQ_SR_N2at6native12_GLOBAL__N_18offset_tEEE10hipError_tPvRmT1_PNSt15iterator_traitsISZ_E10value_typeET2_T3_PNS10_IS15_E10value_typeET4_jRbjT5_S1B_jjP12ihipStream_tbEUljE_ZNSN_ISO_Lb1ESQ_SR_SQ_SR_SV_EESW_SX_SY_SZ_S13_S14_S15_S18_S19_jS1A_jS1B_S1B_jjS1D_bEUljE0_EEESW_SX_SY_S15_S19_S1B_T6_T7_T9_mT8_S1D_bDpT10_ENKUlT_T0_E_clISt17integral_constantIbLb1EES1Q_IbLb0EEEEDaS1M_S1N_EUlS1M_E_NS1_11comp_targetILNS1_3genE10ELNS1_11target_archE1200ELNS1_3gpuE4ELNS1_3repE0EEENS1_30default_config_static_selectorELNS0_4arch9wavefront6targetE0EEEvSZ_.has_recursion, 0
	.set _ZN7rocprim17ROCPRIM_400000_NS6detail17trampoline_kernelINS0_13select_configILj256ELj13ELNS0_17block_load_methodE3ELS4_3ELS4_3ELNS0_20block_scan_algorithmE0ELj4294967295EEENS1_25partition_config_selectorILNS1_17partition_subalgoE4EjNS0_10empty_typeEbEEZZNS1_14partition_implILS8_4ELb0ES6_15HIP_vector_typeIjLj2EENS0_17counting_iteratorIjlEEPS9_SG_NS0_5tupleIJPjSI_NS0_16reverse_iteratorISI_EEEEENSH_IJSG_SG_SG_EEES9_SI_JZNS1_25segmented_radix_sort_implINS0_14default_configELb1EPKlPlSQ_SR_N2at6native12_GLOBAL__N_18offset_tEEE10hipError_tPvRmT1_PNSt15iterator_traitsISZ_E10value_typeET2_T3_PNS10_IS15_E10value_typeET4_jRbjT5_S1B_jjP12ihipStream_tbEUljE_ZNSN_ISO_Lb1ESQ_SR_SQ_SR_SV_EESW_SX_SY_SZ_S13_S14_S15_S18_S19_jS1A_jS1B_S1B_jjS1D_bEUljE0_EEESW_SX_SY_S15_S19_S1B_T6_T7_T9_mT8_S1D_bDpT10_ENKUlT_T0_E_clISt17integral_constantIbLb1EES1Q_IbLb0EEEEDaS1M_S1N_EUlS1M_E_NS1_11comp_targetILNS1_3genE10ELNS1_11target_archE1200ELNS1_3gpuE4ELNS1_3repE0EEENS1_30default_config_static_selectorELNS0_4arch9wavefront6targetE0EEEvSZ_.has_indirect_call, 0
	.section	.AMDGPU.csdata,"",@progbits
; Kernel info:
; codeLenInByte = 0
; TotalNumSgprs: 0
; NumVgprs: 0
; ScratchSize: 0
; MemoryBound: 0
; FloatMode: 240
; IeeeMode: 1
; LDSByteSize: 0 bytes/workgroup (compile time only)
; SGPRBlocks: 0
; VGPRBlocks: 0
; NumSGPRsForWavesPerEU: 1
; NumVGPRsForWavesPerEU: 1
; Occupancy: 16
; WaveLimiterHint : 0
; COMPUTE_PGM_RSRC2:SCRATCH_EN: 0
; COMPUTE_PGM_RSRC2:USER_SGPR: 6
; COMPUTE_PGM_RSRC2:TRAP_HANDLER: 0
; COMPUTE_PGM_RSRC2:TGID_X_EN: 1
; COMPUTE_PGM_RSRC2:TGID_Y_EN: 0
; COMPUTE_PGM_RSRC2:TGID_Z_EN: 0
; COMPUTE_PGM_RSRC2:TIDIG_COMP_CNT: 0
	.section	.text._ZN7rocprim17ROCPRIM_400000_NS6detail17trampoline_kernelINS0_13select_configILj256ELj13ELNS0_17block_load_methodE3ELS4_3ELS4_3ELNS0_20block_scan_algorithmE0ELj4294967295EEENS1_25partition_config_selectorILNS1_17partition_subalgoE4EjNS0_10empty_typeEbEEZZNS1_14partition_implILS8_4ELb0ES6_15HIP_vector_typeIjLj2EENS0_17counting_iteratorIjlEEPS9_SG_NS0_5tupleIJPjSI_NS0_16reverse_iteratorISI_EEEEENSH_IJSG_SG_SG_EEES9_SI_JZNS1_25segmented_radix_sort_implINS0_14default_configELb1EPKlPlSQ_SR_N2at6native12_GLOBAL__N_18offset_tEEE10hipError_tPvRmT1_PNSt15iterator_traitsISZ_E10value_typeET2_T3_PNS10_IS15_E10value_typeET4_jRbjT5_S1B_jjP12ihipStream_tbEUljE_ZNSN_ISO_Lb1ESQ_SR_SQ_SR_SV_EESW_SX_SY_SZ_S13_S14_S15_S18_S19_jS1A_jS1B_S1B_jjS1D_bEUljE0_EEESW_SX_SY_S15_S19_S1B_T6_T7_T9_mT8_S1D_bDpT10_ENKUlT_T0_E_clISt17integral_constantIbLb1EES1Q_IbLb0EEEEDaS1M_S1N_EUlS1M_E_NS1_11comp_targetILNS1_3genE9ELNS1_11target_archE1100ELNS1_3gpuE3ELNS1_3repE0EEENS1_30default_config_static_selectorELNS0_4arch9wavefront6targetE0EEEvSZ_,"axG",@progbits,_ZN7rocprim17ROCPRIM_400000_NS6detail17trampoline_kernelINS0_13select_configILj256ELj13ELNS0_17block_load_methodE3ELS4_3ELS4_3ELNS0_20block_scan_algorithmE0ELj4294967295EEENS1_25partition_config_selectorILNS1_17partition_subalgoE4EjNS0_10empty_typeEbEEZZNS1_14partition_implILS8_4ELb0ES6_15HIP_vector_typeIjLj2EENS0_17counting_iteratorIjlEEPS9_SG_NS0_5tupleIJPjSI_NS0_16reverse_iteratorISI_EEEEENSH_IJSG_SG_SG_EEES9_SI_JZNS1_25segmented_radix_sort_implINS0_14default_configELb1EPKlPlSQ_SR_N2at6native12_GLOBAL__N_18offset_tEEE10hipError_tPvRmT1_PNSt15iterator_traitsISZ_E10value_typeET2_T3_PNS10_IS15_E10value_typeET4_jRbjT5_S1B_jjP12ihipStream_tbEUljE_ZNSN_ISO_Lb1ESQ_SR_SQ_SR_SV_EESW_SX_SY_SZ_S13_S14_S15_S18_S19_jS1A_jS1B_S1B_jjS1D_bEUljE0_EEESW_SX_SY_S15_S19_S1B_T6_T7_T9_mT8_S1D_bDpT10_ENKUlT_T0_E_clISt17integral_constantIbLb1EES1Q_IbLb0EEEEDaS1M_S1N_EUlS1M_E_NS1_11comp_targetILNS1_3genE9ELNS1_11target_archE1100ELNS1_3gpuE3ELNS1_3repE0EEENS1_30default_config_static_selectorELNS0_4arch9wavefront6targetE0EEEvSZ_,comdat
	.globl	_ZN7rocprim17ROCPRIM_400000_NS6detail17trampoline_kernelINS0_13select_configILj256ELj13ELNS0_17block_load_methodE3ELS4_3ELS4_3ELNS0_20block_scan_algorithmE0ELj4294967295EEENS1_25partition_config_selectorILNS1_17partition_subalgoE4EjNS0_10empty_typeEbEEZZNS1_14partition_implILS8_4ELb0ES6_15HIP_vector_typeIjLj2EENS0_17counting_iteratorIjlEEPS9_SG_NS0_5tupleIJPjSI_NS0_16reverse_iteratorISI_EEEEENSH_IJSG_SG_SG_EEES9_SI_JZNS1_25segmented_radix_sort_implINS0_14default_configELb1EPKlPlSQ_SR_N2at6native12_GLOBAL__N_18offset_tEEE10hipError_tPvRmT1_PNSt15iterator_traitsISZ_E10value_typeET2_T3_PNS10_IS15_E10value_typeET4_jRbjT5_S1B_jjP12ihipStream_tbEUljE_ZNSN_ISO_Lb1ESQ_SR_SQ_SR_SV_EESW_SX_SY_SZ_S13_S14_S15_S18_S19_jS1A_jS1B_S1B_jjS1D_bEUljE0_EEESW_SX_SY_S15_S19_S1B_T6_T7_T9_mT8_S1D_bDpT10_ENKUlT_T0_E_clISt17integral_constantIbLb1EES1Q_IbLb0EEEEDaS1M_S1N_EUlS1M_E_NS1_11comp_targetILNS1_3genE9ELNS1_11target_archE1100ELNS1_3gpuE3ELNS1_3repE0EEENS1_30default_config_static_selectorELNS0_4arch9wavefront6targetE0EEEvSZ_ ; -- Begin function _ZN7rocprim17ROCPRIM_400000_NS6detail17trampoline_kernelINS0_13select_configILj256ELj13ELNS0_17block_load_methodE3ELS4_3ELS4_3ELNS0_20block_scan_algorithmE0ELj4294967295EEENS1_25partition_config_selectorILNS1_17partition_subalgoE4EjNS0_10empty_typeEbEEZZNS1_14partition_implILS8_4ELb0ES6_15HIP_vector_typeIjLj2EENS0_17counting_iteratorIjlEEPS9_SG_NS0_5tupleIJPjSI_NS0_16reverse_iteratorISI_EEEEENSH_IJSG_SG_SG_EEES9_SI_JZNS1_25segmented_radix_sort_implINS0_14default_configELb1EPKlPlSQ_SR_N2at6native12_GLOBAL__N_18offset_tEEE10hipError_tPvRmT1_PNSt15iterator_traitsISZ_E10value_typeET2_T3_PNS10_IS15_E10value_typeET4_jRbjT5_S1B_jjP12ihipStream_tbEUljE_ZNSN_ISO_Lb1ESQ_SR_SQ_SR_SV_EESW_SX_SY_SZ_S13_S14_S15_S18_S19_jS1A_jS1B_S1B_jjS1D_bEUljE0_EEESW_SX_SY_S15_S19_S1B_T6_T7_T9_mT8_S1D_bDpT10_ENKUlT_T0_E_clISt17integral_constantIbLb1EES1Q_IbLb0EEEEDaS1M_S1N_EUlS1M_E_NS1_11comp_targetILNS1_3genE9ELNS1_11target_archE1100ELNS1_3gpuE3ELNS1_3repE0EEENS1_30default_config_static_selectorELNS0_4arch9wavefront6targetE0EEEvSZ_
	.p2align	8
	.type	_ZN7rocprim17ROCPRIM_400000_NS6detail17trampoline_kernelINS0_13select_configILj256ELj13ELNS0_17block_load_methodE3ELS4_3ELS4_3ELNS0_20block_scan_algorithmE0ELj4294967295EEENS1_25partition_config_selectorILNS1_17partition_subalgoE4EjNS0_10empty_typeEbEEZZNS1_14partition_implILS8_4ELb0ES6_15HIP_vector_typeIjLj2EENS0_17counting_iteratorIjlEEPS9_SG_NS0_5tupleIJPjSI_NS0_16reverse_iteratorISI_EEEEENSH_IJSG_SG_SG_EEES9_SI_JZNS1_25segmented_radix_sort_implINS0_14default_configELb1EPKlPlSQ_SR_N2at6native12_GLOBAL__N_18offset_tEEE10hipError_tPvRmT1_PNSt15iterator_traitsISZ_E10value_typeET2_T3_PNS10_IS15_E10value_typeET4_jRbjT5_S1B_jjP12ihipStream_tbEUljE_ZNSN_ISO_Lb1ESQ_SR_SQ_SR_SV_EESW_SX_SY_SZ_S13_S14_S15_S18_S19_jS1A_jS1B_S1B_jjS1D_bEUljE0_EEESW_SX_SY_S15_S19_S1B_T6_T7_T9_mT8_S1D_bDpT10_ENKUlT_T0_E_clISt17integral_constantIbLb1EES1Q_IbLb0EEEEDaS1M_S1N_EUlS1M_E_NS1_11comp_targetILNS1_3genE9ELNS1_11target_archE1100ELNS1_3gpuE3ELNS1_3repE0EEENS1_30default_config_static_selectorELNS0_4arch9wavefront6targetE0EEEvSZ_,@function
_ZN7rocprim17ROCPRIM_400000_NS6detail17trampoline_kernelINS0_13select_configILj256ELj13ELNS0_17block_load_methodE3ELS4_3ELS4_3ELNS0_20block_scan_algorithmE0ELj4294967295EEENS1_25partition_config_selectorILNS1_17partition_subalgoE4EjNS0_10empty_typeEbEEZZNS1_14partition_implILS8_4ELb0ES6_15HIP_vector_typeIjLj2EENS0_17counting_iteratorIjlEEPS9_SG_NS0_5tupleIJPjSI_NS0_16reverse_iteratorISI_EEEEENSH_IJSG_SG_SG_EEES9_SI_JZNS1_25segmented_radix_sort_implINS0_14default_configELb1EPKlPlSQ_SR_N2at6native12_GLOBAL__N_18offset_tEEE10hipError_tPvRmT1_PNSt15iterator_traitsISZ_E10value_typeET2_T3_PNS10_IS15_E10value_typeET4_jRbjT5_S1B_jjP12ihipStream_tbEUljE_ZNSN_ISO_Lb1ESQ_SR_SQ_SR_SV_EESW_SX_SY_SZ_S13_S14_S15_S18_S19_jS1A_jS1B_S1B_jjS1D_bEUljE0_EEESW_SX_SY_S15_S19_S1B_T6_T7_T9_mT8_S1D_bDpT10_ENKUlT_T0_E_clISt17integral_constantIbLb1EES1Q_IbLb0EEEEDaS1M_S1N_EUlS1M_E_NS1_11comp_targetILNS1_3genE9ELNS1_11target_archE1100ELNS1_3gpuE3ELNS1_3repE0EEENS1_30default_config_static_selectorELNS0_4arch9wavefront6targetE0EEEvSZ_: ; @_ZN7rocprim17ROCPRIM_400000_NS6detail17trampoline_kernelINS0_13select_configILj256ELj13ELNS0_17block_load_methodE3ELS4_3ELS4_3ELNS0_20block_scan_algorithmE0ELj4294967295EEENS1_25partition_config_selectorILNS1_17partition_subalgoE4EjNS0_10empty_typeEbEEZZNS1_14partition_implILS8_4ELb0ES6_15HIP_vector_typeIjLj2EENS0_17counting_iteratorIjlEEPS9_SG_NS0_5tupleIJPjSI_NS0_16reverse_iteratorISI_EEEEENSH_IJSG_SG_SG_EEES9_SI_JZNS1_25segmented_radix_sort_implINS0_14default_configELb1EPKlPlSQ_SR_N2at6native12_GLOBAL__N_18offset_tEEE10hipError_tPvRmT1_PNSt15iterator_traitsISZ_E10value_typeET2_T3_PNS10_IS15_E10value_typeET4_jRbjT5_S1B_jjP12ihipStream_tbEUljE_ZNSN_ISO_Lb1ESQ_SR_SQ_SR_SV_EESW_SX_SY_SZ_S13_S14_S15_S18_S19_jS1A_jS1B_S1B_jjS1D_bEUljE0_EEESW_SX_SY_S15_S19_S1B_T6_T7_T9_mT8_S1D_bDpT10_ENKUlT_T0_E_clISt17integral_constantIbLb1EES1Q_IbLb0EEEEDaS1M_S1N_EUlS1M_E_NS1_11comp_targetILNS1_3genE9ELNS1_11target_archE1100ELNS1_3gpuE3ELNS1_3repE0EEENS1_30default_config_static_selectorELNS0_4arch9wavefront6targetE0EEEvSZ_
; %bb.0:
	.section	.rodata,"a",@progbits
	.p2align	6, 0x0
	.amdhsa_kernel _ZN7rocprim17ROCPRIM_400000_NS6detail17trampoline_kernelINS0_13select_configILj256ELj13ELNS0_17block_load_methodE3ELS4_3ELS4_3ELNS0_20block_scan_algorithmE0ELj4294967295EEENS1_25partition_config_selectorILNS1_17partition_subalgoE4EjNS0_10empty_typeEbEEZZNS1_14partition_implILS8_4ELb0ES6_15HIP_vector_typeIjLj2EENS0_17counting_iteratorIjlEEPS9_SG_NS0_5tupleIJPjSI_NS0_16reverse_iteratorISI_EEEEENSH_IJSG_SG_SG_EEES9_SI_JZNS1_25segmented_radix_sort_implINS0_14default_configELb1EPKlPlSQ_SR_N2at6native12_GLOBAL__N_18offset_tEEE10hipError_tPvRmT1_PNSt15iterator_traitsISZ_E10value_typeET2_T3_PNS10_IS15_E10value_typeET4_jRbjT5_S1B_jjP12ihipStream_tbEUljE_ZNSN_ISO_Lb1ESQ_SR_SQ_SR_SV_EESW_SX_SY_SZ_S13_S14_S15_S18_S19_jS1A_jS1B_S1B_jjS1D_bEUljE0_EEESW_SX_SY_S15_S19_S1B_T6_T7_T9_mT8_S1D_bDpT10_ENKUlT_T0_E_clISt17integral_constantIbLb1EES1Q_IbLb0EEEEDaS1M_S1N_EUlS1M_E_NS1_11comp_targetILNS1_3genE9ELNS1_11target_archE1100ELNS1_3gpuE3ELNS1_3repE0EEENS1_30default_config_static_selectorELNS0_4arch9wavefront6targetE0EEEvSZ_
		.amdhsa_group_segment_fixed_size 0
		.amdhsa_private_segment_fixed_size 0
		.amdhsa_kernarg_size 176
		.amdhsa_user_sgpr_count 6
		.amdhsa_user_sgpr_private_segment_buffer 1
		.amdhsa_user_sgpr_dispatch_ptr 0
		.amdhsa_user_sgpr_queue_ptr 0
		.amdhsa_user_sgpr_kernarg_segment_ptr 1
		.amdhsa_user_sgpr_dispatch_id 0
		.amdhsa_user_sgpr_flat_scratch_init 0
		.amdhsa_user_sgpr_private_segment_size 0
		.amdhsa_wavefront_size32 1
		.amdhsa_uses_dynamic_stack 0
		.amdhsa_system_sgpr_private_segment_wavefront_offset 0
		.amdhsa_system_sgpr_workgroup_id_x 1
		.amdhsa_system_sgpr_workgroup_id_y 0
		.amdhsa_system_sgpr_workgroup_id_z 0
		.amdhsa_system_sgpr_workgroup_info 0
		.amdhsa_system_vgpr_workitem_id 0
		.amdhsa_next_free_vgpr 1
		.amdhsa_next_free_sgpr 1
		.amdhsa_reserve_vcc 0
		.amdhsa_reserve_flat_scratch 0
		.amdhsa_float_round_mode_32 0
		.amdhsa_float_round_mode_16_64 0
		.amdhsa_float_denorm_mode_32 3
		.amdhsa_float_denorm_mode_16_64 3
		.amdhsa_dx10_clamp 1
		.amdhsa_ieee_mode 1
		.amdhsa_fp16_overflow 0
		.amdhsa_workgroup_processor_mode 1
		.amdhsa_memory_ordered 1
		.amdhsa_forward_progress 1
		.amdhsa_shared_vgpr_count 0
		.amdhsa_exception_fp_ieee_invalid_op 0
		.amdhsa_exception_fp_denorm_src 0
		.amdhsa_exception_fp_ieee_div_zero 0
		.amdhsa_exception_fp_ieee_overflow 0
		.amdhsa_exception_fp_ieee_underflow 0
		.amdhsa_exception_fp_ieee_inexact 0
		.amdhsa_exception_int_div_zero 0
	.end_amdhsa_kernel
	.section	.text._ZN7rocprim17ROCPRIM_400000_NS6detail17trampoline_kernelINS0_13select_configILj256ELj13ELNS0_17block_load_methodE3ELS4_3ELS4_3ELNS0_20block_scan_algorithmE0ELj4294967295EEENS1_25partition_config_selectorILNS1_17partition_subalgoE4EjNS0_10empty_typeEbEEZZNS1_14partition_implILS8_4ELb0ES6_15HIP_vector_typeIjLj2EENS0_17counting_iteratorIjlEEPS9_SG_NS0_5tupleIJPjSI_NS0_16reverse_iteratorISI_EEEEENSH_IJSG_SG_SG_EEES9_SI_JZNS1_25segmented_radix_sort_implINS0_14default_configELb1EPKlPlSQ_SR_N2at6native12_GLOBAL__N_18offset_tEEE10hipError_tPvRmT1_PNSt15iterator_traitsISZ_E10value_typeET2_T3_PNS10_IS15_E10value_typeET4_jRbjT5_S1B_jjP12ihipStream_tbEUljE_ZNSN_ISO_Lb1ESQ_SR_SQ_SR_SV_EESW_SX_SY_SZ_S13_S14_S15_S18_S19_jS1A_jS1B_S1B_jjS1D_bEUljE0_EEESW_SX_SY_S15_S19_S1B_T6_T7_T9_mT8_S1D_bDpT10_ENKUlT_T0_E_clISt17integral_constantIbLb1EES1Q_IbLb0EEEEDaS1M_S1N_EUlS1M_E_NS1_11comp_targetILNS1_3genE9ELNS1_11target_archE1100ELNS1_3gpuE3ELNS1_3repE0EEENS1_30default_config_static_selectorELNS0_4arch9wavefront6targetE0EEEvSZ_,"axG",@progbits,_ZN7rocprim17ROCPRIM_400000_NS6detail17trampoline_kernelINS0_13select_configILj256ELj13ELNS0_17block_load_methodE3ELS4_3ELS4_3ELNS0_20block_scan_algorithmE0ELj4294967295EEENS1_25partition_config_selectorILNS1_17partition_subalgoE4EjNS0_10empty_typeEbEEZZNS1_14partition_implILS8_4ELb0ES6_15HIP_vector_typeIjLj2EENS0_17counting_iteratorIjlEEPS9_SG_NS0_5tupleIJPjSI_NS0_16reverse_iteratorISI_EEEEENSH_IJSG_SG_SG_EEES9_SI_JZNS1_25segmented_radix_sort_implINS0_14default_configELb1EPKlPlSQ_SR_N2at6native12_GLOBAL__N_18offset_tEEE10hipError_tPvRmT1_PNSt15iterator_traitsISZ_E10value_typeET2_T3_PNS10_IS15_E10value_typeET4_jRbjT5_S1B_jjP12ihipStream_tbEUljE_ZNSN_ISO_Lb1ESQ_SR_SQ_SR_SV_EESW_SX_SY_SZ_S13_S14_S15_S18_S19_jS1A_jS1B_S1B_jjS1D_bEUljE0_EEESW_SX_SY_S15_S19_S1B_T6_T7_T9_mT8_S1D_bDpT10_ENKUlT_T0_E_clISt17integral_constantIbLb1EES1Q_IbLb0EEEEDaS1M_S1N_EUlS1M_E_NS1_11comp_targetILNS1_3genE9ELNS1_11target_archE1100ELNS1_3gpuE3ELNS1_3repE0EEENS1_30default_config_static_selectorELNS0_4arch9wavefront6targetE0EEEvSZ_,comdat
.Lfunc_end656:
	.size	_ZN7rocprim17ROCPRIM_400000_NS6detail17trampoline_kernelINS0_13select_configILj256ELj13ELNS0_17block_load_methodE3ELS4_3ELS4_3ELNS0_20block_scan_algorithmE0ELj4294967295EEENS1_25partition_config_selectorILNS1_17partition_subalgoE4EjNS0_10empty_typeEbEEZZNS1_14partition_implILS8_4ELb0ES6_15HIP_vector_typeIjLj2EENS0_17counting_iteratorIjlEEPS9_SG_NS0_5tupleIJPjSI_NS0_16reverse_iteratorISI_EEEEENSH_IJSG_SG_SG_EEES9_SI_JZNS1_25segmented_radix_sort_implINS0_14default_configELb1EPKlPlSQ_SR_N2at6native12_GLOBAL__N_18offset_tEEE10hipError_tPvRmT1_PNSt15iterator_traitsISZ_E10value_typeET2_T3_PNS10_IS15_E10value_typeET4_jRbjT5_S1B_jjP12ihipStream_tbEUljE_ZNSN_ISO_Lb1ESQ_SR_SQ_SR_SV_EESW_SX_SY_SZ_S13_S14_S15_S18_S19_jS1A_jS1B_S1B_jjS1D_bEUljE0_EEESW_SX_SY_S15_S19_S1B_T6_T7_T9_mT8_S1D_bDpT10_ENKUlT_T0_E_clISt17integral_constantIbLb1EES1Q_IbLb0EEEEDaS1M_S1N_EUlS1M_E_NS1_11comp_targetILNS1_3genE9ELNS1_11target_archE1100ELNS1_3gpuE3ELNS1_3repE0EEENS1_30default_config_static_selectorELNS0_4arch9wavefront6targetE0EEEvSZ_, .Lfunc_end656-_ZN7rocprim17ROCPRIM_400000_NS6detail17trampoline_kernelINS0_13select_configILj256ELj13ELNS0_17block_load_methodE3ELS4_3ELS4_3ELNS0_20block_scan_algorithmE0ELj4294967295EEENS1_25partition_config_selectorILNS1_17partition_subalgoE4EjNS0_10empty_typeEbEEZZNS1_14partition_implILS8_4ELb0ES6_15HIP_vector_typeIjLj2EENS0_17counting_iteratorIjlEEPS9_SG_NS0_5tupleIJPjSI_NS0_16reverse_iteratorISI_EEEEENSH_IJSG_SG_SG_EEES9_SI_JZNS1_25segmented_radix_sort_implINS0_14default_configELb1EPKlPlSQ_SR_N2at6native12_GLOBAL__N_18offset_tEEE10hipError_tPvRmT1_PNSt15iterator_traitsISZ_E10value_typeET2_T3_PNS10_IS15_E10value_typeET4_jRbjT5_S1B_jjP12ihipStream_tbEUljE_ZNSN_ISO_Lb1ESQ_SR_SQ_SR_SV_EESW_SX_SY_SZ_S13_S14_S15_S18_S19_jS1A_jS1B_S1B_jjS1D_bEUljE0_EEESW_SX_SY_S15_S19_S1B_T6_T7_T9_mT8_S1D_bDpT10_ENKUlT_T0_E_clISt17integral_constantIbLb1EES1Q_IbLb0EEEEDaS1M_S1N_EUlS1M_E_NS1_11comp_targetILNS1_3genE9ELNS1_11target_archE1100ELNS1_3gpuE3ELNS1_3repE0EEENS1_30default_config_static_selectorELNS0_4arch9wavefront6targetE0EEEvSZ_
                                        ; -- End function
	.set _ZN7rocprim17ROCPRIM_400000_NS6detail17trampoline_kernelINS0_13select_configILj256ELj13ELNS0_17block_load_methodE3ELS4_3ELS4_3ELNS0_20block_scan_algorithmE0ELj4294967295EEENS1_25partition_config_selectorILNS1_17partition_subalgoE4EjNS0_10empty_typeEbEEZZNS1_14partition_implILS8_4ELb0ES6_15HIP_vector_typeIjLj2EENS0_17counting_iteratorIjlEEPS9_SG_NS0_5tupleIJPjSI_NS0_16reverse_iteratorISI_EEEEENSH_IJSG_SG_SG_EEES9_SI_JZNS1_25segmented_radix_sort_implINS0_14default_configELb1EPKlPlSQ_SR_N2at6native12_GLOBAL__N_18offset_tEEE10hipError_tPvRmT1_PNSt15iterator_traitsISZ_E10value_typeET2_T3_PNS10_IS15_E10value_typeET4_jRbjT5_S1B_jjP12ihipStream_tbEUljE_ZNSN_ISO_Lb1ESQ_SR_SQ_SR_SV_EESW_SX_SY_SZ_S13_S14_S15_S18_S19_jS1A_jS1B_S1B_jjS1D_bEUljE0_EEESW_SX_SY_S15_S19_S1B_T6_T7_T9_mT8_S1D_bDpT10_ENKUlT_T0_E_clISt17integral_constantIbLb1EES1Q_IbLb0EEEEDaS1M_S1N_EUlS1M_E_NS1_11comp_targetILNS1_3genE9ELNS1_11target_archE1100ELNS1_3gpuE3ELNS1_3repE0EEENS1_30default_config_static_selectorELNS0_4arch9wavefront6targetE0EEEvSZ_.num_vgpr, 0
	.set _ZN7rocprim17ROCPRIM_400000_NS6detail17trampoline_kernelINS0_13select_configILj256ELj13ELNS0_17block_load_methodE3ELS4_3ELS4_3ELNS0_20block_scan_algorithmE0ELj4294967295EEENS1_25partition_config_selectorILNS1_17partition_subalgoE4EjNS0_10empty_typeEbEEZZNS1_14partition_implILS8_4ELb0ES6_15HIP_vector_typeIjLj2EENS0_17counting_iteratorIjlEEPS9_SG_NS0_5tupleIJPjSI_NS0_16reverse_iteratorISI_EEEEENSH_IJSG_SG_SG_EEES9_SI_JZNS1_25segmented_radix_sort_implINS0_14default_configELb1EPKlPlSQ_SR_N2at6native12_GLOBAL__N_18offset_tEEE10hipError_tPvRmT1_PNSt15iterator_traitsISZ_E10value_typeET2_T3_PNS10_IS15_E10value_typeET4_jRbjT5_S1B_jjP12ihipStream_tbEUljE_ZNSN_ISO_Lb1ESQ_SR_SQ_SR_SV_EESW_SX_SY_SZ_S13_S14_S15_S18_S19_jS1A_jS1B_S1B_jjS1D_bEUljE0_EEESW_SX_SY_S15_S19_S1B_T6_T7_T9_mT8_S1D_bDpT10_ENKUlT_T0_E_clISt17integral_constantIbLb1EES1Q_IbLb0EEEEDaS1M_S1N_EUlS1M_E_NS1_11comp_targetILNS1_3genE9ELNS1_11target_archE1100ELNS1_3gpuE3ELNS1_3repE0EEENS1_30default_config_static_selectorELNS0_4arch9wavefront6targetE0EEEvSZ_.num_agpr, 0
	.set _ZN7rocprim17ROCPRIM_400000_NS6detail17trampoline_kernelINS0_13select_configILj256ELj13ELNS0_17block_load_methodE3ELS4_3ELS4_3ELNS0_20block_scan_algorithmE0ELj4294967295EEENS1_25partition_config_selectorILNS1_17partition_subalgoE4EjNS0_10empty_typeEbEEZZNS1_14partition_implILS8_4ELb0ES6_15HIP_vector_typeIjLj2EENS0_17counting_iteratorIjlEEPS9_SG_NS0_5tupleIJPjSI_NS0_16reverse_iteratorISI_EEEEENSH_IJSG_SG_SG_EEES9_SI_JZNS1_25segmented_radix_sort_implINS0_14default_configELb1EPKlPlSQ_SR_N2at6native12_GLOBAL__N_18offset_tEEE10hipError_tPvRmT1_PNSt15iterator_traitsISZ_E10value_typeET2_T3_PNS10_IS15_E10value_typeET4_jRbjT5_S1B_jjP12ihipStream_tbEUljE_ZNSN_ISO_Lb1ESQ_SR_SQ_SR_SV_EESW_SX_SY_SZ_S13_S14_S15_S18_S19_jS1A_jS1B_S1B_jjS1D_bEUljE0_EEESW_SX_SY_S15_S19_S1B_T6_T7_T9_mT8_S1D_bDpT10_ENKUlT_T0_E_clISt17integral_constantIbLb1EES1Q_IbLb0EEEEDaS1M_S1N_EUlS1M_E_NS1_11comp_targetILNS1_3genE9ELNS1_11target_archE1100ELNS1_3gpuE3ELNS1_3repE0EEENS1_30default_config_static_selectorELNS0_4arch9wavefront6targetE0EEEvSZ_.numbered_sgpr, 0
	.set _ZN7rocprim17ROCPRIM_400000_NS6detail17trampoline_kernelINS0_13select_configILj256ELj13ELNS0_17block_load_methodE3ELS4_3ELS4_3ELNS0_20block_scan_algorithmE0ELj4294967295EEENS1_25partition_config_selectorILNS1_17partition_subalgoE4EjNS0_10empty_typeEbEEZZNS1_14partition_implILS8_4ELb0ES6_15HIP_vector_typeIjLj2EENS0_17counting_iteratorIjlEEPS9_SG_NS0_5tupleIJPjSI_NS0_16reverse_iteratorISI_EEEEENSH_IJSG_SG_SG_EEES9_SI_JZNS1_25segmented_radix_sort_implINS0_14default_configELb1EPKlPlSQ_SR_N2at6native12_GLOBAL__N_18offset_tEEE10hipError_tPvRmT1_PNSt15iterator_traitsISZ_E10value_typeET2_T3_PNS10_IS15_E10value_typeET4_jRbjT5_S1B_jjP12ihipStream_tbEUljE_ZNSN_ISO_Lb1ESQ_SR_SQ_SR_SV_EESW_SX_SY_SZ_S13_S14_S15_S18_S19_jS1A_jS1B_S1B_jjS1D_bEUljE0_EEESW_SX_SY_S15_S19_S1B_T6_T7_T9_mT8_S1D_bDpT10_ENKUlT_T0_E_clISt17integral_constantIbLb1EES1Q_IbLb0EEEEDaS1M_S1N_EUlS1M_E_NS1_11comp_targetILNS1_3genE9ELNS1_11target_archE1100ELNS1_3gpuE3ELNS1_3repE0EEENS1_30default_config_static_selectorELNS0_4arch9wavefront6targetE0EEEvSZ_.num_named_barrier, 0
	.set _ZN7rocprim17ROCPRIM_400000_NS6detail17trampoline_kernelINS0_13select_configILj256ELj13ELNS0_17block_load_methodE3ELS4_3ELS4_3ELNS0_20block_scan_algorithmE0ELj4294967295EEENS1_25partition_config_selectorILNS1_17partition_subalgoE4EjNS0_10empty_typeEbEEZZNS1_14partition_implILS8_4ELb0ES6_15HIP_vector_typeIjLj2EENS0_17counting_iteratorIjlEEPS9_SG_NS0_5tupleIJPjSI_NS0_16reverse_iteratorISI_EEEEENSH_IJSG_SG_SG_EEES9_SI_JZNS1_25segmented_radix_sort_implINS0_14default_configELb1EPKlPlSQ_SR_N2at6native12_GLOBAL__N_18offset_tEEE10hipError_tPvRmT1_PNSt15iterator_traitsISZ_E10value_typeET2_T3_PNS10_IS15_E10value_typeET4_jRbjT5_S1B_jjP12ihipStream_tbEUljE_ZNSN_ISO_Lb1ESQ_SR_SQ_SR_SV_EESW_SX_SY_SZ_S13_S14_S15_S18_S19_jS1A_jS1B_S1B_jjS1D_bEUljE0_EEESW_SX_SY_S15_S19_S1B_T6_T7_T9_mT8_S1D_bDpT10_ENKUlT_T0_E_clISt17integral_constantIbLb1EES1Q_IbLb0EEEEDaS1M_S1N_EUlS1M_E_NS1_11comp_targetILNS1_3genE9ELNS1_11target_archE1100ELNS1_3gpuE3ELNS1_3repE0EEENS1_30default_config_static_selectorELNS0_4arch9wavefront6targetE0EEEvSZ_.private_seg_size, 0
	.set _ZN7rocprim17ROCPRIM_400000_NS6detail17trampoline_kernelINS0_13select_configILj256ELj13ELNS0_17block_load_methodE3ELS4_3ELS4_3ELNS0_20block_scan_algorithmE0ELj4294967295EEENS1_25partition_config_selectorILNS1_17partition_subalgoE4EjNS0_10empty_typeEbEEZZNS1_14partition_implILS8_4ELb0ES6_15HIP_vector_typeIjLj2EENS0_17counting_iteratorIjlEEPS9_SG_NS0_5tupleIJPjSI_NS0_16reverse_iteratorISI_EEEEENSH_IJSG_SG_SG_EEES9_SI_JZNS1_25segmented_radix_sort_implINS0_14default_configELb1EPKlPlSQ_SR_N2at6native12_GLOBAL__N_18offset_tEEE10hipError_tPvRmT1_PNSt15iterator_traitsISZ_E10value_typeET2_T3_PNS10_IS15_E10value_typeET4_jRbjT5_S1B_jjP12ihipStream_tbEUljE_ZNSN_ISO_Lb1ESQ_SR_SQ_SR_SV_EESW_SX_SY_SZ_S13_S14_S15_S18_S19_jS1A_jS1B_S1B_jjS1D_bEUljE0_EEESW_SX_SY_S15_S19_S1B_T6_T7_T9_mT8_S1D_bDpT10_ENKUlT_T0_E_clISt17integral_constantIbLb1EES1Q_IbLb0EEEEDaS1M_S1N_EUlS1M_E_NS1_11comp_targetILNS1_3genE9ELNS1_11target_archE1100ELNS1_3gpuE3ELNS1_3repE0EEENS1_30default_config_static_selectorELNS0_4arch9wavefront6targetE0EEEvSZ_.uses_vcc, 0
	.set _ZN7rocprim17ROCPRIM_400000_NS6detail17trampoline_kernelINS0_13select_configILj256ELj13ELNS0_17block_load_methodE3ELS4_3ELS4_3ELNS0_20block_scan_algorithmE0ELj4294967295EEENS1_25partition_config_selectorILNS1_17partition_subalgoE4EjNS0_10empty_typeEbEEZZNS1_14partition_implILS8_4ELb0ES6_15HIP_vector_typeIjLj2EENS0_17counting_iteratorIjlEEPS9_SG_NS0_5tupleIJPjSI_NS0_16reverse_iteratorISI_EEEEENSH_IJSG_SG_SG_EEES9_SI_JZNS1_25segmented_radix_sort_implINS0_14default_configELb1EPKlPlSQ_SR_N2at6native12_GLOBAL__N_18offset_tEEE10hipError_tPvRmT1_PNSt15iterator_traitsISZ_E10value_typeET2_T3_PNS10_IS15_E10value_typeET4_jRbjT5_S1B_jjP12ihipStream_tbEUljE_ZNSN_ISO_Lb1ESQ_SR_SQ_SR_SV_EESW_SX_SY_SZ_S13_S14_S15_S18_S19_jS1A_jS1B_S1B_jjS1D_bEUljE0_EEESW_SX_SY_S15_S19_S1B_T6_T7_T9_mT8_S1D_bDpT10_ENKUlT_T0_E_clISt17integral_constantIbLb1EES1Q_IbLb0EEEEDaS1M_S1N_EUlS1M_E_NS1_11comp_targetILNS1_3genE9ELNS1_11target_archE1100ELNS1_3gpuE3ELNS1_3repE0EEENS1_30default_config_static_selectorELNS0_4arch9wavefront6targetE0EEEvSZ_.uses_flat_scratch, 0
	.set _ZN7rocprim17ROCPRIM_400000_NS6detail17trampoline_kernelINS0_13select_configILj256ELj13ELNS0_17block_load_methodE3ELS4_3ELS4_3ELNS0_20block_scan_algorithmE0ELj4294967295EEENS1_25partition_config_selectorILNS1_17partition_subalgoE4EjNS0_10empty_typeEbEEZZNS1_14partition_implILS8_4ELb0ES6_15HIP_vector_typeIjLj2EENS0_17counting_iteratorIjlEEPS9_SG_NS0_5tupleIJPjSI_NS0_16reverse_iteratorISI_EEEEENSH_IJSG_SG_SG_EEES9_SI_JZNS1_25segmented_radix_sort_implINS0_14default_configELb1EPKlPlSQ_SR_N2at6native12_GLOBAL__N_18offset_tEEE10hipError_tPvRmT1_PNSt15iterator_traitsISZ_E10value_typeET2_T3_PNS10_IS15_E10value_typeET4_jRbjT5_S1B_jjP12ihipStream_tbEUljE_ZNSN_ISO_Lb1ESQ_SR_SQ_SR_SV_EESW_SX_SY_SZ_S13_S14_S15_S18_S19_jS1A_jS1B_S1B_jjS1D_bEUljE0_EEESW_SX_SY_S15_S19_S1B_T6_T7_T9_mT8_S1D_bDpT10_ENKUlT_T0_E_clISt17integral_constantIbLb1EES1Q_IbLb0EEEEDaS1M_S1N_EUlS1M_E_NS1_11comp_targetILNS1_3genE9ELNS1_11target_archE1100ELNS1_3gpuE3ELNS1_3repE0EEENS1_30default_config_static_selectorELNS0_4arch9wavefront6targetE0EEEvSZ_.has_dyn_sized_stack, 0
	.set _ZN7rocprim17ROCPRIM_400000_NS6detail17trampoline_kernelINS0_13select_configILj256ELj13ELNS0_17block_load_methodE3ELS4_3ELS4_3ELNS0_20block_scan_algorithmE0ELj4294967295EEENS1_25partition_config_selectorILNS1_17partition_subalgoE4EjNS0_10empty_typeEbEEZZNS1_14partition_implILS8_4ELb0ES6_15HIP_vector_typeIjLj2EENS0_17counting_iteratorIjlEEPS9_SG_NS0_5tupleIJPjSI_NS0_16reverse_iteratorISI_EEEEENSH_IJSG_SG_SG_EEES9_SI_JZNS1_25segmented_radix_sort_implINS0_14default_configELb1EPKlPlSQ_SR_N2at6native12_GLOBAL__N_18offset_tEEE10hipError_tPvRmT1_PNSt15iterator_traitsISZ_E10value_typeET2_T3_PNS10_IS15_E10value_typeET4_jRbjT5_S1B_jjP12ihipStream_tbEUljE_ZNSN_ISO_Lb1ESQ_SR_SQ_SR_SV_EESW_SX_SY_SZ_S13_S14_S15_S18_S19_jS1A_jS1B_S1B_jjS1D_bEUljE0_EEESW_SX_SY_S15_S19_S1B_T6_T7_T9_mT8_S1D_bDpT10_ENKUlT_T0_E_clISt17integral_constantIbLb1EES1Q_IbLb0EEEEDaS1M_S1N_EUlS1M_E_NS1_11comp_targetILNS1_3genE9ELNS1_11target_archE1100ELNS1_3gpuE3ELNS1_3repE0EEENS1_30default_config_static_selectorELNS0_4arch9wavefront6targetE0EEEvSZ_.has_recursion, 0
	.set _ZN7rocprim17ROCPRIM_400000_NS6detail17trampoline_kernelINS0_13select_configILj256ELj13ELNS0_17block_load_methodE3ELS4_3ELS4_3ELNS0_20block_scan_algorithmE0ELj4294967295EEENS1_25partition_config_selectorILNS1_17partition_subalgoE4EjNS0_10empty_typeEbEEZZNS1_14partition_implILS8_4ELb0ES6_15HIP_vector_typeIjLj2EENS0_17counting_iteratorIjlEEPS9_SG_NS0_5tupleIJPjSI_NS0_16reverse_iteratorISI_EEEEENSH_IJSG_SG_SG_EEES9_SI_JZNS1_25segmented_radix_sort_implINS0_14default_configELb1EPKlPlSQ_SR_N2at6native12_GLOBAL__N_18offset_tEEE10hipError_tPvRmT1_PNSt15iterator_traitsISZ_E10value_typeET2_T3_PNS10_IS15_E10value_typeET4_jRbjT5_S1B_jjP12ihipStream_tbEUljE_ZNSN_ISO_Lb1ESQ_SR_SQ_SR_SV_EESW_SX_SY_SZ_S13_S14_S15_S18_S19_jS1A_jS1B_S1B_jjS1D_bEUljE0_EEESW_SX_SY_S15_S19_S1B_T6_T7_T9_mT8_S1D_bDpT10_ENKUlT_T0_E_clISt17integral_constantIbLb1EES1Q_IbLb0EEEEDaS1M_S1N_EUlS1M_E_NS1_11comp_targetILNS1_3genE9ELNS1_11target_archE1100ELNS1_3gpuE3ELNS1_3repE0EEENS1_30default_config_static_selectorELNS0_4arch9wavefront6targetE0EEEvSZ_.has_indirect_call, 0
	.section	.AMDGPU.csdata,"",@progbits
; Kernel info:
; codeLenInByte = 0
; TotalNumSgprs: 0
; NumVgprs: 0
; ScratchSize: 0
; MemoryBound: 0
; FloatMode: 240
; IeeeMode: 1
; LDSByteSize: 0 bytes/workgroup (compile time only)
; SGPRBlocks: 0
; VGPRBlocks: 0
; NumSGPRsForWavesPerEU: 1
; NumVGPRsForWavesPerEU: 1
; Occupancy: 16
; WaveLimiterHint : 0
; COMPUTE_PGM_RSRC2:SCRATCH_EN: 0
; COMPUTE_PGM_RSRC2:USER_SGPR: 6
; COMPUTE_PGM_RSRC2:TRAP_HANDLER: 0
; COMPUTE_PGM_RSRC2:TGID_X_EN: 1
; COMPUTE_PGM_RSRC2:TGID_Y_EN: 0
; COMPUTE_PGM_RSRC2:TGID_Z_EN: 0
; COMPUTE_PGM_RSRC2:TIDIG_COMP_CNT: 0
	.section	.text._ZN7rocprim17ROCPRIM_400000_NS6detail17trampoline_kernelINS0_13select_configILj256ELj13ELNS0_17block_load_methodE3ELS4_3ELS4_3ELNS0_20block_scan_algorithmE0ELj4294967295EEENS1_25partition_config_selectorILNS1_17partition_subalgoE4EjNS0_10empty_typeEbEEZZNS1_14partition_implILS8_4ELb0ES6_15HIP_vector_typeIjLj2EENS0_17counting_iteratorIjlEEPS9_SG_NS0_5tupleIJPjSI_NS0_16reverse_iteratorISI_EEEEENSH_IJSG_SG_SG_EEES9_SI_JZNS1_25segmented_radix_sort_implINS0_14default_configELb1EPKlPlSQ_SR_N2at6native12_GLOBAL__N_18offset_tEEE10hipError_tPvRmT1_PNSt15iterator_traitsISZ_E10value_typeET2_T3_PNS10_IS15_E10value_typeET4_jRbjT5_S1B_jjP12ihipStream_tbEUljE_ZNSN_ISO_Lb1ESQ_SR_SQ_SR_SV_EESW_SX_SY_SZ_S13_S14_S15_S18_S19_jS1A_jS1B_S1B_jjS1D_bEUljE0_EEESW_SX_SY_S15_S19_S1B_T6_T7_T9_mT8_S1D_bDpT10_ENKUlT_T0_E_clISt17integral_constantIbLb1EES1Q_IbLb0EEEEDaS1M_S1N_EUlS1M_E_NS1_11comp_targetILNS1_3genE8ELNS1_11target_archE1030ELNS1_3gpuE2ELNS1_3repE0EEENS1_30default_config_static_selectorELNS0_4arch9wavefront6targetE0EEEvSZ_,"axG",@progbits,_ZN7rocprim17ROCPRIM_400000_NS6detail17trampoline_kernelINS0_13select_configILj256ELj13ELNS0_17block_load_methodE3ELS4_3ELS4_3ELNS0_20block_scan_algorithmE0ELj4294967295EEENS1_25partition_config_selectorILNS1_17partition_subalgoE4EjNS0_10empty_typeEbEEZZNS1_14partition_implILS8_4ELb0ES6_15HIP_vector_typeIjLj2EENS0_17counting_iteratorIjlEEPS9_SG_NS0_5tupleIJPjSI_NS0_16reverse_iteratorISI_EEEEENSH_IJSG_SG_SG_EEES9_SI_JZNS1_25segmented_radix_sort_implINS0_14default_configELb1EPKlPlSQ_SR_N2at6native12_GLOBAL__N_18offset_tEEE10hipError_tPvRmT1_PNSt15iterator_traitsISZ_E10value_typeET2_T3_PNS10_IS15_E10value_typeET4_jRbjT5_S1B_jjP12ihipStream_tbEUljE_ZNSN_ISO_Lb1ESQ_SR_SQ_SR_SV_EESW_SX_SY_SZ_S13_S14_S15_S18_S19_jS1A_jS1B_S1B_jjS1D_bEUljE0_EEESW_SX_SY_S15_S19_S1B_T6_T7_T9_mT8_S1D_bDpT10_ENKUlT_T0_E_clISt17integral_constantIbLb1EES1Q_IbLb0EEEEDaS1M_S1N_EUlS1M_E_NS1_11comp_targetILNS1_3genE8ELNS1_11target_archE1030ELNS1_3gpuE2ELNS1_3repE0EEENS1_30default_config_static_selectorELNS0_4arch9wavefront6targetE0EEEvSZ_,comdat
	.globl	_ZN7rocprim17ROCPRIM_400000_NS6detail17trampoline_kernelINS0_13select_configILj256ELj13ELNS0_17block_load_methodE3ELS4_3ELS4_3ELNS0_20block_scan_algorithmE0ELj4294967295EEENS1_25partition_config_selectorILNS1_17partition_subalgoE4EjNS0_10empty_typeEbEEZZNS1_14partition_implILS8_4ELb0ES6_15HIP_vector_typeIjLj2EENS0_17counting_iteratorIjlEEPS9_SG_NS0_5tupleIJPjSI_NS0_16reverse_iteratorISI_EEEEENSH_IJSG_SG_SG_EEES9_SI_JZNS1_25segmented_radix_sort_implINS0_14default_configELb1EPKlPlSQ_SR_N2at6native12_GLOBAL__N_18offset_tEEE10hipError_tPvRmT1_PNSt15iterator_traitsISZ_E10value_typeET2_T3_PNS10_IS15_E10value_typeET4_jRbjT5_S1B_jjP12ihipStream_tbEUljE_ZNSN_ISO_Lb1ESQ_SR_SQ_SR_SV_EESW_SX_SY_SZ_S13_S14_S15_S18_S19_jS1A_jS1B_S1B_jjS1D_bEUljE0_EEESW_SX_SY_S15_S19_S1B_T6_T7_T9_mT8_S1D_bDpT10_ENKUlT_T0_E_clISt17integral_constantIbLb1EES1Q_IbLb0EEEEDaS1M_S1N_EUlS1M_E_NS1_11comp_targetILNS1_3genE8ELNS1_11target_archE1030ELNS1_3gpuE2ELNS1_3repE0EEENS1_30default_config_static_selectorELNS0_4arch9wavefront6targetE0EEEvSZ_ ; -- Begin function _ZN7rocprim17ROCPRIM_400000_NS6detail17trampoline_kernelINS0_13select_configILj256ELj13ELNS0_17block_load_methodE3ELS4_3ELS4_3ELNS0_20block_scan_algorithmE0ELj4294967295EEENS1_25partition_config_selectorILNS1_17partition_subalgoE4EjNS0_10empty_typeEbEEZZNS1_14partition_implILS8_4ELb0ES6_15HIP_vector_typeIjLj2EENS0_17counting_iteratorIjlEEPS9_SG_NS0_5tupleIJPjSI_NS0_16reverse_iteratorISI_EEEEENSH_IJSG_SG_SG_EEES9_SI_JZNS1_25segmented_radix_sort_implINS0_14default_configELb1EPKlPlSQ_SR_N2at6native12_GLOBAL__N_18offset_tEEE10hipError_tPvRmT1_PNSt15iterator_traitsISZ_E10value_typeET2_T3_PNS10_IS15_E10value_typeET4_jRbjT5_S1B_jjP12ihipStream_tbEUljE_ZNSN_ISO_Lb1ESQ_SR_SQ_SR_SV_EESW_SX_SY_SZ_S13_S14_S15_S18_S19_jS1A_jS1B_S1B_jjS1D_bEUljE0_EEESW_SX_SY_S15_S19_S1B_T6_T7_T9_mT8_S1D_bDpT10_ENKUlT_T0_E_clISt17integral_constantIbLb1EES1Q_IbLb0EEEEDaS1M_S1N_EUlS1M_E_NS1_11comp_targetILNS1_3genE8ELNS1_11target_archE1030ELNS1_3gpuE2ELNS1_3repE0EEENS1_30default_config_static_selectorELNS0_4arch9wavefront6targetE0EEEvSZ_
	.p2align	8
	.type	_ZN7rocprim17ROCPRIM_400000_NS6detail17trampoline_kernelINS0_13select_configILj256ELj13ELNS0_17block_load_methodE3ELS4_3ELS4_3ELNS0_20block_scan_algorithmE0ELj4294967295EEENS1_25partition_config_selectorILNS1_17partition_subalgoE4EjNS0_10empty_typeEbEEZZNS1_14partition_implILS8_4ELb0ES6_15HIP_vector_typeIjLj2EENS0_17counting_iteratorIjlEEPS9_SG_NS0_5tupleIJPjSI_NS0_16reverse_iteratorISI_EEEEENSH_IJSG_SG_SG_EEES9_SI_JZNS1_25segmented_radix_sort_implINS0_14default_configELb1EPKlPlSQ_SR_N2at6native12_GLOBAL__N_18offset_tEEE10hipError_tPvRmT1_PNSt15iterator_traitsISZ_E10value_typeET2_T3_PNS10_IS15_E10value_typeET4_jRbjT5_S1B_jjP12ihipStream_tbEUljE_ZNSN_ISO_Lb1ESQ_SR_SQ_SR_SV_EESW_SX_SY_SZ_S13_S14_S15_S18_S19_jS1A_jS1B_S1B_jjS1D_bEUljE0_EEESW_SX_SY_S15_S19_S1B_T6_T7_T9_mT8_S1D_bDpT10_ENKUlT_T0_E_clISt17integral_constantIbLb1EES1Q_IbLb0EEEEDaS1M_S1N_EUlS1M_E_NS1_11comp_targetILNS1_3genE8ELNS1_11target_archE1030ELNS1_3gpuE2ELNS1_3repE0EEENS1_30default_config_static_selectorELNS0_4arch9wavefront6targetE0EEEvSZ_,@function
_ZN7rocprim17ROCPRIM_400000_NS6detail17trampoline_kernelINS0_13select_configILj256ELj13ELNS0_17block_load_methodE3ELS4_3ELS4_3ELNS0_20block_scan_algorithmE0ELj4294967295EEENS1_25partition_config_selectorILNS1_17partition_subalgoE4EjNS0_10empty_typeEbEEZZNS1_14partition_implILS8_4ELb0ES6_15HIP_vector_typeIjLj2EENS0_17counting_iteratorIjlEEPS9_SG_NS0_5tupleIJPjSI_NS0_16reverse_iteratorISI_EEEEENSH_IJSG_SG_SG_EEES9_SI_JZNS1_25segmented_radix_sort_implINS0_14default_configELb1EPKlPlSQ_SR_N2at6native12_GLOBAL__N_18offset_tEEE10hipError_tPvRmT1_PNSt15iterator_traitsISZ_E10value_typeET2_T3_PNS10_IS15_E10value_typeET4_jRbjT5_S1B_jjP12ihipStream_tbEUljE_ZNSN_ISO_Lb1ESQ_SR_SQ_SR_SV_EESW_SX_SY_SZ_S13_S14_S15_S18_S19_jS1A_jS1B_S1B_jjS1D_bEUljE0_EEESW_SX_SY_S15_S19_S1B_T6_T7_T9_mT8_S1D_bDpT10_ENKUlT_T0_E_clISt17integral_constantIbLb1EES1Q_IbLb0EEEEDaS1M_S1N_EUlS1M_E_NS1_11comp_targetILNS1_3genE8ELNS1_11target_archE1030ELNS1_3gpuE2ELNS1_3repE0EEENS1_30default_config_static_selectorELNS0_4arch9wavefront6targetE0EEEvSZ_: ; @_ZN7rocprim17ROCPRIM_400000_NS6detail17trampoline_kernelINS0_13select_configILj256ELj13ELNS0_17block_load_methodE3ELS4_3ELS4_3ELNS0_20block_scan_algorithmE0ELj4294967295EEENS1_25partition_config_selectorILNS1_17partition_subalgoE4EjNS0_10empty_typeEbEEZZNS1_14partition_implILS8_4ELb0ES6_15HIP_vector_typeIjLj2EENS0_17counting_iteratorIjlEEPS9_SG_NS0_5tupleIJPjSI_NS0_16reverse_iteratorISI_EEEEENSH_IJSG_SG_SG_EEES9_SI_JZNS1_25segmented_radix_sort_implINS0_14default_configELb1EPKlPlSQ_SR_N2at6native12_GLOBAL__N_18offset_tEEE10hipError_tPvRmT1_PNSt15iterator_traitsISZ_E10value_typeET2_T3_PNS10_IS15_E10value_typeET4_jRbjT5_S1B_jjP12ihipStream_tbEUljE_ZNSN_ISO_Lb1ESQ_SR_SQ_SR_SV_EESW_SX_SY_SZ_S13_S14_S15_S18_S19_jS1A_jS1B_S1B_jjS1D_bEUljE0_EEESW_SX_SY_S15_S19_S1B_T6_T7_T9_mT8_S1D_bDpT10_ENKUlT_T0_E_clISt17integral_constantIbLb1EES1Q_IbLb0EEEEDaS1M_S1N_EUlS1M_E_NS1_11comp_targetILNS1_3genE8ELNS1_11target_archE1030ELNS1_3gpuE2ELNS1_3repE0EEENS1_30default_config_static_selectorELNS0_4arch9wavefront6targetE0EEEvSZ_
; %bb.0:
	s_endpgm
	.section	.rodata,"a",@progbits
	.p2align	6, 0x0
	.amdhsa_kernel _ZN7rocprim17ROCPRIM_400000_NS6detail17trampoline_kernelINS0_13select_configILj256ELj13ELNS0_17block_load_methodE3ELS4_3ELS4_3ELNS0_20block_scan_algorithmE0ELj4294967295EEENS1_25partition_config_selectorILNS1_17partition_subalgoE4EjNS0_10empty_typeEbEEZZNS1_14partition_implILS8_4ELb0ES6_15HIP_vector_typeIjLj2EENS0_17counting_iteratorIjlEEPS9_SG_NS0_5tupleIJPjSI_NS0_16reverse_iteratorISI_EEEEENSH_IJSG_SG_SG_EEES9_SI_JZNS1_25segmented_radix_sort_implINS0_14default_configELb1EPKlPlSQ_SR_N2at6native12_GLOBAL__N_18offset_tEEE10hipError_tPvRmT1_PNSt15iterator_traitsISZ_E10value_typeET2_T3_PNS10_IS15_E10value_typeET4_jRbjT5_S1B_jjP12ihipStream_tbEUljE_ZNSN_ISO_Lb1ESQ_SR_SQ_SR_SV_EESW_SX_SY_SZ_S13_S14_S15_S18_S19_jS1A_jS1B_S1B_jjS1D_bEUljE0_EEESW_SX_SY_S15_S19_S1B_T6_T7_T9_mT8_S1D_bDpT10_ENKUlT_T0_E_clISt17integral_constantIbLb1EES1Q_IbLb0EEEEDaS1M_S1N_EUlS1M_E_NS1_11comp_targetILNS1_3genE8ELNS1_11target_archE1030ELNS1_3gpuE2ELNS1_3repE0EEENS1_30default_config_static_selectorELNS0_4arch9wavefront6targetE0EEEvSZ_
		.amdhsa_group_segment_fixed_size 0
		.amdhsa_private_segment_fixed_size 0
		.amdhsa_kernarg_size 176
		.amdhsa_user_sgpr_count 6
		.amdhsa_user_sgpr_private_segment_buffer 1
		.amdhsa_user_sgpr_dispatch_ptr 0
		.amdhsa_user_sgpr_queue_ptr 0
		.amdhsa_user_sgpr_kernarg_segment_ptr 1
		.amdhsa_user_sgpr_dispatch_id 0
		.amdhsa_user_sgpr_flat_scratch_init 0
		.amdhsa_user_sgpr_private_segment_size 0
		.amdhsa_wavefront_size32 1
		.amdhsa_uses_dynamic_stack 0
		.amdhsa_system_sgpr_private_segment_wavefront_offset 0
		.amdhsa_system_sgpr_workgroup_id_x 1
		.amdhsa_system_sgpr_workgroup_id_y 0
		.amdhsa_system_sgpr_workgroup_id_z 0
		.amdhsa_system_sgpr_workgroup_info 0
		.amdhsa_system_vgpr_workitem_id 0
		.amdhsa_next_free_vgpr 1
		.amdhsa_next_free_sgpr 1
		.amdhsa_reserve_vcc 0
		.amdhsa_reserve_flat_scratch 0
		.amdhsa_float_round_mode_32 0
		.amdhsa_float_round_mode_16_64 0
		.amdhsa_float_denorm_mode_32 3
		.amdhsa_float_denorm_mode_16_64 3
		.amdhsa_dx10_clamp 1
		.amdhsa_ieee_mode 1
		.amdhsa_fp16_overflow 0
		.amdhsa_workgroup_processor_mode 1
		.amdhsa_memory_ordered 1
		.amdhsa_forward_progress 1
		.amdhsa_shared_vgpr_count 0
		.amdhsa_exception_fp_ieee_invalid_op 0
		.amdhsa_exception_fp_denorm_src 0
		.amdhsa_exception_fp_ieee_div_zero 0
		.amdhsa_exception_fp_ieee_overflow 0
		.amdhsa_exception_fp_ieee_underflow 0
		.amdhsa_exception_fp_ieee_inexact 0
		.amdhsa_exception_int_div_zero 0
	.end_amdhsa_kernel
	.section	.text._ZN7rocprim17ROCPRIM_400000_NS6detail17trampoline_kernelINS0_13select_configILj256ELj13ELNS0_17block_load_methodE3ELS4_3ELS4_3ELNS0_20block_scan_algorithmE0ELj4294967295EEENS1_25partition_config_selectorILNS1_17partition_subalgoE4EjNS0_10empty_typeEbEEZZNS1_14partition_implILS8_4ELb0ES6_15HIP_vector_typeIjLj2EENS0_17counting_iteratorIjlEEPS9_SG_NS0_5tupleIJPjSI_NS0_16reverse_iteratorISI_EEEEENSH_IJSG_SG_SG_EEES9_SI_JZNS1_25segmented_radix_sort_implINS0_14default_configELb1EPKlPlSQ_SR_N2at6native12_GLOBAL__N_18offset_tEEE10hipError_tPvRmT1_PNSt15iterator_traitsISZ_E10value_typeET2_T3_PNS10_IS15_E10value_typeET4_jRbjT5_S1B_jjP12ihipStream_tbEUljE_ZNSN_ISO_Lb1ESQ_SR_SQ_SR_SV_EESW_SX_SY_SZ_S13_S14_S15_S18_S19_jS1A_jS1B_S1B_jjS1D_bEUljE0_EEESW_SX_SY_S15_S19_S1B_T6_T7_T9_mT8_S1D_bDpT10_ENKUlT_T0_E_clISt17integral_constantIbLb1EES1Q_IbLb0EEEEDaS1M_S1N_EUlS1M_E_NS1_11comp_targetILNS1_3genE8ELNS1_11target_archE1030ELNS1_3gpuE2ELNS1_3repE0EEENS1_30default_config_static_selectorELNS0_4arch9wavefront6targetE0EEEvSZ_,"axG",@progbits,_ZN7rocprim17ROCPRIM_400000_NS6detail17trampoline_kernelINS0_13select_configILj256ELj13ELNS0_17block_load_methodE3ELS4_3ELS4_3ELNS0_20block_scan_algorithmE0ELj4294967295EEENS1_25partition_config_selectorILNS1_17partition_subalgoE4EjNS0_10empty_typeEbEEZZNS1_14partition_implILS8_4ELb0ES6_15HIP_vector_typeIjLj2EENS0_17counting_iteratorIjlEEPS9_SG_NS0_5tupleIJPjSI_NS0_16reverse_iteratorISI_EEEEENSH_IJSG_SG_SG_EEES9_SI_JZNS1_25segmented_radix_sort_implINS0_14default_configELb1EPKlPlSQ_SR_N2at6native12_GLOBAL__N_18offset_tEEE10hipError_tPvRmT1_PNSt15iterator_traitsISZ_E10value_typeET2_T3_PNS10_IS15_E10value_typeET4_jRbjT5_S1B_jjP12ihipStream_tbEUljE_ZNSN_ISO_Lb1ESQ_SR_SQ_SR_SV_EESW_SX_SY_SZ_S13_S14_S15_S18_S19_jS1A_jS1B_S1B_jjS1D_bEUljE0_EEESW_SX_SY_S15_S19_S1B_T6_T7_T9_mT8_S1D_bDpT10_ENKUlT_T0_E_clISt17integral_constantIbLb1EES1Q_IbLb0EEEEDaS1M_S1N_EUlS1M_E_NS1_11comp_targetILNS1_3genE8ELNS1_11target_archE1030ELNS1_3gpuE2ELNS1_3repE0EEENS1_30default_config_static_selectorELNS0_4arch9wavefront6targetE0EEEvSZ_,comdat
.Lfunc_end657:
	.size	_ZN7rocprim17ROCPRIM_400000_NS6detail17trampoline_kernelINS0_13select_configILj256ELj13ELNS0_17block_load_methodE3ELS4_3ELS4_3ELNS0_20block_scan_algorithmE0ELj4294967295EEENS1_25partition_config_selectorILNS1_17partition_subalgoE4EjNS0_10empty_typeEbEEZZNS1_14partition_implILS8_4ELb0ES6_15HIP_vector_typeIjLj2EENS0_17counting_iteratorIjlEEPS9_SG_NS0_5tupleIJPjSI_NS0_16reverse_iteratorISI_EEEEENSH_IJSG_SG_SG_EEES9_SI_JZNS1_25segmented_radix_sort_implINS0_14default_configELb1EPKlPlSQ_SR_N2at6native12_GLOBAL__N_18offset_tEEE10hipError_tPvRmT1_PNSt15iterator_traitsISZ_E10value_typeET2_T3_PNS10_IS15_E10value_typeET4_jRbjT5_S1B_jjP12ihipStream_tbEUljE_ZNSN_ISO_Lb1ESQ_SR_SQ_SR_SV_EESW_SX_SY_SZ_S13_S14_S15_S18_S19_jS1A_jS1B_S1B_jjS1D_bEUljE0_EEESW_SX_SY_S15_S19_S1B_T6_T7_T9_mT8_S1D_bDpT10_ENKUlT_T0_E_clISt17integral_constantIbLb1EES1Q_IbLb0EEEEDaS1M_S1N_EUlS1M_E_NS1_11comp_targetILNS1_3genE8ELNS1_11target_archE1030ELNS1_3gpuE2ELNS1_3repE0EEENS1_30default_config_static_selectorELNS0_4arch9wavefront6targetE0EEEvSZ_, .Lfunc_end657-_ZN7rocprim17ROCPRIM_400000_NS6detail17trampoline_kernelINS0_13select_configILj256ELj13ELNS0_17block_load_methodE3ELS4_3ELS4_3ELNS0_20block_scan_algorithmE0ELj4294967295EEENS1_25partition_config_selectorILNS1_17partition_subalgoE4EjNS0_10empty_typeEbEEZZNS1_14partition_implILS8_4ELb0ES6_15HIP_vector_typeIjLj2EENS0_17counting_iteratorIjlEEPS9_SG_NS0_5tupleIJPjSI_NS0_16reverse_iteratorISI_EEEEENSH_IJSG_SG_SG_EEES9_SI_JZNS1_25segmented_radix_sort_implINS0_14default_configELb1EPKlPlSQ_SR_N2at6native12_GLOBAL__N_18offset_tEEE10hipError_tPvRmT1_PNSt15iterator_traitsISZ_E10value_typeET2_T3_PNS10_IS15_E10value_typeET4_jRbjT5_S1B_jjP12ihipStream_tbEUljE_ZNSN_ISO_Lb1ESQ_SR_SQ_SR_SV_EESW_SX_SY_SZ_S13_S14_S15_S18_S19_jS1A_jS1B_S1B_jjS1D_bEUljE0_EEESW_SX_SY_S15_S19_S1B_T6_T7_T9_mT8_S1D_bDpT10_ENKUlT_T0_E_clISt17integral_constantIbLb1EES1Q_IbLb0EEEEDaS1M_S1N_EUlS1M_E_NS1_11comp_targetILNS1_3genE8ELNS1_11target_archE1030ELNS1_3gpuE2ELNS1_3repE0EEENS1_30default_config_static_selectorELNS0_4arch9wavefront6targetE0EEEvSZ_
                                        ; -- End function
	.set _ZN7rocprim17ROCPRIM_400000_NS6detail17trampoline_kernelINS0_13select_configILj256ELj13ELNS0_17block_load_methodE3ELS4_3ELS4_3ELNS0_20block_scan_algorithmE0ELj4294967295EEENS1_25partition_config_selectorILNS1_17partition_subalgoE4EjNS0_10empty_typeEbEEZZNS1_14partition_implILS8_4ELb0ES6_15HIP_vector_typeIjLj2EENS0_17counting_iteratorIjlEEPS9_SG_NS0_5tupleIJPjSI_NS0_16reverse_iteratorISI_EEEEENSH_IJSG_SG_SG_EEES9_SI_JZNS1_25segmented_radix_sort_implINS0_14default_configELb1EPKlPlSQ_SR_N2at6native12_GLOBAL__N_18offset_tEEE10hipError_tPvRmT1_PNSt15iterator_traitsISZ_E10value_typeET2_T3_PNS10_IS15_E10value_typeET4_jRbjT5_S1B_jjP12ihipStream_tbEUljE_ZNSN_ISO_Lb1ESQ_SR_SQ_SR_SV_EESW_SX_SY_SZ_S13_S14_S15_S18_S19_jS1A_jS1B_S1B_jjS1D_bEUljE0_EEESW_SX_SY_S15_S19_S1B_T6_T7_T9_mT8_S1D_bDpT10_ENKUlT_T0_E_clISt17integral_constantIbLb1EES1Q_IbLb0EEEEDaS1M_S1N_EUlS1M_E_NS1_11comp_targetILNS1_3genE8ELNS1_11target_archE1030ELNS1_3gpuE2ELNS1_3repE0EEENS1_30default_config_static_selectorELNS0_4arch9wavefront6targetE0EEEvSZ_.num_vgpr, 0
	.set _ZN7rocprim17ROCPRIM_400000_NS6detail17trampoline_kernelINS0_13select_configILj256ELj13ELNS0_17block_load_methodE3ELS4_3ELS4_3ELNS0_20block_scan_algorithmE0ELj4294967295EEENS1_25partition_config_selectorILNS1_17partition_subalgoE4EjNS0_10empty_typeEbEEZZNS1_14partition_implILS8_4ELb0ES6_15HIP_vector_typeIjLj2EENS0_17counting_iteratorIjlEEPS9_SG_NS0_5tupleIJPjSI_NS0_16reverse_iteratorISI_EEEEENSH_IJSG_SG_SG_EEES9_SI_JZNS1_25segmented_radix_sort_implINS0_14default_configELb1EPKlPlSQ_SR_N2at6native12_GLOBAL__N_18offset_tEEE10hipError_tPvRmT1_PNSt15iterator_traitsISZ_E10value_typeET2_T3_PNS10_IS15_E10value_typeET4_jRbjT5_S1B_jjP12ihipStream_tbEUljE_ZNSN_ISO_Lb1ESQ_SR_SQ_SR_SV_EESW_SX_SY_SZ_S13_S14_S15_S18_S19_jS1A_jS1B_S1B_jjS1D_bEUljE0_EEESW_SX_SY_S15_S19_S1B_T6_T7_T9_mT8_S1D_bDpT10_ENKUlT_T0_E_clISt17integral_constantIbLb1EES1Q_IbLb0EEEEDaS1M_S1N_EUlS1M_E_NS1_11comp_targetILNS1_3genE8ELNS1_11target_archE1030ELNS1_3gpuE2ELNS1_3repE0EEENS1_30default_config_static_selectorELNS0_4arch9wavefront6targetE0EEEvSZ_.num_agpr, 0
	.set _ZN7rocprim17ROCPRIM_400000_NS6detail17trampoline_kernelINS0_13select_configILj256ELj13ELNS0_17block_load_methodE3ELS4_3ELS4_3ELNS0_20block_scan_algorithmE0ELj4294967295EEENS1_25partition_config_selectorILNS1_17partition_subalgoE4EjNS0_10empty_typeEbEEZZNS1_14partition_implILS8_4ELb0ES6_15HIP_vector_typeIjLj2EENS0_17counting_iteratorIjlEEPS9_SG_NS0_5tupleIJPjSI_NS0_16reverse_iteratorISI_EEEEENSH_IJSG_SG_SG_EEES9_SI_JZNS1_25segmented_radix_sort_implINS0_14default_configELb1EPKlPlSQ_SR_N2at6native12_GLOBAL__N_18offset_tEEE10hipError_tPvRmT1_PNSt15iterator_traitsISZ_E10value_typeET2_T3_PNS10_IS15_E10value_typeET4_jRbjT5_S1B_jjP12ihipStream_tbEUljE_ZNSN_ISO_Lb1ESQ_SR_SQ_SR_SV_EESW_SX_SY_SZ_S13_S14_S15_S18_S19_jS1A_jS1B_S1B_jjS1D_bEUljE0_EEESW_SX_SY_S15_S19_S1B_T6_T7_T9_mT8_S1D_bDpT10_ENKUlT_T0_E_clISt17integral_constantIbLb1EES1Q_IbLb0EEEEDaS1M_S1N_EUlS1M_E_NS1_11comp_targetILNS1_3genE8ELNS1_11target_archE1030ELNS1_3gpuE2ELNS1_3repE0EEENS1_30default_config_static_selectorELNS0_4arch9wavefront6targetE0EEEvSZ_.numbered_sgpr, 0
	.set _ZN7rocprim17ROCPRIM_400000_NS6detail17trampoline_kernelINS0_13select_configILj256ELj13ELNS0_17block_load_methodE3ELS4_3ELS4_3ELNS0_20block_scan_algorithmE0ELj4294967295EEENS1_25partition_config_selectorILNS1_17partition_subalgoE4EjNS0_10empty_typeEbEEZZNS1_14partition_implILS8_4ELb0ES6_15HIP_vector_typeIjLj2EENS0_17counting_iteratorIjlEEPS9_SG_NS0_5tupleIJPjSI_NS0_16reverse_iteratorISI_EEEEENSH_IJSG_SG_SG_EEES9_SI_JZNS1_25segmented_radix_sort_implINS0_14default_configELb1EPKlPlSQ_SR_N2at6native12_GLOBAL__N_18offset_tEEE10hipError_tPvRmT1_PNSt15iterator_traitsISZ_E10value_typeET2_T3_PNS10_IS15_E10value_typeET4_jRbjT5_S1B_jjP12ihipStream_tbEUljE_ZNSN_ISO_Lb1ESQ_SR_SQ_SR_SV_EESW_SX_SY_SZ_S13_S14_S15_S18_S19_jS1A_jS1B_S1B_jjS1D_bEUljE0_EEESW_SX_SY_S15_S19_S1B_T6_T7_T9_mT8_S1D_bDpT10_ENKUlT_T0_E_clISt17integral_constantIbLb1EES1Q_IbLb0EEEEDaS1M_S1N_EUlS1M_E_NS1_11comp_targetILNS1_3genE8ELNS1_11target_archE1030ELNS1_3gpuE2ELNS1_3repE0EEENS1_30default_config_static_selectorELNS0_4arch9wavefront6targetE0EEEvSZ_.num_named_barrier, 0
	.set _ZN7rocprim17ROCPRIM_400000_NS6detail17trampoline_kernelINS0_13select_configILj256ELj13ELNS0_17block_load_methodE3ELS4_3ELS4_3ELNS0_20block_scan_algorithmE0ELj4294967295EEENS1_25partition_config_selectorILNS1_17partition_subalgoE4EjNS0_10empty_typeEbEEZZNS1_14partition_implILS8_4ELb0ES6_15HIP_vector_typeIjLj2EENS0_17counting_iteratorIjlEEPS9_SG_NS0_5tupleIJPjSI_NS0_16reverse_iteratorISI_EEEEENSH_IJSG_SG_SG_EEES9_SI_JZNS1_25segmented_radix_sort_implINS0_14default_configELb1EPKlPlSQ_SR_N2at6native12_GLOBAL__N_18offset_tEEE10hipError_tPvRmT1_PNSt15iterator_traitsISZ_E10value_typeET2_T3_PNS10_IS15_E10value_typeET4_jRbjT5_S1B_jjP12ihipStream_tbEUljE_ZNSN_ISO_Lb1ESQ_SR_SQ_SR_SV_EESW_SX_SY_SZ_S13_S14_S15_S18_S19_jS1A_jS1B_S1B_jjS1D_bEUljE0_EEESW_SX_SY_S15_S19_S1B_T6_T7_T9_mT8_S1D_bDpT10_ENKUlT_T0_E_clISt17integral_constantIbLb1EES1Q_IbLb0EEEEDaS1M_S1N_EUlS1M_E_NS1_11comp_targetILNS1_3genE8ELNS1_11target_archE1030ELNS1_3gpuE2ELNS1_3repE0EEENS1_30default_config_static_selectorELNS0_4arch9wavefront6targetE0EEEvSZ_.private_seg_size, 0
	.set _ZN7rocprim17ROCPRIM_400000_NS6detail17trampoline_kernelINS0_13select_configILj256ELj13ELNS0_17block_load_methodE3ELS4_3ELS4_3ELNS0_20block_scan_algorithmE0ELj4294967295EEENS1_25partition_config_selectorILNS1_17partition_subalgoE4EjNS0_10empty_typeEbEEZZNS1_14partition_implILS8_4ELb0ES6_15HIP_vector_typeIjLj2EENS0_17counting_iteratorIjlEEPS9_SG_NS0_5tupleIJPjSI_NS0_16reverse_iteratorISI_EEEEENSH_IJSG_SG_SG_EEES9_SI_JZNS1_25segmented_radix_sort_implINS0_14default_configELb1EPKlPlSQ_SR_N2at6native12_GLOBAL__N_18offset_tEEE10hipError_tPvRmT1_PNSt15iterator_traitsISZ_E10value_typeET2_T3_PNS10_IS15_E10value_typeET4_jRbjT5_S1B_jjP12ihipStream_tbEUljE_ZNSN_ISO_Lb1ESQ_SR_SQ_SR_SV_EESW_SX_SY_SZ_S13_S14_S15_S18_S19_jS1A_jS1B_S1B_jjS1D_bEUljE0_EEESW_SX_SY_S15_S19_S1B_T6_T7_T9_mT8_S1D_bDpT10_ENKUlT_T0_E_clISt17integral_constantIbLb1EES1Q_IbLb0EEEEDaS1M_S1N_EUlS1M_E_NS1_11comp_targetILNS1_3genE8ELNS1_11target_archE1030ELNS1_3gpuE2ELNS1_3repE0EEENS1_30default_config_static_selectorELNS0_4arch9wavefront6targetE0EEEvSZ_.uses_vcc, 0
	.set _ZN7rocprim17ROCPRIM_400000_NS6detail17trampoline_kernelINS0_13select_configILj256ELj13ELNS0_17block_load_methodE3ELS4_3ELS4_3ELNS0_20block_scan_algorithmE0ELj4294967295EEENS1_25partition_config_selectorILNS1_17partition_subalgoE4EjNS0_10empty_typeEbEEZZNS1_14partition_implILS8_4ELb0ES6_15HIP_vector_typeIjLj2EENS0_17counting_iteratorIjlEEPS9_SG_NS0_5tupleIJPjSI_NS0_16reverse_iteratorISI_EEEEENSH_IJSG_SG_SG_EEES9_SI_JZNS1_25segmented_radix_sort_implINS0_14default_configELb1EPKlPlSQ_SR_N2at6native12_GLOBAL__N_18offset_tEEE10hipError_tPvRmT1_PNSt15iterator_traitsISZ_E10value_typeET2_T3_PNS10_IS15_E10value_typeET4_jRbjT5_S1B_jjP12ihipStream_tbEUljE_ZNSN_ISO_Lb1ESQ_SR_SQ_SR_SV_EESW_SX_SY_SZ_S13_S14_S15_S18_S19_jS1A_jS1B_S1B_jjS1D_bEUljE0_EEESW_SX_SY_S15_S19_S1B_T6_T7_T9_mT8_S1D_bDpT10_ENKUlT_T0_E_clISt17integral_constantIbLb1EES1Q_IbLb0EEEEDaS1M_S1N_EUlS1M_E_NS1_11comp_targetILNS1_3genE8ELNS1_11target_archE1030ELNS1_3gpuE2ELNS1_3repE0EEENS1_30default_config_static_selectorELNS0_4arch9wavefront6targetE0EEEvSZ_.uses_flat_scratch, 0
	.set _ZN7rocprim17ROCPRIM_400000_NS6detail17trampoline_kernelINS0_13select_configILj256ELj13ELNS0_17block_load_methodE3ELS4_3ELS4_3ELNS0_20block_scan_algorithmE0ELj4294967295EEENS1_25partition_config_selectorILNS1_17partition_subalgoE4EjNS0_10empty_typeEbEEZZNS1_14partition_implILS8_4ELb0ES6_15HIP_vector_typeIjLj2EENS0_17counting_iteratorIjlEEPS9_SG_NS0_5tupleIJPjSI_NS0_16reverse_iteratorISI_EEEEENSH_IJSG_SG_SG_EEES9_SI_JZNS1_25segmented_radix_sort_implINS0_14default_configELb1EPKlPlSQ_SR_N2at6native12_GLOBAL__N_18offset_tEEE10hipError_tPvRmT1_PNSt15iterator_traitsISZ_E10value_typeET2_T3_PNS10_IS15_E10value_typeET4_jRbjT5_S1B_jjP12ihipStream_tbEUljE_ZNSN_ISO_Lb1ESQ_SR_SQ_SR_SV_EESW_SX_SY_SZ_S13_S14_S15_S18_S19_jS1A_jS1B_S1B_jjS1D_bEUljE0_EEESW_SX_SY_S15_S19_S1B_T6_T7_T9_mT8_S1D_bDpT10_ENKUlT_T0_E_clISt17integral_constantIbLb1EES1Q_IbLb0EEEEDaS1M_S1N_EUlS1M_E_NS1_11comp_targetILNS1_3genE8ELNS1_11target_archE1030ELNS1_3gpuE2ELNS1_3repE0EEENS1_30default_config_static_selectorELNS0_4arch9wavefront6targetE0EEEvSZ_.has_dyn_sized_stack, 0
	.set _ZN7rocprim17ROCPRIM_400000_NS6detail17trampoline_kernelINS0_13select_configILj256ELj13ELNS0_17block_load_methodE3ELS4_3ELS4_3ELNS0_20block_scan_algorithmE0ELj4294967295EEENS1_25partition_config_selectorILNS1_17partition_subalgoE4EjNS0_10empty_typeEbEEZZNS1_14partition_implILS8_4ELb0ES6_15HIP_vector_typeIjLj2EENS0_17counting_iteratorIjlEEPS9_SG_NS0_5tupleIJPjSI_NS0_16reverse_iteratorISI_EEEEENSH_IJSG_SG_SG_EEES9_SI_JZNS1_25segmented_radix_sort_implINS0_14default_configELb1EPKlPlSQ_SR_N2at6native12_GLOBAL__N_18offset_tEEE10hipError_tPvRmT1_PNSt15iterator_traitsISZ_E10value_typeET2_T3_PNS10_IS15_E10value_typeET4_jRbjT5_S1B_jjP12ihipStream_tbEUljE_ZNSN_ISO_Lb1ESQ_SR_SQ_SR_SV_EESW_SX_SY_SZ_S13_S14_S15_S18_S19_jS1A_jS1B_S1B_jjS1D_bEUljE0_EEESW_SX_SY_S15_S19_S1B_T6_T7_T9_mT8_S1D_bDpT10_ENKUlT_T0_E_clISt17integral_constantIbLb1EES1Q_IbLb0EEEEDaS1M_S1N_EUlS1M_E_NS1_11comp_targetILNS1_3genE8ELNS1_11target_archE1030ELNS1_3gpuE2ELNS1_3repE0EEENS1_30default_config_static_selectorELNS0_4arch9wavefront6targetE0EEEvSZ_.has_recursion, 0
	.set _ZN7rocprim17ROCPRIM_400000_NS6detail17trampoline_kernelINS0_13select_configILj256ELj13ELNS0_17block_load_methodE3ELS4_3ELS4_3ELNS0_20block_scan_algorithmE0ELj4294967295EEENS1_25partition_config_selectorILNS1_17partition_subalgoE4EjNS0_10empty_typeEbEEZZNS1_14partition_implILS8_4ELb0ES6_15HIP_vector_typeIjLj2EENS0_17counting_iteratorIjlEEPS9_SG_NS0_5tupleIJPjSI_NS0_16reverse_iteratorISI_EEEEENSH_IJSG_SG_SG_EEES9_SI_JZNS1_25segmented_radix_sort_implINS0_14default_configELb1EPKlPlSQ_SR_N2at6native12_GLOBAL__N_18offset_tEEE10hipError_tPvRmT1_PNSt15iterator_traitsISZ_E10value_typeET2_T3_PNS10_IS15_E10value_typeET4_jRbjT5_S1B_jjP12ihipStream_tbEUljE_ZNSN_ISO_Lb1ESQ_SR_SQ_SR_SV_EESW_SX_SY_SZ_S13_S14_S15_S18_S19_jS1A_jS1B_S1B_jjS1D_bEUljE0_EEESW_SX_SY_S15_S19_S1B_T6_T7_T9_mT8_S1D_bDpT10_ENKUlT_T0_E_clISt17integral_constantIbLb1EES1Q_IbLb0EEEEDaS1M_S1N_EUlS1M_E_NS1_11comp_targetILNS1_3genE8ELNS1_11target_archE1030ELNS1_3gpuE2ELNS1_3repE0EEENS1_30default_config_static_selectorELNS0_4arch9wavefront6targetE0EEEvSZ_.has_indirect_call, 0
	.section	.AMDGPU.csdata,"",@progbits
; Kernel info:
; codeLenInByte = 4
; TotalNumSgprs: 0
; NumVgprs: 0
; ScratchSize: 0
; MemoryBound: 0
; FloatMode: 240
; IeeeMode: 1
; LDSByteSize: 0 bytes/workgroup (compile time only)
; SGPRBlocks: 0
; VGPRBlocks: 0
; NumSGPRsForWavesPerEU: 1
; NumVGPRsForWavesPerEU: 1
; Occupancy: 16
; WaveLimiterHint : 0
; COMPUTE_PGM_RSRC2:SCRATCH_EN: 0
; COMPUTE_PGM_RSRC2:USER_SGPR: 6
; COMPUTE_PGM_RSRC2:TRAP_HANDLER: 0
; COMPUTE_PGM_RSRC2:TGID_X_EN: 1
; COMPUTE_PGM_RSRC2:TGID_Y_EN: 0
; COMPUTE_PGM_RSRC2:TGID_Z_EN: 0
; COMPUTE_PGM_RSRC2:TIDIG_COMP_CNT: 0
	.section	.text._ZN7rocprim17ROCPRIM_400000_NS6detail17trampoline_kernelINS0_13select_configILj256ELj13ELNS0_17block_load_methodE3ELS4_3ELS4_3ELNS0_20block_scan_algorithmE0ELj4294967295EEENS1_25partition_config_selectorILNS1_17partition_subalgoE4EjNS0_10empty_typeEbEEZZNS1_14partition_implILS8_4ELb0ES6_15HIP_vector_typeIjLj2EENS0_17counting_iteratorIjlEEPS9_SG_NS0_5tupleIJPjSI_NS0_16reverse_iteratorISI_EEEEENSH_IJSG_SG_SG_EEES9_SI_JZNS1_25segmented_radix_sort_implINS0_14default_configELb1EPKlPlSQ_SR_N2at6native12_GLOBAL__N_18offset_tEEE10hipError_tPvRmT1_PNSt15iterator_traitsISZ_E10value_typeET2_T3_PNS10_IS15_E10value_typeET4_jRbjT5_S1B_jjP12ihipStream_tbEUljE_ZNSN_ISO_Lb1ESQ_SR_SQ_SR_SV_EESW_SX_SY_SZ_S13_S14_S15_S18_S19_jS1A_jS1B_S1B_jjS1D_bEUljE0_EEESW_SX_SY_S15_S19_S1B_T6_T7_T9_mT8_S1D_bDpT10_ENKUlT_T0_E_clISt17integral_constantIbLb0EES1Q_IbLb1EEEEDaS1M_S1N_EUlS1M_E_NS1_11comp_targetILNS1_3genE0ELNS1_11target_archE4294967295ELNS1_3gpuE0ELNS1_3repE0EEENS1_30default_config_static_selectorELNS0_4arch9wavefront6targetE0EEEvSZ_,"axG",@progbits,_ZN7rocprim17ROCPRIM_400000_NS6detail17trampoline_kernelINS0_13select_configILj256ELj13ELNS0_17block_load_methodE3ELS4_3ELS4_3ELNS0_20block_scan_algorithmE0ELj4294967295EEENS1_25partition_config_selectorILNS1_17partition_subalgoE4EjNS0_10empty_typeEbEEZZNS1_14partition_implILS8_4ELb0ES6_15HIP_vector_typeIjLj2EENS0_17counting_iteratorIjlEEPS9_SG_NS0_5tupleIJPjSI_NS0_16reverse_iteratorISI_EEEEENSH_IJSG_SG_SG_EEES9_SI_JZNS1_25segmented_radix_sort_implINS0_14default_configELb1EPKlPlSQ_SR_N2at6native12_GLOBAL__N_18offset_tEEE10hipError_tPvRmT1_PNSt15iterator_traitsISZ_E10value_typeET2_T3_PNS10_IS15_E10value_typeET4_jRbjT5_S1B_jjP12ihipStream_tbEUljE_ZNSN_ISO_Lb1ESQ_SR_SQ_SR_SV_EESW_SX_SY_SZ_S13_S14_S15_S18_S19_jS1A_jS1B_S1B_jjS1D_bEUljE0_EEESW_SX_SY_S15_S19_S1B_T6_T7_T9_mT8_S1D_bDpT10_ENKUlT_T0_E_clISt17integral_constantIbLb0EES1Q_IbLb1EEEEDaS1M_S1N_EUlS1M_E_NS1_11comp_targetILNS1_3genE0ELNS1_11target_archE4294967295ELNS1_3gpuE0ELNS1_3repE0EEENS1_30default_config_static_selectorELNS0_4arch9wavefront6targetE0EEEvSZ_,comdat
	.globl	_ZN7rocprim17ROCPRIM_400000_NS6detail17trampoline_kernelINS0_13select_configILj256ELj13ELNS0_17block_load_methodE3ELS4_3ELS4_3ELNS0_20block_scan_algorithmE0ELj4294967295EEENS1_25partition_config_selectorILNS1_17partition_subalgoE4EjNS0_10empty_typeEbEEZZNS1_14partition_implILS8_4ELb0ES6_15HIP_vector_typeIjLj2EENS0_17counting_iteratorIjlEEPS9_SG_NS0_5tupleIJPjSI_NS0_16reverse_iteratorISI_EEEEENSH_IJSG_SG_SG_EEES9_SI_JZNS1_25segmented_radix_sort_implINS0_14default_configELb1EPKlPlSQ_SR_N2at6native12_GLOBAL__N_18offset_tEEE10hipError_tPvRmT1_PNSt15iterator_traitsISZ_E10value_typeET2_T3_PNS10_IS15_E10value_typeET4_jRbjT5_S1B_jjP12ihipStream_tbEUljE_ZNSN_ISO_Lb1ESQ_SR_SQ_SR_SV_EESW_SX_SY_SZ_S13_S14_S15_S18_S19_jS1A_jS1B_S1B_jjS1D_bEUljE0_EEESW_SX_SY_S15_S19_S1B_T6_T7_T9_mT8_S1D_bDpT10_ENKUlT_T0_E_clISt17integral_constantIbLb0EES1Q_IbLb1EEEEDaS1M_S1N_EUlS1M_E_NS1_11comp_targetILNS1_3genE0ELNS1_11target_archE4294967295ELNS1_3gpuE0ELNS1_3repE0EEENS1_30default_config_static_selectorELNS0_4arch9wavefront6targetE0EEEvSZ_ ; -- Begin function _ZN7rocprim17ROCPRIM_400000_NS6detail17trampoline_kernelINS0_13select_configILj256ELj13ELNS0_17block_load_methodE3ELS4_3ELS4_3ELNS0_20block_scan_algorithmE0ELj4294967295EEENS1_25partition_config_selectorILNS1_17partition_subalgoE4EjNS0_10empty_typeEbEEZZNS1_14partition_implILS8_4ELb0ES6_15HIP_vector_typeIjLj2EENS0_17counting_iteratorIjlEEPS9_SG_NS0_5tupleIJPjSI_NS0_16reverse_iteratorISI_EEEEENSH_IJSG_SG_SG_EEES9_SI_JZNS1_25segmented_radix_sort_implINS0_14default_configELb1EPKlPlSQ_SR_N2at6native12_GLOBAL__N_18offset_tEEE10hipError_tPvRmT1_PNSt15iterator_traitsISZ_E10value_typeET2_T3_PNS10_IS15_E10value_typeET4_jRbjT5_S1B_jjP12ihipStream_tbEUljE_ZNSN_ISO_Lb1ESQ_SR_SQ_SR_SV_EESW_SX_SY_SZ_S13_S14_S15_S18_S19_jS1A_jS1B_S1B_jjS1D_bEUljE0_EEESW_SX_SY_S15_S19_S1B_T6_T7_T9_mT8_S1D_bDpT10_ENKUlT_T0_E_clISt17integral_constantIbLb0EES1Q_IbLb1EEEEDaS1M_S1N_EUlS1M_E_NS1_11comp_targetILNS1_3genE0ELNS1_11target_archE4294967295ELNS1_3gpuE0ELNS1_3repE0EEENS1_30default_config_static_selectorELNS0_4arch9wavefront6targetE0EEEvSZ_
	.p2align	8
	.type	_ZN7rocprim17ROCPRIM_400000_NS6detail17trampoline_kernelINS0_13select_configILj256ELj13ELNS0_17block_load_methodE3ELS4_3ELS4_3ELNS0_20block_scan_algorithmE0ELj4294967295EEENS1_25partition_config_selectorILNS1_17partition_subalgoE4EjNS0_10empty_typeEbEEZZNS1_14partition_implILS8_4ELb0ES6_15HIP_vector_typeIjLj2EENS0_17counting_iteratorIjlEEPS9_SG_NS0_5tupleIJPjSI_NS0_16reverse_iteratorISI_EEEEENSH_IJSG_SG_SG_EEES9_SI_JZNS1_25segmented_radix_sort_implINS0_14default_configELb1EPKlPlSQ_SR_N2at6native12_GLOBAL__N_18offset_tEEE10hipError_tPvRmT1_PNSt15iterator_traitsISZ_E10value_typeET2_T3_PNS10_IS15_E10value_typeET4_jRbjT5_S1B_jjP12ihipStream_tbEUljE_ZNSN_ISO_Lb1ESQ_SR_SQ_SR_SV_EESW_SX_SY_SZ_S13_S14_S15_S18_S19_jS1A_jS1B_S1B_jjS1D_bEUljE0_EEESW_SX_SY_S15_S19_S1B_T6_T7_T9_mT8_S1D_bDpT10_ENKUlT_T0_E_clISt17integral_constantIbLb0EES1Q_IbLb1EEEEDaS1M_S1N_EUlS1M_E_NS1_11comp_targetILNS1_3genE0ELNS1_11target_archE4294967295ELNS1_3gpuE0ELNS1_3repE0EEENS1_30default_config_static_selectorELNS0_4arch9wavefront6targetE0EEEvSZ_,@function
_ZN7rocprim17ROCPRIM_400000_NS6detail17trampoline_kernelINS0_13select_configILj256ELj13ELNS0_17block_load_methodE3ELS4_3ELS4_3ELNS0_20block_scan_algorithmE0ELj4294967295EEENS1_25partition_config_selectorILNS1_17partition_subalgoE4EjNS0_10empty_typeEbEEZZNS1_14partition_implILS8_4ELb0ES6_15HIP_vector_typeIjLj2EENS0_17counting_iteratorIjlEEPS9_SG_NS0_5tupleIJPjSI_NS0_16reverse_iteratorISI_EEEEENSH_IJSG_SG_SG_EEES9_SI_JZNS1_25segmented_radix_sort_implINS0_14default_configELb1EPKlPlSQ_SR_N2at6native12_GLOBAL__N_18offset_tEEE10hipError_tPvRmT1_PNSt15iterator_traitsISZ_E10value_typeET2_T3_PNS10_IS15_E10value_typeET4_jRbjT5_S1B_jjP12ihipStream_tbEUljE_ZNSN_ISO_Lb1ESQ_SR_SQ_SR_SV_EESW_SX_SY_SZ_S13_S14_S15_S18_S19_jS1A_jS1B_S1B_jjS1D_bEUljE0_EEESW_SX_SY_S15_S19_S1B_T6_T7_T9_mT8_S1D_bDpT10_ENKUlT_T0_E_clISt17integral_constantIbLb0EES1Q_IbLb1EEEEDaS1M_S1N_EUlS1M_E_NS1_11comp_targetILNS1_3genE0ELNS1_11target_archE4294967295ELNS1_3gpuE0ELNS1_3repE0EEENS1_30default_config_static_selectorELNS0_4arch9wavefront6targetE0EEEvSZ_: ; @_ZN7rocprim17ROCPRIM_400000_NS6detail17trampoline_kernelINS0_13select_configILj256ELj13ELNS0_17block_load_methodE3ELS4_3ELS4_3ELNS0_20block_scan_algorithmE0ELj4294967295EEENS1_25partition_config_selectorILNS1_17partition_subalgoE4EjNS0_10empty_typeEbEEZZNS1_14partition_implILS8_4ELb0ES6_15HIP_vector_typeIjLj2EENS0_17counting_iteratorIjlEEPS9_SG_NS0_5tupleIJPjSI_NS0_16reverse_iteratorISI_EEEEENSH_IJSG_SG_SG_EEES9_SI_JZNS1_25segmented_radix_sort_implINS0_14default_configELb1EPKlPlSQ_SR_N2at6native12_GLOBAL__N_18offset_tEEE10hipError_tPvRmT1_PNSt15iterator_traitsISZ_E10value_typeET2_T3_PNS10_IS15_E10value_typeET4_jRbjT5_S1B_jjP12ihipStream_tbEUljE_ZNSN_ISO_Lb1ESQ_SR_SQ_SR_SV_EESW_SX_SY_SZ_S13_S14_S15_S18_S19_jS1A_jS1B_S1B_jjS1D_bEUljE0_EEESW_SX_SY_S15_S19_S1B_T6_T7_T9_mT8_S1D_bDpT10_ENKUlT_T0_E_clISt17integral_constantIbLb0EES1Q_IbLb1EEEEDaS1M_S1N_EUlS1M_E_NS1_11comp_targetILNS1_3genE0ELNS1_11target_archE4294967295ELNS1_3gpuE0ELNS1_3repE0EEENS1_30default_config_static_selectorELNS0_4arch9wavefront6targetE0EEEvSZ_
; %bb.0:
	.section	.rodata,"a",@progbits
	.p2align	6, 0x0
	.amdhsa_kernel _ZN7rocprim17ROCPRIM_400000_NS6detail17trampoline_kernelINS0_13select_configILj256ELj13ELNS0_17block_load_methodE3ELS4_3ELS4_3ELNS0_20block_scan_algorithmE0ELj4294967295EEENS1_25partition_config_selectorILNS1_17partition_subalgoE4EjNS0_10empty_typeEbEEZZNS1_14partition_implILS8_4ELb0ES6_15HIP_vector_typeIjLj2EENS0_17counting_iteratorIjlEEPS9_SG_NS0_5tupleIJPjSI_NS0_16reverse_iteratorISI_EEEEENSH_IJSG_SG_SG_EEES9_SI_JZNS1_25segmented_radix_sort_implINS0_14default_configELb1EPKlPlSQ_SR_N2at6native12_GLOBAL__N_18offset_tEEE10hipError_tPvRmT1_PNSt15iterator_traitsISZ_E10value_typeET2_T3_PNS10_IS15_E10value_typeET4_jRbjT5_S1B_jjP12ihipStream_tbEUljE_ZNSN_ISO_Lb1ESQ_SR_SQ_SR_SV_EESW_SX_SY_SZ_S13_S14_S15_S18_S19_jS1A_jS1B_S1B_jjS1D_bEUljE0_EEESW_SX_SY_S15_S19_S1B_T6_T7_T9_mT8_S1D_bDpT10_ENKUlT_T0_E_clISt17integral_constantIbLb0EES1Q_IbLb1EEEEDaS1M_S1N_EUlS1M_E_NS1_11comp_targetILNS1_3genE0ELNS1_11target_archE4294967295ELNS1_3gpuE0ELNS1_3repE0EEENS1_30default_config_static_selectorELNS0_4arch9wavefront6targetE0EEEvSZ_
		.amdhsa_group_segment_fixed_size 0
		.amdhsa_private_segment_fixed_size 0
		.amdhsa_kernarg_size 184
		.amdhsa_user_sgpr_count 6
		.amdhsa_user_sgpr_private_segment_buffer 1
		.amdhsa_user_sgpr_dispatch_ptr 0
		.amdhsa_user_sgpr_queue_ptr 0
		.amdhsa_user_sgpr_kernarg_segment_ptr 1
		.amdhsa_user_sgpr_dispatch_id 0
		.amdhsa_user_sgpr_flat_scratch_init 0
		.amdhsa_user_sgpr_private_segment_size 0
		.amdhsa_wavefront_size32 1
		.amdhsa_uses_dynamic_stack 0
		.amdhsa_system_sgpr_private_segment_wavefront_offset 0
		.amdhsa_system_sgpr_workgroup_id_x 1
		.amdhsa_system_sgpr_workgroup_id_y 0
		.amdhsa_system_sgpr_workgroup_id_z 0
		.amdhsa_system_sgpr_workgroup_info 0
		.amdhsa_system_vgpr_workitem_id 0
		.amdhsa_next_free_vgpr 1
		.amdhsa_next_free_sgpr 1
		.amdhsa_reserve_vcc 0
		.amdhsa_reserve_flat_scratch 0
		.amdhsa_float_round_mode_32 0
		.amdhsa_float_round_mode_16_64 0
		.amdhsa_float_denorm_mode_32 3
		.amdhsa_float_denorm_mode_16_64 3
		.amdhsa_dx10_clamp 1
		.amdhsa_ieee_mode 1
		.amdhsa_fp16_overflow 0
		.amdhsa_workgroup_processor_mode 1
		.amdhsa_memory_ordered 1
		.amdhsa_forward_progress 1
		.amdhsa_shared_vgpr_count 0
		.amdhsa_exception_fp_ieee_invalid_op 0
		.amdhsa_exception_fp_denorm_src 0
		.amdhsa_exception_fp_ieee_div_zero 0
		.amdhsa_exception_fp_ieee_overflow 0
		.amdhsa_exception_fp_ieee_underflow 0
		.amdhsa_exception_fp_ieee_inexact 0
		.amdhsa_exception_int_div_zero 0
	.end_amdhsa_kernel
	.section	.text._ZN7rocprim17ROCPRIM_400000_NS6detail17trampoline_kernelINS0_13select_configILj256ELj13ELNS0_17block_load_methodE3ELS4_3ELS4_3ELNS0_20block_scan_algorithmE0ELj4294967295EEENS1_25partition_config_selectorILNS1_17partition_subalgoE4EjNS0_10empty_typeEbEEZZNS1_14partition_implILS8_4ELb0ES6_15HIP_vector_typeIjLj2EENS0_17counting_iteratorIjlEEPS9_SG_NS0_5tupleIJPjSI_NS0_16reverse_iteratorISI_EEEEENSH_IJSG_SG_SG_EEES9_SI_JZNS1_25segmented_radix_sort_implINS0_14default_configELb1EPKlPlSQ_SR_N2at6native12_GLOBAL__N_18offset_tEEE10hipError_tPvRmT1_PNSt15iterator_traitsISZ_E10value_typeET2_T3_PNS10_IS15_E10value_typeET4_jRbjT5_S1B_jjP12ihipStream_tbEUljE_ZNSN_ISO_Lb1ESQ_SR_SQ_SR_SV_EESW_SX_SY_SZ_S13_S14_S15_S18_S19_jS1A_jS1B_S1B_jjS1D_bEUljE0_EEESW_SX_SY_S15_S19_S1B_T6_T7_T9_mT8_S1D_bDpT10_ENKUlT_T0_E_clISt17integral_constantIbLb0EES1Q_IbLb1EEEEDaS1M_S1N_EUlS1M_E_NS1_11comp_targetILNS1_3genE0ELNS1_11target_archE4294967295ELNS1_3gpuE0ELNS1_3repE0EEENS1_30default_config_static_selectorELNS0_4arch9wavefront6targetE0EEEvSZ_,"axG",@progbits,_ZN7rocprim17ROCPRIM_400000_NS6detail17trampoline_kernelINS0_13select_configILj256ELj13ELNS0_17block_load_methodE3ELS4_3ELS4_3ELNS0_20block_scan_algorithmE0ELj4294967295EEENS1_25partition_config_selectorILNS1_17partition_subalgoE4EjNS0_10empty_typeEbEEZZNS1_14partition_implILS8_4ELb0ES6_15HIP_vector_typeIjLj2EENS0_17counting_iteratorIjlEEPS9_SG_NS0_5tupleIJPjSI_NS0_16reverse_iteratorISI_EEEEENSH_IJSG_SG_SG_EEES9_SI_JZNS1_25segmented_radix_sort_implINS0_14default_configELb1EPKlPlSQ_SR_N2at6native12_GLOBAL__N_18offset_tEEE10hipError_tPvRmT1_PNSt15iterator_traitsISZ_E10value_typeET2_T3_PNS10_IS15_E10value_typeET4_jRbjT5_S1B_jjP12ihipStream_tbEUljE_ZNSN_ISO_Lb1ESQ_SR_SQ_SR_SV_EESW_SX_SY_SZ_S13_S14_S15_S18_S19_jS1A_jS1B_S1B_jjS1D_bEUljE0_EEESW_SX_SY_S15_S19_S1B_T6_T7_T9_mT8_S1D_bDpT10_ENKUlT_T0_E_clISt17integral_constantIbLb0EES1Q_IbLb1EEEEDaS1M_S1N_EUlS1M_E_NS1_11comp_targetILNS1_3genE0ELNS1_11target_archE4294967295ELNS1_3gpuE0ELNS1_3repE0EEENS1_30default_config_static_selectorELNS0_4arch9wavefront6targetE0EEEvSZ_,comdat
.Lfunc_end658:
	.size	_ZN7rocprim17ROCPRIM_400000_NS6detail17trampoline_kernelINS0_13select_configILj256ELj13ELNS0_17block_load_methodE3ELS4_3ELS4_3ELNS0_20block_scan_algorithmE0ELj4294967295EEENS1_25partition_config_selectorILNS1_17partition_subalgoE4EjNS0_10empty_typeEbEEZZNS1_14partition_implILS8_4ELb0ES6_15HIP_vector_typeIjLj2EENS0_17counting_iteratorIjlEEPS9_SG_NS0_5tupleIJPjSI_NS0_16reverse_iteratorISI_EEEEENSH_IJSG_SG_SG_EEES9_SI_JZNS1_25segmented_radix_sort_implINS0_14default_configELb1EPKlPlSQ_SR_N2at6native12_GLOBAL__N_18offset_tEEE10hipError_tPvRmT1_PNSt15iterator_traitsISZ_E10value_typeET2_T3_PNS10_IS15_E10value_typeET4_jRbjT5_S1B_jjP12ihipStream_tbEUljE_ZNSN_ISO_Lb1ESQ_SR_SQ_SR_SV_EESW_SX_SY_SZ_S13_S14_S15_S18_S19_jS1A_jS1B_S1B_jjS1D_bEUljE0_EEESW_SX_SY_S15_S19_S1B_T6_T7_T9_mT8_S1D_bDpT10_ENKUlT_T0_E_clISt17integral_constantIbLb0EES1Q_IbLb1EEEEDaS1M_S1N_EUlS1M_E_NS1_11comp_targetILNS1_3genE0ELNS1_11target_archE4294967295ELNS1_3gpuE0ELNS1_3repE0EEENS1_30default_config_static_selectorELNS0_4arch9wavefront6targetE0EEEvSZ_, .Lfunc_end658-_ZN7rocprim17ROCPRIM_400000_NS6detail17trampoline_kernelINS0_13select_configILj256ELj13ELNS0_17block_load_methodE3ELS4_3ELS4_3ELNS0_20block_scan_algorithmE0ELj4294967295EEENS1_25partition_config_selectorILNS1_17partition_subalgoE4EjNS0_10empty_typeEbEEZZNS1_14partition_implILS8_4ELb0ES6_15HIP_vector_typeIjLj2EENS0_17counting_iteratorIjlEEPS9_SG_NS0_5tupleIJPjSI_NS0_16reverse_iteratorISI_EEEEENSH_IJSG_SG_SG_EEES9_SI_JZNS1_25segmented_radix_sort_implINS0_14default_configELb1EPKlPlSQ_SR_N2at6native12_GLOBAL__N_18offset_tEEE10hipError_tPvRmT1_PNSt15iterator_traitsISZ_E10value_typeET2_T3_PNS10_IS15_E10value_typeET4_jRbjT5_S1B_jjP12ihipStream_tbEUljE_ZNSN_ISO_Lb1ESQ_SR_SQ_SR_SV_EESW_SX_SY_SZ_S13_S14_S15_S18_S19_jS1A_jS1B_S1B_jjS1D_bEUljE0_EEESW_SX_SY_S15_S19_S1B_T6_T7_T9_mT8_S1D_bDpT10_ENKUlT_T0_E_clISt17integral_constantIbLb0EES1Q_IbLb1EEEEDaS1M_S1N_EUlS1M_E_NS1_11comp_targetILNS1_3genE0ELNS1_11target_archE4294967295ELNS1_3gpuE0ELNS1_3repE0EEENS1_30default_config_static_selectorELNS0_4arch9wavefront6targetE0EEEvSZ_
                                        ; -- End function
	.set _ZN7rocprim17ROCPRIM_400000_NS6detail17trampoline_kernelINS0_13select_configILj256ELj13ELNS0_17block_load_methodE3ELS4_3ELS4_3ELNS0_20block_scan_algorithmE0ELj4294967295EEENS1_25partition_config_selectorILNS1_17partition_subalgoE4EjNS0_10empty_typeEbEEZZNS1_14partition_implILS8_4ELb0ES6_15HIP_vector_typeIjLj2EENS0_17counting_iteratorIjlEEPS9_SG_NS0_5tupleIJPjSI_NS0_16reverse_iteratorISI_EEEEENSH_IJSG_SG_SG_EEES9_SI_JZNS1_25segmented_radix_sort_implINS0_14default_configELb1EPKlPlSQ_SR_N2at6native12_GLOBAL__N_18offset_tEEE10hipError_tPvRmT1_PNSt15iterator_traitsISZ_E10value_typeET2_T3_PNS10_IS15_E10value_typeET4_jRbjT5_S1B_jjP12ihipStream_tbEUljE_ZNSN_ISO_Lb1ESQ_SR_SQ_SR_SV_EESW_SX_SY_SZ_S13_S14_S15_S18_S19_jS1A_jS1B_S1B_jjS1D_bEUljE0_EEESW_SX_SY_S15_S19_S1B_T6_T7_T9_mT8_S1D_bDpT10_ENKUlT_T0_E_clISt17integral_constantIbLb0EES1Q_IbLb1EEEEDaS1M_S1N_EUlS1M_E_NS1_11comp_targetILNS1_3genE0ELNS1_11target_archE4294967295ELNS1_3gpuE0ELNS1_3repE0EEENS1_30default_config_static_selectorELNS0_4arch9wavefront6targetE0EEEvSZ_.num_vgpr, 0
	.set _ZN7rocprim17ROCPRIM_400000_NS6detail17trampoline_kernelINS0_13select_configILj256ELj13ELNS0_17block_load_methodE3ELS4_3ELS4_3ELNS0_20block_scan_algorithmE0ELj4294967295EEENS1_25partition_config_selectorILNS1_17partition_subalgoE4EjNS0_10empty_typeEbEEZZNS1_14partition_implILS8_4ELb0ES6_15HIP_vector_typeIjLj2EENS0_17counting_iteratorIjlEEPS9_SG_NS0_5tupleIJPjSI_NS0_16reverse_iteratorISI_EEEEENSH_IJSG_SG_SG_EEES9_SI_JZNS1_25segmented_radix_sort_implINS0_14default_configELb1EPKlPlSQ_SR_N2at6native12_GLOBAL__N_18offset_tEEE10hipError_tPvRmT1_PNSt15iterator_traitsISZ_E10value_typeET2_T3_PNS10_IS15_E10value_typeET4_jRbjT5_S1B_jjP12ihipStream_tbEUljE_ZNSN_ISO_Lb1ESQ_SR_SQ_SR_SV_EESW_SX_SY_SZ_S13_S14_S15_S18_S19_jS1A_jS1B_S1B_jjS1D_bEUljE0_EEESW_SX_SY_S15_S19_S1B_T6_T7_T9_mT8_S1D_bDpT10_ENKUlT_T0_E_clISt17integral_constantIbLb0EES1Q_IbLb1EEEEDaS1M_S1N_EUlS1M_E_NS1_11comp_targetILNS1_3genE0ELNS1_11target_archE4294967295ELNS1_3gpuE0ELNS1_3repE0EEENS1_30default_config_static_selectorELNS0_4arch9wavefront6targetE0EEEvSZ_.num_agpr, 0
	.set _ZN7rocprim17ROCPRIM_400000_NS6detail17trampoline_kernelINS0_13select_configILj256ELj13ELNS0_17block_load_methodE3ELS4_3ELS4_3ELNS0_20block_scan_algorithmE0ELj4294967295EEENS1_25partition_config_selectorILNS1_17partition_subalgoE4EjNS0_10empty_typeEbEEZZNS1_14partition_implILS8_4ELb0ES6_15HIP_vector_typeIjLj2EENS0_17counting_iteratorIjlEEPS9_SG_NS0_5tupleIJPjSI_NS0_16reverse_iteratorISI_EEEEENSH_IJSG_SG_SG_EEES9_SI_JZNS1_25segmented_radix_sort_implINS0_14default_configELb1EPKlPlSQ_SR_N2at6native12_GLOBAL__N_18offset_tEEE10hipError_tPvRmT1_PNSt15iterator_traitsISZ_E10value_typeET2_T3_PNS10_IS15_E10value_typeET4_jRbjT5_S1B_jjP12ihipStream_tbEUljE_ZNSN_ISO_Lb1ESQ_SR_SQ_SR_SV_EESW_SX_SY_SZ_S13_S14_S15_S18_S19_jS1A_jS1B_S1B_jjS1D_bEUljE0_EEESW_SX_SY_S15_S19_S1B_T6_T7_T9_mT8_S1D_bDpT10_ENKUlT_T0_E_clISt17integral_constantIbLb0EES1Q_IbLb1EEEEDaS1M_S1N_EUlS1M_E_NS1_11comp_targetILNS1_3genE0ELNS1_11target_archE4294967295ELNS1_3gpuE0ELNS1_3repE0EEENS1_30default_config_static_selectorELNS0_4arch9wavefront6targetE0EEEvSZ_.numbered_sgpr, 0
	.set _ZN7rocprim17ROCPRIM_400000_NS6detail17trampoline_kernelINS0_13select_configILj256ELj13ELNS0_17block_load_methodE3ELS4_3ELS4_3ELNS0_20block_scan_algorithmE0ELj4294967295EEENS1_25partition_config_selectorILNS1_17partition_subalgoE4EjNS0_10empty_typeEbEEZZNS1_14partition_implILS8_4ELb0ES6_15HIP_vector_typeIjLj2EENS0_17counting_iteratorIjlEEPS9_SG_NS0_5tupleIJPjSI_NS0_16reverse_iteratorISI_EEEEENSH_IJSG_SG_SG_EEES9_SI_JZNS1_25segmented_radix_sort_implINS0_14default_configELb1EPKlPlSQ_SR_N2at6native12_GLOBAL__N_18offset_tEEE10hipError_tPvRmT1_PNSt15iterator_traitsISZ_E10value_typeET2_T3_PNS10_IS15_E10value_typeET4_jRbjT5_S1B_jjP12ihipStream_tbEUljE_ZNSN_ISO_Lb1ESQ_SR_SQ_SR_SV_EESW_SX_SY_SZ_S13_S14_S15_S18_S19_jS1A_jS1B_S1B_jjS1D_bEUljE0_EEESW_SX_SY_S15_S19_S1B_T6_T7_T9_mT8_S1D_bDpT10_ENKUlT_T0_E_clISt17integral_constantIbLb0EES1Q_IbLb1EEEEDaS1M_S1N_EUlS1M_E_NS1_11comp_targetILNS1_3genE0ELNS1_11target_archE4294967295ELNS1_3gpuE0ELNS1_3repE0EEENS1_30default_config_static_selectorELNS0_4arch9wavefront6targetE0EEEvSZ_.num_named_barrier, 0
	.set _ZN7rocprim17ROCPRIM_400000_NS6detail17trampoline_kernelINS0_13select_configILj256ELj13ELNS0_17block_load_methodE3ELS4_3ELS4_3ELNS0_20block_scan_algorithmE0ELj4294967295EEENS1_25partition_config_selectorILNS1_17partition_subalgoE4EjNS0_10empty_typeEbEEZZNS1_14partition_implILS8_4ELb0ES6_15HIP_vector_typeIjLj2EENS0_17counting_iteratorIjlEEPS9_SG_NS0_5tupleIJPjSI_NS0_16reverse_iteratorISI_EEEEENSH_IJSG_SG_SG_EEES9_SI_JZNS1_25segmented_radix_sort_implINS0_14default_configELb1EPKlPlSQ_SR_N2at6native12_GLOBAL__N_18offset_tEEE10hipError_tPvRmT1_PNSt15iterator_traitsISZ_E10value_typeET2_T3_PNS10_IS15_E10value_typeET4_jRbjT5_S1B_jjP12ihipStream_tbEUljE_ZNSN_ISO_Lb1ESQ_SR_SQ_SR_SV_EESW_SX_SY_SZ_S13_S14_S15_S18_S19_jS1A_jS1B_S1B_jjS1D_bEUljE0_EEESW_SX_SY_S15_S19_S1B_T6_T7_T9_mT8_S1D_bDpT10_ENKUlT_T0_E_clISt17integral_constantIbLb0EES1Q_IbLb1EEEEDaS1M_S1N_EUlS1M_E_NS1_11comp_targetILNS1_3genE0ELNS1_11target_archE4294967295ELNS1_3gpuE0ELNS1_3repE0EEENS1_30default_config_static_selectorELNS0_4arch9wavefront6targetE0EEEvSZ_.private_seg_size, 0
	.set _ZN7rocprim17ROCPRIM_400000_NS6detail17trampoline_kernelINS0_13select_configILj256ELj13ELNS0_17block_load_methodE3ELS4_3ELS4_3ELNS0_20block_scan_algorithmE0ELj4294967295EEENS1_25partition_config_selectorILNS1_17partition_subalgoE4EjNS0_10empty_typeEbEEZZNS1_14partition_implILS8_4ELb0ES6_15HIP_vector_typeIjLj2EENS0_17counting_iteratorIjlEEPS9_SG_NS0_5tupleIJPjSI_NS0_16reverse_iteratorISI_EEEEENSH_IJSG_SG_SG_EEES9_SI_JZNS1_25segmented_radix_sort_implINS0_14default_configELb1EPKlPlSQ_SR_N2at6native12_GLOBAL__N_18offset_tEEE10hipError_tPvRmT1_PNSt15iterator_traitsISZ_E10value_typeET2_T3_PNS10_IS15_E10value_typeET4_jRbjT5_S1B_jjP12ihipStream_tbEUljE_ZNSN_ISO_Lb1ESQ_SR_SQ_SR_SV_EESW_SX_SY_SZ_S13_S14_S15_S18_S19_jS1A_jS1B_S1B_jjS1D_bEUljE0_EEESW_SX_SY_S15_S19_S1B_T6_T7_T9_mT8_S1D_bDpT10_ENKUlT_T0_E_clISt17integral_constantIbLb0EES1Q_IbLb1EEEEDaS1M_S1N_EUlS1M_E_NS1_11comp_targetILNS1_3genE0ELNS1_11target_archE4294967295ELNS1_3gpuE0ELNS1_3repE0EEENS1_30default_config_static_selectorELNS0_4arch9wavefront6targetE0EEEvSZ_.uses_vcc, 0
	.set _ZN7rocprim17ROCPRIM_400000_NS6detail17trampoline_kernelINS0_13select_configILj256ELj13ELNS0_17block_load_methodE3ELS4_3ELS4_3ELNS0_20block_scan_algorithmE0ELj4294967295EEENS1_25partition_config_selectorILNS1_17partition_subalgoE4EjNS0_10empty_typeEbEEZZNS1_14partition_implILS8_4ELb0ES6_15HIP_vector_typeIjLj2EENS0_17counting_iteratorIjlEEPS9_SG_NS0_5tupleIJPjSI_NS0_16reverse_iteratorISI_EEEEENSH_IJSG_SG_SG_EEES9_SI_JZNS1_25segmented_radix_sort_implINS0_14default_configELb1EPKlPlSQ_SR_N2at6native12_GLOBAL__N_18offset_tEEE10hipError_tPvRmT1_PNSt15iterator_traitsISZ_E10value_typeET2_T3_PNS10_IS15_E10value_typeET4_jRbjT5_S1B_jjP12ihipStream_tbEUljE_ZNSN_ISO_Lb1ESQ_SR_SQ_SR_SV_EESW_SX_SY_SZ_S13_S14_S15_S18_S19_jS1A_jS1B_S1B_jjS1D_bEUljE0_EEESW_SX_SY_S15_S19_S1B_T6_T7_T9_mT8_S1D_bDpT10_ENKUlT_T0_E_clISt17integral_constantIbLb0EES1Q_IbLb1EEEEDaS1M_S1N_EUlS1M_E_NS1_11comp_targetILNS1_3genE0ELNS1_11target_archE4294967295ELNS1_3gpuE0ELNS1_3repE0EEENS1_30default_config_static_selectorELNS0_4arch9wavefront6targetE0EEEvSZ_.uses_flat_scratch, 0
	.set _ZN7rocprim17ROCPRIM_400000_NS6detail17trampoline_kernelINS0_13select_configILj256ELj13ELNS0_17block_load_methodE3ELS4_3ELS4_3ELNS0_20block_scan_algorithmE0ELj4294967295EEENS1_25partition_config_selectorILNS1_17partition_subalgoE4EjNS0_10empty_typeEbEEZZNS1_14partition_implILS8_4ELb0ES6_15HIP_vector_typeIjLj2EENS0_17counting_iteratorIjlEEPS9_SG_NS0_5tupleIJPjSI_NS0_16reverse_iteratorISI_EEEEENSH_IJSG_SG_SG_EEES9_SI_JZNS1_25segmented_radix_sort_implINS0_14default_configELb1EPKlPlSQ_SR_N2at6native12_GLOBAL__N_18offset_tEEE10hipError_tPvRmT1_PNSt15iterator_traitsISZ_E10value_typeET2_T3_PNS10_IS15_E10value_typeET4_jRbjT5_S1B_jjP12ihipStream_tbEUljE_ZNSN_ISO_Lb1ESQ_SR_SQ_SR_SV_EESW_SX_SY_SZ_S13_S14_S15_S18_S19_jS1A_jS1B_S1B_jjS1D_bEUljE0_EEESW_SX_SY_S15_S19_S1B_T6_T7_T9_mT8_S1D_bDpT10_ENKUlT_T0_E_clISt17integral_constantIbLb0EES1Q_IbLb1EEEEDaS1M_S1N_EUlS1M_E_NS1_11comp_targetILNS1_3genE0ELNS1_11target_archE4294967295ELNS1_3gpuE0ELNS1_3repE0EEENS1_30default_config_static_selectorELNS0_4arch9wavefront6targetE0EEEvSZ_.has_dyn_sized_stack, 0
	.set _ZN7rocprim17ROCPRIM_400000_NS6detail17trampoline_kernelINS0_13select_configILj256ELj13ELNS0_17block_load_methodE3ELS4_3ELS4_3ELNS0_20block_scan_algorithmE0ELj4294967295EEENS1_25partition_config_selectorILNS1_17partition_subalgoE4EjNS0_10empty_typeEbEEZZNS1_14partition_implILS8_4ELb0ES6_15HIP_vector_typeIjLj2EENS0_17counting_iteratorIjlEEPS9_SG_NS0_5tupleIJPjSI_NS0_16reverse_iteratorISI_EEEEENSH_IJSG_SG_SG_EEES9_SI_JZNS1_25segmented_radix_sort_implINS0_14default_configELb1EPKlPlSQ_SR_N2at6native12_GLOBAL__N_18offset_tEEE10hipError_tPvRmT1_PNSt15iterator_traitsISZ_E10value_typeET2_T3_PNS10_IS15_E10value_typeET4_jRbjT5_S1B_jjP12ihipStream_tbEUljE_ZNSN_ISO_Lb1ESQ_SR_SQ_SR_SV_EESW_SX_SY_SZ_S13_S14_S15_S18_S19_jS1A_jS1B_S1B_jjS1D_bEUljE0_EEESW_SX_SY_S15_S19_S1B_T6_T7_T9_mT8_S1D_bDpT10_ENKUlT_T0_E_clISt17integral_constantIbLb0EES1Q_IbLb1EEEEDaS1M_S1N_EUlS1M_E_NS1_11comp_targetILNS1_3genE0ELNS1_11target_archE4294967295ELNS1_3gpuE0ELNS1_3repE0EEENS1_30default_config_static_selectorELNS0_4arch9wavefront6targetE0EEEvSZ_.has_recursion, 0
	.set _ZN7rocprim17ROCPRIM_400000_NS6detail17trampoline_kernelINS0_13select_configILj256ELj13ELNS0_17block_load_methodE3ELS4_3ELS4_3ELNS0_20block_scan_algorithmE0ELj4294967295EEENS1_25partition_config_selectorILNS1_17partition_subalgoE4EjNS0_10empty_typeEbEEZZNS1_14partition_implILS8_4ELb0ES6_15HIP_vector_typeIjLj2EENS0_17counting_iteratorIjlEEPS9_SG_NS0_5tupleIJPjSI_NS0_16reverse_iteratorISI_EEEEENSH_IJSG_SG_SG_EEES9_SI_JZNS1_25segmented_radix_sort_implINS0_14default_configELb1EPKlPlSQ_SR_N2at6native12_GLOBAL__N_18offset_tEEE10hipError_tPvRmT1_PNSt15iterator_traitsISZ_E10value_typeET2_T3_PNS10_IS15_E10value_typeET4_jRbjT5_S1B_jjP12ihipStream_tbEUljE_ZNSN_ISO_Lb1ESQ_SR_SQ_SR_SV_EESW_SX_SY_SZ_S13_S14_S15_S18_S19_jS1A_jS1B_S1B_jjS1D_bEUljE0_EEESW_SX_SY_S15_S19_S1B_T6_T7_T9_mT8_S1D_bDpT10_ENKUlT_T0_E_clISt17integral_constantIbLb0EES1Q_IbLb1EEEEDaS1M_S1N_EUlS1M_E_NS1_11comp_targetILNS1_3genE0ELNS1_11target_archE4294967295ELNS1_3gpuE0ELNS1_3repE0EEENS1_30default_config_static_selectorELNS0_4arch9wavefront6targetE0EEEvSZ_.has_indirect_call, 0
	.section	.AMDGPU.csdata,"",@progbits
; Kernel info:
; codeLenInByte = 0
; TotalNumSgprs: 0
; NumVgprs: 0
; ScratchSize: 0
; MemoryBound: 0
; FloatMode: 240
; IeeeMode: 1
; LDSByteSize: 0 bytes/workgroup (compile time only)
; SGPRBlocks: 0
; VGPRBlocks: 0
; NumSGPRsForWavesPerEU: 1
; NumVGPRsForWavesPerEU: 1
; Occupancy: 16
; WaveLimiterHint : 0
; COMPUTE_PGM_RSRC2:SCRATCH_EN: 0
; COMPUTE_PGM_RSRC2:USER_SGPR: 6
; COMPUTE_PGM_RSRC2:TRAP_HANDLER: 0
; COMPUTE_PGM_RSRC2:TGID_X_EN: 1
; COMPUTE_PGM_RSRC2:TGID_Y_EN: 0
; COMPUTE_PGM_RSRC2:TGID_Z_EN: 0
; COMPUTE_PGM_RSRC2:TIDIG_COMP_CNT: 0
	.section	.text._ZN7rocprim17ROCPRIM_400000_NS6detail17trampoline_kernelINS0_13select_configILj256ELj13ELNS0_17block_load_methodE3ELS4_3ELS4_3ELNS0_20block_scan_algorithmE0ELj4294967295EEENS1_25partition_config_selectorILNS1_17partition_subalgoE4EjNS0_10empty_typeEbEEZZNS1_14partition_implILS8_4ELb0ES6_15HIP_vector_typeIjLj2EENS0_17counting_iteratorIjlEEPS9_SG_NS0_5tupleIJPjSI_NS0_16reverse_iteratorISI_EEEEENSH_IJSG_SG_SG_EEES9_SI_JZNS1_25segmented_radix_sort_implINS0_14default_configELb1EPKlPlSQ_SR_N2at6native12_GLOBAL__N_18offset_tEEE10hipError_tPvRmT1_PNSt15iterator_traitsISZ_E10value_typeET2_T3_PNS10_IS15_E10value_typeET4_jRbjT5_S1B_jjP12ihipStream_tbEUljE_ZNSN_ISO_Lb1ESQ_SR_SQ_SR_SV_EESW_SX_SY_SZ_S13_S14_S15_S18_S19_jS1A_jS1B_S1B_jjS1D_bEUljE0_EEESW_SX_SY_S15_S19_S1B_T6_T7_T9_mT8_S1D_bDpT10_ENKUlT_T0_E_clISt17integral_constantIbLb0EES1Q_IbLb1EEEEDaS1M_S1N_EUlS1M_E_NS1_11comp_targetILNS1_3genE5ELNS1_11target_archE942ELNS1_3gpuE9ELNS1_3repE0EEENS1_30default_config_static_selectorELNS0_4arch9wavefront6targetE0EEEvSZ_,"axG",@progbits,_ZN7rocprim17ROCPRIM_400000_NS6detail17trampoline_kernelINS0_13select_configILj256ELj13ELNS0_17block_load_methodE3ELS4_3ELS4_3ELNS0_20block_scan_algorithmE0ELj4294967295EEENS1_25partition_config_selectorILNS1_17partition_subalgoE4EjNS0_10empty_typeEbEEZZNS1_14partition_implILS8_4ELb0ES6_15HIP_vector_typeIjLj2EENS0_17counting_iteratorIjlEEPS9_SG_NS0_5tupleIJPjSI_NS0_16reverse_iteratorISI_EEEEENSH_IJSG_SG_SG_EEES9_SI_JZNS1_25segmented_radix_sort_implINS0_14default_configELb1EPKlPlSQ_SR_N2at6native12_GLOBAL__N_18offset_tEEE10hipError_tPvRmT1_PNSt15iterator_traitsISZ_E10value_typeET2_T3_PNS10_IS15_E10value_typeET4_jRbjT5_S1B_jjP12ihipStream_tbEUljE_ZNSN_ISO_Lb1ESQ_SR_SQ_SR_SV_EESW_SX_SY_SZ_S13_S14_S15_S18_S19_jS1A_jS1B_S1B_jjS1D_bEUljE0_EEESW_SX_SY_S15_S19_S1B_T6_T7_T9_mT8_S1D_bDpT10_ENKUlT_T0_E_clISt17integral_constantIbLb0EES1Q_IbLb1EEEEDaS1M_S1N_EUlS1M_E_NS1_11comp_targetILNS1_3genE5ELNS1_11target_archE942ELNS1_3gpuE9ELNS1_3repE0EEENS1_30default_config_static_selectorELNS0_4arch9wavefront6targetE0EEEvSZ_,comdat
	.globl	_ZN7rocprim17ROCPRIM_400000_NS6detail17trampoline_kernelINS0_13select_configILj256ELj13ELNS0_17block_load_methodE3ELS4_3ELS4_3ELNS0_20block_scan_algorithmE0ELj4294967295EEENS1_25partition_config_selectorILNS1_17partition_subalgoE4EjNS0_10empty_typeEbEEZZNS1_14partition_implILS8_4ELb0ES6_15HIP_vector_typeIjLj2EENS0_17counting_iteratorIjlEEPS9_SG_NS0_5tupleIJPjSI_NS0_16reverse_iteratorISI_EEEEENSH_IJSG_SG_SG_EEES9_SI_JZNS1_25segmented_radix_sort_implINS0_14default_configELb1EPKlPlSQ_SR_N2at6native12_GLOBAL__N_18offset_tEEE10hipError_tPvRmT1_PNSt15iterator_traitsISZ_E10value_typeET2_T3_PNS10_IS15_E10value_typeET4_jRbjT5_S1B_jjP12ihipStream_tbEUljE_ZNSN_ISO_Lb1ESQ_SR_SQ_SR_SV_EESW_SX_SY_SZ_S13_S14_S15_S18_S19_jS1A_jS1B_S1B_jjS1D_bEUljE0_EEESW_SX_SY_S15_S19_S1B_T6_T7_T9_mT8_S1D_bDpT10_ENKUlT_T0_E_clISt17integral_constantIbLb0EES1Q_IbLb1EEEEDaS1M_S1N_EUlS1M_E_NS1_11comp_targetILNS1_3genE5ELNS1_11target_archE942ELNS1_3gpuE9ELNS1_3repE0EEENS1_30default_config_static_selectorELNS0_4arch9wavefront6targetE0EEEvSZ_ ; -- Begin function _ZN7rocprim17ROCPRIM_400000_NS6detail17trampoline_kernelINS0_13select_configILj256ELj13ELNS0_17block_load_methodE3ELS4_3ELS4_3ELNS0_20block_scan_algorithmE0ELj4294967295EEENS1_25partition_config_selectorILNS1_17partition_subalgoE4EjNS0_10empty_typeEbEEZZNS1_14partition_implILS8_4ELb0ES6_15HIP_vector_typeIjLj2EENS0_17counting_iteratorIjlEEPS9_SG_NS0_5tupleIJPjSI_NS0_16reverse_iteratorISI_EEEEENSH_IJSG_SG_SG_EEES9_SI_JZNS1_25segmented_radix_sort_implINS0_14default_configELb1EPKlPlSQ_SR_N2at6native12_GLOBAL__N_18offset_tEEE10hipError_tPvRmT1_PNSt15iterator_traitsISZ_E10value_typeET2_T3_PNS10_IS15_E10value_typeET4_jRbjT5_S1B_jjP12ihipStream_tbEUljE_ZNSN_ISO_Lb1ESQ_SR_SQ_SR_SV_EESW_SX_SY_SZ_S13_S14_S15_S18_S19_jS1A_jS1B_S1B_jjS1D_bEUljE0_EEESW_SX_SY_S15_S19_S1B_T6_T7_T9_mT8_S1D_bDpT10_ENKUlT_T0_E_clISt17integral_constantIbLb0EES1Q_IbLb1EEEEDaS1M_S1N_EUlS1M_E_NS1_11comp_targetILNS1_3genE5ELNS1_11target_archE942ELNS1_3gpuE9ELNS1_3repE0EEENS1_30default_config_static_selectorELNS0_4arch9wavefront6targetE0EEEvSZ_
	.p2align	8
	.type	_ZN7rocprim17ROCPRIM_400000_NS6detail17trampoline_kernelINS0_13select_configILj256ELj13ELNS0_17block_load_methodE3ELS4_3ELS4_3ELNS0_20block_scan_algorithmE0ELj4294967295EEENS1_25partition_config_selectorILNS1_17partition_subalgoE4EjNS0_10empty_typeEbEEZZNS1_14partition_implILS8_4ELb0ES6_15HIP_vector_typeIjLj2EENS0_17counting_iteratorIjlEEPS9_SG_NS0_5tupleIJPjSI_NS0_16reverse_iteratorISI_EEEEENSH_IJSG_SG_SG_EEES9_SI_JZNS1_25segmented_radix_sort_implINS0_14default_configELb1EPKlPlSQ_SR_N2at6native12_GLOBAL__N_18offset_tEEE10hipError_tPvRmT1_PNSt15iterator_traitsISZ_E10value_typeET2_T3_PNS10_IS15_E10value_typeET4_jRbjT5_S1B_jjP12ihipStream_tbEUljE_ZNSN_ISO_Lb1ESQ_SR_SQ_SR_SV_EESW_SX_SY_SZ_S13_S14_S15_S18_S19_jS1A_jS1B_S1B_jjS1D_bEUljE0_EEESW_SX_SY_S15_S19_S1B_T6_T7_T9_mT8_S1D_bDpT10_ENKUlT_T0_E_clISt17integral_constantIbLb0EES1Q_IbLb1EEEEDaS1M_S1N_EUlS1M_E_NS1_11comp_targetILNS1_3genE5ELNS1_11target_archE942ELNS1_3gpuE9ELNS1_3repE0EEENS1_30default_config_static_selectorELNS0_4arch9wavefront6targetE0EEEvSZ_,@function
_ZN7rocprim17ROCPRIM_400000_NS6detail17trampoline_kernelINS0_13select_configILj256ELj13ELNS0_17block_load_methodE3ELS4_3ELS4_3ELNS0_20block_scan_algorithmE0ELj4294967295EEENS1_25partition_config_selectorILNS1_17partition_subalgoE4EjNS0_10empty_typeEbEEZZNS1_14partition_implILS8_4ELb0ES6_15HIP_vector_typeIjLj2EENS0_17counting_iteratorIjlEEPS9_SG_NS0_5tupleIJPjSI_NS0_16reverse_iteratorISI_EEEEENSH_IJSG_SG_SG_EEES9_SI_JZNS1_25segmented_radix_sort_implINS0_14default_configELb1EPKlPlSQ_SR_N2at6native12_GLOBAL__N_18offset_tEEE10hipError_tPvRmT1_PNSt15iterator_traitsISZ_E10value_typeET2_T3_PNS10_IS15_E10value_typeET4_jRbjT5_S1B_jjP12ihipStream_tbEUljE_ZNSN_ISO_Lb1ESQ_SR_SQ_SR_SV_EESW_SX_SY_SZ_S13_S14_S15_S18_S19_jS1A_jS1B_S1B_jjS1D_bEUljE0_EEESW_SX_SY_S15_S19_S1B_T6_T7_T9_mT8_S1D_bDpT10_ENKUlT_T0_E_clISt17integral_constantIbLb0EES1Q_IbLb1EEEEDaS1M_S1N_EUlS1M_E_NS1_11comp_targetILNS1_3genE5ELNS1_11target_archE942ELNS1_3gpuE9ELNS1_3repE0EEENS1_30default_config_static_selectorELNS0_4arch9wavefront6targetE0EEEvSZ_: ; @_ZN7rocprim17ROCPRIM_400000_NS6detail17trampoline_kernelINS0_13select_configILj256ELj13ELNS0_17block_load_methodE3ELS4_3ELS4_3ELNS0_20block_scan_algorithmE0ELj4294967295EEENS1_25partition_config_selectorILNS1_17partition_subalgoE4EjNS0_10empty_typeEbEEZZNS1_14partition_implILS8_4ELb0ES6_15HIP_vector_typeIjLj2EENS0_17counting_iteratorIjlEEPS9_SG_NS0_5tupleIJPjSI_NS0_16reverse_iteratorISI_EEEEENSH_IJSG_SG_SG_EEES9_SI_JZNS1_25segmented_radix_sort_implINS0_14default_configELb1EPKlPlSQ_SR_N2at6native12_GLOBAL__N_18offset_tEEE10hipError_tPvRmT1_PNSt15iterator_traitsISZ_E10value_typeET2_T3_PNS10_IS15_E10value_typeET4_jRbjT5_S1B_jjP12ihipStream_tbEUljE_ZNSN_ISO_Lb1ESQ_SR_SQ_SR_SV_EESW_SX_SY_SZ_S13_S14_S15_S18_S19_jS1A_jS1B_S1B_jjS1D_bEUljE0_EEESW_SX_SY_S15_S19_S1B_T6_T7_T9_mT8_S1D_bDpT10_ENKUlT_T0_E_clISt17integral_constantIbLb0EES1Q_IbLb1EEEEDaS1M_S1N_EUlS1M_E_NS1_11comp_targetILNS1_3genE5ELNS1_11target_archE942ELNS1_3gpuE9ELNS1_3repE0EEENS1_30default_config_static_selectorELNS0_4arch9wavefront6targetE0EEEvSZ_
; %bb.0:
	.section	.rodata,"a",@progbits
	.p2align	6, 0x0
	.amdhsa_kernel _ZN7rocprim17ROCPRIM_400000_NS6detail17trampoline_kernelINS0_13select_configILj256ELj13ELNS0_17block_load_methodE3ELS4_3ELS4_3ELNS0_20block_scan_algorithmE0ELj4294967295EEENS1_25partition_config_selectorILNS1_17partition_subalgoE4EjNS0_10empty_typeEbEEZZNS1_14partition_implILS8_4ELb0ES6_15HIP_vector_typeIjLj2EENS0_17counting_iteratorIjlEEPS9_SG_NS0_5tupleIJPjSI_NS0_16reverse_iteratorISI_EEEEENSH_IJSG_SG_SG_EEES9_SI_JZNS1_25segmented_radix_sort_implINS0_14default_configELb1EPKlPlSQ_SR_N2at6native12_GLOBAL__N_18offset_tEEE10hipError_tPvRmT1_PNSt15iterator_traitsISZ_E10value_typeET2_T3_PNS10_IS15_E10value_typeET4_jRbjT5_S1B_jjP12ihipStream_tbEUljE_ZNSN_ISO_Lb1ESQ_SR_SQ_SR_SV_EESW_SX_SY_SZ_S13_S14_S15_S18_S19_jS1A_jS1B_S1B_jjS1D_bEUljE0_EEESW_SX_SY_S15_S19_S1B_T6_T7_T9_mT8_S1D_bDpT10_ENKUlT_T0_E_clISt17integral_constantIbLb0EES1Q_IbLb1EEEEDaS1M_S1N_EUlS1M_E_NS1_11comp_targetILNS1_3genE5ELNS1_11target_archE942ELNS1_3gpuE9ELNS1_3repE0EEENS1_30default_config_static_selectorELNS0_4arch9wavefront6targetE0EEEvSZ_
		.amdhsa_group_segment_fixed_size 0
		.amdhsa_private_segment_fixed_size 0
		.amdhsa_kernarg_size 184
		.amdhsa_user_sgpr_count 6
		.amdhsa_user_sgpr_private_segment_buffer 1
		.amdhsa_user_sgpr_dispatch_ptr 0
		.amdhsa_user_sgpr_queue_ptr 0
		.amdhsa_user_sgpr_kernarg_segment_ptr 1
		.amdhsa_user_sgpr_dispatch_id 0
		.amdhsa_user_sgpr_flat_scratch_init 0
		.amdhsa_user_sgpr_private_segment_size 0
		.amdhsa_wavefront_size32 1
		.amdhsa_uses_dynamic_stack 0
		.amdhsa_system_sgpr_private_segment_wavefront_offset 0
		.amdhsa_system_sgpr_workgroup_id_x 1
		.amdhsa_system_sgpr_workgroup_id_y 0
		.amdhsa_system_sgpr_workgroup_id_z 0
		.amdhsa_system_sgpr_workgroup_info 0
		.amdhsa_system_vgpr_workitem_id 0
		.amdhsa_next_free_vgpr 1
		.amdhsa_next_free_sgpr 1
		.amdhsa_reserve_vcc 0
		.amdhsa_reserve_flat_scratch 0
		.amdhsa_float_round_mode_32 0
		.amdhsa_float_round_mode_16_64 0
		.amdhsa_float_denorm_mode_32 3
		.amdhsa_float_denorm_mode_16_64 3
		.amdhsa_dx10_clamp 1
		.amdhsa_ieee_mode 1
		.amdhsa_fp16_overflow 0
		.amdhsa_workgroup_processor_mode 1
		.amdhsa_memory_ordered 1
		.amdhsa_forward_progress 1
		.amdhsa_shared_vgpr_count 0
		.amdhsa_exception_fp_ieee_invalid_op 0
		.amdhsa_exception_fp_denorm_src 0
		.amdhsa_exception_fp_ieee_div_zero 0
		.amdhsa_exception_fp_ieee_overflow 0
		.amdhsa_exception_fp_ieee_underflow 0
		.amdhsa_exception_fp_ieee_inexact 0
		.amdhsa_exception_int_div_zero 0
	.end_amdhsa_kernel
	.section	.text._ZN7rocprim17ROCPRIM_400000_NS6detail17trampoline_kernelINS0_13select_configILj256ELj13ELNS0_17block_load_methodE3ELS4_3ELS4_3ELNS0_20block_scan_algorithmE0ELj4294967295EEENS1_25partition_config_selectorILNS1_17partition_subalgoE4EjNS0_10empty_typeEbEEZZNS1_14partition_implILS8_4ELb0ES6_15HIP_vector_typeIjLj2EENS0_17counting_iteratorIjlEEPS9_SG_NS0_5tupleIJPjSI_NS0_16reverse_iteratorISI_EEEEENSH_IJSG_SG_SG_EEES9_SI_JZNS1_25segmented_radix_sort_implINS0_14default_configELb1EPKlPlSQ_SR_N2at6native12_GLOBAL__N_18offset_tEEE10hipError_tPvRmT1_PNSt15iterator_traitsISZ_E10value_typeET2_T3_PNS10_IS15_E10value_typeET4_jRbjT5_S1B_jjP12ihipStream_tbEUljE_ZNSN_ISO_Lb1ESQ_SR_SQ_SR_SV_EESW_SX_SY_SZ_S13_S14_S15_S18_S19_jS1A_jS1B_S1B_jjS1D_bEUljE0_EEESW_SX_SY_S15_S19_S1B_T6_T7_T9_mT8_S1D_bDpT10_ENKUlT_T0_E_clISt17integral_constantIbLb0EES1Q_IbLb1EEEEDaS1M_S1N_EUlS1M_E_NS1_11comp_targetILNS1_3genE5ELNS1_11target_archE942ELNS1_3gpuE9ELNS1_3repE0EEENS1_30default_config_static_selectorELNS0_4arch9wavefront6targetE0EEEvSZ_,"axG",@progbits,_ZN7rocprim17ROCPRIM_400000_NS6detail17trampoline_kernelINS0_13select_configILj256ELj13ELNS0_17block_load_methodE3ELS4_3ELS4_3ELNS0_20block_scan_algorithmE0ELj4294967295EEENS1_25partition_config_selectorILNS1_17partition_subalgoE4EjNS0_10empty_typeEbEEZZNS1_14partition_implILS8_4ELb0ES6_15HIP_vector_typeIjLj2EENS0_17counting_iteratorIjlEEPS9_SG_NS0_5tupleIJPjSI_NS0_16reverse_iteratorISI_EEEEENSH_IJSG_SG_SG_EEES9_SI_JZNS1_25segmented_radix_sort_implINS0_14default_configELb1EPKlPlSQ_SR_N2at6native12_GLOBAL__N_18offset_tEEE10hipError_tPvRmT1_PNSt15iterator_traitsISZ_E10value_typeET2_T3_PNS10_IS15_E10value_typeET4_jRbjT5_S1B_jjP12ihipStream_tbEUljE_ZNSN_ISO_Lb1ESQ_SR_SQ_SR_SV_EESW_SX_SY_SZ_S13_S14_S15_S18_S19_jS1A_jS1B_S1B_jjS1D_bEUljE0_EEESW_SX_SY_S15_S19_S1B_T6_T7_T9_mT8_S1D_bDpT10_ENKUlT_T0_E_clISt17integral_constantIbLb0EES1Q_IbLb1EEEEDaS1M_S1N_EUlS1M_E_NS1_11comp_targetILNS1_3genE5ELNS1_11target_archE942ELNS1_3gpuE9ELNS1_3repE0EEENS1_30default_config_static_selectorELNS0_4arch9wavefront6targetE0EEEvSZ_,comdat
.Lfunc_end659:
	.size	_ZN7rocprim17ROCPRIM_400000_NS6detail17trampoline_kernelINS0_13select_configILj256ELj13ELNS0_17block_load_methodE3ELS4_3ELS4_3ELNS0_20block_scan_algorithmE0ELj4294967295EEENS1_25partition_config_selectorILNS1_17partition_subalgoE4EjNS0_10empty_typeEbEEZZNS1_14partition_implILS8_4ELb0ES6_15HIP_vector_typeIjLj2EENS0_17counting_iteratorIjlEEPS9_SG_NS0_5tupleIJPjSI_NS0_16reverse_iteratorISI_EEEEENSH_IJSG_SG_SG_EEES9_SI_JZNS1_25segmented_radix_sort_implINS0_14default_configELb1EPKlPlSQ_SR_N2at6native12_GLOBAL__N_18offset_tEEE10hipError_tPvRmT1_PNSt15iterator_traitsISZ_E10value_typeET2_T3_PNS10_IS15_E10value_typeET4_jRbjT5_S1B_jjP12ihipStream_tbEUljE_ZNSN_ISO_Lb1ESQ_SR_SQ_SR_SV_EESW_SX_SY_SZ_S13_S14_S15_S18_S19_jS1A_jS1B_S1B_jjS1D_bEUljE0_EEESW_SX_SY_S15_S19_S1B_T6_T7_T9_mT8_S1D_bDpT10_ENKUlT_T0_E_clISt17integral_constantIbLb0EES1Q_IbLb1EEEEDaS1M_S1N_EUlS1M_E_NS1_11comp_targetILNS1_3genE5ELNS1_11target_archE942ELNS1_3gpuE9ELNS1_3repE0EEENS1_30default_config_static_selectorELNS0_4arch9wavefront6targetE0EEEvSZ_, .Lfunc_end659-_ZN7rocprim17ROCPRIM_400000_NS6detail17trampoline_kernelINS0_13select_configILj256ELj13ELNS0_17block_load_methodE3ELS4_3ELS4_3ELNS0_20block_scan_algorithmE0ELj4294967295EEENS1_25partition_config_selectorILNS1_17partition_subalgoE4EjNS0_10empty_typeEbEEZZNS1_14partition_implILS8_4ELb0ES6_15HIP_vector_typeIjLj2EENS0_17counting_iteratorIjlEEPS9_SG_NS0_5tupleIJPjSI_NS0_16reverse_iteratorISI_EEEEENSH_IJSG_SG_SG_EEES9_SI_JZNS1_25segmented_radix_sort_implINS0_14default_configELb1EPKlPlSQ_SR_N2at6native12_GLOBAL__N_18offset_tEEE10hipError_tPvRmT1_PNSt15iterator_traitsISZ_E10value_typeET2_T3_PNS10_IS15_E10value_typeET4_jRbjT5_S1B_jjP12ihipStream_tbEUljE_ZNSN_ISO_Lb1ESQ_SR_SQ_SR_SV_EESW_SX_SY_SZ_S13_S14_S15_S18_S19_jS1A_jS1B_S1B_jjS1D_bEUljE0_EEESW_SX_SY_S15_S19_S1B_T6_T7_T9_mT8_S1D_bDpT10_ENKUlT_T0_E_clISt17integral_constantIbLb0EES1Q_IbLb1EEEEDaS1M_S1N_EUlS1M_E_NS1_11comp_targetILNS1_3genE5ELNS1_11target_archE942ELNS1_3gpuE9ELNS1_3repE0EEENS1_30default_config_static_selectorELNS0_4arch9wavefront6targetE0EEEvSZ_
                                        ; -- End function
	.set _ZN7rocprim17ROCPRIM_400000_NS6detail17trampoline_kernelINS0_13select_configILj256ELj13ELNS0_17block_load_methodE3ELS4_3ELS4_3ELNS0_20block_scan_algorithmE0ELj4294967295EEENS1_25partition_config_selectorILNS1_17partition_subalgoE4EjNS0_10empty_typeEbEEZZNS1_14partition_implILS8_4ELb0ES6_15HIP_vector_typeIjLj2EENS0_17counting_iteratorIjlEEPS9_SG_NS0_5tupleIJPjSI_NS0_16reverse_iteratorISI_EEEEENSH_IJSG_SG_SG_EEES9_SI_JZNS1_25segmented_radix_sort_implINS0_14default_configELb1EPKlPlSQ_SR_N2at6native12_GLOBAL__N_18offset_tEEE10hipError_tPvRmT1_PNSt15iterator_traitsISZ_E10value_typeET2_T3_PNS10_IS15_E10value_typeET4_jRbjT5_S1B_jjP12ihipStream_tbEUljE_ZNSN_ISO_Lb1ESQ_SR_SQ_SR_SV_EESW_SX_SY_SZ_S13_S14_S15_S18_S19_jS1A_jS1B_S1B_jjS1D_bEUljE0_EEESW_SX_SY_S15_S19_S1B_T6_T7_T9_mT8_S1D_bDpT10_ENKUlT_T0_E_clISt17integral_constantIbLb0EES1Q_IbLb1EEEEDaS1M_S1N_EUlS1M_E_NS1_11comp_targetILNS1_3genE5ELNS1_11target_archE942ELNS1_3gpuE9ELNS1_3repE0EEENS1_30default_config_static_selectorELNS0_4arch9wavefront6targetE0EEEvSZ_.num_vgpr, 0
	.set _ZN7rocprim17ROCPRIM_400000_NS6detail17trampoline_kernelINS0_13select_configILj256ELj13ELNS0_17block_load_methodE3ELS4_3ELS4_3ELNS0_20block_scan_algorithmE0ELj4294967295EEENS1_25partition_config_selectorILNS1_17partition_subalgoE4EjNS0_10empty_typeEbEEZZNS1_14partition_implILS8_4ELb0ES6_15HIP_vector_typeIjLj2EENS0_17counting_iteratorIjlEEPS9_SG_NS0_5tupleIJPjSI_NS0_16reverse_iteratorISI_EEEEENSH_IJSG_SG_SG_EEES9_SI_JZNS1_25segmented_radix_sort_implINS0_14default_configELb1EPKlPlSQ_SR_N2at6native12_GLOBAL__N_18offset_tEEE10hipError_tPvRmT1_PNSt15iterator_traitsISZ_E10value_typeET2_T3_PNS10_IS15_E10value_typeET4_jRbjT5_S1B_jjP12ihipStream_tbEUljE_ZNSN_ISO_Lb1ESQ_SR_SQ_SR_SV_EESW_SX_SY_SZ_S13_S14_S15_S18_S19_jS1A_jS1B_S1B_jjS1D_bEUljE0_EEESW_SX_SY_S15_S19_S1B_T6_T7_T9_mT8_S1D_bDpT10_ENKUlT_T0_E_clISt17integral_constantIbLb0EES1Q_IbLb1EEEEDaS1M_S1N_EUlS1M_E_NS1_11comp_targetILNS1_3genE5ELNS1_11target_archE942ELNS1_3gpuE9ELNS1_3repE0EEENS1_30default_config_static_selectorELNS0_4arch9wavefront6targetE0EEEvSZ_.num_agpr, 0
	.set _ZN7rocprim17ROCPRIM_400000_NS6detail17trampoline_kernelINS0_13select_configILj256ELj13ELNS0_17block_load_methodE3ELS4_3ELS4_3ELNS0_20block_scan_algorithmE0ELj4294967295EEENS1_25partition_config_selectorILNS1_17partition_subalgoE4EjNS0_10empty_typeEbEEZZNS1_14partition_implILS8_4ELb0ES6_15HIP_vector_typeIjLj2EENS0_17counting_iteratorIjlEEPS9_SG_NS0_5tupleIJPjSI_NS0_16reverse_iteratorISI_EEEEENSH_IJSG_SG_SG_EEES9_SI_JZNS1_25segmented_radix_sort_implINS0_14default_configELb1EPKlPlSQ_SR_N2at6native12_GLOBAL__N_18offset_tEEE10hipError_tPvRmT1_PNSt15iterator_traitsISZ_E10value_typeET2_T3_PNS10_IS15_E10value_typeET4_jRbjT5_S1B_jjP12ihipStream_tbEUljE_ZNSN_ISO_Lb1ESQ_SR_SQ_SR_SV_EESW_SX_SY_SZ_S13_S14_S15_S18_S19_jS1A_jS1B_S1B_jjS1D_bEUljE0_EEESW_SX_SY_S15_S19_S1B_T6_T7_T9_mT8_S1D_bDpT10_ENKUlT_T0_E_clISt17integral_constantIbLb0EES1Q_IbLb1EEEEDaS1M_S1N_EUlS1M_E_NS1_11comp_targetILNS1_3genE5ELNS1_11target_archE942ELNS1_3gpuE9ELNS1_3repE0EEENS1_30default_config_static_selectorELNS0_4arch9wavefront6targetE0EEEvSZ_.numbered_sgpr, 0
	.set _ZN7rocprim17ROCPRIM_400000_NS6detail17trampoline_kernelINS0_13select_configILj256ELj13ELNS0_17block_load_methodE3ELS4_3ELS4_3ELNS0_20block_scan_algorithmE0ELj4294967295EEENS1_25partition_config_selectorILNS1_17partition_subalgoE4EjNS0_10empty_typeEbEEZZNS1_14partition_implILS8_4ELb0ES6_15HIP_vector_typeIjLj2EENS0_17counting_iteratorIjlEEPS9_SG_NS0_5tupleIJPjSI_NS0_16reverse_iteratorISI_EEEEENSH_IJSG_SG_SG_EEES9_SI_JZNS1_25segmented_radix_sort_implINS0_14default_configELb1EPKlPlSQ_SR_N2at6native12_GLOBAL__N_18offset_tEEE10hipError_tPvRmT1_PNSt15iterator_traitsISZ_E10value_typeET2_T3_PNS10_IS15_E10value_typeET4_jRbjT5_S1B_jjP12ihipStream_tbEUljE_ZNSN_ISO_Lb1ESQ_SR_SQ_SR_SV_EESW_SX_SY_SZ_S13_S14_S15_S18_S19_jS1A_jS1B_S1B_jjS1D_bEUljE0_EEESW_SX_SY_S15_S19_S1B_T6_T7_T9_mT8_S1D_bDpT10_ENKUlT_T0_E_clISt17integral_constantIbLb0EES1Q_IbLb1EEEEDaS1M_S1N_EUlS1M_E_NS1_11comp_targetILNS1_3genE5ELNS1_11target_archE942ELNS1_3gpuE9ELNS1_3repE0EEENS1_30default_config_static_selectorELNS0_4arch9wavefront6targetE0EEEvSZ_.num_named_barrier, 0
	.set _ZN7rocprim17ROCPRIM_400000_NS6detail17trampoline_kernelINS0_13select_configILj256ELj13ELNS0_17block_load_methodE3ELS4_3ELS4_3ELNS0_20block_scan_algorithmE0ELj4294967295EEENS1_25partition_config_selectorILNS1_17partition_subalgoE4EjNS0_10empty_typeEbEEZZNS1_14partition_implILS8_4ELb0ES6_15HIP_vector_typeIjLj2EENS0_17counting_iteratorIjlEEPS9_SG_NS0_5tupleIJPjSI_NS0_16reverse_iteratorISI_EEEEENSH_IJSG_SG_SG_EEES9_SI_JZNS1_25segmented_radix_sort_implINS0_14default_configELb1EPKlPlSQ_SR_N2at6native12_GLOBAL__N_18offset_tEEE10hipError_tPvRmT1_PNSt15iterator_traitsISZ_E10value_typeET2_T3_PNS10_IS15_E10value_typeET4_jRbjT5_S1B_jjP12ihipStream_tbEUljE_ZNSN_ISO_Lb1ESQ_SR_SQ_SR_SV_EESW_SX_SY_SZ_S13_S14_S15_S18_S19_jS1A_jS1B_S1B_jjS1D_bEUljE0_EEESW_SX_SY_S15_S19_S1B_T6_T7_T9_mT8_S1D_bDpT10_ENKUlT_T0_E_clISt17integral_constantIbLb0EES1Q_IbLb1EEEEDaS1M_S1N_EUlS1M_E_NS1_11comp_targetILNS1_3genE5ELNS1_11target_archE942ELNS1_3gpuE9ELNS1_3repE0EEENS1_30default_config_static_selectorELNS0_4arch9wavefront6targetE0EEEvSZ_.private_seg_size, 0
	.set _ZN7rocprim17ROCPRIM_400000_NS6detail17trampoline_kernelINS0_13select_configILj256ELj13ELNS0_17block_load_methodE3ELS4_3ELS4_3ELNS0_20block_scan_algorithmE0ELj4294967295EEENS1_25partition_config_selectorILNS1_17partition_subalgoE4EjNS0_10empty_typeEbEEZZNS1_14partition_implILS8_4ELb0ES6_15HIP_vector_typeIjLj2EENS0_17counting_iteratorIjlEEPS9_SG_NS0_5tupleIJPjSI_NS0_16reverse_iteratorISI_EEEEENSH_IJSG_SG_SG_EEES9_SI_JZNS1_25segmented_radix_sort_implINS0_14default_configELb1EPKlPlSQ_SR_N2at6native12_GLOBAL__N_18offset_tEEE10hipError_tPvRmT1_PNSt15iterator_traitsISZ_E10value_typeET2_T3_PNS10_IS15_E10value_typeET4_jRbjT5_S1B_jjP12ihipStream_tbEUljE_ZNSN_ISO_Lb1ESQ_SR_SQ_SR_SV_EESW_SX_SY_SZ_S13_S14_S15_S18_S19_jS1A_jS1B_S1B_jjS1D_bEUljE0_EEESW_SX_SY_S15_S19_S1B_T6_T7_T9_mT8_S1D_bDpT10_ENKUlT_T0_E_clISt17integral_constantIbLb0EES1Q_IbLb1EEEEDaS1M_S1N_EUlS1M_E_NS1_11comp_targetILNS1_3genE5ELNS1_11target_archE942ELNS1_3gpuE9ELNS1_3repE0EEENS1_30default_config_static_selectorELNS0_4arch9wavefront6targetE0EEEvSZ_.uses_vcc, 0
	.set _ZN7rocprim17ROCPRIM_400000_NS6detail17trampoline_kernelINS0_13select_configILj256ELj13ELNS0_17block_load_methodE3ELS4_3ELS4_3ELNS0_20block_scan_algorithmE0ELj4294967295EEENS1_25partition_config_selectorILNS1_17partition_subalgoE4EjNS0_10empty_typeEbEEZZNS1_14partition_implILS8_4ELb0ES6_15HIP_vector_typeIjLj2EENS0_17counting_iteratorIjlEEPS9_SG_NS0_5tupleIJPjSI_NS0_16reverse_iteratorISI_EEEEENSH_IJSG_SG_SG_EEES9_SI_JZNS1_25segmented_radix_sort_implINS0_14default_configELb1EPKlPlSQ_SR_N2at6native12_GLOBAL__N_18offset_tEEE10hipError_tPvRmT1_PNSt15iterator_traitsISZ_E10value_typeET2_T3_PNS10_IS15_E10value_typeET4_jRbjT5_S1B_jjP12ihipStream_tbEUljE_ZNSN_ISO_Lb1ESQ_SR_SQ_SR_SV_EESW_SX_SY_SZ_S13_S14_S15_S18_S19_jS1A_jS1B_S1B_jjS1D_bEUljE0_EEESW_SX_SY_S15_S19_S1B_T6_T7_T9_mT8_S1D_bDpT10_ENKUlT_T0_E_clISt17integral_constantIbLb0EES1Q_IbLb1EEEEDaS1M_S1N_EUlS1M_E_NS1_11comp_targetILNS1_3genE5ELNS1_11target_archE942ELNS1_3gpuE9ELNS1_3repE0EEENS1_30default_config_static_selectorELNS0_4arch9wavefront6targetE0EEEvSZ_.uses_flat_scratch, 0
	.set _ZN7rocprim17ROCPRIM_400000_NS6detail17trampoline_kernelINS0_13select_configILj256ELj13ELNS0_17block_load_methodE3ELS4_3ELS4_3ELNS0_20block_scan_algorithmE0ELj4294967295EEENS1_25partition_config_selectorILNS1_17partition_subalgoE4EjNS0_10empty_typeEbEEZZNS1_14partition_implILS8_4ELb0ES6_15HIP_vector_typeIjLj2EENS0_17counting_iteratorIjlEEPS9_SG_NS0_5tupleIJPjSI_NS0_16reverse_iteratorISI_EEEEENSH_IJSG_SG_SG_EEES9_SI_JZNS1_25segmented_radix_sort_implINS0_14default_configELb1EPKlPlSQ_SR_N2at6native12_GLOBAL__N_18offset_tEEE10hipError_tPvRmT1_PNSt15iterator_traitsISZ_E10value_typeET2_T3_PNS10_IS15_E10value_typeET4_jRbjT5_S1B_jjP12ihipStream_tbEUljE_ZNSN_ISO_Lb1ESQ_SR_SQ_SR_SV_EESW_SX_SY_SZ_S13_S14_S15_S18_S19_jS1A_jS1B_S1B_jjS1D_bEUljE0_EEESW_SX_SY_S15_S19_S1B_T6_T7_T9_mT8_S1D_bDpT10_ENKUlT_T0_E_clISt17integral_constantIbLb0EES1Q_IbLb1EEEEDaS1M_S1N_EUlS1M_E_NS1_11comp_targetILNS1_3genE5ELNS1_11target_archE942ELNS1_3gpuE9ELNS1_3repE0EEENS1_30default_config_static_selectorELNS0_4arch9wavefront6targetE0EEEvSZ_.has_dyn_sized_stack, 0
	.set _ZN7rocprim17ROCPRIM_400000_NS6detail17trampoline_kernelINS0_13select_configILj256ELj13ELNS0_17block_load_methodE3ELS4_3ELS4_3ELNS0_20block_scan_algorithmE0ELj4294967295EEENS1_25partition_config_selectorILNS1_17partition_subalgoE4EjNS0_10empty_typeEbEEZZNS1_14partition_implILS8_4ELb0ES6_15HIP_vector_typeIjLj2EENS0_17counting_iteratorIjlEEPS9_SG_NS0_5tupleIJPjSI_NS0_16reverse_iteratorISI_EEEEENSH_IJSG_SG_SG_EEES9_SI_JZNS1_25segmented_radix_sort_implINS0_14default_configELb1EPKlPlSQ_SR_N2at6native12_GLOBAL__N_18offset_tEEE10hipError_tPvRmT1_PNSt15iterator_traitsISZ_E10value_typeET2_T3_PNS10_IS15_E10value_typeET4_jRbjT5_S1B_jjP12ihipStream_tbEUljE_ZNSN_ISO_Lb1ESQ_SR_SQ_SR_SV_EESW_SX_SY_SZ_S13_S14_S15_S18_S19_jS1A_jS1B_S1B_jjS1D_bEUljE0_EEESW_SX_SY_S15_S19_S1B_T6_T7_T9_mT8_S1D_bDpT10_ENKUlT_T0_E_clISt17integral_constantIbLb0EES1Q_IbLb1EEEEDaS1M_S1N_EUlS1M_E_NS1_11comp_targetILNS1_3genE5ELNS1_11target_archE942ELNS1_3gpuE9ELNS1_3repE0EEENS1_30default_config_static_selectorELNS0_4arch9wavefront6targetE0EEEvSZ_.has_recursion, 0
	.set _ZN7rocprim17ROCPRIM_400000_NS6detail17trampoline_kernelINS0_13select_configILj256ELj13ELNS0_17block_load_methodE3ELS4_3ELS4_3ELNS0_20block_scan_algorithmE0ELj4294967295EEENS1_25partition_config_selectorILNS1_17partition_subalgoE4EjNS0_10empty_typeEbEEZZNS1_14partition_implILS8_4ELb0ES6_15HIP_vector_typeIjLj2EENS0_17counting_iteratorIjlEEPS9_SG_NS0_5tupleIJPjSI_NS0_16reverse_iteratorISI_EEEEENSH_IJSG_SG_SG_EEES9_SI_JZNS1_25segmented_radix_sort_implINS0_14default_configELb1EPKlPlSQ_SR_N2at6native12_GLOBAL__N_18offset_tEEE10hipError_tPvRmT1_PNSt15iterator_traitsISZ_E10value_typeET2_T3_PNS10_IS15_E10value_typeET4_jRbjT5_S1B_jjP12ihipStream_tbEUljE_ZNSN_ISO_Lb1ESQ_SR_SQ_SR_SV_EESW_SX_SY_SZ_S13_S14_S15_S18_S19_jS1A_jS1B_S1B_jjS1D_bEUljE0_EEESW_SX_SY_S15_S19_S1B_T6_T7_T9_mT8_S1D_bDpT10_ENKUlT_T0_E_clISt17integral_constantIbLb0EES1Q_IbLb1EEEEDaS1M_S1N_EUlS1M_E_NS1_11comp_targetILNS1_3genE5ELNS1_11target_archE942ELNS1_3gpuE9ELNS1_3repE0EEENS1_30default_config_static_selectorELNS0_4arch9wavefront6targetE0EEEvSZ_.has_indirect_call, 0
	.section	.AMDGPU.csdata,"",@progbits
; Kernel info:
; codeLenInByte = 0
; TotalNumSgprs: 0
; NumVgprs: 0
; ScratchSize: 0
; MemoryBound: 0
; FloatMode: 240
; IeeeMode: 1
; LDSByteSize: 0 bytes/workgroup (compile time only)
; SGPRBlocks: 0
; VGPRBlocks: 0
; NumSGPRsForWavesPerEU: 1
; NumVGPRsForWavesPerEU: 1
; Occupancy: 16
; WaveLimiterHint : 0
; COMPUTE_PGM_RSRC2:SCRATCH_EN: 0
; COMPUTE_PGM_RSRC2:USER_SGPR: 6
; COMPUTE_PGM_RSRC2:TRAP_HANDLER: 0
; COMPUTE_PGM_RSRC2:TGID_X_EN: 1
; COMPUTE_PGM_RSRC2:TGID_Y_EN: 0
; COMPUTE_PGM_RSRC2:TGID_Z_EN: 0
; COMPUTE_PGM_RSRC2:TIDIG_COMP_CNT: 0
	.section	.text._ZN7rocprim17ROCPRIM_400000_NS6detail17trampoline_kernelINS0_13select_configILj256ELj13ELNS0_17block_load_methodE3ELS4_3ELS4_3ELNS0_20block_scan_algorithmE0ELj4294967295EEENS1_25partition_config_selectorILNS1_17partition_subalgoE4EjNS0_10empty_typeEbEEZZNS1_14partition_implILS8_4ELb0ES6_15HIP_vector_typeIjLj2EENS0_17counting_iteratorIjlEEPS9_SG_NS0_5tupleIJPjSI_NS0_16reverse_iteratorISI_EEEEENSH_IJSG_SG_SG_EEES9_SI_JZNS1_25segmented_radix_sort_implINS0_14default_configELb1EPKlPlSQ_SR_N2at6native12_GLOBAL__N_18offset_tEEE10hipError_tPvRmT1_PNSt15iterator_traitsISZ_E10value_typeET2_T3_PNS10_IS15_E10value_typeET4_jRbjT5_S1B_jjP12ihipStream_tbEUljE_ZNSN_ISO_Lb1ESQ_SR_SQ_SR_SV_EESW_SX_SY_SZ_S13_S14_S15_S18_S19_jS1A_jS1B_S1B_jjS1D_bEUljE0_EEESW_SX_SY_S15_S19_S1B_T6_T7_T9_mT8_S1D_bDpT10_ENKUlT_T0_E_clISt17integral_constantIbLb0EES1Q_IbLb1EEEEDaS1M_S1N_EUlS1M_E_NS1_11comp_targetILNS1_3genE4ELNS1_11target_archE910ELNS1_3gpuE8ELNS1_3repE0EEENS1_30default_config_static_selectorELNS0_4arch9wavefront6targetE0EEEvSZ_,"axG",@progbits,_ZN7rocprim17ROCPRIM_400000_NS6detail17trampoline_kernelINS0_13select_configILj256ELj13ELNS0_17block_load_methodE3ELS4_3ELS4_3ELNS0_20block_scan_algorithmE0ELj4294967295EEENS1_25partition_config_selectorILNS1_17partition_subalgoE4EjNS0_10empty_typeEbEEZZNS1_14partition_implILS8_4ELb0ES6_15HIP_vector_typeIjLj2EENS0_17counting_iteratorIjlEEPS9_SG_NS0_5tupleIJPjSI_NS0_16reverse_iteratorISI_EEEEENSH_IJSG_SG_SG_EEES9_SI_JZNS1_25segmented_radix_sort_implINS0_14default_configELb1EPKlPlSQ_SR_N2at6native12_GLOBAL__N_18offset_tEEE10hipError_tPvRmT1_PNSt15iterator_traitsISZ_E10value_typeET2_T3_PNS10_IS15_E10value_typeET4_jRbjT5_S1B_jjP12ihipStream_tbEUljE_ZNSN_ISO_Lb1ESQ_SR_SQ_SR_SV_EESW_SX_SY_SZ_S13_S14_S15_S18_S19_jS1A_jS1B_S1B_jjS1D_bEUljE0_EEESW_SX_SY_S15_S19_S1B_T6_T7_T9_mT8_S1D_bDpT10_ENKUlT_T0_E_clISt17integral_constantIbLb0EES1Q_IbLb1EEEEDaS1M_S1N_EUlS1M_E_NS1_11comp_targetILNS1_3genE4ELNS1_11target_archE910ELNS1_3gpuE8ELNS1_3repE0EEENS1_30default_config_static_selectorELNS0_4arch9wavefront6targetE0EEEvSZ_,comdat
	.globl	_ZN7rocprim17ROCPRIM_400000_NS6detail17trampoline_kernelINS0_13select_configILj256ELj13ELNS0_17block_load_methodE3ELS4_3ELS4_3ELNS0_20block_scan_algorithmE0ELj4294967295EEENS1_25partition_config_selectorILNS1_17partition_subalgoE4EjNS0_10empty_typeEbEEZZNS1_14partition_implILS8_4ELb0ES6_15HIP_vector_typeIjLj2EENS0_17counting_iteratorIjlEEPS9_SG_NS0_5tupleIJPjSI_NS0_16reverse_iteratorISI_EEEEENSH_IJSG_SG_SG_EEES9_SI_JZNS1_25segmented_radix_sort_implINS0_14default_configELb1EPKlPlSQ_SR_N2at6native12_GLOBAL__N_18offset_tEEE10hipError_tPvRmT1_PNSt15iterator_traitsISZ_E10value_typeET2_T3_PNS10_IS15_E10value_typeET4_jRbjT5_S1B_jjP12ihipStream_tbEUljE_ZNSN_ISO_Lb1ESQ_SR_SQ_SR_SV_EESW_SX_SY_SZ_S13_S14_S15_S18_S19_jS1A_jS1B_S1B_jjS1D_bEUljE0_EEESW_SX_SY_S15_S19_S1B_T6_T7_T9_mT8_S1D_bDpT10_ENKUlT_T0_E_clISt17integral_constantIbLb0EES1Q_IbLb1EEEEDaS1M_S1N_EUlS1M_E_NS1_11comp_targetILNS1_3genE4ELNS1_11target_archE910ELNS1_3gpuE8ELNS1_3repE0EEENS1_30default_config_static_selectorELNS0_4arch9wavefront6targetE0EEEvSZ_ ; -- Begin function _ZN7rocprim17ROCPRIM_400000_NS6detail17trampoline_kernelINS0_13select_configILj256ELj13ELNS0_17block_load_methodE3ELS4_3ELS4_3ELNS0_20block_scan_algorithmE0ELj4294967295EEENS1_25partition_config_selectorILNS1_17partition_subalgoE4EjNS0_10empty_typeEbEEZZNS1_14partition_implILS8_4ELb0ES6_15HIP_vector_typeIjLj2EENS0_17counting_iteratorIjlEEPS9_SG_NS0_5tupleIJPjSI_NS0_16reverse_iteratorISI_EEEEENSH_IJSG_SG_SG_EEES9_SI_JZNS1_25segmented_radix_sort_implINS0_14default_configELb1EPKlPlSQ_SR_N2at6native12_GLOBAL__N_18offset_tEEE10hipError_tPvRmT1_PNSt15iterator_traitsISZ_E10value_typeET2_T3_PNS10_IS15_E10value_typeET4_jRbjT5_S1B_jjP12ihipStream_tbEUljE_ZNSN_ISO_Lb1ESQ_SR_SQ_SR_SV_EESW_SX_SY_SZ_S13_S14_S15_S18_S19_jS1A_jS1B_S1B_jjS1D_bEUljE0_EEESW_SX_SY_S15_S19_S1B_T6_T7_T9_mT8_S1D_bDpT10_ENKUlT_T0_E_clISt17integral_constantIbLb0EES1Q_IbLb1EEEEDaS1M_S1N_EUlS1M_E_NS1_11comp_targetILNS1_3genE4ELNS1_11target_archE910ELNS1_3gpuE8ELNS1_3repE0EEENS1_30default_config_static_selectorELNS0_4arch9wavefront6targetE0EEEvSZ_
	.p2align	8
	.type	_ZN7rocprim17ROCPRIM_400000_NS6detail17trampoline_kernelINS0_13select_configILj256ELj13ELNS0_17block_load_methodE3ELS4_3ELS4_3ELNS0_20block_scan_algorithmE0ELj4294967295EEENS1_25partition_config_selectorILNS1_17partition_subalgoE4EjNS0_10empty_typeEbEEZZNS1_14partition_implILS8_4ELb0ES6_15HIP_vector_typeIjLj2EENS0_17counting_iteratorIjlEEPS9_SG_NS0_5tupleIJPjSI_NS0_16reverse_iteratorISI_EEEEENSH_IJSG_SG_SG_EEES9_SI_JZNS1_25segmented_radix_sort_implINS0_14default_configELb1EPKlPlSQ_SR_N2at6native12_GLOBAL__N_18offset_tEEE10hipError_tPvRmT1_PNSt15iterator_traitsISZ_E10value_typeET2_T3_PNS10_IS15_E10value_typeET4_jRbjT5_S1B_jjP12ihipStream_tbEUljE_ZNSN_ISO_Lb1ESQ_SR_SQ_SR_SV_EESW_SX_SY_SZ_S13_S14_S15_S18_S19_jS1A_jS1B_S1B_jjS1D_bEUljE0_EEESW_SX_SY_S15_S19_S1B_T6_T7_T9_mT8_S1D_bDpT10_ENKUlT_T0_E_clISt17integral_constantIbLb0EES1Q_IbLb1EEEEDaS1M_S1N_EUlS1M_E_NS1_11comp_targetILNS1_3genE4ELNS1_11target_archE910ELNS1_3gpuE8ELNS1_3repE0EEENS1_30default_config_static_selectorELNS0_4arch9wavefront6targetE0EEEvSZ_,@function
_ZN7rocprim17ROCPRIM_400000_NS6detail17trampoline_kernelINS0_13select_configILj256ELj13ELNS0_17block_load_methodE3ELS4_3ELS4_3ELNS0_20block_scan_algorithmE0ELj4294967295EEENS1_25partition_config_selectorILNS1_17partition_subalgoE4EjNS0_10empty_typeEbEEZZNS1_14partition_implILS8_4ELb0ES6_15HIP_vector_typeIjLj2EENS0_17counting_iteratorIjlEEPS9_SG_NS0_5tupleIJPjSI_NS0_16reverse_iteratorISI_EEEEENSH_IJSG_SG_SG_EEES9_SI_JZNS1_25segmented_radix_sort_implINS0_14default_configELb1EPKlPlSQ_SR_N2at6native12_GLOBAL__N_18offset_tEEE10hipError_tPvRmT1_PNSt15iterator_traitsISZ_E10value_typeET2_T3_PNS10_IS15_E10value_typeET4_jRbjT5_S1B_jjP12ihipStream_tbEUljE_ZNSN_ISO_Lb1ESQ_SR_SQ_SR_SV_EESW_SX_SY_SZ_S13_S14_S15_S18_S19_jS1A_jS1B_S1B_jjS1D_bEUljE0_EEESW_SX_SY_S15_S19_S1B_T6_T7_T9_mT8_S1D_bDpT10_ENKUlT_T0_E_clISt17integral_constantIbLb0EES1Q_IbLb1EEEEDaS1M_S1N_EUlS1M_E_NS1_11comp_targetILNS1_3genE4ELNS1_11target_archE910ELNS1_3gpuE8ELNS1_3repE0EEENS1_30default_config_static_selectorELNS0_4arch9wavefront6targetE0EEEvSZ_: ; @_ZN7rocprim17ROCPRIM_400000_NS6detail17trampoline_kernelINS0_13select_configILj256ELj13ELNS0_17block_load_methodE3ELS4_3ELS4_3ELNS0_20block_scan_algorithmE0ELj4294967295EEENS1_25partition_config_selectorILNS1_17partition_subalgoE4EjNS0_10empty_typeEbEEZZNS1_14partition_implILS8_4ELb0ES6_15HIP_vector_typeIjLj2EENS0_17counting_iteratorIjlEEPS9_SG_NS0_5tupleIJPjSI_NS0_16reverse_iteratorISI_EEEEENSH_IJSG_SG_SG_EEES9_SI_JZNS1_25segmented_radix_sort_implINS0_14default_configELb1EPKlPlSQ_SR_N2at6native12_GLOBAL__N_18offset_tEEE10hipError_tPvRmT1_PNSt15iterator_traitsISZ_E10value_typeET2_T3_PNS10_IS15_E10value_typeET4_jRbjT5_S1B_jjP12ihipStream_tbEUljE_ZNSN_ISO_Lb1ESQ_SR_SQ_SR_SV_EESW_SX_SY_SZ_S13_S14_S15_S18_S19_jS1A_jS1B_S1B_jjS1D_bEUljE0_EEESW_SX_SY_S15_S19_S1B_T6_T7_T9_mT8_S1D_bDpT10_ENKUlT_T0_E_clISt17integral_constantIbLb0EES1Q_IbLb1EEEEDaS1M_S1N_EUlS1M_E_NS1_11comp_targetILNS1_3genE4ELNS1_11target_archE910ELNS1_3gpuE8ELNS1_3repE0EEENS1_30default_config_static_selectorELNS0_4arch9wavefront6targetE0EEEvSZ_
; %bb.0:
	.section	.rodata,"a",@progbits
	.p2align	6, 0x0
	.amdhsa_kernel _ZN7rocprim17ROCPRIM_400000_NS6detail17trampoline_kernelINS0_13select_configILj256ELj13ELNS0_17block_load_methodE3ELS4_3ELS4_3ELNS0_20block_scan_algorithmE0ELj4294967295EEENS1_25partition_config_selectorILNS1_17partition_subalgoE4EjNS0_10empty_typeEbEEZZNS1_14partition_implILS8_4ELb0ES6_15HIP_vector_typeIjLj2EENS0_17counting_iteratorIjlEEPS9_SG_NS0_5tupleIJPjSI_NS0_16reverse_iteratorISI_EEEEENSH_IJSG_SG_SG_EEES9_SI_JZNS1_25segmented_radix_sort_implINS0_14default_configELb1EPKlPlSQ_SR_N2at6native12_GLOBAL__N_18offset_tEEE10hipError_tPvRmT1_PNSt15iterator_traitsISZ_E10value_typeET2_T3_PNS10_IS15_E10value_typeET4_jRbjT5_S1B_jjP12ihipStream_tbEUljE_ZNSN_ISO_Lb1ESQ_SR_SQ_SR_SV_EESW_SX_SY_SZ_S13_S14_S15_S18_S19_jS1A_jS1B_S1B_jjS1D_bEUljE0_EEESW_SX_SY_S15_S19_S1B_T6_T7_T9_mT8_S1D_bDpT10_ENKUlT_T0_E_clISt17integral_constantIbLb0EES1Q_IbLb1EEEEDaS1M_S1N_EUlS1M_E_NS1_11comp_targetILNS1_3genE4ELNS1_11target_archE910ELNS1_3gpuE8ELNS1_3repE0EEENS1_30default_config_static_selectorELNS0_4arch9wavefront6targetE0EEEvSZ_
		.amdhsa_group_segment_fixed_size 0
		.amdhsa_private_segment_fixed_size 0
		.amdhsa_kernarg_size 184
		.amdhsa_user_sgpr_count 6
		.amdhsa_user_sgpr_private_segment_buffer 1
		.amdhsa_user_sgpr_dispatch_ptr 0
		.amdhsa_user_sgpr_queue_ptr 0
		.amdhsa_user_sgpr_kernarg_segment_ptr 1
		.amdhsa_user_sgpr_dispatch_id 0
		.amdhsa_user_sgpr_flat_scratch_init 0
		.amdhsa_user_sgpr_private_segment_size 0
		.amdhsa_wavefront_size32 1
		.amdhsa_uses_dynamic_stack 0
		.amdhsa_system_sgpr_private_segment_wavefront_offset 0
		.amdhsa_system_sgpr_workgroup_id_x 1
		.amdhsa_system_sgpr_workgroup_id_y 0
		.amdhsa_system_sgpr_workgroup_id_z 0
		.amdhsa_system_sgpr_workgroup_info 0
		.amdhsa_system_vgpr_workitem_id 0
		.amdhsa_next_free_vgpr 1
		.amdhsa_next_free_sgpr 1
		.amdhsa_reserve_vcc 0
		.amdhsa_reserve_flat_scratch 0
		.amdhsa_float_round_mode_32 0
		.amdhsa_float_round_mode_16_64 0
		.amdhsa_float_denorm_mode_32 3
		.amdhsa_float_denorm_mode_16_64 3
		.amdhsa_dx10_clamp 1
		.amdhsa_ieee_mode 1
		.amdhsa_fp16_overflow 0
		.amdhsa_workgroup_processor_mode 1
		.amdhsa_memory_ordered 1
		.amdhsa_forward_progress 1
		.amdhsa_shared_vgpr_count 0
		.amdhsa_exception_fp_ieee_invalid_op 0
		.amdhsa_exception_fp_denorm_src 0
		.amdhsa_exception_fp_ieee_div_zero 0
		.amdhsa_exception_fp_ieee_overflow 0
		.amdhsa_exception_fp_ieee_underflow 0
		.amdhsa_exception_fp_ieee_inexact 0
		.amdhsa_exception_int_div_zero 0
	.end_amdhsa_kernel
	.section	.text._ZN7rocprim17ROCPRIM_400000_NS6detail17trampoline_kernelINS0_13select_configILj256ELj13ELNS0_17block_load_methodE3ELS4_3ELS4_3ELNS0_20block_scan_algorithmE0ELj4294967295EEENS1_25partition_config_selectorILNS1_17partition_subalgoE4EjNS0_10empty_typeEbEEZZNS1_14partition_implILS8_4ELb0ES6_15HIP_vector_typeIjLj2EENS0_17counting_iteratorIjlEEPS9_SG_NS0_5tupleIJPjSI_NS0_16reverse_iteratorISI_EEEEENSH_IJSG_SG_SG_EEES9_SI_JZNS1_25segmented_radix_sort_implINS0_14default_configELb1EPKlPlSQ_SR_N2at6native12_GLOBAL__N_18offset_tEEE10hipError_tPvRmT1_PNSt15iterator_traitsISZ_E10value_typeET2_T3_PNS10_IS15_E10value_typeET4_jRbjT5_S1B_jjP12ihipStream_tbEUljE_ZNSN_ISO_Lb1ESQ_SR_SQ_SR_SV_EESW_SX_SY_SZ_S13_S14_S15_S18_S19_jS1A_jS1B_S1B_jjS1D_bEUljE0_EEESW_SX_SY_S15_S19_S1B_T6_T7_T9_mT8_S1D_bDpT10_ENKUlT_T0_E_clISt17integral_constantIbLb0EES1Q_IbLb1EEEEDaS1M_S1N_EUlS1M_E_NS1_11comp_targetILNS1_3genE4ELNS1_11target_archE910ELNS1_3gpuE8ELNS1_3repE0EEENS1_30default_config_static_selectorELNS0_4arch9wavefront6targetE0EEEvSZ_,"axG",@progbits,_ZN7rocprim17ROCPRIM_400000_NS6detail17trampoline_kernelINS0_13select_configILj256ELj13ELNS0_17block_load_methodE3ELS4_3ELS4_3ELNS0_20block_scan_algorithmE0ELj4294967295EEENS1_25partition_config_selectorILNS1_17partition_subalgoE4EjNS0_10empty_typeEbEEZZNS1_14partition_implILS8_4ELb0ES6_15HIP_vector_typeIjLj2EENS0_17counting_iteratorIjlEEPS9_SG_NS0_5tupleIJPjSI_NS0_16reverse_iteratorISI_EEEEENSH_IJSG_SG_SG_EEES9_SI_JZNS1_25segmented_radix_sort_implINS0_14default_configELb1EPKlPlSQ_SR_N2at6native12_GLOBAL__N_18offset_tEEE10hipError_tPvRmT1_PNSt15iterator_traitsISZ_E10value_typeET2_T3_PNS10_IS15_E10value_typeET4_jRbjT5_S1B_jjP12ihipStream_tbEUljE_ZNSN_ISO_Lb1ESQ_SR_SQ_SR_SV_EESW_SX_SY_SZ_S13_S14_S15_S18_S19_jS1A_jS1B_S1B_jjS1D_bEUljE0_EEESW_SX_SY_S15_S19_S1B_T6_T7_T9_mT8_S1D_bDpT10_ENKUlT_T0_E_clISt17integral_constantIbLb0EES1Q_IbLb1EEEEDaS1M_S1N_EUlS1M_E_NS1_11comp_targetILNS1_3genE4ELNS1_11target_archE910ELNS1_3gpuE8ELNS1_3repE0EEENS1_30default_config_static_selectorELNS0_4arch9wavefront6targetE0EEEvSZ_,comdat
.Lfunc_end660:
	.size	_ZN7rocprim17ROCPRIM_400000_NS6detail17trampoline_kernelINS0_13select_configILj256ELj13ELNS0_17block_load_methodE3ELS4_3ELS4_3ELNS0_20block_scan_algorithmE0ELj4294967295EEENS1_25partition_config_selectorILNS1_17partition_subalgoE4EjNS0_10empty_typeEbEEZZNS1_14partition_implILS8_4ELb0ES6_15HIP_vector_typeIjLj2EENS0_17counting_iteratorIjlEEPS9_SG_NS0_5tupleIJPjSI_NS0_16reverse_iteratorISI_EEEEENSH_IJSG_SG_SG_EEES9_SI_JZNS1_25segmented_radix_sort_implINS0_14default_configELb1EPKlPlSQ_SR_N2at6native12_GLOBAL__N_18offset_tEEE10hipError_tPvRmT1_PNSt15iterator_traitsISZ_E10value_typeET2_T3_PNS10_IS15_E10value_typeET4_jRbjT5_S1B_jjP12ihipStream_tbEUljE_ZNSN_ISO_Lb1ESQ_SR_SQ_SR_SV_EESW_SX_SY_SZ_S13_S14_S15_S18_S19_jS1A_jS1B_S1B_jjS1D_bEUljE0_EEESW_SX_SY_S15_S19_S1B_T6_T7_T9_mT8_S1D_bDpT10_ENKUlT_T0_E_clISt17integral_constantIbLb0EES1Q_IbLb1EEEEDaS1M_S1N_EUlS1M_E_NS1_11comp_targetILNS1_3genE4ELNS1_11target_archE910ELNS1_3gpuE8ELNS1_3repE0EEENS1_30default_config_static_selectorELNS0_4arch9wavefront6targetE0EEEvSZ_, .Lfunc_end660-_ZN7rocprim17ROCPRIM_400000_NS6detail17trampoline_kernelINS0_13select_configILj256ELj13ELNS0_17block_load_methodE3ELS4_3ELS4_3ELNS0_20block_scan_algorithmE0ELj4294967295EEENS1_25partition_config_selectorILNS1_17partition_subalgoE4EjNS0_10empty_typeEbEEZZNS1_14partition_implILS8_4ELb0ES6_15HIP_vector_typeIjLj2EENS0_17counting_iteratorIjlEEPS9_SG_NS0_5tupleIJPjSI_NS0_16reverse_iteratorISI_EEEEENSH_IJSG_SG_SG_EEES9_SI_JZNS1_25segmented_radix_sort_implINS0_14default_configELb1EPKlPlSQ_SR_N2at6native12_GLOBAL__N_18offset_tEEE10hipError_tPvRmT1_PNSt15iterator_traitsISZ_E10value_typeET2_T3_PNS10_IS15_E10value_typeET4_jRbjT5_S1B_jjP12ihipStream_tbEUljE_ZNSN_ISO_Lb1ESQ_SR_SQ_SR_SV_EESW_SX_SY_SZ_S13_S14_S15_S18_S19_jS1A_jS1B_S1B_jjS1D_bEUljE0_EEESW_SX_SY_S15_S19_S1B_T6_T7_T9_mT8_S1D_bDpT10_ENKUlT_T0_E_clISt17integral_constantIbLb0EES1Q_IbLb1EEEEDaS1M_S1N_EUlS1M_E_NS1_11comp_targetILNS1_3genE4ELNS1_11target_archE910ELNS1_3gpuE8ELNS1_3repE0EEENS1_30default_config_static_selectorELNS0_4arch9wavefront6targetE0EEEvSZ_
                                        ; -- End function
	.set _ZN7rocprim17ROCPRIM_400000_NS6detail17trampoline_kernelINS0_13select_configILj256ELj13ELNS0_17block_load_methodE3ELS4_3ELS4_3ELNS0_20block_scan_algorithmE0ELj4294967295EEENS1_25partition_config_selectorILNS1_17partition_subalgoE4EjNS0_10empty_typeEbEEZZNS1_14partition_implILS8_4ELb0ES6_15HIP_vector_typeIjLj2EENS0_17counting_iteratorIjlEEPS9_SG_NS0_5tupleIJPjSI_NS0_16reverse_iteratorISI_EEEEENSH_IJSG_SG_SG_EEES9_SI_JZNS1_25segmented_radix_sort_implINS0_14default_configELb1EPKlPlSQ_SR_N2at6native12_GLOBAL__N_18offset_tEEE10hipError_tPvRmT1_PNSt15iterator_traitsISZ_E10value_typeET2_T3_PNS10_IS15_E10value_typeET4_jRbjT5_S1B_jjP12ihipStream_tbEUljE_ZNSN_ISO_Lb1ESQ_SR_SQ_SR_SV_EESW_SX_SY_SZ_S13_S14_S15_S18_S19_jS1A_jS1B_S1B_jjS1D_bEUljE0_EEESW_SX_SY_S15_S19_S1B_T6_T7_T9_mT8_S1D_bDpT10_ENKUlT_T0_E_clISt17integral_constantIbLb0EES1Q_IbLb1EEEEDaS1M_S1N_EUlS1M_E_NS1_11comp_targetILNS1_3genE4ELNS1_11target_archE910ELNS1_3gpuE8ELNS1_3repE0EEENS1_30default_config_static_selectorELNS0_4arch9wavefront6targetE0EEEvSZ_.num_vgpr, 0
	.set _ZN7rocprim17ROCPRIM_400000_NS6detail17trampoline_kernelINS0_13select_configILj256ELj13ELNS0_17block_load_methodE3ELS4_3ELS4_3ELNS0_20block_scan_algorithmE0ELj4294967295EEENS1_25partition_config_selectorILNS1_17partition_subalgoE4EjNS0_10empty_typeEbEEZZNS1_14partition_implILS8_4ELb0ES6_15HIP_vector_typeIjLj2EENS0_17counting_iteratorIjlEEPS9_SG_NS0_5tupleIJPjSI_NS0_16reverse_iteratorISI_EEEEENSH_IJSG_SG_SG_EEES9_SI_JZNS1_25segmented_radix_sort_implINS0_14default_configELb1EPKlPlSQ_SR_N2at6native12_GLOBAL__N_18offset_tEEE10hipError_tPvRmT1_PNSt15iterator_traitsISZ_E10value_typeET2_T3_PNS10_IS15_E10value_typeET4_jRbjT5_S1B_jjP12ihipStream_tbEUljE_ZNSN_ISO_Lb1ESQ_SR_SQ_SR_SV_EESW_SX_SY_SZ_S13_S14_S15_S18_S19_jS1A_jS1B_S1B_jjS1D_bEUljE0_EEESW_SX_SY_S15_S19_S1B_T6_T7_T9_mT8_S1D_bDpT10_ENKUlT_T0_E_clISt17integral_constantIbLb0EES1Q_IbLb1EEEEDaS1M_S1N_EUlS1M_E_NS1_11comp_targetILNS1_3genE4ELNS1_11target_archE910ELNS1_3gpuE8ELNS1_3repE0EEENS1_30default_config_static_selectorELNS0_4arch9wavefront6targetE0EEEvSZ_.num_agpr, 0
	.set _ZN7rocprim17ROCPRIM_400000_NS6detail17trampoline_kernelINS0_13select_configILj256ELj13ELNS0_17block_load_methodE3ELS4_3ELS4_3ELNS0_20block_scan_algorithmE0ELj4294967295EEENS1_25partition_config_selectorILNS1_17partition_subalgoE4EjNS0_10empty_typeEbEEZZNS1_14partition_implILS8_4ELb0ES6_15HIP_vector_typeIjLj2EENS0_17counting_iteratorIjlEEPS9_SG_NS0_5tupleIJPjSI_NS0_16reverse_iteratorISI_EEEEENSH_IJSG_SG_SG_EEES9_SI_JZNS1_25segmented_radix_sort_implINS0_14default_configELb1EPKlPlSQ_SR_N2at6native12_GLOBAL__N_18offset_tEEE10hipError_tPvRmT1_PNSt15iterator_traitsISZ_E10value_typeET2_T3_PNS10_IS15_E10value_typeET4_jRbjT5_S1B_jjP12ihipStream_tbEUljE_ZNSN_ISO_Lb1ESQ_SR_SQ_SR_SV_EESW_SX_SY_SZ_S13_S14_S15_S18_S19_jS1A_jS1B_S1B_jjS1D_bEUljE0_EEESW_SX_SY_S15_S19_S1B_T6_T7_T9_mT8_S1D_bDpT10_ENKUlT_T0_E_clISt17integral_constantIbLb0EES1Q_IbLb1EEEEDaS1M_S1N_EUlS1M_E_NS1_11comp_targetILNS1_3genE4ELNS1_11target_archE910ELNS1_3gpuE8ELNS1_3repE0EEENS1_30default_config_static_selectorELNS0_4arch9wavefront6targetE0EEEvSZ_.numbered_sgpr, 0
	.set _ZN7rocprim17ROCPRIM_400000_NS6detail17trampoline_kernelINS0_13select_configILj256ELj13ELNS0_17block_load_methodE3ELS4_3ELS4_3ELNS0_20block_scan_algorithmE0ELj4294967295EEENS1_25partition_config_selectorILNS1_17partition_subalgoE4EjNS0_10empty_typeEbEEZZNS1_14partition_implILS8_4ELb0ES6_15HIP_vector_typeIjLj2EENS0_17counting_iteratorIjlEEPS9_SG_NS0_5tupleIJPjSI_NS0_16reverse_iteratorISI_EEEEENSH_IJSG_SG_SG_EEES9_SI_JZNS1_25segmented_radix_sort_implINS0_14default_configELb1EPKlPlSQ_SR_N2at6native12_GLOBAL__N_18offset_tEEE10hipError_tPvRmT1_PNSt15iterator_traitsISZ_E10value_typeET2_T3_PNS10_IS15_E10value_typeET4_jRbjT5_S1B_jjP12ihipStream_tbEUljE_ZNSN_ISO_Lb1ESQ_SR_SQ_SR_SV_EESW_SX_SY_SZ_S13_S14_S15_S18_S19_jS1A_jS1B_S1B_jjS1D_bEUljE0_EEESW_SX_SY_S15_S19_S1B_T6_T7_T9_mT8_S1D_bDpT10_ENKUlT_T0_E_clISt17integral_constantIbLb0EES1Q_IbLb1EEEEDaS1M_S1N_EUlS1M_E_NS1_11comp_targetILNS1_3genE4ELNS1_11target_archE910ELNS1_3gpuE8ELNS1_3repE0EEENS1_30default_config_static_selectorELNS0_4arch9wavefront6targetE0EEEvSZ_.num_named_barrier, 0
	.set _ZN7rocprim17ROCPRIM_400000_NS6detail17trampoline_kernelINS0_13select_configILj256ELj13ELNS0_17block_load_methodE3ELS4_3ELS4_3ELNS0_20block_scan_algorithmE0ELj4294967295EEENS1_25partition_config_selectorILNS1_17partition_subalgoE4EjNS0_10empty_typeEbEEZZNS1_14partition_implILS8_4ELb0ES6_15HIP_vector_typeIjLj2EENS0_17counting_iteratorIjlEEPS9_SG_NS0_5tupleIJPjSI_NS0_16reverse_iteratorISI_EEEEENSH_IJSG_SG_SG_EEES9_SI_JZNS1_25segmented_radix_sort_implINS0_14default_configELb1EPKlPlSQ_SR_N2at6native12_GLOBAL__N_18offset_tEEE10hipError_tPvRmT1_PNSt15iterator_traitsISZ_E10value_typeET2_T3_PNS10_IS15_E10value_typeET4_jRbjT5_S1B_jjP12ihipStream_tbEUljE_ZNSN_ISO_Lb1ESQ_SR_SQ_SR_SV_EESW_SX_SY_SZ_S13_S14_S15_S18_S19_jS1A_jS1B_S1B_jjS1D_bEUljE0_EEESW_SX_SY_S15_S19_S1B_T6_T7_T9_mT8_S1D_bDpT10_ENKUlT_T0_E_clISt17integral_constantIbLb0EES1Q_IbLb1EEEEDaS1M_S1N_EUlS1M_E_NS1_11comp_targetILNS1_3genE4ELNS1_11target_archE910ELNS1_3gpuE8ELNS1_3repE0EEENS1_30default_config_static_selectorELNS0_4arch9wavefront6targetE0EEEvSZ_.private_seg_size, 0
	.set _ZN7rocprim17ROCPRIM_400000_NS6detail17trampoline_kernelINS0_13select_configILj256ELj13ELNS0_17block_load_methodE3ELS4_3ELS4_3ELNS0_20block_scan_algorithmE0ELj4294967295EEENS1_25partition_config_selectorILNS1_17partition_subalgoE4EjNS0_10empty_typeEbEEZZNS1_14partition_implILS8_4ELb0ES6_15HIP_vector_typeIjLj2EENS0_17counting_iteratorIjlEEPS9_SG_NS0_5tupleIJPjSI_NS0_16reverse_iteratorISI_EEEEENSH_IJSG_SG_SG_EEES9_SI_JZNS1_25segmented_radix_sort_implINS0_14default_configELb1EPKlPlSQ_SR_N2at6native12_GLOBAL__N_18offset_tEEE10hipError_tPvRmT1_PNSt15iterator_traitsISZ_E10value_typeET2_T3_PNS10_IS15_E10value_typeET4_jRbjT5_S1B_jjP12ihipStream_tbEUljE_ZNSN_ISO_Lb1ESQ_SR_SQ_SR_SV_EESW_SX_SY_SZ_S13_S14_S15_S18_S19_jS1A_jS1B_S1B_jjS1D_bEUljE0_EEESW_SX_SY_S15_S19_S1B_T6_T7_T9_mT8_S1D_bDpT10_ENKUlT_T0_E_clISt17integral_constantIbLb0EES1Q_IbLb1EEEEDaS1M_S1N_EUlS1M_E_NS1_11comp_targetILNS1_3genE4ELNS1_11target_archE910ELNS1_3gpuE8ELNS1_3repE0EEENS1_30default_config_static_selectorELNS0_4arch9wavefront6targetE0EEEvSZ_.uses_vcc, 0
	.set _ZN7rocprim17ROCPRIM_400000_NS6detail17trampoline_kernelINS0_13select_configILj256ELj13ELNS0_17block_load_methodE3ELS4_3ELS4_3ELNS0_20block_scan_algorithmE0ELj4294967295EEENS1_25partition_config_selectorILNS1_17partition_subalgoE4EjNS0_10empty_typeEbEEZZNS1_14partition_implILS8_4ELb0ES6_15HIP_vector_typeIjLj2EENS0_17counting_iteratorIjlEEPS9_SG_NS0_5tupleIJPjSI_NS0_16reverse_iteratorISI_EEEEENSH_IJSG_SG_SG_EEES9_SI_JZNS1_25segmented_radix_sort_implINS0_14default_configELb1EPKlPlSQ_SR_N2at6native12_GLOBAL__N_18offset_tEEE10hipError_tPvRmT1_PNSt15iterator_traitsISZ_E10value_typeET2_T3_PNS10_IS15_E10value_typeET4_jRbjT5_S1B_jjP12ihipStream_tbEUljE_ZNSN_ISO_Lb1ESQ_SR_SQ_SR_SV_EESW_SX_SY_SZ_S13_S14_S15_S18_S19_jS1A_jS1B_S1B_jjS1D_bEUljE0_EEESW_SX_SY_S15_S19_S1B_T6_T7_T9_mT8_S1D_bDpT10_ENKUlT_T0_E_clISt17integral_constantIbLb0EES1Q_IbLb1EEEEDaS1M_S1N_EUlS1M_E_NS1_11comp_targetILNS1_3genE4ELNS1_11target_archE910ELNS1_3gpuE8ELNS1_3repE0EEENS1_30default_config_static_selectorELNS0_4arch9wavefront6targetE0EEEvSZ_.uses_flat_scratch, 0
	.set _ZN7rocprim17ROCPRIM_400000_NS6detail17trampoline_kernelINS0_13select_configILj256ELj13ELNS0_17block_load_methodE3ELS4_3ELS4_3ELNS0_20block_scan_algorithmE0ELj4294967295EEENS1_25partition_config_selectorILNS1_17partition_subalgoE4EjNS0_10empty_typeEbEEZZNS1_14partition_implILS8_4ELb0ES6_15HIP_vector_typeIjLj2EENS0_17counting_iteratorIjlEEPS9_SG_NS0_5tupleIJPjSI_NS0_16reverse_iteratorISI_EEEEENSH_IJSG_SG_SG_EEES9_SI_JZNS1_25segmented_radix_sort_implINS0_14default_configELb1EPKlPlSQ_SR_N2at6native12_GLOBAL__N_18offset_tEEE10hipError_tPvRmT1_PNSt15iterator_traitsISZ_E10value_typeET2_T3_PNS10_IS15_E10value_typeET4_jRbjT5_S1B_jjP12ihipStream_tbEUljE_ZNSN_ISO_Lb1ESQ_SR_SQ_SR_SV_EESW_SX_SY_SZ_S13_S14_S15_S18_S19_jS1A_jS1B_S1B_jjS1D_bEUljE0_EEESW_SX_SY_S15_S19_S1B_T6_T7_T9_mT8_S1D_bDpT10_ENKUlT_T0_E_clISt17integral_constantIbLb0EES1Q_IbLb1EEEEDaS1M_S1N_EUlS1M_E_NS1_11comp_targetILNS1_3genE4ELNS1_11target_archE910ELNS1_3gpuE8ELNS1_3repE0EEENS1_30default_config_static_selectorELNS0_4arch9wavefront6targetE0EEEvSZ_.has_dyn_sized_stack, 0
	.set _ZN7rocprim17ROCPRIM_400000_NS6detail17trampoline_kernelINS0_13select_configILj256ELj13ELNS0_17block_load_methodE3ELS4_3ELS4_3ELNS0_20block_scan_algorithmE0ELj4294967295EEENS1_25partition_config_selectorILNS1_17partition_subalgoE4EjNS0_10empty_typeEbEEZZNS1_14partition_implILS8_4ELb0ES6_15HIP_vector_typeIjLj2EENS0_17counting_iteratorIjlEEPS9_SG_NS0_5tupleIJPjSI_NS0_16reverse_iteratorISI_EEEEENSH_IJSG_SG_SG_EEES9_SI_JZNS1_25segmented_radix_sort_implINS0_14default_configELb1EPKlPlSQ_SR_N2at6native12_GLOBAL__N_18offset_tEEE10hipError_tPvRmT1_PNSt15iterator_traitsISZ_E10value_typeET2_T3_PNS10_IS15_E10value_typeET4_jRbjT5_S1B_jjP12ihipStream_tbEUljE_ZNSN_ISO_Lb1ESQ_SR_SQ_SR_SV_EESW_SX_SY_SZ_S13_S14_S15_S18_S19_jS1A_jS1B_S1B_jjS1D_bEUljE0_EEESW_SX_SY_S15_S19_S1B_T6_T7_T9_mT8_S1D_bDpT10_ENKUlT_T0_E_clISt17integral_constantIbLb0EES1Q_IbLb1EEEEDaS1M_S1N_EUlS1M_E_NS1_11comp_targetILNS1_3genE4ELNS1_11target_archE910ELNS1_3gpuE8ELNS1_3repE0EEENS1_30default_config_static_selectorELNS0_4arch9wavefront6targetE0EEEvSZ_.has_recursion, 0
	.set _ZN7rocprim17ROCPRIM_400000_NS6detail17trampoline_kernelINS0_13select_configILj256ELj13ELNS0_17block_load_methodE3ELS4_3ELS4_3ELNS0_20block_scan_algorithmE0ELj4294967295EEENS1_25partition_config_selectorILNS1_17partition_subalgoE4EjNS0_10empty_typeEbEEZZNS1_14partition_implILS8_4ELb0ES6_15HIP_vector_typeIjLj2EENS0_17counting_iteratorIjlEEPS9_SG_NS0_5tupleIJPjSI_NS0_16reverse_iteratorISI_EEEEENSH_IJSG_SG_SG_EEES9_SI_JZNS1_25segmented_radix_sort_implINS0_14default_configELb1EPKlPlSQ_SR_N2at6native12_GLOBAL__N_18offset_tEEE10hipError_tPvRmT1_PNSt15iterator_traitsISZ_E10value_typeET2_T3_PNS10_IS15_E10value_typeET4_jRbjT5_S1B_jjP12ihipStream_tbEUljE_ZNSN_ISO_Lb1ESQ_SR_SQ_SR_SV_EESW_SX_SY_SZ_S13_S14_S15_S18_S19_jS1A_jS1B_S1B_jjS1D_bEUljE0_EEESW_SX_SY_S15_S19_S1B_T6_T7_T9_mT8_S1D_bDpT10_ENKUlT_T0_E_clISt17integral_constantIbLb0EES1Q_IbLb1EEEEDaS1M_S1N_EUlS1M_E_NS1_11comp_targetILNS1_3genE4ELNS1_11target_archE910ELNS1_3gpuE8ELNS1_3repE0EEENS1_30default_config_static_selectorELNS0_4arch9wavefront6targetE0EEEvSZ_.has_indirect_call, 0
	.section	.AMDGPU.csdata,"",@progbits
; Kernel info:
; codeLenInByte = 0
; TotalNumSgprs: 0
; NumVgprs: 0
; ScratchSize: 0
; MemoryBound: 0
; FloatMode: 240
; IeeeMode: 1
; LDSByteSize: 0 bytes/workgroup (compile time only)
; SGPRBlocks: 0
; VGPRBlocks: 0
; NumSGPRsForWavesPerEU: 1
; NumVGPRsForWavesPerEU: 1
; Occupancy: 16
; WaveLimiterHint : 0
; COMPUTE_PGM_RSRC2:SCRATCH_EN: 0
; COMPUTE_PGM_RSRC2:USER_SGPR: 6
; COMPUTE_PGM_RSRC2:TRAP_HANDLER: 0
; COMPUTE_PGM_RSRC2:TGID_X_EN: 1
; COMPUTE_PGM_RSRC2:TGID_Y_EN: 0
; COMPUTE_PGM_RSRC2:TGID_Z_EN: 0
; COMPUTE_PGM_RSRC2:TIDIG_COMP_CNT: 0
	.section	.text._ZN7rocprim17ROCPRIM_400000_NS6detail17trampoline_kernelINS0_13select_configILj256ELj13ELNS0_17block_load_methodE3ELS4_3ELS4_3ELNS0_20block_scan_algorithmE0ELj4294967295EEENS1_25partition_config_selectorILNS1_17partition_subalgoE4EjNS0_10empty_typeEbEEZZNS1_14partition_implILS8_4ELb0ES6_15HIP_vector_typeIjLj2EENS0_17counting_iteratorIjlEEPS9_SG_NS0_5tupleIJPjSI_NS0_16reverse_iteratorISI_EEEEENSH_IJSG_SG_SG_EEES9_SI_JZNS1_25segmented_radix_sort_implINS0_14default_configELb1EPKlPlSQ_SR_N2at6native12_GLOBAL__N_18offset_tEEE10hipError_tPvRmT1_PNSt15iterator_traitsISZ_E10value_typeET2_T3_PNS10_IS15_E10value_typeET4_jRbjT5_S1B_jjP12ihipStream_tbEUljE_ZNSN_ISO_Lb1ESQ_SR_SQ_SR_SV_EESW_SX_SY_SZ_S13_S14_S15_S18_S19_jS1A_jS1B_S1B_jjS1D_bEUljE0_EEESW_SX_SY_S15_S19_S1B_T6_T7_T9_mT8_S1D_bDpT10_ENKUlT_T0_E_clISt17integral_constantIbLb0EES1Q_IbLb1EEEEDaS1M_S1N_EUlS1M_E_NS1_11comp_targetILNS1_3genE3ELNS1_11target_archE908ELNS1_3gpuE7ELNS1_3repE0EEENS1_30default_config_static_selectorELNS0_4arch9wavefront6targetE0EEEvSZ_,"axG",@progbits,_ZN7rocprim17ROCPRIM_400000_NS6detail17trampoline_kernelINS0_13select_configILj256ELj13ELNS0_17block_load_methodE3ELS4_3ELS4_3ELNS0_20block_scan_algorithmE0ELj4294967295EEENS1_25partition_config_selectorILNS1_17partition_subalgoE4EjNS0_10empty_typeEbEEZZNS1_14partition_implILS8_4ELb0ES6_15HIP_vector_typeIjLj2EENS0_17counting_iteratorIjlEEPS9_SG_NS0_5tupleIJPjSI_NS0_16reverse_iteratorISI_EEEEENSH_IJSG_SG_SG_EEES9_SI_JZNS1_25segmented_radix_sort_implINS0_14default_configELb1EPKlPlSQ_SR_N2at6native12_GLOBAL__N_18offset_tEEE10hipError_tPvRmT1_PNSt15iterator_traitsISZ_E10value_typeET2_T3_PNS10_IS15_E10value_typeET4_jRbjT5_S1B_jjP12ihipStream_tbEUljE_ZNSN_ISO_Lb1ESQ_SR_SQ_SR_SV_EESW_SX_SY_SZ_S13_S14_S15_S18_S19_jS1A_jS1B_S1B_jjS1D_bEUljE0_EEESW_SX_SY_S15_S19_S1B_T6_T7_T9_mT8_S1D_bDpT10_ENKUlT_T0_E_clISt17integral_constantIbLb0EES1Q_IbLb1EEEEDaS1M_S1N_EUlS1M_E_NS1_11comp_targetILNS1_3genE3ELNS1_11target_archE908ELNS1_3gpuE7ELNS1_3repE0EEENS1_30default_config_static_selectorELNS0_4arch9wavefront6targetE0EEEvSZ_,comdat
	.globl	_ZN7rocprim17ROCPRIM_400000_NS6detail17trampoline_kernelINS0_13select_configILj256ELj13ELNS0_17block_load_methodE3ELS4_3ELS4_3ELNS0_20block_scan_algorithmE0ELj4294967295EEENS1_25partition_config_selectorILNS1_17partition_subalgoE4EjNS0_10empty_typeEbEEZZNS1_14partition_implILS8_4ELb0ES6_15HIP_vector_typeIjLj2EENS0_17counting_iteratorIjlEEPS9_SG_NS0_5tupleIJPjSI_NS0_16reverse_iteratorISI_EEEEENSH_IJSG_SG_SG_EEES9_SI_JZNS1_25segmented_radix_sort_implINS0_14default_configELb1EPKlPlSQ_SR_N2at6native12_GLOBAL__N_18offset_tEEE10hipError_tPvRmT1_PNSt15iterator_traitsISZ_E10value_typeET2_T3_PNS10_IS15_E10value_typeET4_jRbjT5_S1B_jjP12ihipStream_tbEUljE_ZNSN_ISO_Lb1ESQ_SR_SQ_SR_SV_EESW_SX_SY_SZ_S13_S14_S15_S18_S19_jS1A_jS1B_S1B_jjS1D_bEUljE0_EEESW_SX_SY_S15_S19_S1B_T6_T7_T9_mT8_S1D_bDpT10_ENKUlT_T0_E_clISt17integral_constantIbLb0EES1Q_IbLb1EEEEDaS1M_S1N_EUlS1M_E_NS1_11comp_targetILNS1_3genE3ELNS1_11target_archE908ELNS1_3gpuE7ELNS1_3repE0EEENS1_30default_config_static_selectorELNS0_4arch9wavefront6targetE0EEEvSZ_ ; -- Begin function _ZN7rocprim17ROCPRIM_400000_NS6detail17trampoline_kernelINS0_13select_configILj256ELj13ELNS0_17block_load_methodE3ELS4_3ELS4_3ELNS0_20block_scan_algorithmE0ELj4294967295EEENS1_25partition_config_selectorILNS1_17partition_subalgoE4EjNS0_10empty_typeEbEEZZNS1_14partition_implILS8_4ELb0ES6_15HIP_vector_typeIjLj2EENS0_17counting_iteratorIjlEEPS9_SG_NS0_5tupleIJPjSI_NS0_16reverse_iteratorISI_EEEEENSH_IJSG_SG_SG_EEES9_SI_JZNS1_25segmented_radix_sort_implINS0_14default_configELb1EPKlPlSQ_SR_N2at6native12_GLOBAL__N_18offset_tEEE10hipError_tPvRmT1_PNSt15iterator_traitsISZ_E10value_typeET2_T3_PNS10_IS15_E10value_typeET4_jRbjT5_S1B_jjP12ihipStream_tbEUljE_ZNSN_ISO_Lb1ESQ_SR_SQ_SR_SV_EESW_SX_SY_SZ_S13_S14_S15_S18_S19_jS1A_jS1B_S1B_jjS1D_bEUljE0_EEESW_SX_SY_S15_S19_S1B_T6_T7_T9_mT8_S1D_bDpT10_ENKUlT_T0_E_clISt17integral_constantIbLb0EES1Q_IbLb1EEEEDaS1M_S1N_EUlS1M_E_NS1_11comp_targetILNS1_3genE3ELNS1_11target_archE908ELNS1_3gpuE7ELNS1_3repE0EEENS1_30default_config_static_selectorELNS0_4arch9wavefront6targetE0EEEvSZ_
	.p2align	8
	.type	_ZN7rocprim17ROCPRIM_400000_NS6detail17trampoline_kernelINS0_13select_configILj256ELj13ELNS0_17block_load_methodE3ELS4_3ELS4_3ELNS0_20block_scan_algorithmE0ELj4294967295EEENS1_25partition_config_selectorILNS1_17partition_subalgoE4EjNS0_10empty_typeEbEEZZNS1_14partition_implILS8_4ELb0ES6_15HIP_vector_typeIjLj2EENS0_17counting_iteratorIjlEEPS9_SG_NS0_5tupleIJPjSI_NS0_16reverse_iteratorISI_EEEEENSH_IJSG_SG_SG_EEES9_SI_JZNS1_25segmented_radix_sort_implINS0_14default_configELb1EPKlPlSQ_SR_N2at6native12_GLOBAL__N_18offset_tEEE10hipError_tPvRmT1_PNSt15iterator_traitsISZ_E10value_typeET2_T3_PNS10_IS15_E10value_typeET4_jRbjT5_S1B_jjP12ihipStream_tbEUljE_ZNSN_ISO_Lb1ESQ_SR_SQ_SR_SV_EESW_SX_SY_SZ_S13_S14_S15_S18_S19_jS1A_jS1B_S1B_jjS1D_bEUljE0_EEESW_SX_SY_S15_S19_S1B_T6_T7_T9_mT8_S1D_bDpT10_ENKUlT_T0_E_clISt17integral_constantIbLb0EES1Q_IbLb1EEEEDaS1M_S1N_EUlS1M_E_NS1_11comp_targetILNS1_3genE3ELNS1_11target_archE908ELNS1_3gpuE7ELNS1_3repE0EEENS1_30default_config_static_selectorELNS0_4arch9wavefront6targetE0EEEvSZ_,@function
_ZN7rocprim17ROCPRIM_400000_NS6detail17trampoline_kernelINS0_13select_configILj256ELj13ELNS0_17block_load_methodE3ELS4_3ELS4_3ELNS0_20block_scan_algorithmE0ELj4294967295EEENS1_25partition_config_selectorILNS1_17partition_subalgoE4EjNS0_10empty_typeEbEEZZNS1_14partition_implILS8_4ELb0ES6_15HIP_vector_typeIjLj2EENS0_17counting_iteratorIjlEEPS9_SG_NS0_5tupleIJPjSI_NS0_16reverse_iteratorISI_EEEEENSH_IJSG_SG_SG_EEES9_SI_JZNS1_25segmented_radix_sort_implINS0_14default_configELb1EPKlPlSQ_SR_N2at6native12_GLOBAL__N_18offset_tEEE10hipError_tPvRmT1_PNSt15iterator_traitsISZ_E10value_typeET2_T3_PNS10_IS15_E10value_typeET4_jRbjT5_S1B_jjP12ihipStream_tbEUljE_ZNSN_ISO_Lb1ESQ_SR_SQ_SR_SV_EESW_SX_SY_SZ_S13_S14_S15_S18_S19_jS1A_jS1B_S1B_jjS1D_bEUljE0_EEESW_SX_SY_S15_S19_S1B_T6_T7_T9_mT8_S1D_bDpT10_ENKUlT_T0_E_clISt17integral_constantIbLb0EES1Q_IbLb1EEEEDaS1M_S1N_EUlS1M_E_NS1_11comp_targetILNS1_3genE3ELNS1_11target_archE908ELNS1_3gpuE7ELNS1_3repE0EEENS1_30default_config_static_selectorELNS0_4arch9wavefront6targetE0EEEvSZ_: ; @_ZN7rocprim17ROCPRIM_400000_NS6detail17trampoline_kernelINS0_13select_configILj256ELj13ELNS0_17block_load_methodE3ELS4_3ELS4_3ELNS0_20block_scan_algorithmE0ELj4294967295EEENS1_25partition_config_selectorILNS1_17partition_subalgoE4EjNS0_10empty_typeEbEEZZNS1_14partition_implILS8_4ELb0ES6_15HIP_vector_typeIjLj2EENS0_17counting_iteratorIjlEEPS9_SG_NS0_5tupleIJPjSI_NS0_16reverse_iteratorISI_EEEEENSH_IJSG_SG_SG_EEES9_SI_JZNS1_25segmented_radix_sort_implINS0_14default_configELb1EPKlPlSQ_SR_N2at6native12_GLOBAL__N_18offset_tEEE10hipError_tPvRmT1_PNSt15iterator_traitsISZ_E10value_typeET2_T3_PNS10_IS15_E10value_typeET4_jRbjT5_S1B_jjP12ihipStream_tbEUljE_ZNSN_ISO_Lb1ESQ_SR_SQ_SR_SV_EESW_SX_SY_SZ_S13_S14_S15_S18_S19_jS1A_jS1B_S1B_jjS1D_bEUljE0_EEESW_SX_SY_S15_S19_S1B_T6_T7_T9_mT8_S1D_bDpT10_ENKUlT_T0_E_clISt17integral_constantIbLb0EES1Q_IbLb1EEEEDaS1M_S1N_EUlS1M_E_NS1_11comp_targetILNS1_3genE3ELNS1_11target_archE908ELNS1_3gpuE7ELNS1_3repE0EEENS1_30default_config_static_selectorELNS0_4arch9wavefront6targetE0EEEvSZ_
; %bb.0:
	.section	.rodata,"a",@progbits
	.p2align	6, 0x0
	.amdhsa_kernel _ZN7rocprim17ROCPRIM_400000_NS6detail17trampoline_kernelINS0_13select_configILj256ELj13ELNS0_17block_load_methodE3ELS4_3ELS4_3ELNS0_20block_scan_algorithmE0ELj4294967295EEENS1_25partition_config_selectorILNS1_17partition_subalgoE4EjNS0_10empty_typeEbEEZZNS1_14partition_implILS8_4ELb0ES6_15HIP_vector_typeIjLj2EENS0_17counting_iteratorIjlEEPS9_SG_NS0_5tupleIJPjSI_NS0_16reverse_iteratorISI_EEEEENSH_IJSG_SG_SG_EEES9_SI_JZNS1_25segmented_radix_sort_implINS0_14default_configELb1EPKlPlSQ_SR_N2at6native12_GLOBAL__N_18offset_tEEE10hipError_tPvRmT1_PNSt15iterator_traitsISZ_E10value_typeET2_T3_PNS10_IS15_E10value_typeET4_jRbjT5_S1B_jjP12ihipStream_tbEUljE_ZNSN_ISO_Lb1ESQ_SR_SQ_SR_SV_EESW_SX_SY_SZ_S13_S14_S15_S18_S19_jS1A_jS1B_S1B_jjS1D_bEUljE0_EEESW_SX_SY_S15_S19_S1B_T6_T7_T9_mT8_S1D_bDpT10_ENKUlT_T0_E_clISt17integral_constantIbLb0EES1Q_IbLb1EEEEDaS1M_S1N_EUlS1M_E_NS1_11comp_targetILNS1_3genE3ELNS1_11target_archE908ELNS1_3gpuE7ELNS1_3repE0EEENS1_30default_config_static_selectorELNS0_4arch9wavefront6targetE0EEEvSZ_
		.amdhsa_group_segment_fixed_size 0
		.amdhsa_private_segment_fixed_size 0
		.amdhsa_kernarg_size 184
		.amdhsa_user_sgpr_count 6
		.amdhsa_user_sgpr_private_segment_buffer 1
		.amdhsa_user_sgpr_dispatch_ptr 0
		.amdhsa_user_sgpr_queue_ptr 0
		.amdhsa_user_sgpr_kernarg_segment_ptr 1
		.amdhsa_user_sgpr_dispatch_id 0
		.amdhsa_user_sgpr_flat_scratch_init 0
		.amdhsa_user_sgpr_private_segment_size 0
		.amdhsa_wavefront_size32 1
		.amdhsa_uses_dynamic_stack 0
		.amdhsa_system_sgpr_private_segment_wavefront_offset 0
		.amdhsa_system_sgpr_workgroup_id_x 1
		.amdhsa_system_sgpr_workgroup_id_y 0
		.amdhsa_system_sgpr_workgroup_id_z 0
		.amdhsa_system_sgpr_workgroup_info 0
		.amdhsa_system_vgpr_workitem_id 0
		.amdhsa_next_free_vgpr 1
		.amdhsa_next_free_sgpr 1
		.amdhsa_reserve_vcc 0
		.amdhsa_reserve_flat_scratch 0
		.amdhsa_float_round_mode_32 0
		.amdhsa_float_round_mode_16_64 0
		.amdhsa_float_denorm_mode_32 3
		.amdhsa_float_denorm_mode_16_64 3
		.amdhsa_dx10_clamp 1
		.amdhsa_ieee_mode 1
		.amdhsa_fp16_overflow 0
		.amdhsa_workgroup_processor_mode 1
		.amdhsa_memory_ordered 1
		.amdhsa_forward_progress 1
		.amdhsa_shared_vgpr_count 0
		.amdhsa_exception_fp_ieee_invalid_op 0
		.amdhsa_exception_fp_denorm_src 0
		.amdhsa_exception_fp_ieee_div_zero 0
		.amdhsa_exception_fp_ieee_overflow 0
		.amdhsa_exception_fp_ieee_underflow 0
		.amdhsa_exception_fp_ieee_inexact 0
		.amdhsa_exception_int_div_zero 0
	.end_amdhsa_kernel
	.section	.text._ZN7rocprim17ROCPRIM_400000_NS6detail17trampoline_kernelINS0_13select_configILj256ELj13ELNS0_17block_load_methodE3ELS4_3ELS4_3ELNS0_20block_scan_algorithmE0ELj4294967295EEENS1_25partition_config_selectorILNS1_17partition_subalgoE4EjNS0_10empty_typeEbEEZZNS1_14partition_implILS8_4ELb0ES6_15HIP_vector_typeIjLj2EENS0_17counting_iteratorIjlEEPS9_SG_NS0_5tupleIJPjSI_NS0_16reverse_iteratorISI_EEEEENSH_IJSG_SG_SG_EEES9_SI_JZNS1_25segmented_radix_sort_implINS0_14default_configELb1EPKlPlSQ_SR_N2at6native12_GLOBAL__N_18offset_tEEE10hipError_tPvRmT1_PNSt15iterator_traitsISZ_E10value_typeET2_T3_PNS10_IS15_E10value_typeET4_jRbjT5_S1B_jjP12ihipStream_tbEUljE_ZNSN_ISO_Lb1ESQ_SR_SQ_SR_SV_EESW_SX_SY_SZ_S13_S14_S15_S18_S19_jS1A_jS1B_S1B_jjS1D_bEUljE0_EEESW_SX_SY_S15_S19_S1B_T6_T7_T9_mT8_S1D_bDpT10_ENKUlT_T0_E_clISt17integral_constantIbLb0EES1Q_IbLb1EEEEDaS1M_S1N_EUlS1M_E_NS1_11comp_targetILNS1_3genE3ELNS1_11target_archE908ELNS1_3gpuE7ELNS1_3repE0EEENS1_30default_config_static_selectorELNS0_4arch9wavefront6targetE0EEEvSZ_,"axG",@progbits,_ZN7rocprim17ROCPRIM_400000_NS6detail17trampoline_kernelINS0_13select_configILj256ELj13ELNS0_17block_load_methodE3ELS4_3ELS4_3ELNS0_20block_scan_algorithmE0ELj4294967295EEENS1_25partition_config_selectorILNS1_17partition_subalgoE4EjNS0_10empty_typeEbEEZZNS1_14partition_implILS8_4ELb0ES6_15HIP_vector_typeIjLj2EENS0_17counting_iteratorIjlEEPS9_SG_NS0_5tupleIJPjSI_NS0_16reverse_iteratorISI_EEEEENSH_IJSG_SG_SG_EEES9_SI_JZNS1_25segmented_radix_sort_implINS0_14default_configELb1EPKlPlSQ_SR_N2at6native12_GLOBAL__N_18offset_tEEE10hipError_tPvRmT1_PNSt15iterator_traitsISZ_E10value_typeET2_T3_PNS10_IS15_E10value_typeET4_jRbjT5_S1B_jjP12ihipStream_tbEUljE_ZNSN_ISO_Lb1ESQ_SR_SQ_SR_SV_EESW_SX_SY_SZ_S13_S14_S15_S18_S19_jS1A_jS1B_S1B_jjS1D_bEUljE0_EEESW_SX_SY_S15_S19_S1B_T6_T7_T9_mT8_S1D_bDpT10_ENKUlT_T0_E_clISt17integral_constantIbLb0EES1Q_IbLb1EEEEDaS1M_S1N_EUlS1M_E_NS1_11comp_targetILNS1_3genE3ELNS1_11target_archE908ELNS1_3gpuE7ELNS1_3repE0EEENS1_30default_config_static_selectorELNS0_4arch9wavefront6targetE0EEEvSZ_,comdat
.Lfunc_end661:
	.size	_ZN7rocprim17ROCPRIM_400000_NS6detail17trampoline_kernelINS0_13select_configILj256ELj13ELNS0_17block_load_methodE3ELS4_3ELS4_3ELNS0_20block_scan_algorithmE0ELj4294967295EEENS1_25partition_config_selectorILNS1_17partition_subalgoE4EjNS0_10empty_typeEbEEZZNS1_14partition_implILS8_4ELb0ES6_15HIP_vector_typeIjLj2EENS0_17counting_iteratorIjlEEPS9_SG_NS0_5tupleIJPjSI_NS0_16reverse_iteratorISI_EEEEENSH_IJSG_SG_SG_EEES9_SI_JZNS1_25segmented_radix_sort_implINS0_14default_configELb1EPKlPlSQ_SR_N2at6native12_GLOBAL__N_18offset_tEEE10hipError_tPvRmT1_PNSt15iterator_traitsISZ_E10value_typeET2_T3_PNS10_IS15_E10value_typeET4_jRbjT5_S1B_jjP12ihipStream_tbEUljE_ZNSN_ISO_Lb1ESQ_SR_SQ_SR_SV_EESW_SX_SY_SZ_S13_S14_S15_S18_S19_jS1A_jS1B_S1B_jjS1D_bEUljE0_EEESW_SX_SY_S15_S19_S1B_T6_T7_T9_mT8_S1D_bDpT10_ENKUlT_T0_E_clISt17integral_constantIbLb0EES1Q_IbLb1EEEEDaS1M_S1N_EUlS1M_E_NS1_11comp_targetILNS1_3genE3ELNS1_11target_archE908ELNS1_3gpuE7ELNS1_3repE0EEENS1_30default_config_static_selectorELNS0_4arch9wavefront6targetE0EEEvSZ_, .Lfunc_end661-_ZN7rocprim17ROCPRIM_400000_NS6detail17trampoline_kernelINS0_13select_configILj256ELj13ELNS0_17block_load_methodE3ELS4_3ELS4_3ELNS0_20block_scan_algorithmE0ELj4294967295EEENS1_25partition_config_selectorILNS1_17partition_subalgoE4EjNS0_10empty_typeEbEEZZNS1_14partition_implILS8_4ELb0ES6_15HIP_vector_typeIjLj2EENS0_17counting_iteratorIjlEEPS9_SG_NS0_5tupleIJPjSI_NS0_16reverse_iteratorISI_EEEEENSH_IJSG_SG_SG_EEES9_SI_JZNS1_25segmented_radix_sort_implINS0_14default_configELb1EPKlPlSQ_SR_N2at6native12_GLOBAL__N_18offset_tEEE10hipError_tPvRmT1_PNSt15iterator_traitsISZ_E10value_typeET2_T3_PNS10_IS15_E10value_typeET4_jRbjT5_S1B_jjP12ihipStream_tbEUljE_ZNSN_ISO_Lb1ESQ_SR_SQ_SR_SV_EESW_SX_SY_SZ_S13_S14_S15_S18_S19_jS1A_jS1B_S1B_jjS1D_bEUljE0_EEESW_SX_SY_S15_S19_S1B_T6_T7_T9_mT8_S1D_bDpT10_ENKUlT_T0_E_clISt17integral_constantIbLb0EES1Q_IbLb1EEEEDaS1M_S1N_EUlS1M_E_NS1_11comp_targetILNS1_3genE3ELNS1_11target_archE908ELNS1_3gpuE7ELNS1_3repE0EEENS1_30default_config_static_selectorELNS0_4arch9wavefront6targetE0EEEvSZ_
                                        ; -- End function
	.set _ZN7rocprim17ROCPRIM_400000_NS6detail17trampoline_kernelINS0_13select_configILj256ELj13ELNS0_17block_load_methodE3ELS4_3ELS4_3ELNS0_20block_scan_algorithmE0ELj4294967295EEENS1_25partition_config_selectorILNS1_17partition_subalgoE4EjNS0_10empty_typeEbEEZZNS1_14partition_implILS8_4ELb0ES6_15HIP_vector_typeIjLj2EENS0_17counting_iteratorIjlEEPS9_SG_NS0_5tupleIJPjSI_NS0_16reverse_iteratorISI_EEEEENSH_IJSG_SG_SG_EEES9_SI_JZNS1_25segmented_radix_sort_implINS0_14default_configELb1EPKlPlSQ_SR_N2at6native12_GLOBAL__N_18offset_tEEE10hipError_tPvRmT1_PNSt15iterator_traitsISZ_E10value_typeET2_T3_PNS10_IS15_E10value_typeET4_jRbjT5_S1B_jjP12ihipStream_tbEUljE_ZNSN_ISO_Lb1ESQ_SR_SQ_SR_SV_EESW_SX_SY_SZ_S13_S14_S15_S18_S19_jS1A_jS1B_S1B_jjS1D_bEUljE0_EEESW_SX_SY_S15_S19_S1B_T6_T7_T9_mT8_S1D_bDpT10_ENKUlT_T0_E_clISt17integral_constantIbLb0EES1Q_IbLb1EEEEDaS1M_S1N_EUlS1M_E_NS1_11comp_targetILNS1_3genE3ELNS1_11target_archE908ELNS1_3gpuE7ELNS1_3repE0EEENS1_30default_config_static_selectorELNS0_4arch9wavefront6targetE0EEEvSZ_.num_vgpr, 0
	.set _ZN7rocprim17ROCPRIM_400000_NS6detail17trampoline_kernelINS0_13select_configILj256ELj13ELNS0_17block_load_methodE3ELS4_3ELS4_3ELNS0_20block_scan_algorithmE0ELj4294967295EEENS1_25partition_config_selectorILNS1_17partition_subalgoE4EjNS0_10empty_typeEbEEZZNS1_14partition_implILS8_4ELb0ES6_15HIP_vector_typeIjLj2EENS0_17counting_iteratorIjlEEPS9_SG_NS0_5tupleIJPjSI_NS0_16reverse_iteratorISI_EEEEENSH_IJSG_SG_SG_EEES9_SI_JZNS1_25segmented_radix_sort_implINS0_14default_configELb1EPKlPlSQ_SR_N2at6native12_GLOBAL__N_18offset_tEEE10hipError_tPvRmT1_PNSt15iterator_traitsISZ_E10value_typeET2_T3_PNS10_IS15_E10value_typeET4_jRbjT5_S1B_jjP12ihipStream_tbEUljE_ZNSN_ISO_Lb1ESQ_SR_SQ_SR_SV_EESW_SX_SY_SZ_S13_S14_S15_S18_S19_jS1A_jS1B_S1B_jjS1D_bEUljE0_EEESW_SX_SY_S15_S19_S1B_T6_T7_T9_mT8_S1D_bDpT10_ENKUlT_T0_E_clISt17integral_constantIbLb0EES1Q_IbLb1EEEEDaS1M_S1N_EUlS1M_E_NS1_11comp_targetILNS1_3genE3ELNS1_11target_archE908ELNS1_3gpuE7ELNS1_3repE0EEENS1_30default_config_static_selectorELNS0_4arch9wavefront6targetE0EEEvSZ_.num_agpr, 0
	.set _ZN7rocprim17ROCPRIM_400000_NS6detail17trampoline_kernelINS0_13select_configILj256ELj13ELNS0_17block_load_methodE3ELS4_3ELS4_3ELNS0_20block_scan_algorithmE0ELj4294967295EEENS1_25partition_config_selectorILNS1_17partition_subalgoE4EjNS0_10empty_typeEbEEZZNS1_14partition_implILS8_4ELb0ES6_15HIP_vector_typeIjLj2EENS0_17counting_iteratorIjlEEPS9_SG_NS0_5tupleIJPjSI_NS0_16reverse_iteratorISI_EEEEENSH_IJSG_SG_SG_EEES9_SI_JZNS1_25segmented_radix_sort_implINS0_14default_configELb1EPKlPlSQ_SR_N2at6native12_GLOBAL__N_18offset_tEEE10hipError_tPvRmT1_PNSt15iterator_traitsISZ_E10value_typeET2_T3_PNS10_IS15_E10value_typeET4_jRbjT5_S1B_jjP12ihipStream_tbEUljE_ZNSN_ISO_Lb1ESQ_SR_SQ_SR_SV_EESW_SX_SY_SZ_S13_S14_S15_S18_S19_jS1A_jS1B_S1B_jjS1D_bEUljE0_EEESW_SX_SY_S15_S19_S1B_T6_T7_T9_mT8_S1D_bDpT10_ENKUlT_T0_E_clISt17integral_constantIbLb0EES1Q_IbLb1EEEEDaS1M_S1N_EUlS1M_E_NS1_11comp_targetILNS1_3genE3ELNS1_11target_archE908ELNS1_3gpuE7ELNS1_3repE0EEENS1_30default_config_static_selectorELNS0_4arch9wavefront6targetE0EEEvSZ_.numbered_sgpr, 0
	.set _ZN7rocprim17ROCPRIM_400000_NS6detail17trampoline_kernelINS0_13select_configILj256ELj13ELNS0_17block_load_methodE3ELS4_3ELS4_3ELNS0_20block_scan_algorithmE0ELj4294967295EEENS1_25partition_config_selectorILNS1_17partition_subalgoE4EjNS0_10empty_typeEbEEZZNS1_14partition_implILS8_4ELb0ES6_15HIP_vector_typeIjLj2EENS0_17counting_iteratorIjlEEPS9_SG_NS0_5tupleIJPjSI_NS0_16reverse_iteratorISI_EEEEENSH_IJSG_SG_SG_EEES9_SI_JZNS1_25segmented_radix_sort_implINS0_14default_configELb1EPKlPlSQ_SR_N2at6native12_GLOBAL__N_18offset_tEEE10hipError_tPvRmT1_PNSt15iterator_traitsISZ_E10value_typeET2_T3_PNS10_IS15_E10value_typeET4_jRbjT5_S1B_jjP12ihipStream_tbEUljE_ZNSN_ISO_Lb1ESQ_SR_SQ_SR_SV_EESW_SX_SY_SZ_S13_S14_S15_S18_S19_jS1A_jS1B_S1B_jjS1D_bEUljE0_EEESW_SX_SY_S15_S19_S1B_T6_T7_T9_mT8_S1D_bDpT10_ENKUlT_T0_E_clISt17integral_constantIbLb0EES1Q_IbLb1EEEEDaS1M_S1N_EUlS1M_E_NS1_11comp_targetILNS1_3genE3ELNS1_11target_archE908ELNS1_3gpuE7ELNS1_3repE0EEENS1_30default_config_static_selectorELNS0_4arch9wavefront6targetE0EEEvSZ_.num_named_barrier, 0
	.set _ZN7rocprim17ROCPRIM_400000_NS6detail17trampoline_kernelINS0_13select_configILj256ELj13ELNS0_17block_load_methodE3ELS4_3ELS4_3ELNS0_20block_scan_algorithmE0ELj4294967295EEENS1_25partition_config_selectorILNS1_17partition_subalgoE4EjNS0_10empty_typeEbEEZZNS1_14partition_implILS8_4ELb0ES6_15HIP_vector_typeIjLj2EENS0_17counting_iteratorIjlEEPS9_SG_NS0_5tupleIJPjSI_NS0_16reverse_iteratorISI_EEEEENSH_IJSG_SG_SG_EEES9_SI_JZNS1_25segmented_radix_sort_implINS0_14default_configELb1EPKlPlSQ_SR_N2at6native12_GLOBAL__N_18offset_tEEE10hipError_tPvRmT1_PNSt15iterator_traitsISZ_E10value_typeET2_T3_PNS10_IS15_E10value_typeET4_jRbjT5_S1B_jjP12ihipStream_tbEUljE_ZNSN_ISO_Lb1ESQ_SR_SQ_SR_SV_EESW_SX_SY_SZ_S13_S14_S15_S18_S19_jS1A_jS1B_S1B_jjS1D_bEUljE0_EEESW_SX_SY_S15_S19_S1B_T6_T7_T9_mT8_S1D_bDpT10_ENKUlT_T0_E_clISt17integral_constantIbLb0EES1Q_IbLb1EEEEDaS1M_S1N_EUlS1M_E_NS1_11comp_targetILNS1_3genE3ELNS1_11target_archE908ELNS1_3gpuE7ELNS1_3repE0EEENS1_30default_config_static_selectorELNS0_4arch9wavefront6targetE0EEEvSZ_.private_seg_size, 0
	.set _ZN7rocprim17ROCPRIM_400000_NS6detail17trampoline_kernelINS0_13select_configILj256ELj13ELNS0_17block_load_methodE3ELS4_3ELS4_3ELNS0_20block_scan_algorithmE0ELj4294967295EEENS1_25partition_config_selectorILNS1_17partition_subalgoE4EjNS0_10empty_typeEbEEZZNS1_14partition_implILS8_4ELb0ES6_15HIP_vector_typeIjLj2EENS0_17counting_iteratorIjlEEPS9_SG_NS0_5tupleIJPjSI_NS0_16reverse_iteratorISI_EEEEENSH_IJSG_SG_SG_EEES9_SI_JZNS1_25segmented_radix_sort_implINS0_14default_configELb1EPKlPlSQ_SR_N2at6native12_GLOBAL__N_18offset_tEEE10hipError_tPvRmT1_PNSt15iterator_traitsISZ_E10value_typeET2_T3_PNS10_IS15_E10value_typeET4_jRbjT5_S1B_jjP12ihipStream_tbEUljE_ZNSN_ISO_Lb1ESQ_SR_SQ_SR_SV_EESW_SX_SY_SZ_S13_S14_S15_S18_S19_jS1A_jS1B_S1B_jjS1D_bEUljE0_EEESW_SX_SY_S15_S19_S1B_T6_T7_T9_mT8_S1D_bDpT10_ENKUlT_T0_E_clISt17integral_constantIbLb0EES1Q_IbLb1EEEEDaS1M_S1N_EUlS1M_E_NS1_11comp_targetILNS1_3genE3ELNS1_11target_archE908ELNS1_3gpuE7ELNS1_3repE0EEENS1_30default_config_static_selectorELNS0_4arch9wavefront6targetE0EEEvSZ_.uses_vcc, 0
	.set _ZN7rocprim17ROCPRIM_400000_NS6detail17trampoline_kernelINS0_13select_configILj256ELj13ELNS0_17block_load_methodE3ELS4_3ELS4_3ELNS0_20block_scan_algorithmE0ELj4294967295EEENS1_25partition_config_selectorILNS1_17partition_subalgoE4EjNS0_10empty_typeEbEEZZNS1_14partition_implILS8_4ELb0ES6_15HIP_vector_typeIjLj2EENS0_17counting_iteratorIjlEEPS9_SG_NS0_5tupleIJPjSI_NS0_16reverse_iteratorISI_EEEEENSH_IJSG_SG_SG_EEES9_SI_JZNS1_25segmented_radix_sort_implINS0_14default_configELb1EPKlPlSQ_SR_N2at6native12_GLOBAL__N_18offset_tEEE10hipError_tPvRmT1_PNSt15iterator_traitsISZ_E10value_typeET2_T3_PNS10_IS15_E10value_typeET4_jRbjT5_S1B_jjP12ihipStream_tbEUljE_ZNSN_ISO_Lb1ESQ_SR_SQ_SR_SV_EESW_SX_SY_SZ_S13_S14_S15_S18_S19_jS1A_jS1B_S1B_jjS1D_bEUljE0_EEESW_SX_SY_S15_S19_S1B_T6_T7_T9_mT8_S1D_bDpT10_ENKUlT_T0_E_clISt17integral_constantIbLb0EES1Q_IbLb1EEEEDaS1M_S1N_EUlS1M_E_NS1_11comp_targetILNS1_3genE3ELNS1_11target_archE908ELNS1_3gpuE7ELNS1_3repE0EEENS1_30default_config_static_selectorELNS0_4arch9wavefront6targetE0EEEvSZ_.uses_flat_scratch, 0
	.set _ZN7rocprim17ROCPRIM_400000_NS6detail17trampoline_kernelINS0_13select_configILj256ELj13ELNS0_17block_load_methodE3ELS4_3ELS4_3ELNS0_20block_scan_algorithmE0ELj4294967295EEENS1_25partition_config_selectorILNS1_17partition_subalgoE4EjNS0_10empty_typeEbEEZZNS1_14partition_implILS8_4ELb0ES6_15HIP_vector_typeIjLj2EENS0_17counting_iteratorIjlEEPS9_SG_NS0_5tupleIJPjSI_NS0_16reverse_iteratorISI_EEEEENSH_IJSG_SG_SG_EEES9_SI_JZNS1_25segmented_radix_sort_implINS0_14default_configELb1EPKlPlSQ_SR_N2at6native12_GLOBAL__N_18offset_tEEE10hipError_tPvRmT1_PNSt15iterator_traitsISZ_E10value_typeET2_T3_PNS10_IS15_E10value_typeET4_jRbjT5_S1B_jjP12ihipStream_tbEUljE_ZNSN_ISO_Lb1ESQ_SR_SQ_SR_SV_EESW_SX_SY_SZ_S13_S14_S15_S18_S19_jS1A_jS1B_S1B_jjS1D_bEUljE0_EEESW_SX_SY_S15_S19_S1B_T6_T7_T9_mT8_S1D_bDpT10_ENKUlT_T0_E_clISt17integral_constantIbLb0EES1Q_IbLb1EEEEDaS1M_S1N_EUlS1M_E_NS1_11comp_targetILNS1_3genE3ELNS1_11target_archE908ELNS1_3gpuE7ELNS1_3repE0EEENS1_30default_config_static_selectorELNS0_4arch9wavefront6targetE0EEEvSZ_.has_dyn_sized_stack, 0
	.set _ZN7rocprim17ROCPRIM_400000_NS6detail17trampoline_kernelINS0_13select_configILj256ELj13ELNS0_17block_load_methodE3ELS4_3ELS4_3ELNS0_20block_scan_algorithmE0ELj4294967295EEENS1_25partition_config_selectorILNS1_17partition_subalgoE4EjNS0_10empty_typeEbEEZZNS1_14partition_implILS8_4ELb0ES6_15HIP_vector_typeIjLj2EENS0_17counting_iteratorIjlEEPS9_SG_NS0_5tupleIJPjSI_NS0_16reverse_iteratorISI_EEEEENSH_IJSG_SG_SG_EEES9_SI_JZNS1_25segmented_radix_sort_implINS0_14default_configELb1EPKlPlSQ_SR_N2at6native12_GLOBAL__N_18offset_tEEE10hipError_tPvRmT1_PNSt15iterator_traitsISZ_E10value_typeET2_T3_PNS10_IS15_E10value_typeET4_jRbjT5_S1B_jjP12ihipStream_tbEUljE_ZNSN_ISO_Lb1ESQ_SR_SQ_SR_SV_EESW_SX_SY_SZ_S13_S14_S15_S18_S19_jS1A_jS1B_S1B_jjS1D_bEUljE0_EEESW_SX_SY_S15_S19_S1B_T6_T7_T9_mT8_S1D_bDpT10_ENKUlT_T0_E_clISt17integral_constantIbLb0EES1Q_IbLb1EEEEDaS1M_S1N_EUlS1M_E_NS1_11comp_targetILNS1_3genE3ELNS1_11target_archE908ELNS1_3gpuE7ELNS1_3repE0EEENS1_30default_config_static_selectorELNS0_4arch9wavefront6targetE0EEEvSZ_.has_recursion, 0
	.set _ZN7rocprim17ROCPRIM_400000_NS6detail17trampoline_kernelINS0_13select_configILj256ELj13ELNS0_17block_load_methodE3ELS4_3ELS4_3ELNS0_20block_scan_algorithmE0ELj4294967295EEENS1_25partition_config_selectorILNS1_17partition_subalgoE4EjNS0_10empty_typeEbEEZZNS1_14partition_implILS8_4ELb0ES6_15HIP_vector_typeIjLj2EENS0_17counting_iteratorIjlEEPS9_SG_NS0_5tupleIJPjSI_NS0_16reverse_iteratorISI_EEEEENSH_IJSG_SG_SG_EEES9_SI_JZNS1_25segmented_radix_sort_implINS0_14default_configELb1EPKlPlSQ_SR_N2at6native12_GLOBAL__N_18offset_tEEE10hipError_tPvRmT1_PNSt15iterator_traitsISZ_E10value_typeET2_T3_PNS10_IS15_E10value_typeET4_jRbjT5_S1B_jjP12ihipStream_tbEUljE_ZNSN_ISO_Lb1ESQ_SR_SQ_SR_SV_EESW_SX_SY_SZ_S13_S14_S15_S18_S19_jS1A_jS1B_S1B_jjS1D_bEUljE0_EEESW_SX_SY_S15_S19_S1B_T6_T7_T9_mT8_S1D_bDpT10_ENKUlT_T0_E_clISt17integral_constantIbLb0EES1Q_IbLb1EEEEDaS1M_S1N_EUlS1M_E_NS1_11comp_targetILNS1_3genE3ELNS1_11target_archE908ELNS1_3gpuE7ELNS1_3repE0EEENS1_30default_config_static_selectorELNS0_4arch9wavefront6targetE0EEEvSZ_.has_indirect_call, 0
	.section	.AMDGPU.csdata,"",@progbits
; Kernel info:
; codeLenInByte = 0
; TotalNumSgprs: 0
; NumVgprs: 0
; ScratchSize: 0
; MemoryBound: 0
; FloatMode: 240
; IeeeMode: 1
; LDSByteSize: 0 bytes/workgroup (compile time only)
; SGPRBlocks: 0
; VGPRBlocks: 0
; NumSGPRsForWavesPerEU: 1
; NumVGPRsForWavesPerEU: 1
; Occupancy: 16
; WaveLimiterHint : 0
; COMPUTE_PGM_RSRC2:SCRATCH_EN: 0
; COMPUTE_PGM_RSRC2:USER_SGPR: 6
; COMPUTE_PGM_RSRC2:TRAP_HANDLER: 0
; COMPUTE_PGM_RSRC2:TGID_X_EN: 1
; COMPUTE_PGM_RSRC2:TGID_Y_EN: 0
; COMPUTE_PGM_RSRC2:TGID_Z_EN: 0
; COMPUTE_PGM_RSRC2:TIDIG_COMP_CNT: 0
	.section	.text._ZN7rocprim17ROCPRIM_400000_NS6detail17trampoline_kernelINS0_13select_configILj256ELj13ELNS0_17block_load_methodE3ELS4_3ELS4_3ELNS0_20block_scan_algorithmE0ELj4294967295EEENS1_25partition_config_selectorILNS1_17partition_subalgoE4EjNS0_10empty_typeEbEEZZNS1_14partition_implILS8_4ELb0ES6_15HIP_vector_typeIjLj2EENS0_17counting_iteratorIjlEEPS9_SG_NS0_5tupleIJPjSI_NS0_16reverse_iteratorISI_EEEEENSH_IJSG_SG_SG_EEES9_SI_JZNS1_25segmented_radix_sort_implINS0_14default_configELb1EPKlPlSQ_SR_N2at6native12_GLOBAL__N_18offset_tEEE10hipError_tPvRmT1_PNSt15iterator_traitsISZ_E10value_typeET2_T3_PNS10_IS15_E10value_typeET4_jRbjT5_S1B_jjP12ihipStream_tbEUljE_ZNSN_ISO_Lb1ESQ_SR_SQ_SR_SV_EESW_SX_SY_SZ_S13_S14_S15_S18_S19_jS1A_jS1B_S1B_jjS1D_bEUljE0_EEESW_SX_SY_S15_S19_S1B_T6_T7_T9_mT8_S1D_bDpT10_ENKUlT_T0_E_clISt17integral_constantIbLb0EES1Q_IbLb1EEEEDaS1M_S1N_EUlS1M_E_NS1_11comp_targetILNS1_3genE2ELNS1_11target_archE906ELNS1_3gpuE6ELNS1_3repE0EEENS1_30default_config_static_selectorELNS0_4arch9wavefront6targetE0EEEvSZ_,"axG",@progbits,_ZN7rocprim17ROCPRIM_400000_NS6detail17trampoline_kernelINS0_13select_configILj256ELj13ELNS0_17block_load_methodE3ELS4_3ELS4_3ELNS0_20block_scan_algorithmE0ELj4294967295EEENS1_25partition_config_selectorILNS1_17partition_subalgoE4EjNS0_10empty_typeEbEEZZNS1_14partition_implILS8_4ELb0ES6_15HIP_vector_typeIjLj2EENS0_17counting_iteratorIjlEEPS9_SG_NS0_5tupleIJPjSI_NS0_16reverse_iteratorISI_EEEEENSH_IJSG_SG_SG_EEES9_SI_JZNS1_25segmented_radix_sort_implINS0_14default_configELb1EPKlPlSQ_SR_N2at6native12_GLOBAL__N_18offset_tEEE10hipError_tPvRmT1_PNSt15iterator_traitsISZ_E10value_typeET2_T3_PNS10_IS15_E10value_typeET4_jRbjT5_S1B_jjP12ihipStream_tbEUljE_ZNSN_ISO_Lb1ESQ_SR_SQ_SR_SV_EESW_SX_SY_SZ_S13_S14_S15_S18_S19_jS1A_jS1B_S1B_jjS1D_bEUljE0_EEESW_SX_SY_S15_S19_S1B_T6_T7_T9_mT8_S1D_bDpT10_ENKUlT_T0_E_clISt17integral_constantIbLb0EES1Q_IbLb1EEEEDaS1M_S1N_EUlS1M_E_NS1_11comp_targetILNS1_3genE2ELNS1_11target_archE906ELNS1_3gpuE6ELNS1_3repE0EEENS1_30default_config_static_selectorELNS0_4arch9wavefront6targetE0EEEvSZ_,comdat
	.globl	_ZN7rocprim17ROCPRIM_400000_NS6detail17trampoline_kernelINS0_13select_configILj256ELj13ELNS0_17block_load_methodE3ELS4_3ELS4_3ELNS0_20block_scan_algorithmE0ELj4294967295EEENS1_25partition_config_selectorILNS1_17partition_subalgoE4EjNS0_10empty_typeEbEEZZNS1_14partition_implILS8_4ELb0ES6_15HIP_vector_typeIjLj2EENS0_17counting_iteratorIjlEEPS9_SG_NS0_5tupleIJPjSI_NS0_16reverse_iteratorISI_EEEEENSH_IJSG_SG_SG_EEES9_SI_JZNS1_25segmented_radix_sort_implINS0_14default_configELb1EPKlPlSQ_SR_N2at6native12_GLOBAL__N_18offset_tEEE10hipError_tPvRmT1_PNSt15iterator_traitsISZ_E10value_typeET2_T3_PNS10_IS15_E10value_typeET4_jRbjT5_S1B_jjP12ihipStream_tbEUljE_ZNSN_ISO_Lb1ESQ_SR_SQ_SR_SV_EESW_SX_SY_SZ_S13_S14_S15_S18_S19_jS1A_jS1B_S1B_jjS1D_bEUljE0_EEESW_SX_SY_S15_S19_S1B_T6_T7_T9_mT8_S1D_bDpT10_ENKUlT_T0_E_clISt17integral_constantIbLb0EES1Q_IbLb1EEEEDaS1M_S1N_EUlS1M_E_NS1_11comp_targetILNS1_3genE2ELNS1_11target_archE906ELNS1_3gpuE6ELNS1_3repE0EEENS1_30default_config_static_selectorELNS0_4arch9wavefront6targetE0EEEvSZ_ ; -- Begin function _ZN7rocprim17ROCPRIM_400000_NS6detail17trampoline_kernelINS0_13select_configILj256ELj13ELNS0_17block_load_methodE3ELS4_3ELS4_3ELNS0_20block_scan_algorithmE0ELj4294967295EEENS1_25partition_config_selectorILNS1_17partition_subalgoE4EjNS0_10empty_typeEbEEZZNS1_14partition_implILS8_4ELb0ES6_15HIP_vector_typeIjLj2EENS0_17counting_iteratorIjlEEPS9_SG_NS0_5tupleIJPjSI_NS0_16reverse_iteratorISI_EEEEENSH_IJSG_SG_SG_EEES9_SI_JZNS1_25segmented_radix_sort_implINS0_14default_configELb1EPKlPlSQ_SR_N2at6native12_GLOBAL__N_18offset_tEEE10hipError_tPvRmT1_PNSt15iterator_traitsISZ_E10value_typeET2_T3_PNS10_IS15_E10value_typeET4_jRbjT5_S1B_jjP12ihipStream_tbEUljE_ZNSN_ISO_Lb1ESQ_SR_SQ_SR_SV_EESW_SX_SY_SZ_S13_S14_S15_S18_S19_jS1A_jS1B_S1B_jjS1D_bEUljE0_EEESW_SX_SY_S15_S19_S1B_T6_T7_T9_mT8_S1D_bDpT10_ENKUlT_T0_E_clISt17integral_constantIbLb0EES1Q_IbLb1EEEEDaS1M_S1N_EUlS1M_E_NS1_11comp_targetILNS1_3genE2ELNS1_11target_archE906ELNS1_3gpuE6ELNS1_3repE0EEENS1_30default_config_static_selectorELNS0_4arch9wavefront6targetE0EEEvSZ_
	.p2align	8
	.type	_ZN7rocprim17ROCPRIM_400000_NS6detail17trampoline_kernelINS0_13select_configILj256ELj13ELNS0_17block_load_methodE3ELS4_3ELS4_3ELNS0_20block_scan_algorithmE0ELj4294967295EEENS1_25partition_config_selectorILNS1_17partition_subalgoE4EjNS0_10empty_typeEbEEZZNS1_14partition_implILS8_4ELb0ES6_15HIP_vector_typeIjLj2EENS0_17counting_iteratorIjlEEPS9_SG_NS0_5tupleIJPjSI_NS0_16reverse_iteratorISI_EEEEENSH_IJSG_SG_SG_EEES9_SI_JZNS1_25segmented_radix_sort_implINS0_14default_configELb1EPKlPlSQ_SR_N2at6native12_GLOBAL__N_18offset_tEEE10hipError_tPvRmT1_PNSt15iterator_traitsISZ_E10value_typeET2_T3_PNS10_IS15_E10value_typeET4_jRbjT5_S1B_jjP12ihipStream_tbEUljE_ZNSN_ISO_Lb1ESQ_SR_SQ_SR_SV_EESW_SX_SY_SZ_S13_S14_S15_S18_S19_jS1A_jS1B_S1B_jjS1D_bEUljE0_EEESW_SX_SY_S15_S19_S1B_T6_T7_T9_mT8_S1D_bDpT10_ENKUlT_T0_E_clISt17integral_constantIbLb0EES1Q_IbLb1EEEEDaS1M_S1N_EUlS1M_E_NS1_11comp_targetILNS1_3genE2ELNS1_11target_archE906ELNS1_3gpuE6ELNS1_3repE0EEENS1_30default_config_static_selectorELNS0_4arch9wavefront6targetE0EEEvSZ_,@function
_ZN7rocprim17ROCPRIM_400000_NS6detail17trampoline_kernelINS0_13select_configILj256ELj13ELNS0_17block_load_methodE3ELS4_3ELS4_3ELNS0_20block_scan_algorithmE0ELj4294967295EEENS1_25partition_config_selectorILNS1_17partition_subalgoE4EjNS0_10empty_typeEbEEZZNS1_14partition_implILS8_4ELb0ES6_15HIP_vector_typeIjLj2EENS0_17counting_iteratorIjlEEPS9_SG_NS0_5tupleIJPjSI_NS0_16reverse_iteratorISI_EEEEENSH_IJSG_SG_SG_EEES9_SI_JZNS1_25segmented_radix_sort_implINS0_14default_configELb1EPKlPlSQ_SR_N2at6native12_GLOBAL__N_18offset_tEEE10hipError_tPvRmT1_PNSt15iterator_traitsISZ_E10value_typeET2_T3_PNS10_IS15_E10value_typeET4_jRbjT5_S1B_jjP12ihipStream_tbEUljE_ZNSN_ISO_Lb1ESQ_SR_SQ_SR_SV_EESW_SX_SY_SZ_S13_S14_S15_S18_S19_jS1A_jS1B_S1B_jjS1D_bEUljE0_EEESW_SX_SY_S15_S19_S1B_T6_T7_T9_mT8_S1D_bDpT10_ENKUlT_T0_E_clISt17integral_constantIbLb0EES1Q_IbLb1EEEEDaS1M_S1N_EUlS1M_E_NS1_11comp_targetILNS1_3genE2ELNS1_11target_archE906ELNS1_3gpuE6ELNS1_3repE0EEENS1_30default_config_static_selectorELNS0_4arch9wavefront6targetE0EEEvSZ_: ; @_ZN7rocprim17ROCPRIM_400000_NS6detail17trampoline_kernelINS0_13select_configILj256ELj13ELNS0_17block_load_methodE3ELS4_3ELS4_3ELNS0_20block_scan_algorithmE0ELj4294967295EEENS1_25partition_config_selectorILNS1_17partition_subalgoE4EjNS0_10empty_typeEbEEZZNS1_14partition_implILS8_4ELb0ES6_15HIP_vector_typeIjLj2EENS0_17counting_iteratorIjlEEPS9_SG_NS0_5tupleIJPjSI_NS0_16reverse_iteratorISI_EEEEENSH_IJSG_SG_SG_EEES9_SI_JZNS1_25segmented_radix_sort_implINS0_14default_configELb1EPKlPlSQ_SR_N2at6native12_GLOBAL__N_18offset_tEEE10hipError_tPvRmT1_PNSt15iterator_traitsISZ_E10value_typeET2_T3_PNS10_IS15_E10value_typeET4_jRbjT5_S1B_jjP12ihipStream_tbEUljE_ZNSN_ISO_Lb1ESQ_SR_SQ_SR_SV_EESW_SX_SY_SZ_S13_S14_S15_S18_S19_jS1A_jS1B_S1B_jjS1D_bEUljE0_EEESW_SX_SY_S15_S19_S1B_T6_T7_T9_mT8_S1D_bDpT10_ENKUlT_T0_E_clISt17integral_constantIbLb0EES1Q_IbLb1EEEEDaS1M_S1N_EUlS1M_E_NS1_11comp_targetILNS1_3genE2ELNS1_11target_archE906ELNS1_3gpuE6ELNS1_3repE0EEENS1_30default_config_static_selectorELNS0_4arch9wavefront6targetE0EEEvSZ_
; %bb.0:
	.section	.rodata,"a",@progbits
	.p2align	6, 0x0
	.amdhsa_kernel _ZN7rocprim17ROCPRIM_400000_NS6detail17trampoline_kernelINS0_13select_configILj256ELj13ELNS0_17block_load_methodE3ELS4_3ELS4_3ELNS0_20block_scan_algorithmE0ELj4294967295EEENS1_25partition_config_selectorILNS1_17partition_subalgoE4EjNS0_10empty_typeEbEEZZNS1_14partition_implILS8_4ELb0ES6_15HIP_vector_typeIjLj2EENS0_17counting_iteratorIjlEEPS9_SG_NS0_5tupleIJPjSI_NS0_16reverse_iteratorISI_EEEEENSH_IJSG_SG_SG_EEES9_SI_JZNS1_25segmented_radix_sort_implINS0_14default_configELb1EPKlPlSQ_SR_N2at6native12_GLOBAL__N_18offset_tEEE10hipError_tPvRmT1_PNSt15iterator_traitsISZ_E10value_typeET2_T3_PNS10_IS15_E10value_typeET4_jRbjT5_S1B_jjP12ihipStream_tbEUljE_ZNSN_ISO_Lb1ESQ_SR_SQ_SR_SV_EESW_SX_SY_SZ_S13_S14_S15_S18_S19_jS1A_jS1B_S1B_jjS1D_bEUljE0_EEESW_SX_SY_S15_S19_S1B_T6_T7_T9_mT8_S1D_bDpT10_ENKUlT_T0_E_clISt17integral_constantIbLb0EES1Q_IbLb1EEEEDaS1M_S1N_EUlS1M_E_NS1_11comp_targetILNS1_3genE2ELNS1_11target_archE906ELNS1_3gpuE6ELNS1_3repE0EEENS1_30default_config_static_selectorELNS0_4arch9wavefront6targetE0EEEvSZ_
		.amdhsa_group_segment_fixed_size 0
		.amdhsa_private_segment_fixed_size 0
		.amdhsa_kernarg_size 184
		.amdhsa_user_sgpr_count 6
		.amdhsa_user_sgpr_private_segment_buffer 1
		.amdhsa_user_sgpr_dispatch_ptr 0
		.amdhsa_user_sgpr_queue_ptr 0
		.amdhsa_user_sgpr_kernarg_segment_ptr 1
		.amdhsa_user_sgpr_dispatch_id 0
		.amdhsa_user_sgpr_flat_scratch_init 0
		.amdhsa_user_sgpr_private_segment_size 0
		.amdhsa_wavefront_size32 1
		.amdhsa_uses_dynamic_stack 0
		.amdhsa_system_sgpr_private_segment_wavefront_offset 0
		.amdhsa_system_sgpr_workgroup_id_x 1
		.amdhsa_system_sgpr_workgroup_id_y 0
		.amdhsa_system_sgpr_workgroup_id_z 0
		.amdhsa_system_sgpr_workgroup_info 0
		.amdhsa_system_vgpr_workitem_id 0
		.amdhsa_next_free_vgpr 1
		.amdhsa_next_free_sgpr 1
		.amdhsa_reserve_vcc 0
		.amdhsa_reserve_flat_scratch 0
		.amdhsa_float_round_mode_32 0
		.amdhsa_float_round_mode_16_64 0
		.amdhsa_float_denorm_mode_32 3
		.amdhsa_float_denorm_mode_16_64 3
		.amdhsa_dx10_clamp 1
		.amdhsa_ieee_mode 1
		.amdhsa_fp16_overflow 0
		.amdhsa_workgroup_processor_mode 1
		.amdhsa_memory_ordered 1
		.amdhsa_forward_progress 1
		.amdhsa_shared_vgpr_count 0
		.amdhsa_exception_fp_ieee_invalid_op 0
		.amdhsa_exception_fp_denorm_src 0
		.amdhsa_exception_fp_ieee_div_zero 0
		.amdhsa_exception_fp_ieee_overflow 0
		.amdhsa_exception_fp_ieee_underflow 0
		.amdhsa_exception_fp_ieee_inexact 0
		.amdhsa_exception_int_div_zero 0
	.end_amdhsa_kernel
	.section	.text._ZN7rocprim17ROCPRIM_400000_NS6detail17trampoline_kernelINS0_13select_configILj256ELj13ELNS0_17block_load_methodE3ELS4_3ELS4_3ELNS0_20block_scan_algorithmE0ELj4294967295EEENS1_25partition_config_selectorILNS1_17partition_subalgoE4EjNS0_10empty_typeEbEEZZNS1_14partition_implILS8_4ELb0ES6_15HIP_vector_typeIjLj2EENS0_17counting_iteratorIjlEEPS9_SG_NS0_5tupleIJPjSI_NS0_16reverse_iteratorISI_EEEEENSH_IJSG_SG_SG_EEES9_SI_JZNS1_25segmented_radix_sort_implINS0_14default_configELb1EPKlPlSQ_SR_N2at6native12_GLOBAL__N_18offset_tEEE10hipError_tPvRmT1_PNSt15iterator_traitsISZ_E10value_typeET2_T3_PNS10_IS15_E10value_typeET4_jRbjT5_S1B_jjP12ihipStream_tbEUljE_ZNSN_ISO_Lb1ESQ_SR_SQ_SR_SV_EESW_SX_SY_SZ_S13_S14_S15_S18_S19_jS1A_jS1B_S1B_jjS1D_bEUljE0_EEESW_SX_SY_S15_S19_S1B_T6_T7_T9_mT8_S1D_bDpT10_ENKUlT_T0_E_clISt17integral_constantIbLb0EES1Q_IbLb1EEEEDaS1M_S1N_EUlS1M_E_NS1_11comp_targetILNS1_3genE2ELNS1_11target_archE906ELNS1_3gpuE6ELNS1_3repE0EEENS1_30default_config_static_selectorELNS0_4arch9wavefront6targetE0EEEvSZ_,"axG",@progbits,_ZN7rocprim17ROCPRIM_400000_NS6detail17trampoline_kernelINS0_13select_configILj256ELj13ELNS0_17block_load_methodE3ELS4_3ELS4_3ELNS0_20block_scan_algorithmE0ELj4294967295EEENS1_25partition_config_selectorILNS1_17partition_subalgoE4EjNS0_10empty_typeEbEEZZNS1_14partition_implILS8_4ELb0ES6_15HIP_vector_typeIjLj2EENS0_17counting_iteratorIjlEEPS9_SG_NS0_5tupleIJPjSI_NS0_16reverse_iteratorISI_EEEEENSH_IJSG_SG_SG_EEES9_SI_JZNS1_25segmented_radix_sort_implINS0_14default_configELb1EPKlPlSQ_SR_N2at6native12_GLOBAL__N_18offset_tEEE10hipError_tPvRmT1_PNSt15iterator_traitsISZ_E10value_typeET2_T3_PNS10_IS15_E10value_typeET4_jRbjT5_S1B_jjP12ihipStream_tbEUljE_ZNSN_ISO_Lb1ESQ_SR_SQ_SR_SV_EESW_SX_SY_SZ_S13_S14_S15_S18_S19_jS1A_jS1B_S1B_jjS1D_bEUljE0_EEESW_SX_SY_S15_S19_S1B_T6_T7_T9_mT8_S1D_bDpT10_ENKUlT_T0_E_clISt17integral_constantIbLb0EES1Q_IbLb1EEEEDaS1M_S1N_EUlS1M_E_NS1_11comp_targetILNS1_3genE2ELNS1_11target_archE906ELNS1_3gpuE6ELNS1_3repE0EEENS1_30default_config_static_selectorELNS0_4arch9wavefront6targetE0EEEvSZ_,comdat
.Lfunc_end662:
	.size	_ZN7rocprim17ROCPRIM_400000_NS6detail17trampoline_kernelINS0_13select_configILj256ELj13ELNS0_17block_load_methodE3ELS4_3ELS4_3ELNS0_20block_scan_algorithmE0ELj4294967295EEENS1_25partition_config_selectorILNS1_17partition_subalgoE4EjNS0_10empty_typeEbEEZZNS1_14partition_implILS8_4ELb0ES6_15HIP_vector_typeIjLj2EENS0_17counting_iteratorIjlEEPS9_SG_NS0_5tupleIJPjSI_NS0_16reverse_iteratorISI_EEEEENSH_IJSG_SG_SG_EEES9_SI_JZNS1_25segmented_radix_sort_implINS0_14default_configELb1EPKlPlSQ_SR_N2at6native12_GLOBAL__N_18offset_tEEE10hipError_tPvRmT1_PNSt15iterator_traitsISZ_E10value_typeET2_T3_PNS10_IS15_E10value_typeET4_jRbjT5_S1B_jjP12ihipStream_tbEUljE_ZNSN_ISO_Lb1ESQ_SR_SQ_SR_SV_EESW_SX_SY_SZ_S13_S14_S15_S18_S19_jS1A_jS1B_S1B_jjS1D_bEUljE0_EEESW_SX_SY_S15_S19_S1B_T6_T7_T9_mT8_S1D_bDpT10_ENKUlT_T0_E_clISt17integral_constantIbLb0EES1Q_IbLb1EEEEDaS1M_S1N_EUlS1M_E_NS1_11comp_targetILNS1_3genE2ELNS1_11target_archE906ELNS1_3gpuE6ELNS1_3repE0EEENS1_30default_config_static_selectorELNS0_4arch9wavefront6targetE0EEEvSZ_, .Lfunc_end662-_ZN7rocprim17ROCPRIM_400000_NS6detail17trampoline_kernelINS0_13select_configILj256ELj13ELNS0_17block_load_methodE3ELS4_3ELS4_3ELNS0_20block_scan_algorithmE0ELj4294967295EEENS1_25partition_config_selectorILNS1_17partition_subalgoE4EjNS0_10empty_typeEbEEZZNS1_14partition_implILS8_4ELb0ES6_15HIP_vector_typeIjLj2EENS0_17counting_iteratorIjlEEPS9_SG_NS0_5tupleIJPjSI_NS0_16reverse_iteratorISI_EEEEENSH_IJSG_SG_SG_EEES9_SI_JZNS1_25segmented_radix_sort_implINS0_14default_configELb1EPKlPlSQ_SR_N2at6native12_GLOBAL__N_18offset_tEEE10hipError_tPvRmT1_PNSt15iterator_traitsISZ_E10value_typeET2_T3_PNS10_IS15_E10value_typeET4_jRbjT5_S1B_jjP12ihipStream_tbEUljE_ZNSN_ISO_Lb1ESQ_SR_SQ_SR_SV_EESW_SX_SY_SZ_S13_S14_S15_S18_S19_jS1A_jS1B_S1B_jjS1D_bEUljE0_EEESW_SX_SY_S15_S19_S1B_T6_T7_T9_mT8_S1D_bDpT10_ENKUlT_T0_E_clISt17integral_constantIbLb0EES1Q_IbLb1EEEEDaS1M_S1N_EUlS1M_E_NS1_11comp_targetILNS1_3genE2ELNS1_11target_archE906ELNS1_3gpuE6ELNS1_3repE0EEENS1_30default_config_static_selectorELNS0_4arch9wavefront6targetE0EEEvSZ_
                                        ; -- End function
	.set _ZN7rocprim17ROCPRIM_400000_NS6detail17trampoline_kernelINS0_13select_configILj256ELj13ELNS0_17block_load_methodE3ELS4_3ELS4_3ELNS0_20block_scan_algorithmE0ELj4294967295EEENS1_25partition_config_selectorILNS1_17partition_subalgoE4EjNS0_10empty_typeEbEEZZNS1_14partition_implILS8_4ELb0ES6_15HIP_vector_typeIjLj2EENS0_17counting_iteratorIjlEEPS9_SG_NS0_5tupleIJPjSI_NS0_16reverse_iteratorISI_EEEEENSH_IJSG_SG_SG_EEES9_SI_JZNS1_25segmented_radix_sort_implINS0_14default_configELb1EPKlPlSQ_SR_N2at6native12_GLOBAL__N_18offset_tEEE10hipError_tPvRmT1_PNSt15iterator_traitsISZ_E10value_typeET2_T3_PNS10_IS15_E10value_typeET4_jRbjT5_S1B_jjP12ihipStream_tbEUljE_ZNSN_ISO_Lb1ESQ_SR_SQ_SR_SV_EESW_SX_SY_SZ_S13_S14_S15_S18_S19_jS1A_jS1B_S1B_jjS1D_bEUljE0_EEESW_SX_SY_S15_S19_S1B_T6_T7_T9_mT8_S1D_bDpT10_ENKUlT_T0_E_clISt17integral_constantIbLb0EES1Q_IbLb1EEEEDaS1M_S1N_EUlS1M_E_NS1_11comp_targetILNS1_3genE2ELNS1_11target_archE906ELNS1_3gpuE6ELNS1_3repE0EEENS1_30default_config_static_selectorELNS0_4arch9wavefront6targetE0EEEvSZ_.num_vgpr, 0
	.set _ZN7rocprim17ROCPRIM_400000_NS6detail17trampoline_kernelINS0_13select_configILj256ELj13ELNS0_17block_load_methodE3ELS4_3ELS4_3ELNS0_20block_scan_algorithmE0ELj4294967295EEENS1_25partition_config_selectorILNS1_17partition_subalgoE4EjNS0_10empty_typeEbEEZZNS1_14partition_implILS8_4ELb0ES6_15HIP_vector_typeIjLj2EENS0_17counting_iteratorIjlEEPS9_SG_NS0_5tupleIJPjSI_NS0_16reverse_iteratorISI_EEEEENSH_IJSG_SG_SG_EEES9_SI_JZNS1_25segmented_radix_sort_implINS0_14default_configELb1EPKlPlSQ_SR_N2at6native12_GLOBAL__N_18offset_tEEE10hipError_tPvRmT1_PNSt15iterator_traitsISZ_E10value_typeET2_T3_PNS10_IS15_E10value_typeET4_jRbjT5_S1B_jjP12ihipStream_tbEUljE_ZNSN_ISO_Lb1ESQ_SR_SQ_SR_SV_EESW_SX_SY_SZ_S13_S14_S15_S18_S19_jS1A_jS1B_S1B_jjS1D_bEUljE0_EEESW_SX_SY_S15_S19_S1B_T6_T7_T9_mT8_S1D_bDpT10_ENKUlT_T0_E_clISt17integral_constantIbLb0EES1Q_IbLb1EEEEDaS1M_S1N_EUlS1M_E_NS1_11comp_targetILNS1_3genE2ELNS1_11target_archE906ELNS1_3gpuE6ELNS1_3repE0EEENS1_30default_config_static_selectorELNS0_4arch9wavefront6targetE0EEEvSZ_.num_agpr, 0
	.set _ZN7rocprim17ROCPRIM_400000_NS6detail17trampoline_kernelINS0_13select_configILj256ELj13ELNS0_17block_load_methodE3ELS4_3ELS4_3ELNS0_20block_scan_algorithmE0ELj4294967295EEENS1_25partition_config_selectorILNS1_17partition_subalgoE4EjNS0_10empty_typeEbEEZZNS1_14partition_implILS8_4ELb0ES6_15HIP_vector_typeIjLj2EENS0_17counting_iteratorIjlEEPS9_SG_NS0_5tupleIJPjSI_NS0_16reverse_iteratorISI_EEEEENSH_IJSG_SG_SG_EEES9_SI_JZNS1_25segmented_radix_sort_implINS0_14default_configELb1EPKlPlSQ_SR_N2at6native12_GLOBAL__N_18offset_tEEE10hipError_tPvRmT1_PNSt15iterator_traitsISZ_E10value_typeET2_T3_PNS10_IS15_E10value_typeET4_jRbjT5_S1B_jjP12ihipStream_tbEUljE_ZNSN_ISO_Lb1ESQ_SR_SQ_SR_SV_EESW_SX_SY_SZ_S13_S14_S15_S18_S19_jS1A_jS1B_S1B_jjS1D_bEUljE0_EEESW_SX_SY_S15_S19_S1B_T6_T7_T9_mT8_S1D_bDpT10_ENKUlT_T0_E_clISt17integral_constantIbLb0EES1Q_IbLb1EEEEDaS1M_S1N_EUlS1M_E_NS1_11comp_targetILNS1_3genE2ELNS1_11target_archE906ELNS1_3gpuE6ELNS1_3repE0EEENS1_30default_config_static_selectorELNS0_4arch9wavefront6targetE0EEEvSZ_.numbered_sgpr, 0
	.set _ZN7rocprim17ROCPRIM_400000_NS6detail17trampoline_kernelINS0_13select_configILj256ELj13ELNS0_17block_load_methodE3ELS4_3ELS4_3ELNS0_20block_scan_algorithmE0ELj4294967295EEENS1_25partition_config_selectorILNS1_17partition_subalgoE4EjNS0_10empty_typeEbEEZZNS1_14partition_implILS8_4ELb0ES6_15HIP_vector_typeIjLj2EENS0_17counting_iteratorIjlEEPS9_SG_NS0_5tupleIJPjSI_NS0_16reverse_iteratorISI_EEEEENSH_IJSG_SG_SG_EEES9_SI_JZNS1_25segmented_radix_sort_implINS0_14default_configELb1EPKlPlSQ_SR_N2at6native12_GLOBAL__N_18offset_tEEE10hipError_tPvRmT1_PNSt15iterator_traitsISZ_E10value_typeET2_T3_PNS10_IS15_E10value_typeET4_jRbjT5_S1B_jjP12ihipStream_tbEUljE_ZNSN_ISO_Lb1ESQ_SR_SQ_SR_SV_EESW_SX_SY_SZ_S13_S14_S15_S18_S19_jS1A_jS1B_S1B_jjS1D_bEUljE0_EEESW_SX_SY_S15_S19_S1B_T6_T7_T9_mT8_S1D_bDpT10_ENKUlT_T0_E_clISt17integral_constantIbLb0EES1Q_IbLb1EEEEDaS1M_S1N_EUlS1M_E_NS1_11comp_targetILNS1_3genE2ELNS1_11target_archE906ELNS1_3gpuE6ELNS1_3repE0EEENS1_30default_config_static_selectorELNS0_4arch9wavefront6targetE0EEEvSZ_.num_named_barrier, 0
	.set _ZN7rocprim17ROCPRIM_400000_NS6detail17trampoline_kernelINS0_13select_configILj256ELj13ELNS0_17block_load_methodE3ELS4_3ELS4_3ELNS0_20block_scan_algorithmE0ELj4294967295EEENS1_25partition_config_selectorILNS1_17partition_subalgoE4EjNS0_10empty_typeEbEEZZNS1_14partition_implILS8_4ELb0ES6_15HIP_vector_typeIjLj2EENS0_17counting_iteratorIjlEEPS9_SG_NS0_5tupleIJPjSI_NS0_16reverse_iteratorISI_EEEEENSH_IJSG_SG_SG_EEES9_SI_JZNS1_25segmented_radix_sort_implINS0_14default_configELb1EPKlPlSQ_SR_N2at6native12_GLOBAL__N_18offset_tEEE10hipError_tPvRmT1_PNSt15iterator_traitsISZ_E10value_typeET2_T3_PNS10_IS15_E10value_typeET4_jRbjT5_S1B_jjP12ihipStream_tbEUljE_ZNSN_ISO_Lb1ESQ_SR_SQ_SR_SV_EESW_SX_SY_SZ_S13_S14_S15_S18_S19_jS1A_jS1B_S1B_jjS1D_bEUljE0_EEESW_SX_SY_S15_S19_S1B_T6_T7_T9_mT8_S1D_bDpT10_ENKUlT_T0_E_clISt17integral_constantIbLb0EES1Q_IbLb1EEEEDaS1M_S1N_EUlS1M_E_NS1_11comp_targetILNS1_3genE2ELNS1_11target_archE906ELNS1_3gpuE6ELNS1_3repE0EEENS1_30default_config_static_selectorELNS0_4arch9wavefront6targetE0EEEvSZ_.private_seg_size, 0
	.set _ZN7rocprim17ROCPRIM_400000_NS6detail17trampoline_kernelINS0_13select_configILj256ELj13ELNS0_17block_load_methodE3ELS4_3ELS4_3ELNS0_20block_scan_algorithmE0ELj4294967295EEENS1_25partition_config_selectorILNS1_17partition_subalgoE4EjNS0_10empty_typeEbEEZZNS1_14partition_implILS8_4ELb0ES6_15HIP_vector_typeIjLj2EENS0_17counting_iteratorIjlEEPS9_SG_NS0_5tupleIJPjSI_NS0_16reverse_iteratorISI_EEEEENSH_IJSG_SG_SG_EEES9_SI_JZNS1_25segmented_radix_sort_implINS0_14default_configELb1EPKlPlSQ_SR_N2at6native12_GLOBAL__N_18offset_tEEE10hipError_tPvRmT1_PNSt15iterator_traitsISZ_E10value_typeET2_T3_PNS10_IS15_E10value_typeET4_jRbjT5_S1B_jjP12ihipStream_tbEUljE_ZNSN_ISO_Lb1ESQ_SR_SQ_SR_SV_EESW_SX_SY_SZ_S13_S14_S15_S18_S19_jS1A_jS1B_S1B_jjS1D_bEUljE0_EEESW_SX_SY_S15_S19_S1B_T6_T7_T9_mT8_S1D_bDpT10_ENKUlT_T0_E_clISt17integral_constantIbLb0EES1Q_IbLb1EEEEDaS1M_S1N_EUlS1M_E_NS1_11comp_targetILNS1_3genE2ELNS1_11target_archE906ELNS1_3gpuE6ELNS1_3repE0EEENS1_30default_config_static_selectorELNS0_4arch9wavefront6targetE0EEEvSZ_.uses_vcc, 0
	.set _ZN7rocprim17ROCPRIM_400000_NS6detail17trampoline_kernelINS0_13select_configILj256ELj13ELNS0_17block_load_methodE3ELS4_3ELS4_3ELNS0_20block_scan_algorithmE0ELj4294967295EEENS1_25partition_config_selectorILNS1_17partition_subalgoE4EjNS0_10empty_typeEbEEZZNS1_14partition_implILS8_4ELb0ES6_15HIP_vector_typeIjLj2EENS0_17counting_iteratorIjlEEPS9_SG_NS0_5tupleIJPjSI_NS0_16reverse_iteratorISI_EEEEENSH_IJSG_SG_SG_EEES9_SI_JZNS1_25segmented_radix_sort_implINS0_14default_configELb1EPKlPlSQ_SR_N2at6native12_GLOBAL__N_18offset_tEEE10hipError_tPvRmT1_PNSt15iterator_traitsISZ_E10value_typeET2_T3_PNS10_IS15_E10value_typeET4_jRbjT5_S1B_jjP12ihipStream_tbEUljE_ZNSN_ISO_Lb1ESQ_SR_SQ_SR_SV_EESW_SX_SY_SZ_S13_S14_S15_S18_S19_jS1A_jS1B_S1B_jjS1D_bEUljE0_EEESW_SX_SY_S15_S19_S1B_T6_T7_T9_mT8_S1D_bDpT10_ENKUlT_T0_E_clISt17integral_constantIbLb0EES1Q_IbLb1EEEEDaS1M_S1N_EUlS1M_E_NS1_11comp_targetILNS1_3genE2ELNS1_11target_archE906ELNS1_3gpuE6ELNS1_3repE0EEENS1_30default_config_static_selectorELNS0_4arch9wavefront6targetE0EEEvSZ_.uses_flat_scratch, 0
	.set _ZN7rocprim17ROCPRIM_400000_NS6detail17trampoline_kernelINS0_13select_configILj256ELj13ELNS0_17block_load_methodE3ELS4_3ELS4_3ELNS0_20block_scan_algorithmE0ELj4294967295EEENS1_25partition_config_selectorILNS1_17partition_subalgoE4EjNS0_10empty_typeEbEEZZNS1_14partition_implILS8_4ELb0ES6_15HIP_vector_typeIjLj2EENS0_17counting_iteratorIjlEEPS9_SG_NS0_5tupleIJPjSI_NS0_16reverse_iteratorISI_EEEEENSH_IJSG_SG_SG_EEES9_SI_JZNS1_25segmented_radix_sort_implINS0_14default_configELb1EPKlPlSQ_SR_N2at6native12_GLOBAL__N_18offset_tEEE10hipError_tPvRmT1_PNSt15iterator_traitsISZ_E10value_typeET2_T3_PNS10_IS15_E10value_typeET4_jRbjT5_S1B_jjP12ihipStream_tbEUljE_ZNSN_ISO_Lb1ESQ_SR_SQ_SR_SV_EESW_SX_SY_SZ_S13_S14_S15_S18_S19_jS1A_jS1B_S1B_jjS1D_bEUljE0_EEESW_SX_SY_S15_S19_S1B_T6_T7_T9_mT8_S1D_bDpT10_ENKUlT_T0_E_clISt17integral_constantIbLb0EES1Q_IbLb1EEEEDaS1M_S1N_EUlS1M_E_NS1_11comp_targetILNS1_3genE2ELNS1_11target_archE906ELNS1_3gpuE6ELNS1_3repE0EEENS1_30default_config_static_selectorELNS0_4arch9wavefront6targetE0EEEvSZ_.has_dyn_sized_stack, 0
	.set _ZN7rocprim17ROCPRIM_400000_NS6detail17trampoline_kernelINS0_13select_configILj256ELj13ELNS0_17block_load_methodE3ELS4_3ELS4_3ELNS0_20block_scan_algorithmE0ELj4294967295EEENS1_25partition_config_selectorILNS1_17partition_subalgoE4EjNS0_10empty_typeEbEEZZNS1_14partition_implILS8_4ELb0ES6_15HIP_vector_typeIjLj2EENS0_17counting_iteratorIjlEEPS9_SG_NS0_5tupleIJPjSI_NS0_16reverse_iteratorISI_EEEEENSH_IJSG_SG_SG_EEES9_SI_JZNS1_25segmented_radix_sort_implINS0_14default_configELb1EPKlPlSQ_SR_N2at6native12_GLOBAL__N_18offset_tEEE10hipError_tPvRmT1_PNSt15iterator_traitsISZ_E10value_typeET2_T3_PNS10_IS15_E10value_typeET4_jRbjT5_S1B_jjP12ihipStream_tbEUljE_ZNSN_ISO_Lb1ESQ_SR_SQ_SR_SV_EESW_SX_SY_SZ_S13_S14_S15_S18_S19_jS1A_jS1B_S1B_jjS1D_bEUljE0_EEESW_SX_SY_S15_S19_S1B_T6_T7_T9_mT8_S1D_bDpT10_ENKUlT_T0_E_clISt17integral_constantIbLb0EES1Q_IbLb1EEEEDaS1M_S1N_EUlS1M_E_NS1_11comp_targetILNS1_3genE2ELNS1_11target_archE906ELNS1_3gpuE6ELNS1_3repE0EEENS1_30default_config_static_selectorELNS0_4arch9wavefront6targetE0EEEvSZ_.has_recursion, 0
	.set _ZN7rocprim17ROCPRIM_400000_NS6detail17trampoline_kernelINS0_13select_configILj256ELj13ELNS0_17block_load_methodE3ELS4_3ELS4_3ELNS0_20block_scan_algorithmE0ELj4294967295EEENS1_25partition_config_selectorILNS1_17partition_subalgoE4EjNS0_10empty_typeEbEEZZNS1_14partition_implILS8_4ELb0ES6_15HIP_vector_typeIjLj2EENS0_17counting_iteratorIjlEEPS9_SG_NS0_5tupleIJPjSI_NS0_16reverse_iteratorISI_EEEEENSH_IJSG_SG_SG_EEES9_SI_JZNS1_25segmented_radix_sort_implINS0_14default_configELb1EPKlPlSQ_SR_N2at6native12_GLOBAL__N_18offset_tEEE10hipError_tPvRmT1_PNSt15iterator_traitsISZ_E10value_typeET2_T3_PNS10_IS15_E10value_typeET4_jRbjT5_S1B_jjP12ihipStream_tbEUljE_ZNSN_ISO_Lb1ESQ_SR_SQ_SR_SV_EESW_SX_SY_SZ_S13_S14_S15_S18_S19_jS1A_jS1B_S1B_jjS1D_bEUljE0_EEESW_SX_SY_S15_S19_S1B_T6_T7_T9_mT8_S1D_bDpT10_ENKUlT_T0_E_clISt17integral_constantIbLb0EES1Q_IbLb1EEEEDaS1M_S1N_EUlS1M_E_NS1_11comp_targetILNS1_3genE2ELNS1_11target_archE906ELNS1_3gpuE6ELNS1_3repE0EEENS1_30default_config_static_selectorELNS0_4arch9wavefront6targetE0EEEvSZ_.has_indirect_call, 0
	.section	.AMDGPU.csdata,"",@progbits
; Kernel info:
; codeLenInByte = 0
; TotalNumSgprs: 0
; NumVgprs: 0
; ScratchSize: 0
; MemoryBound: 0
; FloatMode: 240
; IeeeMode: 1
; LDSByteSize: 0 bytes/workgroup (compile time only)
; SGPRBlocks: 0
; VGPRBlocks: 0
; NumSGPRsForWavesPerEU: 1
; NumVGPRsForWavesPerEU: 1
; Occupancy: 16
; WaveLimiterHint : 0
; COMPUTE_PGM_RSRC2:SCRATCH_EN: 0
; COMPUTE_PGM_RSRC2:USER_SGPR: 6
; COMPUTE_PGM_RSRC2:TRAP_HANDLER: 0
; COMPUTE_PGM_RSRC2:TGID_X_EN: 1
; COMPUTE_PGM_RSRC2:TGID_Y_EN: 0
; COMPUTE_PGM_RSRC2:TGID_Z_EN: 0
; COMPUTE_PGM_RSRC2:TIDIG_COMP_CNT: 0
	.section	.text._ZN7rocprim17ROCPRIM_400000_NS6detail17trampoline_kernelINS0_13select_configILj256ELj13ELNS0_17block_load_methodE3ELS4_3ELS4_3ELNS0_20block_scan_algorithmE0ELj4294967295EEENS1_25partition_config_selectorILNS1_17partition_subalgoE4EjNS0_10empty_typeEbEEZZNS1_14partition_implILS8_4ELb0ES6_15HIP_vector_typeIjLj2EENS0_17counting_iteratorIjlEEPS9_SG_NS0_5tupleIJPjSI_NS0_16reverse_iteratorISI_EEEEENSH_IJSG_SG_SG_EEES9_SI_JZNS1_25segmented_radix_sort_implINS0_14default_configELb1EPKlPlSQ_SR_N2at6native12_GLOBAL__N_18offset_tEEE10hipError_tPvRmT1_PNSt15iterator_traitsISZ_E10value_typeET2_T3_PNS10_IS15_E10value_typeET4_jRbjT5_S1B_jjP12ihipStream_tbEUljE_ZNSN_ISO_Lb1ESQ_SR_SQ_SR_SV_EESW_SX_SY_SZ_S13_S14_S15_S18_S19_jS1A_jS1B_S1B_jjS1D_bEUljE0_EEESW_SX_SY_S15_S19_S1B_T6_T7_T9_mT8_S1D_bDpT10_ENKUlT_T0_E_clISt17integral_constantIbLb0EES1Q_IbLb1EEEEDaS1M_S1N_EUlS1M_E_NS1_11comp_targetILNS1_3genE10ELNS1_11target_archE1200ELNS1_3gpuE4ELNS1_3repE0EEENS1_30default_config_static_selectorELNS0_4arch9wavefront6targetE0EEEvSZ_,"axG",@progbits,_ZN7rocprim17ROCPRIM_400000_NS6detail17trampoline_kernelINS0_13select_configILj256ELj13ELNS0_17block_load_methodE3ELS4_3ELS4_3ELNS0_20block_scan_algorithmE0ELj4294967295EEENS1_25partition_config_selectorILNS1_17partition_subalgoE4EjNS0_10empty_typeEbEEZZNS1_14partition_implILS8_4ELb0ES6_15HIP_vector_typeIjLj2EENS0_17counting_iteratorIjlEEPS9_SG_NS0_5tupleIJPjSI_NS0_16reverse_iteratorISI_EEEEENSH_IJSG_SG_SG_EEES9_SI_JZNS1_25segmented_radix_sort_implINS0_14default_configELb1EPKlPlSQ_SR_N2at6native12_GLOBAL__N_18offset_tEEE10hipError_tPvRmT1_PNSt15iterator_traitsISZ_E10value_typeET2_T3_PNS10_IS15_E10value_typeET4_jRbjT5_S1B_jjP12ihipStream_tbEUljE_ZNSN_ISO_Lb1ESQ_SR_SQ_SR_SV_EESW_SX_SY_SZ_S13_S14_S15_S18_S19_jS1A_jS1B_S1B_jjS1D_bEUljE0_EEESW_SX_SY_S15_S19_S1B_T6_T7_T9_mT8_S1D_bDpT10_ENKUlT_T0_E_clISt17integral_constantIbLb0EES1Q_IbLb1EEEEDaS1M_S1N_EUlS1M_E_NS1_11comp_targetILNS1_3genE10ELNS1_11target_archE1200ELNS1_3gpuE4ELNS1_3repE0EEENS1_30default_config_static_selectorELNS0_4arch9wavefront6targetE0EEEvSZ_,comdat
	.globl	_ZN7rocprim17ROCPRIM_400000_NS6detail17trampoline_kernelINS0_13select_configILj256ELj13ELNS0_17block_load_methodE3ELS4_3ELS4_3ELNS0_20block_scan_algorithmE0ELj4294967295EEENS1_25partition_config_selectorILNS1_17partition_subalgoE4EjNS0_10empty_typeEbEEZZNS1_14partition_implILS8_4ELb0ES6_15HIP_vector_typeIjLj2EENS0_17counting_iteratorIjlEEPS9_SG_NS0_5tupleIJPjSI_NS0_16reverse_iteratorISI_EEEEENSH_IJSG_SG_SG_EEES9_SI_JZNS1_25segmented_radix_sort_implINS0_14default_configELb1EPKlPlSQ_SR_N2at6native12_GLOBAL__N_18offset_tEEE10hipError_tPvRmT1_PNSt15iterator_traitsISZ_E10value_typeET2_T3_PNS10_IS15_E10value_typeET4_jRbjT5_S1B_jjP12ihipStream_tbEUljE_ZNSN_ISO_Lb1ESQ_SR_SQ_SR_SV_EESW_SX_SY_SZ_S13_S14_S15_S18_S19_jS1A_jS1B_S1B_jjS1D_bEUljE0_EEESW_SX_SY_S15_S19_S1B_T6_T7_T9_mT8_S1D_bDpT10_ENKUlT_T0_E_clISt17integral_constantIbLb0EES1Q_IbLb1EEEEDaS1M_S1N_EUlS1M_E_NS1_11comp_targetILNS1_3genE10ELNS1_11target_archE1200ELNS1_3gpuE4ELNS1_3repE0EEENS1_30default_config_static_selectorELNS0_4arch9wavefront6targetE0EEEvSZ_ ; -- Begin function _ZN7rocprim17ROCPRIM_400000_NS6detail17trampoline_kernelINS0_13select_configILj256ELj13ELNS0_17block_load_methodE3ELS4_3ELS4_3ELNS0_20block_scan_algorithmE0ELj4294967295EEENS1_25partition_config_selectorILNS1_17partition_subalgoE4EjNS0_10empty_typeEbEEZZNS1_14partition_implILS8_4ELb0ES6_15HIP_vector_typeIjLj2EENS0_17counting_iteratorIjlEEPS9_SG_NS0_5tupleIJPjSI_NS0_16reverse_iteratorISI_EEEEENSH_IJSG_SG_SG_EEES9_SI_JZNS1_25segmented_radix_sort_implINS0_14default_configELb1EPKlPlSQ_SR_N2at6native12_GLOBAL__N_18offset_tEEE10hipError_tPvRmT1_PNSt15iterator_traitsISZ_E10value_typeET2_T3_PNS10_IS15_E10value_typeET4_jRbjT5_S1B_jjP12ihipStream_tbEUljE_ZNSN_ISO_Lb1ESQ_SR_SQ_SR_SV_EESW_SX_SY_SZ_S13_S14_S15_S18_S19_jS1A_jS1B_S1B_jjS1D_bEUljE0_EEESW_SX_SY_S15_S19_S1B_T6_T7_T9_mT8_S1D_bDpT10_ENKUlT_T0_E_clISt17integral_constantIbLb0EES1Q_IbLb1EEEEDaS1M_S1N_EUlS1M_E_NS1_11comp_targetILNS1_3genE10ELNS1_11target_archE1200ELNS1_3gpuE4ELNS1_3repE0EEENS1_30default_config_static_selectorELNS0_4arch9wavefront6targetE0EEEvSZ_
	.p2align	8
	.type	_ZN7rocprim17ROCPRIM_400000_NS6detail17trampoline_kernelINS0_13select_configILj256ELj13ELNS0_17block_load_methodE3ELS4_3ELS4_3ELNS0_20block_scan_algorithmE0ELj4294967295EEENS1_25partition_config_selectorILNS1_17partition_subalgoE4EjNS0_10empty_typeEbEEZZNS1_14partition_implILS8_4ELb0ES6_15HIP_vector_typeIjLj2EENS0_17counting_iteratorIjlEEPS9_SG_NS0_5tupleIJPjSI_NS0_16reverse_iteratorISI_EEEEENSH_IJSG_SG_SG_EEES9_SI_JZNS1_25segmented_radix_sort_implINS0_14default_configELb1EPKlPlSQ_SR_N2at6native12_GLOBAL__N_18offset_tEEE10hipError_tPvRmT1_PNSt15iterator_traitsISZ_E10value_typeET2_T3_PNS10_IS15_E10value_typeET4_jRbjT5_S1B_jjP12ihipStream_tbEUljE_ZNSN_ISO_Lb1ESQ_SR_SQ_SR_SV_EESW_SX_SY_SZ_S13_S14_S15_S18_S19_jS1A_jS1B_S1B_jjS1D_bEUljE0_EEESW_SX_SY_S15_S19_S1B_T6_T7_T9_mT8_S1D_bDpT10_ENKUlT_T0_E_clISt17integral_constantIbLb0EES1Q_IbLb1EEEEDaS1M_S1N_EUlS1M_E_NS1_11comp_targetILNS1_3genE10ELNS1_11target_archE1200ELNS1_3gpuE4ELNS1_3repE0EEENS1_30default_config_static_selectorELNS0_4arch9wavefront6targetE0EEEvSZ_,@function
_ZN7rocprim17ROCPRIM_400000_NS6detail17trampoline_kernelINS0_13select_configILj256ELj13ELNS0_17block_load_methodE3ELS4_3ELS4_3ELNS0_20block_scan_algorithmE0ELj4294967295EEENS1_25partition_config_selectorILNS1_17partition_subalgoE4EjNS0_10empty_typeEbEEZZNS1_14partition_implILS8_4ELb0ES6_15HIP_vector_typeIjLj2EENS0_17counting_iteratorIjlEEPS9_SG_NS0_5tupleIJPjSI_NS0_16reverse_iteratorISI_EEEEENSH_IJSG_SG_SG_EEES9_SI_JZNS1_25segmented_radix_sort_implINS0_14default_configELb1EPKlPlSQ_SR_N2at6native12_GLOBAL__N_18offset_tEEE10hipError_tPvRmT1_PNSt15iterator_traitsISZ_E10value_typeET2_T3_PNS10_IS15_E10value_typeET4_jRbjT5_S1B_jjP12ihipStream_tbEUljE_ZNSN_ISO_Lb1ESQ_SR_SQ_SR_SV_EESW_SX_SY_SZ_S13_S14_S15_S18_S19_jS1A_jS1B_S1B_jjS1D_bEUljE0_EEESW_SX_SY_S15_S19_S1B_T6_T7_T9_mT8_S1D_bDpT10_ENKUlT_T0_E_clISt17integral_constantIbLb0EES1Q_IbLb1EEEEDaS1M_S1N_EUlS1M_E_NS1_11comp_targetILNS1_3genE10ELNS1_11target_archE1200ELNS1_3gpuE4ELNS1_3repE0EEENS1_30default_config_static_selectorELNS0_4arch9wavefront6targetE0EEEvSZ_: ; @_ZN7rocprim17ROCPRIM_400000_NS6detail17trampoline_kernelINS0_13select_configILj256ELj13ELNS0_17block_load_methodE3ELS4_3ELS4_3ELNS0_20block_scan_algorithmE0ELj4294967295EEENS1_25partition_config_selectorILNS1_17partition_subalgoE4EjNS0_10empty_typeEbEEZZNS1_14partition_implILS8_4ELb0ES6_15HIP_vector_typeIjLj2EENS0_17counting_iteratorIjlEEPS9_SG_NS0_5tupleIJPjSI_NS0_16reverse_iteratorISI_EEEEENSH_IJSG_SG_SG_EEES9_SI_JZNS1_25segmented_radix_sort_implINS0_14default_configELb1EPKlPlSQ_SR_N2at6native12_GLOBAL__N_18offset_tEEE10hipError_tPvRmT1_PNSt15iterator_traitsISZ_E10value_typeET2_T3_PNS10_IS15_E10value_typeET4_jRbjT5_S1B_jjP12ihipStream_tbEUljE_ZNSN_ISO_Lb1ESQ_SR_SQ_SR_SV_EESW_SX_SY_SZ_S13_S14_S15_S18_S19_jS1A_jS1B_S1B_jjS1D_bEUljE0_EEESW_SX_SY_S15_S19_S1B_T6_T7_T9_mT8_S1D_bDpT10_ENKUlT_T0_E_clISt17integral_constantIbLb0EES1Q_IbLb1EEEEDaS1M_S1N_EUlS1M_E_NS1_11comp_targetILNS1_3genE10ELNS1_11target_archE1200ELNS1_3gpuE4ELNS1_3repE0EEENS1_30default_config_static_selectorELNS0_4arch9wavefront6targetE0EEEvSZ_
; %bb.0:
	.section	.rodata,"a",@progbits
	.p2align	6, 0x0
	.amdhsa_kernel _ZN7rocprim17ROCPRIM_400000_NS6detail17trampoline_kernelINS0_13select_configILj256ELj13ELNS0_17block_load_methodE3ELS4_3ELS4_3ELNS0_20block_scan_algorithmE0ELj4294967295EEENS1_25partition_config_selectorILNS1_17partition_subalgoE4EjNS0_10empty_typeEbEEZZNS1_14partition_implILS8_4ELb0ES6_15HIP_vector_typeIjLj2EENS0_17counting_iteratorIjlEEPS9_SG_NS0_5tupleIJPjSI_NS0_16reverse_iteratorISI_EEEEENSH_IJSG_SG_SG_EEES9_SI_JZNS1_25segmented_radix_sort_implINS0_14default_configELb1EPKlPlSQ_SR_N2at6native12_GLOBAL__N_18offset_tEEE10hipError_tPvRmT1_PNSt15iterator_traitsISZ_E10value_typeET2_T3_PNS10_IS15_E10value_typeET4_jRbjT5_S1B_jjP12ihipStream_tbEUljE_ZNSN_ISO_Lb1ESQ_SR_SQ_SR_SV_EESW_SX_SY_SZ_S13_S14_S15_S18_S19_jS1A_jS1B_S1B_jjS1D_bEUljE0_EEESW_SX_SY_S15_S19_S1B_T6_T7_T9_mT8_S1D_bDpT10_ENKUlT_T0_E_clISt17integral_constantIbLb0EES1Q_IbLb1EEEEDaS1M_S1N_EUlS1M_E_NS1_11comp_targetILNS1_3genE10ELNS1_11target_archE1200ELNS1_3gpuE4ELNS1_3repE0EEENS1_30default_config_static_selectorELNS0_4arch9wavefront6targetE0EEEvSZ_
		.amdhsa_group_segment_fixed_size 0
		.amdhsa_private_segment_fixed_size 0
		.amdhsa_kernarg_size 184
		.amdhsa_user_sgpr_count 6
		.amdhsa_user_sgpr_private_segment_buffer 1
		.amdhsa_user_sgpr_dispatch_ptr 0
		.amdhsa_user_sgpr_queue_ptr 0
		.amdhsa_user_sgpr_kernarg_segment_ptr 1
		.amdhsa_user_sgpr_dispatch_id 0
		.amdhsa_user_sgpr_flat_scratch_init 0
		.amdhsa_user_sgpr_private_segment_size 0
		.amdhsa_wavefront_size32 1
		.amdhsa_uses_dynamic_stack 0
		.amdhsa_system_sgpr_private_segment_wavefront_offset 0
		.amdhsa_system_sgpr_workgroup_id_x 1
		.amdhsa_system_sgpr_workgroup_id_y 0
		.amdhsa_system_sgpr_workgroup_id_z 0
		.amdhsa_system_sgpr_workgroup_info 0
		.amdhsa_system_vgpr_workitem_id 0
		.amdhsa_next_free_vgpr 1
		.amdhsa_next_free_sgpr 1
		.amdhsa_reserve_vcc 0
		.amdhsa_reserve_flat_scratch 0
		.amdhsa_float_round_mode_32 0
		.amdhsa_float_round_mode_16_64 0
		.amdhsa_float_denorm_mode_32 3
		.amdhsa_float_denorm_mode_16_64 3
		.amdhsa_dx10_clamp 1
		.amdhsa_ieee_mode 1
		.amdhsa_fp16_overflow 0
		.amdhsa_workgroup_processor_mode 1
		.amdhsa_memory_ordered 1
		.amdhsa_forward_progress 1
		.amdhsa_shared_vgpr_count 0
		.amdhsa_exception_fp_ieee_invalid_op 0
		.amdhsa_exception_fp_denorm_src 0
		.amdhsa_exception_fp_ieee_div_zero 0
		.amdhsa_exception_fp_ieee_overflow 0
		.amdhsa_exception_fp_ieee_underflow 0
		.amdhsa_exception_fp_ieee_inexact 0
		.amdhsa_exception_int_div_zero 0
	.end_amdhsa_kernel
	.section	.text._ZN7rocprim17ROCPRIM_400000_NS6detail17trampoline_kernelINS0_13select_configILj256ELj13ELNS0_17block_load_methodE3ELS4_3ELS4_3ELNS0_20block_scan_algorithmE0ELj4294967295EEENS1_25partition_config_selectorILNS1_17partition_subalgoE4EjNS0_10empty_typeEbEEZZNS1_14partition_implILS8_4ELb0ES6_15HIP_vector_typeIjLj2EENS0_17counting_iteratorIjlEEPS9_SG_NS0_5tupleIJPjSI_NS0_16reverse_iteratorISI_EEEEENSH_IJSG_SG_SG_EEES9_SI_JZNS1_25segmented_radix_sort_implINS0_14default_configELb1EPKlPlSQ_SR_N2at6native12_GLOBAL__N_18offset_tEEE10hipError_tPvRmT1_PNSt15iterator_traitsISZ_E10value_typeET2_T3_PNS10_IS15_E10value_typeET4_jRbjT5_S1B_jjP12ihipStream_tbEUljE_ZNSN_ISO_Lb1ESQ_SR_SQ_SR_SV_EESW_SX_SY_SZ_S13_S14_S15_S18_S19_jS1A_jS1B_S1B_jjS1D_bEUljE0_EEESW_SX_SY_S15_S19_S1B_T6_T7_T9_mT8_S1D_bDpT10_ENKUlT_T0_E_clISt17integral_constantIbLb0EES1Q_IbLb1EEEEDaS1M_S1N_EUlS1M_E_NS1_11comp_targetILNS1_3genE10ELNS1_11target_archE1200ELNS1_3gpuE4ELNS1_3repE0EEENS1_30default_config_static_selectorELNS0_4arch9wavefront6targetE0EEEvSZ_,"axG",@progbits,_ZN7rocprim17ROCPRIM_400000_NS6detail17trampoline_kernelINS0_13select_configILj256ELj13ELNS0_17block_load_methodE3ELS4_3ELS4_3ELNS0_20block_scan_algorithmE0ELj4294967295EEENS1_25partition_config_selectorILNS1_17partition_subalgoE4EjNS0_10empty_typeEbEEZZNS1_14partition_implILS8_4ELb0ES6_15HIP_vector_typeIjLj2EENS0_17counting_iteratorIjlEEPS9_SG_NS0_5tupleIJPjSI_NS0_16reverse_iteratorISI_EEEEENSH_IJSG_SG_SG_EEES9_SI_JZNS1_25segmented_radix_sort_implINS0_14default_configELb1EPKlPlSQ_SR_N2at6native12_GLOBAL__N_18offset_tEEE10hipError_tPvRmT1_PNSt15iterator_traitsISZ_E10value_typeET2_T3_PNS10_IS15_E10value_typeET4_jRbjT5_S1B_jjP12ihipStream_tbEUljE_ZNSN_ISO_Lb1ESQ_SR_SQ_SR_SV_EESW_SX_SY_SZ_S13_S14_S15_S18_S19_jS1A_jS1B_S1B_jjS1D_bEUljE0_EEESW_SX_SY_S15_S19_S1B_T6_T7_T9_mT8_S1D_bDpT10_ENKUlT_T0_E_clISt17integral_constantIbLb0EES1Q_IbLb1EEEEDaS1M_S1N_EUlS1M_E_NS1_11comp_targetILNS1_3genE10ELNS1_11target_archE1200ELNS1_3gpuE4ELNS1_3repE0EEENS1_30default_config_static_selectorELNS0_4arch9wavefront6targetE0EEEvSZ_,comdat
.Lfunc_end663:
	.size	_ZN7rocprim17ROCPRIM_400000_NS6detail17trampoline_kernelINS0_13select_configILj256ELj13ELNS0_17block_load_methodE3ELS4_3ELS4_3ELNS0_20block_scan_algorithmE0ELj4294967295EEENS1_25partition_config_selectorILNS1_17partition_subalgoE4EjNS0_10empty_typeEbEEZZNS1_14partition_implILS8_4ELb0ES6_15HIP_vector_typeIjLj2EENS0_17counting_iteratorIjlEEPS9_SG_NS0_5tupleIJPjSI_NS0_16reverse_iteratorISI_EEEEENSH_IJSG_SG_SG_EEES9_SI_JZNS1_25segmented_radix_sort_implINS0_14default_configELb1EPKlPlSQ_SR_N2at6native12_GLOBAL__N_18offset_tEEE10hipError_tPvRmT1_PNSt15iterator_traitsISZ_E10value_typeET2_T3_PNS10_IS15_E10value_typeET4_jRbjT5_S1B_jjP12ihipStream_tbEUljE_ZNSN_ISO_Lb1ESQ_SR_SQ_SR_SV_EESW_SX_SY_SZ_S13_S14_S15_S18_S19_jS1A_jS1B_S1B_jjS1D_bEUljE0_EEESW_SX_SY_S15_S19_S1B_T6_T7_T9_mT8_S1D_bDpT10_ENKUlT_T0_E_clISt17integral_constantIbLb0EES1Q_IbLb1EEEEDaS1M_S1N_EUlS1M_E_NS1_11comp_targetILNS1_3genE10ELNS1_11target_archE1200ELNS1_3gpuE4ELNS1_3repE0EEENS1_30default_config_static_selectorELNS0_4arch9wavefront6targetE0EEEvSZ_, .Lfunc_end663-_ZN7rocprim17ROCPRIM_400000_NS6detail17trampoline_kernelINS0_13select_configILj256ELj13ELNS0_17block_load_methodE3ELS4_3ELS4_3ELNS0_20block_scan_algorithmE0ELj4294967295EEENS1_25partition_config_selectorILNS1_17partition_subalgoE4EjNS0_10empty_typeEbEEZZNS1_14partition_implILS8_4ELb0ES6_15HIP_vector_typeIjLj2EENS0_17counting_iteratorIjlEEPS9_SG_NS0_5tupleIJPjSI_NS0_16reverse_iteratorISI_EEEEENSH_IJSG_SG_SG_EEES9_SI_JZNS1_25segmented_radix_sort_implINS0_14default_configELb1EPKlPlSQ_SR_N2at6native12_GLOBAL__N_18offset_tEEE10hipError_tPvRmT1_PNSt15iterator_traitsISZ_E10value_typeET2_T3_PNS10_IS15_E10value_typeET4_jRbjT5_S1B_jjP12ihipStream_tbEUljE_ZNSN_ISO_Lb1ESQ_SR_SQ_SR_SV_EESW_SX_SY_SZ_S13_S14_S15_S18_S19_jS1A_jS1B_S1B_jjS1D_bEUljE0_EEESW_SX_SY_S15_S19_S1B_T6_T7_T9_mT8_S1D_bDpT10_ENKUlT_T0_E_clISt17integral_constantIbLb0EES1Q_IbLb1EEEEDaS1M_S1N_EUlS1M_E_NS1_11comp_targetILNS1_3genE10ELNS1_11target_archE1200ELNS1_3gpuE4ELNS1_3repE0EEENS1_30default_config_static_selectorELNS0_4arch9wavefront6targetE0EEEvSZ_
                                        ; -- End function
	.set _ZN7rocprim17ROCPRIM_400000_NS6detail17trampoline_kernelINS0_13select_configILj256ELj13ELNS0_17block_load_methodE3ELS4_3ELS4_3ELNS0_20block_scan_algorithmE0ELj4294967295EEENS1_25partition_config_selectorILNS1_17partition_subalgoE4EjNS0_10empty_typeEbEEZZNS1_14partition_implILS8_4ELb0ES6_15HIP_vector_typeIjLj2EENS0_17counting_iteratorIjlEEPS9_SG_NS0_5tupleIJPjSI_NS0_16reverse_iteratorISI_EEEEENSH_IJSG_SG_SG_EEES9_SI_JZNS1_25segmented_radix_sort_implINS0_14default_configELb1EPKlPlSQ_SR_N2at6native12_GLOBAL__N_18offset_tEEE10hipError_tPvRmT1_PNSt15iterator_traitsISZ_E10value_typeET2_T3_PNS10_IS15_E10value_typeET4_jRbjT5_S1B_jjP12ihipStream_tbEUljE_ZNSN_ISO_Lb1ESQ_SR_SQ_SR_SV_EESW_SX_SY_SZ_S13_S14_S15_S18_S19_jS1A_jS1B_S1B_jjS1D_bEUljE0_EEESW_SX_SY_S15_S19_S1B_T6_T7_T9_mT8_S1D_bDpT10_ENKUlT_T0_E_clISt17integral_constantIbLb0EES1Q_IbLb1EEEEDaS1M_S1N_EUlS1M_E_NS1_11comp_targetILNS1_3genE10ELNS1_11target_archE1200ELNS1_3gpuE4ELNS1_3repE0EEENS1_30default_config_static_selectorELNS0_4arch9wavefront6targetE0EEEvSZ_.num_vgpr, 0
	.set _ZN7rocprim17ROCPRIM_400000_NS6detail17trampoline_kernelINS0_13select_configILj256ELj13ELNS0_17block_load_methodE3ELS4_3ELS4_3ELNS0_20block_scan_algorithmE0ELj4294967295EEENS1_25partition_config_selectorILNS1_17partition_subalgoE4EjNS0_10empty_typeEbEEZZNS1_14partition_implILS8_4ELb0ES6_15HIP_vector_typeIjLj2EENS0_17counting_iteratorIjlEEPS9_SG_NS0_5tupleIJPjSI_NS0_16reverse_iteratorISI_EEEEENSH_IJSG_SG_SG_EEES9_SI_JZNS1_25segmented_radix_sort_implINS0_14default_configELb1EPKlPlSQ_SR_N2at6native12_GLOBAL__N_18offset_tEEE10hipError_tPvRmT1_PNSt15iterator_traitsISZ_E10value_typeET2_T3_PNS10_IS15_E10value_typeET4_jRbjT5_S1B_jjP12ihipStream_tbEUljE_ZNSN_ISO_Lb1ESQ_SR_SQ_SR_SV_EESW_SX_SY_SZ_S13_S14_S15_S18_S19_jS1A_jS1B_S1B_jjS1D_bEUljE0_EEESW_SX_SY_S15_S19_S1B_T6_T7_T9_mT8_S1D_bDpT10_ENKUlT_T0_E_clISt17integral_constantIbLb0EES1Q_IbLb1EEEEDaS1M_S1N_EUlS1M_E_NS1_11comp_targetILNS1_3genE10ELNS1_11target_archE1200ELNS1_3gpuE4ELNS1_3repE0EEENS1_30default_config_static_selectorELNS0_4arch9wavefront6targetE0EEEvSZ_.num_agpr, 0
	.set _ZN7rocprim17ROCPRIM_400000_NS6detail17trampoline_kernelINS0_13select_configILj256ELj13ELNS0_17block_load_methodE3ELS4_3ELS4_3ELNS0_20block_scan_algorithmE0ELj4294967295EEENS1_25partition_config_selectorILNS1_17partition_subalgoE4EjNS0_10empty_typeEbEEZZNS1_14partition_implILS8_4ELb0ES6_15HIP_vector_typeIjLj2EENS0_17counting_iteratorIjlEEPS9_SG_NS0_5tupleIJPjSI_NS0_16reverse_iteratorISI_EEEEENSH_IJSG_SG_SG_EEES9_SI_JZNS1_25segmented_radix_sort_implINS0_14default_configELb1EPKlPlSQ_SR_N2at6native12_GLOBAL__N_18offset_tEEE10hipError_tPvRmT1_PNSt15iterator_traitsISZ_E10value_typeET2_T3_PNS10_IS15_E10value_typeET4_jRbjT5_S1B_jjP12ihipStream_tbEUljE_ZNSN_ISO_Lb1ESQ_SR_SQ_SR_SV_EESW_SX_SY_SZ_S13_S14_S15_S18_S19_jS1A_jS1B_S1B_jjS1D_bEUljE0_EEESW_SX_SY_S15_S19_S1B_T6_T7_T9_mT8_S1D_bDpT10_ENKUlT_T0_E_clISt17integral_constantIbLb0EES1Q_IbLb1EEEEDaS1M_S1N_EUlS1M_E_NS1_11comp_targetILNS1_3genE10ELNS1_11target_archE1200ELNS1_3gpuE4ELNS1_3repE0EEENS1_30default_config_static_selectorELNS0_4arch9wavefront6targetE0EEEvSZ_.numbered_sgpr, 0
	.set _ZN7rocprim17ROCPRIM_400000_NS6detail17trampoline_kernelINS0_13select_configILj256ELj13ELNS0_17block_load_methodE3ELS4_3ELS4_3ELNS0_20block_scan_algorithmE0ELj4294967295EEENS1_25partition_config_selectorILNS1_17partition_subalgoE4EjNS0_10empty_typeEbEEZZNS1_14partition_implILS8_4ELb0ES6_15HIP_vector_typeIjLj2EENS0_17counting_iteratorIjlEEPS9_SG_NS0_5tupleIJPjSI_NS0_16reverse_iteratorISI_EEEEENSH_IJSG_SG_SG_EEES9_SI_JZNS1_25segmented_radix_sort_implINS0_14default_configELb1EPKlPlSQ_SR_N2at6native12_GLOBAL__N_18offset_tEEE10hipError_tPvRmT1_PNSt15iterator_traitsISZ_E10value_typeET2_T3_PNS10_IS15_E10value_typeET4_jRbjT5_S1B_jjP12ihipStream_tbEUljE_ZNSN_ISO_Lb1ESQ_SR_SQ_SR_SV_EESW_SX_SY_SZ_S13_S14_S15_S18_S19_jS1A_jS1B_S1B_jjS1D_bEUljE0_EEESW_SX_SY_S15_S19_S1B_T6_T7_T9_mT8_S1D_bDpT10_ENKUlT_T0_E_clISt17integral_constantIbLb0EES1Q_IbLb1EEEEDaS1M_S1N_EUlS1M_E_NS1_11comp_targetILNS1_3genE10ELNS1_11target_archE1200ELNS1_3gpuE4ELNS1_3repE0EEENS1_30default_config_static_selectorELNS0_4arch9wavefront6targetE0EEEvSZ_.num_named_barrier, 0
	.set _ZN7rocprim17ROCPRIM_400000_NS6detail17trampoline_kernelINS0_13select_configILj256ELj13ELNS0_17block_load_methodE3ELS4_3ELS4_3ELNS0_20block_scan_algorithmE0ELj4294967295EEENS1_25partition_config_selectorILNS1_17partition_subalgoE4EjNS0_10empty_typeEbEEZZNS1_14partition_implILS8_4ELb0ES6_15HIP_vector_typeIjLj2EENS0_17counting_iteratorIjlEEPS9_SG_NS0_5tupleIJPjSI_NS0_16reverse_iteratorISI_EEEEENSH_IJSG_SG_SG_EEES9_SI_JZNS1_25segmented_radix_sort_implINS0_14default_configELb1EPKlPlSQ_SR_N2at6native12_GLOBAL__N_18offset_tEEE10hipError_tPvRmT1_PNSt15iterator_traitsISZ_E10value_typeET2_T3_PNS10_IS15_E10value_typeET4_jRbjT5_S1B_jjP12ihipStream_tbEUljE_ZNSN_ISO_Lb1ESQ_SR_SQ_SR_SV_EESW_SX_SY_SZ_S13_S14_S15_S18_S19_jS1A_jS1B_S1B_jjS1D_bEUljE0_EEESW_SX_SY_S15_S19_S1B_T6_T7_T9_mT8_S1D_bDpT10_ENKUlT_T0_E_clISt17integral_constantIbLb0EES1Q_IbLb1EEEEDaS1M_S1N_EUlS1M_E_NS1_11comp_targetILNS1_3genE10ELNS1_11target_archE1200ELNS1_3gpuE4ELNS1_3repE0EEENS1_30default_config_static_selectorELNS0_4arch9wavefront6targetE0EEEvSZ_.private_seg_size, 0
	.set _ZN7rocprim17ROCPRIM_400000_NS6detail17trampoline_kernelINS0_13select_configILj256ELj13ELNS0_17block_load_methodE3ELS4_3ELS4_3ELNS0_20block_scan_algorithmE0ELj4294967295EEENS1_25partition_config_selectorILNS1_17partition_subalgoE4EjNS0_10empty_typeEbEEZZNS1_14partition_implILS8_4ELb0ES6_15HIP_vector_typeIjLj2EENS0_17counting_iteratorIjlEEPS9_SG_NS0_5tupleIJPjSI_NS0_16reverse_iteratorISI_EEEEENSH_IJSG_SG_SG_EEES9_SI_JZNS1_25segmented_radix_sort_implINS0_14default_configELb1EPKlPlSQ_SR_N2at6native12_GLOBAL__N_18offset_tEEE10hipError_tPvRmT1_PNSt15iterator_traitsISZ_E10value_typeET2_T3_PNS10_IS15_E10value_typeET4_jRbjT5_S1B_jjP12ihipStream_tbEUljE_ZNSN_ISO_Lb1ESQ_SR_SQ_SR_SV_EESW_SX_SY_SZ_S13_S14_S15_S18_S19_jS1A_jS1B_S1B_jjS1D_bEUljE0_EEESW_SX_SY_S15_S19_S1B_T6_T7_T9_mT8_S1D_bDpT10_ENKUlT_T0_E_clISt17integral_constantIbLb0EES1Q_IbLb1EEEEDaS1M_S1N_EUlS1M_E_NS1_11comp_targetILNS1_3genE10ELNS1_11target_archE1200ELNS1_3gpuE4ELNS1_3repE0EEENS1_30default_config_static_selectorELNS0_4arch9wavefront6targetE0EEEvSZ_.uses_vcc, 0
	.set _ZN7rocprim17ROCPRIM_400000_NS6detail17trampoline_kernelINS0_13select_configILj256ELj13ELNS0_17block_load_methodE3ELS4_3ELS4_3ELNS0_20block_scan_algorithmE0ELj4294967295EEENS1_25partition_config_selectorILNS1_17partition_subalgoE4EjNS0_10empty_typeEbEEZZNS1_14partition_implILS8_4ELb0ES6_15HIP_vector_typeIjLj2EENS0_17counting_iteratorIjlEEPS9_SG_NS0_5tupleIJPjSI_NS0_16reverse_iteratorISI_EEEEENSH_IJSG_SG_SG_EEES9_SI_JZNS1_25segmented_radix_sort_implINS0_14default_configELb1EPKlPlSQ_SR_N2at6native12_GLOBAL__N_18offset_tEEE10hipError_tPvRmT1_PNSt15iterator_traitsISZ_E10value_typeET2_T3_PNS10_IS15_E10value_typeET4_jRbjT5_S1B_jjP12ihipStream_tbEUljE_ZNSN_ISO_Lb1ESQ_SR_SQ_SR_SV_EESW_SX_SY_SZ_S13_S14_S15_S18_S19_jS1A_jS1B_S1B_jjS1D_bEUljE0_EEESW_SX_SY_S15_S19_S1B_T6_T7_T9_mT8_S1D_bDpT10_ENKUlT_T0_E_clISt17integral_constantIbLb0EES1Q_IbLb1EEEEDaS1M_S1N_EUlS1M_E_NS1_11comp_targetILNS1_3genE10ELNS1_11target_archE1200ELNS1_3gpuE4ELNS1_3repE0EEENS1_30default_config_static_selectorELNS0_4arch9wavefront6targetE0EEEvSZ_.uses_flat_scratch, 0
	.set _ZN7rocprim17ROCPRIM_400000_NS6detail17trampoline_kernelINS0_13select_configILj256ELj13ELNS0_17block_load_methodE3ELS4_3ELS4_3ELNS0_20block_scan_algorithmE0ELj4294967295EEENS1_25partition_config_selectorILNS1_17partition_subalgoE4EjNS0_10empty_typeEbEEZZNS1_14partition_implILS8_4ELb0ES6_15HIP_vector_typeIjLj2EENS0_17counting_iteratorIjlEEPS9_SG_NS0_5tupleIJPjSI_NS0_16reverse_iteratorISI_EEEEENSH_IJSG_SG_SG_EEES9_SI_JZNS1_25segmented_radix_sort_implINS0_14default_configELb1EPKlPlSQ_SR_N2at6native12_GLOBAL__N_18offset_tEEE10hipError_tPvRmT1_PNSt15iterator_traitsISZ_E10value_typeET2_T3_PNS10_IS15_E10value_typeET4_jRbjT5_S1B_jjP12ihipStream_tbEUljE_ZNSN_ISO_Lb1ESQ_SR_SQ_SR_SV_EESW_SX_SY_SZ_S13_S14_S15_S18_S19_jS1A_jS1B_S1B_jjS1D_bEUljE0_EEESW_SX_SY_S15_S19_S1B_T6_T7_T9_mT8_S1D_bDpT10_ENKUlT_T0_E_clISt17integral_constantIbLb0EES1Q_IbLb1EEEEDaS1M_S1N_EUlS1M_E_NS1_11comp_targetILNS1_3genE10ELNS1_11target_archE1200ELNS1_3gpuE4ELNS1_3repE0EEENS1_30default_config_static_selectorELNS0_4arch9wavefront6targetE0EEEvSZ_.has_dyn_sized_stack, 0
	.set _ZN7rocprim17ROCPRIM_400000_NS6detail17trampoline_kernelINS0_13select_configILj256ELj13ELNS0_17block_load_methodE3ELS4_3ELS4_3ELNS0_20block_scan_algorithmE0ELj4294967295EEENS1_25partition_config_selectorILNS1_17partition_subalgoE4EjNS0_10empty_typeEbEEZZNS1_14partition_implILS8_4ELb0ES6_15HIP_vector_typeIjLj2EENS0_17counting_iteratorIjlEEPS9_SG_NS0_5tupleIJPjSI_NS0_16reverse_iteratorISI_EEEEENSH_IJSG_SG_SG_EEES9_SI_JZNS1_25segmented_radix_sort_implINS0_14default_configELb1EPKlPlSQ_SR_N2at6native12_GLOBAL__N_18offset_tEEE10hipError_tPvRmT1_PNSt15iterator_traitsISZ_E10value_typeET2_T3_PNS10_IS15_E10value_typeET4_jRbjT5_S1B_jjP12ihipStream_tbEUljE_ZNSN_ISO_Lb1ESQ_SR_SQ_SR_SV_EESW_SX_SY_SZ_S13_S14_S15_S18_S19_jS1A_jS1B_S1B_jjS1D_bEUljE0_EEESW_SX_SY_S15_S19_S1B_T6_T7_T9_mT8_S1D_bDpT10_ENKUlT_T0_E_clISt17integral_constantIbLb0EES1Q_IbLb1EEEEDaS1M_S1N_EUlS1M_E_NS1_11comp_targetILNS1_3genE10ELNS1_11target_archE1200ELNS1_3gpuE4ELNS1_3repE0EEENS1_30default_config_static_selectorELNS0_4arch9wavefront6targetE0EEEvSZ_.has_recursion, 0
	.set _ZN7rocprim17ROCPRIM_400000_NS6detail17trampoline_kernelINS0_13select_configILj256ELj13ELNS0_17block_load_methodE3ELS4_3ELS4_3ELNS0_20block_scan_algorithmE0ELj4294967295EEENS1_25partition_config_selectorILNS1_17partition_subalgoE4EjNS0_10empty_typeEbEEZZNS1_14partition_implILS8_4ELb0ES6_15HIP_vector_typeIjLj2EENS0_17counting_iteratorIjlEEPS9_SG_NS0_5tupleIJPjSI_NS0_16reverse_iteratorISI_EEEEENSH_IJSG_SG_SG_EEES9_SI_JZNS1_25segmented_radix_sort_implINS0_14default_configELb1EPKlPlSQ_SR_N2at6native12_GLOBAL__N_18offset_tEEE10hipError_tPvRmT1_PNSt15iterator_traitsISZ_E10value_typeET2_T3_PNS10_IS15_E10value_typeET4_jRbjT5_S1B_jjP12ihipStream_tbEUljE_ZNSN_ISO_Lb1ESQ_SR_SQ_SR_SV_EESW_SX_SY_SZ_S13_S14_S15_S18_S19_jS1A_jS1B_S1B_jjS1D_bEUljE0_EEESW_SX_SY_S15_S19_S1B_T6_T7_T9_mT8_S1D_bDpT10_ENKUlT_T0_E_clISt17integral_constantIbLb0EES1Q_IbLb1EEEEDaS1M_S1N_EUlS1M_E_NS1_11comp_targetILNS1_3genE10ELNS1_11target_archE1200ELNS1_3gpuE4ELNS1_3repE0EEENS1_30default_config_static_selectorELNS0_4arch9wavefront6targetE0EEEvSZ_.has_indirect_call, 0
	.section	.AMDGPU.csdata,"",@progbits
; Kernel info:
; codeLenInByte = 0
; TotalNumSgprs: 0
; NumVgprs: 0
; ScratchSize: 0
; MemoryBound: 0
; FloatMode: 240
; IeeeMode: 1
; LDSByteSize: 0 bytes/workgroup (compile time only)
; SGPRBlocks: 0
; VGPRBlocks: 0
; NumSGPRsForWavesPerEU: 1
; NumVGPRsForWavesPerEU: 1
; Occupancy: 16
; WaveLimiterHint : 0
; COMPUTE_PGM_RSRC2:SCRATCH_EN: 0
; COMPUTE_PGM_RSRC2:USER_SGPR: 6
; COMPUTE_PGM_RSRC2:TRAP_HANDLER: 0
; COMPUTE_PGM_RSRC2:TGID_X_EN: 1
; COMPUTE_PGM_RSRC2:TGID_Y_EN: 0
; COMPUTE_PGM_RSRC2:TGID_Z_EN: 0
; COMPUTE_PGM_RSRC2:TIDIG_COMP_CNT: 0
	.section	.text._ZN7rocprim17ROCPRIM_400000_NS6detail17trampoline_kernelINS0_13select_configILj256ELj13ELNS0_17block_load_methodE3ELS4_3ELS4_3ELNS0_20block_scan_algorithmE0ELj4294967295EEENS1_25partition_config_selectorILNS1_17partition_subalgoE4EjNS0_10empty_typeEbEEZZNS1_14partition_implILS8_4ELb0ES6_15HIP_vector_typeIjLj2EENS0_17counting_iteratorIjlEEPS9_SG_NS0_5tupleIJPjSI_NS0_16reverse_iteratorISI_EEEEENSH_IJSG_SG_SG_EEES9_SI_JZNS1_25segmented_radix_sort_implINS0_14default_configELb1EPKlPlSQ_SR_N2at6native12_GLOBAL__N_18offset_tEEE10hipError_tPvRmT1_PNSt15iterator_traitsISZ_E10value_typeET2_T3_PNS10_IS15_E10value_typeET4_jRbjT5_S1B_jjP12ihipStream_tbEUljE_ZNSN_ISO_Lb1ESQ_SR_SQ_SR_SV_EESW_SX_SY_SZ_S13_S14_S15_S18_S19_jS1A_jS1B_S1B_jjS1D_bEUljE0_EEESW_SX_SY_S15_S19_S1B_T6_T7_T9_mT8_S1D_bDpT10_ENKUlT_T0_E_clISt17integral_constantIbLb0EES1Q_IbLb1EEEEDaS1M_S1N_EUlS1M_E_NS1_11comp_targetILNS1_3genE9ELNS1_11target_archE1100ELNS1_3gpuE3ELNS1_3repE0EEENS1_30default_config_static_selectorELNS0_4arch9wavefront6targetE0EEEvSZ_,"axG",@progbits,_ZN7rocprim17ROCPRIM_400000_NS6detail17trampoline_kernelINS0_13select_configILj256ELj13ELNS0_17block_load_methodE3ELS4_3ELS4_3ELNS0_20block_scan_algorithmE0ELj4294967295EEENS1_25partition_config_selectorILNS1_17partition_subalgoE4EjNS0_10empty_typeEbEEZZNS1_14partition_implILS8_4ELb0ES6_15HIP_vector_typeIjLj2EENS0_17counting_iteratorIjlEEPS9_SG_NS0_5tupleIJPjSI_NS0_16reverse_iteratorISI_EEEEENSH_IJSG_SG_SG_EEES9_SI_JZNS1_25segmented_radix_sort_implINS0_14default_configELb1EPKlPlSQ_SR_N2at6native12_GLOBAL__N_18offset_tEEE10hipError_tPvRmT1_PNSt15iterator_traitsISZ_E10value_typeET2_T3_PNS10_IS15_E10value_typeET4_jRbjT5_S1B_jjP12ihipStream_tbEUljE_ZNSN_ISO_Lb1ESQ_SR_SQ_SR_SV_EESW_SX_SY_SZ_S13_S14_S15_S18_S19_jS1A_jS1B_S1B_jjS1D_bEUljE0_EEESW_SX_SY_S15_S19_S1B_T6_T7_T9_mT8_S1D_bDpT10_ENKUlT_T0_E_clISt17integral_constantIbLb0EES1Q_IbLb1EEEEDaS1M_S1N_EUlS1M_E_NS1_11comp_targetILNS1_3genE9ELNS1_11target_archE1100ELNS1_3gpuE3ELNS1_3repE0EEENS1_30default_config_static_selectorELNS0_4arch9wavefront6targetE0EEEvSZ_,comdat
	.globl	_ZN7rocprim17ROCPRIM_400000_NS6detail17trampoline_kernelINS0_13select_configILj256ELj13ELNS0_17block_load_methodE3ELS4_3ELS4_3ELNS0_20block_scan_algorithmE0ELj4294967295EEENS1_25partition_config_selectorILNS1_17partition_subalgoE4EjNS0_10empty_typeEbEEZZNS1_14partition_implILS8_4ELb0ES6_15HIP_vector_typeIjLj2EENS0_17counting_iteratorIjlEEPS9_SG_NS0_5tupleIJPjSI_NS0_16reverse_iteratorISI_EEEEENSH_IJSG_SG_SG_EEES9_SI_JZNS1_25segmented_radix_sort_implINS0_14default_configELb1EPKlPlSQ_SR_N2at6native12_GLOBAL__N_18offset_tEEE10hipError_tPvRmT1_PNSt15iterator_traitsISZ_E10value_typeET2_T3_PNS10_IS15_E10value_typeET4_jRbjT5_S1B_jjP12ihipStream_tbEUljE_ZNSN_ISO_Lb1ESQ_SR_SQ_SR_SV_EESW_SX_SY_SZ_S13_S14_S15_S18_S19_jS1A_jS1B_S1B_jjS1D_bEUljE0_EEESW_SX_SY_S15_S19_S1B_T6_T7_T9_mT8_S1D_bDpT10_ENKUlT_T0_E_clISt17integral_constantIbLb0EES1Q_IbLb1EEEEDaS1M_S1N_EUlS1M_E_NS1_11comp_targetILNS1_3genE9ELNS1_11target_archE1100ELNS1_3gpuE3ELNS1_3repE0EEENS1_30default_config_static_selectorELNS0_4arch9wavefront6targetE0EEEvSZ_ ; -- Begin function _ZN7rocprim17ROCPRIM_400000_NS6detail17trampoline_kernelINS0_13select_configILj256ELj13ELNS0_17block_load_methodE3ELS4_3ELS4_3ELNS0_20block_scan_algorithmE0ELj4294967295EEENS1_25partition_config_selectorILNS1_17partition_subalgoE4EjNS0_10empty_typeEbEEZZNS1_14partition_implILS8_4ELb0ES6_15HIP_vector_typeIjLj2EENS0_17counting_iteratorIjlEEPS9_SG_NS0_5tupleIJPjSI_NS0_16reverse_iteratorISI_EEEEENSH_IJSG_SG_SG_EEES9_SI_JZNS1_25segmented_radix_sort_implINS0_14default_configELb1EPKlPlSQ_SR_N2at6native12_GLOBAL__N_18offset_tEEE10hipError_tPvRmT1_PNSt15iterator_traitsISZ_E10value_typeET2_T3_PNS10_IS15_E10value_typeET4_jRbjT5_S1B_jjP12ihipStream_tbEUljE_ZNSN_ISO_Lb1ESQ_SR_SQ_SR_SV_EESW_SX_SY_SZ_S13_S14_S15_S18_S19_jS1A_jS1B_S1B_jjS1D_bEUljE0_EEESW_SX_SY_S15_S19_S1B_T6_T7_T9_mT8_S1D_bDpT10_ENKUlT_T0_E_clISt17integral_constantIbLb0EES1Q_IbLb1EEEEDaS1M_S1N_EUlS1M_E_NS1_11comp_targetILNS1_3genE9ELNS1_11target_archE1100ELNS1_3gpuE3ELNS1_3repE0EEENS1_30default_config_static_selectorELNS0_4arch9wavefront6targetE0EEEvSZ_
	.p2align	8
	.type	_ZN7rocprim17ROCPRIM_400000_NS6detail17trampoline_kernelINS0_13select_configILj256ELj13ELNS0_17block_load_methodE3ELS4_3ELS4_3ELNS0_20block_scan_algorithmE0ELj4294967295EEENS1_25partition_config_selectorILNS1_17partition_subalgoE4EjNS0_10empty_typeEbEEZZNS1_14partition_implILS8_4ELb0ES6_15HIP_vector_typeIjLj2EENS0_17counting_iteratorIjlEEPS9_SG_NS0_5tupleIJPjSI_NS0_16reverse_iteratorISI_EEEEENSH_IJSG_SG_SG_EEES9_SI_JZNS1_25segmented_radix_sort_implINS0_14default_configELb1EPKlPlSQ_SR_N2at6native12_GLOBAL__N_18offset_tEEE10hipError_tPvRmT1_PNSt15iterator_traitsISZ_E10value_typeET2_T3_PNS10_IS15_E10value_typeET4_jRbjT5_S1B_jjP12ihipStream_tbEUljE_ZNSN_ISO_Lb1ESQ_SR_SQ_SR_SV_EESW_SX_SY_SZ_S13_S14_S15_S18_S19_jS1A_jS1B_S1B_jjS1D_bEUljE0_EEESW_SX_SY_S15_S19_S1B_T6_T7_T9_mT8_S1D_bDpT10_ENKUlT_T0_E_clISt17integral_constantIbLb0EES1Q_IbLb1EEEEDaS1M_S1N_EUlS1M_E_NS1_11comp_targetILNS1_3genE9ELNS1_11target_archE1100ELNS1_3gpuE3ELNS1_3repE0EEENS1_30default_config_static_selectorELNS0_4arch9wavefront6targetE0EEEvSZ_,@function
_ZN7rocprim17ROCPRIM_400000_NS6detail17trampoline_kernelINS0_13select_configILj256ELj13ELNS0_17block_load_methodE3ELS4_3ELS4_3ELNS0_20block_scan_algorithmE0ELj4294967295EEENS1_25partition_config_selectorILNS1_17partition_subalgoE4EjNS0_10empty_typeEbEEZZNS1_14partition_implILS8_4ELb0ES6_15HIP_vector_typeIjLj2EENS0_17counting_iteratorIjlEEPS9_SG_NS0_5tupleIJPjSI_NS0_16reverse_iteratorISI_EEEEENSH_IJSG_SG_SG_EEES9_SI_JZNS1_25segmented_radix_sort_implINS0_14default_configELb1EPKlPlSQ_SR_N2at6native12_GLOBAL__N_18offset_tEEE10hipError_tPvRmT1_PNSt15iterator_traitsISZ_E10value_typeET2_T3_PNS10_IS15_E10value_typeET4_jRbjT5_S1B_jjP12ihipStream_tbEUljE_ZNSN_ISO_Lb1ESQ_SR_SQ_SR_SV_EESW_SX_SY_SZ_S13_S14_S15_S18_S19_jS1A_jS1B_S1B_jjS1D_bEUljE0_EEESW_SX_SY_S15_S19_S1B_T6_T7_T9_mT8_S1D_bDpT10_ENKUlT_T0_E_clISt17integral_constantIbLb0EES1Q_IbLb1EEEEDaS1M_S1N_EUlS1M_E_NS1_11comp_targetILNS1_3genE9ELNS1_11target_archE1100ELNS1_3gpuE3ELNS1_3repE0EEENS1_30default_config_static_selectorELNS0_4arch9wavefront6targetE0EEEvSZ_: ; @_ZN7rocprim17ROCPRIM_400000_NS6detail17trampoline_kernelINS0_13select_configILj256ELj13ELNS0_17block_load_methodE3ELS4_3ELS4_3ELNS0_20block_scan_algorithmE0ELj4294967295EEENS1_25partition_config_selectorILNS1_17partition_subalgoE4EjNS0_10empty_typeEbEEZZNS1_14partition_implILS8_4ELb0ES6_15HIP_vector_typeIjLj2EENS0_17counting_iteratorIjlEEPS9_SG_NS0_5tupleIJPjSI_NS0_16reverse_iteratorISI_EEEEENSH_IJSG_SG_SG_EEES9_SI_JZNS1_25segmented_radix_sort_implINS0_14default_configELb1EPKlPlSQ_SR_N2at6native12_GLOBAL__N_18offset_tEEE10hipError_tPvRmT1_PNSt15iterator_traitsISZ_E10value_typeET2_T3_PNS10_IS15_E10value_typeET4_jRbjT5_S1B_jjP12ihipStream_tbEUljE_ZNSN_ISO_Lb1ESQ_SR_SQ_SR_SV_EESW_SX_SY_SZ_S13_S14_S15_S18_S19_jS1A_jS1B_S1B_jjS1D_bEUljE0_EEESW_SX_SY_S15_S19_S1B_T6_T7_T9_mT8_S1D_bDpT10_ENKUlT_T0_E_clISt17integral_constantIbLb0EES1Q_IbLb1EEEEDaS1M_S1N_EUlS1M_E_NS1_11comp_targetILNS1_3genE9ELNS1_11target_archE1100ELNS1_3gpuE3ELNS1_3repE0EEENS1_30default_config_static_selectorELNS0_4arch9wavefront6targetE0EEEvSZ_
; %bb.0:
	.section	.rodata,"a",@progbits
	.p2align	6, 0x0
	.amdhsa_kernel _ZN7rocprim17ROCPRIM_400000_NS6detail17trampoline_kernelINS0_13select_configILj256ELj13ELNS0_17block_load_methodE3ELS4_3ELS4_3ELNS0_20block_scan_algorithmE0ELj4294967295EEENS1_25partition_config_selectorILNS1_17partition_subalgoE4EjNS0_10empty_typeEbEEZZNS1_14partition_implILS8_4ELb0ES6_15HIP_vector_typeIjLj2EENS0_17counting_iteratorIjlEEPS9_SG_NS0_5tupleIJPjSI_NS0_16reverse_iteratorISI_EEEEENSH_IJSG_SG_SG_EEES9_SI_JZNS1_25segmented_radix_sort_implINS0_14default_configELb1EPKlPlSQ_SR_N2at6native12_GLOBAL__N_18offset_tEEE10hipError_tPvRmT1_PNSt15iterator_traitsISZ_E10value_typeET2_T3_PNS10_IS15_E10value_typeET4_jRbjT5_S1B_jjP12ihipStream_tbEUljE_ZNSN_ISO_Lb1ESQ_SR_SQ_SR_SV_EESW_SX_SY_SZ_S13_S14_S15_S18_S19_jS1A_jS1B_S1B_jjS1D_bEUljE0_EEESW_SX_SY_S15_S19_S1B_T6_T7_T9_mT8_S1D_bDpT10_ENKUlT_T0_E_clISt17integral_constantIbLb0EES1Q_IbLb1EEEEDaS1M_S1N_EUlS1M_E_NS1_11comp_targetILNS1_3genE9ELNS1_11target_archE1100ELNS1_3gpuE3ELNS1_3repE0EEENS1_30default_config_static_selectorELNS0_4arch9wavefront6targetE0EEEvSZ_
		.amdhsa_group_segment_fixed_size 0
		.amdhsa_private_segment_fixed_size 0
		.amdhsa_kernarg_size 184
		.amdhsa_user_sgpr_count 6
		.amdhsa_user_sgpr_private_segment_buffer 1
		.amdhsa_user_sgpr_dispatch_ptr 0
		.amdhsa_user_sgpr_queue_ptr 0
		.amdhsa_user_sgpr_kernarg_segment_ptr 1
		.amdhsa_user_sgpr_dispatch_id 0
		.amdhsa_user_sgpr_flat_scratch_init 0
		.amdhsa_user_sgpr_private_segment_size 0
		.amdhsa_wavefront_size32 1
		.amdhsa_uses_dynamic_stack 0
		.amdhsa_system_sgpr_private_segment_wavefront_offset 0
		.amdhsa_system_sgpr_workgroup_id_x 1
		.amdhsa_system_sgpr_workgroup_id_y 0
		.amdhsa_system_sgpr_workgroup_id_z 0
		.amdhsa_system_sgpr_workgroup_info 0
		.amdhsa_system_vgpr_workitem_id 0
		.amdhsa_next_free_vgpr 1
		.amdhsa_next_free_sgpr 1
		.amdhsa_reserve_vcc 0
		.amdhsa_reserve_flat_scratch 0
		.amdhsa_float_round_mode_32 0
		.amdhsa_float_round_mode_16_64 0
		.amdhsa_float_denorm_mode_32 3
		.amdhsa_float_denorm_mode_16_64 3
		.amdhsa_dx10_clamp 1
		.amdhsa_ieee_mode 1
		.amdhsa_fp16_overflow 0
		.amdhsa_workgroup_processor_mode 1
		.amdhsa_memory_ordered 1
		.amdhsa_forward_progress 1
		.amdhsa_shared_vgpr_count 0
		.amdhsa_exception_fp_ieee_invalid_op 0
		.amdhsa_exception_fp_denorm_src 0
		.amdhsa_exception_fp_ieee_div_zero 0
		.amdhsa_exception_fp_ieee_overflow 0
		.amdhsa_exception_fp_ieee_underflow 0
		.amdhsa_exception_fp_ieee_inexact 0
		.amdhsa_exception_int_div_zero 0
	.end_amdhsa_kernel
	.section	.text._ZN7rocprim17ROCPRIM_400000_NS6detail17trampoline_kernelINS0_13select_configILj256ELj13ELNS0_17block_load_methodE3ELS4_3ELS4_3ELNS0_20block_scan_algorithmE0ELj4294967295EEENS1_25partition_config_selectorILNS1_17partition_subalgoE4EjNS0_10empty_typeEbEEZZNS1_14partition_implILS8_4ELb0ES6_15HIP_vector_typeIjLj2EENS0_17counting_iteratorIjlEEPS9_SG_NS0_5tupleIJPjSI_NS0_16reverse_iteratorISI_EEEEENSH_IJSG_SG_SG_EEES9_SI_JZNS1_25segmented_radix_sort_implINS0_14default_configELb1EPKlPlSQ_SR_N2at6native12_GLOBAL__N_18offset_tEEE10hipError_tPvRmT1_PNSt15iterator_traitsISZ_E10value_typeET2_T3_PNS10_IS15_E10value_typeET4_jRbjT5_S1B_jjP12ihipStream_tbEUljE_ZNSN_ISO_Lb1ESQ_SR_SQ_SR_SV_EESW_SX_SY_SZ_S13_S14_S15_S18_S19_jS1A_jS1B_S1B_jjS1D_bEUljE0_EEESW_SX_SY_S15_S19_S1B_T6_T7_T9_mT8_S1D_bDpT10_ENKUlT_T0_E_clISt17integral_constantIbLb0EES1Q_IbLb1EEEEDaS1M_S1N_EUlS1M_E_NS1_11comp_targetILNS1_3genE9ELNS1_11target_archE1100ELNS1_3gpuE3ELNS1_3repE0EEENS1_30default_config_static_selectorELNS0_4arch9wavefront6targetE0EEEvSZ_,"axG",@progbits,_ZN7rocprim17ROCPRIM_400000_NS6detail17trampoline_kernelINS0_13select_configILj256ELj13ELNS0_17block_load_methodE3ELS4_3ELS4_3ELNS0_20block_scan_algorithmE0ELj4294967295EEENS1_25partition_config_selectorILNS1_17partition_subalgoE4EjNS0_10empty_typeEbEEZZNS1_14partition_implILS8_4ELb0ES6_15HIP_vector_typeIjLj2EENS0_17counting_iteratorIjlEEPS9_SG_NS0_5tupleIJPjSI_NS0_16reverse_iteratorISI_EEEEENSH_IJSG_SG_SG_EEES9_SI_JZNS1_25segmented_radix_sort_implINS0_14default_configELb1EPKlPlSQ_SR_N2at6native12_GLOBAL__N_18offset_tEEE10hipError_tPvRmT1_PNSt15iterator_traitsISZ_E10value_typeET2_T3_PNS10_IS15_E10value_typeET4_jRbjT5_S1B_jjP12ihipStream_tbEUljE_ZNSN_ISO_Lb1ESQ_SR_SQ_SR_SV_EESW_SX_SY_SZ_S13_S14_S15_S18_S19_jS1A_jS1B_S1B_jjS1D_bEUljE0_EEESW_SX_SY_S15_S19_S1B_T6_T7_T9_mT8_S1D_bDpT10_ENKUlT_T0_E_clISt17integral_constantIbLb0EES1Q_IbLb1EEEEDaS1M_S1N_EUlS1M_E_NS1_11comp_targetILNS1_3genE9ELNS1_11target_archE1100ELNS1_3gpuE3ELNS1_3repE0EEENS1_30default_config_static_selectorELNS0_4arch9wavefront6targetE0EEEvSZ_,comdat
.Lfunc_end664:
	.size	_ZN7rocprim17ROCPRIM_400000_NS6detail17trampoline_kernelINS0_13select_configILj256ELj13ELNS0_17block_load_methodE3ELS4_3ELS4_3ELNS0_20block_scan_algorithmE0ELj4294967295EEENS1_25partition_config_selectorILNS1_17partition_subalgoE4EjNS0_10empty_typeEbEEZZNS1_14partition_implILS8_4ELb0ES6_15HIP_vector_typeIjLj2EENS0_17counting_iteratorIjlEEPS9_SG_NS0_5tupleIJPjSI_NS0_16reverse_iteratorISI_EEEEENSH_IJSG_SG_SG_EEES9_SI_JZNS1_25segmented_radix_sort_implINS0_14default_configELb1EPKlPlSQ_SR_N2at6native12_GLOBAL__N_18offset_tEEE10hipError_tPvRmT1_PNSt15iterator_traitsISZ_E10value_typeET2_T3_PNS10_IS15_E10value_typeET4_jRbjT5_S1B_jjP12ihipStream_tbEUljE_ZNSN_ISO_Lb1ESQ_SR_SQ_SR_SV_EESW_SX_SY_SZ_S13_S14_S15_S18_S19_jS1A_jS1B_S1B_jjS1D_bEUljE0_EEESW_SX_SY_S15_S19_S1B_T6_T7_T9_mT8_S1D_bDpT10_ENKUlT_T0_E_clISt17integral_constantIbLb0EES1Q_IbLb1EEEEDaS1M_S1N_EUlS1M_E_NS1_11comp_targetILNS1_3genE9ELNS1_11target_archE1100ELNS1_3gpuE3ELNS1_3repE0EEENS1_30default_config_static_selectorELNS0_4arch9wavefront6targetE0EEEvSZ_, .Lfunc_end664-_ZN7rocprim17ROCPRIM_400000_NS6detail17trampoline_kernelINS0_13select_configILj256ELj13ELNS0_17block_load_methodE3ELS4_3ELS4_3ELNS0_20block_scan_algorithmE0ELj4294967295EEENS1_25partition_config_selectorILNS1_17partition_subalgoE4EjNS0_10empty_typeEbEEZZNS1_14partition_implILS8_4ELb0ES6_15HIP_vector_typeIjLj2EENS0_17counting_iteratorIjlEEPS9_SG_NS0_5tupleIJPjSI_NS0_16reverse_iteratorISI_EEEEENSH_IJSG_SG_SG_EEES9_SI_JZNS1_25segmented_radix_sort_implINS0_14default_configELb1EPKlPlSQ_SR_N2at6native12_GLOBAL__N_18offset_tEEE10hipError_tPvRmT1_PNSt15iterator_traitsISZ_E10value_typeET2_T3_PNS10_IS15_E10value_typeET4_jRbjT5_S1B_jjP12ihipStream_tbEUljE_ZNSN_ISO_Lb1ESQ_SR_SQ_SR_SV_EESW_SX_SY_SZ_S13_S14_S15_S18_S19_jS1A_jS1B_S1B_jjS1D_bEUljE0_EEESW_SX_SY_S15_S19_S1B_T6_T7_T9_mT8_S1D_bDpT10_ENKUlT_T0_E_clISt17integral_constantIbLb0EES1Q_IbLb1EEEEDaS1M_S1N_EUlS1M_E_NS1_11comp_targetILNS1_3genE9ELNS1_11target_archE1100ELNS1_3gpuE3ELNS1_3repE0EEENS1_30default_config_static_selectorELNS0_4arch9wavefront6targetE0EEEvSZ_
                                        ; -- End function
	.set _ZN7rocprim17ROCPRIM_400000_NS6detail17trampoline_kernelINS0_13select_configILj256ELj13ELNS0_17block_load_methodE3ELS4_3ELS4_3ELNS0_20block_scan_algorithmE0ELj4294967295EEENS1_25partition_config_selectorILNS1_17partition_subalgoE4EjNS0_10empty_typeEbEEZZNS1_14partition_implILS8_4ELb0ES6_15HIP_vector_typeIjLj2EENS0_17counting_iteratorIjlEEPS9_SG_NS0_5tupleIJPjSI_NS0_16reverse_iteratorISI_EEEEENSH_IJSG_SG_SG_EEES9_SI_JZNS1_25segmented_radix_sort_implINS0_14default_configELb1EPKlPlSQ_SR_N2at6native12_GLOBAL__N_18offset_tEEE10hipError_tPvRmT1_PNSt15iterator_traitsISZ_E10value_typeET2_T3_PNS10_IS15_E10value_typeET4_jRbjT5_S1B_jjP12ihipStream_tbEUljE_ZNSN_ISO_Lb1ESQ_SR_SQ_SR_SV_EESW_SX_SY_SZ_S13_S14_S15_S18_S19_jS1A_jS1B_S1B_jjS1D_bEUljE0_EEESW_SX_SY_S15_S19_S1B_T6_T7_T9_mT8_S1D_bDpT10_ENKUlT_T0_E_clISt17integral_constantIbLb0EES1Q_IbLb1EEEEDaS1M_S1N_EUlS1M_E_NS1_11comp_targetILNS1_3genE9ELNS1_11target_archE1100ELNS1_3gpuE3ELNS1_3repE0EEENS1_30default_config_static_selectorELNS0_4arch9wavefront6targetE0EEEvSZ_.num_vgpr, 0
	.set _ZN7rocprim17ROCPRIM_400000_NS6detail17trampoline_kernelINS0_13select_configILj256ELj13ELNS0_17block_load_methodE3ELS4_3ELS4_3ELNS0_20block_scan_algorithmE0ELj4294967295EEENS1_25partition_config_selectorILNS1_17partition_subalgoE4EjNS0_10empty_typeEbEEZZNS1_14partition_implILS8_4ELb0ES6_15HIP_vector_typeIjLj2EENS0_17counting_iteratorIjlEEPS9_SG_NS0_5tupleIJPjSI_NS0_16reverse_iteratorISI_EEEEENSH_IJSG_SG_SG_EEES9_SI_JZNS1_25segmented_radix_sort_implINS0_14default_configELb1EPKlPlSQ_SR_N2at6native12_GLOBAL__N_18offset_tEEE10hipError_tPvRmT1_PNSt15iterator_traitsISZ_E10value_typeET2_T3_PNS10_IS15_E10value_typeET4_jRbjT5_S1B_jjP12ihipStream_tbEUljE_ZNSN_ISO_Lb1ESQ_SR_SQ_SR_SV_EESW_SX_SY_SZ_S13_S14_S15_S18_S19_jS1A_jS1B_S1B_jjS1D_bEUljE0_EEESW_SX_SY_S15_S19_S1B_T6_T7_T9_mT8_S1D_bDpT10_ENKUlT_T0_E_clISt17integral_constantIbLb0EES1Q_IbLb1EEEEDaS1M_S1N_EUlS1M_E_NS1_11comp_targetILNS1_3genE9ELNS1_11target_archE1100ELNS1_3gpuE3ELNS1_3repE0EEENS1_30default_config_static_selectorELNS0_4arch9wavefront6targetE0EEEvSZ_.num_agpr, 0
	.set _ZN7rocprim17ROCPRIM_400000_NS6detail17trampoline_kernelINS0_13select_configILj256ELj13ELNS0_17block_load_methodE3ELS4_3ELS4_3ELNS0_20block_scan_algorithmE0ELj4294967295EEENS1_25partition_config_selectorILNS1_17partition_subalgoE4EjNS0_10empty_typeEbEEZZNS1_14partition_implILS8_4ELb0ES6_15HIP_vector_typeIjLj2EENS0_17counting_iteratorIjlEEPS9_SG_NS0_5tupleIJPjSI_NS0_16reverse_iteratorISI_EEEEENSH_IJSG_SG_SG_EEES9_SI_JZNS1_25segmented_radix_sort_implINS0_14default_configELb1EPKlPlSQ_SR_N2at6native12_GLOBAL__N_18offset_tEEE10hipError_tPvRmT1_PNSt15iterator_traitsISZ_E10value_typeET2_T3_PNS10_IS15_E10value_typeET4_jRbjT5_S1B_jjP12ihipStream_tbEUljE_ZNSN_ISO_Lb1ESQ_SR_SQ_SR_SV_EESW_SX_SY_SZ_S13_S14_S15_S18_S19_jS1A_jS1B_S1B_jjS1D_bEUljE0_EEESW_SX_SY_S15_S19_S1B_T6_T7_T9_mT8_S1D_bDpT10_ENKUlT_T0_E_clISt17integral_constantIbLb0EES1Q_IbLb1EEEEDaS1M_S1N_EUlS1M_E_NS1_11comp_targetILNS1_3genE9ELNS1_11target_archE1100ELNS1_3gpuE3ELNS1_3repE0EEENS1_30default_config_static_selectorELNS0_4arch9wavefront6targetE0EEEvSZ_.numbered_sgpr, 0
	.set _ZN7rocprim17ROCPRIM_400000_NS6detail17trampoline_kernelINS0_13select_configILj256ELj13ELNS0_17block_load_methodE3ELS4_3ELS4_3ELNS0_20block_scan_algorithmE0ELj4294967295EEENS1_25partition_config_selectorILNS1_17partition_subalgoE4EjNS0_10empty_typeEbEEZZNS1_14partition_implILS8_4ELb0ES6_15HIP_vector_typeIjLj2EENS0_17counting_iteratorIjlEEPS9_SG_NS0_5tupleIJPjSI_NS0_16reverse_iteratorISI_EEEEENSH_IJSG_SG_SG_EEES9_SI_JZNS1_25segmented_radix_sort_implINS0_14default_configELb1EPKlPlSQ_SR_N2at6native12_GLOBAL__N_18offset_tEEE10hipError_tPvRmT1_PNSt15iterator_traitsISZ_E10value_typeET2_T3_PNS10_IS15_E10value_typeET4_jRbjT5_S1B_jjP12ihipStream_tbEUljE_ZNSN_ISO_Lb1ESQ_SR_SQ_SR_SV_EESW_SX_SY_SZ_S13_S14_S15_S18_S19_jS1A_jS1B_S1B_jjS1D_bEUljE0_EEESW_SX_SY_S15_S19_S1B_T6_T7_T9_mT8_S1D_bDpT10_ENKUlT_T0_E_clISt17integral_constantIbLb0EES1Q_IbLb1EEEEDaS1M_S1N_EUlS1M_E_NS1_11comp_targetILNS1_3genE9ELNS1_11target_archE1100ELNS1_3gpuE3ELNS1_3repE0EEENS1_30default_config_static_selectorELNS0_4arch9wavefront6targetE0EEEvSZ_.num_named_barrier, 0
	.set _ZN7rocprim17ROCPRIM_400000_NS6detail17trampoline_kernelINS0_13select_configILj256ELj13ELNS0_17block_load_methodE3ELS4_3ELS4_3ELNS0_20block_scan_algorithmE0ELj4294967295EEENS1_25partition_config_selectorILNS1_17partition_subalgoE4EjNS0_10empty_typeEbEEZZNS1_14partition_implILS8_4ELb0ES6_15HIP_vector_typeIjLj2EENS0_17counting_iteratorIjlEEPS9_SG_NS0_5tupleIJPjSI_NS0_16reverse_iteratorISI_EEEEENSH_IJSG_SG_SG_EEES9_SI_JZNS1_25segmented_radix_sort_implINS0_14default_configELb1EPKlPlSQ_SR_N2at6native12_GLOBAL__N_18offset_tEEE10hipError_tPvRmT1_PNSt15iterator_traitsISZ_E10value_typeET2_T3_PNS10_IS15_E10value_typeET4_jRbjT5_S1B_jjP12ihipStream_tbEUljE_ZNSN_ISO_Lb1ESQ_SR_SQ_SR_SV_EESW_SX_SY_SZ_S13_S14_S15_S18_S19_jS1A_jS1B_S1B_jjS1D_bEUljE0_EEESW_SX_SY_S15_S19_S1B_T6_T7_T9_mT8_S1D_bDpT10_ENKUlT_T0_E_clISt17integral_constantIbLb0EES1Q_IbLb1EEEEDaS1M_S1N_EUlS1M_E_NS1_11comp_targetILNS1_3genE9ELNS1_11target_archE1100ELNS1_3gpuE3ELNS1_3repE0EEENS1_30default_config_static_selectorELNS0_4arch9wavefront6targetE0EEEvSZ_.private_seg_size, 0
	.set _ZN7rocprim17ROCPRIM_400000_NS6detail17trampoline_kernelINS0_13select_configILj256ELj13ELNS0_17block_load_methodE3ELS4_3ELS4_3ELNS0_20block_scan_algorithmE0ELj4294967295EEENS1_25partition_config_selectorILNS1_17partition_subalgoE4EjNS0_10empty_typeEbEEZZNS1_14partition_implILS8_4ELb0ES6_15HIP_vector_typeIjLj2EENS0_17counting_iteratorIjlEEPS9_SG_NS0_5tupleIJPjSI_NS0_16reverse_iteratorISI_EEEEENSH_IJSG_SG_SG_EEES9_SI_JZNS1_25segmented_radix_sort_implINS0_14default_configELb1EPKlPlSQ_SR_N2at6native12_GLOBAL__N_18offset_tEEE10hipError_tPvRmT1_PNSt15iterator_traitsISZ_E10value_typeET2_T3_PNS10_IS15_E10value_typeET4_jRbjT5_S1B_jjP12ihipStream_tbEUljE_ZNSN_ISO_Lb1ESQ_SR_SQ_SR_SV_EESW_SX_SY_SZ_S13_S14_S15_S18_S19_jS1A_jS1B_S1B_jjS1D_bEUljE0_EEESW_SX_SY_S15_S19_S1B_T6_T7_T9_mT8_S1D_bDpT10_ENKUlT_T0_E_clISt17integral_constantIbLb0EES1Q_IbLb1EEEEDaS1M_S1N_EUlS1M_E_NS1_11comp_targetILNS1_3genE9ELNS1_11target_archE1100ELNS1_3gpuE3ELNS1_3repE0EEENS1_30default_config_static_selectorELNS0_4arch9wavefront6targetE0EEEvSZ_.uses_vcc, 0
	.set _ZN7rocprim17ROCPRIM_400000_NS6detail17trampoline_kernelINS0_13select_configILj256ELj13ELNS0_17block_load_methodE3ELS4_3ELS4_3ELNS0_20block_scan_algorithmE0ELj4294967295EEENS1_25partition_config_selectorILNS1_17partition_subalgoE4EjNS0_10empty_typeEbEEZZNS1_14partition_implILS8_4ELb0ES6_15HIP_vector_typeIjLj2EENS0_17counting_iteratorIjlEEPS9_SG_NS0_5tupleIJPjSI_NS0_16reverse_iteratorISI_EEEEENSH_IJSG_SG_SG_EEES9_SI_JZNS1_25segmented_radix_sort_implINS0_14default_configELb1EPKlPlSQ_SR_N2at6native12_GLOBAL__N_18offset_tEEE10hipError_tPvRmT1_PNSt15iterator_traitsISZ_E10value_typeET2_T3_PNS10_IS15_E10value_typeET4_jRbjT5_S1B_jjP12ihipStream_tbEUljE_ZNSN_ISO_Lb1ESQ_SR_SQ_SR_SV_EESW_SX_SY_SZ_S13_S14_S15_S18_S19_jS1A_jS1B_S1B_jjS1D_bEUljE0_EEESW_SX_SY_S15_S19_S1B_T6_T7_T9_mT8_S1D_bDpT10_ENKUlT_T0_E_clISt17integral_constantIbLb0EES1Q_IbLb1EEEEDaS1M_S1N_EUlS1M_E_NS1_11comp_targetILNS1_3genE9ELNS1_11target_archE1100ELNS1_3gpuE3ELNS1_3repE0EEENS1_30default_config_static_selectorELNS0_4arch9wavefront6targetE0EEEvSZ_.uses_flat_scratch, 0
	.set _ZN7rocprim17ROCPRIM_400000_NS6detail17trampoline_kernelINS0_13select_configILj256ELj13ELNS0_17block_load_methodE3ELS4_3ELS4_3ELNS0_20block_scan_algorithmE0ELj4294967295EEENS1_25partition_config_selectorILNS1_17partition_subalgoE4EjNS0_10empty_typeEbEEZZNS1_14partition_implILS8_4ELb0ES6_15HIP_vector_typeIjLj2EENS0_17counting_iteratorIjlEEPS9_SG_NS0_5tupleIJPjSI_NS0_16reverse_iteratorISI_EEEEENSH_IJSG_SG_SG_EEES9_SI_JZNS1_25segmented_radix_sort_implINS0_14default_configELb1EPKlPlSQ_SR_N2at6native12_GLOBAL__N_18offset_tEEE10hipError_tPvRmT1_PNSt15iterator_traitsISZ_E10value_typeET2_T3_PNS10_IS15_E10value_typeET4_jRbjT5_S1B_jjP12ihipStream_tbEUljE_ZNSN_ISO_Lb1ESQ_SR_SQ_SR_SV_EESW_SX_SY_SZ_S13_S14_S15_S18_S19_jS1A_jS1B_S1B_jjS1D_bEUljE0_EEESW_SX_SY_S15_S19_S1B_T6_T7_T9_mT8_S1D_bDpT10_ENKUlT_T0_E_clISt17integral_constantIbLb0EES1Q_IbLb1EEEEDaS1M_S1N_EUlS1M_E_NS1_11comp_targetILNS1_3genE9ELNS1_11target_archE1100ELNS1_3gpuE3ELNS1_3repE0EEENS1_30default_config_static_selectorELNS0_4arch9wavefront6targetE0EEEvSZ_.has_dyn_sized_stack, 0
	.set _ZN7rocprim17ROCPRIM_400000_NS6detail17trampoline_kernelINS0_13select_configILj256ELj13ELNS0_17block_load_methodE3ELS4_3ELS4_3ELNS0_20block_scan_algorithmE0ELj4294967295EEENS1_25partition_config_selectorILNS1_17partition_subalgoE4EjNS0_10empty_typeEbEEZZNS1_14partition_implILS8_4ELb0ES6_15HIP_vector_typeIjLj2EENS0_17counting_iteratorIjlEEPS9_SG_NS0_5tupleIJPjSI_NS0_16reverse_iteratorISI_EEEEENSH_IJSG_SG_SG_EEES9_SI_JZNS1_25segmented_radix_sort_implINS0_14default_configELb1EPKlPlSQ_SR_N2at6native12_GLOBAL__N_18offset_tEEE10hipError_tPvRmT1_PNSt15iterator_traitsISZ_E10value_typeET2_T3_PNS10_IS15_E10value_typeET4_jRbjT5_S1B_jjP12ihipStream_tbEUljE_ZNSN_ISO_Lb1ESQ_SR_SQ_SR_SV_EESW_SX_SY_SZ_S13_S14_S15_S18_S19_jS1A_jS1B_S1B_jjS1D_bEUljE0_EEESW_SX_SY_S15_S19_S1B_T6_T7_T9_mT8_S1D_bDpT10_ENKUlT_T0_E_clISt17integral_constantIbLb0EES1Q_IbLb1EEEEDaS1M_S1N_EUlS1M_E_NS1_11comp_targetILNS1_3genE9ELNS1_11target_archE1100ELNS1_3gpuE3ELNS1_3repE0EEENS1_30default_config_static_selectorELNS0_4arch9wavefront6targetE0EEEvSZ_.has_recursion, 0
	.set _ZN7rocprim17ROCPRIM_400000_NS6detail17trampoline_kernelINS0_13select_configILj256ELj13ELNS0_17block_load_methodE3ELS4_3ELS4_3ELNS0_20block_scan_algorithmE0ELj4294967295EEENS1_25partition_config_selectorILNS1_17partition_subalgoE4EjNS0_10empty_typeEbEEZZNS1_14partition_implILS8_4ELb0ES6_15HIP_vector_typeIjLj2EENS0_17counting_iteratorIjlEEPS9_SG_NS0_5tupleIJPjSI_NS0_16reverse_iteratorISI_EEEEENSH_IJSG_SG_SG_EEES9_SI_JZNS1_25segmented_radix_sort_implINS0_14default_configELb1EPKlPlSQ_SR_N2at6native12_GLOBAL__N_18offset_tEEE10hipError_tPvRmT1_PNSt15iterator_traitsISZ_E10value_typeET2_T3_PNS10_IS15_E10value_typeET4_jRbjT5_S1B_jjP12ihipStream_tbEUljE_ZNSN_ISO_Lb1ESQ_SR_SQ_SR_SV_EESW_SX_SY_SZ_S13_S14_S15_S18_S19_jS1A_jS1B_S1B_jjS1D_bEUljE0_EEESW_SX_SY_S15_S19_S1B_T6_T7_T9_mT8_S1D_bDpT10_ENKUlT_T0_E_clISt17integral_constantIbLb0EES1Q_IbLb1EEEEDaS1M_S1N_EUlS1M_E_NS1_11comp_targetILNS1_3genE9ELNS1_11target_archE1100ELNS1_3gpuE3ELNS1_3repE0EEENS1_30default_config_static_selectorELNS0_4arch9wavefront6targetE0EEEvSZ_.has_indirect_call, 0
	.section	.AMDGPU.csdata,"",@progbits
; Kernel info:
; codeLenInByte = 0
; TotalNumSgprs: 0
; NumVgprs: 0
; ScratchSize: 0
; MemoryBound: 0
; FloatMode: 240
; IeeeMode: 1
; LDSByteSize: 0 bytes/workgroup (compile time only)
; SGPRBlocks: 0
; VGPRBlocks: 0
; NumSGPRsForWavesPerEU: 1
; NumVGPRsForWavesPerEU: 1
; Occupancy: 16
; WaveLimiterHint : 0
; COMPUTE_PGM_RSRC2:SCRATCH_EN: 0
; COMPUTE_PGM_RSRC2:USER_SGPR: 6
; COMPUTE_PGM_RSRC2:TRAP_HANDLER: 0
; COMPUTE_PGM_RSRC2:TGID_X_EN: 1
; COMPUTE_PGM_RSRC2:TGID_Y_EN: 0
; COMPUTE_PGM_RSRC2:TGID_Z_EN: 0
; COMPUTE_PGM_RSRC2:TIDIG_COMP_CNT: 0
	.section	.text._ZN7rocprim17ROCPRIM_400000_NS6detail17trampoline_kernelINS0_13select_configILj256ELj13ELNS0_17block_load_methodE3ELS4_3ELS4_3ELNS0_20block_scan_algorithmE0ELj4294967295EEENS1_25partition_config_selectorILNS1_17partition_subalgoE4EjNS0_10empty_typeEbEEZZNS1_14partition_implILS8_4ELb0ES6_15HIP_vector_typeIjLj2EENS0_17counting_iteratorIjlEEPS9_SG_NS0_5tupleIJPjSI_NS0_16reverse_iteratorISI_EEEEENSH_IJSG_SG_SG_EEES9_SI_JZNS1_25segmented_radix_sort_implINS0_14default_configELb1EPKlPlSQ_SR_N2at6native12_GLOBAL__N_18offset_tEEE10hipError_tPvRmT1_PNSt15iterator_traitsISZ_E10value_typeET2_T3_PNS10_IS15_E10value_typeET4_jRbjT5_S1B_jjP12ihipStream_tbEUljE_ZNSN_ISO_Lb1ESQ_SR_SQ_SR_SV_EESW_SX_SY_SZ_S13_S14_S15_S18_S19_jS1A_jS1B_S1B_jjS1D_bEUljE0_EEESW_SX_SY_S15_S19_S1B_T6_T7_T9_mT8_S1D_bDpT10_ENKUlT_T0_E_clISt17integral_constantIbLb0EES1Q_IbLb1EEEEDaS1M_S1N_EUlS1M_E_NS1_11comp_targetILNS1_3genE8ELNS1_11target_archE1030ELNS1_3gpuE2ELNS1_3repE0EEENS1_30default_config_static_selectorELNS0_4arch9wavefront6targetE0EEEvSZ_,"axG",@progbits,_ZN7rocprim17ROCPRIM_400000_NS6detail17trampoline_kernelINS0_13select_configILj256ELj13ELNS0_17block_load_methodE3ELS4_3ELS4_3ELNS0_20block_scan_algorithmE0ELj4294967295EEENS1_25partition_config_selectorILNS1_17partition_subalgoE4EjNS0_10empty_typeEbEEZZNS1_14partition_implILS8_4ELb0ES6_15HIP_vector_typeIjLj2EENS0_17counting_iteratorIjlEEPS9_SG_NS0_5tupleIJPjSI_NS0_16reverse_iteratorISI_EEEEENSH_IJSG_SG_SG_EEES9_SI_JZNS1_25segmented_radix_sort_implINS0_14default_configELb1EPKlPlSQ_SR_N2at6native12_GLOBAL__N_18offset_tEEE10hipError_tPvRmT1_PNSt15iterator_traitsISZ_E10value_typeET2_T3_PNS10_IS15_E10value_typeET4_jRbjT5_S1B_jjP12ihipStream_tbEUljE_ZNSN_ISO_Lb1ESQ_SR_SQ_SR_SV_EESW_SX_SY_SZ_S13_S14_S15_S18_S19_jS1A_jS1B_S1B_jjS1D_bEUljE0_EEESW_SX_SY_S15_S19_S1B_T6_T7_T9_mT8_S1D_bDpT10_ENKUlT_T0_E_clISt17integral_constantIbLb0EES1Q_IbLb1EEEEDaS1M_S1N_EUlS1M_E_NS1_11comp_targetILNS1_3genE8ELNS1_11target_archE1030ELNS1_3gpuE2ELNS1_3repE0EEENS1_30default_config_static_selectorELNS0_4arch9wavefront6targetE0EEEvSZ_,comdat
	.globl	_ZN7rocprim17ROCPRIM_400000_NS6detail17trampoline_kernelINS0_13select_configILj256ELj13ELNS0_17block_load_methodE3ELS4_3ELS4_3ELNS0_20block_scan_algorithmE0ELj4294967295EEENS1_25partition_config_selectorILNS1_17partition_subalgoE4EjNS0_10empty_typeEbEEZZNS1_14partition_implILS8_4ELb0ES6_15HIP_vector_typeIjLj2EENS0_17counting_iteratorIjlEEPS9_SG_NS0_5tupleIJPjSI_NS0_16reverse_iteratorISI_EEEEENSH_IJSG_SG_SG_EEES9_SI_JZNS1_25segmented_radix_sort_implINS0_14default_configELb1EPKlPlSQ_SR_N2at6native12_GLOBAL__N_18offset_tEEE10hipError_tPvRmT1_PNSt15iterator_traitsISZ_E10value_typeET2_T3_PNS10_IS15_E10value_typeET4_jRbjT5_S1B_jjP12ihipStream_tbEUljE_ZNSN_ISO_Lb1ESQ_SR_SQ_SR_SV_EESW_SX_SY_SZ_S13_S14_S15_S18_S19_jS1A_jS1B_S1B_jjS1D_bEUljE0_EEESW_SX_SY_S15_S19_S1B_T6_T7_T9_mT8_S1D_bDpT10_ENKUlT_T0_E_clISt17integral_constantIbLb0EES1Q_IbLb1EEEEDaS1M_S1N_EUlS1M_E_NS1_11comp_targetILNS1_3genE8ELNS1_11target_archE1030ELNS1_3gpuE2ELNS1_3repE0EEENS1_30default_config_static_selectorELNS0_4arch9wavefront6targetE0EEEvSZ_ ; -- Begin function _ZN7rocprim17ROCPRIM_400000_NS6detail17trampoline_kernelINS0_13select_configILj256ELj13ELNS0_17block_load_methodE3ELS4_3ELS4_3ELNS0_20block_scan_algorithmE0ELj4294967295EEENS1_25partition_config_selectorILNS1_17partition_subalgoE4EjNS0_10empty_typeEbEEZZNS1_14partition_implILS8_4ELb0ES6_15HIP_vector_typeIjLj2EENS0_17counting_iteratorIjlEEPS9_SG_NS0_5tupleIJPjSI_NS0_16reverse_iteratorISI_EEEEENSH_IJSG_SG_SG_EEES9_SI_JZNS1_25segmented_radix_sort_implINS0_14default_configELb1EPKlPlSQ_SR_N2at6native12_GLOBAL__N_18offset_tEEE10hipError_tPvRmT1_PNSt15iterator_traitsISZ_E10value_typeET2_T3_PNS10_IS15_E10value_typeET4_jRbjT5_S1B_jjP12ihipStream_tbEUljE_ZNSN_ISO_Lb1ESQ_SR_SQ_SR_SV_EESW_SX_SY_SZ_S13_S14_S15_S18_S19_jS1A_jS1B_S1B_jjS1D_bEUljE0_EEESW_SX_SY_S15_S19_S1B_T6_T7_T9_mT8_S1D_bDpT10_ENKUlT_T0_E_clISt17integral_constantIbLb0EES1Q_IbLb1EEEEDaS1M_S1N_EUlS1M_E_NS1_11comp_targetILNS1_3genE8ELNS1_11target_archE1030ELNS1_3gpuE2ELNS1_3repE0EEENS1_30default_config_static_selectorELNS0_4arch9wavefront6targetE0EEEvSZ_
	.p2align	8
	.type	_ZN7rocprim17ROCPRIM_400000_NS6detail17trampoline_kernelINS0_13select_configILj256ELj13ELNS0_17block_load_methodE3ELS4_3ELS4_3ELNS0_20block_scan_algorithmE0ELj4294967295EEENS1_25partition_config_selectorILNS1_17partition_subalgoE4EjNS0_10empty_typeEbEEZZNS1_14partition_implILS8_4ELb0ES6_15HIP_vector_typeIjLj2EENS0_17counting_iteratorIjlEEPS9_SG_NS0_5tupleIJPjSI_NS0_16reverse_iteratorISI_EEEEENSH_IJSG_SG_SG_EEES9_SI_JZNS1_25segmented_radix_sort_implINS0_14default_configELb1EPKlPlSQ_SR_N2at6native12_GLOBAL__N_18offset_tEEE10hipError_tPvRmT1_PNSt15iterator_traitsISZ_E10value_typeET2_T3_PNS10_IS15_E10value_typeET4_jRbjT5_S1B_jjP12ihipStream_tbEUljE_ZNSN_ISO_Lb1ESQ_SR_SQ_SR_SV_EESW_SX_SY_SZ_S13_S14_S15_S18_S19_jS1A_jS1B_S1B_jjS1D_bEUljE0_EEESW_SX_SY_S15_S19_S1B_T6_T7_T9_mT8_S1D_bDpT10_ENKUlT_T0_E_clISt17integral_constantIbLb0EES1Q_IbLb1EEEEDaS1M_S1N_EUlS1M_E_NS1_11comp_targetILNS1_3genE8ELNS1_11target_archE1030ELNS1_3gpuE2ELNS1_3repE0EEENS1_30default_config_static_selectorELNS0_4arch9wavefront6targetE0EEEvSZ_,@function
_ZN7rocprim17ROCPRIM_400000_NS6detail17trampoline_kernelINS0_13select_configILj256ELj13ELNS0_17block_load_methodE3ELS4_3ELS4_3ELNS0_20block_scan_algorithmE0ELj4294967295EEENS1_25partition_config_selectorILNS1_17partition_subalgoE4EjNS0_10empty_typeEbEEZZNS1_14partition_implILS8_4ELb0ES6_15HIP_vector_typeIjLj2EENS0_17counting_iteratorIjlEEPS9_SG_NS0_5tupleIJPjSI_NS0_16reverse_iteratorISI_EEEEENSH_IJSG_SG_SG_EEES9_SI_JZNS1_25segmented_radix_sort_implINS0_14default_configELb1EPKlPlSQ_SR_N2at6native12_GLOBAL__N_18offset_tEEE10hipError_tPvRmT1_PNSt15iterator_traitsISZ_E10value_typeET2_T3_PNS10_IS15_E10value_typeET4_jRbjT5_S1B_jjP12ihipStream_tbEUljE_ZNSN_ISO_Lb1ESQ_SR_SQ_SR_SV_EESW_SX_SY_SZ_S13_S14_S15_S18_S19_jS1A_jS1B_S1B_jjS1D_bEUljE0_EEESW_SX_SY_S15_S19_S1B_T6_T7_T9_mT8_S1D_bDpT10_ENKUlT_T0_E_clISt17integral_constantIbLb0EES1Q_IbLb1EEEEDaS1M_S1N_EUlS1M_E_NS1_11comp_targetILNS1_3genE8ELNS1_11target_archE1030ELNS1_3gpuE2ELNS1_3repE0EEENS1_30default_config_static_selectorELNS0_4arch9wavefront6targetE0EEEvSZ_: ; @_ZN7rocprim17ROCPRIM_400000_NS6detail17trampoline_kernelINS0_13select_configILj256ELj13ELNS0_17block_load_methodE3ELS4_3ELS4_3ELNS0_20block_scan_algorithmE0ELj4294967295EEENS1_25partition_config_selectorILNS1_17partition_subalgoE4EjNS0_10empty_typeEbEEZZNS1_14partition_implILS8_4ELb0ES6_15HIP_vector_typeIjLj2EENS0_17counting_iteratorIjlEEPS9_SG_NS0_5tupleIJPjSI_NS0_16reverse_iteratorISI_EEEEENSH_IJSG_SG_SG_EEES9_SI_JZNS1_25segmented_radix_sort_implINS0_14default_configELb1EPKlPlSQ_SR_N2at6native12_GLOBAL__N_18offset_tEEE10hipError_tPvRmT1_PNSt15iterator_traitsISZ_E10value_typeET2_T3_PNS10_IS15_E10value_typeET4_jRbjT5_S1B_jjP12ihipStream_tbEUljE_ZNSN_ISO_Lb1ESQ_SR_SQ_SR_SV_EESW_SX_SY_SZ_S13_S14_S15_S18_S19_jS1A_jS1B_S1B_jjS1D_bEUljE0_EEESW_SX_SY_S15_S19_S1B_T6_T7_T9_mT8_S1D_bDpT10_ENKUlT_T0_E_clISt17integral_constantIbLb0EES1Q_IbLb1EEEEDaS1M_S1N_EUlS1M_E_NS1_11comp_targetILNS1_3genE8ELNS1_11target_archE1030ELNS1_3gpuE2ELNS1_3repE0EEENS1_30default_config_static_selectorELNS0_4arch9wavefront6targetE0EEEvSZ_
; %bb.0:
	s_clause 0x7
	s_load_dwordx2 s[34:35], s[4:5], 0x10
	s_load_dwordx4 s[28:31], s[4:5], 0x28
	s_load_dwordx2 s[14:15], s[4:5], 0x38
	s_load_dwordx4 s[24:27], s[4:5], 0x58
	s_load_dwordx2 s[2:3], s[4:5], 0x68
	s_load_dwordx2 s[36:37], s[4:5], 0x78
	;; [unrolled: 1-line block ×3, first 2 shown]
	s_load_dwordx8 s[16:23], s[4:5], 0x90
	v_cmp_eq_u32_e64 s0, 0, v0
	s_and_saveexec_b32 s1, s0
	s_cbranch_execz .LBB665_4
; %bb.1:
	s_mov_b32 s7, exec_lo
	s_mov_b32 s6, exec_lo
	v_mbcnt_lo_u32_b32 v1, s7, 0
                                        ; implicit-def: $vgpr2
	v_cmpx_eq_u32_e32 0, v1
	s_cbranch_execz .LBB665_3
; %bb.2:
	s_load_dwordx2 s[8:9], s[4:5], 0x88
	s_bcnt1_i32_b32 s7, s7
	v_mov_b32_e32 v2, 0
	v_mov_b32_e32 v3, s7
	s_waitcnt lgkmcnt(0)
	global_atomic_add v2, v2, v3, s[8:9] glc
.LBB665_3:
	s_or_b32 exec_lo, exec_lo, s6
	s_waitcnt vmcnt(0)
	v_readfirstlane_b32 s6, v2
	v_mov_b32_e32 v2, 0
	v_add_nc_u32_e32 v1, s6, v1
	ds_write_b32 v2, v1
.LBB665_4:
	s_or_b32 exec_lo, exec_lo, s1
	v_mov_b32_e32 v1, 0
	s_clause 0x1
	s_load_dword s6, s[4:5], 0x8
	s_load_dword s1, s[4:5], 0x80
	s_waitcnt lgkmcnt(0)
	s_barrier
	buffer_gl0_inv
	ds_read_b32 v5, v1
	s_waitcnt lgkmcnt(0)
	s_barrier
	buffer_gl0_inv
	global_load_dwordx4 v[1:4], v1, s[26:27]
	s_add_i32 s5, s6, s34
	s_mul_i32 s4, s1, 0xd00
	s_add_i32 s1, s1, -1
	s_add_u32 s6, s34, s4
	s_addc_u32 s7, s35, 0
	v_mul_lo_u32 v31, 0xd00, v5
	v_readfirstlane_b32 s27, v5
	v_cmp_gt_u64_e64 s3, s[2:3], s[6:7]
	v_cmp_ne_u32_e32 vcc_lo, s1, v5
	s_cmp_eq_u32 s27, s1
	s_cselect_b32 s26, -1, 0
	v_add3_u32 v5, v31, s5, v0
	s_or_b32 s1, s3, vcc_lo
	s_mov_b32 s3, -1
	s_and_b32 vcc_lo, exec_lo, s1
	v_add_nc_u32_e32 v6, 0x100, v5
	v_add_nc_u32_e32 v7, 0x200, v5
	;; [unrolled: 1-line block ×12, first 2 shown]
	s_cbranch_vccz .LBB665_6
; %bb.5:
	v_lshlrev_b32_e32 v18, 2, v0
	s_mov_b32 s3, 0
	ds_write2st64_b32 v18, v5, v6 offset1:4
	ds_write2st64_b32 v18, v7, v8 offset0:8 offset1:12
	ds_write2st64_b32 v18, v9, v10 offset0:16 offset1:20
	;; [unrolled: 1-line block ×5, first 2 shown]
	ds_write_b32 v18, v17 offset:12288
	s_waitcnt vmcnt(0) lgkmcnt(0)
	s_barrier
.LBB665_6:
	s_andn2_b32 vcc_lo, exec_lo, s3
	s_add_i32 s4, s4, s34
	s_cbranch_vccnz .LBB665_8
; %bb.7:
	v_lshlrev_b32_e32 v18, 2, v0
	ds_write2st64_b32 v18, v5, v6 offset1:4
	ds_write2st64_b32 v18, v7, v8 offset0:8 offset1:12
	ds_write2st64_b32 v18, v9, v10 offset0:16 offset1:20
	ds_write2st64_b32 v18, v11, v12 offset0:24 offset1:28
	ds_write2st64_b32 v18, v13, v14 offset0:32 offset1:36
	ds_write2st64_b32 v18, v15, v16 offset0:40 offset1:44
	ds_write_b32 v18, v17 offset:12288
	s_waitcnt vmcnt(0) lgkmcnt(0)
	s_barrier
.LBB665_8:
	v_mul_u32_u24_e32 v34, 13, v0
	s_waitcnt vmcnt(0)
	buffer_gl0_inv
	v_cndmask_b32_e64 v32, 0, 1, s1
	s_sub_i32 s33, s2, s4
	s_andn2_b32 vcc_lo, exec_lo, s1
	v_lshlrev_b32_e32 v5, 2, v34
	ds_read_b32 v33, v5 offset:48
	ds_read2_b32 v[13:14], v5 offset0:10 offset1:11
	ds_read2_b32 v[15:16], v5 offset0:8 offset1:9
	;; [unrolled: 1-line block ×4, first 2 shown]
	ds_read2_b32 v[23:24], v5 offset1:1
	ds_read2_b32 v[21:22], v5 offset0:2 offset1:3
	s_waitcnt lgkmcnt(0)
	s_barrier
	buffer_gl0_inv
	s_cbranch_vccnz .LBB665_36
; %bb.9:
	v_add_nc_u32_e32 v5, s17, v23
	v_add_nc_u32_e32 v6, s19, v23
	s_mov_b32 s41, 0
	s_mov_b32 s40, 0
	s_mov_b32 s2, exec_lo
	v_mul_lo_u32 v5, v5, s16
	v_mul_lo_u32 v6, v6, s18
	v_sub_nc_u32_e32 v5, v5, v6
	v_cmp_lt_u32_e32 vcc_lo, s20, v5
	v_cmpx_ge_u32_e64 s20, v5
	s_cbranch_execz .LBB665_11
; %bb.10:
	v_add_nc_u32_e32 v5, s22, v23
	v_add_nc_u32_e32 v6, s38, v23
	v_mul_lo_u32 v5, v5, s21
	v_mul_lo_u32 v6, v6, s23
	v_sub_nc_u32_e32 v5, v5, v6
	v_cmp_lt_u32_e64 s1, s39, v5
	s_and_b32 s40, s1, exec_lo
.LBB665_11:
	s_or_b32 exec_lo, exec_lo, s2
	v_add_nc_u32_e32 v5, s17, v24
	v_add_nc_u32_e32 v6, s19, v24
	s_mov_b32 s3, exec_lo
	v_mul_lo_u32 v5, v5, s16
	v_mul_lo_u32 v6, v6, s18
	v_sub_nc_u32_e32 v5, v5, v6
	v_cmp_lt_u32_e64 s1, s20, v5
	v_cmpx_ge_u32_e64 s20, v5
	s_cbranch_execz .LBB665_13
; %bb.12:
	v_add_nc_u32_e32 v5, s22, v24
	v_add_nc_u32_e32 v6, s38, v24
	v_mul_lo_u32 v5, v5, s21
	v_mul_lo_u32 v6, v6, s23
	v_sub_nc_u32_e32 v5, v5, v6
	v_cmp_lt_u32_e64 s2, s39, v5
	s_and_b32 s41, s2, exec_lo
.LBB665_13:
	s_or_b32 exec_lo, exec_lo, s3
	v_add_nc_u32_e32 v5, s17, v21
	v_add_nc_u32_e32 v6, s19, v21
	s_mov_b32 s43, 0
	s_mov_b32 s42, 0
	s_mov_b32 s4, exec_lo
	v_mul_lo_u32 v5, v5, s16
	v_mul_lo_u32 v6, v6, s18
	v_sub_nc_u32_e32 v5, v5, v6
	v_cmp_lt_u32_e64 s2, s20, v5
	v_cmpx_ge_u32_e64 s20, v5
	s_cbranch_execz .LBB665_15
; %bb.14:
	v_add_nc_u32_e32 v5, s22, v21
	v_add_nc_u32_e32 v6, s38, v21
	v_mul_lo_u32 v5, v5, s21
	v_mul_lo_u32 v6, v6, s23
	v_sub_nc_u32_e32 v5, v5, v6
	v_cmp_lt_u32_e64 s3, s39, v5
	s_and_b32 s42, s3, exec_lo
.LBB665_15:
	s_or_b32 exec_lo, exec_lo, s4
	v_add_nc_u32_e32 v5, s17, v22
	v_add_nc_u32_e32 v6, s19, v22
	s_mov_b32 s5, exec_lo
	v_mul_lo_u32 v5, v5, s16
	v_mul_lo_u32 v6, v6, s18
	v_sub_nc_u32_e32 v5, v5, v6
	v_cmp_lt_u32_e64 s3, s20, v5
	v_cmpx_ge_u32_e64 s20, v5
	s_cbranch_execz .LBB665_17
; %bb.16:
	v_add_nc_u32_e32 v5, s22, v22
	v_add_nc_u32_e32 v6, s38, v22
	v_mul_lo_u32 v5, v5, s21
	v_mul_lo_u32 v6, v6, s23
	v_sub_nc_u32_e32 v5, v5, v6
	v_cmp_lt_u32_e64 s4, s39, v5
	s_and_b32 s43, s4, exec_lo
.LBB665_17:
	s_or_b32 exec_lo, exec_lo, s5
	v_add_nc_u32_e32 v5, s17, v19
	v_add_nc_u32_e32 v6, s19, v19
	s_mov_b32 s45, 0
	s_mov_b32 s44, 0
	s_mov_b32 s6, exec_lo
	v_mul_lo_u32 v5, v5, s16
	v_mul_lo_u32 v6, v6, s18
	v_sub_nc_u32_e32 v5, v5, v6
	v_cmp_lt_u32_e64 s4, s20, v5
	;; [unrolled: 40-line block ×6, first 2 shown]
	v_cmpx_ge_u32_e64 s20, v5
	s_cbranch_execz .LBB665_35
; %bb.34:
	v_add_nc_u32_e32 v5, s22, v33
	v_add_nc_u32_e32 v6, s38, v33
	v_mul_lo_u32 v5, v5, s21
	v_mul_lo_u32 v6, v6, s23
	v_sub_nc_u32_e32 v5, v5, v6
	v_cmp_lt_u32_e64 s13, s39, v5
	s_and_b32 s53, s13, exec_lo
.LBB665_35:
	s_or_b32 exec_lo, exec_lo, s54
	v_cndmask_b32_e64 v6, 0, 1, s1
	v_cndmask_b32_e64 v8, 0, 1, s3
	v_cndmask_b32_e64 v5, 0, 1, vcc_lo
	v_cndmask_b32_e64 v7, 0, 1, s2
	v_cndmask_b32_e64 v10, 0, 1, s5
	v_lshlrev_b16 v6, 8, v6
	v_lshlrev_b16 v8, 8, v8
	v_cndmask_b32_e64 v12, 0, 1, s7
	v_cndmask_b32_e64 v26, 0, 1, s9
	;; [unrolled: 1-line block ×3, first 2 shown]
	v_or_b32_e32 v5, v5, v6
	v_or_b32_sdwa v6, v7, v8 dst_sel:WORD_1 dst_unused:UNUSED_PAD src0_sel:DWORD src1_sel:DWORD
	v_cndmask_b32_e64 v7, 0, 1, s40
	v_cndmask_b32_e64 v9, 0, 1, s4
	;; [unrolled: 1-line block ×11, first 2 shown]
	v_or_b32_sdwa v35, v5, v6 dst_sel:DWORD dst_unused:UNUSED_PAD src0_sel:WORD_0 src1_sel:DWORD
	v_lshlrev_b16 v5, 8, v10
	v_lshlrev_b16 v6, 8, v12
	;; [unrolled: 1-line block ×5, first 2 shown]
	v_cndmask_b32_e64 v30, 0, 1, s49
	v_cndmask_b32_e64 v37, 0, 1, s47
	;; [unrolled: 1-line block ×5, first 2 shown]
	v_or_b32_e32 v5, v9, v5
	v_or_b32_sdwa v6, v11, v6 dst_sel:WORD_1 dst_unused:UNUSED_PAD src0_sel:DWORD src1_sel:DWORD
	v_or_b32_e32 v9, v25, v10
	v_or_b32_sdwa v10, v27, v12 dst_sel:WORD_1 dst_unused:UNUSED_PAD src0_sel:DWORD src1_sel:DWORD
	v_or_b32_e32 v7, v8, v7
	v_lshlrev_b16 v8, 8, v44
	v_lshlrev_b16 v11, 8, v41
	;; [unrolled: 1-line block ×5, first 2 shown]
	v_or_b32_sdwa v8, v45, v8 dst_sel:WORD_1 dst_unused:UNUSED_PAD src0_sel:DWORD src1_sel:DWORD
	v_or_b32_e32 v11, v43, v11
	v_or_b32_sdwa v12, v40, v12 dst_sel:WORD_1 dst_unused:UNUSED_PAD src0_sel:DWORD src1_sel:DWORD
	v_or_b32_e32 v25, v37, v25
	v_or_b32_sdwa v26, v30, v26 dst_sel:WORD_1 dst_unused:UNUSED_PAD src0_sel:DWORD src1_sel:DWORD
	v_cndmask_b32_e64 v39, 0, 1, s51
	v_cndmask_b32_e64 v42, 0, 1, s53
	v_or_b32_sdwa v37, v5, v6 dst_sel:DWORD dst_unused:UNUSED_PAD src0_sel:WORD_0 src1_sel:DWORD
	v_or_b32_sdwa v40, v9, v10 dst_sel:DWORD dst_unused:UNUSED_PAD src0_sel:WORD_0 src1_sel:DWORD
	;; [unrolled: 1-line block ×5, first 2 shown]
	s_and_b32 vcc_lo, exec_lo, s50
	s_add_i32 s5, s33, 0xd00
	s_cbranch_vccnz .LBB665_37
	s_branch .LBB665_114
.LBB665_36:
                                        ; implicit-def: $vgpr42
                                        ; implicit-def: $vgpr39
                                        ; implicit-def: $vgpr38
                                        ; implicit-def: $vgpr36
                                        ; implicit-def: $vgpr41
                                        ; implicit-def: $vgpr40
                                        ; implicit-def: $vgpr37
                                        ; implicit-def: $vgpr35
	s_add_i32 s5, s33, 0xd00
	s_cbranch_execz .LBB665_114
.LBB665_37:
	v_mov_b32_e32 v6, 0
	v_mov_b32_e32 v5, 0
	s_mov_b32 s2, exec_lo
	v_cmpx_gt_u32_e64 s5, v34
	s_cbranch_execz .LBB665_41
; %bb.38:
	v_add_nc_u32_e32 v5, s17, v23
	v_add_nc_u32_e32 v6, s19, v23
	s_mov_b32 s4, 0
	s_mov_b32 s3, exec_lo
	v_mul_lo_u32 v5, v5, s16
	v_mul_lo_u32 v6, v6, s18
	v_sub_nc_u32_e32 v5, v5, v6
	v_cmp_lt_u32_e32 vcc_lo, s20, v5
	v_cmpx_ge_u32_e64 s20, v5
	s_cbranch_execz .LBB665_40
; %bb.39:
	v_add_nc_u32_e32 v5, s22, v23
	v_add_nc_u32_e32 v6, s38, v23
	v_mul_lo_u32 v5, v5, s21
	v_mul_lo_u32 v6, v6, s23
	v_sub_nc_u32_e32 v5, v5, v6
	v_cmp_lt_u32_e64 s1, s39, v5
	s_and_b32 s4, s1, exec_lo
.LBB665_40:
	s_or_b32 exec_lo, exec_lo, s3
	v_cndmask_b32_e64 v6, 0, 1, s4
	v_cndmask_b32_e64 v5, 0, 1, vcc_lo
.LBB665_41:
	s_or_b32 exec_lo, exec_lo, s2
	v_add_nc_u32_e32 v7, 1, v34
	v_lshlrev_b16 v25, 8, v6
	v_and_b32_e32 v10, 0xff, v5
	v_lshlrev_b16 v11, 8, 0
                                        ; implicit-def: $vgpr9
                                        ; implicit-def: $vgpr12
                                        ; implicit-def: $vgpr6
                                        ; implicit-def: $vgpr8
	v_cmp_le_u32_e32 vcc_lo, s5, v7
                                        ; implicit-def: $vgpr7
	s_and_saveexec_b32 s1, vcc_lo
	s_xor_b32 s1, exec_lo, s1
	s_cbranch_execz .LBB665_43
; %bb.42:
	v_mov_b32_e32 v5, 8
	v_mov_b32_e32 v6, 0xff
	;; [unrolled: 1-line block ×3, first 2 shown]
	v_and_b32_e32 v8, 0xffff, v11
	v_and_b32_e32 v7, 0xffff, v11
	v_lshrrev_b32_sdwa v5, v5, v25 dst_sel:BYTE_1 dst_unused:UNUSED_PAD src0_sel:DWORD src1_sel:WORD_0
	v_and_b32_sdwa v6, v25, v6 dst_sel:DWORD dst_unused:UNUSED_PAD src0_sel:WORD_0 src1_sel:DWORD
                                        ; implicit-def: $vgpr25
	v_or_b32_e32 v5, v6, v5
	v_and_b32_e32 v6, 0xffff, v11
                                        ; implicit-def: $vgpr11
	v_and_b32_e32 v12, 0xffff, v5
                                        ; implicit-def: $vgpr5
.LBB665_43:
	s_andn2_saveexec_b32 s2, s1
	s_cbranch_execz .LBB665_47
; %bb.44:
	v_add_nc_u32_e32 v6, s17, v24
	v_add_nc_u32_e32 v7, s19, v24
	s_mov_b32 s3, 0
	s_mov_b32 s4, exec_lo
	v_mul_lo_u32 v6, v6, s16
	v_mul_lo_u32 v7, v7, s18
	v_sub_nc_u32_e32 v6, v6, v7
	v_cmp_lt_u32_e32 vcc_lo, s20, v6
	v_cmpx_ge_u32_e64 s20, v6
	s_cbranch_execz .LBB665_46
; %bb.45:
	v_add_nc_u32_e32 v6, s22, v24
	v_add_nc_u32_e32 v7, s38, v24
	v_mul_lo_u32 v6, v6, s21
	v_mul_lo_u32 v7, v7, s23
	v_sub_nc_u32_e32 v6, v6, v7
	v_cmp_lt_u32_e64 s1, s39, v6
	s_and_b32 s3, s1, exec_lo
.LBB665_46:
	s_or_b32 exec_lo, exec_lo, s4
	v_mov_b32_e32 v6, 0xff
	v_mov_b32_e32 v7, 8
	v_cndmask_b32_e64 v8, 0, 1, vcc_lo
	v_mov_b32_e32 v9, 0
	v_and_b32_sdwa v6, v25, v6 dst_sel:DWORD dst_unused:UNUSED_PAD src0_sel:WORD_0 src1_sel:DWORD
	v_lshrrev_b32_sdwa v7, v7, v25 dst_sel:BYTE_1 dst_unused:UNUSED_PAD src0_sel:DWORD src1_sel:WORD_0
	v_lshlrev_b16 v8, 8, v8
	v_or_b32_e32 v6, v6, v7
	v_cndmask_b32_e64 v7, 0, 1, s3
	v_or_b32_sdwa v5, v5, v8 dst_sel:DWORD dst_unused:UNUSED_PAD src0_sel:BYTE_0 src1_sel:DWORD
	v_and_b32_e32 v8, 0xffff, v11
	v_and_b32_e32 v12, 0xffff, v6
	v_mov_b32_e32 v6, 0
	v_and_b32_e32 v10, 0xffff, v5
	v_lshl_or_b32 v12, v7, 16, v12
	v_and_b32_e32 v7, 0xffff, v11
.LBB665_47:
	s_or_b32 exec_lo, exec_lo, s2
	v_add_nc_u32_e32 v5, 2, v34
                                        ; implicit-def: $vgpr11
	v_cmp_le_u32_e32 vcc_lo, s5, v5
                                        ; implicit-def: $vgpr5
	s_and_saveexec_b32 s1, vcc_lo
	s_xor_b32 s1, exec_lo, s1
	s_cbranch_execz .LBB665_49
; %bb.48:
	v_lshrrev_b32_e32 v5, 24, v10
	v_mov_b32_e32 v11, 8
	v_and_b32_e32 v25, 0xff0000, v12
	v_perm_b32 v8, v8, v8, 0x3060504
	v_perm_b32 v5, v5, v10, 0x40c0100
	v_lshrrev_b32_sdwa v10, v11, v5 dst_sel:BYTE_1 dst_unused:UNUSED_PAD src0_sel:DWORD src1_sel:DWORD
	v_or_b32_sdwa v10, v5, v10 dst_sel:DWORD dst_unused:UNUSED_PAD src0_sel:BYTE_0 src1_sel:DWORD
	v_and_b32_e32 v10, 0xffff, v10
	v_and_or_b32 v11, 0xff000000, v5, v10
	v_perm_b32 v5, v12, v25, 0x3020504
                                        ; implicit-def: $vgpr10
                                        ; implicit-def: $vgpr12
.LBB665_49:
	s_andn2_saveexec_b32 s2, s1
	s_cbranch_execz .LBB665_53
; %bb.50:
	v_add_nc_u32_e32 v5, s17, v21
	v_add_nc_u32_e32 v11, s19, v21
	s_mov_b32 s3, 0
	s_mov_b32 s4, exec_lo
	v_mul_lo_u32 v5, v5, s16
	v_mul_lo_u32 v11, v11, s18
	v_sub_nc_u32_e32 v5, v5, v11
	v_cmp_lt_u32_e32 vcc_lo, s20, v5
	v_cmpx_ge_u32_e64 s20, v5
	s_cbranch_execz .LBB665_52
; %bb.51:
	v_add_nc_u32_e32 v5, s22, v21
	v_add_nc_u32_e32 v11, s38, v21
	v_mul_lo_u32 v5, v5, s21
	v_mul_lo_u32 v11, v11, s23
	v_sub_nc_u32_e32 v5, v5, v11
	v_cmp_lt_u32_e64 s1, s39, v5
	s_and_b32 s3, s1, exec_lo
.LBB665_52:
	s_or_b32 exec_lo, exec_lo, s4
	v_mov_b32_e32 v5, 8
	v_mov_b32_e32 v11, 24
	v_cndmask_b32_e64 v26, 0, 1, s3
	v_mov_b32_e32 v27, 0xff
	v_cndmask_b32_e64 v25, 0, 1, vcc_lo
	v_lshrrev_b32_sdwa v28, v5, v10 dst_sel:BYTE_1 dst_unused:UNUSED_PAD src0_sel:DWORD src1_sel:DWORD
	v_lshrrev_b32_sdwa v11, v11, v10 dst_sel:BYTE_1 dst_unused:UNUSED_PAD src0_sel:DWORD src1_sel:DWORD
	;; [unrolled: 1-line block ×3, first 2 shown]
	v_lshlrev_b16 v26, 8, v26
	v_and_b32_sdwa v27, v12, v27 dst_sel:DWORD dst_unused:UNUSED_PAD src0_sel:WORD_1 src1_sel:DWORD
	v_or_b32_sdwa v10, v10, v28 dst_sel:DWORD dst_unused:UNUSED_PAD src0_sel:BYTE_0 src1_sel:DWORD
	v_or_b32_sdwa v11, v25, v11 dst_sel:WORD_1 dst_unused:UNUSED_PAD src0_sel:DWORD src1_sel:DWORD
	v_or_b32_sdwa v5, v12, v5 dst_sel:DWORD dst_unused:UNUSED_PAD src0_sel:BYTE_0 src1_sel:DWORD
	v_or_b32_sdwa v12, v27, v26 dst_sel:WORD_1 dst_unused:UNUSED_PAD src0_sel:DWORD src1_sel:DWORD
	v_or_b32_sdwa v11, v10, v11 dst_sel:DWORD dst_unused:UNUSED_PAD src0_sel:WORD_0 src1_sel:DWORD
	v_or_b32_sdwa v5, v5, v12 dst_sel:DWORD dst_unused:UNUSED_PAD src0_sel:WORD_0 src1_sel:DWORD
.LBB665_53:
	s_or_b32 exec_lo, exec_lo, s2
	v_add_nc_u32_e32 v10, 3, v34
                                        ; implicit-def: $vgpr35
	v_cmp_le_u32_e32 vcc_lo, s5, v10
                                        ; implicit-def: $vgpr10
	s_and_saveexec_b32 s1, vcc_lo
	s_xor_b32 s1, exec_lo, s1
	s_cbranch_execz .LBB665_55
; %bb.54:
	v_mov_b32_e32 v10, 24
	v_mov_b32_e32 v12, 0xff
	;; [unrolled: 1-line block ×3, first 2 shown]
	v_and_b32_e32 v26, 0xff0000, v11
	v_perm_b32 v8, v8, v8, 0x3060504
	v_lshrrev_b32_sdwa v10, v10, v9 dst_sel:BYTE_1 dst_unused:UNUSED_PAD src0_sel:DWORD src1_sel:DWORD
	v_and_b32_sdwa v12, v9, v12 dst_sel:DWORD dst_unused:UNUSED_PAD src0_sel:WORD_1 src1_sel:DWORD
	v_lshrrev_b32_sdwa v9, v25, v9 dst_sel:BYTE_1 dst_unused:UNUSED_PAD src0_sel:DWORD src1_sel:DWORD
	v_perm_b32 v35, v11, v26, 0x3020504
	v_perm_b32 v7, v7, v7, 0x3060504
                                        ; implicit-def: $vgpr11
	v_or_b32_sdwa v10, v12, v10 dst_sel:WORD_1 dst_unused:UNUSED_PAD src0_sel:DWORD src1_sel:DWORD
	v_or_b32_sdwa v10, v9, v10 dst_sel:DWORD dst_unused:UNUSED_PAD src0_sel:WORD_0 src1_sel:DWORD
                                        ; implicit-def: $vgpr9
.LBB665_55:
	s_andn2_saveexec_b32 s2, s1
	s_cbranch_execz .LBB665_59
; %bb.56:
	v_add_nc_u32_e32 v10, s17, v22
	v_add_nc_u32_e32 v12, s19, v22
	s_mov_b32 s3, 0
	s_mov_b32 s4, exec_lo
	v_mul_lo_u32 v10, v10, s16
	v_mul_lo_u32 v12, v12, s18
	v_sub_nc_u32_e32 v10, v10, v12
	v_cmp_lt_u32_e32 vcc_lo, s20, v10
	v_cmpx_ge_u32_e64 s20, v10
	s_cbranch_execz .LBB665_58
; %bb.57:
	v_add_nc_u32_e32 v10, s22, v22
	v_add_nc_u32_e32 v12, s38, v22
	v_mul_lo_u32 v10, v10, s21
	v_mul_lo_u32 v12, v12, s23
	v_sub_nc_u32_e32 v10, v10, v12
	v_cmp_lt_u32_e64 s1, s39, v10
	s_and_b32 s3, s1, exec_lo
.LBB665_58:
	s_or_b32 exec_lo, exec_lo, s4
	v_mov_b32_e32 v10, 8
	v_cndmask_b32_e64 v12, 0, 1, vcc_lo
	v_mov_b32_e32 v25, 0xff
	v_mov_b32_e32 v26, 24
	v_cndmask_b32_e64 v27, 0, 1, s3
	v_lshrrev_b32_sdwa v28, v10, v11 dst_sel:BYTE_1 dst_unused:UNUSED_PAD src0_sel:DWORD src1_sel:DWORD
	v_lshlrev_b16 v12, 8, v12
	v_and_b32_sdwa v29, v11, v25 dst_sel:DWORD dst_unused:UNUSED_PAD src0_sel:WORD_1 src1_sel:DWORD
	v_lshrrev_b32_sdwa v26, v26, v9 dst_sel:BYTE_1 dst_unused:UNUSED_PAD src0_sel:DWORD src1_sel:DWORD
	v_and_b32_sdwa v25, v9, v25 dst_sel:DWORD dst_unused:UNUSED_PAD src0_sel:WORD_1 src1_sel:DWORD
	v_lshrrev_b32_sdwa v9, v10, v9 dst_sel:BYTE_1 dst_unused:UNUSED_PAD src0_sel:DWORD src1_sel:DWORD
	v_or_b32_sdwa v10, v11, v28 dst_sel:DWORD dst_unused:UNUSED_PAD src0_sel:BYTE_0 src1_sel:DWORD
	v_or_b32_sdwa v11, v29, v12 dst_sel:WORD_1 dst_unused:UNUSED_PAD src0_sel:DWORD src1_sel:DWORD
	v_or_b32_sdwa v12, v25, v26 dst_sel:WORD_1 dst_unused:UNUSED_PAD src0_sel:DWORD src1_sel:DWORD
	v_or_b32_e32 v9, v27, v9
	v_or_b32_sdwa v35, v10, v11 dst_sel:DWORD dst_unused:UNUSED_PAD src0_sel:WORD_0 src1_sel:DWORD
	v_or_b32_sdwa v10, v9, v12 dst_sel:DWORD dst_unused:UNUSED_PAD src0_sel:WORD_0 src1_sel:DWORD
.LBB665_59:
	s_or_b32 exec_lo, exec_lo, s2
	v_add_nc_u32_e32 v9, 4, v34
                                        ; implicit-def: $vgpr11
	v_cmp_le_u32_e32 vcc_lo, s5, v9
                                        ; implicit-def: $vgpr9
	s_and_saveexec_b32 s1, vcc_lo
	s_xor_b32 s1, exec_lo, s1
	s_cbranch_execz .LBB665_61
; %bb.60:
	v_mov_b32_e32 v9, 24
	v_mov_b32_e32 v11, 0xff
	;; [unrolled: 1-line block ×3, first 2 shown]
	v_perm_b32 v7, v7, v7, 0x3060504
	v_lshrrev_b32_sdwa v25, v9, v8 dst_sel:BYTE_1 dst_unused:UNUSED_PAD src0_sel:DWORD src1_sel:DWORD
	v_and_b32_sdwa v26, v8, v11 dst_sel:DWORD dst_unused:UNUSED_PAD src0_sel:WORD_1 src1_sel:DWORD
	v_lshrrev_b32_sdwa v9, v9, v10 dst_sel:BYTE_1 dst_unused:UNUSED_PAD src0_sel:DWORD src1_sel:DWORD
	v_and_b32_sdwa v11, v10, v11 dst_sel:DWORD dst_unused:UNUSED_PAD src0_sel:WORD_1 src1_sel:DWORD
	v_lshrrev_b32_sdwa v8, v12, v8 dst_sel:BYTE_1 dst_unused:UNUSED_PAD src0_sel:DWORD src1_sel:DWORD
	v_or_b32_sdwa v12, v26, v25 dst_sel:WORD_1 dst_unused:UNUSED_PAD src0_sel:DWORD src1_sel:DWORD
	v_or_b32_e32 v11, v11, v9
	v_or_b32_sdwa v9, v8, v12 dst_sel:DWORD dst_unused:UNUSED_PAD src0_sel:WORD_0 src1_sel:DWORD
                                        ; implicit-def: $vgpr8
	v_perm_b32 v11, v11, v10, 0x5040c00
                                        ; implicit-def: $vgpr10
.LBB665_61:
	s_andn2_saveexec_b32 s2, s1
	s_cbranch_execz .LBB665_65
; %bb.62:
	v_add_nc_u32_e32 v9, s17, v19
	v_add_nc_u32_e32 v11, s19, v19
	s_mov_b32 s3, 0
	s_mov_b32 s4, exec_lo
	v_mul_lo_u32 v9, v9, s16
	v_mul_lo_u32 v11, v11, s18
	v_sub_nc_u32_e32 v9, v9, v11
	v_cmp_lt_u32_e32 vcc_lo, s20, v9
	v_cmpx_ge_u32_e64 s20, v9
	s_cbranch_execz .LBB665_64
; %bb.63:
	v_add_nc_u32_e32 v9, s22, v19
	v_add_nc_u32_e32 v11, s38, v19
	v_mul_lo_u32 v9, v9, s21
	v_mul_lo_u32 v11, v11, s23
	v_sub_nc_u32_e32 v9, v9, v11
	v_cmp_lt_u32_e64 s1, s39, v9
	s_and_b32 s3, s1, exec_lo
.LBB665_64:
	s_or_b32 exec_lo, exec_lo, s4
	v_mov_b32_e32 v9, 24
	v_mov_b32_e32 v11, 0xff
	;; [unrolled: 1-line block ×3, first 2 shown]
	v_cndmask_b32_e64 v25, 0, 1, s3
	v_cndmask_b32_e64 v26, 0, 1, vcc_lo
	v_lshrrev_b32_sdwa v27, v9, v8 dst_sel:BYTE_1 dst_unused:UNUSED_PAD src0_sel:DWORD src1_sel:DWORD
	v_and_b32_sdwa v28, v8, v11 dst_sel:DWORD dst_unused:UNUSED_PAD src0_sel:WORD_1 src1_sel:DWORD
	v_lshrrev_b32_sdwa v8, v12, v8 dst_sel:BYTE_1 dst_unused:UNUSED_PAD src0_sel:DWORD src1_sel:DWORD
	v_lshlrev_b16 v12, 8, v25
	v_lshrrev_b32_sdwa v9, v9, v10 dst_sel:BYTE_1 dst_unused:UNUSED_PAD src0_sel:DWORD src1_sel:DWORD
	v_and_b32_sdwa v11, v10, v11 dst_sel:DWORD dst_unused:UNUSED_PAD src0_sel:WORD_1 src1_sel:DWORD
	v_or_b32_sdwa v25, v28, v27 dst_sel:WORD_1 dst_unused:UNUSED_PAD src0_sel:DWORD src1_sel:DWORD
	v_or_b32_e32 v8, v26, v8
	v_or_b32_sdwa v10, v10, v12 dst_sel:DWORD dst_unused:UNUSED_PAD src0_sel:BYTE_0 src1_sel:DWORD
	v_or_b32_sdwa v11, v11, v9 dst_sel:WORD_1 dst_unused:UNUSED_PAD src0_sel:DWORD src1_sel:DWORD
	v_or_b32_sdwa v9, v8, v25 dst_sel:DWORD dst_unused:UNUSED_PAD src0_sel:WORD_0 src1_sel:DWORD
	v_or_b32_sdwa v11, v10, v11 dst_sel:DWORD dst_unused:UNUSED_PAD src0_sel:WORD_0 src1_sel:DWORD
.LBB665_65:
	s_or_b32 exec_lo, exec_lo, s2
	v_add_nc_u32_e32 v8, 5, v34
                                        ; implicit-def: $vgpr10
	v_cmp_le_u32_e32 vcc_lo, s5, v8
                                        ; implicit-def: $vgpr8
	s_and_saveexec_b32 s1, vcc_lo
	s_xor_b32 s1, exec_lo, s1
	s_cbranch_execz .LBB665_67
; %bb.66:
	v_lshrrev_b32_e32 v8, 24, v11
	v_mov_b32_e32 v10, 8
	v_mov_b32_e32 v12, 0xff
	v_perm_b32 v7, v7, v7, 0x3060504
	v_perm_b32 v8, v8, v11, 0x40c0100
	v_mov_b32_e32 v11, 24
	v_and_b32_sdwa v12, v9, v12 dst_sel:DWORD dst_unused:UNUSED_PAD src0_sel:WORD_1 src1_sel:DWORD
	v_lshrrev_b32_sdwa v10, v10, v8 dst_sel:BYTE_1 dst_unused:UNUSED_PAD src0_sel:DWORD src1_sel:DWORD
	v_lshrrev_b32_sdwa v11, v11, v9 dst_sel:BYTE_1 dst_unused:UNUSED_PAD src0_sel:DWORD src1_sel:DWORD
	v_or_b32_sdwa v10, v8, v10 dst_sel:DWORD dst_unused:UNUSED_PAD src0_sel:BYTE_0 src1_sel:DWORD
	v_or_b32_e32 v11, v12, v11
	v_and_b32_e32 v12, 0xffff, v10
	v_perm_b32 v10, v11, v9, 0x5040c00
                                        ; implicit-def: $vgpr9
                                        ; implicit-def: $vgpr11
	v_and_or_b32 v8, 0xff000000, v8, v12
.LBB665_67:
	s_andn2_saveexec_b32 s2, s1
	s_cbranch_execz .LBB665_71
; %bb.68:
	v_add_nc_u32_e32 v8, s17, v20
	v_add_nc_u32_e32 v10, s19, v20
	s_mov_b32 s3, 0
	s_mov_b32 s4, exec_lo
	v_mul_lo_u32 v8, v8, s16
	v_mul_lo_u32 v10, v10, s18
	v_sub_nc_u32_e32 v8, v8, v10
	v_cmp_lt_u32_e32 vcc_lo, s20, v8
	v_cmpx_ge_u32_e64 s20, v8
	s_cbranch_execz .LBB665_70
; %bb.69:
	v_add_nc_u32_e32 v8, s22, v20
	v_add_nc_u32_e32 v10, s38, v20
	v_mul_lo_u32 v8, v8, s21
	v_mul_lo_u32 v10, v10, s23
	v_sub_nc_u32_e32 v8, v8, v10
	v_cmp_lt_u32_e64 s1, s39, v8
	s_and_b32 s3, s1, exec_lo
.LBB665_70:
	s_or_b32 exec_lo, exec_lo, s4
	v_cndmask_b32_e64 v8, 0, 1, vcc_lo
	v_mov_b32_e32 v10, 24
	v_mov_b32_e32 v12, 0xff
	;; [unrolled: 1-line block ×3, first 2 shown]
	v_cndmask_b32_e64 v26, 0, 1, s3
	v_lshlrev_b16 v8, 8, v8
	v_lshrrev_b32_sdwa v27, v10, v9 dst_sel:BYTE_1 dst_unused:UNUSED_PAD src0_sel:DWORD src1_sel:DWORD
	v_and_b32_sdwa v12, v9, v12 dst_sel:DWORD dst_unused:UNUSED_PAD src0_sel:WORD_1 src1_sel:DWORD
	v_lshrrev_b32_sdwa v25, v25, v11 dst_sel:BYTE_1 dst_unused:UNUSED_PAD src0_sel:DWORD src1_sel:DWORD
	v_lshrrev_b32_sdwa v10, v10, v11 dst_sel:BYTE_1 dst_unused:UNUSED_PAD src0_sel:DWORD src1_sel:DWORD
	v_or_b32_sdwa v8, v9, v8 dst_sel:DWORD dst_unused:UNUSED_PAD src0_sel:BYTE_0 src1_sel:DWORD
	v_or_b32_sdwa v9, v12, v27 dst_sel:WORD_1 dst_unused:UNUSED_PAD src0_sel:DWORD src1_sel:DWORD
	v_or_b32_sdwa v11, v11, v25 dst_sel:DWORD dst_unused:UNUSED_PAD src0_sel:BYTE_0 src1_sel:DWORD
	v_or_b32_sdwa v12, v26, v10 dst_sel:WORD_1 dst_unused:UNUSED_PAD src0_sel:DWORD src1_sel:DWORD
	v_or_b32_sdwa v10, v8, v9 dst_sel:DWORD dst_unused:UNUSED_PAD src0_sel:WORD_0 src1_sel:DWORD
	v_or_b32_sdwa v8, v11, v12 dst_sel:DWORD dst_unused:UNUSED_PAD src0_sel:WORD_0 src1_sel:DWORD
.LBB665_71:
	s_or_b32 exec_lo, exec_lo, s2
	v_add_nc_u32_e32 v9, 6, v34
                                        ; implicit-def: $vgpr36
	v_cmp_le_u32_e32 vcc_lo, s5, v9
                                        ; implicit-def: $vgpr9
	s_and_saveexec_b32 s1, vcc_lo
	s_xor_b32 s1, exec_lo, s1
	s_cbranch_execz .LBB665_73
; %bb.72:
	v_lshrrev_b32_e32 v9, 24, v10
	v_mov_b32_e32 v11, 8
	v_perm_b32 v7, v7, v7, 0x3060504
	v_perm_b32 v9, v9, v10, 0x40c0100
	v_lshrrev_b32_sdwa v10, v11, v9 dst_sel:BYTE_1 dst_unused:UNUSED_PAD src0_sel:DWORD src1_sel:DWORD
	v_and_b32_e32 v11, 0xff0000, v8
	v_or_b32_sdwa v10, v9, v10 dst_sel:DWORD dst_unused:UNUSED_PAD src0_sel:BYTE_0 src1_sel:DWORD
	v_perm_b32 v36, v8, v11, 0x3020504
                                        ; implicit-def: $vgpr8
	v_and_b32_e32 v10, 0xffff, v10
	v_and_or_b32 v9, 0xff000000, v9, v10
                                        ; implicit-def: $vgpr10
.LBB665_73:
	s_andn2_saveexec_b32 s2, s1
	s_cbranch_execz .LBB665_77
; %bb.74:
	v_add_nc_u32_e32 v9, s17, v17
	v_add_nc_u32_e32 v11, s19, v17
	s_mov_b32 s3, 0
	s_mov_b32 s4, exec_lo
	v_mul_lo_u32 v9, v9, s16
	v_mul_lo_u32 v11, v11, s18
	v_sub_nc_u32_e32 v9, v9, v11
	v_cmp_lt_u32_e32 vcc_lo, s20, v9
	v_cmpx_ge_u32_e64 s20, v9
	s_cbranch_execz .LBB665_76
; %bb.75:
	v_add_nc_u32_e32 v9, s22, v17
	v_add_nc_u32_e32 v11, s38, v17
	v_mul_lo_u32 v9, v9, s21
	v_mul_lo_u32 v11, v11, s23
	v_sub_nc_u32_e32 v9, v9, v11
	v_cmp_lt_u32_e64 s1, s39, v9
	s_and_b32 s3, s1, exec_lo
.LBB665_76:
	s_or_b32 exec_lo, exec_lo, s4
	v_mov_b32_e32 v9, 8
	v_mov_b32_e32 v11, 24
	v_cndmask_b32_e64 v25, 0, 1, s3
	v_mov_b32_e32 v26, 0xff
	v_cndmask_b32_e64 v12, 0, 1, vcc_lo
	v_lshrrev_b32_sdwa v27, v9, v10 dst_sel:BYTE_1 dst_unused:UNUSED_PAD src0_sel:DWORD src1_sel:DWORD
	v_lshrrev_b32_sdwa v11, v11, v10 dst_sel:BYTE_1 dst_unused:UNUSED_PAD src0_sel:DWORD src1_sel:DWORD
	;; [unrolled: 1-line block ×3, first 2 shown]
	v_lshlrev_b16 v25, 8, v25
	v_and_b32_sdwa v26, v8, v26 dst_sel:DWORD dst_unused:UNUSED_PAD src0_sel:WORD_1 src1_sel:DWORD
	v_or_b32_sdwa v10, v10, v27 dst_sel:DWORD dst_unused:UNUSED_PAD src0_sel:BYTE_0 src1_sel:DWORD
	v_or_b32_sdwa v11, v12, v11 dst_sel:WORD_1 dst_unused:UNUSED_PAD src0_sel:DWORD src1_sel:DWORD
	v_or_b32_sdwa v8, v8, v9 dst_sel:DWORD dst_unused:UNUSED_PAD src0_sel:BYTE_0 src1_sel:DWORD
	v_or_b32_sdwa v12, v26, v25 dst_sel:WORD_1 dst_unused:UNUSED_PAD src0_sel:DWORD src1_sel:DWORD
	v_or_b32_sdwa v9, v10, v11 dst_sel:DWORD dst_unused:UNUSED_PAD src0_sel:WORD_0 src1_sel:DWORD
	v_or_b32_sdwa v36, v8, v12 dst_sel:DWORD dst_unused:UNUSED_PAD src0_sel:WORD_0 src1_sel:DWORD
.LBB665_77:
	s_or_b32 exec_lo, exec_lo, s2
	v_add_nc_u32_e32 v8, 7, v34
                                        ; implicit-def: $vgpr37
	v_cmp_le_u32_e32 vcc_lo, s5, v8
                                        ; implicit-def: $vgpr8
	s_and_saveexec_b32 s1, vcc_lo
	s_xor_b32 s1, exec_lo, s1
	s_cbranch_execz .LBB665_79
; %bb.78:
	v_mov_b32_e32 v8, 24
	v_mov_b32_e32 v10, 0xff
	;; [unrolled: 1-line block ×3, first 2 shown]
	v_lshrrev_b32_sdwa v8, v8, v7 dst_sel:BYTE_1 dst_unused:UNUSED_PAD src0_sel:DWORD src1_sel:DWORD
	v_and_b32_sdwa v10, v7, v10 dst_sel:DWORD dst_unused:UNUSED_PAD src0_sel:WORD_1 src1_sel:DWORD
	v_lshrrev_b32_sdwa v7, v11, v7 dst_sel:BYTE_1 dst_unused:UNUSED_PAD src0_sel:DWORD src1_sel:DWORD
	v_and_b32_e32 v11, 0xff0000, v9
	v_or_b32_sdwa v8, v10, v8 dst_sel:WORD_1 dst_unused:UNUSED_PAD src0_sel:DWORD src1_sel:DWORD
	v_perm_b32 v37, v9, v11, 0x3020504
                                        ; implicit-def: $vgpr9
	v_or_b32_sdwa v8, v7, v8 dst_sel:DWORD dst_unused:UNUSED_PAD src0_sel:WORD_0 src1_sel:DWORD
                                        ; implicit-def: $vgpr7
.LBB665_79:
	s_andn2_saveexec_b32 s2, s1
	s_cbranch_execz .LBB665_83
; %bb.80:
	v_add_nc_u32_e32 v8, s17, v18
	v_add_nc_u32_e32 v10, s19, v18
	s_mov_b32 s3, 0
	s_mov_b32 s4, exec_lo
	v_mul_lo_u32 v8, v8, s16
	v_mul_lo_u32 v10, v10, s18
	v_sub_nc_u32_e32 v8, v8, v10
	v_cmp_lt_u32_e32 vcc_lo, s20, v8
	v_cmpx_ge_u32_e64 s20, v8
	s_cbranch_execz .LBB665_82
; %bb.81:
	v_add_nc_u32_e32 v8, s22, v18
	v_add_nc_u32_e32 v10, s38, v18
	v_mul_lo_u32 v8, v8, s21
	v_mul_lo_u32 v10, v10, s23
	v_sub_nc_u32_e32 v8, v8, v10
	v_cmp_lt_u32_e64 s1, s39, v8
	s_and_b32 s3, s1, exec_lo
.LBB665_82:
	s_or_b32 exec_lo, exec_lo, s4
	v_mov_b32_e32 v8, 8
	v_cndmask_b32_e64 v10, 0, 1, vcc_lo
	v_mov_b32_e32 v11, 0xff
	v_mov_b32_e32 v12, 24
	v_cndmask_b32_e64 v25, 0, 1, s3
	v_lshrrev_b32_sdwa v26, v8, v9 dst_sel:BYTE_1 dst_unused:UNUSED_PAD src0_sel:DWORD src1_sel:DWORD
	v_lshlrev_b16 v10, 8, v10
	v_and_b32_sdwa v27, v9, v11 dst_sel:DWORD dst_unused:UNUSED_PAD src0_sel:WORD_1 src1_sel:DWORD
	v_lshrrev_b32_sdwa v12, v12, v7 dst_sel:BYTE_1 dst_unused:UNUSED_PAD src0_sel:DWORD src1_sel:DWORD
	v_and_b32_sdwa v11, v7, v11 dst_sel:DWORD dst_unused:UNUSED_PAD src0_sel:WORD_1 src1_sel:DWORD
	v_lshrrev_b32_sdwa v7, v8, v7 dst_sel:BYTE_1 dst_unused:UNUSED_PAD src0_sel:DWORD src1_sel:DWORD
	v_or_b32_sdwa v8, v9, v26 dst_sel:DWORD dst_unused:UNUSED_PAD src0_sel:BYTE_0 src1_sel:DWORD
	v_or_b32_sdwa v9, v27, v10 dst_sel:WORD_1 dst_unused:UNUSED_PAD src0_sel:DWORD src1_sel:DWORD
	v_or_b32_sdwa v10, v11, v12 dst_sel:WORD_1 dst_unused:UNUSED_PAD src0_sel:DWORD src1_sel:DWORD
	v_or_b32_e32 v7, v25, v7
	v_or_b32_sdwa v37, v8, v9 dst_sel:DWORD dst_unused:UNUSED_PAD src0_sel:WORD_0 src1_sel:DWORD
	v_or_b32_sdwa v8, v7, v10 dst_sel:DWORD dst_unused:UNUSED_PAD src0_sel:WORD_0 src1_sel:DWORD
.LBB665_83:
	s_or_b32 exec_lo, exec_lo, s2
	v_add_nc_u32_e32 v7, 8, v34
                                        ; implicit-def: $vgpr9
	v_cmp_le_u32_e32 vcc_lo, s5, v7
                                        ; implicit-def: $vgpr7
	s_and_saveexec_b32 s1, vcc_lo
	s_xor_b32 s1, exec_lo, s1
	s_cbranch_execz .LBB665_85
; %bb.84:
	v_mov_b32_e32 v7, 24
	v_mov_b32_e32 v9, 0xff
	;; [unrolled: 1-line block ×3, first 2 shown]
	v_perm_b32 v5, v5, v5, 0x3060504
	v_lshrrev_b32_sdwa v11, v7, v8 dst_sel:BYTE_1 dst_unused:UNUSED_PAD src0_sel:DWORD src1_sel:DWORD
	v_lshrrev_b32_sdwa v7, v7, v6 dst_sel:BYTE_1 dst_unused:UNUSED_PAD src0_sel:DWORD src1_sel:DWORD
	v_and_b32_sdwa v12, v6, v9 dst_sel:DWORD dst_unused:UNUSED_PAD src0_sel:WORD_1 src1_sel:DWORD
	v_and_b32_sdwa v9, v8, v9 dst_sel:DWORD dst_unused:UNUSED_PAD src0_sel:WORD_1 src1_sel:DWORD
	v_lshrrev_b32_sdwa v6, v10, v6 dst_sel:BYTE_1 dst_unused:UNUSED_PAD src0_sel:DWORD src1_sel:DWORD
	v_or_b32_sdwa v7, v12, v7 dst_sel:WORD_1 dst_unused:UNUSED_PAD src0_sel:DWORD src1_sel:DWORD
	v_or_b32_e32 v9, v9, v11
	v_or_b32_sdwa v7, v6, v7 dst_sel:DWORD dst_unused:UNUSED_PAD src0_sel:WORD_0 src1_sel:DWORD
	v_perm_b32 v9, v9, v8, 0x5040c00
                                        ; implicit-def: $vgpr6
                                        ; implicit-def: $vgpr8
.LBB665_85:
	s_andn2_saveexec_b32 s2, s1
	s_cbranch_execz .LBB665_89
; %bb.86:
	v_add_nc_u32_e32 v7, s17, v15
	v_add_nc_u32_e32 v9, s19, v15
	s_mov_b32 s3, 0
	s_mov_b32 s4, exec_lo
	v_mul_lo_u32 v7, v7, s16
	v_mul_lo_u32 v9, v9, s18
	v_sub_nc_u32_e32 v7, v7, v9
	v_cmp_lt_u32_e32 vcc_lo, s20, v7
	v_cmpx_ge_u32_e64 s20, v7
	s_cbranch_execz .LBB665_88
; %bb.87:
	v_add_nc_u32_e32 v7, s22, v15
	v_add_nc_u32_e32 v9, s38, v15
	v_mul_lo_u32 v7, v7, s21
	v_mul_lo_u32 v9, v9, s23
	v_sub_nc_u32_e32 v7, v7, v9
	v_cmp_lt_u32_e64 s1, s39, v7
	s_and_b32 s3, s1, exec_lo
.LBB665_88:
	s_or_b32 exec_lo, exec_lo, s4
	v_mov_b32_e32 v7, 24
	v_mov_b32_e32 v9, 0xff
	;; [unrolled: 1-line block ×3, first 2 shown]
	v_cndmask_b32_e64 v11, 0, 1, s3
	v_cndmask_b32_e64 v12, 0, 1, vcc_lo
	v_lshrrev_b32_sdwa v25, v7, v6 dst_sel:BYTE_1 dst_unused:UNUSED_PAD src0_sel:DWORD src1_sel:DWORD
	v_and_b32_sdwa v26, v6, v9 dst_sel:DWORD dst_unused:UNUSED_PAD src0_sel:WORD_1 src1_sel:DWORD
	v_lshrrev_b32_sdwa v6, v10, v6 dst_sel:BYTE_1 dst_unused:UNUSED_PAD src0_sel:DWORD src1_sel:DWORD
	v_lshlrev_b16 v10, 8, v11
	v_lshrrev_b32_sdwa v7, v7, v8 dst_sel:BYTE_1 dst_unused:UNUSED_PAD src0_sel:DWORD src1_sel:DWORD
	v_and_b32_sdwa v9, v8, v9 dst_sel:DWORD dst_unused:UNUSED_PAD src0_sel:WORD_1 src1_sel:DWORD
	v_or_b32_sdwa v11, v26, v25 dst_sel:WORD_1 dst_unused:UNUSED_PAD src0_sel:DWORD src1_sel:DWORD
	v_or_b32_e32 v6, v12, v6
	v_or_b32_sdwa v8, v8, v10 dst_sel:DWORD dst_unused:UNUSED_PAD src0_sel:BYTE_0 src1_sel:DWORD
	v_or_b32_sdwa v9, v9, v7 dst_sel:WORD_1 dst_unused:UNUSED_PAD src0_sel:DWORD src1_sel:DWORD
	v_or_b32_sdwa v7, v6, v11 dst_sel:DWORD dst_unused:UNUSED_PAD src0_sel:WORD_0 src1_sel:DWORD
	v_or_b32_sdwa v9, v8, v9 dst_sel:DWORD dst_unused:UNUSED_PAD src0_sel:WORD_0 src1_sel:DWORD
.LBB665_89:
	s_or_b32 exec_lo, exec_lo, s2
	v_add_nc_u32_e32 v6, 9, v34
                                        ; implicit-def: $vgpr8
	v_cmp_le_u32_e32 vcc_lo, s5, v6
                                        ; implicit-def: $vgpr6
	s_and_saveexec_b32 s1, vcc_lo
	s_xor_b32 s1, exec_lo, s1
	s_cbranch_execz .LBB665_91
; %bb.90:
	v_lshrrev_b32_e32 v6, 24, v9
	v_mov_b32_e32 v8, 8
	v_mov_b32_e32 v10, 0xff
	v_perm_b32 v5, v5, v5, 0x3060504
	v_perm_b32 v6, v6, v9, 0x40c0100
	v_mov_b32_e32 v9, 24
	v_and_b32_sdwa v10, v7, v10 dst_sel:DWORD dst_unused:UNUSED_PAD src0_sel:WORD_1 src1_sel:DWORD
	v_lshrrev_b32_sdwa v8, v8, v6 dst_sel:BYTE_1 dst_unused:UNUSED_PAD src0_sel:DWORD src1_sel:DWORD
	v_lshrrev_b32_sdwa v9, v9, v7 dst_sel:BYTE_1 dst_unused:UNUSED_PAD src0_sel:DWORD src1_sel:DWORD
	v_or_b32_sdwa v8, v6, v8 dst_sel:DWORD dst_unused:UNUSED_PAD src0_sel:BYTE_0 src1_sel:DWORD
	v_or_b32_e32 v9, v10, v9
	v_and_b32_e32 v10, 0xffff, v8
	v_perm_b32 v8, v9, v7, 0x5040c00
                                        ; implicit-def: $vgpr7
                                        ; implicit-def: $vgpr9
	v_and_or_b32 v6, 0xff000000, v6, v10
.LBB665_91:
	s_andn2_saveexec_b32 s2, s1
	s_cbranch_execz .LBB665_95
; %bb.92:
	v_add_nc_u32_e32 v6, s17, v16
	v_add_nc_u32_e32 v8, s19, v16
	s_mov_b32 s3, 0
	s_mov_b32 s4, exec_lo
	v_mul_lo_u32 v6, v6, s16
	v_mul_lo_u32 v8, v8, s18
	v_sub_nc_u32_e32 v6, v6, v8
	v_cmp_lt_u32_e32 vcc_lo, s20, v6
	v_cmpx_ge_u32_e64 s20, v6
	s_cbranch_execz .LBB665_94
; %bb.93:
	v_add_nc_u32_e32 v6, s22, v16
	v_add_nc_u32_e32 v8, s38, v16
	v_mul_lo_u32 v6, v6, s21
	v_mul_lo_u32 v8, v8, s23
	v_sub_nc_u32_e32 v6, v6, v8
	v_cmp_lt_u32_e64 s1, s39, v6
	s_and_b32 s3, s1, exec_lo
.LBB665_94:
	s_or_b32 exec_lo, exec_lo, s4
	v_cndmask_b32_e64 v6, 0, 1, vcc_lo
	v_mov_b32_e32 v8, 24
	v_mov_b32_e32 v10, 0xff
	;; [unrolled: 1-line block ×3, first 2 shown]
	v_cndmask_b32_e64 v12, 0, 1, s3
	v_lshlrev_b16 v6, 8, v6
	v_lshrrev_b32_sdwa v25, v8, v7 dst_sel:BYTE_1 dst_unused:UNUSED_PAD src0_sel:DWORD src1_sel:DWORD
	v_and_b32_sdwa v10, v7, v10 dst_sel:DWORD dst_unused:UNUSED_PAD src0_sel:WORD_1 src1_sel:DWORD
	v_lshrrev_b32_sdwa v11, v11, v9 dst_sel:BYTE_1 dst_unused:UNUSED_PAD src0_sel:DWORD src1_sel:DWORD
	v_lshrrev_b32_sdwa v8, v8, v9 dst_sel:BYTE_1 dst_unused:UNUSED_PAD src0_sel:DWORD src1_sel:DWORD
	v_or_b32_sdwa v6, v7, v6 dst_sel:DWORD dst_unused:UNUSED_PAD src0_sel:BYTE_0 src1_sel:DWORD
	v_or_b32_sdwa v7, v10, v25 dst_sel:WORD_1 dst_unused:UNUSED_PAD src0_sel:DWORD src1_sel:DWORD
	v_or_b32_sdwa v9, v9, v11 dst_sel:DWORD dst_unused:UNUSED_PAD src0_sel:BYTE_0 src1_sel:DWORD
	v_or_b32_sdwa v10, v12, v8 dst_sel:WORD_1 dst_unused:UNUSED_PAD src0_sel:DWORD src1_sel:DWORD
	v_or_b32_sdwa v8, v6, v7 dst_sel:DWORD dst_unused:UNUSED_PAD src0_sel:WORD_0 src1_sel:DWORD
	v_or_b32_sdwa v6, v9, v10 dst_sel:DWORD dst_unused:UNUSED_PAD src0_sel:WORD_0 src1_sel:DWORD
.LBB665_95:
	s_or_b32 exec_lo, exec_lo, s2
	v_add_nc_u32_e32 v7, 10, v34
                                        ; implicit-def: $vgpr38
	v_cmp_le_u32_e32 vcc_lo, s5, v7
                                        ; implicit-def: $vgpr7
	s_and_saveexec_b32 s1, vcc_lo
	s_xor_b32 s1, exec_lo, s1
	s_cbranch_execz .LBB665_97
; %bb.96:
	v_lshrrev_b32_e32 v7, 24, v8
	v_mov_b32_e32 v9, 8
	v_perm_b32 v5, v5, v5, 0x3060504
	v_perm_b32 v7, v7, v8, 0x40c0100
	v_lshrrev_b32_sdwa v8, v9, v7 dst_sel:BYTE_1 dst_unused:UNUSED_PAD src0_sel:DWORD src1_sel:DWORD
	v_and_b32_e32 v9, 0xff0000, v6
	v_or_b32_sdwa v8, v7, v8 dst_sel:DWORD dst_unused:UNUSED_PAD src0_sel:BYTE_0 src1_sel:DWORD
	v_perm_b32 v38, v6, v9, 0x3020504
                                        ; implicit-def: $vgpr6
	v_and_b32_e32 v8, 0xffff, v8
	v_and_or_b32 v7, 0xff000000, v7, v8
                                        ; implicit-def: $vgpr8
.LBB665_97:
	s_andn2_saveexec_b32 s2, s1
	s_cbranch_execz .LBB665_101
; %bb.98:
	v_add_nc_u32_e32 v7, s17, v13
	v_add_nc_u32_e32 v9, s19, v13
	s_mov_b32 s3, 0
	s_mov_b32 s4, exec_lo
	v_mul_lo_u32 v7, v7, s16
	v_mul_lo_u32 v9, v9, s18
	v_sub_nc_u32_e32 v7, v7, v9
	v_cmp_lt_u32_e32 vcc_lo, s20, v7
	v_cmpx_ge_u32_e64 s20, v7
	s_cbranch_execz .LBB665_100
; %bb.99:
	v_add_nc_u32_e32 v7, s22, v13
	v_add_nc_u32_e32 v9, s38, v13
	v_mul_lo_u32 v7, v7, s21
	v_mul_lo_u32 v9, v9, s23
	v_sub_nc_u32_e32 v7, v7, v9
	v_cmp_lt_u32_e64 s1, s39, v7
	s_and_b32 s3, s1, exec_lo
.LBB665_100:
	s_or_b32 exec_lo, exec_lo, s4
	v_mov_b32_e32 v7, 8
	v_mov_b32_e32 v9, 24
	v_cndmask_b32_e64 v11, 0, 1, s3
	v_mov_b32_e32 v12, 0xff
	v_cndmask_b32_e64 v10, 0, 1, vcc_lo
	v_lshrrev_b32_sdwa v25, v7, v8 dst_sel:BYTE_1 dst_unused:UNUSED_PAD src0_sel:DWORD src1_sel:DWORD
	v_lshrrev_b32_sdwa v9, v9, v8 dst_sel:BYTE_1 dst_unused:UNUSED_PAD src0_sel:DWORD src1_sel:DWORD
	;; [unrolled: 1-line block ×3, first 2 shown]
	v_lshlrev_b16 v11, 8, v11
	v_and_b32_sdwa v12, v6, v12 dst_sel:DWORD dst_unused:UNUSED_PAD src0_sel:WORD_1 src1_sel:DWORD
	v_or_b32_sdwa v8, v8, v25 dst_sel:DWORD dst_unused:UNUSED_PAD src0_sel:BYTE_0 src1_sel:DWORD
	v_or_b32_sdwa v9, v10, v9 dst_sel:WORD_1 dst_unused:UNUSED_PAD src0_sel:DWORD src1_sel:DWORD
	v_or_b32_sdwa v6, v6, v7 dst_sel:DWORD dst_unused:UNUSED_PAD src0_sel:BYTE_0 src1_sel:DWORD
	v_or_b32_sdwa v10, v12, v11 dst_sel:WORD_1 dst_unused:UNUSED_PAD src0_sel:DWORD src1_sel:DWORD
	v_or_b32_sdwa v7, v8, v9 dst_sel:DWORD dst_unused:UNUSED_PAD src0_sel:WORD_0 src1_sel:DWORD
	v_or_b32_sdwa v38, v6, v10 dst_sel:DWORD dst_unused:UNUSED_PAD src0_sel:WORD_0 src1_sel:DWORD
.LBB665_101:
	s_or_b32 exec_lo, exec_lo, s2
	v_add_nc_u32_e32 v6, 11, v34
	v_mov_b32_e32 v39, 0
	s_mov_b32 s1, exec_lo
                                        ; implicit-def: $vgpr40
	v_cmpx_le_u32_e64 s5, v6
	s_xor_b32 s1, exec_lo, s1
; %bb.102:
	v_and_b32_e32 v6, 0xff0000, v7
	v_perm_b32 v5, v5, v5, 0x3060504
	v_perm_b32 v40, v7, v6, 0x3020504
                                        ; implicit-def: $vgpr7
; %bb.103:
	s_andn2_saveexec_b32 s2, s1
	s_cbranch_execz .LBB665_107
; %bb.104:
	v_add_nc_u32_e32 v6, s17, v14
	v_add_nc_u32_e32 v8, s19, v14
	s_mov_b32 s3, 0
	s_mov_b32 s4, exec_lo
	v_mul_lo_u32 v6, v6, s16
	v_mul_lo_u32 v8, v8, s18
	v_sub_nc_u32_e32 v6, v6, v8
	v_cmp_lt_u32_e32 vcc_lo, s20, v6
	v_cmpx_ge_u32_e64 s20, v6
	s_cbranch_execz .LBB665_106
; %bb.105:
	v_add_nc_u32_e32 v6, s22, v14
	v_add_nc_u32_e32 v8, s38, v14
	v_mul_lo_u32 v6, v6, s21
	v_mul_lo_u32 v8, v8, s23
	v_sub_nc_u32_e32 v6, v6, v8
	v_cmp_lt_u32_e64 s1, s39, v6
	s_and_b32 s3, s1, exec_lo
.LBB665_106:
	s_or_b32 exec_lo, exec_lo, s4
	v_mov_b32_e32 v6, 8
	v_cndmask_b32_e64 v8, 0, 1, vcc_lo
	v_mov_b32_e32 v9, 0xff
	v_cndmask_b32_e64 v39, 0, 1, s3
	v_lshrrev_b32_sdwa v6, v6, v7 dst_sel:BYTE_1 dst_unused:UNUSED_PAD src0_sel:DWORD src1_sel:DWORD
	v_lshlrev_b16 v8, 8, v8
	v_and_b32_sdwa v9, v7, v9 dst_sel:DWORD dst_unused:UNUSED_PAD src0_sel:WORD_1 src1_sel:DWORD
	v_or_b32_sdwa v6, v7, v6 dst_sel:DWORD dst_unused:UNUSED_PAD src0_sel:BYTE_0 src1_sel:DWORD
	v_or_b32_sdwa v7, v9, v8 dst_sel:WORD_1 dst_unused:UNUSED_PAD src0_sel:DWORD src1_sel:DWORD
	v_or_b32_sdwa v40, v6, v7 dst_sel:DWORD dst_unused:UNUSED_PAD src0_sel:WORD_0 src1_sel:DWORD
.LBB665_107:
	s_or_b32 exec_lo, exec_lo, s2
	v_add_nc_u32_e32 v6, 12, v34
	s_mov_b32 s1, exec_lo
                                        ; implicit-def: $vgpr41
	v_cmpx_le_u32_e64 s5, v6
	s_xor_b32 s1, exec_lo, s1
	s_cbranch_execz .LBB665_109
; %bb.108:
	v_mov_b32_e32 v6, 24
	v_mov_b32_e32 v7, 0xff
	;; [unrolled: 1-line block ×3, first 2 shown]
	v_lshrrev_b32_sdwa v6, v6, v5 dst_sel:BYTE_1 dst_unused:UNUSED_PAD src0_sel:DWORD src1_sel:DWORD
	v_and_b32_sdwa v7, v5, v7 dst_sel:DWORD dst_unused:UNUSED_PAD src0_sel:WORD_1 src1_sel:DWORD
	v_lshrrev_b32_sdwa v5, v8, v5 dst_sel:BYTE_1 dst_unused:UNUSED_PAD src0_sel:DWORD src1_sel:DWORD
	v_or_b32_sdwa v6, v7, v6 dst_sel:WORD_1 dst_unused:UNUSED_PAD src0_sel:DWORD src1_sel:DWORD
	v_or_b32_sdwa v41, v5, v6 dst_sel:DWORD dst_unused:UNUSED_PAD src0_sel:WORD_0 src1_sel:DWORD
                                        ; implicit-def: $vgpr5
.LBB665_109:
	s_or_saveexec_b32 s2, s1
	v_mov_b32_e32 v42, 0
	s_xor_b32 exec_lo, exec_lo, s2
	s_cbranch_execz .LBB665_113
; %bb.110:
	v_add_nc_u32_e32 v6, s17, v33
	v_add_nc_u32_e32 v7, s19, v33
	s_mov_b32 s3, 0
	s_mov_b32 s4, exec_lo
	v_mul_lo_u32 v6, v6, s16
	v_mul_lo_u32 v7, v7, s18
	v_sub_nc_u32_e32 v6, v6, v7
	v_cmp_lt_u32_e32 vcc_lo, s20, v6
	v_cmpx_ge_u32_e64 s20, v6
	s_cbranch_execz .LBB665_112
; %bb.111:
	v_add_nc_u32_e32 v6, s22, v33
	v_add_nc_u32_e32 v7, s38, v33
	v_mul_lo_u32 v6, v6, s21
	v_mul_lo_u32 v7, v7, s23
	v_sub_nc_u32_e32 v6, v6, v7
	v_cmp_lt_u32_e64 s1, s39, v6
	s_and_b32 s3, s1, exec_lo
.LBB665_112:
	s_or_b32 exec_lo, exec_lo, s4
	v_mov_b32_e32 v6, 24
	v_mov_b32_e32 v7, 0xff
	;; [unrolled: 1-line block ×3, first 2 shown]
	v_cndmask_b32_e64 v9, 0, 1, vcc_lo
	v_cndmask_b32_e64 v42, 0, 1, s3
	v_lshrrev_b32_sdwa v6, v6, v5 dst_sel:BYTE_1 dst_unused:UNUSED_PAD src0_sel:DWORD src1_sel:DWORD
	v_and_b32_sdwa v7, v5, v7 dst_sel:DWORD dst_unused:UNUSED_PAD src0_sel:WORD_1 src1_sel:DWORD
	v_lshrrev_b32_sdwa v5, v8, v5 dst_sel:BYTE_1 dst_unused:UNUSED_PAD src0_sel:DWORD src1_sel:DWORD
	v_or_b32_sdwa v6, v7, v6 dst_sel:WORD_1 dst_unused:UNUSED_PAD src0_sel:DWORD src1_sel:DWORD
	v_or_b32_e32 v5, v9, v5
	v_or_b32_sdwa v41, v5, v6 dst_sel:DWORD dst_unused:UNUSED_PAD src0_sel:WORD_0 src1_sel:DWORD
.LBB665_113:
	s_or_b32 exec_lo, exec_lo, s2
.LBB665_114:
	v_and_b32_e32 v65, 0xff, v35
	v_bfe_u32 v66, v41, 8, 8
	v_bfe_u32 v62, v35, 8, 8
	;; [unrolled: 1-line block ×4, first 2 shown]
	v_lshrrev_b32_e32 v48, 24, v41
	v_lshrrev_b32_e32 v47, 24, v35
	v_and_b32_e32 v61, 0xff, v36
	v_and_b32_e32 v59, 0xff, v37
	v_bfe_u32 v60, v36, 8, 8
	v_add3_u32 v5, v62, v65, v64
	v_add3_u32 v6, v63, v66, v48
	v_bfe_u32 v57, v37, 8, 8
	v_bfe_u32 v58, v36, 16, 8
	;; [unrolled: 1-line block ×3, first 2 shown]
	v_lshrrev_b32_e32 v46, 24, v36
	v_add3_u32 v5, v5, v47, v59
	v_add3_u32 v6, v6, v61, v60
	v_lshrrev_b32_e32 v45, 24, v37
	v_and_b32_e32 v56, 0xff, v38
	v_and_b32_e32 v54, 0xff, v40
	v_bfe_u32 v55, v38, 8, 8
	v_add3_u32 v5, v5, v57, v52
	v_add3_u32 v6, v6, v58, v46
	v_bfe_u32 v51, v40, 8, 8
	v_bfe_u32 v53, v38, 16, 8
	;; [unrolled: 1-line block ×3, first 2 shown]
	v_lshrrev_b32_e32 v44, 24, v38
	v_add3_u32 v5, v5, v45, v54
	v_add3_u32 v6, v6, v56, v55
	v_mbcnt_lo_u32_b32 v67, -1, 0
	v_lshrrev_b32_e32 v43, 24, v40
	v_and_b32_e32 v50, 0xff, v39
	v_and_b32_e32 v7, 0xff, v41
	;; [unrolled: 1-line block ×3, first 2 shown]
	v_add3_u32 v5, v5, v51, v49
	v_add3_u32 v6, v6, v53, v44
	v_and_b32_e32 v69, 15, v67
	v_and_b32_e32 v71, 16, v67
	v_lshrrev_b32_e32 v68, 5, v0
	v_add3_u32 v72, v5, v43, v7
	v_add3_u32 v73, v6, v50, v8
	v_cmp_eq_u32_e64 s2, 0, v69
	v_cmp_lt_u32_e64 s1, 1, v69
	v_cmp_lt_u32_e64 s3, 3, v69
	v_or_b32_e32 v70, 31, v0
	s_cmp_lg_u32 s27, 0
	s_mov_b32 s4, -1
	v_cmp_lt_u32_e32 vcc_lo, 7, v69
	s_cbranch_scc0 .LBB665_136
; %bb.115:
	v_mov_b32_dpp v5, v73 row_shr:1 row_mask:0xf bank_mask:0xf
	v_mov_b32_dpp v6, v72 row_shr:1 row_mask:0xf bank_mask:0xf
	s_mov_b32 s4, exec_lo
	v_add_nc_u32_e32 v5, v5, v73
	v_add_nc_u32_e32 v6, v6, v72
	v_cndmask_b32_e64 v5, v5, v73, s2
	v_cndmask_b32_e64 v6, v6, v72, s2
	v_mov_b32_dpp v7, v5 row_shr:2 row_mask:0xf bank_mask:0xf
	v_mov_b32_dpp v8, v6 row_shr:2 row_mask:0xf bank_mask:0xf
	v_add_nc_u32_e32 v7, v5, v7
	v_add_nc_u32_e32 v8, v6, v8
	v_cndmask_b32_e64 v5, v5, v7, s1
	v_cndmask_b32_e64 v6, v6, v8, s1
	v_mov_b32_dpp v7, v5 row_shr:4 row_mask:0xf bank_mask:0xf
	v_mov_b32_dpp v8, v6 row_shr:4 row_mask:0xf bank_mask:0xf
	;; [unrolled: 6-line block ×3, first 2 shown]
	v_add_nc_u32_e32 v7, v5, v7
	v_add_nc_u32_e32 v8, v6, v8
	v_cndmask_b32_e32 v5, v5, v7, vcc_lo
	v_cndmask_b32_e32 v6, v6, v8, vcc_lo
	v_cmp_eq_u32_e32 vcc_lo, 0, v71
	ds_swizzle_b32 v7, v5 offset:swizzle(BROADCAST,32,15)
	ds_swizzle_b32 v8, v6 offset:swizzle(BROADCAST,32,15)
	s_waitcnt lgkmcnt(1)
	v_add_nc_u32_e32 v7, v5, v7
	s_waitcnt lgkmcnt(0)
	v_add_nc_u32_e32 v8, v6, v8
	v_cmpx_eq_u32_e64 v0, v70
	s_cbranch_execz .LBB665_117
; %bb.116:
	v_lshlrev_b32_e32 v11, 3, v68
	v_cndmask_b32_e32 v10, v7, v5, vcc_lo
	v_cndmask_b32_e32 v9, v8, v6, vcc_lo
	ds_write_b64 v11, v[9:10]
.LBB665_117:
	s_or_b32 exec_lo, exec_lo, s4
	s_mov_b32 s4, exec_lo
	s_waitcnt lgkmcnt(0)
	s_barrier
	buffer_gl0_inv
	v_cmpx_gt_u32_e32 8, v0
	s_cbranch_execz .LBB665_119
; %bb.118:
	v_lshlrev_b32_e32 v11, 3, v0
	v_and_b32_e32 v26, 7, v67
	ds_read_b64 v[9:10], v11
	v_cmp_eq_u32_e64 s3, 0, v26
	s_waitcnt lgkmcnt(0)
	v_mov_b32_dpp v12, v9 row_shr:1 row_mask:0xf bank_mask:0xf
	v_mov_b32_dpp v25, v10 row_shr:1 row_mask:0xf bank_mask:0xf
	v_add_nc_u32_e32 v12, v12, v9
	v_add_nc_u32_e32 v25, v25, v10
	v_cndmask_b32_e64 v9, v12, v9, s3
	v_cndmask_b32_e64 v10, v25, v10, s3
	v_cmp_lt_u32_e64 s3, 1, v26
	v_mov_b32_dpp v12, v9 row_shr:2 row_mask:0xf bank_mask:0xf
	v_mov_b32_dpp v25, v10 row_shr:2 row_mask:0xf bank_mask:0xf
	v_add_nc_u32_e32 v12, v9, v12
	v_add_nc_u32_e32 v25, v10, v25
	v_cndmask_b32_e64 v9, v9, v12, s3
	v_cndmask_b32_e64 v10, v10, v25, s3
	v_cmp_lt_u32_e64 s3, 3, v26
	v_mov_b32_dpp v12, v9 row_shr:4 row_mask:0xf bank_mask:0xf
	v_mov_b32_dpp v25, v10 row_shr:4 row_mask:0xf bank_mask:0xf
	v_cndmask_b32_e64 v12, 0, v12, s3
	v_cndmask_b32_e64 v25, 0, v25, s3
	v_add_nc_u32_e32 v9, v12, v9
	v_add_nc_u32_e32 v10, v25, v10
	ds_write_b64 v11, v[9:10]
.LBB665_119:
	s_or_b32 exec_lo, exec_lo, s4
	v_cndmask_b32_e32 v5, v7, v5, vcc_lo
	v_cndmask_b32_e32 v6, v8, v6, vcc_lo
	s_mov_b32 s4, exec_lo
	v_cmp_gt_u32_e32 vcc_lo, 32, v0
	s_waitcnt lgkmcnt(0)
	s_barrier
	buffer_gl0_inv
                                        ; implicit-def: $vgpr25
	v_cmpx_lt_u32_e32 31, v0
	s_cbranch_execz .LBB665_121
; %bb.120:
	v_lshl_add_u32 v7, v68, 3, -8
	ds_read_b64 v[25:26], v7
	s_waitcnt lgkmcnt(0)
	v_add_nc_u32_e32 v5, v26, v5
	v_add_nc_u32_e32 v6, v25, v6
.LBB665_121:
	s_or_b32 exec_lo, exec_lo, s4
	v_sub_co_u32 v7, s3, v67, 1
	v_cmp_gt_i32_e64 s4, 0, v7
	v_cndmask_b32_e64 v7, v7, v67, s4
	v_lshlrev_b32_e32 v7, 2, v7
	ds_bpermute_b32 v74, v7, v6
	ds_bpermute_b32 v75, v7, v5
	s_and_saveexec_b32 s4, vcc_lo
	s_cbranch_execz .LBB665_141
; %bb.122:
	v_mov_b32_e32 v8, 0
	ds_read_b64 v[5:6], v8 offset:56
	s_and_saveexec_b32 s6, s3
	s_cbranch_execz .LBB665_124
; %bb.123:
	s_add_i32 s8, s27, 32
	s_mov_b32 s9, 0
	v_mov_b32_e32 v7, 1
	s_lshl_b64 s[8:9], s[8:9], 4
	s_add_u32 s8, s36, s8
	s_addc_u32 s9, s37, s9
	v_mov_b32_e32 v10, s9
	v_mov_b32_e32 v9, s8
	s_waitcnt lgkmcnt(0)
	;;#ASMSTART
	global_store_dwordx4 v[9:10], v[5:8] off	
s_waitcnt vmcnt(0)
	;;#ASMEND
.LBB665_124:
	s_or_b32 exec_lo, exec_lo, s6
	v_xad_u32 v27, v67, -1, s27
	s_mov_b32 s7, 0
	v_add_nc_u32_e32 v7, 32, v27
	v_lshlrev_b64 v[9:10], 4, v[7:8]
	v_add_co_u32 v28, vcc_lo, s36, v9
	v_add_co_ci_u32_e64 v29, null, s37, v10, vcc_lo
	;;#ASMSTART
	global_load_dwordx4 v[9:12], v[28:29] off glc dlc	
s_waitcnt vmcnt(0)
	;;#ASMEND
	v_cmp_eq_u16_sdwa s8, v11, v8 src0_sel:BYTE_0 src1_sel:DWORD
	s_and_saveexec_b32 s6, s8
	s_cbranch_execz .LBB665_128
; %bb.125:
	v_mov_b32_e32 v7, 0
.LBB665_126:                            ; =>This Inner Loop Header: Depth=1
	;;#ASMSTART
	global_load_dwordx4 v[9:12], v[28:29] off glc dlc	
s_waitcnt vmcnt(0)
	;;#ASMEND
	v_cmp_ne_u16_sdwa s8, v11, v7 src0_sel:BYTE_0 src1_sel:DWORD
	s_or_b32 s7, s8, s7
	s_andn2_b32 exec_lo, exec_lo, s7
	s_cbranch_execnz .LBB665_126
; %bb.127:
	s_or_b32 exec_lo, exec_lo, s7
.LBB665_128:
	s_or_b32 exec_lo, exec_lo, s6
	v_cmp_ne_u32_e32 vcc_lo, 31, v67
	v_mov_b32_e32 v77, 2
	v_lshlrev_b32_e64 v78, v67, -1
	v_add_nc_u32_e32 v80, 2, v67
	v_add_nc_u32_e32 v82, 4, v67
	v_add_co_ci_u32_e64 v7, null, 0, v67, vcc_lo
	v_cmp_eq_u16_sdwa s6, v11, v77 src0_sel:BYTE_0 src1_sel:DWORD
	v_cmp_gt_u32_e32 vcc_lo, 30, v67
	v_add_nc_u32_e32 v84, 8, v67
	v_lshlrev_b32_e32 v76, 2, v7
	v_lshl_or_b32 v85, v67, 2, 64
	v_and_b32_e32 v12, s6, v78
	v_cndmask_b32_e64 v28, 0, 2, vcc_lo
	v_add_nc_u32_e32 v86, 16, v67
	ds_bpermute_b32 v7, v76, v10
	ds_bpermute_b32 v8, v76, v9
	v_or_b32_e32 v12, 0x80000000, v12
	v_add_lshl_u32 v79, v28, v67, 2
	v_ffbl_b32_e32 v12, v12
	v_cmp_lt_u32_e32 vcc_lo, v67, v12
	s_waitcnt lgkmcnt(1)
	v_add_nc_u32_e32 v7, v7, v10
	s_waitcnt lgkmcnt(0)
	v_add_nc_u32_e32 v8, v8, v9
	v_cndmask_b32_e32 v7, v10, v7, vcc_lo
	v_cndmask_b32_e32 v8, v9, v8, vcc_lo
	v_cmp_gt_u32_e32 vcc_lo, 28, v67
	ds_bpermute_b32 v9, v79, v7
	ds_bpermute_b32 v10, v79, v8
	v_cndmask_b32_e64 v28, 0, 4, vcc_lo
	v_cmp_gt_u32_e32 vcc_lo, v80, v12
	v_add_lshl_u32 v81, v28, v67, 2
	s_waitcnt lgkmcnt(1)
	v_add_nc_u32_e32 v9, v7, v9
	s_waitcnt lgkmcnt(0)
	v_add_nc_u32_e32 v10, v8, v10
	v_cndmask_b32_e32 v7, v9, v7, vcc_lo
	v_cndmask_b32_e32 v8, v10, v8, vcc_lo
	v_cmp_gt_u32_e32 vcc_lo, 24, v67
	ds_bpermute_b32 v9, v81, v7
	ds_bpermute_b32 v10, v81, v8
	v_cndmask_b32_e64 v28, 0, 8, vcc_lo
	v_cmp_gt_u32_e32 vcc_lo, v82, v12
	v_add_lshl_u32 v83, v28, v67, 2
	v_mov_b32_e32 v28, 0
	s_waitcnt lgkmcnt(1)
	v_add_nc_u32_e32 v9, v7, v9
	s_waitcnt lgkmcnt(0)
	v_add_nc_u32_e32 v10, v8, v10
	v_cndmask_b32_e32 v7, v9, v7, vcc_lo
	v_cndmask_b32_e32 v8, v10, v8, vcc_lo
	v_cmp_gt_u32_e32 vcc_lo, v84, v12
	ds_bpermute_b32 v9, v83, v7
	ds_bpermute_b32 v10, v83, v8
	s_waitcnt lgkmcnt(1)
	v_add_nc_u32_e32 v9, v7, v9
	s_waitcnt lgkmcnt(0)
	v_add_nc_u32_e32 v10, v8, v10
	v_cndmask_b32_e32 v7, v9, v7, vcc_lo
	v_cndmask_b32_e32 v8, v10, v8, vcc_lo
	v_cmp_le_u32_e32 vcc_lo, v86, v12
	ds_bpermute_b32 v10, v85, v7
	ds_bpermute_b32 v9, v85, v8
	s_waitcnt lgkmcnt(1)
	v_cndmask_b32_e32 v10, 0, v10, vcc_lo
	s_waitcnt lgkmcnt(0)
	v_cndmask_b32_e32 v9, 0, v9, vcc_lo
	v_add_nc_u32_e32 v10, v10, v7
	v_add_nc_u32_e32 v9, v9, v8
	s_branch .LBB665_132
.LBB665_129:                            ;   in Loop: Header=BB665_132 Depth=1
	s_or_b32 exec_lo, exec_lo, s7
.LBB665_130:                            ;   in Loop: Header=BB665_132 Depth=1
	s_or_b32 exec_lo, exec_lo, s6
	ds_bpermute_b32 v12, v76, v9
	ds_bpermute_b32 v29, v76, v10
	v_cmp_eq_u16_sdwa s6, v11, v77 src0_sel:BYTE_0 src1_sel:DWORD
	v_subrev_nc_u32_e32 v27, 32, v27
	v_and_or_b32 v30, s6, v78, 0x80000000
	s_mov_b32 s6, 0
	v_ffbl_b32_e32 v30, v30
	v_cmp_lt_u32_e32 vcc_lo, v67, v30
	s_waitcnt lgkmcnt(1)
	v_add_nc_u32_e32 v12, v12, v9
	s_waitcnt lgkmcnt(0)
	v_add_nc_u32_e32 v29, v29, v10
	v_cndmask_b32_e32 v9, v9, v12, vcc_lo
	v_cndmask_b32_e32 v10, v10, v29, vcc_lo
	v_cmp_gt_u32_e32 vcc_lo, v80, v30
	ds_bpermute_b32 v12, v79, v9
	ds_bpermute_b32 v29, v79, v10
	s_waitcnt lgkmcnt(1)
	v_add_nc_u32_e32 v12, v9, v12
	s_waitcnt lgkmcnt(0)
	v_add_nc_u32_e32 v29, v10, v29
	v_cndmask_b32_e32 v9, v12, v9, vcc_lo
	v_cndmask_b32_e32 v10, v29, v10, vcc_lo
	v_cmp_gt_u32_e32 vcc_lo, v82, v30
	ds_bpermute_b32 v12, v81, v9
	ds_bpermute_b32 v29, v81, v10
	;; [unrolled: 9-line block ×3, first 2 shown]
	s_waitcnt lgkmcnt(1)
	v_add_nc_u32_e32 v12, v9, v12
	s_waitcnt lgkmcnt(0)
	v_add_nc_u32_e32 v29, v10, v29
	v_cndmask_b32_e32 v9, v12, v9, vcc_lo
	v_cndmask_b32_e32 v10, v29, v10, vcc_lo
	v_cmp_le_u32_e32 vcc_lo, v86, v30
	ds_bpermute_b32 v12, v85, v9
	ds_bpermute_b32 v29, v85, v10
	s_waitcnt lgkmcnt(1)
	v_cndmask_b32_e32 v12, 0, v12, vcc_lo
	s_waitcnt lgkmcnt(0)
	v_cndmask_b32_e32 v29, 0, v29, vcc_lo
	v_add3_u32 v9, v9, v7, v12
	v_add3_u32 v10, v10, v8, v29
.LBB665_131:                            ;   in Loop: Header=BB665_132 Depth=1
	s_and_b32 vcc_lo, exec_lo, s6
	s_cbranch_vccnz .LBB665_137
.LBB665_132:                            ; =>This Loop Header: Depth=1
                                        ;     Child Loop BB665_135 Depth 2
	v_cmp_ne_u16_sdwa s6, v11, v77 src0_sel:BYTE_0 src1_sel:DWORD
	v_mov_b32_e32 v7, v9
	v_mov_b32_e32 v8, v10
                                        ; implicit-def: $vgpr11
                                        ; implicit-def: $vgpr9_vgpr10
	s_cmp_lg_u32 s6, exec_lo
	s_mov_b32 s6, -1
	s_cbranch_scc1 .LBB665_131
; %bb.133:                              ;   in Loop: Header=BB665_132 Depth=1
	v_lshlrev_b64 v[9:10], 4, v[27:28]
	v_add_co_u32 v29, vcc_lo, s36, v9
	v_add_co_ci_u32_e64 v30, null, s37, v10, vcc_lo
	;;#ASMSTART
	global_load_dwordx4 v[9:12], v[29:30] off glc dlc	
s_waitcnt vmcnt(0)
	;;#ASMEND
	v_cmp_eq_u16_sdwa s7, v11, v28 src0_sel:BYTE_0 src1_sel:DWORD
	s_and_saveexec_b32 s6, s7
	s_cbranch_execz .LBB665_130
; %bb.134:                              ;   in Loop: Header=BB665_132 Depth=1
	s_mov_b32 s7, 0
.LBB665_135:                            ;   Parent Loop BB665_132 Depth=1
                                        ; =>  This Inner Loop Header: Depth=2
	;;#ASMSTART
	global_load_dwordx4 v[9:12], v[29:30] off glc dlc	
s_waitcnt vmcnt(0)
	;;#ASMEND
	v_cmp_ne_u16_sdwa s8, v11, v28 src0_sel:BYTE_0 src1_sel:DWORD
	s_or_b32 s7, s8, s7
	s_andn2_b32 exec_lo, exec_lo, s7
	s_cbranch_execnz .LBB665_135
	s_branch .LBB665_129
.LBB665_136:
                                        ; implicit-def: $vgpr25
                                        ; implicit-def: $vgpr7
                                        ; implicit-def: $vgpr26
	s_and_b32 vcc_lo, exec_lo, s4
	s_cbranch_vccnz .LBB665_142
	s_branch .LBB665_151
.LBB665_137:
	s_and_saveexec_b32 s6, s3
	s_cbranch_execnz .LBB665_379
; %bb.138:
	s_or_b32 exec_lo, exec_lo, s6
	s_and_saveexec_b32 s6, s3
	s_cbranch_execnz .LBB665_380
.LBB665_139:
	s_or_b32 exec_lo, exec_lo, s6
	s_and_b32 exec_lo, exec_lo, s0
.LBB665_140:
	v_mov_b32_e32 v5, 0
	ds_write_b64 v5, v[7:8] offset:56
.LBB665_141:
	s_or_b32 exec_lo, exec_lo, s4
	v_mov_b32_e32 v5, 0
	s_waitcnt lgkmcnt(0)
	s_barrier
	buffer_gl0_inv
	v_cndmask_b32_e64 v11, v75, v26, s3
	ds_read_b64 v[9:10], v5 offset:56
	s_waitcnt lgkmcnt(0)
	s_barrier
	buffer_gl0_inv
	ds_read_b128 v[5:8], v5 offset:13312
	v_cndmask_b32_e64 v12, v74, v25, s3
	v_add_nc_u32_e32 v11, v10, v11
	v_add_nc_u32_e32 v12, v9, v12
	v_cndmask_b32_e64 v25, v11, v10, s0
	v_cndmask_b32_e64 v26, v12, v9, s0
	s_branch .LBB665_151
.LBB665_142:
	s_waitcnt lgkmcnt(0)
	v_mov_b32_dpp v5, v72 row_shr:1 row_mask:0xf bank_mask:0xf
	v_mov_b32_dpp v6, v73 row_shr:1 row_mask:0xf bank_mask:0xf
	v_cmp_lt_u32_e32 vcc_lo, 3, v69
	v_add_nc_u32_e32 v5, v5, v72
	v_add_nc_u32_e32 v6, v6, v73
	v_cndmask_b32_e64 v5, v5, v72, s2
	v_cndmask_b32_e64 v6, v6, v73, s2
	s_mov_b32 s2, exec_lo
	v_mov_b32_dpp v7, v5 row_shr:2 row_mask:0xf bank_mask:0xf
	v_mov_b32_dpp v8, v6 row_shr:2 row_mask:0xf bank_mask:0xf
	v_add_nc_u32_e32 v7, v5, v7
	v_add_nc_u32_e32 v8, v6, v8
	v_cndmask_b32_e64 v5, v5, v7, s1
	v_cndmask_b32_e64 v6, v6, v8, s1
	v_mov_b32_dpp v7, v5 row_shr:4 row_mask:0xf bank_mask:0xf
	v_mov_b32_dpp v8, v6 row_shr:4 row_mask:0xf bank_mask:0xf
	v_add_nc_u32_e32 v7, v5, v7
	v_add_nc_u32_e32 v8, v6, v8
	v_cndmask_b32_e32 v7, v5, v7, vcc_lo
	v_cndmask_b32_e32 v6, v6, v8, vcc_lo
	v_cmp_lt_u32_e32 vcc_lo, 7, v69
	v_mov_b32_dpp v5, v7 row_shr:8 row_mask:0xf bank_mask:0xf
	v_mov_b32_dpp v8, v6 row_shr:8 row_mask:0xf bank_mask:0xf
	v_add_nc_u32_e32 v9, v7, v5
	v_add_nc_u32_e32 v5, v6, v8
	v_cndmask_b32_e32 v5, v6, v5, vcc_lo
	v_cndmask_b32_e32 v6, v7, v9, vcc_lo
	v_cmp_eq_u32_e32 vcc_lo, 0, v71
	ds_swizzle_b32 v7, v5 offset:swizzle(BROADCAST,32,15)
	ds_swizzle_b32 v8, v6 offset:swizzle(BROADCAST,32,15)
	s_waitcnt lgkmcnt(1)
	v_add_nc_u32_e32 v7, v5, v7
	s_waitcnt lgkmcnt(0)
	v_add_nc_u32_e32 v8, v6, v8
	v_cmpx_eq_u32_e64 v0, v70
	s_cbranch_execz .LBB665_144
; %bb.143:
	v_cndmask_b32_e32 v9, v8, v6, vcc_lo
	v_cndmask_b32_e32 v10, v7, v5, vcc_lo
	v_lshlrev_b32_e32 v11, 3, v68
	ds_write_b64 v11, v[9:10]
.LBB665_144:
	s_or_b32 exec_lo, exec_lo, s2
	s_mov_b32 s2, exec_lo
	s_waitcnt lgkmcnt(0)
	s_barrier
	buffer_gl0_inv
	v_cmpx_gt_u32_e32 8, v0
	s_cbranch_execz .LBB665_146
; %bb.145:
	v_lshlrev_b32_e32 v11, 3, v0
	v_and_b32_e32 v26, 7, v67
	ds_read_b64 v[9:10], v11
	v_cmp_eq_u32_e64 s1, 0, v26
	s_waitcnt lgkmcnt(0)
	v_mov_b32_dpp v12, v9 row_shr:1 row_mask:0xf bank_mask:0xf
	v_mov_b32_dpp v25, v10 row_shr:1 row_mask:0xf bank_mask:0xf
	v_add_nc_u32_e32 v12, v12, v9
	v_add_nc_u32_e32 v25, v25, v10
	v_cndmask_b32_e64 v9, v12, v9, s1
	v_cndmask_b32_e64 v10, v25, v10, s1
	v_cmp_lt_u32_e64 s1, 1, v26
	v_mov_b32_dpp v12, v9 row_shr:2 row_mask:0xf bank_mask:0xf
	v_mov_b32_dpp v25, v10 row_shr:2 row_mask:0xf bank_mask:0xf
	v_add_nc_u32_e32 v12, v9, v12
	v_add_nc_u32_e32 v25, v10, v25
	v_cndmask_b32_e64 v9, v9, v12, s1
	v_cndmask_b32_e64 v10, v10, v25, s1
	v_cmp_lt_u32_e64 s1, 3, v26
	v_mov_b32_dpp v12, v9 row_shr:4 row_mask:0xf bank_mask:0xf
	v_mov_b32_dpp v25, v10 row_shr:4 row_mask:0xf bank_mask:0xf
	v_cndmask_b32_e64 v12, 0, v12, s1
	v_cndmask_b32_e64 v25, 0, v25, s1
	v_add_nc_u32_e32 v9, v12, v9
	v_add_nc_u32_e32 v10, v25, v10
	ds_write_b64 v11, v[9:10]
.LBB665_146:
	s_or_b32 exec_lo, exec_lo, s2
	v_mov_b32_e32 v11, 0
	v_mov_b32_e32 v9, 0
	;; [unrolled: 1-line block ×3, first 2 shown]
	s_mov_b32 s2, exec_lo
	s_waitcnt lgkmcnt(0)
	s_barrier
	buffer_gl0_inv
	v_cmpx_lt_u32_e32 31, v0
; %bb.147:
	v_lshl_add_u32 v9, v68, 3, -8
	ds_read_b64 v[9:10], v9
; %bb.148:
	s_or_b32 exec_lo, exec_lo, s2
	v_sub_co_u32 v12, s1, v67, 1
	v_cndmask_b32_e32 v6, v8, v6, vcc_lo
	v_cndmask_b32_e32 v5, v7, v5, vcc_lo
	v_cmp_gt_i32_e64 s2, 0, v12
	s_waitcnt lgkmcnt(0)
	v_add_nc_u32_e32 v6, v9, v6
	v_add_nc_u32_e32 v5, v10, v5
	v_cndmask_b32_e64 v8, v12, v67, s2
	v_lshlrev_b32_e32 v7, 2, v8
	ds_bpermute_b32 v12, v7, v6
	ds_bpermute_b32 v25, v7, v5
	ds_read_b64 v[5:6], v11 offset:56
	s_and_saveexec_b32 s2, s0
	s_cbranch_execz .LBB665_150
; %bb.149:
	s_add_u32 s6, s36, 0x200
	s_addc_u32 s7, s37, 0
	v_mov_b32_e32 v7, 2
	v_mov_b32_e32 v27, s7
	;; [unrolled: 1-line block ×4, first 2 shown]
	s_waitcnt lgkmcnt(0)
	;;#ASMSTART
	global_store_dwordx4 v[26:27], v[5:8] off	
s_waitcnt vmcnt(0)
	;;#ASMEND
.LBB665_150:
	s_or_b32 exec_lo, exec_lo, s2
	s_waitcnt lgkmcnt(1)
	v_cndmask_b32_e64 v7, v25, v10, s1
	v_cndmask_b32_e64 v9, v12, v9, s1
	v_mov_b32_e32 v8, 0
	s_waitcnt lgkmcnt(0)
	s_barrier
	v_cndmask_b32_e64 v25, v7, 0, s0
	v_cndmask_b32_e64 v26, v9, 0, s0
	v_mov_b32_e32 v7, 0
	buffer_gl0_inv
.LBB665_151:
	v_add_nc_u32_e32 v30, v25, v66
	v_add_nc_u32_e32 v29, v26, v65
	s_waitcnt lgkmcnt(0)
	v_sub_nc_u32_e32 v25, v25, v8
	v_lshrrev_b32_e32 v28, 8, v41
	v_lshlrev_b32_e32 v69, 1, v5
	v_add_nc_u32_e32 v63, v30, v63
	v_sub_nc_u32_e32 v30, v30, v8
	v_add_nc_u32_e32 v62, v29, v62
	v_sub_nc_u32_e32 v26, v26, v7
	;; [unrolled: 2-line block ×3, first 2 shown]
	v_add_nc_u32_e32 v30, v30, v5
	v_and_b32_e32 v28, 1, v28
	v_mov_b32_e32 v71, 1
	v_add3_u32 v34, v69, v6, v34
	v_add_nc_u32_e32 v75, v26, v25
	v_add_nc_u32_e32 v76, v30, v29
	v_add_co_u32 v1, vcc_lo, v1, v7
	v_add_co_ci_u32_e64 v2, null, 0, v2, vcc_lo
	v_sub_co_u32 v67, vcc_lo, v3, v5
	v_subrev_co_ci_u32_e64 v68, null, 0, v4, vcc_lo
	v_and_b32_sdwa v74, v71, v41 dst_sel:DWORD dst_unused:UNUSED_PAD src0_sel:DWORD src1_sel:WORD_1
	v_sub_nc_u32_e32 v76, v34, v76
	v_sub_nc_u32_e32 v75, v34, v75
	v_cmp_eq_u32_e32 vcc_lo, 1, v28
	v_lshrrev_b32_e32 v27, 8, v35
	v_add_nc_u32_e32 v65, v63, v48
	v_and_b32_e32 v70, 1, v35
	v_sub_nc_u32_e32 v63, v63, v8
	v_add_nc_u32_e32 v76, 1, v76
	v_cndmask_b32_e32 v25, v75, v25, vcc_lo
	v_cmp_eq_u32_e32 vcc_lo, 1, v74
	v_add_nc_u32_e32 v64, v62, v64
	v_and_b32_e32 v27, 1, v27
	v_sub_nc_u32_e32 v62, v62, v7
	v_add_nc_u32_e32 v63, v63, v5
	v_cndmask_b32_e32 v30, v76, v30, vcc_lo
	v_cmp_eq_u32_e32 vcc_lo, 1, v70
	v_and_b32_e32 v48, 1, v48
	v_add_nc_u32_e32 v61, v65, v61
	v_add_nc_u32_e32 v74, v63, v62
	v_and_b32_sdwa v35, v71, v35 dst_sel:DWORD dst_unused:UNUSED_PAD src0_sel:DWORD src1_sel:WORD_1
	v_cndmask_b32_e32 v70, v25, v26, vcc_lo
	v_cmp_eq_u32_e32 vcc_lo, 1, v27
	v_sub_nc_u32_e32 v65, v65, v8
	v_add_nc_u32_e32 v66, v64, v47
	v_add_nc_u32_e32 v60, v61, v60
	v_sub_nc_u32_e32 v61, v61, v8
	v_cndmask_b32_e32 v27, v30, v29, vcc_lo
	v_sub_nc_u32_e32 v29, v34, v74
	v_add_co_u32 v25, vcc_lo, v67, v8
	v_add_co_ci_u32_e64 v26, null, 0, v68, vcc_lo
	v_add_nc_u32_e32 v29, 2, v29
	v_cmp_eq_u32_e32 vcc_lo, 1, v48
	v_sub_nc_u32_e32 v48, v64, v7
	v_lshlrev_b32_e32 v30, 2, v70
	v_add_nc_u32_e32 v61, v61, v5
	v_lshlrev_b32_e32 v27, 2, v27
	v_cndmask_b32_e32 v29, v29, v63, vcc_lo
	v_add_nc_u32_e32 v63, v65, v5
	v_cmp_eq_u32_e32 vcc_lo, 1, v35
	v_sub_nc_u32_e32 v35, v66, v7
	v_lshrrev_b32_e32 v12, 8, v36
	ds_write_b32 v30, v23
	ds_write_b32 v27, v24
	v_and_b32_e32 v30, 1, v36
	v_cndmask_b32_e32 v29, v29, v62, vcc_lo
	v_add_nc_u32_e32 v62, v48, v63
	v_add_nc_u32_e32 v24, v35, v61
	;; [unrolled: 1-line block ×3, first 2 shown]
	v_and_b32_e32 v12, 1, v12
	v_lshlrev_b32_e32 v23, 2, v29
	v_sub_nc_u32_e32 v27, v34, v62
	v_and_b32_e32 v29, 1, v47
	v_sub_nc_u32_e32 v47, v60, v8
	v_sub_nc_u32_e32 v24, v34, v24
	v_cmp_eq_u32_e32 vcc_lo, 1, v30
	v_add_nc_u32_e32 v27, 3, v27
	v_add_nc_u32_e32 v57, v59, v57
	v_sub_nc_u32_e32 v59, v59, v7
	v_add_nc_u32_e32 v47, v47, v5
	v_add_nc_u32_e32 v24, 4, v24
	v_cndmask_b32_e32 v27, v27, v63, vcc_lo
	v_cmp_eq_u32_e32 vcc_lo, 1, v12
	v_add_nc_u32_e32 v58, v60, v58
	v_and_b32_e32 v30, 1, v37
	v_add_nc_u32_e32 v60, v59, v47
	v_lshrrev_b32_e32 v11, 8, v37
	v_cndmask_b32_e32 v12, v24, v61, vcc_lo
	v_cmp_eq_u32_e32 vcc_lo, 1, v29
	ds_write_b32 v23, v21
	v_and_b32_sdwa v23, v71, v36 dst_sel:DWORD dst_unused:UNUSED_PAD src0_sel:DWORD src1_sel:WORD_1
	v_add_nc_u32_e32 v72, v58, v46
	v_and_b32_e32 v11, 1, v11
	v_cndmask_b32_e32 v24, v27, v48, vcc_lo
	v_sub_nc_u32_e32 v27, v34, v60
	v_cmp_eq_u32_e32 vcc_lo, 1, v30
	v_add_nc_u32_e32 v52, v57, v52
	v_sub_nc_u32_e32 v29, v72, v8
	v_lshlrev_b32_e32 v21, 2, v24
	v_add_nc_u32_e32 v24, 5, v27
	v_cndmask_b32_e32 v12, v12, v35, vcc_lo
	v_sub_nc_u32_e32 v27, v58, v8
	v_cmp_eq_u32_e32 vcc_lo, 1, v23
	v_add_nc_u32_e32 v29, v29, v5
	v_add_nc_u32_e32 v56, v72, v56
	v_lshlrev_b32_e32 v12, 2, v12
	v_add_nc_u32_e32 v27, v27, v5
	v_cndmask_b32_e32 v23, v24, v47, vcc_lo
	v_sub_nc_u32_e32 v24, v57, v7
	v_cmp_eq_u32_e32 vcc_lo, 1, v11
	ds_write_b32 v21, v22
	ds_write_b32 v12, v19
	v_and_b32_e32 v22, 1, v46
	v_and_b32_e32 v35, 1, v38
	v_add_nc_u32_e32 v30, v24, v27
	v_cndmask_b32_e32 v11, v23, v59, vcc_lo
	v_sub_nc_u32_e32 v23, v52, v7
	v_cmp_eq_u32_e32 vcc_lo, 1, v22
	v_add_nc_u32_e32 v73, v52, v45
	v_sub_nc_u32_e32 v19, v34, v30
	v_sub_nc_u32_e32 v30, v56, v8
	v_add_nc_u32_e32 v12, v23, v29
	v_and_b32_sdwa v21, v71, v37 dst_sel:DWORD dst_unused:UNUSED_PAD src0_sel:DWORD src1_sel:WORD_1
	v_sub_nc_u32_e32 v36, v73, v7
	v_add_nc_u32_e32 v19, 6, v19
	v_add_nc_u32_e32 v30, v30, v5
	v_sub_nc_u32_e32 v12, v34, v12
	v_and_b32_e32 v22, 1, v45
	v_lshrrev_b32_e32 v10, 8, v38
	v_cndmask_b32_e32 v19, v19, v27, vcc_lo
	v_cmp_eq_u32_e32 vcc_lo, 1, v35
	v_add_nc_u32_e32 v12, 7, v12
	v_add_nc_u32_e32 v55, v56, v55
	;; [unrolled: 1-line block ×4, first 2 shown]
	v_and_b32_e32 v10, 1, v10
	v_cndmask_b32_e32 v12, v12, v29, vcc_lo
	v_cmp_eq_u32_e32 vcc_lo, 1, v21
	v_sub_nc_u32_e32 v21, v34, v27
	v_add_nc_u32_e32 v53, v55, v53
	v_lshlrev_b32_e32 v11, 2, v11
	v_add_nc_u32_e32 v51, v54, v51
	v_cndmask_b32_e32 v19, v19, v24, vcc_lo
	v_cmp_eq_u32_e32 vcc_lo, 1, v22
	v_sub_nc_u32_e32 v22, v55, v8
	v_add_nc_u32_e32 v21, 8, v21
	v_sub_nc_u32_e32 v24, v54, v7
	v_lshlrev_b32_e32 v19, 2, v19
	v_cndmask_b32_e32 v12, v12, v23, vcc_lo
	v_add_nc_u32_e32 v22, v22, v5
	v_cmp_eq_u32_e32 vcc_lo, 1, v10
	v_add_nc_u32_e32 v77, v53, v44
	v_and_b32_e32 v23, 1, v40
	v_lshlrev_b32_e32 v12, 2, v12
	ds_write_b32 v11, v20
	ds_write_b32 v19, v17
	;; [unrolled: 1-line block ×3, first 2 shown]
	v_cndmask_b32_e32 v10, v21, v30, vcc_lo
	v_add_nc_u32_e32 v21, v24, v22
	v_sub_nc_u32_e32 v12, v53, v8
	v_lshrrev_b32_e32 v9, 8, v40
	v_add_nc_u32_e32 v49, v51, v49
	v_cmp_eq_u32_e32 vcc_lo, 1, v23
	v_sub_nc_u32_e32 v11, v34, v21
	v_and_b32_sdwa v17, v71, v38 dst_sel:DWORD dst_unused:UNUSED_PAD src0_sel:DWORD src1_sel:WORD_1
	v_sub_nc_u32_e32 v18, v51, v7
	v_sub_nc_u32_e32 v19, v77, v8
	v_add_nc_u32_e32 v12, v12, v5
	v_cndmask_b32_e32 v10, v10, v36, vcc_lo
	v_and_b32_e32 v9, 1, v9
	v_add_nc_u32_e32 v11, 9, v11
	v_cmp_eq_u32_e32 vcc_lo, 1, v17
	v_sub_nc_u32_e32 v17, v49, v7
	v_add_nc_u32_e32 v19, v19, v5
	v_add_nc_u32_e32 v20, v18, v12
	;; [unrolled: 1-line block ×3, first 2 shown]
	v_cndmask_b32_e32 v11, v11, v22, vcc_lo
	v_cmp_eq_u32_e32 vcc_lo, 1, v9
	v_add_nc_u32_e32 v21, v17, v19
	v_sub_nc_u32_e32 v20, v34, v20
	v_and_b32_e32 v23, 1, v44
	v_add_nc_u32_e32 v50, v49, v43
	v_cndmask_b32_e32 v9, v11, v24, vcc_lo
	v_sub_nc_u32_e32 v11, v28, v8
	v_sub_nc_u32_e32 v21, v34, v21
	v_add_nc_u32_e32 v20, 10, v20
	v_and_b32_e32 v24, 1, v39
	v_cmp_eq_u32_e32 vcc_lo, 1, v23
	v_and_b32_sdwa v22, v71, v40 dst_sel:DWORD dst_unused:UNUSED_PAD src0_sel:DWORD src1_sel:WORD_1
	v_sub_nc_u32_e32 v7, v50, v7
	v_add_nc_u32_e32 v11, v11, v5
	v_add_nc_u32_e32 v21, 11, v21
	v_cndmask_b32_e32 v12, v20, v12, vcc_lo
	v_cmp_eq_u32_e32 vcc_lo, 1, v24
	v_and_b32_e32 v20, 1, v43
	v_add_nc_u32_e32 v27, v7, v11
	v_lshlrev_b32_e32 v10, 2, v10
	v_lshlrev_b32_e32 v9, 2, v9
	v_cndmask_b32_e32 v19, v21, v19, vcc_lo
	v_cmp_eq_u32_e32 vcc_lo, 1, v22
	v_sub_nc_u32_e32 v23, v34, v27
	v_cndmask_b32_e32 v12, v12, v18, vcc_lo
	v_and_b32_e32 v18, 1, v42
	v_cmp_eq_u32_e32 vcc_lo, 1, v20
	v_add_nc_u32_e32 v21, 12, v23
	v_lshlrev_b32_e32 v12, 2, v12
	v_cndmask_b32_e32 v17, v19, v17, vcc_lo
	v_and_b32_e32 v19, 1, v41
	v_cmp_eq_u32_e32 vcc_lo, 1, v18
	v_lshlrev_b32_e32 v17, 2, v17
	ds_write_b32 v10, v15
	ds_write_b32 v9, v16
	;; [unrolled: 1-line block ×4, first 2 shown]
	v_cndmask_b32_e32 v11, v21, v11, vcc_lo
	v_cmp_eq_u32_e32 vcc_lo, 1, v19
	v_add_co_u32 v9, s1, v6, v69
	v_add_co_ci_u32_e64 v10, null, 0, 0, s1
	v_cndmask_b32_e32 v7, v11, v7, vcc_lo
	v_add_co_u32 v11, s1, s34, v31
	v_add_co_ci_u32_e64 v12, null, s35, 0, s1
	v_lshlrev_b32_e32 v7, 2, v7
	v_add_nc_u32_e32 v14, v5, v6
	ds_write_b32 v7, v33
	v_add_co_u32 v7, vcc_lo, v9, v25
	v_add_co_ci_u32_e64 v9, null, v10, v26, vcc_lo
	s_waitcnt lgkmcnt(0)
	v_add_co_u32 v7, vcc_lo, v7, v1
	v_add_co_ci_u32_e64 v13, null, v9, v2, vcc_lo
	v_lshlrev_b64 v[9:10], 2, v[25:26]
	v_sub_co_u32 v7, vcc_lo, v11, v7
	v_sub_co_ci_u32_e64 v13, null, v12, v13, vcc_lo
	v_lshlrev_b64 v[11:12], 2, v[1:2]
	v_add_co_u32 v9, vcc_lo, s30, v9
	v_add_co_ci_u32_e64 v10, null, s31, v10, vcc_lo
	v_cmp_ne_u32_e32 vcc_lo, 1, v32
	v_add_co_u32 v11, s1, s28, v11
	v_add_co_ci_u32_e64 v12, null, s29, v12, s1
	s_mov_b32 s1, -1
	s_barrier
	buffer_gl0_inv
	s_cbranch_vccz .LBB665_155
; %bb.152:
	s_and_b32 vcc_lo, exec_lo, s1
	s_cbranch_vccnz .LBB665_260
.LBB665_153:
	s_and_b32 s0, s0, s26
	s_and_saveexec_b32 s1, s0
	s_cbranch_execnz .LBB665_378
.LBB665_154:
	s_endpgm
.LBB665_155:
	s_mov_b32 s1, exec_lo
	v_cmpx_ge_u32_e64 v0, v5
	s_xor_b32 s1, exec_lo, s1
	s_cbranch_execz .LBB665_161
; %bb.156:
	s_mov_b32 s2, exec_lo
	v_cmpx_ge_u32_e64 v0, v14
	s_xor_b32 s2, exec_lo, s2
	s_cbranch_execz .LBB665_158
; %bb.157:
	v_lshlrev_b32_e32 v15, 2, v0
	ds_read_b32 v17, v15
	v_add_co_u32 v15, vcc_lo, v7, v0
	v_add_co_ci_u32_e64 v16, null, 0, v13, vcc_lo
	v_lshlrev_b64 v[15:16], 2, v[15:16]
	v_sub_co_u32 v15, vcc_lo, s14, v15
	v_sub_co_ci_u32_e64 v16, null, s15, v16, vcc_lo
	s_waitcnt lgkmcnt(0)
	global_store_dword v[15:16], v17, off offset:-4
.LBB665_158:
	s_andn2_saveexec_b32 s2, s2
	s_cbranch_execz .LBB665_160
; %bb.159:
	v_lshlrev_b32_e32 v15, 2, v0
	v_readfirstlane_b32 s6, v9
	v_readfirstlane_b32 s7, v10
	ds_read_b32 v16, v15
	s_waitcnt lgkmcnt(0)
	global_store_dword v15, v16, s[6:7]
.LBB665_160:
	s_or_b32 exec_lo, exec_lo, s2
.LBB665_161:
	s_andn2_saveexec_b32 s1, s1
	s_cbranch_execz .LBB665_163
; %bb.162:
	v_lshlrev_b32_e32 v15, 2, v0
	v_readfirstlane_b32 s2, v11
	v_readfirstlane_b32 s3, v12
	ds_read_b32 v16, v15
	s_waitcnt lgkmcnt(0)
	global_store_dword v15, v16, s[2:3]
.LBB665_163:
	s_or_b32 exec_lo, exec_lo, s1
	v_or_b32_e32 v15, 0x100, v0
	s_mov_b32 s1, exec_lo
	v_cmpx_ge_u32_e64 v15, v5
	s_xor_b32 s1, exec_lo, s1
	s_cbranch_execz .LBB665_169
; %bb.164:
	s_mov_b32 s2, exec_lo
	v_cmpx_ge_u32_e64 v15, v14
	s_xor_b32 s2, exec_lo, s2
	s_cbranch_execz .LBB665_166
; %bb.165:
	v_lshlrev_b32_e32 v15, 2, v0
	ds_read_b32 v17, v15 offset:1024
	v_add_co_u32 v15, vcc_lo, v7, v0
	v_add_co_ci_u32_e64 v16, null, 0, v13, vcc_lo
	v_lshlrev_b64 v[15:16], 2, v[15:16]
	v_sub_co_u32 v15, vcc_lo, s14, v15
	v_sub_co_ci_u32_e64 v16, null, s15, v16, vcc_lo
	s_waitcnt lgkmcnt(0)
	global_store_dword v[15:16], v17, off offset:-1028
.LBB665_166:
	s_andn2_saveexec_b32 s2, s2
	s_cbranch_execz .LBB665_168
; %bb.167:
	v_lshlrev_b32_e32 v15, 2, v0
	v_readfirstlane_b32 s6, v9
	v_readfirstlane_b32 s7, v10
	ds_read_b32 v16, v15 offset:1024
	s_waitcnt lgkmcnt(0)
	global_store_dword v15, v16, s[6:7] offset:1024
.LBB665_168:
	s_or_b32 exec_lo, exec_lo, s2
.LBB665_169:
	s_andn2_saveexec_b32 s1, s1
	s_cbranch_execz .LBB665_171
; %bb.170:
	v_lshlrev_b32_e32 v15, 2, v0
	v_readfirstlane_b32 s2, v11
	v_readfirstlane_b32 s3, v12
	ds_read_b32 v16, v15 offset:1024
	s_waitcnt lgkmcnt(0)
	global_store_dword v15, v16, s[2:3] offset:1024
.LBB665_171:
	s_or_b32 exec_lo, exec_lo, s1
	v_or_b32_e32 v15, 0x200, v0
	s_mov_b32 s1, exec_lo
	v_cmpx_ge_u32_e64 v15, v5
	s_xor_b32 s1, exec_lo, s1
	s_cbranch_execz .LBB665_177
; %bb.172:
	s_mov_b32 s2, exec_lo
	v_cmpx_ge_u32_e64 v15, v14
	s_xor_b32 s2, exec_lo, s2
	s_cbranch_execz .LBB665_174
; %bb.173:
	v_lshlrev_b32_e32 v17, 2, v0
	v_add_co_u32 v15, vcc_lo, v7, v0
	v_add_co_ci_u32_e64 v16, null, 0, v13, vcc_lo
	ds_read_b32 v17, v17 offset:2048
	v_lshlrev_b64 v[15:16], 2, v[15:16]
	v_sub_co_u32 v15, vcc_lo, s14, v15
	v_sub_co_ci_u32_e64 v16, null, s15, v16, vcc_lo
	v_add_co_u32 v15, vcc_lo, 0xfffff800, v15
	v_add_co_ci_u32_e64 v16, null, -1, v16, vcc_lo
	s_waitcnt lgkmcnt(0)
	global_store_dword v[15:16], v17, off offset:-4
                                        ; implicit-def: $vgpr15
.LBB665_174:
	s_andn2_saveexec_b32 s2, s2
	s_cbranch_execz .LBB665_176
; %bb.175:
	v_lshlrev_b32_e32 v16, 2, v0
	v_lshlrev_b32_e32 v15, 2, v15
	v_readfirstlane_b32 s6, v9
	v_readfirstlane_b32 s7, v10
	ds_read_b32 v16, v16 offset:2048
	s_waitcnt lgkmcnt(0)
	global_store_dword v15, v16, s[6:7]
.LBB665_176:
	s_or_b32 exec_lo, exec_lo, s2
                                        ; implicit-def: $vgpr15
.LBB665_177:
	s_andn2_saveexec_b32 s1, s1
	s_cbranch_execz .LBB665_179
; %bb.178:
	v_lshlrev_b32_e32 v16, 2, v0
	v_lshlrev_b32_e32 v15, 2, v15
	v_readfirstlane_b32 s2, v11
	v_readfirstlane_b32 s3, v12
	ds_read_b32 v16, v16 offset:2048
	s_waitcnt lgkmcnt(0)
	global_store_dword v15, v16, s[2:3]
.LBB665_179:
	s_or_b32 exec_lo, exec_lo, s1
	v_or_b32_e32 v15, 0x300, v0
	s_mov_b32 s1, exec_lo
	v_cmpx_ge_u32_e64 v15, v5
	s_xor_b32 s1, exec_lo, s1
	s_cbranch_execz .LBB665_185
; %bb.180:
	s_mov_b32 s2, exec_lo
	v_cmpx_ge_u32_e64 v15, v14
	s_xor_b32 s2, exec_lo, s2
	s_cbranch_execz .LBB665_182
; %bb.181:
	v_lshlrev_b32_e32 v16, 2, v0
	v_add_co_u32 v15, vcc_lo, v7, v15
	ds_read_b32 v17, v16 offset:3072
	v_add_co_ci_u32_e64 v16, null, 0, v13, vcc_lo
	v_lshlrev_b64 v[15:16], 2, v[15:16]
	v_sub_co_u32 v15, vcc_lo, s14, v15
	v_sub_co_ci_u32_e64 v16, null, s15, v16, vcc_lo
	s_waitcnt lgkmcnt(0)
	global_store_dword v[15:16], v17, off offset:-4
                                        ; implicit-def: $vgpr15
.LBB665_182:
	s_andn2_saveexec_b32 s2, s2
	s_cbranch_execz .LBB665_184
; %bb.183:
	v_lshlrev_b32_e32 v16, 2, v0
	v_lshlrev_b32_e32 v15, 2, v15
	v_readfirstlane_b32 s6, v9
	v_readfirstlane_b32 s7, v10
	ds_read_b32 v16, v16 offset:3072
	s_waitcnt lgkmcnt(0)
	global_store_dword v15, v16, s[6:7]
.LBB665_184:
	s_or_b32 exec_lo, exec_lo, s2
                                        ; implicit-def: $vgpr15
.LBB665_185:
	s_andn2_saveexec_b32 s1, s1
	s_cbranch_execz .LBB665_187
; %bb.186:
	v_lshlrev_b32_e32 v16, 2, v0
	v_lshlrev_b32_e32 v15, 2, v15
	v_readfirstlane_b32 s2, v11
	v_readfirstlane_b32 s3, v12
	ds_read_b32 v16, v16 offset:3072
	s_waitcnt lgkmcnt(0)
	global_store_dword v15, v16, s[2:3]
.LBB665_187:
	s_or_b32 exec_lo, exec_lo, s1
	v_or_b32_e32 v15, 0x400, v0
	s_mov_b32 s1, exec_lo
	v_cmpx_ge_u32_e64 v15, v5
	s_xor_b32 s1, exec_lo, s1
	s_cbranch_execz .LBB665_193
; %bb.188:
	s_mov_b32 s2, exec_lo
	v_cmpx_ge_u32_e64 v15, v14
	s_xor_b32 s2, exec_lo, s2
	s_cbranch_execz .LBB665_190
; %bb.189:
	v_lshlrev_b32_e32 v16, 2, v0
	v_add_co_u32 v15, vcc_lo, v7, v15
	ds_read_b32 v17, v16 offset:4096
	v_add_co_ci_u32_e64 v16, null, 0, v13, vcc_lo
	v_lshlrev_b64 v[15:16], 2, v[15:16]
	v_sub_co_u32 v15, vcc_lo, s14, v15
	v_sub_co_ci_u32_e64 v16, null, s15, v16, vcc_lo
	s_waitcnt lgkmcnt(0)
	global_store_dword v[15:16], v17, off offset:-4
                                        ; implicit-def: $vgpr15
.LBB665_190:
	s_andn2_saveexec_b32 s2, s2
	s_cbranch_execz .LBB665_192
; %bb.191:
	v_lshlrev_b32_e32 v16, 2, v0
	v_lshlrev_b32_e32 v15, 2, v15
	v_readfirstlane_b32 s6, v9
	v_readfirstlane_b32 s7, v10
	ds_read_b32 v16, v16 offset:4096
	s_waitcnt lgkmcnt(0)
	global_store_dword v15, v16, s[6:7]
.LBB665_192:
	s_or_b32 exec_lo, exec_lo, s2
                                        ; implicit-def: $vgpr15
.LBB665_193:
	;; [unrolled: 48-line block ×10, first 2 shown]
	s_andn2_saveexec_b32 s1, s1
	s_cbranch_execz .LBB665_259
; %bb.258:
	v_lshlrev_b32_e32 v16, 2, v0
	v_lshlrev_b32_e32 v15, 2, v15
	v_readfirstlane_b32 s2, v11
	v_readfirstlane_b32 s3, v12
	ds_read_b32 v16, v16 offset:12288
	s_waitcnt lgkmcnt(0)
	global_store_dword v15, v16, s[2:3]
.LBB665_259:
	s_or_b32 exec_lo, exec_lo, s1
	s_branch .LBB665_153
.LBB665_260:
	s_mov_b32 s1, exec_lo
	v_cmpx_gt_u32_e64 s5, v0
	s_cbranch_execz .LBB665_269
; %bb.261:
	s_mov_b32 s2, exec_lo
	v_cmpx_ge_u32_e64 v0, v5
	s_xor_b32 s2, exec_lo, s2
	s_cbranch_execz .LBB665_267
; %bb.262:
	s_mov_b32 s3, exec_lo
	v_cmpx_ge_u32_e64 v0, v14
	s_xor_b32 s3, exec_lo, s3
	s_cbranch_execz .LBB665_264
; %bb.263:
	v_lshlrev_b32_e32 v15, 2, v0
	ds_read_b32 v17, v15
	v_add_co_u32 v15, vcc_lo, v7, v0
	v_add_co_ci_u32_e64 v16, null, 0, v13, vcc_lo
	v_lshlrev_b64 v[15:16], 2, v[15:16]
	v_sub_co_u32 v15, vcc_lo, s14, v15
	v_sub_co_ci_u32_e64 v16, null, s15, v16, vcc_lo
	s_waitcnt lgkmcnt(0)
	global_store_dword v[15:16], v17, off offset:-4
.LBB665_264:
	s_andn2_saveexec_b32 s3, s3
	s_cbranch_execz .LBB665_266
; %bb.265:
	v_lshlrev_b32_e32 v15, 2, v0
	v_readfirstlane_b32 s6, v9
	v_readfirstlane_b32 s7, v10
	ds_read_b32 v16, v15
	s_waitcnt lgkmcnt(0)
	global_store_dword v15, v16, s[6:7]
.LBB665_266:
	s_or_b32 exec_lo, exec_lo, s3
.LBB665_267:
	s_andn2_saveexec_b32 s2, s2
	s_cbranch_execz .LBB665_269
; %bb.268:
	v_lshlrev_b32_e32 v15, 2, v0
	v_readfirstlane_b32 s2, v11
	v_readfirstlane_b32 s3, v12
	ds_read_b32 v16, v15
	s_waitcnt lgkmcnt(0)
	global_store_dword v15, v16, s[2:3]
.LBB665_269:
	s_or_b32 exec_lo, exec_lo, s1
	v_or_b32_e32 v15, 0x100, v0
	s_mov_b32 s1, exec_lo
	v_cmpx_gt_u32_e64 s5, v15
	s_cbranch_execz .LBB665_278
; %bb.270:
	s_mov_b32 s2, exec_lo
	v_cmpx_ge_u32_e64 v15, v5
	s_xor_b32 s2, exec_lo, s2
	s_cbranch_execz .LBB665_276
; %bb.271:
	s_mov_b32 s3, exec_lo
	v_cmpx_ge_u32_e64 v15, v14
	s_xor_b32 s3, exec_lo, s3
	s_cbranch_execz .LBB665_273
; %bb.272:
	v_lshlrev_b32_e32 v15, 2, v0
	ds_read_b32 v17, v15 offset:1024
	v_add_co_u32 v15, vcc_lo, v7, v0
	v_add_co_ci_u32_e64 v16, null, 0, v13, vcc_lo
	v_lshlrev_b64 v[15:16], 2, v[15:16]
	v_sub_co_u32 v15, vcc_lo, s14, v15
	v_sub_co_ci_u32_e64 v16, null, s15, v16, vcc_lo
	s_waitcnt lgkmcnt(0)
	global_store_dword v[15:16], v17, off offset:-1028
.LBB665_273:
	s_andn2_saveexec_b32 s3, s3
	s_cbranch_execz .LBB665_275
; %bb.274:
	v_lshlrev_b32_e32 v15, 2, v0
	v_readfirstlane_b32 s6, v9
	v_readfirstlane_b32 s7, v10
	ds_read_b32 v16, v15 offset:1024
	s_waitcnt lgkmcnt(0)
	global_store_dword v15, v16, s[6:7] offset:1024
.LBB665_275:
	s_or_b32 exec_lo, exec_lo, s3
.LBB665_276:
	s_andn2_saveexec_b32 s2, s2
	s_cbranch_execz .LBB665_278
; %bb.277:
	v_lshlrev_b32_e32 v15, 2, v0
	v_readfirstlane_b32 s2, v11
	v_readfirstlane_b32 s3, v12
	ds_read_b32 v16, v15 offset:1024
	s_waitcnt lgkmcnt(0)
	global_store_dword v15, v16, s[2:3] offset:1024
.LBB665_278:
	s_or_b32 exec_lo, exec_lo, s1
	v_or_b32_e32 v15, 0x200, v0
	s_mov_b32 s1, exec_lo
	v_cmpx_gt_u32_e64 s5, v15
	s_cbranch_execz .LBB665_287
; %bb.279:
	s_mov_b32 s2, exec_lo
	v_cmpx_ge_u32_e64 v15, v5
	s_xor_b32 s2, exec_lo, s2
	s_cbranch_execz .LBB665_285
; %bb.280:
	s_mov_b32 s3, exec_lo
	v_cmpx_ge_u32_e64 v15, v14
	s_xor_b32 s3, exec_lo, s3
	s_cbranch_execz .LBB665_282
; %bb.281:
	v_lshlrev_b32_e32 v17, 2, v0
	v_add_co_u32 v15, vcc_lo, v7, v0
	v_add_co_ci_u32_e64 v16, null, 0, v13, vcc_lo
	ds_read_b32 v17, v17 offset:2048
	v_lshlrev_b64 v[15:16], 2, v[15:16]
	v_sub_co_u32 v15, vcc_lo, s14, v15
	v_sub_co_ci_u32_e64 v16, null, s15, v16, vcc_lo
	v_add_co_u32 v15, vcc_lo, 0xfffff800, v15
	v_add_co_ci_u32_e64 v16, null, -1, v16, vcc_lo
	s_waitcnt lgkmcnt(0)
	global_store_dword v[15:16], v17, off offset:-4
                                        ; implicit-def: $vgpr15
.LBB665_282:
	s_andn2_saveexec_b32 s3, s3
	s_cbranch_execz .LBB665_284
; %bb.283:
	v_lshlrev_b32_e32 v16, 2, v0
	v_lshlrev_b32_e32 v15, 2, v15
	v_readfirstlane_b32 s6, v9
	v_readfirstlane_b32 s7, v10
	ds_read_b32 v16, v16 offset:2048
	s_waitcnt lgkmcnt(0)
	global_store_dword v15, v16, s[6:7]
.LBB665_284:
	s_or_b32 exec_lo, exec_lo, s3
                                        ; implicit-def: $vgpr15
.LBB665_285:
	s_andn2_saveexec_b32 s2, s2
	s_cbranch_execz .LBB665_287
; %bb.286:
	v_lshlrev_b32_e32 v16, 2, v0
	v_lshlrev_b32_e32 v15, 2, v15
	v_readfirstlane_b32 s2, v11
	v_readfirstlane_b32 s3, v12
	ds_read_b32 v16, v16 offset:2048
	s_waitcnt lgkmcnt(0)
	global_store_dword v15, v16, s[2:3]
.LBB665_287:
	s_or_b32 exec_lo, exec_lo, s1
	v_or_b32_e32 v15, 0x300, v0
	s_mov_b32 s1, exec_lo
	v_cmpx_gt_u32_e64 s5, v15
	s_cbranch_execz .LBB665_296
; %bb.288:
	s_mov_b32 s2, exec_lo
	v_cmpx_ge_u32_e64 v15, v5
	s_xor_b32 s2, exec_lo, s2
	s_cbranch_execz .LBB665_294
; %bb.289:
	s_mov_b32 s3, exec_lo
	v_cmpx_ge_u32_e64 v15, v14
	s_xor_b32 s3, exec_lo, s3
	s_cbranch_execz .LBB665_291
; %bb.290:
	v_lshlrev_b32_e32 v16, 2, v0
	v_add_co_u32 v15, vcc_lo, v7, v15
	ds_read_b32 v17, v16 offset:3072
	v_add_co_ci_u32_e64 v16, null, 0, v13, vcc_lo
	v_lshlrev_b64 v[15:16], 2, v[15:16]
	v_sub_co_u32 v15, vcc_lo, s14, v15
	v_sub_co_ci_u32_e64 v16, null, s15, v16, vcc_lo
	s_waitcnt lgkmcnt(0)
	global_store_dword v[15:16], v17, off offset:-4
                                        ; implicit-def: $vgpr15
.LBB665_291:
	s_andn2_saveexec_b32 s3, s3
	s_cbranch_execz .LBB665_293
; %bb.292:
	v_lshlrev_b32_e32 v16, 2, v0
	v_lshlrev_b32_e32 v15, 2, v15
	v_readfirstlane_b32 s6, v9
	v_readfirstlane_b32 s7, v10
	ds_read_b32 v16, v16 offset:3072
	s_waitcnt lgkmcnt(0)
	global_store_dword v15, v16, s[6:7]
.LBB665_293:
	s_or_b32 exec_lo, exec_lo, s3
                                        ; implicit-def: $vgpr15
.LBB665_294:
	s_andn2_saveexec_b32 s2, s2
	s_cbranch_execz .LBB665_296
; %bb.295:
	v_lshlrev_b32_e32 v16, 2, v0
	v_lshlrev_b32_e32 v15, 2, v15
	v_readfirstlane_b32 s2, v11
	v_readfirstlane_b32 s3, v12
	ds_read_b32 v16, v16 offset:3072
	s_waitcnt lgkmcnt(0)
	global_store_dword v15, v16, s[2:3]
.LBB665_296:
	s_or_b32 exec_lo, exec_lo, s1
	v_or_b32_e32 v15, 0x400, v0
	s_mov_b32 s1, exec_lo
	v_cmpx_gt_u32_e64 s5, v15
	s_cbranch_execz .LBB665_305
; %bb.297:
	s_mov_b32 s2, exec_lo
	v_cmpx_ge_u32_e64 v15, v5
	s_xor_b32 s2, exec_lo, s2
	s_cbranch_execz .LBB665_303
; %bb.298:
	s_mov_b32 s3, exec_lo
	v_cmpx_ge_u32_e64 v15, v14
	s_xor_b32 s3, exec_lo, s3
	s_cbranch_execz .LBB665_300
; %bb.299:
	v_lshlrev_b32_e32 v16, 2, v0
	v_add_co_u32 v15, vcc_lo, v7, v15
	ds_read_b32 v17, v16 offset:4096
	v_add_co_ci_u32_e64 v16, null, 0, v13, vcc_lo
	v_lshlrev_b64 v[15:16], 2, v[15:16]
	v_sub_co_u32 v15, vcc_lo, s14, v15
	v_sub_co_ci_u32_e64 v16, null, s15, v16, vcc_lo
	s_waitcnt lgkmcnt(0)
	global_store_dword v[15:16], v17, off offset:-4
                                        ; implicit-def: $vgpr15
.LBB665_300:
	s_andn2_saveexec_b32 s3, s3
	s_cbranch_execz .LBB665_302
; %bb.301:
	v_lshlrev_b32_e32 v16, 2, v0
	v_lshlrev_b32_e32 v15, 2, v15
	v_readfirstlane_b32 s6, v9
	v_readfirstlane_b32 s7, v10
	ds_read_b32 v16, v16 offset:4096
	s_waitcnt lgkmcnt(0)
	global_store_dword v15, v16, s[6:7]
.LBB665_302:
	s_or_b32 exec_lo, exec_lo, s3
                                        ; implicit-def: $vgpr15
.LBB665_303:
	s_andn2_saveexec_b32 s2, s2
	s_cbranch_execz .LBB665_305
; %bb.304:
	v_lshlrev_b32_e32 v16, 2, v0
	v_lshlrev_b32_e32 v15, 2, v15
	v_readfirstlane_b32 s2, v11
	v_readfirstlane_b32 s3, v12
	ds_read_b32 v16, v16 offset:4096
	s_waitcnt lgkmcnt(0)
	global_store_dword v15, v16, s[2:3]
.LBB665_305:
	;; [unrolled: 52-line block ×9, first 2 shown]
	s_or_b32 exec_lo, exec_lo, s1
	v_or_b32_e32 v15, 0xc00, v0
	s_mov_b32 s1, exec_lo
	v_cmpx_gt_u32_e64 s5, v15
	s_cbranch_execz .LBB665_377
; %bb.369:
	s_mov_b32 s2, exec_lo
	v_cmpx_ge_u32_e64 v15, v5
	s_xor_b32 s2, exec_lo, s2
	s_cbranch_execz .LBB665_375
; %bb.370:
	s_mov_b32 s3, exec_lo
	v_cmpx_ge_u32_e64 v15, v14
	s_xor_b32 s3, exec_lo, s3
	s_cbranch_execz .LBB665_372
; %bb.371:
	v_lshlrev_b32_e32 v0, 2, v0
	v_add_co_u32 v9, vcc_lo, v7, v15
	v_add_co_ci_u32_e64 v10, null, 0, v13, vcc_lo
	ds_read_b32 v0, v0 offset:12288
                                        ; implicit-def: $vgpr15
	v_lshlrev_b64 v[9:10], 2, v[9:10]
	v_sub_co_u32 v9, vcc_lo, s14, v9
	v_sub_co_ci_u32_e64 v10, null, s15, v10, vcc_lo
	s_waitcnt lgkmcnt(0)
	global_store_dword v[9:10], v0, off offset:-4
                                        ; implicit-def: $vgpr0
                                        ; implicit-def: $vgpr9_vgpr10
.LBB665_372:
	s_andn2_saveexec_b32 s3, s3
	s_cbranch_execz .LBB665_374
; %bb.373:
	v_lshlrev_b32_e32 v0, 2, v0
	v_lshlrev_b32_e32 v7, 2, v15
	v_readfirstlane_b32 s4, v9
	v_readfirstlane_b32 s5, v10
	ds_read_b32 v0, v0 offset:12288
	s_waitcnt lgkmcnt(0)
	global_store_dword v7, v0, s[4:5]
.LBB665_374:
	s_or_b32 exec_lo, exec_lo, s3
                                        ; implicit-def: $vgpr0
                                        ; implicit-def: $vgpr15
                                        ; implicit-def: $vgpr11_vgpr12
.LBB665_375:
	s_andn2_saveexec_b32 s2, s2
	s_cbranch_execz .LBB665_377
; %bb.376:
	v_lshlrev_b32_e32 v0, 2, v0
	v_lshlrev_b32_e32 v7, 2, v15
	v_readfirstlane_b32 s2, v11
	v_readfirstlane_b32 s3, v12
	ds_read_b32 v0, v0 offset:12288
	s_waitcnt lgkmcnt(0)
	global_store_dword v7, v0, s[2:3]
.LBB665_377:
	s_or_b32 exec_lo, exec_lo, s1
	s_and_b32 s0, s0, s26
	s_and_saveexec_b32 s1, s0
	s_cbranch_execz .LBB665_154
.LBB665_378:
	v_add_co_u32 v0, vcc_lo, v3, v6
	v_add_co_ci_u32_e64 v4, null, 0, v4, vcc_lo
	v_mov_b32_e32 v6, 0
	v_add_co_u32 v3, vcc_lo, v0, v8
	v_add_co_ci_u32_e64 v4, null, 0, v4, vcc_lo
	v_add_co_u32 v1, vcc_lo, v1, v5
	v_add_co_ci_u32_e64 v2, null, 0, v2, vcc_lo
	global_store_dwordx4 v6, v[1:4], s[24:25]
	s_endpgm
.LBB665_379:
	s_add_i32 s8, s27, 32
	s_mov_b32 s9, 0
	v_add_nc_u32_e32 v10, v8, v6
	s_lshl_b64 s[8:9], s[8:9], 4
	v_add_nc_u32_e32 v9, v7, v5
	s_add_u32 s8, s36, s8
	s_addc_u32 s9, s37, s9
	v_mov_b32_e32 v11, 2
	v_mov_b32_e32 v28, s9
	;; [unrolled: 1-line block ×4, first 2 shown]
	;;#ASMSTART
	global_store_dwordx4 v[27:28], v[9:12] off	
s_waitcnt vmcnt(0)
	;;#ASMEND
	s_or_b32 exec_lo, exec_lo, s6
	s_and_saveexec_b32 s6, s3
	s_cbranch_execz .LBB665_139
.LBB665_380:
	v_mov_b32_e32 v9, 0
	ds_write_b128 v9, v[5:8] offset:13312
	s_or_b32 exec_lo, exec_lo, s6
	s_and_b32 exec_lo, exec_lo, s0
	s_cbranch_execnz .LBB665_140
	s_branch .LBB665_141
	.section	.rodata,"a",@progbits
	.p2align	6, 0x0
	.amdhsa_kernel _ZN7rocprim17ROCPRIM_400000_NS6detail17trampoline_kernelINS0_13select_configILj256ELj13ELNS0_17block_load_methodE3ELS4_3ELS4_3ELNS0_20block_scan_algorithmE0ELj4294967295EEENS1_25partition_config_selectorILNS1_17partition_subalgoE4EjNS0_10empty_typeEbEEZZNS1_14partition_implILS8_4ELb0ES6_15HIP_vector_typeIjLj2EENS0_17counting_iteratorIjlEEPS9_SG_NS0_5tupleIJPjSI_NS0_16reverse_iteratorISI_EEEEENSH_IJSG_SG_SG_EEES9_SI_JZNS1_25segmented_radix_sort_implINS0_14default_configELb1EPKlPlSQ_SR_N2at6native12_GLOBAL__N_18offset_tEEE10hipError_tPvRmT1_PNSt15iterator_traitsISZ_E10value_typeET2_T3_PNS10_IS15_E10value_typeET4_jRbjT5_S1B_jjP12ihipStream_tbEUljE_ZNSN_ISO_Lb1ESQ_SR_SQ_SR_SV_EESW_SX_SY_SZ_S13_S14_S15_S18_S19_jS1A_jS1B_S1B_jjS1D_bEUljE0_EEESW_SX_SY_S15_S19_S1B_T6_T7_T9_mT8_S1D_bDpT10_ENKUlT_T0_E_clISt17integral_constantIbLb0EES1Q_IbLb1EEEEDaS1M_S1N_EUlS1M_E_NS1_11comp_targetILNS1_3genE8ELNS1_11target_archE1030ELNS1_3gpuE2ELNS1_3repE0EEENS1_30default_config_static_selectorELNS0_4arch9wavefront6targetE0EEEvSZ_
		.amdhsa_group_segment_fixed_size 13328
		.amdhsa_private_segment_fixed_size 0
		.amdhsa_kernarg_size 184
		.amdhsa_user_sgpr_count 6
		.amdhsa_user_sgpr_private_segment_buffer 1
		.amdhsa_user_sgpr_dispatch_ptr 0
		.amdhsa_user_sgpr_queue_ptr 0
		.amdhsa_user_sgpr_kernarg_segment_ptr 1
		.amdhsa_user_sgpr_dispatch_id 0
		.amdhsa_user_sgpr_flat_scratch_init 0
		.amdhsa_user_sgpr_private_segment_size 0
		.amdhsa_wavefront_size32 1
		.amdhsa_uses_dynamic_stack 0
		.amdhsa_system_sgpr_private_segment_wavefront_offset 0
		.amdhsa_system_sgpr_workgroup_id_x 1
		.amdhsa_system_sgpr_workgroup_id_y 0
		.amdhsa_system_sgpr_workgroup_id_z 0
		.amdhsa_system_sgpr_workgroup_info 0
		.amdhsa_system_vgpr_workitem_id 0
		.amdhsa_next_free_vgpr 87
		.amdhsa_next_free_sgpr 55
		.amdhsa_reserve_vcc 1
		.amdhsa_reserve_flat_scratch 0
		.amdhsa_float_round_mode_32 0
		.amdhsa_float_round_mode_16_64 0
		.amdhsa_float_denorm_mode_32 3
		.amdhsa_float_denorm_mode_16_64 3
		.amdhsa_dx10_clamp 1
		.amdhsa_ieee_mode 1
		.amdhsa_fp16_overflow 0
		.amdhsa_workgroup_processor_mode 1
		.amdhsa_memory_ordered 1
		.amdhsa_forward_progress 1
		.amdhsa_shared_vgpr_count 0
		.amdhsa_exception_fp_ieee_invalid_op 0
		.amdhsa_exception_fp_denorm_src 0
		.amdhsa_exception_fp_ieee_div_zero 0
		.amdhsa_exception_fp_ieee_overflow 0
		.amdhsa_exception_fp_ieee_underflow 0
		.amdhsa_exception_fp_ieee_inexact 0
		.amdhsa_exception_int_div_zero 0
	.end_amdhsa_kernel
	.section	.text._ZN7rocprim17ROCPRIM_400000_NS6detail17trampoline_kernelINS0_13select_configILj256ELj13ELNS0_17block_load_methodE3ELS4_3ELS4_3ELNS0_20block_scan_algorithmE0ELj4294967295EEENS1_25partition_config_selectorILNS1_17partition_subalgoE4EjNS0_10empty_typeEbEEZZNS1_14partition_implILS8_4ELb0ES6_15HIP_vector_typeIjLj2EENS0_17counting_iteratorIjlEEPS9_SG_NS0_5tupleIJPjSI_NS0_16reverse_iteratorISI_EEEEENSH_IJSG_SG_SG_EEES9_SI_JZNS1_25segmented_radix_sort_implINS0_14default_configELb1EPKlPlSQ_SR_N2at6native12_GLOBAL__N_18offset_tEEE10hipError_tPvRmT1_PNSt15iterator_traitsISZ_E10value_typeET2_T3_PNS10_IS15_E10value_typeET4_jRbjT5_S1B_jjP12ihipStream_tbEUljE_ZNSN_ISO_Lb1ESQ_SR_SQ_SR_SV_EESW_SX_SY_SZ_S13_S14_S15_S18_S19_jS1A_jS1B_S1B_jjS1D_bEUljE0_EEESW_SX_SY_S15_S19_S1B_T6_T7_T9_mT8_S1D_bDpT10_ENKUlT_T0_E_clISt17integral_constantIbLb0EES1Q_IbLb1EEEEDaS1M_S1N_EUlS1M_E_NS1_11comp_targetILNS1_3genE8ELNS1_11target_archE1030ELNS1_3gpuE2ELNS1_3repE0EEENS1_30default_config_static_selectorELNS0_4arch9wavefront6targetE0EEEvSZ_,"axG",@progbits,_ZN7rocprim17ROCPRIM_400000_NS6detail17trampoline_kernelINS0_13select_configILj256ELj13ELNS0_17block_load_methodE3ELS4_3ELS4_3ELNS0_20block_scan_algorithmE0ELj4294967295EEENS1_25partition_config_selectorILNS1_17partition_subalgoE4EjNS0_10empty_typeEbEEZZNS1_14partition_implILS8_4ELb0ES6_15HIP_vector_typeIjLj2EENS0_17counting_iteratorIjlEEPS9_SG_NS0_5tupleIJPjSI_NS0_16reverse_iteratorISI_EEEEENSH_IJSG_SG_SG_EEES9_SI_JZNS1_25segmented_radix_sort_implINS0_14default_configELb1EPKlPlSQ_SR_N2at6native12_GLOBAL__N_18offset_tEEE10hipError_tPvRmT1_PNSt15iterator_traitsISZ_E10value_typeET2_T3_PNS10_IS15_E10value_typeET4_jRbjT5_S1B_jjP12ihipStream_tbEUljE_ZNSN_ISO_Lb1ESQ_SR_SQ_SR_SV_EESW_SX_SY_SZ_S13_S14_S15_S18_S19_jS1A_jS1B_S1B_jjS1D_bEUljE0_EEESW_SX_SY_S15_S19_S1B_T6_T7_T9_mT8_S1D_bDpT10_ENKUlT_T0_E_clISt17integral_constantIbLb0EES1Q_IbLb1EEEEDaS1M_S1N_EUlS1M_E_NS1_11comp_targetILNS1_3genE8ELNS1_11target_archE1030ELNS1_3gpuE2ELNS1_3repE0EEENS1_30default_config_static_selectorELNS0_4arch9wavefront6targetE0EEEvSZ_,comdat
.Lfunc_end665:
	.size	_ZN7rocprim17ROCPRIM_400000_NS6detail17trampoline_kernelINS0_13select_configILj256ELj13ELNS0_17block_load_methodE3ELS4_3ELS4_3ELNS0_20block_scan_algorithmE0ELj4294967295EEENS1_25partition_config_selectorILNS1_17partition_subalgoE4EjNS0_10empty_typeEbEEZZNS1_14partition_implILS8_4ELb0ES6_15HIP_vector_typeIjLj2EENS0_17counting_iteratorIjlEEPS9_SG_NS0_5tupleIJPjSI_NS0_16reverse_iteratorISI_EEEEENSH_IJSG_SG_SG_EEES9_SI_JZNS1_25segmented_radix_sort_implINS0_14default_configELb1EPKlPlSQ_SR_N2at6native12_GLOBAL__N_18offset_tEEE10hipError_tPvRmT1_PNSt15iterator_traitsISZ_E10value_typeET2_T3_PNS10_IS15_E10value_typeET4_jRbjT5_S1B_jjP12ihipStream_tbEUljE_ZNSN_ISO_Lb1ESQ_SR_SQ_SR_SV_EESW_SX_SY_SZ_S13_S14_S15_S18_S19_jS1A_jS1B_S1B_jjS1D_bEUljE0_EEESW_SX_SY_S15_S19_S1B_T6_T7_T9_mT8_S1D_bDpT10_ENKUlT_T0_E_clISt17integral_constantIbLb0EES1Q_IbLb1EEEEDaS1M_S1N_EUlS1M_E_NS1_11comp_targetILNS1_3genE8ELNS1_11target_archE1030ELNS1_3gpuE2ELNS1_3repE0EEENS1_30default_config_static_selectorELNS0_4arch9wavefront6targetE0EEEvSZ_, .Lfunc_end665-_ZN7rocprim17ROCPRIM_400000_NS6detail17trampoline_kernelINS0_13select_configILj256ELj13ELNS0_17block_load_methodE3ELS4_3ELS4_3ELNS0_20block_scan_algorithmE0ELj4294967295EEENS1_25partition_config_selectorILNS1_17partition_subalgoE4EjNS0_10empty_typeEbEEZZNS1_14partition_implILS8_4ELb0ES6_15HIP_vector_typeIjLj2EENS0_17counting_iteratorIjlEEPS9_SG_NS0_5tupleIJPjSI_NS0_16reverse_iteratorISI_EEEEENSH_IJSG_SG_SG_EEES9_SI_JZNS1_25segmented_radix_sort_implINS0_14default_configELb1EPKlPlSQ_SR_N2at6native12_GLOBAL__N_18offset_tEEE10hipError_tPvRmT1_PNSt15iterator_traitsISZ_E10value_typeET2_T3_PNS10_IS15_E10value_typeET4_jRbjT5_S1B_jjP12ihipStream_tbEUljE_ZNSN_ISO_Lb1ESQ_SR_SQ_SR_SV_EESW_SX_SY_SZ_S13_S14_S15_S18_S19_jS1A_jS1B_S1B_jjS1D_bEUljE0_EEESW_SX_SY_S15_S19_S1B_T6_T7_T9_mT8_S1D_bDpT10_ENKUlT_T0_E_clISt17integral_constantIbLb0EES1Q_IbLb1EEEEDaS1M_S1N_EUlS1M_E_NS1_11comp_targetILNS1_3genE8ELNS1_11target_archE1030ELNS1_3gpuE2ELNS1_3repE0EEENS1_30default_config_static_selectorELNS0_4arch9wavefront6targetE0EEEvSZ_
                                        ; -- End function
	.set _ZN7rocprim17ROCPRIM_400000_NS6detail17trampoline_kernelINS0_13select_configILj256ELj13ELNS0_17block_load_methodE3ELS4_3ELS4_3ELNS0_20block_scan_algorithmE0ELj4294967295EEENS1_25partition_config_selectorILNS1_17partition_subalgoE4EjNS0_10empty_typeEbEEZZNS1_14partition_implILS8_4ELb0ES6_15HIP_vector_typeIjLj2EENS0_17counting_iteratorIjlEEPS9_SG_NS0_5tupleIJPjSI_NS0_16reverse_iteratorISI_EEEEENSH_IJSG_SG_SG_EEES9_SI_JZNS1_25segmented_radix_sort_implINS0_14default_configELb1EPKlPlSQ_SR_N2at6native12_GLOBAL__N_18offset_tEEE10hipError_tPvRmT1_PNSt15iterator_traitsISZ_E10value_typeET2_T3_PNS10_IS15_E10value_typeET4_jRbjT5_S1B_jjP12ihipStream_tbEUljE_ZNSN_ISO_Lb1ESQ_SR_SQ_SR_SV_EESW_SX_SY_SZ_S13_S14_S15_S18_S19_jS1A_jS1B_S1B_jjS1D_bEUljE0_EEESW_SX_SY_S15_S19_S1B_T6_T7_T9_mT8_S1D_bDpT10_ENKUlT_T0_E_clISt17integral_constantIbLb0EES1Q_IbLb1EEEEDaS1M_S1N_EUlS1M_E_NS1_11comp_targetILNS1_3genE8ELNS1_11target_archE1030ELNS1_3gpuE2ELNS1_3repE0EEENS1_30default_config_static_selectorELNS0_4arch9wavefront6targetE0EEEvSZ_.num_vgpr, 87
	.set _ZN7rocprim17ROCPRIM_400000_NS6detail17trampoline_kernelINS0_13select_configILj256ELj13ELNS0_17block_load_methodE3ELS4_3ELS4_3ELNS0_20block_scan_algorithmE0ELj4294967295EEENS1_25partition_config_selectorILNS1_17partition_subalgoE4EjNS0_10empty_typeEbEEZZNS1_14partition_implILS8_4ELb0ES6_15HIP_vector_typeIjLj2EENS0_17counting_iteratorIjlEEPS9_SG_NS0_5tupleIJPjSI_NS0_16reverse_iteratorISI_EEEEENSH_IJSG_SG_SG_EEES9_SI_JZNS1_25segmented_radix_sort_implINS0_14default_configELb1EPKlPlSQ_SR_N2at6native12_GLOBAL__N_18offset_tEEE10hipError_tPvRmT1_PNSt15iterator_traitsISZ_E10value_typeET2_T3_PNS10_IS15_E10value_typeET4_jRbjT5_S1B_jjP12ihipStream_tbEUljE_ZNSN_ISO_Lb1ESQ_SR_SQ_SR_SV_EESW_SX_SY_SZ_S13_S14_S15_S18_S19_jS1A_jS1B_S1B_jjS1D_bEUljE0_EEESW_SX_SY_S15_S19_S1B_T6_T7_T9_mT8_S1D_bDpT10_ENKUlT_T0_E_clISt17integral_constantIbLb0EES1Q_IbLb1EEEEDaS1M_S1N_EUlS1M_E_NS1_11comp_targetILNS1_3genE8ELNS1_11target_archE1030ELNS1_3gpuE2ELNS1_3repE0EEENS1_30default_config_static_selectorELNS0_4arch9wavefront6targetE0EEEvSZ_.num_agpr, 0
	.set _ZN7rocprim17ROCPRIM_400000_NS6detail17trampoline_kernelINS0_13select_configILj256ELj13ELNS0_17block_load_methodE3ELS4_3ELS4_3ELNS0_20block_scan_algorithmE0ELj4294967295EEENS1_25partition_config_selectorILNS1_17partition_subalgoE4EjNS0_10empty_typeEbEEZZNS1_14partition_implILS8_4ELb0ES6_15HIP_vector_typeIjLj2EENS0_17counting_iteratorIjlEEPS9_SG_NS0_5tupleIJPjSI_NS0_16reverse_iteratorISI_EEEEENSH_IJSG_SG_SG_EEES9_SI_JZNS1_25segmented_radix_sort_implINS0_14default_configELb1EPKlPlSQ_SR_N2at6native12_GLOBAL__N_18offset_tEEE10hipError_tPvRmT1_PNSt15iterator_traitsISZ_E10value_typeET2_T3_PNS10_IS15_E10value_typeET4_jRbjT5_S1B_jjP12ihipStream_tbEUljE_ZNSN_ISO_Lb1ESQ_SR_SQ_SR_SV_EESW_SX_SY_SZ_S13_S14_S15_S18_S19_jS1A_jS1B_S1B_jjS1D_bEUljE0_EEESW_SX_SY_S15_S19_S1B_T6_T7_T9_mT8_S1D_bDpT10_ENKUlT_T0_E_clISt17integral_constantIbLb0EES1Q_IbLb1EEEEDaS1M_S1N_EUlS1M_E_NS1_11comp_targetILNS1_3genE8ELNS1_11target_archE1030ELNS1_3gpuE2ELNS1_3repE0EEENS1_30default_config_static_selectorELNS0_4arch9wavefront6targetE0EEEvSZ_.numbered_sgpr, 55
	.set _ZN7rocprim17ROCPRIM_400000_NS6detail17trampoline_kernelINS0_13select_configILj256ELj13ELNS0_17block_load_methodE3ELS4_3ELS4_3ELNS0_20block_scan_algorithmE0ELj4294967295EEENS1_25partition_config_selectorILNS1_17partition_subalgoE4EjNS0_10empty_typeEbEEZZNS1_14partition_implILS8_4ELb0ES6_15HIP_vector_typeIjLj2EENS0_17counting_iteratorIjlEEPS9_SG_NS0_5tupleIJPjSI_NS0_16reverse_iteratorISI_EEEEENSH_IJSG_SG_SG_EEES9_SI_JZNS1_25segmented_radix_sort_implINS0_14default_configELb1EPKlPlSQ_SR_N2at6native12_GLOBAL__N_18offset_tEEE10hipError_tPvRmT1_PNSt15iterator_traitsISZ_E10value_typeET2_T3_PNS10_IS15_E10value_typeET4_jRbjT5_S1B_jjP12ihipStream_tbEUljE_ZNSN_ISO_Lb1ESQ_SR_SQ_SR_SV_EESW_SX_SY_SZ_S13_S14_S15_S18_S19_jS1A_jS1B_S1B_jjS1D_bEUljE0_EEESW_SX_SY_S15_S19_S1B_T6_T7_T9_mT8_S1D_bDpT10_ENKUlT_T0_E_clISt17integral_constantIbLb0EES1Q_IbLb1EEEEDaS1M_S1N_EUlS1M_E_NS1_11comp_targetILNS1_3genE8ELNS1_11target_archE1030ELNS1_3gpuE2ELNS1_3repE0EEENS1_30default_config_static_selectorELNS0_4arch9wavefront6targetE0EEEvSZ_.num_named_barrier, 0
	.set _ZN7rocprim17ROCPRIM_400000_NS6detail17trampoline_kernelINS0_13select_configILj256ELj13ELNS0_17block_load_methodE3ELS4_3ELS4_3ELNS0_20block_scan_algorithmE0ELj4294967295EEENS1_25partition_config_selectorILNS1_17partition_subalgoE4EjNS0_10empty_typeEbEEZZNS1_14partition_implILS8_4ELb0ES6_15HIP_vector_typeIjLj2EENS0_17counting_iteratorIjlEEPS9_SG_NS0_5tupleIJPjSI_NS0_16reverse_iteratorISI_EEEEENSH_IJSG_SG_SG_EEES9_SI_JZNS1_25segmented_radix_sort_implINS0_14default_configELb1EPKlPlSQ_SR_N2at6native12_GLOBAL__N_18offset_tEEE10hipError_tPvRmT1_PNSt15iterator_traitsISZ_E10value_typeET2_T3_PNS10_IS15_E10value_typeET4_jRbjT5_S1B_jjP12ihipStream_tbEUljE_ZNSN_ISO_Lb1ESQ_SR_SQ_SR_SV_EESW_SX_SY_SZ_S13_S14_S15_S18_S19_jS1A_jS1B_S1B_jjS1D_bEUljE0_EEESW_SX_SY_S15_S19_S1B_T6_T7_T9_mT8_S1D_bDpT10_ENKUlT_T0_E_clISt17integral_constantIbLb0EES1Q_IbLb1EEEEDaS1M_S1N_EUlS1M_E_NS1_11comp_targetILNS1_3genE8ELNS1_11target_archE1030ELNS1_3gpuE2ELNS1_3repE0EEENS1_30default_config_static_selectorELNS0_4arch9wavefront6targetE0EEEvSZ_.private_seg_size, 0
	.set _ZN7rocprim17ROCPRIM_400000_NS6detail17trampoline_kernelINS0_13select_configILj256ELj13ELNS0_17block_load_methodE3ELS4_3ELS4_3ELNS0_20block_scan_algorithmE0ELj4294967295EEENS1_25partition_config_selectorILNS1_17partition_subalgoE4EjNS0_10empty_typeEbEEZZNS1_14partition_implILS8_4ELb0ES6_15HIP_vector_typeIjLj2EENS0_17counting_iteratorIjlEEPS9_SG_NS0_5tupleIJPjSI_NS0_16reverse_iteratorISI_EEEEENSH_IJSG_SG_SG_EEES9_SI_JZNS1_25segmented_radix_sort_implINS0_14default_configELb1EPKlPlSQ_SR_N2at6native12_GLOBAL__N_18offset_tEEE10hipError_tPvRmT1_PNSt15iterator_traitsISZ_E10value_typeET2_T3_PNS10_IS15_E10value_typeET4_jRbjT5_S1B_jjP12ihipStream_tbEUljE_ZNSN_ISO_Lb1ESQ_SR_SQ_SR_SV_EESW_SX_SY_SZ_S13_S14_S15_S18_S19_jS1A_jS1B_S1B_jjS1D_bEUljE0_EEESW_SX_SY_S15_S19_S1B_T6_T7_T9_mT8_S1D_bDpT10_ENKUlT_T0_E_clISt17integral_constantIbLb0EES1Q_IbLb1EEEEDaS1M_S1N_EUlS1M_E_NS1_11comp_targetILNS1_3genE8ELNS1_11target_archE1030ELNS1_3gpuE2ELNS1_3repE0EEENS1_30default_config_static_selectorELNS0_4arch9wavefront6targetE0EEEvSZ_.uses_vcc, 1
	.set _ZN7rocprim17ROCPRIM_400000_NS6detail17trampoline_kernelINS0_13select_configILj256ELj13ELNS0_17block_load_methodE3ELS4_3ELS4_3ELNS0_20block_scan_algorithmE0ELj4294967295EEENS1_25partition_config_selectorILNS1_17partition_subalgoE4EjNS0_10empty_typeEbEEZZNS1_14partition_implILS8_4ELb0ES6_15HIP_vector_typeIjLj2EENS0_17counting_iteratorIjlEEPS9_SG_NS0_5tupleIJPjSI_NS0_16reverse_iteratorISI_EEEEENSH_IJSG_SG_SG_EEES9_SI_JZNS1_25segmented_radix_sort_implINS0_14default_configELb1EPKlPlSQ_SR_N2at6native12_GLOBAL__N_18offset_tEEE10hipError_tPvRmT1_PNSt15iterator_traitsISZ_E10value_typeET2_T3_PNS10_IS15_E10value_typeET4_jRbjT5_S1B_jjP12ihipStream_tbEUljE_ZNSN_ISO_Lb1ESQ_SR_SQ_SR_SV_EESW_SX_SY_SZ_S13_S14_S15_S18_S19_jS1A_jS1B_S1B_jjS1D_bEUljE0_EEESW_SX_SY_S15_S19_S1B_T6_T7_T9_mT8_S1D_bDpT10_ENKUlT_T0_E_clISt17integral_constantIbLb0EES1Q_IbLb1EEEEDaS1M_S1N_EUlS1M_E_NS1_11comp_targetILNS1_3genE8ELNS1_11target_archE1030ELNS1_3gpuE2ELNS1_3repE0EEENS1_30default_config_static_selectorELNS0_4arch9wavefront6targetE0EEEvSZ_.uses_flat_scratch, 0
	.set _ZN7rocprim17ROCPRIM_400000_NS6detail17trampoline_kernelINS0_13select_configILj256ELj13ELNS0_17block_load_methodE3ELS4_3ELS4_3ELNS0_20block_scan_algorithmE0ELj4294967295EEENS1_25partition_config_selectorILNS1_17partition_subalgoE4EjNS0_10empty_typeEbEEZZNS1_14partition_implILS8_4ELb0ES6_15HIP_vector_typeIjLj2EENS0_17counting_iteratorIjlEEPS9_SG_NS0_5tupleIJPjSI_NS0_16reverse_iteratorISI_EEEEENSH_IJSG_SG_SG_EEES9_SI_JZNS1_25segmented_radix_sort_implINS0_14default_configELb1EPKlPlSQ_SR_N2at6native12_GLOBAL__N_18offset_tEEE10hipError_tPvRmT1_PNSt15iterator_traitsISZ_E10value_typeET2_T3_PNS10_IS15_E10value_typeET4_jRbjT5_S1B_jjP12ihipStream_tbEUljE_ZNSN_ISO_Lb1ESQ_SR_SQ_SR_SV_EESW_SX_SY_SZ_S13_S14_S15_S18_S19_jS1A_jS1B_S1B_jjS1D_bEUljE0_EEESW_SX_SY_S15_S19_S1B_T6_T7_T9_mT8_S1D_bDpT10_ENKUlT_T0_E_clISt17integral_constantIbLb0EES1Q_IbLb1EEEEDaS1M_S1N_EUlS1M_E_NS1_11comp_targetILNS1_3genE8ELNS1_11target_archE1030ELNS1_3gpuE2ELNS1_3repE0EEENS1_30default_config_static_selectorELNS0_4arch9wavefront6targetE0EEEvSZ_.has_dyn_sized_stack, 0
	.set _ZN7rocprim17ROCPRIM_400000_NS6detail17trampoline_kernelINS0_13select_configILj256ELj13ELNS0_17block_load_methodE3ELS4_3ELS4_3ELNS0_20block_scan_algorithmE0ELj4294967295EEENS1_25partition_config_selectorILNS1_17partition_subalgoE4EjNS0_10empty_typeEbEEZZNS1_14partition_implILS8_4ELb0ES6_15HIP_vector_typeIjLj2EENS0_17counting_iteratorIjlEEPS9_SG_NS0_5tupleIJPjSI_NS0_16reverse_iteratorISI_EEEEENSH_IJSG_SG_SG_EEES9_SI_JZNS1_25segmented_radix_sort_implINS0_14default_configELb1EPKlPlSQ_SR_N2at6native12_GLOBAL__N_18offset_tEEE10hipError_tPvRmT1_PNSt15iterator_traitsISZ_E10value_typeET2_T3_PNS10_IS15_E10value_typeET4_jRbjT5_S1B_jjP12ihipStream_tbEUljE_ZNSN_ISO_Lb1ESQ_SR_SQ_SR_SV_EESW_SX_SY_SZ_S13_S14_S15_S18_S19_jS1A_jS1B_S1B_jjS1D_bEUljE0_EEESW_SX_SY_S15_S19_S1B_T6_T7_T9_mT8_S1D_bDpT10_ENKUlT_T0_E_clISt17integral_constantIbLb0EES1Q_IbLb1EEEEDaS1M_S1N_EUlS1M_E_NS1_11comp_targetILNS1_3genE8ELNS1_11target_archE1030ELNS1_3gpuE2ELNS1_3repE0EEENS1_30default_config_static_selectorELNS0_4arch9wavefront6targetE0EEEvSZ_.has_recursion, 0
	.set _ZN7rocprim17ROCPRIM_400000_NS6detail17trampoline_kernelINS0_13select_configILj256ELj13ELNS0_17block_load_methodE3ELS4_3ELS4_3ELNS0_20block_scan_algorithmE0ELj4294967295EEENS1_25partition_config_selectorILNS1_17partition_subalgoE4EjNS0_10empty_typeEbEEZZNS1_14partition_implILS8_4ELb0ES6_15HIP_vector_typeIjLj2EENS0_17counting_iteratorIjlEEPS9_SG_NS0_5tupleIJPjSI_NS0_16reverse_iteratorISI_EEEEENSH_IJSG_SG_SG_EEES9_SI_JZNS1_25segmented_radix_sort_implINS0_14default_configELb1EPKlPlSQ_SR_N2at6native12_GLOBAL__N_18offset_tEEE10hipError_tPvRmT1_PNSt15iterator_traitsISZ_E10value_typeET2_T3_PNS10_IS15_E10value_typeET4_jRbjT5_S1B_jjP12ihipStream_tbEUljE_ZNSN_ISO_Lb1ESQ_SR_SQ_SR_SV_EESW_SX_SY_SZ_S13_S14_S15_S18_S19_jS1A_jS1B_S1B_jjS1D_bEUljE0_EEESW_SX_SY_S15_S19_S1B_T6_T7_T9_mT8_S1D_bDpT10_ENKUlT_T0_E_clISt17integral_constantIbLb0EES1Q_IbLb1EEEEDaS1M_S1N_EUlS1M_E_NS1_11comp_targetILNS1_3genE8ELNS1_11target_archE1030ELNS1_3gpuE2ELNS1_3repE0EEENS1_30default_config_static_selectorELNS0_4arch9wavefront6targetE0EEEvSZ_.has_indirect_call, 0
	.section	.AMDGPU.csdata,"",@progbits
; Kernel info:
; codeLenInByte = 16368
; TotalNumSgprs: 57
; NumVgprs: 87
; ScratchSize: 0
; MemoryBound: 0
; FloatMode: 240
; IeeeMode: 1
; LDSByteSize: 13328 bytes/workgroup (compile time only)
; SGPRBlocks: 0
; VGPRBlocks: 10
; NumSGPRsForWavesPerEU: 57
; NumVGPRsForWavesPerEU: 87
; Occupancy: 10
; WaveLimiterHint : 1
; COMPUTE_PGM_RSRC2:SCRATCH_EN: 0
; COMPUTE_PGM_RSRC2:USER_SGPR: 6
; COMPUTE_PGM_RSRC2:TRAP_HANDLER: 0
; COMPUTE_PGM_RSRC2:TGID_X_EN: 1
; COMPUTE_PGM_RSRC2:TGID_Y_EN: 0
; COMPUTE_PGM_RSRC2:TGID_Z_EN: 0
; COMPUTE_PGM_RSRC2:TIDIG_COMP_CNT: 0
	.section	.text._ZN7rocprim17ROCPRIM_400000_NS6detail17trampoline_kernelINS0_13select_configILj256ELj13ELNS0_17block_load_methodE3ELS4_3ELS4_3ELNS0_20block_scan_algorithmE0ELj4294967295EEENS1_25partition_config_selectorILNS1_17partition_subalgoE3EjNS0_10empty_typeEbEEZZNS1_14partition_implILS8_3ELb0ES6_jNS0_17counting_iteratorIjlEEPS9_SE_NS0_5tupleIJPjSE_EEENSF_IJSE_SE_EEES9_SG_JZNS1_25segmented_radix_sort_implINS0_14default_configELb1EPKlPlSM_SN_N2at6native12_GLOBAL__N_18offset_tEEE10hipError_tPvRmT1_PNSt15iterator_traitsISV_E10value_typeET2_T3_PNSW_IS11_E10value_typeET4_jRbjT5_S17_jjP12ihipStream_tbEUljE_EEESS_ST_SU_S11_S15_S17_T6_T7_T9_mT8_S19_bDpT10_ENKUlT_T0_E_clISt17integral_constantIbLb0EES1M_EEDaS1H_S1I_EUlS1H_E_NS1_11comp_targetILNS1_3genE0ELNS1_11target_archE4294967295ELNS1_3gpuE0ELNS1_3repE0EEENS1_30default_config_static_selectorELNS0_4arch9wavefront6targetE0EEEvSV_,"axG",@progbits,_ZN7rocprim17ROCPRIM_400000_NS6detail17trampoline_kernelINS0_13select_configILj256ELj13ELNS0_17block_load_methodE3ELS4_3ELS4_3ELNS0_20block_scan_algorithmE0ELj4294967295EEENS1_25partition_config_selectorILNS1_17partition_subalgoE3EjNS0_10empty_typeEbEEZZNS1_14partition_implILS8_3ELb0ES6_jNS0_17counting_iteratorIjlEEPS9_SE_NS0_5tupleIJPjSE_EEENSF_IJSE_SE_EEES9_SG_JZNS1_25segmented_radix_sort_implINS0_14default_configELb1EPKlPlSM_SN_N2at6native12_GLOBAL__N_18offset_tEEE10hipError_tPvRmT1_PNSt15iterator_traitsISV_E10value_typeET2_T3_PNSW_IS11_E10value_typeET4_jRbjT5_S17_jjP12ihipStream_tbEUljE_EEESS_ST_SU_S11_S15_S17_T6_T7_T9_mT8_S19_bDpT10_ENKUlT_T0_E_clISt17integral_constantIbLb0EES1M_EEDaS1H_S1I_EUlS1H_E_NS1_11comp_targetILNS1_3genE0ELNS1_11target_archE4294967295ELNS1_3gpuE0ELNS1_3repE0EEENS1_30default_config_static_selectorELNS0_4arch9wavefront6targetE0EEEvSV_,comdat
	.globl	_ZN7rocprim17ROCPRIM_400000_NS6detail17trampoline_kernelINS0_13select_configILj256ELj13ELNS0_17block_load_methodE3ELS4_3ELS4_3ELNS0_20block_scan_algorithmE0ELj4294967295EEENS1_25partition_config_selectorILNS1_17partition_subalgoE3EjNS0_10empty_typeEbEEZZNS1_14partition_implILS8_3ELb0ES6_jNS0_17counting_iteratorIjlEEPS9_SE_NS0_5tupleIJPjSE_EEENSF_IJSE_SE_EEES9_SG_JZNS1_25segmented_radix_sort_implINS0_14default_configELb1EPKlPlSM_SN_N2at6native12_GLOBAL__N_18offset_tEEE10hipError_tPvRmT1_PNSt15iterator_traitsISV_E10value_typeET2_T3_PNSW_IS11_E10value_typeET4_jRbjT5_S17_jjP12ihipStream_tbEUljE_EEESS_ST_SU_S11_S15_S17_T6_T7_T9_mT8_S19_bDpT10_ENKUlT_T0_E_clISt17integral_constantIbLb0EES1M_EEDaS1H_S1I_EUlS1H_E_NS1_11comp_targetILNS1_3genE0ELNS1_11target_archE4294967295ELNS1_3gpuE0ELNS1_3repE0EEENS1_30default_config_static_selectorELNS0_4arch9wavefront6targetE0EEEvSV_ ; -- Begin function _ZN7rocprim17ROCPRIM_400000_NS6detail17trampoline_kernelINS0_13select_configILj256ELj13ELNS0_17block_load_methodE3ELS4_3ELS4_3ELNS0_20block_scan_algorithmE0ELj4294967295EEENS1_25partition_config_selectorILNS1_17partition_subalgoE3EjNS0_10empty_typeEbEEZZNS1_14partition_implILS8_3ELb0ES6_jNS0_17counting_iteratorIjlEEPS9_SE_NS0_5tupleIJPjSE_EEENSF_IJSE_SE_EEES9_SG_JZNS1_25segmented_radix_sort_implINS0_14default_configELb1EPKlPlSM_SN_N2at6native12_GLOBAL__N_18offset_tEEE10hipError_tPvRmT1_PNSt15iterator_traitsISV_E10value_typeET2_T3_PNSW_IS11_E10value_typeET4_jRbjT5_S17_jjP12ihipStream_tbEUljE_EEESS_ST_SU_S11_S15_S17_T6_T7_T9_mT8_S19_bDpT10_ENKUlT_T0_E_clISt17integral_constantIbLb0EES1M_EEDaS1H_S1I_EUlS1H_E_NS1_11comp_targetILNS1_3genE0ELNS1_11target_archE4294967295ELNS1_3gpuE0ELNS1_3repE0EEENS1_30default_config_static_selectorELNS0_4arch9wavefront6targetE0EEEvSV_
	.p2align	8
	.type	_ZN7rocprim17ROCPRIM_400000_NS6detail17trampoline_kernelINS0_13select_configILj256ELj13ELNS0_17block_load_methodE3ELS4_3ELS4_3ELNS0_20block_scan_algorithmE0ELj4294967295EEENS1_25partition_config_selectorILNS1_17partition_subalgoE3EjNS0_10empty_typeEbEEZZNS1_14partition_implILS8_3ELb0ES6_jNS0_17counting_iteratorIjlEEPS9_SE_NS0_5tupleIJPjSE_EEENSF_IJSE_SE_EEES9_SG_JZNS1_25segmented_radix_sort_implINS0_14default_configELb1EPKlPlSM_SN_N2at6native12_GLOBAL__N_18offset_tEEE10hipError_tPvRmT1_PNSt15iterator_traitsISV_E10value_typeET2_T3_PNSW_IS11_E10value_typeET4_jRbjT5_S17_jjP12ihipStream_tbEUljE_EEESS_ST_SU_S11_S15_S17_T6_T7_T9_mT8_S19_bDpT10_ENKUlT_T0_E_clISt17integral_constantIbLb0EES1M_EEDaS1H_S1I_EUlS1H_E_NS1_11comp_targetILNS1_3genE0ELNS1_11target_archE4294967295ELNS1_3gpuE0ELNS1_3repE0EEENS1_30default_config_static_selectorELNS0_4arch9wavefront6targetE0EEEvSV_,@function
_ZN7rocprim17ROCPRIM_400000_NS6detail17trampoline_kernelINS0_13select_configILj256ELj13ELNS0_17block_load_methodE3ELS4_3ELS4_3ELNS0_20block_scan_algorithmE0ELj4294967295EEENS1_25partition_config_selectorILNS1_17partition_subalgoE3EjNS0_10empty_typeEbEEZZNS1_14partition_implILS8_3ELb0ES6_jNS0_17counting_iteratorIjlEEPS9_SE_NS0_5tupleIJPjSE_EEENSF_IJSE_SE_EEES9_SG_JZNS1_25segmented_radix_sort_implINS0_14default_configELb1EPKlPlSM_SN_N2at6native12_GLOBAL__N_18offset_tEEE10hipError_tPvRmT1_PNSt15iterator_traitsISV_E10value_typeET2_T3_PNSW_IS11_E10value_typeET4_jRbjT5_S17_jjP12ihipStream_tbEUljE_EEESS_ST_SU_S11_S15_S17_T6_T7_T9_mT8_S19_bDpT10_ENKUlT_T0_E_clISt17integral_constantIbLb0EES1M_EEDaS1H_S1I_EUlS1H_E_NS1_11comp_targetILNS1_3genE0ELNS1_11target_archE4294967295ELNS1_3gpuE0ELNS1_3repE0EEENS1_30default_config_static_selectorELNS0_4arch9wavefront6targetE0EEEvSV_: ; @_ZN7rocprim17ROCPRIM_400000_NS6detail17trampoline_kernelINS0_13select_configILj256ELj13ELNS0_17block_load_methodE3ELS4_3ELS4_3ELNS0_20block_scan_algorithmE0ELj4294967295EEENS1_25partition_config_selectorILNS1_17partition_subalgoE3EjNS0_10empty_typeEbEEZZNS1_14partition_implILS8_3ELb0ES6_jNS0_17counting_iteratorIjlEEPS9_SE_NS0_5tupleIJPjSE_EEENSF_IJSE_SE_EEES9_SG_JZNS1_25segmented_radix_sort_implINS0_14default_configELb1EPKlPlSM_SN_N2at6native12_GLOBAL__N_18offset_tEEE10hipError_tPvRmT1_PNSt15iterator_traitsISV_E10value_typeET2_T3_PNSW_IS11_E10value_typeET4_jRbjT5_S17_jjP12ihipStream_tbEUljE_EEESS_ST_SU_S11_S15_S17_T6_T7_T9_mT8_S19_bDpT10_ENKUlT_T0_E_clISt17integral_constantIbLb0EES1M_EEDaS1H_S1I_EUlS1H_E_NS1_11comp_targetILNS1_3genE0ELNS1_11target_archE4294967295ELNS1_3gpuE0ELNS1_3repE0EEENS1_30default_config_static_selectorELNS0_4arch9wavefront6targetE0EEEvSV_
; %bb.0:
	.section	.rodata,"a",@progbits
	.p2align	6, 0x0
	.amdhsa_kernel _ZN7rocprim17ROCPRIM_400000_NS6detail17trampoline_kernelINS0_13select_configILj256ELj13ELNS0_17block_load_methodE3ELS4_3ELS4_3ELNS0_20block_scan_algorithmE0ELj4294967295EEENS1_25partition_config_selectorILNS1_17partition_subalgoE3EjNS0_10empty_typeEbEEZZNS1_14partition_implILS8_3ELb0ES6_jNS0_17counting_iteratorIjlEEPS9_SE_NS0_5tupleIJPjSE_EEENSF_IJSE_SE_EEES9_SG_JZNS1_25segmented_radix_sort_implINS0_14default_configELb1EPKlPlSM_SN_N2at6native12_GLOBAL__N_18offset_tEEE10hipError_tPvRmT1_PNSt15iterator_traitsISV_E10value_typeET2_T3_PNSW_IS11_E10value_typeET4_jRbjT5_S17_jjP12ihipStream_tbEUljE_EEESS_ST_SU_S11_S15_S17_T6_T7_T9_mT8_S19_bDpT10_ENKUlT_T0_E_clISt17integral_constantIbLb0EES1M_EEDaS1H_S1I_EUlS1H_E_NS1_11comp_targetILNS1_3genE0ELNS1_11target_archE4294967295ELNS1_3gpuE0ELNS1_3repE0EEENS1_30default_config_static_selectorELNS0_4arch9wavefront6targetE0EEEvSV_
		.amdhsa_group_segment_fixed_size 0
		.amdhsa_private_segment_fixed_size 0
		.amdhsa_kernarg_size 144
		.amdhsa_user_sgpr_count 6
		.amdhsa_user_sgpr_private_segment_buffer 1
		.amdhsa_user_sgpr_dispatch_ptr 0
		.amdhsa_user_sgpr_queue_ptr 0
		.amdhsa_user_sgpr_kernarg_segment_ptr 1
		.amdhsa_user_sgpr_dispatch_id 0
		.amdhsa_user_sgpr_flat_scratch_init 0
		.amdhsa_user_sgpr_private_segment_size 0
		.amdhsa_wavefront_size32 1
		.amdhsa_uses_dynamic_stack 0
		.amdhsa_system_sgpr_private_segment_wavefront_offset 0
		.amdhsa_system_sgpr_workgroup_id_x 1
		.amdhsa_system_sgpr_workgroup_id_y 0
		.amdhsa_system_sgpr_workgroup_id_z 0
		.amdhsa_system_sgpr_workgroup_info 0
		.amdhsa_system_vgpr_workitem_id 0
		.amdhsa_next_free_vgpr 1
		.amdhsa_next_free_sgpr 1
		.amdhsa_reserve_vcc 0
		.amdhsa_reserve_flat_scratch 0
		.amdhsa_float_round_mode_32 0
		.amdhsa_float_round_mode_16_64 0
		.amdhsa_float_denorm_mode_32 3
		.amdhsa_float_denorm_mode_16_64 3
		.amdhsa_dx10_clamp 1
		.amdhsa_ieee_mode 1
		.amdhsa_fp16_overflow 0
		.amdhsa_workgroup_processor_mode 1
		.amdhsa_memory_ordered 1
		.amdhsa_forward_progress 1
		.amdhsa_shared_vgpr_count 0
		.amdhsa_exception_fp_ieee_invalid_op 0
		.amdhsa_exception_fp_denorm_src 0
		.amdhsa_exception_fp_ieee_div_zero 0
		.amdhsa_exception_fp_ieee_overflow 0
		.amdhsa_exception_fp_ieee_underflow 0
		.amdhsa_exception_fp_ieee_inexact 0
		.amdhsa_exception_int_div_zero 0
	.end_amdhsa_kernel
	.section	.text._ZN7rocprim17ROCPRIM_400000_NS6detail17trampoline_kernelINS0_13select_configILj256ELj13ELNS0_17block_load_methodE3ELS4_3ELS4_3ELNS0_20block_scan_algorithmE0ELj4294967295EEENS1_25partition_config_selectorILNS1_17partition_subalgoE3EjNS0_10empty_typeEbEEZZNS1_14partition_implILS8_3ELb0ES6_jNS0_17counting_iteratorIjlEEPS9_SE_NS0_5tupleIJPjSE_EEENSF_IJSE_SE_EEES9_SG_JZNS1_25segmented_radix_sort_implINS0_14default_configELb1EPKlPlSM_SN_N2at6native12_GLOBAL__N_18offset_tEEE10hipError_tPvRmT1_PNSt15iterator_traitsISV_E10value_typeET2_T3_PNSW_IS11_E10value_typeET4_jRbjT5_S17_jjP12ihipStream_tbEUljE_EEESS_ST_SU_S11_S15_S17_T6_T7_T9_mT8_S19_bDpT10_ENKUlT_T0_E_clISt17integral_constantIbLb0EES1M_EEDaS1H_S1I_EUlS1H_E_NS1_11comp_targetILNS1_3genE0ELNS1_11target_archE4294967295ELNS1_3gpuE0ELNS1_3repE0EEENS1_30default_config_static_selectorELNS0_4arch9wavefront6targetE0EEEvSV_,"axG",@progbits,_ZN7rocprim17ROCPRIM_400000_NS6detail17trampoline_kernelINS0_13select_configILj256ELj13ELNS0_17block_load_methodE3ELS4_3ELS4_3ELNS0_20block_scan_algorithmE0ELj4294967295EEENS1_25partition_config_selectorILNS1_17partition_subalgoE3EjNS0_10empty_typeEbEEZZNS1_14partition_implILS8_3ELb0ES6_jNS0_17counting_iteratorIjlEEPS9_SE_NS0_5tupleIJPjSE_EEENSF_IJSE_SE_EEES9_SG_JZNS1_25segmented_radix_sort_implINS0_14default_configELb1EPKlPlSM_SN_N2at6native12_GLOBAL__N_18offset_tEEE10hipError_tPvRmT1_PNSt15iterator_traitsISV_E10value_typeET2_T3_PNSW_IS11_E10value_typeET4_jRbjT5_S17_jjP12ihipStream_tbEUljE_EEESS_ST_SU_S11_S15_S17_T6_T7_T9_mT8_S19_bDpT10_ENKUlT_T0_E_clISt17integral_constantIbLb0EES1M_EEDaS1H_S1I_EUlS1H_E_NS1_11comp_targetILNS1_3genE0ELNS1_11target_archE4294967295ELNS1_3gpuE0ELNS1_3repE0EEENS1_30default_config_static_selectorELNS0_4arch9wavefront6targetE0EEEvSV_,comdat
.Lfunc_end666:
	.size	_ZN7rocprim17ROCPRIM_400000_NS6detail17trampoline_kernelINS0_13select_configILj256ELj13ELNS0_17block_load_methodE3ELS4_3ELS4_3ELNS0_20block_scan_algorithmE0ELj4294967295EEENS1_25partition_config_selectorILNS1_17partition_subalgoE3EjNS0_10empty_typeEbEEZZNS1_14partition_implILS8_3ELb0ES6_jNS0_17counting_iteratorIjlEEPS9_SE_NS0_5tupleIJPjSE_EEENSF_IJSE_SE_EEES9_SG_JZNS1_25segmented_radix_sort_implINS0_14default_configELb1EPKlPlSM_SN_N2at6native12_GLOBAL__N_18offset_tEEE10hipError_tPvRmT1_PNSt15iterator_traitsISV_E10value_typeET2_T3_PNSW_IS11_E10value_typeET4_jRbjT5_S17_jjP12ihipStream_tbEUljE_EEESS_ST_SU_S11_S15_S17_T6_T7_T9_mT8_S19_bDpT10_ENKUlT_T0_E_clISt17integral_constantIbLb0EES1M_EEDaS1H_S1I_EUlS1H_E_NS1_11comp_targetILNS1_3genE0ELNS1_11target_archE4294967295ELNS1_3gpuE0ELNS1_3repE0EEENS1_30default_config_static_selectorELNS0_4arch9wavefront6targetE0EEEvSV_, .Lfunc_end666-_ZN7rocprim17ROCPRIM_400000_NS6detail17trampoline_kernelINS0_13select_configILj256ELj13ELNS0_17block_load_methodE3ELS4_3ELS4_3ELNS0_20block_scan_algorithmE0ELj4294967295EEENS1_25partition_config_selectorILNS1_17partition_subalgoE3EjNS0_10empty_typeEbEEZZNS1_14partition_implILS8_3ELb0ES6_jNS0_17counting_iteratorIjlEEPS9_SE_NS0_5tupleIJPjSE_EEENSF_IJSE_SE_EEES9_SG_JZNS1_25segmented_radix_sort_implINS0_14default_configELb1EPKlPlSM_SN_N2at6native12_GLOBAL__N_18offset_tEEE10hipError_tPvRmT1_PNSt15iterator_traitsISV_E10value_typeET2_T3_PNSW_IS11_E10value_typeET4_jRbjT5_S17_jjP12ihipStream_tbEUljE_EEESS_ST_SU_S11_S15_S17_T6_T7_T9_mT8_S19_bDpT10_ENKUlT_T0_E_clISt17integral_constantIbLb0EES1M_EEDaS1H_S1I_EUlS1H_E_NS1_11comp_targetILNS1_3genE0ELNS1_11target_archE4294967295ELNS1_3gpuE0ELNS1_3repE0EEENS1_30default_config_static_selectorELNS0_4arch9wavefront6targetE0EEEvSV_
                                        ; -- End function
	.set _ZN7rocprim17ROCPRIM_400000_NS6detail17trampoline_kernelINS0_13select_configILj256ELj13ELNS0_17block_load_methodE3ELS4_3ELS4_3ELNS0_20block_scan_algorithmE0ELj4294967295EEENS1_25partition_config_selectorILNS1_17partition_subalgoE3EjNS0_10empty_typeEbEEZZNS1_14partition_implILS8_3ELb0ES6_jNS0_17counting_iteratorIjlEEPS9_SE_NS0_5tupleIJPjSE_EEENSF_IJSE_SE_EEES9_SG_JZNS1_25segmented_radix_sort_implINS0_14default_configELb1EPKlPlSM_SN_N2at6native12_GLOBAL__N_18offset_tEEE10hipError_tPvRmT1_PNSt15iterator_traitsISV_E10value_typeET2_T3_PNSW_IS11_E10value_typeET4_jRbjT5_S17_jjP12ihipStream_tbEUljE_EEESS_ST_SU_S11_S15_S17_T6_T7_T9_mT8_S19_bDpT10_ENKUlT_T0_E_clISt17integral_constantIbLb0EES1M_EEDaS1H_S1I_EUlS1H_E_NS1_11comp_targetILNS1_3genE0ELNS1_11target_archE4294967295ELNS1_3gpuE0ELNS1_3repE0EEENS1_30default_config_static_selectorELNS0_4arch9wavefront6targetE0EEEvSV_.num_vgpr, 0
	.set _ZN7rocprim17ROCPRIM_400000_NS6detail17trampoline_kernelINS0_13select_configILj256ELj13ELNS0_17block_load_methodE3ELS4_3ELS4_3ELNS0_20block_scan_algorithmE0ELj4294967295EEENS1_25partition_config_selectorILNS1_17partition_subalgoE3EjNS0_10empty_typeEbEEZZNS1_14partition_implILS8_3ELb0ES6_jNS0_17counting_iteratorIjlEEPS9_SE_NS0_5tupleIJPjSE_EEENSF_IJSE_SE_EEES9_SG_JZNS1_25segmented_radix_sort_implINS0_14default_configELb1EPKlPlSM_SN_N2at6native12_GLOBAL__N_18offset_tEEE10hipError_tPvRmT1_PNSt15iterator_traitsISV_E10value_typeET2_T3_PNSW_IS11_E10value_typeET4_jRbjT5_S17_jjP12ihipStream_tbEUljE_EEESS_ST_SU_S11_S15_S17_T6_T7_T9_mT8_S19_bDpT10_ENKUlT_T0_E_clISt17integral_constantIbLb0EES1M_EEDaS1H_S1I_EUlS1H_E_NS1_11comp_targetILNS1_3genE0ELNS1_11target_archE4294967295ELNS1_3gpuE0ELNS1_3repE0EEENS1_30default_config_static_selectorELNS0_4arch9wavefront6targetE0EEEvSV_.num_agpr, 0
	.set _ZN7rocprim17ROCPRIM_400000_NS6detail17trampoline_kernelINS0_13select_configILj256ELj13ELNS0_17block_load_methodE3ELS4_3ELS4_3ELNS0_20block_scan_algorithmE0ELj4294967295EEENS1_25partition_config_selectorILNS1_17partition_subalgoE3EjNS0_10empty_typeEbEEZZNS1_14partition_implILS8_3ELb0ES6_jNS0_17counting_iteratorIjlEEPS9_SE_NS0_5tupleIJPjSE_EEENSF_IJSE_SE_EEES9_SG_JZNS1_25segmented_radix_sort_implINS0_14default_configELb1EPKlPlSM_SN_N2at6native12_GLOBAL__N_18offset_tEEE10hipError_tPvRmT1_PNSt15iterator_traitsISV_E10value_typeET2_T3_PNSW_IS11_E10value_typeET4_jRbjT5_S17_jjP12ihipStream_tbEUljE_EEESS_ST_SU_S11_S15_S17_T6_T7_T9_mT8_S19_bDpT10_ENKUlT_T0_E_clISt17integral_constantIbLb0EES1M_EEDaS1H_S1I_EUlS1H_E_NS1_11comp_targetILNS1_3genE0ELNS1_11target_archE4294967295ELNS1_3gpuE0ELNS1_3repE0EEENS1_30default_config_static_selectorELNS0_4arch9wavefront6targetE0EEEvSV_.numbered_sgpr, 0
	.set _ZN7rocprim17ROCPRIM_400000_NS6detail17trampoline_kernelINS0_13select_configILj256ELj13ELNS0_17block_load_methodE3ELS4_3ELS4_3ELNS0_20block_scan_algorithmE0ELj4294967295EEENS1_25partition_config_selectorILNS1_17partition_subalgoE3EjNS0_10empty_typeEbEEZZNS1_14partition_implILS8_3ELb0ES6_jNS0_17counting_iteratorIjlEEPS9_SE_NS0_5tupleIJPjSE_EEENSF_IJSE_SE_EEES9_SG_JZNS1_25segmented_radix_sort_implINS0_14default_configELb1EPKlPlSM_SN_N2at6native12_GLOBAL__N_18offset_tEEE10hipError_tPvRmT1_PNSt15iterator_traitsISV_E10value_typeET2_T3_PNSW_IS11_E10value_typeET4_jRbjT5_S17_jjP12ihipStream_tbEUljE_EEESS_ST_SU_S11_S15_S17_T6_T7_T9_mT8_S19_bDpT10_ENKUlT_T0_E_clISt17integral_constantIbLb0EES1M_EEDaS1H_S1I_EUlS1H_E_NS1_11comp_targetILNS1_3genE0ELNS1_11target_archE4294967295ELNS1_3gpuE0ELNS1_3repE0EEENS1_30default_config_static_selectorELNS0_4arch9wavefront6targetE0EEEvSV_.num_named_barrier, 0
	.set _ZN7rocprim17ROCPRIM_400000_NS6detail17trampoline_kernelINS0_13select_configILj256ELj13ELNS0_17block_load_methodE3ELS4_3ELS4_3ELNS0_20block_scan_algorithmE0ELj4294967295EEENS1_25partition_config_selectorILNS1_17partition_subalgoE3EjNS0_10empty_typeEbEEZZNS1_14partition_implILS8_3ELb0ES6_jNS0_17counting_iteratorIjlEEPS9_SE_NS0_5tupleIJPjSE_EEENSF_IJSE_SE_EEES9_SG_JZNS1_25segmented_radix_sort_implINS0_14default_configELb1EPKlPlSM_SN_N2at6native12_GLOBAL__N_18offset_tEEE10hipError_tPvRmT1_PNSt15iterator_traitsISV_E10value_typeET2_T3_PNSW_IS11_E10value_typeET4_jRbjT5_S17_jjP12ihipStream_tbEUljE_EEESS_ST_SU_S11_S15_S17_T6_T7_T9_mT8_S19_bDpT10_ENKUlT_T0_E_clISt17integral_constantIbLb0EES1M_EEDaS1H_S1I_EUlS1H_E_NS1_11comp_targetILNS1_3genE0ELNS1_11target_archE4294967295ELNS1_3gpuE0ELNS1_3repE0EEENS1_30default_config_static_selectorELNS0_4arch9wavefront6targetE0EEEvSV_.private_seg_size, 0
	.set _ZN7rocprim17ROCPRIM_400000_NS6detail17trampoline_kernelINS0_13select_configILj256ELj13ELNS0_17block_load_methodE3ELS4_3ELS4_3ELNS0_20block_scan_algorithmE0ELj4294967295EEENS1_25partition_config_selectorILNS1_17partition_subalgoE3EjNS0_10empty_typeEbEEZZNS1_14partition_implILS8_3ELb0ES6_jNS0_17counting_iteratorIjlEEPS9_SE_NS0_5tupleIJPjSE_EEENSF_IJSE_SE_EEES9_SG_JZNS1_25segmented_radix_sort_implINS0_14default_configELb1EPKlPlSM_SN_N2at6native12_GLOBAL__N_18offset_tEEE10hipError_tPvRmT1_PNSt15iterator_traitsISV_E10value_typeET2_T3_PNSW_IS11_E10value_typeET4_jRbjT5_S17_jjP12ihipStream_tbEUljE_EEESS_ST_SU_S11_S15_S17_T6_T7_T9_mT8_S19_bDpT10_ENKUlT_T0_E_clISt17integral_constantIbLb0EES1M_EEDaS1H_S1I_EUlS1H_E_NS1_11comp_targetILNS1_3genE0ELNS1_11target_archE4294967295ELNS1_3gpuE0ELNS1_3repE0EEENS1_30default_config_static_selectorELNS0_4arch9wavefront6targetE0EEEvSV_.uses_vcc, 0
	.set _ZN7rocprim17ROCPRIM_400000_NS6detail17trampoline_kernelINS0_13select_configILj256ELj13ELNS0_17block_load_methodE3ELS4_3ELS4_3ELNS0_20block_scan_algorithmE0ELj4294967295EEENS1_25partition_config_selectorILNS1_17partition_subalgoE3EjNS0_10empty_typeEbEEZZNS1_14partition_implILS8_3ELb0ES6_jNS0_17counting_iteratorIjlEEPS9_SE_NS0_5tupleIJPjSE_EEENSF_IJSE_SE_EEES9_SG_JZNS1_25segmented_radix_sort_implINS0_14default_configELb1EPKlPlSM_SN_N2at6native12_GLOBAL__N_18offset_tEEE10hipError_tPvRmT1_PNSt15iterator_traitsISV_E10value_typeET2_T3_PNSW_IS11_E10value_typeET4_jRbjT5_S17_jjP12ihipStream_tbEUljE_EEESS_ST_SU_S11_S15_S17_T6_T7_T9_mT8_S19_bDpT10_ENKUlT_T0_E_clISt17integral_constantIbLb0EES1M_EEDaS1H_S1I_EUlS1H_E_NS1_11comp_targetILNS1_3genE0ELNS1_11target_archE4294967295ELNS1_3gpuE0ELNS1_3repE0EEENS1_30default_config_static_selectorELNS0_4arch9wavefront6targetE0EEEvSV_.uses_flat_scratch, 0
	.set _ZN7rocprim17ROCPRIM_400000_NS6detail17trampoline_kernelINS0_13select_configILj256ELj13ELNS0_17block_load_methodE3ELS4_3ELS4_3ELNS0_20block_scan_algorithmE0ELj4294967295EEENS1_25partition_config_selectorILNS1_17partition_subalgoE3EjNS0_10empty_typeEbEEZZNS1_14partition_implILS8_3ELb0ES6_jNS0_17counting_iteratorIjlEEPS9_SE_NS0_5tupleIJPjSE_EEENSF_IJSE_SE_EEES9_SG_JZNS1_25segmented_radix_sort_implINS0_14default_configELb1EPKlPlSM_SN_N2at6native12_GLOBAL__N_18offset_tEEE10hipError_tPvRmT1_PNSt15iterator_traitsISV_E10value_typeET2_T3_PNSW_IS11_E10value_typeET4_jRbjT5_S17_jjP12ihipStream_tbEUljE_EEESS_ST_SU_S11_S15_S17_T6_T7_T9_mT8_S19_bDpT10_ENKUlT_T0_E_clISt17integral_constantIbLb0EES1M_EEDaS1H_S1I_EUlS1H_E_NS1_11comp_targetILNS1_3genE0ELNS1_11target_archE4294967295ELNS1_3gpuE0ELNS1_3repE0EEENS1_30default_config_static_selectorELNS0_4arch9wavefront6targetE0EEEvSV_.has_dyn_sized_stack, 0
	.set _ZN7rocprim17ROCPRIM_400000_NS6detail17trampoline_kernelINS0_13select_configILj256ELj13ELNS0_17block_load_methodE3ELS4_3ELS4_3ELNS0_20block_scan_algorithmE0ELj4294967295EEENS1_25partition_config_selectorILNS1_17partition_subalgoE3EjNS0_10empty_typeEbEEZZNS1_14partition_implILS8_3ELb0ES6_jNS0_17counting_iteratorIjlEEPS9_SE_NS0_5tupleIJPjSE_EEENSF_IJSE_SE_EEES9_SG_JZNS1_25segmented_radix_sort_implINS0_14default_configELb1EPKlPlSM_SN_N2at6native12_GLOBAL__N_18offset_tEEE10hipError_tPvRmT1_PNSt15iterator_traitsISV_E10value_typeET2_T3_PNSW_IS11_E10value_typeET4_jRbjT5_S17_jjP12ihipStream_tbEUljE_EEESS_ST_SU_S11_S15_S17_T6_T7_T9_mT8_S19_bDpT10_ENKUlT_T0_E_clISt17integral_constantIbLb0EES1M_EEDaS1H_S1I_EUlS1H_E_NS1_11comp_targetILNS1_3genE0ELNS1_11target_archE4294967295ELNS1_3gpuE0ELNS1_3repE0EEENS1_30default_config_static_selectorELNS0_4arch9wavefront6targetE0EEEvSV_.has_recursion, 0
	.set _ZN7rocprim17ROCPRIM_400000_NS6detail17trampoline_kernelINS0_13select_configILj256ELj13ELNS0_17block_load_methodE3ELS4_3ELS4_3ELNS0_20block_scan_algorithmE0ELj4294967295EEENS1_25partition_config_selectorILNS1_17partition_subalgoE3EjNS0_10empty_typeEbEEZZNS1_14partition_implILS8_3ELb0ES6_jNS0_17counting_iteratorIjlEEPS9_SE_NS0_5tupleIJPjSE_EEENSF_IJSE_SE_EEES9_SG_JZNS1_25segmented_radix_sort_implINS0_14default_configELb1EPKlPlSM_SN_N2at6native12_GLOBAL__N_18offset_tEEE10hipError_tPvRmT1_PNSt15iterator_traitsISV_E10value_typeET2_T3_PNSW_IS11_E10value_typeET4_jRbjT5_S17_jjP12ihipStream_tbEUljE_EEESS_ST_SU_S11_S15_S17_T6_T7_T9_mT8_S19_bDpT10_ENKUlT_T0_E_clISt17integral_constantIbLb0EES1M_EEDaS1H_S1I_EUlS1H_E_NS1_11comp_targetILNS1_3genE0ELNS1_11target_archE4294967295ELNS1_3gpuE0ELNS1_3repE0EEENS1_30default_config_static_selectorELNS0_4arch9wavefront6targetE0EEEvSV_.has_indirect_call, 0
	.section	.AMDGPU.csdata,"",@progbits
; Kernel info:
; codeLenInByte = 0
; TotalNumSgprs: 0
; NumVgprs: 0
; ScratchSize: 0
; MemoryBound: 0
; FloatMode: 240
; IeeeMode: 1
; LDSByteSize: 0 bytes/workgroup (compile time only)
; SGPRBlocks: 0
; VGPRBlocks: 0
; NumSGPRsForWavesPerEU: 1
; NumVGPRsForWavesPerEU: 1
; Occupancy: 16
; WaveLimiterHint : 0
; COMPUTE_PGM_RSRC2:SCRATCH_EN: 0
; COMPUTE_PGM_RSRC2:USER_SGPR: 6
; COMPUTE_PGM_RSRC2:TRAP_HANDLER: 0
; COMPUTE_PGM_RSRC2:TGID_X_EN: 1
; COMPUTE_PGM_RSRC2:TGID_Y_EN: 0
; COMPUTE_PGM_RSRC2:TGID_Z_EN: 0
; COMPUTE_PGM_RSRC2:TIDIG_COMP_CNT: 0
	.section	.text._ZN7rocprim17ROCPRIM_400000_NS6detail17trampoline_kernelINS0_13select_configILj256ELj13ELNS0_17block_load_methodE3ELS4_3ELS4_3ELNS0_20block_scan_algorithmE0ELj4294967295EEENS1_25partition_config_selectorILNS1_17partition_subalgoE3EjNS0_10empty_typeEbEEZZNS1_14partition_implILS8_3ELb0ES6_jNS0_17counting_iteratorIjlEEPS9_SE_NS0_5tupleIJPjSE_EEENSF_IJSE_SE_EEES9_SG_JZNS1_25segmented_radix_sort_implINS0_14default_configELb1EPKlPlSM_SN_N2at6native12_GLOBAL__N_18offset_tEEE10hipError_tPvRmT1_PNSt15iterator_traitsISV_E10value_typeET2_T3_PNSW_IS11_E10value_typeET4_jRbjT5_S17_jjP12ihipStream_tbEUljE_EEESS_ST_SU_S11_S15_S17_T6_T7_T9_mT8_S19_bDpT10_ENKUlT_T0_E_clISt17integral_constantIbLb0EES1M_EEDaS1H_S1I_EUlS1H_E_NS1_11comp_targetILNS1_3genE5ELNS1_11target_archE942ELNS1_3gpuE9ELNS1_3repE0EEENS1_30default_config_static_selectorELNS0_4arch9wavefront6targetE0EEEvSV_,"axG",@progbits,_ZN7rocprim17ROCPRIM_400000_NS6detail17trampoline_kernelINS0_13select_configILj256ELj13ELNS0_17block_load_methodE3ELS4_3ELS4_3ELNS0_20block_scan_algorithmE0ELj4294967295EEENS1_25partition_config_selectorILNS1_17partition_subalgoE3EjNS0_10empty_typeEbEEZZNS1_14partition_implILS8_3ELb0ES6_jNS0_17counting_iteratorIjlEEPS9_SE_NS0_5tupleIJPjSE_EEENSF_IJSE_SE_EEES9_SG_JZNS1_25segmented_radix_sort_implINS0_14default_configELb1EPKlPlSM_SN_N2at6native12_GLOBAL__N_18offset_tEEE10hipError_tPvRmT1_PNSt15iterator_traitsISV_E10value_typeET2_T3_PNSW_IS11_E10value_typeET4_jRbjT5_S17_jjP12ihipStream_tbEUljE_EEESS_ST_SU_S11_S15_S17_T6_T7_T9_mT8_S19_bDpT10_ENKUlT_T0_E_clISt17integral_constantIbLb0EES1M_EEDaS1H_S1I_EUlS1H_E_NS1_11comp_targetILNS1_3genE5ELNS1_11target_archE942ELNS1_3gpuE9ELNS1_3repE0EEENS1_30default_config_static_selectorELNS0_4arch9wavefront6targetE0EEEvSV_,comdat
	.globl	_ZN7rocprim17ROCPRIM_400000_NS6detail17trampoline_kernelINS0_13select_configILj256ELj13ELNS0_17block_load_methodE3ELS4_3ELS4_3ELNS0_20block_scan_algorithmE0ELj4294967295EEENS1_25partition_config_selectorILNS1_17partition_subalgoE3EjNS0_10empty_typeEbEEZZNS1_14partition_implILS8_3ELb0ES6_jNS0_17counting_iteratorIjlEEPS9_SE_NS0_5tupleIJPjSE_EEENSF_IJSE_SE_EEES9_SG_JZNS1_25segmented_radix_sort_implINS0_14default_configELb1EPKlPlSM_SN_N2at6native12_GLOBAL__N_18offset_tEEE10hipError_tPvRmT1_PNSt15iterator_traitsISV_E10value_typeET2_T3_PNSW_IS11_E10value_typeET4_jRbjT5_S17_jjP12ihipStream_tbEUljE_EEESS_ST_SU_S11_S15_S17_T6_T7_T9_mT8_S19_bDpT10_ENKUlT_T0_E_clISt17integral_constantIbLb0EES1M_EEDaS1H_S1I_EUlS1H_E_NS1_11comp_targetILNS1_3genE5ELNS1_11target_archE942ELNS1_3gpuE9ELNS1_3repE0EEENS1_30default_config_static_selectorELNS0_4arch9wavefront6targetE0EEEvSV_ ; -- Begin function _ZN7rocprim17ROCPRIM_400000_NS6detail17trampoline_kernelINS0_13select_configILj256ELj13ELNS0_17block_load_methodE3ELS4_3ELS4_3ELNS0_20block_scan_algorithmE0ELj4294967295EEENS1_25partition_config_selectorILNS1_17partition_subalgoE3EjNS0_10empty_typeEbEEZZNS1_14partition_implILS8_3ELb0ES6_jNS0_17counting_iteratorIjlEEPS9_SE_NS0_5tupleIJPjSE_EEENSF_IJSE_SE_EEES9_SG_JZNS1_25segmented_radix_sort_implINS0_14default_configELb1EPKlPlSM_SN_N2at6native12_GLOBAL__N_18offset_tEEE10hipError_tPvRmT1_PNSt15iterator_traitsISV_E10value_typeET2_T3_PNSW_IS11_E10value_typeET4_jRbjT5_S17_jjP12ihipStream_tbEUljE_EEESS_ST_SU_S11_S15_S17_T6_T7_T9_mT8_S19_bDpT10_ENKUlT_T0_E_clISt17integral_constantIbLb0EES1M_EEDaS1H_S1I_EUlS1H_E_NS1_11comp_targetILNS1_3genE5ELNS1_11target_archE942ELNS1_3gpuE9ELNS1_3repE0EEENS1_30default_config_static_selectorELNS0_4arch9wavefront6targetE0EEEvSV_
	.p2align	8
	.type	_ZN7rocprim17ROCPRIM_400000_NS6detail17trampoline_kernelINS0_13select_configILj256ELj13ELNS0_17block_load_methodE3ELS4_3ELS4_3ELNS0_20block_scan_algorithmE0ELj4294967295EEENS1_25partition_config_selectorILNS1_17partition_subalgoE3EjNS0_10empty_typeEbEEZZNS1_14partition_implILS8_3ELb0ES6_jNS0_17counting_iteratorIjlEEPS9_SE_NS0_5tupleIJPjSE_EEENSF_IJSE_SE_EEES9_SG_JZNS1_25segmented_radix_sort_implINS0_14default_configELb1EPKlPlSM_SN_N2at6native12_GLOBAL__N_18offset_tEEE10hipError_tPvRmT1_PNSt15iterator_traitsISV_E10value_typeET2_T3_PNSW_IS11_E10value_typeET4_jRbjT5_S17_jjP12ihipStream_tbEUljE_EEESS_ST_SU_S11_S15_S17_T6_T7_T9_mT8_S19_bDpT10_ENKUlT_T0_E_clISt17integral_constantIbLb0EES1M_EEDaS1H_S1I_EUlS1H_E_NS1_11comp_targetILNS1_3genE5ELNS1_11target_archE942ELNS1_3gpuE9ELNS1_3repE0EEENS1_30default_config_static_selectorELNS0_4arch9wavefront6targetE0EEEvSV_,@function
_ZN7rocprim17ROCPRIM_400000_NS6detail17trampoline_kernelINS0_13select_configILj256ELj13ELNS0_17block_load_methodE3ELS4_3ELS4_3ELNS0_20block_scan_algorithmE0ELj4294967295EEENS1_25partition_config_selectorILNS1_17partition_subalgoE3EjNS0_10empty_typeEbEEZZNS1_14partition_implILS8_3ELb0ES6_jNS0_17counting_iteratorIjlEEPS9_SE_NS0_5tupleIJPjSE_EEENSF_IJSE_SE_EEES9_SG_JZNS1_25segmented_radix_sort_implINS0_14default_configELb1EPKlPlSM_SN_N2at6native12_GLOBAL__N_18offset_tEEE10hipError_tPvRmT1_PNSt15iterator_traitsISV_E10value_typeET2_T3_PNSW_IS11_E10value_typeET4_jRbjT5_S17_jjP12ihipStream_tbEUljE_EEESS_ST_SU_S11_S15_S17_T6_T7_T9_mT8_S19_bDpT10_ENKUlT_T0_E_clISt17integral_constantIbLb0EES1M_EEDaS1H_S1I_EUlS1H_E_NS1_11comp_targetILNS1_3genE5ELNS1_11target_archE942ELNS1_3gpuE9ELNS1_3repE0EEENS1_30default_config_static_selectorELNS0_4arch9wavefront6targetE0EEEvSV_: ; @_ZN7rocprim17ROCPRIM_400000_NS6detail17trampoline_kernelINS0_13select_configILj256ELj13ELNS0_17block_load_methodE3ELS4_3ELS4_3ELNS0_20block_scan_algorithmE0ELj4294967295EEENS1_25partition_config_selectorILNS1_17partition_subalgoE3EjNS0_10empty_typeEbEEZZNS1_14partition_implILS8_3ELb0ES6_jNS0_17counting_iteratorIjlEEPS9_SE_NS0_5tupleIJPjSE_EEENSF_IJSE_SE_EEES9_SG_JZNS1_25segmented_radix_sort_implINS0_14default_configELb1EPKlPlSM_SN_N2at6native12_GLOBAL__N_18offset_tEEE10hipError_tPvRmT1_PNSt15iterator_traitsISV_E10value_typeET2_T3_PNSW_IS11_E10value_typeET4_jRbjT5_S17_jjP12ihipStream_tbEUljE_EEESS_ST_SU_S11_S15_S17_T6_T7_T9_mT8_S19_bDpT10_ENKUlT_T0_E_clISt17integral_constantIbLb0EES1M_EEDaS1H_S1I_EUlS1H_E_NS1_11comp_targetILNS1_3genE5ELNS1_11target_archE942ELNS1_3gpuE9ELNS1_3repE0EEENS1_30default_config_static_selectorELNS0_4arch9wavefront6targetE0EEEvSV_
; %bb.0:
	.section	.rodata,"a",@progbits
	.p2align	6, 0x0
	.amdhsa_kernel _ZN7rocprim17ROCPRIM_400000_NS6detail17trampoline_kernelINS0_13select_configILj256ELj13ELNS0_17block_load_methodE3ELS4_3ELS4_3ELNS0_20block_scan_algorithmE0ELj4294967295EEENS1_25partition_config_selectorILNS1_17partition_subalgoE3EjNS0_10empty_typeEbEEZZNS1_14partition_implILS8_3ELb0ES6_jNS0_17counting_iteratorIjlEEPS9_SE_NS0_5tupleIJPjSE_EEENSF_IJSE_SE_EEES9_SG_JZNS1_25segmented_radix_sort_implINS0_14default_configELb1EPKlPlSM_SN_N2at6native12_GLOBAL__N_18offset_tEEE10hipError_tPvRmT1_PNSt15iterator_traitsISV_E10value_typeET2_T3_PNSW_IS11_E10value_typeET4_jRbjT5_S17_jjP12ihipStream_tbEUljE_EEESS_ST_SU_S11_S15_S17_T6_T7_T9_mT8_S19_bDpT10_ENKUlT_T0_E_clISt17integral_constantIbLb0EES1M_EEDaS1H_S1I_EUlS1H_E_NS1_11comp_targetILNS1_3genE5ELNS1_11target_archE942ELNS1_3gpuE9ELNS1_3repE0EEENS1_30default_config_static_selectorELNS0_4arch9wavefront6targetE0EEEvSV_
		.amdhsa_group_segment_fixed_size 0
		.amdhsa_private_segment_fixed_size 0
		.amdhsa_kernarg_size 144
		.amdhsa_user_sgpr_count 6
		.amdhsa_user_sgpr_private_segment_buffer 1
		.amdhsa_user_sgpr_dispatch_ptr 0
		.amdhsa_user_sgpr_queue_ptr 0
		.amdhsa_user_sgpr_kernarg_segment_ptr 1
		.amdhsa_user_sgpr_dispatch_id 0
		.amdhsa_user_sgpr_flat_scratch_init 0
		.amdhsa_user_sgpr_private_segment_size 0
		.amdhsa_wavefront_size32 1
		.amdhsa_uses_dynamic_stack 0
		.amdhsa_system_sgpr_private_segment_wavefront_offset 0
		.amdhsa_system_sgpr_workgroup_id_x 1
		.amdhsa_system_sgpr_workgroup_id_y 0
		.amdhsa_system_sgpr_workgroup_id_z 0
		.amdhsa_system_sgpr_workgroup_info 0
		.amdhsa_system_vgpr_workitem_id 0
		.amdhsa_next_free_vgpr 1
		.amdhsa_next_free_sgpr 1
		.amdhsa_reserve_vcc 0
		.amdhsa_reserve_flat_scratch 0
		.amdhsa_float_round_mode_32 0
		.amdhsa_float_round_mode_16_64 0
		.amdhsa_float_denorm_mode_32 3
		.amdhsa_float_denorm_mode_16_64 3
		.amdhsa_dx10_clamp 1
		.amdhsa_ieee_mode 1
		.amdhsa_fp16_overflow 0
		.amdhsa_workgroup_processor_mode 1
		.amdhsa_memory_ordered 1
		.amdhsa_forward_progress 1
		.amdhsa_shared_vgpr_count 0
		.amdhsa_exception_fp_ieee_invalid_op 0
		.amdhsa_exception_fp_denorm_src 0
		.amdhsa_exception_fp_ieee_div_zero 0
		.amdhsa_exception_fp_ieee_overflow 0
		.amdhsa_exception_fp_ieee_underflow 0
		.amdhsa_exception_fp_ieee_inexact 0
		.amdhsa_exception_int_div_zero 0
	.end_amdhsa_kernel
	.section	.text._ZN7rocprim17ROCPRIM_400000_NS6detail17trampoline_kernelINS0_13select_configILj256ELj13ELNS0_17block_load_methodE3ELS4_3ELS4_3ELNS0_20block_scan_algorithmE0ELj4294967295EEENS1_25partition_config_selectorILNS1_17partition_subalgoE3EjNS0_10empty_typeEbEEZZNS1_14partition_implILS8_3ELb0ES6_jNS0_17counting_iteratorIjlEEPS9_SE_NS0_5tupleIJPjSE_EEENSF_IJSE_SE_EEES9_SG_JZNS1_25segmented_radix_sort_implINS0_14default_configELb1EPKlPlSM_SN_N2at6native12_GLOBAL__N_18offset_tEEE10hipError_tPvRmT1_PNSt15iterator_traitsISV_E10value_typeET2_T3_PNSW_IS11_E10value_typeET4_jRbjT5_S17_jjP12ihipStream_tbEUljE_EEESS_ST_SU_S11_S15_S17_T6_T7_T9_mT8_S19_bDpT10_ENKUlT_T0_E_clISt17integral_constantIbLb0EES1M_EEDaS1H_S1I_EUlS1H_E_NS1_11comp_targetILNS1_3genE5ELNS1_11target_archE942ELNS1_3gpuE9ELNS1_3repE0EEENS1_30default_config_static_selectorELNS0_4arch9wavefront6targetE0EEEvSV_,"axG",@progbits,_ZN7rocprim17ROCPRIM_400000_NS6detail17trampoline_kernelINS0_13select_configILj256ELj13ELNS0_17block_load_methodE3ELS4_3ELS4_3ELNS0_20block_scan_algorithmE0ELj4294967295EEENS1_25partition_config_selectorILNS1_17partition_subalgoE3EjNS0_10empty_typeEbEEZZNS1_14partition_implILS8_3ELb0ES6_jNS0_17counting_iteratorIjlEEPS9_SE_NS0_5tupleIJPjSE_EEENSF_IJSE_SE_EEES9_SG_JZNS1_25segmented_radix_sort_implINS0_14default_configELb1EPKlPlSM_SN_N2at6native12_GLOBAL__N_18offset_tEEE10hipError_tPvRmT1_PNSt15iterator_traitsISV_E10value_typeET2_T3_PNSW_IS11_E10value_typeET4_jRbjT5_S17_jjP12ihipStream_tbEUljE_EEESS_ST_SU_S11_S15_S17_T6_T7_T9_mT8_S19_bDpT10_ENKUlT_T0_E_clISt17integral_constantIbLb0EES1M_EEDaS1H_S1I_EUlS1H_E_NS1_11comp_targetILNS1_3genE5ELNS1_11target_archE942ELNS1_3gpuE9ELNS1_3repE0EEENS1_30default_config_static_selectorELNS0_4arch9wavefront6targetE0EEEvSV_,comdat
.Lfunc_end667:
	.size	_ZN7rocprim17ROCPRIM_400000_NS6detail17trampoline_kernelINS0_13select_configILj256ELj13ELNS0_17block_load_methodE3ELS4_3ELS4_3ELNS0_20block_scan_algorithmE0ELj4294967295EEENS1_25partition_config_selectorILNS1_17partition_subalgoE3EjNS0_10empty_typeEbEEZZNS1_14partition_implILS8_3ELb0ES6_jNS0_17counting_iteratorIjlEEPS9_SE_NS0_5tupleIJPjSE_EEENSF_IJSE_SE_EEES9_SG_JZNS1_25segmented_radix_sort_implINS0_14default_configELb1EPKlPlSM_SN_N2at6native12_GLOBAL__N_18offset_tEEE10hipError_tPvRmT1_PNSt15iterator_traitsISV_E10value_typeET2_T3_PNSW_IS11_E10value_typeET4_jRbjT5_S17_jjP12ihipStream_tbEUljE_EEESS_ST_SU_S11_S15_S17_T6_T7_T9_mT8_S19_bDpT10_ENKUlT_T0_E_clISt17integral_constantIbLb0EES1M_EEDaS1H_S1I_EUlS1H_E_NS1_11comp_targetILNS1_3genE5ELNS1_11target_archE942ELNS1_3gpuE9ELNS1_3repE0EEENS1_30default_config_static_selectorELNS0_4arch9wavefront6targetE0EEEvSV_, .Lfunc_end667-_ZN7rocprim17ROCPRIM_400000_NS6detail17trampoline_kernelINS0_13select_configILj256ELj13ELNS0_17block_load_methodE3ELS4_3ELS4_3ELNS0_20block_scan_algorithmE0ELj4294967295EEENS1_25partition_config_selectorILNS1_17partition_subalgoE3EjNS0_10empty_typeEbEEZZNS1_14partition_implILS8_3ELb0ES6_jNS0_17counting_iteratorIjlEEPS9_SE_NS0_5tupleIJPjSE_EEENSF_IJSE_SE_EEES9_SG_JZNS1_25segmented_radix_sort_implINS0_14default_configELb1EPKlPlSM_SN_N2at6native12_GLOBAL__N_18offset_tEEE10hipError_tPvRmT1_PNSt15iterator_traitsISV_E10value_typeET2_T3_PNSW_IS11_E10value_typeET4_jRbjT5_S17_jjP12ihipStream_tbEUljE_EEESS_ST_SU_S11_S15_S17_T6_T7_T9_mT8_S19_bDpT10_ENKUlT_T0_E_clISt17integral_constantIbLb0EES1M_EEDaS1H_S1I_EUlS1H_E_NS1_11comp_targetILNS1_3genE5ELNS1_11target_archE942ELNS1_3gpuE9ELNS1_3repE0EEENS1_30default_config_static_selectorELNS0_4arch9wavefront6targetE0EEEvSV_
                                        ; -- End function
	.set _ZN7rocprim17ROCPRIM_400000_NS6detail17trampoline_kernelINS0_13select_configILj256ELj13ELNS0_17block_load_methodE3ELS4_3ELS4_3ELNS0_20block_scan_algorithmE0ELj4294967295EEENS1_25partition_config_selectorILNS1_17partition_subalgoE3EjNS0_10empty_typeEbEEZZNS1_14partition_implILS8_3ELb0ES6_jNS0_17counting_iteratorIjlEEPS9_SE_NS0_5tupleIJPjSE_EEENSF_IJSE_SE_EEES9_SG_JZNS1_25segmented_radix_sort_implINS0_14default_configELb1EPKlPlSM_SN_N2at6native12_GLOBAL__N_18offset_tEEE10hipError_tPvRmT1_PNSt15iterator_traitsISV_E10value_typeET2_T3_PNSW_IS11_E10value_typeET4_jRbjT5_S17_jjP12ihipStream_tbEUljE_EEESS_ST_SU_S11_S15_S17_T6_T7_T9_mT8_S19_bDpT10_ENKUlT_T0_E_clISt17integral_constantIbLb0EES1M_EEDaS1H_S1I_EUlS1H_E_NS1_11comp_targetILNS1_3genE5ELNS1_11target_archE942ELNS1_3gpuE9ELNS1_3repE0EEENS1_30default_config_static_selectorELNS0_4arch9wavefront6targetE0EEEvSV_.num_vgpr, 0
	.set _ZN7rocprim17ROCPRIM_400000_NS6detail17trampoline_kernelINS0_13select_configILj256ELj13ELNS0_17block_load_methodE3ELS4_3ELS4_3ELNS0_20block_scan_algorithmE0ELj4294967295EEENS1_25partition_config_selectorILNS1_17partition_subalgoE3EjNS0_10empty_typeEbEEZZNS1_14partition_implILS8_3ELb0ES6_jNS0_17counting_iteratorIjlEEPS9_SE_NS0_5tupleIJPjSE_EEENSF_IJSE_SE_EEES9_SG_JZNS1_25segmented_radix_sort_implINS0_14default_configELb1EPKlPlSM_SN_N2at6native12_GLOBAL__N_18offset_tEEE10hipError_tPvRmT1_PNSt15iterator_traitsISV_E10value_typeET2_T3_PNSW_IS11_E10value_typeET4_jRbjT5_S17_jjP12ihipStream_tbEUljE_EEESS_ST_SU_S11_S15_S17_T6_T7_T9_mT8_S19_bDpT10_ENKUlT_T0_E_clISt17integral_constantIbLb0EES1M_EEDaS1H_S1I_EUlS1H_E_NS1_11comp_targetILNS1_3genE5ELNS1_11target_archE942ELNS1_3gpuE9ELNS1_3repE0EEENS1_30default_config_static_selectorELNS0_4arch9wavefront6targetE0EEEvSV_.num_agpr, 0
	.set _ZN7rocprim17ROCPRIM_400000_NS6detail17trampoline_kernelINS0_13select_configILj256ELj13ELNS0_17block_load_methodE3ELS4_3ELS4_3ELNS0_20block_scan_algorithmE0ELj4294967295EEENS1_25partition_config_selectorILNS1_17partition_subalgoE3EjNS0_10empty_typeEbEEZZNS1_14partition_implILS8_3ELb0ES6_jNS0_17counting_iteratorIjlEEPS9_SE_NS0_5tupleIJPjSE_EEENSF_IJSE_SE_EEES9_SG_JZNS1_25segmented_radix_sort_implINS0_14default_configELb1EPKlPlSM_SN_N2at6native12_GLOBAL__N_18offset_tEEE10hipError_tPvRmT1_PNSt15iterator_traitsISV_E10value_typeET2_T3_PNSW_IS11_E10value_typeET4_jRbjT5_S17_jjP12ihipStream_tbEUljE_EEESS_ST_SU_S11_S15_S17_T6_T7_T9_mT8_S19_bDpT10_ENKUlT_T0_E_clISt17integral_constantIbLb0EES1M_EEDaS1H_S1I_EUlS1H_E_NS1_11comp_targetILNS1_3genE5ELNS1_11target_archE942ELNS1_3gpuE9ELNS1_3repE0EEENS1_30default_config_static_selectorELNS0_4arch9wavefront6targetE0EEEvSV_.numbered_sgpr, 0
	.set _ZN7rocprim17ROCPRIM_400000_NS6detail17trampoline_kernelINS0_13select_configILj256ELj13ELNS0_17block_load_methodE3ELS4_3ELS4_3ELNS0_20block_scan_algorithmE0ELj4294967295EEENS1_25partition_config_selectorILNS1_17partition_subalgoE3EjNS0_10empty_typeEbEEZZNS1_14partition_implILS8_3ELb0ES6_jNS0_17counting_iteratorIjlEEPS9_SE_NS0_5tupleIJPjSE_EEENSF_IJSE_SE_EEES9_SG_JZNS1_25segmented_radix_sort_implINS0_14default_configELb1EPKlPlSM_SN_N2at6native12_GLOBAL__N_18offset_tEEE10hipError_tPvRmT1_PNSt15iterator_traitsISV_E10value_typeET2_T3_PNSW_IS11_E10value_typeET4_jRbjT5_S17_jjP12ihipStream_tbEUljE_EEESS_ST_SU_S11_S15_S17_T6_T7_T9_mT8_S19_bDpT10_ENKUlT_T0_E_clISt17integral_constantIbLb0EES1M_EEDaS1H_S1I_EUlS1H_E_NS1_11comp_targetILNS1_3genE5ELNS1_11target_archE942ELNS1_3gpuE9ELNS1_3repE0EEENS1_30default_config_static_selectorELNS0_4arch9wavefront6targetE0EEEvSV_.num_named_barrier, 0
	.set _ZN7rocprim17ROCPRIM_400000_NS6detail17trampoline_kernelINS0_13select_configILj256ELj13ELNS0_17block_load_methodE3ELS4_3ELS4_3ELNS0_20block_scan_algorithmE0ELj4294967295EEENS1_25partition_config_selectorILNS1_17partition_subalgoE3EjNS0_10empty_typeEbEEZZNS1_14partition_implILS8_3ELb0ES6_jNS0_17counting_iteratorIjlEEPS9_SE_NS0_5tupleIJPjSE_EEENSF_IJSE_SE_EEES9_SG_JZNS1_25segmented_radix_sort_implINS0_14default_configELb1EPKlPlSM_SN_N2at6native12_GLOBAL__N_18offset_tEEE10hipError_tPvRmT1_PNSt15iterator_traitsISV_E10value_typeET2_T3_PNSW_IS11_E10value_typeET4_jRbjT5_S17_jjP12ihipStream_tbEUljE_EEESS_ST_SU_S11_S15_S17_T6_T7_T9_mT8_S19_bDpT10_ENKUlT_T0_E_clISt17integral_constantIbLb0EES1M_EEDaS1H_S1I_EUlS1H_E_NS1_11comp_targetILNS1_3genE5ELNS1_11target_archE942ELNS1_3gpuE9ELNS1_3repE0EEENS1_30default_config_static_selectorELNS0_4arch9wavefront6targetE0EEEvSV_.private_seg_size, 0
	.set _ZN7rocprim17ROCPRIM_400000_NS6detail17trampoline_kernelINS0_13select_configILj256ELj13ELNS0_17block_load_methodE3ELS4_3ELS4_3ELNS0_20block_scan_algorithmE0ELj4294967295EEENS1_25partition_config_selectorILNS1_17partition_subalgoE3EjNS0_10empty_typeEbEEZZNS1_14partition_implILS8_3ELb0ES6_jNS0_17counting_iteratorIjlEEPS9_SE_NS0_5tupleIJPjSE_EEENSF_IJSE_SE_EEES9_SG_JZNS1_25segmented_radix_sort_implINS0_14default_configELb1EPKlPlSM_SN_N2at6native12_GLOBAL__N_18offset_tEEE10hipError_tPvRmT1_PNSt15iterator_traitsISV_E10value_typeET2_T3_PNSW_IS11_E10value_typeET4_jRbjT5_S17_jjP12ihipStream_tbEUljE_EEESS_ST_SU_S11_S15_S17_T6_T7_T9_mT8_S19_bDpT10_ENKUlT_T0_E_clISt17integral_constantIbLb0EES1M_EEDaS1H_S1I_EUlS1H_E_NS1_11comp_targetILNS1_3genE5ELNS1_11target_archE942ELNS1_3gpuE9ELNS1_3repE0EEENS1_30default_config_static_selectorELNS0_4arch9wavefront6targetE0EEEvSV_.uses_vcc, 0
	.set _ZN7rocprim17ROCPRIM_400000_NS6detail17trampoline_kernelINS0_13select_configILj256ELj13ELNS0_17block_load_methodE3ELS4_3ELS4_3ELNS0_20block_scan_algorithmE0ELj4294967295EEENS1_25partition_config_selectorILNS1_17partition_subalgoE3EjNS0_10empty_typeEbEEZZNS1_14partition_implILS8_3ELb0ES6_jNS0_17counting_iteratorIjlEEPS9_SE_NS0_5tupleIJPjSE_EEENSF_IJSE_SE_EEES9_SG_JZNS1_25segmented_radix_sort_implINS0_14default_configELb1EPKlPlSM_SN_N2at6native12_GLOBAL__N_18offset_tEEE10hipError_tPvRmT1_PNSt15iterator_traitsISV_E10value_typeET2_T3_PNSW_IS11_E10value_typeET4_jRbjT5_S17_jjP12ihipStream_tbEUljE_EEESS_ST_SU_S11_S15_S17_T6_T7_T9_mT8_S19_bDpT10_ENKUlT_T0_E_clISt17integral_constantIbLb0EES1M_EEDaS1H_S1I_EUlS1H_E_NS1_11comp_targetILNS1_3genE5ELNS1_11target_archE942ELNS1_3gpuE9ELNS1_3repE0EEENS1_30default_config_static_selectorELNS0_4arch9wavefront6targetE0EEEvSV_.uses_flat_scratch, 0
	.set _ZN7rocprim17ROCPRIM_400000_NS6detail17trampoline_kernelINS0_13select_configILj256ELj13ELNS0_17block_load_methodE3ELS4_3ELS4_3ELNS0_20block_scan_algorithmE0ELj4294967295EEENS1_25partition_config_selectorILNS1_17partition_subalgoE3EjNS0_10empty_typeEbEEZZNS1_14partition_implILS8_3ELb0ES6_jNS0_17counting_iteratorIjlEEPS9_SE_NS0_5tupleIJPjSE_EEENSF_IJSE_SE_EEES9_SG_JZNS1_25segmented_radix_sort_implINS0_14default_configELb1EPKlPlSM_SN_N2at6native12_GLOBAL__N_18offset_tEEE10hipError_tPvRmT1_PNSt15iterator_traitsISV_E10value_typeET2_T3_PNSW_IS11_E10value_typeET4_jRbjT5_S17_jjP12ihipStream_tbEUljE_EEESS_ST_SU_S11_S15_S17_T6_T7_T9_mT8_S19_bDpT10_ENKUlT_T0_E_clISt17integral_constantIbLb0EES1M_EEDaS1H_S1I_EUlS1H_E_NS1_11comp_targetILNS1_3genE5ELNS1_11target_archE942ELNS1_3gpuE9ELNS1_3repE0EEENS1_30default_config_static_selectorELNS0_4arch9wavefront6targetE0EEEvSV_.has_dyn_sized_stack, 0
	.set _ZN7rocprim17ROCPRIM_400000_NS6detail17trampoline_kernelINS0_13select_configILj256ELj13ELNS0_17block_load_methodE3ELS4_3ELS4_3ELNS0_20block_scan_algorithmE0ELj4294967295EEENS1_25partition_config_selectorILNS1_17partition_subalgoE3EjNS0_10empty_typeEbEEZZNS1_14partition_implILS8_3ELb0ES6_jNS0_17counting_iteratorIjlEEPS9_SE_NS0_5tupleIJPjSE_EEENSF_IJSE_SE_EEES9_SG_JZNS1_25segmented_radix_sort_implINS0_14default_configELb1EPKlPlSM_SN_N2at6native12_GLOBAL__N_18offset_tEEE10hipError_tPvRmT1_PNSt15iterator_traitsISV_E10value_typeET2_T3_PNSW_IS11_E10value_typeET4_jRbjT5_S17_jjP12ihipStream_tbEUljE_EEESS_ST_SU_S11_S15_S17_T6_T7_T9_mT8_S19_bDpT10_ENKUlT_T0_E_clISt17integral_constantIbLb0EES1M_EEDaS1H_S1I_EUlS1H_E_NS1_11comp_targetILNS1_3genE5ELNS1_11target_archE942ELNS1_3gpuE9ELNS1_3repE0EEENS1_30default_config_static_selectorELNS0_4arch9wavefront6targetE0EEEvSV_.has_recursion, 0
	.set _ZN7rocprim17ROCPRIM_400000_NS6detail17trampoline_kernelINS0_13select_configILj256ELj13ELNS0_17block_load_methodE3ELS4_3ELS4_3ELNS0_20block_scan_algorithmE0ELj4294967295EEENS1_25partition_config_selectorILNS1_17partition_subalgoE3EjNS0_10empty_typeEbEEZZNS1_14partition_implILS8_3ELb0ES6_jNS0_17counting_iteratorIjlEEPS9_SE_NS0_5tupleIJPjSE_EEENSF_IJSE_SE_EEES9_SG_JZNS1_25segmented_radix_sort_implINS0_14default_configELb1EPKlPlSM_SN_N2at6native12_GLOBAL__N_18offset_tEEE10hipError_tPvRmT1_PNSt15iterator_traitsISV_E10value_typeET2_T3_PNSW_IS11_E10value_typeET4_jRbjT5_S17_jjP12ihipStream_tbEUljE_EEESS_ST_SU_S11_S15_S17_T6_T7_T9_mT8_S19_bDpT10_ENKUlT_T0_E_clISt17integral_constantIbLb0EES1M_EEDaS1H_S1I_EUlS1H_E_NS1_11comp_targetILNS1_3genE5ELNS1_11target_archE942ELNS1_3gpuE9ELNS1_3repE0EEENS1_30default_config_static_selectorELNS0_4arch9wavefront6targetE0EEEvSV_.has_indirect_call, 0
	.section	.AMDGPU.csdata,"",@progbits
; Kernel info:
; codeLenInByte = 0
; TotalNumSgprs: 0
; NumVgprs: 0
; ScratchSize: 0
; MemoryBound: 0
; FloatMode: 240
; IeeeMode: 1
; LDSByteSize: 0 bytes/workgroup (compile time only)
; SGPRBlocks: 0
; VGPRBlocks: 0
; NumSGPRsForWavesPerEU: 1
; NumVGPRsForWavesPerEU: 1
; Occupancy: 16
; WaveLimiterHint : 0
; COMPUTE_PGM_RSRC2:SCRATCH_EN: 0
; COMPUTE_PGM_RSRC2:USER_SGPR: 6
; COMPUTE_PGM_RSRC2:TRAP_HANDLER: 0
; COMPUTE_PGM_RSRC2:TGID_X_EN: 1
; COMPUTE_PGM_RSRC2:TGID_Y_EN: 0
; COMPUTE_PGM_RSRC2:TGID_Z_EN: 0
; COMPUTE_PGM_RSRC2:TIDIG_COMP_CNT: 0
	.section	.text._ZN7rocprim17ROCPRIM_400000_NS6detail17trampoline_kernelINS0_13select_configILj256ELj13ELNS0_17block_load_methodE3ELS4_3ELS4_3ELNS0_20block_scan_algorithmE0ELj4294967295EEENS1_25partition_config_selectorILNS1_17partition_subalgoE3EjNS0_10empty_typeEbEEZZNS1_14partition_implILS8_3ELb0ES6_jNS0_17counting_iteratorIjlEEPS9_SE_NS0_5tupleIJPjSE_EEENSF_IJSE_SE_EEES9_SG_JZNS1_25segmented_radix_sort_implINS0_14default_configELb1EPKlPlSM_SN_N2at6native12_GLOBAL__N_18offset_tEEE10hipError_tPvRmT1_PNSt15iterator_traitsISV_E10value_typeET2_T3_PNSW_IS11_E10value_typeET4_jRbjT5_S17_jjP12ihipStream_tbEUljE_EEESS_ST_SU_S11_S15_S17_T6_T7_T9_mT8_S19_bDpT10_ENKUlT_T0_E_clISt17integral_constantIbLb0EES1M_EEDaS1H_S1I_EUlS1H_E_NS1_11comp_targetILNS1_3genE4ELNS1_11target_archE910ELNS1_3gpuE8ELNS1_3repE0EEENS1_30default_config_static_selectorELNS0_4arch9wavefront6targetE0EEEvSV_,"axG",@progbits,_ZN7rocprim17ROCPRIM_400000_NS6detail17trampoline_kernelINS0_13select_configILj256ELj13ELNS0_17block_load_methodE3ELS4_3ELS4_3ELNS0_20block_scan_algorithmE0ELj4294967295EEENS1_25partition_config_selectorILNS1_17partition_subalgoE3EjNS0_10empty_typeEbEEZZNS1_14partition_implILS8_3ELb0ES6_jNS0_17counting_iteratorIjlEEPS9_SE_NS0_5tupleIJPjSE_EEENSF_IJSE_SE_EEES9_SG_JZNS1_25segmented_radix_sort_implINS0_14default_configELb1EPKlPlSM_SN_N2at6native12_GLOBAL__N_18offset_tEEE10hipError_tPvRmT1_PNSt15iterator_traitsISV_E10value_typeET2_T3_PNSW_IS11_E10value_typeET4_jRbjT5_S17_jjP12ihipStream_tbEUljE_EEESS_ST_SU_S11_S15_S17_T6_T7_T9_mT8_S19_bDpT10_ENKUlT_T0_E_clISt17integral_constantIbLb0EES1M_EEDaS1H_S1I_EUlS1H_E_NS1_11comp_targetILNS1_3genE4ELNS1_11target_archE910ELNS1_3gpuE8ELNS1_3repE0EEENS1_30default_config_static_selectorELNS0_4arch9wavefront6targetE0EEEvSV_,comdat
	.globl	_ZN7rocprim17ROCPRIM_400000_NS6detail17trampoline_kernelINS0_13select_configILj256ELj13ELNS0_17block_load_methodE3ELS4_3ELS4_3ELNS0_20block_scan_algorithmE0ELj4294967295EEENS1_25partition_config_selectorILNS1_17partition_subalgoE3EjNS0_10empty_typeEbEEZZNS1_14partition_implILS8_3ELb0ES6_jNS0_17counting_iteratorIjlEEPS9_SE_NS0_5tupleIJPjSE_EEENSF_IJSE_SE_EEES9_SG_JZNS1_25segmented_radix_sort_implINS0_14default_configELb1EPKlPlSM_SN_N2at6native12_GLOBAL__N_18offset_tEEE10hipError_tPvRmT1_PNSt15iterator_traitsISV_E10value_typeET2_T3_PNSW_IS11_E10value_typeET4_jRbjT5_S17_jjP12ihipStream_tbEUljE_EEESS_ST_SU_S11_S15_S17_T6_T7_T9_mT8_S19_bDpT10_ENKUlT_T0_E_clISt17integral_constantIbLb0EES1M_EEDaS1H_S1I_EUlS1H_E_NS1_11comp_targetILNS1_3genE4ELNS1_11target_archE910ELNS1_3gpuE8ELNS1_3repE0EEENS1_30default_config_static_selectorELNS0_4arch9wavefront6targetE0EEEvSV_ ; -- Begin function _ZN7rocprim17ROCPRIM_400000_NS6detail17trampoline_kernelINS0_13select_configILj256ELj13ELNS0_17block_load_methodE3ELS4_3ELS4_3ELNS0_20block_scan_algorithmE0ELj4294967295EEENS1_25partition_config_selectorILNS1_17partition_subalgoE3EjNS0_10empty_typeEbEEZZNS1_14partition_implILS8_3ELb0ES6_jNS0_17counting_iteratorIjlEEPS9_SE_NS0_5tupleIJPjSE_EEENSF_IJSE_SE_EEES9_SG_JZNS1_25segmented_radix_sort_implINS0_14default_configELb1EPKlPlSM_SN_N2at6native12_GLOBAL__N_18offset_tEEE10hipError_tPvRmT1_PNSt15iterator_traitsISV_E10value_typeET2_T3_PNSW_IS11_E10value_typeET4_jRbjT5_S17_jjP12ihipStream_tbEUljE_EEESS_ST_SU_S11_S15_S17_T6_T7_T9_mT8_S19_bDpT10_ENKUlT_T0_E_clISt17integral_constantIbLb0EES1M_EEDaS1H_S1I_EUlS1H_E_NS1_11comp_targetILNS1_3genE4ELNS1_11target_archE910ELNS1_3gpuE8ELNS1_3repE0EEENS1_30default_config_static_selectorELNS0_4arch9wavefront6targetE0EEEvSV_
	.p2align	8
	.type	_ZN7rocprim17ROCPRIM_400000_NS6detail17trampoline_kernelINS0_13select_configILj256ELj13ELNS0_17block_load_methodE3ELS4_3ELS4_3ELNS0_20block_scan_algorithmE0ELj4294967295EEENS1_25partition_config_selectorILNS1_17partition_subalgoE3EjNS0_10empty_typeEbEEZZNS1_14partition_implILS8_3ELb0ES6_jNS0_17counting_iteratorIjlEEPS9_SE_NS0_5tupleIJPjSE_EEENSF_IJSE_SE_EEES9_SG_JZNS1_25segmented_radix_sort_implINS0_14default_configELb1EPKlPlSM_SN_N2at6native12_GLOBAL__N_18offset_tEEE10hipError_tPvRmT1_PNSt15iterator_traitsISV_E10value_typeET2_T3_PNSW_IS11_E10value_typeET4_jRbjT5_S17_jjP12ihipStream_tbEUljE_EEESS_ST_SU_S11_S15_S17_T6_T7_T9_mT8_S19_bDpT10_ENKUlT_T0_E_clISt17integral_constantIbLb0EES1M_EEDaS1H_S1I_EUlS1H_E_NS1_11comp_targetILNS1_3genE4ELNS1_11target_archE910ELNS1_3gpuE8ELNS1_3repE0EEENS1_30default_config_static_selectorELNS0_4arch9wavefront6targetE0EEEvSV_,@function
_ZN7rocprim17ROCPRIM_400000_NS6detail17trampoline_kernelINS0_13select_configILj256ELj13ELNS0_17block_load_methodE3ELS4_3ELS4_3ELNS0_20block_scan_algorithmE0ELj4294967295EEENS1_25partition_config_selectorILNS1_17partition_subalgoE3EjNS0_10empty_typeEbEEZZNS1_14partition_implILS8_3ELb0ES6_jNS0_17counting_iteratorIjlEEPS9_SE_NS0_5tupleIJPjSE_EEENSF_IJSE_SE_EEES9_SG_JZNS1_25segmented_radix_sort_implINS0_14default_configELb1EPKlPlSM_SN_N2at6native12_GLOBAL__N_18offset_tEEE10hipError_tPvRmT1_PNSt15iterator_traitsISV_E10value_typeET2_T3_PNSW_IS11_E10value_typeET4_jRbjT5_S17_jjP12ihipStream_tbEUljE_EEESS_ST_SU_S11_S15_S17_T6_T7_T9_mT8_S19_bDpT10_ENKUlT_T0_E_clISt17integral_constantIbLb0EES1M_EEDaS1H_S1I_EUlS1H_E_NS1_11comp_targetILNS1_3genE4ELNS1_11target_archE910ELNS1_3gpuE8ELNS1_3repE0EEENS1_30default_config_static_selectorELNS0_4arch9wavefront6targetE0EEEvSV_: ; @_ZN7rocprim17ROCPRIM_400000_NS6detail17trampoline_kernelINS0_13select_configILj256ELj13ELNS0_17block_load_methodE3ELS4_3ELS4_3ELNS0_20block_scan_algorithmE0ELj4294967295EEENS1_25partition_config_selectorILNS1_17partition_subalgoE3EjNS0_10empty_typeEbEEZZNS1_14partition_implILS8_3ELb0ES6_jNS0_17counting_iteratorIjlEEPS9_SE_NS0_5tupleIJPjSE_EEENSF_IJSE_SE_EEES9_SG_JZNS1_25segmented_radix_sort_implINS0_14default_configELb1EPKlPlSM_SN_N2at6native12_GLOBAL__N_18offset_tEEE10hipError_tPvRmT1_PNSt15iterator_traitsISV_E10value_typeET2_T3_PNSW_IS11_E10value_typeET4_jRbjT5_S17_jjP12ihipStream_tbEUljE_EEESS_ST_SU_S11_S15_S17_T6_T7_T9_mT8_S19_bDpT10_ENKUlT_T0_E_clISt17integral_constantIbLb0EES1M_EEDaS1H_S1I_EUlS1H_E_NS1_11comp_targetILNS1_3genE4ELNS1_11target_archE910ELNS1_3gpuE8ELNS1_3repE0EEENS1_30default_config_static_selectorELNS0_4arch9wavefront6targetE0EEEvSV_
; %bb.0:
	.section	.rodata,"a",@progbits
	.p2align	6, 0x0
	.amdhsa_kernel _ZN7rocprim17ROCPRIM_400000_NS6detail17trampoline_kernelINS0_13select_configILj256ELj13ELNS0_17block_load_methodE3ELS4_3ELS4_3ELNS0_20block_scan_algorithmE0ELj4294967295EEENS1_25partition_config_selectorILNS1_17partition_subalgoE3EjNS0_10empty_typeEbEEZZNS1_14partition_implILS8_3ELb0ES6_jNS0_17counting_iteratorIjlEEPS9_SE_NS0_5tupleIJPjSE_EEENSF_IJSE_SE_EEES9_SG_JZNS1_25segmented_radix_sort_implINS0_14default_configELb1EPKlPlSM_SN_N2at6native12_GLOBAL__N_18offset_tEEE10hipError_tPvRmT1_PNSt15iterator_traitsISV_E10value_typeET2_T3_PNSW_IS11_E10value_typeET4_jRbjT5_S17_jjP12ihipStream_tbEUljE_EEESS_ST_SU_S11_S15_S17_T6_T7_T9_mT8_S19_bDpT10_ENKUlT_T0_E_clISt17integral_constantIbLb0EES1M_EEDaS1H_S1I_EUlS1H_E_NS1_11comp_targetILNS1_3genE4ELNS1_11target_archE910ELNS1_3gpuE8ELNS1_3repE0EEENS1_30default_config_static_selectorELNS0_4arch9wavefront6targetE0EEEvSV_
		.amdhsa_group_segment_fixed_size 0
		.amdhsa_private_segment_fixed_size 0
		.amdhsa_kernarg_size 144
		.amdhsa_user_sgpr_count 6
		.amdhsa_user_sgpr_private_segment_buffer 1
		.amdhsa_user_sgpr_dispatch_ptr 0
		.amdhsa_user_sgpr_queue_ptr 0
		.amdhsa_user_sgpr_kernarg_segment_ptr 1
		.amdhsa_user_sgpr_dispatch_id 0
		.amdhsa_user_sgpr_flat_scratch_init 0
		.amdhsa_user_sgpr_private_segment_size 0
		.amdhsa_wavefront_size32 1
		.amdhsa_uses_dynamic_stack 0
		.amdhsa_system_sgpr_private_segment_wavefront_offset 0
		.amdhsa_system_sgpr_workgroup_id_x 1
		.amdhsa_system_sgpr_workgroup_id_y 0
		.amdhsa_system_sgpr_workgroup_id_z 0
		.amdhsa_system_sgpr_workgroup_info 0
		.amdhsa_system_vgpr_workitem_id 0
		.amdhsa_next_free_vgpr 1
		.amdhsa_next_free_sgpr 1
		.amdhsa_reserve_vcc 0
		.amdhsa_reserve_flat_scratch 0
		.amdhsa_float_round_mode_32 0
		.amdhsa_float_round_mode_16_64 0
		.amdhsa_float_denorm_mode_32 3
		.amdhsa_float_denorm_mode_16_64 3
		.amdhsa_dx10_clamp 1
		.amdhsa_ieee_mode 1
		.amdhsa_fp16_overflow 0
		.amdhsa_workgroup_processor_mode 1
		.amdhsa_memory_ordered 1
		.amdhsa_forward_progress 1
		.amdhsa_shared_vgpr_count 0
		.amdhsa_exception_fp_ieee_invalid_op 0
		.amdhsa_exception_fp_denorm_src 0
		.amdhsa_exception_fp_ieee_div_zero 0
		.amdhsa_exception_fp_ieee_overflow 0
		.amdhsa_exception_fp_ieee_underflow 0
		.amdhsa_exception_fp_ieee_inexact 0
		.amdhsa_exception_int_div_zero 0
	.end_amdhsa_kernel
	.section	.text._ZN7rocprim17ROCPRIM_400000_NS6detail17trampoline_kernelINS0_13select_configILj256ELj13ELNS0_17block_load_methodE3ELS4_3ELS4_3ELNS0_20block_scan_algorithmE0ELj4294967295EEENS1_25partition_config_selectorILNS1_17partition_subalgoE3EjNS0_10empty_typeEbEEZZNS1_14partition_implILS8_3ELb0ES6_jNS0_17counting_iteratorIjlEEPS9_SE_NS0_5tupleIJPjSE_EEENSF_IJSE_SE_EEES9_SG_JZNS1_25segmented_radix_sort_implINS0_14default_configELb1EPKlPlSM_SN_N2at6native12_GLOBAL__N_18offset_tEEE10hipError_tPvRmT1_PNSt15iterator_traitsISV_E10value_typeET2_T3_PNSW_IS11_E10value_typeET4_jRbjT5_S17_jjP12ihipStream_tbEUljE_EEESS_ST_SU_S11_S15_S17_T6_T7_T9_mT8_S19_bDpT10_ENKUlT_T0_E_clISt17integral_constantIbLb0EES1M_EEDaS1H_S1I_EUlS1H_E_NS1_11comp_targetILNS1_3genE4ELNS1_11target_archE910ELNS1_3gpuE8ELNS1_3repE0EEENS1_30default_config_static_selectorELNS0_4arch9wavefront6targetE0EEEvSV_,"axG",@progbits,_ZN7rocprim17ROCPRIM_400000_NS6detail17trampoline_kernelINS0_13select_configILj256ELj13ELNS0_17block_load_methodE3ELS4_3ELS4_3ELNS0_20block_scan_algorithmE0ELj4294967295EEENS1_25partition_config_selectorILNS1_17partition_subalgoE3EjNS0_10empty_typeEbEEZZNS1_14partition_implILS8_3ELb0ES6_jNS0_17counting_iteratorIjlEEPS9_SE_NS0_5tupleIJPjSE_EEENSF_IJSE_SE_EEES9_SG_JZNS1_25segmented_radix_sort_implINS0_14default_configELb1EPKlPlSM_SN_N2at6native12_GLOBAL__N_18offset_tEEE10hipError_tPvRmT1_PNSt15iterator_traitsISV_E10value_typeET2_T3_PNSW_IS11_E10value_typeET4_jRbjT5_S17_jjP12ihipStream_tbEUljE_EEESS_ST_SU_S11_S15_S17_T6_T7_T9_mT8_S19_bDpT10_ENKUlT_T0_E_clISt17integral_constantIbLb0EES1M_EEDaS1H_S1I_EUlS1H_E_NS1_11comp_targetILNS1_3genE4ELNS1_11target_archE910ELNS1_3gpuE8ELNS1_3repE0EEENS1_30default_config_static_selectorELNS0_4arch9wavefront6targetE0EEEvSV_,comdat
.Lfunc_end668:
	.size	_ZN7rocprim17ROCPRIM_400000_NS6detail17trampoline_kernelINS0_13select_configILj256ELj13ELNS0_17block_load_methodE3ELS4_3ELS4_3ELNS0_20block_scan_algorithmE0ELj4294967295EEENS1_25partition_config_selectorILNS1_17partition_subalgoE3EjNS0_10empty_typeEbEEZZNS1_14partition_implILS8_3ELb0ES6_jNS0_17counting_iteratorIjlEEPS9_SE_NS0_5tupleIJPjSE_EEENSF_IJSE_SE_EEES9_SG_JZNS1_25segmented_radix_sort_implINS0_14default_configELb1EPKlPlSM_SN_N2at6native12_GLOBAL__N_18offset_tEEE10hipError_tPvRmT1_PNSt15iterator_traitsISV_E10value_typeET2_T3_PNSW_IS11_E10value_typeET4_jRbjT5_S17_jjP12ihipStream_tbEUljE_EEESS_ST_SU_S11_S15_S17_T6_T7_T9_mT8_S19_bDpT10_ENKUlT_T0_E_clISt17integral_constantIbLb0EES1M_EEDaS1H_S1I_EUlS1H_E_NS1_11comp_targetILNS1_3genE4ELNS1_11target_archE910ELNS1_3gpuE8ELNS1_3repE0EEENS1_30default_config_static_selectorELNS0_4arch9wavefront6targetE0EEEvSV_, .Lfunc_end668-_ZN7rocprim17ROCPRIM_400000_NS6detail17trampoline_kernelINS0_13select_configILj256ELj13ELNS0_17block_load_methodE3ELS4_3ELS4_3ELNS0_20block_scan_algorithmE0ELj4294967295EEENS1_25partition_config_selectorILNS1_17partition_subalgoE3EjNS0_10empty_typeEbEEZZNS1_14partition_implILS8_3ELb0ES6_jNS0_17counting_iteratorIjlEEPS9_SE_NS0_5tupleIJPjSE_EEENSF_IJSE_SE_EEES9_SG_JZNS1_25segmented_radix_sort_implINS0_14default_configELb1EPKlPlSM_SN_N2at6native12_GLOBAL__N_18offset_tEEE10hipError_tPvRmT1_PNSt15iterator_traitsISV_E10value_typeET2_T3_PNSW_IS11_E10value_typeET4_jRbjT5_S17_jjP12ihipStream_tbEUljE_EEESS_ST_SU_S11_S15_S17_T6_T7_T9_mT8_S19_bDpT10_ENKUlT_T0_E_clISt17integral_constantIbLb0EES1M_EEDaS1H_S1I_EUlS1H_E_NS1_11comp_targetILNS1_3genE4ELNS1_11target_archE910ELNS1_3gpuE8ELNS1_3repE0EEENS1_30default_config_static_selectorELNS0_4arch9wavefront6targetE0EEEvSV_
                                        ; -- End function
	.set _ZN7rocprim17ROCPRIM_400000_NS6detail17trampoline_kernelINS0_13select_configILj256ELj13ELNS0_17block_load_methodE3ELS4_3ELS4_3ELNS0_20block_scan_algorithmE0ELj4294967295EEENS1_25partition_config_selectorILNS1_17partition_subalgoE3EjNS0_10empty_typeEbEEZZNS1_14partition_implILS8_3ELb0ES6_jNS0_17counting_iteratorIjlEEPS9_SE_NS0_5tupleIJPjSE_EEENSF_IJSE_SE_EEES9_SG_JZNS1_25segmented_radix_sort_implINS0_14default_configELb1EPKlPlSM_SN_N2at6native12_GLOBAL__N_18offset_tEEE10hipError_tPvRmT1_PNSt15iterator_traitsISV_E10value_typeET2_T3_PNSW_IS11_E10value_typeET4_jRbjT5_S17_jjP12ihipStream_tbEUljE_EEESS_ST_SU_S11_S15_S17_T6_T7_T9_mT8_S19_bDpT10_ENKUlT_T0_E_clISt17integral_constantIbLb0EES1M_EEDaS1H_S1I_EUlS1H_E_NS1_11comp_targetILNS1_3genE4ELNS1_11target_archE910ELNS1_3gpuE8ELNS1_3repE0EEENS1_30default_config_static_selectorELNS0_4arch9wavefront6targetE0EEEvSV_.num_vgpr, 0
	.set _ZN7rocprim17ROCPRIM_400000_NS6detail17trampoline_kernelINS0_13select_configILj256ELj13ELNS0_17block_load_methodE3ELS4_3ELS4_3ELNS0_20block_scan_algorithmE0ELj4294967295EEENS1_25partition_config_selectorILNS1_17partition_subalgoE3EjNS0_10empty_typeEbEEZZNS1_14partition_implILS8_3ELb0ES6_jNS0_17counting_iteratorIjlEEPS9_SE_NS0_5tupleIJPjSE_EEENSF_IJSE_SE_EEES9_SG_JZNS1_25segmented_radix_sort_implINS0_14default_configELb1EPKlPlSM_SN_N2at6native12_GLOBAL__N_18offset_tEEE10hipError_tPvRmT1_PNSt15iterator_traitsISV_E10value_typeET2_T3_PNSW_IS11_E10value_typeET4_jRbjT5_S17_jjP12ihipStream_tbEUljE_EEESS_ST_SU_S11_S15_S17_T6_T7_T9_mT8_S19_bDpT10_ENKUlT_T0_E_clISt17integral_constantIbLb0EES1M_EEDaS1H_S1I_EUlS1H_E_NS1_11comp_targetILNS1_3genE4ELNS1_11target_archE910ELNS1_3gpuE8ELNS1_3repE0EEENS1_30default_config_static_selectorELNS0_4arch9wavefront6targetE0EEEvSV_.num_agpr, 0
	.set _ZN7rocprim17ROCPRIM_400000_NS6detail17trampoline_kernelINS0_13select_configILj256ELj13ELNS0_17block_load_methodE3ELS4_3ELS4_3ELNS0_20block_scan_algorithmE0ELj4294967295EEENS1_25partition_config_selectorILNS1_17partition_subalgoE3EjNS0_10empty_typeEbEEZZNS1_14partition_implILS8_3ELb0ES6_jNS0_17counting_iteratorIjlEEPS9_SE_NS0_5tupleIJPjSE_EEENSF_IJSE_SE_EEES9_SG_JZNS1_25segmented_radix_sort_implINS0_14default_configELb1EPKlPlSM_SN_N2at6native12_GLOBAL__N_18offset_tEEE10hipError_tPvRmT1_PNSt15iterator_traitsISV_E10value_typeET2_T3_PNSW_IS11_E10value_typeET4_jRbjT5_S17_jjP12ihipStream_tbEUljE_EEESS_ST_SU_S11_S15_S17_T6_T7_T9_mT8_S19_bDpT10_ENKUlT_T0_E_clISt17integral_constantIbLb0EES1M_EEDaS1H_S1I_EUlS1H_E_NS1_11comp_targetILNS1_3genE4ELNS1_11target_archE910ELNS1_3gpuE8ELNS1_3repE0EEENS1_30default_config_static_selectorELNS0_4arch9wavefront6targetE0EEEvSV_.numbered_sgpr, 0
	.set _ZN7rocprim17ROCPRIM_400000_NS6detail17trampoline_kernelINS0_13select_configILj256ELj13ELNS0_17block_load_methodE3ELS4_3ELS4_3ELNS0_20block_scan_algorithmE0ELj4294967295EEENS1_25partition_config_selectorILNS1_17partition_subalgoE3EjNS0_10empty_typeEbEEZZNS1_14partition_implILS8_3ELb0ES6_jNS0_17counting_iteratorIjlEEPS9_SE_NS0_5tupleIJPjSE_EEENSF_IJSE_SE_EEES9_SG_JZNS1_25segmented_radix_sort_implINS0_14default_configELb1EPKlPlSM_SN_N2at6native12_GLOBAL__N_18offset_tEEE10hipError_tPvRmT1_PNSt15iterator_traitsISV_E10value_typeET2_T3_PNSW_IS11_E10value_typeET4_jRbjT5_S17_jjP12ihipStream_tbEUljE_EEESS_ST_SU_S11_S15_S17_T6_T7_T9_mT8_S19_bDpT10_ENKUlT_T0_E_clISt17integral_constantIbLb0EES1M_EEDaS1H_S1I_EUlS1H_E_NS1_11comp_targetILNS1_3genE4ELNS1_11target_archE910ELNS1_3gpuE8ELNS1_3repE0EEENS1_30default_config_static_selectorELNS0_4arch9wavefront6targetE0EEEvSV_.num_named_barrier, 0
	.set _ZN7rocprim17ROCPRIM_400000_NS6detail17trampoline_kernelINS0_13select_configILj256ELj13ELNS0_17block_load_methodE3ELS4_3ELS4_3ELNS0_20block_scan_algorithmE0ELj4294967295EEENS1_25partition_config_selectorILNS1_17partition_subalgoE3EjNS0_10empty_typeEbEEZZNS1_14partition_implILS8_3ELb0ES6_jNS0_17counting_iteratorIjlEEPS9_SE_NS0_5tupleIJPjSE_EEENSF_IJSE_SE_EEES9_SG_JZNS1_25segmented_radix_sort_implINS0_14default_configELb1EPKlPlSM_SN_N2at6native12_GLOBAL__N_18offset_tEEE10hipError_tPvRmT1_PNSt15iterator_traitsISV_E10value_typeET2_T3_PNSW_IS11_E10value_typeET4_jRbjT5_S17_jjP12ihipStream_tbEUljE_EEESS_ST_SU_S11_S15_S17_T6_T7_T9_mT8_S19_bDpT10_ENKUlT_T0_E_clISt17integral_constantIbLb0EES1M_EEDaS1H_S1I_EUlS1H_E_NS1_11comp_targetILNS1_3genE4ELNS1_11target_archE910ELNS1_3gpuE8ELNS1_3repE0EEENS1_30default_config_static_selectorELNS0_4arch9wavefront6targetE0EEEvSV_.private_seg_size, 0
	.set _ZN7rocprim17ROCPRIM_400000_NS6detail17trampoline_kernelINS0_13select_configILj256ELj13ELNS0_17block_load_methodE3ELS4_3ELS4_3ELNS0_20block_scan_algorithmE0ELj4294967295EEENS1_25partition_config_selectorILNS1_17partition_subalgoE3EjNS0_10empty_typeEbEEZZNS1_14partition_implILS8_3ELb0ES6_jNS0_17counting_iteratorIjlEEPS9_SE_NS0_5tupleIJPjSE_EEENSF_IJSE_SE_EEES9_SG_JZNS1_25segmented_radix_sort_implINS0_14default_configELb1EPKlPlSM_SN_N2at6native12_GLOBAL__N_18offset_tEEE10hipError_tPvRmT1_PNSt15iterator_traitsISV_E10value_typeET2_T3_PNSW_IS11_E10value_typeET4_jRbjT5_S17_jjP12ihipStream_tbEUljE_EEESS_ST_SU_S11_S15_S17_T6_T7_T9_mT8_S19_bDpT10_ENKUlT_T0_E_clISt17integral_constantIbLb0EES1M_EEDaS1H_S1I_EUlS1H_E_NS1_11comp_targetILNS1_3genE4ELNS1_11target_archE910ELNS1_3gpuE8ELNS1_3repE0EEENS1_30default_config_static_selectorELNS0_4arch9wavefront6targetE0EEEvSV_.uses_vcc, 0
	.set _ZN7rocprim17ROCPRIM_400000_NS6detail17trampoline_kernelINS0_13select_configILj256ELj13ELNS0_17block_load_methodE3ELS4_3ELS4_3ELNS0_20block_scan_algorithmE0ELj4294967295EEENS1_25partition_config_selectorILNS1_17partition_subalgoE3EjNS0_10empty_typeEbEEZZNS1_14partition_implILS8_3ELb0ES6_jNS0_17counting_iteratorIjlEEPS9_SE_NS0_5tupleIJPjSE_EEENSF_IJSE_SE_EEES9_SG_JZNS1_25segmented_radix_sort_implINS0_14default_configELb1EPKlPlSM_SN_N2at6native12_GLOBAL__N_18offset_tEEE10hipError_tPvRmT1_PNSt15iterator_traitsISV_E10value_typeET2_T3_PNSW_IS11_E10value_typeET4_jRbjT5_S17_jjP12ihipStream_tbEUljE_EEESS_ST_SU_S11_S15_S17_T6_T7_T9_mT8_S19_bDpT10_ENKUlT_T0_E_clISt17integral_constantIbLb0EES1M_EEDaS1H_S1I_EUlS1H_E_NS1_11comp_targetILNS1_3genE4ELNS1_11target_archE910ELNS1_3gpuE8ELNS1_3repE0EEENS1_30default_config_static_selectorELNS0_4arch9wavefront6targetE0EEEvSV_.uses_flat_scratch, 0
	.set _ZN7rocprim17ROCPRIM_400000_NS6detail17trampoline_kernelINS0_13select_configILj256ELj13ELNS0_17block_load_methodE3ELS4_3ELS4_3ELNS0_20block_scan_algorithmE0ELj4294967295EEENS1_25partition_config_selectorILNS1_17partition_subalgoE3EjNS0_10empty_typeEbEEZZNS1_14partition_implILS8_3ELb0ES6_jNS0_17counting_iteratorIjlEEPS9_SE_NS0_5tupleIJPjSE_EEENSF_IJSE_SE_EEES9_SG_JZNS1_25segmented_radix_sort_implINS0_14default_configELb1EPKlPlSM_SN_N2at6native12_GLOBAL__N_18offset_tEEE10hipError_tPvRmT1_PNSt15iterator_traitsISV_E10value_typeET2_T3_PNSW_IS11_E10value_typeET4_jRbjT5_S17_jjP12ihipStream_tbEUljE_EEESS_ST_SU_S11_S15_S17_T6_T7_T9_mT8_S19_bDpT10_ENKUlT_T0_E_clISt17integral_constantIbLb0EES1M_EEDaS1H_S1I_EUlS1H_E_NS1_11comp_targetILNS1_3genE4ELNS1_11target_archE910ELNS1_3gpuE8ELNS1_3repE0EEENS1_30default_config_static_selectorELNS0_4arch9wavefront6targetE0EEEvSV_.has_dyn_sized_stack, 0
	.set _ZN7rocprim17ROCPRIM_400000_NS6detail17trampoline_kernelINS0_13select_configILj256ELj13ELNS0_17block_load_methodE3ELS4_3ELS4_3ELNS0_20block_scan_algorithmE0ELj4294967295EEENS1_25partition_config_selectorILNS1_17partition_subalgoE3EjNS0_10empty_typeEbEEZZNS1_14partition_implILS8_3ELb0ES6_jNS0_17counting_iteratorIjlEEPS9_SE_NS0_5tupleIJPjSE_EEENSF_IJSE_SE_EEES9_SG_JZNS1_25segmented_radix_sort_implINS0_14default_configELb1EPKlPlSM_SN_N2at6native12_GLOBAL__N_18offset_tEEE10hipError_tPvRmT1_PNSt15iterator_traitsISV_E10value_typeET2_T3_PNSW_IS11_E10value_typeET4_jRbjT5_S17_jjP12ihipStream_tbEUljE_EEESS_ST_SU_S11_S15_S17_T6_T7_T9_mT8_S19_bDpT10_ENKUlT_T0_E_clISt17integral_constantIbLb0EES1M_EEDaS1H_S1I_EUlS1H_E_NS1_11comp_targetILNS1_3genE4ELNS1_11target_archE910ELNS1_3gpuE8ELNS1_3repE0EEENS1_30default_config_static_selectorELNS0_4arch9wavefront6targetE0EEEvSV_.has_recursion, 0
	.set _ZN7rocprim17ROCPRIM_400000_NS6detail17trampoline_kernelINS0_13select_configILj256ELj13ELNS0_17block_load_methodE3ELS4_3ELS4_3ELNS0_20block_scan_algorithmE0ELj4294967295EEENS1_25partition_config_selectorILNS1_17partition_subalgoE3EjNS0_10empty_typeEbEEZZNS1_14partition_implILS8_3ELb0ES6_jNS0_17counting_iteratorIjlEEPS9_SE_NS0_5tupleIJPjSE_EEENSF_IJSE_SE_EEES9_SG_JZNS1_25segmented_radix_sort_implINS0_14default_configELb1EPKlPlSM_SN_N2at6native12_GLOBAL__N_18offset_tEEE10hipError_tPvRmT1_PNSt15iterator_traitsISV_E10value_typeET2_T3_PNSW_IS11_E10value_typeET4_jRbjT5_S17_jjP12ihipStream_tbEUljE_EEESS_ST_SU_S11_S15_S17_T6_T7_T9_mT8_S19_bDpT10_ENKUlT_T0_E_clISt17integral_constantIbLb0EES1M_EEDaS1H_S1I_EUlS1H_E_NS1_11comp_targetILNS1_3genE4ELNS1_11target_archE910ELNS1_3gpuE8ELNS1_3repE0EEENS1_30default_config_static_selectorELNS0_4arch9wavefront6targetE0EEEvSV_.has_indirect_call, 0
	.section	.AMDGPU.csdata,"",@progbits
; Kernel info:
; codeLenInByte = 0
; TotalNumSgprs: 0
; NumVgprs: 0
; ScratchSize: 0
; MemoryBound: 0
; FloatMode: 240
; IeeeMode: 1
; LDSByteSize: 0 bytes/workgroup (compile time only)
; SGPRBlocks: 0
; VGPRBlocks: 0
; NumSGPRsForWavesPerEU: 1
; NumVGPRsForWavesPerEU: 1
; Occupancy: 16
; WaveLimiterHint : 0
; COMPUTE_PGM_RSRC2:SCRATCH_EN: 0
; COMPUTE_PGM_RSRC2:USER_SGPR: 6
; COMPUTE_PGM_RSRC2:TRAP_HANDLER: 0
; COMPUTE_PGM_RSRC2:TGID_X_EN: 1
; COMPUTE_PGM_RSRC2:TGID_Y_EN: 0
; COMPUTE_PGM_RSRC2:TGID_Z_EN: 0
; COMPUTE_PGM_RSRC2:TIDIG_COMP_CNT: 0
	.section	.text._ZN7rocprim17ROCPRIM_400000_NS6detail17trampoline_kernelINS0_13select_configILj256ELj13ELNS0_17block_load_methodE3ELS4_3ELS4_3ELNS0_20block_scan_algorithmE0ELj4294967295EEENS1_25partition_config_selectorILNS1_17partition_subalgoE3EjNS0_10empty_typeEbEEZZNS1_14partition_implILS8_3ELb0ES6_jNS0_17counting_iteratorIjlEEPS9_SE_NS0_5tupleIJPjSE_EEENSF_IJSE_SE_EEES9_SG_JZNS1_25segmented_radix_sort_implINS0_14default_configELb1EPKlPlSM_SN_N2at6native12_GLOBAL__N_18offset_tEEE10hipError_tPvRmT1_PNSt15iterator_traitsISV_E10value_typeET2_T3_PNSW_IS11_E10value_typeET4_jRbjT5_S17_jjP12ihipStream_tbEUljE_EEESS_ST_SU_S11_S15_S17_T6_T7_T9_mT8_S19_bDpT10_ENKUlT_T0_E_clISt17integral_constantIbLb0EES1M_EEDaS1H_S1I_EUlS1H_E_NS1_11comp_targetILNS1_3genE3ELNS1_11target_archE908ELNS1_3gpuE7ELNS1_3repE0EEENS1_30default_config_static_selectorELNS0_4arch9wavefront6targetE0EEEvSV_,"axG",@progbits,_ZN7rocprim17ROCPRIM_400000_NS6detail17trampoline_kernelINS0_13select_configILj256ELj13ELNS0_17block_load_methodE3ELS4_3ELS4_3ELNS0_20block_scan_algorithmE0ELj4294967295EEENS1_25partition_config_selectorILNS1_17partition_subalgoE3EjNS0_10empty_typeEbEEZZNS1_14partition_implILS8_3ELb0ES6_jNS0_17counting_iteratorIjlEEPS9_SE_NS0_5tupleIJPjSE_EEENSF_IJSE_SE_EEES9_SG_JZNS1_25segmented_radix_sort_implINS0_14default_configELb1EPKlPlSM_SN_N2at6native12_GLOBAL__N_18offset_tEEE10hipError_tPvRmT1_PNSt15iterator_traitsISV_E10value_typeET2_T3_PNSW_IS11_E10value_typeET4_jRbjT5_S17_jjP12ihipStream_tbEUljE_EEESS_ST_SU_S11_S15_S17_T6_T7_T9_mT8_S19_bDpT10_ENKUlT_T0_E_clISt17integral_constantIbLb0EES1M_EEDaS1H_S1I_EUlS1H_E_NS1_11comp_targetILNS1_3genE3ELNS1_11target_archE908ELNS1_3gpuE7ELNS1_3repE0EEENS1_30default_config_static_selectorELNS0_4arch9wavefront6targetE0EEEvSV_,comdat
	.globl	_ZN7rocprim17ROCPRIM_400000_NS6detail17trampoline_kernelINS0_13select_configILj256ELj13ELNS0_17block_load_methodE3ELS4_3ELS4_3ELNS0_20block_scan_algorithmE0ELj4294967295EEENS1_25partition_config_selectorILNS1_17partition_subalgoE3EjNS0_10empty_typeEbEEZZNS1_14partition_implILS8_3ELb0ES6_jNS0_17counting_iteratorIjlEEPS9_SE_NS0_5tupleIJPjSE_EEENSF_IJSE_SE_EEES9_SG_JZNS1_25segmented_radix_sort_implINS0_14default_configELb1EPKlPlSM_SN_N2at6native12_GLOBAL__N_18offset_tEEE10hipError_tPvRmT1_PNSt15iterator_traitsISV_E10value_typeET2_T3_PNSW_IS11_E10value_typeET4_jRbjT5_S17_jjP12ihipStream_tbEUljE_EEESS_ST_SU_S11_S15_S17_T6_T7_T9_mT8_S19_bDpT10_ENKUlT_T0_E_clISt17integral_constantIbLb0EES1M_EEDaS1H_S1I_EUlS1H_E_NS1_11comp_targetILNS1_3genE3ELNS1_11target_archE908ELNS1_3gpuE7ELNS1_3repE0EEENS1_30default_config_static_selectorELNS0_4arch9wavefront6targetE0EEEvSV_ ; -- Begin function _ZN7rocprim17ROCPRIM_400000_NS6detail17trampoline_kernelINS0_13select_configILj256ELj13ELNS0_17block_load_methodE3ELS4_3ELS4_3ELNS0_20block_scan_algorithmE0ELj4294967295EEENS1_25partition_config_selectorILNS1_17partition_subalgoE3EjNS0_10empty_typeEbEEZZNS1_14partition_implILS8_3ELb0ES6_jNS0_17counting_iteratorIjlEEPS9_SE_NS0_5tupleIJPjSE_EEENSF_IJSE_SE_EEES9_SG_JZNS1_25segmented_radix_sort_implINS0_14default_configELb1EPKlPlSM_SN_N2at6native12_GLOBAL__N_18offset_tEEE10hipError_tPvRmT1_PNSt15iterator_traitsISV_E10value_typeET2_T3_PNSW_IS11_E10value_typeET4_jRbjT5_S17_jjP12ihipStream_tbEUljE_EEESS_ST_SU_S11_S15_S17_T6_T7_T9_mT8_S19_bDpT10_ENKUlT_T0_E_clISt17integral_constantIbLb0EES1M_EEDaS1H_S1I_EUlS1H_E_NS1_11comp_targetILNS1_3genE3ELNS1_11target_archE908ELNS1_3gpuE7ELNS1_3repE0EEENS1_30default_config_static_selectorELNS0_4arch9wavefront6targetE0EEEvSV_
	.p2align	8
	.type	_ZN7rocprim17ROCPRIM_400000_NS6detail17trampoline_kernelINS0_13select_configILj256ELj13ELNS0_17block_load_methodE3ELS4_3ELS4_3ELNS0_20block_scan_algorithmE0ELj4294967295EEENS1_25partition_config_selectorILNS1_17partition_subalgoE3EjNS0_10empty_typeEbEEZZNS1_14partition_implILS8_3ELb0ES6_jNS0_17counting_iteratorIjlEEPS9_SE_NS0_5tupleIJPjSE_EEENSF_IJSE_SE_EEES9_SG_JZNS1_25segmented_radix_sort_implINS0_14default_configELb1EPKlPlSM_SN_N2at6native12_GLOBAL__N_18offset_tEEE10hipError_tPvRmT1_PNSt15iterator_traitsISV_E10value_typeET2_T3_PNSW_IS11_E10value_typeET4_jRbjT5_S17_jjP12ihipStream_tbEUljE_EEESS_ST_SU_S11_S15_S17_T6_T7_T9_mT8_S19_bDpT10_ENKUlT_T0_E_clISt17integral_constantIbLb0EES1M_EEDaS1H_S1I_EUlS1H_E_NS1_11comp_targetILNS1_3genE3ELNS1_11target_archE908ELNS1_3gpuE7ELNS1_3repE0EEENS1_30default_config_static_selectorELNS0_4arch9wavefront6targetE0EEEvSV_,@function
_ZN7rocprim17ROCPRIM_400000_NS6detail17trampoline_kernelINS0_13select_configILj256ELj13ELNS0_17block_load_methodE3ELS4_3ELS4_3ELNS0_20block_scan_algorithmE0ELj4294967295EEENS1_25partition_config_selectorILNS1_17partition_subalgoE3EjNS0_10empty_typeEbEEZZNS1_14partition_implILS8_3ELb0ES6_jNS0_17counting_iteratorIjlEEPS9_SE_NS0_5tupleIJPjSE_EEENSF_IJSE_SE_EEES9_SG_JZNS1_25segmented_radix_sort_implINS0_14default_configELb1EPKlPlSM_SN_N2at6native12_GLOBAL__N_18offset_tEEE10hipError_tPvRmT1_PNSt15iterator_traitsISV_E10value_typeET2_T3_PNSW_IS11_E10value_typeET4_jRbjT5_S17_jjP12ihipStream_tbEUljE_EEESS_ST_SU_S11_S15_S17_T6_T7_T9_mT8_S19_bDpT10_ENKUlT_T0_E_clISt17integral_constantIbLb0EES1M_EEDaS1H_S1I_EUlS1H_E_NS1_11comp_targetILNS1_3genE3ELNS1_11target_archE908ELNS1_3gpuE7ELNS1_3repE0EEENS1_30default_config_static_selectorELNS0_4arch9wavefront6targetE0EEEvSV_: ; @_ZN7rocprim17ROCPRIM_400000_NS6detail17trampoline_kernelINS0_13select_configILj256ELj13ELNS0_17block_load_methodE3ELS4_3ELS4_3ELNS0_20block_scan_algorithmE0ELj4294967295EEENS1_25partition_config_selectorILNS1_17partition_subalgoE3EjNS0_10empty_typeEbEEZZNS1_14partition_implILS8_3ELb0ES6_jNS0_17counting_iteratorIjlEEPS9_SE_NS0_5tupleIJPjSE_EEENSF_IJSE_SE_EEES9_SG_JZNS1_25segmented_radix_sort_implINS0_14default_configELb1EPKlPlSM_SN_N2at6native12_GLOBAL__N_18offset_tEEE10hipError_tPvRmT1_PNSt15iterator_traitsISV_E10value_typeET2_T3_PNSW_IS11_E10value_typeET4_jRbjT5_S17_jjP12ihipStream_tbEUljE_EEESS_ST_SU_S11_S15_S17_T6_T7_T9_mT8_S19_bDpT10_ENKUlT_T0_E_clISt17integral_constantIbLb0EES1M_EEDaS1H_S1I_EUlS1H_E_NS1_11comp_targetILNS1_3genE3ELNS1_11target_archE908ELNS1_3gpuE7ELNS1_3repE0EEENS1_30default_config_static_selectorELNS0_4arch9wavefront6targetE0EEEvSV_
; %bb.0:
	.section	.rodata,"a",@progbits
	.p2align	6, 0x0
	.amdhsa_kernel _ZN7rocprim17ROCPRIM_400000_NS6detail17trampoline_kernelINS0_13select_configILj256ELj13ELNS0_17block_load_methodE3ELS4_3ELS4_3ELNS0_20block_scan_algorithmE0ELj4294967295EEENS1_25partition_config_selectorILNS1_17partition_subalgoE3EjNS0_10empty_typeEbEEZZNS1_14partition_implILS8_3ELb0ES6_jNS0_17counting_iteratorIjlEEPS9_SE_NS0_5tupleIJPjSE_EEENSF_IJSE_SE_EEES9_SG_JZNS1_25segmented_radix_sort_implINS0_14default_configELb1EPKlPlSM_SN_N2at6native12_GLOBAL__N_18offset_tEEE10hipError_tPvRmT1_PNSt15iterator_traitsISV_E10value_typeET2_T3_PNSW_IS11_E10value_typeET4_jRbjT5_S17_jjP12ihipStream_tbEUljE_EEESS_ST_SU_S11_S15_S17_T6_T7_T9_mT8_S19_bDpT10_ENKUlT_T0_E_clISt17integral_constantIbLb0EES1M_EEDaS1H_S1I_EUlS1H_E_NS1_11comp_targetILNS1_3genE3ELNS1_11target_archE908ELNS1_3gpuE7ELNS1_3repE0EEENS1_30default_config_static_selectorELNS0_4arch9wavefront6targetE0EEEvSV_
		.amdhsa_group_segment_fixed_size 0
		.amdhsa_private_segment_fixed_size 0
		.amdhsa_kernarg_size 144
		.amdhsa_user_sgpr_count 6
		.amdhsa_user_sgpr_private_segment_buffer 1
		.amdhsa_user_sgpr_dispatch_ptr 0
		.amdhsa_user_sgpr_queue_ptr 0
		.amdhsa_user_sgpr_kernarg_segment_ptr 1
		.amdhsa_user_sgpr_dispatch_id 0
		.amdhsa_user_sgpr_flat_scratch_init 0
		.amdhsa_user_sgpr_private_segment_size 0
		.amdhsa_wavefront_size32 1
		.amdhsa_uses_dynamic_stack 0
		.amdhsa_system_sgpr_private_segment_wavefront_offset 0
		.amdhsa_system_sgpr_workgroup_id_x 1
		.amdhsa_system_sgpr_workgroup_id_y 0
		.amdhsa_system_sgpr_workgroup_id_z 0
		.amdhsa_system_sgpr_workgroup_info 0
		.amdhsa_system_vgpr_workitem_id 0
		.amdhsa_next_free_vgpr 1
		.amdhsa_next_free_sgpr 1
		.amdhsa_reserve_vcc 0
		.amdhsa_reserve_flat_scratch 0
		.amdhsa_float_round_mode_32 0
		.amdhsa_float_round_mode_16_64 0
		.amdhsa_float_denorm_mode_32 3
		.amdhsa_float_denorm_mode_16_64 3
		.amdhsa_dx10_clamp 1
		.amdhsa_ieee_mode 1
		.amdhsa_fp16_overflow 0
		.amdhsa_workgroup_processor_mode 1
		.amdhsa_memory_ordered 1
		.amdhsa_forward_progress 1
		.amdhsa_shared_vgpr_count 0
		.amdhsa_exception_fp_ieee_invalid_op 0
		.amdhsa_exception_fp_denorm_src 0
		.amdhsa_exception_fp_ieee_div_zero 0
		.amdhsa_exception_fp_ieee_overflow 0
		.amdhsa_exception_fp_ieee_underflow 0
		.amdhsa_exception_fp_ieee_inexact 0
		.amdhsa_exception_int_div_zero 0
	.end_amdhsa_kernel
	.section	.text._ZN7rocprim17ROCPRIM_400000_NS6detail17trampoline_kernelINS0_13select_configILj256ELj13ELNS0_17block_load_methodE3ELS4_3ELS4_3ELNS0_20block_scan_algorithmE0ELj4294967295EEENS1_25partition_config_selectorILNS1_17partition_subalgoE3EjNS0_10empty_typeEbEEZZNS1_14partition_implILS8_3ELb0ES6_jNS0_17counting_iteratorIjlEEPS9_SE_NS0_5tupleIJPjSE_EEENSF_IJSE_SE_EEES9_SG_JZNS1_25segmented_radix_sort_implINS0_14default_configELb1EPKlPlSM_SN_N2at6native12_GLOBAL__N_18offset_tEEE10hipError_tPvRmT1_PNSt15iterator_traitsISV_E10value_typeET2_T3_PNSW_IS11_E10value_typeET4_jRbjT5_S17_jjP12ihipStream_tbEUljE_EEESS_ST_SU_S11_S15_S17_T6_T7_T9_mT8_S19_bDpT10_ENKUlT_T0_E_clISt17integral_constantIbLb0EES1M_EEDaS1H_S1I_EUlS1H_E_NS1_11comp_targetILNS1_3genE3ELNS1_11target_archE908ELNS1_3gpuE7ELNS1_3repE0EEENS1_30default_config_static_selectorELNS0_4arch9wavefront6targetE0EEEvSV_,"axG",@progbits,_ZN7rocprim17ROCPRIM_400000_NS6detail17trampoline_kernelINS0_13select_configILj256ELj13ELNS0_17block_load_methodE3ELS4_3ELS4_3ELNS0_20block_scan_algorithmE0ELj4294967295EEENS1_25partition_config_selectorILNS1_17partition_subalgoE3EjNS0_10empty_typeEbEEZZNS1_14partition_implILS8_3ELb0ES6_jNS0_17counting_iteratorIjlEEPS9_SE_NS0_5tupleIJPjSE_EEENSF_IJSE_SE_EEES9_SG_JZNS1_25segmented_radix_sort_implINS0_14default_configELb1EPKlPlSM_SN_N2at6native12_GLOBAL__N_18offset_tEEE10hipError_tPvRmT1_PNSt15iterator_traitsISV_E10value_typeET2_T3_PNSW_IS11_E10value_typeET4_jRbjT5_S17_jjP12ihipStream_tbEUljE_EEESS_ST_SU_S11_S15_S17_T6_T7_T9_mT8_S19_bDpT10_ENKUlT_T0_E_clISt17integral_constantIbLb0EES1M_EEDaS1H_S1I_EUlS1H_E_NS1_11comp_targetILNS1_3genE3ELNS1_11target_archE908ELNS1_3gpuE7ELNS1_3repE0EEENS1_30default_config_static_selectorELNS0_4arch9wavefront6targetE0EEEvSV_,comdat
.Lfunc_end669:
	.size	_ZN7rocprim17ROCPRIM_400000_NS6detail17trampoline_kernelINS0_13select_configILj256ELj13ELNS0_17block_load_methodE3ELS4_3ELS4_3ELNS0_20block_scan_algorithmE0ELj4294967295EEENS1_25partition_config_selectorILNS1_17partition_subalgoE3EjNS0_10empty_typeEbEEZZNS1_14partition_implILS8_3ELb0ES6_jNS0_17counting_iteratorIjlEEPS9_SE_NS0_5tupleIJPjSE_EEENSF_IJSE_SE_EEES9_SG_JZNS1_25segmented_radix_sort_implINS0_14default_configELb1EPKlPlSM_SN_N2at6native12_GLOBAL__N_18offset_tEEE10hipError_tPvRmT1_PNSt15iterator_traitsISV_E10value_typeET2_T3_PNSW_IS11_E10value_typeET4_jRbjT5_S17_jjP12ihipStream_tbEUljE_EEESS_ST_SU_S11_S15_S17_T6_T7_T9_mT8_S19_bDpT10_ENKUlT_T0_E_clISt17integral_constantIbLb0EES1M_EEDaS1H_S1I_EUlS1H_E_NS1_11comp_targetILNS1_3genE3ELNS1_11target_archE908ELNS1_3gpuE7ELNS1_3repE0EEENS1_30default_config_static_selectorELNS0_4arch9wavefront6targetE0EEEvSV_, .Lfunc_end669-_ZN7rocprim17ROCPRIM_400000_NS6detail17trampoline_kernelINS0_13select_configILj256ELj13ELNS0_17block_load_methodE3ELS4_3ELS4_3ELNS0_20block_scan_algorithmE0ELj4294967295EEENS1_25partition_config_selectorILNS1_17partition_subalgoE3EjNS0_10empty_typeEbEEZZNS1_14partition_implILS8_3ELb0ES6_jNS0_17counting_iteratorIjlEEPS9_SE_NS0_5tupleIJPjSE_EEENSF_IJSE_SE_EEES9_SG_JZNS1_25segmented_radix_sort_implINS0_14default_configELb1EPKlPlSM_SN_N2at6native12_GLOBAL__N_18offset_tEEE10hipError_tPvRmT1_PNSt15iterator_traitsISV_E10value_typeET2_T3_PNSW_IS11_E10value_typeET4_jRbjT5_S17_jjP12ihipStream_tbEUljE_EEESS_ST_SU_S11_S15_S17_T6_T7_T9_mT8_S19_bDpT10_ENKUlT_T0_E_clISt17integral_constantIbLb0EES1M_EEDaS1H_S1I_EUlS1H_E_NS1_11comp_targetILNS1_3genE3ELNS1_11target_archE908ELNS1_3gpuE7ELNS1_3repE0EEENS1_30default_config_static_selectorELNS0_4arch9wavefront6targetE0EEEvSV_
                                        ; -- End function
	.set _ZN7rocprim17ROCPRIM_400000_NS6detail17trampoline_kernelINS0_13select_configILj256ELj13ELNS0_17block_load_methodE3ELS4_3ELS4_3ELNS0_20block_scan_algorithmE0ELj4294967295EEENS1_25partition_config_selectorILNS1_17partition_subalgoE3EjNS0_10empty_typeEbEEZZNS1_14partition_implILS8_3ELb0ES6_jNS0_17counting_iteratorIjlEEPS9_SE_NS0_5tupleIJPjSE_EEENSF_IJSE_SE_EEES9_SG_JZNS1_25segmented_radix_sort_implINS0_14default_configELb1EPKlPlSM_SN_N2at6native12_GLOBAL__N_18offset_tEEE10hipError_tPvRmT1_PNSt15iterator_traitsISV_E10value_typeET2_T3_PNSW_IS11_E10value_typeET4_jRbjT5_S17_jjP12ihipStream_tbEUljE_EEESS_ST_SU_S11_S15_S17_T6_T7_T9_mT8_S19_bDpT10_ENKUlT_T0_E_clISt17integral_constantIbLb0EES1M_EEDaS1H_S1I_EUlS1H_E_NS1_11comp_targetILNS1_3genE3ELNS1_11target_archE908ELNS1_3gpuE7ELNS1_3repE0EEENS1_30default_config_static_selectorELNS0_4arch9wavefront6targetE0EEEvSV_.num_vgpr, 0
	.set _ZN7rocprim17ROCPRIM_400000_NS6detail17trampoline_kernelINS0_13select_configILj256ELj13ELNS0_17block_load_methodE3ELS4_3ELS4_3ELNS0_20block_scan_algorithmE0ELj4294967295EEENS1_25partition_config_selectorILNS1_17partition_subalgoE3EjNS0_10empty_typeEbEEZZNS1_14partition_implILS8_3ELb0ES6_jNS0_17counting_iteratorIjlEEPS9_SE_NS0_5tupleIJPjSE_EEENSF_IJSE_SE_EEES9_SG_JZNS1_25segmented_radix_sort_implINS0_14default_configELb1EPKlPlSM_SN_N2at6native12_GLOBAL__N_18offset_tEEE10hipError_tPvRmT1_PNSt15iterator_traitsISV_E10value_typeET2_T3_PNSW_IS11_E10value_typeET4_jRbjT5_S17_jjP12ihipStream_tbEUljE_EEESS_ST_SU_S11_S15_S17_T6_T7_T9_mT8_S19_bDpT10_ENKUlT_T0_E_clISt17integral_constantIbLb0EES1M_EEDaS1H_S1I_EUlS1H_E_NS1_11comp_targetILNS1_3genE3ELNS1_11target_archE908ELNS1_3gpuE7ELNS1_3repE0EEENS1_30default_config_static_selectorELNS0_4arch9wavefront6targetE0EEEvSV_.num_agpr, 0
	.set _ZN7rocprim17ROCPRIM_400000_NS6detail17trampoline_kernelINS0_13select_configILj256ELj13ELNS0_17block_load_methodE3ELS4_3ELS4_3ELNS0_20block_scan_algorithmE0ELj4294967295EEENS1_25partition_config_selectorILNS1_17partition_subalgoE3EjNS0_10empty_typeEbEEZZNS1_14partition_implILS8_3ELb0ES6_jNS0_17counting_iteratorIjlEEPS9_SE_NS0_5tupleIJPjSE_EEENSF_IJSE_SE_EEES9_SG_JZNS1_25segmented_radix_sort_implINS0_14default_configELb1EPKlPlSM_SN_N2at6native12_GLOBAL__N_18offset_tEEE10hipError_tPvRmT1_PNSt15iterator_traitsISV_E10value_typeET2_T3_PNSW_IS11_E10value_typeET4_jRbjT5_S17_jjP12ihipStream_tbEUljE_EEESS_ST_SU_S11_S15_S17_T6_T7_T9_mT8_S19_bDpT10_ENKUlT_T0_E_clISt17integral_constantIbLb0EES1M_EEDaS1H_S1I_EUlS1H_E_NS1_11comp_targetILNS1_3genE3ELNS1_11target_archE908ELNS1_3gpuE7ELNS1_3repE0EEENS1_30default_config_static_selectorELNS0_4arch9wavefront6targetE0EEEvSV_.numbered_sgpr, 0
	.set _ZN7rocprim17ROCPRIM_400000_NS6detail17trampoline_kernelINS0_13select_configILj256ELj13ELNS0_17block_load_methodE3ELS4_3ELS4_3ELNS0_20block_scan_algorithmE0ELj4294967295EEENS1_25partition_config_selectorILNS1_17partition_subalgoE3EjNS0_10empty_typeEbEEZZNS1_14partition_implILS8_3ELb0ES6_jNS0_17counting_iteratorIjlEEPS9_SE_NS0_5tupleIJPjSE_EEENSF_IJSE_SE_EEES9_SG_JZNS1_25segmented_radix_sort_implINS0_14default_configELb1EPKlPlSM_SN_N2at6native12_GLOBAL__N_18offset_tEEE10hipError_tPvRmT1_PNSt15iterator_traitsISV_E10value_typeET2_T3_PNSW_IS11_E10value_typeET4_jRbjT5_S17_jjP12ihipStream_tbEUljE_EEESS_ST_SU_S11_S15_S17_T6_T7_T9_mT8_S19_bDpT10_ENKUlT_T0_E_clISt17integral_constantIbLb0EES1M_EEDaS1H_S1I_EUlS1H_E_NS1_11comp_targetILNS1_3genE3ELNS1_11target_archE908ELNS1_3gpuE7ELNS1_3repE0EEENS1_30default_config_static_selectorELNS0_4arch9wavefront6targetE0EEEvSV_.num_named_barrier, 0
	.set _ZN7rocprim17ROCPRIM_400000_NS6detail17trampoline_kernelINS0_13select_configILj256ELj13ELNS0_17block_load_methodE3ELS4_3ELS4_3ELNS0_20block_scan_algorithmE0ELj4294967295EEENS1_25partition_config_selectorILNS1_17partition_subalgoE3EjNS0_10empty_typeEbEEZZNS1_14partition_implILS8_3ELb0ES6_jNS0_17counting_iteratorIjlEEPS9_SE_NS0_5tupleIJPjSE_EEENSF_IJSE_SE_EEES9_SG_JZNS1_25segmented_radix_sort_implINS0_14default_configELb1EPKlPlSM_SN_N2at6native12_GLOBAL__N_18offset_tEEE10hipError_tPvRmT1_PNSt15iterator_traitsISV_E10value_typeET2_T3_PNSW_IS11_E10value_typeET4_jRbjT5_S17_jjP12ihipStream_tbEUljE_EEESS_ST_SU_S11_S15_S17_T6_T7_T9_mT8_S19_bDpT10_ENKUlT_T0_E_clISt17integral_constantIbLb0EES1M_EEDaS1H_S1I_EUlS1H_E_NS1_11comp_targetILNS1_3genE3ELNS1_11target_archE908ELNS1_3gpuE7ELNS1_3repE0EEENS1_30default_config_static_selectorELNS0_4arch9wavefront6targetE0EEEvSV_.private_seg_size, 0
	.set _ZN7rocprim17ROCPRIM_400000_NS6detail17trampoline_kernelINS0_13select_configILj256ELj13ELNS0_17block_load_methodE3ELS4_3ELS4_3ELNS0_20block_scan_algorithmE0ELj4294967295EEENS1_25partition_config_selectorILNS1_17partition_subalgoE3EjNS0_10empty_typeEbEEZZNS1_14partition_implILS8_3ELb0ES6_jNS0_17counting_iteratorIjlEEPS9_SE_NS0_5tupleIJPjSE_EEENSF_IJSE_SE_EEES9_SG_JZNS1_25segmented_radix_sort_implINS0_14default_configELb1EPKlPlSM_SN_N2at6native12_GLOBAL__N_18offset_tEEE10hipError_tPvRmT1_PNSt15iterator_traitsISV_E10value_typeET2_T3_PNSW_IS11_E10value_typeET4_jRbjT5_S17_jjP12ihipStream_tbEUljE_EEESS_ST_SU_S11_S15_S17_T6_T7_T9_mT8_S19_bDpT10_ENKUlT_T0_E_clISt17integral_constantIbLb0EES1M_EEDaS1H_S1I_EUlS1H_E_NS1_11comp_targetILNS1_3genE3ELNS1_11target_archE908ELNS1_3gpuE7ELNS1_3repE0EEENS1_30default_config_static_selectorELNS0_4arch9wavefront6targetE0EEEvSV_.uses_vcc, 0
	.set _ZN7rocprim17ROCPRIM_400000_NS6detail17trampoline_kernelINS0_13select_configILj256ELj13ELNS0_17block_load_methodE3ELS4_3ELS4_3ELNS0_20block_scan_algorithmE0ELj4294967295EEENS1_25partition_config_selectorILNS1_17partition_subalgoE3EjNS0_10empty_typeEbEEZZNS1_14partition_implILS8_3ELb0ES6_jNS0_17counting_iteratorIjlEEPS9_SE_NS0_5tupleIJPjSE_EEENSF_IJSE_SE_EEES9_SG_JZNS1_25segmented_radix_sort_implINS0_14default_configELb1EPKlPlSM_SN_N2at6native12_GLOBAL__N_18offset_tEEE10hipError_tPvRmT1_PNSt15iterator_traitsISV_E10value_typeET2_T3_PNSW_IS11_E10value_typeET4_jRbjT5_S17_jjP12ihipStream_tbEUljE_EEESS_ST_SU_S11_S15_S17_T6_T7_T9_mT8_S19_bDpT10_ENKUlT_T0_E_clISt17integral_constantIbLb0EES1M_EEDaS1H_S1I_EUlS1H_E_NS1_11comp_targetILNS1_3genE3ELNS1_11target_archE908ELNS1_3gpuE7ELNS1_3repE0EEENS1_30default_config_static_selectorELNS0_4arch9wavefront6targetE0EEEvSV_.uses_flat_scratch, 0
	.set _ZN7rocprim17ROCPRIM_400000_NS6detail17trampoline_kernelINS0_13select_configILj256ELj13ELNS0_17block_load_methodE3ELS4_3ELS4_3ELNS0_20block_scan_algorithmE0ELj4294967295EEENS1_25partition_config_selectorILNS1_17partition_subalgoE3EjNS0_10empty_typeEbEEZZNS1_14partition_implILS8_3ELb0ES6_jNS0_17counting_iteratorIjlEEPS9_SE_NS0_5tupleIJPjSE_EEENSF_IJSE_SE_EEES9_SG_JZNS1_25segmented_radix_sort_implINS0_14default_configELb1EPKlPlSM_SN_N2at6native12_GLOBAL__N_18offset_tEEE10hipError_tPvRmT1_PNSt15iterator_traitsISV_E10value_typeET2_T3_PNSW_IS11_E10value_typeET4_jRbjT5_S17_jjP12ihipStream_tbEUljE_EEESS_ST_SU_S11_S15_S17_T6_T7_T9_mT8_S19_bDpT10_ENKUlT_T0_E_clISt17integral_constantIbLb0EES1M_EEDaS1H_S1I_EUlS1H_E_NS1_11comp_targetILNS1_3genE3ELNS1_11target_archE908ELNS1_3gpuE7ELNS1_3repE0EEENS1_30default_config_static_selectorELNS0_4arch9wavefront6targetE0EEEvSV_.has_dyn_sized_stack, 0
	.set _ZN7rocprim17ROCPRIM_400000_NS6detail17trampoline_kernelINS0_13select_configILj256ELj13ELNS0_17block_load_methodE3ELS4_3ELS4_3ELNS0_20block_scan_algorithmE0ELj4294967295EEENS1_25partition_config_selectorILNS1_17partition_subalgoE3EjNS0_10empty_typeEbEEZZNS1_14partition_implILS8_3ELb0ES6_jNS0_17counting_iteratorIjlEEPS9_SE_NS0_5tupleIJPjSE_EEENSF_IJSE_SE_EEES9_SG_JZNS1_25segmented_radix_sort_implINS0_14default_configELb1EPKlPlSM_SN_N2at6native12_GLOBAL__N_18offset_tEEE10hipError_tPvRmT1_PNSt15iterator_traitsISV_E10value_typeET2_T3_PNSW_IS11_E10value_typeET4_jRbjT5_S17_jjP12ihipStream_tbEUljE_EEESS_ST_SU_S11_S15_S17_T6_T7_T9_mT8_S19_bDpT10_ENKUlT_T0_E_clISt17integral_constantIbLb0EES1M_EEDaS1H_S1I_EUlS1H_E_NS1_11comp_targetILNS1_3genE3ELNS1_11target_archE908ELNS1_3gpuE7ELNS1_3repE0EEENS1_30default_config_static_selectorELNS0_4arch9wavefront6targetE0EEEvSV_.has_recursion, 0
	.set _ZN7rocprim17ROCPRIM_400000_NS6detail17trampoline_kernelINS0_13select_configILj256ELj13ELNS0_17block_load_methodE3ELS4_3ELS4_3ELNS0_20block_scan_algorithmE0ELj4294967295EEENS1_25partition_config_selectorILNS1_17partition_subalgoE3EjNS0_10empty_typeEbEEZZNS1_14partition_implILS8_3ELb0ES6_jNS0_17counting_iteratorIjlEEPS9_SE_NS0_5tupleIJPjSE_EEENSF_IJSE_SE_EEES9_SG_JZNS1_25segmented_radix_sort_implINS0_14default_configELb1EPKlPlSM_SN_N2at6native12_GLOBAL__N_18offset_tEEE10hipError_tPvRmT1_PNSt15iterator_traitsISV_E10value_typeET2_T3_PNSW_IS11_E10value_typeET4_jRbjT5_S17_jjP12ihipStream_tbEUljE_EEESS_ST_SU_S11_S15_S17_T6_T7_T9_mT8_S19_bDpT10_ENKUlT_T0_E_clISt17integral_constantIbLb0EES1M_EEDaS1H_S1I_EUlS1H_E_NS1_11comp_targetILNS1_3genE3ELNS1_11target_archE908ELNS1_3gpuE7ELNS1_3repE0EEENS1_30default_config_static_selectorELNS0_4arch9wavefront6targetE0EEEvSV_.has_indirect_call, 0
	.section	.AMDGPU.csdata,"",@progbits
; Kernel info:
; codeLenInByte = 0
; TotalNumSgprs: 0
; NumVgprs: 0
; ScratchSize: 0
; MemoryBound: 0
; FloatMode: 240
; IeeeMode: 1
; LDSByteSize: 0 bytes/workgroup (compile time only)
; SGPRBlocks: 0
; VGPRBlocks: 0
; NumSGPRsForWavesPerEU: 1
; NumVGPRsForWavesPerEU: 1
; Occupancy: 16
; WaveLimiterHint : 0
; COMPUTE_PGM_RSRC2:SCRATCH_EN: 0
; COMPUTE_PGM_RSRC2:USER_SGPR: 6
; COMPUTE_PGM_RSRC2:TRAP_HANDLER: 0
; COMPUTE_PGM_RSRC2:TGID_X_EN: 1
; COMPUTE_PGM_RSRC2:TGID_Y_EN: 0
; COMPUTE_PGM_RSRC2:TGID_Z_EN: 0
; COMPUTE_PGM_RSRC2:TIDIG_COMP_CNT: 0
	.section	.text._ZN7rocprim17ROCPRIM_400000_NS6detail17trampoline_kernelINS0_13select_configILj256ELj13ELNS0_17block_load_methodE3ELS4_3ELS4_3ELNS0_20block_scan_algorithmE0ELj4294967295EEENS1_25partition_config_selectorILNS1_17partition_subalgoE3EjNS0_10empty_typeEbEEZZNS1_14partition_implILS8_3ELb0ES6_jNS0_17counting_iteratorIjlEEPS9_SE_NS0_5tupleIJPjSE_EEENSF_IJSE_SE_EEES9_SG_JZNS1_25segmented_radix_sort_implINS0_14default_configELb1EPKlPlSM_SN_N2at6native12_GLOBAL__N_18offset_tEEE10hipError_tPvRmT1_PNSt15iterator_traitsISV_E10value_typeET2_T3_PNSW_IS11_E10value_typeET4_jRbjT5_S17_jjP12ihipStream_tbEUljE_EEESS_ST_SU_S11_S15_S17_T6_T7_T9_mT8_S19_bDpT10_ENKUlT_T0_E_clISt17integral_constantIbLb0EES1M_EEDaS1H_S1I_EUlS1H_E_NS1_11comp_targetILNS1_3genE2ELNS1_11target_archE906ELNS1_3gpuE6ELNS1_3repE0EEENS1_30default_config_static_selectorELNS0_4arch9wavefront6targetE0EEEvSV_,"axG",@progbits,_ZN7rocprim17ROCPRIM_400000_NS6detail17trampoline_kernelINS0_13select_configILj256ELj13ELNS0_17block_load_methodE3ELS4_3ELS4_3ELNS0_20block_scan_algorithmE0ELj4294967295EEENS1_25partition_config_selectorILNS1_17partition_subalgoE3EjNS0_10empty_typeEbEEZZNS1_14partition_implILS8_3ELb0ES6_jNS0_17counting_iteratorIjlEEPS9_SE_NS0_5tupleIJPjSE_EEENSF_IJSE_SE_EEES9_SG_JZNS1_25segmented_radix_sort_implINS0_14default_configELb1EPKlPlSM_SN_N2at6native12_GLOBAL__N_18offset_tEEE10hipError_tPvRmT1_PNSt15iterator_traitsISV_E10value_typeET2_T3_PNSW_IS11_E10value_typeET4_jRbjT5_S17_jjP12ihipStream_tbEUljE_EEESS_ST_SU_S11_S15_S17_T6_T7_T9_mT8_S19_bDpT10_ENKUlT_T0_E_clISt17integral_constantIbLb0EES1M_EEDaS1H_S1I_EUlS1H_E_NS1_11comp_targetILNS1_3genE2ELNS1_11target_archE906ELNS1_3gpuE6ELNS1_3repE0EEENS1_30default_config_static_selectorELNS0_4arch9wavefront6targetE0EEEvSV_,comdat
	.globl	_ZN7rocprim17ROCPRIM_400000_NS6detail17trampoline_kernelINS0_13select_configILj256ELj13ELNS0_17block_load_methodE3ELS4_3ELS4_3ELNS0_20block_scan_algorithmE0ELj4294967295EEENS1_25partition_config_selectorILNS1_17partition_subalgoE3EjNS0_10empty_typeEbEEZZNS1_14partition_implILS8_3ELb0ES6_jNS0_17counting_iteratorIjlEEPS9_SE_NS0_5tupleIJPjSE_EEENSF_IJSE_SE_EEES9_SG_JZNS1_25segmented_radix_sort_implINS0_14default_configELb1EPKlPlSM_SN_N2at6native12_GLOBAL__N_18offset_tEEE10hipError_tPvRmT1_PNSt15iterator_traitsISV_E10value_typeET2_T3_PNSW_IS11_E10value_typeET4_jRbjT5_S17_jjP12ihipStream_tbEUljE_EEESS_ST_SU_S11_S15_S17_T6_T7_T9_mT8_S19_bDpT10_ENKUlT_T0_E_clISt17integral_constantIbLb0EES1M_EEDaS1H_S1I_EUlS1H_E_NS1_11comp_targetILNS1_3genE2ELNS1_11target_archE906ELNS1_3gpuE6ELNS1_3repE0EEENS1_30default_config_static_selectorELNS0_4arch9wavefront6targetE0EEEvSV_ ; -- Begin function _ZN7rocprim17ROCPRIM_400000_NS6detail17trampoline_kernelINS0_13select_configILj256ELj13ELNS0_17block_load_methodE3ELS4_3ELS4_3ELNS0_20block_scan_algorithmE0ELj4294967295EEENS1_25partition_config_selectorILNS1_17partition_subalgoE3EjNS0_10empty_typeEbEEZZNS1_14partition_implILS8_3ELb0ES6_jNS0_17counting_iteratorIjlEEPS9_SE_NS0_5tupleIJPjSE_EEENSF_IJSE_SE_EEES9_SG_JZNS1_25segmented_radix_sort_implINS0_14default_configELb1EPKlPlSM_SN_N2at6native12_GLOBAL__N_18offset_tEEE10hipError_tPvRmT1_PNSt15iterator_traitsISV_E10value_typeET2_T3_PNSW_IS11_E10value_typeET4_jRbjT5_S17_jjP12ihipStream_tbEUljE_EEESS_ST_SU_S11_S15_S17_T6_T7_T9_mT8_S19_bDpT10_ENKUlT_T0_E_clISt17integral_constantIbLb0EES1M_EEDaS1H_S1I_EUlS1H_E_NS1_11comp_targetILNS1_3genE2ELNS1_11target_archE906ELNS1_3gpuE6ELNS1_3repE0EEENS1_30default_config_static_selectorELNS0_4arch9wavefront6targetE0EEEvSV_
	.p2align	8
	.type	_ZN7rocprim17ROCPRIM_400000_NS6detail17trampoline_kernelINS0_13select_configILj256ELj13ELNS0_17block_load_methodE3ELS4_3ELS4_3ELNS0_20block_scan_algorithmE0ELj4294967295EEENS1_25partition_config_selectorILNS1_17partition_subalgoE3EjNS0_10empty_typeEbEEZZNS1_14partition_implILS8_3ELb0ES6_jNS0_17counting_iteratorIjlEEPS9_SE_NS0_5tupleIJPjSE_EEENSF_IJSE_SE_EEES9_SG_JZNS1_25segmented_radix_sort_implINS0_14default_configELb1EPKlPlSM_SN_N2at6native12_GLOBAL__N_18offset_tEEE10hipError_tPvRmT1_PNSt15iterator_traitsISV_E10value_typeET2_T3_PNSW_IS11_E10value_typeET4_jRbjT5_S17_jjP12ihipStream_tbEUljE_EEESS_ST_SU_S11_S15_S17_T6_T7_T9_mT8_S19_bDpT10_ENKUlT_T0_E_clISt17integral_constantIbLb0EES1M_EEDaS1H_S1I_EUlS1H_E_NS1_11comp_targetILNS1_3genE2ELNS1_11target_archE906ELNS1_3gpuE6ELNS1_3repE0EEENS1_30default_config_static_selectorELNS0_4arch9wavefront6targetE0EEEvSV_,@function
_ZN7rocprim17ROCPRIM_400000_NS6detail17trampoline_kernelINS0_13select_configILj256ELj13ELNS0_17block_load_methodE3ELS4_3ELS4_3ELNS0_20block_scan_algorithmE0ELj4294967295EEENS1_25partition_config_selectorILNS1_17partition_subalgoE3EjNS0_10empty_typeEbEEZZNS1_14partition_implILS8_3ELb0ES6_jNS0_17counting_iteratorIjlEEPS9_SE_NS0_5tupleIJPjSE_EEENSF_IJSE_SE_EEES9_SG_JZNS1_25segmented_radix_sort_implINS0_14default_configELb1EPKlPlSM_SN_N2at6native12_GLOBAL__N_18offset_tEEE10hipError_tPvRmT1_PNSt15iterator_traitsISV_E10value_typeET2_T3_PNSW_IS11_E10value_typeET4_jRbjT5_S17_jjP12ihipStream_tbEUljE_EEESS_ST_SU_S11_S15_S17_T6_T7_T9_mT8_S19_bDpT10_ENKUlT_T0_E_clISt17integral_constantIbLb0EES1M_EEDaS1H_S1I_EUlS1H_E_NS1_11comp_targetILNS1_3genE2ELNS1_11target_archE906ELNS1_3gpuE6ELNS1_3repE0EEENS1_30default_config_static_selectorELNS0_4arch9wavefront6targetE0EEEvSV_: ; @_ZN7rocprim17ROCPRIM_400000_NS6detail17trampoline_kernelINS0_13select_configILj256ELj13ELNS0_17block_load_methodE3ELS4_3ELS4_3ELNS0_20block_scan_algorithmE0ELj4294967295EEENS1_25partition_config_selectorILNS1_17partition_subalgoE3EjNS0_10empty_typeEbEEZZNS1_14partition_implILS8_3ELb0ES6_jNS0_17counting_iteratorIjlEEPS9_SE_NS0_5tupleIJPjSE_EEENSF_IJSE_SE_EEES9_SG_JZNS1_25segmented_radix_sort_implINS0_14default_configELb1EPKlPlSM_SN_N2at6native12_GLOBAL__N_18offset_tEEE10hipError_tPvRmT1_PNSt15iterator_traitsISV_E10value_typeET2_T3_PNSW_IS11_E10value_typeET4_jRbjT5_S17_jjP12ihipStream_tbEUljE_EEESS_ST_SU_S11_S15_S17_T6_T7_T9_mT8_S19_bDpT10_ENKUlT_T0_E_clISt17integral_constantIbLb0EES1M_EEDaS1H_S1I_EUlS1H_E_NS1_11comp_targetILNS1_3genE2ELNS1_11target_archE906ELNS1_3gpuE6ELNS1_3repE0EEENS1_30default_config_static_selectorELNS0_4arch9wavefront6targetE0EEEvSV_
; %bb.0:
	.section	.rodata,"a",@progbits
	.p2align	6, 0x0
	.amdhsa_kernel _ZN7rocprim17ROCPRIM_400000_NS6detail17trampoline_kernelINS0_13select_configILj256ELj13ELNS0_17block_load_methodE3ELS4_3ELS4_3ELNS0_20block_scan_algorithmE0ELj4294967295EEENS1_25partition_config_selectorILNS1_17partition_subalgoE3EjNS0_10empty_typeEbEEZZNS1_14partition_implILS8_3ELb0ES6_jNS0_17counting_iteratorIjlEEPS9_SE_NS0_5tupleIJPjSE_EEENSF_IJSE_SE_EEES9_SG_JZNS1_25segmented_radix_sort_implINS0_14default_configELb1EPKlPlSM_SN_N2at6native12_GLOBAL__N_18offset_tEEE10hipError_tPvRmT1_PNSt15iterator_traitsISV_E10value_typeET2_T3_PNSW_IS11_E10value_typeET4_jRbjT5_S17_jjP12ihipStream_tbEUljE_EEESS_ST_SU_S11_S15_S17_T6_T7_T9_mT8_S19_bDpT10_ENKUlT_T0_E_clISt17integral_constantIbLb0EES1M_EEDaS1H_S1I_EUlS1H_E_NS1_11comp_targetILNS1_3genE2ELNS1_11target_archE906ELNS1_3gpuE6ELNS1_3repE0EEENS1_30default_config_static_selectorELNS0_4arch9wavefront6targetE0EEEvSV_
		.amdhsa_group_segment_fixed_size 0
		.amdhsa_private_segment_fixed_size 0
		.amdhsa_kernarg_size 144
		.amdhsa_user_sgpr_count 6
		.amdhsa_user_sgpr_private_segment_buffer 1
		.amdhsa_user_sgpr_dispatch_ptr 0
		.amdhsa_user_sgpr_queue_ptr 0
		.amdhsa_user_sgpr_kernarg_segment_ptr 1
		.amdhsa_user_sgpr_dispatch_id 0
		.amdhsa_user_sgpr_flat_scratch_init 0
		.amdhsa_user_sgpr_private_segment_size 0
		.amdhsa_wavefront_size32 1
		.amdhsa_uses_dynamic_stack 0
		.amdhsa_system_sgpr_private_segment_wavefront_offset 0
		.amdhsa_system_sgpr_workgroup_id_x 1
		.amdhsa_system_sgpr_workgroup_id_y 0
		.amdhsa_system_sgpr_workgroup_id_z 0
		.amdhsa_system_sgpr_workgroup_info 0
		.amdhsa_system_vgpr_workitem_id 0
		.amdhsa_next_free_vgpr 1
		.amdhsa_next_free_sgpr 1
		.amdhsa_reserve_vcc 0
		.amdhsa_reserve_flat_scratch 0
		.amdhsa_float_round_mode_32 0
		.amdhsa_float_round_mode_16_64 0
		.amdhsa_float_denorm_mode_32 3
		.amdhsa_float_denorm_mode_16_64 3
		.amdhsa_dx10_clamp 1
		.amdhsa_ieee_mode 1
		.amdhsa_fp16_overflow 0
		.amdhsa_workgroup_processor_mode 1
		.amdhsa_memory_ordered 1
		.amdhsa_forward_progress 1
		.amdhsa_shared_vgpr_count 0
		.amdhsa_exception_fp_ieee_invalid_op 0
		.amdhsa_exception_fp_denorm_src 0
		.amdhsa_exception_fp_ieee_div_zero 0
		.amdhsa_exception_fp_ieee_overflow 0
		.amdhsa_exception_fp_ieee_underflow 0
		.amdhsa_exception_fp_ieee_inexact 0
		.amdhsa_exception_int_div_zero 0
	.end_amdhsa_kernel
	.section	.text._ZN7rocprim17ROCPRIM_400000_NS6detail17trampoline_kernelINS0_13select_configILj256ELj13ELNS0_17block_load_methodE3ELS4_3ELS4_3ELNS0_20block_scan_algorithmE0ELj4294967295EEENS1_25partition_config_selectorILNS1_17partition_subalgoE3EjNS0_10empty_typeEbEEZZNS1_14partition_implILS8_3ELb0ES6_jNS0_17counting_iteratorIjlEEPS9_SE_NS0_5tupleIJPjSE_EEENSF_IJSE_SE_EEES9_SG_JZNS1_25segmented_radix_sort_implINS0_14default_configELb1EPKlPlSM_SN_N2at6native12_GLOBAL__N_18offset_tEEE10hipError_tPvRmT1_PNSt15iterator_traitsISV_E10value_typeET2_T3_PNSW_IS11_E10value_typeET4_jRbjT5_S17_jjP12ihipStream_tbEUljE_EEESS_ST_SU_S11_S15_S17_T6_T7_T9_mT8_S19_bDpT10_ENKUlT_T0_E_clISt17integral_constantIbLb0EES1M_EEDaS1H_S1I_EUlS1H_E_NS1_11comp_targetILNS1_3genE2ELNS1_11target_archE906ELNS1_3gpuE6ELNS1_3repE0EEENS1_30default_config_static_selectorELNS0_4arch9wavefront6targetE0EEEvSV_,"axG",@progbits,_ZN7rocprim17ROCPRIM_400000_NS6detail17trampoline_kernelINS0_13select_configILj256ELj13ELNS0_17block_load_methodE3ELS4_3ELS4_3ELNS0_20block_scan_algorithmE0ELj4294967295EEENS1_25partition_config_selectorILNS1_17partition_subalgoE3EjNS0_10empty_typeEbEEZZNS1_14partition_implILS8_3ELb0ES6_jNS0_17counting_iteratorIjlEEPS9_SE_NS0_5tupleIJPjSE_EEENSF_IJSE_SE_EEES9_SG_JZNS1_25segmented_radix_sort_implINS0_14default_configELb1EPKlPlSM_SN_N2at6native12_GLOBAL__N_18offset_tEEE10hipError_tPvRmT1_PNSt15iterator_traitsISV_E10value_typeET2_T3_PNSW_IS11_E10value_typeET4_jRbjT5_S17_jjP12ihipStream_tbEUljE_EEESS_ST_SU_S11_S15_S17_T6_T7_T9_mT8_S19_bDpT10_ENKUlT_T0_E_clISt17integral_constantIbLb0EES1M_EEDaS1H_S1I_EUlS1H_E_NS1_11comp_targetILNS1_3genE2ELNS1_11target_archE906ELNS1_3gpuE6ELNS1_3repE0EEENS1_30default_config_static_selectorELNS0_4arch9wavefront6targetE0EEEvSV_,comdat
.Lfunc_end670:
	.size	_ZN7rocprim17ROCPRIM_400000_NS6detail17trampoline_kernelINS0_13select_configILj256ELj13ELNS0_17block_load_methodE3ELS4_3ELS4_3ELNS0_20block_scan_algorithmE0ELj4294967295EEENS1_25partition_config_selectorILNS1_17partition_subalgoE3EjNS0_10empty_typeEbEEZZNS1_14partition_implILS8_3ELb0ES6_jNS0_17counting_iteratorIjlEEPS9_SE_NS0_5tupleIJPjSE_EEENSF_IJSE_SE_EEES9_SG_JZNS1_25segmented_radix_sort_implINS0_14default_configELb1EPKlPlSM_SN_N2at6native12_GLOBAL__N_18offset_tEEE10hipError_tPvRmT1_PNSt15iterator_traitsISV_E10value_typeET2_T3_PNSW_IS11_E10value_typeET4_jRbjT5_S17_jjP12ihipStream_tbEUljE_EEESS_ST_SU_S11_S15_S17_T6_T7_T9_mT8_S19_bDpT10_ENKUlT_T0_E_clISt17integral_constantIbLb0EES1M_EEDaS1H_S1I_EUlS1H_E_NS1_11comp_targetILNS1_3genE2ELNS1_11target_archE906ELNS1_3gpuE6ELNS1_3repE0EEENS1_30default_config_static_selectorELNS0_4arch9wavefront6targetE0EEEvSV_, .Lfunc_end670-_ZN7rocprim17ROCPRIM_400000_NS6detail17trampoline_kernelINS0_13select_configILj256ELj13ELNS0_17block_load_methodE3ELS4_3ELS4_3ELNS0_20block_scan_algorithmE0ELj4294967295EEENS1_25partition_config_selectorILNS1_17partition_subalgoE3EjNS0_10empty_typeEbEEZZNS1_14partition_implILS8_3ELb0ES6_jNS0_17counting_iteratorIjlEEPS9_SE_NS0_5tupleIJPjSE_EEENSF_IJSE_SE_EEES9_SG_JZNS1_25segmented_radix_sort_implINS0_14default_configELb1EPKlPlSM_SN_N2at6native12_GLOBAL__N_18offset_tEEE10hipError_tPvRmT1_PNSt15iterator_traitsISV_E10value_typeET2_T3_PNSW_IS11_E10value_typeET4_jRbjT5_S17_jjP12ihipStream_tbEUljE_EEESS_ST_SU_S11_S15_S17_T6_T7_T9_mT8_S19_bDpT10_ENKUlT_T0_E_clISt17integral_constantIbLb0EES1M_EEDaS1H_S1I_EUlS1H_E_NS1_11comp_targetILNS1_3genE2ELNS1_11target_archE906ELNS1_3gpuE6ELNS1_3repE0EEENS1_30default_config_static_selectorELNS0_4arch9wavefront6targetE0EEEvSV_
                                        ; -- End function
	.set _ZN7rocprim17ROCPRIM_400000_NS6detail17trampoline_kernelINS0_13select_configILj256ELj13ELNS0_17block_load_methodE3ELS4_3ELS4_3ELNS0_20block_scan_algorithmE0ELj4294967295EEENS1_25partition_config_selectorILNS1_17partition_subalgoE3EjNS0_10empty_typeEbEEZZNS1_14partition_implILS8_3ELb0ES6_jNS0_17counting_iteratorIjlEEPS9_SE_NS0_5tupleIJPjSE_EEENSF_IJSE_SE_EEES9_SG_JZNS1_25segmented_radix_sort_implINS0_14default_configELb1EPKlPlSM_SN_N2at6native12_GLOBAL__N_18offset_tEEE10hipError_tPvRmT1_PNSt15iterator_traitsISV_E10value_typeET2_T3_PNSW_IS11_E10value_typeET4_jRbjT5_S17_jjP12ihipStream_tbEUljE_EEESS_ST_SU_S11_S15_S17_T6_T7_T9_mT8_S19_bDpT10_ENKUlT_T0_E_clISt17integral_constantIbLb0EES1M_EEDaS1H_S1I_EUlS1H_E_NS1_11comp_targetILNS1_3genE2ELNS1_11target_archE906ELNS1_3gpuE6ELNS1_3repE0EEENS1_30default_config_static_selectorELNS0_4arch9wavefront6targetE0EEEvSV_.num_vgpr, 0
	.set _ZN7rocprim17ROCPRIM_400000_NS6detail17trampoline_kernelINS0_13select_configILj256ELj13ELNS0_17block_load_methodE3ELS4_3ELS4_3ELNS0_20block_scan_algorithmE0ELj4294967295EEENS1_25partition_config_selectorILNS1_17partition_subalgoE3EjNS0_10empty_typeEbEEZZNS1_14partition_implILS8_3ELb0ES6_jNS0_17counting_iteratorIjlEEPS9_SE_NS0_5tupleIJPjSE_EEENSF_IJSE_SE_EEES9_SG_JZNS1_25segmented_radix_sort_implINS0_14default_configELb1EPKlPlSM_SN_N2at6native12_GLOBAL__N_18offset_tEEE10hipError_tPvRmT1_PNSt15iterator_traitsISV_E10value_typeET2_T3_PNSW_IS11_E10value_typeET4_jRbjT5_S17_jjP12ihipStream_tbEUljE_EEESS_ST_SU_S11_S15_S17_T6_T7_T9_mT8_S19_bDpT10_ENKUlT_T0_E_clISt17integral_constantIbLb0EES1M_EEDaS1H_S1I_EUlS1H_E_NS1_11comp_targetILNS1_3genE2ELNS1_11target_archE906ELNS1_3gpuE6ELNS1_3repE0EEENS1_30default_config_static_selectorELNS0_4arch9wavefront6targetE0EEEvSV_.num_agpr, 0
	.set _ZN7rocprim17ROCPRIM_400000_NS6detail17trampoline_kernelINS0_13select_configILj256ELj13ELNS0_17block_load_methodE3ELS4_3ELS4_3ELNS0_20block_scan_algorithmE0ELj4294967295EEENS1_25partition_config_selectorILNS1_17partition_subalgoE3EjNS0_10empty_typeEbEEZZNS1_14partition_implILS8_3ELb0ES6_jNS0_17counting_iteratorIjlEEPS9_SE_NS0_5tupleIJPjSE_EEENSF_IJSE_SE_EEES9_SG_JZNS1_25segmented_radix_sort_implINS0_14default_configELb1EPKlPlSM_SN_N2at6native12_GLOBAL__N_18offset_tEEE10hipError_tPvRmT1_PNSt15iterator_traitsISV_E10value_typeET2_T3_PNSW_IS11_E10value_typeET4_jRbjT5_S17_jjP12ihipStream_tbEUljE_EEESS_ST_SU_S11_S15_S17_T6_T7_T9_mT8_S19_bDpT10_ENKUlT_T0_E_clISt17integral_constantIbLb0EES1M_EEDaS1H_S1I_EUlS1H_E_NS1_11comp_targetILNS1_3genE2ELNS1_11target_archE906ELNS1_3gpuE6ELNS1_3repE0EEENS1_30default_config_static_selectorELNS0_4arch9wavefront6targetE0EEEvSV_.numbered_sgpr, 0
	.set _ZN7rocprim17ROCPRIM_400000_NS6detail17trampoline_kernelINS0_13select_configILj256ELj13ELNS0_17block_load_methodE3ELS4_3ELS4_3ELNS0_20block_scan_algorithmE0ELj4294967295EEENS1_25partition_config_selectorILNS1_17partition_subalgoE3EjNS0_10empty_typeEbEEZZNS1_14partition_implILS8_3ELb0ES6_jNS0_17counting_iteratorIjlEEPS9_SE_NS0_5tupleIJPjSE_EEENSF_IJSE_SE_EEES9_SG_JZNS1_25segmented_radix_sort_implINS0_14default_configELb1EPKlPlSM_SN_N2at6native12_GLOBAL__N_18offset_tEEE10hipError_tPvRmT1_PNSt15iterator_traitsISV_E10value_typeET2_T3_PNSW_IS11_E10value_typeET4_jRbjT5_S17_jjP12ihipStream_tbEUljE_EEESS_ST_SU_S11_S15_S17_T6_T7_T9_mT8_S19_bDpT10_ENKUlT_T0_E_clISt17integral_constantIbLb0EES1M_EEDaS1H_S1I_EUlS1H_E_NS1_11comp_targetILNS1_3genE2ELNS1_11target_archE906ELNS1_3gpuE6ELNS1_3repE0EEENS1_30default_config_static_selectorELNS0_4arch9wavefront6targetE0EEEvSV_.num_named_barrier, 0
	.set _ZN7rocprim17ROCPRIM_400000_NS6detail17trampoline_kernelINS0_13select_configILj256ELj13ELNS0_17block_load_methodE3ELS4_3ELS4_3ELNS0_20block_scan_algorithmE0ELj4294967295EEENS1_25partition_config_selectorILNS1_17partition_subalgoE3EjNS0_10empty_typeEbEEZZNS1_14partition_implILS8_3ELb0ES6_jNS0_17counting_iteratorIjlEEPS9_SE_NS0_5tupleIJPjSE_EEENSF_IJSE_SE_EEES9_SG_JZNS1_25segmented_radix_sort_implINS0_14default_configELb1EPKlPlSM_SN_N2at6native12_GLOBAL__N_18offset_tEEE10hipError_tPvRmT1_PNSt15iterator_traitsISV_E10value_typeET2_T3_PNSW_IS11_E10value_typeET4_jRbjT5_S17_jjP12ihipStream_tbEUljE_EEESS_ST_SU_S11_S15_S17_T6_T7_T9_mT8_S19_bDpT10_ENKUlT_T0_E_clISt17integral_constantIbLb0EES1M_EEDaS1H_S1I_EUlS1H_E_NS1_11comp_targetILNS1_3genE2ELNS1_11target_archE906ELNS1_3gpuE6ELNS1_3repE0EEENS1_30default_config_static_selectorELNS0_4arch9wavefront6targetE0EEEvSV_.private_seg_size, 0
	.set _ZN7rocprim17ROCPRIM_400000_NS6detail17trampoline_kernelINS0_13select_configILj256ELj13ELNS0_17block_load_methodE3ELS4_3ELS4_3ELNS0_20block_scan_algorithmE0ELj4294967295EEENS1_25partition_config_selectorILNS1_17partition_subalgoE3EjNS0_10empty_typeEbEEZZNS1_14partition_implILS8_3ELb0ES6_jNS0_17counting_iteratorIjlEEPS9_SE_NS0_5tupleIJPjSE_EEENSF_IJSE_SE_EEES9_SG_JZNS1_25segmented_radix_sort_implINS0_14default_configELb1EPKlPlSM_SN_N2at6native12_GLOBAL__N_18offset_tEEE10hipError_tPvRmT1_PNSt15iterator_traitsISV_E10value_typeET2_T3_PNSW_IS11_E10value_typeET4_jRbjT5_S17_jjP12ihipStream_tbEUljE_EEESS_ST_SU_S11_S15_S17_T6_T7_T9_mT8_S19_bDpT10_ENKUlT_T0_E_clISt17integral_constantIbLb0EES1M_EEDaS1H_S1I_EUlS1H_E_NS1_11comp_targetILNS1_3genE2ELNS1_11target_archE906ELNS1_3gpuE6ELNS1_3repE0EEENS1_30default_config_static_selectorELNS0_4arch9wavefront6targetE0EEEvSV_.uses_vcc, 0
	.set _ZN7rocprim17ROCPRIM_400000_NS6detail17trampoline_kernelINS0_13select_configILj256ELj13ELNS0_17block_load_methodE3ELS4_3ELS4_3ELNS0_20block_scan_algorithmE0ELj4294967295EEENS1_25partition_config_selectorILNS1_17partition_subalgoE3EjNS0_10empty_typeEbEEZZNS1_14partition_implILS8_3ELb0ES6_jNS0_17counting_iteratorIjlEEPS9_SE_NS0_5tupleIJPjSE_EEENSF_IJSE_SE_EEES9_SG_JZNS1_25segmented_radix_sort_implINS0_14default_configELb1EPKlPlSM_SN_N2at6native12_GLOBAL__N_18offset_tEEE10hipError_tPvRmT1_PNSt15iterator_traitsISV_E10value_typeET2_T3_PNSW_IS11_E10value_typeET4_jRbjT5_S17_jjP12ihipStream_tbEUljE_EEESS_ST_SU_S11_S15_S17_T6_T7_T9_mT8_S19_bDpT10_ENKUlT_T0_E_clISt17integral_constantIbLb0EES1M_EEDaS1H_S1I_EUlS1H_E_NS1_11comp_targetILNS1_3genE2ELNS1_11target_archE906ELNS1_3gpuE6ELNS1_3repE0EEENS1_30default_config_static_selectorELNS0_4arch9wavefront6targetE0EEEvSV_.uses_flat_scratch, 0
	.set _ZN7rocprim17ROCPRIM_400000_NS6detail17trampoline_kernelINS0_13select_configILj256ELj13ELNS0_17block_load_methodE3ELS4_3ELS4_3ELNS0_20block_scan_algorithmE0ELj4294967295EEENS1_25partition_config_selectorILNS1_17partition_subalgoE3EjNS0_10empty_typeEbEEZZNS1_14partition_implILS8_3ELb0ES6_jNS0_17counting_iteratorIjlEEPS9_SE_NS0_5tupleIJPjSE_EEENSF_IJSE_SE_EEES9_SG_JZNS1_25segmented_radix_sort_implINS0_14default_configELb1EPKlPlSM_SN_N2at6native12_GLOBAL__N_18offset_tEEE10hipError_tPvRmT1_PNSt15iterator_traitsISV_E10value_typeET2_T3_PNSW_IS11_E10value_typeET4_jRbjT5_S17_jjP12ihipStream_tbEUljE_EEESS_ST_SU_S11_S15_S17_T6_T7_T9_mT8_S19_bDpT10_ENKUlT_T0_E_clISt17integral_constantIbLb0EES1M_EEDaS1H_S1I_EUlS1H_E_NS1_11comp_targetILNS1_3genE2ELNS1_11target_archE906ELNS1_3gpuE6ELNS1_3repE0EEENS1_30default_config_static_selectorELNS0_4arch9wavefront6targetE0EEEvSV_.has_dyn_sized_stack, 0
	.set _ZN7rocprim17ROCPRIM_400000_NS6detail17trampoline_kernelINS0_13select_configILj256ELj13ELNS0_17block_load_methodE3ELS4_3ELS4_3ELNS0_20block_scan_algorithmE0ELj4294967295EEENS1_25partition_config_selectorILNS1_17partition_subalgoE3EjNS0_10empty_typeEbEEZZNS1_14partition_implILS8_3ELb0ES6_jNS0_17counting_iteratorIjlEEPS9_SE_NS0_5tupleIJPjSE_EEENSF_IJSE_SE_EEES9_SG_JZNS1_25segmented_radix_sort_implINS0_14default_configELb1EPKlPlSM_SN_N2at6native12_GLOBAL__N_18offset_tEEE10hipError_tPvRmT1_PNSt15iterator_traitsISV_E10value_typeET2_T3_PNSW_IS11_E10value_typeET4_jRbjT5_S17_jjP12ihipStream_tbEUljE_EEESS_ST_SU_S11_S15_S17_T6_T7_T9_mT8_S19_bDpT10_ENKUlT_T0_E_clISt17integral_constantIbLb0EES1M_EEDaS1H_S1I_EUlS1H_E_NS1_11comp_targetILNS1_3genE2ELNS1_11target_archE906ELNS1_3gpuE6ELNS1_3repE0EEENS1_30default_config_static_selectorELNS0_4arch9wavefront6targetE0EEEvSV_.has_recursion, 0
	.set _ZN7rocprim17ROCPRIM_400000_NS6detail17trampoline_kernelINS0_13select_configILj256ELj13ELNS0_17block_load_methodE3ELS4_3ELS4_3ELNS0_20block_scan_algorithmE0ELj4294967295EEENS1_25partition_config_selectorILNS1_17partition_subalgoE3EjNS0_10empty_typeEbEEZZNS1_14partition_implILS8_3ELb0ES6_jNS0_17counting_iteratorIjlEEPS9_SE_NS0_5tupleIJPjSE_EEENSF_IJSE_SE_EEES9_SG_JZNS1_25segmented_radix_sort_implINS0_14default_configELb1EPKlPlSM_SN_N2at6native12_GLOBAL__N_18offset_tEEE10hipError_tPvRmT1_PNSt15iterator_traitsISV_E10value_typeET2_T3_PNSW_IS11_E10value_typeET4_jRbjT5_S17_jjP12ihipStream_tbEUljE_EEESS_ST_SU_S11_S15_S17_T6_T7_T9_mT8_S19_bDpT10_ENKUlT_T0_E_clISt17integral_constantIbLb0EES1M_EEDaS1H_S1I_EUlS1H_E_NS1_11comp_targetILNS1_3genE2ELNS1_11target_archE906ELNS1_3gpuE6ELNS1_3repE0EEENS1_30default_config_static_selectorELNS0_4arch9wavefront6targetE0EEEvSV_.has_indirect_call, 0
	.section	.AMDGPU.csdata,"",@progbits
; Kernel info:
; codeLenInByte = 0
; TotalNumSgprs: 0
; NumVgprs: 0
; ScratchSize: 0
; MemoryBound: 0
; FloatMode: 240
; IeeeMode: 1
; LDSByteSize: 0 bytes/workgroup (compile time only)
; SGPRBlocks: 0
; VGPRBlocks: 0
; NumSGPRsForWavesPerEU: 1
; NumVGPRsForWavesPerEU: 1
; Occupancy: 16
; WaveLimiterHint : 0
; COMPUTE_PGM_RSRC2:SCRATCH_EN: 0
; COMPUTE_PGM_RSRC2:USER_SGPR: 6
; COMPUTE_PGM_RSRC2:TRAP_HANDLER: 0
; COMPUTE_PGM_RSRC2:TGID_X_EN: 1
; COMPUTE_PGM_RSRC2:TGID_Y_EN: 0
; COMPUTE_PGM_RSRC2:TGID_Z_EN: 0
; COMPUTE_PGM_RSRC2:TIDIG_COMP_CNT: 0
	.section	.text._ZN7rocprim17ROCPRIM_400000_NS6detail17trampoline_kernelINS0_13select_configILj256ELj13ELNS0_17block_load_methodE3ELS4_3ELS4_3ELNS0_20block_scan_algorithmE0ELj4294967295EEENS1_25partition_config_selectorILNS1_17partition_subalgoE3EjNS0_10empty_typeEbEEZZNS1_14partition_implILS8_3ELb0ES6_jNS0_17counting_iteratorIjlEEPS9_SE_NS0_5tupleIJPjSE_EEENSF_IJSE_SE_EEES9_SG_JZNS1_25segmented_radix_sort_implINS0_14default_configELb1EPKlPlSM_SN_N2at6native12_GLOBAL__N_18offset_tEEE10hipError_tPvRmT1_PNSt15iterator_traitsISV_E10value_typeET2_T3_PNSW_IS11_E10value_typeET4_jRbjT5_S17_jjP12ihipStream_tbEUljE_EEESS_ST_SU_S11_S15_S17_T6_T7_T9_mT8_S19_bDpT10_ENKUlT_T0_E_clISt17integral_constantIbLb0EES1M_EEDaS1H_S1I_EUlS1H_E_NS1_11comp_targetILNS1_3genE10ELNS1_11target_archE1200ELNS1_3gpuE4ELNS1_3repE0EEENS1_30default_config_static_selectorELNS0_4arch9wavefront6targetE0EEEvSV_,"axG",@progbits,_ZN7rocprim17ROCPRIM_400000_NS6detail17trampoline_kernelINS0_13select_configILj256ELj13ELNS0_17block_load_methodE3ELS4_3ELS4_3ELNS0_20block_scan_algorithmE0ELj4294967295EEENS1_25partition_config_selectorILNS1_17partition_subalgoE3EjNS0_10empty_typeEbEEZZNS1_14partition_implILS8_3ELb0ES6_jNS0_17counting_iteratorIjlEEPS9_SE_NS0_5tupleIJPjSE_EEENSF_IJSE_SE_EEES9_SG_JZNS1_25segmented_radix_sort_implINS0_14default_configELb1EPKlPlSM_SN_N2at6native12_GLOBAL__N_18offset_tEEE10hipError_tPvRmT1_PNSt15iterator_traitsISV_E10value_typeET2_T3_PNSW_IS11_E10value_typeET4_jRbjT5_S17_jjP12ihipStream_tbEUljE_EEESS_ST_SU_S11_S15_S17_T6_T7_T9_mT8_S19_bDpT10_ENKUlT_T0_E_clISt17integral_constantIbLb0EES1M_EEDaS1H_S1I_EUlS1H_E_NS1_11comp_targetILNS1_3genE10ELNS1_11target_archE1200ELNS1_3gpuE4ELNS1_3repE0EEENS1_30default_config_static_selectorELNS0_4arch9wavefront6targetE0EEEvSV_,comdat
	.globl	_ZN7rocprim17ROCPRIM_400000_NS6detail17trampoline_kernelINS0_13select_configILj256ELj13ELNS0_17block_load_methodE3ELS4_3ELS4_3ELNS0_20block_scan_algorithmE0ELj4294967295EEENS1_25partition_config_selectorILNS1_17partition_subalgoE3EjNS0_10empty_typeEbEEZZNS1_14partition_implILS8_3ELb0ES6_jNS0_17counting_iteratorIjlEEPS9_SE_NS0_5tupleIJPjSE_EEENSF_IJSE_SE_EEES9_SG_JZNS1_25segmented_radix_sort_implINS0_14default_configELb1EPKlPlSM_SN_N2at6native12_GLOBAL__N_18offset_tEEE10hipError_tPvRmT1_PNSt15iterator_traitsISV_E10value_typeET2_T3_PNSW_IS11_E10value_typeET4_jRbjT5_S17_jjP12ihipStream_tbEUljE_EEESS_ST_SU_S11_S15_S17_T6_T7_T9_mT8_S19_bDpT10_ENKUlT_T0_E_clISt17integral_constantIbLb0EES1M_EEDaS1H_S1I_EUlS1H_E_NS1_11comp_targetILNS1_3genE10ELNS1_11target_archE1200ELNS1_3gpuE4ELNS1_3repE0EEENS1_30default_config_static_selectorELNS0_4arch9wavefront6targetE0EEEvSV_ ; -- Begin function _ZN7rocprim17ROCPRIM_400000_NS6detail17trampoline_kernelINS0_13select_configILj256ELj13ELNS0_17block_load_methodE3ELS4_3ELS4_3ELNS0_20block_scan_algorithmE0ELj4294967295EEENS1_25partition_config_selectorILNS1_17partition_subalgoE3EjNS0_10empty_typeEbEEZZNS1_14partition_implILS8_3ELb0ES6_jNS0_17counting_iteratorIjlEEPS9_SE_NS0_5tupleIJPjSE_EEENSF_IJSE_SE_EEES9_SG_JZNS1_25segmented_radix_sort_implINS0_14default_configELb1EPKlPlSM_SN_N2at6native12_GLOBAL__N_18offset_tEEE10hipError_tPvRmT1_PNSt15iterator_traitsISV_E10value_typeET2_T3_PNSW_IS11_E10value_typeET4_jRbjT5_S17_jjP12ihipStream_tbEUljE_EEESS_ST_SU_S11_S15_S17_T6_T7_T9_mT8_S19_bDpT10_ENKUlT_T0_E_clISt17integral_constantIbLb0EES1M_EEDaS1H_S1I_EUlS1H_E_NS1_11comp_targetILNS1_3genE10ELNS1_11target_archE1200ELNS1_3gpuE4ELNS1_3repE0EEENS1_30default_config_static_selectorELNS0_4arch9wavefront6targetE0EEEvSV_
	.p2align	8
	.type	_ZN7rocprim17ROCPRIM_400000_NS6detail17trampoline_kernelINS0_13select_configILj256ELj13ELNS0_17block_load_methodE3ELS4_3ELS4_3ELNS0_20block_scan_algorithmE0ELj4294967295EEENS1_25partition_config_selectorILNS1_17partition_subalgoE3EjNS0_10empty_typeEbEEZZNS1_14partition_implILS8_3ELb0ES6_jNS0_17counting_iteratorIjlEEPS9_SE_NS0_5tupleIJPjSE_EEENSF_IJSE_SE_EEES9_SG_JZNS1_25segmented_radix_sort_implINS0_14default_configELb1EPKlPlSM_SN_N2at6native12_GLOBAL__N_18offset_tEEE10hipError_tPvRmT1_PNSt15iterator_traitsISV_E10value_typeET2_T3_PNSW_IS11_E10value_typeET4_jRbjT5_S17_jjP12ihipStream_tbEUljE_EEESS_ST_SU_S11_S15_S17_T6_T7_T9_mT8_S19_bDpT10_ENKUlT_T0_E_clISt17integral_constantIbLb0EES1M_EEDaS1H_S1I_EUlS1H_E_NS1_11comp_targetILNS1_3genE10ELNS1_11target_archE1200ELNS1_3gpuE4ELNS1_3repE0EEENS1_30default_config_static_selectorELNS0_4arch9wavefront6targetE0EEEvSV_,@function
_ZN7rocprim17ROCPRIM_400000_NS6detail17trampoline_kernelINS0_13select_configILj256ELj13ELNS0_17block_load_methodE3ELS4_3ELS4_3ELNS0_20block_scan_algorithmE0ELj4294967295EEENS1_25partition_config_selectorILNS1_17partition_subalgoE3EjNS0_10empty_typeEbEEZZNS1_14partition_implILS8_3ELb0ES6_jNS0_17counting_iteratorIjlEEPS9_SE_NS0_5tupleIJPjSE_EEENSF_IJSE_SE_EEES9_SG_JZNS1_25segmented_radix_sort_implINS0_14default_configELb1EPKlPlSM_SN_N2at6native12_GLOBAL__N_18offset_tEEE10hipError_tPvRmT1_PNSt15iterator_traitsISV_E10value_typeET2_T3_PNSW_IS11_E10value_typeET4_jRbjT5_S17_jjP12ihipStream_tbEUljE_EEESS_ST_SU_S11_S15_S17_T6_T7_T9_mT8_S19_bDpT10_ENKUlT_T0_E_clISt17integral_constantIbLb0EES1M_EEDaS1H_S1I_EUlS1H_E_NS1_11comp_targetILNS1_3genE10ELNS1_11target_archE1200ELNS1_3gpuE4ELNS1_3repE0EEENS1_30default_config_static_selectorELNS0_4arch9wavefront6targetE0EEEvSV_: ; @_ZN7rocprim17ROCPRIM_400000_NS6detail17trampoline_kernelINS0_13select_configILj256ELj13ELNS0_17block_load_methodE3ELS4_3ELS4_3ELNS0_20block_scan_algorithmE0ELj4294967295EEENS1_25partition_config_selectorILNS1_17partition_subalgoE3EjNS0_10empty_typeEbEEZZNS1_14partition_implILS8_3ELb0ES6_jNS0_17counting_iteratorIjlEEPS9_SE_NS0_5tupleIJPjSE_EEENSF_IJSE_SE_EEES9_SG_JZNS1_25segmented_radix_sort_implINS0_14default_configELb1EPKlPlSM_SN_N2at6native12_GLOBAL__N_18offset_tEEE10hipError_tPvRmT1_PNSt15iterator_traitsISV_E10value_typeET2_T3_PNSW_IS11_E10value_typeET4_jRbjT5_S17_jjP12ihipStream_tbEUljE_EEESS_ST_SU_S11_S15_S17_T6_T7_T9_mT8_S19_bDpT10_ENKUlT_T0_E_clISt17integral_constantIbLb0EES1M_EEDaS1H_S1I_EUlS1H_E_NS1_11comp_targetILNS1_3genE10ELNS1_11target_archE1200ELNS1_3gpuE4ELNS1_3repE0EEENS1_30default_config_static_selectorELNS0_4arch9wavefront6targetE0EEEvSV_
; %bb.0:
	.section	.rodata,"a",@progbits
	.p2align	6, 0x0
	.amdhsa_kernel _ZN7rocprim17ROCPRIM_400000_NS6detail17trampoline_kernelINS0_13select_configILj256ELj13ELNS0_17block_load_methodE3ELS4_3ELS4_3ELNS0_20block_scan_algorithmE0ELj4294967295EEENS1_25partition_config_selectorILNS1_17partition_subalgoE3EjNS0_10empty_typeEbEEZZNS1_14partition_implILS8_3ELb0ES6_jNS0_17counting_iteratorIjlEEPS9_SE_NS0_5tupleIJPjSE_EEENSF_IJSE_SE_EEES9_SG_JZNS1_25segmented_radix_sort_implINS0_14default_configELb1EPKlPlSM_SN_N2at6native12_GLOBAL__N_18offset_tEEE10hipError_tPvRmT1_PNSt15iterator_traitsISV_E10value_typeET2_T3_PNSW_IS11_E10value_typeET4_jRbjT5_S17_jjP12ihipStream_tbEUljE_EEESS_ST_SU_S11_S15_S17_T6_T7_T9_mT8_S19_bDpT10_ENKUlT_T0_E_clISt17integral_constantIbLb0EES1M_EEDaS1H_S1I_EUlS1H_E_NS1_11comp_targetILNS1_3genE10ELNS1_11target_archE1200ELNS1_3gpuE4ELNS1_3repE0EEENS1_30default_config_static_selectorELNS0_4arch9wavefront6targetE0EEEvSV_
		.amdhsa_group_segment_fixed_size 0
		.amdhsa_private_segment_fixed_size 0
		.amdhsa_kernarg_size 144
		.amdhsa_user_sgpr_count 6
		.amdhsa_user_sgpr_private_segment_buffer 1
		.amdhsa_user_sgpr_dispatch_ptr 0
		.amdhsa_user_sgpr_queue_ptr 0
		.amdhsa_user_sgpr_kernarg_segment_ptr 1
		.amdhsa_user_sgpr_dispatch_id 0
		.amdhsa_user_sgpr_flat_scratch_init 0
		.amdhsa_user_sgpr_private_segment_size 0
		.amdhsa_wavefront_size32 1
		.amdhsa_uses_dynamic_stack 0
		.amdhsa_system_sgpr_private_segment_wavefront_offset 0
		.amdhsa_system_sgpr_workgroup_id_x 1
		.amdhsa_system_sgpr_workgroup_id_y 0
		.amdhsa_system_sgpr_workgroup_id_z 0
		.amdhsa_system_sgpr_workgroup_info 0
		.amdhsa_system_vgpr_workitem_id 0
		.amdhsa_next_free_vgpr 1
		.amdhsa_next_free_sgpr 1
		.amdhsa_reserve_vcc 0
		.amdhsa_reserve_flat_scratch 0
		.amdhsa_float_round_mode_32 0
		.amdhsa_float_round_mode_16_64 0
		.amdhsa_float_denorm_mode_32 3
		.amdhsa_float_denorm_mode_16_64 3
		.amdhsa_dx10_clamp 1
		.amdhsa_ieee_mode 1
		.amdhsa_fp16_overflow 0
		.amdhsa_workgroup_processor_mode 1
		.amdhsa_memory_ordered 1
		.amdhsa_forward_progress 1
		.amdhsa_shared_vgpr_count 0
		.amdhsa_exception_fp_ieee_invalid_op 0
		.amdhsa_exception_fp_denorm_src 0
		.amdhsa_exception_fp_ieee_div_zero 0
		.amdhsa_exception_fp_ieee_overflow 0
		.amdhsa_exception_fp_ieee_underflow 0
		.amdhsa_exception_fp_ieee_inexact 0
		.amdhsa_exception_int_div_zero 0
	.end_amdhsa_kernel
	.section	.text._ZN7rocprim17ROCPRIM_400000_NS6detail17trampoline_kernelINS0_13select_configILj256ELj13ELNS0_17block_load_methodE3ELS4_3ELS4_3ELNS0_20block_scan_algorithmE0ELj4294967295EEENS1_25partition_config_selectorILNS1_17partition_subalgoE3EjNS0_10empty_typeEbEEZZNS1_14partition_implILS8_3ELb0ES6_jNS0_17counting_iteratorIjlEEPS9_SE_NS0_5tupleIJPjSE_EEENSF_IJSE_SE_EEES9_SG_JZNS1_25segmented_radix_sort_implINS0_14default_configELb1EPKlPlSM_SN_N2at6native12_GLOBAL__N_18offset_tEEE10hipError_tPvRmT1_PNSt15iterator_traitsISV_E10value_typeET2_T3_PNSW_IS11_E10value_typeET4_jRbjT5_S17_jjP12ihipStream_tbEUljE_EEESS_ST_SU_S11_S15_S17_T6_T7_T9_mT8_S19_bDpT10_ENKUlT_T0_E_clISt17integral_constantIbLb0EES1M_EEDaS1H_S1I_EUlS1H_E_NS1_11comp_targetILNS1_3genE10ELNS1_11target_archE1200ELNS1_3gpuE4ELNS1_3repE0EEENS1_30default_config_static_selectorELNS0_4arch9wavefront6targetE0EEEvSV_,"axG",@progbits,_ZN7rocprim17ROCPRIM_400000_NS6detail17trampoline_kernelINS0_13select_configILj256ELj13ELNS0_17block_load_methodE3ELS4_3ELS4_3ELNS0_20block_scan_algorithmE0ELj4294967295EEENS1_25partition_config_selectorILNS1_17partition_subalgoE3EjNS0_10empty_typeEbEEZZNS1_14partition_implILS8_3ELb0ES6_jNS0_17counting_iteratorIjlEEPS9_SE_NS0_5tupleIJPjSE_EEENSF_IJSE_SE_EEES9_SG_JZNS1_25segmented_radix_sort_implINS0_14default_configELb1EPKlPlSM_SN_N2at6native12_GLOBAL__N_18offset_tEEE10hipError_tPvRmT1_PNSt15iterator_traitsISV_E10value_typeET2_T3_PNSW_IS11_E10value_typeET4_jRbjT5_S17_jjP12ihipStream_tbEUljE_EEESS_ST_SU_S11_S15_S17_T6_T7_T9_mT8_S19_bDpT10_ENKUlT_T0_E_clISt17integral_constantIbLb0EES1M_EEDaS1H_S1I_EUlS1H_E_NS1_11comp_targetILNS1_3genE10ELNS1_11target_archE1200ELNS1_3gpuE4ELNS1_3repE0EEENS1_30default_config_static_selectorELNS0_4arch9wavefront6targetE0EEEvSV_,comdat
.Lfunc_end671:
	.size	_ZN7rocprim17ROCPRIM_400000_NS6detail17trampoline_kernelINS0_13select_configILj256ELj13ELNS0_17block_load_methodE3ELS4_3ELS4_3ELNS0_20block_scan_algorithmE0ELj4294967295EEENS1_25partition_config_selectorILNS1_17partition_subalgoE3EjNS0_10empty_typeEbEEZZNS1_14partition_implILS8_3ELb0ES6_jNS0_17counting_iteratorIjlEEPS9_SE_NS0_5tupleIJPjSE_EEENSF_IJSE_SE_EEES9_SG_JZNS1_25segmented_radix_sort_implINS0_14default_configELb1EPKlPlSM_SN_N2at6native12_GLOBAL__N_18offset_tEEE10hipError_tPvRmT1_PNSt15iterator_traitsISV_E10value_typeET2_T3_PNSW_IS11_E10value_typeET4_jRbjT5_S17_jjP12ihipStream_tbEUljE_EEESS_ST_SU_S11_S15_S17_T6_T7_T9_mT8_S19_bDpT10_ENKUlT_T0_E_clISt17integral_constantIbLb0EES1M_EEDaS1H_S1I_EUlS1H_E_NS1_11comp_targetILNS1_3genE10ELNS1_11target_archE1200ELNS1_3gpuE4ELNS1_3repE0EEENS1_30default_config_static_selectorELNS0_4arch9wavefront6targetE0EEEvSV_, .Lfunc_end671-_ZN7rocprim17ROCPRIM_400000_NS6detail17trampoline_kernelINS0_13select_configILj256ELj13ELNS0_17block_load_methodE3ELS4_3ELS4_3ELNS0_20block_scan_algorithmE0ELj4294967295EEENS1_25partition_config_selectorILNS1_17partition_subalgoE3EjNS0_10empty_typeEbEEZZNS1_14partition_implILS8_3ELb0ES6_jNS0_17counting_iteratorIjlEEPS9_SE_NS0_5tupleIJPjSE_EEENSF_IJSE_SE_EEES9_SG_JZNS1_25segmented_radix_sort_implINS0_14default_configELb1EPKlPlSM_SN_N2at6native12_GLOBAL__N_18offset_tEEE10hipError_tPvRmT1_PNSt15iterator_traitsISV_E10value_typeET2_T3_PNSW_IS11_E10value_typeET4_jRbjT5_S17_jjP12ihipStream_tbEUljE_EEESS_ST_SU_S11_S15_S17_T6_T7_T9_mT8_S19_bDpT10_ENKUlT_T0_E_clISt17integral_constantIbLb0EES1M_EEDaS1H_S1I_EUlS1H_E_NS1_11comp_targetILNS1_3genE10ELNS1_11target_archE1200ELNS1_3gpuE4ELNS1_3repE0EEENS1_30default_config_static_selectorELNS0_4arch9wavefront6targetE0EEEvSV_
                                        ; -- End function
	.set _ZN7rocprim17ROCPRIM_400000_NS6detail17trampoline_kernelINS0_13select_configILj256ELj13ELNS0_17block_load_methodE3ELS4_3ELS4_3ELNS0_20block_scan_algorithmE0ELj4294967295EEENS1_25partition_config_selectorILNS1_17partition_subalgoE3EjNS0_10empty_typeEbEEZZNS1_14partition_implILS8_3ELb0ES6_jNS0_17counting_iteratorIjlEEPS9_SE_NS0_5tupleIJPjSE_EEENSF_IJSE_SE_EEES9_SG_JZNS1_25segmented_radix_sort_implINS0_14default_configELb1EPKlPlSM_SN_N2at6native12_GLOBAL__N_18offset_tEEE10hipError_tPvRmT1_PNSt15iterator_traitsISV_E10value_typeET2_T3_PNSW_IS11_E10value_typeET4_jRbjT5_S17_jjP12ihipStream_tbEUljE_EEESS_ST_SU_S11_S15_S17_T6_T7_T9_mT8_S19_bDpT10_ENKUlT_T0_E_clISt17integral_constantIbLb0EES1M_EEDaS1H_S1I_EUlS1H_E_NS1_11comp_targetILNS1_3genE10ELNS1_11target_archE1200ELNS1_3gpuE4ELNS1_3repE0EEENS1_30default_config_static_selectorELNS0_4arch9wavefront6targetE0EEEvSV_.num_vgpr, 0
	.set _ZN7rocprim17ROCPRIM_400000_NS6detail17trampoline_kernelINS0_13select_configILj256ELj13ELNS0_17block_load_methodE3ELS4_3ELS4_3ELNS0_20block_scan_algorithmE0ELj4294967295EEENS1_25partition_config_selectorILNS1_17partition_subalgoE3EjNS0_10empty_typeEbEEZZNS1_14partition_implILS8_3ELb0ES6_jNS0_17counting_iteratorIjlEEPS9_SE_NS0_5tupleIJPjSE_EEENSF_IJSE_SE_EEES9_SG_JZNS1_25segmented_radix_sort_implINS0_14default_configELb1EPKlPlSM_SN_N2at6native12_GLOBAL__N_18offset_tEEE10hipError_tPvRmT1_PNSt15iterator_traitsISV_E10value_typeET2_T3_PNSW_IS11_E10value_typeET4_jRbjT5_S17_jjP12ihipStream_tbEUljE_EEESS_ST_SU_S11_S15_S17_T6_T7_T9_mT8_S19_bDpT10_ENKUlT_T0_E_clISt17integral_constantIbLb0EES1M_EEDaS1H_S1I_EUlS1H_E_NS1_11comp_targetILNS1_3genE10ELNS1_11target_archE1200ELNS1_3gpuE4ELNS1_3repE0EEENS1_30default_config_static_selectorELNS0_4arch9wavefront6targetE0EEEvSV_.num_agpr, 0
	.set _ZN7rocprim17ROCPRIM_400000_NS6detail17trampoline_kernelINS0_13select_configILj256ELj13ELNS0_17block_load_methodE3ELS4_3ELS4_3ELNS0_20block_scan_algorithmE0ELj4294967295EEENS1_25partition_config_selectorILNS1_17partition_subalgoE3EjNS0_10empty_typeEbEEZZNS1_14partition_implILS8_3ELb0ES6_jNS0_17counting_iteratorIjlEEPS9_SE_NS0_5tupleIJPjSE_EEENSF_IJSE_SE_EEES9_SG_JZNS1_25segmented_radix_sort_implINS0_14default_configELb1EPKlPlSM_SN_N2at6native12_GLOBAL__N_18offset_tEEE10hipError_tPvRmT1_PNSt15iterator_traitsISV_E10value_typeET2_T3_PNSW_IS11_E10value_typeET4_jRbjT5_S17_jjP12ihipStream_tbEUljE_EEESS_ST_SU_S11_S15_S17_T6_T7_T9_mT8_S19_bDpT10_ENKUlT_T0_E_clISt17integral_constantIbLb0EES1M_EEDaS1H_S1I_EUlS1H_E_NS1_11comp_targetILNS1_3genE10ELNS1_11target_archE1200ELNS1_3gpuE4ELNS1_3repE0EEENS1_30default_config_static_selectorELNS0_4arch9wavefront6targetE0EEEvSV_.numbered_sgpr, 0
	.set _ZN7rocprim17ROCPRIM_400000_NS6detail17trampoline_kernelINS0_13select_configILj256ELj13ELNS0_17block_load_methodE3ELS4_3ELS4_3ELNS0_20block_scan_algorithmE0ELj4294967295EEENS1_25partition_config_selectorILNS1_17partition_subalgoE3EjNS0_10empty_typeEbEEZZNS1_14partition_implILS8_3ELb0ES6_jNS0_17counting_iteratorIjlEEPS9_SE_NS0_5tupleIJPjSE_EEENSF_IJSE_SE_EEES9_SG_JZNS1_25segmented_radix_sort_implINS0_14default_configELb1EPKlPlSM_SN_N2at6native12_GLOBAL__N_18offset_tEEE10hipError_tPvRmT1_PNSt15iterator_traitsISV_E10value_typeET2_T3_PNSW_IS11_E10value_typeET4_jRbjT5_S17_jjP12ihipStream_tbEUljE_EEESS_ST_SU_S11_S15_S17_T6_T7_T9_mT8_S19_bDpT10_ENKUlT_T0_E_clISt17integral_constantIbLb0EES1M_EEDaS1H_S1I_EUlS1H_E_NS1_11comp_targetILNS1_3genE10ELNS1_11target_archE1200ELNS1_3gpuE4ELNS1_3repE0EEENS1_30default_config_static_selectorELNS0_4arch9wavefront6targetE0EEEvSV_.num_named_barrier, 0
	.set _ZN7rocprim17ROCPRIM_400000_NS6detail17trampoline_kernelINS0_13select_configILj256ELj13ELNS0_17block_load_methodE3ELS4_3ELS4_3ELNS0_20block_scan_algorithmE0ELj4294967295EEENS1_25partition_config_selectorILNS1_17partition_subalgoE3EjNS0_10empty_typeEbEEZZNS1_14partition_implILS8_3ELb0ES6_jNS0_17counting_iteratorIjlEEPS9_SE_NS0_5tupleIJPjSE_EEENSF_IJSE_SE_EEES9_SG_JZNS1_25segmented_radix_sort_implINS0_14default_configELb1EPKlPlSM_SN_N2at6native12_GLOBAL__N_18offset_tEEE10hipError_tPvRmT1_PNSt15iterator_traitsISV_E10value_typeET2_T3_PNSW_IS11_E10value_typeET4_jRbjT5_S17_jjP12ihipStream_tbEUljE_EEESS_ST_SU_S11_S15_S17_T6_T7_T9_mT8_S19_bDpT10_ENKUlT_T0_E_clISt17integral_constantIbLb0EES1M_EEDaS1H_S1I_EUlS1H_E_NS1_11comp_targetILNS1_3genE10ELNS1_11target_archE1200ELNS1_3gpuE4ELNS1_3repE0EEENS1_30default_config_static_selectorELNS0_4arch9wavefront6targetE0EEEvSV_.private_seg_size, 0
	.set _ZN7rocprim17ROCPRIM_400000_NS6detail17trampoline_kernelINS0_13select_configILj256ELj13ELNS0_17block_load_methodE3ELS4_3ELS4_3ELNS0_20block_scan_algorithmE0ELj4294967295EEENS1_25partition_config_selectorILNS1_17partition_subalgoE3EjNS0_10empty_typeEbEEZZNS1_14partition_implILS8_3ELb0ES6_jNS0_17counting_iteratorIjlEEPS9_SE_NS0_5tupleIJPjSE_EEENSF_IJSE_SE_EEES9_SG_JZNS1_25segmented_radix_sort_implINS0_14default_configELb1EPKlPlSM_SN_N2at6native12_GLOBAL__N_18offset_tEEE10hipError_tPvRmT1_PNSt15iterator_traitsISV_E10value_typeET2_T3_PNSW_IS11_E10value_typeET4_jRbjT5_S17_jjP12ihipStream_tbEUljE_EEESS_ST_SU_S11_S15_S17_T6_T7_T9_mT8_S19_bDpT10_ENKUlT_T0_E_clISt17integral_constantIbLb0EES1M_EEDaS1H_S1I_EUlS1H_E_NS1_11comp_targetILNS1_3genE10ELNS1_11target_archE1200ELNS1_3gpuE4ELNS1_3repE0EEENS1_30default_config_static_selectorELNS0_4arch9wavefront6targetE0EEEvSV_.uses_vcc, 0
	.set _ZN7rocprim17ROCPRIM_400000_NS6detail17trampoline_kernelINS0_13select_configILj256ELj13ELNS0_17block_load_methodE3ELS4_3ELS4_3ELNS0_20block_scan_algorithmE0ELj4294967295EEENS1_25partition_config_selectorILNS1_17partition_subalgoE3EjNS0_10empty_typeEbEEZZNS1_14partition_implILS8_3ELb0ES6_jNS0_17counting_iteratorIjlEEPS9_SE_NS0_5tupleIJPjSE_EEENSF_IJSE_SE_EEES9_SG_JZNS1_25segmented_radix_sort_implINS0_14default_configELb1EPKlPlSM_SN_N2at6native12_GLOBAL__N_18offset_tEEE10hipError_tPvRmT1_PNSt15iterator_traitsISV_E10value_typeET2_T3_PNSW_IS11_E10value_typeET4_jRbjT5_S17_jjP12ihipStream_tbEUljE_EEESS_ST_SU_S11_S15_S17_T6_T7_T9_mT8_S19_bDpT10_ENKUlT_T0_E_clISt17integral_constantIbLb0EES1M_EEDaS1H_S1I_EUlS1H_E_NS1_11comp_targetILNS1_3genE10ELNS1_11target_archE1200ELNS1_3gpuE4ELNS1_3repE0EEENS1_30default_config_static_selectorELNS0_4arch9wavefront6targetE0EEEvSV_.uses_flat_scratch, 0
	.set _ZN7rocprim17ROCPRIM_400000_NS6detail17trampoline_kernelINS0_13select_configILj256ELj13ELNS0_17block_load_methodE3ELS4_3ELS4_3ELNS0_20block_scan_algorithmE0ELj4294967295EEENS1_25partition_config_selectorILNS1_17partition_subalgoE3EjNS0_10empty_typeEbEEZZNS1_14partition_implILS8_3ELb0ES6_jNS0_17counting_iteratorIjlEEPS9_SE_NS0_5tupleIJPjSE_EEENSF_IJSE_SE_EEES9_SG_JZNS1_25segmented_radix_sort_implINS0_14default_configELb1EPKlPlSM_SN_N2at6native12_GLOBAL__N_18offset_tEEE10hipError_tPvRmT1_PNSt15iterator_traitsISV_E10value_typeET2_T3_PNSW_IS11_E10value_typeET4_jRbjT5_S17_jjP12ihipStream_tbEUljE_EEESS_ST_SU_S11_S15_S17_T6_T7_T9_mT8_S19_bDpT10_ENKUlT_T0_E_clISt17integral_constantIbLb0EES1M_EEDaS1H_S1I_EUlS1H_E_NS1_11comp_targetILNS1_3genE10ELNS1_11target_archE1200ELNS1_3gpuE4ELNS1_3repE0EEENS1_30default_config_static_selectorELNS0_4arch9wavefront6targetE0EEEvSV_.has_dyn_sized_stack, 0
	.set _ZN7rocprim17ROCPRIM_400000_NS6detail17trampoline_kernelINS0_13select_configILj256ELj13ELNS0_17block_load_methodE3ELS4_3ELS4_3ELNS0_20block_scan_algorithmE0ELj4294967295EEENS1_25partition_config_selectorILNS1_17partition_subalgoE3EjNS0_10empty_typeEbEEZZNS1_14partition_implILS8_3ELb0ES6_jNS0_17counting_iteratorIjlEEPS9_SE_NS0_5tupleIJPjSE_EEENSF_IJSE_SE_EEES9_SG_JZNS1_25segmented_radix_sort_implINS0_14default_configELb1EPKlPlSM_SN_N2at6native12_GLOBAL__N_18offset_tEEE10hipError_tPvRmT1_PNSt15iterator_traitsISV_E10value_typeET2_T3_PNSW_IS11_E10value_typeET4_jRbjT5_S17_jjP12ihipStream_tbEUljE_EEESS_ST_SU_S11_S15_S17_T6_T7_T9_mT8_S19_bDpT10_ENKUlT_T0_E_clISt17integral_constantIbLb0EES1M_EEDaS1H_S1I_EUlS1H_E_NS1_11comp_targetILNS1_3genE10ELNS1_11target_archE1200ELNS1_3gpuE4ELNS1_3repE0EEENS1_30default_config_static_selectorELNS0_4arch9wavefront6targetE0EEEvSV_.has_recursion, 0
	.set _ZN7rocprim17ROCPRIM_400000_NS6detail17trampoline_kernelINS0_13select_configILj256ELj13ELNS0_17block_load_methodE3ELS4_3ELS4_3ELNS0_20block_scan_algorithmE0ELj4294967295EEENS1_25partition_config_selectorILNS1_17partition_subalgoE3EjNS0_10empty_typeEbEEZZNS1_14partition_implILS8_3ELb0ES6_jNS0_17counting_iteratorIjlEEPS9_SE_NS0_5tupleIJPjSE_EEENSF_IJSE_SE_EEES9_SG_JZNS1_25segmented_radix_sort_implINS0_14default_configELb1EPKlPlSM_SN_N2at6native12_GLOBAL__N_18offset_tEEE10hipError_tPvRmT1_PNSt15iterator_traitsISV_E10value_typeET2_T3_PNSW_IS11_E10value_typeET4_jRbjT5_S17_jjP12ihipStream_tbEUljE_EEESS_ST_SU_S11_S15_S17_T6_T7_T9_mT8_S19_bDpT10_ENKUlT_T0_E_clISt17integral_constantIbLb0EES1M_EEDaS1H_S1I_EUlS1H_E_NS1_11comp_targetILNS1_3genE10ELNS1_11target_archE1200ELNS1_3gpuE4ELNS1_3repE0EEENS1_30default_config_static_selectorELNS0_4arch9wavefront6targetE0EEEvSV_.has_indirect_call, 0
	.section	.AMDGPU.csdata,"",@progbits
; Kernel info:
; codeLenInByte = 0
; TotalNumSgprs: 0
; NumVgprs: 0
; ScratchSize: 0
; MemoryBound: 0
; FloatMode: 240
; IeeeMode: 1
; LDSByteSize: 0 bytes/workgroup (compile time only)
; SGPRBlocks: 0
; VGPRBlocks: 0
; NumSGPRsForWavesPerEU: 1
; NumVGPRsForWavesPerEU: 1
; Occupancy: 16
; WaveLimiterHint : 0
; COMPUTE_PGM_RSRC2:SCRATCH_EN: 0
; COMPUTE_PGM_RSRC2:USER_SGPR: 6
; COMPUTE_PGM_RSRC2:TRAP_HANDLER: 0
; COMPUTE_PGM_RSRC2:TGID_X_EN: 1
; COMPUTE_PGM_RSRC2:TGID_Y_EN: 0
; COMPUTE_PGM_RSRC2:TGID_Z_EN: 0
; COMPUTE_PGM_RSRC2:TIDIG_COMP_CNT: 0
	.section	.text._ZN7rocprim17ROCPRIM_400000_NS6detail17trampoline_kernelINS0_13select_configILj256ELj13ELNS0_17block_load_methodE3ELS4_3ELS4_3ELNS0_20block_scan_algorithmE0ELj4294967295EEENS1_25partition_config_selectorILNS1_17partition_subalgoE3EjNS0_10empty_typeEbEEZZNS1_14partition_implILS8_3ELb0ES6_jNS0_17counting_iteratorIjlEEPS9_SE_NS0_5tupleIJPjSE_EEENSF_IJSE_SE_EEES9_SG_JZNS1_25segmented_radix_sort_implINS0_14default_configELb1EPKlPlSM_SN_N2at6native12_GLOBAL__N_18offset_tEEE10hipError_tPvRmT1_PNSt15iterator_traitsISV_E10value_typeET2_T3_PNSW_IS11_E10value_typeET4_jRbjT5_S17_jjP12ihipStream_tbEUljE_EEESS_ST_SU_S11_S15_S17_T6_T7_T9_mT8_S19_bDpT10_ENKUlT_T0_E_clISt17integral_constantIbLb0EES1M_EEDaS1H_S1I_EUlS1H_E_NS1_11comp_targetILNS1_3genE9ELNS1_11target_archE1100ELNS1_3gpuE3ELNS1_3repE0EEENS1_30default_config_static_selectorELNS0_4arch9wavefront6targetE0EEEvSV_,"axG",@progbits,_ZN7rocprim17ROCPRIM_400000_NS6detail17trampoline_kernelINS0_13select_configILj256ELj13ELNS0_17block_load_methodE3ELS4_3ELS4_3ELNS0_20block_scan_algorithmE0ELj4294967295EEENS1_25partition_config_selectorILNS1_17partition_subalgoE3EjNS0_10empty_typeEbEEZZNS1_14partition_implILS8_3ELb0ES6_jNS0_17counting_iteratorIjlEEPS9_SE_NS0_5tupleIJPjSE_EEENSF_IJSE_SE_EEES9_SG_JZNS1_25segmented_radix_sort_implINS0_14default_configELb1EPKlPlSM_SN_N2at6native12_GLOBAL__N_18offset_tEEE10hipError_tPvRmT1_PNSt15iterator_traitsISV_E10value_typeET2_T3_PNSW_IS11_E10value_typeET4_jRbjT5_S17_jjP12ihipStream_tbEUljE_EEESS_ST_SU_S11_S15_S17_T6_T7_T9_mT8_S19_bDpT10_ENKUlT_T0_E_clISt17integral_constantIbLb0EES1M_EEDaS1H_S1I_EUlS1H_E_NS1_11comp_targetILNS1_3genE9ELNS1_11target_archE1100ELNS1_3gpuE3ELNS1_3repE0EEENS1_30default_config_static_selectorELNS0_4arch9wavefront6targetE0EEEvSV_,comdat
	.globl	_ZN7rocprim17ROCPRIM_400000_NS6detail17trampoline_kernelINS0_13select_configILj256ELj13ELNS0_17block_load_methodE3ELS4_3ELS4_3ELNS0_20block_scan_algorithmE0ELj4294967295EEENS1_25partition_config_selectorILNS1_17partition_subalgoE3EjNS0_10empty_typeEbEEZZNS1_14partition_implILS8_3ELb0ES6_jNS0_17counting_iteratorIjlEEPS9_SE_NS0_5tupleIJPjSE_EEENSF_IJSE_SE_EEES9_SG_JZNS1_25segmented_radix_sort_implINS0_14default_configELb1EPKlPlSM_SN_N2at6native12_GLOBAL__N_18offset_tEEE10hipError_tPvRmT1_PNSt15iterator_traitsISV_E10value_typeET2_T3_PNSW_IS11_E10value_typeET4_jRbjT5_S17_jjP12ihipStream_tbEUljE_EEESS_ST_SU_S11_S15_S17_T6_T7_T9_mT8_S19_bDpT10_ENKUlT_T0_E_clISt17integral_constantIbLb0EES1M_EEDaS1H_S1I_EUlS1H_E_NS1_11comp_targetILNS1_3genE9ELNS1_11target_archE1100ELNS1_3gpuE3ELNS1_3repE0EEENS1_30default_config_static_selectorELNS0_4arch9wavefront6targetE0EEEvSV_ ; -- Begin function _ZN7rocprim17ROCPRIM_400000_NS6detail17trampoline_kernelINS0_13select_configILj256ELj13ELNS0_17block_load_methodE3ELS4_3ELS4_3ELNS0_20block_scan_algorithmE0ELj4294967295EEENS1_25partition_config_selectorILNS1_17partition_subalgoE3EjNS0_10empty_typeEbEEZZNS1_14partition_implILS8_3ELb0ES6_jNS0_17counting_iteratorIjlEEPS9_SE_NS0_5tupleIJPjSE_EEENSF_IJSE_SE_EEES9_SG_JZNS1_25segmented_radix_sort_implINS0_14default_configELb1EPKlPlSM_SN_N2at6native12_GLOBAL__N_18offset_tEEE10hipError_tPvRmT1_PNSt15iterator_traitsISV_E10value_typeET2_T3_PNSW_IS11_E10value_typeET4_jRbjT5_S17_jjP12ihipStream_tbEUljE_EEESS_ST_SU_S11_S15_S17_T6_T7_T9_mT8_S19_bDpT10_ENKUlT_T0_E_clISt17integral_constantIbLb0EES1M_EEDaS1H_S1I_EUlS1H_E_NS1_11comp_targetILNS1_3genE9ELNS1_11target_archE1100ELNS1_3gpuE3ELNS1_3repE0EEENS1_30default_config_static_selectorELNS0_4arch9wavefront6targetE0EEEvSV_
	.p2align	8
	.type	_ZN7rocprim17ROCPRIM_400000_NS6detail17trampoline_kernelINS0_13select_configILj256ELj13ELNS0_17block_load_methodE3ELS4_3ELS4_3ELNS0_20block_scan_algorithmE0ELj4294967295EEENS1_25partition_config_selectorILNS1_17partition_subalgoE3EjNS0_10empty_typeEbEEZZNS1_14partition_implILS8_3ELb0ES6_jNS0_17counting_iteratorIjlEEPS9_SE_NS0_5tupleIJPjSE_EEENSF_IJSE_SE_EEES9_SG_JZNS1_25segmented_radix_sort_implINS0_14default_configELb1EPKlPlSM_SN_N2at6native12_GLOBAL__N_18offset_tEEE10hipError_tPvRmT1_PNSt15iterator_traitsISV_E10value_typeET2_T3_PNSW_IS11_E10value_typeET4_jRbjT5_S17_jjP12ihipStream_tbEUljE_EEESS_ST_SU_S11_S15_S17_T6_T7_T9_mT8_S19_bDpT10_ENKUlT_T0_E_clISt17integral_constantIbLb0EES1M_EEDaS1H_S1I_EUlS1H_E_NS1_11comp_targetILNS1_3genE9ELNS1_11target_archE1100ELNS1_3gpuE3ELNS1_3repE0EEENS1_30default_config_static_selectorELNS0_4arch9wavefront6targetE0EEEvSV_,@function
_ZN7rocprim17ROCPRIM_400000_NS6detail17trampoline_kernelINS0_13select_configILj256ELj13ELNS0_17block_load_methodE3ELS4_3ELS4_3ELNS0_20block_scan_algorithmE0ELj4294967295EEENS1_25partition_config_selectorILNS1_17partition_subalgoE3EjNS0_10empty_typeEbEEZZNS1_14partition_implILS8_3ELb0ES6_jNS0_17counting_iteratorIjlEEPS9_SE_NS0_5tupleIJPjSE_EEENSF_IJSE_SE_EEES9_SG_JZNS1_25segmented_radix_sort_implINS0_14default_configELb1EPKlPlSM_SN_N2at6native12_GLOBAL__N_18offset_tEEE10hipError_tPvRmT1_PNSt15iterator_traitsISV_E10value_typeET2_T3_PNSW_IS11_E10value_typeET4_jRbjT5_S17_jjP12ihipStream_tbEUljE_EEESS_ST_SU_S11_S15_S17_T6_T7_T9_mT8_S19_bDpT10_ENKUlT_T0_E_clISt17integral_constantIbLb0EES1M_EEDaS1H_S1I_EUlS1H_E_NS1_11comp_targetILNS1_3genE9ELNS1_11target_archE1100ELNS1_3gpuE3ELNS1_3repE0EEENS1_30default_config_static_selectorELNS0_4arch9wavefront6targetE0EEEvSV_: ; @_ZN7rocprim17ROCPRIM_400000_NS6detail17trampoline_kernelINS0_13select_configILj256ELj13ELNS0_17block_load_methodE3ELS4_3ELS4_3ELNS0_20block_scan_algorithmE0ELj4294967295EEENS1_25partition_config_selectorILNS1_17partition_subalgoE3EjNS0_10empty_typeEbEEZZNS1_14partition_implILS8_3ELb0ES6_jNS0_17counting_iteratorIjlEEPS9_SE_NS0_5tupleIJPjSE_EEENSF_IJSE_SE_EEES9_SG_JZNS1_25segmented_radix_sort_implINS0_14default_configELb1EPKlPlSM_SN_N2at6native12_GLOBAL__N_18offset_tEEE10hipError_tPvRmT1_PNSt15iterator_traitsISV_E10value_typeET2_T3_PNSW_IS11_E10value_typeET4_jRbjT5_S17_jjP12ihipStream_tbEUljE_EEESS_ST_SU_S11_S15_S17_T6_T7_T9_mT8_S19_bDpT10_ENKUlT_T0_E_clISt17integral_constantIbLb0EES1M_EEDaS1H_S1I_EUlS1H_E_NS1_11comp_targetILNS1_3genE9ELNS1_11target_archE1100ELNS1_3gpuE3ELNS1_3repE0EEENS1_30default_config_static_selectorELNS0_4arch9wavefront6targetE0EEEvSV_
; %bb.0:
	.section	.rodata,"a",@progbits
	.p2align	6, 0x0
	.amdhsa_kernel _ZN7rocprim17ROCPRIM_400000_NS6detail17trampoline_kernelINS0_13select_configILj256ELj13ELNS0_17block_load_methodE3ELS4_3ELS4_3ELNS0_20block_scan_algorithmE0ELj4294967295EEENS1_25partition_config_selectorILNS1_17partition_subalgoE3EjNS0_10empty_typeEbEEZZNS1_14partition_implILS8_3ELb0ES6_jNS0_17counting_iteratorIjlEEPS9_SE_NS0_5tupleIJPjSE_EEENSF_IJSE_SE_EEES9_SG_JZNS1_25segmented_radix_sort_implINS0_14default_configELb1EPKlPlSM_SN_N2at6native12_GLOBAL__N_18offset_tEEE10hipError_tPvRmT1_PNSt15iterator_traitsISV_E10value_typeET2_T3_PNSW_IS11_E10value_typeET4_jRbjT5_S17_jjP12ihipStream_tbEUljE_EEESS_ST_SU_S11_S15_S17_T6_T7_T9_mT8_S19_bDpT10_ENKUlT_T0_E_clISt17integral_constantIbLb0EES1M_EEDaS1H_S1I_EUlS1H_E_NS1_11comp_targetILNS1_3genE9ELNS1_11target_archE1100ELNS1_3gpuE3ELNS1_3repE0EEENS1_30default_config_static_selectorELNS0_4arch9wavefront6targetE0EEEvSV_
		.amdhsa_group_segment_fixed_size 0
		.amdhsa_private_segment_fixed_size 0
		.amdhsa_kernarg_size 144
		.amdhsa_user_sgpr_count 6
		.amdhsa_user_sgpr_private_segment_buffer 1
		.amdhsa_user_sgpr_dispatch_ptr 0
		.amdhsa_user_sgpr_queue_ptr 0
		.amdhsa_user_sgpr_kernarg_segment_ptr 1
		.amdhsa_user_sgpr_dispatch_id 0
		.amdhsa_user_sgpr_flat_scratch_init 0
		.amdhsa_user_sgpr_private_segment_size 0
		.amdhsa_wavefront_size32 1
		.amdhsa_uses_dynamic_stack 0
		.amdhsa_system_sgpr_private_segment_wavefront_offset 0
		.amdhsa_system_sgpr_workgroup_id_x 1
		.amdhsa_system_sgpr_workgroup_id_y 0
		.amdhsa_system_sgpr_workgroup_id_z 0
		.amdhsa_system_sgpr_workgroup_info 0
		.amdhsa_system_vgpr_workitem_id 0
		.amdhsa_next_free_vgpr 1
		.amdhsa_next_free_sgpr 1
		.amdhsa_reserve_vcc 0
		.amdhsa_reserve_flat_scratch 0
		.amdhsa_float_round_mode_32 0
		.amdhsa_float_round_mode_16_64 0
		.amdhsa_float_denorm_mode_32 3
		.amdhsa_float_denorm_mode_16_64 3
		.amdhsa_dx10_clamp 1
		.amdhsa_ieee_mode 1
		.amdhsa_fp16_overflow 0
		.amdhsa_workgroup_processor_mode 1
		.amdhsa_memory_ordered 1
		.amdhsa_forward_progress 1
		.amdhsa_shared_vgpr_count 0
		.amdhsa_exception_fp_ieee_invalid_op 0
		.amdhsa_exception_fp_denorm_src 0
		.amdhsa_exception_fp_ieee_div_zero 0
		.amdhsa_exception_fp_ieee_overflow 0
		.amdhsa_exception_fp_ieee_underflow 0
		.amdhsa_exception_fp_ieee_inexact 0
		.amdhsa_exception_int_div_zero 0
	.end_amdhsa_kernel
	.section	.text._ZN7rocprim17ROCPRIM_400000_NS6detail17trampoline_kernelINS0_13select_configILj256ELj13ELNS0_17block_load_methodE3ELS4_3ELS4_3ELNS0_20block_scan_algorithmE0ELj4294967295EEENS1_25partition_config_selectorILNS1_17partition_subalgoE3EjNS0_10empty_typeEbEEZZNS1_14partition_implILS8_3ELb0ES6_jNS0_17counting_iteratorIjlEEPS9_SE_NS0_5tupleIJPjSE_EEENSF_IJSE_SE_EEES9_SG_JZNS1_25segmented_radix_sort_implINS0_14default_configELb1EPKlPlSM_SN_N2at6native12_GLOBAL__N_18offset_tEEE10hipError_tPvRmT1_PNSt15iterator_traitsISV_E10value_typeET2_T3_PNSW_IS11_E10value_typeET4_jRbjT5_S17_jjP12ihipStream_tbEUljE_EEESS_ST_SU_S11_S15_S17_T6_T7_T9_mT8_S19_bDpT10_ENKUlT_T0_E_clISt17integral_constantIbLb0EES1M_EEDaS1H_S1I_EUlS1H_E_NS1_11comp_targetILNS1_3genE9ELNS1_11target_archE1100ELNS1_3gpuE3ELNS1_3repE0EEENS1_30default_config_static_selectorELNS0_4arch9wavefront6targetE0EEEvSV_,"axG",@progbits,_ZN7rocprim17ROCPRIM_400000_NS6detail17trampoline_kernelINS0_13select_configILj256ELj13ELNS0_17block_load_methodE3ELS4_3ELS4_3ELNS0_20block_scan_algorithmE0ELj4294967295EEENS1_25partition_config_selectorILNS1_17partition_subalgoE3EjNS0_10empty_typeEbEEZZNS1_14partition_implILS8_3ELb0ES6_jNS0_17counting_iteratorIjlEEPS9_SE_NS0_5tupleIJPjSE_EEENSF_IJSE_SE_EEES9_SG_JZNS1_25segmented_radix_sort_implINS0_14default_configELb1EPKlPlSM_SN_N2at6native12_GLOBAL__N_18offset_tEEE10hipError_tPvRmT1_PNSt15iterator_traitsISV_E10value_typeET2_T3_PNSW_IS11_E10value_typeET4_jRbjT5_S17_jjP12ihipStream_tbEUljE_EEESS_ST_SU_S11_S15_S17_T6_T7_T9_mT8_S19_bDpT10_ENKUlT_T0_E_clISt17integral_constantIbLb0EES1M_EEDaS1H_S1I_EUlS1H_E_NS1_11comp_targetILNS1_3genE9ELNS1_11target_archE1100ELNS1_3gpuE3ELNS1_3repE0EEENS1_30default_config_static_selectorELNS0_4arch9wavefront6targetE0EEEvSV_,comdat
.Lfunc_end672:
	.size	_ZN7rocprim17ROCPRIM_400000_NS6detail17trampoline_kernelINS0_13select_configILj256ELj13ELNS0_17block_load_methodE3ELS4_3ELS4_3ELNS0_20block_scan_algorithmE0ELj4294967295EEENS1_25partition_config_selectorILNS1_17partition_subalgoE3EjNS0_10empty_typeEbEEZZNS1_14partition_implILS8_3ELb0ES6_jNS0_17counting_iteratorIjlEEPS9_SE_NS0_5tupleIJPjSE_EEENSF_IJSE_SE_EEES9_SG_JZNS1_25segmented_radix_sort_implINS0_14default_configELb1EPKlPlSM_SN_N2at6native12_GLOBAL__N_18offset_tEEE10hipError_tPvRmT1_PNSt15iterator_traitsISV_E10value_typeET2_T3_PNSW_IS11_E10value_typeET4_jRbjT5_S17_jjP12ihipStream_tbEUljE_EEESS_ST_SU_S11_S15_S17_T6_T7_T9_mT8_S19_bDpT10_ENKUlT_T0_E_clISt17integral_constantIbLb0EES1M_EEDaS1H_S1I_EUlS1H_E_NS1_11comp_targetILNS1_3genE9ELNS1_11target_archE1100ELNS1_3gpuE3ELNS1_3repE0EEENS1_30default_config_static_selectorELNS0_4arch9wavefront6targetE0EEEvSV_, .Lfunc_end672-_ZN7rocprim17ROCPRIM_400000_NS6detail17trampoline_kernelINS0_13select_configILj256ELj13ELNS0_17block_load_methodE3ELS4_3ELS4_3ELNS0_20block_scan_algorithmE0ELj4294967295EEENS1_25partition_config_selectorILNS1_17partition_subalgoE3EjNS0_10empty_typeEbEEZZNS1_14partition_implILS8_3ELb0ES6_jNS0_17counting_iteratorIjlEEPS9_SE_NS0_5tupleIJPjSE_EEENSF_IJSE_SE_EEES9_SG_JZNS1_25segmented_radix_sort_implINS0_14default_configELb1EPKlPlSM_SN_N2at6native12_GLOBAL__N_18offset_tEEE10hipError_tPvRmT1_PNSt15iterator_traitsISV_E10value_typeET2_T3_PNSW_IS11_E10value_typeET4_jRbjT5_S17_jjP12ihipStream_tbEUljE_EEESS_ST_SU_S11_S15_S17_T6_T7_T9_mT8_S19_bDpT10_ENKUlT_T0_E_clISt17integral_constantIbLb0EES1M_EEDaS1H_S1I_EUlS1H_E_NS1_11comp_targetILNS1_3genE9ELNS1_11target_archE1100ELNS1_3gpuE3ELNS1_3repE0EEENS1_30default_config_static_selectorELNS0_4arch9wavefront6targetE0EEEvSV_
                                        ; -- End function
	.set _ZN7rocprim17ROCPRIM_400000_NS6detail17trampoline_kernelINS0_13select_configILj256ELj13ELNS0_17block_load_methodE3ELS4_3ELS4_3ELNS0_20block_scan_algorithmE0ELj4294967295EEENS1_25partition_config_selectorILNS1_17partition_subalgoE3EjNS0_10empty_typeEbEEZZNS1_14partition_implILS8_3ELb0ES6_jNS0_17counting_iteratorIjlEEPS9_SE_NS0_5tupleIJPjSE_EEENSF_IJSE_SE_EEES9_SG_JZNS1_25segmented_radix_sort_implINS0_14default_configELb1EPKlPlSM_SN_N2at6native12_GLOBAL__N_18offset_tEEE10hipError_tPvRmT1_PNSt15iterator_traitsISV_E10value_typeET2_T3_PNSW_IS11_E10value_typeET4_jRbjT5_S17_jjP12ihipStream_tbEUljE_EEESS_ST_SU_S11_S15_S17_T6_T7_T9_mT8_S19_bDpT10_ENKUlT_T0_E_clISt17integral_constantIbLb0EES1M_EEDaS1H_S1I_EUlS1H_E_NS1_11comp_targetILNS1_3genE9ELNS1_11target_archE1100ELNS1_3gpuE3ELNS1_3repE0EEENS1_30default_config_static_selectorELNS0_4arch9wavefront6targetE0EEEvSV_.num_vgpr, 0
	.set _ZN7rocprim17ROCPRIM_400000_NS6detail17trampoline_kernelINS0_13select_configILj256ELj13ELNS0_17block_load_methodE3ELS4_3ELS4_3ELNS0_20block_scan_algorithmE0ELj4294967295EEENS1_25partition_config_selectorILNS1_17partition_subalgoE3EjNS0_10empty_typeEbEEZZNS1_14partition_implILS8_3ELb0ES6_jNS0_17counting_iteratorIjlEEPS9_SE_NS0_5tupleIJPjSE_EEENSF_IJSE_SE_EEES9_SG_JZNS1_25segmented_radix_sort_implINS0_14default_configELb1EPKlPlSM_SN_N2at6native12_GLOBAL__N_18offset_tEEE10hipError_tPvRmT1_PNSt15iterator_traitsISV_E10value_typeET2_T3_PNSW_IS11_E10value_typeET4_jRbjT5_S17_jjP12ihipStream_tbEUljE_EEESS_ST_SU_S11_S15_S17_T6_T7_T9_mT8_S19_bDpT10_ENKUlT_T0_E_clISt17integral_constantIbLb0EES1M_EEDaS1H_S1I_EUlS1H_E_NS1_11comp_targetILNS1_3genE9ELNS1_11target_archE1100ELNS1_3gpuE3ELNS1_3repE0EEENS1_30default_config_static_selectorELNS0_4arch9wavefront6targetE0EEEvSV_.num_agpr, 0
	.set _ZN7rocprim17ROCPRIM_400000_NS6detail17trampoline_kernelINS0_13select_configILj256ELj13ELNS0_17block_load_methodE3ELS4_3ELS4_3ELNS0_20block_scan_algorithmE0ELj4294967295EEENS1_25partition_config_selectorILNS1_17partition_subalgoE3EjNS0_10empty_typeEbEEZZNS1_14partition_implILS8_3ELb0ES6_jNS0_17counting_iteratorIjlEEPS9_SE_NS0_5tupleIJPjSE_EEENSF_IJSE_SE_EEES9_SG_JZNS1_25segmented_radix_sort_implINS0_14default_configELb1EPKlPlSM_SN_N2at6native12_GLOBAL__N_18offset_tEEE10hipError_tPvRmT1_PNSt15iterator_traitsISV_E10value_typeET2_T3_PNSW_IS11_E10value_typeET4_jRbjT5_S17_jjP12ihipStream_tbEUljE_EEESS_ST_SU_S11_S15_S17_T6_T7_T9_mT8_S19_bDpT10_ENKUlT_T0_E_clISt17integral_constantIbLb0EES1M_EEDaS1H_S1I_EUlS1H_E_NS1_11comp_targetILNS1_3genE9ELNS1_11target_archE1100ELNS1_3gpuE3ELNS1_3repE0EEENS1_30default_config_static_selectorELNS0_4arch9wavefront6targetE0EEEvSV_.numbered_sgpr, 0
	.set _ZN7rocprim17ROCPRIM_400000_NS6detail17trampoline_kernelINS0_13select_configILj256ELj13ELNS0_17block_load_methodE3ELS4_3ELS4_3ELNS0_20block_scan_algorithmE0ELj4294967295EEENS1_25partition_config_selectorILNS1_17partition_subalgoE3EjNS0_10empty_typeEbEEZZNS1_14partition_implILS8_3ELb0ES6_jNS0_17counting_iteratorIjlEEPS9_SE_NS0_5tupleIJPjSE_EEENSF_IJSE_SE_EEES9_SG_JZNS1_25segmented_radix_sort_implINS0_14default_configELb1EPKlPlSM_SN_N2at6native12_GLOBAL__N_18offset_tEEE10hipError_tPvRmT1_PNSt15iterator_traitsISV_E10value_typeET2_T3_PNSW_IS11_E10value_typeET4_jRbjT5_S17_jjP12ihipStream_tbEUljE_EEESS_ST_SU_S11_S15_S17_T6_T7_T9_mT8_S19_bDpT10_ENKUlT_T0_E_clISt17integral_constantIbLb0EES1M_EEDaS1H_S1I_EUlS1H_E_NS1_11comp_targetILNS1_3genE9ELNS1_11target_archE1100ELNS1_3gpuE3ELNS1_3repE0EEENS1_30default_config_static_selectorELNS0_4arch9wavefront6targetE0EEEvSV_.num_named_barrier, 0
	.set _ZN7rocprim17ROCPRIM_400000_NS6detail17trampoline_kernelINS0_13select_configILj256ELj13ELNS0_17block_load_methodE3ELS4_3ELS4_3ELNS0_20block_scan_algorithmE0ELj4294967295EEENS1_25partition_config_selectorILNS1_17partition_subalgoE3EjNS0_10empty_typeEbEEZZNS1_14partition_implILS8_3ELb0ES6_jNS0_17counting_iteratorIjlEEPS9_SE_NS0_5tupleIJPjSE_EEENSF_IJSE_SE_EEES9_SG_JZNS1_25segmented_radix_sort_implINS0_14default_configELb1EPKlPlSM_SN_N2at6native12_GLOBAL__N_18offset_tEEE10hipError_tPvRmT1_PNSt15iterator_traitsISV_E10value_typeET2_T3_PNSW_IS11_E10value_typeET4_jRbjT5_S17_jjP12ihipStream_tbEUljE_EEESS_ST_SU_S11_S15_S17_T6_T7_T9_mT8_S19_bDpT10_ENKUlT_T0_E_clISt17integral_constantIbLb0EES1M_EEDaS1H_S1I_EUlS1H_E_NS1_11comp_targetILNS1_3genE9ELNS1_11target_archE1100ELNS1_3gpuE3ELNS1_3repE0EEENS1_30default_config_static_selectorELNS0_4arch9wavefront6targetE0EEEvSV_.private_seg_size, 0
	.set _ZN7rocprim17ROCPRIM_400000_NS6detail17trampoline_kernelINS0_13select_configILj256ELj13ELNS0_17block_load_methodE3ELS4_3ELS4_3ELNS0_20block_scan_algorithmE0ELj4294967295EEENS1_25partition_config_selectorILNS1_17partition_subalgoE3EjNS0_10empty_typeEbEEZZNS1_14partition_implILS8_3ELb0ES6_jNS0_17counting_iteratorIjlEEPS9_SE_NS0_5tupleIJPjSE_EEENSF_IJSE_SE_EEES9_SG_JZNS1_25segmented_radix_sort_implINS0_14default_configELb1EPKlPlSM_SN_N2at6native12_GLOBAL__N_18offset_tEEE10hipError_tPvRmT1_PNSt15iterator_traitsISV_E10value_typeET2_T3_PNSW_IS11_E10value_typeET4_jRbjT5_S17_jjP12ihipStream_tbEUljE_EEESS_ST_SU_S11_S15_S17_T6_T7_T9_mT8_S19_bDpT10_ENKUlT_T0_E_clISt17integral_constantIbLb0EES1M_EEDaS1H_S1I_EUlS1H_E_NS1_11comp_targetILNS1_3genE9ELNS1_11target_archE1100ELNS1_3gpuE3ELNS1_3repE0EEENS1_30default_config_static_selectorELNS0_4arch9wavefront6targetE0EEEvSV_.uses_vcc, 0
	.set _ZN7rocprim17ROCPRIM_400000_NS6detail17trampoline_kernelINS0_13select_configILj256ELj13ELNS0_17block_load_methodE3ELS4_3ELS4_3ELNS0_20block_scan_algorithmE0ELj4294967295EEENS1_25partition_config_selectorILNS1_17partition_subalgoE3EjNS0_10empty_typeEbEEZZNS1_14partition_implILS8_3ELb0ES6_jNS0_17counting_iteratorIjlEEPS9_SE_NS0_5tupleIJPjSE_EEENSF_IJSE_SE_EEES9_SG_JZNS1_25segmented_radix_sort_implINS0_14default_configELb1EPKlPlSM_SN_N2at6native12_GLOBAL__N_18offset_tEEE10hipError_tPvRmT1_PNSt15iterator_traitsISV_E10value_typeET2_T3_PNSW_IS11_E10value_typeET4_jRbjT5_S17_jjP12ihipStream_tbEUljE_EEESS_ST_SU_S11_S15_S17_T6_T7_T9_mT8_S19_bDpT10_ENKUlT_T0_E_clISt17integral_constantIbLb0EES1M_EEDaS1H_S1I_EUlS1H_E_NS1_11comp_targetILNS1_3genE9ELNS1_11target_archE1100ELNS1_3gpuE3ELNS1_3repE0EEENS1_30default_config_static_selectorELNS0_4arch9wavefront6targetE0EEEvSV_.uses_flat_scratch, 0
	.set _ZN7rocprim17ROCPRIM_400000_NS6detail17trampoline_kernelINS0_13select_configILj256ELj13ELNS0_17block_load_methodE3ELS4_3ELS4_3ELNS0_20block_scan_algorithmE0ELj4294967295EEENS1_25partition_config_selectorILNS1_17partition_subalgoE3EjNS0_10empty_typeEbEEZZNS1_14partition_implILS8_3ELb0ES6_jNS0_17counting_iteratorIjlEEPS9_SE_NS0_5tupleIJPjSE_EEENSF_IJSE_SE_EEES9_SG_JZNS1_25segmented_radix_sort_implINS0_14default_configELb1EPKlPlSM_SN_N2at6native12_GLOBAL__N_18offset_tEEE10hipError_tPvRmT1_PNSt15iterator_traitsISV_E10value_typeET2_T3_PNSW_IS11_E10value_typeET4_jRbjT5_S17_jjP12ihipStream_tbEUljE_EEESS_ST_SU_S11_S15_S17_T6_T7_T9_mT8_S19_bDpT10_ENKUlT_T0_E_clISt17integral_constantIbLb0EES1M_EEDaS1H_S1I_EUlS1H_E_NS1_11comp_targetILNS1_3genE9ELNS1_11target_archE1100ELNS1_3gpuE3ELNS1_3repE0EEENS1_30default_config_static_selectorELNS0_4arch9wavefront6targetE0EEEvSV_.has_dyn_sized_stack, 0
	.set _ZN7rocprim17ROCPRIM_400000_NS6detail17trampoline_kernelINS0_13select_configILj256ELj13ELNS0_17block_load_methodE3ELS4_3ELS4_3ELNS0_20block_scan_algorithmE0ELj4294967295EEENS1_25partition_config_selectorILNS1_17partition_subalgoE3EjNS0_10empty_typeEbEEZZNS1_14partition_implILS8_3ELb0ES6_jNS0_17counting_iteratorIjlEEPS9_SE_NS0_5tupleIJPjSE_EEENSF_IJSE_SE_EEES9_SG_JZNS1_25segmented_radix_sort_implINS0_14default_configELb1EPKlPlSM_SN_N2at6native12_GLOBAL__N_18offset_tEEE10hipError_tPvRmT1_PNSt15iterator_traitsISV_E10value_typeET2_T3_PNSW_IS11_E10value_typeET4_jRbjT5_S17_jjP12ihipStream_tbEUljE_EEESS_ST_SU_S11_S15_S17_T6_T7_T9_mT8_S19_bDpT10_ENKUlT_T0_E_clISt17integral_constantIbLb0EES1M_EEDaS1H_S1I_EUlS1H_E_NS1_11comp_targetILNS1_3genE9ELNS1_11target_archE1100ELNS1_3gpuE3ELNS1_3repE0EEENS1_30default_config_static_selectorELNS0_4arch9wavefront6targetE0EEEvSV_.has_recursion, 0
	.set _ZN7rocprim17ROCPRIM_400000_NS6detail17trampoline_kernelINS0_13select_configILj256ELj13ELNS0_17block_load_methodE3ELS4_3ELS4_3ELNS0_20block_scan_algorithmE0ELj4294967295EEENS1_25partition_config_selectorILNS1_17partition_subalgoE3EjNS0_10empty_typeEbEEZZNS1_14partition_implILS8_3ELb0ES6_jNS0_17counting_iteratorIjlEEPS9_SE_NS0_5tupleIJPjSE_EEENSF_IJSE_SE_EEES9_SG_JZNS1_25segmented_radix_sort_implINS0_14default_configELb1EPKlPlSM_SN_N2at6native12_GLOBAL__N_18offset_tEEE10hipError_tPvRmT1_PNSt15iterator_traitsISV_E10value_typeET2_T3_PNSW_IS11_E10value_typeET4_jRbjT5_S17_jjP12ihipStream_tbEUljE_EEESS_ST_SU_S11_S15_S17_T6_T7_T9_mT8_S19_bDpT10_ENKUlT_T0_E_clISt17integral_constantIbLb0EES1M_EEDaS1H_S1I_EUlS1H_E_NS1_11comp_targetILNS1_3genE9ELNS1_11target_archE1100ELNS1_3gpuE3ELNS1_3repE0EEENS1_30default_config_static_selectorELNS0_4arch9wavefront6targetE0EEEvSV_.has_indirect_call, 0
	.section	.AMDGPU.csdata,"",@progbits
; Kernel info:
; codeLenInByte = 0
; TotalNumSgprs: 0
; NumVgprs: 0
; ScratchSize: 0
; MemoryBound: 0
; FloatMode: 240
; IeeeMode: 1
; LDSByteSize: 0 bytes/workgroup (compile time only)
; SGPRBlocks: 0
; VGPRBlocks: 0
; NumSGPRsForWavesPerEU: 1
; NumVGPRsForWavesPerEU: 1
; Occupancy: 16
; WaveLimiterHint : 0
; COMPUTE_PGM_RSRC2:SCRATCH_EN: 0
; COMPUTE_PGM_RSRC2:USER_SGPR: 6
; COMPUTE_PGM_RSRC2:TRAP_HANDLER: 0
; COMPUTE_PGM_RSRC2:TGID_X_EN: 1
; COMPUTE_PGM_RSRC2:TGID_Y_EN: 0
; COMPUTE_PGM_RSRC2:TGID_Z_EN: 0
; COMPUTE_PGM_RSRC2:TIDIG_COMP_CNT: 0
	.section	.text._ZN7rocprim17ROCPRIM_400000_NS6detail17trampoline_kernelINS0_13select_configILj256ELj13ELNS0_17block_load_methodE3ELS4_3ELS4_3ELNS0_20block_scan_algorithmE0ELj4294967295EEENS1_25partition_config_selectorILNS1_17partition_subalgoE3EjNS0_10empty_typeEbEEZZNS1_14partition_implILS8_3ELb0ES6_jNS0_17counting_iteratorIjlEEPS9_SE_NS0_5tupleIJPjSE_EEENSF_IJSE_SE_EEES9_SG_JZNS1_25segmented_radix_sort_implINS0_14default_configELb1EPKlPlSM_SN_N2at6native12_GLOBAL__N_18offset_tEEE10hipError_tPvRmT1_PNSt15iterator_traitsISV_E10value_typeET2_T3_PNSW_IS11_E10value_typeET4_jRbjT5_S17_jjP12ihipStream_tbEUljE_EEESS_ST_SU_S11_S15_S17_T6_T7_T9_mT8_S19_bDpT10_ENKUlT_T0_E_clISt17integral_constantIbLb0EES1M_EEDaS1H_S1I_EUlS1H_E_NS1_11comp_targetILNS1_3genE8ELNS1_11target_archE1030ELNS1_3gpuE2ELNS1_3repE0EEENS1_30default_config_static_selectorELNS0_4arch9wavefront6targetE0EEEvSV_,"axG",@progbits,_ZN7rocprim17ROCPRIM_400000_NS6detail17trampoline_kernelINS0_13select_configILj256ELj13ELNS0_17block_load_methodE3ELS4_3ELS4_3ELNS0_20block_scan_algorithmE0ELj4294967295EEENS1_25partition_config_selectorILNS1_17partition_subalgoE3EjNS0_10empty_typeEbEEZZNS1_14partition_implILS8_3ELb0ES6_jNS0_17counting_iteratorIjlEEPS9_SE_NS0_5tupleIJPjSE_EEENSF_IJSE_SE_EEES9_SG_JZNS1_25segmented_radix_sort_implINS0_14default_configELb1EPKlPlSM_SN_N2at6native12_GLOBAL__N_18offset_tEEE10hipError_tPvRmT1_PNSt15iterator_traitsISV_E10value_typeET2_T3_PNSW_IS11_E10value_typeET4_jRbjT5_S17_jjP12ihipStream_tbEUljE_EEESS_ST_SU_S11_S15_S17_T6_T7_T9_mT8_S19_bDpT10_ENKUlT_T0_E_clISt17integral_constantIbLb0EES1M_EEDaS1H_S1I_EUlS1H_E_NS1_11comp_targetILNS1_3genE8ELNS1_11target_archE1030ELNS1_3gpuE2ELNS1_3repE0EEENS1_30default_config_static_selectorELNS0_4arch9wavefront6targetE0EEEvSV_,comdat
	.globl	_ZN7rocprim17ROCPRIM_400000_NS6detail17trampoline_kernelINS0_13select_configILj256ELj13ELNS0_17block_load_methodE3ELS4_3ELS4_3ELNS0_20block_scan_algorithmE0ELj4294967295EEENS1_25partition_config_selectorILNS1_17partition_subalgoE3EjNS0_10empty_typeEbEEZZNS1_14partition_implILS8_3ELb0ES6_jNS0_17counting_iteratorIjlEEPS9_SE_NS0_5tupleIJPjSE_EEENSF_IJSE_SE_EEES9_SG_JZNS1_25segmented_radix_sort_implINS0_14default_configELb1EPKlPlSM_SN_N2at6native12_GLOBAL__N_18offset_tEEE10hipError_tPvRmT1_PNSt15iterator_traitsISV_E10value_typeET2_T3_PNSW_IS11_E10value_typeET4_jRbjT5_S17_jjP12ihipStream_tbEUljE_EEESS_ST_SU_S11_S15_S17_T6_T7_T9_mT8_S19_bDpT10_ENKUlT_T0_E_clISt17integral_constantIbLb0EES1M_EEDaS1H_S1I_EUlS1H_E_NS1_11comp_targetILNS1_3genE8ELNS1_11target_archE1030ELNS1_3gpuE2ELNS1_3repE0EEENS1_30default_config_static_selectorELNS0_4arch9wavefront6targetE0EEEvSV_ ; -- Begin function _ZN7rocprim17ROCPRIM_400000_NS6detail17trampoline_kernelINS0_13select_configILj256ELj13ELNS0_17block_load_methodE3ELS4_3ELS4_3ELNS0_20block_scan_algorithmE0ELj4294967295EEENS1_25partition_config_selectorILNS1_17partition_subalgoE3EjNS0_10empty_typeEbEEZZNS1_14partition_implILS8_3ELb0ES6_jNS0_17counting_iteratorIjlEEPS9_SE_NS0_5tupleIJPjSE_EEENSF_IJSE_SE_EEES9_SG_JZNS1_25segmented_radix_sort_implINS0_14default_configELb1EPKlPlSM_SN_N2at6native12_GLOBAL__N_18offset_tEEE10hipError_tPvRmT1_PNSt15iterator_traitsISV_E10value_typeET2_T3_PNSW_IS11_E10value_typeET4_jRbjT5_S17_jjP12ihipStream_tbEUljE_EEESS_ST_SU_S11_S15_S17_T6_T7_T9_mT8_S19_bDpT10_ENKUlT_T0_E_clISt17integral_constantIbLb0EES1M_EEDaS1H_S1I_EUlS1H_E_NS1_11comp_targetILNS1_3genE8ELNS1_11target_archE1030ELNS1_3gpuE2ELNS1_3repE0EEENS1_30default_config_static_selectorELNS0_4arch9wavefront6targetE0EEEvSV_
	.p2align	8
	.type	_ZN7rocprim17ROCPRIM_400000_NS6detail17trampoline_kernelINS0_13select_configILj256ELj13ELNS0_17block_load_methodE3ELS4_3ELS4_3ELNS0_20block_scan_algorithmE0ELj4294967295EEENS1_25partition_config_selectorILNS1_17partition_subalgoE3EjNS0_10empty_typeEbEEZZNS1_14partition_implILS8_3ELb0ES6_jNS0_17counting_iteratorIjlEEPS9_SE_NS0_5tupleIJPjSE_EEENSF_IJSE_SE_EEES9_SG_JZNS1_25segmented_radix_sort_implINS0_14default_configELb1EPKlPlSM_SN_N2at6native12_GLOBAL__N_18offset_tEEE10hipError_tPvRmT1_PNSt15iterator_traitsISV_E10value_typeET2_T3_PNSW_IS11_E10value_typeET4_jRbjT5_S17_jjP12ihipStream_tbEUljE_EEESS_ST_SU_S11_S15_S17_T6_T7_T9_mT8_S19_bDpT10_ENKUlT_T0_E_clISt17integral_constantIbLb0EES1M_EEDaS1H_S1I_EUlS1H_E_NS1_11comp_targetILNS1_3genE8ELNS1_11target_archE1030ELNS1_3gpuE2ELNS1_3repE0EEENS1_30default_config_static_selectorELNS0_4arch9wavefront6targetE0EEEvSV_,@function
_ZN7rocprim17ROCPRIM_400000_NS6detail17trampoline_kernelINS0_13select_configILj256ELj13ELNS0_17block_load_methodE3ELS4_3ELS4_3ELNS0_20block_scan_algorithmE0ELj4294967295EEENS1_25partition_config_selectorILNS1_17partition_subalgoE3EjNS0_10empty_typeEbEEZZNS1_14partition_implILS8_3ELb0ES6_jNS0_17counting_iteratorIjlEEPS9_SE_NS0_5tupleIJPjSE_EEENSF_IJSE_SE_EEES9_SG_JZNS1_25segmented_radix_sort_implINS0_14default_configELb1EPKlPlSM_SN_N2at6native12_GLOBAL__N_18offset_tEEE10hipError_tPvRmT1_PNSt15iterator_traitsISV_E10value_typeET2_T3_PNSW_IS11_E10value_typeET4_jRbjT5_S17_jjP12ihipStream_tbEUljE_EEESS_ST_SU_S11_S15_S17_T6_T7_T9_mT8_S19_bDpT10_ENKUlT_T0_E_clISt17integral_constantIbLb0EES1M_EEDaS1H_S1I_EUlS1H_E_NS1_11comp_targetILNS1_3genE8ELNS1_11target_archE1030ELNS1_3gpuE2ELNS1_3repE0EEENS1_30default_config_static_selectorELNS0_4arch9wavefront6targetE0EEEvSV_: ; @_ZN7rocprim17ROCPRIM_400000_NS6detail17trampoline_kernelINS0_13select_configILj256ELj13ELNS0_17block_load_methodE3ELS4_3ELS4_3ELNS0_20block_scan_algorithmE0ELj4294967295EEENS1_25partition_config_selectorILNS1_17partition_subalgoE3EjNS0_10empty_typeEbEEZZNS1_14partition_implILS8_3ELb0ES6_jNS0_17counting_iteratorIjlEEPS9_SE_NS0_5tupleIJPjSE_EEENSF_IJSE_SE_EEES9_SG_JZNS1_25segmented_radix_sort_implINS0_14default_configELb1EPKlPlSM_SN_N2at6native12_GLOBAL__N_18offset_tEEE10hipError_tPvRmT1_PNSt15iterator_traitsISV_E10value_typeET2_T3_PNSW_IS11_E10value_typeET4_jRbjT5_S17_jjP12ihipStream_tbEUljE_EEESS_ST_SU_S11_S15_S17_T6_T7_T9_mT8_S19_bDpT10_ENKUlT_T0_E_clISt17integral_constantIbLb0EES1M_EEDaS1H_S1I_EUlS1H_E_NS1_11comp_targetILNS1_3genE8ELNS1_11target_archE1030ELNS1_3gpuE2ELNS1_3repE0EEENS1_30default_config_static_selectorELNS0_4arch9wavefront6targetE0EEEvSV_
; %bb.0:
	s_clause 0x6
	s_load_dword s0, s[4:5], 0x70
	s_load_dwordx2 s[16:17], s[4:5], 0x10
	s_load_dwordx4 s[12:15], s[4:5], 0x48
	s_load_dwordx2 s[18:19], s[4:5], 0x58
	s_load_dword s7, s[4:5], 0x8
	s_load_dwordx4 s[8:11], s[4:5], 0x78
	s_load_dword s1, s[4:5], 0x88
	s_mul_i32 s26, s6, 0xd00
	v_lshlrev_b32_e32 v42, 2, v0
	s_waitcnt lgkmcnt(0)
	s_mul_i32 s2, s0, 0xd00
	s_add_i32 s0, s0, -1
	s_add_i32 s3, s2, s16
	s_load_dwordx2 s[20:21], s[14:15], 0x0
	s_sub_i32 s25, s18, s3
	s_addk_i32 s25, 0xd00
	s_add_u32 s2, s16, s2
	s_addc_u32 s3, s17, 0
	s_cmp_eq_u32 s6, s0
	v_cmp_gt_u64_e64 s2, s[18:19], s[2:3]
	s_cselect_b32 s24, -1, 0
	s_cmp_lg_u32 s6, s0
	s_cselect_b32 s0, -1, 0
	s_add_i32 s3, s7, s26
	s_or_b32 s2, s0, s2
	s_add_i32 s3, s3, s16
	s_and_b32 vcc_lo, exec_lo, s2
	v_add_nc_u32_e32 v1, s3, v0
	s_mov_b32 s7, -1
	s_cbranch_vccz .LBB673_2
; %bb.1:
	v_add_nc_u32_e32 v2, 0x100, v1
	v_add_nc_u32_e32 v3, 0x200, v1
	;; [unrolled: 1-line block ×12, first 2 shown]
	ds_write2st64_b32 v42, v1, v2 offset1:4
	ds_write2st64_b32 v42, v3, v4 offset0:8 offset1:12
	ds_write2st64_b32 v42, v5, v6 offset0:16 offset1:20
	;; [unrolled: 1-line block ×5, first 2 shown]
	ds_write_b32 v42, v13 offset:12288
	s_waitcnt lgkmcnt(0)
	s_mov_b32 s7, 0
	s_barrier
.LBB673_2:
	v_cmp_gt_u32_e64 s0, s25, v0
	v_or_b32_e32 v41, 0x100, v0
	v_or_b32_e32 v40, 0x200, v0
	;; [unrolled: 1-line block ×12, first 2 shown]
	s_andn2_b32 vcc_lo, exec_lo, s7
	s_cbranch_vccnz .LBB673_4
; %bb.3:
	v_add_nc_u32_e32 v2, s3, v41
	v_cmp_gt_u32_e32 vcc_lo, s25, v41
	v_add_nc_u32_e32 v3, s3, v40
	v_add_nc_u32_e32 v4, s3, v39
	;; [unrolled: 1-line block ×4, first 2 shown]
	v_cndmask_b32_e32 v2, 0, v2, vcc_lo
	v_cmp_gt_u32_e32 vcc_lo, s25, v40
	v_add_nc_u32_e32 v7, s3, v36
	v_add_nc_u32_e32 v8, s3, v35
	;; [unrolled: 1-line block ×4, first 2 shown]
	v_cndmask_b32_e32 v3, 0, v3, vcc_lo
	v_cmp_gt_u32_e32 vcc_lo, s25, v39
	v_add_nc_u32_e32 v11, s3, v32
	v_add_nc_u32_e32 v12, s3, v31
	v_cndmask_b32_e64 v1, 0, v1, s0
	v_add_nc_u32_e32 v13, s3, v30
	v_cndmask_b32_e32 v4, 0, v4, vcc_lo
	v_cmp_gt_u32_e32 vcc_lo, s25, v38
	v_cndmask_b32_e32 v5, 0, v5, vcc_lo
	v_cmp_gt_u32_e32 vcc_lo, s25, v37
	;; [unrolled: 2-line block ×9, first 2 shown]
	v_cndmask_b32_e32 v13, 0, v13, vcc_lo
	ds_write2st64_b32 v42, v1, v2 offset1:4
	ds_write2st64_b32 v42, v3, v4 offset0:8 offset1:12
	ds_write2st64_b32 v42, v5, v6 offset0:16 offset1:20
	;; [unrolled: 1-line block ×5, first 2 shown]
	ds_write_b32 v42, v13 offset:12288
	s_waitcnt lgkmcnt(0)
	s_barrier
.LBB673_4:
	v_mul_u32_u24_e32 v45, 13, v0
	s_waitcnt lgkmcnt(0)
	buffer_gl0_inv
	v_cndmask_b32_e64 v43, 0, 1, s2
	s_andn2_b32 vcc_lo, exec_lo, s2
	v_lshlrev_b32_e32 v1, 2, v45
	ds_read2_b32 v[26:27], v1 offset0:2 offset1:3
	ds_read2_b32 v[22:23], v1 offset0:6 offset1:7
	;; [unrolled: 1-line block ×3, first 2 shown]
	ds_read2_b32 v[28:29], v1 offset1:1
	ds_read2_b32 v[18:19], v1 offset0:10 offset1:11
	ds_read_b32 v44, v1 offset:48
	ds_read2_b32 v[20:21], v1 offset0:8 offset1:9
	s_waitcnt lgkmcnt(0)
	s_barrier
	buffer_gl0_inv
	s_cbranch_vccnz .LBB673_6
; %bb.5:
	v_add_nc_u32_e32 v1, s9, v27
	v_add_nc_u32_e32 v4, s9, v26
	;; [unrolled: 1-line block ×6, first 2 shown]
	v_mul_lo_u32 v4, v4, s8
	v_mul_lo_u32 v1, v1, s8
	;; [unrolled: 1-line block ×4, first 2 shown]
	v_add_nc_u32_e32 v3, s9, v28
	v_add_nc_u32_e32 v7, s11, v28
	v_mul_lo_u32 v2, v2, s8
	v_mul_lo_u32 v6, v6, s10
	v_add_nc_u32_e32 v10, s11, v25
	v_mul_lo_u32 v3, v3, s8
	v_mul_lo_u32 v7, v7, s10
	v_sub_nc_u32_e32 v1, v1, v5
	v_sub_nc_u32_e32 v4, v4, v8
	v_add_nc_u32_e32 v5, s9, v23
	v_add_nc_u32_e32 v8, s11, v23
	v_sub_nc_u32_e32 v2, v2, v6
	v_add_nc_u32_e32 v6, s9, v25
	v_add_nc_u32_e32 v9, s9, v22
	v_mul_lo_u32 v5, v5, s8
	v_mul_lo_u32 v8, v8, s10
	v_sub_nc_u32_e32 v3, v3, v7
	v_add_nc_u32_e32 v7, s9, v24
	v_add_nc_u32_e32 v11, s11, v22
	v_mul_lo_u32 v6, v6, s8
	v_mul_lo_u32 v10, v10, s10
	v_add_nc_u32_e32 v12, s11, v24
	v_mul_lo_u32 v9, v9, s8
	v_mul_lo_u32 v7, v7, s8
	;; [unrolled: 1-line block ×3, first 2 shown]
	v_sub_nc_u32_e32 v5, v5, v8
	v_mul_lo_u32 v8, v12, s10
	v_cmp_lt_u32_e32 vcc_lo, s1, v1
	v_sub_nc_u32_e32 v6, v6, v10
	v_add_nc_u32_e32 v10, s9, v19
	v_add_nc_u32_e32 v14, s11, v19
	;; [unrolled: 1-line block ×3, first 2 shown]
	v_cndmask_b32_e64 v1, 0, 1, vcc_lo
	v_cmp_lt_u32_e32 vcc_lo, s1, v2
	v_sub_nc_u32_e32 v7, v7, v8
	v_sub_nc_u32_e32 v8, v9, v11
	v_add_nc_u32_e32 v11, s9, v21
	v_mul_lo_u32 v10, v10, s8
	v_mul_lo_u32 v14, v14, s10
	v_cndmask_b32_e64 v2, 0, 1, vcc_lo
	v_cmp_lt_u32_e32 vcc_lo, s1, v5
	v_mul_lo_u32 v11, v11, s8
	v_mul_lo_u32 v15, v15, s10
	v_mov_b32_e32 v9, 8
	v_lshlrev_b16 v2, 8, v2
	v_cndmask_b32_e64 v5, 0, 1, vcc_lo
	v_cmp_lt_u32_e32 vcc_lo, s1, v6
	v_sub_nc_u32_e32 v10, v10, v14
	v_add_nc_u32_e32 v12, s9, v20
	v_add_nc_u32_e32 v16, s11, v20
	v_sub_nc_u32_e32 v11, v11, v15
	v_cndmask_b32_e64 v6, 0, 1, vcc_lo
	v_cmp_lt_u32_e32 vcc_lo, s1, v10
	v_lshrrev_b32_sdwa v2, v9, v2 dst_sel:BYTE_1 dst_unused:UNUSED_PAD src0_sel:DWORD src1_sel:DWORD
	v_add_nc_u32_e32 v13, s9, v18
	v_add_nc_u32_e32 v17, s11, v18
	v_mul_lo_u32 v12, v12, s8
	v_cndmask_b32_e64 v10, 0, 1, vcc_lo
	v_cmp_lt_u32_e32 vcc_lo, s1, v11
	v_mul_lo_u32 v16, v16, s10
	v_mul_lo_u32 v13, v13, s8
	;; [unrolled: 1-line block ×3, first 2 shown]
	v_add_nc_u32_e32 v14, s9, v44
	v_cndmask_b32_e64 v11, 0, 1, vcc_lo
	v_cmp_lt_u32_e32 vcc_lo, s1, v3
	v_add_nc_u32_e32 v15, s11, v44
	v_lshlrev_b16 v1, 8, v1
	v_sub_nc_u32_e32 v12, v12, v16
	v_lshlrev_b16 v11, 8, v11
	v_cndmask_b32_e64 v3, 0, 1, vcc_lo
	v_cmp_lt_u32_e32 vcc_lo, s1, v4
	v_sub_nc_u32_e32 v13, v13, v17
	v_mul_lo_u32 v14, v14, s8
	v_mul_lo_u32 v15, v15, s10
	v_or_b32_e32 v2, v3, v2
	v_cndmask_b32_e64 v3, 0, 1, vcc_lo
	v_cmp_lt_u32_e32 vcc_lo, s1, v7
	v_lshlrev_b16 v6, 8, v6
	v_lshlrev_b16 v10, 8, v10
	v_lshlrev_b16 v5, 8, v5
	v_lshrrev_b32_sdwa v1, v9, v1 dst_sel:BYTE_1 dst_unused:UNUSED_PAD src0_sel:DWORD src1_sel:DWORD
	v_cndmask_b32_e64 v4, 0, 1, vcc_lo
	v_cmp_lt_u32_e32 vcc_lo, s1, v8
	v_lshrrev_b32_sdwa v8, v9, v11 dst_sel:BYTE_1 dst_unused:UNUSED_PAD src0_sel:DWORD src1_sel:DWORD
	v_lshrrev_b32_sdwa v6, v9, v6 dst_sel:BYTE_1 dst_unused:UNUSED_PAD src0_sel:DWORD src1_sel:DWORD
	v_sub_nc_u32_e32 v14, v14, v15
	v_lshrrev_b32_sdwa v9, v9, v10 dst_sel:BYTE_1 dst_unused:UNUSED_PAD src0_sel:DWORD src1_sel:DWORD
	v_cndmask_b32_e64 v7, 0, 1, vcc_lo
	v_cmp_lt_u32_e32 vcc_lo, s1, v12
	v_or_b32_sdwa v1, v3, v1 dst_sel:WORD_1 dst_unused:UNUSED_PAD src0_sel:DWORD src1_sel:DWORD
	v_or_b32_e32 v3, v4, v6
	v_or_b32_sdwa v4, v7, v5 dst_sel:WORD_1 dst_unused:UNUSED_PAD src0_sel:DWORD src1_sel:DWORD
	v_cndmask_b32_e64 v11, 0, 1, vcc_lo
	v_cmp_lt_u32_e32 vcc_lo, s1, v13
	v_or_b32_sdwa v50, v2, v1 dst_sel:DWORD dst_unused:UNUSED_PAD src0_sel:WORD_0 src1_sel:DWORD
	v_or_b32_sdwa v48, v3, v4 dst_sel:DWORD dst_unused:UNUSED_PAD src0_sel:WORD_0 src1_sel:DWORD
	v_or_b32_e32 v5, v11, v8
	v_cndmask_b32_e64 v10, 0, 1, vcc_lo
	v_cmp_lt_u32_e32 vcc_lo, s1, v14
	v_or_b32_sdwa v6, v10, v9 dst_sel:WORD_1 dst_unused:UNUSED_PAD src0_sel:DWORD src1_sel:DWORD
	v_cndmask_b32_e64 v46, 0, 1, vcc_lo
	v_or_b32_sdwa v47, v5, v6 dst_sel:DWORD dst_unused:UNUSED_PAD src0_sel:WORD_0 src1_sel:DWORD
	s_clause 0x1
	s_load_dwordx2 s[14:15], s[4:5], 0x28
	s_load_dwordx2 s[22:23], s[4:5], 0x68
	s_cbranch_execz .LBB673_7
	s_branch .LBB673_34
.LBB673_6:
                                        ; implicit-def: $vgpr46
                                        ; implicit-def: $vgpr47
                                        ; implicit-def: $vgpr48
                                        ; implicit-def: $vgpr50
	s_clause 0x1
	s_load_dwordx2 s[14:15], s[4:5], 0x28
	s_load_dwordx2 s[22:23], s[4:5], 0x68
.LBB673_7:
	v_mov_b32_e32 v2, 0
	v_mov_b32_e32 v1, 0
	s_mov_b32 s0, exec_lo
	v_cmpx_gt_u32_e64 s25, v45
	s_cbranch_execz .LBB673_9
; %bb.8:
	v_add_nc_u32_e32 v1, s9, v28
	v_add_nc_u32_e32 v3, s11, v28
	v_mul_lo_u32 v1, v1, s8
	v_mul_lo_u32 v3, v3, s10
	v_sub_nc_u32_e32 v1, v1, v3
	v_cmp_lt_u32_e32 vcc_lo, s1, v1
	v_cndmask_b32_e64 v1, 0, 1, vcc_lo
.LBB673_9:
	s_or_b32 exec_lo, exec_lo, s0
	v_add_nc_u32_e32 v3, 1, v45
	s_mov_b32 s0, exec_lo
	v_cmpx_gt_u32_e64 s25, v3
	s_cbranch_execz .LBB673_11
; %bb.10:
	v_add_nc_u32_e32 v2, s9, v29
	v_add_nc_u32_e32 v3, s11, v29
	v_mul_lo_u32 v2, v2, s8
	v_mul_lo_u32 v3, v3, s10
	v_sub_nc_u32_e32 v2, v2, v3
	v_cmp_lt_u32_e32 vcc_lo, s1, v2
	v_cndmask_b32_e64 v2, 0, 1, vcc_lo
.LBB673_11:
	s_or_b32 exec_lo, exec_lo, s0
	v_add_nc_u32_e32 v3, 2, v45
	v_mov_b32_e32 v4, 0
	v_cmp_gt_u32_e32 vcc_lo, s25, v3
	v_mov_b32_e32 v3, 0
	s_and_saveexec_b32 s0, vcc_lo
	s_cbranch_execz .LBB673_13
; %bb.12:
	v_add_nc_u32_e32 v3, s9, v26
	v_add_nc_u32_e32 v5, s11, v26
	v_mul_lo_u32 v3, v3, s8
	v_mul_lo_u32 v5, v5, s10
	v_sub_nc_u32_e32 v3, v3, v5
	v_cmp_lt_u32_e32 vcc_lo, s1, v3
	v_cndmask_b32_e64 v3, 0, 1, vcc_lo
.LBB673_13:
	s_or_b32 exec_lo, exec_lo, s0
	v_add_nc_u32_e32 v5, 3, v45
	s_mov_b32 s0, exec_lo
	v_cmpx_gt_u32_e64 s25, v5
	s_cbranch_execz .LBB673_15
; %bb.14:
	v_add_nc_u32_e32 v4, s9, v27
	v_add_nc_u32_e32 v5, s11, v27
	v_mul_lo_u32 v4, v4, s8
	v_mul_lo_u32 v5, v5, s10
	v_sub_nc_u32_e32 v4, v4, v5
	v_cmp_lt_u32_e32 vcc_lo, s1, v4
	v_cndmask_b32_e64 v4, 0, 1, vcc_lo
.LBB673_15:
	s_or_b32 exec_lo, exec_lo, s0
	v_add_nc_u32_e32 v5, 4, v45
	v_mov_b32_e32 v6, 0
	v_cmp_gt_u32_e32 vcc_lo, s25, v5
	v_mov_b32_e32 v5, 0
	s_and_saveexec_b32 s0, vcc_lo
	;; [unrolled: 30-line block ×5, first 2 shown]
	s_cbranch_execz .LBB673_29
; %bb.28:
	v_add_nc_u32_e32 v11, s9, v18
	v_add_nc_u32_e32 v13, s11, v18
	v_mul_lo_u32 v11, v11, s8
	v_mul_lo_u32 v13, v13, s10
	v_sub_nc_u32_e32 v11, v11, v13
	v_cmp_lt_u32_e32 vcc_lo, s1, v11
	v_cndmask_b32_e64 v11, 0, 1, vcc_lo
.LBB673_29:
	s_or_b32 exec_lo, exec_lo, s0
	v_add_nc_u32_e32 v13, 11, v45
	s_mov_b32 s0, exec_lo
	v_cmpx_gt_u32_e64 s25, v13
	s_cbranch_execz .LBB673_31
; %bb.30:
	v_add_nc_u32_e32 v12, s9, v19
	v_add_nc_u32_e32 v13, s11, v19
	v_mul_lo_u32 v12, v12, s8
	v_mul_lo_u32 v13, v13, s10
	v_sub_nc_u32_e32 v12, v12, v13
	v_cmp_lt_u32_e32 vcc_lo, s1, v12
	v_cndmask_b32_e64 v12, 0, 1, vcc_lo
.LBB673_31:
	s_or_b32 exec_lo, exec_lo, s0
	v_add_nc_u32_e32 v13, 12, v45
	v_mov_b32_e32 v46, 0
	s_mov_b32 s0, exec_lo
	v_cmpx_gt_u32_e64 s25, v13
	s_cbranch_execz .LBB673_33
; %bb.32:
	v_add_nc_u32_e32 v13, s9, v44
	v_add_nc_u32_e32 v14, s11, v44
	v_mul_lo_u32 v13, v13, s8
	v_mul_lo_u32 v14, v14, s10
	v_sub_nc_u32_e32 v13, v13, v14
	v_cmp_lt_u32_e32 vcc_lo, s1, v13
	v_cndmask_b32_e64 v46, 0, 1, vcc_lo
.LBB673_33:
	s_or_b32 exec_lo, exec_lo, s0
	v_lshlrev_b16 v2, 8, v2
	v_lshlrev_b16 v4, 8, v4
	;; [unrolled: 1-line block ×5, first 2 shown]
	v_or_b32_e32 v1, v1, v2
	v_lshlrev_b16 v2, 8, v12
	v_or_b32_sdwa v3, v3, v4 dst_sel:WORD_1 dst_unused:UNUSED_PAD src0_sel:DWORD src1_sel:DWORD
	v_or_b32_e32 v4, v5, v6
	v_or_b32_sdwa v5, v7, v8 dst_sel:WORD_1 dst_unused:UNUSED_PAD src0_sel:DWORD src1_sel:DWORD
	v_or_b32_e32 v6, v9, v10
	v_or_b32_sdwa v2, v11, v2 dst_sel:WORD_1 dst_unused:UNUSED_PAD src0_sel:DWORD src1_sel:DWORD
	v_or_b32_sdwa v50, v1, v3 dst_sel:DWORD dst_unused:UNUSED_PAD src0_sel:WORD_0 src1_sel:DWORD
	v_or_b32_sdwa v48, v4, v5 dst_sel:DWORD dst_unused:UNUSED_PAD src0_sel:WORD_0 src1_sel:DWORD
	;; [unrolled: 1-line block ×3, first 2 shown]
.LBB673_34:
	v_and_b32_e32 v53, 0xff, v50
	v_bfe_u32 v54, v50, 8, 8
	v_bfe_u32 v55, v50, 16, 8
	v_lshrrev_b32_e32 v52, 24, v50
	v_and_b32_e32 v56, 0xff, v48
	v_bfe_u32 v57, v48, 8, 8
	v_bfe_u32 v58, v48, 16, 8
	v_add3_u32 v1, v54, v53, v55
	v_lshrrev_b32_e32 v51, 24, v48
	v_and_b32_e32 v59, 0xff, v47
	v_bfe_u32 v60, v47, 8, 8
	v_mbcnt_lo_u32_b32 v62, -1, 0
	v_add3_u32 v1, v1, v52, v56
	v_bfe_u32 v61, v47, 16, 8
	v_lshrrev_b32_e32 v49, 24, v47
	v_and_b32_e32 v2, 0xff, v46
	v_and_b32_e32 v3, 15, v62
	v_add3_u32 v1, v1, v57, v58
	v_or_b32_e32 v4, 31, v0
	v_and_b32_e32 v5, 16, v62
	v_lshrrev_b32_e32 v63, 5, v0
	v_cmp_eq_u32_e64 s5, 0, v3
	v_add3_u32 v1, v1, v51, v59
	v_cmp_lt_u32_e64 s4, 1, v3
	v_cmp_lt_u32_e64 s3, 3, v3
	;; [unrolled: 1-line block ×3, first 2 shown]
	v_cmp_eq_u32_e64 s1, 0, v5
	v_add3_u32 v1, v1, v60, v61
	v_cmp_eq_u32_e64 s0, v0, v4
	s_cmp_lg_u32 s6, 0
	s_mov_b32 s7, -1
	v_add3_u32 v64, v1, v49, v2
	s_cbranch_scc0 .LBB673_56
; %bb.35:
	v_mov_b32_dpp v1, v64 row_shr:1 row_mask:0xf bank_mask:0xf
	v_cndmask_b32_e64 v1, v1, 0, s5
	v_add_nc_u32_e32 v1, v1, v64
	v_mov_b32_dpp v2, v1 row_shr:2 row_mask:0xf bank_mask:0xf
	v_cndmask_b32_e64 v2, 0, v2, s4
	v_add_nc_u32_e32 v1, v1, v2
	;; [unrolled: 3-line block ×4, first 2 shown]
	ds_swizzle_b32 v2, v1 offset:swizzle(BROADCAST,32,15)
	s_waitcnt lgkmcnt(0)
	v_cndmask_b32_e64 v2, v2, 0, s1
	v_add_nc_u32_e32 v1, v1, v2
	s_and_saveexec_b32 s7, s0
; %bb.36:
	v_lshlrev_b32_e32 v2, 2, v63
	ds_write_b32 v2, v1
; %bb.37:
	s_or_b32 exec_lo, exec_lo, s7
	s_mov_b32 s7, exec_lo
	s_waitcnt lgkmcnt(0)
	s_barrier
	buffer_gl0_inv
	v_cmpx_gt_u32_e32 8, v0
	s_cbranch_execz .LBB673_39
; %bb.38:
	ds_read_b32 v2, v42
	v_and_b32_e32 v3, 7, v62
	v_cmp_ne_u32_e32 vcc_lo, 0, v3
	s_waitcnt lgkmcnt(0)
	v_mov_b32_dpp v4, v2 row_shr:1 row_mask:0xf bank_mask:0xf
	v_cndmask_b32_e32 v4, 0, v4, vcc_lo
	v_cmp_lt_u32_e32 vcc_lo, 1, v3
	v_add_nc_u32_e32 v2, v4, v2
	v_mov_b32_dpp v4, v2 row_shr:2 row_mask:0xf bank_mask:0xf
	v_cndmask_b32_e32 v4, 0, v4, vcc_lo
	v_cmp_lt_u32_e32 vcc_lo, 3, v3
	v_add_nc_u32_e32 v2, v2, v4
	v_mov_b32_dpp v4, v2 row_shr:4 row_mask:0xf bank_mask:0xf
	v_cndmask_b32_e32 v3, 0, v4, vcc_lo
	v_add_nc_u32_e32 v2, v2, v3
	ds_write_b32 v42, v2
.LBB673_39:
	s_or_b32 exec_lo, exec_lo, s7
	s_mov_b32 s8, exec_lo
	v_cmp_gt_u32_e32 vcc_lo, 32, v0
	s_waitcnt lgkmcnt(0)
	s_barrier
	buffer_gl0_inv
                                        ; implicit-def: $vgpr10
	v_cmpx_lt_u32_e32 31, v0
	s_cbranch_execz .LBB673_41
; %bb.40:
	v_lshl_add_u32 v2, v63, 2, -4
	ds_read_b32 v10, v2
	s_waitcnt lgkmcnt(0)
	v_add_nc_u32_e32 v1, v10, v1
.LBB673_41:
	s_or_b32 exec_lo, exec_lo, s8
	v_sub_co_u32 v2, s7, v62, 1
	v_cmp_gt_i32_e64 s8, 0, v2
	v_cndmask_b32_e64 v2, v2, v62, s8
	v_lshlrev_b32_e32 v2, 2, v2
	ds_bpermute_b32 v11, v2, v1
	s_and_saveexec_b32 s8, vcc_lo
	s_cbranch_execz .LBB673_61
; %bb.42:
	v_mov_b32_e32 v7, 0
	ds_read_b32 v1, v7 offset:28
	s_and_saveexec_b32 s9, s7
	s_cbranch_execz .LBB673_44
; %bb.43:
	s_add_i32 s10, s6, 32
	s_mov_b32 s11, 0
	v_mov_b32_e32 v2, 1
	s_lshl_b64 s[10:11], s[10:11], 3
	s_add_u32 s10, s22, s10
	s_addc_u32 s11, s23, s11
	s_waitcnt lgkmcnt(0)
	global_store_dwordx2 v7, v[1:2], s[10:11]
.LBB673_44:
	s_or_b32 exec_lo, exec_lo, s9
	v_xad_u32 v3, v62, -1, s6
	s_mov_b32 s10, 0
	v_add_nc_u32_e32 v6, 32, v3
	v_lshlrev_b64 v[4:5], 3, v[6:7]
	v_add_co_u32 v8, vcc_lo, s22, v4
	v_add_co_ci_u32_e64 v9, null, s23, v5, vcc_lo
	global_load_dwordx2 v[5:6], v[8:9], off glc dlc
	s_waitcnt vmcnt(0)
	v_cmp_eq_u16_sdwa s11, v6, v7 src0_sel:BYTE_0 src1_sel:DWORD
	s_and_saveexec_b32 s9, s11
	s_cbranch_execz .LBB673_48
; %bb.45:
	v_mov_b32_e32 v2, 0
.LBB673_46:                             ; =>This Inner Loop Header: Depth=1
	global_load_dwordx2 v[5:6], v[8:9], off glc dlc
	s_waitcnt vmcnt(0)
	v_cmp_ne_u16_sdwa s11, v6, v2 src0_sel:BYTE_0 src1_sel:DWORD
	s_or_b32 s10, s11, s10
	s_andn2_b32 exec_lo, exec_lo, s10
	s_cbranch_execnz .LBB673_46
; %bb.47:
	s_or_b32 exec_lo, exec_lo, s10
.LBB673_48:
	s_or_b32 exec_lo, exec_lo, s9
	v_cmp_ne_u32_e32 vcc_lo, 31, v62
	v_mov_b32_e32 v12, 2
	v_lshlrev_b32_e64 v13, v62, -1
	v_add_nc_u32_e32 v15, 2, v62
	v_add_nc_u32_e32 v17, 4, v62
	v_add_co_ci_u32_e64 v2, null, 0, v62, vcc_lo
	v_cmp_eq_u16_sdwa s9, v6, v12 src0_sel:BYTE_0 src1_sel:DWORD
	v_cmp_gt_u32_e32 vcc_lo, 30, v62
	v_add_nc_u32_e32 v66, 8, v62
	v_lshlrev_b32_e32 v9, 2, v2
	v_lshl_or_b32 v67, v62, 2, 64
	v_and_or_b32 v4, s9, v13, 0x80000000
	v_cndmask_b32_e64 v7, 0, 2, vcc_lo
	v_add_nc_u32_e32 v68, 16, v62
	ds_bpermute_b32 v2, v9, v5
	v_ffbl_b32_e32 v4, v4
	v_add_lshl_u32 v14, v7, v62, 2
	v_cmp_lt_u32_e32 vcc_lo, v62, v4
	s_waitcnt lgkmcnt(0)
	v_cndmask_b32_e32 v2, 0, v2, vcc_lo
	v_cmp_gt_u32_e32 vcc_lo, 28, v62
	v_add_nc_u32_e32 v2, v2, v5
	v_cndmask_b32_e64 v7, 0, 4, vcc_lo
	v_cmp_le_u32_e32 vcc_lo, v15, v4
	ds_bpermute_b32 v5, v14, v2
	v_add_lshl_u32 v16, v7, v62, 2
	s_waitcnt lgkmcnt(0)
	v_cndmask_b32_e32 v5, 0, v5, vcc_lo
	v_cmp_gt_u32_e32 vcc_lo, 24, v62
	v_add_nc_u32_e32 v2, v2, v5
	v_cndmask_b32_e64 v7, 0, 8, vcc_lo
	v_cmp_le_u32_e32 vcc_lo, v17, v4
	ds_bpermute_b32 v5, v16, v2
	v_add_lshl_u32 v65, v7, v62, 2
	s_waitcnt lgkmcnt(0)
	v_cndmask_b32_e32 v5, 0, v5, vcc_lo
	v_cmp_le_u32_e32 vcc_lo, v66, v4
	v_add_nc_u32_e32 v2, v2, v5
	ds_bpermute_b32 v5, v65, v2
	s_waitcnt lgkmcnt(0)
	v_cndmask_b32_e32 v5, 0, v5, vcc_lo
	v_cmp_le_u32_e32 vcc_lo, v68, v4
	v_add_nc_u32_e32 v2, v2, v5
	ds_bpermute_b32 v5, v67, v2
	s_waitcnt lgkmcnt(0)
	v_cndmask_b32_e32 v4, 0, v5, vcc_lo
	v_add_nc_u32_e32 v5, v2, v4
	v_mov_b32_e32 v4, 0
	s_branch .LBB673_52
.LBB673_49:                             ;   in Loop: Header=BB673_52 Depth=1
	s_or_b32 exec_lo, exec_lo, s10
.LBB673_50:                             ;   in Loop: Header=BB673_52 Depth=1
	s_or_b32 exec_lo, exec_lo, s9
	ds_bpermute_b32 v7, v9, v5
	v_cmp_eq_u16_sdwa s9, v6, v12 src0_sel:BYTE_0 src1_sel:DWORD
	v_subrev_nc_u32_e32 v3, 32, v3
	v_and_or_b32 v8, s9, v13, 0x80000000
	s_mov_b32 s9, 0
	v_ffbl_b32_e32 v8, v8
	v_cmp_lt_u32_e32 vcc_lo, v62, v8
	s_waitcnt lgkmcnt(0)
	v_cndmask_b32_e32 v7, 0, v7, vcc_lo
	v_cmp_le_u32_e32 vcc_lo, v15, v8
	v_add_nc_u32_e32 v5, v7, v5
	ds_bpermute_b32 v7, v14, v5
	s_waitcnt lgkmcnt(0)
	v_cndmask_b32_e32 v7, 0, v7, vcc_lo
	v_cmp_le_u32_e32 vcc_lo, v17, v8
	v_add_nc_u32_e32 v5, v5, v7
	ds_bpermute_b32 v7, v16, v5
	;; [unrolled: 5-line block ×4, first 2 shown]
	s_waitcnt lgkmcnt(0)
	v_cndmask_b32_e32 v7, 0, v7, vcc_lo
	v_add3_u32 v5, v7, v2, v5
.LBB673_51:                             ;   in Loop: Header=BB673_52 Depth=1
	s_and_b32 vcc_lo, exec_lo, s9
	s_cbranch_vccnz .LBB673_57
.LBB673_52:                             ; =>This Loop Header: Depth=1
                                        ;     Child Loop BB673_55 Depth 2
	v_cmp_ne_u16_sdwa s9, v6, v12 src0_sel:BYTE_0 src1_sel:DWORD
	v_mov_b32_e32 v2, v5
                                        ; implicit-def: $vgpr5
                                        ; implicit-def: $vgpr6
	s_cmp_lg_u32 s9, exec_lo
	s_mov_b32 s9, -1
	s_cbranch_scc1 .LBB673_51
; %bb.53:                               ;   in Loop: Header=BB673_52 Depth=1
	v_lshlrev_b64 v[5:6], 3, v[3:4]
	v_add_co_u32 v7, vcc_lo, s22, v5
	v_add_co_ci_u32_e64 v8, null, s23, v6, vcc_lo
	global_load_dwordx2 v[5:6], v[7:8], off glc dlc
	s_waitcnt vmcnt(0)
	v_cmp_eq_u16_sdwa s10, v6, v4 src0_sel:BYTE_0 src1_sel:DWORD
	s_and_saveexec_b32 s9, s10
	s_cbranch_execz .LBB673_50
; %bb.54:                               ;   in Loop: Header=BB673_52 Depth=1
	s_mov_b32 s10, 0
.LBB673_55:                             ;   Parent Loop BB673_52 Depth=1
                                        ; =>  This Inner Loop Header: Depth=2
	global_load_dwordx2 v[5:6], v[7:8], off glc dlc
	s_waitcnt vmcnt(0)
	v_cmp_ne_u16_sdwa s11, v6, v4 src0_sel:BYTE_0 src1_sel:DWORD
	s_or_b32 s10, s11, s10
	s_andn2_b32 exec_lo, exec_lo, s10
	s_cbranch_execnz .LBB673_55
	s_branch .LBB673_49
.LBB673_56:
                                        ; implicit-def: $vgpr17
                                        ; implicit-def: $vgpr1_vgpr2_vgpr3_vgpr4_vgpr5_vgpr6_vgpr7_vgpr8_vgpr9_vgpr10_vgpr11_vgpr12_vgpr13_vgpr14_vgpr15_vgpr16
	s_and_b32 vcc_lo, exec_lo, s7
	s_cbranch_vccnz .LBB673_62
	s_branch .LBB673_71
.LBB673_57:
	s_and_saveexec_b32 s9, s7
	s_cbranch_execz .LBB673_59
; %bb.58:
	s_add_i32 s10, s6, 32
	s_mov_b32 s11, 0
	v_add_nc_u32_e32 v3, v2, v1
	v_mov_b32_e32 v4, 2
	s_lshl_b64 s[10:11], s[10:11], 3
	v_mov_b32_e32 v5, 0
	s_add_u32 s10, s22, s10
	s_addc_u32 s11, s23, s11
	global_store_dwordx2 v5, v[3:4], s[10:11]
	ds_write_b64 v5, v[1:2] offset:13312
.LBB673_59:
	s_or_b32 exec_lo, exec_lo, s9
	v_cmp_eq_u32_e32 vcc_lo, 0, v0
	s_and_b32 exec_lo, exec_lo, vcc_lo
; %bb.60:
	v_mov_b32_e32 v1, 0
	ds_write_b32 v1, v2 offset:28
.LBB673_61:
	s_or_b32 exec_lo, exec_lo, s8
	v_mov_b32_e32 v12, 0
	s_waitcnt lgkmcnt(0)
	s_waitcnt_vscnt null, 0x0
	s_barrier
	buffer_gl0_inv
	v_cndmask_b32_e64 v2, v11, v10, s7
	ds_read_b32 v1, v12 offset:28
	v_cmp_ne_u32_e32 vcc_lo, 0, v0
	s_waitcnt lgkmcnt(0)
	s_barrier
	buffer_gl0_inv
	ds_read_b64 v[16:17], v12 offset:13312
	v_cndmask_b32_e32 v2, 0, v2, vcc_lo
	v_add_nc_u32_e32 v1, v1, v2
	v_add_nc_u32_e32 v2, v1, v53
	;; [unrolled: 1-line block ×13, first 2 shown]
	s_branch .LBB673_71
.LBB673_62:
	v_mov_b32_dpp v1, v64 row_shr:1 row_mask:0xf bank_mask:0xf
	v_cndmask_b32_e64 v1, v1, 0, s5
	v_add_nc_u32_e32 v1, v1, v64
	v_mov_b32_dpp v2, v1 row_shr:2 row_mask:0xf bank_mask:0xf
	v_cndmask_b32_e64 v2, 0, v2, s4
	v_add_nc_u32_e32 v1, v1, v2
	v_mov_b32_dpp v2, v1 row_shr:4 row_mask:0xf bank_mask:0xf
	v_cndmask_b32_e64 v2, 0, v2, s3
	v_add_nc_u32_e32 v1, v1, v2
	v_mov_b32_dpp v2, v1 row_shr:8 row_mask:0xf bank_mask:0xf
	v_cndmask_b32_e64 v2, 0, v2, s2
	v_add_nc_u32_e32 v1, v1, v2
	ds_swizzle_b32 v2, v1 offset:swizzle(BROADCAST,32,15)
	s_waitcnt lgkmcnt(0)
	v_cndmask_b32_e64 v2, v2, 0, s1
	v_add_nc_u32_e32 v1, v1, v2
	s_and_saveexec_b32 s1, s0
; %bb.63:
	v_lshlrev_b32_e32 v2, 2, v63
	ds_write_b32 v2, v1
; %bb.64:
	s_or_b32 exec_lo, exec_lo, s1
	s_mov_b32 s0, exec_lo
	s_waitcnt lgkmcnt(0)
	s_barrier
	buffer_gl0_inv
	v_cmpx_gt_u32_e32 8, v0
	s_cbranch_execz .LBB673_66
; %bb.65:
	ds_read_b32 v2, v42
	v_and_b32_e32 v3, 7, v62
	v_cmp_ne_u32_e32 vcc_lo, 0, v3
	s_waitcnt lgkmcnt(0)
	v_mov_b32_dpp v4, v2 row_shr:1 row_mask:0xf bank_mask:0xf
	v_cndmask_b32_e32 v4, 0, v4, vcc_lo
	v_cmp_lt_u32_e32 vcc_lo, 1, v3
	v_add_nc_u32_e32 v2, v4, v2
	v_mov_b32_dpp v4, v2 row_shr:2 row_mask:0xf bank_mask:0xf
	v_cndmask_b32_e32 v4, 0, v4, vcc_lo
	v_cmp_lt_u32_e32 vcc_lo, 3, v3
	v_add_nc_u32_e32 v2, v2, v4
	v_mov_b32_dpp v4, v2 row_shr:4 row_mask:0xf bank_mask:0xf
	v_cndmask_b32_e32 v3, 0, v4, vcc_lo
	v_add_nc_u32_e32 v2, v2, v3
	ds_write_b32 v42, v2
.LBB673_66:
	s_or_b32 exec_lo, exec_lo, s0
	v_mov_b32_e32 v3, 0
	v_mov_b32_e32 v2, 0
	s_mov_b32 s0, exec_lo
	s_waitcnt lgkmcnt(0)
	s_barrier
	buffer_gl0_inv
	v_cmpx_lt_u32_e32 31, v0
; %bb.67:
	v_lshl_add_u32 v2, v63, 2, -4
	ds_read_b32 v2, v2
; %bb.68:
	s_or_b32 exec_lo, exec_lo, s0
	v_sub_co_u32 v4, vcc_lo, v62, 1
	s_waitcnt lgkmcnt(0)
	v_add_nc_u32_e32 v1, v2, v1
	ds_read_b32 v16, v3 offset:28
	v_cmp_gt_i32_e64 s0, 0, v4
	v_cndmask_b32_e64 v4, v4, v62, s0
	v_cmp_eq_u32_e64 s0, 0, v0
	v_lshlrev_b32_e32 v4, 2, v4
	ds_bpermute_b32 v1, v4, v1
	s_and_saveexec_b32 s1, s0
	s_cbranch_execz .LBB673_70
; %bb.69:
	v_mov_b32_e32 v3, 0
	v_mov_b32_e32 v17, 2
	s_waitcnt lgkmcnt(1)
	global_store_dwordx2 v3, v[16:17], s[22:23] offset:256
.LBB673_70:
	s_or_b32 exec_lo, exec_lo, s1
	s_waitcnt lgkmcnt(0)
	v_cndmask_b32_e32 v1, v1, v2, vcc_lo
	v_mov_b32_e32 v17, 0
	s_waitcnt_vscnt null, 0x0
	s_barrier
	buffer_gl0_inv
	v_cndmask_b32_e64 v1, v1, 0, s0
	v_add_nc_u32_e32 v2, v1, v53
	v_add_nc_u32_e32 v3, v2, v54
	;; [unrolled: 1-line block ×12, first 2 shown]
.LBB673_71:
	s_waitcnt lgkmcnt(0)
	v_add_nc_u32_e32 v45, v16, v45
	v_sub_nc_u32_e32 v1, v1, v17
	v_and_b32_e32 v54, 1, v50
	v_lshrrev_b32_e32 v53, 8, v50
	v_sub_nc_u32_e32 v2, v2, v17
	v_sub_nc_u32_e32 v3, v3, v17
	;; [unrolled: 1-line block ×3, first 2 shown]
	v_cmp_eq_u32_e32 vcc_lo, 1, v54
	v_and_b32_e32 v53, 1, v53
	v_mov_b32_e32 v56, 1
	v_sub_nc_u32_e32 v54, v45, v2
	v_sub_nc_u32_e32 v4, v4, v17
	v_cndmask_b32_e32 v1, v55, v1, vcc_lo
	v_sub_nc_u32_e32 v55, v45, v3
	v_and_b32_sdwa v50, v56, v50 dst_sel:DWORD dst_unused:UNUSED_PAD src0_sel:DWORD src1_sel:WORD_1
	v_add_nc_u32_e32 v54, 1, v54
	v_cmp_eq_u32_e32 vcc_lo, 1, v53
	v_lshlrev_b32_e32 v1, 2, v1
	v_and_b32_e32 v52, 1, v52
	v_sub_nc_u32_e32 v57, v45, v4
	v_add_nc_u32_e32 v55, 2, v55
	v_lshrrev_b32_e32 v15, 8, v48
	ds_write_b32 v1, v28
	v_cndmask_b32_e32 v1, v54, v2, vcc_lo
	v_cmp_eq_u32_e32 vcc_lo, 1, v50
	v_add_nc_u32_e32 v57, 3, v57
	v_lshrrev_b32_e32 v14, 8, v47
	v_lshlrev_b32_e32 v1, 2, v1
	v_cndmask_b32_e32 v2, v55, v3, vcc_lo
	v_cmp_eq_u32_e32 vcc_lo, 1, v52
	ds_write_b32 v1, v29
	v_lshlrev_b32_e32 v2, 2, v2
	v_cndmask_b32_e32 v3, v57, v4, vcc_lo
	v_sub_nc_u32_e32 v4, v5, v17
	v_sub_nc_u32_e32 v5, v6, v17
	v_lshlrev_b32_e32 v3, 2, v3
	v_sub_nc_u32_e32 v1, v45, v4
	v_sub_nc_u32_e32 v6, v45, v5
	ds_write_b32 v2, v26
	ds_write_b32 v3, v27
	v_and_b32_e32 v2, 1, v48
	v_add_nc_u32_e32 v1, 4, v1
	v_add_nc_u32_e32 v3, 5, v6
	v_sub_nc_u32_e32 v6, v7, v17
	v_and_b32_e32 v7, 1, v15
	v_cmp_eq_u32_e32 vcc_lo, 1, v2
	v_sub_nc_u32_e32 v2, v8, v17
	v_and_b32_e32 v8, 1, v51
	v_add_co_u32 v15, s0, s20, v17
	v_cndmask_b32_e32 v1, v1, v4, vcc_lo
	v_sub_nc_u32_e32 v4, v45, v6
	v_cmp_eq_u32_e32 vcc_lo, 1, v7
	v_and_b32_sdwa v7, v56, v48 dst_sel:DWORD dst_unused:UNUSED_PAD src0_sel:DWORD src1_sel:WORD_1
	v_lshlrev_b32_e32 v1, 2, v1
	v_add_nc_u32_e32 v4, 6, v4
	v_cndmask_b32_e32 v3, v3, v5, vcc_lo
	v_sub_nc_u32_e32 v5, v45, v2
	v_cmp_eq_u32_e32 vcc_lo, 1, v7
	v_sub_nc_u32_e32 v7, v13, v17
	v_lshlrev_b32_e32 v3, 2, v3
	v_add_nc_u32_e32 v5, 7, v5
	v_cndmask_b32_e32 v4, v4, v6, vcc_lo
	v_cmp_eq_u32_e32 vcc_lo, 1, v8
	v_sub_nc_u32_e32 v6, v9, v17
	ds_write_b32 v1, v24
	ds_write_b32 v3, v25
	v_lshlrev_b32_e32 v3, 2, v4
	v_cndmask_b32_e32 v2, v5, v2, vcc_lo
	v_sub_nc_u32_e32 v1, v45, v6
	v_and_b32_e32 v5, 1, v47
	v_sub_nc_u32_e32 v4, v10, v17
	v_and_b32_e32 v10, 1, v49
	v_lshlrev_b32_e32 v2, 2, v2
	v_add_nc_u32_e32 v1, 8, v1
	ds_write_b32 v3, v22
	ds_write_b32 v2, v23
	v_cmp_eq_u32_e32 vcc_lo, 1, v5
	v_sub_nc_u32_e32 v3, v11, v17
	v_sub_nc_u32_e32 v2, v45, v4
	;; [unrolled: 1-line block ×3, first 2 shown]
	v_and_b32_e32 v11, 1, v46
	v_cndmask_b32_e32 v1, v1, v6, vcc_lo
	v_and_b32_e32 v6, 1, v14
	v_sub_nc_u32_e32 v8, v45, v3
	v_add_nc_u32_e32 v2, 9, v2
	v_sub_nc_u32_e32 v9, v45, v5
	v_lshlrev_b32_e32 v1, 2, v1
	v_cmp_eq_u32_e32 vcc_lo, 1, v6
	v_add_nc_u32_e32 v6, 10, v8
	v_and_b32_sdwa v8, v56, v47 dst_sel:DWORD dst_unused:UNUSED_PAD src0_sel:DWORD src1_sel:WORD_1
	v_add_nc_u32_e32 v9, 11, v9
	v_add_co_ci_u32_e64 v17, null, s21, 0, s0
	v_cndmask_b32_e32 v2, v2, v4, vcc_lo
	v_cmp_eq_u32_e32 vcc_lo, 1, v8
	v_sub_nc_u32_e32 v4, v45, v7
	v_lshlrev_b32_e32 v2, 2, v2
	v_cndmask_b32_e32 v3, v6, v3, vcc_lo
	v_cmp_eq_u32_e32 vcc_lo, 1, v10
	v_add_nc_u32_e32 v4, 12, v4
	v_lshlrev_b32_e32 v3, 2, v3
	v_cndmask_b32_e32 v5, v9, v5, vcc_lo
	v_cmp_eq_u32_e32 vcc_lo, 1, v11
	v_lshlrev_b32_e32 v5, 2, v5
	v_cndmask_b32_e32 v4, v4, v7, vcc_lo
	v_cmp_ne_u32_e32 vcc_lo, 1, v43
	v_lshlrev_b32_e32 v4, 2, v4
	ds_write_b32 v1, v20
	ds_write_b32 v2, v21
	;; [unrolled: 1-line block ×5, first 2 shown]
	s_waitcnt lgkmcnt(0)
	s_barrier
	buffer_gl0_inv
	ds_read2st64_b32 v[11:12], v42 offset1:4
	ds_read2st64_b32 v[9:10], v42 offset0:8 offset1:12
	ds_read2st64_b32 v[7:8], v42 offset0:16 offset1:20
	;; [unrolled: 1-line block ×5, first 2 shown]
	ds_read_b32 v18, v42 offset:12288
	s_cbranch_vccnz .LBB673_125
; %bb.72:
	s_sub_u32 s0, s18, s26
	v_sub_co_u32 v13, vcc_lo, v15, s16
	s_subb_u32 s1, s19, 0
	v_add_co_u32 v19, s0, s0, v16
	v_subrev_co_ci_u32_e64 v14, null, s17, v17, vcc_lo
	v_add_co_ci_u32_e64 v20, null, s1, 0, s0
	v_add_co_u32 v19, vcc_lo, v19, v13
	s_mov_b32 s0, exec_lo
	v_add_co_ci_u32_e64 v20, null, v20, v14, vcc_lo
                                        ; implicit-def: $vgpr13_vgpr14
	v_cmpx_ge_u32_e64 v0, v16
	s_xor_b32 s0, exec_lo, s0
; %bb.73:
	v_not_b32_e32 v13, v0
	v_ashrrev_i32_e32 v14, 31, v13
	v_add_co_u32 v13, vcc_lo, v19, v13
	v_add_co_ci_u32_e64 v14, null, v20, v14, vcc_lo
; %bb.74:
	s_andn2_saveexec_b32 s0, s0
; %bb.75:
	v_add_co_u32 v13, vcc_lo, v15, v0
	v_add_co_ci_u32_e64 v14, null, 0, v17, vcc_lo
; %bb.76:
	s_or_b32 exec_lo, exec_lo, s0
	v_lshlrev_b64 v[13:14], 2, v[13:14]
	s_mov_b32 s0, exec_lo
	v_add_co_u32 v13, vcc_lo, s14, v13
	v_add_co_ci_u32_e64 v14, null, s15, v14, vcc_lo
	s_waitcnt lgkmcnt(6)
	global_store_dword v[13:14], v11, off
                                        ; implicit-def: $vgpr13_vgpr14
	v_cmpx_ge_u32_e64 v41, v16
	s_xor_b32 s0, exec_lo, s0
; %bb.77:
	v_xor_b32_e32 v13, 0xfffffeff, v0
	v_ashrrev_i32_e32 v14, 31, v13
	v_add_co_u32 v13, vcc_lo, v19, v13
	v_add_co_ci_u32_e64 v14, null, v20, v14, vcc_lo
; %bb.78:
	s_andn2_saveexec_b32 s0, s0
; %bb.79:
	v_add_co_u32 v13, vcc_lo, v15, v41
	v_add_co_ci_u32_e64 v14, null, 0, v17, vcc_lo
; %bb.80:
	s_or_b32 exec_lo, exec_lo, s0
	v_lshlrev_b64 v[13:14], 2, v[13:14]
	s_mov_b32 s0, exec_lo
	v_add_co_u32 v13, vcc_lo, s14, v13
	v_add_co_ci_u32_e64 v14, null, s15, v14, vcc_lo
	global_store_dword v[13:14], v12, off
                                        ; implicit-def: $vgpr13_vgpr14
	v_cmpx_ge_u32_e64 v40, v16
	s_xor_b32 s0, exec_lo, s0
; %bb.81:
	v_xor_b32_e32 v13, 0xfffffdff, v0
	v_ashrrev_i32_e32 v14, 31, v13
	v_add_co_u32 v13, vcc_lo, v19, v13
	v_add_co_ci_u32_e64 v14, null, v20, v14, vcc_lo
; %bb.82:
	s_andn2_saveexec_b32 s0, s0
; %bb.83:
	v_add_co_u32 v13, vcc_lo, v15, v40
	v_add_co_ci_u32_e64 v14, null, 0, v17, vcc_lo
; %bb.84:
	s_or_b32 exec_lo, exec_lo, s0
	v_lshlrev_b64 v[13:14], 2, v[13:14]
	s_mov_b32 s0, exec_lo
	v_add_co_u32 v13, vcc_lo, s14, v13
	v_add_co_ci_u32_e64 v14, null, s15, v14, vcc_lo
	s_waitcnt lgkmcnt(5)
	global_store_dword v[13:14], v9, off
                                        ; implicit-def: $vgpr13_vgpr14
	v_cmpx_ge_u32_e64 v39, v16
	s_xor_b32 s0, exec_lo, s0
; %bb.85:
	v_xor_b32_e32 v13, 0xfffffcff, v0
	v_ashrrev_i32_e32 v14, 31, v13
	v_add_co_u32 v13, vcc_lo, v19, v13
	v_add_co_ci_u32_e64 v14, null, v20, v14, vcc_lo
; %bb.86:
	s_andn2_saveexec_b32 s0, s0
; %bb.87:
	v_add_co_u32 v13, vcc_lo, v15, v39
	v_add_co_ci_u32_e64 v14, null, 0, v17, vcc_lo
; %bb.88:
	s_or_b32 exec_lo, exec_lo, s0
	v_lshlrev_b64 v[13:14], 2, v[13:14]
	s_mov_b32 s0, exec_lo
	v_add_co_u32 v13, vcc_lo, s14, v13
	v_add_co_ci_u32_e64 v14, null, s15, v14, vcc_lo
	global_store_dword v[13:14], v10, off
                                        ; implicit-def: $vgpr13_vgpr14
	v_cmpx_ge_u32_e64 v38, v16
	s_xor_b32 s0, exec_lo, s0
; %bb.89:
	v_xor_b32_e32 v13, 0xfffffbff, v0
	;; [unrolled: 41-line block ×6, first 2 shown]
	v_ashrrev_i32_e32 v14, 31, v13
	v_add_co_u32 v13, vcc_lo, v19, v13
	v_add_co_ci_u32_e64 v14, null, v20, v14, vcc_lo
; %bb.122:
	s_andn2_saveexec_b32 s0, s0
; %bb.123:
	v_add_co_u32 v13, vcc_lo, v15, v30
	v_add_co_ci_u32_e64 v14, null, 0, v17, vcc_lo
; %bb.124:
	s_or_b32 exec_lo, exec_lo, s0
	s_mov_b32 s0, -1
	s_branch .LBB673_205
.LBB673_125:
	s_mov_b32 s0, 0
                                        ; implicit-def: $vgpr13_vgpr14
	s_cbranch_execz .LBB673_205
; %bb.126:
	s_add_u32 s1, s16, s26
	s_addc_u32 s2, s17, 0
	s_sub_u32 s1, s18, s1
	s_subb_u32 s2, s19, s2
	v_add_co_u32 v13, s1, s1, v16
	v_add_co_ci_u32_e64 v14, null, s2, 0, s1
	s_mov_b32 s1, exec_lo
	v_add_co_u32 v19, vcc_lo, v13, v15
	v_add_co_ci_u32_e64 v20, null, v14, v17, vcc_lo
	v_cmpx_gt_u32_e64 s25, v0
	s_cbranch_execz .LBB673_162
; %bb.127:
	s_mov_b32 s2, exec_lo
                                        ; implicit-def: $vgpr13_vgpr14
	v_cmpx_ge_u32_e64 v0, v16
	s_xor_b32 s2, exec_lo, s2
; %bb.128:
	v_not_b32_e32 v13, v0
	v_ashrrev_i32_e32 v14, 31, v13
	v_add_co_u32 v13, vcc_lo, v19, v13
	v_add_co_ci_u32_e64 v14, null, v20, v14, vcc_lo
; %bb.129:
	s_andn2_saveexec_b32 s2, s2
; %bb.130:
	v_add_co_u32 v13, vcc_lo, v15, v0
	v_add_co_ci_u32_e64 v14, null, 0, v17, vcc_lo
; %bb.131:
	s_or_b32 exec_lo, exec_lo, s2
	v_lshlrev_b64 v[13:14], 2, v[13:14]
	v_add_co_u32 v13, vcc_lo, s14, v13
	v_add_co_ci_u32_e64 v14, null, s15, v14, vcc_lo
	s_waitcnt lgkmcnt(6)
	global_store_dword v[13:14], v11, off
	s_or_b32 exec_lo, exec_lo, s1
	s_mov_b32 s1, exec_lo
	v_cmpx_gt_u32_e64 s25, v41
	s_cbranch_execnz .LBB673_163
.LBB673_132:
	s_or_b32 exec_lo, exec_lo, s1
	s_mov_b32 s1, exec_lo
	v_cmpx_gt_u32_e64 s25, v40
	s_cbranch_execz .LBB673_168
.LBB673_133:
	s_mov_b32 s2, exec_lo
                                        ; implicit-def: $vgpr11_vgpr12
	v_cmpx_ge_u32_e64 v40, v16
	s_xor_b32 s2, exec_lo, s2
	s_cbranch_execz .LBB673_135
; %bb.134:
	s_waitcnt lgkmcnt(6)
	v_xor_b32_e32 v11, 0xfffffdff, v0
                                        ; implicit-def: $vgpr40
	v_ashrrev_i32_e32 v12, 31, v11
	v_add_co_u32 v11, vcc_lo, v19, v11
	v_add_co_ci_u32_e64 v12, null, v20, v12, vcc_lo
.LBB673_135:
	s_andn2_saveexec_b32 s2, s2
	s_cbranch_execz .LBB673_137
; %bb.136:
	s_waitcnt lgkmcnt(6)
	v_add_co_u32 v11, vcc_lo, v15, v40
	v_add_co_ci_u32_e64 v12, null, 0, v17, vcc_lo
.LBB673_137:
	s_or_b32 exec_lo, exec_lo, s2
	s_waitcnt lgkmcnt(6)
	v_lshlrev_b64 v[11:12], 2, v[11:12]
	v_add_co_u32 v11, vcc_lo, s14, v11
	v_add_co_ci_u32_e64 v12, null, s15, v12, vcc_lo
	s_waitcnt lgkmcnt(5)
	global_store_dword v[11:12], v9, off
	s_or_b32 exec_lo, exec_lo, s1
	s_mov_b32 s1, exec_lo
	v_cmpx_gt_u32_e64 s25, v39
	s_cbranch_execnz .LBB673_169
.LBB673_138:
	s_or_b32 exec_lo, exec_lo, s1
	s_mov_b32 s1, exec_lo
	v_cmpx_gt_u32_e64 s25, v38
	s_cbranch_execz .LBB673_174
.LBB673_139:
	s_mov_b32 s2, exec_lo
                                        ; implicit-def: $vgpr9_vgpr10
	v_cmpx_ge_u32_e64 v38, v16
	s_xor_b32 s2, exec_lo, s2
	s_cbranch_execz .LBB673_141
; %bb.140:
	s_waitcnt lgkmcnt(5)
	v_xor_b32_e32 v9, 0xfffffbff, v0
                                        ; implicit-def: $vgpr38
	v_ashrrev_i32_e32 v10, 31, v9
	v_add_co_u32 v9, vcc_lo, v19, v9
	v_add_co_ci_u32_e64 v10, null, v20, v10, vcc_lo
.LBB673_141:
	s_andn2_saveexec_b32 s2, s2
	s_cbranch_execz .LBB673_143
; %bb.142:
	s_waitcnt lgkmcnt(5)
	v_add_co_u32 v9, vcc_lo, v15, v38
	v_add_co_ci_u32_e64 v10, null, 0, v17, vcc_lo
.LBB673_143:
	s_or_b32 exec_lo, exec_lo, s2
	s_waitcnt lgkmcnt(5)
	v_lshlrev_b64 v[9:10], 2, v[9:10]
	v_add_co_u32 v9, vcc_lo, s14, v9
	v_add_co_ci_u32_e64 v10, null, s15, v10, vcc_lo
	s_waitcnt lgkmcnt(4)
	global_store_dword v[9:10], v7, off
	s_or_b32 exec_lo, exec_lo, s1
	s_mov_b32 s1, exec_lo
	v_cmpx_gt_u32_e64 s25, v37
	s_cbranch_execnz .LBB673_175
.LBB673_144:
	s_or_b32 exec_lo, exec_lo, s1
	s_mov_b32 s1, exec_lo
	v_cmpx_gt_u32_e64 s25, v36
	s_cbranch_execz .LBB673_180
.LBB673_145:
	s_mov_b32 s2, exec_lo
                                        ; implicit-def: $vgpr7_vgpr8
	v_cmpx_ge_u32_e64 v36, v16
	s_xor_b32 s2, exec_lo, s2
	s_cbranch_execz .LBB673_147
; %bb.146:
	s_waitcnt lgkmcnt(4)
	v_xor_b32_e32 v7, 0xfffff9ff, v0
                                        ; implicit-def: $vgpr36
	v_ashrrev_i32_e32 v8, 31, v7
	v_add_co_u32 v7, vcc_lo, v19, v7
	v_add_co_ci_u32_e64 v8, null, v20, v8, vcc_lo
.LBB673_147:
	s_andn2_saveexec_b32 s2, s2
	s_cbranch_execz .LBB673_149
; %bb.148:
	s_waitcnt lgkmcnt(4)
	v_add_co_u32 v7, vcc_lo, v15, v36
	v_add_co_ci_u32_e64 v8, null, 0, v17, vcc_lo
.LBB673_149:
	s_or_b32 exec_lo, exec_lo, s2
	s_waitcnt lgkmcnt(4)
	v_lshlrev_b64 v[7:8], 2, v[7:8]
	v_add_co_u32 v7, vcc_lo, s14, v7
	v_add_co_ci_u32_e64 v8, null, s15, v8, vcc_lo
	s_waitcnt lgkmcnt(3)
	global_store_dword v[7:8], v5, off
	s_or_b32 exec_lo, exec_lo, s1
	s_mov_b32 s1, exec_lo
	v_cmpx_gt_u32_e64 s25, v35
	s_cbranch_execnz .LBB673_181
.LBB673_150:
	s_or_b32 exec_lo, exec_lo, s1
	s_mov_b32 s1, exec_lo
	v_cmpx_gt_u32_e64 s25, v34
	s_cbranch_execz .LBB673_186
.LBB673_151:
	s_mov_b32 s2, exec_lo
                                        ; implicit-def: $vgpr5_vgpr6
	v_cmpx_ge_u32_e64 v34, v16
	s_xor_b32 s2, exec_lo, s2
	s_cbranch_execz .LBB673_153
; %bb.152:
	s_waitcnt lgkmcnt(3)
	v_xor_b32_e32 v5, 0xfffff7ff, v0
                                        ; implicit-def: $vgpr34
	v_ashrrev_i32_e32 v6, 31, v5
	v_add_co_u32 v5, vcc_lo, v19, v5
	v_add_co_ci_u32_e64 v6, null, v20, v6, vcc_lo
.LBB673_153:
	s_andn2_saveexec_b32 s2, s2
	s_cbranch_execz .LBB673_155
; %bb.154:
	s_waitcnt lgkmcnt(3)
	v_add_co_u32 v5, vcc_lo, v15, v34
	v_add_co_ci_u32_e64 v6, null, 0, v17, vcc_lo
.LBB673_155:
	s_or_b32 exec_lo, exec_lo, s2
	s_waitcnt lgkmcnt(3)
	v_lshlrev_b64 v[5:6], 2, v[5:6]
	v_add_co_u32 v5, vcc_lo, s14, v5
	v_add_co_ci_u32_e64 v6, null, s15, v6, vcc_lo
	s_waitcnt lgkmcnt(2)
	global_store_dword v[5:6], v3, off
	s_or_b32 exec_lo, exec_lo, s1
	s_mov_b32 s1, exec_lo
	v_cmpx_gt_u32_e64 s25, v33
	s_cbranch_execnz .LBB673_187
.LBB673_156:
	s_or_b32 exec_lo, exec_lo, s1
	s_mov_b32 s1, exec_lo
	v_cmpx_gt_u32_e64 s25, v32
	s_cbranch_execz .LBB673_192
.LBB673_157:
	s_mov_b32 s2, exec_lo
                                        ; implicit-def: $vgpr3_vgpr4
	v_cmpx_ge_u32_e64 v32, v16
	s_xor_b32 s2, exec_lo, s2
	s_cbranch_execz .LBB673_159
; %bb.158:
	s_waitcnt lgkmcnt(2)
	v_xor_b32_e32 v3, 0xfffff5ff, v0
                                        ; implicit-def: $vgpr32
	v_ashrrev_i32_e32 v4, 31, v3
	v_add_co_u32 v3, vcc_lo, v19, v3
	v_add_co_ci_u32_e64 v4, null, v20, v4, vcc_lo
.LBB673_159:
	s_andn2_saveexec_b32 s2, s2
	s_cbranch_execz .LBB673_161
; %bb.160:
	s_waitcnt lgkmcnt(2)
	v_add_co_u32 v3, vcc_lo, v15, v32
	v_add_co_ci_u32_e64 v4, null, 0, v17, vcc_lo
.LBB673_161:
	s_or_b32 exec_lo, exec_lo, s2
	s_waitcnt lgkmcnt(2)
	v_lshlrev_b64 v[3:4], 2, v[3:4]
	v_add_co_u32 v3, vcc_lo, s14, v3
	v_add_co_ci_u32_e64 v4, null, s15, v4, vcc_lo
	s_waitcnt lgkmcnt(1)
	global_store_dword v[3:4], v1, off
	s_or_b32 exec_lo, exec_lo, s1
	s_mov_b32 s1, exec_lo
	v_cmpx_gt_u32_e64 s25, v31
	s_cbranch_execz .LBB673_198
	s_branch .LBB673_193
.LBB673_162:
	s_or_b32 exec_lo, exec_lo, s1
	s_mov_b32 s1, exec_lo
	v_cmpx_gt_u32_e64 s25, v41
	s_cbranch_execz .LBB673_132
.LBB673_163:
	s_mov_b32 s2, exec_lo
                                        ; implicit-def: $vgpr13_vgpr14
	v_cmpx_ge_u32_e64 v41, v16
	s_xor_b32 s2, exec_lo, s2
	s_cbranch_execz .LBB673_165
; %bb.164:
	s_waitcnt lgkmcnt(6)
	v_xor_b32_e32 v11, 0xfffffeff, v0
                                        ; implicit-def: $vgpr41
	v_ashrrev_i32_e32 v14, 31, v11
	v_add_co_u32 v13, vcc_lo, v19, v11
	v_add_co_ci_u32_e64 v14, null, v20, v14, vcc_lo
.LBB673_165:
	s_andn2_saveexec_b32 s2, s2
; %bb.166:
	v_add_co_u32 v13, vcc_lo, v15, v41
	v_add_co_ci_u32_e64 v14, null, 0, v17, vcc_lo
; %bb.167:
	s_or_b32 exec_lo, exec_lo, s2
	v_lshlrev_b64 v[13:14], 2, v[13:14]
	v_add_co_u32 v13, vcc_lo, s14, v13
	v_add_co_ci_u32_e64 v14, null, s15, v14, vcc_lo
	s_waitcnt lgkmcnt(6)
	global_store_dword v[13:14], v12, off
	s_or_b32 exec_lo, exec_lo, s1
	s_mov_b32 s1, exec_lo
	v_cmpx_gt_u32_e64 s25, v40
	s_cbranch_execnz .LBB673_133
.LBB673_168:
	s_or_b32 exec_lo, exec_lo, s1
	s_mov_b32 s1, exec_lo
	v_cmpx_gt_u32_e64 s25, v39
	s_cbranch_execz .LBB673_138
.LBB673_169:
	s_mov_b32 s2, exec_lo
                                        ; implicit-def: $vgpr11_vgpr12
	v_cmpx_ge_u32_e64 v39, v16
	s_xor_b32 s2, exec_lo, s2
	s_cbranch_execz .LBB673_171
; %bb.170:
	s_waitcnt lgkmcnt(5)
	v_xor_b32_e32 v9, 0xfffffcff, v0
                                        ; implicit-def: $vgpr39
	v_ashrrev_i32_e32 v12, 31, v9
	v_add_co_u32 v11, vcc_lo, v19, v9
	v_add_co_ci_u32_e64 v12, null, v20, v12, vcc_lo
.LBB673_171:
	s_andn2_saveexec_b32 s2, s2
	s_cbranch_execz .LBB673_173
; %bb.172:
	s_waitcnt lgkmcnt(6)
	v_add_co_u32 v11, vcc_lo, v15, v39
	v_add_co_ci_u32_e64 v12, null, 0, v17, vcc_lo
.LBB673_173:
	s_or_b32 exec_lo, exec_lo, s2
	s_waitcnt lgkmcnt(6)
	v_lshlrev_b64 v[11:12], 2, v[11:12]
	v_add_co_u32 v11, vcc_lo, s14, v11
	v_add_co_ci_u32_e64 v12, null, s15, v12, vcc_lo
	s_waitcnt lgkmcnt(5)
	global_store_dword v[11:12], v10, off
	s_or_b32 exec_lo, exec_lo, s1
	s_mov_b32 s1, exec_lo
	v_cmpx_gt_u32_e64 s25, v38
	s_cbranch_execnz .LBB673_139
.LBB673_174:
	s_or_b32 exec_lo, exec_lo, s1
	s_mov_b32 s1, exec_lo
	v_cmpx_gt_u32_e64 s25, v37
	s_cbranch_execz .LBB673_144
.LBB673_175:
	s_mov_b32 s2, exec_lo
                                        ; implicit-def: $vgpr9_vgpr10
	v_cmpx_ge_u32_e64 v37, v16
	s_xor_b32 s2, exec_lo, s2
	s_cbranch_execz .LBB673_177
; %bb.176:
	s_waitcnt lgkmcnt(4)
	v_xor_b32_e32 v7, 0xfffffaff, v0
                                        ; implicit-def: $vgpr37
	v_ashrrev_i32_e32 v10, 31, v7
	v_add_co_u32 v9, vcc_lo, v19, v7
	v_add_co_ci_u32_e64 v10, null, v20, v10, vcc_lo
.LBB673_177:
	s_andn2_saveexec_b32 s2, s2
	s_cbranch_execz .LBB673_179
; %bb.178:
	s_waitcnt lgkmcnt(5)
	v_add_co_u32 v9, vcc_lo, v15, v37
	v_add_co_ci_u32_e64 v10, null, 0, v17, vcc_lo
.LBB673_179:
	s_or_b32 exec_lo, exec_lo, s2
	s_waitcnt lgkmcnt(5)
	v_lshlrev_b64 v[9:10], 2, v[9:10]
	v_add_co_u32 v9, vcc_lo, s14, v9
	v_add_co_ci_u32_e64 v10, null, s15, v10, vcc_lo
	s_waitcnt lgkmcnt(4)
	global_store_dword v[9:10], v8, off
	s_or_b32 exec_lo, exec_lo, s1
	s_mov_b32 s1, exec_lo
	v_cmpx_gt_u32_e64 s25, v36
	s_cbranch_execnz .LBB673_145
.LBB673_180:
	s_or_b32 exec_lo, exec_lo, s1
	s_mov_b32 s1, exec_lo
	v_cmpx_gt_u32_e64 s25, v35
	s_cbranch_execz .LBB673_150
.LBB673_181:
	s_mov_b32 s2, exec_lo
                                        ; implicit-def: $vgpr7_vgpr8
	v_cmpx_ge_u32_e64 v35, v16
	s_xor_b32 s2, exec_lo, s2
	s_cbranch_execz .LBB673_183
; %bb.182:
	s_waitcnt lgkmcnt(3)
	v_xor_b32_e32 v5, 0xfffff8ff, v0
                                        ; implicit-def: $vgpr35
	v_ashrrev_i32_e32 v8, 31, v5
	v_add_co_u32 v7, vcc_lo, v19, v5
	v_add_co_ci_u32_e64 v8, null, v20, v8, vcc_lo
.LBB673_183:
	s_andn2_saveexec_b32 s2, s2
	s_cbranch_execz .LBB673_185
; %bb.184:
	s_waitcnt lgkmcnt(4)
	v_add_co_u32 v7, vcc_lo, v15, v35
	v_add_co_ci_u32_e64 v8, null, 0, v17, vcc_lo
.LBB673_185:
	s_or_b32 exec_lo, exec_lo, s2
	s_waitcnt lgkmcnt(4)
	v_lshlrev_b64 v[7:8], 2, v[7:8]
	v_add_co_u32 v7, vcc_lo, s14, v7
	v_add_co_ci_u32_e64 v8, null, s15, v8, vcc_lo
	s_waitcnt lgkmcnt(3)
	global_store_dword v[7:8], v6, off
	s_or_b32 exec_lo, exec_lo, s1
	s_mov_b32 s1, exec_lo
	v_cmpx_gt_u32_e64 s25, v34
	s_cbranch_execnz .LBB673_151
.LBB673_186:
	s_or_b32 exec_lo, exec_lo, s1
	s_mov_b32 s1, exec_lo
	v_cmpx_gt_u32_e64 s25, v33
	s_cbranch_execz .LBB673_156
.LBB673_187:
	s_mov_b32 s2, exec_lo
                                        ; implicit-def: $vgpr5_vgpr6
	v_cmpx_ge_u32_e64 v33, v16
	s_xor_b32 s2, exec_lo, s2
	s_cbranch_execz .LBB673_189
; %bb.188:
	s_waitcnt lgkmcnt(2)
	v_xor_b32_e32 v3, 0xfffff6ff, v0
                                        ; implicit-def: $vgpr33
	v_ashrrev_i32_e32 v6, 31, v3
	v_add_co_u32 v5, vcc_lo, v19, v3
	v_add_co_ci_u32_e64 v6, null, v20, v6, vcc_lo
.LBB673_189:
	s_andn2_saveexec_b32 s2, s2
	s_cbranch_execz .LBB673_191
; %bb.190:
	s_waitcnt lgkmcnt(3)
	v_add_co_u32 v5, vcc_lo, v15, v33
	v_add_co_ci_u32_e64 v6, null, 0, v17, vcc_lo
.LBB673_191:
	s_or_b32 exec_lo, exec_lo, s2
	s_waitcnt lgkmcnt(3)
	v_lshlrev_b64 v[5:6], 2, v[5:6]
	v_add_co_u32 v5, vcc_lo, s14, v5
	v_add_co_ci_u32_e64 v6, null, s15, v6, vcc_lo
	s_waitcnt lgkmcnt(2)
	global_store_dword v[5:6], v4, off
	s_or_b32 exec_lo, exec_lo, s1
	s_mov_b32 s1, exec_lo
	v_cmpx_gt_u32_e64 s25, v32
	s_cbranch_execnz .LBB673_157
.LBB673_192:
	s_or_b32 exec_lo, exec_lo, s1
	s_mov_b32 s1, exec_lo
	v_cmpx_gt_u32_e64 s25, v31
	s_cbranch_execz .LBB673_198
.LBB673_193:
	s_mov_b32 s2, exec_lo
                                        ; implicit-def: $vgpr3_vgpr4
	v_cmpx_ge_u32_e64 v31, v16
	s_xor_b32 s2, exec_lo, s2
	s_cbranch_execz .LBB673_195
; %bb.194:
	s_waitcnt lgkmcnt(1)
	v_xor_b32_e32 v1, 0xfffff4ff, v0
                                        ; implicit-def: $vgpr31
	v_ashrrev_i32_e32 v4, 31, v1
	v_add_co_u32 v3, vcc_lo, v19, v1
	v_add_co_ci_u32_e64 v4, null, v20, v4, vcc_lo
.LBB673_195:
	s_andn2_saveexec_b32 s2, s2
	s_cbranch_execz .LBB673_197
; %bb.196:
	s_waitcnt lgkmcnt(2)
	v_add_co_u32 v3, vcc_lo, v15, v31
	v_add_co_ci_u32_e64 v4, null, 0, v17, vcc_lo
.LBB673_197:
	s_or_b32 exec_lo, exec_lo, s2
	s_waitcnt lgkmcnt(2)
	v_lshlrev_b64 v[3:4], 2, v[3:4]
	v_add_co_u32 v3, vcc_lo, s14, v3
	v_add_co_ci_u32_e64 v4, null, s15, v4, vcc_lo
	s_waitcnt lgkmcnt(1)
	global_store_dword v[3:4], v2, off
.LBB673_198:
	s_or_b32 exec_lo, exec_lo, s1
	s_mov_b32 s1, exec_lo
                                        ; implicit-def: $vgpr13_vgpr14
	v_cmpx_gt_u32_e64 s25, v30
	s_cbranch_execz .LBB673_204
; %bb.199:
	s_mov_b32 s2, exec_lo
                                        ; implicit-def: $vgpr13_vgpr14
	v_cmpx_ge_u32_e64 v30, v16
	s_xor_b32 s2, exec_lo, s2
	s_cbranch_execz .LBB673_201
; %bb.200:
	s_waitcnt lgkmcnt(1)
	v_xor_b32_e32 v1, 0xfffff3ff, v0
                                        ; implicit-def: $vgpr30
	v_ashrrev_i32_e32 v2, 31, v1
	v_add_co_u32 v13, vcc_lo, v19, v1
	v_add_co_ci_u32_e64 v14, null, v20, v2, vcc_lo
.LBB673_201:
	s_andn2_saveexec_b32 s2, s2
; %bb.202:
	v_add_co_u32 v13, vcc_lo, v15, v30
	v_add_co_ci_u32_e64 v14, null, 0, v17, vcc_lo
; %bb.203:
	s_or_b32 exec_lo, exec_lo, s2
	s_or_b32 s0, s0, exec_lo
.LBB673_204:
	s_or_b32 exec_lo, exec_lo, s1
.LBB673_205:
	s_and_saveexec_b32 s1, s0
	s_cbranch_execz .LBB673_207
; %bb.206:
	s_waitcnt lgkmcnt(1)
	v_lshlrev_b64 v[1:2], 2, v[13:14]
	v_add_co_u32 v1, vcc_lo, s14, v1
	v_add_co_ci_u32_e64 v2, null, s15, v2, vcc_lo
	s_waitcnt lgkmcnt(0)
	global_store_dword v[1:2], v18, off
.LBB673_207:
	s_or_b32 exec_lo, exec_lo, s1
	v_cmp_eq_u32_e32 vcc_lo, 0, v0
	s_and_b32 s0, vcc_lo, s24
	s_and_saveexec_b32 s1, s0
	s_cbranch_execz .LBB673_209
; %bb.208:
	v_add_co_u32 v0, vcc_lo, v15, v16
	s_waitcnt lgkmcnt(1)
	v_mov_b32_e32 v2, 0
	v_add_co_ci_u32_e64 v1, null, 0, v17, vcc_lo
	global_store_dwordx2 v2, v[0:1], s[12:13]
.LBB673_209:
	s_endpgm
	.section	.rodata,"a",@progbits
	.p2align	6, 0x0
	.amdhsa_kernel _ZN7rocprim17ROCPRIM_400000_NS6detail17trampoline_kernelINS0_13select_configILj256ELj13ELNS0_17block_load_methodE3ELS4_3ELS4_3ELNS0_20block_scan_algorithmE0ELj4294967295EEENS1_25partition_config_selectorILNS1_17partition_subalgoE3EjNS0_10empty_typeEbEEZZNS1_14partition_implILS8_3ELb0ES6_jNS0_17counting_iteratorIjlEEPS9_SE_NS0_5tupleIJPjSE_EEENSF_IJSE_SE_EEES9_SG_JZNS1_25segmented_radix_sort_implINS0_14default_configELb1EPKlPlSM_SN_N2at6native12_GLOBAL__N_18offset_tEEE10hipError_tPvRmT1_PNSt15iterator_traitsISV_E10value_typeET2_T3_PNSW_IS11_E10value_typeET4_jRbjT5_S17_jjP12ihipStream_tbEUljE_EEESS_ST_SU_S11_S15_S17_T6_T7_T9_mT8_S19_bDpT10_ENKUlT_T0_E_clISt17integral_constantIbLb0EES1M_EEDaS1H_S1I_EUlS1H_E_NS1_11comp_targetILNS1_3genE8ELNS1_11target_archE1030ELNS1_3gpuE2ELNS1_3repE0EEENS1_30default_config_static_selectorELNS0_4arch9wavefront6targetE0EEEvSV_
		.amdhsa_group_segment_fixed_size 13320
		.amdhsa_private_segment_fixed_size 0
		.amdhsa_kernarg_size 144
		.amdhsa_user_sgpr_count 6
		.amdhsa_user_sgpr_private_segment_buffer 1
		.amdhsa_user_sgpr_dispatch_ptr 0
		.amdhsa_user_sgpr_queue_ptr 0
		.amdhsa_user_sgpr_kernarg_segment_ptr 1
		.amdhsa_user_sgpr_dispatch_id 0
		.amdhsa_user_sgpr_flat_scratch_init 0
		.amdhsa_user_sgpr_private_segment_size 0
		.amdhsa_wavefront_size32 1
		.amdhsa_uses_dynamic_stack 0
		.amdhsa_system_sgpr_private_segment_wavefront_offset 0
		.amdhsa_system_sgpr_workgroup_id_x 1
		.amdhsa_system_sgpr_workgroup_id_y 0
		.amdhsa_system_sgpr_workgroup_id_z 0
		.amdhsa_system_sgpr_workgroup_info 0
		.amdhsa_system_vgpr_workitem_id 0
		.amdhsa_next_free_vgpr 69
		.amdhsa_next_free_sgpr 27
		.amdhsa_reserve_vcc 1
		.amdhsa_reserve_flat_scratch 0
		.amdhsa_float_round_mode_32 0
		.amdhsa_float_round_mode_16_64 0
		.amdhsa_float_denorm_mode_32 3
		.amdhsa_float_denorm_mode_16_64 3
		.amdhsa_dx10_clamp 1
		.amdhsa_ieee_mode 1
		.amdhsa_fp16_overflow 0
		.amdhsa_workgroup_processor_mode 1
		.amdhsa_memory_ordered 1
		.amdhsa_forward_progress 1
		.amdhsa_shared_vgpr_count 0
		.amdhsa_exception_fp_ieee_invalid_op 0
		.amdhsa_exception_fp_denorm_src 0
		.amdhsa_exception_fp_ieee_div_zero 0
		.amdhsa_exception_fp_ieee_overflow 0
		.amdhsa_exception_fp_ieee_underflow 0
		.amdhsa_exception_fp_ieee_inexact 0
		.amdhsa_exception_int_div_zero 0
	.end_amdhsa_kernel
	.section	.text._ZN7rocprim17ROCPRIM_400000_NS6detail17trampoline_kernelINS0_13select_configILj256ELj13ELNS0_17block_load_methodE3ELS4_3ELS4_3ELNS0_20block_scan_algorithmE0ELj4294967295EEENS1_25partition_config_selectorILNS1_17partition_subalgoE3EjNS0_10empty_typeEbEEZZNS1_14partition_implILS8_3ELb0ES6_jNS0_17counting_iteratorIjlEEPS9_SE_NS0_5tupleIJPjSE_EEENSF_IJSE_SE_EEES9_SG_JZNS1_25segmented_radix_sort_implINS0_14default_configELb1EPKlPlSM_SN_N2at6native12_GLOBAL__N_18offset_tEEE10hipError_tPvRmT1_PNSt15iterator_traitsISV_E10value_typeET2_T3_PNSW_IS11_E10value_typeET4_jRbjT5_S17_jjP12ihipStream_tbEUljE_EEESS_ST_SU_S11_S15_S17_T6_T7_T9_mT8_S19_bDpT10_ENKUlT_T0_E_clISt17integral_constantIbLb0EES1M_EEDaS1H_S1I_EUlS1H_E_NS1_11comp_targetILNS1_3genE8ELNS1_11target_archE1030ELNS1_3gpuE2ELNS1_3repE0EEENS1_30default_config_static_selectorELNS0_4arch9wavefront6targetE0EEEvSV_,"axG",@progbits,_ZN7rocprim17ROCPRIM_400000_NS6detail17trampoline_kernelINS0_13select_configILj256ELj13ELNS0_17block_load_methodE3ELS4_3ELS4_3ELNS0_20block_scan_algorithmE0ELj4294967295EEENS1_25partition_config_selectorILNS1_17partition_subalgoE3EjNS0_10empty_typeEbEEZZNS1_14partition_implILS8_3ELb0ES6_jNS0_17counting_iteratorIjlEEPS9_SE_NS0_5tupleIJPjSE_EEENSF_IJSE_SE_EEES9_SG_JZNS1_25segmented_radix_sort_implINS0_14default_configELb1EPKlPlSM_SN_N2at6native12_GLOBAL__N_18offset_tEEE10hipError_tPvRmT1_PNSt15iterator_traitsISV_E10value_typeET2_T3_PNSW_IS11_E10value_typeET4_jRbjT5_S17_jjP12ihipStream_tbEUljE_EEESS_ST_SU_S11_S15_S17_T6_T7_T9_mT8_S19_bDpT10_ENKUlT_T0_E_clISt17integral_constantIbLb0EES1M_EEDaS1H_S1I_EUlS1H_E_NS1_11comp_targetILNS1_3genE8ELNS1_11target_archE1030ELNS1_3gpuE2ELNS1_3repE0EEENS1_30default_config_static_selectorELNS0_4arch9wavefront6targetE0EEEvSV_,comdat
.Lfunc_end673:
	.size	_ZN7rocprim17ROCPRIM_400000_NS6detail17trampoline_kernelINS0_13select_configILj256ELj13ELNS0_17block_load_methodE3ELS4_3ELS4_3ELNS0_20block_scan_algorithmE0ELj4294967295EEENS1_25partition_config_selectorILNS1_17partition_subalgoE3EjNS0_10empty_typeEbEEZZNS1_14partition_implILS8_3ELb0ES6_jNS0_17counting_iteratorIjlEEPS9_SE_NS0_5tupleIJPjSE_EEENSF_IJSE_SE_EEES9_SG_JZNS1_25segmented_radix_sort_implINS0_14default_configELb1EPKlPlSM_SN_N2at6native12_GLOBAL__N_18offset_tEEE10hipError_tPvRmT1_PNSt15iterator_traitsISV_E10value_typeET2_T3_PNSW_IS11_E10value_typeET4_jRbjT5_S17_jjP12ihipStream_tbEUljE_EEESS_ST_SU_S11_S15_S17_T6_T7_T9_mT8_S19_bDpT10_ENKUlT_T0_E_clISt17integral_constantIbLb0EES1M_EEDaS1H_S1I_EUlS1H_E_NS1_11comp_targetILNS1_3genE8ELNS1_11target_archE1030ELNS1_3gpuE2ELNS1_3repE0EEENS1_30default_config_static_selectorELNS0_4arch9wavefront6targetE0EEEvSV_, .Lfunc_end673-_ZN7rocprim17ROCPRIM_400000_NS6detail17trampoline_kernelINS0_13select_configILj256ELj13ELNS0_17block_load_methodE3ELS4_3ELS4_3ELNS0_20block_scan_algorithmE0ELj4294967295EEENS1_25partition_config_selectorILNS1_17partition_subalgoE3EjNS0_10empty_typeEbEEZZNS1_14partition_implILS8_3ELb0ES6_jNS0_17counting_iteratorIjlEEPS9_SE_NS0_5tupleIJPjSE_EEENSF_IJSE_SE_EEES9_SG_JZNS1_25segmented_radix_sort_implINS0_14default_configELb1EPKlPlSM_SN_N2at6native12_GLOBAL__N_18offset_tEEE10hipError_tPvRmT1_PNSt15iterator_traitsISV_E10value_typeET2_T3_PNSW_IS11_E10value_typeET4_jRbjT5_S17_jjP12ihipStream_tbEUljE_EEESS_ST_SU_S11_S15_S17_T6_T7_T9_mT8_S19_bDpT10_ENKUlT_T0_E_clISt17integral_constantIbLb0EES1M_EEDaS1H_S1I_EUlS1H_E_NS1_11comp_targetILNS1_3genE8ELNS1_11target_archE1030ELNS1_3gpuE2ELNS1_3repE0EEENS1_30default_config_static_selectorELNS0_4arch9wavefront6targetE0EEEvSV_
                                        ; -- End function
	.set _ZN7rocprim17ROCPRIM_400000_NS6detail17trampoline_kernelINS0_13select_configILj256ELj13ELNS0_17block_load_methodE3ELS4_3ELS4_3ELNS0_20block_scan_algorithmE0ELj4294967295EEENS1_25partition_config_selectorILNS1_17partition_subalgoE3EjNS0_10empty_typeEbEEZZNS1_14partition_implILS8_3ELb0ES6_jNS0_17counting_iteratorIjlEEPS9_SE_NS0_5tupleIJPjSE_EEENSF_IJSE_SE_EEES9_SG_JZNS1_25segmented_radix_sort_implINS0_14default_configELb1EPKlPlSM_SN_N2at6native12_GLOBAL__N_18offset_tEEE10hipError_tPvRmT1_PNSt15iterator_traitsISV_E10value_typeET2_T3_PNSW_IS11_E10value_typeET4_jRbjT5_S17_jjP12ihipStream_tbEUljE_EEESS_ST_SU_S11_S15_S17_T6_T7_T9_mT8_S19_bDpT10_ENKUlT_T0_E_clISt17integral_constantIbLb0EES1M_EEDaS1H_S1I_EUlS1H_E_NS1_11comp_targetILNS1_3genE8ELNS1_11target_archE1030ELNS1_3gpuE2ELNS1_3repE0EEENS1_30default_config_static_selectorELNS0_4arch9wavefront6targetE0EEEvSV_.num_vgpr, 69
	.set _ZN7rocprim17ROCPRIM_400000_NS6detail17trampoline_kernelINS0_13select_configILj256ELj13ELNS0_17block_load_methodE3ELS4_3ELS4_3ELNS0_20block_scan_algorithmE0ELj4294967295EEENS1_25partition_config_selectorILNS1_17partition_subalgoE3EjNS0_10empty_typeEbEEZZNS1_14partition_implILS8_3ELb0ES6_jNS0_17counting_iteratorIjlEEPS9_SE_NS0_5tupleIJPjSE_EEENSF_IJSE_SE_EEES9_SG_JZNS1_25segmented_radix_sort_implINS0_14default_configELb1EPKlPlSM_SN_N2at6native12_GLOBAL__N_18offset_tEEE10hipError_tPvRmT1_PNSt15iterator_traitsISV_E10value_typeET2_T3_PNSW_IS11_E10value_typeET4_jRbjT5_S17_jjP12ihipStream_tbEUljE_EEESS_ST_SU_S11_S15_S17_T6_T7_T9_mT8_S19_bDpT10_ENKUlT_T0_E_clISt17integral_constantIbLb0EES1M_EEDaS1H_S1I_EUlS1H_E_NS1_11comp_targetILNS1_3genE8ELNS1_11target_archE1030ELNS1_3gpuE2ELNS1_3repE0EEENS1_30default_config_static_selectorELNS0_4arch9wavefront6targetE0EEEvSV_.num_agpr, 0
	.set _ZN7rocprim17ROCPRIM_400000_NS6detail17trampoline_kernelINS0_13select_configILj256ELj13ELNS0_17block_load_methodE3ELS4_3ELS4_3ELNS0_20block_scan_algorithmE0ELj4294967295EEENS1_25partition_config_selectorILNS1_17partition_subalgoE3EjNS0_10empty_typeEbEEZZNS1_14partition_implILS8_3ELb0ES6_jNS0_17counting_iteratorIjlEEPS9_SE_NS0_5tupleIJPjSE_EEENSF_IJSE_SE_EEES9_SG_JZNS1_25segmented_radix_sort_implINS0_14default_configELb1EPKlPlSM_SN_N2at6native12_GLOBAL__N_18offset_tEEE10hipError_tPvRmT1_PNSt15iterator_traitsISV_E10value_typeET2_T3_PNSW_IS11_E10value_typeET4_jRbjT5_S17_jjP12ihipStream_tbEUljE_EEESS_ST_SU_S11_S15_S17_T6_T7_T9_mT8_S19_bDpT10_ENKUlT_T0_E_clISt17integral_constantIbLb0EES1M_EEDaS1H_S1I_EUlS1H_E_NS1_11comp_targetILNS1_3genE8ELNS1_11target_archE1030ELNS1_3gpuE2ELNS1_3repE0EEENS1_30default_config_static_selectorELNS0_4arch9wavefront6targetE0EEEvSV_.numbered_sgpr, 27
	.set _ZN7rocprim17ROCPRIM_400000_NS6detail17trampoline_kernelINS0_13select_configILj256ELj13ELNS0_17block_load_methodE3ELS4_3ELS4_3ELNS0_20block_scan_algorithmE0ELj4294967295EEENS1_25partition_config_selectorILNS1_17partition_subalgoE3EjNS0_10empty_typeEbEEZZNS1_14partition_implILS8_3ELb0ES6_jNS0_17counting_iteratorIjlEEPS9_SE_NS0_5tupleIJPjSE_EEENSF_IJSE_SE_EEES9_SG_JZNS1_25segmented_radix_sort_implINS0_14default_configELb1EPKlPlSM_SN_N2at6native12_GLOBAL__N_18offset_tEEE10hipError_tPvRmT1_PNSt15iterator_traitsISV_E10value_typeET2_T3_PNSW_IS11_E10value_typeET4_jRbjT5_S17_jjP12ihipStream_tbEUljE_EEESS_ST_SU_S11_S15_S17_T6_T7_T9_mT8_S19_bDpT10_ENKUlT_T0_E_clISt17integral_constantIbLb0EES1M_EEDaS1H_S1I_EUlS1H_E_NS1_11comp_targetILNS1_3genE8ELNS1_11target_archE1030ELNS1_3gpuE2ELNS1_3repE0EEENS1_30default_config_static_selectorELNS0_4arch9wavefront6targetE0EEEvSV_.num_named_barrier, 0
	.set _ZN7rocprim17ROCPRIM_400000_NS6detail17trampoline_kernelINS0_13select_configILj256ELj13ELNS0_17block_load_methodE3ELS4_3ELS4_3ELNS0_20block_scan_algorithmE0ELj4294967295EEENS1_25partition_config_selectorILNS1_17partition_subalgoE3EjNS0_10empty_typeEbEEZZNS1_14partition_implILS8_3ELb0ES6_jNS0_17counting_iteratorIjlEEPS9_SE_NS0_5tupleIJPjSE_EEENSF_IJSE_SE_EEES9_SG_JZNS1_25segmented_radix_sort_implINS0_14default_configELb1EPKlPlSM_SN_N2at6native12_GLOBAL__N_18offset_tEEE10hipError_tPvRmT1_PNSt15iterator_traitsISV_E10value_typeET2_T3_PNSW_IS11_E10value_typeET4_jRbjT5_S17_jjP12ihipStream_tbEUljE_EEESS_ST_SU_S11_S15_S17_T6_T7_T9_mT8_S19_bDpT10_ENKUlT_T0_E_clISt17integral_constantIbLb0EES1M_EEDaS1H_S1I_EUlS1H_E_NS1_11comp_targetILNS1_3genE8ELNS1_11target_archE1030ELNS1_3gpuE2ELNS1_3repE0EEENS1_30default_config_static_selectorELNS0_4arch9wavefront6targetE0EEEvSV_.private_seg_size, 0
	.set _ZN7rocprim17ROCPRIM_400000_NS6detail17trampoline_kernelINS0_13select_configILj256ELj13ELNS0_17block_load_methodE3ELS4_3ELS4_3ELNS0_20block_scan_algorithmE0ELj4294967295EEENS1_25partition_config_selectorILNS1_17partition_subalgoE3EjNS0_10empty_typeEbEEZZNS1_14partition_implILS8_3ELb0ES6_jNS0_17counting_iteratorIjlEEPS9_SE_NS0_5tupleIJPjSE_EEENSF_IJSE_SE_EEES9_SG_JZNS1_25segmented_radix_sort_implINS0_14default_configELb1EPKlPlSM_SN_N2at6native12_GLOBAL__N_18offset_tEEE10hipError_tPvRmT1_PNSt15iterator_traitsISV_E10value_typeET2_T3_PNSW_IS11_E10value_typeET4_jRbjT5_S17_jjP12ihipStream_tbEUljE_EEESS_ST_SU_S11_S15_S17_T6_T7_T9_mT8_S19_bDpT10_ENKUlT_T0_E_clISt17integral_constantIbLb0EES1M_EEDaS1H_S1I_EUlS1H_E_NS1_11comp_targetILNS1_3genE8ELNS1_11target_archE1030ELNS1_3gpuE2ELNS1_3repE0EEENS1_30default_config_static_selectorELNS0_4arch9wavefront6targetE0EEEvSV_.uses_vcc, 1
	.set _ZN7rocprim17ROCPRIM_400000_NS6detail17trampoline_kernelINS0_13select_configILj256ELj13ELNS0_17block_load_methodE3ELS4_3ELS4_3ELNS0_20block_scan_algorithmE0ELj4294967295EEENS1_25partition_config_selectorILNS1_17partition_subalgoE3EjNS0_10empty_typeEbEEZZNS1_14partition_implILS8_3ELb0ES6_jNS0_17counting_iteratorIjlEEPS9_SE_NS0_5tupleIJPjSE_EEENSF_IJSE_SE_EEES9_SG_JZNS1_25segmented_radix_sort_implINS0_14default_configELb1EPKlPlSM_SN_N2at6native12_GLOBAL__N_18offset_tEEE10hipError_tPvRmT1_PNSt15iterator_traitsISV_E10value_typeET2_T3_PNSW_IS11_E10value_typeET4_jRbjT5_S17_jjP12ihipStream_tbEUljE_EEESS_ST_SU_S11_S15_S17_T6_T7_T9_mT8_S19_bDpT10_ENKUlT_T0_E_clISt17integral_constantIbLb0EES1M_EEDaS1H_S1I_EUlS1H_E_NS1_11comp_targetILNS1_3genE8ELNS1_11target_archE1030ELNS1_3gpuE2ELNS1_3repE0EEENS1_30default_config_static_selectorELNS0_4arch9wavefront6targetE0EEEvSV_.uses_flat_scratch, 0
	.set _ZN7rocprim17ROCPRIM_400000_NS6detail17trampoline_kernelINS0_13select_configILj256ELj13ELNS0_17block_load_methodE3ELS4_3ELS4_3ELNS0_20block_scan_algorithmE0ELj4294967295EEENS1_25partition_config_selectorILNS1_17partition_subalgoE3EjNS0_10empty_typeEbEEZZNS1_14partition_implILS8_3ELb0ES6_jNS0_17counting_iteratorIjlEEPS9_SE_NS0_5tupleIJPjSE_EEENSF_IJSE_SE_EEES9_SG_JZNS1_25segmented_radix_sort_implINS0_14default_configELb1EPKlPlSM_SN_N2at6native12_GLOBAL__N_18offset_tEEE10hipError_tPvRmT1_PNSt15iterator_traitsISV_E10value_typeET2_T3_PNSW_IS11_E10value_typeET4_jRbjT5_S17_jjP12ihipStream_tbEUljE_EEESS_ST_SU_S11_S15_S17_T6_T7_T9_mT8_S19_bDpT10_ENKUlT_T0_E_clISt17integral_constantIbLb0EES1M_EEDaS1H_S1I_EUlS1H_E_NS1_11comp_targetILNS1_3genE8ELNS1_11target_archE1030ELNS1_3gpuE2ELNS1_3repE0EEENS1_30default_config_static_selectorELNS0_4arch9wavefront6targetE0EEEvSV_.has_dyn_sized_stack, 0
	.set _ZN7rocprim17ROCPRIM_400000_NS6detail17trampoline_kernelINS0_13select_configILj256ELj13ELNS0_17block_load_methodE3ELS4_3ELS4_3ELNS0_20block_scan_algorithmE0ELj4294967295EEENS1_25partition_config_selectorILNS1_17partition_subalgoE3EjNS0_10empty_typeEbEEZZNS1_14partition_implILS8_3ELb0ES6_jNS0_17counting_iteratorIjlEEPS9_SE_NS0_5tupleIJPjSE_EEENSF_IJSE_SE_EEES9_SG_JZNS1_25segmented_radix_sort_implINS0_14default_configELb1EPKlPlSM_SN_N2at6native12_GLOBAL__N_18offset_tEEE10hipError_tPvRmT1_PNSt15iterator_traitsISV_E10value_typeET2_T3_PNSW_IS11_E10value_typeET4_jRbjT5_S17_jjP12ihipStream_tbEUljE_EEESS_ST_SU_S11_S15_S17_T6_T7_T9_mT8_S19_bDpT10_ENKUlT_T0_E_clISt17integral_constantIbLb0EES1M_EEDaS1H_S1I_EUlS1H_E_NS1_11comp_targetILNS1_3genE8ELNS1_11target_archE1030ELNS1_3gpuE2ELNS1_3repE0EEENS1_30default_config_static_selectorELNS0_4arch9wavefront6targetE0EEEvSV_.has_recursion, 0
	.set _ZN7rocprim17ROCPRIM_400000_NS6detail17trampoline_kernelINS0_13select_configILj256ELj13ELNS0_17block_load_methodE3ELS4_3ELS4_3ELNS0_20block_scan_algorithmE0ELj4294967295EEENS1_25partition_config_selectorILNS1_17partition_subalgoE3EjNS0_10empty_typeEbEEZZNS1_14partition_implILS8_3ELb0ES6_jNS0_17counting_iteratorIjlEEPS9_SE_NS0_5tupleIJPjSE_EEENSF_IJSE_SE_EEES9_SG_JZNS1_25segmented_radix_sort_implINS0_14default_configELb1EPKlPlSM_SN_N2at6native12_GLOBAL__N_18offset_tEEE10hipError_tPvRmT1_PNSt15iterator_traitsISV_E10value_typeET2_T3_PNSW_IS11_E10value_typeET4_jRbjT5_S17_jjP12ihipStream_tbEUljE_EEESS_ST_SU_S11_S15_S17_T6_T7_T9_mT8_S19_bDpT10_ENKUlT_T0_E_clISt17integral_constantIbLb0EES1M_EEDaS1H_S1I_EUlS1H_E_NS1_11comp_targetILNS1_3genE8ELNS1_11target_archE1030ELNS1_3gpuE2ELNS1_3repE0EEENS1_30default_config_static_selectorELNS0_4arch9wavefront6targetE0EEEvSV_.has_indirect_call, 0
	.section	.AMDGPU.csdata,"",@progbits
; Kernel info:
; codeLenInByte = 8564
; TotalNumSgprs: 29
; NumVgprs: 69
; ScratchSize: 0
; MemoryBound: 0
; FloatMode: 240
; IeeeMode: 1
; LDSByteSize: 13320 bytes/workgroup (compile time only)
; SGPRBlocks: 0
; VGPRBlocks: 8
; NumSGPRsForWavesPerEU: 29
; NumVGPRsForWavesPerEU: 69
; Occupancy: 12
; WaveLimiterHint : 0
; COMPUTE_PGM_RSRC2:SCRATCH_EN: 0
; COMPUTE_PGM_RSRC2:USER_SGPR: 6
; COMPUTE_PGM_RSRC2:TRAP_HANDLER: 0
; COMPUTE_PGM_RSRC2:TGID_X_EN: 1
; COMPUTE_PGM_RSRC2:TGID_Y_EN: 0
; COMPUTE_PGM_RSRC2:TGID_Z_EN: 0
; COMPUTE_PGM_RSRC2:TIDIG_COMP_CNT: 0
	.section	.text._ZN7rocprim17ROCPRIM_400000_NS6detail17trampoline_kernelINS0_13select_configILj256ELj13ELNS0_17block_load_methodE3ELS4_3ELS4_3ELNS0_20block_scan_algorithmE0ELj4294967295EEENS1_25partition_config_selectorILNS1_17partition_subalgoE3EjNS0_10empty_typeEbEEZZNS1_14partition_implILS8_3ELb0ES6_jNS0_17counting_iteratorIjlEEPS9_SE_NS0_5tupleIJPjSE_EEENSF_IJSE_SE_EEES9_SG_JZNS1_25segmented_radix_sort_implINS0_14default_configELb1EPKlPlSM_SN_N2at6native12_GLOBAL__N_18offset_tEEE10hipError_tPvRmT1_PNSt15iterator_traitsISV_E10value_typeET2_T3_PNSW_IS11_E10value_typeET4_jRbjT5_S17_jjP12ihipStream_tbEUljE_EEESS_ST_SU_S11_S15_S17_T6_T7_T9_mT8_S19_bDpT10_ENKUlT_T0_E_clISt17integral_constantIbLb1EES1M_EEDaS1H_S1I_EUlS1H_E_NS1_11comp_targetILNS1_3genE0ELNS1_11target_archE4294967295ELNS1_3gpuE0ELNS1_3repE0EEENS1_30default_config_static_selectorELNS0_4arch9wavefront6targetE0EEEvSV_,"axG",@progbits,_ZN7rocprim17ROCPRIM_400000_NS6detail17trampoline_kernelINS0_13select_configILj256ELj13ELNS0_17block_load_methodE3ELS4_3ELS4_3ELNS0_20block_scan_algorithmE0ELj4294967295EEENS1_25partition_config_selectorILNS1_17partition_subalgoE3EjNS0_10empty_typeEbEEZZNS1_14partition_implILS8_3ELb0ES6_jNS0_17counting_iteratorIjlEEPS9_SE_NS0_5tupleIJPjSE_EEENSF_IJSE_SE_EEES9_SG_JZNS1_25segmented_radix_sort_implINS0_14default_configELb1EPKlPlSM_SN_N2at6native12_GLOBAL__N_18offset_tEEE10hipError_tPvRmT1_PNSt15iterator_traitsISV_E10value_typeET2_T3_PNSW_IS11_E10value_typeET4_jRbjT5_S17_jjP12ihipStream_tbEUljE_EEESS_ST_SU_S11_S15_S17_T6_T7_T9_mT8_S19_bDpT10_ENKUlT_T0_E_clISt17integral_constantIbLb1EES1M_EEDaS1H_S1I_EUlS1H_E_NS1_11comp_targetILNS1_3genE0ELNS1_11target_archE4294967295ELNS1_3gpuE0ELNS1_3repE0EEENS1_30default_config_static_selectorELNS0_4arch9wavefront6targetE0EEEvSV_,comdat
	.globl	_ZN7rocprim17ROCPRIM_400000_NS6detail17trampoline_kernelINS0_13select_configILj256ELj13ELNS0_17block_load_methodE3ELS4_3ELS4_3ELNS0_20block_scan_algorithmE0ELj4294967295EEENS1_25partition_config_selectorILNS1_17partition_subalgoE3EjNS0_10empty_typeEbEEZZNS1_14partition_implILS8_3ELb0ES6_jNS0_17counting_iteratorIjlEEPS9_SE_NS0_5tupleIJPjSE_EEENSF_IJSE_SE_EEES9_SG_JZNS1_25segmented_radix_sort_implINS0_14default_configELb1EPKlPlSM_SN_N2at6native12_GLOBAL__N_18offset_tEEE10hipError_tPvRmT1_PNSt15iterator_traitsISV_E10value_typeET2_T3_PNSW_IS11_E10value_typeET4_jRbjT5_S17_jjP12ihipStream_tbEUljE_EEESS_ST_SU_S11_S15_S17_T6_T7_T9_mT8_S19_bDpT10_ENKUlT_T0_E_clISt17integral_constantIbLb1EES1M_EEDaS1H_S1I_EUlS1H_E_NS1_11comp_targetILNS1_3genE0ELNS1_11target_archE4294967295ELNS1_3gpuE0ELNS1_3repE0EEENS1_30default_config_static_selectorELNS0_4arch9wavefront6targetE0EEEvSV_ ; -- Begin function _ZN7rocprim17ROCPRIM_400000_NS6detail17trampoline_kernelINS0_13select_configILj256ELj13ELNS0_17block_load_methodE3ELS4_3ELS4_3ELNS0_20block_scan_algorithmE0ELj4294967295EEENS1_25partition_config_selectorILNS1_17partition_subalgoE3EjNS0_10empty_typeEbEEZZNS1_14partition_implILS8_3ELb0ES6_jNS0_17counting_iteratorIjlEEPS9_SE_NS0_5tupleIJPjSE_EEENSF_IJSE_SE_EEES9_SG_JZNS1_25segmented_radix_sort_implINS0_14default_configELb1EPKlPlSM_SN_N2at6native12_GLOBAL__N_18offset_tEEE10hipError_tPvRmT1_PNSt15iterator_traitsISV_E10value_typeET2_T3_PNSW_IS11_E10value_typeET4_jRbjT5_S17_jjP12ihipStream_tbEUljE_EEESS_ST_SU_S11_S15_S17_T6_T7_T9_mT8_S19_bDpT10_ENKUlT_T0_E_clISt17integral_constantIbLb1EES1M_EEDaS1H_S1I_EUlS1H_E_NS1_11comp_targetILNS1_3genE0ELNS1_11target_archE4294967295ELNS1_3gpuE0ELNS1_3repE0EEENS1_30default_config_static_selectorELNS0_4arch9wavefront6targetE0EEEvSV_
	.p2align	8
	.type	_ZN7rocprim17ROCPRIM_400000_NS6detail17trampoline_kernelINS0_13select_configILj256ELj13ELNS0_17block_load_methodE3ELS4_3ELS4_3ELNS0_20block_scan_algorithmE0ELj4294967295EEENS1_25partition_config_selectorILNS1_17partition_subalgoE3EjNS0_10empty_typeEbEEZZNS1_14partition_implILS8_3ELb0ES6_jNS0_17counting_iteratorIjlEEPS9_SE_NS0_5tupleIJPjSE_EEENSF_IJSE_SE_EEES9_SG_JZNS1_25segmented_radix_sort_implINS0_14default_configELb1EPKlPlSM_SN_N2at6native12_GLOBAL__N_18offset_tEEE10hipError_tPvRmT1_PNSt15iterator_traitsISV_E10value_typeET2_T3_PNSW_IS11_E10value_typeET4_jRbjT5_S17_jjP12ihipStream_tbEUljE_EEESS_ST_SU_S11_S15_S17_T6_T7_T9_mT8_S19_bDpT10_ENKUlT_T0_E_clISt17integral_constantIbLb1EES1M_EEDaS1H_S1I_EUlS1H_E_NS1_11comp_targetILNS1_3genE0ELNS1_11target_archE4294967295ELNS1_3gpuE0ELNS1_3repE0EEENS1_30default_config_static_selectorELNS0_4arch9wavefront6targetE0EEEvSV_,@function
_ZN7rocprim17ROCPRIM_400000_NS6detail17trampoline_kernelINS0_13select_configILj256ELj13ELNS0_17block_load_methodE3ELS4_3ELS4_3ELNS0_20block_scan_algorithmE0ELj4294967295EEENS1_25partition_config_selectorILNS1_17partition_subalgoE3EjNS0_10empty_typeEbEEZZNS1_14partition_implILS8_3ELb0ES6_jNS0_17counting_iteratorIjlEEPS9_SE_NS0_5tupleIJPjSE_EEENSF_IJSE_SE_EEES9_SG_JZNS1_25segmented_radix_sort_implINS0_14default_configELb1EPKlPlSM_SN_N2at6native12_GLOBAL__N_18offset_tEEE10hipError_tPvRmT1_PNSt15iterator_traitsISV_E10value_typeET2_T3_PNSW_IS11_E10value_typeET4_jRbjT5_S17_jjP12ihipStream_tbEUljE_EEESS_ST_SU_S11_S15_S17_T6_T7_T9_mT8_S19_bDpT10_ENKUlT_T0_E_clISt17integral_constantIbLb1EES1M_EEDaS1H_S1I_EUlS1H_E_NS1_11comp_targetILNS1_3genE0ELNS1_11target_archE4294967295ELNS1_3gpuE0ELNS1_3repE0EEENS1_30default_config_static_selectorELNS0_4arch9wavefront6targetE0EEEvSV_: ; @_ZN7rocprim17ROCPRIM_400000_NS6detail17trampoline_kernelINS0_13select_configILj256ELj13ELNS0_17block_load_methodE3ELS4_3ELS4_3ELNS0_20block_scan_algorithmE0ELj4294967295EEENS1_25partition_config_selectorILNS1_17partition_subalgoE3EjNS0_10empty_typeEbEEZZNS1_14partition_implILS8_3ELb0ES6_jNS0_17counting_iteratorIjlEEPS9_SE_NS0_5tupleIJPjSE_EEENSF_IJSE_SE_EEES9_SG_JZNS1_25segmented_radix_sort_implINS0_14default_configELb1EPKlPlSM_SN_N2at6native12_GLOBAL__N_18offset_tEEE10hipError_tPvRmT1_PNSt15iterator_traitsISV_E10value_typeET2_T3_PNSW_IS11_E10value_typeET4_jRbjT5_S17_jjP12ihipStream_tbEUljE_EEESS_ST_SU_S11_S15_S17_T6_T7_T9_mT8_S19_bDpT10_ENKUlT_T0_E_clISt17integral_constantIbLb1EES1M_EEDaS1H_S1I_EUlS1H_E_NS1_11comp_targetILNS1_3genE0ELNS1_11target_archE4294967295ELNS1_3gpuE0ELNS1_3repE0EEENS1_30default_config_static_selectorELNS0_4arch9wavefront6targetE0EEEvSV_
; %bb.0:
	.section	.rodata,"a",@progbits
	.p2align	6, 0x0
	.amdhsa_kernel _ZN7rocprim17ROCPRIM_400000_NS6detail17trampoline_kernelINS0_13select_configILj256ELj13ELNS0_17block_load_methodE3ELS4_3ELS4_3ELNS0_20block_scan_algorithmE0ELj4294967295EEENS1_25partition_config_selectorILNS1_17partition_subalgoE3EjNS0_10empty_typeEbEEZZNS1_14partition_implILS8_3ELb0ES6_jNS0_17counting_iteratorIjlEEPS9_SE_NS0_5tupleIJPjSE_EEENSF_IJSE_SE_EEES9_SG_JZNS1_25segmented_radix_sort_implINS0_14default_configELb1EPKlPlSM_SN_N2at6native12_GLOBAL__N_18offset_tEEE10hipError_tPvRmT1_PNSt15iterator_traitsISV_E10value_typeET2_T3_PNSW_IS11_E10value_typeET4_jRbjT5_S17_jjP12ihipStream_tbEUljE_EEESS_ST_SU_S11_S15_S17_T6_T7_T9_mT8_S19_bDpT10_ENKUlT_T0_E_clISt17integral_constantIbLb1EES1M_EEDaS1H_S1I_EUlS1H_E_NS1_11comp_targetILNS1_3genE0ELNS1_11target_archE4294967295ELNS1_3gpuE0ELNS1_3repE0EEENS1_30default_config_static_selectorELNS0_4arch9wavefront6targetE0EEEvSV_
		.amdhsa_group_segment_fixed_size 0
		.amdhsa_private_segment_fixed_size 0
		.amdhsa_kernarg_size 152
		.amdhsa_user_sgpr_count 6
		.amdhsa_user_sgpr_private_segment_buffer 1
		.amdhsa_user_sgpr_dispatch_ptr 0
		.amdhsa_user_sgpr_queue_ptr 0
		.amdhsa_user_sgpr_kernarg_segment_ptr 1
		.amdhsa_user_sgpr_dispatch_id 0
		.amdhsa_user_sgpr_flat_scratch_init 0
		.amdhsa_user_sgpr_private_segment_size 0
		.amdhsa_wavefront_size32 1
		.amdhsa_uses_dynamic_stack 0
		.amdhsa_system_sgpr_private_segment_wavefront_offset 0
		.amdhsa_system_sgpr_workgroup_id_x 1
		.amdhsa_system_sgpr_workgroup_id_y 0
		.amdhsa_system_sgpr_workgroup_id_z 0
		.amdhsa_system_sgpr_workgroup_info 0
		.amdhsa_system_vgpr_workitem_id 0
		.amdhsa_next_free_vgpr 1
		.amdhsa_next_free_sgpr 1
		.amdhsa_reserve_vcc 0
		.amdhsa_reserve_flat_scratch 0
		.amdhsa_float_round_mode_32 0
		.amdhsa_float_round_mode_16_64 0
		.amdhsa_float_denorm_mode_32 3
		.amdhsa_float_denorm_mode_16_64 3
		.amdhsa_dx10_clamp 1
		.amdhsa_ieee_mode 1
		.amdhsa_fp16_overflow 0
		.amdhsa_workgroup_processor_mode 1
		.amdhsa_memory_ordered 1
		.amdhsa_forward_progress 1
		.amdhsa_shared_vgpr_count 0
		.amdhsa_exception_fp_ieee_invalid_op 0
		.amdhsa_exception_fp_denorm_src 0
		.amdhsa_exception_fp_ieee_div_zero 0
		.amdhsa_exception_fp_ieee_overflow 0
		.amdhsa_exception_fp_ieee_underflow 0
		.amdhsa_exception_fp_ieee_inexact 0
		.amdhsa_exception_int_div_zero 0
	.end_amdhsa_kernel
	.section	.text._ZN7rocprim17ROCPRIM_400000_NS6detail17trampoline_kernelINS0_13select_configILj256ELj13ELNS0_17block_load_methodE3ELS4_3ELS4_3ELNS0_20block_scan_algorithmE0ELj4294967295EEENS1_25partition_config_selectorILNS1_17partition_subalgoE3EjNS0_10empty_typeEbEEZZNS1_14partition_implILS8_3ELb0ES6_jNS0_17counting_iteratorIjlEEPS9_SE_NS0_5tupleIJPjSE_EEENSF_IJSE_SE_EEES9_SG_JZNS1_25segmented_radix_sort_implINS0_14default_configELb1EPKlPlSM_SN_N2at6native12_GLOBAL__N_18offset_tEEE10hipError_tPvRmT1_PNSt15iterator_traitsISV_E10value_typeET2_T3_PNSW_IS11_E10value_typeET4_jRbjT5_S17_jjP12ihipStream_tbEUljE_EEESS_ST_SU_S11_S15_S17_T6_T7_T9_mT8_S19_bDpT10_ENKUlT_T0_E_clISt17integral_constantIbLb1EES1M_EEDaS1H_S1I_EUlS1H_E_NS1_11comp_targetILNS1_3genE0ELNS1_11target_archE4294967295ELNS1_3gpuE0ELNS1_3repE0EEENS1_30default_config_static_selectorELNS0_4arch9wavefront6targetE0EEEvSV_,"axG",@progbits,_ZN7rocprim17ROCPRIM_400000_NS6detail17trampoline_kernelINS0_13select_configILj256ELj13ELNS0_17block_load_methodE3ELS4_3ELS4_3ELNS0_20block_scan_algorithmE0ELj4294967295EEENS1_25partition_config_selectorILNS1_17partition_subalgoE3EjNS0_10empty_typeEbEEZZNS1_14partition_implILS8_3ELb0ES6_jNS0_17counting_iteratorIjlEEPS9_SE_NS0_5tupleIJPjSE_EEENSF_IJSE_SE_EEES9_SG_JZNS1_25segmented_radix_sort_implINS0_14default_configELb1EPKlPlSM_SN_N2at6native12_GLOBAL__N_18offset_tEEE10hipError_tPvRmT1_PNSt15iterator_traitsISV_E10value_typeET2_T3_PNSW_IS11_E10value_typeET4_jRbjT5_S17_jjP12ihipStream_tbEUljE_EEESS_ST_SU_S11_S15_S17_T6_T7_T9_mT8_S19_bDpT10_ENKUlT_T0_E_clISt17integral_constantIbLb1EES1M_EEDaS1H_S1I_EUlS1H_E_NS1_11comp_targetILNS1_3genE0ELNS1_11target_archE4294967295ELNS1_3gpuE0ELNS1_3repE0EEENS1_30default_config_static_selectorELNS0_4arch9wavefront6targetE0EEEvSV_,comdat
.Lfunc_end674:
	.size	_ZN7rocprim17ROCPRIM_400000_NS6detail17trampoline_kernelINS0_13select_configILj256ELj13ELNS0_17block_load_methodE3ELS4_3ELS4_3ELNS0_20block_scan_algorithmE0ELj4294967295EEENS1_25partition_config_selectorILNS1_17partition_subalgoE3EjNS0_10empty_typeEbEEZZNS1_14partition_implILS8_3ELb0ES6_jNS0_17counting_iteratorIjlEEPS9_SE_NS0_5tupleIJPjSE_EEENSF_IJSE_SE_EEES9_SG_JZNS1_25segmented_radix_sort_implINS0_14default_configELb1EPKlPlSM_SN_N2at6native12_GLOBAL__N_18offset_tEEE10hipError_tPvRmT1_PNSt15iterator_traitsISV_E10value_typeET2_T3_PNSW_IS11_E10value_typeET4_jRbjT5_S17_jjP12ihipStream_tbEUljE_EEESS_ST_SU_S11_S15_S17_T6_T7_T9_mT8_S19_bDpT10_ENKUlT_T0_E_clISt17integral_constantIbLb1EES1M_EEDaS1H_S1I_EUlS1H_E_NS1_11comp_targetILNS1_3genE0ELNS1_11target_archE4294967295ELNS1_3gpuE0ELNS1_3repE0EEENS1_30default_config_static_selectorELNS0_4arch9wavefront6targetE0EEEvSV_, .Lfunc_end674-_ZN7rocprim17ROCPRIM_400000_NS6detail17trampoline_kernelINS0_13select_configILj256ELj13ELNS0_17block_load_methodE3ELS4_3ELS4_3ELNS0_20block_scan_algorithmE0ELj4294967295EEENS1_25partition_config_selectorILNS1_17partition_subalgoE3EjNS0_10empty_typeEbEEZZNS1_14partition_implILS8_3ELb0ES6_jNS0_17counting_iteratorIjlEEPS9_SE_NS0_5tupleIJPjSE_EEENSF_IJSE_SE_EEES9_SG_JZNS1_25segmented_radix_sort_implINS0_14default_configELb1EPKlPlSM_SN_N2at6native12_GLOBAL__N_18offset_tEEE10hipError_tPvRmT1_PNSt15iterator_traitsISV_E10value_typeET2_T3_PNSW_IS11_E10value_typeET4_jRbjT5_S17_jjP12ihipStream_tbEUljE_EEESS_ST_SU_S11_S15_S17_T6_T7_T9_mT8_S19_bDpT10_ENKUlT_T0_E_clISt17integral_constantIbLb1EES1M_EEDaS1H_S1I_EUlS1H_E_NS1_11comp_targetILNS1_3genE0ELNS1_11target_archE4294967295ELNS1_3gpuE0ELNS1_3repE0EEENS1_30default_config_static_selectorELNS0_4arch9wavefront6targetE0EEEvSV_
                                        ; -- End function
	.set _ZN7rocprim17ROCPRIM_400000_NS6detail17trampoline_kernelINS0_13select_configILj256ELj13ELNS0_17block_load_methodE3ELS4_3ELS4_3ELNS0_20block_scan_algorithmE0ELj4294967295EEENS1_25partition_config_selectorILNS1_17partition_subalgoE3EjNS0_10empty_typeEbEEZZNS1_14partition_implILS8_3ELb0ES6_jNS0_17counting_iteratorIjlEEPS9_SE_NS0_5tupleIJPjSE_EEENSF_IJSE_SE_EEES9_SG_JZNS1_25segmented_radix_sort_implINS0_14default_configELb1EPKlPlSM_SN_N2at6native12_GLOBAL__N_18offset_tEEE10hipError_tPvRmT1_PNSt15iterator_traitsISV_E10value_typeET2_T3_PNSW_IS11_E10value_typeET4_jRbjT5_S17_jjP12ihipStream_tbEUljE_EEESS_ST_SU_S11_S15_S17_T6_T7_T9_mT8_S19_bDpT10_ENKUlT_T0_E_clISt17integral_constantIbLb1EES1M_EEDaS1H_S1I_EUlS1H_E_NS1_11comp_targetILNS1_3genE0ELNS1_11target_archE4294967295ELNS1_3gpuE0ELNS1_3repE0EEENS1_30default_config_static_selectorELNS0_4arch9wavefront6targetE0EEEvSV_.num_vgpr, 0
	.set _ZN7rocprim17ROCPRIM_400000_NS6detail17trampoline_kernelINS0_13select_configILj256ELj13ELNS0_17block_load_methodE3ELS4_3ELS4_3ELNS0_20block_scan_algorithmE0ELj4294967295EEENS1_25partition_config_selectorILNS1_17partition_subalgoE3EjNS0_10empty_typeEbEEZZNS1_14partition_implILS8_3ELb0ES6_jNS0_17counting_iteratorIjlEEPS9_SE_NS0_5tupleIJPjSE_EEENSF_IJSE_SE_EEES9_SG_JZNS1_25segmented_radix_sort_implINS0_14default_configELb1EPKlPlSM_SN_N2at6native12_GLOBAL__N_18offset_tEEE10hipError_tPvRmT1_PNSt15iterator_traitsISV_E10value_typeET2_T3_PNSW_IS11_E10value_typeET4_jRbjT5_S17_jjP12ihipStream_tbEUljE_EEESS_ST_SU_S11_S15_S17_T6_T7_T9_mT8_S19_bDpT10_ENKUlT_T0_E_clISt17integral_constantIbLb1EES1M_EEDaS1H_S1I_EUlS1H_E_NS1_11comp_targetILNS1_3genE0ELNS1_11target_archE4294967295ELNS1_3gpuE0ELNS1_3repE0EEENS1_30default_config_static_selectorELNS0_4arch9wavefront6targetE0EEEvSV_.num_agpr, 0
	.set _ZN7rocprim17ROCPRIM_400000_NS6detail17trampoline_kernelINS0_13select_configILj256ELj13ELNS0_17block_load_methodE3ELS4_3ELS4_3ELNS0_20block_scan_algorithmE0ELj4294967295EEENS1_25partition_config_selectorILNS1_17partition_subalgoE3EjNS0_10empty_typeEbEEZZNS1_14partition_implILS8_3ELb0ES6_jNS0_17counting_iteratorIjlEEPS9_SE_NS0_5tupleIJPjSE_EEENSF_IJSE_SE_EEES9_SG_JZNS1_25segmented_radix_sort_implINS0_14default_configELb1EPKlPlSM_SN_N2at6native12_GLOBAL__N_18offset_tEEE10hipError_tPvRmT1_PNSt15iterator_traitsISV_E10value_typeET2_T3_PNSW_IS11_E10value_typeET4_jRbjT5_S17_jjP12ihipStream_tbEUljE_EEESS_ST_SU_S11_S15_S17_T6_T7_T9_mT8_S19_bDpT10_ENKUlT_T0_E_clISt17integral_constantIbLb1EES1M_EEDaS1H_S1I_EUlS1H_E_NS1_11comp_targetILNS1_3genE0ELNS1_11target_archE4294967295ELNS1_3gpuE0ELNS1_3repE0EEENS1_30default_config_static_selectorELNS0_4arch9wavefront6targetE0EEEvSV_.numbered_sgpr, 0
	.set _ZN7rocprim17ROCPRIM_400000_NS6detail17trampoline_kernelINS0_13select_configILj256ELj13ELNS0_17block_load_methodE3ELS4_3ELS4_3ELNS0_20block_scan_algorithmE0ELj4294967295EEENS1_25partition_config_selectorILNS1_17partition_subalgoE3EjNS0_10empty_typeEbEEZZNS1_14partition_implILS8_3ELb0ES6_jNS0_17counting_iteratorIjlEEPS9_SE_NS0_5tupleIJPjSE_EEENSF_IJSE_SE_EEES9_SG_JZNS1_25segmented_radix_sort_implINS0_14default_configELb1EPKlPlSM_SN_N2at6native12_GLOBAL__N_18offset_tEEE10hipError_tPvRmT1_PNSt15iterator_traitsISV_E10value_typeET2_T3_PNSW_IS11_E10value_typeET4_jRbjT5_S17_jjP12ihipStream_tbEUljE_EEESS_ST_SU_S11_S15_S17_T6_T7_T9_mT8_S19_bDpT10_ENKUlT_T0_E_clISt17integral_constantIbLb1EES1M_EEDaS1H_S1I_EUlS1H_E_NS1_11comp_targetILNS1_3genE0ELNS1_11target_archE4294967295ELNS1_3gpuE0ELNS1_3repE0EEENS1_30default_config_static_selectorELNS0_4arch9wavefront6targetE0EEEvSV_.num_named_barrier, 0
	.set _ZN7rocprim17ROCPRIM_400000_NS6detail17trampoline_kernelINS0_13select_configILj256ELj13ELNS0_17block_load_methodE3ELS4_3ELS4_3ELNS0_20block_scan_algorithmE0ELj4294967295EEENS1_25partition_config_selectorILNS1_17partition_subalgoE3EjNS0_10empty_typeEbEEZZNS1_14partition_implILS8_3ELb0ES6_jNS0_17counting_iteratorIjlEEPS9_SE_NS0_5tupleIJPjSE_EEENSF_IJSE_SE_EEES9_SG_JZNS1_25segmented_radix_sort_implINS0_14default_configELb1EPKlPlSM_SN_N2at6native12_GLOBAL__N_18offset_tEEE10hipError_tPvRmT1_PNSt15iterator_traitsISV_E10value_typeET2_T3_PNSW_IS11_E10value_typeET4_jRbjT5_S17_jjP12ihipStream_tbEUljE_EEESS_ST_SU_S11_S15_S17_T6_T7_T9_mT8_S19_bDpT10_ENKUlT_T0_E_clISt17integral_constantIbLb1EES1M_EEDaS1H_S1I_EUlS1H_E_NS1_11comp_targetILNS1_3genE0ELNS1_11target_archE4294967295ELNS1_3gpuE0ELNS1_3repE0EEENS1_30default_config_static_selectorELNS0_4arch9wavefront6targetE0EEEvSV_.private_seg_size, 0
	.set _ZN7rocprim17ROCPRIM_400000_NS6detail17trampoline_kernelINS0_13select_configILj256ELj13ELNS0_17block_load_methodE3ELS4_3ELS4_3ELNS0_20block_scan_algorithmE0ELj4294967295EEENS1_25partition_config_selectorILNS1_17partition_subalgoE3EjNS0_10empty_typeEbEEZZNS1_14partition_implILS8_3ELb0ES6_jNS0_17counting_iteratorIjlEEPS9_SE_NS0_5tupleIJPjSE_EEENSF_IJSE_SE_EEES9_SG_JZNS1_25segmented_radix_sort_implINS0_14default_configELb1EPKlPlSM_SN_N2at6native12_GLOBAL__N_18offset_tEEE10hipError_tPvRmT1_PNSt15iterator_traitsISV_E10value_typeET2_T3_PNSW_IS11_E10value_typeET4_jRbjT5_S17_jjP12ihipStream_tbEUljE_EEESS_ST_SU_S11_S15_S17_T6_T7_T9_mT8_S19_bDpT10_ENKUlT_T0_E_clISt17integral_constantIbLb1EES1M_EEDaS1H_S1I_EUlS1H_E_NS1_11comp_targetILNS1_3genE0ELNS1_11target_archE4294967295ELNS1_3gpuE0ELNS1_3repE0EEENS1_30default_config_static_selectorELNS0_4arch9wavefront6targetE0EEEvSV_.uses_vcc, 0
	.set _ZN7rocprim17ROCPRIM_400000_NS6detail17trampoline_kernelINS0_13select_configILj256ELj13ELNS0_17block_load_methodE3ELS4_3ELS4_3ELNS0_20block_scan_algorithmE0ELj4294967295EEENS1_25partition_config_selectorILNS1_17partition_subalgoE3EjNS0_10empty_typeEbEEZZNS1_14partition_implILS8_3ELb0ES6_jNS0_17counting_iteratorIjlEEPS9_SE_NS0_5tupleIJPjSE_EEENSF_IJSE_SE_EEES9_SG_JZNS1_25segmented_radix_sort_implINS0_14default_configELb1EPKlPlSM_SN_N2at6native12_GLOBAL__N_18offset_tEEE10hipError_tPvRmT1_PNSt15iterator_traitsISV_E10value_typeET2_T3_PNSW_IS11_E10value_typeET4_jRbjT5_S17_jjP12ihipStream_tbEUljE_EEESS_ST_SU_S11_S15_S17_T6_T7_T9_mT8_S19_bDpT10_ENKUlT_T0_E_clISt17integral_constantIbLb1EES1M_EEDaS1H_S1I_EUlS1H_E_NS1_11comp_targetILNS1_3genE0ELNS1_11target_archE4294967295ELNS1_3gpuE0ELNS1_3repE0EEENS1_30default_config_static_selectorELNS0_4arch9wavefront6targetE0EEEvSV_.uses_flat_scratch, 0
	.set _ZN7rocprim17ROCPRIM_400000_NS6detail17trampoline_kernelINS0_13select_configILj256ELj13ELNS0_17block_load_methodE3ELS4_3ELS4_3ELNS0_20block_scan_algorithmE0ELj4294967295EEENS1_25partition_config_selectorILNS1_17partition_subalgoE3EjNS0_10empty_typeEbEEZZNS1_14partition_implILS8_3ELb0ES6_jNS0_17counting_iteratorIjlEEPS9_SE_NS0_5tupleIJPjSE_EEENSF_IJSE_SE_EEES9_SG_JZNS1_25segmented_radix_sort_implINS0_14default_configELb1EPKlPlSM_SN_N2at6native12_GLOBAL__N_18offset_tEEE10hipError_tPvRmT1_PNSt15iterator_traitsISV_E10value_typeET2_T3_PNSW_IS11_E10value_typeET4_jRbjT5_S17_jjP12ihipStream_tbEUljE_EEESS_ST_SU_S11_S15_S17_T6_T7_T9_mT8_S19_bDpT10_ENKUlT_T0_E_clISt17integral_constantIbLb1EES1M_EEDaS1H_S1I_EUlS1H_E_NS1_11comp_targetILNS1_3genE0ELNS1_11target_archE4294967295ELNS1_3gpuE0ELNS1_3repE0EEENS1_30default_config_static_selectorELNS0_4arch9wavefront6targetE0EEEvSV_.has_dyn_sized_stack, 0
	.set _ZN7rocprim17ROCPRIM_400000_NS6detail17trampoline_kernelINS0_13select_configILj256ELj13ELNS0_17block_load_methodE3ELS4_3ELS4_3ELNS0_20block_scan_algorithmE0ELj4294967295EEENS1_25partition_config_selectorILNS1_17partition_subalgoE3EjNS0_10empty_typeEbEEZZNS1_14partition_implILS8_3ELb0ES6_jNS0_17counting_iteratorIjlEEPS9_SE_NS0_5tupleIJPjSE_EEENSF_IJSE_SE_EEES9_SG_JZNS1_25segmented_radix_sort_implINS0_14default_configELb1EPKlPlSM_SN_N2at6native12_GLOBAL__N_18offset_tEEE10hipError_tPvRmT1_PNSt15iterator_traitsISV_E10value_typeET2_T3_PNSW_IS11_E10value_typeET4_jRbjT5_S17_jjP12ihipStream_tbEUljE_EEESS_ST_SU_S11_S15_S17_T6_T7_T9_mT8_S19_bDpT10_ENKUlT_T0_E_clISt17integral_constantIbLb1EES1M_EEDaS1H_S1I_EUlS1H_E_NS1_11comp_targetILNS1_3genE0ELNS1_11target_archE4294967295ELNS1_3gpuE0ELNS1_3repE0EEENS1_30default_config_static_selectorELNS0_4arch9wavefront6targetE0EEEvSV_.has_recursion, 0
	.set _ZN7rocprim17ROCPRIM_400000_NS6detail17trampoline_kernelINS0_13select_configILj256ELj13ELNS0_17block_load_methodE3ELS4_3ELS4_3ELNS0_20block_scan_algorithmE0ELj4294967295EEENS1_25partition_config_selectorILNS1_17partition_subalgoE3EjNS0_10empty_typeEbEEZZNS1_14partition_implILS8_3ELb0ES6_jNS0_17counting_iteratorIjlEEPS9_SE_NS0_5tupleIJPjSE_EEENSF_IJSE_SE_EEES9_SG_JZNS1_25segmented_radix_sort_implINS0_14default_configELb1EPKlPlSM_SN_N2at6native12_GLOBAL__N_18offset_tEEE10hipError_tPvRmT1_PNSt15iterator_traitsISV_E10value_typeET2_T3_PNSW_IS11_E10value_typeET4_jRbjT5_S17_jjP12ihipStream_tbEUljE_EEESS_ST_SU_S11_S15_S17_T6_T7_T9_mT8_S19_bDpT10_ENKUlT_T0_E_clISt17integral_constantIbLb1EES1M_EEDaS1H_S1I_EUlS1H_E_NS1_11comp_targetILNS1_3genE0ELNS1_11target_archE4294967295ELNS1_3gpuE0ELNS1_3repE0EEENS1_30default_config_static_selectorELNS0_4arch9wavefront6targetE0EEEvSV_.has_indirect_call, 0
	.section	.AMDGPU.csdata,"",@progbits
; Kernel info:
; codeLenInByte = 0
; TotalNumSgprs: 0
; NumVgprs: 0
; ScratchSize: 0
; MemoryBound: 0
; FloatMode: 240
; IeeeMode: 1
; LDSByteSize: 0 bytes/workgroup (compile time only)
; SGPRBlocks: 0
; VGPRBlocks: 0
; NumSGPRsForWavesPerEU: 1
; NumVGPRsForWavesPerEU: 1
; Occupancy: 16
; WaveLimiterHint : 0
; COMPUTE_PGM_RSRC2:SCRATCH_EN: 0
; COMPUTE_PGM_RSRC2:USER_SGPR: 6
; COMPUTE_PGM_RSRC2:TRAP_HANDLER: 0
; COMPUTE_PGM_RSRC2:TGID_X_EN: 1
; COMPUTE_PGM_RSRC2:TGID_Y_EN: 0
; COMPUTE_PGM_RSRC2:TGID_Z_EN: 0
; COMPUTE_PGM_RSRC2:TIDIG_COMP_CNT: 0
	.section	.text._ZN7rocprim17ROCPRIM_400000_NS6detail17trampoline_kernelINS0_13select_configILj256ELj13ELNS0_17block_load_methodE3ELS4_3ELS4_3ELNS0_20block_scan_algorithmE0ELj4294967295EEENS1_25partition_config_selectorILNS1_17partition_subalgoE3EjNS0_10empty_typeEbEEZZNS1_14partition_implILS8_3ELb0ES6_jNS0_17counting_iteratorIjlEEPS9_SE_NS0_5tupleIJPjSE_EEENSF_IJSE_SE_EEES9_SG_JZNS1_25segmented_radix_sort_implINS0_14default_configELb1EPKlPlSM_SN_N2at6native12_GLOBAL__N_18offset_tEEE10hipError_tPvRmT1_PNSt15iterator_traitsISV_E10value_typeET2_T3_PNSW_IS11_E10value_typeET4_jRbjT5_S17_jjP12ihipStream_tbEUljE_EEESS_ST_SU_S11_S15_S17_T6_T7_T9_mT8_S19_bDpT10_ENKUlT_T0_E_clISt17integral_constantIbLb1EES1M_EEDaS1H_S1I_EUlS1H_E_NS1_11comp_targetILNS1_3genE5ELNS1_11target_archE942ELNS1_3gpuE9ELNS1_3repE0EEENS1_30default_config_static_selectorELNS0_4arch9wavefront6targetE0EEEvSV_,"axG",@progbits,_ZN7rocprim17ROCPRIM_400000_NS6detail17trampoline_kernelINS0_13select_configILj256ELj13ELNS0_17block_load_methodE3ELS4_3ELS4_3ELNS0_20block_scan_algorithmE0ELj4294967295EEENS1_25partition_config_selectorILNS1_17partition_subalgoE3EjNS0_10empty_typeEbEEZZNS1_14partition_implILS8_3ELb0ES6_jNS0_17counting_iteratorIjlEEPS9_SE_NS0_5tupleIJPjSE_EEENSF_IJSE_SE_EEES9_SG_JZNS1_25segmented_radix_sort_implINS0_14default_configELb1EPKlPlSM_SN_N2at6native12_GLOBAL__N_18offset_tEEE10hipError_tPvRmT1_PNSt15iterator_traitsISV_E10value_typeET2_T3_PNSW_IS11_E10value_typeET4_jRbjT5_S17_jjP12ihipStream_tbEUljE_EEESS_ST_SU_S11_S15_S17_T6_T7_T9_mT8_S19_bDpT10_ENKUlT_T0_E_clISt17integral_constantIbLb1EES1M_EEDaS1H_S1I_EUlS1H_E_NS1_11comp_targetILNS1_3genE5ELNS1_11target_archE942ELNS1_3gpuE9ELNS1_3repE0EEENS1_30default_config_static_selectorELNS0_4arch9wavefront6targetE0EEEvSV_,comdat
	.globl	_ZN7rocprim17ROCPRIM_400000_NS6detail17trampoline_kernelINS0_13select_configILj256ELj13ELNS0_17block_load_methodE3ELS4_3ELS4_3ELNS0_20block_scan_algorithmE0ELj4294967295EEENS1_25partition_config_selectorILNS1_17partition_subalgoE3EjNS0_10empty_typeEbEEZZNS1_14partition_implILS8_3ELb0ES6_jNS0_17counting_iteratorIjlEEPS9_SE_NS0_5tupleIJPjSE_EEENSF_IJSE_SE_EEES9_SG_JZNS1_25segmented_radix_sort_implINS0_14default_configELb1EPKlPlSM_SN_N2at6native12_GLOBAL__N_18offset_tEEE10hipError_tPvRmT1_PNSt15iterator_traitsISV_E10value_typeET2_T3_PNSW_IS11_E10value_typeET4_jRbjT5_S17_jjP12ihipStream_tbEUljE_EEESS_ST_SU_S11_S15_S17_T6_T7_T9_mT8_S19_bDpT10_ENKUlT_T0_E_clISt17integral_constantIbLb1EES1M_EEDaS1H_S1I_EUlS1H_E_NS1_11comp_targetILNS1_3genE5ELNS1_11target_archE942ELNS1_3gpuE9ELNS1_3repE0EEENS1_30default_config_static_selectorELNS0_4arch9wavefront6targetE0EEEvSV_ ; -- Begin function _ZN7rocprim17ROCPRIM_400000_NS6detail17trampoline_kernelINS0_13select_configILj256ELj13ELNS0_17block_load_methodE3ELS4_3ELS4_3ELNS0_20block_scan_algorithmE0ELj4294967295EEENS1_25partition_config_selectorILNS1_17partition_subalgoE3EjNS0_10empty_typeEbEEZZNS1_14partition_implILS8_3ELb0ES6_jNS0_17counting_iteratorIjlEEPS9_SE_NS0_5tupleIJPjSE_EEENSF_IJSE_SE_EEES9_SG_JZNS1_25segmented_radix_sort_implINS0_14default_configELb1EPKlPlSM_SN_N2at6native12_GLOBAL__N_18offset_tEEE10hipError_tPvRmT1_PNSt15iterator_traitsISV_E10value_typeET2_T3_PNSW_IS11_E10value_typeET4_jRbjT5_S17_jjP12ihipStream_tbEUljE_EEESS_ST_SU_S11_S15_S17_T6_T7_T9_mT8_S19_bDpT10_ENKUlT_T0_E_clISt17integral_constantIbLb1EES1M_EEDaS1H_S1I_EUlS1H_E_NS1_11comp_targetILNS1_3genE5ELNS1_11target_archE942ELNS1_3gpuE9ELNS1_3repE0EEENS1_30default_config_static_selectorELNS0_4arch9wavefront6targetE0EEEvSV_
	.p2align	8
	.type	_ZN7rocprim17ROCPRIM_400000_NS6detail17trampoline_kernelINS0_13select_configILj256ELj13ELNS0_17block_load_methodE3ELS4_3ELS4_3ELNS0_20block_scan_algorithmE0ELj4294967295EEENS1_25partition_config_selectorILNS1_17partition_subalgoE3EjNS0_10empty_typeEbEEZZNS1_14partition_implILS8_3ELb0ES6_jNS0_17counting_iteratorIjlEEPS9_SE_NS0_5tupleIJPjSE_EEENSF_IJSE_SE_EEES9_SG_JZNS1_25segmented_radix_sort_implINS0_14default_configELb1EPKlPlSM_SN_N2at6native12_GLOBAL__N_18offset_tEEE10hipError_tPvRmT1_PNSt15iterator_traitsISV_E10value_typeET2_T3_PNSW_IS11_E10value_typeET4_jRbjT5_S17_jjP12ihipStream_tbEUljE_EEESS_ST_SU_S11_S15_S17_T6_T7_T9_mT8_S19_bDpT10_ENKUlT_T0_E_clISt17integral_constantIbLb1EES1M_EEDaS1H_S1I_EUlS1H_E_NS1_11comp_targetILNS1_3genE5ELNS1_11target_archE942ELNS1_3gpuE9ELNS1_3repE0EEENS1_30default_config_static_selectorELNS0_4arch9wavefront6targetE0EEEvSV_,@function
_ZN7rocprim17ROCPRIM_400000_NS6detail17trampoline_kernelINS0_13select_configILj256ELj13ELNS0_17block_load_methodE3ELS4_3ELS4_3ELNS0_20block_scan_algorithmE0ELj4294967295EEENS1_25partition_config_selectorILNS1_17partition_subalgoE3EjNS0_10empty_typeEbEEZZNS1_14partition_implILS8_3ELb0ES6_jNS0_17counting_iteratorIjlEEPS9_SE_NS0_5tupleIJPjSE_EEENSF_IJSE_SE_EEES9_SG_JZNS1_25segmented_radix_sort_implINS0_14default_configELb1EPKlPlSM_SN_N2at6native12_GLOBAL__N_18offset_tEEE10hipError_tPvRmT1_PNSt15iterator_traitsISV_E10value_typeET2_T3_PNSW_IS11_E10value_typeET4_jRbjT5_S17_jjP12ihipStream_tbEUljE_EEESS_ST_SU_S11_S15_S17_T6_T7_T9_mT8_S19_bDpT10_ENKUlT_T0_E_clISt17integral_constantIbLb1EES1M_EEDaS1H_S1I_EUlS1H_E_NS1_11comp_targetILNS1_3genE5ELNS1_11target_archE942ELNS1_3gpuE9ELNS1_3repE0EEENS1_30default_config_static_selectorELNS0_4arch9wavefront6targetE0EEEvSV_: ; @_ZN7rocprim17ROCPRIM_400000_NS6detail17trampoline_kernelINS0_13select_configILj256ELj13ELNS0_17block_load_methodE3ELS4_3ELS4_3ELNS0_20block_scan_algorithmE0ELj4294967295EEENS1_25partition_config_selectorILNS1_17partition_subalgoE3EjNS0_10empty_typeEbEEZZNS1_14partition_implILS8_3ELb0ES6_jNS0_17counting_iteratorIjlEEPS9_SE_NS0_5tupleIJPjSE_EEENSF_IJSE_SE_EEES9_SG_JZNS1_25segmented_radix_sort_implINS0_14default_configELb1EPKlPlSM_SN_N2at6native12_GLOBAL__N_18offset_tEEE10hipError_tPvRmT1_PNSt15iterator_traitsISV_E10value_typeET2_T3_PNSW_IS11_E10value_typeET4_jRbjT5_S17_jjP12ihipStream_tbEUljE_EEESS_ST_SU_S11_S15_S17_T6_T7_T9_mT8_S19_bDpT10_ENKUlT_T0_E_clISt17integral_constantIbLb1EES1M_EEDaS1H_S1I_EUlS1H_E_NS1_11comp_targetILNS1_3genE5ELNS1_11target_archE942ELNS1_3gpuE9ELNS1_3repE0EEENS1_30default_config_static_selectorELNS0_4arch9wavefront6targetE0EEEvSV_
; %bb.0:
	.section	.rodata,"a",@progbits
	.p2align	6, 0x0
	.amdhsa_kernel _ZN7rocprim17ROCPRIM_400000_NS6detail17trampoline_kernelINS0_13select_configILj256ELj13ELNS0_17block_load_methodE3ELS4_3ELS4_3ELNS0_20block_scan_algorithmE0ELj4294967295EEENS1_25partition_config_selectorILNS1_17partition_subalgoE3EjNS0_10empty_typeEbEEZZNS1_14partition_implILS8_3ELb0ES6_jNS0_17counting_iteratorIjlEEPS9_SE_NS0_5tupleIJPjSE_EEENSF_IJSE_SE_EEES9_SG_JZNS1_25segmented_radix_sort_implINS0_14default_configELb1EPKlPlSM_SN_N2at6native12_GLOBAL__N_18offset_tEEE10hipError_tPvRmT1_PNSt15iterator_traitsISV_E10value_typeET2_T3_PNSW_IS11_E10value_typeET4_jRbjT5_S17_jjP12ihipStream_tbEUljE_EEESS_ST_SU_S11_S15_S17_T6_T7_T9_mT8_S19_bDpT10_ENKUlT_T0_E_clISt17integral_constantIbLb1EES1M_EEDaS1H_S1I_EUlS1H_E_NS1_11comp_targetILNS1_3genE5ELNS1_11target_archE942ELNS1_3gpuE9ELNS1_3repE0EEENS1_30default_config_static_selectorELNS0_4arch9wavefront6targetE0EEEvSV_
		.amdhsa_group_segment_fixed_size 0
		.amdhsa_private_segment_fixed_size 0
		.amdhsa_kernarg_size 152
		.amdhsa_user_sgpr_count 6
		.amdhsa_user_sgpr_private_segment_buffer 1
		.amdhsa_user_sgpr_dispatch_ptr 0
		.amdhsa_user_sgpr_queue_ptr 0
		.amdhsa_user_sgpr_kernarg_segment_ptr 1
		.amdhsa_user_sgpr_dispatch_id 0
		.amdhsa_user_sgpr_flat_scratch_init 0
		.amdhsa_user_sgpr_private_segment_size 0
		.amdhsa_wavefront_size32 1
		.amdhsa_uses_dynamic_stack 0
		.amdhsa_system_sgpr_private_segment_wavefront_offset 0
		.amdhsa_system_sgpr_workgroup_id_x 1
		.amdhsa_system_sgpr_workgroup_id_y 0
		.amdhsa_system_sgpr_workgroup_id_z 0
		.amdhsa_system_sgpr_workgroup_info 0
		.amdhsa_system_vgpr_workitem_id 0
		.amdhsa_next_free_vgpr 1
		.amdhsa_next_free_sgpr 1
		.amdhsa_reserve_vcc 0
		.amdhsa_reserve_flat_scratch 0
		.amdhsa_float_round_mode_32 0
		.amdhsa_float_round_mode_16_64 0
		.amdhsa_float_denorm_mode_32 3
		.amdhsa_float_denorm_mode_16_64 3
		.amdhsa_dx10_clamp 1
		.amdhsa_ieee_mode 1
		.amdhsa_fp16_overflow 0
		.amdhsa_workgroup_processor_mode 1
		.amdhsa_memory_ordered 1
		.amdhsa_forward_progress 1
		.amdhsa_shared_vgpr_count 0
		.amdhsa_exception_fp_ieee_invalid_op 0
		.amdhsa_exception_fp_denorm_src 0
		.amdhsa_exception_fp_ieee_div_zero 0
		.amdhsa_exception_fp_ieee_overflow 0
		.amdhsa_exception_fp_ieee_underflow 0
		.amdhsa_exception_fp_ieee_inexact 0
		.amdhsa_exception_int_div_zero 0
	.end_amdhsa_kernel
	.section	.text._ZN7rocprim17ROCPRIM_400000_NS6detail17trampoline_kernelINS0_13select_configILj256ELj13ELNS0_17block_load_methodE3ELS4_3ELS4_3ELNS0_20block_scan_algorithmE0ELj4294967295EEENS1_25partition_config_selectorILNS1_17partition_subalgoE3EjNS0_10empty_typeEbEEZZNS1_14partition_implILS8_3ELb0ES6_jNS0_17counting_iteratorIjlEEPS9_SE_NS0_5tupleIJPjSE_EEENSF_IJSE_SE_EEES9_SG_JZNS1_25segmented_radix_sort_implINS0_14default_configELb1EPKlPlSM_SN_N2at6native12_GLOBAL__N_18offset_tEEE10hipError_tPvRmT1_PNSt15iterator_traitsISV_E10value_typeET2_T3_PNSW_IS11_E10value_typeET4_jRbjT5_S17_jjP12ihipStream_tbEUljE_EEESS_ST_SU_S11_S15_S17_T6_T7_T9_mT8_S19_bDpT10_ENKUlT_T0_E_clISt17integral_constantIbLb1EES1M_EEDaS1H_S1I_EUlS1H_E_NS1_11comp_targetILNS1_3genE5ELNS1_11target_archE942ELNS1_3gpuE9ELNS1_3repE0EEENS1_30default_config_static_selectorELNS0_4arch9wavefront6targetE0EEEvSV_,"axG",@progbits,_ZN7rocprim17ROCPRIM_400000_NS6detail17trampoline_kernelINS0_13select_configILj256ELj13ELNS0_17block_load_methodE3ELS4_3ELS4_3ELNS0_20block_scan_algorithmE0ELj4294967295EEENS1_25partition_config_selectorILNS1_17partition_subalgoE3EjNS0_10empty_typeEbEEZZNS1_14partition_implILS8_3ELb0ES6_jNS0_17counting_iteratorIjlEEPS9_SE_NS0_5tupleIJPjSE_EEENSF_IJSE_SE_EEES9_SG_JZNS1_25segmented_radix_sort_implINS0_14default_configELb1EPKlPlSM_SN_N2at6native12_GLOBAL__N_18offset_tEEE10hipError_tPvRmT1_PNSt15iterator_traitsISV_E10value_typeET2_T3_PNSW_IS11_E10value_typeET4_jRbjT5_S17_jjP12ihipStream_tbEUljE_EEESS_ST_SU_S11_S15_S17_T6_T7_T9_mT8_S19_bDpT10_ENKUlT_T0_E_clISt17integral_constantIbLb1EES1M_EEDaS1H_S1I_EUlS1H_E_NS1_11comp_targetILNS1_3genE5ELNS1_11target_archE942ELNS1_3gpuE9ELNS1_3repE0EEENS1_30default_config_static_selectorELNS0_4arch9wavefront6targetE0EEEvSV_,comdat
.Lfunc_end675:
	.size	_ZN7rocprim17ROCPRIM_400000_NS6detail17trampoline_kernelINS0_13select_configILj256ELj13ELNS0_17block_load_methodE3ELS4_3ELS4_3ELNS0_20block_scan_algorithmE0ELj4294967295EEENS1_25partition_config_selectorILNS1_17partition_subalgoE3EjNS0_10empty_typeEbEEZZNS1_14partition_implILS8_3ELb0ES6_jNS0_17counting_iteratorIjlEEPS9_SE_NS0_5tupleIJPjSE_EEENSF_IJSE_SE_EEES9_SG_JZNS1_25segmented_radix_sort_implINS0_14default_configELb1EPKlPlSM_SN_N2at6native12_GLOBAL__N_18offset_tEEE10hipError_tPvRmT1_PNSt15iterator_traitsISV_E10value_typeET2_T3_PNSW_IS11_E10value_typeET4_jRbjT5_S17_jjP12ihipStream_tbEUljE_EEESS_ST_SU_S11_S15_S17_T6_T7_T9_mT8_S19_bDpT10_ENKUlT_T0_E_clISt17integral_constantIbLb1EES1M_EEDaS1H_S1I_EUlS1H_E_NS1_11comp_targetILNS1_3genE5ELNS1_11target_archE942ELNS1_3gpuE9ELNS1_3repE0EEENS1_30default_config_static_selectorELNS0_4arch9wavefront6targetE0EEEvSV_, .Lfunc_end675-_ZN7rocprim17ROCPRIM_400000_NS6detail17trampoline_kernelINS0_13select_configILj256ELj13ELNS0_17block_load_methodE3ELS4_3ELS4_3ELNS0_20block_scan_algorithmE0ELj4294967295EEENS1_25partition_config_selectorILNS1_17partition_subalgoE3EjNS0_10empty_typeEbEEZZNS1_14partition_implILS8_3ELb0ES6_jNS0_17counting_iteratorIjlEEPS9_SE_NS0_5tupleIJPjSE_EEENSF_IJSE_SE_EEES9_SG_JZNS1_25segmented_radix_sort_implINS0_14default_configELb1EPKlPlSM_SN_N2at6native12_GLOBAL__N_18offset_tEEE10hipError_tPvRmT1_PNSt15iterator_traitsISV_E10value_typeET2_T3_PNSW_IS11_E10value_typeET4_jRbjT5_S17_jjP12ihipStream_tbEUljE_EEESS_ST_SU_S11_S15_S17_T6_T7_T9_mT8_S19_bDpT10_ENKUlT_T0_E_clISt17integral_constantIbLb1EES1M_EEDaS1H_S1I_EUlS1H_E_NS1_11comp_targetILNS1_3genE5ELNS1_11target_archE942ELNS1_3gpuE9ELNS1_3repE0EEENS1_30default_config_static_selectorELNS0_4arch9wavefront6targetE0EEEvSV_
                                        ; -- End function
	.set _ZN7rocprim17ROCPRIM_400000_NS6detail17trampoline_kernelINS0_13select_configILj256ELj13ELNS0_17block_load_methodE3ELS4_3ELS4_3ELNS0_20block_scan_algorithmE0ELj4294967295EEENS1_25partition_config_selectorILNS1_17partition_subalgoE3EjNS0_10empty_typeEbEEZZNS1_14partition_implILS8_3ELb0ES6_jNS0_17counting_iteratorIjlEEPS9_SE_NS0_5tupleIJPjSE_EEENSF_IJSE_SE_EEES9_SG_JZNS1_25segmented_radix_sort_implINS0_14default_configELb1EPKlPlSM_SN_N2at6native12_GLOBAL__N_18offset_tEEE10hipError_tPvRmT1_PNSt15iterator_traitsISV_E10value_typeET2_T3_PNSW_IS11_E10value_typeET4_jRbjT5_S17_jjP12ihipStream_tbEUljE_EEESS_ST_SU_S11_S15_S17_T6_T7_T9_mT8_S19_bDpT10_ENKUlT_T0_E_clISt17integral_constantIbLb1EES1M_EEDaS1H_S1I_EUlS1H_E_NS1_11comp_targetILNS1_3genE5ELNS1_11target_archE942ELNS1_3gpuE9ELNS1_3repE0EEENS1_30default_config_static_selectorELNS0_4arch9wavefront6targetE0EEEvSV_.num_vgpr, 0
	.set _ZN7rocprim17ROCPRIM_400000_NS6detail17trampoline_kernelINS0_13select_configILj256ELj13ELNS0_17block_load_methodE3ELS4_3ELS4_3ELNS0_20block_scan_algorithmE0ELj4294967295EEENS1_25partition_config_selectorILNS1_17partition_subalgoE3EjNS0_10empty_typeEbEEZZNS1_14partition_implILS8_3ELb0ES6_jNS0_17counting_iteratorIjlEEPS9_SE_NS0_5tupleIJPjSE_EEENSF_IJSE_SE_EEES9_SG_JZNS1_25segmented_radix_sort_implINS0_14default_configELb1EPKlPlSM_SN_N2at6native12_GLOBAL__N_18offset_tEEE10hipError_tPvRmT1_PNSt15iterator_traitsISV_E10value_typeET2_T3_PNSW_IS11_E10value_typeET4_jRbjT5_S17_jjP12ihipStream_tbEUljE_EEESS_ST_SU_S11_S15_S17_T6_T7_T9_mT8_S19_bDpT10_ENKUlT_T0_E_clISt17integral_constantIbLb1EES1M_EEDaS1H_S1I_EUlS1H_E_NS1_11comp_targetILNS1_3genE5ELNS1_11target_archE942ELNS1_3gpuE9ELNS1_3repE0EEENS1_30default_config_static_selectorELNS0_4arch9wavefront6targetE0EEEvSV_.num_agpr, 0
	.set _ZN7rocprim17ROCPRIM_400000_NS6detail17trampoline_kernelINS0_13select_configILj256ELj13ELNS0_17block_load_methodE3ELS4_3ELS4_3ELNS0_20block_scan_algorithmE0ELj4294967295EEENS1_25partition_config_selectorILNS1_17partition_subalgoE3EjNS0_10empty_typeEbEEZZNS1_14partition_implILS8_3ELb0ES6_jNS0_17counting_iteratorIjlEEPS9_SE_NS0_5tupleIJPjSE_EEENSF_IJSE_SE_EEES9_SG_JZNS1_25segmented_radix_sort_implINS0_14default_configELb1EPKlPlSM_SN_N2at6native12_GLOBAL__N_18offset_tEEE10hipError_tPvRmT1_PNSt15iterator_traitsISV_E10value_typeET2_T3_PNSW_IS11_E10value_typeET4_jRbjT5_S17_jjP12ihipStream_tbEUljE_EEESS_ST_SU_S11_S15_S17_T6_T7_T9_mT8_S19_bDpT10_ENKUlT_T0_E_clISt17integral_constantIbLb1EES1M_EEDaS1H_S1I_EUlS1H_E_NS1_11comp_targetILNS1_3genE5ELNS1_11target_archE942ELNS1_3gpuE9ELNS1_3repE0EEENS1_30default_config_static_selectorELNS0_4arch9wavefront6targetE0EEEvSV_.numbered_sgpr, 0
	.set _ZN7rocprim17ROCPRIM_400000_NS6detail17trampoline_kernelINS0_13select_configILj256ELj13ELNS0_17block_load_methodE3ELS4_3ELS4_3ELNS0_20block_scan_algorithmE0ELj4294967295EEENS1_25partition_config_selectorILNS1_17partition_subalgoE3EjNS0_10empty_typeEbEEZZNS1_14partition_implILS8_3ELb0ES6_jNS0_17counting_iteratorIjlEEPS9_SE_NS0_5tupleIJPjSE_EEENSF_IJSE_SE_EEES9_SG_JZNS1_25segmented_radix_sort_implINS0_14default_configELb1EPKlPlSM_SN_N2at6native12_GLOBAL__N_18offset_tEEE10hipError_tPvRmT1_PNSt15iterator_traitsISV_E10value_typeET2_T3_PNSW_IS11_E10value_typeET4_jRbjT5_S17_jjP12ihipStream_tbEUljE_EEESS_ST_SU_S11_S15_S17_T6_T7_T9_mT8_S19_bDpT10_ENKUlT_T0_E_clISt17integral_constantIbLb1EES1M_EEDaS1H_S1I_EUlS1H_E_NS1_11comp_targetILNS1_3genE5ELNS1_11target_archE942ELNS1_3gpuE9ELNS1_3repE0EEENS1_30default_config_static_selectorELNS0_4arch9wavefront6targetE0EEEvSV_.num_named_barrier, 0
	.set _ZN7rocprim17ROCPRIM_400000_NS6detail17trampoline_kernelINS0_13select_configILj256ELj13ELNS0_17block_load_methodE3ELS4_3ELS4_3ELNS0_20block_scan_algorithmE0ELj4294967295EEENS1_25partition_config_selectorILNS1_17partition_subalgoE3EjNS0_10empty_typeEbEEZZNS1_14partition_implILS8_3ELb0ES6_jNS0_17counting_iteratorIjlEEPS9_SE_NS0_5tupleIJPjSE_EEENSF_IJSE_SE_EEES9_SG_JZNS1_25segmented_radix_sort_implINS0_14default_configELb1EPKlPlSM_SN_N2at6native12_GLOBAL__N_18offset_tEEE10hipError_tPvRmT1_PNSt15iterator_traitsISV_E10value_typeET2_T3_PNSW_IS11_E10value_typeET4_jRbjT5_S17_jjP12ihipStream_tbEUljE_EEESS_ST_SU_S11_S15_S17_T6_T7_T9_mT8_S19_bDpT10_ENKUlT_T0_E_clISt17integral_constantIbLb1EES1M_EEDaS1H_S1I_EUlS1H_E_NS1_11comp_targetILNS1_3genE5ELNS1_11target_archE942ELNS1_3gpuE9ELNS1_3repE0EEENS1_30default_config_static_selectorELNS0_4arch9wavefront6targetE0EEEvSV_.private_seg_size, 0
	.set _ZN7rocprim17ROCPRIM_400000_NS6detail17trampoline_kernelINS0_13select_configILj256ELj13ELNS0_17block_load_methodE3ELS4_3ELS4_3ELNS0_20block_scan_algorithmE0ELj4294967295EEENS1_25partition_config_selectorILNS1_17partition_subalgoE3EjNS0_10empty_typeEbEEZZNS1_14partition_implILS8_3ELb0ES6_jNS0_17counting_iteratorIjlEEPS9_SE_NS0_5tupleIJPjSE_EEENSF_IJSE_SE_EEES9_SG_JZNS1_25segmented_radix_sort_implINS0_14default_configELb1EPKlPlSM_SN_N2at6native12_GLOBAL__N_18offset_tEEE10hipError_tPvRmT1_PNSt15iterator_traitsISV_E10value_typeET2_T3_PNSW_IS11_E10value_typeET4_jRbjT5_S17_jjP12ihipStream_tbEUljE_EEESS_ST_SU_S11_S15_S17_T6_T7_T9_mT8_S19_bDpT10_ENKUlT_T0_E_clISt17integral_constantIbLb1EES1M_EEDaS1H_S1I_EUlS1H_E_NS1_11comp_targetILNS1_3genE5ELNS1_11target_archE942ELNS1_3gpuE9ELNS1_3repE0EEENS1_30default_config_static_selectorELNS0_4arch9wavefront6targetE0EEEvSV_.uses_vcc, 0
	.set _ZN7rocprim17ROCPRIM_400000_NS6detail17trampoline_kernelINS0_13select_configILj256ELj13ELNS0_17block_load_methodE3ELS4_3ELS4_3ELNS0_20block_scan_algorithmE0ELj4294967295EEENS1_25partition_config_selectorILNS1_17partition_subalgoE3EjNS0_10empty_typeEbEEZZNS1_14partition_implILS8_3ELb0ES6_jNS0_17counting_iteratorIjlEEPS9_SE_NS0_5tupleIJPjSE_EEENSF_IJSE_SE_EEES9_SG_JZNS1_25segmented_radix_sort_implINS0_14default_configELb1EPKlPlSM_SN_N2at6native12_GLOBAL__N_18offset_tEEE10hipError_tPvRmT1_PNSt15iterator_traitsISV_E10value_typeET2_T3_PNSW_IS11_E10value_typeET4_jRbjT5_S17_jjP12ihipStream_tbEUljE_EEESS_ST_SU_S11_S15_S17_T6_T7_T9_mT8_S19_bDpT10_ENKUlT_T0_E_clISt17integral_constantIbLb1EES1M_EEDaS1H_S1I_EUlS1H_E_NS1_11comp_targetILNS1_3genE5ELNS1_11target_archE942ELNS1_3gpuE9ELNS1_3repE0EEENS1_30default_config_static_selectorELNS0_4arch9wavefront6targetE0EEEvSV_.uses_flat_scratch, 0
	.set _ZN7rocprim17ROCPRIM_400000_NS6detail17trampoline_kernelINS0_13select_configILj256ELj13ELNS0_17block_load_methodE3ELS4_3ELS4_3ELNS0_20block_scan_algorithmE0ELj4294967295EEENS1_25partition_config_selectorILNS1_17partition_subalgoE3EjNS0_10empty_typeEbEEZZNS1_14partition_implILS8_3ELb0ES6_jNS0_17counting_iteratorIjlEEPS9_SE_NS0_5tupleIJPjSE_EEENSF_IJSE_SE_EEES9_SG_JZNS1_25segmented_radix_sort_implINS0_14default_configELb1EPKlPlSM_SN_N2at6native12_GLOBAL__N_18offset_tEEE10hipError_tPvRmT1_PNSt15iterator_traitsISV_E10value_typeET2_T3_PNSW_IS11_E10value_typeET4_jRbjT5_S17_jjP12ihipStream_tbEUljE_EEESS_ST_SU_S11_S15_S17_T6_T7_T9_mT8_S19_bDpT10_ENKUlT_T0_E_clISt17integral_constantIbLb1EES1M_EEDaS1H_S1I_EUlS1H_E_NS1_11comp_targetILNS1_3genE5ELNS1_11target_archE942ELNS1_3gpuE9ELNS1_3repE0EEENS1_30default_config_static_selectorELNS0_4arch9wavefront6targetE0EEEvSV_.has_dyn_sized_stack, 0
	.set _ZN7rocprim17ROCPRIM_400000_NS6detail17trampoline_kernelINS0_13select_configILj256ELj13ELNS0_17block_load_methodE3ELS4_3ELS4_3ELNS0_20block_scan_algorithmE0ELj4294967295EEENS1_25partition_config_selectorILNS1_17partition_subalgoE3EjNS0_10empty_typeEbEEZZNS1_14partition_implILS8_3ELb0ES6_jNS0_17counting_iteratorIjlEEPS9_SE_NS0_5tupleIJPjSE_EEENSF_IJSE_SE_EEES9_SG_JZNS1_25segmented_radix_sort_implINS0_14default_configELb1EPKlPlSM_SN_N2at6native12_GLOBAL__N_18offset_tEEE10hipError_tPvRmT1_PNSt15iterator_traitsISV_E10value_typeET2_T3_PNSW_IS11_E10value_typeET4_jRbjT5_S17_jjP12ihipStream_tbEUljE_EEESS_ST_SU_S11_S15_S17_T6_T7_T9_mT8_S19_bDpT10_ENKUlT_T0_E_clISt17integral_constantIbLb1EES1M_EEDaS1H_S1I_EUlS1H_E_NS1_11comp_targetILNS1_3genE5ELNS1_11target_archE942ELNS1_3gpuE9ELNS1_3repE0EEENS1_30default_config_static_selectorELNS0_4arch9wavefront6targetE0EEEvSV_.has_recursion, 0
	.set _ZN7rocprim17ROCPRIM_400000_NS6detail17trampoline_kernelINS0_13select_configILj256ELj13ELNS0_17block_load_methodE3ELS4_3ELS4_3ELNS0_20block_scan_algorithmE0ELj4294967295EEENS1_25partition_config_selectorILNS1_17partition_subalgoE3EjNS0_10empty_typeEbEEZZNS1_14partition_implILS8_3ELb0ES6_jNS0_17counting_iteratorIjlEEPS9_SE_NS0_5tupleIJPjSE_EEENSF_IJSE_SE_EEES9_SG_JZNS1_25segmented_radix_sort_implINS0_14default_configELb1EPKlPlSM_SN_N2at6native12_GLOBAL__N_18offset_tEEE10hipError_tPvRmT1_PNSt15iterator_traitsISV_E10value_typeET2_T3_PNSW_IS11_E10value_typeET4_jRbjT5_S17_jjP12ihipStream_tbEUljE_EEESS_ST_SU_S11_S15_S17_T6_T7_T9_mT8_S19_bDpT10_ENKUlT_T0_E_clISt17integral_constantIbLb1EES1M_EEDaS1H_S1I_EUlS1H_E_NS1_11comp_targetILNS1_3genE5ELNS1_11target_archE942ELNS1_3gpuE9ELNS1_3repE0EEENS1_30default_config_static_selectorELNS0_4arch9wavefront6targetE0EEEvSV_.has_indirect_call, 0
	.section	.AMDGPU.csdata,"",@progbits
; Kernel info:
; codeLenInByte = 0
; TotalNumSgprs: 0
; NumVgprs: 0
; ScratchSize: 0
; MemoryBound: 0
; FloatMode: 240
; IeeeMode: 1
; LDSByteSize: 0 bytes/workgroup (compile time only)
; SGPRBlocks: 0
; VGPRBlocks: 0
; NumSGPRsForWavesPerEU: 1
; NumVGPRsForWavesPerEU: 1
; Occupancy: 16
; WaveLimiterHint : 0
; COMPUTE_PGM_RSRC2:SCRATCH_EN: 0
; COMPUTE_PGM_RSRC2:USER_SGPR: 6
; COMPUTE_PGM_RSRC2:TRAP_HANDLER: 0
; COMPUTE_PGM_RSRC2:TGID_X_EN: 1
; COMPUTE_PGM_RSRC2:TGID_Y_EN: 0
; COMPUTE_PGM_RSRC2:TGID_Z_EN: 0
; COMPUTE_PGM_RSRC2:TIDIG_COMP_CNT: 0
	.section	.text._ZN7rocprim17ROCPRIM_400000_NS6detail17trampoline_kernelINS0_13select_configILj256ELj13ELNS0_17block_load_methodE3ELS4_3ELS4_3ELNS0_20block_scan_algorithmE0ELj4294967295EEENS1_25partition_config_selectorILNS1_17partition_subalgoE3EjNS0_10empty_typeEbEEZZNS1_14partition_implILS8_3ELb0ES6_jNS0_17counting_iteratorIjlEEPS9_SE_NS0_5tupleIJPjSE_EEENSF_IJSE_SE_EEES9_SG_JZNS1_25segmented_radix_sort_implINS0_14default_configELb1EPKlPlSM_SN_N2at6native12_GLOBAL__N_18offset_tEEE10hipError_tPvRmT1_PNSt15iterator_traitsISV_E10value_typeET2_T3_PNSW_IS11_E10value_typeET4_jRbjT5_S17_jjP12ihipStream_tbEUljE_EEESS_ST_SU_S11_S15_S17_T6_T7_T9_mT8_S19_bDpT10_ENKUlT_T0_E_clISt17integral_constantIbLb1EES1M_EEDaS1H_S1I_EUlS1H_E_NS1_11comp_targetILNS1_3genE4ELNS1_11target_archE910ELNS1_3gpuE8ELNS1_3repE0EEENS1_30default_config_static_selectorELNS0_4arch9wavefront6targetE0EEEvSV_,"axG",@progbits,_ZN7rocprim17ROCPRIM_400000_NS6detail17trampoline_kernelINS0_13select_configILj256ELj13ELNS0_17block_load_methodE3ELS4_3ELS4_3ELNS0_20block_scan_algorithmE0ELj4294967295EEENS1_25partition_config_selectorILNS1_17partition_subalgoE3EjNS0_10empty_typeEbEEZZNS1_14partition_implILS8_3ELb0ES6_jNS0_17counting_iteratorIjlEEPS9_SE_NS0_5tupleIJPjSE_EEENSF_IJSE_SE_EEES9_SG_JZNS1_25segmented_radix_sort_implINS0_14default_configELb1EPKlPlSM_SN_N2at6native12_GLOBAL__N_18offset_tEEE10hipError_tPvRmT1_PNSt15iterator_traitsISV_E10value_typeET2_T3_PNSW_IS11_E10value_typeET4_jRbjT5_S17_jjP12ihipStream_tbEUljE_EEESS_ST_SU_S11_S15_S17_T6_T7_T9_mT8_S19_bDpT10_ENKUlT_T0_E_clISt17integral_constantIbLb1EES1M_EEDaS1H_S1I_EUlS1H_E_NS1_11comp_targetILNS1_3genE4ELNS1_11target_archE910ELNS1_3gpuE8ELNS1_3repE0EEENS1_30default_config_static_selectorELNS0_4arch9wavefront6targetE0EEEvSV_,comdat
	.globl	_ZN7rocprim17ROCPRIM_400000_NS6detail17trampoline_kernelINS0_13select_configILj256ELj13ELNS0_17block_load_methodE3ELS4_3ELS4_3ELNS0_20block_scan_algorithmE0ELj4294967295EEENS1_25partition_config_selectorILNS1_17partition_subalgoE3EjNS0_10empty_typeEbEEZZNS1_14partition_implILS8_3ELb0ES6_jNS0_17counting_iteratorIjlEEPS9_SE_NS0_5tupleIJPjSE_EEENSF_IJSE_SE_EEES9_SG_JZNS1_25segmented_radix_sort_implINS0_14default_configELb1EPKlPlSM_SN_N2at6native12_GLOBAL__N_18offset_tEEE10hipError_tPvRmT1_PNSt15iterator_traitsISV_E10value_typeET2_T3_PNSW_IS11_E10value_typeET4_jRbjT5_S17_jjP12ihipStream_tbEUljE_EEESS_ST_SU_S11_S15_S17_T6_T7_T9_mT8_S19_bDpT10_ENKUlT_T0_E_clISt17integral_constantIbLb1EES1M_EEDaS1H_S1I_EUlS1H_E_NS1_11comp_targetILNS1_3genE4ELNS1_11target_archE910ELNS1_3gpuE8ELNS1_3repE0EEENS1_30default_config_static_selectorELNS0_4arch9wavefront6targetE0EEEvSV_ ; -- Begin function _ZN7rocprim17ROCPRIM_400000_NS6detail17trampoline_kernelINS0_13select_configILj256ELj13ELNS0_17block_load_methodE3ELS4_3ELS4_3ELNS0_20block_scan_algorithmE0ELj4294967295EEENS1_25partition_config_selectorILNS1_17partition_subalgoE3EjNS0_10empty_typeEbEEZZNS1_14partition_implILS8_3ELb0ES6_jNS0_17counting_iteratorIjlEEPS9_SE_NS0_5tupleIJPjSE_EEENSF_IJSE_SE_EEES9_SG_JZNS1_25segmented_radix_sort_implINS0_14default_configELb1EPKlPlSM_SN_N2at6native12_GLOBAL__N_18offset_tEEE10hipError_tPvRmT1_PNSt15iterator_traitsISV_E10value_typeET2_T3_PNSW_IS11_E10value_typeET4_jRbjT5_S17_jjP12ihipStream_tbEUljE_EEESS_ST_SU_S11_S15_S17_T6_T7_T9_mT8_S19_bDpT10_ENKUlT_T0_E_clISt17integral_constantIbLb1EES1M_EEDaS1H_S1I_EUlS1H_E_NS1_11comp_targetILNS1_3genE4ELNS1_11target_archE910ELNS1_3gpuE8ELNS1_3repE0EEENS1_30default_config_static_selectorELNS0_4arch9wavefront6targetE0EEEvSV_
	.p2align	8
	.type	_ZN7rocprim17ROCPRIM_400000_NS6detail17trampoline_kernelINS0_13select_configILj256ELj13ELNS0_17block_load_methodE3ELS4_3ELS4_3ELNS0_20block_scan_algorithmE0ELj4294967295EEENS1_25partition_config_selectorILNS1_17partition_subalgoE3EjNS0_10empty_typeEbEEZZNS1_14partition_implILS8_3ELb0ES6_jNS0_17counting_iteratorIjlEEPS9_SE_NS0_5tupleIJPjSE_EEENSF_IJSE_SE_EEES9_SG_JZNS1_25segmented_radix_sort_implINS0_14default_configELb1EPKlPlSM_SN_N2at6native12_GLOBAL__N_18offset_tEEE10hipError_tPvRmT1_PNSt15iterator_traitsISV_E10value_typeET2_T3_PNSW_IS11_E10value_typeET4_jRbjT5_S17_jjP12ihipStream_tbEUljE_EEESS_ST_SU_S11_S15_S17_T6_T7_T9_mT8_S19_bDpT10_ENKUlT_T0_E_clISt17integral_constantIbLb1EES1M_EEDaS1H_S1I_EUlS1H_E_NS1_11comp_targetILNS1_3genE4ELNS1_11target_archE910ELNS1_3gpuE8ELNS1_3repE0EEENS1_30default_config_static_selectorELNS0_4arch9wavefront6targetE0EEEvSV_,@function
_ZN7rocprim17ROCPRIM_400000_NS6detail17trampoline_kernelINS0_13select_configILj256ELj13ELNS0_17block_load_methodE3ELS4_3ELS4_3ELNS0_20block_scan_algorithmE0ELj4294967295EEENS1_25partition_config_selectorILNS1_17partition_subalgoE3EjNS0_10empty_typeEbEEZZNS1_14partition_implILS8_3ELb0ES6_jNS0_17counting_iteratorIjlEEPS9_SE_NS0_5tupleIJPjSE_EEENSF_IJSE_SE_EEES9_SG_JZNS1_25segmented_radix_sort_implINS0_14default_configELb1EPKlPlSM_SN_N2at6native12_GLOBAL__N_18offset_tEEE10hipError_tPvRmT1_PNSt15iterator_traitsISV_E10value_typeET2_T3_PNSW_IS11_E10value_typeET4_jRbjT5_S17_jjP12ihipStream_tbEUljE_EEESS_ST_SU_S11_S15_S17_T6_T7_T9_mT8_S19_bDpT10_ENKUlT_T0_E_clISt17integral_constantIbLb1EES1M_EEDaS1H_S1I_EUlS1H_E_NS1_11comp_targetILNS1_3genE4ELNS1_11target_archE910ELNS1_3gpuE8ELNS1_3repE0EEENS1_30default_config_static_selectorELNS0_4arch9wavefront6targetE0EEEvSV_: ; @_ZN7rocprim17ROCPRIM_400000_NS6detail17trampoline_kernelINS0_13select_configILj256ELj13ELNS0_17block_load_methodE3ELS4_3ELS4_3ELNS0_20block_scan_algorithmE0ELj4294967295EEENS1_25partition_config_selectorILNS1_17partition_subalgoE3EjNS0_10empty_typeEbEEZZNS1_14partition_implILS8_3ELb0ES6_jNS0_17counting_iteratorIjlEEPS9_SE_NS0_5tupleIJPjSE_EEENSF_IJSE_SE_EEES9_SG_JZNS1_25segmented_radix_sort_implINS0_14default_configELb1EPKlPlSM_SN_N2at6native12_GLOBAL__N_18offset_tEEE10hipError_tPvRmT1_PNSt15iterator_traitsISV_E10value_typeET2_T3_PNSW_IS11_E10value_typeET4_jRbjT5_S17_jjP12ihipStream_tbEUljE_EEESS_ST_SU_S11_S15_S17_T6_T7_T9_mT8_S19_bDpT10_ENKUlT_T0_E_clISt17integral_constantIbLb1EES1M_EEDaS1H_S1I_EUlS1H_E_NS1_11comp_targetILNS1_3genE4ELNS1_11target_archE910ELNS1_3gpuE8ELNS1_3repE0EEENS1_30default_config_static_selectorELNS0_4arch9wavefront6targetE0EEEvSV_
; %bb.0:
	.section	.rodata,"a",@progbits
	.p2align	6, 0x0
	.amdhsa_kernel _ZN7rocprim17ROCPRIM_400000_NS6detail17trampoline_kernelINS0_13select_configILj256ELj13ELNS0_17block_load_methodE3ELS4_3ELS4_3ELNS0_20block_scan_algorithmE0ELj4294967295EEENS1_25partition_config_selectorILNS1_17partition_subalgoE3EjNS0_10empty_typeEbEEZZNS1_14partition_implILS8_3ELb0ES6_jNS0_17counting_iteratorIjlEEPS9_SE_NS0_5tupleIJPjSE_EEENSF_IJSE_SE_EEES9_SG_JZNS1_25segmented_radix_sort_implINS0_14default_configELb1EPKlPlSM_SN_N2at6native12_GLOBAL__N_18offset_tEEE10hipError_tPvRmT1_PNSt15iterator_traitsISV_E10value_typeET2_T3_PNSW_IS11_E10value_typeET4_jRbjT5_S17_jjP12ihipStream_tbEUljE_EEESS_ST_SU_S11_S15_S17_T6_T7_T9_mT8_S19_bDpT10_ENKUlT_T0_E_clISt17integral_constantIbLb1EES1M_EEDaS1H_S1I_EUlS1H_E_NS1_11comp_targetILNS1_3genE4ELNS1_11target_archE910ELNS1_3gpuE8ELNS1_3repE0EEENS1_30default_config_static_selectorELNS0_4arch9wavefront6targetE0EEEvSV_
		.amdhsa_group_segment_fixed_size 0
		.amdhsa_private_segment_fixed_size 0
		.amdhsa_kernarg_size 152
		.amdhsa_user_sgpr_count 6
		.amdhsa_user_sgpr_private_segment_buffer 1
		.amdhsa_user_sgpr_dispatch_ptr 0
		.amdhsa_user_sgpr_queue_ptr 0
		.amdhsa_user_sgpr_kernarg_segment_ptr 1
		.amdhsa_user_sgpr_dispatch_id 0
		.amdhsa_user_sgpr_flat_scratch_init 0
		.amdhsa_user_sgpr_private_segment_size 0
		.amdhsa_wavefront_size32 1
		.amdhsa_uses_dynamic_stack 0
		.amdhsa_system_sgpr_private_segment_wavefront_offset 0
		.amdhsa_system_sgpr_workgroup_id_x 1
		.amdhsa_system_sgpr_workgroup_id_y 0
		.amdhsa_system_sgpr_workgroup_id_z 0
		.amdhsa_system_sgpr_workgroup_info 0
		.amdhsa_system_vgpr_workitem_id 0
		.amdhsa_next_free_vgpr 1
		.amdhsa_next_free_sgpr 1
		.amdhsa_reserve_vcc 0
		.amdhsa_reserve_flat_scratch 0
		.amdhsa_float_round_mode_32 0
		.amdhsa_float_round_mode_16_64 0
		.amdhsa_float_denorm_mode_32 3
		.amdhsa_float_denorm_mode_16_64 3
		.amdhsa_dx10_clamp 1
		.amdhsa_ieee_mode 1
		.amdhsa_fp16_overflow 0
		.amdhsa_workgroup_processor_mode 1
		.amdhsa_memory_ordered 1
		.amdhsa_forward_progress 1
		.amdhsa_shared_vgpr_count 0
		.amdhsa_exception_fp_ieee_invalid_op 0
		.amdhsa_exception_fp_denorm_src 0
		.amdhsa_exception_fp_ieee_div_zero 0
		.amdhsa_exception_fp_ieee_overflow 0
		.amdhsa_exception_fp_ieee_underflow 0
		.amdhsa_exception_fp_ieee_inexact 0
		.amdhsa_exception_int_div_zero 0
	.end_amdhsa_kernel
	.section	.text._ZN7rocprim17ROCPRIM_400000_NS6detail17trampoline_kernelINS0_13select_configILj256ELj13ELNS0_17block_load_methodE3ELS4_3ELS4_3ELNS0_20block_scan_algorithmE0ELj4294967295EEENS1_25partition_config_selectorILNS1_17partition_subalgoE3EjNS0_10empty_typeEbEEZZNS1_14partition_implILS8_3ELb0ES6_jNS0_17counting_iteratorIjlEEPS9_SE_NS0_5tupleIJPjSE_EEENSF_IJSE_SE_EEES9_SG_JZNS1_25segmented_radix_sort_implINS0_14default_configELb1EPKlPlSM_SN_N2at6native12_GLOBAL__N_18offset_tEEE10hipError_tPvRmT1_PNSt15iterator_traitsISV_E10value_typeET2_T3_PNSW_IS11_E10value_typeET4_jRbjT5_S17_jjP12ihipStream_tbEUljE_EEESS_ST_SU_S11_S15_S17_T6_T7_T9_mT8_S19_bDpT10_ENKUlT_T0_E_clISt17integral_constantIbLb1EES1M_EEDaS1H_S1I_EUlS1H_E_NS1_11comp_targetILNS1_3genE4ELNS1_11target_archE910ELNS1_3gpuE8ELNS1_3repE0EEENS1_30default_config_static_selectorELNS0_4arch9wavefront6targetE0EEEvSV_,"axG",@progbits,_ZN7rocprim17ROCPRIM_400000_NS6detail17trampoline_kernelINS0_13select_configILj256ELj13ELNS0_17block_load_methodE3ELS4_3ELS4_3ELNS0_20block_scan_algorithmE0ELj4294967295EEENS1_25partition_config_selectorILNS1_17partition_subalgoE3EjNS0_10empty_typeEbEEZZNS1_14partition_implILS8_3ELb0ES6_jNS0_17counting_iteratorIjlEEPS9_SE_NS0_5tupleIJPjSE_EEENSF_IJSE_SE_EEES9_SG_JZNS1_25segmented_radix_sort_implINS0_14default_configELb1EPKlPlSM_SN_N2at6native12_GLOBAL__N_18offset_tEEE10hipError_tPvRmT1_PNSt15iterator_traitsISV_E10value_typeET2_T3_PNSW_IS11_E10value_typeET4_jRbjT5_S17_jjP12ihipStream_tbEUljE_EEESS_ST_SU_S11_S15_S17_T6_T7_T9_mT8_S19_bDpT10_ENKUlT_T0_E_clISt17integral_constantIbLb1EES1M_EEDaS1H_S1I_EUlS1H_E_NS1_11comp_targetILNS1_3genE4ELNS1_11target_archE910ELNS1_3gpuE8ELNS1_3repE0EEENS1_30default_config_static_selectorELNS0_4arch9wavefront6targetE0EEEvSV_,comdat
.Lfunc_end676:
	.size	_ZN7rocprim17ROCPRIM_400000_NS6detail17trampoline_kernelINS0_13select_configILj256ELj13ELNS0_17block_load_methodE3ELS4_3ELS4_3ELNS0_20block_scan_algorithmE0ELj4294967295EEENS1_25partition_config_selectorILNS1_17partition_subalgoE3EjNS0_10empty_typeEbEEZZNS1_14partition_implILS8_3ELb0ES6_jNS0_17counting_iteratorIjlEEPS9_SE_NS0_5tupleIJPjSE_EEENSF_IJSE_SE_EEES9_SG_JZNS1_25segmented_radix_sort_implINS0_14default_configELb1EPKlPlSM_SN_N2at6native12_GLOBAL__N_18offset_tEEE10hipError_tPvRmT1_PNSt15iterator_traitsISV_E10value_typeET2_T3_PNSW_IS11_E10value_typeET4_jRbjT5_S17_jjP12ihipStream_tbEUljE_EEESS_ST_SU_S11_S15_S17_T6_T7_T9_mT8_S19_bDpT10_ENKUlT_T0_E_clISt17integral_constantIbLb1EES1M_EEDaS1H_S1I_EUlS1H_E_NS1_11comp_targetILNS1_3genE4ELNS1_11target_archE910ELNS1_3gpuE8ELNS1_3repE0EEENS1_30default_config_static_selectorELNS0_4arch9wavefront6targetE0EEEvSV_, .Lfunc_end676-_ZN7rocprim17ROCPRIM_400000_NS6detail17trampoline_kernelINS0_13select_configILj256ELj13ELNS0_17block_load_methodE3ELS4_3ELS4_3ELNS0_20block_scan_algorithmE0ELj4294967295EEENS1_25partition_config_selectorILNS1_17partition_subalgoE3EjNS0_10empty_typeEbEEZZNS1_14partition_implILS8_3ELb0ES6_jNS0_17counting_iteratorIjlEEPS9_SE_NS0_5tupleIJPjSE_EEENSF_IJSE_SE_EEES9_SG_JZNS1_25segmented_radix_sort_implINS0_14default_configELb1EPKlPlSM_SN_N2at6native12_GLOBAL__N_18offset_tEEE10hipError_tPvRmT1_PNSt15iterator_traitsISV_E10value_typeET2_T3_PNSW_IS11_E10value_typeET4_jRbjT5_S17_jjP12ihipStream_tbEUljE_EEESS_ST_SU_S11_S15_S17_T6_T7_T9_mT8_S19_bDpT10_ENKUlT_T0_E_clISt17integral_constantIbLb1EES1M_EEDaS1H_S1I_EUlS1H_E_NS1_11comp_targetILNS1_3genE4ELNS1_11target_archE910ELNS1_3gpuE8ELNS1_3repE0EEENS1_30default_config_static_selectorELNS0_4arch9wavefront6targetE0EEEvSV_
                                        ; -- End function
	.set _ZN7rocprim17ROCPRIM_400000_NS6detail17trampoline_kernelINS0_13select_configILj256ELj13ELNS0_17block_load_methodE3ELS4_3ELS4_3ELNS0_20block_scan_algorithmE0ELj4294967295EEENS1_25partition_config_selectorILNS1_17partition_subalgoE3EjNS0_10empty_typeEbEEZZNS1_14partition_implILS8_3ELb0ES6_jNS0_17counting_iteratorIjlEEPS9_SE_NS0_5tupleIJPjSE_EEENSF_IJSE_SE_EEES9_SG_JZNS1_25segmented_radix_sort_implINS0_14default_configELb1EPKlPlSM_SN_N2at6native12_GLOBAL__N_18offset_tEEE10hipError_tPvRmT1_PNSt15iterator_traitsISV_E10value_typeET2_T3_PNSW_IS11_E10value_typeET4_jRbjT5_S17_jjP12ihipStream_tbEUljE_EEESS_ST_SU_S11_S15_S17_T6_T7_T9_mT8_S19_bDpT10_ENKUlT_T0_E_clISt17integral_constantIbLb1EES1M_EEDaS1H_S1I_EUlS1H_E_NS1_11comp_targetILNS1_3genE4ELNS1_11target_archE910ELNS1_3gpuE8ELNS1_3repE0EEENS1_30default_config_static_selectorELNS0_4arch9wavefront6targetE0EEEvSV_.num_vgpr, 0
	.set _ZN7rocprim17ROCPRIM_400000_NS6detail17trampoline_kernelINS0_13select_configILj256ELj13ELNS0_17block_load_methodE3ELS4_3ELS4_3ELNS0_20block_scan_algorithmE0ELj4294967295EEENS1_25partition_config_selectorILNS1_17partition_subalgoE3EjNS0_10empty_typeEbEEZZNS1_14partition_implILS8_3ELb0ES6_jNS0_17counting_iteratorIjlEEPS9_SE_NS0_5tupleIJPjSE_EEENSF_IJSE_SE_EEES9_SG_JZNS1_25segmented_radix_sort_implINS0_14default_configELb1EPKlPlSM_SN_N2at6native12_GLOBAL__N_18offset_tEEE10hipError_tPvRmT1_PNSt15iterator_traitsISV_E10value_typeET2_T3_PNSW_IS11_E10value_typeET4_jRbjT5_S17_jjP12ihipStream_tbEUljE_EEESS_ST_SU_S11_S15_S17_T6_T7_T9_mT8_S19_bDpT10_ENKUlT_T0_E_clISt17integral_constantIbLb1EES1M_EEDaS1H_S1I_EUlS1H_E_NS1_11comp_targetILNS1_3genE4ELNS1_11target_archE910ELNS1_3gpuE8ELNS1_3repE0EEENS1_30default_config_static_selectorELNS0_4arch9wavefront6targetE0EEEvSV_.num_agpr, 0
	.set _ZN7rocprim17ROCPRIM_400000_NS6detail17trampoline_kernelINS0_13select_configILj256ELj13ELNS0_17block_load_methodE3ELS4_3ELS4_3ELNS0_20block_scan_algorithmE0ELj4294967295EEENS1_25partition_config_selectorILNS1_17partition_subalgoE3EjNS0_10empty_typeEbEEZZNS1_14partition_implILS8_3ELb0ES6_jNS0_17counting_iteratorIjlEEPS9_SE_NS0_5tupleIJPjSE_EEENSF_IJSE_SE_EEES9_SG_JZNS1_25segmented_radix_sort_implINS0_14default_configELb1EPKlPlSM_SN_N2at6native12_GLOBAL__N_18offset_tEEE10hipError_tPvRmT1_PNSt15iterator_traitsISV_E10value_typeET2_T3_PNSW_IS11_E10value_typeET4_jRbjT5_S17_jjP12ihipStream_tbEUljE_EEESS_ST_SU_S11_S15_S17_T6_T7_T9_mT8_S19_bDpT10_ENKUlT_T0_E_clISt17integral_constantIbLb1EES1M_EEDaS1H_S1I_EUlS1H_E_NS1_11comp_targetILNS1_3genE4ELNS1_11target_archE910ELNS1_3gpuE8ELNS1_3repE0EEENS1_30default_config_static_selectorELNS0_4arch9wavefront6targetE0EEEvSV_.numbered_sgpr, 0
	.set _ZN7rocprim17ROCPRIM_400000_NS6detail17trampoline_kernelINS0_13select_configILj256ELj13ELNS0_17block_load_methodE3ELS4_3ELS4_3ELNS0_20block_scan_algorithmE0ELj4294967295EEENS1_25partition_config_selectorILNS1_17partition_subalgoE3EjNS0_10empty_typeEbEEZZNS1_14partition_implILS8_3ELb0ES6_jNS0_17counting_iteratorIjlEEPS9_SE_NS0_5tupleIJPjSE_EEENSF_IJSE_SE_EEES9_SG_JZNS1_25segmented_radix_sort_implINS0_14default_configELb1EPKlPlSM_SN_N2at6native12_GLOBAL__N_18offset_tEEE10hipError_tPvRmT1_PNSt15iterator_traitsISV_E10value_typeET2_T3_PNSW_IS11_E10value_typeET4_jRbjT5_S17_jjP12ihipStream_tbEUljE_EEESS_ST_SU_S11_S15_S17_T6_T7_T9_mT8_S19_bDpT10_ENKUlT_T0_E_clISt17integral_constantIbLb1EES1M_EEDaS1H_S1I_EUlS1H_E_NS1_11comp_targetILNS1_3genE4ELNS1_11target_archE910ELNS1_3gpuE8ELNS1_3repE0EEENS1_30default_config_static_selectorELNS0_4arch9wavefront6targetE0EEEvSV_.num_named_barrier, 0
	.set _ZN7rocprim17ROCPRIM_400000_NS6detail17trampoline_kernelINS0_13select_configILj256ELj13ELNS0_17block_load_methodE3ELS4_3ELS4_3ELNS0_20block_scan_algorithmE0ELj4294967295EEENS1_25partition_config_selectorILNS1_17partition_subalgoE3EjNS0_10empty_typeEbEEZZNS1_14partition_implILS8_3ELb0ES6_jNS0_17counting_iteratorIjlEEPS9_SE_NS0_5tupleIJPjSE_EEENSF_IJSE_SE_EEES9_SG_JZNS1_25segmented_radix_sort_implINS0_14default_configELb1EPKlPlSM_SN_N2at6native12_GLOBAL__N_18offset_tEEE10hipError_tPvRmT1_PNSt15iterator_traitsISV_E10value_typeET2_T3_PNSW_IS11_E10value_typeET4_jRbjT5_S17_jjP12ihipStream_tbEUljE_EEESS_ST_SU_S11_S15_S17_T6_T7_T9_mT8_S19_bDpT10_ENKUlT_T0_E_clISt17integral_constantIbLb1EES1M_EEDaS1H_S1I_EUlS1H_E_NS1_11comp_targetILNS1_3genE4ELNS1_11target_archE910ELNS1_3gpuE8ELNS1_3repE0EEENS1_30default_config_static_selectorELNS0_4arch9wavefront6targetE0EEEvSV_.private_seg_size, 0
	.set _ZN7rocprim17ROCPRIM_400000_NS6detail17trampoline_kernelINS0_13select_configILj256ELj13ELNS0_17block_load_methodE3ELS4_3ELS4_3ELNS0_20block_scan_algorithmE0ELj4294967295EEENS1_25partition_config_selectorILNS1_17partition_subalgoE3EjNS0_10empty_typeEbEEZZNS1_14partition_implILS8_3ELb0ES6_jNS0_17counting_iteratorIjlEEPS9_SE_NS0_5tupleIJPjSE_EEENSF_IJSE_SE_EEES9_SG_JZNS1_25segmented_radix_sort_implINS0_14default_configELb1EPKlPlSM_SN_N2at6native12_GLOBAL__N_18offset_tEEE10hipError_tPvRmT1_PNSt15iterator_traitsISV_E10value_typeET2_T3_PNSW_IS11_E10value_typeET4_jRbjT5_S17_jjP12ihipStream_tbEUljE_EEESS_ST_SU_S11_S15_S17_T6_T7_T9_mT8_S19_bDpT10_ENKUlT_T0_E_clISt17integral_constantIbLb1EES1M_EEDaS1H_S1I_EUlS1H_E_NS1_11comp_targetILNS1_3genE4ELNS1_11target_archE910ELNS1_3gpuE8ELNS1_3repE0EEENS1_30default_config_static_selectorELNS0_4arch9wavefront6targetE0EEEvSV_.uses_vcc, 0
	.set _ZN7rocprim17ROCPRIM_400000_NS6detail17trampoline_kernelINS0_13select_configILj256ELj13ELNS0_17block_load_methodE3ELS4_3ELS4_3ELNS0_20block_scan_algorithmE0ELj4294967295EEENS1_25partition_config_selectorILNS1_17partition_subalgoE3EjNS0_10empty_typeEbEEZZNS1_14partition_implILS8_3ELb0ES6_jNS0_17counting_iteratorIjlEEPS9_SE_NS0_5tupleIJPjSE_EEENSF_IJSE_SE_EEES9_SG_JZNS1_25segmented_radix_sort_implINS0_14default_configELb1EPKlPlSM_SN_N2at6native12_GLOBAL__N_18offset_tEEE10hipError_tPvRmT1_PNSt15iterator_traitsISV_E10value_typeET2_T3_PNSW_IS11_E10value_typeET4_jRbjT5_S17_jjP12ihipStream_tbEUljE_EEESS_ST_SU_S11_S15_S17_T6_T7_T9_mT8_S19_bDpT10_ENKUlT_T0_E_clISt17integral_constantIbLb1EES1M_EEDaS1H_S1I_EUlS1H_E_NS1_11comp_targetILNS1_3genE4ELNS1_11target_archE910ELNS1_3gpuE8ELNS1_3repE0EEENS1_30default_config_static_selectorELNS0_4arch9wavefront6targetE0EEEvSV_.uses_flat_scratch, 0
	.set _ZN7rocprim17ROCPRIM_400000_NS6detail17trampoline_kernelINS0_13select_configILj256ELj13ELNS0_17block_load_methodE3ELS4_3ELS4_3ELNS0_20block_scan_algorithmE0ELj4294967295EEENS1_25partition_config_selectorILNS1_17partition_subalgoE3EjNS0_10empty_typeEbEEZZNS1_14partition_implILS8_3ELb0ES6_jNS0_17counting_iteratorIjlEEPS9_SE_NS0_5tupleIJPjSE_EEENSF_IJSE_SE_EEES9_SG_JZNS1_25segmented_radix_sort_implINS0_14default_configELb1EPKlPlSM_SN_N2at6native12_GLOBAL__N_18offset_tEEE10hipError_tPvRmT1_PNSt15iterator_traitsISV_E10value_typeET2_T3_PNSW_IS11_E10value_typeET4_jRbjT5_S17_jjP12ihipStream_tbEUljE_EEESS_ST_SU_S11_S15_S17_T6_T7_T9_mT8_S19_bDpT10_ENKUlT_T0_E_clISt17integral_constantIbLb1EES1M_EEDaS1H_S1I_EUlS1H_E_NS1_11comp_targetILNS1_3genE4ELNS1_11target_archE910ELNS1_3gpuE8ELNS1_3repE0EEENS1_30default_config_static_selectorELNS0_4arch9wavefront6targetE0EEEvSV_.has_dyn_sized_stack, 0
	.set _ZN7rocprim17ROCPRIM_400000_NS6detail17trampoline_kernelINS0_13select_configILj256ELj13ELNS0_17block_load_methodE3ELS4_3ELS4_3ELNS0_20block_scan_algorithmE0ELj4294967295EEENS1_25partition_config_selectorILNS1_17partition_subalgoE3EjNS0_10empty_typeEbEEZZNS1_14partition_implILS8_3ELb0ES6_jNS0_17counting_iteratorIjlEEPS9_SE_NS0_5tupleIJPjSE_EEENSF_IJSE_SE_EEES9_SG_JZNS1_25segmented_radix_sort_implINS0_14default_configELb1EPKlPlSM_SN_N2at6native12_GLOBAL__N_18offset_tEEE10hipError_tPvRmT1_PNSt15iterator_traitsISV_E10value_typeET2_T3_PNSW_IS11_E10value_typeET4_jRbjT5_S17_jjP12ihipStream_tbEUljE_EEESS_ST_SU_S11_S15_S17_T6_T7_T9_mT8_S19_bDpT10_ENKUlT_T0_E_clISt17integral_constantIbLb1EES1M_EEDaS1H_S1I_EUlS1H_E_NS1_11comp_targetILNS1_3genE4ELNS1_11target_archE910ELNS1_3gpuE8ELNS1_3repE0EEENS1_30default_config_static_selectorELNS0_4arch9wavefront6targetE0EEEvSV_.has_recursion, 0
	.set _ZN7rocprim17ROCPRIM_400000_NS6detail17trampoline_kernelINS0_13select_configILj256ELj13ELNS0_17block_load_methodE3ELS4_3ELS4_3ELNS0_20block_scan_algorithmE0ELj4294967295EEENS1_25partition_config_selectorILNS1_17partition_subalgoE3EjNS0_10empty_typeEbEEZZNS1_14partition_implILS8_3ELb0ES6_jNS0_17counting_iteratorIjlEEPS9_SE_NS0_5tupleIJPjSE_EEENSF_IJSE_SE_EEES9_SG_JZNS1_25segmented_radix_sort_implINS0_14default_configELb1EPKlPlSM_SN_N2at6native12_GLOBAL__N_18offset_tEEE10hipError_tPvRmT1_PNSt15iterator_traitsISV_E10value_typeET2_T3_PNSW_IS11_E10value_typeET4_jRbjT5_S17_jjP12ihipStream_tbEUljE_EEESS_ST_SU_S11_S15_S17_T6_T7_T9_mT8_S19_bDpT10_ENKUlT_T0_E_clISt17integral_constantIbLb1EES1M_EEDaS1H_S1I_EUlS1H_E_NS1_11comp_targetILNS1_3genE4ELNS1_11target_archE910ELNS1_3gpuE8ELNS1_3repE0EEENS1_30default_config_static_selectorELNS0_4arch9wavefront6targetE0EEEvSV_.has_indirect_call, 0
	.section	.AMDGPU.csdata,"",@progbits
; Kernel info:
; codeLenInByte = 0
; TotalNumSgprs: 0
; NumVgprs: 0
; ScratchSize: 0
; MemoryBound: 0
; FloatMode: 240
; IeeeMode: 1
; LDSByteSize: 0 bytes/workgroup (compile time only)
; SGPRBlocks: 0
; VGPRBlocks: 0
; NumSGPRsForWavesPerEU: 1
; NumVGPRsForWavesPerEU: 1
; Occupancy: 16
; WaveLimiterHint : 0
; COMPUTE_PGM_RSRC2:SCRATCH_EN: 0
; COMPUTE_PGM_RSRC2:USER_SGPR: 6
; COMPUTE_PGM_RSRC2:TRAP_HANDLER: 0
; COMPUTE_PGM_RSRC2:TGID_X_EN: 1
; COMPUTE_PGM_RSRC2:TGID_Y_EN: 0
; COMPUTE_PGM_RSRC2:TGID_Z_EN: 0
; COMPUTE_PGM_RSRC2:TIDIG_COMP_CNT: 0
	.section	.text._ZN7rocprim17ROCPRIM_400000_NS6detail17trampoline_kernelINS0_13select_configILj256ELj13ELNS0_17block_load_methodE3ELS4_3ELS4_3ELNS0_20block_scan_algorithmE0ELj4294967295EEENS1_25partition_config_selectorILNS1_17partition_subalgoE3EjNS0_10empty_typeEbEEZZNS1_14partition_implILS8_3ELb0ES6_jNS0_17counting_iteratorIjlEEPS9_SE_NS0_5tupleIJPjSE_EEENSF_IJSE_SE_EEES9_SG_JZNS1_25segmented_radix_sort_implINS0_14default_configELb1EPKlPlSM_SN_N2at6native12_GLOBAL__N_18offset_tEEE10hipError_tPvRmT1_PNSt15iterator_traitsISV_E10value_typeET2_T3_PNSW_IS11_E10value_typeET4_jRbjT5_S17_jjP12ihipStream_tbEUljE_EEESS_ST_SU_S11_S15_S17_T6_T7_T9_mT8_S19_bDpT10_ENKUlT_T0_E_clISt17integral_constantIbLb1EES1M_EEDaS1H_S1I_EUlS1H_E_NS1_11comp_targetILNS1_3genE3ELNS1_11target_archE908ELNS1_3gpuE7ELNS1_3repE0EEENS1_30default_config_static_selectorELNS0_4arch9wavefront6targetE0EEEvSV_,"axG",@progbits,_ZN7rocprim17ROCPRIM_400000_NS6detail17trampoline_kernelINS0_13select_configILj256ELj13ELNS0_17block_load_methodE3ELS4_3ELS4_3ELNS0_20block_scan_algorithmE0ELj4294967295EEENS1_25partition_config_selectorILNS1_17partition_subalgoE3EjNS0_10empty_typeEbEEZZNS1_14partition_implILS8_3ELb0ES6_jNS0_17counting_iteratorIjlEEPS9_SE_NS0_5tupleIJPjSE_EEENSF_IJSE_SE_EEES9_SG_JZNS1_25segmented_radix_sort_implINS0_14default_configELb1EPKlPlSM_SN_N2at6native12_GLOBAL__N_18offset_tEEE10hipError_tPvRmT1_PNSt15iterator_traitsISV_E10value_typeET2_T3_PNSW_IS11_E10value_typeET4_jRbjT5_S17_jjP12ihipStream_tbEUljE_EEESS_ST_SU_S11_S15_S17_T6_T7_T9_mT8_S19_bDpT10_ENKUlT_T0_E_clISt17integral_constantIbLb1EES1M_EEDaS1H_S1I_EUlS1H_E_NS1_11comp_targetILNS1_3genE3ELNS1_11target_archE908ELNS1_3gpuE7ELNS1_3repE0EEENS1_30default_config_static_selectorELNS0_4arch9wavefront6targetE0EEEvSV_,comdat
	.globl	_ZN7rocprim17ROCPRIM_400000_NS6detail17trampoline_kernelINS0_13select_configILj256ELj13ELNS0_17block_load_methodE3ELS4_3ELS4_3ELNS0_20block_scan_algorithmE0ELj4294967295EEENS1_25partition_config_selectorILNS1_17partition_subalgoE3EjNS0_10empty_typeEbEEZZNS1_14partition_implILS8_3ELb0ES6_jNS0_17counting_iteratorIjlEEPS9_SE_NS0_5tupleIJPjSE_EEENSF_IJSE_SE_EEES9_SG_JZNS1_25segmented_radix_sort_implINS0_14default_configELb1EPKlPlSM_SN_N2at6native12_GLOBAL__N_18offset_tEEE10hipError_tPvRmT1_PNSt15iterator_traitsISV_E10value_typeET2_T3_PNSW_IS11_E10value_typeET4_jRbjT5_S17_jjP12ihipStream_tbEUljE_EEESS_ST_SU_S11_S15_S17_T6_T7_T9_mT8_S19_bDpT10_ENKUlT_T0_E_clISt17integral_constantIbLb1EES1M_EEDaS1H_S1I_EUlS1H_E_NS1_11comp_targetILNS1_3genE3ELNS1_11target_archE908ELNS1_3gpuE7ELNS1_3repE0EEENS1_30default_config_static_selectorELNS0_4arch9wavefront6targetE0EEEvSV_ ; -- Begin function _ZN7rocprim17ROCPRIM_400000_NS6detail17trampoline_kernelINS0_13select_configILj256ELj13ELNS0_17block_load_methodE3ELS4_3ELS4_3ELNS0_20block_scan_algorithmE0ELj4294967295EEENS1_25partition_config_selectorILNS1_17partition_subalgoE3EjNS0_10empty_typeEbEEZZNS1_14partition_implILS8_3ELb0ES6_jNS0_17counting_iteratorIjlEEPS9_SE_NS0_5tupleIJPjSE_EEENSF_IJSE_SE_EEES9_SG_JZNS1_25segmented_radix_sort_implINS0_14default_configELb1EPKlPlSM_SN_N2at6native12_GLOBAL__N_18offset_tEEE10hipError_tPvRmT1_PNSt15iterator_traitsISV_E10value_typeET2_T3_PNSW_IS11_E10value_typeET4_jRbjT5_S17_jjP12ihipStream_tbEUljE_EEESS_ST_SU_S11_S15_S17_T6_T7_T9_mT8_S19_bDpT10_ENKUlT_T0_E_clISt17integral_constantIbLb1EES1M_EEDaS1H_S1I_EUlS1H_E_NS1_11comp_targetILNS1_3genE3ELNS1_11target_archE908ELNS1_3gpuE7ELNS1_3repE0EEENS1_30default_config_static_selectorELNS0_4arch9wavefront6targetE0EEEvSV_
	.p2align	8
	.type	_ZN7rocprim17ROCPRIM_400000_NS6detail17trampoline_kernelINS0_13select_configILj256ELj13ELNS0_17block_load_methodE3ELS4_3ELS4_3ELNS0_20block_scan_algorithmE0ELj4294967295EEENS1_25partition_config_selectorILNS1_17partition_subalgoE3EjNS0_10empty_typeEbEEZZNS1_14partition_implILS8_3ELb0ES6_jNS0_17counting_iteratorIjlEEPS9_SE_NS0_5tupleIJPjSE_EEENSF_IJSE_SE_EEES9_SG_JZNS1_25segmented_radix_sort_implINS0_14default_configELb1EPKlPlSM_SN_N2at6native12_GLOBAL__N_18offset_tEEE10hipError_tPvRmT1_PNSt15iterator_traitsISV_E10value_typeET2_T3_PNSW_IS11_E10value_typeET4_jRbjT5_S17_jjP12ihipStream_tbEUljE_EEESS_ST_SU_S11_S15_S17_T6_T7_T9_mT8_S19_bDpT10_ENKUlT_T0_E_clISt17integral_constantIbLb1EES1M_EEDaS1H_S1I_EUlS1H_E_NS1_11comp_targetILNS1_3genE3ELNS1_11target_archE908ELNS1_3gpuE7ELNS1_3repE0EEENS1_30default_config_static_selectorELNS0_4arch9wavefront6targetE0EEEvSV_,@function
_ZN7rocprim17ROCPRIM_400000_NS6detail17trampoline_kernelINS0_13select_configILj256ELj13ELNS0_17block_load_methodE3ELS4_3ELS4_3ELNS0_20block_scan_algorithmE0ELj4294967295EEENS1_25partition_config_selectorILNS1_17partition_subalgoE3EjNS0_10empty_typeEbEEZZNS1_14partition_implILS8_3ELb0ES6_jNS0_17counting_iteratorIjlEEPS9_SE_NS0_5tupleIJPjSE_EEENSF_IJSE_SE_EEES9_SG_JZNS1_25segmented_radix_sort_implINS0_14default_configELb1EPKlPlSM_SN_N2at6native12_GLOBAL__N_18offset_tEEE10hipError_tPvRmT1_PNSt15iterator_traitsISV_E10value_typeET2_T3_PNSW_IS11_E10value_typeET4_jRbjT5_S17_jjP12ihipStream_tbEUljE_EEESS_ST_SU_S11_S15_S17_T6_T7_T9_mT8_S19_bDpT10_ENKUlT_T0_E_clISt17integral_constantIbLb1EES1M_EEDaS1H_S1I_EUlS1H_E_NS1_11comp_targetILNS1_3genE3ELNS1_11target_archE908ELNS1_3gpuE7ELNS1_3repE0EEENS1_30default_config_static_selectorELNS0_4arch9wavefront6targetE0EEEvSV_: ; @_ZN7rocprim17ROCPRIM_400000_NS6detail17trampoline_kernelINS0_13select_configILj256ELj13ELNS0_17block_load_methodE3ELS4_3ELS4_3ELNS0_20block_scan_algorithmE0ELj4294967295EEENS1_25partition_config_selectorILNS1_17partition_subalgoE3EjNS0_10empty_typeEbEEZZNS1_14partition_implILS8_3ELb0ES6_jNS0_17counting_iteratorIjlEEPS9_SE_NS0_5tupleIJPjSE_EEENSF_IJSE_SE_EEES9_SG_JZNS1_25segmented_radix_sort_implINS0_14default_configELb1EPKlPlSM_SN_N2at6native12_GLOBAL__N_18offset_tEEE10hipError_tPvRmT1_PNSt15iterator_traitsISV_E10value_typeET2_T3_PNSW_IS11_E10value_typeET4_jRbjT5_S17_jjP12ihipStream_tbEUljE_EEESS_ST_SU_S11_S15_S17_T6_T7_T9_mT8_S19_bDpT10_ENKUlT_T0_E_clISt17integral_constantIbLb1EES1M_EEDaS1H_S1I_EUlS1H_E_NS1_11comp_targetILNS1_3genE3ELNS1_11target_archE908ELNS1_3gpuE7ELNS1_3repE0EEENS1_30default_config_static_selectorELNS0_4arch9wavefront6targetE0EEEvSV_
; %bb.0:
	.section	.rodata,"a",@progbits
	.p2align	6, 0x0
	.amdhsa_kernel _ZN7rocprim17ROCPRIM_400000_NS6detail17trampoline_kernelINS0_13select_configILj256ELj13ELNS0_17block_load_methodE3ELS4_3ELS4_3ELNS0_20block_scan_algorithmE0ELj4294967295EEENS1_25partition_config_selectorILNS1_17partition_subalgoE3EjNS0_10empty_typeEbEEZZNS1_14partition_implILS8_3ELb0ES6_jNS0_17counting_iteratorIjlEEPS9_SE_NS0_5tupleIJPjSE_EEENSF_IJSE_SE_EEES9_SG_JZNS1_25segmented_radix_sort_implINS0_14default_configELb1EPKlPlSM_SN_N2at6native12_GLOBAL__N_18offset_tEEE10hipError_tPvRmT1_PNSt15iterator_traitsISV_E10value_typeET2_T3_PNSW_IS11_E10value_typeET4_jRbjT5_S17_jjP12ihipStream_tbEUljE_EEESS_ST_SU_S11_S15_S17_T6_T7_T9_mT8_S19_bDpT10_ENKUlT_T0_E_clISt17integral_constantIbLb1EES1M_EEDaS1H_S1I_EUlS1H_E_NS1_11comp_targetILNS1_3genE3ELNS1_11target_archE908ELNS1_3gpuE7ELNS1_3repE0EEENS1_30default_config_static_selectorELNS0_4arch9wavefront6targetE0EEEvSV_
		.amdhsa_group_segment_fixed_size 0
		.amdhsa_private_segment_fixed_size 0
		.amdhsa_kernarg_size 152
		.amdhsa_user_sgpr_count 6
		.amdhsa_user_sgpr_private_segment_buffer 1
		.amdhsa_user_sgpr_dispatch_ptr 0
		.amdhsa_user_sgpr_queue_ptr 0
		.amdhsa_user_sgpr_kernarg_segment_ptr 1
		.amdhsa_user_sgpr_dispatch_id 0
		.amdhsa_user_sgpr_flat_scratch_init 0
		.amdhsa_user_sgpr_private_segment_size 0
		.amdhsa_wavefront_size32 1
		.amdhsa_uses_dynamic_stack 0
		.amdhsa_system_sgpr_private_segment_wavefront_offset 0
		.amdhsa_system_sgpr_workgroup_id_x 1
		.amdhsa_system_sgpr_workgroup_id_y 0
		.amdhsa_system_sgpr_workgroup_id_z 0
		.amdhsa_system_sgpr_workgroup_info 0
		.amdhsa_system_vgpr_workitem_id 0
		.amdhsa_next_free_vgpr 1
		.amdhsa_next_free_sgpr 1
		.amdhsa_reserve_vcc 0
		.amdhsa_reserve_flat_scratch 0
		.amdhsa_float_round_mode_32 0
		.amdhsa_float_round_mode_16_64 0
		.amdhsa_float_denorm_mode_32 3
		.amdhsa_float_denorm_mode_16_64 3
		.amdhsa_dx10_clamp 1
		.amdhsa_ieee_mode 1
		.amdhsa_fp16_overflow 0
		.amdhsa_workgroup_processor_mode 1
		.amdhsa_memory_ordered 1
		.amdhsa_forward_progress 1
		.amdhsa_shared_vgpr_count 0
		.amdhsa_exception_fp_ieee_invalid_op 0
		.amdhsa_exception_fp_denorm_src 0
		.amdhsa_exception_fp_ieee_div_zero 0
		.amdhsa_exception_fp_ieee_overflow 0
		.amdhsa_exception_fp_ieee_underflow 0
		.amdhsa_exception_fp_ieee_inexact 0
		.amdhsa_exception_int_div_zero 0
	.end_amdhsa_kernel
	.section	.text._ZN7rocprim17ROCPRIM_400000_NS6detail17trampoline_kernelINS0_13select_configILj256ELj13ELNS0_17block_load_methodE3ELS4_3ELS4_3ELNS0_20block_scan_algorithmE0ELj4294967295EEENS1_25partition_config_selectorILNS1_17partition_subalgoE3EjNS0_10empty_typeEbEEZZNS1_14partition_implILS8_3ELb0ES6_jNS0_17counting_iteratorIjlEEPS9_SE_NS0_5tupleIJPjSE_EEENSF_IJSE_SE_EEES9_SG_JZNS1_25segmented_radix_sort_implINS0_14default_configELb1EPKlPlSM_SN_N2at6native12_GLOBAL__N_18offset_tEEE10hipError_tPvRmT1_PNSt15iterator_traitsISV_E10value_typeET2_T3_PNSW_IS11_E10value_typeET4_jRbjT5_S17_jjP12ihipStream_tbEUljE_EEESS_ST_SU_S11_S15_S17_T6_T7_T9_mT8_S19_bDpT10_ENKUlT_T0_E_clISt17integral_constantIbLb1EES1M_EEDaS1H_S1I_EUlS1H_E_NS1_11comp_targetILNS1_3genE3ELNS1_11target_archE908ELNS1_3gpuE7ELNS1_3repE0EEENS1_30default_config_static_selectorELNS0_4arch9wavefront6targetE0EEEvSV_,"axG",@progbits,_ZN7rocprim17ROCPRIM_400000_NS6detail17trampoline_kernelINS0_13select_configILj256ELj13ELNS0_17block_load_methodE3ELS4_3ELS4_3ELNS0_20block_scan_algorithmE0ELj4294967295EEENS1_25partition_config_selectorILNS1_17partition_subalgoE3EjNS0_10empty_typeEbEEZZNS1_14partition_implILS8_3ELb0ES6_jNS0_17counting_iteratorIjlEEPS9_SE_NS0_5tupleIJPjSE_EEENSF_IJSE_SE_EEES9_SG_JZNS1_25segmented_radix_sort_implINS0_14default_configELb1EPKlPlSM_SN_N2at6native12_GLOBAL__N_18offset_tEEE10hipError_tPvRmT1_PNSt15iterator_traitsISV_E10value_typeET2_T3_PNSW_IS11_E10value_typeET4_jRbjT5_S17_jjP12ihipStream_tbEUljE_EEESS_ST_SU_S11_S15_S17_T6_T7_T9_mT8_S19_bDpT10_ENKUlT_T0_E_clISt17integral_constantIbLb1EES1M_EEDaS1H_S1I_EUlS1H_E_NS1_11comp_targetILNS1_3genE3ELNS1_11target_archE908ELNS1_3gpuE7ELNS1_3repE0EEENS1_30default_config_static_selectorELNS0_4arch9wavefront6targetE0EEEvSV_,comdat
.Lfunc_end677:
	.size	_ZN7rocprim17ROCPRIM_400000_NS6detail17trampoline_kernelINS0_13select_configILj256ELj13ELNS0_17block_load_methodE3ELS4_3ELS4_3ELNS0_20block_scan_algorithmE0ELj4294967295EEENS1_25partition_config_selectorILNS1_17partition_subalgoE3EjNS0_10empty_typeEbEEZZNS1_14partition_implILS8_3ELb0ES6_jNS0_17counting_iteratorIjlEEPS9_SE_NS0_5tupleIJPjSE_EEENSF_IJSE_SE_EEES9_SG_JZNS1_25segmented_radix_sort_implINS0_14default_configELb1EPKlPlSM_SN_N2at6native12_GLOBAL__N_18offset_tEEE10hipError_tPvRmT1_PNSt15iterator_traitsISV_E10value_typeET2_T3_PNSW_IS11_E10value_typeET4_jRbjT5_S17_jjP12ihipStream_tbEUljE_EEESS_ST_SU_S11_S15_S17_T6_T7_T9_mT8_S19_bDpT10_ENKUlT_T0_E_clISt17integral_constantIbLb1EES1M_EEDaS1H_S1I_EUlS1H_E_NS1_11comp_targetILNS1_3genE3ELNS1_11target_archE908ELNS1_3gpuE7ELNS1_3repE0EEENS1_30default_config_static_selectorELNS0_4arch9wavefront6targetE0EEEvSV_, .Lfunc_end677-_ZN7rocprim17ROCPRIM_400000_NS6detail17trampoline_kernelINS0_13select_configILj256ELj13ELNS0_17block_load_methodE3ELS4_3ELS4_3ELNS0_20block_scan_algorithmE0ELj4294967295EEENS1_25partition_config_selectorILNS1_17partition_subalgoE3EjNS0_10empty_typeEbEEZZNS1_14partition_implILS8_3ELb0ES6_jNS0_17counting_iteratorIjlEEPS9_SE_NS0_5tupleIJPjSE_EEENSF_IJSE_SE_EEES9_SG_JZNS1_25segmented_radix_sort_implINS0_14default_configELb1EPKlPlSM_SN_N2at6native12_GLOBAL__N_18offset_tEEE10hipError_tPvRmT1_PNSt15iterator_traitsISV_E10value_typeET2_T3_PNSW_IS11_E10value_typeET4_jRbjT5_S17_jjP12ihipStream_tbEUljE_EEESS_ST_SU_S11_S15_S17_T6_T7_T9_mT8_S19_bDpT10_ENKUlT_T0_E_clISt17integral_constantIbLb1EES1M_EEDaS1H_S1I_EUlS1H_E_NS1_11comp_targetILNS1_3genE3ELNS1_11target_archE908ELNS1_3gpuE7ELNS1_3repE0EEENS1_30default_config_static_selectorELNS0_4arch9wavefront6targetE0EEEvSV_
                                        ; -- End function
	.set _ZN7rocprim17ROCPRIM_400000_NS6detail17trampoline_kernelINS0_13select_configILj256ELj13ELNS0_17block_load_methodE3ELS4_3ELS4_3ELNS0_20block_scan_algorithmE0ELj4294967295EEENS1_25partition_config_selectorILNS1_17partition_subalgoE3EjNS0_10empty_typeEbEEZZNS1_14partition_implILS8_3ELb0ES6_jNS0_17counting_iteratorIjlEEPS9_SE_NS0_5tupleIJPjSE_EEENSF_IJSE_SE_EEES9_SG_JZNS1_25segmented_radix_sort_implINS0_14default_configELb1EPKlPlSM_SN_N2at6native12_GLOBAL__N_18offset_tEEE10hipError_tPvRmT1_PNSt15iterator_traitsISV_E10value_typeET2_T3_PNSW_IS11_E10value_typeET4_jRbjT5_S17_jjP12ihipStream_tbEUljE_EEESS_ST_SU_S11_S15_S17_T6_T7_T9_mT8_S19_bDpT10_ENKUlT_T0_E_clISt17integral_constantIbLb1EES1M_EEDaS1H_S1I_EUlS1H_E_NS1_11comp_targetILNS1_3genE3ELNS1_11target_archE908ELNS1_3gpuE7ELNS1_3repE0EEENS1_30default_config_static_selectorELNS0_4arch9wavefront6targetE0EEEvSV_.num_vgpr, 0
	.set _ZN7rocprim17ROCPRIM_400000_NS6detail17trampoline_kernelINS0_13select_configILj256ELj13ELNS0_17block_load_methodE3ELS4_3ELS4_3ELNS0_20block_scan_algorithmE0ELj4294967295EEENS1_25partition_config_selectorILNS1_17partition_subalgoE3EjNS0_10empty_typeEbEEZZNS1_14partition_implILS8_3ELb0ES6_jNS0_17counting_iteratorIjlEEPS9_SE_NS0_5tupleIJPjSE_EEENSF_IJSE_SE_EEES9_SG_JZNS1_25segmented_radix_sort_implINS0_14default_configELb1EPKlPlSM_SN_N2at6native12_GLOBAL__N_18offset_tEEE10hipError_tPvRmT1_PNSt15iterator_traitsISV_E10value_typeET2_T3_PNSW_IS11_E10value_typeET4_jRbjT5_S17_jjP12ihipStream_tbEUljE_EEESS_ST_SU_S11_S15_S17_T6_T7_T9_mT8_S19_bDpT10_ENKUlT_T0_E_clISt17integral_constantIbLb1EES1M_EEDaS1H_S1I_EUlS1H_E_NS1_11comp_targetILNS1_3genE3ELNS1_11target_archE908ELNS1_3gpuE7ELNS1_3repE0EEENS1_30default_config_static_selectorELNS0_4arch9wavefront6targetE0EEEvSV_.num_agpr, 0
	.set _ZN7rocprim17ROCPRIM_400000_NS6detail17trampoline_kernelINS0_13select_configILj256ELj13ELNS0_17block_load_methodE3ELS4_3ELS4_3ELNS0_20block_scan_algorithmE0ELj4294967295EEENS1_25partition_config_selectorILNS1_17partition_subalgoE3EjNS0_10empty_typeEbEEZZNS1_14partition_implILS8_3ELb0ES6_jNS0_17counting_iteratorIjlEEPS9_SE_NS0_5tupleIJPjSE_EEENSF_IJSE_SE_EEES9_SG_JZNS1_25segmented_radix_sort_implINS0_14default_configELb1EPKlPlSM_SN_N2at6native12_GLOBAL__N_18offset_tEEE10hipError_tPvRmT1_PNSt15iterator_traitsISV_E10value_typeET2_T3_PNSW_IS11_E10value_typeET4_jRbjT5_S17_jjP12ihipStream_tbEUljE_EEESS_ST_SU_S11_S15_S17_T6_T7_T9_mT8_S19_bDpT10_ENKUlT_T0_E_clISt17integral_constantIbLb1EES1M_EEDaS1H_S1I_EUlS1H_E_NS1_11comp_targetILNS1_3genE3ELNS1_11target_archE908ELNS1_3gpuE7ELNS1_3repE0EEENS1_30default_config_static_selectorELNS0_4arch9wavefront6targetE0EEEvSV_.numbered_sgpr, 0
	.set _ZN7rocprim17ROCPRIM_400000_NS6detail17trampoline_kernelINS0_13select_configILj256ELj13ELNS0_17block_load_methodE3ELS4_3ELS4_3ELNS0_20block_scan_algorithmE0ELj4294967295EEENS1_25partition_config_selectorILNS1_17partition_subalgoE3EjNS0_10empty_typeEbEEZZNS1_14partition_implILS8_3ELb0ES6_jNS0_17counting_iteratorIjlEEPS9_SE_NS0_5tupleIJPjSE_EEENSF_IJSE_SE_EEES9_SG_JZNS1_25segmented_radix_sort_implINS0_14default_configELb1EPKlPlSM_SN_N2at6native12_GLOBAL__N_18offset_tEEE10hipError_tPvRmT1_PNSt15iterator_traitsISV_E10value_typeET2_T3_PNSW_IS11_E10value_typeET4_jRbjT5_S17_jjP12ihipStream_tbEUljE_EEESS_ST_SU_S11_S15_S17_T6_T7_T9_mT8_S19_bDpT10_ENKUlT_T0_E_clISt17integral_constantIbLb1EES1M_EEDaS1H_S1I_EUlS1H_E_NS1_11comp_targetILNS1_3genE3ELNS1_11target_archE908ELNS1_3gpuE7ELNS1_3repE0EEENS1_30default_config_static_selectorELNS0_4arch9wavefront6targetE0EEEvSV_.num_named_barrier, 0
	.set _ZN7rocprim17ROCPRIM_400000_NS6detail17trampoline_kernelINS0_13select_configILj256ELj13ELNS0_17block_load_methodE3ELS4_3ELS4_3ELNS0_20block_scan_algorithmE0ELj4294967295EEENS1_25partition_config_selectorILNS1_17partition_subalgoE3EjNS0_10empty_typeEbEEZZNS1_14partition_implILS8_3ELb0ES6_jNS0_17counting_iteratorIjlEEPS9_SE_NS0_5tupleIJPjSE_EEENSF_IJSE_SE_EEES9_SG_JZNS1_25segmented_radix_sort_implINS0_14default_configELb1EPKlPlSM_SN_N2at6native12_GLOBAL__N_18offset_tEEE10hipError_tPvRmT1_PNSt15iterator_traitsISV_E10value_typeET2_T3_PNSW_IS11_E10value_typeET4_jRbjT5_S17_jjP12ihipStream_tbEUljE_EEESS_ST_SU_S11_S15_S17_T6_T7_T9_mT8_S19_bDpT10_ENKUlT_T0_E_clISt17integral_constantIbLb1EES1M_EEDaS1H_S1I_EUlS1H_E_NS1_11comp_targetILNS1_3genE3ELNS1_11target_archE908ELNS1_3gpuE7ELNS1_3repE0EEENS1_30default_config_static_selectorELNS0_4arch9wavefront6targetE0EEEvSV_.private_seg_size, 0
	.set _ZN7rocprim17ROCPRIM_400000_NS6detail17trampoline_kernelINS0_13select_configILj256ELj13ELNS0_17block_load_methodE3ELS4_3ELS4_3ELNS0_20block_scan_algorithmE0ELj4294967295EEENS1_25partition_config_selectorILNS1_17partition_subalgoE3EjNS0_10empty_typeEbEEZZNS1_14partition_implILS8_3ELb0ES6_jNS0_17counting_iteratorIjlEEPS9_SE_NS0_5tupleIJPjSE_EEENSF_IJSE_SE_EEES9_SG_JZNS1_25segmented_radix_sort_implINS0_14default_configELb1EPKlPlSM_SN_N2at6native12_GLOBAL__N_18offset_tEEE10hipError_tPvRmT1_PNSt15iterator_traitsISV_E10value_typeET2_T3_PNSW_IS11_E10value_typeET4_jRbjT5_S17_jjP12ihipStream_tbEUljE_EEESS_ST_SU_S11_S15_S17_T6_T7_T9_mT8_S19_bDpT10_ENKUlT_T0_E_clISt17integral_constantIbLb1EES1M_EEDaS1H_S1I_EUlS1H_E_NS1_11comp_targetILNS1_3genE3ELNS1_11target_archE908ELNS1_3gpuE7ELNS1_3repE0EEENS1_30default_config_static_selectorELNS0_4arch9wavefront6targetE0EEEvSV_.uses_vcc, 0
	.set _ZN7rocprim17ROCPRIM_400000_NS6detail17trampoline_kernelINS0_13select_configILj256ELj13ELNS0_17block_load_methodE3ELS4_3ELS4_3ELNS0_20block_scan_algorithmE0ELj4294967295EEENS1_25partition_config_selectorILNS1_17partition_subalgoE3EjNS0_10empty_typeEbEEZZNS1_14partition_implILS8_3ELb0ES6_jNS0_17counting_iteratorIjlEEPS9_SE_NS0_5tupleIJPjSE_EEENSF_IJSE_SE_EEES9_SG_JZNS1_25segmented_radix_sort_implINS0_14default_configELb1EPKlPlSM_SN_N2at6native12_GLOBAL__N_18offset_tEEE10hipError_tPvRmT1_PNSt15iterator_traitsISV_E10value_typeET2_T3_PNSW_IS11_E10value_typeET4_jRbjT5_S17_jjP12ihipStream_tbEUljE_EEESS_ST_SU_S11_S15_S17_T6_T7_T9_mT8_S19_bDpT10_ENKUlT_T0_E_clISt17integral_constantIbLb1EES1M_EEDaS1H_S1I_EUlS1H_E_NS1_11comp_targetILNS1_3genE3ELNS1_11target_archE908ELNS1_3gpuE7ELNS1_3repE0EEENS1_30default_config_static_selectorELNS0_4arch9wavefront6targetE0EEEvSV_.uses_flat_scratch, 0
	.set _ZN7rocprim17ROCPRIM_400000_NS6detail17trampoline_kernelINS0_13select_configILj256ELj13ELNS0_17block_load_methodE3ELS4_3ELS4_3ELNS0_20block_scan_algorithmE0ELj4294967295EEENS1_25partition_config_selectorILNS1_17partition_subalgoE3EjNS0_10empty_typeEbEEZZNS1_14partition_implILS8_3ELb0ES6_jNS0_17counting_iteratorIjlEEPS9_SE_NS0_5tupleIJPjSE_EEENSF_IJSE_SE_EEES9_SG_JZNS1_25segmented_radix_sort_implINS0_14default_configELb1EPKlPlSM_SN_N2at6native12_GLOBAL__N_18offset_tEEE10hipError_tPvRmT1_PNSt15iterator_traitsISV_E10value_typeET2_T3_PNSW_IS11_E10value_typeET4_jRbjT5_S17_jjP12ihipStream_tbEUljE_EEESS_ST_SU_S11_S15_S17_T6_T7_T9_mT8_S19_bDpT10_ENKUlT_T0_E_clISt17integral_constantIbLb1EES1M_EEDaS1H_S1I_EUlS1H_E_NS1_11comp_targetILNS1_3genE3ELNS1_11target_archE908ELNS1_3gpuE7ELNS1_3repE0EEENS1_30default_config_static_selectorELNS0_4arch9wavefront6targetE0EEEvSV_.has_dyn_sized_stack, 0
	.set _ZN7rocprim17ROCPRIM_400000_NS6detail17trampoline_kernelINS0_13select_configILj256ELj13ELNS0_17block_load_methodE3ELS4_3ELS4_3ELNS0_20block_scan_algorithmE0ELj4294967295EEENS1_25partition_config_selectorILNS1_17partition_subalgoE3EjNS0_10empty_typeEbEEZZNS1_14partition_implILS8_3ELb0ES6_jNS0_17counting_iteratorIjlEEPS9_SE_NS0_5tupleIJPjSE_EEENSF_IJSE_SE_EEES9_SG_JZNS1_25segmented_radix_sort_implINS0_14default_configELb1EPKlPlSM_SN_N2at6native12_GLOBAL__N_18offset_tEEE10hipError_tPvRmT1_PNSt15iterator_traitsISV_E10value_typeET2_T3_PNSW_IS11_E10value_typeET4_jRbjT5_S17_jjP12ihipStream_tbEUljE_EEESS_ST_SU_S11_S15_S17_T6_T7_T9_mT8_S19_bDpT10_ENKUlT_T0_E_clISt17integral_constantIbLb1EES1M_EEDaS1H_S1I_EUlS1H_E_NS1_11comp_targetILNS1_3genE3ELNS1_11target_archE908ELNS1_3gpuE7ELNS1_3repE0EEENS1_30default_config_static_selectorELNS0_4arch9wavefront6targetE0EEEvSV_.has_recursion, 0
	.set _ZN7rocprim17ROCPRIM_400000_NS6detail17trampoline_kernelINS0_13select_configILj256ELj13ELNS0_17block_load_methodE3ELS4_3ELS4_3ELNS0_20block_scan_algorithmE0ELj4294967295EEENS1_25partition_config_selectorILNS1_17partition_subalgoE3EjNS0_10empty_typeEbEEZZNS1_14partition_implILS8_3ELb0ES6_jNS0_17counting_iteratorIjlEEPS9_SE_NS0_5tupleIJPjSE_EEENSF_IJSE_SE_EEES9_SG_JZNS1_25segmented_radix_sort_implINS0_14default_configELb1EPKlPlSM_SN_N2at6native12_GLOBAL__N_18offset_tEEE10hipError_tPvRmT1_PNSt15iterator_traitsISV_E10value_typeET2_T3_PNSW_IS11_E10value_typeET4_jRbjT5_S17_jjP12ihipStream_tbEUljE_EEESS_ST_SU_S11_S15_S17_T6_T7_T9_mT8_S19_bDpT10_ENKUlT_T0_E_clISt17integral_constantIbLb1EES1M_EEDaS1H_S1I_EUlS1H_E_NS1_11comp_targetILNS1_3genE3ELNS1_11target_archE908ELNS1_3gpuE7ELNS1_3repE0EEENS1_30default_config_static_selectorELNS0_4arch9wavefront6targetE0EEEvSV_.has_indirect_call, 0
	.section	.AMDGPU.csdata,"",@progbits
; Kernel info:
; codeLenInByte = 0
; TotalNumSgprs: 0
; NumVgprs: 0
; ScratchSize: 0
; MemoryBound: 0
; FloatMode: 240
; IeeeMode: 1
; LDSByteSize: 0 bytes/workgroup (compile time only)
; SGPRBlocks: 0
; VGPRBlocks: 0
; NumSGPRsForWavesPerEU: 1
; NumVGPRsForWavesPerEU: 1
; Occupancy: 16
; WaveLimiterHint : 0
; COMPUTE_PGM_RSRC2:SCRATCH_EN: 0
; COMPUTE_PGM_RSRC2:USER_SGPR: 6
; COMPUTE_PGM_RSRC2:TRAP_HANDLER: 0
; COMPUTE_PGM_RSRC2:TGID_X_EN: 1
; COMPUTE_PGM_RSRC2:TGID_Y_EN: 0
; COMPUTE_PGM_RSRC2:TGID_Z_EN: 0
; COMPUTE_PGM_RSRC2:TIDIG_COMP_CNT: 0
	.section	.text._ZN7rocprim17ROCPRIM_400000_NS6detail17trampoline_kernelINS0_13select_configILj256ELj13ELNS0_17block_load_methodE3ELS4_3ELS4_3ELNS0_20block_scan_algorithmE0ELj4294967295EEENS1_25partition_config_selectorILNS1_17partition_subalgoE3EjNS0_10empty_typeEbEEZZNS1_14partition_implILS8_3ELb0ES6_jNS0_17counting_iteratorIjlEEPS9_SE_NS0_5tupleIJPjSE_EEENSF_IJSE_SE_EEES9_SG_JZNS1_25segmented_radix_sort_implINS0_14default_configELb1EPKlPlSM_SN_N2at6native12_GLOBAL__N_18offset_tEEE10hipError_tPvRmT1_PNSt15iterator_traitsISV_E10value_typeET2_T3_PNSW_IS11_E10value_typeET4_jRbjT5_S17_jjP12ihipStream_tbEUljE_EEESS_ST_SU_S11_S15_S17_T6_T7_T9_mT8_S19_bDpT10_ENKUlT_T0_E_clISt17integral_constantIbLb1EES1M_EEDaS1H_S1I_EUlS1H_E_NS1_11comp_targetILNS1_3genE2ELNS1_11target_archE906ELNS1_3gpuE6ELNS1_3repE0EEENS1_30default_config_static_selectorELNS0_4arch9wavefront6targetE0EEEvSV_,"axG",@progbits,_ZN7rocprim17ROCPRIM_400000_NS6detail17trampoline_kernelINS0_13select_configILj256ELj13ELNS0_17block_load_methodE3ELS4_3ELS4_3ELNS0_20block_scan_algorithmE0ELj4294967295EEENS1_25partition_config_selectorILNS1_17partition_subalgoE3EjNS0_10empty_typeEbEEZZNS1_14partition_implILS8_3ELb0ES6_jNS0_17counting_iteratorIjlEEPS9_SE_NS0_5tupleIJPjSE_EEENSF_IJSE_SE_EEES9_SG_JZNS1_25segmented_radix_sort_implINS0_14default_configELb1EPKlPlSM_SN_N2at6native12_GLOBAL__N_18offset_tEEE10hipError_tPvRmT1_PNSt15iterator_traitsISV_E10value_typeET2_T3_PNSW_IS11_E10value_typeET4_jRbjT5_S17_jjP12ihipStream_tbEUljE_EEESS_ST_SU_S11_S15_S17_T6_T7_T9_mT8_S19_bDpT10_ENKUlT_T0_E_clISt17integral_constantIbLb1EES1M_EEDaS1H_S1I_EUlS1H_E_NS1_11comp_targetILNS1_3genE2ELNS1_11target_archE906ELNS1_3gpuE6ELNS1_3repE0EEENS1_30default_config_static_selectorELNS0_4arch9wavefront6targetE0EEEvSV_,comdat
	.globl	_ZN7rocprim17ROCPRIM_400000_NS6detail17trampoline_kernelINS0_13select_configILj256ELj13ELNS0_17block_load_methodE3ELS4_3ELS4_3ELNS0_20block_scan_algorithmE0ELj4294967295EEENS1_25partition_config_selectorILNS1_17partition_subalgoE3EjNS0_10empty_typeEbEEZZNS1_14partition_implILS8_3ELb0ES6_jNS0_17counting_iteratorIjlEEPS9_SE_NS0_5tupleIJPjSE_EEENSF_IJSE_SE_EEES9_SG_JZNS1_25segmented_radix_sort_implINS0_14default_configELb1EPKlPlSM_SN_N2at6native12_GLOBAL__N_18offset_tEEE10hipError_tPvRmT1_PNSt15iterator_traitsISV_E10value_typeET2_T3_PNSW_IS11_E10value_typeET4_jRbjT5_S17_jjP12ihipStream_tbEUljE_EEESS_ST_SU_S11_S15_S17_T6_T7_T9_mT8_S19_bDpT10_ENKUlT_T0_E_clISt17integral_constantIbLb1EES1M_EEDaS1H_S1I_EUlS1H_E_NS1_11comp_targetILNS1_3genE2ELNS1_11target_archE906ELNS1_3gpuE6ELNS1_3repE0EEENS1_30default_config_static_selectorELNS0_4arch9wavefront6targetE0EEEvSV_ ; -- Begin function _ZN7rocprim17ROCPRIM_400000_NS6detail17trampoline_kernelINS0_13select_configILj256ELj13ELNS0_17block_load_methodE3ELS4_3ELS4_3ELNS0_20block_scan_algorithmE0ELj4294967295EEENS1_25partition_config_selectorILNS1_17partition_subalgoE3EjNS0_10empty_typeEbEEZZNS1_14partition_implILS8_3ELb0ES6_jNS0_17counting_iteratorIjlEEPS9_SE_NS0_5tupleIJPjSE_EEENSF_IJSE_SE_EEES9_SG_JZNS1_25segmented_radix_sort_implINS0_14default_configELb1EPKlPlSM_SN_N2at6native12_GLOBAL__N_18offset_tEEE10hipError_tPvRmT1_PNSt15iterator_traitsISV_E10value_typeET2_T3_PNSW_IS11_E10value_typeET4_jRbjT5_S17_jjP12ihipStream_tbEUljE_EEESS_ST_SU_S11_S15_S17_T6_T7_T9_mT8_S19_bDpT10_ENKUlT_T0_E_clISt17integral_constantIbLb1EES1M_EEDaS1H_S1I_EUlS1H_E_NS1_11comp_targetILNS1_3genE2ELNS1_11target_archE906ELNS1_3gpuE6ELNS1_3repE0EEENS1_30default_config_static_selectorELNS0_4arch9wavefront6targetE0EEEvSV_
	.p2align	8
	.type	_ZN7rocprim17ROCPRIM_400000_NS6detail17trampoline_kernelINS0_13select_configILj256ELj13ELNS0_17block_load_methodE3ELS4_3ELS4_3ELNS0_20block_scan_algorithmE0ELj4294967295EEENS1_25partition_config_selectorILNS1_17partition_subalgoE3EjNS0_10empty_typeEbEEZZNS1_14partition_implILS8_3ELb0ES6_jNS0_17counting_iteratorIjlEEPS9_SE_NS0_5tupleIJPjSE_EEENSF_IJSE_SE_EEES9_SG_JZNS1_25segmented_radix_sort_implINS0_14default_configELb1EPKlPlSM_SN_N2at6native12_GLOBAL__N_18offset_tEEE10hipError_tPvRmT1_PNSt15iterator_traitsISV_E10value_typeET2_T3_PNSW_IS11_E10value_typeET4_jRbjT5_S17_jjP12ihipStream_tbEUljE_EEESS_ST_SU_S11_S15_S17_T6_T7_T9_mT8_S19_bDpT10_ENKUlT_T0_E_clISt17integral_constantIbLb1EES1M_EEDaS1H_S1I_EUlS1H_E_NS1_11comp_targetILNS1_3genE2ELNS1_11target_archE906ELNS1_3gpuE6ELNS1_3repE0EEENS1_30default_config_static_selectorELNS0_4arch9wavefront6targetE0EEEvSV_,@function
_ZN7rocprim17ROCPRIM_400000_NS6detail17trampoline_kernelINS0_13select_configILj256ELj13ELNS0_17block_load_methodE3ELS4_3ELS4_3ELNS0_20block_scan_algorithmE0ELj4294967295EEENS1_25partition_config_selectorILNS1_17partition_subalgoE3EjNS0_10empty_typeEbEEZZNS1_14partition_implILS8_3ELb0ES6_jNS0_17counting_iteratorIjlEEPS9_SE_NS0_5tupleIJPjSE_EEENSF_IJSE_SE_EEES9_SG_JZNS1_25segmented_radix_sort_implINS0_14default_configELb1EPKlPlSM_SN_N2at6native12_GLOBAL__N_18offset_tEEE10hipError_tPvRmT1_PNSt15iterator_traitsISV_E10value_typeET2_T3_PNSW_IS11_E10value_typeET4_jRbjT5_S17_jjP12ihipStream_tbEUljE_EEESS_ST_SU_S11_S15_S17_T6_T7_T9_mT8_S19_bDpT10_ENKUlT_T0_E_clISt17integral_constantIbLb1EES1M_EEDaS1H_S1I_EUlS1H_E_NS1_11comp_targetILNS1_3genE2ELNS1_11target_archE906ELNS1_3gpuE6ELNS1_3repE0EEENS1_30default_config_static_selectorELNS0_4arch9wavefront6targetE0EEEvSV_: ; @_ZN7rocprim17ROCPRIM_400000_NS6detail17trampoline_kernelINS0_13select_configILj256ELj13ELNS0_17block_load_methodE3ELS4_3ELS4_3ELNS0_20block_scan_algorithmE0ELj4294967295EEENS1_25partition_config_selectorILNS1_17partition_subalgoE3EjNS0_10empty_typeEbEEZZNS1_14partition_implILS8_3ELb0ES6_jNS0_17counting_iteratorIjlEEPS9_SE_NS0_5tupleIJPjSE_EEENSF_IJSE_SE_EEES9_SG_JZNS1_25segmented_radix_sort_implINS0_14default_configELb1EPKlPlSM_SN_N2at6native12_GLOBAL__N_18offset_tEEE10hipError_tPvRmT1_PNSt15iterator_traitsISV_E10value_typeET2_T3_PNSW_IS11_E10value_typeET4_jRbjT5_S17_jjP12ihipStream_tbEUljE_EEESS_ST_SU_S11_S15_S17_T6_T7_T9_mT8_S19_bDpT10_ENKUlT_T0_E_clISt17integral_constantIbLb1EES1M_EEDaS1H_S1I_EUlS1H_E_NS1_11comp_targetILNS1_3genE2ELNS1_11target_archE906ELNS1_3gpuE6ELNS1_3repE0EEENS1_30default_config_static_selectorELNS0_4arch9wavefront6targetE0EEEvSV_
; %bb.0:
	.section	.rodata,"a",@progbits
	.p2align	6, 0x0
	.amdhsa_kernel _ZN7rocprim17ROCPRIM_400000_NS6detail17trampoline_kernelINS0_13select_configILj256ELj13ELNS0_17block_load_methodE3ELS4_3ELS4_3ELNS0_20block_scan_algorithmE0ELj4294967295EEENS1_25partition_config_selectorILNS1_17partition_subalgoE3EjNS0_10empty_typeEbEEZZNS1_14partition_implILS8_3ELb0ES6_jNS0_17counting_iteratorIjlEEPS9_SE_NS0_5tupleIJPjSE_EEENSF_IJSE_SE_EEES9_SG_JZNS1_25segmented_radix_sort_implINS0_14default_configELb1EPKlPlSM_SN_N2at6native12_GLOBAL__N_18offset_tEEE10hipError_tPvRmT1_PNSt15iterator_traitsISV_E10value_typeET2_T3_PNSW_IS11_E10value_typeET4_jRbjT5_S17_jjP12ihipStream_tbEUljE_EEESS_ST_SU_S11_S15_S17_T6_T7_T9_mT8_S19_bDpT10_ENKUlT_T0_E_clISt17integral_constantIbLb1EES1M_EEDaS1H_S1I_EUlS1H_E_NS1_11comp_targetILNS1_3genE2ELNS1_11target_archE906ELNS1_3gpuE6ELNS1_3repE0EEENS1_30default_config_static_selectorELNS0_4arch9wavefront6targetE0EEEvSV_
		.amdhsa_group_segment_fixed_size 0
		.amdhsa_private_segment_fixed_size 0
		.amdhsa_kernarg_size 152
		.amdhsa_user_sgpr_count 6
		.amdhsa_user_sgpr_private_segment_buffer 1
		.amdhsa_user_sgpr_dispatch_ptr 0
		.amdhsa_user_sgpr_queue_ptr 0
		.amdhsa_user_sgpr_kernarg_segment_ptr 1
		.amdhsa_user_sgpr_dispatch_id 0
		.amdhsa_user_sgpr_flat_scratch_init 0
		.amdhsa_user_sgpr_private_segment_size 0
		.amdhsa_wavefront_size32 1
		.amdhsa_uses_dynamic_stack 0
		.amdhsa_system_sgpr_private_segment_wavefront_offset 0
		.amdhsa_system_sgpr_workgroup_id_x 1
		.amdhsa_system_sgpr_workgroup_id_y 0
		.amdhsa_system_sgpr_workgroup_id_z 0
		.amdhsa_system_sgpr_workgroup_info 0
		.amdhsa_system_vgpr_workitem_id 0
		.amdhsa_next_free_vgpr 1
		.amdhsa_next_free_sgpr 1
		.amdhsa_reserve_vcc 0
		.amdhsa_reserve_flat_scratch 0
		.amdhsa_float_round_mode_32 0
		.amdhsa_float_round_mode_16_64 0
		.amdhsa_float_denorm_mode_32 3
		.amdhsa_float_denorm_mode_16_64 3
		.amdhsa_dx10_clamp 1
		.amdhsa_ieee_mode 1
		.amdhsa_fp16_overflow 0
		.amdhsa_workgroup_processor_mode 1
		.amdhsa_memory_ordered 1
		.amdhsa_forward_progress 1
		.amdhsa_shared_vgpr_count 0
		.amdhsa_exception_fp_ieee_invalid_op 0
		.amdhsa_exception_fp_denorm_src 0
		.amdhsa_exception_fp_ieee_div_zero 0
		.amdhsa_exception_fp_ieee_overflow 0
		.amdhsa_exception_fp_ieee_underflow 0
		.amdhsa_exception_fp_ieee_inexact 0
		.amdhsa_exception_int_div_zero 0
	.end_amdhsa_kernel
	.section	.text._ZN7rocprim17ROCPRIM_400000_NS6detail17trampoline_kernelINS0_13select_configILj256ELj13ELNS0_17block_load_methodE3ELS4_3ELS4_3ELNS0_20block_scan_algorithmE0ELj4294967295EEENS1_25partition_config_selectorILNS1_17partition_subalgoE3EjNS0_10empty_typeEbEEZZNS1_14partition_implILS8_3ELb0ES6_jNS0_17counting_iteratorIjlEEPS9_SE_NS0_5tupleIJPjSE_EEENSF_IJSE_SE_EEES9_SG_JZNS1_25segmented_radix_sort_implINS0_14default_configELb1EPKlPlSM_SN_N2at6native12_GLOBAL__N_18offset_tEEE10hipError_tPvRmT1_PNSt15iterator_traitsISV_E10value_typeET2_T3_PNSW_IS11_E10value_typeET4_jRbjT5_S17_jjP12ihipStream_tbEUljE_EEESS_ST_SU_S11_S15_S17_T6_T7_T9_mT8_S19_bDpT10_ENKUlT_T0_E_clISt17integral_constantIbLb1EES1M_EEDaS1H_S1I_EUlS1H_E_NS1_11comp_targetILNS1_3genE2ELNS1_11target_archE906ELNS1_3gpuE6ELNS1_3repE0EEENS1_30default_config_static_selectorELNS0_4arch9wavefront6targetE0EEEvSV_,"axG",@progbits,_ZN7rocprim17ROCPRIM_400000_NS6detail17trampoline_kernelINS0_13select_configILj256ELj13ELNS0_17block_load_methodE3ELS4_3ELS4_3ELNS0_20block_scan_algorithmE0ELj4294967295EEENS1_25partition_config_selectorILNS1_17partition_subalgoE3EjNS0_10empty_typeEbEEZZNS1_14partition_implILS8_3ELb0ES6_jNS0_17counting_iteratorIjlEEPS9_SE_NS0_5tupleIJPjSE_EEENSF_IJSE_SE_EEES9_SG_JZNS1_25segmented_radix_sort_implINS0_14default_configELb1EPKlPlSM_SN_N2at6native12_GLOBAL__N_18offset_tEEE10hipError_tPvRmT1_PNSt15iterator_traitsISV_E10value_typeET2_T3_PNSW_IS11_E10value_typeET4_jRbjT5_S17_jjP12ihipStream_tbEUljE_EEESS_ST_SU_S11_S15_S17_T6_T7_T9_mT8_S19_bDpT10_ENKUlT_T0_E_clISt17integral_constantIbLb1EES1M_EEDaS1H_S1I_EUlS1H_E_NS1_11comp_targetILNS1_3genE2ELNS1_11target_archE906ELNS1_3gpuE6ELNS1_3repE0EEENS1_30default_config_static_selectorELNS0_4arch9wavefront6targetE0EEEvSV_,comdat
.Lfunc_end678:
	.size	_ZN7rocprim17ROCPRIM_400000_NS6detail17trampoline_kernelINS0_13select_configILj256ELj13ELNS0_17block_load_methodE3ELS4_3ELS4_3ELNS0_20block_scan_algorithmE0ELj4294967295EEENS1_25partition_config_selectorILNS1_17partition_subalgoE3EjNS0_10empty_typeEbEEZZNS1_14partition_implILS8_3ELb0ES6_jNS0_17counting_iteratorIjlEEPS9_SE_NS0_5tupleIJPjSE_EEENSF_IJSE_SE_EEES9_SG_JZNS1_25segmented_radix_sort_implINS0_14default_configELb1EPKlPlSM_SN_N2at6native12_GLOBAL__N_18offset_tEEE10hipError_tPvRmT1_PNSt15iterator_traitsISV_E10value_typeET2_T3_PNSW_IS11_E10value_typeET4_jRbjT5_S17_jjP12ihipStream_tbEUljE_EEESS_ST_SU_S11_S15_S17_T6_T7_T9_mT8_S19_bDpT10_ENKUlT_T0_E_clISt17integral_constantIbLb1EES1M_EEDaS1H_S1I_EUlS1H_E_NS1_11comp_targetILNS1_3genE2ELNS1_11target_archE906ELNS1_3gpuE6ELNS1_3repE0EEENS1_30default_config_static_selectorELNS0_4arch9wavefront6targetE0EEEvSV_, .Lfunc_end678-_ZN7rocprim17ROCPRIM_400000_NS6detail17trampoline_kernelINS0_13select_configILj256ELj13ELNS0_17block_load_methodE3ELS4_3ELS4_3ELNS0_20block_scan_algorithmE0ELj4294967295EEENS1_25partition_config_selectorILNS1_17partition_subalgoE3EjNS0_10empty_typeEbEEZZNS1_14partition_implILS8_3ELb0ES6_jNS0_17counting_iteratorIjlEEPS9_SE_NS0_5tupleIJPjSE_EEENSF_IJSE_SE_EEES9_SG_JZNS1_25segmented_radix_sort_implINS0_14default_configELb1EPKlPlSM_SN_N2at6native12_GLOBAL__N_18offset_tEEE10hipError_tPvRmT1_PNSt15iterator_traitsISV_E10value_typeET2_T3_PNSW_IS11_E10value_typeET4_jRbjT5_S17_jjP12ihipStream_tbEUljE_EEESS_ST_SU_S11_S15_S17_T6_T7_T9_mT8_S19_bDpT10_ENKUlT_T0_E_clISt17integral_constantIbLb1EES1M_EEDaS1H_S1I_EUlS1H_E_NS1_11comp_targetILNS1_3genE2ELNS1_11target_archE906ELNS1_3gpuE6ELNS1_3repE0EEENS1_30default_config_static_selectorELNS0_4arch9wavefront6targetE0EEEvSV_
                                        ; -- End function
	.set _ZN7rocprim17ROCPRIM_400000_NS6detail17trampoline_kernelINS0_13select_configILj256ELj13ELNS0_17block_load_methodE3ELS4_3ELS4_3ELNS0_20block_scan_algorithmE0ELj4294967295EEENS1_25partition_config_selectorILNS1_17partition_subalgoE3EjNS0_10empty_typeEbEEZZNS1_14partition_implILS8_3ELb0ES6_jNS0_17counting_iteratorIjlEEPS9_SE_NS0_5tupleIJPjSE_EEENSF_IJSE_SE_EEES9_SG_JZNS1_25segmented_radix_sort_implINS0_14default_configELb1EPKlPlSM_SN_N2at6native12_GLOBAL__N_18offset_tEEE10hipError_tPvRmT1_PNSt15iterator_traitsISV_E10value_typeET2_T3_PNSW_IS11_E10value_typeET4_jRbjT5_S17_jjP12ihipStream_tbEUljE_EEESS_ST_SU_S11_S15_S17_T6_T7_T9_mT8_S19_bDpT10_ENKUlT_T0_E_clISt17integral_constantIbLb1EES1M_EEDaS1H_S1I_EUlS1H_E_NS1_11comp_targetILNS1_3genE2ELNS1_11target_archE906ELNS1_3gpuE6ELNS1_3repE0EEENS1_30default_config_static_selectorELNS0_4arch9wavefront6targetE0EEEvSV_.num_vgpr, 0
	.set _ZN7rocprim17ROCPRIM_400000_NS6detail17trampoline_kernelINS0_13select_configILj256ELj13ELNS0_17block_load_methodE3ELS4_3ELS4_3ELNS0_20block_scan_algorithmE0ELj4294967295EEENS1_25partition_config_selectorILNS1_17partition_subalgoE3EjNS0_10empty_typeEbEEZZNS1_14partition_implILS8_3ELb0ES6_jNS0_17counting_iteratorIjlEEPS9_SE_NS0_5tupleIJPjSE_EEENSF_IJSE_SE_EEES9_SG_JZNS1_25segmented_radix_sort_implINS0_14default_configELb1EPKlPlSM_SN_N2at6native12_GLOBAL__N_18offset_tEEE10hipError_tPvRmT1_PNSt15iterator_traitsISV_E10value_typeET2_T3_PNSW_IS11_E10value_typeET4_jRbjT5_S17_jjP12ihipStream_tbEUljE_EEESS_ST_SU_S11_S15_S17_T6_T7_T9_mT8_S19_bDpT10_ENKUlT_T0_E_clISt17integral_constantIbLb1EES1M_EEDaS1H_S1I_EUlS1H_E_NS1_11comp_targetILNS1_3genE2ELNS1_11target_archE906ELNS1_3gpuE6ELNS1_3repE0EEENS1_30default_config_static_selectorELNS0_4arch9wavefront6targetE0EEEvSV_.num_agpr, 0
	.set _ZN7rocprim17ROCPRIM_400000_NS6detail17trampoline_kernelINS0_13select_configILj256ELj13ELNS0_17block_load_methodE3ELS4_3ELS4_3ELNS0_20block_scan_algorithmE0ELj4294967295EEENS1_25partition_config_selectorILNS1_17partition_subalgoE3EjNS0_10empty_typeEbEEZZNS1_14partition_implILS8_3ELb0ES6_jNS0_17counting_iteratorIjlEEPS9_SE_NS0_5tupleIJPjSE_EEENSF_IJSE_SE_EEES9_SG_JZNS1_25segmented_radix_sort_implINS0_14default_configELb1EPKlPlSM_SN_N2at6native12_GLOBAL__N_18offset_tEEE10hipError_tPvRmT1_PNSt15iterator_traitsISV_E10value_typeET2_T3_PNSW_IS11_E10value_typeET4_jRbjT5_S17_jjP12ihipStream_tbEUljE_EEESS_ST_SU_S11_S15_S17_T6_T7_T9_mT8_S19_bDpT10_ENKUlT_T0_E_clISt17integral_constantIbLb1EES1M_EEDaS1H_S1I_EUlS1H_E_NS1_11comp_targetILNS1_3genE2ELNS1_11target_archE906ELNS1_3gpuE6ELNS1_3repE0EEENS1_30default_config_static_selectorELNS0_4arch9wavefront6targetE0EEEvSV_.numbered_sgpr, 0
	.set _ZN7rocprim17ROCPRIM_400000_NS6detail17trampoline_kernelINS0_13select_configILj256ELj13ELNS0_17block_load_methodE3ELS4_3ELS4_3ELNS0_20block_scan_algorithmE0ELj4294967295EEENS1_25partition_config_selectorILNS1_17partition_subalgoE3EjNS0_10empty_typeEbEEZZNS1_14partition_implILS8_3ELb0ES6_jNS0_17counting_iteratorIjlEEPS9_SE_NS0_5tupleIJPjSE_EEENSF_IJSE_SE_EEES9_SG_JZNS1_25segmented_radix_sort_implINS0_14default_configELb1EPKlPlSM_SN_N2at6native12_GLOBAL__N_18offset_tEEE10hipError_tPvRmT1_PNSt15iterator_traitsISV_E10value_typeET2_T3_PNSW_IS11_E10value_typeET4_jRbjT5_S17_jjP12ihipStream_tbEUljE_EEESS_ST_SU_S11_S15_S17_T6_T7_T9_mT8_S19_bDpT10_ENKUlT_T0_E_clISt17integral_constantIbLb1EES1M_EEDaS1H_S1I_EUlS1H_E_NS1_11comp_targetILNS1_3genE2ELNS1_11target_archE906ELNS1_3gpuE6ELNS1_3repE0EEENS1_30default_config_static_selectorELNS0_4arch9wavefront6targetE0EEEvSV_.num_named_barrier, 0
	.set _ZN7rocprim17ROCPRIM_400000_NS6detail17trampoline_kernelINS0_13select_configILj256ELj13ELNS0_17block_load_methodE3ELS4_3ELS4_3ELNS0_20block_scan_algorithmE0ELj4294967295EEENS1_25partition_config_selectorILNS1_17partition_subalgoE3EjNS0_10empty_typeEbEEZZNS1_14partition_implILS8_3ELb0ES6_jNS0_17counting_iteratorIjlEEPS9_SE_NS0_5tupleIJPjSE_EEENSF_IJSE_SE_EEES9_SG_JZNS1_25segmented_radix_sort_implINS0_14default_configELb1EPKlPlSM_SN_N2at6native12_GLOBAL__N_18offset_tEEE10hipError_tPvRmT1_PNSt15iterator_traitsISV_E10value_typeET2_T3_PNSW_IS11_E10value_typeET4_jRbjT5_S17_jjP12ihipStream_tbEUljE_EEESS_ST_SU_S11_S15_S17_T6_T7_T9_mT8_S19_bDpT10_ENKUlT_T0_E_clISt17integral_constantIbLb1EES1M_EEDaS1H_S1I_EUlS1H_E_NS1_11comp_targetILNS1_3genE2ELNS1_11target_archE906ELNS1_3gpuE6ELNS1_3repE0EEENS1_30default_config_static_selectorELNS0_4arch9wavefront6targetE0EEEvSV_.private_seg_size, 0
	.set _ZN7rocprim17ROCPRIM_400000_NS6detail17trampoline_kernelINS0_13select_configILj256ELj13ELNS0_17block_load_methodE3ELS4_3ELS4_3ELNS0_20block_scan_algorithmE0ELj4294967295EEENS1_25partition_config_selectorILNS1_17partition_subalgoE3EjNS0_10empty_typeEbEEZZNS1_14partition_implILS8_3ELb0ES6_jNS0_17counting_iteratorIjlEEPS9_SE_NS0_5tupleIJPjSE_EEENSF_IJSE_SE_EEES9_SG_JZNS1_25segmented_radix_sort_implINS0_14default_configELb1EPKlPlSM_SN_N2at6native12_GLOBAL__N_18offset_tEEE10hipError_tPvRmT1_PNSt15iterator_traitsISV_E10value_typeET2_T3_PNSW_IS11_E10value_typeET4_jRbjT5_S17_jjP12ihipStream_tbEUljE_EEESS_ST_SU_S11_S15_S17_T6_T7_T9_mT8_S19_bDpT10_ENKUlT_T0_E_clISt17integral_constantIbLb1EES1M_EEDaS1H_S1I_EUlS1H_E_NS1_11comp_targetILNS1_3genE2ELNS1_11target_archE906ELNS1_3gpuE6ELNS1_3repE0EEENS1_30default_config_static_selectorELNS0_4arch9wavefront6targetE0EEEvSV_.uses_vcc, 0
	.set _ZN7rocprim17ROCPRIM_400000_NS6detail17trampoline_kernelINS0_13select_configILj256ELj13ELNS0_17block_load_methodE3ELS4_3ELS4_3ELNS0_20block_scan_algorithmE0ELj4294967295EEENS1_25partition_config_selectorILNS1_17partition_subalgoE3EjNS0_10empty_typeEbEEZZNS1_14partition_implILS8_3ELb0ES6_jNS0_17counting_iteratorIjlEEPS9_SE_NS0_5tupleIJPjSE_EEENSF_IJSE_SE_EEES9_SG_JZNS1_25segmented_radix_sort_implINS0_14default_configELb1EPKlPlSM_SN_N2at6native12_GLOBAL__N_18offset_tEEE10hipError_tPvRmT1_PNSt15iterator_traitsISV_E10value_typeET2_T3_PNSW_IS11_E10value_typeET4_jRbjT5_S17_jjP12ihipStream_tbEUljE_EEESS_ST_SU_S11_S15_S17_T6_T7_T9_mT8_S19_bDpT10_ENKUlT_T0_E_clISt17integral_constantIbLb1EES1M_EEDaS1H_S1I_EUlS1H_E_NS1_11comp_targetILNS1_3genE2ELNS1_11target_archE906ELNS1_3gpuE6ELNS1_3repE0EEENS1_30default_config_static_selectorELNS0_4arch9wavefront6targetE0EEEvSV_.uses_flat_scratch, 0
	.set _ZN7rocprim17ROCPRIM_400000_NS6detail17trampoline_kernelINS0_13select_configILj256ELj13ELNS0_17block_load_methodE3ELS4_3ELS4_3ELNS0_20block_scan_algorithmE0ELj4294967295EEENS1_25partition_config_selectorILNS1_17partition_subalgoE3EjNS0_10empty_typeEbEEZZNS1_14partition_implILS8_3ELb0ES6_jNS0_17counting_iteratorIjlEEPS9_SE_NS0_5tupleIJPjSE_EEENSF_IJSE_SE_EEES9_SG_JZNS1_25segmented_radix_sort_implINS0_14default_configELb1EPKlPlSM_SN_N2at6native12_GLOBAL__N_18offset_tEEE10hipError_tPvRmT1_PNSt15iterator_traitsISV_E10value_typeET2_T3_PNSW_IS11_E10value_typeET4_jRbjT5_S17_jjP12ihipStream_tbEUljE_EEESS_ST_SU_S11_S15_S17_T6_T7_T9_mT8_S19_bDpT10_ENKUlT_T0_E_clISt17integral_constantIbLb1EES1M_EEDaS1H_S1I_EUlS1H_E_NS1_11comp_targetILNS1_3genE2ELNS1_11target_archE906ELNS1_3gpuE6ELNS1_3repE0EEENS1_30default_config_static_selectorELNS0_4arch9wavefront6targetE0EEEvSV_.has_dyn_sized_stack, 0
	.set _ZN7rocprim17ROCPRIM_400000_NS6detail17trampoline_kernelINS0_13select_configILj256ELj13ELNS0_17block_load_methodE3ELS4_3ELS4_3ELNS0_20block_scan_algorithmE0ELj4294967295EEENS1_25partition_config_selectorILNS1_17partition_subalgoE3EjNS0_10empty_typeEbEEZZNS1_14partition_implILS8_3ELb0ES6_jNS0_17counting_iteratorIjlEEPS9_SE_NS0_5tupleIJPjSE_EEENSF_IJSE_SE_EEES9_SG_JZNS1_25segmented_radix_sort_implINS0_14default_configELb1EPKlPlSM_SN_N2at6native12_GLOBAL__N_18offset_tEEE10hipError_tPvRmT1_PNSt15iterator_traitsISV_E10value_typeET2_T3_PNSW_IS11_E10value_typeET4_jRbjT5_S17_jjP12ihipStream_tbEUljE_EEESS_ST_SU_S11_S15_S17_T6_T7_T9_mT8_S19_bDpT10_ENKUlT_T0_E_clISt17integral_constantIbLb1EES1M_EEDaS1H_S1I_EUlS1H_E_NS1_11comp_targetILNS1_3genE2ELNS1_11target_archE906ELNS1_3gpuE6ELNS1_3repE0EEENS1_30default_config_static_selectorELNS0_4arch9wavefront6targetE0EEEvSV_.has_recursion, 0
	.set _ZN7rocprim17ROCPRIM_400000_NS6detail17trampoline_kernelINS0_13select_configILj256ELj13ELNS0_17block_load_methodE3ELS4_3ELS4_3ELNS0_20block_scan_algorithmE0ELj4294967295EEENS1_25partition_config_selectorILNS1_17partition_subalgoE3EjNS0_10empty_typeEbEEZZNS1_14partition_implILS8_3ELb0ES6_jNS0_17counting_iteratorIjlEEPS9_SE_NS0_5tupleIJPjSE_EEENSF_IJSE_SE_EEES9_SG_JZNS1_25segmented_radix_sort_implINS0_14default_configELb1EPKlPlSM_SN_N2at6native12_GLOBAL__N_18offset_tEEE10hipError_tPvRmT1_PNSt15iterator_traitsISV_E10value_typeET2_T3_PNSW_IS11_E10value_typeET4_jRbjT5_S17_jjP12ihipStream_tbEUljE_EEESS_ST_SU_S11_S15_S17_T6_T7_T9_mT8_S19_bDpT10_ENKUlT_T0_E_clISt17integral_constantIbLb1EES1M_EEDaS1H_S1I_EUlS1H_E_NS1_11comp_targetILNS1_3genE2ELNS1_11target_archE906ELNS1_3gpuE6ELNS1_3repE0EEENS1_30default_config_static_selectorELNS0_4arch9wavefront6targetE0EEEvSV_.has_indirect_call, 0
	.section	.AMDGPU.csdata,"",@progbits
; Kernel info:
; codeLenInByte = 0
; TotalNumSgprs: 0
; NumVgprs: 0
; ScratchSize: 0
; MemoryBound: 0
; FloatMode: 240
; IeeeMode: 1
; LDSByteSize: 0 bytes/workgroup (compile time only)
; SGPRBlocks: 0
; VGPRBlocks: 0
; NumSGPRsForWavesPerEU: 1
; NumVGPRsForWavesPerEU: 1
; Occupancy: 16
; WaveLimiterHint : 0
; COMPUTE_PGM_RSRC2:SCRATCH_EN: 0
; COMPUTE_PGM_RSRC2:USER_SGPR: 6
; COMPUTE_PGM_RSRC2:TRAP_HANDLER: 0
; COMPUTE_PGM_RSRC2:TGID_X_EN: 1
; COMPUTE_PGM_RSRC2:TGID_Y_EN: 0
; COMPUTE_PGM_RSRC2:TGID_Z_EN: 0
; COMPUTE_PGM_RSRC2:TIDIG_COMP_CNT: 0
	.section	.text._ZN7rocprim17ROCPRIM_400000_NS6detail17trampoline_kernelINS0_13select_configILj256ELj13ELNS0_17block_load_methodE3ELS4_3ELS4_3ELNS0_20block_scan_algorithmE0ELj4294967295EEENS1_25partition_config_selectorILNS1_17partition_subalgoE3EjNS0_10empty_typeEbEEZZNS1_14partition_implILS8_3ELb0ES6_jNS0_17counting_iteratorIjlEEPS9_SE_NS0_5tupleIJPjSE_EEENSF_IJSE_SE_EEES9_SG_JZNS1_25segmented_radix_sort_implINS0_14default_configELb1EPKlPlSM_SN_N2at6native12_GLOBAL__N_18offset_tEEE10hipError_tPvRmT1_PNSt15iterator_traitsISV_E10value_typeET2_T3_PNSW_IS11_E10value_typeET4_jRbjT5_S17_jjP12ihipStream_tbEUljE_EEESS_ST_SU_S11_S15_S17_T6_T7_T9_mT8_S19_bDpT10_ENKUlT_T0_E_clISt17integral_constantIbLb1EES1M_EEDaS1H_S1I_EUlS1H_E_NS1_11comp_targetILNS1_3genE10ELNS1_11target_archE1200ELNS1_3gpuE4ELNS1_3repE0EEENS1_30default_config_static_selectorELNS0_4arch9wavefront6targetE0EEEvSV_,"axG",@progbits,_ZN7rocprim17ROCPRIM_400000_NS6detail17trampoline_kernelINS0_13select_configILj256ELj13ELNS0_17block_load_methodE3ELS4_3ELS4_3ELNS0_20block_scan_algorithmE0ELj4294967295EEENS1_25partition_config_selectorILNS1_17partition_subalgoE3EjNS0_10empty_typeEbEEZZNS1_14partition_implILS8_3ELb0ES6_jNS0_17counting_iteratorIjlEEPS9_SE_NS0_5tupleIJPjSE_EEENSF_IJSE_SE_EEES9_SG_JZNS1_25segmented_radix_sort_implINS0_14default_configELb1EPKlPlSM_SN_N2at6native12_GLOBAL__N_18offset_tEEE10hipError_tPvRmT1_PNSt15iterator_traitsISV_E10value_typeET2_T3_PNSW_IS11_E10value_typeET4_jRbjT5_S17_jjP12ihipStream_tbEUljE_EEESS_ST_SU_S11_S15_S17_T6_T7_T9_mT8_S19_bDpT10_ENKUlT_T0_E_clISt17integral_constantIbLb1EES1M_EEDaS1H_S1I_EUlS1H_E_NS1_11comp_targetILNS1_3genE10ELNS1_11target_archE1200ELNS1_3gpuE4ELNS1_3repE0EEENS1_30default_config_static_selectorELNS0_4arch9wavefront6targetE0EEEvSV_,comdat
	.globl	_ZN7rocprim17ROCPRIM_400000_NS6detail17trampoline_kernelINS0_13select_configILj256ELj13ELNS0_17block_load_methodE3ELS4_3ELS4_3ELNS0_20block_scan_algorithmE0ELj4294967295EEENS1_25partition_config_selectorILNS1_17partition_subalgoE3EjNS0_10empty_typeEbEEZZNS1_14partition_implILS8_3ELb0ES6_jNS0_17counting_iteratorIjlEEPS9_SE_NS0_5tupleIJPjSE_EEENSF_IJSE_SE_EEES9_SG_JZNS1_25segmented_radix_sort_implINS0_14default_configELb1EPKlPlSM_SN_N2at6native12_GLOBAL__N_18offset_tEEE10hipError_tPvRmT1_PNSt15iterator_traitsISV_E10value_typeET2_T3_PNSW_IS11_E10value_typeET4_jRbjT5_S17_jjP12ihipStream_tbEUljE_EEESS_ST_SU_S11_S15_S17_T6_T7_T9_mT8_S19_bDpT10_ENKUlT_T0_E_clISt17integral_constantIbLb1EES1M_EEDaS1H_S1I_EUlS1H_E_NS1_11comp_targetILNS1_3genE10ELNS1_11target_archE1200ELNS1_3gpuE4ELNS1_3repE0EEENS1_30default_config_static_selectorELNS0_4arch9wavefront6targetE0EEEvSV_ ; -- Begin function _ZN7rocprim17ROCPRIM_400000_NS6detail17trampoline_kernelINS0_13select_configILj256ELj13ELNS0_17block_load_methodE3ELS4_3ELS4_3ELNS0_20block_scan_algorithmE0ELj4294967295EEENS1_25partition_config_selectorILNS1_17partition_subalgoE3EjNS0_10empty_typeEbEEZZNS1_14partition_implILS8_3ELb0ES6_jNS0_17counting_iteratorIjlEEPS9_SE_NS0_5tupleIJPjSE_EEENSF_IJSE_SE_EEES9_SG_JZNS1_25segmented_radix_sort_implINS0_14default_configELb1EPKlPlSM_SN_N2at6native12_GLOBAL__N_18offset_tEEE10hipError_tPvRmT1_PNSt15iterator_traitsISV_E10value_typeET2_T3_PNSW_IS11_E10value_typeET4_jRbjT5_S17_jjP12ihipStream_tbEUljE_EEESS_ST_SU_S11_S15_S17_T6_T7_T9_mT8_S19_bDpT10_ENKUlT_T0_E_clISt17integral_constantIbLb1EES1M_EEDaS1H_S1I_EUlS1H_E_NS1_11comp_targetILNS1_3genE10ELNS1_11target_archE1200ELNS1_3gpuE4ELNS1_3repE0EEENS1_30default_config_static_selectorELNS0_4arch9wavefront6targetE0EEEvSV_
	.p2align	8
	.type	_ZN7rocprim17ROCPRIM_400000_NS6detail17trampoline_kernelINS0_13select_configILj256ELj13ELNS0_17block_load_methodE3ELS4_3ELS4_3ELNS0_20block_scan_algorithmE0ELj4294967295EEENS1_25partition_config_selectorILNS1_17partition_subalgoE3EjNS0_10empty_typeEbEEZZNS1_14partition_implILS8_3ELb0ES6_jNS0_17counting_iteratorIjlEEPS9_SE_NS0_5tupleIJPjSE_EEENSF_IJSE_SE_EEES9_SG_JZNS1_25segmented_radix_sort_implINS0_14default_configELb1EPKlPlSM_SN_N2at6native12_GLOBAL__N_18offset_tEEE10hipError_tPvRmT1_PNSt15iterator_traitsISV_E10value_typeET2_T3_PNSW_IS11_E10value_typeET4_jRbjT5_S17_jjP12ihipStream_tbEUljE_EEESS_ST_SU_S11_S15_S17_T6_T7_T9_mT8_S19_bDpT10_ENKUlT_T0_E_clISt17integral_constantIbLb1EES1M_EEDaS1H_S1I_EUlS1H_E_NS1_11comp_targetILNS1_3genE10ELNS1_11target_archE1200ELNS1_3gpuE4ELNS1_3repE0EEENS1_30default_config_static_selectorELNS0_4arch9wavefront6targetE0EEEvSV_,@function
_ZN7rocprim17ROCPRIM_400000_NS6detail17trampoline_kernelINS0_13select_configILj256ELj13ELNS0_17block_load_methodE3ELS4_3ELS4_3ELNS0_20block_scan_algorithmE0ELj4294967295EEENS1_25partition_config_selectorILNS1_17partition_subalgoE3EjNS0_10empty_typeEbEEZZNS1_14partition_implILS8_3ELb0ES6_jNS0_17counting_iteratorIjlEEPS9_SE_NS0_5tupleIJPjSE_EEENSF_IJSE_SE_EEES9_SG_JZNS1_25segmented_radix_sort_implINS0_14default_configELb1EPKlPlSM_SN_N2at6native12_GLOBAL__N_18offset_tEEE10hipError_tPvRmT1_PNSt15iterator_traitsISV_E10value_typeET2_T3_PNSW_IS11_E10value_typeET4_jRbjT5_S17_jjP12ihipStream_tbEUljE_EEESS_ST_SU_S11_S15_S17_T6_T7_T9_mT8_S19_bDpT10_ENKUlT_T0_E_clISt17integral_constantIbLb1EES1M_EEDaS1H_S1I_EUlS1H_E_NS1_11comp_targetILNS1_3genE10ELNS1_11target_archE1200ELNS1_3gpuE4ELNS1_3repE0EEENS1_30default_config_static_selectorELNS0_4arch9wavefront6targetE0EEEvSV_: ; @_ZN7rocprim17ROCPRIM_400000_NS6detail17trampoline_kernelINS0_13select_configILj256ELj13ELNS0_17block_load_methodE3ELS4_3ELS4_3ELNS0_20block_scan_algorithmE0ELj4294967295EEENS1_25partition_config_selectorILNS1_17partition_subalgoE3EjNS0_10empty_typeEbEEZZNS1_14partition_implILS8_3ELb0ES6_jNS0_17counting_iteratorIjlEEPS9_SE_NS0_5tupleIJPjSE_EEENSF_IJSE_SE_EEES9_SG_JZNS1_25segmented_radix_sort_implINS0_14default_configELb1EPKlPlSM_SN_N2at6native12_GLOBAL__N_18offset_tEEE10hipError_tPvRmT1_PNSt15iterator_traitsISV_E10value_typeET2_T3_PNSW_IS11_E10value_typeET4_jRbjT5_S17_jjP12ihipStream_tbEUljE_EEESS_ST_SU_S11_S15_S17_T6_T7_T9_mT8_S19_bDpT10_ENKUlT_T0_E_clISt17integral_constantIbLb1EES1M_EEDaS1H_S1I_EUlS1H_E_NS1_11comp_targetILNS1_3genE10ELNS1_11target_archE1200ELNS1_3gpuE4ELNS1_3repE0EEENS1_30default_config_static_selectorELNS0_4arch9wavefront6targetE0EEEvSV_
; %bb.0:
	.section	.rodata,"a",@progbits
	.p2align	6, 0x0
	.amdhsa_kernel _ZN7rocprim17ROCPRIM_400000_NS6detail17trampoline_kernelINS0_13select_configILj256ELj13ELNS0_17block_load_methodE3ELS4_3ELS4_3ELNS0_20block_scan_algorithmE0ELj4294967295EEENS1_25partition_config_selectorILNS1_17partition_subalgoE3EjNS0_10empty_typeEbEEZZNS1_14partition_implILS8_3ELb0ES6_jNS0_17counting_iteratorIjlEEPS9_SE_NS0_5tupleIJPjSE_EEENSF_IJSE_SE_EEES9_SG_JZNS1_25segmented_radix_sort_implINS0_14default_configELb1EPKlPlSM_SN_N2at6native12_GLOBAL__N_18offset_tEEE10hipError_tPvRmT1_PNSt15iterator_traitsISV_E10value_typeET2_T3_PNSW_IS11_E10value_typeET4_jRbjT5_S17_jjP12ihipStream_tbEUljE_EEESS_ST_SU_S11_S15_S17_T6_T7_T9_mT8_S19_bDpT10_ENKUlT_T0_E_clISt17integral_constantIbLb1EES1M_EEDaS1H_S1I_EUlS1H_E_NS1_11comp_targetILNS1_3genE10ELNS1_11target_archE1200ELNS1_3gpuE4ELNS1_3repE0EEENS1_30default_config_static_selectorELNS0_4arch9wavefront6targetE0EEEvSV_
		.amdhsa_group_segment_fixed_size 0
		.amdhsa_private_segment_fixed_size 0
		.amdhsa_kernarg_size 152
		.amdhsa_user_sgpr_count 6
		.amdhsa_user_sgpr_private_segment_buffer 1
		.amdhsa_user_sgpr_dispatch_ptr 0
		.amdhsa_user_sgpr_queue_ptr 0
		.amdhsa_user_sgpr_kernarg_segment_ptr 1
		.amdhsa_user_sgpr_dispatch_id 0
		.amdhsa_user_sgpr_flat_scratch_init 0
		.amdhsa_user_sgpr_private_segment_size 0
		.amdhsa_wavefront_size32 1
		.amdhsa_uses_dynamic_stack 0
		.amdhsa_system_sgpr_private_segment_wavefront_offset 0
		.amdhsa_system_sgpr_workgroup_id_x 1
		.amdhsa_system_sgpr_workgroup_id_y 0
		.amdhsa_system_sgpr_workgroup_id_z 0
		.amdhsa_system_sgpr_workgroup_info 0
		.amdhsa_system_vgpr_workitem_id 0
		.amdhsa_next_free_vgpr 1
		.amdhsa_next_free_sgpr 1
		.amdhsa_reserve_vcc 0
		.amdhsa_reserve_flat_scratch 0
		.amdhsa_float_round_mode_32 0
		.amdhsa_float_round_mode_16_64 0
		.amdhsa_float_denorm_mode_32 3
		.amdhsa_float_denorm_mode_16_64 3
		.amdhsa_dx10_clamp 1
		.amdhsa_ieee_mode 1
		.amdhsa_fp16_overflow 0
		.amdhsa_workgroup_processor_mode 1
		.amdhsa_memory_ordered 1
		.amdhsa_forward_progress 1
		.amdhsa_shared_vgpr_count 0
		.amdhsa_exception_fp_ieee_invalid_op 0
		.amdhsa_exception_fp_denorm_src 0
		.amdhsa_exception_fp_ieee_div_zero 0
		.amdhsa_exception_fp_ieee_overflow 0
		.amdhsa_exception_fp_ieee_underflow 0
		.amdhsa_exception_fp_ieee_inexact 0
		.amdhsa_exception_int_div_zero 0
	.end_amdhsa_kernel
	.section	.text._ZN7rocprim17ROCPRIM_400000_NS6detail17trampoline_kernelINS0_13select_configILj256ELj13ELNS0_17block_load_methodE3ELS4_3ELS4_3ELNS0_20block_scan_algorithmE0ELj4294967295EEENS1_25partition_config_selectorILNS1_17partition_subalgoE3EjNS0_10empty_typeEbEEZZNS1_14partition_implILS8_3ELb0ES6_jNS0_17counting_iteratorIjlEEPS9_SE_NS0_5tupleIJPjSE_EEENSF_IJSE_SE_EEES9_SG_JZNS1_25segmented_radix_sort_implINS0_14default_configELb1EPKlPlSM_SN_N2at6native12_GLOBAL__N_18offset_tEEE10hipError_tPvRmT1_PNSt15iterator_traitsISV_E10value_typeET2_T3_PNSW_IS11_E10value_typeET4_jRbjT5_S17_jjP12ihipStream_tbEUljE_EEESS_ST_SU_S11_S15_S17_T6_T7_T9_mT8_S19_bDpT10_ENKUlT_T0_E_clISt17integral_constantIbLb1EES1M_EEDaS1H_S1I_EUlS1H_E_NS1_11comp_targetILNS1_3genE10ELNS1_11target_archE1200ELNS1_3gpuE4ELNS1_3repE0EEENS1_30default_config_static_selectorELNS0_4arch9wavefront6targetE0EEEvSV_,"axG",@progbits,_ZN7rocprim17ROCPRIM_400000_NS6detail17trampoline_kernelINS0_13select_configILj256ELj13ELNS0_17block_load_methodE3ELS4_3ELS4_3ELNS0_20block_scan_algorithmE0ELj4294967295EEENS1_25partition_config_selectorILNS1_17partition_subalgoE3EjNS0_10empty_typeEbEEZZNS1_14partition_implILS8_3ELb0ES6_jNS0_17counting_iteratorIjlEEPS9_SE_NS0_5tupleIJPjSE_EEENSF_IJSE_SE_EEES9_SG_JZNS1_25segmented_radix_sort_implINS0_14default_configELb1EPKlPlSM_SN_N2at6native12_GLOBAL__N_18offset_tEEE10hipError_tPvRmT1_PNSt15iterator_traitsISV_E10value_typeET2_T3_PNSW_IS11_E10value_typeET4_jRbjT5_S17_jjP12ihipStream_tbEUljE_EEESS_ST_SU_S11_S15_S17_T6_T7_T9_mT8_S19_bDpT10_ENKUlT_T0_E_clISt17integral_constantIbLb1EES1M_EEDaS1H_S1I_EUlS1H_E_NS1_11comp_targetILNS1_3genE10ELNS1_11target_archE1200ELNS1_3gpuE4ELNS1_3repE0EEENS1_30default_config_static_selectorELNS0_4arch9wavefront6targetE0EEEvSV_,comdat
.Lfunc_end679:
	.size	_ZN7rocprim17ROCPRIM_400000_NS6detail17trampoline_kernelINS0_13select_configILj256ELj13ELNS0_17block_load_methodE3ELS4_3ELS4_3ELNS0_20block_scan_algorithmE0ELj4294967295EEENS1_25partition_config_selectorILNS1_17partition_subalgoE3EjNS0_10empty_typeEbEEZZNS1_14partition_implILS8_3ELb0ES6_jNS0_17counting_iteratorIjlEEPS9_SE_NS0_5tupleIJPjSE_EEENSF_IJSE_SE_EEES9_SG_JZNS1_25segmented_radix_sort_implINS0_14default_configELb1EPKlPlSM_SN_N2at6native12_GLOBAL__N_18offset_tEEE10hipError_tPvRmT1_PNSt15iterator_traitsISV_E10value_typeET2_T3_PNSW_IS11_E10value_typeET4_jRbjT5_S17_jjP12ihipStream_tbEUljE_EEESS_ST_SU_S11_S15_S17_T6_T7_T9_mT8_S19_bDpT10_ENKUlT_T0_E_clISt17integral_constantIbLb1EES1M_EEDaS1H_S1I_EUlS1H_E_NS1_11comp_targetILNS1_3genE10ELNS1_11target_archE1200ELNS1_3gpuE4ELNS1_3repE0EEENS1_30default_config_static_selectorELNS0_4arch9wavefront6targetE0EEEvSV_, .Lfunc_end679-_ZN7rocprim17ROCPRIM_400000_NS6detail17trampoline_kernelINS0_13select_configILj256ELj13ELNS0_17block_load_methodE3ELS4_3ELS4_3ELNS0_20block_scan_algorithmE0ELj4294967295EEENS1_25partition_config_selectorILNS1_17partition_subalgoE3EjNS0_10empty_typeEbEEZZNS1_14partition_implILS8_3ELb0ES6_jNS0_17counting_iteratorIjlEEPS9_SE_NS0_5tupleIJPjSE_EEENSF_IJSE_SE_EEES9_SG_JZNS1_25segmented_radix_sort_implINS0_14default_configELb1EPKlPlSM_SN_N2at6native12_GLOBAL__N_18offset_tEEE10hipError_tPvRmT1_PNSt15iterator_traitsISV_E10value_typeET2_T3_PNSW_IS11_E10value_typeET4_jRbjT5_S17_jjP12ihipStream_tbEUljE_EEESS_ST_SU_S11_S15_S17_T6_T7_T9_mT8_S19_bDpT10_ENKUlT_T0_E_clISt17integral_constantIbLb1EES1M_EEDaS1H_S1I_EUlS1H_E_NS1_11comp_targetILNS1_3genE10ELNS1_11target_archE1200ELNS1_3gpuE4ELNS1_3repE0EEENS1_30default_config_static_selectorELNS0_4arch9wavefront6targetE0EEEvSV_
                                        ; -- End function
	.set _ZN7rocprim17ROCPRIM_400000_NS6detail17trampoline_kernelINS0_13select_configILj256ELj13ELNS0_17block_load_methodE3ELS4_3ELS4_3ELNS0_20block_scan_algorithmE0ELj4294967295EEENS1_25partition_config_selectorILNS1_17partition_subalgoE3EjNS0_10empty_typeEbEEZZNS1_14partition_implILS8_3ELb0ES6_jNS0_17counting_iteratorIjlEEPS9_SE_NS0_5tupleIJPjSE_EEENSF_IJSE_SE_EEES9_SG_JZNS1_25segmented_radix_sort_implINS0_14default_configELb1EPKlPlSM_SN_N2at6native12_GLOBAL__N_18offset_tEEE10hipError_tPvRmT1_PNSt15iterator_traitsISV_E10value_typeET2_T3_PNSW_IS11_E10value_typeET4_jRbjT5_S17_jjP12ihipStream_tbEUljE_EEESS_ST_SU_S11_S15_S17_T6_T7_T9_mT8_S19_bDpT10_ENKUlT_T0_E_clISt17integral_constantIbLb1EES1M_EEDaS1H_S1I_EUlS1H_E_NS1_11comp_targetILNS1_3genE10ELNS1_11target_archE1200ELNS1_3gpuE4ELNS1_3repE0EEENS1_30default_config_static_selectorELNS0_4arch9wavefront6targetE0EEEvSV_.num_vgpr, 0
	.set _ZN7rocprim17ROCPRIM_400000_NS6detail17trampoline_kernelINS0_13select_configILj256ELj13ELNS0_17block_load_methodE3ELS4_3ELS4_3ELNS0_20block_scan_algorithmE0ELj4294967295EEENS1_25partition_config_selectorILNS1_17partition_subalgoE3EjNS0_10empty_typeEbEEZZNS1_14partition_implILS8_3ELb0ES6_jNS0_17counting_iteratorIjlEEPS9_SE_NS0_5tupleIJPjSE_EEENSF_IJSE_SE_EEES9_SG_JZNS1_25segmented_radix_sort_implINS0_14default_configELb1EPKlPlSM_SN_N2at6native12_GLOBAL__N_18offset_tEEE10hipError_tPvRmT1_PNSt15iterator_traitsISV_E10value_typeET2_T3_PNSW_IS11_E10value_typeET4_jRbjT5_S17_jjP12ihipStream_tbEUljE_EEESS_ST_SU_S11_S15_S17_T6_T7_T9_mT8_S19_bDpT10_ENKUlT_T0_E_clISt17integral_constantIbLb1EES1M_EEDaS1H_S1I_EUlS1H_E_NS1_11comp_targetILNS1_3genE10ELNS1_11target_archE1200ELNS1_3gpuE4ELNS1_3repE0EEENS1_30default_config_static_selectorELNS0_4arch9wavefront6targetE0EEEvSV_.num_agpr, 0
	.set _ZN7rocprim17ROCPRIM_400000_NS6detail17trampoline_kernelINS0_13select_configILj256ELj13ELNS0_17block_load_methodE3ELS4_3ELS4_3ELNS0_20block_scan_algorithmE0ELj4294967295EEENS1_25partition_config_selectorILNS1_17partition_subalgoE3EjNS0_10empty_typeEbEEZZNS1_14partition_implILS8_3ELb0ES6_jNS0_17counting_iteratorIjlEEPS9_SE_NS0_5tupleIJPjSE_EEENSF_IJSE_SE_EEES9_SG_JZNS1_25segmented_radix_sort_implINS0_14default_configELb1EPKlPlSM_SN_N2at6native12_GLOBAL__N_18offset_tEEE10hipError_tPvRmT1_PNSt15iterator_traitsISV_E10value_typeET2_T3_PNSW_IS11_E10value_typeET4_jRbjT5_S17_jjP12ihipStream_tbEUljE_EEESS_ST_SU_S11_S15_S17_T6_T7_T9_mT8_S19_bDpT10_ENKUlT_T0_E_clISt17integral_constantIbLb1EES1M_EEDaS1H_S1I_EUlS1H_E_NS1_11comp_targetILNS1_3genE10ELNS1_11target_archE1200ELNS1_3gpuE4ELNS1_3repE0EEENS1_30default_config_static_selectorELNS0_4arch9wavefront6targetE0EEEvSV_.numbered_sgpr, 0
	.set _ZN7rocprim17ROCPRIM_400000_NS6detail17trampoline_kernelINS0_13select_configILj256ELj13ELNS0_17block_load_methodE3ELS4_3ELS4_3ELNS0_20block_scan_algorithmE0ELj4294967295EEENS1_25partition_config_selectorILNS1_17partition_subalgoE3EjNS0_10empty_typeEbEEZZNS1_14partition_implILS8_3ELb0ES6_jNS0_17counting_iteratorIjlEEPS9_SE_NS0_5tupleIJPjSE_EEENSF_IJSE_SE_EEES9_SG_JZNS1_25segmented_radix_sort_implINS0_14default_configELb1EPKlPlSM_SN_N2at6native12_GLOBAL__N_18offset_tEEE10hipError_tPvRmT1_PNSt15iterator_traitsISV_E10value_typeET2_T3_PNSW_IS11_E10value_typeET4_jRbjT5_S17_jjP12ihipStream_tbEUljE_EEESS_ST_SU_S11_S15_S17_T6_T7_T9_mT8_S19_bDpT10_ENKUlT_T0_E_clISt17integral_constantIbLb1EES1M_EEDaS1H_S1I_EUlS1H_E_NS1_11comp_targetILNS1_3genE10ELNS1_11target_archE1200ELNS1_3gpuE4ELNS1_3repE0EEENS1_30default_config_static_selectorELNS0_4arch9wavefront6targetE0EEEvSV_.num_named_barrier, 0
	.set _ZN7rocprim17ROCPRIM_400000_NS6detail17trampoline_kernelINS0_13select_configILj256ELj13ELNS0_17block_load_methodE3ELS4_3ELS4_3ELNS0_20block_scan_algorithmE0ELj4294967295EEENS1_25partition_config_selectorILNS1_17partition_subalgoE3EjNS0_10empty_typeEbEEZZNS1_14partition_implILS8_3ELb0ES6_jNS0_17counting_iteratorIjlEEPS9_SE_NS0_5tupleIJPjSE_EEENSF_IJSE_SE_EEES9_SG_JZNS1_25segmented_radix_sort_implINS0_14default_configELb1EPKlPlSM_SN_N2at6native12_GLOBAL__N_18offset_tEEE10hipError_tPvRmT1_PNSt15iterator_traitsISV_E10value_typeET2_T3_PNSW_IS11_E10value_typeET4_jRbjT5_S17_jjP12ihipStream_tbEUljE_EEESS_ST_SU_S11_S15_S17_T6_T7_T9_mT8_S19_bDpT10_ENKUlT_T0_E_clISt17integral_constantIbLb1EES1M_EEDaS1H_S1I_EUlS1H_E_NS1_11comp_targetILNS1_3genE10ELNS1_11target_archE1200ELNS1_3gpuE4ELNS1_3repE0EEENS1_30default_config_static_selectorELNS0_4arch9wavefront6targetE0EEEvSV_.private_seg_size, 0
	.set _ZN7rocprim17ROCPRIM_400000_NS6detail17trampoline_kernelINS0_13select_configILj256ELj13ELNS0_17block_load_methodE3ELS4_3ELS4_3ELNS0_20block_scan_algorithmE0ELj4294967295EEENS1_25partition_config_selectorILNS1_17partition_subalgoE3EjNS0_10empty_typeEbEEZZNS1_14partition_implILS8_3ELb0ES6_jNS0_17counting_iteratorIjlEEPS9_SE_NS0_5tupleIJPjSE_EEENSF_IJSE_SE_EEES9_SG_JZNS1_25segmented_radix_sort_implINS0_14default_configELb1EPKlPlSM_SN_N2at6native12_GLOBAL__N_18offset_tEEE10hipError_tPvRmT1_PNSt15iterator_traitsISV_E10value_typeET2_T3_PNSW_IS11_E10value_typeET4_jRbjT5_S17_jjP12ihipStream_tbEUljE_EEESS_ST_SU_S11_S15_S17_T6_T7_T9_mT8_S19_bDpT10_ENKUlT_T0_E_clISt17integral_constantIbLb1EES1M_EEDaS1H_S1I_EUlS1H_E_NS1_11comp_targetILNS1_3genE10ELNS1_11target_archE1200ELNS1_3gpuE4ELNS1_3repE0EEENS1_30default_config_static_selectorELNS0_4arch9wavefront6targetE0EEEvSV_.uses_vcc, 0
	.set _ZN7rocprim17ROCPRIM_400000_NS6detail17trampoline_kernelINS0_13select_configILj256ELj13ELNS0_17block_load_methodE3ELS4_3ELS4_3ELNS0_20block_scan_algorithmE0ELj4294967295EEENS1_25partition_config_selectorILNS1_17partition_subalgoE3EjNS0_10empty_typeEbEEZZNS1_14partition_implILS8_3ELb0ES6_jNS0_17counting_iteratorIjlEEPS9_SE_NS0_5tupleIJPjSE_EEENSF_IJSE_SE_EEES9_SG_JZNS1_25segmented_radix_sort_implINS0_14default_configELb1EPKlPlSM_SN_N2at6native12_GLOBAL__N_18offset_tEEE10hipError_tPvRmT1_PNSt15iterator_traitsISV_E10value_typeET2_T3_PNSW_IS11_E10value_typeET4_jRbjT5_S17_jjP12ihipStream_tbEUljE_EEESS_ST_SU_S11_S15_S17_T6_T7_T9_mT8_S19_bDpT10_ENKUlT_T0_E_clISt17integral_constantIbLb1EES1M_EEDaS1H_S1I_EUlS1H_E_NS1_11comp_targetILNS1_3genE10ELNS1_11target_archE1200ELNS1_3gpuE4ELNS1_3repE0EEENS1_30default_config_static_selectorELNS0_4arch9wavefront6targetE0EEEvSV_.uses_flat_scratch, 0
	.set _ZN7rocprim17ROCPRIM_400000_NS6detail17trampoline_kernelINS0_13select_configILj256ELj13ELNS0_17block_load_methodE3ELS4_3ELS4_3ELNS0_20block_scan_algorithmE0ELj4294967295EEENS1_25partition_config_selectorILNS1_17partition_subalgoE3EjNS0_10empty_typeEbEEZZNS1_14partition_implILS8_3ELb0ES6_jNS0_17counting_iteratorIjlEEPS9_SE_NS0_5tupleIJPjSE_EEENSF_IJSE_SE_EEES9_SG_JZNS1_25segmented_radix_sort_implINS0_14default_configELb1EPKlPlSM_SN_N2at6native12_GLOBAL__N_18offset_tEEE10hipError_tPvRmT1_PNSt15iterator_traitsISV_E10value_typeET2_T3_PNSW_IS11_E10value_typeET4_jRbjT5_S17_jjP12ihipStream_tbEUljE_EEESS_ST_SU_S11_S15_S17_T6_T7_T9_mT8_S19_bDpT10_ENKUlT_T0_E_clISt17integral_constantIbLb1EES1M_EEDaS1H_S1I_EUlS1H_E_NS1_11comp_targetILNS1_3genE10ELNS1_11target_archE1200ELNS1_3gpuE4ELNS1_3repE0EEENS1_30default_config_static_selectorELNS0_4arch9wavefront6targetE0EEEvSV_.has_dyn_sized_stack, 0
	.set _ZN7rocprim17ROCPRIM_400000_NS6detail17trampoline_kernelINS0_13select_configILj256ELj13ELNS0_17block_load_methodE3ELS4_3ELS4_3ELNS0_20block_scan_algorithmE0ELj4294967295EEENS1_25partition_config_selectorILNS1_17partition_subalgoE3EjNS0_10empty_typeEbEEZZNS1_14partition_implILS8_3ELb0ES6_jNS0_17counting_iteratorIjlEEPS9_SE_NS0_5tupleIJPjSE_EEENSF_IJSE_SE_EEES9_SG_JZNS1_25segmented_radix_sort_implINS0_14default_configELb1EPKlPlSM_SN_N2at6native12_GLOBAL__N_18offset_tEEE10hipError_tPvRmT1_PNSt15iterator_traitsISV_E10value_typeET2_T3_PNSW_IS11_E10value_typeET4_jRbjT5_S17_jjP12ihipStream_tbEUljE_EEESS_ST_SU_S11_S15_S17_T6_T7_T9_mT8_S19_bDpT10_ENKUlT_T0_E_clISt17integral_constantIbLb1EES1M_EEDaS1H_S1I_EUlS1H_E_NS1_11comp_targetILNS1_3genE10ELNS1_11target_archE1200ELNS1_3gpuE4ELNS1_3repE0EEENS1_30default_config_static_selectorELNS0_4arch9wavefront6targetE0EEEvSV_.has_recursion, 0
	.set _ZN7rocprim17ROCPRIM_400000_NS6detail17trampoline_kernelINS0_13select_configILj256ELj13ELNS0_17block_load_methodE3ELS4_3ELS4_3ELNS0_20block_scan_algorithmE0ELj4294967295EEENS1_25partition_config_selectorILNS1_17partition_subalgoE3EjNS0_10empty_typeEbEEZZNS1_14partition_implILS8_3ELb0ES6_jNS0_17counting_iteratorIjlEEPS9_SE_NS0_5tupleIJPjSE_EEENSF_IJSE_SE_EEES9_SG_JZNS1_25segmented_radix_sort_implINS0_14default_configELb1EPKlPlSM_SN_N2at6native12_GLOBAL__N_18offset_tEEE10hipError_tPvRmT1_PNSt15iterator_traitsISV_E10value_typeET2_T3_PNSW_IS11_E10value_typeET4_jRbjT5_S17_jjP12ihipStream_tbEUljE_EEESS_ST_SU_S11_S15_S17_T6_T7_T9_mT8_S19_bDpT10_ENKUlT_T0_E_clISt17integral_constantIbLb1EES1M_EEDaS1H_S1I_EUlS1H_E_NS1_11comp_targetILNS1_3genE10ELNS1_11target_archE1200ELNS1_3gpuE4ELNS1_3repE0EEENS1_30default_config_static_selectorELNS0_4arch9wavefront6targetE0EEEvSV_.has_indirect_call, 0
	.section	.AMDGPU.csdata,"",@progbits
; Kernel info:
; codeLenInByte = 0
; TotalNumSgprs: 0
; NumVgprs: 0
; ScratchSize: 0
; MemoryBound: 0
; FloatMode: 240
; IeeeMode: 1
; LDSByteSize: 0 bytes/workgroup (compile time only)
; SGPRBlocks: 0
; VGPRBlocks: 0
; NumSGPRsForWavesPerEU: 1
; NumVGPRsForWavesPerEU: 1
; Occupancy: 16
; WaveLimiterHint : 0
; COMPUTE_PGM_RSRC2:SCRATCH_EN: 0
; COMPUTE_PGM_RSRC2:USER_SGPR: 6
; COMPUTE_PGM_RSRC2:TRAP_HANDLER: 0
; COMPUTE_PGM_RSRC2:TGID_X_EN: 1
; COMPUTE_PGM_RSRC2:TGID_Y_EN: 0
; COMPUTE_PGM_RSRC2:TGID_Z_EN: 0
; COMPUTE_PGM_RSRC2:TIDIG_COMP_CNT: 0
	.section	.text._ZN7rocprim17ROCPRIM_400000_NS6detail17trampoline_kernelINS0_13select_configILj256ELj13ELNS0_17block_load_methodE3ELS4_3ELS4_3ELNS0_20block_scan_algorithmE0ELj4294967295EEENS1_25partition_config_selectorILNS1_17partition_subalgoE3EjNS0_10empty_typeEbEEZZNS1_14partition_implILS8_3ELb0ES6_jNS0_17counting_iteratorIjlEEPS9_SE_NS0_5tupleIJPjSE_EEENSF_IJSE_SE_EEES9_SG_JZNS1_25segmented_radix_sort_implINS0_14default_configELb1EPKlPlSM_SN_N2at6native12_GLOBAL__N_18offset_tEEE10hipError_tPvRmT1_PNSt15iterator_traitsISV_E10value_typeET2_T3_PNSW_IS11_E10value_typeET4_jRbjT5_S17_jjP12ihipStream_tbEUljE_EEESS_ST_SU_S11_S15_S17_T6_T7_T9_mT8_S19_bDpT10_ENKUlT_T0_E_clISt17integral_constantIbLb1EES1M_EEDaS1H_S1I_EUlS1H_E_NS1_11comp_targetILNS1_3genE9ELNS1_11target_archE1100ELNS1_3gpuE3ELNS1_3repE0EEENS1_30default_config_static_selectorELNS0_4arch9wavefront6targetE0EEEvSV_,"axG",@progbits,_ZN7rocprim17ROCPRIM_400000_NS6detail17trampoline_kernelINS0_13select_configILj256ELj13ELNS0_17block_load_methodE3ELS4_3ELS4_3ELNS0_20block_scan_algorithmE0ELj4294967295EEENS1_25partition_config_selectorILNS1_17partition_subalgoE3EjNS0_10empty_typeEbEEZZNS1_14partition_implILS8_3ELb0ES6_jNS0_17counting_iteratorIjlEEPS9_SE_NS0_5tupleIJPjSE_EEENSF_IJSE_SE_EEES9_SG_JZNS1_25segmented_radix_sort_implINS0_14default_configELb1EPKlPlSM_SN_N2at6native12_GLOBAL__N_18offset_tEEE10hipError_tPvRmT1_PNSt15iterator_traitsISV_E10value_typeET2_T3_PNSW_IS11_E10value_typeET4_jRbjT5_S17_jjP12ihipStream_tbEUljE_EEESS_ST_SU_S11_S15_S17_T6_T7_T9_mT8_S19_bDpT10_ENKUlT_T0_E_clISt17integral_constantIbLb1EES1M_EEDaS1H_S1I_EUlS1H_E_NS1_11comp_targetILNS1_3genE9ELNS1_11target_archE1100ELNS1_3gpuE3ELNS1_3repE0EEENS1_30default_config_static_selectorELNS0_4arch9wavefront6targetE0EEEvSV_,comdat
	.globl	_ZN7rocprim17ROCPRIM_400000_NS6detail17trampoline_kernelINS0_13select_configILj256ELj13ELNS0_17block_load_methodE3ELS4_3ELS4_3ELNS0_20block_scan_algorithmE0ELj4294967295EEENS1_25partition_config_selectorILNS1_17partition_subalgoE3EjNS0_10empty_typeEbEEZZNS1_14partition_implILS8_3ELb0ES6_jNS0_17counting_iteratorIjlEEPS9_SE_NS0_5tupleIJPjSE_EEENSF_IJSE_SE_EEES9_SG_JZNS1_25segmented_radix_sort_implINS0_14default_configELb1EPKlPlSM_SN_N2at6native12_GLOBAL__N_18offset_tEEE10hipError_tPvRmT1_PNSt15iterator_traitsISV_E10value_typeET2_T3_PNSW_IS11_E10value_typeET4_jRbjT5_S17_jjP12ihipStream_tbEUljE_EEESS_ST_SU_S11_S15_S17_T6_T7_T9_mT8_S19_bDpT10_ENKUlT_T0_E_clISt17integral_constantIbLb1EES1M_EEDaS1H_S1I_EUlS1H_E_NS1_11comp_targetILNS1_3genE9ELNS1_11target_archE1100ELNS1_3gpuE3ELNS1_3repE0EEENS1_30default_config_static_selectorELNS0_4arch9wavefront6targetE0EEEvSV_ ; -- Begin function _ZN7rocprim17ROCPRIM_400000_NS6detail17trampoline_kernelINS0_13select_configILj256ELj13ELNS0_17block_load_methodE3ELS4_3ELS4_3ELNS0_20block_scan_algorithmE0ELj4294967295EEENS1_25partition_config_selectorILNS1_17partition_subalgoE3EjNS0_10empty_typeEbEEZZNS1_14partition_implILS8_3ELb0ES6_jNS0_17counting_iteratorIjlEEPS9_SE_NS0_5tupleIJPjSE_EEENSF_IJSE_SE_EEES9_SG_JZNS1_25segmented_radix_sort_implINS0_14default_configELb1EPKlPlSM_SN_N2at6native12_GLOBAL__N_18offset_tEEE10hipError_tPvRmT1_PNSt15iterator_traitsISV_E10value_typeET2_T3_PNSW_IS11_E10value_typeET4_jRbjT5_S17_jjP12ihipStream_tbEUljE_EEESS_ST_SU_S11_S15_S17_T6_T7_T9_mT8_S19_bDpT10_ENKUlT_T0_E_clISt17integral_constantIbLb1EES1M_EEDaS1H_S1I_EUlS1H_E_NS1_11comp_targetILNS1_3genE9ELNS1_11target_archE1100ELNS1_3gpuE3ELNS1_3repE0EEENS1_30default_config_static_selectorELNS0_4arch9wavefront6targetE0EEEvSV_
	.p2align	8
	.type	_ZN7rocprim17ROCPRIM_400000_NS6detail17trampoline_kernelINS0_13select_configILj256ELj13ELNS0_17block_load_methodE3ELS4_3ELS4_3ELNS0_20block_scan_algorithmE0ELj4294967295EEENS1_25partition_config_selectorILNS1_17partition_subalgoE3EjNS0_10empty_typeEbEEZZNS1_14partition_implILS8_3ELb0ES6_jNS0_17counting_iteratorIjlEEPS9_SE_NS0_5tupleIJPjSE_EEENSF_IJSE_SE_EEES9_SG_JZNS1_25segmented_radix_sort_implINS0_14default_configELb1EPKlPlSM_SN_N2at6native12_GLOBAL__N_18offset_tEEE10hipError_tPvRmT1_PNSt15iterator_traitsISV_E10value_typeET2_T3_PNSW_IS11_E10value_typeET4_jRbjT5_S17_jjP12ihipStream_tbEUljE_EEESS_ST_SU_S11_S15_S17_T6_T7_T9_mT8_S19_bDpT10_ENKUlT_T0_E_clISt17integral_constantIbLb1EES1M_EEDaS1H_S1I_EUlS1H_E_NS1_11comp_targetILNS1_3genE9ELNS1_11target_archE1100ELNS1_3gpuE3ELNS1_3repE0EEENS1_30default_config_static_selectorELNS0_4arch9wavefront6targetE0EEEvSV_,@function
_ZN7rocprim17ROCPRIM_400000_NS6detail17trampoline_kernelINS0_13select_configILj256ELj13ELNS0_17block_load_methodE3ELS4_3ELS4_3ELNS0_20block_scan_algorithmE0ELj4294967295EEENS1_25partition_config_selectorILNS1_17partition_subalgoE3EjNS0_10empty_typeEbEEZZNS1_14partition_implILS8_3ELb0ES6_jNS0_17counting_iteratorIjlEEPS9_SE_NS0_5tupleIJPjSE_EEENSF_IJSE_SE_EEES9_SG_JZNS1_25segmented_radix_sort_implINS0_14default_configELb1EPKlPlSM_SN_N2at6native12_GLOBAL__N_18offset_tEEE10hipError_tPvRmT1_PNSt15iterator_traitsISV_E10value_typeET2_T3_PNSW_IS11_E10value_typeET4_jRbjT5_S17_jjP12ihipStream_tbEUljE_EEESS_ST_SU_S11_S15_S17_T6_T7_T9_mT8_S19_bDpT10_ENKUlT_T0_E_clISt17integral_constantIbLb1EES1M_EEDaS1H_S1I_EUlS1H_E_NS1_11comp_targetILNS1_3genE9ELNS1_11target_archE1100ELNS1_3gpuE3ELNS1_3repE0EEENS1_30default_config_static_selectorELNS0_4arch9wavefront6targetE0EEEvSV_: ; @_ZN7rocprim17ROCPRIM_400000_NS6detail17trampoline_kernelINS0_13select_configILj256ELj13ELNS0_17block_load_methodE3ELS4_3ELS4_3ELNS0_20block_scan_algorithmE0ELj4294967295EEENS1_25partition_config_selectorILNS1_17partition_subalgoE3EjNS0_10empty_typeEbEEZZNS1_14partition_implILS8_3ELb0ES6_jNS0_17counting_iteratorIjlEEPS9_SE_NS0_5tupleIJPjSE_EEENSF_IJSE_SE_EEES9_SG_JZNS1_25segmented_radix_sort_implINS0_14default_configELb1EPKlPlSM_SN_N2at6native12_GLOBAL__N_18offset_tEEE10hipError_tPvRmT1_PNSt15iterator_traitsISV_E10value_typeET2_T3_PNSW_IS11_E10value_typeET4_jRbjT5_S17_jjP12ihipStream_tbEUljE_EEESS_ST_SU_S11_S15_S17_T6_T7_T9_mT8_S19_bDpT10_ENKUlT_T0_E_clISt17integral_constantIbLb1EES1M_EEDaS1H_S1I_EUlS1H_E_NS1_11comp_targetILNS1_3genE9ELNS1_11target_archE1100ELNS1_3gpuE3ELNS1_3repE0EEENS1_30default_config_static_selectorELNS0_4arch9wavefront6targetE0EEEvSV_
; %bb.0:
	.section	.rodata,"a",@progbits
	.p2align	6, 0x0
	.amdhsa_kernel _ZN7rocprim17ROCPRIM_400000_NS6detail17trampoline_kernelINS0_13select_configILj256ELj13ELNS0_17block_load_methodE3ELS4_3ELS4_3ELNS0_20block_scan_algorithmE0ELj4294967295EEENS1_25partition_config_selectorILNS1_17partition_subalgoE3EjNS0_10empty_typeEbEEZZNS1_14partition_implILS8_3ELb0ES6_jNS0_17counting_iteratorIjlEEPS9_SE_NS0_5tupleIJPjSE_EEENSF_IJSE_SE_EEES9_SG_JZNS1_25segmented_radix_sort_implINS0_14default_configELb1EPKlPlSM_SN_N2at6native12_GLOBAL__N_18offset_tEEE10hipError_tPvRmT1_PNSt15iterator_traitsISV_E10value_typeET2_T3_PNSW_IS11_E10value_typeET4_jRbjT5_S17_jjP12ihipStream_tbEUljE_EEESS_ST_SU_S11_S15_S17_T6_T7_T9_mT8_S19_bDpT10_ENKUlT_T0_E_clISt17integral_constantIbLb1EES1M_EEDaS1H_S1I_EUlS1H_E_NS1_11comp_targetILNS1_3genE9ELNS1_11target_archE1100ELNS1_3gpuE3ELNS1_3repE0EEENS1_30default_config_static_selectorELNS0_4arch9wavefront6targetE0EEEvSV_
		.amdhsa_group_segment_fixed_size 0
		.amdhsa_private_segment_fixed_size 0
		.amdhsa_kernarg_size 152
		.amdhsa_user_sgpr_count 6
		.amdhsa_user_sgpr_private_segment_buffer 1
		.amdhsa_user_sgpr_dispatch_ptr 0
		.amdhsa_user_sgpr_queue_ptr 0
		.amdhsa_user_sgpr_kernarg_segment_ptr 1
		.amdhsa_user_sgpr_dispatch_id 0
		.amdhsa_user_sgpr_flat_scratch_init 0
		.amdhsa_user_sgpr_private_segment_size 0
		.amdhsa_wavefront_size32 1
		.amdhsa_uses_dynamic_stack 0
		.amdhsa_system_sgpr_private_segment_wavefront_offset 0
		.amdhsa_system_sgpr_workgroup_id_x 1
		.amdhsa_system_sgpr_workgroup_id_y 0
		.amdhsa_system_sgpr_workgroup_id_z 0
		.amdhsa_system_sgpr_workgroup_info 0
		.amdhsa_system_vgpr_workitem_id 0
		.amdhsa_next_free_vgpr 1
		.amdhsa_next_free_sgpr 1
		.amdhsa_reserve_vcc 0
		.amdhsa_reserve_flat_scratch 0
		.amdhsa_float_round_mode_32 0
		.amdhsa_float_round_mode_16_64 0
		.amdhsa_float_denorm_mode_32 3
		.amdhsa_float_denorm_mode_16_64 3
		.amdhsa_dx10_clamp 1
		.amdhsa_ieee_mode 1
		.amdhsa_fp16_overflow 0
		.amdhsa_workgroup_processor_mode 1
		.amdhsa_memory_ordered 1
		.amdhsa_forward_progress 1
		.amdhsa_shared_vgpr_count 0
		.amdhsa_exception_fp_ieee_invalid_op 0
		.amdhsa_exception_fp_denorm_src 0
		.amdhsa_exception_fp_ieee_div_zero 0
		.amdhsa_exception_fp_ieee_overflow 0
		.amdhsa_exception_fp_ieee_underflow 0
		.amdhsa_exception_fp_ieee_inexact 0
		.amdhsa_exception_int_div_zero 0
	.end_amdhsa_kernel
	.section	.text._ZN7rocprim17ROCPRIM_400000_NS6detail17trampoline_kernelINS0_13select_configILj256ELj13ELNS0_17block_load_methodE3ELS4_3ELS4_3ELNS0_20block_scan_algorithmE0ELj4294967295EEENS1_25partition_config_selectorILNS1_17partition_subalgoE3EjNS0_10empty_typeEbEEZZNS1_14partition_implILS8_3ELb0ES6_jNS0_17counting_iteratorIjlEEPS9_SE_NS0_5tupleIJPjSE_EEENSF_IJSE_SE_EEES9_SG_JZNS1_25segmented_radix_sort_implINS0_14default_configELb1EPKlPlSM_SN_N2at6native12_GLOBAL__N_18offset_tEEE10hipError_tPvRmT1_PNSt15iterator_traitsISV_E10value_typeET2_T3_PNSW_IS11_E10value_typeET4_jRbjT5_S17_jjP12ihipStream_tbEUljE_EEESS_ST_SU_S11_S15_S17_T6_T7_T9_mT8_S19_bDpT10_ENKUlT_T0_E_clISt17integral_constantIbLb1EES1M_EEDaS1H_S1I_EUlS1H_E_NS1_11comp_targetILNS1_3genE9ELNS1_11target_archE1100ELNS1_3gpuE3ELNS1_3repE0EEENS1_30default_config_static_selectorELNS0_4arch9wavefront6targetE0EEEvSV_,"axG",@progbits,_ZN7rocprim17ROCPRIM_400000_NS6detail17trampoline_kernelINS0_13select_configILj256ELj13ELNS0_17block_load_methodE3ELS4_3ELS4_3ELNS0_20block_scan_algorithmE0ELj4294967295EEENS1_25partition_config_selectorILNS1_17partition_subalgoE3EjNS0_10empty_typeEbEEZZNS1_14partition_implILS8_3ELb0ES6_jNS0_17counting_iteratorIjlEEPS9_SE_NS0_5tupleIJPjSE_EEENSF_IJSE_SE_EEES9_SG_JZNS1_25segmented_radix_sort_implINS0_14default_configELb1EPKlPlSM_SN_N2at6native12_GLOBAL__N_18offset_tEEE10hipError_tPvRmT1_PNSt15iterator_traitsISV_E10value_typeET2_T3_PNSW_IS11_E10value_typeET4_jRbjT5_S17_jjP12ihipStream_tbEUljE_EEESS_ST_SU_S11_S15_S17_T6_T7_T9_mT8_S19_bDpT10_ENKUlT_T0_E_clISt17integral_constantIbLb1EES1M_EEDaS1H_S1I_EUlS1H_E_NS1_11comp_targetILNS1_3genE9ELNS1_11target_archE1100ELNS1_3gpuE3ELNS1_3repE0EEENS1_30default_config_static_selectorELNS0_4arch9wavefront6targetE0EEEvSV_,comdat
.Lfunc_end680:
	.size	_ZN7rocprim17ROCPRIM_400000_NS6detail17trampoline_kernelINS0_13select_configILj256ELj13ELNS0_17block_load_methodE3ELS4_3ELS4_3ELNS0_20block_scan_algorithmE0ELj4294967295EEENS1_25partition_config_selectorILNS1_17partition_subalgoE3EjNS0_10empty_typeEbEEZZNS1_14partition_implILS8_3ELb0ES6_jNS0_17counting_iteratorIjlEEPS9_SE_NS0_5tupleIJPjSE_EEENSF_IJSE_SE_EEES9_SG_JZNS1_25segmented_radix_sort_implINS0_14default_configELb1EPKlPlSM_SN_N2at6native12_GLOBAL__N_18offset_tEEE10hipError_tPvRmT1_PNSt15iterator_traitsISV_E10value_typeET2_T3_PNSW_IS11_E10value_typeET4_jRbjT5_S17_jjP12ihipStream_tbEUljE_EEESS_ST_SU_S11_S15_S17_T6_T7_T9_mT8_S19_bDpT10_ENKUlT_T0_E_clISt17integral_constantIbLb1EES1M_EEDaS1H_S1I_EUlS1H_E_NS1_11comp_targetILNS1_3genE9ELNS1_11target_archE1100ELNS1_3gpuE3ELNS1_3repE0EEENS1_30default_config_static_selectorELNS0_4arch9wavefront6targetE0EEEvSV_, .Lfunc_end680-_ZN7rocprim17ROCPRIM_400000_NS6detail17trampoline_kernelINS0_13select_configILj256ELj13ELNS0_17block_load_methodE3ELS4_3ELS4_3ELNS0_20block_scan_algorithmE0ELj4294967295EEENS1_25partition_config_selectorILNS1_17partition_subalgoE3EjNS0_10empty_typeEbEEZZNS1_14partition_implILS8_3ELb0ES6_jNS0_17counting_iteratorIjlEEPS9_SE_NS0_5tupleIJPjSE_EEENSF_IJSE_SE_EEES9_SG_JZNS1_25segmented_radix_sort_implINS0_14default_configELb1EPKlPlSM_SN_N2at6native12_GLOBAL__N_18offset_tEEE10hipError_tPvRmT1_PNSt15iterator_traitsISV_E10value_typeET2_T3_PNSW_IS11_E10value_typeET4_jRbjT5_S17_jjP12ihipStream_tbEUljE_EEESS_ST_SU_S11_S15_S17_T6_T7_T9_mT8_S19_bDpT10_ENKUlT_T0_E_clISt17integral_constantIbLb1EES1M_EEDaS1H_S1I_EUlS1H_E_NS1_11comp_targetILNS1_3genE9ELNS1_11target_archE1100ELNS1_3gpuE3ELNS1_3repE0EEENS1_30default_config_static_selectorELNS0_4arch9wavefront6targetE0EEEvSV_
                                        ; -- End function
	.set _ZN7rocprim17ROCPRIM_400000_NS6detail17trampoline_kernelINS0_13select_configILj256ELj13ELNS0_17block_load_methodE3ELS4_3ELS4_3ELNS0_20block_scan_algorithmE0ELj4294967295EEENS1_25partition_config_selectorILNS1_17partition_subalgoE3EjNS0_10empty_typeEbEEZZNS1_14partition_implILS8_3ELb0ES6_jNS0_17counting_iteratorIjlEEPS9_SE_NS0_5tupleIJPjSE_EEENSF_IJSE_SE_EEES9_SG_JZNS1_25segmented_radix_sort_implINS0_14default_configELb1EPKlPlSM_SN_N2at6native12_GLOBAL__N_18offset_tEEE10hipError_tPvRmT1_PNSt15iterator_traitsISV_E10value_typeET2_T3_PNSW_IS11_E10value_typeET4_jRbjT5_S17_jjP12ihipStream_tbEUljE_EEESS_ST_SU_S11_S15_S17_T6_T7_T9_mT8_S19_bDpT10_ENKUlT_T0_E_clISt17integral_constantIbLb1EES1M_EEDaS1H_S1I_EUlS1H_E_NS1_11comp_targetILNS1_3genE9ELNS1_11target_archE1100ELNS1_3gpuE3ELNS1_3repE0EEENS1_30default_config_static_selectorELNS0_4arch9wavefront6targetE0EEEvSV_.num_vgpr, 0
	.set _ZN7rocprim17ROCPRIM_400000_NS6detail17trampoline_kernelINS0_13select_configILj256ELj13ELNS0_17block_load_methodE3ELS4_3ELS4_3ELNS0_20block_scan_algorithmE0ELj4294967295EEENS1_25partition_config_selectorILNS1_17partition_subalgoE3EjNS0_10empty_typeEbEEZZNS1_14partition_implILS8_3ELb0ES6_jNS0_17counting_iteratorIjlEEPS9_SE_NS0_5tupleIJPjSE_EEENSF_IJSE_SE_EEES9_SG_JZNS1_25segmented_radix_sort_implINS0_14default_configELb1EPKlPlSM_SN_N2at6native12_GLOBAL__N_18offset_tEEE10hipError_tPvRmT1_PNSt15iterator_traitsISV_E10value_typeET2_T3_PNSW_IS11_E10value_typeET4_jRbjT5_S17_jjP12ihipStream_tbEUljE_EEESS_ST_SU_S11_S15_S17_T6_T7_T9_mT8_S19_bDpT10_ENKUlT_T0_E_clISt17integral_constantIbLb1EES1M_EEDaS1H_S1I_EUlS1H_E_NS1_11comp_targetILNS1_3genE9ELNS1_11target_archE1100ELNS1_3gpuE3ELNS1_3repE0EEENS1_30default_config_static_selectorELNS0_4arch9wavefront6targetE0EEEvSV_.num_agpr, 0
	.set _ZN7rocprim17ROCPRIM_400000_NS6detail17trampoline_kernelINS0_13select_configILj256ELj13ELNS0_17block_load_methodE3ELS4_3ELS4_3ELNS0_20block_scan_algorithmE0ELj4294967295EEENS1_25partition_config_selectorILNS1_17partition_subalgoE3EjNS0_10empty_typeEbEEZZNS1_14partition_implILS8_3ELb0ES6_jNS0_17counting_iteratorIjlEEPS9_SE_NS0_5tupleIJPjSE_EEENSF_IJSE_SE_EEES9_SG_JZNS1_25segmented_radix_sort_implINS0_14default_configELb1EPKlPlSM_SN_N2at6native12_GLOBAL__N_18offset_tEEE10hipError_tPvRmT1_PNSt15iterator_traitsISV_E10value_typeET2_T3_PNSW_IS11_E10value_typeET4_jRbjT5_S17_jjP12ihipStream_tbEUljE_EEESS_ST_SU_S11_S15_S17_T6_T7_T9_mT8_S19_bDpT10_ENKUlT_T0_E_clISt17integral_constantIbLb1EES1M_EEDaS1H_S1I_EUlS1H_E_NS1_11comp_targetILNS1_3genE9ELNS1_11target_archE1100ELNS1_3gpuE3ELNS1_3repE0EEENS1_30default_config_static_selectorELNS0_4arch9wavefront6targetE0EEEvSV_.numbered_sgpr, 0
	.set _ZN7rocprim17ROCPRIM_400000_NS6detail17trampoline_kernelINS0_13select_configILj256ELj13ELNS0_17block_load_methodE3ELS4_3ELS4_3ELNS0_20block_scan_algorithmE0ELj4294967295EEENS1_25partition_config_selectorILNS1_17partition_subalgoE3EjNS0_10empty_typeEbEEZZNS1_14partition_implILS8_3ELb0ES6_jNS0_17counting_iteratorIjlEEPS9_SE_NS0_5tupleIJPjSE_EEENSF_IJSE_SE_EEES9_SG_JZNS1_25segmented_radix_sort_implINS0_14default_configELb1EPKlPlSM_SN_N2at6native12_GLOBAL__N_18offset_tEEE10hipError_tPvRmT1_PNSt15iterator_traitsISV_E10value_typeET2_T3_PNSW_IS11_E10value_typeET4_jRbjT5_S17_jjP12ihipStream_tbEUljE_EEESS_ST_SU_S11_S15_S17_T6_T7_T9_mT8_S19_bDpT10_ENKUlT_T0_E_clISt17integral_constantIbLb1EES1M_EEDaS1H_S1I_EUlS1H_E_NS1_11comp_targetILNS1_3genE9ELNS1_11target_archE1100ELNS1_3gpuE3ELNS1_3repE0EEENS1_30default_config_static_selectorELNS0_4arch9wavefront6targetE0EEEvSV_.num_named_barrier, 0
	.set _ZN7rocprim17ROCPRIM_400000_NS6detail17trampoline_kernelINS0_13select_configILj256ELj13ELNS0_17block_load_methodE3ELS4_3ELS4_3ELNS0_20block_scan_algorithmE0ELj4294967295EEENS1_25partition_config_selectorILNS1_17partition_subalgoE3EjNS0_10empty_typeEbEEZZNS1_14partition_implILS8_3ELb0ES6_jNS0_17counting_iteratorIjlEEPS9_SE_NS0_5tupleIJPjSE_EEENSF_IJSE_SE_EEES9_SG_JZNS1_25segmented_radix_sort_implINS0_14default_configELb1EPKlPlSM_SN_N2at6native12_GLOBAL__N_18offset_tEEE10hipError_tPvRmT1_PNSt15iterator_traitsISV_E10value_typeET2_T3_PNSW_IS11_E10value_typeET4_jRbjT5_S17_jjP12ihipStream_tbEUljE_EEESS_ST_SU_S11_S15_S17_T6_T7_T9_mT8_S19_bDpT10_ENKUlT_T0_E_clISt17integral_constantIbLb1EES1M_EEDaS1H_S1I_EUlS1H_E_NS1_11comp_targetILNS1_3genE9ELNS1_11target_archE1100ELNS1_3gpuE3ELNS1_3repE0EEENS1_30default_config_static_selectorELNS0_4arch9wavefront6targetE0EEEvSV_.private_seg_size, 0
	.set _ZN7rocprim17ROCPRIM_400000_NS6detail17trampoline_kernelINS0_13select_configILj256ELj13ELNS0_17block_load_methodE3ELS4_3ELS4_3ELNS0_20block_scan_algorithmE0ELj4294967295EEENS1_25partition_config_selectorILNS1_17partition_subalgoE3EjNS0_10empty_typeEbEEZZNS1_14partition_implILS8_3ELb0ES6_jNS0_17counting_iteratorIjlEEPS9_SE_NS0_5tupleIJPjSE_EEENSF_IJSE_SE_EEES9_SG_JZNS1_25segmented_radix_sort_implINS0_14default_configELb1EPKlPlSM_SN_N2at6native12_GLOBAL__N_18offset_tEEE10hipError_tPvRmT1_PNSt15iterator_traitsISV_E10value_typeET2_T3_PNSW_IS11_E10value_typeET4_jRbjT5_S17_jjP12ihipStream_tbEUljE_EEESS_ST_SU_S11_S15_S17_T6_T7_T9_mT8_S19_bDpT10_ENKUlT_T0_E_clISt17integral_constantIbLb1EES1M_EEDaS1H_S1I_EUlS1H_E_NS1_11comp_targetILNS1_3genE9ELNS1_11target_archE1100ELNS1_3gpuE3ELNS1_3repE0EEENS1_30default_config_static_selectorELNS0_4arch9wavefront6targetE0EEEvSV_.uses_vcc, 0
	.set _ZN7rocprim17ROCPRIM_400000_NS6detail17trampoline_kernelINS0_13select_configILj256ELj13ELNS0_17block_load_methodE3ELS4_3ELS4_3ELNS0_20block_scan_algorithmE0ELj4294967295EEENS1_25partition_config_selectorILNS1_17partition_subalgoE3EjNS0_10empty_typeEbEEZZNS1_14partition_implILS8_3ELb0ES6_jNS0_17counting_iteratorIjlEEPS9_SE_NS0_5tupleIJPjSE_EEENSF_IJSE_SE_EEES9_SG_JZNS1_25segmented_radix_sort_implINS0_14default_configELb1EPKlPlSM_SN_N2at6native12_GLOBAL__N_18offset_tEEE10hipError_tPvRmT1_PNSt15iterator_traitsISV_E10value_typeET2_T3_PNSW_IS11_E10value_typeET4_jRbjT5_S17_jjP12ihipStream_tbEUljE_EEESS_ST_SU_S11_S15_S17_T6_T7_T9_mT8_S19_bDpT10_ENKUlT_T0_E_clISt17integral_constantIbLb1EES1M_EEDaS1H_S1I_EUlS1H_E_NS1_11comp_targetILNS1_3genE9ELNS1_11target_archE1100ELNS1_3gpuE3ELNS1_3repE0EEENS1_30default_config_static_selectorELNS0_4arch9wavefront6targetE0EEEvSV_.uses_flat_scratch, 0
	.set _ZN7rocprim17ROCPRIM_400000_NS6detail17trampoline_kernelINS0_13select_configILj256ELj13ELNS0_17block_load_methodE3ELS4_3ELS4_3ELNS0_20block_scan_algorithmE0ELj4294967295EEENS1_25partition_config_selectorILNS1_17partition_subalgoE3EjNS0_10empty_typeEbEEZZNS1_14partition_implILS8_3ELb0ES6_jNS0_17counting_iteratorIjlEEPS9_SE_NS0_5tupleIJPjSE_EEENSF_IJSE_SE_EEES9_SG_JZNS1_25segmented_radix_sort_implINS0_14default_configELb1EPKlPlSM_SN_N2at6native12_GLOBAL__N_18offset_tEEE10hipError_tPvRmT1_PNSt15iterator_traitsISV_E10value_typeET2_T3_PNSW_IS11_E10value_typeET4_jRbjT5_S17_jjP12ihipStream_tbEUljE_EEESS_ST_SU_S11_S15_S17_T6_T7_T9_mT8_S19_bDpT10_ENKUlT_T0_E_clISt17integral_constantIbLb1EES1M_EEDaS1H_S1I_EUlS1H_E_NS1_11comp_targetILNS1_3genE9ELNS1_11target_archE1100ELNS1_3gpuE3ELNS1_3repE0EEENS1_30default_config_static_selectorELNS0_4arch9wavefront6targetE0EEEvSV_.has_dyn_sized_stack, 0
	.set _ZN7rocprim17ROCPRIM_400000_NS6detail17trampoline_kernelINS0_13select_configILj256ELj13ELNS0_17block_load_methodE3ELS4_3ELS4_3ELNS0_20block_scan_algorithmE0ELj4294967295EEENS1_25partition_config_selectorILNS1_17partition_subalgoE3EjNS0_10empty_typeEbEEZZNS1_14partition_implILS8_3ELb0ES6_jNS0_17counting_iteratorIjlEEPS9_SE_NS0_5tupleIJPjSE_EEENSF_IJSE_SE_EEES9_SG_JZNS1_25segmented_radix_sort_implINS0_14default_configELb1EPKlPlSM_SN_N2at6native12_GLOBAL__N_18offset_tEEE10hipError_tPvRmT1_PNSt15iterator_traitsISV_E10value_typeET2_T3_PNSW_IS11_E10value_typeET4_jRbjT5_S17_jjP12ihipStream_tbEUljE_EEESS_ST_SU_S11_S15_S17_T6_T7_T9_mT8_S19_bDpT10_ENKUlT_T0_E_clISt17integral_constantIbLb1EES1M_EEDaS1H_S1I_EUlS1H_E_NS1_11comp_targetILNS1_3genE9ELNS1_11target_archE1100ELNS1_3gpuE3ELNS1_3repE0EEENS1_30default_config_static_selectorELNS0_4arch9wavefront6targetE0EEEvSV_.has_recursion, 0
	.set _ZN7rocprim17ROCPRIM_400000_NS6detail17trampoline_kernelINS0_13select_configILj256ELj13ELNS0_17block_load_methodE3ELS4_3ELS4_3ELNS0_20block_scan_algorithmE0ELj4294967295EEENS1_25partition_config_selectorILNS1_17partition_subalgoE3EjNS0_10empty_typeEbEEZZNS1_14partition_implILS8_3ELb0ES6_jNS0_17counting_iteratorIjlEEPS9_SE_NS0_5tupleIJPjSE_EEENSF_IJSE_SE_EEES9_SG_JZNS1_25segmented_radix_sort_implINS0_14default_configELb1EPKlPlSM_SN_N2at6native12_GLOBAL__N_18offset_tEEE10hipError_tPvRmT1_PNSt15iterator_traitsISV_E10value_typeET2_T3_PNSW_IS11_E10value_typeET4_jRbjT5_S17_jjP12ihipStream_tbEUljE_EEESS_ST_SU_S11_S15_S17_T6_T7_T9_mT8_S19_bDpT10_ENKUlT_T0_E_clISt17integral_constantIbLb1EES1M_EEDaS1H_S1I_EUlS1H_E_NS1_11comp_targetILNS1_3genE9ELNS1_11target_archE1100ELNS1_3gpuE3ELNS1_3repE0EEENS1_30default_config_static_selectorELNS0_4arch9wavefront6targetE0EEEvSV_.has_indirect_call, 0
	.section	.AMDGPU.csdata,"",@progbits
; Kernel info:
; codeLenInByte = 0
; TotalNumSgprs: 0
; NumVgprs: 0
; ScratchSize: 0
; MemoryBound: 0
; FloatMode: 240
; IeeeMode: 1
; LDSByteSize: 0 bytes/workgroup (compile time only)
; SGPRBlocks: 0
; VGPRBlocks: 0
; NumSGPRsForWavesPerEU: 1
; NumVGPRsForWavesPerEU: 1
; Occupancy: 16
; WaveLimiterHint : 0
; COMPUTE_PGM_RSRC2:SCRATCH_EN: 0
; COMPUTE_PGM_RSRC2:USER_SGPR: 6
; COMPUTE_PGM_RSRC2:TRAP_HANDLER: 0
; COMPUTE_PGM_RSRC2:TGID_X_EN: 1
; COMPUTE_PGM_RSRC2:TGID_Y_EN: 0
; COMPUTE_PGM_RSRC2:TGID_Z_EN: 0
; COMPUTE_PGM_RSRC2:TIDIG_COMP_CNT: 0
	.section	.text._ZN7rocprim17ROCPRIM_400000_NS6detail17trampoline_kernelINS0_13select_configILj256ELj13ELNS0_17block_load_methodE3ELS4_3ELS4_3ELNS0_20block_scan_algorithmE0ELj4294967295EEENS1_25partition_config_selectorILNS1_17partition_subalgoE3EjNS0_10empty_typeEbEEZZNS1_14partition_implILS8_3ELb0ES6_jNS0_17counting_iteratorIjlEEPS9_SE_NS0_5tupleIJPjSE_EEENSF_IJSE_SE_EEES9_SG_JZNS1_25segmented_radix_sort_implINS0_14default_configELb1EPKlPlSM_SN_N2at6native12_GLOBAL__N_18offset_tEEE10hipError_tPvRmT1_PNSt15iterator_traitsISV_E10value_typeET2_T3_PNSW_IS11_E10value_typeET4_jRbjT5_S17_jjP12ihipStream_tbEUljE_EEESS_ST_SU_S11_S15_S17_T6_T7_T9_mT8_S19_bDpT10_ENKUlT_T0_E_clISt17integral_constantIbLb1EES1M_EEDaS1H_S1I_EUlS1H_E_NS1_11comp_targetILNS1_3genE8ELNS1_11target_archE1030ELNS1_3gpuE2ELNS1_3repE0EEENS1_30default_config_static_selectorELNS0_4arch9wavefront6targetE0EEEvSV_,"axG",@progbits,_ZN7rocprim17ROCPRIM_400000_NS6detail17trampoline_kernelINS0_13select_configILj256ELj13ELNS0_17block_load_methodE3ELS4_3ELS4_3ELNS0_20block_scan_algorithmE0ELj4294967295EEENS1_25partition_config_selectorILNS1_17partition_subalgoE3EjNS0_10empty_typeEbEEZZNS1_14partition_implILS8_3ELb0ES6_jNS0_17counting_iteratorIjlEEPS9_SE_NS0_5tupleIJPjSE_EEENSF_IJSE_SE_EEES9_SG_JZNS1_25segmented_radix_sort_implINS0_14default_configELb1EPKlPlSM_SN_N2at6native12_GLOBAL__N_18offset_tEEE10hipError_tPvRmT1_PNSt15iterator_traitsISV_E10value_typeET2_T3_PNSW_IS11_E10value_typeET4_jRbjT5_S17_jjP12ihipStream_tbEUljE_EEESS_ST_SU_S11_S15_S17_T6_T7_T9_mT8_S19_bDpT10_ENKUlT_T0_E_clISt17integral_constantIbLb1EES1M_EEDaS1H_S1I_EUlS1H_E_NS1_11comp_targetILNS1_3genE8ELNS1_11target_archE1030ELNS1_3gpuE2ELNS1_3repE0EEENS1_30default_config_static_selectorELNS0_4arch9wavefront6targetE0EEEvSV_,comdat
	.globl	_ZN7rocprim17ROCPRIM_400000_NS6detail17trampoline_kernelINS0_13select_configILj256ELj13ELNS0_17block_load_methodE3ELS4_3ELS4_3ELNS0_20block_scan_algorithmE0ELj4294967295EEENS1_25partition_config_selectorILNS1_17partition_subalgoE3EjNS0_10empty_typeEbEEZZNS1_14partition_implILS8_3ELb0ES6_jNS0_17counting_iteratorIjlEEPS9_SE_NS0_5tupleIJPjSE_EEENSF_IJSE_SE_EEES9_SG_JZNS1_25segmented_radix_sort_implINS0_14default_configELb1EPKlPlSM_SN_N2at6native12_GLOBAL__N_18offset_tEEE10hipError_tPvRmT1_PNSt15iterator_traitsISV_E10value_typeET2_T3_PNSW_IS11_E10value_typeET4_jRbjT5_S17_jjP12ihipStream_tbEUljE_EEESS_ST_SU_S11_S15_S17_T6_T7_T9_mT8_S19_bDpT10_ENKUlT_T0_E_clISt17integral_constantIbLb1EES1M_EEDaS1H_S1I_EUlS1H_E_NS1_11comp_targetILNS1_3genE8ELNS1_11target_archE1030ELNS1_3gpuE2ELNS1_3repE0EEENS1_30default_config_static_selectorELNS0_4arch9wavefront6targetE0EEEvSV_ ; -- Begin function _ZN7rocprim17ROCPRIM_400000_NS6detail17trampoline_kernelINS0_13select_configILj256ELj13ELNS0_17block_load_methodE3ELS4_3ELS4_3ELNS0_20block_scan_algorithmE0ELj4294967295EEENS1_25partition_config_selectorILNS1_17partition_subalgoE3EjNS0_10empty_typeEbEEZZNS1_14partition_implILS8_3ELb0ES6_jNS0_17counting_iteratorIjlEEPS9_SE_NS0_5tupleIJPjSE_EEENSF_IJSE_SE_EEES9_SG_JZNS1_25segmented_radix_sort_implINS0_14default_configELb1EPKlPlSM_SN_N2at6native12_GLOBAL__N_18offset_tEEE10hipError_tPvRmT1_PNSt15iterator_traitsISV_E10value_typeET2_T3_PNSW_IS11_E10value_typeET4_jRbjT5_S17_jjP12ihipStream_tbEUljE_EEESS_ST_SU_S11_S15_S17_T6_T7_T9_mT8_S19_bDpT10_ENKUlT_T0_E_clISt17integral_constantIbLb1EES1M_EEDaS1H_S1I_EUlS1H_E_NS1_11comp_targetILNS1_3genE8ELNS1_11target_archE1030ELNS1_3gpuE2ELNS1_3repE0EEENS1_30default_config_static_selectorELNS0_4arch9wavefront6targetE0EEEvSV_
	.p2align	8
	.type	_ZN7rocprim17ROCPRIM_400000_NS6detail17trampoline_kernelINS0_13select_configILj256ELj13ELNS0_17block_load_methodE3ELS4_3ELS4_3ELNS0_20block_scan_algorithmE0ELj4294967295EEENS1_25partition_config_selectorILNS1_17partition_subalgoE3EjNS0_10empty_typeEbEEZZNS1_14partition_implILS8_3ELb0ES6_jNS0_17counting_iteratorIjlEEPS9_SE_NS0_5tupleIJPjSE_EEENSF_IJSE_SE_EEES9_SG_JZNS1_25segmented_radix_sort_implINS0_14default_configELb1EPKlPlSM_SN_N2at6native12_GLOBAL__N_18offset_tEEE10hipError_tPvRmT1_PNSt15iterator_traitsISV_E10value_typeET2_T3_PNSW_IS11_E10value_typeET4_jRbjT5_S17_jjP12ihipStream_tbEUljE_EEESS_ST_SU_S11_S15_S17_T6_T7_T9_mT8_S19_bDpT10_ENKUlT_T0_E_clISt17integral_constantIbLb1EES1M_EEDaS1H_S1I_EUlS1H_E_NS1_11comp_targetILNS1_3genE8ELNS1_11target_archE1030ELNS1_3gpuE2ELNS1_3repE0EEENS1_30default_config_static_selectorELNS0_4arch9wavefront6targetE0EEEvSV_,@function
_ZN7rocprim17ROCPRIM_400000_NS6detail17trampoline_kernelINS0_13select_configILj256ELj13ELNS0_17block_load_methodE3ELS4_3ELS4_3ELNS0_20block_scan_algorithmE0ELj4294967295EEENS1_25partition_config_selectorILNS1_17partition_subalgoE3EjNS0_10empty_typeEbEEZZNS1_14partition_implILS8_3ELb0ES6_jNS0_17counting_iteratorIjlEEPS9_SE_NS0_5tupleIJPjSE_EEENSF_IJSE_SE_EEES9_SG_JZNS1_25segmented_radix_sort_implINS0_14default_configELb1EPKlPlSM_SN_N2at6native12_GLOBAL__N_18offset_tEEE10hipError_tPvRmT1_PNSt15iterator_traitsISV_E10value_typeET2_T3_PNSW_IS11_E10value_typeET4_jRbjT5_S17_jjP12ihipStream_tbEUljE_EEESS_ST_SU_S11_S15_S17_T6_T7_T9_mT8_S19_bDpT10_ENKUlT_T0_E_clISt17integral_constantIbLb1EES1M_EEDaS1H_S1I_EUlS1H_E_NS1_11comp_targetILNS1_3genE8ELNS1_11target_archE1030ELNS1_3gpuE2ELNS1_3repE0EEENS1_30default_config_static_selectorELNS0_4arch9wavefront6targetE0EEEvSV_: ; @_ZN7rocprim17ROCPRIM_400000_NS6detail17trampoline_kernelINS0_13select_configILj256ELj13ELNS0_17block_load_methodE3ELS4_3ELS4_3ELNS0_20block_scan_algorithmE0ELj4294967295EEENS1_25partition_config_selectorILNS1_17partition_subalgoE3EjNS0_10empty_typeEbEEZZNS1_14partition_implILS8_3ELb0ES6_jNS0_17counting_iteratorIjlEEPS9_SE_NS0_5tupleIJPjSE_EEENSF_IJSE_SE_EEES9_SG_JZNS1_25segmented_radix_sort_implINS0_14default_configELb1EPKlPlSM_SN_N2at6native12_GLOBAL__N_18offset_tEEE10hipError_tPvRmT1_PNSt15iterator_traitsISV_E10value_typeET2_T3_PNSW_IS11_E10value_typeET4_jRbjT5_S17_jjP12ihipStream_tbEUljE_EEESS_ST_SU_S11_S15_S17_T6_T7_T9_mT8_S19_bDpT10_ENKUlT_T0_E_clISt17integral_constantIbLb1EES1M_EEDaS1H_S1I_EUlS1H_E_NS1_11comp_targetILNS1_3genE8ELNS1_11target_archE1030ELNS1_3gpuE2ELNS1_3repE0EEENS1_30default_config_static_selectorELNS0_4arch9wavefront6targetE0EEEvSV_
; %bb.0:
	s_endpgm
	.section	.rodata,"a",@progbits
	.p2align	6, 0x0
	.amdhsa_kernel _ZN7rocprim17ROCPRIM_400000_NS6detail17trampoline_kernelINS0_13select_configILj256ELj13ELNS0_17block_load_methodE3ELS4_3ELS4_3ELNS0_20block_scan_algorithmE0ELj4294967295EEENS1_25partition_config_selectorILNS1_17partition_subalgoE3EjNS0_10empty_typeEbEEZZNS1_14partition_implILS8_3ELb0ES6_jNS0_17counting_iteratorIjlEEPS9_SE_NS0_5tupleIJPjSE_EEENSF_IJSE_SE_EEES9_SG_JZNS1_25segmented_radix_sort_implINS0_14default_configELb1EPKlPlSM_SN_N2at6native12_GLOBAL__N_18offset_tEEE10hipError_tPvRmT1_PNSt15iterator_traitsISV_E10value_typeET2_T3_PNSW_IS11_E10value_typeET4_jRbjT5_S17_jjP12ihipStream_tbEUljE_EEESS_ST_SU_S11_S15_S17_T6_T7_T9_mT8_S19_bDpT10_ENKUlT_T0_E_clISt17integral_constantIbLb1EES1M_EEDaS1H_S1I_EUlS1H_E_NS1_11comp_targetILNS1_3genE8ELNS1_11target_archE1030ELNS1_3gpuE2ELNS1_3repE0EEENS1_30default_config_static_selectorELNS0_4arch9wavefront6targetE0EEEvSV_
		.amdhsa_group_segment_fixed_size 0
		.amdhsa_private_segment_fixed_size 0
		.amdhsa_kernarg_size 152
		.amdhsa_user_sgpr_count 6
		.amdhsa_user_sgpr_private_segment_buffer 1
		.amdhsa_user_sgpr_dispatch_ptr 0
		.amdhsa_user_sgpr_queue_ptr 0
		.amdhsa_user_sgpr_kernarg_segment_ptr 1
		.amdhsa_user_sgpr_dispatch_id 0
		.amdhsa_user_sgpr_flat_scratch_init 0
		.amdhsa_user_sgpr_private_segment_size 0
		.amdhsa_wavefront_size32 1
		.amdhsa_uses_dynamic_stack 0
		.amdhsa_system_sgpr_private_segment_wavefront_offset 0
		.amdhsa_system_sgpr_workgroup_id_x 1
		.amdhsa_system_sgpr_workgroup_id_y 0
		.amdhsa_system_sgpr_workgroup_id_z 0
		.amdhsa_system_sgpr_workgroup_info 0
		.amdhsa_system_vgpr_workitem_id 0
		.amdhsa_next_free_vgpr 1
		.amdhsa_next_free_sgpr 1
		.amdhsa_reserve_vcc 0
		.amdhsa_reserve_flat_scratch 0
		.amdhsa_float_round_mode_32 0
		.amdhsa_float_round_mode_16_64 0
		.amdhsa_float_denorm_mode_32 3
		.amdhsa_float_denorm_mode_16_64 3
		.amdhsa_dx10_clamp 1
		.amdhsa_ieee_mode 1
		.amdhsa_fp16_overflow 0
		.amdhsa_workgroup_processor_mode 1
		.amdhsa_memory_ordered 1
		.amdhsa_forward_progress 1
		.amdhsa_shared_vgpr_count 0
		.amdhsa_exception_fp_ieee_invalid_op 0
		.amdhsa_exception_fp_denorm_src 0
		.amdhsa_exception_fp_ieee_div_zero 0
		.amdhsa_exception_fp_ieee_overflow 0
		.amdhsa_exception_fp_ieee_underflow 0
		.amdhsa_exception_fp_ieee_inexact 0
		.amdhsa_exception_int_div_zero 0
	.end_amdhsa_kernel
	.section	.text._ZN7rocprim17ROCPRIM_400000_NS6detail17trampoline_kernelINS0_13select_configILj256ELj13ELNS0_17block_load_methodE3ELS4_3ELS4_3ELNS0_20block_scan_algorithmE0ELj4294967295EEENS1_25partition_config_selectorILNS1_17partition_subalgoE3EjNS0_10empty_typeEbEEZZNS1_14partition_implILS8_3ELb0ES6_jNS0_17counting_iteratorIjlEEPS9_SE_NS0_5tupleIJPjSE_EEENSF_IJSE_SE_EEES9_SG_JZNS1_25segmented_radix_sort_implINS0_14default_configELb1EPKlPlSM_SN_N2at6native12_GLOBAL__N_18offset_tEEE10hipError_tPvRmT1_PNSt15iterator_traitsISV_E10value_typeET2_T3_PNSW_IS11_E10value_typeET4_jRbjT5_S17_jjP12ihipStream_tbEUljE_EEESS_ST_SU_S11_S15_S17_T6_T7_T9_mT8_S19_bDpT10_ENKUlT_T0_E_clISt17integral_constantIbLb1EES1M_EEDaS1H_S1I_EUlS1H_E_NS1_11comp_targetILNS1_3genE8ELNS1_11target_archE1030ELNS1_3gpuE2ELNS1_3repE0EEENS1_30default_config_static_selectorELNS0_4arch9wavefront6targetE0EEEvSV_,"axG",@progbits,_ZN7rocprim17ROCPRIM_400000_NS6detail17trampoline_kernelINS0_13select_configILj256ELj13ELNS0_17block_load_methodE3ELS4_3ELS4_3ELNS0_20block_scan_algorithmE0ELj4294967295EEENS1_25partition_config_selectorILNS1_17partition_subalgoE3EjNS0_10empty_typeEbEEZZNS1_14partition_implILS8_3ELb0ES6_jNS0_17counting_iteratorIjlEEPS9_SE_NS0_5tupleIJPjSE_EEENSF_IJSE_SE_EEES9_SG_JZNS1_25segmented_radix_sort_implINS0_14default_configELb1EPKlPlSM_SN_N2at6native12_GLOBAL__N_18offset_tEEE10hipError_tPvRmT1_PNSt15iterator_traitsISV_E10value_typeET2_T3_PNSW_IS11_E10value_typeET4_jRbjT5_S17_jjP12ihipStream_tbEUljE_EEESS_ST_SU_S11_S15_S17_T6_T7_T9_mT8_S19_bDpT10_ENKUlT_T0_E_clISt17integral_constantIbLb1EES1M_EEDaS1H_S1I_EUlS1H_E_NS1_11comp_targetILNS1_3genE8ELNS1_11target_archE1030ELNS1_3gpuE2ELNS1_3repE0EEENS1_30default_config_static_selectorELNS0_4arch9wavefront6targetE0EEEvSV_,comdat
.Lfunc_end681:
	.size	_ZN7rocprim17ROCPRIM_400000_NS6detail17trampoline_kernelINS0_13select_configILj256ELj13ELNS0_17block_load_methodE3ELS4_3ELS4_3ELNS0_20block_scan_algorithmE0ELj4294967295EEENS1_25partition_config_selectorILNS1_17partition_subalgoE3EjNS0_10empty_typeEbEEZZNS1_14partition_implILS8_3ELb0ES6_jNS0_17counting_iteratorIjlEEPS9_SE_NS0_5tupleIJPjSE_EEENSF_IJSE_SE_EEES9_SG_JZNS1_25segmented_radix_sort_implINS0_14default_configELb1EPKlPlSM_SN_N2at6native12_GLOBAL__N_18offset_tEEE10hipError_tPvRmT1_PNSt15iterator_traitsISV_E10value_typeET2_T3_PNSW_IS11_E10value_typeET4_jRbjT5_S17_jjP12ihipStream_tbEUljE_EEESS_ST_SU_S11_S15_S17_T6_T7_T9_mT8_S19_bDpT10_ENKUlT_T0_E_clISt17integral_constantIbLb1EES1M_EEDaS1H_S1I_EUlS1H_E_NS1_11comp_targetILNS1_3genE8ELNS1_11target_archE1030ELNS1_3gpuE2ELNS1_3repE0EEENS1_30default_config_static_selectorELNS0_4arch9wavefront6targetE0EEEvSV_, .Lfunc_end681-_ZN7rocprim17ROCPRIM_400000_NS6detail17trampoline_kernelINS0_13select_configILj256ELj13ELNS0_17block_load_methodE3ELS4_3ELS4_3ELNS0_20block_scan_algorithmE0ELj4294967295EEENS1_25partition_config_selectorILNS1_17partition_subalgoE3EjNS0_10empty_typeEbEEZZNS1_14partition_implILS8_3ELb0ES6_jNS0_17counting_iteratorIjlEEPS9_SE_NS0_5tupleIJPjSE_EEENSF_IJSE_SE_EEES9_SG_JZNS1_25segmented_radix_sort_implINS0_14default_configELb1EPKlPlSM_SN_N2at6native12_GLOBAL__N_18offset_tEEE10hipError_tPvRmT1_PNSt15iterator_traitsISV_E10value_typeET2_T3_PNSW_IS11_E10value_typeET4_jRbjT5_S17_jjP12ihipStream_tbEUljE_EEESS_ST_SU_S11_S15_S17_T6_T7_T9_mT8_S19_bDpT10_ENKUlT_T0_E_clISt17integral_constantIbLb1EES1M_EEDaS1H_S1I_EUlS1H_E_NS1_11comp_targetILNS1_3genE8ELNS1_11target_archE1030ELNS1_3gpuE2ELNS1_3repE0EEENS1_30default_config_static_selectorELNS0_4arch9wavefront6targetE0EEEvSV_
                                        ; -- End function
	.set _ZN7rocprim17ROCPRIM_400000_NS6detail17trampoline_kernelINS0_13select_configILj256ELj13ELNS0_17block_load_methodE3ELS4_3ELS4_3ELNS0_20block_scan_algorithmE0ELj4294967295EEENS1_25partition_config_selectorILNS1_17partition_subalgoE3EjNS0_10empty_typeEbEEZZNS1_14partition_implILS8_3ELb0ES6_jNS0_17counting_iteratorIjlEEPS9_SE_NS0_5tupleIJPjSE_EEENSF_IJSE_SE_EEES9_SG_JZNS1_25segmented_radix_sort_implINS0_14default_configELb1EPKlPlSM_SN_N2at6native12_GLOBAL__N_18offset_tEEE10hipError_tPvRmT1_PNSt15iterator_traitsISV_E10value_typeET2_T3_PNSW_IS11_E10value_typeET4_jRbjT5_S17_jjP12ihipStream_tbEUljE_EEESS_ST_SU_S11_S15_S17_T6_T7_T9_mT8_S19_bDpT10_ENKUlT_T0_E_clISt17integral_constantIbLb1EES1M_EEDaS1H_S1I_EUlS1H_E_NS1_11comp_targetILNS1_3genE8ELNS1_11target_archE1030ELNS1_3gpuE2ELNS1_3repE0EEENS1_30default_config_static_selectorELNS0_4arch9wavefront6targetE0EEEvSV_.num_vgpr, 0
	.set _ZN7rocprim17ROCPRIM_400000_NS6detail17trampoline_kernelINS0_13select_configILj256ELj13ELNS0_17block_load_methodE3ELS4_3ELS4_3ELNS0_20block_scan_algorithmE0ELj4294967295EEENS1_25partition_config_selectorILNS1_17partition_subalgoE3EjNS0_10empty_typeEbEEZZNS1_14partition_implILS8_3ELb0ES6_jNS0_17counting_iteratorIjlEEPS9_SE_NS0_5tupleIJPjSE_EEENSF_IJSE_SE_EEES9_SG_JZNS1_25segmented_radix_sort_implINS0_14default_configELb1EPKlPlSM_SN_N2at6native12_GLOBAL__N_18offset_tEEE10hipError_tPvRmT1_PNSt15iterator_traitsISV_E10value_typeET2_T3_PNSW_IS11_E10value_typeET4_jRbjT5_S17_jjP12ihipStream_tbEUljE_EEESS_ST_SU_S11_S15_S17_T6_T7_T9_mT8_S19_bDpT10_ENKUlT_T0_E_clISt17integral_constantIbLb1EES1M_EEDaS1H_S1I_EUlS1H_E_NS1_11comp_targetILNS1_3genE8ELNS1_11target_archE1030ELNS1_3gpuE2ELNS1_3repE0EEENS1_30default_config_static_selectorELNS0_4arch9wavefront6targetE0EEEvSV_.num_agpr, 0
	.set _ZN7rocprim17ROCPRIM_400000_NS6detail17trampoline_kernelINS0_13select_configILj256ELj13ELNS0_17block_load_methodE3ELS4_3ELS4_3ELNS0_20block_scan_algorithmE0ELj4294967295EEENS1_25partition_config_selectorILNS1_17partition_subalgoE3EjNS0_10empty_typeEbEEZZNS1_14partition_implILS8_3ELb0ES6_jNS0_17counting_iteratorIjlEEPS9_SE_NS0_5tupleIJPjSE_EEENSF_IJSE_SE_EEES9_SG_JZNS1_25segmented_radix_sort_implINS0_14default_configELb1EPKlPlSM_SN_N2at6native12_GLOBAL__N_18offset_tEEE10hipError_tPvRmT1_PNSt15iterator_traitsISV_E10value_typeET2_T3_PNSW_IS11_E10value_typeET4_jRbjT5_S17_jjP12ihipStream_tbEUljE_EEESS_ST_SU_S11_S15_S17_T6_T7_T9_mT8_S19_bDpT10_ENKUlT_T0_E_clISt17integral_constantIbLb1EES1M_EEDaS1H_S1I_EUlS1H_E_NS1_11comp_targetILNS1_3genE8ELNS1_11target_archE1030ELNS1_3gpuE2ELNS1_3repE0EEENS1_30default_config_static_selectorELNS0_4arch9wavefront6targetE0EEEvSV_.numbered_sgpr, 0
	.set _ZN7rocprim17ROCPRIM_400000_NS6detail17trampoline_kernelINS0_13select_configILj256ELj13ELNS0_17block_load_methodE3ELS4_3ELS4_3ELNS0_20block_scan_algorithmE0ELj4294967295EEENS1_25partition_config_selectorILNS1_17partition_subalgoE3EjNS0_10empty_typeEbEEZZNS1_14partition_implILS8_3ELb0ES6_jNS0_17counting_iteratorIjlEEPS9_SE_NS0_5tupleIJPjSE_EEENSF_IJSE_SE_EEES9_SG_JZNS1_25segmented_radix_sort_implINS0_14default_configELb1EPKlPlSM_SN_N2at6native12_GLOBAL__N_18offset_tEEE10hipError_tPvRmT1_PNSt15iterator_traitsISV_E10value_typeET2_T3_PNSW_IS11_E10value_typeET4_jRbjT5_S17_jjP12ihipStream_tbEUljE_EEESS_ST_SU_S11_S15_S17_T6_T7_T9_mT8_S19_bDpT10_ENKUlT_T0_E_clISt17integral_constantIbLb1EES1M_EEDaS1H_S1I_EUlS1H_E_NS1_11comp_targetILNS1_3genE8ELNS1_11target_archE1030ELNS1_3gpuE2ELNS1_3repE0EEENS1_30default_config_static_selectorELNS0_4arch9wavefront6targetE0EEEvSV_.num_named_barrier, 0
	.set _ZN7rocprim17ROCPRIM_400000_NS6detail17trampoline_kernelINS0_13select_configILj256ELj13ELNS0_17block_load_methodE3ELS4_3ELS4_3ELNS0_20block_scan_algorithmE0ELj4294967295EEENS1_25partition_config_selectorILNS1_17partition_subalgoE3EjNS0_10empty_typeEbEEZZNS1_14partition_implILS8_3ELb0ES6_jNS0_17counting_iteratorIjlEEPS9_SE_NS0_5tupleIJPjSE_EEENSF_IJSE_SE_EEES9_SG_JZNS1_25segmented_radix_sort_implINS0_14default_configELb1EPKlPlSM_SN_N2at6native12_GLOBAL__N_18offset_tEEE10hipError_tPvRmT1_PNSt15iterator_traitsISV_E10value_typeET2_T3_PNSW_IS11_E10value_typeET4_jRbjT5_S17_jjP12ihipStream_tbEUljE_EEESS_ST_SU_S11_S15_S17_T6_T7_T9_mT8_S19_bDpT10_ENKUlT_T0_E_clISt17integral_constantIbLb1EES1M_EEDaS1H_S1I_EUlS1H_E_NS1_11comp_targetILNS1_3genE8ELNS1_11target_archE1030ELNS1_3gpuE2ELNS1_3repE0EEENS1_30default_config_static_selectorELNS0_4arch9wavefront6targetE0EEEvSV_.private_seg_size, 0
	.set _ZN7rocprim17ROCPRIM_400000_NS6detail17trampoline_kernelINS0_13select_configILj256ELj13ELNS0_17block_load_methodE3ELS4_3ELS4_3ELNS0_20block_scan_algorithmE0ELj4294967295EEENS1_25partition_config_selectorILNS1_17partition_subalgoE3EjNS0_10empty_typeEbEEZZNS1_14partition_implILS8_3ELb0ES6_jNS0_17counting_iteratorIjlEEPS9_SE_NS0_5tupleIJPjSE_EEENSF_IJSE_SE_EEES9_SG_JZNS1_25segmented_radix_sort_implINS0_14default_configELb1EPKlPlSM_SN_N2at6native12_GLOBAL__N_18offset_tEEE10hipError_tPvRmT1_PNSt15iterator_traitsISV_E10value_typeET2_T3_PNSW_IS11_E10value_typeET4_jRbjT5_S17_jjP12ihipStream_tbEUljE_EEESS_ST_SU_S11_S15_S17_T6_T7_T9_mT8_S19_bDpT10_ENKUlT_T0_E_clISt17integral_constantIbLb1EES1M_EEDaS1H_S1I_EUlS1H_E_NS1_11comp_targetILNS1_3genE8ELNS1_11target_archE1030ELNS1_3gpuE2ELNS1_3repE0EEENS1_30default_config_static_selectorELNS0_4arch9wavefront6targetE0EEEvSV_.uses_vcc, 0
	.set _ZN7rocprim17ROCPRIM_400000_NS6detail17trampoline_kernelINS0_13select_configILj256ELj13ELNS0_17block_load_methodE3ELS4_3ELS4_3ELNS0_20block_scan_algorithmE0ELj4294967295EEENS1_25partition_config_selectorILNS1_17partition_subalgoE3EjNS0_10empty_typeEbEEZZNS1_14partition_implILS8_3ELb0ES6_jNS0_17counting_iteratorIjlEEPS9_SE_NS0_5tupleIJPjSE_EEENSF_IJSE_SE_EEES9_SG_JZNS1_25segmented_radix_sort_implINS0_14default_configELb1EPKlPlSM_SN_N2at6native12_GLOBAL__N_18offset_tEEE10hipError_tPvRmT1_PNSt15iterator_traitsISV_E10value_typeET2_T3_PNSW_IS11_E10value_typeET4_jRbjT5_S17_jjP12ihipStream_tbEUljE_EEESS_ST_SU_S11_S15_S17_T6_T7_T9_mT8_S19_bDpT10_ENKUlT_T0_E_clISt17integral_constantIbLb1EES1M_EEDaS1H_S1I_EUlS1H_E_NS1_11comp_targetILNS1_3genE8ELNS1_11target_archE1030ELNS1_3gpuE2ELNS1_3repE0EEENS1_30default_config_static_selectorELNS0_4arch9wavefront6targetE0EEEvSV_.uses_flat_scratch, 0
	.set _ZN7rocprim17ROCPRIM_400000_NS6detail17trampoline_kernelINS0_13select_configILj256ELj13ELNS0_17block_load_methodE3ELS4_3ELS4_3ELNS0_20block_scan_algorithmE0ELj4294967295EEENS1_25partition_config_selectorILNS1_17partition_subalgoE3EjNS0_10empty_typeEbEEZZNS1_14partition_implILS8_3ELb0ES6_jNS0_17counting_iteratorIjlEEPS9_SE_NS0_5tupleIJPjSE_EEENSF_IJSE_SE_EEES9_SG_JZNS1_25segmented_radix_sort_implINS0_14default_configELb1EPKlPlSM_SN_N2at6native12_GLOBAL__N_18offset_tEEE10hipError_tPvRmT1_PNSt15iterator_traitsISV_E10value_typeET2_T3_PNSW_IS11_E10value_typeET4_jRbjT5_S17_jjP12ihipStream_tbEUljE_EEESS_ST_SU_S11_S15_S17_T6_T7_T9_mT8_S19_bDpT10_ENKUlT_T0_E_clISt17integral_constantIbLb1EES1M_EEDaS1H_S1I_EUlS1H_E_NS1_11comp_targetILNS1_3genE8ELNS1_11target_archE1030ELNS1_3gpuE2ELNS1_3repE0EEENS1_30default_config_static_selectorELNS0_4arch9wavefront6targetE0EEEvSV_.has_dyn_sized_stack, 0
	.set _ZN7rocprim17ROCPRIM_400000_NS6detail17trampoline_kernelINS0_13select_configILj256ELj13ELNS0_17block_load_methodE3ELS4_3ELS4_3ELNS0_20block_scan_algorithmE0ELj4294967295EEENS1_25partition_config_selectorILNS1_17partition_subalgoE3EjNS0_10empty_typeEbEEZZNS1_14partition_implILS8_3ELb0ES6_jNS0_17counting_iteratorIjlEEPS9_SE_NS0_5tupleIJPjSE_EEENSF_IJSE_SE_EEES9_SG_JZNS1_25segmented_radix_sort_implINS0_14default_configELb1EPKlPlSM_SN_N2at6native12_GLOBAL__N_18offset_tEEE10hipError_tPvRmT1_PNSt15iterator_traitsISV_E10value_typeET2_T3_PNSW_IS11_E10value_typeET4_jRbjT5_S17_jjP12ihipStream_tbEUljE_EEESS_ST_SU_S11_S15_S17_T6_T7_T9_mT8_S19_bDpT10_ENKUlT_T0_E_clISt17integral_constantIbLb1EES1M_EEDaS1H_S1I_EUlS1H_E_NS1_11comp_targetILNS1_3genE8ELNS1_11target_archE1030ELNS1_3gpuE2ELNS1_3repE0EEENS1_30default_config_static_selectorELNS0_4arch9wavefront6targetE0EEEvSV_.has_recursion, 0
	.set _ZN7rocprim17ROCPRIM_400000_NS6detail17trampoline_kernelINS0_13select_configILj256ELj13ELNS0_17block_load_methodE3ELS4_3ELS4_3ELNS0_20block_scan_algorithmE0ELj4294967295EEENS1_25partition_config_selectorILNS1_17partition_subalgoE3EjNS0_10empty_typeEbEEZZNS1_14partition_implILS8_3ELb0ES6_jNS0_17counting_iteratorIjlEEPS9_SE_NS0_5tupleIJPjSE_EEENSF_IJSE_SE_EEES9_SG_JZNS1_25segmented_radix_sort_implINS0_14default_configELb1EPKlPlSM_SN_N2at6native12_GLOBAL__N_18offset_tEEE10hipError_tPvRmT1_PNSt15iterator_traitsISV_E10value_typeET2_T3_PNSW_IS11_E10value_typeET4_jRbjT5_S17_jjP12ihipStream_tbEUljE_EEESS_ST_SU_S11_S15_S17_T6_T7_T9_mT8_S19_bDpT10_ENKUlT_T0_E_clISt17integral_constantIbLb1EES1M_EEDaS1H_S1I_EUlS1H_E_NS1_11comp_targetILNS1_3genE8ELNS1_11target_archE1030ELNS1_3gpuE2ELNS1_3repE0EEENS1_30default_config_static_selectorELNS0_4arch9wavefront6targetE0EEEvSV_.has_indirect_call, 0
	.section	.AMDGPU.csdata,"",@progbits
; Kernel info:
; codeLenInByte = 4
; TotalNumSgprs: 0
; NumVgprs: 0
; ScratchSize: 0
; MemoryBound: 0
; FloatMode: 240
; IeeeMode: 1
; LDSByteSize: 0 bytes/workgroup (compile time only)
; SGPRBlocks: 0
; VGPRBlocks: 0
; NumSGPRsForWavesPerEU: 1
; NumVGPRsForWavesPerEU: 1
; Occupancy: 16
; WaveLimiterHint : 0
; COMPUTE_PGM_RSRC2:SCRATCH_EN: 0
; COMPUTE_PGM_RSRC2:USER_SGPR: 6
; COMPUTE_PGM_RSRC2:TRAP_HANDLER: 0
; COMPUTE_PGM_RSRC2:TGID_X_EN: 1
; COMPUTE_PGM_RSRC2:TGID_Y_EN: 0
; COMPUTE_PGM_RSRC2:TGID_Z_EN: 0
; COMPUTE_PGM_RSRC2:TIDIG_COMP_CNT: 0
	.section	.text._ZN7rocprim17ROCPRIM_400000_NS6detail17trampoline_kernelINS0_13select_configILj256ELj13ELNS0_17block_load_methodE3ELS4_3ELS4_3ELNS0_20block_scan_algorithmE0ELj4294967295EEENS1_25partition_config_selectorILNS1_17partition_subalgoE3EjNS0_10empty_typeEbEEZZNS1_14partition_implILS8_3ELb0ES6_jNS0_17counting_iteratorIjlEEPS9_SE_NS0_5tupleIJPjSE_EEENSF_IJSE_SE_EEES9_SG_JZNS1_25segmented_radix_sort_implINS0_14default_configELb1EPKlPlSM_SN_N2at6native12_GLOBAL__N_18offset_tEEE10hipError_tPvRmT1_PNSt15iterator_traitsISV_E10value_typeET2_T3_PNSW_IS11_E10value_typeET4_jRbjT5_S17_jjP12ihipStream_tbEUljE_EEESS_ST_SU_S11_S15_S17_T6_T7_T9_mT8_S19_bDpT10_ENKUlT_T0_E_clISt17integral_constantIbLb1EES1L_IbLb0EEEEDaS1H_S1I_EUlS1H_E_NS1_11comp_targetILNS1_3genE0ELNS1_11target_archE4294967295ELNS1_3gpuE0ELNS1_3repE0EEENS1_30default_config_static_selectorELNS0_4arch9wavefront6targetE0EEEvSV_,"axG",@progbits,_ZN7rocprim17ROCPRIM_400000_NS6detail17trampoline_kernelINS0_13select_configILj256ELj13ELNS0_17block_load_methodE3ELS4_3ELS4_3ELNS0_20block_scan_algorithmE0ELj4294967295EEENS1_25partition_config_selectorILNS1_17partition_subalgoE3EjNS0_10empty_typeEbEEZZNS1_14partition_implILS8_3ELb0ES6_jNS0_17counting_iteratorIjlEEPS9_SE_NS0_5tupleIJPjSE_EEENSF_IJSE_SE_EEES9_SG_JZNS1_25segmented_radix_sort_implINS0_14default_configELb1EPKlPlSM_SN_N2at6native12_GLOBAL__N_18offset_tEEE10hipError_tPvRmT1_PNSt15iterator_traitsISV_E10value_typeET2_T3_PNSW_IS11_E10value_typeET4_jRbjT5_S17_jjP12ihipStream_tbEUljE_EEESS_ST_SU_S11_S15_S17_T6_T7_T9_mT8_S19_bDpT10_ENKUlT_T0_E_clISt17integral_constantIbLb1EES1L_IbLb0EEEEDaS1H_S1I_EUlS1H_E_NS1_11comp_targetILNS1_3genE0ELNS1_11target_archE4294967295ELNS1_3gpuE0ELNS1_3repE0EEENS1_30default_config_static_selectorELNS0_4arch9wavefront6targetE0EEEvSV_,comdat
	.globl	_ZN7rocprim17ROCPRIM_400000_NS6detail17trampoline_kernelINS0_13select_configILj256ELj13ELNS0_17block_load_methodE3ELS4_3ELS4_3ELNS0_20block_scan_algorithmE0ELj4294967295EEENS1_25partition_config_selectorILNS1_17partition_subalgoE3EjNS0_10empty_typeEbEEZZNS1_14partition_implILS8_3ELb0ES6_jNS0_17counting_iteratorIjlEEPS9_SE_NS0_5tupleIJPjSE_EEENSF_IJSE_SE_EEES9_SG_JZNS1_25segmented_radix_sort_implINS0_14default_configELb1EPKlPlSM_SN_N2at6native12_GLOBAL__N_18offset_tEEE10hipError_tPvRmT1_PNSt15iterator_traitsISV_E10value_typeET2_T3_PNSW_IS11_E10value_typeET4_jRbjT5_S17_jjP12ihipStream_tbEUljE_EEESS_ST_SU_S11_S15_S17_T6_T7_T9_mT8_S19_bDpT10_ENKUlT_T0_E_clISt17integral_constantIbLb1EES1L_IbLb0EEEEDaS1H_S1I_EUlS1H_E_NS1_11comp_targetILNS1_3genE0ELNS1_11target_archE4294967295ELNS1_3gpuE0ELNS1_3repE0EEENS1_30default_config_static_selectorELNS0_4arch9wavefront6targetE0EEEvSV_ ; -- Begin function _ZN7rocprim17ROCPRIM_400000_NS6detail17trampoline_kernelINS0_13select_configILj256ELj13ELNS0_17block_load_methodE3ELS4_3ELS4_3ELNS0_20block_scan_algorithmE0ELj4294967295EEENS1_25partition_config_selectorILNS1_17partition_subalgoE3EjNS0_10empty_typeEbEEZZNS1_14partition_implILS8_3ELb0ES6_jNS0_17counting_iteratorIjlEEPS9_SE_NS0_5tupleIJPjSE_EEENSF_IJSE_SE_EEES9_SG_JZNS1_25segmented_radix_sort_implINS0_14default_configELb1EPKlPlSM_SN_N2at6native12_GLOBAL__N_18offset_tEEE10hipError_tPvRmT1_PNSt15iterator_traitsISV_E10value_typeET2_T3_PNSW_IS11_E10value_typeET4_jRbjT5_S17_jjP12ihipStream_tbEUljE_EEESS_ST_SU_S11_S15_S17_T6_T7_T9_mT8_S19_bDpT10_ENKUlT_T0_E_clISt17integral_constantIbLb1EES1L_IbLb0EEEEDaS1H_S1I_EUlS1H_E_NS1_11comp_targetILNS1_3genE0ELNS1_11target_archE4294967295ELNS1_3gpuE0ELNS1_3repE0EEENS1_30default_config_static_selectorELNS0_4arch9wavefront6targetE0EEEvSV_
	.p2align	8
	.type	_ZN7rocprim17ROCPRIM_400000_NS6detail17trampoline_kernelINS0_13select_configILj256ELj13ELNS0_17block_load_methodE3ELS4_3ELS4_3ELNS0_20block_scan_algorithmE0ELj4294967295EEENS1_25partition_config_selectorILNS1_17partition_subalgoE3EjNS0_10empty_typeEbEEZZNS1_14partition_implILS8_3ELb0ES6_jNS0_17counting_iteratorIjlEEPS9_SE_NS0_5tupleIJPjSE_EEENSF_IJSE_SE_EEES9_SG_JZNS1_25segmented_radix_sort_implINS0_14default_configELb1EPKlPlSM_SN_N2at6native12_GLOBAL__N_18offset_tEEE10hipError_tPvRmT1_PNSt15iterator_traitsISV_E10value_typeET2_T3_PNSW_IS11_E10value_typeET4_jRbjT5_S17_jjP12ihipStream_tbEUljE_EEESS_ST_SU_S11_S15_S17_T6_T7_T9_mT8_S19_bDpT10_ENKUlT_T0_E_clISt17integral_constantIbLb1EES1L_IbLb0EEEEDaS1H_S1I_EUlS1H_E_NS1_11comp_targetILNS1_3genE0ELNS1_11target_archE4294967295ELNS1_3gpuE0ELNS1_3repE0EEENS1_30default_config_static_selectorELNS0_4arch9wavefront6targetE0EEEvSV_,@function
_ZN7rocprim17ROCPRIM_400000_NS6detail17trampoline_kernelINS0_13select_configILj256ELj13ELNS0_17block_load_methodE3ELS4_3ELS4_3ELNS0_20block_scan_algorithmE0ELj4294967295EEENS1_25partition_config_selectorILNS1_17partition_subalgoE3EjNS0_10empty_typeEbEEZZNS1_14partition_implILS8_3ELb0ES6_jNS0_17counting_iteratorIjlEEPS9_SE_NS0_5tupleIJPjSE_EEENSF_IJSE_SE_EEES9_SG_JZNS1_25segmented_radix_sort_implINS0_14default_configELb1EPKlPlSM_SN_N2at6native12_GLOBAL__N_18offset_tEEE10hipError_tPvRmT1_PNSt15iterator_traitsISV_E10value_typeET2_T3_PNSW_IS11_E10value_typeET4_jRbjT5_S17_jjP12ihipStream_tbEUljE_EEESS_ST_SU_S11_S15_S17_T6_T7_T9_mT8_S19_bDpT10_ENKUlT_T0_E_clISt17integral_constantIbLb1EES1L_IbLb0EEEEDaS1H_S1I_EUlS1H_E_NS1_11comp_targetILNS1_3genE0ELNS1_11target_archE4294967295ELNS1_3gpuE0ELNS1_3repE0EEENS1_30default_config_static_selectorELNS0_4arch9wavefront6targetE0EEEvSV_: ; @_ZN7rocprim17ROCPRIM_400000_NS6detail17trampoline_kernelINS0_13select_configILj256ELj13ELNS0_17block_load_methodE3ELS4_3ELS4_3ELNS0_20block_scan_algorithmE0ELj4294967295EEENS1_25partition_config_selectorILNS1_17partition_subalgoE3EjNS0_10empty_typeEbEEZZNS1_14partition_implILS8_3ELb0ES6_jNS0_17counting_iteratorIjlEEPS9_SE_NS0_5tupleIJPjSE_EEENSF_IJSE_SE_EEES9_SG_JZNS1_25segmented_radix_sort_implINS0_14default_configELb1EPKlPlSM_SN_N2at6native12_GLOBAL__N_18offset_tEEE10hipError_tPvRmT1_PNSt15iterator_traitsISV_E10value_typeET2_T3_PNSW_IS11_E10value_typeET4_jRbjT5_S17_jjP12ihipStream_tbEUljE_EEESS_ST_SU_S11_S15_S17_T6_T7_T9_mT8_S19_bDpT10_ENKUlT_T0_E_clISt17integral_constantIbLb1EES1L_IbLb0EEEEDaS1H_S1I_EUlS1H_E_NS1_11comp_targetILNS1_3genE0ELNS1_11target_archE4294967295ELNS1_3gpuE0ELNS1_3repE0EEENS1_30default_config_static_selectorELNS0_4arch9wavefront6targetE0EEEvSV_
; %bb.0:
	.section	.rodata,"a",@progbits
	.p2align	6, 0x0
	.amdhsa_kernel _ZN7rocprim17ROCPRIM_400000_NS6detail17trampoline_kernelINS0_13select_configILj256ELj13ELNS0_17block_load_methodE3ELS4_3ELS4_3ELNS0_20block_scan_algorithmE0ELj4294967295EEENS1_25partition_config_selectorILNS1_17partition_subalgoE3EjNS0_10empty_typeEbEEZZNS1_14partition_implILS8_3ELb0ES6_jNS0_17counting_iteratorIjlEEPS9_SE_NS0_5tupleIJPjSE_EEENSF_IJSE_SE_EEES9_SG_JZNS1_25segmented_radix_sort_implINS0_14default_configELb1EPKlPlSM_SN_N2at6native12_GLOBAL__N_18offset_tEEE10hipError_tPvRmT1_PNSt15iterator_traitsISV_E10value_typeET2_T3_PNSW_IS11_E10value_typeET4_jRbjT5_S17_jjP12ihipStream_tbEUljE_EEESS_ST_SU_S11_S15_S17_T6_T7_T9_mT8_S19_bDpT10_ENKUlT_T0_E_clISt17integral_constantIbLb1EES1L_IbLb0EEEEDaS1H_S1I_EUlS1H_E_NS1_11comp_targetILNS1_3genE0ELNS1_11target_archE4294967295ELNS1_3gpuE0ELNS1_3repE0EEENS1_30default_config_static_selectorELNS0_4arch9wavefront6targetE0EEEvSV_
		.amdhsa_group_segment_fixed_size 0
		.amdhsa_private_segment_fixed_size 0
		.amdhsa_kernarg_size 144
		.amdhsa_user_sgpr_count 6
		.amdhsa_user_sgpr_private_segment_buffer 1
		.amdhsa_user_sgpr_dispatch_ptr 0
		.amdhsa_user_sgpr_queue_ptr 0
		.amdhsa_user_sgpr_kernarg_segment_ptr 1
		.amdhsa_user_sgpr_dispatch_id 0
		.amdhsa_user_sgpr_flat_scratch_init 0
		.amdhsa_user_sgpr_private_segment_size 0
		.amdhsa_wavefront_size32 1
		.amdhsa_uses_dynamic_stack 0
		.amdhsa_system_sgpr_private_segment_wavefront_offset 0
		.amdhsa_system_sgpr_workgroup_id_x 1
		.amdhsa_system_sgpr_workgroup_id_y 0
		.amdhsa_system_sgpr_workgroup_id_z 0
		.amdhsa_system_sgpr_workgroup_info 0
		.amdhsa_system_vgpr_workitem_id 0
		.amdhsa_next_free_vgpr 1
		.amdhsa_next_free_sgpr 1
		.amdhsa_reserve_vcc 0
		.amdhsa_reserve_flat_scratch 0
		.amdhsa_float_round_mode_32 0
		.amdhsa_float_round_mode_16_64 0
		.amdhsa_float_denorm_mode_32 3
		.amdhsa_float_denorm_mode_16_64 3
		.amdhsa_dx10_clamp 1
		.amdhsa_ieee_mode 1
		.amdhsa_fp16_overflow 0
		.amdhsa_workgroup_processor_mode 1
		.amdhsa_memory_ordered 1
		.amdhsa_forward_progress 1
		.amdhsa_shared_vgpr_count 0
		.amdhsa_exception_fp_ieee_invalid_op 0
		.amdhsa_exception_fp_denorm_src 0
		.amdhsa_exception_fp_ieee_div_zero 0
		.amdhsa_exception_fp_ieee_overflow 0
		.amdhsa_exception_fp_ieee_underflow 0
		.amdhsa_exception_fp_ieee_inexact 0
		.amdhsa_exception_int_div_zero 0
	.end_amdhsa_kernel
	.section	.text._ZN7rocprim17ROCPRIM_400000_NS6detail17trampoline_kernelINS0_13select_configILj256ELj13ELNS0_17block_load_methodE3ELS4_3ELS4_3ELNS0_20block_scan_algorithmE0ELj4294967295EEENS1_25partition_config_selectorILNS1_17partition_subalgoE3EjNS0_10empty_typeEbEEZZNS1_14partition_implILS8_3ELb0ES6_jNS0_17counting_iteratorIjlEEPS9_SE_NS0_5tupleIJPjSE_EEENSF_IJSE_SE_EEES9_SG_JZNS1_25segmented_radix_sort_implINS0_14default_configELb1EPKlPlSM_SN_N2at6native12_GLOBAL__N_18offset_tEEE10hipError_tPvRmT1_PNSt15iterator_traitsISV_E10value_typeET2_T3_PNSW_IS11_E10value_typeET4_jRbjT5_S17_jjP12ihipStream_tbEUljE_EEESS_ST_SU_S11_S15_S17_T6_T7_T9_mT8_S19_bDpT10_ENKUlT_T0_E_clISt17integral_constantIbLb1EES1L_IbLb0EEEEDaS1H_S1I_EUlS1H_E_NS1_11comp_targetILNS1_3genE0ELNS1_11target_archE4294967295ELNS1_3gpuE0ELNS1_3repE0EEENS1_30default_config_static_selectorELNS0_4arch9wavefront6targetE0EEEvSV_,"axG",@progbits,_ZN7rocprim17ROCPRIM_400000_NS6detail17trampoline_kernelINS0_13select_configILj256ELj13ELNS0_17block_load_methodE3ELS4_3ELS4_3ELNS0_20block_scan_algorithmE0ELj4294967295EEENS1_25partition_config_selectorILNS1_17partition_subalgoE3EjNS0_10empty_typeEbEEZZNS1_14partition_implILS8_3ELb0ES6_jNS0_17counting_iteratorIjlEEPS9_SE_NS0_5tupleIJPjSE_EEENSF_IJSE_SE_EEES9_SG_JZNS1_25segmented_radix_sort_implINS0_14default_configELb1EPKlPlSM_SN_N2at6native12_GLOBAL__N_18offset_tEEE10hipError_tPvRmT1_PNSt15iterator_traitsISV_E10value_typeET2_T3_PNSW_IS11_E10value_typeET4_jRbjT5_S17_jjP12ihipStream_tbEUljE_EEESS_ST_SU_S11_S15_S17_T6_T7_T9_mT8_S19_bDpT10_ENKUlT_T0_E_clISt17integral_constantIbLb1EES1L_IbLb0EEEEDaS1H_S1I_EUlS1H_E_NS1_11comp_targetILNS1_3genE0ELNS1_11target_archE4294967295ELNS1_3gpuE0ELNS1_3repE0EEENS1_30default_config_static_selectorELNS0_4arch9wavefront6targetE0EEEvSV_,comdat
.Lfunc_end682:
	.size	_ZN7rocprim17ROCPRIM_400000_NS6detail17trampoline_kernelINS0_13select_configILj256ELj13ELNS0_17block_load_methodE3ELS4_3ELS4_3ELNS0_20block_scan_algorithmE0ELj4294967295EEENS1_25partition_config_selectorILNS1_17partition_subalgoE3EjNS0_10empty_typeEbEEZZNS1_14partition_implILS8_3ELb0ES6_jNS0_17counting_iteratorIjlEEPS9_SE_NS0_5tupleIJPjSE_EEENSF_IJSE_SE_EEES9_SG_JZNS1_25segmented_radix_sort_implINS0_14default_configELb1EPKlPlSM_SN_N2at6native12_GLOBAL__N_18offset_tEEE10hipError_tPvRmT1_PNSt15iterator_traitsISV_E10value_typeET2_T3_PNSW_IS11_E10value_typeET4_jRbjT5_S17_jjP12ihipStream_tbEUljE_EEESS_ST_SU_S11_S15_S17_T6_T7_T9_mT8_S19_bDpT10_ENKUlT_T0_E_clISt17integral_constantIbLb1EES1L_IbLb0EEEEDaS1H_S1I_EUlS1H_E_NS1_11comp_targetILNS1_3genE0ELNS1_11target_archE4294967295ELNS1_3gpuE0ELNS1_3repE0EEENS1_30default_config_static_selectorELNS0_4arch9wavefront6targetE0EEEvSV_, .Lfunc_end682-_ZN7rocprim17ROCPRIM_400000_NS6detail17trampoline_kernelINS0_13select_configILj256ELj13ELNS0_17block_load_methodE3ELS4_3ELS4_3ELNS0_20block_scan_algorithmE0ELj4294967295EEENS1_25partition_config_selectorILNS1_17partition_subalgoE3EjNS0_10empty_typeEbEEZZNS1_14partition_implILS8_3ELb0ES6_jNS0_17counting_iteratorIjlEEPS9_SE_NS0_5tupleIJPjSE_EEENSF_IJSE_SE_EEES9_SG_JZNS1_25segmented_radix_sort_implINS0_14default_configELb1EPKlPlSM_SN_N2at6native12_GLOBAL__N_18offset_tEEE10hipError_tPvRmT1_PNSt15iterator_traitsISV_E10value_typeET2_T3_PNSW_IS11_E10value_typeET4_jRbjT5_S17_jjP12ihipStream_tbEUljE_EEESS_ST_SU_S11_S15_S17_T6_T7_T9_mT8_S19_bDpT10_ENKUlT_T0_E_clISt17integral_constantIbLb1EES1L_IbLb0EEEEDaS1H_S1I_EUlS1H_E_NS1_11comp_targetILNS1_3genE0ELNS1_11target_archE4294967295ELNS1_3gpuE0ELNS1_3repE0EEENS1_30default_config_static_selectorELNS0_4arch9wavefront6targetE0EEEvSV_
                                        ; -- End function
	.set _ZN7rocprim17ROCPRIM_400000_NS6detail17trampoline_kernelINS0_13select_configILj256ELj13ELNS0_17block_load_methodE3ELS4_3ELS4_3ELNS0_20block_scan_algorithmE0ELj4294967295EEENS1_25partition_config_selectorILNS1_17partition_subalgoE3EjNS0_10empty_typeEbEEZZNS1_14partition_implILS8_3ELb0ES6_jNS0_17counting_iteratorIjlEEPS9_SE_NS0_5tupleIJPjSE_EEENSF_IJSE_SE_EEES9_SG_JZNS1_25segmented_radix_sort_implINS0_14default_configELb1EPKlPlSM_SN_N2at6native12_GLOBAL__N_18offset_tEEE10hipError_tPvRmT1_PNSt15iterator_traitsISV_E10value_typeET2_T3_PNSW_IS11_E10value_typeET4_jRbjT5_S17_jjP12ihipStream_tbEUljE_EEESS_ST_SU_S11_S15_S17_T6_T7_T9_mT8_S19_bDpT10_ENKUlT_T0_E_clISt17integral_constantIbLb1EES1L_IbLb0EEEEDaS1H_S1I_EUlS1H_E_NS1_11comp_targetILNS1_3genE0ELNS1_11target_archE4294967295ELNS1_3gpuE0ELNS1_3repE0EEENS1_30default_config_static_selectorELNS0_4arch9wavefront6targetE0EEEvSV_.num_vgpr, 0
	.set _ZN7rocprim17ROCPRIM_400000_NS6detail17trampoline_kernelINS0_13select_configILj256ELj13ELNS0_17block_load_methodE3ELS4_3ELS4_3ELNS0_20block_scan_algorithmE0ELj4294967295EEENS1_25partition_config_selectorILNS1_17partition_subalgoE3EjNS0_10empty_typeEbEEZZNS1_14partition_implILS8_3ELb0ES6_jNS0_17counting_iteratorIjlEEPS9_SE_NS0_5tupleIJPjSE_EEENSF_IJSE_SE_EEES9_SG_JZNS1_25segmented_radix_sort_implINS0_14default_configELb1EPKlPlSM_SN_N2at6native12_GLOBAL__N_18offset_tEEE10hipError_tPvRmT1_PNSt15iterator_traitsISV_E10value_typeET2_T3_PNSW_IS11_E10value_typeET4_jRbjT5_S17_jjP12ihipStream_tbEUljE_EEESS_ST_SU_S11_S15_S17_T6_T7_T9_mT8_S19_bDpT10_ENKUlT_T0_E_clISt17integral_constantIbLb1EES1L_IbLb0EEEEDaS1H_S1I_EUlS1H_E_NS1_11comp_targetILNS1_3genE0ELNS1_11target_archE4294967295ELNS1_3gpuE0ELNS1_3repE0EEENS1_30default_config_static_selectorELNS0_4arch9wavefront6targetE0EEEvSV_.num_agpr, 0
	.set _ZN7rocprim17ROCPRIM_400000_NS6detail17trampoline_kernelINS0_13select_configILj256ELj13ELNS0_17block_load_methodE3ELS4_3ELS4_3ELNS0_20block_scan_algorithmE0ELj4294967295EEENS1_25partition_config_selectorILNS1_17partition_subalgoE3EjNS0_10empty_typeEbEEZZNS1_14partition_implILS8_3ELb0ES6_jNS0_17counting_iteratorIjlEEPS9_SE_NS0_5tupleIJPjSE_EEENSF_IJSE_SE_EEES9_SG_JZNS1_25segmented_radix_sort_implINS0_14default_configELb1EPKlPlSM_SN_N2at6native12_GLOBAL__N_18offset_tEEE10hipError_tPvRmT1_PNSt15iterator_traitsISV_E10value_typeET2_T3_PNSW_IS11_E10value_typeET4_jRbjT5_S17_jjP12ihipStream_tbEUljE_EEESS_ST_SU_S11_S15_S17_T6_T7_T9_mT8_S19_bDpT10_ENKUlT_T0_E_clISt17integral_constantIbLb1EES1L_IbLb0EEEEDaS1H_S1I_EUlS1H_E_NS1_11comp_targetILNS1_3genE0ELNS1_11target_archE4294967295ELNS1_3gpuE0ELNS1_3repE0EEENS1_30default_config_static_selectorELNS0_4arch9wavefront6targetE0EEEvSV_.numbered_sgpr, 0
	.set _ZN7rocprim17ROCPRIM_400000_NS6detail17trampoline_kernelINS0_13select_configILj256ELj13ELNS0_17block_load_methodE3ELS4_3ELS4_3ELNS0_20block_scan_algorithmE0ELj4294967295EEENS1_25partition_config_selectorILNS1_17partition_subalgoE3EjNS0_10empty_typeEbEEZZNS1_14partition_implILS8_3ELb0ES6_jNS0_17counting_iteratorIjlEEPS9_SE_NS0_5tupleIJPjSE_EEENSF_IJSE_SE_EEES9_SG_JZNS1_25segmented_radix_sort_implINS0_14default_configELb1EPKlPlSM_SN_N2at6native12_GLOBAL__N_18offset_tEEE10hipError_tPvRmT1_PNSt15iterator_traitsISV_E10value_typeET2_T3_PNSW_IS11_E10value_typeET4_jRbjT5_S17_jjP12ihipStream_tbEUljE_EEESS_ST_SU_S11_S15_S17_T6_T7_T9_mT8_S19_bDpT10_ENKUlT_T0_E_clISt17integral_constantIbLb1EES1L_IbLb0EEEEDaS1H_S1I_EUlS1H_E_NS1_11comp_targetILNS1_3genE0ELNS1_11target_archE4294967295ELNS1_3gpuE0ELNS1_3repE0EEENS1_30default_config_static_selectorELNS0_4arch9wavefront6targetE0EEEvSV_.num_named_barrier, 0
	.set _ZN7rocprim17ROCPRIM_400000_NS6detail17trampoline_kernelINS0_13select_configILj256ELj13ELNS0_17block_load_methodE3ELS4_3ELS4_3ELNS0_20block_scan_algorithmE0ELj4294967295EEENS1_25partition_config_selectorILNS1_17partition_subalgoE3EjNS0_10empty_typeEbEEZZNS1_14partition_implILS8_3ELb0ES6_jNS0_17counting_iteratorIjlEEPS9_SE_NS0_5tupleIJPjSE_EEENSF_IJSE_SE_EEES9_SG_JZNS1_25segmented_radix_sort_implINS0_14default_configELb1EPKlPlSM_SN_N2at6native12_GLOBAL__N_18offset_tEEE10hipError_tPvRmT1_PNSt15iterator_traitsISV_E10value_typeET2_T3_PNSW_IS11_E10value_typeET4_jRbjT5_S17_jjP12ihipStream_tbEUljE_EEESS_ST_SU_S11_S15_S17_T6_T7_T9_mT8_S19_bDpT10_ENKUlT_T0_E_clISt17integral_constantIbLb1EES1L_IbLb0EEEEDaS1H_S1I_EUlS1H_E_NS1_11comp_targetILNS1_3genE0ELNS1_11target_archE4294967295ELNS1_3gpuE0ELNS1_3repE0EEENS1_30default_config_static_selectorELNS0_4arch9wavefront6targetE0EEEvSV_.private_seg_size, 0
	.set _ZN7rocprim17ROCPRIM_400000_NS6detail17trampoline_kernelINS0_13select_configILj256ELj13ELNS0_17block_load_methodE3ELS4_3ELS4_3ELNS0_20block_scan_algorithmE0ELj4294967295EEENS1_25partition_config_selectorILNS1_17partition_subalgoE3EjNS0_10empty_typeEbEEZZNS1_14partition_implILS8_3ELb0ES6_jNS0_17counting_iteratorIjlEEPS9_SE_NS0_5tupleIJPjSE_EEENSF_IJSE_SE_EEES9_SG_JZNS1_25segmented_radix_sort_implINS0_14default_configELb1EPKlPlSM_SN_N2at6native12_GLOBAL__N_18offset_tEEE10hipError_tPvRmT1_PNSt15iterator_traitsISV_E10value_typeET2_T3_PNSW_IS11_E10value_typeET4_jRbjT5_S17_jjP12ihipStream_tbEUljE_EEESS_ST_SU_S11_S15_S17_T6_T7_T9_mT8_S19_bDpT10_ENKUlT_T0_E_clISt17integral_constantIbLb1EES1L_IbLb0EEEEDaS1H_S1I_EUlS1H_E_NS1_11comp_targetILNS1_3genE0ELNS1_11target_archE4294967295ELNS1_3gpuE0ELNS1_3repE0EEENS1_30default_config_static_selectorELNS0_4arch9wavefront6targetE0EEEvSV_.uses_vcc, 0
	.set _ZN7rocprim17ROCPRIM_400000_NS6detail17trampoline_kernelINS0_13select_configILj256ELj13ELNS0_17block_load_methodE3ELS4_3ELS4_3ELNS0_20block_scan_algorithmE0ELj4294967295EEENS1_25partition_config_selectorILNS1_17partition_subalgoE3EjNS0_10empty_typeEbEEZZNS1_14partition_implILS8_3ELb0ES6_jNS0_17counting_iteratorIjlEEPS9_SE_NS0_5tupleIJPjSE_EEENSF_IJSE_SE_EEES9_SG_JZNS1_25segmented_radix_sort_implINS0_14default_configELb1EPKlPlSM_SN_N2at6native12_GLOBAL__N_18offset_tEEE10hipError_tPvRmT1_PNSt15iterator_traitsISV_E10value_typeET2_T3_PNSW_IS11_E10value_typeET4_jRbjT5_S17_jjP12ihipStream_tbEUljE_EEESS_ST_SU_S11_S15_S17_T6_T7_T9_mT8_S19_bDpT10_ENKUlT_T0_E_clISt17integral_constantIbLb1EES1L_IbLb0EEEEDaS1H_S1I_EUlS1H_E_NS1_11comp_targetILNS1_3genE0ELNS1_11target_archE4294967295ELNS1_3gpuE0ELNS1_3repE0EEENS1_30default_config_static_selectorELNS0_4arch9wavefront6targetE0EEEvSV_.uses_flat_scratch, 0
	.set _ZN7rocprim17ROCPRIM_400000_NS6detail17trampoline_kernelINS0_13select_configILj256ELj13ELNS0_17block_load_methodE3ELS4_3ELS4_3ELNS0_20block_scan_algorithmE0ELj4294967295EEENS1_25partition_config_selectorILNS1_17partition_subalgoE3EjNS0_10empty_typeEbEEZZNS1_14partition_implILS8_3ELb0ES6_jNS0_17counting_iteratorIjlEEPS9_SE_NS0_5tupleIJPjSE_EEENSF_IJSE_SE_EEES9_SG_JZNS1_25segmented_radix_sort_implINS0_14default_configELb1EPKlPlSM_SN_N2at6native12_GLOBAL__N_18offset_tEEE10hipError_tPvRmT1_PNSt15iterator_traitsISV_E10value_typeET2_T3_PNSW_IS11_E10value_typeET4_jRbjT5_S17_jjP12ihipStream_tbEUljE_EEESS_ST_SU_S11_S15_S17_T6_T7_T9_mT8_S19_bDpT10_ENKUlT_T0_E_clISt17integral_constantIbLb1EES1L_IbLb0EEEEDaS1H_S1I_EUlS1H_E_NS1_11comp_targetILNS1_3genE0ELNS1_11target_archE4294967295ELNS1_3gpuE0ELNS1_3repE0EEENS1_30default_config_static_selectorELNS0_4arch9wavefront6targetE0EEEvSV_.has_dyn_sized_stack, 0
	.set _ZN7rocprim17ROCPRIM_400000_NS6detail17trampoline_kernelINS0_13select_configILj256ELj13ELNS0_17block_load_methodE3ELS4_3ELS4_3ELNS0_20block_scan_algorithmE0ELj4294967295EEENS1_25partition_config_selectorILNS1_17partition_subalgoE3EjNS0_10empty_typeEbEEZZNS1_14partition_implILS8_3ELb0ES6_jNS0_17counting_iteratorIjlEEPS9_SE_NS0_5tupleIJPjSE_EEENSF_IJSE_SE_EEES9_SG_JZNS1_25segmented_radix_sort_implINS0_14default_configELb1EPKlPlSM_SN_N2at6native12_GLOBAL__N_18offset_tEEE10hipError_tPvRmT1_PNSt15iterator_traitsISV_E10value_typeET2_T3_PNSW_IS11_E10value_typeET4_jRbjT5_S17_jjP12ihipStream_tbEUljE_EEESS_ST_SU_S11_S15_S17_T6_T7_T9_mT8_S19_bDpT10_ENKUlT_T0_E_clISt17integral_constantIbLb1EES1L_IbLb0EEEEDaS1H_S1I_EUlS1H_E_NS1_11comp_targetILNS1_3genE0ELNS1_11target_archE4294967295ELNS1_3gpuE0ELNS1_3repE0EEENS1_30default_config_static_selectorELNS0_4arch9wavefront6targetE0EEEvSV_.has_recursion, 0
	.set _ZN7rocprim17ROCPRIM_400000_NS6detail17trampoline_kernelINS0_13select_configILj256ELj13ELNS0_17block_load_methodE3ELS4_3ELS4_3ELNS0_20block_scan_algorithmE0ELj4294967295EEENS1_25partition_config_selectorILNS1_17partition_subalgoE3EjNS0_10empty_typeEbEEZZNS1_14partition_implILS8_3ELb0ES6_jNS0_17counting_iteratorIjlEEPS9_SE_NS0_5tupleIJPjSE_EEENSF_IJSE_SE_EEES9_SG_JZNS1_25segmented_radix_sort_implINS0_14default_configELb1EPKlPlSM_SN_N2at6native12_GLOBAL__N_18offset_tEEE10hipError_tPvRmT1_PNSt15iterator_traitsISV_E10value_typeET2_T3_PNSW_IS11_E10value_typeET4_jRbjT5_S17_jjP12ihipStream_tbEUljE_EEESS_ST_SU_S11_S15_S17_T6_T7_T9_mT8_S19_bDpT10_ENKUlT_T0_E_clISt17integral_constantIbLb1EES1L_IbLb0EEEEDaS1H_S1I_EUlS1H_E_NS1_11comp_targetILNS1_3genE0ELNS1_11target_archE4294967295ELNS1_3gpuE0ELNS1_3repE0EEENS1_30default_config_static_selectorELNS0_4arch9wavefront6targetE0EEEvSV_.has_indirect_call, 0
	.section	.AMDGPU.csdata,"",@progbits
; Kernel info:
; codeLenInByte = 0
; TotalNumSgprs: 0
; NumVgprs: 0
; ScratchSize: 0
; MemoryBound: 0
; FloatMode: 240
; IeeeMode: 1
; LDSByteSize: 0 bytes/workgroup (compile time only)
; SGPRBlocks: 0
; VGPRBlocks: 0
; NumSGPRsForWavesPerEU: 1
; NumVGPRsForWavesPerEU: 1
; Occupancy: 16
; WaveLimiterHint : 0
; COMPUTE_PGM_RSRC2:SCRATCH_EN: 0
; COMPUTE_PGM_RSRC2:USER_SGPR: 6
; COMPUTE_PGM_RSRC2:TRAP_HANDLER: 0
; COMPUTE_PGM_RSRC2:TGID_X_EN: 1
; COMPUTE_PGM_RSRC2:TGID_Y_EN: 0
; COMPUTE_PGM_RSRC2:TGID_Z_EN: 0
; COMPUTE_PGM_RSRC2:TIDIG_COMP_CNT: 0
	.section	.text._ZN7rocprim17ROCPRIM_400000_NS6detail17trampoline_kernelINS0_13select_configILj256ELj13ELNS0_17block_load_methodE3ELS4_3ELS4_3ELNS0_20block_scan_algorithmE0ELj4294967295EEENS1_25partition_config_selectorILNS1_17partition_subalgoE3EjNS0_10empty_typeEbEEZZNS1_14partition_implILS8_3ELb0ES6_jNS0_17counting_iteratorIjlEEPS9_SE_NS0_5tupleIJPjSE_EEENSF_IJSE_SE_EEES9_SG_JZNS1_25segmented_radix_sort_implINS0_14default_configELb1EPKlPlSM_SN_N2at6native12_GLOBAL__N_18offset_tEEE10hipError_tPvRmT1_PNSt15iterator_traitsISV_E10value_typeET2_T3_PNSW_IS11_E10value_typeET4_jRbjT5_S17_jjP12ihipStream_tbEUljE_EEESS_ST_SU_S11_S15_S17_T6_T7_T9_mT8_S19_bDpT10_ENKUlT_T0_E_clISt17integral_constantIbLb1EES1L_IbLb0EEEEDaS1H_S1I_EUlS1H_E_NS1_11comp_targetILNS1_3genE5ELNS1_11target_archE942ELNS1_3gpuE9ELNS1_3repE0EEENS1_30default_config_static_selectorELNS0_4arch9wavefront6targetE0EEEvSV_,"axG",@progbits,_ZN7rocprim17ROCPRIM_400000_NS6detail17trampoline_kernelINS0_13select_configILj256ELj13ELNS0_17block_load_methodE3ELS4_3ELS4_3ELNS0_20block_scan_algorithmE0ELj4294967295EEENS1_25partition_config_selectorILNS1_17partition_subalgoE3EjNS0_10empty_typeEbEEZZNS1_14partition_implILS8_3ELb0ES6_jNS0_17counting_iteratorIjlEEPS9_SE_NS0_5tupleIJPjSE_EEENSF_IJSE_SE_EEES9_SG_JZNS1_25segmented_radix_sort_implINS0_14default_configELb1EPKlPlSM_SN_N2at6native12_GLOBAL__N_18offset_tEEE10hipError_tPvRmT1_PNSt15iterator_traitsISV_E10value_typeET2_T3_PNSW_IS11_E10value_typeET4_jRbjT5_S17_jjP12ihipStream_tbEUljE_EEESS_ST_SU_S11_S15_S17_T6_T7_T9_mT8_S19_bDpT10_ENKUlT_T0_E_clISt17integral_constantIbLb1EES1L_IbLb0EEEEDaS1H_S1I_EUlS1H_E_NS1_11comp_targetILNS1_3genE5ELNS1_11target_archE942ELNS1_3gpuE9ELNS1_3repE0EEENS1_30default_config_static_selectorELNS0_4arch9wavefront6targetE0EEEvSV_,comdat
	.globl	_ZN7rocprim17ROCPRIM_400000_NS6detail17trampoline_kernelINS0_13select_configILj256ELj13ELNS0_17block_load_methodE3ELS4_3ELS4_3ELNS0_20block_scan_algorithmE0ELj4294967295EEENS1_25partition_config_selectorILNS1_17partition_subalgoE3EjNS0_10empty_typeEbEEZZNS1_14partition_implILS8_3ELb0ES6_jNS0_17counting_iteratorIjlEEPS9_SE_NS0_5tupleIJPjSE_EEENSF_IJSE_SE_EEES9_SG_JZNS1_25segmented_radix_sort_implINS0_14default_configELb1EPKlPlSM_SN_N2at6native12_GLOBAL__N_18offset_tEEE10hipError_tPvRmT1_PNSt15iterator_traitsISV_E10value_typeET2_T3_PNSW_IS11_E10value_typeET4_jRbjT5_S17_jjP12ihipStream_tbEUljE_EEESS_ST_SU_S11_S15_S17_T6_T7_T9_mT8_S19_bDpT10_ENKUlT_T0_E_clISt17integral_constantIbLb1EES1L_IbLb0EEEEDaS1H_S1I_EUlS1H_E_NS1_11comp_targetILNS1_3genE5ELNS1_11target_archE942ELNS1_3gpuE9ELNS1_3repE0EEENS1_30default_config_static_selectorELNS0_4arch9wavefront6targetE0EEEvSV_ ; -- Begin function _ZN7rocprim17ROCPRIM_400000_NS6detail17trampoline_kernelINS0_13select_configILj256ELj13ELNS0_17block_load_methodE3ELS4_3ELS4_3ELNS0_20block_scan_algorithmE0ELj4294967295EEENS1_25partition_config_selectorILNS1_17partition_subalgoE3EjNS0_10empty_typeEbEEZZNS1_14partition_implILS8_3ELb0ES6_jNS0_17counting_iteratorIjlEEPS9_SE_NS0_5tupleIJPjSE_EEENSF_IJSE_SE_EEES9_SG_JZNS1_25segmented_radix_sort_implINS0_14default_configELb1EPKlPlSM_SN_N2at6native12_GLOBAL__N_18offset_tEEE10hipError_tPvRmT1_PNSt15iterator_traitsISV_E10value_typeET2_T3_PNSW_IS11_E10value_typeET4_jRbjT5_S17_jjP12ihipStream_tbEUljE_EEESS_ST_SU_S11_S15_S17_T6_T7_T9_mT8_S19_bDpT10_ENKUlT_T0_E_clISt17integral_constantIbLb1EES1L_IbLb0EEEEDaS1H_S1I_EUlS1H_E_NS1_11comp_targetILNS1_3genE5ELNS1_11target_archE942ELNS1_3gpuE9ELNS1_3repE0EEENS1_30default_config_static_selectorELNS0_4arch9wavefront6targetE0EEEvSV_
	.p2align	8
	.type	_ZN7rocprim17ROCPRIM_400000_NS6detail17trampoline_kernelINS0_13select_configILj256ELj13ELNS0_17block_load_methodE3ELS4_3ELS4_3ELNS0_20block_scan_algorithmE0ELj4294967295EEENS1_25partition_config_selectorILNS1_17partition_subalgoE3EjNS0_10empty_typeEbEEZZNS1_14partition_implILS8_3ELb0ES6_jNS0_17counting_iteratorIjlEEPS9_SE_NS0_5tupleIJPjSE_EEENSF_IJSE_SE_EEES9_SG_JZNS1_25segmented_radix_sort_implINS0_14default_configELb1EPKlPlSM_SN_N2at6native12_GLOBAL__N_18offset_tEEE10hipError_tPvRmT1_PNSt15iterator_traitsISV_E10value_typeET2_T3_PNSW_IS11_E10value_typeET4_jRbjT5_S17_jjP12ihipStream_tbEUljE_EEESS_ST_SU_S11_S15_S17_T6_T7_T9_mT8_S19_bDpT10_ENKUlT_T0_E_clISt17integral_constantIbLb1EES1L_IbLb0EEEEDaS1H_S1I_EUlS1H_E_NS1_11comp_targetILNS1_3genE5ELNS1_11target_archE942ELNS1_3gpuE9ELNS1_3repE0EEENS1_30default_config_static_selectorELNS0_4arch9wavefront6targetE0EEEvSV_,@function
_ZN7rocprim17ROCPRIM_400000_NS6detail17trampoline_kernelINS0_13select_configILj256ELj13ELNS0_17block_load_methodE3ELS4_3ELS4_3ELNS0_20block_scan_algorithmE0ELj4294967295EEENS1_25partition_config_selectorILNS1_17partition_subalgoE3EjNS0_10empty_typeEbEEZZNS1_14partition_implILS8_3ELb0ES6_jNS0_17counting_iteratorIjlEEPS9_SE_NS0_5tupleIJPjSE_EEENSF_IJSE_SE_EEES9_SG_JZNS1_25segmented_radix_sort_implINS0_14default_configELb1EPKlPlSM_SN_N2at6native12_GLOBAL__N_18offset_tEEE10hipError_tPvRmT1_PNSt15iterator_traitsISV_E10value_typeET2_T3_PNSW_IS11_E10value_typeET4_jRbjT5_S17_jjP12ihipStream_tbEUljE_EEESS_ST_SU_S11_S15_S17_T6_T7_T9_mT8_S19_bDpT10_ENKUlT_T0_E_clISt17integral_constantIbLb1EES1L_IbLb0EEEEDaS1H_S1I_EUlS1H_E_NS1_11comp_targetILNS1_3genE5ELNS1_11target_archE942ELNS1_3gpuE9ELNS1_3repE0EEENS1_30default_config_static_selectorELNS0_4arch9wavefront6targetE0EEEvSV_: ; @_ZN7rocprim17ROCPRIM_400000_NS6detail17trampoline_kernelINS0_13select_configILj256ELj13ELNS0_17block_load_methodE3ELS4_3ELS4_3ELNS0_20block_scan_algorithmE0ELj4294967295EEENS1_25partition_config_selectorILNS1_17partition_subalgoE3EjNS0_10empty_typeEbEEZZNS1_14partition_implILS8_3ELb0ES6_jNS0_17counting_iteratorIjlEEPS9_SE_NS0_5tupleIJPjSE_EEENSF_IJSE_SE_EEES9_SG_JZNS1_25segmented_radix_sort_implINS0_14default_configELb1EPKlPlSM_SN_N2at6native12_GLOBAL__N_18offset_tEEE10hipError_tPvRmT1_PNSt15iterator_traitsISV_E10value_typeET2_T3_PNSW_IS11_E10value_typeET4_jRbjT5_S17_jjP12ihipStream_tbEUljE_EEESS_ST_SU_S11_S15_S17_T6_T7_T9_mT8_S19_bDpT10_ENKUlT_T0_E_clISt17integral_constantIbLb1EES1L_IbLb0EEEEDaS1H_S1I_EUlS1H_E_NS1_11comp_targetILNS1_3genE5ELNS1_11target_archE942ELNS1_3gpuE9ELNS1_3repE0EEENS1_30default_config_static_selectorELNS0_4arch9wavefront6targetE0EEEvSV_
; %bb.0:
	.section	.rodata,"a",@progbits
	.p2align	6, 0x0
	.amdhsa_kernel _ZN7rocprim17ROCPRIM_400000_NS6detail17trampoline_kernelINS0_13select_configILj256ELj13ELNS0_17block_load_methodE3ELS4_3ELS4_3ELNS0_20block_scan_algorithmE0ELj4294967295EEENS1_25partition_config_selectorILNS1_17partition_subalgoE3EjNS0_10empty_typeEbEEZZNS1_14partition_implILS8_3ELb0ES6_jNS0_17counting_iteratorIjlEEPS9_SE_NS0_5tupleIJPjSE_EEENSF_IJSE_SE_EEES9_SG_JZNS1_25segmented_radix_sort_implINS0_14default_configELb1EPKlPlSM_SN_N2at6native12_GLOBAL__N_18offset_tEEE10hipError_tPvRmT1_PNSt15iterator_traitsISV_E10value_typeET2_T3_PNSW_IS11_E10value_typeET4_jRbjT5_S17_jjP12ihipStream_tbEUljE_EEESS_ST_SU_S11_S15_S17_T6_T7_T9_mT8_S19_bDpT10_ENKUlT_T0_E_clISt17integral_constantIbLb1EES1L_IbLb0EEEEDaS1H_S1I_EUlS1H_E_NS1_11comp_targetILNS1_3genE5ELNS1_11target_archE942ELNS1_3gpuE9ELNS1_3repE0EEENS1_30default_config_static_selectorELNS0_4arch9wavefront6targetE0EEEvSV_
		.amdhsa_group_segment_fixed_size 0
		.amdhsa_private_segment_fixed_size 0
		.amdhsa_kernarg_size 144
		.amdhsa_user_sgpr_count 6
		.amdhsa_user_sgpr_private_segment_buffer 1
		.amdhsa_user_sgpr_dispatch_ptr 0
		.amdhsa_user_sgpr_queue_ptr 0
		.amdhsa_user_sgpr_kernarg_segment_ptr 1
		.amdhsa_user_sgpr_dispatch_id 0
		.amdhsa_user_sgpr_flat_scratch_init 0
		.amdhsa_user_sgpr_private_segment_size 0
		.amdhsa_wavefront_size32 1
		.amdhsa_uses_dynamic_stack 0
		.amdhsa_system_sgpr_private_segment_wavefront_offset 0
		.amdhsa_system_sgpr_workgroup_id_x 1
		.amdhsa_system_sgpr_workgroup_id_y 0
		.amdhsa_system_sgpr_workgroup_id_z 0
		.amdhsa_system_sgpr_workgroup_info 0
		.amdhsa_system_vgpr_workitem_id 0
		.amdhsa_next_free_vgpr 1
		.amdhsa_next_free_sgpr 1
		.amdhsa_reserve_vcc 0
		.amdhsa_reserve_flat_scratch 0
		.amdhsa_float_round_mode_32 0
		.amdhsa_float_round_mode_16_64 0
		.amdhsa_float_denorm_mode_32 3
		.amdhsa_float_denorm_mode_16_64 3
		.amdhsa_dx10_clamp 1
		.amdhsa_ieee_mode 1
		.amdhsa_fp16_overflow 0
		.amdhsa_workgroup_processor_mode 1
		.amdhsa_memory_ordered 1
		.amdhsa_forward_progress 1
		.amdhsa_shared_vgpr_count 0
		.amdhsa_exception_fp_ieee_invalid_op 0
		.amdhsa_exception_fp_denorm_src 0
		.amdhsa_exception_fp_ieee_div_zero 0
		.amdhsa_exception_fp_ieee_overflow 0
		.amdhsa_exception_fp_ieee_underflow 0
		.amdhsa_exception_fp_ieee_inexact 0
		.amdhsa_exception_int_div_zero 0
	.end_amdhsa_kernel
	.section	.text._ZN7rocprim17ROCPRIM_400000_NS6detail17trampoline_kernelINS0_13select_configILj256ELj13ELNS0_17block_load_methodE3ELS4_3ELS4_3ELNS0_20block_scan_algorithmE0ELj4294967295EEENS1_25partition_config_selectorILNS1_17partition_subalgoE3EjNS0_10empty_typeEbEEZZNS1_14partition_implILS8_3ELb0ES6_jNS0_17counting_iteratorIjlEEPS9_SE_NS0_5tupleIJPjSE_EEENSF_IJSE_SE_EEES9_SG_JZNS1_25segmented_radix_sort_implINS0_14default_configELb1EPKlPlSM_SN_N2at6native12_GLOBAL__N_18offset_tEEE10hipError_tPvRmT1_PNSt15iterator_traitsISV_E10value_typeET2_T3_PNSW_IS11_E10value_typeET4_jRbjT5_S17_jjP12ihipStream_tbEUljE_EEESS_ST_SU_S11_S15_S17_T6_T7_T9_mT8_S19_bDpT10_ENKUlT_T0_E_clISt17integral_constantIbLb1EES1L_IbLb0EEEEDaS1H_S1I_EUlS1H_E_NS1_11comp_targetILNS1_3genE5ELNS1_11target_archE942ELNS1_3gpuE9ELNS1_3repE0EEENS1_30default_config_static_selectorELNS0_4arch9wavefront6targetE0EEEvSV_,"axG",@progbits,_ZN7rocprim17ROCPRIM_400000_NS6detail17trampoline_kernelINS0_13select_configILj256ELj13ELNS0_17block_load_methodE3ELS4_3ELS4_3ELNS0_20block_scan_algorithmE0ELj4294967295EEENS1_25partition_config_selectorILNS1_17partition_subalgoE3EjNS0_10empty_typeEbEEZZNS1_14partition_implILS8_3ELb0ES6_jNS0_17counting_iteratorIjlEEPS9_SE_NS0_5tupleIJPjSE_EEENSF_IJSE_SE_EEES9_SG_JZNS1_25segmented_radix_sort_implINS0_14default_configELb1EPKlPlSM_SN_N2at6native12_GLOBAL__N_18offset_tEEE10hipError_tPvRmT1_PNSt15iterator_traitsISV_E10value_typeET2_T3_PNSW_IS11_E10value_typeET4_jRbjT5_S17_jjP12ihipStream_tbEUljE_EEESS_ST_SU_S11_S15_S17_T6_T7_T9_mT8_S19_bDpT10_ENKUlT_T0_E_clISt17integral_constantIbLb1EES1L_IbLb0EEEEDaS1H_S1I_EUlS1H_E_NS1_11comp_targetILNS1_3genE5ELNS1_11target_archE942ELNS1_3gpuE9ELNS1_3repE0EEENS1_30default_config_static_selectorELNS0_4arch9wavefront6targetE0EEEvSV_,comdat
.Lfunc_end683:
	.size	_ZN7rocprim17ROCPRIM_400000_NS6detail17trampoline_kernelINS0_13select_configILj256ELj13ELNS0_17block_load_methodE3ELS4_3ELS4_3ELNS0_20block_scan_algorithmE0ELj4294967295EEENS1_25partition_config_selectorILNS1_17partition_subalgoE3EjNS0_10empty_typeEbEEZZNS1_14partition_implILS8_3ELb0ES6_jNS0_17counting_iteratorIjlEEPS9_SE_NS0_5tupleIJPjSE_EEENSF_IJSE_SE_EEES9_SG_JZNS1_25segmented_radix_sort_implINS0_14default_configELb1EPKlPlSM_SN_N2at6native12_GLOBAL__N_18offset_tEEE10hipError_tPvRmT1_PNSt15iterator_traitsISV_E10value_typeET2_T3_PNSW_IS11_E10value_typeET4_jRbjT5_S17_jjP12ihipStream_tbEUljE_EEESS_ST_SU_S11_S15_S17_T6_T7_T9_mT8_S19_bDpT10_ENKUlT_T0_E_clISt17integral_constantIbLb1EES1L_IbLb0EEEEDaS1H_S1I_EUlS1H_E_NS1_11comp_targetILNS1_3genE5ELNS1_11target_archE942ELNS1_3gpuE9ELNS1_3repE0EEENS1_30default_config_static_selectorELNS0_4arch9wavefront6targetE0EEEvSV_, .Lfunc_end683-_ZN7rocprim17ROCPRIM_400000_NS6detail17trampoline_kernelINS0_13select_configILj256ELj13ELNS0_17block_load_methodE3ELS4_3ELS4_3ELNS0_20block_scan_algorithmE0ELj4294967295EEENS1_25partition_config_selectorILNS1_17partition_subalgoE3EjNS0_10empty_typeEbEEZZNS1_14partition_implILS8_3ELb0ES6_jNS0_17counting_iteratorIjlEEPS9_SE_NS0_5tupleIJPjSE_EEENSF_IJSE_SE_EEES9_SG_JZNS1_25segmented_radix_sort_implINS0_14default_configELb1EPKlPlSM_SN_N2at6native12_GLOBAL__N_18offset_tEEE10hipError_tPvRmT1_PNSt15iterator_traitsISV_E10value_typeET2_T3_PNSW_IS11_E10value_typeET4_jRbjT5_S17_jjP12ihipStream_tbEUljE_EEESS_ST_SU_S11_S15_S17_T6_T7_T9_mT8_S19_bDpT10_ENKUlT_T0_E_clISt17integral_constantIbLb1EES1L_IbLb0EEEEDaS1H_S1I_EUlS1H_E_NS1_11comp_targetILNS1_3genE5ELNS1_11target_archE942ELNS1_3gpuE9ELNS1_3repE0EEENS1_30default_config_static_selectorELNS0_4arch9wavefront6targetE0EEEvSV_
                                        ; -- End function
	.set _ZN7rocprim17ROCPRIM_400000_NS6detail17trampoline_kernelINS0_13select_configILj256ELj13ELNS0_17block_load_methodE3ELS4_3ELS4_3ELNS0_20block_scan_algorithmE0ELj4294967295EEENS1_25partition_config_selectorILNS1_17partition_subalgoE3EjNS0_10empty_typeEbEEZZNS1_14partition_implILS8_3ELb0ES6_jNS0_17counting_iteratorIjlEEPS9_SE_NS0_5tupleIJPjSE_EEENSF_IJSE_SE_EEES9_SG_JZNS1_25segmented_radix_sort_implINS0_14default_configELb1EPKlPlSM_SN_N2at6native12_GLOBAL__N_18offset_tEEE10hipError_tPvRmT1_PNSt15iterator_traitsISV_E10value_typeET2_T3_PNSW_IS11_E10value_typeET4_jRbjT5_S17_jjP12ihipStream_tbEUljE_EEESS_ST_SU_S11_S15_S17_T6_T7_T9_mT8_S19_bDpT10_ENKUlT_T0_E_clISt17integral_constantIbLb1EES1L_IbLb0EEEEDaS1H_S1I_EUlS1H_E_NS1_11comp_targetILNS1_3genE5ELNS1_11target_archE942ELNS1_3gpuE9ELNS1_3repE0EEENS1_30default_config_static_selectorELNS0_4arch9wavefront6targetE0EEEvSV_.num_vgpr, 0
	.set _ZN7rocprim17ROCPRIM_400000_NS6detail17trampoline_kernelINS0_13select_configILj256ELj13ELNS0_17block_load_methodE3ELS4_3ELS4_3ELNS0_20block_scan_algorithmE0ELj4294967295EEENS1_25partition_config_selectorILNS1_17partition_subalgoE3EjNS0_10empty_typeEbEEZZNS1_14partition_implILS8_3ELb0ES6_jNS0_17counting_iteratorIjlEEPS9_SE_NS0_5tupleIJPjSE_EEENSF_IJSE_SE_EEES9_SG_JZNS1_25segmented_radix_sort_implINS0_14default_configELb1EPKlPlSM_SN_N2at6native12_GLOBAL__N_18offset_tEEE10hipError_tPvRmT1_PNSt15iterator_traitsISV_E10value_typeET2_T3_PNSW_IS11_E10value_typeET4_jRbjT5_S17_jjP12ihipStream_tbEUljE_EEESS_ST_SU_S11_S15_S17_T6_T7_T9_mT8_S19_bDpT10_ENKUlT_T0_E_clISt17integral_constantIbLb1EES1L_IbLb0EEEEDaS1H_S1I_EUlS1H_E_NS1_11comp_targetILNS1_3genE5ELNS1_11target_archE942ELNS1_3gpuE9ELNS1_3repE0EEENS1_30default_config_static_selectorELNS0_4arch9wavefront6targetE0EEEvSV_.num_agpr, 0
	.set _ZN7rocprim17ROCPRIM_400000_NS6detail17trampoline_kernelINS0_13select_configILj256ELj13ELNS0_17block_load_methodE3ELS4_3ELS4_3ELNS0_20block_scan_algorithmE0ELj4294967295EEENS1_25partition_config_selectorILNS1_17partition_subalgoE3EjNS0_10empty_typeEbEEZZNS1_14partition_implILS8_3ELb0ES6_jNS0_17counting_iteratorIjlEEPS9_SE_NS0_5tupleIJPjSE_EEENSF_IJSE_SE_EEES9_SG_JZNS1_25segmented_radix_sort_implINS0_14default_configELb1EPKlPlSM_SN_N2at6native12_GLOBAL__N_18offset_tEEE10hipError_tPvRmT1_PNSt15iterator_traitsISV_E10value_typeET2_T3_PNSW_IS11_E10value_typeET4_jRbjT5_S17_jjP12ihipStream_tbEUljE_EEESS_ST_SU_S11_S15_S17_T6_T7_T9_mT8_S19_bDpT10_ENKUlT_T0_E_clISt17integral_constantIbLb1EES1L_IbLb0EEEEDaS1H_S1I_EUlS1H_E_NS1_11comp_targetILNS1_3genE5ELNS1_11target_archE942ELNS1_3gpuE9ELNS1_3repE0EEENS1_30default_config_static_selectorELNS0_4arch9wavefront6targetE0EEEvSV_.numbered_sgpr, 0
	.set _ZN7rocprim17ROCPRIM_400000_NS6detail17trampoline_kernelINS0_13select_configILj256ELj13ELNS0_17block_load_methodE3ELS4_3ELS4_3ELNS0_20block_scan_algorithmE0ELj4294967295EEENS1_25partition_config_selectorILNS1_17partition_subalgoE3EjNS0_10empty_typeEbEEZZNS1_14partition_implILS8_3ELb0ES6_jNS0_17counting_iteratorIjlEEPS9_SE_NS0_5tupleIJPjSE_EEENSF_IJSE_SE_EEES9_SG_JZNS1_25segmented_radix_sort_implINS0_14default_configELb1EPKlPlSM_SN_N2at6native12_GLOBAL__N_18offset_tEEE10hipError_tPvRmT1_PNSt15iterator_traitsISV_E10value_typeET2_T3_PNSW_IS11_E10value_typeET4_jRbjT5_S17_jjP12ihipStream_tbEUljE_EEESS_ST_SU_S11_S15_S17_T6_T7_T9_mT8_S19_bDpT10_ENKUlT_T0_E_clISt17integral_constantIbLb1EES1L_IbLb0EEEEDaS1H_S1I_EUlS1H_E_NS1_11comp_targetILNS1_3genE5ELNS1_11target_archE942ELNS1_3gpuE9ELNS1_3repE0EEENS1_30default_config_static_selectorELNS0_4arch9wavefront6targetE0EEEvSV_.num_named_barrier, 0
	.set _ZN7rocprim17ROCPRIM_400000_NS6detail17trampoline_kernelINS0_13select_configILj256ELj13ELNS0_17block_load_methodE3ELS4_3ELS4_3ELNS0_20block_scan_algorithmE0ELj4294967295EEENS1_25partition_config_selectorILNS1_17partition_subalgoE3EjNS0_10empty_typeEbEEZZNS1_14partition_implILS8_3ELb0ES6_jNS0_17counting_iteratorIjlEEPS9_SE_NS0_5tupleIJPjSE_EEENSF_IJSE_SE_EEES9_SG_JZNS1_25segmented_radix_sort_implINS0_14default_configELb1EPKlPlSM_SN_N2at6native12_GLOBAL__N_18offset_tEEE10hipError_tPvRmT1_PNSt15iterator_traitsISV_E10value_typeET2_T3_PNSW_IS11_E10value_typeET4_jRbjT5_S17_jjP12ihipStream_tbEUljE_EEESS_ST_SU_S11_S15_S17_T6_T7_T9_mT8_S19_bDpT10_ENKUlT_T0_E_clISt17integral_constantIbLb1EES1L_IbLb0EEEEDaS1H_S1I_EUlS1H_E_NS1_11comp_targetILNS1_3genE5ELNS1_11target_archE942ELNS1_3gpuE9ELNS1_3repE0EEENS1_30default_config_static_selectorELNS0_4arch9wavefront6targetE0EEEvSV_.private_seg_size, 0
	.set _ZN7rocprim17ROCPRIM_400000_NS6detail17trampoline_kernelINS0_13select_configILj256ELj13ELNS0_17block_load_methodE3ELS4_3ELS4_3ELNS0_20block_scan_algorithmE0ELj4294967295EEENS1_25partition_config_selectorILNS1_17partition_subalgoE3EjNS0_10empty_typeEbEEZZNS1_14partition_implILS8_3ELb0ES6_jNS0_17counting_iteratorIjlEEPS9_SE_NS0_5tupleIJPjSE_EEENSF_IJSE_SE_EEES9_SG_JZNS1_25segmented_radix_sort_implINS0_14default_configELb1EPKlPlSM_SN_N2at6native12_GLOBAL__N_18offset_tEEE10hipError_tPvRmT1_PNSt15iterator_traitsISV_E10value_typeET2_T3_PNSW_IS11_E10value_typeET4_jRbjT5_S17_jjP12ihipStream_tbEUljE_EEESS_ST_SU_S11_S15_S17_T6_T7_T9_mT8_S19_bDpT10_ENKUlT_T0_E_clISt17integral_constantIbLb1EES1L_IbLb0EEEEDaS1H_S1I_EUlS1H_E_NS1_11comp_targetILNS1_3genE5ELNS1_11target_archE942ELNS1_3gpuE9ELNS1_3repE0EEENS1_30default_config_static_selectorELNS0_4arch9wavefront6targetE0EEEvSV_.uses_vcc, 0
	.set _ZN7rocprim17ROCPRIM_400000_NS6detail17trampoline_kernelINS0_13select_configILj256ELj13ELNS0_17block_load_methodE3ELS4_3ELS4_3ELNS0_20block_scan_algorithmE0ELj4294967295EEENS1_25partition_config_selectorILNS1_17partition_subalgoE3EjNS0_10empty_typeEbEEZZNS1_14partition_implILS8_3ELb0ES6_jNS0_17counting_iteratorIjlEEPS9_SE_NS0_5tupleIJPjSE_EEENSF_IJSE_SE_EEES9_SG_JZNS1_25segmented_radix_sort_implINS0_14default_configELb1EPKlPlSM_SN_N2at6native12_GLOBAL__N_18offset_tEEE10hipError_tPvRmT1_PNSt15iterator_traitsISV_E10value_typeET2_T3_PNSW_IS11_E10value_typeET4_jRbjT5_S17_jjP12ihipStream_tbEUljE_EEESS_ST_SU_S11_S15_S17_T6_T7_T9_mT8_S19_bDpT10_ENKUlT_T0_E_clISt17integral_constantIbLb1EES1L_IbLb0EEEEDaS1H_S1I_EUlS1H_E_NS1_11comp_targetILNS1_3genE5ELNS1_11target_archE942ELNS1_3gpuE9ELNS1_3repE0EEENS1_30default_config_static_selectorELNS0_4arch9wavefront6targetE0EEEvSV_.uses_flat_scratch, 0
	.set _ZN7rocprim17ROCPRIM_400000_NS6detail17trampoline_kernelINS0_13select_configILj256ELj13ELNS0_17block_load_methodE3ELS4_3ELS4_3ELNS0_20block_scan_algorithmE0ELj4294967295EEENS1_25partition_config_selectorILNS1_17partition_subalgoE3EjNS0_10empty_typeEbEEZZNS1_14partition_implILS8_3ELb0ES6_jNS0_17counting_iteratorIjlEEPS9_SE_NS0_5tupleIJPjSE_EEENSF_IJSE_SE_EEES9_SG_JZNS1_25segmented_radix_sort_implINS0_14default_configELb1EPKlPlSM_SN_N2at6native12_GLOBAL__N_18offset_tEEE10hipError_tPvRmT1_PNSt15iterator_traitsISV_E10value_typeET2_T3_PNSW_IS11_E10value_typeET4_jRbjT5_S17_jjP12ihipStream_tbEUljE_EEESS_ST_SU_S11_S15_S17_T6_T7_T9_mT8_S19_bDpT10_ENKUlT_T0_E_clISt17integral_constantIbLb1EES1L_IbLb0EEEEDaS1H_S1I_EUlS1H_E_NS1_11comp_targetILNS1_3genE5ELNS1_11target_archE942ELNS1_3gpuE9ELNS1_3repE0EEENS1_30default_config_static_selectorELNS0_4arch9wavefront6targetE0EEEvSV_.has_dyn_sized_stack, 0
	.set _ZN7rocprim17ROCPRIM_400000_NS6detail17trampoline_kernelINS0_13select_configILj256ELj13ELNS0_17block_load_methodE3ELS4_3ELS4_3ELNS0_20block_scan_algorithmE0ELj4294967295EEENS1_25partition_config_selectorILNS1_17partition_subalgoE3EjNS0_10empty_typeEbEEZZNS1_14partition_implILS8_3ELb0ES6_jNS0_17counting_iteratorIjlEEPS9_SE_NS0_5tupleIJPjSE_EEENSF_IJSE_SE_EEES9_SG_JZNS1_25segmented_radix_sort_implINS0_14default_configELb1EPKlPlSM_SN_N2at6native12_GLOBAL__N_18offset_tEEE10hipError_tPvRmT1_PNSt15iterator_traitsISV_E10value_typeET2_T3_PNSW_IS11_E10value_typeET4_jRbjT5_S17_jjP12ihipStream_tbEUljE_EEESS_ST_SU_S11_S15_S17_T6_T7_T9_mT8_S19_bDpT10_ENKUlT_T0_E_clISt17integral_constantIbLb1EES1L_IbLb0EEEEDaS1H_S1I_EUlS1H_E_NS1_11comp_targetILNS1_3genE5ELNS1_11target_archE942ELNS1_3gpuE9ELNS1_3repE0EEENS1_30default_config_static_selectorELNS0_4arch9wavefront6targetE0EEEvSV_.has_recursion, 0
	.set _ZN7rocprim17ROCPRIM_400000_NS6detail17trampoline_kernelINS0_13select_configILj256ELj13ELNS0_17block_load_methodE3ELS4_3ELS4_3ELNS0_20block_scan_algorithmE0ELj4294967295EEENS1_25partition_config_selectorILNS1_17partition_subalgoE3EjNS0_10empty_typeEbEEZZNS1_14partition_implILS8_3ELb0ES6_jNS0_17counting_iteratorIjlEEPS9_SE_NS0_5tupleIJPjSE_EEENSF_IJSE_SE_EEES9_SG_JZNS1_25segmented_radix_sort_implINS0_14default_configELb1EPKlPlSM_SN_N2at6native12_GLOBAL__N_18offset_tEEE10hipError_tPvRmT1_PNSt15iterator_traitsISV_E10value_typeET2_T3_PNSW_IS11_E10value_typeET4_jRbjT5_S17_jjP12ihipStream_tbEUljE_EEESS_ST_SU_S11_S15_S17_T6_T7_T9_mT8_S19_bDpT10_ENKUlT_T0_E_clISt17integral_constantIbLb1EES1L_IbLb0EEEEDaS1H_S1I_EUlS1H_E_NS1_11comp_targetILNS1_3genE5ELNS1_11target_archE942ELNS1_3gpuE9ELNS1_3repE0EEENS1_30default_config_static_selectorELNS0_4arch9wavefront6targetE0EEEvSV_.has_indirect_call, 0
	.section	.AMDGPU.csdata,"",@progbits
; Kernel info:
; codeLenInByte = 0
; TotalNumSgprs: 0
; NumVgprs: 0
; ScratchSize: 0
; MemoryBound: 0
; FloatMode: 240
; IeeeMode: 1
; LDSByteSize: 0 bytes/workgroup (compile time only)
; SGPRBlocks: 0
; VGPRBlocks: 0
; NumSGPRsForWavesPerEU: 1
; NumVGPRsForWavesPerEU: 1
; Occupancy: 16
; WaveLimiterHint : 0
; COMPUTE_PGM_RSRC2:SCRATCH_EN: 0
; COMPUTE_PGM_RSRC2:USER_SGPR: 6
; COMPUTE_PGM_RSRC2:TRAP_HANDLER: 0
; COMPUTE_PGM_RSRC2:TGID_X_EN: 1
; COMPUTE_PGM_RSRC2:TGID_Y_EN: 0
; COMPUTE_PGM_RSRC2:TGID_Z_EN: 0
; COMPUTE_PGM_RSRC2:TIDIG_COMP_CNT: 0
	.section	.text._ZN7rocprim17ROCPRIM_400000_NS6detail17trampoline_kernelINS0_13select_configILj256ELj13ELNS0_17block_load_methodE3ELS4_3ELS4_3ELNS0_20block_scan_algorithmE0ELj4294967295EEENS1_25partition_config_selectorILNS1_17partition_subalgoE3EjNS0_10empty_typeEbEEZZNS1_14partition_implILS8_3ELb0ES6_jNS0_17counting_iteratorIjlEEPS9_SE_NS0_5tupleIJPjSE_EEENSF_IJSE_SE_EEES9_SG_JZNS1_25segmented_radix_sort_implINS0_14default_configELb1EPKlPlSM_SN_N2at6native12_GLOBAL__N_18offset_tEEE10hipError_tPvRmT1_PNSt15iterator_traitsISV_E10value_typeET2_T3_PNSW_IS11_E10value_typeET4_jRbjT5_S17_jjP12ihipStream_tbEUljE_EEESS_ST_SU_S11_S15_S17_T6_T7_T9_mT8_S19_bDpT10_ENKUlT_T0_E_clISt17integral_constantIbLb1EES1L_IbLb0EEEEDaS1H_S1I_EUlS1H_E_NS1_11comp_targetILNS1_3genE4ELNS1_11target_archE910ELNS1_3gpuE8ELNS1_3repE0EEENS1_30default_config_static_selectorELNS0_4arch9wavefront6targetE0EEEvSV_,"axG",@progbits,_ZN7rocprim17ROCPRIM_400000_NS6detail17trampoline_kernelINS0_13select_configILj256ELj13ELNS0_17block_load_methodE3ELS4_3ELS4_3ELNS0_20block_scan_algorithmE0ELj4294967295EEENS1_25partition_config_selectorILNS1_17partition_subalgoE3EjNS0_10empty_typeEbEEZZNS1_14partition_implILS8_3ELb0ES6_jNS0_17counting_iteratorIjlEEPS9_SE_NS0_5tupleIJPjSE_EEENSF_IJSE_SE_EEES9_SG_JZNS1_25segmented_radix_sort_implINS0_14default_configELb1EPKlPlSM_SN_N2at6native12_GLOBAL__N_18offset_tEEE10hipError_tPvRmT1_PNSt15iterator_traitsISV_E10value_typeET2_T3_PNSW_IS11_E10value_typeET4_jRbjT5_S17_jjP12ihipStream_tbEUljE_EEESS_ST_SU_S11_S15_S17_T6_T7_T9_mT8_S19_bDpT10_ENKUlT_T0_E_clISt17integral_constantIbLb1EES1L_IbLb0EEEEDaS1H_S1I_EUlS1H_E_NS1_11comp_targetILNS1_3genE4ELNS1_11target_archE910ELNS1_3gpuE8ELNS1_3repE0EEENS1_30default_config_static_selectorELNS0_4arch9wavefront6targetE0EEEvSV_,comdat
	.globl	_ZN7rocprim17ROCPRIM_400000_NS6detail17trampoline_kernelINS0_13select_configILj256ELj13ELNS0_17block_load_methodE3ELS4_3ELS4_3ELNS0_20block_scan_algorithmE0ELj4294967295EEENS1_25partition_config_selectorILNS1_17partition_subalgoE3EjNS0_10empty_typeEbEEZZNS1_14partition_implILS8_3ELb0ES6_jNS0_17counting_iteratorIjlEEPS9_SE_NS0_5tupleIJPjSE_EEENSF_IJSE_SE_EEES9_SG_JZNS1_25segmented_radix_sort_implINS0_14default_configELb1EPKlPlSM_SN_N2at6native12_GLOBAL__N_18offset_tEEE10hipError_tPvRmT1_PNSt15iterator_traitsISV_E10value_typeET2_T3_PNSW_IS11_E10value_typeET4_jRbjT5_S17_jjP12ihipStream_tbEUljE_EEESS_ST_SU_S11_S15_S17_T6_T7_T9_mT8_S19_bDpT10_ENKUlT_T0_E_clISt17integral_constantIbLb1EES1L_IbLb0EEEEDaS1H_S1I_EUlS1H_E_NS1_11comp_targetILNS1_3genE4ELNS1_11target_archE910ELNS1_3gpuE8ELNS1_3repE0EEENS1_30default_config_static_selectorELNS0_4arch9wavefront6targetE0EEEvSV_ ; -- Begin function _ZN7rocprim17ROCPRIM_400000_NS6detail17trampoline_kernelINS0_13select_configILj256ELj13ELNS0_17block_load_methodE3ELS4_3ELS4_3ELNS0_20block_scan_algorithmE0ELj4294967295EEENS1_25partition_config_selectorILNS1_17partition_subalgoE3EjNS0_10empty_typeEbEEZZNS1_14partition_implILS8_3ELb0ES6_jNS0_17counting_iteratorIjlEEPS9_SE_NS0_5tupleIJPjSE_EEENSF_IJSE_SE_EEES9_SG_JZNS1_25segmented_radix_sort_implINS0_14default_configELb1EPKlPlSM_SN_N2at6native12_GLOBAL__N_18offset_tEEE10hipError_tPvRmT1_PNSt15iterator_traitsISV_E10value_typeET2_T3_PNSW_IS11_E10value_typeET4_jRbjT5_S17_jjP12ihipStream_tbEUljE_EEESS_ST_SU_S11_S15_S17_T6_T7_T9_mT8_S19_bDpT10_ENKUlT_T0_E_clISt17integral_constantIbLb1EES1L_IbLb0EEEEDaS1H_S1I_EUlS1H_E_NS1_11comp_targetILNS1_3genE4ELNS1_11target_archE910ELNS1_3gpuE8ELNS1_3repE0EEENS1_30default_config_static_selectorELNS0_4arch9wavefront6targetE0EEEvSV_
	.p2align	8
	.type	_ZN7rocprim17ROCPRIM_400000_NS6detail17trampoline_kernelINS0_13select_configILj256ELj13ELNS0_17block_load_methodE3ELS4_3ELS4_3ELNS0_20block_scan_algorithmE0ELj4294967295EEENS1_25partition_config_selectorILNS1_17partition_subalgoE3EjNS0_10empty_typeEbEEZZNS1_14partition_implILS8_3ELb0ES6_jNS0_17counting_iteratorIjlEEPS9_SE_NS0_5tupleIJPjSE_EEENSF_IJSE_SE_EEES9_SG_JZNS1_25segmented_radix_sort_implINS0_14default_configELb1EPKlPlSM_SN_N2at6native12_GLOBAL__N_18offset_tEEE10hipError_tPvRmT1_PNSt15iterator_traitsISV_E10value_typeET2_T3_PNSW_IS11_E10value_typeET4_jRbjT5_S17_jjP12ihipStream_tbEUljE_EEESS_ST_SU_S11_S15_S17_T6_T7_T9_mT8_S19_bDpT10_ENKUlT_T0_E_clISt17integral_constantIbLb1EES1L_IbLb0EEEEDaS1H_S1I_EUlS1H_E_NS1_11comp_targetILNS1_3genE4ELNS1_11target_archE910ELNS1_3gpuE8ELNS1_3repE0EEENS1_30default_config_static_selectorELNS0_4arch9wavefront6targetE0EEEvSV_,@function
_ZN7rocprim17ROCPRIM_400000_NS6detail17trampoline_kernelINS0_13select_configILj256ELj13ELNS0_17block_load_methodE3ELS4_3ELS4_3ELNS0_20block_scan_algorithmE0ELj4294967295EEENS1_25partition_config_selectorILNS1_17partition_subalgoE3EjNS0_10empty_typeEbEEZZNS1_14partition_implILS8_3ELb0ES6_jNS0_17counting_iteratorIjlEEPS9_SE_NS0_5tupleIJPjSE_EEENSF_IJSE_SE_EEES9_SG_JZNS1_25segmented_radix_sort_implINS0_14default_configELb1EPKlPlSM_SN_N2at6native12_GLOBAL__N_18offset_tEEE10hipError_tPvRmT1_PNSt15iterator_traitsISV_E10value_typeET2_T3_PNSW_IS11_E10value_typeET4_jRbjT5_S17_jjP12ihipStream_tbEUljE_EEESS_ST_SU_S11_S15_S17_T6_T7_T9_mT8_S19_bDpT10_ENKUlT_T0_E_clISt17integral_constantIbLb1EES1L_IbLb0EEEEDaS1H_S1I_EUlS1H_E_NS1_11comp_targetILNS1_3genE4ELNS1_11target_archE910ELNS1_3gpuE8ELNS1_3repE0EEENS1_30default_config_static_selectorELNS0_4arch9wavefront6targetE0EEEvSV_: ; @_ZN7rocprim17ROCPRIM_400000_NS6detail17trampoline_kernelINS0_13select_configILj256ELj13ELNS0_17block_load_methodE3ELS4_3ELS4_3ELNS0_20block_scan_algorithmE0ELj4294967295EEENS1_25partition_config_selectorILNS1_17partition_subalgoE3EjNS0_10empty_typeEbEEZZNS1_14partition_implILS8_3ELb0ES6_jNS0_17counting_iteratorIjlEEPS9_SE_NS0_5tupleIJPjSE_EEENSF_IJSE_SE_EEES9_SG_JZNS1_25segmented_radix_sort_implINS0_14default_configELb1EPKlPlSM_SN_N2at6native12_GLOBAL__N_18offset_tEEE10hipError_tPvRmT1_PNSt15iterator_traitsISV_E10value_typeET2_T3_PNSW_IS11_E10value_typeET4_jRbjT5_S17_jjP12ihipStream_tbEUljE_EEESS_ST_SU_S11_S15_S17_T6_T7_T9_mT8_S19_bDpT10_ENKUlT_T0_E_clISt17integral_constantIbLb1EES1L_IbLb0EEEEDaS1H_S1I_EUlS1H_E_NS1_11comp_targetILNS1_3genE4ELNS1_11target_archE910ELNS1_3gpuE8ELNS1_3repE0EEENS1_30default_config_static_selectorELNS0_4arch9wavefront6targetE0EEEvSV_
; %bb.0:
	.section	.rodata,"a",@progbits
	.p2align	6, 0x0
	.amdhsa_kernel _ZN7rocprim17ROCPRIM_400000_NS6detail17trampoline_kernelINS0_13select_configILj256ELj13ELNS0_17block_load_methodE3ELS4_3ELS4_3ELNS0_20block_scan_algorithmE0ELj4294967295EEENS1_25partition_config_selectorILNS1_17partition_subalgoE3EjNS0_10empty_typeEbEEZZNS1_14partition_implILS8_3ELb0ES6_jNS0_17counting_iteratorIjlEEPS9_SE_NS0_5tupleIJPjSE_EEENSF_IJSE_SE_EEES9_SG_JZNS1_25segmented_radix_sort_implINS0_14default_configELb1EPKlPlSM_SN_N2at6native12_GLOBAL__N_18offset_tEEE10hipError_tPvRmT1_PNSt15iterator_traitsISV_E10value_typeET2_T3_PNSW_IS11_E10value_typeET4_jRbjT5_S17_jjP12ihipStream_tbEUljE_EEESS_ST_SU_S11_S15_S17_T6_T7_T9_mT8_S19_bDpT10_ENKUlT_T0_E_clISt17integral_constantIbLb1EES1L_IbLb0EEEEDaS1H_S1I_EUlS1H_E_NS1_11comp_targetILNS1_3genE4ELNS1_11target_archE910ELNS1_3gpuE8ELNS1_3repE0EEENS1_30default_config_static_selectorELNS0_4arch9wavefront6targetE0EEEvSV_
		.amdhsa_group_segment_fixed_size 0
		.amdhsa_private_segment_fixed_size 0
		.amdhsa_kernarg_size 144
		.amdhsa_user_sgpr_count 6
		.amdhsa_user_sgpr_private_segment_buffer 1
		.amdhsa_user_sgpr_dispatch_ptr 0
		.amdhsa_user_sgpr_queue_ptr 0
		.amdhsa_user_sgpr_kernarg_segment_ptr 1
		.amdhsa_user_sgpr_dispatch_id 0
		.amdhsa_user_sgpr_flat_scratch_init 0
		.amdhsa_user_sgpr_private_segment_size 0
		.amdhsa_wavefront_size32 1
		.amdhsa_uses_dynamic_stack 0
		.amdhsa_system_sgpr_private_segment_wavefront_offset 0
		.amdhsa_system_sgpr_workgroup_id_x 1
		.amdhsa_system_sgpr_workgroup_id_y 0
		.amdhsa_system_sgpr_workgroup_id_z 0
		.amdhsa_system_sgpr_workgroup_info 0
		.amdhsa_system_vgpr_workitem_id 0
		.amdhsa_next_free_vgpr 1
		.amdhsa_next_free_sgpr 1
		.amdhsa_reserve_vcc 0
		.amdhsa_reserve_flat_scratch 0
		.amdhsa_float_round_mode_32 0
		.amdhsa_float_round_mode_16_64 0
		.amdhsa_float_denorm_mode_32 3
		.amdhsa_float_denorm_mode_16_64 3
		.amdhsa_dx10_clamp 1
		.amdhsa_ieee_mode 1
		.amdhsa_fp16_overflow 0
		.amdhsa_workgroup_processor_mode 1
		.amdhsa_memory_ordered 1
		.amdhsa_forward_progress 1
		.amdhsa_shared_vgpr_count 0
		.amdhsa_exception_fp_ieee_invalid_op 0
		.amdhsa_exception_fp_denorm_src 0
		.amdhsa_exception_fp_ieee_div_zero 0
		.amdhsa_exception_fp_ieee_overflow 0
		.amdhsa_exception_fp_ieee_underflow 0
		.amdhsa_exception_fp_ieee_inexact 0
		.amdhsa_exception_int_div_zero 0
	.end_amdhsa_kernel
	.section	.text._ZN7rocprim17ROCPRIM_400000_NS6detail17trampoline_kernelINS0_13select_configILj256ELj13ELNS0_17block_load_methodE3ELS4_3ELS4_3ELNS0_20block_scan_algorithmE0ELj4294967295EEENS1_25partition_config_selectorILNS1_17partition_subalgoE3EjNS0_10empty_typeEbEEZZNS1_14partition_implILS8_3ELb0ES6_jNS0_17counting_iteratorIjlEEPS9_SE_NS0_5tupleIJPjSE_EEENSF_IJSE_SE_EEES9_SG_JZNS1_25segmented_radix_sort_implINS0_14default_configELb1EPKlPlSM_SN_N2at6native12_GLOBAL__N_18offset_tEEE10hipError_tPvRmT1_PNSt15iterator_traitsISV_E10value_typeET2_T3_PNSW_IS11_E10value_typeET4_jRbjT5_S17_jjP12ihipStream_tbEUljE_EEESS_ST_SU_S11_S15_S17_T6_T7_T9_mT8_S19_bDpT10_ENKUlT_T0_E_clISt17integral_constantIbLb1EES1L_IbLb0EEEEDaS1H_S1I_EUlS1H_E_NS1_11comp_targetILNS1_3genE4ELNS1_11target_archE910ELNS1_3gpuE8ELNS1_3repE0EEENS1_30default_config_static_selectorELNS0_4arch9wavefront6targetE0EEEvSV_,"axG",@progbits,_ZN7rocprim17ROCPRIM_400000_NS6detail17trampoline_kernelINS0_13select_configILj256ELj13ELNS0_17block_load_methodE3ELS4_3ELS4_3ELNS0_20block_scan_algorithmE0ELj4294967295EEENS1_25partition_config_selectorILNS1_17partition_subalgoE3EjNS0_10empty_typeEbEEZZNS1_14partition_implILS8_3ELb0ES6_jNS0_17counting_iteratorIjlEEPS9_SE_NS0_5tupleIJPjSE_EEENSF_IJSE_SE_EEES9_SG_JZNS1_25segmented_radix_sort_implINS0_14default_configELb1EPKlPlSM_SN_N2at6native12_GLOBAL__N_18offset_tEEE10hipError_tPvRmT1_PNSt15iterator_traitsISV_E10value_typeET2_T3_PNSW_IS11_E10value_typeET4_jRbjT5_S17_jjP12ihipStream_tbEUljE_EEESS_ST_SU_S11_S15_S17_T6_T7_T9_mT8_S19_bDpT10_ENKUlT_T0_E_clISt17integral_constantIbLb1EES1L_IbLb0EEEEDaS1H_S1I_EUlS1H_E_NS1_11comp_targetILNS1_3genE4ELNS1_11target_archE910ELNS1_3gpuE8ELNS1_3repE0EEENS1_30default_config_static_selectorELNS0_4arch9wavefront6targetE0EEEvSV_,comdat
.Lfunc_end684:
	.size	_ZN7rocprim17ROCPRIM_400000_NS6detail17trampoline_kernelINS0_13select_configILj256ELj13ELNS0_17block_load_methodE3ELS4_3ELS4_3ELNS0_20block_scan_algorithmE0ELj4294967295EEENS1_25partition_config_selectorILNS1_17partition_subalgoE3EjNS0_10empty_typeEbEEZZNS1_14partition_implILS8_3ELb0ES6_jNS0_17counting_iteratorIjlEEPS9_SE_NS0_5tupleIJPjSE_EEENSF_IJSE_SE_EEES9_SG_JZNS1_25segmented_radix_sort_implINS0_14default_configELb1EPKlPlSM_SN_N2at6native12_GLOBAL__N_18offset_tEEE10hipError_tPvRmT1_PNSt15iterator_traitsISV_E10value_typeET2_T3_PNSW_IS11_E10value_typeET4_jRbjT5_S17_jjP12ihipStream_tbEUljE_EEESS_ST_SU_S11_S15_S17_T6_T7_T9_mT8_S19_bDpT10_ENKUlT_T0_E_clISt17integral_constantIbLb1EES1L_IbLb0EEEEDaS1H_S1I_EUlS1H_E_NS1_11comp_targetILNS1_3genE4ELNS1_11target_archE910ELNS1_3gpuE8ELNS1_3repE0EEENS1_30default_config_static_selectorELNS0_4arch9wavefront6targetE0EEEvSV_, .Lfunc_end684-_ZN7rocprim17ROCPRIM_400000_NS6detail17trampoline_kernelINS0_13select_configILj256ELj13ELNS0_17block_load_methodE3ELS4_3ELS4_3ELNS0_20block_scan_algorithmE0ELj4294967295EEENS1_25partition_config_selectorILNS1_17partition_subalgoE3EjNS0_10empty_typeEbEEZZNS1_14partition_implILS8_3ELb0ES6_jNS0_17counting_iteratorIjlEEPS9_SE_NS0_5tupleIJPjSE_EEENSF_IJSE_SE_EEES9_SG_JZNS1_25segmented_radix_sort_implINS0_14default_configELb1EPKlPlSM_SN_N2at6native12_GLOBAL__N_18offset_tEEE10hipError_tPvRmT1_PNSt15iterator_traitsISV_E10value_typeET2_T3_PNSW_IS11_E10value_typeET4_jRbjT5_S17_jjP12ihipStream_tbEUljE_EEESS_ST_SU_S11_S15_S17_T6_T7_T9_mT8_S19_bDpT10_ENKUlT_T0_E_clISt17integral_constantIbLb1EES1L_IbLb0EEEEDaS1H_S1I_EUlS1H_E_NS1_11comp_targetILNS1_3genE4ELNS1_11target_archE910ELNS1_3gpuE8ELNS1_3repE0EEENS1_30default_config_static_selectorELNS0_4arch9wavefront6targetE0EEEvSV_
                                        ; -- End function
	.set _ZN7rocprim17ROCPRIM_400000_NS6detail17trampoline_kernelINS0_13select_configILj256ELj13ELNS0_17block_load_methodE3ELS4_3ELS4_3ELNS0_20block_scan_algorithmE0ELj4294967295EEENS1_25partition_config_selectorILNS1_17partition_subalgoE3EjNS0_10empty_typeEbEEZZNS1_14partition_implILS8_3ELb0ES6_jNS0_17counting_iteratorIjlEEPS9_SE_NS0_5tupleIJPjSE_EEENSF_IJSE_SE_EEES9_SG_JZNS1_25segmented_radix_sort_implINS0_14default_configELb1EPKlPlSM_SN_N2at6native12_GLOBAL__N_18offset_tEEE10hipError_tPvRmT1_PNSt15iterator_traitsISV_E10value_typeET2_T3_PNSW_IS11_E10value_typeET4_jRbjT5_S17_jjP12ihipStream_tbEUljE_EEESS_ST_SU_S11_S15_S17_T6_T7_T9_mT8_S19_bDpT10_ENKUlT_T0_E_clISt17integral_constantIbLb1EES1L_IbLb0EEEEDaS1H_S1I_EUlS1H_E_NS1_11comp_targetILNS1_3genE4ELNS1_11target_archE910ELNS1_3gpuE8ELNS1_3repE0EEENS1_30default_config_static_selectorELNS0_4arch9wavefront6targetE0EEEvSV_.num_vgpr, 0
	.set _ZN7rocprim17ROCPRIM_400000_NS6detail17trampoline_kernelINS0_13select_configILj256ELj13ELNS0_17block_load_methodE3ELS4_3ELS4_3ELNS0_20block_scan_algorithmE0ELj4294967295EEENS1_25partition_config_selectorILNS1_17partition_subalgoE3EjNS0_10empty_typeEbEEZZNS1_14partition_implILS8_3ELb0ES6_jNS0_17counting_iteratorIjlEEPS9_SE_NS0_5tupleIJPjSE_EEENSF_IJSE_SE_EEES9_SG_JZNS1_25segmented_radix_sort_implINS0_14default_configELb1EPKlPlSM_SN_N2at6native12_GLOBAL__N_18offset_tEEE10hipError_tPvRmT1_PNSt15iterator_traitsISV_E10value_typeET2_T3_PNSW_IS11_E10value_typeET4_jRbjT5_S17_jjP12ihipStream_tbEUljE_EEESS_ST_SU_S11_S15_S17_T6_T7_T9_mT8_S19_bDpT10_ENKUlT_T0_E_clISt17integral_constantIbLb1EES1L_IbLb0EEEEDaS1H_S1I_EUlS1H_E_NS1_11comp_targetILNS1_3genE4ELNS1_11target_archE910ELNS1_3gpuE8ELNS1_3repE0EEENS1_30default_config_static_selectorELNS0_4arch9wavefront6targetE0EEEvSV_.num_agpr, 0
	.set _ZN7rocprim17ROCPRIM_400000_NS6detail17trampoline_kernelINS0_13select_configILj256ELj13ELNS0_17block_load_methodE3ELS4_3ELS4_3ELNS0_20block_scan_algorithmE0ELj4294967295EEENS1_25partition_config_selectorILNS1_17partition_subalgoE3EjNS0_10empty_typeEbEEZZNS1_14partition_implILS8_3ELb0ES6_jNS0_17counting_iteratorIjlEEPS9_SE_NS0_5tupleIJPjSE_EEENSF_IJSE_SE_EEES9_SG_JZNS1_25segmented_radix_sort_implINS0_14default_configELb1EPKlPlSM_SN_N2at6native12_GLOBAL__N_18offset_tEEE10hipError_tPvRmT1_PNSt15iterator_traitsISV_E10value_typeET2_T3_PNSW_IS11_E10value_typeET4_jRbjT5_S17_jjP12ihipStream_tbEUljE_EEESS_ST_SU_S11_S15_S17_T6_T7_T9_mT8_S19_bDpT10_ENKUlT_T0_E_clISt17integral_constantIbLb1EES1L_IbLb0EEEEDaS1H_S1I_EUlS1H_E_NS1_11comp_targetILNS1_3genE4ELNS1_11target_archE910ELNS1_3gpuE8ELNS1_3repE0EEENS1_30default_config_static_selectorELNS0_4arch9wavefront6targetE0EEEvSV_.numbered_sgpr, 0
	.set _ZN7rocprim17ROCPRIM_400000_NS6detail17trampoline_kernelINS0_13select_configILj256ELj13ELNS0_17block_load_methodE3ELS4_3ELS4_3ELNS0_20block_scan_algorithmE0ELj4294967295EEENS1_25partition_config_selectorILNS1_17partition_subalgoE3EjNS0_10empty_typeEbEEZZNS1_14partition_implILS8_3ELb0ES6_jNS0_17counting_iteratorIjlEEPS9_SE_NS0_5tupleIJPjSE_EEENSF_IJSE_SE_EEES9_SG_JZNS1_25segmented_radix_sort_implINS0_14default_configELb1EPKlPlSM_SN_N2at6native12_GLOBAL__N_18offset_tEEE10hipError_tPvRmT1_PNSt15iterator_traitsISV_E10value_typeET2_T3_PNSW_IS11_E10value_typeET4_jRbjT5_S17_jjP12ihipStream_tbEUljE_EEESS_ST_SU_S11_S15_S17_T6_T7_T9_mT8_S19_bDpT10_ENKUlT_T0_E_clISt17integral_constantIbLb1EES1L_IbLb0EEEEDaS1H_S1I_EUlS1H_E_NS1_11comp_targetILNS1_3genE4ELNS1_11target_archE910ELNS1_3gpuE8ELNS1_3repE0EEENS1_30default_config_static_selectorELNS0_4arch9wavefront6targetE0EEEvSV_.num_named_barrier, 0
	.set _ZN7rocprim17ROCPRIM_400000_NS6detail17trampoline_kernelINS0_13select_configILj256ELj13ELNS0_17block_load_methodE3ELS4_3ELS4_3ELNS0_20block_scan_algorithmE0ELj4294967295EEENS1_25partition_config_selectorILNS1_17partition_subalgoE3EjNS0_10empty_typeEbEEZZNS1_14partition_implILS8_3ELb0ES6_jNS0_17counting_iteratorIjlEEPS9_SE_NS0_5tupleIJPjSE_EEENSF_IJSE_SE_EEES9_SG_JZNS1_25segmented_radix_sort_implINS0_14default_configELb1EPKlPlSM_SN_N2at6native12_GLOBAL__N_18offset_tEEE10hipError_tPvRmT1_PNSt15iterator_traitsISV_E10value_typeET2_T3_PNSW_IS11_E10value_typeET4_jRbjT5_S17_jjP12ihipStream_tbEUljE_EEESS_ST_SU_S11_S15_S17_T6_T7_T9_mT8_S19_bDpT10_ENKUlT_T0_E_clISt17integral_constantIbLb1EES1L_IbLb0EEEEDaS1H_S1I_EUlS1H_E_NS1_11comp_targetILNS1_3genE4ELNS1_11target_archE910ELNS1_3gpuE8ELNS1_3repE0EEENS1_30default_config_static_selectorELNS0_4arch9wavefront6targetE0EEEvSV_.private_seg_size, 0
	.set _ZN7rocprim17ROCPRIM_400000_NS6detail17trampoline_kernelINS0_13select_configILj256ELj13ELNS0_17block_load_methodE3ELS4_3ELS4_3ELNS0_20block_scan_algorithmE0ELj4294967295EEENS1_25partition_config_selectorILNS1_17partition_subalgoE3EjNS0_10empty_typeEbEEZZNS1_14partition_implILS8_3ELb0ES6_jNS0_17counting_iteratorIjlEEPS9_SE_NS0_5tupleIJPjSE_EEENSF_IJSE_SE_EEES9_SG_JZNS1_25segmented_radix_sort_implINS0_14default_configELb1EPKlPlSM_SN_N2at6native12_GLOBAL__N_18offset_tEEE10hipError_tPvRmT1_PNSt15iterator_traitsISV_E10value_typeET2_T3_PNSW_IS11_E10value_typeET4_jRbjT5_S17_jjP12ihipStream_tbEUljE_EEESS_ST_SU_S11_S15_S17_T6_T7_T9_mT8_S19_bDpT10_ENKUlT_T0_E_clISt17integral_constantIbLb1EES1L_IbLb0EEEEDaS1H_S1I_EUlS1H_E_NS1_11comp_targetILNS1_3genE4ELNS1_11target_archE910ELNS1_3gpuE8ELNS1_3repE0EEENS1_30default_config_static_selectorELNS0_4arch9wavefront6targetE0EEEvSV_.uses_vcc, 0
	.set _ZN7rocprim17ROCPRIM_400000_NS6detail17trampoline_kernelINS0_13select_configILj256ELj13ELNS0_17block_load_methodE3ELS4_3ELS4_3ELNS0_20block_scan_algorithmE0ELj4294967295EEENS1_25partition_config_selectorILNS1_17partition_subalgoE3EjNS0_10empty_typeEbEEZZNS1_14partition_implILS8_3ELb0ES6_jNS0_17counting_iteratorIjlEEPS9_SE_NS0_5tupleIJPjSE_EEENSF_IJSE_SE_EEES9_SG_JZNS1_25segmented_radix_sort_implINS0_14default_configELb1EPKlPlSM_SN_N2at6native12_GLOBAL__N_18offset_tEEE10hipError_tPvRmT1_PNSt15iterator_traitsISV_E10value_typeET2_T3_PNSW_IS11_E10value_typeET4_jRbjT5_S17_jjP12ihipStream_tbEUljE_EEESS_ST_SU_S11_S15_S17_T6_T7_T9_mT8_S19_bDpT10_ENKUlT_T0_E_clISt17integral_constantIbLb1EES1L_IbLb0EEEEDaS1H_S1I_EUlS1H_E_NS1_11comp_targetILNS1_3genE4ELNS1_11target_archE910ELNS1_3gpuE8ELNS1_3repE0EEENS1_30default_config_static_selectorELNS0_4arch9wavefront6targetE0EEEvSV_.uses_flat_scratch, 0
	.set _ZN7rocprim17ROCPRIM_400000_NS6detail17trampoline_kernelINS0_13select_configILj256ELj13ELNS0_17block_load_methodE3ELS4_3ELS4_3ELNS0_20block_scan_algorithmE0ELj4294967295EEENS1_25partition_config_selectorILNS1_17partition_subalgoE3EjNS0_10empty_typeEbEEZZNS1_14partition_implILS8_3ELb0ES6_jNS0_17counting_iteratorIjlEEPS9_SE_NS0_5tupleIJPjSE_EEENSF_IJSE_SE_EEES9_SG_JZNS1_25segmented_radix_sort_implINS0_14default_configELb1EPKlPlSM_SN_N2at6native12_GLOBAL__N_18offset_tEEE10hipError_tPvRmT1_PNSt15iterator_traitsISV_E10value_typeET2_T3_PNSW_IS11_E10value_typeET4_jRbjT5_S17_jjP12ihipStream_tbEUljE_EEESS_ST_SU_S11_S15_S17_T6_T7_T9_mT8_S19_bDpT10_ENKUlT_T0_E_clISt17integral_constantIbLb1EES1L_IbLb0EEEEDaS1H_S1I_EUlS1H_E_NS1_11comp_targetILNS1_3genE4ELNS1_11target_archE910ELNS1_3gpuE8ELNS1_3repE0EEENS1_30default_config_static_selectorELNS0_4arch9wavefront6targetE0EEEvSV_.has_dyn_sized_stack, 0
	.set _ZN7rocprim17ROCPRIM_400000_NS6detail17trampoline_kernelINS0_13select_configILj256ELj13ELNS0_17block_load_methodE3ELS4_3ELS4_3ELNS0_20block_scan_algorithmE0ELj4294967295EEENS1_25partition_config_selectorILNS1_17partition_subalgoE3EjNS0_10empty_typeEbEEZZNS1_14partition_implILS8_3ELb0ES6_jNS0_17counting_iteratorIjlEEPS9_SE_NS0_5tupleIJPjSE_EEENSF_IJSE_SE_EEES9_SG_JZNS1_25segmented_radix_sort_implINS0_14default_configELb1EPKlPlSM_SN_N2at6native12_GLOBAL__N_18offset_tEEE10hipError_tPvRmT1_PNSt15iterator_traitsISV_E10value_typeET2_T3_PNSW_IS11_E10value_typeET4_jRbjT5_S17_jjP12ihipStream_tbEUljE_EEESS_ST_SU_S11_S15_S17_T6_T7_T9_mT8_S19_bDpT10_ENKUlT_T0_E_clISt17integral_constantIbLb1EES1L_IbLb0EEEEDaS1H_S1I_EUlS1H_E_NS1_11comp_targetILNS1_3genE4ELNS1_11target_archE910ELNS1_3gpuE8ELNS1_3repE0EEENS1_30default_config_static_selectorELNS0_4arch9wavefront6targetE0EEEvSV_.has_recursion, 0
	.set _ZN7rocprim17ROCPRIM_400000_NS6detail17trampoline_kernelINS0_13select_configILj256ELj13ELNS0_17block_load_methodE3ELS4_3ELS4_3ELNS0_20block_scan_algorithmE0ELj4294967295EEENS1_25partition_config_selectorILNS1_17partition_subalgoE3EjNS0_10empty_typeEbEEZZNS1_14partition_implILS8_3ELb0ES6_jNS0_17counting_iteratorIjlEEPS9_SE_NS0_5tupleIJPjSE_EEENSF_IJSE_SE_EEES9_SG_JZNS1_25segmented_radix_sort_implINS0_14default_configELb1EPKlPlSM_SN_N2at6native12_GLOBAL__N_18offset_tEEE10hipError_tPvRmT1_PNSt15iterator_traitsISV_E10value_typeET2_T3_PNSW_IS11_E10value_typeET4_jRbjT5_S17_jjP12ihipStream_tbEUljE_EEESS_ST_SU_S11_S15_S17_T6_T7_T9_mT8_S19_bDpT10_ENKUlT_T0_E_clISt17integral_constantIbLb1EES1L_IbLb0EEEEDaS1H_S1I_EUlS1H_E_NS1_11comp_targetILNS1_3genE4ELNS1_11target_archE910ELNS1_3gpuE8ELNS1_3repE0EEENS1_30default_config_static_selectorELNS0_4arch9wavefront6targetE0EEEvSV_.has_indirect_call, 0
	.section	.AMDGPU.csdata,"",@progbits
; Kernel info:
; codeLenInByte = 0
; TotalNumSgprs: 0
; NumVgprs: 0
; ScratchSize: 0
; MemoryBound: 0
; FloatMode: 240
; IeeeMode: 1
; LDSByteSize: 0 bytes/workgroup (compile time only)
; SGPRBlocks: 0
; VGPRBlocks: 0
; NumSGPRsForWavesPerEU: 1
; NumVGPRsForWavesPerEU: 1
; Occupancy: 16
; WaveLimiterHint : 0
; COMPUTE_PGM_RSRC2:SCRATCH_EN: 0
; COMPUTE_PGM_RSRC2:USER_SGPR: 6
; COMPUTE_PGM_RSRC2:TRAP_HANDLER: 0
; COMPUTE_PGM_RSRC2:TGID_X_EN: 1
; COMPUTE_PGM_RSRC2:TGID_Y_EN: 0
; COMPUTE_PGM_RSRC2:TGID_Z_EN: 0
; COMPUTE_PGM_RSRC2:TIDIG_COMP_CNT: 0
	.section	.text._ZN7rocprim17ROCPRIM_400000_NS6detail17trampoline_kernelINS0_13select_configILj256ELj13ELNS0_17block_load_methodE3ELS4_3ELS4_3ELNS0_20block_scan_algorithmE0ELj4294967295EEENS1_25partition_config_selectorILNS1_17partition_subalgoE3EjNS0_10empty_typeEbEEZZNS1_14partition_implILS8_3ELb0ES6_jNS0_17counting_iteratorIjlEEPS9_SE_NS0_5tupleIJPjSE_EEENSF_IJSE_SE_EEES9_SG_JZNS1_25segmented_radix_sort_implINS0_14default_configELb1EPKlPlSM_SN_N2at6native12_GLOBAL__N_18offset_tEEE10hipError_tPvRmT1_PNSt15iterator_traitsISV_E10value_typeET2_T3_PNSW_IS11_E10value_typeET4_jRbjT5_S17_jjP12ihipStream_tbEUljE_EEESS_ST_SU_S11_S15_S17_T6_T7_T9_mT8_S19_bDpT10_ENKUlT_T0_E_clISt17integral_constantIbLb1EES1L_IbLb0EEEEDaS1H_S1I_EUlS1H_E_NS1_11comp_targetILNS1_3genE3ELNS1_11target_archE908ELNS1_3gpuE7ELNS1_3repE0EEENS1_30default_config_static_selectorELNS0_4arch9wavefront6targetE0EEEvSV_,"axG",@progbits,_ZN7rocprim17ROCPRIM_400000_NS6detail17trampoline_kernelINS0_13select_configILj256ELj13ELNS0_17block_load_methodE3ELS4_3ELS4_3ELNS0_20block_scan_algorithmE0ELj4294967295EEENS1_25partition_config_selectorILNS1_17partition_subalgoE3EjNS0_10empty_typeEbEEZZNS1_14partition_implILS8_3ELb0ES6_jNS0_17counting_iteratorIjlEEPS9_SE_NS0_5tupleIJPjSE_EEENSF_IJSE_SE_EEES9_SG_JZNS1_25segmented_radix_sort_implINS0_14default_configELb1EPKlPlSM_SN_N2at6native12_GLOBAL__N_18offset_tEEE10hipError_tPvRmT1_PNSt15iterator_traitsISV_E10value_typeET2_T3_PNSW_IS11_E10value_typeET4_jRbjT5_S17_jjP12ihipStream_tbEUljE_EEESS_ST_SU_S11_S15_S17_T6_T7_T9_mT8_S19_bDpT10_ENKUlT_T0_E_clISt17integral_constantIbLb1EES1L_IbLb0EEEEDaS1H_S1I_EUlS1H_E_NS1_11comp_targetILNS1_3genE3ELNS1_11target_archE908ELNS1_3gpuE7ELNS1_3repE0EEENS1_30default_config_static_selectorELNS0_4arch9wavefront6targetE0EEEvSV_,comdat
	.globl	_ZN7rocprim17ROCPRIM_400000_NS6detail17trampoline_kernelINS0_13select_configILj256ELj13ELNS0_17block_load_methodE3ELS4_3ELS4_3ELNS0_20block_scan_algorithmE0ELj4294967295EEENS1_25partition_config_selectorILNS1_17partition_subalgoE3EjNS0_10empty_typeEbEEZZNS1_14partition_implILS8_3ELb0ES6_jNS0_17counting_iteratorIjlEEPS9_SE_NS0_5tupleIJPjSE_EEENSF_IJSE_SE_EEES9_SG_JZNS1_25segmented_radix_sort_implINS0_14default_configELb1EPKlPlSM_SN_N2at6native12_GLOBAL__N_18offset_tEEE10hipError_tPvRmT1_PNSt15iterator_traitsISV_E10value_typeET2_T3_PNSW_IS11_E10value_typeET4_jRbjT5_S17_jjP12ihipStream_tbEUljE_EEESS_ST_SU_S11_S15_S17_T6_T7_T9_mT8_S19_bDpT10_ENKUlT_T0_E_clISt17integral_constantIbLb1EES1L_IbLb0EEEEDaS1H_S1I_EUlS1H_E_NS1_11comp_targetILNS1_3genE3ELNS1_11target_archE908ELNS1_3gpuE7ELNS1_3repE0EEENS1_30default_config_static_selectorELNS0_4arch9wavefront6targetE0EEEvSV_ ; -- Begin function _ZN7rocprim17ROCPRIM_400000_NS6detail17trampoline_kernelINS0_13select_configILj256ELj13ELNS0_17block_load_methodE3ELS4_3ELS4_3ELNS0_20block_scan_algorithmE0ELj4294967295EEENS1_25partition_config_selectorILNS1_17partition_subalgoE3EjNS0_10empty_typeEbEEZZNS1_14partition_implILS8_3ELb0ES6_jNS0_17counting_iteratorIjlEEPS9_SE_NS0_5tupleIJPjSE_EEENSF_IJSE_SE_EEES9_SG_JZNS1_25segmented_radix_sort_implINS0_14default_configELb1EPKlPlSM_SN_N2at6native12_GLOBAL__N_18offset_tEEE10hipError_tPvRmT1_PNSt15iterator_traitsISV_E10value_typeET2_T3_PNSW_IS11_E10value_typeET4_jRbjT5_S17_jjP12ihipStream_tbEUljE_EEESS_ST_SU_S11_S15_S17_T6_T7_T9_mT8_S19_bDpT10_ENKUlT_T0_E_clISt17integral_constantIbLb1EES1L_IbLb0EEEEDaS1H_S1I_EUlS1H_E_NS1_11comp_targetILNS1_3genE3ELNS1_11target_archE908ELNS1_3gpuE7ELNS1_3repE0EEENS1_30default_config_static_selectorELNS0_4arch9wavefront6targetE0EEEvSV_
	.p2align	8
	.type	_ZN7rocprim17ROCPRIM_400000_NS6detail17trampoline_kernelINS0_13select_configILj256ELj13ELNS0_17block_load_methodE3ELS4_3ELS4_3ELNS0_20block_scan_algorithmE0ELj4294967295EEENS1_25partition_config_selectorILNS1_17partition_subalgoE3EjNS0_10empty_typeEbEEZZNS1_14partition_implILS8_3ELb0ES6_jNS0_17counting_iteratorIjlEEPS9_SE_NS0_5tupleIJPjSE_EEENSF_IJSE_SE_EEES9_SG_JZNS1_25segmented_radix_sort_implINS0_14default_configELb1EPKlPlSM_SN_N2at6native12_GLOBAL__N_18offset_tEEE10hipError_tPvRmT1_PNSt15iterator_traitsISV_E10value_typeET2_T3_PNSW_IS11_E10value_typeET4_jRbjT5_S17_jjP12ihipStream_tbEUljE_EEESS_ST_SU_S11_S15_S17_T6_T7_T9_mT8_S19_bDpT10_ENKUlT_T0_E_clISt17integral_constantIbLb1EES1L_IbLb0EEEEDaS1H_S1I_EUlS1H_E_NS1_11comp_targetILNS1_3genE3ELNS1_11target_archE908ELNS1_3gpuE7ELNS1_3repE0EEENS1_30default_config_static_selectorELNS0_4arch9wavefront6targetE0EEEvSV_,@function
_ZN7rocprim17ROCPRIM_400000_NS6detail17trampoline_kernelINS0_13select_configILj256ELj13ELNS0_17block_load_methodE3ELS4_3ELS4_3ELNS0_20block_scan_algorithmE0ELj4294967295EEENS1_25partition_config_selectorILNS1_17partition_subalgoE3EjNS0_10empty_typeEbEEZZNS1_14partition_implILS8_3ELb0ES6_jNS0_17counting_iteratorIjlEEPS9_SE_NS0_5tupleIJPjSE_EEENSF_IJSE_SE_EEES9_SG_JZNS1_25segmented_radix_sort_implINS0_14default_configELb1EPKlPlSM_SN_N2at6native12_GLOBAL__N_18offset_tEEE10hipError_tPvRmT1_PNSt15iterator_traitsISV_E10value_typeET2_T3_PNSW_IS11_E10value_typeET4_jRbjT5_S17_jjP12ihipStream_tbEUljE_EEESS_ST_SU_S11_S15_S17_T6_T7_T9_mT8_S19_bDpT10_ENKUlT_T0_E_clISt17integral_constantIbLb1EES1L_IbLb0EEEEDaS1H_S1I_EUlS1H_E_NS1_11comp_targetILNS1_3genE3ELNS1_11target_archE908ELNS1_3gpuE7ELNS1_3repE0EEENS1_30default_config_static_selectorELNS0_4arch9wavefront6targetE0EEEvSV_: ; @_ZN7rocprim17ROCPRIM_400000_NS6detail17trampoline_kernelINS0_13select_configILj256ELj13ELNS0_17block_load_methodE3ELS4_3ELS4_3ELNS0_20block_scan_algorithmE0ELj4294967295EEENS1_25partition_config_selectorILNS1_17partition_subalgoE3EjNS0_10empty_typeEbEEZZNS1_14partition_implILS8_3ELb0ES6_jNS0_17counting_iteratorIjlEEPS9_SE_NS0_5tupleIJPjSE_EEENSF_IJSE_SE_EEES9_SG_JZNS1_25segmented_radix_sort_implINS0_14default_configELb1EPKlPlSM_SN_N2at6native12_GLOBAL__N_18offset_tEEE10hipError_tPvRmT1_PNSt15iterator_traitsISV_E10value_typeET2_T3_PNSW_IS11_E10value_typeET4_jRbjT5_S17_jjP12ihipStream_tbEUljE_EEESS_ST_SU_S11_S15_S17_T6_T7_T9_mT8_S19_bDpT10_ENKUlT_T0_E_clISt17integral_constantIbLb1EES1L_IbLb0EEEEDaS1H_S1I_EUlS1H_E_NS1_11comp_targetILNS1_3genE3ELNS1_11target_archE908ELNS1_3gpuE7ELNS1_3repE0EEENS1_30default_config_static_selectorELNS0_4arch9wavefront6targetE0EEEvSV_
; %bb.0:
	.section	.rodata,"a",@progbits
	.p2align	6, 0x0
	.amdhsa_kernel _ZN7rocprim17ROCPRIM_400000_NS6detail17trampoline_kernelINS0_13select_configILj256ELj13ELNS0_17block_load_methodE3ELS4_3ELS4_3ELNS0_20block_scan_algorithmE0ELj4294967295EEENS1_25partition_config_selectorILNS1_17partition_subalgoE3EjNS0_10empty_typeEbEEZZNS1_14partition_implILS8_3ELb0ES6_jNS0_17counting_iteratorIjlEEPS9_SE_NS0_5tupleIJPjSE_EEENSF_IJSE_SE_EEES9_SG_JZNS1_25segmented_radix_sort_implINS0_14default_configELb1EPKlPlSM_SN_N2at6native12_GLOBAL__N_18offset_tEEE10hipError_tPvRmT1_PNSt15iterator_traitsISV_E10value_typeET2_T3_PNSW_IS11_E10value_typeET4_jRbjT5_S17_jjP12ihipStream_tbEUljE_EEESS_ST_SU_S11_S15_S17_T6_T7_T9_mT8_S19_bDpT10_ENKUlT_T0_E_clISt17integral_constantIbLb1EES1L_IbLb0EEEEDaS1H_S1I_EUlS1H_E_NS1_11comp_targetILNS1_3genE3ELNS1_11target_archE908ELNS1_3gpuE7ELNS1_3repE0EEENS1_30default_config_static_selectorELNS0_4arch9wavefront6targetE0EEEvSV_
		.amdhsa_group_segment_fixed_size 0
		.amdhsa_private_segment_fixed_size 0
		.amdhsa_kernarg_size 144
		.amdhsa_user_sgpr_count 6
		.amdhsa_user_sgpr_private_segment_buffer 1
		.amdhsa_user_sgpr_dispatch_ptr 0
		.amdhsa_user_sgpr_queue_ptr 0
		.amdhsa_user_sgpr_kernarg_segment_ptr 1
		.amdhsa_user_sgpr_dispatch_id 0
		.amdhsa_user_sgpr_flat_scratch_init 0
		.amdhsa_user_sgpr_private_segment_size 0
		.amdhsa_wavefront_size32 1
		.amdhsa_uses_dynamic_stack 0
		.amdhsa_system_sgpr_private_segment_wavefront_offset 0
		.amdhsa_system_sgpr_workgroup_id_x 1
		.amdhsa_system_sgpr_workgroup_id_y 0
		.amdhsa_system_sgpr_workgroup_id_z 0
		.amdhsa_system_sgpr_workgroup_info 0
		.amdhsa_system_vgpr_workitem_id 0
		.amdhsa_next_free_vgpr 1
		.amdhsa_next_free_sgpr 1
		.amdhsa_reserve_vcc 0
		.amdhsa_reserve_flat_scratch 0
		.amdhsa_float_round_mode_32 0
		.amdhsa_float_round_mode_16_64 0
		.amdhsa_float_denorm_mode_32 3
		.amdhsa_float_denorm_mode_16_64 3
		.amdhsa_dx10_clamp 1
		.amdhsa_ieee_mode 1
		.amdhsa_fp16_overflow 0
		.amdhsa_workgroup_processor_mode 1
		.amdhsa_memory_ordered 1
		.amdhsa_forward_progress 1
		.amdhsa_shared_vgpr_count 0
		.amdhsa_exception_fp_ieee_invalid_op 0
		.amdhsa_exception_fp_denorm_src 0
		.amdhsa_exception_fp_ieee_div_zero 0
		.amdhsa_exception_fp_ieee_overflow 0
		.amdhsa_exception_fp_ieee_underflow 0
		.amdhsa_exception_fp_ieee_inexact 0
		.amdhsa_exception_int_div_zero 0
	.end_amdhsa_kernel
	.section	.text._ZN7rocprim17ROCPRIM_400000_NS6detail17trampoline_kernelINS0_13select_configILj256ELj13ELNS0_17block_load_methodE3ELS4_3ELS4_3ELNS0_20block_scan_algorithmE0ELj4294967295EEENS1_25partition_config_selectorILNS1_17partition_subalgoE3EjNS0_10empty_typeEbEEZZNS1_14partition_implILS8_3ELb0ES6_jNS0_17counting_iteratorIjlEEPS9_SE_NS0_5tupleIJPjSE_EEENSF_IJSE_SE_EEES9_SG_JZNS1_25segmented_radix_sort_implINS0_14default_configELb1EPKlPlSM_SN_N2at6native12_GLOBAL__N_18offset_tEEE10hipError_tPvRmT1_PNSt15iterator_traitsISV_E10value_typeET2_T3_PNSW_IS11_E10value_typeET4_jRbjT5_S17_jjP12ihipStream_tbEUljE_EEESS_ST_SU_S11_S15_S17_T6_T7_T9_mT8_S19_bDpT10_ENKUlT_T0_E_clISt17integral_constantIbLb1EES1L_IbLb0EEEEDaS1H_S1I_EUlS1H_E_NS1_11comp_targetILNS1_3genE3ELNS1_11target_archE908ELNS1_3gpuE7ELNS1_3repE0EEENS1_30default_config_static_selectorELNS0_4arch9wavefront6targetE0EEEvSV_,"axG",@progbits,_ZN7rocprim17ROCPRIM_400000_NS6detail17trampoline_kernelINS0_13select_configILj256ELj13ELNS0_17block_load_methodE3ELS4_3ELS4_3ELNS0_20block_scan_algorithmE0ELj4294967295EEENS1_25partition_config_selectorILNS1_17partition_subalgoE3EjNS0_10empty_typeEbEEZZNS1_14partition_implILS8_3ELb0ES6_jNS0_17counting_iteratorIjlEEPS9_SE_NS0_5tupleIJPjSE_EEENSF_IJSE_SE_EEES9_SG_JZNS1_25segmented_radix_sort_implINS0_14default_configELb1EPKlPlSM_SN_N2at6native12_GLOBAL__N_18offset_tEEE10hipError_tPvRmT1_PNSt15iterator_traitsISV_E10value_typeET2_T3_PNSW_IS11_E10value_typeET4_jRbjT5_S17_jjP12ihipStream_tbEUljE_EEESS_ST_SU_S11_S15_S17_T6_T7_T9_mT8_S19_bDpT10_ENKUlT_T0_E_clISt17integral_constantIbLb1EES1L_IbLb0EEEEDaS1H_S1I_EUlS1H_E_NS1_11comp_targetILNS1_3genE3ELNS1_11target_archE908ELNS1_3gpuE7ELNS1_3repE0EEENS1_30default_config_static_selectorELNS0_4arch9wavefront6targetE0EEEvSV_,comdat
.Lfunc_end685:
	.size	_ZN7rocprim17ROCPRIM_400000_NS6detail17trampoline_kernelINS0_13select_configILj256ELj13ELNS0_17block_load_methodE3ELS4_3ELS4_3ELNS0_20block_scan_algorithmE0ELj4294967295EEENS1_25partition_config_selectorILNS1_17partition_subalgoE3EjNS0_10empty_typeEbEEZZNS1_14partition_implILS8_3ELb0ES6_jNS0_17counting_iteratorIjlEEPS9_SE_NS0_5tupleIJPjSE_EEENSF_IJSE_SE_EEES9_SG_JZNS1_25segmented_radix_sort_implINS0_14default_configELb1EPKlPlSM_SN_N2at6native12_GLOBAL__N_18offset_tEEE10hipError_tPvRmT1_PNSt15iterator_traitsISV_E10value_typeET2_T3_PNSW_IS11_E10value_typeET4_jRbjT5_S17_jjP12ihipStream_tbEUljE_EEESS_ST_SU_S11_S15_S17_T6_T7_T9_mT8_S19_bDpT10_ENKUlT_T0_E_clISt17integral_constantIbLb1EES1L_IbLb0EEEEDaS1H_S1I_EUlS1H_E_NS1_11comp_targetILNS1_3genE3ELNS1_11target_archE908ELNS1_3gpuE7ELNS1_3repE0EEENS1_30default_config_static_selectorELNS0_4arch9wavefront6targetE0EEEvSV_, .Lfunc_end685-_ZN7rocprim17ROCPRIM_400000_NS6detail17trampoline_kernelINS0_13select_configILj256ELj13ELNS0_17block_load_methodE3ELS4_3ELS4_3ELNS0_20block_scan_algorithmE0ELj4294967295EEENS1_25partition_config_selectorILNS1_17partition_subalgoE3EjNS0_10empty_typeEbEEZZNS1_14partition_implILS8_3ELb0ES6_jNS0_17counting_iteratorIjlEEPS9_SE_NS0_5tupleIJPjSE_EEENSF_IJSE_SE_EEES9_SG_JZNS1_25segmented_radix_sort_implINS0_14default_configELb1EPKlPlSM_SN_N2at6native12_GLOBAL__N_18offset_tEEE10hipError_tPvRmT1_PNSt15iterator_traitsISV_E10value_typeET2_T3_PNSW_IS11_E10value_typeET4_jRbjT5_S17_jjP12ihipStream_tbEUljE_EEESS_ST_SU_S11_S15_S17_T6_T7_T9_mT8_S19_bDpT10_ENKUlT_T0_E_clISt17integral_constantIbLb1EES1L_IbLb0EEEEDaS1H_S1I_EUlS1H_E_NS1_11comp_targetILNS1_3genE3ELNS1_11target_archE908ELNS1_3gpuE7ELNS1_3repE0EEENS1_30default_config_static_selectorELNS0_4arch9wavefront6targetE0EEEvSV_
                                        ; -- End function
	.set _ZN7rocprim17ROCPRIM_400000_NS6detail17trampoline_kernelINS0_13select_configILj256ELj13ELNS0_17block_load_methodE3ELS4_3ELS4_3ELNS0_20block_scan_algorithmE0ELj4294967295EEENS1_25partition_config_selectorILNS1_17partition_subalgoE3EjNS0_10empty_typeEbEEZZNS1_14partition_implILS8_3ELb0ES6_jNS0_17counting_iteratorIjlEEPS9_SE_NS0_5tupleIJPjSE_EEENSF_IJSE_SE_EEES9_SG_JZNS1_25segmented_radix_sort_implINS0_14default_configELb1EPKlPlSM_SN_N2at6native12_GLOBAL__N_18offset_tEEE10hipError_tPvRmT1_PNSt15iterator_traitsISV_E10value_typeET2_T3_PNSW_IS11_E10value_typeET4_jRbjT5_S17_jjP12ihipStream_tbEUljE_EEESS_ST_SU_S11_S15_S17_T6_T7_T9_mT8_S19_bDpT10_ENKUlT_T0_E_clISt17integral_constantIbLb1EES1L_IbLb0EEEEDaS1H_S1I_EUlS1H_E_NS1_11comp_targetILNS1_3genE3ELNS1_11target_archE908ELNS1_3gpuE7ELNS1_3repE0EEENS1_30default_config_static_selectorELNS0_4arch9wavefront6targetE0EEEvSV_.num_vgpr, 0
	.set _ZN7rocprim17ROCPRIM_400000_NS6detail17trampoline_kernelINS0_13select_configILj256ELj13ELNS0_17block_load_methodE3ELS4_3ELS4_3ELNS0_20block_scan_algorithmE0ELj4294967295EEENS1_25partition_config_selectorILNS1_17partition_subalgoE3EjNS0_10empty_typeEbEEZZNS1_14partition_implILS8_3ELb0ES6_jNS0_17counting_iteratorIjlEEPS9_SE_NS0_5tupleIJPjSE_EEENSF_IJSE_SE_EEES9_SG_JZNS1_25segmented_radix_sort_implINS0_14default_configELb1EPKlPlSM_SN_N2at6native12_GLOBAL__N_18offset_tEEE10hipError_tPvRmT1_PNSt15iterator_traitsISV_E10value_typeET2_T3_PNSW_IS11_E10value_typeET4_jRbjT5_S17_jjP12ihipStream_tbEUljE_EEESS_ST_SU_S11_S15_S17_T6_T7_T9_mT8_S19_bDpT10_ENKUlT_T0_E_clISt17integral_constantIbLb1EES1L_IbLb0EEEEDaS1H_S1I_EUlS1H_E_NS1_11comp_targetILNS1_3genE3ELNS1_11target_archE908ELNS1_3gpuE7ELNS1_3repE0EEENS1_30default_config_static_selectorELNS0_4arch9wavefront6targetE0EEEvSV_.num_agpr, 0
	.set _ZN7rocprim17ROCPRIM_400000_NS6detail17trampoline_kernelINS0_13select_configILj256ELj13ELNS0_17block_load_methodE3ELS4_3ELS4_3ELNS0_20block_scan_algorithmE0ELj4294967295EEENS1_25partition_config_selectorILNS1_17partition_subalgoE3EjNS0_10empty_typeEbEEZZNS1_14partition_implILS8_3ELb0ES6_jNS0_17counting_iteratorIjlEEPS9_SE_NS0_5tupleIJPjSE_EEENSF_IJSE_SE_EEES9_SG_JZNS1_25segmented_radix_sort_implINS0_14default_configELb1EPKlPlSM_SN_N2at6native12_GLOBAL__N_18offset_tEEE10hipError_tPvRmT1_PNSt15iterator_traitsISV_E10value_typeET2_T3_PNSW_IS11_E10value_typeET4_jRbjT5_S17_jjP12ihipStream_tbEUljE_EEESS_ST_SU_S11_S15_S17_T6_T7_T9_mT8_S19_bDpT10_ENKUlT_T0_E_clISt17integral_constantIbLb1EES1L_IbLb0EEEEDaS1H_S1I_EUlS1H_E_NS1_11comp_targetILNS1_3genE3ELNS1_11target_archE908ELNS1_3gpuE7ELNS1_3repE0EEENS1_30default_config_static_selectorELNS0_4arch9wavefront6targetE0EEEvSV_.numbered_sgpr, 0
	.set _ZN7rocprim17ROCPRIM_400000_NS6detail17trampoline_kernelINS0_13select_configILj256ELj13ELNS0_17block_load_methodE3ELS4_3ELS4_3ELNS0_20block_scan_algorithmE0ELj4294967295EEENS1_25partition_config_selectorILNS1_17partition_subalgoE3EjNS0_10empty_typeEbEEZZNS1_14partition_implILS8_3ELb0ES6_jNS0_17counting_iteratorIjlEEPS9_SE_NS0_5tupleIJPjSE_EEENSF_IJSE_SE_EEES9_SG_JZNS1_25segmented_radix_sort_implINS0_14default_configELb1EPKlPlSM_SN_N2at6native12_GLOBAL__N_18offset_tEEE10hipError_tPvRmT1_PNSt15iterator_traitsISV_E10value_typeET2_T3_PNSW_IS11_E10value_typeET4_jRbjT5_S17_jjP12ihipStream_tbEUljE_EEESS_ST_SU_S11_S15_S17_T6_T7_T9_mT8_S19_bDpT10_ENKUlT_T0_E_clISt17integral_constantIbLb1EES1L_IbLb0EEEEDaS1H_S1I_EUlS1H_E_NS1_11comp_targetILNS1_3genE3ELNS1_11target_archE908ELNS1_3gpuE7ELNS1_3repE0EEENS1_30default_config_static_selectorELNS0_4arch9wavefront6targetE0EEEvSV_.num_named_barrier, 0
	.set _ZN7rocprim17ROCPRIM_400000_NS6detail17trampoline_kernelINS0_13select_configILj256ELj13ELNS0_17block_load_methodE3ELS4_3ELS4_3ELNS0_20block_scan_algorithmE0ELj4294967295EEENS1_25partition_config_selectorILNS1_17partition_subalgoE3EjNS0_10empty_typeEbEEZZNS1_14partition_implILS8_3ELb0ES6_jNS0_17counting_iteratorIjlEEPS9_SE_NS0_5tupleIJPjSE_EEENSF_IJSE_SE_EEES9_SG_JZNS1_25segmented_radix_sort_implINS0_14default_configELb1EPKlPlSM_SN_N2at6native12_GLOBAL__N_18offset_tEEE10hipError_tPvRmT1_PNSt15iterator_traitsISV_E10value_typeET2_T3_PNSW_IS11_E10value_typeET4_jRbjT5_S17_jjP12ihipStream_tbEUljE_EEESS_ST_SU_S11_S15_S17_T6_T7_T9_mT8_S19_bDpT10_ENKUlT_T0_E_clISt17integral_constantIbLb1EES1L_IbLb0EEEEDaS1H_S1I_EUlS1H_E_NS1_11comp_targetILNS1_3genE3ELNS1_11target_archE908ELNS1_3gpuE7ELNS1_3repE0EEENS1_30default_config_static_selectorELNS0_4arch9wavefront6targetE0EEEvSV_.private_seg_size, 0
	.set _ZN7rocprim17ROCPRIM_400000_NS6detail17trampoline_kernelINS0_13select_configILj256ELj13ELNS0_17block_load_methodE3ELS4_3ELS4_3ELNS0_20block_scan_algorithmE0ELj4294967295EEENS1_25partition_config_selectorILNS1_17partition_subalgoE3EjNS0_10empty_typeEbEEZZNS1_14partition_implILS8_3ELb0ES6_jNS0_17counting_iteratorIjlEEPS9_SE_NS0_5tupleIJPjSE_EEENSF_IJSE_SE_EEES9_SG_JZNS1_25segmented_radix_sort_implINS0_14default_configELb1EPKlPlSM_SN_N2at6native12_GLOBAL__N_18offset_tEEE10hipError_tPvRmT1_PNSt15iterator_traitsISV_E10value_typeET2_T3_PNSW_IS11_E10value_typeET4_jRbjT5_S17_jjP12ihipStream_tbEUljE_EEESS_ST_SU_S11_S15_S17_T6_T7_T9_mT8_S19_bDpT10_ENKUlT_T0_E_clISt17integral_constantIbLb1EES1L_IbLb0EEEEDaS1H_S1I_EUlS1H_E_NS1_11comp_targetILNS1_3genE3ELNS1_11target_archE908ELNS1_3gpuE7ELNS1_3repE0EEENS1_30default_config_static_selectorELNS0_4arch9wavefront6targetE0EEEvSV_.uses_vcc, 0
	.set _ZN7rocprim17ROCPRIM_400000_NS6detail17trampoline_kernelINS0_13select_configILj256ELj13ELNS0_17block_load_methodE3ELS4_3ELS4_3ELNS0_20block_scan_algorithmE0ELj4294967295EEENS1_25partition_config_selectorILNS1_17partition_subalgoE3EjNS0_10empty_typeEbEEZZNS1_14partition_implILS8_3ELb0ES6_jNS0_17counting_iteratorIjlEEPS9_SE_NS0_5tupleIJPjSE_EEENSF_IJSE_SE_EEES9_SG_JZNS1_25segmented_radix_sort_implINS0_14default_configELb1EPKlPlSM_SN_N2at6native12_GLOBAL__N_18offset_tEEE10hipError_tPvRmT1_PNSt15iterator_traitsISV_E10value_typeET2_T3_PNSW_IS11_E10value_typeET4_jRbjT5_S17_jjP12ihipStream_tbEUljE_EEESS_ST_SU_S11_S15_S17_T6_T7_T9_mT8_S19_bDpT10_ENKUlT_T0_E_clISt17integral_constantIbLb1EES1L_IbLb0EEEEDaS1H_S1I_EUlS1H_E_NS1_11comp_targetILNS1_3genE3ELNS1_11target_archE908ELNS1_3gpuE7ELNS1_3repE0EEENS1_30default_config_static_selectorELNS0_4arch9wavefront6targetE0EEEvSV_.uses_flat_scratch, 0
	.set _ZN7rocprim17ROCPRIM_400000_NS6detail17trampoline_kernelINS0_13select_configILj256ELj13ELNS0_17block_load_methodE3ELS4_3ELS4_3ELNS0_20block_scan_algorithmE0ELj4294967295EEENS1_25partition_config_selectorILNS1_17partition_subalgoE3EjNS0_10empty_typeEbEEZZNS1_14partition_implILS8_3ELb0ES6_jNS0_17counting_iteratorIjlEEPS9_SE_NS0_5tupleIJPjSE_EEENSF_IJSE_SE_EEES9_SG_JZNS1_25segmented_radix_sort_implINS0_14default_configELb1EPKlPlSM_SN_N2at6native12_GLOBAL__N_18offset_tEEE10hipError_tPvRmT1_PNSt15iterator_traitsISV_E10value_typeET2_T3_PNSW_IS11_E10value_typeET4_jRbjT5_S17_jjP12ihipStream_tbEUljE_EEESS_ST_SU_S11_S15_S17_T6_T7_T9_mT8_S19_bDpT10_ENKUlT_T0_E_clISt17integral_constantIbLb1EES1L_IbLb0EEEEDaS1H_S1I_EUlS1H_E_NS1_11comp_targetILNS1_3genE3ELNS1_11target_archE908ELNS1_3gpuE7ELNS1_3repE0EEENS1_30default_config_static_selectorELNS0_4arch9wavefront6targetE0EEEvSV_.has_dyn_sized_stack, 0
	.set _ZN7rocprim17ROCPRIM_400000_NS6detail17trampoline_kernelINS0_13select_configILj256ELj13ELNS0_17block_load_methodE3ELS4_3ELS4_3ELNS0_20block_scan_algorithmE0ELj4294967295EEENS1_25partition_config_selectorILNS1_17partition_subalgoE3EjNS0_10empty_typeEbEEZZNS1_14partition_implILS8_3ELb0ES6_jNS0_17counting_iteratorIjlEEPS9_SE_NS0_5tupleIJPjSE_EEENSF_IJSE_SE_EEES9_SG_JZNS1_25segmented_radix_sort_implINS0_14default_configELb1EPKlPlSM_SN_N2at6native12_GLOBAL__N_18offset_tEEE10hipError_tPvRmT1_PNSt15iterator_traitsISV_E10value_typeET2_T3_PNSW_IS11_E10value_typeET4_jRbjT5_S17_jjP12ihipStream_tbEUljE_EEESS_ST_SU_S11_S15_S17_T6_T7_T9_mT8_S19_bDpT10_ENKUlT_T0_E_clISt17integral_constantIbLb1EES1L_IbLb0EEEEDaS1H_S1I_EUlS1H_E_NS1_11comp_targetILNS1_3genE3ELNS1_11target_archE908ELNS1_3gpuE7ELNS1_3repE0EEENS1_30default_config_static_selectorELNS0_4arch9wavefront6targetE0EEEvSV_.has_recursion, 0
	.set _ZN7rocprim17ROCPRIM_400000_NS6detail17trampoline_kernelINS0_13select_configILj256ELj13ELNS0_17block_load_methodE3ELS4_3ELS4_3ELNS0_20block_scan_algorithmE0ELj4294967295EEENS1_25partition_config_selectorILNS1_17partition_subalgoE3EjNS0_10empty_typeEbEEZZNS1_14partition_implILS8_3ELb0ES6_jNS0_17counting_iteratorIjlEEPS9_SE_NS0_5tupleIJPjSE_EEENSF_IJSE_SE_EEES9_SG_JZNS1_25segmented_radix_sort_implINS0_14default_configELb1EPKlPlSM_SN_N2at6native12_GLOBAL__N_18offset_tEEE10hipError_tPvRmT1_PNSt15iterator_traitsISV_E10value_typeET2_T3_PNSW_IS11_E10value_typeET4_jRbjT5_S17_jjP12ihipStream_tbEUljE_EEESS_ST_SU_S11_S15_S17_T6_T7_T9_mT8_S19_bDpT10_ENKUlT_T0_E_clISt17integral_constantIbLb1EES1L_IbLb0EEEEDaS1H_S1I_EUlS1H_E_NS1_11comp_targetILNS1_3genE3ELNS1_11target_archE908ELNS1_3gpuE7ELNS1_3repE0EEENS1_30default_config_static_selectorELNS0_4arch9wavefront6targetE0EEEvSV_.has_indirect_call, 0
	.section	.AMDGPU.csdata,"",@progbits
; Kernel info:
; codeLenInByte = 0
; TotalNumSgprs: 0
; NumVgprs: 0
; ScratchSize: 0
; MemoryBound: 0
; FloatMode: 240
; IeeeMode: 1
; LDSByteSize: 0 bytes/workgroup (compile time only)
; SGPRBlocks: 0
; VGPRBlocks: 0
; NumSGPRsForWavesPerEU: 1
; NumVGPRsForWavesPerEU: 1
; Occupancy: 16
; WaveLimiterHint : 0
; COMPUTE_PGM_RSRC2:SCRATCH_EN: 0
; COMPUTE_PGM_RSRC2:USER_SGPR: 6
; COMPUTE_PGM_RSRC2:TRAP_HANDLER: 0
; COMPUTE_PGM_RSRC2:TGID_X_EN: 1
; COMPUTE_PGM_RSRC2:TGID_Y_EN: 0
; COMPUTE_PGM_RSRC2:TGID_Z_EN: 0
; COMPUTE_PGM_RSRC2:TIDIG_COMP_CNT: 0
	.section	.text._ZN7rocprim17ROCPRIM_400000_NS6detail17trampoline_kernelINS0_13select_configILj256ELj13ELNS0_17block_load_methodE3ELS4_3ELS4_3ELNS0_20block_scan_algorithmE0ELj4294967295EEENS1_25partition_config_selectorILNS1_17partition_subalgoE3EjNS0_10empty_typeEbEEZZNS1_14partition_implILS8_3ELb0ES6_jNS0_17counting_iteratorIjlEEPS9_SE_NS0_5tupleIJPjSE_EEENSF_IJSE_SE_EEES9_SG_JZNS1_25segmented_radix_sort_implINS0_14default_configELb1EPKlPlSM_SN_N2at6native12_GLOBAL__N_18offset_tEEE10hipError_tPvRmT1_PNSt15iterator_traitsISV_E10value_typeET2_T3_PNSW_IS11_E10value_typeET4_jRbjT5_S17_jjP12ihipStream_tbEUljE_EEESS_ST_SU_S11_S15_S17_T6_T7_T9_mT8_S19_bDpT10_ENKUlT_T0_E_clISt17integral_constantIbLb1EES1L_IbLb0EEEEDaS1H_S1I_EUlS1H_E_NS1_11comp_targetILNS1_3genE2ELNS1_11target_archE906ELNS1_3gpuE6ELNS1_3repE0EEENS1_30default_config_static_selectorELNS0_4arch9wavefront6targetE0EEEvSV_,"axG",@progbits,_ZN7rocprim17ROCPRIM_400000_NS6detail17trampoline_kernelINS0_13select_configILj256ELj13ELNS0_17block_load_methodE3ELS4_3ELS4_3ELNS0_20block_scan_algorithmE0ELj4294967295EEENS1_25partition_config_selectorILNS1_17partition_subalgoE3EjNS0_10empty_typeEbEEZZNS1_14partition_implILS8_3ELb0ES6_jNS0_17counting_iteratorIjlEEPS9_SE_NS0_5tupleIJPjSE_EEENSF_IJSE_SE_EEES9_SG_JZNS1_25segmented_radix_sort_implINS0_14default_configELb1EPKlPlSM_SN_N2at6native12_GLOBAL__N_18offset_tEEE10hipError_tPvRmT1_PNSt15iterator_traitsISV_E10value_typeET2_T3_PNSW_IS11_E10value_typeET4_jRbjT5_S17_jjP12ihipStream_tbEUljE_EEESS_ST_SU_S11_S15_S17_T6_T7_T9_mT8_S19_bDpT10_ENKUlT_T0_E_clISt17integral_constantIbLb1EES1L_IbLb0EEEEDaS1H_S1I_EUlS1H_E_NS1_11comp_targetILNS1_3genE2ELNS1_11target_archE906ELNS1_3gpuE6ELNS1_3repE0EEENS1_30default_config_static_selectorELNS0_4arch9wavefront6targetE0EEEvSV_,comdat
	.globl	_ZN7rocprim17ROCPRIM_400000_NS6detail17trampoline_kernelINS0_13select_configILj256ELj13ELNS0_17block_load_methodE3ELS4_3ELS4_3ELNS0_20block_scan_algorithmE0ELj4294967295EEENS1_25partition_config_selectorILNS1_17partition_subalgoE3EjNS0_10empty_typeEbEEZZNS1_14partition_implILS8_3ELb0ES6_jNS0_17counting_iteratorIjlEEPS9_SE_NS0_5tupleIJPjSE_EEENSF_IJSE_SE_EEES9_SG_JZNS1_25segmented_radix_sort_implINS0_14default_configELb1EPKlPlSM_SN_N2at6native12_GLOBAL__N_18offset_tEEE10hipError_tPvRmT1_PNSt15iterator_traitsISV_E10value_typeET2_T3_PNSW_IS11_E10value_typeET4_jRbjT5_S17_jjP12ihipStream_tbEUljE_EEESS_ST_SU_S11_S15_S17_T6_T7_T9_mT8_S19_bDpT10_ENKUlT_T0_E_clISt17integral_constantIbLb1EES1L_IbLb0EEEEDaS1H_S1I_EUlS1H_E_NS1_11comp_targetILNS1_3genE2ELNS1_11target_archE906ELNS1_3gpuE6ELNS1_3repE0EEENS1_30default_config_static_selectorELNS0_4arch9wavefront6targetE0EEEvSV_ ; -- Begin function _ZN7rocprim17ROCPRIM_400000_NS6detail17trampoline_kernelINS0_13select_configILj256ELj13ELNS0_17block_load_methodE3ELS4_3ELS4_3ELNS0_20block_scan_algorithmE0ELj4294967295EEENS1_25partition_config_selectorILNS1_17partition_subalgoE3EjNS0_10empty_typeEbEEZZNS1_14partition_implILS8_3ELb0ES6_jNS0_17counting_iteratorIjlEEPS9_SE_NS0_5tupleIJPjSE_EEENSF_IJSE_SE_EEES9_SG_JZNS1_25segmented_radix_sort_implINS0_14default_configELb1EPKlPlSM_SN_N2at6native12_GLOBAL__N_18offset_tEEE10hipError_tPvRmT1_PNSt15iterator_traitsISV_E10value_typeET2_T3_PNSW_IS11_E10value_typeET4_jRbjT5_S17_jjP12ihipStream_tbEUljE_EEESS_ST_SU_S11_S15_S17_T6_T7_T9_mT8_S19_bDpT10_ENKUlT_T0_E_clISt17integral_constantIbLb1EES1L_IbLb0EEEEDaS1H_S1I_EUlS1H_E_NS1_11comp_targetILNS1_3genE2ELNS1_11target_archE906ELNS1_3gpuE6ELNS1_3repE0EEENS1_30default_config_static_selectorELNS0_4arch9wavefront6targetE0EEEvSV_
	.p2align	8
	.type	_ZN7rocprim17ROCPRIM_400000_NS6detail17trampoline_kernelINS0_13select_configILj256ELj13ELNS0_17block_load_methodE3ELS4_3ELS4_3ELNS0_20block_scan_algorithmE0ELj4294967295EEENS1_25partition_config_selectorILNS1_17partition_subalgoE3EjNS0_10empty_typeEbEEZZNS1_14partition_implILS8_3ELb0ES6_jNS0_17counting_iteratorIjlEEPS9_SE_NS0_5tupleIJPjSE_EEENSF_IJSE_SE_EEES9_SG_JZNS1_25segmented_radix_sort_implINS0_14default_configELb1EPKlPlSM_SN_N2at6native12_GLOBAL__N_18offset_tEEE10hipError_tPvRmT1_PNSt15iterator_traitsISV_E10value_typeET2_T3_PNSW_IS11_E10value_typeET4_jRbjT5_S17_jjP12ihipStream_tbEUljE_EEESS_ST_SU_S11_S15_S17_T6_T7_T9_mT8_S19_bDpT10_ENKUlT_T0_E_clISt17integral_constantIbLb1EES1L_IbLb0EEEEDaS1H_S1I_EUlS1H_E_NS1_11comp_targetILNS1_3genE2ELNS1_11target_archE906ELNS1_3gpuE6ELNS1_3repE0EEENS1_30default_config_static_selectorELNS0_4arch9wavefront6targetE0EEEvSV_,@function
_ZN7rocprim17ROCPRIM_400000_NS6detail17trampoline_kernelINS0_13select_configILj256ELj13ELNS0_17block_load_methodE3ELS4_3ELS4_3ELNS0_20block_scan_algorithmE0ELj4294967295EEENS1_25partition_config_selectorILNS1_17partition_subalgoE3EjNS0_10empty_typeEbEEZZNS1_14partition_implILS8_3ELb0ES6_jNS0_17counting_iteratorIjlEEPS9_SE_NS0_5tupleIJPjSE_EEENSF_IJSE_SE_EEES9_SG_JZNS1_25segmented_radix_sort_implINS0_14default_configELb1EPKlPlSM_SN_N2at6native12_GLOBAL__N_18offset_tEEE10hipError_tPvRmT1_PNSt15iterator_traitsISV_E10value_typeET2_T3_PNSW_IS11_E10value_typeET4_jRbjT5_S17_jjP12ihipStream_tbEUljE_EEESS_ST_SU_S11_S15_S17_T6_T7_T9_mT8_S19_bDpT10_ENKUlT_T0_E_clISt17integral_constantIbLb1EES1L_IbLb0EEEEDaS1H_S1I_EUlS1H_E_NS1_11comp_targetILNS1_3genE2ELNS1_11target_archE906ELNS1_3gpuE6ELNS1_3repE0EEENS1_30default_config_static_selectorELNS0_4arch9wavefront6targetE0EEEvSV_: ; @_ZN7rocprim17ROCPRIM_400000_NS6detail17trampoline_kernelINS0_13select_configILj256ELj13ELNS0_17block_load_methodE3ELS4_3ELS4_3ELNS0_20block_scan_algorithmE0ELj4294967295EEENS1_25partition_config_selectorILNS1_17partition_subalgoE3EjNS0_10empty_typeEbEEZZNS1_14partition_implILS8_3ELb0ES6_jNS0_17counting_iteratorIjlEEPS9_SE_NS0_5tupleIJPjSE_EEENSF_IJSE_SE_EEES9_SG_JZNS1_25segmented_radix_sort_implINS0_14default_configELb1EPKlPlSM_SN_N2at6native12_GLOBAL__N_18offset_tEEE10hipError_tPvRmT1_PNSt15iterator_traitsISV_E10value_typeET2_T3_PNSW_IS11_E10value_typeET4_jRbjT5_S17_jjP12ihipStream_tbEUljE_EEESS_ST_SU_S11_S15_S17_T6_T7_T9_mT8_S19_bDpT10_ENKUlT_T0_E_clISt17integral_constantIbLb1EES1L_IbLb0EEEEDaS1H_S1I_EUlS1H_E_NS1_11comp_targetILNS1_3genE2ELNS1_11target_archE906ELNS1_3gpuE6ELNS1_3repE0EEENS1_30default_config_static_selectorELNS0_4arch9wavefront6targetE0EEEvSV_
; %bb.0:
	.section	.rodata,"a",@progbits
	.p2align	6, 0x0
	.amdhsa_kernel _ZN7rocprim17ROCPRIM_400000_NS6detail17trampoline_kernelINS0_13select_configILj256ELj13ELNS0_17block_load_methodE3ELS4_3ELS4_3ELNS0_20block_scan_algorithmE0ELj4294967295EEENS1_25partition_config_selectorILNS1_17partition_subalgoE3EjNS0_10empty_typeEbEEZZNS1_14partition_implILS8_3ELb0ES6_jNS0_17counting_iteratorIjlEEPS9_SE_NS0_5tupleIJPjSE_EEENSF_IJSE_SE_EEES9_SG_JZNS1_25segmented_radix_sort_implINS0_14default_configELb1EPKlPlSM_SN_N2at6native12_GLOBAL__N_18offset_tEEE10hipError_tPvRmT1_PNSt15iterator_traitsISV_E10value_typeET2_T3_PNSW_IS11_E10value_typeET4_jRbjT5_S17_jjP12ihipStream_tbEUljE_EEESS_ST_SU_S11_S15_S17_T6_T7_T9_mT8_S19_bDpT10_ENKUlT_T0_E_clISt17integral_constantIbLb1EES1L_IbLb0EEEEDaS1H_S1I_EUlS1H_E_NS1_11comp_targetILNS1_3genE2ELNS1_11target_archE906ELNS1_3gpuE6ELNS1_3repE0EEENS1_30default_config_static_selectorELNS0_4arch9wavefront6targetE0EEEvSV_
		.amdhsa_group_segment_fixed_size 0
		.amdhsa_private_segment_fixed_size 0
		.amdhsa_kernarg_size 144
		.amdhsa_user_sgpr_count 6
		.amdhsa_user_sgpr_private_segment_buffer 1
		.amdhsa_user_sgpr_dispatch_ptr 0
		.amdhsa_user_sgpr_queue_ptr 0
		.amdhsa_user_sgpr_kernarg_segment_ptr 1
		.amdhsa_user_sgpr_dispatch_id 0
		.amdhsa_user_sgpr_flat_scratch_init 0
		.amdhsa_user_sgpr_private_segment_size 0
		.amdhsa_wavefront_size32 1
		.amdhsa_uses_dynamic_stack 0
		.amdhsa_system_sgpr_private_segment_wavefront_offset 0
		.amdhsa_system_sgpr_workgroup_id_x 1
		.amdhsa_system_sgpr_workgroup_id_y 0
		.amdhsa_system_sgpr_workgroup_id_z 0
		.amdhsa_system_sgpr_workgroup_info 0
		.amdhsa_system_vgpr_workitem_id 0
		.amdhsa_next_free_vgpr 1
		.amdhsa_next_free_sgpr 1
		.amdhsa_reserve_vcc 0
		.amdhsa_reserve_flat_scratch 0
		.amdhsa_float_round_mode_32 0
		.amdhsa_float_round_mode_16_64 0
		.amdhsa_float_denorm_mode_32 3
		.amdhsa_float_denorm_mode_16_64 3
		.amdhsa_dx10_clamp 1
		.amdhsa_ieee_mode 1
		.amdhsa_fp16_overflow 0
		.amdhsa_workgroup_processor_mode 1
		.amdhsa_memory_ordered 1
		.amdhsa_forward_progress 1
		.amdhsa_shared_vgpr_count 0
		.amdhsa_exception_fp_ieee_invalid_op 0
		.amdhsa_exception_fp_denorm_src 0
		.amdhsa_exception_fp_ieee_div_zero 0
		.amdhsa_exception_fp_ieee_overflow 0
		.amdhsa_exception_fp_ieee_underflow 0
		.amdhsa_exception_fp_ieee_inexact 0
		.amdhsa_exception_int_div_zero 0
	.end_amdhsa_kernel
	.section	.text._ZN7rocprim17ROCPRIM_400000_NS6detail17trampoline_kernelINS0_13select_configILj256ELj13ELNS0_17block_load_methodE3ELS4_3ELS4_3ELNS0_20block_scan_algorithmE0ELj4294967295EEENS1_25partition_config_selectorILNS1_17partition_subalgoE3EjNS0_10empty_typeEbEEZZNS1_14partition_implILS8_3ELb0ES6_jNS0_17counting_iteratorIjlEEPS9_SE_NS0_5tupleIJPjSE_EEENSF_IJSE_SE_EEES9_SG_JZNS1_25segmented_radix_sort_implINS0_14default_configELb1EPKlPlSM_SN_N2at6native12_GLOBAL__N_18offset_tEEE10hipError_tPvRmT1_PNSt15iterator_traitsISV_E10value_typeET2_T3_PNSW_IS11_E10value_typeET4_jRbjT5_S17_jjP12ihipStream_tbEUljE_EEESS_ST_SU_S11_S15_S17_T6_T7_T9_mT8_S19_bDpT10_ENKUlT_T0_E_clISt17integral_constantIbLb1EES1L_IbLb0EEEEDaS1H_S1I_EUlS1H_E_NS1_11comp_targetILNS1_3genE2ELNS1_11target_archE906ELNS1_3gpuE6ELNS1_3repE0EEENS1_30default_config_static_selectorELNS0_4arch9wavefront6targetE0EEEvSV_,"axG",@progbits,_ZN7rocprim17ROCPRIM_400000_NS6detail17trampoline_kernelINS0_13select_configILj256ELj13ELNS0_17block_load_methodE3ELS4_3ELS4_3ELNS0_20block_scan_algorithmE0ELj4294967295EEENS1_25partition_config_selectorILNS1_17partition_subalgoE3EjNS0_10empty_typeEbEEZZNS1_14partition_implILS8_3ELb0ES6_jNS0_17counting_iteratorIjlEEPS9_SE_NS0_5tupleIJPjSE_EEENSF_IJSE_SE_EEES9_SG_JZNS1_25segmented_radix_sort_implINS0_14default_configELb1EPKlPlSM_SN_N2at6native12_GLOBAL__N_18offset_tEEE10hipError_tPvRmT1_PNSt15iterator_traitsISV_E10value_typeET2_T3_PNSW_IS11_E10value_typeET4_jRbjT5_S17_jjP12ihipStream_tbEUljE_EEESS_ST_SU_S11_S15_S17_T6_T7_T9_mT8_S19_bDpT10_ENKUlT_T0_E_clISt17integral_constantIbLb1EES1L_IbLb0EEEEDaS1H_S1I_EUlS1H_E_NS1_11comp_targetILNS1_3genE2ELNS1_11target_archE906ELNS1_3gpuE6ELNS1_3repE0EEENS1_30default_config_static_selectorELNS0_4arch9wavefront6targetE0EEEvSV_,comdat
.Lfunc_end686:
	.size	_ZN7rocprim17ROCPRIM_400000_NS6detail17trampoline_kernelINS0_13select_configILj256ELj13ELNS0_17block_load_methodE3ELS4_3ELS4_3ELNS0_20block_scan_algorithmE0ELj4294967295EEENS1_25partition_config_selectorILNS1_17partition_subalgoE3EjNS0_10empty_typeEbEEZZNS1_14partition_implILS8_3ELb0ES6_jNS0_17counting_iteratorIjlEEPS9_SE_NS0_5tupleIJPjSE_EEENSF_IJSE_SE_EEES9_SG_JZNS1_25segmented_radix_sort_implINS0_14default_configELb1EPKlPlSM_SN_N2at6native12_GLOBAL__N_18offset_tEEE10hipError_tPvRmT1_PNSt15iterator_traitsISV_E10value_typeET2_T3_PNSW_IS11_E10value_typeET4_jRbjT5_S17_jjP12ihipStream_tbEUljE_EEESS_ST_SU_S11_S15_S17_T6_T7_T9_mT8_S19_bDpT10_ENKUlT_T0_E_clISt17integral_constantIbLb1EES1L_IbLb0EEEEDaS1H_S1I_EUlS1H_E_NS1_11comp_targetILNS1_3genE2ELNS1_11target_archE906ELNS1_3gpuE6ELNS1_3repE0EEENS1_30default_config_static_selectorELNS0_4arch9wavefront6targetE0EEEvSV_, .Lfunc_end686-_ZN7rocprim17ROCPRIM_400000_NS6detail17trampoline_kernelINS0_13select_configILj256ELj13ELNS0_17block_load_methodE3ELS4_3ELS4_3ELNS0_20block_scan_algorithmE0ELj4294967295EEENS1_25partition_config_selectorILNS1_17partition_subalgoE3EjNS0_10empty_typeEbEEZZNS1_14partition_implILS8_3ELb0ES6_jNS0_17counting_iteratorIjlEEPS9_SE_NS0_5tupleIJPjSE_EEENSF_IJSE_SE_EEES9_SG_JZNS1_25segmented_radix_sort_implINS0_14default_configELb1EPKlPlSM_SN_N2at6native12_GLOBAL__N_18offset_tEEE10hipError_tPvRmT1_PNSt15iterator_traitsISV_E10value_typeET2_T3_PNSW_IS11_E10value_typeET4_jRbjT5_S17_jjP12ihipStream_tbEUljE_EEESS_ST_SU_S11_S15_S17_T6_T7_T9_mT8_S19_bDpT10_ENKUlT_T0_E_clISt17integral_constantIbLb1EES1L_IbLb0EEEEDaS1H_S1I_EUlS1H_E_NS1_11comp_targetILNS1_3genE2ELNS1_11target_archE906ELNS1_3gpuE6ELNS1_3repE0EEENS1_30default_config_static_selectorELNS0_4arch9wavefront6targetE0EEEvSV_
                                        ; -- End function
	.set _ZN7rocprim17ROCPRIM_400000_NS6detail17trampoline_kernelINS0_13select_configILj256ELj13ELNS0_17block_load_methodE3ELS4_3ELS4_3ELNS0_20block_scan_algorithmE0ELj4294967295EEENS1_25partition_config_selectorILNS1_17partition_subalgoE3EjNS0_10empty_typeEbEEZZNS1_14partition_implILS8_3ELb0ES6_jNS0_17counting_iteratorIjlEEPS9_SE_NS0_5tupleIJPjSE_EEENSF_IJSE_SE_EEES9_SG_JZNS1_25segmented_radix_sort_implINS0_14default_configELb1EPKlPlSM_SN_N2at6native12_GLOBAL__N_18offset_tEEE10hipError_tPvRmT1_PNSt15iterator_traitsISV_E10value_typeET2_T3_PNSW_IS11_E10value_typeET4_jRbjT5_S17_jjP12ihipStream_tbEUljE_EEESS_ST_SU_S11_S15_S17_T6_T7_T9_mT8_S19_bDpT10_ENKUlT_T0_E_clISt17integral_constantIbLb1EES1L_IbLb0EEEEDaS1H_S1I_EUlS1H_E_NS1_11comp_targetILNS1_3genE2ELNS1_11target_archE906ELNS1_3gpuE6ELNS1_3repE0EEENS1_30default_config_static_selectorELNS0_4arch9wavefront6targetE0EEEvSV_.num_vgpr, 0
	.set _ZN7rocprim17ROCPRIM_400000_NS6detail17trampoline_kernelINS0_13select_configILj256ELj13ELNS0_17block_load_methodE3ELS4_3ELS4_3ELNS0_20block_scan_algorithmE0ELj4294967295EEENS1_25partition_config_selectorILNS1_17partition_subalgoE3EjNS0_10empty_typeEbEEZZNS1_14partition_implILS8_3ELb0ES6_jNS0_17counting_iteratorIjlEEPS9_SE_NS0_5tupleIJPjSE_EEENSF_IJSE_SE_EEES9_SG_JZNS1_25segmented_radix_sort_implINS0_14default_configELb1EPKlPlSM_SN_N2at6native12_GLOBAL__N_18offset_tEEE10hipError_tPvRmT1_PNSt15iterator_traitsISV_E10value_typeET2_T3_PNSW_IS11_E10value_typeET4_jRbjT5_S17_jjP12ihipStream_tbEUljE_EEESS_ST_SU_S11_S15_S17_T6_T7_T9_mT8_S19_bDpT10_ENKUlT_T0_E_clISt17integral_constantIbLb1EES1L_IbLb0EEEEDaS1H_S1I_EUlS1H_E_NS1_11comp_targetILNS1_3genE2ELNS1_11target_archE906ELNS1_3gpuE6ELNS1_3repE0EEENS1_30default_config_static_selectorELNS0_4arch9wavefront6targetE0EEEvSV_.num_agpr, 0
	.set _ZN7rocprim17ROCPRIM_400000_NS6detail17trampoline_kernelINS0_13select_configILj256ELj13ELNS0_17block_load_methodE3ELS4_3ELS4_3ELNS0_20block_scan_algorithmE0ELj4294967295EEENS1_25partition_config_selectorILNS1_17partition_subalgoE3EjNS0_10empty_typeEbEEZZNS1_14partition_implILS8_3ELb0ES6_jNS0_17counting_iteratorIjlEEPS9_SE_NS0_5tupleIJPjSE_EEENSF_IJSE_SE_EEES9_SG_JZNS1_25segmented_radix_sort_implINS0_14default_configELb1EPKlPlSM_SN_N2at6native12_GLOBAL__N_18offset_tEEE10hipError_tPvRmT1_PNSt15iterator_traitsISV_E10value_typeET2_T3_PNSW_IS11_E10value_typeET4_jRbjT5_S17_jjP12ihipStream_tbEUljE_EEESS_ST_SU_S11_S15_S17_T6_T7_T9_mT8_S19_bDpT10_ENKUlT_T0_E_clISt17integral_constantIbLb1EES1L_IbLb0EEEEDaS1H_S1I_EUlS1H_E_NS1_11comp_targetILNS1_3genE2ELNS1_11target_archE906ELNS1_3gpuE6ELNS1_3repE0EEENS1_30default_config_static_selectorELNS0_4arch9wavefront6targetE0EEEvSV_.numbered_sgpr, 0
	.set _ZN7rocprim17ROCPRIM_400000_NS6detail17trampoline_kernelINS0_13select_configILj256ELj13ELNS0_17block_load_methodE3ELS4_3ELS4_3ELNS0_20block_scan_algorithmE0ELj4294967295EEENS1_25partition_config_selectorILNS1_17partition_subalgoE3EjNS0_10empty_typeEbEEZZNS1_14partition_implILS8_3ELb0ES6_jNS0_17counting_iteratorIjlEEPS9_SE_NS0_5tupleIJPjSE_EEENSF_IJSE_SE_EEES9_SG_JZNS1_25segmented_radix_sort_implINS0_14default_configELb1EPKlPlSM_SN_N2at6native12_GLOBAL__N_18offset_tEEE10hipError_tPvRmT1_PNSt15iterator_traitsISV_E10value_typeET2_T3_PNSW_IS11_E10value_typeET4_jRbjT5_S17_jjP12ihipStream_tbEUljE_EEESS_ST_SU_S11_S15_S17_T6_T7_T9_mT8_S19_bDpT10_ENKUlT_T0_E_clISt17integral_constantIbLb1EES1L_IbLb0EEEEDaS1H_S1I_EUlS1H_E_NS1_11comp_targetILNS1_3genE2ELNS1_11target_archE906ELNS1_3gpuE6ELNS1_3repE0EEENS1_30default_config_static_selectorELNS0_4arch9wavefront6targetE0EEEvSV_.num_named_barrier, 0
	.set _ZN7rocprim17ROCPRIM_400000_NS6detail17trampoline_kernelINS0_13select_configILj256ELj13ELNS0_17block_load_methodE3ELS4_3ELS4_3ELNS0_20block_scan_algorithmE0ELj4294967295EEENS1_25partition_config_selectorILNS1_17partition_subalgoE3EjNS0_10empty_typeEbEEZZNS1_14partition_implILS8_3ELb0ES6_jNS0_17counting_iteratorIjlEEPS9_SE_NS0_5tupleIJPjSE_EEENSF_IJSE_SE_EEES9_SG_JZNS1_25segmented_radix_sort_implINS0_14default_configELb1EPKlPlSM_SN_N2at6native12_GLOBAL__N_18offset_tEEE10hipError_tPvRmT1_PNSt15iterator_traitsISV_E10value_typeET2_T3_PNSW_IS11_E10value_typeET4_jRbjT5_S17_jjP12ihipStream_tbEUljE_EEESS_ST_SU_S11_S15_S17_T6_T7_T9_mT8_S19_bDpT10_ENKUlT_T0_E_clISt17integral_constantIbLb1EES1L_IbLb0EEEEDaS1H_S1I_EUlS1H_E_NS1_11comp_targetILNS1_3genE2ELNS1_11target_archE906ELNS1_3gpuE6ELNS1_3repE0EEENS1_30default_config_static_selectorELNS0_4arch9wavefront6targetE0EEEvSV_.private_seg_size, 0
	.set _ZN7rocprim17ROCPRIM_400000_NS6detail17trampoline_kernelINS0_13select_configILj256ELj13ELNS0_17block_load_methodE3ELS4_3ELS4_3ELNS0_20block_scan_algorithmE0ELj4294967295EEENS1_25partition_config_selectorILNS1_17partition_subalgoE3EjNS0_10empty_typeEbEEZZNS1_14partition_implILS8_3ELb0ES6_jNS0_17counting_iteratorIjlEEPS9_SE_NS0_5tupleIJPjSE_EEENSF_IJSE_SE_EEES9_SG_JZNS1_25segmented_radix_sort_implINS0_14default_configELb1EPKlPlSM_SN_N2at6native12_GLOBAL__N_18offset_tEEE10hipError_tPvRmT1_PNSt15iterator_traitsISV_E10value_typeET2_T3_PNSW_IS11_E10value_typeET4_jRbjT5_S17_jjP12ihipStream_tbEUljE_EEESS_ST_SU_S11_S15_S17_T6_T7_T9_mT8_S19_bDpT10_ENKUlT_T0_E_clISt17integral_constantIbLb1EES1L_IbLb0EEEEDaS1H_S1I_EUlS1H_E_NS1_11comp_targetILNS1_3genE2ELNS1_11target_archE906ELNS1_3gpuE6ELNS1_3repE0EEENS1_30default_config_static_selectorELNS0_4arch9wavefront6targetE0EEEvSV_.uses_vcc, 0
	.set _ZN7rocprim17ROCPRIM_400000_NS6detail17trampoline_kernelINS0_13select_configILj256ELj13ELNS0_17block_load_methodE3ELS4_3ELS4_3ELNS0_20block_scan_algorithmE0ELj4294967295EEENS1_25partition_config_selectorILNS1_17partition_subalgoE3EjNS0_10empty_typeEbEEZZNS1_14partition_implILS8_3ELb0ES6_jNS0_17counting_iteratorIjlEEPS9_SE_NS0_5tupleIJPjSE_EEENSF_IJSE_SE_EEES9_SG_JZNS1_25segmented_radix_sort_implINS0_14default_configELb1EPKlPlSM_SN_N2at6native12_GLOBAL__N_18offset_tEEE10hipError_tPvRmT1_PNSt15iterator_traitsISV_E10value_typeET2_T3_PNSW_IS11_E10value_typeET4_jRbjT5_S17_jjP12ihipStream_tbEUljE_EEESS_ST_SU_S11_S15_S17_T6_T7_T9_mT8_S19_bDpT10_ENKUlT_T0_E_clISt17integral_constantIbLb1EES1L_IbLb0EEEEDaS1H_S1I_EUlS1H_E_NS1_11comp_targetILNS1_3genE2ELNS1_11target_archE906ELNS1_3gpuE6ELNS1_3repE0EEENS1_30default_config_static_selectorELNS0_4arch9wavefront6targetE0EEEvSV_.uses_flat_scratch, 0
	.set _ZN7rocprim17ROCPRIM_400000_NS6detail17trampoline_kernelINS0_13select_configILj256ELj13ELNS0_17block_load_methodE3ELS4_3ELS4_3ELNS0_20block_scan_algorithmE0ELj4294967295EEENS1_25partition_config_selectorILNS1_17partition_subalgoE3EjNS0_10empty_typeEbEEZZNS1_14partition_implILS8_3ELb0ES6_jNS0_17counting_iteratorIjlEEPS9_SE_NS0_5tupleIJPjSE_EEENSF_IJSE_SE_EEES9_SG_JZNS1_25segmented_radix_sort_implINS0_14default_configELb1EPKlPlSM_SN_N2at6native12_GLOBAL__N_18offset_tEEE10hipError_tPvRmT1_PNSt15iterator_traitsISV_E10value_typeET2_T3_PNSW_IS11_E10value_typeET4_jRbjT5_S17_jjP12ihipStream_tbEUljE_EEESS_ST_SU_S11_S15_S17_T6_T7_T9_mT8_S19_bDpT10_ENKUlT_T0_E_clISt17integral_constantIbLb1EES1L_IbLb0EEEEDaS1H_S1I_EUlS1H_E_NS1_11comp_targetILNS1_3genE2ELNS1_11target_archE906ELNS1_3gpuE6ELNS1_3repE0EEENS1_30default_config_static_selectorELNS0_4arch9wavefront6targetE0EEEvSV_.has_dyn_sized_stack, 0
	.set _ZN7rocprim17ROCPRIM_400000_NS6detail17trampoline_kernelINS0_13select_configILj256ELj13ELNS0_17block_load_methodE3ELS4_3ELS4_3ELNS0_20block_scan_algorithmE0ELj4294967295EEENS1_25partition_config_selectorILNS1_17partition_subalgoE3EjNS0_10empty_typeEbEEZZNS1_14partition_implILS8_3ELb0ES6_jNS0_17counting_iteratorIjlEEPS9_SE_NS0_5tupleIJPjSE_EEENSF_IJSE_SE_EEES9_SG_JZNS1_25segmented_radix_sort_implINS0_14default_configELb1EPKlPlSM_SN_N2at6native12_GLOBAL__N_18offset_tEEE10hipError_tPvRmT1_PNSt15iterator_traitsISV_E10value_typeET2_T3_PNSW_IS11_E10value_typeET4_jRbjT5_S17_jjP12ihipStream_tbEUljE_EEESS_ST_SU_S11_S15_S17_T6_T7_T9_mT8_S19_bDpT10_ENKUlT_T0_E_clISt17integral_constantIbLb1EES1L_IbLb0EEEEDaS1H_S1I_EUlS1H_E_NS1_11comp_targetILNS1_3genE2ELNS1_11target_archE906ELNS1_3gpuE6ELNS1_3repE0EEENS1_30default_config_static_selectorELNS0_4arch9wavefront6targetE0EEEvSV_.has_recursion, 0
	.set _ZN7rocprim17ROCPRIM_400000_NS6detail17trampoline_kernelINS0_13select_configILj256ELj13ELNS0_17block_load_methodE3ELS4_3ELS4_3ELNS0_20block_scan_algorithmE0ELj4294967295EEENS1_25partition_config_selectorILNS1_17partition_subalgoE3EjNS0_10empty_typeEbEEZZNS1_14partition_implILS8_3ELb0ES6_jNS0_17counting_iteratorIjlEEPS9_SE_NS0_5tupleIJPjSE_EEENSF_IJSE_SE_EEES9_SG_JZNS1_25segmented_radix_sort_implINS0_14default_configELb1EPKlPlSM_SN_N2at6native12_GLOBAL__N_18offset_tEEE10hipError_tPvRmT1_PNSt15iterator_traitsISV_E10value_typeET2_T3_PNSW_IS11_E10value_typeET4_jRbjT5_S17_jjP12ihipStream_tbEUljE_EEESS_ST_SU_S11_S15_S17_T6_T7_T9_mT8_S19_bDpT10_ENKUlT_T0_E_clISt17integral_constantIbLb1EES1L_IbLb0EEEEDaS1H_S1I_EUlS1H_E_NS1_11comp_targetILNS1_3genE2ELNS1_11target_archE906ELNS1_3gpuE6ELNS1_3repE0EEENS1_30default_config_static_selectorELNS0_4arch9wavefront6targetE0EEEvSV_.has_indirect_call, 0
	.section	.AMDGPU.csdata,"",@progbits
; Kernel info:
; codeLenInByte = 0
; TotalNumSgprs: 0
; NumVgprs: 0
; ScratchSize: 0
; MemoryBound: 0
; FloatMode: 240
; IeeeMode: 1
; LDSByteSize: 0 bytes/workgroup (compile time only)
; SGPRBlocks: 0
; VGPRBlocks: 0
; NumSGPRsForWavesPerEU: 1
; NumVGPRsForWavesPerEU: 1
; Occupancy: 16
; WaveLimiterHint : 0
; COMPUTE_PGM_RSRC2:SCRATCH_EN: 0
; COMPUTE_PGM_RSRC2:USER_SGPR: 6
; COMPUTE_PGM_RSRC2:TRAP_HANDLER: 0
; COMPUTE_PGM_RSRC2:TGID_X_EN: 1
; COMPUTE_PGM_RSRC2:TGID_Y_EN: 0
; COMPUTE_PGM_RSRC2:TGID_Z_EN: 0
; COMPUTE_PGM_RSRC2:TIDIG_COMP_CNT: 0
	.section	.text._ZN7rocprim17ROCPRIM_400000_NS6detail17trampoline_kernelINS0_13select_configILj256ELj13ELNS0_17block_load_methodE3ELS4_3ELS4_3ELNS0_20block_scan_algorithmE0ELj4294967295EEENS1_25partition_config_selectorILNS1_17partition_subalgoE3EjNS0_10empty_typeEbEEZZNS1_14partition_implILS8_3ELb0ES6_jNS0_17counting_iteratorIjlEEPS9_SE_NS0_5tupleIJPjSE_EEENSF_IJSE_SE_EEES9_SG_JZNS1_25segmented_radix_sort_implINS0_14default_configELb1EPKlPlSM_SN_N2at6native12_GLOBAL__N_18offset_tEEE10hipError_tPvRmT1_PNSt15iterator_traitsISV_E10value_typeET2_T3_PNSW_IS11_E10value_typeET4_jRbjT5_S17_jjP12ihipStream_tbEUljE_EEESS_ST_SU_S11_S15_S17_T6_T7_T9_mT8_S19_bDpT10_ENKUlT_T0_E_clISt17integral_constantIbLb1EES1L_IbLb0EEEEDaS1H_S1I_EUlS1H_E_NS1_11comp_targetILNS1_3genE10ELNS1_11target_archE1200ELNS1_3gpuE4ELNS1_3repE0EEENS1_30default_config_static_selectorELNS0_4arch9wavefront6targetE0EEEvSV_,"axG",@progbits,_ZN7rocprim17ROCPRIM_400000_NS6detail17trampoline_kernelINS0_13select_configILj256ELj13ELNS0_17block_load_methodE3ELS4_3ELS4_3ELNS0_20block_scan_algorithmE0ELj4294967295EEENS1_25partition_config_selectorILNS1_17partition_subalgoE3EjNS0_10empty_typeEbEEZZNS1_14partition_implILS8_3ELb0ES6_jNS0_17counting_iteratorIjlEEPS9_SE_NS0_5tupleIJPjSE_EEENSF_IJSE_SE_EEES9_SG_JZNS1_25segmented_radix_sort_implINS0_14default_configELb1EPKlPlSM_SN_N2at6native12_GLOBAL__N_18offset_tEEE10hipError_tPvRmT1_PNSt15iterator_traitsISV_E10value_typeET2_T3_PNSW_IS11_E10value_typeET4_jRbjT5_S17_jjP12ihipStream_tbEUljE_EEESS_ST_SU_S11_S15_S17_T6_T7_T9_mT8_S19_bDpT10_ENKUlT_T0_E_clISt17integral_constantIbLb1EES1L_IbLb0EEEEDaS1H_S1I_EUlS1H_E_NS1_11comp_targetILNS1_3genE10ELNS1_11target_archE1200ELNS1_3gpuE4ELNS1_3repE0EEENS1_30default_config_static_selectorELNS0_4arch9wavefront6targetE0EEEvSV_,comdat
	.globl	_ZN7rocprim17ROCPRIM_400000_NS6detail17trampoline_kernelINS0_13select_configILj256ELj13ELNS0_17block_load_methodE3ELS4_3ELS4_3ELNS0_20block_scan_algorithmE0ELj4294967295EEENS1_25partition_config_selectorILNS1_17partition_subalgoE3EjNS0_10empty_typeEbEEZZNS1_14partition_implILS8_3ELb0ES6_jNS0_17counting_iteratorIjlEEPS9_SE_NS0_5tupleIJPjSE_EEENSF_IJSE_SE_EEES9_SG_JZNS1_25segmented_radix_sort_implINS0_14default_configELb1EPKlPlSM_SN_N2at6native12_GLOBAL__N_18offset_tEEE10hipError_tPvRmT1_PNSt15iterator_traitsISV_E10value_typeET2_T3_PNSW_IS11_E10value_typeET4_jRbjT5_S17_jjP12ihipStream_tbEUljE_EEESS_ST_SU_S11_S15_S17_T6_T7_T9_mT8_S19_bDpT10_ENKUlT_T0_E_clISt17integral_constantIbLb1EES1L_IbLb0EEEEDaS1H_S1I_EUlS1H_E_NS1_11comp_targetILNS1_3genE10ELNS1_11target_archE1200ELNS1_3gpuE4ELNS1_3repE0EEENS1_30default_config_static_selectorELNS0_4arch9wavefront6targetE0EEEvSV_ ; -- Begin function _ZN7rocprim17ROCPRIM_400000_NS6detail17trampoline_kernelINS0_13select_configILj256ELj13ELNS0_17block_load_methodE3ELS4_3ELS4_3ELNS0_20block_scan_algorithmE0ELj4294967295EEENS1_25partition_config_selectorILNS1_17partition_subalgoE3EjNS0_10empty_typeEbEEZZNS1_14partition_implILS8_3ELb0ES6_jNS0_17counting_iteratorIjlEEPS9_SE_NS0_5tupleIJPjSE_EEENSF_IJSE_SE_EEES9_SG_JZNS1_25segmented_radix_sort_implINS0_14default_configELb1EPKlPlSM_SN_N2at6native12_GLOBAL__N_18offset_tEEE10hipError_tPvRmT1_PNSt15iterator_traitsISV_E10value_typeET2_T3_PNSW_IS11_E10value_typeET4_jRbjT5_S17_jjP12ihipStream_tbEUljE_EEESS_ST_SU_S11_S15_S17_T6_T7_T9_mT8_S19_bDpT10_ENKUlT_T0_E_clISt17integral_constantIbLb1EES1L_IbLb0EEEEDaS1H_S1I_EUlS1H_E_NS1_11comp_targetILNS1_3genE10ELNS1_11target_archE1200ELNS1_3gpuE4ELNS1_3repE0EEENS1_30default_config_static_selectorELNS0_4arch9wavefront6targetE0EEEvSV_
	.p2align	8
	.type	_ZN7rocprim17ROCPRIM_400000_NS6detail17trampoline_kernelINS0_13select_configILj256ELj13ELNS0_17block_load_methodE3ELS4_3ELS4_3ELNS0_20block_scan_algorithmE0ELj4294967295EEENS1_25partition_config_selectorILNS1_17partition_subalgoE3EjNS0_10empty_typeEbEEZZNS1_14partition_implILS8_3ELb0ES6_jNS0_17counting_iteratorIjlEEPS9_SE_NS0_5tupleIJPjSE_EEENSF_IJSE_SE_EEES9_SG_JZNS1_25segmented_radix_sort_implINS0_14default_configELb1EPKlPlSM_SN_N2at6native12_GLOBAL__N_18offset_tEEE10hipError_tPvRmT1_PNSt15iterator_traitsISV_E10value_typeET2_T3_PNSW_IS11_E10value_typeET4_jRbjT5_S17_jjP12ihipStream_tbEUljE_EEESS_ST_SU_S11_S15_S17_T6_T7_T9_mT8_S19_bDpT10_ENKUlT_T0_E_clISt17integral_constantIbLb1EES1L_IbLb0EEEEDaS1H_S1I_EUlS1H_E_NS1_11comp_targetILNS1_3genE10ELNS1_11target_archE1200ELNS1_3gpuE4ELNS1_3repE0EEENS1_30default_config_static_selectorELNS0_4arch9wavefront6targetE0EEEvSV_,@function
_ZN7rocprim17ROCPRIM_400000_NS6detail17trampoline_kernelINS0_13select_configILj256ELj13ELNS0_17block_load_methodE3ELS4_3ELS4_3ELNS0_20block_scan_algorithmE0ELj4294967295EEENS1_25partition_config_selectorILNS1_17partition_subalgoE3EjNS0_10empty_typeEbEEZZNS1_14partition_implILS8_3ELb0ES6_jNS0_17counting_iteratorIjlEEPS9_SE_NS0_5tupleIJPjSE_EEENSF_IJSE_SE_EEES9_SG_JZNS1_25segmented_radix_sort_implINS0_14default_configELb1EPKlPlSM_SN_N2at6native12_GLOBAL__N_18offset_tEEE10hipError_tPvRmT1_PNSt15iterator_traitsISV_E10value_typeET2_T3_PNSW_IS11_E10value_typeET4_jRbjT5_S17_jjP12ihipStream_tbEUljE_EEESS_ST_SU_S11_S15_S17_T6_T7_T9_mT8_S19_bDpT10_ENKUlT_T0_E_clISt17integral_constantIbLb1EES1L_IbLb0EEEEDaS1H_S1I_EUlS1H_E_NS1_11comp_targetILNS1_3genE10ELNS1_11target_archE1200ELNS1_3gpuE4ELNS1_3repE0EEENS1_30default_config_static_selectorELNS0_4arch9wavefront6targetE0EEEvSV_: ; @_ZN7rocprim17ROCPRIM_400000_NS6detail17trampoline_kernelINS0_13select_configILj256ELj13ELNS0_17block_load_methodE3ELS4_3ELS4_3ELNS0_20block_scan_algorithmE0ELj4294967295EEENS1_25partition_config_selectorILNS1_17partition_subalgoE3EjNS0_10empty_typeEbEEZZNS1_14partition_implILS8_3ELb0ES6_jNS0_17counting_iteratorIjlEEPS9_SE_NS0_5tupleIJPjSE_EEENSF_IJSE_SE_EEES9_SG_JZNS1_25segmented_radix_sort_implINS0_14default_configELb1EPKlPlSM_SN_N2at6native12_GLOBAL__N_18offset_tEEE10hipError_tPvRmT1_PNSt15iterator_traitsISV_E10value_typeET2_T3_PNSW_IS11_E10value_typeET4_jRbjT5_S17_jjP12ihipStream_tbEUljE_EEESS_ST_SU_S11_S15_S17_T6_T7_T9_mT8_S19_bDpT10_ENKUlT_T0_E_clISt17integral_constantIbLb1EES1L_IbLb0EEEEDaS1H_S1I_EUlS1H_E_NS1_11comp_targetILNS1_3genE10ELNS1_11target_archE1200ELNS1_3gpuE4ELNS1_3repE0EEENS1_30default_config_static_selectorELNS0_4arch9wavefront6targetE0EEEvSV_
; %bb.0:
	.section	.rodata,"a",@progbits
	.p2align	6, 0x0
	.amdhsa_kernel _ZN7rocprim17ROCPRIM_400000_NS6detail17trampoline_kernelINS0_13select_configILj256ELj13ELNS0_17block_load_methodE3ELS4_3ELS4_3ELNS0_20block_scan_algorithmE0ELj4294967295EEENS1_25partition_config_selectorILNS1_17partition_subalgoE3EjNS0_10empty_typeEbEEZZNS1_14partition_implILS8_3ELb0ES6_jNS0_17counting_iteratorIjlEEPS9_SE_NS0_5tupleIJPjSE_EEENSF_IJSE_SE_EEES9_SG_JZNS1_25segmented_radix_sort_implINS0_14default_configELb1EPKlPlSM_SN_N2at6native12_GLOBAL__N_18offset_tEEE10hipError_tPvRmT1_PNSt15iterator_traitsISV_E10value_typeET2_T3_PNSW_IS11_E10value_typeET4_jRbjT5_S17_jjP12ihipStream_tbEUljE_EEESS_ST_SU_S11_S15_S17_T6_T7_T9_mT8_S19_bDpT10_ENKUlT_T0_E_clISt17integral_constantIbLb1EES1L_IbLb0EEEEDaS1H_S1I_EUlS1H_E_NS1_11comp_targetILNS1_3genE10ELNS1_11target_archE1200ELNS1_3gpuE4ELNS1_3repE0EEENS1_30default_config_static_selectorELNS0_4arch9wavefront6targetE0EEEvSV_
		.amdhsa_group_segment_fixed_size 0
		.amdhsa_private_segment_fixed_size 0
		.amdhsa_kernarg_size 144
		.amdhsa_user_sgpr_count 6
		.amdhsa_user_sgpr_private_segment_buffer 1
		.amdhsa_user_sgpr_dispatch_ptr 0
		.amdhsa_user_sgpr_queue_ptr 0
		.amdhsa_user_sgpr_kernarg_segment_ptr 1
		.amdhsa_user_sgpr_dispatch_id 0
		.amdhsa_user_sgpr_flat_scratch_init 0
		.amdhsa_user_sgpr_private_segment_size 0
		.amdhsa_wavefront_size32 1
		.amdhsa_uses_dynamic_stack 0
		.amdhsa_system_sgpr_private_segment_wavefront_offset 0
		.amdhsa_system_sgpr_workgroup_id_x 1
		.amdhsa_system_sgpr_workgroup_id_y 0
		.amdhsa_system_sgpr_workgroup_id_z 0
		.amdhsa_system_sgpr_workgroup_info 0
		.amdhsa_system_vgpr_workitem_id 0
		.amdhsa_next_free_vgpr 1
		.amdhsa_next_free_sgpr 1
		.amdhsa_reserve_vcc 0
		.amdhsa_reserve_flat_scratch 0
		.amdhsa_float_round_mode_32 0
		.amdhsa_float_round_mode_16_64 0
		.amdhsa_float_denorm_mode_32 3
		.amdhsa_float_denorm_mode_16_64 3
		.amdhsa_dx10_clamp 1
		.amdhsa_ieee_mode 1
		.amdhsa_fp16_overflow 0
		.amdhsa_workgroup_processor_mode 1
		.amdhsa_memory_ordered 1
		.amdhsa_forward_progress 1
		.amdhsa_shared_vgpr_count 0
		.amdhsa_exception_fp_ieee_invalid_op 0
		.amdhsa_exception_fp_denorm_src 0
		.amdhsa_exception_fp_ieee_div_zero 0
		.amdhsa_exception_fp_ieee_overflow 0
		.amdhsa_exception_fp_ieee_underflow 0
		.amdhsa_exception_fp_ieee_inexact 0
		.amdhsa_exception_int_div_zero 0
	.end_amdhsa_kernel
	.section	.text._ZN7rocprim17ROCPRIM_400000_NS6detail17trampoline_kernelINS0_13select_configILj256ELj13ELNS0_17block_load_methodE3ELS4_3ELS4_3ELNS0_20block_scan_algorithmE0ELj4294967295EEENS1_25partition_config_selectorILNS1_17partition_subalgoE3EjNS0_10empty_typeEbEEZZNS1_14partition_implILS8_3ELb0ES6_jNS0_17counting_iteratorIjlEEPS9_SE_NS0_5tupleIJPjSE_EEENSF_IJSE_SE_EEES9_SG_JZNS1_25segmented_radix_sort_implINS0_14default_configELb1EPKlPlSM_SN_N2at6native12_GLOBAL__N_18offset_tEEE10hipError_tPvRmT1_PNSt15iterator_traitsISV_E10value_typeET2_T3_PNSW_IS11_E10value_typeET4_jRbjT5_S17_jjP12ihipStream_tbEUljE_EEESS_ST_SU_S11_S15_S17_T6_T7_T9_mT8_S19_bDpT10_ENKUlT_T0_E_clISt17integral_constantIbLb1EES1L_IbLb0EEEEDaS1H_S1I_EUlS1H_E_NS1_11comp_targetILNS1_3genE10ELNS1_11target_archE1200ELNS1_3gpuE4ELNS1_3repE0EEENS1_30default_config_static_selectorELNS0_4arch9wavefront6targetE0EEEvSV_,"axG",@progbits,_ZN7rocprim17ROCPRIM_400000_NS6detail17trampoline_kernelINS0_13select_configILj256ELj13ELNS0_17block_load_methodE3ELS4_3ELS4_3ELNS0_20block_scan_algorithmE0ELj4294967295EEENS1_25partition_config_selectorILNS1_17partition_subalgoE3EjNS0_10empty_typeEbEEZZNS1_14partition_implILS8_3ELb0ES6_jNS0_17counting_iteratorIjlEEPS9_SE_NS0_5tupleIJPjSE_EEENSF_IJSE_SE_EEES9_SG_JZNS1_25segmented_radix_sort_implINS0_14default_configELb1EPKlPlSM_SN_N2at6native12_GLOBAL__N_18offset_tEEE10hipError_tPvRmT1_PNSt15iterator_traitsISV_E10value_typeET2_T3_PNSW_IS11_E10value_typeET4_jRbjT5_S17_jjP12ihipStream_tbEUljE_EEESS_ST_SU_S11_S15_S17_T6_T7_T9_mT8_S19_bDpT10_ENKUlT_T0_E_clISt17integral_constantIbLb1EES1L_IbLb0EEEEDaS1H_S1I_EUlS1H_E_NS1_11comp_targetILNS1_3genE10ELNS1_11target_archE1200ELNS1_3gpuE4ELNS1_3repE0EEENS1_30default_config_static_selectorELNS0_4arch9wavefront6targetE0EEEvSV_,comdat
.Lfunc_end687:
	.size	_ZN7rocprim17ROCPRIM_400000_NS6detail17trampoline_kernelINS0_13select_configILj256ELj13ELNS0_17block_load_methodE3ELS4_3ELS4_3ELNS0_20block_scan_algorithmE0ELj4294967295EEENS1_25partition_config_selectorILNS1_17partition_subalgoE3EjNS0_10empty_typeEbEEZZNS1_14partition_implILS8_3ELb0ES6_jNS0_17counting_iteratorIjlEEPS9_SE_NS0_5tupleIJPjSE_EEENSF_IJSE_SE_EEES9_SG_JZNS1_25segmented_radix_sort_implINS0_14default_configELb1EPKlPlSM_SN_N2at6native12_GLOBAL__N_18offset_tEEE10hipError_tPvRmT1_PNSt15iterator_traitsISV_E10value_typeET2_T3_PNSW_IS11_E10value_typeET4_jRbjT5_S17_jjP12ihipStream_tbEUljE_EEESS_ST_SU_S11_S15_S17_T6_T7_T9_mT8_S19_bDpT10_ENKUlT_T0_E_clISt17integral_constantIbLb1EES1L_IbLb0EEEEDaS1H_S1I_EUlS1H_E_NS1_11comp_targetILNS1_3genE10ELNS1_11target_archE1200ELNS1_3gpuE4ELNS1_3repE0EEENS1_30default_config_static_selectorELNS0_4arch9wavefront6targetE0EEEvSV_, .Lfunc_end687-_ZN7rocprim17ROCPRIM_400000_NS6detail17trampoline_kernelINS0_13select_configILj256ELj13ELNS0_17block_load_methodE3ELS4_3ELS4_3ELNS0_20block_scan_algorithmE0ELj4294967295EEENS1_25partition_config_selectorILNS1_17partition_subalgoE3EjNS0_10empty_typeEbEEZZNS1_14partition_implILS8_3ELb0ES6_jNS0_17counting_iteratorIjlEEPS9_SE_NS0_5tupleIJPjSE_EEENSF_IJSE_SE_EEES9_SG_JZNS1_25segmented_radix_sort_implINS0_14default_configELb1EPKlPlSM_SN_N2at6native12_GLOBAL__N_18offset_tEEE10hipError_tPvRmT1_PNSt15iterator_traitsISV_E10value_typeET2_T3_PNSW_IS11_E10value_typeET4_jRbjT5_S17_jjP12ihipStream_tbEUljE_EEESS_ST_SU_S11_S15_S17_T6_T7_T9_mT8_S19_bDpT10_ENKUlT_T0_E_clISt17integral_constantIbLb1EES1L_IbLb0EEEEDaS1H_S1I_EUlS1H_E_NS1_11comp_targetILNS1_3genE10ELNS1_11target_archE1200ELNS1_3gpuE4ELNS1_3repE0EEENS1_30default_config_static_selectorELNS0_4arch9wavefront6targetE0EEEvSV_
                                        ; -- End function
	.set _ZN7rocprim17ROCPRIM_400000_NS6detail17trampoline_kernelINS0_13select_configILj256ELj13ELNS0_17block_load_methodE3ELS4_3ELS4_3ELNS0_20block_scan_algorithmE0ELj4294967295EEENS1_25partition_config_selectorILNS1_17partition_subalgoE3EjNS0_10empty_typeEbEEZZNS1_14partition_implILS8_3ELb0ES6_jNS0_17counting_iteratorIjlEEPS9_SE_NS0_5tupleIJPjSE_EEENSF_IJSE_SE_EEES9_SG_JZNS1_25segmented_radix_sort_implINS0_14default_configELb1EPKlPlSM_SN_N2at6native12_GLOBAL__N_18offset_tEEE10hipError_tPvRmT1_PNSt15iterator_traitsISV_E10value_typeET2_T3_PNSW_IS11_E10value_typeET4_jRbjT5_S17_jjP12ihipStream_tbEUljE_EEESS_ST_SU_S11_S15_S17_T6_T7_T9_mT8_S19_bDpT10_ENKUlT_T0_E_clISt17integral_constantIbLb1EES1L_IbLb0EEEEDaS1H_S1I_EUlS1H_E_NS1_11comp_targetILNS1_3genE10ELNS1_11target_archE1200ELNS1_3gpuE4ELNS1_3repE0EEENS1_30default_config_static_selectorELNS0_4arch9wavefront6targetE0EEEvSV_.num_vgpr, 0
	.set _ZN7rocprim17ROCPRIM_400000_NS6detail17trampoline_kernelINS0_13select_configILj256ELj13ELNS0_17block_load_methodE3ELS4_3ELS4_3ELNS0_20block_scan_algorithmE0ELj4294967295EEENS1_25partition_config_selectorILNS1_17partition_subalgoE3EjNS0_10empty_typeEbEEZZNS1_14partition_implILS8_3ELb0ES6_jNS0_17counting_iteratorIjlEEPS9_SE_NS0_5tupleIJPjSE_EEENSF_IJSE_SE_EEES9_SG_JZNS1_25segmented_radix_sort_implINS0_14default_configELb1EPKlPlSM_SN_N2at6native12_GLOBAL__N_18offset_tEEE10hipError_tPvRmT1_PNSt15iterator_traitsISV_E10value_typeET2_T3_PNSW_IS11_E10value_typeET4_jRbjT5_S17_jjP12ihipStream_tbEUljE_EEESS_ST_SU_S11_S15_S17_T6_T7_T9_mT8_S19_bDpT10_ENKUlT_T0_E_clISt17integral_constantIbLb1EES1L_IbLb0EEEEDaS1H_S1I_EUlS1H_E_NS1_11comp_targetILNS1_3genE10ELNS1_11target_archE1200ELNS1_3gpuE4ELNS1_3repE0EEENS1_30default_config_static_selectorELNS0_4arch9wavefront6targetE0EEEvSV_.num_agpr, 0
	.set _ZN7rocprim17ROCPRIM_400000_NS6detail17trampoline_kernelINS0_13select_configILj256ELj13ELNS0_17block_load_methodE3ELS4_3ELS4_3ELNS0_20block_scan_algorithmE0ELj4294967295EEENS1_25partition_config_selectorILNS1_17partition_subalgoE3EjNS0_10empty_typeEbEEZZNS1_14partition_implILS8_3ELb0ES6_jNS0_17counting_iteratorIjlEEPS9_SE_NS0_5tupleIJPjSE_EEENSF_IJSE_SE_EEES9_SG_JZNS1_25segmented_radix_sort_implINS0_14default_configELb1EPKlPlSM_SN_N2at6native12_GLOBAL__N_18offset_tEEE10hipError_tPvRmT1_PNSt15iterator_traitsISV_E10value_typeET2_T3_PNSW_IS11_E10value_typeET4_jRbjT5_S17_jjP12ihipStream_tbEUljE_EEESS_ST_SU_S11_S15_S17_T6_T7_T9_mT8_S19_bDpT10_ENKUlT_T0_E_clISt17integral_constantIbLb1EES1L_IbLb0EEEEDaS1H_S1I_EUlS1H_E_NS1_11comp_targetILNS1_3genE10ELNS1_11target_archE1200ELNS1_3gpuE4ELNS1_3repE0EEENS1_30default_config_static_selectorELNS0_4arch9wavefront6targetE0EEEvSV_.numbered_sgpr, 0
	.set _ZN7rocprim17ROCPRIM_400000_NS6detail17trampoline_kernelINS0_13select_configILj256ELj13ELNS0_17block_load_methodE3ELS4_3ELS4_3ELNS0_20block_scan_algorithmE0ELj4294967295EEENS1_25partition_config_selectorILNS1_17partition_subalgoE3EjNS0_10empty_typeEbEEZZNS1_14partition_implILS8_3ELb0ES6_jNS0_17counting_iteratorIjlEEPS9_SE_NS0_5tupleIJPjSE_EEENSF_IJSE_SE_EEES9_SG_JZNS1_25segmented_radix_sort_implINS0_14default_configELb1EPKlPlSM_SN_N2at6native12_GLOBAL__N_18offset_tEEE10hipError_tPvRmT1_PNSt15iterator_traitsISV_E10value_typeET2_T3_PNSW_IS11_E10value_typeET4_jRbjT5_S17_jjP12ihipStream_tbEUljE_EEESS_ST_SU_S11_S15_S17_T6_T7_T9_mT8_S19_bDpT10_ENKUlT_T0_E_clISt17integral_constantIbLb1EES1L_IbLb0EEEEDaS1H_S1I_EUlS1H_E_NS1_11comp_targetILNS1_3genE10ELNS1_11target_archE1200ELNS1_3gpuE4ELNS1_3repE0EEENS1_30default_config_static_selectorELNS0_4arch9wavefront6targetE0EEEvSV_.num_named_barrier, 0
	.set _ZN7rocprim17ROCPRIM_400000_NS6detail17trampoline_kernelINS0_13select_configILj256ELj13ELNS0_17block_load_methodE3ELS4_3ELS4_3ELNS0_20block_scan_algorithmE0ELj4294967295EEENS1_25partition_config_selectorILNS1_17partition_subalgoE3EjNS0_10empty_typeEbEEZZNS1_14partition_implILS8_3ELb0ES6_jNS0_17counting_iteratorIjlEEPS9_SE_NS0_5tupleIJPjSE_EEENSF_IJSE_SE_EEES9_SG_JZNS1_25segmented_radix_sort_implINS0_14default_configELb1EPKlPlSM_SN_N2at6native12_GLOBAL__N_18offset_tEEE10hipError_tPvRmT1_PNSt15iterator_traitsISV_E10value_typeET2_T3_PNSW_IS11_E10value_typeET4_jRbjT5_S17_jjP12ihipStream_tbEUljE_EEESS_ST_SU_S11_S15_S17_T6_T7_T9_mT8_S19_bDpT10_ENKUlT_T0_E_clISt17integral_constantIbLb1EES1L_IbLb0EEEEDaS1H_S1I_EUlS1H_E_NS1_11comp_targetILNS1_3genE10ELNS1_11target_archE1200ELNS1_3gpuE4ELNS1_3repE0EEENS1_30default_config_static_selectorELNS0_4arch9wavefront6targetE0EEEvSV_.private_seg_size, 0
	.set _ZN7rocprim17ROCPRIM_400000_NS6detail17trampoline_kernelINS0_13select_configILj256ELj13ELNS0_17block_load_methodE3ELS4_3ELS4_3ELNS0_20block_scan_algorithmE0ELj4294967295EEENS1_25partition_config_selectorILNS1_17partition_subalgoE3EjNS0_10empty_typeEbEEZZNS1_14partition_implILS8_3ELb0ES6_jNS0_17counting_iteratorIjlEEPS9_SE_NS0_5tupleIJPjSE_EEENSF_IJSE_SE_EEES9_SG_JZNS1_25segmented_radix_sort_implINS0_14default_configELb1EPKlPlSM_SN_N2at6native12_GLOBAL__N_18offset_tEEE10hipError_tPvRmT1_PNSt15iterator_traitsISV_E10value_typeET2_T3_PNSW_IS11_E10value_typeET4_jRbjT5_S17_jjP12ihipStream_tbEUljE_EEESS_ST_SU_S11_S15_S17_T6_T7_T9_mT8_S19_bDpT10_ENKUlT_T0_E_clISt17integral_constantIbLb1EES1L_IbLb0EEEEDaS1H_S1I_EUlS1H_E_NS1_11comp_targetILNS1_3genE10ELNS1_11target_archE1200ELNS1_3gpuE4ELNS1_3repE0EEENS1_30default_config_static_selectorELNS0_4arch9wavefront6targetE0EEEvSV_.uses_vcc, 0
	.set _ZN7rocprim17ROCPRIM_400000_NS6detail17trampoline_kernelINS0_13select_configILj256ELj13ELNS0_17block_load_methodE3ELS4_3ELS4_3ELNS0_20block_scan_algorithmE0ELj4294967295EEENS1_25partition_config_selectorILNS1_17partition_subalgoE3EjNS0_10empty_typeEbEEZZNS1_14partition_implILS8_3ELb0ES6_jNS0_17counting_iteratorIjlEEPS9_SE_NS0_5tupleIJPjSE_EEENSF_IJSE_SE_EEES9_SG_JZNS1_25segmented_radix_sort_implINS0_14default_configELb1EPKlPlSM_SN_N2at6native12_GLOBAL__N_18offset_tEEE10hipError_tPvRmT1_PNSt15iterator_traitsISV_E10value_typeET2_T3_PNSW_IS11_E10value_typeET4_jRbjT5_S17_jjP12ihipStream_tbEUljE_EEESS_ST_SU_S11_S15_S17_T6_T7_T9_mT8_S19_bDpT10_ENKUlT_T0_E_clISt17integral_constantIbLb1EES1L_IbLb0EEEEDaS1H_S1I_EUlS1H_E_NS1_11comp_targetILNS1_3genE10ELNS1_11target_archE1200ELNS1_3gpuE4ELNS1_3repE0EEENS1_30default_config_static_selectorELNS0_4arch9wavefront6targetE0EEEvSV_.uses_flat_scratch, 0
	.set _ZN7rocprim17ROCPRIM_400000_NS6detail17trampoline_kernelINS0_13select_configILj256ELj13ELNS0_17block_load_methodE3ELS4_3ELS4_3ELNS0_20block_scan_algorithmE0ELj4294967295EEENS1_25partition_config_selectorILNS1_17partition_subalgoE3EjNS0_10empty_typeEbEEZZNS1_14partition_implILS8_3ELb0ES6_jNS0_17counting_iteratorIjlEEPS9_SE_NS0_5tupleIJPjSE_EEENSF_IJSE_SE_EEES9_SG_JZNS1_25segmented_radix_sort_implINS0_14default_configELb1EPKlPlSM_SN_N2at6native12_GLOBAL__N_18offset_tEEE10hipError_tPvRmT1_PNSt15iterator_traitsISV_E10value_typeET2_T3_PNSW_IS11_E10value_typeET4_jRbjT5_S17_jjP12ihipStream_tbEUljE_EEESS_ST_SU_S11_S15_S17_T6_T7_T9_mT8_S19_bDpT10_ENKUlT_T0_E_clISt17integral_constantIbLb1EES1L_IbLb0EEEEDaS1H_S1I_EUlS1H_E_NS1_11comp_targetILNS1_3genE10ELNS1_11target_archE1200ELNS1_3gpuE4ELNS1_3repE0EEENS1_30default_config_static_selectorELNS0_4arch9wavefront6targetE0EEEvSV_.has_dyn_sized_stack, 0
	.set _ZN7rocprim17ROCPRIM_400000_NS6detail17trampoline_kernelINS0_13select_configILj256ELj13ELNS0_17block_load_methodE3ELS4_3ELS4_3ELNS0_20block_scan_algorithmE0ELj4294967295EEENS1_25partition_config_selectorILNS1_17partition_subalgoE3EjNS0_10empty_typeEbEEZZNS1_14partition_implILS8_3ELb0ES6_jNS0_17counting_iteratorIjlEEPS9_SE_NS0_5tupleIJPjSE_EEENSF_IJSE_SE_EEES9_SG_JZNS1_25segmented_radix_sort_implINS0_14default_configELb1EPKlPlSM_SN_N2at6native12_GLOBAL__N_18offset_tEEE10hipError_tPvRmT1_PNSt15iterator_traitsISV_E10value_typeET2_T3_PNSW_IS11_E10value_typeET4_jRbjT5_S17_jjP12ihipStream_tbEUljE_EEESS_ST_SU_S11_S15_S17_T6_T7_T9_mT8_S19_bDpT10_ENKUlT_T0_E_clISt17integral_constantIbLb1EES1L_IbLb0EEEEDaS1H_S1I_EUlS1H_E_NS1_11comp_targetILNS1_3genE10ELNS1_11target_archE1200ELNS1_3gpuE4ELNS1_3repE0EEENS1_30default_config_static_selectorELNS0_4arch9wavefront6targetE0EEEvSV_.has_recursion, 0
	.set _ZN7rocprim17ROCPRIM_400000_NS6detail17trampoline_kernelINS0_13select_configILj256ELj13ELNS0_17block_load_methodE3ELS4_3ELS4_3ELNS0_20block_scan_algorithmE0ELj4294967295EEENS1_25partition_config_selectorILNS1_17partition_subalgoE3EjNS0_10empty_typeEbEEZZNS1_14partition_implILS8_3ELb0ES6_jNS0_17counting_iteratorIjlEEPS9_SE_NS0_5tupleIJPjSE_EEENSF_IJSE_SE_EEES9_SG_JZNS1_25segmented_radix_sort_implINS0_14default_configELb1EPKlPlSM_SN_N2at6native12_GLOBAL__N_18offset_tEEE10hipError_tPvRmT1_PNSt15iterator_traitsISV_E10value_typeET2_T3_PNSW_IS11_E10value_typeET4_jRbjT5_S17_jjP12ihipStream_tbEUljE_EEESS_ST_SU_S11_S15_S17_T6_T7_T9_mT8_S19_bDpT10_ENKUlT_T0_E_clISt17integral_constantIbLb1EES1L_IbLb0EEEEDaS1H_S1I_EUlS1H_E_NS1_11comp_targetILNS1_3genE10ELNS1_11target_archE1200ELNS1_3gpuE4ELNS1_3repE0EEENS1_30default_config_static_selectorELNS0_4arch9wavefront6targetE0EEEvSV_.has_indirect_call, 0
	.section	.AMDGPU.csdata,"",@progbits
; Kernel info:
; codeLenInByte = 0
; TotalNumSgprs: 0
; NumVgprs: 0
; ScratchSize: 0
; MemoryBound: 0
; FloatMode: 240
; IeeeMode: 1
; LDSByteSize: 0 bytes/workgroup (compile time only)
; SGPRBlocks: 0
; VGPRBlocks: 0
; NumSGPRsForWavesPerEU: 1
; NumVGPRsForWavesPerEU: 1
; Occupancy: 16
; WaveLimiterHint : 0
; COMPUTE_PGM_RSRC2:SCRATCH_EN: 0
; COMPUTE_PGM_RSRC2:USER_SGPR: 6
; COMPUTE_PGM_RSRC2:TRAP_HANDLER: 0
; COMPUTE_PGM_RSRC2:TGID_X_EN: 1
; COMPUTE_PGM_RSRC2:TGID_Y_EN: 0
; COMPUTE_PGM_RSRC2:TGID_Z_EN: 0
; COMPUTE_PGM_RSRC2:TIDIG_COMP_CNT: 0
	.section	.text._ZN7rocprim17ROCPRIM_400000_NS6detail17trampoline_kernelINS0_13select_configILj256ELj13ELNS0_17block_load_methodE3ELS4_3ELS4_3ELNS0_20block_scan_algorithmE0ELj4294967295EEENS1_25partition_config_selectorILNS1_17partition_subalgoE3EjNS0_10empty_typeEbEEZZNS1_14partition_implILS8_3ELb0ES6_jNS0_17counting_iteratorIjlEEPS9_SE_NS0_5tupleIJPjSE_EEENSF_IJSE_SE_EEES9_SG_JZNS1_25segmented_radix_sort_implINS0_14default_configELb1EPKlPlSM_SN_N2at6native12_GLOBAL__N_18offset_tEEE10hipError_tPvRmT1_PNSt15iterator_traitsISV_E10value_typeET2_T3_PNSW_IS11_E10value_typeET4_jRbjT5_S17_jjP12ihipStream_tbEUljE_EEESS_ST_SU_S11_S15_S17_T6_T7_T9_mT8_S19_bDpT10_ENKUlT_T0_E_clISt17integral_constantIbLb1EES1L_IbLb0EEEEDaS1H_S1I_EUlS1H_E_NS1_11comp_targetILNS1_3genE9ELNS1_11target_archE1100ELNS1_3gpuE3ELNS1_3repE0EEENS1_30default_config_static_selectorELNS0_4arch9wavefront6targetE0EEEvSV_,"axG",@progbits,_ZN7rocprim17ROCPRIM_400000_NS6detail17trampoline_kernelINS0_13select_configILj256ELj13ELNS0_17block_load_methodE3ELS4_3ELS4_3ELNS0_20block_scan_algorithmE0ELj4294967295EEENS1_25partition_config_selectorILNS1_17partition_subalgoE3EjNS0_10empty_typeEbEEZZNS1_14partition_implILS8_3ELb0ES6_jNS0_17counting_iteratorIjlEEPS9_SE_NS0_5tupleIJPjSE_EEENSF_IJSE_SE_EEES9_SG_JZNS1_25segmented_radix_sort_implINS0_14default_configELb1EPKlPlSM_SN_N2at6native12_GLOBAL__N_18offset_tEEE10hipError_tPvRmT1_PNSt15iterator_traitsISV_E10value_typeET2_T3_PNSW_IS11_E10value_typeET4_jRbjT5_S17_jjP12ihipStream_tbEUljE_EEESS_ST_SU_S11_S15_S17_T6_T7_T9_mT8_S19_bDpT10_ENKUlT_T0_E_clISt17integral_constantIbLb1EES1L_IbLb0EEEEDaS1H_S1I_EUlS1H_E_NS1_11comp_targetILNS1_3genE9ELNS1_11target_archE1100ELNS1_3gpuE3ELNS1_3repE0EEENS1_30default_config_static_selectorELNS0_4arch9wavefront6targetE0EEEvSV_,comdat
	.globl	_ZN7rocprim17ROCPRIM_400000_NS6detail17trampoline_kernelINS0_13select_configILj256ELj13ELNS0_17block_load_methodE3ELS4_3ELS4_3ELNS0_20block_scan_algorithmE0ELj4294967295EEENS1_25partition_config_selectorILNS1_17partition_subalgoE3EjNS0_10empty_typeEbEEZZNS1_14partition_implILS8_3ELb0ES6_jNS0_17counting_iteratorIjlEEPS9_SE_NS0_5tupleIJPjSE_EEENSF_IJSE_SE_EEES9_SG_JZNS1_25segmented_radix_sort_implINS0_14default_configELb1EPKlPlSM_SN_N2at6native12_GLOBAL__N_18offset_tEEE10hipError_tPvRmT1_PNSt15iterator_traitsISV_E10value_typeET2_T3_PNSW_IS11_E10value_typeET4_jRbjT5_S17_jjP12ihipStream_tbEUljE_EEESS_ST_SU_S11_S15_S17_T6_T7_T9_mT8_S19_bDpT10_ENKUlT_T0_E_clISt17integral_constantIbLb1EES1L_IbLb0EEEEDaS1H_S1I_EUlS1H_E_NS1_11comp_targetILNS1_3genE9ELNS1_11target_archE1100ELNS1_3gpuE3ELNS1_3repE0EEENS1_30default_config_static_selectorELNS0_4arch9wavefront6targetE0EEEvSV_ ; -- Begin function _ZN7rocprim17ROCPRIM_400000_NS6detail17trampoline_kernelINS0_13select_configILj256ELj13ELNS0_17block_load_methodE3ELS4_3ELS4_3ELNS0_20block_scan_algorithmE0ELj4294967295EEENS1_25partition_config_selectorILNS1_17partition_subalgoE3EjNS0_10empty_typeEbEEZZNS1_14partition_implILS8_3ELb0ES6_jNS0_17counting_iteratorIjlEEPS9_SE_NS0_5tupleIJPjSE_EEENSF_IJSE_SE_EEES9_SG_JZNS1_25segmented_radix_sort_implINS0_14default_configELb1EPKlPlSM_SN_N2at6native12_GLOBAL__N_18offset_tEEE10hipError_tPvRmT1_PNSt15iterator_traitsISV_E10value_typeET2_T3_PNSW_IS11_E10value_typeET4_jRbjT5_S17_jjP12ihipStream_tbEUljE_EEESS_ST_SU_S11_S15_S17_T6_T7_T9_mT8_S19_bDpT10_ENKUlT_T0_E_clISt17integral_constantIbLb1EES1L_IbLb0EEEEDaS1H_S1I_EUlS1H_E_NS1_11comp_targetILNS1_3genE9ELNS1_11target_archE1100ELNS1_3gpuE3ELNS1_3repE0EEENS1_30default_config_static_selectorELNS0_4arch9wavefront6targetE0EEEvSV_
	.p2align	8
	.type	_ZN7rocprim17ROCPRIM_400000_NS6detail17trampoline_kernelINS0_13select_configILj256ELj13ELNS0_17block_load_methodE3ELS4_3ELS4_3ELNS0_20block_scan_algorithmE0ELj4294967295EEENS1_25partition_config_selectorILNS1_17partition_subalgoE3EjNS0_10empty_typeEbEEZZNS1_14partition_implILS8_3ELb0ES6_jNS0_17counting_iteratorIjlEEPS9_SE_NS0_5tupleIJPjSE_EEENSF_IJSE_SE_EEES9_SG_JZNS1_25segmented_radix_sort_implINS0_14default_configELb1EPKlPlSM_SN_N2at6native12_GLOBAL__N_18offset_tEEE10hipError_tPvRmT1_PNSt15iterator_traitsISV_E10value_typeET2_T3_PNSW_IS11_E10value_typeET4_jRbjT5_S17_jjP12ihipStream_tbEUljE_EEESS_ST_SU_S11_S15_S17_T6_T7_T9_mT8_S19_bDpT10_ENKUlT_T0_E_clISt17integral_constantIbLb1EES1L_IbLb0EEEEDaS1H_S1I_EUlS1H_E_NS1_11comp_targetILNS1_3genE9ELNS1_11target_archE1100ELNS1_3gpuE3ELNS1_3repE0EEENS1_30default_config_static_selectorELNS0_4arch9wavefront6targetE0EEEvSV_,@function
_ZN7rocprim17ROCPRIM_400000_NS6detail17trampoline_kernelINS0_13select_configILj256ELj13ELNS0_17block_load_methodE3ELS4_3ELS4_3ELNS0_20block_scan_algorithmE0ELj4294967295EEENS1_25partition_config_selectorILNS1_17partition_subalgoE3EjNS0_10empty_typeEbEEZZNS1_14partition_implILS8_3ELb0ES6_jNS0_17counting_iteratorIjlEEPS9_SE_NS0_5tupleIJPjSE_EEENSF_IJSE_SE_EEES9_SG_JZNS1_25segmented_radix_sort_implINS0_14default_configELb1EPKlPlSM_SN_N2at6native12_GLOBAL__N_18offset_tEEE10hipError_tPvRmT1_PNSt15iterator_traitsISV_E10value_typeET2_T3_PNSW_IS11_E10value_typeET4_jRbjT5_S17_jjP12ihipStream_tbEUljE_EEESS_ST_SU_S11_S15_S17_T6_T7_T9_mT8_S19_bDpT10_ENKUlT_T0_E_clISt17integral_constantIbLb1EES1L_IbLb0EEEEDaS1H_S1I_EUlS1H_E_NS1_11comp_targetILNS1_3genE9ELNS1_11target_archE1100ELNS1_3gpuE3ELNS1_3repE0EEENS1_30default_config_static_selectorELNS0_4arch9wavefront6targetE0EEEvSV_: ; @_ZN7rocprim17ROCPRIM_400000_NS6detail17trampoline_kernelINS0_13select_configILj256ELj13ELNS0_17block_load_methodE3ELS4_3ELS4_3ELNS0_20block_scan_algorithmE0ELj4294967295EEENS1_25partition_config_selectorILNS1_17partition_subalgoE3EjNS0_10empty_typeEbEEZZNS1_14partition_implILS8_3ELb0ES6_jNS0_17counting_iteratorIjlEEPS9_SE_NS0_5tupleIJPjSE_EEENSF_IJSE_SE_EEES9_SG_JZNS1_25segmented_radix_sort_implINS0_14default_configELb1EPKlPlSM_SN_N2at6native12_GLOBAL__N_18offset_tEEE10hipError_tPvRmT1_PNSt15iterator_traitsISV_E10value_typeET2_T3_PNSW_IS11_E10value_typeET4_jRbjT5_S17_jjP12ihipStream_tbEUljE_EEESS_ST_SU_S11_S15_S17_T6_T7_T9_mT8_S19_bDpT10_ENKUlT_T0_E_clISt17integral_constantIbLb1EES1L_IbLb0EEEEDaS1H_S1I_EUlS1H_E_NS1_11comp_targetILNS1_3genE9ELNS1_11target_archE1100ELNS1_3gpuE3ELNS1_3repE0EEENS1_30default_config_static_selectorELNS0_4arch9wavefront6targetE0EEEvSV_
; %bb.0:
	.section	.rodata,"a",@progbits
	.p2align	6, 0x0
	.amdhsa_kernel _ZN7rocprim17ROCPRIM_400000_NS6detail17trampoline_kernelINS0_13select_configILj256ELj13ELNS0_17block_load_methodE3ELS4_3ELS4_3ELNS0_20block_scan_algorithmE0ELj4294967295EEENS1_25partition_config_selectorILNS1_17partition_subalgoE3EjNS0_10empty_typeEbEEZZNS1_14partition_implILS8_3ELb0ES6_jNS0_17counting_iteratorIjlEEPS9_SE_NS0_5tupleIJPjSE_EEENSF_IJSE_SE_EEES9_SG_JZNS1_25segmented_radix_sort_implINS0_14default_configELb1EPKlPlSM_SN_N2at6native12_GLOBAL__N_18offset_tEEE10hipError_tPvRmT1_PNSt15iterator_traitsISV_E10value_typeET2_T3_PNSW_IS11_E10value_typeET4_jRbjT5_S17_jjP12ihipStream_tbEUljE_EEESS_ST_SU_S11_S15_S17_T6_T7_T9_mT8_S19_bDpT10_ENKUlT_T0_E_clISt17integral_constantIbLb1EES1L_IbLb0EEEEDaS1H_S1I_EUlS1H_E_NS1_11comp_targetILNS1_3genE9ELNS1_11target_archE1100ELNS1_3gpuE3ELNS1_3repE0EEENS1_30default_config_static_selectorELNS0_4arch9wavefront6targetE0EEEvSV_
		.amdhsa_group_segment_fixed_size 0
		.amdhsa_private_segment_fixed_size 0
		.amdhsa_kernarg_size 144
		.amdhsa_user_sgpr_count 6
		.amdhsa_user_sgpr_private_segment_buffer 1
		.amdhsa_user_sgpr_dispatch_ptr 0
		.amdhsa_user_sgpr_queue_ptr 0
		.amdhsa_user_sgpr_kernarg_segment_ptr 1
		.amdhsa_user_sgpr_dispatch_id 0
		.amdhsa_user_sgpr_flat_scratch_init 0
		.amdhsa_user_sgpr_private_segment_size 0
		.amdhsa_wavefront_size32 1
		.amdhsa_uses_dynamic_stack 0
		.amdhsa_system_sgpr_private_segment_wavefront_offset 0
		.amdhsa_system_sgpr_workgroup_id_x 1
		.amdhsa_system_sgpr_workgroup_id_y 0
		.amdhsa_system_sgpr_workgroup_id_z 0
		.amdhsa_system_sgpr_workgroup_info 0
		.amdhsa_system_vgpr_workitem_id 0
		.amdhsa_next_free_vgpr 1
		.amdhsa_next_free_sgpr 1
		.amdhsa_reserve_vcc 0
		.amdhsa_reserve_flat_scratch 0
		.amdhsa_float_round_mode_32 0
		.amdhsa_float_round_mode_16_64 0
		.amdhsa_float_denorm_mode_32 3
		.amdhsa_float_denorm_mode_16_64 3
		.amdhsa_dx10_clamp 1
		.amdhsa_ieee_mode 1
		.amdhsa_fp16_overflow 0
		.amdhsa_workgroup_processor_mode 1
		.amdhsa_memory_ordered 1
		.amdhsa_forward_progress 1
		.amdhsa_shared_vgpr_count 0
		.amdhsa_exception_fp_ieee_invalid_op 0
		.amdhsa_exception_fp_denorm_src 0
		.amdhsa_exception_fp_ieee_div_zero 0
		.amdhsa_exception_fp_ieee_overflow 0
		.amdhsa_exception_fp_ieee_underflow 0
		.amdhsa_exception_fp_ieee_inexact 0
		.amdhsa_exception_int_div_zero 0
	.end_amdhsa_kernel
	.section	.text._ZN7rocprim17ROCPRIM_400000_NS6detail17trampoline_kernelINS0_13select_configILj256ELj13ELNS0_17block_load_methodE3ELS4_3ELS4_3ELNS0_20block_scan_algorithmE0ELj4294967295EEENS1_25partition_config_selectorILNS1_17partition_subalgoE3EjNS0_10empty_typeEbEEZZNS1_14partition_implILS8_3ELb0ES6_jNS0_17counting_iteratorIjlEEPS9_SE_NS0_5tupleIJPjSE_EEENSF_IJSE_SE_EEES9_SG_JZNS1_25segmented_radix_sort_implINS0_14default_configELb1EPKlPlSM_SN_N2at6native12_GLOBAL__N_18offset_tEEE10hipError_tPvRmT1_PNSt15iterator_traitsISV_E10value_typeET2_T3_PNSW_IS11_E10value_typeET4_jRbjT5_S17_jjP12ihipStream_tbEUljE_EEESS_ST_SU_S11_S15_S17_T6_T7_T9_mT8_S19_bDpT10_ENKUlT_T0_E_clISt17integral_constantIbLb1EES1L_IbLb0EEEEDaS1H_S1I_EUlS1H_E_NS1_11comp_targetILNS1_3genE9ELNS1_11target_archE1100ELNS1_3gpuE3ELNS1_3repE0EEENS1_30default_config_static_selectorELNS0_4arch9wavefront6targetE0EEEvSV_,"axG",@progbits,_ZN7rocprim17ROCPRIM_400000_NS6detail17trampoline_kernelINS0_13select_configILj256ELj13ELNS0_17block_load_methodE3ELS4_3ELS4_3ELNS0_20block_scan_algorithmE0ELj4294967295EEENS1_25partition_config_selectorILNS1_17partition_subalgoE3EjNS0_10empty_typeEbEEZZNS1_14partition_implILS8_3ELb0ES6_jNS0_17counting_iteratorIjlEEPS9_SE_NS0_5tupleIJPjSE_EEENSF_IJSE_SE_EEES9_SG_JZNS1_25segmented_radix_sort_implINS0_14default_configELb1EPKlPlSM_SN_N2at6native12_GLOBAL__N_18offset_tEEE10hipError_tPvRmT1_PNSt15iterator_traitsISV_E10value_typeET2_T3_PNSW_IS11_E10value_typeET4_jRbjT5_S17_jjP12ihipStream_tbEUljE_EEESS_ST_SU_S11_S15_S17_T6_T7_T9_mT8_S19_bDpT10_ENKUlT_T0_E_clISt17integral_constantIbLb1EES1L_IbLb0EEEEDaS1H_S1I_EUlS1H_E_NS1_11comp_targetILNS1_3genE9ELNS1_11target_archE1100ELNS1_3gpuE3ELNS1_3repE0EEENS1_30default_config_static_selectorELNS0_4arch9wavefront6targetE0EEEvSV_,comdat
.Lfunc_end688:
	.size	_ZN7rocprim17ROCPRIM_400000_NS6detail17trampoline_kernelINS0_13select_configILj256ELj13ELNS0_17block_load_methodE3ELS4_3ELS4_3ELNS0_20block_scan_algorithmE0ELj4294967295EEENS1_25partition_config_selectorILNS1_17partition_subalgoE3EjNS0_10empty_typeEbEEZZNS1_14partition_implILS8_3ELb0ES6_jNS0_17counting_iteratorIjlEEPS9_SE_NS0_5tupleIJPjSE_EEENSF_IJSE_SE_EEES9_SG_JZNS1_25segmented_radix_sort_implINS0_14default_configELb1EPKlPlSM_SN_N2at6native12_GLOBAL__N_18offset_tEEE10hipError_tPvRmT1_PNSt15iterator_traitsISV_E10value_typeET2_T3_PNSW_IS11_E10value_typeET4_jRbjT5_S17_jjP12ihipStream_tbEUljE_EEESS_ST_SU_S11_S15_S17_T6_T7_T9_mT8_S19_bDpT10_ENKUlT_T0_E_clISt17integral_constantIbLb1EES1L_IbLb0EEEEDaS1H_S1I_EUlS1H_E_NS1_11comp_targetILNS1_3genE9ELNS1_11target_archE1100ELNS1_3gpuE3ELNS1_3repE0EEENS1_30default_config_static_selectorELNS0_4arch9wavefront6targetE0EEEvSV_, .Lfunc_end688-_ZN7rocprim17ROCPRIM_400000_NS6detail17trampoline_kernelINS0_13select_configILj256ELj13ELNS0_17block_load_methodE3ELS4_3ELS4_3ELNS0_20block_scan_algorithmE0ELj4294967295EEENS1_25partition_config_selectorILNS1_17partition_subalgoE3EjNS0_10empty_typeEbEEZZNS1_14partition_implILS8_3ELb0ES6_jNS0_17counting_iteratorIjlEEPS9_SE_NS0_5tupleIJPjSE_EEENSF_IJSE_SE_EEES9_SG_JZNS1_25segmented_radix_sort_implINS0_14default_configELb1EPKlPlSM_SN_N2at6native12_GLOBAL__N_18offset_tEEE10hipError_tPvRmT1_PNSt15iterator_traitsISV_E10value_typeET2_T3_PNSW_IS11_E10value_typeET4_jRbjT5_S17_jjP12ihipStream_tbEUljE_EEESS_ST_SU_S11_S15_S17_T6_T7_T9_mT8_S19_bDpT10_ENKUlT_T0_E_clISt17integral_constantIbLb1EES1L_IbLb0EEEEDaS1H_S1I_EUlS1H_E_NS1_11comp_targetILNS1_3genE9ELNS1_11target_archE1100ELNS1_3gpuE3ELNS1_3repE0EEENS1_30default_config_static_selectorELNS0_4arch9wavefront6targetE0EEEvSV_
                                        ; -- End function
	.set _ZN7rocprim17ROCPRIM_400000_NS6detail17trampoline_kernelINS0_13select_configILj256ELj13ELNS0_17block_load_methodE3ELS4_3ELS4_3ELNS0_20block_scan_algorithmE0ELj4294967295EEENS1_25partition_config_selectorILNS1_17partition_subalgoE3EjNS0_10empty_typeEbEEZZNS1_14partition_implILS8_3ELb0ES6_jNS0_17counting_iteratorIjlEEPS9_SE_NS0_5tupleIJPjSE_EEENSF_IJSE_SE_EEES9_SG_JZNS1_25segmented_radix_sort_implINS0_14default_configELb1EPKlPlSM_SN_N2at6native12_GLOBAL__N_18offset_tEEE10hipError_tPvRmT1_PNSt15iterator_traitsISV_E10value_typeET2_T3_PNSW_IS11_E10value_typeET4_jRbjT5_S17_jjP12ihipStream_tbEUljE_EEESS_ST_SU_S11_S15_S17_T6_T7_T9_mT8_S19_bDpT10_ENKUlT_T0_E_clISt17integral_constantIbLb1EES1L_IbLb0EEEEDaS1H_S1I_EUlS1H_E_NS1_11comp_targetILNS1_3genE9ELNS1_11target_archE1100ELNS1_3gpuE3ELNS1_3repE0EEENS1_30default_config_static_selectorELNS0_4arch9wavefront6targetE0EEEvSV_.num_vgpr, 0
	.set _ZN7rocprim17ROCPRIM_400000_NS6detail17trampoline_kernelINS0_13select_configILj256ELj13ELNS0_17block_load_methodE3ELS4_3ELS4_3ELNS0_20block_scan_algorithmE0ELj4294967295EEENS1_25partition_config_selectorILNS1_17partition_subalgoE3EjNS0_10empty_typeEbEEZZNS1_14partition_implILS8_3ELb0ES6_jNS0_17counting_iteratorIjlEEPS9_SE_NS0_5tupleIJPjSE_EEENSF_IJSE_SE_EEES9_SG_JZNS1_25segmented_radix_sort_implINS0_14default_configELb1EPKlPlSM_SN_N2at6native12_GLOBAL__N_18offset_tEEE10hipError_tPvRmT1_PNSt15iterator_traitsISV_E10value_typeET2_T3_PNSW_IS11_E10value_typeET4_jRbjT5_S17_jjP12ihipStream_tbEUljE_EEESS_ST_SU_S11_S15_S17_T6_T7_T9_mT8_S19_bDpT10_ENKUlT_T0_E_clISt17integral_constantIbLb1EES1L_IbLb0EEEEDaS1H_S1I_EUlS1H_E_NS1_11comp_targetILNS1_3genE9ELNS1_11target_archE1100ELNS1_3gpuE3ELNS1_3repE0EEENS1_30default_config_static_selectorELNS0_4arch9wavefront6targetE0EEEvSV_.num_agpr, 0
	.set _ZN7rocprim17ROCPRIM_400000_NS6detail17trampoline_kernelINS0_13select_configILj256ELj13ELNS0_17block_load_methodE3ELS4_3ELS4_3ELNS0_20block_scan_algorithmE0ELj4294967295EEENS1_25partition_config_selectorILNS1_17partition_subalgoE3EjNS0_10empty_typeEbEEZZNS1_14partition_implILS8_3ELb0ES6_jNS0_17counting_iteratorIjlEEPS9_SE_NS0_5tupleIJPjSE_EEENSF_IJSE_SE_EEES9_SG_JZNS1_25segmented_radix_sort_implINS0_14default_configELb1EPKlPlSM_SN_N2at6native12_GLOBAL__N_18offset_tEEE10hipError_tPvRmT1_PNSt15iterator_traitsISV_E10value_typeET2_T3_PNSW_IS11_E10value_typeET4_jRbjT5_S17_jjP12ihipStream_tbEUljE_EEESS_ST_SU_S11_S15_S17_T6_T7_T9_mT8_S19_bDpT10_ENKUlT_T0_E_clISt17integral_constantIbLb1EES1L_IbLb0EEEEDaS1H_S1I_EUlS1H_E_NS1_11comp_targetILNS1_3genE9ELNS1_11target_archE1100ELNS1_3gpuE3ELNS1_3repE0EEENS1_30default_config_static_selectorELNS0_4arch9wavefront6targetE0EEEvSV_.numbered_sgpr, 0
	.set _ZN7rocprim17ROCPRIM_400000_NS6detail17trampoline_kernelINS0_13select_configILj256ELj13ELNS0_17block_load_methodE3ELS4_3ELS4_3ELNS0_20block_scan_algorithmE0ELj4294967295EEENS1_25partition_config_selectorILNS1_17partition_subalgoE3EjNS0_10empty_typeEbEEZZNS1_14partition_implILS8_3ELb0ES6_jNS0_17counting_iteratorIjlEEPS9_SE_NS0_5tupleIJPjSE_EEENSF_IJSE_SE_EEES9_SG_JZNS1_25segmented_radix_sort_implINS0_14default_configELb1EPKlPlSM_SN_N2at6native12_GLOBAL__N_18offset_tEEE10hipError_tPvRmT1_PNSt15iterator_traitsISV_E10value_typeET2_T3_PNSW_IS11_E10value_typeET4_jRbjT5_S17_jjP12ihipStream_tbEUljE_EEESS_ST_SU_S11_S15_S17_T6_T7_T9_mT8_S19_bDpT10_ENKUlT_T0_E_clISt17integral_constantIbLb1EES1L_IbLb0EEEEDaS1H_S1I_EUlS1H_E_NS1_11comp_targetILNS1_3genE9ELNS1_11target_archE1100ELNS1_3gpuE3ELNS1_3repE0EEENS1_30default_config_static_selectorELNS0_4arch9wavefront6targetE0EEEvSV_.num_named_barrier, 0
	.set _ZN7rocprim17ROCPRIM_400000_NS6detail17trampoline_kernelINS0_13select_configILj256ELj13ELNS0_17block_load_methodE3ELS4_3ELS4_3ELNS0_20block_scan_algorithmE0ELj4294967295EEENS1_25partition_config_selectorILNS1_17partition_subalgoE3EjNS0_10empty_typeEbEEZZNS1_14partition_implILS8_3ELb0ES6_jNS0_17counting_iteratorIjlEEPS9_SE_NS0_5tupleIJPjSE_EEENSF_IJSE_SE_EEES9_SG_JZNS1_25segmented_radix_sort_implINS0_14default_configELb1EPKlPlSM_SN_N2at6native12_GLOBAL__N_18offset_tEEE10hipError_tPvRmT1_PNSt15iterator_traitsISV_E10value_typeET2_T3_PNSW_IS11_E10value_typeET4_jRbjT5_S17_jjP12ihipStream_tbEUljE_EEESS_ST_SU_S11_S15_S17_T6_T7_T9_mT8_S19_bDpT10_ENKUlT_T0_E_clISt17integral_constantIbLb1EES1L_IbLb0EEEEDaS1H_S1I_EUlS1H_E_NS1_11comp_targetILNS1_3genE9ELNS1_11target_archE1100ELNS1_3gpuE3ELNS1_3repE0EEENS1_30default_config_static_selectorELNS0_4arch9wavefront6targetE0EEEvSV_.private_seg_size, 0
	.set _ZN7rocprim17ROCPRIM_400000_NS6detail17trampoline_kernelINS0_13select_configILj256ELj13ELNS0_17block_load_methodE3ELS4_3ELS4_3ELNS0_20block_scan_algorithmE0ELj4294967295EEENS1_25partition_config_selectorILNS1_17partition_subalgoE3EjNS0_10empty_typeEbEEZZNS1_14partition_implILS8_3ELb0ES6_jNS0_17counting_iteratorIjlEEPS9_SE_NS0_5tupleIJPjSE_EEENSF_IJSE_SE_EEES9_SG_JZNS1_25segmented_radix_sort_implINS0_14default_configELb1EPKlPlSM_SN_N2at6native12_GLOBAL__N_18offset_tEEE10hipError_tPvRmT1_PNSt15iterator_traitsISV_E10value_typeET2_T3_PNSW_IS11_E10value_typeET4_jRbjT5_S17_jjP12ihipStream_tbEUljE_EEESS_ST_SU_S11_S15_S17_T6_T7_T9_mT8_S19_bDpT10_ENKUlT_T0_E_clISt17integral_constantIbLb1EES1L_IbLb0EEEEDaS1H_S1I_EUlS1H_E_NS1_11comp_targetILNS1_3genE9ELNS1_11target_archE1100ELNS1_3gpuE3ELNS1_3repE0EEENS1_30default_config_static_selectorELNS0_4arch9wavefront6targetE0EEEvSV_.uses_vcc, 0
	.set _ZN7rocprim17ROCPRIM_400000_NS6detail17trampoline_kernelINS0_13select_configILj256ELj13ELNS0_17block_load_methodE3ELS4_3ELS4_3ELNS0_20block_scan_algorithmE0ELj4294967295EEENS1_25partition_config_selectorILNS1_17partition_subalgoE3EjNS0_10empty_typeEbEEZZNS1_14partition_implILS8_3ELb0ES6_jNS0_17counting_iteratorIjlEEPS9_SE_NS0_5tupleIJPjSE_EEENSF_IJSE_SE_EEES9_SG_JZNS1_25segmented_radix_sort_implINS0_14default_configELb1EPKlPlSM_SN_N2at6native12_GLOBAL__N_18offset_tEEE10hipError_tPvRmT1_PNSt15iterator_traitsISV_E10value_typeET2_T3_PNSW_IS11_E10value_typeET4_jRbjT5_S17_jjP12ihipStream_tbEUljE_EEESS_ST_SU_S11_S15_S17_T6_T7_T9_mT8_S19_bDpT10_ENKUlT_T0_E_clISt17integral_constantIbLb1EES1L_IbLb0EEEEDaS1H_S1I_EUlS1H_E_NS1_11comp_targetILNS1_3genE9ELNS1_11target_archE1100ELNS1_3gpuE3ELNS1_3repE0EEENS1_30default_config_static_selectorELNS0_4arch9wavefront6targetE0EEEvSV_.uses_flat_scratch, 0
	.set _ZN7rocprim17ROCPRIM_400000_NS6detail17trampoline_kernelINS0_13select_configILj256ELj13ELNS0_17block_load_methodE3ELS4_3ELS4_3ELNS0_20block_scan_algorithmE0ELj4294967295EEENS1_25partition_config_selectorILNS1_17partition_subalgoE3EjNS0_10empty_typeEbEEZZNS1_14partition_implILS8_3ELb0ES6_jNS0_17counting_iteratorIjlEEPS9_SE_NS0_5tupleIJPjSE_EEENSF_IJSE_SE_EEES9_SG_JZNS1_25segmented_radix_sort_implINS0_14default_configELb1EPKlPlSM_SN_N2at6native12_GLOBAL__N_18offset_tEEE10hipError_tPvRmT1_PNSt15iterator_traitsISV_E10value_typeET2_T3_PNSW_IS11_E10value_typeET4_jRbjT5_S17_jjP12ihipStream_tbEUljE_EEESS_ST_SU_S11_S15_S17_T6_T7_T9_mT8_S19_bDpT10_ENKUlT_T0_E_clISt17integral_constantIbLb1EES1L_IbLb0EEEEDaS1H_S1I_EUlS1H_E_NS1_11comp_targetILNS1_3genE9ELNS1_11target_archE1100ELNS1_3gpuE3ELNS1_3repE0EEENS1_30default_config_static_selectorELNS0_4arch9wavefront6targetE0EEEvSV_.has_dyn_sized_stack, 0
	.set _ZN7rocprim17ROCPRIM_400000_NS6detail17trampoline_kernelINS0_13select_configILj256ELj13ELNS0_17block_load_methodE3ELS4_3ELS4_3ELNS0_20block_scan_algorithmE0ELj4294967295EEENS1_25partition_config_selectorILNS1_17partition_subalgoE3EjNS0_10empty_typeEbEEZZNS1_14partition_implILS8_3ELb0ES6_jNS0_17counting_iteratorIjlEEPS9_SE_NS0_5tupleIJPjSE_EEENSF_IJSE_SE_EEES9_SG_JZNS1_25segmented_radix_sort_implINS0_14default_configELb1EPKlPlSM_SN_N2at6native12_GLOBAL__N_18offset_tEEE10hipError_tPvRmT1_PNSt15iterator_traitsISV_E10value_typeET2_T3_PNSW_IS11_E10value_typeET4_jRbjT5_S17_jjP12ihipStream_tbEUljE_EEESS_ST_SU_S11_S15_S17_T6_T7_T9_mT8_S19_bDpT10_ENKUlT_T0_E_clISt17integral_constantIbLb1EES1L_IbLb0EEEEDaS1H_S1I_EUlS1H_E_NS1_11comp_targetILNS1_3genE9ELNS1_11target_archE1100ELNS1_3gpuE3ELNS1_3repE0EEENS1_30default_config_static_selectorELNS0_4arch9wavefront6targetE0EEEvSV_.has_recursion, 0
	.set _ZN7rocprim17ROCPRIM_400000_NS6detail17trampoline_kernelINS0_13select_configILj256ELj13ELNS0_17block_load_methodE3ELS4_3ELS4_3ELNS0_20block_scan_algorithmE0ELj4294967295EEENS1_25partition_config_selectorILNS1_17partition_subalgoE3EjNS0_10empty_typeEbEEZZNS1_14partition_implILS8_3ELb0ES6_jNS0_17counting_iteratorIjlEEPS9_SE_NS0_5tupleIJPjSE_EEENSF_IJSE_SE_EEES9_SG_JZNS1_25segmented_radix_sort_implINS0_14default_configELb1EPKlPlSM_SN_N2at6native12_GLOBAL__N_18offset_tEEE10hipError_tPvRmT1_PNSt15iterator_traitsISV_E10value_typeET2_T3_PNSW_IS11_E10value_typeET4_jRbjT5_S17_jjP12ihipStream_tbEUljE_EEESS_ST_SU_S11_S15_S17_T6_T7_T9_mT8_S19_bDpT10_ENKUlT_T0_E_clISt17integral_constantIbLb1EES1L_IbLb0EEEEDaS1H_S1I_EUlS1H_E_NS1_11comp_targetILNS1_3genE9ELNS1_11target_archE1100ELNS1_3gpuE3ELNS1_3repE0EEENS1_30default_config_static_selectorELNS0_4arch9wavefront6targetE0EEEvSV_.has_indirect_call, 0
	.section	.AMDGPU.csdata,"",@progbits
; Kernel info:
; codeLenInByte = 0
; TotalNumSgprs: 0
; NumVgprs: 0
; ScratchSize: 0
; MemoryBound: 0
; FloatMode: 240
; IeeeMode: 1
; LDSByteSize: 0 bytes/workgroup (compile time only)
; SGPRBlocks: 0
; VGPRBlocks: 0
; NumSGPRsForWavesPerEU: 1
; NumVGPRsForWavesPerEU: 1
; Occupancy: 16
; WaveLimiterHint : 0
; COMPUTE_PGM_RSRC2:SCRATCH_EN: 0
; COMPUTE_PGM_RSRC2:USER_SGPR: 6
; COMPUTE_PGM_RSRC2:TRAP_HANDLER: 0
; COMPUTE_PGM_RSRC2:TGID_X_EN: 1
; COMPUTE_PGM_RSRC2:TGID_Y_EN: 0
; COMPUTE_PGM_RSRC2:TGID_Z_EN: 0
; COMPUTE_PGM_RSRC2:TIDIG_COMP_CNT: 0
	.section	.text._ZN7rocprim17ROCPRIM_400000_NS6detail17trampoline_kernelINS0_13select_configILj256ELj13ELNS0_17block_load_methodE3ELS4_3ELS4_3ELNS0_20block_scan_algorithmE0ELj4294967295EEENS1_25partition_config_selectorILNS1_17partition_subalgoE3EjNS0_10empty_typeEbEEZZNS1_14partition_implILS8_3ELb0ES6_jNS0_17counting_iteratorIjlEEPS9_SE_NS0_5tupleIJPjSE_EEENSF_IJSE_SE_EEES9_SG_JZNS1_25segmented_radix_sort_implINS0_14default_configELb1EPKlPlSM_SN_N2at6native12_GLOBAL__N_18offset_tEEE10hipError_tPvRmT1_PNSt15iterator_traitsISV_E10value_typeET2_T3_PNSW_IS11_E10value_typeET4_jRbjT5_S17_jjP12ihipStream_tbEUljE_EEESS_ST_SU_S11_S15_S17_T6_T7_T9_mT8_S19_bDpT10_ENKUlT_T0_E_clISt17integral_constantIbLb1EES1L_IbLb0EEEEDaS1H_S1I_EUlS1H_E_NS1_11comp_targetILNS1_3genE8ELNS1_11target_archE1030ELNS1_3gpuE2ELNS1_3repE0EEENS1_30default_config_static_selectorELNS0_4arch9wavefront6targetE0EEEvSV_,"axG",@progbits,_ZN7rocprim17ROCPRIM_400000_NS6detail17trampoline_kernelINS0_13select_configILj256ELj13ELNS0_17block_load_methodE3ELS4_3ELS4_3ELNS0_20block_scan_algorithmE0ELj4294967295EEENS1_25partition_config_selectorILNS1_17partition_subalgoE3EjNS0_10empty_typeEbEEZZNS1_14partition_implILS8_3ELb0ES6_jNS0_17counting_iteratorIjlEEPS9_SE_NS0_5tupleIJPjSE_EEENSF_IJSE_SE_EEES9_SG_JZNS1_25segmented_radix_sort_implINS0_14default_configELb1EPKlPlSM_SN_N2at6native12_GLOBAL__N_18offset_tEEE10hipError_tPvRmT1_PNSt15iterator_traitsISV_E10value_typeET2_T3_PNSW_IS11_E10value_typeET4_jRbjT5_S17_jjP12ihipStream_tbEUljE_EEESS_ST_SU_S11_S15_S17_T6_T7_T9_mT8_S19_bDpT10_ENKUlT_T0_E_clISt17integral_constantIbLb1EES1L_IbLb0EEEEDaS1H_S1I_EUlS1H_E_NS1_11comp_targetILNS1_3genE8ELNS1_11target_archE1030ELNS1_3gpuE2ELNS1_3repE0EEENS1_30default_config_static_selectorELNS0_4arch9wavefront6targetE0EEEvSV_,comdat
	.globl	_ZN7rocprim17ROCPRIM_400000_NS6detail17trampoline_kernelINS0_13select_configILj256ELj13ELNS0_17block_load_methodE3ELS4_3ELS4_3ELNS0_20block_scan_algorithmE0ELj4294967295EEENS1_25partition_config_selectorILNS1_17partition_subalgoE3EjNS0_10empty_typeEbEEZZNS1_14partition_implILS8_3ELb0ES6_jNS0_17counting_iteratorIjlEEPS9_SE_NS0_5tupleIJPjSE_EEENSF_IJSE_SE_EEES9_SG_JZNS1_25segmented_radix_sort_implINS0_14default_configELb1EPKlPlSM_SN_N2at6native12_GLOBAL__N_18offset_tEEE10hipError_tPvRmT1_PNSt15iterator_traitsISV_E10value_typeET2_T3_PNSW_IS11_E10value_typeET4_jRbjT5_S17_jjP12ihipStream_tbEUljE_EEESS_ST_SU_S11_S15_S17_T6_T7_T9_mT8_S19_bDpT10_ENKUlT_T0_E_clISt17integral_constantIbLb1EES1L_IbLb0EEEEDaS1H_S1I_EUlS1H_E_NS1_11comp_targetILNS1_3genE8ELNS1_11target_archE1030ELNS1_3gpuE2ELNS1_3repE0EEENS1_30default_config_static_selectorELNS0_4arch9wavefront6targetE0EEEvSV_ ; -- Begin function _ZN7rocprim17ROCPRIM_400000_NS6detail17trampoline_kernelINS0_13select_configILj256ELj13ELNS0_17block_load_methodE3ELS4_3ELS4_3ELNS0_20block_scan_algorithmE0ELj4294967295EEENS1_25partition_config_selectorILNS1_17partition_subalgoE3EjNS0_10empty_typeEbEEZZNS1_14partition_implILS8_3ELb0ES6_jNS0_17counting_iteratorIjlEEPS9_SE_NS0_5tupleIJPjSE_EEENSF_IJSE_SE_EEES9_SG_JZNS1_25segmented_radix_sort_implINS0_14default_configELb1EPKlPlSM_SN_N2at6native12_GLOBAL__N_18offset_tEEE10hipError_tPvRmT1_PNSt15iterator_traitsISV_E10value_typeET2_T3_PNSW_IS11_E10value_typeET4_jRbjT5_S17_jjP12ihipStream_tbEUljE_EEESS_ST_SU_S11_S15_S17_T6_T7_T9_mT8_S19_bDpT10_ENKUlT_T0_E_clISt17integral_constantIbLb1EES1L_IbLb0EEEEDaS1H_S1I_EUlS1H_E_NS1_11comp_targetILNS1_3genE8ELNS1_11target_archE1030ELNS1_3gpuE2ELNS1_3repE0EEENS1_30default_config_static_selectorELNS0_4arch9wavefront6targetE0EEEvSV_
	.p2align	8
	.type	_ZN7rocprim17ROCPRIM_400000_NS6detail17trampoline_kernelINS0_13select_configILj256ELj13ELNS0_17block_load_methodE3ELS4_3ELS4_3ELNS0_20block_scan_algorithmE0ELj4294967295EEENS1_25partition_config_selectorILNS1_17partition_subalgoE3EjNS0_10empty_typeEbEEZZNS1_14partition_implILS8_3ELb0ES6_jNS0_17counting_iteratorIjlEEPS9_SE_NS0_5tupleIJPjSE_EEENSF_IJSE_SE_EEES9_SG_JZNS1_25segmented_radix_sort_implINS0_14default_configELb1EPKlPlSM_SN_N2at6native12_GLOBAL__N_18offset_tEEE10hipError_tPvRmT1_PNSt15iterator_traitsISV_E10value_typeET2_T3_PNSW_IS11_E10value_typeET4_jRbjT5_S17_jjP12ihipStream_tbEUljE_EEESS_ST_SU_S11_S15_S17_T6_T7_T9_mT8_S19_bDpT10_ENKUlT_T0_E_clISt17integral_constantIbLb1EES1L_IbLb0EEEEDaS1H_S1I_EUlS1H_E_NS1_11comp_targetILNS1_3genE8ELNS1_11target_archE1030ELNS1_3gpuE2ELNS1_3repE0EEENS1_30default_config_static_selectorELNS0_4arch9wavefront6targetE0EEEvSV_,@function
_ZN7rocprim17ROCPRIM_400000_NS6detail17trampoline_kernelINS0_13select_configILj256ELj13ELNS0_17block_load_methodE3ELS4_3ELS4_3ELNS0_20block_scan_algorithmE0ELj4294967295EEENS1_25partition_config_selectorILNS1_17partition_subalgoE3EjNS0_10empty_typeEbEEZZNS1_14partition_implILS8_3ELb0ES6_jNS0_17counting_iteratorIjlEEPS9_SE_NS0_5tupleIJPjSE_EEENSF_IJSE_SE_EEES9_SG_JZNS1_25segmented_radix_sort_implINS0_14default_configELb1EPKlPlSM_SN_N2at6native12_GLOBAL__N_18offset_tEEE10hipError_tPvRmT1_PNSt15iterator_traitsISV_E10value_typeET2_T3_PNSW_IS11_E10value_typeET4_jRbjT5_S17_jjP12ihipStream_tbEUljE_EEESS_ST_SU_S11_S15_S17_T6_T7_T9_mT8_S19_bDpT10_ENKUlT_T0_E_clISt17integral_constantIbLb1EES1L_IbLb0EEEEDaS1H_S1I_EUlS1H_E_NS1_11comp_targetILNS1_3genE8ELNS1_11target_archE1030ELNS1_3gpuE2ELNS1_3repE0EEENS1_30default_config_static_selectorELNS0_4arch9wavefront6targetE0EEEvSV_: ; @_ZN7rocprim17ROCPRIM_400000_NS6detail17trampoline_kernelINS0_13select_configILj256ELj13ELNS0_17block_load_methodE3ELS4_3ELS4_3ELNS0_20block_scan_algorithmE0ELj4294967295EEENS1_25partition_config_selectorILNS1_17partition_subalgoE3EjNS0_10empty_typeEbEEZZNS1_14partition_implILS8_3ELb0ES6_jNS0_17counting_iteratorIjlEEPS9_SE_NS0_5tupleIJPjSE_EEENSF_IJSE_SE_EEES9_SG_JZNS1_25segmented_radix_sort_implINS0_14default_configELb1EPKlPlSM_SN_N2at6native12_GLOBAL__N_18offset_tEEE10hipError_tPvRmT1_PNSt15iterator_traitsISV_E10value_typeET2_T3_PNSW_IS11_E10value_typeET4_jRbjT5_S17_jjP12ihipStream_tbEUljE_EEESS_ST_SU_S11_S15_S17_T6_T7_T9_mT8_S19_bDpT10_ENKUlT_T0_E_clISt17integral_constantIbLb1EES1L_IbLb0EEEEDaS1H_S1I_EUlS1H_E_NS1_11comp_targetILNS1_3genE8ELNS1_11target_archE1030ELNS1_3gpuE2ELNS1_3repE0EEENS1_30default_config_static_selectorELNS0_4arch9wavefront6targetE0EEEvSV_
; %bb.0:
	s_endpgm
	.section	.rodata,"a",@progbits
	.p2align	6, 0x0
	.amdhsa_kernel _ZN7rocprim17ROCPRIM_400000_NS6detail17trampoline_kernelINS0_13select_configILj256ELj13ELNS0_17block_load_methodE3ELS4_3ELS4_3ELNS0_20block_scan_algorithmE0ELj4294967295EEENS1_25partition_config_selectorILNS1_17partition_subalgoE3EjNS0_10empty_typeEbEEZZNS1_14partition_implILS8_3ELb0ES6_jNS0_17counting_iteratorIjlEEPS9_SE_NS0_5tupleIJPjSE_EEENSF_IJSE_SE_EEES9_SG_JZNS1_25segmented_radix_sort_implINS0_14default_configELb1EPKlPlSM_SN_N2at6native12_GLOBAL__N_18offset_tEEE10hipError_tPvRmT1_PNSt15iterator_traitsISV_E10value_typeET2_T3_PNSW_IS11_E10value_typeET4_jRbjT5_S17_jjP12ihipStream_tbEUljE_EEESS_ST_SU_S11_S15_S17_T6_T7_T9_mT8_S19_bDpT10_ENKUlT_T0_E_clISt17integral_constantIbLb1EES1L_IbLb0EEEEDaS1H_S1I_EUlS1H_E_NS1_11comp_targetILNS1_3genE8ELNS1_11target_archE1030ELNS1_3gpuE2ELNS1_3repE0EEENS1_30default_config_static_selectorELNS0_4arch9wavefront6targetE0EEEvSV_
		.amdhsa_group_segment_fixed_size 0
		.amdhsa_private_segment_fixed_size 0
		.amdhsa_kernarg_size 144
		.amdhsa_user_sgpr_count 6
		.amdhsa_user_sgpr_private_segment_buffer 1
		.amdhsa_user_sgpr_dispatch_ptr 0
		.amdhsa_user_sgpr_queue_ptr 0
		.amdhsa_user_sgpr_kernarg_segment_ptr 1
		.amdhsa_user_sgpr_dispatch_id 0
		.amdhsa_user_sgpr_flat_scratch_init 0
		.amdhsa_user_sgpr_private_segment_size 0
		.amdhsa_wavefront_size32 1
		.amdhsa_uses_dynamic_stack 0
		.amdhsa_system_sgpr_private_segment_wavefront_offset 0
		.amdhsa_system_sgpr_workgroup_id_x 1
		.amdhsa_system_sgpr_workgroup_id_y 0
		.amdhsa_system_sgpr_workgroup_id_z 0
		.amdhsa_system_sgpr_workgroup_info 0
		.amdhsa_system_vgpr_workitem_id 0
		.amdhsa_next_free_vgpr 1
		.amdhsa_next_free_sgpr 1
		.amdhsa_reserve_vcc 0
		.amdhsa_reserve_flat_scratch 0
		.amdhsa_float_round_mode_32 0
		.amdhsa_float_round_mode_16_64 0
		.amdhsa_float_denorm_mode_32 3
		.amdhsa_float_denorm_mode_16_64 3
		.amdhsa_dx10_clamp 1
		.amdhsa_ieee_mode 1
		.amdhsa_fp16_overflow 0
		.amdhsa_workgroup_processor_mode 1
		.amdhsa_memory_ordered 1
		.amdhsa_forward_progress 1
		.amdhsa_shared_vgpr_count 0
		.amdhsa_exception_fp_ieee_invalid_op 0
		.amdhsa_exception_fp_denorm_src 0
		.amdhsa_exception_fp_ieee_div_zero 0
		.amdhsa_exception_fp_ieee_overflow 0
		.amdhsa_exception_fp_ieee_underflow 0
		.amdhsa_exception_fp_ieee_inexact 0
		.amdhsa_exception_int_div_zero 0
	.end_amdhsa_kernel
	.section	.text._ZN7rocprim17ROCPRIM_400000_NS6detail17trampoline_kernelINS0_13select_configILj256ELj13ELNS0_17block_load_methodE3ELS4_3ELS4_3ELNS0_20block_scan_algorithmE0ELj4294967295EEENS1_25partition_config_selectorILNS1_17partition_subalgoE3EjNS0_10empty_typeEbEEZZNS1_14partition_implILS8_3ELb0ES6_jNS0_17counting_iteratorIjlEEPS9_SE_NS0_5tupleIJPjSE_EEENSF_IJSE_SE_EEES9_SG_JZNS1_25segmented_radix_sort_implINS0_14default_configELb1EPKlPlSM_SN_N2at6native12_GLOBAL__N_18offset_tEEE10hipError_tPvRmT1_PNSt15iterator_traitsISV_E10value_typeET2_T3_PNSW_IS11_E10value_typeET4_jRbjT5_S17_jjP12ihipStream_tbEUljE_EEESS_ST_SU_S11_S15_S17_T6_T7_T9_mT8_S19_bDpT10_ENKUlT_T0_E_clISt17integral_constantIbLb1EES1L_IbLb0EEEEDaS1H_S1I_EUlS1H_E_NS1_11comp_targetILNS1_3genE8ELNS1_11target_archE1030ELNS1_3gpuE2ELNS1_3repE0EEENS1_30default_config_static_selectorELNS0_4arch9wavefront6targetE0EEEvSV_,"axG",@progbits,_ZN7rocprim17ROCPRIM_400000_NS6detail17trampoline_kernelINS0_13select_configILj256ELj13ELNS0_17block_load_methodE3ELS4_3ELS4_3ELNS0_20block_scan_algorithmE0ELj4294967295EEENS1_25partition_config_selectorILNS1_17partition_subalgoE3EjNS0_10empty_typeEbEEZZNS1_14partition_implILS8_3ELb0ES6_jNS0_17counting_iteratorIjlEEPS9_SE_NS0_5tupleIJPjSE_EEENSF_IJSE_SE_EEES9_SG_JZNS1_25segmented_radix_sort_implINS0_14default_configELb1EPKlPlSM_SN_N2at6native12_GLOBAL__N_18offset_tEEE10hipError_tPvRmT1_PNSt15iterator_traitsISV_E10value_typeET2_T3_PNSW_IS11_E10value_typeET4_jRbjT5_S17_jjP12ihipStream_tbEUljE_EEESS_ST_SU_S11_S15_S17_T6_T7_T9_mT8_S19_bDpT10_ENKUlT_T0_E_clISt17integral_constantIbLb1EES1L_IbLb0EEEEDaS1H_S1I_EUlS1H_E_NS1_11comp_targetILNS1_3genE8ELNS1_11target_archE1030ELNS1_3gpuE2ELNS1_3repE0EEENS1_30default_config_static_selectorELNS0_4arch9wavefront6targetE0EEEvSV_,comdat
.Lfunc_end689:
	.size	_ZN7rocprim17ROCPRIM_400000_NS6detail17trampoline_kernelINS0_13select_configILj256ELj13ELNS0_17block_load_methodE3ELS4_3ELS4_3ELNS0_20block_scan_algorithmE0ELj4294967295EEENS1_25partition_config_selectorILNS1_17partition_subalgoE3EjNS0_10empty_typeEbEEZZNS1_14partition_implILS8_3ELb0ES6_jNS0_17counting_iteratorIjlEEPS9_SE_NS0_5tupleIJPjSE_EEENSF_IJSE_SE_EEES9_SG_JZNS1_25segmented_radix_sort_implINS0_14default_configELb1EPKlPlSM_SN_N2at6native12_GLOBAL__N_18offset_tEEE10hipError_tPvRmT1_PNSt15iterator_traitsISV_E10value_typeET2_T3_PNSW_IS11_E10value_typeET4_jRbjT5_S17_jjP12ihipStream_tbEUljE_EEESS_ST_SU_S11_S15_S17_T6_T7_T9_mT8_S19_bDpT10_ENKUlT_T0_E_clISt17integral_constantIbLb1EES1L_IbLb0EEEEDaS1H_S1I_EUlS1H_E_NS1_11comp_targetILNS1_3genE8ELNS1_11target_archE1030ELNS1_3gpuE2ELNS1_3repE0EEENS1_30default_config_static_selectorELNS0_4arch9wavefront6targetE0EEEvSV_, .Lfunc_end689-_ZN7rocprim17ROCPRIM_400000_NS6detail17trampoline_kernelINS0_13select_configILj256ELj13ELNS0_17block_load_methodE3ELS4_3ELS4_3ELNS0_20block_scan_algorithmE0ELj4294967295EEENS1_25partition_config_selectorILNS1_17partition_subalgoE3EjNS0_10empty_typeEbEEZZNS1_14partition_implILS8_3ELb0ES6_jNS0_17counting_iteratorIjlEEPS9_SE_NS0_5tupleIJPjSE_EEENSF_IJSE_SE_EEES9_SG_JZNS1_25segmented_radix_sort_implINS0_14default_configELb1EPKlPlSM_SN_N2at6native12_GLOBAL__N_18offset_tEEE10hipError_tPvRmT1_PNSt15iterator_traitsISV_E10value_typeET2_T3_PNSW_IS11_E10value_typeET4_jRbjT5_S17_jjP12ihipStream_tbEUljE_EEESS_ST_SU_S11_S15_S17_T6_T7_T9_mT8_S19_bDpT10_ENKUlT_T0_E_clISt17integral_constantIbLb1EES1L_IbLb0EEEEDaS1H_S1I_EUlS1H_E_NS1_11comp_targetILNS1_3genE8ELNS1_11target_archE1030ELNS1_3gpuE2ELNS1_3repE0EEENS1_30default_config_static_selectorELNS0_4arch9wavefront6targetE0EEEvSV_
                                        ; -- End function
	.set _ZN7rocprim17ROCPRIM_400000_NS6detail17trampoline_kernelINS0_13select_configILj256ELj13ELNS0_17block_load_methodE3ELS4_3ELS4_3ELNS0_20block_scan_algorithmE0ELj4294967295EEENS1_25partition_config_selectorILNS1_17partition_subalgoE3EjNS0_10empty_typeEbEEZZNS1_14partition_implILS8_3ELb0ES6_jNS0_17counting_iteratorIjlEEPS9_SE_NS0_5tupleIJPjSE_EEENSF_IJSE_SE_EEES9_SG_JZNS1_25segmented_radix_sort_implINS0_14default_configELb1EPKlPlSM_SN_N2at6native12_GLOBAL__N_18offset_tEEE10hipError_tPvRmT1_PNSt15iterator_traitsISV_E10value_typeET2_T3_PNSW_IS11_E10value_typeET4_jRbjT5_S17_jjP12ihipStream_tbEUljE_EEESS_ST_SU_S11_S15_S17_T6_T7_T9_mT8_S19_bDpT10_ENKUlT_T0_E_clISt17integral_constantIbLb1EES1L_IbLb0EEEEDaS1H_S1I_EUlS1H_E_NS1_11comp_targetILNS1_3genE8ELNS1_11target_archE1030ELNS1_3gpuE2ELNS1_3repE0EEENS1_30default_config_static_selectorELNS0_4arch9wavefront6targetE0EEEvSV_.num_vgpr, 0
	.set _ZN7rocprim17ROCPRIM_400000_NS6detail17trampoline_kernelINS0_13select_configILj256ELj13ELNS0_17block_load_methodE3ELS4_3ELS4_3ELNS0_20block_scan_algorithmE0ELj4294967295EEENS1_25partition_config_selectorILNS1_17partition_subalgoE3EjNS0_10empty_typeEbEEZZNS1_14partition_implILS8_3ELb0ES6_jNS0_17counting_iteratorIjlEEPS9_SE_NS0_5tupleIJPjSE_EEENSF_IJSE_SE_EEES9_SG_JZNS1_25segmented_radix_sort_implINS0_14default_configELb1EPKlPlSM_SN_N2at6native12_GLOBAL__N_18offset_tEEE10hipError_tPvRmT1_PNSt15iterator_traitsISV_E10value_typeET2_T3_PNSW_IS11_E10value_typeET4_jRbjT5_S17_jjP12ihipStream_tbEUljE_EEESS_ST_SU_S11_S15_S17_T6_T7_T9_mT8_S19_bDpT10_ENKUlT_T0_E_clISt17integral_constantIbLb1EES1L_IbLb0EEEEDaS1H_S1I_EUlS1H_E_NS1_11comp_targetILNS1_3genE8ELNS1_11target_archE1030ELNS1_3gpuE2ELNS1_3repE0EEENS1_30default_config_static_selectorELNS0_4arch9wavefront6targetE0EEEvSV_.num_agpr, 0
	.set _ZN7rocprim17ROCPRIM_400000_NS6detail17trampoline_kernelINS0_13select_configILj256ELj13ELNS0_17block_load_methodE3ELS4_3ELS4_3ELNS0_20block_scan_algorithmE0ELj4294967295EEENS1_25partition_config_selectorILNS1_17partition_subalgoE3EjNS0_10empty_typeEbEEZZNS1_14partition_implILS8_3ELb0ES6_jNS0_17counting_iteratorIjlEEPS9_SE_NS0_5tupleIJPjSE_EEENSF_IJSE_SE_EEES9_SG_JZNS1_25segmented_radix_sort_implINS0_14default_configELb1EPKlPlSM_SN_N2at6native12_GLOBAL__N_18offset_tEEE10hipError_tPvRmT1_PNSt15iterator_traitsISV_E10value_typeET2_T3_PNSW_IS11_E10value_typeET4_jRbjT5_S17_jjP12ihipStream_tbEUljE_EEESS_ST_SU_S11_S15_S17_T6_T7_T9_mT8_S19_bDpT10_ENKUlT_T0_E_clISt17integral_constantIbLb1EES1L_IbLb0EEEEDaS1H_S1I_EUlS1H_E_NS1_11comp_targetILNS1_3genE8ELNS1_11target_archE1030ELNS1_3gpuE2ELNS1_3repE0EEENS1_30default_config_static_selectorELNS0_4arch9wavefront6targetE0EEEvSV_.numbered_sgpr, 0
	.set _ZN7rocprim17ROCPRIM_400000_NS6detail17trampoline_kernelINS0_13select_configILj256ELj13ELNS0_17block_load_methodE3ELS4_3ELS4_3ELNS0_20block_scan_algorithmE0ELj4294967295EEENS1_25partition_config_selectorILNS1_17partition_subalgoE3EjNS0_10empty_typeEbEEZZNS1_14partition_implILS8_3ELb0ES6_jNS0_17counting_iteratorIjlEEPS9_SE_NS0_5tupleIJPjSE_EEENSF_IJSE_SE_EEES9_SG_JZNS1_25segmented_radix_sort_implINS0_14default_configELb1EPKlPlSM_SN_N2at6native12_GLOBAL__N_18offset_tEEE10hipError_tPvRmT1_PNSt15iterator_traitsISV_E10value_typeET2_T3_PNSW_IS11_E10value_typeET4_jRbjT5_S17_jjP12ihipStream_tbEUljE_EEESS_ST_SU_S11_S15_S17_T6_T7_T9_mT8_S19_bDpT10_ENKUlT_T0_E_clISt17integral_constantIbLb1EES1L_IbLb0EEEEDaS1H_S1I_EUlS1H_E_NS1_11comp_targetILNS1_3genE8ELNS1_11target_archE1030ELNS1_3gpuE2ELNS1_3repE0EEENS1_30default_config_static_selectorELNS0_4arch9wavefront6targetE0EEEvSV_.num_named_barrier, 0
	.set _ZN7rocprim17ROCPRIM_400000_NS6detail17trampoline_kernelINS0_13select_configILj256ELj13ELNS0_17block_load_methodE3ELS4_3ELS4_3ELNS0_20block_scan_algorithmE0ELj4294967295EEENS1_25partition_config_selectorILNS1_17partition_subalgoE3EjNS0_10empty_typeEbEEZZNS1_14partition_implILS8_3ELb0ES6_jNS0_17counting_iteratorIjlEEPS9_SE_NS0_5tupleIJPjSE_EEENSF_IJSE_SE_EEES9_SG_JZNS1_25segmented_radix_sort_implINS0_14default_configELb1EPKlPlSM_SN_N2at6native12_GLOBAL__N_18offset_tEEE10hipError_tPvRmT1_PNSt15iterator_traitsISV_E10value_typeET2_T3_PNSW_IS11_E10value_typeET4_jRbjT5_S17_jjP12ihipStream_tbEUljE_EEESS_ST_SU_S11_S15_S17_T6_T7_T9_mT8_S19_bDpT10_ENKUlT_T0_E_clISt17integral_constantIbLb1EES1L_IbLb0EEEEDaS1H_S1I_EUlS1H_E_NS1_11comp_targetILNS1_3genE8ELNS1_11target_archE1030ELNS1_3gpuE2ELNS1_3repE0EEENS1_30default_config_static_selectorELNS0_4arch9wavefront6targetE0EEEvSV_.private_seg_size, 0
	.set _ZN7rocprim17ROCPRIM_400000_NS6detail17trampoline_kernelINS0_13select_configILj256ELj13ELNS0_17block_load_methodE3ELS4_3ELS4_3ELNS0_20block_scan_algorithmE0ELj4294967295EEENS1_25partition_config_selectorILNS1_17partition_subalgoE3EjNS0_10empty_typeEbEEZZNS1_14partition_implILS8_3ELb0ES6_jNS0_17counting_iteratorIjlEEPS9_SE_NS0_5tupleIJPjSE_EEENSF_IJSE_SE_EEES9_SG_JZNS1_25segmented_radix_sort_implINS0_14default_configELb1EPKlPlSM_SN_N2at6native12_GLOBAL__N_18offset_tEEE10hipError_tPvRmT1_PNSt15iterator_traitsISV_E10value_typeET2_T3_PNSW_IS11_E10value_typeET4_jRbjT5_S17_jjP12ihipStream_tbEUljE_EEESS_ST_SU_S11_S15_S17_T6_T7_T9_mT8_S19_bDpT10_ENKUlT_T0_E_clISt17integral_constantIbLb1EES1L_IbLb0EEEEDaS1H_S1I_EUlS1H_E_NS1_11comp_targetILNS1_3genE8ELNS1_11target_archE1030ELNS1_3gpuE2ELNS1_3repE0EEENS1_30default_config_static_selectorELNS0_4arch9wavefront6targetE0EEEvSV_.uses_vcc, 0
	.set _ZN7rocprim17ROCPRIM_400000_NS6detail17trampoline_kernelINS0_13select_configILj256ELj13ELNS0_17block_load_methodE3ELS4_3ELS4_3ELNS0_20block_scan_algorithmE0ELj4294967295EEENS1_25partition_config_selectorILNS1_17partition_subalgoE3EjNS0_10empty_typeEbEEZZNS1_14partition_implILS8_3ELb0ES6_jNS0_17counting_iteratorIjlEEPS9_SE_NS0_5tupleIJPjSE_EEENSF_IJSE_SE_EEES9_SG_JZNS1_25segmented_radix_sort_implINS0_14default_configELb1EPKlPlSM_SN_N2at6native12_GLOBAL__N_18offset_tEEE10hipError_tPvRmT1_PNSt15iterator_traitsISV_E10value_typeET2_T3_PNSW_IS11_E10value_typeET4_jRbjT5_S17_jjP12ihipStream_tbEUljE_EEESS_ST_SU_S11_S15_S17_T6_T7_T9_mT8_S19_bDpT10_ENKUlT_T0_E_clISt17integral_constantIbLb1EES1L_IbLb0EEEEDaS1H_S1I_EUlS1H_E_NS1_11comp_targetILNS1_3genE8ELNS1_11target_archE1030ELNS1_3gpuE2ELNS1_3repE0EEENS1_30default_config_static_selectorELNS0_4arch9wavefront6targetE0EEEvSV_.uses_flat_scratch, 0
	.set _ZN7rocprim17ROCPRIM_400000_NS6detail17trampoline_kernelINS0_13select_configILj256ELj13ELNS0_17block_load_methodE3ELS4_3ELS4_3ELNS0_20block_scan_algorithmE0ELj4294967295EEENS1_25partition_config_selectorILNS1_17partition_subalgoE3EjNS0_10empty_typeEbEEZZNS1_14partition_implILS8_3ELb0ES6_jNS0_17counting_iteratorIjlEEPS9_SE_NS0_5tupleIJPjSE_EEENSF_IJSE_SE_EEES9_SG_JZNS1_25segmented_radix_sort_implINS0_14default_configELb1EPKlPlSM_SN_N2at6native12_GLOBAL__N_18offset_tEEE10hipError_tPvRmT1_PNSt15iterator_traitsISV_E10value_typeET2_T3_PNSW_IS11_E10value_typeET4_jRbjT5_S17_jjP12ihipStream_tbEUljE_EEESS_ST_SU_S11_S15_S17_T6_T7_T9_mT8_S19_bDpT10_ENKUlT_T0_E_clISt17integral_constantIbLb1EES1L_IbLb0EEEEDaS1H_S1I_EUlS1H_E_NS1_11comp_targetILNS1_3genE8ELNS1_11target_archE1030ELNS1_3gpuE2ELNS1_3repE0EEENS1_30default_config_static_selectorELNS0_4arch9wavefront6targetE0EEEvSV_.has_dyn_sized_stack, 0
	.set _ZN7rocprim17ROCPRIM_400000_NS6detail17trampoline_kernelINS0_13select_configILj256ELj13ELNS0_17block_load_methodE3ELS4_3ELS4_3ELNS0_20block_scan_algorithmE0ELj4294967295EEENS1_25partition_config_selectorILNS1_17partition_subalgoE3EjNS0_10empty_typeEbEEZZNS1_14partition_implILS8_3ELb0ES6_jNS0_17counting_iteratorIjlEEPS9_SE_NS0_5tupleIJPjSE_EEENSF_IJSE_SE_EEES9_SG_JZNS1_25segmented_radix_sort_implINS0_14default_configELb1EPKlPlSM_SN_N2at6native12_GLOBAL__N_18offset_tEEE10hipError_tPvRmT1_PNSt15iterator_traitsISV_E10value_typeET2_T3_PNSW_IS11_E10value_typeET4_jRbjT5_S17_jjP12ihipStream_tbEUljE_EEESS_ST_SU_S11_S15_S17_T6_T7_T9_mT8_S19_bDpT10_ENKUlT_T0_E_clISt17integral_constantIbLb1EES1L_IbLb0EEEEDaS1H_S1I_EUlS1H_E_NS1_11comp_targetILNS1_3genE8ELNS1_11target_archE1030ELNS1_3gpuE2ELNS1_3repE0EEENS1_30default_config_static_selectorELNS0_4arch9wavefront6targetE0EEEvSV_.has_recursion, 0
	.set _ZN7rocprim17ROCPRIM_400000_NS6detail17trampoline_kernelINS0_13select_configILj256ELj13ELNS0_17block_load_methodE3ELS4_3ELS4_3ELNS0_20block_scan_algorithmE0ELj4294967295EEENS1_25partition_config_selectorILNS1_17partition_subalgoE3EjNS0_10empty_typeEbEEZZNS1_14partition_implILS8_3ELb0ES6_jNS0_17counting_iteratorIjlEEPS9_SE_NS0_5tupleIJPjSE_EEENSF_IJSE_SE_EEES9_SG_JZNS1_25segmented_radix_sort_implINS0_14default_configELb1EPKlPlSM_SN_N2at6native12_GLOBAL__N_18offset_tEEE10hipError_tPvRmT1_PNSt15iterator_traitsISV_E10value_typeET2_T3_PNSW_IS11_E10value_typeET4_jRbjT5_S17_jjP12ihipStream_tbEUljE_EEESS_ST_SU_S11_S15_S17_T6_T7_T9_mT8_S19_bDpT10_ENKUlT_T0_E_clISt17integral_constantIbLb1EES1L_IbLb0EEEEDaS1H_S1I_EUlS1H_E_NS1_11comp_targetILNS1_3genE8ELNS1_11target_archE1030ELNS1_3gpuE2ELNS1_3repE0EEENS1_30default_config_static_selectorELNS0_4arch9wavefront6targetE0EEEvSV_.has_indirect_call, 0
	.section	.AMDGPU.csdata,"",@progbits
; Kernel info:
; codeLenInByte = 4
; TotalNumSgprs: 0
; NumVgprs: 0
; ScratchSize: 0
; MemoryBound: 0
; FloatMode: 240
; IeeeMode: 1
; LDSByteSize: 0 bytes/workgroup (compile time only)
; SGPRBlocks: 0
; VGPRBlocks: 0
; NumSGPRsForWavesPerEU: 1
; NumVGPRsForWavesPerEU: 1
; Occupancy: 16
; WaveLimiterHint : 0
; COMPUTE_PGM_RSRC2:SCRATCH_EN: 0
; COMPUTE_PGM_RSRC2:USER_SGPR: 6
; COMPUTE_PGM_RSRC2:TRAP_HANDLER: 0
; COMPUTE_PGM_RSRC2:TGID_X_EN: 1
; COMPUTE_PGM_RSRC2:TGID_Y_EN: 0
; COMPUTE_PGM_RSRC2:TGID_Z_EN: 0
; COMPUTE_PGM_RSRC2:TIDIG_COMP_CNT: 0
	.section	.text._ZN7rocprim17ROCPRIM_400000_NS6detail17trampoline_kernelINS0_13select_configILj256ELj13ELNS0_17block_load_methodE3ELS4_3ELS4_3ELNS0_20block_scan_algorithmE0ELj4294967295EEENS1_25partition_config_selectorILNS1_17partition_subalgoE3EjNS0_10empty_typeEbEEZZNS1_14partition_implILS8_3ELb0ES6_jNS0_17counting_iteratorIjlEEPS9_SE_NS0_5tupleIJPjSE_EEENSF_IJSE_SE_EEES9_SG_JZNS1_25segmented_radix_sort_implINS0_14default_configELb1EPKlPlSM_SN_N2at6native12_GLOBAL__N_18offset_tEEE10hipError_tPvRmT1_PNSt15iterator_traitsISV_E10value_typeET2_T3_PNSW_IS11_E10value_typeET4_jRbjT5_S17_jjP12ihipStream_tbEUljE_EEESS_ST_SU_S11_S15_S17_T6_T7_T9_mT8_S19_bDpT10_ENKUlT_T0_E_clISt17integral_constantIbLb0EES1L_IbLb1EEEEDaS1H_S1I_EUlS1H_E_NS1_11comp_targetILNS1_3genE0ELNS1_11target_archE4294967295ELNS1_3gpuE0ELNS1_3repE0EEENS1_30default_config_static_selectorELNS0_4arch9wavefront6targetE0EEEvSV_,"axG",@progbits,_ZN7rocprim17ROCPRIM_400000_NS6detail17trampoline_kernelINS0_13select_configILj256ELj13ELNS0_17block_load_methodE3ELS4_3ELS4_3ELNS0_20block_scan_algorithmE0ELj4294967295EEENS1_25partition_config_selectorILNS1_17partition_subalgoE3EjNS0_10empty_typeEbEEZZNS1_14partition_implILS8_3ELb0ES6_jNS0_17counting_iteratorIjlEEPS9_SE_NS0_5tupleIJPjSE_EEENSF_IJSE_SE_EEES9_SG_JZNS1_25segmented_radix_sort_implINS0_14default_configELb1EPKlPlSM_SN_N2at6native12_GLOBAL__N_18offset_tEEE10hipError_tPvRmT1_PNSt15iterator_traitsISV_E10value_typeET2_T3_PNSW_IS11_E10value_typeET4_jRbjT5_S17_jjP12ihipStream_tbEUljE_EEESS_ST_SU_S11_S15_S17_T6_T7_T9_mT8_S19_bDpT10_ENKUlT_T0_E_clISt17integral_constantIbLb0EES1L_IbLb1EEEEDaS1H_S1I_EUlS1H_E_NS1_11comp_targetILNS1_3genE0ELNS1_11target_archE4294967295ELNS1_3gpuE0ELNS1_3repE0EEENS1_30default_config_static_selectorELNS0_4arch9wavefront6targetE0EEEvSV_,comdat
	.globl	_ZN7rocprim17ROCPRIM_400000_NS6detail17trampoline_kernelINS0_13select_configILj256ELj13ELNS0_17block_load_methodE3ELS4_3ELS4_3ELNS0_20block_scan_algorithmE0ELj4294967295EEENS1_25partition_config_selectorILNS1_17partition_subalgoE3EjNS0_10empty_typeEbEEZZNS1_14partition_implILS8_3ELb0ES6_jNS0_17counting_iteratorIjlEEPS9_SE_NS0_5tupleIJPjSE_EEENSF_IJSE_SE_EEES9_SG_JZNS1_25segmented_radix_sort_implINS0_14default_configELb1EPKlPlSM_SN_N2at6native12_GLOBAL__N_18offset_tEEE10hipError_tPvRmT1_PNSt15iterator_traitsISV_E10value_typeET2_T3_PNSW_IS11_E10value_typeET4_jRbjT5_S17_jjP12ihipStream_tbEUljE_EEESS_ST_SU_S11_S15_S17_T6_T7_T9_mT8_S19_bDpT10_ENKUlT_T0_E_clISt17integral_constantIbLb0EES1L_IbLb1EEEEDaS1H_S1I_EUlS1H_E_NS1_11comp_targetILNS1_3genE0ELNS1_11target_archE4294967295ELNS1_3gpuE0ELNS1_3repE0EEENS1_30default_config_static_selectorELNS0_4arch9wavefront6targetE0EEEvSV_ ; -- Begin function _ZN7rocprim17ROCPRIM_400000_NS6detail17trampoline_kernelINS0_13select_configILj256ELj13ELNS0_17block_load_methodE3ELS4_3ELS4_3ELNS0_20block_scan_algorithmE0ELj4294967295EEENS1_25partition_config_selectorILNS1_17partition_subalgoE3EjNS0_10empty_typeEbEEZZNS1_14partition_implILS8_3ELb0ES6_jNS0_17counting_iteratorIjlEEPS9_SE_NS0_5tupleIJPjSE_EEENSF_IJSE_SE_EEES9_SG_JZNS1_25segmented_radix_sort_implINS0_14default_configELb1EPKlPlSM_SN_N2at6native12_GLOBAL__N_18offset_tEEE10hipError_tPvRmT1_PNSt15iterator_traitsISV_E10value_typeET2_T3_PNSW_IS11_E10value_typeET4_jRbjT5_S17_jjP12ihipStream_tbEUljE_EEESS_ST_SU_S11_S15_S17_T6_T7_T9_mT8_S19_bDpT10_ENKUlT_T0_E_clISt17integral_constantIbLb0EES1L_IbLb1EEEEDaS1H_S1I_EUlS1H_E_NS1_11comp_targetILNS1_3genE0ELNS1_11target_archE4294967295ELNS1_3gpuE0ELNS1_3repE0EEENS1_30default_config_static_selectorELNS0_4arch9wavefront6targetE0EEEvSV_
	.p2align	8
	.type	_ZN7rocprim17ROCPRIM_400000_NS6detail17trampoline_kernelINS0_13select_configILj256ELj13ELNS0_17block_load_methodE3ELS4_3ELS4_3ELNS0_20block_scan_algorithmE0ELj4294967295EEENS1_25partition_config_selectorILNS1_17partition_subalgoE3EjNS0_10empty_typeEbEEZZNS1_14partition_implILS8_3ELb0ES6_jNS0_17counting_iteratorIjlEEPS9_SE_NS0_5tupleIJPjSE_EEENSF_IJSE_SE_EEES9_SG_JZNS1_25segmented_radix_sort_implINS0_14default_configELb1EPKlPlSM_SN_N2at6native12_GLOBAL__N_18offset_tEEE10hipError_tPvRmT1_PNSt15iterator_traitsISV_E10value_typeET2_T3_PNSW_IS11_E10value_typeET4_jRbjT5_S17_jjP12ihipStream_tbEUljE_EEESS_ST_SU_S11_S15_S17_T6_T7_T9_mT8_S19_bDpT10_ENKUlT_T0_E_clISt17integral_constantIbLb0EES1L_IbLb1EEEEDaS1H_S1I_EUlS1H_E_NS1_11comp_targetILNS1_3genE0ELNS1_11target_archE4294967295ELNS1_3gpuE0ELNS1_3repE0EEENS1_30default_config_static_selectorELNS0_4arch9wavefront6targetE0EEEvSV_,@function
_ZN7rocprim17ROCPRIM_400000_NS6detail17trampoline_kernelINS0_13select_configILj256ELj13ELNS0_17block_load_methodE3ELS4_3ELS4_3ELNS0_20block_scan_algorithmE0ELj4294967295EEENS1_25partition_config_selectorILNS1_17partition_subalgoE3EjNS0_10empty_typeEbEEZZNS1_14partition_implILS8_3ELb0ES6_jNS0_17counting_iteratorIjlEEPS9_SE_NS0_5tupleIJPjSE_EEENSF_IJSE_SE_EEES9_SG_JZNS1_25segmented_radix_sort_implINS0_14default_configELb1EPKlPlSM_SN_N2at6native12_GLOBAL__N_18offset_tEEE10hipError_tPvRmT1_PNSt15iterator_traitsISV_E10value_typeET2_T3_PNSW_IS11_E10value_typeET4_jRbjT5_S17_jjP12ihipStream_tbEUljE_EEESS_ST_SU_S11_S15_S17_T6_T7_T9_mT8_S19_bDpT10_ENKUlT_T0_E_clISt17integral_constantIbLb0EES1L_IbLb1EEEEDaS1H_S1I_EUlS1H_E_NS1_11comp_targetILNS1_3genE0ELNS1_11target_archE4294967295ELNS1_3gpuE0ELNS1_3repE0EEENS1_30default_config_static_selectorELNS0_4arch9wavefront6targetE0EEEvSV_: ; @_ZN7rocprim17ROCPRIM_400000_NS6detail17trampoline_kernelINS0_13select_configILj256ELj13ELNS0_17block_load_methodE3ELS4_3ELS4_3ELNS0_20block_scan_algorithmE0ELj4294967295EEENS1_25partition_config_selectorILNS1_17partition_subalgoE3EjNS0_10empty_typeEbEEZZNS1_14partition_implILS8_3ELb0ES6_jNS0_17counting_iteratorIjlEEPS9_SE_NS0_5tupleIJPjSE_EEENSF_IJSE_SE_EEES9_SG_JZNS1_25segmented_radix_sort_implINS0_14default_configELb1EPKlPlSM_SN_N2at6native12_GLOBAL__N_18offset_tEEE10hipError_tPvRmT1_PNSt15iterator_traitsISV_E10value_typeET2_T3_PNSW_IS11_E10value_typeET4_jRbjT5_S17_jjP12ihipStream_tbEUljE_EEESS_ST_SU_S11_S15_S17_T6_T7_T9_mT8_S19_bDpT10_ENKUlT_T0_E_clISt17integral_constantIbLb0EES1L_IbLb1EEEEDaS1H_S1I_EUlS1H_E_NS1_11comp_targetILNS1_3genE0ELNS1_11target_archE4294967295ELNS1_3gpuE0ELNS1_3repE0EEENS1_30default_config_static_selectorELNS0_4arch9wavefront6targetE0EEEvSV_
; %bb.0:
	.section	.rodata,"a",@progbits
	.p2align	6, 0x0
	.amdhsa_kernel _ZN7rocprim17ROCPRIM_400000_NS6detail17trampoline_kernelINS0_13select_configILj256ELj13ELNS0_17block_load_methodE3ELS4_3ELS4_3ELNS0_20block_scan_algorithmE0ELj4294967295EEENS1_25partition_config_selectorILNS1_17partition_subalgoE3EjNS0_10empty_typeEbEEZZNS1_14partition_implILS8_3ELb0ES6_jNS0_17counting_iteratorIjlEEPS9_SE_NS0_5tupleIJPjSE_EEENSF_IJSE_SE_EEES9_SG_JZNS1_25segmented_radix_sort_implINS0_14default_configELb1EPKlPlSM_SN_N2at6native12_GLOBAL__N_18offset_tEEE10hipError_tPvRmT1_PNSt15iterator_traitsISV_E10value_typeET2_T3_PNSW_IS11_E10value_typeET4_jRbjT5_S17_jjP12ihipStream_tbEUljE_EEESS_ST_SU_S11_S15_S17_T6_T7_T9_mT8_S19_bDpT10_ENKUlT_T0_E_clISt17integral_constantIbLb0EES1L_IbLb1EEEEDaS1H_S1I_EUlS1H_E_NS1_11comp_targetILNS1_3genE0ELNS1_11target_archE4294967295ELNS1_3gpuE0ELNS1_3repE0EEENS1_30default_config_static_selectorELNS0_4arch9wavefront6targetE0EEEvSV_
		.amdhsa_group_segment_fixed_size 0
		.amdhsa_private_segment_fixed_size 0
		.amdhsa_kernarg_size 152
		.amdhsa_user_sgpr_count 6
		.amdhsa_user_sgpr_private_segment_buffer 1
		.amdhsa_user_sgpr_dispatch_ptr 0
		.amdhsa_user_sgpr_queue_ptr 0
		.amdhsa_user_sgpr_kernarg_segment_ptr 1
		.amdhsa_user_sgpr_dispatch_id 0
		.amdhsa_user_sgpr_flat_scratch_init 0
		.amdhsa_user_sgpr_private_segment_size 0
		.amdhsa_wavefront_size32 1
		.amdhsa_uses_dynamic_stack 0
		.amdhsa_system_sgpr_private_segment_wavefront_offset 0
		.amdhsa_system_sgpr_workgroup_id_x 1
		.amdhsa_system_sgpr_workgroup_id_y 0
		.amdhsa_system_sgpr_workgroup_id_z 0
		.amdhsa_system_sgpr_workgroup_info 0
		.amdhsa_system_vgpr_workitem_id 0
		.amdhsa_next_free_vgpr 1
		.amdhsa_next_free_sgpr 1
		.amdhsa_reserve_vcc 0
		.amdhsa_reserve_flat_scratch 0
		.amdhsa_float_round_mode_32 0
		.amdhsa_float_round_mode_16_64 0
		.amdhsa_float_denorm_mode_32 3
		.amdhsa_float_denorm_mode_16_64 3
		.amdhsa_dx10_clamp 1
		.amdhsa_ieee_mode 1
		.amdhsa_fp16_overflow 0
		.amdhsa_workgroup_processor_mode 1
		.amdhsa_memory_ordered 1
		.amdhsa_forward_progress 1
		.amdhsa_shared_vgpr_count 0
		.amdhsa_exception_fp_ieee_invalid_op 0
		.amdhsa_exception_fp_denorm_src 0
		.amdhsa_exception_fp_ieee_div_zero 0
		.amdhsa_exception_fp_ieee_overflow 0
		.amdhsa_exception_fp_ieee_underflow 0
		.amdhsa_exception_fp_ieee_inexact 0
		.amdhsa_exception_int_div_zero 0
	.end_amdhsa_kernel
	.section	.text._ZN7rocprim17ROCPRIM_400000_NS6detail17trampoline_kernelINS0_13select_configILj256ELj13ELNS0_17block_load_methodE3ELS4_3ELS4_3ELNS0_20block_scan_algorithmE0ELj4294967295EEENS1_25partition_config_selectorILNS1_17partition_subalgoE3EjNS0_10empty_typeEbEEZZNS1_14partition_implILS8_3ELb0ES6_jNS0_17counting_iteratorIjlEEPS9_SE_NS0_5tupleIJPjSE_EEENSF_IJSE_SE_EEES9_SG_JZNS1_25segmented_radix_sort_implINS0_14default_configELb1EPKlPlSM_SN_N2at6native12_GLOBAL__N_18offset_tEEE10hipError_tPvRmT1_PNSt15iterator_traitsISV_E10value_typeET2_T3_PNSW_IS11_E10value_typeET4_jRbjT5_S17_jjP12ihipStream_tbEUljE_EEESS_ST_SU_S11_S15_S17_T6_T7_T9_mT8_S19_bDpT10_ENKUlT_T0_E_clISt17integral_constantIbLb0EES1L_IbLb1EEEEDaS1H_S1I_EUlS1H_E_NS1_11comp_targetILNS1_3genE0ELNS1_11target_archE4294967295ELNS1_3gpuE0ELNS1_3repE0EEENS1_30default_config_static_selectorELNS0_4arch9wavefront6targetE0EEEvSV_,"axG",@progbits,_ZN7rocprim17ROCPRIM_400000_NS6detail17trampoline_kernelINS0_13select_configILj256ELj13ELNS0_17block_load_methodE3ELS4_3ELS4_3ELNS0_20block_scan_algorithmE0ELj4294967295EEENS1_25partition_config_selectorILNS1_17partition_subalgoE3EjNS0_10empty_typeEbEEZZNS1_14partition_implILS8_3ELb0ES6_jNS0_17counting_iteratorIjlEEPS9_SE_NS0_5tupleIJPjSE_EEENSF_IJSE_SE_EEES9_SG_JZNS1_25segmented_radix_sort_implINS0_14default_configELb1EPKlPlSM_SN_N2at6native12_GLOBAL__N_18offset_tEEE10hipError_tPvRmT1_PNSt15iterator_traitsISV_E10value_typeET2_T3_PNSW_IS11_E10value_typeET4_jRbjT5_S17_jjP12ihipStream_tbEUljE_EEESS_ST_SU_S11_S15_S17_T6_T7_T9_mT8_S19_bDpT10_ENKUlT_T0_E_clISt17integral_constantIbLb0EES1L_IbLb1EEEEDaS1H_S1I_EUlS1H_E_NS1_11comp_targetILNS1_3genE0ELNS1_11target_archE4294967295ELNS1_3gpuE0ELNS1_3repE0EEENS1_30default_config_static_selectorELNS0_4arch9wavefront6targetE0EEEvSV_,comdat
.Lfunc_end690:
	.size	_ZN7rocprim17ROCPRIM_400000_NS6detail17trampoline_kernelINS0_13select_configILj256ELj13ELNS0_17block_load_methodE3ELS4_3ELS4_3ELNS0_20block_scan_algorithmE0ELj4294967295EEENS1_25partition_config_selectorILNS1_17partition_subalgoE3EjNS0_10empty_typeEbEEZZNS1_14partition_implILS8_3ELb0ES6_jNS0_17counting_iteratorIjlEEPS9_SE_NS0_5tupleIJPjSE_EEENSF_IJSE_SE_EEES9_SG_JZNS1_25segmented_radix_sort_implINS0_14default_configELb1EPKlPlSM_SN_N2at6native12_GLOBAL__N_18offset_tEEE10hipError_tPvRmT1_PNSt15iterator_traitsISV_E10value_typeET2_T3_PNSW_IS11_E10value_typeET4_jRbjT5_S17_jjP12ihipStream_tbEUljE_EEESS_ST_SU_S11_S15_S17_T6_T7_T9_mT8_S19_bDpT10_ENKUlT_T0_E_clISt17integral_constantIbLb0EES1L_IbLb1EEEEDaS1H_S1I_EUlS1H_E_NS1_11comp_targetILNS1_3genE0ELNS1_11target_archE4294967295ELNS1_3gpuE0ELNS1_3repE0EEENS1_30default_config_static_selectorELNS0_4arch9wavefront6targetE0EEEvSV_, .Lfunc_end690-_ZN7rocprim17ROCPRIM_400000_NS6detail17trampoline_kernelINS0_13select_configILj256ELj13ELNS0_17block_load_methodE3ELS4_3ELS4_3ELNS0_20block_scan_algorithmE0ELj4294967295EEENS1_25partition_config_selectorILNS1_17partition_subalgoE3EjNS0_10empty_typeEbEEZZNS1_14partition_implILS8_3ELb0ES6_jNS0_17counting_iteratorIjlEEPS9_SE_NS0_5tupleIJPjSE_EEENSF_IJSE_SE_EEES9_SG_JZNS1_25segmented_radix_sort_implINS0_14default_configELb1EPKlPlSM_SN_N2at6native12_GLOBAL__N_18offset_tEEE10hipError_tPvRmT1_PNSt15iterator_traitsISV_E10value_typeET2_T3_PNSW_IS11_E10value_typeET4_jRbjT5_S17_jjP12ihipStream_tbEUljE_EEESS_ST_SU_S11_S15_S17_T6_T7_T9_mT8_S19_bDpT10_ENKUlT_T0_E_clISt17integral_constantIbLb0EES1L_IbLb1EEEEDaS1H_S1I_EUlS1H_E_NS1_11comp_targetILNS1_3genE0ELNS1_11target_archE4294967295ELNS1_3gpuE0ELNS1_3repE0EEENS1_30default_config_static_selectorELNS0_4arch9wavefront6targetE0EEEvSV_
                                        ; -- End function
	.set _ZN7rocprim17ROCPRIM_400000_NS6detail17trampoline_kernelINS0_13select_configILj256ELj13ELNS0_17block_load_methodE3ELS4_3ELS4_3ELNS0_20block_scan_algorithmE0ELj4294967295EEENS1_25partition_config_selectorILNS1_17partition_subalgoE3EjNS0_10empty_typeEbEEZZNS1_14partition_implILS8_3ELb0ES6_jNS0_17counting_iteratorIjlEEPS9_SE_NS0_5tupleIJPjSE_EEENSF_IJSE_SE_EEES9_SG_JZNS1_25segmented_radix_sort_implINS0_14default_configELb1EPKlPlSM_SN_N2at6native12_GLOBAL__N_18offset_tEEE10hipError_tPvRmT1_PNSt15iterator_traitsISV_E10value_typeET2_T3_PNSW_IS11_E10value_typeET4_jRbjT5_S17_jjP12ihipStream_tbEUljE_EEESS_ST_SU_S11_S15_S17_T6_T7_T9_mT8_S19_bDpT10_ENKUlT_T0_E_clISt17integral_constantIbLb0EES1L_IbLb1EEEEDaS1H_S1I_EUlS1H_E_NS1_11comp_targetILNS1_3genE0ELNS1_11target_archE4294967295ELNS1_3gpuE0ELNS1_3repE0EEENS1_30default_config_static_selectorELNS0_4arch9wavefront6targetE0EEEvSV_.num_vgpr, 0
	.set _ZN7rocprim17ROCPRIM_400000_NS6detail17trampoline_kernelINS0_13select_configILj256ELj13ELNS0_17block_load_methodE3ELS4_3ELS4_3ELNS0_20block_scan_algorithmE0ELj4294967295EEENS1_25partition_config_selectorILNS1_17partition_subalgoE3EjNS0_10empty_typeEbEEZZNS1_14partition_implILS8_3ELb0ES6_jNS0_17counting_iteratorIjlEEPS9_SE_NS0_5tupleIJPjSE_EEENSF_IJSE_SE_EEES9_SG_JZNS1_25segmented_radix_sort_implINS0_14default_configELb1EPKlPlSM_SN_N2at6native12_GLOBAL__N_18offset_tEEE10hipError_tPvRmT1_PNSt15iterator_traitsISV_E10value_typeET2_T3_PNSW_IS11_E10value_typeET4_jRbjT5_S17_jjP12ihipStream_tbEUljE_EEESS_ST_SU_S11_S15_S17_T6_T7_T9_mT8_S19_bDpT10_ENKUlT_T0_E_clISt17integral_constantIbLb0EES1L_IbLb1EEEEDaS1H_S1I_EUlS1H_E_NS1_11comp_targetILNS1_3genE0ELNS1_11target_archE4294967295ELNS1_3gpuE0ELNS1_3repE0EEENS1_30default_config_static_selectorELNS0_4arch9wavefront6targetE0EEEvSV_.num_agpr, 0
	.set _ZN7rocprim17ROCPRIM_400000_NS6detail17trampoline_kernelINS0_13select_configILj256ELj13ELNS0_17block_load_methodE3ELS4_3ELS4_3ELNS0_20block_scan_algorithmE0ELj4294967295EEENS1_25partition_config_selectorILNS1_17partition_subalgoE3EjNS0_10empty_typeEbEEZZNS1_14partition_implILS8_3ELb0ES6_jNS0_17counting_iteratorIjlEEPS9_SE_NS0_5tupleIJPjSE_EEENSF_IJSE_SE_EEES9_SG_JZNS1_25segmented_radix_sort_implINS0_14default_configELb1EPKlPlSM_SN_N2at6native12_GLOBAL__N_18offset_tEEE10hipError_tPvRmT1_PNSt15iterator_traitsISV_E10value_typeET2_T3_PNSW_IS11_E10value_typeET4_jRbjT5_S17_jjP12ihipStream_tbEUljE_EEESS_ST_SU_S11_S15_S17_T6_T7_T9_mT8_S19_bDpT10_ENKUlT_T0_E_clISt17integral_constantIbLb0EES1L_IbLb1EEEEDaS1H_S1I_EUlS1H_E_NS1_11comp_targetILNS1_3genE0ELNS1_11target_archE4294967295ELNS1_3gpuE0ELNS1_3repE0EEENS1_30default_config_static_selectorELNS0_4arch9wavefront6targetE0EEEvSV_.numbered_sgpr, 0
	.set _ZN7rocprim17ROCPRIM_400000_NS6detail17trampoline_kernelINS0_13select_configILj256ELj13ELNS0_17block_load_methodE3ELS4_3ELS4_3ELNS0_20block_scan_algorithmE0ELj4294967295EEENS1_25partition_config_selectorILNS1_17partition_subalgoE3EjNS0_10empty_typeEbEEZZNS1_14partition_implILS8_3ELb0ES6_jNS0_17counting_iteratorIjlEEPS9_SE_NS0_5tupleIJPjSE_EEENSF_IJSE_SE_EEES9_SG_JZNS1_25segmented_radix_sort_implINS0_14default_configELb1EPKlPlSM_SN_N2at6native12_GLOBAL__N_18offset_tEEE10hipError_tPvRmT1_PNSt15iterator_traitsISV_E10value_typeET2_T3_PNSW_IS11_E10value_typeET4_jRbjT5_S17_jjP12ihipStream_tbEUljE_EEESS_ST_SU_S11_S15_S17_T6_T7_T9_mT8_S19_bDpT10_ENKUlT_T0_E_clISt17integral_constantIbLb0EES1L_IbLb1EEEEDaS1H_S1I_EUlS1H_E_NS1_11comp_targetILNS1_3genE0ELNS1_11target_archE4294967295ELNS1_3gpuE0ELNS1_3repE0EEENS1_30default_config_static_selectorELNS0_4arch9wavefront6targetE0EEEvSV_.num_named_barrier, 0
	.set _ZN7rocprim17ROCPRIM_400000_NS6detail17trampoline_kernelINS0_13select_configILj256ELj13ELNS0_17block_load_methodE3ELS4_3ELS4_3ELNS0_20block_scan_algorithmE0ELj4294967295EEENS1_25partition_config_selectorILNS1_17partition_subalgoE3EjNS0_10empty_typeEbEEZZNS1_14partition_implILS8_3ELb0ES6_jNS0_17counting_iteratorIjlEEPS9_SE_NS0_5tupleIJPjSE_EEENSF_IJSE_SE_EEES9_SG_JZNS1_25segmented_radix_sort_implINS0_14default_configELb1EPKlPlSM_SN_N2at6native12_GLOBAL__N_18offset_tEEE10hipError_tPvRmT1_PNSt15iterator_traitsISV_E10value_typeET2_T3_PNSW_IS11_E10value_typeET4_jRbjT5_S17_jjP12ihipStream_tbEUljE_EEESS_ST_SU_S11_S15_S17_T6_T7_T9_mT8_S19_bDpT10_ENKUlT_T0_E_clISt17integral_constantIbLb0EES1L_IbLb1EEEEDaS1H_S1I_EUlS1H_E_NS1_11comp_targetILNS1_3genE0ELNS1_11target_archE4294967295ELNS1_3gpuE0ELNS1_3repE0EEENS1_30default_config_static_selectorELNS0_4arch9wavefront6targetE0EEEvSV_.private_seg_size, 0
	.set _ZN7rocprim17ROCPRIM_400000_NS6detail17trampoline_kernelINS0_13select_configILj256ELj13ELNS0_17block_load_methodE3ELS4_3ELS4_3ELNS0_20block_scan_algorithmE0ELj4294967295EEENS1_25partition_config_selectorILNS1_17partition_subalgoE3EjNS0_10empty_typeEbEEZZNS1_14partition_implILS8_3ELb0ES6_jNS0_17counting_iteratorIjlEEPS9_SE_NS0_5tupleIJPjSE_EEENSF_IJSE_SE_EEES9_SG_JZNS1_25segmented_radix_sort_implINS0_14default_configELb1EPKlPlSM_SN_N2at6native12_GLOBAL__N_18offset_tEEE10hipError_tPvRmT1_PNSt15iterator_traitsISV_E10value_typeET2_T3_PNSW_IS11_E10value_typeET4_jRbjT5_S17_jjP12ihipStream_tbEUljE_EEESS_ST_SU_S11_S15_S17_T6_T7_T9_mT8_S19_bDpT10_ENKUlT_T0_E_clISt17integral_constantIbLb0EES1L_IbLb1EEEEDaS1H_S1I_EUlS1H_E_NS1_11comp_targetILNS1_3genE0ELNS1_11target_archE4294967295ELNS1_3gpuE0ELNS1_3repE0EEENS1_30default_config_static_selectorELNS0_4arch9wavefront6targetE0EEEvSV_.uses_vcc, 0
	.set _ZN7rocprim17ROCPRIM_400000_NS6detail17trampoline_kernelINS0_13select_configILj256ELj13ELNS0_17block_load_methodE3ELS4_3ELS4_3ELNS0_20block_scan_algorithmE0ELj4294967295EEENS1_25partition_config_selectorILNS1_17partition_subalgoE3EjNS0_10empty_typeEbEEZZNS1_14partition_implILS8_3ELb0ES6_jNS0_17counting_iteratorIjlEEPS9_SE_NS0_5tupleIJPjSE_EEENSF_IJSE_SE_EEES9_SG_JZNS1_25segmented_radix_sort_implINS0_14default_configELb1EPKlPlSM_SN_N2at6native12_GLOBAL__N_18offset_tEEE10hipError_tPvRmT1_PNSt15iterator_traitsISV_E10value_typeET2_T3_PNSW_IS11_E10value_typeET4_jRbjT5_S17_jjP12ihipStream_tbEUljE_EEESS_ST_SU_S11_S15_S17_T6_T7_T9_mT8_S19_bDpT10_ENKUlT_T0_E_clISt17integral_constantIbLb0EES1L_IbLb1EEEEDaS1H_S1I_EUlS1H_E_NS1_11comp_targetILNS1_3genE0ELNS1_11target_archE4294967295ELNS1_3gpuE0ELNS1_3repE0EEENS1_30default_config_static_selectorELNS0_4arch9wavefront6targetE0EEEvSV_.uses_flat_scratch, 0
	.set _ZN7rocprim17ROCPRIM_400000_NS6detail17trampoline_kernelINS0_13select_configILj256ELj13ELNS0_17block_load_methodE3ELS4_3ELS4_3ELNS0_20block_scan_algorithmE0ELj4294967295EEENS1_25partition_config_selectorILNS1_17partition_subalgoE3EjNS0_10empty_typeEbEEZZNS1_14partition_implILS8_3ELb0ES6_jNS0_17counting_iteratorIjlEEPS9_SE_NS0_5tupleIJPjSE_EEENSF_IJSE_SE_EEES9_SG_JZNS1_25segmented_radix_sort_implINS0_14default_configELb1EPKlPlSM_SN_N2at6native12_GLOBAL__N_18offset_tEEE10hipError_tPvRmT1_PNSt15iterator_traitsISV_E10value_typeET2_T3_PNSW_IS11_E10value_typeET4_jRbjT5_S17_jjP12ihipStream_tbEUljE_EEESS_ST_SU_S11_S15_S17_T6_T7_T9_mT8_S19_bDpT10_ENKUlT_T0_E_clISt17integral_constantIbLb0EES1L_IbLb1EEEEDaS1H_S1I_EUlS1H_E_NS1_11comp_targetILNS1_3genE0ELNS1_11target_archE4294967295ELNS1_3gpuE0ELNS1_3repE0EEENS1_30default_config_static_selectorELNS0_4arch9wavefront6targetE0EEEvSV_.has_dyn_sized_stack, 0
	.set _ZN7rocprim17ROCPRIM_400000_NS6detail17trampoline_kernelINS0_13select_configILj256ELj13ELNS0_17block_load_methodE3ELS4_3ELS4_3ELNS0_20block_scan_algorithmE0ELj4294967295EEENS1_25partition_config_selectorILNS1_17partition_subalgoE3EjNS0_10empty_typeEbEEZZNS1_14partition_implILS8_3ELb0ES6_jNS0_17counting_iteratorIjlEEPS9_SE_NS0_5tupleIJPjSE_EEENSF_IJSE_SE_EEES9_SG_JZNS1_25segmented_radix_sort_implINS0_14default_configELb1EPKlPlSM_SN_N2at6native12_GLOBAL__N_18offset_tEEE10hipError_tPvRmT1_PNSt15iterator_traitsISV_E10value_typeET2_T3_PNSW_IS11_E10value_typeET4_jRbjT5_S17_jjP12ihipStream_tbEUljE_EEESS_ST_SU_S11_S15_S17_T6_T7_T9_mT8_S19_bDpT10_ENKUlT_T0_E_clISt17integral_constantIbLb0EES1L_IbLb1EEEEDaS1H_S1I_EUlS1H_E_NS1_11comp_targetILNS1_3genE0ELNS1_11target_archE4294967295ELNS1_3gpuE0ELNS1_3repE0EEENS1_30default_config_static_selectorELNS0_4arch9wavefront6targetE0EEEvSV_.has_recursion, 0
	.set _ZN7rocprim17ROCPRIM_400000_NS6detail17trampoline_kernelINS0_13select_configILj256ELj13ELNS0_17block_load_methodE3ELS4_3ELS4_3ELNS0_20block_scan_algorithmE0ELj4294967295EEENS1_25partition_config_selectorILNS1_17partition_subalgoE3EjNS0_10empty_typeEbEEZZNS1_14partition_implILS8_3ELb0ES6_jNS0_17counting_iteratorIjlEEPS9_SE_NS0_5tupleIJPjSE_EEENSF_IJSE_SE_EEES9_SG_JZNS1_25segmented_radix_sort_implINS0_14default_configELb1EPKlPlSM_SN_N2at6native12_GLOBAL__N_18offset_tEEE10hipError_tPvRmT1_PNSt15iterator_traitsISV_E10value_typeET2_T3_PNSW_IS11_E10value_typeET4_jRbjT5_S17_jjP12ihipStream_tbEUljE_EEESS_ST_SU_S11_S15_S17_T6_T7_T9_mT8_S19_bDpT10_ENKUlT_T0_E_clISt17integral_constantIbLb0EES1L_IbLb1EEEEDaS1H_S1I_EUlS1H_E_NS1_11comp_targetILNS1_3genE0ELNS1_11target_archE4294967295ELNS1_3gpuE0ELNS1_3repE0EEENS1_30default_config_static_selectorELNS0_4arch9wavefront6targetE0EEEvSV_.has_indirect_call, 0
	.section	.AMDGPU.csdata,"",@progbits
; Kernel info:
; codeLenInByte = 0
; TotalNumSgprs: 0
; NumVgprs: 0
; ScratchSize: 0
; MemoryBound: 0
; FloatMode: 240
; IeeeMode: 1
; LDSByteSize: 0 bytes/workgroup (compile time only)
; SGPRBlocks: 0
; VGPRBlocks: 0
; NumSGPRsForWavesPerEU: 1
; NumVGPRsForWavesPerEU: 1
; Occupancy: 16
; WaveLimiterHint : 0
; COMPUTE_PGM_RSRC2:SCRATCH_EN: 0
; COMPUTE_PGM_RSRC2:USER_SGPR: 6
; COMPUTE_PGM_RSRC2:TRAP_HANDLER: 0
; COMPUTE_PGM_RSRC2:TGID_X_EN: 1
; COMPUTE_PGM_RSRC2:TGID_Y_EN: 0
; COMPUTE_PGM_RSRC2:TGID_Z_EN: 0
; COMPUTE_PGM_RSRC2:TIDIG_COMP_CNT: 0
	.section	.text._ZN7rocprim17ROCPRIM_400000_NS6detail17trampoline_kernelINS0_13select_configILj256ELj13ELNS0_17block_load_methodE3ELS4_3ELS4_3ELNS0_20block_scan_algorithmE0ELj4294967295EEENS1_25partition_config_selectorILNS1_17partition_subalgoE3EjNS0_10empty_typeEbEEZZNS1_14partition_implILS8_3ELb0ES6_jNS0_17counting_iteratorIjlEEPS9_SE_NS0_5tupleIJPjSE_EEENSF_IJSE_SE_EEES9_SG_JZNS1_25segmented_radix_sort_implINS0_14default_configELb1EPKlPlSM_SN_N2at6native12_GLOBAL__N_18offset_tEEE10hipError_tPvRmT1_PNSt15iterator_traitsISV_E10value_typeET2_T3_PNSW_IS11_E10value_typeET4_jRbjT5_S17_jjP12ihipStream_tbEUljE_EEESS_ST_SU_S11_S15_S17_T6_T7_T9_mT8_S19_bDpT10_ENKUlT_T0_E_clISt17integral_constantIbLb0EES1L_IbLb1EEEEDaS1H_S1I_EUlS1H_E_NS1_11comp_targetILNS1_3genE5ELNS1_11target_archE942ELNS1_3gpuE9ELNS1_3repE0EEENS1_30default_config_static_selectorELNS0_4arch9wavefront6targetE0EEEvSV_,"axG",@progbits,_ZN7rocprim17ROCPRIM_400000_NS6detail17trampoline_kernelINS0_13select_configILj256ELj13ELNS0_17block_load_methodE3ELS4_3ELS4_3ELNS0_20block_scan_algorithmE0ELj4294967295EEENS1_25partition_config_selectorILNS1_17partition_subalgoE3EjNS0_10empty_typeEbEEZZNS1_14partition_implILS8_3ELb0ES6_jNS0_17counting_iteratorIjlEEPS9_SE_NS0_5tupleIJPjSE_EEENSF_IJSE_SE_EEES9_SG_JZNS1_25segmented_radix_sort_implINS0_14default_configELb1EPKlPlSM_SN_N2at6native12_GLOBAL__N_18offset_tEEE10hipError_tPvRmT1_PNSt15iterator_traitsISV_E10value_typeET2_T3_PNSW_IS11_E10value_typeET4_jRbjT5_S17_jjP12ihipStream_tbEUljE_EEESS_ST_SU_S11_S15_S17_T6_T7_T9_mT8_S19_bDpT10_ENKUlT_T0_E_clISt17integral_constantIbLb0EES1L_IbLb1EEEEDaS1H_S1I_EUlS1H_E_NS1_11comp_targetILNS1_3genE5ELNS1_11target_archE942ELNS1_3gpuE9ELNS1_3repE0EEENS1_30default_config_static_selectorELNS0_4arch9wavefront6targetE0EEEvSV_,comdat
	.globl	_ZN7rocprim17ROCPRIM_400000_NS6detail17trampoline_kernelINS0_13select_configILj256ELj13ELNS0_17block_load_methodE3ELS4_3ELS4_3ELNS0_20block_scan_algorithmE0ELj4294967295EEENS1_25partition_config_selectorILNS1_17partition_subalgoE3EjNS0_10empty_typeEbEEZZNS1_14partition_implILS8_3ELb0ES6_jNS0_17counting_iteratorIjlEEPS9_SE_NS0_5tupleIJPjSE_EEENSF_IJSE_SE_EEES9_SG_JZNS1_25segmented_radix_sort_implINS0_14default_configELb1EPKlPlSM_SN_N2at6native12_GLOBAL__N_18offset_tEEE10hipError_tPvRmT1_PNSt15iterator_traitsISV_E10value_typeET2_T3_PNSW_IS11_E10value_typeET4_jRbjT5_S17_jjP12ihipStream_tbEUljE_EEESS_ST_SU_S11_S15_S17_T6_T7_T9_mT8_S19_bDpT10_ENKUlT_T0_E_clISt17integral_constantIbLb0EES1L_IbLb1EEEEDaS1H_S1I_EUlS1H_E_NS1_11comp_targetILNS1_3genE5ELNS1_11target_archE942ELNS1_3gpuE9ELNS1_3repE0EEENS1_30default_config_static_selectorELNS0_4arch9wavefront6targetE0EEEvSV_ ; -- Begin function _ZN7rocprim17ROCPRIM_400000_NS6detail17trampoline_kernelINS0_13select_configILj256ELj13ELNS0_17block_load_methodE3ELS4_3ELS4_3ELNS0_20block_scan_algorithmE0ELj4294967295EEENS1_25partition_config_selectorILNS1_17partition_subalgoE3EjNS0_10empty_typeEbEEZZNS1_14partition_implILS8_3ELb0ES6_jNS0_17counting_iteratorIjlEEPS9_SE_NS0_5tupleIJPjSE_EEENSF_IJSE_SE_EEES9_SG_JZNS1_25segmented_radix_sort_implINS0_14default_configELb1EPKlPlSM_SN_N2at6native12_GLOBAL__N_18offset_tEEE10hipError_tPvRmT1_PNSt15iterator_traitsISV_E10value_typeET2_T3_PNSW_IS11_E10value_typeET4_jRbjT5_S17_jjP12ihipStream_tbEUljE_EEESS_ST_SU_S11_S15_S17_T6_T7_T9_mT8_S19_bDpT10_ENKUlT_T0_E_clISt17integral_constantIbLb0EES1L_IbLb1EEEEDaS1H_S1I_EUlS1H_E_NS1_11comp_targetILNS1_3genE5ELNS1_11target_archE942ELNS1_3gpuE9ELNS1_3repE0EEENS1_30default_config_static_selectorELNS0_4arch9wavefront6targetE0EEEvSV_
	.p2align	8
	.type	_ZN7rocprim17ROCPRIM_400000_NS6detail17trampoline_kernelINS0_13select_configILj256ELj13ELNS0_17block_load_methodE3ELS4_3ELS4_3ELNS0_20block_scan_algorithmE0ELj4294967295EEENS1_25partition_config_selectorILNS1_17partition_subalgoE3EjNS0_10empty_typeEbEEZZNS1_14partition_implILS8_3ELb0ES6_jNS0_17counting_iteratorIjlEEPS9_SE_NS0_5tupleIJPjSE_EEENSF_IJSE_SE_EEES9_SG_JZNS1_25segmented_radix_sort_implINS0_14default_configELb1EPKlPlSM_SN_N2at6native12_GLOBAL__N_18offset_tEEE10hipError_tPvRmT1_PNSt15iterator_traitsISV_E10value_typeET2_T3_PNSW_IS11_E10value_typeET4_jRbjT5_S17_jjP12ihipStream_tbEUljE_EEESS_ST_SU_S11_S15_S17_T6_T7_T9_mT8_S19_bDpT10_ENKUlT_T0_E_clISt17integral_constantIbLb0EES1L_IbLb1EEEEDaS1H_S1I_EUlS1H_E_NS1_11comp_targetILNS1_3genE5ELNS1_11target_archE942ELNS1_3gpuE9ELNS1_3repE0EEENS1_30default_config_static_selectorELNS0_4arch9wavefront6targetE0EEEvSV_,@function
_ZN7rocprim17ROCPRIM_400000_NS6detail17trampoline_kernelINS0_13select_configILj256ELj13ELNS0_17block_load_methodE3ELS4_3ELS4_3ELNS0_20block_scan_algorithmE0ELj4294967295EEENS1_25partition_config_selectorILNS1_17partition_subalgoE3EjNS0_10empty_typeEbEEZZNS1_14partition_implILS8_3ELb0ES6_jNS0_17counting_iteratorIjlEEPS9_SE_NS0_5tupleIJPjSE_EEENSF_IJSE_SE_EEES9_SG_JZNS1_25segmented_radix_sort_implINS0_14default_configELb1EPKlPlSM_SN_N2at6native12_GLOBAL__N_18offset_tEEE10hipError_tPvRmT1_PNSt15iterator_traitsISV_E10value_typeET2_T3_PNSW_IS11_E10value_typeET4_jRbjT5_S17_jjP12ihipStream_tbEUljE_EEESS_ST_SU_S11_S15_S17_T6_T7_T9_mT8_S19_bDpT10_ENKUlT_T0_E_clISt17integral_constantIbLb0EES1L_IbLb1EEEEDaS1H_S1I_EUlS1H_E_NS1_11comp_targetILNS1_3genE5ELNS1_11target_archE942ELNS1_3gpuE9ELNS1_3repE0EEENS1_30default_config_static_selectorELNS0_4arch9wavefront6targetE0EEEvSV_: ; @_ZN7rocprim17ROCPRIM_400000_NS6detail17trampoline_kernelINS0_13select_configILj256ELj13ELNS0_17block_load_methodE3ELS4_3ELS4_3ELNS0_20block_scan_algorithmE0ELj4294967295EEENS1_25partition_config_selectorILNS1_17partition_subalgoE3EjNS0_10empty_typeEbEEZZNS1_14partition_implILS8_3ELb0ES6_jNS0_17counting_iteratorIjlEEPS9_SE_NS0_5tupleIJPjSE_EEENSF_IJSE_SE_EEES9_SG_JZNS1_25segmented_radix_sort_implINS0_14default_configELb1EPKlPlSM_SN_N2at6native12_GLOBAL__N_18offset_tEEE10hipError_tPvRmT1_PNSt15iterator_traitsISV_E10value_typeET2_T3_PNSW_IS11_E10value_typeET4_jRbjT5_S17_jjP12ihipStream_tbEUljE_EEESS_ST_SU_S11_S15_S17_T6_T7_T9_mT8_S19_bDpT10_ENKUlT_T0_E_clISt17integral_constantIbLb0EES1L_IbLb1EEEEDaS1H_S1I_EUlS1H_E_NS1_11comp_targetILNS1_3genE5ELNS1_11target_archE942ELNS1_3gpuE9ELNS1_3repE0EEENS1_30default_config_static_selectorELNS0_4arch9wavefront6targetE0EEEvSV_
; %bb.0:
	.section	.rodata,"a",@progbits
	.p2align	6, 0x0
	.amdhsa_kernel _ZN7rocprim17ROCPRIM_400000_NS6detail17trampoline_kernelINS0_13select_configILj256ELj13ELNS0_17block_load_methodE3ELS4_3ELS4_3ELNS0_20block_scan_algorithmE0ELj4294967295EEENS1_25partition_config_selectorILNS1_17partition_subalgoE3EjNS0_10empty_typeEbEEZZNS1_14partition_implILS8_3ELb0ES6_jNS0_17counting_iteratorIjlEEPS9_SE_NS0_5tupleIJPjSE_EEENSF_IJSE_SE_EEES9_SG_JZNS1_25segmented_radix_sort_implINS0_14default_configELb1EPKlPlSM_SN_N2at6native12_GLOBAL__N_18offset_tEEE10hipError_tPvRmT1_PNSt15iterator_traitsISV_E10value_typeET2_T3_PNSW_IS11_E10value_typeET4_jRbjT5_S17_jjP12ihipStream_tbEUljE_EEESS_ST_SU_S11_S15_S17_T6_T7_T9_mT8_S19_bDpT10_ENKUlT_T0_E_clISt17integral_constantIbLb0EES1L_IbLb1EEEEDaS1H_S1I_EUlS1H_E_NS1_11comp_targetILNS1_3genE5ELNS1_11target_archE942ELNS1_3gpuE9ELNS1_3repE0EEENS1_30default_config_static_selectorELNS0_4arch9wavefront6targetE0EEEvSV_
		.amdhsa_group_segment_fixed_size 0
		.amdhsa_private_segment_fixed_size 0
		.amdhsa_kernarg_size 152
		.amdhsa_user_sgpr_count 6
		.amdhsa_user_sgpr_private_segment_buffer 1
		.amdhsa_user_sgpr_dispatch_ptr 0
		.amdhsa_user_sgpr_queue_ptr 0
		.amdhsa_user_sgpr_kernarg_segment_ptr 1
		.amdhsa_user_sgpr_dispatch_id 0
		.amdhsa_user_sgpr_flat_scratch_init 0
		.amdhsa_user_sgpr_private_segment_size 0
		.amdhsa_wavefront_size32 1
		.amdhsa_uses_dynamic_stack 0
		.amdhsa_system_sgpr_private_segment_wavefront_offset 0
		.amdhsa_system_sgpr_workgroup_id_x 1
		.amdhsa_system_sgpr_workgroup_id_y 0
		.amdhsa_system_sgpr_workgroup_id_z 0
		.amdhsa_system_sgpr_workgroup_info 0
		.amdhsa_system_vgpr_workitem_id 0
		.amdhsa_next_free_vgpr 1
		.amdhsa_next_free_sgpr 1
		.amdhsa_reserve_vcc 0
		.amdhsa_reserve_flat_scratch 0
		.amdhsa_float_round_mode_32 0
		.amdhsa_float_round_mode_16_64 0
		.amdhsa_float_denorm_mode_32 3
		.amdhsa_float_denorm_mode_16_64 3
		.amdhsa_dx10_clamp 1
		.amdhsa_ieee_mode 1
		.amdhsa_fp16_overflow 0
		.amdhsa_workgroup_processor_mode 1
		.amdhsa_memory_ordered 1
		.amdhsa_forward_progress 1
		.amdhsa_shared_vgpr_count 0
		.amdhsa_exception_fp_ieee_invalid_op 0
		.amdhsa_exception_fp_denorm_src 0
		.amdhsa_exception_fp_ieee_div_zero 0
		.amdhsa_exception_fp_ieee_overflow 0
		.amdhsa_exception_fp_ieee_underflow 0
		.amdhsa_exception_fp_ieee_inexact 0
		.amdhsa_exception_int_div_zero 0
	.end_amdhsa_kernel
	.section	.text._ZN7rocprim17ROCPRIM_400000_NS6detail17trampoline_kernelINS0_13select_configILj256ELj13ELNS0_17block_load_methodE3ELS4_3ELS4_3ELNS0_20block_scan_algorithmE0ELj4294967295EEENS1_25partition_config_selectorILNS1_17partition_subalgoE3EjNS0_10empty_typeEbEEZZNS1_14partition_implILS8_3ELb0ES6_jNS0_17counting_iteratorIjlEEPS9_SE_NS0_5tupleIJPjSE_EEENSF_IJSE_SE_EEES9_SG_JZNS1_25segmented_radix_sort_implINS0_14default_configELb1EPKlPlSM_SN_N2at6native12_GLOBAL__N_18offset_tEEE10hipError_tPvRmT1_PNSt15iterator_traitsISV_E10value_typeET2_T3_PNSW_IS11_E10value_typeET4_jRbjT5_S17_jjP12ihipStream_tbEUljE_EEESS_ST_SU_S11_S15_S17_T6_T7_T9_mT8_S19_bDpT10_ENKUlT_T0_E_clISt17integral_constantIbLb0EES1L_IbLb1EEEEDaS1H_S1I_EUlS1H_E_NS1_11comp_targetILNS1_3genE5ELNS1_11target_archE942ELNS1_3gpuE9ELNS1_3repE0EEENS1_30default_config_static_selectorELNS0_4arch9wavefront6targetE0EEEvSV_,"axG",@progbits,_ZN7rocprim17ROCPRIM_400000_NS6detail17trampoline_kernelINS0_13select_configILj256ELj13ELNS0_17block_load_methodE3ELS4_3ELS4_3ELNS0_20block_scan_algorithmE0ELj4294967295EEENS1_25partition_config_selectorILNS1_17partition_subalgoE3EjNS0_10empty_typeEbEEZZNS1_14partition_implILS8_3ELb0ES6_jNS0_17counting_iteratorIjlEEPS9_SE_NS0_5tupleIJPjSE_EEENSF_IJSE_SE_EEES9_SG_JZNS1_25segmented_radix_sort_implINS0_14default_configELb1EPKlPlSM_SN_N2at6native12_GLOBAL__N_18offset_tEEE10hipError_tPvRmT1_PNSt15iterator_traitsISV_E10value_typeET2_T3_PNSW_IS11_E10value_typeET4_jRbjT5_S17_jjP12ihipStream_tbEUljE_EEESS_ST_SU_S11_S15_S17_T6_T7_T9_mT8_S19_bDpT10_ENKUlT_T0_E_clISt17integral_constantIbLb0EES1L_IbLb1EEEEDaS1H_S1I_EUlS1H_E_NS1_11comp_targetILNS1_3genE5ELNS1_11target_archE942ELNS1_3gpuE9ELNS1_3repE0EEENS1_30default_config_static_selectorELNS0_4arch9wavefront6targetE0EEEvSV_,comdat
.Lfunc_end691:
	.size	_ZN7rocprim17ROCPRIM_400000_NS6detail17trampoline_kernelINS0_13select_configILj256ELj13ELNS0_17block_load_methodE3ELS4_3ELS4_3ELNS0_20block_scan_algorithmE0ELj4294967295EEENS1_25partition_config_selectorILNS1_17partition_subalgoE3EjNS0_10empty_typeEbEEZZNS1_14partition_implILS8_3ELb0ES6_jNS0_17counting_iteratorIjlEEPS9_SE_NS0_5tupleIJPjSE_EEENSF_IJSE_SE_EEES9_SG_JZNS1_25segmented_radix_sort_implINS0_14default_configELb1EPKlPlSM_SN_N2at6native12_GLOBAL__N_18offset_tEEE10hipError_tPvRmT1_PNSt15iterator_traitsISV_E10value_typeET2_T3_PNSW_IS11_E10value_typeET4_jRbjT5_S17_jjP12ihipStream_tbEUljE_EEESS_ST_SU_S11_S15_S17_T6_T7_T9_mT8_S19_bDpT10_ENKUlT_T0_E_clISt17integral_constantIbLb0EES1L_IbLb1EEEEDaS1H_S1I_EUlS1H_E_NS1_11comp_targetILNS1_3genE5ELNS1_11target_archE942ELNS1_3gpuE9ELNS1_3repE0EEENS1_30default_config_static_selectorELNS0_4arch9wavefront6targetE0EEEvSV_, .Lfunc_end691-_ZN7rocprim17ROCPRIM_400000_NS6detail17trampoline_kernelINS0_13select_configILj256ELj13ELNS0_17block_load_methodE3ELS4_3ELS4_3ELNS0_20block_scan_algorithmE0ELj4294967295EEENS1_25partition_config_selectorILNS1_17partition_subalgoE3EjNS0_10empty_typeEbEEZZNS1_14partition_implILS8_3ELb0ES6_jNS0_17counting_iteratorIjlEEPS9_SE_NS0_5tupleIJPjSE_EEENSF_IJSE_SE_EEES9_SG_JZNS1_25segmented_radix_sort_implINS0_14default_configELb1EPKlPlSM_SN_N2at6native12_GLOBAL__N_18offset_tEEE10hipError_tPvRmT1_PNSt15iterator_traitsISV_E10value_typeET2_T3_PNSW_IS11_E10value_typeET4_jRbjT5_S17_jjP12ihipStream_tbEUljE_EEESS_ST_SU_S11_S15_S17_T6_T7_T9_mT8_S19_bDpT10_ENKUlT_T0_E_clISt17integral_constantIbLb0EES1L_IbLb1EEEEDaS1H_S1I_EUlS1H_E_NS1_11comp_targetILNS1_3genE5ELNS1_11target_archE942ELNS1_3gpuE9ELNS1_3repE0EEENS1_30default_config_static_selectorELNS0_4arch9wavefront6targetE0EEEvSV_
                                        ; -- End function
	.set _ZN7rocprim17ROCPRIM_400000_NS6detail17trampoline_kernelINS0_13select_configILj256ELj13ELNS0_17block_load_methodE3ELS4_3ELS4_3ELNS0_20block_scan_algorithmE0ELj4294967295EEENS1_25partition_config_selectorILNS1_17partition_subalgoE3EjNS0_10empty_typeEbEEZZNS1_14partition_implILS8_3ELb0ES6_jNS0_17counting_iteratorIjlEEPS9_SE_NS0_5tupleIJPjSE_EEENSF_IJSE_SE_EEES9_SG_JZNS1_25segmented_radix_sort_implINS0_14default_configELb1EPKlPlSM_SN_N2at6native12_GLOBAL__N_18offset_tEEE10hipError_tPvRmT1_PNSt15iterator_traitsISV_E10value_typeET2_T3_PNSW_IS11_E10value_typeET4_jRbjT5_S17_jjP12ihipStream_tbEUljE_EEESS_ST_SU_S11_S15_S17_T6_T7_T9_mT8_S19_bDpT10_ENKUlT_T0_E_clISt17integral_constantIbLb0EES1L_IbLb1EEEEDaS1H_S1I_EUlS1H_E_NS1_11comp_targetILNS1_3genE5ELNS1_11target_archE942ELNS1_3gpuE9ELNS1_3repE0EEENS1_30default_config_static_selectorELNS0_4arch9wavefront6targetE0EEEvSV_.num_vgpr, 0
	.set _ZN7rocprim17ROCPRIM_400000_NS6detail17trampoline_kernelINS0_13select_configILj256ELj13ELNS0_17block_load_methodE3ELS4_3ELS4_3ELNS0_20block_scan_algorithmE0ELj4294967295EEENS1_25partition_config_selectorILNS1_17partition_subalgoE3EjNS0_10empty_typeEbEEZZNS1_14partition_implILS8_3ELb0ES6_jNS0_17counting_iteratorIjlEEPS9_SE_NS0_5tupleIJPjSE_EEENSF_IJSE_SE_EEES9_SG_JZNS1_25segmented_radix_sort_implINS0_14default_configELb1EPKlPlSM_SN_N2at6native12_GLOBAL__N_18offset_tEEE10hipError_tPvRmT1_PNSt15iterator_traitsISV_E10value_typeET2_T3_PNSW_IS11_E10value_typeET4_jRbjT5_S17_jjP12ihipStream_tbEUljE_EEESS_ST_SU_S11_S15_S17_T6_T7_T9_mT8_S19_bDpT10_ENKUlT_T0_E_clISt17integral_constantIbLb0EES1L_IbLb1EEEEDaS1H_S1I_EUlS1H_E_NS1_11comp_targetILNS1_3genE5ELNS1_11target_archE942ELNS1_3gpuE9ELNS1_3repE0EEENS1_30default_config_static_selectorELNS0_4arch9wavefront6targetE0EEEvSV_.num_agpr, 0
	.set _ZN7rocprim17ROCPRIM_400000_NS6detail17trampoline_kernelINS0_13select_configILj256ELj13ELNS0_17block_load_methodE3ELS4_3ELS4_3ELNS0_20block_scan_algorithmE0ELj4294967295EEENS1_25partition_config_selectorILNS1_17partition_subalgoE3EjNS0_10empty_typeEbEEZZNS1_14partition_implILS8_3ELb0ES6_jNS0_17counting_iteratorIjlEEPS9_SE_NS0_5tupleIJPjSE_EEENSF_IJSE_SE_EEES9_SG_JZNS1_25segmented_radix_sort_implINS0_14default_configELb1EPKlPlSM_SN_N2at6native12_GLOBAL__N_18offset_tEEE10hipError_tPvRmT1_PNSt15iterator_traitsISV_E10value_typeET2_T3_PNSW_IS11_E10value_typeET4_jRbjT5_S17_jjP12ihipStream_tbEUljE_EEESS_ST_SU_S11_S15_S17_T6_T7_T9_mT8_S19_bDpT10_ENKUlT_T0_E_clISt17integral_constantIbLb0EES1L_IbLb1EEEEDaS1H_S1I_EUlS1H_E_NS1_11comp_targetILNS1_3genE5ELNS1_11target_archE942ELNS1_3gpuE9ELNS1_3repE0EEENS1_30default_config_static_selectorELNS0_4arch9wavefront6targetE0EEEvSV_.numbered_sgpr, 0
	.set _ZN7rocprim17ROCPRIM_400000_NS6detail17trampoline_kernelINS0_13select_configILj256ELj13ELNS0_17block_load_methodE3ELS4_3ELS4_3ELNS0_20block_scan_algorithmE0ELj4294967295EEENS1_25partition_config_selectorILNS1_17partition_subalgoE3EjNS0_10empty_typeEbEEZZNS1_14partition_implILS8_3ELb0ES6_jNS0_17counting_iteratorIjlEEPS9_SE_NS0_5tupleIJPjSE_EEENSF_IJSE_SE_EEES9_SG_JZNS1_25segmented_radix_sort_implINS0_14default_configELb1EPKlPlSM_SN_N2at6native12_GLOBAL__N_18offset_tEEE10hipError_tPvRmT1_PNSt15iterator_traitsISV_E10value_typeET2_T3_PNSW_IS11_E10value_typeET4_jRbjT5_S17_jjP12ihipStream_tbEUljE_EEESS_ST_SU_S11_S15_S17_T6_T7_T9_mT8_S19_bDpT10_ENKUlT_T0_E_clISt17integral_constantIbLb0EES1L_IbLb1EEEEDaS1H_S1I_EUlS1H_E_NS1_11comp_targetILNS1_3genE5ELNS1_11target_archE942ELNS1_3gpuE9ELNS1_3repE0EEENS1_30default_config_static_selectorELNS0_4arch9wavefront6targetE0EEEvSV_.num_named_barrier, 0
	.set _ZN7rocprim17ROCPRIM_400000_NS6detail17trampoline_kernelINS0_13select_configILj256ELj13ELNS0_17block_load_methodE3ELS4_3ELS4_3ELNS0_20block_scan_algorithmE0ELj4294967295EEENS1_25partition_config_selectorILNS1_17partition_subalgoE3EjNS0_10empty_typeEbEEZZNS1_14partition_implILS8_3ELb0ES6_jNS0_17counting_iteratorIjlEEPS9_SE_NS0_5tupleIJPjSE_EEENSF_IJSE_SE_EEES9_SG_JZNS1_25segmented_radix_sort_implINS0_14default_configELb1EPKlPlSM_SN_N2at6native12_GLOBAL__N_18offset_tEEE10hipError_tPvRmT1_PNSt15iterator_traitsISV_E10value_typeET2_T3_PNSW_IS11_E10value_typeET4_jRbjT5_S17_jjP12ihipStream_tbEUljE_EEESS_ST_SU_S11_S15_S17_T6_T7_T9_mT8_S19_bDpT10_ENKUlT_T0_E_clISt17integral_constantIbLb0EES1L_IbLb1EEEEDaS1H_S1I_EUlS1H_E_NS1_11comp_targetILNS1_3genE5ELNS1_11target_archE942ELNS1_3gpuE9ELNS1_3repE0EEENS1_30default_config_static_selectorELNS0_4arch9wavefront6targetE0EEEvSV_.private_seg_size, 0
	.set _ZN7rocprim17ROCPRIM_400000_NS6detail17trampoline_kernelINS0_13select_configILj256ELj13ELNS0_17block_load_methodE3ELS4_3ELS4_3ELNS0_20block_scan_algorithmE0ELj4294967295EEENS1_25partition_config_selectorILNS1_17partition_subalgoE3EjNS0_10empty_typeEbEEZZNS1_14partition_implILS8_3ELb0ES6_jNS0_17counting_iteratorIjlEEPS9_SE_NS0_5tupleIJPjSE_EEENSF_IJSE_SE_EEES9_SG_JZNS1_25segmented_radix_sort_implINS0_14default_configELb1EPKlPlSM_SN_N2at6native12_GLOBAL__N_18offset_tEEE10hipError_tPvRmT1_PNSt15iterator_traitsISV_E10value_typeET2_T3_PNSW_IS11_E10value_typeET4_jRbjT5_S17_jjP12ihipStream_tbEUljE_EEESS_ST_SU_S11_S15_S17_T6_T7_T9_mT8_S19_bDpT10_ENKUlT_T0_E_clISt17integral_constantIbLb0EES1L_IbLb1EEEEDaS1H_S1I_EUlS1H_E_NS1_11comp_targetILNS1_3genE5ELNS1_11target_archE942ELNS1_3gpuE9ELNS1_3repE0EEENS1_30default_config_static_selectorELNS0_4arch9wavefront6targetE0EEEvSV_.uses_vcc, 0
	.set _ZN7rocprim17ROCPRIM_400000_NS6detail17trampoline_kernelINS0_13select_configILj256ELj13ELNS0_17block_load_methodE3ELS4_3ELS4_3ELNS0_20block_scan_algorithmE0ELj4294967295EEENS1_25partition_config_selectorILNS1_17partition_subalgoE3EjNS0_10empty_typeEbEEZZNS1_14partition_implILS8_3ELb0ES6_jNS0_17counting_iteratorIjlEEPS9_SE_NS0_5tupleIJPjSE_EEENSF_IJSE_SE_EEES9_SG_JZNS1_25segmented_radix_sort_implINS0_14default_configELb1EPKlPlSM_SN_N2at6native12_GLOBAL__N_18offset_tEEE10hipError_tPvRmT1_PNSt15iterator_traitsISV_E10value_typeET2_T3_PNSW_IS11_E10value_typeET4_jRbjT5_S17_jjP12ihipStream_tbEUljE_EEESS_ST_SU_S11_S15_S17_T6_T7_T9_mT8_S19_bDpT10_ENKUlT_T0_E_clISt17integral_constantIbLb0EES1L_IbLb1EEEEDaS1H_S1I_EUlS1H_E_NS1_11comp_targetILNS1_3genE5ELNS1_11target_archE942ELNS1_3gpuE9ELNS1_3repE0EEENS1_30default_config_static_selectorELNS0_4arch9wavefront6targetE0EEEvSV_.uses_flat_scratch, 0
	.set _ZN7rocprim17ROCPRIM_400000_NS6detail17trampoline_kernelINS0_13select_configILj256ELj13ELNS0_17block_load_methodE3ELS4_3ELS4_3ELNS0_20block_scan_algorithmE0ELj4294967295EEENS1_25partition_config_selectorILNS1_17partition_subalgoE3EjNS0_10empty_typeEbEEZZNS1_14partition_implILS8_3ELb0ES6_jNS0_17counting_iteratorIjlEEPS9_SE_NS0_5tupleIJPjSE_EEENSF_IJSE_SE_EEES9_SG_JZNS1_25segmented_radix_sort_implINS0_14default_configELb1EPKlPlSM_SN_N2at6native12_GLOBAL__N_18offset_tEEE10hipError_tPvRmT1_PNSt15iterator_traitsISV_E10value_typeET2_T3_PNSW_IS11_E10value_typeET4_jRbjT5_S17_jjP12ihipStream_tbEUljE_EEESS_ST_SU_S11_S15_S17_T6_T7_T9_mT8_S19_bDpT10_ENKUlT_T0_E_clISt17integral_constantIbLb0EES1L_IbLb1EEEEDaS1H_S1I_EUlS1H_E_NS1_11comp_targetILNS1_3genE5ELNS1_11target_archE942ELNS1_3gpuE9ELNS1_3repE0EEENS1_30default_config_static_selectorELNS0_4arch9wavefront6targetE0EEEvSV_.has_dyn_sized_stack, 0
	.set _ZN7rocprim17ROCPRIM_400000_NS6detail17trampoline_kernelINS0_13select_configILj256ELj13ELNS0_17block_load_methodE3ELS4_3ELS4_3ELNS0_20block_scan_algorithmE0ELj4294967295EEENS1_25partition_config_selectorILNS1_17partition_subalgoE3EjNS0_10empty_typeEbEEZZNS1_14partition_implILS8_3ELb0ES6_jNS0_17counting_iteratorIjlEEPS9_SE_NS0_5tupleIJPjSE_EEENSF_IJSE_SE_EEES9_SG_JZNS1_25segmented_radix_sort_implINS0_14default_configELb1EPKlPlSM_SN_N2at6native12_GLOBAL__N_18offset_tEEE10hipError_tPvRmT1_PNSt15iterator_traitsISV_E10value_typeET2_T3_PNSW_IS11_E10value_typeET4_jRbjT5_S17_jjP12ihipStream_tbEUljE_EEESS_ST_SU_S11_S15_S17_T6_T7_T9_mT8_S19_bDpT10_ENKUlT_T0_E_clISt17integral_constantIbLb0EES1L_IbLb1EEEEDaS1H_S1I_EUlS1H_E_NS1_11comp_targetILNS1_3genE5ELNS1_11target_archE942ELNS1_3gpuE9ELNS1_3repE0EEENS1_30default_config_static_selectorELNS0_4arch9wavefront6targetE0EEEvSV_.has_recursion, 0
	.set _ZN7rocprim17ROCPRIM_400000_NS6detail17trampoline_kernelINS0_13select_configILj256ELj13ELNS0_17block_load_methodE3ELS4_3ELS4_3ELNS0_20block_scan_algorithmE0ELj4294967295EEENS1_25partition_config_selectorILNS1_17partition_subalgoE3EjNS0_10empty_typeEbEEZZNS1_14partition_implILS8_3ELb0ES6_jNS0_17counting_iteratorIjlEEPS9_SE_NS0_5tupleIJPjSE_EEENSF_IJSE_SE_EEES9_SG_JZNS1_25segmented_radix_sort_implINS0_14default_configELb1EPKlPlSM_SN_N2at6native12_GLOBAL__N_18offset_tEEE10hipError_tPvRmT1_PNSt15iterator_traitsISV_E10value_typeET2_T3_PNSW_IS11_E10value_typeET4_jRbjT5_S17_jjP12ihipStream_tbEUljE_EEESS_ST_SU_S11_S15_S17_T6_T7_T9_mT8_S19_bDpT10_ENKUlT_T0_E_clISt17integral_constantIbLb0EES1L_IbLb1EEEEDaS1H_S1I_EUlS1H_E_NS1_11comp_targetILNS1_3genE5ELNS1_11target_archE942ELNS1_3gpuE9ELNS1_3repE0EEENS1_30default_config_static_selectorELNS0_4arch9wavefront6targetE0EEEvSV_.has_indirect_call, 0
	.section	.AMDGPU.csdata,"",@progbits
; Kernel info:
; codeLenInByte = 0
; TotalNumSgprs: 0
; NumVgprs: 0
; ScratchSize: 0
; MemoryBound: 0
; FloatMode: 240
; IeeeMode: 1
; LDSByteSize: 0 bytes/workgroup (compile time only)
; SGPRBlocks: 0
; VGPRBlocks: 0
; NumSGPRsForWavesPerEU: 1
; NumVGPRsForWavesPerEU: 1
; Occupancy: 16
; WaveLimiterHint : 0
; COMPUTE_PGM_RSRC2:SCRATCH_EN: 0
; COMPUTE_PGM_RSRC2:USER_SGPR: 6
; COMPUTE_PGM_RSRC2:TRAP_HANDLER: 0
; COMPUTE_PGM_RSRC2:TGID_X_EN: 1
; COMPUTE_PGM_RSRC2:TGID_Y_EN: 0
; COMPUTE_PGM_RSRC2:TGID_Z_EN: 0
; COMPUTE_PGM_RSRC2:TIDIG_COMP_CNT: 0
	.section	.text._ZN7rocprim17ROCPRIM_400000_NS6detail17trampoline_kernelINS0_13select_configILj256ELj13ELNS0_17block_load_methodE3ELS4_3ELS4_3ELNS0_20block_scan_algorithmE0ELj4294967295EEENS1_25partition_config_selectorILNS1_17partition_subalgoE3EjNS0_10empty_typeEbEEZZNS1_14partition_implILS8_3ELb0ES6_jNS0_17counting_iteratorIjlEEPS9_SE_NS0_5tupleIJPjSE_EEENSF_IJSE_SE_EEES9_SG_JZNS1_25segmented_radix_sort_implINS0_14default_configELb1EPKlPlSM_SN_N2at6native12_GLOBAL__N_18offset_tEEE10hipError_tPvRmT1_PNSt15iterator_traitsISV_E10value_typeET2_T3_PNSW_IS11_E10value_typeET4_jRbjT5_S17_jjP12ihipStream_tbEUljE_EEESS_ST_SU_S11_S15_S17_T6_T7_T9_mT8_S19_bDpT10_ENKUlT_T0_E_clISt17integral_constantIbLb0EES1L_IbLb1EEEEDaS1H_S1I_EUlS1H_E_NS1_11comp_targetILNS1_3genE4ELNS1_11target_archE910ELNS1_3gpuE8ELNS1_3repE0EEENS1_30default_config_static_selectorELNS0_4arch9wavefront6targetE0EEEvSV_,"axG",@progbits,_ZN7rocprim17ROCPRIM_400000_NS6detail17trampoline_kernelINS0_13select_configILj256ELj13ELNS0_17block_load_methodE3ELS4_3ELS4_3ELNS0_20block_scan_algorithmE0ELj4294967295EEENS1_25partition_config_selectorILNS1_17partition_subalgoE3EjNS0_10empty_typeEbEEZZNS1_14partition_implILS8_3ELb0ES6_jNS0_17counting_iteratorIjlEEPS9_SE_NS0_5tupleIJPjSE_EEENSF_IJSE_SE_EEES9_SG_JZNS1_25segmented_radix_sort_implINS0_14default_configELb1EPKlPlSM_SN_N2at6native12_GLOBAL__N_18offset_tEEE10hipError_tPvRmT1_PNSt15iterator_traitsISV_E10value_typeET2_T3_PNSW_IS11_E10value_typeET4_jRbjT5_S17_jjP12ihipStream_tbEUljE_EEESS_ST_SU_S11_S15_S17_T6_T7_T9_mT8_S19_bDpT10_ENKUlT_T0_E_clISt17integral_constantIbLb0EES1L_IbLb1EEEEDaS1H_S1I_EUlS1H_E_NS1_11comp_targetILNS1_3genE4ELNS1_11target_archE910ELNS1_3gpuE8ELNS1_3repE0EEENS1_30default_config_static_selectorELNS0_4arch9wavefront6targetE0EEEvSV_,comdat
	.globl	_ZN7rocprim17ROCPRIM_400000_NS6detail17trampoline_kernelINS0_13select_configILj256ELj13ELNS0_17block_load_methodE3ELS4_3ELS4_3ELNS0_20block_scan_algorithmE0ELj4294967295EEENS1_25partition_config_selectorILNS1_17partition_subalgoE3EjNS0_10empty_typeEbEEZZNS1_14partition_implILS8_3ELb0ES6_jNS0_17counting_iteratorIjlEEPS9_SE_NS0_5tupleIJPjSE_EEENSF_IJSE_SE_EEES9_SG_JZNS1_25segmented_radix_sort_implINS0_14default_configELb1EPKlPlSM_SN_N2at6native12_GLOBAL__N_18offset_tEEE10hipError_tPvRmT1_PNSt15iterator_traitsISV_E10value_typeET2_T3_PNSW_IS11_E10value_typeET4_jRbjT5_S17_jjP12ihipStream_tbEUljE_EEESS_ST_SU_S11_S15_S17_T6_T7_T9_mT8_S19_bDpT10_ENKUlT_T0_E_clISt17integral_constantIbLb0EES1L_IbLb1EEEEDaS1H_S1I_EUlS1H_E_NS1_11comp_targetILNS1_3genE4ELNS1_11target_archE910ELNS1_3gpuE8ELNS1_3repE0EEENS1_30default_config_static_selectorELNS0_4arch9wavefront6targetE0EEEvSV_ ; -- Begin function _ZN7rocprim17ROCPRIM_400000_NS6detail17trampoline_kernelINS0_13select_configILj256ELj13ELNS0_17block_load_methodE3ELS4_3ELS4_3ELNS0_20block_scan_algorithmE0ELj4294967295EEENS1_25partition_config_selectorILNS1_17partition_subalgoE3EjNS0_10empty_typeEbEEZZNS1_14partition_implILS8_3ELb0ES6_jNS0_17counting_iteratorIjlEEPS9_SE_NS0_5tupleIJPjSE_EEENSF_IJSE_SE_EEES9_SG_JZNS1_25segmented_radix_sort_implINS0_14default_configELb1EPKlPlSM_SN_N2at6native12_GLOBAL__N_18offset_tEEE10hipError_tPvRmT1_PNSt15iterator_traitsISV_E10value_typeET2_T3_PNSW_IS11_E10value_typeET4_jRbjT5_S17_jjP12ihipStream_tbEUljE_EEESS_ST_SU_S11_S15_S17_T6_T7_T9_mT8_S19_bDpT10_ENKUlT_T0_E_clISt17integral_constantIbLb0EES1L_IbLb1EEEEDaS1H_S1I_EUlS1H_E_NS1_11comp_targetILNS1_3genE4ELNS1_11target_archE910ELNS1_3gpuE8ELNS1_3repE0EEENS1_30default_config_static_selectorELNS0_4arch9wavefront6targetE0EEEvSV_
	.p2align	8
	.type	_ZN7rocprim17ROCPRIM_400000_NS6detail17trampoline_kernelINS0_13select_configILj256ELj13ELNS0_17block_load_methodE3ELS4_3ELS4_3ELNS0_20block_scan_algorithmE0ELj4294967295EEENS1_25partition_config_selectorILNS1_17partition_subalgoE3EjNS0_10empty_typeEbEEZZNS1_14partition_implILS8_3ELb0ES6_jNS0_17counting_iteratorIjlEEPS9_SE_NS0_5tupleIJPjSE_EEENSF_IJSE_SE_EEES9_SG_JZNS1_25segmented_radix_sort_implINS0_14default_configELb1EPKlPlSM_SN_N2at6native12_GLOBAL__N_18offset_tEEE10hipError_tPvRmT1_PNSt15iterator_traitsISV_E10value_typeET2_T3_PNSW_IS11_E10value_typeET4_jRbjT5_S17_jjP12ihipStream_tbEUljE_EEESS_ST_SU_S11_S15_S17_T6_T7_T9_mT8_S19_bDpT10_ENKUlT_T0_E_clISt17integral_constantIbLb0EES1L_IbLb1EEEEDaS1H_S1I_EUlS1H_E_NS1_11comp_targetILNS1_3genE4ELNS1_11target_archE910ELNS1_3gpuE8ELNS1_3repE0EEENS1_30default_config_static_selectorELNS0_4arch9wavefront6targetE0EEEvSV_,@function
_ZN7rocprim17ROCPRIM_400000_NS6detail17trampoline_kernelINS0_13select_configILj256ELj13ELNS0_17block_load_methodE3ELS4_3ELS4_3ELNS0_20block_scan_algorithmE0ELj4294967295EEENS1_25partition_config_selectorILNS1_17partition_subalgoE3EjNS0_10empty_typeEbEEZZNS1_14partition_implILS8_3ELb0ES6_jNS0_17counting_iteratorIjlEEPS9_SE_NS0_5tupleIJPjSE_EEENSF_IJSE_SE_EEES9_SG_JZNS1_25segmented_radix_sort_implINS0_14default_configELb1EPKlPlSM_SN_N2at6native12_GLOBAL__N_18offset_tEEE10hipError_tPvRmT1_PNSt15iterator_traitsISV_E10value_typeET2_T3_PNSW_IS11_E10value_typeET4_jRbjT5_S17_jjP12ihipStream_tbEUljE_EEESS_ST_SU_S11_S15_S17_T6_T7_T9_mT8_S19_bDpT10_ENKUlT_T0_E_clISt17integral_constantIbLb0EES1L_IbLb1EEEEDaS1H_S1I_EUlS1H_E_NS1_11comp_targetILNS1_3genE4ELNS1_11target_archE910ELNS1_3gpuE8ELNS1_3repE0EEENS1_30default_config_static_selectorELNS0_4arch9wavefront6targetE0EEEvSV_: ; @_ZN7rocprim17ROCPRIM_400000_NS6detail17trampoline_kernelINS0_13select_configILj256ELj13ELNS0_17block_load_methodE3ELS4_3ELS4_3ELNS0_20block_scan_algorithmE0ELj4294967295EEENS1_25partition_config_selectorILNS1_17partition_subalgoE3EjNS0_10empty_typeEbEEZZNS1_14partition_implILS8_3ELb0ES6_jNS0_17counting_iteratorIjlEEPS9_SE_NS0_5tupleIJPjSE_EEENSF_IJSE_SE_EEES9_SG_JZNS1_25segmented_radix_sort_implINS0_14default_configELb1EPKlPlSM_SN_N2at6native12_GLOBAL__N_18offset_tEEE10hipError_tPvRmT1_PNSt15iterator_traitsISV_E10value_typeET2_T3_PNSW_IS11_E10value_typeET4_jRbjT5_S17_jjP12ihipStream_tbEUljE_EEESS_ST_SU_S11_S15_S17_T6_T7_T9_mT8_S19_bDpT10_ENKUlT_T0_E_clISt17integral_constantIbLb0EES1L_IbLb1EEEEDaS1H_S1I_EUlS1H_E_NS1_11comp_targetILNS1_3genE4ELNS1_11target_archE910ELNS1_3gpuE8ELNS1_3repE0EEENS1_30default_config_static_selectorELNS0_4arch9wavefront6targetE0EEEvSV_
; %bb.0:
	.section	.rodata,"a",@progbits
	.p2align	6, 0x0
	.amdhsa_kernel _ZN7rocprim17ROCPRIM_400000_NS6detail17trampoline_kernelINS0_13select_configILj256ELj13ELNS0_17block_load_methodE3ELS4_3ELS4_3ELNS0_20block_scan_algorithmE0ELj4294967295EEENS1_25partition_config_selectorILNS1_17partition_subalgoE3EjNS0_10empty_typeEbEEZZNS1_14partition_implILS8_3ELb0ES6_jNS0_17counting_iteratorIjlEEPS9_SE_NS0_5tupleIJPjSE_EEENSF_IJSE_SE_EEES9_SG_JZNS1_25segmented_radix_sort_implINS0_14default_configELb1EPKlPlSM_SN_N2at6native12_GLOBAL__N_18offset_tEEE10hipError_tPvRmT1_PNSt15iterator_traitsISV_E10value_typeET2_T3_PNSW_IS11_E10value_typeET4_jRbjT5_S17_jjP12ihipStream_tbEUljE_EEESS_ST_SU_S11_S15_S17_T6_T7_T9_mT8_S19_bDpT10_ENKUlT_T0_E_clISt17integral_constantIbLb0EES1L_IbLb1EEEEDaS1H_S1I_EUlS1H_E_NS1_11comp_targetILNS1_3genE4ELNS1_11target_archE910ELNS1_3gpuE8ELNS1_3repE0EEENS1_30default_config_static_selectorELNS0_4arch9wavefront6targetE0EEEvSV_
		.amdhsa_group_segment_fixed_size 0
		.amdhsa_private_segment_fixed_size 0
		.amdhsa_kernarg_size 152
		.amdhsa_user_sgpr_count 6
		.amdhsa_user_sgpr_private_segment_buffer 1
		.amdhsa_user_sgpr_dispatch_ptr 0
		.amdhsa_user_sgpr_queue_ptr 0
		.amdhsa_user_sgpr_kernarg_segment_ptr 1
		.amdhsa_user_sgpr_dispatch_id 0
		.amdhsa_user_sgpr_flat_scratch_init 0
		.amdhsa_user_sgpr_private_segment_size 0
		.amdhsa_wavefront_size32 1
		.amdhsa_uses_dynamic_stack 0
		.amdhsa_system_sgpr_private_segment_wavefront_offset 0
		.amdhsa_system_sgpr_workgroup_id_x 1
		.amdhsa_system_sgpr_workgroup_id_y 0
		.amdhsa_system_sgpr_workgroup_id_z 0
		.amdhsa_system_sgpr_workgroup_info 0
		.amdhsa_system_vgpr_workitem_id 0
		.amdhsa_next_free_vgpr 1
		.amdhsa_next_free_sgpr 1
		.amdhsa_reserve_vcc 0
		.amdhsa_reserve_flat_scratch 0
		.amdhsa_float_round_mode_32 0
		.amdhsa_float_round_mode_16_64 0
		.amdhsa_float_denorm_mode_32 3
		.amdhsa_float_denorm_mode_16_64 3
		.amdhsa_dx10_clamp 1
		.amdhsa_ieee_mode 1
		.amdhsa_fp16_overflow 0
		.amdhsa_workgroup_processor_mode 1
		.amdhsa_memory_ordered 1
		.amdhsa_forward_progress 1
		.amdhsa_shared_vgpr_count 0
		.amdhsa_exception_fp_ieee_invalid_op 0
		.amdhsa_exception_fp_denorm_src 0
		.amdhsa_exception_fp_ieee_div_zero 0
		.amdhsa_exception_fp_ieee_overflow 0
		.amdhsa_exception_fp_ieee_underflow 0
		.amdhsa_exception_fp_ieee_inexact 0
		.amdhsa_exception_int_div_zero 0
	.end_amdhsa_kernel
	.section	.text._ZN7rocprim17ROCPRIM_400000_NS6detail17trampoline_kernelINS0_13select_configILj256ELj13ELNS0_17block_load_methodE3ELS4_3ELS4_3ELNS0_20block_scan_algorithmE0ELj4294967295EEENS1_25partition_config_selectorILNS1_17partition_subalgoE3EjNS0_10empty_typeEbEEZZNS1_14partition_implILS8_3ELb0ES6_jNS0_17counting_iteratorIjlEEPS9_SE_NS0_5tupleIJPjSE_EEENSF_IJSE_SE_EEES9_SG_JZNS1_25segmented_radix_sort_implINS0_14default_configELb1EPKlPlSM_SN_N2at6native12_GLOBAL__N_18offset_tEEE10hipError_tPvRmT1_PNSt15iterator_traitsISV_E10value_typeET2_T3_PNSW_IS11_E10value_typeET4_jRbjT5_S17_jjP12ihipStream_tbEUljE_EEESS_ST_SU_S11_S15_S17_T6_T7_T9_mT8_S19_bDpT10_ENKUlT_T0_E_clISt17integral_constantIbLb0EES1L_IbLb1EEEEDaS1H_S1I_EUlS1H_E_NS1_11comp_targetILNS1_3genE4ELNS1_11target_archE910ELNS1_3gpuE8ELNS1_3repE0EEENS1_30default_config_static_selectorELNS0_4arch9wavefront6targetE0EEEvSV_,"axG",@progbits,_ZN7rocprim17ROCPRIM_400000_NS6detail17trampoline_kernelINS0_13select_configILj256ELj13ELNS0_17block_load_methodE3ELS4_3ELS4_3ELNS0_20block_scan_algorithmE0ELj4294967295EEENS1_25partition_config_selectorILNS1_17partition_subalgoE3EjNS0_10empty_typeEbEEZZNS1_14partition_implILS8_3ELb0ES6_jNS0_17counting_iteratorIjlEEPS9_SE_NS0_5tupleIJPjSE_EEENSF_IJSE_SE_EEES9_SG_JZNS1_25segmented_radix_sort_implINS0_14default_configELb1EPKlPlSM_SN_N2at6native12_GLOBAL__N_18offset_tEEE10hipError_tPvRmT1_PNSt15iterator_traitsISV_E10value_typeET2_T3_PNSW_IS11_E10value_typeET4_jRbjT5_S17_jjP12ihipStream_tbEUljE_EEESS_ST_SU_S11_S15_S17_T6_T7_T9_mT8_S19_bDpT10_ENKUlT_T0_E_clISt17integral_constantIbLb0EES1L_IbLb1EEEEDaS1H_S1I_EUlS1H_E_NS1_11comp_targetILNS1_3genE4ELNS1_11target_archE910ELNS1_3gpuE8ELNS1_3repE0EEENS1_30default_config_static_selectorELNS0_4arch9wavefront6targetE0EEEvSV_,comdat
.Lfunc_end692:
	.size	_ZN7rocprim17ROCPRIM_400000_NS6detail17trampoline_kernelINS0_13select_configILj256ELj13ELNS0_17block_load_methodE3ELS4_3ELS4_3ELNS0_20block_scan_algorithmE0ELj4294967295EEENS1_25partition_config_selectorILNS1_17partition_subalgoE3EjNS0_10empty_typeEbEEZZNS1_14partition_implILS8_3ELb0ES6_jNS0_17counting_iteratorIjlEEPS9_SE_NS0_5tupleIJPjSE_EEENSF_IJSE_SE_EEES9_SG_JZNS1_25segmented_radix_sort_implINS0_14default_configELb1EPKlPlSM_SN_N2at6native12_GLOBAL__N_18offset_tEEE10hipError_tPvRmT1_PNSt15iterator_traitsISV_E10value_typeET2_T3_PNSW_IS11_E10value_typeET4_jRbjT5_S17_jjP12ihipStream_tbEUljE_EEESS_ST_SU_S11_S15_S17_T6_T7_T9_mT8_S19_bDpT10_ENKUlT_T0_E_clISt17integral_constantIbLb0EES1L_IbLb1EEEEDaS1H_S1I_EUlS1H_E_NS1_11comp_targetILNS1_3genE4ELNS1_11target_archE910ELNS1_3gpuE8ELNS1_3repE0EEENS1_30default_config_static_selectorELNS0_4arch9wavefront6targetE0EEEvSV_, .Lfunc_end692-_ZN7rocprim17ROCPRIM_400000_NS6detail17trampoline_kernelINS0_13select_configILj256ELj13ELNS0_17block_load_methodE3ELS4_3ELS4_3ELNS0_20block_scan_algorithmE0ELj4294967295EEENS1_25partition_config_selectorILNS1_17partition_subalgoE3EjNS0_10empty_typeEbEEZZNS1_14partition_implILS8_3ELb0ES6_jNS0_17counting_iteratorIjlEEPS9_SE_NS0_5tupleIJPjSE_EEENSF_IJSE_SE_EEES9_SG_JZNS1_25segmented_radix_sort_implINS0_14default_configELb1EPKlPlSM_SN_N2at6native12_GLOBAL__N_18offset_tEEE10hipError_tPvRmT1_PNSt15iterator_traitsISV_E10value_typeET2_T3_PNSW_IS11_E10value_typeET4_jRbjT5_S17_jjP12ihipStream_tbEUljE_EEESS_ST_SU_S11_S15_S17_T6_T7_T9_mT8_S19_bDpT10_ENKUlT_T0_E_clISt17integral_constantIbLb0EES1L_IbLb1EEEEDaS1H_S1I_EUlS1H_E_NS1_11comp_targetILNS1_3genE4ELNS1_11target_archE910ELNS1_3gpuE8ELNS1_3repE0EEENS1_30default_config_static_selectorELNS0_4arch9wavefront6targetE0EEEvSV_
                                        ; -- End function
	.set _ZN7rocprim17ROCPRIM_400000_NS6detail17trampoline_kernelINS0_13select_configILj256ELj13ELNS0_17block_load_methodE3ELS4_3ELS4_3ELNS0_20block_scan_algorithmE0ELj4294967295EEENS1_25partition_config_selectorILNS1_17partition_subalgoE3EjNS0_10empty_typeEbEEZZNS1_14partition_implILS8_3ELb0ES6_jNS0_17counting_iteratorIjlEEPS9_SE_NS0_5tupleIJPjSE_EEENSF_IJSE_SE_EEES9_SG_JZNS1_25segmented_radix_sort_implINS0_14default_configELb1EPKlPlSM_SN_N2at6native12_GLOBAL__N_18offset_tEEE10hipError_tPvRmT1_PNSt15iterator_traitsISV_E10value_typeET2_T3_PNSW_IS11_E10value_typeET4_jRbjT5_S17_jjP12ihipStream_tbEUljE_EEESS_ST_SU_S11_S15_S17_T6_T7_T9_mT8_S19_bDpT10_ENKUlT_T0_E_clISt17integral_constantIbLb0EES1L_IbLb1EEEEDaS1H_S1I_EUlS1H_E_NS1_11comp_targetILNS1_3genE4ELNS1_11target_archE910ELNS1_3gpuE8ELNS1_3repE0EEENS1_30default_config_static_selectorELNS0_4arch9wavefront6targetE0EEEvSV_.num_vgpr, 0
	.set _ZN7rocprim17ROCPRIM_400000_NS6detail17trampoline_kernelINS0_13select_configILj256ELj13ELNS0_17block_load_methodE3ELS4_3ELS4_3ELNS0_20block_scan_algorithmE0ELj4294967295EEENS1_25partition_config_selectorILNS1_17partition_subalgoE3EjNS0_10empty_typeEbEEZZNS1_14partition_implILS8_3ELb0ES6_jNS0_17counting_iteratorIjlEEPS9_SE_NS0_5tupleIJPjSE_EEENSF_IJSE_SE_EEES9_SG_JZNS1_25segmented_radix_sort_implINS0_14default_configELb1EPKlPlSM_SN_N2at6native12_GLOBAL__N_18offset_tEEE10hipError_tPvRmT1_PNSt15iterator_traitsISV_E10value_typeET2_T3_PNSW_IS11_E10value_typeET4_jRbjT5_S17_jjP12ihipStream_tbEUljE_EEESS_ST_SU_S11_S15_S17_T6_T7_T9_mT8_S19_bDpT10_ENKUlT_T0_E_clISt17integral_constantIbLb0EES1L_IbLb1EEEEDaS1H_S1I_EUlS1H_E_NS1_11comp_targetILNS1_3genE4ELNS1_11target_archE910ELNS1_3gpuE8ELNS1_3repE0EEENS1_30default_config_static_selectorELNS0_4arch9wavefront6targetE0EEEvSV_.num_agpr, 0
	.set _ZN7rocprim17ROCPRIM_400000_NS6detail17trampoline_kernelINS0_13select_configILj256ELj13ELNS0_17block_load_methodE3ELS4_3ELS4_3ELNS0_20block_scan_algorithmE0ELj4294967295EEENS1_25partition_config_selectorILNS1_17partition_subalgoE3EjNS0_10empty_typeEbEEZZNS1_14partition_implILS8_3ELb0ES6_jNS0_17counting_iteratorIjlEEPS9_SE_NS0_5tupleIJPjSE_EEENSF_IJSE_SE_EEES9_SG_JZNS1_25segmented_radix_sort_implINS0_14default_configELb1EPKlPlSM_SN_N2at6native12_GLOBAL__N_18offset_tEEE10hipError_tPvRmT1_PNSt15iterator_traitsISV_E10value_typeET2_T3_PNSW_IS11_E10value_typeET4_jRbjT5_S17_jjP12ihipStream_tbEUljE_EEESS_ST_SU_S11_S15_S17_T6_T7_T9_mT8_S19_bDpT10_ENKUlT_T0_E_clISt17integral_constantIbLb0EES1L_IbLb1EEEEDaS1H_S1I_EUlS1H_E_NS1_11comp_targetILNS1_3genE4ELNS1_11target_archE910ELNS1_3gpuE8ELNS1_3repE0EEENS1_30default_config_static_selectorELNS0_4arch9wavefront6targetE0EEEvSV_.numbered_sgpr, 0
	.set _ZN7rocprim17ROCPRIM_400000_NS6detail17trampoline_kernelINS0_13select_configILj256ELj13ELNS0_17block_load_methodE3ELS4_3ELS4_3ELNS0_20block_scan_algorithmE0ELj4294967295EEENS1_25partition_config_selectorILNS1_17partition_subalgoE3EjNS0_10empty_typeEbEEZZNS1_14partition_implILS8_3ELb0ES6_jNS0_17counting_iteratorIjlEEPS9_SE_NS0_5tupleIJPjSE_EEENSF_IJSE_SE_EEES9_SG_JZNS1_25segmented_radix_sort_implINS0_14default_configELb1EPKlPlSM_SN_N2at6native12_GLOBAL__N_18offset_tEEE10hipError_tPvRmT1_PNSt15iterator_traitsISV_E10value_typeET2_T3_PNSW_IS11_E10value_typeET4_jRbjT5_S17_jjP12ihipStream_tbEUljE_EEESS_ST_SU_S11_S15_S17_T6_T7_T9_mT8_S19_bDpT10_ENKUlT_T0_E_clISt17integral_constantIbLb0EES1L_IbLb1EEEEDaS1H_S1I_EUlS1H_E_NS1_11comp_targetILNS1_3genE4ELNS1_11target_archE910ELNS1_3gpuE8ELNS1_3repE0EEENS1_30default_config_static_selectorELNS0_4arch9wavefront6targetE0EEEvSV_.num_named_barrier, 0
	.set _ZN7rocprim17ROCPRIM_400000_NS6detail17trampoline_kernelINS0_13select_configILj256ELj13ELNS0_17block_load_methodE3ELS4_3ELS4_3ELNS0_20block_scan_algorithmE0ELj4294967295EEENS1_25partition_config_selectorILNS1_17partition_subalgoE3EjNS0_10empty_typeEbEEZZNS1_14partition_implILS8_3ELb0ES6_jNS0_17counting_iteratorIjlEEPS9_SE_NS0_5tupleIJPjSE_EEENSF_IJSE_SE_EEES9_SG_JZNS1_25segmented_radix_sort_implINS0_14default_configELb1EPKlPlSM_SN_N2at6native12_GLOBAL__N_18offset_tEEE10hipError_tPvRmT1_PNSt15iterator_traitsISV_E10value_typeET2_T3_PNSW_IS11_E10value_typeET4_jRbjT5_S17_jjP12ihipStream_tbEUljE_EEESS_ST_SU_S11_S15_S17_T6_T7_T9_mT8_S19_bDpT10_ENKUlT_T0_E_clISt17integral_constantIbLb0EES1L_IbLb1EEEEDaS1H_S1I_EUlS1H_E_NS1_11comp_targetILNS1_3genE4ELNS1_11target_archE910ELNS1_3gpuE8ELNS1_3repE0EEENS1_30default_config_static_selectorELNS0_4arch9wavefront6targetE0EEEvSV_.private_seg_size, 0
	.set _ZN7rocprim17ROCPRIM_400000_NS6detail17trampoline_kernelINS0_13select_configILj256ELj13ELNS0_17block_load_methodE3ELS4_3ELS4_3ELNS0_20block_scan_algorithmE0ELj4294967295EEENS1_25partition_config_selectorILNS1_17partition_subalgoE3EjNS0_10empty_typeEbEEZZNS1_14partition_implILS8_3ELb0ES6_jNS0_17counting_iteratorIjlEEPS9_SE_NS0_5tupleIJPjSE_EEENSF_IJSE_SE_EEES9_SG_JZNS1_25segmented_radix_sort_implINS0_14default_configELb1EPKlPlSM_SN_N2at6native12_GLOBAL__N_18offset_tEEE10hipError_tPvRmT1_PNSt15iterator_traitsISV_E10value_typeET2_T3_PNSW_IS11_E10value_typeET4_jRbjT5_S17_jjP12ihipStream_tbEUljE_EEESS_ST_SU_S11_S15_S17_T6_T7_T9_mT8_S19_bDpT10_ENKUlT_T0_E_clISt17integral_constantIbLb0EES1L_IbLb1EEEEDaS1H_S1I_EUlS1H_E_NS1_11comp_targetILNS1_3genE4ELNS1_11target_archE910ELNS1_3gpuE8ELNS1_3repE0EEENS1_30default_config_static_selectorELNS0_4arch9wavefront6targetE0EEEvSV_.uses_vcc, 0
	.set _ZN7rocprim17ROCPRIM_400000_NS6detail17trampoline_kernelINS0_13select_configILj256ELj13ELNS0_17block_load_methodE3ELS4_3ELS4_3ELNS0_20block_scan_algorithmE0ELj4294967295EEENS1_25partition_config_selectorILNS1_17partition_subalgoE3EjNS0_10empty_typeEbEEZZNS1_14partition_implILS8_3ELb0ES6_jNS0_17counting_iteratorIjlEEPS9_SE_NS0_5tupleIJPjSE_EEENSF_IJSE_SE_EEES9_SG_JZNS1_25segmented_radix_sort_implINS0_14default_configELb1EPKlPlSM_SN_N2at6native12_GLOBAL__N_18offset_tEEE10hipError_tPvRmT1_PNSt15iterator_traitsISV_E10value_typeET2_T3_PNSW_IS11_E10value_typeET4_jRbjT5_S17_jjP12ihipStream_tbEUljE_EEESS_ST_SU_S11_S15_S17_T6_T7_T9_mT8_S19_bDpT10_ENKUlT_T0_E_clISt17integral_constantIbLb0EES1L_IbLb1EEEEDaS1H_S1I_EUlS1H_E_NS1_11comp_targetILNS1_3genE4ELNS1_11target_archE910ELNS1_3gpuE8ELNS1_3repE0EEENS1_30default_config_static_selectorELNS0_4arch9wavefront6targetE0EEEvSV_.uses_flat_scratch, 0
	.set _ZN7rocprim17ROCPRIM_400000_NS6detail17trampoline_kernelINS0_13select_configILj256ELj13ELNS0_17block_load_methodE3ELS4_3ELS4_3ELNS0_20block_scan_algorithmE0ELj4294967295EEENS1_25partition_config_selectorILNS1_17partition_subalgoE3EjNS0_10empty_typeEbEEZZNS1_14partition_implILS8_3ELb0ES6_jNS0_17counting_iteratorIjlEEPS9_SE_NS0_5tupleIJPjSE_EEENSF_IJSE_SE_EEES9_SG_JZNS1_25segmented_radix_sort_implINS0_14default_configELb1EPKlPlSM_SN_N2at6native12_GLOBAL__N_18offset_tEEE10hipError_tPvRmT1_PNSt15iterator_traitsISV_E10value_typeET2_T3_PNSW_IS11_E10value_typeET4_jRbjT5_S17_jjP12ihipStream_tbEUljE_EEESS_ST_SU_S11_S15_S17_T6_T7_T9_mT8_S19_bDpT10_ENKUlT_T0_E_clISt17integral_constantIbLb0EES1L_IbLb1EEEEDaS1H_S1I_EUlS1H_E_NS1_11comp_targetILNS1_3genE4ELNS1_11target_archE910ELNS1_3gpuE8ELNS1_3repE0EEENS1_30default_config_static_selectorELNS0_4arch9wavefront6targetE0EEEvSV_.has_dyn_sized_stack, 0
	.set _ZN7rocprim17ROCPRIM_400000_NS6detail17trampoline_kernelINS0_13select_configILj256ELj13ELNS0_17block_load_methodE3ELS4_3ELS4_3ELNS0_20block_scan_algorithmE0ELj4294967295EEENS1_25partition_config_selectorILNS1_17partition_subalgoE3EjNS0_10empty_typeEbEEZZNS1_14partition_implILS8_3ELb0ES6_jNS0_17counting_iteratorIjlEEPS9_SE_NS0_5tupleIJPjSE_EEENSF_IJSE_SE_EEES9_SG_JZNS1_25segmented_radix_sort_implINS0_14default_configELb1EPKlPlSM_SN_N2at6native12_GLOBAL__N_18offset_tEEE10hipError_tPvRmT1_PNSt15iterator_traitsISV_E10value_typeET2_T3_PNSW_IS11_E10value_typeET4_jRbjT5_S17_jjP12ihipStream_tbEUljE_EEESS_ST_SU_S11_S15_S17_T6_T7_T9_mT8_S19_bDpT10_ENKUlT_T0_E_clISt17integral_constantIbLb0EES1L_IbLb1EEEEDaS1H_S1I_EUlS1H_E_NS1_11comp_targetILNS1_3genE4ELNS1_11target_archE910ELNS1_3gpuE8ELNS1_3repE0EEENS1_30default_config_static_selectorELNS0_4arch9wavefront6targetE0EEEvSV_.has_recursion, 0
	.set _ZN7rocprim17ROCPRIM_400000_NS6detail17trampoline_kernelINS0_13select_configILj256ELj13ELNS0_17block_load_methodE3ELS4_3ELS4_3ELNS0_20block_scan_algorithmE0ELj4294967295EEENS1_25partition_config_selectorILNS1_17partition_subalgoE3EjNS0_10empty_typeEbEEZZNS1_14partition_implILS8_3ELb0ES6_jNS0_17counting_iteratorIjlEEPS9_SE_NS0_5tupleIJPjSE_EEENSF_IJSE_SE_EEES9_SG_JZNS1_25segmented_radix_sort_implINS0_14default_configELb1EPKlPlSM_SN_N2at6native12_GLOBAL__N_18offset_tEEE10hipError_tPvRmT1_PNSt15iterator_traitsISV_E10value_typeET2_T3_PNSW_IS11_E10value_typeET4_jRbjT5_S17_jjP12ihipStream_tbEUljE_EEESS_ST_SU_S11_S15_S17_T6_T7_T9_mT8_S19_bDpT10_ENKUlT_T0_E_clISt17integral_constantIbLb0EES1L_IbLb1EEEEDaS1H_S1I_EUlS1H_E_NS1_11comp_targetILNS1_3genE4ELNS1_11target_archE910ELNS1_3gpuE8ELNS1_3repE0EEENS1_30default_config_static_selectorELNS0_4arch9wavefront6targetE0EEEvSV_.has_indirect_call, 0
	.section	.AMDGPU.csdata,"",@progbits
; Kernel info:
; codeLenInByte = 0
; TotalNumSgprs: 0
; NumVgprs: 0
; ScratchSize: 0
; MemoryBound: 0
; FloatMode: 240
; IeeeMode: 1
; LDSByteSize: 0 bytes/workgroup (compile time only)
; SGPRBlocks: 0
; VGPRBlocks: 0
; NumSGPRsForWavesPerEU: 1
; NumVGPRsForWavesPerEU: 1
; Occupancy: 16
; WaveLimiterHint : 0
; COMPUTE_PGM_RSRC2:SCRATCH_EN: 0
; COMPUTE_PGM_RSRC2:USER_SGPR: 6
; COMPUTE_PGM_RSRC2:TRAP_HANDLER: 0
; COMPUTE_PGM_RSRC2:TGID_X_EN: 1
; COMPUTE_PGM_RSRC2:TGID_Y_EN: 0
; COMPUTE_PGM_RSRC2:TGID_Z_EN: 0
; COMPUTE_PGM_RSRC2:TIDIG_COMP_CNT: 0
	.section	.text._ZN7rocprim17ROCPRIM_400000_NS6detail17trampoline_kernelINS0_13select_configILj256ELj13ELNS0_17block_load_methodE3ELS4_3ELS4_3ELNS0_20block_scan_algorithmE0ELj4294967295EEENS1_25partition_config_selectorILNS1_17partition_subalgoE3EjNS0_10empty_typeEbEEZZNS1_14partition_implILS8_3ELb0ES6_jNS0_17counting_iteratorIjlEEPS9_SE_NS0_5tupleIJPjSE_EEENSF_IJSE_SE_EEES9_SG_JZNS1_25segmented_radix_sort_implINS0_14default_configELb1EPKlPlSM_SN_N2at6native12_GLOBAL__N_18offset_tEEE10hipError_tPvRmT1_PNSt15iterator_traitsISV_E10value_typeET2_T3_PNSW_IS11_E10value_typeET4_jRbjT5_S17_jjP12ihipStream_tbEUljE_EEESS_ST_SU_S11_S15_S17_T6_T7_T9_mT8_S19_bDpT10_ENKUlT_T0_E_clISt17integral_constantIbLb0EES1L_IbLb1EEEEDaS1H_S1I_EUlS1H_E_NS1_11comp_targetILNS1_3genE3ELNS1_11target_archE908ELNS1_3gpuE7ELNS1_3repE0EEENS1_30default_config_static_selectorELNS0_4arch9wavefront6targetE0EEEvSV_,"axG",@progbits,_ZN7rocprim17ROCPRIM_400000_NS6detail17trampoline_kernelINS0_13select_configILj256ELj13ELNS0_17block_load_methodE3ELS4_3ELS4_3ELNS0_20block_scan_algorithmE0ELj4294967295EEENS1_25partition_config_selectorILNS1_17partition_subalgoE3EjNS0_10empty_typeEbEEZZNS1_14partition_implILS8_3ELb0ES6_jNS0_17counting_iteratorIjlEEPS9_SE_NS0_5tupleIJPjSE_EEENSF_IJSE_SE_EEES9_SG_JZNS1_25segmented_radix_sort_implINS0_14default_configELb1EPKlPlSM_SN_N2at6native12_GLOBAL__N_18offset_tEEE10hipError_tPvRmT1_PNSt15iterator_traitsISV_E10value_typeET2_T3_PNSW_IS11_E10value_typeET4_jRbjT5_S17_jjP12ihipStream_tbEUljE_EEESS_ST_SU_S11_S15_S17_T6_T7_T9_mT8_S19_bDpT10_ENKUlT_T0_E_clISt17integral_constantIbLb0EES1L_IbLb1EEEEDaS1H_S1I_EUlS1H_E_NS1_11comp_targetILNS1_3genE3ELNS1_11target_archE908ELNS1_3gpuE7ELNS1_3repE0EEENS1_30default_config_static_selectorELNS0_4arch9wavefront6targetE0EEEvSV_,comdat
	.globl	_ZN7rocprim17ROCPRIM_400000_NS6detail17trampoline_kernelINS0_13select_configILj256ELj13ELNS0_17block_load_methodE3ELS4_3ELS4_3ELNS0_20block_scan_algorithmE0ELj4294967295EEENS1_25partition_config_selectorILNS1_17partition_subalgoE3EjNS0_10empty_typeEbEEZZNS1_14partition_implILS8_3ELb0ES6_jNS0_17counting_iteratorIjlEEPS9_SE_NS0_5tupleIJPjSE_EEENSF_IJSE_SE_EEES9_SG_JZNS1_25segmented_radix_sort_implINS0_14default_configELb1EPKlPlSM_SN_N2at6native12_GLOBAL__N_18offset_tEEE10hipError_tPvRmT1_PNSt15iterator_traitsISV_E10value_typeET2_T3_PNSW_IS11_E10value_typeET4_jRbjT5_S17_jjP12ihipStream_tbEUljE_EEESS_ST_SU_S11_S15_S17_T6_T7_T9_mT8_S19_bDpT10_ENKUlT_T0_E_clISt17integral_constantIbLb0EES1L_IbLb1EEEEDaS1H_S1I_EUlS1H_E_NS1_11comp_targetILNS1_3genE3ELNS1_11target_archE908ELNS1_3gpuE7ELNS1_3repE0EEENS1_30default_config_static_selectorELNS0_4arch9wavefront6targetE0EEEvSV_ ; -- Begin function _ZN7rocprim17ROCPRIM_400000_NS6detail17trampoline_kernelINS0_13select_configILj256ELj13ELNS0_17block_load_methodE3ELS4_3ELS4_3ELNS0_20block_scan_algorithmE0ELj4294967295EEENS1_25partition_config_selectorILNS1_17partition_subalgoE3EjNS0_10empty_typeEbEEZZNS1_14partition_implILS8_3ELb0ES6_jNS0_17counting_iteratorIjlEEPS9_SE_NS0_5tupleIJPjSE_EEENSF_IJSE_SE_EEES9_SG_JZNS1_25segmented_radix_sort_implINS0_14default_configELb1EPKlPlSM_SN_N2at6native12_GLOBAL__N_18offset_tEEE10hipError_tPvRmT1_PNSt15iterator_traitsISV_E10value_typeET2_T3_PNSW_IS11_E10value_typeET4_jRbjT5_S17_jjP12ihipStream_tbEUljE_EEESS_ST_SU_S11_S15_S17_T6_T7_T9_mT8_S19_bDpT10_ENKUlT_T0_E_clISt17integral_constantIbLb0EES1L_IbLb1EEEEDaS1H_S1I_EUlS1H_E_NS1_11comp_targetILNS1_3genE3ELNS1_11target_archE908ELNS1_3gpuE7ELNS1_3repE0EEENS1_30default_config_static_selectorELNS0_4arch9wavefront6targetE0EEEvSV_
	.p2align	8
	.type	_ZN7rocprim17ROCPRIM_400000_NS6detail17trampoline_kernelINS0_13select_configILj256ELj13ELNS0_17block_load_methodE3ELS4_3ELS4_3ELNS0_20block_scan_algorithmE0ELj4294967295EEENS1_25partition_config_selectorILNS1_17partition_subalgoE3EjNS0_10empty_typeEbEEZZNS1_14partition_implILS8_3ELb0ES6_jNS0_17counting_iteratorIjlEEPS9_SE_NS0_5tupleIJPjSE_EEENSF_IJSE_SE_EEES9_SG_JZNS1_25segmented_radix_sort_implINS0_14default_configELb1EPKlPlSM_SN_N2at6native12_GLOBAL__N_18offset_tEEE10hipError_tPvRmT1_PNSt15iterator_traitsISV_E10value_typeET2_T3_PNSW_IS11_E10value_typeET4_jRbjT5_S17_jjP12ihipStream_tbEUljE_EEESS_ST_SU_S11_S15_S17_T6_T7_T9_mT8_S19_bDpT10_ENKUlT_T0_E_clISt17integral_constantIbLb0EES1L_IbLb1EEEEDaS1H_S1I_EUlS1H_E_NS1_11comp_targetILNS1_3genE3ELNS1_11target_archE908ELNS1_3gpuE7ELNS1_3repE0EEENS1_30default_config_static_selectorELNS0_4arch9wavefront6targetE0EEEvSV_,@function
_ZN7rocprim17ROCPRIM_400000_NS6detail17trampoline_kernelINS0_13select_configILj256ELj13ELNS0_17block_load_methodE3ELS4_3ELS4_3ELNS0_20block_scan_algorithmE0ELj4294967295EEENS1_25partition_config_selectorILNS1_17partition_subalgoE3EjNS0_10empty_typeEbEEZZNS1_14partition_implILS8_3ELb0ES6_jNS0_17counting_iteratorIjlEEPS9_SE_NS0_5tupleIJPjSE_EEENSF_IJSE_SE_EEES9_SG_JZNS1_25segmented_radix_sort_implINS0_14default_configELb1EPKlPlSM_SN_N2at6native12_GLOBAL__N_18offset_tEEE10hipError_tPvRmT1_PNSt15iterator_traitsISV_E10value_typeET2_T3_PNSW_IS11_E10value_typeET4_jRbjT5_S17_jjP12ihipStream_tbEUljE_EEESS_ST_SU_S11_S15_S17_T6_T7_T9_mT8_S19_bDpT10_ENKUlT_T0_E_clISt17integral_constantIbLb0EES1L_IbLb1EEEEDaS1H_S1I_EUlS1H_E_NS1_11comp_targetILNS1_3genE3ELNS1_11target_archE908ELNS1_3gpuE7ELNS1_3repE0EEENS1_30default_config_static_selectorELNS0_4arch9wavefront6targetE0EEEvSV_: ; @_ZN7rocprim17ROCPRIM_400000_NS6detail17trampoline_kernelINS0_13select_configILj256ELj13ELNS0_17block_load_methodE3ELS4_3ELS4_3ELNS0_20block_scan_algorithmE0ELj4294967295EEENS1_25partition_config_selectorILNS1_17partition_subalgoE3EjNS0_10empty_typeEbEEZZNS1_14partition_implILS8_3ELb0ES6_jNS0_17counting_iteratorIjlEEPS9_SE_NS0_5tupleIJPjSE_EEENSF_IJSE_SE_EEES9_SG_JZNS1_25segmented_radix_sort_implINS0_14default_configELb1EPKlPlSM_SN_N2at6native12_GLOBAL__N_18offset_tEEE10hipError_tPvRmT1_PNSt15iterator_traitsISV_E10value_typeET2_T3_PNSW_IS11_E10value_typeET4_jRbjT5_S17_jjP12ihipStream_tbEUljE_EEESS_ST_SU_S11_S15_S17_T6_T7_T9_mT8_S19_bDpT10_ENKUlT_T0_E_clISt17integral_constantIbLb0EES1L_IbLb1EEEEDaS1H_S1I_EUlS1H_E_NS1_11comp_targetILNS1_3genE3ELNS1_11target_archE908ELNS1_3gpuE7ELNS1_3repE0EEENS1_30default_config_static_selectorELNS0_4arch9wavefront6targetE0EEEvSV_
; %bb.0:
	.section	.rodata,"a",@progbits
	.p2align	6, 0x0
	.amdhsa_kernel _ZN7rocprim17ROCPRIM_400000_NS6detail17trampoline_kernelINS0_13select_configILj256ELj13ELNS0_17block_load_methodE3ELS4_3ELS4_3ELNS0_20block_scan_algorithmE0ELj4294967295EEENS1_25partition_config_selectorILNS1_17partition_subalgoE3EjNS0_10empty_typeEbEEZZNS1_14partition_implILS8_3ELb0ES6_jNS0_17counting_iteratorIjlEEPS9_SE_NS0_5tupleIJPjSE_EEENSF_IJSE_SE_EEES9_SG_JZNS1_25segmented_radix_sort_implINS0_14default_configELb1EPKlPlSM_SN_N2at6native12_GLOBAL__N_18offset_tEEE10hipError_tPvRmT1_PNSt15iterator_traitsISV_E10value_typeET2_T3_PNSW_IS11_E10value_typeET4_jRbjT5_S17_jjP12ihipStream_tbEUljE_EEESS_ST_SU_S11_S15_S17_T6_T7_T9_mT8_S19_bDpT10_ENKUlT_T0_E_clISt17integral_constantIbLb0EES1L_IbLb1EEEEDaS1H_S1I_EUlS1H_E_NS1_11comp_targetILNS1_3genE3ELNS1_11target_archE908ELNS1_3gpuE7ELNS1_3repE0EEENS1_30default_config_static_selectorELNS0_4arch9wavefront6targetE0EEEvSV_
		.amdhsa_group_segment_fixed_size 0
		.amdhsa_private_segment_fixed_size 0
		.amdhsa_kernarg_size 152
		.amdhsa_user_sgpr_count 6
		.amdhsa_user_sgpr_private_segment_buffer 1
		.amdhsa_user_sgpr_dispatch_ptr 0
		.amdhsa_user_sgpr_queue_ptr 0
		.amdhsa_user_sgpr_kernarg_segment_ptr 1
		.amdhsa_user_sgpr_dispatch_id 0
		.amdhsa_user_sgpr_flat_scratch_init 0
		.amdhsa_user_sgpr_private_segment_size 0
		.amdhsa_wavefront_size32 1
		.amdhsa_uses_dynamic_stack 0
		.amdhsa_system_sgpr_private_segment_wavefront_offset 0
		.amdhsa_system_sgpr_workgroup_id_x 1
		.amdhsa_system_sgpr_workgroup_id_y 0
		.amdhsa_system_sgpr_workgroup_id_z 0
		.amdhsa_system_sgpr_workgroup_info 0
		.amdhsa_system_vgpr_workitem_id 0
		.amdhsa_next_free_vgpr 1
		.amdhsa_next_free_sgpr 1
		.amdhsa_reserve_vcc 0
		.amdhsa_reserve_flat_scratch 0
		.amdhsa_float_round_mode_32 0
		.amdhsa_float_round_mode_16_64 0
		.amdhsa_float_denorm_mode_32 3
		.amdhsa_float_denorm_mode_16_64 3
		.amdhsa_dx10_clamp 1
		.amdhsa_ieee_mode 1
		.amdhsa_fp16_overflow 0
		.amdhsa_workgroup_processor_mode 1
		.amdhsa_memory_ordered 1
		.amdhsa_forward_progress 1
		.amdhsa_shared_vgpr_count 0
		.amdhsa_exception_fp_ieee_invalid_op 0
		.amdhsa_exception_fp_denorm_src 0
		.amdhsa_exception_fp_ieee_div_zero 0
		.amdhsa_exception_fp_ieee_overflow 0
		.amdhsa_exception_fp_ieee_underflow 0
		.amdhsa_exception_fp_ieee_inexact 0
		.amdhsa_exception_int_div_zero 0
	.end_amdhsa_kernel
	.section	.text._ZN7rocprim17ROCPRIM_400000_NS6detail17trampoline_kernelINS0_13select_configILj256ELj13ELNS0_17block_load_methodE3ELS4_3ELS4_3ELNS0_20block_scan_algorithmE0ELj4294967295EEENS1_25partition_config_selectorILNS1_17partition_subalgoE3EjNS0_10empty_typeEbEEZZNS1_14partition_implILS8_3ELb0ES6_jNS0_17counting_iteratorIjlEEPS9_SE_NS0_5tupleIJPjSE_EEENSF_IJSE_SE_EEES9_SG_JZNS1_25segmented_radix_sort_implINS0_14default_configELb1EPKlPlSM_SN_N2at6native12_GLOBAL__N_18offset_tEEE10hipError_tPvRmT1_PNSt15iterator_traitsISV_E10value_typeET2_T3_PNSW_IS11_E10value_typeET4_jRbjT5_S17_jjP12ihipStream_tbEUljE_EEESS_ST_SU_S11_S15_S17_T6_T7_T9_mT8_S19_bDpT10_ENKUlT_T0_E_clISt17integral_constantIbLb0EES1L_IbLb1EEEEDaS1H_S1I_EUlS1H_E_NS1_11comp_targetILNS1_3genE3ELNS1_11target_archE908ELNS1_3gpuE7ELNS1_3repE0EEENS1_30default_config_static_selectorELNS0_4arch9wavefront6targetE0EEEvSV_,"axG",@progbits,_ZN7rocprim17ROCPRIM_400000_NS6detail17trampoline_kernelINS0_13select_configILj256ELj13ELNS0_17block_load_methodE3ELS4_3ELS4_3ELNS0_20block_scan_algorithmE0ELj4294967295EEENS1_25partition_config_selectorILNS1_17partition_subalgoE3EjNS0_10empty_typeEbEEZZNS1_14partition_implILS8_3ELb0ES6_jNS0_17counting_iteratorIjlEEPS9_SE_NS0_5tupleIJPjSE_EEENSF_IJSE_SE_EEES9_SG_JZNS1_25segmented_radix_sort_implINS0_14default_configELb1EPKlPlSM_SN_N2at6native12_GLOBAL__N_18offset_tEEE10hipError_tPvRmT1_PNSt15iterator_traitsISV_E10value_typeET2_T3_PNSW_IS11_E10value_typeET4_jRbjT5_S17_jjP12ihipStream_tbEUljE_EEESS_ST_SU_S11_S15_S17_T6_T7_T9_mT8_S19_bDpT10_ENKUlT_T0_E_clISt17integral_constantIbLb0EES1L_IbLb1EEEEDaS1H_S1I_EUlS1H_E_NS1_11comp_targetILNS1_3genE3ELNS1_11target_archE908ELNS1_3gpuE7ELNS1_3repE0EEENS1_30default_config_static_selectorELNS0_4arch9wavefront6targetE0EEEvSV_,comdat
.Lfunc_end693:
	.size	_ZN7rocprim17ROCPRIM_400000_NS6detail17trampoline_kernelINS0_13select_configILj256ELj13ELNS0_17block_load_methodE3ELS4_3ELS4_3ELNS0_20block_scan_algorithmE0ELj4294967295EEENS1_25partition_config_selectorILNS1_17partition_subalgoE3EjNS0_10empty_typeEbEEZZNS1_14partition_implILS8_3ELb0ES6_jNS0_17counting_iteratorIjlEEPS9_SE_NS0_5tupleIJPjSE_EEENSF_IJSE_SE_EEES9_SG_JZNS1_25segmented_radix_sort_implINS0_14default_configELb1EPKlPlSM_SN_N2at6native12_GLOBAL__N_18offset_tEEE10hipError_tPvRmT1_PNSt15iterator_traitsISV_E10value_typeET2_T3_PNSW_IS11_E10value_typeET4_jRbjT5_S17_jjP12ihipStream_tbEUljE_EEESS_ST_SU_S11_S15_S17_T6_T7_T9_mT8_S19_bDpT10_ENKUlT_T0_E_clISt17integral_constantIbLb0EES1L_IbLb1EEEEDaS1H_S1I_EUlS1H_E_NS1_11comp_targetILNS1_3genE3ELNS1_11target_archE908ELNS1_3gpuE7ELNS1_3repE0EEENS1_30default_config_static_selectorELNS0_4arch9wavefront6targetE0EEEvSV_, .Lfunc_end693-_ZN7rocprim17ROCPRIM_400000_NS6detail17trampoline_kernelINS0_13select_configILj256ELj13ELNS0_17block_load_methodE3ELS4_3ELS4_3ELNS0_20block_scan_algorithmE0ELj4294967295EEENS1_25partition_config_selectorILNS1_17partition_subalgoE3EjNS0_10empty_typeEbEEZZNS1_14partition_implILS8_3ELb0ES6_jNS0_17counting_iteratorIjlEEPS9_SE_NS0_5tupleIJPjSE_EEENSF_IJSE_SE_EEES9_SG_JZNS1_25segmented_radix_sort_implINS0_14default_configELb1EPKlPlSM_SN_N2at6native12_GLOBAL__N_18offset_tEEE10hipError_tPvRmT1_PNSt15iterator_traitsISV_E10value_typeET2_T3_PNSW_IS11_E10value_typeET4_jRbjT5_S17_jjP12ihipStream_tbEUljE_EEESS_ST_SU_S11_S15_S17_T6_T7_T9_mT8_S19_bDpT10_ENKUlT_T0_E_clISt17integral_constantIbLb0EES1L_IbLb1EEEEDaS1H_S1I_EUlS1H_E_NS1_11comp_targetILNS1_3genE3ELNS1_11target_archE908ELNS1_3gpuE7ELNS1_3repE0EEENS1_30default_config_static_selectorELNS0_4arch9wavefront6targetE0EEEvSV_
                                        ; -- End function
	.set _ZN7rocprim17ROCPRIM_400000_NS6detail17trampoline_kernelINS0_13select_configILj256ELj13ELNS0_17block_load_methodE3ELS4_3ELS4_3ELNS0_20block_scan_algorithmE0ELj4294967295EEENS1_25partition_config_selectorILNS1_17partition_subalgoE3EjNS0_10empty_typeEbEEZZNS1_14partition_implILS8_3ELb0ES6_jNS0_17counting_iteratorIjlEEPS9_SE_NS0_5tupleIJPjSE_EEENSF_IJSE_SE_EEES9_SG_JZNS1_25segmented_radix_sort_implINS0_14default_configELb1EPKlPlSM_SN_N2at6native12_GLOBAL__N_18offset_tEEE10hipError_tPvRmT1_PNSt15iterator_traitsISV_E10value_typeET2_T3_PNSW_IS11_E10value_typeET4_jRbjT5_S17_jjP12ihipStream_tbEUljE_EEESS_ST_SU_S11_S15_S17_T6_T7_T9_mT8_S19_bDpT10_ENKUlT_T0_E_clISt17integral_constantIbLb0EES1L_IbLb1EEEEDaS1H_S1I_EUlS1H_E_NS1_11comp_targetILNS1_3genE3ELNS1_11target_archE908ELNS1_3gpuE7ELNS1_3repE0EEENS1_30default_config_static_selectorELNS0_4arch9wavefront6targetE0EEEvSV_.num_vgpr, 0
	.set _ZN7rocprim17ROCPRIM_400000_NS6detail17trampoline_kernelINS0_13select_configILj256ELj13ELNS0_17block_load_methodE3ELS4_3ELS4_3ELNS0_20block_scan_algorithmE0ELj4294967295EEENS1_25partition_config_selectorILNS1_17partition_subalgoE3EjNS0_10empty_typeEbEEZZNS1_14partition_implILS8_3ELb0ES6_jNS0_17counting_iteratorIjlEEPS9_SE_NS0_5tupleIJPjSE_EEENSF_IJSE_SE_EEES9_SG_JZNS1_25segmented_radix_sort_implINS0_14default_configELb1EPKlPlSM_SN_N2at6native12_GLOBAL__N_18offset_tEEE10hipError_tPvRmT1_PNSt15iterator_traitsISV_E10value_typeET2_T3_PNSW_IS11_E10value_typeET4_jRbjT5_S17_jjP12ihipStream_tbEUljE_EEESS_ST_SU_S11_S15_S17_T6_T7_T9_mT8_S19_bDpT10_ENKUlT_T0_E_clISt17integral_constantIbLb0EES1L_IbLb1EEEEDaS1H_S1I_EUlS1H_E_NS1_11comp_targetILNS1_3genE3ELNS1_11target_archE908ELNS1_3gpuE7ELNS1_3repE0EEENS1_30default_config_static_selectorELNS0_4arch9wavefront6targetE0EEEvSV_.num_agpr, 0
	.set _ZN7rocprim17ROCPRIM_400000_NS6detail17trampoline_kernelINS0_13select_configILj256ELj13ELNS0_17block_load_methodE3ELS4_3ELS4_3ELNS0_20block_scan_algorithmE0ELj4294967295EEENS1_25partition_config_selectorILNS1_17partition_subalgoE3EjNS0_10empty_typeEbEEZZNS1_14partition_implILS8_3ELb0ES6_jNS0_17counting_iteratorIjlEEPS9_SE_NS0_5tupleIJPjSE_EEENSF_IJSE_SE_EEES9_SG_JZNS1_25segmented_radix_sort_implINS0_14default_configELb1EPKlPlSM_SN_N2at6native12_GLOBAL__N_18offset_tEEE10hipError_tPvRmT1_PNSt15iterator_traitsISV_E10value_typeET2_T3_PNSW_IS11_E10value_typeET4_jRbjT5_S17_jjP12ihipStream_tbEUljE_EEESS_ST_SU_S11_S15_S17_T6_T7_T9_mT8_S19_bDpT10_ENKUlT_T0_E_clISt17integral_constantIbLb0EES1L_IbLb1EEEEDaS1H_S1I_EUlS1H_E_NS1_11comp_targetILNS1_3genE3ELNS1_11target_archE908ELNS1_3gpuE7ELNS1_3repE0EEENS1_30default_config_static_selectorELNS0_4arch9wavefront6targetE0EEEvSV_.numbered_sgpr, 0
	.set _ZN7rocprim17ROCPRIM_400000_NS6detail17trampoline_kernelINS0_13select_configILj256ELj13ELNS0_17block_load_methodE3ELS4_3ELS4_3ELNS0_20block_scan_algorithmE0ELj4294967295EEENS1_25partition_config_selectorILNS1_17partition_subalgoE3EjNS0_10empty_typeEbEEZZNS1_14partition_implILS8_3ELb0ES6_jNS0_17counting_iteratorIjlEEPS9_SE_NS0_5tupleIJPjSE_EEENSF_IJSE_SE_EEES9_SG_JZNS1_25segmented_radix_sort_implINS0_14default_configELb1EPKlPlSM_SN_N2at6native12_GLOBAL__N_18offset_tEEE10hipError_tPvRmT1_PNSt15iterator_traitsISV_E10value_typeET2_T3_PNSW_IS11_E10value_typeET4_jRbjT5_S17_jjP12ihipStream_tbEUljE_EEESS_ST_SU_S11_S15_S17_T6_T7_T9_mT8_S19_bDpT10_ENKUlT_T0_E_clISt17integral_constantIbLb0EES1L_IbLb1EEEEDaS1H_S1I_EUlS1H_E_NS1_11comp_targetILNS1_3genE3ELNS1_11target_archE908ELNS1_3gpuE7ELNS1_3repE0EEENS1_30default_config_static_selectorELNS0_4arch9wavefront6targetE0EEEvSV_.num_named_barrier, 0
	.set _ZN7rocprim17ROCPRIM_400000_NS6detail17trampoline_kernelINS0_13select_configILj256ELj13ELNS0_17block_load_methodE3ELS4_3ELS4_3ELNS0_20block_scan_algorithmE0ELj4294967295EEENS1_25partition_config_selectorILNS1_17partition_subalgoE3EjNS0_10empty_typeEbEEZZNS1_14partition_implILS8_3ELb0ES6_jNS0_17counting_iteratorIjlEEPS9_SE_NS0_5tupleIJPjSE_EEENSF_IJSE_SE_EEES9_SG_JZNS1_25segmented_radix_sort_implINS0_14default_configELb1EPKlPlSM_SN_N2at6native12_GLOBAL__N_18offset_tEEE10hipError_tPvRmT1_PNSt15iterator_traitsISV_E10value_typeET2_T3_PNSW_IS11_E10value_typeET4_jRbjT5_S17_jjP12ihipStream_tbEUljE_EEESS_ST_SU_S11_S15_S17_T6_T7_T9_mT8_S19_bDpT10_ENKUlT_T0_E_clISt17integral_constantIbLb0EES1L_IbLb1EEEEDaS1H_S1I_EUlS1H_E_NS1_11comp_targetILNS1_3genE3ELNS1_11target_archE908ELNS1_3gpuE7ELNS1_3repE0EEENS1_30default_config_static_selectorELNS0_4arch9wavefront6targetE0EEEvSV_.private_seg_size, 0
	.set _ZN7rocprim17ROCPRIM_400000_NS6detail17trampoline_kernelINS0_13select_configILj256ELj13ELNS0_17block_load_methodE3ELS4_3ELS4_3ELNS0_20block_scan_algorithmE0ELj4294967295EEENS1_25partition_config_selectorILNS1_17partition_subalgoE3EjNS0_10empty_typeEbEEZZNS1_14partition_implILS8_3ELb0ES6_jNS0_17counting_iteratorIjlEEPS9_SE_NS0_5tupleIJPjSE_EEENSF_IJSE_SE_EEES9_SG_JZNS1_25segmented_radix_sort_implINS0_14default_configELb1EPKlPlSM_SN_N2at6native12_GLOBAL__N_18offset_tEEE10hipError_tPvRmT1_PNSt15iterator_traitsISV_E10value_typeET2_T3_PNSW_IS11_E10value_typeET4_jRbjT5_S17_jjP12ihipStream_tbEUljE_EEESS_ST_SU_S11_S15_S17_T6_T7_T9_mT8_S19_bDpT10_ENKUlT_T0_E_clISt17integral_constantIbLb0EES1L_IbLb1EEEEDaS1H_S1I_EUlS1H_E_NS1_11comp_targetILNS1_3genE3ELNS1_11target_archE908ELNS1_3gpuE7ELNS1_3repE0EEENS1_30default_config_static_selectorELNS0_4arch9wavefront6targetE0EEEvSV_.uses_vcc, 0
	.set _ZN7rocprim17ROCPRIM_400000_NS6detail17trampoline_kernelINS0_13select_configILj256ELj13ELNS0_17block_load_methodE3ELS4_3ELS4_3ELNS0_20block_scan_algorithmE0ELj4294967295EEENS1_25partition_config_selectorILNS1_17partition_subalgoE3EjNS0_10empty_typeEbEEZZNS1_14partition_implILS8_3ELb0ES6_jNS0_17counting_iteratorIjlEEPS9_SE_NS0_5tupleIJPjSE_EEENSF_IJSE_SE_EEES9_SG_JZNS1_25segmented_radix_sort_implINS0_14default_configELb1EPKlPlSM_SN_N2at6native12_GLOBAL__N_18offset_tEEE10hipError_tPvRmT1_PNSt15iterator_traitsISV_E10value_typeET2_T3_PNSW_IS11_E10value_typeET4_jRbjT5_S17_jjP12ihipStream_tbEUljE_EEESS_ST_SU_S11_S15_S17_T6_T7_T9_mT8_S19_bDpT10_ENKUlT_T0_E_clISt17integral_constantIbLb0EES1L_IbLb1EEEEDaS1H_S1I_EUlS1H_E_NS1_11comp_targetILNS1_3genE3ELNS1_11target_archE908ELNS1_3gpuE7ELNS1_3repE0EEENS1_30default_config_static_selectorELNS0_4arch9wavefront6targetE0EEEvSV_.uses_flat_scratch, 0
	.set _ZN7rocprim17ROCPRIM_400000_NS6detail17trampoline_kernelINS0_13select_configILj256ELj13ELNS0_17block_load_methodE3ELS4_3ELS4_3ELNS0_20block_scan_algorithmE0ELj4294967295EEENS1_25partition_config_selectorILNS1_17partition_subalgoE3EjNS0_10empty_typeEbEEZZNS1_14partition_implILS8_3ELb0ES6_jNS0_17counting_iteratorIjlEEPS9_SE_NS0_5tupleIJPjSE_EEENSF_IJSE_SE_EEES9_SG_JZNS1_25segmented_radix_sort_implINS0_14default_configELb1EPKlPlSM_SN_N2at6native12_GLOBAL__N_18offset_tEEE10hipError_tPvRmT1_PNSt15iterator_traitsISV_E10value_typeET2_T3_PNSW_IS11_E10value_typeET4_jRbjT5_S17_jjP12ihipStream_tbEUljE_EEESS_ST_SU_S11_S15_S17_T6_T7_T9_mT8_S19_bDpT10_ENKUlT_T0_E_clISt17integral_constantIbLb0EES1L_IbLb1EEEEDaS1H_S1I_EUlS1H_E_NS1_11comp_targetILNS1_3genE3ELNS1_11target_archE908ELNS1_3gpuE7ELNS1_3repE0EEENS1_30default_config_static_selectorELNS0_4arch9wavefront6targetE0EEEvSV_.has_dyn_sized_stack, 0
	.set _ZN7rocprim17ROCPRIM_400000_NS6detail17trampoline_kernelINS0_13select_configILj256ELj13ELNS0_17block_load_methodE3ELS4_3ELS4_3ELNS0_20block_scan_algorithmE0ELj4294967295EEENS1_25partition_config_selectorILNS1_17partition_subalgoE3EjNS0_10empty_typeEbEEZZNS1_14partition_implILS8_3ELb0ES6_jNS0_17counting_iteratorIjlEEPS9_SE_NS0_5tupleIJPjSE_EEENSF_IJSE_SE_EEES9_SG_JZNS1_25segmented_radix_sort_implINS0_14default_configELb1EPKlPlSM_SN_N2at6native12_GLOBAL__N_18offset_tEEE10hipError_tPvRmT1_PNSt15iterator_traitsISV_E10value_typeET2_T3_PNSW_IS11_E10value_typeET4_jRbjT5_S17_jjP12ihipStream_tbEUljE_EEESS_ST_SU_S11_S15_S17_T6_T7_T9_mT8_S19_bDpT10_ENKUlT_T0_E_clISt17integral_constantIbLb0EES1L_IbLb1EEEEDaS1H_S1I_EUlS1H_E_NS1_11comp_targetILNS1_3genE3ELNS1_11target_archE908ELNS1_3gpuE7ELNS1_3repE0EEENS1_30default_config_static_selectorELNS0_4arch9wavefront6targetE0EEEvSV_.has_recursion, 0
	.set _ZN7rocprim17ROCPRIM_400000_NS6detail17trampoline_kernelINS0_13select_configILj256ELj13ELNS0_17block_load_methodE3ELS4_3ELS4_3ELNS0_20block_scan_algorithmE0ELj4294967295EEENS1_25partition_config_selectorILNS1_17partition_subalgoE3EjNS0_10empty_typeEbEEZZNS1_14partition_implILS8_3ELb0ES6_jNS0_17counting_iteratorIjlEEPS9_SE_NS0_5tupleIJPjSE_EEENSF_IJSE_SE_EEES9_SG_JZNS1_25segmented_radix_sort_implINS0_14default_configELb1EPKlPlSM_SN_N2at6native12_GLOBAL__N_18offset_tEEE10hipError_tPvRmT1_PNSt15iterator_traitsISV_E10value_typeET2_T3_PNSW_IS11_E10value_typeET4_jRbjT5_S17_jjP12ihipStream_tbEUljE_EEESS_ST_SU_S11_S15_S17_T6_T7_T9_mT8_S19_bDpT10_ENKUlT_T0_E_clISt17integral_constantIbLb0EES1L_IbLb1EEEEDaS1H_S1I_EUlS1H_E_NS1_11comp_targetILNS1_3genE3ELNS1_11target_archE908ELNS1_3gpuE7ELNS1_3repE0EEENS1_30default_config_static_selectorELNS0_4arch9wavefront6targetE0EEEvSV_.has_indirect_call, 0
	.section	.AMDGPU.csdata,"",@progbits
; Kernel info:
; codeLenInByte = 0
; TotalNumSgprs: 0
; NumVgprs: 0
; ScratchSize: 0
; MemoryBound: 0
; FloatMode: 240
; IeeeMode: 1
; LDSByteSize: 0 bytes/workgroup (compile time only)
; SGPRBlocks: 0
; VGPRBlocks: 0
; NumSGPRsForWavesPerEU: 1
; NumVGPRsForWavesPerEU: 1
; Occupancy: 16
; WaveLimiterHint : 0
; COMPUTE_PGM_RSRC2:SCRATCH_EN: 0
; COMPUTE_PGM_RSRC2:USER_SGPR: 6
; COMPUTE_PGM_RSRC2:TRAP_HANDLER: 0
; COMPUTE_PGM_RSRC2:TGID_X_EN: 1
; COMPUTE_PGM_RSRC2:TGID_Y_EN: 0
; COMPUTE_PGM_RSRC2:TGID_Z_EN: 0
; COMPUTE_PGM_RSRC2:TIDIG_COMP_CNT: 0
	.section	.text._ZN7rocprim17ROCPRIM_400000_NS6detail17trampoline_kernelINS0_13select_configILj256ELj13ELNS0_17block_load_methodE3ELS4_3ELS4_3ELNS0_20block_scan_algorithmE0ELj4294967295EEENS1_25partition_config_selectorILNS1_17partition_subalgoE3EjNS0_10empty_typeEbEEZZNS1_14partition_implILS8_3ELb0ES6_jNS0_17counting_iteratorIjlEEPS9_SE_NS0_5tupleIJPjSE_EEENSF_IJSE_SE_EEES9_SG_JZNS1_25segmented_radix_sort_implINS0_14default_configELb1EPKlPlSM_SN_N2at6native12_GLOBAL__N_18offset_tEEE10hipError_tPvRmT1_PNSt15iterator_traitsISV_E10value_typeET2_T3_PNSW_IS11_E10value_typeET4_jRbjT5_S17_jjP12ihipStream_tbEUljE_EEESS_ST_SU_S11_S15_S17_T6_T7_T9_mT8_S19_bDpT10_ENKUlT_T0_E_clISt17integral_constantIbLb0EES1L_IbLb1EEEEDaS1H_S1I_EUlS1H_E_NS1_11comp_targetILNS1_3genE2ELNS1_11target_archE906ELNS1_3gpuE6ELNS1_3repE0EEENS1_30default_config_static_selectorELNS0_4arch9wavefront6targetE0EEEvSV_,"axG",@progbits,_ZN7rocprim17ROCPRIM_400000_NS6detail17trampoline_kernelINS0_13select_configILj256ELj13ELNS0_17block_load_methodE3ELS4_3ELS4_3ELNS0_20block_scan_algorithmE0ELj4294967295EEENS1_25partition_config_selectorILNS1_17partition_subalgoE3EjNS0_10empty_typeEbEEZZNS1_14partition_implILS8_3ELb0ES6_jNS0_17counting_iteratorIjlEEPS9_SE_NS0_5tupleIJPjSE_EEENSF_IJSE_SE_EEES9_SG_JZNS1_25segmented_radix_sort_implINS0_14default_configELb1EPKlPlSM_SN_N2at6native12_GLOBAL__N_18offset_tEEE10hipError_tPvRmT1_PNSt15iterator_traitsISV_E10value_typeET2_T3_PNSW_IS11_E10value_typeET4_jRbjT5_S17_jjP12ihipStream_tbEUljE_EEESS_ST_SU_S11_S15_S17_T6_T7_T9_mT8_S19_bDpT10_ENKUlT_T0_E_clISt17integral_constantIbLb0EES1L_IbLb1EEEEDaS1H_S1I_EUlS1H_E_NS1_11comp_targetILNS1_3genE2ELNS1_11target_archE906ELNS1_3gpuE6ELNS1_3repE0EEENS1_30default_config_static_selectorELNS0_4arch9wavefront6targetE0EEEvSV_,comdat
	.globl	_ZN7rocprim17ROCPRIM_400000_NS6detail17trampoline_kernelINS0_13select_configILj256ELj13ELNS0_17block_load_methodE3ELS4_3ELS4_3ELNS0_20block_scan_algorithmE0ELj4294967295EEENS1_25partition_config_selectorILNS1_17partition_subalgoE3EjNS0_10empty_typeEbEEZZNS1_14partition_implILS8_3ELb0ES6_jNS0_17counting_iteratorIjlEEPS9_SE_NS0_5tupleIJPjSE_EEENSF_IJSE_SE_EEES9_SG_JZNS1_25segmented_radix_sort_implINS0_14default_configELb1EPKlPlSM_SN_N2at6native12_GLOBAL__N_18offset_tEEE10hipError_tPvRmT1_PNSt15iterator_traitsISV_E10value_typeET2_T3_PNSW_IS11_E10value_typeET4_jRbjT5_S17_jjP12ihipStream_tbEUljE_EEESS_ST_SU_S11_S15_S17_T6_T7_T9_mT8_S19_bDpT10_ENKUlT_T0_E_clISt17integral_constantIbLb0EES1L_IbLb1EEEEDaS1H_S1I_EUlS1H_E_NS1_11comp_targetILNS1_3genE2ELNS1_11target_archE906ELNS1_3gpuE6ELNS1_3repE0EEENS1_30default_config_static_selectorELNS0_4arch9wavefront6targetE0EEEvSV_ ; -- Begin function _ZN7rocprim17ROCPRIM_400000_NS6detail17trampoline_kernelINS0_13select_configILj256ELj13ELNS0_17block_load_methodE3ELS4_3ELS4_3ELNS0_20block_scan_algorithmE0ELj4294967295EEENS1_25partition_config_selectorILNS1_17partition_subalgoE3EjNS0_10empty_typeEbEEZZNS1_14partition_implILS8_3ELb0ES6_jNS0_17counting_iteratorIjlEEPS9_SE_NS0_5tupleIJPjSE_EEENSF_IJSE_SE_EEES9_SG_JZNS1_25segmented_radix_sort_implINS0_14default_configELb1EPKlPlSM_SN_N2at6native12_GLOBAL__N_18offset_tEEE10hipError_tPvRmT1_PNSt15iterator_traitsISV_E10value_typeET2_T3_PNSW_IS11_E10value_typeET4_jRbjT5_S17_jjP12ihipStream_tbEUljE_EEESS_ST_SU_S11_S15_S17_T6_T7_T9_mT8_S19_bDpT10_ENKUlT_T0_E_clISt17integral_constantIbLb0EES1L_IbLb1EEEEDaS1H_S1I_EUlS1H_E_NS1_11comp_targetILNS1_3genE2ELNS1_11target_archE906ELNS1_3gpuE6ELNS1_3repE0EEENS1_30default_config_static_selectorELNS0_4arch9wavefront6targetE0EEEvSV_
	.p2align	8
	.type	_ZN7rocprim17ROCPRIM_400000_NS6detail17trampoline_kernelINS0_13select_configILj256ELj13ELNS0_17block_load_methodE3ELS4_3ELS4_3ELNS0_20block_scan_algorithmE0ELj4294967295EEENS1_25partition_config_selectorILNS1_17partition_subalgoE3EjNS0_10empty_typeEbEEZZNS1_14partition_implILS8_3ELb0ES6_jNS0_17counting_iteratorIjlEEPS9_SE_NS0_5tupleIJPjSE_EEENSF_IJSE_SE_EEES9_SG_JZNS1_25segmented_radix_sort_implINS0_14default_configELb1EPKlPlSM_SN_N2at6native12_GLOBAL__N_18offset_tEEE10hipError_tPvRmT1_PNSt15iterator_traitsISV_E10value_typeET2_T3_PNSW_IS11_E10value_typeET4_jRbjT5_S17_jjP12ihipStream_tbEUljE_EEESS_ST_SU_S11_S15_S17_T6_T7_T9_mT8_S19_bDpT10_ENKUlT_T0_E_clISt17integral_constantIbLb0EES1L_IbLb1EEEEDaS1H_S1I_EUlS1H_E_NS1_11comp_targetILNS1_3genE2ELNS1_11target_archE906ELNS1_3gpuE6ELNS1_3repE0EEENS1_30default_config_static_selectorELNS0_4arch9wavefront6targetE0EEEvSV_,@function
_ZN7rocprim17ROCPRIM_400000_NS6detail17trampoline_kernelINS0_13select_configILj256ELj13ELNS0_17block_load_methodE3ELS4_3ELS4_3ELNS0_20block_scan_algorithmE0ELj4294967295EEENS1_25partition_config_selectorILNS1_17partition_subalgoE3EjNS0_10empty_typeEbEEZZNS1_14partition_implILS8_3ELb0ES6_jNS0_17counting_iteratorIjlEEPS9_SE_NS0_5tupleIJPjSE_EEENSF_IJSE_SE_EEES9_SG_JZNS1_25segmented_radix_sort_implINS0_14default_configELb1EPKlPlSM_SN_N2at6native12_GLOBAL__N_18offset_tEEE10hipError_tPvRmT1_PNSt15iterator_traitsISV_E10value_typeET2_T3_PNSW_IS11_E10value_typeET4_jRbjT5_S17_jjP12ihipStream_tbEUljE_EEESS_ST_SU_S11_S15_S17_T6_T7_T9_mT8_S19_bDpT10_ENKUlT_T0_E_clISt17integral_constantIbLb0EES1L_IbLb1EEEEDaS1H_S1I_EUlS1H_E_NS1_11comp_targetILNS1_3genE2ELNS1_11target_archE906ELNS1_3gpuE6ELNS1_3repE0EEENS1_30default_config_static_selectorELNS0_4arch9wavefront6targetE0EEEvSV_: ; @_ZN7rocprim17ROCPRIM_400000_NS6detail17trampoline_kernelINS0_13select_configILj256ELj13ELNS0_17block_load_methodE3ELS4_3ELS4_3ELNS0_20block_scan_algorithmE0ELj4294967295EEENS1_25partition_config_selectorILNS1_17partition_subalgoE3EjNS0_10empty_typeEbEEZZNS1_14partition_implILS8_3ELb0ES6_jNS0_17counting_iteratorIjlEEPS9_SE_NS0_5tupleIJPjSE_EEENSF_IJSE_SE_EEES9_SG_JZNS1_25segmented_radix_sort_implINS0_14default_configELb1EPKlPlSM_SN_N2at6native12_GLOBAL__N_18offset_tEEE10hipError_tPvRmT1_PNSt15iterator_traitsISV_E10value_typeET2_T3_PNSW_IS11_E10value_typeET4_jRbjT5_S17_jjP12ihipStream_tbEUljE_EEESS_ST_SU_S11_S15_S17_T6_T7_T9_mT8_S19_bDpT10_ENKUlT_T0_E_clISt17integral_constantIbLb0EES1L_IbLb1EEEEDaS1H_S1I_EUlS1H_E_NS1_11comp_targetILNS1_3genE2ELNS1_11target_archE906ELNS1_3gpuE6ELNS1_3repE0EEENS1_30default_config_static_selectorELNS0_4arch9wavefront6targetE0EEEvSV_
; %bb.0:
	.section	.rodata,"a",@progbits
	.p2align	6, 0x0
	.amdhsa_kernel _ZN7rocprim17ROCPRIM_400000_NS6detail17trampoline_kernelINS0_13select_configILj256ELj13ELNS0_17block_load_methodE3ELS4_3ELS4_3ELNS0_20block_scan_algorithmE0ELj4294967295EEENS1_25partition_config_selectorILNS1_17partition_subalgoE3EjNS0_10empty_typeEbEEZZNS1_14partition_implILS8_3ELb0ES6_jNS0_17counting_iteratorIjlEEPS9_SE_NS0_5tupleIJPjSE_EEENSF_IJSE_SE_EEES9_SG_JZNS1_25segmented_radix_sort_implINS0_14default_configELb1EPKlPlSM_SN_N2at6native12_GLOBAL__N_18offset_tEEE10hipError_tPvRmT1_PNSt15iterator_traitsISV_E10value_typeET2_T3_PNSW_IS11_E10value_typeET4_jRbjT5_S17_jjP12ihipStream_tbEUljE_EEESS_ST_SU_S11_S15_S17_T6_T7_T9_mT8_S19_bDpT10_ENKUlT_T0_E_clISt17integral_constantIbLb0EES1L_IbLb1EEEEDaS1H_S1I_EUlS1H_E_NS1_11comp_targetILNS1_3genE2ELNS1_11target_archE906ELNS1_3gpuE6ELNS1_3repE0EEENS1_30default_config_static_selectorELNS0_4arch9wavefront6targetE0EEEvSV_
		.amdhsa_group_segment_fixed_size 0
		.amdhsa_private_segment_fixed_size 0
		.amdhsa_kernarg_size 152
		.amdhsa_user_sgpr_count 6
		.amdhsa_user_sgpr_private_segment_buffer 1
		.amdhsa_user_sgpr_dispatch_ptr 0
		.amdhsa_user_sgpr_queue_ptr 0
		.amdhsa_user_sgpr_kernarg_segment_ptr 1
		.amdhsa_user_sgpr_dispatch_id 0
		.amdhsa_user_sgpr_flat_scratch_init 0
		.amdhsa_user_sgpr_private_segment_size 0
		.amdhsa_wavefront_size32 1
		.amdhsa_uses_dynamic_stack 0
		.amdhsa_system_sgpr_private_segment_wavefront_offset 0
		.amdhsa_system_sgpr_workgroup_id_x 1
		.amdhsa_system_sgpr_workgroup_id_y 0
		.amdhsa_system_sgpr_workgroup_id_z 0
		.amdhsa_system_sgpr_workgroup_info 0
		.amdhsa_system_vgpr_workitem_id 0
		.amdhsa_next_free_vgpr 1
		.amdhsa_next_free_sgpr 1
		.amdhsa_reserve_vcc 0
		.amdhsa_reserve_flat_scratch 0
		.amdhsa_float_round_mode_32 0
		.amdhsa_float_round_mode_16_64 0
		.amdhsa_float_denorm_mode_32 3
		.amdhsa_float_denorm_mode_16_64 3
		.amdhsa_dx10_clamp 1
		.amdhsa_ieee_mode 1
		.amdhsa_fp16_overflow 0
		.amdhsa_workgroup_processor_mode 1
		.amdhsa_memory_ordered 1
		.amdhsa_forward_progress 1
		.amdhsa_shared_vgpr_count 0
		.amdhsa_exception_fp_ieee_invalid_op 0
		.amdhsa_exception_fp_denorm_src 0
		.amdhsa_exception_fp_ieee_div_zero 0
		.amdhsa_exception_fp_ieee_overflow 0
		.amdhsa_exception_fp_ieee_underflow 0
		.amdhsa_exception_fp_ieee_inexact 0
		.amdhsa_exception_int_div_zero 0
	.end_amdhsa_kernel
	.section	.text._ZN7rocprim17ROCPRIM_400000_NS6detail17trampoline_kernelINS0_13select_configILj256ELj13ELNS0_17block_load_methodE3ELS4_3ELS4_3ELNS0_20block_scan_algorithmE0ELj4294967295EEENS1_25partition_config_selectorILNS1_17partition_subalgoE3EjNS0_10empty_typeEbEEZZNS1_14partition_implILS8_3ELb0ES6_jNS0_17counting_iteratorIjlEEPS9_SE_NS0_5tupleIJPjSE_EEENSF_IJSE_SE_EEES9_SG_JZNS1_25segmented_radix_sort_implINS0_14default_configELb1EPKlPlSM_SN_N2at6native12_GLOBAL__N_18offset_tEEE10hipError_tPvRmT1_PNSt15iterator_traitsISV_E10value_typeET2_T3_PNSW_IS11_E10value_typeET4_jRbjT5_S17_jjP12ihipStream_tbEUljE_EEESS_ST_SU_S11_S15_S17_T6_T7_T9_mT8_S19_bDpT10_ENKUlT_T0_E_clISt17integral_constantIbLb0EES1L_IbLb1EEEEDaS1H_S1I_EUlS1H_E_NS1_11comp_targetILNS1_3genE2ELNS1_11target_archE906ELNS1_3gpuE6ELNS1_3repE0EEENS1_30default_config_static_selectorELNS0_4arch9wavefront6targetE0EEEvSV_,"axG",@progbits,_ZN7rocprim17ROCPRIM_400000_NS6detail17trampoline_kernelINS0_13select_configILj256ELj13ELNS0_17block_load_methodE3ELS4_3ELS4_3ELNS0_20block_scan_algorithmE0ELj4294967295EEENS1_25partition_config_selectorILNS1_17partition_subalgoE3EjNS0_10empty_typeEbEEZZNS1_14partition_implILS8_3ELb0ES6_jNS0_17counting_iteratorIjlEEPS9_SE_NS0_5tupleIJPjSE_EEENSF_IJSE_SE_EEES9_SG_JZNS1_25segmented_radix_sort_implINS0_14default_configELb1EPKlPlSM_SN_N2at6native12_GLOBAL__N_18offset_tEEE10hipError_tPvRmT1_PNSt15iterator_traitsISV_E10value_typeET2_T3_PNSW_IS11_E10value_typeET4_jRbjT5_S17_jjP12ihipStream_tbEUljE_EEESS_ST_SU_S11_S15_S17_T6_T7_T9_mT8_S19_bDpT10_ENKUlT_T0_E_clISt17integral_constantIbLb0EES1L_IbLb1EEEEDaS1H_S1I_EUlS1H_E_NS1_11comp_targetILNS1_3genE2ELNS1_11target_archE906ELNS1_3gpuE6ELNS1_3repE0EEENS1_30default_config_static_selectorELNS0_4arch9wavefront6targetE0EEEvSV_,comdat
.Lfunc_end694:
	.size	_ZN7rocprim17ROCPRIM_400000_NS6detail17trampoline_kernelINS0_13select_configILj256ELj13ELNS0_17block_load_methodE3ELS4_3ELS4_3ELNS0_20block_scan_algorithmE0ELj4294967295EEENS1_25partition_config_selectorILNS1_17partition_subalgoE3EjNS0_10empty_typeEbEEZZNS1_14partition_implILS8_3ELb0ES6_jNS0_17counting_iteratorIjlEEPS9_SE_NS0_5tupleIJPjSE_EEENSF_IJSE_SE_EEES9_SG_JZNS1_25segmented_radix_sort_implINS0_14default_configELb1EPKlPlSM_SN_N2at6native12_GLOBAL__N_18offset_tEEE10hipError_tPvRmT1_PNSt15iterator_traitsISV_E10value_typeET2_T3_PNSW_IS11_E10value_typeET4_jRbjT5_S17_jjP12ihipStream_tbEUljE_EEESS_ST_SU_S11_S15_S17_T6_T7_T9_mT8_S19_bDpT10_ENKUlT_T0_E_clISt17integral_constantIbLb0EES1L_IbLb1EEEEDaS1H_S1I_EUlS1H_E_NS1_11comp_targetILNS1_3genE2ELNS1_11target_archE906ELNS1_3gpuE6ELNS1_3repE0EEENS1_30default_config_static_selectorELNS0_4arch9wavefront6targetE0EEEvSV_, .Lfunc_end694-_ZN7rocprim17ROCPRIM_400000_NS6detail17trampoline_kernelINS0_13select_configILj256ELj13ELNS0_17block_load_methodE3ELS4_3ELS4_3ELNS0_20block_scan_algorithmE0ELj4294967295EEENS1_25partition_config_selectorILNS1_17partition_subalgoE3EjNS0_10empty_typeEbEEZZNS1_14partition_implILS8_3ELb0ES6_jNS0_17counting_iteratorIjlEEPS9_SE_NS0_5tupleIJPjSE_EEENSF_IJSE_SE_EEES9_SG_JZNS1_25segmented_radix_sort_implINS0_14default_configELb1EPKlPlSM_SN_N2at6native12_GLOBAL__N_18offset_tEEE10hipError_tPvRmT1_PNSt15iterator_traitsISV_E10value_typeET2_T3_PNSW_IS11_E10value_typeET4_jRbjT5_S17_jjP12ihipStream_tbEUljE_EEESS_ST_SU_S11_S15_S17_T6_T7_T9_mT8_S19_bDpT10_ENKUlT_T0_E_clISt17integral_constantIbLb0EES1L_IbLb1EEEEDaS1H_S1I_EUlS1H_E_NS1_11comp_targetILNS1_3genE2ELNS1_11target_archE906ELNS1_3gpuE6ELNS1_3repE0EEENS1_30default_config_static_selectorELNS0_4arch9wavefront6targetE0EEEvSV_
                                        ; -- End function
	.set _ZN7rocprim17ROCPRIM_400000_NS6detail17trampoline_kernelINS0_13select_configILj256ELj13ELNS0_17block_load_methodE3ELS4_3ELS4_3ELNS0_20block_scan_algorithmE0ELj4294967295EEENS1_25partition_config_selectorILNS1_17partition_subalgoE3EjNS0_10empty_typeEbEEZZNS1_14partition_implILS8_3ELb0ES6_jNS0_17counting_iteratorIjlEEPS9_SE_NS0_5tupleIJPjSE_EEENSF_IJSE_SE_EEES9_SG_JZNS1_25segmented_radix_sort_implINS0_14default_configELb1EPKlPlSM_SN_N2at6native12_GLOBAL__N_18offset_tEEE10hipError_tPvRmT1_PNSt15iterator_traitsISV_E10value_typeET2_T3_PNSW_IS11_E10value_typeET4_jRbjT5_S17_jjP12ihipStream_tbEUljE_EEESS_ST_SU_S11_S15_S17_T6_T7_T9_mT8_S19_bDpT10_ENKUlT_T0_E_clISt17integral_constantIbLb0EES1L_IbLb1EEEEDaS1H_S1I_EUlS1H_E_NS1_11comp_targetILNS1_3genE2ELNS1_11target_archE906ELNS1_3gpuE6ELNS1_3repE0EEENS1_30default_config_static_selectorELNS0_4arch9wavefront6targetE0EEEvSV_.num_vgpr, 0
	.set _ZN7rocprim17ROCPRIM_400000_NS6detail17trampoline_kernelINS0_13select_configILj256ELj13ELNS0_17block_load_methodE3ELS4_3ELS4_3ELNS0_20block_scan_algorithmE0ELj4294967295EEENS1_25partition_config_selectorILNS1_17partition_subalgoE3EjNS0_10empty_typeEbEEZZNS1_14partition_implILS8_3ELb0ES6_jNS0_17counting_iteratorIjlEEPS9_SE_NS0_5tupleIJPjSE_EEENSF_IJSE_SE_EEES9_SG_JZNS1_25segmented_radix_sort_implINS0_14default_configELb1EPKlPlSM_SN_N2at6native12_GLOBAL__N_18offset_tEEE10hipError_tPvRmT1_PNSt15iterator_traitsISV_E10value_typeET2_T3_PNSW_IS11_E10value_typeET4_jRbjT5_S17_jjP12ihipStream_tbEUljE_EEESS_ST_SU_S11_S15_S17_T6_T7_T9_mT8_S19_bDpT10_ENKUlT_T0_E_clISt17integral_constantIbLb0EES1L_IbLb1EEEEDaS1H_S1I_EUlS1H_E_NS1_11comp_targetILNS1_3genE2ELNS1_11target_archE906ELNS1_3gpuE6ELNS1_3repE0EEENS1_30default_config_static_selectorELNS0_4arch9wavefront6targetE0EEEvSV_.num_agpr, 0
	.set _ZN7rocprim17ROCPRIM_400000_NS6detail17trampoline_kernelINS0_13select_configILj256ELj13ELNS0_17block_load_methodE3ELS4_3ELS4_3ELNS0_20block_scan_algorithmE0ELj4294967295EEENS1_25partition_config_selectorILNS1_17partition_subalgoE3EjNS0_10empty_typeEbEEZZNS1_14partition_implILS8_3ELb0ES6_jNS0_17counting_iteratorIjlEEPS9_SE_NS0_5tupleIJPjSE_EEENSF_IJSE_SE_EEES9_SG_JZNS1_25segmented_radix_sort_implINS0_14default_configELb1EPKlPlSM_SN_N2at6native12_GLOBAL__N_18offset_tEEE10hipError_tPvRmT1_PNSt15iterator_traitsISV_E10value_typeET2_T3_PNSW_IS11_E10value_typeET4_jRbjT5_S17_jjP12ihipStream_tbEUljE_EEESS_ST_SU_S11_S15_S17_T6_T7_T9_mT8_S19_bDpT10_ENKUlT_T0_E_clISt17integral_constantIbLb0EES1L_IbLb1EEEEDaS1H_S1I_EUlS1H_E_NS1_11comp_targetILNS1_3genE2ELNS1_11target_archE906ELNS1_3gpuE6ELNS1_3repE0EEENS1_30default_config_static_selectorELNS0_4arch9wavefront6targetE0EEEvSV_.numbered_sgpr, 0
	.set _ZN7rocprim17ROCPRIM_400000_NS6detail17trampoline_kernelINS0_13select_configILj256ELj13ELNS0_17block_load_methodE3ELS4_3ELS4_3ELNS0_20block_scan_algorithmE0ELj4294967295EEENS1_25partition_config_selectorILNS1_17partition_subalgoE3EjNS0_10empty_typeEbEEZZNS1_14partition_implILS8_3ELb0ES6_jNS0_17counting_iteratorIjlEEPS9_SE_NS0_5tupleIJPjSE_EEENSF_IJSE_SE_EEES9_SG_JZNS1_25segmented_radix_sort_implINS0_14default_configELb1EPKlPlSM_SN_N2at6native12_GLOBAL__N_18offset_tEEE10hipError_tPvRmT1_PNSt15iterator_traitsISV_E10value_typeET2_T3_PNSW_IS11_E10value_typeET4_jRbjT5_S17_jjP12ihipStream_tbEUljE_EEESS_ST_SU_S11_S15_S17_T6_T7_T9_mT8_S19_bDpT10_ENKUlT_T0_E_clISt17integral_constantIbLb0EES1L_IbLb1EEEEDaS1H_S1I_EUlS1H_E_NS1_11comp_targetILNS1_3genE2ELNS1_11target_archE906ELNS1_3gpuE6ELNS1_3repE0EEENS1_30default_config_static_selectorELNS0_4arch9wavefront6targetE0EEEvSV_.num_named_barrier, 0
	.set _ZN7rocprim17ROCPRIM_400000_NS6detail17trampoline_kernelINS0_13select_configILj256ELj13ELNS0_17block_load_methodE3ELS4_3ELS4_3ELNS0_20block_scan_algorithmE0ELj4294967295EEENS1_25partition_config_selectorILNS1_17partition_subalgoE3EjNS0_10empty_typeEbEEZZNS1_14partition_implILS8_3ELb0ES6_jNS0_17counting_iteratorIjlEEPS9_SE_NS0_5tupleIJPjSE_EEENSF_IJSE_SE_EEES9_SG_JZNS1_25segmented_radix_sort_implINS0_14default_configELb1EPKlPlSM_SN_N2at6native12_GLOBAL__N_18offset_tEEE10hipError_tPvRmT1_PNSt15iterator_traitsISV_E10value_typeET2_T3_PNSW_IS11_E10value_typeET4_jRbjT5_S17_jjP12ihipStream_tbEUljE_EEESS_ST_SU_S11_S15_S17_T6_T7_T9_mT8_S19_bDpT10_ENKUlT_T0_E_clISt17integral_constantIbLb0EES1L_IbLb1EEEEDaS1H_S1I_EUlS1H_E_NS1_11comp_targetILNS1_3genE2ELNS1_11target_archE906ELNS1_3gpuE6ELNS1_3repE0EEENS1_30default_config_static_selectorELNS0_4arch9wavefront6targetE0EEEvSV_.private_seg_size, 0
	.set _ZN7rocprim17ROCPRIM_400000_NS6detail17trampoline_kernelINS0_13select_configILj256ELj13ELNS0_17block_load_methodE3ELS4_3ELS4_3ELNS0_20block_scan_algorithmE0ELj4294967295EEENS1_25partition_config_selectorILNS1_17partition_subalgoE3EjNS0_10empty_typeEbEEZZNS1_14partition_implILS8_3ELb0ES6_jNS0_17counting_iteratorIjlEEPS9_SE_NS0_5tupleIJPjSE_EEENSF_IJSE_SE_EEES9_SG_JZNS1_25segmented_radix_sort_implINS0_14default_configELb1EPKlPlSM_SN_N2at6native12_GLOBAL__N_18offset_tEEE10hipError_tPvRmT1_PNSt15iterator_traitsISV_E10value_typeET2_T3_PNSW_IS11_E10value_typeET4_jRbjT5_S17_jjP12ihipStream_tbEUljE_EEESS_ST_SU_S11_S15_S17_T6_T7_T9_mT8_S19_bDpT10_ENKUlT_T0_E_clISt17integral_constantIbLb0EES1L_IbLb1EEEEDaS1H_S1I_EUlS1H_E_NS1_11comp_targetILNS1_3genE2ELNS1_11target_archE906ELNS1_3gpuE6ELNS1_3repE0EEENS1_30default_config_static_selectorELNS0_4arch9wavefront6targetE0EEEvSV_.uses_vcc, 0
	.set _ZN7rocprim17ROCPRIM_400000_NS6detail17trampoline_kernelINS0_13select_configILj256ELj13ELNS0_17block_load_methodE3ELS4_3ELS4_3ELNS0_20block_scan_algorithmE0ELj4294967295EEENS1_25partition_config_selectorILNS1_17partition_subalgoE3EjNS0_10empty_typeEbEEZZNS1_14partition_implILS8_3ELb0ES6_jNS0_17counting_iteratorIjlEEPS9_SE_NS0_5tupleIJPjSE_EEENSF_IJSE_SE_EEES9_SG_JZNS1_25segmented_radix_sort_implINS0_14default_configELb1EPKlPlSM_SN_N2at6native12_GLOBAL__N_18offset_tEEE10hipError_tPvRmT1_PNSt15iterator_traitsISV_E10value_typeET2_T3_PNSW_IS11_E10value_typeET4_jRbjT5_S17_jjP12ihipStream_tbEUljE_EEESS_ST_SU_S11_S15_S17_T6_T7_T9_mT8_S19_bDpT10_ENKUlT_T0_E_clISt17integral_constantIbLb0EES1L_IbLb1EEEEDaS1H_S1I_EUlS1H_E_NS1_11comp_targetILNS1_3genE2ELNS1_11target_archE906ELNS1_3gpuE6ELNS1_3repE0EEENS1_30default_config_static_selectorELNS0_4arch9wavefront6targetE0EEEvSV_.uses_flat_scratch, 0
	.set _ZN7rocprim17ROCPRIM_400000_NS6detail17trampoline_kernelINS0_13select_configILj256ELj13ELNS0_17block_load_methodE3ELS4_3ELS4_3ELNS0_20block_scan_algorithmE0ELj4294967295EEENS1_25partition_config_selectorILNS1_17partition_subalgoE3EjNS0_10empty_typeEbEEZZNS1_14partition_implILS8_3ELb0ES6_jNS0_17counting_iteratorIjlEEPS9_SE_NS0_5tupleIJPjSE_EEENSF_IJSE_SE_EEES9_SG_JZNS1_25segmented_radix_sort_implINS0_14default_configELb1EPKlPlSM_SN_N2at6native12_GLOBAL__N_18offset_tEEE10hipError_tPvRmT1_PNSt15iterator_traitsISV_E10value_typeET2_T3_PNSW_IS11_E10value_typeET4_jRbjT5_S17_jjP12ihipStream_tbEUljE_EEESS_ST_SU_S11_S15_S17_T6_T7_T9_mT8_S19_bDpT10_ENKUlT_T0_E_clISt17integral_constantIbLb0EES1L_IbLb1EEEEDaS1H_S1I_EUlS1H_E_NS1_11comp_targetILNS1_3genE2ELNS1_11target_archE906ELNS1_3gpuE6ELNS1_3repE0EEENS1_30default_config_static_selectorELNS0_4arch9wavefront6targetE0EEEvSV_.has_dyn_sized_stack, 0
	.set _ZN7rocprim17ROCPRIM_400000_NS6detail17trampoline_kernelINS0_13select_configILj256ELj13ELNS0_17block_load_methodE3ELS4_3ELS4_3ELNS0_20block_scan_algorithmE0ELj4294967295EEENS1_25partition_config_selectorILNS1_17partition_subalgoE3EjNS0_10empty_typeEbEEZZNS1_14partition_implILS8_3ELb0ES6_jNS0_17counting_iteratorIjlEEPS9_SE_NS0_5tupleIJPjSE_EEENSF_IJSE_SE_EEES9_SG_JZNS1_25segmented_radix_sort_implINS0_14default_configELb1EPKlPlSM_SN_N2at6native12_GLOBAL__N_18offset_tEEE10hipError_tPvRmT1_PNSt15iterator_traitsISV_E10value_typeET2_T3_PNSW_IS11_E10value_typeET4_jRbjT5_S17_jjP12ihipStream_tbEUljE_EEESS_ST_SU_S11_S15_S17_T6_T7_T9_mT8_S19_bDpT10_ENKUlT_T0_E_clISt17integral_constantIbLb0EES1L_IbLb1EEEEDaS1H_S1I_EUlS1H_E_NS1_11comp_targetILNS1_3genE2ELNS1_11target_archE906ELNS1_3gpuE6ELNS1_3repE0EEENS1_30default_config_static_selectorELNS0_4arch9wavefront6targetE0EEEvSV_.has_recursion, 0
	.set _ZN7rocprim17ROCPRIM_400000_NS6detail17trampoline_kernelINS0_13select_configILj256ELj13ELNS0_17block_load_methodE3ELS4_3ELS4_3ELNS0_20block_scan_algorithmE0ELj4294967295EEENS1_25partition_config_selectorILNS1_17partition_subalgoE3EjNS0_10empty_typeEbEEZZNS1_14partition_implILS8_3ELb0ES6_jNS0_17counting_iteratorIjlEEPS9_SE_NS0_5tupleIJPjSE_EEENSF_IJSE_SE_EEES9_SG_JZNS1_25segmented_radix_sort_implINS0_14default_configELb1EPKlPlSM_SN_N2at6native12_GLOBAL__N_18offset_tEEE10hipError_tPvRmT1_PNSt15iterator_traitsISV_E10value_typeET2_T3_PNSW_IS11_E10value_typeET4_jRbjT5_S17_jjP12ihipStream_tbEUljE_EEESS_ST_SU_S11_S15_S17_T6_T7_T9_mT8_S19_bDpT10_ENKUlT_T0_E_clISt17integral_constantIbLb0EES1L_IbLb1EEEEDaS1H_S1I_EUlS1H_E_NS1_11comp_targetILNS1_3genE2ELNS1_11target_archE906ELNS1_3gpuE6ELNS1_3repE0EEENS1_30default_config_static_selectorELNS0_4arch9wavefront6targetE0EEEvSV_.has_indirect_call, 0
	.section	.AMDGPU.csdata,"",@progbits
; Kernel info:
; codeLenInByte = 0
; TotalNumSgprs: 0
; NumVgprs: 0
; ScratchSize: 0
; MemoryBound: 0
; FloatMode: 240
; IeeeMode: 1
; LDSByteSize: 0 bytes/workgroup (compile time only)
; SGPRBlocks: 0
; VGPRBlocks: 0
; NumSGPRsForWavesPerEU: 1
; NumVGPRsForWavesPerEU: 1
; Occupancy: 16
; WaveLimiterHint : 0
; COMPUTE_PGM_RSRC2:SCRATCH_EN: 0
; COMPUTE_PGM_RSRC2:USER_SGPR: 6
; COMPUTE_PGM_RSRC2:TRAP_HANDLER: 0
; COMPUTE_PGM_RSRC2:TGID_X_EN: 1
; COMPUTE_PGM_RSRC2:TGID_Y_EN: 0
; COMPUTE_PGM_RSRC2:TGID_Z_EN: 0
; COMPUTE_PGM_RSRC2:TIDIG_COMP_CNT: 0
	.section	.text._ZN7rocprim17ROCPRIM_400000_NS6detail17trampoline_kernelINS0_13select_configILj256ELj13ELNS0_17block_load_methodE3ELS4_3ELS4_3ELNS0_20block_scan_algorithmE0ELj4294967295EEENS1_25partition_config_selectorILNS1_17partition_subalgoE3EjNS0_10empty_typeEbEEZZNS1_14partition_implILS8_3ELb0ES6_jNS0_17counting_iteratorIjlEEPS9_SE_NS0_5tupleIJPjSE_EEENSF_IJSE_SE_EEES9_SG_JZNS1_25segmented_radix_sort_implINS0_14default_configELb1EPKlPlSM_SN_N2at6native12_GLOBAL__N_18offset_tEEE10hipError_tPvRmT1_PNSt15iterator_traitsISV_E10value_typeET2_T3_PNSW_IS11_E10value_typeET4_jRbjT5_S17_jjP12ihipStream_tbEUljE_EEESS_ST_SU_S11_S15_S17_T6_T7_T9_mT8_S19_bDpT10_ENKUlT_T0_E_clISt17integral_constantIbLb0EES1L_IbLb1EEEEDaS1H_S1I_EUlS1H_E_NS1_11comp_targetILNS1_3genE10ELNS1_11target_archE1200ELNS1_3gpuE4ELNS1_3repE0EEENS1_30default_config_static_selectorELNS0_4arch9wavefront6targetE0EEEvSV_,"axG",@progbits,_ZN7rocprim17ROCPRIM_400000_NS6detail17trampoline_kernelINS0_13select_configILj256ELj13ELNS0_17block_load_methodE3ELS4_3ELS4_3ELNS0_20block_scan_algorithmE0ELj4294967295EEENS1_25partition_config_selectorILNS1_17partition_subalgoE3EjNS0_10empty_typeEbEEZZNS1_14partition_implILS8_3ELb0ES6_jNS0_17counting_iteratorIjlEEPS9_SE_NS0_5tupleIJPjSE_EEENSF_IJSE_SE_EEES9_SG_JZNS1_25segmented_radix_sort_implINS0_14default_configELb1EPKlPlSM_SN_N2at6native12_GLOBAL__N_18offset_tEEE10hipError_tPvRmT1_PNSt15iterator_traitsISV_E10value_typeET2_T3_PNSW_IS11_E10value_typeET4_jRbjT5_S17_jjP12ihipStream_tbEUljE_EEESS_ST_SU_S11_S15_S17_T6_T7_T9_mT8_S19_bDpT10_ENKUlT_T0_E_clISt17integral_constantIbLb0EES1L_IbLb1EEEEDaS1H_S1I_EUlS1H_E_NS1_11comp_targetILNS1_3genE10ELNS1_11target_archE1200ELNS1_3gpuE4ELNS1_3repE0EEENS1_30default_config_static_selectorELNS0_4arch9wavefront6targetE0EEEvSV_,comdat
	.globl	_ZN7rocprim17ROCPRIM_400000_NS6detail17trampoline_kernelINS0_13select_configILj256ELj13ELNS0_17block_load_methodE3ELS4_3ELS4_3ELNS0_20block_scan_algorithmE0ELj4294967295EEENS1_25partition_config_selectorILNS1_17partition_subalgoE3EjNS0_10empty_typeEbEEZZNS1_14partition_implILS8_3ELb0ES6_jNS0_17counting_iteratorIjlEEPS9_SE_NS0_5tupleIJPjSE_EEENSF_IJSE_SE_EEES9_SG_JZNS1_25segmented_radix_sort_implINS0_14default_configELb1EPKlPlSM_SN_N2at6native12_GLOBAL__N_18offset_tEEE10hipError_tPvRmT1_PNSt15iterator_traitsISV_E10value_typeET2_T3_PNSW_IS11_E10value_typeET4_jRbjT5_S17_jjP12ihipStream_tbEUljE_EEESS_ST_SU_S11_S15_S17_T6_T7_T9_mT8_S19_bDpT10_ENKUlT_T0_E_clISt17integral_constantIbLb0EES1L_IbLb1EEEEDaS1H_S1I_EUlS1H_E_NS1_11comp_targetILNS1_3genE10ELNS1_11target_archE1200ELNS1_3gpuE4ELNS1_3repE0EEENS1_30default_config_static_selectorELNS0_4arch9wavefront6targetE0EEEvSV_ ; -- Begin function _ZN7rocprim17ROCPRIM_400000_NS6detail17trampoline_kernelINS0_13select_configILj256ELj13ELNS0_17block_load_methodE3ELS4_3ELS4_3ELNS0_20block_scan_algorithmE0ELj4294967295EEENS1_25partition_config_selectorILNS1_17partition_subalgoE3EjNS0_10empty_typeEbEEZZNS1_14partition_implILS8_3ELb0ES6_jNS0_17counting_iteratorIjlEEPS9_SE_NS0_5tupleIJPjSE_EEENSF_IJSE_SE_EEES9_SG_JZNS1_25segmented_radix_sort_implINS0_14default_configELb1EPKlPlSM_SN_N2at6native12_GLOBAL__N_18offset_tEEE10hipError_tPvRmT1_PNSt15iterator_traitsISV_E10value_typeET2_T3_PNSW_IS11_E10value_typeET4_jRbjT5_S17_jjP12ihipStream_tbEUljE_EEESS_ST_SU_S11_S15_S17_T6_T7_T9_mT8_S19_bDpT10_ENKUlT_T0_E_clISt17integral_constantIbLb0EES1L_IbLb1EEEEDaS1H_S1I_EUlS1H_E_NS1_11comp_targetILNS1_3genE10ELNS1_11target_archE1200ELNS1_3gpuE4ELNS1_3repE0EEENS1_30default_config_static_selectorELNS0_4arch9wavefront6targetE0EEEvSV_
	.p2align	8
	.type	_ZN7rocprim17ROCPRIM_400000_NS6detail17trampoline_kernelINS0_13select_configILj256ELj13ELNS0_17block_load_methodE3ELS4_3ELS4_3ELNS0_20block_scan_algorithmE0ELj4294967295EEENS1_25partition_config_selectorILNS1_17partition_subalgoE3EjNS0_10empty_typeEbEEZZNS1_14partition_implILS8_3ELb0ES6_jNS0_17counting_iteratorIjlEEPS9_SE_NS0_5tupleIJPjSE_EEENSF_IJSE_SE_EEES9_SG_JZNS1_25segmented_radix_sort_implINS0_14default_configELb1EPKlPlSM_SN_N2at6native12_GLOBAL__N_18offset_tEEE10hipError_tPvRmT1_PNSt15iterator_traitsISV_E10value_typeET2_T3_PNSW_IS11_E10value_typeET4_jRbjT5_S17_jjP12ihipStream_tbEUljE_EEESS_ST_SU_S11_S15_S17_T6_T7_T9_mT8_S19_bDpT10_ENKUlT_T0_E_clISt17integral_constantIbLb0EES1L_IbLb1EEEEDaS1H_S1I_EUlS1H_E_NS1_11comp_targetILNS1_3genE10ELNS1_11target_archE1200ELNS1_3gpuE4ELNS1_3repE0EEENS1_30default_config_static_selectorELNS0_4arch9wavefront6targetE0EEEvSV_,@function
_ZN7rocprim17ROCPRIM_400000_NS6detail17trampoline_kernelINS0_13select_configILj256ELj13ELNS0_17block_load_methodE3ELS4_3ELS4_3ELNS0_20block_scan_algorithmE0ELj4294967295EEENS1_25partition_config_selectorILNS1_17partition_subalgoE3EjNS0_10empty_typeEbEEZZNS1_14partition_implILS8_3ELb0ES6_jNS0_17counting_iteratorIjlEEPS9_SE_NS0_5tupleIJPjSE_EEENSF_IJSE_SE_EEES9_SG_JZNS1_25segmented_radix_sort_implINS0_14default_configELb1EPKlPlSM_SN_N2at6native12_GLOBAL__N_18offset_tEEE10hipError_tPvRmT1_PNSt15iterator_traitsISV_E10value_typeET2_T3_PNSW_IS11_E10value_typeET4_jRbjT5_S17_jjP12ihipStream_tbEUljE_EEESS_ST_SU_S11_S15_S17_T6_T7_T9_mT8_S19_bDpT10_ENKUlT_T0_E_clISt17integral_constantIbLb0EES1L_IbLb1EEEEDaS1H_S1I_EUlS1H_E_NS1_11comp_targetILNS1_3genE10ELNS1_11target_archE1200ELNS1_3gpuE4ELNS1_3repE0EEENS1_30default_config_static_selectorELNS0_4arch9wavefront6targetE0EEEvSV_: ; @_ZN7rocprim17ROCPRIM_400000_NS6detail17trampoline_kernelINS0_13select_configILj256ELj13ELNS0_17block_load_methodE3ELS4_3ELS4_3ELNS0_20block_scan_algorithmE0ELj4294967295EEENS1_25partition_config_selectorILNS1_17partition_subalgoE3EjNS0_10empty_typeEbEEZZNS1_14partition_implILS8_3ELb0ES6_jNS0_17counting_iteratorIjlEEPS9_SE_NS0_5tupleIJPjSE_EEENSF_IJSE_SE_EEES9_SG_JZNS1_25segmented_radix_sort_implINS0_14default_configELb1EPKlPlSM_SN_N2at6native12_GLOBAL__N_18offset_tEEE10hipError_tPvRmT1_PNSt15iterator_traitsISV_E10value_typeET2_T3_PNSW_IS11_E10value_typeET4_jRbjT5_S17_jjP12ihipStream_tbEUljE_EEESS_ST_SU_S11_S15_S17_T6_T7_T9_mT8_S19_bDpT10_ENKUlT_T0_E_clISt17integral_constantIbLb0EES1L_IbLb1EEEEDaS1H_S1I_EUlS1H_E_NS1_11comp_targetILNS1_3genE10ELNS1_11target_archE1200ELNS1_3gpuE4ELNS1_3repE0EEENS1_30default_config_static_selectorELNS0_4arch9wavefront6targetE0EEEvSV_
; %bb.0:
	.section	.rodata,"a",@progbits
	.p2align	6, 0x0
	.amdhsa_kernel _ZN7rocprim17ROCPRIM_400000_NS6detail17trampoline_kernelINS0_13select_configILj256ELj13ELNS0_17block_load_methodE3ELS4_3ELS4_3ELNS0_20block_scan_algorithmE0ELj4294967295EEENS1_25partition_config_selectorILNS1_17partition_subalgoE3EjNS0_10empty_typeEbEEZZNS1_14partition_implILS8_3ELb0ES6_jNS0_17counting_iteratorIjlEEPS9_SE_NS0_5tupleIJPjSE_EEENSF_IJSE_SE_EEES9_SG_JZNS1_25segmented_radix_sort_implINS0_14default_configELb1EPKlPlSM_SN_N2at6native12_GLOBAL__N_18offset_tEEE10hipError_tPvRmT1_PNSt15iterator_traitsISV_E10value_typeET2_T3_PNSW_IS11_E10value_typeET4_jRbjT5_S17_jjP12ihipStream_tbEUljE_EEESS_ST_SU_S11_S15_S17_T6_T7_T9_mT8_S19_bDpT10_ENKUlT_T0_E_clISt17integral_constantIbLb0EES1L_IbLb1EEEEDaS1H_S1I_EUlS1H_E_NS1_11comp_targetILNS1_3genE10ELNS1_11target_archE1200ELNS1_3gpuE4ELNS1_3repE0EEENS1_30default_config_static_selectorELNS0_4arch9wavefront6targetE0EEEvSV_
		.amdhsa_group_segment_fixed_size 0
		.amdhsa_private_segment_fixed_size 0
		.amdhsa_kernarg_size 152
		.amdhsa_user_sgpr_count 6
		.amdhsa_user_sgpr_private_segment_buffer 1
		.amdhsa_user_sgpr_dispatch_ptr 0
		.amdhsa_user_sgpr_queue_ptr 0
		.amdhsa_user_sgpr_kernarg_segment_ptr 1
		.amdhsa_user_sgpr_dispatch_id 0
		.amdhsa_user_sgpr_flat_scratch_init 0
		.amdhsa_user_sgpr_private_segment_size 0
		.amdhsa_wavefront_size32 1
		.amdhsa_uses_dynamic_stack 0
		.amdhsa_system_sgpr_private_segment_wavefront_offset 0
		.amdhsa_system_sgpr_workgroup_id_x 1
		.amdhsa_system_sgpr_workgroup_id_y 0
		.amdhsa_system_sgpr_workgroup_id_z 0
		.amdhsa_system_sgpr_workgroup_info 0
		.amdhsa_system_vgpr_workitem_id 0
		.amdhsa_next_free_vgpr 1
		.amdhsa_next_free_sgpr 1
		.amdhsa_reserve_vcc 0
		.amdhsa_reserve_flat_scratch 0
		.amdhsa_float_round_mode_32 0
		.amdhsa_float_round_mode_16_64 0
		.amdhsa_float_denorm_mode_32 3
		.amdhsa_float_denorm_mode_16_64 3
		.amdhsa_dx10_clamp 1
		.amdhsa_ieee_mode 1
		.amdhsa_fp16_overflow 0
		.amdhsa_workgroup_processor_mode 1
		.amdhsa_memory_ordered 1
		.amdhsa_forward_progress 1
		.amdhsa_shared_vgpr_count 0
		.amdhsa_exception_fp_ieee_invalid_op 0
		.amdhsa_exception_fp_denorm_src 0
		.amdhsa_exception_fp_ieee_div_zero 0
		.amdhsa_exception_fp_ieee_overflow 0
		.amdhsa_exception_fp_ieee_underflow 0
		.amdhsa_exception_fp_ieee_inexact 0
		.amdhsa_exception_int_div_zero 0
	.end_amdhsa_kernel
	.section	.text._ZN7rocprim17ROCPRIM_400000_NS6detail17trampoline_kernelINS0_13select_configILj256ELj13ELNS0_17block_load_methodE3ELS4_3ELS4_3ELNS0_20block_scan_algorithmE0ELj4294967295EEENS1_25partition_config_selectorILNS1_17partition_subalgoE3EjNS0_10empty_typeEbEEZZNS1_14partition_implILS8_3ELb0ES6_jNS0_17counting_iteratorIjlEEPS9_SE_NS0_5tupleIJPjSE_EEENSF_IJSE_SE_EEES9_SG_JZNS1_25segmented_radix_sort_implINS0_14default_configELb1EPKlPlSM_SN_N2at6native12_GLOBAL__N_18offset_tEEE10hipError_tPvRmT1_PNSt15iterator_traitsISV_E10value_typeET2_T3_PNSW_IS11_E10value_typeET4_jRbjT5_S17_jjP12ihipStream_tbEUljE_EEESS_ST_SU_S11_S15_S17_T6_T7_T9_mT8_S19_bDpT10_ENKUlT_T0_E_clISt17integral_constantIbLb0EES1L_IbLb1EEEEDaS1H_S1I_EUlS1H_E_NS1_11comp_targetILNS1_3genE10ELNS1_11target_archE1200ELNS1_3gpuE4ELNS1_3repE0EEENS1_30default_config_static_selectorELNS0_4arch9wavefront6targetE0EEEvSV_,"axG",@progbits,_ZN7rocprim17ROCPRIM_400000_NS6detail17trampoline_kernelINS0_13select_configILj256ELj13ELNS0_17block_load_methodE3ELS4_3ELS4_3ELNS0_20block_scan_algorithmE0ELj4294967295EEENS1_25partition_config_selectorILNS1_17partition_subalgoE3EjNS0_10empty_typeEbEEZZNS1_14partition_implILS8_3ELb0ES6_jNS0_17counting_iteratorIjlEEPS9_SE_NS0_5tupleIJPjSE_EEENSF_IJSE_SE_EEES9_SG_JZNS1_25segmented_radix_sort_implINS0_14default_configELb1EPKlPlSM_SN_N2at6native12_GLOBAL__N_18offset_tEEE10hipError_tPvRmT1_PNSt15iterator_traitsISV_E10value_typeET2_T3_PNSW_IS11_E10value_typeET4_jRbjT5_S17_jjP12ihipStream_tbEUljE_EEESS_ST_SU_S11_S15_S17_T6_T7_T9_mT8_S19_bDpT10_ENKUlT_T0_E_clISt17integral_constantIbLb0EES1L_IbLb1EEEEDaS1H_S1I_EUlS1H_E_NS1_11comp_targetILNS1_3genE10ELNS1_11target_archE1200ELNS1_3gpuE4ELNS1_3repE0EEENS1_30default_config_static_selectorELNS0_4arch9wavefront6targetE0EEEvSV_,comdat
.Lfunc_end695:
	.size	_ZN7rocprim17ROCPRIM_400000_NS6detail17trampoline_kernelINS0_13select_configILj256ELj13ELNS0_17block_load_methodE3ELS4_3ELS4_3ELNS0_20block_scan_algorithmE0ELj4294967295EEENS1_25partition_config_selectorILNS1_17partition_subalgoE3EjNS0_10empty_typeEbEEZZNS1_14partition_implILS8_3ELb0ES6_jNS0_17counting_iteratorIjlEEPS9_SE_NS0_5tupleIJPjSE_EEENSF_IJSE_SE_EEES9_SG_JZNS1_25segmented_radix_sort_implINS0_14default_configELb1EPKlPlSM_SN_N2at6native12_GLOBAL__N_18offset_tEEE10hipError_tPvRmT1_PNSt15iterator_traitsISV_E10value_typeET2_T3_PNSW_IS11_E10value_typeET4_jRbjT5_S17_jjP12ihipStream_tbEUljE_EEESS_ST_SU_S11_S15_S17_T6_T7_T9_mT8_S19_bDpT10_ENKUlT_T0_E_clISt17integral_constantIbLb0EES1L_IbLb1EEEEDaS1H_S1I_EUlS1H_E_NS1_11comp_targetILNS1_3genE10ELNS1_11target_archE1200ELNS1_3gpuE4ELNS1_3repE0EEENS1_30default_config_static_selectorELNS0_4arch9wavefront6targetE0EEEvSV_, .Lfunc_end695-_ZN7rocprim17ROCPRIM_400000_NS6detail17trampoline_kernelINS0_13select_configILj256ELj13ELNS0_17block_load_methodE3ELS4_3ELS4_3ELNS0_20block_scan_algorithmE0ELj4294967295EEENS1_25partition_config_selectorILNS1_17partition_subalgoE3EjNS0_10empty_typeEbEEZZNS1_14partition_implILS8_3ELb0ES6_jNS0_17counting_iteratorIjlEEPS9_SE_NS0_5tupleIJPjSE_EEENSF_IJSE_SE_EEES9_SG_JZNS1_25segmented_radix_sort_implINS0_14default_configELb1EPKlPlSM_SN_N2at6native12_GLOBAL__N_18offset_tEEE10hipError_tPvRmT1_PNSt15iterator_traitsISV_E10value_typeET2_T3_PNSW_IS11_E10value_typeET4_jRbjT5_S17_jjP12ihipStream_tbEUljE_EEESS_ST_SU_S11_S15_S17_T6_T7_T9_mT8_S19_bDpT10_ENKUlT_T0_E_clISt17integral_constantIbLb0EES1L_IbLb1EEEEDaS1H_S1I_EUlS1H_E_NS1_11comp_targetILNS1_3genE10ELNS1_11target_archE1200ELNS1_3gpuE4ELNS1_3repE0EEENS1_30default_config_static_selectorELNS0_4arch9wavefront6targetE0EEEvSV_
                                        ; -- End function
	.set _ZN7rocprim17ROCPRIM_400000_NS6detail17trampoline_kernelINS0_13select_configILj256ELj13ELNS0_17block_load_methodE3ELS4_3ELS4_3ELNS0_20block_scan_algorithmE0ELj4294967295EEENS1_25partition_config_selectorILNS1_17partition_subalgoE3EjNS0_10empty_typeEbEEZZNS1_14partition_implILS8_3ELb0ES6_jNS0_17counting_iteratorIjlEEPS9_SE_NS0_5tupleIJPjSE_EEENSF_IJSE_SE_EEES9_SG_JZNS1_25segmented_radix_sort_implINS0_14default_configELb1EPKlPlSM_SN_N2at6native12_GLOBAL__N_18offset_tEEE10hipError_tPvRmT1_PNSt15iterator_traitsISV_E10value_typeET2_T3_PNSW_IS11_E10value_typeET4_jRbjT5_S17_jjP12ihipStream_tbEUljE_EEESS_ST_SU_S11_S15_S17_T6_T7_T9_mT8_S19_bDpT10_ENKUlT_T0_E_clISt17integral_constantIbLb0EES1L_IbLb1EEEEDaS1H_S1I_EUlS1H_E_NS1_11comp_targetILNS1_3genE10ELNS1_11target_archE1200ELNS1_3gpuE4ELNS1_3repE0EEENS1_30default_config_static_selectorELNS0_4arch9wavefront6targetE0EEEvSV_.num_vgpr, 0
	.set _ZN7rocprim17ROCPRIM_400000_NS6detail17trampoline_kernelINS0_13select_configILj256ELj13ELNS0_17block_load_methodE3ELS4_3ELS4_3ELNS0_20block_scan_algorithmE0ELj4294967295EEENS1_25partition_config_selectorILNS1_17partition_subalgoE3EjNS0_10empty_typeEbEEZZNS1_14partition_implILS8_3ELb0ES6_jNS0_17counting_iteratorIjlEEPS9_SE_NS0_5tupleIJPjSE_EEENSF_IJSE_SE_EEES9_SG_JZNS1_25segmented_radix_sort_implINS0_14default_configELb1EPKlPlSM_SN_N2at6native12_GLOBAL__N_18offset_tEEE10hipError_tPvRmT1_PNSt15iterator_traitsISV_E10value_typeET2_T3_PNSW_IS11_E10value_typeET4_jRbjT5_S17_jjP12ihipStream_tbEUljE_EEESS_ST_SU_S11_S15_S17_T6_T7_T9_mT8_S19_bDpT10_ENKUlT_T0_E_clISt17integral_constantIbLb0EES1L_IbLb1EEEEDaS1H_S1I_EUlS1H_E_NS1_11comp_targetILNS1_3genE10ELNS1_11target_archE1200ELNS1_3gpuE4ELNS1_3repE0EEENS1_30default_config_static_selectorELNS0_4arch9wavefront6targetE0EEEvSV_.num_agpr, 0
	.set _ZN7rocprim17ROCPRIM_400000_NS6detail17trampoline_kernelINS0_13select_configILj256ELj13ELNS0_17block_load_methodE3ELS4_3ELS4_3ELNS0_20block_scan_algorithmE0ELj4294967295EEENS1_25partition_config_selectorILNS1_17partition_subalgoE3EjNS0_10empty_typeEbEEZZNS1_14partition_implILS8_3ELb0ES6_jNS0_17counting_iteratorIjlEEPS9_SE_NS0_5tupleIJPjSE_EEENSF_IJSE_SE_EEES9_SG_JZNS1_25segmented_radix_sort_implINS0_14default_configELb1EPKlPlSM_SN_N2at6native12_GLOBAL__N_18offset_tEEE10hipError_tPvRmT1_PNSt15iterator_traitsISV_E10value_typeET2_T3_PNSW_IS11_E10value_typeET4_jRbjT5_S17_jjP12ihipStream_tbEUljE_EEESS_ST_SU_S11_S15_S17_T6_T7_T9_mT8_S19_bDpT10_ENKUlT_T0_E_clISt17integral_constantIbLb0EES1L_IbLb1EEEEDaS1H_S1I_EUlS1H_E_NS1_11comp_targetILNS1_3genE10ELNS1_11target_archE1200ELNS1_3gpuE4ELNS1_3repE0EEENS1_30default_config_static_selectorELNS0_4arch9wavefront6targetE0EEEvSV_.numbered_sgpr, 0
	.set _ZN7rocprim17ROCPRIM_400000_NS6detail17trampoline_kernelINS0_13select_configILj256ELj13ELNS0_17block_load_methodE3ELS4_3ELS4_3ELNS0_20block_scan_algorithmE0ELj4294967295EEENS1_25partition_config_selectorILNS1_17partition_subalgoE3EjNS0_10empty_typeEbEEZZNS1_14partition_implILS8_3ELb0ES6_jNS0_17counting_iteratorIjlEEPS9_SE_NS0_5tupleIJPjSE_EEENSF_IJSE_SE_EEES9_SG_JZNS1_25segmented_radix_sort_implINS0_14default_configELb1EPKlPlSM_SN_N2at6native12_GLOBAL__N_18offset_tEEE10hipError_tPvRmT1_PNSt15iterator_traitsISV_E10value_typeET2_T3_PNSW_IS11_E10value_typeET4_jRbjT5_S17_jjP12ihipStream_tbEUljE_EEESS_ST_SU_S11_S15_S17_T6_T7_T9_mT8_S19_bDpT10_ENKUlT_T0_E_clISt17integral_constantIbLb0EES1L_IbLb1EEEEDaS1H_S1I_EUlS1H_E_NS1_11comp_targetILNS1_3genE10ELNS1_11target_archE1200ELNS1_3gpuE4ELNS1_3repE0EEENS1_30default_config_static_selectorELNS0_4arch9wavefront6targetE0EEEvSV_.num_named_barrier, 0
	.set _ZN7rocprim17ROCPRIM_400000_NS6detail17trampoline_kernelINS0_13select_configILj256ELj13ELNS0_17block_load_methodE3ELS4_3ELS4_3ELNS0_20block_scan_algorithmE0ELj4294967295EEENS1_25partition_config_selectorILNS1_17partition_subalgoE3EjNS0_10empty_typeEbEEZZNS1_14partition_implILS8_3ELb0ES6_jNS0_17counting_iteratorIjlEEPS9_SE_NS0_5tupleIJPjSE_EEENSF_IJSE_SE_EEES9_SG_JZNS1_25segmented_radix_sort_implINS0_14default_configELb1EPKlPlSM_SN_N2at6native12_GLOBAL__N_18offset_tEEE10hipError_tPvRmT1_PNSt15iterator_traitsISV_E10value_typeET2_T3_PNSW_IS11_E10value_typeET4_jRbjT5_S17_jjP12ihipStream_tbEUljE_EEESS_ST_SU_S11_S15_S17_T6_T7_T9_mT8_S19_bDpT10_ENKUlT_T0_E_clISt17integral_constantIbLb0EES1L_IbLb1EEEEDaS1H_S1I_EUlS1H_E_NS1_11comp_targetILNS1_3genE10ELNS1_11target_archE1200ELNS1_3gpuE4ELNS1_3repE0EEENS1_30default_config_static_selectorELNS0_4arch9wavefront6targetE0EEEvSV_.private_seg_size, 0
	.set _ZN7rocprim17ROCPRIM_400000_NS6detail17trampoline_kernelINS0_13select_configILj256ELj13ELNS0_17block_load_methodE3ELS4_3ELS4_3ELNS0_20block_scan_algorithmE0ELj4294967295EEENS1_25partition_config_selectorILNS1_17partition_subalgoE3EjNS0_10empty_typeEbEEZZNS1_14partition_implILS8_3ELb0ES6_jNS0_17counting_iteratorIjlEEPS9_SE_NS0_5tupleIJPjSE_EEENSF_IJSE_SE_EEES9_SG_JZNS1_25segmented_radix_sort_implINS0_14default_configELb1EPKlPlSM_SN_N2at6native12_GLOBAL__N_18offset_tEEE10hipError_tPvRmT1_PNSt15iterator_traitsISV_E10value_typeET2_T3_PNSW_IS11_E10value_typeET4_jRbjT5_S17_jjP12ihipStream_tbEUljE_EEESS_ST_SU_S11_S15_S17_T6_T7_T9_mT8_S19_bDpT10_ENKUlT_T0_E_clISt17integral_constantIbLb0EES1L_IbLb1EEEEDaS1H_S1I_EUlS1H_E_NS1_11comp_targetILNS1_3genE10ELNS1_11target_archE1200ELNS1_3gpuE4ELNS1_3repE0EEENS1_30default_config_static_selectorELNS0_4arch9wavefront6targetE0EEEvSV_.uses_vcc, 0
	.set _ZN7rocprim17ROCPRIM_400000_NS6detail17trampoline_kernelINS0_13select_configILj256ELj13ELNS0_17block_load_methodE3ELS4_3ELS4_3ELNS0_20block_scan_algorithmE0ELj4294967295EEENS1_25partition_config_selectorILNS1_17partition_subalgoE3EjNS0_10empty_typeEbEEZZNS1_14partition_implILS8_3ELb0ES6_jNS0_17counting_iteratorIjlEEPS9_SE_NS0_5tupleIJPjSE_EEENSF_IJSE_SE_EEES9_SG_JZNS1_25segmented_radix_sort_implINS0_14default_configELb1EPKlPlSM_SN_N2at6native12_GLOBAL__N_18offset_tEEE10hipError_tPvRmT1_PNSt15iterator_traitsISV_E10value_typeET2_T3_PNSW_IS11_E10value_typeET4_jRbjT5_S17_jjP12ihipStream_tbEUljE_EEESS_ST_SU_S11_S15_S17_T6_T7_T9_mT8_S19_bDpT10_ENKUlT_T0_E_clISt17integral_constantIbLb0EES1L_IbLb1EEEEDaS1H_S1I_EUlS1H_E_NS1_11comp_targetILNS1_3genE10ELNS1_11target_archE1200ELNS1_3gpuE4ELNS1_3repE0EEENS1_30default_config_static_selectorELNS0_4arch9wavefront6targetE0EEEvSV_.uses_flat_scratch, 0
	.set _ZN7rocprim17ROCPRIM_400000_NS6detail17trampoline_kernelINS0_13select_configILj256ELj13ELNS0_17block_load_methodE3ELS4_3ELS4_3ELNS0_20block_scan_algorithmE0ELj4294967295EEENS1_25partition_config_selectorILNS1_17partition_subalgoE3EjNS0_10empty_typeEbEEZZNS1_14partition_implILS8_3ELb0ES6_jNS0_17counting_iteratorIjlEEPS9_SE_NS0_5tupleIJPjSE_EEENSF_IJSE_SE_EEES9_SG_JZNS1_25segmented_radix_sort_implINS0_14default_configELb1EPKlPlSM_SN_N2at6native12_GLOBAL__N_18offset_tEEE10hipError_tPvRmT1_PNSt15iterator_traitsISV_E10value_typeET2_T3_PNSW_IS11_E10value_typeET4_jRbjT5_S17_jjP12ihipStream_tbEUljE_EEESS_ST_SU_S11_S15_S17_T6_T7_T9_mT8_S19_bDpT10_ENKUlT_T0_E_clISt17integral_constantIbLb0EES1L_IbLb1EEEEDaS1H_S1I_EUlS1H_E_NS1_11comp_targetILNS1_3genE10ELNS1_11target_archE1200ELNS1_3gpuE4ELNS1_3repE0EEENS1_30default_config_static_selectorELNS0_4arch9wavefront6targetE0EEEvSV_.has_dyn_sized_stack, 0
	.set _ZN7rocprim17ROCPRIM_400000_NS6detail17trampoline_kernelINS0_13select_configILj256ELj13ELNS0_17block_load_methodE3ELS4_3ELS4_3ELNS0_20block_scan_algorithmE0ELj4294967295EEENS1_25partition_config_selectorILNS1_17partition_subalgoE3EjNS0_10empty_typeEbEEZZNS1_14partition_implILS8_3ELb0ES6_jNS0_17counting_iteratorIjlEEPS9_SE_NS0_5tupleIJPjSE_EEENSF_IJSE_SE_EEES9_SG_JZNS1_25segmented_radix_sort_implINS0_14default_configELb1EPKlPlSM_SN_N2at6native12_GLOBAL__N_18offset_tEEE10hipError_tPvRmT1_PNSt15iterator_traitsISV_E10value_typeET2_T3_PNSW_IS11_E10value_typeET4_jRbjT5_S17_jjP12ihipStream_tbEUljE_EEESS_ST_SU_S11_S15_S17_T6_T7_T9_mT8_S19_bDpT10_ENKUlT_T0_E_clISt17integral_constantIbLb0EES1L_IbLb1EEEEDaS1H_S1I_EUlS1H_E_NS1_11comp_targetILNS1_3genE10ELNS1_11target_archE1200ELNS1_3gpuE4ELNS1_3repE0EEENS1_30default_config_static_selectorELNS0_4arch9wavefront6targetE0EEEvSV_.has_recursion, 0
	.set _ZN7rocprim17ROCPRIM_400000_NS6detail17trampoline_kernelINS0_13select_configILj256ELj13ELNS0_17block_load_methodE3ELS4_3ELS4_3ELNS0_20block_scan_algorithmE0ELj4294967295EEENS1_25partition_config_selectorILNS1_17partition_subalgoE3EjNS0_10empty_typeEbEEZZNS1_14partition_implILS8_3ELb0ES6_jNS0_17counting_iteratorIjlEEPS9_SE_NS0_5tupleIJPjSE_EEENSF_IJSE_SE_EEES9_SG_JZNS1_25segmented_radix_sort_implINS0_14default_configELb1EPKlPlSM_SN_N2at6native12_GLOBAL__N_18offset_tEEE10hipError_tPvRmT1_PNSt15iterator_traitsISV_E10value_typeET2_T3_PNSW_IS11_E10value_typeET4_jRbjT5_S17_jjP12ihipStream_tbEUljE_EEESS_ST_SU_S11_S15_S17_T6_T7_T9_mT8_S19_bDpT10_ENKUlT_T0_E_clISt17integral_constantIbLb0EES1L_IbLb1EEEEDaS1H_S1I_EUlS1H_E_NS1_11comp_targetILNS1_3genE10ELNS1_11target_archE1200ELNS1_3gpuE4ELNS1_3repE0EEENS1_30default_config_static_selectorELNS0_4arch9wavefront6targetE0EEEvSV_.has_indirect_call, 0
	.section	.AMDGPU.csdata,"",@progbits
; Kernel info:
; codeLenInByte = 0
; TotalNumSgprs: 0
; NumVgprs: 0
; ScratchSize: 0
; MemoryBound: 0
; FloatMode: 240
; IeeeMode: 1
; LDSByteSize: 0 bytes/workgroup (compile time only)
; SGPRBlocks: 0
; VGPRBlocks: 0
; NumSGPRsForWavesPerEU: 1
; NumVGPRsForWavesPerEU: 1
; Occupancy: 16
; WaveLimiterHint : 0
; COMPUTE_PGM_RSRC2:SCRATCH_EN: 0
; COMPUTE_PGM_RSRC2:USER_SGPR: 6
; COMPUTE_PGM_RSRC2:TRAP_HANDLER: 0
; COMPUTE_PGM_RSRC2:TGID_X_EN: 1
; COMPUTE_PGM_RSRC2:TGID_Y_EN: 0
; COMPUTE_PGM_RSRC2:TGID_Z_EN: 0
; COMPUTE_PGM_RSRC2:TIDIG_COMP_CNT: 0
	.section	.text._ZN7rocprim17ROCPRIM_400000_NS6detail17trampoline_kernelINS0_13select_configILj256ELj13ELNS0_17block_load_methodE3ELS4_3ELS4_3ELNS0_20block_scan_algorithmE0ELj4294967295EEENS1_25partition_config_selectorILNS1_17partition_subalgoE3EjNS0_10empty_typeEbEEZZNS1_14partition_implILS8_3ELb0ES6_jNS0_17counting_iteratorIjlEEPS9_SE_NS0_5tupleIJPjSE_EEENSF_IJSE_SE_EEES9_SG_JZNS1_25segmented_radix_sort_implINS0_14default_configELb1EPKlPlSM_SN_N2at6native12_GLOBAL__N_18offset_tEEE10hipError_tPvRmT1_PNSt15iterator_traitsISV_E10value_typeET2_T3_PNSW_IS11_E10value_typeET4_jRbjT5_S17_jjP12ihipStream_tbEUljE_EEESS_ST_SU_S11_S15_S17_T6_T7_T9_mT8_S19_bDpT10_ENKUlT_T0_E_clISt17integral_constantIbLb0EES1L_IbLb1EEEEDaS1H_S1I_EUlS1H_E_NS1_11comp_targetILNS1_3genE9ELNS1_11target_archE1100ELNS1_3gpuE3ELNS1_3repE0EEENS1_30default_config_static_selectorELNS0_4arch9wavefront6targetE0EEEvSV_,"axG",@progbits,_ZN7rocprim17ROCPRIM_400000_NS6detail17trampoline_kernelINS0_13select_configILj256ELj13ELNS0_17block_load_methodE3ELS4_3ELS4_3ELNS0_20block_scan_algorithmE0ELj4294967295EEENS1_25partition_config_selectorILNS1_17partition_subalgoE3EjNS0_10empty_typeEbEEZZNS1_14partition_implILS8_3ELb0ES6_jNS0_17counting_iteratorIjlEEPS9_SE_NS0_5tupleIJPjSE_EEENSF_IJSE_SE_EEES9_SG_JZNS1_25segmented_radix_sort_implINS0_14default_configELb1EPKlPlSM_SN_N2at6native12_GLOBAL__N_18offset_tEEE10hipError_tPvRmT1_PNSt15iterator_traitsISV_E10value_typeET2_T3_PNSW_IS11_E10value_typeET4_jRbjT5_S17_jjP12ihipStream_tbEUljE_EEESS_ST_SU_S11_S15_S17_T6_T7_T9_mT8_S19_bDpT10_ENKUlT_T0_E_clISt17integral_constantIbLb0EES1L_IbLb1EEEEDaS1H_S1I_EUlS1H_E_NS1_11comp_targetILNS1_3genE9ELNS1_11target_archE1100ELNS1_3gpuE3ELNS1_3repE0EEENS1_30default_config_static_selectorELNS0_4arch9wavefront6targetE0EEEvSV_,comdat
	.globl	_ZN7rocprim17ROCPRIM_400000_NS6detail17trampoline_kernelINS0_13select_configILj256ELj13ELNS0_17block_load_methodE3ELS4_3ELS4_3ELNS0_20block_scan_algorithmE0ELj4294967295EEENS1_25partition_config_selectorILNS1_17partition_subalgoE3EjNS0_10empty_typeEbEEZZNS1_14partition_implILS8_3ELb0ES6_jNS0_17counting_iteratorIjlEEPS9_SE_NS0_5tupleIJPjSE_EEENSF_IJSE_SE_EEES9_SG_JZNS1_25segmented_radix_sort_implINS0_14default_configELb1EPKlPlSM_SN_N2at6native12_GLOBAL__N_18offset_tEEE10hipError_tPvRmT1_PNSt15iterator_traitsISV_E10value_typeET2_T3_PNSW_IS11_E10value_typeET4_jRbjT5_S17_jjP12ihipStream_tbEUljE_EEESS_ST_SU_S11_S15_S17_T6_T7_T9_mT8_S19_bDpT10_ENKUlT_T0_E_clISt17integral_constantIbLb0EES1L_IbLb1EEEEDaS1H_S1I_EUlS1H_E_NS1_11comp_targetILNS1_3genE9ELNS1_11target_archE1100ELNS1_3gpuE3ELNS1_3repE0EEENS1_30default_config_static_selectorELNS0_4arch9wavefront6targetE0EEEvSV_ ; -- Begin function _ZN7rocprim17ROCPRIM_400000_NS6detail17trampoline_kernelINS0_13select_configILj256ELj13ELNS0_17block_load_methodE3ELS4_3ELS4_3ELNS0_20block_scan_algorithmE0ELj4294967295EEENS1_25partition_config_selectorILNS1_17partition_subalgoE3EjNS0_10empty_typeEbEEZZNS1_14partition_implILS8_3ELb0ES6_jNS0_17counting_iteratorIjlEEPS9_SE_NS0_5tupleIJPjSE_EEENSF_IJSE_SE_EEES9_SG_JZNS1_25segmented_radix_sort_implINS0_14default_configELb1EPKlPlSM_SN_N2at6native12_GLOBAL__N_18offset_tEEE10hipError_tPvRmT1_PNSt15iterator_traitsISV_E10value_typeET2_T3_PNSW_IS11_E10value_typeET4_jRbjT5_S17_jjP12ihipStream_tbEUljE_EEESS_ST_SU_S11_S15_S17_T6_T7_T9_mT8_S19_bDpT10_ENKUlT_T0_E_clISt17integral_constantIbLb0EES1L_IbLb1EEEEDaS1H_S1I_EUlS1H_E_NS1_11comp_targetILNS1_3genE9ELNS1_11target_archE1100ELNS1_3gpuE3ELNS1_3repE0EEENS1_30default_config_static_selectorELNS0_4arch9wavefront6targetE0EEEvSV_
	.p2align	8
	.type	_ZN7rocprim17ROCPRIM_400000_NS6detail17trampoline_kernelINS0_13select_configILj256ELj13ELNS0_17block_load_methodE3ELS4_3ELS4_3ELNS0_20block_scan_algorithmE0ELj4294967295EEENS1_25partition_config_selectorILNS1_17partition_subalgoE3EjNS0_10empty_typeEbEEZZNS1_14partition_implILS8_3ELb0ES6_jNS0_17counting_iteratorIjlEEPS9_SE_NS0_5tupleIJPjSE_EEENSF_IJSE_SE_EEES9_SG_JZNS1_25segmented_radix_sort_implINS0_14default_configELb1EPKlPlSM_SN_N2at6native12_GLOBAL__N_18offset_tEEE10hipError_tPvRmT1_PNSt15iterator_traitsISV_E10value_typeET2_T3_PNSW_IS11_E10value_typeET4_jRbjT5_S17_jjP12ihipStream_tbEUljE_EEESS_ST_SU_S11_S15_S17_T6_T7_T9_mT8_S19_bDpT10_ENKUlT_T0_E_clISt17integral_constantIbLb0EES1L_IbLb1EEEEDaS1H_S1I_EUlS1H_E_NS1_11comp_targetILNS1_3genE9ELNS1_11target_archE1100ELNS1_3gpuE3ELNS1_3repE0EEENS1_30default_config_static_selectorELNS0_4arch9wavefront6targetE0EEEvSV_,@function
_ZN7rocprim17ROCPRIM_400000_NS6detail17trampoline_kernelINS0_13select_configILj256ELj13ELNS0_17block_load_methodE3ELS4_3ELS4_3ELNS0_20block_scan_algorithmE0ELj4294967295EEENS1_25partition_config_selectorILNS1_17partition_subalgoE3EjNS0_10empty_typeEbEEZZNS1_14partition_implILS8_3ELb0ES6_jNS0_17counting_iteratorIjlEEPS9_SE_NS0_5tupleIJPjSE_EEENSF_IJSE_SE_EEES9_SG_JZNS1_25segmented_radix_sort_implINS0_14default_configELb1EPKlPlSM_SN_N2at6native12_GLOBAL__N_18offset_tEEE10hipError_tPvRmT1_PNSt15iterator_traitsISV_E10value_typeET2_T3_PNSW_IS11_E10value_typeET4_jRbjT5_S17_jjP12ihipStream_tbEUljE_EEESS_ST_SU_S11_S15_S17_T6_T7_T9_mT8_S19_bDpT10_ENKUlT_T0_E_clISt17integral_constantIbLb0EES1L_IbLb1EEEEDaS1H_S1I_EUlS1H_E_NS1_11comp_targetILNS1_3genE9ELNS1_11target_archE1100ELNS1_3gpuE3ELNS1_3repE0EEENS1_30default_config_static_selectorELNS0_4arch9wavefront6targetE0EEEvSV_: ; @_ZN7rocprim17ROCPRIM_400000_NS6detail17trampoline_kernelINS0_13select_configILj256ELj13ELNS0_17block_load_methodE3ELS4_3ELS4_3ELNS0_20block_scan_algorithmE0ELj4294967295EEENS1_25partition_config_selectorILNS1_17partition_subalgoE3EjNS0_10empty_typeEbEEZZNS1_14partition_implILS8_3ELb0ES6_jNS0_17counting_iteratorIjlEEPS9_SE_NS0_5tupleIJPjSE_EEENSF_IJSE_SE_EEES9_SG_JZNS1_25segmented_radix_sort_implINS0_14default_configELb1EPKlPlSM_SN_N2at6native12_GLOBAL__N_18offset_tEEE10hipError_tPvRmT1_PNSt15iterator_traitsISV_E10value_typeET2_T3_PNSW_IS11_E10value_typeET4_jRbjT5_S17_jjP12ihipStream_tbEUljE_EEESS_ST_SU_S11_S15_S17_T6_T7_T9_mT8_S19_bDpT10_ENKUlT_T0_E_clISt17integral_constantIbLb0EES1L_IbLb1EEEEDaS1H_S1I_EUlS1H_E_NS1_11comp_targetILNS1_3genE9ELNS1_11target_archE1100ELNS1_3gpuE3ELNS1_3repE0EEENS1_30default_config_static_selectorELNS0_4arch9wavefront6targetE0EEEvSV_
; %bb.0:
	.section	.rodata,"a",@progbits
	.p2align	6, 0x0
	.amdhsa_kernel _ZN7rocprim17ROCPRIM_400000_NS6detail17trampoline_kernelINS0_13select_configILj256ELj13ELNS0_17block_load_methodE3ELS4_3ELS4_3ELNS0_20block_scan_algorithmE0ELj4294967295EEENS1_25partition_config_selectorILNS1_17partition_subalgoE3EjNS0_10empty_typeEbEEZZNS1_14partition_implILS8_3ELb0ES6_jNS0_17counting_iteratorIjlEEPS9_SE_NS0_5tupleIJPjSE_EEENSF_IJSE_SE_EEES9_SG_JZNS1_25segmented_radix_sort_implINS0_14default_configELb1EPKlPlSM_SN_N2at6native12_GLOBAL__N_18offset_tEEE10hipError_tPvRmT1_PNSt15iterator_traitsISV_E10value_typeET2_T3_PNSW_IS11_E10value_typeET4_jRbjT5_S17_jjP12ihipStream_tbEUljE_EEESS_ST_SU_S11_S15_S17_T6_T7_T9_mT8_S19_bDpT10_ENKUlT_T0_E_clISt17integral_constantIbLb0EES1L_IbLb1EEEEDaS1H_S1I_EUlS1H_E_NS1_11comp_targetILNS1_3genE9ELNS1_11target_archE1100ELNS1_3gpuE3ELNS1_3repE0EEENS1_30default_config_static_selectorELNS0_4arch9wavefront6targetE0EEEvSV_
		.amdhsa_group_segment_fixed_size 0
		.amdhsa_private_segment_fixed_size 0
		.amdhsa_kernarg_size 152
		.amdhsa_user_sgpr_count 6
		.amdhsa_user_sgpr_private_segment_buffer 1
		.amdhsa_user_sgpr_dispatch_ptr 0
		.amdhsa_user_sgpr_queue_ptr 0
		.amdhsa_user_sgpr_kernarg_segment_ptr 1
		.amdhsa_user_sgpr_dispatch_id 0
		.amdhsa_user_sgpr_flat_scratch_init 0
		.amdhsa_user_sgpr_private_segment_size 0
		.amdhsa_wavefront_size32 1
		.amdhsa_uses_dynamic_stack 0
		.amdhsa_system_sgpr_private_segment_wavefront_offset 0
		.amdhsa_system_sgpr_workgroup_id_x 1
		.amdhsa_system_sgpr_workgroup_id_y 0
		.amdhsa_system_sgpr_workgroup_id_z 0
		.amdhsa_system_sgpr_workgroup_info 0
		.amdhsa_system_vgpr_workitem_id 0
		.amdhsa_next_free_vgpr 1
		.amdhsa_next_free_sgpr 1
		.amdhsa_reserve_vcc 0
		.amdhsa_reserve_flat_scratch 0
		.amdhsa_float_round_mode_32 0
		.amdhsa_float_round_mode_16_64 0
		.amdhsa_float_denorm_mode_32 3
		.amdhsa_float_denorm_mode_16_64 3
		.amdhsa_dx10_clamp 1
		.amdhsa_ieee_mode 1
		.amdhsa_fp16_overflow 0
		.amdhsa_workgroup_processor_mode 1
		.amdhsa_memory_ordered 1
		.amdhsa_forward_progress 1
		.amdhsa_shared_vgpr_count 0
		.amdhsa_exception_fp_ieee_invalid_op 0
		.amdhsa_exception_fp_denorm_src 0
		.amdhsa_exception_fp_ieee_div_zero 0
		.amdhsa_exception_fp_ieee_overflow 0
		.amdhsa_exception_fp_ieee_underflow 0
		.amdhsa_exception_fp_ieee_inexact 0
		.amdhsa_exception_int_div_zero 0
	.end_amdhsa_kernel
	.section	.text._ZN7rocprim17ROCPRIM_400000_NS6detail17trampoline_kernelINS0_13select_configILj256ELj13ELNS0_17block_load_methodE3ELS4_3ELS4_3ELNS0_20block_scan_algorithmE0ELj4294967295EEENS1_25partition_config_selectorILNS1_17partition_subalgoE3EjNS0_10empty_typeEbEEZZNS1_14partition_implILS8_3ELb0ES6_jNS0_17counting_iteratorIjlEEPS9_SE_NS0_5tupleIJPjSE_EEENSF_IJSE_SE_EEES9_SG_JZNS1_25segmented_radix_sort_implINS0_14default_configELb1EPKlPlSM_SN_N2at6native12_GLOBAL__N_18offset_tEEE10hipError_tPvRmT1_PNSt15iterator_traitsISV_E10value_typeET2_T3_PNSW_IS11_E10value_typeET4_jRbjT5_S17_jjP12ihipStream_tbEUljE_EEESS_ST_SU_S11_S15_S17_T6_T7_T9_mT8_S19_bDpT10_ENKUlT_T0_E_clISt17integral_constantIbLb0EES1L_IbLb1EEEEDaS1H_S1I_EUlS1H_E_NS1_11comp_targetILNS1_3genE9ELNS1_11target_archE1100ELNS1_3gpuE3ELNS1_3repE0EEENS1_30default_config_static_selectorELNS0_4arch9wavefront6targetE0EEEvSV_,"axG",@progbits,_ZN7rocprim17ROCPRIM_400000_NS6detail17trampoline_kernelINS0_13select_configILj256ELj13ELNS0_17block_load_methodE3ELS4_3ELS4_3ELNS0_20block_scan_algorithmE0ELj4294967295EEENS1_25partition_config_selectorILNS1_17partition_subalgoE3EjNS0_10empty_typeEbEEZZNS1_14partition_implILS8_3ELb0ES6_jNS0_17counting_iteratorIjlEEPS9_SE_NS0_5tupleIJPjSE_EEENSF_IJSE_SE_EEES9_SG_JZNS1_25segmented_radix_sort_implINS0_14default_configELb1EPKlPlSM_SN_N2at6native12_GLOBAL__N_18offset_tEEE10hipError_tPvRmT1_PNSt15iterator_traitsISV_E10value_typeET2_T3_PNSW_IS11_E10value_typeET4_jRbjT5_S17_jjP12ihipStream_tbEUljE_EEESS_ST_SU_S11_S15_S17_T6_T7_T9_mT8_S19_bDpT10_ENKUlT_T0_E_clISt17integral_constantIbLb0EES1L_IbLb1EEEEDaS1H_S1I_EUlS1H_E_NS1_11comp_targetILNS1_3genE9ELNS1_11target_archE1100ELNS1_3gpuE3ELNS1_3repE0EEENS1_30default_config_static_selectorELNS0_4arch9wavefront6targetE0EEEvSV_,comdat
.Lfunc_end696:
	.size	_ZN7rocprim17ROCPRIM_400000_NS6detail17trampoline_kernelINS0_13select_configILj256ELj13ELNS0_17block_load_methodE3ELS4_3ELS4_3ELNS0_20block_scan_algorithmE0ELj4294967295EEENS1_25partition_config_selectorILNS1_17partition_subalgoE3EjNS0_10empty_typeEbEEZZNS1_14partition_implILS8_3ELb0ES6_jNS0_17counting_iteratorIjlEEPS9_SE_NS0_5tupleIJPjSE_EEENSF_IJSE_SE_EEES9_SG_JZNS1_25segmented_radix_sort_implINS0_14default_configELb1EPKlPlSM_SN_N2at6native12_GLOBAL__N_18offset_tEEE10hipError_tPvRmT1_PNSt15iterator_traitsISV_E10value_typeET2_T3_PNSW_IS11_E10value_typeET4_jRbjT5_S17_jjP12ihipStream_tbEUljE_EEESS_ST_SU_S11_S15_S17_T6_T7_T9_mT8_S19_bDpT10_ENKUlT_T0_E_clISt17integral_constantIbLb0EES1L_IbLb1EEEEDaS1H_S1I_EUlS1H_E_NS1_11comp_targetILNS1_3genE9ELNS1_11target_archE1100ELNS1_3gpuE3ELNS1_3repE0EEENS1_30default_config_static_selectorELNS0_4arch9wavefront6targetE0EEEvSV_, .Lfunc_end696-_ZN7rocprim17ROCPRIM_400000_NS6detail17trampoline_kernelINS0_13select_configILj256ELj13ELNS0_17block_load_methodE3ELS4_3ELS4_3ELNS0_20block_scan_algorithmE0ELj4294967295EEENS1_25partition_config_selectorILNS1_17partition_subalgoE3EjNS0_10empty_typeEbEEZZNS1_14partition_implILS8_3ELb0ES6_jNS0_17counting_iteratorIjlEEPS9_SE_NS0_5tupleIJPjSE_EEENSF_IJSE_SE_EEES9_SG_JZNS1_25segmented_radix_sort_implINS0_14default_configELb1EPKlPlSM_SN_N2at6native12_GLOBAL__N_18offset_tEEE10hipError_tPvRmT1_PNSt15iterator_traitsISV_E10value_typeET2_T3_PNSW_IS11_E10value_typeET4_jRbjT5_S17_jjP12ihipStream_tbEUljE_EEESS_ST_SU_S11_S15_S17_T6_T7_T9_mT8_S19_bDpT10_ENKUlT_T0_E_clISt17integral_constantIbLb0EES1L_IbLb1EEEEDaS1H_S1I_EUlS1H_E_NS1_11comp_targetILNS1_3genE9ELNS1_11target_archE1100ELNS1_3gpuE3ELNS1_3repE0EEENS1_30default_config_static_selectorELNS0_4arch9wavefront6targetE0EEEvSV_
                                        ; -- End function
	.set _ZN7rocprim17ROCPRIM_400000_NS6detail17trampoline_kernelINS0_13select_configILj256ELj13ELNS0_17block_load_methodE3ELS4_3ELS4_3ELNS0_20block_scan_algorithmE0ELj4294967295EEENS1_25partition_config_selectorILNS1_17partition_subalgoE3EjNS0_10empty_typeEbEEZZNS1_14partition_implILS8_3ELb0ES6_jNS0_17counting_iteratorIjlEEPS9_SE_NS0_5tupleIJPjSE_EEENSF_IJSE_SE_EEES9_SG_JZNS1_25segmented_radix_sort_implINS0_14default_configELb1EPKlPlSM_SN_N2at6native12_GLOBAL__N_18offset_tEEE10hipError_tPvRmT1_PNSt15iterator_traitsISV_E10value_typeET2_T3_PNSW_IS11_E10value_typeET4_jRbjT5_S17_jjP12ihipStream_tbEUljE_EEESS_ST_SU_S11_S15_S17_T6_T7_T9_mT8_S19_bDpT10_ENKUlT_T0_E_clISt17integral_constantIbLb0EES1L_IbLb1EEEEDaS1H_S1I_EUlS1H_E_NS1_11comp_targetILNS1_3genE9ELNS1_11target_archE1100ELNS1_3gpuE3ELNS1_3repE0EEENS1_30default_config_static_selectorELNS0_4arch9wavefront6targetE0EEEvSV_.num_vgpr, 0
	.set _ZN7rocprim17ROCPRIM_400000_NS6detail17trampoline_kernelINS0_13select_configILj256ELj13ELNS0_17block_load_methodE3ELS4_3ELS4_3ELNS0_20block_scan_algorithmE0ELj4294967295EEENS1_25partition_config_selectorILNS1_17partition_subalgoE3EjNS0_10empty_typeEbEEZZNS1_14partition_implILS8_3ELb0ES6_jNS0_17counting_iteratorIjlEEPS9_SE_NS0_5tupleIJPjSE_EEENSF_IJSE_SE_EEES9_SG_JZNS1_25segmented_radix_sort_implINS0_14default_configELb1EPKlPlSM_SN_N2at6native12_GLOBAL__N_18offset_tEEE10hipError_tPvRmT1_PNSt15iterator_traitsISV_E10value_typeET2_T3_PNSW_IS11_E10value_typeET4_jRbjT5_S17_jjP12ihipStream_tbEUljE_EEESS_ST_SU_S11_S15_S17_T6_T7_T9_mT8_S19_bDpT10_ENKUlT_T0_E_clISt17integral_constantIbLb0EES1L_IbLb1EEEEDaS1H_S1I_EUlS1H_E_NS1_11comp_targetILNS1_3genE9ELNS1_11target_archE1100ELNS1_3gpuE3ELNS1_3repE0EEENS1_30default_config_static_selectorELNS0_4arch9wavefront6targetE0EEEvSV_.num_agpr, 0
	.set _ZN7rocprim17ROCPRIM_400000_NS6detail17trampoline_kernelINS0_13select_configILj256ELj13ELNS0_17block_load_methodE3ELS4_3ELS4_3ELNS0_20block_scan_algorithmE0ELj4294967295EEENS1_25partition_config_selectorILNS1_17partition_subalgoE3EjNS0_10empty_typeEbEEZZNS1_14partition_implILS8_3ELb0ES6_jNS0_17counting_iteratorIjlEEPS9_SE_NS0_5tupleIJPjSE_EEENSF_IJSE_SE_EEES9_SG_JZNS1_25segmented_radix_sort_implINS0_14default_configELb1EPKlPlSM_SN_N2at6native12_GLOBAL__N_18offset_tEEE10hipError_tPvRmT1_PNSt15iterator_traitsISV_E10value_typeET2_T3_PNSW_IS11_E10value_typeET4_jRbjT5_S17_jjP12ihipStream_tbEUljE_EEESS_ST_SU_S11_S15_S17_T6_T7_T9_mT8_S19_bDpT10_ENKUlT_T0_E_clISt17integral_constantIbLb0EES1L_IbLb1EEEEDaS1H_S1I_EUlS1H_E_NS1_11comp_targetILNS1_3genE9ELNS1_11target_archE1100ELNS1_3gpuE3ELNS1_3repE0EEENS1_30default_config_static_selectorELNS0_4arch9wavefront6targetE0EEEvSV_.numbered_sgpr, 0
	.set _ZN7rocprim17ROCPRIM_400000_NS6detail17trampoline_kernelINS0_13select_configILj256ELj13ELNS0_17block_load_methodE3ELS4_3ELS4_3ELNS0_20block_scan_algorithmE0ELj4294967295EEENS1_25partition_config_selectorILNS1_17partition_subalgoE3EjNS0_10empty_typeEbEEZZNS1_14partition_implILS8_3ELb0ES6_jNS0_17counting_iteratorIjlEEPS9_SE_NS0_5tupleIJPjSE_EEENSF_IJSE_SE_EEES9_SG_JZNS1_25segmented_radix_sort_implINS0_14default_configELb1EPKlPlSM_SN_N2at6native12_GLOBAL__N_18offset_tEEE10hipError_tPvRmT1_PNSt15iterator_traitsISV_E10value_typeET2_T3_PNSW_IS11_E10value_typeET4_jRbjT5_S17_jjP12ihipStream_tbEUljE_EEESS_ST_SU_S11_S15_S17_T6_T7_T9_mT8_S19_bDpT10_ENKUlT_T0_E_clISt17integral_constantIbLb0EES1L_IbLb1EEEEDaS1H_S1I_EUlS1H_E_NS1_11comp_targetILNS1_3genE9ELNS1_11target_archE1100ELNS1_3gpuE3ELNS1_3repE0EEENS1_30default_config_static_selectorELNS0_4arch9wavefront6targetE0EEEvSV_.num_named_barrier, 0
	.set _ZN7rocprim17ROCPRIM_400000_NS6detail17trampoline_kernelINS0_13select_configILj256ELj13ELNS0_17block_load_methodE3ELS4_3ELS4_3ELNS0_20block_scan_algorithmE0ELj4294967295EEENS1_25partition_config_selectorILNS1_17partition_subalgoE3EjNS0_10empty_typeEbEEZZNS1_14partition_implILS8_3ELb0ES6_jNS0_17counting_iteratorIjlEEPS9_SE_NS0_5tupleIJPjSE_EEENSF_IJSE_SE_EEES9_SG_JZNS1_25segmented_radix_sort_implINS0_14default_configELb1EPKlPlSM_SN_N2at6native12_GLOBAL__N_18offset_tEEE10hipError_tPvRmT1_PNSt15iterator_traitsISV_E10value_typeET2_T3_PNSW_IS11_E10value_typeET4_jRbjT5_S17_jjP12ihipStream_tbEUljE_EEESS_ST_SU_S11_S15_S17_T6_T7_T9_mT8_S19_bDpT10_ENKUlT_T0_E_clISt17integral_constantIbLb0EES1L_IbLb1EEEEDaS1H_S1I_EUlS1H_E_NS1_11comp_targetILNS1_3genE9ELNS1_11target_archE1100ELNS1_3gpuE3ELNS1_3repE0EEENS1_30default_config_static_selectorELNS0_4arch9wavefront6targetE0EEEvSV_.private_seg_size, 0
	.set _ZN7rocprim17ROCPRIM_400000_NS6detail17trampoline_kernelINS0_13select_configILj256ELj13ELNS0_17block_load_methodE3ELS4_3ELS4_3ELNS0_20block_scan_algorithmE0ELj4294967295EEENS1_25partition_config_selectorILNS1_17partition_subalgoE3EjNS0_10empty_typeEbEEZZNS1_14partition_implILS8_3ELb0ES6_jNS0_17counting_iteratorIjlEEPS9_SE_NS0_5tupleIJPjSE_EEENSF_IJSE_SE_EEES9_SG_JZNS1_25segmented_radix_sort_implINS0_14default_configELb1EPKlPlSM_SN_N2at6native12_GLOBAL__N_18offset_tEEE10hipError_tPvRmT1_PNSt15iterator_traitsISV_E10value_typeET2_T3_PNSW_IS11_E10value_typeET4_jRbjT5_S17_jjP12ihipStream_tbEUljE_EEESS_ST_SU_S11_S15_S17_T6_T7_T9_mT8_S19_bDpT10_ENKUlT_T0_E_clISt17integral_constantIbLb0EES1L_IbLb1EEEEDaS1H_S1I_EUlS1H_E_NS1_11comp_targetILNS1_3genE9ELNS1_11target_archE1100ELNS1_3gpuE3ELNS1_3repE0EEENS1_30default_config_static_selectorELNS0_4arch9wavefront6targetE0EEEvSV_.uses_vcc, 0
	.set _ZN7rocprim17ROCPRIM_400000_NS6detail17trampoline_kernelINS0_13select_configILj256ELj13ELNS0_17block_load_methodE3ELS4_3ELS4_3ELNS0_20block_scan_algorithmE0ELj4294967295EEENS1_25partition_config_selectorILNS1_17partition_subalgoE3EjNS0_10empty_typeEbEEZZNS1_14partition_implILS8_3ELb0ES6_jNS0_17counting_iteratorIjlEEPS9_SE_NS0_5tupleIJPjSE_EEENSF_IJSE_SE_EEES9_SG_JZNS1_25segmented_radix_sort_implINS0_14default_configELb1EPKlPlSM_SN_N2at6native12_GLOBAL__N_18offset_tEEE10hipError_tPvRmT1_PNSt15iterator_traitsISV_E10value_typeET2_T3_PNSW_IS11_E10value_typeET4_jRbjT5_S17_jjP12ihipStream_tbEUljE_EEESS_ST_SU_S11_S15_S17_T6_T7_T9_mT8_S19_bDpT10_ENKUlT_T0_E_clISt17integral_constantIbLb0EES1L_IbLb1EEEEDaS1H_S1I_EUlS1H_E_NS1_11comp_targetILNS1_3genE9ELNS1_11target_archE1100ELNS1_3gpuE3ELNS1_3repE0EEENS1_30default_config_static_selectorELNS0_4arch9wavefront6targetE0EEEvSV_.uses_flat_scratch, 0
	.set _ZN7rocprim17ROCPRIM_400000_NS6detail17trampoline_kernelINS0_13select_configILj256ELj13ELNS0_17block_load_methodE3ELS4_3ELS4_3ELNS0_20block_scan_algorithmE0ELj4294967295EEENS1_25partition_config_selectorILNS1_17partition_subalgoE3EjNS0_10empty_typeEbEEZZNS1_14partition_implILS8_3ELb0ES6_jNS0_17counting_iteratorIjlEEPS9_SE_NS0_5tupleIJPjSE_EEENSF_IJSE_SE_EEES9_SG_JZNS1_25segmented_radix_sort_implINS0_14default_configELb1EPKlPlSM_SN_N2at6native12_GLOBAL__N_18offset_tEEE10hipError_tPvRmT1_PNSt15iterator_traitsISV_E10value_typeET2_T3_PNSW_IS11_E10value_typeET4_jRbjT5_S17_jjP12ihipStream_tbEUljE_EEESS_ST_SU_S11_S15_S17_T6_T7_T9_mT8_S19_bDpT10_ENKUlT_T0_E_clISt17integral_constantIbLb0EES1L_IbLb1EEEEDaS1H_S1I_EUlS1H_E_NS1_11comp_targetILNS1_3genE9ELNS1_11target_archE1100ELNS1_3gpuE3ELNS1_3repE0EEENS1_30default_config_static_selectorELNS0_4arch9wavefront6targetE0EEEvSV_.has_dyn_sized_stack, 0
	.set _ZN7rocprim17ROCPRIM_400000_NS6detail17trampoline_kernelINS0_13select_configILj256ELj13ELNS0_17block_load_methodE3ELS4_3ELS4_3ELNS0_20block_scan_algorithmE0ELj4294967295EEENS1_25partition_config_selectorILNS1_17partition_subalgoE3EjNS0_10empty_typeEbEEZZNS1_14partition_implILS8_3ELb0ES6_jNS0_17counting_iteratorIjlEEPS9_SE_NS0_5tupleIJPjSE_EEENSF_IJSE_SE_EEES9_SG_JZNS1_25segmented_radix_sort_implINS0_14default_configELb1EPKlPlSM_SN_N2at6native12_GLOBAL__N_18offset_tEEE10hipError_tPvRmT1_PNSt15iterator_traitsISV_E10value_typeET2_T3_PNSW_IS11_E10value_typeET4_jRbjT5_S17_jjP12ihipStream_tbEUljE_EEESS_ST_SU_S11_S15_S17_T6_T7_T9_mT8_S19_bDpT10_ENKUlT_T0_E_clISt17integral_constantIbLb0EES1L_IbLb1EEEEDaS1H_S1I_EUlS1H_E_NS1_11comp_targetILNS1_3genE9ELNS1_11target_archE1100ELNS1_3gpuE3ELNS1_3repE0EEENS1_30default_config_static_selectorELNS0_4arch9wavefront6targetE0EEEvSV_.has_recursion, 0
	.set _ZN7rocprim17ROCPRIM_400000_NS6detail17trampoline_kernelINS0_13select_configILj256ELj13ELNS0_17block_load_methodE3ELS4_3ELS4_3ELNS0_20block_scan_algorithmE0ELj4294967295EEENS1_25partition_config_selectorILNS1_17partition_subalgoE3EjNS0_10empty_typeEbEEZZNS1_14partition_implILS8_3ELb0ES6_jNS0_17counting_iteratorIjlEEPS9_SE_NS0_5tupleIJPjSE_EEENSF_IJSE_SE_EEES9_SG_JZNS1_25segmented_radix_sort_implINS0_14default_configELb1EPKlPlSM_SN_N2at6native12_GLOBAL__N_18offset_tEEE10hipError_tPvRmT1_PNSt15iterator_traitsISV_E10value_typeET2_T3_PNSW_IS11_E10value_typeET4_jRbjT5_S17_jjP12ihipStream_tbEUljE_EEESS_ST_SU_S11_S15_S17_T6_T7_T9_mT8_S19_bDpT10_ENKUlT_T0_E_clISt17integral_constantIbLb0EES1L_IbLb1EEEEDaS1H_S1I_EUlS1H_E_NS1_11comp_targetILNS1_3genE9ELNS1_11target_archE1100ELNS1_3gpuE3ELNS1_3repE0EEENS1_30default_config_static_selectorELNS0_4arch9wavefront6targetE0EEEvSV_.has_indirect_call, 0
	.section	.AMDGPU.csdata,"",@progbits
; Kernel info:
; codeLenInByte = 0
; TotalNumSgprs: 0
; NumVgprs: 0
; ScratchSize: 0
; MemoryBound: 0
; FloatMode: 240
; IeeeMode: 1
; LDSByteSize: 0 bytes/workgroup (compile time only)
; SGPRBlocks: 0
; VGPRBlocks: 0
; NumSGPRsForWavesPerEU: 1
; NumVGPRsForWavesPerEU: 1
; Occupancy: 16
; WaveLimiterHint : 0
; COMPUTE_PGM_RSRC2:SCRATCH_EN: 0
; COMPUTE_PGM_RSRC2:USER_SGPR: 6
; COMPUTE_PGM_RSRC2:TRAP_HANDLER: 0
; COMPUTE_PGM_RSRC2:TGID_X_EN: 1
; COMPUTE_PGM_RSRC2:TGID_Y_EN: 0
; COMPUTE_PGM_RSRC2:TGID_Z_EN: 0
; COMPUTE_PGM_RSRC2:TIDIG_COMP_CNT: 0
	.section	.text._ZN7rocprim17ROCPRIM_400000_NS6detail17trampoline_kernelINS0_13select_configILj256ELj13ELNS0_17block_load_methodE3ELS4_3ELS4_3ELNS0_20block_scan_algorithmE0ELj4294967295EEENS1_25partition_config_selectorILNS1_17partition_subalgoE3EjNS0_10empty_typeEbEEZZNS1_14partition_implILS8_3ELb0ES6_jNS0_17counting_iteratorIjlEEPS9_SE_NS0_5tupleIJPjSE_EEENSF_IJSE_SE_EEES9_SG_JZNS1_25segmented_radix_sort_implINS0_14default_configELb1EPKlPlSM_SN_N2at6native12_GLOBAL__N_18offset_tEEE10hipError_tPvRmT1_PNSt15iterator_traitsISV_E10value_typeET2_T3_PNSW_IS11_E10value_typeET4_jRbjT5_S17_jjP12ihipStream_tbEUljE_EEESS_ST_SU_S11_S15_S17_T6_T7_T9_mT8_S19_bDpT10_ENKUlT_T0_E_clISt17integral_constantIbLb0EES1L_IbLb1EEEEDaS1H_S1I_EUlS1H_E_NS1_11comp_targetILNS1_3genE8ELNS1_11target_archE1030ELNS1_3gpuE2ELNS1_3repE0EEENS1_30default_config_static_selectorELNS0_4arch9wavefront6targetE0EEEvSV_,"axG",@progbits,_ZN7rocprim17ROCPRIM_400000_NS6detail17trampoline_kernelINS0_13select_configILj256ELj13ELNS0_17block_load_methodE3ELS4_3ELS4_3ELNS0_20block_scan_algorithmE0ELj4294967295EEENS1_25partition_config_selectorILNS1_17partition_subalgoE3EjNS0_10empty_typeEbEEZZNS1_14partition_implILS8_3ELb0ES6_jNS0_17counting_iteratorIjlEEPS9_SE_NS0_5tupleIJPjSE_EEENSF_IJSE_SE_EEES9_SG_JZNS1_25segmented_radix_sort_implINS0_14default_configELb1EPKlPlSM_SN_N2at6native12_GLOBAL__N_18offset_tEEE10hipError_tPvRmT1_PNSt15iterator_traitsISV_E10value_typeET2_T3_PNSW_IS11_E10value_typeET4_jRbjT5_S17_jjP12ihipStream_tbEUljE_EEESS_ST_SU_S11_S15_S17_T6_T7_T9_mT8_S19_bDpT10_ENKUlT_T0_E_clISt17integral_constantIbLb0EES1L_IbLb1EEEEDaS1H_S1I_EUlS1H_E_NS1_11comp_targetILNS1_3genE8ELNS1_11target_archE1030ELNS1_3gpuE2ELNS1_3repE0EEENS1_30default_config_static_selectorELNS0_4arch9wavefront6targetE0EEEvSV_,comdat
	.globl	_ZN7rocprim17ROCPRIM_400000_NS6detail17trampoline_kernelINS0_13select_configILj256ELj13ELNS0_17block_load_methodE3ELS4_3ELS4_3ELNS0_20block_scan_algorithmE0ELj4294967295EEENS1_25partition_config_selectorILNS1_17partition_subalgoE3EjNS0_10empty_typeEbEEZZNS1_14partition_implILS8_3ELb0ES6_jNS0_17counting_iteratorIjlEEPS9_SE_NS0_5tupleIJPjSE_EEENSF_IJSE_SE_EEES9_SG_JZNS1_25segmented_radix_sort_implINS0_14default_configELb1EPKlPlSM_SN_N2at6native12_GLOBAL__N_18offset_tEEE10hipError_tPvRmT1_PNSt15iterator_traitsISV_E10value_typeET2_T3_PNSW_IS11_E10value_typeET4_jRbjT5_S17_jjP12ihipStream_tbEUljE_EEESS_ST_SU_S11_S15_S17_T6_T7_T9_mT8_S19_bDpT10_ENKUlT_T0_E_clISt17integral_constantIbLb0EES1L_IbLb1EEEEDaS1H_S1I_EUlS1H_E_NS1_11comp_targetILNS1_3genE8ELNS1_11target_archE1030ELNS1_3gpuE2ELNS1_3repE0EEENS1_30default_config_static_selectorELNS0_4arch9wavefront6targetE0EEEvSV_ ; -- Begin function _ZN7rocprim17ROCPRIM_400000_NS6detail17trampoline_kernelINS0_13select_configILj256ELj13ELNS0_17block_load_methodE3ELS4_3ELS4_3ELNS0_20block_scan_algorithmE0ELj4294967295EEENS1_25partition_config_selectorILNS1_17partition_subalgoE3EjNS0_10empty_typeEbEEZZNS1_14partition_implILS8_3ELb0ES6_jNS0_17counting_iteratorIjlEEPS9_SE_NS0_5tupleIJPjSE_EEENSF_IJSE_SE_EEES9_SG_JZNS1_25segmented_radix_sort_implINS0_14default_configELb1EPKlPlSM_SN_N2at6native12_GLOBAL__N_18offset_tEEE10hipError_tPvRmT1_PNSt15iterator_traitsISV_E10value_typeET2_T3_PNSW_IS11_E10value_typeET4_jRbjT5_S17_jjP12ihipStream_tbEUljE_EEESS_ST_SU_S11_S15_S17_T6_T7_T9_mT8_S19_bDpT10_ENKUlT_T0_E_clISt17integral_constantIbLb0EES1L_IbLb1EEEEDaS1H_S1I_EUlS1H_E_NS1_11comp_targetILNS1_3genE8ELNS1_11target_archE1030ELNS1_3gpuE2ELNS1_3repE0EEENS1_30default_config_static_selectorELNS0_4arch9wavefront6targetE0EEEvSV_
	.p2align	8
	.type	_ZN7rocprim17ROCPRIM_400000_NS6detail17trampoline_kernelINS0_13select_configILj256ELj13ELNS0_17block_load_methodE3ELS4_3ELS4_3ELNS0_20block_scan_algorithmE0ELj4294967295EEENS1_25partition_config_selectorILNS1_17partition_subalgoE3EjNS0_10empty_typeEbEEZZNS1_14partition_implILS8_3ELb0ES6_jNS0_17counting_iteratorIjlEEPS9_SE_NS0_5tupleIJPjSE_EEENSF_IJSE_SE_EEES9_SG_JZNS1_25segmented_radix_sort_implINS0_14default_configELb1EPKlPlSM_SN_N2at6native12_GLOBAL__N_18offset_tEEE10hipError_tPvRmT1_PNSt15iterator_traitsISV_E10value_typeET2_T3_PNSW_IS11_E10value_typeET4_jRbjT5_S17_jjP12ihipStream_tbEUljE_EEESS_ST_SU_S11_S15_S17_T6_T7_T9_mT8_S19_bDpT10_ENKUlT_T0_E_clISt17integral_constantIbLb0EES1L_IbLb1EEEEDaS1H_S1I_EUlS1H_E_NS1_11comp_targetILNS1_3genE8ELNS1_11target_archE1030ELNS1_3gpuE2ELNS1_3repE0EEENS1_30default_config_static_selectorELNS0_4arch9wavefront6targetE0EEEvSV_,@function
_ZN7rocprim17ROCPRIM_400000_NS6detail17trampoline_kernelINS0_13select_configILj256ELj13ELNS0_17block_load_methodE3ELS4_3ELS4_3ELNS0_20block_scan_algorithmE0ELj4294967295EEENS1_25partition_config_selectorILNS1_17partition_subalgoE3EjNS0_10empty_typeEbEEZZNS1_14partition_implILS8_3ELb0ES6_jNS0_17counting_iteratorIjlEEPS9_SE_NS0_5tupleIJPjSE_EEENSF_IJSE_SE_EEES9_SG_JZNS1_25segmented_radix_sort_implINS0_14default_configELb1EPKlPlSM_SN_N2at6native12_GLOBAL__N_18offset_tEEE10hipError_tPvRmT1_PNSt15iterator_traitsISV_E10value_typeET2_T3_PNSW_IS11_E10value_typeET4_jRbjT5_S17_jjP12ihipStream_tbEUljE_EEESS_ST_SU_S11_S15_S17_T6_T7_T9_mT8_S19_bDpT10_ENKUlT_T0_E_clISt17integral_constantIbLb0EES1L_IbLb1EEEEDaS1H_S1I_EUlS1H_E_NS1_11comp_targetILNS1_3genE8ELNS1_11target_archE1030ELNS1_3gpuE2ELNS1_3repE0EEENS1_30default_config_static_selectorELNS0_4arch9wavefront6targetE0EEEvSV_: ; @_ZN7rocprim17ROCPRIM_400000_NS6detail17trampoline_kernelINS0_13select_configILj256ELj13ELNS0_17block_load_methodE3ELS4_3ELS4_3ELNS0_20block_scan_algorithmE0ELj4294967295EEENS1_25partition_config_selectorILNS1_17partition_subalgoE3EjNS0_10empty_typeEbEEZZNS1_14partition_implILS8_3ELb0ES6_jNS0_17counting_iteratorIjlEEPS9_SE_NS0_5tupleIJPjSE_EEENSF_IJSE_SE_EEES9_SG_JZNS1_25segmented_radix_sort_implINS0_14default_configELb1EPKlPlSM_SN_N2at6native12_GLOBAL__N_18offset_tEEE10hipError_tPvRmT1_PNSt15iterator_traitsISV_E10value_typeET2_T3_PNSW_IS11_E10value_typeET4_jRbjT5_S17_jjP12ihipStream_tbEUljE_EEESS_ST_SU_S11_S15_S17_T6_T7_T9_mT8_S19_bDpT10_ENKUlT_T0_E_clISt17integral_constantIbLb0EES1L_IbLb1EEEEDaS1H_S1I_EUlS1H_E_NS1_11comp_targetILNS1_3genE8ELNS1_11target_archE1030ELNS1_3gpuE2ELNS1_3repE0EEENS1_30default_config_static_selectorELNS0_4arch9wavefront6targetE0EEEvSV_
; %bb.0:
	s_clause 0x6
	s_load_dwordx2 s[18:19], s[4:5], 0x10
	s_load_dwordx2 s[16:17], s[4:5], 0x28
	;; [unrolled: 1-line block ×3, first 2 shown]
	s_load_dwordx4 s[12:15], s[4:5], 0x48
	s_load_dword s2, s[4:5], 0x90
	s_load_dwordx2 s[22:23], s[4:5], 0x68
	s_load_dwordx4 s[8:11], s[4:5], 0x80
	v_cmp_eq_u32_e64 s0, 0, v0
	s_and_saveexec_b32 s1, s0
	s_cbranch_execz .LBB697_4
; %bb.1:
	s_mov_b32 s6, exec_lo
	s_mov_b32 s3, exec_lo
	v_mbcnt_lo_u32_b32 v1, s6, 0
                                        ; implicit-def: $vgpr2
	v_cmpx_eq_u32_e32 0, v1
	s_cbranch_execz .LBB697_3
; %bb.2:
	s_load_dwordx2 s[24:25], s[4:5], 0x78
	s_bcnt1_i32_b32 s6, s6
	v_mov_b32_e32 v2, 0
	v_mov_b32_e32 v3, s6
	s_waitcnt lgkmcnt(0)
	global_atomic_add v2, v2, v3, s[24:25] glc
.LBB697_3:
	s_or_b32 exec_lo, exec_lo, s3
	s_waitcnt vmcnt(0)
	v_readfirstlane_b32 s3, v2
	v_mov_b32_e32 v2, 0
	v_add_nc_u32_e32 v1, s3, v1
	ds_write_b32 v2, v1
.LBB697_4:
	s_or_b32 exec_lo, exec_lo, s1
	v_mov_b32_e32 v1, 0
	s_clause 0x1
	s_load_dword s3, s[4:5], 0x8
	s_load_dword s1, s[4:5], 0x70
	s_waitcnt lgkmcnt(0)
	s_barrier
	buffer_gl0_inv
	ds_read_b32 v2, v1
	s_waitcnt lgkmcnt(0)
	s_barrier
	buffer_gl0_inv
	global_load_dwordx2 v[18:19], v1, s[14:15]
	v_lshlrev_b32_e32 v44, 2, v0
	s_add_i32 s4, s3, s18
	s_mul_i32 s5, s1, 0xd00
	s_add_i32 s1, s1, -1
	s_add_i32 s3, s5, s18
	s_sub_i32 s15, s20, s3
	v_readfirstlane_b32 s25, v2
	s_addk_i32 s15, 0xd00
	s_add_u32 s6, s18, s5
	s_addc_u32 s7, s19, 0
	v_cmp_ne_u32_e32 vcc_lo, s1, v2
	v_cmp_gt_u64_e64 s3, s[20:21], s[6:7]
	s_cmp_eq_u32 s25, s1
	s_mul_i32 s24, s25, 0xd00
	s_cselect_b32 s14, -1, 0
	s_mov_b32 s5, -1
	s_or_b32 s3, s3, vcc_lo
	s_and_b32 vcc_lo, exec_lo, s3
	s_cbranch_vccz .LBB697_6
; %bb.5:
	v_add3_u32 v1, s24, s4, v0
	s_mov_b32 s5, 0
	v_add_nc_u32_e32 v2, 0x100, v1
	v_add_nc_u32_e32 v3, 0x200, v1
	;; [unrolled: 1-line block ×12, first 2 shown]
	ds_write2st64_b32 v44, v1, v2 offset1:4
	ds_write2st64_b32 v44, v3, v4 offset0:8 offset1:12
	ds_write2st64_b32 v44, v5, v6 offset0:16 offset1:20
	;; [unrolled: 1-line block ×5, first 2 shown]
	ds_write_b32 v44, v13 offset:12288
	s_waitcnt vmcnt(0) lgkmcnt(0)
	s_barrier
.LBB697_6:
	v_cmp_gt_u32_e64 s1, s15, v0
	v_or_b32_e32 v43, 0x100, v0
	v_or_b32_e32 v42, 0x200, v0
	v_or_b32_e32 v41, 0x300, v0
	v_or_b32_e32 v40, 0x400, v0
	v_or_b32_e32 v39, 0x500, v0
	v_or_b32_e32 v38, 0x600, v0
	v_or_b32_e32 v37, 0x700, v0
	v_or_b32_e32 v36, 0x800, v0
	v_or_b32_e32 v35, 0x900, v0
	v_or_b32_e32 v34, 0xa00, v0
	v_or_b32_e32 v33, 0xb00, v0
	v_or_b32_e32 v32, 0xc00, v0
	s_andn2_b32 vcc_lo, exec_lo, s5
	s_cbranch_vccnz .LBB697_8
; %bb.7:
	s_add_i32 s4, s24, s4
	v_cmp_gt_u32_e32 vcc_lo, s15, v43
	v_add_nc_u32_e32 v2, s4, v43
	v_add_nc_u32_e32 v3, s4, v42
	;; [unrolled: 1-line block ×5, first 2 shown]
	v_cndmask_b32_e32 v2, 0, v2, vcc_lo
	v_cmp_gt_u32_e32 vcc_lo, s15, v42
	v_add_nc_u32_e32 v7, s4, v38
	v_add_nc_u32_e32 v8, s4, v37
	v_add_nc_u32_e32 v9, s4, v36
	v_add_nc_u32_e32 v10, s4, v35
	v_cndmask_b32_e32 v3, 0, v3, vcc_lo
	v_cmp_gt_u32_e32 vcc_lo, s15, v41
	v_add_nc_u32_e32 v11, s4, v34
	v_add_nc_u32_e32 v1, s4, v0
	;; [unrolled: 1-line block ×4, first 2 shown]
	v_cndmask_b32_e32 v4, 0, v4, vcc_lo
	v_cmp_gt_u32_e32 vcc_lo, s15, v40
	v_cndmask_b32_e64 v1, 0, v1, s1
	v_cndmask_b32_e32 v5, 0, v5, vcc_lo
	v_cmp_gt_u32_e32 vcc_lo, s15, v39
	v_cndmask_b32_e32 v6, 0, v6, vcc_lo
	v_cmp_gt_u32_e32 vcc_lo, s15, v38
	v_cndmask_b32_e32 v7, 0, v7, vcc_lo
	v_cmp_gt_u32_e32 vcc_lo, s15, v37
	v_cndmask_b32_e32 v8, 0, v8, vcc_lo
	v_cmp_gt_u32_e32 vcc_lo, s15, v36
	v_cndmask_b32_e32 v9, 0, v9, vcc_lo
	v_cmp_gt_u32_e32 vcc_lo, s15, v35
	v_cndmask_b32_e32 v10, 0, v10, vcc_lo
	v_cmp_gt_u32_e32 vcc_lo, s15, v34
	v_cndmask_b32_e32 v11, 0, v11, vcc_lo
	v_cmp_gt_u32_e32 vcc_lo, s15, v33
	v_cndmask_b32_e32 v12, 0, v12, vcc_lo
	v_cmp_gt_u32_e32 vcc_lo, s15, v32
	v_cndmask_b32_e32 v13, 0, v13, vcc_lo
	ds_write2st64_b32 v44, v1, v2 offset1:4
	ds_write2st64_b32 v44, v3, v4 offset0:8 offset1:12
	ds_write2st64_b32 v44, v5, v6 offset0:16 offset1:20
	ds_write2st64_b32 v44, v7, v8 offset0:24 offset1:28
	ds_write2st64_b32 v44, v9, v10 offset0:32 offset1:36
	ds_write2st64_b32 v44, v11, v12 offset0:40 offset1:44
	ds_write_b32 v44, v13 offset:12288
	s_waitcnt vmcnt(0) lgkmcnt(0)
	s_barrier
.LBB697_8:
	v_mul_u32_u24_e32 v47, 13, v0
	s_waitcnt vmcnt(0)
	buffer_gl0_inv
	v_cndmask_b32_e64 v45, 0, 1, s3
	s_andn2_b32 vcc_lo, exec_lo, s3
	v_lshlrev_b32_e32 v1, 2, v47
	ds_read2_b32 v[28:29], v1 offset0:2 offset1:3
	ds_read2_b32 v[24:25], v1 offset0:6 offset1:7
	ds_read2_b32 v[26:27], v1 offset0:4 offset1:5
	ds_read2_b32 v[30:31], v1 offset1:1
	ds_read2_b32 v[20:21], v1 offset0:10 offset1:11
	ds_read_b32 v46, v1 offset:48
	ds_read2_b32 v[22:23], v1 offset0:8 offset1:9
	s_waitcnt lgkmcnt(0)
	s_barrier
	buffer_gl0_inv
	s_cbranch_vccnz .LBB697_10
; %bb.9:
	v_add_nc_u32_e32 v1, s9, v29
	v_add_nc_u32_e32 v4, s9, v28
	;; [unrolled: 1-line block ×6, first 2 shown]
	v_mul_lo_u32 v4, v4, s8
	v_mul_lo_u32 v1, v1, s8
	;; [unrolled: 1-line block ×4, first 2 shown]
	v_add_nc_u32_e32 v3, s9, v30
	v_add_nc_u32_e32 v7, s11, v30
	v_mul_lo_u32 v2, v2, s8
	v_mul_lo_u32 v6, v6, s10
	v_add_nc_u32_e32 v10, s11, v27
	v_mul_lo_u32 v3, v3, s8
	v_mul_lo_u32 v7, v7, s10
	v_sub_nc_u32_e32 v1, v1, v5
	v_sub_nc_u32_e32 v4, v4, v8
	v_add_nc_u32_e32 v5, s9, v25
	v_add_nc_u32_e32 v8, s11, v25
	v_sub_nc_u32_e32 v2, v2, v6
	v_add_nc_u32_e32 v6, s9, v27
	v_add_nc_u32_e32 v9, s9, v24
	v_mul_lo_u32 v5, v5, s8
	v_mul_lo_u32 v8, v8, s10
	v_sub_nc_u32_e32 v3, v3, v7
	v_add_nc_u32_e32 v7, s9, v26
	v_add_nc_u32_e32 v11, s11, v24
	v_mul_lo_u32 v6, v6, s8
	v_mul_lo_u32 v10, v10, s10
	v_add_nc_u32_e32 v12, s11, v26
	v_mul_lo_u32 v9, v9, s8
	v_mul_lo_u32 v7, v7, s8
	;; [unrolled: 1-line block ×3, first 2 shown]
	v_sub_nc_u32_e32 v5, v5, v8
	v_mul_lo_u32 v8, v12, s10
	v_cmp_lt_u32_e32 vcc_lo, s2, v1
	v_sub_nc_u32_e32 v6, v6, v10
	v_add_nc_u32_e32 v10, s9, v21
	v_add_nc_u32_e32 v14, s11, v21
	;; [unrolled: 1-line block ×3, first 2 shown]
	v_cndmask_b32_e64 v1, 0, 1, vcc_lo
	v_cmp_lt_u32_e32 vcc_lo, s2, v2
	v_sub_nc_u32_e32 v7, v7, v8
	v_sub_nc_u32_e32 v8, v9, v11
	v_add_nc_u32_e32 v11, s9, v23
	v_mul_lo_u32 v10, v10, s8
	v_mul_lo_u32 v14, v14, s10
	v_cndmask_b32_e64 v2, 0, 1, vcc_lo
	v_cmp_lt_u32_e32 vcc_lo, s2, v5
	v_mul_lo_u32 v11, v11, s8
	v_mul_lo_u32 v15, v15, s10
	v_mov_b32_e32 v9, 8
	v_lshlrev_b16 v2, 8, v2
	v_cndmask_b32_e64 v5, 0, 1, vcc_lo
	v_cmp_lt_u32_e32 vcc_lo, s2, v6
	v_sub_nc_u32_e32 v10, v10, v14
	v_add_nc_u32_e32 v12, s9, v22
	v_add_nc_u32_e32 v16, s11, v22
	v_sub_nc_u32_e32 v11, v11, v15
	v_cndmask_b32_e64 v6, 0, 1, vcc_lo
	v_cmp_lt_u32_e32 vcc_lo, s2, v10
	v_lshrrev_b32_sdwa v2, v9, v2 dst_sel:BYTE_1 dst_unused:UNUSED_PAD src0_sel:DWORD src1_sel:DWORD
	v_add_nc_u32_e32 v13, s9, v20
	v_add_nc_u32_e32 v17, s11, v20
	v_mul_lo_u32 v12, v12, s8
	v_cndmask_b32_e64 v10, 0, 1, vcc_lo
	v_cmp_lt_u32_e32 vcc_lo, s2, v11
	v_mul_lo_u32 v16, v16, s10
	v_mul_lo_u32 v13, v13, s8
	;; [unrolled: 1-line block ×3, first 2 shown]
	v_add_nc_u32_e32 v14, s9, v46
	v_cndmask_b32_e64 v11, 0, 1, vcc_lo
	v_cmp_lt_u32_e32 vcc_lo, s2, v3
	v_add_nc_u32_e32 v15, s11, v46
	v_lshlrev_b16 v1, 8, v1
	v_sub_nc_u32_e32 v12, v12, v16
	v_lshlrev_b16 v11, 8, v11
	v_cndmask_b32_e64 v3, 0, 1, vcc_lo
	v_cmp_lt_u32_e32 vcc_lo, s2, v4
	v_sub_nc_u32_e32 v13, v13, v17
	v_mul_lo_u32 v14, v14, s8
	v_mul_lo_u32 v15, v15, s10
	v_or_b32_e32 v2, v3, v2
	v_cndmask_b32_e64 v3, 0, 1, vcc_lo
	v_cmp_lt_u32_e32 vcc_lo, s2, v7
	v_lshlrev_b16 v6, 8, v6
	v_lshlrev_b16 v10, 8, v10
	;; [unrolled: 1-line block ×3, first 2 shown]
	v_lshrrev_b32_sdwa v1, v9, v1 dst_sel:BYTE_1 dst_unused:UNUSED_PAD src0_sel:DWORD src1_sel:DWORD
	v_cndmask_b32_e64 v4, 0, 1, vcc_lo
	v_cmp_lt_u32_e32 vcc_lo, s2, v8
	v_lshrrev_b32_sdwa v8, v9, v11 dst_sel:BYTE_1 dst_unused:UNUSED_PAD src0_sel:DWORD src1_sel:DWORD
	v_lshrrev_b32_sdwa v6, v9, v6 dst_sel:BYTE_1 dst_unused:UNUSED_PAD src0_sel:DWORD src1_sel:DWORD
	v_sub_nc_u32_e32 v14, v14, v15
	v_lshrrev_b32_sdwa v9, v9, v10 dst_sel:BYTE_1 dst_unused:UNUSED_PAD src0_sel:DWORD src1_sel:DWORD
	v_cndmask_b32_e64 v7, 0, 1, vcc_lo
	v_cmp_lt_u32_e32 vcc_lo, s2, v12
	v_or_b32_sdwa v1, v3, v1 dst_sel:WORD_1 dst_unused:UNUSED_PAD src0_sel:DWORD src1_sel:DWORD
	v_or_b32_e32 v3, v4, v6
	v_or_b32_sdwa v4, v7, v5 dst_sel:WORD_1 dst_unused:UNUSED_PAD src0_sel:DWORD src1_sel:DWORD
	v_cndmask_b32_e64 v11, 0, 1, vcc_lo
	v_cmp_lt_u32_e32 vcc_lo, s2, v13
	v_or_b32_sdwa v52, v2, v1 dst_sel:DWORD dst_unused:UNUSED_PAD src0_sel:WORD_0 src1_sel:DWORD
	v_or_b32_sdwa v50, v3, v4 dst_sel:DWORD dst_unused:UNUSED_PAD src0_sel:WORD_0 src1_sel:DWORD
	v_or_b32_e32 v5, v11, v8
	v_cndmask_b32_e64 v10, 0, 1, vcc_lo
	v_cmp_lt_u32_e32 vcc_lo, s2, v14
	v_or_b32_sdwa v6, v10, v9 dst_sel:WORD_1 dst_unused:UNUSED_PAD src0_sel:DWORD src1_sel:DWORD
	v_cndmask_b32_e64 v48, 0, 1, vcc_lo
	v_or_b32_sdwa v49, v5, v6 dst_sel:DWORD dst_unused:UNUSED_PAD src0_sel:WORD_0 src1_sel:DWORD
	s_cbranch_execz .LBB697_11
	s_branch .LBB697_38
.LBB697_10:
                                        ; implicit-def: $vgpr48
                                        ; implicit-def: $vgpr49
                                        ; implicit-def: $vgpr50
                                        ; implicit-def: $vgpr52
.LBB697_11:
	v_mov_b32_e32 v2, 0
	v_mov_b32_e32 v1, 0
	s_mov_b32 s1, exec_lo
	v_cmpx_gt_u32_e64 s15, v47
	s_cbranch_execz .LBB697_13
; %bb.12:
	v_add_nc_u32_e32 v1, s9, v30
	v_add_nc_u32_e32 v3, s11, v30
	v_mul_lo_u32 v1, v1, s8
	v_mul_lo_u32 v3, v3, s10
	v_sub_nc_u32_e32 v1, v1, v3
	v_cmp_lt_u32_e32 vcc_lo, s2, v1
	v_cndmask_b32_e64 v1, 0, 1, vcc_lo
.LBB697_13:
	s_or_b32 exec_lo, exec_lo, s1
	v_add_nc_u32_e32 v3, 1, v47
	s_mov_b32 s1, exec_lo
	v_cmpx_gt_u32_e64 s15, v3
	s_cbranch_execz .LBB697_15
; %bb.14:
	v_add_nc_u32_e32 v2, s9, v31
	v_add_nc_u32_e32 v3, s11, v31
	v_mul_lo_u32 v2, v2, s8
	v_mul_lo_u32 v3, v3, s10
	v_sub_nc_u32_e32 v2, v2, v3
	v_cmp_lt_u32_e32 vcc_lo, s2, v2
	v_cndmask_b32_e64 v2, 0, 1, vcc_lo
.LBB697_15:
	s_or_b32 exec_lo, exec_lo, s1
	v_add_nc_u32_e32 v3, 2, v47
	v_mov_b32_e32 v4, 0
	v_cmp_gt_u32_e32 vcc_lo, s15, v3
	v_mov_b32_e32 v3, 0
	s_and_saveexec_b32 s1, vcc_lo
	s_cbranch_execz .LBB697_17
; %bb.16:
	v_add_nc_u32_e32 v3, s9, v28
	v_add_nc_u32_e32 v5, s11, v28
	v_mul_lo_u32 v3, v3, s8
	v_mul_lo_u32 v5, v5, s10
	v_sub_nc_u32_e32 v3, v3, v5
	v_cmp_lt_u32_e32 vcc_lo, s2, v3
	v_cndmask_b32_e64 v3, 0, 1, vcc_lo
.LBB697_17:
	s_or_b32 exec_lo, exec_lo, s1
	v_add_nc_u32_e32 v5, 3, v47
	s_mov_b32 s1, exec_lo
	v_cmpx_gt_u32_e64 s15, v5
	s_cbranch_execz .LBB697_19
; %bb.18:
	v_add_nc_u32_e32 v4, s9, v29
	v_add_nc_u32_e32 v5, s11, v29
	v_mul_lo_u32 v4, v4, s8
	v_mul_lo_u32 v5, v5, s10
	v_sub_nc_u32_e32 v4, v4, v5
	v_cmp_lt_u32_e32 vcc_lo, s2, v4
	v_cndmask_b32_e64 v4, 0, 1, vcc_lo
.LBB697_19:
	s_or_b32 exec_lo, exec_lo, s1
	v_add_nc_u32_e32 v5, 4, v47
	v_mov_b32_e32 v6, 0
	v_cmp_gt_u32_e32 vcc_lo, s15, v5
	v_mov_b32_e32 v5, 0
	s_and_saveexec_b32 s1, vcc_lo
	;; [unrolled: 30-line block ×5, first 2 shown]
	s_cbranch_execz .LBB697_33
; %bb.32:
	v_add_nc_u32_e32 v11, s9, v20
	v_add_nc_u32_e32 v13, s11, v20
	v_mul_lo_u32 v11, v11, s8
	v_mul_lo_u32 v13, v13, s10
	v_sub_nc_u32_e32 v11, v11, v13
	v_cmp_lt_u32_e32 vcc_lo, s2, v11
	v_cndmask_b32_e64 v11, 0, 1, vcc_lo
.LBB697_33:
	s_or_b32 exec_lo, exec_lo, s1
	v_add_nc_u32_e32 v13, 11, v47
	s_mov_b32 s1, exec_lo
	v_cmpx_gt_u32_e64 s15, v13
	s_cbranch_execz .LBB697_35
; %bb.34:
	v_add_nc_u32_e32 v12, s9, v21
	v_add_nc_u32_e32 v13, s11, v21
	v_mul_lo_u32 v12, v12, s8
	v_mul_lo_u32 v13, v13, s10
	v_sub_nc_u32_e32 v12, v12, v13
	v_cmp_lt_u32_e32 vcc_lo, s2, v12
	v_cndmask_b32_e64 v12, 0, 1, vcc_lo
.LBB697_35:
	s_or_b32 exec_lo, exec_lo, s1
	v_add_nc_u32_e32 v13, 12, v47
	v_mov_b32_e32 v48, 0
	s_mov_b32 s1, exec_lo
	v_cmpx_gt_u32_e64 s15, v13
	s_cbranch_execz .LBB697_37
; %bb.36:
	v_add_nc_u32_e32 v13, s9, v46
	v_add_nc_u32_e32 v14, s11, v46
	v_mul_lo_u32 v13, v13, s8
	v_mul_lo_u32 v14, v14, s10
	v_sub_nc_u32_e32 v13, v13, v14
	v_cmp_lt_u32_e32 vcc_lo, s2, v13
	v_cndmask_b32_e64 v48, 0, 1, vcc_lo
.LBB697_37:
	s_or_b32 exec_lo, exec_lo, s1
	v_lshlrev_b16 v2, 8, v2
	v_lshlrev_b16 v4, 8, v4
	;; [unrolled: 1-line block ×5, first 2 shown]
	v_or_b32_e32 v1, v1, v2
	v_lshlrev_b16 v2, 8, v12
	v_or_b32_sdwa v3, v3, v4 dst_sel:WORD_1 dst_unused:UNUSED_PAD src0_sel:DWORD src1_sel:DWORD
	v_or_b32_e32 v4, v5, v6
	v_or_b32_sdwa v5, v7, v8 dst_sel:WORD_1 dst_unused:UNUSED_PAD src0_sel:DWORD src1_sel:DWORD
	v_or_b32_e32 v6, v9, v10
	v_or_b32_sdwa v2, v11, v2 dst_sel:WORD_1 dst_unused:UNUSED_PAD src0_sel:DWORD src1_sel:DWORD
	v_or_b32_sdwa v52, v1, v3 dst_sel:DWORD dst_unused:UNUSED_PAD src0_sel:WORD_0 src1_sel:DWORD
	v_or_b32_sdwa v50, v4, v5 dst_sel:DWORD dst_unused:UNUSED_PAD src0_sel:WORD_0 src1_sel:DWORD
	;; [unrolled: 1-line block ×3, first 2 shown]
.LBB697_38:
	v_and_b32_e32 v55, 0xff, v52
	v_bfe_u32 v56, v52, 8, 8
	v_bfe_u32 v57, v52, 16, 8
	v_lshrrev_b32_e32 v54, 24, v52
	v_and_b32_e32 v58, 0xff, v50
	v_bfe_u32 v59, v50, 8, 8
	v_bfe_u32 v60, v50, 16, 8
	v_add3_u32 v1, v56, v55, v57
	v_lshrrev_b32_e32 v53, 24, v50
	v_and_b32_e32 v61, 0xff, v49
	v_bfe_u32 v62, v49, 8, 8
	v_mbcnt_lo_u32_b32 v64, -1, 0
	v_add3_u32 v1, v1, v54, v58
	v_bfe_u32 v63, v49, 16, 8
	v_lshrrev_b32_e32 v51, 24, v49
	v_and_b32_e32 v2, 0xff, v48
	v_and_b32_e32 v3, 15, v64
	v_add3_u32 v1, v1, v59, v60
	v_or_b32_e32 v4, 31, v0
	v_and_b32_e32 v5, 16, v64
	v_lshrrev_b32_e32 v65, 5, v0
	v_cmp_eq_u32_e64 s6, 0, v3
	v_add3_u32 v1, v1, v53, v61
	v_cmp_lt_u32_e64 s5, 1, v3
	v_cmp_lt_u32_e64 s4, 3, v3
	;; [unrolled: 1-line block ×3, first 2 shown]
	v_cmp_eq_u32_e64 s2, 0, v5
	v_add3_u32 v1, v1, v62, v63
	v_cmp_eq_u32_e64 s1, v0, v4
	s_cmp_lg_u32 s25, 0
	s_mov_b32 s7, -1
	v_add3_u32 v66, v1, v51, v2
	s_cbranch_scc0 .LBB697_60
; %bb.39:
	v_mov_b32_dpp v1, v66 row_shr:1 row_mask:0xf bank_mask:0xf
	v_cndmask_b32_e64 v1, v1, 0, s6
	v_add_nc_u32_e32 v1, v1, v66
	v_mov_b32_dpp v2, v1 row_shr:2 row_mask:0xf bank_mask:0xf
	v_cndmask_b32_e64 v2, 0, v2, s5
	v_add_nc_u32_e32 v1, v1, v2
	;; [unrolled: 3-line block ×4, first 2 shown]
	ds_swizzle_b32 v2, v1 offset:swizzle(BROADCAST,32,15)
	s_waitcnt lgkmcnt(0)
	v_cndmask_b32_e64 v2, v2, 0, s2
	v_add_nc_u32_e32 v1, v1, v2
	s_and_saveexec_b32 s7, s1
; %bb.40:
	v_lshlrev_b32_e32 v2, 2, v65
	ds_write_b32 v2, v1
; %bb.41:
	s_or_b32 exec_lo, exec_lo, s7
	s_mov_b32 s7, exec_lo
	s_waitcnt lgkmcnt(0)
	s_barrier
	buffer_gl0_inv
	v_cmpx_gt_u32_e32 8, v0
	s_cbranch_execz .LBB697_43
; %bb.42:
	ds_read_b32 v2, v44
	v_and_b32_e32 v3, 7, v64
	v_cmp_ne_u32_e32 vcc_lo, 0, v3
	s_waitcnt lgkmcnt(0)
	v_mov_b32_dpp v4, v2 row_shr:1 row_mask:0xf bank_mask:0xf
	v_cndmask_b32_e32 v4, 0, v4, vcc_lo
	v_cmp_lt_u32_e32 vcc_lo, 1, v3
	v_add_nc_u32_e32 v2, v4, v2
	v_mov_b32_dpp v4, v2 row_shr:2 row_mask:0xf bank_mask:0xf
	v_cndmask_b32_e32 v4, 0, v4, vcc_lo
	v_cmp_lt_u32_e32 vcc_lo, 3, v3
	v_add_nc_u32_e32 v2, v2, v4
	v_mov_b32_dpp v4, v2 row_shr:4 row_mask:0xf bank_mask:0xf
	v_cndmask_b32_e32 v3, 0, v4, vcc_lo
	v_add_nc_u32_e32 v2, v2, v3
	ds_write_b32 v44, v2
.LBB697_43:
	s_or_b32 exec_lo, exec_lo, s7
	s_mov_b32 s8, exec_lo
	v_cmp_gt_u32_e32 vcc_lo, 32, v0
	s_waitcnt lgkmcnt(0)
	s_barrier
	buffer_gl0_inv
                                        ; implicit-def: $vgpr10
	v_cmpx_lt_u32_e32 31, v0
	s_cbranch_execz .LBB697_45
; %bb.44:
	v_lshl_add_u32 v2, v65, 2, -4
	ds_read_b32 v10, v2
	s_waitcnt lgkmcnt(0)
	v_add_nc_u32_e32 v1, v10, v1
.LBB697_45:
	s_or_b32 exec_lo, exec_lo, s8
	v_sub_co_u32 v2, s7, v64, 1
	v_cmp_gt_i32_e64 s8, 0, v2
	v_cndmask_b32_e64 v2, v2, v64, s8
	v_lshlrev_b32_e32 v2, 2, v2
	ds_bpermute_b32 v11, v2, v1
	s_and_saveexec_b32 s8, vcc_lo
	s_cbranch_execz .LBB697_65
; %bb.46:
	v_mov_b32_e32 v7, 0
	ds_read_b32 v1, v7 offset:28
	s_and_saveexec_b32 s9, s7
	s_cbranch_execz .LBB697_48
; %bb.47:
	s_add_i32 s10, s25, 32
	s_mov_b32 s11, 0
	v_mov_b32_e32 v2, 1
	s_lshl_b64 s[10:11], s[10:11], 3
	s_add_u32 s10, s22, s10
	s_addc_u32 s11, s23, s11
	s_waitcnt lgkmcnt(0)
	global_store_dwordx2 v7, v[1:2], s[10:11]
.LBB697_48:
	s_or_b32 exec_lo, exec_lo, s9
	v_xad_u32 v3, v64, -1, s25
	s_mov_b32 s10, 0
	v_add_nc_u32_e32 v6, 32, v3
	v_lshlrev_b64 v[4:5], 3, v[6:7]
	v_add_co_u32 v8, vcc_lo, s22, v4
	v_add_co_ci_u32_e64 v9, null, s23, v5, vcc_lo
	global_load_dwordx2 v[5:6], v[8:9], off glc dlc
	s_waitcnt vmcnt(0)
	v_cmp_eq_u16_sdwa s11, v6, v7 src0_sel:BYTE_0 src1_sel:DWORD
	s_and_saveexec_b32 s9, s11
	s_cbranch_execz .LBB697_52
; %bb.49:
	v_mov_b32_e32 v2, 0
.LBB697_50:                             ; =>This Inner Loop Header: Depth=1
	global_load_dwordx2 v[5:6], v[8:9], off glc dlc
	s_waitcnt vmcnt(0)
	v_cmp_ne_u16_sdwa s11, v6, v2 src0_sel:BYTE_0 src1_sel:DWORD
	s_or_b32 s10, s11, s10
	s_andn2_b32 exec_lo, exec_lo, s10
	s_cbranch_execnz .LBB697_50
; %bb.51:
	s_or_b32 exec_lo, exec_lo, s10
.LBB697_52:
	s_or_b32 exec_lo, exec_lo, s9
	v_cmp_ne_u32_e32 vcc_lo, 31, v64
	v_mov_b32_e32 v12, 2
	v_lshlrev_b32_e64 v13, v64, -1
	v_add_nc_u32_e32 v15, 2, v64
	v_add_nc_u32_e32 v17, 4, v64
	v_add_co_ci_u32_e64 v2, null, 0, v64, vcc_lo
	v_cmp_eq_u16_sdwa s9, v6, v12 src0_sel:BYTE_0 src1_sel:DWORD
	v_cmp_gt_u32_e32 vcc_lo, 30, v64
	v_add_nc_u32_e32 v68, 8, v64
	v_lshlrev_b32_e32 v9, 2, v2
	v_lshl_or_b32 v69, v64, 2, 64
	v_and_or_b32 v4, s9, v13, 0x80000000
	v_cndmask_b32_e64 v7, 0, 2, vcc_lo
	v_add_nc_u32_e32 v70, 16, v64
	ds_bpermute_b32 v2, v9, v5
	v_ffbl_b32_e32 v4, v4
	v_add_lshl_u32 v14, v7, v64, 2
	v_cmp_lt_u32_e32 vcc_lo, v64, v4
	s_waitcnt lgkmcnt(0)
	v_cndmask_b32_e32 v2, 0, v2, vcc_lo
	v_cmp_gt_u32_e32 vcc_lo, 28, v64
	v_add_nc_u32_e32 v2, v2, v5
	v_cndmask_b32_e64 v7, 0, 4, vcc_lo
	v_cmp_le_u32_e32 vcc_lo, v15, v4
	ds_bpermute_b32 v5, v14, v2
	v_add_lshl_u32 v16, v7, v64, 2
	s_waitcnt lgkmcnt(0)
	v_cndmask_b32_e32 v5, 0, v5, vcc_lo
	v_cmp_gt_u32_e32 vcc_lo, 24, v64
	v_add_nc_u32_e32 v2, v2, v5
	v_cndmask_b32_e64 v7, 0, 8, vcc_lo
	v_cmp_le_u32_e32 vcc_lo, v17, v4
	ds_bpermute_b32 v5, v16, v2
	v_add_lshl_u32 v67, v7, v64, 2
	s_waitcnt lgkmcnt(0)
	v_cndmask_b32_e32 v5, 0, v5, vcc_lo
	v_cmp_le_u32_e32 vcc_lo, v68, v4
	v_add_nc_u32_e32 v2, v2, v5
	ds_bpermute_b32 v5, v67, v2
	s_waitcnt lgkmcnt(0)
	v_cndmask_b32_e32 v5, 0, v5, vcc_lo
	v_cmp_le_u32_e32 vcc_lo, v70, v4
	v_add_nc_u32_e32 v2, v2, v5
	ds_bpermute_b32 v5, v69, v2
	s_waitcnt lgkmcnt(0)
	v_cndmask_b32_e32 v4, 0, v5, vcc_lo
	v_add_nc_u32_e32 v5, v2, v4
	v_mov_b32_e32 v4, 0
	s_branch .LBB697_56
.LBB697_53:                             ;   in Loop: Header=BB697_56 Depth=1
	s_or_b32 exec_lo, exec_lo, s10
.LBB697_54:                             ;   in Loop: Header=BB697_56 Depth=1
	s_or_b32 exec_lo, exec_lo, s9
	ds_bpermute_b32 v7, v9, v5
	v_cmp_eq_u16_sdwa s9, v6, v12 src0_sel:BYTE_0 src1_sel:DWORD
	v_subrev_nc_u32_e32 v3, 32, v3
	v_and_or_b32 v8, s9, v13, 0x80000000
	s_mov_b32 s9, 0
	v_ffbl_b32_e32 v8, v8
	v_cmp_lt_u32_e32 vcc_lo, v64, v8
	s_waitcnt lgkmcnt(0)
	v_cndmask_b32_e32 v7, 0, v7, vcc_lo
	v_cmp_le_u32_e32 vcc_lo, v15, v8
	v_add_nc_u32_e32 v5, v7, v5
	ds_bpermute_b32 v7, v14, v5
	s_waitcnt lgkmcnt(0)
	v_cndmask_b32_e32 v7, 0, v7, vcc_lo
	v_cmp_le_u32_e32 vcc_lo, v17, v8
	v_add_nc_u32_e32 v5, v5, v7
	ds_bpermute_b32 v7, v16, v5
	;; [unrolled: 5-line block ×4, first 2 shown]
	s_waitcnt lgkmcnt(0)
	v_cndmask_b32_e32 v7, 0, v7, vcc_lo
	v_add3_u32 v5, v7, v2, v5
.LBB697_55:                             ;   in Loop: Header=BB697_56 Depth=1
	s_and_b32 vcc_lo, exec_lo, s9
	s_cbranch_vccnz .LBB697_61
.LBB697_56:                             ; =>This Loop Header: Depth=1
                                        ;     Child Loop BB697_59 Depth 2
	v_cmp_ne_u16_sdwa s9, v6, v12 src0_sel:BYTE_0 src1_sel:DWORD
	v_mov_b32_e32 v2, v5
                                        ; implicit-def: $vgpr5
                                        ; implicit-def: $vgpr6
	s_cmp_lg_u32 s9, exec_lo
	s_mov_b32 s9, -1
	s_cbranch_scc1 .LBB697_55
; %bb.57:                               ;   in Loop: Header=BB697_56 Depth=1
	v_lshlrev_b64 v[5:6], 3, v[3:4]
	v_add_co_u32 v7, vcc_lo, s22, v5
	v_add_co_ci_u32_e64 v8, null, s23, v6, vcc_lo
	global_load_dwordx2 v[5:6], v[7:8], off glc dlc
	s_waitcnt vmcnt(0)
	v_cmp_eq_u16_sdwa s10, v6, v4 src0_sel:BYTE_0 src1_sel:DWORD
	s_and_saveexec_b32 s9, s10
	s_cbranch_execz .LBB697_54
; %bb.58:                               ;   in Loop: Header=BB697_56 Depth=1
	s_mov_b32 s10, 0
.LBB697_59:                             ;   Parent Loop BB697_56 Depth=1
                                        ; =>  This Inner Loop Header: Depth=2
	global_load_dwordx2 v[5:6], v[7:8], off glc dlc
	s_waitcnt vmcnt(0)
	v_cmp_ne_u16_sdwa s11, v6, v4 src0_sel:BYTE_0 src1_sel:DWORD
	s_or_b32 s10, s11, s10
	s_andn2_b32 exec_lo, exec_lo, s10
	s_cbranch_execnz .LBB697_59
	s_branch .LBB697_53
.LBB697_60:
                                        ; implicit-def: $vgpr17
                                        ; implicit-def: $vgpr1_vgpr2_vgpr3_vgpr4_vgpr5_vgpr6_vgpr7_vgpr8_vgpr9_vgpr10_vgpr11_vgpr12_vgpr13_vgpr14_vgpr15_vgpr16
	s_and_b32 vcc_lo, exec_lo, s7
	s_cbranch_vccnz .LBB697_66
	s_branch .LBB697_75
.LBB697_61:
	s_and_saveexec_b32 s9, s7
	s_cbranch_execz .LBB697_63
; %bb.62:
	s_add_i32 s10, s25, 32
	s_mov_b32 s11, 0
	v_add_nc_u32_e32 v3, v2, v1
	v_mov_b32_e32 v4, 2
	s_lshl_b64 s[10:11], s[10:11], 3
	v_mov_b32_e32 v5, 0
	s_add_u32 s10, s22, s10
	s_addc_u32 s11, s23, s11
	global_store_dwordx2 v5, v[3:4], s[10:11]
	ds_write_b64 v5, v[1:2] offset:13312
.LBB697_63:
	s_or_b32 exec_lo, exec_lo, s9
	s_and_b32 exec_lo, exec_lo, s0
; %bb.64:
	v_mov_b32_e32 v1, 0
	ds_write_b32 v1, v2 offset:28
.LBB697_65:
	s_or_b32 exec_lo, exec_lo, s8
	v_mov_b32_e32 v12, 0
	s_waitcnt lgkmcnt(0)
	s_waitcnt_vscnt null, 0x0
	s_barrier
	buffer_gl0_inv
	v_cndmask_b32_e64 v2, v11, v10, s7
	ds_read_b32 v1, v12 offset:28
	s_waitcnt lgkmcnt(0)
	s_barrier
	buffer_gl0_inv
	v_cndmask_b32_e64 v2, v2, 0, s0
	ds_read_b64 v[16:17], v12 offset:13312
	v_add_nc_u32_e32 v1, v1, v2
	v_add_nc_u32_e32 v2, v1, v55
	;; [unrolled: 1-line block ×13, first 2 shown]
	s_branch .LBB697_75
.LBB697_66:
	v_mov_b32_dpp v1, v66 row_shr:1 row_mask:0xf bank_mask:0xf
	v_cndmask_b32_e64 v1, v1, 0, s6
	v_add_nc_u32_e32 v1, v1, v66
	v_mov_b32_dpp v2, v1 row_shr:2 row_mask:0xf bank_mask:0xf
	v_cndmask_b32_e64 v2, 0, v2, s5
	v_add_nc_u32_e32 v1, v1, v2
	;; [unrolled: 3-line block ×4, first 2 shown]
	ds_swizzle_b32 v2, v1 offset:swizzle(BROADCAST,32,15)
	s_waitcnt lgkmcnt(0)
	v_cndmask_b32_e64 v2, v2, 0, s2
	v_add_nc_u32_e32 v1, v1, v2
	s_and_saveexec_b32 s2, s1
; %bb.67:
	v_lshlrev_b32_e32 v2, 2, v65
	ds_write_b32 v2, v1
; %bb.68:
	s_or_b32 exec_lo, exec_lo, s2
	s_mov_b32 s1, exec_lo
	s_waitcnt lgkmcnt(0)
	s_barrier
	buffer_gl0_inv
	v_cmpx_gt_u32_e32 8, v0
	s_cbranch_execz .LBB697_70
; %bb.69:
	ds_read_b32 v2, v44
	v_and_b32_e32 v3, 7, v64
	v_cmp_ne_u32_e32 vcc_lo, 0, v3
	s_waitcnt lgkmcnt(0)
	v_mov_b32_dpp v4, v2 row_shr:1 row_mask:0xf bank_mask:0xf
	v_cndmask_b32_e32 v4, 0, v4, vcc_lo
	v_cmp_lt_u32_e32 vcc_lo, 1, v3
	v_add_nc_u32_e32 v2, v4, v2
	v_mov_b32_dpp v4, v2 row_shr:2 row_mask:0xf bank_mask:0xf
	v_cndmask_b32_e32 v4, 0, v4, vcc_lo
	v_cmp_lt_u32_e32 vcc_lo, 3, v3
	v_add_nc_u32_e32 v2, v2, v4
	v_mov_b32_dpp v4, v2 row_shr:4 row_mask:0xf bank_mask:0xf
	v_cndmask_b32_e32 v3, 0, v4, vcc_lo
	v_add_nc_u32_e32 v2, v2, v3
	ds_write_b32 v44, v2
.LBB697_70:
	s_or_b32 exec_lo, exec_lo, s1
	v_mov_b32_e32 v3, 0
	v_mov_b32_e32 v2, 0
	s_mov_b32 s1, exec_lo
	s_waitcnt lgkmcnt(0)
	s_barrier
	buffer_gl0_inv
	v_cmpx_lt_u32_e32 31, v0
; %bb.71:
	v_lshl_add_u32 v2, v65, 2, -4
	ds_read_b32 v2, v2
; %bb.72:
	s_or_b32 exec_lo, exec_lo, s1
	v_sub_co_u32 v4, vcc_lo, v64, 1
	s_waitcnt lgkmcnt(0)
	v_add_nc_u32_e32 v1, v2, v1
	ds_read_b32 v16, v3 offset:28
	v_cmp_gt_i32_e64 s1, 0, v4
	v_cndmask_b32_e64 v4, v4, v64, s1
	v_lshlrev_b32_e32 v4, 2, v4
	ds_bpermute_b32 v1, v4, v1
	s_and_saveexec_b32 s1, s0
	s_cbranch_execz .LBB697_74
; %bb.73:
	v_mov_b32_e32 v3, 0
	v_mov_b32_e32 v17, 2
	s_waitcnt lgkmcnt(1)
	global_store_dwordx2 v3, v[16:17], s[22:23] offset:256
.LBB697_74:
	s_or_b32 exec_lo, exec_lo, s1
	s_waitcnt lgkmcnt(0)
	v_cndmask_b32_e32 v1, v1, v2, vcc_lo
	v_mov_b32_e32 v17, 0
	s_waitcnt_vscnt null, 0x0
	s_barrier
	buffer_gl0_inv
	v_cndmask_b32_e64 v1, v1, 0, s0
	v_add_nc_u32_e32 v2, v1, v55
	v_add_nc_u32_e32 v3, v2, v56
	;; [unrolled: 1-line block ×12, first 2 shown]
.LBB697_75:
	s_waitcnt lgkmcnt(0)
	v_add_nc_u32_e32 v47, v16, v47
	v_sub_nc_u32_e32 v1, v1, v17
	v_and_b32_e32 v56, 1, v52
	v_lshrrev_b32_e32 v55, 8, v52
	v_sub_nc_u32_e32 v2, v2, v17
	v_sub_nc_u32_e32 v3, v3, v17
	;; [unrolled: 1-line block ×3, first 2 shown]
	v_cmp_eq_u32_e32 vcc_lo, 1, v56
	v_and_b32_e32 v55, 1, v55
	v_mov_b32_e32 v58, 1
	v_sub_nc_u32_e32 v56, v47, v2
	v_sub_nc_u32_e32 v4, v4, v17
	v_cndmask_b32_e32 v1, v57, v1, vcc_lo
	v_sub_nc_u32_e32 v57, v47, v3
	v_and_b32_sdwa v52, v58, v52 dst_sel:DWORD dst_unused:UNUSED_PAD src0_sel:DWORD src1_sel:WORD_1
	v_add_nc_u32_e32 v56, 1, v56
	v_cmp_eq_u32_e32 vcc_lo, 1, v55
	v_lshlrev_b32_e32 v1, 2, v1
	v_and_b32_e32 v54, 1, v54
	v_sub_nc_u32_e32 v59, v47, v4
	v_add_nc_u32_e32 v57, 2, v57
	v_lshrrev_b32_e32 v15, 8, v50
	ds_write_b32 v1, v30
	v_cndmask_b32_e32 v1, v56, v2, vcc_lo
	v_cmp_eq_u32_e32 vcc_lo, 1, v52
	v_add_nc_u32_e32 v59, 3, v59
	v_lshrrev_b32_e32 v14, 8, v49
	v_lshlrev_b32_e32 v1, 2, v1
	v_cndmask_b32_e32 v2, v57, v3, vcc_lo
	v_cmp_eq_u32_e32 vcc_lo, 1, v54
	ds_write_b32 v1, v31
	v_lshlrev_b32_e32 v2, 2, v2
	v_cndmask_b32_e32 v3, v59, v4, vcc_lo
	v_sub_nc_u32_e32 v4, v5, v17
	v_sub_nc_u32_e32 v5, v6, v17
	v_lshlrev_b32_e32 v3, 2, v3
	v_sub_nc_u32_e32 v1, v47, v4
	v_sub_nc_u32_e32 v6, v47, v5
	ds_write_b32 v2, v28
	ds_write_b32 v3, v29
	v_and_b32_e32 v2, 1, v50
	v_add_nc_u32_e32 v1, 4, v1
	v_add_nc_u32_e32 v3, 5, v6
	v_sub_nc_u32_e32 v6, v7, v17
	v_and_b32_e32 v7, 1, v15
	v_cmp_eq_u32_e32 vcc_lo, 1, v2
	v_sub_nc_u32_e32 v2, v8, v17
	v_and_b32_e32 v8, 1, v53
	v_add_co_u32 v15, s1, v18, v17
	v_cndmask_b32_e32 v1, v1, v4, vcc_lo
	v_sub_nc_u32_e32 v4, v47, v6
	v_cmp_eq_u32_e32 vcc_lo, 1, v7
	v_and_b32_sdwa v7, v58, v50 dst_sel:DWORD dst_unused:UNUSED_PAD src0_sel:DWORD src1_sel:WORD_1
	v_lshlrev_b32_e32 v1, 2, v1
	v_add_nc_u32_e32 v4, 6, v4
	v_cndmask_b32_e32 v3, v3, v5, vcc_lo
	v_sub_nc_u32_e32 v5, v47, v2
	v_cmp_eq_u32_e32 vcc_lo, 1, v7
	v_sub_nc_u32_e32 v7, v13, v17
	v_lshlrev_b32_e32 v3, 2, v3
	v_add_nc_u32_e32 v5, 7, v5
	v_cndmask_b32_e32 v4, v4, v6, vcc_lo
	v_cmp_eq_u32_e32 vcc_lo, 1, v8
	v_sub_nc_u32_e32 v6, v9, v17
	ds_write_b32 v1, v26
	ds_write_b32 v3, v27
	v_lshlrev_b32_e32 v3, 2, v4
	v_cndmask_b32_e32 v2, v5, v2, vcc_lo
	v_sub_nc_u32_e32 v1, v47, v6
	v_and_b32_e32 v5, 1, v49
	v_sub_nc_u32_e32 v4, v10, v17
	v_and_b32_e32 v10, 1, v51
	v_lshlrev_b32_e32 v2, 2, v2
	v_add_nc_u32_e32 v1, 8, v1
	ds_write_b32 v3, v24
	ds_write_b32 v2, v25
	v_cmp_eq_u32_e32 vcc_lo, 1, v5
	v_sub_nc_u32_e32 v3, v11, v17
	v_sub_nc_u32_e32 v2, v47, v4
	;; [unrolled: 1-line block ×3, first 2 shown]
	v_and_b32_e32 v11, 1, v48
	v_cndmask_b32_e32 v1, v1, v6, vcc_lo
	v_and_b32_e32 v6, 1, v14
	v_sub_nc_u32_e32 v8, v47, v3
	v_add_nc_u32_e32 v2, 9, v2
	v_sub_nc_u32_e32 v9, v47, v5
	v_lshlrev_b32_e32 v1, 2, v1
	v_cmp_eq_u32_e32 vcc_lo, 1, v6
	v_add_nc_u32_e32 v6, 10, v8
	v_and_b32_sdwa v8, v58, v49 dst_sel:DWORD dst_unused:UNUSED_PAD src0_sel:DWORD src1_sel:WORD_1
	v_add_nc_u32_e32 v9, 11, v9
	v_add_co_ci_u32_e64 v17, null, 0, v19, s1
	v_cndmask_b32_e32 v2, v2, v4, vcc_lo
	v_cmp_eq_u32_e32 vcc_lo, 1, v8
	v_sub_nc_u32_e32 v4, v47, v7
	v_lshlrev_b32_e32 v2, 2, v2
	v_cndmask_b32_e32 v3, v6, v3, vcc_lo
	v_cmp_eq_u32_e32 vcc_lo, 1, v10
	v_add_nc_u32_e32 v4, 12, v4
	v_lshlrev_b32_e32 v3, 2, v3
	v_cndmask_b32_e32 v5, v9, v5, vcc_lo
	v_cmp_eq_u32_e32 vcc_lo, 1, v11
	v_lshlrev_b32_e32 v5, 2, v5
	v_cndmask_b32_e32 v4, v4, v7, vcc_lo
	v_cmp_ne_u32_e32 vcc_lo, 1, v45
	v_lshlrev_b32_e32 v4, 2, v4
	ds_write_b32 v1, v22
	ds_write_b32 v2, v23
	;; [unrolled: 1-line block ×5, first 2 shown]
	s_waitcnt lgkmcnt(0)
	s_barrier
	buffer_gl0_inv
	ds_read2st64_b32 v[11:12], v44 offset1:4
	ds_read2st64_b32 v[9:10], v44 offset0:8 offset1:12
	ds_read2st64_b32 v[7:8], v44 offset0:16 offset1:20
	;; [unrolled: 1-line block ×5, first 2 shown]
	ds_read_b32 v20, v44 offset:12288
	s_cbranch_vccnz .LBB697_132
; %bb.76:
	s_sub_u32 s1, s20, s24
	v_sub_co_u32 v13, vcc_lo, v15, s18
	s_subb_u32 s2, s21, 0
	v_add_co_u32 v18, s1, s1, v16
	v_subrev_co_ci_u32_e64 v14, null, s19, v17, vcc_lo
	v_add_co_ci_u32_e64 v19, null, s2, 0, s1
	v_add_co_u32 v18, vcc_lo, v18, v13
	s_mov_b32 s1, exec_lo
	v_add_co_ci_u32_e64 v19, null, v19, v14, vcc_lo
                                        ; implicit-def: $vgpr13_vgpr14
	v_cmpx_ge_u32_e64 v0, v16
	s_xor_b32 s1, exec_lo, s1
; %bb.77:
	v_not_b32_e32 v13, v0
	v_ashrrev_i32_e32 v14, 31, v13
	v_add_co_u32 v13, vcc_lo, v18, v13
	v_add_co_ci_u32_e64 v14, null, v19, v14, vcc_lo
; %bb.78:
	s_andn2_saveexec_b32 s1, s1
; %bb.79:
	v_add_co_u32 v13, vcc_lo, v15, v0
	v_add_co_ci_u32_e64 v14, null, 0, v17, vcc_lo
; %bb.80:
	s_or_b32 exec_lo, exec_lo, s1
	v_lshlrev_b64 v[13:14], 2, v[13:14]
	s_mov_b32 s1, exec_lo
	v_add_co_u32 v13, vcc_lo, s16, v13
	v_add_co_ci_u32_e64 v14, null, s17, v14, vcc_lo
	s_waitcnt lgkmcnt(6)
	global_store_dword v[13:14], v11, off
                                        ; implicit-def: $vgpr13_vgpr14
	v_cmpx_ge_u32_e64 v43, v16
	s_xor_b32 s1, exec_lo, s1
; %bb.81:
	v_xor_b32_e32 v13, 0xfffffeff, v0
	v_ashrrev_i32_e32 v14, 31, v13
	v_add_co_u32 v13, vcc_lo, v18, v13
	v_add_co_ci_u32_e64 v14, null, v19, v14, vcc_lo
; %bb.82:
	s_andn2_saveexec_b32 s1, s1
; %bb.83:
	v_add_co_u32 v13, vcc_lo, v15, v43
	v_add_co_ci_u32_e64 v14, null, 0, v17, vcc_lo
; %bb.84:
	s_or_b32 exec_lo, exec_lo, s1
	v_lshlrev_b64 v[13:14], 2, v[13:14]
	s_mov_b32 s1, exec_lo
	v_add_co_u32 v13, vcc_lo, s16, v13
	v_add_co_ci_u32_e64 v14, null, s17, v14, vcc_lo
	global_store_dword v[13:14], v12, off
                                        ; implicit-def: $vgpr13_vgpr14
	v_cmpx_ge_u32_e64 v42, v16
	s_xor_b32 s1, exec_lo, s1
; %bb.85:
	v_xor_b32_e32 v13, 0xfffffdff, v0
	v_ashrrev_i32_e32 v14, 31, v13
	v_add_co_u32 v13, vcc_lo, v18, v13
	v_add_co_ci_u32_e64 v14, null, v19, v14, vcc_lo
; %bb.86:
	s_andn2_saveexec_b32 s1, s1
; %bb.87:
	v_add_co_u32 v13, vcc_lo, v15, v42
	v_add_co_ci_u32_e64 v14, null, 0, v17, vcc_lo
; %bb.88:
	s_or_b32 exec_lo, exec_lo, s1
	v_lshlrev_b64 v[13:14], 2, v[13:14]
	s_mov_b32 s1, exec_lo
	v_add_co_u32 v13, vcc_lo, s16, v13
	v_add_co_ci_u32_e64 v14, null, s17, v14, vcc_lo
	s_waitcnt lgkmcnt(5)
	global_store_dword v[13:14], v9, off
                                        ; implicit-def: $vgpr13_vgpr14
	v_cmpx_ge_u32_e64 v41, v16
	s_xor_b32 s1, exec_lo, s1
; %bb.89:
	v_xor_b32_e32 v13, 0xfffffcff, v0
	v_ashrrev_i32_e32 v14, 31, v13
	v_add_co_u32 v13, vcc_lo, v18, v13
	v_add_co_ci_u32_e64 v14, null, v19, v14, vcc_lo
; %bb.90:
	s_andn2_saveexec_b32 s1, s1
; %bb.91:
	v_add_co_u32 v13, vcc_lo, v15, v41
	v_add_co_ci_u32_e64 v14, null, 0, v17, vcc_lo
; %bb.92:
	s_or_b32 exec_lo, exec_lo, s1
	v_lshlrev_b64 v[13:14], 2, v[13:14]
	s_mov_b32 s1, exec_lo
	v_add_co_u32 v13, vcc_lo, s16, v13
	v_add_co_ci_u32_e64 v14, null, s17, v14, vcc_lo
	global_store_dword v[13:14], v10, off
                                        ; implicit-def: $vgpr13_vgpr14
	v_cmpx_ge_u32_e64 v40, v16
	s_xor_b32 s1, exec_lo, s1
; %bb.93:
	v_xor_b32_e32 v13, 0xfffffbff, v0
	;; [unrolled: 41-line block ×6, first 2 shown]
	v_ashrrev_i32_e32 v14, 31, v13
	v_add_co_u32 v13, vcc_lo, v18, v13
	v_add_co_ci_u32_e64 v14, null, v19, v14, vcc_lo
; %bb.126:
	s_andn2_saveexec_b32 s1, s1
; %bb.127:
	v_add_co_u32 v13, vcc_lo, v15, v32
	v_add_co_ci_u32_e64 v14, null, 0, v17, vcc_lo
; %bb.128:
	s_or_b32 exec_lo, exec_lo, s1
	s_mov_b32 s1, -1
.LBB697_129:
	s_and_saveexec_b32 s2, s1
	s_cbranch_execz .LBB697_212
.LBB697_130:
	s_waitcnt lgkmcnt(1)
	v_lshlrev_b64 v[0:1], 2, v[13:14]
	v_add_co_u32 v0, vcc_lo, s16, v0
	v_add_co_ci_u32_e64 v1, null, s17, v1, vcc_lo
	s_waitcnt lgkmcnt(0)
	global_store_dword v[0:1], v20, off
	s_or_b32 exec_lo, exec_lo, s2
	s_and_b32 s0, s0, s14
	s_and_saveexec_b32 s1, s0
	s_cbranch_execnz .LBB697_213
.LBB697_131:
	s_endpgm
.LBB697_132:
	s_mov_b32 s1, 0
                                        ; implicit-def: $vgpr13_vgpr14
	s_cbranch_execz .LBB697_129
; %bb.133:
	s_add_u32 s2, s18, s24
	s_addc_u32 s3, s19, 0
	s_sub_u32 s2, s20, s2
	s_subb_u32 s3, s21, s3
	v_add_co_u32 v13, s2, s2, v16
	v_add_co_ci_u32_e64 v14, null, s3, 0, s2
	s_mov_b32 s2, exec_lo
	v_add_co_u32 v18, vcc_lo, v13, v15
	v_add_co_ci_u32_e64 v19, null, v14, v17, vcc_lo
	v_cmpx_gt_u32_e64 s15, v0
	s_cbranch_execz .LBB697_169
; %bb.134:
	s_mov_b32 s3, exec_lo
                                        ; implicit-def: $vgpr13_vgpr14
	v_cmpx_ge_u32_e64 v0, v16
	s_xor_b32 s3, exec_lo, s3
; %bb.135:
	v_not_b32_e32 v13, v0
	v_ashrrev_i32_e32 v14, 31, v13
	v_add_co_u32 v13, vcc_lo, v18, v13
	v_add_co_ci_u32_e64 v14, null, v19, v14, vcc_lo
; %bb.136:
	s_andn2_saveexec_b32 s3, s3
; %bb.137:
	v_add_co_u32 v13, vcc_lo, v15, v0
	v_add_co_ci_u32_e64 v14, null, 0, v17, vcc_lo
; %bb.138:
	s_or_b32 exec_lo, exec_lo, s3
	v_lshlrev_b64 v[13:14], 2, v[13:14]
	v_add_co_u32 v13, vcc_lo, s16, v13
	v_add_co_ci_u32_e64 v14, null, s17, v14, vcc_lo
	s_waitcnt lgkmcnt(6)
	global_store_dword v[13:14], v11, off
	s_or_b32 exec_lo, exec_lo, s2
	s_mov_b32 s2, exec_lo
	v_cmpx_gt_u32_e64 s15, v43
	s_cbranch_execnz .LBB697_170
.LBB697_139:
	s_or_b32 exec_lo, exec_lo, s2
	s_mov_b32 s2, exec_lo
	v_cmpx_gt_u32_e64 s15, v42
	s_cbranch_execz .LBB697_175
.LBB697_140:
	s_mov_b32 s3, exec_lo
                                        ; implicit-def: $vgpr11_vgpr12
	v_cmpx_ge_u32_e64 v42, v16
	s_xor_b32 s3, exec_lo, s3
	s_cbranch_execz .LBB697_142
; %bb.141:
	s_waitcnt lgkmcnt(6)
	v_xor_b32_e32 v11, 0xfffffdff, v0
                                        ; implicit-def: $vgpr42
	v_ashrrev_i32_e32 v12, 31, v11
	v_add_co_u32 v11, vcc_lo, v18, v11
	v_add_co_ci_u32_e64 v12, null, v19, v12, vcc_lo
.LBB697_142:
	s_andn2_saveexec_b32 s3, s3
	s_cbranch_execz .LBB697_144
; %bb.143:
	s_waitcnt lgkmcnt(6)
	v_add_co_u32 v11, vcc_lo, v15, v42
	v_add_co_ci_u32_e64 v12, null, 0, v17, vcc_lo
.LBB697_144:
	s_or_b32 exec_lo, exec_lo, s3
	s_waitcnt lgkmcnt(6)
	v_lshlrev_b64 v[11:12], 2, v[11:12]
	v_add_co_u32 v11, vcc_lo, s16, v11
	v_add_co_ci_u32_e64 v12, null, s17, v12, vcc_lo
	s_waitcnt lgkmcnt(5)
	global_store_dword v[11:12], v9, off
	s_or_b32 exec_lo, exec_lo, s2
	s_mov_b32 s2, exec_lo
	v_cmpx_gt_u32_e64 s15, v41
	s_cbranch_execnz .LBB697_176
.LBB697_145:
	s_or_b32 exec_lo, exec_lo, s2
	s_mov_b32 s2, exec_lo
	v_cmpx_gt_u32_e64 s15, v40
	s_cbranch_execz .LBB697_181
.LBB697_146:
	s_mov_b32 s3, exec_lo
                                        ; implicit-def: $vgpr9_vgpr10
	v_cmpx_ge_u32_e64 v40, v16
	s_xor_b32 s3, exec_lo, s3
	s_cbranch_execz .LBB697_148
; %bb.147:
	s_waitcnt lgkmcnt(5)
	v_xor_b32_e32 v9, 0xfffffbff, v0
                                        ; implicit-def: $vgpr40
	v_ashrrev_i32_e32 v10, 31, v9
	v_add_co_u32 v9, vcc_lo, v18, v9
	v_add_co_ci_u32_e64 v10, null, v19, v10, vcc_lo
.LBB697_148:
	s_andn2_saveexec_b32 s3, s3
	s_cbranch_execz .LBB697_150
; %bb.149:
	s_waitcnt lgkmcnt(5)
	v_add_co_u32 v9, vcc_lo, v15, v40
	v_add_co_ci_u32_e64 v10, null, 0, v17, vcc_lo
.LBB697_150:
	s_or_b32 exec_lo, exec_lo, s3
	s_waitcnt lgkmcnt(5)
	v_lshlrev_b64 v[9:10], 2, v[9:10]
	v_add_co_u32 v9, vcc_lo, s16, v9
	v_add_co_ci_u32_e64 v10, null, s17, v10, vcc_lo
	s_waitcnt lgkmcnt(4)
	global_store_dword v[9:10], v7, off
	s_or_b32 exec_lo, exec_lo, s2
	s_mov_b32 s2, exec_lo
	v_cmpx_gt_u32_e64 s15, v39
	s_cbranch_execnz .LBB697_182
.LBB697_151:
	s_or_b32 exec_lo, exec_lo, s2
	s_mov_b32 s2, exec_lo
	v_cmpx_gt_u32_e64 s15, v38
	s_cbranch_execz .LBB697_187
.LBB697_152:
	s_mov_b32 s3, exec_lo
                                        ; implicit-def: $vgpr7_vgpr8
	v_cmpx_ge_u32_e64 v38, v16
	s_xor_b32 s3, exec_lo, s3
	s_cbranch_execz .LBB697_154
; %bb.153:
	s_waitcnt lgkmcnt(4)
	v_xor_b32_e32 v7, 0xfffff9ff, v0
                                        ; implicit-def: $vgpr38
	v_ashrrev_i32_e32 v8, 31, v7
	v_add_co_u32 v7, vcc_lo, v18, v7
	v_add_co_ci_u32_e64 v8, null, v19, v8, vcc_lo
.LBB697_154:
	s_andn2_saveexec_b32 s3, s3
	s_cbranch_execz .LBB697_156
; %bb.155:
	s_waitcnt lgkmcnt(4)
	v_add_co_u32 v7, vcc_lo, v15, v38
	v_add_co_ci_u32_e64 v8, null, 0, v17, vcc_lo
.LBB697_156:
	s_or_b32 exec_lo, exec_lo, s3
	s_waitcnt lgkmcnt(4)
	v_lshlrev_b64 v[7:8], 2, v[7:8]
	v_add_co_u32 v7, vcc_lo, s16, v7
	v_add_co_ci_u32_e64 v8, null, s17, v8, vcc_lo
	s_waitcnt lgkmcnt(3)
	global_store_dword v[7:8], v5, off
	s_or_b32 exec_lo, exec_lo, s2
	s_mov_b32 s2, exec_lo
	v_cmpx_gt_u32_e64 s15, v37
	s_cbranch_execnz .LBB697_188
.LBB697_157:
	s_or_b32 exec_lo, exec_lo, s2
	s_mov_b32 s2, exec_lo
	v_cmpx_gt_u32_e64 s15, v36
	s_cbranch_execz .LBB697_193
.LBB697_158:
	s_mov_b32 s3, exec_lo
                                        ; implicit-def: $vgpr5_vgpr6
	v_cmpx_ge_u32_e64 v36, v16
	s_xor_b32 s3, exec_lo, s3
	s_cbranch_execz .LBB697_160
; %bb.159:
	s_waitcnt lgkmcnt(3)
	v_xor_b32_e32 v5, 0xfffff7ff, v0
                                        ; implicit-def: $vgpr36
	v_ashrrev_i32_e32 v6, 31, v5
	v_add_co_u32 v5, vcc_lo, v18, v5
	v_add_co_ci_u32_e64 v6, null, v19, v6, vcc_lo
.LBB697_160:
	s_andn2_saveexec_b32 s3, s3
	s_cbranch_execz .LBB697_162
; %bb.161:
	s_waitcnt lgkmcnt(3)
	v_add_co_u32 v5, vcc_lo, v15, v36
	v_add_co_ci_u32_e64 v6, null, 0, v17, vcc_lo
.LBB697_162:
	s_or_b32 exec_lo, exec_lo, s3
	s_waitcnt lgkmcnt(3)
	v_lshlrev_b64 v[5:6], 2, v[5:6]
	v_add_co_u32 v5, vcc_lo, s16, v5
	v_add_co_ci_u32_e64 v6, null, s17, v6, vcc_lo
	s_waitcnt lgkmcnt(2)
	global_store_dword v[5:6], v3, off
	s_or_b32 exec_lo, exec_lo, s2
	s_mov_b32 s2, exec_lo
	v_cmpx_gt_u32_e64 s15, v35
	s_cbranch_execnz .LBB697_194
.LBB697_163:
	s_or_b32 exec_lo, exec_lo, s2
	s_mov_b32 s2, exec_lo
	v_cmpx_gt_u32_e64 s15, v34
	s_cbranch_execz .LBB697_199
.LBB697_164:
	s_mov_b32 s3, exec_lo
                                        ; implicit-def: $vgpr3_vgpr4
	v_cmpx_ge_u32_e64 v34, v16
	s_xor_b32 s3, exec_lo, s3
	s_cbranch_execz .LBB697_166
; %bb.165:
	s_waitcnt lgkmcnt(2)
	v_xor_b32_e32 v3, 0xfffff5ff, v0
                                        ; implicit-def: $vgpr34
	v_ashrrev_i32_e32 v4, 31, v3
	v_add_co_u32 v3, vcc_lo, v18, v3
	v_add_co_ci_u32_e64 v4, null, v19, v4, vcc_lo
.LBB697_166:
	s_andn2_saveexec_b32 s3, s3
	s_cbranch_execz .LBB697_168
; %bb.167:
	s_waitcnt lgkmcnt(2)
	v_add_co_u32 v3, vcc_lo, v15, v34
	v_add_co_ci_u32_e64 v4, null, 0, v17, vcc_lo
.LBB697_168:
	s_or_b32 exec_lo, exec_lo, s3
	s_waitcnt lgkmcnt(2)
	v_lshlrev_b64 v[3:4], 2, v[3:4]
	v_add_co_u32 v3, vcc_lo, s16, v3
	v_add_co_ci_u32_e64 v4, null, s17, v4, vcc_lo
	s_waitcnt lgkmcnt(1)
	global_store_dword v[3:4], v1, off
	s_or_b32 exec_lo, exec_lo, s2
	s_mov_b32 s2, exec_lo
	v_cmpx_gt_u32_e64 s15, v33
	s_cbranch_execz .LBB697_205
	s_branch .LBB697_200
.LBB697_169:
	s_or_b32 exec_lo, exec_lo, s2
	s_mov_b32 s2, exec_lo
	v_cmpx_gt_u32_e64 s15, v43
	s_cbranch_execz .LBB697_139
.LBB697_170:
	s_mov_b32 s3, exec_lo
                                        ; implicit-def: $vgpr13_vgpr14
	v_cmpx_ge_u32_e64 v43, v16
	s_xor_b32 s3, exec_lo, s3
	s_cbranch_execz .LBB697_172
; %bb.171:
	s_waitcnt lgkmcnt(6)
	v_xor_b32_e32 v11, 0xfffffeff, v0
                                        ; implicit-def: $vgpr43
	v_ashrrev_i32_e32 v14, 31, v11
	v_add_co_u32 v13, vcc_lo, v18, v11
	v_add_co_ci_u32_e64 v14, null, v19, v14, vcc_lo
.LBB697_172:
	s_andn2_saveexec_b32 s3, s3
; %bb.173:
	v_add_co_u32 v13, vcc_lo, v15, v43
	v_add_co_ci_u32_e64 v14, null, 0, v17, vcc_lo
; %bb.174:
	s_or_b32 exec_lo, exec_lo, s3
	v_lshlrev_b64 v[13:14], 2, v[13:14]
	v_add_co_u32 v13, vcc_lo, s16, v13
	v_add_co_ci_u32_e64 v14, null, s17, v14, vcc_lo
	s_waitcnt lgkmcnt(6)
	global_store_dword v[13:14], v12, off
	s_or_b32 exec_lo, exec_lo, s2
	s_mov_b32 s2, exec_lo
	v_cmpx_gt_u32_e64 s15, v42
	s_cbranch_execnz .LBB697_140
.LBB697_175:
	s_or_b32 exec_lo, exec_lo, s2
	s_mov_b32 s2, exec_lo
	v_cmpx_gt_u32_e64 s15, v41
	s_cbranch_execz .LBB697_145
.LBB697_176:
	s_mov_b32 s3, exec_lo
                                        ; implicit-def: $vgpr11_vgpr12
	v_cmpx_ge_u32_e64 v41, v16
	s_xor_b32 s3, exec_lo, s3
	s_cbranch_execz .LBB697_178
; %bb.177:
	s_waitcnt lgkmcnt(5)
	v_xor_b32_e32 v9, 0xfffffcff, v0
                                        ; implicit-def: $vgpr41
	v_ashrrev_i32_e32 v12, 31, v9
	v_add_co_u32 v11, vcc_lo, v18, v9
	v_add_co_ci_u32_e64 v12, null, v19, v12, vcc_lo
.LBB697_178:
	s_andn2_saveexec_b32 s3, s3
	s_cbranch_execz .LBB697_180
; %bb.179:
	s_waitcnt lgkmcnt(6)
	v_add_co_u32 v11, vcc_lo, v15, v41
	v_add_co_ci_u32_e64 v12, null, 0, v17, vcc_lo
.LBB697_180:
	s_or_b32 exec_lo, exec_lo, s3
	s_waitcnt lgkmcnt(6)
	v_lshlrev_b64 v[11:12], 2, v[11:12]
	v_add_co_u32 v11, vcc_lo, s16, v11
	v_add_co_ci_u32_e64 v12, null, s17, v12, vcc_lo
	s_waitcnt lgkmcnt(5)
	global_store_dword v[11:12], v10, off
	s_or_b32 exec_lo, exec_lo, s2
	s_mov_b32 s2, exec_lo
	v_cmpx_gt_u32_e64 s15, v40
	s_cbranch_execnz .LBB697_146
.LBB697_181:
	s_or_b32 exec_lo, exec_lo, s2
	s_mov_b32 s2, exec_lo
	v_cmpx_gt_u32_e64 s15, v39
	s_cbranch_execz .LBB697_151
.LBB697_182:
	s_mov_b32 s3, exec_lo
                                        ; implicit-def: $vgpr9_vgpr10
	v_cmpx_ge_u32_e64 v39, v16
	s_xor_b32 s3, exec_lo, s3
	s_cbranch_execz .LBB697_184
; %bb.183:
	s_waitcnt lgkmcnt(4)
	v_xor_b32_e32 v7, 0xfffffaff, v0
                                        ; implicit-def: $vgpr39
	v_ashrrev_i32_e32 v10, 31, v7
	v_add_co_u32 v9, vcc_lo, v18, v7
	v_add_co_ci_u32_e64 v10, null, v19, v10, vcc_lo
.LBB697_184:
	s_andn2_saveexec_b32 s3, s3
	s_cbranch_execz .LBB697_186
; %bb.185:
	s_waitcnt lgkmcnt(5)
	v_add_co_u32 v9, vcc_lo, v15, v39
	v_add_co_ci_u32_e64 v10, null, 0, v17, vcc_lo
.LBB697_186:
	s_or_b32 exec_lo, exec_lo, s3
	s_waitcnt lgkmcnt(5)
	v_lshlrev_b64 v[9:10], 2, v[9:10]
	v_add_co_u32 v9, vcc_lo, s16, v9
	v_add_co_ci_u32_e64 v10, null, s17, v10, vcc_lo
	s_waitcnt lgkmcnt(4)
	global_store_dword v[9:10], v8, off
	s_or_b32 exec_lo, exec_lo, s2
	s_mov_b32 s2, exec_lo
	v_cmpx_gt_u32_e64 s15, v38
	s_cbranch_execnz .LBB697_152
.LBB697_187:
	s_or_b32 exec_lo, exec_lo, s2
	s_mov_b32 s2, exec_lo
	v_cmpx_gt_u32_e64 s15, v37
	s_cbranch_execz .LBB697_157
.LBB697_188:
	s_mov_b32 s3, exec_lo
                                        ; implicit-def: $vgpr7_vgpr8
	v_cmpx_ge_u32_e64 v37, v16
	s_xor_b32 s3, exec_lo, s3
	s_cbranch_execz .LBB697_190
; %bb.189:
	s_waitcnt lgkmcnt(3)
	v_xor_b32_e32 v5, 0xfffff8ff, v0
                                        ; implicit-def: $vgpr37
	v_ashrrev_i32_e32 v8, 31, v5
	v_add_co_u32 v7, vcc_lo, v18, v5
	v_add_co_ci_u32_e64 v8, null, v19, v8, vcc_lo
.LBB697_190:
	s_andn2_saveexec_b32 s3, s3
	s_cbranch_execz .LBB697_192
; %bb.191:
	s_waitcnt lgkmcnt(4)
	v_add_co_u32 v7, vcc_lo, v15, v37
	v_add_co_ci_u32_e64 v8, null, 0, v17, vcc_lo
.LBB697_192:
	s_or_b32 exec_lo, exec_lo, s3
	s_waitcnt lgkmcnt(4)
	v_lshlrev_b64 v[7:8], 2, v[7:8]
	v_add_co_u32 v7, vcc_lo, s16, v7
	v_add_co_ci_u32_e64 v8, null, s17, v8, vcc_lo
	s_waitcnt lgkmcnt(3)
	global_store_dword v[7:8], v6, off
	s_or_b32 exec_lo, exec_lo, s2
	s_mov_b32 s2, exec_lo
	v_cmpx_gt_u32_e64 s15, v36
	s_cbranch_execnz .LBB697_158
.LBB697_193:
	s_or_b32 exec_lo, exec_lo, s2
	s_mov_b32 s2, exec_lo
	v_cmpx_gt_u32_e64 s15, v35
	s_cbranch_execz .LBB697_163
.LBB697_194:
	s_mov_b32 s3, exec_lo
                                        ; implicit-def: $vgpr5_vgpr6
	v_cmpx_ge_u32_e64 v35, v16
	s_xor_b32 s3, exec_lo, s3
	s_cbranch_execz .LBB697_196
; %bb.195:
	s_waitcnt lgkmcnt(2)
	v_xor_b32_e32 v3, 0xfffff6ff, v0
                                        ; implicit-def: $vgpr35
	v_ashrrev_i32_e32 v6, 31, v3
	v_add_co_u32 v5, vcc_lo, v18, v3
	v_add_co_ci_u32_e64 v6, null, v19, v6, vcc_lo
.LBB697_196:
	s_andn2_saveexec_b32 s3, s3
	s_cbranch_execz .LBB697_198
; %bb.197:
	s_waitcnt lgkmcnt(3)
	v_add_co_u32 v5, vcc_lo, v15, v35
	v_add_co_ci_u32_e64 v6, null, 0, v17, vcc_lo
.LBB697_198:
	s_or_b32 exec_lo, exec_lo, s3
	s_waitcnt lgkmcnt(3)
	v_lshlrev_b64 v[5:6], 2, v[5:6]
	v_add_co_u32 v5, vcc_lo, s16, v5
	v_add_co_ci_u32_e64 v6, null, s17, v6, vcc_lo
	s_waitcnt lgkmcnt(2)
	global_store_dword v[5:6], v4, off
	s_or_b32 exec_lo, exec_lo, s2
	s_mov_b32 s2, exec_lo
	v_cmpx_gt_u32_e64 s15, v34
	s_cbranch_execnz .LBB697_164
.LBB697_199:
	s_or_b32 exec_lo, exec_lo, s2
	s_mov_b32 s2, exec_lo
	v_cmpx_gt_u32_e64 s15, v33
	s_cbranch_execz .LBB697_205
.LBB697_200:
	s_mov_b32 s3, exec_lo
                                        ; implicit-def: $vgpr3_vgpr4
	v_cmpx_ge_u32_e64 v33, v16
	s_xor_b32 s3, exec_lo, s3
	s_cbranch_execz .LBB697_202
; %bb.201:
	s_waitcnt lgkmcnt(1)
	v_xor_b32_e32 v1, 0xfffff4ff, v0
                                        ; implicit-def: $vgpr33
	v_ashrrev_i32_e32 v4, 31, v1
	v_add_co_u32 v3, vcc_lo, v18, v1
	v_add_co_ci_u32_e64 v4, null, v19, v4, vcc_lo
.LBB697_202:
	s_andn2_saveexec_b32 s3, s3
	s_cbranch_execz .LBB697_204
; %bb.203:
	s_waitcnt lgkmcnt(2)
	v_add_co_u32 v3, vcc_lo, v15, v33
	v_add_co_ci_u32_e64 v4, null, 0, v17, vcc_lo
.LBB697_204:
	s_or_b32 exec_lo, exec_lo, s3
	s_waitcnt lgkmcnt(2)
	v_lshlrev_b64 v[3:4], 2, v[3:4]
	v_add_co_u32 v3, vcc_lo, s16, v3
	v_add_co_ci_u32_e64 v4, null, s17, v4, vcc_lo
	s_waitcnt lgkmcnt(1)
	global_store_dword v[3:4], v2, off
.LBB697_205:
	s_or_b32 exec_lo, exec_lo, s2
	s_mov_b32 s2, exec_lo
                                        ; implicit-def: $vgpr13_vgpr14
	v_cmpx_gt_u32_e64 s15, v32
	s_cbranch_execz .LBB697_211
; %bb.206:
	s_mov_b32 s3, exec_lo
                                        ; implicit-def: $vgpr13_vgpr14
	v_cmpx_ge_u32_e64 v32, v16
	s_xor_b32 s3, exec_lo, s3
	s_cbranch_execz .LBB697_208
; %bb.207:
	v_xor_b32_e32 v0, 0xfffff3ff, v0
                                        ; implicit-def: $vgpr32
	s_waitcnt lgkmcnt(1)
	v_ashrrev_i32_e32 v1, 31, v0
	v_add_co_u32 v13, vcc_lo, v18, v0
	v_add_co_ci_u32_e64 v14, null, v19, v1, vcc_lo
.LBB697_208:
	s_andn2_saveexec_b32 s3, s3
; %bb.209:
	v_add_co_u32 v13, vcc_lo, v15, v32
	v_add_co_ci_u32_e64 v14, null, 0, v17, vcc_lo
; %bb.210:
	s_or_b32 exec_lo, exec_lo, s3
	s_or_b32 s1, s1, exec_lo
.LBB697_211:
	s_or_b32 exec_lo, exec_lo, s2
	s_and_saveexec_b32 s2, s1
	s_cbranch_execnz .LBB697_130
.LBB697_212:
	s_or_b32 exec_lo, exec_lo, s2
	s_and_b32 s0, s0, s14
	s_and_saveexec_b32 s1, s0
	s_cbranch_execz .LBB697_131
.LBB697_213:
	v_add_co_u32 v0, vcc_lo, v15, v16
	s_waitcnt lgkmcnt(1)
	v_mov_b32_e32 v2, 0
	v_add_co_ci_u32_e64 v1, null, 0, v17, vcc_lo
	global_store_dwordx2 v2, v[0:1], s[12:13]
	s_endpgm
	.section	.rodata,"a",@progbits
	.p2align	6, 0x0
	.amdhsa_kernel _ZN7rocprim17ROCPRIM_400000_NS6detail17trampoline_kernelINS0_13select_configILj256ELj13ELNS0_17block_load_methodE3ELS4_3ELS4_3ELNS0_20block_scan_algorithmE0ELj4294967295EEENS1_25partition_config_selectorILNS1_17partition_subalgoE3EjNS0_10empty_typeEbEEZZNS1_14partition_implILS8_3ELb0ES6_jNS0_17counting_iteratorIjlEEPS9_SE_NS0_5tupleIJPjSE_EEENSF_IJSE_SE_EEES9_SG_JZNS1_25segmented_radix_sort_implINS0_14default_configELb1EPKlPlSM_SN_N2at6native12_GLOBAL__N_18offset_tEEE10hipError_tPvRmT1_PNSt15iterator_traitsISV_E10value_typeET2_T3_PNSW_IS11_E10value_typeET4_jRbjT5_S17_jjP12ihipStream_tbEUljE_EEESS_ST_SU_S11_S15_S17_T6_T7_T9_mT8_S19_bDpT10_ENKUlT_T0_E_clISt17integral_constantIbLb0EES1L_IbLb1EEEEDaS1H_S1I_EUlS1H_E_NS1_11comp_targetILNS1_3genE8ELNS1_11target_archE1030ELNS1_3gpuE2ELNS1_3repE0EEENS1_30default_config_static_selectorELNS0_4arch9wavefront6targetE0EEEvSV_
		.amdhsa_group_segment_fixed_size 13320
		.amdhsa_private_segment_fixed_size 0
		.amdhsa_kernarg_size 152
		.amdhsa_user_sgpr_count 6
		.amdhsa_user_sgpr_private_segment_buffer 1
		.amdhsa_user_sgpr_dispatch_ptr 0
		.amdhsa_user_sgpr_queue_ptr 0
		.amdhsa_user_sgpr_kernarg_segment_ptr 1
		.amdhsa_user_sgpr_dispatch_id 0
		.amdhsa_user_sgpr_flat_scratch_init 0
		.amdhsa_user_sgpr_private_segment_size 0
		.amdhsa_wavefront_size32 1
		.amdhsa_uses_dynamic_stack 0
		.amdhsa_system_sgpr_private_segment_wavefront_offset 0
		.amdhsa_system_sgpr_workgroup_id_x 1
		.amdhsa_system_sgpr_workgroup_id_y 0
		.amdhsa_system_sgpr_workgroup_id_z 0
		.amdhsa_system_sgpr_workgroup_info 0
		.amdhsa_system_vgpr_workitem_id 0
		.amdhsa_next_free_vgpr 71
		.amdhsa_next_free_sgpr 26
		.amdhsa_reserve_vcc 1
		.amdhsa_reserve_flat_scratch 0
		.amdhsa_float_round_mode_32 0
		.amdhsa_float_round_mode_16_64 0
		.amdhsa_float_denorm_mode_32 3
		.amdhsa_float_denorm_mode_16_64 3
		.amdhsa_dx10_clamp 1
		.amdhsa_ieee_mode 1
		.amdhsa_fp16_overflow 0
		.amdhsa_workgroup_processor_mode 1
		.amdhsa_memory_ordered 1
		.amdhsa_forward_progress 1
		.amdhsa_shared_vgpr_count 0
		.amdhsa_exception_fp_ieee_invalid_op 0
		.amdhsa_exception_fp_denorm_src 0
		.amdhsa_exception_fp_ieee_div_zero 0
		.amdhsa_exception_fp_ieee_overflow 0
		.amdhsa_exception_fp_ieee_underflow 0
		.amdhsa_exception_fp_ieee_inexact 0
		.amdhsa_exception_int_div_zero 0
	.end_amdhsa_kernel
	.section	.text._ZN7rocprim17ROCPRIM_400000_NS6detail17trampoline_kernelINS0_13select_configILj256ELj13ELNS0_17block_load_methodE3ELS4_3ELS4_3ELNS0_20block_scan_algorithmE0ELj4294967295EEENS1_25partition_config_selectorILNS1_17partition_subalgoE3EjNS0_10empty_typeEbEEZZNS1_14partition_implILS8_3ELb0ES6_jNS0_17counting_iteratorIjlEEPS9_SE_NS0_5tupleIJPjSE_EEENSF_IJSE_SE_EEES9_SG_JZNS1_25segmented_radix_sort_implINS0_14default_configELb1EPKlPlSM_SN_N2at6native12_GLOBAL__N_18offset_tEEE10hipError_tPvRmT1_PNSt15iterator_traitsISV_E10value_typeET2_T3_PNSW_IS11_E10value_typeET4_jRbjT5_S17_jjP12ihipStream_tbEUljE_EEESS_ST_SU_S11_S15_S17_T6_T7_T9_mT8_S19_bDpT10_ENKUlT_T0_E_clISt17integral_constantIbLb0EES1L_IbLb1EEEEDaS1H_S1I_EUlS1H_E_NS1_11comp_targetILNS1_3genE8ELNS1_11target_archE1030ELNS1_3gpuE2ELNS1_3repE0EEENS1_30default_config_static_selectorELNS0_4arch9wavefront6targetE0EEEvSV_,"axG",@progbits,_ZN7rocprim17ROCPRIM_400000_NS6detail17trampoline_kernelINS0_13select_configILj256ELj13ELNS0_17block_load_methodE3ELS4_3ELS4_3ELNS0_20block_scan_algorithmE0ELj4294967295EEENS1_25partition_config_selectorILNS1_17partition_subalgoE3EjNS0_10empty_typeEbEEZZNS1_14partition_implILS8_3ELb0ES6_jNS0_17counting_iteratorIjlEEPS9_SE_NS0_5tupleIJPjSE_EEENSF_IJSE_SE_EEES9_SG_JZNS1_25segmented_radix_sort_implINS0_14default_configELb1EPKlPlSM_SN_N2at6native12_GLOBAL__N_18offset_tEEE10hipError_tPvRmT1_PNSt15iterator_traitsISV_E10value_typeET2_T3_PNSW_IS11_E10value_typeET4_jRbjT5_S17_jjP12ihipStream_tbEUljE_EEESS_ST_SU_S11_S15_S17_T6_T7_T9_mT8_S19_bDpT10_ENKUlT_T0_E_clISt17integral_constantIbLb0EES1L_IbLb1EEEEDaS1H_S1I_EUlS1H_E_NS1_11comp_targetILNS1_3genE8ELNS1_11target_archE1030ELNS1_3gpuE2ELNS1_3repE0EEENS1_30default_config_static_selectorELNS0_4arch9wavefront6targetE0EEEvSV_,comdat
.Lfunc_end697:
	.size	_ZN7rocprim17ROCPRIM_400000_NS6detail17trampoline_kernelINS0_13select_configILj256ELj13ELNS0_17block_load_methodE3ELS4_3ELS4_3ELNS0_20block_scan_algorithmE0ELj4294967295EEENS1_25partition_config_selectorILNS1_17partition_subalgoE3EjNS0_10empty_typeEbEEZZNS1_14partition_implILS8_3ELb0ES6_jNS0_17counting_iteratorIjlEEPS9_SE_NS0_5tupleIJPjSE_EEENSF_IJSE_SE_EEES9_SG_JZNS1_25segmented_radix_sort_implINS0_14default_configELb1EPKlPlSM_SN_N2at6native12_GLOBAL__N_18offset_tEEE10hipError_tPvRmT1_PNSt15iterator_traitsISV_E10value_typeET2_T3_PNSW_IS11_E10value_typeET4_jRbjT5_S17_jjP12ihipStream_tbEUljE_EEESS_ST_SU_S11_S15_S17_T6_T7_T9_mT8_S19_bDpT10_ENKUlT_T0_E_clISt17integral_constantIbLb0EES1L_IbLb1EEEEDaS1H_S1I_EUlS1H_E_NS1_11comp_targetILNS1_3genE8ELNS1_11target_archE1030ELNS1_3gpuE2ELNS1_3repE0EEENS1_30default_config_static_selectorELNS0_4arch9wavefront6targetE0EEEvSV_, .Lfunc_end697-_ZN7rocprim17ROCPRIM_400000_NS6detail17trampoline_kernelINS0_13select_configILj256ELj13ELNS0_17block_load_methodE3ELS4_3ELS4_3ELNS0_20block_scan_algorithmE0ELj4294967295EEENS1_25partition_config_selectorILNS1_17partition_subalgoE3EjNS0_10empty_typeEbEEZZNS1_14partition_implILS8_3ELb0ES6_jNS0_17counting_iteratorIjlEEPS9_SE_NS0_5tupleIJPjSE_EEENSF_IJSE_SE_EEES9_SG_JZNS1_25segmented_radix_sort_implINS0_14default_configELb1EPKlPlSM_SN_N2at6native12_GLOBAL__N_18offset_tEEE10hipError_tPvRmT1_PNSt15iterator_traitsISV_E10value_typeET2_T3_PNSW_IS11_E10value_typeET4_jRbjT5_S17_jjP12ihipStream_tbEUljE_EEESS_ST_SU_S11_S15_S17_T6_T7_T9_mT8_S19_bDpT10_ENKUlT_T0_E_clISt17integral_constantIbLb0EES1L_IbLb1EEEEDaS1H_S1I_EUlS1H_E_NS1_11comp_targetILNS1_3genE8ELNS1_11target_archE1030ELNS1_3gpuE2ELNS1_3repE0EEENS1_30default_config_static_selectorELNS0_4arch9wavefront6targetE0EEEvSV_
                                        ; -- End function
	.set _ZN7rocprim17ROCPRIM_400000_NS6detail17trampoline_kernelINS0_13select_configILj256ELj13ELNS0_17block_load_methodE3ELS4_3ELS4_3ELNS0_20block_scan_algorithmE0ELj4294967295EEENS1_25partition_config_selectorILNS1_17partition_subalgoE3EjNS0_10empty_typeEbEEZZNS1_14partition_implILS8_3ELb0ES6_jNS0_17counting_iteratorIjlEEPS9_SE_NS0_5tupleIJPjSE_EEENSF_IJSE_SE_EEES9_SG_JZNS1_25segmented_radix_sort_implINS0_14default_configELb1EPKlPlSM_SN_N2at6native12_GLOBAL__N_18offset_tEEE10hipError_tPvRmT1_PNSt15iterator_traitsISV_E10value_typeET2_T3_PNSW_IS11_E10value_typeET4_jRbjT5_S17_jjP12ihipStream_tbEUljE_EEESS_ST_SU_S11_S15_S17_T6_T7_T9_mT8_S19_bDpT10_ENKUlT_T0_E_clISt17integral_constantIbLb0EES1L_IbLb1EEEEDaS1H_S1I_EUlS1H_E_NS1_11comp_targetILNS1_3genE8ELNS1_11target_archE1030ELNS1_3gpuE2ELNS1_3repE0EEENS1_30default_config_static_selectorELNS0_4arch9wavefront6targetE0EEEvSV_.num_vgpr, 71
	.set _ZN7rocprim17ROCPRIM_400000_NS6detail17trampoline_kernelINS0_13select_configILj256ELj13ELNS0_17block_load_methodE3ELS4_3ELS4_3ELNS0_20block_scan_algorithmE0ELj4294967295EEENS1_25partition_config_selectorILNS1_17partition_subalgoE3EjNS0_10empty_typeEbEEZZNS1_14partition_implILS8_3ELb0ES6_jNS0_17counting_iteratorIjlEEPS9_SE_NS0_5tupleIJPjSE_EEENSF_IJSE_SE_EEES9_SG_JZNS1_25segmented_radix_sort_implINS0_14default_configELb1EPKlPlSM_SN_N2at6native12_GLOBAL__N_18offset_tEEE10hipError_tPvRmT1_PNSt15iterator_traitsISV_E10value_typeET2_T3_PNSW_IS11_E10value_typeET4_jRbjT5_S17_jjP12ihipStream_tbEUljE_EEESS_ST_SU_S11_S15_S17_T6_T7_T9_mT8_S19_bDpT10_ENKUlT_T0_E_clISt17integral_constantIbLb0EES1L_IbLb1EEEEDaS1H_S1I_EUlS1H_E_NS1_11comp_targetILNS1_3genE8ELNS1_11target_archE1030ELNS1_3gpuE2ELNS1_3repE0EEENS1_30default_config_static_selectorELNS0_4arch9wavefront6targetE0EEEvSV_.num_agpr, 0
	.set _ZN7rocprim17ROCPRIM_400000_NS6detail17trampoline_kernelINS0_13select_configILj256ELj13ELNS0_17block_load_methodE3ELS4_3ELS4_3ELNS0_20block_scan_algorithmE0ELj4294967295EEENS1_25partition_config_selectorILNS1_17partition_subalgoE3EjNS0_10empty_typeEbEEZZNS1_14partition_implILS8_3ELb0ES6_jNS0_17counting_iteratorIjlEEPS9_SE_NS0_5tupleIJPjSE_EEENSF_IJSE_SE_EEES9_SG_JZNS1_25segmented_radix_sort_implINS0_14default_configELb1EPKlPlSM_SN_N2at6native12_GLOBAL__N_18offset_tEEE10hipError_tPvRmT1_PNSt15iterator_traitsISV_E10value_typeET2_T3_PNSW_IS11_E10value_typeET4_jRbjT5_S17_jjP12ihipStream_tbEUljE_EEESS_ST_SU_S11_S15_S17_T6_T7_T9_mT8_S19_bDpT10_ENKUlT_T0_E_clISt17integral_constantIbLb0EES1L_IbLb1EEEEDaS1H_S1I_EUlS1H_E_NS1_11comp_targetILNS1_3genE8ELNS1_11target_archE1030ELNS1_3gpuE2ELNS1_3repE0EEENS1_30default_config_static_selectorELNS0_4arch9wavefront6targetE0EEEvSV_.numbered_sgpr, 26
	.set _ZN7rocprim17ROCPRIM_400000_NS6detail17trampoline_kernelINS0_13select_configILj256ELj13ELNS0_17block_load_methodE3ELS4_3ELS4_3ELNS0_20block_scan_algorithmE0ELj4294967295EEENS1_25partition_config_selectorILNS1_17partition_subalgoE3EjNS0_10empty_typeEbEEZZNS1_14partition_implILS8_3ELb0ES6_jNS0_17counting_iteratorIjlEEPS9_SE_NS0_5tupleIJPjSE_EEENSF_IJSE_SE_EEES9_SG_JZNS1_25segmented_radix_sort_implINS0_14default_configELb1EPKlPlSM_SN_N2at6native12_GLOBAL__N_18offset_tEEE10hipError_tPvRmT1_PNSt15iterator_traitsISV_E10value_typeET2_T3_PNSW_IS11_E10value_typeET4_jRbjT5_S17_jjP12ihipStream_tbEUljE_EEESS_ST_SU_S11_S15_S17_T6_T7_T9_mT8_S19_bDpT10_ENKUlT_T0_E_clISt17integral_constantIbLb0EES1L_IbLb1EEEEDaS1H_S1I_EUlS1H_E_NS1_11comp_targetILNS1_3genE8ELNS1_11target_archE1030ELNS1_3gpuE2ELNS1_3repE0EEENS1_30default_config_static_selectorELNS0_4arch9wavefront6targetE0EEEvSV_.num_named_barrier, 0
	.set _ZN7rocprim17ROCPRIM_400000_NS6detail17trampoline_kernelINS0_13select_configILj256ELj13ELNS0_17block_load_methodE3ELS4_3ELS4_3ELNS0_20block_scan_algorithmE0ELj4294967295EEENS1_25partition_config_selectorILNS1_17partition_subalgoE3EjNS0_10empty_typeEbEEZZNS1_14partition_implILS8_3ELb0ES6_jNS0_17counting_iteratorIjlEEPS9_SE_NS0_5tupleIJPjSE_EEENSF_IJSE_SE_EEES9_SG_JZNS1_25segmented_radix_sort_implINS0_14default_configELb1EPKlPlSM_SN_N2at6native12_GLOBAL__N_18offset_tEEE10hipError_tPvRmT1_PNSt15iterator_traitsISV_E10value_typeET2_T3_PNSW_IS11_E10value_typeET4_jRbjT5_S17_jjP12ihipStream_tbEUljE_EEESS_ST_SU_S11_S15_S17_T6_T7_T9_mT8_S19_bDpT10_ENKUlT_T0_E_clISt17integral_constantIbLb0EES1L_IbLb1EEEEDaS1H_S1I_EUlS1H_E_NS1_11comp_targetILNS1_3genE8ELNS1_11target_archE1030ELNS1_3gpuE2ELNS1_3repE0EEENS1_30default_config_static_selectorELNS0_4arch9wavefront6targetE0EEEvSV_.private_seg_size, 0
	.set _ZN7rocprim17ROCPRIM_400000_NS6detail17trampoline_kernelINS0_13select_configILj256ELj13ELNS0_17block_load_methodE3ELS4_3ELS4_3ELNS0_20block_scan_algorithmE0ELj4294967295EEENS1_25partition_config_selectorILNS1_17partition_subalgoE3EjNS0_10empty_typeEbEEZZNS1_14partition_implILS8_3ELb0ES6_jNS0_17counting_iteratorIjlEEPS9_SE_NS0_5tupleIJPjSE_EEENSF_IJSE_SE_EEES9_SG_JZNS1_25segmented_radix_sort_implINS0_14default_configELb1EPKlPlSM_SN_N2at6native12_GLOBAL__N_18offset_tEEE10hipError_tPvRmT1_PNSt15iterator_traitsISV_E10value_typeET2_T3_PNSW_IS11_E10value_typeET4_jRbjT5_S17_jjP12ihipStream_tbEUljE_EEESS_ST_SU_S11_S15_S17_T6_T7_T9_mT8_S19_bDpT10_ENKUlT_T0_E_clISt17integral_constantIbLb0EES1L_IbLb1EEEEDaS1H_S1I_EUlS1H_E_NS1_11comp_targetILNS1_3genE8ELNS1_11target_archE1030ELNS1_3gpuE2ELNS1_3repE0EEENS1_30default_config_static_selectorELNS0_4arch9wavefront6targetE0EEEvSV_.uses_vcc, 1
	.set _ZN7rocprim17ROCPRIM_400000_NS6detail17trampoline_kernelINS0_13select_configILj256ELj13ELNS0_17block_load_methodE3ELS4_3ELS4_3ELNS0_20block_scan_algorithmE0ELj4294967295EEENS1_25partition_config_selectorILNS1_17partition_subalgoE3EjNS0_10empty_typeEbEEZZNS1_14partition_implILS8_3ELb0ES6_jNS0_17counting_iteratorIjlEEPS9_SE_NS0_5tupleIJPjSE_EEENSF_IJSE_SE_EEES9_SG_JZNS1_25segmented_radix_sort_implINS0_14default_configELb1EPKlPlSM_SN_N2at6native12_GLOBAL__N_18offset_tEEE10hipError_tPvRmT1_PNSt15iterator_traitsISV_E10value_typeET2_T3_PNSW_IS11_E10value_typeET4_jRbjT5_S17_jjP12ihipStream_tbEUljE_EEESS_ST_SU_S11_S15_S17_T6_T7_T9_mT8_S19_bDpT10_ENKUlT_T0_E_clISt17integral_constantIbLb0EES1L_IbLb1EEEEDaS1H_S1I_EUlS1H_E_NS1_11comp_targetILNS1_3genE8ELNS1_11target_archE1030ELNS1_3gpuE2ELNS1_3repE0EEENS1_30default_config_static_selectorELNS0_4arch9wavefront6targetE0EEEvSV_.uses_flat_scratch, 0
	.set _ZN7rocprim17ROCPRIM_400000_NS6detail17trampoline_kernelINS0_13select_configILj256ELj13ELNS0_17block_load_methodE3ELS4_3ELS4_3ELNS0_20block_scan_algorithmE0ELj4294967295EEENS1_25partition_config_selectorILNS1_17partition_subalgoE3EjNS0_10empty_typeEbEEZZNS1_14partition_implILS8_3ELb0ES6_jNS0_17counting_iteratorIjlEEPS9_SE_NS0_5tupleIJPjSE_EEENSF_IJSE_SE_EEES9_SG_JZNS1_25segmented_radix_sort_implINS0_14default_configELb1EPKlPlSM_SN_N2at6native12_GLOBAL__N_18offset_tEEE10hipError_tPvRmT1_PNSt15iterator_traitsISV_E10value_typeET2_T3_PNSW_IS11_E10value_typeET4_jRbjT5_S17_jjP12ihipStream_tbEUljE_EEESS_ST_SU_S11_S15_S17_T6_T7_T9_mT8_S19_bDpT10_ENKUlT_T0_E_clISt17integral_constantIbLb0EES1L_IbLb1EEEEDaS1H_S1I_EUlS1H_E_NS1_11comp_targetILNS1_3genE8ELNS1_11target_archE1030ELNS1_3gpuE2ELNS1_3repE0EEENS1_30default_config_static_selectorELNS0_4arch9wavefront6targetE0EEEvSV_.has_dyn_sized_stack, 0
	.set _ZN7rocprim17ROCPRIM_400000_NS6detail17trampoline_kernelINS0_13select_configILj256ELj13ELNS0_17block_load_methodE3ELS4_3ELS4_3ELNS0_20block_scan_algorithmE0ELj4294967295EEENS1_25partition_config_selectorILNS1_17partition_subalgoE3EjNS0_10empty_typeEbEEZZNS1_14partition_implILS8_3ELb0ES6_jNS0_17counting_iteratorIjlEEPS9_SE_NS0_5tupleIJPjSE_EEENSF_IJSE_SE_EEES9_SG_JZNS1_25segmented_radix_sort_implINS0_14default_configELb1EPKlPlSM_SN_N2at6native12_GLOBAL__N_18offset_tEEE10hipError_tPvRmT1_PNSt15iterator_traitsISV_E10value_typeET2_T3_PNSW_IS11_E10value_typeET4_jRbjT5_S17_jjP12ihipStream_tbEUljE_EEESS_ST_SU_S11_S15_S17_T6_T7_T9_mT8_S19_bDpT10_ENKUlT_T0_E_clISt17integral_constantIbLb0EES1L_IbLb1EEEEDaS1H_S1I_EUlS1H_E_NS1_11comp_targetILNS1_3genE8ELNS1_11target_archE1030ELNS1_3gpuE2ELNS1_3repE0EEENS1_30default_config_static_selectorELNS0_4arch9wavefront6targetE0EEEvSV_.has_recursion, 0
	.set _ZN7rocprim17ROCPRIM_400000_NS6detail17trampoline_kernelINS0_13select_configILj256ELj13ELNS0_17block_load_methodE3ELS4_3ELS4_3ELNS0_20block_scan_algorithmE0ELj4294967295EEENS1_25partition_config_selectorILNS1_17partition_subalgoE3EjNS0_10empty_typeEbEEZZNS1_14partition_implILS8_3ELb0ES6_jNS0_17counting_iteratorIjlEEPS9_SE_NS0_5tupleIJPjSE_EEENSF_IJSE_SE_EEES9_SG_JZNS1_25segmented_radix_sort_implINS0_14default_configELb1EPKlPlSM_SN_N2at6native12_GLOBAL__N_18offset_tEEE10hipError_tPvRmT1_PNSt15iterator_traitsISV_E10value_typeET2_T3_PNSW_IS11_E10value_typeET4_jRbjT5_S17_jjP12ihipStream_tbEUljE_EEESS_ST_SU_S11_S15_S17_T6_T7_T9_mT8_S19_bDpT10_ENKUlT_T0_E_clISt17integral_constantIbLb0EES1L_IbLb1EEEEDaS1H_S1I_EUlS1H_E_NS1_11comp_targetILNS1_3genE8ELNS1_11target_archE1030ELNS1_3gpuE2ELNS1_3repE0EEENS1_30default_config_static_selectorELNS0_4arch9wavefront6targetE0EEEvSV_.has_indirect_call, 0
	.section	.AMDGPU.csdata,"",@progbits
; Kernel info:
; codeLenInByte = 8704
; TotalNumSgprs: 28
; NumVgprs: 71
; ScratchSize: 0
; MemoryBound: 0
; FloatMode: 240
; IeeeMode: 1
; LDSByteSize: 13320 bytes/workgroup (compile time only)
; SGPRBlocks: 0
; VGPRBlocks: 8
; NumSGPRsForWavesPerEU: 28
; NumVGPRsForWavesPerEU: 71
; Occupancy: 12
; WaveLimiterHint : 0
; COMPUTE_PGM_RSRC2:SCRATCH_EN: 0
; COMPUTE_PGM_RSRC2:USER_SGPR: 6
; COMPUTE_PGM_RSRC2:TRAP_HANDLER: 0
; COMPUTE_PGM_RSRC2:TGID_X_EN: 1
; COMPUTE_PGM_RSRC2:TGID_Y_EN: 0
; COMPUTE_PGM_RSRC2:TGID_Z_EN: 0
; COMPUTE_PGM_RSRC2:TIDIG_COMP_CNT: 0
	.section	.text._ZN7rocprim17ROCPRIM_400000_NS6detail17trampoline_kernelINS0_14default_configENS1_36segmented_radix_sort_config_selectorIllEEZNS1_25segmented_radix_sort_implIS3_Lb1EPKlPlS8_S9_N2at6native12_GLOBAL__N_18offset_tEEE10hipError_tPvRmT1_PNSt15iterator_traitsISH_E10value_typeET2_T3_PNSI_ISN_E10value_typeET4_jRbjT5_ST_jjP12ihipStream_tbEUlT_E_NS1_11comp_targetILNS1_3genE0ELNS1_11target_archE4294967295ELNS1_3gpuE0ELNS1_3repE0EEENS1_30default_config_static_selectorELNS0_4arch9wavefront6targetE0EEEvSH_,"axG",@progbits,_ZN7rocprim17ROCPRIM_400000_NS6detail17trampoline_kernelINS0_14default_configENS1_36segmented_radix_sort_config_selectorIllEEZNS1_25segmented_radix_sort_implIS3_Lb1EPKlPlS8_S9_N2at6native12_GLOBAL__N_18offset_tEEE10hipError_tPvRmT1_PNSt15iterator_traitsISH_E10value_typeET2_T3_PNSI_ISN_E10value_typeET4_jRbjT5_ST_jjP12ihipStream_tbEUlT_E_NS1_11comp_targetILNS1_3genE0ELNS1_11target_archE4294967295ELNS1_3gpuE0ELNS1_3repE0EEENS1_30default_config_static_selectorELNS0_4arch9wavefront6targetE0EEEvSH_,comdat
	.globl	_ZN7rocprim17ROCPRIM_400000_NS6detail17trampoline_kernelINS0_14default_configENS1_36segmented_radix_sort_config_selectorIllEEZNS1_25segmented_radix_sort_implIS3_Lb1EPKlPlS8_S9_N2at6native12_GLOBAL__N_18offset_tEEE10hipError_tPvRmT1_PNSt15iterator_traitsISH_E10value_typeET2_T3_PNSI_ISN_E10value_typeET4_jRbjT5_ST_jjP12ihipStream_tbEUlT_E_NS1_11comp_targetILNS1_3genE0ELNS1_11target_archE4294967295ELNS1_3gpuE0ELNS1_3repE0EEENS1_30default_config_static_selectorELNS0_4arch9wavefront6targetE0EEEvSH_ ; -- Begin function _ZN7rocprim17ROCPRIM_400000_NS6detail17trampoline_kernelINS0_14default_configENS1_36segmented_radix_sort_config_selectorIllEEZNS1_25segmented_radix_sort_implIS3_Lb1EPKlPlS8_S9_N2at6native12_GLOBAL__N_18offset_tEEE10hipError_tPvRmT1_PNSt15iterator_traitsISH_E10value_typeET2_T3_PNSI_ISN_E10value_typeET4_jRbjT5_ST_jjP12ihipStream_tbEUlT_E_NS1_11comp_targetILNS1_3genE0ELNS1_11target_archE4294967295ELNS1_3gpuE0ELNS1_3repE0EEENS1_30default_config_static_selectorELNS0_4arch9wavefront6targetE0EEEvSH_
	.p2align	8
	.type	_ZN7rocprim17ROCPRIM_400000_NS6detail17trampoline_kernelINS0_14default_configENS1_36segmented_radix_sort_config_selectorIllEEZNS1_25segmented_radix_sort_implIS3_Lb1EPKlPlS8_S9_N2at6native12_GLOBAL__N_18offset_tEEE10hipError_tPvRmT1_PNSt15iterator_traitsISH_E10value_typeET2_T3_PNSI_ISN_E10value_typeET4_jRbjT5_ST_jjP12ihipStream_tbEUlT_E_NS1_11comp_targetILNS1_3genE0ELNS1_11target_archE4294967295ELNS1_3gpuE0ELNS1_3repE0EEENS1_30default_config_static_selectorELNS0_4arch9wavefront6targetE0EEEvSH_,@function
_ZN7rocprim17ROCPRIM_400000_NS6detail17trampoline_kernelINS0_14default_configENS1_36segmented_radix_sort_config_selectorIllEEZNS1_25segmented_radix_sort_implIS3_Lb1EPKlPlS8_S9_N2at6native12_GLOBAL__N_18offset_tEEE10hipError_tPvRmT1_PNSt15iterator_traitsISH_E10value_typeET2_T3_PNSI_ISN_E10value_typeET4_jRbjT5_ST_jjP12ihipStream_tbEUlT_E_NS1_11comp_targetILNS1_3genE0ELNS1_11target_archE4294967295ELNS1_3gpuE0ELNS1_3repE0EEENS1_30default_config_static_selectorELNS0_4arch9wavefront6targetE0EEEvSH_: ; @_ZN7rocprim17ROCPRIM_400000_NS6detail17trampoline_kernelINS0_14default_configENS1_36segmented_radix_sort_config_selectorIllEEZNS1_25segmented_radix_sort_implIS3_Lb1EPKlPlS8_S9_N2at6native12_GLOBAL__N_18offset_tEEE10hipError_tPvRmT1_PNSt15iterator_traitsISH_E10value_typeET2_T3_PNSI_ISN_E10value_typeET4_jRbjT5_ST_jjP12ihipStream_tbEUlT_E_NS1_11comp_targetILNS1_3genE0ELNS1_11target_archE4294967295ELNS1_3gpuE0ELNS1_3repE0EEENS1_30default_config_static_selectorELNS0_4arch9wavefront6targetE0EEEvSH_
; %bb.0:
	.section	.rodata,"a",@progbits
	.p2align	6, 0x0
	.amdhsa_kernel _ZN7rocprim17ROCPRIM_400000_NS6detail17trampoline_kernelINS0_14default_configENS1_36segmented_radix_sort_config_selectorIllEEZNS1_25segmented_radix_sort_implIS3_Lb1EPKlPlS8_S9_N2at6native12_GLOBAL__N_18offset_tEEE10hipError_tPvRmT1_PNSt15iterator_traitsISH_E10value_typeET2_T3_PNSI_ISN_E10value_typeET4_jRbjT5_ST_jjP12ihipStream_tbEUlT_E_NS1_11comp_targetILNS1_3genE0ELNS1_11target_archE4294967295ELNS1_3gpuE0ELNS1_3repE0EEENS1_30default_config_static_selectorELNS0_4arch9wavefront6targetE0EEEvSH_
		.amdhsa_group_segment_fixed_size 0
		.amdhsa_private_segment_fixed_size 0
		.amdhsa_kernarg_size 96
		.amdhsa_user_sgpr_count 6
		.amdhsa_user_sgpr_private_segment_buffer 1
		.amdhsa_user_sgpr_dispatch_ptr 0
		.amdhsa_user_sgpr_queue_ptr 0
		.amdhsa_user_sgpr_kernarg_segment_ptr 1
		.amdhsa_user_sgpr_dispatch_id 0
		.amdhsa_user_sgpr_flat_scratch_init 0
		.amdhsa_user_sgpr_private_segment_size 0
		.amdhsa_wavefront_size32 1
		.amdhsa_uses_dynamic_stack 0
		.amdhsa_system_sgpr_private_segment_wavefront_offset 0
		.amdhsa_system_sgpr_workgroup_id_x 1
		.amdhsa_system_sgpr_workgroup_id_y 0
		.amdhsa_system_sgpr_workgroup_id_z 0
		.amdhsa_system_sgpr_workgroup_info 0
		.amdhsa_system_vgpr_workitem_id 0
		.amdhsa_next_free_vgpr 1
		.amdhsa_next_free_sgpr 1
		.amdhsa_reserve_vcc 0
		.amdhsa_reserve_flat_scratch 0
		.amdhsa_float_round_mode_32 0
		.amdhsa_float_round_mode_16_64 0
		.amdhsa_float_denorm_mode_32 3
		.amdhsa_float_denorm_mode_16_64 3
		.amdhsa_dx10_clamp 1
		.amdhsa_ieee_mode 1
		.amdhsa_fp16_overflow 0
		.amdhsa_workgroup_processor_mode 1
		.amdhsa_memory_ordered 1
		.amdhsa_forward_progress 1
		.amdhsa_shared_vgpr_count 0
		.amdhsa_exception_fp_ieee_invalid_op 0
		.amdhsa_exception_fp_denorm_src 0
		.amdhsa_exception_fp_ieee_div_zero 0
		.amdhsa_exception_fp_ieee_overflow 0
		.amdhsa_exception_fp_ieee_underflow 0
		.amdhsa_exception_fp_ieee_inexact 0
		.amdhsa_exception_int_div_zero 0
	.end_amdhsa_kernel
	.section	.text._ZN7rocprim17ROCPRIM_400000_NS6detail17trampoline_kernelINS0_14default_configENS1_36segmented_radix_sort_config_selectorIllEEZNS1_25segmented_radix_sort_implIS3_Lb1EPKlPlS8_S9_N2at6native12_GLOBAL__N_18offset_tEEE10hipError_tPvRmT1_PNSt15iterator_traitsISH_E10value_typeET2_T3_PNSI_ISN_E10value_typeET4_jRbjT5_ST_jjP12ihipStream_tbEUlT_E_NS1_11comp_targetILNS1_3genE0ELNS1_11target_archE4294967295ELNS1_3gpuE0ELNS1_3repE0EEENS1_30default_config_static_selectorELNS0_4arch9wavefront6targetE0EEEvSH_,"axG",@progbits,_ZN7rocprim17ROCPRIM_400000_NS6detail17trampoline_kernelINS0_14default_configENS1_36segmented_radix_sort_config_selectorIllEEZNS1_25segmented_radix_sort_implIS3_Lb1EPKlPlS8_S9_N2at6native12_GLOBAL__N_18offset_tEEE10hipError_tPvRmT1_PNSt15iterator_traitsISH_E10value_typeET2_T3_PNSI_ISN_E10value_typeET4_jRbjT5_ST_jjP12ihipStream_tbEUlT_E_NS1_11comp_targetILNS1_3genE0ELNS1_11target_archE4294967295ELNS1_3gpuE0ELNS1_3repE0EEENS1_30default_config_static_selectorELNS0_4arch9wavefront6targetE0EEEvSH_,comdat
.Lfunc_end698:
	.size	_ZN7rocprim17ROCPRIM_400000_NS6detail17trampoline_kernelINS0_14default_configENS1_36segmented_radix_sort_config_selectorIllEEZNS1_25segmented_radix_sort_implIS3_Lb1EPKlPlS8_S9_N2at6native12_GLOBAL__N_18offset_tEEE10hipError_tPvRmT1_PNSt15iterator_traitsISH_E10value_typeET2_T3_PNSI_ISN_E10value_typeET4_jRbjT5_ST_jjP12ihipStream_tbEUlT_E_NS1_11comp_targetILNS1_3genE0ELNS1_11target_archE4294967295ELNS1_3gpuE0ELNS1_3repE0EEENS1_30default_config_static_selectorELNS0_4arch9wavefront6targetE0EEEvSH_, .Lfunc_end698-_ZN7rocprim17ROCPRIM_400000_NS6detail17trampoline_kernelINS0_14default_configENS1_36segmented_radix_sort_config_selectorIllEEZNS1_25segmented_radix_sort_implIS3_Lb1EPKlPlS8_S9_N2at6native12_GLOBAL__N_18offset_tEEE10hipError_tPvRmT1_PNSt15iterator_traitsISH_E10value_typeET2_T3_PNSI_ISN_E10value_typeET4_jRbjT5_ST_jjP12ihipStream_tbEUlT_E_NS1_11comp_targetILNS1_3genE0ELNS1_11target_archE4294967295ELNS1_3gpuE0ELNS1_3repE0EEENS1_30default_config_static_selectorELNS0_4arch9wavefront6targetE0EEEvSH_
                                        ; -- End function
	.set _ZN7rocprim17ROCPRIM_400000_NS6detail17trampoline_kernelINS0_14default_configENS1_36segmented_radix_sort_config_selectorIllEEZNS1_25segmented_radix_sort_implIS3_Lb1EPKlPlS8_S9_N2at6native12_GLOBAL__N_18offset_tEEE10hipError_tPvRmT1_PNSt15iterator_traitsISH_E10value_typeET2_T3_PNSI_ISN_E10value_typeET4_jRbjT5_ST_jjP12ihipStream_tbEUlT_E_NS1_11comp_targetILNS1_3genE0ELNS1_11target_archE4294967295ELNS1_3gpuE0ELNS1_3repE0EEENS1_30default_config_static_selectorELNS0_4arch9wavefront6targetE0EEEvSH_.num_vgpr, 0
	.set _ZN7rocprim17ROCPRIM_400000_NS6detail17trampoline_kernelINS0_14default_configENS1_36segmented_radix_sort_config_selectorIllEEZNS1_25segmented_radix_sort_implIS3_Lb1EPKlPlS8_S9_N2at6native12_GLOBAL__N_18offset_tEEE10hipError_tPvRmT1_PNSt15iterator_traitsISH_E10value_typeET2_T3_PNSI_ISN_E10value_typeET4_jRbjT5_ST_jjP12ihipStream_tbEUlT_E_NS1_11comp_targetILNS1_3genE0ELNS1_11target_archE4294967295ELNS1_3gpuE0ELNS1_3repE0EEENS1_30default_config_static_selectorELNS0_4arch9wavefront6targetE0EEEvSH_.num_agpr, 0
	.set _ZN7rocprim17ROCPRIM_400000_NS6detail17trampoline_kernelINS0_14default_configENS1_36segmented_radix_sort_config_selectorIllEEZNS1_25segmented_radix_sort_implIS3_Lb1EPKlPlS8_S9_N2at6native12_GLOBAL__N_18offset_tEEE10hipError_tPvRmT1_PNSt15iterator_traitsISH_E10value_typeET2_T3_PNSI_ISN_E10value_typeET4_jRbjT5_ST_jjP12ihipStream_tbEUlT_E_NS1_11comp_targetILNS1_3genE0ELNS1_11target_archE4294967295ELNS1_3gpuE0ELNS1_3repE0EEENS1_30default_config_static_selectorELNS0_4arch9wavefront6targetE0EEEvSH_.numbered_sgpr, 0
	.set _ZN7rocprim17ROCPRIM_400000_NS6detail17trampoline_kernelINS0_14default_configENS1_36segmented_radix_sort_config_selectorIllEEZNS1_25segmented_radix_sort_implIS3_Lb1EPKlPlS8_S9_N2at6native12_GLOBAL__N_18offset_tEEE10hipError_tPvRmT1_PNSt15iterator_traitsISH_E10value_typeET2_T3_PNSI_ISN_E10value_typeET4_jRbjT5_ST_jjP12ihipStream_tbEUlT_E_NS1_11comp_targetILNS1_3genE0ELNS1_11target_archE4294967295ELNS1_3gpuE0ELNS1_3repE0EEENS1_30default_config_static_selectorELNS0_4arch9wavefront6targetE0EEEvSH_.num_named_barrier, 0
	.set _ZN7rocprim17ROCPRIM_400000_NS6detail17trampoline_kernelINS0_14default_configENS1_36segmented_radix_sort_config_selectorIllEEZNS1_25segmented_radix_sort_implIS3_Lb1EPKlPlS8_S9_N2at6native12_GLOBAL__N_18offset_tEEE10hipError_tPvRmT1_PNSt15iterator_traitsISH_E10value_typeET2_T3_PNSI_ISN_E10value_typeET4_jRbjT5_ST_jjP12ihipStream_tbEUlT_E_NS1_11comp_targetILNS1_3genE0ELNS1_11target_archE4294967295ELNS1_3gpuE0ELNS1_3repE0EEENS1_30default_config_static_selectorELNS0_4arch9wavefront6targetE0EEEvSH_.private_seg_size, 0
	.set _ZN7rocprim17ROCPRIM_400000_NS6detail17trampoline_kernelINS0_14default_configENS1_36segmented_radix_sort_config_selectorIllEEZNS1_25segmented_radix_sort_implIS3_Lb1EPKlPlS8_S9_N2at6native12_GLOBAL__N_18offset_tEEE10hipError_tPvRmT1_PNSt15iterator_traitsISH_E10value_typeET2_T3_PNSI_ISN_E10value_typeET4_jRbjT5_ST_jjP12ihipStream_tbEUlT_E_NS1_11comp_targetILNS1_3genE0ELNS1_11target_archE4294967295ELNS1_3gpuE0ELNS1_3repE0EEENS1_30default_config_static_selectorELNS0_4arch9wavefront6targetE0EEEvSH_.uses_vcc, 0
	.set _ZN7rocprim17ROCPRIM_400000_NS6detail17trampoline_kernelINS0_14default_configENS1_36segmented_radix_sort_config_selectorIllEEZNS1_25segmented_radix_sort_implIS3_Lb1EPKlPlS8_S9_N2at6native12_GLOBAL__N_18offset_tEEE10hipError_tPvRmT1_PNSt15iterator_traitsISH_E10value_typeET2_T3_PNSI_ISN_E10value_typeET4_jRbjT5_ST_jjP12ihipStream_tbEUlT_E_NS1_11comp_targetILNS1_3genE0ELNS1_11target_archE4294967295ELNS1_3gpuE0ELNS1_3repE0EEENS1_30default_config_static_selectorELNS0_4arch9wavefront6targetE0EEEvSH_.uses_flat_scratch, 0
	.set _ZN7rocprim17ROCPRIM_400000_NS6detail17trampoline_kernelINS0_14default_configENS1_36segmented_radix_sort_config_selectorIllEEZNS1_25segmented_radix_sort_implIS3_Lb1EPKlPlS8_S9_N2at6native12_GLOBAL__N_18offset_tEEE10hipError_tPvRmT1_PNSt15iterator_traitsISH_E10value_typeET2_T3_PNSI_ISN_E10value_typeET4_jRbjT5_ST_jjP12ihipStream_tbEUlT_E_NS1_11comp_targetILNS1_3genE0ELNS1_11target_archE4294967295ELNS1_3gpuE0ELNS1_3repE0EEENS1_30default_config_static_selectorELNS0_4arch9wavefront6targetE0EEEvSH_.has_dyn_sized_stack, 0
	.set _ZN7rocprim17ROCPRIM_400000_NS6detail17trampoline_kernelINS0_14default_configENS1_36segmented_radix_sort_config_selectorIllEEZNS1_25segmented_radix_sort_implIS3_Lb1EPKlPlS8_S9_N2at6native12_GLOBAL__N_18offset_tEEE10hipError_tPvRmT1_PNSt15iterator_traitsISH_E10value_typeET2_T3_PNSI_ISN_E10value_typeET4_jRbjT5_ST_jjP12ihipStream_tbEUlT_E_NS1_11comp_targetILNS1_3genE0ELNS1_11target_archE4294967295ELNS1_3gpuE0ELNS1_3repE0EEENS1_30default_config_static_selectorELNS0_4arch9wavefront6targetE0EEEvSH_.has_recursion, 0
	.set _ZN7rocprim17ROCPRIM_400000_NS6detail17trampoline_kernelINS0_14default_configENS1_36segmented_radix_sort_config_selectorIllEEZNS1_25segmented_radix_sort_implIS3_Lb1EPKlPlS8_S9_N2at6native12_GLOBAL__N_18offset_tEEE10hipError_tPvRmT1_PNSt15iterator_traitsISH_E10value_typeET2_T3_PNSI_ISN_E10value_typeET4_jRbjT5_ST_jjP12ihipStream_tbEUlT_E_NS1_11comp_targetILNS1_3genE0ELNS1_11target_archE4294967295ELNS1_3gpuE0ELNS1_3repE0EEENS1_30default_config_static_selectorELNS0_4arch9wavefront6targetE0EEEvSH_.has_indirect_call, 0
	.section	.AMDGPU.csdata,"",@progbits
; Kernel info:
; codeLenInByte = 0
; TotalNumSgprs: 0
; NumVgprs: 0
; ScratchSize: 0
; MemoryBound: 0
; FloatMode: 240
; IeeeMode: 1
; LDSByteSize: 0 bytes/workgroup (compile time only)
; SGPRBlocks: 0
; VGPRBlocks: 0
; NumSGPRsForWavesPerEU: 1
; NumVGPRsForWavesPerEU: 1
; Occupancy: 16
; WaveLimiterHint : 0
; COMPUTE_PGM_RSRC2:SCRATCH_EN: 0
; COMPUTE_PGM_RSRC2:USER_SGPR: 6
; COMPUTE_PGM_RSRC2:TRAP_HANDLER: 0
; COMPUTE_PGM_RSRC2:TGID_X_EN: 1
; COMPUTE_PGM_RSRC2:TGID_Y_EN: 0
; COMPUTE_PGM_RSRC2:TGID_Z_EN: 0
; COMPUTE_PGM_RSRC2:TIDIG_COMP_CNT: 0
	.section	.text._ZN7rocprim17ROCPRIM_400000_NS6detail17trampoline_kernelINS0_14default_configENS1_36segmented_radix_sort_config_selectorIllEEZNS1_25segmented_radix_sort_implIS3_Lb1EPKlPlS8_S9_N2at6native12_GLOBAL__N_18offset_tEEE10hipError_tPvRmT1_PNSt15iterator_traitsISH_E10value_typeET2_T3_PNSI_ISN_E10value_typeET4_jRbjT5_ST_jjP12ihipStream_tbEUlT_E_NS1_11comp_targetILNS1_3genE5ELNS1_11target_archE942ELNS1_3gpuE9ELNS1_3repE0EEENS1_30default_config_static_selectorELNS0_4arch9wavefront6targetE0EEEvSH_,"axG",@progbits,_ZN7rocprim17ROCPRIM_400000_NS6detail17trampoline_kernelINS0_14default_configENS1_36segmented_radix_sort_config_selectorIllEEZNS1_25segmented_radix_sort_implIS3_Lb1EPKlPlS8_S9_N2at6native12_GLOBAL__N_18offset_tEEE10hipError_tPvRmT1_PNSt15iterator_traitsISH_E10value_typeET2_T3_PNSI_ISN_E10value_typeET4_jRbjT5_ST_jjP12ihipStream_tbEUlT_E_NS1_11comp_targetILNS1_3genE5ELNS1_11target_archE942ELNS1_3gpuE9ELNS1_3repE0EEENS1_30default_config_static_selectorELNS0_4arch9wavefront6targetE0EEEvSH_,comdat
	.globl	_ZN7rocprim17ROCPRIM_400000_NS6detail17trampoline_kernelINS0_14default_configENS1_36segmented_radix_sort_config_selectorIllEEZNS1_25segmented_radix_sort_implIS3_Lb1EPKlPlS8_S9_N2at6native12_GLOBAL__N_18offset_tEEE10hipError_tPvRmT1_PNSt15iterator_traitsISH_E10value_typeET2_T3_PNSI_ISN_E10value_typeET4_jRbjT5_ST_jjP12ihipStream_tbEUlT_E_NS1_11comp_targetILNS1_3genE5ELNS1_11target_archE942ELNS1_3gpuE9ELNS1_3repE0EEENS1_30default_config_static_selectorELNS0_4arch9wavefront6targetE0EEEvSH_ ; -- Begin function _ZN7rocprim17ROCPRIM_400000_NS6detail17trampoline_kernelINS0_14default_configENS1_36segmented_radix_sort_config_selectorIllEEZNS1_25segmented_radix_sort_implIS3_Lb1EPKlPlS8_S9_N2at6native12_GLOBAL__N_18offset_tEEE10hipError_tPvRmT1_PNSt15iterator_traitsISH_E10value_typeET2_T3_PNSI_ISN_E10value_typeET4_jRbjT5_ST_jjP12ihipStream_tbEUlT_E_NS1_11comp_targetILNS1_3genE5ELNS1_11target_archE942ELNS1_3gpuE9ELNS1_3repE0EEENS1_30default_config_static_selectorELNS0_4arch9wavefront6targetE0EEEvSH_
	.p2align	8
	.type	_ZN7rocprim17ROCPRIM_400000_NS6detail17trampoline_kernelINS0_14default_configENS1_36segmented_radix_sort_config_selectorIllEEZNS1_25segmented_radix_sort_implIS3_Lb1EPKlPlS8_S9_N2at6native12_GLOBAL__N_18offset_tEEE10hipError_tPvRmT1_PNSt15iterator_traitsISH_E10value_typeET2_T3_PNSI_ISN_E10value_typeET4_jRbjT5_ST_jjP12ihipStream_tbEUlT_E_NS1_11comp_targetILNS1_3genE5ELNS1_11target_archE942ELNS1_3gpuE9ELNS1_3repE0EEENS1_30default_config_static_selectorELNS0_4arch9wavefront6targetE0EEEvSH_,@function
_ZN7rocprim17ROCPRIM_400000_NS6detail17trampoline_kernelINS0_14default_configENS1_36segmented_radix_sort_config_selectorIllEEZNS1_25segmented_radix_sort_implIS3_Lb1EPKlPlS8_S9_N2at6native12_GLOBAL__N_18offset_tEEE10hipError_tPvRmT1_PNSt15iterator_traitsISH_E10value_typeET2_T3_PNSI_ISN_E10value_typeET4_jRbjT5_ST_jjP12ihipStream_tbEUlT_E_NS1_11comp_targetILNS1_3genE5ELNS1_11target_archE942ELNS1_3gpuE9ELNS1_3repE0EEENS1_30default_config_static_selectorELNS0_4arch9wavefront6targetE0EEEvSH_: ; @_ZN7rocprim17ROCPRIM_400000_NS6detail17trampoline_kernelINS0_14default_configENS1_36segmented_radix_sort_config_selectorIllEEZNS1_25segmented_radix_sort_implIS3_Lb1EPKlPlS8_S9_N2at6native12_GLOBAL__N_18offset_tEEE10hipError_tPvRmT1_PNSt15iterator_traitsISH_E10value_typeET2_T3_PNSI_ISN_E10value_typeET4_jRbjT5_ST_jjP12ihipStream_tbEUlT_E_NS1_11comp_targetILNS1_3genE5ELNS1_11target_archE942ELNS1_3gpuE9ELNS1_3repE0EEENS1_30default_config_static_selectorELNS0_4arch9wavefront6targetE0EEEvSH_
; %bb.0:
	.section	.rodata,"a",@progbits
	.p2align	6, 0x0
	.amdhsa_kernel _ZN7rocprim17ROCPRIM_400000_NS6detail17trampoline_kernelINS0_14default_configENS1_36segmented_radix_sort_config_selectorIllEEZNS1_25segmented_radix_sort_implIS3_Lb1EPKlPlS8_S9_N2at6native12_GLOBAL__N_18offset_tEEE10hipError_tPvRmT1_PNSt15iterator_traitsISH_E10value_typeET2_T3_PNSI_ISN_E10value_typeET4_jRbjT5_ST_jjP12ihipStream_tbEUlT_E_NS1_11comp_targetILNS1_3genE5ELNS1_11target_archE942ELNS1_3gpuE9ELNS1_3repE0EEENS1_30default_config_static_selectorELNS0_4arch9wavefront6targetE0EEEvSH_
		.amdhsa_group_segment_fixed_size 0
		.amdhsa_private_segment_fixed_size 0
		.amdhsa_kernarg_size 96
		.amdhsa_user_sgpr_count 6
		.amdhsa_user_sgpr_private_segment_buffer 1
		.amdhsa_user_sgpr_dispatch_ptr 0
		.amdhsa_user_sgpr_queue_ptr 0
		.amdhsa_user_sgpr_kernarg_segment_ptr 1
		.amdhsa_user_sgpr_dispatch_id 0
		.amdhsa_user_sgpr_flat_scratch_init 0
		.amdhsa_user_sgpr_private_segment_size 0
		.amdhsa_wavefront_size32 1
		.amdhsa_uses_dynamic_stack 0
		.amdhsa_system_sgpr_private_segment_wavefront_offset 0
		.amdhsa_system_sgpr_workgroup_id_x 1
		.amdhsa_system_sgpr_workgroup_id_y 0
		.amdhsa_system_sgpr_workgroup_id_z 0
		.amdhsa_system_sgpr_workgroup_info 0
		.amdhsa_system_vgpr_workitem_id 0
		.amdhsa_next_free_vgpr 1
		.amdhsa_next_free_sgpr 1
		.amdhsa_reserve_vcc 0
		.amdhsa_reserve_flat_scratch 0
		.amdhsa_float_round_mode_32 0
		.amdhsa_float_round_mode_16_64 0
		.amdhsa_float_denorm_mode_32 3
		.amdhsa_float_denorm_mode_16_64 3
		.amdhsa_dx10_clamp 1
		.amdhsa_ieee_mode 1
		.amdhsa_fp16_overflow 0
		.amdhsa_workgroup_processor_mode 1
		.amdhsa_memory_ordered 1
		.amdhsa_forward_progress 1
		.amdhsa_shared_vgpr_count 0
		.amdhsa_exception_fp_ieee_invalid_op 0
		.amdhsa_exception_fp_denorm_src 0
		.amdhsa_exception_fp_ieee_div_zero 0
		.amdhsa_exception_fp_ieee_overflow 0
		.amdhsa_exception_fp_ieee_underflow 0
		.amdhsa_exception_fp_ieee_inexact 0
		.amdhsa_exception_int_div_zero 0
	.end_amdhsa_kernel
	.section	.text._ZN7rocprim17ROCPRIM_400000_NS6detail17trampoline_kernelINS0_14default_configENS1_36segmented_radix_sort_config_selectorIllEEZNS1_25segmented_radix_sort_implIS3_Lb1EPKlPlS8_S9_N2at6native12_GLOBAL__N_18offset_tEEE10hipError_tPvRmT1_PNSt15iterator_traitsISH_E10value_typeET2_T3_PNSI_ISN_E10value_typeET4_jRbjT5_ST_jjP12ihipStream_tbEUlT_E_NS1_11comp_targetILNS1_3genE5ELNS1_11target_archE942ELNS1_3gpuE9ELNS1_3repE0EEENS1_30default_config_static_selectorELNS0_4arch9wavefront6targetE0EEEvSH_,"axG",@progbits,_ZN7rocprim17ROCPRIM_400000_NS6detail17trampoline_kernelINS0_14default_configENS1_36segmented_radix_sort_config_selectorIllEEZNS1_25segmented_radix_sort_implIS3_Lb1EPKlPlS8_S9_N2at6native12_GLOBAL__N_18offset_tEEE10hipError_tPvRmT1_PNSt15iterator_traitsISH_E10value_typeET2_T3_PNSI_ISN_E10value_typeET4_jRbjT5_ST_jjP12ihipStream_tbEUlT_E_NS1_11comp_targetILNS1_3genE5ELNS1_11target_archE942ELNS1_3gpuE9ELNS1_3repE0EEENS1_30default_config_static_selectorELNS0_4arch9wavefront6targetE0EEEvSH_,comdat
.Lfunc_end699:
	.size	_ZN7rocprim17ROCPRIM_400000_NS6detail17trampoline_kernelINS0_14default_configENS1_36segmented_radix_sort_config_selectorIllEEZNS1_25segmented_radix_sort_implIS3_Lb1EPKlPlS8_S9_N2at6native12_GLOBAL__N_18offset_tEEE10hipError_tPvRmT1_PNSt15iterator_traitsISH_E10value_typeET2_T3_PNSI_ISN_E10value_typeET4_jRbjT5_ST_jjP12ihipStream_tbEUlT_E_NS1_11comp_targetILNS1_3genE5ELNS1_11target_archE942ELNS1_3gpuE9ELNS1_3repE0EEENS1_30default_config_static_selectorELNS0_4arch9wavefront6targetE0EEEvSH_, .Lfunc_end699-_ZN7rocprim17ROCPRIM_400000_NS6detail17trampoline_kernelINS0_14default_configENS1_36segmented_radix_sort_config_selectorIllEEZNS1_25segmented_radix_sort_implIS3_Lb1EPKlPlS8_S9_N2at6native12_GLOBAL__N_18offset_tEEE10hipError_tPvRmT1_PNSt15iterator_traitsISH_E10value_typeET2_T3_PNSI_ISN_E10value_typeET4_jRbjT5_ST_jjP12ihipStream_tbEUlT_E_NS1_11comp_targetILNS1_3genE5ELNS1_11target_archE942ELNS1_3gpuE9ELNS1_3repE0EEENS1_30default_config_static_selectorELNS0_4arch9wavefront6targetE0EEEvSH_
                                        ; -- End function
	.set _ZN7rocprim17ROCPRIM_400000_NS6detail17trampoline_kernelINS0_14default_configENS1_36segmented_radix_sort_config_selectorIllEEZNS1_25segmented_radix_sort_implIS3_Lb1EPKlPlS8_S9_N2at6native12_GLOBAL__N_18offset_tEEE10hipError_tPvRmT1_PNSt15iterator_traitsISH_E10value_typeET2_T3_PNSI_ISN_E10value_typeET4_jRbjT5_ST_jjP12ihipStream_tbEUlT_E_NS1_11comp_targetILNS1_3genE5ELNS1_11target_archE942ELNS1_3gpuE9ELNS1_3repE0EEENS1_30default_config_static_selectorELNS0_4arch9wavefront6targetE0EEEvSH_.num_vgpr, 0
	.set _ZN7rocprim17ROCPRIM_400000_NS6detail17trampoline_kernelINS0_14default_configENS1_36segmented_radix_sort_config_selectorIllEEZNS1_25segmented_radix_sort_implIS3_Lb1EPKlPlS8_S9_N2at6native12_GLOBAL__N_18offset_tEEE10hipError_tPvRmT1_PNSt15iterator_traitsISH_E10value_typeET2_T3_PNSI_ISN_E10value_typeET4_jRbjT5_ST_jjP12ihipStream_tbEUlT_E_NS1_11comp_targetILNS1_3genE5ELNS1_11target_archE942ELNS1_3gpuE9ELNS1_3repE0EEENS1_30default_config_static_selectorELNS0_4arch9wavefront6targetE0EEEvSH_.num_agpr, 0
	.set _ZN7rocprim17ROCPRIM_400000_NS6detail17trampoline_kernelINS0_14default_configENS1_36segmented_radix_sort_config_selectorIllEEZNS1_25segmented_radix_sort_implIS3_Lb1EPKlPlS8_S9_N2at6native12_GLOBAL__N_18offset_tEEE10hipError_tPvRmT1_PNSt15iterator_traitsISH_E10value_typeET2_T3_PNSI_ISN_E10value_typeET4_jRbjT5_ST_jjP12ihipStream_tbEUlT_E_NS1_11comp_targetILNS1_3genE5ELNS1_11target_archE942ELNS1_3gpuE9ELNS1_3repE0EEENS1_30default_config_static_selectorELNS0_4arch9wavefront6targetE0EEEvSH_.numbered_sgpr, 0
	.set _ZN7rocprim17ROCPRIM_400000_NS6detail17trampoline_kernelINS0_14default_configENS1_36segmented_radix_sort_config_selectorIllEEZNS1_25segmented_radix_sort_implIS3_Lb1EPKlPlS8_S9_N2at6native12_GLOBAL__N_18offset_tEEE10hipError_tPvRmT1_PNSt15iterator_traitsISH_E10value_typeET2_T3_PNSI_ISN_E10value_typeET4_jRbjT5_ST_jjP12ihipStream_tbEUlT_E_NS1_11comp_targetILNS1_3genE5ELNS1_11target_archE942ELNS1_3gpuE9ELNS1_3repE0EEENS1_30default_config_static_selectorELNS0_4arch9wavefront6targetE0EEEvSH_.num_named_barrier, 0
	.set _ZN7rocprim17ROCPRIM_400000_NS6detail17trampoline_kernelINS0_14default_configENS1_36segmented_radix_sort_config_selectorIllEEZNS1_25segmented_radix_sort_implIS3_Lb1EPKlPlS8_S9_N2at6native12_GLOBAL__N_18offset_tEEE10hipError_tPvRmT1_PNSt15iterator_traitsISH_E10value_typeET2_T3_PNSI_ISN_E10value_typeET4_jRbjT5_ST_jjP12ihipStream_tbEUlT_E_NS1_11comp_targetILNS1_3genE5ELNS1_11target_archE942ELNS1_3gpuE9ELNS1_3repE0EEENS1_30default_config_static_selectorELNS0_4arch9wavefront6targetE0EEEvSH_.private_seg_size, 0
	.set _ZN7rocprim17ROCPRIM_400000_NS6detail17trampoline_kernelINS0_14default_configENS1_36segmented_radix_sort_config_selectorIllEEZNS1_25segmented_radix_sort_implIS3_Lb1EPKlPlS8_S9_N2at6native12_GLOBAL__N_18offset_tEEE10hipError_tPvRmT1_PNSt15iterator_traitsISH_E10value_typeET2_T3_PNSI_ISN_E10value_typeET4_jRbjT5_ST_jjP12ihipStream_tbEUlT_E_NS1_11comp_targetILNS1_3genE5ELNS1_11target_archE942ELNS1_3gpuE9ELNS1_3repE0EEENS1_30default_config_static_selectorELNS0_4arch9wavefront6targetE0EEEvSH_.uses_vcc, 0
	.set _ZN7rocprim17ROCPRIM_400000_NS6detail17trampoline_kernelINS0_14default_configENS1_36segmented_radix_sort_config_selectorIllEEZNS1_25segmented_radix_sort_implIS3_Lb1EPKlPlS8_S9_N2at6native12_GLOBAL__N_18offset_tEEE10hipError_tPvRmT1_PNSt15iterator_traitsISH_E10value_typeET2_T3_PNSI_ISN_E10value_typeET4_jRbjT5_ST_jjP12ihipStream_tbEUlT_E_NS1_11comp_targetILNS1_3genE5ELNS1_11target_archE942ELNS1_3gpuE9ELNS1_3repE0EEENS1_30default_config_static_selectorELNS0_4arch9wavefront6targetE0EEEvSH_.uses_flat_scratch, 0
	.set _ZN7rocprim17ROCPRIM_400000_NS6detail17trampoline_kernelINS0_14default_configENS1_36segmented_radix_sort_config_selectorIllEEZNS1_25segmented_radix_sort_implIS3_Lb1EPKlPlS8_S9_N2at6native12_GLOBAL__N_18offset_tEEE10hipError_tPvRmT1_PNSt15iterator_traitsISH_E10value_typeET2_T3_PNSI_ISN_E10value_typeET4_jRbjT5_ST_jjP12ihipStream_tbEUlT_E_NS1_11comp_targetILNS1_3genE5ELNS1_11target_archE942ELNS1_3gpuE9ELNS1_3repE0EEENS1_30default_config_static_selectorELNS0_4arch9wavefront6targetE0EEEvSH_.has_dyn_sized_stack, 0
	.set _ZN7rocprim17ROCPRIM_400000_NS6detail17trampoline_kernelINS0_14default_configENS1_36segmented_radix_sort_config_selectorIllEEZNS1_25segmented_radix_sort_implIS3_Lb1EPKlPlS8_S9_N2at6native12_GLOBAL__N_18offset_tEEE10hipError_tPvRmT1_PNSt15iterator_traitsISH_E10value_typeET2_T3_PNSI_ISN_E10value_typeET4_jRbjT5_ST_jjP12ihipStream_tbEUlT_E_NS1_11comp_targetILNS1_3genE5ELNS1_11target_archE942ELNS1_3gpuE9ELNS1_3repE0EEENS1_30default_config_static_selectorELNS0_4arch9wavefront6targetE0EEEvSH_.has_recursion, 0
	.set _ZN7rocprim17ROCPRIM_400000_NS6detail17trampoline_kernelINS0_14default_configENS1_36segmented_radix_sort_config_selectorIllEEZNS1_25segmented_radix_sort_implIS3_Lb1EPKlPlS8_S9_N2at6native12_GLOBAL__N_18offset_tEEE10hipError_tPvRmT1_PNSt15iterator_traitsISH_E10value_typeET2_T3_PNSI_ISN_E10value_typeET4_jRbjT5_ST_jjP12ihipStream_tbEUlT_E_NS1_11comp_targetILNS1_3genE5ELNS1_11target_archE942ELNS1_3gpuE9ELNS1_3repE0EEENS1_30default_config_static_selectorELNS0_4arch9wavefront6targetE0EEEvSH_.has_indirect_call, 0
	.section	.AMDGPU.csdata,"",@progbits
; Kernel info:
; codeLenInByte = 0
; TotalNumSgprs: 0
; NumVgprs: 0
; ScratchSize: 0
; MemoryBound: 0
; FloatMode: 240
; IeeeMode: 1
; LDSByteSize: 0 bytes/workgroup (compile time only)
; SGPRBlocks: 0
; VGPRBlocks: 0
; NumSGPRsForWavesPerEU: 1
; NumVGPRsForWavesPerEU: 1
; Occupancy: 16
; WaveLimiterHint : 0
; COMPUTE_PGM_RSRC2:SCRATCH_EN: 0
; COMPUTE_PGM_RSRC2:USER_SGPR: 6
; COMPUTE_PGM_RSRC2:TRAP_HANDLER: 0
; COMPUTE_PGM_RSRC2:TGID_X_EN: 1
; COMPUTE_PGM_RSRC2:TGID_Y_EN: 0
; COMPUTE_PGM_RSRC2:TGID_Z_EN: 0
; COMPUTE_PGM_RSRC2:TIDIG_COMP_CNT: 0
	.section	.text._ZN7rocprim17ROCPRIM_400000_NS6detail17trampoline_kernelINS0_14default_configENS1_36segmented_radix_sort_config_selectorIllEEZNS1_25segmented_radix_sort_implIS3_Lb1EPKlPlS8_S9_N2at6native12_GLOBAL__N_18offset_tEEE10hipError_tPvRmT1_PNSt15iterator_traitsISH_E10value_typeET2_T3_PNSI_ISN_E10value_typeET4_jRbjT5_ST_jjP12ihipStream_tbEUlT_E_NS1_11comp_targetILNS1_3genE4ELNS1_11target_archE910ELNS1_3gpuE8ELNS1_3repE0EEENS1_30default_config_static_selectorELNS0_4arch9wavefront6targetE0EEEvSH_,"axG",@progbits,_ZN7rocprim17ROCPRIM_400000_NS6detail17trampoline_kernelINS0_14default_configENS1_36segmented_radix_sort_config_selectorIllEEZNS1_25segmented_radix_sort_implIS3_Lb1EPKlPlS8_S9_N2at6native12_GLOBAL__N_18offset_tEEE10hipError_tPvRmT1_PNSt15iterator_traitsISH_E10value_typeET2_T3_PNSI_ISN_E10value_typeET4_jRbjT5_ST_jjP12ihipStream_tbEUlT_E_NS1_11comp_targetILNS1_3genE4ELNS1_11target_archE910ELNS1_3gpuE8ELNS1_3repE0EEENS1_30default_config_static_selectorELNS0_4arch9wavefront6targetE0EEEvSH_,comdat
	.globl	_ZN7rocprim17ROCPRIM_400000_NS6detail17trampoline_kernelINS0_14default_configENS1_36segmented_radix_sort_config_selectorIllEEZNS1_25segmented_radix_sort_implIS3_Lb1EPKlPlS8_S9_N2at6native12_GLOBAL__N_18offset_tEEE10hipError_tPvRmT1_PNSt15iterator_traitsISH_E10value_typeET2_T3_PNSI_ISN_E10value_typeET4_jRbjT5_ST_jjP12ihipStream_tbEUlT_E_NS1_11comp_targetILNS1_3genE4ELNS1_11target_archE910ELNS1_3gpuE8ELNS1_3repE0EEENS1_30default_config_static_selectorELNS0_4arch9wavefront6targetE0EEEvSH_ ; -- Begin function _ZN7rocprim17ROCPRIM_400000_NS6detail17trampoline_kernelINS0_14default_configENS1_36segmented_radix_sort_config_selectorIllEEZNS1_25segmented_radix_sort_implIS3_Lb1EPKlPlS8_S9_N2at6native12_GLOBAL__N_18offset_tEEE10hipError_tPvRmT1_PNSt15iterator_traitsISH_E10value_typeET2_T3_PNSI_ISN_E10value_typeET4_jRbjT5_ST_jjP12ihipStream_tbEUlT_E_NS1_11comp_targetILNS1_3genE4ELNS1_11target_archE910ELNS1_3gpuE8ELNS1_3repE0EEENS1_30default_config_static_selectorELNS0_4arch9wavefront6targetE0EEEvSH_
	.p2align	8
	.type	_ZN7rocprim17ROCPRIM_400000_NS6detail17trampoline_kernelINS0_14default_configENS1_36segmented_radix_sort_config_selectorIllEEZNS1_25segmented_radix_sort_implIS3_Lb1EPKlPlS8_S9_N2at6native12_GLOBAL__N_18offset_tEEE10hipError_tPvRmT1_PNSt15iterator_traitsISH_E10value_typeET2_T3_PNSI_ISN_E10value_typeET4_jRbjT5_ST_jjP12ihipStream_tbEUlT_E_NS1_11comp_targetILNS1_3genE4ELNS1_11target_archE910ELNS1_3gpuE8ELNS1_3repE0EEENS1_30default_config_static_selectorELNS0_4arch9wavefront6targetE0EEEvSH_,@function
_ZN7rocprim17ROCPRIM_400000_NS6detail17trampoline_kernelINS0_14default_configENS1_36segmented_radix_sort_config_selectorIllEEZNS1_25segmented_radix_sort_implIS3_Lb1EPKlPlS8_S9_N2at6native12_GLOBAL__N_18offset_tEEE10hipError_tPvRmT1_PNSt15iterator_traitsISH_E10value_typeET2_T3_PNSI_ISN_E10value_typeET4_jRbjT5_ST_jjP12ihipStream_tbEUlT_E_NS1_11comp_targetILNS1_3genE4ELNS1_11target_archE910ELNS1_3gpuE8ELNS1_3repE0EEENS1_30default_config_static_selectorELNS0_4arch9wavefront6targetE0EEEvSH_: ; @_ZN7rocprim17ROCPRIM_400000_NS6detail17trampoline_kernelINS0_14default_configENS1_36segmented_radix_sort_config_selectorIllEEZNS1_25segmented_radix_sort_implIS3_Lb1EPKlPlS8_S9_N2at6native12_GLOBAL__N_18offset_tEEE10hipError_tPvRmT1_PNSt15iterator_traitsISH_E10value_typeET2_T3_PNSI_ISN_E10value_typeET4_jRbjT5_ST_jjP12ihipStream_tbEUlT_E_NS1_11comp_targetILNS1_3genE4ELNS1_11target_archE910ELNS1_3gpuE8ELNS1_3repE0EEENS1_30default_config_static_selectorELNS0_4arch9wavefront6targetE0EEEvSH_
; %bb.0:
	.section	.rodata,"a",@progbits
	.p2align	6, 0x0
	.amdhsa_kernel _ZN7rocprim17ROCPRIM_400000_NS6detail17trampoline_kernelINS0_14default_configENS1_36segmented_radix_sort_config_selectorIllEEZNS1_25segmented_radix_sort_implIS3_Lb1EPKlPlS8_S9_N2at6native12_GLOBAL__N_18offset_tEEE10hipError_tPvRmT1_PNSt15iterator_traitsISH_E10value_typeET2_T3_PNSI_ISN_E10value_typeET4_jRbjT5_ST_jjP12ihipStream_tbEUlT_E_NS1_11comp_targetILNS1_3genE4ELNS1_11target_archE910ELNS1_3gpuE8ELNS1_3repE0EEENS1_30default_config_static_selectorELNS0_4arch9wavefront6targetE0EEEvSH_
		.amdhsa_group_segment_fixed_size 0
		.amdhsa_private_segment_fixed_size 0
		.amdhsa_kernarg_size 96
		.amdhsa_user_sgpr_count 6
		.amdhsa_user_sgpr_private_segment_buffer 1
		.amdhsa_user_sgpr_dispatch_ptr 0
		.amdhsa_user_sgpr_queue_ptr 0
		.amdhsa_user_sgpr_kernarg_segment_ptr 1
		.amdhsa_user_sgpr_dispatch_id 0
		.amdhsa_user_sgpr_flat_scratch_init 0
		.amdhsa_user_sgpr_private_segment_size 0
		.amdhsa_wavefront_size32 1
		.amdhsa_uses_dynamic_stack 0
		.amdhsa_system_sgpr_private_segment_wavefront_offset 0
		.amdhsa_system_sgpr_workgroup_id_x 1
		.amdhsa_system_sgpr_workgroup_id_y 0
		.amdhsa_system_sgpr_workgroup_id_z 0
		.amdhsa_system_sgpr_workgroup_info 0
		.amdhsa_system_vgpr_workitem_id 0
		.amdhsa_next_free_vgpr 1
		.amdhsa_next_free_sgpr 1
		.amdhsa_reserve_vcc 0
		.amdhsa_reserve_flat_scratch 0
		.amdhsa_float_round_mode_32 0
		.amdhsa_float_round_mode_16_64 0
		.amdhsa_float_denorm_mode_32 3
		.amdhsa_float_denorm_mode_16_64 3
		.amdhsa_dx10_clamp 1
		.amdhsa_ieee_mode 1
		.amdhsa_fp16_overflow 0
		.amdhsa_workgroup_processor_mode 1
		.amdhsa_memory_ordered 1
		.amdhsa_forward_progress 1
		.amdhsa_shared_vgpr_count 0
		.amdhsa_exception_fp_ieee_invalid_op 0
		.amdhsa_exception_fp_denorm_src 0
		.amdhsa_exception_fp_ieee_div_zero 0
		.amdhsa_exception_fp_ieee_overflow 0
		.amdhsa_exception_fp_ieee_underflow 0
		.amdhsa_exception_fp_ieee_inexact 0
		.amdhsa_exception_int_div_zero 0
	.end_amdhsa_kernel
	.section	.text._ZN7rocprim17ROCPRIM_400000_NS6detail17trampoline_kernelINS0_14default_configENS1_36segmented_radix_sort_config_selectorIllEEZNS1_25segmented_radix_sort_implIS3_Lb1EPKlPlS8_S9_N2at6native12_GLOBAL__N_18offset_tEEE10hipError_tPvRmT1_PNSt15iterator_traitsISH_E10value_typeET2_T3_PNSI_ISN_E10value_typeET4_jRbjT5_ST_jjP12ihipStream_tbEUlT_E_NS1_11comp_targetILNS1_3genE4ELNS1_11target_archE910ELNS1_3gpuE8ELNS1_3repE0EEENS1_30default_config_static_selectorELNS0_4arch9wavefront6targetE0EEEvSH_,"axG",@progbits,_ZN7rocprim17ROCPRIM_400000_NS6detail17trampoline_kernelINS0_14default_configENS1_36segmented_radix_sort_config_selectorIllEEZNS1_25segmented_radix_sort_implIS3_Lb1EPKlPlS8_S9_N2at6native12_GLOBAL__N_18offset_tEEE10hipError_tPvRmT1_PNSt15iterator_traitsISH_E10value_typeET2_T3_PNSI_ISN_E10value_typeET4_jRbjT5_ST_jjP12ihipStream_tbEUlT_E_NS1_11comp_targetILNS1_3genE4ELNS1_11target_archE910ELNS1_3gpuE8ELNS1_3repE0EEENS1_30default_config_static_selectorELNS0_4arch9wavefront6targetE0EEEvSH_,comdat
.Lfunc_end700:
	.size	_ZN7rocprim17ROCPRIM_400000_NS6detail17trampoline_kernelINS0_14default_configENS1_36segmented_radix_sort_config_selectorIllEEZNS1_25segmented_radix_sort_implIS3_Lb1EPKlPlS8_S9_N2at6native12_GLOBAL__N_18offset_tEEE10hipError_tPvRmT1_PNSt15iterator_traitsISH_E10value_typeET2_T3_PNSI_ISN_E10value_typeET4_jRbjT5_ST_jjP12ihipStream_tbEUlT_E_NS1_11comp_targetILNS1_3genE4ELNS1_11target_archE910ELNS1_3gpuE8ELNS1_3repE0EEENS1_30default_config_static_selectorELNS0_4arch9wavefront6targetE0EEEvSH_, .Lfunc_end700-_ZN7rocprim17ROCPRIM_400000_NS6detail17trampoline_kernelINS0_14default_configENS1_36segmented_radix_sort_config_selectorIllEEZNS1_25segmented_radix_sort_implIS3_Lb1EPKlPlS8_S9_N2at6native12_GLOBAL__N_18offset_tEEE10hipError_tPvRmT1_PNSt15iterator_traitsISH_E10value_typeET2_T3_PNSI_ISN_E10value_typeET4_jRbjT5_ST_jjP12ihipStream_tbEUlT_E_NS1_11comp_targetILNS1_3genE4ELNS1_11target_archE910ELNS1_3gpuE8ELNS1_3repE0EEENS1_30default_config_static_selectorELNS0_4arch9wavefront6targetE0EEEvSH_
                                        ; -- End function
	.set _ZN7rocprim17ROCPRIM_400000_NS6detail17trampoline_kernelINS0_14default_configENS1_36segmented_radix_sort_config_selectorIllEEZNS1_25segmented_radix_sort_implIS3_Lb1EPKlPlS8_S9_N2at6native12_GLOBAL__N_18offset_tEEE10hipError_tPvRmT1_PNSt15iterator_traitsISH_E10value_typeET2_T3_PNSI_ISN_E10value_typeET4_jRbjT5_ST_jjP12ihipStream_tbEUlT_E_NS1_11comp_targetILNS1_3genE4ELNS1_11target_archE910ELNS1_3gpuE8ELNS1_3repE0EEENS1_30default_config_static_selectorELNS0_4arch9wavefront6targetE0EEEvSH_.num_vgpr, 0
	.set _ZN7rocprim17ROCPRIM_400000_NS6detail17trampoline_kernelINS0_14default_configENS1_36segmented_radix_sort_config_selectorIllEEZNS1_25segmented_radix_sort_implIS3_Lb1EPKlPlS8_S9_N2at6native12_GLOBAL__N_18offset_tEEE10hipError_tPvRmT1_PNSt15iterator_traitsISH_E10value_typeET2_T3_PNSI_ISN_E10value_typeET4_jRbjT5_ST_jjP12ihipStream_tbEUlT_E_NS1_11comp_targetILNS1_3genE4ELNS1_11target_archE910ELNS1_3gpuE8ELNS1_3repE0EEENS1_30default_config_static_selectorELNS0_4arch9wavefront6targetE0EEEvSH_.num_agpr, 0
	.set _ZN7rocprim17ROCPRIM_400000_NS6detail17trampoline_kernelINS0_14default_configENS1_36segmented_radix_sort_config_selectorIllEEZNS1_25segmented_radix_sort_implIS3_Lb1EPKlPlS8_S9_N2at6native12_GLOBAL__N_18offset_tEEE10hipError_tPvRmT1_PNSt15iterator_traitsISH_E10value_typeET2_T3_PNSI_ISN_E10value_typeET4_jRbjT5_ST_jjP12ihipStream_tbEUlT_E_NS1_11comp_targetILNS1_3genE4ELNS1_11target_archE910ELNS1_3gpuE8ELNS1_3repE0EEENS1_30default_config_static_selectorELNS0_4arch9wavefront6targetE0EEEvSH_.numbered_sgpr, 0
	.set _ZN7rocprim17ROCPRIM_400000_NS6detail17trampoline_kernelINS0_14default_configENS1_36segmented_radix_sort_config_selectorIllEEZNS1_25segmented_radix_sort_implIS3_Lb1EPKlPlS8_S9_N2at6native12_GLOBAL__N_18offset_tEEE10hipError_tPvRmT1_PNSt15iterator_traitsISH_E10value_typeET2_T3_PNSI_ISN_E10value_typeET4_jRbjT5_ST_jjP12ihipStream_tbEUlT_E_NS1_11comp_targetILNS1_3genE4ELNS1_11target_archE910ELNS1_3gpuE8ELNS1_3repE0EEENS1_30default_config_static_selectorELNS0_4arch9wavefront6targetE0EEEvSH_.num_named_barrier, 0
	.set _ZN7rocprim17ROCPRIM_400000_NS6detail17trampoline_kernelINS0_14default_configENS1_36segmented_radix_sort_config_selectorIllEEZNS1_25segmented_radix_sort_implIS3_Lb1EPKlPlS8_S9_N2at6native12_GLOBAL__N_18offset_tEEE10hipError_tPvRmT1_PNSt15iterator_traitsISH_E10value_typeET2_T3_PNSI_ISN_E10value_typeET4_jRbjT5_ST_jjP12ihipStream_tbEUlT_E_NS1_11comp_targetILNS1_3genE4ELNS1_11target_archE910ELNS1_3gpuE8ELNS1_3repE0EEENS1_30default_config_static_selectorELNS0_4arch9wavefront6targetE0EEEvSH_.private_seg_size, 0
	.set _ZN7rocprim17ROCPRIM_400000_NS6detail17trampoline_kernelINS0_14default_configENS1_36segmented_radix_sort_config_selectorIllEEZNS1_25segmented_radix_sort_implIS3_Lb1EPKlPlS8_S9_N2at6native12_GLOBAL__N_18offset_tEEE10hipError_tPvRmT1_PNSt15iterator_traitsISH_E10value_typeET2_T3_PNSI_ISN_E10value_typeET4_jRbjT5_ST_jjP12ihipStream_tbEUlT_E_NS1_11comp_targetILNS1_3genE4ELNS1_11target_archE910ELNS1_3gpuE8ELNS1_3repE0EEENS1_30default_config_static_selectorELNS0_4arch9wavefront6targetE0EEEvSH_.uses_vcc, 0
	.set _ZN7rocprim17ROCPRIM_400000_NS6detail17trampoline_kernelINS0_14default_configENS1_36segmented_radix_sort_config_selectorIllEEZNS1_25segmented_radix_sort_implIS3_Lb1EPKlPlS8_S9_N2at6native12_GLOBAL__N_18offset_tEEE10hipError_tPvRmT1_PNSt15iterator_traitsISH_E10value_typeET2_T3_PNSI_ISN_E10value_typeET4_jRbjT5_ST_jjP12ihipStream_tbEUlT_E_NS1_11comp_targetILNS1_3genE4ELNS1_11target_archE910ELNS1_3gpuE8ELNS1_3repE0EEENS1_30default_config_static_selectorELNS0_4arch9wavefront6targetE0EEEvSH_.uses_flat_scratch, 0
	.set _ZN7rocprim17ROCPRIM_400000_NS6detail17trampoline_kernelINS0_14default_configENS1_36segmented_radix_sort_config_selectorIllEEZNS1_25segmented_radix_sort_implIS3_Lb1EPKlPlS8_S9_N2at6native12_GLOBAL__N_18offset_tEEE10hipError_tPvRmT1_PNSt15iterator_traitsISH_E10value_typeET2_T3_PNSI_ISN_E10value_typeET4_jRbjT5_ST_jjP12ihipStream_tbEUlT_E_NS1_11comp_targetILNS1_3genE4ELNS1_11target_archE910ELNS1_3gpuE8ELNS1_3repE0EEENS1_30default_config_static_selectorELNS0_4arch9wavefront6targetE0EEEvSH_.has_dyn_sized_stack, 0
	.set _ZN7rocprim17ROCPRIM_400000_NS6detail17trampoline_kernelINS0_14default_configENS1_36segmented_radix_sort_config_selectorIllEEZNS1_25segmented_radix_sort_implIS3_Lb1EPKlPlS8_S9_N2at6native12_GLOBAL__N_18offset_tEEE10hipError_tPvRmT1_PNSt15iterator_traitsISH_E10value_typeET2_T3_PNSI_ISN_E10value_typeET4_jRbjT5_ST_jjP12ihipStream_tbEUlT_E_NS1_11comp_targetILNS1_3genE4ELNS1_11target_archE910ELNS1_3gpuE8ELNS1_3repE0EEENS1_30default_config_static_selectorELNS0_4arch9wavefront6targetE0EEEvSH_.has_recursion, 0
	.set _ZN7rocprim17ROCPRIM_400000_NS6detail17trampoline_kernelINS0_14default_configENS1_36segmented_radix_sort_config_selectorIllEEZNS1_25segmented_radix_sort_implIS3_Lb1EPKlPlS8_S9_N2at6native12_GLOBAL__N_18offset_tEEE10hipError_tPvRmT1_PNSt15iterator_traitsISH_E10value_typeET2_T3_PNSI_ISN_E10value_typeET4_jRbjT5_ST_jjP12ihipStream_tbEUlT_E_NS1_11comp_targetILNS1_3genE4ELNS1_11target_archE910ELNS1_3gpuE8ELNS1_3repE0EEENS1_30default_config_static_selectorELNS0_4arch9wavefront6targetE0EEEvSH_.has_indirect_call, 0
	.section	.AMDGPU.csdata,"",@progbits
; Kernel info:
; codeLenInByte = 0
; TotalNumSgprs: 0
; NumVgprs: 0
; ScratchSize: 0
; MemoryBound: 0
; FloatMode: 240
; IeeeMode: 1
; LDSByteSize: 0 bytes/workgroup (compile time only)
; SGPRBlocks: 0
; VGPRBlocks: 0
; NumSGPRsForWavesPerEU: 1
; NumVGPRsForWavesPerEU: 1
; Occupancy: 16
; WaveLimiterHint : 0
; COMPUTE_PGM_RSRC2:SCRATCH_EN: 0
; COMPUTE_PGM_RSRC2:USER_SGPR: 6
; COMPUTE_PGM_RSRC2:TRAP_HANDLER: 0
; COMPUTE_PGM_RSRC2:TGID_X_EN: 1
; COMPUTE_PGM_RSRC2:TGID_Y_EN: 0
; COMPUTE_PGM_RSRC2:TGID_Z_EN: 0
; COMPUTE_PGM_RSRC2:TIDIG_COMP_CNT: 0
	.section	.text._ZN7rocprim17ROCPRIM_400000_NS6detail17trampoline_kernelINS0_14default_configENS1_36segmented_radix_sort_config_selectorIllEEZNS1_25segmented_radix_sort_implIS3_Lb1EPKlPlS8_S9_N2at6native12_GLOBAL__N_18offset_tEEE10hipError_tPvRmT1_PNSt15iterator_traitsISH_E10value_typeET2_T3_PNSI_ISN_E10value_typeET4_jRbjT5_ST_jjP12ihipStream_tbEUlT_E_NS1_11comp_targetILNS1_3genE3ELNS1_11target_archE908ELNS1_3gpuE7ELNS1_3repE0EEENS1_30default_config_static_selectorELNS0_4arch9wavefront6targetE0EEEvSH_,"axG",@progbits,_ZN7rocprim17ROCPRIM_400000_NS6detail17trampoline_kernelINS0_14default_configENS1_36segmented_radix_sort_config_selectorIllEEZNS1_25segmented_radix_sort_implIS3_Lb1EPKlPlS8_S9_N2at6native12_GLOBAL__N_18offset_tEEE10hipError_tPvRmT1_PNSt15iterator_traitsISH_E10value_typeET2_T3_PNSI_ISN_E10value_typeET4_jRbjT5_ST_jjP12ihipStream_tbEUlT_E_NS1_11comp_targetILNS1_3genE3ELNS1_11target_archE908ELNS1_3gpuE7ELNS1_3repE0EEENS1_30default_config_static_selectorELNS0_4arch9wavefront6targetE0EEEvSH_,comdat
	.globl	_ZN7rocprim17ROCPRIM_400000_NS6detail17trampoline_kernelINS0_14default_configENS1_36segmented_radix_sort_config_selectorIllEEZNS1_25segmented_radix_sort_implIS3_Lb1EPKlPlS8_S9_N2at6native12_GLOBAL__N_18offset_tEEE10hipError_tPvRmT1_PNSt15iterator_traitsISH_E10value_typeET2_T3_PNSI_ISN_E10value_typeET4_jRbjT5_ST_jjP12ihipStream_tbEUlT_E_NS1_11comp_targetILNS1_3genE3ELNS1_11target_archE908ELNS1_3gpuE7ELNS1_3repE0EEENS1_30default_config_static_selectorELNS0_4arch9wavefront6targetE0EEEvSH_ ; -- Begin function _ZN7rocprim17ROCPRIM_400000_NS6detail17trampoline_kernelINS0_14default_configENS1_36segmented_radix_sort_config_selectorIllEEZNS1_25segmented_radix_sort_implIS3_Lb1EPKlPlS8_S9_N2at6native12_GLOBAL__N_18offset_tEEE10hipError_tPvRmT1_PNSt15iterator_traitsISH_E10value_typeET2_T3_PNSI_ISN_E10value_typeET4_jRbjT5_ST_jjP12ihipStream_tbEUlT_E_NS1_11comp_targetILNS1_3genE3ELNS1_11target_archE908ELNS1_3gpuE7ELNS1_3repE0EEENS1_30default_config_static_selectorELNS0_4arch9wavefront6targetE0EEEvSH_
	.p2align	8
	.type	_ZN7rocprim17ROCPRIM_400000_NS6detail17trampoline_kernelINS0_14default_configENS1_36segmented_radix_sort_config_selectorIllEEZNS1_25segmented_radix_sort_implIS3_Lb1EPKlPlS8_S9_N2at6native12_GLOBAL__N_18offset_tEEE10hipError_tPvRmT1_PNSt15iterator_traitsISH_E10value_typeET2_T3_PNSI_ISN_E10value_typeET4_jRbjT5_ST_jjP12ihipStream_tbEUlT_E_NS1_11comp_targetILNS1_3genE3ELNS1_11target_archE908ELNS1_3gpuE7ELNS1_3repE0EEENS1_30default_config_static_selectorELNS0_4arch9wavefront6targetE0EEEvSH_,@function
_ZN7rocprim17ROCPRIM_400000_NS6detail17trampoline_kernelINS0_14default_configENS1_36segmented_radix_sort_config_selectorIllEEZNS1_25segmented_radix_sort_implIS3_Lb1EPKlPlS8_S9_N2at6native12_GLOBAL__N_18offset_tEEE10hipError_tPvRmT1_PNSt15iterator_traitsISH_E10value_typeET2_T3_PNSI_ISN_E10value_typeET4_jRbjT5_ST_jjP12ihipStream_tbEUlT_E_NS1_11comp_targetILNS1_3genE3ELNS1_11target_archE908ELNS1_3gpuE7ELNS1_3repE0EEENS1_30default_config_static_selectorELNS0_4arch9wavefront6targetE0EEEvSH_: ; @_ZN7rocprim17ROCPRIM_400000_NS6detail17trampoline_kernelINS0_14default_configENS1_36segmented_radix_sort_config_selectorIllEEZNS1_25segmented_radix_sort_implIS3_Lb1EPKlPlS8_S9_N2at6native12_GLOBAL__N_18offset_tEEE10hipError_tPvRmT1_PNSt15iterator_traitsISH_E10value_typeET2_T3_PNSI_ISN_E10value_typeET4_jRbjT5_ST_jjP12ihipStream_tbEUlT_E_NS1_11comp_targetILNS1_3genE3ELNS1_11target_archE908ELNS1_3gpuE7ELNS1_3repE0EEENS1_30default_config_static_selectorELNS0_4arch9wavefront6targetE0EEEvSH_
; %bb.0:
	.section	.rodata,"a",@progbits
	.p2align	6, 0x0
	.amdhsa_kernel _ZN7rocprim17ROCPRIM_400000_NS6detail17trampoline_kernelINS0_14default_configENS1_36segmented_radix_sort_config_selectorIllEEZNS1_25segmented_radix_sort_implIS3_Lb1EPKlPlS8_S9_N2at6native12_GLOBAL__N_18offset_tEEE10hipError_tPvRmT1_PNSt15iterator_traitsISH_E10value_typeET2_T3_PNSI_ISN_E10value_typeET4_jRbjT5_ST_jjP12ihipStream_tbEUlT_E_NS1_11comp_targetILNS1_3genE3ELNS1_11target_archE908ELNS1_3gpuE7ELNS1_3repE0EEENS1_30default_config_static_selectorELNS0_4arch9wavefront6targetE0EEEvSH_
		.amdhsa_group_segment_fixed_size 0
		.amdhsa_private_segment_fixed_size 0
		.amdhsa_kernarg_size 96
		.amdhsa_user_sgpr_count 6
		.amdhsa_user_sgpr_private_segment_buffer 1
		.amdhsa_user_sgpr_dispatch_ptr 0
		.amdhsa_user_sgpr_queue_ptr 0
		.amdhsa_user_sgpr_kernarg_segment_ptr 1
		.amdhsa_user_sgpr_dispatch_id 0
		.amdhsa_user_sgpr_flat_scratch_init 0
		.amdhsa_user_sgpr_private_segment_size 0
		.amdhsa_wavefront_size32 1
		.amdhsa_uses_dynamic_stack 0
		.amdhsa_system_sgpr_private_segment_wavefront_offset 0
		.amdhsa_system_sgpr_workgroup_id_x 1
		.amdhsa_system_sgpr_workgroup_id_y 0
		.amdhsa_system_sgpr_workgroup_id_z 0
		.amdhsa_system_sgpr_workgroup_info 0
		.amdhsa_system_vgpr_workitem_id 0
		.amdhsa_next_free_vgpr 1
		.amdhsa_next_free_sgpr 1
		.amdhsa_reserve_vcc 0
		.amdhsa_reserve_flat_scratch 0
		.amdhsa_float_round_mode_32 0
		.amdhsa_float_round_mode_16_64 0
		.amdhsa_float_denorm_mode_32 3
		.amdhsa_float_denorm_mode_16_64 3
		.amdhsa_dx10_clamp 1
		.amdhsa_ieee_mode 1
		.amdhsa_fp16_overflow 0
		.amdhsa_workgroup_processor_mode 1
		.amdhsa_memory_ordered 1
		.amdhsa_forward_progress 1
		.amdhsa_shared_vgpr_count 0
		.amdhsa_exception_fp_ieee_invalid_op 0
		.amdhsa_exception_fp_denorm_src 0
		.amdhsa_exception_fp_ieee_div_zero 0
		.amdhsa_exception_fp_ieee_overflow 0
		.amdhsa_exception_fp_ieee_underflow 0
		.amdhsa_exception_fp_ieee_inexact 0
		.amdhsa_exception_int_div_zero 0
	.end_amdhsa_kernel
	.section	.text._ZN7rocprim17ROCPRIM_400000_NS6detail17trampoline_kernelINS0_14default_configENS1_36segmented_radix_sort_config_selectorIllEEZNS1_25segmented_radix_sort_implIS3_Lb1EPKlPlS8_S9_N2at6native12_GLOBAL__N_18offset_tEEE10hipError_tPvRmT1_PNSt15iterator_traitsISH_E10value_typeET2_T3_PNSI_ISN_E10value_typeET4_jRbjT5_ST_jjP12ihipStream_tbEUlT_E_NS1_11comp_targetILNS1_3genE3ELNS1_11target_archE908ELNS1_3gpuE7ELNS1_3repE0EEENS1_30default_config_static_selectorELNS0_4arch9wavefront6targetE0EEEvSH_,"axG",@progbits,_ZN7rocprim17ROCPRIM_400000_NS6detail17trampoline_kernelINS0_14default_configENS1_36segmented_radix_sort_config_selectorIllEEZNS1_25segmented_radix_sort_implIS3_Lb1EPKlPlS8_S9_N2at6native12_GLOBAL__N_18offset_tEEE10hipError_tPvRmT1_PNSt15iterator_traitsISH_E10value_typeET2_T3_PNSI_ISN_E10value_typeET4_jRbjT5_ST_jjP12ihipStream_tbEUlT_E_NS1_11comp_targetILNS1_3genE3ELNS1_11target_archE908ELNS1_3gpuE7ELNS1_3repE0EEENS1_30default_config_static_selectorELNS0_4arch9wavefront6targetE0EEEvSH_,comdat
.Lfunc_end701:
	.size	_ZN7rocprim17ROCPRIM_400000_NS6detail17trampoline_kernelINS0_14default_configENS1_36segmented_radix_sort_config_selectorIllEEZNS1_25segmented_radix_sort_implIS3_Lb1EPKlPlS8_S9_N2at6native12_GLOBAL__N_18offset_tEEE10hipError_tPvRmT1_PNSt15iterator_traitsISH_E10value_typeET2_T3_PNSI_ISN_E10value_typeET4_jRbjT5_ST_jjP12ihipStream_tbEUlT_E_NS1_11comp_targetILNS1_3genE3ELNS1_11target_archE908ELNS1_3gpuE7ELNS1_3repE0EEENS1_30default_config_static_selectorELNS0_4arch9wavefront6targetE0EEEvSH_, .Lfunc_end701-_ZN7rocprim17ROCPRIM_400000_NS6detail17trampoline_kernelINS0_14default_configENS1_36segmented_radix_sort_config_selectorIllEEZNS1_25segmented_radix_sort_implIS3_Lb1EPKlPlS8_S9_N2at6native12_GLOBAL__N_18offset_tEEE10hipError_tPvRmT1_PNSt15iterator_traitsISH_E10value_typeET2_T3_PNSI_ISN_E10value_typeET4_jRbjT5_ST_jjP12ihipStream_tbEUlT_E_NS1_11comp_targetILNS1_3genE3ELNS1_11target_archE908ELNS1_3gpuE7ELNS1_3repE0EEENS1_30default_config_static_selectorELNS0_4arch9wavefront6targetE0EEEvSH_
                                        ; -- End function
	.set _ZN7rocprim17ROCPRIM_400000_NS6detail17trampoline_kernelINS0_14default_configENS1_36segmented_radix_sort_config_selectorIllEEZNS1_25segmented_radix_sort_implIS3_Lb1EPKlPlS8_S9_N2at6native12_GLOBAL__N_18offset_tEEE10hipError_tPvRmT1_PNSt15iterator_traitsISH_E10value_typeET2_T3_PNSI_ISN_E10value_typeET4_jRbjT5_ST_jjP12ihipStream_tbEUlT_E_NS1_11comp_targetILNS1_3genE3ELNS1_11target_archE908ELNS1_3gpuE7ELNS1_3repE0EEENS1_30default_config_static_selectorELNS0_4arch9wavefront6targetE0EEEvSH_.num_vgpr, 0
	.set _ZN7rocprim17ROCPRIM_400000_NS6detail17trampoline_kernelINS0_14default_configENS1_36segmented_radix_sort_config_selectorIllEEZNS1_25segmented_radix_sort_implIS3_Lb1EPKlPlS8_S9_N2at6native12_GLOBAL__N_18offset_tEEE10hipError_tPvRmT1_PNSt15iterator_traitsISH_E10value_typeET2_T3_PNSI_ISN_E10value_typeET4_jRbjT5_ST_jjP12ihipStream_tbEUlT_E_NS1_11comp_targetILNS1_3genE3ELNS1_11target_archE908ELNS1_3gpuE7ELNS1_3repE0EEENS1_30default_config_static_selectorELNS0_4arch9wavefront6targetE0EEEvSH_.num_agpr, 0
	.set _ZN7rocprim17ROCPRIM_400000_NS6detail17trampoline_kernelINS0_14default_configENS1_36segmented_radix_sort_config_selectorIllEEZNS1_25segmented_radix_sort_implIS3_Lb1EPKlPlS8_S9_N2at6native12_GLOBAL__N_18offset_tEEE10hipError_tPvRmT1_PNSt15iterator_traitsISH_E10value_typeET2_T3_PNSI_ISN_E10value_typeET4_jRbjT5_ST_jjP12ihipStream_tbEUlT_E_NS1_11comp_targetILNS1_3genE3ELNS1_11target_archE908ELNS1_3gpuE7ELNS1_3repE0EEENS1_30default_config_static_selectorELNS0_4arch9wavefront6targetE0EEEvSH_.numbered_sgpr, 0
	.set _ZN7rocprim17ROCPRIM_400000_NS6detail17trampoline_kernelINS0_14default_configENS1_36segmented_radix_sort_config_selectorIllEEZNS1_25segmented_radix_sort_implIS3_Lb1EPKlPlS8_S9_N2at6native12_GLOBAL__N_18offset_tEEE10hipError_tPvRmT1_PNSt15iterator_traitsISH_E10value_typeET2_T3_PNSI_ISN_E10value_typeET4_jRbjT5_ST_jjP12ihipStream_tbEUlT_E_NS1_11comp_targetILNS1_3genE3ELNS1_11target_archE908ELNS1_3gpuE7ELNS1_3repE0EEENS1_30default_config_static_selectorELNS0_4arch9wavefront6targetE0EEEvSH_.num_named_barrier, 0
	.set _ZN7rocprim17ROCPRIM_400000_NS6detail17trampoline_kernelINS0_14default_configENS1_36segmented_radix_sort_config_selectorIllEEZNS1_25segmented_radix_sort_implIS3_Lb1EPKlPlS8_S9_N2at6native12_GLOBAL__N_18offset_tEEE10hipError_tPvRmT1_PNSt15iterator_traitsISH_E10value_typeET2_T3_PNSI_ISN_E10value_typeET4_jRbjT5_ST_jjP12ihipStream_tbEUlT_E_NS1_11comp_targetILNS1_3genE3ELNS1_11target_archE908ELNS1_3gpuE7ELNS1_3repE0EEENS1_30default_config_static_selectorELNS0_4arch9wavefront6targetE0EEEvSH_.private_seg_size, 0
	.set _ZN7rocprim17ROCPRIM_400000_NS6detail17trampoline_kernelINS0_14default_configENS1_36segmented_radix_sort_config_selectorIllEEZNS1_25segmented_radix_sort_implIS3_Lb1EPKlPlS8_S9_N2at6native12_GLOBAL__N_18offset_tEEE10hipError_tPvRmT1_PNSt15iterator_traitsISH_E10value_typeET2_T3_PNSI_ISN_E10value_typeET4_jRbjT5_ST_jjP12ihipStream_tbEUlT_E_NS1_11comp_targetILNS1_3genE3ELNS1_11target_archE908ELNS1_3gpuE7ELNS1_3repE0EEENS1_30default_config_static_selectorELNS0_4arch9wavefront6targetE0EEEvSH_.uses_vcc, 0
	.set _ZN7rocprim17ROCPRIM_400000_NS6detail17trampoline_kernelINS0_14default_configENS1_36segmented_radix_sort_config_selectorIllEEZNS1_25segmented_radix_sort_implIS3_Lb1EPKlPlS8_S9_N2at6native12_GLOBAL__N_18offset_tEEE10hipError_tPvRmT1_PNSt15iterator_traitsISH_E10value_typeET2_T3_PNSI_ISN_E10value_typeET4_jRbjT5_ST_jjP12ihipStream_tbEUlT_E_NS1_11comp_targetILNS1_3genE3ELNS1_11target_archE908ELNS1_3gpuE7ELNS1_3repE0EEENS1_30default_config_static_selectorELNS0_4arch9wavefront6targetE0EEEvSH_.uses_flat_scratch, 0
	.set _ZN7rocprim17ROCPRIM_400000_NS6detail17trampoline_kernelINS0_14default_configENS1_36segmented_radix_sort_config_selectorIllEEZNS1_25segmented_radix_sort_implIS3_Lb1EPKlPlS8_S9_N2at6native12_GLOBAL__N_18offset_tEEE10hipError_tPvRmT1_PNSt15iterator_traitsISH_E10value_typeET2_T3_PNSI_ISN_E10value_typeET4_jRbjT5_ST_jjP12ihipStream_tbEUlT_E_NS1_11comp_targetILNS1_3genE3ELNS1_11target_archE908ELNS1_3gpuE7ELNS1_3repE0EEENS1_30default_config_static_selectorELNS0_4arch9wavefront6targetE0EEEvSH_.has_dyn_sized_stack, 0
	.set _ZN7rocprim17ROCPRIM_400000_NS6detail17trampoline_kernelINS0_14default_configENS1_36segmented_radix_sort_config_selectorIllEEZNS1_25segmented_radix_sort_implIS3_Lb1EPKlPlS8_S9_N2at6native12_GLOBAL__N_18offset_tEEE10hipError_tPvRmT1_PNSt15iterator_traitsISH_E10value_typeET2_T3_PNSI_ISN_E10value_typeET4_jRbjT5_ST_jjP12ihipStream_tbEUlT_E_NS1_11comp_targetILNS1_3genE3ELNS1_11target_archE908ELNS1_3gpuE7ELNS1_3repE0EEENS1_30default_config_static_selectorELNS0_4arch9wavefront6targetE0EEEvSH_.has_recursion, 0
	.set _ZN7rocprim17ROCPRIM_400000_NS6detail17trampoline_kernelINS0_14default_configENS1_36segmented_radix_sort_config_selectorIllEEZNS1_25segmented_radix_sort_implIS3_Lb1EPKlPlS8_S9_N2at6native12_GLOBAL__N_18offset_tEEE10hipError_tPvRmT1_PNSt15iterator_traitsISH_E10value_typeET2_T3_PNSI_ISN_E10value_typeET4_jRbjT5_ST_jjP12ihipStream_tbEUlT_E_NS1_11comp_targetILNS1_3genE3ELNS1_11target_archE908ELNS1_3gpuE7ELNS1_3repE0EEENS1_30default_config_static_selectorELNS0_4arch9wavefront6targetE0EEEvSH_.has_indirect_call, 0
	.section	.AMDGPU.csdata,"",@progbits
; Kernel info:
; codeLenInByte = 0
; TotalNumSgprs: 0
; NumVgprs: 0
; ScratchSize: 0
; MemoryBound: 0
; FloatMode: 240
; IeeeMode: 1
; LDSByteSize: 0 bytes/workgroup (compile time only)
; SGPRBlocks: 0
; VGPRBlocks: 0
; NumSGPRsForWavesPerEU: 1
; NumVGPRsForWavesPerEU: 1
; Occupancy: 16
; WaveLimiterHint : 0
; COMPUTE_PGM_RSRC2:SCRATCH_EN: 0
; COMPUTE_PGM_RSRC2:USER_SGPR: 6
; COMPUTE_PGM_RSRC2:TRAP_HANDLER: 0
; COMPUTE_PGM_RSRC2:TGID_X_EN: 1
; COMPUTE_PGM_RSRC2:TGID_Y_EN: 0
; COMPUTE_PGM_RSRC2:TGID_Z_EN: 0
; COMPUTE_PGM_RSRC2:TIDIG_COMP_CNT: 0
	.section	.text._ZN7rocprim17ROCPRIM_400000_NS6detail17trampoline_kernelINS0_14default_configENS1_36segmented_radix_sort_config_selectorIllEEZNS1_25segmented_radix_sort_implIS3_Lb1EPKlPlS8_S9_N2at6native12_GLOBAL__N_18offset_tEEE10hipError_tPvRmT1_PNSt15iterator_traitsISH_E10value_typeET2_T3_PNSI_ISN_E10value_typeET4_jRbjT5_ST_jjP12ihipStream_tbEUlT_E_NS1_11comp_targetILNS1_3genE2ELNS1_11target_archE906ELNS1_3gpuE6ELNS1_3repE0EEENS1_30default_config_static_selectorELNS0_4arch9wavefront6targetE0EEEvSH_,"axG",@progbits,_ZN7rocprim17ROCPRIM_400000_NS6detail17trampoline_kernelINS0_14default_configENS1_36segmented_radix_sort_config_selectorIllEEZNS1_25segmented_radix_sort_implIS3_Lb1EPKlPlS8_S9_N2at6native12_GLOBAL__N_18offset_tEEE10hipError_tPvRmT1_PNSt15iterator_traitsISH_E10value_typeET2_T3_PNSI_ISN_E10value_typeET4_jRbjT5_ST_jjP12ihipStream_tbEUlT_E_NS1_11comp_targetILNS1_3genE2ELNS1_11target_archE906ELNS1_3gpuE6ELNS1_3repE0EEENS1_30default_config_static_selectorELNS0_4arch9wavefront6targetE0EEEvSH_,comdat
	.globl	_ZN7rocprim17ROCPRIM_400000_NS6detail17trampoline_kernelINS0_14default_configENS1_36segmented_radix_sort_config_selectorIllEEZNS1_25segmented_radix_sort_implIS3_Lb1EPKlPlS8_S9_N2at6native12_GLOBAL__N_18offset_tEEE10hipError_tPvRmT1_PNSt15iterator_traitsISH_E10value_typeET2_T3_PNSI_ISN_E10value_typeET4_jRbjT5_ST_jjP12ihipStream_tbEUlT_E_NS1_11comp_targetILNS1_3genE2ELNS1_11target_archE906ELNS1_3gpuE6ELNS1_3repE0EEENS1_30default_config_static_selectorELNS0_4arch9wavefront6targetE0EEEvSH_ ; -- Begin function _ZN7rocprim17ROCPRIM_400000_NS6detail17trampoline_kernelINS0_14default_configENS1_36segmented_radix_sort_config_selectorIllEEZNS1_25segmented_radix_sort_implIS3_Lb1EPKlPlS8_S9_N2at6native12_GLOBAL__N_18offset_tEEE10hipError_tPvRmT1_PNSt15iterator_traitsISH_E10value_typeET2_T3_PNSI_ISN_E10value_typeET4_jRbjT5_ST_jjP12ihipStream_tbEUlT_E_NS1_11comp_targetILNS1_3genE2ELNS1_11target_archE906ELNS1_3gpuE6ELNS1_3repE0EEENS1_30default_config_static_selectorELNS0_4arch9wavefront6targetE0EEEvSH_
	.p2align	8
	.type	_ZN7rocprim17ROCPRIM_400000_NS6detail17trampoline_kernelINS0_14default_configENS1_36segmented_radix_sort_config_selectorIllEEZNS1_25segmented_radix_sort_implIS3_Lb1EPKlPlS8_S9_N2at6native12_GLOBAL__N_18offset_tEEE10hipError_tPvRmT1_PNSt15iterator_traitsISH_E10value_typeET2_T3_PNSI_ISN_E10value_typeET4_jRbjT5_ST_jjP12ihipStream_tbEUlT_E_NS1_11comp_targetILNS1_3genE2ELNS1_11target_archE906ELNS1_3gpuE6ELNS1_3repE0EEENS1_30default_config_static_selectorELNS0_4arch9wavefront6targetE0EEEvSH_,@function
_ZN7rocprim17ROCPRIM_400000_NS6detail17trampoline_kernelINS0_14default_configENS1_36segmented_radix_sort_config_selectorIllEEZNS1_25segmented_radix_sort_implIS3_Lb1EPKlPlS8_S9_N2at6native12_GLOBAL__N_18offset_tEEE10hipError_tPvRmT1_PNSt15iterator_traitsISH_E10value_typeET2_T3_PNSI_ISN_E10value_typeET4_jRbjT5_ST_jjP12ihipStream_tbEUlT_E_NS1_11comp_targetILNS1_3genE2ELNS1_11target_archE906ELNS1_3gpuE6ELNS1_3repE0EEENS1_30default_config_static_selectorELNS0_4arch9wavefront6targetE0EEEvSH_: ; @_ZN7rocprim17ROCPRIM_400000_NS6detail17trampoline_kernelINS0_14default_configENS1_36segmented_radix_sort_config_selectorIllEEZNS1_25segmented_radix_sort_implIS3_Lb1EPKlPlS8_S9_N2at6native12_GLOBAL__N_18offset_tEEE10hipError_tPvRmT1_PNSt15iterator_traitsISH_E10value_typeET2_T3_PNSI_ISN_E10value_typeET4_jRbjT5_ST_jjP12ihipStream_tbEUlT_E_NS1_11comp_targetILNS1_3genE2ELNS1_11target_archE906ELNS1_3gpuE6ELNS1_3repE0EEENS1_30default_config_static_selectorELNS0_4arch9wavefront6targetE0EEEvSH_
; %bb.0:
	.section	.rodata,"a",@progbits
	.p2align	6, 0x0
	.amdhsa_kernel _ZN7rocprim17ROCPRIM_400000_NS6detail17trampoline_kernelINS0_14default_configENS1_36segmented_radix_sort_config_selectorIllEEZNS1_25segmented_radix_sort_implIS3_Lb1EPKlPlS8_S9_N2at6native12_GLOBAL__N_18offset_tEEE10hipError_tPvRmT1_PNSt15iterator_traitsISH_E10value_typeET2_T3_PNSI_ISN_E10value_typeET4_jRbjT5_ST_jjP12ihipStream_tbEUlT_E_NS1_11comp_targetILNS1_3genE2ELNS1_11target_archE906ELNS1_3gpuE6ELNS1_3repE0EEENS1_30default_config_static_selectorELNS0_4arch9wavefront6targetE0EEEvSH_
		.amdhsa_group_segment_fixed_size 0
		.amdhsa_private_segment_fixed_size 0
		.amdhsa_kernarg_size 96
		.amdhsa_user_sgpr_count 6
		.amdhsa_user_sgpr_private_segment_buffer 1
		.amdhsa_user_sgpr_dispatch_ptr 0
		.amdhsa_user_sgpr_queue_ptr 0
		.amdhsa_user_sgpr_kernarg_segment_ptr 1
		.amdhsa_user_sgpr_dispatch_id 0
		.amdhsa_user_sgpr_flat_scratch_init 0
		.amdhsa_user_sgpr_private_segment_size 0
		.amdhsa_wavefront_size32 1
		.amdhsa_uses_dynamic_stack 0
		.amdhsa_system_sgpr_private_segment_wavefront_offset 0
		.amdhsa_system_sgpr_workgroup_id_x 1
		.amdhsa_system_sgpr_workgroup_id_y 0
		.amdhsa_system_sgpr_workgroup_id_z 0
		.amdhsa_system_sgpr_workgroup_info 0
		.amdhsa_system_vgpr_workitem_id 0
		.amdhsa_next_free_vgpr 1
		.amdhsa_next_free_sgpr 1
		.amdhsa_reserve_vcc 0
		.amdhsa_reserve_flat_scratch 0
		.amdhsa_float_round_mode_32 0
		.amdhsa_float_round_mode_16_64 0
		.amdhsa_float_denorm_mode_32 3
		.amdhsa_float_denorm_mode_16_64 3
		.amdhsa_dx10_clamp 1
		.amdhsa_ieee_mode 1
		.amdhsa_fp16_overflow 0
		.amdhsa_workgroup_processor_mode 1
		.amdhsa_memory_ordered 1
		.amdhsa_forward_progress 1
		.amdhsa_shared_vgpr_count 0
		.amdhsa_exception_fp_ieee_invalid_op 0
		.amdhsa_exception_fp_denorm_src 0
		.amdhsa_exception_fp_ieee_div_zero 0
		.amdhsa_exception_fp_ieee_overflow 0
		.amdhsa_exception_fp_ieee_underflow 0
		.amdhsa_exception_fp_ieee_inexact 0
		.amdhsa_exception_int_div_zero 0
	.end_amdhsa_kernel
	.section	.text._ZN7rocprim17ROCPRIM_400000_NS6detail17trampoline_kernelINS0_14default_configENS1_36segmented_radix_sort_config_selectorIllEEZNS1_25segmented_radix_sort_implIS3_Lb1EPKlPlS8_S9_N2at6native12_GLOBAL__N_18offset_tEEE10hipError_tPvRmT1_PNSt15iterator_traitsISH_E10value_typeET2_T3_PNSI_ISN_E10value_typeET4_jRbjT5_ST_jjP12ihipStream_tbEUlT_E_NS1_11comp_targetILNS1_3genE2ELNS1_11target_archE906ELNS1_3gpuE6ELNS1_3repE0EEENS1_30default_config_static_selectorELNS0_4arch9wavefront6targetE0EEEvSH_,"axG",@progbits,_ZN7rocprim17ROCPRIM_400000_NS6detail17trampoline_kernelINS0_14default_configENS1_36segmented_radix_sort_config_selectorIllEEZNS1_25segmented_radix_sort_implIS3_Lb1EPKlPlS8_S9_N2at6native12_GLOBAL__N_18offset_tEEE10hipError_tPvRmT1_PNSt15iterator_traitsISH_E10value_typeET2_T3_PNSI_ISN_E10value_typeET4_jRbjT5_ST_jjP12ihipStream_tbEUlT_E_NS1_11comp_targetILNS1_3genE2ELNS1_11target_archE906ELNS1_3gpuE6ELNS1_3repE0EEENS1_30default_config_static_selectorELNS0_4arch9wavefront6targetE0EEEvSH_,comdat
.Lfunc_end702:
	.size	_ZN7rocprim17ROCPRIM_400000_NS6detail17trampoline_kernelINS0_14default_configENS1_36segmented_radix_sort_config_selectorIllEEZNS1_25segmented_radix_sort_implIS3_Lb1EPKlPlS8_S9_N2at6native12_GLOBAL__N_18offset_tEEE10hipError_tPvRmT1_PNSt15iterator_traitsISH_E10value_typeET2_T3_PNSI_ISN_E10value_typeET4_jRbjT5_ST_jjP12ihipStream_tbEUlT_E_NS1_11comp_targetILNS1_3genE2ELNS1_11target_archE906ELNS1_3gpuE6ELNS1_3repE0EEENS1_30default_config_static_selectorELNS0_4arch9wavefront6targetE0EEEvSH_, .Lfunc_end702-_ZN7rocprim17ROCPRIM_400000_NS6detail17trampoline_kernelINS0_14default_configENS1_36segmented_radix_sort_config_selectorIllEEZNS1_25segmented_radix_sort_implIS3_Lb1EPKlPlS8_S9_N2at6native12_GLOBAL__N_18offset_tEEE10hipError_tPvRmT1_PNSt15iterator_traitsISH_E10value_typeET2_T3_PNSI_ISN_E10value_typeET4_jRbjT5_ST_jjP12ihipStream_tbEUlT_E_NS1_11comp_targetILNS1_3genE2ELNS1_11target_archE906ELNS1_3gpuE6ELNS1_3repE0EEENS1_30default_config_static_selectorELNS0_4arch9wavefront6targetE0EEEvSH_
                                        ; -- End function
	.set _ZN7rocprim17ROCPRIM_400000_NS6detail17trampoline_kernelINS0_14default_configENS1_36segmented_radix_sort_config_selectorIllEEZNS1_25segmented_radix_sort_implIS3_Lb1EPKlPlS8_S9_N2at6native12_GLOBAL__N_18offset_tEEE10hipError_tPvRmT1_PNSt15iterator_traitsISH_E10value_typeET2_T3_PNSI_ISN_E10value_typeET4_jRbjT5_ST_jjP12ihipStream_tbEUlT_E_NS1_11comp_targetILNS1_3genE2ELNS1_11target_archE906ELNS1_3gpuE6ELNS1_3repE0EEENS1_30default_config_static_selectorELNS0_4arch9wavefront6targetE0EEEvSH_.num_vgpr, 0
	.set _ZN7rocprim17ROCPRIM_400000_NS6detail17trampoline_kernelINS0_14default_configENS1_36segmented_radix_sort_config_selectorIllEEZNS1_25segmented_radix_sort_implIS3_Lb1EPKlPlS8_S9_N2at6native12_GLOBAL__N_18offset_tEEE10hipError_tPvRmT1_PNSt15iterator_traitsISH_E10value_typeET2_T3_PNSI_ISN_E10value_typeET4_jRbjT5_ST_jjP12ihipStream_tbEUlT_E_NS1_11comp_targetILNS1_3genE2ELNS1_11target_archE906ELNS1_3gpuE6ELNS1_3repE0EEENS1_30default_config_static_selectorELNS0_4arch9wavefront6targetE0EEEvSH_.num_agpr, 0
	.set _ZN7rocprim17ROCPRIM_400000_NS6detail17trampoline_kernelINS0_14default_configENS1_36segmented_radix_sort_config_selectorIllEEZNS1_25segmented_radix_sort_implIS3_Lb1EPKlPlS8_S9_N2at6native12_GLOBAL__N_18offset_tEEE10hipError_tPvRmT1_PNSt15iterator_traitsISH_E10value_typeET2_T3_PNSI_ISN_E10value_typeET4_jRbjT5_ST_jjP12ihipStream_tbEUlT_E_NS1_11comp_targetILNS1_3genE2ELNS1_11target_archE906ELNS1_3gpuE6ELNS1_3repE0EEENS1_30default_config_static_selectorELNS0_4arch9wavefront6targetE0EEEvSH_.numbered_sgpr, 0
	.set _ZN7rocprim17ROCPRIM_400000_NS6detail17trampoline_kernelINS0_14default_configENS1_36segmented_radix_sort_config_selectorIllEEZNS1_25segmented_radix_sort_implIS3_Lb1EPKlPlS8_S9_N2at6native12_GLOBAL__N_18offset_tEEE10hipError_tPvRmT1_PNSt15iterator_traitsISH_E10value_typeET2_T3_PNSI_ISN_E10value_typeET4_jRbjT5_ST_jjP12ihipStream_tbEUlT_E_NS1_11comp_targetILNS1_3genE2ELNS1_11target_archE906ELNS1_3gpuE6ELNS1_3repE0EEENS1_30default_config_static_selectorELNS0_4arch9wavefront6targetE0EEEvSH_.num_named_barrier, 0
	.set _ZN7rocprim17ROCPRIM_400000_NS6detail17trampoline_kernelINS0_14default_configENS1_36segmented_radix_sort_config_selectorIllEEZNS1_25segmented_radix_sort_implIS3_Lb1EPKlPlS8_S9_N2at6native12_GLOBAL__N_18offset_tEEE10hipError_tPvRmT1_PNSt15iterator_traitsISH_E10value_typeET2_T3_PNSI_ISN_E10value_typeET4_jRbjT5_ST_jjP12ihipStream_tbEUlT_E_NS1_11comp_targetILNS1_3genE2ELNS1_11target_archE906ELNS1_3gpuE6ELNS1_3repE0EEENS1_30default_config_static_selectorELNS0_4arch9wavefront6targetE0EEEvSH_.private_seg_size, 0
	.set _ZN7rocprim17ROCPRIM_400000_NS6detail17trampoline_kernelINS0_14default_configENS1_36segmented_radix_sort_config_selectorIllEEZNS1_25segmented_radix_sort_implIS3_Lb1EPKlPlS8_S9_N2at6native12_GLOBAL__N_18offset_tEEE10hipError_tPvRmT1_PNSt15iterator_traitsISH_E10value_typeET2_T3_PNSI_ISN_E10value_typeET4_jRbjT5_ST_jjP12ihipStream_tbEUlT_E_NS1_11comp_targetILNS1_3genE2ELNS1_11target_archE906ELNS1_3gpuE6ELNS1_3repE0EEENS1_30default_config_static_selectorELNS0_4arch9wavefront6targetE0EEEvSH_.uses_vcc, 0
	.set _ZN7rocprim17ROCPRIM_400000_NS6detail17trampoline_kernelINS0_14default_configENS1_36segmented_radix_sort_config_selectorIllEEZNS1_25segmented_radix_sort_implIS3_Lb1EPKlPlS8_S9_N2at6native12_GLOBAL__N_18offset_tEEE10hipError_tPvRmT1_PNSt15iterator_traitsISH_E10value_typeET2_T3_PNSI_ISN_E10value_typeET4_jRbjT5_ST_jjP12ihipStream_tbEUlT_E_NS1_11comp_targetILNS1_3genE2ELNS1_11target_archE906ELNS1_3gpuE6ELNS1_3repE0EEENS1_30default_config_static_selectorELNS0_4arch9wavefront6targetE0EEEvSH_.uses_flat_scratch, 0
	.set _ZN7rocprim17ROCPRIM_400000_NS6detail17trampoline_kernelINS0_14default_configENS1_36segmented_radix_sort_config_selectorIllEEZNS1_25segmented_radix_sort_implIS3_Lb1EPKlPlS8_S9_N2at6native12_GLOBAL__N_18offset_tEEE10hipError_tPvRmT1_PNSt15iterator_traitsISH_E10value_typeET2_T3_PNSI_ISN_E10value_typeET4_jRbjT5_ST_jjP12ihipStream_tbEUlT_E_NS1_11comp_targetILNS1_3genE2ELNS1_11target_archE906ELNS1_3gpuE6ELNS1_3repE0EEENS1_30default_config_static_selectorELNS0_4arch9wavefront6targetE0EEEvSH_.has_dyn_sized_stack, 0
	.set _ZN7rocprim17ROCPRIM_400000_NS6detail17trampoline_kernelINS0_14default_configENS1_36segmented_radix_sort_config_selectorIllEEZNS1_25segmented_radix_sort_implIS3_Lb1EPKlPlS8_S9_N2at6native12_GLOBAL__N_18offset_tEEE10hipError_tPvRmT1_PNSt15iterator_traitsISH_E10value_typeET2_T3_PNSI_ISN_E10value_typeET4_jRbjT5_ST_jjP12ihipStream_tbEUlT_E_NS1_11comp_targetILNS1_3genE2ELNS1_11target_archE906ELNS1_3gpuE6ELNS1_3repE0EEENS1_30default_config_static_selectorELNS0_4arch9wavefront6targetE0EEEvSH_.has_recursion, 0
	.set _ZN7rocprim17ROCPRIM_400000_NS6detail17trampoline_kernelINS0_14default_configENS1_36segmented_radix_sort_config_selectorIllEEZNS1_25segmented_radix_sort_implIS3_Lb1EPKlPlS8_S9_N2at6native12_GLOBAL__N_18offset_tEEE10hipError_tPvRmT1_PNSt15iterator_traitsISH_E10value_typeET2_T3_PNSI_ISN_E10value_typeET4_jRbjT5_ST_jjP12ihipStream_tbEUlT_E_NS1_11comp_targetILNS1_3genE2ELNS1_11target_archE906ELNS1_3gpuE6ELNS1_3repE0EEENS1_30default_config_static_selectorELNS0_4arch9wavefront6targetE0EEEvSH_.has_indirect_call, 0
	.section	.AMDGPU.csdata,"",@progbits
; Kernel info:
; codeLenInByte = 0
; TotalNumSgprs: 0
; NumVgprs: 0
; ScratchSize: 0
; MemoryBound: 0
; FloatMode: 240
; IeeeMode: 1
; LDSByteSize: 0 bytes/workgroup (compile time only)
; SGPRBlocks: 0
; VGPRBlocks: 0
; NumSGPRsForWavesPerEU: 1
; NumVGPRsForWavesPerEU: 1
; Occupancy: 16
; WaveLimiterHint : 0
; COMPUTE_PGM_RSRC2:SCRATCH_EN: 0
; COMPUTE_PGM_RSRC2:USER_SGPR: 6
; COMPUTE_PGM_RSRC2:TRAP_HANDLER: 0
; COMPUTE_PGM_RSRC2:TGID_X_EN: 1
; COMPUTE_PGM_RSRC2:TGID_Y_EN: 0
; COMPUTE_PGM_RSRC2:TGID_Z_EN: 0
; COMPUTE_PGM_RSRC2:TIDIG_COMP_CNT: 0
	.section	.text._ZN7rocprim17ROCPRIM_400000_NS6detail17trampoline_kernelINS0_14default_configENS1_36segmented_radix_sort_config_selectorIllEEZNS1_25segmented_radix_sort_implIS3_Lb1EPKlPlS8_S9_N2at6native12_GLOBAL__N_18offset_tEEE10hipError_tPvRmT1_PNSt15iterator_traitsISH_E10value_typeET2_T3_PNSI_ISN_E10value_typeET4_jRbjT5_ST_jjP12ihipStream_tbEUlT_E_NS1_11comp_targetILNS1_3genE10ELNS1_11target_archE1201ELNS1_3gpuE5ELNS1_3repE0EEENS1_30default_config_static_selectorELNS0_4arch9wavefront6targetE0EEEvSH_,"axG",@progbits,_ZN7rocprim17ROCPRIM_400000_NS6detail17trampoline_kernelINS0_14default_configENS1_36segmented_radix_sort_config_selectorIllEEZNS1_25segmented_radix_sort_implIS3_Lb1EPKlPlS8_S9_N2at6native12_GLOBAL__N_18offset_tEEE10hipError_tPvRmT1_PNSt15iterator_traitsISH_E10value_typeET2_T3_PNSI_ISN_E10value_typeET4_jRbjT5_ST_jjP12ihipStream_tbEUlT_E_NS1_11comp_targetILNS1_3genE10ELNS1_11target_archE1201ELNS1_3gpuE5ELNS1_3repE0EEENS1_30default_config_static_selectorELNS0_4arch9wavefront6targetE0EEEvSH_,comdat
	.globl	_ZN7rocprim17ROCPRIM_400000_NS6detail17trampoline_kernelINS0_14default_configENS1_36segmented_radix_sort_config_selectorIllEEZNS1_25segmented_radix_sort_implIS3_Lb1EPKlPlS8_S9_N2at6native12_GLOBAL__N_18offset_tEEE10hipError_tPvRmT1_PNSt15iterator_traitsISH_E10value_typeET2_T3_PNSI_ISN_E10value_typeET4_jRbjT5_ST_jjP12ihipStream_tbEUlT_E_NS1_11comp_targetILNS1_3genE10ELNS1_11target_archE1201ELNS1_3gpuE5ELNS1_3repE0EEENS1_30default_config_static_selectorELNS0_4arch9wavefront6targetE0EEEvSH_ ; -- Begin function _ZN7rocprim17ROCPRIM_400000_NS6detail17trampoline_kernelINS0_14default_configENS1_36segmented_radix_sort_config_selectorIllEEZNS1_25segmented_radix_sort_implIS3_Lb1EPKlPlS8_S9_N2at6native12_GLOBAL__N_18offset_tEEE10hipError_tPvRmT1_PNSt15iterator_traitsISH_E10value_typeET2_T3_PNSI_ISN_E10value_typeET4_jRbjT5_ST_jjP12ihipStream_tbEUlT_E_NS1_11comp_targetILNS1_3genE10ELNS1_11target_archE1201ELNS1_3gpuE5ELNS1_3repE0EEENS1_30default_config_static_selectorELNS0_4arch9wavefront6targetE0EEEvSH_
	.p2align	8
	.type	_ZN7rocprim17ROCPRIM_400000_NS6detail17trampoline_kernelINS0_14default_configENS1_36segmented_radix_sort_config_selectorIllEEZNS1_25segmented_radix_sort_implIS3_Lb1EPKlPlS8_S9_N2at6native12_GLOBAL__N_18offset_tEEE10hipError_tPvRmT1_PNSt15iterator_traitsISH_E10value_typeET2_T3_PNSI_ISN_E10value_typeET4_jRbjT5_ST_jjP12ihipStream_tbEUlT_E_NS1_11comp_targetILNS1_3genE10ELNS1_11target_archE1201ELNS1_3gpuE5ELNS1_3repE0EEENS1_30default_config_static_selectorELNS0_4arch9wavefront6targetE0EEEvSH_,@function
_ZN7rocprim17ROCPRIM_400000_NS6detail17trampoline_kernelINS0_14default_configENS1_36segmented_radix_sort_config_selectorIllEEZNS1_25segmented_radix_sort_implIS3_Lb1EPKlPlS8_S9_N2at6native12_GLOBAL__N_18offset_tEEE10hipError_tPvRmT1_PNSt15iterator_traitsISH_E10value_typeET2_T3_PNSI_ISN_E10value_typeET4_jRbjT5_ST_jjP12ihipStream_tbEUlT_E_NS1_11comp_targetILNS1_3genE10ELNS1_11target_archE1201ELNS1_3gpuE5ELNS1_3repE0EEENS1_30default_config_static_selectorELNS0_4arch9wavefront6targetE0EEEvSH_: ; @_ZN7rocprim17ROCPRIM_400000_NS6detail17trampoline_kernelINS0_14default_configENS1_36segmented_radix_sort_config_selectorIllEEZNS1_25segmented_radix_sort_implIS3_Lb1EPKlPlS8_S9_N2at6native12_GLOBAL__N_18offset_tEEE10hipError_tPvRmT1_PNSt15iterator_traitsISH_E10value_typeET2_T3_PNSI_ISN_E10value_typeET4_jRbjT5_ST_jjP12ihipStream_tbEUlT_E_NS1_11comp_targetILNS1_3genE10ELNS1_11target_archE1201ELNS1_3gpuE5ELNS1_3repE0EEENS1_30default_config_static_selectorELNS0_4arch9wavefront6targetE0EEEvSH_
; %bb.0:
	.section	.rodata,"a",@progbits
	.p2align	6, 0x0
	.amdhsa_kernel _ZN7rocprim17ROCPRIM_400000_NS6detail17trampoline_kernelINS0_14default_configENS1_36segmented_radix_sort_config_selectorIllEEZNS1_25segmented_radix_sort_implIS3_Lb1EPKlPlS8_S9_N2at6native12_GLOBAL__N_18offset_tEEE10hipError_tPvRmT1_PNSt15iterator_traitsISH_E10value_typeET2_T3_PNSI_ISN_E10value_typeET4_jRbjT5_ST_jjP12ihipStream_tbEUlT_E_NS1_11comp_targetILNS1_3genE10ELNS1_11target_archE1201ELNS1_3gpuE5ELNS1_3repE0EEENS1_30default_config_static_selectorELNS0_4arch9wavefront6targetE0EEEvSH_
		.amdhsa_group_segment_fixed_size 0
		.amdhsa_private_segment_fixed_size 0
		.amdhsa_kernarg_size 96
		.amdhsa_user_sgpr_count 6
		.amdhsa_user_sgpr_private_segment_buffer 1
		.amdhsa_user_sgpr_dispatch_ptr 0
		.amdhsa_user_sgpr_queue_ptr 0
		.amdhsa_user_sgpr_kernarg_segment_ptr 1
		.amdhsa_user_sgpr_dispatch_id 0
		.amdhsa_user_sgpr_flat_scratch_init 0
		.amdhsa_user_sgpr_private_segment_size 0
		.amdhsa_wavefront_size32 1
		.amdhsa_uses_dynamic_stack 0
		.amdhsa_system_sgpr_private_segment_wavefront_offset 0
		.amdhsa_system_sgpr_workgroup_id_x 1
		.amdhsa_system_sgpr_workgroup_id_y 0
		.amdhsa_system_sgpr_workgroup_id_z 0
		.amdhsa_system_sgpr_workgroup_info 0
		.amdhsa_system_vgpr_workitem_id 0
		.amdhsa_next_free_vgpr 1
		.amdhsa_next_free_sgpr 1
		.amdhsa_reserve_vcc 0
		.amdhsa_reserve_flat_scratch 0
		.amdhsa_float_round_mode_32 0
		.amdhsa_float_round_mode_16_64 0
		.amdhsa_float_denorm_mode_32 3
		.amdhsa_float_denorm_mode_16_64 3
		.amdhsa_dx10_clamp 1
		.amdhsa_ieee_mode 1
		.amdhsa_fp16_overflow 0
		.amdhsa_workgroup_processor_mode 1
		.amdhsa_memory_ordered 1
		.amdhsa_forward_progress 1
		.amdhsa_shared_vgpr_count 0
		.amdhsa_exception_fp_ieee_invalid_op 0
		.amdhsa_exception_fp_denorm_src 0
		.amdhsa_exception_fp_ieee_div_zero 0
		.amdhsa_exception_fp_ieee_overflow 0
		.amdhsa_exception_fp_ieee_underflow 0
		.amdhsa_exception_fp_ieee_inexact 0
		.amdhsa_exception_int_div_zero 0
	.end_amdhsa_kernel
	.section	.text._ZN7rocprim17ROCPRIM_400000_NS6detail17trampoline_kernelINS0_14default_configENS1_36segmented_radix_sort_config_selectorIllEEZNS1_25segmented_radix_sort_implIS3_Lb1EPKlPlS8_S9_N2at6native12_GLOBAL__N_18offset_tEEE10hipError_tPvRmT1_PNSt15iterator_traitsISH_E10value_typeET2_T3_PNSI_ISN_E10value_typeET4_jRbjT5_ST_jjP12ihipStream_tbEUlT_E_NS1_11comp_targetILNS1_3genE10ELNS1_11target_archE1201ELNS1_3gpuE5ELNS1_3repE0EEENS1_30default_config_static_selectorELNS0_4arch9wavefront6targetE0EEEvSH_,"axG",@progbits,_ZN7rocprim17ROCPRIM_400000_NS6detail17trampoline_kernelINS0_14default_configENS1_36segmented_radix_sort_config_selectorIllEEZNS1_25segmented_radix_sort_implIS3_Lb1EPKlPlS8_S9_N2at6native12_GLOBAL__N_18offset_tEEE10hipError_tPvRmT1_PNSt15iterator_traitsISH_E10value_typeET2_T3_PNSI_ISN_E10value_typeET4_jRbjT5_ST_jjP12ihipStream_tbEUlT_E_NS1_11comp_targetILNS1_3genE10ELNS1_11target_archE1201ELNS1_3gpuE5ELNS1_3repE0EEENS1_30default_config_static_selectorELNS0_4arch9wavefront6targetE0EEEvSH_,comdat
.Lfunc_end703:
	.size	_ZN7rocprim17ROCPRIM_400000_NS6detail17trampoline_kernelINS0_14default_configENS1_36segmented_radix_sort_config_selectorIllEEZNS1_25segmented_radix_sort_implIS3_Lb1EPKlPlS8_S9_N2at6native12_GLOBAL__N_18offset_tEEE10hipError_tPvRmT1_PNSt15iterator_traitsISH_E10value_typeET2_T3_PNSI_ISN_E10value_typeET4_jRbjT5_ST_jjP12ihipStream_tbEUlT_E_NS1_11comp_targetILNS1_3genE10ELNS1_11target_archE1201ELNS1_3gpuE5ELNS1_3repE0EEENS1_30default_config_static_selectorELNS0_4arch9wavefront6targetE0EEEvSH_, .Lfunc_end703-_ZN7rocprim17ROCPRIM_400000_NS6detail17trampoline_kernelINS0_14default_configENS1_36segmented_radix_sort_config_selectorIllEEZNS1_25segmented_radix_sort_implIS3_Lb1EPKlPlS8_S9_N2at6native12_GLOBAL__N_18offset_tEEE10hipError_tPvRmT1_PNSt15iterator_traitsISH_E10value_typeET2_T3_PNSI_ISN_E10value_typeET4_jRbjT5_ST_jjP12ihipStream_tbEUlT_E_NS1_11comp_targetILNS1_3genE10ELNS1_11target_archE1201ELNS1_3gpuE5ELNS1_3repE0EEENS1_30default_config_static_selectorELNS0_4arch9wavefront6targetE0EEEvSH_
                                        ; -- End function
	.set _ZN7rocprim17ROCPRIM_400000_NS6detail17trampoline_kernelINS0_14default_configENS1_36segmented_radix_sort_config_selectorIllEEZNS1_25segmented_radix_sort_implIS3_Lb1EPKlPlS8_S9_N2at6native12_GLOBAL__N_18offset_tEEE10hipError_tPvRmT1_PNSt15iterator_traitsISH_E10value_typeET2_T3_PNSI_ISN_E10value_typeET4_jRbjT5_ST_jjP12ihipStream_tbEUlT_E_NS1_11comp_targetILNS1_3genE10ELNS1_11target_archE1201ELNS1_3gpuE5ELNS1_3repE0EEENS1_30default_config_static_selectorELNS0_4arch9wavefront6targetE0EEEvSH_.num_vgpr, 0
	.set _ZN7rocprim17ROCPRIM_400000_NS6detail17trampoline_kernelINS0_14default_configENS1_36segmented_radix_sort_config_selectorIllEEZNS1_25segmented_radix_sort_implIS3_Lb1EPKlPlS8_S9_N2at6native12_GLOBAL__N_18offset_tEEE10hipError_tPvRmT1_PNSt15iterator_traitsISH_E10value_typeET2_T3_PNSI_ISN_E10value_typeET4_jRbjT5_ST_jjP12ihipStream_tbEUlT_E_NS1_11comp_targetILNS1_3genE10ELNS1_11target_archE1201ELNS1_3gpuE5ELNS1_3repE0EEENS1_30default_config_static_selectorELNS0_4arch9wavefront6targetE0EEEvSH_.num_agpr, 0
	.set _ZN7rocprim17ROCPRIM_400000_NS6detail17trampoline_kernelINS0_14default_configENS1_36segmented_radix_sort_config_selectorIllEEZNS1_25segmented_radix_sort_implIS3_Lb1EPKlPlS8_S9_N2at6native12_GLOBAL__N_18offset_tEEE10hipError_tPvRmT1_PNSt15iterator_traitsISH_E10value_typeET2_T3_PNSI_ISN_E10value_typeET4_jRbjT5_ST_jjP12ihipStream_tbEUlT_E_NS1_11comp_targetILNS1_3genE10ELNS1_11target_archE1201ELNS1_3gpuE5ELNS1_3repE0EEENS1_30default_config_static_selectorELNS0_4arch9wavefront6targetE0EEEvSH_.numbered_sgpr, 0
	.set _ZN7rocprim17ROCPRIM_400000_NS6detail17trampoline_kernelINS0_14default_configENS1_36segmented_radix_sort_config_selectorIllEEZNS1_25segmented_radix_sort_implIS3_Lb1EPKlPlS8_S9_N2at6native12_GLOBAL__N_18offset_tEEE10hipError_tPvRmT1_PNSt15iterator_traitsISH_E10value_typeET2_T3_PNSI_ISN_E10value_typeET4_jRbjT5_ST_jjP12ihipStream_tbEUlT_E_NS1_11comp_targetILNS1_3genE10ELNS1_11target_archE1201ELNS1_3gpuE5ELNS1_3repE0EEENS1_30default_config_static_selectorELNS0_4arch9wavefront6targetE0EEEvSH_.num_named_barrier, 0
	.set _ZN7rocprim17ROCPRIM_400000_NS6detail17trampoline_kernelINS0_14default_configENS1_36segmented_radix_sort_config_selectorIllEEZNS1_25segmented_radix_sort_implIS3_Lb1EPKlPlS8_S9_N2at6native12_GLOBAL__N_18offset_tEEE10hipError_tPvRmT1_PNSt15iterator_traitsISH_E10value_typeET2_T3_PNSI_ISN_E10value_typeET4_jRbjT5_ST_jjP12ihipStream_tbEUlT_E_NS1_11comp_targetILNS1_3genE10ELNS1_11target_archE1201ELNS1_3gpuE5ELNS1_3repE0EEENS1_30default_config_static_selectorELNS0_4arch9wavefront6targetE0EEEvSH_.private_seg_size, 0
	.set _ZN7rocprim17ROCPRIM_400000_NS6detail17trampoline_kernelINS0_14default_configENS1_36segmented_radix_sort_config_selectorIllEEZNS1_25segmented_radix_sort_implIS3_Lb1EPKlPlS8_S9_N2at6native12_GLOBAL__N_18offset_tEEE10hipError_tPvRmT1_PNSt15iterator_traitsISH_E10value_typeET2_T3_PNSI_ISN_E10value_typeET4_jRbjT5_ST_jjP12ihipStream_tbEUlT_E_NS1_11comp_targetILNS1_3genE10ELNS1_11target_archE1201ELNS1_3gpuE5ELNS1_3repE0EEENS1_30default_config_static_selectorELNS0_4arch9wavefront6targetE0EEEvSH_.uses_vcc, 0
	.set _ZN7rocprim17ROCPRIM_400000_NS6detail17trampoline_kernelINS0_14default_configENS1_36segmented_radix_sort_config_selectorIllEEZNS1_25segmented_radix_sort_implIS3_Lb1EPKlPlS8_S9_N2at6native12_GLOBAL__N_18offset_tEEE10hipError_tPvRmT1_PNSt15iterator_traitsISH_E10value_typeET2_T3_PNSI_ISN_E10value_typeET4_jRbjT5_ST_jjP12ihipStream_tbEUlT_E_NS1_11comp_targetILNS1_3genE10ELNS1_11target_archE1201ELNS1_3gpuE5ELNS1_3repE0EEENS1_30default_config_static_selectorELNS0_4arch9wavefront6targetE0EEEvSH_.uses_flat_scratch, 0
	.set _ZN7rocprim17ROCPRIM_400000_NS6detail17trampoline_kernelINS0_14default_configENS1_36segmented_radix_sort_config_selectorIllEEZNS1_25segmented_radix_sort_implIS3_Lb1EPKlPlS8_S9_N2at6native12_GLOBAL__N_18offset_tEEE10hipError_tPvRmT1_PNSt15iterator_traitsISH_E10value_typeET2_T3_PNSI_ISN_E10value_typeET4_jRbjT5_ST_jjP12ihipStream_tbEUlT_E_NS1_11comp_targetILNS1_3genE10ELNS1_11target_archE1201ELNS1_3gpuE5ELNS1_3repE0EEENS1_30default_config_static_selectorELNS0_4arch9wavefront6targetE0EEEvSH_.has_dyn_sized_stack, 0
	.set _ZN7rocprim17ROCPRIM_400000_NS6detail17trampoline_kernelINS0_14default_configENS1_36segmented_radix_sort_config_selectorIllEEZNS1_25segmented_radix_sort_implIS3_Lb1EPKlPlS8_S9_N2at6native12_GLOBAL__N_18offset_tEEE10hipError_tPvRmT1_PNSt15iterator_traitsISH_E10value_typeET2_T3_PNSI_ISN_E10value_typeET4_jRbjT5_ST_jjP12ihipStream_tbEUlT_E_NS1_11comp_targetILNS1_3genE10ELNS1_11target_archE1201ELNS1_3gpuE5ELNS1_3repE0EEENS1_30default_config_static_selectorELNS0_4arch9wavefront6targetE0EEEvSH_.has_recursion, 0
	.set _ZN7rocprim17ROCPRIM_400000_NS6detail17trampoline_kernelINS0_14default_configENS1_36segmented_radix_sort_config_selectorIllEEZNS1_25segmented_radix_sort_implIS3_Lb1EPKlPlS8_S9_N2at6native12_GLOBAL__N_18offset_tEEE10hipError_tPvRmT1_PNSt15iterator_traitsISH_E10value_typeET2_T3_PNSI_ISN_E10value_typeET4_jRbjT5_ST_jjP12ihipStream_tbEUlT_E_NS1_11comp_targetILNS1_3genE10ELNS1_11target_archE1201ELNS1_3gpuE5ELNS1_3repE0EEENS1_30default_config_static_selectorELNS0_4arch9wavefront6targetE0EEEvSH_.has_indirect_call, 0
	.section	.AMDGPU.csdata,"",@progbits
; Kernel info:
; codeLenInByte = 0
; TotalNumSgprs: 0
; NumVgprs: 0
; ScratchSize: 0
; MemoryBound: 0
; FloatMode: 240
; IeeeMode: 1
; LDSByteSize: 0 bytes/workgroup (compile time only)
; SGPRBlocks: 0
; VGPRBlocks: 0
; NumSGPRsForWavesPerEU: 1
; NumVGPRsForWavesPerEU: 1
; Occupancy: 16
; WaveLimiterHint : 0
; COMPUTE_PGM_RSRC2:SCRATCH_EN: 0
; COMPUTE_PGM_RSRC2:USER_SGPR: 6
; COMPUTE_PGM_RSRC2:TRAP_HANDLER: 0
; COMPUTE_PGM_RSRC2:TGID_X_EN: 1
; COMPUTE_PGM_RSRC2:TGID_Y_EN: 0
; COMPUTE_PGM_RSRC2:TGID_Z_EN: 0
; COMPUTE_PGM_RSRC2:TIDIG_COMP_CNT: 0
	.section	.text._ZN7rocprim17ROCPRIM_400000_NS6detail17trampoline_kernelINS0_14default_configENS1_36segmented_radix_sort_config_selectorIllEEZNS1_25segmented_radix_sort_implIS3_Lb1EPKlPlS8_S9_N2at6native12_GLOBAL__N_18offset_tEEE10hipError_tPvRmT1_PNSt15iterator_traitsISH_E10value_typeET2_T3_PNSI_ISN_E10value_typeET4_jRbjT5_ST_jjP12ihipStream_tbEUlT_E_NS1_11comp_targetILNS1_3genE10ELNS1_11target_archE1200ELNS1_3gpuE4ELNS1_3repE0EEENS1_30default_config_static_selectorELNS0_4arch9wavefront6targetE0EEEvSH_,"axG",@progbits,_ZN7rocprim17ROCPRIM_400000_NS6detail17trampoline_kernelINS0_14default_configENS1_36segmented_radix_sort_config_selectorIllEEZNS1_25segmented_radix_sort_implIS3_Lb1EPKlPlS8_S9_N2at6native12_GLOBAL__N_18offset_tEEE10hipError_tPvRmT1_PNSt15iterator_traitsISH_E10value_typeET2_T3_PNSI_ISN_E10value_typeET4_jRbjT5_ST_jjP12ihipStream_tbEUlT_E_NS1_11comp_targetILNS1_3genE10ELNS1_11target_archE1200ELNS1_3gpuE4ELNS1_3repE0EEENS1_30default_config_static_selectorELNS0_4arch9wavefront6targetE0EEEvSH_,comdat
	.globl	_ZN7rocprim17ROCPRIM_400000_NS6detail17trampoline_kernelINS0_14default_configENS1_36segmented_radix_sort_config_selectorIllEEZNS1_25segmented_radix_sort_implIS3_Lb1EPKlPlS8_S9_N2at6native12_GLOBAL__N_18offset_tEEE10hipError_tPvRmT1_PNSt15iterator_traitsISH_E10value_typeET2_T3_PNSI_ISN_E10value_typeET4_jRbjT5_ST_jjP12ihipStream_tbEUlT_E_NS1_11comp_targetILNS1_3genE10ELNS1_11target_archE1200ELNS1_3gpuE4ELNS1_3repE0EEENS1_30default_config_static_selectorELNS0_4arch9wavefront6targetE0EEEvSH_ ; -- Begin function _ZN7rocprim17ROCPRIM_400000_NS6detail17trampoline_kernelINS0_14default_configENS1_36segmented_radix_sort_config_selectorIllEEZNS1_25segmented_radix_sort_implIS3_Lb1EPKlPlS8_S9_N2at6native12_GLOBAL__N_18offset_tEEE10hipError_tPvRmT1_PNSt15iterator_traitsISH_E10value_typeET2_T3_PNSI_ISN_E10value_typeET4_jRbjT5_ST_jjP12ihipStream_tbEUlT_E_NS1_11comp_targetILNS1_3genE10ELNS1_11target_archE1200ELNS1_3gpuE4ELNS1_3repE0EEENS1_30default_config_static_selectorELNS0_4arch9wavefront6targetE0EEEvSH_
	.p2align	8
	.type	_ZN7rocprim17ROCPRIM_400000_NS6detail17trampoline_kernelINS0_14default_configENS1_36segmented_radix_sort_config_selectorIllEEZNS1_25segmented_radix_sort_implIS3_Lb1EPKlPlS8_S9_N2at6native12_GLOBAL__N_18offset_tEEE10hipError_tPvRmT1_PNSt15iterator_traitsISH_E10value_typeET2_T3_PNSI_ISN_E10value_typeET4_jRbjT5_ST_jjP12ihipStream_tbEUlT_E_NS1_11comp_targetILNS1_3genE10ELNS1_11target_archE1200ELNS1_3gpuE4ELNS1_3repE0EEENS1_30default_config_static_selectorELNS0_4arch9wavefront6targetE0EEEvSH_,@function
_ZN7rocprim17ROCPRIM_400000_NS6detail17trampoline_kernelINS0_14default_configENS1_36segmented_radix_sort_config_selectorIllEEZNS1_25segmented_radix_sort_implIS3_Lb1EPKlPlS8_S9_N2at6native12_GLOBAL__N_18offset_tEEE10hipError_tPvRmT1_PNSt15iterator_traitsISH_E10value_typeET2_T3_PNSI_ISN_E10value_typeET4_jRbjT5_ST_jjP12ihipStream_tbEUlT_E_NS1_11comp_targetILNS1_3genE10ELNS1_11target_archE1200ELNS1_3gpuE4ELNS1_3repE0EEENS1_30default_config_static_selectorELNS0_4arch9wavefront6targetE0EEEvSH_: ; @_ZN7rocprim17ROCPRIM_400000_NS6detail17trampoline_kernelINS0_14default_configENS1_36segmented_radix_sort_config_selectorIllEEZNS1_25segmented_radix_sort_implIS3_Lb1EPKlPlS8_S9_N2at6native12_GLOBAL__N_18offset_tEEE10hipError_tPvRmT1_PNSt15iterator_traitsISH_E10value_typeET2_T3_PNSI_ISN_E10value_typeET4_jRbjT5_ST_jjP12ihipStream_tbEUlT_E_NS1_11comp_targetILNS1_3genE10ELNS1_11target_archE1200ELNS1_3gpuE4ELNS1_3repE0EEENS1_30default_config_static_selectorELNS0_4arch9wavefront6targetE0EEEvSH_
; %bb.0:
	.section	.rodata,"a",@progbits
	.p2align	6, 0x0
	.amdhsa_kernel _ZN7rocprim17ROCPRIM_400000_NS6detail17trampoline_kernelINS0_14default_configENS1_36segmented_radix_sort_config_selectorIllEEZNS1_25segmented_radix_sort_implIS3_Lb1EPKlPlS8_S9_N2at6native12_GLOBAL__N_18offset_tEEE10hipError_tPvRmT1_PNSt15iterator_traitsISH_E10value_typeET2_T3_PNSI_ISN_E10value_typeET4_jRbjT5_ST_jjP12ihipStream_tbEUlT_E_NS1_11comp_targetILNS1_3genE10ELNS1_11target_archE1200ELNS1_3gpuE4ELNS1_3repE0EEENS1_30default_config_static_selectorELNS0_4arch9wavefront6targetE0EEEvSH_
		.amdhsa_group_segment_fixed_size 0
		.amdhsa_private_segment_fixed_size 0
		.amdhsa_kernarg_size 96
		.amdhsa_user_sgpr_count 6
		.amdhsa_user_sgpr_private_segment_buffer 1
		.amdhsa_user_sgpr_dispatch_ptr 0
		.amdhsa_user_sgpr_queue_ptr 0
		.amdhsa_user_sgpr_kernarg_segment_ptr 1
		.amdhsa_user_sgpr_dispatch_id 0
		.amdhsa_user_sgpr_flat_scratch_init 0
		.amdhsa_user_sgpr_private_segment_size 0
		.amdhsa_wavefront_size32 1
		.amdhsa_uses_dynamic_stack 0
		.amdhsa_system_sgpr_private_segment_wavefront_offset 0
		.amdhsa_system_sgpr_workgroup_id_x 1
		.amdhsa_system_sgpr_workgroup_id_y 0
		.amdhsa_system_sgpr_workgroup_id_z 0
		.amdhsa_system_sgpr_workgroup_info 0
		.amdhsa_system_vgpr_workitem_id 0
		.amdhsa_next_free_vgpr 1
		.amdhsa_next_free_sgpr 1
		.amdhsa_reserve_vcc 0
		.amdhsa_reserve_flat_scratch 0
		.amdhsa_float_round_mode_32 0
		.amdhsa_float_round_mode_16_64 0
		.amdhsa_float_denorm_mode_32 3
		.amdhsa_float_denorm_mode_16_64 3
		.amdhsa_dx10_clamp 1
		.amdhsa_ieee_mode 1
		.amdhsa_fp16_overflow 0
		.amdhsa_workgroup_processor_mode 1
		.amdhsa_memory_ordered 1
		.amdhsa_forward_progress 1
		.amdhsa_shared_vgpr_count 0
		.amdhsa_exception_fp_ieee_invalid_op 0
		.amdhsa_exception_fp_denorm_src 0
		.amdhsa_exception_fp_ieee_div_zero 0
		.amdhsa_exception_fp_ieee_overflow 0
		.amdhsa_exception_fp_ieee_underflow 0
		.amdhsa_exception_fp_ieee_inexact 0
		.amdhsa_exception_int_div_zero 0
	.end_amdhsa_kernel
	.section	.text._ZN7rocprim17ROCPRIM_400000_NS6detail17trampoline_kernelINS0_14default_configENS1_36segmented_radix_sort_config_selectorIllEEZNS1_25segmented_radix_sort_implIS3_Lb1EPKlPlS8_S9_N2at6native12_GLOBAL__N_18offset_tEEE10hipError_tPvRmT1_PNSt15iterator_traitsISH_E10value_typeET2_T3_PNSI_ISN_E10value_typeET4_jRbjT5_ST_jjP12ihipStream_tbEUlT_E_NS1_11comp_targetILNS1_3genE10ELNS1_11target_archE1200ELNS1_3gpuE4ELNS1_3repE0EEENS1_30default_config_static_selectorELNS0_4arch9wavefront6targetE0EEEvSH_,"axG",@progbits,_ZN7rocprim17ROCPRIM_400000_NS6detail17trampoline_kernelINS0_14default_configENS1_36segmented_radix_sort_config_selectorIllEEZNS1_25segmented_radix_sort_implIS3_Lb1EPKlPlS8_S9_N2at6native12_GLOBAL__N_18offset_tEEE10hipError_tPvRmT1_PNSt15iterator_traitsISH_E10value_typeET2_T3_PNSI_ISN_E10value_typeET4_jRbjT5_ST_jjP12ihipStream_tbEUlT_E_NS1_11comp_targetILNS1_3genE10ELNS1_11target_archE1200ELNS1_3gpuE4ELNS1_3repE0EEENS1_30default_config_static_selectorELNS0_4arch9wavefront6targetE0EEEvSH_,comdat
.Lfunc_end704:
	.size	_ZN7rocprim17ROCPRIM_400000_NS6detail17trampoline_kernelINS0_14default_configENS1_36segmented_radix_sort_config_selectorIllEEZNS1_25segmented_radix_sort_implIS3_Lb1EPKlPlS8_S9_N2at6native12_GLOBAL__N_18offset_tEEE10hipError_tPvRmT1_PNSt15iterator_traitsISH_E10value_typeET2_T3_PNSI_ISN_E10value_typeET4_jRbjT5_ST_jjP12ihipStream_tbEUlT_E_NS1_11comp_targetILNS1_3genE10ELNS1_11target_archE1200ELNS1_3gpuE4ELNS1_3repE0EEENS1_30default_config_static_selectorELNS0_4arch9wavefront6targetE0EEEvSH_, .Lfunc_end704-_ZN7rocprim17ROCPRIM_400000_NS6detail17trampoline_kernelINS0_14default_configENS1_36segmented_radix_sort_config_selectorIllEEZNS1_25segmented_radix_sort_implIS3_Lb1EPKlPlS8_S9_N2at6native12_GLOBAL__N_18offset_tEEE10hipError_tPvRmT1_PNSt15iterator_traitsISH_E10value_typeET2_T3_PNSI_ISN_E10value_typeET4_jRbjT5_ST_jjP12ihipStream_tbEUlT_E_NS1_11comp_targetILNS1_3genE10ELNS1_11target_archE1200ELNS1_3gpuE4ELNS1_3repE0EEENS1_30default_config_static_selectorELNS0_4arch9wavefront6targetE0EEEvSH_
                                        ; -- End function
	.set _ZN7rocprim17ROCPRIM_400000_NS6detail17trampoline_kernelINS0_14default_configENS1_36segmented_radix_sort_config_selectorIllEEZNS1_25segmented_radix_sort_implIS3_Lb1EPKlPlS8_S9_N2at6native12_GLOBAL__N_18offset_tEEE10hipError_tPvRmT1_PNSt15iterator_traitsISH_E10value_typeET2_T3_PNSI_ISN_E10value_typeET4_jRbjT5_ST_jjP12ihipStream_tbEUlT_E_NS1_11comp_targetILNS1_3genE10ELNS1_11target_archE1200ELNS1_3gpuE4ELNS1_3repE0EEENS1_30default_config_static_selectorELNS0_4arch9wavefront6targetE0EEEvSH_.num_vgpr, 0
	.set _ZN7rocprim17ROCPRIM_400000_NS6detail17trampoline_kernelINS0_14default_configENS1_36segmented_radix_sort_config_selectorIllEEZNS1_25segmented_radix_sort_implIS3_Lb1EPKlPlS8_S9_N2at6native12_GLOBAL__N_18offset_tEEE10hipError_tPvRmT1_PNSt15iterator_traitsISH_E10value_typeET2_T3_PNSI_ISN_E10value_typeET4_jRbjT5_ST_jjP12ihipStream_tbEUlT_E_NS1_11comp_targetILNS1_3genE10ELNS1_11target_archE1200ELNS1_3gpuE4ELNS1_3repE0EEENS1_30default_config_static_selectorELNS0_4arch9wavefront6targetE0EEEvSH_.num_agpr, 0
	.set _ZN7rocprim17ROCPRIM_400000_NS6detail17trampoline_kernelINS0_14default_configENS1_36segmented_radix_sort_config_selectorIllEEZNS1_25segmented_radix_sort_implIS3_Lb1EPKlPlS8_S9_N2at6native12_GLOBAL__N_18offset_tEEE10hipError_tPvRmT1_PNSt15iterator_traitsISH_E10value_typeET2_T3_PNSI_ISN_E10value_typeET4_jRbjT5_ST_jjP12ihipStream_tbEUlT_E_NS1_11comp_targetILNS1_3genE10ELNS1_11target_archE1200ELNS1_3gpuE4ELNS1_3repE0EEENS1_30default_config_static_selectorELNS0_4arch9wavefront6targetE0EEEvSH_.numbered_sgpr, 0
	.set _ZN7rocprim17ROCPRIM_400000_NS6detail17trampoline_kernelINS0_14default_configENS1_36segmented_radix_sort_config_selectorIllEEZNS1_25segmented_radix_sort_implIS3_Lb1EPKlPlS8_S9_N2at6native12_GLOBAL__N_18offset_tEEE10hipError_tPvRmT1_PNSt15iterator_traitsISH_E10value_typeET2_T3_PNSI_ISN_E10value_typeET4_jRbjT5_ST_jjP12ihipStream_tbEUlT_E_NS1_11comp_targetILNS1_3genE10ELNS1_11target_archE1200ELNS1_3gpuE4ELNS1_3repE0EEENS1_30default_config_static_selectorELNS0_4arch9wavefront6targetE0EEEvSH_.num_named_barrier, 0
	.set _ZN7rocprim17ROCPRIM_400000_NS6detail17trampoline_kernelINS0_14default_configENS1_36segmented_radix_sort_config_selectorIllEEZNS1_25segmented_radix_sort_implIS3_Lb1EPKlPlS8_S9_N2at6native12_GLOBAL__N_18offset_tEEE10hipError_tPvRmT1_PNSt15iterator_traitsISH_E10value_typeET2_T3_PNSI_ISN_E10value_typeET4_jRbjT5_ST_jjP12ihipStream_tbEUlT_E_NS1_11comp_targetILNS1_3genE10ELNS1_11target_archE1200ELNS1_3gpuE4ELNS1_3repE0EEENS1_30default_config_static_selectorELNS0_4arch9wavefront6targetE0EEEvSH_.private_seg_size, 0
	.set _ZN7rocprim17ROCPRIM_400000_NS6detail17trampoline_kernelINS0_14default_configENS1_36segmented_radix_sort_config_selectorIllEEZNS1_25segmented_radix_sort_implIS3_Lb1EPKlPlS8_S9_N2at6native12_GLOBAL__N_18offset_tEEE10hipError_tPvRmT1_PNSt15iterator_traitsISH_E10value_typeET2_T3_PNSI_ISN_E10value_typeET4_jRbjT5_ST_jjP12ihipStream_tbEUlT_E_NS1_11comp_targetILNS1_3genE10ELNS1_11target_archE1200ELNS1_3gpuE4ELNS1_3repE0EEENS1_30default_config_static_selectorELNS0_4arch9wavefront6targetE0EEEvSH_.uses_vcc, 0
	.set _ZN7rocprim17ROCPRIM_400000_NS6detail17trampoline_kernelINS0_14default_configENS1_36segmented_radix_sort_config_selectorIllEEZNS1_25segmented_radix_sort_implIS3_Lb1EPKlPlS8_S9_N2at6native12_GLOBAL__N_18offset_tEEE10hipError_tPvRmT1_PNSt15iterator_traitsISH_E10value_typeET2_T3_PNSI_ISN_E10value_typeET4_jRbjT5_ST_jjP12ihipStream_tbEUlT_E_NS1_11comp_targetILNS1_3genE10ELNS1_11target_archE1200ELNS1_3gpuE4ELNS1_3repE0EEENS1_30default_config_static_selectorELNS0_4arch9wavefront6targetE0EEEvSH_.uses_flat_scratch, 0
	.set _ZN7rocprim17ROCPRIM_400000_NS6detail17trampoline_kernelINS0_14default_configENS1_36segmented_radix_sort_config_selectorIllEEZNS1_25segmented_radix_sort_implIS3_Lb1EPKlPlS8_S9_N2at6native12_GLOBAL__N_18offset_tEEE10hipError_tPvRmT1_PNSt15iterator_traitsISH_E10value_typeET2_T3_PNSI_ISN_E10value_typeET4_jRbjT5_ST_jjP12ihipStream_tbEUlT_E_NS1_11comp_targetILNS1_3genE10ELNS1_11target_archE1200ELNS1_3gpuE4ELNS1_3repE0EEENS1_30default_config_static_selectorELNS0_4arch9wavefront6targetE0EEEvSH_.has_dyn_sized_stack, 0
	.set _ZN7rocprim17ROCPRIM_400000_NS6detail17trampoline_kernelINS0_14default_configENS1_36segmented_radix_sort_config_selectorIllEEZNS1_25segmented_radix_sort_implIS3_Lb1EPKlPlS8_S9_N2at6native12_GLOBAL__N_18offset_tEEE10hipError_tPvRmT1_PNSt15iterator_traitsISH_E10value_typeET2_T3_PNSI_ISN_E10value_typeET4_jRbjT5_ST_jjP12ihipStream_tbEUlT_E_NS1_11comp_targetILNS1_3genE10ELNS1_11target_archE1200ELNS1_3gpuE4ELNS1_3repE0EEENS1_30default_config_static_selectorELNS0_4arch9wavefront6targetE0EEEvSH_.has_recursion, 0
	.set _ZN7rocprim17ROCPRIM_400000_NS6detail17trampoline_kernelINS0_14default_configENS1_36segmented_radix_sort_config_selectorIllEEZNS1_25segmented_radix_sort_implIS3_Lb1EPKlPlS8_S9_N2at6native12_GLOBAL__N_18offset_tEEE10hipError_tPvRmT1_PNSt15iterator_traitsISH_E10value_typeET2_T3_PNSI_ISN_E10value_typeET4_jRbjT5_ST_jjP12ihipStream_tbEUlT_E_NS1_11comp_targetILNS1_3genE10ELNS1_11target_archE1200ELNS1_3gpuE4ELNS1_3repE0EEENS1_30default_config_static_selectorELNS0_4arch9wavefront6targetE0EEEvSH_.has_indirect_call, 0
	.section	.AMDGPU.csdata,"",@progbits
; Kernel info:
; codeLenInByte = 0
; TotalNumSgprs: 0
; NumVgprs: 0
; ScratchSize: 0
; MemoryBound: 0
; FloatMode: 240
; IeeeMode: 1
; LDSByteSize: 0 bytes/workgroup (compile time only)
; SGPRBlocks: 0
; VGPRBlocks: 0
; NumSGPRsForWavesPerEU: 1
; NumVGPRsForWavesPerEU: 1
; Occupancy: 16
; WaveLimiterHint : 0
; COMPUTE_PGM_RSRC2:SCRATCH_EN: 0
; COMPUTE_PGM_RSRC2:USER_SGPR: 6
; COMPUTE_PGM_RSRC2:TRAP_HANDLER: 0
; COMPUTE_PGM_RSRC2:TGID_X_EN: 1
; COMPUTE_PGM_RSRC2:TGID_Y_EN: 0
; COMPUTE_PGM_RSRC2:TGID_Z_EN: 0
; COMPUTE_PGM_RSRC2:TIDIG_COMP_CNT: 0
	.section	.text._ZN7rocprim17ROCPRIM_400000_NS6detail17trampoline_kernelINS0_14default_configENS1_36segmented_radix_sort_config_selectorIllEEZNS1_25segmented_radix_sort_implIS3_Lb1EPKlPlS8_S9_N2at6native12_GLOBAL__N_18offset_tEEE10hipError_tPvRmT1_PNSt15iterator_traitsISH_E10value_typeET2_T3_PNSI_ISN_E10value_typeET4_jRbjT5_ST_jjP12ihipStream_tbEUlT_E_NS1_11comp_targetILNS1_3genE9ELNS1_11target_archE1100ELNS1_3gpuE3ELNS1_3repE0EEENS1_30default_config_static_selectorELNS0_4arch9wavefront6targetE0EEEvSH_,"axG",@progbits,_ZN7rocprim17ROCPRIM_400000_NS6detail17trampoline_kernelINS0_14default_configENS1_36segmented_radix_sort_config_selectorIllEEZNS1_25segmented_radix_sort_implIS3_Lb1EPKlPlS8_S9_N2at6native12_GLOBAL__N_18offset_tEEE10hipError_tPvRmT1_PNSt15iterator_traitsISH_E10value_typeET2_T3_PNSI_ISN_E10value_typeET4_jRbjT5_ST_jjP12ihipStream_tbEUlT_E_NS1_11comp_targetILNS1_3genE9ELNS1_11target_archE1100ELNS1_3gpuE3ELNS1_3repE0EEENS1_30default_config_static_selectorELNS0_4arch9wavefront6targetE0EEEvSH_,comdat
	.globl	_ZN7rocprim17ROCPRIM_400000_NS6detail17trampoline_kernelINS0_14default_configENS1_36segmented_radix_sort_config_selectorIllEEZNS1_25segmented_radix_sort_implIS3_Lb1EPKlPlS8_S9_N2at6native12_GLOBAL__N_18offset_tEEE10hipError_tPvRmT1_PNSt15iterator_traitsISH_E10value_typeET2_T3_PNSI_ISN_E10value_typeET4_jRbjT5_ST_jjP12ihipStream_tbEUlT_E_NS1_11comp_targetILNS1_3genE9ELNS1_11target_archE1100ELNS1_3gpuE3ELNS1_3repE0EEENS1_30default_config_static_selectorELNS0_4arch9wavefront6targetE0EEEvSH_ ; -- Begin function _ZN7rocprim17ROCPRIM_400000_NS6detail17trampoline_kernelINS0_14default_configENS1_36segmented_radix_sort_config_selectorIllEEZNS1_25segmented_radix_sort_implIS3_Lb1EPKlPlS8_S9_N2at6native12_GLOBAL__N_18offset_tEEE10hipError_tPvRmT1_PNSt15iterator_traitsISH_E10value_typeET2_T3_PNSI_ISN_E10value_typeET4_jRbjT5_ST_jjP12ihipStream_tbEUlT_E_NS1_11comp_targetILNS1_3genE9ELNS1_11target_archE1100ELNS1_3gpuE3ELNS1_3repE0EEENS1_30default_config_static_selectorELNS0_4arch9wavefront6targetE0EEEvSH_
	.p2align	8
	.type	_ZN7rocprim17ROCPRIM_400000_NS6detail17trampoline_kernelINS0_14default_configENS1_36segmented_radix_sort_config_selectorIllEEZNS1_25segmented_radix_sort_implIS3_Lb1EPKlPlS8_S9_N2at6native12_GLOBAL__N_18offset_tEEE10hipError_tPvRmT1_PNSt15iterator_traitsISH_E10value_typeET2_T3_PNSI_ISN_E10value_typeET4_jRbjT5_ST_jjP12ihipStream_tbEUlT_E_NS1_11comp_targetILNS1_3genE9ELNS1_11target_archE1100ELNS1_3gpuE3ELNS1_3repE0EEENS1_30default_config_static_selectorELNS0_4arch9wavefront6targetE0EEEvSH_,@function
_ZN7rocprim17ROCPRIM_400000_NS6detail17trampoline_kernelINS0_14default_configENS1_36segmented_radix_sort_config_selectorIllEEZNS1_25segmented_radix_sort_implIS3_Lb1EPKlPlS8_S9_N2at6native12_GLOBAL__N_18offset_tEEE10hipError_tPvRmT1_PNSt15iterator_traitsISH_E10value_typeET2_T3_PNSI_ISN_E10value_typeET4_jRbjT5_ST_jjP12ihipStream_tbEUlT_E_NS1_11comp_targetILNS1_3genE9ELNS1_11target_archE1100ELNS1_3gpuE3ELNS1_3repE0EEENS1_30default_config_static_selectorELNS0_4arch9wavefront6targetE0EEEvSH_: ; @_ZN7rocprim17ROCPRIM_400000_NS6detail17trampoline_kernelINS0_14default_configENS1_36segmented_radix_sort_config_selectorIllEEZNS1_25segmented_radix_sort_implIS3_Lb1EPKlPlS8_S9_N2at6native12_GLOBAL__N_18offset_tEEE10hipError_tPvRmT1_PNSt15iterator_traitsISH_E10value_typeET2_T3_PNSI_ISN_E10value_typeET4_jRbjT5_ST_jjP12ihipStream_tbEUlT_E_NS1_11comp_targetILNS1_3genE9ELNS1_11target_archE1100ELNS1_3gpuE3ELNS1_3repE0EEENS1_30default_config_static_selectorELNS0_4arch9wavefront6targetE0EEEvSH_
; %bb.0:
	.section	.rodata,"a",@progbits
	.p2align	6, 0x0
	.amdhsa_kernel _ZN7rocprim17ROCPRIM_400000_NS6detail17trampoline_kernelINS0_14default_configENS1_36segmented_radix_sort_config_selectorIllEEZNS1_25segmented_radix_sort_implIS3_Lb1EPKlPlS8_S9_N2at6native12_GLOBAL__N_18offset_tEEE10hipError_tPvRmT1_PNSt15iterator_traitsISH_E10value_typeET2_T3_PNSI_ISN_E10value_typeET4_jRbjT5_ST_jjP12ihipStream_tbEUlT_E_NS1_11comp_targetILNS1_3genE9ELNS1_11target_archE1100ELNS1_3gpuE3ELNS1_3repE0EEENS1_30default_config_static_selectorELNS0_4arch9wavefront6targetE0EEEvSH_
		.amdhsa_group_segment_fixed_size 0
		.amdhsa_private_segment_fixed_size 0
		.amdhsa_kernarg_size 96
		.amdhsa_user_sgpr_count 6
		.amdhsa_user_sgpr_private_segment_buffer 1
		.amdhsa_user_sgpr_dispatch_ptr 0
		.amdhsa_user_sgpr_queue_ptr 0
		.amdhsa_user_sgpr_kernarg_segment_ptr 1
		.amdhsa_user_sgpr_dispatch_id 0
		.amdhsa_user_sgpr_flat_scratch_init 0
		.amdhsa_user_sgpr_private_segment_size 0
		.amdhsa_wavefront_size32 1
		.amdhsa_uses_dynamic_stack 0
		.amdhsa_system_sgpr_private_segment_wavefront_offset 0
		.amdhsa_system_sgpr_workgroup_id_x 1
		.amdhsa_system_sgpr_workgroup_id_y 0
		.amdhsa_system_sgpr_workgroup_id_z 0
		.amdhsa_system_sgpr_workgroup_info 0
		.amdhsa_system_vgpr_workitem_id 0
		.amdhsa_next_free_vgpr 1
		.amdhsa_next_free_sgpr 1
		.amdhsa_reserve_vcc 0
		.amdhsa_reserve_flat_scratch 0
		.amdhsa_float_round_mode_32 0
		.amdhsa_float_round_mode_16_64 0
		.amdhsa_float_denorm_mode_32 3
		.amdhsa_float_denorm_mode_16_64 3
		.amdhsa_dx10_clamp 1
		.amdhsa_ieee_mode 1
		.amdhsa_fp16_overflow 0
		.amdhsa_workgroup_processor_mode 1
		.amdhsa_memory_ordered 1
		.amdhsa_forward_progress 1
		.amdhsa_shared_vgpr_count 0
		.amdhsa_exception_fp_ieee_invalid_op 0
		.amdhsa_exception_fp_denorm_src 0
		.amdhsa_exception_fp_ieee_div_zero 0
		.amdhsa_exception_fp_ieee_overflow 0
		.amdhsa_exception_fp_ieee_underflow 0
		.amdhsa_exception_fp_ieee_inexact 0
		.amdhsa_exception_int_div_zero 0
	.end_amdhsa_kernel
	.section	.text._ZN7rocprim17ROCPRIM_400000_NS6detail17trampoline_kernelINS0_14default_configENS1_36segmented_radix_sort_config_selectorIllEEZNS1_25segmented_radix_sort_implIS3_Lb1EPKlPlS8_S9_N2at6native12_GLOBAL__N_18offset_tEEE10hipError_tPvRmT1_PNSt15iterator_traitsISH_E10value_typeET2_T3_PNSI_ISN_E10value_typeET4_jRbjT5_ST_jjP12ihipStream_tbEUlT_E_NS1_11comp_targetILNS1_3genE9ELNS1_11target_archE1100ELNS1_3gpuE3ELNS1_3repE0EEENS1_30default_config_static_selectorELNS0_4arch9wavefront6targetE0EEEvSH_,"axG",@progbits,_ZN7rocprim17ROCPRIM_400000_NS6detail17trampoline_kernelINS0_14default_configENS1_36segmented_radix_sort_config_selectorIllEEZNS1_25segmented_radix_sort_implIS3_Lb1EPKlPlS8_S9_N2at6native12_GLOBAL__N_18offset_tEEE10hipError_tPvRmT1_PNSt15iterator_traitsISH_E10value_typeET2_T3_PNSI_ISN_E10value_typeET4_jRbjT5_ST_jjP12ihipStream_tbEUlT_E_NS1_11comp_targetILNS1_3genE9ELNS1_11target_archE1100ELNS1_3gpuE3ELNS1_3repE0EEENS1_30default_config_static_selectorELNS0_4arch9wavefront6targetE0EEEvSH_,comdat
.Lfunc_end705:
	.size	_ZN7rocprim17ROCPRIM_400000_NS6detail17trampoline_kernelINS0_14default_configENS1_36segmented_radix_sort_config_selectorIllEEZNS1_25segmented_radix_sort_implIS3_Lb1EPKlPlS8_S9_N2at6native12_GLOBAL__N_18offset_tEEE10hipError_tPvRmT1_PNSt15iterator_traitsISH_E10value_typeET2_T3_PNSI_ISN_E10value_typeET4_jRbjT5_ST_jjP12ihipStream_tbEUlT_E_NS1_11comp_targetILNS1_3genE9ELNS1_11target_archE1100ELNS1_3gpuE3ELNS1_3repE0EEENS1_30default_config_static_selectorELNS0_4arch9wavefront6targetE0EEEvSH_, .Lfunc_end705-_ZN7rocprim17ROCPRIM_400000_NS6detail17trampoline_kernelINS0_14default_configENS1_36segmented_radix_sort_config_selectorIllEEZNS1_25segmented_radix_sort_implIS3_Lb1EPKlPlS8_S9_N2at6native12_GLOBAL__N_18offset_tEEE10hipError_tPvRmT1_PNSt15iterator_traitsISH_E10value_typeET2_T3_PNSI_ISN_E10value_typeET4_jRbjT5_ST_jjP12ihipStream_tbEUlT_E_NS1_11comp_targetILNS1_3genE9ELNS1_11target_archE1100ELNS1_3gpuE3ELNS1_3repE0EEENS1_30default_config_static_selectorELNS0_4arch9wavefront6targetE0EEEvSH_
                                        ; -- End function
	.set _ZN7rocprim17ROCPRIM_400000_NS6detail17trampoline_kernelINS0_14default_configENS1_36segmented_radix_sort_config_selectorIllEEZNS1_25segmented_radix_sort_implIS3_Lb1EPKlPlS8_S9_N2at6native12_GLOBAL__N_18offset_tEEE10hipError_tPvRmT1_PNSt15iterator_traitsISH_E10value_typeET2_T3_PNSI_ISN_E10value_typeET4_jRbjT5_ST_jjP12ihipStream_tbEUlT_E_NS1_11comp_targetILNS1_3genE9ELNS1_11target_archE1100ELNS1_3gpuE3ELNS1_3repE0EEENS1_30default_config_static_selectorELNS0_4arch9wavefront6targetE0EEEvSH_.num_vgpr, 0
	.set _ZN7rocprim17ROCPRIM_400000_NS6detail17trampoline_kernelINS0_14default_configENS1_36segmented_radix_sort_config_selectorIllEEZNS1_25segmented_radix_sort_implIS3_Lb1EPKlPlS8_S9_N2at6native12_GLOBAL__N_18offset_tEEE10hipError_tPvRmT1_PNSt15iterator_traitsISH_E10value_typeET2_T3_PNSI_ISN_E10value_typeET4_jRbjT5_ST_jjP12ihipStream_tbEUlT_E_NS1_11comp_targetILNS1_3genE9ELNS1_11target_archE1100ELNS1_3gpuE3ELNS1_3repE0EEENS1_30default_config_static_selectorELNS0_4arch9wavefront6targetE0EEEvSH_.num_agpr, 0
	.set _ZN7rocprim17ROCPRIM_400000_NS6detail17trampoline_kernelINS0_14default_configENS1_36segmented_radix_sort_config_selectorIllEEZNS1_25segmented_radix_sort_implIS3_Lb1EPKlPlS8_S9_N2at6native12_GLOBAL__N_18offset_tEEE10hipError_tPvRmT1_PNSt15iterator_traitsISH_E10value_typeET2_T3_PNSI_ISN_E10value_typeET4_jRbjT5_ST_jjP12ihipStream_tbEUlT_E_NS1_11comp_targetILNS1_3genE9ELNS1_11target_archE1100ELNS1_3gpuE3ELNS1_3repE0EEENS1_30default_config_static_selectorELNS0_4arch9wavefront6targetE0EEEvSH_.numbered_sgpr, 0
	.set _ZN7rocprim17ROCPRIM_400000_NS6detail17trampoline_kernelINS0_14default_configENS1_36segmented_radix_sort_config_selectorIllEEZNS1_25segmented_radix_sort_implIS3_Lb1EPKlPlS8_S9_N2at6native12_GLOBAL__N_18offset_tEEE10hipError_tPvRmT1_PNSt15iterator_traitsISH_E10value_typeET2_T3_PNSI_ISN_E10value_typeET4_jRbjT5_ST_jjP12ihipStream_tbEUlT_E_NS1_11comp_targetILNS1_3genE9ELNS1_11target_archE1100ELNS1_3gpuE3ELNS1_3repE0EEENS1_30default_config_static_selectorELNS0_4arch9wavefront6targetE0EEEvSH_.num_named_barrier, 0
	.set _ZN7rocprim17ROCPRIM_400000_NS6detail17trampoline_kernelINS0_14default_configENS1_36segmented_radix_sort_config_selectorIllEEZNS1_25segmented_radix_sort_implIS3_Lb1EPKlPlS8_S9_N2at6native12_GLOBAL__N_18offset_tEEE10hipError_tPvRmT1_PNSt15iterator_traitsISH_E10value_typeET2_T3_PNSI_ISN_E10value_typeET4_jRbjT5_ST_jjP12ihipStream_tbEUlT_E_NS1_11comp_targetILNS1_3genE9ELNS1_11target_archE1100ELNS1_3gpuE3ELNS1_3repE0EEENS1_30default_config_static_selectorELNS0_4arch9wavefront6targetE0EEEvSH_.private_seg_size, 0
	.set _ZN7rocprim17ROCPRIM_400000_NS6detail17trampoline_kernelINS0_14default_configENS1_36segmented_radix_sort_config_selectorIllEEZNS1_25segmented_radix_sort_implIS3_Lb1EPKlPlS8_S9_N2at6native12_GLOBAL__N_18offset_tEEE10hipError_tPvRmT1_PNSt15iterator_traitsISH_E10value_typeET2_T3_PNSI_ISN_E10value_typeET4_jRbjT5_ST_jjP12ihipStream_tbEUlT_E_NS1_11comp_targetILNS1_3genE9ELNS1_11target_archE1100ELNS1_3gpuE3ELNS1_3repE0EEENS1_30default_config_static_selectorELNS0_4arch9wavefront6targetE0EEEvSH_.uses_vcc, 0
	.set _ZN7rocprim17ROCPRIM_400000_NS6detail17trampoline_kernelINS0_14default_configENS1_36segmented_radix_sort_config_selectorIllEEZNS1_25segmented_radix_sort_implIS3_Lb1EPKlPlS8_S9_N2at6native12_GLOBAL__N_18offset_tEEE10hipError_tPvRmT1_PNSt15iterator_traitsISH_E10value_typeET2_T3_PNSI_ISN_E10value_typeET4_jRbjT5_ST_jjP12ihipStream_tbEUlT_E_NS1_11comp_targetILNS1_3genE9ELNS1_11target_archE1100ELNS1_3gpuE3ELNS1_3repE0EEENS1_30default_config_static_selectorELNS0_4arch9wavefront6targetE0EEEvSH_.uses_flat_scratch, 0
	.set _ZN7rocprim17ROCPRIM_400000_NS6detail17trampoline_kernelINS0_14default_configENS1_36segmented_radix_sort_config_selectorIllEEZNS1_25segmented_radix_sort_implIS3_Lb1EPKlPlS8_S9_N2at6native12_GLOBAL__N_18offset_tEEE10hipError_tPvRmT1_PNSt15iterator_traitsISH_E10value_typeET2_T3_PNSI_ISN_E10value_typeET4_jRbjT5_ST_jjP12ihipStream_tbEUlT_E_NS1_11comp_targetILNS1_3genE9ELNS1_11target_archE1100ELNS1_3gpuE3ELNS1_3repE0EEENS1_30default_config_static_selectorELNS0_4arch9wavefront6targetE0EEEvSH_.has_dyn_sized_stack, 0
	.set _ZN7rocprim17ROCPRIM_400000_NS6detail17trampoline_kernelINS0_14default_configENS1_36segmented_radix_sort_config_selectorIllEEZNS1_25segmented_radix_sort_implIS3_Lb1EPKlPlS8_S9_N2at6native12_GLOBAL__N_18offset_tEEE10hipError_tPvRmT1_PNSt15iterator_traitsISH_E10value_typeET2_T3_PNSI_ISN_E10value_typeET4_jRbjT5_ST_jjP12ihipStream_tbEUlT_E_NS1_11comp_targetILNS1_3genE9ELNS1_11target_archE1100ELNS1_3gpuE3ELNS1_3repE0EEENS1_30default_config_static_selectorELNS0_4arch9wavefront6targetE0EEEvSH_.has_recursion, 0
	.set _ZN7rocprim17ROCPRIM_400000_NS6detail17trampoline_kernelINS0_14default_configENS1_36segmented_radix_sort_config_selectorIllEEZNS1_25segmented_radix_sort_implIS3_Lb1EPKlPlS8_S9_N2at6native12_GLOBAL__N_18offset_tEEE10hipError_tPvRmT1_PNSt15iterator_traitsISH_E10value_typeET2_T3_PNSI_ISN_E10value_typeET4_jRbjT5_ST_jjP12ihipStream_tbEUlT_E_NS1_11comp_targetILNS1_3genE9ELNS1_11target_archE1100ELNS1_3gpuE3ELNS1_3repE0EEENS1_30default_config_static_selectorELNS0_4arch9wavefront6targetE0EEEvSH_.has_indirect_call, 0
	.section	.AMDGPU.csdata,"",@progbits
; Kernel info:
; codeLenInByte = 0
; TotalNumSgprs: 0
; NumVgprs: 0
; ScratchSize: 0
; MemoryBound: 0
; FloatMode: 240
; IeeeMode: 1
; LDSByteSize: 0 bytes/workgroup (compile time only)
; SGPRBlocks: 0
; VGPRBlocks: 0
; NumSGPRsForWavesPerEU: 1
; NumVGPRsForWavesPerEU: 1
; Occupancy: 16
; WaveLimiterHint : 0
; COMPUTE_PGM_RSRC2:SCRATCH_EN: 0
; COMPUTE_PGM_RSRC2:USER_SGPR: 6
; COMPUTE_PGM_RSRC2:TRAP_HANDLER: 0
; COMPUTE_PGM_RSRC2:TGID_X_EN: 1
; COMPUTE_PGM_RSRC2:TGID_Y_EN: 0
; COMPUTE_PGM_RSRC2:TGID_Z_EN: 0
; COMPUTE_PGM_RSRC2:TIDIG_COMP_CNT: 0
	.text
	.p2align	2                               ; -- Begin function _ZN7rocprim17ROCPRIM_400000_NS6detail40segmented_radix_sort_single_block_helperIllLj256ELj16ELb1EE4sortIPKlPlS6_S7_EEbT_T0_T1_T2_jjjjRNS3_12storage_typeE
	.type	_ZN7rocprim17ROCPRIM_400000_NS6detail40segmented_radix_sort_single_block_helperIllLj256ELj16ELb1EE4sortIPKlPlS6_S7_EEbT_T0_T1_T2_jjjjRNS3_12storage_typeE,@function
_ZN7rocprim17ROCPRIM_400000_NS6detail40segmented_radix_sort_single_block_helperIllLj256ELj16ELb1EE4sortIPKlPlS6_S7_EEbT_T0_T1_T2_jjjjRNS3_12storage_typeE: ; @_ZN7rocprim17ROCPRIM_400000_NS6detail40segmented_radix_sort_single_block_helperIllLj256ELj16ELb1EE4sortIPKlPlS6_S7_EEbT_T0_T1_T2_jjjjRNS3_12storage_typeE
; %bb.0:
	s_waitcnt vmcnt(0) expcnt(0) lgkmcnt(0)
	buffer_store_dword v40, off, s[0:3], s32 offset:168 ; 4-byte Folded Spill
	buffer_store_dword v41, off, s[0:3], s32 offset:164 ; 4-byte Folded Spill
	;; [unrolled: 1-line block ×42, first 2 shown]
	buffer_store_dword v122, off, s[0:3], s32 ; 4-byte Folded Spill
	v_mov_b32_e32 v15, v7
	v_sub_nc_u32_e32 v40, v9, v8
	s_mov_b32 s24, exec_lo
	v_cmpx_gt_u32_e32 0x1001, v40
	s_cbranch_execz .LBB706_372
; %bb.1:
	v_bfe_u32 v7, v31, 10, 10
	v_bfe_u32 v13, v31, 20, 10
	v_and_b32_e32 v16, 0x3ff, v31
	v_mbcnt_lo_u32_b32 v28, -1, 0
	s_mov_b32 s4, exec_lo
	v_cmpx_lt_u32_e32 0x800, v40
	s_xor_b32 s25, exec_lo, s4
	s_cbranch_execz .LBB706_143
; %bb.2:
	s_load_dwordx2 s[4:5], s[8:9], 0x0
	v_mov_b32_e32 v9, 0
	v_mov_b32_e32 v128, -1
	v_mov_b32_e32 v130, -1
	;; [unrolled: 1-line block ×4, first 2 shown]
	v_lshlrev_b64 v[112:113], 3, v[8:9]
	s_waitcnt lgkmcnt(0)
	s_cmp_lt_u32 s13, s5
	s_cselect_b32 s5, 14, 20
	s_add_u32 s6, s8, s5
	s_addc_u32 s7, s9, 0
	s_cmp_lt_u32 s12, s4
	global_load_ushort v14, v9, s[6:7]
	s_cselect_b32 s4, 12, 18
	s_add_u32 s4, s8, s4
	s_addc_u32 s5, s9, 0
	global_load_ushort v17, v9, s[4:5]
	s_waitcnt vmcnt(1)
	v_mad_u32_u24 v7, v13, v14, v7
	v_lshlrev_b32_e32 v13, 3, v28
	s_waitcnt vmcnt(0)
	v_mad_u64_u32 v[114:115], null, v7, v17, v[16:17]
	v_lshlrev_b32_e32 v7, 4, v114
	v_and_b32_e32 v8, 0xfffffe00, v7
	v_add_co_u32 v7, vcc_lo, v0, v112
	v_add_co_ci_u32_e64 v14, null, v1, v113, vcc_lo
	v_lshlrev_b64 v[0:1], 3, v[8:9]
	v_add_co_u32 v7, vcc_lo, v7, v13
	v_add_co_ci_u32_e64 v14, null, 0, v14, vcc_lo
	v_or_b32_e32 v9, v8, v28
	v_add_co_u32 v7, vcc_lo, v7, v0
	v_add_co_ci_u32_e64 v8, null, v14, v1, vcc_lo
	v_cmp_lt_u32_e32 vcc_lo, v9, v40
	s_and_saveexec_b32 s4, vcc_lo
	s_cbranch_execz .LBB706_4
; %bb.3:
	flat_load_dwordx2 v[17:18], v[7:8]
	s_waitcnt vmcnt(0) lgkmcnt(0)
	v_xor_b32_e32 v131, 0x7fffffff, v18
	v_not_b32_e32 v130, v17
.LBB706_4:
	s_or_b32 exec_lo, exec_lo, s4
	v_or_b32_e32 v14, 32, v9
	v_cmp_lt_u32_e64 s4, v14, v40
	s_and_saveexec_b32 s5, s4
	s_cbranch_execz .LBB706_6
; %bb.5:
	flat_load_dwordx2 v[17:18], v[7:8] offset:256
	s_waitcnt vmcnt(0) lgkmcnt(0)
	v_xor_b32_e32 v129, 0x7fffffff, v18
	v_not_b32_e32 v128, v17
.LBB706_6:
	s_or_b32 exec_lo, exec_lo, s5
	v_or_b32_e32 v14, 64, v9
	v_mov_b32_e32 v132, -1
	v_mov_b32_e32 v134, -1
	v_mov_b32_e32 v133, -1
	v_mov_b32_e32 v135, -1
	v_cmp_lt_u32_e64 s5, v14, v40
	s_and_saveexec_b32 s6, s5
	s_cbranch_execz .LBB706_8
; %bb.7:
	flat_load_dwordx2 v[17:18], v[7:8] offset:512
	s_waitcnt vmcnt(0) lgkmcnt(0)
	v_xor_b32_e32 v135, 0x7fffffff, v18
	v_not_b32_e32 v134, v17
.LBB706_8:
	s_or_b32 exec_lo, exec_lo, s6
	v_or_b32_e32 v14, 0x60, v9
	v_cmp_lt_u32_e64 s6, v14, v40
	s_and_saveexec_b32 s7, s6
	s_cbranch_execz .LBB706_10
; %bb.9:
	flat_load_dwordx2 v[17:18], v[7:8] offset:768
	s_waitcnt vmcnt(0) lgkmcnt(0)
	v_xor_b32_e32 v133, 0x7fffffff, v18
	v_not_b32_e32 v132, v17
.LBB706_10:
	s_or_b32 exec_lo, exec_lo, s7
	v_or_b32_e32 v14, 0x80, v9
	v_mov_b32_e32 v144, -1
	v_mov_b32_e32 v146, -1
	v_mov_b32_e32 v145, -1
	v_mov_b32_e32 v147, -1
	v_cmp_lt_u32_e64 s7, v14, v40
	s_and_saveexec_b32 s10, s7
	s_cbranch_execz .LBB706_12
; %bb.11:
	flat_load_dwordx2 v[17:18], v[7:8] offset:1024
	s_waitcnt vmcnt(0) lgkmcnt(0)
	v_xor_b32_e32 v147, 0x7fffffff, v18
	v_not_b32_e32 v146, v17
.LBB706_12:
	;; [unrolled: 26-line block ×3, first 2 shown]
	s_or_b32 exec_lo, exec_lo, s14
	v_or_b32_e32 v14, 0xe0, v9
	v_cmp_lt_u32_e64 s14, v14, v40
	s_and_saveexec_b32 s15, s14
	s_cbranch_execz .LBB706_18
; %bb.17:
	flat_load_dwordx2 v[17:18], v[7:8] offset:1792
	s_waitcnt vmcnt(0) lgkmcnt(0)
	v_xor_b32_e32 v149, 0x7fffffff, v18
	v_not_b32_e32 v148, v17
.LBB706_18:
	s_or_b32 exec_lo, exec_lo, s15
	v_or_b32_e32 v14, 0x100, v9
	v_mov_b32_e32 v160, -1
	v_mov_b32_e32 v162, -1
	;; [unrolled: 1-line block ×4, first 2 shown]
	v_cmp_lt_u32_e64 s15, v14, v40
	s_and_saveexec_b32 s17, s15
	s_cbranch_execz .LBB706_20
; %bb.19:
	v_add_co_u32 v17, s16, 0x800, v7
	v_add_co_ci_u32_e64 v18, null, 0, v8, s16
	flat_load_dwordx2 v[17:18], v[17:18]
	s_waitcnt vmcnt(0) lgkmcnt(0)
	v_xor_b32_e32 v163, 0x7fffffff, v18
	v_not_b32_e32 v162, v17
.LBB706_20:
	s_or_b32 exec_lo, exec_lo, s17
	v_or_b32_e32 v14, 0x120, v9
	v_cmp_lt_u32_e64 s16, v14, v40
	s_and_saveexec_b32 s18, s16
	s_cbranch_execz .LBB706_22
; %bb.21:
	v_add_co_u32 v17, s17, 0x800, v7
	v_add_co_ci_u32_e64 v18, null, 0, v8, s17
	flat_load_dwordx2 v[17:18], v[17:18] offset:256
	s_waitcnt vmcnt(0) lgkmcnt(0)
	v_xor_b32_e32 v161, 0x7fffffff, v18
	v_not_b32_e32 v160, v17
.LBB706_22:
	s_or_b32 exec_lo, exec_lo, s18
	v_or_b32_e32 v14, 0x140, v9
	v_mov_b32_e32 v164, -1
	v_mov_b32_e32 v166, -1
	v_mov_b32_e32 v165, -1
	v_mov_b32_e32 v167, -1
	v_cmp_lt_u32_e64 s17, v14, v40
	s_and_saveexec_b32 s19, s17
	s_cbranch_execz .LBB706_24
; %bb.23:
	v_add_co_u32 v17, s18, 0x800, v7
	v_add_co_ci_u32_e64 v18, null, 0, v8, s18
	flat_load_dwordx2 v[17:18], v[17:18] offset:512
	s_waitcnt vmcnt(0) lgkmcnt(0)
	v_xor_b32_e32 v167, 0x7fffffff, v18
	v_not_b32_e32 v166, v17
.LBB706_24:
	s_or_b32 exec_lo, exec_lo, s19
	v_or_b32_e32 v14, 0x160, v9
	v_cmp_lt_u32_e64 s18, v14, v40
	s_and_saveexec_b32 s20, s18
	s_cbranch_execz .LBB706_26
; %bb.25:
	v_add_co_u32 v17, s19, 0x800, v7
	v_add_co_ci_u32_e64 v18, null, 0, v8, s19
	flat_load_dwordx2 v[17:18], v[17:18] offset:768
	s_waitcnt vmcnt(0) lgkmcnt(0)
	v_xor_b32_e32 v165, 0x7fffffff, v18
	v_not_b32_e32 v164, v17
.LBB706_26:
	s_or_b32 exec_lo, exec_lo, s20
	v_or_b32_e32 v14, 0x180, v9
	v_mov_b32_e32 v176, -1
	v_mov_b32_e32 v178, -1
	v_mov_b32_e32 v177, -1
	v_mov_b32_e32 v179, -1
	v_cmp_lt_u32_e64 s19, v14, v40
	s_and_saveexec_b32 s21, s19
	s_cbranch_execz .LBB706_28
; %bb.27:
	v_add_co_u32 v17, s20, 0x800, v7
	v_add_co_ci_u32_e64 v18, null, 0, v8, s20
	flat_load_dwordx2 v[17:18], v[17:18] offset:1024
	s_waitcnt vmcnt(0) lgkmcnt(0)
	v_xor_b32_e32 v179, 0x7fffffff, v18
	v_not_b32_e32 v178, v17
.LBB706_28:
	;; [unrolled: 30-line block ×3, first 2 shown]
	s_or_b32 exec_lo, exec_lo, s23
	v_or_b32_e32 v9, 0x1e0, v9
	v_cmp_lt_u32_e64 s22, v9, v40
	s_and_saveexec_b32 s26, s22
	s_cbranch_execz .LBB706_34
; %bb.33:
	v_add_co_u32 v7, s23, 0x800, v7
	v_add_co_ci_u32_e64 v8, null, 0, v8, s23
	flat_load_dwordx2 v[7:8], v[7:8] offset:1792
	s_waitcnt vmcnt(0) lgkmcnt(0)
	v_xor_b32_e32 v181, 0x7fffffff, v8
	v_not_b32_e32 v180, v7
.LBB706_34:
	s_or_b32 exec_lo, exec_lo, s26
	v_add_co_u32 v4, s23, v4, v112
	v_add_co_ci_u32_e64 v5, null, v5, v113, s23
                                        ; implicit-def: $vgpr196_vgpr197
	v_add_co_u32 v4, s23, v4, v13
	v_add_co_ci_u32_e64 v5, null, 0, v5, s23
	v_add_co_u32 v0, s23, v4, v0
	v_add_co_ci_u32_e64 v1, null, v5, v1, s23
	s_and_saveexec_b32 s23, vcc_lo
	s_cbranch_execnz .LBB706_196
; %bb.35:
	s_or_b32 exec_lo, exec_lo, s23
                                        ; implicit-def: $vgpr192_vgpr193
	s_and_saveexec_b32 s23, s4
	s_cbranch_execnz .LBB706_197
.LBB706_36:
	s_or_b32 exec_lo, exec_lo, s23
                                        ; implicit-def: $vgpr194_vgpr195
	s_and_saveexec_b32 s4, s5
	s_cbranch_execnz .LBB706_198
.LBB706_37:
	s_or_b32 exec_lo, exec_lo, s4
                                        ; implicit-def: $vgpr208_vgpr209
	s_and_saveexec_b32 s4, s6
	s_cbranch_execnz .LBB706_199
.LBB706_38:
	s_or_b32 exec_lo, exec_lo, s4
                                        ; implicit-def: $vgpr198_vgpr199
	s_and_saveexec_b32 s4, s7
	s_cbranch_execnz .LBB706_200
.LBB706_39:
	s_or_b32 exec_lo, exec_lo, s4
                                        ; implicit-def: $vgpr210_vgpr211
	s_and_saveexec_b32 s4, s10
	s_cbranch_execnz .LBB706_201
.LBB706_40:
	s_or_b32 exec_lo, exec_lo, s4
                                        ; implicit-def: $vgpr212_vgpr213
	s_and_saveexec_b32 s4, s11
	s_cbranch_execnz .LBB706_202
.LBB706_41:
	s_or_b32 exec_lo, exec_lo, s4
                                        ; implicit-def: $vgpr214_vgpr215
	s_and_saveexec_b32 s4, s14
	s_cbranch_execnz .LBB706_203
.LBB706_42:
	s_or_b32 exec_lo, exec_lo, s4
                                        ; implicit-def: $vgpr224_vgpr225
	s_and_saveexec_b32 s4, s15
	s_cbranch_execnz .LBB706_204
.LBB706_43:
	s_or_b32 exec_lo, exec_lo, s4
                                        ; implicit-def: $vgpr226_vgpr227
	s_and_saveexec_b32 s4, s16
	s_cbranch_execnz .LBB706_205
.LBB706_44:
	s_or_b32 exec_lo, exec_lo, s4
                                        ; implicit-def: $vgpr228_vgpr229
	s_and_saveexec_b32 s4, s17
	s_cbranch_execnz .LBB706_206
.LBB706_45:
	s_or_b32 exec_lo, exec_lo, s4
                                        ; implicit-def: $vgpr230_vgpr231
	s_and_saveexec_b32 s4, s18
	s_cbranch_execnz .LBB706_207
.LBB706_46:
	s_or_b32 exec_lo, exec_lo, s4
                                        ; implicit-def: $vgpr240_vgpr241
	s_and_saveexec_b32 s4, s19
	s_cbranch_execnz .LBB706_208
.LBB706_47:
	s_or_b32 exec_lo, exec_lo, s4
                                        ; implicit-def: $vgpr242_vgpr243
	s_and_saveexec_b32 s4, s20
	s_cbranch_execnz .LBB706_209
.LBB706_48:
	s_or_b32 exec_lo, exec_lo, s4
                                        ; implicit-def: $vgpr244_vgpr245
	s_and_saveexec_b32 s4, s21
	s_cbranch_execnz .LBB706_210
.LBB706_49:
	s_or_b32 exec_lo, exec_lo, s4
                                        ; implicit-def: $vgpr246_vgpr247
	s_and_saveexec_b32 s4, s22
	s_cbranch_execz .LBB706_51
.LBB706_50:
	v_add_co_u32 v0, vcc_lo, 0x800, v0
	v_add_co_ci_u32_e64 v1, null, 0, v1, vcc_lo
	flat_load_dwordx2 v[246:247], v[0:1] offset:1792
.LBB706_51:
	s_or_b32 exec_lo, exec_lo, s4
	v_lshl_add_u32 v0, v16, 5, v12
	v_and_b32_e32 v1, 0x3e0, v16
	v_and_b32_e32 v4, 15, v28
	s_getpc_b64 s[4:5]
	s_add_u32 s4, s4, _ZN7rocprim17ROCPRIM_400000_NS16block_radix_sortIlLj256ELj16ElLj1ELj1ELj8ELNS0_26block_radix_rank_algorithmE2ELNS0_18block_padding_hintE2ELNS0_4arch9wavefront6targetE0EE19radix_bits_per_passE@rel32@lo+4
	s_addc_u32 s5, s5, _ZN7rocprim17ROCPRIM_400000_NS16block_radix_sortIlLj256ELj16ElLj1ELj1ELj8ELNS0_26block_radix_rank_algorithmE2ELNS0_18block_padding_hintE2ELNS0_4arch9wavefront6targetE0EE19radix_bits_per_passE@rel32@hi+12
	v_sub_co_u32 v5, s6, v28, 1
	v_add_nc_u32_e32 v9, 32, v0
	v_add_nc_u32_e32 v39, 36, v0
	;; [unrolled: 1-line block ×8, first 2 shown]
	v_min_u32_e32 v0, 0xe0, v1
	s_load_dword s22, s[4:5], 0x0
	v_cmp_eq_u32_e32 vcc_lo, 0, v4
	v_cmp_lt_u32_e64 s4, 1, v4
	v_cmp_lt_u32_e64 s5, 3, v4
	v_or_b32_e32 v0, 31, v0
	v_cmp_lt_u32_e64 s7, 7, v4
	v_lshlrev_b32_e32 v4, 4, v16
	v_and_b32_e32 v1, 16, v28
	v_cmp_gt_i32_e64 s14, 0, v5
	v_cmp_eq_u32_e64 s11, v16, v0
	v_lshrrev_b32_e32 v0, 3, v16
	v_and_or_b32 v4, 0x3e00, v4, v28
	v_cmp_eq_u32_e64 s10, 0, v1
	v_cndmask_b32_e64 v1, v5, v28, s14
	v_and_b32_e32 v5, 7, v28
	v_and_b32_e32 v0, 0x7c, v0
	v_lshl_add_u32 v58, v4, 3, v12
	v_lshrrev_b32_e32 v46, 5, v114
	v_cmp_gt_u32_e64 s14, 8, v16
	v_cmp_lt_u32_e64 s15, 31, v16
	v_add_nc_u32_e32 v56, v12, v0
	v_lshlrev_b32_e32 v47, 2, v1
	v_cmp_eq_u32_e64 s16, 0, v16
	v_mov_b32_e32 v1, 0
	v_lshl_add_u32 v57, v16, 2, v12
	v_cmp_eq_u32_e64 s17, 0, v5
	v_cmp_lt_u32_e64 s18, 1, v5
	v_cmp_lt_u32_e64 s19, 3, v5
	v_add_nc_u32_e32 v59, -4, v56
	v_add_nc_u32_e32 v60, 0x100, v58
	v_add_nc_u32_e32 v61, 0x200, v58
	;; [unrolled: 1-line block ×15, first 2 shown]
	v_sub_nc_u32_e32 v91, v11, v10
	s_mov_b32 s23, 0
	s_waitcnt vmcnt(0) lgkmcnt(0)
	s_waitcnt_vscnt null, 0x0
	s_barrier
	buffer_gl0_inv
	s_branch .LBB706_53
.LBB706_52:                             ;   in Loop: Header=BB706_53 Depth=1
	s_or_b32 exec_lo, exec_lo, s21
	s_and_b32 s20, exec_lo, s26
	s_or_b32 s23, s20, s23
	s_andn2_b32 exec_lo, exec_lo, s23
	s_cbranch_execz .LBB706_93
.LBB706_53:                             ; =>This Inner Loop Header: Depth=1
	v_min_u32_e32 v0, s22, v91
	v_mov_b32_e32 v48, v130
	v_mov_b32_e32 v49, v131
	;; [unrolled: 1-line block ×4, first 2 shown]
	v_lshlrev_b32_e64 v0, v0, -1
	v_mov_b32_e32 v52, v128
	v_lshrrev_b64 v[33:34], v10, v[48:49]
	v_mov_b32_e32 v53, v129
	v_mov_b32_e32 v4, v196
	v_not_b32_e32 v192, v0
	v_mov_b32_e32 v13, v194
	v_mov_b32_e32 v7, v208
	;; [unrolled: 1-line block ×4, first 2 shown]
	v_and_b32_e32 v0, v33, v192
	v_mov_b32_e32 v19, v212
	v_mov_b32_e32 v31, v214
	v_mov_b32_e32 v29, v224
	v_mov_b32_e32 v27, v226
	v_and_b32_e32 v54, 1, v0
	v_lshlrev_b32_e32 v81, 30, v0
	v_lshlrev_b32_e32 v83, 29, v0
	;; [unrolled: 1-line block ×4, first 2 shown]
	v_add_co_u32 v80, s20, v54, -1
	v_cndmask_b32_e64 v68, 0, 1, s20
	v_not_b32_e32 v82, v81
	v_not_b32_e32 v85, v83
	;; [unrolled: 1-line block ×3, first 2 shown]
	v_lshlrev_b32_e32 v99, 26, v0
	v_cmp_ne_u32_e64 s20, 0, v68
	v_ashrrev_i32_e32 v82, 31, v82
	v_ashrrev_i32_e32 v85, 31, v85
	v_lshlrev_b32_e32 v128, 24, v0
	v_mov_b32_e32 v25, v228
	v_xor_b32_e32 v84, s20, v80
	v_cmp_gt_i32_e64 s20, 0, v81
	v_mov_b32_e32 v115, v230
	v_not_b32_e32 v130, v128
	v_mov_b32_e32 v37, v240
	v_and_b32_e32 v84, exec_lo, v84
	v_xor_b32_e32 v87, s20, v82
	v_cmp_gt_i32_e64 s20, 0, v83
	v_mov_b32_e32 v35, v242
	v_mov_b32_e32 v33, v244
	;; [unrolled: 1-line block ×3, first 2 shown]
	v_and_b32_e32 v87, v84, v87
	v_xor_b32_e32 v98, s20, v85
	v_cmp_gt_i32_e64 s20, 0, v86
	v_ashrrev_i32_e32 v86, 31, v96
	v_not_b32_e32 v96, v97
	v_mov_b32_e32 v50, v134
	v_and_b32_e32 v98, v87, v98
	v_mov_b32_e32 v54, v132
	v_xor_b32_e32 v100, s20, v86
	v_cmp_gt_i32_e64 s20, 0, v97
	v_ashrrev_i32_e32 v96, 31, v96
	v_not_b32_e32 v97, v99
	v_mov_b32_e32 v66, v146
	v_and_b32_e32 v98, v98, v100
	v_lshlrev_b32_e32 v100, 25, v0
	v_xor_b32_e32 v101, s20, v96
	v_cmp_gt_i32_e64 s20, 0, v99
	v_ashrrev_i32_e32 v99, 31, v97
	v_lshl_add_u32 v0, v0, 3, v46
	v_not_b32_e32 v102, v100
	v_and_b32_e32 v101, v98, v101
	v_mov_b32_e32 v64, v144
	v_xor_b32_e32 v129, s20, v99
	v_cmp_gt_i32_e64 s20, 0, v100
	v_ashrrev_i32_e32 v100, 31, v102
	v_mov_b32_e32 v68, v150
	v_mov_b32_e32 v70, v148
	v_and_b32_e32 v129, v101, v129
	v_mov_b32_e32 v80, v162
	v_xor_b32_e32 v131, s20, v100
	v_cmp_gt_i32_e64 s20, 0, v128
	v_ashrrev_i32_e32 v128, 31, v130
	v_mov_b32_e32 v82, v160
	v_mov_b32_e32 v84, v166
	v_and_b32_e32 v129, v129, v131
	v_lshlrev_b64 v[130:131], 2, v[0:1]
	v_xor_b32_e32 v128, s20, v128
	v_mov_b32_e32 v86, v164
	v_mov_b32_e32 v96, v178
	;; [unrolled: 1-line block ×4, first 2 shown]
	v_and_b32_e32 v129, v129, v128
	v_add_co_u32 v128, null, v12, v130
	v_mov_b32_e32 v100, v180
	v_mov_b32_e32 v5, v197
	v_mbcnt_lo_u32_b32 v0, v129, 0
	v_cmp_ne_u32_e64 s21, 0, v129
	v_mov_b32_e32 v14, v195
	v_mov_b32_e32 v8, v209
	;; [unrolled: 1-line block ×3, first 2 shown]
	v_cmp_eq_u32_e64 s20, 0, v0
	v_mov_b32_e32 v22, v211
	v_mov_b32_e32 v20, v213
	;; [unrolled: 1-line block ×25, first 2 shown]
	v_add_co_u32 v128, null, v128, 32
	s_and_b32 s21, s21, s20
	ds_write_b32 v9, v1
	ds_write_b32 v39, v1
	;; [unrolled: 1-line block ×8, first 2 shown]
	s_waitcnt lgkmcnt(0)
	s_barrier
	buffer_gl0_inv
	; wave barrier
	s_and_saveexec_b32 s20, s21
; %bb.54:                               ;   in Loop: Header=BB706_53 Depth=1
	v_bcnt_u32_b32 v129, v129, 0
	ds_write_b32 v128, v129
; %bb.55:                               ;   in Loop: Header=BB706_53 Depth=1
	s_or_b32 exec_lo, exec_lo, s20
	v_lshrrev_b64 v[129:130], v10, v[52:53]
	; wave barrier
	v_and_b32_e32 v129, v129, v192
	v_and_b32_e32 v130, 1, v129
	v_lshlrev_b32_e32 v131, 30, v129
	v_lshlrev_b32_e32 v132, 29, v129
	;; [unrolled: 1-line block ×4, first 2 shown]
	v_add_co_u32 v130, s20, v130, -1
	v_cndmask_b32_e64 v134, 0, 1, s20
	v_not_b32_e32 v146, v131
	v_cmp_gt_i32_e64 s21, 0, v131
	v_not_b32_e32 v131, v132
	v_lshlrev_b32_e32 v144, 26, v129
	v_cmp_ne_u32_e64 s20, 0, v134
	v_ashrrev_i32_e32 v146, 31, v146
	v_lshlrev_b32_e32 v145, 25, v129
	v_ashrrev_i32_e32 v131, 31, v131
	v_lshlrev_b32_e32 v134, 24, v129
	v_xor_b32_e32 v130, s20, v130
	v_cmp_gt_i32_e64 s20, 0, v132
	v_not_b32_e32 v132, v133
	v_xor_b32_e32 v146, s21, v146
	v_cmp_gt_i32_e64 s21, 0, v133
	v_and_b32_e32 v130, exec_lo, v130
	v_not_b32_e32 v133, v135
	v_ashrrev_i32_e32 v132, 31, v132
	v_xor_b32_e32 v131, s20, v131
	v_cmp_gt_i32_e64 s20, 0, v135
	v_and_b32_e32 v130, v130, v146
	v_not_b32_e32 v135, v144
	v_ashrrev_i32_e32 v133, 31, v133
	v_xor_b32_e32 v132, s21, v132
	v_cmp_gt_i32_e64 s21, 0, v144
	v_and_b32_e32 v130, v130, v131
	;; [unrolled: 5-line block ×3, first 2 shown]
	v_not_b32_e32 v132, v134
	v_ashrrev_i32_e32 v131, 31, v131
	v_xor_b32_e32 v135, s21, v135
	v_lshl_add_u32 v129, v129, 3, v46
	v_and_b32_e32 v130, v130, v133
	v_cmp_gt_i32_e64 s21, 0, v134
	v_ashrrev_i32_e32 v132, 31, v132
	v_xor_b32_e32 v131, s20, v131
	v_lshl_add_u32 v133, v129, 2, v12
	v_and_b32_e32 v130, v130, v135
	v_xor_b32_e32 v132, s21, v132
	ds_read_b32 v129, v133 offset:32
	v_and_b32_e32 v130, v130, v131
	v_add_nc_u32_e32 v131, 32, v133
	; wave barrier
	v_and_b32_e32 v132, v130, v132
	v_mbcnt_lo_u32_b32 v130, v132, 0
	v_cmp_ne_u32_e64 s21, 0, v132
	v_cmp_eq_u32_e64 s20, 0, v130
	s_and_b32 s21, s21, s20
	s_and_saveexec_b32 s20, s21
	s_cbranch_execz .LBB706_57
; %bb.56:                               ;   in Loop: Header=BB706_53 Depth=1
	s_waitcnt lgkmcnt(0)
	v_bcnt_u32_b32 v132, v132, v129
	ds_write_b32 v131, v132
.LBB706_57:                             ;   in Loop: Header=BB706_53 Depth=1
	s_or_b32 exec_lo, exec_lo, s20
	v_lshrrev_b64 v[132:133], v10, v[50:51]
	; wave barrier
	v_and_b32_e32 v132, v132, v192
	v_and_b32_e32 v133, 1, v132
	v_lshlrev_b32_e32 v134, 30, v132
	v_lshlrev_b32_e32 v135, 29, v132
	;; [unrolled: 1-line block ×4, first 2 shown]
	v_add_co_u32 v133, s20, v133, -1
	v_cndmask_b32_e64 v145, 0, 1, s20
	v_not_b32_e32 v149, v134
	v_cmp_gt_i32_e64 s21, 0, v134
	v_not_b32_e32 v134, v135
	v_lshlrev_b32_e32 v147, 26, v132
	v_cmp_ne_u32_e64 s20, 0, v145
	v_ashrrev_i32_e32 v149, 31, v149
	v_lshlrev_b32_e32 v148, 25, v132
	v_ashrrev_i32_e32 v134, 31, v134
	v_lshlrev_b32_e32 v145, 24, v132
	v_xor_b32_e32 v133, s20, v133
	v_cmp_gt_i32_e64 s20, 0, v135
	v_not_b32_e32 v135, v144
	v_xor_b32_e32 v149, s21, v149
	v_cmp_gt_i32_e64 s21, 0, v144
	v_and_b32_e32 v133, exec_lo, v133
	v_not_b32_e32 v144, v146
	v_ashrrev_i32_e32 v135, 31, v135
	v_xor_b32_e32 v134, s20, v134
	v_cmp_gt_i32_e64 s20, 0, v146
	v_and_b32_e32 v133, v133, v149
	v_not_b32_e32 v146, v147
	v_ashrrev_i32_e32 v144, 31, v144
	v_xor_b32_e32 v135, s21, v135
	v_cmp_gt_i32_e64 s21, 0, v147
	v_and_b32_e32 v133, v133, v134
	;; [unrolled: 5-line block ×3, first 2 shown]
	v_not_b32_e32 v135, v145
	v_ashrrev_i32_e32 v134, 31, v134
	v_xor_b32_e32 v146, s21, v146
	v_lshl_add_u32 v132, v132, 3, v46
	v_and_b32_e32 v133, v133, v144
	v_cmp_gt_i32_e64 s21, 0, v145
	v_ashrrev_i32_e32 v135, 31, v135
	v_xor_b32_e32 v134, s20, v134
	v_lshl_add_u32 v144, v132, 2, v12
	v_and_b32_e32 v133, v133, v146
	v_xor_b32_e32 v135, s21, v135
	ds_read_b32 v132, v144 offset:32
	v_and_b32_e32 v133, v133, v134
	v_add_nc_u32_e32 v134, 32, v144
	; wave barrier
	v_and_b32_e32 v135, v133, v135
	v_mbcnt_lo_u32_b32 v133, v135, 0
	v_cmp_ne_u32_e64 s21, 0, v135
	v_cmp_eq_u32_e64 s20, 0, v133
	s_and_b32 s21, s21, s20
	s_and_saveexec_b32 s20, s21
	s_cbranch_execz .LBB706_59
; %bb.58:                               ;   in Loop: Header=BB706_53 Depth=1
	s_waitcnt lgkmcnt(0)
	v_bcnt_u32_b32 v135, v135, v132
	ds_write_b32 v134, v135
.LBB706_59:                             ;   in Loop: Header=BB706_53 Depth=1
	s_or_b32 exec_lo, exec_lo, s20
	v_lshrrev_b64 v[144:145], v10, v[54:55]
	; wave barrier
	v_and_b32_e32 v135, v144, v192
	v_and_b32_e32 v144, 1, v135
	v_lshlrev_b32_e32 v145, 30, v135
	v_lshlrev_b32_e32 v146, 29, v135
	;; [unrolled: 1-line block ×4, first 2 shown]
	v_add_co_u32 v144, s20, v144, -1
	v_cndmask_b32_e64 v148, 0, 1, s20
	v_not_b32_e32 v160, v145
	v_cmp_gt_i32_e64 s21, 0, v145
	v_not_b32_e32 v145, v146
	v_lshlrev_b32_e32 v150, 26, v135
	v_cmp_ne_u32_e64 s20, 0, v148
	v_ashrrev_i32_e32 v160, 31, v160
	v_lshlrev_b32_e32 v151, 25, v135
	v_ashrrev_i32_e32 v145, 31, v145
	v_lshlrev_b32_e32 v148, 24, v135
	v_xor_b32_e32 v144, s20, v144
	v_cmp_gt_i32_e64 s20, 0, v146
	v_not_b32_e32 v146, v147
	v_xor_b32_e32 v160, s21, v160
	v_cmp_gt_i32_e64 s21, 0, v147
	v_and_b32_e32 v144, exec_lo, v144
	v_not_b32_e32 v147, v149
	v_ashrrev_i32_e32 v146, 31, v146
	v_xor_b32_e32 v145, s20, v145
	v_cmp_gt_i32_e64 s20, 0, v149
	v_and_b32_e32 v144, v144, v160
	v_not_b32_e32 v149, v150
	v_ashrrev_i32_e32 v147, 31, v147
	v_xor_b32_e32 v146, s21, v146
	v_cmp_gt_i32_e64 s21, 0, v150
	v_and_b32_e32 v144, v144, v145
	;; [unrolled: 5-line block ×3, first 2 shown]
	v_not_b32_e32 v146, v148
	v_ashrrev_i32_e32 v145, 31, v145
	v_xor_b32_e32 v149, s21, v149
	v_lshl_add_u32 v135, v135, 3, v46
	v_and_b32_e32 v144, v144, v147
	v_cmp_gt_i32_e64 s21, 0, v148
	v_ashrrev_i32_e32 v146, 31, v146
	v_xor_b32_e32 v145, s20, v145
	v_lshl_add_u32 v147, v135, 2, v12
	v_and_b32_e32 v144, v144, v149
	v_xor_b32_e32 v146, s21, v146
	ds_read_b32 v135, v147 offset:32
	v_and_b32_e32 v144, v144, v145
	v_add_nc_u32_e32 v145, 32, v147
	; wave barrier
	v_and_b32_e32 v146, v144, v146
	v_mbcnt_lo_u32_b32 v144, v146, 0
	v_cmp_ne_u32_e64 s21, 0, v146
	v_cmp_eq_u32_e64 s20, 0, v144
	s_and_b32 s21, s21, s20
	s_and_saveexec_b32 s20, s21
	s_cbranch_execz .LBB706_61
; %bb.60:                               ;   in Loop: Header=BB706_53 Depth=1
	s_waitcnt lgkmcnt(0)
	v_bcnt_u32_b32 v146, v146, v135
	ds_write_b32 v145, v146
.LBB706_61:                             ;   in Loop: Header=BB706_53 Depth=1
	s_or_b32 exec_lo, exec_lo, s20
	v_lshrrev_b64 v[146:147], v10, v[66:67]
	; wave barrier
	v_and_b32_e32 v146, v146, v192
	v_and_b32_e32 v147, 1, v146
	v_lshlrev_b32_e32 v148, 30, v146
	v_lshlrev_b32_e32 v149, 29, v146
	;; [unrolled: 1-line block ×4, first 2 shown]
	v_add_co_u32 v147, s20, v147, -1
	v_cndmask_b32_e64 v151, 0, 1, s20
	v_not_b32_e32 v163, v148
	v_cmp_gt_i32_e64 s21, 0, v148
	v_not_b32_e32 v148, v149
	v_lshlrev_b32_e32 v161, 26, v146
	v_cmp_ne_u32_e64 s20, 0, v151
	v_ashrrev_i32_e32 v163, 31, v163
	v_lshlrev_b32_e32 v162, 25, v146
	v_ashrrev_i32_e32 v148, 31, v148
	v_lshlrev_b32_e32 v151, 24, v146
	v_xor_b32_e32 v147, s20, v147
	v_cmp_gt_i32_e64 s20, 0, v149
	v_not_b32_e32 v149, v150
	v_xor_b32_e32 v163, s21, v163
	v_cmp_gt_i32_e64 s21, 0, v150
	v_and_b32_e32 v147, exec_lo, v147
	v_not_b32_e32 v150, v160
	v_ashrrev_i32_e32 v149, 31, v149
	v_xor_b32_e32 v148, s20, v148
	v_cmp_gt_i32_e64 s20, 0, v160
	v_and_b32_e32 v147, v147, v163
	v_not_b32_e32 v160, v161
	v_ashrrev_i32_e32 v150, 31, v150
	v_xor_b32_e32 v149, s21, v149
	v_cmp_gt_i32_e64 s21, 0, v161
	v_and_b32_e32 v147, v147, v148
	;; [unrolled: 5-line block ×3, first 2 shown]
	v_not_b32_e32 v149, v151
	v_ashrrev_i32_e32 v148, 31, v148
	v_xor_b32_e32 v160, s21, v160
	v_lshl_add_u32 v146, v146, 3, v46
	v_and_b32_e32 v147, v147, v150
	v_cmp_gt_i32_e64 s21, 0, v151
	v_ashrrev_i32_e32 v149, 31, v149
	v_xor_b32_e32 v148, s20, v148
	v_lshl_add_u32 v150, v146, 2, v12
	v_and_b32_e32 v147, v147, v160
	v_xor_b32_e32 v149, s21, v149
	ds_read_b32 v146, v150 offset:32
	v_and_b32_e32 v147, v147, v148
	v_add_nc_u32_e32 v148, 32, v150
	; wave barrier
	v_and_b32_e32 v149, v147, v149
	v_mbcnt_lo_u32_b32 v147, v149, 0
	v_cmp_ne_u32_e64 s21, 0, v149
	v_cmp_eq_u32_e64 s20, 0, v147
	s_and_b32 s21, s21, s20
	s_and_saveexec_b32 s20, s21
	s_cbranch_execz .LBB706_63
; %bb.62:                               ;   in Loop: Header=BB706_53 Depth=1
	s_waitcnt lgkmcnt(0)
	v_bcnt_u32_b32 v149, v149, v146
	ds_write_b32 v148, v149
.LBB706_63:                             ;   in Loop: Header=BB706_53 Depth=1
	s_or_b32 exec_lo, exec_lo, s20
	v_lshrrev_b64 v[149:150], v10, v[64:65]
	; wave barrier
	v_and_b32_e32 v149, v149, v192
	v_and_b32_e32 v150, 1, v149
	v_lshlrev_b32_e32 v151, 30, v149
	v_lshlrev_b32_e32 v160, 29, v149
	v_lshlrev_b32_e32 v161, 28, v149
	v_lshlrev_b32_e32 v163, 27, v149
	v_add_co_u32 v150, s20, v150, -1
	v_cndmask_b32_e64 v162, 0, 1, s20
	v_not_b32_e32 v166, v151
	v_cmp_gt_i32_e64 s21, 0, v151
	v_not_b32_e32 v151, v160
	v_lshlrev_b32_e32 v164, 26, v149
	v_cmp_ne_u32_e64 s20, 0, v162
	v_ashrrev_i32_e32 v166, 31, v166
	v_lshlrev_b32_e32 v165, 25, v149
	v_ashrrev_i32_e32 v151, 31, v151
	v_lshlrev_b32_e32 v162, 24, v149
	v_xor_b32_e32 v150, s20, v150
	v_cmp_gt_i32_e64 s20, 0, v160
	v_not_b32_e32 v160, v161
	v_xor_b32_e32 v166, s21, v166
	v_cmp_gt_i32_e64 s21, 0, v161
	v_and_b32_e32 v150, exec_lo, v150
	v_not_b32_e32 v161, v163
	v_ashrrev_i32_e32 v160, 31, v160
	v_xor_b32_e32 v151, s20, v151
	v_cmp_gt_i32_e64 s20, 0, v163
	v_and_b32_e32 v150, v150, v166
	v_not_b32_e32 v163, v164
	v_ashrrev_i32_e32 v161, 31, v161
	v_xor_b32_e32 v160, s21, v160
	v_cmp_gt_i32_e64 s21, 0, v164
	v_and_b32_e32 v150, v150, v151
	;; [unrolled: 5-line block ×3, first 2 shown]
	v_not_b32_e32 v160, v162
	v_ashrrev_i32_e32 v151, 31, v151
	v_xor_b32_e32 v163, s21, v163
	v_lshl_add_u32 v149, v149, 3, v46
	v_and_b32_e32 v150, v150, v161
	v_cmp_gt_i32_e64 s21, 0, v162
	v_ashrrev_i32_e32 v160, 31, v160
	v_xor_b32_e32 v151, s20, v151
	v_lshl_add_u32 v161, v149, 2, v12
	v_and_b32_e32 v150, v150, v163
	v_xor_b32_e32 v160, s21, v160
	ds_read_b32 v149, v161 offset:32
	v_and_b32_e32 v150, v150, v151
	v_add_nc_u32_e32 v151, 32, v161
	; wave barrier
	v_and_b32_e32 v160, v150, v160
	v_mbcnt_lo_u32_b32 v150, v160, 0
	v_cmp_ne_u32_e64 s21, 0, v160
	v_cmp_eq_u32_e64 s20, 0, v150
	s_and_b32 s21, s21, s20
	s_and_saveexec_b32 s20, s21
	s_cbranch_execz .LBB706_65
; %bb.64:                               ;   in Loop: Header=BB706_53 Depth=1
	s_waitcnt lgkmcnt(0)
	v_bcnt_u32_b32 v160, v160, v149
	ds_write_b32 v151, v160
.LBB706_65:                             ;   in Loop: Header=BB706_53 Depth=1
	s_or_b32 exec_lo, exec_lo, s20
	v_lshrrev_b64 v[160:161], v10, v[68:69]
	; wave barrier
	v_and_b32_e32 v160, v160, v192
	v_and_b32_e32 v161, 1, v160
	v_lshlrev_b32_e32 v162, 30, v160
	v_lshlrev_b32_e32 v163, 29, v160
	;; [unrolled: 1-line block ×4, first 2 shown]
	v_add_co_u32 v161, s20, v161, -1
	v_cndmask_b32_e64 v165, 0, 1, s20
	v_not_b32_e32 v177, v162
	v_cmp_gt_i32_e64 s21, 0, v162
	v_not_b32_e32 v162, v163
	v_lshlrev_b32_e32 v167, 26, v160
	v_cmp_ne_u32_e64 s20, 0, v165
	v_ashrrev_i32_e32 v177, 31, v177
	v_lshlrev_b32_e32 v176, 25, v160
	v_ashrrev_i32_e32 v162, 31, v162
	v_lshlrev_b32_e32 v165, 24, v160
	v_xor_b32_e32 v161, s20, v161
	v_cmp_gt_i32_e64 s20, 0, v163
	v_not_b32_e32 v163, v164
	v_xor_b32_e32 v177, s21, v177
	v_cmp_gt_i32_e64 s21, 0, v164
	v_and_b32_e32 v161, exec_lo, v161
	v_not_b32_e32 v164, v166
	v_ashrrev_i32_e32 v163, 31, v163
	v_xor_b32_e32 v162, s20, v162
	v_cmp_gt_i32_e64 s20, 0, v166
	v_and_b32_e32 v161, v161, v177
	v_not_b32_e32 v166, v167
	v_ashrrev_i32_e32 v164, 31, v164
	v_xor_b32_e32 v163, s21, v163
	v_cmp_gt_i32_e64 s21, 0, v167
	v_and_b32_e32 v161, v161, v162
	;; [unrolled: 5-line block ×3, first 2 shown]
	v_not_b32_e32 v163, v165
	v_ashrrev_i32_e32 v162, 31, v162
	v_xor_b32_e32 v166, s21, v166
	v_lshl_add_u32 v160, v160, 3, v46
	v_and_b32_e32 v161, v161, v164
	v_cmp_gt_i32_e64 s21, 0, v165
	v_ashrrev_i32_e32 v163, 31, v163
	v_xor_b32_e32 v162, s20, v162
	v_lshl_add_u32 v164, v160, 2, v12
	v_and_b32_e32 v161, v161, v166
	v_xor_b32_e32 v163, s21, v163
	ds_read_b32 v160, v164 offset:32
	v_and_b32_e32 v161, v161, v162
	v_add_nc_u32_e32 v162, 32, v164
	; wave barrier
	v_and_b32_e32 v163, v161, v163
	v_mbcnt_lo_u32_b32 v161, v163, 0
	v_cmp_ne_u32_e64 s21, 0, v163
	v_cmp_eq_u32_e64 s20, 0, v161
	s_and_b32 s21, s21, s20
	s_and_saveexec_b32 s20, s21
	s_cbranch_execz .LBB706_67
; %bb.66:                               ;   in Loop: Header=BB706_53 Depth=1
	s_waitcnt lgkmcnt(0)
	v_bcnt_u32_b32 v163, v163, v160
	ds_write_b32 v162, v163
.LBB706_67:                             ;   in Loop: Header=BB706_53 Depth=1
	s_or_b32 exec_lo, exec_lo, s20
	v_lshrrev_b64 v[163:164], v10, v[70:71]
	; wave barrier
	v_and_b32_e32 v163, v163, v192
	v_and_b32_e32 v164, 1, v163
	v_lshlrev_b32_e32 v165, 30, v163
	v_lshlrev_b32_e32 v166, 29, v163
	;; [unrolled: 1-line block ×4, first 2 shown]
	v_add_co_u32 v164, s20, v164, -1
	v_cndmask_b32_e64 v176, 0, 1, s20
	v_not_b32_e32 v180, v165
	v_cmp_gt_i32_e64 s21, 0, v165
	v_not_b32_e32 v165, v166
	v_lshlrev_b32_e32 v178, 26, v163
	v_cmp_ne_u32_e64 s20, 0, v176
	v_ashrrev_i32_e32 v180, 31, v180
	v_lshlrev_b32_e32 v179, 25, v163
	v_ashrrev_i32_e32 v165, 31, v165
	v_lshlrev_b32_e32 v176, 24, v163
	v_xor_b32_e32 v164, s20, v164
	v_cmp_gt_i32_e64 s20, 0, v166
	v_not_b32_e32 v166, v167
	v_xor_b32_e32 v180, s21, v180
	v_cmp_gt_i32_e64 s21, 0, v167
	v_and_b32_e32 v164, exec_lo, v164
	v_not_b32_e32 v167, v177
	v_ashrrev_i32_e32 v166, 31, v166
	v_xor_b32_e32 v165, s20, v165
	v_cmp_gt_i32_e64 s20, 0, v177
	v_and_b32_e32 v164, v164, v180
	v_not_b32_e32 v177, v178
	v_ashrrev_i32_e32 v167, 31, v167
	v_xor_b32_e32 v166, s21, v166
	v_cmp_gt_i32_e64 s21, 0, v178
	v_and_b32_e32 v164, v164, v165
	;; [unrolled: 5-line block ×3, first 2 shown]
	v_not_b32_e32 v166, v176
	v_ashrrev_i32_e32 v165, 31, v165
	v_xor_b32_e32 v177, s21, v177
	v_lshl_add_u32 v163, v163, 3, v46
	v_and_b32_e32 v164, v164, v167
	v_cmp_gt_i32_e64 s21, 0, v176
	v_ashrrev_i32_e32 v166, 31, v166
	v_xor_b32_e32 v165, s20, v165
	v_lshl_add_u32 v167, v163, 2, v12
	v_and_b32_e32 v164, v164, v177
	v_xor_b32_e32 v166, s21, v166
	ds_read_b32 v163, v167 offset:32
	v_and_b32_e32 v164, v164, v165
	v_add_nc_u32_e32 v165, 32, v167
	; wave barrier
	v_and_b32_e32 v166, v164, v166
	v_mbcnt_lo_u32_b32 v164, v166, 0
	v_cmp_ne_u32_e64 s21, 0, v166
	v_cmp_eq_u32_e64 s20, 0, v164
	s_and_b32 s21, s21, s20
	s_and_saveexec_b32 s20, s21
	s_cbranch_execz .LBB706_69
; %bb.68:                               ;   in Loop: Header=BB706_53 Depth=1
	s_waitcnt lgkmcnt(0)
	v_bcnt_u32_b32 v166, v166, v163
	ds_write_b32 v165, v166
.LBB706_69:                             ;   in Loop: Header=BB706_53 Depth=1
	s_or_b32 exec_lo, exec_lo, s20
	v_lshrrev_b64 v[166:167], v10, v[80:81]
	; wave barrier
	v_and_b32_e32 v166, v166, v192
	v_and_b32_e32 v167, 1, v166
	v_lshlrev_b32_e32 v176, 30, v166
	v_lshlrev_b32_e32 v177, 29, v166
	;; [unrolled: 1-line block ×4, first 2 shown]
	v_add_co_u32 v167, s20, v167, -1
	v_cndmask_b32_e64 v179, 0, 1, s20
	v_not_b32_e32 v183, v176
	v_cmp_gt_i32_e64 s21, 0, v176
	v_not_b32_e32 v176, v177
	v_lshlrev_b32_e32 v181, 26, v166
	v_cmp_ne_u32_e64 s20, 0, v179
	v_ashrrev_i32_e32 v183, 31, v183
	v_lshlrev_b32_e32 v182, 25, v166
	v_ashrrev_i32_e32 v176, 31, v176
	v_lshlrev_b32_e32 v179, 24, v166
	v_xor_b32_e32 v167, s20, v167
	v_cmp_gt_i32_e64 s20, 0, v177
	v_not_b32_e32 v177, v178
	v_xor_b32_e32 v183, s21, v183
	v_cmp_gt_i32_e64 s21, 0, v178
	v_and_b32_e32 v167, exec_lo, v167
	v_not_b32_e32 v178, v180
	v_ashrrev_i32_e32 v177, 31, v177
	v_xor_b32_e32 v176, s20, v176
	v_cmp_gt_i32_e64 s20, 0, v180
	v_and_b32_e32 v167, v167, v183
	v_not_b32_e32 v180, v181
	v_ashrrev_i32_e32 v178, 31, v178
	v_xor_b32_e32 v177, s21, v177
	v_cmp_gt_i32_e64 s21, 0, v181
	v_and_b32_e32 v167, v167, v176
	;; [unrolled: 5-line block ×3, first 2 shown]
	v_not_b32_e32 v177, v179
	v_ashrrev_i32_e32 v176, 31, v176
	v_xor_b32_e32 v180, s21, v180
	v_lshl_add_u32 v166, v166, 3, v46
	v_and_b32_e32 v167, v167, v178
	v_cmp_gt_i32_e64 s21, 0, v179
	v_ashrrev_i32_e32 v177, 31, v177
	v_xor_b32_e32 v176, s20, v176
	v_lshl_add_u32 v178, v166, 2, v12
	v_and_b32_e32 v167, v167, v180
	v_xor_b32_e32 v177, s21, v177
	ds_read_b32 v166, v178 offset:32
	v_and_b32_e32 v167, v167, v176
	v_add_nc_u32_e32 v176, 32, v178
	; wave barrier
	v_and_b32_e32 v177, v167, v177
	v_mbcnt_lo_u32_b32 v167, v177, 0
	v_cmp_ne_u32_e64 s21, 0, v177
	v_cmp_eq_u32_e64 s20, 0, v167
	s_and_b32 s21, s21, s20
	s_and_saveexec_b32 s20, s21
	s_cbranch_execz .LBB706_71
; %bb.70:                               ;   in Loop: Header=BB706_53 Depth=1
	s_waitcnt lgkmcnt(0)
	v_bcnt_u32_b32 v177, v177, v166
	ds_write_b32 v176, v177
.LBB706_71:                             ;   in Loop: Header=BB706_53 Depth=1
	s_or_b32 exec_lo, exec_lo, s20
	v_lshrrev_b64 v[177:178], v10, v[82:83]
	; wave barrier
	v_and_b32_e32 v177, v177, v192
	v_and_b32_e32 v178, 1, v177
	v_lshlrev_b32_e32 v179, 30, v177
	v_lshlrev_b32_e32 v180, 29, v177
	;; [unrolled: 1-line block ×4, first 2 shown]
	v_add_co_u32 v178, s20, v178, -1
	v_cndmask_b32_e64 v182, 0, 1, s20
	v_not_b32_e32 v195, v179
	v_cmp_gt_i32_e64 s21, 0, v179
	v_not_b32_e32 v179, v180
	v_lshlrev_b32_e32 v193, 26, v177
	v_cmp_ne_u32_e64 s20, 0, v182
	v_ashrrev_i32_e32 v195, 31, v195
	v_lshlrev_b32_e32 v194, 25, v177
	v_ashrrev_i32_e32 v179, 31, v179
	v_lshlrev_b32_e32 v182, 24, v177
	v_xor_b32_e32 v178, s20, v178
	v_cmp_gt_i32_e64 s20, 0, v180
	v_not_b32_e32 v180, v181
	v_xor_b32_e32 v195, s21, v195
	v_cmp_gt_i32_e64 s21, 0, v181
	v_and_b32_e32 v178, exec_lo, v178
	v_not_b32_e32 v181, v183
	v_ashrrev_i32_e32 v180, 31, v180
	v_xor_b32_e32 v179, s20, v179
	v_cmp_gt_i32_e64 s20, 0, v183
	v_and_b32_e32 v178, v178, v195
	v_not_b32_e32 v183, v193
	v_ashrrev_i32_e32 v181, 31, v181
	v_xor_b32_e32 v180, s21, v180
	v_cmp_gt_i32_e64 s21, 0, v193
	v_and_b32_e32 v178, v178, v179
	;; [unrolled: 5-line block ×3, first 2 shown]
	v_not_b32_e32 v180, v182
	v_ashrrev_i32_e32 v179, 31, v179
	v_xor_b32_e32 v183, s21, v183
	v_lshl_add_u32 v177, v177, 3, v46
	v_and_b32_e32 v178, v178, v181
	v_cmp_gt_i32_e64 s21, 0, v182
	v_ashrrev_i32_e32 v180, 31, v180
	v_xor_b32_e32 v179, s20, v179
	v_lshl_add_u32 v181, v177, 2, v12
	v_and_b32_e32 v178, v178, v183
	v_xor_b32_e32 v180, s21, v180
	ds_read_b32 v177, v181 offset:32
	v_and_b32_e32 v178, v178, v179
	v_add_nc_u32_e32 v179, 32, v181
	; wave barrier
	v_and_b32_e32 v180, v178, v180
	v_mbcnt_lo_u32_b32 v178, v180, 0
	v_cmp_ne_u32_e64 s21, 0, v180
	v_cmp_eq_u32_e64 s20, 0, v178
	s_and_b32 s21, s21, s20
	s_and_saveexec_b32 s20, s21
	s_cbranch_execz .LBB706_73
; %bb.72:                               ;   in Loop: Header=BB706_53 Depth=1
	s_waitcnt lgkmcnt(0)
	v_bcnt_u32_b32 v180, v180, v177
	ds_write_b32 v179, v180
.LBB706_73:                             ;   in Loop: Header=BB706_53 Depth=1
	s_or_b32 exec_lo, exec_lo, s20
	v_lshrrev_b64 v[180:181], v10, v[84:85]
	; wave barrier
	v_and_b32_e32 v180, v180, v192
	v_and_b32_e32 v181, 1, v180
	v_lshlrev_b32_e32 v182, 30, v180
	v_lshlrev_b32_e32 v183, 29, v180
	v_lshlrev_b32_e32 v193, 28, v180
	v_lshlrev_b32_e32 v195, 27, v180
	v_add_co_u32 v181, s20, v181, -1
	v_cndmask_b32_e64 v194, 0, 1, s20
	v_not_b32_e32 v198, v182
	v_cmp_gt_i32_e64 s21, 0, v182
	v_not_b32_e32 v182, v183
	v_lshlrev_b32_e32 v196, 26, v180
	v_cmp_ne_u32_e64 s20, 0, v194
	v_ashrrev_i32_e32 v198, 31, v198
	v_lshlrev_b32_e32 v197, 25, v180
	v_ashrrev_i32_e32 v182, 31, v182
	v_lshlrev_b32_e32 v194, 24, v180
	v_xor_b32_e32 v181, s20, v181
	v_cmp_gt_i32_e64 s20, 0, v183
	v_not_b32_e32 v183, v193
	v_xor_b32_e32 v198, s21, v198
	v_cmp_gt_i32_e64 s21, 0, v193
	v_and_b32_e32 v181, exec_lo, v181
	v_not_b32_e32 v193, v195
	v_ashrrev_i32_e32 v183, 31, v183
	v_xor_b32_e32 v182, s20, v182
	v_cmp_gt_i32_e64 s20, 0, v195
	v_and_b32_e32 v181, v181, v198
	v_not_b32_e32 v195, v196
	v_ashrrev_i32_e32 v193, 31, v193
	v_xor_b32_e32 v183, s21, v183
	v_cmp_gt_i32_e64 s21, 0, v196
	v_and_b32_e32 v181, v181, v182
	;; [unrolled: 5-line block ×3, first 2 shown]
	v_not_b32_e32 v183, v194
	v_ashrrev_i32_e32 v182, 31, v182
	v_xor_b32_e32 v195, s21, v195
	v_lshl_add_u32 v180, v180, 3, v46
	v_and_b32_e32 v181, v181, v193
	v_cmp_gt_i32_e64 s21, 0, v194
	v_ashrrev_i32_e32 v183, 31, v183
	v_xor_b32_e32 v182, s20, v182
	v_lshl_add_u32 v193, v180, 2, v12
	v_and_b32_e32 v181, v181, v195
	v_xor_b32_e32 v183, s21, v183
	ds_read_b32 v180, v193 offset:32
	v_and_b32_e32 v181, v181, v182
	v_add_nc_u32_e32 v182, 32, v193
	; wave barrier
	v_and_b32_e32 v183, v181, v183
	v_mbcnt_lo_u32_b32 v181, v183, 0
	v_cmp_ne_u32_e64 s21, 0, v183
	v_cmp_eq_u32_e64 s20, 0, v181
	s_and_b32 s21, s21, s20
	s_and_saveexec_b32 s20, s21
	s_cbranch_execz .LBB706_75
; %bb.74:                               ;   in Loop: Header=BB706_53 Depth=1
	s_waitcnt lgkmcnt(0)
	v_bcnt_u32_b32 v183, v183, v180
	ds_write_b32 v182, v183
.LBB706_75:                             ;   in Loop: Header=BB706_53 Depth=1
	s_or_b32 exec_lo, exec_lo, s20
	v_lshrrev_b64 v[193:194], v10, v[86:87]
	; wave barrier
	v_and_b32_e32 v183, v193, v192
	v_and_b32_e32 v193, 1, v183
	v_lshlrev_b32_e32 v194, 30, v183
	v_lshlrev_b32_e32 v195, 29, v183
	;; [unrolled: 1-line block ×4, first 2 shown]
	v_add_co_u32 v193, s20, v193, -1
	v_cndmask_b32_e64 v197, 0, 1, s20
	v_not_b32_e32 v209, v194
	v_cmp_gt_i32_e64 s21, 0, v194
	v_not_b32_e32 v194, v195
	v_lshlrev_b32_e32 v199, 26, v183
	v_cmp_ne_u32_e64 s20, 0, v197
	v_ashrrev_i32_e32 v209, 31, v209
	v_lshlrev_b32_e32 v208, 25, v183
	v_ashrrev_i32_e32 v194, 31, v194
	v_lshlrev_b32_e32 v197, 24, v183
	v_xor_b32_e32 v193, s20, v193
	v_cmp_gt_i32_e64 s20, 0, v195
	v_not_b32_e32 v195, v196
	v_xor_b32_e32 v209, s21, v209
	v_cmp_gt_i32_e64 s21, 0, v196
	v_and_b32_e32 v193, exec_lo, v193
	v_not_b32_e32 v196, v198
	v_ashrrev_i32_e32 v195, 31, v195
	v_xor_b32_e32 v194, s20, v194
	v_cmp_gt_i32_e64 s20, 0, v198
	v_and_b32_e32 v193, v193, v209
	v_not_b32_e32 v198, v199
	v_ashrrev_i32_e32 v196, 31, v196
	v_xor_b32_e32 v195, s21, v195
	v_cmp_gt_i32_e64 s21, 0, v199
	v_and_b32_e32 v193, v193, v194
	v_not_b32_e32 v194, v208
	v_ashrrev_i32_e32 v198, 31, v198
	v_xor_b32_e32 v196, s20, v196
	v_cmp_gt_i32_e64 s20, 0, v208
	v_and_b32_e32 v193, v193, v195
	v_not_b32_e32 v195, v197
	v_ashrrev_i32_e32 v194, 31, v194
	v_xor_b32_e32 v198, s21, v198
	v_lshl_add_u32 v183, v183, 3, v46
	v_and_b32_e32 v193, v193, v196
	v_cmp_gt_i32_e64 s21, 0, v197
	v_ashrrev_i32_e32 v195, 31, v195
	v_xor_b32_e32 v194, s20, v194
	v_lshl_add_u32 v196, v183, 2, v12
	v_and_b32_e32 v193, v193, v198
	v_xor_b32_e32 v195, s21, v195
	ds_read_b32 v183, v196 offset:32
	v_and_b32_e32 v193, v193, v194
	v_add_nc_u32_e32 v194, 32, v196
	; wave barrier
	v_and_b32_e32 v195, v193, v195
	v_mbcnt_lo_u32_b32 v193, v195, 0
	v_cmp_ne_u32_e64 s21, 0, v195
	v_cmp_eq_u32_e64 s20, 0, v193
	s_and_b32 s21, s21, s20
	s_and_saveexec_b32 s20, s21
	s_cbranch_execz .LBB706_77
; %bb.76:                               ;   in Loop: Header=BB706_53 Depth=1
	s_waitcnt lgkmcnt(0)
	v_bcnt_u32_b32 v195, v195, v183
	ds_write_b32 v194, v195
.LBB706_77:                             ;   in Loop: Header=BB706_53 Depth=1
	s_or_b32 exec_lo, exec_lo, s20
	v_lshrrev_b64 v[195:196], v10, v[96:97]
	; wave barrier
	v_and_b32_e32 v195, v195, v192
	v_and_b32_e32 v196, 1, v195
	v_lshlrev_b32_e32 v197, 30, v195
	v_lshlrev_b32_e32 v198, 29, v195
	;; [unrolled: 1-line block ×4, first 2 shown]
	v_add_co_u32 v196, s20, v196, -1
	v_cndmask_b32_e64 v208, 0, 1, s20
	v_not_b32_e32 v212, v197
	v_cmp_gt_i32_e64 s21, 0, v197
	v_not_b32_e32 v197, v198
	v_lshlrev_b32_e32 v210, 26, v195
	v_cmp_ne_u32_e64 s20, 0, v208
	v_ashrrev_i32_e32 v212, 31, v212
	v_lshlrev_b32_e32 v211, 25, v195
	v_ashrrev_i32_e32 v197, 31, v197
	v_lshlrev_b32_e32 v208, 24, v195
	v_xor_b32_e32 v196, s20, v196
	v_cmp_gt_i32_e64 s20, 0, v198
	v_not_b32_e32 v198, v199
	v_xor_b32_e32 v212, s21, v212
	v_cmp_gt_i32_e64 s21, 0, v199
	v_and_b32_e32 v196, exec_lo, v196
	v_not_b32_e32 v199, v209
	v_ashrrev_i32_e32 v198, 31, v198
	v_xor_b32_e32 v197, s20, v197
	v_cmp_gt_i32_e64 s20, 0, v209
	v_and_b32_e32 v196, v196, v212
	v_not_b32_e32 v209, v210
	v_ashrrev_i32_e32 v199, 31, v199
	v_xor_b32_e32 v198, s21, v198
	v_cmp_gt_i32_e64 s21, 0, v210
	v_and_b32_e32 v196, v196, v197
	v_not_b32_e32 v197, v211
	v_ashrrev_i32_e32 v209, 31, v209
	v_xor_b32_e32 v199, s20, v199
	v_cmp_gt_i32_e64 s20, 0, v211
	v_and_b32_e32 v196, v196, v198
	v_not_b32_e32 v198, v208
	v_ashrrev_i32_e32 v197, 31, v197
	v_xor_b32_e32 v209, s21, v209
	v_lshl_add_u32 v195, v195, 3, v46
	v_and_b32_e32 v196, v196, v199
	v_cmp_gt_i32_e64 s21, 0, v208
	v_ashrrev_i32_e32 v198, 31, v198
	v_xor_b32_e32 v197, s20, v197
	v_lshl_add_u32 v199, v195, 2, v12
	v_and_b32_e32 v196, v196, v209
	v_xor_b32_e32 v198, s21, v198
	ds_read_b32 v195, v199 offset:32
	v_and_b32_e32 v196, v196, v197
	v_add_nc_u32_e32 v197, 32, v199
	; wave barrier
	v_and_b32_e32 v198, v196, v198
	v_mbcnt_lo_u32_b32 v196, v198, 0
	v_cmp_ne_u32_e64 s21, 0, v198
	v_cmp_eq_u32_e64 s20, 0, v196
	s_and_b32 s21, s21, s20
	s_and_saveexec_b32 s20, s21
	s_cbranch_execz .LBB706_79
; %bb.78:                               ;   in Loop: Header=BB706_53 Depth=1
	s_waitcnt lgkmcnt(0)
	v_bcnt_u32_b32 v198, v198, v195
	ds_write_b32 v197, v198
.LBB706_79:                             ;   in Loop: Header=BB706_53 Depth=1
	s_or_b32 exec_lo, exec_lo, s20
	v_lshrrev_b64 v[198:199], v10, v[98:99]
	; wave barrier
	v_and_b32_e32 v198, v198, v192
	v_and_b32_e32 v199, 1, v198
	v_lshlrev_b32_e32 v208, 30, v198
	v_lshlrev_b32_e32 v209, 29, v198
	;; [unrolled: 1-line block ×4, first 2 shown]
	v_add_co_u32 v199, s20, v199, -1
	v_cndmask_b32_e64 v211, 0, 1, s20
	v_not_b32_e32 v215, v208
	v_cmp_gt_i32_e64 s21, 0, v208
	v_not_b32_e32 v208, v209
	v_lshlrev_b32_e32 v213, 26, v198
	v_cmp_ne_u32_e64 s20, 0, v211
	v_ashrrev_i32_e32 v215, 31, v215
	v_lshlrev_b32_e32 v214, 25, v198
	v_ashrrev_i32_e32 v208, 31, v208
	v_lshlrev_b32_e32 v211, 24, v198
	v_xor_b32_e32 v199, s20, v199
	v_cmp_gt_i32_e64 s20, 0, v209
	v_not_b32_e32 v209, v210
	v_xor_b32_e32 v215, s21, v215
	v_cmp_gt_i32_e64 s21, 0, v210
	v_and_b32_e32 v199, exec_lo, v199
	v_not_b32_e32 v210, v212
	v_ashrrev_i32_e32 v209, 31, v209
	v_xor_b32_e32 v208, s20, v208
	v_cmp_gt_i32_e64 s20, 0, v212
	v_and_b32_e32 v199, v199, v215
	v_not_b32_e32 v212, v213
	v_ashrrev_i32_e32 v210, 31, v210
	v_xor_b32_e32 v209, s21, v209
	v_cmp_gt_i32_e64 s21, 0, v213
	v_and_b32_e32 v199, v199, v208
	v_not_b32_e32 v208, v214
	v_ashrrev_i32_e32 v212, 31, v212
	v_xor_b32_e32 v210, s20, v210
	v_cmp_gt_i32_e64 s20, 0, v214
	v_and_b32_e32 v199, v199, v209
	v_not_b32_e32 v209, v211
	v_ashrrev_i32_e32 v208, 31, v208
	v_xor_b32_e32 v212, s21, v212
	v_lshl_add_u32 v198, v198, 3, v46
	v_and_b32_e32 v199, v199, v210
	v_cmp_gt_i32_e64 s21, 0, v211
	v_ashrrev_i32_e32 v209, 31, v209
	v_xor_b32_e32 v208, s20, v208
	v_lshl_add_u32 v210, v198, 2, v12
	v_and_b32_e32 v199, v199, v212
	v_xor_b32_e32 v209, s21, v209
	ds_read_b32 v198, v210 offset:32
	v_and_b32_e32 v199, v199, v208
	v_add_nc_u32_e32 v208, 32, v210
	; wave barrier
	v_and_b32_e32 v209, v199, v209
	v_mbcnt_lo_u32_b32 v199, v209, 0
	v_cmp_ne_u32_e64 s21, 0, v209
	v_cmp_eq_u32_e64 s20, 0, v199
	s_and_b32 s21, s21, s20
	s_and_saveexec_b32 s20, s21
	s_cbranch_execz .LBB706_81
; %bb.80:                               ;   in Loop: Header=BB706_53 Depth=1
	s_waitcnt lgkmcnt(0)
	v_bcnt_u32_b32 v209, v209, v198
	ds_write_b32 v208, v209
.LBB706_81:                             ;   in Loop: Header=BB706_53 Depth=1
	s_or_b32 exec_lo, exec_lo, s20
	v_lshrrev_b64 v[209:210], v10, v[102:103]
	; wave barrier
	v_and_b32_e32 v209, v209, v192
	v_and_b32_e32 v210, 1, v209
	v_lshlrev_b32_e32 v211, 30, v209
	v_lshlrev_b32_e32 v212, 29, v209
	;; [unrolled: 1-line block ×4, first 2 shown]
	v_add_co_u32 v210, s20, v210, -1
	v_cndmask_b32_e64 v214, 0, 1, s20
	v_not_b32_e32 v226, v211
	v_cmp_gt_i32_e64 s21, 0, v211
	v_not_b32_e32 v211, v212
	v_lshlrev_b32_e32 v224, 26, v209
	v_cmp_ne_u32_e64 s20, 0, v214
	v_ashrrev_i32_e32 v226, 31, v226
	v_lshlrev_b32_e32 v225, 25, v209
	v_ashrrev_i32_e32 v211, 31, v211
	v_lshlrev_b32_e32 v214, 24, v209
	v_xor_b32_e32 v210, s20, v210
	v_cmp_gt_i32_e64 s20, 0, v212
	v_not_b32_e32 v212, v213
	v_xor_b32_e32 v226, s21, v226
	v_cmp_gt_i32_e64 s21, 0, v213
	v_and_b32_e32 v210, exec_lo, v210
	v_not_b32_e32 v213, v215
	v_ashrrev_i32_e32 v212, 31, v212
	v_xor_b32_e32 v211, s20, v211
	v_cmp_gt_i32_e64 s20, 0, v215
	v_and_b32_e32 v210, v210, v226
	v_not_b32_e32 v215, v224
	v_ashrrev_i32_e32 v213, 31, v213
	v_xor_b32_e32 v212, s21, v212
	v_cmp_gt_i32_e64 s21, 0, v224
	v_and_b32_e32 v210, v210, v211
	;; [unrolled: 5-line block ×3, first 2 shown]
	v_not_b32_e32 v212, v214
	v_ashrrev_i32_e32 v211, 31, v211
	v_xor_b32_e32 v215, s21, v215
	v_lshl_add_u32 v209, v209, 3, v46
	v_and_b32_e32 v210, v210, v213
	v_cmp_gt_i32_e64 s21, 0, v214
	v_ashrrev_i32_e32 v212, 31, v212
	v_xor_b32_e32 v211, s20, v211
	v_lshl_add_u32 v213, v209, 2, v12
	v_and_b32_e32 v210, v210, v215
	v_xor_b32_e32 v212, s21, v212
	ds_read_b32 v209, v213 offset:32
	v_and_b32_e32 v210, v210, v211
	v_add_nc_u32_e32 v211, 32, v213
	; wave barrier
	v_and_b32_e32 v212, v210, v212
	v_mbcnt_lo_u32_b32 v210, v212, 0
	v_cmp_ne_u32_e64 s21, 0, v212
	v_cmp_eq_u32_e64 s20, 0, v210
	s_and_b32 s21, s21, s20
	s_and_saveexec_b32 s20, s21
	s_cbranch_execz .LBB706_83
; %bb.82:                               ;   in Loop: Header=BB706_53 Depth=1
	s_waitcnt lgkmcnt(0)
	v_bcnt_u32_b32 v212, v212, v209
	ds_write_b32 v211, v212
.LBB706_83:                             ;   in Loop: Header=BB706_53 Depth=1
	s_or_b32 exec_lo, exec_lo, s20
	v_lshrrev_b64 v[212:213], v10, v[100:101]
	; wave barrier
	v_and_b32_e32 v192, v212, v192
	v_and_b32_e32 v212, 1, v192
	v_lshlrev_b32_e32 v213, 30, v192
	v_lshlrev_b32_e32 v214, 29, v192
	;; [unrolled: 1-line block ×4, first 2 shown]
	v_add_co_u32 v212, s20, v212, -1
	v_cndmask_b32_e64 v224, 0, 1, s20
	v_not_b32_e32 v228, v213
	v_cmp_gt_i32_e64 s21, 0, v213
	v_not_b32_e32 v213, v214
	v_lshlrev_b32_e32 v226, 26, v192
	v_cmp_ne_u32_e64 s20, 0, v224
	v_ashrrev_i32_e32 v228, 31, v228
	v_lshlrev_b32_e32 v227, 25, v192
	v_ashrrev_i32_e32 v213, 31, v213
	v_lshlrev_b32_e32 v224, 24, v192
	v_xor_b32_e32 v212, s20, v212
	v_cmp_gt_i32_e64 s20, 0, v214
	v_not_b32_e32 v214, v215
	v_xor_b32_e32 v228, s21, v228
	v_cmp_gt_i32_e64 s21, 0, v215
	v_and_b32_e32 v212, exec_lo, v212
	v_not_b32_e32 v215, v225
	v_ashrrev_i32_e32 v214, 31, v214
	v_xor_b32_e32 v213, s20, v213
	v_cmp_gt_i32_e64 s20, 0, v225
	v_and_b32_e32 v212, v212, v228
	v_not_b32_e32 v225, v226
	v_ashrrev_i32_e32 v215, 31, v215
	v_xor_b32_e32 v214, s21, v214
	v_cmp_gt_i32_e64 s21, 0, v226
	v_and_b32_e32 v212, v212, v213
	;; [unrolled: 5-line block ×3, first 2 shown]
	v_not_b32_e32 v214, v224
	v_ashrrev_i32_e32 v213, 31, v213
	v_xor_b32_e32 v225, s21, v225
	v_lshl_add_u32 v192, v192, 3, v46
	v_and_b32_e32 v212, v212, v215
	v_cmp_gt_i32_e64 s21, 0, v224
	v_ashrrev_i32_e32 v214, 31, v214
	v_xor_b32_e32 v213, s20, v213
	v_lshl_add_u32 v215, v192, 2, v12
	v_and_b32_e32 v212, v212, v225
	v_xor_b32_e32 v214, s21, v214
	ds_read_b32 v192, v215 offset:32
	v_and_b32_e32 v212, v212, v213
	v_add_nc_u32_e32 v213, 32, v215
	; wave barrier
	v_and_b32_e32 v214, v212, v214
	v_mbcnt_lo_u32_b32 v212, v214, 0
	v_cmp_ne_u32_e64 s21, 0, v214
	v_cmp_eq_u32_e64 s20, 0, v212
	s_and_b32 s21, s21, s20
	s_and_saveexec_b32 s20, s21
	s_cbranch_execz .LBB706_85
; %bb.84:                               ;   in Loop: Header=BB706_53 Depth=1
	s_waitcnt lgkmcnt(0)
	v_bcnt_u32_b32 v214, v214, v192
	ds_write_b32 v213, v214
.LBB706_85:                             ;   in Loop: Header=BB706_53 Depth=1
	s_or_b32 exec_lo, exec_lo, s20
	; wave barrier
	s_waitcnt lgkmcnt(0)
	s_barrier
	buffer_gl0_inv
	ds_read_b32 v226, v9
	ds_read_b32 v227, v39
	;; [unrolled: 1-line block ×8, first 2 shown]
	s_waitcnt lgkmcnt(6)
	v_add_nc_u32_e32 v230, v227, v226
	s_waitcnt lgkmcnt(4)
	v_add3_u32 v230, v230, v228, v225
	s_waitcnt lgkmcnt(2)
	v_add3_u32 v230, v230, v224, v215
	;; [unrolled: 2-line block ×3, first 2 shown]
	v_mov_b32_dpp v230, v229 row_shr:1 row_mask:0xf bank_mask:0xf
	v_cndmask_b32_e64 v230, v230, 0, vcc_lo
	v_add_nc_u32_e32 v229, v230, v229
	v_mov_b32_dpp v230, v229 row_shr:2 row_mask:0xf bank_mask:0xf
	v_cndmask_b32_e64 v230, 0, v230, s4
	v_add_nc_u32_e32 v229, v229, v230
	v_mov_b32_dpp v230, v229 row_shr:4 row_mask:0xf bank_mask:0xf
	v_cndmask_b32_e64 v230, 0, v230, s5
	;; [unrolled: 3-line block ×3, first 2 shown]
	v_add_nc_u32_e32 v229, v229, v230
	ds_swizzle_b32 v230, v229 offset:swizzle(BROADCAST,32,15)
	s_waitcnt lgkmcnt(0)
	v_cndmask_b32_e64 v230, v230, 0, s10
	v_add_nc_u32_e32 v229, v229, v230
	s_and_saveexec_b32 s20, s11
; %bb.86:                               ;   in Loop: Header=BB706_53 Depth=1
	ds_write_b32 v56, v229
; %bb.87:                               ;   in Loop: Header=BB706_53 Depth=1
	s_or_b32 exec_lo, exec_lo, s20
	s_waitcnt lgkmcnt(0)
	s_barrier
	buffer_gl0_inv
	s_and_saveexec_b32 s20, s14
	s_cbranch_execz .LBB706_89
; %bb.88:                               ;   in Loop: Header=BB706_53 Depth=1
	ds_read_b32 v230, v57
	s_waitcnt lgkmcnt(0)
	v_mov_b32_dpp v231, v230 row_shr:1 row_mask:0xf bank_mask:0xf
	v_cndmask_b32_e64 v231, v231, 0, s17
	v_add_nc_u32_e32 v230, v231, v230
	v_mov_b32_dpp v231, v230 row_shr:2 row_mask:0xf bank_mask:0xf
	v_cndmask_b32_e64 v231, 0, v231, s18
	v_add_nc_u32_e32 v230, v230, v231
	;; [unrolled: 3-line block ×3, first 2 shown]
	ds_write_b32 v57, v230
.LBB706_89:                             ;   in Loop: Header=BB706_53 Depth=1
	s_or_b32 exec_lo, exec_lo, s20
	v_mov_b32_e32 v230, 0
	s_waitcnt lgkmcnt(0)
	s_barrier
	buffer_gl0_inv
	s_and_saveexec_b32 s20, s15
; %bb.90:                               ;   in Loop: Header=BB706_53 Depth=1
	ds_read_b32 v230, v59
; %bb.91:                               ;   in Loop: Header=BB706_53 Depth=1
	s_or_b32 exec_lo, exec_lo, s20
	s_waitcnt lgkmcnt(0)
	v_add_nc_u32_e32 v229, v230, v229
	v_mov_b32_e32 v231, v1
	v_mov_b32_e32 v241, v1
	;; [unrolled: 1-line block ×4, first 2 shown]
	ds_bpermute_b32 v229, v47, v229
	v_mov_b32_e32 v247, v1
	v_add_nc_u32_e32 v10, 8, v10
	s_mov_b32 s26, -1
	v_cmp_lt_u32_e64 s20, v10, v11
	s_waitcnt lgkmcnt(0)
	v_cndmask_b32_e64 v229, v229, v230, s6
	v_cndmask_b32_e64 v230, v229, 0, s16
	v_mov_b32_e32 v229, v1
	v_add_nc_u32_e32 v226, v230, v226
	v_add_nc_u32_e32 v240, v226, v227
	v_mov_b32_e32 v227, v1
	ds_write_b32 v9, v230
	ds_write_b32 v39, v226
	;; [unrolled: 1-line block ×3, first 2 shown]
	v_add_nc_u32_e32 v228, v240, v228
	v_add_nc_u32_e32 v242, v228, v225
	v_mov_b32_e32 v225, v1
	v_add_nc_u32_e32 v224, v242, v224
	v_add_nc_u32_e32 v244, v224, v215
	v_mov_b32_e32 v215, v1
	v_add_nc_u32_e32 v214, v244, v214
	ds_write_b32 v41, v228
	ds_write_b32 v42, v242
	ds_write_b32 v43, v224
	ds_write_b32 v44, v244
	ds_write_b32 v45, v214
	s_waitcnt lgkmcnt(0)
	s_barrier
	buffer_gl0_inv
	ds_read_b32 v128, v128
	ds_read_b32 v214, v131
	;; [unrolled: 1-line block ×16, first 2 shown]
	v_mov_b32_e32 v131, v1
	v_mov_b32_e32 v134, v1
	v_mov_b32_e32 v145, v1
	s_waitcnt lgkmcnt(0)
	v_add_nc_u32_e32 v0, v128, v0
	v_add3_u32 v224, v130, v129, v214
	v_add3_u32 v226, v133, v132, v226
	;; [unrolled: 1-line block ×4, first 2 shown]
	v_lshlrev_b64 v[147:148], 3, v[0:1]
	v_add3_u32 v240, v150, v149, v151
	v_add3_u32 v242, v161, v160, v162
	;; [unrolled: 1-line block ×9, first 2 shown]
	v_lshlrev_b64 v[129:130], 3, v[130:131]
	v_lshlrev_b64 v[130:131], 3, v[133:134]
	v_mov_b32_e32 v133, v1
	v_add3_u32 v144, v196, v195, v197
	v_add3_u32 v146, v212, v192, v213
	v_lshlrev_b64 v[160:161], 3, v[230:231]
	v_add_co_u32 v109, null, v12, v129
	v_mov_b32_e32 v129, v1
	v_add_co_u32 v0, null, v12, v147
	v_mov_b32_e32 v147, v1
	v_lshlrev_b64 v[161:162], 3, v[240:241]
	v_lshlrev_b64 v[162:163], 3, v[242:243]
	;; [unrolled: 1-line block ×7, first 2 shown]
	v_add_co_u32 v110, null, v12, v130
	v_lshlrev_b64 v[129:130], 3, v[132:133]
	v_lshlrev_b64 v[150:151], 3, v[228:229]
	v_lshlrev_b64 v[165:166], 3, v[214:215]
	v_lshlrev_b64 v[134:135], 3, v[144:145]
	v_lshlrev_b64 v[130:131], 3, v[146:147]
	v_add_co_u32 v92, null, v12, v148
	v_add_co_u32 v93, null, v12, v149
	;; [unrolled: 1-line block ×13, first 2 shown]
                                        ; implicit-def: $vgpr196_vgpr197
                                        ; implicit-def: $vgpr192_vgpr193
                                        ; implicit-def: $vgpr194_vgpr195
                                        ; implicit-def: $vgpr208_vgpr209
                                        ; implicit-def: $vgpr198_vgpr199
                                        ; implicit-def: $vgpr210_vgpr211
                                        ; implicit-def: $vgpr212_vgpr213
                                        ; implicit-def: $vgpr214_vgpr215
                                        ; implicit-def: $vgpr224_vgpr225
                                        ; implicit-def: $vgpr226_vgpr227
                                        ; implicit-def: $vgpr228_vgpr229
                                        ; implicit-def: $vgpr230_vgpr231
                                        ; implicit-def: $vgpr240_vgpr241
                                        ; implicit-def: $vgpr242_vgpr243
                                        ; implicit-def: $vgpr244_vgpr245
                                        ; implicit-def: $vgpr246_vgpr247
                                        ; implicit-def: $vgpr130_vgpr131
                                        ; implicit-def: $vgpr128_vgpr129
                                        ; implicit-def: $vgpr134_vgpr135
                                        ; implicit-def: $vgpr132_vgpr133
                                        ; implicit-def: $vgpr146_vgpr147
                                        ; implicit-def: $vgpr144_vgpr145
                                        ; implicit-def: $vgpr150_vgpr151
                                        ; implicit-def: $vgpr148_vgpr149
                                        ; implicit-def: $vgpr162_vgpr163
                                        ; implicit-def: $vgpr160_vgpr161
                                        ; implicit-def: $vgpr166_vgpr167
                                        ; implicit-def: $vgpr164_vgpr165
                                        ; implicit-def: $vgpr178_vgpr179
                                        ; implicit-def: $vgpr176_vgpr177
                                        ; implicit-def: $vgpr182_vgpr183
                                        ; implicit-def: $vgpr180_vgpr181
	s_and_saveexec_b32 s21, s20
	s_cbranch_execz .LBB706_52
; %bb.92:                               ;   in Loop: Header=BB706_53 Depth=1
	s_barrier
	buffer_gl0_inv
	ds_write_b64 v0, v[48:49]
	ds_write_b64 v92, v[52:53]
	;; [unrolled: 1-line block ×16, first 2 shown]
	s_waitcnt lgkmcnt(0)
	s_barrier
	buffer_gl0_inv
	ds_read_b64 v[130:131], v58
	ds_read_b64 v[128:129], v60
	;; [unrolled: 1-line block ×16, first 2 shown]
	s_waitcnt lgkmcnt(0)
	s_barrier
	buffer_gl0_inv
	ds_write_b64 v0, v[4:5]
	ds_write_b64 v92, v[17:18]
	;; [unrolled: 1-line block ×16, first 2 shown]
	s_waitcnt lgkmcnt(0)
	s_barrier
	buffer_gl0_inv
	ds_read_b64 v[196:197], v58
	ds_read_b64 v[192:193], v60
	;; [unrolled: 1-line block ×16, first 2 shown]
	v_add_nc_u32_e32 v91, -8, v91
	s_xor_b32 s26, exec_lo, -1
	s_waitcnt lgkmcnt(0)
	s_barrier
	buffer_gl0_inv
	s_branch .LBB706_52
.LBB706_93:
	s_or_b32 exec_lo, exec_lo, s23
	v_lshl_add_u32 v1, v16, 3, v12
	s_barrier
	buffer_gl0_inv
	ds_write_b64 v0, v[48:49]
	ds_write_b64 v92, v[52:53]
	;; [unrolled: 1-line block ×16, first 2 shown]
	s_waitcnt lgkmcnt(0)
	s_barrier
	buffer_gl0_inv
	ds_read2st64_b64 v[100:103], v1 offset1:4
	ds_read2st64_b64 v[96:99], v1 offset0:8 offset1:12
	ds_read2st64_b64 v[84:87], v1 offset0:16 offset1:20
	;; [unrolled: 1-line block ×7, first 2 shown]
	s_waitcnt lgkmcnt(0)
	s_barrier
	buffer_gl0_inv
	ds_write_b64 v0, v[4:5]
	ds_write_b64 v92, v[17:18]
	;; [unrolled: 1-line block ×16, first 2 shown]
	s_waitcnt lgkmcnt(0)
	s_barrier
	buffer_gl0_inv
	ds_read2st64_b64 v[36:39], v1 offset1:4
	ds_read2st64_b64 v[32:35], v1 offset0:8 offset1:12
	ds_read2st64_b64 v[28:31], v1 offset0:16 offset1:20
	ds_read2st64_b64 v[24:27], v1 offset0:24 offset1:28
	ds_read2st64_b64 v[20:23], v1 offset0:32 offset1:36
	ds_read2st64_b64 v[16:19], v1 offset0:40 offset1:44
	ds_read2st64_b64 v[11:14], v1 offset0:48 offset1:52
	ds_read2st64_b64 v[7:10], v1 offset0:56 offset1:60
	v_mov_b32_e32 v115, 0
	v_add_co_u32 v2, vcc_lo, v2, v112
	v_add_co_ci_u32_e64 v3, null, v3, v113, vcc_lo
	v_lshlrev_b64 v[0:1], 3, v[114:115]
	s_waitcnt lgkmcnt(0)
	s_barrier
	buffer_gl0_inv
	v_add_co_u32 v2, vcc_lo, v2, v0
	v_add_co_ci_u32_e64 v3, null, v3, v1, vcc_lo
	v_cmp_lt_u32_e32 vcc_lo, v114, v40
	s_and_saveexec_b32 s4, vcc_lo
	s_cbranch_execz .LBB706_95
; %bb.94:
	v_xor_b32_e32 v5, 0x7fffffff, v101
	v_not_b32_e32 v4, v100
	flat_store_dwordx2 v[2:3], v[4:5]
.LBB706_95:
	s_or_b32 exec_lo, exec_lo, s4
	v_add_nc_u32_e32 v4, 0x100, v114
	v_cmp_lt_u32_e64 s4, v4, v40
	s_and_saveexec_b32 s6, s4
	s_cbranch_execz .LBB706_97
; %bb.96:
	v_add_co_u32 v100, s5, 0x800, v2
	v_xor_b32_e32 v5, 0x7fffffff, v103
	v_not_b32_e32 v4, v102
	v_add_co_ci_u32_e64 v101, null, 0, v3, s5
	flat_store_dwordx2 v[100:101], v[4:5]
.LBB706_97:
	s_or_b32 exec_lo, exec_lo, s6
	v_add_nc_u32_e32 v4, 0x200, v114
	v_cmp_lt_u32_e64 s5, v4, v40
	s_and_saveexec_b32 s7, s5
	s_cbranch_execz .LBB706_99
; %bb.98:
	v_not_b32_e32 v4, v96
	v_add_co_u32 v96, s6, 0x1000, v2
	v_xor_b32_e32 v5, 0x7fffffff, v97
	v_add_co_ci_u32_e64 v97, null, 0, v3, s6
	flat_store_dwordx2 v[96:97], v[4:5]
.LBB706_99:
	s_or_b32 exec_lo, exec_lo, s7
	v_add_nc_u32_e32 v4, 0x300, v114
	v_cmp_lt_u32_e64 s6, v4, v40
	s_and_saveexec_b32 s10, s6
	s_cbranch_execz .LBB706_101
; %bb.100:
	v_add_co_u32 v96, s7, 0x1800, v2
	v_xor_b32_e32 v5, 0x7fffffff, v99
	v_not_b32_e32 v4, v98
	v_add_co_ci_u32_e64 v97, null, 0, v3, s7
	flat_store_dwordx2 v[96:97], v[4:5]
.LBB706_101:
	s_or_b32 exec_lo, exec_lo, s10
	v_add_nc_u32_e32 v4, 0x400, v114
	v_cmp_lt_u32_e64 s7, v4, v40
	s_and_saveexec_b32 s11, s7
	s_cbranch_execz .LBB706_103
; %bb.102:
	v_not_b32_e32 v4, v84
	v_add_co_u32 v84, s10, 0x2000, v2
	v_xor_b32_e32 v5, 0x7fffffff, v85
	v_add_co_ci_u32_e64 v85, null, 0, v3, s10
	flat_store_dwordx2 v[84:85], v[4:5]
.LBB706_103:
	;; [unrolled: 24-line block ×7, first 2 shown]
	s_or_b32 exec_lo, exec_lo, s23
	v_add_nc_u32_e32 v4, 0xf00, v114
	v_cmp_lt_u32_e64 s22, v4, v40
	s_and_saveexec_b32 s26, s22
	s_cbranch_execz .LBB706_125
; %bb.124:
	v_add_co_u32 v2, s23, 0x7800, v2
	v_xor_b32_e32 v5, 0x7fffffff, v51
	v_not_b32_e32 v4, v50
	v_add_co_ci_u32_e64 v3, null, 0, v3, s23
	flat_store_dwordx2 v[2:3], v[4:5]
.LBB706_125:
	s_or_b32 exec_lo, exec_lo, s26
	v_add_co_u32 v2, s23, v6, v112
	v_add_co_ci_u32_e64 v3, null, v15, v113, s23
	v_add_co_u32 v0, s23, v2, v0
	v_add_co_ci_u32_e64 v1, null, v3, v1, s23
	s_and_saveexec_b32 s23, vcc_lo
	s_cbranch_execnz .LBB706_211
; %bb.126:
	s_or_b32 exec_lo, exec_lo, s23
	s_and_saveexec_b32 s23, s4
	s_cbranch_execnz .LBB706_212
.LBB706_127:
	s_or_b32 exec_lo, exec_lo, s23
	s_and_saveexec_b32 s4, s5
	s_cbranch_execnz .LBB706_213
.LBB706_128:
	s_or_b32 exec_lo, exec_lo, s4
	s_and_saveexec_b32 s4, s6
	s_cbranch_execnz .LBB706_214
.LBB706_129:
	s_or_b32 exec_lo, exec_lo, s4
	s_and_saveexec_b32 s4, s7
	s_cbranch_execnz .LBB706_215
.LBB706_130:
	s_or_b32 exec_lo, exec_lo, s4
	s_and_saveexec_b32 s4, s10
	s_cbranch_execnz .LBB706_216
.LBB706_131:
	s_or_b32 exec_lo, exec_lo, s4
	s_and_saveexec_b32 s4, s11
	s_cbranch_execnz .LBB706_217
.LBB706_132:
	s_or_b32 exec_lo, exec_lo, s4
	s_and_saveexec_b32 s4, s14
	s_cbranch_execnz .LBB706_218
.LBB706_133:
	s_or_b32 exec_lo, exec_lo, s4
	s_and_saveexec_b32 s4, s15
	s_cbranch_execnz .LBB706_219
.LBB706_134:
	s_or_b32 exec_lo, exec_lo, s4
	s_and_saveexec_b32 s4, s16
	s_cbranch_execnz .LBB706_220
.LBB706_135:
	s_or_b32 exec_lo, exec_lo, s4
	s_and_saveexec_b32 s4, s17
	s_cbranch_execnz .LBB706_221
.LBB706_136:
	s_or_b32 exec_lo, exec_lo, s4
	s_and_saveexec_b32 s4, s18
	s_cbranch_execnz .LBB706_222
.LBB706_137:
	s_or_b32 exec_lo, exec_lo, s4
	s_and_saveexec_b32 s4, s19
	s_cbranch_execnz .LBB706_223
.LBB706_138:
	s_or_b32 exec_lo, exec_lo, s4
	s_and_saveexec_b32 s4, s20
	s_cbranch_execnz .LBB706_224
.LBB706_139:
	s_or_b32 exec_lo, exec_lo, s4
	s_and_saveexec_b32 s4, s21
	s_cbranch_execnz .LBB706_225
.LBB706_140:
	s_or_b32 exec_lo, exec_lo, s4
	s_and_saveexec_b32 s4, s22
	s_cbranch_execz .LBB706_142
.LBB706_141:
	v_add_co_u32 v0, vcc_lo, 0x7800, v0
	v_add_co_ci_u32_e64 v1, null, 0, v1, vcc_lo
	flat_store_dwordx2 v[0:1], v[9:10]
.LBB706_142:
	s_or_b32 exec_lo, exec_lo, s4
                                        ; implicit-def: $vgpr40
                                        ; implicit-def: $vgpr0
                                        ; implicit-def: $vgpr1
                                        ; implicit-def: $vgpr2
                                        ; implicit-def: $vgpr3
                                        ; implicit-def: $vgpr4
                                        ; implicit-def: $vgpr5
                                        ; implicit-def: $vgpr6
                                        ; implicit-def: $vgpr15
                                        ; implicit-def: $vgpr8
                                        ; implicit-def: $vgpr10
                                        ; implicit-def: $vgpr11
                                        ; implicit-def: $vgpr12
                                        ; implicit-def: $vgpr7
                                        ; implicit-def: $vgpr13
                                        ; implicit-def: $vgpr16
                                        ; implicit-def: $vgpr28
.LBB706_143:
	s_andn2_saveexec_b32 s4, s25
	s_cbranch_execz .LBB706_372
; %bb.144:
	s_mov_b32 s4, exec_lo
	v_cmpx_lt_u32_e32 0x400, v40
	s_xor_b32 s22, exec_lo, s4
	s_cbranch_execz .LBB706_252
; %bb.145:
	s_load_dwordx2 s[4:5], s[8:9], 0x0
	v_mov_b32_e32 v9, 0
	v_mov_b32_e32 v64, -1
	v_mov_b32_e32 v66, -1
	;; [unrolled: 1-line block ×4, first 2 shown]
	v_lshlrev_b64 v[48:49], 3, v[8:9]
	s_waitcnt lgkmcnt(0)
	s_cmp_lt_u32 s13, s5
	s_cselect_b32 s5, 14, 20
	s_add_u32 s6, s8, s5
	s_addc_u32 s7, s9, 0
	s_cmp_lt_u32 s12, s4
	global_load_ushort v14, v9, s[6:7]
	s_cselect_b32 s4, 12, 18
	s_add_u32 s4, s8, s4
	s_addc_u32 s5, s9, 0
	global_load_ushort v17, v9, s[4:5]
	s_waitcnt vmcnt(1)
	v_mad_u32_u24 v7, v13, v14, v7
	v_lshlrev_b32_e32 v13, 3, v28
	s_waitcnt vmcnt(0)
	v_mad_u64_u32 v[50:51], null, v7, v17, v[16:17]
	v_lshlrev_b32_e32 v7, 3, v50
	v_and_b32_e32 v8, 0xffffff00, v7
	v_add_co_u32 v7, vcc_lo, v0, v48
	v_add_co_ci_u32_e64 v14, null, v1, v49, vcc_lo
	v_lshlrev_b64 v[0:1], 3, v[8:9]
	v_add_co_u32 v7, vcc_lo, v7, v13
	v_add_co_ci_u32_e64 v14, null, 0, v14, vcc_lo
	v_or_b32_e32 v9, v8, v28
	v_add_co_u32 v7, vcc_lo, v7, v0
	v_add_co_ci_u32_e64 v8, null, v14, v1, vcc_lo
	v_cmp_lt_u32_e32 vcc_lo, v9, v40
	s_and_saveexec_b32 s4, vcc_lo
	s_cbranch_execz .LBB706_147
; %bb.146:
	flat_load_dwordx2 v[17:18], v[7:8]
	s_waitcnt vmcnt(0) lgkmcnt(0)
	v_xor_b32_e32 v67, 0x7fffffff, v18
	v_not_b32_e32 v66, v17
.LBB706_147:
	s_or_b32 exec_lo, exec_lo, s4
	v_or_b32_e32 v14, 32, v9
	v_cmp_lt_u32_e64 s4, v14, v40
	s_and_saveexec_b32 s5, s4
	s_cbranch_execz .LBB706_149
; %bb.148:
	flat_load_dwordx2 v[17:18], v[7:8] offset:256
	s_waitcnt vmcnt(0) lgkmcnt(0)
	v_xor_b32_e32 v65, 0x7fffffff, v18
	v_not_b32_e32 v64, v17
.LBB706_149:
	s_or_b32 exec_lo, exec_lo, s5
	v_or_b32_e32 v14, 64, v9
	v_mov_b32_e32 v80, -1
	v_mov_b32_e32 v82, -1
	v_mov_b32_e32 v81, -1
	v_mov_b32_e32 v83, -1
	v_cmp_lt_u32_e64 s5, v14, v40
	s_and_saveexec_b32 s6, s5
	s_cbranch_execz .LBB706_151
; %bb.150:
	flat_load_dwordx2 v[17:18], v[7:8] offset:512
	s_waitcnt vmcnt(0) lgkmcnt(0)
	v_xor_b32_e32 v83, 0x7fffffff, v18
	v_not_b32_e32 v82, v17
.LBB706_151:
	s_or_b32 exec_lo, exec_lo, s6
	v_or_b32_e32 v14, 0x60, v9
	v_cmp_lt_u32_e64 s6, v14, v40
	s_and_saveexec_b32 s7, s6
	s_cbranch_execz .LBB706_153
; %bb.152:
	flat_load_dwordx2 v[17:18], v[7:8] offset:768
	s_waitcnt vmcnt(0) lgkmcnt(0)
	v_xor_b32_e32 v81, 0x7fffffff, v18
	v_not_b32_e32 v80, v17
.LBB706_153:
	s_or_b32 exec_lo, exec_lo, s7
	v_or_b32_e32 v14, 0x80, v9
	v_mov_b32_e32 v84, -1
	v_mov_b32_e32 v86, -1
	v_mov_b32_e32 v85, -1
	v_mov_b32_e32 v87, -1
	v_cmp_lt_u32_e64 s7, v14, v40
	s_and_saveexec_b32 s10, s7
	s_cbranch_execz .LBB706_155
; %bb.154:
	flat_load_dwordx2 v[17:18], v[7:8] offset:1024
	s_waitcnt vmcnt(0) lgkmcnt(0)
	v_xor_b32_e32 v87, 0x7fffffff, v18
	v_not_b32_e32 v86, v17
.LBB706_155:
	;; [unrolled: 26-line block ×3, first 2 shown]
	s_or_b32 exec_lo, exec_lo, s14
	v_or_b32_e32 v9, 0xe0, v9
	v_cmp_lt_u32_e64 s14, v9, v40
	s_and_saveexec_b32 s15, s14
	s_cbranch_execz .LBB706_161
; %bb.160:
	flat_load_dwordx2 v[7:8], v[7:8] offset:1792
	s_waitcnt vmcnt(0) lgkmcnt(0)
	v_xor_b32_e32 v69, 0x7fffffff, v8
	v_not_b32_e32 v68, v7
.LBB706_161:
	s_or_b32 exec_lo, exec_lo, s15
	v_add_co_u32 v4, s15, v4, v48
	v_add_co_ci_u32_e64 v5, null, v5, v49, s15
                                        ; implicit-def: $vgpr96_vgpr97
	v_add_co_u32 v4, s15, v4, v13
	v_add_co_ci_u32_e64 v5, null, 0, v5, s15
	v_add_co_u32 v0, s15, v4, v0
	v_add_co_ci_u32_e64 v1, null, v5, v1, s15
	s_and_saveexec_b32 s15, vcc_lo
	s_cbranch_execnz .LBB706_285
; %bb.162:
	s_or_b32 exec_lo, exec_lo, s15
                                        ; implicit-def: $vgpr100_vgpr101
	s_and_saveexec_b32 s15, s4
	s_cbranch_execnz .LBB706_286
.LBB706_163:
	s_or_b32 exec_lo, exec_lo, s15
                                        ; implicit-def: $vgpr98_vgpr99
	s_and_saveexec_b32 s4, s5
	s_cbranch_execnz .LBB706_287
.LBB706_164:
	s_or_b32 exec_lo, exec_lo, s4
                                        ; implicit-def: $vgpr102_vgpr103
	s_and_saveexec_b32 s4, s6
	s_cbranch_execnz .LBB706_288
.LBB706_165:
	s_or_b32 exec_lo, exec_lo, s4
                                        ; implicit-def: $vgpr112_vgpr113
	s_and_saveexec_b32 s4, s7
	s_cbranch_execnz .LBB706_289
.LBB706_166:
	s_or_b32 exec_lo, exec_lo, s4
                                        ; implicit-def: $vgpr114_vgpr115
	s_and_saveexec_b32 s4, s10
	s_cbranch_execnz .LBB706_290
.LBB706_167:
	s_or_b32 exec_lo, exec_lo, s4
                                        ; implicit-def: $vgpr116_vgpr117
	s_and_saveexec_b32 s4, s11
	s_cbranch_execnz .LBB706_291
.LBB706_168:
	s_or_b32 exec_lo, exec_lo, s4
                                        ; implicit-def: $vgpr118_vgpr119
	s_and_saveexec_b32 s4, s14
	s_cbranch_execz .LBB706_170
.LBB706_169:
	flat_load_dwordx2 v[118:119], v[0:1] offset:1792
.LBB706_170:
	s_or_b32 exec_lo, exec_lo, s4
	v_lshl_add_u32 v0, v16, 5, v12
	v_and_b32_e32 v4, 15, v28
	v_sub_co_u32 v7, s6, v28, 1
	s_getpc_b64 s[4:5]
	s_add_u32 s4, s4, _ZN7rocprim17ROCPRIM_400000_NS16block_radix_sortIlLj256ELj8ElLj1ELj1ELj8ELNS0_26block_radix_rank_algorithmE2ELNS0_18block_padding_hintE2ELNS0_4arch9wavefront6targetE0EE19radix_bits_per_passE@rel32@lo+4
	s_addc_u32 s5, s5, _ZN7rocprim17ROCPRIM_400000_NS16block_radix_sortIlLj256ELj8ElLj1ELj1ELj8ELNS0_26block_radix_rank_algorithmE2ELNS0_18block_padding_hintE2ELNS0_4arch9wavefront6targetE0EE19radix_bits_per_passE@rel32@hi+12
	v_add_nc_u32_e32 v9, 32, v0
	v_add_nc_u32_e32 v39, 36, v0
	;; [unrolled: 1-line block ×8, first 2 shown]
	v_and_b32_e32 v0, 0x3e0, v16
	v_lshlrev_b32_e32 v1, 3, v16
	s_load_dword s23, s[4:5], 0x0
	v_cmp_eq_u32_e32 vcc_lo, 0, v4
	v_cmp_lt_u32_e64 s4, 1, v4
	v_min_u32_e32 v0, 0xe0, v0
	v_cmp_lt_u32_e64 s5, 3, v4
	v_and_b32_e32 v5, 16, v28
	v_cmp_lt_u32_e64 s7, 7, v4
	v_lshrrev_b32_e32 v4, 3, v16
	v_or_b32_e32 v0, 31, v0
	v_cmp_gt_i32_e64 s11, 0, v7
	v_cmp_eq_u32_e64 s10, 0, v5
	v_lshrrev_b32_e32 v133, 5, v50
	v_cmp_gt_u32_e64 s14, 8, v16
	v_cmp_lt_u32_e64 s15, 31, v16
	v_cndmask_b32_e64 v5, v7, v28, s11
	v_cmp_eq_u32_e64 s11, v16, v0
	v_and_b32_e32 v0, 0x7c, v4
	v_and_or_b32 v4, 0x1f00, v1, v28
	v_cmp_eq_u32_e64 s16, 0, v16
	v_lshlrev_b32_e32 v134, 2, v5
	v_and_b32_e32 v5, 7, v28
	v_add_nc_u32_e32 v135, v12, v0
	v_lshl_add_u32 v145, v4, 3, v12
	v_mov_b32_e32 v1, 0
	v_lshl_add_u32 v144, v16, 2, v12
	v_cmp_eq_u32_e64 s17, 0, v5
	v_cmp_lt_u32_e64 s18, 1, v5
	v_cmp_lt_u32_e64 s19, 3, v5
	v_add_nc_u32_e32 v146, -4, v135
	v_add_nc_u32_e32 v147, 0x100, v145
	v_add_nc_u32_e32 v148, 0x200, v145
	;; [unrolled: 1-line block ×7, first 2 shown]
	v_sub_nc_u32_e32 v162, v11, v10
	s_mov_b32 s25, 0
	s_waitcnt vmcnt(0) lgkmcnt(0)
	s_waitcnt_vscnt null, 0x0
	s_barrier
	buffer_gl0_inv
	s_branch .LBB706_172
.LBB706_171:                            ;   in Loop: Header=BB706_172 Depth=1
	s_or_b32 exec_lo, exec_lo, s21
	s_and_b32 s20, exec_lo, s26
	s_or_b32 s25, s20, s25
	s_andn2_b32 exec_lo, exec_lo, s25
	s_cbranch_execz .LBB706_226
.LBB706_172:                            ; =>This Inner Loop Header: Depth=1
	v_min_u32_e32 v0, s23, v162
	v_mov_b32_e32 v23, v66
	v_mov_b32_e32 v24, v67
	;; [unrolled: 1-line block ×4, first 2 shown]
	v_lshlrev_b32_e64 v0, v0, -1
	v_mov_b32_e32 v31, v80
	v_lshrrev_b64 v[27:28], v10, v[23:24]
	v_mov_b32_e32 v32, v81
	v_mov_b32_e32 v7, v96
	v_not_b32_e32 v67, v0
	v_mov_b32_e32 v4, v100
	v_mov_b32_e32 v19, v98
	;; [unrolled: 1-line block ×4, first 2 shown]
	v_and_b32_e32 v0, v27, v67
	v_mov_b32_e32 v53, v114
	v_mov_b32_e32 v51, v116
	;; [unrolled: 1-line block ×4, first 2 shown]
	v_and_b32_e32 v35, 1, v0
	v_lshlrev_b32_e32 v36, 30, v0
	v_lshlrev_b32_e32 v37, 29, v0
	;; [unrolled: 1-line block ×4, first 2 shown]
	v_add_co_u32 v35, s20, v35, -1
	v_cndmask_b32_e64 v64, 0, 1, s20
	v_not_b32_e32 v81, v36
	v_cmp_gt_i32_e64 s21, 0, v36
	v_not_b32_e32 v36, v37
	v_lshlrev_b32_e32 v66, 26, v0
	v_cmp_ne_u32_e64 s20, 0, v64
	v_ashrrev_i32_e32 v81, 31, v81
	v_lshlrev_b32_e32 v80, 25, v0
	v_ashrrev_i32_e32 v36, 31, v36
	v_lshlrev_b32_e32 v64, 24, v0
	v_xor_b32_e32 v35, s20, v35
	v_cmp_gt_i32_e64 s20, 0, v37
	v_not_b32_e32 v37, v38
	v_xor_b32_e32 v81, s21, v81
	v_cmp_gt_i32_e64 s21, 0, v38
	v_and_b32_e32 v35, exec_lo, v35
	v_not_b32_e32 v38, v65
	v_ashrrev_i32_e32 v37, 31, v37
	v_xor_b32_e32 v36, s20, v36
	v_cmp_gt_i32_e64 s20, 0, v65
	v_and_b32_e32 v35, v35, v81
	v_not_b32_e32 v65, v66
	v_ashrrev_i32_e32 v38, 31, v38
	v_xor_b32_e32 v37, s21, v37
	v_cmp_gt_i32_e64 s21, 0, v66
	v_and_b32_e32 v35, v35, v36
	;; [unrolled: 5-line block ×4, first 2 shown]
	v_ashrrev_i32_e32 v64, 31, v66
	v_xor_b32_e32 v66, s20, v36
	v_lshl_add_u32 v0, v0, 3, v133
	v_mov_b32_e32 v29, v86
	v_and_b32_e32 v65, v35, v65
	v_xor_b32_e32 v64, s21, v64
	v_mov_b32_e32 v35, v68
	v_mov_b32_e32 v36, v69
	v_lshlrev_b64 v[68:69], 2, v[0:1]
	v_and_b32_e32 v65, v65, v66
	v_mov_b32_e32 v27, v84
	v_mov_b32_e32 v37, v70
	;; [unrolled: 1-line block ×4, first 2 shown]
	v_and_b32_e32 v65, v65, v64
	v_add_co_u32 v64, null, v12, v68
	v_mov_b32_e32 v20, v99
	v_mov_b32_e32 v18, v103
	v_mbcnt_lo_u32_b32 v0, v65, 0
	v_cmp_ne_u32_e64 s21, 0, v65
	v_mov_b32_e32 v14, v113
	v_mov_b32_e32 v54, v115
	;; [unrolled: 1-line block ×3, first 2 shown]
	v_cmp_eq_u32_e64 s20, 0, v0
	v_mov_b32_e32 v22, v119
	v_mov_b32_e32 v34, v83
	;; [unrolled: 1-line block ×5, first 2 shown]
	v_add_co_u32 v64, null, v64, 32
	s_and_b32 s21, s21, s20
	ds_write_b32 v9, v1
	ds_write_b32 v39, v1
	;; [unrolled: 1-line block ×8, first 2 shown]
	s_waitcnt lgkmcnt(0)
	s_barrier
	buffer_gl0_inv
	; wave barrier
	s_and_saveexec_b32 s20, s21
; %bb.173:                              ;   in Loop: Header=BB706_172 Depth=1
	v_bcnt_u32_b32 v65, v65, 0
	ds_write_b32 v64, v65
; %bb.174:                              ;   in Loop: Header=BB706_172 Depth=1
	s_or_b32 exec_lo, exec_lo, s20
	v_lshrrev_b64 v[65:66], v10, v[25:26]
	; wave barrier
	v_and_b32_e32 v65, v65, v67
	v_and_b32_e32 v66, 1, v65
	v_lshlrev_b32_e32 v68, 30, v65
	v_lshlrev_b32_e32 v69, 29, v65
	;; [unrolled: 1-line block ×4, first 2 shown]
	v_add_co_u32 v66, s20, v66, -1
	v_cndmask_b32_e64 v71, 0, 1, s20
	v_not_b32_e32 v83, v68
	v_cmp_gt_i32_e64 s21, 0, v68
	v_not_b32_e32 v68, v69
	v_lshlrev_b32_e32 v81, 26, v65
	v_cmp_ne_u32_e64 s20, 0, v71
	v_ashrrev_i32_e32 v83, 31, v83
	v_lshlrev_b32_e32 v82, 25, v65
	v_ashrrev_i32_e32 v68, 31, v68
	v_lshlrev_b32_e32 v71, 24, v65
	v_xor_b32_e32 v66, s20, v66
	v_cmp_gt_i32_e64 s20, 0, v69
	v_not_b32_e32 v69, v70
	v_xor_b32_e32 v83, s21, v83
	v_cmp_gt_i32_e64 s21, 0, v70
	v_and_b32_e32 v66, exec_lo, v66
	v_not_b32_e32 v70, v80
	v_ashrrev_i32_e32 v69, 31, v69
	v_xor_b32_e32 v68, s20, v68
	v_cmp_gt_i32_e64 s20, 0, v80
	v_and_b32_e32 v66, v66, v83
	v_not_b32_e32 v80, v81
	v_ashrrev_i32_e32 v70, 31, v70
	v_xor_b32_e32 v69, s21, v69
	v_cmp_gt_i32_e64 s21, 0, v81
	v_and_b32_e32 v66, v66, v68
	;; [unrolled: 5-line block ×3, first 2 shown]
	v_not_b32_e32 v69, v71
	v_ashrrev_i32_e32 v68, 31, v68
	v_xor_b32_e32 v80, s21, v80
	v_lshl_add_u32 v65, v65, 3, v133
	v_and_b32_e32 v66, v66, v70
	v_cmp_gt_i32_e64 s21, 0, v71
	v_ashrrev_i32_e32 v69, 31, v69
	v_xor_b32_e32 v68, s20, v68
	v_lshl_add_u32 v70, v65, 2, v12
	v_and_b32_e32 v66, v66, v80
	v_xor_b32_e32 v69, s21, v69
	ds_read_b32 v65, v70 offset:32
	v_and_b32_e32 v66, v66, v68
	v_add_nc_u32_e32 v68, 32, v70
	; wave barrier
	v_and_b32_e32 v69, v66, v69
	v_mbcnt_lo_u32_b32 v66, v69, 0
	v_cmp_ne_u32_e64 s21, 0, v69
	v_cmp_eq_u32_e64 s20, 0, v66
	s_and_b32 s21, s21, s20
	s_and_saveexec_b32 s20, s21
	s_cbranch_execz .LBB706_176
; %bb.175:                              ;   in Loop: Header=BB706_172 Depth=1
	s_waitcnt lgkmcnt(0)
	v_bcnt_u32_b32 v69, v69, v65
	ds_write_b32 v68, v69
.LBB706_176:                            ;   in Loop: Header=BB706_172 Depth=1
	s_or_b32 exec_lo, exec_lo, s20
	v_lshrrev_b64 v[69:70], v10, v[33:34]
	; wave barrier
	v_and_b32_e32 v69, v69, v67
	v_and_b32_e32 v70, 1, v69
	v_lshlrev_b32_e32 v71, 30, v69
	v_lshlrev_b32_e32 v80, 29, v69
	;; [unrolled: 1-line block ×4, first 2 shown]
	v_add_co_u32 v70, s20, v70, -1
	v_cndmask_b32_e64 v82, 0, 1, s20
	v_not_b32_e32 v86, v71
	v_cmp_gt_i32_e64 s21, 0, v71
	v_not_b32_e32 v71, v80
	v_lshlrev_b32_e32 v84, 26, v69
	v_cmp_ne_u32_e64 s20, 0, v82
	v_ashrrev_i32_e32 v86, 31, v86
	v_lshlrev_b32_e32 v85, 25, v69
	v_ashrrev_i32_e32 v71, 31, v71
	v_lshlrev_b32_e32 v82, 24, v69
	v_xor_b32_e32 v70, s20, v70
	v_cmp_gt_i32_e64 s20, 0, v80
	v_not_b32_e32 v80, v81
	v_xor_b32_e32 v86, s21, v86
	v_cmp_gt_i32_e64 s21, 0, v81
	v_and_b32_e32 v70, exec_lo, v70
	v_not_b32_e32 v81, v83
	v_ashrrev_i32_e32 v80, 31, v80
	v_xor_b32_e32 v71, s20, v71
	v_cmp_gt_i32_e64 s20, 0, v83
	v_and_b32_e32 v70, v70, v86
	v_not_b32_e32 v83, v84
	v_ashrrev_i32_e32 v81, 31, v81
	v_xor_b32_e32 v80, s21, v80
	v_cmp_gt_i32_e64 s21, 0, v84
	v_and_b32_e32 v70, v70, v71
	;; [unrolled: 5-line block ×3, first 2 shown]
	v_not_b32_e32 v80, v82
	v_ashrrev_i32_e32 v71, 31, v71
	v_xor_b32_e32 v83, s21, v83
	v_lshl_add_u32 v69, v69, 3, v133
	v_and_b32_e32 v70, v70, v81
	v_cmp_gt_i32_e64 s21, 0, v82
	v_ashrrev_i32_e32 v80, 31, v80
	v_xor_b32_e32 v71, s20, v71
	v_lshl_add_u32 v81, v69, 2, v12
	v_and_b32_e32 v70, v70, v83
	v_xor_b32_e32 v80, s21, v80
	ds_read_b32 v69, v81 offset:32
	v_and_b32_e32 v70, v70, v71
	v_add_nc_u32_e32 v71, 32, v81
	; wave barrier
	v_and_b32_e32 v80, v70, v80
	v_mbcnt_lo_u32_b32 v70, v80, 0
	v_cmp_ne_u32_e64 s21, 0, v80
	v_cmp_eq_u32_e64 s20, 0, v70
	s_and_b32 s21, s21, s20
	s_and_saveexec_b32 s20, s21
	s_cbranch_execz .LBB706_178
; %bb.177:                              ;   in Loop: Header=BB706_172 Depth=1
	s_waitcnt lgkmcnt(0)
	v_bcnt_u32_b32 v80, v80, v69
	ds_write_b32 v71, v80
.LBB706_178:                            ;   in Loop: Header=BB706_172 Depth=1
	s_or_b32 exec_lo, exec_lo, s20
	v_lshrrev_b64 v[80:81], v10, v[31:32]
	; wave barrier
	v_and_b32_e32 v80, v80, v67
	v_and_b32_e32 v81, 1, v80
	v_lshlrev_b32_e32 v82, 30, v80
	v_lshlrev_b32_e32 v83, 29, v80
	;; [unrolled: 1-line block ×4, first 2 shown]
	v_add_co_u32 v81, s20, v81, -1
	v_cndmask_b32_e64 v85, 0, 1, s20
	v_not_b32_e32 v97, v82
	v_cmp_gt_i32_e64 s21, 0, v82
	v_not_b32_e32 v82, v83
	v_lshlrev_b32_e32 v87, 26, v80
	v_cmp_ne_u32_e64 s20, 0, v85
	v_ashrrev_i32_e32 v97, 31, v97
	v_lshlrev_b32_e32 v96, 25, v80
	v_ashrrev_i32_e32 v82, 31, v82
	v_lshlrev_b32_e32 v85, 24, v80
	v_xor_b32_e32 v81, s20, v81
	v_cmp_gt_i32_e64 s20, 0, v83
	v_not_b32_e32 v83, v84
	v_xor_b32_e32 v97, s21, v97
	v_cmp_gt_i32_e64 s21, 0, v84
	v_and_b32_e32 v81, exec_lo, v81
	v_not_b32_e32 v84, v86
	v_ashrrev_i32_e32 v83, 31, v83
	v_xor_b32_e32 v82, s20, v82
	v_cmp_gt_i32_e64 s20, 0, v86
	v_and_b32_e32 v81, v81, v97
	v_not_b32_e32 v86, v87
	v_ashrrev_i32_e32 v84, 31, v84
	v_xor_b32_e32 v83, s21, v83
	v_cmp_gt_i32_e64 s21, 0, v87
	v_and_b32_e32 v81, v81, v82
	;; [unrolled: 5-line block ×3, first 2 shown]
	v_not_b32_e32 v83, v85
	v_ashrrev_i32_e32 v82, 31, v82
	v_xor_b32_e32 v86, s21, v86
	v_lshl_add_u32 v80, v80, 3, v133
	v_and_b32_e32 v81, v81, v84
	v_cmp_gt_i32_e64 s21, 0, v85
	v_ashrrev_i32_e32 v83, 31, v83
	v_xor_b32_e32 v82, s20, v82
	v_lshl_add_u32 v84, v80, 2, v12
	v_and_b32_e32 v81, v81, v86
	v_xor_b32_e32 v83, s21, v83
	ds_read_b32 v80, v84 offset:32
	v_and_b32_e32 v81, v81, v82
	v_add_nc_u32_e32 v82, 32, v84
	; wave barrier
	v_and_b32_e32 v83, v81, v83
	v_mbcnt_lo_u32_b32 v81, v83, 0
	v_cmp_ne_u32_e64 s21, 0, v83
	v_cmp_eq_u32_e64 s20, 0, v81
	s_and_b32 s21, s21, s20
	s_and_saveexec_b32 s20, s21
	s_cbranch_execz .LBB706_180
; %bb.179:                              ;   in Loop: Header=BB706_172 Depth=1
	s_waitcnt lgkmcnt(0)
	v_bcnt_u32_b32 v83, v83, v80
	ds_write_b32 v82, v83
.LBB706_180:                            ;   in Loop: Header=BB706_172 Depth=1
	s_or_b32 exec_lo, exec_lo, s20
	v_lshrrev_b64 v[83:84], v10, v[29:30]
	; wave barrier
	v_and_b32_e32 v83, v83, v67
	v_and_b32_e32 v84, 1, v83
	v_lshlrev_b32_e32 v85, 30, v83
	v_lshlrev_b32_e32 v86, 29, v83
	;; [unrolled: 1-line block ×4, first 2 shown]
	v_add_co_u32 v84, s20, v84, -1
	v_cndmask_b32_e64 v96, 0, 1, s20
	v_not_b32_e32 v100, v85
	v_cmp_gt_i32_e64 s21, 0, v85
	v_not_b32_e32 v85, v86
	v_lshlrev_b32_e32 v98, 26, v83
	v_cmp_ne_u32_e64 s20, 0, v96
	v_ashrrev_i32_e32 v100, 31, v100
	v_lshlrev_b32_e32 v99, 25, v83
	v_ashrrev_i32_e32 v85, 31, v85
	v_lshlrev_b32_e32 v96, 24, v83
	v_xor_b32_e32 v84, s20, v84
	v_cmp_gt_i32_e64 s20, 0, v86
	v_not_b32_e32 v86, v87
	v_xor_b32_e32 v100, s21, v100
	v_cmp_gt_i32_e64 s21, 0, v87
	v_and_b32_e32 v84, exec_lo, v84
	v_not_b32_e32 v87, v97
	v_ashrrev_i32_e32 v86, 31, v86
	v_xor_b32_e32 v85, s20, v85
	v_cmp_gt_i32_e64 s20, 0, v97
	v_and_b32_e32 v84, v84, v100
	v_not_b32_e32 v97, v98
	v_ashrrev_i32_e32 v87, 31, v87
	v_xor_b32_e32 v86, s21, v86
	v_cmp_gt_i32_e64 s21, 0, v98
	v_and_b32_e32 v84, v84, v85
	;; [unrolled: 5-line block ×3, first 2 shown]
	v_not_b32_e32 v86, v96
	v_ashrrev_i32_e32 v85, 31, v85
	v_xor_b32_e32 v97, s21, v97
	v_lshl_add_u32 v83, v83, 3, v133
	v_and_b32_e32 v84, v84, v87
	v_cmp_gt_i32_e64 s21, 0, v96
	v_ashrrev_i32_e32 v86, 31, v86
	v_xor_b32_e32 v85, s20, v85
	v_lshl_add_u32 v87, v83, 2, v12
	v_and_b32_e32 v84, v84, v97
	v_xor_b32_e32 v86, s21, v86
	ds_read_b32 v83, v87 offset:32
	v_and_b32_e32 v84, v84, v85
	v_add_nc_u32_e32 v85, 32, v87
	; wave barrier
	v_and_b32_e32 v86, v84, v86
	v_mbcnt_lo_u32_b32 v84, v86, 0
	v_cmp_ne_u32_e64 s21, 0, v86
	v_cmp_eq_u32_e64 s20, 0, v84
	s_and_b32 s21, s21, s20
	s_and_saveexec_b32 s20, s21
	s_cbranch_execz .LBB706_182
; %bb.181:                              ;   in Loop: Header=BB706_172 Depth=1
	s_waitcnt lgkmcnt(0)
	v_bcnt_u32_b32 v86, v86, v83
	ds_write_b32 v85, v86
.LBB706_182:                            ;   in Loop: Header=BB706_172 Depth=1
	s_or_b32 exec_lo, exec_lo, s20
	v_lshrrev_b64 v[86:87], v10, v[27:28]
	; wave barrier
	v_and_b32_e32 v86, v86, v67
	v_and_b32_e32 v87, 1, v86
	v_lshlrev_b32_e32 v96, 30, v86
	v_lshlrev_b32_e32 v97, 29, v86
	;; [unrolled: 1-line block ×4, first 2 shown]
	v_add_co_u32 v87, s20, v87, -1
	v_cndmask_b32_e64 v99, 0, 1, s20
	v_not_b32_e32 v103, v96
	v_cmp_gt_i32_e64 s21, 0, v96
	v_not_b32_e32 v96, v97
	v_lshlrev_b32_e32 v101, 26, v86
	v_cmp_ne_u32_e64 s20, 0, v99
	v_ashrrev_i32_e32 v103, 31, v103
	v_lshlrev_b32_e32 v102, 25, v86
	v_ashrrev_i32_e32 v96, 31, v96
	v_lshlrev_b32_e32 v99, 24, v86
	v_xor_b32_e32 v87, s20, v87
	v_cmp_gt_i32_e64 s20, 0, v97
	v_not_b32_e32 v97, v98
	v_xor_b32_e32 v103, s21, v103
	v_cmp_gt_i32_e64 s21, 0, v98
	v_and_b32_e32 v87, exec_lo, v87
	v_not_b32_e32 v98, v100
	v_ashrrev_i32_e32 v97, 31, v97
	v_xor_b32_e32 v96, s20, v96
	v_cmp_gt_i32_e64 s20, 0, v100
	v_and_b32_e32 v87, v87, v103
	v_not_b32_e32 v100, v101
	v_ashrrev_i32_e32 v98, 31, v98
	v_xor_b32_e32 v97, s21, v97
	v_cmp_gt_i32_e64 s21, 0, v101
	v_and_b32_e32 v87, v87, v96
	;; [unrolled: 5-line block ×3, first 2 shown]
	v_not_b32_e32 v97, v99
	v_ashrrev_i32_e32 v96, 31, v96
	v_xor_b32_e32 v100, s21, v100
	v_lshl_add_u32 v86, v86, 3, v133
	v_and_b32_e32 v87, v87, v98
	v_cmp_gt_i32_e64 s21, 0, v99
	v_ashrrev_i32_e32 v97, 31, v97
	v_xor_b32_e32 v96, s20, v96
	v_lshl_add_u32 v98, v86, 2, v12
	v_and_b32_e32 v87, v87, v100
	v_xor_b32_e32 v97, s21, v97
	ds_read_b32 v86, v98 offset:32
	v_and_b32_e32 v87, v87, v96
	v_add_nc_u32_e32 v96, 32, v98
	; wave barrier
	v_and_b32_e32 v97, v87, v97
	v_mbcnt_lo_u32_b32 v87, v97, 0
	v_cmp_ne_u32_e64 s21, 0, v97
	v_cmp_eq_u32_e64 s20, 0, v87
	s_and_b32 s21, s21, s20
	s_and_saveexec_b32 s20, s21
	s_cbranch_execz .LBB706_184
; %bb.183:                              ;   in Loop: Header=BB706_172 Depth=1
	s_waitcnt lgkmcnt(0)
	v_bcnt_u32_b32 v97, v97, v86
	ds_write_b32 v96, v97
.LBB706_184:                            ;   in Loop: Header=BB706_172 Depth=1
	s_or_b32 exec_lo, exec_lo, s20
	v_lshrrev_b64 v[97:98], v10, v[37:38]
	; wave barrier
	v_and_b32_e32 v97, v97, v67
	v_and_b32_e32 v98, 1, v97
	v_lshlrev_b32_e32 v99, 30, v97
	v_lshlrev_b32_e32 v100, 29, v97
	;; [unrolled: 1-line block ×4, first 2 shown]
	v_add_co_u32 v98, s20, v98, -1
	v_cndmask_b32_e64 v102, 0, 1, s20
	v_not_b32_e32 v114, v99
	v_cmp_gt_i32_e64 s21, 0, v99
	v_not_b32_e32 v99, v100
	v_lshlrev_b32_e32 v112, 26, v97
	v_cmp_ne_u32_e64 s20, 0, v102
	v_ashrrev_i32_e32 v114, 31, v114
	v_lshlrev_b32_e32 v113, 25, v97
	v_ashrrev_i32_e32 v99, 31, v99
	v_lshlrev_b32_e32 v102, 24, v97
	v_xor_b32_e32 v98, s20, v98
	v_cmp_gt_i32_e64 s20, 0, v100
	v_not_b32_e32 v100, v101
	v_xor_b32_e32 v114, s21, v114
	v_cmp_gt_i32_e64 s21, 0, v101
	v_and_b32_e32 v98, exec_lo, v98
	v_not_b32_e32 v101, v103
	v_ashrrev_i32_e32 v100, 31, v100
	v_xor_b32_e32 v99, s20, v99
	v_cmp_gt_i32_e64 s20, 0, v103
	v_and_b32_e32 v98, v98, v114
	v_not_b32_e32 v103, v112
	v_ashrrev_i32_e32 v101, 31, v101
	v_xor_b32_e32 v100, s21, v100
	v_cmp_gt_i32_e64 s21, 0, v112
	v_and_b32_e32 v98, v98, v99
	;; [unrolled: 5-line block ×3, first 2 shown]
	v_not_b32_e32 v100, v102
	v_ashrrev_i32_e32 v99, 31, v99
	v_xor_b32_e32 v103, s21, v103
	v_lshl_add_u32 v97, v97, 3, v133
	v_and_b32_e32 v98, v98, v101
	v_cmp_gt_i32_e64 s21, 0, v102
	v_ashrrev_i32_e32 v100, 31, v100
	v_xor_b32_e32 v99, s20, v99
	v_lshl_add_u32 v101, v97, 2, v12
	v_and_b32_e32 v98, v98, v103
	v_xor_b32_e32 v100, s21, v100
	ds_read_b32 v97, v101 offset:32
	v_and_b32_e32 v98, v98, v99
	v_add_nc_u32_e32 v99, 32, v101
	; wave barrier
	v_and_b32_e32 v100, v98, v100
	v_mbcnt_lo_u32_b32 v98, v100, 0
	v_cmp_ne_u32_e64 s21, 0, v100
	v_cmp_eq_u32_e64 s20, 0, v98
	s_and_b32 s21, s21, s20
	s_and_saveexec_b32 s20, s21
	s_cbranch_execz .LBB706_186
; %bb.185:                              ;   in Loop: Header=BB706_172 Depth=1
	s_waitcnt lgkmcnt(0)
	v_bcnt_u32_b32 v100, v100, v97
	ds_write_b32 v99, v100
.LBB706_186:                            ;   in Loop: Header=BB706_172 Depth=1
	s_or_b32 exec_lo, exec_lo, s20
	v_lshrrev_b64 v[100:101], v10, v[35:36]
	; wave barrier
	v_and_b32_e32 v67, v100, v67
	v_and_b32_e32 v100, 1, v67
	v_lshlrev_b32_e32 v101, 30, v67
	v_lshlrev_b32_e32 v102, 29, v67
	;; [unrolled: 1-line block ×4, first 2 shown]
	v_add_co_u32 v100, s20, v100, -1
	v_cndmask_b32_e64 v112, 0, 1, s20
	v_not_b32_e32 v116, v101
	v_cmp_gt_i32_e64 s21, 0, v101
	v_not_b32_e32 v101, v102
	v_lshlrev_b32_e32 v114, 26, v67
	v_cmp_ne_u32_e64 s20, 0, v112
	v_ashrrev_i32_e32 v116, 31, v116
	v_lshlrev_b32_e32 v115, 25, v67
	v_ashrrev_i32_e32 v101, 31, v101
	v_lshlrev_b32_e32 v112, 24, v67
	v_xor_b32_e32 v100, s20, v100
	v_cmp_gt_i32_e64 s20, 0, v102
	v_not_b32_e32 v102, v103
	v_xor_b32_e32 v116, s21, v116
	v_cmp_gt_i32_e64 s21, 0, v103
	v_and_b32_e32 v100, exec_lo, v100
	v_not_b32_e32 v103, v113
	v_ashrrev_i32_e32 v102, 31, v102
	v_xor_b32_e32 v101, s20, v101
	v_cmp_gt_i32_e64 s20, 0, v113
	v_and_b32_e32 v100, v100, v116
	v_not_b32_e32 v113, v114
	v_ashrrev_i32_e32 v103, 31, v103
	v_xor_b32_e32 v102, s21, v102
	v_cmp_gt_i32_e64 s21, 0, v114
	v_and_b32_e32 v100, v100, v101
	;; [unrolled: 5-line block ×3, first 2 shown]
	v_not_b32_e32 v102, v112
	v_ashrrev_i32_e32 v101, 31, v101
	v_xor_b32_e32 v113, s21, v113
	v_lshl_add_u32 v67, v67, 3, v133
	v_and_b32_e32 v100, v100, v103
	v_cmp_gt_i32_e64 s21, 0, v112
	v_ashrrev_i32_e32 v102, 31, v102
	v_xor_b32_e32 v101, s20, v101
	v_lshl_add_u32 v103, v67, 2, v12
	v_and_b32_e32 v100, v100, v113
	v_xor_b32_e32 v102, s21, v102
	ds_read_b32 v67, v103 offset:32
	v_and_b32_e32 v100, v100, v101
	v_add_nc_u32_e32 v101, 32, v103
	; wave barrier
	v_and_b32_e32 v102, v100, v102
	v_mbcnt_lo_u32_b32 v100, v102, 0
	v_cmp_ne_u32_e64 s21, 0, v102
	v_cmp_eq_u32_e64 s20, 0, v100
	s_and_b32 s21, s21, s20
	s_and_saveexec_b32 s20, s21
	s_cbranch_execz .LBB706_188
; %bb.187:                              ;   in Loop: Header=BB706_172 Depth=1
	s_waitcnt lgkmcnt(0)
	v_bcnt_u32_b32 v102, v102, v67
	ds_write_b32 v101, v102
.LBB706_188:                            ;   in Loop: Header=BB706_172 Depth=1
	s_or_b32 exec_lo, exec_lo, s20
	; wave barrier
	s_waitcnt lgkmcnt(0)
	s_barrier
	buffer_gl0_inv
	ds_read_b32 v103, v9
	ds_read_b32 v112, v39
	ds_read_b32 v113, v55
	ds_read_b32 v114, v128
	ds_read_b32 v115, v129
	ds_read_b32 v116, v130
	ds_read_b32 v102, v131
	ds_read_b32 v117, v132
	s_waitcnt lgkmcnt(6)
	v_add_nc_u32_e32 v118, v112, v103
	s_waitcnt lgkmcnt(4)
	v_add3_u32 v118, v118, v113, v114
	s_waitcnt lgkmcnt(2)
	v_add3_u32 v118, v118, v115, v116
	s_waitcnt lgkmcnt(0)
	v_add3_u32 v117, v118, v102, v117
	v_mov_b32_dpp v118, v117 row_shr:1 row_mask:0xf bank_mask:0xf
	v_cndmask_b32_e64 v118, v118, 0, vcc_lo
	v_add_nc_u32_e32 v117, v118, v117
	v_mov_b32_dpp v118, v117 row_shr:2 row_mask:0xf bank_mask:0xf
	v_cndmask_b32_e64 v118, 0, v118, s4
	v_add_nc_u32_e32 v117, v117, v118
	v_mov_b32_dpp v118, v117 row_shr:4 row_mask:0xf bank_mask:0xf
	v_cndmask_b32_e64 v118, 0, v118, s5
	;; [unrolled: 3-line block ×3, first 2 shown]
	v_add_nc_u32_e32 v117, v117, v118
	ds_swizzle_b32 v118, v117 offset:swizzle(BROADCAST,32,15)
	s_waitcnt lgkmcnt(0)
	v_cndmask_b32_e64 v118, v118, 0, s10
	v_add_nc_u32_e32 v117, v117, v118
	s_and_saveexec_b32 s20, s11
; %bb.189:                              ;   in Loop: Header=BB706_172 Depth=1
	ds_write_b32 v135, v117
; %bb.190:                              ;   in Loop: Header=BB706_172 Depth=1
	s_or_b32 exec_lo, exec_lo, s20
	s_waitcnt lgkmcnt(0)
	s_barrier
	buffer_gl0_inv
	s_and_saveexec_b32 s20, s14
	s_cbranch_execz .LBB706_192
; %bb.191:                              ;   in Loop: Header=BB706_172 Depth=1
	ds_read_b32 v118, v144
	s_waitcnt lgkmcnt(0)
	v_mov_b32_dpp v119, v118 row_shr:1 row_mask:0xf bank_mask:0xf
	v_cndmask_b32_e64 v119, v119, 0, s17
	v_add_nc_u32_e32 v118, v119, v118
	v_mov_b32_dpp v119, v118 row_shr:2 row_mask:0xf bank_mask:0xf
	v_cndmask_b32_e64 v119, 0, v119, s18
	v_add_nc_u32_e32 v118, v118, v119
	;; [unrolled: 3-line block ×3, first 2 shown]
	ds_write_b32 v144, v118
.LBB706_192:                            ;   in Loop: Header=BB706_172 Depth=1
	s_or_b32 exec_lo, exec_lo, s20
	v_mov_b32_e32 v118, 0
	s_waitcnt lgkmcnt(0)
	s_barrier
	buffer_gl0_inv
	s_and_saveexec_b32 s20, s15
; %bb.193:                              ;   in Loop: Header=BB706_172 Depth=1
	ds_read_b32 v118, v146
; %bb.194:                              ;   in Loop: Header=BB706_172 Depth=1
	s_or_b32 exec_lo, exec_lo, s20
	s_waitcnt lgkmcnt(0)
	v_add_nc_u32_e32 v117, v118, v117
	v_add_nc_u32_e32 v10, 8, v10
	s_mov_b32 s26, -1
	ds_bpermute_b32 v117, v134, v117
	v_cmp_lt_u32_e64 s20, v10, v11
	s_waitcnt lgkmcnt(0)
	v_cndmask_b32_e64 v117, v117, v118, s6
                                        ; implicit-def: $vgpr118_vgpr119
	v_cndmask_b32_e64 v117, v117, 0, s16
	v_add_nc_u32_e32 v103, v117, v103
	v_add_nc_u32_e32 v112, v103, v112
	ds_write_b32 v9, v117
	ds_write_b32 v39, v103
	;; [unrolled: 1-line block ×3, first 2 shown]
	v_add_nc_u32_e32 v113, v112, v113
	v_add_nc_u32_e32 v114, v113, v114
	;; [unrolled: 1-line block ×5, first 2 shown]
	ds_write_b32 v128, v113
	ds_write_b32 v129, v114
	;; [unrolled: 1-line block ×5, first 2 shown]
	s_waitcnt lgkmcnt(0)
	s_barrier
	buffer_gl0_inv
	ds_read_b32 v64, v64
	ds_read_b32 v103, v68
	;; [unrolled: 1-line block ×8, first 2 shown]
	v_mov_b32_e32 v71, v1
	v_mov_b32_e32 v82, v1
	v_mov_b32_e32 v85, v1
	v_mov_b32_e32 v102, v1
	v_mov_b32_e32 v113, v1
	v_mov_b32_e32 v99, v1
	v_mov_b32_e32 v68, v1
	s_waitcnt lgkmcnt(0)
	v_add_nc_u32_e32 v0, v64, v0
	v_add3_u32 v101, v66, v65, v103
	v_add3_u32 v70, v70, v69, v112
	;; [unrolled: 1-line block ×7, first 2 shown]
	v_lshlrev_b64 v[69:70], 3, v[70:71]
	v_lshlrev_b64 v[64:65], 3, v[0:1]
	;; [unrolled: 1-line block ×8, first 2 shown]
	v_add_co_u32 v0, null, v12, v64
	v_add_co_u32 v163, null, v12, v65
	;; [unrolled: 1-line block ×8, first 2 shown]
                                        ; implicit-def: $vgpr96_vgpr97
                                        ; implicit-def: $vgpr100_vgpr101
                                        ; implicit-def: $vgpr98_vgpr99
                                        ; implicit-def: $vgpr102_vgpr103
                                        ; implicit-def: $vgpr112_vgpr113
                                        ; implicit-def: $vgpr114_vgpr115
                                        ; implicit-def: $vgpr116_vgpr117
                                        ; implicit-def: $vgpr66_vgpr67
                                        ; implicit-def: $vgpr64_vgpr65
                                        ; implicit-def: $vgpr82_vgpr83
                                        ; implicit-def: $vgpr80_vgpr81
                                        ; implicit-def: $vgpr86_vgpr87
                                        ; implicit-def: $vgpr84_vgpr85
                                        ; implicit-def: $vgpr70_vgpr71
                                        ; implicit-def: $vgpr68_vgpr69
	s_and_saveexec_b32 s21, s20
	s_cbranch_execz .LBB706_171
; %bb.195:                              ;   in Loop: Header=BB706_172 Depth=1
	s_barrier
	buffer_gl0_inv
	ds_write_b64 v0, v[23:24]
	ds_write_b64 v163, v[25:26]
	;; [unrolled: 1-line block ×8, first 2 shown]
	s_waitcnt lgkmcnt(0)
	s_barrier
	buffer_gl0_inv
	ds_read_b64 v[66:67], v145
	ds_read_b64 v[64:65], v147
	;; [unrolled: 1-line block ×8, first 2 shown]
	s_waitcnt lgkmcnt(0)
	s_barrier
	buffer_gl0_inv
	ds_write_b64 v0, v[7:8]
	ds_write_b64 v163, v[4:5]
	;; [unrolled: 1-line block ×8, first 2 shown]
	s_waitcnt lgkmcnt(0)
	s_barrier
	buffer_gl0_inv
	ds_read_b64 v[96:97], v145
	ds_read_b64 v[100:101], v147
	;; [unrolled: 1-line block ×8, first 2 shown]
	v_add_nc_u32_e32 v162, -8, v162
	s_xor_b32 s26, exec_lo, -1
	s_waitcnt lgkmcnt(0)
	s_barrier
	buffer_gl0_inv
	s_branch .LBB706_171
.LBB706_196:
	flat_load_dwordx2 v[196:197], v[0:1]
	s_or_b32 exec_lo, exec_lo, s23
                                        ; implicit-def: $vgpr192_vgpr193
	s_and_saveexec_b32 s23, s4
	s_cbranch_execz .LBB706_36
.LBB706_197:
	flat_load_dwordx2 v[192:193], v[0:1] offset:256
	s_or_b32 exec_lo, exec_lo, s23
                                        ; implicit-def: $vgpr194_vgpr195
	s_and_saveexec_b32 s4, s5
	s_cbranch_execz .LBB706_37
.LBB706_198:
	flat_load_dwordx2 v[194:195], v[0:1] offset:512
	s_or_b32 exec_lo, exec_lo, s4
                                        ; implicit-def: $vgpr208_vgpr209
	s_and_saveexec_b32 s4, s6
	s_cbranch_execz .LBB706_38
.LBB706_199:
	flat_load_dwordx2 v[208:209], v[0:1] offset:768
	s_or_b32 exec_lo, exec_lo, s4
                                        ; implicit-def: $vgpr198_vgpr199
	s_and_saveexec_b32 s4, s7
	s_cbranch_execz .LBB706_39
.LBB706_200:
	flat_load_dwordx2 v[198:199], v[0:1] offset:1024
	s_or_b32 exec_lo, exec_lo, s4
                                        ; implicit-def: $vgpr210_vgpr211
	s_and_saveexec_b32 s4, s10
	s_cbranch_execz .LBB706_40
.LBB706_201:
	flat_load_dwordx2 v[210:211], v[0:1] offset:1280
	s_or_b32 exec_lo, exec_lo, s4
                                        ; implicit-def: $vgpr212_vgpr213
	s_and_saveexec_b32 s4, s11
	s_cbranch_execz .LBB706_41
.LBB706_202:
	flat_load_dwordx2 v[212:213], v[0:1] offset:1536
	s_or_b32 exec_lo, exec_lo, s4
                                        ; implicit-def: $vgpr214_vgpr215
	s_and_saveexec_b32 s4, s14
	s_cbranch_execz .LBB706_42
.LBB706_203:
	flat_load_dwordx2 v[214:215], v[0:1] offset:1792
	s_or_b32 exec_lo, exec_lo, s4
                                        ; implicit-def: $vgpr224_vgpr225
	s_and_saveexec_b32 s4, s15
	s_cbranch_execz .LBB706_43
.LBB706_204:
	v_add_co_u32 v4, vcc_lo, 0x800, v0
	v_add_co_ci_u32_e64 v5, null, 0, v1, vcc_lo
	flat_load_dwordx2 v[224:225], v[4:5]
	s_or_b32 exec_lo, exec_lo, s4
                                        ; implicit-def: $vgpr226_vgpr227
	s_and_saveexec_b32 s4, s16
	s_cbranch_execz .LBB706_44
.LBB706_205:
	v_add_co_u32 v4, vcc_lo, 0x800, v0
	v_add_co_ci_u32_e64 v5, null, 0, v1, vcc_lo
	flat_load_dwordx2 v[226:227], v[4:5] offset:256
	s_or_b32 exec_lo, exec_lo, s4
                                        ; implicit-def: $vgpr228_vgpr229
	s_and_saveexec_b32 s4, s17
	s_cbranch_execz .LBB706_45
.LBB706_206:
	v_add_co_u32 v4, vcc_lo, 0x800, v0
	v_add_co_ci_u32_e64 v5, null, 0, v1, vcc_lo
	flat_load_dwordx2 v[228:229], v[4:5] offset:512
	s_or_b32 exec_lo, exec_lo, s4
                                        ; implicit-def: $vgpr230_vgpr231
	s_and_saveexec_b32 s4, s18
	s_cbranch_execz .LBB706_46
.LBB706_207:
	v_add_co_u32 v4, vcc_lo, 0x800, v0
	v_add_co_ci_u32_e64 v5, null, 0, v1, vcc_lo
	flat_load_dwordx2 v[230:231], v[4:5] offset:768
	s_or_b32 exec_lo, exec_lo, s4
                                        ; implicit-def: $vgpr240_vgpr241
	s_and_saveexec_b32 s4, s19
	s_cbranch_execz .LBB706_47
.LBB706_208:
	v_add_co_u32 v4, vcc_lo, 0x800, v0
	v_add_co_ci_u32_e64 v5, null, 0, v1, vcc_lo
	flat_load_dwordx2 v[240:241], v[4:5] offset:1024
	s_or_b32 exec_lo, exec_lo, s4
                                        ; implicit-def: $vgpr242_vgpr243
	s_and_saveexec_b32 s4, s20
	s_cbranch_execz .LBB706_48
.LBB706_209:
	v_add_co_u32 v4, vcc_lo, 0x800, v0
	v_add_co_ci_u32_e64 v5, null, 0, v1, vcc_lo
	flat_load_dwordx2 v[242:243], v[4:5] offset:1280
	s_or_b32 exec_lo, exec_lo, s4
                                        ; implicit-def: $vgpr244_vgpr245
	s_and_saveexec_b32 s4, s21
	s_cbranch_execz .LBB706_49
.LBB706_210:
	v_add_co_u32 v4, vcc_lo, 0x800, v0
	v_add_co_ci_u32_e64 v5, null, 0, v1, vcc_lo
	flat_load_dwordx2 v[244:245], v[4:5] offset:1536
	s_or_b32 exec_lo, exec_lo, s4
                                        ; implicit-def: $vgpr246_vgpr247
	s_and_saveexec_b32 s4, s22
	s_cbranch_execnz .LBB706_50
	s_branch .LBB706_51
.LBB706_211:
	flat_store_dwordx2 v[0:1], v[36:37]
	s_or_b32 exec_lo, exec_lo, s23
	s_and_saveexec_b32 s23, s4
	s_cbranch_execz .LBB706_127
.LBB706_212:
	v_add_co_u32 v2, vcc_lo, 0x800, v0
	v_add_co_ci_u32_e64 v3, null, 0, v1, vcc_lo
	flat_store_dwordx2 v[2:3], v[38:39]
	s_or_b32 exec_lo, exec_lo, s23
	s_and_saveexec_b32 s4, s5
	s_cbranch_execz .LBB706_128
.LBB706_213:
	v_add_co_u32 v2, vcc_lo, 0x1000, v0
	v_add_co_ci_u32_e64 v3, null, 0, v1, vcc_lo
	flat_store_dwordx2 v[2:3], v[32:33]
	s_or_b32 exec_lo, exec_lo, s4
	s_and_saveexec_b32 s4, s6
	s_cbranch_execz .LBB706_129
.LBB706_214:
	v_add_co_u32 v2, vcc_lo, 0x1800, v0
	v_add_co_ci_u32_e64 v3, null, 0, v1, vcc_lo
	flat_store_dwordx2 v[2:3], v[34:35]
	s_or_b32 exec_lo, exec_lo, s4
	s_and_saveexec_b32 s4, s7
	s_cbranch_execz .LBB706_130
.LBB706_215:
	v_add_co_u32 v2, vcc_lo, 0x2000, v0
	v_add_co_ci_u32_e64 v3, null, 0, v1, vcc_lo
	flat_store_dwordx2 v[2:3], v[28:29]
	s_or_b32 exec_lo, exec_lo, s4
	s_and_saveexec_b32 s4, s10
	s_cbranch_execz .LBB706_131
.LBB706_216:
	v_add_co_u32 v2, vcc_lo, 0x2800, v0
	v_add_co_ci_u32_e64 v3, null, 0, v1, vcc_lo
	flat_store_dwordx2 v[2:3], v[30:31]
	s_or_b32 exec_lo, exec_lo, s4
	s_and_saveexec_b32 s4, s11
	s_cbranch_execz .LBB706_132
.LBB706_217:
	v_add_co_u32 v2, vcc_lo, 0x3000, v0
	v_add_co_ci_u32_e64 v3, null, 0, v1, vcc_lo
	flat_store_dwordx2 v[2:3], v[24:25]
	s_or_b32 exec_lo, exec_lo, s4
	s_and_saveexec_b32 s4, s14
	s_cbranch_execz .LBB706_133
.LBB706_218:
	v_add_co_u32 v2, vcc_lo, 0x3800, v0
	v_add_co_ci_u32_e64 v3, null, 0, v1, vcc_lo
	flat_store_dwordx2 v[2:3], v[26:27]
	s_or_b32 exec_lo, exec_lo, s4
	s_and_saveexec_b32 s4, s15
	s_cbranch_execz .LBB706_134
.LBB706_219:
	v_add_co_u32 v2, vcc_lo, 0x4000, v0
	v_add_co_ci_u32_e64 v3, null, 0, v1, vcc_lo
	flat_store_dwordx2 v[2:3], v[20:21]
	s_or_b32 exec_lo, exec_lo, s4
	s_and_saveexec_b32 s4, s16
	s_cbranch_execz .LBB706_135
.LBB706_220:
	v_add_co_u32 v2, vcc_lo, 0x4800, v0
	v_add_co_ci_u32_e64 v3, null, 0, v1, vcc_lo
	flat_store_dwordx2 v[2:3], v[22:23]
	s_or_b32 exec_lo, exec_lo, s4
	s_and_saveexec_b32 s4, s17
	s_cbranch_execz .LBB706_136
.LBB706_221:
	v_add_co_u32 v2, vcc_lo, 0x5000, v0
	v_add_co_ci_u32_e64 v3, null, 0, v1, vcc_lo
	flat_store_dwordx2 v[2:3], v[16:17]
	s_or_b32 exec_lo, exec_lo, s4
	s_and_saveexec_b32 s4, s18
	s_cbranch_execz .LBB706_137
.LBB706_222:
	v_add_co_u32 v2, vcc_lo, 0x5800, v0
	v_add_co_ci_u32_e64 v3, null, 0, v1, vcc_lo
	flat_store_dwordx2 v[2:3], v[18:19]
	s_or_b32 exec_lo, exec_lo, s4
	s_and_saveexec_b32 s4, s19
	s_cbranch_execz .LBB706_138
.LBB706_223:
	v_add_co_u32 v2, vcc_lo, 0x6000, v0
	v_add_co_ci_u32_e64 v3, null, 0, v1, vcc_lo
	flat_store_dwordx2 v[2:3], v[11:12]
	s_or_b32 exec_lo, exec_lo, s4
	s_and_saveexec_b32 s4, s20
	s_cbranch_execz .LBB706_139
.LBB706_224:
	v_add_co_u32 v2, vcc_lo, 0x6800, v0
	v_add_co_ci_u32_e64 v3, null, 0, v1, vcc_lo
	flat_store_dwordx2 v[2:3], v[13:14]
	s_or_b32 exec_lo, exec_lo, s4
	s_and_saveexec_b32 s4, s21
	s_cbranch_execz .LBB706_140
.LBB706_225:
	v_add_co_u32 v2, vcc_lo, 0x7000, v0
	v_add_co_ci_u32_e64 v3, null, 0, v1, vcc_lo
	flat_store_dwordx2 v[2:3], v[7:8]
	s_or_b32 exec_lo, exec_lo, s4
	s_and_saveexec_b32 s4, s22
	s_cbranch_execnz .LBB706_141
	s_branch .LBB706_142
.LBB706_226:
	s_or_b32 exec_lo, exec_lo, s25
	v_lshl_add_u32 v1, v16, 3, v12
	s_barrier
	buffer_gl0_inv
	ds_write_b64 v0, v[23:24]
	ds_write_b64 v163, v[25:26]
	;; [unrolled: 1-line block ×8, first 2 shown]
	s_waitcnt lgkmcnt(0)
	s_barrier
	buffer_gl0_inv
	ds_read2st64_b64 v[36:39], v1 offset1:4
	ds_read2st64_b64 v[32:35], v1 offset0:8 offset1:12
	ds_read2st64_b64 v[28:31], v1 offset0:16 offset1:20
	;; [unrolled: 1-line block ×3, first 2 shown]
	s_waitcnt lgkmcnt(0)
	s_barrier
	buffer_gl0_inv
	ds_write_b64 v0, v[7:8]
	ds_write_b64 v163, v[4:5]
	;; [unrolled: 1-line block ×8, first 2 shown]
	s_waitcnt lgkmcnt(0)
	s_barrier
	buffer_gl0_inv
	ds_read2st64_b64 v[20:23], v1 offset1:4
	ds_read2st64_b64 v[16:19], v1 offset0:8 offset1:12
	ds_read2st64_b64 v[11:14], v1 offset0:16 offset1:20
	ds_read2st64_b64 v[7:10], v1 offset0:24 offset1:28
	v_mov_b32_e32 v51, 0
	v_add_co_u32 v2, vcc_lo, v2, v48
	v_add_co_ci_u32_e64 v3, null, v3, v49, vcc_lo
	v_lshlrev_b64 v[0:1], 3, v[50:51]
	s_waitcnt lgkmcnt(0)
	s_barrier
	buffer_gl0_inv
	v_add_co_u32 v2, vcc_lo, v2, v0
	v_add_co_ci_u32_e64 v3, null, v3, v1, vcc_lo
	v_cmp_lt_u32_e32 vcc_lo, v50, v40
	s_and_saveexec_b32 s4, vcc_lo
	s_cbranch_execz .LBB706_228
; %bb.227:
	v_xor_b32_e32 v5, 0x7fffffff, v37
	v_not_b32_e32 v4, v36
	flat_store_dwordx2 v[2:3], v[4:5]
.LBB706_228:
	s_or_b32 exec_lo, exec_lo, s4
	v_add_nc_u32_e32 v4, 0x100, v50
	v_cmp_lt_u32_e64 s4, v4, v40
	s_and_saveexec_b32 s6, s4
	s_cbranch_execz .LBB706_230
; %bb.229:
	v_add_co_u32 v36, s5, 0x800, v2
	v_xor_b32_e32 v5, 0x7fffffff, v39
	v_not_b32_e32 v4, v38
	v_add_co_ci_u32_e64 v37, null, 0, v3, s5
	flat_store_dwordx2 v[36:37], v[4:5]
.LBB706_230:
	s_or_b32 exec_lo, exec_lo, s6
	v_add_nc_u32_e32 v4, 0x200, v50
	v_cmp_lt_u32_e64 s5, v4, v40
	s_and_saveexec_b32 s7, s5
	s_cbranch_execz .LBB706_232
; %bb.231:
	v_not_b32_e32 v4, v32
	v_add_co_u32 v32, s6, 0x1000, v2
	v_xor_b32_e32 v5, 0x7fffffff, v33
	v_add_co_ci_u32_e64 v33, null, 0, v3, s6
	flat_store_dwordx2 v[32:33], v[4:5]
.LBB706_232:
	s_or_b32 exec_lo, exec_lo, s7
	v_add_nc_u32_e32 v4, 0x300, v50
	v_cmp_lt_u32_e64 s6, v4, v40
	s_and_saveexec_b32 s10, s6
	s_cbranch_execz .LBB706_234
; %bb.233:
	v_add_co_u32 v32, s7, 0x1800, v2
	v_xor_b32_e32 v5, 0x7fffffff, v35
	v_not_b32_e32 v4, v34
	v_add_co_ci_u32_e64 v33, null, 0, v3, s7
	flat_store_dwordx2 v[32:33], v[4:5]
.LBB706_234:
	s_or_b32 exec_lo, exec_lo, s10
	v_add_nc_u32_e32 v4, 0x400, v50
	v_cmp_lt_u32_e64 s7, v4, v40
	s_and_saveexec_b32 s11, s7
	s_cbranch_execz .LBB706_236
; %bb.235:
	v_not_b32_e32 v4, v28
	v_add_co_u32 v28, s10, 0x2000, v2
	v_xor_b32_e32 v5, 0x7fffffff, v29
	v_add_co_ci_u32_e64 v29, null, 0, v3, s10
	flat_store_dwordx2 v[28:29], v[4:5]
.LBB706_236:
	;; [unrolled: 24-line block ×3, first 2 shown]
	s_or_b32 exec_lo, exec_lo, s15
	v_add_nc_u32_e32 v4, 0x700, v50
	v_cmp_lt_u32_e64 s14, v4, v40
	s_and_saveexec_b32 s16, s14
	s_cbranch_execz .LBB706_242
; %bb.241:
	v_add_co_u32 v2, s15, 0x3800, v2
	v_xor_b32_e32 v5, 0x7fffffff, v27
	v_not_b32_e32 v4, v26
	v_add_co_ci_u32_e64 v3, null, 0, v3, s15
	flat_store_dwordx2 v[2:3], v[4:5]
.LBB706_242:
	s_or_b32 exec_lo, exec_lo, s16
	v_add_co_u32 v2, s15, v6, v48
	v_add_co_ci_u32_e64 v3, null, v15, v49, s15
	v_add_co_u32 v0, s15, v2, v0
	v_add_co_ci_u32_e64 v1, null, v3, v1, s15
	s_and_saveexec_b32 s15, vcc_lo
	s_cbranch_execnz .LBB706_292
; %bb.243:
	s_or_b32 exec_lo, exec_lo, s15
	s_and_saveexec_b32 s15, s4
	s_cbranch_execnz .LBB706_293
.LBB706_244:
	s_or_b32 exec_lo, exec_lo, s15
	s_and_saveexec_b32 s4, s5
	s_cbranch_execnz .LBB706_294
.LBB706_245:
	s_or_b32 exec_lo, exec_lo, s4
	s_and_saveexec_b32 s4, s6
	s_cbranch_execnz .LBB706_295
.LBB706_246:
	s_or_b32 exec_lo, exec_lo, s4
	s_and_saveexec_b32 s4, s7
	s_cbranch_execnz .LBB706_296
.LBB706_247:
	s_or_b32 exec_lo, exec_lo, s4
	s_and_saveexec_b32 s4, s10
	s_cbranch_execnz .LBB706_297
.LBB706_248:
	s_or_b32 exec_lo, exec_lo, s4
	s_and_saveexec_b32 s4, s11
	s_cbranch_execnz .LBB706_298
.LBB706_249:
	s_or_b32 exec_lo, exec_lo, s4
	s_and_saveexec_b32 s4, s14
	s_cbranch_execz .LBB706_251
.LBB706_250:
	v_add_co_u32 v0, vcc_lo, 0x3800, v0
	v_add_co_ci_u32_e64 v1, null, 0, v1, vcc_lo
	flat_store_dwordx2 v[0:1], v[9:10]
.LBB706_251:
	s_or_b32 exec_lo, exec_lo, s4
                                        ; implicit-def: $vgpr40
                                        ; implicit-def: $vgpr0
                                        ; implicit-def: $vgpr1
                                        ; implicit-def: $vgpr2
                                        ; implicit-def: $vgpr3
                                        ; implicit-def: $vgpr4
                                        ; implicit-def: $vgpr5
                                        ; implicit-def: $vgpr6
                                        ; implicit-def: $vgpr15
                                        ; implicit-def: $vgpr8
                                        ; implicit-def: $vgpr10
                                        ; implicit-def: $vgpr11
                                        ; implicit-def: $vgpr12
                                        ; implicit-def: $vgpr7
                                        ; implicit-def: $vgpr13
                                        ; implicit-def: $vgpr16
                                        ; implicit-def: $vgpr28
.LBB706_252:
	s_andn2_saveexec_b32 s4, s22
	s_cbranch_execz .LBB706_372
; %bb.253:
	s_mov_b32 s4, exec_lo
	v_cmpx_lt_u32_e32 0x200, v40
	s_xor_b32 s22, exec_lo, s4
	s_cbranch_execz .LBB706_313
; %bb.254:
	s_load_dwordx2 s[4:5], s[8:9], 0x0
	v_mov_b32_e32 v9, 0
	v_mov_b32_e32 v84, v10
	;; [unrolled: 1-line block ×3, first 2 shown]
	v_lshlrev_b32_e32 v19, 3, v28
	v_mov_b32_e32 v23, v12
	v_lshlrev_b64 v[24:25], 3, v[8:9]
	s_waitcnt lgkmcnt(0)
	s_cmp_lt_u32 s13, s5
	s_cselect_b32 s5, 14, 20
	s_add_u32 s6, s8, s5
	s_addc_u32 s7, s9, 0
	s_cmp_lt_u32 s12, s4
	global_load_ushort v10, v9, s[6:7]
	s_cselect_b32 s4, 12, 18
	s_add_u32 s4, s8, s4
	s_addc_u32 s5, s9, 0
	global_load_ushort v11, v9, s[4:5]
	s_waitcnt vmcnt(1)
	v_mad_u32_u24 v7, v13, v10, v7
	v_mov_b32_e32 v13, v9
	s_waitcnt vmcnt(0)
	v_mad_u64_u32 v[26:27], null, v7, v11, v[16:17]
	v_mov_b32_e32 v7, v9
	v_mov_b32_e32 v11, v9
	v_lshlrev_b32_e32 v10, 2, v26
	v_and_b32_e32 v8, 0xffffff80, v10
	v_add_co_u32 v10, vcc_lo, v0, v24
	v_add_co_ci_u32_e64 v12, null, v1, v25, vcc_lo
	v_lshlrev_b64 v[0:1], 3, v[8:9]
	v_add_co_u32 v14, vcc_lo, v10, v19
	v_or_b32_e32 v20, v8, v28
	v_bfrev_b32_e32 v8, 1
	v_add_co_ci_u32_e64 v18, null, 0, v12, vcc_lo
	v_add_co_u32 v17, s4, v14, v0
	v_cmp_lt_u32_e32 vcc_lo, v20, v40
	v_mov_b32_e32 v10, v8
	v_mov_b32_e32 v12, v8
	v_add_co_ci_u32_e64 v18, null, v18, v1, s4
	v_mov_b32_e32 v14, v8
	s_and_saveexec_b32 s4, vcc_lo
	s_cbranch_execz .LBB706_256
; %bb.255:
	flat_load_dwordx2 v[29:30], v[17:18]
	v_mov_b32_e32 v31, v9
	v_mov_b32_e32 v32, v8
	;; [unrolled: 1-line block ×6, first 2 shown]
	s_waitcnt vmcnt(0) lgkmcnt(0)
	v_mov_b32_e32 v7, v29
	v_mov_b32_e32 v8, v30
	;; [unrolled: 1-line block ×8, first 2 shown]
.LBB706_256:
	s_or_b32 exec_lo, exec_lo, s4
	v_or_b32_e32 v21, 32, v20
	v_cmp_lt_u32_e64 s4, v21, v40
	s_and_saveexec_b32 s5, s4
	s_cbranch_execz .LBB706_258
; %bb.257:
	flat_load_dwordx2 v[9:10], v[17:18] offset:256
.LBB706_258:
	s_or_b32 exec_lo, exec_lo, s5
	v_or_b32_e32 v21, 64, v20
	v_cmp_lt_u32_e64 s5, v21, v40
	s_and_saveexec_b32 s6, s5
	s_cbranch_execz .LBB706_260
; %bb.259:
	flat_load_dwordx2 v[11:12], v[17:18] offset:512
.LBB706_260:
	;; [unrolled: 8-line block ×3, first 2 shown]
	s_or_b32 exec_lo, exec_lo, s7
	v_add_co_u32 v4, s7, v4, v24
	v_add_co_ci_u32_e64 v5, null, v5, v25, s7
                                        ; implicit-def: $vgpr31_vgpr32
	v_add_co_u32 v4, s7, v4, v19
	v_add_co_ci_u32_e64 v5, null, 0, v5, s7
	v_add_co_u32 v0, s7, v4, v0
	v_add_co_ci_u32_e64 v1, null, v5, v1, s7
	s_and_saveexec_b32 s7, vcc_lo
	s_cbranch_execnz .LBB706_337
; %bb.263:
	s_or_b32 exec_lo, exec_lo, s7
                                        ; implicit-def: $vgpr33_vgpr34
	s_and_saveexec_b32 s7, s4
	s_cbranch_execnz .LBB706_338
.LBB706_264:
	s_or_b32 exec_lo, exec_lo, s7
                                        ; implicit-def: $vgpr19_vgpr20
	s_and_saveexec_b32 s4, s5
	s_cbranch_execnz .LBB706_339
.LBB706_265:
	s_or_b32 exec_lo, exec_lo, s4
                                        ; implicit-def: $vgpr21_vgpr22
	s_and_saveexec_b32 s4, s6
	s_cbranch_execz .LBB706_267
.LBB706_266:
	flat_load_dwordx2 v[21:22], v[0:1] offset:768
.LBB706_267:
	s_or_b32 exec_lo, exec_lo, s4
	v_lshl_add_u32 v0, v16, 5, v23
	v_and_b32_e32 v1, 0x3e0, v16
	v_and_b32_e32 v4, 15, v28
	v_sub_co_u32 v5, s6, v28, 1
	v_add_nc_u32_e32 v39, 32, v0
	v_add_nc_u32_e32 v52, 36, v0
	;; [unrolled: 1-line block ×8, first 2 shown]
	v_min_u32_e32 v0, 0xe0, v1
	s_getpc_b64 s[4:5]
	s_add_u32 s4, s4, _ZN7rocprim17ROCPRIM_400000_NS16block_radix_sortIlLj256ELj4ElLj1ELj1ELj8ELNS0_26block_radix_rank_algorithmE2ELNS0_18block_padding_hintE2ELNS0_4arch9wavefront6targetE0EE19radix_bits_per_passE@rel32@lo+4
	s_addc_u32 s5, s5, _ZN7rocprim17ROCPRIM_400000_NS16block_radix_sortIlLj256ELj4ElLj1ELj1ELj8ELNS0_26block_radix_rank_algorithmE2ELNS0_18block_padding_hintE2ELNS0_4arch9wavefront6targetE0EE19radix_bits_per_passE@rel32@hi+12
	v_cmp_eq_u32_e32 vcc_lo, 0, v4
	s_load_dword s23, s[4:5], 0x0
	v_cmp_lt_u32_e64 s4, 1, v4
	v_or_b32_e32 v0, 31, v0
	v_cmp_lt_u32_e64 s5, 3, v4
	v_and_b32_e32 v1, 16, v28
	v_cmp_lt_u32_e64 s7, 7, v4
	v_cmp_gt_i32_e64 s14, 0, v5
	v_cmp_eq_u32_e64 s11, v16, v0
	v_lshrrev_b32_e32 v0, 3, v16
	v_lshlrev_b32_e32 v4, 2, v16
	v_cmp_eq_u32_e64 s10, 0, v1
	v_cndmask_b32_e64 v1, v5, v28, s14
	v_xor_b32_e32 v48, -1, v7
	v_and_b32_e32 v0, 0x7c, v0
	v_and_or_b32 v5, 0xf80, v4, v28
	v_and_b32_e32 v7, 7, v28
	v_xor_b32_e32 v49, 0x7fffffff, v8
	s_waitcnt vmcnt(0) lgkmcnt(0)
	v_xor_b32_e32 v36, 0x7fffffff, v10
	v_add_nc_u32_e32 v69, v23, v0
	v_lshl_add_u32 v71, v5, 3, v23
	v_xor_b32_e32 v35, -1, v9
	v_xor_b32_e32 v38, 0x7fffffff, v12
	v_xor_b32_e32 v37, -1, v11
	v_xor_b32_e32 v51, 0x7fffffff, v14
	v_xor_b32_e32 v50, -1, v13
	v_lshrrev_b32_e32 v67, 5, v26
	v_cmp_gt_u32_e64 s14, 8, v16
	v_cmp_lt_u32_e64 s15, 31, v16
	v_lshlrev_b32_e32 v68, 2, v1
	v_cmp_eq_u32_e64 s16, 0, v16
	v_mov_b32_e32 v1, 0
	v_add_nc_u32_e32 v70, v23, v4
	v_cmp_eq_u32_e64 s17, 0, v7
	v_cmp_lt_u32_e64 s18, 1, v7
	v_cmp_lt_u32_e64 s19, 3, v7
	v_add_nc_u32_e32 v80, -4, v69
	v_add_nc_u32_e32 v81, 0x100, v71
	v_add_nc_u32_e32 v82, 0x200, v71
	;; [unrolled: 1-line block ×3, first 2 shown]
	v_sub_nc_u32_e32 v86, v85, v84
	s_mov_b32 s25, 0
	s_waitcnt_vscnt null, 0x0
	s_barrier
	buffer_gl0_inv
	s_branch .LBB706_269
.LBB706_268:                            ;   in Loop: Header=BB706_269 Depth=1
	s_or_b32 exec_lo, exec_lo, s21
	s_and_b32 s20, exec_lo, s26
	s_or_b32 s25, s20, s25
	s_andn2_b32 exec_lo, exec_lo, s25
	s_cbranch_execz .LBB706_299
.LBB706_269:                            ; =>This Inner Loop Header: Depth=1
	v_min_u32_e32 v0, s23, v86
	v_mov_b32_e32 v9, v48
	v_mov_b32_e32 v10, v49
	;; [unrolled: 1-line block ×4, first 2 shown]
	v_lshlrev_b32_e64 v0, v0, -1
	v_mov_b32_e32 v17, v35
	v_lshrrev_b64 v[4:5], v84, v[9:10]
	v_mov_b32_e32 v18, v36
	v_mov_b32_e32 v11, v50
	v_not_b32_e32 v48, v0
	v_mov_b32_e32 v13, v37
	v_mov_b32_e32 v12, v51
	;; [unrolled: 1-line block ×3, first 2 shown]
	ds_write_b32 v39, v1
	ds_write_b32 v52, v1
	v_and_b32_e32 v0, v4, v48
	v_mov_b32_e32 v4, v33
	v_mov_b32_e32 v5, v34
	ds_write_b32 v53, v1
	ds_write_b32 v54, v1
	;; [unrolled: 1-line block ×3, first 2 shown]
	v_and_b32_e32 v27, 1, v0
	v_lshlrev_b32_e32 v28, 30, v0
	v_lshlrev_b32_e32 v29, 29, v0
	;; [unrolled: 1-line block ×4, first 2 shown]
	v_add_co_u32 v27, s20, v27, -1
	v_cndmask_b32_e64 v31, 0, 1, s20
	v_not_b32_e32 v35, v28
	v_cmp_gt_i32_e64 s21, 0, v28
	v_not_b32_e32 v28, v29
	v_lshlrev_b32_e32 v33, 26, v0
	v_cmp_ne_u32_e64 s20, 0, v31
	v_ashrrev_i32_e32 v35, 31, v35
	v_lshlrev_b32_e32 v34, 25, v0
	v_ashrrev_i32_e32 v28, 31, v28
	v_lshlrev_b32_e32 v31, 24, v0
	v_xor_b32_e32 v27, s20, v27
	v_cmp_gt_i32_e64 s20, 0, v29
	v_not_b32_e32 v29, v30
	v_xor_b32_e32 v35, s21, v35
	v_cmp_gt_i32_e64 s21, 0, v30
	v_and_b32_e32 v27, exec_lo, v27
	v_not_b32_e32 v30, v32
	v_ashrrev_i32_e32 v29, 31, v29
	v_xor_b32_e32 v28, s20, v28
	v_cmp_gt_i32_e64 s20, 0, v32
	v_and_b32_e32 v27, v27, v35
	v_not_b32_e32 v32, v33
	v_ashrrev_i32_e32 v30, 31, v30
	v_xor_b32_e32 v29, s21, v29
	v_cmp_gt_i32_e64 s21, 0, v33
	v_and_b32_e32 v27, v27, v28
	v_not_b32_e32 v28, v34
	v_ashrrev_i32_e32 v32, 31, v32
	v_xor_b32_e32 v30, s20, v30
	v_cmp_gt_i32_e64 s20, 0, v34
	v_and_b32_e32 v27, v27, v29
	v_not_b32_e32 v29, v31
	v_ashrrev_i32_e32 v33, 31, v28
	v_xor_b32_e32 v32, s21, v32
	v_cmp_gt_i32_e64 s21, 0, v31
	v_and_b32_e32 v30, v27, v30
	v_mov_b32_e32 v28, v20
	v_mov_b32_e32 v27, v19
	v_ashrrev_i32_e32 v19, 31, v29
	v_xor_b32_e32 v20, s20, v33
	v_and_b32_e32 v31, v30, v32
	v_lshl_add_u32 v0, v0, 3, v67
	v_mov_b32_e32 v30, v22
	v_xor_b32_e32 v19, s21, v19
	v_mov_b32_e32 v29, v21
	v_and_b32_e32 v20, v31, v20
	v_lshlrev_b64 v[21:22], 2, v[0:1]
	ds_write_b32 v64, v1
	ds_write_b32 v65, v1
	;; [unrolled: 1-line block ×3, first 2 shown]
	s_waitcnt lgkmcnt(0)
	v_and_b32_e32 v20, v20, v19
	s_barrier
	v_add_co_u32 v19, null, v23, v21
	buffer_gl0_inv
	v_mbcnt_lo_u32_b32 v0, v20, 0
	v_cmp_ne_u32_e64 s21, 0, v20
	v_add_co_u32 v19, null, v19, 32
	v_cmp_eq_u32_e64 s20, 0, v0
	; wave barrier
	s_and_b32 s21, s21, s20
	s_and_saveexec_b32 s20, s21
; %bb.270:                              ;   in Loop: Header=BB706_269 Depth=1
	v_bcnt_u32_b32 v20, v20, 0
	ds_write_b32 v19, v20
; %bb.271:                              ;   in Loop: Header=BB706_269 Depth=1
	s_or_b32 exec_lo, exec_lo, s20
	v_lshrrev_b64 v[20:21], v84, v[17:18]
	; wave barrier
	v_and_b32_e32 v20, v20, v48
	v_and_b32_e32 v21, 1, v20
	v_lshlrev_b32_e32 v22, 30, v20
	v_lshlrev_b32_e32 v31, 29, v20
	;; [unrolled: 1-line block ×4, first 2 shown]
	v_add_co_u32 v21, s20, v21, -1
	v_cndmask_b32_e64 v33, 0, 1, s20
	v_not_b32_e32 v37, v22
	v_cmp_gt_i32_e64 s21, 0, v22
	v_not_b32_e32 v22, v31
	v_lshlrev_b32_e32 v35, 26, v20
	v_cmp_ne_u32_e64 s20, 0, v33
	v_ashrrev_i32_e32 v37, 31, v37
	v_lshlrev_b32_e32 v36, 25, v20
	v_ashrrev_i32_e32 v22, 31, v22
	v_lshlrev_b32_e32 v33, 24, v20
	v_xor_b32_e32 v21, s20, v21
	v_cmp_gt_i32_e64 s20, 0, v31
	v_not_b32_e32 v31, v32
	v_xor_b32_e32 v37, s21, v37
	v_cmp_gt_i32_e64 s21, 0, v32
	v_and_b32_e32 v21, exec_lo, v21
	v_not_b32_e32 v32, v34
	v_ashrrev_i32_e32 v31, 31, v31
	v_xor_b32_e32 v22, s20, v22
	v_cmp_gt_i32_e64 s20, 0, v34
	v_and_b32_e32 v21, v21, v37
	v_not_b32_e32 v34, v35
	v_ashrrev_i32_e32 v32, 31, v32
	v_xor_b32_e32 v31, s21, v31
	v_cmp_gt_i32_e64 s21, 0, v35
	v_and_b32_e32 v21, v21, v22
	;; [unrolled: 5-line block ×3, first 2 shown]
	v_not_b32_e32 v31, v33
	v_ashrrev_i32_e32 v22, 31, v22
	v_xor_b32_e32 v34, s21, v34
	v_lshl_add_u32 v20, v20, 3, v67
	v_and_b32_e32 v21, v21, v32
	v_cmp_gt_i32_e64 s21, 0, v33
	v_ashrrev_i32_e32 v31, 31, v31
	v_xor_b32_e32 v22, s20, v22
	v_lshl_add_u32 v32, v20, 2, v23
	v_and_b32_e32 v21, v21, v34
	v_xor_b32_e32 v31, s21, v31
	ds_read_b32 v20, v32 offset:32
	v_and_b32_e32 v21, v21, v22
	v_add_nc_u32_e32 v22, 32, v32
	; wave barrier
	v_and_b32_e32 v31, v21, v31
	v_mbcnt_lo_u32_b32 v21, v31, 0
	v_cmp_ne_u32_e64 s21, 0, v31
	v_cmp_eq_u32_e64 s20, 0, v21
	s_and_b32 s21, s21, s20
	s_and_saveexec_b32 s20, s21
	s_cbranch_execz .LBB706_273
; %bb.272:                              ;   in Loop: Header=BB706_269 Depth=1
	s_waitcnt lgkmcnt(0)
	v_bcnt_u32_b32 v31, v31, v20
	ds_write_b32 v22, v31
.LBB706_273:                            ;   in Loop: Header=BB706_269 Depth=1
	s_or_b32 exec_lo, exec_lo, s20
	v_lshrrev_b64 v[31:32], v84, v[13:14]
	; wave barrier
	v_and_b32_e32 v31, v31, v48
	v_and_b32_e32 v32, 1, v31
	v_lshlrev_b32_e32 v33, 30, v31
	v_lshlrev_b32_e32 v34, 29, v31
	;; [unrolled: 1-line block ×4, first 2 shown]
	v_add_co_u32 v32, s20, v32, -1
	v_cndmask_b32_e64 v36, 0, 1, s20
	v_not_b32_e32 v50, v33
	v_cmp_gt_i32_e64 s21, 0, v33
	v_not_b32_e32 v33, v34
	v_lshlrev_b32_e32 v38, 26, v31
	v_cmp_ne_u32_e64 s20, 0, v36
	v_ashrrev_i32_e32 v50, 31, v50
	v_lshlrev_b32_e32 v49, 25, v31
	v_ashrrev_i32_e32 v33, 31, v33
	v_lshlrev_b32_e32 v36, 24, v31
	v_xor_b32_e32 v32, s20, v32
	v_cmp_gt_i32_e64 s20, 0, v34
	v_not_b32_e32 v34, v35
	v_xor_b32_e32 v50, s21, v50
	v_cmp_gt_i32_e64 s21, 0, v35
	v_and_b32_e32 v32, exec_lo, v32
	v_not_b32_e32 v35, v37
	v_ashrrev_i32_e32 v34, 31, v34
	v_xor_b32_e32 v33, s20, v33
	v_cmp_gt_i32_e64 s20, 0, v37
	v_and_b32_e32 v32, v32, v50
	v_not_b32_e32 v37, v38
	v_ashrrev_i32_e32 v35, 31, v35
	v_xor_b32_e32 v34, s21, v34
	v_cmp_gt_i32_e64 s21, 0, v38
	v_and_b32_e32 v32, v32, v33
	;; [unrolled: 5-line block ×3, first 2 shown]
	v_not_b32_e32 v34, v36
	v_ashrrev_i32_e32 v33, 31, v33
	v_xor_b32_e32 v37, s21, v37
	v_lshl_add_u32 v31, v31, 3, v67
	v_and_b32_e32 v32, v32, v35
	v_cmp_gt_i32_e64 s21, 0, v36
	v_ashrrev_i32_e32 v34, 31, v34
	v_xor_b32_e32 v33, s20, v33
	v_lshl_add_u32 v35, v31, 2, v23
	v_and_b32_e32 v32, v32, v37
	v_xor_b32_e32 v34, s21, v34
	ds_read_b32 v31, v35 offset:32
	v_and_b32_e32 v32, v32, v33
	v_add_nc_u32_e32 v33, 32, v35
	; wave barrier
	v_and_b32_e32 v34, v32, v34
	v_mbcnt_lo_u32_b32 v32, v34, 0
	v_cmp_ne_u32_e64 s21, 0, v34
	v_cmp_eq_u32_e64 s20, 0, v32
	s_and_b32 s21, s21, s20
	s_and_saveexec_b32 s20, s21
	s_cbranch_execz .LBB706_275
; %bb.274:                              ;   in Loop: Header=BB706_269 Depth=1
	s_waitcnt lgkmcnt(0)
	v_bcnt_u32_b32 v34, v34, v31
	ds_write_b32 v33, v34
.LBB706_275:                            ;   in Loop: Header=BB706_269 Depth=1
	s_or_b32 exec_lo, exec_lo, s20
	v_lshrrev_b64 v[34:35], v84, v[11:12]
	; wave barrier
	v_and_b32_e32 v34, v34, v48
	v_and_b32_e32 v35, 1, v34
	v_lshlrev_b32_e32 v36, 30, v34
	v_lshlrev_b32_e32 v37, 29, v34
	;; [unrolled: 1-line block ×4, first 2 shown]
	v_add_co_u32 v35, s20, v35, -1
	v_cndmask_b32_e64 v48, 0, 1, s20
	v_not_b32_e32 v87, v36
	v_cmp_gt_i32_e64 s21, 0, v36
	v_not_b32_e32 v36, v37
	v_lshlrev_b32_e32 v50, 26, v34
	v_cmp_ne_u32_e64 s20, 0, v48
	v_ashrrev_i32_e32 v87, 31, v87
	v_lshlrev_b32_e32 v51, 25, v34
	v_ashrrev_i32_e32 v36, 31, v36
	v_lshlrev_b32_e32 v48, 24, v34
	v_xor_b32_e32 v35, s20, v35
	v_cmp_gt_i32_e64 s20, 0, v37
	v_not_b32_e32 v37, v38
	v_xor_b32_e32 v87, s21, v87
	v_cmp_gt_i32_e64 s21, 0, v38
	v_and_b32_e32 v35, exec_lo, v35
	v_not_b32_e32 v38, v49
	v_ashrrev_i32_e32 v37, 31, v37
	v_xor_b32_e32 v36, s20, v36
	v_cmp_gt_i32_e64 s20, 0, v49
	v_and_b32_e32 v35, v35, v87
	v_not_b32_e32 v49, v50
	v_ashrrev_i32_e32 v38, 31, v38
	v_xor_b32_e32 v37, s21, v37
	v_cmp_gt_i32_e64 s21, 0, v50
	v_and_b32_e32 v35, v35, v36
	;; [unrolled: 5-line block ×3, first 2 shown]
	v_not_b32_e32 v37, v48
	v_ashrrev_i32_e32 v36, 31, v36
	v_xor_b32_e32 v49, s21, v49
	v_lshl_add_u32 v34, v34, 3, v67
	v_and_b32_e32 v35, v35, v38
	v_cmp_gt_i32_e64 s21, 0, v48
	v_ashrrev_i32_e32 v37, 31, v37
	v_xor_b32_e32 v36, s20, v36
	v_lshl_add_u32 v38, v34, 2, v23
	v_and_b32_e32 v35, v35, v49
	v_xor_b32_e32 v37, s21, v37
	ds_read_b32 v34, v38 offset:32
	v_and_b32_e32 v35, v35, v36
	v_add_nc_u32_e32 v36, 32, v38
	; wave barrier
	v_and_b32_e32 v37, v35, v37
	v_mbcnt_lo_u32_b32 v35, v37, 0
	v_cmp_ne_u32_e64 s21, 0, v37
	v_cmp_eq_u32_e64 s20, 0, v35
	s_and_b32 s21, s21, s20
	s_and_saveexec_b32 s20, s21
	s_cbranch_execz .LBB706_277
; %bb.276:                              ;   in Loop: Header=BB706_269 Depth=1
	s_waitcnt lgkmcnt(0)
	v_bcnt_u32_b32 v37, v37, v34
	ds_write_b32 v36, v37
.LBB706_277:                            ;   in Loop: Header=BB706_269 Depth=1
	s_or_b32 exec_lo, exec_lo, s20
	; wave barrier
	s_waitcnt lgkmcnt(0)
	s_barrier
	buffer_gl0_inv
	ds_read_b32 v38, v39
	ds_read_b32 v48, v52
	;; [unrolled: 1-line block ×8, first 2 shown]
	s_waitcnt lgkmcnt(6)
	v_add_nc_u32_e32 v97, v48, v38
	s_waitcnt lgkmcnt(4)
	v_add3_u32 v97, v97, v49, v50
	s_waitcnt lgkmcnt(2)
	v_add3_u32 v97, v97, v51, v87
	;; [unrolled: 2-line block ×3, first 2 shown]
	v_mov_b32_dpp v97, v96 row_shr:1 row_mask:0xf bank_mask:0xf
	v_cndmask_b32_e64 v97, v97, 0, vcc_lo
	v_add_nc_u32_e32 v96, v97, v96
	v_mov_b32_dpp v97, v96 row_shr:2 row_mask:0xf bank_mask:0xf
	v_cndmask_b32_e64 v97, 0, v97, s4
	v_add_nc_u32_e32 v96, v96, v97
	v_mov_b32_dpp v97, v96 row_shr:4 row_mask:0xf bank_mask:0xf
	v_cndmask_b32_e64 v97, 0, v97, s5
	;; [unrolled: 3-line block ×3, first 2 shown]
	v_add_nc_u32_e32 v96, v96, v97
	ds_swizzle_b32 v97, v96 offset:swizzle(BROADCAST,32,15)
	s_waitcnt lgkmcnt(0)
	v_cndmask_b32_e64 v97, v97, 0, s10
	v_add_nc_u32_e32 v96, v96, v97
	s_and_saveexec_b32 s20, s11
; %bb.278:                              ;   in Loop: Header=BB706_269 Depth=1
	ds_write_b32 v69, v96
; %bb.279:                              ;   in Loop: Header=BB706_269 Depth=1
	s_or_b32 exec_lo, exec_lo, s20
	s_waitcnt lgkmcnt(0)
	s_barrier
	buffer_gl0_inv
	s_and_saveexec_b32 s20, s14
	s_cbranch_execz .LBB706_281
; %bb.280:                              ;   in Loop: Header=BB706_269 Depth=1
	ds_read_b32 v97, v70
	s_waitcnt lgkmcnt(0)
	v_mov_b32_dpp v98, v97 row_shr:1 row_mask:0xf bank_mask:0xf
	v_cndmask_b32_e64 v98, v98, 0, s17
	v_add_nc_u32_e32 v97, v98, v97
	v_mov_b32_dpp v98, v97 row_shr:2 row_mask:0xf bank_mask:0xf
	v_cndmask_b32_e64 v98, 0, v98, s18
	v_add_nc_u32_e32 v97, v97, v98
	v_mov_b32_dpp v98, v97 row_shr:4 row_mask:0xf bank_mask:0xf
	v_cndmask_b32_e64 v98, 0, v98, s19
	v_add_nc_u32_e32 v97, v97, v98
	ds_write_b32 v70, v97
.LBB706_281:                            ;   in Loop: Header=BB706_269 Depth=1
	s_or_b32 exec_lo, exec_lo, s20
	v_mov_b32_e32 v97, 0
	s_waitcnt lgkmcnt(0)
	s_barrier
	buffer_gl0_inv
	s_and_saveexec_b32 s20, s15
; %bb.282:                              ;   in Loop: Header=BB706_269 Depth=1
	ds_read_b32 v97, v80
; %bb.283:                              ;   in Loop: Header=BB706_269 Depth=1
	s_or_b32 exec_lo, exec_lo, s20
	s_waitcnt lgkmcnt(0)
	v_add_nc_u32_e32 v96, v97, v96
	v_add_nc_u32_e32 v84, 8, v84
	s_mov_b32 s26, -1
	s_mov_b32 s21, exec_lo
	ds_bpermute_b32 v96, v68, v96
	s_waitcnt lgkmcnt(0)
	v_cndmask_b32_e64 v96, v96, v97, s6
	v_cndmask_b32_e64 v96, v96, 0, s16
	v_add_nc_u32_e32 v38, v96, v38
	v_add_nc_u32_e32 v48, v38, v48
	ds_write_b32 v39, v96
	ds_write_b32 v52, v38
	;; [unrolled: 1-line block ×3, first 2 shown]
	v_add_nc_u32_e32 v49, v48, v49
	v_add_nc_u32_e32 v50, v49, v50
	;; [unrolled: 1-line block ×5, first 2 shown]
	ds_write_b32 v54, v49
	ds_write_b32 v55, v50
	;; [unrolled: 1-line block ×5, first 2 shown]
	s_waitcnt lgkmcnt(0)
	s_barrier
	buffer_gl0_inv
	ds_read_b32 v19, v19
	ds_read_b32 v37, v22
	;; [unrolled: 1-line block ×4, first 2 shown]
	v_mov_b32_e32 v22, v1
	v_mov_b32_e32 v33, v1
	v_mov_b32_e32 v36, v1
	s_waitcnt lgkmcnt(0)
                                        ; implicit-def: $vgpr50_vgpr51
	v_add_nc_u32_e32 v0, v19, v0
	v_add3_u32 v21, v21, v20, v37
	v_add3_u32 v32, v32, v31, v38
	;; [unrolled: 1-line block ×3, first 2 shown]
                                        ; implicit-def: $vgpr37_vgpr38
                                        ; implicit-def: $vgpr48_vgpr49
	v_lshlrev_b64 v[19:20], 3, v[0:1]
	v_lshlrev_b64 v[20:21], 3, v[21:22]
	;; [unrolled: 1-line block ×4, first 2 shown]
                                        ; implicit-def: $vgpr35_vgpr36
                                        ; implicit-def: $vgpr33_vgpr34
	v_add_co_u32 v0, null, v23, v19
	v_add_co_u32 v87, null, v23, v20
	;; [unrolled: 1-line block ×4, first 2 shown]
                                        ; implicit-def: $vgpr31_vgpr32
                                        ; implicit-def: $vgpr19_vgpr20
                                        ; implicit-def: $vgpr21_vgpr22
	v_cmpx_lt_u32_e64 v84, v85
	s_cbranch_execz .LBB706_268
; %bb.284:                              ;   in Loop: Header=BB706_269 Depth=1
	s_barrier
	buffer_gl0_inv
	ds_write_b64 v0, v[9:10]
	ds_write_b64 v87, v[17:18]
	;; [unrolled: 1-line block ×4, first 2 shown]
	s_waitcnt lgkmcnt(0)
	s_barrier
	buffer_gl0_inv
	ds_read_b64 v[48:49], v71
	ds_read_b64 v[35:36], v81
	;; [unrolled: 1-line block ×4, first 2 shown]
	s_waitcnt lgkmcnt(0)
	s_barrier
	buffer_gl0_inv
	ds_write_b64 v0, v[7:8]
	ds_write_b64 v87, v[4:5]
	;; [unrolled: 1-line block ×4, first 2 shown]
	s_waitcnt lgkmcnt(0)
	s_barrier
	buffer_gl0_inv
	ds_read_b64 v[31:32], v71
	ds_read_b64 v[33:34], v81
	;; [unrolled: 1-line block ×4, first 2 shown]
	v_add_nc_u32_e32 v86, -8, v86
	s_xor_b32 s26, exec_lo, -1
	s_waitcnt lgkmcnt(0)
	s_barrier
	buffer_gl0_inv
	s_branch .LBB706_268
.LBB706_285:
	flat_load_dwordx2 v[96:97], v[0:1]
	s_or_b32 exec_lo, exec_lo, s15
                                        ; implicit-def: $vgpr100_vgpr101
	s_and_saveexec_b32 s15, s4
	s_cbranch_execz .LBB706_163
.LBB706_286:
	flat_load_dwordx2 v[100:101], v[0:1] offset:256
	s_or_b32 exec_lo, exec_lo, s15
                                        ; implicit-def: $vgpr98_vgpr99
	s_and_saveexec_b32 s4, s5
	s_cbranch_execz .LBB706_164
.LBB706_287:
	flat_load_dwordx2 v[98:99], v[0:1] offset:512
	s_or_b32 exec_lo, exec_lo, s4
                                        ; implicit-def: $vgpr102_vgpr103
	s_and_saveexec_b32 s4, s6
	s_cbranch_execz .LBB706_165
.LBB706_288:
	flat_load_dwordx2 v[102:103], v[0:1] offset:768
	s_or_b32 exec_lo, exec_lo, s4
                                        ; implicit-def: $vgpr112_vgpr113
	s_and_saveexec_b32 s4, s7
	s_cbranch_execz .LBB706_166
.LBB706_289:
	flat_load_dwordx2 v[112:113], v[0:1] offset:1024
	s_or_b32 exec_lo, exec_lo, s4
                                        ; implicit-def: $vgpr114_vgpr115
	s_and_saveexec_b32 s4, s10
	s_cbranch_execz .LBB706_167
.LBB706_290:
	flat_load_dwordx2 v[114:115], v[0:1] offset:1280
	s_or_b32 exec_lo, exec_lo, s4
                                        ; implicit-def: $vgpr116_vgpr117
	s_and_saveexec_b32 s4, s11
	s_cbranch_execz .LBB706_168
.LBB706_291:
	flat_load_dwordx2 v[116:117], v[0:1] offset:1536
	s_or_b32 exec_lo, exec_lo, s4
                                        ; implicit-def: $vgpr118_vgpr119
	s_and_saveexec_b32 s4, s14
	s_cbranch_execnz .LBB706_169
	s_branch .LBB706_170
.LBB706_292:
	flat_store_dwordx2 v[0:1], v[20:21]
	s_or_b32 exec_lo, exec_lo, s15
	s_and_saveexec_b32 s15, s4
	s_cbranch_execz .LBB706_244
.LBB706_293:
	v_add_co_u32 v2, vcc_lo, 0x800, v0
	v_add_co_ci_u32_e64 v3, null, 0, v1, vcc_lo
	flat_store_dwordx2 v[2:3], v[22:23]
	s_or_b32 exec_lo, exec_lo, s15
	s_and_saveexec_b32 s4, s5
	s_cbranch_execz .LBB706_245
.LBB706_294:
	v_add_co_u32 v2, vcc_lo, 0x1000, v0
	v_add_co_ci_u32_e64 v3, null, 0, v1, vcc_lo
	flat_store_dwordx2 v[2:3], v[16:17]
	s_or_b32 exec_lo, exec_lo, s4
	s_and_saveexec_b32 s4, s6
	s_cbranch_execz .LBB706_246
.LBB706_295:
	v_add_co_u32 v2, vcc_lo, 0x1800, v0
	v_add_co_ci_u32_e64 v3, null, 0, v1, vcc_lo
	flat_store_dwordx2 v[2:3], v[18:19]
	s_or_b32 exec_lo, exec_lo, s4
	s_and_saveexec_b32 s4, s7
	s_cbranch_execz .LBB706_247
.LBB706_296:
	v_add_co_u32 v2, vcc_lo, 0x2000, v0
	v_add_co_ci_u32_e64 v3, null, 0, v1, vcc_lo
	flat_store_dwordx2 v[2:3], v[11:12]
	s_or_b32 exec_lo, exec_lo, s4
	s_and_saveexec_b32 s4, s10
	s_cbranch_execz .LBB706_248
.LBB706_297:
	v_add_co_u32 v2, vcc_lo, 0x2800, v0
	v_add_co_ci_u32_e64 v3, null, 0, v1, vcc_lo
	flat_store_dwordx2 v[2:3], v[13:14]
	s_or_b32 exec_lo, exec_lo, s4
	s_and_saveexec_b32 s4, s11
	s_cbranch_execz .LBB706_249
.LBB706_298:
	v_add_co_u32 v2, vcc_lo, 0x3000, v0
	v_add_co_ci_u32_e64 v3, null, 0, v1, vcc_lo
	flat_store_dwordx2 v[2:3], v[7:8]
	s_or_b32 exec_lo, exec_lo, s4
	s_and_saveexec_b32 s4, s14
	s_cbranch_execnz .LBB706_250
	s_branch .LBB706_251
.LBB706_299:
	s_or_b32 exec_lo, exec_lo, s25
	v_lshl_add_u32 v1, v16, 3, v23
	s_barrier
	buffer_gl0_inv
	ds_write_b64 v0, v[9:10]
	ds_write_b64 v87, v[17:18]
	;; [unrolled: 1-line block ×4, first 2 shown]
	s_waitcnt lgkmcnt(0)
	s_barrier
	buffer_gl0_inv
	ds_read2st64_b64 v[20:23], v1 offset1:4
	ds_read2st64_b64 v[16:19], v1 offset0:8 offset1:12
	s_waitcnt lgkmcnt(0)
	s_barrier
	buffer_gl0_inv
	ds_write_b64 v0, v[7:8]
	ds_write_b64 v87, v[4:5]
	;; [unrolled: 1-line block ×4, first 2 shown]
	s_waitcnt lgkmcnt(0)
	s_barrier
	buffer_gl0_inv
	ds_read2st64_b64 v[11:14], v1 offset1:4
	ds_read2st64_b64 v[7:10], v1 offset0:8 offset1:12
	v_mov_b32_e32 v27, 0
	v_add_co_u32 v2, vcc_lo, v2, v24
	v_add_co_ci_u32_e64 v3, null, v3, v25, vcc_lo
	v_lshlrev_b64 v[0:1], 3, v[26:27]
	s_waitcnt lgkmcnt(0)
	s_barrier
	buffer_gl0_inv
	v_add_co_u32 v2, vcc_lo, v2, v0
	v_add_co_ci_u32_e64 v3, null, v3, v1, vcc_lo
	v_cmp_lt_u32_e32 vcc_lo, v26, v40
	s_and_saveexec_b32 s4, vcc_lo
	s_cbranch_execz .LBB706_301
; %bb.300:
	v_xor_b32_e32 v5, 0x7fffffff, v21
	v_not_b32_e32 v4, v20
	flat_store_dwordx2 v[2:3], v[4:5]
.LBB706_301:
	s_or_b32 exec_lo, exec_lo, s4
	v_add_nc_u32_e32 v4, 0x100, v26
	v_cmp_lt_u32_e64 s4, v4, v40
	s_and_saveexec_b32 s6, s4
	s_cbranch_execz .LBB706_303
; %bb.302:
	v_add_co_u32 v20, s5, 0x800, v2
	v_xor_b32_e32 v5, 0x7fffffff, v23
	v_not_b32_e32 v4, v22
	v_add_co_ci_u32_e64 v21, null, 0, v3, s5
	flat_store_dwordx2 v[20:21], v[4:5]
.LBB706_303:
	s_or_b32 exec_lo, exec_lo, s6
	v_add_nc_u32_e32 v4, 0x200, v26
	v_cmp_lt_u32_e64 s5, v4, v40
	s_and_saveexec_b32 s7, s5
	s_cbranch_execz .LBB706_305
; %bb.304:
	v_not_b32_e32 v4, v16
	v_add_co_u32 v16, s6, 0x1000, v2
	v_xor_b32_e32 v5, 0x7fffffff, v17
	v_add_co_ci_u32_e64 v17, null, 0, v3, s6
	flat_store_dwordx2 v[16:17], v[4:5]
.LBB706_305:
	s_or_b32 exec_lo, exec_lo, s7
	v_add_nc_u32_e32 v4, 0x300, v26
	v_cmp_lt_u32_e64 s6, v4, v40
	s_and_saveexec_b32 s10, s6
	s_cbranch_execz .LBB706_307
; %bb.306:
	v_add_co_u32 v2, s7, 0x1800, v2
	v_xor_b32_e32 v5, 0x7fffffff, v19
	v_not_b32_e32 v4, v18
	v_add_co_ci_u32_e64 v3, null, 0, v3, s7
	flat_store_dwordx2 v[2:3], v[4:5]
.LBB706_307:
	s_or_b32 exec_lo, exec_lo, s10
	v_add_co_u32 v2, s7, v6, v24
	v_add_co_ci_u32_e64 v3, null, v15, v25, s7
	v_add_co_u32 v0, s7, v2, v0
	v_add_co_ci_u32_e64 v1, null, v3, v1, s7
	s_and_saveexec_b32 s7, vcc_lo
	s_cbranch_execnz .LBB706_340
; %bb.308:
	s_or_b32 exec_lo, exec_lo, s7
	s_and_saveexec_b32 s7, s4
	s_cbranch_execnz .LBB706_341
.LBB706_309:
	s_or_b32 exec_lo, exec_lo, s7
	s_and_saveexec_b32 s4, s5
	s_cbranch_execnz .LBB706_342
.LBB706_310:
	s_or_b32 exec_lo, exec_lo, s4
	s_and_saveexec_b32 s4, s6
	s_cbranch_execz .LBB706_312
.LBB706_311:
	v_add_co_u32 v0, vcc_lo, 0x1800, v0
	v_add_co_ci_u32_e64 v1, null, 0, v1, vcc_lo
	flat_store_dwordx2 v[0:1], v[9:10]
.LBB706_312:
	s_or_b32 exec_lo, exec_lo, s4
                                        ; implicit-def: $vgpr40
                                        ; implicit-def: $vgpr0
                                        ; implicit-def: $vgpr1
                                        ; implicit-def: $vgpr2
                                        ; implicit-def: $vgpr3
                                        ; implicit-def: $vgpr4
                                        ; implicit-def: $vgpr5
                                        ; implicit-def: $vgpr6
                                        ; implicit-def: $vgpr15
                                        ; implicit-def: $vgpr8
                                        ; implicit-def: $vgpr10
                                        ; implicit-def: $vgpr11
                                        ; implicit-def: $vgpr12
                                        ; implicit-def: $vgpr7
                                        ; implicit-def: $vgpr13
                                        ; implicit-def: $vgpr16
                                        ; implicit-def: $vgpr28
.LBB706_313:
	s_andn2_saveexec_b32 s4, s22
	s_cbranch_execz .LBB706_372
; %bb.314:
	s_load_dwordx2 s[4:5], s[8:9], 0x0
	v_mov_b32_e32 v9, 0
	s_waitcnt lgkmcnt(0)
	s_cmp_lt_u32 s13, s5
	s_cselect_b32 s5, 14, 20
	s_add_u32 s6, s8, s5
	s_addc_u32 s7, s9, 0
	s_cmp_lt_u32 s12, s4
	global_load_ushort v14, v9, s[6:7]
	s_cselect_b32 s4, 12, 18
	s_add_u32 s4, s8, s4
	s_addc_u32 s5, s9, 0
	global_load_ushort v17, v9, s[4:5]
	s_mov_b32 s4, exec_lo
	s_waitcnt vmcnt(1)
	v_mad_u32_u24 v7, v13, v14, v7
	s_waitcnt vmcnt(0)
	v_mad_u64_u32 v[19:20], null, v7, v17, v[16:17]
	v_lshlrev_b64 v[17:18], 3, v[8:9]
	v_cmpx_lt_u32_e32 0x100, v40
	s_xor_b32 s18, exec_lo, s4
	s_cbranch_execz .LBB706_352
; %bb.315:
	v_lshlrev_b32_e32 v7, 1, v19
	v_lshlrev_b32_e32 v20, 3, v28
	v_mov_b32_e32 v51, v10
	v_and_b32_e32 v8, 0xffffffc0, v7
	v_add_co_u32 v7, vcc_lo, v0, v17
	v_add_co_ci_u32_e64 v10, null, v1, v18, vcc_lo
	v_lshlrev_b64 v[0:1], 3, v[8:9]
	v_add_co_u32 v7, vcc_lo, v7, v20
	v_add_co_ci_u32_e64 v10, null, 0, v10, vcc_lo
	v_or_b32_e32 v21, v28, v8
	v_bfrev_b32_e32 v8, 1
	v_add_co_u32 v13, vcc_lo, v7, v0
	v_add_co_ci_u32_e64 v14, null, v10, v1, vcc_lo
	v_cmp_lt_u32_e32 vcc_lo, v21, v40
	v_mov_b32_e32 v7, v9
	v_mov_b32_e32 v10, v8
	s_and_saveexec_b32 s4, vcc_lo
	s_cbranch_execz .LBB706_317
; %bb.316:
	flat_load_dwordx2 v[22:23], v[13:14]
	v_mov_b32_e32 v24, 0
	v_mov_b32_e32 v25, v8
	s_waitcnt vmcnt(0) lgkmcnt(0)
	v_mov_b32_e32 v7, v22
	v_mov_b32_e32 v8, v23
	;; [unrolled: 1-line block ×4, first 2 shown]
.LBB706_317:
	s_or_b32 exec_lo, exec_lo, s4
	v_or_b32_e32 v21, 32, v21
	v_cmp_lt_u32_e64 s4, v21, v40
	s_and_saveexec_b32 s5, s4
	s_cbranch_execz .LBB706_319
; %bb.318:
	flat_load_dwordx2 v[9:10], v[13:14] offset:256
.LBB706_319:
	s_or_b32 exec_lo, exec_lo, s5
	v_add_co_u32 v4, s5, v4, v17
	v_add_co_ci_u32_e64 v5, null, v5, v18, s5
	v_mov_b32_e32 v22, 0
	v_add_co_u32 v4, s5, v4, v20
	v_add_co_ci_u32_e64 v5, null, 0, v5, s5
	v_mov_b32_e32 v13, 0
	v_add_co_u32 v0, s5, v4, v0
	v_mov_b32_e32 v23, 0
	v_mov_b32_e32 v14, 0
	v_add_co_ci_u32_e64 v1, null, v5, v1, s5
	s_and_saveexec_b32 s5, vcc_lo
	s_cbranch_execz .LBB706_321
; %bb.320:
	flat_load_dwordx2 v[13:14], v[0:1]
.LBB706_321:
	s_or_b32 exec_lo, exec_lo, s5
	s_and_saveexec_b32 s5, s4
	s_cbranch_execz .LBB706_323
; %bb.322:
	flat_load_dwordx2 v[22:23], v[0:1] offset:256
.LBB706_323:
	s_or_b32 exec_lo, exec_lo, s5
	v_lshl_add_u32 v0, v16, 5, v12
	v_and_b32_e32 v1, 0x3e0, v16
	v_and_b32_e32 v4, 15, v28
	s_getpc_b64 s[4:5]
	s_add_u32 s4, s4, _ZN7rocprim17ROCPRIM_400000_NS16block_radix_sortIlLj256ELj2ElLj1ELj1ELj8ELNS0_26block_radix_rank_algorithmE2ELNS0_18block_padding_hintE2ELNS0_4arch9wavefront6targetE0EE19radix_bits_per_passE@rel32@lo+4
	s_addc_u32 s5, s5, _ZN7rocprim17ROCPRIM_400000_NS16block_radix_sortIlLj256ELj2ElLj1ELj1ELj8ELNS0_26block_radix_rank_algorithmE2ELNS0_18block_padding_hintE2ELNS0_4arch9wavefront6targetE0EE19radix_bits_per_passE@rel32@hi+12
	v_sub_co_u32 v5, s6, v28, 1
	v_add_nc_u32_e32 v29, 32, v0
	v_add_nc_u32_e32 v30, 36, v0
	;; [unrolled: 1-line block ×8, first 2 shown]
	v_min_u32_e32 v0, 0xe0, v1
	s_load_dword s19, s[4:5], 0x0
	v_cmp_eq_u32_e32 vcc_lo, 0, v4
	v_cmp_lt_u32_e64 s4, 1, v4
	v_cmp_lt_u32_e64 s5, 3, v4
	v_or_b32_e32 v0, 31, v0
	v_cmp_lt_u32_e64 s7, 7, v4
	v_lshlrev_b32_e32 v4, 1, v16
	v_and_b32_e32 v1, 16, v28
	v_cmp_gt_i32_e64 s10, 0, v5
	v_cmp_eq_u32_e64 s9, v16, v0
	v_lshrrev_b32_e32 v0, 3, v16
	v_and_or_b32 v4, 0x7c0, v4, v28
	v_cmp_eq_u32_e64 s8, 0, v1
	v_cndmask_b32_e64 v1, v5, v28, s10
	v_and_b32_e32 v5, 7, v28
	v_and_b32_e32 v0, 0x7c, v0
	v_lshl_add_u32 v48, v4, 3, v12
	v_xor_b32_e32 v27, 0x7fffffff, v8
	v_xor_b32_e32 v26, -1, v7
	s_waitcnt vmcnt(0) lgkmcnt(0)
	v_xor_b32_e32 v25, 0x7fffffff, v10
	v_add_nc_u32_e32 v28, v12, v0
	v_xor_b32_e32 v24, -1, v9
	v_lshrrev_b32_e32 v37, 5, v19
	v_cmp_gt_u32_e64 s10, 8, v16
	v_cmp_lt_u32_e64 s11, 31, v16
	v_lshlrev_b32_e32 v38, 2, v1
	v_cmp_eq_u32_e64 s12, 0, v16
	v_mov_b32_e32 v1, 0
	v_lshl_add_u32 v39, v16, 2, v12
	v_cmp_eq_u32_e64 s13, 0, v5
	v_cmp_lt_u32_e64 s14, 1, v5
	v_cmp_lt_u32_e64 s15, 3, v5
	v_add_nc_u32_e32 v49, -4, v28
	v_add_nc_u32_e32 v50, 0x100, v48
	v_sub_nc_u32_e32 v52, v11, v51
	s_mov_b32 s20, 0
	s_waitcnt_vscnt null, 0x0
	s_barrier
	buffer_gl0_inv
	s_branch .LBB706_325
.LBB706_324:                            ;   in Loop: Header=BB706_325 Depth=1
	s_or_b32 exec_lo, exec_lo, s17
	s_and_b32 s16, exec_lo, s21
	s_or_b32 s20, s16, s20
	s_andn2_b32 exec_lo, exec_lo, s20
	s_cbranch_execz .LBB706_343
.LBB706_325:                            ; =>This Inner Loop Header: Depth=1
	v_min_u32_e32 v0, s19, v52
	v_mov_b32_e32 v4, v26
	v_mov_b32_e32 v5, v27
	ds_write_b32 v29, v1
	ds_write_b32 v30, v1
	;; [unrolled: 1-line block ×3, first 2 shown]
	v_lshlrev_b32_e64 v0, v0, -1
	ds_write_b32 v32, v1
	ds_write_b32 v33, v1
	v_lshrrev_b64 v[7:8], v51, v[4:5]
	ds_write_b32 v34, v1
	ds_write_b32 v35, v1
	;; [unrolled: 1-line block ×3, first 2 shown]
	v_not_b32_e32 v26, v0
	s_waitcnt lgkmcnt(0)
	s_barrier
	buffer_gl0_inv
	v_and_b32_e32 v0, v7, v26
	v_mov_b32_e32 v7, v24
	v_mov_b32_e32 v8, v25
	; wave barrier
	v_and_b32_e32 v9, 1, v0
	v_lshlrev_b32_e32 v10, 30, v0
	v_lshlrev_b32_e32 v20, 29, v0
	;; [unrolled: 1-line block ×4, first 2 shown]
	v_add_co_u32 v9, s16, v9, -1
	v_cndmask_b32_e64 v24, 0, 1, s16
	v_not_b32_e32 v54, v10
	v_cmp_gt_i32_e64 s17, 0, v10
	v_not_b32_e32 v10, v20
	v_lshlrev_b32_e32 v27, 26, v0
	v_cmp_ne_u32_e64 s16, 0, v24
	v_ashrrev_i32_e32 v54, 31, v54
	v_lshlrev_b32_e32 v53, 25, v0
	v_ashrrev_i32_e32 v10, 31, v10
	v_lshlrev_b32_e32 v24, 24, v0
	v_xor_b32_e32 v9, s16, v9
	v_cmp_gt_i32_e64 s16, 0, v20
	v_not_b32_e32 v20, v21
	v_xor_b32_e32 v54, s17, v54
	v_cmp_gt_i32_e64 s17, 0, v21
	v_and_b32_e32 v9, exec_lo, v9
	v_not_b32_e32 v21, v25
	v_ashrrev_i32_e32 v20, 31, v20
	v_xor_b32_e32 v10, s16, v10
	v_cmp_gt_i32_e64 s16, 0, v25
	v_and_b32_e32 v9, v9, v54
	v_not_b32_e32 v25, v27
	v_ashrrev_i32_e32 v21, 31, v21
	v_xor_b32_e32 v20, s17, v20
	v_cmp_gt_i32_e64 s17, 0, v27
	v_and_b32_e32 v9, v9, v10
	;; [unrolled: 5-line block ×4, first 2 shown]
	v_mov_b32_e32 v9, v22
	v_mov_b32_e32 v10, v23
	v_ashrrev_i32_e32 v22, 31, v20
	v_xor_b32_e32 v23, s16, v27
	v_and_b32_e32 v24, v21, v25
	v_mov_b32_e32 v21, v14
	v_mov_b32_e32 v20, v13
	v_xor_b32_e32 v13, s17, v22
	v_lshl_add_u32 v0, v0, 3, v37
	v_and_b32_e32 v14, v24, v23
	v_lshlrev_b64 v[22:23], 2, v[0:1]
	v_and_b32_e32 v14, v14, v13
	v_add_co_u32 v13, null, v12, v22
	v_mbcnt_lo_u32_b32 v0, v14, 0
	v_cmp_ne_u32_e64 s17, 0, v14
	v_add_co_u32 v13, null, v13, 32
	v_cmp_eq_u32_e64 s16, 0, v0
	s_and_b32 s17, s17, s16
	s_and_saveexec_b32 s16, s17
; %bb.326:                              ;   in Loop: Header=BB706_325 Depth=1
	v_bcnt_u32_b32 v14, v14, 0
	ds_write_b32 v13, v14
; %bb.327:                              ;   in Loop: Header=BB706_325 Depth=1
	s_or_b32 exec_lo, exec_lo, s16
	v_lshrrev_b64 v[22:23], v51, v[7:8]
	; wave barrier
	v_and_b32_e32 v14, v22, v26
	v_and_b32_e32 v22, 1, v14
	v_lshlrev_b32_e32 v23, 30, v14
	v_lshlrev_b32_e32 v24, 29, v14
	;; [unrolled: 1-line block ×4, first 2 shown]
	v_add_co_u32 v22, s16, v22, -1
	v_cndmask_b32_e64 v26, 0, 1, s16
	v_not_b32_e32 v55, v23
	v_cmp_gt_i32_e64 s17, 0, v23
	v_not_b32_e32 v23, v24
	v_lshlrev_b32_e32 v53, 26, v14
	v_cmp_ne_u32_e64 s16, 0, v26
	v_ashrrev_i32_e32 v55, 31, v55
	v_lshlrev_b32_e32 v54, 25, v14
	v_ashrrev_i32_e32 v23, 31, v23
	v_lshlrev_b32_e32 v26, 24, v14
	v_xor_b32_e32 v22, s16, v22
	v_cmp_gt_i32_e64 s16, 0, v24
	v_not_b32_e32 v24, v25
	v_xor_b32_e32 v55, s17, v55
	v_cmp_gt_i32_e64 s17, 0, v25
	v_and_b32_e32 v22, exec_lo, v22
	v_not_b32_e32 v25, v27
	v_ashrrev_i32_e32 v24, 31, v24
	v_xor_b32_e32 v23, s16, v23
	v_cmp_gt_i32_e64 s16, 0, v27
	v_and_b32_e32 v22, v22, v55
	v_not_b32_e32 v27, v53
	v_ashrrev_i32_e32 v25, 31, v25
	v_xor_b32_e32 v24, s17, v24
	v_cmp_gt_i32_e64 s17, 0, v53
	v_and_b32_e32 v22, v22, v23
	;; [unrolled: 5-line block ×3, first 2 shown]
	v_not_b32_e32 v24, v26
	v_ashrrev_i32_e32 v23, 31, v23
	v_xor_b32_e32 v27, s17, v27
	v_lshl_add_u32 v14, v14, 3, v37
	v_and_b32_e32 v22, v22, v25
	v_cmp_gt_i32_e64 s17, 0, v26
	v_ashrrev_i32_e32 v24, 31, v24
	v_xor_b32_e32 v23, s16, v23
	v_lshl_add_u32 v25, v14, 2, v12
	v_and_b32_e32 v22, v22, v27
	v_xor_b32_e32 v24, s17, v24
	ds_read_b32 v14, v25 offset:32
	v_and_b32_e32 v22, v22, v23
	v_add_nc_u32_e32 v23, 32, v25
	; wave barrier
	v_and_b32_e32 v24, v22, v24
	v_mbcnt_lo_u32_b32 v22, v24, 0
	v_cmp_ne_u32_e64 s17, 0, v24
	v_cmp_eq_u32_e64 s16, 0, v22
	s_and_b32 s17, s17, s16
	s_and_saveexec_b32 s16, s17
	s_cbranch_execz .LBB706_329
; %bb.328:                              ;   in Loop: Header=BB706_325 Depth=1
	s_waitcnt lgkmcnt(0)
	v_bcnt_u32_b32 v24, v24, v14
	ds_write_b32 v23, v24
.LBB706_329:                            ;   in Loop: Header=BB706_325 Depth=1
	s_or_b32 exec_lo, exec_lo, s16
	; wave barrier
	s_waitcnt lgkmcnt(0)
	s_barrier
	buffer_gl0_inv
	ds_read_b32 v25, v29
	ds_read_b32 v26, v30
	;; [unrolled: 1-line block ×8, first 2 shown]
	s_waitcnt lgkmcnt(6)
	v_add_nc_u32_e32 v65, v26, v25
	s_waitcnt lgkmcnt(4)
	v_add3_u32 v65, v65, v27, v53
	s_waitcnt lgkmcnt(2)
	v_add3_u32 v65, v65, v54, v55
	;; [unrolled: 2-line block ×3, first 2 shown]
	v_mov_b32_dpp v65, v64 row_shr:1 row_mask:0xf bank_mask:0xf
	v_cndmask_b32_e64 v65, v65, 0, vcc_lo
	v_add_nc_u32_e32 v64, v65, v64
	v_mov_b32_dpp v65, v64 row_shr:2 row_mask:0xf bank_mask:0xf
	v_cndmask_b32_e64 v65, 0, v65, s4
	v_add_nc_u32_e32 v64, v64, v65
	v_mov_b32_dpp v65, v64 row_shr:4 row_mask:0xf bank_mask:0xf
	v_cndmask_b32_e64 v65, 0, v65, s5
	;; [unrolled: 3-line block ×3, first 2 shown]
	v_add_nc_u32_e32 v64, v64, v65
	ds_swizzle_b32 v65, v64 offset:swizzle(BROADCAST,32,15)
	s_waitcnt lgkmcnt(0)
	v_cndmask_b32_e64 v65, v65, 0, s8
	v_add_nc_u32_e32 v64, v64, v65
	s_and_saveexec_b32 s16, s9
; %bb.330:                              ;   in Loop: Header=BB706_325 Depth=1
	ds_write_b32 v28, v64
; %bb.331:                              ;   in Loop: Header=BB706_325 Depth=1
	s_or_b32 exec_lo, exec_lo, s16
	s_waitcnt lgkmcnt(0)
	s_barrier
	buffer_gl0_inv
	s_and_saveexec_b32 s16, s10
	s_cbranch_execz .LBB706_333
; %bb.332:                              ;   in Loop: Header=BB706_325 Depth=1
	ds_read_b32 v65, v39
	s_waitcnt lgkmcnt(0)
	v_mov_b32_dpp v66, v65 row_shr:1 row_mask:0xf bank_mask:0xf
	v_cndmask_b32_e64 v66, v66, 0, s13
	v_add_nc_u32_e32 v65, v66, v65
	v_mov_b32_dpp v66, v65 row_shr:2 row_mask:0xf bank_mask:0xf
	v_cndmask_b32_e64 v66, 0, v66, s14
	v_add_nc_u32_e32 v65, v65, v66
	v_mov_b32_dpp v66, v65 row_shr:4 row_mask:0xf bank_mask:0xf
	v_cndmask_b32_e64 v66, 0, v66, s15
	v_add_nc_u32_e32 v65, v65, v66
	ds_write_b32 v39, v65
.LBB706_333:                            ;   in Loop: Header=BB706_325 Depth=1
	s_or_b32 exec_lo, exec_lo, s16
	v_mov_b32_e32 v65, 0
	s_waitcnt lgkmcnt(0)
	s_barrier
	buffer_gl0_inv
	s_and_saveexec_b32 s16, s11
; %bb.334:                              ;   in Loop: Header=BB706_325 Depth=1
	ds_read_b32 v65, v49
; %bb.335:                              ;   in Loop: Header=BB706_325 Depth=1
	s_or_b32 exec_lo, exec_lo, s16
	s_waitcnt lgkmcnt(0)
	v_add_nc_u32_e32 v64, v65, v64
	v_add_nc_u32_e32 v51, 8, v51
	s_mov_b32 s21, -1
	s_mov_b32 s17, exec_lo
	ds_bpermute_b32 v64, v38, v64
	s_waitcnt lgkmcnt(0)
	v_cndmask_b32_e64 v64, v64, v65, s6
	v_cndmask_b32_e64 v64, v64, 0, s12
	v_add_nc_u32_e32 v25, v64, v25
	v_add_nc_u32_e32 v26, v25, v26
	ds_write_b32 v29, v64
	ds_write_b32 v30, v25
	;; [unrolled: 1-line block ×3, first 2 shown]
	v_add_nc_u32_e32 v27, v26, v27
	v_add_nc_u32_e32 v53, v27, v53
	;; [unrolled: 1-line block ×5, first 2 shown]
	ds_write_b32 v32, v27
	ds_write_b32 v33, v53
	;; [unrolled: 1-line block ×5, first 2 shown]
	s_waitcnt lgkmcnt(0)
	s_barrier
	buffer_gl0_inv
	ds_read_b32 v13, v13
	ds_read_b32 v24, v23
	v_mov_b32_e32 v23, v1
	s_waitcnt lgkmcnt(0)
                                        ; implicit-def: $vgpr26_vgpr27
	v_add_nc_u32_e32 v0, v13, v0
	v_add3_u32 v22, v22, v14, v24
                                        ; implicit-def: $vgpr24_vgpr25
	v_lshlrev_b64 v[13:14], 3, v[0:1]
	v_lshlrev_b64 v[22:23], 3, v[22:23]
	v_add_co_u32 v0, null, v12, v13
	v_add_co_u32 v53, null, v12, v22
                                        ; implicit-def: $vgpr22_vgpr23
                                        ; implicit-def: $vgpr13_vgpr14
	v_cmpx_lt_u32_e64 v51, v11
	s_cbranch_execz .LBB706_324
; %bb.336:                              ;   in Loop: Header=BB706_325 Depth=1
	s_barrier
	buffer_gl0_inv
	ds_write_b64 v0, v[4:5]
	ds_write_b64 v53, v[7:8]
	s_waitcnt lgkmcnt(0)
	s_barrier
	buffer_gl0_inv
	ds_read_b64 v[26:27], v48
	ds_read_b64 v[24:25], v50
	s_waitcnt lgkmcnt(0)
	s_barrier
	buffer_gl0_inv
	ds_write_b64 v0, v[20:21]
	ds_write_b64 v53, v[9:10]
	s_waitcnt lgkmcnt(0)
	s_barrier
	buffer_gl0_inv
	ds_read_b64 v[13:14], v48
	ds_read_b64 v[22:23], v50
	v_add_nc_u32_e32 v52, -8, v52
	s_xor_b32 s21, exec_lo, -1
	s_waitcnt lgkmcnt(0)
	s_barrier
	buffer_gl0_inv
	s_branch .LBB706_324
.LBB706_337:
	flat_load_dwordx2 v[31:32], v[0:1]
	s_or_b32 exec_lo, exec_lo, s7
                                        ; implicit-def: $vgpr33_vgpr34
	s_and_saveexec_b32 s7, s4
	s_cbranch_execz .LBB706_264
.LBB706_338:
	flat_load_dwordx2 v[33:34], v[0:1] offset:256
	s_or_b32 exec_lo, exec_lo, s7
                                        ; implicit-def: $vgpr19_vgpr20
	s_and_saveexec_b32 s4, s5
	s_cbranch_execz .LBB706_265
.LBB706_339:
	flat_load_dwordx2 v[19:20], v[0:1] offset:512
	s_or_b32 exec_lo, exec_lo, s4
                                        ; implicit-def: $vgpr21_vgpr22
	s_and_saveexec_b32 s4, s6
	s_cbranch_execnz .LBB706_266
	s_branch .LBB706_267
.LBB706_340:
	flat_store_dwordx2 v[0:1], v[11:12]
	s_or_b32 exec_lo, exec_lo, s7
	s_and_saveexec_b32 s7, s4
	s_cbranch_execz .LBB706_309
.LBB706_341:
	v_add_co_u32 v2, vcc_lo, 0x800, v0
	v_add_co_ci_u32_e64 v3, null, 0, v1, vcc_lo
	flat_store_dwordx2 v[2:3], v[13:14]
	s_or_b32 exec_lo, exec_lo, s7
	s_and_saveexec_b32 s4, s5
	s_cbranch_execz .LBB706_310
.LBB706_342:
	v_add_co_u32 v2, vcc_lo, 0x1000, v0
	v_add_co_ci_u32_e64 v3, null, 0, v1, vcc_lo
	flat_store_dwordx2 v[2:3], v[7:8]
	s_or_b32 exec_lo, exec_lo, s4
	s_and_saveexec_b32 s4, s6
	s_cbranch_execnz .LBB706_311
	s_branch .LBB706_312
.LBB706_343:
	s_or_b32 exec_lo, exec_lo, s20
	v_lshl_add_u32 v1, v16, 3, v12
	s_barrier
	buffer_gl0_inv
	ds_write_b64 v0, v[4:5]
	ds_write_b64 v53, v[7:8]
	s_waitcnt lgkmcnt(0)
	s_barrier
	buffer_gl0_inv
	ds_read2st64_b64 v[11:14], v1 offset1:4
	s_waitcnt lgkmcnt(0)
	s_barrier
	buffer_gl0_inv
	ds_write_b64 v0, v[20:21]
	ds_write_b64 v53, v[9:10]
	s_waitcnt lgkmcnt(0)
	s_barrier
	buffer_gl0_inv
	ds_read2st64_b64 v[7:10], v1 offset1:4
	v_mov_b32_e32 v20, 0
	v_add_co_u32 v2, vcc_lo, v2, v17
	v_add_co_ci_u32_e64 v3, null, v3, v18, vcc_lo
	v_lshlrev_b64 v[0:1], 3, v[19:20]
	s_waitcnt lgkmcnt(0)
	s_barrier
	buffer_gl0_inv
	v_add_co_u32 v2, vcc_lo, v2, v0
	v_add_co_ci_u32_e64 v3, null, v3, v1, vcc_lo
	v_cmp_lt_u32_e32 vcc_lo, v19, v40
	s_and_saveexec_b32 s4, vcc_lo
	s_cbranch_execz .LBB706_345
; %bb.344:
	v_xor_b32_e32 v5, 0x7fffffff, v12
	v_not_b32_e32 v4, v11
	flat_store_dwordx2 v[2:3], v[4:5]
.LBB706_345:
	s_or_b32 exec_lo, exec_lo, s4
	v_add_nc_u32_e32 v4, 0x100, v19
	v_cmp_lt_u32_e64 s4, v4, v40
	s_and_saveexec_b32 s6, s4
	s_cbranch_execz .LBB706_347
; %bb.346:
	v_add_co_u32 v2, s5, 0x800, v2
	v_xor_b32_e32 v5, 0x7fffffff, v14
	v_not_b32_e32 v4, v13
	v_add_co_ci_u32_e64 v3, null, 0, v3, s5
	flat_store_dwordx2 v[2:3], v[4:5]
.LBB706_347:
	s_or_b32 exec_lo, exec_lo, s6
	v_add_co_u32 v2, s5, v6, v17
	v_add_co_ci_u32_e64 v3, null, v15, v18, s5
	v_add_co_u32 v0, s5, v2, v0
	v_add_co_ci_u32_e64 v1, null, v3, v1, s5
	s_and_saveexec_b32 s5, vcc_lo
	s_cbranch_execz .LBB706_349
; %bb.348:
	flat_store_dwordx2 v[0:1], v[7:8]
.LBB706_349:
	s_or_b32 exec_lo, exec_lo, s5
	s_and_saveexec_b32 s5, s4
	s_cbranch_execz .LBB706_351
; %bb.350:
	v_add_co_u32 v0, vcc_lo, 0x800, v0
	v_add_co_ci_u32_e64 v1, null, 0, v1, vcc_lo
	flat_store_dwordx2 v[0:1], v[9:10]
.LBB706_351:
	s_or_b32 exec_lo, exec_lo, s5
                                        ; implicit-def: $vgpr19_vgpr20
                                        ; implicit-def: $vgpr17_vgpr18
                                        ; implicit-def: $vgpr40
                                        ; implicit-def: $vgpr0
                                        ; implicit-def: $vgpr1
                                        ; implicit-def: $vgpr2
                                        ; implicit-def: $vgpr3
                                        ; implicit-def: $vgpr4
                                        ; implicit-def: $vgpr5
                                        ; implicit-def: $vgpr6
                                        ; implicit-def: $vgpr15
                                        ; implicit-def: $vgpr10
                                        ; implicit-def: $vgpr11
                                        ; implicit-def: $vgpr12
                                        ; implicit-def: $vgpr16
                                        ; implicit-def: $vgpr28
.LBB706_352:
	s_andn2_saveexec_b32 s4, s18
	s_cbranch_execz .LBB706_372
; %bb.353:
	v_and_b32_e32 v13, 0xffffffe0, v19
	v_mov_b32_e32 v20, -1
	v_mov_b32_e32 v21, -1
	v_lshlrev_b32_e32 v9, 3, v28
	v_or_b32_e32 v7, v28, v13
	v_cmp_lt_u32_e32 vcc_lo, v7, v40
	s_and_saveexec_b32 s5, vcc_lo
	s_cbranch_execz .LBB706_355
; %bb.354:
	v_mov_b32_e32 v14, 0
	v_add_co_u32 v7, s4, v0, v17
	v_add_co_ci_u32_e64 v8, null, v1, v18, s4
	v_lshlrev_b64 v[0:1], 3, v[13:14]
	v_add_co_u32 v7, s4, v7, v9
	v_add_co_ci_u32_e64 v8, null, 0, v8, s4
	v_add_co_u32 v0, s4, v7, v0
	v_add_co_ci_u32_e64 v1, null, v8, v1, s4
	flat_load_dwordx2 v[0:1], v[0:1]
	s_waitcnt vmcnt(0) lgkmcnt(0)
	v_xor_b32_e32 v21, 0x7fffffff, v1
	v_not_b32_e32 v20, v0
.LBB706_355:
	s_or_b32 exec_lo, exec_lo, s5
                                        ; implicit-def: $vgpr7_vgpr8
	s_and_saveexec_b32 s4, vcc_lo
	s_cbranch_execz .LBB706_357
; %bb.356:
	v_mov_b32_e32 v14, 0
	v_add_co_u32 v4, vcc_lo, v4, v17
	v_add_co_ci_u32_e64 v5, null, v5, v18, vcc_lo
	v_lshlrev_b64 v[0:1], 3, v[13:14]
	v_add_co_u32 v4, vcc_lo, v4, v9
	v_add_co_ci_u32_e64 v5, null, 0, v5, vcc_lo
	v_add_co_u32 v0, vcc_lo, v4, v0
	v_add_co_ci_u32_e64 v1, null, v5, v1, vcc_lo
	flat_load_dwordx2 v[7:8], v[0:1]
.LBB706_357:
	s_or_b32 exec_lo, exec_lo, s4
	v_lshl_add_u32 v0, v16, 5, v12
	v_and_b32_e32 v1, 15, v28
	v_sub_co_u32 v13, s6, v28, 1
	s_getpc_b64 s[4:5]
	s_add_u32 s4, s4, _ZN7rocprim17ROCPRIM_400000_NS16block_radix_sortIlLj256ELj1ElLj1ELj1ELj8ELNS0_26block_radix_rank_algorithmE2ELNS0_18block_padding_hintE2ELNS0_4arch9wavefront6targetE0EE19radix_bits_per_passE@rel32@lo+4
	s_addc_u32 s5, s5, _ZN7rocprim17ROCPRIM_400000_NS16block_radix_sortIlLj256ELj1ElLj1ELj1ELj8ELNS0_26block_radix_rank_algorithmE2ELNS0_18block_padding_hintE2ELNS0_4arch9wavefront6targetE0EE19radix_bits_per_passE@rel32@hi+12
	v_add_nc_u32_e32 v9, 32, v0
	v_add_nc_u32_e32 v22, 36, v0
	v_add_nc_u32_e32 v23, 40, v0
	v_add_nc_u32_e32 v24, 44, v0
	v_add_nc_u32_e32 v25, 48, v0
	v_add_nc_u32_e32 v26, 52, v0
	v_add_nc_u32_e32 v27, 56, v0
	v_add_nc_u32_e32 v29, 60, v0
	v_and_b32_e32 v0, 0x3e0, v16
	s_load_dword s18, s[4:5], 0x0
	v_cmp_eq_u32_e32 vcc_lo, 0, v1
	v_cmp_lt_u32_e64 s4, 1, v1
	v_cmp_lt_u32_e64 s5, 3, v1
	v_min_u32_e32 v4, 0xe0, v0
	v_and_b32_e32 v5, 16, v28
	v_cmp_lt_u32_e64 s7, 7, v1
	v_cmp_gt_i32_e64 s9, 0, v13
	v_or_b32_e32 v0, v28, v0
	v_or_b32_e32 v1, 31, v4
	v_lshrrev_b32_e32 v4, 3, v16
	v_cmp_eq_u32_e64 s8, 0, v5
	v_cndmask_b32_e64 v5, v13, v28, s9
	v_lshrrev_b32_e32 v30, 5, v19
	v_cmp_eq_u32_e64 s9, v16, v1
	v_and_b32_e32 v1, 0x7c, v4
	v_and_b32_e32 v4, 7, v28
	v_cmp_gt_u32_e64 s10, 8, v16
	v_cmp_lt_u32_e64 s11, 31, v16
	v_lshlrev_b32_e32 v31, 2, v5
	v_add_nc_u32_e32 v32, v12, v1
	v_cmp_eq_u32_e64 s12, 0, v16
	v_mov_b32_e32 v1, 0
	v_lshl_add_u32 v33, v16, 2, v12
	v_cmp_eq_u32_e64 s13, 0, v4
	v_cmp_lt_u32_e64 s14, 1, v4
	v_cmp_lt_u32_e64 s15, 3, v4
	v_add_nc_u32_e32 v28, -4, v32
	v_lshl_add_u32 v34, v0, 3, v12
	v_sub_nc_u32_e32 v35, v11, v10
	s_mov_b32 s19, 0
	s_waitcnt vmcnt(0) lgkmcnt(0)
	s_waitcnt_vscnt null, 0x0
	s_barrier
	buffer_gl0_inv
	s_branch .LBB706_359
.LBB706_358:                            ;   in Loop: Header=BB706_359 Depth=1
	s_or_b32 exec_lo, exec_lo, s17
	s_and_b32 s16, exec_lo, s20
	s_or_b32 s19, s16, s19
	s_andn2_b32 exec_lo, exec_lo, s19
	s_cbranch_execz .LBB706_369
.LBB706_359:                            ; =>This Inner Loop Header: Depth=1
	v_mov_b32_e32 v4, v20
	v_mov_b32_e32 v5, v21
	v_min_u32_e32 v0, s18, v35
	ds_write_b32 v9, v1
	ds_write_b32 v22, v1
	;; [unrolled: 1-line block ×5, first 2 shown]
	v_lshrrev_b64 v[13:14], v10, v[4:5]
	ds_write_b32 v26, v1
	ds_write_b32 v27, v1
	;; [unrolled: 1-line block ×3, first 2 shown]
	s_waitcnt lgkmcnt(0)
	s_barrier
	buffer_gl0_inv
	v_bfe_u32 v0, v13, 0, v0
	; wave barrier
	v_and_b32_e32 v13, 1, v0
	v_lshlrev_b32_e32 v14, 30, v0
	v_lshlrev_b32_e32 v20, 29, v0
	;; [unrolled: 1-line block ×4, first 2 shown]
	v_add_co_u32 v13, s16, v13, -1
	v_cndmask_b32_e64 v36, 0, 1, s16
	v_not_b32_e32 v48, v14
	v_cmp_gt_i32_e64 s17, 0, v14
	v_not_b32_e32 v14, v20
	v_lshlrev_b32_e32 v38, 26, v0
	v_cmp_ne_u32_e64 s16, 0, v36
	v_ashrrev_i32_e32 v48, 31, v48
	v_lshlrev_b32_e32 v39, 25, v0
	v_ashrrev_i32_e32 v14, 31, v14
	v_lshlrev_b32_e32 v36, 24, v0
	v_xor_b32_e32 v13, s16, v13
	v_cmp_gt_i32_e64 s16, 0, v20
	v_not_b32_e32 v20, v21
	v_xor_b32_e32 v48, s17, v48
	v_cmp_gt_i32_e64 s17, 0, v21
	v_and_b32_e32 v13, exec_lo, v13
	v_not_b32_e32 v21, v37
	v_ashrrev_i32_e32 v20, 31, v20
	v_xor_b32_e32 v14, s16, v14
	v_cmp_gt_i32_e64 s16, 0, v37
	v_and_b32_e32 v13, v13, v48
	v_not_b32_e32 v37, v38
	v_ashrrev_i32_e32 v21, 31, v21
	v_xor_b32_e32 v20, s17, v20
	v_cmp_gt_i32_e64 s17, 0, v38
	v_and_b32_e32 v13, v13, v14
	;; [unrolled: 5-line block ×4, first 2 shown]
	v_ashrrev_i32_e32 v20, 31, v20
	v_xor_b32_e32 v21, s16, v14
	v_lshl_add_u32 v0, v0, 3, v30
	v_and_b32_e32 v36, v13, v37
	v_mov_b32_e32 v14, v8
	v_mov_b32_e32 v13, v7
	v_xor_b32_e32 v7, s17, v20
	v_and_b32_e32 v8, v36, v21
	v_lshlrev_b64 v[20:21], 2, v[0:1]
	v_and_b32_e32 v8, v8, v7
	v_add_co_u32 v7, null, v12, v20
	v_mbcnt_lo_u32_b32 v0, v8, 0
	v_cmp_ne_u32_e64 s17, 0, v8
	v_add_co_u32 v7, null, v7, 32
	v_cmp_eq_u32_e64 s16, 0, v0
	s_and_b32 s17, s17, s16
	s_and_saveexec_b32 s16, s17
; %bb.360:                              ;   in Loop: Header=BB706_359 Depth=1
	v_bcnt_u32_b32 v8, v8, 0
	ds_write_b32 v7, v8
; %bb.361:                              ;   in Loop: Header=BB706_359 Depth=1
	s_or_b32 exec_lo, exec_lo, s16
	; wave barrier
	s_waitcnt lgkmcnt(0)
	s_barrier
	buffer_gl0_inv
	ds_read_b32 v20, v9
	ds_read_b32 v21, v22
	;; [unrolled: 1-line block ×8, first 2 shown]
	s_waitcnt lgkmcnt(6)
	v_add_nc_u32_e32 v49, v21, v20
	s_waitcnt lgkmcnt(4)
	v_add3_u32 v49, v49, v36, v37
	s_waitcnt lgkmcnt(2)
	v_add3_u32 v49, v49, v38, v39
	s_waitcnt lgkmcnt(0)
	v_add3_u32 v48, v49, v8, v48
	v_mov_b32_dpp v49, v48 row_shr:1 row_mask:0xf bank_mask:0xf
	v_cndmask_b32_e64 v49, v49, 0, vcc_lo
	v_add_nc_u32_e32 v48, v49, v48
	v_mov_b32_dpp v49, v48 row_shr:2 row_mask:0xf bank_mask:0xf
	v_cndmask_b32_e64 v49, 0, v49, s4
	v_add_nc_u32_e32 v48, v48, v49
	v_mov_b32_dpp v49, v48 row_shr:4 row_mask:0xf bank_mask:0xf
	v_cndmask_b32_e64 v49, 0, v49, s5
	;; [unrolled: 3-line block ×3, first 2 shown]
	v_add_nc_u32_e32 v48, v48, v49
	ds_swizzle_b32 v49, v48 offset:swizzle(BROADCAST,32,15)
	s_waitcnt lgkmcnt(0)
	v_cndmask_b32_e64 v49, v49, 0, s8
	v_add_nc_u32_e32 v48, v48, v49
	s_and_saveexec_b32 s16, s9
; %bb.362:                              ;   in Loop: Header=BB706_359 Depth=1
	ds_write_b32 v32, v48
; %bb.363:                              ;   in Loop: Header=BB706_359 Depth=1
	s_or_b32 exec_lo, exec_lo, s16
	s_waitcnt lgkmcnt(0)
	s_barrier
	buffer_gl0_inv
	s_and_saveexec_b32 s16, s10
	s_cbranch_execz .LBB706_365
; %bb.364:                              ;   in Loop: Header=BB706_359 Depth=1
	ds_read_b32 v49, v33
	s_waitcnt lgkmcnt(0)
	v_mov_b32_dpp v50, v49 row_shr:1 row_mask:0xf bank_mask:0xf
	v_cndmask_b32_e64 v50, v50, 0, s13
	v_add_nc_u32_e32 v49, v50, v49
	v_mov_b32_dpp v50, v49 row_shr:2 row_mask:0xf bank_mask:0xf
	v_cndmask_b32_e64 v50, 0, v50, s14
	v_add_nc_u32_e32 v49, v49, v50
	;; [unrolled: 3-line block ×3, first 2 shown]
	ds_write_b32 v33, v49
.LBB706_365:                            ;   in Loop: Header=BB706_359 Depth=1
	s_or_b32 exec_lo, exec_lo, s16
	v_mov_b32_e32 v49, 0
	s_waitcnt lgkmcnt(0)
	s_barrier
	buffer_gl0_inv
	s_and_saveexec_b32 s16, s11
; %bb.366:                              ;   in Loop: Header=BB706_359 Depth=1
	ds_read_b32 v49, v28
; %bb.367:                              ;   in Loop: Header=BB706_359 Depth=1
	s_or_b32 exec_lo, exec_lo, s16
	s_waitcnt lgkmcnt(0)
	v_add_nc_u32_e32 v48, v49, v48
	v_add_nc_u32_e32 v10, 8, v10
	s_mov_b32 s20, -1
	s_mov_b32 s17, exec_lo
	ds_bpermute_b32 v48, v31, v48
	s_waitcnt lgkmcnt(0)
	v_cndmask_b32_e64 v48, v48, v49, s6
	v_cndmask_b32_e64 v48, v48, 0, s12
	v_add_nc_u32_e32 v20, v48, v20
	v_add_nc_u32_e32 v21, v20, v21
	ds_write_b32 v9, v48
	ds_write_b32 v22, v20
	;; [unrolled: 1-line block ×3, first 2 shown]
	v_add_nc_u32_e32 v36, v21, v36
                                        ; implicit-def: $vgpr20_vgpr21
	v_add_nc_u32_e32 v37, v36, v37
	v_add_nc_u32_e32 v38, v37, v38
	;; [unrolled: 1-line block ×4, first 2 shown]
	ds_write_b32 v24, v36
	ds_write_b32 v25, v37
	;; [unrolled: 1-line block ×5, first 2 shown]
	s_waitcnt lgkmcnt(0)
	s_barrier
	buffer_gl0_inv
	ds_read_b32 v7, v7
	s_waitcnt lgkmcnt(0)
	v_add_nc_u32_e32 v0, v7, v0
	v_lshlrev_b64 v[7:8], 3, v[0:1]
	v_add_co_u32 v36, null, v12, v7
                                        ; implicit-def: $vgpr7_vgpr8
	v_cmpx_lt_u32_e64 v10, v11
	s_cbranch_execz .LBB706_358
; %bb.368:                              ;   in Loop: Header=BB706_359 Depth=1
	s_barrier
	buffer_gl0_inv
	ds_write_b64 v36, v[4:5]
	s_waitcnt lgkmcnt(0)
	s_barrier
	buffer_gl0_inv
	ds_read_b64 v[20:21], v34
	s_waitcnt lgkmcnt(0)
	s_barrier
	buffer_gl0_inv
	ds_write_b64 v36, v[13:14]
	s_waitcnt lgkmcnt(0)
	s_barrier
	buffer_gl0_inv
	ds_read_b64 v[7:8], v34
	v_add_nc_u32_e32 v35, -8, v35
	s_xor_b32 s20, exec_lo, -1
	s_waitcnt lgkmcnt(0)
	s_barrier
	buffer_gl0_inv
	s_branch .LBB706_358
.LBB706_369:
	s_or_b32 exec_lo, exec_lo, s19
	v_lshl_add_u32 v7, v16, 3, v12
	s_barrier
	buffer_gl0_inv
	ds_write_b64 v36, v[4:5]
	s_waitcnt lgkmcnt(0)
	s_barrier
	buffer_gl0_inv
	ds_read_b64 v[0:1], v7
	s_waitcnt lgkmcnt(0)
	s_barrier
	buffer_gl0_inv
	ds_write_b64 v36, v[13:14]
	s_waitcnt lgkmcnt(0)
	s_barrier
	buffer_gl0_inv
	ds_read_b64 v[4:5], v7
	s_mov_b32 s4, exec_lo
	s_waitcnt lgkmcnt(0)
	s_barrier
	buffer_gl0_inv
	v_cmpx_lt_u32_e64 v19, v40
	s_cbranch_execz .LBB706_371
; %bb.370:
	v_mov_b32_e32 v20, 0
	v_add_co_u32 v2, vcc_lo, v2, v17
	v_add_co_ci_u32_e64 v3, null, v3, v18, vcc_lo
	v_lshlrev_b64 v[7:8], 3, v[19:20]
	v_xor_b32_e32 v1, 0x7fffffff, v1
	v_not_b32_e32 v0, v0
	v_add_co_u32 v2, vcc_lo, v2, v7
	v_add_co_ci_u32_e64 v3, null, v3, v8, vcc_lo
	v_add_co_u32 v6, vcc_lo, v6, v17
	v_add_co_ci_u32_e64 v9, null, v15, v18, vcc_lo
	;; [unrolled: 2-line block ×3, first 2 shown]
	flat_store_dwordx2 v[2:3], v[0:1]
	flat_store_dwordx2 v[6:7], v[4:5]
.LBB706_371:
	s_or_b32 exec_lo, exec_lo, s4
.LBB706_372:
	s_or_b32 exec_lo, exec_lo, s24
	s_clause 0x2a
	buffer_load_dword v122, off, s[0:3], s32
	buffer_load_dword v121, off, s[0:3], s32 offset:4
	buffer_load_dword v120, off, s[0:3], s32 offset:8
	;; [unrolled: 1-line block ×42, first 2 shown]
	s_waitcnt vmcnt(0) lgkmcnt(0)
	s_setpc_b64 s[30:31]
.Lfunc_end706:
	.size	_ZN7rocprim17ROCPRIM_400000_NS6detail40segmented_radix_sort_single_block_helperIllLj256ELj16ELb1EE4sortIPKlPlS6_S7_EEbT_T0_T1_T2_jjjjRNS3_12storage_typeE, .Lfunc_end706-_ZN7rocprim17ROCPRIM_400000_NS6detail40segmented_radix_sort_single_block_helperIllLj256ELj16ELb1EE4sortIPKlPlS6_S7_EEbT_T0_T1_T2_jjjjRNS3_12storage_typeE
                                        ; -- End function
	.set .L_ZN7rocprim17ROCPRIM_400000_NS6detail40segmented_radix_sort_single_block_helperIllLj256ELj16ELb1EE4sortIPKlPlS6_S7_EEbT_T0_T1_T2_jjjjRNS3_12storage_typeE.num_vgpr, 248
	.set .L_ZN7rocprim17ROCPRIM_400000_NS6detail40segmented_radix_sort_single_block_helperIllLj256ELj16ELb1EE4sortIPKlPlS6_S7_EEbT_T0_T1_T2_jjjjRNS3_12storage_typeE.num_agpr, 0
	.set .L_ZN7rocprim17ROCPRIM_400000_NS6detail40segmented_radix_sort_single_block_helperIllLj256ELj16ELb1EE4sortIPKlPlS6_S7_EEbT_T0_T1_T2_jjjjRNS3_12storage_typeE.numbered_sgpr, 33
	.set .L_ZN7rocprim17ROCPRIM_400000_NS6detail40segmented_radix_sort_single_block_helperIllLj256ELj16ELb1EE4sortIPKlPlS6_S7_EEbT_T0_T1_T2_jjjjRNS3_12storage_typeE.num_named_barrier, 0
	.set .L_ZN7rocprim17ROCPRIM_400000_NS6detail40segmented_radix_sort_single_block_helperIllLj256ELj16ELb1EE4sortIPKlPlS6_S7_EEbT_T0_T1_T2_jjjjRNS3_12storage_typeE.private_seg_size, 176
	.set .L_ZN7rocprim17ROCPRIM_400000_NS6detail40segmented_radix_sort_single_block_helperIllLj256ELj16ELb1EE4sortIPKlPlS6_S7_EEbT_T0_T1_T2_jjjjRNS3_12storage_typeE.uses_vcc, 1
	.set .L_ZN7rocprim17ROCPRIM_400000_NS6detail40segmented_radix_sort_single_block_helperIllLj256ELj16ELb1EE4sortIPKlPlS6_S7_EEbT_T0_T1_T2_jjjjRNS3_12storage_typeE.uses_flat_scratch, 0
	.set .L_ZN7rocprim17ROCPRIM_400000_NS6detail40segmented_radix_sort_single_block_helperIllLj256ELj16ELb1EE4sortIPKlPlS6_S7_EEbT_T0_T1_T2_jjjjRNS3_12storage_typeE.has_dyn_sized_stack, 0
	.set .L_ZN7rocprim17ROCPRIM_400000_NS6detail40segmented_radix_sort_single_block_helperIllLj256ELj16ELb1EE4sortIPKlPlS6_S7_EEbT_T0_T1_T2_jjjjRNS3_12storage_typeE.has_recursion, 0
	.set .L_ZN7rocprim17ROCPRIM_400000_NS6detail40segmented_radix_sort_single_block_helperIllLj256ELj16ELb1EE4sortIPKlPlS6_S7_EEbT_T0_T1_T2_jjjjRNS3_12storage_typeE.has_indirect_call, 0
	.section	.AMDGPU.csdata,"",@progbits
; Function info:
; codeLenInByte = 28368
; TotalNumSgprs: 35
; NumVgprs: 248
; ScratchSize: 176
; MemoryBound: 1
	.section	.text._ZN7rocprim17ROCPRIM_400000_NS6detail17trampoline_kernelINS0_14default_configENS1_36segmented_radix_sort_config_selectorIllEEZNS1_25segmented_radix_sort_implIS3_Lb1EPKlPlS8_S9_N2at6native12_GLOBAL__N_18offset_tEEE10hipError_tPvRmT1_PNSt15iterator_traitsISH_E10value_typeET2_T3_PNSI_ISN_E10value_typeET4_jRbjT5_ST_jjP12ihipStream_tbEUlT_E_NS1_11comp_targetILNS1_3genE8ELNS1_11target_archE1030ELNS1_3gpuE2ELNS1_3repE0EEENS1_30default_config_static_selectorELNS0_4arch9wavefront6targetE0EEEvSH_,"axG",@progbits,_ZN7rocprim17ROCPRIM_400000_NS6detail17trampoline_kernelINS0_14default_configENS1_36segmented_radix_sort_config_selectorIllEEZNS1_25segmented_radix_sort_implIS3_Lb1EPKlPlS8_S9_N2at6native12_GLOBAL__N_18offset_tEEE10hipError_tPvRmT1_PNSt15iterator_traitsISH_E10value_typeET2_T3_PNSI_ISN_E10value_typeET4_jRbjT5_ST_jjP12ihipStream_tbEUlT_E_NS1_11comp_targetILNS1_3genE8ELNS1_11target_archE1030ELNS1_3gpuE2ELNS1_3repE0EEENS1_30default_config_static_selectorELNS0_4arch9wavefront6targetE0EEEvSH_,comdat
	.globl	_ZN7rocprim17ROCPRIM_400000_NS6detail17trampoline_kernelINS0_14default_configENS1_36segmented_radix_sort_config_selectorIllEEZNS1_25segmented_radix_sort_implIS3_Lb1EPKlPlS8_S9_N2at6native12_GLOBAL__N_18offset_tEEE10hipError_tPvRmT1_PNSt15iterator_traitsISH_E10value_typeET2_T3_PNSI_ISN_E10value_typeET4_jRbjT5_ST_jjP12ihipStream_tbEUlT_E_NS1_11comp_targetILNS1_3genE8ELNS1_11target_archE1030ELNS1_3gpuE2ELNS1_3repE0EEENS1_30default_config_static_selectorELNS0_4arch9wavefront6targetE0EEEvSH_ ; -- Begin function _ZN7rocprim17ROCPRIM_400000_NS6detail17trampoline_kernelINS0_14default_configENS1_36segmented_radix_sort_config_selectorIllEEZNS1_25segmented_radix_sort_implIS3_Lb1EPKlPlS8_S9_N2at6native12_GLOBAL__N_18offset_tEEE10hipError_tPvRmT1_PNSt15iterator_traitsISH_E10value_typeET2_T3_PNSI_ISN_E10value_typeET4_jRbjT5_ST_jjP12ihipStream_tbEUlT_E_NS1_11comp_targetILNS1_3genE8ELNS1_11target_archE1030ELNS1_3gpuE2ELNS1_3repE0EEENS1_30default_config_static_selectorELNS0_4arch9wavefront6targetE0EEEvSH_
	.p2align	8
	.type	_ZN7rocprim17ROCPRIM_400000_NS6detail17trampoline_kernelINS0_14default_configENS1_36segmented_radix_sort_config_selectorIllEEZNS1_25segmented_radix_sort_implIS3_Lb1EPKlPlS8_S9_N2at6native12_GLOBAL__N_18offset_tEEE10hipError_tPvRmT1_PNSt15iterator_traitsISH_E10value_typeET2_T3_PNSI_ISN_E10value_typeET4_jRbjT5_ST_jjP12ihipStream_tbEUlT_E_NS1_11comp_targetILNS1_3genE8ELNS1_11target_archE1030ELNS1_3gpuE2ELNS1_3repE0EEENS1_30default_config_static_selectorELNS0_4arch9wavefront6targetE0EEEvSH_,@function
_ZN7rocprim17ROCPRIM_400000_NS6detail17trampoline_kernelINS0_14default_configENS1_36segmented_radix_sort_config_selectorIllEEZNS1_25segmented_radix_sort_implIS3_Lb1EPKlPlS8_S9_N2at6native12_GLOBAL__N_18offset_tEEE10hipError_tPvRmT1_PNSt15iterator_traitsISH_E10value_typeET2_T3_PNSI_ISN_E10value_typeET4_jRbjT5_ST_jjP12ihipStream_tbEUlT_E_NS1_11comp_targetILNS1_3genE8ELNS1_11target_archE1030ELNS1_3gpuE2ELNS1_3repE0EEENS1_30default_config_static_selectorELNS0_4arch9wavefront6targetE0EEEvSH_: ; @_ZN7rocprim17ROCPRIM_400000_NS6detail17trampoline_kernelINS0_14default_configENS1_36segmented_radix_sort_config_selectorIllEEZNS1_25segmented_radix_sort_implIS3_Lb1EPKlPlS8_S9_N2at6native12_GLOBAL__N_18offset_tEEE10hipError_tPvRmT1_PNSt15iterator_traitsISH_E10value_typeET2_T3_PNSI_ISN_E10value_typeET4_jRbjT5_ST_jjP12ihipStream_tbEUlT_E_NS1_11comp_targetILNS1_3genE8ELNS1_11target_archE1030ELNS1_3gpuE2ELNS1_3repE0EEENS1_30default_config_static_selectorELNS0_4arch9wavefront6targetE0EEEvSH_
; %bb.0:
	s_load_dwordx2 s[12:13], s[4:5], 0x38
	s_mov_b32 s27, s7
	s_mov_b32 s7, 0
	s_add_u32 s0, s0, s8
	s_addc_u32 s1, s1, 0
	s_lshl_b64 s[14:15], s[6:7], 2
	s_load_dwordx4 s[8:11], s[4:5], 0x40
	s_mov_b32 s32, 0
	s_waitcnt lgkmcnt(0)
	s_add_u32 s12, s12, s14
	s_addc_u32 s13, s13, s15
	s_load_dword s7, s[12:13], 0x0
	s_waitcnt lgkmcnt(0)
	s_add_i32 s60, s7, s9
	s_add_i32 s61, s7, s11
	s_mul_i32 s60, s60, s8
	s_mul_i32 s61, s61, s10
	s_cmp_le_u32 s61, s60
	s_cbranch_scc1 .LBB707_1190
; %bb.1:
	s_clause 0x3
	s_load_dword s7, s[4:5], 0x30
	s_load_dwordx4 s[48:51], s[4:5], 0x20
	s_load_dwordx4 s[52:55], s[4:5], 0x50
	s_load_dwordx8 s[40:47], s[4:5], 0x0
	s_waitcnt lgkmcnt(0)
	s_bitcmp1_b32 s7, 0
	s_mov_b32 s7, -1
	s_cselect_b32 s55, -1, 0
	s_sub_i32 s62, s61, s60
	s_cmpk_lt_u32 s62, 0x1001
	s_cbranch_scc0 .LBB707_7
; %bb.2:
	v_cndmask_b32_e64 v3, 0, 1, s55
	s_and_b32 s7, s52, 1
	v_lshlrev_b32_e32 v41, 20, v2
	v_lshlrev_b32_e32 v42, 10, v1
	v_cmp_ne_u32_e32 vcc_lo, s7, v3
	s_mov_b32 s7, -1
	s_cbranch_vccnz .LBB707_4
; %bb.3:
	s_mov_b64 s[10:11], src_shared_base
	v_or3_b32 v31, v0, v42, v41
	v_mov_b32_e32 v40, v0
	v_mov_b32_e32 v0, s40
	;; [unrolled: 1-line block ×17, first 2 shown]
	s_add_u32 s8, s4, 0x60
	s_addc_u32 s9, s5, 0
	s_getpc_b64 s[14:15]
	s_add_u32 s14, s14, _ZN7rocprim17ROCPRIM_400000_NS6detail40segmented_radix_sort_single_block_helperIllLj256ELj16ELb1EE4sortIPKlPlS6_S7_EEbT_T0_T1_T2_jjjjRNS3_12storage_typeE@rel32@lo+4
	s_addc_u32 s15, s15, _ZN7rocprim17ROCPRIM_400000_NS6detail40segmented_radix_sort_single_block_helperIllLj256ELj16ELb1EE4sortIPKlPlS6_S7_EEbT_T0_T1_T2_jjjjRNS3_12storage_typeE@rel32@hi+12
	s_mov_b32 s12, s6
	s_mov_b32 s13, s27
	;; [unrolled: 1-line block ×3, first 2 shown]
	s_mov_b64 s[34:35], s[4:5]
	s_swappc_b64 s[30:31], s[14:15]
	v_mov_b32_e32 v1, v43
	v_mov_b32_e32 v2, v44
	;; [unrolled: 1-line block ×3, first 2 shown]
	s_mov_b64 s[4:5], s[34:35]
	s_mov_b32 s6, s28
	s_mov_b32 s7, 0
.LBB707_4:
	s_andn2_b32 vcc_lo, exec_lo, s7
	s_cbranch_vccnz .LBB707_6
; %bb.5:
	s_mov_b64 s[10:11], src_shared_base
	v_or3_b32 v31, v0, v42, v41
	v_mov_b32_e32 v40, v0
	v_mov_b32_e32 v0, s40
	;; [unrolled: 1-line block ×17, first 2 shown]
	s_add_u32 s8, s4, 0x60
	s_addc_u32 s9, s5, 0
	s_getpc_b64 s[14:15]
	s_add_u32 s14, s14, _ZN7rocprim17ROCPRIM_400000_NS6detail40segmented_radix_sort_single_block_helperIllLj256ELj16ELb1EE4sortIPKlPlS6_S7_EEbT_T0_T1_T2_jjjjRNS3_12storage_typeE@rel32@lo+4
	s_addc_u32 s15, s15, _ZN7rocprim17ROCPRIM_400000_NS6detail40segmented_radix_sort_single_block_helperIllLj256ELj16ELb1EE4sortIPKlPlS6_S7_EEbT_T0_T1_T2_jjjjRNS3_12storage_typeE@rel32@hi+12
	s_mov_b32 s12, s6
	s_mov_b32 s13, s27
	s_mov_b32 s28, s6
	s_mov_b64 s[34:35], s[4:5]
	s_swappc_b64 s[30:31], s[14:15]
	v_mov_b32_e32 v1, v41
	v_mov_b32_e32 v2, v42
	;; [unrolled: 1-line block ×3, first 2 shown]
	s_mov_b64 s[4:5], s[34:35]
	s_mov_b32 s6, s28
.LBB707_6:
	s_mov_b32 s7, 0
.LBB707_7:
	s_andn2_b32 vcc_lo, exec_lo, s7
	s_cbranch_vccnz .LBB707_1190
; %bb.8:
	s_cmp_ge_u32 s53, s54
	s_cbranch_scc1 .LBB707_1190
; %bb.9:
	v_and_b32_e32 v6, 0xe0, v0
	v_and_b32_e32 v5, 3, v0
	v_lshlrev_b32_e32 v73, 2, v0
	v_lshlrev_b32_e32 v4, 3, v0
	v_lshrrev_b32_e32 v8, 3, v0
	v_min_u32_e32 v7, 0x60, v6
	v_lshlrev_b32_e32 v91, 2, v5
	v_mad_u32_u24 v93, v0, 12, v73
	v_or_b32_e32 v74, 0x100, v0
	v_or_b32_e32 v77, 0x200, v0
	;; [unrolled: 1-line block ×3, first 2 shown]
	v_lshlrev_b32_e32 v7, 4, v0
	v_add_nc_u32_e32 v98, v93, v73
	v_or_b32_e32 v78, 0x300, v0
	v_or_b32_e32 v79, 0x400, v0
	v_cmp_eq_u32_e64 s8, v0, v5
	v_and_b32_e32 v97, 0xe00, v7
	v_or_b32_e32 v5, 31, v6
	v_sub_nc_u32_e32 v99, v98, v7
	v_or_b32_e32 v80, 0x500, v0
	v_and_b32_e32 v92, 28, v8
	v_lshlrev_b32_e32 v6, 3, v97
	s_add_u32 s58, s4, 0x60
	v_cmp_eq_u32_e64 s4, v0, v5
	v_add_nc_u32_e32 v5, 1, v0
	v_lshl_add_u32 v101, v0, 5, v99
	v_add_co_u32 v102, s14, s50, v6
	v_add_co_ci_u32_e64 v103, null, s51, 0, s14
	v_add_co_u32 v104, s14, s44, v6
	v_add_co_ci_u32_e64 v105, null, s45, 0, s14
	;; [unrolled: 2-line block ×6, first 2 shown]
	v_add_co_u32 v115, s14, s46, v6
	v_add_co_u32 v75, s7, s44, v4
	v_add_co_ci_u32_e64 v116, null, s47, 0, s14
	v_add_co_u32 v117, s14, s40, v6
	v_mov_b32_e32 v3, 0
	v_add_co_ci_u32_e64 v76, null, s45, 0, s7
	v_or_b32_e32 v81, 0x600, v0
	v_or_b32_e32 v82, 0x700, v0
	;; [unrolled: 1-line block ×10, first 2 shown]
	v_cmp_gt_u32_e64 s7, 0x80, v0
	v_or_b32_e32 v94, 0x8200, v92
	v_cmp_gt_u32_e64 s9, 4, v0
	v_add_nc_u32_e32 v95, 0x8200, v73
	v_cmp_lt_u32_e64 s10, 31, v0
	v_add_nc_u32_e32 v96, 0x81fc, v92
	v_cmp_gt_u32_e64 s11, 8, v0
	v_cmp_eq_u32_e64 s12, 0, v0
	v_mul_u32_u24_e32 v100, 36, v5
	v_cmp_ne_u32_e64 s13, 0x80, v5
	v_mad_i32_i24 v106, 0xffffffe4, v0, v101
	v_add_co_ci_u32_e64 v118, null, s41, 0, s14
	v_mov_b32_e32 v119, 1
	v_lshlrev_b32_e32 v120, 3, v0
	v_lshlrev_b32_e32 v121, 3, v74
	;; [unrolled: 1-line block ×6, first 2 shown]
	v_mbcnt_lo_u32_b32 v126, -1, 0
	v_bfrev_b32_e32 v4, 1
	s_mov_b32 s57, 0
	s_addc_u32 s59, s5, 0
	s_mov_b32 s46, s53
	s_mov_b32 s47, s53
	s_branch .LBB707_12
.LBB707_10:                             ;   in Loop: Header=BB707_12 Depth=1
	s_waitcnt lgkmcnt(0)
	s_barrier
.LBB707_11:                             ;   in Loop: Header=BB707_12 Depth=1
	s_add_i32 s47, s47, 7
	buffer_gl0_inv
	s_cmp_ge_u32 s47, s54
	s_cbranch_scc1 .LBB707_1190
.LBB707_12:                             ; =>This Loop Header: Depth=1
                                        ;     Child Loop BB707_16 Depth 2
                                        ;     Child Loop BB707_96 Depth 2
	;; [unrolled: 1-line block ×8, first 2 shown]
	s_sub_i32 s5, s54, s47
	s_xor_b32 s55, s55, -1
	s_min_u32 s52, s5, 7
	s_cmp_lg_u32 s47, s53
	s_mov_b32 s5, -1
	ds_write2st64_b32 v73, v3, v3 offset1:4
	s_waitcnt lgkmcnt(0)
	s_waitcnt_vscnt null, 0x0
	s_cbranch_scc0 .LBB707_602
; %bb.13:                               ;   in Loop: Header=BB707_12 Depth=1
	s_lshl_b32 s5, -1, s52
	s_and_b32 vcc_lo, exec_lo, s55
	s_not_b32 s63, s5
	s_mov_b32 s5, -1
	s_cbranch_vccz .LBB707_307
; %bb.14:                               ;   in Loop: Header=BB707_12 Depth=1
	s_mov_b32 s5, s62
	s_mov_b32 s56, s60
	s_barrier
	buffer_gl0_inv
                                        ; implicit-def: $vgpr5_vgpr6
                                        ; implicit-def: $vgpr7_vgpr8
                                        ; implicit-def: $vgpr9_vgpr10
                                        ; implicit-def: $vgpr11_vgpr12
                                        ; implicit-def: $vgpr13_vgpr14
                                        ; implicit-def: $vgpr15_vgpr16
                                        ; implicit-def: $vgpr17_vgpr18
                                        ; implicit-def: $vgpr19_vgpr20
                                        ; implicit-def: $vgpr21_vgpr22
                                        ; implicit-def: $vgpr23_vgpr24
                                        ; implicit-def: $vgpr25_vgpr26
                                        ; implicit-def: $vgpr27_vgpr28
                                        ; implicit-def: $vgpr29_vgpr30
                                        ; implicit-def: $vgpr31_vgpr32
                                        ; implicit-def: $vgpr33_vgpr34
                                        ; implicit-def: $vgpr35_vgpr36
	s_branch .LBB707_16
.LBB707_15:                             ;   in Loop: Header=BB707_16 Depth=2
	s_or_b32 exec_lo, exec_lo, s14
	s_addk_i32 s5, 0xf000
	s_cmp_ge_u32 s16, s61
	s_mov_b32 s56, s16
	s_cbranch_scc1 .LBB707_84
.LBB707_16:                             ;   Parent Loop BB707_12 Depth=1
                                        ; =>  This Inner Loop Header: Depth=2
	s_add_i32 s16, s56, 0x1000
	s_mov_b32 s14, -1
	s_cmp_gt_u32 s16, s61
                                        ; implicit-def: $vgpr47_vgpr48
                                        ; implicit-def: $vgpr51_vgpr52
                                        ; implicit-def: $vgpr55_vgpr56
                                        ; implicit-def: $vgpr37_vgpr38
                                        ; implicit-def: $vgpr39_vgpr40
                                        ; implicit-def: $vgpr41_vgpr42
                                        ; implicit-def: $vgpr43_vgpr44
                                        ; implicit-def: $vgpr45_vgpr46
                                        ; implicit-def: $vgpr49_vgpr50
                                        ; implicit-def: $vgpr53_vgpr54
                                        ; implicit-def: $vgpr57_vgpr58
                                        ; implicit-def: $vgpr59_vgpr60
                                        ; implicit-def: $vgpr61_vgpr62
                                        ; implicit-def: $vgpr63_vgpr64
                                        ; implicit-def: $vgpr65_vgpr66
                                        ; implicit-def: $vgpr67_vgpr68
	s_cbranch_scc1 .LBB707_18
; %bb.17:                               ;   in Loop: Header=BB707_16 Depth=2
	s_lshl_b64 s[14:15], s[56:57], 3
	v_add_co_u32 v47, vcc_lo, v75, s14
	v_add_co_ci_u32_e64 v48, null, s15, v76, vcc_lo
	s_mov_b32 s14, 0
	v_add_co_u32 v55, vcc_lo, v47, 0x1000
	v_add_co_ci_u32_e64 v56, null, 0, v48, vcc_lo
	v_add_co_u32 v39, vcc_lo, v47, 0x2000
	v_add_co_ci_u32_e64 v40, null, 0, v48, vcc_lo
	;; [unrolled: 2-line block ×5, first 2 shown]
	s_clause 0x7
	global_load_dwordx2 v[37:38], v[39:40], off offset:-2048
	global_load_dwordx2 v[39:40], v[39:40], off
	global_load_dwordx2 v[41:42], v[43:44], off offset:-2048
	global_load_dwordx2 v[43:44], v[43:44], off
	;; [unrolled: 2-line block ×4, first 2 shown]
	v_add_co_u32 v51, vcc_lo, v47, 0x6000
	v_add_co_ci_u32_e64 v52, null, 0, v48, vcc_lo
	v_add_co_u32 v65, vcc_lo, v47, 0x7000
	v_add_co_ci_u32_e64 v66, null, 0, v48, vcc_lo
	;; [unrolled: 2-line block ×3, first 2 shown]
	s_clause 0x7
	global_load_dwordx2 v[59:60], v[51:52], off offset:-2048
	global_load_dwordx2 v[61:62], v[51:52], off
	global_load_dwordx2 v[63:64], v[65:66], off offset:-2048
	global_load_dwordx2 v[65:66], v[65:66], off
	global_load_dwordx2 v[47:48], v[47:48], off
	global_load_dwordx2 v[51:52], v[55:56], off offset:-2048
	global_load_dwordx2 v[55:56], v[55:56], off
	global_load_dwordx2 v[67:68], v[67:68], off
.LBB707_18:                             ;   in Loop: Header=BB707_16 Depth=2
	s_andn2_b32 vcc_lo, exec_lo, s14
	s_movk_i32 s14, 0x1000
	s_cbranch_vccnz .LBB707_37
; %bb.19:                               ;   in Loop: Header=BB707_16 Depth=2
	s_lshl_b64 s[14:15], s[56:57], 3
	s_mov_b32 s17, exec_lo
	s_add_u32 s14, s44, s14
	s_addc_u32 s15, s45, s15
	v_cmpx_gt_u32_e64 s5, v0
	s_cbranch_execnz .LBB707_69
; %bb.20:                               ;   in Loop: Header=BB707_16 Depth=2
	s_or_b32 exec_lo, exec_lo, s17
	s_mov_b32 s17, exec_lo
	v_cmpx_gt_u32_e64 s5, v74
	s_cbranch_execnz .LBB707_70
.LBB707_21:                             ;   in Loop: Header=BB707_16 Depth=2
	s_or_b32 exec_lo, exec_lo, s17
	s_mov_b32 s17, exec_lo
	v_cmpx_gt_u32_e64 s5, v77
	s_cbranch_execnz .LBB707_71
.LBB707_22:                             ;   in Loop: Header=BB707_16 Depth=2
	s_or_b32 exec_lo, exec_lo, s17
	s_mov_b32 s17, exec_lo
	v_cmpx_gt_u32_e64 s5, v78
	s_cbranch_execnz .LBB707_72
.LBB707_23:                             ;   in Loop: Header=BB707_16 Depth=2
	s_or_b32 exec_lo, exec_lo, s17
	s_mov_b32 s17, exec_lo
	v_cmpx_gt_u32_e64 s5, v79
	s_cbranch_execnz .LBB707_73
.LBB707_24:                             ;   in Loop: Header=BB707_16 Depth=2
	s_or_b32 exec_lo, exec_lo, s17
	s_mov_b32 s17, exec_lo
	v_cmpx_gt_u32_e64 s5, v80
	s_cbranch_execnz .LBB707_74
.LBB707_25:                             ;   in Loop: Header=BB707_16 Depth=2
	s_or_b32 exec_lo, exec_lo, s17
	s_mov_b32 s17, exec_lo
	v_cmpx_gt_u32_e64 s5, v81
	s_cbranch_execnz .LBB707_75
.LBB707_26:                             ;   in Loop: Header=BB707_16 Depth=2
	s_or_b32 exec_lo, exec_lo, s17
	s_mov_b32 s17, exec_lo
	v_cmpx_gt_u32_e64 s5, v82
	s_cbranch_execnz .LBB707_76
.LBB707_27:                             ;   in Loop: Header=BB707_16 Depth=2
	s_or_b32 exec_lo, exec_lo, s17
	s_mov_b32 s17, exec_lo
	v_cmpx_gt_u32_e64 s5, v83
	s_cbranch_execnz .LBB707_77
.LBB707_28:                             ;   in Loop: Header=BB707_16 Depth=2
	s_or_b32 exec_lo, exec_lo, s17
	s_mov_b32 s17, exec_lo
	v_cmpx_gt_u32_e64 s5, v84
	s_cbranch_execnz .LBB707_78
.LBB707_29:                             ;   in Loop: Header=BB707_16 Depth=2
	s_or_b32 exec_lo, exec_lo, s17
	s_mov_b32 s17, exec_lo
	v_cmpx_gt_u32_e64 s5, v85
	s_cbranch_execnz .LBB707_79
.LBB707_30:                             ;   in Loop: Header=BB707_16 Depth=2
	s_or_b32 exec_lo, exec_lo, s17
	s_mov_b32 s17, exec_lo
	v_cmpx_gt_u32_e64 s5, v86
	s_cbranch_execnz .LBB707_80
.LBB707_31:                             ;   in Loop: Header=BB707_16 Depth=2
	s_or_b32 exec_lo, exec_lo, s17
	s_mov_b32 s17, exec_lo
	v_cmpx_gt_u32_e64 s5, v87
	s_cbranch_execnz .LBB707_81
.LBB707_32:                             ;   in Loop: Header=BB707_16 Depth=2
	s_or_b32 exec_lo, exec_lo, s17
	s_mov_b32 s17, exec_lo
	v_cmpx_gt_u32_e64 s5, v88
	s_cbranch_execnz .LBB707_82
.LBB707_33:                             ;   in Loop: Header=BB707_16 Depth=2
	s_or_b32 exec_lo, exec_lo, s17
	s_mov_b32 s17, exec_lo
	v_cmpx_gt_u32_e64 s5, v89
	s_cbranch_execnz .LBB707_83
.LBB707_34:                             ;   in Loop: Header=BB707_16 Depth=2
	s_or_b32 exec_lo, exec_lo, s17
	s_mov_b32 s17, exec_lo
	v_cmpx_gt_u32_e64 s5, v90
	s_cbranch_execz .LBB707_36
.LBB707_35:                             ;   in Loop: Header=BB707_16 Depth=2
	v_lshlrev_b32_e32 v5, 3, v90
	global_load_dwordx2 v[5:6], v5, s[14:15]
.LBB707_36:                             ;   in Loop: Header=BB707_16 Depth=2
	s_or_b32 exec_lo, exec_lo, s17
	s_waitcnt vmcnt(0)
	v_mov_b32_e32 v48, v36
	v_mov_b32_e32 v52, v34
	;; [unrolled: 1-line block ×32, first 2 shown]
	s_mov_b32 s14, s5
.LBB707_37:                             ;   in Loop: Header=BB707_16 Depth=2
	s_waitcnt vmcnt(0)
	v_mov_b32_e32 v5, v67
	v_mov_b32_e32 v7, v65
	;; [unrolled: 1-line block ×32, first 2 shown]
	s_mov_b32 s15, exec_lo
	v_cmpx_gt_u32_e64 s14, v0
	s_cbranch_execnz .LBB707_53
; %bb.38:                               ;   in Loop: Header=BB707_16 Depth=2
	s_or_b32 exec_lo, exec_lo, s15
	s_mov_b32 s15, exec_lo
	v_cmpx_gt_u32_e64 s14, v74
	s_cbranch_execnz .LBB707_54
.LBB707_39:                             ;   in Loop: Header=BB707_16 Depth=2
	s_or_b32 exec_lo, exec_lo, s15
	s_mov_b32 s15, exec_lo
	v_cmpx_gt_u32_e64 s14, v77
	s_cbranch_execnz .LBB707_55
.LBB707_40:                             ;   in Loop: Header=BB707_16 Depth=2
	s_or_b32 exec_lo, exec_lo, s15
	s_mov_b32 s15, exec_lo
	v_cmpx_gt_u32_e64 s14, v78
	s_cbranch_execnz .LBB707_56
.LBB707_41:                             ;   in Loop: Header=BB707_16 Depth=2
	s_or_b32 exec_lo, exec_lo, s15
	s_mov_b32 s15, exec_lo
	v_cmpx_gt_u32_e64 s14, v79
	s_cbranch_execnz .LBB707_57
.LBB707_42:                             ;   in Loop: Header=BB707_16 Depth=2
	s_or_b32 exec_lo, exec_lo, s15
	s_mov_b32 s15, exec_lo
	v_cmpx_gt_u32_e64 s14, v80
	s_cbranch_execnz .LBB707_58
.LBB707_43:                             ;   in Loop: Header=BB707_16 Depth=2
	s_or_b32 exec_lo, exec_lo, s15
	s_mov_b32 s15, exec_lo
	v_cmpx_gt_u32_e64 s14, v81
	s_cbranch_execnz .LBB707_59
.LBB707_44:                             ;   in Loop: Header=BB707_16 Depth=2
	s_or_b32 exec_lo, exec_lo, s15
	s_mov_b32 s15, exec_lo
	v_cmpx_gt_u32_e64 s14, v82
	s_cbranch_execnz .LBB707_60
.LBB707_45:                             ;   in Loop: Header=BB707_16 Depth=2
	s_or_b32 exec_lo, exec_lo, s15
	s_mov_b32 s15, exec_lo
	v_cmpx_gt_u32_e64 s14, v83
	s_cbranch_execnz .LBB707_61
.LBB707_46:                             ;   in Loop: Header=BB707_16 Depth=2
	s_or_b32 exec_lo, exec_lo, s15
	s_mov_b32 s15, exec_lo
	v_cmpx_gt_u32_e64 s14, v84
	s_cbranch_execnz .LBB707_62
.LBB707_47:                             ;   in Loop: Header=BB707_16 Depth=2
	s_or_b32 exec_lo, exec_lo, s15
	s_mov_b32 s15, exec_lo
	v_cmpx_gt_u32_e64 s14, v85
	s_cbranch_execnz .LBB707_63
.LBB707_48:                             ;   in Loop: Header=BB707_16 Depth=2
	s_or_b32 exec_lo, exec_lo, s15
	s_mov_b32 s15, exec_lo
	v_cmpx_gt_u32_e64 s14, v86
	s_cbranch_execnz .LBB707_64
.LBB707_49:                             ;   in Loop: Header=BB707_16 Depth=2
	s_or_b32 exec_lo, exec_lo, s15
	s_mov_b32 s15, exec_lo
	v_cmpx_gt_u32_e64 s14, v87
	s_cbranch_execnz .LBB707_65
.LBB707_50:                             ;   in Loop: Header=BB707_16 Depth=2
	s_or_b32 exec_lo, exec_lo, s15
	s_mov_b32 s15, exec_lo
	v_cmpx_gt_u32_e64 s14, v88
	s_cbranch_execnz .LBB707_66
.LBB707_51:                             ;   in Loop: Header=BB707_16 Depth=2
	s_or_b32 exec_lo, exec_lo, s15
	s_mov_b32 s15, exec_lo
	v_cmpx_gt_u32_e64 s14, v89
	s_cbranch_execnz .LBB707_67
.LBB707_52:                             ;   in Loop: Header=BB707_16 Depth=2
	s_or_b32 exec_lo, exec_lo, s15
	v_cmp_gt_u32_e32 vcc_lo, s14, v90
	s_and_saveexec_b32 s14, vcc_lo
	s_cbranch_execz .LBB707_15
	s_branch .LBB707_68
.LBB707_53:                             ;   in Loop: Header=BB707_16 Depth=2
	v_xor_b32_e32 v38, 0x7fffffff, v36
	v_not_b32_e32 v37, v35
	v_lshrrev_b64 v[37:38], s47, v[37:38]
	v_and_b32_e32 v37, s63, v37
	v_lshl_or_b32 v37, v37, 4, v91
	ds_add_u32 v37, v119
	s_or_b32 exec_lo, exec_lo, s15
	s_mov_b32 s15, exec_lo
	v_cmpx_gt_u32_e64 s14, v74
	s_cbranch_execz .LBB707_39
.LBB707_54:                             ;   in Loop: Header=BB707_16 Depth=2
	v_xor_b32_e32 v38, 0x7fffffff, v34
	v_not_b32_e32 v37, v33
	v_lshrrev_b64 v[37:38], s47, v[37:38]
	v_and_b32_e32 v37, s63, v37
	v_lshl_or_b32 v37, v37, 4, v91
	ds_add_u32 v37, v119
	s_or_b32 exec_lo, exec_lo, s15
	s_mov_b32 s15, exec_lo
	v_cmpx_gt_u32_e64 s14, v77
	s_cbranch_execz .LBB707_40
.LBB707_55:                             ;   in Loop: Header=BB707_16 Depth=2
	v_xor_b32_e32 v38, 0x7fffffff, v32
	v_not_b32_e32 v37, v31
	v_lshrrev_b64 v[37:38], s47, v[37:38]
	v_and_b32_e32 v37, s63, v37
	v_lshl_or_b32 v37, v37, 4, v91
	ds_add_u32 v37, v119
	s_or_b32 exec_lo, exec_lo, s15
	s_mov_b32 s15, exec_lo
	v_cmpx_gt_u32_e64 s14, v78
	s_cbranch_execz .LBB707_41
.LBB707_56:                             ;   in Loop: Header=BB707_16 Depth=2
	v_xor_b32_e32 v38, 0x7fffffff, v30
	v_not_b32_e32 v37, v29
	v_lshrrev_b64 v[37:38], s47, v[37:38]
	v_and_b32_e32 v37, s63, v37
	v_lshl_or_b32 v37, v37, 4, v91
	ds_add_u32 v37, v119
	s_or_b32 exec_lo, exec_lo, s15
	s_mov_b32 s15, exec_lo
	v_cmpx_gt_u32_e64 s14, v79
	s_cbranch_execz .LBB707_42
.LBB707_57:                             ;   in Loop: Header=BB707_16 Depth=2
	v_xor_b32_e32 v38, 0x7fffffff, v28
	v_not_b32_e32 v37, v27
	v_lshrrev_b64 v[37:38], s47, v[37:38]
	v_and_b32_e32 v37, s63, v37
	v_lshl_or_b32 v37, v37, 4, v91
	ds_add_u32 v37, v119
	s_or_b32 exec_lo, exec_lo, s15
	s_mov_b32 s15, exec_lo
	v_cmpx_gt_u32_e64 s14, v80
	s_cbranch_execz .LBB707_43
.LBB707_58:                             ;   in Loop: Header=BB707_16 Depth=2
	v_xor_b32_e32 v38, 0x7fffffff, v26
	v_not_b32_e32 v37, v25
	v_lshrrev_b64 v[37:38], s47, v[37:38]
	v_and_b32_e32 v37, s63, v37
	v_lshl_or_b32 v37, v37, 4, v91
	ds_add_u32 v37, v119
	s_or_b32 exec_lo, exec_lo, s15
	s_mov_b32 s15, exec_lo
	v_cmpx_gt_u32_e64 s14, v81
	s_cbranch_execz .LBB707_44
.LBB707_59:                             ;   in Loop: Header=BB707_16 Depth=2
	v_xor_b32_e32 v38, 0x7fffffff, v24
	v_not_b32_e32 v37, v23
	v_lshrrev_b64 v[37:38], s47, v[37:38]
	v_and_b32_e32 v37, s63, v37
	v_lshl_or_b32 v37, v37, 4, v91
	ds_add_u32 v37, v119
	s_or_b32 exec_lo, exec_lo, s15
	s_mov_b32 s15, exec_lo
	v_cmpx_gt_u32_e64 s14, v82
	s_cbranch_execz .LBB707_45
.LBB707_60:                             ;   in Loop: Header=BB707_16 Depth=2
	v_xor_b32_e32 v38, 0x7fffffff, v22
	v_not_b32_e32 v37, v21
	v_lshrrev_b64 v[37:38], s47, v[37:38]
	v_and_b32_e32 v37, s63, v37
	v_lshl_or_b32 v37, v37, 4, v91
	ds_add_u32 v37, v119
	s_or_b32 exec_lo, exec_lo, s15
	s_mov_b32 s15, exec_lo
	v_cmpx_gt_u32_e64 s14, v83
	s_cbranch_execz .LBB707_46
.LBB707_61:                             ;   in Loop: Header=BB707_16 Depth=2
	v_xor_b32_e32 v38, 0x7fffffff, v20
	v_not_b32_e32 v37, v19
	v_lshrrev_b64 v[37:38], s47, v[37:38]
	v_and_b32_e32 v37, s63, v37
	v_lshl_or_b32 v37, v37, 4, v91
	ds_add_u32 v37, v119
	s_or_b32 exec_lo, exec_lo, s15
	s_mov_b32 s15, exec_lo
	v_cmpx_gt_u32_e64 s14, v84
	s_cbranch_execz .LBB707_47
.LBB707_62:                             ;   in Loop: Header=BB707_16 Depth=2
	v_xor_b32_e32 v38, 0x7fffffff, v18
	v_not_b32_e32 v37, v17
	v_lshrrev_b64 v[37:38], s47, v[37:38]
	v_and_b32_e32 v37, s63, v37
	v_lshl_or_b32 v37, v37, 4, v91
	ds_add_u32 v37, v119
	s_or_b32 exec_lo, exec_lo, s15
	s_mov_b32 s15, exec_lo
	v_cmpx_gt_u32_e64 s14, v85
	s_cbranch_execz .LBB707_48
.LBB707_63:                             ;   in Loop: Header=BB707_16 Depth=2
	v_xor_b32_e32 v38, 0x7fffffff, v16
	v_not_b32_e32 v37, v15
	v_lshrrev_b64 v[37:38], s47, v[37:38]
	v_and_b32_e32 v37, s63, v37
	v_lshl_or_b32 v37, v37, 4, v91
	ds_add_u32 v37, v119
	s_or_b32 exec_lo, exec_lo, s15
	s_mov_b32 s15, exec_lo
	v_cmpx_gt_u32_e64 s14, v86
	s_cbranch_execz .LBB707_49
.LBB707_64:                             ;   in Loop: Header=BB707_16 Depth=2
	v_xor_b32_e32 v38, 0x7fffffff, v14
	v_not_b32_e32 v37, v13
	v_lshrrev_b64 v[37:38], s47, v[37:38]
	v_and_b32_e32 v37, s63, v37
	v_lshl_or_b32 v37, v37, 4, v91
	ds_add_u32 v37, v119
	s_or_b32 exec_lo, exec_lo, s15
	s_mov_b32 s15, exec_lo
	v_cmpx_gt_u32_e64 s14, v87
	s_cbranch_execz .LBB707_50
.LBB707_65:                             ;   in Loop: Header=BB707_16 Depth=2
	v_xor_b32_e32 v38, 0x7fffffff, v12
	v_not_b32_e32 v37, v11
	v_lshrrev_b64 v[37:38], s47, v[37:38]
	v_and_b32_e32 v37, s63, v37
	v_lshl_or_b32 v37, v37, 4, v91
	ds_add_u32 v37, v119
	s_or_b32 exec_lo, exec_lo, s15
	s_mov_b32 s15, exec_lo
	v_cmpx_gt_u32_e64 s14, v88
	s_cbranch_execz .LBB707_51
.LBB707_66:                             ;   in Loop: Header=BB707_16 Depth=2
	v_xor_b32_e32 v38, 0x7fffffff, v10
	v_not_b32_e32 v37, v9
	v_lshrrev_b64 v[37:38], s47, v[37:38]
	v_and_b32_e32 v37, s63, v37
	v_lshl_or_b32 v37, v37, 4, v91
	ds_add_u32 v37, v119
	s_or_b32 exec_lo, exec_lo, s15
	s_mov_b32 s15, exec_lo
	v_cmpx_gt_u32_e64 s14, v89
	s_cbranch_execz .LBB707_52
.LBB707_67:                             ;   in Loop: Header=BB707_16 Depth=2
	v_xor_b32_e32 v38, 0x7fffffff, v8
	v_not_b32_e32 v37, v7
	v_lshrrev_b64 v[37:38], s47, v[37:38]
	v_and_b32_e32 v37, s63, v37
	v_lshl_or_b32 v37, v37, 4, v91
	ds_add_u32 v37, v119
	s_or_b32 exec_lo, exec_lo, s15
	v_cmp_gt_u32_e32 vcc_lo, s14, v90
	s_and_saveexec_b32 s14, vcc_lo
	s_cbranch_execz .LBB707_15
.LBB707_68:                             ;   in Loop: Header=BB707_16 Depth=2
	v_xor_b32_e32 v38, 0x7fffffff, v6
	v_not_b32_e32 v37, v5
	v_lshrrev_b64 v[37:38], s47, v[37:38]
	v_and_b32_e32 v37, s63, v37
	v_lshl_or_b32 v37, v37, 4, v91
	ds_add_u32 v37, v119
	s_branch .LBB707_15
.LBB707_69:                             ;   in Loop: Header=BB707_16 Depth=2
	global_load_dwordx2 v[35:36], v120, s[14:15]
	s_or_b32 exec_lo, exec_lo, s17
	s_mov_b32 s17, exec_lo
	v_cmpx_gt_u32_e64 s5, v74
	s_cbranch_execz .LBB707_21
.LBB707_70:                             ;   in Loop: Header=BB707_16 Depth=2
	global_load_dwordx2 v[33:34], v121, s[14:15]
	s_or_b32 exec_lo, exec_lo, s17
	s_mov_b32 s17, exec_lo
	v_cmpx_gt_u32_e64 s5, v77
	s_cbranch_execz .LBB707_22
.LBB707_71:                             ;   in Loop: Header=BB707_16 Depth=2
	global_load_dwordx2 v[31:32], v122, s[14:15]
	s_or_b32 exec_lo, exec_lo, s17
	s_mov_b32 s17, exec_lo
	v_cmpx_gt_u32_e64 s5, v78
	s_cbranch_execz .LBB707_23
.LBB707_72:                             ;   in Loop: Header=BB707_16 Depth=2
	global_load_dwordx2 v[29:30], v123, s[14:15]
	s_or_b32 exec_lo, exec_lo, s17
	s_mov_b32 s17, exec_lo
	v_cmpx_gt_u32_e64 s5, v79
	s_cbranch_execz .LBB707_24
.LBB707_73:                             ;   in Loop: Header=BB707_16 Depth=2
	global_load_dwordx2 v[27:28], v124, s[14:15]
	s_or_b32 exec_lo, exec_lo, s17
	s_mov_b32 s17, exec_lo
	v_cmpx_gt_u32_e64 s5, v80
	s_cbranch_execz .LBB707_25
.LBB707_74:                             ;   in Loop: Header=BB707_16 Depth=2
	global_load_dwordx2 v[25:26], v125, s[14:15]
	s_or_b32 exec_lo, exec_lo, s17
	s_mov_b32 s17, exec_lo
	v_cmpx_gt_u32_e64 s5, v81
	s_cbranch_execz .LBB707_26
.LBB707_75:                             ;   in Loop: Header=BB707_16 Depth=2
	v_lshlrev_b32_e32 v23, 3, v81
	global_load_dwordx2 v[23:24], v23, s[14:15]
	s_or_b32 exec_lo, exec_lo, s17
	s_mov_b32 s17, exec_lo
	v_cmpx_gt_u32_e64 s5, v82
	s_cbranch_execz .LBB707_27
.LBB707_76:                             ;   in Loop: Header=BB707_16 Depth=2
	v_lshlrev_b32_e32 v21, 3, v82
	global_load_dwordx2 v[21:22], v21, s[14:15]
	s_or_b32 exec_lo, exec_lo, s17
	s_mov_b32 s17, exec_lo
	v_cmpx_gt_u32_e64 s5, v83
	s_cbranch_execz .LBB707_28
.LBB707_77:                             ;   in Loop: Header=BB707_16 Depth=2
	v_lshlrev_b32_e32 v19, 3, v83
	global_load_dwordx2 v[19:20], v19, s[14:15]
	s_or_b32 exec_lo, exec_lo, s17
	s_mov_b32 s17, exec_lo
	v_cmpx_gt_u32_e64 s5, v84
	s_cbranch_execz .LBB707_29
.LBB707_78:                             ;   in Loop: Header=BB707_16 Depth=2
	v_lshlrev_b32_e32 v17, 3, v84
	global_load_dwordx2 v[17:18], v17, s[14:15]
	s_or_b32 exec_lo, exec_lo, s17
	s_mov_b32 s17, exec_lo
	v_cmpx_gt_u32_e64 s5, v85
	s_cbranch_execz .LBB707_30
.LBB707_79:                             ;   in Loop: Header=BB707_16 Depth=2
	v_lshlrev_b32_e32 v15, 3, v85
	global_load_dwordx2 v[15:16], v15, s[14:15]
	s_or_b32 exec_lo, exec_lo, s17
	s_mov_b32 s17, exec_lo
	v_cmpx_gt_u32_e64 s5, v86
	s_cbranch_execz .LBB707_31
.LBB707_80:                             ;   in Loop: Header=BB707_16 Depth=2
	v_lshlrev_b32_e32 v13, 3, v86
	global_load_dwordx2 v[13:14], v13, s[14:15]
	s_or_b32 exec_lo, exec_lo, s17
	s_mov_b32 s17, exec_lo
	v_cmpx_gt_u32_e64 s5, v87
	s_cbranch_execz .LBB707_32
.LBB707_81:                             ;   in Loop: Header=BB707_16 Depth=2
	v_lshlrev_b32_e32 v11, 3, v87
	global_load_dwordx2 v[11:12], v11, s[14:15]
	s_or_b32 exec_lo, exec_lo, s17
	s_mov_b32 s17, exec_lo
	v_cmpx_gt_u32_e64 s5, v88
	s_cbranch_execz .LBB707_33
.LBB707_82:                             ;   in Loop: Header=BB707_16 Depth=2
	v_lshlrev_b32_e32 v9, 3, v88
	global_load_dwordx2 v[9:10], v9, s[14:15]
	s_or_b32 exec_lo, exec_lo, s17
	s_mov_b32 s17, exec_lo
	v_cmpx_gt_u32_e64 s5, v89
	s_cbranch_execz .LBB707_34
.LBB707_83:                             ;   in Loop: Header=BB707_16 Depth=2
	v_lshlrev_b32_e32 v7, 3, v89
	global_load_dwordx2 v[7:8], v7, s[14:15]
	s_or_b32 exec_lo, exec_lo, s17
	s_mov_b32 s17, exec_lo
	v_cmpx_gt_u32_e64 s5, v90
	s_cbranch_execnz .LBB707_35
	s_branch .LBB707_36
.LBB707_84:                             ;   in Loop: Header=BB707_12 Depth=1
	v_mov_b32_e32 v5, 0
	s_waitcnt lgkmcnt(0)
	s_barrier
	buffer_gl0_inv
	s_and_saveexec_b32 s5, s7
	s_cbranch_execz .LBB707_86
; %bb.85:                               ;   in Loop: Header=BB707_12 Depth=1
	ds_read2_b64 v[5:8], v93 offset1:1
	s_waitcnt lgkmcnt(0)
	v_add_nc_u32_e32 v5, v6, v5
	v_add3_u32 v5, v5, v7, v8
.LBB707_86:                             ;   in Loop: Header=BB707_12 Depth=1
	s_or_b32 exec_lo, exec_lo, s5
	v_and_b32_e32 v6, 15, v126
	v_mov_b32_dpp v7, v5 row_shr:1 row_mask:0xf bank_mask:0xf
	v_and_b32_e32 v8, 16, v126
	v_cmp_eq_u32_e64 s5, 0, v6
	v_cmp_lt_u32_e64 s14, 1, v6
	v_cmp_lt_u32_e64 s15, 3, v6
	;; [unrolled: 1-line block ×3, first 2 shown]
	v_cmp_eq_u32_e64 s17, 0, v8
	v_cndmask_b32_e64 v7, v7, 0, s5
	v_add_nc_u32_e32 v5, v7, v5
	v_mov_b32_dpp v7, v5 row_shr:2 row_mask:0xf bank_mask:0xf
	v_cndmask_b32_e64 v7, 0, v7, s14
	v_add_nc_u32_e32 v5, v5, v7
	v_mov_b32_dpp v7, v5 row_shr:4 row_mask:0xf bank_mask:0xf
	;; [unrolled: 3-line block ×3, first 2 shown]
	v_cndmask_b32_e64 v6, 0, v7, s16
	v_bfe_i32 v7, v126, 4, 1
	v_add_nc_u32_e32 v5, v5, v6
	ds_swizzle_b32 v6, v5 offset:swizzle(BROADCAST,32,15)
	s_waitcnt lgkmcnt(0)
	v_and_b32_e32 v6, v7, v6
	v_add_nc_u32_e32 v5, v5, v6
	s_and_saveexec_b32 s18, s8
; %bb.87:                               ;   in Loop: Header=BB707_12 Depth=1
	ds_write_b32 v94, v5
; %bb.88:                               ;   in Loop: Header=BB707_12 Depth=1
	s_or_b32 exec_lo, exec_lo, s18
	s_waitcnt lgkmcnt(0)
	s_barrier
	buffer_gl0_inv
	s_and_saveexec_b32 s18, s9
	s_cbranch_execz .LBB707_90
; %bb.89:                               ;   in Loop: Header=BB707_12 Depth=1
	ds_read_b32 v6, v95
	v_and_b32_e32 v7, 3, v126
	v_cmp_ne_u32_e32 vcc_lo, 0, v7
	s_waitcnt lgkmcnt(0)
	v_mov_b32_dpp v8, v6 row_shr:1 row_mask:0xf bank_mask:0xf
	v_cndmask_b32_e32 v8, 0, v8, vcc_lo
	v_cmp_lt_u32_e32 vcc_lo, 1, v7
	v_add_nc_u32_e32 v6, v8, v6
	v_mov_b32_dpp v8, v6 row_shr:2 row_mask:0xf bank_mask:0xf
	v_cndmask_b32_e32 v7, 0, v8, vcc_lo
	v_add_nc_u32_e32 v6, v6, v7
	ds_write_b32 v95, v6
.LBB707_90:                             ;   in Loop: Header=BB707_12 Depth=1
	s_or_b32 exec_lo, exec_lo, s18
	v_mov_b32_e32 v6, 0
	s_waitcnt lgkmcnt(0)
	s_barrier
	buffer_gl0_inv
	s_and_saveexec_b32 s18, s10
; %bb.91:                               ;   in Loop: Header=BB707_12 Depth=1
	ds_read_b32 v6, v96
; %bb.92:                               ;   in Loop: Header=BB707_12 Depth=1
	s_or_b32 exec_lo, exec_lo, s18
	v_sub_co_u32 v7, s18, v126, 1
	s_waitcnt lgkmcnt(0)
	v_add_nc_u32_e32 v5, v6, v5
	s_barrier
	v_cmp_gt_i32_e32 vcc_lo, 0, v7
	buffer_gl0_inv
	v_cndmask_b32_e32 v7, v7, v126, vcc_lo
	v_lshlrev_b32_e32 v127, 2, v7
	ds_bpermute_b32 v5, v127, v5
	s_and_saveexec_b32 s19, s7
	s_cbranch_execz .LBB707_94
; %bb.93:                               ;   in Loop: Header=BB707_12 Depth=1
	s_waitcnt lgkmcnt(0)
	v_cndmask_b32_e64 v5, v5, v6, s18
	v_add_nc_u32_e32 v5, s60, v5
	ds_write_b32 v73, v5
.LBB707_94:                             ;   in Loop: Header=BB707_12 Depth=1
	s_or_b32 exec_lo, exec_lo, s19
	s_clause 0x1
	s_load_dword s19, s[58:59], 0x4
	s_load_dword s22, s[58:59], 0xc
	v_and_b32_e32 v6, 7, v126
	v_lshlrev_b32_e32 v7, 3, v126
	v_or_b32_e32 v128, v126, v97
	s_mov_b32 s64, s62
	s_mov_b32 s56, s60
                                        ; implicit-def: $vgpr9_vgpr10
                                        ; implicit-def: $vgpr11_vgpr12
                                        ; implicit-def: $vgpr13_vgpr14
                                        ; implicit-def: $vgpr17_vgpr18
                                        ; implicit-def: $vgpr21_vgpr22
                                        ; implicit-def: $vgpr25_vgpr26
                                        ; implicit-def: $vgpr15_vgpr16
                                        ; implicit-def: $vgpr19_vgpr20
                                        ; implicit-def: $vgpr23_vgpr24
                                        ; implicit-def: $vgpr27_vgpr28
                                        ; implicit-def: $vgpr29_vgpr30
                                        ; implicit-def: $vgpr31_vgpr32
                                        ; implicit-def: $vgpr33_vgpr34
                                        ; implicit-def: $vgpr35_vgpr36
                                        ; implicit-def: $vgpr149
                                        ; implicit-def: $vgpr150
                                        ; implicit-def: $vgpr151
                                        ; implicit-def: $vgpr152
                                        ; implicit-def: $vgpr153
                                        ; implicit-def: $vgpr154
                                        ; implicit-def: $vgpr155
                                        ; implicit-def: $vgpr156
                                        ; implicit-def: $vgpr157
                                        ; implicit-def: $vgpr158
                                        ; implicit-def: $vgpr159
                                        ; implicit-def: $vgpr160
                                        ; implicit-def: $vgpr161
                                        ; implicit-def: $vgpr162
                                        ; implicit-def: $vgpr164
                                        ; implicit-def: $vgpr165
                                        ; implicit-def: $vgpr163
                                        ; implicit-def: $vgpr166
	v_add_co_u32 v129, vcc_lo, v102, v7
	v_add_co_ci_u32_e64 v130, null, 0, v103, vcc_lo
	v_add_co_u32 v146, vcc_lo, v104, v7
	v_or_b32_e32 v131, 32, v128
	v_or_b32_e32 v132, 64, v128
	;; [unrolled: 1-line block ×6, first 2 shown]
	s_waitcnt lgkmcnt(0)
	s_cmp_lt_u32 s27, s19
	v_or_b32_e32 v137, 0xe0, v128
	s_cselect_b32 s19, 14, 20
	v_or_b32_e32 v138, 0x100, v128
	s_add_u32 s20, s58, s19
	s_addc_u32 s21, s59, 0
	s_and_b32 s22, s22, 0xffff
	global_load_ushort v5, v3, s[20:21]
	v_cmp_eq_u32_e64 s19, 0, v6
	v_cmp_lt_u32_e64 s20, 1, v6
	v_cmp_lt_u32_e64 s21, 3, v6
	v_or_b32_e32 v139, 0x120, v128
	v_or_b32_e32 v140, 0x140, v128
	;; [unrolled: 1-line block ×7, first 2 shown]
	v_add_co_ci_u32_e64 v147, null, 0, v105, vcc_lo
                                        ; implicit-def: $vgpr7_vgpr8
	s_waitcnt vmcnt(0)
	v_mad_u32_u24 v5, v2, v5, v1
	v_mad_u64_u32 v[5:6], null, v5, s22, v[0:1]
	v_lshrrev_b32_e32 v5, 3, v5
	v_and_b32_e32 v148, 0x1ffffffc, v5
                                        ; implicit-def: $vgpr5_vgpr6
	s_branch .LBB707_96
.LBB707_95:                             ;   in Loop: Header=BB707_96 Depth=2
	s_or_b32 exec_lo, exec_lo, s22
	s_addk_i32 s64, 0xf000
	s_cmp_lt_u32 s65, s61
	s_mov_b32 s56, s65
	s_cbranch_scc0 .LBB707_306
.LBB707_96:                             ;   Parent Loop BB707_12 Depth=1
                                        ; =>  This Inner Loop Header: Depth=2
	s_add_i32 s65, s56, 0x1000
	s_cmp_gt_u32 s65, s61
	s_cbranch_scc1 .LBB707_98
; %bb.97:                               ;   in Loop: Header=BB707_96 Depth=2
	s_lshl_b64 s[22:23], s[56:57], 3
	v_add_co_u32 v37, vcc_lo, v146, s22
	v_add_co_ci_u32_e64 v38, null, s23, v147, vcc_lo
	v_add_co_u32 v45, vcc_lo, 0x800, v37
	v_add_co_ci_u32_e64 v46, null, 0, v38, vcc_lo
	s_clause 0xe
	global_load_dwordx2 v[39:40], v[37:38], off
	global_load_dwordx2 v[41:42], v[37:38], off offset:256
	global_load_dwordx2 v[43:44], v[37:38], off offset:512
	;; [unrolled: 1-line block ×7, first 2 shown]
	global_load_dwordx2 v[67:68], v[45:46], off
	global_load_dwordx2 v[63:64], v[45:46], off offset:256
	global_load_dwordx2 v[59:60], v[45:46], off offset:512
	;; [unrolled: 1-line block ×6, first 2 shown]
	s_mov_b32 s22, -1
	s_movk_i32 s23, 0x1000
	s_cbranch_execz .LBB707_99
	s_branch .LBB707_130
.LBB707_98:                             ;   in Loop: Header=BB707_96 Depth=2
	s_mov_b32 s22, 0
                                        ; implicit-def: $vgpr39_vgpr40
                                        ; implicit-def: $vgpr41_vgpr42
                                        ; implicit-def: $vgpr43_vgpr44
                                        ; implicit-def: $vgpr47_vgpr48
                                        ; implicit-def: $vgpr53_vgpr54
                                        ; implicit-def: $vgpr57_vgpr58
                                        ; implicit-def: $vgpr61_vgpr62
                                        ; implicit-def: $vgpr65_vgpr66
                                        ; implicit-def: $vgpr67_vgpr68
                                        ; implicit-def: $vgpr63_vgpr64
                                        ; implicit-def: $vgpr59_vgpr60
                                        ; implicit-def: $vgpr55_vgpr56
                                        ; implicit-def: $vgpr51_vgpr52
                                        ; implicit-def: $vgpr49_vgpr50
                                        ; implicit-def: $vgpr45_vgpr46
	s_movk_i32 s23, 0x1000
.LBB707_99:                             ;   in Loop: Header=BB707_96 Depth=2
	s_waitcnt vmcnt(13)
	v_mov_b32_e32 v41, v3
	v_mov_b32_e32 v42, v4
	s_lshl_b64 s[22:23], s[56:57], 3
	v_add_co_u32 v37, vcc_lo, v146, s22
	v_mov_b32_e32 v39, v41
	v_add_co_ci_u32_e64 v38, null, s23, v147, vcc_lo
	v_mov_b32_e32 v40, v42
	s_mov_b32 s22, exec_lo
	v_cmpx_gt_u32_e64 s64, v128
	s_cbranch_execz .LBB707_101
; %bb.100:                              ;   in Loop: Header=BB707_96 Depth=2
	global_load_dwordx2 v[39:40], v[37:38], off
.LBB707_101:                            ;   in Loop: Header=BB707_96 Depth=2
	s_or_b32 exec_lo, exec_lo, s22
	s_mov_b32 s22, exec_lo
	v_cmpx_gt_u32_e64 s64, v131
	s_cbranch_execz .LBB707_103
; %bb.102:                              ;   in Loop: Header=BB707_96 Depth=2
	global_load_dwordx2 v[41:42], v[37:38], off offset:256
.LBB707_103:                            ;   in Loop: Header=BB707_96 Depth=2
	s_or_b32 exec_lo, exec_lo, s22
	s_waitcnt vmcnt(12)
	v_mov_b32_e32 v44, v4
	v_mov_b32_e32 v43, v3
	s_mov_b32 s22, exec_lo
	v_cmpx_gt_u32_e64 s64, v132
	s_cbranch_execz .LBB707_105
; %bb.104:                              ;   in Loop: Header=BB707_96 Depth=2
	global_load_dwordx2 v[43:44], v[37:38], off offset:512
.LBB707_105:                            ;   in Loop: Header=BB707_96 Depth=2
	s_or_b32 exec_lo, exec_lo, s22
	s_waitcnt vmcnt(11)
	v_mov_b32_e32 v48, v4
	v_mov_b32_e32 v47, v3
	;; [unrolled: 10-line block ×7, first 2 shown]
	s_mov_b32 s22, exec_lo
	v_cmpx_gt_u32_e64 s64, v138
	s_cbranch_execz .LBB707_117
; %bb.116:                              ;   in Loop: Header=BB707_96 Depth=2
	s_waitcnt vmcnt(0)
	v_add_co_u32 v45, vcc_lo, 0x800, v37
	v_add_co_ci_u32_e64 v46, null, 0, v38, vcc_lo
	global_load_dwordx2 v[67:68], v[45:46], off
.LBB707_117:                            ;   in Loop: Header=BB707_96 Depth=2
	s_or_b32 exec_lo, exec_lo, s22
	s_waitcnt vmcnt(5)
	v_mov_b32_e32 v64, v4
	v_mov_b32_e32 v63, v3
	s_mov_b32 s22, exec_lo
	v_cmpx_gt_u32_e64 s64, v139
	s_cbranch_execz .LBB707_119
; %bb.118:                              ;   in Loop: Header=BB707_96 Depth=2
	s_waitcnt vmcnt(0)
	v_add_co_u32 v45, vcc_lo, 0x800, v37
	v_add_co_ci_u32_e64 v46, null, 0, v38, vcc_lo
	global_load_dwordx2 v[63:64], v[45:46], off offset:256
.LBB707_119:                            ;   in Loop: Header=BB707_96 Depth=2
	s_or_b32 exec_lo, exec_lo, s22
	s_waitcnt vmcnt(4)
	v_mov_b32_e32 v60, v4
	v_mov_b32_e32 v59, v3
	s_mov_b32 s22, exec_lo
	v_cmpx_gt_u32_e64 s64, v140
	s_cbranch_execz .LBB707_121
; %bb.120:                              ;   in Loop: Header=BB707_96 Depth=2
	s_waitcnt vmcnt(0)
	v_add_co_u32 v45, vcc_lo, 0x800, v37
	v_add_co_ci_u32_e64 v46, null, 0, v38, vcc_lo
	global_load_dwordx2 v[59:60], v[45:46], off offset:512
.LBB707_121:                            ;   in Loop: Header=BB707_96 Depth=2
	s_or_b32 exec_lo, exec_lo, s22
	s_waitcnt vmcnt(3)
	v_mov_b32_e32 v56, v4
	v_mov_b32_e32 v55, v3
	s_mov_b32 s22, exec_lo
	v_cmpx_gt_u32_e64 s64, v141
	s_cbranch_execz .LBB707_123
; %bb.122:                              ;   in Loop: Header=BB707_96 Depth=2
	s_waitcnt vmcnt(0)
	v_add_co_u32 v45, vcc_lo, 0x800, v37
	v_add_co_ci_u32_e64 v46, null, 0, v38, vcc_lo
	global_load_dwordx2 v[55:56], v[45:46], off offset:768
.LBB707_123:                            ;   in Loop: Header=BB707_96 Depth=2
	s_or_b32 exec_lo, exec_lo, s22
	s_waitcnt vmcnt(2)
	v_mov_b32_e32 v52, v4
	v_mov_b32_e32 v51, v3
	s_mov_b32 s22, exec_lo
	v_cmpx_gt_u32_e64 s64, v142
	s_cbranch_execz .LBB707_125
; %bb.124:                              ;   in Loop: Header=BB707_96 Depth=2
	s_waitcnt vmcnt(0)
	v_add_co_u32 v45, vcc_lo, 0x800, v37
	v_add_co_ci_u32_e64 v46, null, 0, v38, vcc_lo
	global_load_dwordx2 v[51:52], v[45:46], off offset:1024
.LBB707_125:                            ;   in Loop: Header=BB707_96 Depth=2
	s_or_b32 exec_lo, exec_lo, s22
	s_waitcnt vmcnt(1)
	v_mov_b32_e32 v50, v4
	v_mov_b32_e32 v49, v3
	s_mov_b32 s22, exec_lo
	v_cmpx_gt_u32_e64 s64, v143
	s_cbranch_execz .LBB707_127
; %bb.126:                              ;   in Loop: Header=BB707_96 Depth=2
	s_waitcnt vmcnt(0)
	v_add_co_u32 v45, vcc_lo, 0x800, v37
	v_add_co_ci_u32_e64 v46, null, 0, v38, vcc_lo
	global_load_dwordx2 v[49:50], v[45:46], off offset:1280
.LBB707_127:                            ;   in Loop: Header=BB707_96 Depth=2
	s_or_b32 exec_lo, exec_lo, s22
	s_waitcnt vmcnt(0)
	v_mov_b32_e32 v46, v4
	v_mov_b32_e32 v45, v3
	s_mov_b32 s22, exec_lo
	v_cmpx_gt_u32_e64 s64, v144
	s_cbranch_execz .LBB707_129
; %bb.128:                              ;   in Loop: Header=BB707_96 Depth=2
	v_add_co_u32 v37, vcc_lo, 0x800, v37
	v_add_co_ci_u32_e64 v38, null, 0, v38, vcc_lo
	global_load_dwordx2 v[45:46], v[37:38], off offset:1536
.LBB707_129:                            ;   in Loop: Header=BB707_96 Depth=2
	s_or_b32 exec_lo, exec_lo, s22
	v_cmp_gt_u32_e64 s22, s64, v145
	s_sub_i32 s23, s61, s56
.LBB707_130:                            ;   in Loop: Header=BB707_96 Depth=2
	v_mov_b32_e32 v37, -1
	v_mov_b32_e32 v38, -1
	v_mov_b32_e32 v167, s64
	s_and_saveexec_b32 s24, s22
	s_cbranch_execz .LBB707_132
; %bb.131:                              ;   in Loop: Header=BB707_96 Depth=2
	s_lshl_b64 s[28:29], s[56:57], 3
	v_mov_b32_e32 v167, s23
	v_add_co_u32 v37, vcc_lo, v146, s28
	v_add_co_ci_u32_e64 v38, null, s29, v147, vcc_lo
	v_add_co_u32 v37, vcc_lo, 0x800, v37
	v_add_co_ci_u32_e64 v38, null, 0, v38, vcc_lo
	global_load_dwordx2 v[37:38], v[37:38], off offset:1792
	s_waitcnt vmcnt(0)
	v_xor_b32_e32 v38, 0x7fffffff, v38
	v_not_b32_e32 v37, v37
.LBB707_132:                            ;   in Loop: Header=BB707_96 Depth=2
	s_or_b32 exec_lo, exec_lo, s24
	s_waitcnt vmcnt(14)
	v_xor_b32_e32 v40, 0x7fffffff, v40
	v_not_b32_e32 v39, v39
	ds_write2_b32 v98, v3, v3 offset0:136 offset1:137
	ds_write2_b32 v98, v3, v3 offset0:138 offset1:139
	ds_write_b32 v98, v3 offset:560
	s_waitcnt vmcnt(0) lgkmcnt(0)
	s_barrier
	v_lshrrev_b64 v[69:70], s47, v[39:40]
	buffer_gl0_inv
	; wave barrier
	v_and_b32_e32 v70, s63, v69
	v_and_b32_e32 v69, 1, v70
	v_lshlrev_b32_e32 v71, 30, v70
	v_lshlrev_b32_e32 v72, 29, v70
	;; [unrolled: 1-line block ×4, first 2 shown]
	v_add_co_u32 v69, s22, v69, -1
	v_cndmask_b32_e64 v168, 0, 1, s22
	v_not_b32_e32 v172, v71
	v_cmp_gt_i32_e64 s22, 0, v71
	v_not_b32_e32 v71, v72
	v_lshlrev_b32_e32 v171, 26, v70
	v_cmp_ne_u32_e32 vcc_lo, 0, v168
	v_ashrrev_i32_e32 v172, 31, v172
	v_lshlrev_b32_e32 v168, 25, v70
	v_ashrrev_i32_e32 v71, 31, v71
	v_mul_u32_u24_e32 v70, 36, v70
	v_xor_b32_e32 v69, vcc_lo, v69
	v_cmp_gt_i32_e32 vcc_lo, 0, v72
	v_not_b32_e32 v72, v169
	v_xor_b32_e32 v172, s22, v172
	v_cmp_gt_i32_e64 s22, 0, v169
	v_and_b32_e32 v69, exec_lo, v69
	v_not_b32_e32 v169, v170
	v_ashrrev_i32_e32 v72, 31, v72
	v_xor_b32_e32 v71, vcc_lo, v71
	v_cmp_gt_i32_e32 vcc_lo, 0, v170
	v_and_b32_e32 v69, v69, v172
	v_not_b32_e32 v170, v171
	v_ashrrev_i32_e32 v169, 31, v169
	v_xor_b32_e32 v72, s22, v72
	v_cmp_gt_i32_e64 s22, 0, v171
	v_and_b32_e32 v69, v69, v71
	v_not_b32_e32 v71, v168
	v_ashrrev_i32_e32 v170, 31, v170
	v_xor_b32_e32 v169, vcc_lo, v169
	v_cmp_gt_i32_e32 vcc_lo, 0, v168
	v_and_b32_e32 v69, v69, v72
	v_ashrrev_i32_e32 v71, 31, v71
	v_xor_b32_e32 v72, s22, v170
	v_and_b32_e32 v69, v69, v169
	v_xor_b32_e32 v71, vcc_lo, v71
	v_add_nc_u32_e32 v169, v148, v70
	v_and_b32_e32 v69, v69, v72
	v_and_b32_e32 v69, v69, v71
	v_mbcnt_lo_u32_b32 v168, v69, 0
	v_cmp_ne_u32_e64 s22, 0, v69
	v_cmp_eq_u32_e32 vcc_lo, 0, v168
	s_and_b32 s23, s22, vcc_lo
	s_and_saveexec_b32 s22, s23
; %bb.133:                              ;   in Loop: Header=BB707_96 Depth=2
	v_bcnt_u32_b32 v69, v69, 0
	ds_write_b32 v169, v69 offset:544
; %bb.134:                              ;   in Loop: Header=BB707_96 Depth=2
	s_or_b32 exec_lo, exec_lo, s22
	v_xor_b32_e32 v42, 0x7fffffff, v42
	v_not_b32_e32 v41, v41
	; wave barrier
	v_lshrrev_b64 v[69:70], s47, v[41:42]
	v_and_b32_e32 v70, s63, v69
	v_and_b32_e32 v69, 1, v70
	v_lshlrev_b32_e32 v71, 30, v70
	v_lshlrev_b32_e32 v72, 29, v70
	v_lshlrev_b32_e32 v171, 28, v70
	v_lshlrev_b32_e32 v172, 27, v70
	v_add_co_u32 v69, s22, v69, -1
	v_cndmask_b32_e64 v170, 0, 1, s22
	v_not_b32_e32 v174, v71
	v_cmp_gt_i32_e64 s22, 0, v71
	v_not_b32_e32 v71, v72
	v_lshlrev_b32_e32 v173, 26, v70
	v_cmp_ne_u32_e32 vcc_lo, 0, v170
	v_ashrrev_i32_e32 v174, 31, v174
	v_lshlrev_b32_e32 v170, 25, v70
	v_ashrrev_i32_e32 v71, 31, v71
	v_xor_b32_e32 v69, vcc_lo, v69
	v_cmp_gt_i32_e32 vcc_lo, 0, v72
	v_not_b32_e32 v72, v171
	v_xor_b32_e32 v174, s22, v174
	v_cmp_gt_i32_e64 s22, 0, v171
	v_and_b32_e32 v69, exec_lo, v69
	v_not_b32_e32 v171, v172
	v_ashrrev_i32_e32 v72, 31, v72
	v_xor_b32_e32 v71, vcc_lo, v71
	v_cmp_gt_i32_e32 vcc_lo, 0, v172
	v_and_b32_e32 v69, v69, v174
	v_not_b32_e32 v172, v173
	v_ashrrev_i32_e32 v171, 31, v171
	v_xor_b32_e32 v72, s22, v72
	v_cmp_gt_i32_e64 s22, 0, v173
	v_and_b32_e32 v69, v69, v71
	v_not_b32_e32 v71, v170
	v_ashrrev_i32_e32 v172, 31, v172
	v_xor_b32_e32 v171, vcc_lo, v171
	v_cmp_gt_i32_e32 vcc_lo, 0, v170
	v_and_b32_e32 v69, v69, v72
	v_ashrrev_i32_e32 v71, 31, v71
	v_xor_b32_e32 v72, s22, v172
	v_mad_u32_u24 v170, v70, 36, v148
	v_mul_u32_u24_e32 v70, 36, v70
	v_and_b32_e32 v69, v69, v171
	v_xor_b32_e32 v71, vcc_lo, v71
	ds_read_b32 v170, v170 offset:544
	v_add_nc_u32_e32 v172, v148, v70
	v_and_b32_e32 v69, v69, v72
	; wave barrier
	v_and_b32_e32 v69, v69, v71
	v_mbcnt_lo_u32_b32 v171, v69, 0
	v_cmp_ne_u32_e64 s22, 0, v69
	v_cmp_eq_u32_e32 vcc_lo, 0, v171
	s_and_b32 s23, s22, vcc_lo
	s_and_saveexec_b32 s22, s23
	s_cbranch_execz .LBB707_136
; %bb.135:                              ;   in Loop: Header=BB707_96 Depth=2
	s_waitcnt lgkmcnt(0)
	v_bcnt_u32_b32 v69, v69, v170
	ds_write_b32 v172, v69 offset:544
.LBB707_136:                            ;   in Loop: Header=BB707_96 Depth=2
	s_or_b32 exec_lo, exec_lo, s22
	v_xor_b32_e32 v44, 0x7fffffff, v44
	v_not_b32_e32 v43, v43
	; wave barrier
	v_lshrrev_b64 v[69:70], s47, v[43:44]
	v_and_b32_e32 v70, s63, v69
	v_and_b32_e32 v69, 1, v70
	v_lshlrev_b32_e32 v71, 30, v70
	v_lshlrev_b32_e32 v72, 29, v70
	v_lshlrev_b32_e32 v174, 28, v70
	v_lshlrev_b32_e32 v175, 27, v70
	v_add_co_u32 v69, s22, v69, -1
	v_cndmask_b32_e64 v173, 0, 1, s22
	v_not_b32_e32 v177, v71
	v_cmp_gt_i32_e64 s22, 0, v71
	v_not_b32_e32 v71, v72
	v_lshlrev_b32_e32 v176, 26, v70
	v_cmp_ne_u32_e32 vcc_lo, 0, v173
	v_ashrrev_i32_e32 v177, 31, v177
	v_lshlrev_b32_e32 v173, 25, v70
	v_ashrrev_i32_e32 v71, 31, v71
	v_xor_b32_e32 v69, vcc_lo, v69
	v_cmp_gt_i32_e32 vcc_lo, 0, v72
	v_not_b32_e32 v72, v174
	v_xor_b32_e32 v177, s22, v177
	v_cmp_gt_i32_e64 s22, 0, v174
	v_and_b32_e32 v69, exec_lo, v69
	v_not_b32_e32 v174, v175
	v_ashrrev_i32_e32 v72, 31, v72
	v_xor_b32_e32 v71, vcc_lo, v71
	v_cmp_gt_i32_e32 vcc_lo, 0, v175
	v_and_b32_e32 v69, v69, v177
	v_not_b32_e32 v175, v176
	v_ashrrev_i32_e32 v174, 31, v174
	v_xor_b32_e32 v72, s22, v72
	v_cmp_gt_i32_e64 s22, 0, v176
	v_and_b32_e32 v69, v69, v71
	v_not_b32_e32 v71, v173
	v_ashrrev_i32_e32 v175, 31, v175
	v_xor_b32_e32 v174, vcc_lo, v174
	v_cmp_gt_i32_e32 vcc_lo, 0, v173
	v_and_b32_e32 v69, v69, v72
	v_ashrrev_i32_e32 v71, 31, v71
	v_xor_b32_e32 v72, s22, v175
	v_mad_u32_u24 v173, v70, 36, v148
	v_mul_u32_u24_e32 v70, 36, v70
	v_and_b32_e32 v69, v69, v174
	v_xor_b32_e32 v71, vcc_lo, v71
	ds_read_b32 v173, v173 offset:544
	v_add_nc_u32_e32 v175, v148, v70
	v_and_b32_e32 v69, v69, v72
	; wave barrier
	v_and_b32_e32 v69, v69, v71
	v_mbcnt_lo_u32_b32 v174, v69, 0
	v_cmp_ne_u32_e64 s22, 0, v69
	v_cmp_eq_u32_e32 vcc_lo, 0, v174
	s_and_b32 s23, s22, vcc_lo
	s_and_saveexec_b32 s22, s23
	s_cbranch_execz .LBB707_138
; %bb.137:                              ;   in Loop: Header=BB707_96 Depth=2
	s_waitcnt lgkmcnt(0)
	v_bcnt_u32_b32 v69, v69, v173
	ds_write_b32 v175, v69 offset:544
.LBB707_138:                            ;   in Loop: Header=BB707_96 Depth=2
	;; [unrolled: 64-line block ×14, first 2 shown]
	s_or_b32 exec_lo, exec_lo, s22
	v_lshrrev_b64 v[69:70], s47, v[37:38]
	; wave barrier
	v_and_b32_e32 v70, s63, v69
	v_and_b32_e32 v69, 1, v70
	v_lshlrev_b32_e32 v71, 30, v70
	v_lshlrev_b32_e32 v72, 29, v70
	;; [unrolled: 1-line block ×4, first 2 shown]
	v_add_co_u32 v69, s22, v69, -1
	v_cndmask_b32_e64 v211, 0, 1, s22
	v_not_b32_e32 v216, v71
	v_cmp_gt_i32_e64 s22, 0, v71
	v_not_b32_e32 v71, v72
	v_lshlrev_b32_e32 v215, 26, v70
	v_cmp_ne_u32_e32 vcc_lo, 0, v211
	v_ashrrev_i32_e32 v216, 31, v216
	v_lshlrev_b32_e32 v211, 25, v70
	v_ashrrev_i32_e32 v71, 31, v71
	v_xor_b32_e32 v69, vcc_lo, v69
	v_cmp_gt_i32_e32 vcc_lo, 0, v72
	v_not_b32_e32 v72, v212
	v_xor_b32_e32 v216, s22, v216
	v_cmp_gt_i32_e64 s22, 0, v212
	v_and_b32_e32 v69, exec_lo, v69
	v_not_b32_e32 v212, v214
	v_ashrrev_i32_e32 v72, 31, v72
	v_xor_b32_e32 v71, vcc_lo, v71
	v_cmp_gt_i32_e32 vcc_lo, 0, v214
	v_and_b32_e32 v69, v69, v216
	v_not_b32_e32 v214, v215
	v_ashrrev_i32_e32 v212, 31, v212
	v_xor_b32_e32 v72, s22, v72
	v_cmp_gt_i32_e64 s22, 0, v215
	v_and_b32_e32 v69, v69, v71
	v_not_b32_e32 v71, v211
	v_ashrrev_i32_e32 v214, 31, v214
	v_xor_b32_e32 v212, vcc_lo, v212
	v_cmp_gt_i32_e32 vcc_lo, 0, v211
	v_and_b32_e32 v69, v69, v72
	v_ashrrev_i32_e32 v71, 31, v71
	v_xor_b32_e32 v72, s22, v214
	v_mad_u32_u24 v211, v70, 36, v148
	v_mul_u32_u24_e32 v70, 36, v70
	v_and_b32_e32 v69, v69, v212
	v_xor_b32_e32 v71, vcc_lo, v71
	ds_read_b32 v211, v211 offset:544
	v_add_nc_u32_e32 v214, v148, v70
	v_and_b32_e32 v69, v69, v72
	; wave barrier
	v_and_b32_e32 v69, v69, v71
	v_mbcnt_lo_u32_b32 v212, v69, 0
	v_cmp_ne_u32_e64 s22, 0, v69
	v_cmp_eq_u32_e32 vcc_lo, 0, v212
	s_and_b32 s23, s22, vcc_lo
	s_and_saveexec_b32 s22, s23
	s_cbranch_execz .LBB707_164
; %bb.163:                              ;   in Loop: Header=BB707_96 Depth=2
	s_waitcnt lgkmcnt(0)
	v_bcnt_u32_b32 v69, v69, v211
	ds_write_b32 v214, v69 offset:544
.LBB707_164:                            ;   in Loop: Header=BB707_96 Depth=2
	s_or_b32 exec_lo, exec_lo, s22
	; wave barrier
	s_waitcnt lgkmcnt(0)
	s_barrier
	buffer_gl0_inv
	ds_read2_b32 v[71:72], v98 offset0:136 offset1:137
	ds_read2_b32 v[69:70], v98 offset0:138 offset1:139
	ds_read_b32 v215, v98 offset:560
	s_waitcnt lgkmcnt(1)
	v_add3_u32 v216, v72, v71, v69
	s_waitcnt lgkmcnt(0)
	v_add3_u32 v215, v216, v70, v215
	v_mov_b32_dpp v216, v215 row_shr:1 row_mask:0xf bank_mask:0xf
	v_cndmask_b32_e64 v216, v216, 0, s5
	v_add_nc_u32_e32 v215, v216, v215
	v_mov_b32_dpp v216, v215 row_shr:2 row_mask:0xf bank_mask:0xf
	v_cndmask_b32_e64 v216, 0, v216, s14
	v_add_nc_u32_e32 v215, v215, v216
	;; [unrolled: 3-line block ×4, first 2 shown]
	ds_swizzle_b32 v216, v215 offset:swizzle(BROADCAST,32,15)
	s_waitcnt lgkmcnt(0)
	v_cndmask_b32_e64 v216, v216, 0, s17
	v_add_nc_u32_e32 v215, v215, v216
	s_and_saveexec_b32 s22, s4
; %bb.165:                              ;   in Loop: Header=BB707_96 Depth=2
	ds_write_b32 v92, v215 offset:512
; %bb.166:                              ;   in Loop: Header=BB707_96 Depth=2
	s_or_b32 exec_lo, exec_lo, s22
	s_waitcnt lgkmcnt(0)
	s_barrier
	buffer_gl0_inv
	s_and_saveexec_b32 s22, s11
	s_cbranch_execz .LBB707_168
; %bb.167:                              ;   in Loop: Header=BB707_96 Depth=2
	ds_read_b32 v216, v99 offset:512
	s_waitcnt lgkmcnt(0)
	v_mov_b32_dpp v217, v216 row_shr:1 row_mask:0xf bank_mask:0xf
	v_cndmask_b32_e64 v217, v217, 0, s19
	v_add_nc_u32_e32 v216, v217, v216
	v_mov_b32_dpp v217, v216 row_shr:2 row_mask:0xf bank_mask:0xf
	v_cndmask_b32_e64 v217, 0, v217, s20
	v_add_nc_u32_e32 v216, v216, v217
	;; [unrolled: 3-line block ×3, first 2 shown]
	ds_write_b32 v99, v216 offset:512
.LBB707_168:                            ;   in Loop: Header=BB707_96 Depth=2
	s_or_b32 exec_lo, exec_lo, s22
	v_mov_b32_e32 v216, 0
	s_waitcnt lgkmcnt(0)
	s_barrier
	buffer_gl0_inv
	s_and_saveexec_b32 s22, s10
; %bb.169:                              ;   in Loop: Header=BB707_96 Depth=2
	ds_read_b32 v216, v92 offset:508
; %bb.170:                              ;   in Loop: Header=BB707_96 Depth=2
	s_or_b32 exec_lo, exec_lo, s22
	s_waitcnt lgkmcnt(0)
	v_add_nc_u32_e32 v215, v216, v215
	ds_bpermute_b32 v215, v127, v215
	s_waitcnt lgkmcnt(0)
	v_cndmask_b32_e64 v215, v215, v216, s18
	v_cndmask_b32_e64 v215, v215, 0, s12
	v_add_nc_u32_e32 v71, v215, v71
	v_add_nc_u32_e32 v72, v71, v72
	;; [unrolled: 1-line block ×4, first 2 shown]
	ds_write2_b32 v98, v215, v71 offset0:136 offset1:137
	ds_write2_b32 v98, v72, v69 offset0:138 offset1:139
	ds_write_b32 v98, v70 offset:560
	s_waitcnt lgkmcnt(0)
	s_barrier
	buffer_gl0_inv
	ds_read_b32 v69, v169 offset:544
	ds_read_b32 v219, v172 offset:544
	;; [unrolled: 1-line block ×16, first 2 shown]
	s_and_saveexec_b32 s22, s7
	s_cbranch_execz .LBB707_174
; %bb.171:                              ;   in Loop: Header=BB707_96 Depth=2
	ds_read_b32 v163, v101 offset:544
	v_mov_b32_e32 v166, 0x1000
	s_and_saveexec_b32 s23, s13
; %bb.172:                              ;   in Loop: Header=BB707_96 Depth=2
	ds_read_b32 v166, v100 offset:544
; %bb.173:                              ;   in Loop: Header=BB707_96 Depth=2
	s_or_b32 exec_lo, exec_lo, s23
	s_waitcnt lgkmcnt(0)
	v_sub_nc_u32_e32 v166, v166, v163
.LBB707_174:                            ;   in Loop: Header=BB707_96 Depth=2
	s_or_b32 exec_lo, exec_lo, s22
	s_waitcnt lgkmcnt(0)
	s_barrier
	buffer_gl0_inv
	s_and_saveexec_b32 s22, s7
	s_cbranch_execz .LBB707_176
; %bb.175:                              ;   in Loop: Header=BB707_96 Depth=2
	ds_read_b32 v191, v73
	s_waitcnt lgkmcnt(0)
	v_sub_nc_u32_e32 v191, v191, v163
	ds_write_b32 v73, v191
.LBB707_176:                            ;   in Loop: Header=BB707_96 Depth=2
	s_or_b32 exec_lo, exec_lo, s22
	v_lshlrev_b32_e32 v168, 3, v168
	v_lshlrev_b32_e32 v171, 3, v171
	;; [unrolled: 1-line block ×5, first 2 shown]
	v_lshl_add_u32 v69, v69, 3, v168
	v_lshlrev_b32_e32 v168, 3, v173
	v_lshlrev_b32_e32 v173, 3, v70
	;; [unrolled: 1-line block ×3, first 2 shown]
	v_add3_u32 v70, v171, v170, v191
	ds_write_b64 v69, v[39:40] offset:512
	v_lshlrev_b32_e32 v40, 3, v176
	v_lshlrev_b32_e32 v170, 3, v218
	v_lshlrev_b32_e32 v171, 3, v180
	v_lshlrev_b32_e32 v176, 3, v179
	v_lshlrev_b32_e32 v179, 3, v217
	v_lshlrev_b32_e32 v180, 3, v183
	v_lshlrev_b32_e32 v182, 3, v182
	v_lshlrev_b32_e32 v183, 3, v216
	ds_write_b64 v70, v[41:42] offset:512
	v_add3_u32 v39, v174, v168, v173
	v_add3_u32 v40, v177, v40, v170
	;; [unrolled: 1-line block ×3, first 2 shown]
	v_lshlrev_b32_e32 v168, 3, v186
	v_lshlrev_b32_e32 v170, 3, v185
	v_lshlrev_b32_e32 v171, 3, v215
	v_add3_u32 v42, v180, v182, v183
	ds_write_b64 v39, v[43:44] offset:512
	ds_write_b64 v40, v[47:48] offset:512
	;; [unrolled: 1-line block ×4, first 2 shown]
	v_lshlrev_b32_e32 v44, 3, v189
	v_add3_u32 v43, v168, v170, v171
	v_lshlrev_b32_e32 v47, 3, v188
	v_lshlrev_b32_e32 v48, 3, v187
	;; [unrolled: 1-line block ×11, first 2 shown]
	v_add3_u32 v44, v44, v47, v48
	v_add3_u32 v47, v53, v54, v57
	;; [unrolled: 1-line block ×3, first 2 shown]
	v_lshlrev_b32_e32 v54, 3, v200
	v_lshlrev_b32_e32 v57, 3, v199
	;; [unrolled: 1-line block ×3, first 2 shown]
	v_add3_u32 v53, v171, v173, v174
	ds_write_b64 v43, v[61:62] offset:512
	ds_write_b64 v44, v[65:66] offset:512
	;; [unrolled: 1-line block ×5, first 2 shown]
	v_lshlrev_b32_e32 v59, 3, v172
	v_add3_u32 v54, v54, v57, v58
	v_lshlrev_b32_e32 v57, 3, v203
	v_lshlrev_b32_e32 v58, 3, v202
	;; [unrolled: 1-line block ×11, first 2 shown]
	v_add3_u32 v57, v57, v58, v59
	v_add3_u32 v58, v60, v61, v62
	;; [unrolled: 1-line block ×3, first 2 shown]
	ds_write_b64 v54, v[55:56] offset:512
	v_add3_u32 v55, v66, v67, v68
	v_cmp_lt_u32_e32 vcc_lo, v0, v167
	ds_write_b64 v57, v[51:52] offset:512
	ds_write_b64 v58, v[49:50] offset:512
	;; [unrolled: 1-line block ×4, first 2 shown]
	s_waitcnt lgkmcnt(0)
	s_barrier
	buffer_gl0_inv
	s_and_saveexec_b32 s23, vcc_lo
	s_cbranch_execnz .LBB707_245
; %bb.177:                              ;   in Loop: Header=BB707_96 Depth=2
	s_or_b32 exec_lo, exec_lo, s23
	v_cmp_lt_u32_e64 s22, v74, v167
	s_and_saveexec_b32 s24, s22
	s_cbranch_execnz .LBB707_246
.LBB707_178:                            ;   in Loop: Header=BB707_96 Depth=2
	s_or_b32 exec_lo, exec_lo, s24
	v_cmp_lt_u32_e64 s23, v77, v167
	s_and_saveexec_b32 s25, s23
	s_cbranch_execnz .LBB707_247
.LBB707_179:                            ;   in Loop: Header=BB707_96 Depth=2
	s_or_b32 exec_lo, exec_lo, s25
	v_cmp_lt_u32_e64 s24, v78, v167
	s_and_saveexec_b32 s26, s24
	s_cbranch_execnz .LBB707_248
.LBB707_180:                            ;   in Loop: Header=BB707_96 Depth=2
	s_or_b32 exec_lo, exec_lo, s26
	v_cmp_lt_u32_e64 s25, v79, v167
	s_and_saveexec_b32 s28, s25
	s_cbranch_execnz .LBB707_249
.LBB707_181:                            ;   in Loop: Header=BB707_96 Depth=2
	s_or_b32 exec_lo, exec_lo, s28
	v_cmp_lt_u32_e64 s26, v80, v167
	s_and_saveexec_b32 s29, s26
	s_cbranch_execnz .LBB707_250
.LBB707_182:                            ;   in Loop: Header=BB707_96 Depth=2
	s_or_b32 exec_lo, exec_lo, s29
	v_cmp_lt_u32_e64 s28, v81, v167
	s_and_saveexec_b32 s30, s28
	s_cbranch_execnz .LBB707_251
.LBB707_183:                            ;   in Loop: Header=BB707_96 Depth=2
	s_or_b32 exec_lo, exec_lo, s30
	v_cmp_lt_u32_e64 s29, v82, v167
	s_and_saveexec_b32 s31, s29
	s_cbranch_execnz .LBB707_252
.LBB707_184:                            ;   in Loop: Header=BB707_96 Depth=2
	s_or_b32 exec_lo, exec_lo, s31
	v_cmp_lt_u32_e64 s30, v83, v167
	s_and_saveexec_b32 s33, s30
	s_cbranch_execnz .LBB707_253
.LBB707_185:                            ;   in Loop: Header=BB707_96 Depth=2
	s_or_b32 exec_lo, exec_lo, s33
	v_cmp_lt_u32_e64 s31, v84, v167
	s_and_saveexec_b32 s34, s31
	s_cbranch_execnz .LBB707_254
.LBB707_186:                            ;   in Loop: Header=BB707_96 Depth=2
	s_or_b32 exec_lo, exec_lo, s34
	v_cmp_lt_u32_e64 s33, v85, v167
	s_and_saveexec_b32 s35, s33
	s_cbranch_execnz .LBB707_255
.LBB707_187:                            ;   in Loop: Header=BB707_96 Depth=2
	s_or_b32 exec_lo, exec_lo, s35
	v_cmp_lt_u32_e64 s34, v86, v167
	s_and_saveexec_b32 s36, s34
	s_cbranch_execnz .LBB707_256
.LBB707_188:                            ;   in Loop: Header=BB707_96 Depth=2
	s_or_b32 exec_lo, exec_lo, s36
	v_cmp_lt_u32_e64 s35, v87, v167
	s_and_saveexec_b32 s37, s35
	s_cbranch_execnz .LBB707_257
.LBB707_189:                            ;   in Loop: Header=BB707_96 Depth=2
	s_or_b32 exec_lo, exec_lo, s37
	v_cmp_lt_u32_e64 s36, v88, v167
	s_and_saveexec_b32 s38, s36
	s_cbranch_execnz .LBB707_258
.LBB707_190:                            ;   in Loop: Header=BB707_96 Depth=2
	s_or_b32 exec_lo, exec_lo, s38
	v_cmp_lt_u32_e64 s37, v89, v167
	s_and_saveexec_b32 s39, s37
	s_cbranch_execnz .LBB707_259
.LBB707_191:                            ;   in Loop: Header=BB707_96 Depth=2
	s_or_b32 exec_lo, exec_lo, s39
	v_cmp_lt_u32_e64 s38, v90, v167
	s_and_saveexec_b32 s66, s38
	s_cbranch_execz .LBB707_193
.LBB707_192:                            ;   in Loop: Header=BB707_96 Depth=2
	ds_read_b64 v[37:38], v106 offset:31232
	s_waitcnt lgkmcnt(0)
	v_lshrrev_b64 v[45:46], s47, v[37:38]
	v_mov_b32_e32 v46, v3
	v_xor_b32_e32 v38, 0x7fffffff, v38
	v_not_b32_e32 v37, v37
	v_and_b32_e32 v45, s63, v45
	v_lshlrev_b32_e32 v45, 2, v45
	ds_read_b32 v45, v45
	s_waitcnt lgkmcnt(0)
	v_add_nc_u32_e32 v45, v45, v90
	v_lshlrev_b64 v[45:46], 3, v[45:46]
	v_add_co_u32 v45, s39, s42, v45
	v_add_co_ci_u32_e64 v46, null, s43, v46, s39
	global_store_dwordx2 v[45:46], v[37:38], off
.LBB707_193:                            ;   in Loop: Header=BB707_96 Depth=2
	s_or_b32 exec_lo, exec_lo, s66
	s_lshl_b64 s[66:67], s[56:57], 3
	v_add_co_u32 v37, s39, v129, s66
	v_add_co_ci_u32_e64 v38, null, s67, v130, s39
	v_cmp_lt_u32_e64 s39, v128, v167
	s_and_saveexec_b32 s56, s39
	s_xor_b32 s39, exec_lo, s56
	s_cbranch_execnz .LBB707_260
; %bb.194:                              ;   in Loop: Header=BB707_96 Depth=2
	s_or_b32 exec_lo, exec_lo, s39
	s_mov_b32 s56, exec_lo
	v_cmpx_lt_u32_e64 v131, v167
	s_cbranch_execnz .LBB707_261
.LBB707_195:                            ;   in Loop: Header=BB707_96 Depth=2
	s_or_b32 exec_lo, exec_lo, s56
	s_mov_b32 s56, exec_lo
	v_cmpx_lt_u32_e64 v132, v167
	s_cbranch_execnz .LBB707_262
.LBB707_196:                            ;   in Loop: Header=BB707_96 Depth=2
	s_or_b32 exec_lo, exec_lo, s56
	s_mov_b32 s56, exec_lo
	v_cmpx_lt_u32_e64 v133, v167
	s_cbranch_execnz .LBB707_263
.LBB707_197:                            ;   in Loop: Header=BB707_96 Depth=2
	s_or_b32 exec_lo, exec_lo, s56
	s_mov_b32 s56, exec_lo
	v_cmpx_lt_u32_e64 v134, v167
	s_cbranch_execnz .LBB707_264
.LBB707_198:                            ;   in Loop: Header=BB707_96 Depth=2
	s_or_b32 exec_lo, exec_lo, s56
	s_mov_b32 s56, exec_lo
	v_cmpx_lt_u32_e64 v135, v167
	s_cbranch_execnz .LBB707_265
.LBB707_199:                            ;   in Loop: Header=BB707_96 Depth=2
	s_or_b32 exec_lo, exec_lo, s56
	s_mov_b32 s56, exec_lo
	v_cmpx_lt_u32_e64 v136, v167
	s_cbranch_execnz .LBB707_266
.LBB707_200:                            ;   in Loop: Header=BB707_96 Depth=2
	s_or_b32 exec_lo, exec_lo, s56
	s_mov_b32 s56, exec_lo
	v_cmpx_lt_u32_e64 v137, v167
	s_cbranch_execnz .LBB707_267
.LBB707_201:                            ;   in Loop: Header=BB707_96 Depth=2
	s_or_b32 exec_lo, exec_lo, s56
	s_mov_b32 s56, exec_lo
	v_cmpx_lt_u32_e64 v138, v167
	s_cbranch_execnz .LBB707_268
.LBB707_202:                            ;   in Loop: Header=BB707_96 Depth=2
	s_or_b32 exec_lo, exec_lo, s56
	s_mov_b32 s56, exec_lo
	v_cmpx_lt_u32_e64 v139, v167
	s_cbranch_execnz .LBB707_269
.LBB707_203:                            ;   in Loop: Header=BB707_96 Depth=2
	s_or_b32 exec_lo, exec_lo, s56
	s_mov_b32 s56, exec_lo
	v_cmpx_lt_u32_e64 v140, v167
	s_cbranch_execnz .LBB707_270
.LBB707_204:                            ;   in Loop: Header=BB707_96 Depth=2
	s_or_b32 exec_lo, exec_lo, s56
	s_mov_b32 s56, exec_lo
	v_cmpx_lt_u32_e64 v141, v167
	s_cbranch_execnz .LBB707_271
.LBB707_205:                            ;   in Loop: Header=BB707_96 Depth=2
	s_or_b32 exec_lo, exec_lo, s56
	s_mov_b32 s56, exec_lo
	v_cmpx_lt_u32_e64 v142, v167
	s_cbranch_execnz .LBB707_272
.LBB707_206:                            ;   in Loop: Header=BB707_96 Depth=2
	s_or_b32 exec_lo, exec_lo, s56
	s_mov_b32 s56, exec_lo
	v_cmpx_lt_u32_e64 v143, v167
	s_cbranch_execnz .LBB707_273
.LBB707_207:                            ;   in Loop: Header=BB707_96 Depth=2
	s_or_b32 exec_lo, exec_lo, s56
	s_mov_b32 s56, exec_lo
	v_cmpx_lt_u32_e64 v144, v167
	s_cbranch_execnz .LBB707_274
.LBB707_208:                            ;   in Loop: Header=BB707_96 Depth=2
	s_or_b32 exec_lo, exec_lo, s56
	s_mov_b32 s56, exec_lo
	v_cmpx_lt_u32_e64 v145, v167
	s_cbranch_execnz .LBB707_275
.LBB707_209:                            ;   in Loop: Header=BB707_96 Depth=2
	s_or_b32 exec_lo, exec_lo, s56
	s_and_saveexec_b32 s39, vcc_lo
	s_cbranch_execnz .LBB707_276
.LBB707_210:                            ;   in Loop: Header=BB707_96 Depth=2
	s_or_b32 exec_lo, exec_lo, s39
	s_and_saveexec_b32 s39, s22
	s_cbranch_execnz .LBB707_277
.LBB707_211:                            ;   in Loop: Header=BB707_96 Depth=2
	s_or_b32 exec_lo, exec_lo, s39
	s_and_saveexec_b32 s39, s23
	s_cbranch_execnz .LBB707_278
.LBB707_212:                            ;   in Loop: Header=BB707_96 Depth=2
	s_or_b32 exec_lo, exec_lo, s39
	s_and_saveexec_b32 s39, s24
	s_cbranch_execnz .LBB707_279
.LBB707_213:                            ;   in Loop: Header=BB707_96 Depth=2
	s_or_b32 exec_lo, exec_lo, s39
	s_and_saveexec_b32 s39, s25
	s_cbranch_execnz .LBB707_280
.LBB707_214:                            ;   in Loop: Header=BB707_96 Depth=2
	s_or_b32 exec_lo, exec_lo, s39
	s_and_saveexec_b32 s39, s26
	s_cbranch_execnz .LBB707_281
.LBB707_215:                            ;   in Loop: Header=BB707_96 Depth=2
	s_or_b32 exec_lo, exec_lo, s39
	s_and_saveexec_b32 s39, s28
	s_cbranch_execnz .LBB707_282
.LBB707_216:                            ;   in Loop: Header=BB707_96 Depth=2
	s_or_b32 exec_lo, exec_lo, s39
	s_and_saveexec_b32 s39, s29
	s_cbranch_execnz .LBB707_283
.LBB707_217:                            ;   in Loop: Header=BB707_96 Depth=2
	s_or_b32 exec_lo, exec_lo, s39
	s_and_saveexec_b32 s39, s30
	s_cbranch_execnz .LBB707_284
.LBB707_218:                            ;   in Loop: Header=BB707_96 Depth=2
	s_or_b32 exec_lo, exec_lo, s39
	s_and_saveexec_b32 s39, s31
	s_cbranch_execnz .LBB707_285
.LBB707_219:                            ;   in Loop: Header=BB707_96 Depth=2
	s_or_b32 exec_lo, exec_lo, s39
	s_and_saveexec_b32 s39, s33
	s_cbranch_execnz .LBB707_286
.LBB707_220:                            ;   in Loop: Header=BB707_96 Depth=2
	s_or_b32 exec_lo, exec_lo, s39
	s_and_saveexec_b32 s39, s34
	s_cbranch_execnz .LBB707_287
.LBB707_221:                            ;   in Loop: Header=BB707_96 Depth=2
	s_or_b32 exec_lo, exec_lo, s39
	s_and_saveexec_b32 s39, s35
	s_cbranch_execnz .LBB707_288
.LBB707_222:                            ;   in Loop: Header=BB707_96 Depth=2
	s_or_b32 exec_lo, exec_lo, s39
	s_and_saveexec_b32 s39, s36
	s_cbranch_execnz .LBB707_289
.LBB707_223:                            ;   in Loop: Header=BB707_96 Depth=2
	s_or_b32 exec_lo, exec_lo, s39
	s_and_saveexec_b32 s39, s37
	s_cbranch_execnz .LBB707_290
.LBB707_224:                            ;   in Loop: Header=BB707_96 Depth=2
	s_or_b32 exec_lo, exec_lo, s39
	s_and_saveexec_b32 s39, s38
	s_cbranch_execz .LBB707_226
.LBB707_225:                            ;   in Loop: Header=BB707_96 Depth=2
	ds_read_b64 v[37:38], v106 offset:31232
	s_waitcnt lgkmcnt(0)
	v_lshrrev_b64 v[37:38], s47, v[37:38]
	v_and_b32_e32 v149, s63, v37
.LBB707_226:                            ;   in Loop: Header=BB707_96 Depth=2
	s_or_b32 exec_lo, exec_lo, s39
	s_waitcnt vmcnt(0)
	s_waitcnt_vscnt null, 0x0
	s_barrier
	buffer_gl0_inv
	ds_write_b64 v69, v[35:36] offset:512
	ds_write_b64 v70, v[33:34] offset:512
	;; [unrolled: 1-line block ×16, first 2 shown]
	s_waitcnt lgkmcnt(0)
	s_barrier
	buffer_gl0_inv
	s_and_saveexec_b32 s39, vcc_lo
	s_cbranch_execnz .LBB707_291
; %bb.227:                              ;   in Loop: Header=BB707_96 Depth=2
	s_or_b32 exec_lo, exec_lo, s39
	s_and_saveexec_b32 s39, s22
	s_cbranch_execnz .LBB707_292
.LBB707_228:                            ;   in Loop: Header=BB707_96 Depth=2
	s_or_b32 exec_lo, exec_lo, s39
	s_and_saveexec_b32 s22, s23
	s_cbranch_execnz .LBB707_293
.LBB707_229:                            ;   in Loop: Header=BB707_96 Depth=2
	s_or_b32 exec_lo, exec_lo, s22
	s_and_saveexec_b32 s22, s24
	s_cbranch_execnz .LBB707_294
.LBB707_230:                            ;   in Loop: Header=BB707_96 Depth=2
	s_or_b32 exec_lo, exec_lo, s22
	s_and_saveexec_b32 s22, s25
	s_cbranch_execnz .LBB707_295
.LBB707_231:                            ;   in Loop: Header=BB707_96 Depth=2
	s_or_b32 exec_lo, exec_lo, s22
	s_and_saveexec_b32 s22, s26
	s_cbranch_execnz .LBB707_296
.LBB707_232:                            ;   in Loop: Header=BB707_96 Depth=2
	s_or_b32 exec_lo, exec_lo, s22
	s_and_saveexec_b32 s22, s28
	s_cbranch_execnz .LBB707_297
.LBB707_233:                            ;   in Loop: Header=BB707_96 Depth=2
	s_or_b32 exec_lo, exec_lo, s22
	s_and_saveexec_b32 s22, s29
	s_cbranch_execnz .LBB707_298
.LBB707_234:                            ;   in Loop: Header=BB707_96 Depth=2
	s_or_b32 exec_lo, exec_lo, s22
	s_and_saveexec_b32 s22, s30
	s_cbranch_execnz .LBB707_299
.LBB707_235:                            ;   in Loop: Header=BB707_96 Depth=2
	s_or_b32 exec_lo, exec_lo, s22
	s_and_saveexec_b32 s22, s31
	s_cbranch_execnz .LBB707_300
.LBB707_236:                            ;   in Loop: Header=BB707_96 Depth=2
	s_or_b32 exec_lo, exec_lo, s22
	s_and_saveexec_b32 s22, s33
	s_cbranch_execnz .LBB707_301
.LBB707_237:                            ;   in Loop: Header=BB707_96 Depth=2
	s_or_b32 exec_lo, exec_lo, s22
	s_and_saveexec_b32 s22, s34
	s_cbranch_execnz .LBB707_302
.LBB707_238:                            ;   in Loop: Header=BB707_96 Depth=2
	s_or_b32 exec_lo, exec_lo, s22
	s_and_saveexec_b32 s22, s35
	s_cbranch_execnz .LBB707_303
.LBB707_239:                            ;   in Loop: Header=BB707_96 Depth=2
	s_or_b32 exec_lo, exec_lo, s22
	s_and_saveexec_b32 s22, s36
	s_cbranch_execnz .LBB707_304
.LBB707_240:                            ;   in Loop: Header=BB707_96 Depth=2
	s_or_b32 exec_lo, exec_lo, s22
	s_and_saveexec_b32 s22, s37
	s_cbranch_execnz .LBB707_305
.LBB707_241:                            ;   in Loop: Header=BB707_96 Depth=2
	s_or_b32 exec_lo, exec_lo, s22
	s_and_saveexec_b32 s22, s38
	s_cbranch_execz .LBB707_243
.LBB707_242:                            ;   in Loop: Header=BB707_96 Depth=2
	v_lshlrev_b32_e32 v37, 2, v149
	v_mov_b32_e32 v40, v3
	ds_read_b32 v39, v37
	ds_read_b64 v[37:38], v106 offset:31232
	s_waitcnt lgkmcnt(1)
	v_add_nc_u32_e32 v39, v39, v90
	v_lshlrev_b64 v[39:40], 3, v[39:40]
	v_add_co_u32 v39, vcc_lo, s48, v39
	v_add_co_ci_u32_e64 v40, null, s49, v40, vcc_lo
	s_waitcnt lgkmcnt(0)
	global_store_dwordx2 v[39:40], v[37:38], off
.LBB707_243:                            ;   in Loop: Header=BB707_96 Depth=2
	s_or_b32 exec_lo, exec_lo, s22
	s_waitcnt_vscnt null, 0x0
	s_barrier
	buffer_gl0_inv
	s_and_saveexec_b32 s22, s7
	s_cbranch_execz .LBB707_95
; %bb.244:                              ;   in Loop: Header=BB707_96 Depth=2
	ds_read_b32 v37, v73
	s_waitcnt lgkmcnt(0)
	v_add3_u32 v37, v163, v166, v37
	ds_write_b32 v73, v37
	s_branch .LBB707_95
.LBB707_245:                            ;   in Loop: Header=BB707_96 Depth=2
	ds_read_b64 v[37:38], v106 offset:512
	s_waitcnt lgkmcnt(0)
	v_lshrrev_b64 v[45:46], s47, v[37:38]
	v_mov_b32_e32 v46, v3
	v_xor_b32_e32 v38, 0x7fffffff, v38
	v_not_b32_e32 v37, v37
	v_and_b32_e32 v45, s63, v45
	v_lshlrev_b32_e32 v45, 2, v45
	ds_read_b32 v45, v45
	s_waitcnt lgkmcnt(0)
	v_add_nc_u32_e32 v45, v45, v0
	v_lshlrev_b64 v[45:46], 3, v[45:46]
	v_add_co_u32 v45, s22, s42, v45
	v_add_co_ci_u32_e64 v46, null, s43, v46, s22
	global_store_dwordx2 v[45:46], v[37:38], off
	s_or_b32 exec_lo, exec_lo, s23
	v_cmp_lt_u32_e64 s22, v74, v167
	s_and_saveexec_b32 s24, s22
	s_cbranch_execz .LBB707_178
.LBB707_246:                            ;   in Loop: Header=BB707_96 Depth=2
	ds_read_b64 v[37:38], v106 offset:2560
	s_waitcnt lgkmcnt(0)
	v_lshrrev_b64 v[45:46], s47, v[37:38]
	v_mov_b32_e32 v46, v3
	v_xor_b32_e32 v38, 0x7fffffff, v38
	v_not_b32_e32 v37, v37
	v_and_b32_e32 v45, s63, v45
	v_lshlrev_b32_e32 v45, 2, v45
	ds_read_b32 v45, v45
	s_waitcnt lgkmcnt(0)
	v_add_nc_u32_e32 v45, v45, v74
	v_lshlrev_b64 v[45:46], 3, v[45:46]
	v_add_co_u32 v45, s23, s42, v45
	v_add_co_ci_u32_e64 v46, null, s43, v46, s23
	global_store_dwordx2 v[45:46], v[37:38], off
	s_or_b32 exec_lo, exec_lo, s24
	v_cmp_lt_u32_e64 s23, v77, v167
	s_and_saveexec_b32 s25, s23
	s_cbranch_execz .LBB707_179
.LBB707_247:                            ;   in Loop: Header=BB707_96 Depth=2
	ds_read_b64 v[37:38], v106 offset:4608
	s_waitcnt lgkmcnt(0)
	v_lshrrev_b64 v[45:46], s47, v[37:38]
	v_mov_b32_e32 v46, v3
	v_xor_b32_e32 v38, 0x7fffffff, v38
	v_not_b32_e32 v37, v37
	v_and_b32_e32 v45, s63, v45
	v_lshlrev_b32_e32 v45, 2, v45
	ds_read_b32 v45, v45
	s_waitcnt lgkmcnt(0)
	v_add_nc_u32_e32 v45, v45, v77
	v_lshlrev_b64 v[45:46], 3, v[45:46]
	v_add_co_u32 v45, s24, s42, v45
	v_add_co_ci_u32_e64 v46, null, s43, v46, s24
	global_store_dwordx2 v[45:46], v[37:38], off
	s_or_b32 exec_lo, exec_lo, s25
	v_cmp_lt_u32_e64 s24, v78, v167
	s_and_saveexec_b32 s26, s24
	s_cbranch_execz .LBB707_180
.LBB707_248:                            ;   in Loop: Header=BB707_96 Depth=2
	ds_read_b64 v[37:38], v106 offset:6656
	s_waitcnt lgkmcnt(0)
	v_lshrrev_b64 v[45:46], s47, v[37:38]
	v_mov_b32_e32 v46, v3
	v_xor_b32_e32 v38, 0x7fffffff, v38
	v_not_b32_e32 v37, v37
	v_and_b32_e32 v45, s63, v45
	v_lshlrev_b32_e32 v45, 2, v45
	ds_read_b32 v45, v45
	s_waitcnt lgkmcnt(0)
	v_add_nc_u32_e32 v45, v45, v78
	v_lshlrev_b64 v[45:46], 3, v[45:46]
	v_add_co_u32 v45, s25, s42, v45
	v_add_co_ci_u32_e64 v46, null, s43, v46, s25
	global_store_dwordx2 v[45:46], v[37:38], off
	s_or_b32 exec_lo, exec_lo, s26
	v_cmp_lt_u32_e64 s25, v79, v167
	s_and_saveexec_b32 s28, s25
	s_cbranch_execz .LBB707_181
.LBB707_249:                            ;   in Loop: Header=BB707_96 Depth=2
	ds_read_b64 v[37:38], v106 offset:8704
	s_waitcnt lgkmcnt(0)
	v_lshrrev_b64 v[45:46], s47, v[37:38]
	v_mov_b32_e32 v46, v3
	v_xor_b32_e32 v38, 0x7fffffff, v38
	v_not_b32_e32 v37, v37
	v_and_b32_e32 v45, s63, v45
	v_lshlrev_b32_e32 v45, 2, v45
	ds_read_b32 v45, v45
	s_waitcnt lgkmcnt(0)
	v_add_nc_u32_e32 v45, v45, v79
	v_lshlrev_b64 v[45:46], 3, v[45:46]
	v_add_co_u32 v45, s26, s42, v45
	v_add_co_ci_u32_e64 v46, null, s43, v46, s26
	global_store_dwordx2 v[45:46], v[37:38], off
	s_or_b32 exec_lo, exec_lo, s28
	v_cmp_lt_u32_e64 s26, v80, v167
	s_and_saveexec_b32 s29, s26
	s_cbranch_execz .LBB707_182
.LBB707_250:                            ;   in Loop: Header=BB707_96 Depth=2
	ds_read_b64 v[37:38], v106 offset:10752
	s_waitcnt lgkmcnt(0)
	v_lshrrev_b64 v[45:46], s47, v[37:38]
	v_mov_b32_e32 v46, v3
	v_xor_b32_e32 v38, 0x7fffffff, v38
	v_not_b32_e32 v37, v37
	v_and_b32_e32 v45, s63, v45
	v_lshlrev_b32_e32 v45, 2, v45
	ds_read_b32 v45, v45
	s_waitcnt lgkmcnt(0)
	v_add_nc_u32_e32 v45, v45, v80
	v_lshlrev_b64 v[45:46], 3, v[45:46]
	v_add_co_u32 v45, s28, s42, v45
	v_add_co_ci_u32_e64 v46, null, s43, v46, s28
	global_store_dwordx2 v[45:46], v[37:38], off
	s_or_b32 exec_lo, exec_lo, s29
	v_cmp_lt_u32_e64 s28, v81, v167
	s_and_saveexec_b32 s30, s28
	s_cbranch_execz .LBB707_183
.LBB707_251:                            ;   in Loop: Header=BB707_96 Depth=2
	ds_read_b64 v[37:38], v106 offset:12800
	s_waitcnt lgkmcnt(0)
	v_lshrrev_b64 v[45:46], s47, v[37:38]
	v_mov_b32_e32 v46, v3
	v_xor_b32_e32 v38, 0x7fffffff, v38
	v_not_b32_e32 v37, v37
	v_and_b32_e32 v45, s63, v45
	v_lshlrev_b32_e32 v45, 2, v45
	ds_read_b32 v45, v45
	s_waitcnt lgkmcnt(0)
	v_add_nc_u32_e32 v45, v45, v81
	v_lshlrev_b64 v[45:46], 3, v[45:46]
	v_add_co_u32 v45, s29, s42, v45
	v_add_co_ci_u32_e64 v46, null, s43, v46, s29
	global_store_dwordx2 v[45:46], v[37:38], off
	s_or_b32 exec_lo, exec_lo, s30
	v_cmp_lt_u32_e64 s29, v82, v167
	s_and_saveexec_b32 s31, s29
	s_cbranch_execz .LBB707_184
.LBB707_252:                            ;   in Loop: Header=BB707_96 Depth=2
	ds_read_b64 v[37:38], v106 offset:14848
	s_waitcnt lgkmcnt(0)
	v_lshrrev_b64 v[45:46], s47, v[37:38]
	v_mov_b32_e32 v46, v3
	v_xor_b32_e32 v38, 0x7fffffff, v38
	v_not_b32_e32 v37, v37
	v_and_b32_e32 v45, s63, v45
	v_lshlrev_b32_e32 v45, 2, v45
	ds_read_b32 v45, v45
	s_waitcnt lgkmcnt(0)
	v_add_nc_u32_e32 v45, v45, v82
	v_lshlrev_b64 v[45:46], 3, v[45:46]
	v_add_co_u32 v45, s30, s42, v45
	v_add_co_ci_u32_e64 v46, null, s43, v46, s30
	global_store_dwordx2 v[45:46], v[37:38], off
	s_or_b32 exec_lo, exec_lo, s31
	v_cmp_lt_u32_e64 s30, v83, v167
	s_and_saveexec_b32 s33, s30
	s_cbranch_execz .LBB707_185
.LBB707_253:                            ;   in Loop: Header=BB707_96 Depth=2
	ds_read_b64 v[37:38], v106 offset:16896
	s_waitcnt lgkmcnt(0)
	v_lshrrev_b64 v[45:46], s47, v[37:38]
	v_mov_b32_e32 v46, v3
	v_xor_b32_e32 v38, 0x7fffffff, v38
	v_not_b32_e32 v37, v37
	v_and_b32_e32 v45, s63, v45
	v_lshlrev_b32_e32 v45, 2, v45
	ds_read_b32 v45, v45
	s_waitcnt lgkmcnt(0)
	v_add_nc_u32_e32 v45, v45, v83
	v_lshlrev_b64 v[45:46], 3, v[45:46]
	v_add_co_u32 v45, s31, s42, v45
	v_add_co_ci_u32_e64 v46, null, s43, v46, s31
	global_store_dwordx2 v[45:46], v[37:38], off
	s_or_b32 exec_lo, exec_lo, s33
	v_cmp_lt_u32_e64 s31, v84, v167
	s_and_saveexec_b32 s34, s31
	s_cbranch_execz .LBB707_186
.LBB707_254:                            ;   in Loop: Header=BB707_96 Depth=2
	ds_read_b64 v[37:38], v106 offset:18944
	s_waitcnt lgkmcnt(0)
	v_lshrrev_b64 v[45:46], s47, v[37:38]
	v_mov_b32_e32 v46, v3
	v_xor_b32_e32 v38, 0x7fffffff, v38
	v_not_b32_e32 v37, v37
	v_and_b32_e32 v45, s63, v45
	v_lshlrev_b32_e32 v45, 2, v45
	ds_read_b32 v45, v45
	s_waitcnt lgkmcnt(0)
	v_add_nc_u32_e32 v45, v45, v84
	v_lshlrev_b64 v[45:46], 3, v[45:46]
	v_add_co_u32 v45, s33, s42, v45
	v_add_co_ci_u32_e64 v46, null, s43, v46, s33
	global_store_dwordx2 v[45:46], v[37:38], off
	s_or_b32 exec_lo, exec_lo, s34
	v_cmp_lt_u32_e64 s33, v85, v167
	s_and_saveexec_b32 s35, s33
	s_cbranch_execz .LBB707_187
.LBB707_255:                            ;   in Loop: Header=BB707_96 Depth=2
	ds_read_b64 v[37:38], v106 offset:20992
	s_waitcnt lgkmcnt(0)
	v_lshrrev_b64 v[45:46], s47, v[37:38]
	v_mov_b32_e32 v46, v3
	v_xor_b32_e32 v38, 0x7fffffff, v38
	v_not_b32_e32 v37, v37
	v_and_b32_e32 v45, s63, v45
	v_lshlrev_b32_e32 v45, 2, v45
	ds_read_b32 v45, v45
	s_waitcnt lgkmcnt(0)
	v_add_nc_u32_e32 v45, v45, v85
	v_lshlrev_b64 v[45:46], 3, v[45:46]
	v_add_co_u32 v45, s34, s42, v45
	v_add_co_ci_u32_e64 v46, null, s43, v46, s34
	global_store_dwordx2 v[45:46], v[37:38], off
	s_or_b32 exec_lo, exec_lo, s35
	v_cmp_lt_u32_e64 s34, v86, v167
	s_and_saveexec_b32 s36, s34
	s_cbranch_execz .LBB707_188
.LBB707_256:                            ;   in Loop: Header=BB707_96 Depth=2
	ds_read_b64 v[37:38], v106 offset:23040
	s_waitcnt lgkmcnt(0)
	v_lshrrev_b64 v[45:46], s47, v[37:38]
	v_mov_b32_e32 v46, v3
	v_xor_b32_e32 v38, 0x7fffffff, v38
	v_not_b32_e32 v37, v37
	v_and_b32_e32 v45, s63, v45
	v_lshlrev_b32_e32 v45, 2, v45
	ds_read_b32 v45, v45
	s_waitcnt lgkmcnt(0)
	v_add_nc_u32_e32 v45, v45, v86
	v_lshlrev_b64 v[45:46], 3, v[45:46]
	v_add_co_u32 v45, s35, s42, v45
	v_add_co_ci_u32_e64 v46, null, s43, v46, s35
	global_store_dwordx2 v[45:46], v[37:38], off
	s_or_b32 exec_lo, exec_lo, s36
	v_cmp_lt_u32_e64 s35, v87, v167
	s_and_saveexec_b32 s37, s35
	s_cbranch_execz .LBB707_189
.LBB707_257:                            ;   in Loop: Header=BB707_96 Depth=2
	ds_read_b64 v[37:38], v106 offset:25088
	s_waitcnt lgkmcnt(0)
	v_lshrrev_b64 v[45:46], s47, v[37:38]
	v_mov_b32_e32 v46, v3
	v_xor_b32_e32 v38, 0x7fffffff, v38
	v_not_b32_e32 v37, v37
	v_and_b32_e32 v45, s63, v45
	v_lshlrev_b32_e32 v45, 2, v45
	ds_read_b32 v45, v45
	s_waitcnt lgkmcnt(0)
	v_add_nc_u32_e32 v45, v45, v87
	v_lshlrev_b64 v[45:46], 3, v[45:46]
	v_add_co_u32 v45, s36, s42, v45
	v_add_co_ci_u32_e64 v46, null, s43, v46, s36
	global_store_dwordx2 v[45:46], v[37:38], off
	s_or_b32 exec_lo, exec_lo, s37
	v_cmp_lt_u32_e64 s36, v88, v167
	s_and_saveexec_b32 s38, s36
	s_cbranch_execz .LBB707_190
.LBB707_258:                            ;   in Loop: Header=BB707_96 Depth=2
	ds_read_b64 v[37:38], v106 offset:27136
	s_waitcnt lgkmcnt(0)
	v_lshrrev_b64 v[45:46], s47, v[37:38]
	v_mov_b32_e32 v46, v3
	v_xor_b32_e32 v38, 0x7fffffff, v38
	v_not_b32_e32 v37, v37
	v_and_b32_e32 v45, s63, v45
	v_lshlrev_b32_e32 v45, 2, v45
	ds_read_b32 v45, v45
	s_waitcnt lgkmcnt(0)
	v_add_nc_u32_e32 v45, v45, v88
	v_lshlrev_b64 v[45:46], 3, v[45:46]
	v_add_co_u32 v45, s37, s42, v45
	v_add_co_ci_u32_e64 v46, null, s43, v46, s37
	global_store_dwordx2 v[45:46], v[37:38], off
	s_or_b32 exec_lo, exec_lo, s38
	v_cmp_lt_u32_e64 s37, v89, v167
	s_and_saveexec_b32 s39, s37
	s_cbranch_execz .LBB707_191
.LBB707_259:                            ;   in Loop: Header=BB707_96 Depth=2
	ds_read_b64 v[37:38], v106 offset:29184
	s_waitcnt lgkmcnt(0)
	v_lshrrev_b64 v[45:46], s47, v[37:38]
	v_mov_b32_e32 v46, v3
	v_xor_b32_e32 v38, 0x7fffffff, v38
	v_not_b32_e32 v37, v37
	v_and_b32_e32 v45, s63, v45
	v_lshlrev_b32_e32 v45, 2, v45
	ds_read_b32 v45, v45
	s_waitcnt lgkmcnt(0)
	v_add_nc_u32_e32 v45, v45, v89
	v_lshlrev_b64 v[45:46], 3, v[45:46]
	v_add_co_u32 v45, s38, s42, v45
	v_add_co_ci_u32_e64 v46, null, s43, v46, s38
	global_store_dwordx2 v[45:46], v[37:38], off
	s_or_b32 exec_lo, exec_lo, s39
	v_cmp_lt_u32_e64 s38, v90, v167
	s_and_saveexec_b32 s66, s38
	s_cbranch_execnz .LBB707_192
	s_branch .LBB707_193
.LBB707_260:                            ;   in Loop: Header=BB707_96 Depth=2
	global_load_dwordx2 v[35:36], v[37:38], off
	s_or_b32 exec_lo, exec_lo, s39
	s_mov_b32 s56, exec_lo
	v_cmpx_lt_u32_e64 v131, v167
	s_cbranch_execz .LBB707_195
.LBB707_261:                            ;   in Loop: Header=BB707_96 Depth=2
	global_load_dwordx2 v[33:34], v[37:38], off offset:256
	s_or_b32 exec_lo, exec_lo, s56
	s_mov_b32 s56, exec_lo
	v_cmpx_lt_u32_e64 v132, v167
	s_cbranch_execz .LBB707_196
.LBB707_262:                            ;   in Loop: Header=BB707_96 Depth=2
	global_load_dwordx2 v[31:32], v[37:38], off offset:512
	s_or_b32 exec_lo, exec_lo, s56
	s_mov_b32 s56, exec_lo
	v_cmpx_lt_u32_e64 v133, v167
	s_cbranch_execz .LBB707_197
.LBB707_263:                            ;   in Loop: Header=BB707_96 Depth=2
	global_load_dwordx2 v[29:30], v[37:38], off offset:768
	s_or_b32 exec_lo, exec_lo, s56
	s_mov_b32 s56, exec_lo
	v_cmpx_lt_u32_e64 v134, v167
	s_cbranch_execz .LBB707_198
.LBB707_264:                            ;   in Loop: Header=BB707_96 Depth=2
	global_load_dwordx2 v[27:28], v[37:38], off offset:1024
	s_or_b32 exec_lo, exec_lo, s56
	s_mov_b32 s56, exec_lo
	v_cmpx_lt_u32_e64 v135, v167
	s_cbranch_execz .LBB707_199
.LBB707_265:                            ;   in Loop: Header=BB707_96 Depth=2
	global_load_dwordx2 v[23:24], v[37:38], off offset:1280
	s_or_b32 exec_lo, exec_lo, s56
	s_mov_b32 s56, exec_lo
	v_cmpx_lt_u32_e64 v136, v167
	s_cbranch_execz .LBB707_200
.LBB707_266:                            ;   in Loop: Header=BB707_96 Depth=2
	global_load_dwordx2 v[19:20], v[37:38], off offset:1536
	s_or_b32 exec_lo, exec_lo, s56
	s_mov_b32 s56, exec_lo
	v_cmpx_lt_u32_e64 v137, v167
	s_cbranch_execz .LBB707_201
.LBB707_267:                            ;   in Loop: Header=BB707_96 Depth=2
	global_load_dwordx2 v[15:16], v[37:38], off offset:1792
	s_or_b32 exec_lo, exec_lo, s56
	s_mov_b32 s56, exec_lo
	v_cmpx_lt_u32_e64 v138, v167
	s_cbranch_execz .LBB707_202
.LBB707_268:                            ;   in Loop: Header=BB707_96 Depth=2
	v_add_co_u32 v25, s39, 0x800, v37
	v_add_co_ci_u32_e64 v26, null, 0, v38, s39
	global_load_dwordx2 v[25:26], v[25:26], off
	s_or_b32 exec_lo, exec_lo, s56
	s_mov_b32 s56, exec_lo
	v_cmpx_lt_u32_e64 v139, v167
	s_cbranch_execz .LBB707_203
.LBB707_269:                            ;   in Loop: Header=BB707_96 Depth=2
	v_add_co_u32 v21, s39, 0x800, v37
	v_add_co_ci_u32_e64 v22, null, 0, v38, s39
	global_load_dwordx2 v[21:22], v[21:22], off offset:256
	s_or_b32 exec_lo, exec_lo, s56
	s_mov_b32 s56, exec_lo
	v_cmpx_lt_u32_e64 v140, v167
	s_cbranch_execz .LBB707_204
.LBB707_270:                            ;   in Loop: Header=BB707_96 Depth=2
	v_add_co_u32 v17, s39, 0x800, v37
	v_add_co_ci_u32_e64 v18, null, 0, v38, s39
	global_load_dwordx2 v[17:18], v[17:18], off offset:512
	s_or_b32 exec_lo, exec_lo, s56
	s_mov_b32 s56, exec_lo
	v_cmpx_lt_u32_e64 v141, v167
	s_cbranch_execz .LBB707_205
.LBB707_271:                            ;   in Loop: Header=BB707_96 Depth=2
	v_add_co_u32 v13, s39, 0x800, v37
	v_add_co_ci_u32_e64 v14, null, 0, v38, s39
	global_load_dwordx2 v[13:14], v[13:14], off offset:768
	s_or_b32 exec_lo, exec_lo, s56
	s_mov_b32 s56, exec_lo
	v_cmpx_lt_u32_e64 v142, v167
	s_cbranch_execz .LBB707_206
.LBB707_272:                            ;   in Loop: Header=BB707_96 Depth=2
	v_add_co_u32 v11, s39, 0x800, v37
	v_add_co_ci_u32_e64 v12, null, 0, v38, s39
	global_load_dwordx2 v[11:12], v[11:12], off offset:1024
	s_or_b32 exec_lo, exec_lo, s56
	s_mov_b32 s56, exec_lo
	v_cmpx_lt_u32_e64 v143, v167
	s_cbranch_execz .LBB707_207
.LBB707_273:                            ;   in Loop: Header=BB707_96 Depth=2
	v_add_co_u32 v9, s39, 0x800, v37
	v_add_co_ci_u32_e64 v10, null, 0, v38, s39
	global_load_dwordx2 v[9:10], v[9:10], off offset:1280
	s_or_b32 exec_lo, exec_lo, s56
	s_mov_b32 s56, exec_lo
	v_cmpx_lt_u32_e64 v144, v167
	s_cbranch_execz .LBB707_208
.LBB707_274:                            ;   in Loop: Header=BB707_96 Depth=2
	v_add_co_u32 v7, s39, 0x800, v37
	v_add_co_ci_u32_e64 v8, null, 0, v38, s39
	global_load_dwordx2 v[7:8], v[7:8], off offset:1536
	s_or_b32 exec_lo, exec_lo, s56
	s_mov_b32 s56, exec_lo
	v_cmpx_lt_u32_e64 v145, v167
	s_cbranch_execz .LBB707_209
.LBB707_275:                            ;   in Loop: Header=BB707_96 Depth=2
	v_add_co_u32 v5, s39, 0x800, v37
	v_add_co_ci_u32_e64 v6, null, 0, v38, s39
	global_load_dwordx2 v[5:6], v[5:6], off offset:1792
	s_or_b32 exec_lo, exec_lo, s56
	s_and_saveexec_b32 s39, vcc_lo
	s_cbranch_execz .LBB707_210
.LBB707_276:                            ;   in Loop: Header=BB707_96 Depth=2
	ds_read_b64 v[37:38], v106 offset:512
	s_waitcnt lgkmcnt(0)
	v_lshrrev_b64 v[37:38], s47, v[37:38]
	v_and_b32_e32 v165, s63, v37
	s_or_b32 exec_lo, exec_lo, s39
	s_and_saveexec_b32 s39, s22
	s_cbranch_execz .LBB707_211
.LBB707_277:                            ;   in Loop: Header=BB707_96 Depth=2
	ds_read_b64 v[37:38], v106 offset:2560
	s_waitcnt lgkmcnt(0)
	v_lshrrev_b64 v[37:38], s47, v[37:38]
	v_and_b32_e32 v164, s63, v37
	s_or_b32 exec_lo, exec_lo, s39
	s_and_saveexec_b32 s39, s23
	s_cbranch_execz .LBB707_212
.LBB707_278:                            ;   in Loop: Header=BB707_96 Depth=2
	ds_read_b64 v[37:38], v106 offset:4608
	s_waitcnt lgkmcnt(0)
	v_lshrrev_b64 v[37:38], s47, v[37:38]
	v_and_b32_e32 v162, s63, v37
	s_or_b32 exec_lo, exec_lo, s39
	s_and_saveexec_b32 s39, s24
	s_cbranch_execz .LBB707_213
.LBB707_279:                            ;   in Loop: Header=BB707_96 Depth=2
	ds_read_b64 v[37:38], v106 offset:6656
	s_waitcnt lgkmcnt(0)
	v_lshrrev_b64 v[37:38], s47, v[37:38]
	v_and_b32_e32 v161, s63, v37
	s_or_b32 exec_lo, exec_lo, s39
	s_and_saveexec_b32 s39, s25
	s_cbranch_execz .LBB707_214
.LBB707_280:                            ;   in Loop: Header=BB707_96 Depth=2
	ds_read_b64 v[37:38], v106 offset:8704
	s_waitcnt lgkmcnt(0)
	v_lshrrev_b64 v[37:38], s47, v[37:38]
	v_and_b32_e32 v160, s63, v37
	s_or_b32 exec_lo, exec_lo, s39
	s_and_saveexec_b32 s39, s26
	s_cbranch_execz .LBB707_215
.LBB707_281:                            ;   in Loop: Header=BB707_96 Depth=2
	ds_read_b64 v[37:38], v106 offset:10752
	s_waitcnt lgkmcnt(0)
	v_lshrrev_b64 v[37:38], s47, v[37:38]
	v_and_b32_e32 v159, s63, v37
	s_or_b32 exec_lo, exec_lo, s39
	s_and_saveexec_b32 s39, s28
	s_cbranch_execz .LBB707_216
.LBB707_282:                            ;   in Loop: Header=BB707_96 Depth=2
	ds_read_b64 v[37:38], v106 offset:12800
	s_waitcnt lgkmcnt(0)
	v_lshrrev_b64 v[37:38], s47, v[37:38]
	v_and_b32_e32 v158, s63, v37
	s_or_b32 exec_lo, exec_lo, s39
	s_and_saveexec_b32 s39, s29
	s_cbranch_execz .LBB707_217
.LBB707_283:                            ;   in Loop: Header=BB707_96 Depth=2
	ds_read_b64 v[37:38], v106 offset:14848
	s_waitcnt lgkmcnt(0)
	v_lshrrev_b64 v[37:38], s47, v[37:38]
	v_and_b32_e32 v157, s63, v37
	s_or_b32 exec_lo, exec_lo, s39
	s_and_saveexec_b32 s39, s30
	s_cbranch_execz .LBB707_218
.LBB707_284:                            ;   in Loop: Header=BB707_96 Depth=2
	ds_read_b64 v[37:38], v106 offset:16896
	s_waitcnt lgkmcnt(0)
	v_lshrrev_b64 v[37:38], s47, v[37:38]
	v_and_b32_e32 v156, s63, v37
	s_or_b32 exec_lo, exec_lo, s39
	s_and_saveexec_b32 s39, s31
	s_cbranch_execz .LBB707_219
.LBB707_285:                            ;   in Loop: Header=BB707_96 Depth=2
	ds_read_b64 v[37:38], v106 offset:18944
	s_waitcnt lgkmcnt(0)
	v_lshrrev_b64 v[37:38], s47, v[37:38]
	v_and_b32_e32 v155, s63, v37
	s_or_b32 exec_lo, exec_lo, s39
	s_and_saveexec_b32 s39, s33
	s_cbranch_execz .LBB707_220
.LBB707_286:                            ;   in Loop: Header=BB707_96 Depth=2
	ds_read_b64 v[37:38], v106 offset:20992
	s_waitcnt lgkmcnt(0)
	v_lshrrev_b64 v[37:38], s47, v[37:38]
	v_and_b32_e32 v154, s63, v37
	s_or_b32 exec_lo, exec_lo, s39
	s_and_saveexec_b32 s39, s34
	s_cbranch_execz .LBB707_221
.LBB707_287:                            ;   in Loop: Header=BB707_96 Depth=2
	ds_read_b64 v[37:38], v106 offset:23040
	s_waitcnt lgkmcnt(0)
	v_lshrrev_b64 v[37:38], s47, v[37:38]
	v_and_b32_e32 v153, s63, v37
	s_or_b32 exec_lo, exec_lo, s39
	s_and_saveexec_b32 s39, s35
	s_cbranch_execz .LBB707_222
.LBB707_288:                            ;   in Loop: Header=BB707_96 Depth=2
	ds_read_b64 v[37:38], v106 offset:25088
	s_waitcnt lgkmcnt(0)
	v_lshrrev_b64 v[37:38], s47, v[37:38]
	v_and_b32_e32 v152, s63, v37
	s_or_b32 exec_lo, exec_lo, s39
	s_and_saveexec_b32 s39, s36
	s_cbranch_execz .LBB707_223
.LBB707_289:                            ;   in Loop: Header=BB707_96 Depth=2
	ds_read_b64 v[37:38], v106 offset:27136
	s_waitcnt lgkmcnt(0)
	v_lshrrev_b64 v[37:38], s47, v[37:38]
	v_and_b32_e32 v151, s63, v37
	s_or_b32 exec_lo, exec_lo, s39
	s_and_saveexec_b32 s39, s37
	s_cbranch_execz .LBB707_224
.LBB707_290:                            ;   in Loop: Header=BB707_96 Depth=2
	ds_read_b64 v[37:38], v106 offset:29184
	s_waitcnt lgkmcnt(0)
	v_lshrrev_b64 v[37:38], s47, v[37:38]
	v_and_b32_e32 v150, s63, v37
	s_or_b32 exec_lo, exec_lo, s39
	s_and_saveexec_b32 s39, s38
	s_cbranch_execnz .LBB707_225
	s_branch .LBB707_226
.LBB707_291:                            ;   in Loop: Header=BB707_96 Depth=2
	v_lshlrev_b32_e32 v37, 2, v165
	v_mov_b32_e32 v40, v3
	ds_read_b32 v39, v37
	ds_read_b64 v[37:38], v106 offset:512
	s_waitcnt lgkmcnt(1)
	v_add_nc_u32_e32 v39, v39, v0
	v_lshlrev_b64 v[39:40], 3, v[39:40]
	v_add_co_u32 v39, vcc_lo, s48, v39
	v_add_co_ci_u32_e64 v40, null, s49, v40, vcc_lo
	s_waitcnt lgkmcnt(0)
	global_store_dwordx2 v[39:40], v[37:38], off
	s_or_b32 exec_lo, exec_lo, s39
	s_and_saveexec_b32 s39, s22
	s_cbranch_execz .LBB707_228
.LBB707_292:                            ;   in Loop: Header=BB707_96 Depth=2
	v_lshlrev_b32_e32 v37, 2, v164
	v_mov_b32_e32 v40, v3
	ds_read_b32 v39, v37
	ds_read_b64 v[37:38], v106 offset:2560
	s_waitcnt lgkmcnt(1)
	v_add_nc_u32_e32 v39, v39, v74
	v_lshlrev_b64 v[39:40], 3, v[39:40]
	v_add_co_u32 v39, vcc_lo, s48, v39
	v_add_co_ci_u32_e64 v40, null, s49, v40, vcc_lo
	s_waitcnt lgkmcnt(0)
	global_store_dwordx2 v[39:40], v[37:38], off
	s_or_b32 exec_lo, exec_lo, s39
	s_and_saveexec_b32 s22, s23
	s_cbranch_execz .LBB707_229
.LBB707_293:                            ;   in Loop: Header=BB707_96 Depth=2
	v_lshlrev_b32_e32 v37, 2, v162
	v_mov_b32_e32 v40, v3
	ds_read_b32 v39, v37
	ds_read_b64 v[37:38], v106 offset:4608
	s_waitcnt lgkmcnt(1)
	v_add_nc_u32_e32 v39, v39, v77
	v_lshlrev_b64 v[39:40], 3, v[39:40]
	v_add_co_u32 v39, vcc_lo, s48, v39
	v_add_co_ci_u32_e64 v40, null, s49, v40, vcc_lo
	s_waitcnt lgkmcnt(0)
	global_store_dwordx2 v[39:40], v[37:38], off
	s_or_b32 exec_lo, exec_lo, s22
	s_and_saveexec_b32 s22, s24
	s_cbranch_execz .LBB707_230
.LBB707_294:                            ;   in Loop: Header=BB707_96 Depth=2
	v_lshlrev_b32_e32 v37, 2, v161
	v_mov_b32_e32 v40, v3
	ds_read_b32 v39, v37
	ds_read_b64 v[37:38], v106 offset:6656
	s_waitcnt lgkmcnt(1)
	v_add_nc_u32_e32 v39, v39, v78
	v_lshlrev_b64 v[39:40], 3, v[39:40]
	v_add_co_u32 v39, vcc_lo, s48, v39
	v_add_co_ci_u32_e64 v40, null, s49, v40, vcc_lo
	s_waitcnt lgkmcnt(0)
	global_store_dwordx2 v[39:40], v[37:38], off
	s_or_b32 exec_lo, exec_lo, s22
	s_and_saveexec_b32 s22, s25
	s_cbranch_execz .LBB707_231
.LBB707_295:                            ;   in Loop: Header=BB707_96 Depth=2
	v_lshlrev_b32_e32 v37, 2, v160
	v_mov_b32_e32 v40, v3
	ds_read_b32 v39, v37
	ds_read_b64 v[37:38], v106 offset:8704
	s_waitcnt lgkmcnt(1)
	v_add_nc_u32_e32 v39, v39, v79
	v_lshlrev_b64 v[39:40], 3, v[39:40]
	v_add_co_u32 v39, vcc_lo, s48, v39
	v_add_co_ci_u32_e64 v40, null, s49, v40, vcc_lo
	s_waitcnt lgkmcnt(0)
	global_store_dwordx2 v[39:40], v[37:38], off
	s_or_b32 exec_lo, exec_lo, s22
	s_and_saveexec_b32 s22, s26
	s_cbranch_execz .LBB707_232
.LBB707_296:                            ;   in Loop: Header=BB707_96 Depth=2
	v_lshlrev_b32_e32 v37, 2, v159
	v_mov_b32_e32 v40, v3
	ds_read_b32 v39, v37
	ds_read_b64 v[37:38], v106 offset:10752
	s_waitcnt lgkmcnt(1)
	v_add_nc_u32_e32 v39, v39, v80
	v_lshlrev_b64 v[39:40], 3, v[39:40]
	v_add_co_u32 v39, vcc_lo, s48, v39
	v_add_co_ci_u32_e64 v40, null, s49, v40, vcc_lo
	s_waitcnt lgkmcnt(0)
	global_store_dwordx2 v[39:40], v[37:38], off
	s_or_b32 exec_lo, exec_lo, s22
	s_and_saveexec_b32 s22, s28
	s_cbranch_execz .LBB707_233
.LBB707_297:                            ;   in Loop: Header=BB707_96 Depth=2
	v_lshlrev_b32_e32 v37, 2, v158
	v_mov_b32_e32 v40, v3
	ds_read_b32 v39, v37
	ds_read_b64 v[37:38], v106 offset:12800
	s_waitcnt lgkmcnt(1)
	v_add_nc_u32_e32 v39, v39, v81
	v_lshlrev_b64 v[39:40], 3, v[39:40]
	v_add_co_u32 v39, vcc_lo, s48, v39
	v_add_co_ci_u32_e64 v40, null, s49, v40, vcc_lo
	s_waitcnt lgkmcnt(0)
	global_store_dwordx2 v[39:40], v[37:38], off
	s_or_b32 exec_lo, exec_lo, s22
	s_and_saveexec_b32 s22, s29
	s_cbranch_execz .LBB707_234
.LBB707_298:                            ;   in Loop: Header=BB707_96 Depth=2
	v_lshlrev_b32_e32 v37, 2, v157
	v_mov_b32_e32 v40, v3
	ds_read_b32 v39, v37
	ds_read_b64 v[37:38], v106 offset:14848
	s_waitcnt lgkmcnt(1)
	v_add_nc_u32_e32 v39, v39, v82
	v_lshlrev_b64 v[39:40], 3, v[39:40]
	v_add_co_u32 v39, vcc_lo, s48, v39
	v_add_co_ci_u32_e64 v40, null, s49, v40, vcc_lo
	s_waitcnt lgkmcnt(0)
	global_store_dwordx2 v[39:40], v[37:38], off
	s_or_b32 exec_lo, exec_lo, s22
	s_and_saveexec_b32 s22, s30
	s_cbranch_execz .LBB707_235
.LBB707_299:                            ;   in Loop: Header=BB707_96 Depth=2
	v_lshlrev_b32_e32 v37, 2, v156
	v_mov_b32_e32 v40, v3
	ds_read_b32 v39, v37
	ds_read_b64 v[37:38], v106 offset:16896
	s_waitcnt lgkmcnt(1)
	v_add_nc_u32_e32 v39, v39, v83
	v_lshlrev_b64 v[39:40], 3, v[39:40]
	v_add_co_u32 v39, vcc_lo, s48, v39
	v_add_co_ci_u32_e64 v40, null, s49, v40, vcc_lo
	s_waitcnt lgkmcnt(0)
	global_store_dwordx2 v[39:40], v[37:38], off
	s_or_b32 exec_lo, exec_lo, s22
	s_and_saveexec_b32 s22, s31
	s_cbranch_execz .LBB707_236
.LBB707_300:                            ;   in Loop: Header=BB707_96 Depth=2
	v_lshlrev_b32_e32 v37, 2, v155
	v_mov_b32_e32 v40, v3
	ds_read_b32 v39, v37
	ds_read_b64 v[37:38], v106 offset:18944
	s_waitcnt lgkmcnt(1)
	v_add_nc_u32_e32 v39, v39, v84
	v_lshlrev_b64 v[39:40], 3, v[39:40]
	v_add_co_u32 v39, vcc_lo, s48, v39
	v_add_co_ci_u32_e64 v40, null, s49, v40, vcc_lo
	s_waitcnt lgkmcnt(0)
	global_store_dwordx2 v[39:40], v[37:38], off
	s_or_b32 exec_lo, exec_lo, s22
	s_and_saveexec_b32 s22, s33
	s_cbranch_execz .LBB707_237
.LBB707_301:                            ;   in Loop: Header=BB707_96 Depth=2
	v_lshlrev_b32_e32 v37, 2, v154
	v_mov_b32_e32 v40, v3
	ds_read_b32 v39, v37
	ds_read_b64 v[37:38], v106 offset:20992
	s_waitcnt lgkmcnt(1)
	v_add_nc_u32_e32 v39, v39, v85
	v_lshlrev_b64 v[39:40], 3, v[39:40]
	v_add_co_u32 v39, vcc_lo, s48, v39
	v_add_co_ci_u32_e64 v40, null, s49, v40, vcc_lo
	s_waitcnt lgkmcnt(0)
	global_store_dwordx2 v[39:40], v[37:38], off
	s_or_b32 exec_lo, exec_lo, s22
	s_and_saveexec_b32 s22, s34
	s_cbranch_execz .LBB707_238
.LBB707_302:                            ;   in Loop: Header=BB707_96 Depth=2
	v_lshlrev_b32_e32 v37, 2, v153
	v_mov_b32_e32 v40, v3
	ds_read_b32 v39, v37
	ds_read_b64 v[37:38], v106 offset:23040
	s_waitcnt lgkmcnt(1)
	v_add_nc_u32_e32 v39, v39, v86
	v_lshlrev_b64 v[39:40], 3, v[39:40]
	v_add_co_u32 v39, vcc_lo, s48, v39
	v_add_co_ci_u32_e64 v40, null, s49, v40, vcc_lo
	s_waitcnt lgkmcnt(0)
	global_store_dwordx2 v[39:40], v[37:38], off
	s_or_b32 exec_lo, exec_lo, s22
	s_and_saveexec_b32 s22, s35
	s_cbranch_execz .LBB707_239
.LBB707_303:                            ;   in Loop: Header=BB707_96 Depth=2
	v_lshlrev_b32_e32 v37, 2, v152
	v_mov_b32_e32 v40, v3
	ds_read_b32 v39, v37
	ds_read_b64 v[37:38], v106 offset:25088
	s_waitcnt lgkmcnt(1)
	v_add_nc_u32_e32 v39, v39, v87
	v_lshlrev_b64 v[39:40], 3, v[39:40]
	v_add_co_u32 v39, vcc_lo, s48, v39
	v_add_co_ci_u32_e64 v40, null, s49, v40, vcc_lo
	s_waitcnt lgkmcnt(0)
	global_store_dwordx2 v[39:40], v[37:38], off
	s_or_b32 exec_lo, exec_lo, s22
	s_and_saveexec_b32 s22, s36
	s_cbranch_execz .LBB707_240
.LBB707_304:                            ;   in Loop: Header=BB707_96 Depth=2
	v_lshlrev_b32_e32 v37, 2, v151
	v_mov_b32_e32 v40, v3
	ds_read_b32 v39, v37
	ds_read_b64 v[37:38], v106 offset:27136
	s_waitcnt lgkmcnt(1)
	v_add_nc_u32_e32 v39, v39, v88
	v_lshlrev_b64 v[39:40], 3, v[39:40]
	v_add_co_u32 v39, vcc_lo, s48, v39
	v_add_co_ci_u32_e64 v40, null, s49, v40, vcc_lo
	s_waitcnt lgkmcnt(0)
	global_store_dwordx2 v[39:40], v[37:38], off
	s_or_b32 exec_lo, exec_lo, s22
	s_and_saveexec_b32 s22, s37
	s_cbranch_execz .LBB707_241
.LBB707_305:                            ;   in Loop: Header=BB707_96 Depth=2
	v_lshlrev_b32_e32 v37, 2, v150
	v_mov_b32_e32 v40, v3
	ds_read_b32 v39, v37
	ds_read_b64 v[37:38], v106 offset:29184
	s_waitcnt lgkmcnt(1)
	v_add_nc_u32_e32 v39, v39, v89
	v_lshlrev_b64 v[39:40], 3, v[39:40]
	v_add_co_u32 v39, vcc_lo, s48, v39
	v_add_co_ci_u32_e64 v40, null, s49, v40, vcc_lo
	s_waitcnt lgkmcnt(0)
	global_store_dwordx2 v[39:40], v[37:38], off
	s_or_b32 exec_lo, exec_lo, s22
	s_and_saveexec_b32 s22, s38
	s_cbranch_execnz .LBB707_242
	s_branch .LBB707_243
.LBB707_306:                            ;   in Loop: Header=BB707_12 Depth=1
	s_waitcnt lgkmcnt(0)
	s_mov_b32 s5, 0
	s_barrier
.LBB707_307:                            ;   in Loop: Header=BB707_12 Depth=1
	s_and_b32 vcc_lo, exec_lo, s5
	s_cbranch_vccz .LBB707_601
; %bb.308:                              ;   in Loop: Header=BB707_12 Depth=1
	s_mov_b32 s5, s62
	s_mov_b32 s56, s60
	s_barrier
	buffer_gl0_inv
                                        ; implicit-def: $vgpr5_vgpr6
                                        ; implicit-def: $vgpr7_vgpr8
                                        ; implicit-def: $vgpr9_vgpr10
                                        ; implicit-def: $vgpr11_vgpr12
                                        ; implicit-def: $vgpr13_vgpr14
                                        ; implicit-def: $vgpr15_vgpr16
                                        ; implicit-def: $vgpr17_vgpr18
                                        ; implicit-def: $vgpr19_vgpr20
                                        ; implicit-def: $vgpr21_vgpr22
                                        ; implicit-def: $vgpr23_vgpr24
                                        ; implicit-def: $vgpr25_vgpr26
                                        ; implicit-def: $vgpr27_vgpr28
                                        ; implicit-def: $vgpr29_vgpr30
                                        ; implicit-def: $vgpr31_vgpr32
                                        ; implicit-def: $vgpr33_vgpr34
                                        ; implicit-def: $vgpr35_vgpr36
	s_branch .LBB707_310
.LBB707_309:                            ;   in Loop: Header=BB707_310 Depth=2
	s_or_b32 exec_lo, exec_lo, s14
	s_addk_i32 s5, 0xf000
	s_cmp_ge_u32 s16, s61
	s_mov_b32 s56, s16
	s_cbranch_scc1 .LBB707_378
.LBB707_310:                            ;   Parent Loop BB707_12 Depth=1
                                        ; =>  This Inner Loop Header: Depth=2
	s_add_i32 s16, s56, 0x1000
	s_mov_b32 s14, -1
	s_cmp_gt_u32 s16, s61
                                        ; implicit-def: $vgpr47_vgpr48
                                        ; implicit-def: $vgpr51_vgpr52
                                        ; implicit-def: $vgpr55_vgpr56
                                        ; implicit-def: $vgpr37_vgpr38
                                        ; implicit-def: $vgpr39_vgpr40
                                        ; implicit-def: $vgpr41_vgpr42
                                        ; implicit-def: $vgpr43_vgpr44
                                        ; implicit-def: $vgpr45_vgpr46
                                        ; implicit-def: $vgpr49_vgpr50
                                        ; implicit-def: $vgpr53_vgpr54
                                        ; implicit-def: $vgpr57_vgpr58
                                        ; implicit-def: $vgpr59_vgpr60
                                        ; implicit-def: $vgpr61_vgpr62
                                        ; implicit-def: $vgpr63_vgpr64
                                        ; implicit-def: $vgpr65_vgpr66
                                        ; implicit-def: $vgpr67_vgpr68
	s_cbranch_scc1 .LBB707_312
; %bb.311:                              ;   in Loop: Header=BB707_310 Depth=2
	s_lshl_b64 s[14:15], s[56:57], 3
	v_add_co_u32 v47, vcc_lo, v107, s14
	v_add_co_ci_u32_e64 v48, null, s15, v108, vcc_lo
	s_mov_b32 s14, 0
	v_add_co_u32 v55, vcc_lo, v47, 0x1000
	v_add_co_ci_u32_e64 v56, null, 0, v48, vcc_lo
	v_add_co_u32 v39, vcc_lo, v47, 0x2000
	v_add_co_ci_u32_e64 v40, null, 0, v48, vcc_lo
	v_add_co_u32 v43, vcc_lo, v47, 0x3000
	v_add_co_ci_u32_e64 v44, null, 0, v48, vcc_lo
	v_add_co_u32 v49, vcc_lo, v47, 0x4000
	v_add_co_ci_u32_e64 v50, null, 0, v48, vcc_lo
	v_add_co_u32 v51, vcc_lo, v47, 0x5000
	v_add_co_ci_u32_e64 v52, null, 0, v48, vcc_lo
	s_clause 0x7
	global_load_dwordx2 v[37:38], v[39:40], off offset:-2048
	global_load_dwordx2 v[39:40], v[39:40], off
	global_load_dwordx2 v[41:42], v[43:44], off offset:-2048
	global_load_dwordx2 v[43:44], v[43:44], off
	;; [unrolled: 2-line block ×4, first 2 shown]
	v_add_co_u32 v51, vcc_lo, v47, 0x6000
	v_add_co_ci_u32_e64 v52, null, 0, v48, vcc_lo
	v_add_co_u32 v65, vcc_lo, v47, 0x7000
	v_add_co_ci_u32_e64 v66, null, 0, v48, vcc_lo
	;; [unrolled: 2-line block ×3, first 2 shown]
	s_clause 0x7
	global_load_dwordx2 v[59:60], v[51:52], off offset:-2048
	global_load_dwordx2 v[61:62], v[51:52], off
	global_load_dwordx2 v[63:64], v[65:66], off offset:-2048
	global_load_dwordx2 v[65:66], v[65:66], off
	global_load_dwordx2 v[47:48], v[47:48], off
	global_load_dwordx2 v[51:52], v[55:56], off offset:-2048
	global_load_dwordx2 v[55:56], v[55:56], off
	global_load_dwordx2 v[67:68], v[67:68], off
.LBB707_312:                            ;   in Loop: Header=BB707_310 Depth=2
	s_andn2_b32 vcc_lo, exec_lo, s14
	s_movk_i32 s14, 0x1000
	s_cbranch_vccnz .LBB707_331
; %bb.313:                              ;   in Loop: Header=BB707_310 Depth=2
	s_lshl_b64 s[14:15], s[56:57], 3
	s_mov_b32 s17, exec_lo
	s_add_u32 s14, s42, s14
	s_addc_u32 s15, s43, s15
	v_cmpx_gt_u32_e64 s5, v0
	s_cbranch_execnz .LBB707_363
; %bb.314:                              ;   in Loop: Header=BB707_310 Depth=2
	s_or_b32 exec_lo, exec_lo, s17
	s_mov_b32 s17, exec_lo
	v_cmpx_gt_u32_e64 s5, v74
	s_cbranch_execnz .LBB707_364
.LBB707_315:                            ;   in Loop: Header=BB707_310 Depth=2
	s_or_b32 exec_lo, exec_lo, s17
	s_mov_b32 s17, exec_lo
	v_cmpx_gt_u32_e64 s5, v77
	s_cbranch_execnz .LBB707_365
.LBB707_316:                            ;   in Loop: Header=BB707_310 Depth=2
	s_or_b32 exec_lo, exec_lo, s17
	s_mov_b32 s17, exec_lo
	v_cmpx_gt_u32_e64 s5, v78
	s_cbranch_execnz .LBB707_366
.LBB707_317:                            ;   in Loop: Header=BB707_310 Depth=2
	s_or_b32 exec_lo, exec_lo, s17
	s_mov_b32 s17, exec_lo
	v_cmpx_gt_u32_e64 s5, v79
	s_cbranch_execnz .LBB707_367
.LBB707_318:                            ;   in Loop: Header=BB707_310 Depth=2
	s_or_b32 exec_lo, exec_lo, s17
	s_mov_b32 s17, exec_lo
	v_cmpx_gt_u32_e64 s5, v80
	s_cbranch_execnz .LBB707_368
.LBB707_319:                            ;   in Loop: Header=BB707_310 Depth=2
	s_or_b32 exec_lo, exec_lo, s17
	s_mov_b32 s17, exec_lo
	v_cmpx_gt_u32_e64 s5, v81
	s_cbranch_execnz .LBB707_369
.LBB707_320:                            ;   in Loop: Header=BB707_310 Depth=2
	s_or_b32 exec_lo, exec_lo, s17
	s_mov_b32 s17, exec_lo
	v_cmpx_gt_u32_e64 s5, v82
	s_cbranch_execnz .LBB707_370
.LBB707_321:                            ;   in Loop: Header=BB707_310 Depth=2
	s_or_b32 exec_lo, exec_lo, s17
	s_mov_b32 s17, exec_lo
	v_cmpx_gt_u32_e64 s5, v83
	s_cbranch_execnz .LBB707_371
.LBB707_322:                            ;   in Loop: Header=BB707_310 Depth=2
	s_or_b32 exec_lo, exec_lo, s17
	s_mov_b32 s17, exec_lo
	v_cmpx_gt_u32_e64 s5, v84
	s_cbranch_execnz .LBB707_372
.LBB707_323:                            ;   in Loop: Header=BB707_310 Depth=2
	s_or_b32 exec_lo, exec_lo, s17
	s_mov_b32 s17, exec_lo
	v_cmpx_gt_u32_e64 s5, v85
	s_cbranch_execnz .LBB707_373
.LBB707_324:                            ;   in Loop: Header=BB707_310 Depth=2
	s_or_b32 exec_lo, exec_lo, s17
	s_mov_b32 s17, exec_lo
	v_cmpx_gt_u32_e64 s5, v86
	s_cbranch_execnz .LBB707_374
.LBB707_325:                            ;   in Loop: Header=BB707_310 Depth=2
	s_or_b32 exec_lo, exec_lo, s17
	s_mov_b32 s17, exec_lo
	v_cmpx_gt_u32_e64 s5, v87
	s_cbranch_execnz .LBB707_375
.LBB707_326:                            ;   in Loop: Header=BB707_310 Depth=2
	s_or_b32 exec_lo, exec_lo, s17
	s_mov_b32 s17, exec_lo
	v_cmpx_gt_u32_e64 s5, v88
	s_cbranch_execnz .LBB707_376
.LBB707_327:                            ;   in Loop: Header=BB707_310 Depth=2
	s_or_b32 exec_lo, exec_lo, s17
	s_mov_b32 s17, exec_lo
	v_cmpx_gt_u32_e64 s5, v89
	s_cbranch_execnz .LBB707_377
.LBB707_328:                            ;   in Loop: Header=BB707_310 Depth=2
	s_or_b32 exec_lo, exec_lo, s17
	s_mov_b32 s17, exec_lo
	v_cmpx_gt_u32_e64 s5, v90
	s_cbranch_execz .LBB707_330
.LBB707_329:                            ;   in Loop: Header=BB707_310 Depth=2
	v_lshlrev_b32_e32 v5, 3, v90
	global_load_dwordx2 v[5:6], v5, s[14:15]
.LBB707_330:                            ;   in Loop: Header=BB707_310 Depth=2
	s_or_b32 exec_lo, exec_lo, s17
	s_waitcnt vmcnt(0)
	v_mov_b32_e32 v48, v36
	v_mov_b32_e32 v52, v34
	;; [unrolled: 1-line block ×32, first 2 shown]
	s_mov_b32 s14, s5
.LBB707_331:                            ;   in Loop: Header=BB707_310 Depth=2
	s_waitcnt vmcnt(0)
	v_mov_b32_e32 v5, v67
	v_mov_b32_e32 v7, v65
	;; [unrolled: 1-line block ×32, first 2 shown]
	s_mov_b32 s15, exec_lo
	v_cmpx_gt_u32_e64 s14, v0
	s_cbranch_execnz .LBB707_347
; %bb.332:                              ;   in Loop: Header=BB707_310 Depth=2
	s_or_b32 exec_lo, exec_lo, s15
	s_mov_b32 s15, exec_lo
	v_cmpx_gt_u32_e64 s14, v74
	s_cbranch_execnz .LBB707_348
.LBB707_333:                            ;   in Loop: Header=BB707_310 Depth=2
	s_or_b32 exec_lo, exec_lo, s15
	s_mov_b32 s15, exec_lo
	v_cmpx_gt_u32_e64 s14, v77
	s_cbranch_execnz .LBB707_349
.LBB707_334:                            ;   in Loop: Header=BB707_310 Depth=2
	s_or_b32 exec_lo, exec_lo, s15
	s_mov_b32 s15, exec_lo
	v_cmpx_gt_u32_e64 s14, v78
	s_cbranch_execnz .LBB707_350
.LBB707_335:                            ;   in Loop: Header=BB707_310 Depth=2
	s_or_b32 exec_lo, exec_lo, s15
	s_mov_b32 s15, exec_lo
	v_cmpx_gt_u32_e64 s14, v79
	s_cbranch_execnz .LBB707_351
.LBB707_336:                            ;   in Loop: Header=BB707_310 Depth=2
	s_or_b32 exec_lo, exec_lo, s15
	s_mov_b32 s15, exec_lo
	v_cmpx_gt_u32_e64 s14, v80
	s_cbranch_execnz .LBB707_352
.LBB707_337:                            ;   in Loop: Header=BB707_310 Depth=2
	s_or_b32 exec_lo, exec_lo, s15
	s_mov_b32 s15, exec_lo
	v_cmpx_gt_u32_e64 s14, v81
	s_cbranch_execnz .LBB707_353
.LBB707_338:                            ;   in Loop: Header=BB707_310 Depth=2
	s_or_b32 exec_lo, exec_lo, s15
	s_mov_b32 s15, exec_lo
	v_cmpx_gt_u32_e64 s14, v82
	s_cbranch_execnz .LBB707_354
.LBB707_339:                            ;   in Loop: Header=BB707_310 Depth=2
	s_or_b32 exec_lo, exec_lo, s15
	s_mov_b32 s15, exec_lo
	v_cmpx_gt_u32_e64 s14, v83
	s_cbranch_execnz .LBB707_355
.LBB707_340:                            ;   in Loop: Header=BB707_310 Depth=2
	s_or_b32 exec_lo, exec_lo, s15
	s_mov_b32 s15, exec_lo
	v_cmpx_gt_u32_e64 s14, v84
	s_cbranch_execnz .LBB707_356
.LBB707_341:                            ;   in Loop: Header=BB707_310 Depth=2
	s_or_b32 exec_lo, exec_lo, s15
	s_mov_b32 s15, exec_lo
	v_cmpx_gt_u32_e64 s14, v85
	s_cbranch_execnz .LBB707_357
.LBB707_342:                            ;   in Loop: Header=BB707_310 Depth=2
	s_or_b32 exec_lo, exec_lo, s15
	s_mov_b32 s15, exec_lo
	v_cmpx_gt_u32_e64 s14, v86
	s_cbranch_execnz .LBB707_358
.LBB707_343:                            ;   in Loop: Header=BB707_310 Depth=2
	s_or_b32 exec_lo, exec_lo, s15
	s_mov_b32 s15, exec_lo
	v_cmpx_gt_u32_e64 s14, v87
	s_cbranch_execnz .LBB707_359
.LBB707_344:                            ;   in Loop: Header=BB707_310 Depth=2
	s_or_b32 exec_lo, exec_lo, s15
	s_mov_b32 s15, exec_lo
	v_cmpx_gt_u32_e64 s14, v88
	s_cbranch_execnz .LBB707_360
.LBB707_345:                            ;   in Loop: Header=BB707_310 Depth=2
	s_or_b32 exec_lo, exec_lo, s15
	s_mov_b32 s15, exec_lo
	v_cmpx_gt_u32_e64 s14, v89
	s_cbranch_execnz .LBB707_361
.LBB707_346:                            ;   in Loop: Header=BB707_310 Depth=2
	s_or_b32 exec_lo, exec_lo, s15
	v_cmp_gt_u32_e32 vcc_lo, s14, v90
	s_and_saveexec_b32 s14, vcc_lo
	s_cbranch_execz .LBB707_309
	s_branch .LBB707_362
.LBB707_347:                            ;   in Loop: Header=BB707_310 Depth=2
	v_xor_b32_e32 v38, 0x7fffffff, v36
	v_not_b32_e32 v37, v35
	v_lshrrev_b64 v[37:38], s47, v[37:38]
	v_and_b32_e32 v37, s63, v37
	v_lshl_or_b32 v37, v37, 4, v91
	ds_add_u32 v37, v119
	s_or_b32 exec_lo, exec_lo, s15
	s_mov_b32 s15, exec_lo
	v_cmpx_gt_u32_e64 s14, v74
	s_cbranch_execz .LBB707_333
.LBB707_348:                            ;   in Loop: Header=BB707_310 Depth=2
	v_xor_b32_e32 v38, 0x7fffffff, v34
	v_not_b32_e32 v37, v33
	v_lshrrev_b64 v[37:38], s47, v[37:38]
	v_and_b32_e32 v37, s63, v37
	v_lshl_or_b32 v37, v37, 4, v91
	ds_add_u32 v37, v119
	s_or_b32 exec_lo, exec_lo, s15
	s_mov_b32 s15, exec_lo
	v_cmpx_gt_u32_e64 s14, v77
	s_cbranch_execz .LBB707_334
.LBB707_349:                            ;   in Loop: Header=BB707_310 Depth=2
	v_xor_b32_e32 v38, 0x7fffffff, v32
	v_not_b32_e32 v37, v31
	v_lshrrev_b64 v[37:38], s47, v[37:38]
	v_and_b32_e32 v37, s63, v37
	v_lshl_or_b32 v37, v37, 4, v91
	ds_add_u32 v37, v119
	s_or_b32 exec_lo, exec_lo, s15
	s_mov_b32 s15, exec_lo
	v_cmpx_gt_u32_e64 s14, v78
	s_cbranch_execz .LBB707_335
.LBB707_350:                            ;   in Loop: Header=BB707_310 Depth=2
	v_xor_b32_e32 v38, 0x7fffffff, v30
	v_not_b32_e32 v37, v29
	v_lshrrev_b64 v[37:38], s47, v[37:38]
	v_and_b32_e32 v37, s63, v37
	v_lshl_or_b32 v37, v37, 4, v91
	ds_add_u32 v37, v119
	s_or_b32 exec_lo, exec_lo, s15
	s_mov_b32 s15, exec_lo
	v_cmpx_gt_u32_e64 s14, v79
	s_cbranch_execz .LBB707_336
.LBB707_351:                            ;   in Loop: Header=BB707_310 Depth=2
	v_xor_b32_e32 v38, 0x7fffffff, v28
	v_not_b32_e32 v37, v27
	v_lshrrev_b64 v[37:38], s47, v[37:38]
	v_and_b32_e32 v37, s63, v37
	v_lshl_or_b32 v37, v37, 4, v91
	ds_add_u32 v37, v119
	s_or_b32 exec_lo, exec_lo, s15
	s_mov_b32 s15, exec_lo
	v_cmpx_gt_u32_e64 s14, v80
	s_cbranch_execz .LBB707_337
.LBB707_352:                            ;   in Loop: Header=BB707_310 Depth=2
	v_xor_b32_e32 v38, 0x7fffffff, v26
	v_not_b32_e32 v37, v25
	v_lshrrev_b64 v[37:38], s47, v[37:38]
	v_and_b32_e32 v37, s63, v37
	v_lshl_or_b32 v37, v37, 4, v91
	ds_add_u32 v37, v119
	s_or_b32 exec_lo, exec_lo, s15
	s_mov_b32 s15, exec_lo
	v_cmpx_gt_u32_e64 s14, v81
	s_cbranch_execz .LBB707_338
.LBB707_353:                            ;   in Loop: Header=BB707_310 Depth=2
	v_xor_b32_e32 v38, 0x7fffffff, v24
	v_not_b32_e32 v37, v23
	v_lshrrev_b64 v[37:38], s47, v[37:38]
	v_and_b32_e32 v37, s63, v37
	v_lshl_or_b32 v37, v37, 4, v91
	ds_add_u32 v37, v119
	s_or_b32 exec_lo, exec_lo, s15
	s_mov_b32 s15, exec_lo
	v_cmpx_gt_u32_e64 s14, v82
	s_cbranch_execz .LBB707_339
.LBB707_354:                            ;   in Loop: Header=BB707_310 Depth=2
	v_xor_b32_e32 v38, 0x7fffffff, v22
	v_not_b32_e32 v37, v21
	v_lshrrev_b64 v[37:38], s47, v[37:38]
	v_and_b32_e32 v37, s63, v37
	v_lshl_or_b32 v37, v37, 4, v91
	ds_add_u32 v37, v119
	s_or_b32 exec_lo, exec_lo, s15
	s_mov_b32 s15, exec_lo
	v_cmpx_gt_u32_e64 s14, v83
	s_cbranch_execz .LBB707_340
.LBB707_355:                            ;   in Loop: Header=BB707_310 Depth=2
	v_xor_b32_e32 v38, 0x7fffffff, v20
	v_not_b32_e32 v37, v19
	v_lshrrev_b64 v[37:38], s47, v[37:38]
	v_and_b32_e32 v37, s63, v37
	v_lshl_or_b32 v37, v37, 4, v91
	ds_add_u32 v37, v119
	s_or_b32 exec_lo, exec_lo, s15
	s_mov_b32 s15, exec_lo
	v_cmpx_gt_u32_e64 s14, v84
	s_cbranch_execz .LBB707_341
.LBB707_356:                            ;   in Loop: Header=BB707_310 Depth=2
	v_xor_b32_e32 v38, 0x7fffffff, v18
	v_not_b32_e32 v37, v17
	v_lshrrev_b64 v[37:38], s47, v[37:38]
	v_and_b32_e32 v37, s63, v37
	v_lshl_or_b32 v37, v37, 4, v91
	ds_add_u32 v37, v119
	s_or_b32 exec_lo, exec_lo, s15
	s_mov_b32 s15, exec_lo
	v_cmpx_gt_u32_e64 s14, v85
	s_cbranch_execz .LBB707_342
.LBB707_357:                            ;   in Loop: Header=BB707_310 Depth=2
	v_xor_b32_e32 v38, 0x7fffffff, v16
	v_not_b32_e32 v37, v15
	v_lshrrev_b64 v[37:38], s47, v[37:38]
	v_and_b32_e32 v37, s63, v37
	v_lshl_or_b32 v37, v37, 4, v91
	ds_add_u32 v37, v119
	s_or_b32 exec_lo, exec_lo, s15
	s_mov_b32 s15, exec_lo
	v_cmpx_gt_u32_e64 s14, v86
	s_cbranch_execz .LBB707_343
.LBB707_358:                            ;   in Loop: Header=BB707_310 Depth=2
	v_xor_b32_e32 v38, 0x7fffffff, v14
	v_not_b32_e32 v37, v13
	v_lshrrev_b64 v[37:38], s47, v[37:38]
	v_and_b32_e32 v37, s63, v37
	v_lshl_or_b32 v37, v37, 4, v91
	ds_add_u32 v37, v119
	s_or_b32 exec_lo, exec_lo, s15
	s_mov_b32 s15, exec_lo
	v_cmpx_gt_u32_e64 s14, v87
	s_cbranch_execz .LBB707_344
.LBB707_359:                            ;   in Loop: Header=BB707_310 Depth=2
	v_xor_b32_e32 v38, 0x7fffffff, v12
	v_not_b32_e32 v37, v11
	v_lshrrev_b64 v[37:38], s47, v[37:38]
	v_and_b32_e32 v37, s63, v37
	v_lshl_or_b32 v37, v37, 4, v91
	ds_add_u32 v37, v119
	s_or_b32 exec_lo, exec_lo, s15
	s_mov_b32 s15, exec_lo
	v_cmpx_gt_u32_e64 s14, v88
	s_cbranch_execz .LBB707_345
.LBB707_360:                            ;   in Loop: Header=BB707_310 Depth=2
	v_xor_b32_e32 v38, 0x7fffffff, v10
	v_not_b32_e32 v37, v9
	v_lshrrev_b64 v[37:38], s47, v[37:38]
	v_and_b32_e32 v37, s63, v37
	v_lshl_or_b32 v37, v37, 4, v91
	ds_add_u32 v37, v119
	s_or_b32 exec_lo, exec_lo, s15
	s_mov_b32 s15, exec_lo
	v_cmpx_gt_u32_e64 s14, v89
	s_cbranch_execz .LBB707_346
.LBB707_361:                            ;   in Loop: Header=BB707_310 Depth=2
	v_xor_b32_e32 v38, 0x7fffffff, v8
	v_not_b32_e32 v37, v7
	v_lshrrev_b64 v[37:38], s47, v[37:38]
	v_and_b32_e32 v37, s63, v37
	v_lshl_or_b32 v37, v37, 4, v91
	ds_add_u32 v37, v119
	s_or_b32 exec_lo, exec_lo, s15
	v_cmp_gt_u32_e32 vcc_lo, s14, v90
	s_and_saveexec_b32 s14, vcc_lo
	s_cbranch_execz .LBB707_309
.LBB707_362:                            ;   in Loop: Header=BB707_310 Depth=2
	v_xor_b32_e32 v38, 0x7fffffff, v6
	v_not_b32_e32 v37, v5
	v_lshrrev_b64 v[37:38], s47, v[37:38]
	v_and_b32_e32 v37, s63, v37
	v_lshl_or_b32 v37, v37, 4, v91
	ds_add_u32 v37, v119
	s_branch .LBB707_309
.LBB707_363:                            ;   in Loop: Header=BB707_310 Depth=2
	global_load_dwordx2 v[35:36], v120, s[14:15]
	s_or_b32 exec_lo, exec_lo, s17
	s_mov_b32 s17, exec_lo
	v_cmpx_gt_u32_e64 s5, v74
	s_cbranch_execz .LBB707_315
.LBB707_364:                            ;   in Loop: Header=BB707_310 Depth=2
	global_load_dwordx2 v[33:34], v121, s[14:15]
	s_or_b32 exec_lo, exec_lo, s17
	s_mov_b32 s17, exec_lo
	v_cmpx_gt_u32_e64 s5, v77
	s_cbranch_execz .LBB707_316
.LBB707_365:                            ;   in Loop: Header=BB707_310 Depth=2
	global_load_dwordx2 v[31:32], v122, s[14:15]
	s_or_b32 exec_lo, exec_lo, s17
	s_mov_b32 s17, exec_lo
	v_cmpx_gt_u32_e64 s5, v78
	s_cbranch_execz .LBB707_317
.LBB707_366:                            ;   in Loop: Header=BB707_310 Depth=2
	global_load_dwordx2 v[29:30], v123, s[14:15]
	s_or_b32 exec_lo, exec_lo, s17
	s_mov_b32 s17, exec_lo
	v_cmpx_gt_u32_e64 s5, v79
	s_cbranch_execz .LBB707_318
.LBB707_367:                            ;   in Loop: Header=BB707_310 Depth=2
	global_load_dwordx2 v[27:28], v124, s[14:15]
	s_or_b32 exec_lo, exec_lo, s17
	s_mov_b32 s17, exec_lo
	v_cmpx_gt_u32_e64 s5, v80
	s_cbranch_execz .LBB707_319
.LBB707_368:                            ;   in Loop: Header=BB707_310 Depth=2
	global_load_dwordx2 v[25:26], v125, s[14:15]
	s_or_b32 exec_lo, exec_lo, s17
	s_mov_b32 s17, exec_lo
	v_cmpx_gt_u32_e64 s5, v81
	s_cbranch_execz .LBB707_320
.LBB707_369:                            ;   in Loop: Header=BB707_310 Depth=2
	v_lshlrev_b32_e32 v23, 3, v81
	global_load_dwordx2 v[23:24], v23, s[14:15]
	s_or_b32 exec_lo, exec_lo, s17
	s_mov_b32 s17, exec_lo
	v_cmpx_gt_u32_e64 s5, v82
	s_cbranch_execz .LBB707_321
.LBB707_370:                            ;   in Loop: Header=BB707_310 Depth=2
	v_lshlrev_b32_e32 v21, 3, v82
	global_load_dwordx2 v[21:22], v21, s[14:15]
	s_or_b32 exec_lo, exec_lo, s17
	s_mov_b32 s17, exec_lo
	v_cmpx_gt_u32_e64 s5, v83
	s_cbranch_execz .LBB707_322
.LBB707_371:                            ;   in Loop: Header=BB707_310 Depth=2
	v_lshlrev_b32_e32 v19, 3, v83
	global_load_dwordx2 v[19:20], v19, s[14:15]
	s_or_b32 exec_lo, exec_lo, s17
	s_mov_b32 s17, exec_lo
	v_cmpx_gt_u32_e64 s5, v84
	s_cbranch_execz .LBB707_323
.LBB707_372:                            ;   in Loop: Header=BB707_310 Depth=2
	v_lshlrev_b32_e32 v17, 3, v84
	global_load_dwordx2 v[17:18], v17, s[14:15]
	s_or_b32 exec_lo, exec_lo, s17
	s_mov_b32 s17, exec_lo
	v_cmpx_gt_u32_e64 s5, v85
	s_cbranch_execz .LBB707_324
.LBB707_373:                            ;   in Loop: Header=BB707_310 Depth=2
	v_lshlrev_b32_e32 v15, 3, v85
	global_load_dwordx2 v[15:16], v15, s[14:15]
	s_or_b32 exec_lo, exec_lo, s17
	s_mov_b32 s17, exec_lo
	v_cmpx_gt_u32_e64 s5, v86
	s_cbranch_execz .LBB707_325
.LBB707_374:                            ;   in Loop: Header=BB707_310 Depth=2
	v_lshlrev_b32_e32 v13, 3, v86
	global_load_dwordx2 v[13:14], v13, s[14:15]
	s_or_b32 exec_lo, exec_lo, s17
	s_mov_b32 s17, exec_lo
	v_cmpx_gt_u32_e64 s5, v87
	s_cbranch_execz .LBB707_326
.LBB707_375:                            ;   in Loop: Header=BB707_310 Depth=2
	v_lshlrev_b32_e32 v11, 3, v87
	global_load_dwordx2 v[11:12], v11, s[14:15]
	s_or_b32 exec_lo, exec_lo, s17
	s_mov_b32 s17, exec_lo
	v_cmpx_gt_u32_e64 s5, v88
	s_cbranch_execz .LBB707_327
.LBB707_376:                            ;   in Loop: Header=BB707_310 Depth=2
	v_lshlrev_b32_e32 v9, 3, v88
	global_load_dwordx2 v[9:10], v9, s[14:15]
	s_or_b32 exec_lo, exec_lo, s17
	s_mov_b32 s17, exec_lo
	v_cmpx_gt_u32_e64 s5, v89
	s_cbranch_execz .LBB707_328
.LBB707_377:                            ;   in Loop: Header=BB707_310 Depth=2
	v_lshlrev_b32_e32 v7, 3, v89
	global_load_dwordx2 v[7:8], v7, s[14:15]
	s_or_b32 exec_lo, exec_lo, s17
	s_mov_b32 s17, exec_lo
	v_cmpx_gt_u32_e64 s5, v90
	s_cbranch_execnz .LBB707_329
	s_branch .LBB707_330
.LBB707_378:                            ;   in Loop: Header=BB707_12 Depth=1
	v_mov_b32_e32 v5, 0
	s_waitcnt lgkmcnt(0)
	s_barrier
	buffer_gl0_inv
	s_and_saveexec_b32 s5, s7
	s_cbranch_execz .LBB707_380
; %bb.379:                              ;   in Loop: Header=BB707_12 Depth=1
	ds_read2_b64 v[5:8], v93 offset1:1
	s_waitcnt lgkmcnt(0)
	v_add_nc_u32_e32 v5, v6, v5
	v_add3_u32 v5, v5, v7, v8
.LBB707_380:                            ;   in Loop: Header=BB707_12 Depth=1
	s_or_b32 exec_lo, exec_lo, s5
	v_and_b32_e32 v6, 15, v126
	v_mov_b32_dpp v7, v5 row_shr:1 row_mask:0xf bank_mask:0xf
	v_and_b32_e32 v8, 16, v126
	v_cmp_eq_u32_e64 s5, 0, v6
	v_cmp_lt_u32_e64 s14, 1, v6
	v_cmp_lt_u32_e64 s15, 3, v6
	;; [unrolled: 1-line block ×3, first 2 shown]
	v_cmp_eq_u32_e64 s17, 0, v8
	v_cndmask_b32_e64 v7, v7, 0, s5
	v_add_nc_u32_e32 v5, v7, v5
	v_mov_b32_dpp v7, v5 row_shr:2 row_mask:0xf bank_mask:0xf
	v_cndmask_b32_e64 v7, 0, v7, s14
	v_add_nc_u32_e32 v5, v5, v7
	v_mov_b32_dpp v7, v5 row_shr:4 row_mask:0xf bank_mask:0xf
	;; [unrolled: 3-line block ×3, first 2 shown]
	v_cndmask_b32_e64 v6, 0, v7, s16
	v_bfe_i32 v7, v126, 4, 1
	v_add_nc_u32_e32 v5, v5, v6
	ds_swizzle_b32 v6, v5 offset:swizzle(BROADCAST,32,15)
	s_waitcnt lgkmcnt(0)
	v_and_b32_e32 v6, v7, v6
	v_add_nc_u32_e32 v5, v5, v6
	s_and_saveexec_b32 s18, s8
; %bb.381:                              ;   in Loop: Header=BB707_12 Depth=1
	ds_write_b32 v94, v5
; %bb.382:                              ;   in Loop: Header=BB707_12 Depth=1
	s_or_b32 exec_lo, exec_lo, s18
	s_waitcnt lgkmcnt(0)
	s_barrier
	buffer_gl0_inv
	s_and_saveexec_b32 s18, s9
	s_cbranch_execz .LBB707_384
; %bb.383:                              ;   in Loop: Header=BB707_12 Depth=1
	ds_read_b32 v6, v95
	v_and_b32_e32 v7, 3, v126
	v_cmp_ne_u32_e32 vcc_lo, 0, v7
	s_waitcnt lgkmcnt(0)
	v_mov_b32_dpp v8, v6 row_shr:1 row_mask:0xf bank_mask:0xf
	v_cndmask_b32_e32 v8, 0, v8, vcc_lo
	v_cmp_lt_u32_e32 vcc_lo, 1, v7
	v_add_nc_u32_e32 v6, v8, v6
	v_mov_b32_dpp v8, v6 row_shr:2 row_mask:0xf bank_mask:0xf
	v_cndmask_b32_e32 v7, 0, v8, vcc_lo
	v_add_nc_u32_e32 v6, v6, v7
	ds_write_b32 v95, v6
.LBB707_384:                            ;   in Loop: Header=BB707_12 Depth=1
	s_or_b32 exec_lo, exec_lo, s18
	v_mov_b32_e32 v6, 0
	s_waitcnt lgkmcnt(0)
	s_barrier
	buffer_gl0_inv
	s_and_saveexec_b32 s18, s10
; %bb.385:                              ;   in Loop: Header=BB707_12 Depth=1
	ds_read_b32 v6, v96
; %bb.386:                              ;   in Loop: Header=BB707_12 Depth=1
	s_or_b32 exec_lo, exec_lo, s18
	v_sub_co_u32 v7, s18, v126, 1
	s_waitcnt lgkmcnt(0)
	v_add_nc_u32_e32 v5, v6, v5
	s_barrier
	v_cmp_gt_i32_e32 vcc_lo, 0, v7
	buffer_gl0_inv
	v_cndmask_b32_e32 v7, v7, v126, vcc_lo
	v_lshlrev_b32_e32 v127, 2, v7
	ds_bpermute_b32 v5, v127, v5
	s_and_saveexec_b32 s19, s7
	s_cbranch_execz .LBB707_388
; %bb.387:                              ;   in Loop: Header=BB707_12 Depth=1
	s_waitcnt lgkmcnt(0)
	v_cndmask_b32_e64 v5, v5, v6, s18
	v_add_nc_u32_e32 v5, s60, v5
	ds_write_b32 v73, v5
.LBB707_388:                            ;   in Loop: Header=BB707_12 Depth=1
	s_or_b32 exec_lo, exec_lo, s19
	s_load_dwordx2 s[20:21], s[58:59], 0x0
	v_lshlrev_b32_e32 v8, 3, v126
	v_and_b32_e32 v7, 7, v126
	v_or_b32_e32 v128, v126, v97
	s_mov_b32 s64, s62
	s_mov_b32 s56, s60
	v_add_co_u32 v129, vcc_lo, v109, v8
	v_add_co_ci_u32_e64 v130, null, 0, v110, vcc_lo
	v_add_co_u32 v146, vcc_lo, v111, v8
	v_or_b32_e32 v131, 32, v128
	v_or_b32_e32 v132, 64, v128
	;; [unrolled: 1-line block ×8, first 2 shown]
	s_waitcnt lgkmcnt(0)
	s_cmp_lt_u32 s27, s21
	v_or_b32_e32 v139, 0x120, v128
	s_cselect_b32 s19, 14, 20
	v_or_b32_e32 v140, 0x140, v128
	s_add_u32 s22, s58, s19
	s_addc_u32 s23, s59, 0
	s_cmp_lt_u32 s6, s20
	global_load_ushort v5, v3, s[22:23]
	s_cselect_b32 s19, 12, 18
	v_or_b32_e32 v141, 0x160, v128
	s_add_u32 s20, s58, s19
	s_addc_u32 s21, s59, 0
	v_cmp_eq_u32_e64 s19, 0, v7
	global_load_ushort v6, v3, s[20:21]
	v_cmp_lt_u32_e64 s20, 1, v7
	v_cmp_lt_u32_e64 s21, 3, v7
	v_or_b32_e32 v142, 0x180, v128
	v_or_b32_e32 v143, 0x1a0, v128
	;; [unrolled: 1-line block ×4, first 2 shown]
	v_add_co_ci_u32_e64 v147, null, 0, v112, vcc_lo
                                        ; implicit-def: $vgpr7_vgpr8
                                        ; implicit-def: $vgpr9_vgpr10
                                        ; implicit-def: $vgpr11_vgpr12
                                        ; implicit-def: $vgpr13_vgpr14
                                        ; implicit-def: $vgpr17_vgpr18
                                        ; implicit-def: $vgpr21_vgpr22
                                        ; implicit-def: $vgpr25_vgpr26
                                        ; implicit-def: $vgpr15_vgpr16
                                        ; implicit-def: $vgpr19_vgpr20
                                        ; implicit-def: $vgpr23_vgpr24
                                        ; implicit-def: $vgpr27_vgpr28
                                        ; implicit-def: $vgpr29_vgpr30
                                        ; implicit-def: $vgpr31_vgpr32
                                        ; implicit-def: $vgpr33_vgpr34
                                        ; implicit-def: $vgpr35_vgpr36
                                        ; implicit-def: $vgpr149
                                        ; implicit-def: $vgpr150
                                        ; implicit-def: $vgpr151
                                        ; implicit-def: $vgpr152
                                        ; implicit-def: $vgpr153
                                        ; implicit-def: $vgpr154
                                        ; implicit-def: $vgpr155
                                        ; implicit-def: $vgpr156
                                        ; implicit-def: $vgpr157
                                        ; implicit-def: $vgpr158
                                        ; implicit-def: $vgpr159
                                        ; implicit-def: $vgpr160
                                        ; implicit-def: $vgpr161
                                        ; implicit-def: $vgpr162
                                        ; implicit-def: $vgpr164
                                        ; implicit-def: $vgpr165
                                        ; implicit-def: $vgpr163
                                        ; implicit-def: $vgpr166
	s_waitcnt vmcnt(1)
	v_mad_u32_u24 v5, v2, v5, v1
	s_waitcnt vmcnt(0)
	v_mad_u64_u32 v[5:6], null, v5, v6, v[0:1]
	v_lshrrev_b32_e32 v5, 3, v5
	v_and_b32_e32 v148, 0x1ffffffc, v5
                                        ; implicit-def: $vgpr5_vgpr6
	s_branch .LBB707_390
.LBB707_389:                            ;   in Loop: Header=BB707_390 Depth=2
	s_or_b32 exec_lo, exec_lo, s22
	s_addk_i32 s64, 0xf000
	s_cmp_lt_u32 s65, s61
	s_mov_b32 s56, s65
	s_cbranch_scc0 .LBB707_600
.LBB707_390:                            ;   Parent Loop BB707_12 Depth=1
                                        ; =>  This Inner Loop Header: Depth=2
	s_add_i32 s65, s56, 0x1000
	s_cmp_gt_u32 s65, s61
	s_cbranch_scc1 .LBB707_392
; %bb.391:                              ;   in Loop: Header=BB707_390 Depth=2
	s_lshl_b64 s[22:23], s[56:57], 3
	v_add_co_u32 v37, vcc_lo, v146, s22
	v_add_co_ci_u32_e64 v38, null, s23, v147, vcc_lo
	v_add_co_u32 v45, vcc_lo, 0x800, v37
	v_add_co_ci_u32_e64 v46, null, 0, v38, vcc_lo
	s_clause 0xe
	global_load_dwordx2 v[39:40], v[37:38], off
	global_load_dwordx2 v[41:42], v[37:38], off offset:256
	global_load_dwordx2 v[43:44], v[37:38], off offset:512
	;; [unrolled: 1-line block ×7, first 2 shown]
	global_load_dwordx2 v[67:68], v[45:46], off
	global_load_dwordx2 v[63:64], v[45:46], off offset:256
	global_load_dwordx2 v[59:60], v[45:46], off offset:512
	;; [unrolled: 1-line block ×6, first 2 shown]
	s_mov_b32 s22, -1
	s_movk_i32 s23, 0x1000
	s_cbranch_execz .LBB707_393
	s_branch .LBB707_424
.LBB707_392:                            ;   in Loop: Header=BB707_390 Depth=2
	s_mov_b32 s22, 0
                                        ; implicit-def: $vgpr39_vgpr40
                                        ; implicit-def: $vgpr41_vgpr42
                                        ; implicit-def: $vgpr43_vgpr44
                                        ; implicit-def: $vgpr47_vgpr48
                                        ; implicit-def: $vgpr53_vgpr54
                                        ; implicit-def: $vgpr57_vgpr58
                                        ; implicit-def: $vgpr61_vgpr62
                                        ; implicit-def: $vgpr65_vgpr66
                                        ; implicit-def: $vgpr67_vgpr68
                                        ; implicit-def: $vgpr63_vgpr64
                                        ; implicit-def: $vgpr59_vgpr60
                                        ; implicit-def: $vgpr55_vgpr56
                                        ; implicit-def: $vgpr51_vgpr52
                                        ; implicit-def: $vgpr49_vgpr50
                                        ; implicit-def: $vgpr45_vgpr46
	s_movk_i32 s23, 0x1000
.LBB707_393:                            ;   in Loop: Header=BB707_390 Depth=2
	s_waitcnt vmcnt(13)
	v_mov_b32_e32 v41, v3
	v_mov_b32_e32 v42, v4
	s_lshl_b64 s[22:23], s[56:57], 3
	v_add_co_u32 v37, vcc_lo, v146, s22
	v_mov_b32_e32 v39, v41
	v_add_co_ci_u32_e64 v38, null, s23, v147, vcc_lo
	v_mov_b32_e32 v40, v42
	s_mov_b32 s22, exec_lo
	v_cmpx_gt_u32_e64 s64, v128
	s_cbranch_execz .LBB707_395
; %bb.394:                              ;   in Loop: Header=BB707_390 Depth=2
	global_load_dwordx2 v[39:40], v[37:38], off
.LBB707_395:                            ;   in Loop: Header=BB707_390 Depth=2
	s_or_b32 exec_lo, exec_lo, s22
	s_mov_b32 s22, exec_lo
	v_cmpx_gt_u32_e64 s64, v131
	s_cbranch_execz .LBB707_397
; %bb.396:                              ;   in Loop: Header=BB707_390 Depth=2
	global_load_dwordx2 v[41:42], v[37:38], off offset:256
.LBB707_397:                            ;   in Loop: Header=BB707_390 Depth=2
	s_or_b32 exec_lo, exec_lo, s22
	s_waitcnt vmcnt(12)
	v_mov_b32_e32 v44, v4
	v_mov_b32_e32 v43, v3
	s_mov_b32 s22, exec_lo
	v_cmpx_gt_u32_e64 s64, v132
	s_cbranch_execz .LBB707_399
; %bb.398:                              ;   in Loop: Header=BB707_390 Depth=2
	global_load_dwordx2 v[43:44], v[37:38], off offset:512
.LBB707_399:                            ;   in Loop: Header=BB707_390 Depth=2
	s_or_b32 exec_lo, exec_lo, s22
	s_waitcnt vmcnt(11)
	v_mov_b32_e32 v48, v4
	v_mov_b32_e32 v47, v3
	;; [unrolled: 10-line block ×7, first 2 shown]
	s_mov_b32 s22, exec_lo
	v_cmpx_gt_u32_e64 s64, v138
	s_cbranch_execz .LBB707_411
; %bb.410:                              ;   in Loop: Header=BB707_390 Depth=2
	s_waitcnt vmcnt(0)
	v_add_co_u32 v45, vcc_lo, 0x800, v37
	v_add_co_ci_u32_e64 v46, null, 0, v38, vcc_lo
	global_load_dwordx2 v[67:68], v[45:46], off
.LBB707_411:                            ;   in Loop: Header=BB707_390 Depth=2
	s_or_b32 exec_lo, exec_lo, s22
	s_waitcnt vmcnt(5)
	v_mov_b32_e32 v64, v4
	v_mov_b32_e32 v63, v3
	s_mov_b32 s22, exec_lo
	v_cmpx_gt_u32_e64 s64, v139
	s_cbranch_execz .LBB707_413
; %bb.412:                              ;   in Loop: Header=BB707_390 Depth=2
	s_waitcnt vmcnt(0)
	v_add_co_u32 v45, vcc_lo, 0x800, v37
	v_add_co_ci_u32_e64 v46, null, 0, v38, vcc_lo
	global_load_dwordx2 v[63:64], v[45:46], off offset:256
.LBB707_413:                            ;   in Loop: Header=BB707_390 Depth=2
	s_or_b32 exec_lo, exec_lo, s22
	s_waitcnt vmcnt(4)
	v_mov_b32_e32 v60, v4
	v_mov_b32_e32 v59, v3
	s_mov_b32 s22, exec_lo
	v_cmpx_gt_u32_e64 s64, v140
	s_cbranch_execz .LBB707_415
; %bb.414:                              ;   in Loop: Header=BB707_390 Depth=2
	s_waitcnt vmcnt(0)
	v_add_co_u32 v45, vcc_lo, 0x800, v37
	v_add_co_ci_u32_e64 v46, null, 0, v38, vcc_lo
	global_load_dwordx2 v[59:60], v[45:46], off offset:512
.LBB707_415:                            ;   in Loop: Header=BB707_390 Depth=2
	;; [unrolled: 13-line block ×5, first 2 shown]
	s_or_b32 exec_lo, exec_lo, s22
	s_waitcnt vmcnt(0)
	v_mov_b32_e32 v46, v4
	v_mov_b32_e32 v45, v3
	s_mov_b32 s22, exec_lo
	v_cmpx_gt_u32_e64 s64, v144
	s_cbranch_execz .LBB707_423
; %bb.422:                              ;   in Loop: Header=BB707_390 Depth=2
	v_add_co_u32 v37, vcc_lo, 0x800, v37
	v_add_co_ci_u32_e64 v38, null, 0, v38, vcc_lo
	global_load_dwordx2 v[45:46], v[37:38], off offset:1536
.LBB707_423:                            ;   in Loop: Header=BB707_390 Depth=2
	s_or_b32 exec_lo, exec_lo, s22
	v_cmp_gt_u32_e64 s22, s64, v145
	s_sub_i32 s23, s61, s56
.LBB707_424:                            ;   in Loop: Header=BB707_390 Depth=2
	v_mov_b32_e32 v37, -1
	v_mov_b32_e32 v38, -1
	v_mov_b32_e32 v167, s64
	s_and_saveexec_b32 s24, s22
	s_cbranch_execz .LBB707_426
; %bb.425:                              ;   in Loop: Header=BB707_390 Depth=2
	s_lshl_b64 s[28:29], s[56:57], 3
	v_mov_b32_e32 v167, s23
	v_add_co_u32 v37, vcc_lo, v146, s28
	v_add_co_ci_u32_e64 v38, null, s29, v147, vcc_lo
	v_add_co_u32 v37, vcc_lo, 0x800, v37
	v_add_co_ci_u32_e64 v38, null, 0, v38, vcc_lo
	global_load_dwordx2 v[37:38], v[37:38], off offset:1792
	s_waitcnt vmcnt(0)
	v_xor_b32_e32 v38, 0x7fffffff, v38
	v_not_b32_e32 v37, v37
.LBB707_426:                            ;   in Loop: Header=BB707_390 Depth=2
	s_or_b32 exec_lo, exec_lo, s24
	s_waitcnt vmcnt(14)
	v_xor_b32_e32 v40, 0x7fffffff, v40
	v_not_b32_e32 v39, v39
	ds_write2_b32 v98, v3, v3 offset0:136 offset1:137
	ds_write2_b32 v98, v3, v3 offset0:138 offset1:139
	ds_write_b32 v98, v3 offset:560
	s_waitcnt vmcnt(0) lgkmcnt(0)
	s_barrier
	v_lshrrev_b64 v[69:70], s47, v[39:40]
	buffer_gl0_inv
	; wave barrier
	v_and_b32_e32 v70, s63, v69
	v_and_b32_e32 v69, 1, v70
	v_lshlrev_b32_e32 v71, 30, v70
	v_lshlrev_b32_e32 v72, 29, v70
	;; [unrolled: 1-line block ×4, first 2 shown]
	v_add_co_u32 v69, s22, v69, -1
	v_cndmask_b32_e64 v168, 0, 1, s22
	v_not_b32_e32 v172, v71
	v_cmp_gt_i32_e64 s22, 0, v71
	v_not_b32_e32 v71, v72
	v_lshlrev_b32_e32 v171, 26, v70
	v_cmp_ne_u32_e32 vcc_lo, 0, v168
	v_ashrrev_i32_e32 v172, 31, v172
	v_lshlrev_b32_e32 v168, 25, v70
	v_ashrrev_i32_e32 v71, 31, v71
	v_mul_u32_u24_e32 v70, 36, v70
	v_xor_b32_e32 v69, vcc_lo, v69
	v_cmp_gt_i32_e32 vcc_lo, 0, v72
	v_not_b32_e32 v72, v169
	v_xor_b32_e32 v172, s22, v172
	v_cmp_gt_i32_e64 s22, 0, v169
	v_and_b32_e32 v69, exec_lo, v69
	v_not_b32_e32 v169, v170
	v_ashrrev_i32_e32 v72, 31, v72
	v_xor_b32_e32 v71, vcc_lo, v71
	v_cmp_gt_i32_e32 vcc_lo, 0, v170
	v_and_b32_e32 v69, v69, v172
	v_not_b32_e32 v170, v171
	v_ashrrev_i32_e32 v169, 31, v169
	v_xor_b32_e32 v72, s22, v72
	v_cmp_gt_i32_e64 s22, 0, v171
	v_and_b32_e32 v69, v69, v71
	v_not_b32_e32 v71, v168
	v_ashrrev_i32_e32 v170, 31, v170
	v_xor_b32_e32 v169, vcc_lo, v169
	v_cmp_gt_i32_e32 vcc_lo, 0, v168
	v_and_b32_e32 v69, v69, v72
	v_ashrrev_i32_e32 v71, 31, v71
	v_xor_b32_e32 v72, s22, v170
	v_and_b32_e32 v69, v69, v169
	v_xor_b32_e32 v71, vcc_lo, v71
	v_add_nc_u32_e32 v169, v148, v70
	v_and_b32_e32 v69, v69, v72
	v_and_b32_e32 v69, v69, v71
	v_mbcnt_lo_u32_b32 v168, v69, 0
	v_cmp_ne_u32_e64 s22, 0, v69
	v_cmp_eq_u32_e32 vcc_lo, 0, v168
	s_and_b32 s23, s22, vcc_lo
	s_and_saveexec_b32 s22, s23
; %bb.427:                              ;   in Loop: Header=BB707_390 Depth=2
	v_bcnt_u32_b32 v69, v69, 0
	ds_write_b32 v169, v69 offset:544
; %bb.428:                              ;   in Loop: Header=BB707_390 Depth=2
	s_or_b32 exec_lo, exec_lo, s22
	v_xor_b32_e32 v42, 0x7fffffff, v42
	v_not_b32_e32 v41, v41
	; wave barrier
	v_lshrrev_b64 v[69:70], s47, v[41:42]
	v_and_b32_e32 v70, s63, v69
	v_and_b32_e32 v69, 1, v70
	v_lshlrev_b32_e32 v71, 30, v70
	v_lshlrev_b32_e32 v72, 29, v70
	v_lshlrev_b32_e32 v171, 28, v70
	v_lshlrev_b32_e32 v172, 27, v70
	v_add_co_u32 v69, s22, v69, -1
	v_cndmask_b32_e64 v170, 0, 1, s22
	v_not_b32_e32 v174, v71
	v_cmp_gt_i32_e64 s22, 0, v71
	v_not_b32_e32 v71, v72
	v_lshlrev_b32_e32 v173, 26, v70
	v_cmp_ne_u32_e32 vcc_lo, 0, v170
	v_ashrrev_i32_e32 v174, 31, v174
	v_lshlrev_b32_e32 v170, 25, v70
	v_ashrrev_i32_e32 v71, 31, v71
	v_xor_b32_e32 v69, vcc_lo, v69
	v_cmp_gt_i32_e32 vcc_lo, 0, v72
	v_not_b32_e32 v72, v171
	v_xor_b32_e32 v174, s22, v174
	v_cmp_gt_i32_e64 s22, 0, v171
	v_and_b32_e32 v69, exec_lo, v69
	v_not_b32_e32 v171, v172
	v_ashrrev_i32_e32 v72, 31, v72
	v_xor_b32_e32 v71, vcc_lo, v71
	v_cmp_gt_i32_e32 vcc_lo, 0, v172
	v_and_b32_e32 v69, v69, v174
	v_not_b32_e32 v172, v173
	v_ashrrev_i32_e32 v171, 31, v171
	v_xor_b32_e32 v72, s22, v72
	v_cmp_gt_i32_e64 s22, 0, v173
	v_and_b32_e32 v69, v69, v71
	v_not_b32_e32 v71, v170
	v_ashrrev_i32_e32 v172, 31, v172
	v_xor_b32_e32 v171, vcc_lo, v171
	v_cmp_gt_i32_e32 vcc_lo, 0, v170
	v_and_b32_e32 v69, v69, v72
	v_ashrrev_i32_e32 v71, 31, v71
	v_xor_b32_e32 v72, s22, v172
	v_mad_u32_u24 v170, v70, 36, v148
	v_mul_u32_u24_e32 v70, 36, v70
	v_and_b32_e32 v69, v69, v171
	v_xor_b32_e32 v71, vcc_lo, v71
	ds_read_b32 v170, v170 offset:544
	v_add_nc_u32_e32 v172, v148, v70
	v_and_b32_e32 v69, v69, v72
	; wave barrier
	v_and_b32_e32 v69, v69, v71
	v_mbcnt_lo_u32_b32 v171, v69, 0
	v_cmp_ne_u32_e64 s22, 0, v69
	v_cmp_eq_u32_e32 vcc_lo, 0, v171
	s_and_b32 s23, s22, vcc_lo
	s_and_saveexec_b32 s22, s23
	s_cbranch_execz .LBB707_430
; %bb.429:                              ;   in Loop: Header=BB707_390 Depth=2
	s_waitcnt lgkmcnt(0)
	v_bcnt_u32_b32 v69, v69, v170
	ds_write_b32 v172, v69 offset:544
.LBB707_430:                            ;   in Loop: Header=BB707_390 Depth=2
	s_or_b32 exec_lo, exec_lo, s22
	v_xor_b32_e32 v44, 0x7fffffff, v44
	v_not_b32_e32 v43, v43
	; wave barrier
	v_lshrrev_b64 v[69:70], s47, v[43:44]
	v_and_b32_e32 v70, s63, v69
	v_and_b32_e32 v69, 1, v70
	v_lshlrev_b32_e32 v71, 30, v70
	v_lshlrev_b32_e32 v72, 29, v70
	v_lshlrev_b32_e32 v174, 28, v70
	v_lshlrev_b32_e32 v175, 27, v70
	v_add_co_u32 v69, s22, v69, -1
	v_cndmask_b32_e64 v173, 0, 1, s22
	v_not_b32_e32 v177, v71
	v_cmp_gt_i32_e64 s22, 0, v71
	v_not_b32_e32 v71, v72
	v_lshlrev_b32_e32 v176, 26, v70
	v_cmp_ne_u32_e32 vcc_lo, 0, v173
	v_ashrrev_i32_e32 v177, 31, v177
	v_lshlrev_b32_e32 v173, 25, v70
	v_ashrrev_i32_e32 v71, 31, v71
	v_xor_b32_e32 v69, vcc_lo, v69
	v_cmp_gt_i32_e32 vcc_lo, 0, v72
	v_not_b32_e32 v72, v174
	v_xor_b32_e32 v177, s22, v177
	v_cmp_gt_i32_e64 s22, 0, v174
	v_and_b32_e32 v69, exec_lo, v69
	v_not_b32_e32 v174, v175
	v_ashrrev_i32_e32 v72, 31, v72
	v_xor_b32_e32 v71, vcc_lo, v71
	v_cmp_gt_i32_e32 vcc_lo, 0, v175
	v_and_b32_e32 v69, v69, v177
	v_not_b32_e32 v175, v176
	v_ashrrev_i32_e32 v174, 31, v174
	v_xor_b32_e32 v72, s22, v72
	v_cmp_gt_i32_e64 s22, 0, v176
	v_and_b32_e32 v69, v69, v71
	v_not_b32_e32 v71, v173
	v_ashrrev_i32_e32 v175, 31, v175
	v_xor_b32_e32 v174, vcc_lo, v174
	v_cmp_gt_i32_e32 vcc_lo, 0, v173
	v_and_b32_e32 v69, v69, v72
	v_ashrrev_i32_e32 v71, 31, v71
	v_xor_b32_e32 v72, s22, v175
	v_mad_u32_u24 v173, v70, 36, v148
	v_mul_u32_u24_e32 v70, 36, v70
	v_and_b32_e32 v69, v69, v174
	v_xor_b32_e32 v71, vcc_lo, v71
	ds_read_b32 v173, v173 offset:544
	v_add_nc_u32_e32 v175, v148, v70
	v_and_b32_e32 v69, v69, v72
	; wave barrier
	v_and_b32_e32 v69, v69, v71
	v_mbcnt_lo_u32_b32 v174, v69, 0
	v_cmp_ne_u32_e64 s22, 0, v69
	v_cmp_eq_u32_e32 vcc_lo, 0, v174
	s_and_b32 s23, s22, vcc_lo
	s_and_saveexec_b32 s22, s23
	s_cbranch_execz .LBB707_432
; %bb.431:                              ;   in Loop: Header=BB707_390 Depth=2
	s_waitcnt lgkmcnt(0)
	v_bcnt_u32_b32 v69, v69, v173
	ds_write_b32 v175, v69 offset:544
.LBB707_432:                            ;   in Loop: Header=BB707_390 Depth=2
	;; [unrolled: 64-line block ×14, first 2 shown]
	s_or_b32 exec_lo, exec_lo, s22
	v_lshrrev_b64 v[69:70], s47, v[37:38]
	; wave barrier
	v_and_b32_e32 v70, s63, v69
	v_and_b32_e32 v69, 1, v70
	v_lshlrev_b32_e32 v71, 30, v70
	v_lshlrev_b32_e32 v72, 29, v70
	;; [unrolled: 1-line block ×4, first 2 shown]
	v_add_co_u32 v69, s22, v69, -1
	v_cndmask_b32_e64 v211, 0, 1, s22
	v_not_b32_e32 v216, v71
	v_cmp_gt_i32_e64 s22, 0, v71
	v_not_b32_e32 v71, v72
	v_lshlrev_b32_e32 v215, 26, v70
	v_cmp_ne_u32_e32 vcc_lo, 0, v211
	v_ashrrev_i32_e32 v216, 31, v216
	v_lshlrev_b32_e32 v211, 25, v70
	v_ashrrev_i32_e32 v71, 31, v71
	v_xor_b32_e32 v69, vcc_lo, v69
	v_cmp_gt_i32_e32 vcc_lo, 0, v72
	v_not_b32_e32 v72, v212
	v_xor_b32_e32 v216, s22, v216
	v_cmp_gt_i32_e64 s22, 0, v212
	v_and_b32_e32 v69, exec_lo, v69
	v_not_b32_e32 v212, v214
	v_ashrrev_i32_e32 v72, 31, v72
	v_xor_b32_e32 v71, vcc_lo, v71
	v_cmp_gt_i32_e32 vcc_lo, 0, v214
	v_and_b32_e32 v69, v69, v216
	v_not_b32_e32 v214, v215
	v_ashrrev_i32_e32 v212, 31, v212
	v_xor_b32_e32 v72, s22, v72
	v_cmp_gt_i32_e64 s22, 0, v215
	v_and_b32_e32 v69, v69, v71
	v_not_b32_e32 v71, v211
	v_ashrrev_i32_e32 v214, 31, v214
	v_xor_b32_e32 v212, vcc_lo, v212
	v_cmp_gt_i32_e32 vcc_lo, 0, v211
	v_and_b32_e32 v69, v69, v72
	v_ashrrev_i32_e32 v71, 31, v71
	v_xor_b32_e32 v72, s22, v214
	v_mad_u32_u24 v211, v70, 36, v148
	v_mul_u32_u24_e32 v70, 36, v70
	v_and_b32_e32 v69, v69, v212
	v_xor_b32_e32 v71, vcc_lo, v71
	ds_read_b32 v211, v211 offset:544
	v_add_nc_u32_e32 v214, v148, v70
	v_and_b32_e32 v69, v69, v72
	; wave barrier
	v_and_b32_e32 v69, v69, v71
	v_mbcnt_lo_u32_b32 v212, v69, 0
	v_cmp_ne_u32_e64 s22, 0, v69
	v_cmp_eq_u32_e32 vcc_lo, 0, v212
	s_and_b32 s23, s22, vcc_lo
	s_and_saveexec_b32 s22, s23
	s_cbranch_execz .LBB707_458
; %bb.457:                              ;   in Loop: Header=BB707_390 Depth=2
	s_waitcnt lgkmcnt(0)
	v_bcnt_u32_b32 v69, v69, v211
	ds_write_b32 v214, v69 offset:544
.LBB707_458:                            ;   in Loop: Header=BB707_390 Depth=2
	s_or_b32 exec_lo, exec_lo, s22
	; wave barrier
	s_waitcnt lgkmcnt(0)
	s_barrier
	buffer_gl0_inv
	ds_read2_b32 v[71:72], v98 offset0:136 offset1:137
	ds_read2_b32 v[69:70], v98 offset0:138 offset1:139
	ds_read_b32 v215, v98 offset:560
	s_waitcnt lgkmcnt(1)
	v_add3_u32 v216, v72, v71, v69
	s_waitcnt lgkmcnt(0)
	v_add3_u32 v215, v216, v70, v215
	v_mov_b32_dpp v216, v215 row_shr:1 row_mask:0xf bank_mask:0xf
	v_cndmask_b32_e64 v216, v216, 0, s5
	v_add_nc_u32_e32 v215, v216, v215
	v_mov_b32_dpp v216, v215 row_shr:2 row_mask:0xf bank_mask:0xf
	v_cndmask_b32_e64 v216, 0, v216, s14
	v_add_nc_u32_e32 v215, v215, v216
	;; [unrolled: 3-line block ×4, first 2 shown]
	ds_swizzle_b32 v216, v215 offset:swizzle(BROADCAST,32,15)
	s_waitcnt lgkmcnt(0)
	v_cndmask_b32_e64 v216, v216, 0, s17
	v_add_nc_u32_e32 v215, v215, v216
	s_and_saveexec_b32 s22, s4
; %bb.459:                              ;   in Loop: Header=BB707_390 Depth=2
	ds_write_b32 v92, v215 offset:512
; %bb.460:                              ;   in Loop: Header=BB707_390 Depth=2
	s_or_b32 exec_lo, exec_lo, s22
	s_waitcnt lgkmcnt(0)
	s_barrier
	buffer_gl0_inv
	s_and_saveexec_b32 s22, s11
	s_cbranch_execz .LBB707_462
; %bb.461:                              ;   in Loop: Header=BB707_390 Depth=2
	ds_read_b32 v216, v99 offset:512
	s_waitcnt lgkmcnt(0)
	v_mov_b32_dpp v217, v216 row_shr:1 row_mask:0xf bank_mask:0xf
	v_cndmask_b32_e64 v217, v217, 0, s19
	v_add_nc_u32_e32 v216, v217, v216
	v_mov_b32_dpp v217, v216 row_shr:2 row_mask:0xf bank_mask:0xf
	v_cndmask_b32_e64 v217, 0, v217, s20
	v_add_nc_u32_e32 v216, v216, v217
	;; [unrolled: 3-line block ×3, first 2 shown]
	ds_write_b32 v99, v216 offset:512
.LBB707_462:                            ;   in Loop: Header=BB707_390 Depth=2
	s_or_b32 exec_lo, exec_lo, s22
	v_mov_b32_e32 v216, 0
	s_waitcnt lgkmcnt(0)
	s_barrier
	buffer_gl0_inv
	s_and_saveexec_b32 s22, s10
; %bb.463:                              ;   in Loop: Header=BB707_390 Depth=2
	ds_read_b32 v216, v92 offset:508
; %bb.464:                              ;   in Loop: Header=BB707_390 Depth=2
	s_or_b32 exec_lo, exec_lo, s22
	s_waitcnt lgkmcnt(0)
	v_add_nc_u32_e32 v215, v216, v215
	ds_bpermute_b32 v215, v127, v215
	s_waitcnt lgkmcnt(0)
	v_cndmask_b32_e64 v215, v215, v216, s18
	v_cndmask_b32_e64 v215, v215, 0, s12
	v_add_nc_u32_e32 v71, v215, v71
	v_add_nc_u32_e32 v72, v71, v72
	;; [unrolled: 1-line block ×4, first 2 shown]
	ds_write2_b32 v98, v215, v71 offset0:136 offset1:137
	ds_write2_b32 v98, v72, v69 offset0:138 offset1:139
	ds_write_b32 v98, v70 offset:560
	s_waitcnt lgkmcnt(0)
	s_barrier
	buffer_gl0_inv
	ds_read_b32 v69, v169 offset:544
	ds_read_b32 v219, v172 offset:544
	;; [unrolled: 1-line block ×16, first 2 shown]
	s_and_saveexec_b32 s22, s7
	s_cbranch_execz .LBB707_468
; %bb.465:                              ;   in Loop: Header=BB707_390 Depth=2
	ds_read_b32 v163, v101 offset:544
	v_mov_b32_e32 v166, 0x1000
	s_and_saveexec_b32 s23, s13
; %bb.466:                              ;   in Loop: Header=BB707_390 Depth=2
	ds_read_b32 v166, v100 offset:544
; %bb.467:                              ;   in Loop: Header=BB707_390 Depth=2
	s_or_b32 exec_lo, exec_lo, s23
	s_waitcnt lgkmcnt(0)
	v_sub_nc_u32_e32 v166, v166, v163
.LBB707_468:                            ;   in Loop: Header=BB707_390 Depth=2
	s_or_b32 exec_lo, exec_lo, s22
	s_waitcnt lgkmcnt(0)
	s_barrier
	buffer_gl0_inv
	s_and_saveexec_b32 s22, s7
	s_cbranch_execz .LBB707_470
; %bb.469:                              ;   in Loop: Header=BB707_390 Depth=2
	ds_read_b32 v191, v73
	s_waitcnt lgkmcnt(0)
	v_sub_nc_u32_e32 v191, v191, v163
	ds_write_b32 v73, v191
.LBB707_470:                            ;   in Loop: Header=BB707_390 Depth=2
	s_or_b32 exec_lo, exec_lo, s22
	v_lshlrev_b32_e32 v168, 3, v168
	v_lshlrev_b32_e32 v171, 3, v171
	;; [unrolled: 1-line block ×5, first 2 shown]
	v_lshl_add_u32 v69, v69, 3, v168
	v_lshlrev_b32_e32 v168, 3, v173
	v_lshlrev_b32_e32 v173, 3, v70
	;; [unrolled: 1-line block ×3, first 2 shown]
	v_add3_u32 v70, v171, v170, v191
	ds_write_b64 v69, v[39:40] offset:512
	v_lshlrev_b32_e32 v40, 3, v176
	v_lshlrev_b32_e32 v170, 3, v218
	;; [unrolled: 1-line block ×8, first 2 shown]
	ds_write_b64 v70, v[41:42] offset:512
	v_add3_u32 v39, v174, v168, v173
	v_add3_u32 v40, v177, v40, v170
	;; [unrolled: 1-line block ×3, first 2 shown]
	v_lshlrev_b32_e32 v168, 3, v186
	v_lshlrev_b32_e32 v170, 3, v185
	;; [unrolled: 1-line block ×3, first 2 shown]
	v_add3_u32 v42, v180, v182, v183
	ds_write_b64 v39, v[43:44] offset:512
	ds_write_b64 v40, v[47:48] offset:512
	;; [unrolled: 1-line block ×4, first 2 shown]
	v_lshlrev_b32_e32 v44, 3, v189
	v_add3_u32 v43, v168, v170, v171
	v_lshlrev_b32_e32 v47, 3, v188
	v_lshlrev_b32_e32 v48, 3, v187
	;; [unrolled: 1-line block ×11, first 2 shown]
	v_add3_u32 v44, v44, v47, v48
	v_add3_u32 v47, v53, v54, v57
	;; [unrolled: 1-line block ×3, first 2 shown]
	v_lshlrev_b32_e32 v54, 3, v200
	v_lshlrev_b32_e32 v57, 3, v199
	;; [unrolled: 1-line block ×3, first 2 shown]
	v_add3_u32 v53, v171, v173, v174
	ds_write_b64 v43, v[61:62] offset:512
	ds_write_b64 v44, v[65:66] offset:512
	ds_write_b64 v47, v[67:68] offset:512
	ds_write_b64 v48, v[63:64] offset:512
	ds_write_b64 v53, v[59:60] offset:512
	v_lshlrev_b32_e32 v59, 3, v172
	v_add3_u32 v54, v54, v57, v58
	v_lshlrev_b32_e32 v57, 3, v203
	v_lshlrev_b32_e32 v58, 3, v202
	;; [unrolled: 1-line block ×11, first 2 shown]
	v_add3_u32 v57, v57, v58, v59
	v_add3_u32 v58, v60, v61, v62
	;; [unrolled: 1-line block ×3, first 2 shown]
	ds_write_b64 v54, v[55:56] offset:512
	v_add3_u32 v55, v66, v67, v68
	v_cmp_lt_u32_e32 vcc_lo, v0, v167
	ds_write_b64 v57, v[51:52] offset:512
	ds_write_b64 v58, v[49:50] offset:512
	ds_write_b64 v59, v[45:46] offset:512
	ds_write_b64 v55, v[37:38] offset:512
	s_waitcnt lgkmcnt(0)
	s_barrier
	buffer_gl0_inv
	s_and_saveexec_b32 s23, vcc_lo
	s_cbranch_execnz .LBB707_539
; %bb.471:                              ;   in Loop: Header=BB707_390 Depth=2
	s_or_b32 exec_lo, exec_lo, s23
	v_cmp_lt_u32_e64 s22, v74, v167
	s_and_saveexec_b32 s24, s22
	s_cbranch_execnz .LBB707_540
.LBB707_472:                            ;   in Loop: Header=BB707_390 Depth=2
	s_or_b32 exec_lo, exec_lo, s24
	v_cmp_lt_u32_e64 s23, v77, v167
	s_and_saveexec_b32 s25, s23
	s_cbranch_execnz .LBB707_541
.LBB707_473:                            ;   in Loop: Header=BB707_390 Depth=2
	s_or_b32 exec_lo, exec_lo, s25
	v_cmp_lt_u32_e64 s24, v78, v167
	s_and_saveexec_b32 s26, s24
	s_cbranch_execnz .LBB707_542
.LBB707_474:                            ;   in Loop: Header=BB707_390 Depth=2
	s_or_b32 exec_lo, exec_lo, s26
	v_cmp_lt_u32_e64 s25, v79, v167
	s_and_saveexec_b32 s28, s25
	s_cbranch_execnz .LBB707_543
.LBB707_475:                            ;   in Loop: Header=BB707_390 Depth=2
	s_or_b32 exec_lo, exec_lo, s28
	v_cmp_lt_u32_e64 s26, v80, v167
	s_and_saveexec_b32 s29, s26
	s_cbranch_execnz .LBB707_544
.LBB707_476:                            ;   in Loop: Header=BB707_390 Depth=2
	s_or_b32 exec_lo, exec_lo, s29
	v_cmp_lt_u32_e64 s28, v81, v167
	s_and_saveexec_b32 s30, s28
	s_cbranch_execnz .LBB707_545
.LBB707_477:                            ;   in Loop: Header=BB707_390 Depth=2
	s_or_b32 exec_lo, exec_lo, s30
	v_cmp_lt_u32_e64 s29, v82, v167
	s_and_saveexec_b32 s31, s29
	s_cbranch_execnz .LBB707_546
.LBB707_478:                            ;   in Loop: Header=BB707_390 Depth=2
	s_or_b32 exec_lo, exec_lo, s31
	v_cmp_lt_u32_e64 s30, v83, v167
	s_and_saveexec_b32 s33, s30
	s_cbranch_execnz .LBB707_547
.LBB707_479:                            ;   in Loop: Header=BB707_390 Depth=2
	s_or_b32 exec_lo, exec_lo, s33
	v_cmp_lt_u32_e64 s31, v84, v167
	s_and_saveexec_b32 s34, s31
	s_cbranch_execnz .LBB707_548
.LBB707_480:                            ;   in Loop: Header=BB707_390 Depth=2
	s_or_b32 exec_lo, exec_lo, s34
	v_cmp_lt_u32_e64 s33, v85, v167
	s_and_saveexec_b32 s35, s33
	s_cbranch_execnz .LBB707_549
.LBB707_481:                            ;   in Loop: Header=BB707_390 Depth=2
	s_or_b32 exec_lo, exec_lo, s35
	v_cmp_lt_u32_e64 s34, v86, v167
	s_and_saveexec_b32 s36, s34
	s_cbranch_execnz .LBB707_550
.LBB707_482:                            ;   in Loop: Header=BB707_390 Depth=2
	s_or_b32 exec_lo, exec_lo, s36
	v_cmp_lt_u32_e64 s35, v87, v167
	s_and_saveexec_b32 s37, s35
	s_cbranch_execnz .LBB707_551
.LBB707_483:                            ;   in Loop: Header=BB707_390 Depth=2
	s_or_b32 exec_lo, exec_lo, s37
	v_cmp_lt_u32_e64 s36, v88, v167
	s_and_saveexec_b32 s38, s36
	s_cbranch_execnz .LBB707_552
.LBB707_484:                            ;   in Loop: Header=BB707_390 Depth=2
	s_or_b32 exec_lo, exec_lo, s38
	v_cmp_lt_u32_e64 s37, v89, v167
	s_and_saveexec_b32 s39, s37
	s_cbranch_execnz .LBB707_553
.LBB707_485:                            ;   in Loop: Header=BB707_390 Depth=2
	s_or_b32 exec_lo, exec_lo, s39
	v_cmp_lt_u32_e64 s38, v90, v167
	s_and_saveexec_b32 s66, s38
	s_cbranch_execz .LBB707_487
.LBB707_486:                            ;   in Loop: Header=BB707_390 Depth=2
	ds_read_b64 v[37:38], v106 offset:31232
	s_waitcnt lgkmcnt(0)
	v_lshrrev_b64 v[45:46], s47, v[37:38]
	v_mov_b32_e32 v46, v3
	v_xor_b32_e32 v38, 0x7fffffff, v38
	v_not_b32_e32 v37, v37
	v_and_b32_e32 v45, s63, v45
	v_lshlrev_b32_e32 v45, 2, v45
	ds_read_b32 v45, v45
	s_waitcnt lgkmcnt(0)
	v_add_nc_u32_e32 v45, v45, v90
	v_lshlrev_b64 v[45:46], 3, v[45:46]
	v_add_co_u32 v45, s39, s44, v45
	v_add_co_ci_u32_e64 v46, null, s45, v46, s39
	global_store_dwordx2 v[45:46], v[37:38], off
.LBB707_487:                            ;   in Loop: Header=BB707_390 Depth=2
	s_or_b32 exec_lo, exec_lo, s66
	s_lshl_b64 s[66:67], s[56:57], 3
	v_add_co_u32 v37, s39, v129, s66
	v_add_co_ci_u32_e64 v38, null, s67, v130, s39
	v_cmp_lt_u32_e64 s39, v128, v167
	s_and_saveexec_b32 s56, s39
	s_xor_b32 s39, exec_lo, s56
	s_cbranch_execnz .LBB707_554
; %bb.488:                              ;   in Loop: Header=BB707_390 Depth=2
	s_or_b32 exec_lo, exec_lo, s39
	s_mov_b32 s56, exec_lo
	v_cmpx_lt_u32_e64 v131, v167
	s_cbranch_execnz .LBB707_555
.LBB707_489:                            ;   in Loop: Header=BB707_390 Depth=2
	s_or_b32 exec_lo, exec_lo, s56
	s_mov_b32 s56, exec_lo
	v_cmpx_lt_u32_e64 v132, v167
	s_cbranch_execnz .LBB707_556
.LBB707_490:                            ;   in Loop: Header=BB707_390 Depth=2
	s_or_b32 exec_lo, exec_lo, s56
	s_mov_b32 s56, exec_lo
	v_cmpx_lt_u32_e64 v133, v167
	s_cbranch_execnz .LBB707_557
.LBB707_491:                            ;   in Loop: Header=BB707_390 Depth=2
	s_or_b32 exec_lo, exec_lo, s56
	s_mov_b32 s56, exec_lo
	v_cmpx_lt_u32_e64 v134, v167
	s_cbranch_execnz .LBB707_558
.LBB707_492:                            ;   in Loop: Header=BB707_390 Depth=2
	s_or_b32 exec_lo, exec_lo, s56
	s_mov_b32 s56, exec_lo
	v_cmpx_lt_u32_e64 v135, v167
	s_cbranch_execnz .LBB707_559
.LBB707_493:                            ;   in Loop: Header=BB707_390 Depth=2
	s_or_b32 exec_lo, exec_lo, s56
	s_mov_b32 s56, exec_lo
	v_cmpx_lt_u32_e64 v136, v167
	s_cbranch_execnz .LBB707_560
.LBB707_494:                            ;   in Loop: Header=BB707_390 Depth=2
	s_or_b32 exec_lo, exec_lo, s56
	s_mov_b32 s56, exec_lo
	v_cmpx_lt_u32_e64 v137, v167
	s_cbranch_execnz .LBB707_561
.LBB707_495:                            ;   in Loop: Header=BB707_390 Depth=2
	s_or_b32 exec_lo, exec_lo, s56
	s_mov_b32 s56, exec_lo
	v_cmpx_lt_u32_e64 v138, v167
	s_cbranch_execnz .LBB707_562
.LBB707_496:                            ;   in Loop: Header=BB707_390 Depth=2
	s_or_b32 exec_lo, exec_lo, s56
	s_mov_b32 s56, exec_lo
	v_cmpx_lt_u32_e64 v139, v167
	s_cbranch_execnz .LBB707_563
.LBB707_497:                            ;   in Loop: Header=BB707_390 Depth=2
	s_or_b32 exec_lo, exec_lo, s56
	s_mov_b32 s56, exec_lo
	v_cmpx_lt_u32_e64 v140, v167
	s_cbranch_execnz .LBB707_564
.LBB707_498:                            ;   in Loop: Header=BB707_390 Depth=2
	s_or_b32 exec_lo, exec_lo, s56
	s_mov_b32 s56, exec_lo
	v_cmpx_lt_u32_e64 v141, v167
	s_cbranch_execnz .LBB707_565
.LBB707_499:                            ;   in Loop: Header=BB707_390 Depth=2
	s_or_b32 exec_lo, exec_lo, s56
	s_mov_b32 s56, exec_lo
	v_cmpx_lt_u32_e64 v142, v167
	s_cbranch_execnz .LBB707_566
.LBB707_500:                            ;   in Loop: Header=BB707_390 Depth=2
	s_or_b32 exec_lo, exec_lo, s56
	s_mov_b32 s56, exec_lo
	v_cmpx_lt_u32_e64 v143, v167
	s_cbranch_execnz .LBB707_567
.LBB707_501:                            ;   in Loop: Header=BB707_390 Depth=2
	s_or_b32 exec_lo, exec_lo, s56
	s_mov_b32 s56, exec_lo
	v_cmpx_lt_u32_e64 v144, v167
	s_cbranch_execnz .LBB707_568
.LBB707_502:                            ;   in Loop: Header=BB707_390 Depth=2
	s_or_b32 exec_lo, exec_lo, s56
	s_mov_b32 s56, exec_lo
	v_cmpx_lt_u32_e64 v145, v167
	s_cbranch_execnz .LBB707_569
.LBB707_503:                            ;   in Loop: Header=BB707_390 Depth=2
	s_or_b32 exec_lo, exec_lo, s56
	s_and_saveexec_b32 s39, vcc_lo
	s_cbranch_execnz .LBB707_570
.LBB707_504:                            ;   in Loop: Header=BB707_390 Depth=2
	s_or_b32 exec_lo, exec_lo, s39
	s_and_saveexec_b32 s39, s22
	s_cbranch_execnz .LBB707_571
.LBB707_505:                            ;   in Loop: Header=BB707_390 Depth=2
	s_or_b32 exec_lo, exec_lo, s39
	s_and_saveexec_b32 s39, s23
	s_cbranch_execnz .LBB707_572
.LBB707_506:                            ;   in Loop: Header=BB707_390 Depth=2
	s_or_b32 exec_lo, exec_lo, s39
	s_and_saveexec_b32 s39, s24
	s_cbranch_execnz .LBB707_573
.LBB707_507:                            ;   in Loop: Header=BB707_390 Depth=2
	s_or_b32 exec_lo, exec_lo, s39
	s_and_saveexec_b32 s39, s25
	s_cbranch_execnz .LBB707_574
.LBB707_508:                            ;   in Loop: Header=BB707_390 Depth=2
	s_or_b32 exec_lo, exec_lo, s39
	s_and_saveexec_b32 s39, s26
	s_cbranch_execnz .LBB707_575
.LBB707_509:                            ;   in Loop: Header=BB707_390 Depth=2
	s_or_b32 exec_lo, exec_lo, s39
	s_and_saveexec_b32 s39, s28
	s_cbranch_execnz .LBB707_576
.LBB707_510:                            ;   in Loop: Header=BB707_390 Depth=2
	s_or_b32 exec_lo, exec_lo, s39
	s_and_saveexec_b32 s39, s29
	s_cbranch_execnz .LBB707_577
.LBB707_511:                            ;   in Loop: Header=BB707_390 Depth=2
	s_or_b32 exec_lo, exec_lo, s39
	s_and_saveexec_b32 s39, s30
	s_cbranch_execnz .LBB707_578
.LBB707_512:                            ;   in Loop: Header=BB707_390 Depth=2
	s_or_b32 exec_lo, exec_lo, s39
	s_and_saveexec_b32 s39, s31
	s_cbranch_execnz .LBB707_579
.LBB707_513:                            ;   in Loop: Header=BB707_390 Depth=2
	s_or_b32 exec_lo, exec_lo, s39
	s_and_saveexec_b32 s39, s33
	s_cbranch_execnz .LBB707_580
.LBB707_514:                            ;   in Loop: Header=BB707_390 Depth=2
	s_or_b32 exec_lo, exec_lo, s39
	s_and_saveexec_b32 s39, s34
	s_cbranch_execnz .LBB707_581
.LBB707_515:                            ;   in Loop: Header=BB707_390 Depth=2
	s_or_b32 exec_lo, exec_lo, s39
	s_and_saveexec_b32 s39, s35
	s_cbranch_execnz .LBB707_582
.LBB707_516:                            ;   in Loop: Header=BB707_390 Depth=2
	s_or_b32 exec_lo, exec_lo, s39
	s_and_saveexec_b32 s39, s36
	s_cbranch_execnz .LBB707_583
.LBB707_517:                            ;   in Loop: Header=BB707_390 Depth=2
	s_or_b32 exec_lo, exec_lo, s39
	s_and_saveexec_b32 s39, s37
	s_cbranch_execnz .LBB707_584
.LBB707_518:                            ;   in Loop: Header=BB707_390 Depth=2
	s_or_b32 exec_lo, exec_lo, s39
	s_and_saveexec_b32 s39, s38
	s_cbranch_execz .LBB707_520
.LBB707_519:                            ;   in Loop: Header=BB707_390 Depth=2
	ds_read_b64 v[37:38], v106 offset:31232
	s_waitcnt lgkmcnt(0)
	v_lshrrev_b64 v[37:38], s47, v[37:38]
	v_and_b32_e32 v149, s63, v37
.LBB707_520:                            ;   in Loop: Header=BB707_390 Depth=2
	s_or_b32 exec_lo, exec_lo, s39
	s_waitcnt vmcnt(0)
	s_waitcnt_vscnt null, 0x0
	s_barrier
	buffer_gl0_inv
	ds_write_b64 v69, v[35:36] offset:512
	ds_write_b64 v70, v[33:34] offset:512
	;; [unrolled: 1-line block ×16, first 2 shown]
	s_waitcnt lgkmcnt(0)
	s_barrier
	buffer_gl0_inv
	s_and_saveexec_b32 s39, vcc_lo
	s_cbranch_execnz .LBB707_585
; %bb.521:                              ;   in Loop: Header=BB707_390 Depth=2
	s_or_b32 exec_lo, exec_lo, s39
	s_and_saveexec_b32 s39, s22
	s_cbranch_execnz .LBB707_586
.LBB707_522:                            ;   in Loop: Header=BB707_390 Depth=2
	s_or_b32 exec_lo, exec_lo, s39
	s_and_saveexec_b32 s22, s23
	s_cbranch_execnz .LBB707_587
.LBB707_523:                            ;   in Loop: Header=BB707_390 Depth=2
	s_or_b32 exec_lo, exec_lo, s22
	s_and_saveexec_b32 s22, s24
	s_cbranch_execnz .LBB707_588
.LBB707_524:                            ;   in Loop: Header=BB707_390 Depth=2
	s_or_b32 exec_lo, exec_lo, s22
	s_and_saveexec_b32 s22, s25
	s_cbranch_execnz .LBB707_589
.LBB707_525:                            ;   in Loop: Header=BB707_390 Depth=2
	s_or_b32 exec_lo, exec_lo, s22
	s_and_saveexec_b32 s22, s26
	s_cbranch_execnz .LBB707_590
.LBB707_526:                            ;   in Loop: Header=BB707_390 Depth=2
	s_or_b32 exec_lo, exec_lo, s22
	s_and_saveexec_b32 s22, s28
	s_cbranch_execnz .LBB707_591
.LBB707_527:                            ;   in Loop: Header=BB707_390 Depth=2
	s_or_b32 exec_lo, exec_lo, s22
	s_and_saveexec_b32 s22, s29
	s_cbranch_execnz .LBB707_592
.LBB707_528:                            ;   in Loop: Header=BB707_390 Depth=2
	s_or_b32 exec_lo, exec_lo, s22
	s_and_saveexec_b32 s22, s30
	s_cbranch_execnz .LBB707_593
.LBB707_529:                            ;   in Loop: Header=BB707_390 Depth=2
	s_or_b32 exec_lo, exec_lo, s22
	s_and_saveexec_b32 s22, s31
	s_cbranch_execnz .LBB707_594
.LBB707_530:                            ;   in Loop: Header=BB707_390 Depth=2
	s_or_b32 exec_lo, exec_lo, s22
	s_and_saveexec_b32 s22, s33
	s_cbranch_execnz .LBB707_595
.LBB707_531:                            ;   in Loop: Header=BB707_390 Depth=2
	s_or_b32 exec_lo, exec_lo, s22
	s_and_saveexec_b32 s22, s34
	s_cbranch_execnz .LBB707_596
.LBB707_532:                            ;   in Loop: Header=BB707_390 Depth=2
	s_or_b32 exec_lo, exec_lo, s22
	s_and_saveexec_b32 s22, s35
	s_cbranch_execnz .LBB707_597
.LBB707_533:                            ;   in Loop: Header=BB707_390 Depth=2
	s_or_b32 exec_lo, exec_lo, s22
	s_and_saveexec_b32 s22, s36
	s_cbranch_execnz .LBB707_598
.LBB707_534:                            ;   in Loop: Header=BB707_390 Depth=2
	s_or_b32 exec_lo, exec_lo, s22
	s_and_saveexec_b32 s22, s37
	s_cbranch_execnz .LBB707_599
.LBB707_535:                            ;   in Loop: Header=BB707_390 Depth=2
	s_or_b32 exec_lo, exec_lo, s22
	s_and_saveexec_b32 s22, s38
	s_cbranch_execz .LBB707_537
.LBB707_536:                            ;   in Loop: Header=BB707_390 Depth=2
	v_lshlrev_b32_e32 v37, 2, v149
	v_mov_b32_e32 v40, v3
	ds_read_b32 v39, v37
	ds_read_b64 v[37:38], v106 offset:31232
	s_waitcnt lgkmcnt(1)
	v_add_nc_u32_e32 v39, v39, v90
	v_lshlrev_b64 v[39:40], 3, v[39:40]
	v_add_co_u32 v39, vcc_lo, s50, v39
	v_add_co_ci_u32_e64 v40, null, s51, v40, vcc_lo
	s_waitcnt lgkmcnt(0)
	global_store_dwordx2 v[39:40], v[37:38], off
.LBB707_537:                            ;   in Loop: Header=BB707_390 Depth=2
	s_or_b32 exec_lo, exec_lo, s22
	s_waitcnt_vscnt null, 0x0
	s_barrier
	buffer_gl0_inv
	s_and_saveexec_b32 s22, s7
	s_cbranch_execz .LBB707_389
; %bb.538:                              ;   in Loop: Header=BB707_390 Depth=2
	ds_read_b32 v37, v73
	s_waitcnt lgkmcnt(0)
	v_add3_u32 v37, v163, v166, v37
	ds_write_b32 v73, v37
	s_branch .LBB707_389
.LBB707_539:                            ;   in Loop: Header=BB707_390 Depth=2
	ds_read_b64 v[37:38], v106 offset:512
	s_waitcnt lgkmcnt(0)
	v_lshrrev_b64 v[45:46], s47, v[37:38]
	v_mov_b32_e32 v46, v3
	v_xor_b32_e32 v38, 0x7fffffff, v38
	v_not_b32_e32 v37, v37
	v_and_b32_e32 v45, s63, v45
	v_lshlrev_b32_e32 v45, 2, v45
	ds_read_b32 v45, v45
	s_waitcnt lgkmcnt(0)
	v_add_nc_u32_e32 v45, v45, v0
	v_lshlrev_b64 v[45:46], 3, v[45:46]
	v_add_co_u32 v45, s22, s44, v45
	v_add_co_ci_u32_e64 v46, null, s45, v46, s22
	global_store_dwordx2 v[45:46], v[37:38], off
	s_or_b32 exec_lo, exec_lo, s23
	v_cmp_lt_u32_e64 s22, v74, v167
	s_and_saveexec_b32 s24, s22
	s_cbranch_execz .LBB707_472
.LBB707_540:                            ;   in Loop: Header=BB707_390 Depth=2
	ds_read_b64 v[37:38], v106 offset:2560
	s_waitcnt lgkmcnt(0)
	v_lshrrev_b64 v[45:46], s47, v[37:38]
	v_mov_b32_e32 v46, v3
	v_xor_b32_e32 v38, 0x7fffffff, v38
	v_not_b32_e32 v37, v37
	v_and_b32_e32 v45, s63, v45
	v_lshlrev_b32_e32 v45, 2, v45
	ds_read_b32 v45, v45
	s_waitcnt lgkmcnt(0)
	v_add_nc_u32_e32 v45, v45, v74
	v_lshlrev_b64 v[45:46], 3, v[45:46]
	v_add_co_u32 v45, s23, s44, v45
	v_add_co_ci_u32_e64 v46, null, s45, v46, s23
	global_store_dwordx2 v[45:46], v[37:38], off
	s_or_b32 exec_lo, exec_lo, s24
	v_cmp_lt_u32_e64 s23, v77, v167
	s_and_saveexec_b32 s25, s23
	s_cbranch_execz .LBB707_473
.LBB707_541:                            ;   in Loop: Header=BB707_390 Depth=2
	ds_read_b64 v[37:38], v106 offset:4608
	s_waitcnt lgkmcnt(0)
	v_lshrrev_b64 v[45:46], s47, v[37:38]
	v_mov_b32_e32 v46, v3
	v_xor_b32_e32 v38, 0x7fffffff, v38
	v_not_b32_e32 v37, v37
	v_and_b32_e32 v45, s63, v45
	v_lshlrev_b32_e32 v45, 2, v45
	ds_read_b32 v45, v45
	s_waitcnt lgkmcnt(0)
	v_add_nc_u32_e32 v45, v45, v77
	v_lshlrev_b64 v[45:46], 3, v[45:46]
	v_add_co_u32 v45, s24, s44, v45
	v_add_co_ci_u32_e64 v46, null, s45, v46, s24
	global_store_dwordx2 v[45:46], v[37:38], off
	s_or_b32 exec_lo, exec_lo, s25
	v_cmp_lt_u32_e64 s24, v78, v167
	s_and_saveexec_b32 s26, s24
	s_cbranch_execz .LBB707_474
.LBB707_542:                            ;   in Loop: Header=BB707_390 Depth=2
	ds_read_b64 v[37:38], v106 offset:6656
	s_waitcnt lgkmcnt(0)
	v_lshrrev_b64 v[45:46], s47, v[37:38]
	v_mov_b32_e32 v46, v3
	v_xor_b32_e32 v38, 0x7fffffff, v38
	v_not_b32_e32 v37, v37
	v_and_b32_e32 v45, s63, v45
	v_lshlrev_b32_e32 v45, 2, v45
	ds_read_b32 v45, v45
	s_waitcnt lgkmcnt(0)
	v_add_nc_u32_e32 v45, v45, v78
	v_lshlrev_b64 v[45:46], 3, v[45:46]
	v_add_co_u32 v45, s25, s44, v45
	v_add_co_ci_u32_e64 v46, null, s45, v46, s25
	global_store_dwordx2 v[45:46], v[37:38], off
	s_or_b32 exec_lo, exec_lo, s26
	v_cmp_lt_u32_e64 s25, v79, v167
	s_and_saveexec_b32 s28, s25
	s_cbranch_execz .LBB707_475
.LBB707_543:                            ;   in Loop: Header=BB707_390 Depth=2
	ds_read_b64 v[37:38], v106 offset:8704
	s_waitcnt lgkmcnt(0)
	v_lshrrev_b64 v[45:46], s47, v[37:38]
	v_mov_b32_e32 v46, v3
	v_xor_b32_e32 v38, 0x7fffffff, v38
	v_not_b32_e32 v37, v37
	v_and_b32_e32 v45, s63, v45
	v_lshlrev_b32_e32 v45, 2, v45
	ds_read_b32 v45, v45
	s_waitcnt lgkmcnt(0)
	v_add_nc_u32_e32 v45, v45, v79
	v_lshlrev_b64 v[45:46], 3, v[45:46]
	v_add_co_u32 v45, s26, s44, v45
	v_add_co_ci_u32_e64 v46, null, s45, v46, s26
	global_store_dwordx2 v[45:46], v[37:38], off
	s_or_b32 exec_lo, exec_lo, s28
	v_cmp_lt_u32_e64 s26, v80, v167
	s_and_saveexec_b32 s29, s26
	s_cbranch_execz .LBB707_476
.LBB707_544:                            ;   in Loop: Header=BB707_390 Depth=2
	ds_read_b64 v[37:38], v106 offset:10752
	s_waitcnt lgkmcnt(0)
	v_lshrrev_b64 v[45:46], s47, v[37:38]
	v_mov_b32_e32 v46, v3
	v_xor_b32_e32 v38, 0x7fffffff, v38
	v_not_b32_e32 v37, v37
	v_and_b32_e32 v45, s63, v45
	v_lshlrev_b32_e32 v45, 2, v45
	ds_read_b32 v45, v45
	s_waitcnt lgkmcnt(0)
	v_add_nc_u32_e32 v45, v45, v80
	v_lshlrev_b64 v[45:46], 3, v[45:46]
	v_add_co_u32 v45, s28, s44, v45
	v_add_co_ci_u32_e64 v46, null, s45, v46, s28
	global_store_dwordx2 v[45:46], v[37:38], off
	s_or_b32 exec_lo, exec_lo, s29
	v_cmp_lt_u32_e64 s28, v81, v167
	s_and_saveexec_b32 s30, s28
	s_cbranch_execz .LBB707_477
.LBB707_545:                            ;   in Loop: Header=BB707_390 Depth=2
	ds_read_b64 v[37:38], v106 offset:12800
	s_waitcnt lgkmcnt(0)
	v_lshrrev_b64 v[45:46], s47, v[37:38]
	v_mov_b32_e32 v46, v3
	v_xor_b32_e32 v38, 0x7fffffff, v38
	v_not_b32_e32 v37, v37
	v_and_b32_e32 v45, s63, v45
	v_lshlrev_b32_e32 v45, 2, v45
	ds_read_b32 v45, v45
	s_waitcnt lgkmcnt(0)
	v_add_nc_u32_e32 v45, v45, v81
	v_lshlrev_b64 v[45:46], 3, v[45:46]
	v_add_co_u32 v45, s29, s44, v45
	v_add_co_ci_u32_e64 v46, null, s45, v46, s29
	global_store_dwordx2 v[45:46], v[37:38], off
	s_or_b32 exec_lo, exec_lo, s30
	v_cmp_lt_u32_e64 s29, v82, v167
	s_and_saveexec_b32 s31, s29
	s_cbranch_execz .LBB707_478
.LBB707_546:                            ;   in Loop: Header=BB707_390 Depth=2
	ds_read_b64 v[37:38], v106 offset:14848
	s_waitcnt lgkmcnt(0)
	v_lshrrev_b64 v[45:46], s47, v[37:38]
	v_mov_b32_e32 v46, v3
	v_xor_b32_e32 v38, 0x7fffffff, v38
	v_not_b32_e32 v37, v37
	v_and_b32_e32 v45, s63, v45
	v_lshlrev_b32_e32 v45, 2, v45
	ds_read_b32 v45, v45
	s_waitcnt lgkmcnt(0)
	v_add_nc_u32_e32 v45, v45, v82
	v_lshlrev_b64 v[45:46], 3, v[45:46]
	v_add_co_u32 v45, s30, s44, v45
	v_add_co_ci_u32_e64 v46, null, s45, v46, s30
	global_store_dwordx2 v[45:46], v[37:38], off
	s_or_b32 exec_lo, exec_lo, s31
	v_cmp_lt_u32_e64 s30, v83, v167
	s_and_saveexec_b32 s33, s30
	s_cbranch_execz .LBB707_479
.LBB707_547:                            ;   in Loop: Header=BB707_390 Depth=2
	ds_read_b64 v[37:38], v106 offset:16896
	s_waitcnt lgkmcnt(0)
	v_lshrrev_b64 v[45:46], s47, v[37:38]
	v_mov_b32_e32 v46, v3
	v_xor_b32_e32 v38, 0x7fffffff, v38
	v_not_b32_e32 v37, v37
	v_and_b32_e32 v45, s63, v45
	v_lshlrev_b32_e32 v45, 2, v45
	ds_read_b32 v45, v45
	s_waitcnt lgkmcnt(0)
	v_add_nc_u32_e32 v45, v45, v83
	v_lshlrev_b64 v[45:46], 3, v[45:46]
	v_add_co_u32 v45, s31, s44, v45
	v_add_co_ci_u32_e64 v46, null, s45, v46, s31
	global_store_dwordx2 v[45:46], v[37:38], off
	s_or_b32 exec_lo, exec_lo, s33
	v_cmp_lt_u32_e64 s31, v84, v167
	s_and_saveexec_b32 s34, s31
	s_cbranch_execz .LBB707_480
.LBB707_548:                            ;   in Loop: Header=BB707_390 Depth=2
	ds_read_b64 v[37:38], v106 offset:18944
	s_waitcnt lgkmcnt(0)
	v_lshrrev_b64 v[45:46], s47, v[37:38]
	v_mov_b32_e32 v46, v3
	v_xor_b32_e32 v38, 0x7fffffff, v38
	v_not_b32_e32 v37, v37
	v_and_b32_e32 v45, s63, v45
	v_lshlrev_b32_e32 v45, 2, v45
	ds_read_b32 v45, v45
	s_waitcnt lgkmcnt(0)
	v_add_nc_u32_e32 v45, v45, v84
	v_lshlrev_b64 v[45:46], 3, v[45:46]
	v_add_co_u32 v45, s33, s44, v45
	v_add_co_ci_u32_e64 v46, null, s45, v46, s33
	global_store_dwordx2 v[45:46], v[37:38], off
	s_or_b32 exec_lo, exec_lo, s34
	v_cmp_lt_u32_e64 s33, v85, v167
	s_and_saveexec_b32 s35, s33
	s_cbranch_execz .LBB707_481
.LBB707_549:                            ;   in Loop: Header=BB707_390 Depth=2
	ds_read_b64 v[37:38], v106 offset:20992
	s_waitcnt lgkmcnt(0)
	v_lshrrev_b64 v[45:46], s47, v[37:38]
	v_mov_b32_e32 v46, v3
	v_xor_b32_e32 v38, 0x7fffffff, v38
	v_not_b32_e32 v37, v37
	v_and_b32_e32 v45, s63, v45
	v_lshlrev_b32_e32 v45, 2, v45
	ds_read_b32 v45, v45
	s_waitcnt lgkmcnt(0)
	v_add_nc_u32_e32 v45, v45, v85
	v_lshlrev_b64 v[45:46], 3, v[45:46]
	v_add_co_u32 v45, s34, s44, v45
	v_add_co_ci_u32_e64 v46, null, s45, v46, s34
	global_store_dwordx2 v[45:46], v[37:38], off
	s_or_b32 exec_lo, exec_lo, s35
	v_cmp_lt_u32_e64 s34, v86, v167
	s_and_saveexec_b32 s36, s34
	s_cbranch_execz .LBB707_482
.LBB707_550:                            ;   in Loop: Header=BB707_390 Depth=2
	ds_read_b64 v[37:38], v106 offset:23040
	s_waitcnt lgkmcnt(0)
	v_lshrrev_b64 v[45:46], s47, v[37:38]
	v_mov_b32_e32 v46, v3
	v_xor_b32_e32 v38, 0x7fffffff, v38
	v_not_b32_e32 v37, v37
	v_and_b32_e32 v45, s63, v45
	v_lshlrev_b32_e32 v45, 2, v45
	ds_read_b32 v45, v45
	s_waitcnt lgkmcnt(0)
	v_add_nc_u32_e32 v45, v45, v86
	v_lshlrev_b64 v[45:46], 3, v[45:46]
	v_add_co_u32 v45, s35, s44, v45
	v_add_co_ci_u32_e64 v46, null, s45, v46, s35
	global_store_dwordx2 v[45:46], v[37:38], off
	s_or_b32 exec_lo, exec_lo, s36
	v_cmp_lt_u32_e64 s35, v87, v167
	s_and_saveexec_b32 s37, s35
	s_cbranch_execz .LBB707_483
.LBB707_551:                            ;   in Loop: Header=BB707_390 Depth=2
	ds_read_b64 v[37:38], v106 offset:25088
	s_waitcnt lgkmcnt(0)
	v_lshrrev_b64 v[45:46], s47, v[37:38]
	v_mov_b32_e32 v46, v3
	v_xor_b32_e32 v38, 0x7fffffff, v38
	v_not_b32_e32 v37, v37
	v_and_b32_e32 v45, s63, v45
	v_lshlrev_b32_e32 v45, 2, v45
	ds_read_b32 v45, v45
	s_waitcnt lgkmcnt(0)
	v_add_nc_u32_e32 v45, v45, v87
	v_lshlrev_b64 v[45:46], 3, v[45:46]
	v_add_co_u32 v45, s36, s44, v45
	v_add_co_ci_u32_e64 v46, null, s45, v46, s36
	global_store_dwordx2 v[45:46], v[37:38], off
	s_or_b32 exec_lo, exec_lo, s37
	v_cmp_lt_u32_e64 s36, v88, v167
	s_and_saveexec_b32 s38, s36
	s_cbranch_execz .LBB707_484
.LBB707_552:                            ;   in Loop: Header=BB707_390 Depth=2
	ds_read_b64 v[37:38], v106 offset:27136
	s_waitcnt lgkmcnt(0)
	v_lshrrev_b64 v[45:46], s47, v[37:38]
	v_mov_b32_e32 v46, v3
	v_xor_b32_e32 v38, 0x7fffffff, v38
	v_not_b32_e32 v37, v37
	v_and_b32_e32 v45, s63, v45
	v_lshlrev_b32_e32 v45, 2, v45
	ds_read_b32 v45, v45
	s_waitcnt lgkmcnt(0)
	v_add_nc_u32_e32 v45, v45, v88
	v_lshlrev_b64 v[45:46], 3, v[45:46]
	v_add_co_u32 v45, s37, s44, v45
	v_add_co_ci_u32_e64 v46, null, s45, v46, s37
	global_store_dwordx2 v[45:46], v[37:38], off
	s_or_b32 exec_lo, exec_lo, s38
	v_cmp_lt_u32_e64 s37, v89, v167
	s_and_saveexec_b32 s39, s37
	s_cbranch_execz .LBB707_485
.LBB707_553:                            ;   in Loop: Header=BB707_390 Depth=2
	ds_read_b64 v[37:38], v106 offset:29184
	s_waitcnt lgkmcnt(0)
	v_lshrrev_b64 v[45:46], s47, v[37:38]
	v_mov_b32_e32 v46, v3
	v_xor_b32_e32 v38, 0x7fffffff, v38
	v_not_b32_e32 v37, v37
	v_and_b32_e32 v45, s63, v45
	v_lshlrev_b32_e32 v45, 2, v45
	ds_read_b32 v45, v45
	s_waitcnt lgkmcnt(0)
	v_add_nc_u32_e32 v45, v45, v89
	v_lshlrev_b64 v[45:46], 3, v[45:46]
	v_add_co_u32 v45, s38, s44, v45
	v_add_co_ci_u32_e64 v46, null, s45, v46, s38
	global_store_dwordx2 v[45:46], v[37:38], off
	s_or_b32 exec_lo, exec_lo, s39
	v_cmp_lt_u32_e64 s38, v90, v167
	s_and_saveexec_b32 s66, s38
	s_cbranch_execnz .LBB707_486
	s_branch .LBB707_487
.LBB707_554:                            ;   in Loop: Header=BB707_390 Depth=2
	global_load_dwordx2 v[35:36], v[37:38], off
	s_or_b32 exec_lo, exec_lo, s39
	s_mov_b32 s56, exec_lo
	v_cmpx_lt_u32_e64 v131, v167
	s_cbranch_execz .LBB707_489
.LBB707_555:                            ;   in Loop: Header=BB707_390 Depth=2
	global_load_dwordx2 v[33:34], v[37:38], off offset:256
	s_or_b32 exec_lo, exec_lo, s56
	s_mov_b32 s56, exec_lo
	v_cmpx_lt_u32_e64 v132, v167
	s_cbranch_execz .LBB707_490
.LBB707_556:                            ;   in Loop: Header=BB707_390 Depth=2
	global_load_dwordx2 v[31:32], v[37:38], off offset:512
	s_or_b32 exec_lo, exec_lo, s56
	s_mov_b32 s56, exec_lo
	v_cmpx_lt_u32_e64 v133, v167
	s_cbranch_execz .LBB707_491
.LBB707_557:                            ;   in Loop: Header=BB707_390 Depth=2
	global_load_dwordx2 v[29:30], v[37:38], off offset:768
	s_or_b32 exec_lo, exec_lo, s56
	s_mov_b32 s56, exec_lo
	v_cmpx_lt_u32_e64 v134, v167
	s_cbranch_execz .LBB707_492
.LBB707_558:                            ;   in Loop: Header=BB707_390 Depth=2
	global_load_dwordx2 v[27:28], v[37:38], off offset:1024
	s_or_b32 exec_lo, exec_lo, s56
	s_mov_b32 s56, exec_lo
	v_cmpx_lt_u32_e64 v135, v167
	s_cbranch_execz .LBB707_493
.LBB707_559:                            ;   in Loop: Header=BB707_390 Depth=2
	global_load_dwordx2 v[23:24], v[37:38], off offset:1280
	s_or_b32 exec_lo, exec_lo, s56
	s_mov_b32 s56, exec_lo
	v_cmpx_lt_u32_e64 v136, v167
	s_cbranch_execz .LBB707_494
.LBB707_560:                            ;   in Loop: Header=BB707_390 Depth=2
	global_load_dwordx2 v[19:20], v[37:38], off offset:1536
	s_or_b32 exec_lo, exec_lo, s56
	s_mov_b32 s56, exec_lo
	v_cmpx_lt_u32_e64 v137, v167
	s_cbranch_execz .LBB707_495
.LBB707_561:                            ;   in Loop: Header=BB707_390 Depth=2
	global_load_dwordx2 v[15:16], v[37:38], off offset:1792
	s_or_b32 exec_lo, exec_lo, s56
	s_mov_b32 s56, exec_lo
	v_cmpx_lt_u32_e64 v138, v167
	s_cbranch_execz .LBB707_496
.LBB707_562:                            ;   in Loop: Header=BB707_390 Depth=2
	v_add_co_u32 v25, s39, 0x800, v37
	v_add_co_ci_u32_e64 v26, null, 0, v38, s39
	global_load_dwordx2 v[25:26], v[25:26], off
	s_or_b32 exec_lo, exec_lo, s56
	s_mov_b32 s56, exec_lo
	v_cmpx_lt_u32_e64 v139, v167
	s_cbranch_execz .LBB707_497
.LBB707_563:                            ;   in Loop: Header=BB707_390 Depth=2
	v_add_co_u32 v21, s39, 0x800, v37
	v_add_co_ci_u32_e64 v22, null, 0, v38, s39
	global_load_dwordx2 v[21:22], v[21:22], off offset:256
	s_or_b32 exec_lo, exec_lo, s56
	s_mov_b32 s56, exec_lo
	v_cmpx_lt_u32_e64 v140, v167
	s_cbranch_execz .LBB707_498
.LBB707_564:                            ;   in Loop: Header=BB707_390 Depth=2
	v_add_co_u32 v17, s39, 0x800, v37
	v_add_co_ci_u32_e64 v18, null, 0, v38, s39
	global_load_dwordx2 v[17:18], v[17:18], off offset:512
	s_or_b32 exec_lo, exec_lo, s56
	s_mov_b32 s56, exec_lo
	v_cmpx_lt_u32_e64 v141, v167
	s_cbranch_execz .LBB707_499
.LBB707_565:                            ;   in Loop: Header=BB707_390 Depth=2
	v_add_co_u32 v13, s39, 0x800, v37
	v_add_co_ci_u32_e64 v14, null, 0, v38, s39
	global_load_dwordx2 v[13:14], v[13:14], off offset:768
	s_or_b32 exec_lo, exec_lo, s56
	s_mov_b32 s56, exec_lo
	v_cmpx_lt_u32_e64 v142, v167
	s_cbranch_execz .LBB707_500
.LBB707_566:                            ;   in Loop: Header=BB707_390 Depth=2
	v_add_co_u32 v11, s39, 0x800, v37
	v_add_co_ci_u32_e64 v12, null, 0, v38, s39
	global_load_dwordx2 v[11:12], v[11:12], off offset:1024
	s_or_b32 exec_lo, exec_lo, s56
	s_mov_b32 s56, exec_lo
	v_cmpx_lt_u32_e64 v143, v167
	s_cbranch_execz .LBB707_501
.LBB707_567:                            ;   in Loop: Header=BB707_390 Depth=2
	v_add_co_u32 v9, s39, 0x800, v37
	v_add_co_ci_u32_e64 v10, null, 0, v38, s39
	global_load_dwordx2 v[9:10], v[9:10], off offset:1280
	s_or_b32 exec_lo, exec_lo, s56
	s_mov_b32 s56, exec_lo
	v_cmpx_lt_u32_e64 v144, v167
	s_cbranch_execz .LBB707_502
.LBB707_568:                            ;   in Loop: Header=BB707_390 Depth=2
	v_add_co_u32 v7, s39, 0x800, v37
	v_add_co_ci_u32_e64 v8, null, 0, v38, s39
	global_load_dwordx2 v[7:8], v[7:8], off offset:1536
	s_or_b32 exec_lo, exec_lo, s56
	s_mov_b32 s56, exec_lo
	v_cmpx_lt_u32_e64 v145, v167
	s_cbranch_execz .LBB707_503
.LBB707_569:                            ;   in Loop: Header=BB707_390 Depth=2
	v_add_co_u32 v5, s39, 0x800, v37
	v_add_co_ci_u32_e64 v6, null, 0, v38, s39
	global_load_dwordx2 v[5:6], v[5:6], off offset:1792
	s_or_b32 exec_lo, exec_lo, s56
	s_and_saveexec_b32 s39, vcc_lo
	s_cbranch_execz .LBB707_504
.LBB707_570:                            ;   in Loop: Header=BB707_390 Depth=2
	ds_read_b64 v[37:38], v106 offset:512
	s_waitcnt lgkmcnt(0)
	v_lshrrev_b64 v[37:38], s47, v[37:38]
	v_and_b32_e32 v165, s63, v37
	s_or_b32 exec_lo, exec_lo, s39
	s_and_saveexec_b32 s39, s22
	s_cbranch_execz .LBB707_505
.LBB707_571:                            ;   in Loop: Header=BB707_390 Depth=2
	ds_read_b64 v[37:38], v106 offset:2560
	s_waitcnt lgkmcnt(0)
	v_lshrrev_b64 v[37:38], s47, v[37:38]
	v_and_b32_e32 v164, s63, v37
	s_or_b32 exec_lo, exec_lo, s39
	s_and_saveexec_b32 s39, s23
	s_cbranch_execz .LBB707_506
.LBB707_572:                            ;   in Loop: Header=BB707_390 Depth=2
	ds_read_b64 v[37:38], v106 offset:4608
	s_waitcnt lgkmcnt(0)
	v_lshrrev_b64 v[37:38], s47, v[37:38]
	v_and_b32_e32 v162, s63, v37
	s_or_b32 exec_lo, exec_lo, s39
	s_and_saveexec_b32 s39, s24
	s_cbranch_execz .LBB707_507
.LBB707_573:                            ;   in Loop: Header=BB707_390 Depth=2
	ds_read_b64 v[37:38], v106 offset:6656
	s_waitcnt lgkmcnt(0)
	v_lshrrev_b64 v[37:38], s47, v[37:38]
	v_and_b32_e32 v161, s63, v37
	s_or_b32 exec_lo, exec_lo, s39
	s_and_saveexec_b32 s39, s25
	s_cbranch_execz .LBB707_508
.LBB707_574:                            ;   in Loop: Header=BB707_390 Depth=2
	ds_read_b64 v[37:38], v106 offset:8704
	s_waitcnt lgkmcnt(0)
	v_lshrrev_b64 v[37:38], s47, v[37:38]
	v_and_b32_e32 v160, s63, v37
	s_or_b32 exec_lo, exec_lo, s39
	s_and_saveexec_b32 s39, s26
	s_cbranch_execz .LBB707_509
.LBB707_575:                            ;   in Loop: Header=BB707_390 Depth=2
	ds_read_b64 v[37:38], v106 offset:10752
	s_waitcnt lgkmcnt(0)
	v_lshrrev_b64 v[37:38], s47, v[37:38]
	v_and_b32_e32 v159, s63, v37
	s_or_b32 exec_lo, exec_lo, s39
	s_and_saveexec_b32 s39, s28
	s_cbranch_execz .LBB707_510
.LBB707_576:                            ;   in Loop: Header=BB707_390 Depth=2
	ds_read_b64 v[37:38], v106 offset:12800
	s_waitcnt lgkmcnt(0)
	v_lshrrev_b64 v[37:38], s47, v[37:38]
	v_and_b32_e32 v158, s63, v37
	s_or_b32 exec_lo, exec_lo, s39
	s_and_saveexec_b32 s39, s29
	s_cbranch_execz .LBB707_511
.LBB707_577:                            ;   in Loop: Header=BB707_390 Depth=2
	ds_read_b64 v[37:38], v106 offset:14848
	s_waitcnt lgkmcnt(0)
	v_lshrrev_b64 v[37:38], s47, v[37:38]
	v_and_b32_e32 v157, s63, v37
	s_or_b32 exec_lo, exec_lo, s39
	s_and_saveexec_b32 s39, s30
	s_cbranch_execz .LBB707_512
.LBB707_578:                            ;   in Loop: Header=BB707_390 Depth=2
	ds_read_b64 v[37:38], v106 offset:16896
	s_waitcnt lgkmcnt(0)
	v_lshrrev_b64 v[37:38], s47, v[37:38]
	v_and_b32_e32 v156, s63, v37
	s_or_b32 exec_lo, exec_lo, s39
	s_and_saveexec_b32 s39, s31
	s_cbranch_execz .LBB707_513
.LBB707_579:                            ;   in Loop: Header=BB707_390 Depth=2
	ds_read_b64 v[37:38], v106 offset:18944
	s_waitcnt lgkmcnt(0)
	v_lshrrev_b64 v[37:38], s47, v[37:38]
	v_and_b32_e32 v155, s63, v37
	s_or_b32 exec_lo, exec_lo, s39
	s_and_saveexec_b32 s39, s33
	s_cbranch_execz .LBB707_514
.LBB707_580:                            ;   in Loop: Header=BB707_390 Depth=2
	ds_read_b64 v[37:38], v106 offset:20992
	s_waitcnt lgkmcnt(0)
	v_lshrrev_b64 v[37:38], s47, v[37:38]
	v_and_b32_e32 v154, s63, v37
	s_or_b32 exec_lo, exec_lo, s39
	s_and_saveexec_b32 s39, s34
	s_cbranch_execz .LBB707_515
.LBB707_581:                            ;   in Loop: Header=BB707_390 Depth=2
	ds_read_b64 v[37:38], v106 offset:23040
	s_waitcnt lgkmcnt(0)
	v_lshrrev_b64 v[37:38], s47, v[37:38]
	v_and_b32_e32 v153, s63, v37
	s_or_b32 exec_lo, exec_lo, s39
	s_and_saveexec_b32 s39, s35
	s_cbranch_execz .LBB707_516
.LBB707_582:                            ;   in Loop: Header=BB707_390 Depth=2
	ds_read_b64 v[37:38], v106 offset:25088
	s_waitcnt lgkmcnt(0)
	v_lshrrev_b64 v[37:38], s47, v[37:38]
	v_and_b32_e32 v152, s63, v37
	s_or_b32 exec_lo, exec_lo, s39
	s_and_saveexec_b32 s39, s36
	s_cbranch_execz .LBB707_517
.LBB707_583:                            ;   in Loop: Header=BB707_390 Depth=2
	ds_read_b64 v[37:38], v106 offset:27136
	s_waitcnt lgkmcnt(0)
	v_lshrrev_b64 v[37:38], s47, v[37:38]
	v_and_b32_e32 v151, s63, v37
	s_or_b32 exec_lo, exec_lo, s39
	s_and_saveexec_b32 s39, s37
	s_cbranch_execz .LBB707_518
.LBB707_584:                            ;   in Loop: Header=BB707_390 Depth=2
	ds_read_b64 v[37:38], v106 offset:29184
	s_waitcnt lgkmcnt(0)
	v_lshrrev_b64 v[37:38], s47, v[37:38]
	v_and_b32_e32 v150, s63, v37
	s_or_b32 exec_lo, exec_lo, s39
	s_and_saveexec_b32 s39, s38
	s_cbranch_execnz .LBB707_519
	s_branch .LBB707_520
.LBB707_585:                            ;   in Loop: Header=BB707_390 Depth=2
	v_lshlrev_b32_e32 v37, 2, v165
	v_mov_b32_e32 v40, v3
	ds_read_b32 v39, v37
	ds_read_b64 v[37:38], v106 offset:512
	s_waitcnt lgkmcnt(1)
	v_add_nc_u32_e32 v39, v39, v0
	v_lshlrev_b64 v[39:40], 3, v[39:40]
	v_add_co_u32 v39, vcc_lo, s50, v39
	v_add_co_ci_u32_e64 v40, null, s51, v40, vcc_lo
	s_waitcnt lgkmcnt(0)
	global_store_dwordx2 v[39:40], v[37:38], off
	s_or_b32 exec_lo, exec_lo, s39
	s_and_saveexec_b32 s39, s22
	s_cbranch_execz .LBB707_522
.LBB707_586:                            ;   in Loop: Header=BB707_390 Depth=2
	v_lshlrev_b32_e32 v37, 2, v164
	v_mov_b32_e32 v40, v3
	ds_read_b32 v39, v37
	ds_read_b64 v[37:38], v106 offset:2560
	s_waitcnt lgkmcnt(1)
	v_add_nc_u32_e32 v39, v39, v74
	v_lshlrev_b64 v[39:40], 3, v[39:40]
	v_add_co_u32 v39, vcc_lo, s50, v39
	v_add_co_ci_u32_e64 v40, null, s51, v40, vcc_lo
	s_waitcnt lgkmcnt(0)
	global_store_dwordx2 v[39:40], v[37:38], off
	s_or_b32 exec_lo, exec_lo, s39
	s_and_saveexec_b32 s22, s23
	s_cbranch_execz .LBB707_523
.LBB707_587:                            ;   in Loop: Header=BB707_390 Depth=2
	v_lshlrev_b32_e32 v37, 2, v162
	v_mov_b32_e32 v40, v3
	ds_read_b32 v39, v37
	ds_read_b64 v[37:38], v106 offset:4608
	s_waitcnt lgkmcnt(1)
	v_add_nc_u32_e32 v39, v39, v77
	v_lshlrev_b64 v[39:40], 3, v[39:40]
	v_add_co_u32 v39, vcc_lo, s50, v39
	v_add_co_ci_u32_e64 v40, null, s51, v40, vcc_lo
	s_waitcnt lgkmcnt(0)
	global_store_dwordx2 v[39:40], v[37:38], off
	s_or_b32 exec_lo, exec_lo, s22
	s_and_saveexec_b32 s22, s24
	s_cbranch_execz .LBB707_524
.LBB707_588:                            ;   in Loop: Header=BB707_390 Depth=2
	v_lshlrev_b32_e32 v37, 2, v161
	v_mov_b32_e32 v40, v3
	ds_read_b32 v39, v37
	ds_read_b64 v[37:38], v106 offset:6656
	s_waitcnt lgkmcnt(1)
	v_add_nc_u32_e32 v39, v39, v78
	v_lshlrev_b64 v[39:40], 3, v[39:40]
	v_add_co_u32 v39, vcc_lo, s50, v39
	v_add_co_ci_u32_e64 v40, null, s51, v40, vcc_lo
	s_waitcnt lgkmcnt(0)
	global_store_dwordx2 v[39:40], v[37:38], off
	s_or_b32 exec_lo, exec_lo, s22
	s_and_saveexec_b32 s22, s25
	s_cbranch_execz .LBB707_525
.LBB707_589:                            ;   in Loop: Header=BB707_390 Depth=2
	v_lshlrev_b32_e32 v37, 2, v160
	v_mov_b32_e32 v40, v3
	ds_read_b32 v39, v37
	ds_read_b64 v[37:38], v106 offset:8704
	s_waitcnt lgkmcnt(1)
	v_add_nc_u32_e32 v39, v39, v79
	v_lshlrev_b64 v[39:40], 3, v[39:40]
	v_add_co_u32 v39, vcc_lo, s50, v39
	v_add_co_ci_u32_e64 v40, null, s51, v40, vcc_lo
	s_waitcnt lgkmcnt(0)
	global_store_dwordx2 v[39:40], v[37:38], off
	s_or_b32 exec_lo, exec_lo, s22
	s_and_saveexec_b32 s22, s26
	s_cbranch_execz .LBB707_526
.LBB707_590:                            ;   in Loop: Header=BB707_390 Depth=2
	v_lshlrev_b32_e32 v37, 2, v159
	v_mov_b32_e32 v40, v3
	ds_read_b32 v39, v37
	ds_read_b64 v[37:38], v106 offset:10752
	s_waitcnt lgkmcnt(1)
	v_add_nc_u32_e32 v39, v39, v80
	v_lshlrev_b64 v[39:40], 3, v[39:40]
	v_add_co_u32 v39, vcc_lo, s50, v39
	v_add_co_ci_u32_e64 v40, null, s51, v40, vcc_lo
	s_waitcnt lgkmcnt(0)
	global_store_dwordx2 v[39:40], v[37:38], off
	s_or_b32 exec_lo, exec_lo, s22
	s_and_saveexec_b32 s22, s28
	s_cbranch_execz .LBB707_527
.LBB707_591:                            ;   in Loop: Header=BB707_390 Depth=2
	v_lshlrev_b32_e32 v37, 2, v158
	v_mov_b32_e32 v40, v3
	ds_read_b32 v39, v37
	ds_read_b64 v[37:38], v106 offset:12800
	s_waitcnt lgkmcnt(1)
	v_add_nc_u32_e32 v39, v39, v81
	v_lshlrev_b64 v[39:40], 3, v[39:40]
	v_add_co_u32 v39, vcc_lo, s50, v39
	v_add_co_ci_u32_e64 v40, null, s51, v40, vcc_lo
	s_waitcnt lgkmcnt(0)
	global_store_dwordx2 v[39:40], v[37:38], off
	s_or_b32 exec_lo, exec_lo, s22
	s_and_saveexec_b32 s22, s29
	s_cbranch_execz .LBB707_528
.LBB707_592:                            ;   in Loop: Header=BB707_390 Depth=2
	v_lshlrev_b32_e32 v37, 2, v157
	v_mov_b32_e32 v40, v3
	ds_read_b32 v39, v37
	ds_read_b64 v[37:38], v106 offset:14848
	s_waitcnt lgkmcnt(1)
	v_add_nc_u32_e32 v39, v39, v82
	v_lshlrev_b64 v[39:40], 3, v[39:40]
	v_add_co_u32 v39, vcc_lo, s50, v39
	v_add_co_ci_u32_e64 v40, null, s51, v40, vcc_lo
	s_waitcnt lgkmcnt(0)
	global_store_dwordx2 v[39:40], v[37:38], off
	s_or_b32 exec_lo, exec_lo, s22
	s_and_saveexec_b32 s22, s30
	s_cbranch_execz .LBB707_529
.LBB707_593:                            ;   in Loop: Header=BB707_390 Depth=2
	v_lshlrev_b32_e32 v37, 2, v156
	v_mov_b32_e32 v40, v3
	ds_read_b32 v39, v37
	ds_read_b64 v[37:38], v106 offset:16896
	s_waitcnt lgkmcnt(1)
	v_add_nc_u32_e32 v39, v39, v83
	v_lshlrev_b64 v[39:40], 3, v[39:40]
	v_add_co_u32 v39, vcc_lo, s50, v39
	v_add_co_ci_u32_e64 v40, null, s51, v40, vcc_lo
	s_waitcnt lgkmcnt(0)
	global_store_dwordx2 v[39:40], v[37:38], off
	s_or_b32 exec_lo, exec_lo, s22
	s_and_saveexec_b32 s22, s31
	s_cbranch_execz .LBB707_530
.LBB707_594:                            ;   in Loop: Header=BB707_390 Depth=2
	v_lshlrev_b32_e32 v37, 2, v155
	v_mov_b32_e32 v40, v3
	ds_read_b32 v39, v37
	ds_read_b64 v[37:38], v106 offset:18944
	s_waitcnt lgkmcnt(1)
	v_add_nc_u32_e32 v39, v39, v84
	v_lshlrev_b64 v[39:40], 3, v[39:40]
	v_add_co_u32 v39, vcc_lo, s50, v39
	v_add_co_ci_u32_e64 v40, null, s51, v40, vcc_lo
	s_waitcnt lgkmcnt(0)
	global_store_dwordx2 v[39:40], v[37:38], off
	s_or_b32 exec_lo, exec_lo, s22
	s_and_saveexec_b32 s22, s33
	s_cbranch_execz .LBB707_531
.LBB707_595:                            ;   in Loop: Header=BB707_390 Depth=2
	v_lshlrev_b32_e32 v37, 2, v154
	v_mov_b32_e32 v40, v3
	ds_read_b32 v39, v37
	ds_read_b64 v[37:38], v106 offset:20992
	s_waitcnt lgkmcnt(1)
	v_add_nc_u32_e32 v39, v39, v85
	v_lshlrev_b64 v[39:40], 3, v[39:40]
	v_add_co_u32 v39, vcc_lo, s50, v39
	v_add_co_ci_u32_e64 v40, null, s51, v40, vcc_lo
	s_waitcnt lgkmcnt(0)
	global_store_dwordx2 v[39:40], v[37:38], off
	s_or_b32 exec_lo, exec_lo, s22
	s_and_saveexec_b32 s22, s34
	s_cbranch_execz .LBB707_532
.LBB707_596:                            ;   in Loop: Header=BB707_390 Depth=2
	v_lshlrev_b32_e32 v37, 2, v153
	v_mov_b32_e32 v40, v3
	ds_read_b32 v39, v37
	ds_read_b64 v[37:38], v106 offset:23040
	s_waitcnt lgkmcnt(1)
	v_add_nc_u32_e32 v39, v39, v86
	v_lshlrev_b64 v[39:40], 3, v[39:40]
	v_add_co_u32 v39, vcc_lo, s50, v39
	v_add_co_ci_u32_e64 v40, null, s51, v40, vcc_lo
	s_waitcnt lgkmcnt(0)
	global_store_dwordx2 v[39:40], v[37:38], off
	s_or_b32 exec_lo, exec_lo, s22
	s_and_saveexec_b32 s22, s35
	s_cbranch_execz .LBB707_533
.LBB707_597:                            ;   in Loop: Header=BB707_390 Depth=2
	v_lshlrev_b32_e32 v37, 2, v152
	v_mov_b32_e32 v40, v3
	ds_read_b32 v39, v37
	ds_read_b64 v[37:38], v106 offset:25088
	s_waitcnt lgkmcnt(1)
	v_add_nc_u32_e32 v39, v39, v87
	v_lshlrev_b64 v[39:40], 3, v[39:40]
	v_add_co_u32 v39, vcc_lo, s50, v39
	v_add_co_ci_u32_e64 v40, null, s51, v40, vcc_lo
	s_waitcnt lgkmcnt(0)
	global_store_dwordx2 v[39:40], v[37:38], off
	s_or_b32 exec_lo, exec_lo, s22
	s_and_saveexec_b32 s22, s36
	s_cbranch_execz .LBB707_534
.LBB707_598:                            ;   in Loop: Header=BB707_390 Depth=2
	v_lshlrev_b32_e32 v37, 2, v151
	v_mov_b32_e32 v40, v3
	ds_read_b32 v39, v37
	ds_read_b64 v[37:38], v106 offset:27136
	s_waitcnt lgkmcnt(1)
	v_add_nc_u32_e32 v39, v39, v88
	v_lshlrev_b64 v[39:40], 3, v[39:40]
	v_add_co_u32 v39, vcc_lo, s50, v39
	v_add_co_ci_u32_e64 v40, null, s51, v40, vcc_lo
	s_waitcnt lgkmcnt(0)
	global_store_dwordx2 v[39:40], v[37:38], off
	s_or_b32 exec_lo, exec_lo, s22
	s_and_saveexec_b32 s22, s37
	s_cbranch_execz .LBB707_535
.LBB707_599:                            ;   in Loop: Header=BB707_390 Depth=2
	v_lshlrev_b32_e32 v37, 2, v150
	v_mov_b32_e32 v40, v3
	ds_read_b32 v39, v37
	ds_read_b64 v[37:38], v106 offset:29184
	s_waitcnt lgkmcnt(1)
	v_add_nc_u32_e32 v39, v39, v89
	v_lshlrev_b64 v[39:40], 3, v[39:40]
	v_add_co_u32 v39, vcc_lo, s50, v39
	v_add_co_ci_u32_e64 v40, null, s51, v40, vcc_lo
	s_waitcnt lgkmcnt(0)
	global_store_dwordx2 v[39:40], v[37:38], off
	s_or_b32 exec_lo, exec_lo, s22
	s_and_saveexec_b32 s22, s38
	s_cbranch_execnz .LBB707_536
	s_branch .LBB707_537
.LBB707_600:                            ;   in Loop: Header=BB707_12 Depth=1
	s_waitcnt lgkmcnt(0)
	s_barrier
.LBB707_601:                            ;   in Loop: Header=BB707_12 Depth=1
	s_mov_b32 s5, 0
.LBB707_602:                            ;   in Loop: Header=BB707_12 Depth=1
	s_andn2_b32 vcc_lo, exec_lo, s5
	s_cbranch_vccnz .LBB707_11
; %bb.603:                              ;   in Loop: Header=BB707_12 Depth=1
	s_lshl_b32 s5, -1, s52
	s_and_b32 vcc_lo, exec_lo, s55
	s_not_b32 s52, s5
	s_mov_b32 s5, -1
	s_cbranch_vccz .LBB707_897
; %bb.604:                              ;   in Loop: Header=BB707_12 Depth=1
	s_mov_b32 s5, s62
	s_mov_b32 s56, s60
	s_barrier
	buffer_gl0_inv
                                        ; implicit-def: $vgpr5_vgpr6
                                        ; implicit-def: $vgpr7_vgpr8
                                        ; implicit-def: $vgpr9_vgpr10
                                        ; implicit-def: $vgpr11_vgpr12
                                        ; implicit-def: $vgpr13_vgpr14
                                        ; implicit-def: $vgpr15_vgpr16
                                        ; implicit-def: $vgpr17_vgpr18
                                        ; implicit-def: $vgpr19_vgpr20
                                        ; implicit-def: $vgpr21_vgpr22
                                        ; implicit-def: $vgpr23_vgpr24
                                        ; implicit-def: $vgpr25_vgpr26
                                        ; implicit-def: $vgpr27_vgpr28
                                        ; implicit-def: $vgpr29_vgpr30
                                        ; implicit-def: $vgpr31_vgpr32
                                        ; implicit-def: $vgpr33_vgpr34
                                        ; implicit-def: $vgpr35_vgpr36
	s_branch .LBB707_606
.LBB707_605:                            ;   in Loop: Header=BB707_606 Depth=2
	s_or_b32 exec_lo, exec_lo, s14
	s_addk_i32 s5, 0xf000
	s_cmp_ge_u32 s16, s61
	s_mov_b32 s56, s16
	s_cbranch_scc1 .LBB707_674
.LBB707_606:                            ;   Parent Loop BB707_12 Depth=1
                                        ; =>  This Inner Loop Header: Depth=2
	s_add_i32 s16, s56, 0x1000
	s_mov_b32 s14, -1
	s_cmp_gt_u32 s16, s61
                                        ; implicit-def: $vgpr47_vgpr48
                                        ; implicit-def: $vgpr51_vgpr52
                                        ; implicit-def: $vgpr55_vgpr56
                                        ; implicit-def: $vgpr37_vgpr38
                                        ; implicit-def: $vgpr39_vgpr40
                                        ; implicit-def: $vgpr41_vgpr42
                                        ; implicit-def: $vgpr43_vgpr44
                                        ; implicit-def: $vgpr45_vgpr46
                                        ; implicit-def: $vgpr49_vgpr50
                                        ; implicit-def: $vgpr53_vgpr54
                                        ; implicit-def: $vgpr57_vgpr58
                                        ; implicit-def: $vgpr59_vgpr60
                                        ; implicit-def: $vgpr61_vgpr62
                                        ; implicit-def: $vgpr63_vgpr64
                                        ; implicit-def: $vgpr65_vgpr66
                                        ; implicit-def: $vgpr67_vgpr68
	s_cbranch_scc1 .LBB707_608
; %bb.607:                              ;   in Loop: Header=BB707_606 Depth=2
	s_lshl_b64 s[14:15], s[56:57], 3
	v_add_co_u32 v47, vcc_lo, v113, s14
	v_add_co_ci_u32_e64 v48, null, s15, v114, vcc_lo
	s_mov_b32 s14, 0
	v_add_co_u32 v55, vcc_lo, v47, 0x1000
	v_add_co_ci_u32_e64 v56, null, 0, v48, vcc_lo
	v_add_co_u32 v39, vcc_lo, v47, 0x2000
	v_add_co_ci_u32_e64 v40, null, 0, v48, vcc_lo
	;; [unrolled: 2-line block ×5, first 2 shown]
	s_clause 0x7
	global_load_dwordx2 v[37:38], v[39:40], off offset:-2048
	global_load_dwordx2 v[39:40], v[39:40], off
	global_load_dwordx2 v[41:42], v[43:44], off offset:-2048
	global_load_dwordx2 v[43:44], v[43:44], off
	;; [unrolled: 2-line block ×4, first 2 shown]
	v_add_co_u32 v51, vcc_lo, v47, 0x6000
	v_add_co_ci_u32_e64 v52, null, 0, v48, vcc_lo
	v_add_co_u32 v65, vcc_lo, v47, 0x7000
	v_add_co_ci_u32_e64 v66, null, 0, v48, vcc_lo
	;; [unrolled: 2-line block ×3, first 2 shown]
	s_clause 0x7
	global_load_dwordx2 v[59:60], v[51:52], off offset:-2048
	global_load_dwordx2 v[61:62], v[51:52], off
	global_load_dwordx2 v[63:64], v[65:66], off offset:-2048
	global_load_dwordx2 v[65:66], v[65:66], off
	global_load_dwordx2 v[47:48], v[47:48], off
	global_load_dwordx2 v[51:52], v[55:56], off offset:-2048
	global_load_dwordx2 v[55:56], v[55:56], off
	global_load_dwordx2 v[67:68], v[67:68], off
.LBB707_608:                            ;   in Loop: Header=BB707_606 Depth=2
	s_andn2_b32 vcc_lo, exec_lo, s14
	s_movk_i32 s14, 0x1000
	s_cbranch_vccnz .LBB707_627
; %bb.609:                              ;   in Loop: Header=BB707_606 Depth=2
	s_lshl_b64 s[14:15], s[56:57], 3
	s_mov_b32 s17, exec_lo
	s_add_u32 s14, s40, s14
	s_addc_u32 s15, s41, s15
	v_cmpx_gt_u32_e64 s5, v0
	s_cbranch_execnz .LBB707_659
; %bb.610:                              ;   in Loop: Header=BB707_606 Depth=2
	s_or_b32 exec_lo, exec_lo, s17
	s_mov_b32 s17, exec_lo
	v_cmpx_gt_u32_e64 s5, v74
	s_cbranch_execnz .LBB707_660
.LBB707_611:                            ;   in Loop: Header=BB707_606 Depth=2
	s_or_b32 exec_lo, exec_lo, s17
	s_mov_b32 s17, exec_lo
	v_cmpx_gt_u32_e64 s5, v77
	s_cbranch_execnz .LBB707_661
.LBB707_612:                            ;   in Loop: Header=BB707_606 Depth=2
	s_or_b32 exec_lo, exec_lo, s17
	s_mov_b32 s17, exec_lo
	v_cmpx_gt_u32_e64 s5, v78
	s_cbranch_execnz .LBB707_662
.LBB707_613:                            ;   in Loop: Header=BB707_606 Depth=2
	s_or_b32 exec_lo, exec_lo, s17
	s_mov_b32 s17, exec_lo
	v_cmpx_gt_u32_e64 s5, v79
	s_cbranch_execnz .LBB707_663
.LBB707_614:                            ;   in Loop: Header=BB707_606 Depth=2
	s_or_b32 exec_lo, exec_lo, s17
	s_mov_b32 s17, exec_lo
	v_cmpx_gt_u32_e64 s5, v80
	s_cbranch_execnz .LBB707_664
.LBB707_615:                            ;   in Loop: Header=BB707_606 Depth=2
	s_or_b32 exec_lo, exec_lo, s17
	s_mov_b32 s17, exec_lo
	v_cmpx_gt_u32_e64 s5, v81
	s_cbranch_execnz .LBB707_665
.LBB707_616:                            ;   in Loop: Header=BB707_606 Depth=2
	s_or_b32 exec_lo, exec_lo, s17
	s_mov_b32 s17, exec_lo
	v_cmpx_gt_u32_e64 s5, v82
	s_cbranch_execnz .LBB707_666
.LBB707_617:                            ;   in Loop: Header=BB707_606 Depth=2
	s_or_b32 exec_lo, exec_lo, s17
	s_mov_b32 s17, exec_lo
	v_cmpx_gt_u32_e64 s5, v83
	s_cbranch_execnz .LBB707_667
.LBB707_618:                            ;   in Loop: Header=BB707_606 Depth=2
	s_or_b32 exec_lo, exec_lo, s17
	s_mov_b32 s17, exec_lo
	v_cmpx_gt_u32_e64 s5, v84
	s_cbranch_execnz .LBB707_668
.LBB707_619:                            ;   in Loop: Header=BB707_606 Depth=2
	s_or_b32 exec_lo, exec_lo, s17
	s_mov_b32 s17, exec_lo
	v_cmpx_gt_u32_e64 s5, v85
	s_cbranch_execnz .LBB707_669
.LBB707_620:                            ;   in Loop: Header=BB707_606 Depth=2
	s_or_b32 exec_lo, exec_lo, s17
	s_mov_b32 s17, exec_lo
	v_cmpx_gt_u32_e64 s5, v86
	s_cbranch_execnz .LBB707_670
.LBB707_621:                            ;   in Loop: Header=BB707_606 Depth=2
	s_or_b32 exec_lo, exec_lo, s17
	s_mov_b32 s17, exec_lo
	v_cmpx_gt_u32_e64 s5, v87
	s_cbranch_execnz .LBB707_671
.LBB707_622:                            ;   in Loop: Header=BB707_606 Depth=2
	s_or_b32 exec_lo, exec_lo, s17
	s_mov_b32 s17, exec_lo
	v_cmpx_gt_u32_e64 s5, v88
	s_cbranch_execnz .LBB707_672
.LBB707_623:                            ;   in Loop: Header=BB707_606 Depth=2
	s_or_b32 exec_lo, exec_lo, s17
	s_mov_b32 s17, exec_lo
	v_cmpx_gt_u32_e64 s5, v89
	s_cbranch_execnz .LBB707_673
.LBB707_624:                            ;   in Loop: Header=BB707_606 Depth=2
	s_or_b32 exec_lo, exec_lo, s17
	s_mov_b32 s17, exec_lo
	v_cmpx_gt_u32_e64 s5, v90
	s_cbranch_execz .LBB707_626
.LBB707_625:                            ;   in Loop: Header=BB707_606 Depth=2
	v_lshlrev_b32_e32 v5, 3, v90
	global_load_dwordx2 v[5:6], v5, s[14:15]
.LBB707_626:                            ;   in Loop: Header=BB707_606 Depth=2
	s_or_b32 exec_lo, exec_lo, s17
	s_waitcnt vmcnt(0)
	v_mov_b32_e32 v48, v36
	v_mov_b32_e32 v52, v34
	;; [unrolled: 1-line block ×32, first 2 shown]
	s_mov_b32 s14, s5
.LBB707_627:                            ;   in Loop: Header=BB707_606 Depth=2
	s_waitcnt vmcnt(0)
	v_mov_b32_e32 v5, v67
	v_mov_b32_e32 v7, v65
	;; [unrolled: 1-line block ×32, first 2 shown]
	s_mov_b32 s15, exec_lo
	v_cmpx_gt_u32_e64 s14, v0
	s_cbranch_execnz .LBB707_643
; %bb.628:                              ;   in Loop: Header=BB707_606 Depth=2
	s_or_b32 exec_lo, exec_lo, s15
	s_mov_b32 s15, exec_lo
	v_cmpx_gt_u32_e64 s14, v74
	s_cbranch_execnz .LBB707_644
.LBB707_629:                            ;   in Loop: Header=BB707_606 Depth=2
	s_or_b32 exec_lo, exec_lo, s15
	s_mov_b32 s15, exec_lo
	v_cmpx_gt_u32_e64 s14, v77
	s_cbranch_execnz .LBB707_645
.LBB707_630:                            ;   in Loop: Header=BB707_606 Depth=2
	s_or_b32 exec_lo, exec_lo, s15
	s_mov_b32 s15, exec_lo
	v_cmpx_gt_u32_e64 s14, v78
	s_cbranch_execnz .LBB707_646
.LBB707_631:                            ;   in Loop: Header=BB707_606 Depth=2
	s_or_b32 exec_lo, exec_lo, s15
	s_mov_b32 s15, exec_lo
	v_cmpx_gt_u32_e64 s14, v79
	s_cbranch_execnz .LBB707_647
.LBB707_632:                            ;   in Loop: Header=BB707_606 Depth=2
	s_or_b32 exec_lo, exec_lo, s15
	s_mov_b32 s15, exec_lo
	v_cmpx_gt_u32_e64 s14, v80
	s_cbranch_execnz .LBB707_648
.LBB707_633:                            ;   in Loop: Header=BB707_606 Depth=2
	s_or_b32 exec_lo, exec_lo, s15
	s_mov_b32 s15, exec_lo
	v_cmpx_gt_u32_e64 s14, v81
	s_cbranch_execnz .LBB707_649
.LBB707_634:                            ;   in Loop: Header=BB707_606 Depth=2
	s_or_b32 exec_lo, exec_lo, s15
	s_mov_b32 s15, exec_lo
	v_cmpx_gt_u32_e64 s14, v82
	s_cbranch_execnz .LBB707_650
.LBB707_635:                            ;   in Loop: Header=BB707_606 Depth=2
	s_or_b32 exec_lo, exec_lo, s15
	s_mov_b32 s15, exec_lo
	v_cmpx_gt_u32_e64 s14, v83
	s_cbranch_execnz .LBB707_651
.LBB707_636:                            ;   in Loop: Header=BB707_606 Depth=2
	s_or_b32 exec_lo, exec_lo, s15
	s_mov_b32 s15, exec_lo
	v_cmpx_gt_u32_e64 s14, v84
	s_cbranch_execnz .LBB707_652
.LBB707_637:                            ;   in Loop: Header=BB707_606 Depth=2
	s_or_b32 exec_lo, exec_lo, s15
	s_mov_b32 s15, exec_lo
	v_cmpx_gt_u32_e64 s14, v85
	s_cbranch_execnz .LBB707_653
.LBB707_638:                            ;   in Loop: Header=BB707_606 Depth=2
	s_or_b32 exec_lo, exec_lo, s15
	s_mov_b32 s15, exec_lo
	v_cmpx_gt_u32_e64 s14, v86
	s_cbranch_execnz .LBB707_654
.LBB707_639:                            ;   in Loop: Header=BB707_606 Depth=2
	s_or_b32 exec_lo, exec_lo, s15
	s_mov_b32 s15, exec_lo
	v_cmpx_gt_u32_e64 s14, v87
	s_cbranch_execnz .LBB707_655
.LBB707_640:                            ;   in Loop: Header=BB707_606 Depth=2
	s_or_b32 exec_lo, exec_lo, s15
	s_mov_b32 s15, exec_lo
	v_cmpx_gt_u32_e64 s14, v88
	s_cbranch_execnz .LBB707_656
.LBB707_641:                            ;   in Loop: Header=BB707_606 Depth=2
	s_or_b32 exec_lo, exec_lo, s15
	s_mov_b32 s15, exec_lo
	v_cmpx_gt_u32_e64 s14, v89
	s_cbranch_execnz .LBB707_657
.LBB707_642:                            ;   in Loop: Header=BB707_606 Depth=2
	s_or_b32 exec_lo, exec_lo, s15
	v_cmp_gt_u32_e32 vcc_lo, s14, v90
	s_and_saveexec_b32 s14, vcc_lo
	s_cbranch_execz .LBB707_605
	s_branch .LBB707_658
.LBB707_643:                            ;   in Loop: Header=BB707_606 Depth=2
	v_xor_b32_e32 v38, 0x7fffffff, v36
	v_not_b32_e32 v37, v35
	v_lshrrev_b64 v[37:38], s46, v[37:38]
	v_and_b32_e32 v37, s52, v37
	v_lshl_or_b32 v37, v37, 4, v91
	ds_add_u32 v37, v119
	s_or_b32 exec_lo, exec_lo, s15
	s_mov_b32 s15, exec_lo
	v_cmpx_gt_u32_e64 s14, v74
	s_cbranch_execz .LBB707_629
.LBB707_644:                            ;   in Loop: Header=BB707_606 Depth=2
	v_xor_b32_e32 v38, 0x7fffffff, v34
	v_not_b32_e32 v37, v33
	v_lshrrev_b64 v[37:38], s46, v[37:38]
	v_and_b32_e32 v37, s52, v37
	v_lshl_or_b32 v37, v37, 4, v91
	ds_add_u32 v37, v119
	s_or_b32 exec_lo, exec_lo, s15
	s_mov_b32 s15, exec_lo
	v_cmpx_gt_u32_e64 s14, v77
	s_cbranch_execz .LBB707_630
.LBB707_645:                            ;   in Loop: Header=BB707_606 Depth=2
	v_xor_b32_e32 v38, 0x7fffffff, v32
	v_not_b32_e32 v37, v31
	v_lshrrev_b64 v[37:38], s46, v[37:38]
	v_and_b32_e32 v37, s52, v37
	v_lshl_or_b32 v37, v37, 4, v91
	ds_add_u32 v37, v119
	s_or_b32 exec_lo, exec_lo, s15
	s_mov_b32 s15, exec_lo
	v_cmpx_gt_u32_e64 s14, v78
	s_cbranch_execz .LBB707_631
.LBB707_646:                            ;   in Loop: Header=BB707_606 Depth=2
	v_xor_b32_e32 v38, 0x7fffffff, v30
	v_not_b32_e32 v37, v29
	v_lshrrev_b64 v[37:38], s46, v[37:38]
	v_and_b32_e32 v37, s52, v37
	v_lshl_or_b32 v37, v37, 4, v91
	ds_add_u32 v37, v119
	s_or_b32 exec_lo, exec_lo, s15
	s_mov_b32 s15, exec_lo
	v_cmpx_gt_u32_e64 s14, v79
	s_cbranch_execz .LBB707_632
.LBB707_647:                            ;   in Loop: Header=BB707_606 Depth=2
	v_xor_b32_e32 v38, 0x7fffffff, v28
	v_not_b32_e32 v37, v27
	v_lshrrev_b64 v[37:38], s46, v[37:38]
	v_and_b32_e32 v37, s52, v37
	v_lshl_or_b32 v37, v37, 4, v91
	ds_add_u32 v37, v119
	s_or_b32 exec_lo, exec_lo, s15
	s_mov_b32 s15, exec_lo
	v_cmpx_gt_u32_e64 s14, v80
	s_cbranch_execz .LBB707_633
.LBB707_648:                            ;   in Loop: Header=BB707_606 Depth=2
	v_xor_b32_e32 v38, 0x7fffffff, v26
	v_not_b32_e32 v37, v25
	v_lshrrev_b64 v[37:38], s46, v[37:38]
	v_and_b32_e32 v37, s52, v37
	v_lshl_or_b32 v37, v37, 4, v91
	ds_add_u32 v37, v119
	s_or_b32 exec_lo, exec_lo, s15
	s_mov_b32 s15, exec_lo
	v_cmpx_gt_u32_e64 s14, v81
	s_cbranch_execz .LBB707_634
.LBB707_649:                            ;   in Loop: Header=BB707_606 Depth=2
	v_xor_b32_e32 v38, 0x7fffffff, v24
	v_not_b32_e32 v37, v23
	v_lshrrev_b64 v[37:38], s46, v[37:38]
	v_and_b32_e32 v37, s52, v37
	v_lshl_or_b32 v37, v37, 4, v91
	ds_add_u32 v37, v119
	s_or_b32 exec_lo, exec_lo, s15
	s_mov_b32 s15, exec_lo
	v_cmpx_gt_u32_e64 s14, v82
	s_cbranch_execz .LBB707_635
.LBB707_650:                            ;   in Loop: Header=BB707_606 Depth=2
	v_xor_b32_e32 v38, 0x7fffffff, v22
	v_not_b32_e32 v37, v21
	v_lshrrev_b64 v[37:38], s46, v[37:38]
	v_and_b32_e32 v37, s52, v37
	v_lshl_or_b32 v37, v37, 4, v91
	ds_add_u32 v37, v119
	s_or_b32 exec_lo, exec_lo, s15
	s_mov_b32 s15, exec_lo
	v_cmpx_gt_u32_e64 s14, v83
	s_cbranch_execz .LBB707_636
.LBB707_651:                            ;   in Loop: Header=BB707_606 Depth=2
	v_xor_b32_e32 v38, 0x7fffffff, v20
	v_not_b32_e32 v37, v19
	v_lshrrev_b64 v[37:38], s46, v[37:38]
	v_and_b32_e32 v37, s52, v37
	v_lshl_or_b32 v37, v37, 4, v91
	ds_add_u32 v37, v119
	s_or_b32 exec_lo, exec_lo, s15
	s_mov_b32 s15, exec_lo
	v_cmpx_gt_u32_e64 s14, v84
	s_cbranch_execz .LBB707_637
.LBB707_652:                            ;   in Loop: Header=BB707_606 Depth=2
	v_xor_b32_e32 v38, 0x7fffffff, v18
	v_not_b32_e32 v37, v17
	v_lshrrev_b64 v[37:38], s46, v[37:38]
	v_and_b32_e32 v37, s52, v37
	v_lshl_or_b32 v37, v37, 4, v91
	ds_add_u32 v37, v119
	s_or_b32 exec_lo, exec_lo, s15
	s_mov_b32 s15, exec_lo
	v_cmpx_gt_u32_e64 s14, v85
	s_cbranch_execz .LBB707_638
.LBB707_653:                            ;   in Loop: Header=BB707_606 Depth=2
	v_xor_b32_e32 v38, 0x7fffffff, v16
	v_not_b32_e32 v37, v15
	v_lshrrev_b64 v[37:38], s46, v[37:38]
	v_and_b32_e32 v37, s52, v37
	v_lshl_or_b32 v37, v37, 4, v91
	ds_add_u32 v37, v119
	s_or_b32 exec_lo, exec_lo, s15
	s_mov_b32 s15, exec_lo
	v_cmpx_gt_u32_e64 s14, v86
	s_cbranch_execz .LBB707_639
.LBB707_654:                            ;   in Loop: Header=BB707_606 Depth=2
	v_xor_b32_e32 v38, 0x7fffffff, v14
	v_not_b32_e32 v37, v13
	v_lshrrev_b64 v[37:38], s46, v[37:38]
	v_and_b32_e32 v37, s52, v37
	v_lshl_or_b32 v37, v37, 4, v91
	ds_add_u32 v37, v119
	s_or_b32 exec_lo, exec_lo, s15
	s_mov_b32 s15, exec_lo
	v_cmpx_gt_u32_e64 s14, v87
	s_cbranch_execz .LBB707_640
.LBB707_655:                            ;   in Loop: Header=BB707_606 Depth=2
	v_xor_b32_e32 v38, 0x7fffffff, v12
	v_not_b32_e32 v37, v11
	v_lshrrev_b64 v[37:38], s46, v[37:38]
	v_and_b32_e32 v37, s52, v37
	v_lshl_or_b32 v37, v37, 4, v91
	ds_add_u32 v37, v119
	s_or_b32 exec_lo, exec_lo, s15
	s_mov_b32 s15, exec_lo
	v_cmpx_gt_u32_e64 s14, v88
	s_cbranch_execz .LBB707_641
.LBB707_656:                            ;   in Loop: Header=BB707_606 Depth=2
	v_xor_b32_e32 v38, 0x7fffffff, v10
	v_not_b32_e32 v37, v9
	v_lshrrev_b64 v[37:38], s46, v[37:38]
	v_and_b32_e32 v37, s52, v37
	v_lshl_or_b32 v37, v37, 4, v91
	ds_add_u32 v37, v119
	s_or_b32 exec_lo, exec_lo, s15
	s_mov_b32 s15, exec_lo
	v_cmpx_gt_u32_e64 s14, v89
	s_cbranch_execz .LBB707_642
.LBB707_657:                            ;   in Loop: Header=BB707_606 Depth=2
	v_xor_b32_e32 v38, 0x7fffffff, v8
	v_not_b32_e32 v37, v7
	v_lshrrev_b64 v[37:38], s46, v[37:38]
	v_and_b32_e32 v37, s52, v37
	v_lshl_or_b32 v37, v37, 4, v91
	ds_add_u32 v37, v119
	s_or_b32 exec_lo, exec_lo, s15
	v_cmp_gt_u32_e32 vcc_lo, s14, v90
	s_and_saveexec_b32 s14, vcc_lo
	s_cbranch_execz .LBB707_605
.LBB707_658:                            ;   in Loop: Header=BB707_606 Depth=2
	v_xor_b32_e32 v38, 0x7fffffff, v6
	v_not_b32_e32 v37, v5
	v_lshrrev_b64 v[37:38], s46, v[37:38]
	v_and_b32_e32 v37, s52, v37
	v_lshl_or_b32 v37, v37, 4, v91
	ds_add_u32 v37, v119
	s_branch .LBB707_605
.LBB707_659:                            ;   in Loop: Header=BB707_606 Depth=2
	global_load_dwordx2 v[35:36], v120, s[14:15]
	s_or_b32 exec_lo, exec_lo, s17
	s_mov_b32 s17, exec_lo
	v_cmpx_gt_u32_e64 s5, v74
	s_cbranch_execz .LBB707_611
.LBB707_660:                            ;   in Loop: Header=BB707_606 Depth=2
	global_load_dwordx2 v[33:34], v121, s[14:15]
	s_or_b32 exec_lo, exec_lo, s17
	s_mov_b32 s17, exec_lo
	v_cmpx_gt_u32_e64 s5, v77
	s_cbranch_execz .LBB707_612
.LBB707_661:                            ;   in Loop: Header=BB707_606 Depth=2
	global_load_dwordx2 v[31:32], v122, s[14:15]
	s_or_b32 exec_lo, exec_lo, s17
	s_mov_b32 s17, exec_lo
	v_cmpx_gt_u32_e64 s5, v78
	s_cbranch_execz .LBB707_613
.LBB707_662:                            ;   in Loop: Header=BB707_606 Depth=2
	global_load_dwordx2 v[29:30], v123, s[14:15]
	s_or_b32 exec_lo, exec_lo, s17
	s_mov_b32 s17, exec_lo
	v_cmpx_gt_u32_e64 s5, v79
	s_cbranch_execz .LBB707_614
.LBB707_663:                            ;   in Loop: Header=BB707_606 Depth=2
	global_load_dwordx2 v[27:28], v124, s[14:15]
	s_or_b32 exec_lo, exec_lo, s17
	s_mov_b32 s17, exec_lo
	v_cmpx_gt_u32_e64 s5, v80
	s_cbranch_execz .LBB707_615
.LBB707_664:                            ;   in Loop: Header=BB707_606 Depth=2
	global_load_dwordx2 v[25:26], v125, s[14:15]
	s_or_b32 exec_lo, exec_lo, s17
	s_mov_b32 s17, exec_lo
	v_cmpx_gt_u32_e64 s5, v81
	s_cbranch_execz .LBB707_616
.LBB707_665:                            ;   in Loop: Header=BB707_606 Depth=2
	v_lshlrev_b32_e32 v23, 3, v81
	global_load_dwordx2 v[23:24], v23, s[14:15]
	s_or_b32 exec_lo, exec_lo, s17
	s_mov_b32 s17, exec_lo
	v_cmpx_gt_u32_e64 s5, v82
	s_cbranch_execz .LBB707_617
.LBB707_666:                            ;   in Loop: Header=BB707_606 Depth=2
	v_lshlrev_b32_e32 v21, 3, v82
	global_load_dwordx2 v[21:22], v21, s[14:15]
	s_or_b32 exec_lo, exec_lo, s17
	s_mov_b32 s17, exec_lo
	v_cmpx_gt_u32_e64 s5, v83
	s_cbranch_execz .LBB707_618
.LBB707_667:                            ;   in Loop: Header=BB707_606 Depth=2
	v_lshlrev_b32_e32 v19, 3, v83
	global_load_dwordx2 v[19:20], v19, s[14:15]
	s_or_b32 exec_lo, exec_lo, s17
	s_mov_b32 s17, exec_lo
	v_cmpx_gt_u32_e64 s5, v84
	s_cbranch_execz .LBB707_619
.LBB707_668:                            ;   in Loop: Header=BB707_606 Depth=2
	v_lshlrev_b32_e32 v17, 3, v84
	global_load_dwordx2 v[17:18], v17, s[14:15]
	s_or_b32 exec_lo, exec_lo, s17
	s_mov_b32 s17, exec_lo
	v_cmpx_gt_u32_e64 s5, v85
	s_cbranch_execz .LBB707_620
.LBB707_669:                            ;   in Loop: Header=BB707_606 Depth=2
	v_lshlrev_b32_e32 v15, 3, v85
	global_load_dwordx2 v[15:16], v15, s[14:15]
	s_or_b32 exec_lo, exec_lo, s17
	s_mov_b32 s17, exec_lo
	v_cmpx_gt_u32_e64 s5, v86
	s_cbranch_execz .LBB707_621
.LBB707_670:                            ;   in Loop: Header=BB707_606 Depth=2
	v_lshlrev_b32_e32 v13, 3, v86
	global_load_dwordx2 v[13:14], v13, s[14:15]
	s_or_b32 exec_lo, exec_lo, s17
	s_mov_b32 s17, exec_lo
	v_cmpx_gt_u32_e64 s5, v87
	s_cbranch_execz .LBB707_622
.LBB707_671:                            ;   in Loop: Header=BB707_606 Depth=2
	v_lshlrev_b32_e32 v11, 3, v87
	global_load_dwordx2 v[11:12], v11, s[14:15]
	s_or_b32 exec_lo, exec_lo, s17
	s_mov_b32 s17, exec_lo
	v_cmpx_gt_u32_e64 s5, v88
	s_cbranch_execz .LBB707_623
.LBB707_672:                            ;   in Loop: Header=BB707_606 Depth=2
	v_lshlrev_b32_e32 v9, 3, v88
	global_load_dwordx2 v[9:10], v9, s[14:15]
	s_or_b32 exec_lo, exec_lo, s17
	s_mov_b32 s17, exec_lo
	v_cmpx_gt_u32_e64 s5, v89
	s_cbranch_execz .LBB707_624
.LBB707_673:                            ;   in Loop: Header=BB707_606 Depth=2
	v_lshlrev_b32_e32 v7, 3, v89
	global_load_dwordx2 v[7:8], v7, s[14:15]
	s_or_b32 exec_lo, exec_lo, s17
	s_mov_b32 s17, exec_lo
	v_cmpx_gt_u32_e64 s5, v90
	s_cbranch_execnz .LBB707_625
	s_branch .LBB707_626
.LBB707_674:                            ;   in Loop: Header=BB707_12 Depth=1
	v_mov_b32_e32 v5, 0
	s_waitcnt lgkmcnt(0)
	s_barrier
	buffer_gl0_inv
	s_and_saveexec_b32 s5, s7
	s_cbranch_execz .LBB707_676
; %bb.675:                              ;   in Loop: Header=BB707_12 Depth=1
	ds_read2_b64 v[5:8], v93 offset1:1
	s_waitcnt lgkmcnt(0)
	v_add_nc_u32_e32 v5, v6, v5
	v_add3_u32 v5, v5, v7, v8
.LBB707_676:                            ;   in Loop: Header=BB707_12 Depth=1
	s_or_b32 exec_lo, exec_lo, s5
	v_and_b32_e32 v6, 15, v126
	v_mov_b32_dpp v7, v5 row_shr:1 row_mask:0xf bank_mask:0xf
	v_and_b32_e32 v8, 16, v126
	v_cmp_eq_u32_e64 s5, 0, v6
	v_cmp_lt_u32_e64 s14, 1, v6
	v_cmp_lt_u32_e64 s15, 3, v6
	;; [unrolled: 1-line block ×3, first 2 shown]
	v_cmp_eq_u32_e64 s17, 0, v8
	v_cndmask_b32_e64 v7, v7, 0, s5
	v_add_nc_u32_e32 v5, v7, v5
	v_mov_b32_dpp v7, v5 row_shr:2 row_mask:0xf bank_mask:0xf
	v_cndmask_b32_e64 v7, 0, v7, s14
	v_add_nc_u32_e32 v5, v5, v7
	v_mov_b32_dpp v7, v5 row_shr:4 row_mask:0xf bank_mask:0xf
	;; [unrolled: 3-line block ×3, first 2 shown]
	v_cndmask_b32_e64 v6, 0, v7, s16
	v_bfe_i32 v7, v126, 4, 1
	v_add_nc_u32_e32 v5, v5, v6
	ds_swizzle_b32 v6, v5 offset:swizzle(BROADCAST,32,15)
	s_waitcnt lgkmcnt(0)
	v_and_b32_e32 v6, v7, v6
	v_add_nc_u32_e32 v5, v5, v6
	s_and_saveexec_b32 s18, s8
; %bb.677:                              ;   in Loop: Header=BB707_12 Depth=1
	ds_write_b32 v94, v5
; %bb.678:                              ;   in Loop: Header=BB707_12 Depth=1
	s_or_b32 exec_lo, exec_lo, s18
	s_waitcnt lgkmcnt(0)
	s_barrier
	buffer_gl0_inv
	s_and_saveexec_b32 s18, s9
	s_cbranch_execz .LBB707_680
; %bb.679:                              ;   in Loop: Header=BB707_12 Depth=1
	ds_read_b32 v6, v95
	v_and_b32_e32 v7, 3, v126
	v_cmp_ne_u32_e32 vcc_lo, 0, v7
	s_waitcnt lgkmcnt(0)
	v_mov_b32_dpp v8, v6 row_shr:1 row_mask:0xf bank_mask:0xf
	v_cndmask_b32_e32 v8, 0, v8, vcc_lo
	v_cmp_lt_u32_e32 vcc_lo, 1, v7
	v_add_nc_u32_e32 v6, v8, v6
	v_mov_b32_dpp v8, v6 row_shr:2 row_mask:0xf bank_mask:0xf
	v_cndmask_b32_e32 v7, 0, v8, vcc_lo
	v_add_nc_u32_e32 v6, v6, v7
	ds_write_b32 v95, v6
.LBB707_680:                            ;   in Loop: Header=BB707_12 Depth=1
	s_or_b32 exec_lo, exec_lo, s18
	v_mov_b32_e32 v6, 0
	s_waitcnt lgkmcnt(0)
	s_barrier
	buffer_gl0_inv
	s_and_saveexec_b32 s18, s10
; %bb.681:                              ;   in Loop: Header=BB707_12 Depth=1
	ds_read_b32 v6, v96
; %bb.682:                              ;   in Loop: Header=BB707_12 Depth=1
	s_or_b32 exec_lo, exec_lo, s18
	v_sub_co_u32 v7, s18, v126, 1
	s_waitcnt lgkmcnt(0)
	v_add_nc_u32_e32 v5, v6, v5
	s_barrier
	v_cmp_gt_i32_e32 vcc_lo, 0, v7
	buffer_gl0_inv
	v_cndmask_b32_e32 v7, v7, v126, vcc_lo
	v_lshlrev_b32_e32 v127, 2, v7
	ds_bpermute_b32 v5, v127, v5
	s_and_saveexec_b32 s19, s7
	s_cbranch_execz .LBB707_684
; %bb.683:                              ;   in Loop: Header=BB707_12 Depth=1
	s_waitcnt lgkmcnt(0)
	v_cndmask_b32_e64 v5, v5, v6, s18
	v_add_nc_u32_e32 v5, s60, v5
	ds_write_b32 v73, v5
.LBB707_684:                            ;   in Loop: Header=BB707_12 Depth=1
	s_or_b32 exec_lo, exec_lo, s19
	s_load_dwordx2 s[20:21], s[58:59], 0x0
	v_lshlrev_b32_e32 v8, 3, v126
	v_and_b32_e32 v7, 7, v126
	v_or_b32_e32 v128, v126, v97
	s_mov_b32 s63, s62
	s_mov_b32 s56, s60
	v_add_co_u32 v129, vcc_lo, v115, v8
	v_add_co_ci_u32_e64 v130, null, 0, v116, vcc_lo
	v_add_co_u32 v146, vcc_lo, v117, v8
	v_or_b32_e32 v131, 32, v128
	v_or_b32_e32 v132, 64, v128
	;; [unrolled: 1-line block ×8, first 2 shown]
	s_waitcnt lgkmcnt(0)
	s_cmp_lt_u32 s27, s21
	v_or_b32_e32 v139, 0x120, v128
	s_cselect_b32 s19, 14, 20
	v_or_b32_e32 v140, 0x140, v128
	s_add_u32 s22, s58, s19
	s_addc_u32 s23, s59, 0
	s_cmp_lt_u32 s6, s20
	global_load_ushort v5, v3, s[22:23]
	s_cselect_b32 s19, 12, 18
	v_or_b32_e32 v141, 0x160, v128
	s_add_u32 s20, s58, s19
	s_addc_u32 s21, s59, 0
	v_cmp_eq_u32_e64 s19, 0, v7
	global_load_ushort v6, v3, s[20:21]
	v_cmp_lt_u32_e64 s20, 1, v7
	v_cmp_lt_u32_e64 s21, 3, v7
	v_or_b32_e32 v142, 0x180, v128
	v_or_b32_e32 v143, 0x1a0, v128
	;; [unrolled: 1-line block ×4, first 2 shown]
	v_add_co_ci_u32_e64 v147, null, 0, v118, vcc_lo
                                        ; implicit-def: $vgpr7_vgpr8
                                        ; implicit-def: $vgpr9_vgpr10
                                        ; implicit-def: $vgpr11_vgpr12
                                        ; implicit-def: $vgpr13_vgpr14
                                        ; implicit-def: $vgpr17_vgpr18
                                        ; implicit-def: $vgpr21_vgpr22
                                        ; implicit-def: $vgpr25_vgpr26
                                        ; implicit-def: $vgpr15_vgpr16
                                        ; implicit-def: $vgpr19_vgpr20
                                        ; implicit-def: $vgpr23_vgpr24
                                        ; implicit-def: $vgpr27_vgpr28
                                        ; implicit-def: $vgpr29_vgpr30
                                        ; implicit-def: $vgpr31_vgpr32
                                        ; implicit-def: $vgpr33_vgpr34
                                        ; implicit-def: $vgpr35_vgpr36
                                        ; implicit-def: $vgpr149
                                        ; implicit-def: $vgpr150
                                        ; implicit-def: $vgpr151
                                        ; implicit-def: $vgpr152
                                        ; implicit-def: $vgpr153
                                        ; implicit-def: $vgpr154
                                        ; implicit-def: $vgpr155
                                        ; implicit-def: $vgpr156
                                        ; implicit-def: $vgpr157
                                        ; implicit-def: $vgpr158
                                        ; implicit-def: $vgpr159
                                        ; implicit-def: $vgpr160
                                        ; implicit-def: $vgpr161
                                        ; implicit-def: $vgpr162
                                        ; implicit-def: $vgpr164
                                        ; implicit-def: $vgpr165
                                        ; implicit-def: $vgpr163
                                        ; implicit-def: $vgpr166
	s_waitcnt vmcnt(1)
	v_mad_u32_u24 v5, v2, v5, v1
	s_waitcnt vmcnt(0)
	v_mad_u64_u32 v[5:6], null, v5, v6, v[0:1]
	v_lshrrev_b32_e32 v5, 3, v5
	v_and_b32_e32 v148, 0x1ffffffc, v5
                                        ; implicit-def: $vgpr5_vgpr6
	s_branch .LBB707_686
.LBB707_685:                            ;   in Loop: Header=BB707_686 Depth=2
	s_or_b32 exec_lo, exec_lo, s22
	s_addk_i32 s63, 0xf000
	s_cmp_lt_u32 s64, s61
	s_mov_b32 s56, s64
	s_cbranch_scc0 .LBB707_896
.LBB707_686:                            ;   Parent Loop BB707_12 Depth=1
                                        ; =>  This Inner Loop Header: Depth=2
	s_add_i32 s64, s56, 0x1000
	s_cmp_gt_u32 s64, s61
	s_cbranch_scc1 .LBB707_688
; %bb.687:                              ;   in Loop: Header=BB707_686 Depth=2
	s_lshl_b64 s[22:23], s[56:57], 3
	v_add_co_u32 v37, vcc_lo, v146, s22
	v_add_co_ci_u32_e64 v38, null, s23, v147, vcc_lo
	v_add_co_u32 v45, vcc_lo, 0x800, v37
	v_add_co_ci_u32_e64 v46, null, 0, v38, vcc_lo
	s_clause 0xe
	global_load_dwordx2 v[39:40], v[37:38], off
	global_load_dwordx2 v[41:42], v[37:38], off offset:256
	global_load_dwordx2 v[43:44], v[37:38], off offset:512
	;; [unrolled: 1-line block ×7, first 2 shown]
	global_load_dwordx2 v[67:68], v[45:46], off
	global_load_dwordx2 v[63:64], v[45:46], off offset:256
	global_load_dwordx2 v[59:60], v[45:46], off offset:512
	;; [unrolled: 1-line block ×6, first 2 shown]
	s_mov_b32 s22, -1
	s_movk_i32 s23, 0x1000
	s_cbranch_execz .LBB707_689
	s_branch .LBB707_720
.LBB707_688:                            ;   in Loop: Header=BB707_686 Depth=2
	s_mov_b32 s22, 0
                                        ; implicit-def: $vgpr39_vgpr40
                                        ; implicit-def: $vgpr41_vgpr42
                                        ; implicit-def: $vgpr43_vgpr44
                                        ; implicit-def: $vgpr47_vgpr48
                                        ; implicit-def: $vgpr53_vgpr54
                                        ; implicit-def: $vgpr57_vgpr58
                                        ; implicit-def: $vgpr61_vgpr62
                                        ; implicit-def: $vgpr65_vgpr66
                                        ; implicit-def: $vgpr67_vgpr68
                                        ; implicit-def: $vgpr63_vgpr64
                                        ; implicit-def: $vgpr59_vgpr60
                                        ; implicit-def: $vgpr55_vgpr56
                                        ; implicit-def: $vgpr51_vgpr52
                                        ; implicit-def: $vgpr49_vgpr50
                                        ; implicit-def: $vgpr45_vgpr46
	s_movk_i32 s23, 0x1000
.LBB707_689:                            ;   in Loop: Header=BB707_686 Depth=2
	s_waitcnt vmcnt(13)
	v_mov_b32_e32 v41, v3
	v_mov_b32_e32 v42, v4
	s_lshl_b64 s[22:23], s[56:57], 3
	v_add_co_u32 v37, vcc_lo, v146, s22
	v_mov_b32_e32 v39, v41
	v_add_co_ci_u32_e64 v38, null, s23, v147, vcc_lo
	v_mov_b32_e32 v40, v42
	s_mov_b32 s22, exec_lo
	v_cmpx_gt_u32_e64 s63, v128
	s_cbranch_execz .LBB707_691
; %bb.690:                              ;   in Loop: Header=BB707_686 Depth=2
	global_load_dwordx2 v[39:40], v[37:38], off
.LBB707_691:                            ;   in Loop: Header=BB707_686 Depth=2
	s_or_b32 exec_lo, exec_lo, s22
	s_mov_b32 s22, exec_lo
	v_cmpx_gt_u32_e64 s63, v131
	s_cbranch_execz .LBB707_693
; %bb.692:                              ;   in Loop: Header=BB707_686 Depth=2
	global_load_dwordx2 v[41:42], v[37:38], off offset:256
.LBB707_693:                            ;   in Loop: Header=BB707_686 Depth=2
	s_or_b32 exec_lo, exec_lo, s22
	s_waitcnt vmcnt(12)
	v_mov_b32_e32 v44, v4
	v_mov_b32_e32 v43, v3
	s_mov_b32 s22, exec_lo
	v_cmpx_gt_u32_e64 s63, v132
	s_cbranch_execz .LBB707_695
; %bb.694:                              ;   in Loop: Header=BB707_686 Depth=2
	global_load_dwordx2 v[43:44], v[37:38], off offset:512
.LBB707_695:                            ;   in Loop: Header=BB707_686 Depth=2
	s_or_b32 exec_lo, exec_lo, s22
	s_waitcnt vmcnt(11)
	v_mov_b32_e32 v48, v4
	v_mov_b32_e32 v47, v3
	;; [unrolled: 10-line block ×7, first 2 shown]
	s_mov_b32 s22, exec_lo
	v_cmpx_gt_u32_e64 s63, v138
	s_cbranch_execz .LBB707_707
; %bb.706:                              ;   in Loop: Header=BB707_686 Depth=2
	s_waitcnt vmcnt(0)
	v_add_co_u32 v45, vcc_lo, 0x800, v37
	v_add_co_ci_u32_e64 v46, null, 0, v38, vcc_lo
	global_load_dwordx2 v[67:68], v[45:46], off
.LBB707_707:                            ;   in Loop: Header=BB707_686 Depth=2
	s_or_b32 exec_lo, exec_lo, s22
	s_waitcnt vmcnt(5)
	v_mov_b32_e32 v64, v4
	v_mov_b32_e32 v63, v3
	s_mov_b32 s22, exec_lo
	v_cmpx_gt_u32_e64 s63, v139
	s_cbranch_execz .LBB707_709
; %bb.708:                              ;   in Loop: Header=BB707_686 Depth=2
	s_waitcnt vmcnt(0)
	v_add_co_u32 v45, vcc_lo, 0x800, v37
	v_add_co_ci_u32_e64 v46, null, 0, v38, vcc_lo
	global_load_dwordx2 v[63:64], v[45:46], off offset:256
.LBB707_709:                            ;   in Loop: Header=BB707_686 Depth=2
	s_or_b32 exec_lo, exec_lo, s22
	s_waitcnt vmcnt(4)
	v_mov_b32_e32 v60, v4
	v_mov_b32_e32 v59, v3
	s_mov_b32 s22, exec_lo
	v_cmpx_gt_u32_e64 s63, v140
	s_cbranch_execz .LBB707_711
; %bb.710:                              ;   in Loop: Header=BB707_686 Depth=2
	s_waitcnt vmcnt(0)
	v_add_co_u32 v45, vcc_lo, 0x800, v37
	v_add_co_ci_u32_e64 v46, null, 0, v38, vcc_lo
	global_load_dwordx2 v[59:60], v[45:46], off offset:512
.LBB707_711:                            ;   in Loop: Header=BB707_686 Depth=2
	;; [unrolled: 13-line block ×5, first 2 shown]
	s_or_b32 exec_lo, exec_lo, s22
	s_waitcnt vmcnt(0)
	v_mov_b32_e32 v46, v4
	v_mov_b32_e32 v45, v3
	s_mov_b32 s22, exec_lo
	v_cmpx_gt_u32_e64 s63, v144
	s_cbranch_execz .LBB707_719
; %bb.718:                              ;   in Loop: Header=BB707_686 Depth=2
	v_add_co_u32 v37, vcc_lo, 0x800, v37
	v_add_co_ci_u32_e64 v38, null, 0, v38, vcc_lo
	global_load_dwordx2 v[45:46], v[37:38], off offset:1536
.LBB707_719:                            ;   in Loop: Header=BB707_686 Depth=2
	s_or_b32 exec_lo, exec_lo, s22
	v_cmp_gt_u32_e64 s22, s63, v145
	s_sub_i32 s23, s61, s56
.LBB707_720:                            ;   in Loop: Header=BB707_686 Depth=2
	v_mov_b32_e32 v37, -1
	v_mov_b32_e32 v38, -1
	v_mov_b32_e32 v167, s63
	s_and_saveexec_b32 s24, s22
	s_cbranch_execz .LBB707_722
; %bb.721:                              ;   in Loop: Header=BB707_686 Depth=2
	s_lshl_b64 s[28:29], s[56:57], 3
	v_mov_b32_e32 v167, s23
	v_add_co_u32 v37, vcc_lo, v146, s28
	v_add_co_ci_u32_e64 v38, null, s29, v147, vcc_lo
	v_add_co_u32 v37, vcc_lo, 0x800, v37
	v_add_co_ci_u32_e64 v38, null, 0, v38, vcc_lo
	global_load_dwordx2 v[37:38], v[37:38], off offset:1792
	s_waitcnt vmcnt(0)
	v_xor_b32_e32 v38, 0x7fffffff, v38
	v_not_b32_e32 v37, v37
.LBB707_722:                            ;   in Loop: Header=BB707_686 Depth=2
	s_or_b32 exec_lo, exec_lo, s24
	s_waitcnt vmcnt(14)
	v_xor_b32_e32 v40, 0x7fffffff, v40
	v_not_b32_e32 v39, v39
	ds_write2_b32 v98, v3, v3 offset0:136 offset1:137
	ds_write2_b32 v98, v3, v3 offset0:138 offset1:139
	ds_write_b32 v98, v3 offset:560
	s_waitcnt vmcnt(0) lgkmcnt(0)
	s_barrier
	v_lshrrev_b64 v[69:70], s46, v[39:40]
	buffer_gl0_inv
	; wave barrier
	v_and_b32_e32 v70, s52, v69
	v_and_b32_e32 v69, 1, v70
	v_lshlrev_b32_e32 v71, 30, v70
	v_lshlrev_b32_e32 v72, 29, v70
	;; [unrolled: 1-line block ×4, first 2 shown]
	v_add_co_u32 v69, s22, v69, -1
	v_cndmask_b32_e64 v168, 0, 1, s22
	v_not_b32_e32 v172, v71
	v_cmp_gt_i32_e64 s22, 0, v71
	v_not_b32_e32 v71, v72
	v_lshlrev_b32_e32 v171, 26, v70
	v_cmp_ne_u32_e32 vcc_lo, 0, v168
	v_ashrrev_i32_e32 v172, 31, v172
	v_lshlrev_b32_e32 v168, 25, v70
	v_ashrrev_i32_e32 v71, 31, v71
	v_mul_u32_u24_e32 v70, 36, v70
	v_xor_b32_e32 v69, vcc_lo, v69
	v_cmp_gt_i32_e32 vcc_lo, 0, v72
	v_not_b32_e32 v72, v169
	v_xor_b32_e32 v172, s22, v172
	v_cmp_gt_i32_e64 s22, 0, v169
	v_and_b32_e32 v69, exec_lo, v69
	v_not_b32_e32 v169, v170
	v_ashrrev_i32_e32 v72, 31, v72
	v_xor_b32_e32 v71, vcc_lo, v71
	v_cmp_gt_i32_e32 vcc_lo, 0, v170
	v_and_b32_e32 v69, v69, v172
	v_not_b32_e32 v170, v171
	v_ashrrev_i32_e32 v169, 31, v169
	v_xor_b32_e32 v72, s22, v72
	v_cmp_gt_i32_e64 s22, 0, v171
	v_and_b32_e32 v69, v69, v71
	v_not_b32_e32 v71, v168
	v_ashrrev_i32_e32 v170, 31, v170
	v_xor_b32_e32 v169, vcc_lo, v169
	v_cmp_gt_i32_e32 vcc_lo, 0, v168
	v_and_b32_e32 v69, v69, v72
	v_ashrrev_i32_e32 v71, 31, v71
	v_xor_b32_e32 v72, s22, v170
	v_and_b32_e32 v69, v69, v169
	v_xor_b32_e32 v71, vcc_lo, v71
	v_add_nc_u32_e32 v169, v148, v70
	v_and_b32_e32 v69, v69, v72
	v_and_b32_e32 v69, v69, v71
	v_mbcnt_lo_u32_b32 v168, v69, 0
	v_cmp_ne_u32_e64 s22, 0, v69
	v_cmp_eq_u32_e32 vcc_lo, 0, v168
	s_and_b32 s23, s22, vcc_lo
	s_and_saveexec_b32 s22, s23
; %bb.723:                              ;   in Loop: Header=BB707_686 Depth=2
	v_bcnt_u32_b32 v69, v69, 0
	ds_write_b32 v169, v69 offset:544
; %bb.724:                              ;   in Loop: Header=BB707_686 Depth=2
	s_or_b32 exec_lo, exec_lo, s22
	v_xor_b32_e32 v42, 0x7fffffff, v42
	v_not_b32_e32 v41, v41
	; wave barrier
	v_lshrrev_b64 v[69:70], s46, v[41:42]
	v_and_b32_e32 v70, s52, v69
	v_and_b32_e32 v69, 1, v70
	v_lshlrev_b32_e32 v71, 30, v70
	v_lshlrev_b32_e32 v72, 29, v70
	v_lshlrev_b32_e32 v171, 28, v70
	v_lshlrev_b32_e32 v172, 27, v70
	v_add_co_u32 v69, s22, v69, -1
	v_cndmask_b32_e64 v170, 0, 1, s22
	v_not_b32_e32 v174, v71
	v_cmp_gt_i32_e64 s22, 0, v71
	v_not_b32_e32 v71, v72
	v_lshlrev_b32_e32 v173, 26, v70
	v_cmp_ne_u32_e32 vcc_lo, 0, v170
	v_ashrrev_i32_e32 v174, 31, v174
	v_lshlrev_b32_e32 v170, 25, v70
	v_ashrrev_i32_e32 v71, 31, v71
	v_xor_b32_e32 v69, vcc_lo, v69
	v_cmp_gt_i32_e32 vcc_lo, 0, v72
	v_not_b32_e32 v72, v171
	v_xor_b32_e32 v174, s22, v174
	v_cmp_gt_i32_e64 s22, 0, v171
	v_and_b32_e32 v69, exec_lo, v69
	v_not_b32_e32 v171, v172
	v_ashrrev_i32_e32 v72, 31, v72
	v_xor_b32_e32 v71, vcc_lo, v71
	v_cmp_gt_i32_e32 vcc_lo, 0, v172
	v_and_b32_e32 v69, v69, v174
	v_not_b32_e32 v172, v173
	v_ashrrev_i32_e32 v171, 31, v171
	v_xor_b32_e32 v72, s22, v72
	v_cmp_gt_i32_e64 s22, 0, v173
	v_and_b32_e32 v69, v69, v71
	v_not_b32_e32 v71, v170
	v_ashrrev_i32_e32 v172, 31, v172
	v_xor_b32_e32 v171, vcc_lo, v171
	v_cmp_gt_i32_e32 vcc_lo, 0, v170
	v_and_b32_e32 v69, v69, v72
	v_ashrrev_i32_e32 v71, 31, v71
	v_xor_b32_e32 v72, s22, v172
	v_mad_u32_u24 v170, v70, 36, v148
	v_mul_u32_u24_e32 v70, 36, v70
	v_and_b32_e32 v69, v69, v171
	v_xor_b32_e32 v71, vcc_lo, v71
	ds_read_b32 v170, v170 offset:544
	v_add_nc_u32_e32 v172, v148, v70
	v_and_b32_e32 v69, v69, v72
	; wave barrier
	v_and_b32_e32 v69, v69, v71
	v_mbcnt_lo_u32_b32 v171, v69, 0
	v_cmp_ne_u32_e64 s22, 0, v69
	v_cmp_eq_u32_e32 vcc_lo, 0, v171
	s_and_b32 s23, s22, vcc_lo
	s_and_saveexec_b32 s22, s23
	s_cbranch_execz .LBB707_726
; %bb.725:                              ;   in Loop: Header=BB707_686 Depth=2
	s_waitcnt lgkmcnt(0)
	v_bcnt_u32_b32 v69, v69, v170
	ds_write_b32 v172, v69 offset:544
.LBB707_726:                            ;   in Loop: Header=BB707_686 Depth=2
	s_or_b32 exec_lo, exec_lo, s22
	v_xor_b32_e32 v44, 0x7fffffff, v44
	v_not_b32_e32 v43, v43
	; wave barrier
	v_lshrrev_b64 v[69:70], s46, v[43:44]
	v_and_b32_e32 v70, s52, v69
	v_and_b32_e32 v69, 1, v70
	v_lshlrev_b32_e32 v71, 30, v70
	v_lshlrev_b32_e32 v72, 29, v70
	v_lshlrev_b32_e32 v174, 28, v70
	v_lshlrev_b32_e32 v175, 27, v70
	v_add_co_u32 v69, s22, v69, -1
	v_cndmask_b32_e64 v173, 0, 1, s22
	v_not_b32_e32 v177, v71
	v_cmp_gt_i32_e64 s22, 0, v71
	v_not_b32_e32 v71, v72
	v_lshlrev_b32_e32 v176, 26, v70
	v_cmp_ne_u32_e32 vcc_lo, 0, v173
	v_ashrrev_i32_e32 v177, 31, v177
	v_lshlrev_b32_e32 v173, 25, v70
	v_ashrrev_i32_e32 v71, 31, v71
	v_xor_b32_e32 v69, vcc_lo, v69
	v_cmp_gt_i32_e32 vcc_lo, 0, v72
	v_not_b32_e32 v72, v174
	v_xor_b32_e32 v177, s22, v177
	v_cmp_gt_i32_e64 s22, 0, v174
	v_and_b32_e32 v69, exec_lo, v69
	v_not_b32_e32 v174, v175
	v_ashrrev_i32_e32 v72, 31, v72
	v_xor_b32_e32 v71, vcc_lo, v71
	v_cmp_gt_i32_e32 vcc_lo, 0, v175
	v_and_b32_e32 v69, v69, v177
	v_not_b32_e32 v175, v176
	v_ashrrev_i32_e32 v174, 31, v174
	v_xor_b32_e32 v72, s22, v72
	v_cmp_gt_i32_e64 s22, 0, v176
	v_and_b32_e32 v69, v69, v71
	v_not_b32_e32 v71, v173
	v_ashrrev_i32_e32 v175, 31, v175
	v_xor_b32_e32 v174, vcc_lo, v174
	v_cmp_gt_i32_e32 vcc_lo, 0, v173
	v_and_b32_e32 v69, v69, v72
	v_ashrrev_i32_e32 v71, 31, v71
	v_xor_b32_e32 v72, s22, v175
	v_mad_u32_u24 v173, v70, 36, v148
	v_mul_u32_u24_e32 v70, 36, v70
	v_and_b32_e32 v69, v69, v174
	v_xor_b32_e32 v71, vcc_lo, v71
	ds_read_b32 v173, v173 offset:544
	v_add_nc_u32_e32 v175, v148, v70
	v_and_b32_e32 v69, v69, v72
	; wave barrier
	v_and_b32_e32 v69, v69, v71
	v_mbcnt_lo_u32_b32 v174, v69, 0
	v_cmp_ne_u32_e64 s22, 0, v69
	v_cmp_eq_u32_e32 vcc_lo, 0, v174
	s_and_b32 s23, s22, vcc_lo
	s_and_saveexec_b32 s22, s23
	s_cbranch_execz .LBB707_728
; %bb.727:                              ;   in Loop: Header=BB707_686 Depth=2
	s_waitcnt lgkmcnt(0)
	v_bcnt_u32_b32 v69, v69, v173
	ds_write_b32 v175, v69 offset:544
.LBB707_728:                            ;   in Loop: Header=BB707_686 Depth=2
	;; [unrolled: 64-line block ×14, first 2 shown]
	s_or_b32 exec_lo, exec_lo, s22
	v_lshrrev_b64 v[69:70], s46, v[37:38]
	; wave barrier
	v_and_b32_e32 v70, s52, v69
	v_and_b32_e32 v69, 1, v70
	v_lshlrev_b32_e32 v71, 30, v70
	v_lshlrev_b32_e32 v72, 29, v70
	;; [unrolled: 1-line block ×4, first 2 shown]
	v_add_co_u32 v69, s22, v69, -1
	v_cndmask_b32_e64 v211, 0, 1, s22
	v_not_b32_e32 v216, v71
	v_cmp_gt_i32_e64 s22, 0, v71
	v_not_b32_e32 v71, v72
	v_lshlrev_b32_e32 v215, 26, v70
	v_cmp_ne_u32_e32 vcc_lo, 0, v211
	v_ashrrev_i32_e32 v216, 31, v216
	v_lshlrev_b32_e32 v211, 25, v70
	v_ashrrev_i32_e32 v71, 31, v71
	v_xor_b32_e32 v69, vcc_lo, v69
	v_cmp_gt_i32_e32 vcc_lo, 0, v72
	v_not_b32_e32 v72, v212
	v_xor_b32_e32 v216, s22, v216
	v_cmp_gt_i32_e64 s22, 0, v212
	v_and_b32_e32 v69, exec_lo, v69
	v_not_b32_e32 v212, v214
	v_ashrrev_i32_e32 v72, 31, v72
	v_xor_b32_e32 v71, vcc_lo, v71
	v_cmp_gt_i32_e32 vcc_lo, 0, v214
	v_and_b32_e32 v69, v69, v216
	v_not_b32_e32 v214, v215
	v_ashrrev_i32_e32 v212, 31, v212
	v_xor_b32_e32 v72, s22, v72
	v_cmp_gt_i32_e64 s22, 0, v215
	v_and_b32_e32 v69, v69, v71
	v_not_b32_e32 v71, v211
	v_ashrrev_i32_e32 v214, 31, v214
	v_xor_b32_e32 v212, vcc_lo, v212
	v_cmp_gt_i32_e32 vcc_lo, 0, v211
	v_and_b32_e32 v69, v69, v72
	v_ashrrev_i32_e32 v71, 31, v71
	v_xor_b32_e32 v72, s22, v214
	v_mad_u32_u24 v211, v70, 36, v148
	v_mul_u32_u24_e32 v70, 36, v70
	v_and_b32_e32 v69, v69, v212
	v_xor_b32_e32 v71, vcc_lo, v71
	ds_read_b32 v211, v211 offset:544
	v_add_nc_u32_e32 v214, v148, v70
	v_and_b32_e32 v69, v69, v72
	; wave barrier
	v_and_b32_e32 v69, v69, v71
	v_mbcnt_lo_u32_b32 v212, v69, 0
	v_cmp_ne_u32_e64 s22, 0, v69
	v_cmp_eq_u32_e32 vcc_lo, 0, v212
	s_and_b32 s23, s22, vcc_lo
	s_and_saveexec_b32 s22, s23
	s_cbranch_execz .LBB707_754
; %bb.753:                              ;   in Loop: Header=BB707_686 Depth=2
	s_waitcnt lgkmcnt(0)
	v_bcnt_u32_b32 v69, v69, v211
	ds_write_b32 v214, v69 offset:544
.LBB707_754:                            ;   in Loop: Header=BB707_686 Depth=2
	s_or_b32 exec_lo, exec_lo, s22
	; wave barrier
	s_waitcnt lgkmcnt(0)
	s_barrier
	buffer_gl0_inv
	ds_read2_b32 v[71:72], v98 offset0:136 offset1:137
	ds_read2_b32 v[69:70], v98 offset0:138 offset1:139
	ds_read_b32 v215, v98 offset:560
	s_waitcnt lgkmcnt(1)
	v_add3_u32 v216, v72, v71, v69
	s_waitcnt lgkmcnt(0)
	v_add3_u32 v215, v216, v70, v215
	v_mov_b32_dpp v216, v215 row_shr:1 row_mask:0xf bank_mask:0xf
	v_cndmask_b32_e64 v216, v216, 0, s5
	v_add_nc_u32_e32 v215, v216, v215
	v_mov_b32_dpp v216, v215 row_shr:2 row_mask:0xf bank_mask:0xf
	v_cndmask_b32_e64 v216, 0, v216, s14
	v_add_nc_u32_e32 v215, v215, v216
	;; [unrolled: 3-line block ×4, first 2 shown]
	ds_swizzle_b32 v216, v215 offset:swizzle(BROADCAST,32,15)
	s_waitcnt lgkmcnt(0)
	v_cndmask_b32_e64 v216, v216, 0, s17
	v_add_nc_u32_e32 v215, v215, v216
	s_and_saveexec_b32 s22, s4
; %bb.755:                              ;   in Loop: Header=BB707_686 Depth=2
	ds_write_b32 v92, v215 offset:512
; %bb.756:                              ;   in Loop: Header=BB707_686 Depth=2
	s_or_b32 exec_lo, exec_lo, s22
	s_waitcnt lgkmcnt(0)
	s_barrier
	buffer_gl0_inv
	s_and_saveexec_b32 s22, s11
	s_cbranch_execz .LBB707_758
; %bb.757:                              ;   in Loop: Header=BB707_686 Depth=2
	ds_read_b32 v216, v99 offset:512
	s_waitcnt lgkmcnt(0)
	v_mov_b32_dpp v217, v216 row_shr:1 row_mask:0xf bank_mask:0xf
	v_cndmask_b32_e64 v217, v217, 0, s19
	v_add_nc_u32_e32 v216, v217, v216
	v_mov_b32_dpp v217, v216 row_shr:2 row_mask:0xf bank_mask:0xf
	v_cndmask_b32_e64 v217, 0, v217, s20
	v_add_nc_u32_e32 v216, v216, v217
	;; [unrolled: 3-line block ×3, first 2 shown]
	ds_write_b32 v99, v216 offset:512
.LBB707_758:                            ;   in Loop: Header=BB707_686 Depth=2
	s_or_b32 exec_lo, exec_lo, s22
	v_mov_b32_e32 v216, 0
	s_waitcnt lgkmcnt(0)
	s_barrier
	buffer_gl0_inv
	s_and_saveexec_b32 s22, s10
; %bb.759:                              ;   in Loop: Header=BB707_686 Depth=2
	ds_read_b32 v216, v92 offset:508
; %bb.760:                              ;   in Loop: Header=BB707_686 Depth=2
	s_or_b32 exec_lo, exec_lo, s22
	s_waitcnt lgkmcnt(0)
	v_add_nc_u32_e32 v215, v216, v215
	ds_bpermute_b32 v215, v127, v215
	s_waitcnt lgkmcnt(0)
	v_cndmask_b32_e64 v215, v215, v216, s18
	v_cndmask_b32_e64 v215, v215, 0, s12
	v_add_nc_u32_e32 v71, v215, v71
	v_add_nc_u32_e32 v72, v71, v72
	;; [unrolled: 1-line block ×4, first 2 shown]
	ds_write2_b32 v98, v215, v71 offset0:136 offset1:137
	ds_write2_b32 v98, v72, v69 offset0:138 offset1:139
	ds_write_b32 v98, v70 offset:560
	s_waitcnt lgkmcnt(0)
	s_barrier
	buffer_gl0_inv
	ds_read_b32 v69, v169 offset:544
	ds_read_b32 v219, v172 offset:544
	;; [unrolled: 1-line block ×16, first 2 shown]
	s_and_saveexec_b32 s22, s7
	s_cbranch_execz .LBB707_764
; %bb.761:                              ;   in Loop: Header=BB707_686 Depth=2
	ds_read_b32 v163, v101 offset:544
	v_mov_b32_e32 v166, 0x1000
	s_and_saveexec_b32 s23, s13
; %bb.762:                              ;   in Loop: Header=BB707_686 Depth=2
	ds_read_b32 v166, v100 offset:544
; %bb.763:                              ;   in Loop: Header=BB707_686 Depth=2
	s_or_b32 exec_lo, exec_lo, s23
	s_waitcnt lgkmcnt(0)
	v_sub_nc_u32_e32 v166, v166, v163
.LBB707_764:                            ;   in Loop: Header=BB707_686 Depth=2
	s_or_b32 exec_lo, exec_lo, s22
	s_waitcnt lgkmcnt(0)
	s_barrier
	buffer_gl0_inv
	s_and_saveexec_b32 s22, s7
	s_cbranch_execz .LBB707_766
; %bb.765:                              ;   in Loop: Header=BB707_686 Depth=2
	ds_read_b32 v191, v73
	s_waitcnt lgkmcnt(0)
	v_sub_nc_u32_e32 v191, v191, v163
	ds_write_b32 v73, v191
.LBB707_766:                            ;   in Loop: Header=BB707_686 Depth=2
	s_or_b32 exec_lo, exec_lo, s22
	v_lshlrev_b32_e32 v168, 3, v168
	v_lshlrev_b32_e32 v171, 3, v171
	;; [unrolled: 1-line block ×5, first 2 shown]
	v_lshl_add_u32 v69, v69, 3, v168
	v_lshlrev_b32_e32 v168, 3, v173
	v_lshlrev_b32_e32 v173, 3, v70
	;; [unrolled: 1-line block ×3, first 2 shown]
	v_add3_u32 v70, v171, v170, v191
	ds_write_b64 v69, v[39:40] offset:512
	v_lshlrev_b32_e32 v40, 3, v176
	v_lshlrev_b32_e32 v170, 3, v218
	;; [unrolled: 1-line block ×8, first 2 shown]
	ds_write_b64 v70, v[41:42] offset:512
	v_add3_u32 v39, v174, v168, v173
	v_add3_u32 v40, v177, v40, v170
	;; [unrolled: 1-line block ×3, first 2 shown]
	v_lshlrev_b32_e32 v168, 3, v186
	v_lshlrev_b32_e32 v170, 3, v185
	;; [unrolled: 1-line block ×3, first 2 shown]
	v_add3_u32 v42, v180, v182, v183
	ds_write_b64 v39, v[43:44] offset:512
	ds_write_b64 v40, v[47:48] offset:512
	;; [unrolled: 1-line block ×4, first 2 shown]
	v_lshlrev_b32_e32 v44, 3, v189
	v_add3_u32 v43, v168, v170, v171
	v_lshlrev_b32_e32 v47, 3, v188
	v_lshlrev_b32_e32 v48, 3, v187
	;; [unrolled: 1-line block ×11, first 2 shown]
	v_add3_u32 v44, v44, v47, v48
	v_add3_u32 v47, v53, v54, v57
	;; [unrolled: 1-line block ×3, first 2 shown]
	v_lshlrev_b32_e32 v54, 3, v200
	v_lshlrev_b32_e32 v57, 3, v199
	;; [unrolled: 1-line block ×3, first 2 shown]
	v_add3_u32 v53, v171, v173, v174
	ds_write_b64 v43, v[61:62] offset:512
	ds_write_b64 v44, v[65:66] offset:512
	;; [unrolled: 1-line block ×5, first 2 shown]
	v_lshlrev_b32_e32 v59, 3, v172
	v_add3_u32 v54, v54, v57, v58
	v_lshlrev_b32_e32 v57, 3, v203
	v_lshlrev_b32_e32 v58, 3, v202
	;; [unrolled: 1-line block ×11, first 2 shown]
	v_add3_u32 v57, v57, v58, v59
	v_add3_u32 v58, v60, v61, v62
	;; [unrolled: 1-line block ×3, first 2 shown]
	ds_write_b64 v54, v[55:56] offset:512
	v_add3_u32 v55, v66, v67, v68
	v_cmp_lt_u32_e32 vcc_lo, v0, v167
	ds_write_b64 v57, v[51:52] offset:512
	ds_write_b64 v58, v[49:50] offset:512
	;; [unrolled: 1-line block ×4, first 2 shown]
	s_waitcnt lgkmcnt(0)
	s_barrier
	buffer_gl0_inv
	s_and_saveexec_b32 s23, vcc_lo
	s_cbranch_execnz .LBB707_835
; %bb.767:                              ;   in Loop: Header=BB707_686 Depth=2
	s_or_b32 exec_lo, exec_lo, s23
	v_cmp_lt_u32_e64 s22, v74, v167
	s_and_saveexec_b32 s24, s22
	s_cbranch_execnz .LBB707_836
.LBB707_768:                            ;   in Loop: Header=BB707_686 Depth=2
	s_or_b32 exec_lo, exec_lo, s24
	v_cmp_lt_u32_e64 s23, v77, v167
	s_and_saveexec_b32 s25, s23
	s_cbranch_execnz .LBB707_837
.LBB707_769:                            ;   in Loop: Header=BB707_686 Depth=2
	s_or_b32 exec_lo, exec_lo, s25
	v_cmp_lt_u32_e64 s24, v78, v167
	s_and_saveexec_b32 s26, s24
	s_cbranch_execnz .LBB707_838
.LBB707_770:                            ;   in Loop: Header=BB707_686 Depth=2
	s_or_b32 exec_lo, exec_lo, s26
	v_cmp_lt_u32_e64 s25, v79, v167
	s_and_saveexec_b32 s28, s25
	s_cbranch_execnz .LBB707_839
.LBB707_771:                            ;   in Loop: Header=BB707_686 Depth=2
	s_or_b32 exec_lo, exec_lo, s28
	v_cmp_lt_u32_e64 s26, v80, v167
	s_and_saveexec_b32 s29, s26
	s_cbranch_execnz .LBB707_840
.LBB707_772:                            ;   in Loop: Header=BB707_686 Depth=2
	s_or_b32 exec_lo, exec_lo, s29
	v_cmp_lt_u32_e64 s28, v81, v167
	s_and_saveexec_b32 s30, s28
	s_cbranch_execnz .LBB707_841
.LBB707_773:                            ;   in Loop: Header=BB707_686 Depth=2
	s_or_b32 exec_lo, exec_lo, s30
	v_cmp_lt_u32_e64 s29, v82, v167
	s_and_saveexec_b32 s31, s29
	s_cbranch_execnz .LBB707_842
.LBB707_774:                            ;   in Loop: Header=BB707_686 Depth=2
	s_or_b32 exec_lo, exec_lo, s31
	v_cmp_lt_u32_e64 s30, v83, v167
	s_and_saveexec_b32 s33, s30
	s_cbranch_execnz .LBB707_843
.LBB707_775:                            ;   in Loop: Header=BB707_686 Depth=2
	s_or_b32 exec_lo, exec_lo, s33
	v_cmp_lt_u32_e64 s31, v84, v167
	s_and_saveexec_b32 s34, s31
	s_cbranch_execnz .LBB707_844
.LBB707_776:                            ;   in Loop: Header=BB707_686 Depth=2
	s_or_b32 exec_lo, exec_lo, s34
	v_cmp_lt_u32_e64 s33, v85, v167
	s_and_saveexec_b32 s35, s33
	s_cbranch_execnz .LBB707_845
.LBB707_777:                            ;   in Loop: Header=BB707_686 Depth=2
	s_or_b32 exec_lo, exec_lo, s35
	v_cmp_lt_u32_e64 s34, v86, v167
	s_and_saveexec_b32 s36, s34
	s_cbranch_execnz .LBB707_846
.LBB707_778:                            ;   in Loop: Header=BB707_686 Depth=2
	s_or_b32 exec_lo, exec_lo, s36
	v_cmp_lt_u32_e64 s35, v87, v167
	s_and_saveexec_b32 s37, s35
	s_cbranch_execnz .LBB707_847
.LBB707_779:                            ;   in Loop: Header=BB707_686 Depth=2
	s_or_b32 exec_lo, exec_lo, s37
	v_cmp_lt_u32_e64 s36, v88, v167
	s_and_saveexec_b32 s38, s36
	s_cbranch_execnz .LBB707_848
.LBB707_780:                            ;   in Loop: Header=BB707_686 Depth=2
	s_or_b32 exec_lo, exec_lo, s38
	v_cmp_lt_u32_e64 s37, v89, v167
	s_and_saveexec_b32 s39, s37
	s_cbranch_execnz .LBB707_849
.LBB707_781:                            ;   in Loop: Header=BB707_686 Depth=2
	s_or_b32 exec_lo, exec_lo, s39
	v_cmp_lt_u32_e64 s38, v90, v167
	s_and_saveexec_b32 s65, s38
	s_cbranch_execz .LBB707_783
.LBB707_782:                            ;   in Loop: Header=BB707_686 Depth=2
	ds_read_b64 v[37:38], v106 offset:31232
	s_waitcnt lgkmcnt(0)
	v_lshrrev_b64 v[45:46], s46, v[37:38]
	v_mov_b32_e32 v46, v3
	v_xor_b32_e32 v38, 0x7fffffff, v38
	v_not_b32_e32 v37, v37
	v_and_b32_e32 v45, s52, v45
	v_lshlrev_b32_e32 v45, 2, v45
	ds_read_b32 v45, v45
	s_waitcnt lgkmcnt(0)
	v_add_nc_u32_e32 v45, v45, v90
	v_lshlrev_b64 v[45:46], 3, v[45:46]
	v_add_co_u32 v45, s39, s42, v45
	v_add_co_ci_u32_e64 v46, null, s43, v46, s39
	global_store_dwordx2 v[45:46], v[37:38], off
.LBB707_783:                            ;   in Loop: Header=BB707_686 Depth=2
	s_or_b32 exec_lo, exec_lo, s65
	s_lshl_b64 s[66:67], s[56:57], 3
	v_add_co_u32 v37, s39, v129, s66
	v_add_co_ci_u32_e64 v38, null, s67, v130, s39
	v_cmp_lt_u32_e64 s39, v128, v167
	s_and_saveexec_b32 s56, s39
	s_xor_b32 s39, exec_lo, s56
	s_cbranch_execnz .LBB707_850
; %bb.784:                              ;   in Loop: Header=BB707_686 Depth=2
	s_or_b32 exec_lo, exec_lo, s39
	s_mov_b32 s56, exec_lo
	v_cmpx_lt_u32_e64 v131, v167
	s_cbranch_execnz .LBB707_851
.LBB707_785:                            ;   in Loop: Header=BB707_686 Depth=2
	s_or_b32 exec_lo, exec_lo, s56
	s_mov_b32 s56, exec_lo
	v_cmpx_lt_u32_e64 v132, v167
	s_cbranch_execnz .LBB707_852
.LBB707_786:                            ;   in Loop: Header=BB707_686 Depth=2
	s_or_b32 exec_lo, exec_lo, s56
	s_mov_b32 s56, exec_lo
	v_cmpx_lt_u32_e64 v133, v167
	s_cbranch_execnz .LBB707_853
.LBB707_787:                            ;   in Loop: Header=BB707_686 Depth=2
	s_or_b32 exec_lo, exec_lo, s56
	s_mov_b32 s56, exec_lo
	v_cmpx_lt_u32_e64 v134, v167
	s_cbranch_execnz .LBB707_854
.LBB707_788:                            ;   in Loop: Header=BB707_686 Depth=2
	s_or_b32 exec_lo, exec_lo, s56
	s_mov_b32 s56, exec_lo
	v_cmpx_lt_u32_e64 v135, v167
	s_cbranch_execnz .LBB707_855
.LBB707_789:                            ;   in Loop: Header=BB707_686 Depth=2
	s_or_b32 exec_lo, exec_lo, s56
	s_mov_b32 s56, exec_lo
	v_cmpx_lt_u32_e64 v136, v167
	s_cbranch_execnz .LBB707_856
.LBB707_790:                            ;   in Loop: Header=BB707_686 Depth=2
	s_or_b32 exec_lo, exec_lo, s56
	s_mov_b32 s56, exec_lo
	v_cmpx_lt_u32_e64 v137, v167
	s_cbranch_execnz .LBB707_857
.LBB707_791:                            ;   in Loop: Header=BB707_686 Depth=2
	s_or_b32 exec_lo, exec_lo, s56
	s_mov_b32 s56, exec_lo
	v_cmpx_lt_u32_e64 v138, v167
	s_cbranch_execnz .LBB707_858
.LBB707_792:                            ;   in Loop: Header=BB707_686 Depth=2
	s_or_b32 exec_lo, exec_lo, s56
	s_mov_b32 s56, exec_lo
	v_cmpx_lt_u32_e64 v139, v167
	s_cbranch_execnz .LBB707_859
.LBB707_793:                            ;   in Loop: Header=BB707_686 Depth=2
	s_or_b32 exec_lo, exec_lo, s56
	s_mov_b32 s56, exec_lo
	v_cmpx_lt_u32_e64 v140, v167
	s_cbranch_execnz .LBB707_860
.LBB707_794:                            ;   in Loop: Header=BB707_686 Depth=2
	s_or_b32 exec_lo, exec_lo, s56
	s_mov_b32 s56, exec_lo
	v_cmpx_lt_u32_e64 v141, v167
	s_cbranch_execnz .LBB707_861
.LBB707_795:                            ;   in Loop: Header=BB707_686 Depth=2
	s_or_b32 exec_lo, exec_lo, s56
	s_mov_b32 s56, exec_lo
	v_cmpx_lt_u32_e64 v142, v167
	s_cbranch_execnz .LBB707_862
.LBB707_796:                            ;   in Loop: Header=BB707_686 Depth=2
	s_or_b32 exec_lo, exec_lo, s56
	s_mov_b32 s56, exec_lo
	v_cmpx_lt_u32_e64 v143, v167
	s_cbranch_execnz .LBB707_863
.LBB707_797:                            ;   in Loop: Header=BB707_686 Depth=2
	s_or_b32 exec_lo, exec_lo, s56
	s_mov_b32 s56, exec_lo
	v_cmpx_lt_u32_e64 v144, v167
	s_cbranch_execnz .LBB707_864
.LBB707_798:                            ;   in Loop: Header=BB707_686 Depth=2
	s_or_b32 exec_lo, exec_lo, s56
	s_mov_b32 s56, exec_lo
	v_cmpx_lt_u32_e64 v145, v167
	s_cbranch_execnz .LBB707_865
.LBB707_799:                            ;   in Loop: Header=BB707_686 Depth=2
	s_or_b32 exec_lo, exec_lo, s56
	s_and_saveexec_b32 s39, vcc_lo
	s_cbranch_execnz .LBB707_866
.LBB707_800:                            ;   in Loop: Header=BB707_686 Depth=2
	s_or_b32 exec_lo, exec_lo, s39
	s_and_saveexec_b32 s39, s22
	s_cbranch_execnz .LBB707_867
.LBB707_801:                            ;   in Loop: Header=BB707_686 Depth=2
	s_or_b32 exec_lo, exec_lo, s39
	s_and_saveexec_b32 s39, s23
	s_cbranch_execnz .LBB707_868
.LBB707_802:                            ;   in Loop: Header=BB707_686 Depth=2
	s_or_b32 exec_lo, exec_lo, s39
	s_and_saveexec_b32 s39, s24
	s_cbranch_execnz .LBB707_869
.LBB707_803:                            ;   in Loop: Header=BB707_686 Depth=2
	s_or_b32 exec_lo, exec_lo, s39
	s_and_saveexec_b32 s39, s25
	s_cbranch_execnz .LBB707_870
.LBB707_804:                            ;   in Loop: Header=BB707_686 Depth=2
	s_or_b32 exec_lo, exec_lo, s39
	s_and_saveexec_b32 s39, s26
	s_cbranch_execnz .LBB707_871
.LBB707_805:                            ;   in Loop: Header=BB707_686 Depth=2
	s_or_b32 exec_lo, exec_lo, s39
	s_and_saveexec_b32 s39, s28
	s_cbranch_execnz .LBB707_872
.LBB707_806:                            ;   in Loop: Header=BB707_686 Depth=2
	s_or_b32 exec_lo, exec_lo, s39
	s_and_saveexec_b32 s39, s29
	s_cbranch_execnz .LBB707_873
.LBB707_807:                            ;   in Loop: Header=BB707_686 Depth=2
	s_or_b32 exec_lo, exec_lo, s39
	s_and_saveexec_b32 s39, s30
	s_cbranch_execnz .LBB707_874
.LBB707_808:                            ;   in Loop: Header=BB707_686 Depth=2
	s_or_b32 exec_lo, exec_lo, s39
	s_and_saveexec_b32 s39, s31
	s_cbranch_execnz .LBB707_875
.LBB707_809:                            ;   in Loop: Header=BB707_686 Depth=2
	s_or_b32 exec_lo, exec_lo, s39
	s_and_saveexec_b32 s39, s33
	s_cbranch_execnz .LBB707_876
.LBB707_810:                            ;   in Loop: Header=BB707_686 Depth=2
	s_or_b32 exec_lo, exec_lo, s39
	s_and_saveexec_b32 s39, s34
	s_cbranch_execnz .LBB707_877
.LBB707_811:                            ;   in Loop: Header=BB707_686 Depth=2
	s_or_b32 exec_lo, exec_lo, s39
	s_and_saveexec_b32 s39, s35
	s_cbranch_execnz .LBB707_878
.LBB707_812:                            ;   in Loop: Header=BB707_686 Depth=2
	s_or_b32 exec_lo, exec_lo, s39
	s_and_saveexec_b32 s39, s36
	s_cbranch_execnz .LBB707_879
.LBB707_813:                            ;   in Loop: Header=BB707_686 Depth=2
	s_or_b32 exec_lo, exec_lo, s39
	s_and_saveexec_b32 s39, s37
	s_cbranch_execnz .LBB707_880
.LBB707_814:                            ;   in Loop: Header=BB707_686 Depth=2
	s_or_b32 exec_lo, exec_lo, s39
	s_and_saveexec_b32 s39, s38
	s_cbranch_execz .LBB707_816
.LBB707_815:                            ;   in Loop: Header=BB707_686 Depth=2
	ds_read_b64 v[37:38], v106 offset:31232
	s_waitcnt lgkmcnt(0)
	v_lshrrev_b64 v[37:38], s46, v[37:38]
	v_and_b32_e32 v149, s52, v37
.LBB707_816:                            ;   in Loop: Header=BB707_686 Depth=2
	s_or_b32 exec_lo, exec_lo, s39
	s_waitcnt vmcnt(0)
	s_waitcnt_vscnt null, 0x0
	s_barrier
	buffer_gl0_inv
	ds_write_b64 v69, v[35:36] offset:512
	ds_write_b64 v70, v[33:34] offset:512
	;; [unrolled: 1-line block ×16, first 2 shown]
	s_waitcnt lgkmcnt(0)
	s_barrier
	buffer_gl0_inv
	s_and_saveexec_b32 s39, vcc_lo
	s_cbranch_execnz .LBB707_881
; %bb.817:                              ;   in Loop: Header=BB707_686 Depth=2
	s_or_b32 exec_lo, exec_lo, s39
	s_and_saveexec_b32 s39, s22
	s_cbranch_execnz .LBB707_882
.LBB707_818:                            ;   in Loop: Header=BB707_686 Depth=2
	s_or_b32 exec_lo, exec_lo, s39
	s_and_saveexec_b32 s22, s23
	s_cbranch_execnz .LBB707_883
.LBB707_819:                            ;   in Loop: Header=BB707_686 Depth=2
	s_or_b32 exec_lo, exec_lo, s22
	s_and_saveexec_b32 s22, s24
	s_cbranch_execnz .LBB707_884
.LBB707_820:                            ;   in Loop: Header=BB707_686 Depth=2
	s_or_b32 exec_lo, exec_lo, s22
	s_and_saveexec_b32 s22, s25
	s_cbranch_execnz .LBB707_885
.LBB707_821:                            ;   in Loop: Header=BB707_686 Depth=2
	s_or_b32 exec_lo, exec_lo, s22
	s_and_saveexec_b32 s22, s26
	s_cbranch_execnz .LBB707_886
.LBB707_822:                            ;   in Loop: Header=BB707_686 Depth=2
	s_or_b32 exec_lo, exec_lo, s22
	s_and_saveexec_b32 s22, s28
	s_cbranch_execnz .LBB707_887
.LBB707_823:                            ;   in Loop: Header=BB707_686 Depth=2
	s_or_b32 exec_lo, exec_lo, s22
	s_and_saveexec_b32 s22, s29
	s_cbranch_execnz .LBB707_888
.LBB707_824:                            ;   in Loop: Header=BB707_686 Depth=2
	s_or_b32 exec_lo, exec_lo, s22
	s_and_saveexec_b32 s22, s30
	s_cbranch_execnz .LBB707_889
.LBB707_825:                            ;   in Loop: Header=BB707_686 Depth=2
	s_or_b32 exec_lo, exec_lo, s22
	s_and_saveexec_b32 s22, s31
	s_cbranch_execnz .LBB707_890
.LBB707_826:                            ;   in Loop: Header=BB707_686 Depth=2
	s_or_b32 exec_lo, exec_lo, s22
	s_and_saveexec_b32 s22, s33
	s_cbranch_execnz .LBB707_891
.LBB707_827:                            ;   in Loop: Header=BB707_686 Depth=2
	s_or_b32 exec_lo, exec_lo, s22
	s_and_saveexec_b32 s22, s34
	s_cbranch_execnz .LBB707_892
.LBB707_828:                            ;   in Loop: Header=BB707_686 Depth=2
	s_or_b32 exec_lo, exec_lo, s22
	s_and_saveexec_b32 s22, s35
	s_cbranch_execnz .LBB707_893
.LBB707_829:                            ;   in Loop: Header=BB707_686 Depth=2
	s_or_b32 exec_lo, exec_lo, s22
	s_and_saveexec_b32 s22, s36
	s_cbranch_execnz .LBB707_894
.LBB707_830:                            ;   in Loop: Header=BB707_686 Depth=2
	s_or_b32 exec_lo, exec_lo, s22
	s_and_saveexec_b32 s22, s37
	s_cbranch_execnz .LBB707_895
.LBB707_831:                            ;   in Loop: Header=BB707_686 Depth=2
	s_or_b32 exec_lo, exec_lo, s22
	s_and_saveexec_b32 s22, s38
	s_cbranch_execz .LBB707_833
.LBB707_832:                            ;   in Loop: Header=BB707_686 Depth=2
	v_lshlrev_b32_e32 v37, 2, v149
	v_mov_b32_e32 v40, v3
	ds_read_b32 v39, v37
	ds_read_b64 v[37:38], v106 offset:31232
	s_waitcnt lgkmcnt(1)
	v_add_nc_u32_e32 v39, v39, v90
	v_lshlrev_b64 v[39:40], 3, v[39:40]
	v_add_co_u32 v39, vcc_lo, s48, v39
	v_add_co_ci_u32_e64 v40, null, s49, v40, vcc_lo
	s_waitcnt lgkmcnt(0)
	global_store_dwordx2 v[39:40], v[37:38], off
.LBB707_833:                            ;   in Loop: Header=BB707_686 Depth=2
	s_or_b32 exec_lo, exec_lo, s22
	s_waitcnt_vscnt null, 0x0
	s_barrier
	buffer_gl0_inv
	s_and_saveexec_b32 s22, s7
	s_cbranch_execz .LBB707_685
; %bb.834:                              ;   in Loop: Header=BB707_686 Depth=2
	ds_read_b32 v37, v73
	s_waitcnt lgkmcnt(0)
	v_add3_u32 v37, v163, v166, v37
	ds_write_b32 v73, v37
	s_branch .LBB707_685
.LBB707_835:                            ;   in Loop: Header=BB707_686 Depth=2
	ds_read_b64 v[37:38], v106 offset:512
	s_waitcnt lgkmcnt(0)
	v_lshrrev_b64 v[45:46], s46, v[37:38]
	v_mov_b32_e32 v46, v3
	v_xor_b32_e32 v38, 0x7fffffff, v38
	v_not_b32_e32 v37, v37
	v_and_b32_e32 v45, s52, v45
	v_lshlrev_b32_e32 v45, 2, v45
	ds_read_b32 v45, v45
	s_waitcnt lgkmcnt(0)
	v_add_nc_u32_e32 v45, v45, v0
	v_lshlrev_b64 v[45:46], 3, v[45:46]
	v_add_co_u32 v45, s22, s42, v45
	v_add_co_ci_u32_e64 v46, null, s43, v46, s22
	global_store_dwordx2 v[45:46], v[37:38], off
	s_or_b32 exec_lo, exec_lo, s23
	v_cmp_lt_u32_e64 s22, v74, v167
	s_and_saveexec_b32 s24, s22
	s_cbranch_execz .LBB707_768
.LBB707_836:                            ;   in Loop: Header=BB707_686 Depth=2
	ds_read_b64 v[37:38], v106 offset:2560
	s_waitcnt lgkmcnt(0)
	v_lshrrev_b64 v[45:46], s46, v[37:38]
	v_mov_b32_e32 v46, v3
	v_xor_b32_e32 v38, 0x7fffffff, v38
	v_not_b32_e32 v37, v37
	v_and_b32_e32 v45, s52, v45
	v_lshlrev_b32_e32 v45, 2, v45
	ds_read_b32 v45, v45
	s_waitcnt lgkmcnt(0)
	v_add_nc_u32_e32 v45, v45, v74
	v_lshlrev_b64 v[45:46], 3, v[45:46]
	v_add_co_u32 v45, s23, s42, v45
	v_add_co_ci_u32_e64 v46, null, s43, v46, s23
	global_store_dwordx2 v[45:46], v[37:38], off
	s_or_b32 exec_lo, exec_lo, s24
	v_cmp_lt_u32_e64 s23, v77, v167
	s_and_saveexec_b32 s25, s23
	s_cbranch_execz .LBB707_769
.LBB707_837:                            ;   in Loop: Header=BB707_686 Depth=2
	ds_read_b64 v[37:38], v106 offset:4608
	s_waitcnt lgkmcnt(0)
	v_lshrrev_b64 v[45:46], s46, v[37:38]
	v_mov_b32_e32 v46, v3
	v_xor_b32_e32 v38, 0x7fffffff, v38
	v_not_b32_e32 v37, v37
	v_and_b32_e32 v45, s52, v45
	v_lshlrev_b32_e32 v45, 2, v45
	ds_read_b32 v45, v45
	s_waitcnt lgkmcnt(0)
	v_add_nc_u32_e32 v45, v45, v77
	v_lshlrev_b64 v[45:46], 3, v[45:46]
	v_add_co_u32 v45, s24, s42, v45
	v_add_co_ci_u32_e64 v46, null, s43, v46, s24
	global_store_dwordx2 v[45:46], v[37:38], off
	s_or_b32 exec_lo, exec_lo, s25
	v_cmp_lt_u32_e64 s24, v78, v167
	s_and_saveexec_b32 s26, s24
	s_cbranch_execz .LBB707_770
.LBB707_838:                            ;   in Loop: Header=BB707_686 Depth=2
	ds_read_b64 v[37:38], v106 offset:6656
	s_waitcnt lgkmcnt(0)
	v_lshrrev_b64 v[45:46], s46, v[37:38]
	v_mov_b32_e32 v46, v3
	v_xor_b32_e32 v38, 0x7fffffff, v38
	v_not_b32_e32 v37, v37
	v_and_b32_e32 v45, s52, v45
	v_lshlrev_b32_e32 v45, 2, v45
	ds_read_b32 v45, v45
	s_waitcnt lgkmcnt(0)
	v_add_nc_u32_e32 v45, v45, v78
	v_lshlrev_b64 v[45:46], 3, v[45:46]
	v_add_co_u32 v45, s25, s42, v45
	v_add_co_ci_u32_e64 v46, null, s43, v46, s25
	global_store_dwordx2 v[45:46], v[37:38], off
	s_or_b32 exec_lo, exec_lo, s26
	v_cmp_lt_u32_e64 s25, v79, v167
	s_and_saveexec_b32 s28, s25
	s_cbranch_execz .LBB707_771
.LBB707_839:                            ;   in Loop: Header=BB707_686 Depth=2
	ds_read_b64 v[37:38], v106 offset:8704
	s_waitcnt lgkmcnt(0)
	v_lshrrev_b64 v[45:46], s46, v[37:38]
	v_mov_b32_e32 v46, v3
	v_xor_b32_e32 v38, 0x7fffffff, v38
	v_not_b32_e32 v37, v37
	v_and_b32_e32 v45, s52, v45
	v_lshlrev_b32_e32 v45, 2, v45
	ds_read_b32 v45, v45
	s_waitcnt lgkmcnt(0)
	v_add_nc_u32_e32 v45, v45, v79
	v_lshlrev_b64 v[45:46], 3, v[45:46]
	v_add_co_u32 v45, s26, s42, v45
	v_add_co_ci_u32_e64 v46, null, s43, v46, s26
	global_store_dwordx2 v[45:46], v[37:38], off
	s_or_b32 exec_lo, exec_lo, s28
	v_cmp_lt_u32_e64 s26, v80, v167
	s_and_saveexec_b32 s29, s26
	s_cbranch_execz .LBB707_772
.LBB707_840:                            ;   in Loop: Header=BB707_686 Depth=2
	ds_read_b64 v[37:38], v106 offset:10752
	s_waitcnt lgkmcnt(0)
	v_lshrrev_b64 v[45:46], s46, v[37:38]
	v_mov_b32_e32 v46, v3
	v_xor_b32_e32 v38, 0x7fffffff, v38
	v_not_b32_e32 v37, v37
	v_and_b32_e32 v45, s52, v45
	v_lshlrev_b32_e32 v45, 2, v45
	ds_read_b32 v45, v45
	s_waitcnt lgkmcnt(0)
	v_add_nc_u32_e32 v45, v45, v80
	v_lshlrev_b64 v[45:46], 3, v[45:46]
	v_add_co_u32 v45, s28, s42, v45
	v_add_co_ci_u32_e64 v46, null, s43, v46, s28
	global_store_dwordx2 v[45:46], v[37:38], off
	s_or_b32 exec_lo, exec_lo, s29
	v_cmp_lt_u32_e64 s28, v81, v167
	s_and_saveexec_b32 s30, s28
	s_cbranch_execz .LBB707_773
.LBB707_841:                            ;   in Loop: Header=BB707_686 Depth=2
	ds_read_b64 v[37:38], v106 offset:12800
	s_waitcnt lgkmcnt(0)
	v_lshrrev_b64 v[45:46], s46, v[37:38]
	v_mov_b32_e32 v46, v3
	v_xor_b32_e32 v38, 0x7fffffff, v38
	v_not_b32_e32 v37, v37
	v_and_b32_e32 v45, s52, v45
	v_lshlrev_b32_e32 v45, 2, v45
	ds_read_b32 v45, v45
	s_waitcnt lgkmcnt(0)
	v_add_nc_u32_e32 v45, v45, v81
	v_lshlrev_b64 v[45:46], 3, v[45:46]
	v_add_co_u32 v45, s29, s42, v45
	v_add_co_ci_u32_e64 v46, null, s43, v46, s29
	global_store_dwordx2 v[45:46], v[37:38], off
	s_or_b32 exec_lo, exec_lo, s30
	v_cmp_lt_u32_e64 s29, v82, v167
	s_and_saveexec_b32 s31, s29
	s_cbranch_execz .LBB707_774
.LBB707_842:                            ;   in Loop: Header=BB707_686 Depth=2
	ds_read_b64 v[37:38], v106 offset:14848
	s_waitcnt lgkmcnt(0)
	v_lshrrev_b64 v[45:46], s46, v[37:38]
	v_mov_b32_e32 v46, v3
	v_xor_b32_e32 v38, 0x7fffffff, v38
	v_not_b32_e32 v37, v37
	v_and_b32_e32 v45, s52, v45
	v_lshlrev_b32_e32 v45, 2, v45
	ds_read_b32 v45, v45
	s_waitcnt lgkmcnt(0)
	v_add_nc_u32_e32 v45, v45, v82
	v_lshlrev_b64 v[45:46], 3, v[45:46]
	v_add_co_u32 v45, s30, s42, v45
	v_add_co_ci_u32_e64 v46, null, s43, v46, s30
	global_store_dwordx2 v[45:46], v[37:38], off
	s_or_b32 exec_lo, exec_lo, s31
	v_cmp_lt_u32_e64 s30, v83, v167
	s_and_saveexec_b32 s33, s30
	s_cbranch_execz .LBB707_775
.LBB707_843:                            ;   in Loop: Header=BB707_686 Depth=2
	ds_read_b64 v[37:38], v106 offset:16896
	s_waitcnt lgkmcnt(0)
	v_lshrrev_b64 v[45:46], s46, v[37:38]
	v_mov_b32_e32 v46, v3
	v_xor_b32_e32 v38, 0x7fffffff, v38
	v_not_b32_e32 v37, v37
	v_and_b32_e32 v45, s52, v45
	v_lshlrev_b32_e32 v45, 2, v45
	ds_read_b32 v45, v45
	s_waitcnt lgkmcnt(0)
	v_add_nc_u32_e32 v45, v45, v83
	v_lshlrev_b64 v[45:46], 3, v[45:46]
	v_add_co_u32 v45, s31, s42, v45
	v_add_co_ci_u32_e64 v46, null, s43, v46, s31
	global_store_dwordx2 v[45:46], v[37:38], off
	s_or_b32 exec_lo, exec_lo, s33
	v_cmp_lt_u32_e64 s31, v84, v167
	s_and_saveexec_b32 s34, s31
	s_cbranch_execz .LBB707_776
.LBB707_844:                            ;   in Loop: Header=BB707_686 Depth=2
	ds_read_b64 v[37:38], v106 offset:18944
	s_waitcnt lgkmcnt(0)
	v_lshrrev_b64 v[45:46], s46, v[37:38]
	v_mov_b32_e32 v46, v3
	v_xor_b32_e32 v38, 0x7fffffff, v38
	v_not_b32_e32 v37, v37
	v_and_b32_e32 v45, s52, v45
	v_lshlrev_b32_e32 v45, 2, v45
	ds_read_b32 v45, v45
	s_waitcnt lgkmcnt(0)
	v_add_nc_u32_e32 v45, v45, v84
	v_lshlrev_b64 v[45:46], 3, v[45:46]
	v_add_co_u32 v45, s33, s42, v45
	v_add_co_ci_u32_e64 v46, null, s43, v46, s33
	global_store_dwordx2 v[45:46], v[37:38], off
	s_or_b32 exec_lo, exec_lo, s34
	v_cmp_lt_u32_e64 s33, v85, v167
	s_and_saveexec_b32 s35, s33
	s_cbranch_execz .LBB707_777
.LBB707_845:                            ;   in Loop: Header=BB707_686 Depth=2
	ds_read_b64 v[37:38], v106 offset:20992
	s_waitcnt lgkmcnt(0)
	v_lshrrev_b64 v[45:46], s46, v[37:38]
	v_mov_b32_e32 v46, v3
	v_xor_b32_e32 v38, 0x7fffffff, v38
	v_not_b32_e32 v37, v37
	v_and_b32_e32 v45, s52, v45
	v_lshlrev_b32_e32 v45, 2, v45
	ds_read_b32 v45, v45
	s_waitcnt lgkmcnt(0)
	v_add_nc_u32_e32 v45, v45, v85
	v_lshlrev_b64 v[45:46], 3, v[45:46]
	v_add_co_u32 v45, s34, s42, v45
	v_add_co_ci_u32_e64 v46, null, s43, v46, s34
	global_store_dwordx2 v[45:46], v[37:38], off
	s_or_b32 exec_lo, exec_lo, s35
	v_cmp_lt_u32_e64 s34, v86, v167
	s_and_saveexec_b32 s36, s34
	s_cbranch_execz .LBB707_778
.LBB707_846:                            ;   in Loop: Header=BB707_686 Depth=2
	ds_read_b64 v[37:38], v106 offset:23040
	s_waitcnt lgkmcnt(0)
	v_lshrrev_b64 v[45:46], s46, v[37:38]
	v_mov_b32_e32 v46, v3
	v_xor_b32_e32 v38, 0x7fffffff, v38
	v_not_b32_e32 v37, v37
	v_and_b32_e32 v45, s52, v45
	v_lshlrev_b32_e32 v45, 2, v45
	ds_read_b32 v45, v45
	s_waitcnt lgkmcnt(0)
	v_add_nc_u32_e32 v45, v45, v86
	v_lshlrev_b64 v[45:46], 3, v[45:46]
	v_add_co_u32 v45, s35, s42, v45
	v_add_co_ci_u32_e64 v46, null, s43, v46, s35
	global_store_dwordx2 v[45:46], v[37:38], off
	s_or_b32 exec_lo, exec_lo, s36
	v_cmp_lt_u32_e64 s35, v87, v167
	s_and_saveexec_b32 s37, s35
	s_cbranch_execz .LBB707_779
.LBB707_847:                            ;   in Loop: Header=BB707_686 Depth=2
	ds_read_b64 v[37:38], v106 offset:25088
	s_waitcnt lgkmcnt(0)
	v_lshrrev_b64 v[45:46], s46, v[37:38]
	v_mov_b32_e32 v46, v3
	v_xor_b32_e32 v38, 0x7fffffff, v38
	v_not_b32_e32 v37, v37
	v_and_b32_e32 v45, s52, v45
	v_lshlrev_b32_e32 v45, 2, v45
	ds_read_b32 v45, v45
	s_waitcnt lgkmcnt(0)
	v_add_nc_u32_e32 v45, v45, v87
	v_lshlrev_b64 v[45:46], 3, v[45:46]
	v_add_co_u32 v45, s36, s42, v45
	v_add_co_ci_u32_e64 v46, null, s43, v46, s36
	global_store_dwordx2 v[45:46], v[37:38], off
	s_or_b32 exec_lo, exec_lo, s37
	v_cmp_lt_u32_e64 s36, v88, v167
	s_and_saveexec_b32 s38, s36
	s_cbranch_execz .LBB707_780
.LBB707_848:                            ;   in Loop: Header=BB707_686 Depth=2
	ds_read_b64 v[37:38], v106 offset:27136
	s_waitcnt lgkmcnt(0)
	v_lshrrev_b64 v[45:46], s46, v[37:38]
	v_mov_b32_e32 v46, v3
	v_xor_b32_e32 v38, 0x7fffffff, v38
	v_not_b32_e32 v37, v37
	v_and_b32_e32 v45, s52, v45
	v_lshlrev_b32_e32 v45, 2, v45
	ds_read_b32 v45, v45
	s_waitcnt lgkmcnt(0)
	v_add_nc_u32_e32 v45, v45, v88
	v_lshlrev_b64 v[45:46], 3, v[45:46]
	v_add_co_u32 v45, s37, s42, v45
	v_add_co_ci_u32_e64 v46, null, s43, v46, s37
	global_store_dwordx2 v[45:46], v[37:38], off
	s_or_b32 exec_lo, exec_lo, s38
	v_cmp_lt_u32_e64 s37, v89, v167
	s_and_saveexec_b32 s39, s37
	s_cbranch_execz .LBB707_781
.LBB707_849:                            ;   in Loop: Header=BB707_686 Depth=2
	ds_read_b64 v[37:38], v106 offset:29184
	s_waitcnt lgkmcnt(0)
	v_lshrrev_b64 v[45:46], s46, v[37:38]
	v_mov_b32_e32 v46, v3
	v_xor_b32_e32 v38, 0x7fffffff, v38
	v_not_b32_e32 v37, v37
	v_and_b32_e32 v45, s52, v45
	v_lshlrev_b32_e32 v45, 2, v45
	ds_read_b32 v45, v45
	s_waitcnt lgkmcnt(0)
	v_add_nc_u32_e32 v45, v45, v89
	v_lshlrev_b64 v[45:46], 3, v[45:46]
	v_add_co_u32 v45, s38, s42, v45
	v_add_co_ci_u32_e64 v46, null, s43, v46, s38
	global_store_dwordx2 v[45:46], v[37:38], off
	s_or_b32 exec_lo, exec_lo, s39
	v_cmp_lt_u32_e64 s38, v90, v167
	s_and_saveexec_b32 s65, s38
	s_cbranch_execnz .LBB707_782
	s_branch .LBB707_783
.LBB707_850:                            ;   in Loop: Header=BB707_686 Depth=2
	global_load_dwordx2 v[35:36], v[37:38], off
	s_or_b32 exec_lo, exec_lo, s39
	s_mov_b32 s56, exec_lo
	v_cmpx_lt_u32_e64 v131, v167
	s_cbranch_execz .LBB707_785
.LBB707_851:                            ;   in Loop: Header=BB707_686 Depth=2
	global_load_dwordx2 v[33:34], v[37:38], off offset:256
	s_or_b32 exec_lo, exec_lo, s56
	s_mov_b32 s56, exec_lo
	v_cmpx_lt_u32_e64 v132, v167
	s_cbranch_execz .LBB707_786
.LBB707_852:                            ;   in Loop: Header=BB707_686 Depth=2
	global_load_dwordx2 v[31:32], v[37:38], off offset:512
	s_or_b32 exec_lo, exec_lo, s56
	s_mov_b32 s56, exec_lo
	v_cmpx_lt_u32_e64 v133, v167
	s_cbranch_execz .LBB707_787
.LBB707_853:                            ;   in Loop: Header=BB707_686 Depth=2
	global_load_dwordx2 v[29:30], v[37:38], off offset:768
	s_or_b32 exec_lo, exec_lo, s56
	s_mov_b32 s56, exec_lo
	v_cmpx_lt_u32_e64 v134, v167
	s_cbranch_execz .LBB707_788
.LBB707_854:                            ;   in Loop: Header=BB707_686 Depth=2
	global_load_dwordx2 v[27:28], v[37:38], off offset:1024
	s_or_b32 exec_lo, exec_lo, s56
	s_mov_b32 s56, exec_lo
	v_cmpx_lt_u32_e64 v135, v167
	s_cbranch_execz .LBB707_789
.LBB707_855:                            ;   in Loop: Header=BB707_686 Depth=2
	global_load_dwordx2 v[23:24], v[37:38], off offset:1280
	s_or_b32 exec_lo, exec_lo, s56
	s_mov_b32 s56, exec_lo
	v_cmpx_lt_u32_e64 v136, v167
	s_cbranch_execz .LBB707_790
.LBB707_856:                            ;   in Loop: Header=BB707_686 Depth=2
	global_load_dwordx2 v[19:20], v[37:38], off offset:1536
	s_or_b32 exec_lo, exec_lo, s56
	s_mov_b32 s56, exec_lo
	v_cmpx_lt_u32_e64 v137, v167
	s_cbranch_execz .LBB707_791
.LBB707_857:                            ;   in Loop: Header=BB707_686 Depth=2
	global_load_dwordx2 v[15:16], v[37:38], off offset:1792
	s_or_b32 exec_lo, exec_lo, s56
	s_mov_b32 s56, exec_lo
	v_cmpx_lt_u32_e64 v138, v167
	s_cbranch_execz .LBB707_792
.LBB707_858:                            ;   in Loop: Header=BB707_686 Depth=2
	v_add_co_u32 v25, s39, 0x800, v37
	v_add_co_ci_u32_e64 v26, null, 0, v38, s39
	global_load_dwordx2 v[25:26], v[25:26], off
	s_or_b32 exec_lo, exec_lo, s56
	s_mov_b32 s56, exec_lo
	v_cmpx_lt_u32_e64 v139, v167
	s_cbranch_execz .LBB707_793
.LBB707_859:                            ;   in Loop: Header=BB707_686 Depth=2
	v_add_co_u32 v21, s39, 0x800, v37
	v_add_co_ci_u32_e64 v22, null, 0, v38, s39
	global_load_dwordx2 v[21:22], v[21:22], off offset:256
	s_or_b32 exec_lo, exec_lo, s56
	s_mov_b32 s56, exec_lo
	v_cmpx_lt_u32_e64 v140, v167
	s_cbranch_execz .LBB707_794
.LBB707_860:                            ;   in Loop: Header=BB707_686 Depth=2
	v_add_co_u32 v17, s39, 0x800, v37
	v_add_co_ci_u32_e64 v18, null, 0, v38, s39
	global_load_dwordx2 v[17:18], v[17:18], off offset:512
	s_or_b32 exec_lo, exec_lo, s56
	s_mov_b32 s56, exec_lo
	v_cmpx_lt_u32_e64 v141, v167
	s_cbranch_execz .LBB707_795
.LBB707_861:                            ;   in Loop: Header=BB707_686 Depth=2
	v_add_co_u32 v13, s39, 0x800, v37
	v_add_co_ci_u32_e64 v14, null, 0, v38, s39
	global_load_dwordx2 v[13:14], v[13:14], off offset:768
	s_or_b32 exec_lo, exec_lo, s56
	s_mov_b32 s56, exec_lo
	v_cmpx_lt_u32_e64 v142, v167
	s_cbranch_execz .LBB707_796
.LBB707_862:                            ;   in Loop: Header=BB707_686 Depth=2
	v_add_co_u32 v11, s39, 0x800, v37
	v_add_co_ci_u32_e64 v12, null, 0, v38, s39
	global_load_dwordx2 v[11:12], v[11:12], off offset:1024
	s_or_b32 exec_lo, exec_lo, s56
	s_mov_b32 s56, exec_lo
	v_cmpx_lt_u32_e64 v143, v167
	s_cbranch_execz .LBB707_797
.LBB707_863:                            ;   in Loop: Header=BB707_686 Depth=2
	v_add_co_u32 v9, s39, 0x800, v37
	v_add_co_ci_u32_e64 v10, null, 0, v38, s39
	global_load_dwordx2 v[9:10], v[9:10], off offset:1280
	s_or_b32 exec_lo, exec_lo, s56
	s_mov_b32 s56, exec_lo
	v_cmpx_lt_u32_e64 v144, v167
	s_cbranch_execz .LBB707_798
.LBB707_864:                            ;   in Loop: Header=BB707_686 Depth=2
	v_add_co_u32 v7, s39, 0x800, v37
	v_add_co_ci_u32_e64 v8, null, 0, v38, s39
	global_load_dwordx2 v[7:8], v[7:8], off offset:1536
	s_or_b32 exec_lo, exec_lo, s56
	s_mov_b32 s56, exec_lo
	v_cmpx_lt_u32_e64 v145, v167
	s_cbranch_execz .LBB707_799
.LBB707_865:                            ;   in Loop: Header=BB707_686 Depth=2
	v_add_co_u32 v5, s39, 0x800, v37
	v_add_co_ci_u32_e64 v6, null, 0, v38, s39
	global_load_dwordx2 v[5:6], v[5:6], off offset:1792
	s_or_b32 exec_lo, exec_lo, s56
	s_and_saveexec_b32 s39, vcc_lo
	s_cbranch_execz .LBB707_800
.LBB707_866:                            ;   in Loop: Header=BB707_686 Depth=2
	ds_read_b64 v[37:38], v106 offset:512
	s_waitcnt lgkmcnt(0)
	v_lshrrev_b64 v[37:38], s46, v[37:38]
	v_and_b32_e32 v165, s52, v37
	s_or_b32 exec_lo, exec_lo, s39
	s_and_saveexec_b32 s39, s22
	s_cbranch_execz .LBB707_801
.LBB707_867:                            ;   in Loop: Header=BB707_686 Depth=2
	ds_read_b64 v[37:38], v106 offset:2560
	s_waitcnt lgkmcnt(0)
	v_lshrrev_b64 v[37:38], s46, v[37:38]
	v_and_b32_e32 v164, s52, v37
	s_or_b32 exec_lo, exec_lo, s39
	s_and_saveexec_b32 s39, s23
	s_cbranch_execz .LBB707_802
.LBB707_868:                            ;   in Loop: Header=BB707_686 Depth=2
	ds_read_b64 v[37:38], v106 offset:4608
	s_waitcnt lgkmcnt(0)
	v_lshrrev_b64 v[37:38], s46, v[37:38]
	v_and_b32_e32 v162, s52, v37
	s_or_b32 exec_lo, exec_lo, s39
	s_and_saveexec_b32 s39, s24
	s_cbranch_execz .LBB707_803
.LBB707_869:                            ;   in Loop: Header=BB707_686 Depth=2
	ds_read_b64 v[37:38], v106 offset:6656
	s_waitcnt lgkmcnt(0)
	v_lshrrev_b64 v[37:38], s46, v[37:38]
	v_and_b32_e32 v161, s52, v37
	s_or_b32 exec_lo, exec_lo, s39
	s_and_saveexec_b32 s39, s25
	s_cbranch_execz .LBB707_804
.LBB707_870:                            ;   in Loop: Header=BB707_686 Depth=2
	ds_read_b64 v[37:38], v106 offset:8704
	s_waitcnt lgkmcnt(0)
	v_lshrrev_b64 v[37:38], s46, v[37:38]
	v_and_b32_e32 v160, s52, v37
	s_or_b32 exec_lo, exec_lo, s39
	s_and_saveexec_b32 s39, s26
	s_cbranch_execz .LBB707_805
.LBB707_871:                            ;   in Loop: Header=BB707_686 Depth=2
	ds_read_b64 v[37:38], v106 offset:10752
	s_waitcnt lgkmcnt(0)
	v_lshrrev_b64 v[37:38], s46, v[37:38]
	v_and_b32_e32 v159, s52, v37
	s_or_b32 exec_lo, exec_lo, s39
	s_and_saveexec_b32 s39, s28
	s_cbranch_execz .LBB707_806
.LBB707_872:                            ;   in Loop: Header=BB707_686 Depth=2
	ds_read_b64 v[37:38], v106 offset:12800
	s_waitcnt lgkmcnt(0)
	v_lshrrev_b64 v[37:38], s46, v[37:38]
	v_and_b32_e32 v158, s52, v37
	s_or_b32 exec_lo, exec_lo, s39
	s_and_saveexec_b32 s39, s29
	s_cbranch_execz .LBB707_807
.LBB707_873:                            ;   in Loop: Header=BB707_686 Depth=2
	ds_read_b64 v[37:38], v106 offset:14848
	s_waitcnt lgkmcnt(0)
	v_lshrrev_b64 v[37:38], s46, v[37:38]
	v_and_b32_e32 v157, s52, v37
	s_or_b32 exec_lo, exec_lo, s39
	s_and_saveexec_b32 s39, s30
	s_cbranch_execz .LBB707_808
.LBB707_874:                            ;   in Loop: Header=BB707_686 Depth=2
	ds_read_b64 v[37:38], v106 offset:16896
	s_waitcnt lgkmcnt(0)
	v_lshrrev_b64 v[37:38], s46, v[37:38]
	v_and_b32_e32 v156, s52, v37
	s_or_b32 exec_lo, exec_lo, s39
	s_and_saveexec_b32 s39, s31
	s_cbranch_execz .LBB707_809
.LBB707_875:                            ;   in Loop: Header=BB707_686 Depth=2
	ds_read_b64 v[37:38], v106 offset:18944
	s_waitcnt lgkmcnt(0)
	v_lshrrev_b64 v[37:38], s46, v[37:38]
	v_and_b32_e32 v155, s52, v37
	s_or_b32 exec_lo, exec_lo, s39
	s_and_saveexec_b32 s39, s33
	s_cbranch_execz .LBB707_810
.LBB707_876:                            ;   in Loop: Header=BB707_686 Depth=2
	ds_read_b64 v[37:38], v106 offset:20992
	s_waitcnt lgkmcnt(0)
	v_lshrrev_b64 v[37:38], s46, v[37:38]
	v_and_b32_e32 v154, s52, v37
	s_or_b32 exec_lo, exec_lo, s39
	s_and_saveexec_b32 s39, s34
	s_cbranch_execz .LBB707_811
.LBB707_877:                            ;   in Loop: Header=BB707_686 Depth=2
	ds_read_b64 v[37:38], v106 offset:23040
	s_waitcnt lgkmcnt(0)
	v_lshrrev_b64 v[37:38], s46, v[37:38]
	v_and_b32_e32 v153, s52, v37
	s_or_b32 exec_lo, exec_lo, s39
	s_and_saveexec_b32 s39, s35
	s_cbranch_execz .LBB707_812
.LBB707_878:                            ;   in Loop: Header=BB707_686 Depth=2
	ds_read_b64 v[37:38], v106 offset:25088
	s_waitcnt lgkmcnt(0)
	v_lshrrev_b64 v[37:38], s46, v[37:38]
	v_and_b32_e32 v152, s52, v37
	s_or_b32 exec_lo, exec_lo, s39
	s_and_saveexec_b32 s39, s36
	s_cbranch_execz .LBB707_813
.LBB707_879:                            ;   in Loop: Header=BB707_686 Depth=2
	ds_read_b64 v[37:38], v106 offset:27136
	s_waitcnt lgkmcnt(0)
	v_lshrrev_b64 v[37:38], s46, v[37:38]
	v_and_b32_e32 v151, s52, v37
	s_or_b32 exec_lo, exec_lo, s39
	s_and_saveexec_b32 s39, s37
	s_cbranch_execz .LBB707_814
.LBB707_880:                            ;   in Loop: Header=BB707_686 Depth=2
	ds_read_b64 v[37:38], v106 offset:29184
	s_waitcnt lgkmcnt(0)
	v_lshrrev_b64 v[37:38], s46, v[37:38]
	v_and_b32_e32 v150, s52, v37
	s_or_b32 exec_lo, exec_lo, s39
	s_and_saveexec_b32 s39, s38
	s_cbranch_execnz .LBB707_815
	s_branch .LBB707_816
.LBB707_881:                            ;   in Loop: Header=BB707_686 Depth=2
	v_lshlrev_b32_e32 v37, 2, v165
	v_mov_b32_e32 v40, v3
	ds_read_b32 v39, v37
	ds_read_b64 v[37:38], v106 offset:512
	s_waitcnt lgkmcnt(1)
	v_add_nc_u32_e32 v39, v39, v0
	v_lshlrev_b64 v[39:40], 3, v[39:40]
	v_add_co_u32 v39, vcc_lo, s48, v39
	v_add_co_ci_u32_e64 v40, null, s49, v40, vcc_lo
	s_waitcnt lgkmcnt(0)
	global_store_dwordx2 v[39:40], v[37:38], off
	s_or_b32 exec_lo, exec_lo, s39
	s_and_saveexec_b32 s39, s22
	s_cbranch_execz .LBB707_818
.LBB707_882:                            ;   in Loop: Header=BB707_686 Depth=2
	v_lshlrev_b32_e32 v37, 2, v164
	v_mov_b32_e32 v40, v3
	ds_read_b32 v39, v37
	ds_read_b64 v[37:38], v106 offset:2560
	s_waitcnt lgkmcnt(1)
	v_add_nc_u32_e32 v39, v39, v74
	v_lshlrev_b64 v[39:40], 3, v[39:40]
	v_add_co_u32 v39, vcc_lo, s48, v39
	v_add_co_ci_u32_e64 v40, null, s49, v40, vcc_lo
	s_waitcnt lgkmcnt(0)
	global_store_dwordx2 v[39:40], v[37:38], off
	s_or_b32 exec_lo, exec_lo, s39
	s_and_saveexec_b32 s22, s23
	s_cbranch_execz .LBB707_819
.LBB707_883:                            ;   in Loop: Header=BB707_686 Depth=2
	v_lshlrev_b32_e32 v37, 2, v162
	v_mov_b32_e32 v40, v3
	ds_read_b32 v39, v37
	ds_read_b64 v[37:38], v106 offset:4608
	s_waitcnt lgkmcnt(1)
	v_add_nc_u32_e32 v39, v39, v77
	v_lshlrev_b64 v[39:40], 3, v[39:40]
	v_add_co_u32 v39, vcc_lo, s48, v39
	v_add_co_ci_u32_e64 v40, null, s49, v40, vcc_lo
	s_waitcnt lgkmcnt(0)
	global_store_dwordx2 v[39:40], v[37:38], off
	s_or_b32 exec_lo, exec_lo, s22
	s_and_saveexec_b32 s22, s24
	s_cbranch_execz .LBB707_820
.LBB707_884:                            ;   in Loop: Header=BB707_686 Depth=2
	v_lshlrev_b32_e32 v37, 2, v161
	v_mov_b32_e32 v40, v3
	ds_read_b32 v39, v37
	ds_read_b64 v[37:38], v106 offset:6656
	s_waitcnt lgkmcnt(1)
	v_add_nc_u32_e32 v39, v39, v78
	v_lshlrev_b64 v[39:40], 3, v[39:40]
	v_add_co_u32 v39, vcc_lo, s48, v39
	v_add_co_ci_u32_e64 v40, null, s49, v40, vcc_lo
	s_waitcnt lgkmcnt(0)
	global_store_dwordx2 v[39:40], v[37:38], off
	s_or_b32 exec_lo, exec_lo, s22
	s_and_saveexec_b32 s22, s25
	s_cbranch_execz .LBB707_821
.LBB707_885:                            ;   in Loop: Header=BB707_686 Depth=2
	v_lshlrev_b32_e32 v37, 2, v160
	v_mov_b32_e32 v40, v3
	ds_read_b32 v39, v37
	ds_read_b64 v[37:38], v106 offset:8704
	s_waitcnt lgkmcnt(1)
	v_add_nc_u32_e32 v39, v39, v79
	v_lshlrev_b64 v[39:40], 3, v[39:40]
	v_add_co_u32 v39, vcc_lo, s48, v39
	v_add_co_ci_u32_e64 v40, null, s49, v40, vcc_lo
	s_waitcnt lgkmcnt(0)
	global_store_dwordx2 v[39:40], v[37:38], off
	s_or_b32 exec_lo, exec_lo, s22
	s_and_saveexec_b32 s22, s26
	s_cbranch_execz .LBB707_822
.LBB707_886:                            ;   in Loop: Header=BB707_686 Depth=2
	v_lshlrev_b32_e32 v37, 2, v159
	v_mov_b32_e32 v40, v3
	ds_read_b32 v39, v37
	ds_read_b64 v[37:38], v106 offset:10752
	s_waitcnt lgkmcnt(1)
	v_add_nc_u32_e32 v39, v39, v80
	v_lshlrev_b64 v[39:40], 3, v[39:40]
	v_add_co_u32 v39, vcc_lo, s48, v39
	v_add_co_ci_u32_e64 v40, null, s49, v40, vcc_lo
	s_waitcnt lgkmcnt(0)
	global_store_dwordx2 v[39:40], v[37:38], off
	s_or_b32 exec_lo, exec_lo, s22
	s_and_saveexec_b32 s22, s28
	s_cbranch_execz .LBB707_823
.LBB707_887:                            ;   in Loop: Header=BB707_686 Depth=2
	v_lshlrev_b32_e32 v37, 2, v158
	v_mov_b32_e32 v40, v3
	ds_read_b32 v39, v37
	ds_read_b64 v[37:38], v106 offset:12800
	s_waitcnt lgkmcnt(1)
	v_add_nc_u32_e32 v39, v39, v81
	v_lshlrev_b64 v[39:40], 3, v[39:40]
	v_add_co_u32 v39, vcc_lo, s48, v39
	v_add_co_ci_u32_e64 v40, null, s49, v40, vcc_lo
	s_waitcnt lgkmcnt(0)
	global_store_dwordx2 v[39:40], v[37:38], off
	s_or_b32 exec_lo, exec_lo, s22
	s_and_saveexec_b32 s22, s29
	s_cbranch_execz .LBB707_824
.LBB707_888:                            ;   in Loop: Header=BB707_686 Depth=2
	v_lshlrev_b32_e32 v37, 2, v157
	v_mov_b32_e32 v40, v3
	ds_read_b32 v39, v37
	ds_read_b64 v[37:38], v106 offset:14848
	s_waitcnt lgkmcnt(1)
	v_add_nc_u32_e32 v39, v39, v82
	v_lshlrev_b64 v[39:40], 3, v[39:40]
	v_add_co_u32 v39, vcc_lo, s48, v39
	v_add_co_ci_u32_e64 v40, null, s49, v40, vcc_lo
	s_waitcnt lgkmcnt(0)
	global_store_dwordx2 v[39:40], v[37:38], off
	s_or_b32 exec_lo, exec_lo, s22
	s_and_saveexec_b32 s22, s30
	s_cbranch_execz .LBB707_825
.LBB707_889:                            ;   in Loop: Header=BB707_686 Depth=2
	v_lshlrev_b32_e32 v37, 2, v156
	v_mov_b32_e32 v40, v3
	ds_read_b32 v39, v37
	ds_read_b64 v[37:38], v106 offset:16896
	s_waitcnt lgkmcnt(1)
	v_add_nc_u32_e32 v39, v39, v83
	v_lshlrev_b64 v[39:40], 3, v[39:40]
	v_add_co_u32 v39, vcc_lo, s48, v39
	v_add_co_ci_u32_e64 v40, null, s49, v40, vcc_lo
	s_waitcnt lgkmcnt(0)
	global_store_dwordx2 v[39:40], v[37:38], off
	s_or_b32 exec_lo, exec_lo, s22
	s_and_saveexec_b32 s22, s31
	s_cbranch_execz .LBB707_826
.LBB707_890:                            ;   in Loop: Header=BB707_686 Depth=2
	v_lshlrev_b32_e32 v37, 2, v155
	v_mov_b32_e32 v40, v3
	ds_read_b32 v39, v37
	ds_read_b64 v[37:38], v106 offset:18944
	s_waitcnt lgkmcnt(1)
	v_add_nc_u32_e32 v39, v39, v84
	v_lshlrev_b64 v[39:40], 3, v[39:40]
	v_add_co_u32 v39, vcc_lo, s48, v39
	v_add_co_ci_u32_e64 v40, null, s49, v40, vcc_lo
	s_waitcnt lgkmcnt(0)
	global_store_dwordx2 v[39:40], v[37:38], off
	s_or_b32 exec_lo, exec_lo, s22
	s_and_saveexec_b32 s22, s33
	s_cbranch_execz .LBB707_827
.LBB707_891:                            ;   in Loop: Header=BB707_686 Depth=2
	v_lshlrev_b32_e32 v37, 2, v154
	v_mov_b32_e32 v40, v3
	ds_read_b32 v39, v37
	ds_read_b64 v[37:38], v106 offset:20992
	s_waitcnt lgkmcnt(1)
	v_add_nc_u32_e32 v39, v39, v85
	v_lshlrev_b64 v[39:40], 3, v[39:40]
	v_add_co_u32 v39, vcc_lo, s48, v39
	v_add_co_ci_u32_e64 v40, null, s49, v40, vcc_lo
	s_waitcnt lgkmcnt(0)
	global_store_dwordx2 v[39:40], v[37:38], off
	s_or_b32 exec_lo, exec_lo, s22
	s_and_saveexec_b32 s22, s34
	s_cbranch_execz .LBB707_828
.LBB707_892:                            ;   in Loop: Header=BB707_686 Depth=2
	v_lshlrev_b32_e32 v37, 2, v153
	v_mov_b32_e32 v40, v3
	ds_read_b32 v39, v37
	ds_read_b64 v[37:38], v106 offset:23040
	s_waitcnt lgkmcnt(1)
	v_add_nc_u32_e32 v39, v39, v86
	v_lshlrev_b64 v[39:40], 3, v[39:40]
	v_add_co_u32 v39, vcc_lo, s48, v39
	v_add_co_ci_u32_e64 v40, null, s49, v40, vcc_lo
	s_waitcnt lgkmcnt(0)
	global_store_dwordx2 v[39:40], v[37:38], off
	s_or_b32 exec_lo, exec_lo, s22
	s_and_saveexec_b32 s22, s35
	s_cbranch_execz .LBB707_829
.LBB707_893:                            ;   in Loop: Header=BB707_686 Depth=2
	v_lshlrev_b32_e32 v37, 2, v152
	v_mov_b32_e32 v40, v3
	ds_read_b32 v39, v37
	ds_read_b64 v[37:38], v106 offset:25088
	s_waitcnt lgkmcnt(1)
	v_add_nc_u32_e32 v39, v39, v87
	v_lshlrev_b64 v[39:40], 3, v[39:40]
	v_add_co_u32 v39, vcc_lo, s48, v39
	v_add_co_ci_u32_e64 v40, null, s49, v40, vcc_lo
	s_waitcnt lgkmcnt(0)
	global_store_dwordx2 v[39:40], v[37:38], off
	s_or_b32 exec_lo, exec_lo, s22
	s_and_saveexec_b32 s22, s36
	s_cbranch_execz .LBB707_830
.LBB707_894:                            ;   in Loop: Header=BB707_686 Depth=2
	v_lshlrev_b32_e32 v37, 2, v151
	v_mov_b32_e32 v40, v3
	ds_read_b32 v39, v37
	ds_read_b64 v[37:38], v106 offset:27136
	s_waitcnt lgkmcnt(1)
	v_add_nc_u32_e32 v39, v39, v88
	v_lshlrev_b64 v[39:40], 3, v[39:40]
	v_add_co_u32 v39, vcc_lo, s48, v39
	v_add_co_ci_u32_e64 v40, null, s49, v40, vcc_lo
	s_waitcnt lgkmcnt(0)
	global_store_dwordx2 v[39:40], v[37:38], off
	s_or_b32 exec_lo, exec_lo, s22
	s_and_saveexec_b32 s22, s37
	s_cbranch_execz .LBB707_831
.LBB707_895:                            ;   in Loop: Header=BB707_686 Depth=2
	v_lshlrev_b32_e32 v37, 2, v150
	v_mov_b32_e32 v40, v3
	ds_read_b32 v39, v37
	ds_read_b64 v[37:38], v106 offset:29184
	s_waitcnt lgkmcnt(1)
	v_add_nc_u32_e32 v39, v39, v89
	v_lshlrev_b64 v[39:40], 3, v[39:40]
	v_add_co_u32 v39, vcc_lo, s48, v39
	v_add_co_ci_u32_e64 v40, null, s49, v40, vcc_lo
	s_waitcnt lgkmcnt(0)
	global_store_dwordx2 v[39:40], v[37:38], off
	s_or_b32 exec_lo, exec_lo, s22
	s_and_saveexec_b32 s22, s38
	s_cbranch_execnz .LBB707_832
	s_branch .LBB707_833
.LBB707_896:                            ;   in Loop: Header=BB707_12 Depth=1
	s_waitcnt lgkmcnt(0)
	s_mov_b32 s5, 0
	s_barrier
.LBB707_897:                            ;   in Loop: Header=BB707_12 Depth=1
	s_and_b32 vcc_lo, exec_lo, s5
	s_cbranch_vccz .LBB707_11
; %bb.898:                              ;   in Loop: Header=BB707_12 Depth=1
	s_mov_b32 s5, s62
	s_mov_b32 s56, s60
	s_barrier
	buffer_gl0_inv
                                        ; implicit-def: $vgpr5_vgpr6
                                        ; implicit-def: $vgpr7_vgpr8
                                        ; implicit-def: $vgpr9_vgpr10
                                        ; implicit-def: $vgpr11_vgpr12
                                        ; implicit-def: $vgpr13_vgpr14
                                        ; implicit-def: $vgpr15_vgpr16
                                        ; implicit-def: $vgpr17_vgpr18
                                        ; implicit-def: $vgpr19_vgpr20
                                        ; implicit-def: $vgpr21_vgpr22
                                        ; implicit-def: $vgpr23_vgpr24
                                        ; implicit-def: $vgpr25_vgpr26
                                        ; implicit-def: $vgpr27_vgpr28
                                        ; implicit-def: $vgpr29_vgpr30
                                        ; implicit-def: $vgpr31_vgpr32
                                        ; implicit-def: $vgpr33_vgpr34
                                        ; implicit-def: $vgpr35_vgpr36
	s_branch .LBB707_900
.LBB707_899:                            ;   in Loop: Header=BB707_900 Depth=2
	s_or_b32 exec_lo, exec_lo, s14
	s_addk_i32 s5, 0xf000
	s_cmp_ge_u32 s16, s61
	s_mov_b32 s56, s16
	s_cbranch_scc1 .LBB707_968
.LBB707_900:                            ;   Parent Loop BB707_12 Depth=1
                                        ; =>  This Inner Loop Header: Depth=2
	s_add_i32 s16, s56, 0x1000
	s_mov_b32 s14, -1
	s_cmp_gt_u32 s16, s61
                                        ; implicit-def: $vgpr47_vgpr48
                                        ; implicit-def: $vgpr51_vgpr52
                                        ; implicit-def: $vgpr55_vgpr56
                                        ; implicit-def: $vgpr37_vgpr38
                                        ; implicit-def: $vgpr39_vgpr40
                                        ; implicit-def: $vgpr41_vgpr42
                                        ; implicit-def: $vgpr43_vgpr44
                                        ; implicit-def: $vgpr45_vgpr46
                                        ; implicit-def: $vgpr49_vgpr50
                                        ; implicit-def: $vgpr53_vgpr54
                                        ; implicit-def: $vgpr57_vgpr58
                                        ; implicit-def: $vgpr59_vgpr60
                                        ; implicit-def: $vgpr61_vgpr62
                                        ; implicit-def: $vgpr63_vgpr64
                                        ; implicit-def: $vgpr65_vgpr66
                                        ; implicit-def: $vgpr67_vgpr68
	s_cbranch_scc1 .LBB707_902
; %bb.901:                              ;   in Loop: Header=BB707_900 Depth=2
	s_lshl_b64 s[14:15], s[56:57], 3
	v_add_co_u32 v47, vcc_lo, v113, s14
	v_add_co_ci_u32_e64 v48, null, s15, v114, vcc_lo
	s_mov_b32 s14, 0
	v_add_co_u32 v55, vcc_lo, v47, 0x1000
	v_add_co_ci_u32_e64 v56, null, 0, v48, vcc_lo
	v_add_co_u32 v39, vcc_lo, v47, 0x2000
	v_add_co_ci_u32_e64 v40, null, 0, v48, vcc_lo
	;; [unrolled: 2-line block ×5, first 2 shown]
	s_clause 0x7
	global_load_dwordx2 v[37:38], v[39:40], off offset:-2048
	global_load_dwordx2 v[39:40], v[39:40], off
	global_load_dwordx2 v[41:42], v[43:44], off offset:-2048
	global_load_dwordx2 v[43:44], v[43:44], off
	global_load_dwordx2 v[45:46], v[49:50], off offset:-2048
	global_load_dwordx2 v[49:50], v[49:50], off
	global_load_dwordx2 v[53:54], v[51:52], off offset:-2048
	global_load_dwordx2 v[57:58], v[51:52], off
	v_add_co_u32 v51, vcc_lo, v47, 0x6000
	v_add_co_ci_u32_e64 v52, null, 0, v48, vcc_lo
	v_add_co_u32 v65, vcc_lo, v47, 0x7000
	v_add_co_ci_u32_e64 v66, null, 0, v48, vcc_lo
	;; [unrolled: 2-line block ×3, first 2 shown]
	s_clause 0x7
	global_load_dwordx2 v[59:60], v[51:52], off offset:-2048
	global_load_dwordx2 v[61:62], v[51:52], off
	global_load_dwordx2 v[63:64], v[65:66], off offset:-2048
	global_load_dwordx2 v[65:66], v[65:66], off
	global_load_dwordx2 v[47:48], v[47:48], off
	global_load_dwordx2 v[51:52], v[55:56], off offset:-2048
	global_load_dwordx2 v[55:56], v[55:56], off
	global_load_dwordx2 v[67:68], v[67:68], off
.LBB707_902:                            ;   in Loop: Header=BB707_900 Depth=2
	s_andn2_b32 vcc_lo, exec_lo, s14
	s_movk_i32 s14, 0x1000
	s_cbranch_vccnz .LBB707_921
; %bb.903:                              ;   in Loop: Header=BB707_900 Depth=2
	s_lshl_b64 s[14:15], s[56:57], 3
	s_mov_b32 s17, exec_lo
	s_add_u32 s14, s40, s14
	s_addc_u32 s15, s41, s15
	v_cmpx_gt_u32_e64 s5, v0
	s_cbranch_execnz .LBB707_953
; %bb.904:                              ;   in Loop: Header=BB707_900 Depth=2
	s_or_b32 exec_lo, exec_lo, s17
	s_mov_b32 s17, exec_lo
	v_cmpx_gt_u32_e64 s5, v74
	s_cbranch_execnz .LBB707_954
.LBB707_905:                            ;   in Loop: Header=BB707_900 Depth=2
	s_or_b32 exec_lo, exec_lo, s17
	s_mov_b32 s17, exec_lo
	v_cmpx_gt_u32_e64 s5, v77
	s_cbranch_execnz .LBB707_955
.LBB707_906:                            ;   in Loop: Header=BB707_900 Depth=2
	s_or_b32 exec_lo, exec_lo, s17
	s_mov_b32 s17, exec_lo
	v_cmpx_gt_u32_e64 s5, v78
	s_cbranch_execnz .LBB707_956
.LBB707_907:                            ;   in Loop: Header=BB707_900 Depth=2
	s_or_b32 exec_lo, exec_lo, s17
	s_mov_b32 s17, exec_lo
	v_cmpx_gt_u32_e64 s5, v79
	s_cbranch_execnz .LBB707_957
.LBB707_908:                            ;   in Loop: Header=BB707_900 Depth=2
	s_or_b32 exec_lo, exec_lo, s17
	s_mov_b32 s17, exec_lo
	v_cmpx_gt_u32_e64 s5, v80
	s_cbranch_execnz .LBB707_958
.LBB707_909:                            ;   in Loop: Header=BB707_900 Depth=2
	s_or_b32 exec_lo, exec_lo, s17
	s_mov_b32 s17, exec_lo
	v_cmpx_gt_u32_e64 s5, v81
	s_cbranch_execnz .LBB707_959
.LBB707_910:                            ;   in Loop: Header=BB707_900 Depth=2
	s_or_b32 exec_lo, exec_lo, s17
	s_mov_b32 s17, exec_lo
	v_cmpx_gt_u32_e64 s5, v82
	s_cbranch_execnz .LBB707_960
.LBB707_911:                            ;   in Loop: Header=BB707_900 Depth=2
	s_or_b32 exec_lo, exec_lo, s17
	s_mov_b32 s17, exec_lo
	v_cmpx_gt_u32_e64 s5, v83
	s_cbranch_execnz .LBB707_961
.LBB707_912:                            ;   in Loop: Header=BB707_900 Depth=2
	s_or_b32 exec_lo, exec_lo, s17
	s_mov_b32 s17, exec_lo
	v_cmpx_gt_u32_e64 s5, v84
	s_cbranch_execnz .LBB707_962
.LBB707_913:                            ;   in Loop: Header=BB707_900 Depth=2
	s_or_b32 exec_lo, exec_lo, s17
	s_mov_b32 s17, exec_lo
	v_cmpx_gt_u32_e64 s5, v85
	s_cbranch_execnz .LBB707_963
.LBB707_914:                            ;   in Loop: Header=BB707_900 Depth=2
	s_or_b32 exec_lo, exec_lo, s17
	s_mov_b32 s17, exec_lo
	v_cmpx_gt_u32_e64 s5, v86
	s_cbranch_execnz .LBB707_964
.LBB707_915:                            ;   in Loop: Header=BB707_900 Depth=2
	s_or_b32 exec_lo, exec_lo, s17
	s_mov_b32 s17, exec_lo
	v_cmpx_gt_u32_e64 s5, v87
	s_cbranch_execnz .LBB707_965
.LBB707_916:                            ;   in Loop: Header=BB707_900 Depth=2
	s_or_b32 exec_lo, exec_lo, s17
	s_mov_b32 s17, exec_lo
	v_cmpx_gt_u32_e64 s5, v88
	s_cbranch_execnz .LBB707_966
.LBB707_917:                            ;   in Loop: Header=BB707_900 Depth=2
	s_or_b32 exec_lo, exec_lo, s17
	s_mov_b32 s17, exec_lo
	v_cmpx_gt_u32_e64 s5, v89
	s_cbranch_execnz .LBB707_967
.LBB707_918:                            ;   in Loop: Header=BB707_900 Depth=2
	s_or_b32 exec_lo, exec_lo, s17
	s_mov_b32 s17, exec_lo
	v_cmpx_gt_u32_e64 s5, v90
	s_cbranch_execz .LBB707_920
.LBB707_919:                            ;   in Loop: Header=BB707_900 Depth=2
	v_lshlrev_b32_e32 v5, 3, v90
	global_load_dwordx2 v[5:6], v5, s[14:15]
.LBB707_920:                            ;   in Loop: Header=BB707_900 Depth=2
	s_or_b32 exec_lo, exec_lo, s17
	s_waitcnt vmcnt(0)
	v_mov_b32_e32 v48, v36
	v_mov_b32_e32 v52, v34
	;; [unrolled: 1-line block ×32, first 2 shown]
	s_mov_b32 s14, s5
.LBB707_921:                            ;   in Loop: Header=BB707_900 Depth=2
	s_waitcnt vmcnt(0)
	v_mov_b32_e32 v5, v67
	v_mov_b32_e32 v7, v65
	;; [unrolled: 1-line block ×32, first 2 shown]
	s_mov_b32 s15, exec_lo
	v_cmpx_gt_u32_e64 s14, v0
	s_cbranch_execnz .LBB707_937
; %bb.922:                              ;   in Loop: Header=BB707_900 Depth=2
	s_or_b32 exec_lo, exec_lo, s15
	s_mov_b32 s15, exec_lo
	v_cmpx_gt_u32_e64 s14, v74
	s_cbranch_execnz .LBB707_938
.LBB707_923:                            ;   in Loop: Header=BB707_900 Depth=2
	s_or_b32 exec_lo, exec_lo, s15
	s_mov_b32 s15, exec_lo
	v_cmpx_gt_u32_e64 s14, v77
	s_cbranch_execnz .LBB707_939
.LBB707_924:                            ;   in Loop: Header=BB707_900 Depth=2
	s_or_b32 exec_lo, exec_lo, s15
	s_mov_b32 s15, exec_lo
	v_cmpx_gt_u32_e64 s14, v78
	s_cbranch_execnz .LBB707_940
.LBB707_925:                            ;   in Loop: Header=BB707_900 Depth=2
	s_or_b32 exec_lo, exec_lo, s15
	s_mov_b32 s15, exec_lo
	v_cmpx_gt_u32_e64 s14, v79
	s_cbranch_execnz .LBB707_941
.LBB707_926:                            ;   in Loop: Header=BB707_900 Depth=2
	s_or_b32 exec_lo, exec_lo, s15
	s_mov_b32 s15, exec_lo
	v_cmpx_gt_u32_e64 s14, v80
	s_cbranch_execnz .LBB707_942
.LBB707_927:                            ;   in Loop: Header=BB707_900 Depth=2
	s_or_b32 exec_lo, exec_lo, s15
	s_mov_b32 s15, exec_lo
	v_cmpx_gt_u32_e64 s14, v81
	s_cbranch_execnz .LBB707_943
.LBB707_928:                            ;   in Loop: Header=BB707_900 Depth=2
	s_or_b32 exec_lo, exec_lo, s15
	s_mov_b32 s15, exec_lo
	v_cmpx_gt_u32_e64 s14, v82
	s_cbranch_execnz .LBB707_944
.LBB707_929:                            ;   in Loop: Header=BB707_900 Depth=2
	s_or_b32 exec_lo, exec_lo, s15
	s_mov_b32 s15, exec_lo
	v_cmpx_gt_u32_e64 s14, v83
	s_cbranch_execnz .LBB707_945
.LBB707_930:                            ;   in Loop: Header=BB707_900 Depth=2
	s_or_b32 exec_lo, exec_lo, s15
	s_mov_b32 s15, exec_lo
	v_cmpx_gt_u32_e64 s14, v84
	s_cbranch_execnz .LBB707_946
.LBB707_931:                            ;   in Loop: Header=BB707_900 Depth=2
	s_or_b32 exec_lo, exec_lo, s15
	s_mov_b32 s15, exec_lo
	v_cmpx_gt_u32_e64 s14, v85
	s_cbranch_execnz .LBB707_947
.LBB707_932:                            ;   in Loop: Header=BB707_900 Depth=2
	s_or_b32 exec_lo, exec_lo, s15
	s_mov_b32 s15, exec_lo
	v_cmpx_gt_u32_e64 s14, v86
	s_cbranch_execnz .LBB707_948
.LBB707_933:                            ;   in Loop: Header=BB707_900 Depth=2
	s_or_b32 exec_lo, exec_lo, s15
	s_mov_b32 s15, exec_lo
	v_cmpx_gt_u32_e64 s14, v87
	s_cbranch_execnz .LBB707_949
.LBB707_934:                            ;   in Loop: Header=BB707_900 Depth=2
	s_or_b32 exec_lo, exec_lo, s15
	s_mov_b32 s15, exec_lo
	v_cmpx_gt_u32_e64 s14, v88
	s_cbranch_execnz .LBB707_950
.LBB707_935:                            ;   in Loop: Header=BB707_900 Depth=2
	s_or_b32 exec_lo, exec_lo, s15
	s_mov_b32 s15, exec_lo
	v_cmpx_gt_u32_e64 s14, v89
	s_cbranch_execnz .LBB707_951
.LBB707_936:                            ;   in Loop: Header=BB707_900 Depth=2
	s_or_b32 exec_lo, exec_lo, s15
	v_cmp_gt_u32_e32 vcc_lo, s14, v90
	s_and_saveexec_b32 s14, vcc_lo
	s_cbranch_execz .LBB707_899
	s_branch .LBB707_952
.LBB707_937:                            ;   in Loop: Header=BB707_900 Depth=2
	v_xor_b32_e32 v38, 0x7fffffff, v36
	v_not_b32_e32 v37, v35
	v_lshrrev_b64 v[37:38], s46, v[37:38]
	v_and_b32_e32 v37, s52, v37
	v_lshl_or_b32 v37, v37, 4, v91
	ds_add_u32 v37, v119
	s_or_b32 exec_lo, exec_lo, s15
	s_mov_b32 s15, exec_lo
	v_cmpx_gt_u32_e64 s14, v74
	s_cbranch_execz .LBB707_923
.LBB707_938:                            ;   in Loop: Header=BB707_900 Depth=2
	v_xor_b32_e32 v38, 0x7fffffff, v34
	v_not_b32_e32 v37, v33
	v_lshrrev_b64 v[37:38], s46, v[37:38]
	v_and_b32_e32 v37, s52, v37
	v_lshl_or_b32 v37, v37, 4, v91
	ds_add_u32 v37, v119
	s_or_b32 exec_lo, exec_lo, s15
	s_mov_b32 s15, exec_lo
	v_cmpx_gt_u32_e64 s14, v77
	s_cbranch_execz .LBB707_924
.LBB707_939:                            ;   in Loop: Header=BB707_900 Depth=2
	v_xor_b32_e32 v38, 0x7fffffff, v32
	v_not_b32_e32 v37, v31
	v_lshrrev_b64 v[37:38], s46, v[37:38]
	v_and_b32_e32 v37, s52, v37
	v_lshl_or_b32 v37, v37, 4, v91
	ds_add_u32 v37, v119
	s_or_b32 exec_lo, exec_lo, s15
	s_mov_b32 s15, exec_lo
	v_cmpx_gt_u32_e64 s14, v78
	s_cbranch_execz .LBB707_925
.LBB707_940:                            ;   in Loop: Header=BB707_900 Depth=2
	v_xor_b32_e32 v38, 0x7fffffff, v30
	v_not_b32_e32 v37, v29
	v_lshrrev_b64 v[37:38], s46, v[37:38]
	v_and_b32_e32 v37, s52, v37
	v_lshl_or_b32 v37, v37, 4, v91
	ds_add_u32 v37, v119
	s_or_b32 exec_lo, exec_lo, s15
	s_mov_b32 s15, exec_lo
	v_cmpx_gt_u32_e64 s14, v79
	s_cbranch_execz .LBB707_926
.LBB707_941:                            ;   in Loop: Header=BB707_900 Depth=2
	v_xor_b32_e32 v38, 0x7fffffff, v28
	v_not_b32_e32 v37, v27
	v_lshrrev_b64 v[37:38], s46, v[37:38]
	v_and_b32_e32 v37, s52, v37
	v_lshl_or_b32 v37, v37, 4, v91
	ds_add_u32 v37, v119
	s_or_b32 exec_lo, exec_lo, s15
	s_mov_b32 s15, exec_lo
	v_cmpx_gt_u32_e64 s14, v80
	s_cbranch_execz .LBB707_927
.LBB707_942:                            ;   in Loop: Header=BB707_900 Depth=2
	v_xor_b32_e32 v38, 0x7fffffff, v26
	v_not_b32_e32 v37, v25
	v_lshrrev_b64 v[37:38], s46, v[37:38]
	v_and_b32_e32 v37, s52, v37
	v_lshl_or_b32 v37, v37, 4, v91
	ds_add_u32 v37, v119
	s_or_b32 exec_lo, exec_lo, s15
	s_mov_b32 s15, exec_lo
	v_cmpx_gt_u32_e64 s14, v81
	s_cbranch_execz .LBB707_928
.LBB707_943:                            ;   in Loop: Header=BB707_900 Depth=2
	v_xor_b32_e32 v38, 0x7fffffff, v24
	v_not_b32_e32 v37, v23
	v_lshrrev_b64 v[37:38], s46, v[37:38]
	v_and_b32_e32 v37, s52, v37
	v_lshl_or_b32 v37, v37, 4, v91
	ds_add_u32 v37, v119
	s_or_b32 exec_lo, exec_lo, s15
	s_mov_b32 s15, exec_lo
	v_cmpx_gt_u32_e64 s14, v82
	s_cbranch_execz .LBB707_929
.LBB707_944:                            ;   in Loop: Header=BB707_900 Depth=2
	v_xor_b32_e32 v38, 0x7fffffff, v22
	v_not_b32_e32 v37, v21
	v_lshrrev_b64 v[37:38], s46, v[37:38]
	v_and_b32_e32 v37, s52, v37
	v_lshl_or_b32 v37, v37, 4, v91
	ds_add_u32 v37, v119
	s_or_b32 exec_lo, exec_lo, s15
	s_mov_b32 s15, exec_lo
	v_cmpx_gt_u32_e64 s14, v83
	s_cbranch_execz .LBB707_930
.LBB707_945:                            ;   in Loop: Header=BB707_900 Depth=2
	v_xor_b32_e32 v38, 0x7fffffff, v20
	v_not_b32_e32 v37, v19
	v_lshrrev_b64 v[37:38], s46, v[37:38]
	v_and_b32_e32 v37, s52, v37
	v_lshl_or_b32 v37, v37, 4, v91
	ds_add_u32 v37, v119
	s_or_b32 exec_lo, exec_lo, s15
	s_mov_b32 s15, exec_lo
	v_cmpx_gt_u32_e64 s14, v84
	s_cbranch_execz .LBB707_931
.LBB707_946:                            ;   in Loop: Header=BB707_900 Depth=2
	v_xor_b32_e32 v38, 0x7fffffff, v18
	v_not_b32_e32 v37, v17
	v_lshrrev_b64 v[37:38], s46, v[37:38]
	v_and_b32_e32 v37, s52, v37
	v_lshl_or_b32 v37, v37, 4, v91
	ds_add_u32 v37, v119
	s_or_b32 exec_lo, exec_lo, s15
	s_mov_b32 s15, exec_lo
	v_cmpx_gt_u32_e64 s14, v85
	s_cbranch_execz .LBB707_932
.LBB707_947:                            ;   in Loop: Header=BB707_900 Depth=2
	v_xor_b32_e32 v38, 0x7fffffff, v16
	v_not_b32_e32 v37, v15
	v_lshrrev_b64 v[37:38], s46, v[37:38]
	v_and_b32_e32 v37, s52, v37
	v_lshl_or_b32 v37, v37, 4, v91
	ds_add_u32 v37, v119
	s_or_b32 exec_lo, exec_lo, s15
	s_mov_b32 s15, exec_lo
	v_cmpx_gt_u32_e64 s14, v86
	s_cbranch_execz .LBB707_933
.LBB707_948:                            ;   in Loop: Header=BB707_900 Depth=2
	v_xor_b32_e32 v38, 0x7fffffff, v14
	v_not_b32_e32 v37, v13
	v_lshrrev_b64 v[37:38], s46, v[37:38]
	v_and_b32_e32 v37, s52, v37
	v_lshl_or_b32 v37, v37, 4, v91
	ds_add_u32 v37, v119
	s_or_b32 exec_lo, exec_lo, s15
	s_mov_b32 s15, exec_lo
	v_cmpx_gt_u32_e64 s14, v87
	s_cbranch_execz .LBB707_934
.LBB707_949:                            ;   in Loop: Header=BB707_900 Depth=2
	v_xor_b32_e32 v38, 0x7fffffff, v12
	v_not_b32_e32 v37, v11
	v_lshrrev_b64 v[37:38], s46, v[37:38]
	v_and_b32_e32 v37, s52, v37
	v_lshl_or_b32 v37, v37, 4, v91
	ds_add_u32 v37, v119
	s_or_b32 exec_lo, exec_lo, s15
	s_mov_b32 s15, exec_lo
	v_cmpx_gt_u32_e64 s14, v88
	s_cbranch_execz .LBB707_935
.LBB707_950:                            ;   in Loop: Header=BB707_900 Depth=2
	v_xor_b32_e32 v38, 0x7fffffff, v10
	v_not_b32_e32 v37, v9
	v_lshrrev_b64 v[37:38], s46, v[37:38]
	v_and_b32_e32 v37, s52, v37
	v_lshl_or_b32 v37, v37, 4, v91
	ds_add_u32 v37, v119
	s_or_b32 exec_lo, exec_lo, s15
	s_mov_b32 s15, exec_lo
	v_cmpx_gt_u32_e64 s14, v89
	s_cbranch_execz .LBB707_936
.LBB707_951:                            ;   in Loop: Header=BB707_900 Depth=2
	v_xor_b32_e32 v38, 0x7fffffff, v8
	v_not_b32_e32 v37, v7
	v_lshrrev_b64 v[37:38], s46, v[37:38]
	v_and_b32_e32 v37, s52, v37
	v_lshl_or_b32 v37, v37, 4, v91
	ds_add_u32 v37, v119
	s_or_b32 exec_lo, exec_lo, s15
	v_cmp_gt_u32_e32 vcc_lo, s14, v90
	s_and_saveexec_b32 s14, vcc_lo
	s_cbranch_execz .LBB707_899
.LBB707_952:                            ;   in Loop: Header=BB707_900 Depth=2
	v_xor_b32_e32 v38, 0x7fffffff, v6
	v_not_b32_e32 v37, v5
	v_lshrrev_b64 v[37:38], s46, v[37:38]
	v_and_b32_e32 v37, s52, v37
	v_lshl_or_b32 v37, v37, 4, v91
	ds_add_u32 v37, v119
	s_branch .LBB707_899
.LBB707_953:                            ;   in Loop: Header=BB707_900 Depth=2
	global_load_dwordx2 v[35:36], v120, s[14:15]
	s_or_b32 exec_lo, exec_lo, s17
	s_mov_b32 s17, exec_lo
	v_cmpx_gt_u32_e64 s5, v74
	s_cbranch_execz .LBB707_905
.LBB707_954:                            ;   in Loop: Header=BB707_900 Depth=2
	global_load_dwordx2 v[33:34], v121, s[14:15]
	s_or_b32 exec_lo, exec_lo, s17
	s_mov_b32 s17, exec_lo
	v_cmpx_gt_u32_e64 s5, v77
	s_cbranch_execz .LBB707_906
.LBB707_955:                            ;   in Loop: Header=BB707_900 Depth=2
	global_load_dwordx2 v[31:32], v122, s[14:15]
	s_or_b32 exec_lo, exec_lo, s17
	s_mov_b32 s17, exec_lo
	v_cmpx_gt_u32_e64 s5, v78
	s_cbranch_execz .LBB707_907
.LBB707_956:                            ;   in Loop: Header=BB707_900 Depth=2
	global_load_dwordx2 v[29:30], v123, s[14:15]
	s_or_b32 exec_lo, exec_lo, s17
	s_mov_b32 s17, exec_lo
	v_cmpx_gt_u32_e64 s5, v79
	s_cbranch_execz .LBB707_908
.LBB707_957:                            ;   in Loop: Header=BB707_900 Depth=2
	global_load_dwordx2 v[27:28], v124, s[14:15]
	s_or_b32 exec_lo, exec_lo, s17
	s_mov_b32 s17, exec_lo
	v_cmpx_gt_u32_e64 s5, v80
	s_cbranch_execz .LBB707_909
.LBB707_958:                            ;   in Loop: Header=BB707_900 Depth=2
	global_load_dwordx2 v[25:26], v125, s[14:15]
	s_or_b32 exec_lo, exec_lo, s17
	s_mov_b32 s17, exec_lo
	v_cmpx_gt_u32_e64 s5, v81
	s_cbranch_execz .LBB707_910
.LBB707_959:                            ;   in Loop: Header=BB707_900 Depth=2
	v_lshlrev_b32_e32 v23, 3, v81
	global_load_dwordx2 v[23:24], v23, s[14:15]
	s_or_b32 exec_lo, exec_lo, s17
	s_mov_b32 s17, exec_lo
	v_cmpx_gt_u32_e64 s5, v82
	s_cbranch_execz .LBB707_911
.LBB707_960:                            ;   in Loop: Header=BB707_900 Depth=2
	v_lshlrev_b32_e32 v21, 3, v82
	global_load_dwordx2 v[21:22], v21, s[14:15]
	s_or_b32 exec_lo, exec_lo, s17
	s_mov_b32 s17, exec_lo
	v_cmpx_gt_u32_e64 s5, v83
	s_cbranch_execz .LBB707_912
.LBB707_961:                            ;   in Loop: Header=BB707_900 Depth=2
	v_lshlrev_b32_e32 v19, 3, v83
	global_load_dwordx2 v[19:20], v19, s[14:15]
	s_or_b32 exec_lo, exec_lo, s17
	s_mov_b32 s17, exec_lo
	v_cmpx_gt_u32_e64 s5, v84
	s_cbranch_execz .LBB707_913
.LBB707_962:                            ;   in Loop: Header=BB707_900 Depth=2
	v_lshlrev_b32_e32 v17, 3, v84
	global_load_dwordx2 v[17:18], v17, s[14:15]
	s_or_b32 exec_lo, exec_lo, s17
	s_mov_b32 s17, exec_lo
	v_cmpx_gt_u32_e64 s5, v85
	s_cbranch_execz .LBB707_914
.LBB707_963:                            ;   in Loop: Header=BB707_900 Depth=2
	v_lshlrev_b32_e32 v15, 3, v85
	global_load_dwordx2 v[15:16], v15, s[14:15]
	s_or_b32 exec_lo, exec_lo, s17
	s_mov_b32 s17, exec_lo
	v_cmpx_gt_u32_e64 s5, v86
	s_cbranch_execz .LBB707_915
.LBB707_964:                            ;   in Loop: Header=BB707_900 Depth=2
	v_lshlrev_b32_e32 v13, 3, v86
	global_load_dwordx2 v[13:14], v13, s[14:15]
	s_or_b32 exec_lo, exec_lo, s17
	s_mov_b32 s17, exec_lo
	v_cmpx_gt_u32_e64 s5, v87
	s_cbranch_execz .LBB707_916
.LBB707_965:                            ;   in Loop: Header=BB707_900 Depth=2
	v_lshlrev_b32_e32 v11, 3, v87
	global_load_dwordx2 v[11:12], v11, s[14:15]
	s_or_b32 exec_lo, exec_lo, s17
	s_mov_b32 s17, exec_lo
	v_cmpx_gt_u32_e64 s5, v88
	s_cbranch_execz .LBB707_917
.LBB707_966:                            ;   in Loop: Header=BB707_900 Depth=2
	v_lshlrev_b32_e32 v9, 3, v88
	global_load_dwordx2 v[9:10], v9, s[14:15]
	s_or_b32 exec_lo, exec_lo, s17
	s_mov_b32 s17, exec_lo
	v_cmpx_gt_u32_e64 s5, v89
	s_cbranch_execz .LBB707_918
.LBB707_967:                            ;   in Loop: Header=BB707_900 Depth=2
	v_lshlrev_b32_e32 v7, 3, v89
	global_load_dwordx2 v[7:8], v7, s[14:15]
	s_or_b32 exec_lo, exec_lo, s17
	s_mov_b32 s17, exec_lo
	v_cmpx_gt_u32_e64 s5, v90
	s_cbranch_execnz .LBB707_919
	s_branch .LBB707_920
.LBB707_968:                            ;   in Loop: Header=BB707_12 Depth=1
	v_mov_b32_e32 v5, 0
	s_waitcnt lgkmcnt(0)
	s_barrier
	buffer_gl0_inv
	s_and_saveexec_b32 s5, s7
	s_cbranch_execz .LBB707_970
; %bb.969:                              ;   in Loop: Header=BB707_12 Depth=1
	ds_read2_b64 v[5:8], v93 offset1:1
	s_waitcnt lgkmcnt(0)
	v_add_nc_u32_e32 v5, v6, v5
	v_add3_u32 v5, v5, v7, v8
.LBB707_970:                            ;   in Loop: Header=BB707_12 Depth=1
	s_or_b32 exec_lo, exec_lo, s5
	v_and_b32_e32 v6, 15, v126
	v_mov_b32_dpp v7, v5 row_shr:1 row_mask:0xf bank_mask:0xf
	v_and_b32_e32 v8, 16, v126
	v_cmp_eq_u32_e64 s5, 0, v6
	v_cmp_lt_u32_e64 s14, 1, v6
	v_cmp_lt_u32_e64 s15, 3, v6
	;; [unrolled: 1-line block ×3, first 2 shown]
	v_cmp_eq_u32_e64 s17, 0, v8
	v_cndmask_b32_e64 v7, v7, 0, s5
	v_add_nc_u32_e32 v5, v7, v5
	v_mov_b32_dpp v7, v5 row_shr:2 row_mask:0xf bank_mask:0xf
	v_cndmask_b32_e64 v7, 0, v7, s14
	v_add_nc_u32_e32 v5, v5, v7
	v_mov_b32_dpp v7, v5 row_shr:4 row_mask:0xf bank_mask:0xf
	;; [unrolled: 3-line block ×3, first 2 shown]
	v_cndmask_b32_e64 v6, 0, v7, s16
	v_bfe_i32 v7, v126, 4, 1
	v_add_nc_u32_e32 v5, v5, v6
	ds_swizzle_b32 v6, v5 offset:swizzle(BROADCAST,32,15)
	s_waitcnt lgkmcnt(0)
	v_and_b32_e32 v6, v7, v6
	v_add_nc_u32_e32 v5, v5, v6
	s_and_saveexec_b32 s18, s8
; %bb.971:                              ;   in Loop: Header=BB707_12 Depth=1
	ds_write_b32 v94, v5
; %bb.972:                              ;   in Loop: Header=BB707_12 Depth=1
	s_or_b32 exec_lo, exec_lo, s18
	s_waitcnt lgkmcnt(0)
	s_barrier
	buffer_gl0_inv
	s_and_saveexec_b32 s18, s9
	s_cbranch_execz .LBB707_974
; %bb.973:                              ;   in Loop: Header=BB707_12 Depth=1
	ds_read_b32 v6, v95
	v_and_b32_e32 v7, 3, v126
	v_cmp_ne_u32_e32 vcc_lo, 0, v7
	s_waitcnt lgkmcnt(0)
	v_mov_b32_dpp v8, v6 row_shr:1 row_mask:0xf bank_mask:0xf
	v_cndmask_b32_e32 v8, 0, v8, vcc_lo
	v_cmp_lt_u32_e32 vcc_lo, 1, v7
	v_add_nc_u32_e32 v6, v8, v6
	v_mov_b32_dpp v8, v6 row_shr:2 row_mask:0xf bank_mask:0xf
	v_cndmask_b32_e32 v7, 0, v8, vcc_lo
	v_add_nc_u32_e32 v6, v6, v7
	ds_write_b32 v95, v6
.LBB707_974:                            ;   in Loop: Header=BB707_12 Depth=1
	s_or_b32 exec_lo, exec_lo, s18
	v_mov_b32_e32 v6, 0
	s_waitcnt lgkmcnt(0)
	s_barrier
	buffer_gl0_inv
	s_and_saveexec_b32 s18, s10
; %bb.975:                              ;   in Loop: Header=BB707_12 Depth=1
	ds_read_b32 v6, v96
; %bb.976:                              ;   in Loop: Header=BB707_12 Depth=1
	s_or_b32 exec_lo, exec_lo, s18
	v_sub_co_u32 v7, s18, v126, 1
	s_waitcnt lgkmcnt(0)
	v_add_nc_u32_e32 v5, v6, v5
	s_barrier
	v_cmp_gt_i32_e32 vcc_lo, 0, v7
	buffer_gl0_inv
	v_cndmask_b32_e32 v7, v7, v126, vcc_lo
	v_lshlrev_b32_e32 v127, 2, v7
	ds_bpermute_b32 v5, v127, v5
	s_and_saveexec_b32 s19, s7
	s_cbranch_execz .LBB707_978
; %bb.977:                              ;   in Loop: Header=BB707_12 Depth=1
	s_waitcnt lgkmcnt(0)
	v_cndmask_b32_e64 v5, v5, v6, s18
	v_add_nc_u32_e32 v5, s60, v5
	ds_write_b32 v73, v5
.LBB707_978:                            ;   in Loop: Header=BB707_12 Depth=1
	s_or_b32 exec_lo, exec_lo, s19
	s_load_dwordx2 s[20:21], s[58:59], 0x0
	v_lshlrev_b32_e32 v8, 3, v126
	v_and_b32_e32 v7, 7, v126
	v_or_b32_e32 v128, v126, v97
	s_mov_b32 s63, s62
	s_mov_b32 s56, s60
	v_add_co_u32 v129, vcc_lo, v115, v8
	v_add_co_ci_u32_e64 v130, null, 0, v116, vcc_lo
	v_add_co_u32 v146, vcc_lo, v117, v8
	v_or_b32_e32 v131, 32, v128
	v_or_b32_e32 v132, 64, v128
	;; [unrolled: 1-line block ×8, first 2 shown]
	s_waitcnt lgkmcnt(0)
	s_cmp_lt_u32 s27, s21
	v_or_b32_e32 v139, 0x120, v128
	s_cselect_b32 s19, 14, 20
	v_or_b32_e32 v140, 0x140, v128
	s_add_u32 s22, s58, s19
	s_addc_u32 s23, s59, 0
	s_cmp_lt_u32 s6, s20
	global_load_ushort v5, v3, s[22:23]
	s_cselect_b32 s19, 12, 18
	v_or_b32_e32 v141, 0x160, v128
	s_add_u32 s20, s58, s19
	s_addc_u32 s21, s59, 0
	v_cmp_eq_u32_e64 s19, 0, v7
	global_load_ushort v6, v3, s[20:21]
	v_cmp_lt_u32_e64 s20, 1, v7
	v_cmp_lt_u32_e64 s21, 3, v7
	v_or_b32_e32 v142, 0x180, v128
	v_or_b32_e32 v143, 0x1a0, v128
	;; [unrolled: 1-line block ×4, first 2 shown]
	v_add_co_ci_u32_e64 v147, null, 0, v118, vcc_lo
                                        ; implicit-def: $vgpr7_vgpr8
                                        ; implicit-def: $vgpr9_vgpr10
                                        ; implicit-def: $vgpr11_vgpr12
                                        ; implicit-def: $vgpr13_vgpr14
                                        ; implicit-def: $vgpr17_vgpr18
                                        ; implicit-def: $vgpr21_vgpr22
                                        ; implicit-def: $vgpr25_vgpr26
                                        ; implicit-def: $vgpr15_vgpr16
                                        ; implicit-def: $vgpr19_vgpr20
                                        ; implicit-def: $vgpr23_vgpr24
                                        ; implicit-def: $vgpr27_vgpr28
                                        ; implicit-def: $vgpr29_vgpr30
                                        ; implicit-def: $vgpr31_vgpr32
                                        ; implicit-def: $vgpr33_vgpr34
                                        ; implicit-def: $vgpr35_vgpr36
                                        ; implicit-def: $vgpr149
                                        ; implicit-def: $vgpr150
                                        ; implicit-def: $vgpr151
                                        ; implicit-def: $vgpr152
                                        ; implicit-def: $vgpr153
                                        ; implicit-def: $vgpr154
                                        ; implicit-def: $vgpr155
                                        ; implicit-def: $vgpr156
                                        ; implicit-def: $vgpr157
                                        ; implicit-def: $vgpr158
                                        ; implicit-def: $vgpr159
                                        ; implicit-def: $vgpr160
                                        ; implicit-def: $vgpr161
                                        ; implicit-def: $vgpr162
                                        ; implicit-def: $vgpr164
                                        ; implicit-def: $vgpr165
                                        ; implicit-def: $vgpr163
                                        ; implicit-def: $vgpr166
	s_waitcnt vmcnt(1)
	v_mad_u32_u24 v5, v2, v5, v1
	s_waitcnt vmcnt(0)
	v_mad_u64_u32 v[5:6], null, v5, v6, v[0:1]
	v_lshrrev_b32_e32 v5, 3, v5
	v_and_b32_e32 v148, 0x1ffffffc, v5
                                        ; implicit-def: $vgpr5_vgpr6
	s_branch .LBB707_980
.LBB707_979:                            ;   in Loop: Header=BB707_980 Depth=2
	s_or_b32 exec_lo, exec_lo, s22
	s_addk_i32 s63, 0xf000
	s_cmp_lt_u32 s64, s61
	s_mov_b32 s56, s64
	s_cbranch_scc0 .LBB707_10
.LBB707_980:                            ;   Parent Loop BB707_12 Depth=1
                                        ; =>  This Inner Loop Header: Depth=2
	s_add_i32 s64, s56, 0x1000
	s_cmp_gt_u32 s64, s61
	s_cbranch_scc1 .LBB707_982
; %bb.981:                              ;   in Loop: Header=BB707_980 Depth=2
	s_lshl_b64 s[22:23], s[56:57], 3
	v_add_co_u32 v37, vcc_lo, v146, s22
	v_add_co_ci_u32_e64 v38, null, s23, v147, vcc_lo
	v_add_co_u32 v45, vcc_lo, 0x800, v37
	v_add_co_ci_u32_e64 v46, null, 0, v38, vcc_lo
	s_clause 0xe
	global_load_dwordx2 v[39:40], v[37:38], off
	global_load_dwordx2 v[41:42], v[37:38], off offset:256
	global_load_dwordx2 v[43:44], v[37:38], off offset:512
	;; [unrolled: 1-line block ×7, first 2 shown]
	global_load_dwordx2 v[67:68], v[45:46], off
	global_load_dwordx2 v[63:64], v[45:46], off offset:256
	global_load_dwordx2 v[59:60], v[45:46], off offset:512
	;; [unrolled: 1-line block ×6, first 2 shown]
	s_mov_b32 s22, -1
	s_movk_i32 s23, 0x1000
	s_cbranch_execz .LBB707_983
	s_branch .LBB707_1014
.LBB707_982:                            ;   in Loop: Header=BB707_980 Depth=2
	s_mov_b32 s22, 0
                                        ; implicit-def: $vgpr39_vgpr40
                                        ; implicit-def: $vgpr41_vgpr42
                                        ; implicit-def: $vgpr43_vgpr44
                                        ; implicit-def: $vgpr47_vgpr48
                                        ; implicit-def: $vgpr53_vgpr54
                                        ; implicit-def: $vgpr57_vgpr58
                                        ; implicit-def: $vgpr61_vgpr62
                                        ; implicit-def: $vgpr65_vgpr66
                                        ; implicit-def: $vgpr67_vgpr68
                                        ; implicit-def: $vgpr63_vgpr64
                                        ; implicit-def: $vgpr59_vgpr60
                                        ; implicit-def: $vgpr55_vgpr56
                                        ; implicit-def: $vgpr51_vgpr52
                                        ; implicit-def: $vgpr49_vgpr50
                                        ; implicit-def: $vgpr45_vgpr46
	s_movk_i32 s23, 0x1000
.LBB707_983:                            ;   in Loop: Header=BB707_980 Depth=2
	s_waitcnt vmcnt(13)
	v_mov_b32_e32 v41, v3
	v_mov_b32_e32 v42, v4
	s_lshl_b64 s[22:23], s[56:57], 3
	v_add_co_u32 v37, vcc_lo, v146, s22
	v_mov_b32_e32 v39, v41
	v_add_co_ci_u32_e64 v38, null, s23, v147, vcc_lo
	v_mov_b32_e32 v40, v42
	s_mov_b32 s22, exec_lo
	v_cmpx_gt_u32_e64 s63, v128
	s_cbranch_execz .LBB707_985
; %bb.984:                              ;   in Loop: Header=BB707_980 Depth=2
	global_load_dwordx2 v[39:40], v[37:38], off
.LBB707_985:                            ;   in Loop: Header=BB707_980 Depth=2
	s_or_b32 exec_lo, exec_lo, s22
	s_mov_b32 s22, exec_lo
	v_cmpx_gt_u32_e64 s63, v131
	s_cbranch_execz .LBB707_987
; %bb.986:                              ;   in Loop: Header=BB707_980 Depth=2
	global_load_dwordx2 v[41:42], v[37:38], off offset:256
.LBB707_987:                            ;   in Loop: Header=BB707_980 Depth=2
	s_or_b32 exec_lo, exec_lo, s22
	s_waitcnt vmcnt(12)
	v_mov_b32_e32 v44, v4
	v_mov_b32_e32 v43, v3
	s_mov_b32 s22, exec_lo
	v_cmpx_gt_u32_e64 s63, v132
	s_cbranch_execz .LBB707_989
; %bb.988:                              ;   in Loop: Header=BB707_980 Depth=2
	global_load_dwordx2 v[43:44], v[37:38], off offset:512
.LBB707_989:                            ;   in Loop: Header=BB707_980 Depth=2
	s_or_b32 exec_lo, exec_lo, s22
	s_waitcnt vmcnt(11)
	v_mov_b32_e32 v48, v4
	v_mov_b32_e32 v47, v3
	s_mov_b32 s22, exec_lo
	v_cmpx_gt_u32_e64 s63, v133
	s_cbranch_execz .LBB707_991
; %bb.990:                              ;   in Loop: Header=BB707_980 Depth=2
	global_load_dwordx2 v[47:48], v[37:38], off offset:768
.LBB707_991:                            ;   in Loop: Header=BB707_980 Depth=2
	s_or_b32 exec_lo, exec_lo, s22
	s_waitcnt vmcnt(10)
	v_mov_b32_e32 v54, v4
	v_mov_b32_e32 v53, v3
	s_mov_b32 s22, exec_lo
	v_cmpx_gt_u32_e64 s63, v134
	s_cbranch_execz .LBB707_993
; %bb.992:                              ;   in Loop: Header=BB707_980 Depth=2
	global_load_dwordx2 v[53:54], v[37:38], off offset:1024
.LBB707_993:                            ;   in Loop: Header=BB707_980 Depth=2
	s_or_b32 exec_lo, exec_lo, s22
	s_waitcnt vmcnt(9)
	v_mov_b32_e32 v58, v4
	v_mov_b32_e32 v57, v3
	s_mov_b32 s22, exec_lo
	v_cmpx_gt_u32_e64 s63, v135
	s_cbranch_execz .LBB707_995
; %bb.994:                              ;   in Loop: Header=BB707_980 Depth=2
	global_load_dwordx2 v[57:58], v[37:38], off offset:1280
.LBB707_995:                            ;   in Loop: Header=BB707_980 Depth=2
	s_or_b32 exec_lo, exec_lo, s22
	s_waitcnt vmcnt(8)
	v_mov_b32_e32 v62, v4
	v_mov_b32_e32 v61, v3
	s_mov_b32 s22, exec_lo
	v_cmpx_gt_u32_e64 s63, v136
	s_cbranch_execz .LBB707_997
; %bb.996:                              ;   in Loop: Header=BB707_980 Depth=2
	global_load_dwordx2 v[61:62], v[37:38], off offset:1536
.LBB707_997:                            ;   in Loop: Header=BB707_980 Depth=2
	s_or_b32 exec_lo, exec_lo, s22
	s_waitcnt vmcnt(7)
	v_mov_b32_e32 v66, v4
	v_mov_b32_e32 v65, v3
	s_mov_b32 s22, exec_lo
	v_cmpx_gt_u32_e64 s63, v137
	s_cbranch_execz .LBB707_999
; %bb.998:                              ;   in Loop: Header=BB707_980 Depth=2
	global_load_dwordx2 v[65:66], v[37:38], off offset:1792
.LBB707_999:                            ;   in Loop: Header=BB707_980 Depth=2
	s_or_b32 exec_lo, exec_lo, s22
	s_waitcnt vmcnt(6)
	v_mov_b32_e32 v68, v4
	v_mov_b32_e32 v67, v3
	s_mov_b32 s22, exec_lo
	v_cmpx_gt_u32_e64 s63, v138
	s_cbranch_execz .LBB707_1001
; %bb.1000:                             ;   in Loop: Header=BB707_980 Depth=2
	s_waitcnt vmcnt(0)
	v_add_co_u32 v45, vcc_lo, 0x800, v37
	v_add_co_ci_u32_e64 v46, null, 0, v38, vcc_lo
	global_load_dwordx2 v[67:68], v[45:46], off
.LBB707_1001:                           ;   in Loop: Header=BB707_980 Depth=2
	s_or_b32 exec_lo, exec_lo, s22
	s_waitcnt vmcnt(5)
	v_mov_b32_e32 v64, v4
	v_mov_b32_e32 v63, v3
	s_mov_b32 s22, exec_lo
	v_cmpx_gt_u32_e64 s63, v139
	s_cbranch_execz .LBB707_1003
; %bb.1002:                             ;   in Loop: Header=BB707_980 Depth=2
	s_waitcnt vmcnt(0)
	v_add_co_u32 v45, vcc_lo, 0x800, v37
	v_add_co_ci_u32_e64 v46, null, 0, v38, vcc_lo
	global_load_dwordx2 v[63:64], v[45:46], off offset:256
.LBB707_1003:                           ;   in Loop: Header=BB707_980 Depth=2
	s_or_b32 exec_lo, exec_lo, s22
	s_waitcnt vmcnt(4)
	v_mov_b32_e32 v60, v4
	v_mov_b32_e32 v59, v3
	s_mov_b32 s22, exec_lo
	v_cmpx_gt_u32_e64 s63, v140
	s_cbranch_execz .LBB707_1005
; %bb.1004:                             ;   in Loop: Header=BB707_980 Depth=2
	s_waitcnt vmcnt(0)
	v_add_co_u32 v45, vcc_lo, 0x800, v37
	v_add_co_ci_u32_e64 v46, null, 0, v38, vcc_lo
	global_load_dwordx2 v[59:60], v[45:46], off offset:512
.LBB707_1005:                           ;   in Loop: Header=BB707_980 Depth=2
	;; [unrolled: 13-line block ×5, first 2 shown]
	s_or_b32 exec_lo, exec_lo, s22
	s_waitcnt vmcnt(0)
	v_mov_b32_e32 v46, v4
	v_mov_b32_e32 v45, v3
	s_mov_b32 s22, exec_lo
	v_cmpx_gt_u32_e64 s63, v144
	s_cbranch_execz .LBB707_1013
; %bb.1012:                             ;   in Loop: Header=BB707_980 Depth=2
	v_add_co_u32 v37, vcc_lo, 0x800, v37
	v_add_co_ci_u32_e64 v38, null, 0, v38, vcc_lo
	global_load_dwordx2 v[45:46], v[37:38], off offset:1536
.LBB707_1013:                           ;   in Loop: Header=BB707_980 Depth=2
	s_or_b32 exec_lo, exec_lo, s22
	v_cmp_gt_u32_e64 s22, s63, v145
	s_sub_i32 s23, s61, s56
.LBB707_1014:                           ;   in Loop: Header=BB707_980 Depth=2
	v_mov_b32_e32 v37, -1
	v_mov_b32_e32 v38, -1
	v_mov_b32_e32 v167, s63
	s_and_saveexec_b32 s24, s22
	s_cbranch_execz .LBB707_1016
; %bb.1015:                             ;   in Loop: Header=BB707_980 Depth=2
	s_lshl_b64 s[28:29], s[56:57], 3
	v_mov_b32_e32 v167, s23
	v_add_co_u32 v37, vcc_lo, v146, s28
	v_add_co_ci_u32_e64 v38, null, s29, v147, vcc_lo
	v_add_co_u32 v37, vcc_lo, 0x800, v37
	v_add_co_ci_u32_e64 v38, null, 0, v38, vcc_lo
	global_load_dwordx2 v[37:38], v[37:38], off offset:1792
	s_waitcnt vmcnt(0)
	v_xor_b32_e32 v38, 0x7fffffff, v38
	v_not_b32_e32 v37, v37
.LBB707_1016:                           ;   in Loop: Header=BB707_980 Depth=2
	s_or_b32 exec_lo, exec_lo, s24
	s_waitcnt vmcnt(14)
	v_xor_b32_e32 v40, 0x7fffffff, v40
	v_not_b32_e32 v39, v39
	ds_write2_b32 v98, v3, v3 offset0:136 offset1:137
	ds_write2_b32 v98, v3, v3 offset0:138 offset1:139
	ds_write_b32 v98, v3 offset:560
	s_waitcnt vmcnt(0) lgkmcnt(0)
	s_barrier
	v_lshrrev_b64 v[69:70], s46, v[39:40]
	buffer_gl0_inv
	; wave barrier
	v_and_b32_e32 v70, s52, v69
	v_and_b32_e32 v69, 1, v70
	v_lshlrev_b32_e32 v71, 30, v70
	v_lshlrev_b32_e32 v72, 29, v70
	;; [unrolled: 1-line block ×4, first 2 shown]
	v_add_co_u32 v69, s22, v69, -1
	v_cndmask_b32_e64 v168, 0, 1, s22
	v_not_b32_e32 v172, v71
	v_cmp_gt_i32_e64 s22, 0, v71
	v_not_b32_e32 v71, v72
	v_lshlrev_b32_e32 v171, 26, v70
	v_cmp_ne_u32_e32 vcc_lo, 0, v168
	v_ashrrev_i32_e32 v172, 31, v172
	v_lshlrev_b32_e32 v168, 25, v70
	v_ashrrev_i32_e32 v71, 31, v71
	v_mul_u32_u24_e32 v70, 36, v70
	v_xor_b32_e32 v69, vcc_lo, v69
	v_cmp_gt_i32_e32 vcc_lo, 0, v72
	v_not_b32_e32 v72, v169
	v_xor_b32_e32 v172, s22, v172
	v_cmp_gt_i32_e64 s22, 0, v169
	v_and_b32_e32 v69, exec_lo, v69
	v_not_b32_e32 v169, v170
	v_ashrrev_i32_e32 v72, 31, v72
	v_xor_b32_e32 v71, vcc_lo, v71
	v_cmp_gt_i32_e32 vcc_lo, 0, v170
	v_and_b32_e32 v69, v69, v172
	v_not_b32_e32 v170, v171
	v_ashrrev_i32_e32 v169, 31, v169
	v_xor_b32_e32 v72, s22, v72
	v_cmp_gt_i32_e64 s22, 0, v171
	v_and_b32_e32 v69, v69, v71
	v_not_b32_e32 v71, v168
	v_ashrrev_i32_e32 v170, 31, v170
	v_xor_b32_e32 v169, vcc_lo, v169
	v_cmp_gt_i32_e32 vcc_lo, 0, v168
	v_and_b32_e32 v69, v69, v72
	v_ashrrev_i32_e32 v71, 31, v71
	v_xor_b32_e32 v72, s22, v170
	v_and_b32_e32 v69, v69, v169
	v_xor_b32_e32 v71, vcc_lo, v71
	v_add_nc_u32_e32 v169, v148, v70
	v_and_b32_e32 v69, v69, v72
	v_and_b32_e32 v69, v69, v71
	v_mbcnt_lo_u32_b32 v168, v69, 0
	v_cmp_ne_u32_e64 s22, 0, v69
	v_cmp_eq_u32_e32 vcc_lo, 0, v168
	s_and_b32 s23, s22, vcc_lo
	s_and_saveexec_b32 s22, s23
; %bb.1017:                             ;   in Loop: Header=BB707_980 Depth=2
	v_bcnt_u32_b32 v69, v69, 0
	ds_write_b32 v169, v69 offset:544
; %bb.1018:                             ;   in Loop: Header=BB707_980 Depth=2
	s_or_b32 exec_lo, exec_lo, s22
	v_xor_b32_e32 v42, 0x7fffffff, v42
	v_not_b32_e32 v41, v41
	; wave barrier
	v_lshrrev_b64 v[69:70], s46, v[41:42]
	v_and_b32_e32 v70, s52, v69
	v_and_b32_e32 v69, 1, v70
	v_lshlrev_b32_e32 v71, 30, v70
	v_lshlrev_b32_e32 v72, 29, v70
	v_lshlrev_b32_e32 v171, 28, v70
	v_lshlrev_b32_e32 v172, 27, v70
	v_add_co_u32 v69, s22, v69, -1
	v_cndmask_b32_e64 v170, 0, 1, s22
	v_not_b32_e32 v174, v71
	v_cmp_gt_i32_e64 s22, 0, v71
	v_not_b32_e32 v71, v72
	v_lshlrev_b32_e32 v173, 26, v70
	v_cmp_ne_u32_e32 vcc_lo, 0, v170
	v_ashrrev_i32_e32 v174, 31, v174
	v_lshlrev_b32_e32 v170, 25, v70
	v_ashrrev_i32_e32 v71, 31, v71
	v_xor_b32_e32 v69, vcc_lo, v69
	v_cmp_gt_i32_e32 vcc_lo, 0, v72
	v_not_b32_e32 v72, v171
	v_xor_b32_e32 v174, s22, v174
	v_cmp_gt_i32_e64 s22, 0, v171
	v_and_b32_e32 v69, exec_lo, v69
	v_not_b32_e32 v171, v172
	v_ashrrev_i32_e32 v72, 31, v72
	v_xor_b32_e32 v71, vcc_lo, v71
	v_cmp_gt_i32_e32 vcc_lo, 0, v172
	v_and_b32_e32 v69, v69, v174
	v_not_b32_e32 v172, v173
	v_ashrrev_i32_e32 v171, 31, v171
	v_xor_b32_e32 v72, s22, v72
	v_cmp_gt_i32_e64 s22, 0, v173
	v_and_b32_e32 v69, v69, v71
	v_not_b32_e32 v71, v170
	v_ashrrev_i32_e32 v172, 31, v172
	v_xor_b32_e32 v171, vcc_lo, v171
	v_cmp_gt_i32_e32 vcc_lo, 0, v170
	v_and_b32_e32 v69, v69, v72
	v_ashrrev_i32_e32 v71, 31, v71
	v_xor_b32_e32 v72, s22, v172
	v_mad_u32_u24 v170, v70, 36, v148
	v_mul_u32_u24_e32 v70, 36, v70
	v_and_b32_e32 v69, v69, v171
	v_xor_b32_e32 v71, vcc_lo, v71
	ds_read_b32 v170, v170 offset:544
	v_add_nc_u32_e32 v172, v148, v70
	v_and_b32_e32 v69, v69, v72
	; wave barrier
	v_and_b32_e32 v69, v69, v71
	v_mbcnt_lo_u32_b32 v171, v69, 0
	v_cmp_ne_u32_e64 s22, 0, v69
	v_cmp_eq_u32_e32 vcc_lo, 0, v171
	s_and_b32 s23, s22, vcc_lo
	s_and_saveexec_b32 s22, s23
	s_cbranch_execz .LBB707_1020
; %bb.1019:                             ;   in Loop: Header=BB707_980 Depth=2
	s_waitcnt lgkmcnt(0)
	v_bcnt_u32_b32 v69, v69, v170
	ds_write_b32 v172, v69 offset:544
.LBB707_1020:                           ;   in Loop: Header=BB707_980 Depth=2
	s_or_b32 exec_lo, exec_lo, s22
	v_xor_b32_e32 v44, 0x7fffffff, v44
	v_not_b32_e32 v43, v43
	; wave barrier
	v_lshrrev_b64 v[69:70], s46, v[43:44]
	v_and_b32_e32 v70, s52, v69
	v_and_b32_e32 v69, 1, v70
	v_lshlrev_b32_e32 v71, 30, v70
	v_lshlrev_b32_e32 v72, 29, v70
	v_lshlrev_b32_e32 v174, 28, v70
	v_lshlrev_b32_e32 v175, 27, v70
	v_add_co_u32 v69, s22, v69, -1
	v_cndmask_b32_e64 v173, 0, 1, s22
	v_not_b32_e32 v177, v71
	v_cmp_gt_i32_e64 s22, 0, v71
	v_not_b32_e32 v71, v72
	v_lshlrev_b32_e32 v176, 26, v70
	v_cmp_ne_u32_e32 vcc_lo, 0, v173
	v_ashrrev_i32_e32 v177, 31, v177
	v_lshlrev_b32_e32 v173, 25, v70
	v_ashrrev_i32_e32 v71, 31, v71
	v_xor_b32_e32 v69, vcc_lo, v69
	v_cmp_gt_i32_e32 vcc_lo, 0, v72
	v_not_b32_e32 v72, v174
	v_xor_b32_e32 v177, s22, v177
	v_cmp_gt_i32_e64 s22, 0, v174
	v_and_b32_e32 v69, exec_lo, v69
	v_not_b32_e32 v174, v175
	v_ashrrev_i32_e32 v72, 31, v72
	v_xor_b32_e32 v71, vcc_lo, v71
	v_cmp_gt_i32_e32 vcc_lo, 0, v175
	v_and_b32_e32 v69, v69, v177
	v_not_b32_e32 v175, v176
	v_ashrrev_i32_e32 v174, 31, v174
	v_xor_b32_e32 v72, s22, v72
	v_cmp_gt_i32_e64 s22, 0, v176
	v_and_b32_e32 v69, v69, v71
	v_not_b32_e32 v71, v173
	v_ashrrev_i32_e32 v175, 31, v175
	v_xor_b32_e32 v174, vcc_lo, v174
	v_cmp_gt_i32_e32 vcc_lo, 0, v173
	v_and_b32_e32 v69, v69, v72
	v_ashrrev_i32_e32 v71, 31, v71
	v_xor_b32_e32 v72, s22, v175
	v_mad_u32_u24 v173, v70, 36, v148
	v_mul_u32_u24_e32 v70, 36, v70
	v_and_b32_e32 v69, v69, v174
	v_xor_b32_e32 v71, vcc_lo, v71
	ds_read_b32 v173, v173 offset:544
	v_add_nc_u32_e32 v175, v148, v70
	v_and_b32_e32 v69, v69, v72
	; wave barrier
	v_and_b32_e32 v69, v69, v71
	v_mbcnt_lo_u32_b32 v174, v69, 0
	v_cmp_ne_u32_e64 s22, 0, v69
	v_cmp_eq_u32_e32 vcc_lo, 0, v174
	s_and_b32 s23, s22, vcc_lo
	s_and_saveexec_b32 s22, s23
	s_cbranch_execz .LBB707_1022
; %bb.1021:                             ;   in Loop: Header=BB707_980 Depth=2
	s_waitcnt lgkmcnt(0)
	v_bcnt_u32_b32 v69, v69, v173
	ds_write_b32 v175, v69 offset:544
.LBB707_1022:                           ;   in Loop: Header=BB707_980 Depth=2
	;; [unrolled: 64-line block ×14, first 2 shown]
	s_or_b32 exec_lo, exec_lo, s22
	v_lshrrev_b64 v[69:70], s46, v[37:38]
	; wave barrier
	v_and_b32_e32 v70, s52, v69
	v_and_b32_e32 v69, 1, v70
	v_lshlrev_b32_e32 v71, 30, v70
	v_lshlrev_b32_e32 v72, 29, v70
	;; [unrolled: 1-line block ×4, first 2 shown]
	v_add_co_u32 v69, s22, v69, -1
	v_cndmask_b32_e64 v211, 0, 1, s22
	v_not_b32_e32 v216, v71
	v_cmp_gt_i32_e64 s22, 0, v71
	v_not_b32_e32 v71, v72
	v_lshlrev_b32_e32 v215, 26, v70
	v_cmp_ne_u32_e32 vcc_lo, 0, v211
	v_ashrrev_i32_e32 v216, 31, v216
	v_lshlrev_b32_e32 v211, 25, v70
	v_ashrrev_i32_e32 v71, 31, v71
	v_xor_b32_e32 v69, vcc_lo, v69
	v_cmp_gt_i32_e32 vcc_lo, 0, v72
	v_not_b32_e32 v72, v212
	v_xor_b32_e32 v216, s22, v216
	v_cmp_gt_i32_e64 s22, 0, v212
	v_and_b32_e32 v69, exec_lo, v69
	v_not_b32_e32 v212, v214
	v_ashrrev_i32_e32 v72, 31, v72
	v_xor_b32_e32 v71, vcc_lo, v71
	v_cmp_gt_i32_e32 vcc_lo, 0, v214
	v_and_b32_e32 v69, v69, v216
	v_not_b32_e32 v214, v215
	v_ashrrev_i32_e32 v212, 31, v212
	v_xor_b32_e32 v72, s22, v72
	v_cmp_gt_i32_e64 s22, 0, v215
	v_and_b32_e32 v69, v69, v71
	v_not_b32_e32 v71, v211
	v_ashrrev_i32_e32 v214, 31, v214
	v_xor_b32_e32 v212, vcc_lo, v212
	v_cmp_gt_i32_e32 vcc_lo, 0, v211
	v_and_b32_e32 v69, v69, v72
	v_ashrrev_i32_e32 v71, 31, v71
	v_xor_b32_e32 v72, s22, v214
	v_mad_u32_u24 v211, v70, 36, v148
	v_mul_u32_u24_e32 v70, 36, v70
	v_and_b32_e32 v69, v69, v212
	v_xor_b32_e32 v71, vcc_lo, v71
	ds_read_b32 v211, v211 offset:544
	v_add_nc_u32_e32 v214, v148, v70
	v_and_b32_e32 v69, v69, v72
	; wave barrier
	v_and_b32_e32 v69, v69, v71
	v_mbcnt_lo_u32_b32 v212, v69, 0
	v_cmp_ne_u32_e64 s22, 0, v69
	v_cmp_eq_u32_e32 vcc_lo, 0, v212
	s_and_b32 s23, s22, vcc_lo
	s_and_saveexec_b32 s22, s23
	s_cbranch_execz .LBB707_1048
; %bb.1047:                             ;   in Loop: Header=BB707_980 Depth=2
	s_waitcnt lgkmcnt(0)
	v_bcnt_u32_b32 v69, v69, v211
	ds_write_b32 v214, v69 offset:544
.LBB707_1048:                           ;   in Loop: Header=BB707_980 Depth=2
	s_or_b32 exec_lo, exec_lo, s22
	; wave barrier
	s_waitcnt lgkmcnt(0)
	s_barrier
	buffer_gl0_inv
	ds_read2_b32 v[71:72], v98 offset0:136 offset1:137
	ds_read2_b32 v[69:70], v98 offset0:138 offset1:139
	ds_read_b32 v215, v98 offset:560
	s_waitcnt lgkmcnt(1)
	v_add3_u32 v216, v72, v71, v69
	s_waitcnt lgkmcnt(0)
	v_add3_u32 v215, v216, v70, v215
	v_mov_b32_dpp v216, v215 row_shr:1 row_mask:0xf bank_mask:0xf
	v_cndmask_b32_e64 v216, v216, 0, s5
	v_add_nc_u32_e32 v215, v216, v215
	v_mov_b32_dpp v216, v215 row_shr:2 row_mask:0xf bank_mask:0xf
	v_cndmask_b32_e64 v216, 0, v216, s14
	v_add_nc_u32_e32 v215, v215, v216
	;; [unrolled: 3-line block ×4, first 2 shown]
	ds_swizzle_b32 v216, v215 offset:swizzle(BROADCAST,32,15)
	s_waitcnt lgkmcnt(0)
	v_cndmask_b32_e64 v216, v216, 0, s17
	v_add_nc_u32_e32 v215, v215, v216
	s_and_saveexec_b32 s22, s4
; %bb.1049:                             ;   in Loop: Header=BB707_980 Depth=2
	ds_write_b32 v92, v215 offset:512
; %bb.1050:                             ;   in Loop: Header=BB707_980 Depth=2
	s_or_b32 exec_lo, exec_lo, s22
	s_waitcnt lgkmcnt(0)
	s_barrier
	buffer_gl0_inv
	s_and_saveexec_b32 s22, s11
	s_cbranch_execz .LBB707_1052
; %bb.1051:                             ;   in Loop: Header=BB707_980 Depth=2
	ds_read_b32 v216, v99 offset:512
	s_waitcnt lgkmcnt(0)
	v_mov_b32_dpp v217, v216 row_shr:1 row_mask:0xf bank_mask:0xf
	v_cndmask_b32_e64 v217, v217, 0, s19
	v_add_nc_u32_e32 v216, v217, v216
	v_mov_b32_dpp v217, v216 row_shr:2 row_mask:0xf bank_mask:0xf
	v_cndmask_b32_e64 v217, 0, v217, s20
	v_add_nc_u32_e32 v216, v216, v217
	;; [unrolled: 3-line block ×3, first 2 shown]
	ds_write_b32 v99, v216 offset:512
.LBB707_1052:                           ;   in Loop: Header=BB707_980 Depth=2
	s_or_b32 exec_lo, exec_lo, s22
	v_mov_b32_e32 v216, 0
	s_waitcnt lgkmcnt(0)
	s_barrier
	buffer_gl0_inv
	s_and_saveexec_b32 s22, s10
; %bb.1053:                             ;   in Loop: Header=BB707_980 Depth=2
	ds_read_b32 v216, v92 offset:508
; %bb.1054:                             ;   in Loop: Header=BB707_980 Depth=2
	s_or_b32 exec_lo, exec_lo, s22
	s_waitcnt lgkmcnt(0)
	v_add_nc_u32_e32 v215, v216, v215
	ds_bpermute_b32 v215, v127, v215
	s_waitcnt lgkmcnt(0)
	v_cndmask_b32_e64 v215, v215, v216, s18
	v_cndmask_b32_e64 v215, v215, 0, s12
	v_add_nc_u32_e32 v71, v215, v71
	v_add_nc_u32_e32 v72, v71, v72
	;; [unrolled: 1-line block ×4, first 2 shown]
	ds_write2_b32 v98, v215, v71 offset0:136 offset1:137
	ds_write2_b32 v98, v72, v69 offset0:138 offset1:139
	ds_write_b32 v98, v70 offset:560
	s_waitcnt lgkmcnt(0)
	s_barrier
	buffer_gl0_inv
	ds_read_b32 v69, v169 offset:544
	ds_read_b32 v219, v172 offset:544
	;; [unrolled: 1-line block ×16, first 2 shown]
	s_and_saveexec_b32 s22, s7
	s_cbranch_execz .LBB707_1058
; %bb.1055:                             ;   in Loop: Header=BB707_980 Depth=2
	ds_read_b32 v163, v101 offset:544
	v_mov_b32_e32 v166, 0x1000
	s_and_saveexec_b32 s23, s13
; %bb.1056:                             ;   in Loop: Header=BB707_980 Depth=2
	ds_read_b32 v166, v100 offset:544
; %bb.1057:                             ;   in Loop: Header=BB707_980 Depth=2
	s_or_b32 exec_lo, exec_lo, s23
	s_waitcnt lgkmcnt(0)
	v_sub_nc_u32_e32 v166, v166, v163
.LBB707_1058:                           ;   in Loop: Header=BB707_980 Depth=2
	s_or_b32 exec_lo, exec_lo, s22
	s_waitcnt lgkmcnt(0)
	s_barrier
	buffer_gl0_inv
	s_and_saveexec_b32 s22, s7
	s_cbranch_execz .LBB707_1060
; %bb.1059:                             ;   in Loop: Header=BB707_980 Depth=2
	ds_read_b32 v191, v73
	s_waitcnt lgkmcnt(0)
	v_sub_nc_u32_e32 v191, v191, v163
	ds_write_b32 v73, v191
.LBB707_1060:                           ;   in Loop: Header=BB707_980 Depth=2
	s_or_b32 exec_lo, exec_lo, s22
	v_lshlrev_b32_e32 v168, 3, v168
	v_lshlrev_b32_e32 v171, 3, v171
	;; [unrolled: 1-line block ×5, first 2 shown]
	v_lshl_add_u32 v69, v69, 3, v168
	v_lshlrev_b32_e32 v168, 3, v173
	v_lshlrev_b32_e32 v173, 3, v70
	;; [unrolled: 1-line block ×3, first 2 shown]
	v_add3_u32 v70, v171, v170, v191
	ds_write_b64 v69, v[39:40] offset:512
	v_lshlrev_b32_e32 v40, 3, v176
	v_lshlrev_b32_e32 v170, 3, v218
	;; [unrolled: 1-line block ×8, first 2 shown]
	ds_write_b64 v70, v[41:42] offset:512
	v_add3_u32 v39, v174, v168, v173
	v_add3_u32 v40, v177, v40, v170
	;; [unrolled: 1-line block ×3, first 2 shown]
	v_lshlrev_b32_e32 v168, 3, v186
	v_lshlrev_b32_e32 v170, 3, v185
	;; [unrolled: 1-line block ×3, first 2 shown]
	v_add3_u32 v42, v180, v182, v183
	ds_write_b64 v39, v[43:44] offset:512
	ds_write_b64 v40, v[47:48] offset:512
	;; [unrolled: 1-line block ×4, first 2 shown]
	v_lshlrev_b32_e32 v44, 3, v189
	v_add3_u32 v43, v168, v170, v171
	v_lshlrev_b32_e32 v47, 3, v188
	v_lshlrev_b32_e32 v48, 3, v187
	;; [unrolled: 1-line block ×11, first 2 shown]
	v_add3_u32 v44, v44, v47, v48
	v_add3_u32 v47, v53, v54, v57
	;; [unrolled: 1-line block ×3, first 2 shown]
	v_lshlrev_b32_e32 v54, 3, v200
	v_lshlrev_b32_e32 v57, 3, v199
	;; [unrolled: 1-line block ×3, first 2 shown]
	v_add3_u32 v53, v171, v173, v174
	ds_write_b64 v43, v[61:62] offset:512
	ds_write_b64 v44, v[65:66] offset:512
	;; [unrolled: 1-line block ×5, first 2 shown]
	v_lshlrev_b32_e32 v59, 3, v172
	v_add3_u32 v54, v54, v57, v58
	v_lshlrev_b32_e32 v57, 3, v203
	v_lshlrev_b32_e32 v58, 3, v202
	;; [unrolled: 1-line block ×11, first 2 shown]
	v_add3_u32 v57, v57, v58, v59
	v_add3_u32 v58, v60, v61, v62
	;; [unrolled: 1-line block ×3, first 2 shown]
	ds_write_b64 v54, v[55:56] offset:512
	v_add3_u32 v55, v66, v67, v68
	v_cmp_lt_u32_e32 vcc_lo, v0, v167
	ds_write_b64 v57, v[51:52] offset:512
	ds_write_b64 v58, v[49:50] offset:512
	;; [unrolled: 1-line block ×4, first 2 shown]
	s_waitcnt lgkmcnt(0)
	s_barrier
	buffer_gl0_inv
	s_and_saveexec_b32 s23, vcc_lo
	s_cbranch_execnz .LBB707_1129
; %bb.1061:                             ;   in Loop: Header=BB707_980 Depth=2
	s_or_b32 exec_lo, exec_lo, s23
	v_cmp_lt_u32_e64 s22, v74, v167
	s_and_saveexec_b32 s24, s22
	s_cbranch_execnz .LBB707_1130
.LBB707_1062:                           ;   in Loop: Header=BB707_980 Depth=2
	s_or_b32 exec_lo, exec_lo, s24
	v_cmp_lt_u32_e64 s23, v77, v167
	s_and_saveexec_b32 s25, s23
	s_cbranch_execnz .LBB707_1131
.LBB707_1063:                           ;   in Loop: Header=BB707_980 Depth=2
	s_or_b32 exec_lo, exec_lo, s25
	v_cmp_lt_u32_e64 s24, v78, v167
	s_and_saveexec_b32 s26, s24
	s_cbranch_execnz .LBB707_1132
.LBB707_1064:                           ;   in Loop: Header=BB707_980 Depth=2
	s_or_b32 exec_lo, exec_lo, s26
	v_cmp_lt_u32_e64 s25, v79, v167
	s_and_saveexec_b32 s28, s25
	s_cbranch_execnz .LBB707_1133
.LBB707_1065:                           ;   in Loop: Header=BB707_980 Depth=2
	s_or_b32 exec_lo, exec_lo, s28
	v_cmp_lt_u32_e64 s26, v80, v167
	s_and_saveexec_b32 s29, s26
	s_cbranch_execnz .LBB707_1134
.LBB707_1066:                           ;   in Loop: Header=BB707_980 Depth=2
	s_or_b32 exec_lo, exec_lo, s29
	v_cmp_lt_u32_e64 s28, v81, v167
	s_and_saveexec_b32 s30, s28
	s_cbranch_execnz .LBB707_1135
.LBB707_1067:                           ;   in Loop: Header=BB707_980 Depth=2
	s_or_b32 exec_lo, exec_lo, s30
	v_cmp_lt_u32_e64 s29, v82, v167
	s_and_saveexec_b32 s31, s29
	s_cbranch_execnz .LBB707_1136
.LBB707_1068:                           ;   in Loop: Header=BB707_980 Depth=2
	s_or_b32 exec_lo, exec_lo, s31
	v_cmp_lt_u32_e64 s30, v83, v167
	s_and_saveexec_b32 s33, s30
	s_cbranch_execnz .LBB707_1137
.LBB707_1069:                           ;   in Loop: Header=BB707_980 Depth=2
	s_or_b32 exec_lo, exec_lo, s33
	v_cmp_lt_u32_e64 s31, v84, v167
	s_and_saveexec_b32 s34, s31
	s_cbranch_execnz .LBB707_1138
.LBB707_1070:                           ;   in Loop: Header=BB707_980 Depth=2
	s_or_b32 exec_lo, exec_lo, s34
	v_cmp_lt_u32_e64 s33, v85, v167
	s_and_saveexec_b32 s35, s33
	s_cbranch_execnz .LBB707_1139
.LBB707_1071:                           ;   in Loop: Header=BB707_980 Depth=2
	s_or_b32 exec_lo, exec_lo, s35
	v_cmp_lt_u32_e64 s34, v86, v167
	s_and_saveexec_b32 s36, s34
	s_cbranch_execnz .LBB707_1140
.LBB707_1072:                           ;   in Loop: Header=BB707_980 Depth=2
	s_or_b32 exec_lo, exec_lo, s36
	v_cmp_lt_u32_e64 s35, v87, v167
	s_and_saveexec_b32 s37, s35
	s_cbranch_execnz .LBB707_1141
.LBB707_1073:                           ;   in Loop: Header=BB707_980 Depth=2
	s_or_b32 exec_lo, exec_lo, s37
	v_cmp_lt_u32_e64 s36, v88, v167
	s_and_saveexec_b32 s38, s36
	s_cbranch_execnz .LBB707_1142
.LBB707_1074:                           ;   in Loop: Header=BB707_980 Depth=2
	s_or_b32 exec_lo, exec_lo, s38
	v_cmp_lt_u32_e64 s37, v89, v167
	s_and_saveexec_b32 s39, s37
	s_cbranch_execnz .LBB707_1143
.LBB707_1075:                           ;   in Loop: Header=BB707_980 Depth=2
	s_or_b32 exec_lo, exec_lo, s39
	v_cmp_lt_u32_e64 s38, v90, v167
	s_and_saveexec_b32 s65, s38
	s_cbranch_execz .LBB707_1077
.LBB707_1076:                           ;   in Loop: Header=BB707_980 Depth=2
	ds_read_b64 v[37:38], v106 offset:31232
	s_waitcnt lgkmcnt(0)
	v_lshrrev_b64 v[45:46], s46, v[37:38]
	v_mov_b32_e32 v46, v3
	v_xor_b32_e32 v38, 0x7fffffff, v38
	v_not_b32_e32 v37, v37
	v_and_b32_e32 v45, s52, v45
	v_lshlrev_b32_e32 v45, 2, v45
	ds_read_b32 v45, v45
	s_waitcnt lgkmcnt(0)
	v_add_nc_u32_e32 v45, v45, v90
	v_lshlrev_b64 v[45:46], 3, v[45:46]
	v_add_co_u32 v45, s39, s44, v45
	v_add_co_ci_u32_e64 v46, null, s45, v46, s39
	global_store_dwordx2 v[45:46], v[37:38], off
.LBB707_1077:                           ;   in Loop: Header=BB707_980 Depth=2
	s_or_b32 exec_lo, exec_lo, s65
	s_lshl_b64 s[66:67], s[56:57], 3
	v_add_co_u32 v37, s39, v129, s66
	v_add_co_ci_u32_e64 v38, null, s67, v130, s39
	v_cmp_lt_u32_e64 s39, v128, v167
	s_and_saveexec_b32 s56, s39
	s_xor_b32 s39, exec_lo, s56
	s_cbranch_execnz .LBB707_1144
; %bb.1078:                             ;   in Loop: Header=BB707_980 Depth=2
	s_or_b32 exec_lo, exec_lo, s39
	s_mov_b32 s56, exec_lo
	v_cmpx_lt_u32_e64 v131, v167
	s_cbranch_execnz .LBB707_1145
.LBB707_1079:                           ;   in Loop: Header=BB707_980 Depth=2
	s_or_b32 exec_lo, exec_lo, s56
	s_mov_b32 s56, exec_lo
	v_cmpx_lt_u32_e64 v132, v167
	s_cbranch_execnz .LBB707_1146
.LBB707_1080:                           ;   in Loop: Header=BB707_980 Depth=2
	s_or_b32 exec_lo, exec_lo, s56
	s_mov_b32 s56, exec_lo
	v_cmpx_lt_u32_e64 v133, v167
	s_cbranch_execnz .LBB707_1147
.LBB707_1081:                           ;   in Loop: Header=BB707_980 Depth=2
	s_or_b32 exec_lo, exec_lo, s56
	s_mov_b32 s56, exec_lo
	v_cmpx_lt_u32_e64 v134, v167
	s_cbranch_execnz .LBB707_1148
.LBB707_1082:                           ;   in Loop: Header=BB707_980 Depth=2
	s_or_b32 exec_lo, exec_lo, s56
	s_mov_b32 s56, exec_lo
	v_cmpx_lt_u32_e64 v135, v167
	s_cbranch_execnz .LBB707_1149
.LBB707_1083:                           ;   in Loop: Header=BB707_980 Depth=2
	s_or_b32 exec_lo, exec_lo, s56
	s_mov_b32 s56, exec_lo
	v_cmpx_lt_u32_e64 v136, v167
	s_cbranch_execnz .LBB707_1150
.LBB707_1084:                           ;   in Loop: Header=BB707_980 Depth=2
	s_or_b32 exec_lo, exec_lo, s56
	s_mov_b32 s56, exec_lo
	v_cmpx_lt_u32_e64 v137, v167
	s_cbranch_execnz .LBB707_1151
.LBB707_1085:                           ;   in Loop: Header=BB707_980 Depth=2
	s_or_b32 exec_lo, exec_lo, s56
	s_mov_b32 s56, exec_lo
	v_cmpx_lt_u32_e64 v138, v167
	s_cbranch_execnz .LBB707_1152
.LBB707_1086:                           ;   in Loop: Header=BB707_980 Depth=2
	s_or_b32 exec_lo, exec_lo, s56
	s_mov_b32 s56, exec_lo
	v_cmpx_lt_u32_e64 v139, v167
	s_cbranch_execnz .LBB707_1153
.LBB707_1087:                           ;   in Loop: Header=BB707_980 Depth=2
	s_or_b32 exec_lo, exec_lo, s56
	s_mov_b32 s56, exec_lo
	v_cmpx_lt_u32_e64 v140, v167
	s_cbranch_execnz .LBB707_1154
.LBB707_1088:                           ;   in Loop: Header=BB707_980 Depth=2
	s_or_b32 exec_lo, exec_lo, s56
	s_mov_b32 s56, exec_lo
	v_cmpx_lt_u32_e64 v141, v167
	s_cbranch_execnz .LBB707_1155
.LBB707_1089:                           ;   in Loop: Header=BB707_980 Depth=2
	s_or_b32 exec_lo, exec_lo, s56
	s_mov_b32 s56, exec_lo
	v_cmpx_lt_u32_e64 v142, v167
	s_cbranch_execnz .LBB707_1156
.LBB707_1090:                           ;   in Loop: Header=BB707_980 Depth=2
	s_or_b32 exec_lo, exec_lo, s56
	s_mov_b32 s56, exec_lo
	v_cmpx_lt_u32_e64 v143, v167
	s_cbranch_execnz .LBB707_1157
.LBB707_1091:                           ;   in Loop: Header=BB707_980 Depth=2
	s_or_b32 exec_lo, exec_lo, s56
	s_mov_b32 s56, exec_lo
	v_cmpx_lt_u32_e64 v144, v167
	s_cbranch_execnz .LBB707_1158
.LBB707_1092:                           ;   in Loop: Header=BB707_980 Depth=2
	s_or_b32 exec_lo, exec_lo, s56
	s_mov_b32 s56, exec_lo
	v_cmpx_lt_u32_e64 v145, v167
	s_cbranch_execnz .LBB707_1159
.LBB707_1093:                           ;   in Loop: Header=BB707_980 Depth=2
	s_or_b32 exec_lo, exec_lo, s56
	s_and_saveexec_b32 s39, vcc_lo
	s_cbranch_execnz .LBB707_1160
.LBB707_1094:                           ;   in Loop: Header=BB707_980 Depth=2
	s_or_b32 exec_lo, exec_lo, s39
	s_and_saveexec_b32 s39, s22
	s_cbranch_execnz .LBB707_1161
.LBB707_1095:                           ;   in Loop: Header=BB707_980 Depth=2
	s_or_b32 exec_lo, exec_lo, s39
	s_and_saveexec_b32 s39, s23
	s_cbranch_execnz .LBB707_1162
.LBB707_1096:                           ;   in Loop: Header=BB707_980 Depth=2
	s_or_b32 exec_lo, exec_lo, s39
	s_and_saveexec_b32 s39, s24
	s_cbranch_execnz .LBB707_1163
.LBB707_1097:                           ;   in Loop: Header=BB707_980 Depth=2
	s_or_b32 exec_lo, exec_lo, s39
	s_and_saveexec_b32 s39, s25
	s_cbranch_execnz .LBB707_1164
.LBB707_1098:                           ;   in Loop: Header=BB707_980 Depth=2
	s_or_b32 exec_lo, exec_lo, s39
	s_and_saveexec_b32 s39, s26
	s_cbranch_execnz .LBB707_1165
.LBB707_1099:                           ;   in Loop: Header=BB707_980 Depth=2
	s_or_b32 exec_lo, exec_lo, s39
	s_and_saveexec_b32 s39, s28
	s_cbranch_execnz .LBB707_1166
.LBB707_1100:                           ;   in Loop: Header=BB707_980 Depth=2
	s_or_b32 exec_lo, exec_lo, s39
	s_and_saveexec_b32 s39, s29
	s_cbranch_execnz .LBB707_1167
.LBB707_1101:                           ;   in Loop: Header=BB707_980 Depth=2
	s_or_b32 exec_lo, exec_lo, s39
	s_and_saveexec_b32 s39, s30
	s_cbranch_execnz .LBB707_1168
.LBB707_1102:                           ;   in Loop: Header=BB707_980 Depth=2
	s_or_b32 exec_lo, exec_lo, s39
	s_and_saveexec_b32 s39, s31
	s_cbranch_execnz .LBB707_1169
.LBB707_1103:                           ;   in Loop: Header=BB707_980 Depth=2
	s_or_b32 exec_lo, exec_lo, s39
	s_and_saveexec_b32 s39, s33
	s_cbranch_execnz .LBB707_1170
.LBB707_1104:                           ;   in Loop: Header=BB707_980 Depth=2
	s_or_b32 exec_lo, exec_lo, s39
	s_and_saveexec_b32 s39, s34
	s_cbranch_execnz .LBB707_1171
.LBB707_1105:                           ;   in Loop: Header=BB707_980 Depth=2
	s_or_b32 exec_lo, exec_lo, s39
	s_and_saveexec_b32 s39, s35
	s_cbranch_execnz .LBB707_1172
.LBB707_1106:                           ;   in Loop: Header=BB707_980 Depth=2
	s_or_b32 exec_lo, exec_lo, s39
	s_and_saveexec_b32 s39, s36
	s_cbranch_execnz .LBB707_1173
.LBB707_1107:                           ;   in Loop: Header=BB707_980 Depth=2
	s_or_b32 exec_lo, exec_lo, s39
	s_and_saveexec_b32 s39, s37
	s_cbranch_execnz .LBB707_1174
.LBB707_1108:                           ;   in Loop: Header=BB707_980 Depth=2
	s_or_b32 exec_lo, exec_lo, s39
	s_and_saveexec_b32 s39, s38
	s_cbranch_execz .LBB707_1110
.LBB707_1109:                           ;   in Loop: Header=BB707_980 Depth=2
	ds_read_b64 v[37:38], v106 offset:31232
	s_waitcnt lgkmcnt(0)
	v_lshrrev_b64 v[37:38], s46, v[37:38]
	v_and_b32_e32 v149, s52, v37
.LBB707_1110:                           ;   in Loop: Header=BB707_980 Depth=2
	s_or_b32 exec_lo, exec_lo, s39
	s_waitcnt vmcnt(0)
	s_waitcnt_vscnt null, 0x0
	s_barrier
	buffer_gl0_inv
	ds_write_b64 v69, v[35:36] offset:512
	ds_write_b64 v70, v[33:34] offset:512
	;; [unrolled: 1-line block ×16, first 2 shown]
	s_waitcnt lgkmcnt(0)
	s_barrier
	buffer_gl0_inv
	s_and_saveexec_b32 s39, vcc_lo
	s_cbranch_execnz .LBB707_1175
; %bb.1111:                             ;   in Loop: Header=BB707_980 Depth=2
	s_or_b32 exec_lo, exec_lo, s39
	s_and_saveexec_b32 s39, s22
	s_cbranch_execnz .LBB707_1176
.LBB707_1112:                           ;   in Loop: Header=BB707_980 Depth=2
	s_or_b32 exec_lo, exec_lo, s39
	s_and_saveexec_b32 s22, s23
	s_cbranch_execnz .LBB707_1177
.LBB707_1113:                           ;   in Loop: Header=BB707_980 Depth=2
	s_or_b32 exec_lo, exec_lo, s22
	s_and_saveexec_b32 s22, s24
	s_cbranch_execnz .LBB707_1178
.LBB707_1114:                           ;   in Loop: Header=BB707_980 Depth=2
	s_or_b32 exec_lo, exec_lo, s22
	s_and_saveexec_b32 s22, s25
	s_cbranch_execnz .LBB707_1179
.LBB707_1115:                           ;   in Loop: Header=BB707_980 Depth=2
	s_or_b32 exec_lo, exec_lo, s22
	s_and_saveexec_b32 s22, s26
	s_cbranch_execnz .LBB707_1180
.LBB707_1116:                           ;   in Loop: Header=BB707_980 Depth=2
	s_or_b32 exec_lo, exec_lo, s22
	s_and_saveexec_b32 s22, s28
	s_cbranch_execnz .LBB707_1181
.LBB707_1117:                           ;   in Loop: Header=BB707_980 Depth=2
	s_or_b32 exec_lo, exec_lo, s22
	s_and_saveexec_b32 s22, s29
	s_cbranch_execnz .LBB707_1182
.LBB707_1118:                           ;   in Loop: Header=BB707_980 Depth=2
	s_or_b32 exec_lo, exec_lo, s22
	s_and_saveexec_b32 s22, s30
	s_cbranch_execnz .LBB707_1183
.LBB707_1119:                           ;   in Loop: Header=BB707_980 Depth=2
	s_or_b32 exec_lo, exec_lo, s22
	s_and_saveexec_b32 s22, s31
	s_cbranch_execnz .LBB707_1184
.LBB707_1120:                           ;   in Loop: Header=BB707_980 Depth=2
	s_or_b32 exec_lo, exec_lo, s22
	s_and_saveexec_b32 s22, s33
	s_cbranch_execnz .LBB707_1185
.LBB707_1121:                           ;   in Loop: Header=BB707_980 Depth=2
	s_or_b32 exec_lo, exec_lo, s22
	s_and_saveexec_b32 s22, s34
	s_cbranch_execnz .LBB707_1186
.LBB707_1122:                           ;   in Loop: Header=BB707_980 Depth=2
	s_or_b32 exec_lo, exec_lo, s22
	s_and_saveexec_b32 s22, s35
	s_cbranch_execnz .LBB707_1187
.LBB707_1123:                           ;   in Loop: Header=BB707_980 Depth=2
	s_or_b32 exec_lo, exec_lo, s22
	s_and_saveexec_b32 s22, s36
	s_cbranch_execnz .LBB707_1188
.LBB707_1124:                           ;   in Loop: Header=BB707_980 Depth=2
	s_or_b32 exec_lo, exec_lo, s22
	s_and_saveexec_b32 s22, s37
	s_cbranch_execnz .LBB707_1189
.LBB707_1125:                           ;   in Loop: Header=BB707_980 Depth=2
	s_or_b32 exec_lo, exec_lo, s22
	s_and_saveexec_b32 s22, s38
	s_cbranch_execz .LBB707_1127
.LBB707_1126:                           ;   in Loop: Header=BB707_980 Depth=2
	v_lshlrev_b32_e32 v37, 2, v149
	v_mov_b32_e32 v40, v3
	ds_read_b32 v39, v37
	ds_read_b64 v[37:38], v106 offset:31232
	s_waitcnt lgkmcnt(1)
	v_add_nc_u32_e32 v39, v39, v90
	v_lshlrev_b64 v[39:40], 3, v[39:40]
	v_add_co_u32 v39, vcc_lo, s50, v39
	v_add_co_ci_u32_e64 v40, null, s51, v40, vcc_lo
	s_waitcnt lgkmcnt(0)
	global_store_dwordx2 v[39:40], v[37:38], off
.LBB707_1127:                           ;   in Loop: Header=BB707_980 Depth=2
	s_or_b32 exec_lo, exec_lo, s22
	s_waitcnt_vscnt null, 0x0
	s_barrier
	buffer_gl0_inv
	s_and_saveexec_b32 s22, s7
	s_cbranch_execz .LBB707_979
; %bb.1128:                             ;   in Loop: Header=BB707_980 Depth=2
	ds_read_b32 v37, v73
	s_waitcnt lgkmcnt(0)
	v_add3_u32 v37, v163, v166, v37
	ds_write_b32 v73, v37
	s_branch .LBB707_979
.LBB707_1129:                           ;   in Loop: Header=BB707_980 Depth=2
	ds_read_b64 v[37:38], v106 offset:512
	s_waitcnt lgkmcnt(0)
	v_lshrrev_b64 v[45:46], s46, v[37:38]
	v_mov_b32_e32 v46, v3
	v_xor_b32_e32 v38, 0x7fffffff, v38
	v_not_b32_e32 v37, v37
	v_and_b32_e32 v45, s52, v45
	v_lshlrev_b32_e32 v45, 2, v45
	ds_read_b32 v45, v45
	s_waitcnt lgkmcnt(0)
	v_add_nc_u32_e32 v45, v45, v0
	v_lshlrev_b64 v[45:46], 3, v[45:46]
	v_add_co_u32 v45, s22, s44, v45
	v_add_co_ci_u32_e64 v46, null, s45, v46, s22
	global_store_dwordx2 v[45:46], v[37:38], off
	s_or_b32 exec_lo, exec_lo, s23
	v_cmp_lt_u32_e64 s22, v74, v167
	s_and_saveexec_b32 s24, s22
	s_cbranch_execz .LBB707_1062
.LBB707_1130:                           ;   in Loop: Header=BB707_980 Depth=2
	ds_read_b64 v[37:38], v106 offset:2560
	s_waitcnt lgkmcnt(0)
	v_lshrrev_b64 v[45:46], s46, v[37:38]
	v_mov_b32_e32 v46, v3
	v_xor_b32_e32 v38, 0x7fffffff, v38
	v_not_b32_e32 v37, v37
	v_and_b32_e32 v45, s52, v45
	v_lshlrev_b32_e32 v45, 2, v45
	ds_read_b32 v45, v45
	s_waitcnt lgkmcnt(0)
	v_add_nc_u32_e32 v45, v45, v74
	v_lshlrev_b64 v[45:46], 3, v[45:46]
	v_add_co_u32 v45, s23, s44, v45
	v_add_co_ci_u32_e64 v46, null, s45, v46, s23
	global_store_dwordx2 v[45:46], v[37:38], off
	s_or_b32 exec_lo, exec_lo, s24
	v_cmp_lt_u32_e64 s23, v77, v167
	s_and_saveexec_b32 s25, s23
	s_cbranch_execz .LBB707_1063
.LBB707_1131:                           ;   in Loop: Header=BB707_980 Depth=2
	ds_read_b64 v[37:38], v106 offset:4608
	s_waitcnt lgkmcnt(0)
	v_lshrrev_b64 v[45:46], s46, v[37:38]
	v_mov_b32_e32 v46, v3
	v_xor_b32_e32 v38, 0x7fffffff, v38
	v_not_b32_e32 v37, v37
	v_and_b32_e32 v45, s52, v45
	v_lshlrev_b32_e32 v45, 2, v45
	ds_read_b32 v45, v45
	s_waitcnt lgkmcnt(0)
	v_add_nc_u32_e32 v45, v45, v77
	v_lshlrev_b64 v[45:46], 3, v[45:46]
	v_add_co_u32 v45, s24, s44, v45
	v_add_co_ci_u32_e64 v46, null, s45, v46, s24
	global_store_dwordx2 v[45:46], v[37:38], off
	s_or_b32 exec_lo, exec_lo, s25
	v_cmp_lt_u32_e64 s24, v78, v167
	s_and_saveexec_b32 s26, s24
	s_cbranch_execz .LBB707_1064
.LBB707_1132:                           ;   in Loop: Header=BB707_980 Depth=2
	ds_read_b64 v[37:38], v106 offset:6656
	s_waitcnt lgkmcnt(0)
	v_lshrrev_b64 v[45:46], s46, v[37:38]
	v_mov_b32_e32 v46, v3
	v_xor_b32_e32 v38, 0x7fffffff, v38
	v_not_b32_e32 v37, v37
	v_and_b32_e32 v45, s52, v45
	v_lshlrev_b32_e32 v45, 2, v45
	ds_read_b32 v45, v45
	s_waitcnt lgkmcnt(0)
	v_add_nc_u32_e32 v45, v45, v78
	v_lshlrev_b64 v[45:46], 3, v[45:46]
	v_add_co_u32 v45, s25, s44, v45
	v_add_co_ci_u32_e64 v46, null, s45, v46, s25
	global_store_dwordx2 v[45:46], v[37:38], off
	s_or_b32 exec_lo, exec_lo, s26
	v_cmp_lt_u32_e64 s25, v79, v167
	s_and_saveexec_b32 s28, s25
	s_cbranch_execz .LBB707_1065
.LBB707_1133:                           ;   in Loop: Header=BB707_980 Depth=2
	ds_read_b64 v[37:38], v106 offset:8704
	s_waitcnt lgkmcnt(0)
	v_lshrrev_b64 v[45:46], s46, v[37:38]
	v_mov_b32_e32 v46, v3
	v_xor_b32_e32 v38, 0x7fffffff, v38
	v_not_b32_e32 v37, v37
	v_and_b32_e32 v45, s52, v45
	v_lshlrev_b32_e32 v45, 2, v45
	ds_read_b32 v45, v45
	s_waitcnt lgkmcnt(0)
	v_add_nc_u32_e32 v45, v45, v79
	v_lshlrev_b64 v[45:46], 3, v[45:46]
	v_add_co_u32 v45, s26, s44, v45
	v_add_co_ci_u32_e64 v46, null, s45, v46, s26
	global_store_dwordx2 v[45:46], v[37:38], off
	s_or_b32 exec_lo, exec_lo, s28
	v_cmp_lt_u32_e64 s26, v80, v167
	s_and_saveexec_b32 s29, s26
	s_cbranch_execz .LBB707_1066
.LBB707_1134:                           ;   in Loop: Header=BB707_980 Depth=2
	ds_read_b64 v[37:38], v106 offset:10752
	s_waitcnt lgkmcnt(0)
	v_lshrrev_b64 v[45:46], s46, v[37:38]
	v_mov_b32_e32 v46, v3
	v_xor_b32_e32 v38, 0x7fffffff, v38
	v_not_b32_e32 v37, v37
	v_and_b32_e32 v45, s52, v45
	v_lshlrev_b32_e32 v45, 2, v45
	ds_read_b32 v45, v45
	s_waitcnt lgkmcnt(0)
	v_add_nc_u32_e32 v45, v45, v80
	v_lshlrev_b64 v[45:46], 3, v[45:46]
	v_add_co_u32 v45, s28, s44, v45
	v_add_co_ci_u32_e64 v46, null, s45, v46, s28
	global_store_dwordx2 v[45:46], v[37:38], off
	s_or_b32 exec_lo, exec_lo, s29
	v_cmp_lt_u32_e64 s28, v81, v167
	s_and_saveexec_b32 s30, s28
	s_cbranch_execz .LBB707_1067
.LBB707_1135:                           ;   in Loop: Header=BB707_980 Depth=2
	ds_read_b64 v[37:38], v106 offset:12800
	s_waitcnt lgkmcnt(0)
	v_lshrrev_b64 v[45:46], s46, v[37:38]
	v_mov_b32_e32 v46, v3
	v_xor_b32_e32 v38, 0x7fffffff, v38
	v_not_b32_e32 v37, v37
	v_and_b32_e32 v45, s52, v45
	v_lshlrev_b32_e32 v45, 2, v45
	ds_read_b32 v45, v45
	s_waitcnt lgkmcnt(0)
	v_add_nc_u32_e32 v45, v45, v81
	v_lshlrev_b64 v[45:46], 3, v[45:46]
	v_add_co_u32 v45, s29, s44, v45
	v_add_co_ci_u32_e64 v46, null, s45, v46, s29
	global_store_dwordx2 v[45:46], v[37:38], off
	s_or_b32 exec_lo, exec_lo, s30
	v_cmp_lt_u32_e64 s29, v82, v167
	s_and_saveexec_b32 s31, s29
	s_cbranch_execz .LBB707_1068
.LBB707_1136:                           ;   in Loop: Header=BB707_980 Depth=2
	ds_read_b64 v[37:38], v106 offset:14848
	s_waitcnt lgkmcnt(0)
	v_lshrrev_b64 v[45:46], s46, v[37:38]
	v_mov_b32_e32 v46, v3
	v_xor_b32_e32 v38, 0x7fffffff, v38
	v_not_b32_e32 v37, v37
	v_and_b32_e32 v45, s52, v45
	v_lshlrev_b32_e32 v45, 2, v45
	ds_read_b32 v45, v45
	s_waitcnt lgkmcnt(0)
	v_add_nc_u32_e32 v45, v45, v82
	v_lshlrev_b64 v[45:46], 3, v[45:46]
	v_add_co_u32 v45, s30, s44, v45
	v_add_co_ci_u32_e64 v46, null, s45, v46, s30
	global_store_dwordx2 v[45:46], v[37:38], off
	s_or_b32 exec_lo, exec_lo, s31
	v_cmp_lt_u32_e64 s30, v83, v167
	s_and_saveexec_b32 s33, s30
	s_cbranch_execz .LBB707_1069
.LBB707_1137:                           ;   in Loop: Header=BB707_980 Depth=2
	ds_read_b64 v[37:38], v106 offset:16896
	s_waitcnt lgkmcnt(0)
	v_lshrrev_b64 v[45:46], s46, v[37:38]
	v_mov_b32_e32 v46, v3
	v_xor_b32_e32 v38, 0x7fffffff, v38
	v_not_b32_e32 v37, v37
	v_and_b32_e32 v45, s52, v45
	v_lshlrev_b32_e32 v45, 2, v45
	ds_read_b32 v45, v45
	s_waitcnt lgkmcnt(0)
	v_add_nc_u32_e32 v45, v45, v83
	v_lshlrev_b64 v[45:46], 3, v[45:46]
	v_add_co_u32 v45, s31, s44, v45
	v_add_co_ci_u32_e64 v46, null, s45, v46, s31
	global_store_dwordx2 v[45:46], v[37:38], off
	s_or_b32 exec_lo, exec_lo, s33
	v_cmp_lt_u32_e64 s31, v84, v167
	s_and_saveexec_b32 s34, s31
	s_cbranch_execz .LBB707_1070
.LBB707_1138:                           ;   in Loop: Header=BB707_980 Depth=2
	ds_read_b64 v[37:38], v106 offset:18944
	s_waitcnt lgkmcnt(0)
	v_lshrrev_b64 v[45:46], s46, v[37:38]
	v_mov_b32_e32 v46, v3
	v_xor_b32_e32 v38, 0x7fffffff, v38
	v_not_b32_e32 v37, v37
	v_and_b32_e32 v45, s52, v45
	v_lshlrev_b32_e32 v45, 2, v45
	ds_read_b32 v45, v45
	s_waitcnt lgkmcnt(0)
	v_add_nc_u32_e32 v45, v45, v84
	v_lshlrev_b64 v[45:46], 3, v[45:46]
	v_add_co_u32 v45, s33, s44, v45
	v_add_co_ci_u32_e64 v46, null, s45, v46, s33
	global_store_dwordx2 v[45:46], v[37:38], off
	s_or_b32 exec_lo, exec_lo, s34
	v_cmp_lt_u32_e64 s33, v85, v167
	s_and_saveexec_b32 s35, s33
	s_cbranch_execz .LBB707_1071
.LBB707_1139:                           ;   in Loop: Header=BB707_980 Depth=2
	ds_read_b64 v[37:38], v106 offset:20992
	s_waitcnt lgkmcnt(0)
	v_lshrrev_b64 v[45:46], s46, v[37:38]
	v_mov_b32_e32 v46, v3
	v_xor_b32_e32 v38, 0x7fffffff, v38
	v_not_b32_e32 v37, v37
	v_and_b32_e32 v45, s52, v45
	v_lshlrev_b32_e32 v45, 2, v45
	ds_read_b32 v45, v45
	s_waitcnt lgkmcnt(0)
	v_add_nc_u32_e32 v45, v45, v85
	v_lshlrev_b64 v[45:46], 3, v[45:46]
	v_add_co_u32 v45, s34, s44, v45
	v_add_co_ci_u32_e64 v46, null, s45, v46, s34
	global_store_dwordx2 v[45:46], v[37:38], off
	s_or_b32 exec_lo, exec_lo, s35
	v_cmp_lt_u32_e64 s34, v86, v167
	s_and_saveexec_b32 s36, s34
	s_cbranch_execz .LBB707_1072
.LBB707_1140:                           ;   in Loop: Header=BB707_980 Depth=2
	ds_read_b64 v[37:38], v106 offset:23040
	s_waitcnt lgkmcnt(0)
	v_lshrrev_b64 v[45:46], s46, v[37:38]
	v_mov_b32_e32 v46, v3
	v_xor_b32_e32 v38, 0x7fffffff, v38
	v_not_b32_e32 v37, v37
	v_and_b32_e32 v45, s52, v45
	v_lshlrev_b32_e32 v45, 2, v45
	ds_read_b32 v45, v45
	s_waitcnt lgkmcnt(0)
	v_add_nc_u32_e32 v45, v45, v86
	v_lshlrev_b64 v[45:46], 3, v[45:46]
	v_add_co_u32 v45, s35, s44, v45
	v_add_co_ci_u32_e64 v46, null, s45, v46, s35
	global_store_dwordx2 v[45:46], v[37:38], off
	s_or_b32 exec_lo, exec_lo, s36
	v_cmp_lt_u32_e64 s35, v87, v167
	s_and_saveexec_b32 s37, s35
	s_cbranch_execz .LBB707_1073
.LBB707_1141:                           ;   in Loop: Header=BB707_980 Depth=2
	ds_read_b64 v[37:38], v106 offset:25088
	s_waitcnt lgkmcnt(0)
	v_lshrrev_b64 v[45:46], s46, v[37:38]
	v_mov_b32_e32 v46, v3
	v_xor_b32_e32 v38, 0x7fffffff, v38
	v_not_b32_e32 v37, v37
	v_and_b32_e32 v45, s52, v45
	v_lshlrev_b32_e32 v45, 2, v45
	ds_read_b32 v45, v45
	s_waitcnt lgkmcnt(0)
	v_add_nc_u32_e32 v45, v45, v87
	v_lshlrev_b64 v[45:46], 3, v[45:46]
	v_add_co_u32 v45, s36, s44, v45
	v_add_co_ci_u32_e64 v46, null, s45, v46, s36
	global_store_dwordx2 v[45:46], v[37:38], off
	s_or_b32 exec_lo, exec_lo, s37
	v_cmp_lt_u32_e64 s36, v88, v167
	s_and_saveexec_b32 s38, s36
	s_cbranch_execz .LBB707_1074
.LBB707_1142:                           ;   in Loop: Header=BB707_980 Depth=2
	ds_read_b64 v[37:38], v106 offset:27136
	s_waitcnt lgkmcnt(0)
	v_lshrrev_b64 v[45:46], s46, v[37:38]
	v_mov_b32_e32 v46, v3
	v_xor_b32_e32 v38, 0x7fffffff, v38
	v_not_b32_e32 v37, v37
	v_and_b32_e32 v45, s52, v45
	v_lshlrev_b32_e32 v45, 2, v45
	ds_read_b32 v45, v45
	s_waitcnt lgkmcnt(0)
	v_add_nc_u32_e32 v45, v45, v88
	v_lshlrev_b64 v[45:46], 3, v[45:46]
	v_add_co_u32 v45, s37, s44, v45
	v_add_co_ci_u32_e64 v46, null, s45, v46, s37
	global_store_dwordx2 v[45:46], v[37:38], off
	s_or_b32 exec_lo, exec_lo, s38
	v_cmp_lt_u32_e64 s37, v89, v167
	s_and_saveexec_b32 s39, s37
	s_cbranch_execz .LBB707_1075
.LBB707_1143:                           ;   in Loop: Header=BB707_980 Depth=2
	ds_read_b64 v[37:38], v106 offset:29184
	s_waitcnt lgkmcnt(0)
	v_lshrrev_b64 v[45:46], s46, v[37:38]
	v_mov_b32_e32 v46, v3
	v_xor_b32_e32 v38, 0x7fffffff, v38
	v_not_b32_e32 v37, v37
	v_and_b32_e32 v45, s52, v45
	v_lshlrev_b32_e32 v45, 2, v45
	ds_read_b32 v45, v45
	s_waitcnt lgkmcnt(0)
	v_add_nc_u32_e32 v45, v45, v89
	v_lshlrev_b64 v[45:46], 3, v[45:46]
	v_add_co_u32 v45, s38, s44, v45
	v_add_co_ci_u32_e64 v46, null, s45, v46, s38
	global_store_dwordx2 v[45:46], v[37:38], off
	s_or_b32 exec_lo, exec_lo, s39
	v_cmp_lt_u32_e64 s38, v90, v167
	s_and_saveexec_b32 s65, s38
	s_cbranch_execnz .LBB707_1076
	s_branch .LBB707_1077
.LBB707_1144:                           ;   in Loop: Header=BB707_980 Depth=2
	global_load_dwordx2 v[35:36], v[37:38], off
	s_or_b32 exec_lo, exec_lo, s39
	s_mov_b32 s56, exec_lo
	v_cmpx_lt_u32_e64 v131, v167
	s_cbranch_execz .LBB707_1079
.LBB707_1145:                           ;   in Loop: Header=BB707_980 Depth=2
	global_load_dwordx2 v[33:34], v[37:38], off offset:256
	s_or_b32 exec_lo, exec_lo, s56
	s_mov_b32 s56, exec_lo
	v_cmpx_lt_u32_e64 v132, v167
	s_cbranch_execz .LBB707_1080
.LBB707_1146:                           ;   in Loop: Header=BB707_980 Depth=2
	global_load_dwordx2 v[31:32], v[37:38], off offset:512
	s_or_b32 exec_lo, exec_lo, s56
	s_mov_b32 s56, exec_lo
	v_cmpx_lt_u32_e64 v133, v167
	s_cbranch_execz .LBB707_1081
.LBB707_1147:                           ;   in Loop: Header=BB707_980 Depth=2
	global_load_dwordx2 v[29:30], v[37:38], off offset:768
	s_or_b32 exec_lo, exec_lo, s56
	s_mov_b32 s56, exec_lo
	v_cmpx_lt_u32_e64 v134, v167
	s_cbranch_execz .LBB707_1082
.LBB707_1148:                           ;   in Loop: Header=BB707_980 Depth=2
	global_load_dwordx2 v[27:28], v[37:38], off offset:1024
	s_or_b32 exec_lo, exec_lo, s56
	s_mov_b32 s56, exec_lo
	v_cmpx_lt_u32_e64 v135, v167
	s_cbranch_execz .LBB707_1083
.LBB707_1149:                           ;   in Loop: Header=BB707_980 Depth=2
	global_load_dwordx2 v[23:24], v[37:38], off offset:1280
	s_or_b32 exec_lo, exec_lo, s56
	s_mov_b32 s56, exec_lo
	v_cmpx_lt_u32_e64 v136, v167
	s_cbranch_execz .LBB707_1084
.LBB707_1150:                           ;   in Loop: Header=BB707_980 Depth=2
	global_load_dwordx2 v[19:20], v[37:38], off offset:1536
	s_or_b32 exec_lo, exec_lo, s56
	s_mov_b32 s56, exec_lo
	v_cmpx_lt_u32_e64 v137, v167
	s_cbranch_execz .LBB707_1085
.LBB707_1151:                           ;   in Loop: Header=BB707_980 Depth=2
	global_load_dwordx2 v[15:16], v[37:38], off offset:1792
	s_or_b32 exec_lo, exec_lo, s56
	s_mov_b32 s56, exec_lo
	v_cmpx_lt_u32_e64 v138, v167
	s_cbranch_execz .LBB707_1086
.LBB707_1152:                           ;   in Loop: Header=BB707_980 Depth=2
	v_add_co_u32 v25, s39, 0x800, v37
	v_add_co_ci_u32_e64 v26, null, 0, v38, s39
	global_load_dwordx2 v[25:26], v[25:26], off
	s_or_b32 exec_lo, exec_lo, s56
	s_mov_b32 s56, exec_lo
	v_cmpx_lt_u32_e64 v139, v167
	s_cbranch_execz .LBB707_1087
.LBB707_1153:                           ;   in Loop: Header=BB707_980 Depth=2
	v_add_co_u32 v21, s39, 0x800, v37
	v_add_co_ci_u32_e64 v22, null, 0, v38, s39
	global_load_dwordx2 v[21:22], v[21:22], off offset:256
	s_or_b32 exec_lo, exec_lo, s56
	s_mov_b32 s56, exec_lo
	v_cmpx_lt_u32_e64 v140, v167
	s_cbranch_execz .LBB707_1088
.LBB707_1154:                           ;   in Loop: Header=BB707_980 Depth=2
	v_add_co_u32 v17, s39, 0x800, v37
	v_add_co_ci_u32_e64 v18, null, 0, v38, s39
	global_load_dwordx2 v[17:18], v[17:18], off offset:512
	s_or_b32 exec_lo, exec_lo, s56
	s_mov_b32 s56, exec_lo
	v_cmpx_lt_u32_e64 v141, v167
	s_cbranch_execz .LBB707_1089
.LBB707_1155:                           ;   in Loop: Header=BB707_980 Depth=2
	v_add_co_u32 v13, s39, 0x800, v37
	v_add_co_ci_u32_e64 v14, null, 0, v38, s39
	global_load_dwordx2 v[13:14], v[13:14], off offset:768
	s_or_b32 exec_lo, exec_lo, s56
	s_mov_b32 s56, exec_lo
	v_cmpx_lt_u32_e64 v142, v167
	s_cbranch_execz .LBB707_1090
.LBB707_1156:                           ;   in Loop: Header=BB707_980 Depth=2
	v_add_co_u32 v11, s39, 0x800, v37
	v_add_co_ci_u32_e64 v12, null, 0, v38, s39
	global_load_dwordx2 v[11:12], v[11:12], off offset:1024
	s_or_b32 exec_lo, exec_lo, s56
	s_mov_b32 s56, exec_lo
	v_cmpx_lt_u32_e64 v143, v167
	s_cbranch_execz .LBB707_1091
.LBB707_1157:                           ;   in Loop: Header=BB707_980 Depth=2
	v_add_co_u32 v9, s39, 0x800, v37
	v_add_co_ci_u32_e64 v10, null, 0, v38, s39
	global_load_dwordx2 v[9:10], v[9:10], off offset:1280
	s_or_b32 exec_lo, exec_lo, s56
	s_mov_b32 s56, exec_lo
	v_cmpx_lt_u32_e64 v144, v167
	s_cbranch_execz .LBB707_1092
.LBB707_1158:                           ;   in Loop: Header=BB707_980 Depth=2
	v_add_co_u32 v7, s39, 0x800, v37
	v_add_co_ci_u32_e64 v8, null, 0, v38, s39
	global_load_dwordx2 v[7:8], v[7:8], off offset:1536
	s_or_b32 exec_lo, exec_lo, s56
	s_mov_b32 s56, exec_lo
	v_cmpx_lt_u32_e64 v145, v167
	s_cbranch_execz .LBB707_1093
.LBB707_1159:                           ;   in Loop: Header=BB707_980 Depth=2
	v_add_co_u32 v5, s39, 0x800, v37
	v_add_co_ci_u32_e64 v6, null, 0, v38, s39
	global_load_dwordx2 v[5:6], v[5:6], off offset:1792
	s_or_b32 exec_lo, exec_lo, s56
	s_and_saveexec_b32 s39, vcc_lo
	s_cbranch_execz .LBB707_1094
.LBB707_1160:                           ;   in Loop: Header=BB707_980 Depth=2
	ds_read_b64 v[37:38], v106 offset:512
	s_waitcnt lgkmcnt(0)
	v_lshrrev_b64 v[37:38], s46, v[37:38]
	v_and_b32_e32 v165, s52, v37
	s_or_b32 exec_lo, exec_lo, s39
	s_and_saveexec_b32 s39, s22
	s_cbranch_execz .LBB707_1095
.LBB707_1161:                           ;   in Loop: Header=BB707_980 Depth=2
	ds_read_b64 v[37:38], v106 offset:2560
	s_waitcnt lgkmcnt(0)
	v_lshrrev_b64 v[37:38], s46, v[37:38]
	v_and_b32_e32 v164, s52, v37
	s_or_b32 exec_lo, exec_lo, s39
	s_and_saveexec_b32 s39, s23
	s_cbranch_execz .LBB707_1096
.LBB707_1162:                           ;   in Loop: Header=BB707_980 Depth=2
	ds_read_b64 v[37:38], v106 offset:4608
	s_waitcnt lgkmcnt(0)
	v_lshrrev_b64 v[37:38], s46, v[37:38]
	v_and_b32_e32 v162, s52, v37
	s_or_b32 exec_lo, exec_lo, s39
	s_and_saveexec_b32 s39, s24
	s_cbranch_execz .LBB707_1097
.LBB707_1163:                           ;   in Loop: Header=BB707_980 Depth=2
	ds_read_b64 v[37:38], v106 offset:6656
	s_waitcnt lgkmcnt(0)
	v_lshrrev_b64 v[37:38], s46, v[37:38]
	v_and_b32_e32 v161, s52, v37
	s_or_b32 exec_lo, exec_lo, s39
	s_and_saveexec_b32 s39, s25
	s_cbranch_execz .LBB707_1098
.LBB707_1164:                           ;   in Loop: Header=BB707_980 Depth=2
	ds_read_b64 v[37:38], v106 offset:8704
	s_waitcnt lgkmcnt(0)
	v_lshrrev_b64 v[37:38], s46, v[37:38]
	v_and_b32_e32 v160, s52, v37
	s_or_b32 exec_lo, exec_lo, s39
	s_and_saveexec_b32 s39, s26
	s_cbranch_execz .LBB707_1099
.LBB707_1165:                           ;   in Loop: Header=BB707_980 Depth=2
	ds_read_b64 v[37:38], v106 offset:10752
	s_waitcnt lgkmcnt(0)
	v_lshrrev_b64 v[37:38], s46, v[37:38]
	v_and_b32_e32 v159, s52, v37
	s_or_b32 exec_lo, exec_lo, s39
	s_and_saveexec_b32 s39, s28
	s_cbranch_execz .LBB707_1100
.LBB707_1166:                           ;   in Loop: Header=BB707_980 Depth=2
	ds_read_b64 v[37:38], v106 offset:12800
	s_waitcnt lgkmcnt(0)
	v_lshrrev_b64 v[37:38], s46, v[37:38]
	v_and_b32_e32 v158, s52, v37
	s_or_b32 exec_lo, exec_lo, s39
	s_and_saveexec_b32 s39, s29
	s_cbranch_execz .LBB707_1101
.LBB707_1167:                           ;   in Loop: Header=BB707_980 Depth=2
	ds_read_b64 v[37:38], v106 offset:14848
	s_waitcnt lgkmcnt(0)
	v_lshrrev_b64 v[37:38], s46, v[37:38]
	v_and_b32_e32 v157, s52, v37
	s_or_b32 exec_lo, exec_lo, s39
	s_and_saveexec_b32 s39, s30
	s_cbranch_execz .LBB707_1102
.LBB707_1168:                           ;   in Loop: Header=BB707_980 Depth=2
	ds_read_b64 v[37:38], v106 offset:16896
	s_waitcnt lgkmcnt(0)
	v_lshrrev_b64 v[37:38], s46, v[37:38]
	v_and_b32_e32 v156, s52, v37
	s_or_b32 exec_lo, exec_lo, s39
	s_and_saveexec_b32 s39, s31
	s_cbranch_execz .LBB707_1103
.LBB707_1169:                           ;   in Loop: Header=BB707_980 Depth=2
	ds_read_b64 v[37:38], v106 offset:18944
	s_waitcnt lgkmcnt(0)
	v_lshrrev_b64 v[37:38], s46, v[37:38]
	v_and_b32_e32 v155, s52, v37
	s_or_b32 exec_lo, exec_lo, s39
	s_and_saveexec_b32 s39, s33
	s_cbranch_execz .LBB707_1104
.LBB707_1170:                           ;   in Loop: Header=BB707_980 Depth=2
	ds_read_b64 v[37:38], v106 offset:20992
	s_waitcnt lgkmcnt(0)
	v_lshrrev_b64 v[37:38], s46, v[37:38]
	v_and_b32_e32 v154, s52, v37
	s_or_b32 exec_lo, exec_lo, s39
	s_and_saveexec_b32 s39, s34
	s_cbranch_execz .LBB707_1105
.LBB707_1171:                           ;   in Loop: Header=BB707_980 Depth=2
	ds_read_b64 v[37:38], v106 offset:23040
	s_waitcnt lgkmcnt(0)
	v_lshrrev_b64 v[37:38], s46, v[37:38]
	v_and_b32_e32 v153, s52, v37
	s_or_b32 exec_lo, exec_lo, s39
	s_and_saveexec_b32 s39, s35
	s_cbranch_execz .LBB707_1106
.LBB707_1172:                           ;   in Loop: Header=BB707_980 Depth=2
	ds_read_b64 v[37:38], v106 offset:25088
	s_waitcnt lgkmcnt(0)
	v_lshrrev_b64 v[37:38], s46, v[37:38]
	v_and_b32_e32 v152, s52, v37
	s_or_b32 exec_lo, exec_lo, s39
	s_and_saveexec_b32 s39, s36
	s_cbranch_execz .LBB707_1107
.LBB707_1173:                           ;   in Loop: Header=BB707_980 Depth=2
	ds_read_b64 v[37:38], v106 offset:27136
	s_waitcnt lgkmcnt(0)
	v_lshrrev_b64 v[37:38], s46, v[37:38]
	v_and_b32_e32 v151, s52, v37
	s_or_b32 exec_lo, exec_lo, s39
	s_and_saveexec_b32 s39, s37
	s_cbranch_execz .LBB707_1108
.LBB707_1174:                           ;   in Loop: Header=BB707_980 Depth=2
	ds_read_b64 v[37:38], v106 offset:29184
	s_waitcnt lgkmcnt(0)
	v_lshrrev_b64 v[37:38], s46, v[37:38]
	v_and_b32_e32 v150, s52, v37
	s_or_b32 exec_lo, exec_lo, s39
	s_and_saveexec_b32 s39, s38
	s_cbranch_execnz .LBB707_1109
	s_branch .LBB707_1110
.LBB707_1175:                           ;   in Loop: Header=BB707_980 Depth=2
	v_lshlrev_b32_e32 v37, 2, v165
	v_mov_b32_e32 v40, v3
	ds_read_b32 v39, v37
	ds_read_b64 v[37:38], v106 offset:512
	s_waitcnt lgkmcnt(1)
	v_add_nc_u32_e32 v39, v39, v0
	v_lshlrev_b64 v[39:40], 3, v[39:40]
	v_add_co_u32 v39, vcc_lo, s50, v39
	v_add_co_ci_u32_e64 v40, null, s51, v40, vcc_lo
	s_waitcnt lgkmcnt(0)
	global_store_dwordx2 v[39:40], v[37:38], off
	s_or_b32 exec_lo, exec_lo, s39
	s_and_saveexec_b32 s39, s22
	s_cbranch_execz .LBB707_1112
.LBB707_1176:                           ;   in Loop: Header=BB707_980 Depth=2
	v_lshlrev_b32_e32 v37, 2, v164
	v_mov_b32_e32 v40, v3
	ds_read_b32 v39, v37
	ds_read_b64 v[37:38], v106 offset:2560
	s_waitcnt lgkmcnt(1)
	v_add_nc_u32_e32 v39, v39, v74
	v_lshlrev_b64 v[39:40], 3, v[39:40]
	v_add_co_u32 v39, vcc_lo, s50, v39
	v_add_co_ci_u32_e64 v40, null, s51, v40, vcc_lo
	s_waitcnt lgkmcnt(0)
	global_store_dwordx2 v[39:40], v[37:38], off
	s_or_b32 exec_lo, exec_lo, s39
	s_and_saveexec_b32 s22, s23
	s_cbranch_execz .LBB707_1113
.LBB707_1177:                           ;   in Loop: Header=BB707_980 Depth=2
	v_lshlrev_b32_e32 v37, 2, v162
	v_mov_b32_e32 v40, v3
	ds_read_b32 v39, v37
	ds_read_b64 v[37:38], v106 offset:4608
	s_waitcnt lgkmcnt(1)
	v_add_nc_u32_e32 v39, v39, v77
	v_lshlrev_b64 v[39:40], 3, v[39:40]
	v_add_co_u32 v39, vcc_lo, s50, v39
	v_add_co_ci_u32_e64 v40, null, s51, v40, vcc_lo
	s_waitcnt lgkmcnt(0)
	global_store_dwordx2 v[39:40], v[37:38], off
	s_or_b32 exec_lo, exec_lo, s22
	s_and_saveexec_b32 s22, s24
	s_cbranch_execz .LBB707_1114
.LBB707_1178:                           ;   in Loop: Header=BB707_980 Depth=2
	v_lshlrev_b32_e32 v37, 2, v161
	v_mov_b32_e32 v40, v3
	ds_read_b32 v39, v37
	ds_read_b64 v[37:38], v106 offset:6656
	s_waitcnt lgkmcnt(1)
	v_add_nc_u32_e32 v39, v39, v78
	v_lshlrev_b64 v[39:40], 3, v[39:40]
	v_add_co_u32 v39, vcc_lo, s50, v39
	v_add_co_ci_u32_e64 v40, null, s51, v40, vcc_lo
	s_waitcnt lgkmcnt(0)
	global_store_dwordx2 v[39:40], v[37:38], off
	s_or_b32 exec_lo, exec_lo, s22
	s_and_saveexec_b32 s22, s25
	s_cbranch_execz .LBB707_1115
.LBB707_1179:                           ;   in Loop: Header=BB707_980 Depth=2
	v_lshlrev_b32_e32 v37, 2, v160
	v_mov_b32_e32 v40, v3
	ds_read_b32 v39, v37
	ds_read_b64 v[37:38], v106 offset:8704
	s_waitcnt lgkmcnt(1)
	v_add_nc_u32_e32 v39, v39, v79
	v_lshlrev_b64 v[39:40], 3, v[39:40]
	v_add_co_u32 v39, vcc_lo, s50, v39
	v_add_co_ci_u32_e64 v40, null, s51, v40, vcc_lo
	s_waitcnt lgkmcnt(0)
	global_store_dwordx2 v[39:40], v[37:38], off
	s_or_b32 exec_lo, exec_lo, s22
	s_and_saveexec_b32 s22, s26
	s_cbranch_execz .LBB707_1116
.LBB707_1180:                           ;   in Loop: Header=BB707_980 Depth=2
	v_lshlrev_b32_e32 v37, 2, v159
	v_mov_b32_e32 v40, v3
	ds_read_b32 v39, v37
	ds_read_b64 v[37:38], v106 offset:10752
	s_waitcnt lgkmcnt(1)
	v_add_nc_u32_e32 v39, v39, v80
	v_lshlrev_b64 v[39:40], 3, v[39:40]
	v_add_co_u32 v39, vcc_lo, s50, v39
	v_add_co_ci_u32_e64 v40, null, s51, v40, vcc_lo
	s_waitcnt lgkmcnt(0)
	global_store_dwordx2 v[39:40], v[37:38], off
	s_or_b32 exec_lo, exec_lo, s22
	s_and_saveexec_b32 s22, s28
	s_cbranch_execz .LBB707_1117
.LBB707_1181:                           ;   in Loop: Header=BB707_980 Depth=2
	v_lshlrev_b32_e32 v37, 2, v158
	v_mov_b32_e32 v40, v3
	ds_read_b32 v39, v37
	ds_read_b64 v[37:38], v106 offset:12800
	s_waitcnt lgkmcnt(1)
	v_add_nc_u32_e32 v39, v39, v81
	v_lshlrev_b64 v[39:40], 3, v[39:40]
	v_add_co_u32 v39, vcc_lo, s50, v39
	v_add_co_ci_u32_e64 v40, null, s51, v40, vcc_lo
	s_waitcnt lgkmcnt(0)
	global_store_dwordx2 v[39:40], v[37:38], off
	s_or_b32 exec_lo, exec_lo, s22
	s_and_saveexec_b32 s22, s29
	s_cbranch_execz .LBB707_1118
.LBB707_1182:                           ;   in Loop: Header=BB707_980 Depth=2
	v_lshlrev_b32_e32 v37, 2, v157
	v_mov_b32_e32 v40, v3
	ds_read_b32 v39, v37
	ds_read_b64 v[37:38], v106 offset:14848
	s_waitcnt lgkmcnt(1)
	v_add_nc_u32_e32 v39, v39, v82
	v_lshlrev_b64 v[39:40], 3, v[39:40]
	v_add_co_u32 v39, vcc_lo, s50, v39
	v_add_co_ci_u32_e64 v40, null, s51, v40, vcc_lo
	s_waitcnt lgkmcnt(0)
	global_store_dwordx2 v[39:40], v[37:38], off
	s_or_b32 exec_lo, exec_lo, s22
	s_and_saveexec_b32 s22, s30
	s_cbranch_execz .LBB707_1119
.LBB707_1183:                           ;   in Loop: Header=BB707_980 Depth=2
	v_lshlrev_b32_e32 v37, 2, v156
	v_mov_b32_e32 v40, v3
	ds_read_b32 v39, v37
	ds_read_b64 v[37:38], v106 offset:16896
	s_waitcnt lgkmcnt(1)
	v_add_nc_u32_e32 v39, v39, v83
	v_lshlrev_b64 v[39:40], 3, v[39:40]
	v_add_co_u32 v39, vcc_lo, s50, v39
	v_add_co_ci_u32_e64 v40, null, s51, v40, vcc_lo
	s_waitcnt lgkmcnt(0)
	global_store_dwordx2 v[39:40], v[37:38], off
	s_or_b32 exec_lo, exec_lo, s22
	s_and_saveexec_b32 s22, s31
	s_cbranch_execz .LBB707_1120
.LBB707_1184:                           ;   in Loop: Header=BB707_980 Depth=2
	v_lshlrev_b32_e32 v37, 2, v155
	v_mov_b32_e32 v40, v3
	ds_read_b32 v39, v37
	ds_read_b64 v[37:38], v106 offset:18944
	s_waitcnt lgkmcnt(1)
	v_add_nc_u32_e32 v39, v39, v84
	v_lshlrev_b64 v[39:40], 3, v[39:40]
	v_add_co_u32 v39, vcc_lo, s50, v39
	v_add_co_ci_u32_e64 v40, null, s51, v40, vcc_lo
	s_waitcnt lgkmcnt(0)
	global_store_dwordx2 v[39:40], v[37:38], off
	s_or_b32 exec_lo, exec_lo, s22
	s_and_saveexec_b32 s22, s33
	s_cbranch_execz .LBB707_1121
.LBB707_1185:                           ;   in Loop: Header=BB707_980 Depth=2
	v_lshlrev_b32_e32 v37, 2, v154
	v_mov_b32_e32 v40, v3
	ds_read_b32 v39, v37
	ds_read_b64 v[37:38], v106 offset:20992
	s_waitcnt lgkmcnt(1)
	v_add_nc_u32_e32 v39, v39, v85
	v_lshlrev_b64 v[39:40], 3, v[39:40]
	v_add_co_u32 v39, vcc_lo, s50, v39
	v_add_co_ci_u32_e64 v40, null, s51, v40, vcc_lo
	s_waitcnt lgkmcnt(0)
	global_store_dwordx2 v[39:40], v[37:38], off
	s_or_b32 exec_lo, exec_lo, s22
	s_and_saveexec_b32 s22, s34
	s_cbranch_execz .LBB707_1122
.LBB707_1186:                           ;   in Loop: Header=BB707_980 Depth=2
	v_lshlrev_b32_e32 v37, 2, v153
	v_mov_b32_e32 v40, v3
	ds_read_b32 v39, v37
	ds_read_b64 v[37:38], v106 offset:23040
	s_waitcnt lgkmcnt(1)
	v_add_nc_u32_e32 v39, v39, v86
	v_lshlrev_b64 v[39:40], 3, v[39:40]
	v_add_co_u32 v39, vcc_lo, s50, v39
	v_add_co_ci_u32_e64 v40, null, s51, v40, vcc_lo
	s_waitcnt lgkmcnt(0)
	global_store_dwordx2 v[39:40], v[37:38], off
	s_or_b32 exec_lo, exec_lo, s22
	s_and_saveexec_b32 s22, s35
	s_cbranch_execz .LBB707_1123
.LBB707_1187:                           ;   in Loop: Header=BB707_980 Depth=2
	v_lshlrev_b32_e32 v37, 2, v152
	v_mov_b32_e32 v40, v3
	ds_read_b32 v39, v37
	ds_read_b64 v[37:38], v106 offset:25088
	s_waitcnt lgkmcnt(1)
	v_add_nc_u32_e32 v39, v39, v87
	v_lshlrev_b64 v[39:40], 3, v[39:40]
	v_add_co_u32 v39, vcc_lo, s50, v39
	v_add_co_ci_u32_e64 v40, null, s51, v40, vcc_lo
	s_waitcnt lgkmcnt(0)
	global_store_dwordx2 v[39:40], v[37:38], off
	s_or_b32 exec_lo, exec_lo, s22
	s_and_saveexec_b32 s22, s36
	s_cbranch_execz .LBB707_1124
.LBB707_1188:                           ;   in Loop: Header=BB707_980 Depth=2
	v_lshlrev_b32_e32 v37, 2, v151
	v_mov_b32_e32 v40, v3
	ds_read_b32 v39, v37
	ds_read_b64 v[37:38], v106 offset:27136
	s_waitcnt lgkmcnt(1)
	v_add_nc_u32_e32 v39, v39, v88
	v_lshlrev_b64 v[39:40], 3, v[39:40]
	v_add_co_u32 v39, vcc_lo, s50, v39
	v_add_co_ci_u32_e64 v40, null, s51, v40, vcc_lo
	s_waitcnt lgkmcnt(0)
	global_store_dwordx2 v[39:40], v[37:38], off
	s_or_b32 exec_lo, exec_lo, s22
	s_and_saveexec_b32 s22, s37
	s_cbranch_execz .LBB707_1125
.LBB707_1189:                           ;   in Loop: Header=BB707_980 Depth=2
	v_lshlrev_b32_e32 v37, 2, v150
	v_mov_b32_e32 v40, v3
	ds_read_b32 v39, v37
	ds_read_b64 v[37:38], v106 offset:29184
	s_waitcnt lgkmcnt(1)
	v_add_nc_u32_e32 v39, v39, v89
	v_lshlrev_b64 v[39:40], 3, v[39:40]
	v_add_co_u32 v39, vcc_lo, s50, v39
	v_add_co_ci_u32_e64 v40, null, s51, v40, vcc_lo
	s_waitcnt lgkmcnt(0)
	global_store_dwordx2 v[39:40], v[37:38], off
	s_or_b32 exec_lo, exec_lo, s22
	s_and_saveexec_b32 s22, s38
	s_cbranch_execnz .LBB707_1126
	s_branch .LBB707_1127
.LBB707_1190:
	s_endpgm
	.section	.rodata,"a",@progbits
	.p2align	6, 0x0
	.amdhsa_kernel _ZN7rocprim17ROCPRIM_400000_NS6detail17trampoline_kernelINS0_14default_configENS1_36segmented_radix_sort_config_selectorIllEEZNS1_25segmented_radix_sort_implIS3_Lb1EPKlPlS8_S9_N2at6native12_GLOBAL__N_18offset_tEEE10hipError_tPvRmT1_PNSt15iterator_traitsISH_E10value_typeET2_T3_PNSI_ISN_E10value_typeET4_jRbjT5_ST_jjP12ihipStream_tbEUlT_E_NS1_11comp_targetILNS1_3genE8ELNS1_11target_archE1030ELNS1_3gpuE2ELNS1_3repE0EEENS1_30default_config_static_selectorELNS0_4arch9wavefront6targetE0EEEvSH_
		.amdhsa_group_segment_fixed_size 33296
		.amdhsa_private_segment_fixed_size 176
		.amdhsa_kernarg_size 352
		.amdhsa_user_sgpr_count 6
		.amdhsa_user_sgpr_private_segment_buffer 1
		.amdhsa_user_sgpr_dispatch_ptr 0
		.amdhsa_user_sgpr_queue_ptr 0
		.amdhsa_user_sgpr_kernarg_segment_ptr 1
		.amdhsa_user_sgpr_dispatch_id 0
		.amdhsa_user_sgpr_flat_scratch_init 0
		.amdhsa_user_sgpr_private_segment_size 0
		.amdhsa_wavefront_size32 1
		.amdhsa_uses_dynamic_stack 0
		.amdhsa_system_sgpr_private_segment_wavefront_offset 1
		.amdhsa_system_sgpr_workgroup_id_x 1
		.amdhsa_system_sgpr_workgroup_id_y 1
		.amdhsa_system_sgpr_workgroup_id_z 0
		.amdhsa_system_sgpr_workgroup_info 0
		.amdhsa_system_vgpr_workitem_id 2
		.amdhsa_next_free_vgpr 248
		.amdhsa_next_free_sgpr 68
		.amdhsa_reserve_vcc 1
		.amdhsa_reserve_flat_scratch 0
		.amdhsa_float_round_mode_32 0
		.amdhsa_float_round_mode_16_64 0
		.amdhsa_float_denorm_mode_32 3
		.amdhsa_float_denorm_mode_16_64 3
		.amdhsa_dx10_clamp 1
		.amdhsa_ieee_mode 1
		.amdhsa_fp16_overflow 0
		.amdhsa_workgroup_processor_mode 1
		.amdhsa_memory_ordered 1
		.amdhsa_forward_progress 1
		.amdhsa_shared_vgpr_count 0
		.amdhsa_exception_fp_ieee_invalid_op 0
		.amdhsa_exception_fp_denorm_src 0
		.amdhsa_exception_fp_ieee_div_zero 0
		.amdhsa_exception_fp_ieee_overflow 0
		.amdhsa_exception_fp_ieee_underflow 0
		.amdhsa_exception_fp_ieee_inexact 0
		.amdhsa_exception_int_div_zero 0
	.end_amdhsa_kernel
	.section	.text._ZN7rocprim17ROCPRIM_400000_NS6detail17trampoline_kernelINS0_14default_configENS1_36segmented_radix_sort_config_selectorIllEEZNS1_25segmented_radix_sort_implIS3_Lb1EPKlPlS8_S9_N2at6native12_GLOBAL__N_18offset_tEEE10hipError_tPvRmT1_PNSt15iterator_traitsISH_E10value_typeET2_T3_PNSI_ISN_E10value_typeET4_jRbjT5_ST_jjP12ihipStream_tbEUlT_E_NS1_11comp_targetILNS1_3genE8ELNS1_11target_archE1030ELNS1_3gpuE2ELNS1_3repE0EEENS1_30default_config_static_selectorELNS0_4arch9wavefront6targetE0EEEvSH_,"axG",@progbits,_ZN7rocprim17ROCPRIM_400000_NS6detail17trampoline_kernelINS0_14default_configENS1_36segmented_radix_sort_config_selectorIllEEZNS1_25segmented_radix_sort_implIS3_Lb1EPKlPlS8_S9_N2at6native12_GLOBAL__N_18offset_tEEE10hipError_tPvRmT1_PNSt15iterator_traitsISH_E10value_typeET2_T3_PNSI_ISN_E10value_typeET4_jRbjT5_ST_jjP12ihipStream_tbEUlT_E_NS1_11comp_targetILNS1_3genE8ELNS1_11target_archE1030ELNS1_3gpuE2ELNS1_3repE0EEENS1_30default_config_static_selectorELNS0_4arch9wavefront6targetE0EEEvSH_,comdat
.Lfunc_end707:
	.size	_ZN7rocprim17ROCPRIM_400000_NS6detail17trampoline_kernelINS0_14default_configENS1_36segmented_radix_sort_config_selectorIllEEZNS1_25segmented_radix_sort_implIS3_Lb1EPKlPlS8_S9_N2at6native12_GLOBAL__N_18offset_tEEE10hipError_tPvRmT1_PNSt15iterator_traitsISH_E10value_typeET2_T3_PNSI_ISN_E10value_typeET4_jRbjT5_ST_jjP12ihipStream_tbEUlT_E_NS1_11comp_targetILNS1_3genE8ELNS1_11target_archE1030ELNS1_3gpuE2ELNS1_3repE0EEENS1_30default_config_static_selectorELNS0_4arch9wavefront6targetE0EEEvSH_, .Lfunc_end707-_ZN7rocprim17ROCPRIM_400000_NS6detail17trampoline_kernelINS0_14default_configENS1_36segmented_radix_sort_config_selectorIllEEZNS1_25segmented_radix_sort_implIS3_Lb1EPKlPlS8_S9_N2at6native12_GLOBAL__N_18offset_tEEE10hipError_tPvRmT1_PNSt15iterator_traitsISH_E10value_typeET2_T3_PNSI_ISN_E10value_typeET4_jRbjT5_ST_jjP12ihipStream_tbEUlT_E_NS1_11comp_targetILNS1_3genE8ELNS1_11target_archE1030ELNS1_3gpuE2ELNS1_3repE0EEENS1_30default_config_static_selectorELNS0_4arch9wavefront6targetE0EEEvSH_
                                        ; -- End function
	.set _ZN7rocprim17ROCPRIM_400000_NS6detail17trampoline_kernelINS0_14default_configENS1_36segmented_radix_sort_config_selectorIllEEZNS1_25segmented_radix_sort_implIS3_Lb1EPKlPlS8_S9_N2at6native12_GLOBAL__N_18offset_tEEE10hipError_tPvRmT1_PNSt15iterator_traitsISH_E10value_typeET2_T3_PNSI_ISN_E10value_typeET4_jRbjT5_ST_jjP12ihipStream_tbEUlT_E_NS1_11comp_targetILNS1_3genE8ELNS1_11target_archE1030ELNS1_3gpuE2ELNS1_3repE0EEENS1_30default_config_static_selectorELNS0_4arch9wavefront6targetE0EEEvSH_.num_vgpr, max(220, .L_ZN7rocprim17ROCPRIM_400000_NS6detail40segmented_radix_sort_single_block_helperIllLj256ELj16ELb1EE4sortIPKlPlS6_S7_EEbT_T0_T1_T2_jjjjRNS3_12storage_typeE.num_vgpr)
	.set _ZN7rocprim17ROCPRIM_400000_NS6detail17trampoline_kernelINS0_14default_configENS1_36segmented_radix_sort_config_selectorIllEEZNS1_25segmented_radix_sort_implIS3_Lb1EPKlPlS8_S9_N2at6native12_GLOBAL__N_18offset_tEEE10hipError_tPvRmT1_PNSt15iterator_traitsISH_E10value_typeET2_T3_PNSI_ISN_E10value_typeET4_jRbjT5_ST_jjP12ihipStream_tbEUlT_E_NS1_11comp_targetILNS1_3genE8ELNS1_11target_archE1030ELNS1_3gpuE2ELNS1_3repE0EEENS1_30default_config_static_selectorELNS0_4arch9wavefront6targetE0EEEvSH_.num_agpr, max(0, .L_ZN7rocprim17ROCPRIM_400000_NS6detail40segmented_radix_sort_single_block_helperIllLj256ELj16ELb1EE4sortIPKlPlS6_S7_EEbT_T0_T1_T2_jjjjRNS3_12storage_typeE.num_agpr)
	.set _ZN7rocprim17ROCPRIM_400000_NS6detail17trampoline_kernelINS0_14default_configENS1_36segmented_radix_sort_config_selectorIllEEZNS1_25segmented_radix_sort_implIS3_Lb1EPKlPlS8_S9_N2at6native12_GLOBAL__N_18offset_tEEE10hipError_tPvRmT1_PNSt15iterator_traitsISH_E10value_typeET2_T3_PNSI_ISN_E10value_typeET4_jRbjT5_ST_jjP12ihipStream_tbEUlT_E_NS1_11comp_targetILNS1_3genE8ELNS1_11target_archE1030ELNS1_3gpuE2ELNS1_3repE0EEENS1_30default_config_static_selectorELNS0_4arch9wavefront6targetE0EEEvSH_.numbered_sgpr, max(68, .L_ZN7rocprim17ROCPRIM_400000_NS6detail40segmented_radix_sort_single_block_helperIllLj256ELj16ELb1EE4sortIPKlPlS6_S7_EEbT_T0_T1_T2_jjjjRNS3_12storage_typeE.numbered_sgpr)
	.set _ZN7rocprim17ROCPRIM_400000_NS6detail17trampoline_kernelINS0_14default_configENS1_36segmented_radix_sort_config_selectorIllEEZNS1_25segmented_radix_sort_implIS3_Lb1EPKlPlS8_S9_N2at6native12_GLOBAL__N_18offset_tEEE10hipError_tPvRmT1_PNSt15iterator_traitsISH_E10value_typeET2_T3_PNSI_ISN_E10value_typeET4_jRbjT5_ST_jjP12ihipStream_tbEUlT_E_NS1_11comp_targetILNS1_3genE8ELNS1_11target_archE1030ELNS1_3gpuE2ELNS1_3repE0EEENS1_30default_config_static_selectorELNS0_4arch9wavefront6targetE0EEEvSH_.num_named_barrier, max(0, .L_ZN7rocprim17ROCPRIM_400000_NS6detail40segmented_radix_sort_single_block_helperIllLj256ELj16ELb1EE4sortIPKlPlS6_S7_EEbT_T0_T1_T2_jjjjRNS3_12storage_typeE.num_named_barrier)
	.set _ZN7rocprim17ROCPRIM_400000_NS6detail17trampoline_kernelINS0_14default_configENS1_36segmented_radix_sort_config_selectorIllEEZNS1_25segmented_radix_sort_implIS3_Lb1EPKlPlS8_S9_N2at6native12_GLOBAL__N_18offset_tEEE10hipError_tPvRmT1_PNSt15iterator_traitsISH_E10value_typeET2_T3_PNSI_ISN_E10value_typeET4_jRbjT5_ST_jjP12ihipStream_tbEUlT_E_NS1_11comp_targetILNS1_3genE8ELNS1_11target_archE1030ELNS1_3gpuE2ELNS1_3repE0EEENS1_30default_config_static_selectorELNS0_4arch9wavefront6targetE0EEEvSH_.private_seg_size, 0+max(.L_ZN7rocprim17ROCPRIM_400000_NS6detail40segmented_radix_sort_single_block_helperIllLj256ELj16ELb1EE4sortIPKlPlS6_S7_EEbT_T0_T1_T2_jjjjRNS3_12storage_typeE.private_seg_size)
	.set _ZN7rocprim17ROCPRIM_400000_NS6detail17trampoline_kernelINS0_14default_configENS1_36segmented_radix_sort_config_selectorIllEEZNS1_25segmented_radix_sort_implIS3_Lb1EPKlPlS8_S9_N2at6native12_GLOBAL__N_18offset_tEEE10hipError_tPvRmT1_PNSt15iterator_traitsISH_E10value_typeET2_T3_PNSI_ISN_E10value_typeET4_jRbjT5_ST_jjP12ihipStream_tbEUlT_E_NS1_11comp_targetILNS1_3genE8ELNS1_11target_archE1030ELNS1_3gpuE2ELNS1_3repE0EEENS1_30default_config_static_selectorELNS0_4arch9wavefront6targetE0EEEvSH_.uses_vcc, or(1, .L_ZN7rocprim17ROCPRIM_400000_NS6detail40segmented_radix_sort_single_block_helperIllLj256ELj16ELb1EE4sortIPKlPlS6_S7_EEbT_T0_T1_T2_jjjjRNS3_12storage_typeE.uses_vcc)
	.set _ZN7rocprim17ROCPRIM_400000_NS6detail17trampoline_kernelINS0_14default_configENS1_36segmented_radix_sort_config_selectorIllEEZNS1_25segmented_radix_sort_implIS3_Lb1EPKlPlS8_S9_N2at6native12_GLOBAL__N_18offset_tEEE10hipError_tPvRmT1_PNSt15iterator_traitsISH_E10value_typeET2_T3_PNSI_ISN_E10value_typeET4_jRbjT5_ST_jjP12ihipStream_tbEUlT_E_NS1_11comp_targetILNS1_3genE8ELNS1_11target_archE1030ELNS1_3gpuE2ELNS1_3repE0EEENS1_30default_config_static_selectorELNS0_4arch9wavefront6targetE0EEEvSH_.uses_flat_scratch, or(0, .L_ZN7rocprim17ROCPRIM_400000_NS6detail40segmented_radix_sort_single_block_helperIllLj256ELj16ELb1EE4sortIPKlPlS6_S7_EEbT_T0_T1_T2_jjjjRNS3_12storage_typeE.uses_flat_scratch)
	.set _ZN7rocprim17ROCPRIM_400000_NS6detail17trampoline_kernelINS0_14default_configENS1_36segmented_radix_sort_config_selectorIllEEZNS1_25segmented_radix_sort_implIS3_Lb1EPKlPlS8_S9_N2at6native12_GLOBAL__N_18offset_tEEE10hipError_tPvRmT1_PNSt15iterator_traitsISH_E10value_typeET2_T3_PNSI_ISN_E10value_typeET4_jRbjT5_ST_jjP12ihipStream_tbEUlT_E_NS1_11comp_targetILNS1_3genE8ELNS1_11target_archE1030ELNS1_3gpuE2ELNS1_3repE0EEENS1_30default_config_static_selectorELNS0_4arch9wavefront6targetE0EEEvSH_.has_dyn_sized_stack, or(0, .L_ZN7rocprim17ROCPRIM_400000_NS6detail40segmented_radix_sort_single_block_helperIllLj256ELj16ELb1EE4sortIPKlPlS6_S7_EEbT_T0_T1_T2_jjjjRNS3_12storage_typeE.has_dyn_sized_stack)
	.set _ZN7rocprim17ROCPRIM_400000_NS6detail17trampoline_kernelINS0_14default_configENS1_36segmented_radix_sort_config_selectorIllEEZNS1_25segmented_radix_sort_implIS3_Lb1EPKlPlS8_S9_N2at6native12_GLOBAL__N_18offset_tEEE10hipError_tPvRmT1_PNSt15iterator_traitsISH_E10value_typeET2_T3_PNSI_ISN_E10value_typeET4_jRbjT5_ST_jjP12ihipStream_tbEUlT_E_NS1_11comp_targetILNS1_3genE8ELNS1_11target_archE1030ELNS1_3gpuE2ELNS1_3repE0EEENS1_30default_config_static_selectorELNS0_4arch9wavefront6targetE0EEEvSH_.has_recursion, or(0, .L_ZN7rocprim17ROCPRIM_400000_NS6detail40segmented_radix_sort_single_block_helperIllLj256ELj16ELb1EE4sortIPKlPlS6_S7_EEbT_T0_T1_T2_jjjjRNS3_12storage_typeE.has_recursion)
	.set _ZN7rocprim17ROCPRIM_400000_NS6detail17trampoline_kernelINS0_14default_configENS1_36segmented_radix_sort_config_selectorIllEEZNS1_25segmented_radix_sort_implIS3_Lb1EPKlPlS8_S9_N2at6native12_GLOBAL__N_18offset_tEEE10hipError_tPvRmT1_PNSt15iterator_traitsISH_E10value_typeET2_T3_PNSI_ISN_E10value_typeET4_jRbjT5_ST_jjP12ihipStream_tbEUlT_E_NS1_11comp_targetILNS1_3genE8ELNS1_11target_archE1030ELNS1_3gpuE2ELNS1_3repE0EEENS1_30default_config_static_selectorELNS0_4arch9wavefront6targetE0EEEvSH_.has_indirect_call, or(0, .L_ZN7rocprim17ROCPRIM_400000_NS6detail40segmented_radix_sort_single_block_helperIllLj256ELj16ELb1EE4sortIPKlPlS6_S7_EEbT_T0_T1_T2_jjjjRNS3_12storage_typeE.has_indirect_call)
	.section	.AMDGPU.csdata,"",@progbits
; Kernel info:
; codeLenInByte = 64536
; TotalNumSgprs: 70
; NumVgprs: 248
; ScratchSize: 176
; MemoryBound: 0
; FloatMode: 240
; IeeeMode: 1
; LDSByteSize: 33296 bytes/workgroup (compile time only)
; SGPRBlocks: 0
; VGPRBlocks: 30
; NumSGPRsForWavesPerEU: 70
; NumVGPRsForWavesPerEU: 248
; Occupancy: 4
; WaveLimiterHint : 1
; COMPUTE_PGM_RSRC2:SCRATCH_EN: 1
; COMPUTE_PGM_RSRC2:USER_SGPR: 6
; COMPUTE_PGM_RSRC2:TRAP_HANDLER: 0
; COMPUTE_PGM_RSRC2:TGID_X_EN: 1
; COMPUTE_PGM_RSRC2:TGID_Y_EN: 1
; COMPUTE_PGM_RSRC2:TGID_Z_EN: 0
; COMPUTE_PGM_RSRC2:TIDIG_COMP_CNT: 2
	.section	.text._ZN7rocprim17ROCPRIM_400000_NS6detail17trampoline_kernelINS0_14default_configENS1_36segmented_radix_sort_config_selectorIllEEZNS1_25segmented_radix_sort_implIS3_Lb1EPKlPlS8_S9_N2at6native12_GLOBAL__N_18offset_tEEE10hipError_tPvRmT1_PNSt15iterator_traitsISH_E10value_typeET2_T3_PNSI_ISN_E10value_typeET4_jRbjT5_ST_jjP12ihipStream_tbEUlT_E0_NS1_11comp_targetILNS1_3genE0ELNS1_11target_archE4294967295ELNS1_3gpuE0ELNS1_3repE0EEENS1_60segmented_radix_sort_warp_sort_medium_config_static_selectorELNS0_4arch9wavefront6targetE0EEEvSH_,"axG",@progbits,_ZN7rocprim17ROCPRIM_400000_NS6detail17trampoline_kernelINS0_14default_configENS1_36segmented_radix_sort_config_selectorIllEEZNS1_25segmented_radix_sort_implIS3_Lb1EPKlPlS8_S9_N2at6native12_GLOBAL__N_18offset_tEEE10hipError_tPvRmT1_PNSt15iterator_traitsISH_E10value_typeET2_T3_PNSI_ISN_E10value_typeET4_jRbjT5_ST_jjP12ihipStream_tbEUlT_E0_NS1_11comp_targetILNS1_3genE0ELNS1_11target_archE4294967295ELNS1_3gpuE0ELNS1_3repE0EEENS1_60segmented_radix_sort_warp_sort_medium_config_static_selectorELNS0_4arch9wavefront6targetE0EEEvSH_,comdat
	.globl	_ZN7rocprim17ROCPRIM_400000_NS6detail17trampoline_kernelINS0_14default_configENS1_36segmented_radix_sort_config_selectorIllEEZNS1_25segmented_radix_sort_implIS3_Lb1EPKlPlS8_S9_N2at6native12_GLOBAL__N_18offset_tEEE10hipError_tPvRmT1_PNSt15iterator_traitsISH_E10value_typeET2_T3_PNSI_ISN_E10value_typeET4_jRbjT5_ST_jjP12ihipStream_tbEUlT_E0_NS1_11comp_targetILNS1_3genE0ELNS1_11target_archE4294967295ELNS1_3gpuE0ELNS1_3repE0EEENS1_60segmented_radix_sort_warp_sort_medium_config_static_selectorELNS0_4arch9wavefront6targetE0EEEvSH_ ; -- Begin function _ZN7rocprim17ROCPRIM_400000_NS6detail17trampoline_kernelINS0_14default_configENS1_36segmented_radix_sort_config_selectorIllEEZNS1_25segmented_radix_sort_implIS3_Lb1EPKlPlS8_S9_N2at6native12_GLOBAL__N_18offset_tEEE10hipError_tPvRmT1_PNSt15iterator_traitsISH_E10value_typeET2_T3_PNSI_ISN_E10value_typeET4_jRbjT5_ST_jjP12ihipStream_tbEUlT_E0_NS1_11comp_targetILNS1_3genE0ELNS1_11target_archE4294967295ELNS1_3gpuE0ELNS1_3repE0EEENS1_60segmented_radix_sort_warp_sort_medium_config_static_selectorELNS0_4arch9wavefront6targetE0EEEvSH_
	.p2align	8
	.type	_ZN7rocprim17ROCPRIM_400000_NS6detail17trampoline_kernelINS0_14default_configENS1_36segmented_radix_sort_config_selectorIllEEZNS1_25segmented_radix_sort_implIS3_Lb1EPKlPlS8_S9_N2at6native12_GLOBAL__N_18offset_tEEE10hipError_tPvRmT1_PNSt15iterator_traitsISH_E10value_typeET2_T3_PNSI_ISN_E10value_typeET4_jRbjT5_ST_jjP12ihipStream_tbEUlT_E0_NS1_11comp_targetILNS1_3genE0ELNS1_11target_archE4294967295ELNS1_3gpuE0ELNS1_3repE0EEENS1_60segmented_radix_sort_warp_sort_medium_config_static_selectorELNS0_4arch9wavefront6targetE0EEEvSH_,@function
_ZN7rocprim17ROCPRIM_400000_NS6detail17trampoline_kernelINS0_14default_configENS1_36segmented_radix_sort_config_selectorIllEEZNS1_25segmented_radix_sort_implIS3_Lb1EPKlPlS8_S9_N2at6native12_GLOBAL__N_18offset_tEEE10hipError_tPvRmT1_PNSt15iterator_traitsISH_E10value_typeET2_T3_PNSI_ISN_E10value_typeET4_jRbjT5_ST_jjP12ihipStream_tbEUlT_E0_NS1_11comp_targetILNS1_3genE0ELNS1_11target_archE4294967295ELNS1_3gpuE0ELNS1_3repE0EEENS1_60segmented_radix_sort_warp_sort_medium_config_static_selectorELNS0_4arch9wavefront6targetE0EEEvSH_: ; @_ZN7rocprim17ROCPRIM_400000_NS6detail17trampoline_kernelINS0_14default_configENS1_36segmented_radix_sort_config_selectorIllEEZNS1_25segmented_radix_sort_implIS3_Lb1EPKlPlS8_S9_N2at6native12_GLOBAL__N_18offset_tEEE10hipError_tPvRmT1_PNSt15iterator_traitsISH_E10value_typeET2_T3_PNSI_ISN_E10value_typeET4_jRbjT5_ST_jjP12ihipStream_tbEUlT_E0_NS1_11comp_targetILNS1_3genE0ELNS1_11target_archE4294967295ELNS1_3gpuE0ELNS1_3repE0EEENS1_60segmented_radix_sort_warp_sort_medium_config_static_selectorELNS0_4arch9wavefront6targetE0EEEvSH_
; %bb.0:
	.section	.rodata,"a",@progbits
	.p2align	6, 0x0
	.amdhsa_kernel _ZN7rocprim17ROCPRIM_400000_NS6detail17trampoline_kernelINS0_14default_configENS1_36segmented_radix_sort_config_selectorIllEEZNS1_25segmented_radix_sort_implIS3_Lb1EPKlPlS8_S9_N2at6native12_GLOBAL__N_18offset_tEEE10hipError_tPvRmT1_PNSt15iterator_traitsISH_E10value_typeET2_T3_PNSI_ISN_E10value_typeET4_jRbjT5_ST_jjP12ihipStream_tbEUlT_E0_NS1_11comp_targetILNS1_3genE0ELNS1_11target_archE4294967295ELNS1_3gpuE0ELNS1_3repE0EEENS1_60segmented_radix_sort_warp_sort_medium_config_static_selectorELNS0_4arch9wavefront6targetE0EEEvSH_
		.amdhsa_group_segment_fixed_size 0
		.amdhsa_private_segment_fixed_size 0
		.amdhsa_kernarg_size 88
		.amdhsa_user_sgpr_count 6
		.amdhsa_user_sgpr_private_segment_buffer 1
		.amdhsa_user_sgpr_dispatch_ptr 0
		.amdhsa_user_sgpr_queue_ptr 0
		.amdhsa_user_sgpr_kernarg_segment_ptr 1
		.amdhsa_user_sgpr_dispatch_id 0
		.amdhsa_user_sgpr_flat_scratch_init 0
		.amdhsa_user_sgpr_private_segment_size 0
		.amdhsa_wavefront_size32 1
		.amdhsa_uses_dynamic_stack 0
		.amdhsa_system_sgpr_private_segment_wavefront_offset 0
		.amdhsa_system_sgpr_workgroup_id_x 1
		.amdhsa_system_sgpr_workgroup_id_y 0
		.amdhsa_system_sgpr_workgroup_id_z 0
		.amdhsa_system_sgpr_workgroup_info 0
		.amdhsa_system_vgpr_workitem_id 0
		.amdhsa_next_free_vgpr 1
		.amdhsa_next_free_sgpr 1
		.amdhsa_reserve_vcc 0
		.amdhsa_reserve_flat_scratch 0
		.amdhsa_float_round_mode_32 0
		.amdhsa_float_round_mode_16_64 0
		.amdhsa_float_denorm_mode_32 3
		.amdhsa_float_denorm_mode_16_64 3
		.amdhsa_dx10_clamp 1
		.amdhsa_ieee_mode 1
		.amdhsa_fp16_overflow 0
		.amdhsa_workgroup_processor_mode 1
		.amdhsa_memory_ordered 1
		.amdhsa_forward_progress 1
		.amdhsa_shared_vgpr_count 0
		.amdhsa_exception_fp_ieee_invalid_op 0
		.amdhsa_exception_fp_denorm_src 0
		.amdhsa_exception_fp_ieee_div_zero 0
		.amdhsa_exception_fp_ieee_overflow 0
		.amdhsa_exception_fp_ieee_underflow 0
		.amdhsa_exception_fp_ieee_inexact 0
		.amdhsa_exception_int_div_zero 0
	.end_amdhsa_kernel
	.section	.text._ZN7rocprim17ROCPRIM_400000_NS6detail17trampoline_kernelINS0_14default_configENS1_36segmented_radix_sort_config_selectorIllEEZNS1_25segmented_radix_sort_implIS3_Lb1EPKlPlS8_S9_N2at6native12_GLOBAL__N_18offset_tEEE10hipError_tPvRmT1_PNSt15iterator_traitsISH_E10value_typeET2_T3_PNSI_ISN_E10value_typeET4_jRbjT5_ST_jjP12ihipStream_tbEUlT_E0_NS1_11comp_targetILNS1_3genE0ELNS1_11target_archE4294967295ELNS1_3gpuE0ELNS1_3repE0EEENS1_60segmented_radix_sort_warp_sort_medium_config_static_selectorELNS0_4arch9wavefront6targetE0EEEvSH_,"axG",@progbits,_ZN7rocprim17ROCPRIM_400000_NS6detail17trampoline_kernelINS0_14default_configENS1_36segmented_radix_sort_config_selectorIllEEZNS1_25segmented_radix_sort_implIS3_Lb1EPKlPlS8_S9_N2at6native12_GLOBAL__N_18offset_tEEE10hipError_tPvRmT1_PNSt15iterator_traitsISH_E10value_typeET2_T3_PNSI_ISN_E10value_typeET4_jRbjT5_ST_jjP12ihipStream_tbEUlT_E0_NS1_11comp_targetILNS1_3genE0ELNS1_11target_archE4294967295ELNS1_3gpuE0ELNS1_3repE0EEENS1_60segmented_radix_sort_warp_sort_medium_config_static_selectorELNS0_4arch9wavefront6targetE0EEEvSH_,comdat
.Lfunc_end708:
	.size	_ZN7rocprim17ROCPRIM_400000_NS6detail17trampoline_kernelINS0_14default_configENS1_36segmented_radix_sort_config_selectorIllEEZNS1_25segmented_radix_sort_implIS3_Lb1EPKlPlS8_S9_N2at6native12_GLOBAL__N_18offset_tEEE10hipError_tPvRmT1_PNSt15iterator_traitsISH_E10value_typeET2_T3_PNSI_ISN_E10value_typeET4_jRbjT5_ST_jjP12ihipStream_tbEUlT_E0_NS1_11comp_targetILNS1_3genE0ELNS1_11target_archE4294967295ELNS1_3gpuE0ELNS1_3repE0EEENS1_60segmented_radix_sort_warp_sort_medium_config_static_selectorELNS0_4arch9wavefront6targetE0EEEvSH_, .Lfunc_end708-_ZN7rocprim17ROCPRIM_400000_NS6detail17trampoline_kernelINS0_14default_configENS1_36segmented_radix_sort_config_selectorIllEEZNS1_25segmented_radix_sort_implIS3_Lb1EPKlPlS8_S9_N2at6native12_GLOBAL__N_18offset_tEEE10hipError_tPvRmT1_PNSt15iterator_traitsISH_E10value_typeET2_T3_PNSI_ISN_E10value_typeET4_jRbjT5_ST_jjP12ihipStream_tbEUlT_E0_NS1_11comp_targetILNS1_3genE0ELNS1_11target_archE4294967295ELNS1_3gpuE0ELNS1_3repE0EEENS1_60segmented_radix_sort_warp_sort_medium_config_static_selectorELNS0_4arch9wavefront6targetE0EEEvSH_
                                        ; -- End function
	.set _ZN7rocprim17ROCPRIM_400000_NS6detail17trampoline_kernelINS0_14default_configENS1_36segmented_radix_sort_config_selectorIllEEZNS1_25segmented_radix_sort_implIS3_Lb1EPKlPlS8_S9_N2at6native12_GLOBAL__N_18offset_tEEE10hipError_tPvRmT1_PNSt15iterator_traitsISH_E10value_typeET2_T3_PNSI_ISN_E10value_typeET4_jRbjT5_ST_jjP12ihipStream_tbEUlT_E0_NS1_11comp_targetILNS1_3genE0ELNS1_11target_archE4294967295ELNS1_3gpuE0ELNS1_3repE0EEENS1_60segmented_radix_sort_warp_sort_medium_config_static_selectorELNS0_4arch9wavefront6targetE0EEEvSH_.num_vgpr, 0
	.set _ZN7rocprim17ROCPRIM_400000_NS6detail17trampoline_kernelINS0_14default_configENS1_36segmented_radix_sort_config_selectorIllEEZNS1_25segmented_radix_sort_implIS3_Lb1EPKlPlS8_S9_N2at6native12_GLOBAL__N_18offset_tEEE10hipError_tPvRmT1_PNSt15iterator_traitsISH_E10value_typeET2_T3_PNSI_ISN_E10value_typeET4_jRbjT5_ST_jjP12ihipStream_tbEUlT_E0_NS1_11comp_targetILNS1_3genE0ELNS1_11target_archE4294967295ELNS1_3gpuE0ELNS1_3repE0EEENS1_60segmented_radix_sort_warp_sort_medium_config_static_selectorELNS0_4arch9wavefront6targetE0EEEvSH_.num_agpr, 0
	.set _ZN7rocprim17ROCPRIM_400000_NS6detail17trampoline_kernelINS0_14default_configENS1_36segmented_radix_sort_config_selectorIllEEZNS1_25segmented_radix_sort_implIS3_Lb1EPKlPlS8_S9_N2at6native12_GLOBAL__N_18offset_tEEE10hipError_tPvRmT1_PNSt15iterator_traitsISH_E10value_typeET2_T3_PNSI_ISN_E10value_typeET4_jRbjT5_ST_jjP12ihipStream_tbEUlT_E0_NS1_11comp_targetILNS1_3genE0ELNS1_11target_archE4294967295ELNS1_3gpuE0ELNS1_3repE0EEENS1_60segmented_radix_sort_warp_sort_medium_config_static_selectorELNS0_4arch9wavefront6targetE0EEEvSH_.numbered_sgpr, 0
	.set _ZN7rocprim17ROCPRIM_400000_NS6detail17trampoline_kernelINS0_14default_configENS1_36segmented_radix_sort_config_selectorIllEEZNS1_25segmented_radix_sort_implIS3_Lb1EPKlPlS8_S9_N2at6native12_GLOBAL__N_18offset_tEEE10hipError_tPvRmT1_PNSt15iterator_traitsISH_E10value_typeET2_T3_PNSI_ISN_E10value_typeET4_jRbjT5_ST_jjP12ihipStream_tbEUlT_E0_NS1_11comp_targetILNS1_3genE0ELNS1_11target_archE4294967295ELNS1_3gpuE0ELNS1_3repE0EEENS1_60segmented_radix_sort_warp_sort_medium_config_static_selectorELNS0_4arch9wavefront6targetE0EEEvSH_.num_named_barrier, 0
	.set _ZN7rocprim17ROCPRIM_400000_NS6detail17trampoline_kernelINS0_14default_configENS1_36segmented_radix_sort_config_selectorIllEEZNS1_25segmented_radix_sort_implIS3_Lb1EPKlPlS8_S9_N2at6native12_GLOBAL__N_18offset_tEEE10hipError_tPvRmT1_PNSt15iterator_traitsISH_E10value_typeET2_T3_PNSI_ISN_E10value_typeET4_jRbjT5_ST_jjP12ihipStream_tbEUlT_E0_NS1_11comp_targetILNS1_3genE0ELNS1_11target_archE4294967295ELNS1_3gpuE0ELNS1_3repE0EEENS1_60segmented_radix_sort_warp_sort_medium_config_static_selectorELNS0_4arch9wavefront6targetE0EEEvSH_.private_seg_size, 0
	.set _ZN7rocprim17ROCPRIM_400000_NS6detail17trampoline_kernelINS0_14default_configENS1_36segmented_radix_sort_config_selectorIllEEZNS1_25segmented_radix_sort_implIS3_Lb1EPKlPlS8_S9_N2at6native12_GLOBAL__N_18offset_tEEE10hipError_tPvRmT1_PNSt15iterator_traitsISH_E10value_typeET2_T3_PNSI_ISN_E10value_typeET4_jRbjT5_ST_jjP12ihipStream_tbEUlT_E0_NS1_11comp_targetILNS1_3genE0ELNS1_11target_archE4294967295ELNS1_3gpuE0ELNS1_3repE0EEENS1_60segmented_radix_sort_warp_sort_medium_config_static_selectorELNS0_4arch9wavefront6targetE0EEEvSH_.uses_vcc, 0
	.set _ZN7rocprim17ROCPRIM_400000_NS6detail17trampoline_kernelINS0_14default_configENS1_36segmented_radix_sort_config_selectorIllEEZNS1_25segmented_radix_sort_implIS3_Lb1EPKlPlS8_S9_N2at6native12_GLOBAL__N_18offset_tEEE10hipError_tPvRmT1_PNSt15iterator_traitsISH_E10value_typeET2_T3_PNSI_ISN_E10value_typeET4_jRbjT5_ST_jjP12ihipStream_tbEUlT_E0_NS1_11comp_targetILNS1_3genE0ELNS1_11target_archE4294967295ELNS1_3gpuE0ELNS1_3repE0EEENS1_60segmented_radix_sort_warp_sort_medium_config_static_selectorELNS0_4arch9wavefront6targetE0EEEvSH_.uses_flat_scratch, 0
	.set _ZN7rocprim17ROCPRIM_400000_NS6detail17trampoline_kernelINS0_14default_configENS1_36segmented_radix_sort_config_selectorIllEEZNS1_25segmented_radix_sort_implIS3_Lb1EPKlPlS8_S9_N2at6native12_GLOBAL__N_18offset_tEEE10hipError_tPvRmT1_PNSt15iterator_traitsISH_E10value_typeET2_T3_PNSI_ISN_E10value_typeET4_jRbjT5_ST_jjP12ihipStream_tbEUlT_E0_NS1_11comp_targetILNS1_3genE0ELNS1_11target_archE4294967295ELNS1_3gpuE0ELNS1_3repE0EEENS1_60segmented_radix_sort_warp_sort_medium_config_static_selectorELNS0_4arch9wavefront6targetE0EEEvSH_.has_dyn_sized_stack, 0
	.set _ZN7rocprim17ROCPRIM_400000_NS6detail17trampoline_kernelINS0_14default_configENS1_36segmented_radix_sort_config_selectorIllEEZNS1_25segmented_radix_sort_implIS3_Lb1EPKlPlS8_S9_N2at6native12_GLOBAL__N_18offset_tEEE10hipError_tPvRmT1_PNSt15iterator_traitsISH_E10value_typeET2_T3_PNSI_ISN_E10value_typeET4_jRbjT5_ST_jjP12ihipStream_tbEUlT_E0_NS1_11comp_targetILNS1_3genE0ELNS1_11target_archE4294967295ELNS1_3gpuE0ELNS1_3repE0EEENS1_60segmented_radix_sort_warp_sort_medium_config_static_selectorELNS0_4arch9wavefront6targetE0EEEvSH_.has_recursion, 0
	.set _ZN7rocprim17ROCPRIM_400000_NS6detail17trampoline_kernelINS0_14default_configENS1_36segmented_radix_sort_config_selectorIllEEZNS1_25segmented_radix_sort_implIS3_Lb1EPKlPlS8_S9_N2at6native12_GLOBAL__N_18offset_tEEE10hipError_tPvRmT1_PNSt15iterator_traitsISH_E10value_typeET2_T3_PNSI_ISN_E10value_typeET4_jRbjT5_ST_jjP12ihipStream_tbEUlT_E0_NS1_11comp_targetILNS1_3genE0ELNS1_11target_archE4294967295ELNS1_3gpuE0ELNS1_3repE0EEENS1_60segmented_radix_sort_warp_sort_medium_config_static_selectorELNS0_4arch9wavefront6targetE0EEEvSH_.has_indirect_call, 0
	.section	.AMDGPU.csdata,"",@progbits
; Kernel info:
; codeLenInByte = 0
; TotalNumSgprs: 0
; NumVgprs: 0
; ScratchSize: 0
; MemoryBound: 0
; FloatMode: 240
; IeeeMode: 1
; LDSByteSize: 0 bytes/workgroup (compile time only)
; SGPRBlocks: 0
; VGPRBlocks: 0
; NumSGPRsForWavesPerEU: 1
; NumVGPRsForWavesPerEU: 1
; Occupancy: 16
; WaveLimiterHint : 0
; COMPUTE_PGM_RSRC2:SCRATCH_EN: 0
; COMPUTE_PGM_RSRC2:USER_SGPR: 6
; COMPUTE_PGM_RSRC2:TRAP_HANDLER: 0
; COMPUTE_PGM_RSRC2:TGID_X_EN: 1
; COMPUTE_PGM_RSRC2:TGID_Y_EN: 0
; COMPUTE_PGM_RSRC2:TGID_Z_EN: 0
; COMPUTE_PGM_RSRC2:TIDIG_COMP_CNT: 0
	.section	.text._ZN7rocprim17ROCPRIM_400000_NS6detail17trampoline_kernelINS0_14default_configENS1_36segmented_radix_sort_config_selectorIllEEZNS1_25segmented_radix_sort_implIS3_Lb1EPKlPlS8_S9_N2at6native12_GLOBAL__N_18offset_tEEE10hipError_tPvRmT1_PNSt15iterator_traitsISH_E10value_typeET2_T3_PNSI_ISN_E10value_typeET4_jRbjT5_ST_jjP12ihipStream_tbEUlT_E0_NS1_11comp_targetILNS1_3genE5ELNS1_11target_archE942ELNS1_3gpuE9ELNS1_3repE0EEENS1_60segmented_radix_sort_warp_sort_medium_config_static_selectorELNS0_4arch9wavefront6targetE0EEEvSH_,"axG",@progbits,_ZN7rocprim17ROCPRIM_400000_NS6detail17trampoline_kernelINS0_14default_configENS1_36segmented_radix_sort_config_selectorIllEEZNS1_25segmented_radix_sort_implIS3_Lb1EPKlPlS8_S9_N2at6native12_GLOBAL__N_18offset_tEEE10hipError_tPvRmT1_PNSt15iterator_traitsISH_E10value_typeET2_T3_PNSI_ISN_E10value_typeET4_jRbjT5_ST_jjP12ihipStream_tbEUlT_E0_NS1_11comp_targetILNS1_3genE5ELNS1_11target_archE942ELNS1_3gpuE9ELNS1_3repE0EEENS1_60segmented_radix_sort_warp_sort_medium_config_static_selectorELNS0_4arch9wavefront6targetE0EEEvSH_,comdat
	.globl	_ZN7rocprim17ROCPRIM_400000_NS6detail17trampoline_kernelINS0_14default_configENS1_36segmented_radix_sort_config_selectorIllEEZNS1_25segmented_radix_sort_implIS3_Lb1EPKlPlS8_S9_N2at6native12_GLOBAL__N_18offset_tEEE10hipError_tPvRmT1_PNSt15iterator_traitsISH_E10value_typeET2_T3_PNSI_ISN_E10value_typeET4_jRbjT5_ST_jjP12ihipStream_tbEUlT_E0_NS1_11comp_targetILNS1_3genE5ELNS1_11target_archE942ELNS1_3gpuE9ELNS1_3repE0EEENS1_60segmented_radix_sort_warp_sort_medium_config_static_selectorELNS0_4arch9wavefront6targetE0EEEvSH_ ; -- Begin function _ZN7rocprim17ROCPRIM_400000_NS6detail17trampoline_kernelINS0_14default_configENS1_36segmented_radix_sort_config_selectorIllEEZNS1_25segmented_radix_sort_implIS3_Lb1EPKlPlS8_S9_N2at6native12_GLOBAL__N_18offset_tEEE10hipError_tPvRmT1_PNSt15iterator_traitsISH_E10value_typeET2_T3_PNSI_ISN_E10value_typeET4_jRbjT5_ST_jjP12ihipStream_tbEUlT_E0_NS1_11comp_targetILNS1_3genE5ELNS1_11target_archE942ELNS1_3gpuE9ELNS1_3repE0EEENS1_60segmented_radix_sort_warp_sort_medium_config_static_selectorELNS0_4arch9wavefront6targetE0EEEvSH_
	.p2align	8
	.type	_ZN7rocprim17ROCPRIM_400000_NS6detail17trampoline_kernelINS0_14default_configENS1_36segmented_radix_sort_config_selectorIllEEZNS1_25segmented_radix_sort_implIS3_Lb1EPKlPlS8_S9_N2at6native12_GLOBAL__N_18offset_tEEE10hipError_tPvRmT1_PNSt15iterator_traitsISH_E10value_typeET2_T3_PNSI_ISN_E10value_typeET4_jRbjT5_ST_jjP12ihipStream_tbEUlT_E0_NS1_11comp_targetILNS1_3genE5ELNS1_11target_archE942ELNS1_3gpuE9ELNS1_3repE0EEENS1_60segmented_radix_sort_warp_sort_medium_config_static_selectorELNS0_4arch9wavefront6targetE0EEEvSH_,@function
_ZN7rocprim17ROCPRIM_400000_NS6detail17trampoline_kernelINS0_14default_configENS1_36segmented_radix_sort_config_selectorIllEEZNS1_25segmented_radix_sort_implIS3_Lb1EPKlPlS8_S9_N2at6native12_GLOBAL__N_18offset_tEEE10hipError_tPvRmT1_PNSt15iterator_traitsISH_E10value_typeET2_T3_PNSI_ISN_E10value_typeET4_jRbjT5_ST_jjP12ihipStream_tbEUlT_E0_NS1_11comp_targetILNS1_3genE5ELNS1_11target_archE942ELNS1_3gpuE9ELNS1_3repE0EEENS1_60segmented_radix_sort_warp_sort_medium_config_static_selectorELNS0_4arch9wavefront6targetE0EEEvSH_: ; @_ZN7rocprim17ROCPRIM_400000_NS6detail17trampoline_kernelINS0_14default_configENS1_36segmented_radix_sort_config_selectorIllEEZNS1_25segmented_radix_sort_implIS3_Lb1EPKlPlS8_S9_N2at6native12_GLOBAL__N_18offset_tEEE10hipError_tPvRmT1_PNSt15iterator_traitsISH_E10value_typeET2_T3_PNSI_ISN_E10value_typeET4_jRbjT5_ST_jjP12ihipStream_tbEUlT_E0_NS1_11comp_targetILNS1_3genE5ELNS1_11target_archE942ELNS1_3gpuE9ELNS1_3repE0EEENS1_60segmented_radix_sort_warp_sort_medium_config_static_selectorELNS0_4arch9wavefront6targetE0EEEvSH_
; %bb.0:
	.section	.rodata,"a",@progbits
	.p2align	6, 0x0
	.amdhsa_kernel _ZN7rocprim17ROCPRIM_400000_NS6detail17trampoline_kernelINS0_14default_configENS1_36segmented_radix_sort_config_selectorIllEEZNS1_25segmented_radix_sort_implIS3_Lb1EPKlPlS8_S9_N2at6native12_GLOBAL__N_18offset_tEEE10hipError_tPvRmT1_PNSt15iterator_traitsISH_E10value_typeET2_T3_PNSI_ISN_E10value_typeET4_jRbjT5_ST_jjP12ihipStream_tbEUlT_E0_NS1_11comp_targetILNS1_3genE5ELNS1_11target_archE942ELNS1_3gpuE9ELNS1_3repE0EEENS1_60segmented_radix_sort_warp_sort_medium_config_static_selectorELNS0_4arch9wavefront6targetE0EEEvSH_
		.amdhsa_group_segment_fixed_size 0
		.amdhsa_private_segment_fixed_size 0
		.amdhsa_kernarg_size 88
		.amdhsa_user_sgpr_count 6
		.amdhsa_user_sgpr_private_segment_buffer 1
		.amdhsa_user_sgpr_dispatch_ptr 0
		.amdhsa_user_sgpr_queue_ptr 0
		.amdhsa_user_sgpr_kernarg_segment_ptr 1
		.amdhsa_user_sgpr_dispatch_id 0
		.amdhsa_user_sgpr_flat_scratch_init 0
		.amdhsa_user_sgpr_private_segment_size 0
		.amdhsa_wavefront_size32 1
		.amdhsa_uses_dynamic_stack 0
		.amdhsa_system_sgpr_private_segment_wavefront_offset 0
		.amdhsa_system_sgpr_workgroup_id_x 1
		.amdhsa_system_sgpr_workgroup_id_y 0
		.amdhsa_system_sgpr_workgroup_id_z 0
		.amdhsa_system_sgpr_workgroup_info 0
		.amdhsa_system_vgpr_workitem_id 0
		.amdhsa_next_free_vgpr 1
		.amdhsa_next_free_sgpr 1
		.amdhsa_reserve_vcc 0
		.amdhsa_reserve_flat_scratch 0
		.amdhsa_float_round_mode_32 0
		.amdhsa_float_round_mode_16_64 0
		.amdhsa_float_denorm_mode_32 3
		.amdhsa_float_denorm_mode_16_64 3
		.amdhsa_dx10_clamp 1
		.amdhsa_ieee_mode 1
		.amdhsa_fp16_overflow 0
		.amdhsa_workgroup_processor_mode 1
		.amdhsa_memory_ordered 1
		.amdhsa_forward_progress 1
		.amdhsa_shared_vgpr_count 0
		.amdhsa_exception_fp_ieee_invalid_op 0
		.amdhsa_exception_fp_denorm_src 0
		.amdhsa_exception_fp_ieee_div_zero 0
		.amdhsa_exception_fp_ieee_overflow 0
		.amdhsa_exception_fp_ieee_underflow 0
		.amdhsa_exception_fp_ieee_inexact 0
		.amdhsa_exception_int_div_zero 0
	.end_amdhsa_kernel
	.section	.text._ZN7rocprim17ROCPRIM_400000_NS6detail17trampoline_kernelINS0_14default_configENS1_36segmented_radix_sort_config_selectorIllEEZNS1_25segmented_radix_sort_implIS3_Lb1EPKlPlS8_S9_N2at6native12_GLOBAL__N_18offset_tEEE10hipError_tPvRmT1_PNSt15iterator_traitsISH_E10value_typeET2_T3_PNSI_ISN_E10value_typeET4_jRbjT5_ST_jjP12ihipStream_tbEUlT_E0_NS1_11comp_targetILNS1_3genE5ELNS1_11target_archE942ELNS1_3gpuE9ELNS1_3repE0EEENS1_60segmented_radix_sort_warp_sort_medium_config_static_selectorELNS0_4arch9wavefront6targetE0EEEvSH_,"axG",@progbits,_ZN7rocprim17ROCPRIM_400000_NS6detail17trampoline_kernelINS0_14default_configENS1_36segmented_radix_sort_config_selectorIllEEZNS1_25segmented_radix_sort_implIS3_Lb1EPKlPlS8_S9_N2at6native12_GLOBAL__N_18offset_tEEE10hipError_tPvRmT1_PNSt15iterator_traitsISH_E10value_typeET2_T3_PNSI_ISN_E10value_typeET4_jRbjT5_ST_jjP12ihipStream_tbEUlT_E0_NS1_11comp_targetILNS1_3genE5ELNS1_11target_archE942ELNS1_3gpuE9ELNS1_3repE0EEENS1_60segmented_radix_sort_warp_sort_medium_config_static_selectorELNS0_4arch9wavefront6targetE0EEEvSH_,comdat
.Lfunc_end709:
	.size	_ZN7rocprim17ROCPRIM_400000_NS6detail17trampoline_kernelINS0_14default_configENS1_36segmented_radix_sort_config_selectorIllEEZNS1_25segmented_radix_sort_implIS3_Lb1EPKlPlS8_S9_N2at6native12_GLOBAL__N_18offset_tEEE10hipError_tPvRmT1_PNSt15iterator_traitsISH_E10value_typeET2_T3_PNSI_ISN_E10value_typeET4_jRbjT5_ST_jjP12ihipStream_tbEUlT_E0_NS1_11comp_targetILNS1_3genE5ELNS1_11target_archE942ELNS1_3gpuE9ELNS1_3repE0EEENS1_60segmented_radix_sort_warp_sort_medium_config_static_selectorELNS0_4arch9wavefront6targetE0EEEvSH_, .Lfunc_end709-_ZN7rocprim17ROCPRIM_400000_NS6detail17trampoline_kernelINS0_14default_configENS1_36segmented_radix_sort_config_selectorIllEEZNS1_25segmented_radix_sort_implIS3_Lb1EPKlPlS8_S9_N2at6native12_GLOBAL__N_18offset_tEEE10hipError_tPvRmT1_PNSt15iterator_traitsISH_E10value_typeET2_T3_PNSI_ISN_E10value_typeET4_jRbjT5_ST_jjP12ihipStream_tbEUlT_E0_NS1_11comp_targetILNS1_3genE5ELNS1_11target_archE942ELNS1_3gpuE9ELNS1_3repE0EEENS1_60segmented_radix_sort_warp_sort_medium_config_static_selectorELNS0_4arch9wavefront6targetE0EEEvSH_
                                        ; -- End function
	.set _ZN7rocprim17ROCPRIM_400000_NS6detail17trampoline_kernelINS0_14default_configENS1_36segmented_radix_sort_config_selectorIllEEZNS1_25segmented_radix_sort_implIS3_Lb1EPKlPlS8_S9_N2at6native12_GLOBAL__N_18offset_tEEE10hipError_tPvRmT1_PNSt15iterator_traitsISH_E10value_typeET2_T3_PNSI_ISN_E10value_typeET4_jRbjT5_ST_jjP12ihipStream_tbEUlT_E0_NS1_11comp_targetILNS1_3genE5ELNS1_11target_archE942ELNS1_3gpuE9ELNS1_3repE0EEENS1_60segmented_radix_sort_warp_sort_medium_config_static_selectorELNS0_4arch9wavefront6targetE0EEEvSH_.num_vgpr, 0
	.set _ZN7rocprim17ROCPRIM_400000_NS6detail17trampoline_kernelINS0_14default_configENS1_36segmented_radix_sort_config_selectorIllEEZNS1_25segmented_radix_sort_implIS3_Lb1EPKlPlS8_S9_N2at6native12_GLOBAL__N_18offset_tEEE10hipError_tPvRmT1_PNSt15iterator_traitsISH_E10value_typeET2_T3_PNSI_ISN_E10value_typeET4_jRbjT5_ST_jjP12ihipStream_tbEUlT_E0_NS1_11comp_targetILNS1_3genE5ELNS1_11target_archE942ELNS1_3gpuE9ELNS1_3repE0EEENS1_60segmented_radix_sort_warp_sort_medium_config_static_selectorELNS0_4arch9wavefront6targetE0EEEvSH_.num_agpr, 0
	.set _ZN7rocprim17ROCPRIM_400000_NS6detail17trampoline_kernelINS0_14default_configENS1_36segmented_radix_sort_config_selectorIllEEZNS1_25segmented_radix_sort_implIS3_Lb1EPKlPlS8_S9_N2at6native12_GLOBAL__N_18offset_tEEE10hipError_tPvRmT1_PNSt15iterator_traitsISH_E10value_typeET2_T3_PNSI_ISN_E10value_typeET4_jRbjT5_ST_jjP12ihipStream_tbEUlT_E0_NS1_11comp_targetILNS1_3genE5ELNS1_11target_archE942ELNS1_3gpuE9ELNS1_3repE0EEENS1_60segmented_radix_sort_warp_sort_medium_config_static_selectorELNS0_4arch9wavefront6targetE0EEEvSH_.numbered_sgpr, 0
	.set _ZN7rocprim17ROCPRIM_400000_NS6detail17trampoline_kernelINS0_14default_configENS1_36segmented_radix_sort_config_selectorIllEEZNS1_25segmented_radix_sort_implIS3_Lb1EPKlPlS8_S9_N2at6native12_GLOBAL__N_18offset_tEEE10hipError_tPvRmT1_PNSt15iterator_traitsISH_E10value_typeET2_T3_PNSI_ISN_E10value_typeET4_jRbjT5_ST_jjP12ihipStream_tbEUlT_E0_NS1_11comp_targetILNS1_3genE5ELNS1_11target_archE942ELNS1_3gpuE9ELNS1_3repE0EEENS1_60segmented_radix_sort_warp_sort_medium_config_static_selectorELNS0_4arch9wavefront6targetE0EEEvSH_.num_named_barrier, 0
	.set _ZN7rocprim17ROCPRIM_400000_NS6detail17trampoline_kernelINS0_14default_configENS1_36segmented_radix_sort_config_selectorIllEEZNS1_25segmented_radix_sort_implIS3_Lb1EPKlPlS8_S9_N2at6native12_GLOBAL__N_18offset_tEEE10hipError_tPvRmT1_PNSt15iterator_traitsISH_E10value_typeET2_T3_PNSI_ISN_E10value_typeET4_jRbjT5_ST_jjP12ihipStream_tbEUlT_E0_NS1_11comp_targetILNS1_3genE5ELNS1_11target_archE942ELNS1_3gpuE9ELNS1_3repE0EEENS1_60segmented_radix_sort_warp_sort_medium_config_static_selectorELNS0_4arch9wavefront6targetE0EEEvSH_.private_seg_size, 0
	.set _ZN7rocprim17ROCPRIM_400000_NS6detail17trampoline_kernelINS0_14default_configENS1_36segmented_radix_sort_config_selectorIllEEZNS1_25segmented_radix_sort_implIS3_Lb1EPKlPlS8_S9_N2at6native12_GLOBAL__N_18offset_tEEE10hipError_tPvRmT1_PNSt15iterator_traitsISH_E10value_typeET2_T3_PNSI_ISN_E10value_typeET4_jRbjT5_ST_jjP12ihipStream_tbEUlT_E0_NS1_11comp_targetILNS1_3genE5ELNS1_11target_archE942ELNS1_3gpuE9ELNS1_3repE0EEENS1_60segmented_radix_sort_warp_sort_medium_config_static_selectorELNS0_4arch9wavefront6targetE0EEEvSH_.uses_vcc, 0
	.set _ZN7rocprim17ROCPRIM_400000_NS6detail17trampoline_kernelINS0_14default_configENS1_36segmented_radix_sort_config_selectorIllEEZNS1_25segmented_radix_sort_implIS3_Lb1EPKlPlS8_S9_N2at6native12_GLOBAL__N_18offset_tEEE10hipError_tPvRmT1_PNSt15iterator_traitsISH_E10value_typeET2_T3_PNSI_ISN_E10value_typeET4_jRbjT5_ST_jjP12ihipStream_tbEUlT_E0_NS1_11comp_targetILNS1_3genE5ELNS1_11target_archE942ELNS1_3gpuE9ELNS1_3repE0EEENS1_60segmented_radix_sort_warp_sort_medium_config_static_selectorELNS0_4arch9wavefront6targetE0EEEvSH_.uses_flat_scratch, 0
	.set _ZN7rocprim17ROCPRIM_400000_NS6detail17trampoline_kernelINS0_14default_configENS1_36segmented_radix_sort_config_selectorIllEEZNS1_25segmented_radix_sort_implIS3_Lb1EPKlPlS8_S9_N2at6native12_GLOBAL__N_18offset_tEEE10hipError_tPvRmT1_PNSt15iterator_traitsISH_E10value_typeET2_T3_PNSI_ISN_E10value_typeET4_jRbjT5_ST_jjP12ihipStream_tbEUlT_E0_NS1_11comp_targetILNS1_3genE5ELNS1_11target_archE942ELNS1_3gpuE9ELNS1_3repE0EEENS1_60segmented_radix_sort_warp_sort_medium_config_static_selectorELNS0_4arch9wavefront6targetE0EEEvSH_.has_dyn_sized_stack, 0
	.set _ZN7rocprim17ROCPRIM_400000_NS6detail17trampoline_kernelINS0_14default_configENS1_36segmented_radix_sort_config_selectorIllEEZNS1_25segmented_radix_sort_implIS3_Lb1EPKlPlS8_S9_N2at6native12_GLOBAL__N_18offset_tEEE10hipError_tPvRmT1_PNSt15iterator_traitsISH_E10value_typeET2_T3_PNSI_ISN_E10value_typeET4_jRbjT5_ST_jjP12ihipStream_tbEUlT_E0_NS1_11comp_targetILNS1_3genE5ELNS1_11target_archE942ELNS1_3gpuE9ELNS1_3repE0EEENS1_60segmented_radix_sort_warp_sort_medium_config_static_selectorELNS0_4arch9wavefront6targetE0EEEvSH_.has_recursion, 0
	.set _ZN7rocprim17ROCPRIM_400000_NS6detail17trampoline_kernelINS0_14default_configENS1_36segmented_radix_sort_config_selectorIllEEZNS1_25segmented_radix_sort_implIS3_Lb1EPKlPlS8_S9_N2at6native12_GLOBAL__N_18offset_tEEE10hipError_tPvRmT1_PNSt15iterator_traitsISH_E10value_typeET2_T3_PNSI_ISN_E10value_typeET4_jRbjT5_ST_jjP12ihipStream_tbEUlT_E0_NS1_11comp_targetILNS1_3genE5ELNS1_11target_archE942ELNS1_3gpuE9ELNS1_3repE0EEENS1_60segmented_radix_sort_warp_sort_medium_config_static_selectorELNS0_4arch9wavefront6targetE0EEEvSH_.has_indirect_call, 0
	.section	.AMDGPU.csdata,"",@progbits
; Kernel info:
; codeLenInByte = 0
; TotalNumSgprs: 0
; NumVgprs: 0
; ScratchSize: 0
; MemoryBound: 0
; FloatMode: 240
; IeeeMode: 1
; LDSByteSize: 0 bytes/workgroup (compile time only)
; SGPRBlocks: 0
; VGPRBlocks: 0
; NumSGPRsForWavesPerEU: 1
; NumVGPRsForWavesPerEU: 1
; Occupancy: 16
; WaveLimiterHint : 0
; COMPUTE_PGM_RSRC2:SCRATCH_EN: 0
; COMPUTE_PGM_RSRC2:USER_SGPR: 6
; COMPUTE_PGM_RSRC2:TRAP_HANDLER: 0
; COMPUTE_PGM_RSRC2:TGID_X_EN: 1
; COMPUTE_PGM_RSRC2:TGID_Y_EN: 0
; COMPUTE_PGM_RSRC2:TGID_Z_EN: 0
; COMPUTE_PGM_RSRC2:TIDIG_COMP_CNT: 0
	.section	.text._ZN7rocprim17ROCPRIM_400000_NS6detail17trampoline_kernelINS0_14default_configENS1_36segmented_radix_sort_config_selectorIllEEZNS1_25segmented_radix_sort_implIS3_Lb1EPKlPlS8_S9_N2at6native12_GLOBAL__N_18offset_tEEE10hipError_tPvRmT1_PNSt15iterator_traitsISH_E10value_typeET2_T3_PNSI_ISN_E10value_typeET4_jRbjT5_ST_jjP12ihipStream_tbEUlT_E0_NS1_11comp_targetILNS1_3genE4ELNS1_11target_archE910ELNS1_3gpuE8ELNS1_3repE0EEENS1_60segmented_radix_sort_warp_sort_medium_config_static_selectorELNS0_4arch9wavefront6targetE0EEEvSH_,"axG",@progbits,_ZN7rocprim17ROCPRIM_400000_NS6detail17trampoline_kernelINS0_14default_configENS1_36segmented_radix_sort_config_selectorIllEEZNS1_25segmented_radix_sort_implIS3_Lb1EPKlPlS8_S9_N2at6native12_GLOBAL__N_18offset_tEEE10hipError_tPvRmT1_PNSt15iterator_traitsISH_E10value_typeET2_T3_PNSI_ISN_E10value_typeET4_jRbjT5_ST_jjP12ihipStream_tbEUlT_E0_NS1_11comp_targetILNS1_3genE4ELNS1_11target_archE910ELNS1_3gpuE8ELNS1_3repE0EEENS1_60segmented_radix_sort_warp_sort_medium_config_static_selectorELNS0_4arch9wavefront6targetE0EEEvSH_,comdat
	.globl	_ZN7rocprim17ROCPRIM_400000_NS6detail17trampoline_kernelINS0_14default_configENS1_36segmented_radix_sort_config_selectorIllEEZNS1_25segmented_radix_sort_implIS3_Lb1EPKlPlS8_S9_N2at6native12_GLOBAL__N_18offset_tEEE10hipError_tPvRmT1_PNSt15iterator_traitsISH_E10value_typeET2_T3_PNSI_ISN_E10value_typeET4_jRbjT5_ST_jjP12ihipStream_tbEUlT_E0_NS1_11comp_targetILNS1_3genE4ELNS1_11target_archE910ELNS1_3gpuE8ELNS1_3repE0EEENS1_60segmented_radix_sort_warp_sort_medium_config_static_selectorELNS0_4arch9wavefront6targetE0EEEvSH_ ; -- Begin function _ZN7rocprim17ROCPRIM_400000_NS6detail17trampoline_kernelINS0_14default_configENS1_36segmented_radix_sort_config_selectorIllEEZNS1_25segmented_radix_sort_implIS3_Lb1EPKlPlS8_S9_N2at6native12_GLOBAL__N_18offset_tEEE10hipError_tPvRmT1_PNSt15iterator_traitsISH_E10value_typeET2_T3_PNSI_ISN_E10value_typeET4_jRbjT5_ST_jjP12ihipStream_tbEUlT_E0_NS1_11comp_targetILNS1_3genE4ELNS1_11target_archE910ELNS1_3gpuE8ELNS1_3repE0EEENS1_60segmented_radix_sort_warp_sort_medium_config_static_selectorELNS0_4arch9wavefront6targetE0EEEvSH_
	.p2align	8
	.type	_ZN7rocprim17ROCPRIM_400000_NS6detail17trampoline_kernelINS0_14default_configENS1_36segmented_radix_sort_config_selectorIllEEZNS1_25segmented_radix_sort_implIS3_Lb1EPKlPlS8_S9_N2at6native12_GLOBAL__N_18offset_tEEE10hipError_tPvRmT1_PNSt15iterator_traitsISH_E10value_typeET2_T3_PNSI_ISN_E10value_typeET4_jRbjT5_ST_jjP12ihipStream_tbEUlT_E0_NS1_11comp_targetILNS1_3genE4ELNS1_11target_archE910ELNS1_3gpuE8ELNS1_3repE0EEENS1_60segmented_radix_sort_warp_sort_medium_config_static_selectorELNS0_4arch9wavefront6targetE0EEEvSH_,@function
_ZN7rocprim17ROCPRIM_400000_NS6detail17trampoline_kernelINS0_14default_configENS1_36segmented_radix_sort_config_selectorIllEEZNS1_25segmented_radix_sort_implIS3_Lb1EPKlPlS8_S9_N2at6native12_GLOBAL__N_18offset_tEEE10hipError_tPvRmT1_PNSt15iterator_traitsISH_E10value_typeET2_T3_PNSI_ISN_E10value_typeET4_jRbjT5_ST_jjP12ihipStream_tbEUlT_E0_NS1_11comp_targetILNS1_3genE4ELNS1_11target_archE910ELNS1_3gpuE8ELNS1_3repE0EEENS1_60segmented_radix_sort_warp_sort_medium_config_static_selectorELNS0_4arch9wavefront6targetE0EEEvSH_: ; @_ZN7rocprim17ROCPRIM_400000_NS6detail17trampoline_kernelINS0_14default_configENS1_36segmented_radix_sort_config_selectorIllEEZNS1_25segmented_radix_sort_implIS3_Lb1EPKlPlS8_S9_N2at6native12_GLOBAL__N_18offset_tEEE10hipError_tPvRmT1_PNSt15iterator_traitsISH_E10value_typeET2_T3_PNSI_ISN_E10value_typeET4_jRbjT5_ST_jjP12ihipStream_tbEUlT_E0_NS1_11comp_targetILNS1_3genE4ELNS1_11target_archE910ELNS1_3gpuE8ELNS1_3repE0EEENS1_60segmented_radix_sort_warp_sort_medium_config_static_selectorELNS0_4arch9wavefront6targetE0EEEvSH_
; %bb.0:
	.section	.rodata,"a",@progbits
	.p2align	6, 0x0
	.amdhsa_kernel _ZN7rocprim17ROCPRIM_400000_NS6detail17trampoline_kernelINS0_14default_configENS1_36segmented_radix_sort_config_selectorIllEEZNS1_25segmented_radix_sort_implIS3_Lb1EPKlPlS8_S9_N2at6native12_GLOBAL__N_18offset_tEEE10hipError_tPvRmT1_PNSt15iterator_traitsISH_E10value_typeET2_T3_PNSI_ISN_E10value_typeET4_jRbjT5_ST_jjP12ihipStream_tbEUlT_E0_NS1_11comp_targetILNS1_3genE4ELNS1_11target_archE910ELNS1_3gpuE8ELNS1_3repE0EEENS1_60segmented_radix_sort_warp_sort_medium_config_static_selectorELNS0_4arch9wavefront6targetE0EEEvSH_
		.amdhsa_group_segment_fixed_size 0
		.amdhsa_private_segment_fixed_size 0
		.amdhsa_kernarg_size 88
		.amdhsa_user_sgpr_count 6
		.amdhsa_user_sgpr_private_segment_buffer 1
		.amdhsa_user_sgpr_dispatch_ptr 0
		.amdhsa_user_sgpr_queue_ptr 0
		.amdhsa_user_sgpr_kernarg_segment_ptr 1
		.amdhsa_user_sgpr_dispatch_id 0
		.amdhsa_user_sgpr_flat_scratch_init 0
		.amdhsa_user_sgpr_private_segment_size 0
		.amdhsa_wavefront_size32 1
		.amdhsa_uses_dynamic_stack 0
		.amdhsa_system_sgpr_private_segment_wavefront_offset 0
		.amdhsa_system_sgpr_workgroup_id_x 1
		.amdhsa_system_sgpr_workgroup_id_y 0
		.amdhsa_system_sgpr_workgroup_id_z 0
		.amdhsa_system_sgpr_workgroup_info 0
		.amdhsa_system_vgpr_workitem_id 0
		.amdhsa_next_free_vgpr 1
		.amdhsa_next_free_sgpr 1
		.amdhsa_reserve_vcc 0
		.amdhsa_reserve_flat_scratch 0
		.amdhsa_float_round_mode_32 0
		.amdhsa_float_round_mode_16_64 0
		.amdhsa_float_denorm_mode_32 3
		.amdhsa_float_denorm_mode_16_64 3
		.amdhsa_dx10_clamp 1
		.amdhsa_ieee_mode 1
		.amdhsa_fp16_overflow 0
		.amdhsa_workgroup_processor_mode 1
		.amdhsa_memory_ordered 1
		.amdhsa_forward_progress 1
		.amdhsa_shared_vgpr_count 0
		.amdhsa_exception_fp_ieee_invalid_op 0
		.amdhsa_exception_fp_denorm_src 0
		.amdhsa_exception_fp_ieee_div_zero 0
		.amdhsa_exception_fp_ieee_overflow 0
		.amdhsa_exception_fp_ieee_underflow 0
		.amdhsa_exception_fp_ieee_inexact 0
		.amdhsa_exception_int_div_zero 0
	.end_amdhsa_kernel
	.section	.text._ZN7rocprim17ROCPRIM_400000_NS6detail17trampoline_kernelINS0_14default_configENS1_36segmented_radix_sort_config_selectorIllEEZNS1_25segmented_radix_sort_implIS3_Lb1EPKlPlS8_S9_N2at6native12_GLOBAL__N_18offset_tEEE10hipError_tPvRmT1_PNSt15iterator_traitsISH_E10value_typeET2_T3_PNSI_ISN_E10value_typeET4_jRbjT5_ST_jjP12ihipStream_tbEUlT_E0_NS1_11comp_targetILNS1_3genE4ELNS1_11target_archE910ELNS1_3gpuE8ELNS1_3repE0EEENS1_60segmented_radix_sort_warp_sort_medium_config_static_selectorELNS0_4arch9wavefront6targetE0EEEvSH_,"axG",@progbits,_ZN7rocprim17ROCPRIM_400000_NS6detail17trampoline_kernelINS0_14default_configENS1_36segmented_radix_sort_config_selectorIllEEZNS1_25segmented_radix_sort_implIS3_Lb1EPKlPlS8_S9_N2at6native12_GLOBAL__N_18offset_tEEE10hipError_tPvRmT1_PNSt15iterator_traitsISH_E10value_typeET2_T3_PNSI_ISN_E10value_typeET4_jRbjT5_ST_jjP12ihipStream_tbEUlT_E0_NS1_11comp_targetILNS1_3genE4ELNS1_11target_archE910ELNS1_3gpuE8ELNS1_3repE0EEENS1_60segmented_radix_sort_warp_sort_medium_config_static_selectorELNS0_4arch9wavefront6targetE0EEEvSH_,comdat
.Lfunc_end710:
	.size	_ZN7rocprim17ROCPRIM_400000_NS6detail17trampoline_kernelINS0_14default_configENS1_36segmented_radix_sort_config_selectorIllEEZNS1_25segmented_radix_sort_implIS3_Lb1EPKlPlS8_S9_N2at6native12_GLOBAL__N_18offset_tEEE10hipError_tPvRmT1_PNSt15iterator_traitsISH_E10value_typeET2_T3_PNSI_ISN_E10value_typeET4_jRbjT5_ST_jjP12ihipStream_tbEUlT_E0_NS1_11comp_targetILNS1_3genE4ELNS1_11target_archE910ELNS1_3gpuE8ELNS1_3repE0EEENS1_60segmented_radix_sort_warp_sort_medium_config_static_selectorELNS0_4arch9wavefront6targetE0EEEvSH_, .Lfunc_end710-_ZN7rocprim17ROCPRIM_400000_NS6detail17trampoline_kernelINS0_14default_configENS1_36segmented_radix_sort_config_selectorIllEEZNS1_25segmented_radix_sort_implIS3_Lb1EPKlPlS8_S9_N2at6native12_GLOBAL__N_18offset_tEEE10hipError_tPvRmT1_PNSt15iterator_traitsISH_E10value_typeET2_T3_PNSI_ISN_E10value_typeET4_jRbjT5_ST_jjP12ihipStream_tbEUlT_E0_NS1_11comp_targetILNS1_3genE4ELNS1_11target_archE910ELNS1_3gpuE8ELNS1_3repE0EEENS1_60segmented_radix_sort_warp_sort_medium_config_static_selectorELNS0_4arch9wavefront6targetE0EEEvSH_
                                        ; -- End function
	.set _ZN7rocprim17ROCPRIM_400000_NS6detail17trampoline_kernelINS0_14default_configENS1_36segmented_radix_sort_config_selectorIllEEZNS1_25segmented_radix_sort_implIS3_Lb1EPKlPlS8_S9_N2at6native12_GLOBAL__N_18offset_tEEE10hipError_tPvRmT1_PNSt15iterator_traitsISH_E10value_typeET2_T3_PNSI_ISN_E10value_typeET4_jRbjT5_ST_jjP12ihipStream_tbEUlT_E0_NS1_11comp_targetILNS1_3genE4ELNS1_11target_archE910ELNS1_3gpuE8ELNS1_3repE0EEENS1_60segmented_radix_sort_warp_sort_medium_config_static_selectorELNS0_4arch9wavefront6targetE0EEEvSH_.num_vgpr, 0
	.set _ZN7rocprim17ROCPRIM_400000_NS6detail17trampoline_kernelINS0_14default_configENS1_36segmented_radix_sort_config_selectorIllEEZNS1_25segmented_radix_sort_implIS3_Lb1EPKlPlS8_S9_N2at6native12_GLOBAL__N_18offset_tEEE10hipError_tPvRmT1_PNSt15iterator_traitsISH_E10value_typeET2_T3_PNSI_ISN_E10value_typeET4_jRbjT5_ST_jjP12ihipStream_tbEUlT_E0_NS1_11comp_targetILNS1_3genE4ELNS1_11target_archE910ELNS1_3gpuE8ELNS1_3repE0EEENS1_60segmented_radix_sort_warp_sort_medium_config_static_selectorELNS0_4arch9wavefront6targetE0EEEvSH_.num_agpr, 0
	.set _ZN7rocprim17ROCPRIM_400000_NS6detail17trampoline_kernelINS0_14default_configENS1_36segmented_radix_sort_config_selectorIllEEZNS1_25segmented_radix_sort_implIS3_Lb1EPKlPlS8_S9_N2at6native12_GLOBAL__N_18offset_tEEE10hipError_tPvRmT1_PNSt15iterator_traitsISH_E10value_typeET2_T3_PNSI_ISN_E10value_typeET4_jRbjT5_ST_jjP12ihipStream_tbEUlT_E0_NS1_11comp_targetILNS1_3genE4ELNS1_11target_archE910ELNS1_3gpuE8ELNS1_3repE0EEENS1_60segmented_radix_sort_warp_sort_medium_config_static_selectorELNS0_4arch9wavefront6targetE0EEEvSH_.numbered_sgpr, 0
	.set _ZN7rocprim17ROCPRIM_400000_NS6detail17trampoline_kernelINS0_14default_configENS1_36segmented_radix_sort_config_selectorIllEEZNS1_25segmented_radix_sort_implIS3_Lb1EPKlPlS8_S9_N2at6native12_GLOBAL__N_18offset_tEEE10hipError_tPvRmT1_PNSt15iterator_traitsISH_E10value_typeET2_T3_PNSI_ISN_E10value_typeET4_jRbjT5_ST_jjP12ihipStream_tbEUlT_E0_NS1_11comp_targetILNS1_3genE4ELNS1_11target_archE910ELNS1_3gpuE8ELNS1_3repE0EEENS1_60segmented_radix_sort_warp_sort_medium_config_static_selectorELNS0_4arch9wavefront6targetE0EEEvSH_.num_named_barrier, 0
	.set _ZN7rocprim17ROCPRIM_400000_NS6detail17trampoline_kernelINS0_14default_configENS1_36segmented_radix_sort_config_selectorIllEEZNS1_25segmented_radix_sort_implIS3_Lb1EPKlPlS8_S9_N2at6native12_GLOBAL__N_18offset_tEEE10hipError_tPvRmT1_PNSt15iterator_traitsISH_E10value_typeET2_T3_PNSI_ISN_E10value_typeET4_jRbjT5_ST_jjP12ihipStream_tbEUlT_E0_NS1_11comp_targetILNS1_3genE4ELNS1_11target_archE910ELNS1_3gpuE8ELNS1_3repE0EEENS1_60segmented_radix_sort_warp_sort_medium_config_static_selectorELNS0_4arch9wavefront6targetE0EEEvSH_.private_seg_size, 0
	.set _ZN7rocprim17ROCPRIM_400000_NS6detail17trampoline_kernelINS0_14default_configENS1_36segmented_radix_sort_config_selectorIllEEZNS1_25segmented_radix_sort_implIS3_Lb1EPKlPlS8_S9_N2at6native12_GLOBAL__N_18offset_tEEE10hipError_tPvRmT1_PNSt15iterator_traitsISH_E10value_typeET2_T3_PNSI_ISN_E10value_typeET4_jRbjT5_ST_jjP12ihipStream_tbEUlT_E0_NS1_11comp_targetILNS1_3genE4ELNS1_11target_archE910ELNS1_3gpuE8ELNS1_3repE0EEENS1_60segmented_radix_sort_warp_sort_medium_config_static_selectorELNS0_4arch9wavefront6targetE0EEEvSH_.uses_vcc, 0
	.set _ZN7rocprim17ROCPRIM_400000_NS6detail17trampoline_kernelINS0_14default_configENS1_36segmented_radix_sort_config_selectorIllEEZNS1_25segmented_radix_sort_implIS3_Lb1EPKlPlS8_S9_N2at6native12_GLOBAL__N_18offset_tEEE10hipError_tPvRmT1_PNSt15iterator_traitsISH_E10value_typeET2_T3_PNSI_ISN_E10value_typeET4_jRbjT5_ST_jjP12ihipStream_tbEUlT_E0_NS1_11comp_targetILNS1_3genE4ELNS1_11target_archE910ELNS1_3gpuE8ELNS1_3repE0EEENS1_60segmented_radix_sort_warp_sort_medium_config_static_selectorELNS0_4arch9wavefront6targetE0EEEvSH_.uses_flat_scratch, 0
	.set _ZN7rocprim17ROCPRIM_400000_NS6detail17trampoline_kernelINS0_14default_configENS1_36segmented_radix_sort_config_selectorIllEEZNS1_25segmented_radix_sort_implIS3_Lb1EPKlPlS8_S9_N2at6native12_GLOBAL__N_18offset_tEEE10hipError_tPvRmT1_PNSt15iterator_traitsISH_E10value_typeET2_T3_PNSI_ISN_E10value_typeET4_jRbjT5_ST_jjP12ihipStream_tbEUlT_E0_NS1_11comp_targetILNS1_3genE4ELNS1_11target_archE910ELNS1_3gpuE8ELNS1_3repE0EEENS1_60segmented_radix_sort_warp_sort_medium_config_static_selectorELNS0_4arch9wavefront6targetE0EEEvSH_.has_dyn_sized_stack, 0
	.set _ZN7rocprim17ROCPRIM_400000_NS6detail17trampoline_kernelINS0_14default_configENS1_36segmented_radix_sort_config_selectorIllEEZNS1_25segmented_radix_sort_implIS3_Lb1EPKlPlS8_S9_N2at6native12_GLOBAL__N_18offset_tEEE10hipError_tPvRmT1_PNSt15iterator_traitsISH_E10value_typeET2_T3_PNSI_ISN_E10value_typeET4_jRbjT5_ST_jjP12ihipStream_tbEUlT_E0_NS1_11comp_targetILNS1_3genE4ELNS1_11target_archE910ELNS1_3gpuE8ELNS1_3repE0EEENS1_60segmented_radix_sort_warp_sort_medium_config_static_selectorELNS0_4arch9wavefront6targetE0EEEvSH_.has_recursion, 0
	.set _ZN7rocprim17ROCPRIM_400000_NS6detail17trampoline_kernelINS0_14default_configENS1_36segmented_radix_sort_config_selectorIllEEZNS1_25segmented_radix_sort_implIS3_Lb1EPKlPlS8_S9_N2at6native12_GLOBAL__N_18offset_tEEE10hipError_tPvRmT1_PNSt15iterator_traitsISH_E10value_typeET2_T3_PNSI_ISN_E10value_typeET4_jRbjT5_ST_jjP12ihipStream_tbEUlT_E0_NS1_11comp_targetILNS1_3genE4ELNS1_11target_archE910ELNS1_3gpuE8ELNS1_3repE0EEENS1_60segmented_radix_sort_warp_sort_medium_config_static_selectorELNS0_4arch9wavefront6targetE0EEEvSH_.has_indirect_call, 0
	.section	.AMDGPU.csdata,"",@progbits
; Kernel info:
; codeLenInByte = 0
; TotalNumSgprs: 0
; NumVgprs: 0
; ScratchSize: 0
; MemoryBound: 0
; FloatMode: 240
; IeeeMode: 1
; LDSByteSize: 0 bytes/workgroup (compile time only)
; SGPRBlocks: 0
; VGPRBlocks: 0
; NumSGPRsForWavesPerEU: 1
; NumVGPRsForWavesPerEU: 1
; Occupancy: 16
; WaveLimiterHint : 0
; COMPUTE_PGM_RSRC2:SCRATCH_EN: 0
; COMPUTE_PGM_RSRC2:USER_SGPR: 6
; COMPUTE_PGM_RSRC2:TRAP_HANDLER: 0
; COMPUTE_PGM_RSRC2:TGID_X_EN: 1
; COMPUTE_PGM_RSRC2:TGID_Y_EN: 0
; COMPUTE_PGM_RSRC2:TGID_Z_EN: 0
; COMPUTE_PGM_RSRC2:TIDIG_COMP_CNT: 0
	.section	.text._ZN7rocprim17ROCPRIM_400000_NS6detail17trampoline_kernelINS0_14default_configENS1_36segmented_radix_sort_config_selectorIllEEZNS1_25segmented_radix_sort_implIS3_Lb1EPKlPlS8_S9_N2at6native12_GLOBAL__N_18offset_tEEE10hipError_tPvRmT1_PNSt15iterator_traitsISH_E10value_typeET2_T3_PNSI_ISN_E10value_typeET4_jRbjT5_ST_jjP12ihipStream_tbEUlT_E0_NS1_11comp_targetILNS1_3genE3ELNS1_11target_archE908ELNS1_3gpuE7ELNS1_3repE0EEENS1_60segmented_radix_sort_warp_sort_medium_config_static_selectorELNS0_4arch9wavefront6targetE0EEEvSH_,"axG",@progbits,_ZN7rocprim17ROCPRIM_400000_NS6detail17trampoline_kernelINS0_14default_configENS1_36segmented_radix_sort_config_selectorIllEEZNS1_25segmented_radix_sort_implIS3_Lb1EPKlPlS8_S9_N2at6native12_GLOBAL__N_18offset_tEEE10hipError_tPvRmT1_PNSt15iterator_traitsISH_E10value_typeET2_T3_PNSI_ISN_E10value_typeET4_jRbjT5_ST_jjP12ihipStream_tbEUlT_E0_NS1_11comp_targetILNS1_3genE3ELNS1_11target_archE908ELNS1_3gpuE7ELNS1_3repE0EEENS1_60segmented_radix_sort_warp_sort_medium_config_static_selectorELNS0_4arch9wavefront6targetE0EEEvSH_,comdat
	.globl	_ZN7rocprim17ROCPRIM_400000_NS6detail17trampoline_kernelINS0_14default_configENS1_36segmented_radix_sort_config_selectorIllEEZNS1_25segmented_radix_sort_implIS3_Lb1EPKlPlS8_S9_N2at6native12_GLOBAL__N_18offset_tEEE10hipError_tPvRmT1_PNSt15iterator_traitsISH_E10value_typeET2_T3_PNSI_ISN_E10value_typeET4_jRbjT5_ST_jjP12ihipStream_tbEUlT_E0_NS1_11comp_targetILNS1_3genE3ELNS1_11target_archE908ELNS1_3gpuE7ELNS1_3repE0EEENS1_60segmented_radix_sort_warp_sort_medium_config_static_selectorELNS0_4arch9wavefront6targetE0EEEvSH_ ; -- Begin function _ZN7rocprim17ROCPRIM_400000_NS6detail17trampoline_kernelINS0_14default_configENS1_36segmented_radix_sort_config_selectorIllEEZNS1_25segmented_radix_sort_implIS3_Lb1EPKlPlS8_S9_N2at6native12_GLOBAL__N_18offset_tEEE10hipError_tPvRmT1_PNSt15iterator_traitsISH_E10value_typeET2_T3_PNSI_ISN_E10value_typeET4_jRbjT5_ST_jjP12ihipStream_tbEUlT_E0_NS1_11comp_targetILNS1_3genE3ELNS1_11target_archE908ELNS1_3gpuE7ELNS1_3repE0EEENS1_60segmented_radix_sort_warp_sort_medium_config_static_selectorELNS0_4arch9wavefront6targetE0EEEvSH_
	.p2align	8
	.type	_ZN7rocprim17ROCPRIM_400000_NS6detail17trampoline_kernelINS0_14default_configENS1_36segmented_radix_sort_config_selectorIllEEZNS1_25segmented_radix_sort_implIS3_Lb1EPKlPlS8_S9_N2at6native12_GLOBAL__N_18offset_tEEE10hipError_tPvRmT1_PNSt15iterator_traitsISH_E10value_typeET2_T3_PNSI_ISN_E10value_typeET4_jRbjT5_ST_jjP12ihipStream_tbEUlT_E0_NS1_11comp_targetILNS1_3genE3ELNS1_11target_archE908ELNS1_3gpuE7ELNS1_3repE0EEENS1_60segmented_radix_sort_warp_sort_medium_config_static_selectorELNS0_4arch9wavefront6targetE0EEEvSH_,@function
_ZN7rocprim17ROCPRIM_400000_NS6detail17trampoline_kernelINS0_14default_configENS1_36segmented_radix_sort_config_selectorIllEEZNS1_25segmented_radix_sort_implIS3_Lb1EPKlPlS8_S9_N2at6native12_GLOBAL__N_18offset_tEEE10hipError_tPvRmT1_PNSt15iterator_traitsISH_E10value_typeET2_T3_PNSI_ISN_E10value_typeET4_jRbjT5_ST_jjP12ihipStream_tbEUlT_E0_NS1_11comp_targetILNS1_3genE3ELNS1_11target_archE908ELNS1_3gpuE7ELNS1_3repE0EEENS1_60segmented_radix_sort_warp_sort_medium_config_static_selectorELNS0_4arch9wavefront6targetE0EEEvSH_: ; @_ZN7rocprim17ROCPRIM_400000_NS6detail17trampoline_kernelINS0_14default_configENS1_36segmented_radix_sort_config_selectorIllEEZNS1_25segmented_radix_sort_implIS3_Lb1EPKlPlS8_S9_N2at6native12_GLOBAL__N_18offset_tEEE10hipError_tPvRmT1_PNSt15iterator_traitsISH_E10value_typeET2_T3_PNSI_ISN_E10value_typeET4_jRbjT5_ST_jjP12ihipStream_tbEUlT_E0_NS1_11comp_targetILNS1_3genE3ELNS1_11target_archE908ELNS1_3gpuE7ELNS1_3repE0EEENS1_60segmented_radix_sort_warp_sort_medium_config_static_selectorELNS0_4arch9wavefront6targetE0EEEvSH_
; %bb.0:
	.section	.rodata,"a",@progbits
	.p2align	6, 0x0
	.amdhsa_kernel _ZN7rocprim17ROCPRIM_400000_NS6detail17trampoline_kernelINS0_14default_configENS1_36segmented_radix_sort_config_selectorIllEEZNS1_25segmented_radix_sort_implIS3_Lb1EPKlPlS8_S9_N2at6native12_GLOBAL__N_18offset_tEEE10hipError_tPvRmT1_PNSt15iterator_traitsISH_E10value_typeET2_T3_PNSI_ISN_E10value_typeET4_jRbjT5_ST_jjP12ihipStream_tbEUlT_E0_NS1_11comp_targetILNS1_3genE3ELNS1_11target_archE908ELNS1_3gpuE7ELNS1_3repE0EEENS1_60segmented_radix_sort_warp_sort_medium_config_static_selectorELNS0_4arch9wavefront6targetE0EEEvSH_
		.amdhsa_group_segment_fixed_size 0
		.amdhsa_private_segment_fixed_size 0
		.amdhsa_kernarg_size 88
		.amdhsa_user_sgpr_count 6
		.amdhsa_user_sgpr_private_segment_buffer 1
		.amdhsa_user_sgpr_dispatch_ptr 0
		.amdhsa_user_sgpr_queue_ptr 0
		.amdhsa_user_sgpr_kernarg_segment_ptr 1
		.amdhsa_user_sgpr_dispatch_id 0
		.amdhsa_user_sgpr_flat_scratch_init 0
		.amdhsa_user_sgpr_private_segment_size 0
		.amdhsa_wavefront_size32 1
		.amdhsa_uses_dynamic_stack 0
		.amdhsa_system_sgpr_private_segment_wavefront_offset 0
		.amdhsa_system_sgpr_workgroup_id_x 1
		.amdhsa_system_sgpr_workgroup_id_y 0
		.amdhsa_system_sgpr_workgroup_id_z 0
		.amdhsa_system_sgpr_workgroup_info 0
		.amdhsa_system_vgpr_workitem_id 0
		.amdhsa_next_free_vgpr 1
		.amdhsa_next_free_sgpr 1
		.amdhsa_reserve_vcc 0
		.amdhsa_reserve_flat_scratch 0
		.amdhsa_float_round_mode_32 0
		.amdhsa_float_round_mode_16_64 0
		.amdhsa_float_denorm_mode_32 3
		.amdhsa_float_denorm_mode_16_64 3
		.amdhsa_dx10_clamp 1
		.amdhsa_ieee_mode 1
		.amdhsa_fp16_overflow 0
		.amdhsa_workgroup_processor_mode 1
		.amdhsa_memory_ordered 1
		.amdhsa_forward_progress 1
		.amdhsa_shared_vgpr_count 0
		.amdhsa_exception_fp_ieee_invalid_op 0
		.amdhsa_exception_fp_denorm_src 0
		.amdhsa_exception_fp_ieee_div_zero 0
		.amdhsa_exception_fp_ieee_overflow 0
		.amdhsa_exception_fp_ieee_underflow 0
		.amdhsa_exception_fp_ieee_inexact 0
		.amdhsa_exception_int_div_zero 0
	.end_amdhsa_kernel
	.section	.text._ZN7rocprim17ROCPRIM_400000_NS6detail17trampoline_kernelINS0_14default_configENS1_36segmented_radix_sort_config_selectorIllEEZNS1_25segmented_radix_sort_implIS3_Lb1EPKlPlS8_S9_N2at6native12_GLOBAL__N_18offset_tEEE10hipError_tPvRmT1_PNSt15iterator_traitsISH_E10value_typeET2_T3_PNSI_ISN_E10value_typeET4_jRbjT5_ST_jjP12ihipStream_tbEUlT_E0_NS1_11comp_targetILNS1_3genE3ELNS1_11target_archE908ELNS1_3gpuE7ELNS1_3repE0EEENS1_60segmented_radix_sort_warp_sort_medium_config_static_selectorELNS0_4arch9wavefront6targetE0EEEvSH_,"axG",@progbits,_ZN7rocprim17ROCPRIM_400000_NS6detail17trampoline_kernelINS0_14default_configENS1_36segmented_radix_sort_config_selectorIllEEZNS1_25segmented_radix_sort_implIS3_Lb1EPKlPlS8_S9_N2at6native12_GLOBAL__N_18offset_tEEE10hipError_tPvRmT1_PNSt15iterator_traitsISH_E10value_typeET2_T3_PNSI_ISN_E10value_typeET4_jRbjT5_ST_jjP12ihipStream_tbEUlT_E0_NS1_11comp_targetILNS1_3genE3ELNS1_11target_archE908ELNS1_3gpuE7ELNS1_3repE0EEENS1_60segmented_radix_sort_warp_sort_medium_config_static_selectorELNS0_4arch9wavefront6targetE0EEEvSH_,comdat
.Lfunc_end711:
	.size	_ZN7rocprim17ROCPRIM_400000_NS6detail17trampoline_kernelINS0_14default_configENS1_36segmented_radix_sort_config_selectorIllEEZNS1_25segmented_radix_sort_implIS3_Lb1EPKlPlS8_S9_N2at6native12_GLOBAL__N_18offset_tEEE10hipError_tPvRmT1_PNSt15iterator_traitsISH_E10value_typeET2_T3_PNSI_ISN_E10value_typeET4_jRbjT5_ST_jjP12ihipStream_tbEUlT_E0_NS1_11comp_targetILNS1_3genE3ELNS1_11target_archE908ELNS1_3gpuE7ELNS1_3repE0EEENS1_60segmented_radix_sort_warp_sort_medium_config_static_selectorELNS0_4arch9wavefront6targetE0EEEvSH_, .Lfunc_end711-_ZN7rocprim17ROCPRIM_400000_NS6detail17trampoline_kernelINS0_14default_configENS1_36segmented_radix_sort_config_selectorIllEEZNS1_25segmented_radix_sort_implIS3_Lb1EPKlPlS8_S9_N2at6native12_GLOBAL__N_18offset_tEEE10hipError_tPvRmT1_PNSt15iterator_traitsISH_E10value_typeET2_T3_PNSI_ISN_E10value_typeET4_jRbjT5_ST_jjP12ihipStream_tbEUlT_E0_NS1_11comp_targetILNS1_3genE3ELNS1_11target_archE908ELNS1_3gpuE7ELNS1_3repE0EEENS1_60segmented_radix_sort_warp_sort_medium_config_static_selectorELNS0_4arch9wavefront6targetE0EEEvSH_
                                        ; -- End function
	.set _ZN7rocprim17ROCPRIM_400000_NS6detail17trampoline_kernelINS0_14default_configENS1_36segmented_radix_sort_config_selectorIllEEZNS1_25segmented_radix_sort_implIS3_Lb1EPKlPlS8_S9_N2at6native12_GLOBAL__N_18offset_tEEE10hipError_tPvRmT1_PNSt15iterator_traitsISH_E10value_typeET2_T3_PNSI_ISN_E10value_typeET4_jRbjT5_ST_jjP12ihipStream_tbEUlT_E0_NS1_11comp_targetILNS1_3genE3ELNS1_11target_archE908ELNS1_3gpuE7ELNS1_3repE0EEENS1_60segmented_radix_sort_warp_sort_medium_config_static_selectorELNS0_4arch9wavefront6targetE0EEEvSH_.num_vgpr, 0
	.set _ZN7rocprim17ROCPRIM_400000_NS6detail17trampoline_kernelINS0_14default_configENS1_36segmented_radix_sort_config_selectorIllEEZNS1_25segmented_radix_sort_implIS3_Lb1EPKlPlS8_S9_N2at6native12_GLOBAL__N_18offset_tEEE10hipError_tPvRmT1_PNSt15iterator_traitsISH_E10value_typeET2_T3_PNSI_ISN_E10value_typeET4_jRbjT5_ST_jjP12ihipStream_tbEUlT_E0_NS1_11comp_targetILNS1_3genE3ELNS1_11target_archE908ELNS1_3gpuE7ELNS1_3repE0EEENS1_60segmented_radix_sort_warp_sort_medium_config_static_selectorELNS0_4arch9wavefront6targetE0EEEvSH_.num_agpr, 0
	.set _ZN7rocprim17ROCPRIM_400000_NS6detail17trampoline_kernelINS0_14default_configENS1_36segmented_radix_sort_config_selectorIllEEZNS1_25segmented_radix_sort_implIS3_Lb1EPKlPlS8_S9_N2at6native12_GLOBAL__N_18offset_tEEE10hipError_tPvRmT1_PNSt15iterator_traitsISH_E10value_typeET2_T3_PNSI_ISN_E10value_typeET4_jRbjT5_ST_jjP12ihipStream_tbEUlT_E0_NS1_11comp_targetILNS1_3genE3ELNS1_11target_archE908ELNS1_3gpuE7ELNS1_3repE0EEENS1_60segmented_radix_sort_warp_sort_medium_config_static_selectorELNS0_4arch9wavefront6targetE0EEEvSH_.numbered_sgpr, 0
	.set _ZN7rocprim17ROCPRIM_400000_NS6detail17trampoline_kernelINS0_14default_configENS1_36segmented_radix_sort_config_selectorIllEEZNS1_25segmented_radix_sort_implIS3_Lb1EPKlPlS8_S9_N2at6native12_GLOBAL__N_18offset_tEEE10hipError_tPvRmT1_PNSt15iterator_traitsISH_E10value_typeET2_T3_PNSI_ISN_E10value_typeET4_jRbjT5_ST_jjP12ihipStream_tbEUlT_E0_NS1_11comp_targetILNS1_3genE3ELNS1_11target_archE908ELNS1_3gpuE7ELNS1_3repE0EEENS1_60segmented_radix_sort_warp_sort_medium_config_static_selectorELNS0_4arch9wavefront6targetE0EEEvSH_.num_named_barrier, 0
	.set _ZN7rocprim17ROCPRIM_400000_NS6detail17trampoline_kernelINS0_14default_configENS1_36segmented_radix_sort_config_selectorIllEEZNS1_25segmented_radix_sort_implIS3_Lb1EPKlPlS8_S9_N2at6native12_GLOBAL__N_18offset_tEEE10hipError_tPvRmT1_PNSt15iterator_traitsISH_E10value_typeET2_T3_PNSI_ISN_E10value_typeET4_jRbjT5_ST_jjP12ihipStream_tbEUlT_E0_NS1_11comp_targetILNS1_3genE3ELNS1_11target_archE908ELNS1_3gpuE7ELNS1_3repE0EEENS1_60segmented_radix_sort_warp_sort_medium_config_static_selectorELNS0_4arch9wavefront6targetE0EEEvSH_.private_seg_size, 0
	.set _ZN7rocprim17ROCPRIM_400000_NS6detail17trampoline_kernelINS0_14default_configENS1_36segmented_radix_sort_config_selectorIllEEZNS1_25segmented_radix_sort_implIS3_Lb1EPKlPlS8_S9_N2at6native12_GLOBAL__N_18offset_tEEE10hipError_tPvRmT1_PNSt15iterator_traitsISH_E10value_typeET2_T3_PNSI_ISN_E10value_typeET4_jRbjT5_ST_jjP12ihipStream_tbEUlT_E0_NS1_11comp_targetILNS1_3genE3ELNS1_11target_archE908ELNS1_3gpuE7ELNS1_3repE0EEENS1_60segmented_radix_sort_warp_sort_medium_config_static_selectorELNS0_4arch9wavefront6targetE0EEEvSH_.uses_vcc, 0
	.set _ZN7rocprim17ROCPRIM_400000_NS6detail17trampoline_kernelINS0_14default_configENS1_36segmented_radix_sort_config_selectorIllEEZNS1_25segmented_radix_sort_implIS3_Lb1EPKlPlS8_S9_N2at6native12_GLOBAL__N_18offset_tEEE10hipError_tPvRmT1_PNSt15iterator_traitsISH_E10value_typeET2_T3_PNSI_ISN_E10value_typeET4_jRbjT5_ST_jjP12ihipStream_tbEUlT_E0_NS1_11comp_targetILNS1_3genE3ELNS1_11target_archE908ELNS1_3gpuE7ELNS1_3repE0EEENS1_60segmented_radix_sort_warp_sort_medium_config_static_selectorELNS0_4arch9wavefront6targetE0EEEvSH_.uses_flat_scratch, 0
	.set _ZN7rocprim17ROCPRIM_400000_NS6detail17trampoline_kernelINS0_14default_configENS1_36segmented_radix_sort_config_selectorIllEEZNS1_25segmented_radix_sort_implIS3_Lb1EPKlPlS8_S9_N2at6native12_GLOBAL__N_18offset_tEEE10hipError_tPvRmT1_PNSt15iterator_traitsISH_E10value_typeET2_T3_PNSI_ISN_E10value_typeET4_jRbjT5_ST_jjP12ihipStream_tbEUlT_E0_NS1_11comp_targetILNS1_3genE3ELNS1_11target_archE908ELNS1_3gpuE7ELNS1_3repE0EEENS1_60segmented_radix_sort_warp_sort_medium_config_static_selectorELNS0_4arch9wavefront6targetE0EEEvSH_.has_dyn_sized_stack, 0
	.set _ZN7rocprim17ROCPRIM_400000_NS6detail17trampoline_kernelINS0_14default_configENS1_36segmented_radix_sort_config_selectorIllEEZNS1_25segmented_radix_sort_implIS3_Lb1EPKlPlS8_S9_N2at6native12_GLOBAL__N_18offset_tEEE10hipError_tPvRmT1_PNSt15iterator_traitsISH_E10value_typeET2_T3_PNSI_ISN_E10value_typeET4_jRbjT5_ST_jjP12ihipStream_tbEUlT_E0_NS1_11comp_targetILNS1_3genE3ELNS1_11target_archE908ELNS1_3gpuE7ELNS1_3repE0EEENS1_60segmented_radix_sort_warp_sort_medium_config_static_selectorELNS0_4arch9wavefront6targetE0EEEvSH_.has_recursion, 0
	.set _ZN7rocprim17ROCPRIM_400000_NS6detail17trampoline_kernelINS0_14default_configENS1_36segmented_radix_sort_config_selectorIllEEZNS1_25segmented_radix_sort_implIS3_Lb1EPKlPlS8_S9_N2at6native12_GLOBAL__N_18offset_tEEE10hipError_tPvRmT1_PNSt15iterator_traitsISH_E10value_typeET2_T3_PNSI_ISN_E10value_typeET4_jRbjT5_ST_jjP12ihipStream_tbEUlT_E0_NS1_11comp_targetILNS1_3genE3ELNS1_11target_archE908ELNS1_3gpuE7ELNS1_3repE0EEENS1_60segmented_radix_sort_warp_sort_medium_config_static_selectorELNS0_4arch9wavefront6targetE0EEEvSH_.has_indirect_call, 0
	.section	.AMDGPU.csdata,"",@progbits
; Kernel info:
; codeLenInByte = 0
; TotalNumSgprs: 0
; NumVgprs: 0
; ScratchSize: 0
; MemoryBound: 0
; FloatMode: 240
; IeeeMode: 1
; LDSByteSize: 0 bytes/workgroup (compile time only)
; SGPRBlocks: 0
; VGPRBlocks: 0
; NumSGPRsForWavesPerEU: 1
; NumVGPRsForWavesPerEU: 1
; Occupancy: 16
; WaveLimiterHint : 0
; COMPUTE_PGM_RSRC2:SCRATCH_EN: 0
; COMPUTE_PGM_RSRC2:USER_SGPR: 6
; COMPUTE_PGM_RSRC2:TRAP_HANDLER: 0
; COMPUTE_PGM_RSRC2:TGID_X_EN: 1
; COMPUTE_PGM_RSRC2:TGID_Y_EN: 0
; COMPUTE_PGM_RSRC2:TGID_Z_EN: 0
; COMPUTE_PGM_RSRC2:TIDIG_COMP_CNT: 0
	.section	.text._ZN7rocprim17ROCPRIM_400000_NS6detail17trampoline_kernelINS0_14default_configENS1_36segmented_radix_sort_config_selectorIllEEZNS1_25segmented_radix_sort_implIS3_Lb1EPKlPlS8_S9_N2at6native12_GLOBAL__N_18offset_tEEE10hipError_tPvRmT1_PNSt15iterator_traitsISH_E10value_typeET2_T3_PNSI_ISN_E10value_typeET4_jRbjT5_ST_jjP12ihipStream_tbEUlT_E0_NS1_11comp_targetILNS1_3genE2ELNS1_11target_archE906ELNS1_3gpuE6ELNS1_3repE0EEENS1_60segmented_radix_sort_warp_sort_medium_config_static_selectorELNS0_4arch9wavefront6targetE0EEEvSH_,"axG",@progbits,_ZN7rocprim17ROCPRIM_400000_NS6detail17trampoline_kernelINS0_14default_configENS1_36segmented_radix_sort_config_selectorIllEEZNS1_25segmented_radix_sort_implIS3_Lb1EPKlPlS8_S9_N2at6native12_GLOBAL__N_18offset_tEEE10hipError_tPvRmT1_PNSt15iterator_traitsISH_E10value_typeET2_T3_PNSI_ISN_E10value_typeET4_jRbjT5_ST_jjP12ihipStream_tbEUlT_E0_NS1_11comp_targetILNS1_3genE2ELNS1_11target_archE906ELNS1_3gpuE6ELNS1_3repE0EEENS1_60segmented_radix_sort_warp_sort_medium_config_static_selectorELNS0_4arch9wavefront6targetE0EEEvSH_,comdat
	.globl	_ZN7rocprim17ROCPRIM_400000_NS6detail17trampoline_kernelINS0_14default_configENS1_36segmented_radix_sort_config_selectorIllEEZNS1_25segmented_radix_sort_implIS3_Lb1EPKlPlS8_S9_N2at6native12_GLOBAL__N_18offset_tEEE10hipError_tPvRmT1_PNSt15iterator_traitsISH_E10value_typeET2_T3_PNSI_ISN_E10value_typeET4_jRbjT5_ST_jjP12ihipStream_tbEUlT_E0_NS1_11comp_targetILNS1_3genE2ELNS1_11target_archE906ELNS1_3gpuE6ELNS1_3repE0EEENS1_60segmented_radix_sort_warp_sort_medium_config_static_selectorELNS0_4arch9wavefront6targetE0EEEvSH_ ; -- Begin function _ZN7rocprim17ROCPRIM_400000_NS6detail17trampoline_kernelINS0_14default_configENS1_36segmented_radix_sort_config_selectorIllEEZNS1_25segmented_radix_sort_implIS3_Lb1EPKlPlS8_S9_N2at6native12_GLOBAL__N_18offset_tEEE10hipError_tPvRmT1_PNSt15iterator_traitsISH_E10value_typeET2_T3_PNSI_ISN_E10value_typeET4_jRbjT5_ST_jjP12ihipStream_tbEUlT_E0_NS1_11comp_targetILNS1_3genE2ELNS1_11target_archE906ELNS1_3gpuE6ELNS1_3repE0EEENS1_60segmented_radix_sort_warp_sort_medium_config_static_selectorELNS0_4arch9wavefront6targetE0EEEvSH_
	.p2align	8
	.type	_ZN7rocprim17ROCPRIM_400000_NS6detail17trampoline_kernelINS0_14default_configENS1_36segmented_radix_sort_config_selectorIllEEZNS1_25segmented_radix_sort_implIS3_Lb1EPKlPlS8_S9_N2at6native12_GLOBAL__N_18offset_tEEE10hipError_tPvRmT1_PNSt15iterator_traitsISH_E10value_typeET2_T3_PNSI_ISN_E10value_typeET4_jRbjT5_ST_jjP12ihipStream_tbEUlT_E0_NS1_11comp_targetILNS1_3genE2ELNS1_11target_archE906ELNS1_3gpuE6ELNS1_3repE0EEENS1_60segmented_radix_sort_warp_sort_medium_config_static_selectorELNS0_4arch9wavefront6targetE0EEEvSH_,@function
_ZN7rocprim17ROCPRIM_400000_NS6detail17trampoline_kernelINS0_14default_configENS1_36segmented_radix_sort_config_selectorIllEEZNS1_25segmented_radix_sort_implIS3_Lb1EPKlPlS8_S9_N2at6native12_GLOBAL__N_18offset_tEEE10hipError_tPvRmT1_PNSt15iterator_traitsISH_E10value_typeET2_T3_PNSI_ISN_E10value_typeET4_jRbjT5_ST_jjP12ihipStream_tbEUlT_E0_NS1_11comp_targetILNS1_3genE2ELNS1_11target_archE906ELNS1_3gpuE6ELNS1_3repE0EEENS1_60segmented_radix_sort_warp_sort_medium_config_static_selectorELNS0_4arch9wavefront6targetE0EEEvSH_: ; @_ZN7rocprim17ROCPRIM_400000_NS6detail17trampoline_kernelINS0_14default_configENS1_36segmented_radix_sort_config_selectorIllEEZNS1_25segmented_radix_sort_implIS3_Lb1EPKlPlS8_S9_N2at6native12_GLOBAL__N_18offset_tEEE10hipError_tPvRmT1_PNSt15iterator_traitsISH_E10value_typeET2_T3_PNSI_ISN_E10value_typeET4_jRbjT5_ST_jjP12ihipStream_tbEUlT_E0_NS1_11comp_targetILNS1_3genE2ELNS1_11target_archE906ELNS1_3gpuE6ELNS1_3repE0EEENS1_60segmented_radix_sort_warp_sort_medium_config_static_selectorELNS0_4arch9wavefront6targetE0EEEvSH_
; %bb.0:
	.section	.rodata,"a",@progbits
	.p2align	6, 0x0
	.amdhsa_kernel _ZN7rocprim17ROCPRIM_400000_NS6detail17trampoline_kernelINS0_14default_configENS1_36segmented_radix_sort_config_selectorIllEEZNS1_25segmented_radix_sort_implIS3_Lb1EPKlPlS8_S9_N2at6native12_GLOBAL__N_18offset_tEEE10hipError_tPvRmT1_PNSt15iterator_traitsISH_E10value_typeET2_T3_PNSI_ISN_E10value_typeET4_jRbjT5_ST_jjP12ihipStream_tbEUlT_E0_NS1_11comp_targetILNS1_3genE2ELNS1_11target_archE906ELNS1_3gpuE6ELNS1_3repE0EEENS1_60segmented_radix_sort_warp_sort_medium_config_static_selectorELNS0_4arch9wavefront6targetE0EEEvSH_
		.amdhsa_group_segment_fixed_size 0
		.amdhsa_private_segment_fixed_size 0
		.amdhsa_kernarg_size 88
		.amdhsa_user_sgpr_count 6
		.amdhsa_user_sgpr_private_segment_buffer 1
		.amdhsa_user_sgpr_dispatch_ptr 0
		.amdhsa_user_sgpr_queue_ptr 0
		.amdhsa_user_sgpr_kernarg_segment_ptr 1
		.amdhsa_user_sgpr_dispatch_id 0
		.amdhsa_user_sgpr_flat_scratch_init 0
		.amdhsa_user_sgpr_private_segment_size 0
		.amdhsa_wavefront_size32 1
		.amdhsa_uses_dynamic_stack 0
		.amdhsa_system_sgpr_private_segment_wavefront_offset 0
		.amdhsa_system_sgpr_workgroup_id_x 1
		.amdhsa_system_sgpr_workgroup_id_y 0
		.amdhsa_system_sgpr_workgroup_id_z 0
		.amdhsa_system_sgpr_workgroup_info 0
		.amdhsa_system_vgpr_workitem_id 0
		.amdhsa_next_free_vgpr 1
		.amdhsa_next_free_sgpr 1
		.amdhsa_reserve_vcc 0
		.amdhsa_reserve_flat_scratch 0
		.amdhsa_float_round_mode_32 0
		.amdhsa_float_round_mode_16_64 0
		.amdhsa_float_denorm_mode_32 3
		.amdhsa_float_denorm_mode_16_64 3
		.amdhsa_dx10_clamp 1
		.amdhsa_ieee_mode 1
		.amdhsa_fp16_overflow 0
		.amdhsa_workgroup_processor_mode 1
		.amdhsa_memory_ordered 1
		.amdhsa_forward_progress 1
		.amdhsa_shared_vgpr_count 0
		.amdhsa_exception_fp_ieee_invalid_op 0
		.amdhsa_exception_fp_denorm_src 0
		.amdhsa_exception_fp_ieee_div_zero 0
		.amdhsa_exception_fp_ieee_overflow 0
		.amdhsa_exception_fp_ieee_underflow 0
		.amdhsa_exception_fp_ieee_inexact 0
		.amdhsa_exception_int_div_zero 0
	.end_amdhsa_kernel
	.section	.text._ZN7rocprim17ROCPRIM_400000_NS6detail17trampoline_kernelINS0_14default_configENS1_36segmented_radix_sort_config_selectorIllEEZNS1_25segmented_radix_sort_implIS3_Lb1EPKlPlS8_S9_N2at6native12_GLOBAL__N_18offset_tEEE10hipError_tPvRmT1_PNSt15iterator_traitsISH_E10value_typeET2_T3_PNSI_ISN_E10value_typeET4_jRbjT5_ST_jjP12ihipStream_tbEUlT_E0_NS1_11comp_targetILNS1_3genE2ELNS1_11target_archE906ELNS1_3gpuE6ELNS1_3repE0EEENS1_60segmented_radix_sort_warp_sort_medium_config_static_selectorELNS0_4arch9wavefront6targetE0EEEvSH_,"axG",@progbits,_ZN7rocprim17ROCPRIM_400000_NS6detail17trampoline_kernelINS0_14default_configENS1_36segmented_radix_sort_config_selectorIllEEZNS1_25segmented_radix_sort_implIS3_Lb1EPKlPlS8_S9_N2at6native12_GLOBAL__N_18offset_tEEE10hipError_tPvRmT1_PNSt15iterator_traitsISH_E10value_typeET2_T3_PNSI_ISN_E10value_typeET4_jRbjT5_ST_jjP12ihipStream_tbEUlT_E0_NS1_11comp_targetILNS1_3genE2ELNS1_11target_archE906ELNS1_3gpuE6ELNS1_3repE0EEENS1_60segmented_radix_sort_warp_sort_medium_config_static_selectorELNS0_4arch9wavefront6targetE0EEEvSH_,comdat
.Lfunc_end712:
	.size	_ZN7rocprim17ROCPRIM_400000_NS6detail17trampoline_kernelINS0_14default_configENS1_36segmented_radix_sort_config_selectorIllEEZNS1_25segmented_radix_sort_implIS3_Lb1EPKlPlS8_S9_N2at6native12_GLOBAL__N_18offset_tEEE10hipError_tPvRmT1_PNSt15iterator_traitsISH_E10value_typeET2_T3_PNSI_ISN_E10value_typeET4_jRbjT5_ST_jjP12ihipStream_tbEUlT_E0_NS1_11comp_targetILNS1_3genE2ELNS1_11target_archE906ELNS1_3gpuE6ELNS1_3repE0EEENS1_60segmented_radix_sort_warp_sort_medium_config_static_selectorELNS0_4arch9wavefront6targetE0EEEvSH_, .Lfunc_end712-_ZN7rocprim17ROCPRIM_400000_NS6detail17trampoline_kernelINS0_14default_configENS1_36segmented_radix_sort_config_selectorIllEEZNS1_25segmented_radix_sort_implIS3_Lb1EPKlPlS8_S9_N2at6native12_GLOBAL__N_18offset_tEEE10hipError_tPvRmT1_PNSt15iterator_traitsISH_E10value_typeET2_T3_PNSI_ISN_E10value_typeET4_jRbjT5_ST_jjP12ihipStream_tbEUlT_E0_NS1_11comp_targetILNS1_3genE2ELNS1_11target_archE906ELNS1_3gpuE6ELNS1_3repE0EEENS1_60segmented_radix_sort_warp_sort_medium_config_static_selectorELNS0_4arch9wavefront6targetE0EEEvSH_
                                        ; -- End function
	.set _ZN7rocprim17ROCPRIM_400000_NS6detail17trampoline_kernelINS0_14default_configENS1_36segmented_radix_sort_config_selectorIllEEZNS1_25segmented_radix_sort_implIS3_Lb1EPKlPlS8_S9_N2at6native12_GLOBAL__N_18offset_tEEE10hipError_tPvRmT1_PNSt15iterator_traitsISH_E10value_typeET2_T3_PNSI_ISN_E10value_typeET4_jRbjT5_ST_jjP12ihipStream_tbEUlT_E0_NS1_11comp_targetILNS1_3genE2ELNS1_11target_archE906ELNS1_3gpuE6ELNS1_3repE0EEENS1_60segmented_radix_sort_warp_sort_medium_config_static_selectorELNS0_4arch9wavefront6targetE0EEEvSH_.num_vgpr, 0
	.set _ZN7rocprim17ROCPRIM_400000_NS6detail17trampoline_kernelINS0_14default_configENS1_36segmented_radix_sort_config_selectorIllEEZNS1_25segmented_radix_sort_implIS3_Lb1EPKlPlS8_S9_N2at6native12_GLOBAL__N_18offset_tEEE10hipError_tPvRmT1_PNSt15iterator_traitsISH_E10value_typeET2_T3_PNSI_ISN_E10value_typeET4_jRbjT5_ST_jjP12ihipStream_tbEUlT_E0_NS1_11comp_targetILNS1_3genE2ELNS1_11target_archE906ELNS1_3gpuE6ELNS1_3repE0EEENS1_60segmented_radix_sort_warp_sort_medium_config_static_selectorELNS0_4arch9wavefront6targetE0EEEvSH_.num_agpr, 0
	.set _ZN7rocprim17ROCPRIM_400000_NS6detail17trampoline_kernelINS0_14default_configENS1_36segmented_radix_sort_config_selectorIllEEZNS1_25segmented_radix_sort_implIS3_Lb1EPKlPlS8_S9_N2at6native12_GLOBAL__N_18offset_tEEE10hipError_tPvRmT1_PNSt15iterator_traitsISH_E10value_typeET2_T3_PNSI_ISN_E10value_typeET4_jRbjT5_ST_jjP12ihipStream_tbEUlT_E0_NS1_11comp_targetILNS1_3genE2ELNS1_11target_archE906ELNS1_3gpuE6ELNS1_3repE0EEENS1_60segmented_radix_sort_warp_sort_medium_config_static_selectorELNS0_4arch9wavefront6targetE0EEEvSH_.numbered_sgpr, 0
	.set _ZN7rocprim17ROCPRIM_400000_NS6detail17trampoline_kernelINS0_14default_configENS1_36segmented_radix_sort_config_selectorIllEEZNS1_25segmented_radix_sort_implIS3_Lb1EPKlPlS8_S9_N2at6native12_GLOBAL__N_18offset_tEEE10hipError_tPvRmT1_PNSt15iterator_traitsISH_E10value_typeET2_T3_PNSI_ISN_E10value_typeET4_jRbjT5_ST_jjP12ihipStream_tbEUlT_E0_NS1_11comp_targetILNS1_3genE2ELNS1_11target_archE906ELNS1_3gpuE6ELNS1_3repE0EEENS1_60segmented_radix_sort_warp_sort_medium_config_static_selectorELNS0_4arch9wavefront6targetE0EEEvSH_.num_named_barrier, 0
	.set _ZN7rocprim17ROCPRIM_400000_NS6detail17trampoline_kernelINS0_14default_configENS1_36segmented_radix_sort_config_selectorIllEEZNS1_25segmented_radix_sort_implIS3_Lb1EPKlPlS8_S9_N2at6native12_GLOBAL__N_18offset_tEEE10hipError_tPvRmT1_PNSt15iterator_traitsISH_E10value_typeET2_T3_PNSI_ISN_E10value_typeET4_jRbjT5_ST_jjP12ihipStream_tbEUlT_E0_NS1_11comp_targetILNS1_3genE2ELNS1_11target_archE906ELNS1_3gpuE6ELNS1_3repE0EEENS1_60segmented_radix_sort_warp_sort_medium_config_static_selectorELNS0_4arch9wavefront6targetE0EEEvSH_.private_seg_size, 0
	.set _ZN7rocprim17ROCPRIM_400000_NS6detail17trampoline_kernelINS0_14default_configENS1_36segmented_radix_sort_config_selectorIllEEZNS1_25segmented_radix_sort_implIS3_Lb1EPKlPlS8_S9_N2at6native12_GLOBAL__N_18offset_tEEE10hipError_tPvRmT1_PNSt15iterator_traitsISH_E10value_typeET2_T3_PNSI_ISN_E10value_typeET4_jRbjT5_ST_jjP12ihipStream_tbEUlT_E0_NS1_11comp_targetILNS1_3genE2ELNS1_11target_archE906ELNS1_3gpuE6ELNS1_3repE0EEENS1_60segmented_radix_sort_warp_sort_medium_config_static_selectorELNS0_4arch9wavefront6targetE0EEEvSH_.uses_vcc, 0
	.set _ZN7rocprim17ROCPRIM_400000_NS6detail17trampoline_kernelINS0_14default_configENS1_36segmented_radix_sort_config_selectorIllEEZNS1_25segmented_radix_sort_implIS3_Lb1EPKlPlS8_S9_N2at6native12_GLOBAL__N_18offset_tEEE10hipError_tPvRmT1_PNSt15iterator_traitsISH_E10value_typeET2_T3_PNSI_ISN_E10value_typeET4_jRbjT5_ST_jjP12ihipStream_tbEUlT_E0_NS1_11comp_targetILNS1_3genE2ELNS1_11target_archE906ELNS1_3gpuE6ELNS1_3repE0EEENS1_60segmented_radix_sort_warp_sort_medium_config_static_selectorELNS0_4arch9wavefront6targetE0EEEvSH_.uses_flat_scratch, 0
	.set _ZN7rocprim17ROCPRIM_400000_NS6detail17trampoline_kernelINS0_14default_configENS1_36segmented_radix_sort_config_selectorIllEEZNS1_25segmented_radix_sort_implIS3_Lb1EPKlPlS8_S9_N2at6native12_GLOBAL__N_18offset_tEEE10hipError_tPvRmT1_PNSt15iterator_traitsISH_E10value_typeET2_T3_PNSI_ISN_E10value_typeET4_jRbjT5_ST_jjP12ihipStream_tbEUlT_E0_NS1_11comp_targetILNS1_3genE2ELNS1_11target_archE906ELNS1_3gpuE6ELNS1_3repE0EEENS1_60segmented_radix_sort_warp_sort_medium_config_static_selectorELNS0_4arch9wavefront6targetE0EEEvSH_.has_dyn_sized_stack, 0
	.set _ZN7rocprim17ROCPRIM_400000_NS6detail17trampoline_kernelINS0_14default_configENS1_36segmented_radix_sort_config_selectorIllEEZNS1_25segmented_radix_sort_implIS3_Lb1EPKlPlS8_S9_N2at6native12_GLOBAL__N_18offset_tEEE10hipError_tPvRmT1_PNSt15iterator_traitsISH_E10value_typeET2_T3_PNSI_ISN_E10value_typeET4_jRbjT5_ST_jjP12ihipStream_tbEUlT_E0_NS1_11comp_targetILNS1_3genE2ELNS1_11target_archE906ELNS1_3gpuE6ELNS1_3repE0EEENS1_60segmented_radix_sort_warp_sort_medium_config_static_selectorELNS0_4arch9wavefront6targetE0EEEvSH_.has_recursion, 0
	.set _ZN7rocprim17ROCPRIM_400000_NS6detail17trampoline_kernelINS0_14default_configENS1_36segmented_radix_sort_config_selectorIllEEZNS1_25segmented_radix_sort_implIS3_Lb1EPKlPlS8_S9_N2at6native12_GLOBAL__N_18offset_tEEE10hipError_tPvRmT1_PNSt15iterator_traitsISH_E10value_typeET2_T3_PNSI_ISN_E10value_typeET4_jRbjT5_ST_jjP12ihipStream_tbEUlT_E0_NS1_11comp_targetILNS1_3genE2ELNS1_11target_archE906ELNS1_3gpuE6ELNS1_3repE0EEENS1_60segmented_radix_sort_warp_sort_medium_config_static_selectorELNS0_4arch9wavefront6targetE0EEEvSH_.has_indirect_call, 0
	.section	.AMDGPU.csdata,"",@progbits
; Kernel info:
; codeLenInByte = 0
; TotalNumSgprs: 0
; NumVgprs: 0
; ScratchSize: 0
; MemoryBound: 0
; FloatMode: 240
; IeeeMode: 1
; LDSByteSize: 0 bytes/workgroup (compile time only)
; SGPRBlocks: 0
; VGPRBlocks: 0
; NumSGPRsForWavesPerEU: 1
; NumVGPRsForWavesPerEU: 1
; Occupancy: 16
; WaveLimiterHint : 0
; COMPUTE_PGM_RSRC2:SCRATCH_EN: 0
; COMPUTE_PGM_RSRC2:USER_SGPR: 6
; COMPUTE_PGM_RSRC2:TRAP_HANDLER: 0
; COMPUTE_PGM_RSRC2:TGID_X_EN: 1
; COMPUTE_PGM_RSRC2:TGID_Y_EN: 0
; COMPUTE_PGM_RSRC2:TGID_Z_EN: 0
; COMPUTE_PGM_RSRC2:TIDIG_COMP_CNT: 0
	.section	.text._ZN7rocprim17ROCPRIM_400000_NS6detail17trampoline_kernelINS0_14default_configENS1_36segmented_radix_sort_config_selectorIllEEZNS1_25segmented_radix_sort_implIS3_Lb1EPKlPlS8_S9_N2at6native12_GLOBAL__N_18offset_tEEE10hipError_tPvRmT1_PNSt15iterator_traitsISH_E10value_typeET2_T3_PNSI_ISN_E10value_typeET4_jRbjT5_ST_jjP12ihipStream_tbEUlT_E0_NS1_11comp_targetILNS1_3genE10ELNS1_11target_archE1201ELNS1_3gpuE5ELNS1_3repE0EEENS1_60segmented_radix_sort_warp_sort_medium_config_static_selectorELNS0_4arch9wavefront6targetE0EEEvSH_,"axG",@progbits,_ZN7rocprim17ROCPRIM_400000_NS6detail17trampoline_kernelINS0_14default_configENS1_36segmented_radix_sort_config_selectorIllEEZNS1_25segmented_radix_sort_implIS3_Lb1EPKlPlS8_S9_N2at6native12_GLOBAL__N_18offset_tEEE10hipError_tPvRmT1_PNSt15iterator_traitsISH_E10value_typeET2_T3_PNSI_ISN_E10value_typeET4_jRbjT5_ST_jjP12ihipStream_tbEUlT_E0_NS1_11comp_targetILNS1_3genE10ELNS1_11target_archE1201ELNS1_3gpuE5ELNS1_3repE0EEENS1_60segmented_radix_sort_warp_sort_medium_config_static_selectorELNS0_4arch9wavefront6targetE0EEEvSH_,comdat
	.globl	_ZN7rocprim17ROCPRIM_400000_NS6detail17trampoline_kernelINS0_14default_configENS1_36segmented_radix_sort_config_selectorIllEEZNS1_25segmented_radix_sort_implIS3_Lb1EPKlPlS8_S9_N2at6native12_GLOBAL__N_18offset_tEEE10hipError_tPvRmT1_PNSt15iterator_traitsISH_E10value_typeET2_T3_PNSI_ISN_E10value_typeET4_jRbjT5_ST_jjP12ihipStream_tbEUlT_E0_NS1_11comp_targetILNS1_3genE10ELNS1_11target_archE1201ELNS1_3gpuE5ELNS1_3repE0EEENS1_60segmented_radix_sort_warp_sort_medium_config_static_selectorELNS0_4arch9wavefront6targetE0EEEvSH_ ; -- Begin function _ZN7rocprim17ROCPRIM_400000_NS6detail17trampoline_kernelINS0_14default_configENS1_36segmented_radix_sort_config_selectorIllEEZNS1_25segmented_radix_sort_implIS3_Lb1EPKlPlS8_S9_N2at6native12_GLOBAL__N_18offset_tEEE10hipError_tPvRmT1_PNSt15iterator_traitsISH_E10value_typeET2_T3_PNSI_ISN_E10value_typeET4_jRbjT5_ST_jjP12ihipStream_tbEUlT_E0_NS1_11comp_targetILNS1_3genE10ELNS1_11target_archE1201ELNS1_3gpuE5ELNS1_3repE0EEENS1_60segmented_radix_sort_warp_sort_medium_config_static_selectorELNS0_4arch9wavefront6targetE0EEEvSH_
	.p2align	8
	.type	_ZN7rocprim17ROCPRIM_400000_NS6detail17trampoline_kernelINS0_14default_configENS1_36segmented_radix_sort_config_selectorIllEEZNS1_25segmented_radix_sort_implIS3_Lb1EPKlPlS8_S9_N2at6native12_GLOBAL__N_18offset_tEEE10hipError_tPvRmT1_PNSt15iterator_traitsISH_E10value_typeET2_T3_PNSI_ISN_E10value_typeET4_jRbjT5_ST_jjP12ihipStream_tbEUlT_E0_NS1_11comp_targetILNS1_3genE10ELNS1_11target_archE1201ELNS1_3gpuE5ELNS1_3repE0EEENS1_60segmented_radix_sort_warp_sort_medium_config_static_selectorELNS0_4arch9wavefront6targetE0EEEvSH_,@function
_ZN7rocprim17ROCPRIM_400000_NS6detail17trampoline_kernelINS0_14default_configENS1_36segmented_radix_sort_config_selectorIllEEZNS1_25segmented_radix_sort_implIS3_Lb1EPKlPlS8_S9_N2at6native12_GLOBAL__N_18offset_tEEE10hipError_tPvRmT1_PNSt15iterator_traitsISH_E10value_typeET2_T3_PNSI_ISN_E10value_typeET4_jRbjT5_ST_jjP12ihipStream_tbEUlT_E0_NS1_11comp_targetILNS1_3genE10ELNS1_11target_archE1201ELNS1_3gpuE5ELNS1_3repE0EEENS1_60segmented_radix_sort_warp_sort_medium_config_static_selectorELNS0_4arch9wavefront6targetE0EEEvSH_: ; @_ZN7rocprim17ROCPRIM_400000_NS6detail17trampoline_kernelINS0_14default_configENS1_36segmented_radix_sort_config_selectorIllEEZNS1_25segmented_radix_sort_implIS3_Lb1EPKlPlS8_S9_N2at6native12_GLOBAL__N_18offset_tEEE10hipError_tPvRmT1_PNSt15iterator_traitsISH_E10value_typeET2_T3_PNSI_ISN_E10value_typeET4_jRbjT5_ST_jjP12ihipStream_tbEUlT_E0_NS1_11comp_targetILNS1_3genE10ELNS1_11target_archE1201ELNS1_3gpuE5ELNS1_3repE0EEENS1_60segmented_radix_sort_warp_sort_medium_config_static_selectorELNS0_4arch9wavefront6targetE0EEEvSH_
; %bb.0:
	.section	.rodata,"a",@progbits
	.p2align	6, 0x0
	.amdhsa_kernel _ZN7rocprim17ROCPRIM_400000_NS6detail17trampoline_kernelINS0_14default_configENS1_36segmented_radix_sort_config_selectorIllEEZNS1_25segmented_radix_sort_implIS3_Lb1EPKlPlS8_S9_N2at6native12_GLOBAL__N_18offset_tEEE10hipError_tPvRmT1_PNSt15iterator_traitsISH_E10value_typeET2_T3_PNSI_ISN_E10value_typeET4_jRbjT5_ST_jjP12ihipStream_tbEUlT_E0_NS1_11comp_targetILNS1_3genE10ELNS1_11target_archE1201ELNS1_3gpuE5ELNS1_3repE0EEENS1_60segmented_radix_sort_warp_sort_medium_config_static_selectorELNS0_4arch9wavefront6targetE0EEEvSH_
		.amdhsa_group_segment_fixed_size 0
		.amdhsa_private_segment_fixed_size 0
		.amdhsa_kernarg_size 88
		.amdhsa_user_sgpr_count 6
		.amdhsa_user_sgpr_private_segment_buffer 1
		.amdhsa_user_sgpr_dispatch_ptr 0
		.amdhsa_user_sgpr_queue_ptr 0
		.amdhsa_user_sgpr_kernarg_segment_ptr 1
		.amdhsa_user_sgpr_dispatch_id 0
		.amdhsa_user_sgpr_flat_scratch_init 0
		.amdhsa_user_sgpr_private_segment_size 0
		.amdhsa_wavefront_size32 1
		.amdhsa_uses_dynamic_stack 0
		.amdhsa_system_sgpr_private_segment_wavefront_offset 0
		.amdhsa_system_sgpr_workgroup_id_x 1
		.amdhsa_system_sgpr_workgroup_id_y 0
		.amdhsa_system_sgpr_workgroup_id_z 0
		.amdhsa_system_sgpr_workgroup_info 0
		.amdhsa_system_vgpr_workitem_id 0
		.amdhsa_next_free_vgpr 1
		.amdhsa_next_free_sgpr 1
		.amdhsa_reserve_vcc 0
		.amdhsa_reserve_flat_scratch 0
		.amdhsa_float_round_mode_32 0
		.amdhsa_float_round_mode_16_64 0
		.amdhsa_float_denorm_mode_32 3
		.amdhsa_float_denorm_mode_16_64 3
		.amdhsa_dx10_clamp 1
		.amdhsa_ieee_mode 1
		.amdhsa_fp16_overflow 0
		.amdhsa_workgroup_processor_mode 1
		.amdhsa_memory_ordered 1
		.amdhsa_forward_progress 1
		.amdhsa_shared_vgpr_count 0
		.amdhsa_exception_fp_ieee_invalid_op 0
		.amdhsa_exception_fp_denorm_src 0
		.amdhsa_exception_fp_ieee_div_zero 0
		.amdhsa_exception_fp_ieee_overflow 0
		.amdhsa_exception_fp_ieee_underflow 0
		.amdhsa_exception_fp_ieee_inexact 0
		.amdhsa_exception_int_div_zero 0
	.end_amdhsa_kernel
	.section	.text._ZN7rocprim17ROCPRIM_400000_NS6detail17trampoline_kernelINS0_14default_configENS1_36segmented_radix_sort_config_selectorIllEEZNS1_25segmented_radix_sort_implIS3_Lb1EPKlPlS8_S9_N2at6native12_GLOBAL__N_18offset_tEEE10hipError_tPvRmT1_PNSt15iterator_traitsISH_E10value_typeET2_T3_PNSI_ISN_E10value_typeET4_jRbjT5_ST_jjP12ihipStream_tbEUlT_E0_NS1_11comp_targetILNS1_3genE10ELNS1_11target_archE1201ELNS1_3gpuE5ELNS1_3repE0EEENS1_60segmented_radix_sort_warp_sort_medium_config_static_selectorELNS0_4arch9wavefront6targetE0EEEvSH_,"axG",@progbits,_ZN7rocprim17ROCPRIM_400000_NS6detail17trampoline_kernelINS0_14default_configENS1_36segmented_radix_sort_config_selectorIllEEZNS1_25segmented_radix_sort_implIS3_Lb1EPKlPlS8_S9_N2at6native12_GLOBAL__N_18offset_tEEE10hipError_tPvRmT1_PNSt15iterator_traitsISH_E10value_typeET2_T3_PNSI_ISN_E10value_typeET4_jRbjT5_ST_jjP12ihipStream_tbEUlT_E0_NS1_11comp_targetILNS1_3genE10ELNS1_11target_archE1201ELNS1_3gpuE5ELNS1_3repE0EEENS1_60segmented_radix_sort_warp_sort_medium_config_static_selectorELNS0_4arch9wavefront6targetE0EEEvSH_,comdat
.Lfunc_end713:
	.size	_ZN7rocprim17ROCPRIM_400000_NS6detail17trampoline_kernelINS0_14default_configENS1_36segmented_radix_sort_config_selectorIllEEZNS1_25segmented_radix_sort_implIS3_Lb1EPKlPlS8_S9_N2at6native12_GLOBAL__N_18offset_tEEE10hipError_tPvRmT1_PNSt15iterator_traitsISH_E10value_typeET2_T3_PNSI_ISN_E10value_typeET4_jRbjT5_ST_jjP12ihipStream_tbEUlT_E0_NS1_11comp_targetILNS1_3genE10ELNS1_11target_archE1201ELNS1_3gpuE5ELNS1_3repE0EEENS1_60segmented_radix_sort_warp_sort_medium_config_static_selectorELNS0_4arch9wavefront6targetE0EEEvSH_, .Lfunc_end713-_ZN7rocprim17ROCPRIM_400000_NS6detail17trampoline_kernelINS0_14default_configENS1_36segmented_radix_sort_config_selectorIllEEZNS1_25segmented_radix_sort_implIS3_Lb1EPKlPlS8_S9_N2at6native12_GLOBAL__N_18offset_tEEE10hipError_tPvRmT1_PNSt15iterator_traitsISH_E10value_typeET2_T3_PNSI_ISN_E10value_typeET4_jRbjT5_ST_jjP12ihipStream_tbEUlT_E0_NS1_11comp_targetILNS1_3genE10ELNS1_11target_archE1201ELNS1_3gpuE5ELNS1_3repE0EEENS1_60segmented_radix_sort_warp_sort_medium_config_static_selectorELNS0_4arch9wavefront6targetE0EEEvSH_
                                        ; -- End function
	.set _ZN7rocprim17ROCPRIM_400000_NS6detail17trampoline_kernelINS0_14default_configENS1_36segmented_radix_sort_config_selectorIllEEZNS1_25segmented_radix_sort_implIS3_Lb1EPKlPlS8_S9_N2at6native12_GLOBAL__N_18offset_tEEE10hipError_tPvRmT1_PNSt15iterator_traitsISH_E10value_typeET2_T3_PNSI_ISN_E10value_typeET4_jRbjT5_ST_jjP12ihipStream_tbEUlT_E0_NS1_11comp_targetILNS1_3genE10ELNS1_11target_archE1201ELNS1_3gpuE5ELNS1_3repE0EEENS1_60segmented_radix_sort_warp_sort_medium_config_static_selectorELNS0_4arch9wavefront6targetE0EEEvSH_.num_vgpr, 0
	.set _ZN7rocprim17ROCPRIM_400000_NS6detail17trampoline_kernelINS0_14default_configENS1_36segmented_radix_sort_config_selectorIllEEZNS1_25segmented_radix_sort_implIS3_Lb1EPKlPlS8_S9_N2at6native12_GLOBAL__N_18offset_tEEE10hipError_tPvRmT1_PNSt15iterator_traitsISH_E10value_typeET2_T3_PNSI_ISN_E10value_typeET4_jRbjT5_ST_jjP12ihipStream_tbEUlT_E0_NS1_11comp_targetILNS1_3genE10ELNS1_11target_archE1201ELNS1_3gpuE5ELNS1_3repE0EEENS1_60segmented_radix_sort_warp_sort_medium_config_static_selectorELNS0_4arch9wavefront6targetE0EEEvSH_.num_agpr, 0
	.set _ZN7rocprim17ROCPRIM_400000_NS6detail17trampoline_kernelINS0_14default_configENS1_36segmented_radix_sort_config_selectorIllEEZNS1_25segmented_radix_sort_implIS3_Lb1EPKlPlS8_S9_N2at6native12_GLOBAL__N_18offset_tEEE10hipError_tPvRmT1_PNSt15iterator_traitsISH_E10value_typeET2_T3_PNSI_ISN_E10value_typeET4_jRbjT5_ST_jjP12ihipStream_tbEUlT_E0_NS1_11comp_targetILNS1_3genE10ELNS1_11target_archE1201ELNS1_3gpuE5ELNS1_3repE0EEENS1_60segmented_radix_sort_warp_sort_medium_config_static_selectorELNS0_4arch9wavefront6targetE0EEEvSH_.numbered_sgpr, 0
	.set _ZN7rocprim17ROCPRIM_400000_NS6detail17trampoline_kernelINS0_14default_configENS1_36segmented_radix_sort_config_selectorIllEEZNS1_25segmented_radix_sort_implIS3_Lb1EPKlPlS8_S9_N2at6native12_GLOBAL__N_18offset_tEEE10hipError_tPvRmT1_PNSt15iterator_traitsISH_E10value_typeET2_T3_PNSI_ISN_E10value_typeET4_jRbjT5_ST_jjP12ihipStream_tbEUlT_E0_NS1_11comp_targetILNS1_3genE10ELNS1_11target_archE1201ELNS1_3gpuE5ELNS1_3repE0EEENS1_60segmented_radix_sort_warp_sort_medium_config_static_selectorELNS0_4arch9wavefront6targetE0EEEvSH_.num_named_barrier, 0
	.set _ZN7rocprim17ROCPRIM_400000_NS6detail17trampoline_kernelINS0_14default_configENS1_36segmented_radix_sort_config_selectorIllEEZNS1_25segmented_radix_sort_implIS3_Lb1EPKlPlS8_S9_N2at6native12_GLOBAL__N_18offset_tEEE10hipError_tPvRmT1_PNSt15iterator_traitsISH_E10value_typeET2_T3_PNSI_ISN_E10value_typeET4_jRbjT5_ST_jjP12ihipStream_tbEUlT_E0_NS1_11comp_targetILNS1_3genE10ELNS1_11target_archE1201ELNS1_3gpuE5ELNS1_3repE0EEENS1_60segmented_radix_sort_warp_sort_medium_config_static_selectorELNS0_4arch9wavefront6targetE0EEEvSH_.private_seg_size, 0
	.set _ZN7rocprim17ROCPRIM_400000_NS6detail17trampoline_kernelINS0_14default_configENS1_36segmented_radix_sort_config_selectorIllEEZNS1_25segmented_radix_sort_implIS3_Lb1EPKlPlS8_S9_N2at6native12_GLOBAL__N_18offset_tEEE10hipError_tPvRmT1_PNSt15iterator_traitsISH_E10value_typeET2_T3_PNSI_ISN_E10value_typeET4_jRbjT5_ST_jjP12ihipStream_tbEUlT_E0_NS1_11comp_targetILNS1_3genE10ELNS1_11target_archE1201ELNS1_3gpuE5ELNS1_3repE0EEENS1_60segmented_radix_sort_warp_sort_medium_config_static_selectorELNS0_4arch9wavefront6targetE0EEEvSH_.uses_vcc, 0
	.set _ZN7rocprim17ROCPRIM_400000_NS6detail17trampoline_kernelINS0_14default_configENS1_36segmented_radix_sort_config_selectorIllEEZNS1_25segmented_radix_sort_implIS3_Lb1EPKlPlS8_S9_N2at6native12_GLOBAL__N_18offset_tEEE10hipError_tPvRmT1_PNSt15iterator_traitsISH_E10value_typeET2_T3_PNSI_ISN_E10value_typeET4_jRbjT5_ST_jjP12ihipStream_tbEUlT_E0_NS1_11comp_targetILNS1_3genE10ELNS1_11target_archE1201ELNS1_3gpuE5ELNS1_3repE0EEENS1_60segmented_radix_sort_warp_sort_medium_config_static_selectorELNS0_4arch9wavefront6targetE0EEEvSH_.uses_flat_scratch, 0
	.set _ZN7rocprim17ROCPRIM_400000_NS6detail17trampoline_kernelINS0_14default_configENS1_36segmented_radix_sort_config_selectorIllEEZNS1_25segmented_radix_sort_implIS3_Lb1EPKlPlS8_S9_N2at6native12_GLOBAL__N_18offset_tEEE10hipError_tPvRmT1_PNSt15iterator_traitsISH_E10value_typeET2_T3_PNSI_ISN_E10value_typeET4_jRbjT5_ST_jjP12ihipStream_tbEUlT_E0_NS1_11comp_targetILNS1_3genE10ELNS1_11target_archE1201ELNS1_3gpuE5ELNS1_3repE0EEENS1_60segmented_radix_sort_warp_sort_medium_config_static_selectorELNS0_4arch9wavefront6targetE0EEEvSH_.has_dyn_sized_stack, 0
	.set _ZN7rocprim17ROCPRIM_400000_NS6detail17trampoline_kernelINS0_14default_configENS1_36segmented_radix_sort_config_selectorIllEEZNS1_25segmented_radix_sort_implIS3_Lb1EPKlPlS8_S9_N2at6native12_GLOBAL__N_18offset_tEEE10hipError_tPvRmT1_PNSt15iterator_traitsISH_E10value_typeET2_T3_PNSI_ISN_E10value_typeET4_jRbjT5_ST_jjP12ihipStream_tbEUlT_E0_NS1_11comp_targetILNS1_3genE10ELNS1_11target_archE1201ELNS1_3gpuE5ELNS1_3repE0EEENS1_60segmented_radix_sort_warp_sort_medium_config_static_selectorELNS0_4arch9wavefront6targetE0EEEvSH_.has_recursion, 0
	.set _ZN7rocprim17ROCPRIM_400000_NS6detail17trampoline_kernelINS0_14default_configENS1_36segmented_radix_sort_config_selectorIllEEZNS1_25segmented_radix_sort_implIS3_Lb1EPKlPlS8_S9_N2at6native12_GLOBAL__N_18offset_tEEE10hipError_tPvRmT1_PNSt15iterator_traitsISH_E10value_typeET2_T3_PNSI_ISN_E10value_typeET4_jRbjT5_ST_jjP12ihipStream_tbEUlT_E0_NS1_11comp_targetILNS1_3genE10ELNS1_11target_archE1201ELNS1_3gpuE5ELNS1_3repE0EEENS1_60segmented_radix_sort_warp_sort_medium_config_static_selectorELNS0_4arch9wavefront6targetE0EEEvSH_.has_indirect_call, 0
	.section	.AMDGPU.csdata,"",@progbits
; Kernel info:
; codeLenInByte = 0
; TotalNumSgprs: 0
; NumVgprs: 0
; ScratchSize: 0
; MemoryBound: 0
; FloatMode: 240
; IeeeMode: 1
; LDSByteSize: 0 bytes/workgroup (compile time only)
; SGPRBlocks: 0
; VGPRBlocks: 0
; NumSGPRsForWavesPerEU: 1
; NumVGPRsForWavesPerEU: 1
; Occupancy: 16
; WaveLimiterHint : 0
; COMPUTE_PGM_RSRC2:SCRATCH_EN: 0
; COMPUTE_PGM_RSRC2:USER_SGPR: 6
; COMPUTE_PGM_RSRC2:TRAP_HANDLER: 0
; COMPUTE_PGM_RSRC2:TGID_X_EN: 1
; COMPUTE_PGM_RSRC2:TGID_Y_EN: 0
; COMPUTE_PGM_RSRC2:TGID_Z_EN: 0
; COMPUTE_PGM_RSRC2:TIDIG_COMP_CNT: 0
	.section	.text._ZN7rocprim17ROCPRIM_400000_NS6detail17trampoline_kernelINS0_14default_configENS1_36segmented_radix_sort_config_selectorIllEEZNS1_25segmented_radix_sort_implIS3_Lb1EPKlPlS8_S9_N2at6native12_GLOBAL__N_18offset_tEEE10hipError_tPvRmT1_PNSt15iterator_traitsISH_E10value_typeET2_T3_PNSI_ISN_E10value_typeET4_jRbjT5_ST_jjP12ihipStream_tbEUlT_E0_NS1_11comp_targetILNS1_3genE10ELNS1_11target_archE1200ELNS1_3gpuE4ELNS1_3repE0EEENS1_60segmented_radix_sort_warp_sort_medium_config_static_selectorELNS0_4arch9wavefront6targetE0EEEvSH_,"axG",@progbits,_ZN7rocprim17ROCPRIM_400000_NS6detail17trampoline_kernelINS0_14default_configENS1_36segmented_radix_sort_config_selectorIllEEZNS1_25segmented_radix_sort_implIS3_Lb1EPKlPlS8_S9_N2at6native12_GLOBAL__N_18offset_tEEE10hipError_tPvRmT1_PNSt15iterator_traitsISH_E10value_typeET2_T3_PNSI_ISN_E10value_typeET4_jRbjT5_ST_jjP12ihipStream_tbEUlT_E0_NS1_11comp_targetILNS1_3genE10ELNS1_11target_archE1200ELNS1_3gpuE4ELNS1_3repE0EEENS1_60segmented_radix_sort_warp_sort_medium_config_static_selectorELNS0_4arch9wavefront6targetE0EEEvSH_,comdat
	.globl	_ZN7rocprim17ROCPRIM_400000_NS6detail17trampoline_kernelINS0_14default_configENS1_36segmented_radix_sort_config_selectorIllEEZNS1_25segmented_radix_sort_implIS3_Lb1EPKlPlS8_S9_N2at6native12_GLOBAL__N_18offset_tEEE10hipError_tPvRmT1_PNSt15iterator_traitsISH_E10value_typeET2_T3_PNSI_ISN_E10value_typeET4_jRbjT5_ST_jjP12ihipStream_tbEUlT_E0_NS1_11comp_targetILNS1_3genE10ELNS1_11target_archE1200ELNS1_3gpuE4ELNS1_3repE0EEENS1_60segmented_radix_sort_warp_sort_medium_config_static_selectorELNS0_4arch9wavefront6targetE0EEEvSH_ ; -- Begin function _ZN7rocprim17ROCPRIM_400000_NS6detail17trampoline_kernelINS0_14default_configENS1_36segmented_radix_sort_config_selectorIllEEZNS1_25segmented_radix_sort_implIS3_Lb1EPKlPlS8_S9_N2at6native12_GLOBAL__N_18offset_tEEE10hipError_tPvRmT1_PNSt15iterator_traitsISH_E10value_typeET2_T3_PNSI_ISN_E10value_typeET4_jRbjT5_ST_jjP12ihipStream_tbEUlT_E0_NS1_11comp_targetILNS1_3genE10ELNS1_11target_archE1200ELNS1_3gpuE4ELNS1_3repE0EEENS1_60segmented_radix_sort_warp_sort_medium_config_static_selectorELNS0_4arch9wavefront6targetE0EEEvSH_
	.p2align	8
	.type	_ZN7rocprim17ROCPRIM_400000_NS6detail17trampoline_kernelINS0_14default_configENS1_36segmented_radix_sort_config_selectorIllEEZNS1_25segmented_radix_sort_implIS3_Lb1EPKlPlS8_S9_N2at6native12_GLOBAL__N_18offset_tEEE10hipError_tPvRmT1_PNSt15iterator_traitsISH_E10value_typeET2_T3_PNSI_ISN_E10value_typeET4_jRbjT5_ST_jjP12ihipStream_tbEUlT_E0_NS1_11comp_targetILNS1_3genE10ELNS1_11target_archE1200ELNS1_3gpuE4ELNS1_3repE0EEENS1_60segmented_radix_sort_warp_sort_medium_config_static_selectorELNS0_4arch9wavefront6targetE0EEEvSH_,@function
_ZN7rocprim17ROCPRIM_400000_NS6detail17trampoline_kernelINS0_14default_configENS1_36segmented_radix_sort_config_selectorIllEEZNS1_25segmented_radix_sort_implIS3_Lb1EPKlPlS8_S9_N2at6native12_GLOBAL__N_18offset_tEEE10hipError_tPvRmT1_PNSt15iterator_traitsISH_E10value_typeET2_T3_PNSI_ISN_E10value_typeET4_jRbjT5_ST_jjP12ihipStream_tbEUlT_E0_NS1_11comp_targetILNS1_3genE10ELNS1_11target_archE1200ELNS1_3gpuE4ELNS1_3repE0EEENS1_60segmented_radix_sort_warp_sort_medium_config_static_selectorELNS0_4arch9wavefront6targetE0EEEvSH_: ; @_ZN7rocprim17ROCPRIM_400000_NS6detail17trampoline_kernelINS0_14default_configENS1_36segmented_radix_sort_config_selectorIllEEZNS1_25segmented_radix_sort_implIS3_Lb1EPKlPlS8_S9_N2at6native12_GLOBAL__N_18offset_tEEE10hipError_tPvRmT1_PNSt15iterator_traitsISH_E10value_typeET2_T3_PNSI_ISN_E10value_typeET4_jRbjT5_ST_jjP12ihipStream_tbEUlT_E0_NS1_11comp_targetILNS1_3genE10ELNS1_11target_archE1200ELNS1_3gpuE4ELNS1_3repE0EEENS1_60segmented_radix_sort_warp_sort_medium_config_static_selectorELNS0_4arch9wavefront6targetE0EEEvSH_
; %bb.0:
	.section	.rodata,"a",@progbits
	.p2align	6, 0x0
	.amdhsa_kernel _ZN7rocprim17ROCPRIM_400000_NS6detail17trampoline_kernelINS0_14default_configENS1_36segmented_radix_sort_config_selectorIllEEZNS1_25segmented_radix_sort_implIS3_Lb1EPKlPlS8_S9_N2at6native12_GLOBAL__N_18offset_tEEE10hipError_tPvRmT1_PNSt15iterator_traitsISH_E10value_typeET2_T3_PNSI_ISN_E10value_typeET4_jRbjT5_ST_jjP12ihipStream_tbEUlT_E0_NS1_11comp_targetILNS1_3genE10ELNS1_11target_archE1200ELNS1_3gpuE4ELNS1_3repE0EEENS1_60segmented_radix_sort_warp_sort_medium_config_static_selectorELNS0_4arch9wavefront6targetE0EEEvSH_
		.amdhsa_group_segment_fixed_size 0
		.amdhsa_private_segment_fixed_size 0
		.amdhsa_kernarg_size 88
		.amdhsa_user_sgpr_count 6
		.amdhsa_user_sgpr_private_segment_buffer 1
		.amdhsa_user_sgpr_dispatch_ptr 0
		.amdhsa_user_sgpr_queue_ptr 0
		.amdhsa_user_sgpr_kernarg_segment_ptr 1
		.amdhsa_user_sgpr_dispatch_id 0
		.amdhsa_user_sgpr_flat_scratch_init 0
		.amdhsa_user_sgpr_private_segment_size 0
		.amdhsa_wavefront_size32 1
		.amdhsa_uses_dynamic_stack 0
		.amdhsa_system_sgpr_private_segment_wavefront_offset 0
		.amdhsa_system_sgpr_workgroup_id_x 1
		.amdhsa_system_sgpr_workgroup_id_y 0
		.amdhsa_system_sgpr_workgroup_id_z 0
		.amdhsa_system_sgpr_workgroup_info 0
		.amdhsa_system_vgpr_workitem_id 0
		.amdhsa_next_free_vgpr 1
		.amdhsa_next_free_sgpr 1
		.amdhsa_reserve_vcc 0
		.amdhsa_reserve_flat_scratch 0
		.amdhsa_float_round_mode_32 0
		.amdhsa_float_round_mode_16_64 0
		.amdhsa_float_denorm_mode_32 3
		.amdhsa_float_denorm_mode_16_64 3
		.amdhsa_dx10_clamp 1
		.amdhsa_ieee_mode 1
		.amdhsa_fp16_overflow 0
		.amdhsa_workgroup_processor_mode 1
		.amdhsa_memory_ordered 1
		.amdhsa_forward_progress 1
		.amdhsa_shared_vgpr_count 0
		.amdhsa_exception_fp_ieee_invalid_op 0
		.amdhsa_exception_fp_denorm_src 0
		.amdhsa_exception_fp_ieee_div_zero 0
		.amdhsa_exception_fp_ieee_overflow 0
		.amdhsa_exception_fp_ieee_underflow 0
		.amdhsa_exception_fp_ieee_inexact 0
		.amdhsa_exception_int_div_zero 0
	.end_amdhsa_kernel
	.section	.text._ZN7rocprim17ROCPRIM_400000_NS6detail17trampoline_kernelINS0_14default_configENS1_36segmented_radix_sort_config_selectorIllEEZNS1_25segmented_radix_sort_implIS3_Lb1EPKlPlS8_S9_N2at6native12_GLOBAL__N_18offset_tEEE10hipError_tPvRmT1_PNSt15iterator_traitsISH_E10value_typeET2_T3_PNSI_ISN_E10value_typeET4_jRbjT5_ST_jjP12ihipStream_tbEUlT_E0_NS1_11comp_targetILNS1_3genE10ELNS1_11target_archE1200ELNS1_3gpuE4ELNS1_3repE0EEENS1_60segmented_radix_sort_warp_sort_medium_config_static_selectorELNS0_4arch9wavefront6targetE0EEEvSH_,"axG",@progbits,_ZN7rocprim17ROCPRIM_400000_NS6detail17trampoline_kernelINS0_14default_configENS1_36segmented_radix_sort_config_selectorIllEEZNS1_25segmented_radix_sort_implIS3_Lb1EPKlPlS8_S9_N2at6native12_GLOBAL__N_18offset_tEEE10hipError_tPvRmT1_PNSt15iterator_traitsISH_E10value_typeET2_T3_PNSI_ISN_E10value_typeET4_jRbjT5_ST_jjP12ihipStream_tbEUlT_E0_NS1_11comp_targetILNS1_3genE10ELNS1_11target_archE1200ELNS1_3gpuE4ELNS1_3repE0EEENS1_60segmented_radix_sort_warp_sort_medium_config_static_selectorELNS0_4arch9wavefront6targetE0EEEvSH_,comdat
.Lfunc_end714:
	.size	_ZN7rocprim17ROCPRIM_400000_NS6detail17trampoline_kernelINS0_14default_configENS1_36segmented_radix_sort_config_selectorIllEEZNS1_25segmented_radix_sort_implIS3_Lb1EPKlPlS8_S9_N2at6native12_GLOBAL__N_18offset_tEEE10hipError_tPvRmT1_PNSt15iterator_traitsISH_E10value_typeET2_T3_PNSI_ISN_E10value_typeET4_jRbjT5_ST_jjP12ihipStream_tbEUlT_E0_NS1_11comp_targetILNS1_3genE10ELNS1_11target_archE1200ELNS1_3gpuE4ELNS1_3repE0EEENS1_60segmented_radix_sort_warp_sort_medium_config_static_selectorELNS0_4arch9wavefront6targetE0EEEvSH_, .Lfunc_end714-_ZN7rocprim17ROCPRIM_400000_NS6detail17trampoline_kernelINS0_14default_configENS1_36segmented_radix_sort_config_selectorIllEEZNS1_25segmented_radix_sort_implIS3_Lb1EPKlPlS8_S9_N2at6native12_GLOBAL__N_18offset_tEEE10hipError_tPvRmT1_PNSt15iterator_traitsISH_E10value_typeET2_T3_PNSI_ISN_E10value_typeET4_jRbjT5_ST_jjP12ihipStream_tbEUlT_E0_NS1_11comp_targetILNS1_3genE10ELNS1_11target_archE1200ELNS1_3gpuE4ELNS1_3repE0EEENS1_60segmented_radix_sort_warp_sort_medium_config_static_selectorELNS0_4arch9wavefront6targetE0EEEvSH_
                                        ; -- End function
	.set _ZN7rocprim17ROCPRIM_400000_NS6detail17trampoline_kernelINS0_14default_configENS1_36segmented_radix_sort_config_selectorIllEEZNS1_25segmented_radix_sort_implIS3_Lb1EPKlPlS8_S9_N2at6native12_GLOBAL__N_18offset_tEEE10hipError_tPvRmT1_PNSt15iterator_traitsISH_E10value_typeET2_T3_PNSI_ISN_E10value_typeET4_jRbjT5_ST_jjP12ihipStream_tbEUlT_E0_NS1_11comp_targetILNS1_3genE10ELNS1_11target_archE1200ELNS1_3gpuE4ELNS1_3repE0EEENS1_60segmented_radix_sort_warp_sort_medium_config_static_selectorELNS0_4arch9wavefront6targetE0EEEvSH_.num_vgpr, 0
	.set _ZN7rocprim17ROCPRIM_400000_NS6detail17trampoline_kernelINS0_14default_configENS1_36segmented_radix_sort_config_selectorIllEEZNS1_25segmented_radix_sort_implIS3_Lb1EPKlPlS8_S9_N2at6native12_GLOBAL__N_18offset_tEEE10hipError_tPvRmT1_PNSt15iterator_traitsISH_E10value_typeET2_T3_PNSI_ISN_E10value_typeET4_jRbjT5_ST_jjP12ihipStream_tbEUlT_E0_NS1_11comp_targetILNS1_3genE10ELNS1_11target_archE1200ELNS1_3gpuE4ELNS1_3repE0EEENS1_60segmented_radix_sort_warp_sort_medium_config_static_selectorELNS0_4arch9wavefront6targetE0EEEvSH_.num_agpr, 0
	.set _ZN7rocprim17ROCPRIM_400000_NS6detail17trampoline_kernelINS0_14default_configENS1_36segmented_radix_sort_config_selectorIllEEZNS1_25segmented_radix_sort_implIS3_Lb1EPKlPlS8_S9_N2at6native12_GLOBAL__N_18offset_tEEE10hipError_tPvRmT1_PNSt15iterator_traitsISH_E10value_typeET2_T3_PNSI_ISN_E10value_typeET4_jRbjT5_ST_jjP12ihipStream_tbEUlT_E0_NS1_11comp_targetILNS1_3genE10ELNS1_11target_archE1200ELNS1_3gpuE4ELNS1_3repE0EEENS1_60segmented_radix_sort_warp_sort_medium_config_static_selectorELNS0_4arch9wavefront6targetE0EEEvSH_.numbered_sgpr, 0
	.set _ZN7rocprim17ROCPRIM_400000_NS6detail17trampoline_kernelINS0_14default_configENS1_36segmented_radix_sort_config_selectorIllEEZNS1_25segmented_radix_sort_implIS3_Lb1EPKlPlS8_S9_N2at6native12_GLOBAL__N_18offset_tEEE10hipError_tPvRmT1_PNSt15iterator_traitsISH_E10value_typeET2_T3_PNSI_ISN_E10value_typeET4_jRbjT5_ST_jjP12ihipStream_tbEUlT_E0_NS1_11comp_targetILNS1_3genE10ELNS1_11target_archE1200ELNS1_3gpuE4ELNS1_3repE0EEENS1_60segmented_radix_sort_warp_sort_medium_config_static_selectorELNS0_4arch9wavefront6targetE0EEEvSH_.num_named_barrier, 0
	.set _ZN7rocprim17ROCPRIM_400000_NS6detail17trampoline_kernelINS0_14default_configENS1_36segmented_radix_sort_config_selectorIllEEZNS1_25segmented_radix_sort_implIS3_Lb1EPKlPlS8_S9_N2at6native12_GLOBAL__N_18offset_tEEE10hipError_tPvRmT1_PNSt15iterator_traitsISH_E10value_typeET2_T3_PNSI_ISN_E10value_typeET4_jRbjT5_ST_jjP12ihipStream_tbEUlT_E0_NS1_11comp_targetILNS1_3genE10ELNS1_11target_archE1200ELNS1_3gpuE4ELNS1_3repE0EEENS1_60segmented_radix_sort_warp_sort_medium_config_static_selectorELNS0_4arch9wavefront6targetE0EEEvSH_.private_seg_size, 0
	.set _ZN7rocprim17ROCPRIM_400000_NS6detail17trampoline_kernelINS0_14default_configENS1_36segmented_radix_sort_config_selectorIllEEZNS1_25segmented_radix_sort_implIS3_Lb1EPKlPlS8_S9_N2at6native12_GLOBAL__N_18offset_tEEE10hipError_tPvRmT1_PNSt15iterator_traitsISH_E10value_typeET2_T3_PNSI_ISN_E10value_typeET4_jRbjT5_ST_jjP12ihipStream_tbEUlT_E0_NS1_11comp_targetILNS1_3genE10ELNS1_11target_archE1200ELNS1_3gpuE4ELNS1_3repE0EEENS1_60segmented_radix_sort_warp_sort_medium_config_static_selectorELNS0_4arch9wavefront6targetE0EEEvSH_.uses_vcc, 0
	.set _ZN7rocprim17ROCPRIM_400000_NS6detail17trampoline_kernelINS0_14default_configENS1_36segmented_radix_sort_config_selectorIllEEZNS1_25segmented_radix_sort_implIS3_Lb1EPKlPlS8_S9_N2at6native12_GLOBAL__N_18offset_tEEE10hipError_tPvRmT1_PNSt15iterator_traitsISH_E10value_typeET2_T3_PNSI_ISN_E10value_typeET4_jRbjT5_ST_jjP12ihipStream_tbEUlT_E0_NS1_11comp_targetILNS1_3genE10ELNS1_11target_archE1200ELNS1_3gpuE4ELNS1_3repE0EEENS1_60segmented_radix_sort_warp_sort_medium_config_static_selectorELNS0_4arch9wavefront6targetE0EEEvSH_.uses_flat_scratch, 0
	.set _ZN7rocprim17ROCPRIM_400000_NS6detail17trampoline_kernelINS0_14default_configENS1_36segmented_radix_sort_config_selectorIllEEZNS1_25segmented_radix_sort_implIS3_Lb1EPKlPlS8_S9_N2at6native12_GLOBAL__N_18offset_tEEE10hipError_tPvRmT1_PNSt15iterator_traitsISH_E10value_typeET2_T3_PNSI_ISN_E10value_typeET4_jRbjT5_ST_jjP12ihipStream_tbEUlT_E0_NS1_11comp_targetILNS1_3genE10ELNS1_11target_archE1200ELNS1_3gpuE4ELNS1_3repE0EEENS1_60segmented_radix_sort_warp_sort_medium_config_static_selectorELNS0_4arch9wavefront6targetE0EEEvSH_.has_dyn_sized_stack, 0
	.set _ZN7rocprim17ROCPRIM_400000_NS6detail17trampoline_kernelINS0_14default_configENS1_36segmented_radix_sort_config_selectorIllEEZNS1_25segmented_radix_sort_implIS3_Lb1EPKlPlS8_S9_N2at6native12_GLOBAL__N_18offset_tEEE10hipError_tPvRmT1_PNSt15iterator_traitsISH_E10value_typeET2_T3_PNSI_ISN_E10value_typeET4_jRbjT5_ST_jjP12ihipStream_tbEUlT_E0_NS1_11comp_targetILNS1_3genE10ELNS1_11target_archE1200ELNS1_3gpuE4ELNS1_3repE0EEENS1_60segmented_radix_sort_warp_sort_medium_config_static_selectorELNS0_4arch9wavefront6targetE0EEEvSH_.has_recursion, 0
	.set _ZN7rocprim17ROCPRIM_400000_NS6detail17trampoline_kernelINS0_14default_configENS1_36segmented_radix_sort_config_selectorIllEEZNS1_25segmented_radix_sort_implIS3_Lb1EPKlPlS8_S9_N2at6native12_GLOBAL__N_18offset_tEEE10hipError_tPvRmT1_PNSt15iterator_traitsISH_E10value_typeET2_T3_PNSI_ISN_E10value_typeET4_jRbjT5_ST_jjP12ihipStream_tbEUlT_E0_NS1_11comp_targetILNS1_3genE10ELNS1_11target_archE1200ELNS1_3gpuE4ELNS1_3repE0EEENS1_60segmented_radix_sort_warp_sort_medium_config_static_selectorELNS0_4arch9wavefront6targetE0EEEvSH_.has_indirect_call, 0
	.section	.AMDGPU.csdata,"",@progbits
; Kernel info:
; codeLenInByte = 0
; TotalNumSgprs: 0
; NumVgprs: 0
; ScratchSize: 0
; MemoryBound: 0
; FloatMode: 240
; IeeeMode: 1
; LDSByteSize: 0 bytes/workgroup (compile time only)
; SGPRBlocks: 0
; VGPRBlocks: 0
; NumSGPRsForWavesPerEU: 1
; NumVGPRsForWavesPerEU: 1
; Occupancy: 16
; WaveLimiterHint : 0
; COMPUTE_PGM_RSRC2:SCRATCH_EN: 0
; COMPUTE_PGM_RSRC2:USER_SGPR: 6
; COMPUTE_PGM_RSRC2:TRAP_HANDLER: 0
; COMPUTE_PGM_RSRC2:TGID_X_EN: 1
; COMPUTE_PGM_RSRC2:TGID_Y_EN: 0
; COMPUTE_PGM_RSRC2:TGID_Z_EN: 0
; COMPUTE_PGM_RSRC2:TIDIG_COMP_CNT: 0
	.section	.text._ZN7rocprim17ROCPRIM_400000_NS6detail17trampoline_kernelINS0_14default_configENS1_36segmented_radix_sort_config_selectorIllEEZNS1_25segmented_radix_sort_implIS3_Lb1EPKlPlS8_S9_N2at6native12_GLOBAL__N_18offset_tEEE10hipError_tPvRmT1_PNSt15iterator_traitsISH_E10value_typeET2_T3_PNSI_ISN_E10value_typeET4_jRbjT5_ST_jjP12ihipStream_tbEUlT_E0_NS1_11comp_targetILNS1_3genE9ELNS1_11target_archE1100ELNS1_3gpuE3ELNS1_3repE0EEENS1_60segmented_radix_sort_warp_sort_medium_config_static_selectorELNS0_4arch9wavefront6targetE0EEEvSH_,"axG",@progbits,_ZN7rocprim17ROCPRIM_400000_NS6detail17trampoline_kernelINS0_14default_configENS1_36segmented_radix_sort_config_selectorIllEEZNS1_25segmented_radix_sort_implIS3_Lb1EPKlPlS8_S9_N2at6native12_GLOBAL__N_18offset_tEEE10hipError_tPvRmT1_PNSt15iterator_traitsISH_E10value_typeET2_T3_PNSI_ISN_E10value_typeET4_jRbjT5_ST_jjP12ihipStream_tbEUlT_E0_NS1_11comp_targetILNS1_3genE9ELNS1_11target_archE1100ELNS1_3gpuE3ELNS1_3repE0EEENS1_60segmented_radix_sort_warp_sort_medium_config_static_selectorELNS0_4arch9wavefront6targetE0EEEvSH_,comdat
	.globl	_ZN7rocprim17ROCPRIM_400000_NS6detail17trampoline_kernelINS0_14default_configENS1_36segmented_radix_sort_config_selectorIllEEZNS1_25segmented_radix_sort_implIS3_Lb1EPKlPlS8_S9_N2at6native12_GLOBAL__N_18offset_tEEE10hipError_tPvRmT1_PNSt15iterator_traitsISH_E10value_typeET2_T3_PNSI_ISN_E10value_typeET4_jRbjT5_ST_jjP12ihipStream_tbEUlT_E0_NS1_11comp_targetILNS1_3genE9ELNS1_11target_archE1100ELNS1_3gpuE3ELNS1_3repE0EEENS1_60segmented_radix_sort_warp_sort_medium_config_static_selectorELNS0_4arch9wavefront6targetE0EEEvSH_ ; -- Begin function _ZN7rocprim17ROCPRIM_400000_NS6detail17trampoline_kernelINS0_14default_configENS1_36segmented_radix_sort_config_selectorIllEEZNS1_25segmented_radix_sort_implIS3_Lb1EPKlPlS8_S9_N2at6native12_GLOBAL__N_18offset_tEEE10hipError_tPvRmT1_PNSt15iterator_traitsISH_E10value_typeET2_T3_PNSI_ISN_E10value_typeET4_jRbjT5_ST_jjP12ihipStream_tbEUlT_E0_NS1_11comp_targetILNS1_3genE9ELNS1_11target_archE1100ELNS1_3gpuE3ELNS1_3repE0EEENS1_60segmented_radix_sort_warp_sort_medium_config_static_selectorELNS0_4arch9wavefront6targetE0EEEvSH_
	.p2align	8
	.type	_ZN7rocprim17ROCPRIM_400000_NS6detail17trampoline_kernelINS0_14default_configENS1_36segmented_radix_sort_config_selectorIllEEZNS1_25segmented_radix_sort_implIS3_Lb1EPKlPlS8_S9_N2at6native12_GLOBAL__N_18offset_tEEE10hipError_tPvRmT1_PNSt15iterator_traitsISH_E10value_typeET2_T3_PNSI_ISN_E10value_typeET4_jRbjT5_ST_jjP12ihipStream_tbEUlT_E0_NS1_11comp_targetILNS1_3genE9ELNS1_11target_archE1100ELNS1_3gpuE3ELNS1_3repE0EEENS1_60segmented_radix_sort_warp_sort_medium_config_static_selectorELNS0_4arch9wavefront6targetE0EEEvSH_,@function
_ZN7rocprim17ROCPRIM_400000_NS6detail17trampoline_kernelINS0_14default_configENS1_36segmented_radix_sort_config_selectorIllEEZNS1_25segmented_radix_sort_implIS3_Lb1EPKlPlS8_S9_N2at6native12_GLOBAL__N_18offset_tEEE10hipError_tPvRmT1_PNSt15iterator_traitsISH_E10value_typeET2_T3_PNSI_ISN_E10value_typeET4_jRbjT5_ST_jjP12ihipStream_tbEUlT_E0_NS1_11comp_targetILNS1_3genE9ELNS1_11target_archE1100ELNS1_3gpuE3ELNS1_3repE0EEENS1_60segmented_radix_sort_warp_sort_medium_config_static_selectorELNS0_4arch9wavefront6targetE0EEEvSH_: ; @_ZN7rocprim17ROCPRIM_400000_NS6detail17trampoline_kernelINS0_14default_configENS1_36segmented_radix_sort_config_selectorIllEEZNS1_25segmented_radix_sort_implIS3_Lb1EPKlPlS8_S9_N2at6native12_GLOBAL__N_18offset_tEEE10hipError_tPvRmT1_PNSt15iterator_traitsISH_E10value_typeET2_T3_PNSI_ISN_E10value_typeET4_jRbjT5_ST_jjP12ihipStream_tbEUlT_E0_NS1_11comp_targetILNS1_3genE9ELNS1_11target_archE1100ELNS1_3gpuE3ELNS1_3repE0EEENS1_60segmented_radix_sort_warp_sort_medium_config_static_selectorELNS0_4arch9wavefront6targetE0EEEvSH_
; %bb.0:
	.section	.rodata,"a",@progbits
	.p2align	6, 0x0
	.amdhsa_kernel _ZN7rocprim17ROCPRIM_400000_NS6detail17trampoline_kernelINS0_14default_configENS1_36segmented_radix_sort_config_selectorIllEEZNS1_25segmented_radix_sort_implIS3_Lb1EPKlPlS8_S9_N2at6native12_GLOBAL__N_18offset_tEEE10hipError_tPvRmT1_PNSt15iterator_traitsISH_E10value_typeET2_T3_PNSI_ISN_E10value_typeET4_jRbjT5_ST_jjP12ihipStream_tbEUlT_E0_NS1_11comp_targetILNS1_3genE9ELNS1_11target_archE1100ELNS1_3gpuE3ELNS1_3repE0EEENS1_60segmented_radix_sort_warp_sort_medium_config_static_selectorELNS0_4arch9wavefront6targetE0EEEvSH_
		.amdhsa_group_segment_fixed_size 0
		.amdhsa_private_segment_fixed_size 0
		.amdhsa_kernarg_size 88
		.amdhsa_user_sgpr_count 6
		.amdhsa_user_sgpr_private_segment_buffer 1
		.amdhsa_user_sgpr_dispatch_ptr 0
		.amdhsa_user_sgpr_queue_ptr 0
		.amdhsa_user_sgpr_kernarg_segment_ptr 1
		.amdhsa_user_sgpr_dispatch_id 0
		.amdhsa_user_sgpr_flat_scratch_init 0
		.amdhsa_user_sgpr_private_segment_size 0
		.amdhsa_wavefront_size32 1
		.amdhsa_uses_dynamic_stack 0
		.amdhsa_system_sgpr_private_segment_wavefront_offset 0
		.amdhsa_system_sgpr_workgroup_id_x 1
		.amdhsa_system_sgpr_workgroup_id_y 0
		.amdhsa_system_sgpr_workgroup_id_z 0
		.amdhsa_system_sgpr_workgroup_info 0
		.amdhsa_system_vgpr_workitem_id 0
		.amdhsa_next_free_vgpr 1
		.amdhsa_next_free_sgpr 1
		.amdhsa_reserve_vcc 0
		.amdhsa_reserve_flat_scratch 0
		.amdhsa_float_round_mode_32 0
		.amdhsa_float_round_mode_16_64 0
		.amdhsa_float_denorm_mode_32 3
		.amdhsa_float_denorm_mode_16_64 3
		.amdhsa_dx10_clamp 1
		.amdhsa_ieee_mode 1
		.amdhsa_fp16_overflow 0
		.amdhsa_workgroup_processor_mode 1
		.amdhsa_memory_ordered 1
		.amdhsa_forward_progress 1
		.amdhsa_shared_vgpr_count 0
		.amdhsa_exception_fp_ieee_invalid_op 0
		.amdhsa_exception_fp_denorm_src 0
		.amdhsa_exception_fp_ieee_div_zero 0
		.amdhsa_exception_fp_ieee_overflow 0
		.amdhsa_exception_fp_ieee_underflow 0
		.amdhsa_exception_fp_ieee_inexact 0
		.amdhsa_exception_int_div_zero 0
	.end_amdhsa_kernel
	.section	.text._ZN7rocprim17ROCPRIM_400000_NS6detail17trampoline_kernelINS0_14default_configENS1_36segmented_radix_sort_config_selectorIllEEZNS1_25segmented_radix_sort_implIS3_Lb1EPKlPlS8_S9_N2at6native12_GLOBAL__N_18offset_tEEE10hipError_tPvRmT1_PNSt15iterator_traitsISH_E10value_typeET2_T3_PNSI_ISN_E10value_typeET4_jRbjT5_ST_jjP12ihipStream_tbEUlT_E0_NS1_11comp_targetILNS1_3genE9ELNS1_11target_archE1100ELNS1_3gpuE3ELNS1_3repE0EEENS1_60segmented_radix_sort_warp_sort_medium_config_static_selectorELNS0_4arch9wavefront6targetE0EEEvSH_,"axG",@progbits,_ZN7rocprim17ROCPRIM_400000_NS6detail17trampoline_kernelINS0_14default_configENS1_36segmented_radix_sort_config_selectorIllEEZNS1_25segmented_radix_sort_implIS3_Lb1EPKlPlS8_S9_N2at6native12_GLOBAL__N_18offset_tEEE10hipError_tPvRmT1_PNSt15iterator_traitsISH_E10value_typeET2_T3_PNSI_ISN_E10value_typeET4_jRbjT5_ST_jjP12ihipStream_tbEUlT_E0_NS1_11comp_targetILNS1_3genE9ELNS1_11target_archE1100ELNS1_3gpuE3ELNS1_3repE0EEENS1_60segmented_radix_sort_warp_sort_medium_config_static_selectorELNS0_4arch9wavefront6targetE0EEEvSH_,comdat
.Lfunc_end715:
	.size	_ZN7rocprim17ROCPRIM_400000_NS6detail17trampoline_kernelINS0_14default_configENS1_36segmented_radix_sort_config_selectorIllEEZNS1_25segmented_radix_sort_implIS3_Lb1EPKlPlS8_S9_N2at6native12_GLOBAL__N_18offset_tEEE10hipError_tPvRmT1_PNSt15iterator_traitsISH_E10value_typeET2_T3_PNSI_ISN_E10value_typeET4_jRbjT5_ST_jjP12ihipStream_tbEUlT_E0_NS1_11comp_targetILNS1_3genE9ELNS1_11target_archE1100ELNS1_3gpuE3ELNS1_3repE0EEENS1_60segmented_radix_sort_warp_sort_medium_config_static_selectorELNS0_4arch9wavefront6targetE0EEEvSH_, .Lfunc_end715-_ZN7rocprim17ROCPRIM_400000_NS6detail17trampoline_kernelINS0_14default_configENS1_36segmented_radix_sort_config_selectorIllEEZNS1_25segmented_radix_sort_implIS3_Lb1EPKlPlS8_S9_N2at6native12_GLOBAL__N_18offset_tEEE10hipError_tPvRmT1_PNSt15iterator_traitsISH_E10value_typeET2_T3_PNSI_ISN_E10value_typeET4_jRbjT5_ST_jjP12ihipStream_tbEUlT_E0_NS1_11comp_targetILNS1_3genE9ELNS1_11target_archE1100ELNS1_3gpuE3ELNS1_3repE0EEENS1_60segmented_radix_sort_warp_sort_medium_config_static_selectorELNS0_4arch9wavefront6targetE0EEEvSH_
                                        ; -- End function
	.set _ZN7rocprim17ROCPRIM_400000_NS6detail17trampoline_kernelINS0_14default_configENS1_36segmented_radix_sort_config_selectorIllEEZNS1_25segmented_radix_sort_implIS3_Lb1EPKlPlS8_S9_N2at6native12_GLOBAL__N_18offset_tEEE10hipError_tPvRmT1_PNSt15iterator_traitsISH_E10value_typeET2_T3_PNSI_ISN_E10value_typeET4_jRbjT5_ST_jjP12ihipStream_tbEUlT_E0_NS1_11comp_targetILNS1_3genE9ELNS1_11target_archE1100ELNS1_3gpuE3ELNS1_3repE0EEENS1_60segmented_radix_sort_warp_sort_medium_config_static_selectorELNS0_4arch9wavefront6targetE0EEEvSH_.num_vgpr, 0
	.set _ZN7rocprim17ROCPRIM_400000_NS6detail17trampoline_kernelINS0_14default_configENS1_36segmented_radix_sort_config_selectorIllEEZNS1_25segmented_radix_sort_implIS3_Lb1EPKlPlS8_S9_N2at6native12_GLOBAL__N_18offset_tEEE10hipError_tPvRmT1_PNSt15iterator_traitsISH_E10value_typeET2_T3_PNSI_ISN_E10value_typeET4_jRbjT5_ST_jjP12ihipStream_tbEUlT_E0_NS1_11comp_targetILNS1_3genE9ELNS1_11target_archE1100ELNS1_3gpuE3ELNS1_3repE0EEENS1_60segmented_radix_sort_warp_sort_medium_config_static_selectorELNS0_4arch9wavefront6targetE0EEEvSH_.num_agpr, 0
	.set _ZN7rocprim17ROCPRIM_400000_NS6detail17trampoline_kernelINS0_14default_configENS1_36segmented_radix_sort_config_selectorIllEEZNS1_25segmented_radix_sort_implIS3_Lb1EPKlPlS8_S9_N2at6native12_GLOBAL__N_18offset_tEEE10hipError_tPvRmT1_PNSt15iterator_traitsISH_E10value_typeET2_T3_PNSI_ISN_E10value_typeET4_jRbjT5_ST_jjP12ihipStream_tbEUlT_E0_NS1_11comp_targetILNS1_3genE9ELNS1_11target_archE1100ELNS1_3gpuE3ELNS1_3repE0EEENS1_60segmented_radix_sort_warp_sort_medium_config_static_selectorELNS0_4arch9wavefront6targetE0EEEvSH_.numbered_sgpr, 0
	.set _ZN7rocprim17ROCPRIM_400000_NS6detail17trampoline_kernelINS0_14default_configENS1_36segmented_radix_sort_config_selectorIllEEZNS1_25segmented_radix_sort_implIS3_Lb1EPKlPlS8_S9_N2at6native12_GLOBAL__N_18offset_tEEE10hipError_tPvRmT1_PNSt15iterator_traitsISH_E10value_typeET2_T3_PNSI_ISN_E10value_typeET4_jRbjT5_ST_jjP12ihipStream_tbEUlT_E0_NS1_11comp_targetILNS1_3genE9ELNS1_11target_archE1100ELNS1_3gpuE3ELNS1_3repE0EEENS1_60segmented_radix_sort_warp_sort_medium_config_static_selectorELNS0_4arch9wavefront6targetE0EEEvSH_.num_named_barrier, 0
	.set _ZN7rocprim17ROCPRIM_400000_NS6detail17trampoline_kernelINS0_14default_configENS1_36segmented_radix_sort_config_selectorIllEEZNS1_25segmented_radix_sort_implIS3_Lb1EPKlPlS8_S9_N2at6native12_GLOBAL__N_18offset_tEEE10hipError_tPvRmT1_PNSt15iterator_traitsISH_E10value_typeET2_T3_PNSI_ISN_E10value_typeET4_jRbjT5_ST_jjP12ihipStream_tbEUlT_E0_NS1_11comp_targetILNS1_3genE9ELNS1_11target_archE1100ELNS1_3gpuE3ELNS1_3repE0EEENS1_60segmented_radix_sort_warp_sort_medium_config_static_selectorELNS0_4arch9wavefront6targetE0EEEvSH_.private_seg_size, 0
	.set _ZN7rocprim17ROCPRIM_400000_NS6detail17trampoline_kernelINS0_14default_configENS1_36segmented_radix_sort_config_selectorIllEEZNS1_25segmented_radix_sort_implIS3_Lb1EPKlPlS8_S9_N2at6native12_GLOBAL__N_18offset_tEEE10hipError_tPvRmT1_PNSt15iterator_traitsISH_E10value_typeET2_T3_PNSI_ISN_E10value_typeET4_jRbjT5_ST_jjP12ihipStream_tbEUlT_E0_NS1_11comp_targetILNS1_3genE9ELNS1_11target_archE1100ELNS1_3gpuE3ELNS1_3repE0EEENS1_60segmented_radix_sort_warp_sort_medium_config_static_selectorELNS0_4arch9wavefront6targetE0EEEvSH_.uses_vcc, 0
	.set _ZN7rocprim17ROCPRIM_400000_NS6detail17trampoline_kernelINS0_14default_configENS1_36segmented_radix_sort_config_selectorIllEEZNS1_25segmented_radix_sort_implIS3_Lb1EPKlPlS8_S9_N2at6native12_GLOBAL__N_18offset_tEEE10hipError_tPvRmT1_PNSt15iterator_traitsISH_E10value_typeET2_T3_PNSI_ISN_E10value_typeET4_jRbjT5_ST_jjP12ihipStream_tbEUlT_E0_NS1_11comp_targetILNS1_3genE9ELNS1_11target_archE1100ELNS1_3gpuE3ELNS1_3repE0EEENS1_60segmented_radix_sort_warp_sort_medium_config_static_selectorELNS0_4arch9wavefront6targetE0EEEvSH_.uses_flat_scratch, 0
	.set _ZN7rocprim17ROCPRIM_400000_NS6detail17trampoline_kernelINS0_14default_configENS1_36segmented_radix_sort_config_selectorIllEEZNS1_25segmented_radix_sort_implIS3_Lb1EPKlPlS8_S9_N2at6native12_GLOBAL__N_18offset_tEEE10hipError_tPvRmT1_PNSt15iterator_traitsISH_E10value_typeET2_T3_PNSI_ISN_E10value_typeET4_jRbjT5_ST_jjP12ihipStream_tbEUlT_E0_NS1_11comp_targetILNS1_3genE9ELNS1_11target_archE1100ELNS1_3gpuE3ELNS1_3repE0EEENS1_60segmented_radix_sort_warp_sort_medium_config_static_selectorELNS0_4arch9wavefront6targetE0EEEvSH_.has_dyn_sized_stack, 0
	.set _ZN7rocprim17ROCPRIM_400000_NS6detail17trampoline_kernelINS0_14default_configENS1_36segmented_radix_sort_config_selectorIllEEZNS1_25segmented_radix_sort_implIS3_Lb1EPKlPlS8_S9_N2at6native12_GLOBAL__N_18offset_tEEE10hipError_tPvRmT1_PNSt15iterator_traitsISH_E10value_typeET2_T3_PNSI_ISN_E10value_typeET4_jRbjT5_ST_jjP12ihipStream_tbEUlT_E0_NS1_11comp_targetILNS1_3genE9ELNS1_11target_archE1100ELNS1_3gpuE3ELNS1_3repE0EEENS1_60segmented_radix_sort_warp_sort_medium_config_static_selectorELNS0_4arch9wavefront6targetE0EEEvSH_.has_recursion, 0
	.set _ZN7rocprim17ROCPRIM_400000_NS6detail17trampoline_kernelINS0_14default_configENS1_36segmented_radix_sort_config_selectorIllEEZNS1_25segmented_radix_sort_implIS3_Lb1EPKlPlS8_S9_N2at6native12_GLOBAL__N_18offset_tEEE10hipError_tPvRmT1_PNSt15iterator_traitsISH_E10value_typeET2_T3_PNSI_ISN_E10value_typeET4_jRbjT5_ST_jjP12ihipStream_tbEUlT_E0_NS1_11comp_targetILNS1_3genE9ELNS1_11target_archE1100ELNS1_3gpuE3ELNS1_3repE0EEENS1_60segmented_radix_sort_warp_sort_medium_config_static_selectorELNS0_4arch9wavefront6targetE0EEEvSH_.has_indirect_call, 0
	.section	.AMDGPU.csdata,"",@progbits
; Kernel info:
; codeLenInByte = 0
; TotalNumSgprs: 0
; NumVgprs: 0
; ScratchSize: 0
; MemoryBound: 0
; FloatMode: 240
; IeeeMode: 1
; LDSByteSize: 0 bytes/workgroup (compile time only)
; SGPRBlocks: 0
; VGPRBlocks: 0
; NumSGPRsForWavesPerEU: 1
; NumVGPRsForWavesPerEU: 1
; Occupancy: 16
; WaveLimiterHint : 0
; COMPUTE_PGM_RSRC2:SCRATCH_EN: 0
; COMPUTE_PGM_RSRC2:USER_SGPR: 6
; COMPUTE_PGM_RSRC2:TRAP_HANDLER: 0
; COMPUTE_PGM_RSRC2:TGID_X_EN: 1
; COMPUTE_PGM_RSRC2:TGID_Y_EN: 0
; COMPUTE_PGM_RSRC2:TGID_Z_EN: 0
; COMPUTE_PGM_RSRC2:TIDIG_COMP_CNT: 0
	.text
	.p2align	2                               ; -- Begin function _ZN7rocprim17ROCPRIM_400000_NS6detail26segmented_warp_sort_helperINS1_20WarpSortHelperConfigILj32ELj16ELj256EEEllLi256ELb1EvE4sortIPKlPlS8_S9_EEvT_T0_T1_T2_jjjjRNS5_12storage_typeE
	.type	_ZN7rocprim17ROCPRIM_400000_NS6detail26segmented_warp_sort_helperINS1_20WarpSortHelperConfigILj32ELj16ELj256EEEllLi256ELb1EvE4sortIPKlPlS8_S9_EEvT_T0_T1_T2_jjjjRNS5_12storage_typeE,@function
_ZN7rocprim17ROCPRIM_400000_NS6detail26segmented_warp_sort_helperINS1_20WarpSortHelperConfigILj32ELj16ELj256EEEllLi256ELb1EvE4sortIPKlPlS8_S9_EEvT_T0_T1_T2_jjjjRNS5_12storage_typeE: ; @_ZN7rocprim17ROCPRIM_400000_NS6detail26segmented_warp_sort_helperINS1_20WarpSortHelperConfigILj32ELj16ELj256EEEllLi256ELb1EvE4sortIPKlPlS8_S9_EEvT_T0_T1_T2_jjjjRNS5_12storage_typeE
; %bb.0:
	s_waitcnt vmcnt(0) expcnt(0) lgkmcnt(0)
	v_mov_b32_e32 v12, v10
	v_mov_b32_e32 v10, v9
	;; [unrolled: 1-line block ×3, first 2 shown]
	v_mbcnt_lo_u32_b32 v15, -1, 0
	v_lshlrev_b64 v[13:14], 3, v[8:9]
	v_lshlrev_b32_e32 v16, 7, v15
	v_sub_nc_u32_e32 v8, v10, v8
	v_lshlrev_b32_e32 v151, 4, v15
	v_bfrev_b32_e32 v10, 1
	v_add_co_u32 v0, vcc_lo, v0, v13
	v_add_co_ci_u32_e64 v1, null, v1, v14, vcc_lo
	v_add_co_u32 v15, vcc_lo, v0, v16
	v_add_co_ci_u32_e64 v16, null, 0, v1, vcc_lo
	v_mov_b32_e32 v0, v9
	v_cmp_lt_u32_e32 vcc_lo, v151, v8
	v_mov_b32_e32 v1, v10
	s_and_saveexec_b32 s4, vcc_lo
	s_cbranch_execz .LBB716_2
; %bb.1:
	flat_load_dwordx2 v[0:1], v[15:16]
.LBB716_2:
	s_or_b32 exec_lo, exec_lo, s4
	v_or_b32_e32 v17, 1, v151
	v_cmp_lt_u32_e64 s4, v17, v8
	s_and_saveexec_b32 s5, s4
	s_cbranch_execz .LBB716_4
; %bb.3:
	flat_load_dwordx2 v[9:10], v[15:16] offset:8
.LBB716_4:
	s_or_b32 exec_lo, exec_lo, s5
	v_or_b32_e32 v17, 2, v151
	v_mov_b32_e32 v21, 0
	v_bfrev_b32_e32 v22, 1
	v_cmp_lt_u32_e64 s5, v17, v8
	v_mov_b32_e32 v17, v21
	v_mov_b32_e32 v18, v22
	s_and_saveexec_b32 s6, s5
	s_cbranch_execz .LBB716_6
; %bb.5:
	flat_load_dwordx2 v[17:18], v[15:16] offset:16
.LBB716_6:
	s_or_b32 exec_lo, exec_lo, s6
	v_or_b32_e32 v19, 3, v151
	v_cmp_lt_u32_e64 s6, v19, v8
	s_and_saveexec_b32 s7, s6
	s_cbranch_execz .LBB716_8
; %bb.7:
	flat_load_dwordx2 v[21:22], v[15:16] offset:24
.LBB716_8:
	s_or_b32 exec_lo, exec_lo, s7
	v_mov_b32_e32 v32, 0
	v_or_b32_e32 v19, 4, v151
	v_bfrev_b32_e32 v33, 1
	v_mov_b32_e32 v27, v32
	v_cmp_lt_u32_e64 s7, v19, v8
	v_mov_b32_e32 v28, v33
	s_and_saveexec_b32 s10, s7
	s_cbranch_execz .LBB716_10
; %bb.9:
	flat_load_dwordx2 v[27:28], v[15:16] offset:32
.LBB716_10:
	s_or_b32 exec_lo, exec_lo, s10
	v_or_b32_e32 v19, 5, v151
	v_cmp_lt_u32_e64 s10, v19, v8
	s_and_saveexec_b32 s11, s10
	s_cbranch_execz .LBB716_12
; %bb.11:
	flat_load_dwordx2 v[32:33], v[15:16] offset:40
.LBB716_12:
	s_or_b32 exec_lo, exec_lo, s11
	v_mov_b32_e32 v48, 0
	v_or_b32_e32 v19, 6, v151
	v_bfrev_b32_e32 v49, 1
	v_mov_b32_e32 v36, v48
	v_cmp_lt_u32_e64 s11, v19, v8
	;; [unrolled: 20-line block ×4, first 2 shown]
	v_mov_b32_e32 v71, v87
	s_and_saveexec_b32 s16, s15
	s_cbranch_execz .LBB716_22
; %bb.21:
	flat_load_dwordx2 v[70:71], v[15:16] offset:80
.LBB716_22:
	s_or_b32 exec_lo, exec_lo, s16
	v_or_b32_e32 v19, 11, v151
	v_cmp_lt_u32_e64 s16, v19, v8
	s_and_saveexec_b32 s17, s16
	s_cbranch_execz .LBB716_24
; %bb.23:
	flat_load_dwordx2 v[86:87], v[15:16] offset:88
.LBB716_24:
	s_or_b32 exec_lo, exec_lo, s17
	v_bfrev_b32_e32 v83, 1
	v_or_b32_e32 v19, 12, v151
	v_mov_b32_e32 v82, 0
	v_mov_b32_e32 v97, v83
	v_cmp_lt_u32_e64 s17, v19, v8
	v_mov_b32_e32 v96, v82
	s_and_saveexec_b32 s18, s17
	s_cbranch_execz .LBB716_26
; %bb.25:
	flat_load_dwordx2 v[96:97], v[15:16] offset:96
.LBB716_26:
	s_or_b32 exec_lo, exec_lo, s18
	v_or_b32_e32 v19, 13, v151
	v_cmp_lt_u32_e64 s18, v19, v8
	s_and_saveexec_b32 s19, s18
	s_cbranch_execz .LBB716_28
; %bb.27:
	flat_load_dwordx2 v[82:83], v[15:16] offset:104
.LBB716_28:
	s_or_b32 exec_lo, exec_lo, s19
	v_bfrev_b32_e32 v24, 1
	v_or_b32_e32 v19, 14, v151
	v_mov_b32_e32 v23, 0
	v_mov_b32_e32 v103, v24
	v_cmp_lt_u32_e64 s19, v19, v8
	v_mov_b32_e32 v102, v23
	s_and_saveexec_b32 s20, s19
	s_cbranch_execz .LBB716_30
; %bb.29:
	flat_load_dwordx2 v[102:103], v[15:16] offset:112
.LBB716_30:
	s_or_b32 exec_lo, exec_lo, s20
	v_or_b32_e32 v19, 15, v151
	v_cmp_lt_u32_e64 s20, v19, v8
	s_and_saveexec_b32 s23, s20
	s_cbranch_execz .LBB716_32
; %bb.31:
	flat_load_dwordx2 v[23:24], v[15:16] offset:120
.LBB716_32:
	s_or_b32 exec_lo, exec_lo, s23
	v_lshlrev_b32_e32 v150, 3, v151
	v_add_co_u32 v4, s23, v4, v13
	v_add_co_ci_u32_e64 v5, null, v5, v14, s23
	v_add_co_u32 v114, s23, v4, v150
	v_add_co_ci_u32_e64 v115, null, 0, v5, s23
	; wave barrier
                                        ; implicit-def: $vgpr4_vgpr5
	s_and_saveexec_b32 s23, vcc_lo
	s_cbranch_execnz .LBB716_671
; %bb.33:
	s_or_b32 exec_lo, exec_lo, s23
	s_and_saveexec_b32 s23, s4
                                        ; implicit-def: $vgpr15_vgpr16
	s_cbranch_execnz .LBB716_672
.LBB716_34:
	s_or_b32 exec_lo, exec_lo, s23
                                        ; implicit-def: $vgpr19_vgpr20
	s_and_saveexec_b32 s23, s5
	s_cbranch_execnz .LBB716_673
.LBB716_35:
	s_or_b32 exec_lo, exec_lo, s23
	s_and_saveexec_b32 s23, s6
                                        ; implicit-def: $vgpr25_vgpr26
	s_cbranch_execnz .LBB716_674
.LBB716_36:
	s_or_b32 exec_lo, exec_lo, s23
                                        ; implicit-def: $vgpr29_vgpr30
	s_and_saveexec_b32 s23, s7
	s_cbranch_execnz .LBB716_675
.LBB716_37:
	s_or_b32 exec_lo, exec_lo, s23
	s_and_saveexec_b32 s23, s10
                                        ; implicit-def: $vgpr34_vgpr35
	s_cbranch_execnz .LBB716_676
.LBB716_38:
	s_or_b32 exec_lo, exec_lo, s23
                                        ; implicit-def: $vgpr38_vgpr39
	s_and_saveexec_b32 s23, s11
	s_cbranch_execnz .LBB716_677
.LBB716_39:
	s_or_b32 exec_lo, exec_lo, s23
	s_and_saveexec_b32 s23, s21
                                        ; implicit-def: $vgpr50_vgpr51
	s_cbranch_execnz .LBB716_678
.LBB716_40:
	s_or_b32 exec_lo, exec_lo, s23
                                        ; implicit-def: $vgpr54_vgpr55
	s_and_saveexec_b32 s23, s22
	s_cbranch_execnz .LBB716_679
.LBB716_41:
	s_or_b32 exec_lo, exec_lo, s23
	s_and_saveexec_b32 s23, s14
                                        ; implicit-def: $vgpr66_vgpr67
	s_cbranch_execnz .LBB716_680
.LBB716_42:
	s_or_b32 exec_lo, exec_lo, s23
                                        ; implicit-def: $vgpr68_vgpr69
	s_and_saveexec_b32 s23, s15
	s_cbranch_execnz .LBB716_681
.LBB716_43:
	s_or_b32 exec_lo, exec_lo, s23
	s_and_saveexec_b32 s23, s16
                                        ; implicit-def: $vgpr80_vgpr81
	s_cbranch_execnz .LBB716_682
.LBB716_44:
	s_or_b32 exec_lo, exec_lo, s23
                                        ; implicit-def: $vgpr84_vgpr85
	s_and_saveexec_b32 s23, s17
	s_cbranch_execnz .LBB716_683
.LBB716_45:
	s_or_b32 exec_lo, exec_lo, s23
	s_and_saveexec_b32 s23, s18
                                        ; implicit-def: $vgpr100_vgpr101
	s_cbranch_execnz .LBB716_684
.LBB716_46:
	s_or_b32 exec_lo, exec_lo, s23
                                        ; implicit-def: $vgpr98_vgpr99
	s_and_saveexec_b32 s23, s19
	s_cbranch_execnz .LBB716_685
.LBB716_47:
	s_or_b32 exec_lo, exec_lo, s23
	s_and_saveexec_b32 s23, s20
                                        ; implicit-def: $vgpr112_vgpr113
	s_cbranch_execz .LBB716_49
.LBB716_48:
	flat_load_dwordx2 v[112:113], v[114:115] offset:120
.LBB716_49:
	s_or_b32 exec_lo, exec_lo, s23
	v_cmp_ne_u32_e64 s23, 0, v12
	v_cmp_ne_u32_e64 s24, 64, v11
	v_bfe_u32 v114, v31, 10, 10
	v_bfe_u32 v115, v31, 20, 10
	v_and_b32_e32 v8, 0x3ff, v31
	s_or_b32 s23, s23, s24
	; wave barrier
	s_and_saveexec_b32 s24, s23
	s_xor_b32 s58, exec_lo, s24
	s_cbranch_execz .LBB716_343
; %bb.50:
	s_load_dwordx2 s[24:25], s[8:9], 0x0
	v_mov_b32_e32 v31, 0
	s_waitcnt lgkmcnt(0)
	s_cmp_lt_u32 s13, s25
	s_cselect_b32 s23, 14, 20
	s_add_u32 s26, s8, s23
	s_addc_u32 s27, s9, 0
	s_cmp_lt_u32 s12, s24
	global_load_ushort v116, v31, s[26:27]
	s_cselect_b32 s23, 12, 18
	s_add_u32 s24, s8, s23
	s_addc_u32 s25, s9, 0
	global_load_ushort v31, v31, s[24:25]
	s_mov_b32 s24, exec_lo
	s_waitcnt vmcnt(1)
	v_mad_u32_u24 v114, v115, v116, v114
	s_waitcnt vmcnt(0)
	v_mul_lo_u32 v31, v114, v31
	v_lshlrev_b64 v[114:115], v11, -1
	v_lshlrev_b64 v[11:12], v12, -1
	v_xor_b32_e32 v161, v115, v12
	v_add_lshl_u32 v162, v31, v8, 4
	v_xor_b32_e32 v160, v114, v11
	v_cmpx_gt_u32_e32 0x1000, v162
	s_cbranch_execz .LBB716_292
; %bb.51:
	v_and_b32_e32 v12, v10, v161
	v_and_b32_e32 v11, v9, v160
	;; [unrolled: 1-line block ×4, first 2 shown]
	v_cmp_gt_u64_e64 s23, v[11:12], v[114:115]
	v_mov_b32_e32 v12, v10
	v_mov_b32_e32 v115, v16
	;; [unrolled: 1-line block ×4, first 2 shown]
	s_and_saveexec_b32 s25, s23
	s_cbranch_execz .LBB716_53
; %bb.52:
	v_mov_b32_e32 v12, v1
	v_mov_b32_e32 v115, v5
	v_mov_b32_e32 v11, v0
	v_mov_b32_e32 v0, v9
	v_mov_b32_e32 v114, v4
	v_mov_b32_e32 v4, v15
	v_mov_b32_e32 v1, v10
	v_mov_b32_e32 v5, v16
.LBB716_53:
	s_or_b32 exec_lo, exec_lo, s25
	v_and_b32_e32 v9, v22, v161
	v_and_b32_e32 v8, v21, v160
	v_and_b32_e32 v16, v18, v161
	v_and_b32_e32 v15, v17, v160
	v_mov_b32_e32 v117, v26
	v_mov_b32_e32 v116, v25
	v_cmp_gt_u64_e64 s23, v[8:9], v[15:16]
	v_mov_b32_e32 v15, v21
	v_mov_b32_e32 v16, v22
	s_and_saveexec_b32 s25, s23
	s_cbranch_execz .LBB716_55
; %bb.54:
	v_mov_b32_e32 v15, v17
	v_mov_b32_e32 v117, v20
	v_mov_b32_e32 v16, v18
	v_mov_b32_e32 v17, v21
	v_mov_b32_e32 v116, v19
	v_mov_b32_e32 v19, v25
	v_mov_b32_e32 v18, v22
	v_mov_b32_e32 v20, v26
.LBB716_55:
	s_or_b32 exec_lo, exec_lo, s25
	v_and_b32_e32 v9, v33, v161
	v_and_b32_e32 v8, v32, v160
	v_and_b32_e32 v22, v28, v161
	v_and_b32_e32 v21, v27, v160
	v_mov_b32_e32 v119, v35
	v_mov_b32_e32 v118, v34
	v_cmp_gt_u64_e64 s23, v[8:9], v[21:22]
	v_mov_b32_e32 v21, v32
	v_mov_b32_e32 v22, v33
	s_and_saveexec_b32 s25, s23
	s_cbranch_execz .LBB716_57
; %bb.56:
	v_mov_b32_e32 v21, v27
	v_mov_b32_e32 v119, v30
	v_mov_b32_e32 v22, v28
	v_mov_b32_e32 v27, v32
	v_mov_b32_e32 v118, v29
	v_mov_b32_e32 v29, v34
	v_mov_b32_e32 v28, v33
	v_mov_b32_e32 v30, v35
.LBB716_57:
	s_or_b32 exec_lo, exec_lo, s25
	v_and_b32_e32 v9, v49, v161
	v_and_b32_e32 v8, v48, v160
	v_and_b32_e32 v26, v37, v161
	v_and_b32_e32 v25, v36, v160
	v_mov_b32_e32 v129, v51
	v_mov_b32_e32 v128, v50
	v_cmp_gt_u64_e64 s23, v[8:9], v[25:26]
	v_mov_b32_e32 v25, v48
	v_mov_b32_e32 v26, v49
	s_and_saveexec_b32 s25, s23
	s_cbranch_execz .LBB716_59
; %bb.58:
	v_mov_b32_e32 v25, v36
	v_mov_b32_e32 v129, v39
	v_mov_b32_e32 v26, v37
	v_mov_b32_e32 v36, v48
	v_mov_b32_e32 v128, v38
	v_mov_b32_e32 v38, v50
	v_mov_b32_e32 v37, v49
	v_mov_b32_e32 v39, v51
.LBB716_59:
	s_or_b32 exec_lo, exec_lo, s25
	v_and_b32_e32 v9, v65, v161
	v_and_b32_e32 v8, v64, v160
	v_and_b32_e32 v32, v53, v161
	v_and_b32_e32 v31, v52, v160
	v_mov_b32_e32 v131, v67
	v_mov_b32_e32 v130, v66
	v_cmp_gt_u64_e64 s23, v[8:9], v[31:32]
	v_mov_b32_e32 v31, v64
	v_mov_b32_e32 v32, v65
	s_and_saveexec_b32 s25, s23
	s_cbranch_execz .LBB716_61
; %bb.60:
	v_mov_b32_e32 v31, v52
	v_mov_b32_e32 v131, v55
	;; [unrolled: 1-line block ×8, first 2 shown]
.LBB716_61:
	s_or_b32 exec_lo, exec_lo, s25
	v_mov_b32_e32 v50, v86
	v_mov_b32_e32 v64, v80
	v_and_b32_e32 v9, v87, v161
	v_and_b32_e32 v8, v86, v160
	;; [unrolled: 1-line block ×4, first 2 shown]
	v_mov_b32_e32 v51, v87
	v_mov_b32_e32 v65, v81
	s_mov_b32 s25, exec_lo
	v_cmpx_gt_u64_e64 v[8:9], v[33:34]
	s_cbranch_execz .LBB716_63
; %bb.62:
	v_mov_b32_e32 v50, v70
	v_mov_b32_e32 v64, v68
	;; [unrolled: 1-line block ×8, first 2 shown]
.LBB716_63:
	s_or_b32 exec_lo, exec_lo, s25
	v_and_b32_e32 v9, v83, v161
	v_and_b32_e32 v8, v82, v160
	;; [unrolled: 1-line block ×4, first 2 shown]
	v_mov_b32_e32 v133, v97
	v_mov_b32_e32 v132, v96
	v_cmp_gt_u64_e64 s23, v[8:9], v[33:34]
	v_mov_b32_e32 v33, v100
	v_mov_b32_e32 v34, v101
	s_and_saveexec_b32 s25, s23
	s_cbranch_execz .LBB716_65
; %bb.64:
	v_mov_b32_e32 v33, v84
	v_mov_b32_e32 v133, v83
	;; [unrolled: 1-line block ×8, first 2 shown]
.LBB716_65:
	s_or_b32 exec_lo, exec_lo, s25
	v_and_b32_e32 v9, v24, v161
	v_and_b32_e32 v8, v23, v160
	;; [unrolled: 1-line block ×4, first 2 shown]
	v_mov_b32_e32 v66, v102
	v_mov_b32_e32 v67, v103
	v_cmp_gt_u64_e64 s23, v[8:9], v[48:49]
	v_mov_b32_e32 v8, v112
	v_mov_b32_e32 v9, v113
	s_and_saveexec_b32 s25, s23
	s_cbranch_execz .LBB716_67
; %bb.66:
	v_mov_b32_e32 v8, v98
	v_mov_b32_e32 v67, v24
	;; [unrolled: 1-line block ×8, first 2 shown]
.LBB716_67:
	s_or_b32 exec_lo, exec_lo, s25
	v_and_b32_e32 v49, v18, v161
	v_and_b32_e32 v48, v17, v160
	;; [unrolled: 1-line block ×4, first 2 shown]
	v_cmp_gt_u64_e64 s23, v[48:49], v[80:81]
	v_mov_b32_e32 v49, v18
	v_mov_b32_e32 v81, v20
	;; [unrolled: 1-line block ×4, first 2 shown]
	s_and_saveexec_b32 s25, s23
	s_xor_b32 s23, exec_lo, s25
	s_cbranch_execz .LBB716_69
; %bb.68:
	v_mov_b32_e32 v49, v12
	v_mov_b32_e32 v80, v114
	v_mov_b32_e32 v48, v11
	v_mov_b32_e32 v11, v17
	v_mov_b32_e32 v81, v115
	v_mov_b32_e32 v115, v20
	v_mov_b32_e32 v12, v18
	v_mov_b32_e32 v114, v19
.LBB716_69:
	s_or_b32 exec_lo, exec_lo, s23
	v_and_b32_e32 v18, v28, v161
	v_and_b32_e32 v17, v27, v160
	v_and_b32_e32 v20, v16, v161
	v_and_b32_e32 v19, v15, v160
	v_mov_b32_e32 v87, v30
	v_mov_b32_e32 v86, v29
	v_cmp_gt_u64_e64 s23, v[17:18], v[19:20]
	v_mov_b32_e32 v17, v27
	v_mov_b32_e32 v18, v28
	s_and_saveexec_b32 s25, s23
	s_cbranch_execz .LBB716_71
; %bb.70:
	v_mov_b32_e32 v18, v16
	v_mov_b32_e32 v86, v116
	v_mov_b32_e32 v17, v15
	v_mov_b32_e32 v15, v27
	v_mov_b32_e32 v87, v117
	v_mov_b32_e32 v117, v30
	v_mov_b32_e32 v16, v28
	v_mov_b32_e32 v116, v29
.LBB716_71:
	s_or_b32 exec_lo, exec_lo, s25
	v_and_b32_e32 v20, v37, v161
	v_and_b32_e32 v19, v36, v160
	v_and_b32_e32 v28, v22, v161
	v_and_b32_e32 v27, v21, v160
	v_mov_b32_e32 v97, v39
	v_mov_b32_e32 v96, v38
	v_cmp_gt_u64_e64 s23, v[19:20], v[27:28]
	v_mov_b32_e32 v19, v36
	v_mov_b32_e32 v20, v37
	s_and_saveexec_b32 s25, s23
	;; [unrolled: 22-line block ×4, first 2 shown]
	s_cbranch_execz .LBB716_77
; %bb.76:
	v_mov_b32_e32 v29, v31
	v_mov_b32_e32 v54, v130
	;; [unrolled: 1-line block ×8, first 2 shown]
.LBB716_77:
	s_or_b32 exec_lo, exec_lo, s25
	v_mov_b32_e32 v135, v51
	v_mov_b32_e32 v52, v84
	v_and_b32_e32 v36, v133, v161
	v_and_b32_e32 v35, v132, v160
	;; [unrolled: 1-line block ×4, first 2 shown]
	v_mov_b32_e32 v134, v50
	v_mov_b32_e32 v53, v85
	s_mov_b32 s25, exec_lo
	v_cmpx_gt_u64_e64 v[35:36], v[37:38]
	s_cbranch_execz .LBB716_79
; %bb.78:
	v_mov_b32_e32 v135, v133
	v_mov_b32_e32 v52, v64
	v_mov_b32_e32 v134, v132
	v_mov_b32_e32 v53, v65
	v_mov_b32_e32 v64, v84
	v_mov_b32_e32 v133, v51
	v_mov_b32_e32 v65, v85
	v_mov_b32_e32 v132, v50
.LBB716_79:
	s_or_b32 exec_lo, exec_lo, s25
	v_and_b32_e32 v36, v67, v161
	v_and_b32_e32 v35, v66, v160
	v_and_b32_e32 v38, v83, v161
	v_and_b32_e32 v37, v82, v160
	v_mov_b32_e32 v68, v82
	v_mov_b32_e32 v69, v83
	v_cmp_gt_u64_e64 s23, v[35:36], v[37:38]
	v_mov_b32_e32 v35, v98
	v_mov_b32_e32 v36, v99
	s_and_saveexec_b32 s25, s23
	s_cbranch_execz .LBB716_81
; %bb.80:
	v_mov_b32_e32 v36, v34
	v_mov_b32_e32 v69, v67
	v_mov_b32_e32 v35, v33
	v_mov_b32_e32 v33, v98
	v_mov_b32_e32 v68, v66
	v_mov_b32_e32 v66, v82
	v_mov_b32_e32 v34, v99
	v_mov_b32_e32 v67, v83
.LBB716_81:
	s_or_b32 exec_lo, exec_lo, s25
	v_and_b32_e32 v38, v12, v161
	v_and_b32_e32 v37, v11, v160
	v_and_b32_e32 v51, v1, v161
	v_and_b32_e32 v50, v0, v160
	v_mov_b32_e32 v70, v114
	v_mov_b32_e32 v71, v115
	v_cmp_gt_u64_e64 s23, v[37:38], v[50:51]
	v_mov_b32_e32 v38, v12
	v_mov_b32_e32 v37, v11
	s_and_saveexec_b32 s25, s23
	;; [unrolled: 22-line block ×6, first 2 shown]
	s_cbranch_execz .LBB716_91
; %bb.90:
	v_mov_b32_e32 v25, v27
	v_mov_b32_e32 v103, v101
	;; [unrolled: 1-line block ×8, first 2 shown]
.LBB716_91:
	s_or_b32 exec_lo, exec_lo, s25
	v_mov_b32_e32 v114, v134
	v_mov_b32_e32 v113, v65
	v_and_b32_e32 v11, v135, v161
	v_and_b32_e32 v10, v134, v160
	;; [unrolled: 1-line block ×4, first 2 shown]
	v_mov_b32_e32 v115, v135
	v_mov_b32_e32 v112, v64
	s_mov_b32 s25, exec_lo
	v_cmpx_gt_u64_e64 v[10:11], v[31:32]
	s_cbranch_execz .LBB716_93
; %bb.92:
	v_mov_b32_e32 v115, v30
	v_mov_b32_e32 v113, v55
	v_mov_b32_e32 v114, v29
	v_mov_b32_e32 v29, v134
	v_mov_b32_e32 v112, v54
	v_mov_b32_e32 v54, v64
	v_mov_b32_e32 v30, v135
	v_mov_b32_e32 v55, v65
.LBB716_93:
	s_or_b32 exec_lo, exec_lo, s25
	v_and_b32_e32 v11, v69, v161
	v_and_b32_e32 v10, v68, v160
	v_and_b32_e32 v32, v133, v161
	v_and_b32_e32 v31, v132, v160
	v_mov_b32_e32 v116, v132
	v_mov_b32_e32 v117, v133
	v_cmp_gt_u64_e64 s23, v[10:11], v[31:32]
	v_mov_b32_e32 v31, v33
	v_mov_b32_e32 v32, v34
	s_and_saveexec_b32 s25, s23
	s_cbranch_execz .LBB716_95
; %bb.94:
	v_mov_b32_e32 v31, v52
	v_mov_b32_e32 v117, v69
	v_mov_b32_e32 v32, v53
	v_mov_b32_e32 v53, v34
	v_mov_b32_e32 v116, v68
	v_mov_b32_e32 v68, v132
	v_mov_b32_e32 v52, v33
	v_mov_b32_e32 v69, v133
.LBB716_95:
	s_or_b32 exec_lo, exec_lo, s25
	v_and_b32_e32 v11, v24, v161
	v_and_b32_e32 v10, v23, v160
	v_and_b32_e32 v34, v67, v161
	v_and_b32_e32 v33, v66, v160
	v_mov_b32_e32 v64, v66
	v_mov_b32_e32 v65, v67
	v_cmp_gt_u64_e64 s23, v[10:11], v[33:34]
	v_mov_b32_e32 v11, v9
	v_mov_b32_e32 v10, v8
	s_and_saveexec_b32 s25, s23
	;; [unrolled: 22-line block ×14, first 2 shown]
	s_cbranch_execz .LBB716_121
; %bb.120:
	v_mov_b32_e32 v22, v20
	v_mov_b32_e32 v99, v97
	;; [unrolled: 1-line block ×8, first 2 shown]
.LBB716_121:
	s_or_b32 exec_lo, exec_lo, s25
	v_mov_b32_e32 v129, v9
	v_mov_b32_e32 v102, v112
	v_and_b32_e32 v26, v9, v161
	v_and_b32_e32 v25, v8, v160
	;; [unrolled: 1-line block ×4, first 2 shown]
	v_mov_b32_e32 v128, v8
	v_mov_b32_e32 v103, v113
	s_mov_b32 s25, exec_lo
	v_cmpx_gt_u64_e64 v[25:26], v[52:53]
	s_cbranch_execz .LBB716_123
; %bb.122:
	v_mov_b32_e32 v129, v28
	v_mov_b32_e32 v103, v101
	v_mov_b32_e32 v128, v27
	v_mov_b32_e32 v28, v9
	v_mov_b32_e32 v102, v100
	v_mov_b32_e32 v100, v112
	v_mov_b32_e32 v27, v8
	v_mov_b32_e32 v101, v113
.LBB716_123:
	s_or_b32 exec_lo, exec_lo, s25
	v_and_b32_e32 v9, v115, v161
	v_and_b32_e32 v8, v114, v160
	v_and_b32_e32 v26, v117, v161
	v_and_b32_e32 v25, v116, v160
	v_mov_b32_e32 v119, v117
	v_mov_b32_e32 v118, v116
	v_cmp_gt_u64_e64 s23, v[8:9], v[25:26]
	v_mov_b32_e32 v25, v31
	v_mov_b32_e32 v26, v32
	s_and_saveexec_b32 s25, s23
	s_cbranch_execz .LBB716_125
; %bb.124:
	v_mov_b32_e32 v25, v54
	v_mov_b32_e32 v119, v115
	v_mov_b32_e32 v26, v55
	v_mov_b32_e32 v55, v32
	v_mov_b32_e32 v118, v114
	v_mov_b32_e32 v114, v116
	v_mov_b32_e32 v54, v31
	v_mov_b32_e32 v115, v117
.LBB716_125:
	s_or_b32 exec_lo, exec_lo, s25
	v_and_b32_e32 v9, v24, v161
	v_and_b32_e32 v8, v23, v160
	v_and_b32_e32 v32, v65, v161
	v_and_b32_e32 v31, v64, v160
	v_mov_b32_e32 v113, v65
	v_mov_b32_e32 v112, v64
	v_cmp_gt_u64_e64 s23, v[8:9], v[31:32]
	v_mov_b32_e32 v8, v10
	v_mov_b32_e32 v9, v11
	s_and_saveexec_b32 s25, s23
	;; [unrolled: 22-line block ×14, first 2 shown]
	s_cbranch_execz .LBB716_151
; %bb.150:
	v_mov_b32_e32 v15, v17
	v_mov_b32_e32 v84, v86
	;; [unrolled: 1-line block ×8, first 2 shown]
.LBB716_151:
	s_or_b32 exec_lo, exec_lo, s25
	v_mov_b32_e32 v129, v11
	v_mov_b32_e32 v98, v102
	v_and_b32_e32 v22, v11, v161
	v_and_b32_e32 v21, v10, v160
	;; [unrolled: 1-line block ×4, first 2 shown]
	v_mov_b32_e32 v128, v10
	v_mov_b32_e32 v99, v103
	s_mov_b32 s25, exec_lo
	v_cmpx_gt_u64_e64 v[21:22], v[54:55]
	s_cbranch_execz .LBB716_153
; %bb.152:
	v_mov_b32_e32 v129, v20
	v_mov_b32_e32 v99, v97
	v_mov_b32_e32 v128, v19
	v_mov_b32_e32 v20, v11
	v_mov_b32_e32 v98, v96
	v_mov_b32_e32 v96, v102
	v_mov_b32_e32 v19, v10
	v_mov_b32_e32 v97, v103
.LBB716_153:
	s_or_b32 exec_lo, exec_lo, s25
	v_and_b32_e32 v11, v101, v161
	v_and_b32_e32 v10, v100, v160
	v_and_b32_e32 v22, v119, v161
	v_and_b32_e32 v21, v118, v160
	v_mov_b32_e32 v116, v118
	v_mov_b32_e32 v117, v119
	v_cmp_gt_u64_e64 s23, v[10:11], v[21:22]
	v_mov_b32_e32 v21, v25
	v_mov_b32_e32 v22, v26
	s_and_saveexec_b32 s25, s23
	s_cbranch_execz .LBB716_155
; %bb.154:
	v_mov_b32_e32 v21, v52
	v_mov_b32_e32 v117, v101
	v_mov_b32_e32 v22, v53
	v_mov_b32_e32 v53, v26
	v_mov_b32_e32 v116, v100
	v_mov_b32_e32 v100, v118
	v_mov_b32_e32 v52, v25
	v_mov_b32_e32 v101, v119
.LBB716_155:
	s_or_b32 exec_lo, exec_lo, s25
	v_and_b32_e32 v11, v24, v161
	v_and_b32_e32 v10, v23, v160
	v_and_b32_e32 v26, v113, v161
	v_and_b32_e32 v25, v112, v160
	v_mov_b32_e32 v102, v112
	v_mov_b32_e32 v103, v113
	v_cmp_gt_u64_e64 s23, v[10:11], v[25:26]
	v_mov_b32_e32 v11, v9
	v_mov_b32_e32 v10, v8
	s_and_saveexec_b32 s25, s23
	;; [unrolled: 22-line block ×14, first 2 shown]
	s_cbranch_execz .LBB716_181
; %bb.180:
	v_mov_b32_e32 v51, v49
	v_mov_b32_e32 v83, v81
	;; [unrolled: 1-line block ×8, first 2 shown]
.LBB716_181:
	s_or_b32 exec_lo, exec_lo, s25
	v_mov_b32_e32 v129, v9
	v_mov_b32_e32 v84, v98
	v_and_b32_e32 v16, v9, v161
	v_and_b32_e32 v15, v8, v160
	;; [unrolled: 1-line block ×4, first 2 shown]
	v_mov_b32_e32 v128, v8
	v_mov_b32_e32 v85, v99
	s_mov_b32 s25, exec_lo
	v_cmpx_gt_u64_e64 v[15:16], v[52:53]
	s_cbranch_execz .LBB716_183
; %bb.182:
	v_mov_b32_e32 v129, v18
	v_mov_b32_e32 v84, v86
	v_mov_b32_e32 v128, v17
	v_mov_b32_e32 v18, v9
	v_mov_b32_e32 v85, v87
	v_mov_b32_e32 v86, v98
	v_mov_b32_e32 v17, v8
	v_mov_b32_e32 v87, v99
.LBB716_183:
	s_or_b32 exec_lo, exec_lo, s25
	v_and_b32_e32 v9, v97, v161
	v_and_b32_e32 v8, v96, v160
	v_and_b32_e32 v16, v117, v161
	v_and_b32_e32 v15, v116, v160
	v_mov_b32_e32 v119, v117
	v_mov_b32_e32 v118, v116
	v_cmp_gt_u64_e64 s23, v[8:9], v[15:16]
	v_mov_b32_e32 v15, v21
	v_mov_b32_e32 v16, v22
	s_and_saveexec_b32 s25, s23
	s_cbranch_execz .LBB716_185
; %bb.184:
	v_mov_b32_e32 v15, v54
	v_mov_b32_e32 v119, v97
	v_mov_b32_e32 v16, v55
	v_mov_b32_e32 v55, v22
	v_mov_b32_e32 v118, v96
	v_mov_b32_e32 v96, v116
	v_mov_b32_e32 v54, v21
	v_mov_b32_e32 v97, v117
.LBB716_185:
	s_or_b32 exec_lo, exec_lo, s25
	v_and_b32_e32 v9, v24, v161
	v_and_b32_e32 v8, v23, v160
	v_and_b32_e32 v22, v103, v161
	v_and_b32_e32 v21, v102, v160
	v_mov_b32_e32 v98, v102
	v_mov_b32_e32 v99, v103
	v_cmp_gt_u64_e64 s23, v[8:9], v[21:22]
	v_mov_b32_e32 v8, v10
	v_mov_b32_e32 v9, v11
	s_and_saveexec_b32 s25, s23
	;; [unrolled: 22-line block ×8, first 2 shown]
	s_cbranch_execz .LBB716_199
; %bb.198:
	v_mov_b32_e32 v10, v118
	v_mov_b32_e32 v52, v84
	v_mov_b32_e32 v11, v119
	v_mov_b32_e32 v53, v85
	v_mov_b32_e32 v85, v55
	v_mov_b32_e32 v118, v128
	v_mov_b32_e32 v84, v54
	v_mov_b32_e32 v119, v129
.LBB716_199:
	s_or_b32 exec_lo, exec_lo, s25
	v_and_b32_e32 v18, v99, v161
	v_and_b32_e32 v17, v98, v160
	v_and_b32_e32 v55, v97, v161
	v_and_b32_e32 v54, v96, v160
	v_cmp_gt_u64_e64 s23, v[17:18], v[54:55]
	v_mov_b32_e32 v17, v19
	v_mov_b32_e32 v54, v96
	v_mov_b32_e32 v18, v20
	v_mov_b32_e32 v55, v97
	s_and_saveexec_b32 s25, s23
	s_cbranch_execz .LBB716_201
; %bb.200:
	v_mov_b32_e32 v18, v16
	v_mov_b32_e32 v54, v98
	v_mov_b32_e32 v17, v15
	v_mov_b32_e32 v15, v19
	v_mov_b32_e32 v55, v99
	v_mov_b32_e32 v99, v97
	v_mov_b32_e32 v16, v20
	v_mov_b32_e32 v98, v96
.LBB716_201:
	s_or_b32 exec_lo, exec_lo, s25
	v_and_b32_e32 v20, v28, v161
	v_and_b32_e32 v19, v27, v160
	v_and_b32_e32 v87, v1, v161
	v_and_b32_e32 v86, v0, v160
	v_cmp_gt_u64_e64 s23, v[19:20], v[86:87]
	v_mov_b32_e32 v19, v27
	v_mov_b32_e32 v86, v100
	v_mov_b32_e32 v20, v28
	v_mov_b32_e32 v87, v101
	s_and_saveexec_b32 s25, s23
	;; [unrolled: 22-line block ×6, first 2 shown]
	s_cbranch_execz .LBB716_211
; %bb.210:
	v_mov_b32_e32 v38, v34
	v_mov_b32_e32 v71, v67
	v_mov_b32_e32 v37, v33
	v_mov_b32_e32 v33, v50
	v_mov_b32_e32 v70, v66
	v_mov_b32_e32 v66, v82
	v_mov_b32_e32 v34, v51
	v_mov_b32_e32 v67, v83
.LBB716_211:
	s_or_b32 exec_lo, exec_lo, s25
	v_and_b32_e32 v51, v11, v161
	v_and_b32_e32 v50, v10, v160
	v_and_b32_e32 v83, v49, v161
	v_and_b32_e32 v82, v48, v160
	v_mov_b32_e32 v117, v11
	v_mov_b32_e32 v116, v10
	v_cmp_gt_u64_e64 s23, v[50:51], v[82:83]
	v_mov_b32_e32 v82, v84
	v_mov_b32_e32 v83, v85
	s_and_saveexec_b32 s25, s23
	s_cbranch_execz .LBB716_213
; %bb.212:
	v_mov_b32_e32 v117, v49
	v_mov_b32_e32 v83, v81
	v_mov_b32_e32 v116, v48
	v_mov_b32_e32 v49, v11
	v_mov_b32_e32 v82, v80
	v_mov_b32_e32 v80, v84
	v_mov_b32_e32 v48, v10
	v_mov_b32_e32 v81, v85
.LBB716_213:
	s_or_b32 exec_lo, exec_lo, s25
	v_and_b32_e32 v11, v55, v161
	v_and_b32_e32 v10, v54, v160
	v_and_b32_e32 v51, v119, v161
	v_and_b32_e32 v50, v118, v160
	v_mov_b32_e32 v131, v119
	v_mov_b32_e32 v130, v118
	v_cmp_gt_u64_e64 s23, v[10:11], v[50:51]
	v_mov_b32_e32 v51, v16
	v_mov_b32_e32 v50, v15
	s_and_saveexec_b32 s25, s23
	;; [unrolled: 22-line block ×8, first 2 shown]
	s_cbranch_execz .LBB716_227
; %bb.226:
	v_mov_b32_e32 v31, v37
	v_mov_b32_e32 v66, v70
	;; [unrolled: 1-line block ×8, first 2 shown]
.LBB716_227:
	s_or_b32 exec_lo, exec_lo, s25
	v_mov_b32_e32 v133, v117
	v_mov_b32_e32 v65, v53
	v_and_b32_e32 v34, v131, v161
	v_and_b32_e32 v33, v130, v160
	;; [unrolled: 1-line block ×4, first 2 shown]
	v_mov_b32_e32 v132, v116
	v_mov_b32_e32 v64, v52
	s_mov_b32 s25, exec_lo
	v_cmpx_gt_u64_e64 v[33:34], v[48:49]
	s_cbranch_execz .LBB716_229
; %bb.228:
	v_mov_b32_e32 v133, v131
	v_mov_b32_e32 v64, v82
	v_mov_b32_e32 v132, v130
	v_mov_b32_e32 v65, v83
	v_mov_b32_e32 v83, v53
	v_mov_b32_e32 v131, v117
	v_mov_b32_e32 v82, v52
	v_mov_b32_e32 v130, v116
.LBB716_229:
	s_or_b32 exec_lo, exec_lo, s25
	v_and_b32_e32 v34, v85, v161
	v_and_b32_e32 v33, v84, v160
	v_and_b32_e32 v49, v55, v161
	v_and_b32_e32 v48, v54, v160
	v_mov_b32_e32 v81, v55
	v_mov_b32_e32 v80, v54
	v_cmp_gt_u64_e64 s23, v[33:34], v[48:49]
	v_mov_b32_e32 v34, v18
	v_mov_b32_e32 v33, v17
	s_and_saveexec_b32 s25, s23
	s_cbranch_execz .LBB716_231
; %bb.230:
	v_mov_b32_e32 v33, v50
	v_mov_b32_e32 v80, v84
	v_mov_b32_e32 v34, v51
	v_mov_b32_e32 v51, v18
	v_mov_b32_e32 v81, v85
	v_mov_b32_e32 v85, v55
	v_mov_b32_e32 v50, v17
	v_mov_b32_e32 v84, v54
.LBB716_231:
	s_or_b32 exec_lo, exec_lo, s25
	v_and_b32_e32 v18, v20, v161
	v_and_b32_e32 v17, v19, v160
	v_and_b32_e32 v49, v1, v161
	v_and_b32_e32 v48, v0, v160
	v_mov_b32_e32 v117, v87
	v_mov_b32_e32 v116, v86
	v_cmp_gt_u64_e64 s23, v[17:18], v[48:49]
	v_mov_b32_e32 v49, v20
	v_mov_b32_e32 v48, v19
	s_and_saveexec_b32 s25, s23
	;; [unrolled: 22-line block ×5, first 2 shown]
	s_cbranch_execz .LBB716_239
; %bb.238:
	v_mov_b32_e32 v30, v22
	v_mov_b32_e32 v119, v113
	;; [unrolled: 1-line block ×8, first 2 shown]
.LBB716_239:
	s_or_b32 exec_lo, exec_lo, s25
	v_mov_b32_e32 v53, v38
	v_mov_b32_e32 v129, v71
	v_and_b32_e32 v18, v38, v161
	v_and_b32_e32 v17, v37, v160
	;; [unrolled: 1-line block ×4, first 2 shown]
	v_mov_b32_e32 v52, v37
	v_mov_b32_e32 v128, v70
	s_mov_b32 s25, exec_lo
	v_cmpx_gt_u64_e64 v[17:18], v[35:36]
	s_cbranch_execz .LBB716_241
; %bb.240:
	v_mov_b32_e32 v53, v26
	v_mov_b32_e32 v129, v115
	;; [unrolled: 1-line block ×8, first 2 shown]
.LBB716_241:
	s_or_b32 exec_lo, exec_lo, s25
	v_mov_b32_e32 v149, v133
	v_mov_b32_e32 v70, v82
	v_and_b32_e32 v18, v133, v161
	v_and_b32_e32 v17, v132, v160
	;; [unrolled: 1-line block ×4, first 2 shown]
	v_mov_b32_e32 v148, v132
	v_mov_b32_e32 v71, v83
	s_mov_b32 s25, exec_lo
	v_cmpx_gt_u64_e64 v[17:18], v[35:36]
	s_cbranch_execz .LBB716_243
; %bb.242:
	v_mov_b32_e32 v149, v32
	v_mov_b32_e32 v71, v67
	v_mov_b32_e32 v148, v31
	v_mov_b32_e32 v31, v132
	v_mov_b32_e32 v70, v66
	v_mov_b32_e32 v66, v82
	v_mov_b32_e32 v32, v133
	v_mov_b32_e32 v67, v83
.LBB716_243:
	s_or_b32 exec_lo, exec_lo, s25
	v_and_b32_e32 v18, v81, v161
	v_and_b32_e32 v17, v80, v160
	v_and_b32_e32 v36, v131, v161
	v_and_b32_e32 v35, v130, v160
	v_mov_b32_e32 v147, v131
	v_mov_b32_e32 v146, v130
	v_cmp_gt_u64_e64 s23, v[17:18], v[35:36]
	v_mov_b32_e32 v36, v50
	v_mov_b32_e32 v37, v51
	s_and_saveexec_b32 s25, s23
	s_cbranch_execz .LBB716_245
; %bb.244:
	v_mov_b32_e32 v36, v64
	v_mov_b32_e32 v147, v81
	v_mov_b32_e32 v37, v65
	v_mov_b32_e32 v65, v51
	v_mov_b32_e32 v146, v80
	v_mov_b32_e32 v80, v130
	v_mov_b32_e32 v64, v50
	v_mov_b32_e32 v81, v131
.LBB716_245:
	s_or_b32 exec_lo, exec_lo, s25
	v_and_b32_e32 v18, v24, v161
	v_and_b32_e32 v17, v23, v160
	v_and_b32_e32 v39, v85, v161
	v_and_b32_e32 v38, v84, v160
	v_mov_b32_e32 v131, v85
	v_mov_b32_e32 v130, v84
	v_cmp_gt_u64_e64 s23, v[17:18], v[38:39]
	v_mov_b32_e32 v18, v11
	v_mov_b32_e32 v17, v10
	s_and_saveexec_b32 s25, s23
	;; [unrolled: 22-line block ×4, first 2 shown]
	s_cbranch_execz .LBB716_251
; %bb.250:
	v_mov_b32_e32 v39, v20
	v_mov_b32_e32 v135, v87
	v_mov_b32_e32 v38, v19
	v_mov_b32_e32 v20, v16
	v_mov_b32_e32 v134, v86
	v_mov_b32_e32 v86, v102
	v_mov_b32_e32 v19, v15
	v_mov_b32_e32 v87, v103
.LBB716_251:
	s_or_b32 exec_lo, exec_lo, s25
	v_mov_b32_e32 v55, v22
	v_mov_b32_e32 v102, v112
	v_and_b32_e32 v9, v22, v161
	v_and_b32_e32 v8, v21, v160
	v_and_b32_e32 v16, v28, v161
	v_and_b32_e32 v15, v27, v160
	v_mov_b32_e32 v54, v21
	v_mov_b32_e32 v103, v113
	s_mov_b32 s25, exec_lo
	v_cmpx_gt_u64_e64 v[8:9], v[15:16]
	s_cbranch_execz .LBB716_253
; %bb.252:
	v_mov_b32_e32 v55, v28
	v_mov_b32_e32 v103, v97
	v_mov_b32_e32 v54, v27
	v_mov_b32_e32 v28, v22
	v_mov_b32_e32 v102, v96
	v_mov_b32_e32 v96, v112
	v_mov_b32_e32 v27, v21
	v_mov_b32_e32 v97, v113
.LBB716_253:
	s_or_b32 exec_lo, exec_lo, s25
	v_mov_b32_e32 v69, v26
	v_mov_b32_e32 v145, v115
	v_and_b32_e32 v9, v26, v161
	v_and_b32_e32 v8, v25, v160
	v_and_b32_e32 v16, v30, v161
	v_and_b32_e32 v15, v29, v160
	v_mov_b32_e32 v68, v25
	v_mov_b32_e32 v144, v114
	s_mov_b32 s25, exec_lo
	v_cmpx_gt_u64_e64 v[8:9], v[15:16]
	;; [unrolled: 22-line block ×5, first 2 shown]
	s_cbranch_execz .LBB716_261
; %bb.260:
	v_mov_b32_e32 v99, v37
	v_mov_b32_e32 v82, v130
	;; [unrolled: 1-line block ×8, first 2 shown]
.LBB716_261:
	s_or_b32 exec_lo, exec_lo, s25
	v_and_b32_e32 v9, v49, v161
	v_and_b32_e32 v8, v48, v160
	;; [unrolled: 1-line block ×4, first 2 shown]
	v_cmp_gt_u64_e64 s23, v[8:9], v[15:16]
	v_mov_b32_e32 v9, v48
	v_mov_b32_e32 v15, v116
	;; [unrolled: 1-line block ×4, first 2 shown]
	s_and_saveexec_b32 s25, s23
	s_cbranch_execz .LBB716_263
; %bb.262:
	v_mov_b32_e32 v10, v1
	v_mov_b32_e32 v16, v5
	;; [unrolled: 1-line block ×8, first 2 shown]
.LBB716_263:
	s_or_b32 exec_lo, exec_lo, s25
	v_and_b32_e32 v22, v20, v161
	v_and_b32_e32 v21, v19, v160
	;; [unrolled: 1-line block ×4, first 2 shown]
	v_cmp_gt_u64_e64 s23, v[21:22], v[25:26]
	v_mov_b32_e32 v22, v20
	v_mov_b32_e32 v25, v86
	v_mov_b32_e32 v21, v19
	v_mov_b32_e32 v26, v87
	s_and_saveexec_b32 s25, s23
	s_cbranch_execz .LBB716_265
; %bb.264:
	v_mov_b32_e32 v22, v12
	v_mov_b32_e32 v25, v132
	;; [unrolled: 1-line block ×8, first 2 shown]
.LBB716_265:
	s_or_b32 exec_lo, exec_lo, s25
	v_and_b32_e32 v20, v28, v161
	v_and_b32_e32 v19, v27, v160
	;; [unrolled: 1-line block ×4, first 2 shown]
	v_mov_b32_e32 v34, v96
	v_mov_b32_e32 v35, v97
	v_cmp_gt_u64_e64 s23, v[19:20], v[31:32]
	v_mov_b32_e32 v33, v28
	v_mov_b32_e32 v32, v27
	s_and_saveexec_b32 s25, s23
	s_cbranch_execz .LBB716_267
; %bb.266:
	v_mov_b32_e32 v32, v38
	v_mov_b32_e32 v34, v134
	v_mov_b32_e32 v33, v39
	v_mov_b32_e32 v39, v28
	v_mov_b32_e32 v35, v135
	v_mov_b32_e32 v135, v97
	v_mov_b32_e32 v38, v27
	v_mov_b32_e32 v134, v96
.LBB716_267:
	s_or_b32 exec_lo, exec_lo, s25
	v_mov_b32_e32 v49, v30
	v_mov_b32_e32 v50, v118
	v_and_b32_e32 v20, v30, v161
	v_and_b32_e32 v19, v29, v160
	v_and_b32_e32 v28, v55, v161
	v_and_b32_e32 v27, v54, v160
	v_mov_b32_e32 v48, v29
	v_mov_b32_e32 v51, v119
	s_mov_b32 s25, exec_lo
	v_cmpx_gt_u64_e64 v[19:20], v[27:28]
	s_cbranch_execz .LBB716_269
; %bb.268:
	v_mov_b32_e32 v48, v54
	v_mov_b32_e32 v50, v102
	v_mov_b32_e32 v49, v55
	v_mov_b32_e32 v55, v30
	v_mov_b32_e32 v51, v103
	v_mov_b32_e32 v102, v118
	v_mov_b32_e32 v54, v29
	v_mov_b32_e32 v103, v119
.LBB716_269:
	s_or_b32 exec_lo, exec_lo, s25
	v_mov_b32_e32 v65, v53
	v_mov_b32_e32 v66, v128
	v_and_b32_e32 v20, v53, v161
	v_and_b32_e32 v19, v52, v160
	v_and_b32_e32 v28, v69, v161
	v_and_b32_e32 v27, v68, v160
	v_mov_b32_e32 v64, v52
	v_mov_b32_e32 v67, v129
	s_mov_b32 s25, exec_lo
	v_cmpx_gt_u64_e64 v[19:20], v[27:28]
	;; [unrolled: 22-line block ×5, first 2 shown]
	s_cbranch_execz .LBB716_277
; %bb.276:
	v_mov_b32_e32 v113, v99
	v_mov_b32_e32 v129, v24
	;; [unrolled: 1-line block ×8, first 2 shown]
.LBB716_277:
	s_or_b32 exec_lo, exec_lo, s25
	v_and_b32_e32 v18, v12, v161
	v_and_b32_e32 v17, v11, v160
	;; [unrolled: 1-line block ×4, first 2 shown]
	v_cmp_gt_u64_e64 s23, v[17:18], v[19:20]
	v_mov_b32_e32 v18, v12
	v_mov_b32_e32 v19, v132
	;; [unrolled: 1-line block ×4, first 2 shown]
	s_and_saveexec_b32 s25, s23
	s_cbranch_execz .LBB716_279
; %bb.278:
	v_mov_b32_e32 v18, v10
	v_mov_b32_e32 v20, v16
	v_mov_b32_e32 v17, v9
	v_mov_b32_e32 v9, v11
	v_mov_b32_e32 v19, v15
	v_mov_b32_e32 v15, v132
	v_mov_b32_e32 v10, v12
	v_mov_b32_e32 v16, v133
.LBB716_279:
	s_or_b32 exec_lo, exec_lo, s25
	v_and_b32_e32 v12, v39, v161
	v_and_b32_e32 v11, v38, v160
	v_and_b32_e32 v28, v22, v161
	v_and_b32_e32 v27, v21, v160
	v_mov_b32_e32 v29, v134
	v_mov_b32_e32 v30, v135
	v_cmp_gt_u64_e64 s23, v[11:12], v[27:28]
	v_mov_b32_e32 v27, v38
	v_mov_b32_e32 v28, v39
	s_and_saveexec_b32 s25, s23
	s_cbranch_execz .LBB716_281
; %bb.280:
	v_mov_b32_e32 v28, v22
	v_mov_b32_e32 v30, v26
	v_mov_b32_e32 v27, v21
	v_mov_b32_e32 v21, v38
	v_mov_b32_e32 v29, v25
	v_mov_b32_e32 v25, v134
	v_mov_b32_e32 v22, v39
	v_mov_b32_e32 v26, v135
.LBB716_281:
	s_or_b32 exec_lo, exec_lo, s25
	v_and_b32_e32 v12, v55, v161
	v_and_b32_e32 v11, v54, v160
	v_and_b32_e32 v37, v33, v161
	v_and_b32_e32 v36, v32, v160
	v_mov_b32_e32 v38, v102
	v_mov_b32_e32 v39, v103
	v_cmp_gt_u64_e64 s23, v[11:12], v[36:37]
	v_mov_b32_e32 v36, v54
	v_mov_b32_e32 v37, v55
	;; [unrolled: 22-line block ×6, first 2 shown]
	s_and_saveexec_b32 s25, s23
	s_cbranch_execz .LBB716_291
; %bb.290:
	v_mov_b32_e32 v103, v83
	v_mov_b32_e32 v101, v99
	v_mov_b32_e32 v102, v82
	v_mov_b32_e32 v82, v128
	v_mov_b32_e32 v100, v98
	v_mov_b32_e32 v98, v118
	v_mov_b32_e32 v83, v129
	v_mov_b32_e32 v99, v119
.LBB716_291:
	s_or_b32 exec_lo, exec_lo, s25
.LBB716_292:
	s_or_b32 exec_lo, exec_lo, s24
	v_and_b32_e32 v8, 0xfffffe00, v162
	v_or_b32_e32 v11, 16, v151
	s_mov_b32 s24, exec_lo
	v_sub_nc_u32_e64 v114, 0x1000, v8 clamp
	v_lshlrev_b32_e32 v12, 3, v8
	v_min_u32_e32 v131, v114, v11
	v_and_b32_e32 v11, 16, v151
	v_lshl_or_b32 v31, v151, 3, v12
	v_add_nc_u32_e32 v8, 16, v131
	v_min_u32_e32 v134, v114, v11
	v_add_nc_u32_e32 v119, 0x8000, v31
	v_add_nc_u32_e32 v117, 0x8010, v31
	;; [unrolled: 1-line block ×3, first 2 shown]
	v_min_u32_e32 v132, v114, v8
	v_and_b32_e32 v8, 0x1e0, v151
	v_add_nc_u32_e32 v115, 0x8030, v31
	v_add_nc_u32_e32 v116, 0x8040, v31
	;; [unrolled: 1-line block ×3, first 2 shown]
	v_sub_nc_u32_e32 v11, v132, v131
	v_sub_nc_u32_e32 v130, v131, v8
	v_add_nc_u32_e32 v129, 0x8060, v31
	v_lshl_or_b32 v133, v8, 3, v12
	ds_write2_b64 v31, v[0:1], v[9:10] offset1:1
	v_sub_nc_u32_e64 v11, v134, v11 clamp
	v_min_u32_e32 v135, v134, v130
	v_add_nc_u32_e32 v130, 0x8070, v31
	ds_write2_b64 v31, v[17:18], v[21:22] offset0:2 offset1:3
	ds_write2_b64 v31, v[27:28], v[32:33] offset0:4 offset1:5
	;; [unrolled: 1-line block ×4, first 2 shown]
	ds_write2_b64 v119, v[4:5], v[15:16] offset1:1
	ds_write2_b64 v117, v[19:20], v[25:26] offset1:1
	;; [unrolled: 1-line block ×5, first 2 shown]
	ds_write2_b64 v31, v[70:71], v[86:87] offset0:10 offset1:11
	ds_write2_b64 v128, v[68:69], v[80:81] offset1:1
	ds_write2_b64 v31, v[96:97], v[82:83] offset0:12 offset1:13
	ds_write2_b64 v129, v[84:85], v[100:101] offset1:1
	;; [unrolled: 2-line block ×3, first 2 shown]
	; wave barrier
	v_cmpx_lt_u32_e64 v11, v135
	s_cbranch_execz .LBB716_296
; %bb.293:
	v_lshlrev_b32_e32 v144, 3, v131
	v_lshlrev_b32_e32 v145, 3, v134
	s_mov_b32 s25, 0
	v_add3_u32 v144, v12, v144, v145
	.p2align	6
.LBB716_294:                            ; =>This Inner Loop Header: Depth=1
	v_add_nc_u32_e32 v145, v135, v11
	v_lshrrev_b32_e32 v149, 1, v145
	v_not_b32_e32 v145, v149
	v_lshl_add_u32 v146, v149, 3, v133
	v_lshl_add_u32 v147, v145, 3, v144
	ds_read_b64 v[145:146], v146
	ds_read_b64 v[147:148], v147
	s_waitcnt lgkmcnt(1)
	v_and_b32_e32 v146, v146, v161
	v_and_b32_e32 v145, v145, v160
	s_waitcnt lgkmcnt(0)
	v_and_b32_e32 v148, v148, v161
	v_and_b32_e32 v147, v147, v160
	v_cmp_gt_u64_e64 s23, v[147:148], v[145:146]
	v_add_nc_u32_e32 v145, 1, v149
	v_cndmask_b32_e64 v135, v135, v149, s23
	v_cndmask_b32_e64 v11, v145, v11, s23
	v_cmp_ge_u32_e64 s23, v11, v135
	s_or_b32 s25, s23, s25
	s_andn2_b32 exec_lo, exec_lo, s25
	s_cbranch_execnz .LBB716_294
; %bb.295:
	s_or_b32 exec_lo, exec_lo, s25
.LBB716_296:
	s_or_b32 exec_lo, exec_lo, s24
	v_add_nc_u32_e32 v135, v131, v134
	v_add_nc_u32_e32 v134, v11, v8
	v_sub_nc_u32_e32 v135, v135, v11
	v_cmp_le_u32_e64 s23, v134, v131
	v_cmp_le_u32_e64 s24, v135, v132
	s_or_b32 s23, s23, s24
	s_and_saveexec_b32 s26, s23
	s_cbranch_execz .LBB716_302
; %bb.297:
	v_cmp_lt_u32_e64 s23, v134, v131
                                        ; implicit-def: $vgpr8_vgpr9
	s_and_saveexec_b32 s24, s23
; %bb.298:
	v_lshl_add_u32 v0, v11, 3, v133
	ds_read_b64 v[8:9], v0
; %bb.299:
	s_or_b32 exec_lo, exec_lo, s24
	v_cmp_ge_u32_e64 s24, v135, v132
	s_mov_b32 s27, exec_lo
                                        ; implicit-def: $vgpr10_vgpr11
	v_cmpx_lt_u32_e64 v135, v132
; %bb.300:
	v_lshl_add_u32 v0, v135, 3, v12
	ds_read_b64 v[10:11], v0
; %bb.301:
	s_or_b32 exec_lo, exec_lo, s27
	s_waitcnt lgkmcnt(0)
	v_and_b32_e32 v1, v11, v161
	v_and_b32_e32 v0, v10, v160
	;; [unrolled: 1-line block ×4, first 2 shown]
	v_cmp_le_u64_e64 s25, v[0:1], v[4:5]
	s_and_b32 s23, s23, s25
	s_or_b32 s23, s24, s23
	v_cndmask_b32_e64 v15, v135, v134, s23
	v_cndmask_b32_e64 v16, v132, v131, s23
	;; [unrolled: 1-line block ×4, first 2 shown]
	v_lshl_add_u32 v4, v15, 3, v12
	v_add_nc_u32_e32 v17, 1, v15
	v_add_nc_u32_e32 v15, -1, v16
	ds_read_b64 v[4:5], v4 offset:32768
	v_cndmask_b32_e64 v24, v134, v17, s23
	v_min_u32_e32 v15, v17, v15
	v_cndmask_b32_e64 v23, v17, v135, s23
	v_cmp_lt_u32_e64 s24, v24, v131
	v_lshl_add_u32 v15, v15, 3, v12
	ds_read_b64 v[15:16], v15
	s_waitcnt lgkmcnt(0)
	v_cndmask_b32_e64 v19, v16, v11, s23
	v_cndmask_b32_e64 v20, v15, v10, s23
	;; [unrolled: 1-line block ×4, first 2 shown]
	v_cmp_ge_u32_e64 s23, v23, v132
	v_and_b32_e32 v9, v19, v161
	v_and_b32_e32 v8, v20, v160
	;; [unrolled: 1-line block ×4, first 2 shown]
	v_cmp_le_u64_e64 s25, v[8:9], v[10:11]
	s_and_b32 s24, s24, s25
	s_or_b32 s23, s23, s24
	v_cndmask_b32_e64 v8, v23, v24, s23
	v_cndmask_b32_e64 v11, v132, v131, s23
	;; [unrolled: 1-line block ×4, first 2 shown]
	v_lshl_add_u32 v15, v8, 3, v12
	v_add_nc_u32_e32 v8, 1, v8
	v_add_nc_u32_e32 v11, -1, v11
	ds_read_b64 v[15:16], v15 offset:32768
	v_cndmask_b32_e64 v23, v8, v23, s23
	v_min_u32_e32 v11, v8, v11
	v_cndmask_b32_e64 v8, v24, v8, s23
	v_lshl_add_u32 v11, v11, 3, v12
	v_cmp_lt_u32_e64 s24, v8, v131
	ds_read_b64 v[17:18], v11
	s_waitcnt lgkmcnt(0)
	v_cndmask_b32_e64 v11, v18, v19, s23
	v_cndmask_b32_e64 v25, v17, v20, s23
	;; [unrolled: 1-line block ×4, first 2 shown]
	v_cmp_ge_u32_e64 s23, v23, v132
	v_and_b32_e32 v18, v11, v161
	v_and_b32_e32 v17, v25, v160
	;; [unrolled: 1-line block ×4, first 2 shown]
	v_cmp_le_u64_e64 s25, v[17:18], v[19:20]
	s_and_b32 s24, s24, s25
	s_or_b32 s23, s23, s24
	v_cndmask_b32_e64 v21, v23, v8, s23
	v_cndmask_b32_e64 v22, v132, v131, s23
	;; [unrolled: 1-line block ×4, first 2 shown]
	v_lshl_add_u32 v19, v21, 3, v12
	v_add_nc_u32_e32 v24, 1, v21
	v_add_nc_u32_e32 v21, -1, v22
	ds_read_b64 v[19:20], v19 offset:32768
	v_cndmask_b32_e64 v30, v24, v23, s23
	v_min_u32_e32 v21, v24, v21
	v_cndmask_b32_e64 v8, v8, v24, s23
	v_lshl_add_u32 v21, v21, 3, v12
	v_cmp_lt_u32_e64 s24, v8, v131
	ds_read_b64 v[21:22], v21
	s_waitcnt lgkmcnt(0)
	v_cndmask_b32_e64 v11, v22, v11, s23
	v_cndmask_b32_e64 v28, v21, v25, s23
	;; [unrolled: 1-line block ×4, first 2 shown]
	v_cmp_ge_u32_e64 s23, v30, v132
	v_and_b32_e32 v22, v11, v161
	v_and_b32_e32 v21, v28, v160
	v_and_b32_e32 v24, v29, v161
	v_and_b32_e32 v23, v27, v160
	v_cmp_le_u64_e64 s25, v[21:22], v[23:24]
	s_and_b32 s24, s24, s25
	s_or_b32 s23, s23, s24
	v_cndmask_b32_e64 v23, v30, v8, s23
	v_cndmask_b32_e64 v24, v132, v131, s23
	v_cndmask_b32_e64 v22, v11, v29, s23
	v_cndmask_b32_e64 v21, v28, v27, s23
	v_lshl_add_u32 v25, v23, 3, v12
	v_add_nc_u32_e32 v32, 1, v23
	v_add_nc_u32_e32 v23, -1, v24
	ds_read_b64 v[25:26], v25 offset:32768
	v_cndmask_b32_e64 v8, v8, v32, s23
	v_min_u32_e32 v23, v32, v23
	v_cndmask_b32_e64 v36, v32, v30, s23
	v_cmp_lt_u32_e64 s24, v8, v131
	v_lshl_add_u32 v23, v23, 3, v12
	ds_read_b64 v[23:24], v23
	s_waitcnt lgkmcnt(0)
	v_cndmask_b32_e64 v11, v24, v11, s23
	v_cndmask_b32_e64 v33, v23, v28, s23
	v_cndmask_b32_e64 v34, v29, v24, s23
	v_cndmask_b32_e64 v35, v27, v23, s23
	v_cmp_ge_u32_e64 s23, v36, v132
	v_and_b32_e32 v24, v11, v161
	v_and_b32_e32 v23, v33, v160
	v_and_b32_e32 v28, v34, v161
	v_and_b32_e32 v27, v35, v160
	v_cmp_le_u64_e64 s25, v[23:24], v[27:28]
	s_and_b32 s24, s24, s25
	s_or_b32 s23, s23, s24
	v_cndmask_b32_e64 v23, v36, v8, s23
	v_cndmask_b32_e64 v24, v132, v131, s23
	v_cndmask_b32_e64 v28, v11, v34, s23
	v_cndmask_b32_e64 v27, v33, v35, s23
	v_lshl_add_u32 v29, v23, 3, v12
	v_add_nc_u32_e32 v32, 1, v23
	v_add_nc_u32_e32 v23, -1, v24
	ds_read_b64 v[29:30], v29 offset:32768
	v_cndmask_b32_e64 v36, v32, v36, s23
	v_min_u32_e32 v23, v32, v23
	v_cndmask_b32_e64 v8, v8, v32, s23
	v_lshl_add_u32 v23, v23, 3, v12
	v_cmp_lt_u32_e64 s24, v8, v131
	ds_read_b64 v[23:24], v23
	s_waitcnt lgkmcnt(0)
	v_cndmask_b32_e64 v11, v24, v11, s23
	v_cndmask_b32_e64 v37, v23, v33, s23
	v_cndmask_b32_e64 v38, v34, v24, s23
	v_cndmask_b32_e64 v39, v35, v23, s23
	v_cmp_ge_u32_e64 s23, v36, v132
	v_and_b32_e32 v24, v11, v161
	v_and_b32_e32 v23, v37, v160
	v_and_b32_e32 v33, v38, v161
	v_and_b32_e32 v32, v39, v160
	v_cmp_le_u64_e64 s25, v[23:24], v[32:33]
	s_and_b32 s24, s24, s25
	s_or_b32 s23, s23, s24
	v_cndmask_b32_e64 v23, v36, v8, s23
	v_cndmask_b32_e64 v24, v132, v131, s23
	v_cndmask_b32_e64 v33, v11, v38, s23
	v_cndmask_b32_e64 v32, v37, v39, s23
	v_lshl_add_u32 v34, v23, 3, v12
	v_add_nc_u32_e32 v48, 1, v23
	v_add_nc_u32_e32 v23, -1, v24
	ds_read_b64 v[34:35], v34 offset:32768
	v_cndmask_b32_e64 v52, v48, v36, s23
	v_min_u32_e32 v23, v48, v23
	v_cndmask_b32_e64 v8, v8, v48, s23
	v_lshl_add_u32 v23, v23, 3, v12
	v_cmp_lt_u32_e64 s24, v8, v131
	;; [unrolled: 27-line block ×7, first 2 shown]
	ds_read_b64 v[23:24], v23
	s_waitcnt lgkmcnt(0)
	v_cndmask_b32_e64 v11, v24, v11, s23
	v_cndmask_b32_e64 v85, v23, v81, s23
	;; [unrolled: 1-line block ×4, first 2 shown]
	v_cmp_ge_u32_e64 s23, v84, v132
	v_and_b32_e32 v24, v11, v161
	v_and_b32_e32 v23, v85, v160
	;; [unrolled: 1-line block ×4, first 2 shown]
	v_cmp_le_u64_e64 s25, v[23:24], v[80:81]
	s_and_b32 s24, s24, s25
	s_or_b32 s23, s23, s24
	v_cndmask_b32_e64 v23, v84, v8, s23
	v_cndmask_b32_e64 v24, v132, v131, s23
	;; [unrolled: 1-line block ×4, first 2 shown]
	v_lshl_add_u32 v80, v23, 3, v12
	v_add_nc_u32_e32 v96, 1, v23
	v_add_nc_u32_e32 v23, -1, v24
	ds_read_b64 v[80:81], v80 offset:32768
	v_cndmask_b32_e64 v8, v8, v96, s23
	v_min_u32_e32 v23, v96, v23
	v_cndmask_b32_e64 v101, v96, v84, s23
	v_cmp_lt_u32_e64 s24, v8, v131
	v_lshl_add_u32 v23, v23, 3, v12
	ds_read_b64 v[23:24], v23
	s_waitcnt lgkmcnt(0)
	v_cndmask_b32_e64 v11, v24, v11, s23
	v_cndmask_b32_e64 v98, v23, v85, s23
	;; [unrolled: 1-line block ×4, first 2 shown]
	v_cmp_ge_u32_e64 s23, v101, v132
	v_and_b32_e32 v24, v11, v161
	v_and_b32_e32 v23, v98, v160
	;; [unrolled: 1-line block ×4, first 2 shown]
	v_cmp_le_u64_e64 s25, v[23:24], v[82:83]
	s_and_b32 s24, s24, s25
	s_or_b32 s23, s23, s24
	v_cndmask_b32_e64 v23, v101, v8, s23
	v_cndmask_b32_e64 v24, v132, v131, s23
	v_cndmask_b32_e64 v97, v11, v99, s23
	v_cndmask_b32_e64 v96, v98, v100, s23
	v_lshl_add_u32 v82, v23, 3, v12
	ds_read_b64 v[84:85], v82 offset:32768
	v_add_nc_u32_e32 v82, 1, v23
	v_add_nc_u32_e32 v23, -1, v24
	v_cndmask_b32_e64 v103, v82, v101, s23
	v_min_u32_e32 v23, v82, v23
	v_cndmask_b32_e64 v8, v8, v82, s23
	v_lshl_add_u32 v23, v23, 3, v12
	v_cmp_lt_u32_e64 s24, v8, v131
	ds_read_b64 v[23:24], v23
	s_waitcnt lgkmcnt(0)
	v_cndmask_b32_e64 v11, v24, v11, s23
	v_cndmask_b32_e64 v98, v23, v98, s23
	;; [unrolled: 1-line block ×4, first 2 shown]
	v_cmp_ge_u32_e64 s23, v103, v132
	v_and_b32_e32 v24, v11, v161
	v_and_b32_e32 v23, v98, v160
	;; [unrolled: 1-line block ×4, first 2 shown]
	v_cmp_le_u64_e64 s25, v[23:24], v[82:83]
	s_and_b32 s24, s24, s25
	s_or_b32 s23, s23, s24
	v_cndmask_b32_e64 v23, v103, v8, s23
	v_cndmask_b32_e64 v24, v132, v131, s23
	;; [unrolled: 1-line block ×4, first 2 shown]
	v_lshl_add_u32 v100, v23, 3, v12
	v_add_nc_u32_e32 v112, 1, v23
	v_add_nc_u32_e32 v23, -1, v24
	ds_read_b64 v[100:101], v100 offset:32768
	v_cndmask_b32_e64 v8, v8, v112, s23
	v_min_u32_e32 v23, v112, v23
	v_cndmask_b32_e64 v135, v112, v103, s23
	v_cmp_lt_u32_e64 s24, v8, v131
	v_lshl_add_u32 v23, v23, 3, v12
	ds_read_b64 v[23:24], v23
	s_waitcnt lgkmcnt(0)
	v_cndmask_b32_e64 v11, v24, v11, s23
	v_cndmask_b32_e64 v113, v23, v98, s23
	;; [unrolled: 1-line block ×4, first 2 shown]
	v_cmp_ge_u32_e64 s23, v135, v132
	v_and_b32_e32 v24, v11, v161
	v_and_b32_e32 v23, v113, v160
	;; [unrolled: 1-line block ×4, first 2 shown]
	v_cmp_le_u64_e64 s25, v[23:24], v[98:99]
	s_and_b32 s24, s24, s25
	s_or_b32 s23, s23, s24
	v_cndmask_b32_e64 v23, v135, v8, s23
	v_cndmask_b32_e64 v24, v132, v131, s23
	;; [unrolled: 1-line block ×4, first 2 shown]
	v_lshl_add_u32 v98, v23, 3, v12
	v_add_nc_u32_e32 v112, 1, v23
	v_add_nc_u32_e32 v23, -1, v24
	ds_read_b64 v[98:99], v98 offset:32768
	v_cndmask_b32_e64 v135, v112, v135, s23
	v_min_u32_e32 v23, v112, v23
	v_cndmask_b32_e64 v8, v8, v112, s23
	v_lshl_add_u32 v23, v23, 3, v12
	v_cmp_lt_u32_e64 s24, v8, v131
	ds_read_b64 v[23:24], v23
	s_waitcnt lgkmcnt(0)
	v_cndmask_b32_e64 v11, v24, v11, s23
	v_cndmask_b32_e64 v144, v23, v113, s23
	;; [unrolled: 1-line block ×4, first 2 shown]
	v_cmp_ge_u32_e64 s23, v135, v132
	v_and_b32_e32 v24, v11, v161
	v_and_b32_e32 v23, v144, v160
	;; [unrolled: 1-line block ×4, first 2 shown]
	v_cmp_le_u64_e64 s25, v[23:24], v[112:113]
	s_and_b32 s24, s24, s25
	s_or_b32 s23, s23, s24
	v_cndmask_b32_e64 v8, v135, v8, s23
	v_cndmask_b32_e64 v24, v11, v133, s23
	;; [unrolled: 1-line block ×3, first 2 shown]
	v_lshl_add_u32 v8, v8, 3, v12
	ds_read_b64 v[112:113], v8 offset:32768
.LBB716_302:
	s_or_b32 exec_lo, exec_lo, s26
	v_and_b32_e32 v8, 0x1c0, v151
	v_and_b32_e32 v133, 48, v151
	s_mov_b32 s24, exec_lo
	; wave barrier
	v_or_b32_e32 v11, 32, v8
	v_min_u32_e32 v134, v114, v133
	ds_write2_b64 v31, v[0:1], v[9:10] offset1:1
	ds_write2_b64 v119, v[4:5], v[15:16] offset1:1
	ds_write2_b64 v31, v[17:18], v[21:22] offset0:2 offset1:3
	ds_write2_b64 v117, v[19:20], v[25:26] offset1:1
	ds_write2_b64 v31, v[27:28], v[32:33] offset0:4 offset1:5
	;; [unrolled: 2-line block ×3, first 2 shown]
	ds_write2_b64 v115, v[38:39], v[50:51] offset1:1
	v_min_u32_e32 v131, v114, v11
	ds_write2_b64 v31, v[52:53], v[64:65] offset0:8 offset1:9
	ds_write2_b64 v116, v[54:55], v[66:67] offset1:1
	ds_write2_b64 v31, v[70:71], v[86:87] offset0:10 offset1:11
	ds_write2_b64 v128, v[68:69], v[80:81] offset1:1
	;; [unrolled: 2-line block ×3, first 2 shown]
	ds_write2_b64 v31, v[102:103], v[23:24] offset0:14 offset1:15
	s_waitcnt lgkmcnt(15)
	ds_write2_b64 v130, v[98:99], v[112:113] offset1:1
	v_add_nc_u32_e32 v11, 32, v131
	v_sub_nc_u32_e32 v133, v131, v8
	; wave barrier
	v_min_u32_e32 v132, v114, v11
	v_min_u32_e32 v135, v134, v133
	v_lshl_add_u32 v133, v8, 3, v12
	v_sub_nc_u32_e32 v11, v132, v131
	v_sub_nc_u32_e64 v11, v134, v11 clamp
	v_cmpx_lt_u32_e64 v11, v135
	s_cbranch_execz .LBB716_306
; %bb.303:
	v_lshlrev_b32_e32 v144, 3, v131
	v_lshlrev_b32_e32 v145, 3, v134
	s_mov_b32 s25, 0
	v_add3_u32 v144, v12, v144, v145
	.p2align	6
.LBB716_304:                            ; =>This Inner Loop Header: Depth=1
	v_add_nc_u32_e32 v145, v135, v11
	v_lshrrev_b32_e32 v149, 1, v145
	v_not_b32_e32 v145, v149
	v_lshl_add_u32 v146, v149, 3, v133
	v_lshl_add_u32 v147, v145, 3, v144
	ds_read_b64 v[145:146], v146
	ds_read_b64 v[147:148], v147
	s_waitcnt lgkmcnt(1)
	v_and_b32_e32 v146, v146, v161
	v_and_b32_e32 v145, v145, v160
	s_waitcnt lgkmcnt(0)
	v_and_b32_e32 v148, v148, v161
	v_and_b32_e32 v147, v147, v160
	v_cmp_gt_u64_e64 s23, v[147:148], v[145:146]
	v_add_nc_u32_e32 v145, 1, v149
	v_cndmask_b32_e64 v135, v135, v149, s23
	v_cndmask_b32_e64 v11, v145, v11, s23
	v_cmp_ge_u32_e64 s23, v11, v135
	s_or_b32 s25, s23, s25
	s_andn2_b32 exec_lo, exec_lo, s25
	s_cbranch_execnz .LBB716_304
; %bb.305:
	s_or_b32 exec_lo, exec_lo, s25
.LBB716_306:
	s_or_b32 exec_lo, exec_lo, s24
	v_add_nc_u32_e32 v135, v131, v134
	v_add_nc_u32_e32 v134, v11, v8
	v_sub_nc_u32_e32 v135, v135, v11
	v_cmp_le_u32_e64 s23, v134, v131
	v_cmp_le_u32_e64 s24, v135, v132
	s_or_b32 s23, s23, s24
	s_and_saveexec_b32 s26, s23
	s_cbranch_execz .LBB716_312
; %bb.307:
	v_cmp_lt_u32_e64 s23, v134, v131
                                        ; implicit-def: $vgpr8_vgpr9
	s_and_saveexec_b32 s24, s23
; %bb.308:
	v_lshl_add_u32 v0, v11, 3, v133
	ds_read_b64 v[8:9], v0
; %bb.309:
	s_or_b32 exec_lo, exec_lo, s24
	v_cmp_ge_u32_e64 s24, v135, v132
	s_mov_b32 s27, exec_lo
                                        ; implicit-def: $vgpr10_vgpr11
	v_cmpx_lt_u32_e64 v135, v132
; %bb.310:
	v_lshl_add_u32 v0, v135, 3, v12
	ds_read_b64 v[10:11], v0
; %bb.311:
	s_or_b32 exec_lo, exec_lo, s27
	s_waitcnt lgkmcnt(0)
	v_and_b32_e32 v1, v11, v161
	v_and_b32_e32 v0, v10, v160
	;; [unrolled: 1-line block ×4, first 2 shown]
	v_cmp_le_u64_e64 s25, v[0:1], v[4:5]
	s_and_b32 s23, s23, s25
	s_or_b32 s23, s24, s23
	v_cndmask_b32_e64 v15, v135, v134, s23
	v_cndmask_b32_e64 v16, v132, v131, s23
	v_cndmask_b32_e64 v1, v11, v9, s23
	v_cndmask_b32_e64 v0, v10, v8, s23
	v_lshl_add_u32 v4, v15, 3, v12
	v_add_nc_u32_e32 v17, 1, v15
	v_add_nc_u32_e32 v15, -1, v16
	ds_read_b64 v[4:5], v4 offset:32768
	v_cndmask_b32_e64 v24, v134, v17, s23
	v_min_u32_e32 v15, v17, v15
	v_cndmask_b32_e64 v23, v17, v135, s23
	v_cmp_lt_u32_e64 s24, v24, v131
	v_lshl_add_u32 v15, v15, 3, v12
	ds_read_b64 v[15:16], v15
	s_waitcnt lgkmcnt(0)
	v_cndmask_b32_e64 v19, v16, v11, s23
	v_cndmask_b32_e64 v20, v15, v10, s23
	;; [unrolled: 1-line block ×4, first 2 shown]
	v_cmp_ge_u32_e64 s23, v23, v132
	v_and_b32_e32 v9, v19, v161
	v_and_b32_e32 v8, v20, v160
	;; [unrolled: 1-line block ×4, first 2 shown]
	v_cmp_le_u64_e64 s25, v[8:9], v[10:11]
	s_and_b32 s24, s24, s25
	s_or_b32 s23, s23, s24
	v_cndmask_b32_e64 v8, v23, v24, s23
	v_cndmask_b32_e64 v11, v132, v131, s23
	;; [unrolled: 1-line block ×4, first 2 shown]
	v_lshl_add_u32 v15, v8, 3, v12
	v_add_nc_u32_e32 v8, 1, v8
	v_add_nc_u32_e32 v11, -1, v11
	ds_read_b64 v[15:16], v15 offset:32768
	v_cndmask_b32_e64 v23, v8, v23, s23
	v_min_u32_e32 v11, v8, v11
	v_cndmask_b32_e64 v8, v24, v8, s23
	v_lshl_add_u32 v11, v11, 3, v12
	v_cmp_lt_u32_e64 s24, v8, v131
	ds_read_b64 v[17:18], v11
	s_waitcnt lgkmcnt(0)
	v_cndmask_b32_e64 v11, v18, v19, s23
	v_cndmask_b32_e64 v25, v17, v20, s23
	;; [unrolled: 1-line block ×4, first 2 shown]
	v_cmp_ge_u32_e64 s23, v23, v132
	v_and_b32_e32 v18, v11, v161
	v_and_b32_e32 v17, v25, v160
	;; [unrolled: 1-line block ×4, first 2 shown]
	v_cmp_le_u64_e64 s25, v[17:18], v[19:20]
	s_and_b32 s24, s24, s25
	s_or_b32 s23, s23, s24
	v_cndmask_b32_e64 v21, v23, v8, s23
	v_cndmask_b32_e64 v22, v132, v131, s23
	;; [unrolled: 1-line block ×4, first 2 shown]
	v_lshl_add_u32 v19, v21, 3, v12
	v_add_nc_u32_e32 v24, 1, v21
	v_add_nc_u32_e32 v21, -1, v22
	ds_read_b64 v[19:20], v19 offset:32768
	v_cndmask_b32_e64 v30, v24, v23, s23
	v_min_u32_e32 v21, v24, v21
	v_cndmask_b32_e64 v8, v8, v24, s23
	v_lshl_add_u32 v21, v21, 3, v12
	v_cmp_lt_u32_e64 s24, v8, v131
	ds_read_b64 v[21:22], v21
	s_waitcnt lgkmcnt(0)
	v_cndmask_b32_e64 v11, v22, v11, s23
	v_cndmask_b32_e64 v28, v21, v25, s23
	;; [unrolled: 1-line block ×4, first 2 shown]
	v_cmp_ge_u32_e64 s23, v30, v132
	v_and_b32_e32 v22, v11, v161
	v_and_b32_e32 v21, v28, v160
	;; [unrolled: 1-line block ×4, first 2 shown]
	v_cmp_le_u64_e64 s25, v[21:22], v[23:24]
	s_and_b32 s24, s24, s25
	s_or_b32 s23, s23, s24
	v_cndmask_b32_e64 v23, v30, v8, s23
	v_cndmask_b32_e64 v24, v132, v131, s23
	;; [unrolled: 1-line block ×4, first 2 shown]
	v_lshl_add_u32 v25, v23, 3, v12
	v_add_nc_u32_e32 v32, 1, v23
	v_add_nc_u32_e32 v23, -1, v24
	ds_read_b64 v[25:26], v25 offset:32768
	v_cndmask_b32_e64 v8, v8, v32, s23
	v_min_u32_e32 v23, v32, v23
	v_cndmask_b32_e64 v36, v32, v30, s23
	v_cmp_lt_u32_e64 s24, v8, v131
	v_lshl_add_u32 v23, v23, 3, v12
	ds_read_b64 v[23:24], v23
	s_waitcnt lgkmcnt(0)
	v_cndmask_b32_e64 v11, v24, v11, s23
	v_cndmask_b32_e64 v33, v23, v28, s23
	v_cndmask_b32_e64 v34, v29, v24, s23
	v_cndmask_b32_e64 v35, v27, v23, s23
	v_cmp_ge_u32_e64 s23, v36, v132
	v_and_b32_e32 v24, v11, v161
	v_and_b32_e32 v23, v33, v160
	v_and_b32_e32 v28, v34, v161
	v_and_b32_e32 v27, v35, v160
	v_cmp_le_u64_e64 s25, v[23:24], v[27:28]
	s_and_b32 s24, s24, s25
	s_or_b32 s23, s23, s24
	v_cndmask_b32_e64 v23, v36, v8, s23
	v_cndmask_b32_e64 v24, v132, v131, s23
	v_cndmask_b32_e64 v28, v11, v34, s23
	v_cndmask_b32_e64 v27, v33, v35, s23
	v_lshl_add_u32 v29, v23, 3, v12
	v_add_nc_u32_e32 v32, 1, v23
	v_add_nc_u32_e32 v23, -1, v24
	ds_read_b64 v[29:30], v29 offset:32768
	v_cndmask_b32_e64 v36, v32, v36, s23
	v_min_u32_e32 v23, v32, v23
	v_cndmask_b32_e64 v8, v8, v32, s23
	v_lshl_add_u32 v23, v23, 3, v12
	v_cmp_lt_u32_e64 s24, v8, v131
	ds_read_b64 v[23:24], v23
	s_waitcnt lgkmcnt(0)
	v_cndmask_b32_e64 v11, v24, v11, s23
	v_cndmask_b32_e64 v37, v23, v33, s23
	v_cndmask_b32_e64 v38, v34, v24, s23
	v_cndmask_b32_e64 v39, v35, v23, s23
	v_cmp_ge_u32_e64 s23, v36, v132
	v_and_b32_e32 v24, v11, v161
	v_and_b32_e32 v23, v37, v160
	v_and_b32_e32 v33, v38, v161
	v_and_b32_e32 v32, v39, v160
	v_cmp_le_u64_e64 s25, v[23:24], v[32:33]
	s_and_b32 s24, s24, s25
	s_or_b32 s23, s23, s24
	v_cndmask_b32_e64 v23, v36, v8, s23
	v_cndmask_b32_e64 v24, v132, v131, s23
	v_cndmask_b32_e64 v33, v11, v38, s23
	v_cndmask_b32_e64 v32, v37, v39, s23
	v_lshl_add_u32 v34, v23, 3, v12
	v_add_nc_u32_e32 v48, 1, v23
	v_add_nc_u32_e32 v23, -1, v24
	ds_read_b64 v[34:35], v34 offset:32768
	v_cndmask_b32_e64 v52, v48, v36, s23
	v_min_u32_e32 v23, v48, v23
	v_cndmask_b32_e64 v8, v8, v48, s23
	v_lshl_add_u32 v23, v23, 3, v12
	v_cmp_lt_u32_e64 s24, v8, v131
	;; [unrolled: 27-line block ×7, first 2 shown]
	ds_read_b64 v[23:24], v23
	s_waitcnt lgkmcnt(0)
	v_cndmask_b32_e64 v11, v24, v11, s23
	v_cndmask_b32_e64 v85, v23, v81, s23
	;; [unrolled: 1-line block ×4, first 2 shown]
	v_cmp_ge_u32_e64 s23, v84, v132
	v_and_b32_e32 v24, v11, v161
	v_and_b32_e32 v23, v85, v160
	;; [unrolled: 1-line block ×4, first 2 shown]
	v_cmp_le_u64_e64 s25, v[23:24], v[80:81]
	s_and_b32 s24, s24, s25
	s_or_b32 s23, s23, s24
	v_cndmask_b32_e64 v23, v84, v8, s23
	v_cndmask_b32_e64 v24, v132, v131, s23
	;; [unrolled: 1-line block ×4, first 2 shown]
	v_lshl_add_u32 v80, v23, 3, v12
	v_add_nc_u32_e32 v96, 1, v23
	v_add_nc_u32_e32 v23, -1, v24
	ds_read_b64 v[80:81], v80 offset:32768
	v_cndmask_b32_e64 v8, v8, v96, s23
	v_min_u32_e32 v23, v96, v23
	v_cndmask_b32_e64 v101, v96, v84, s23
	v_cmp_lt_u32_e64 s24, v8, v131
	v_lshl_add_u32 v23, v23, 3, v12
	ds_read_b64 v[23:24], v23
	s_waitcnt lgkmcnt(0)
	v_cndmask_b32_e64 v11, v24, v11, s23
	v_cndmask_b32_e64 v98, v23, v85, s23
	;; [unrolled: 1-line block ×4, first 2 shown]
	v_cmp_ge_u32_e64 s23, v101, v132
	v_and_b32_e32 v24, v11, v161
	v_and_b32_e32 v23, v98, v160
	;; [unrolled: 1-line block ×4, first 2 shown]
	v_cmp_le_u64_e64 s25, v[23:24], v[82:83]
	s_and_b32 s24, s24, s25
	s_or_b32 s23, s23, s24
	v_cndmask_b32_e64 v23, v101, v8, s23
	v_cndmask_b32_e64 v24, v132, v131, s23
	;; [unrolled: 1-line block ×4, first 2 shown]
	v_lshl_add_u32 v82, v23, 3, v12
	ds_read_b64 v[84:85], v82 offset:32768
	v_add_nc_u32_e32 v82, 1, v23
	v_add_nc_u32_e32 v23, -1, v24
	v_cndmask_b32_e64 v103, v82, v101, s23
	v_min_u32_e32 v23, v82, v23
	v_cndmask_b32_e64 v8, v8, v82, s23
	v_lshl_add_u32 v23, v23, 3, v12
	v_cmp_lt_u32_e64 s24, v8, v131
	ds_read_b64 v[23:24], v23
	s_waitcnt lgkmcnt(0)
	v_cndmask_b32_e64 v11, v24, v11, s23
	v_cndmask_b32_e64 v98, v23, v98, s23
	;; [unrolled: 1-line block ×4, first 2 shown]
	v_cmp_ge_u32_e64 s23, v103, v132
	v_and_b32_e32 v24, v11, v161
	v_and_b32_e32 v23, v98, v160
	;; [unrolled: 1-line block ×4, first 2 shown]
	v_cmp_le_u64_e64 s25, v[23:24], v[82:83]
	s_and_b32 s24, s24, s25
	s_or_b32 s23, s23, s24
	v_cndmask_b32_e64 v23, v103, v8, s23
	v_cndmask_b32_e64 v24, v132, v131, s23
	;; [unrolled: 1-line block ×4, first 2 shown]
	v_lshl_add_u32 v100, v23, 3, v12
	v_add_nc_u32_e32 v112, 1, v23
	v_add_nc_u32_e32 v23, -1, v24
	ds_read_b64 v[100:101], v100 offset:32768
	v_cndmask_b32_e64 v8, v8, v112, s23
	v_min_u32_e32 v23, v112, v23
	v_cndmask_b32_e64 v135, v112, v103, s23
	v_cmp_lt_u32_e64 s24, v8, v131
	v_lshl_add_u32 v23, v23, 3, v12
	ds_read_b64 v[23:24], v23
	s_waitcnt lgkmcnt(0)
	v_cndmask_b32_e64 v11, v24, v11, s23
	v_cndmask_b32_e64 v113, v23, v98, s23
	v_cndmask_b32_e64 v133, v99, v24, s23
	v_cndmask_b32_e64 v134, v102, v23, s23
	v_cmp_ge_u32_e64 s23, v135, v132
	v_and_b32_e32 v24, v11, v161
	v_and_b32_e32 v23, v113, v160
	;; [unrolled: 1-line block ×4, first 2 shown]
	v_cmp_le_u64_e64 s25, v[23:24], v[98:99]
	s_and_b32 s24, s24, s25
	s_or_b32 s23, s23, s24
	v_cndmask_b32_e64 v23, v135, v8, s23
	v_cndmask_b32_e64 v24, v132, v131, s23
	v_cndmask_b32_e64 v103, v11, v133, s23
	v_cndmask_b32_e64 v102, v113, v134, s23
	v_lshl_add_u32 v98, v23, 3, v12
	v_add_nc_u32_e32 v112, 1, v23
	v_add_nc_u32_e32 v23, -1, v24
	ds_read_b64 v[98:99], v98 offset:32768
	v_cndmask_b32_e64 v135, v112, v135, s23
	v_min_u32_e32 v23, v112, v23
	v_cndmask_b32_e64 v8, v8, v112, s23
	v_lshl_add_u32 v23, v23, 3, v12
	v_cmp_lt_u32_e64 s24, v8, v131
	ds_read_b64 v[23:24], v23
	s_waitcnt lgkmcnt(0)
	v_cndmask_b32_e64 v11, v24, v11, s23
	v_cndmask_b32_e64 v144, v23, v113, s23
	;; [unrolled: 1-line block ×4, first 2 shown]
	v_cmp_ge_u32_e64 s23, v135, v132
	v_and_b32_e32 v24, v11, v161
	v_and_b32_e32 v23, v144, v160
	;; [unrolled: 1-line block ×4, first 2 shown]
	v_cmp_le_u64_e64 s25, v[23:24], v[112:113]
	s_and_b32 s24, s24, s25
	s_or_b32 s23, s23, s24
	v_cndmask_b32_e64 v8, v135, v8, s23
	v_cndmask_b32_e64 v24, v11, v133, s23
	;; [unrolled: 1-line block ×3, first 2 shown]
	v_lshl_add_u32 v8, v8, 3, v12
	ds_read_b64 v[112:113], v8 offset:32768
.LBB716_312:
	s_or_b32 exec_lo, exec_lo, s26
	v_and_b32_e32 v8, 0x180, v151
	v_and_b32_e32 v133, 0x70, v151
	s_mov_b32 s24, exec_lo
	; wave barrier
	v_or_b32_e32 v11, 64, v8
	v_min_u32_e32 v134, v114, v133
	ds_write2_b64 v31, v[0:1], v[9:10] offset1:1
	ds_write2_b64 v119, v[4:5], v[15:16] offset1:1
	ds_write2_b64 v31, v[17:18], v[21:22] offset0:2 offset1:3
	ds_write2_b64 v117, v[19:20], v[25:26] offset1:1
	ds_write2_b64 v31, v[27:28], v[32:33] offset0:4 offset1:5
	;; [unrolled: 2-line block ×3, first 2 shown]
	ds_write2_b64 v115, v[38:39], v[50:51] offset1:1
	v_min_u32_e32 v131, v114, v11
	ds_write2_b64 v31, v[52:53], v[64:65] offset0:8 offset1:9
	ds_write2_b64 v116, v[54:55], v[66:67] offset1:1
	ds_write2_b64 v31, v[70:71], v[86:87] offset0:10 offset1:11
	ds_write2_b64 v128, v[68:69], v[80:81] offset1:1
	;; [unrolled: 2-line block ×3, first 2 shown]
	ds_write2_b64 v31, v[102:103], v[23:24] offset0:14 offset1:15
	s_waitcnt lgkmcnt(15)
	ds_write2_b64 v130, v[98:99], v[112:113] offset1:1
	v_add_nc_u32_e32 v11, 64, v131
	v_sub_nc_u32_e32 v133, v131, v8
	; wave barrier
	v_min_u32_e32 v132, v114, v11
	v_min_u32_e32 v135, v134, v133
	v_lshl_add_u32 v133, v8, 3, v12
	v_sub_nc_u32_e32 v11, v132, v131
	v_sub_nc_u32_e64 v11, v134, v11 clamp
	v_cmpx_lt_u32_e64 v11, v135
	s_cbranch_execz .LBB716_316
; %bb.313:
	v_lshlrev_b32_e32 v144, 3, v131
	v_lshlrev_b32_e32 v145, 3, v134
	s_mov_b32 s25, 0
	v_add3_u32 v144, v12, v144, v145
	.p2align	6
.LBB716_314:                            ; =>This Inner Loop Header: Depth=1
	v_add_nc_u32_e32 v145, v135, v11
	v_lshrrev_b32_e32 v149, 1, v145
	v_not_b32_e32 v145, v149
	v_lshl_add_u32 v146, v149, 3, v133
	v_lshl_add_u32 v147, v145, 3, v144
	ds_read_b64 v[145:146], v146
	ds_read_b64 v[147:148], v147
	s_waitcnt lgkmcnt(1)
	v_and_b32_e32 v146, v146, v161
	v_and_b32_e32 v145, v145, v160
	s_waitcnt lgkmcnt(0)
	v_and_b32_e32 v148, v148, v161
	v_and_b32_e32 v147, v147, v160
	v_cmp_gt_u64_e64 s23, v[147:148], v[145:146]
	v_add_nc_u32_e32 v145, 1, v149
	v_cndmask_b32_e64 v135, v135, v149, s23
	v_cndmask_b32_e64 v11, v145, v11, s23
	v_cmp_ge_u32_e64 s23, v11, v135
	s_or_b32 s25, s23, s25
	s_andn2_b32 exec_lo, exec_lo, s25
	s_cbranch_execnz .LBB716_314
; %bb.315:
	s_or_b32 exec_lo, exec_lo, s25
.LBB716_316:
	s_or_b32 exec_lo, exec_lo, s24
	v_add_nc_u32_e32 v135, v131, v134
	v_add_nc_u32_e32 v134, v11, v8
	v_sub_nc_u32_e32 v135, v135, v11
	v_cmp_le_u32_e64 s23, v134, v131
	v_cmp_le_u32_e64 s24, v135, v132
	s_or_b32 s23, s23, s24
	s_and_saveexec_b32 s26, s23
	s_cbranch_execz .LBB716_322
; %bb.317:
	v_cmp_lt_u32_e64 s23, v134, v131
                                        ; implicit-def: $vgpr8_vgpr9
	s_and_saveexec_b32 s24, s23
; %bb.318:
	v_lshl_add_u32 v0, v11, 3, v133
	ds_read_b64 v[8:9], v0
; %bb.319:
	s_or_b32 exec_lo, exec_lo, s24
	v_cmp_ge_u32_e64 s24, v135, v132
	s_mov_b32 s27, exec_lo
                                        ; implicit-def: $vgpr10_vgpr11
	v_cmpx_lt_u32_e64 v135, v132
; %bb.320:
	v_lshl_add_u32 v0, v135, 3, v12
	ds_read_b64 v[10:11], v0
; %bb.321:
	s_or_b32 exec_lo, exec_lo, s27
	s_waitcnt lgkmcnt(0)
	v_and_b32_e32 v1, v11, v161
	v_and_b32_e32 v0, v10, v160
	;; [unrolled: 1-line block ×4, first 2 shown]
	v_cmp_le_u64_e64 s25, v[0:1], v[4:5]
	s_and_b32 s23, s23, s25
	s_or_b32 s23, s24, s23
	v_cndmask_b32_e64 v15, v135, v134, s23
	v_cndmask_b32_e64 v16, v132, v131, s23
	;; [unrolled: 1-line block ×4, first 2 shown]
	v_lshl_add_u32 v4, v15, 3, v12
	v_add_nc_u32_e32 v17, 1, v15
	v_add_nc_u32_e32 v15, -1, v16
	ds_read_b64 v[4:5], v4 offset:32768
	v_cndmask_b32_e64 v24, v134, v17, s23
	v_min_u32_e32 v15, v17, v15
	v_cndmask_b32_e64 v23, v17, v135, s23
	v_cmp_lt_u32_e64 s24, v24, v131
	v_lshl_add_u32 v15, v15, 3, v12
	ds_read_b64 v[15:16], v15
	s_waitcnt lgkmcnt(0)
	v_cndmask_b32_e64 v19, v16, v11, s23
	v_cndmask_b32_e64 v20, v15, v10, s23
	;; [unrolled: 1-line block ×4, first 2 shown]
	v_cmp_ge_u32_e64 s23, v23, v132
	v_and_b32_e32 v9, v19, v161
	v_and_b32_e32 v8, v20, v160
	;; [unrolled: 1-line block ×4, first 2 shown]
	v_cmp_le_u64_e64 s25, v[8:9], v[10:11]
	s_and_b32 s24, s24, s25
	s_or_b32 s23, s23, s24
	v_cndmask_b32_e64 v8, v23, v24, s23
	v_cndmask_b32_e64 v11, v132, v131, s23
	;; [unrolled: 1-line block ×4, first 2 shown]
	v_lshl_add_u32 v15, v8, 3, v12
	v_add_nc_u32_e32 v8, 1, v8
	v_add_nc_u32_e32 v11, -1, v11
	ds_read_b64 v[15:16], v15 offset:32768
	v_cndmask_b32_e64 v23, v8, v23, s23
	v_min_u32_e32 v11, v8, v11
	v_cndmask_b32_e64 v8, v24, v8, s23
	v_lshl_add_u32 v11, v11, 3, v12
	v_cmp_lt_u32_e64 s24, v8, v131
	ds_read_b64 v[17:18], v11
	s_waitcnt lgkmcnt(0)
	v_cndmask_b32_e64 v11, v18, v19, s23
	v_cndmask_b32_e64 v25, v17, v20, s23
	;; [unrolled: 1-line block ×4, first 2 shown]
	v_cmp_ge_u32_e64 s23, v23, v132
	v_and_b32_e32 v18, v11, v161
	v_and_b32_e32 v17, v25, v160
	;; [unrolled: 1-line block ×4, first 2 shown]
	v_cmp_le_u64_e64 s25, v[17:18], v[19:20]
	s_and_b32 s24, s24, s25
	s_or_b32 s23, s23, s24
	v_cndmask_b32_e64 v21, v23, v8, s23
	v_cndmask_b32_e64 v22, v132, v131, s23
	;; [unrolled: 1-line block ×4, first 2 shown]
	v_lshl_add_u32 v19, v21, 3, v12
	v_add_nc_u32_e32 v24, 1, v21
	v_add_nc_u32_e32 v21, -1, v22
	ds_read_b64 v[19:20], v19 offset:32768
	v_cndmask_b32_e64 v30, v24, v23, s23
	v_min_u32_e32 v21, v24, v21
	v_cndmask_b32_e64 v8, v8, v24, s23
	v_lshl_add_u32 v21, v21, 3, v12
	v_cmp_lt_u32_e64 s24, v8, v131
	ds_read_b64 v[21:22], v21
	s_waitcnt lgkmcnt(0)
	v_cndmask_b32_e64 v11, v22, v11, s23
	v_cndmask_b32_e64 v28, v21, v25, s23
	;; [unrolled: 1-line block ×4, first 2 shown]
	v_cmp_ge_u32_e64 s23, v30, v132
	v_and_b32_e32 v22, v11, v161
	v_and_b32_e32 v21, v28, v160
	;; [unrolled: 1-line block ×4, first 2 shown]
	v_cmp_le_u64_e64 s25, v[21:22], v[23:24]
	s_and_b32 s24, s24, s25
	s_or_b32 s23, s23, s24
	v_cndmask_b32_e64 v23, v30, v8, s23
	v_cndmask_b32_e64 v24, v132, v131, s23
	;; [unrolled: 1-line block ×4, first 2 shown]
	v_lshl_add_u32 v25, v23, 3, v12
	v_add_nc_u32_e32 v32, 1, v23
	v_add_nc_u32_e32 v23, -1, v24
	ds_read_b64 v[25:26], v25 offset:32768
	v_cndmask_b32_e64 v8, v8, v32, s23
	v_min_u32_e32 v23, v32, v23
	v_cndmask_b32_e64 v36, v32, v30, s23
	v_cmp_lt_u32_e64 s24, v8, v131
	v_lshl_add_u32 v23, v23, 3, v12
	ds_read_b64 v[23:24], v23
	s_waitcnt lgkmcnt(0)
	v_cndmask_b32_e64 v11, v24, v11, s23
	v_cndmask_b32_e64 v33, v23, v28, s23
	v_cndmask_b32_e64 v34, v29, v24, s23
	v_cndmask_b32_e64 v35, v27, v23, s23
	v_cmp_ge_u32_e64 s23, v36, v132
	v_and_b32_e32 v24, v11, v161
	v_and_b32_e32 v23, v33, v160
	v_and_b32_e32 v28, v34, v161
	v_and_b32_e32 v27, v35, v160
	v_cmp_le_u64_e64 s25, v[23:24], v[27:28]
	s_and_b32 s24, s24, s25
	s_or_b32 s23, s23, s24
	v_cndmask_b32_e64 v23, v36, v8, s23
	v_cndmask_b32_e64 v24, v132, v131, s23
	v_cndmask_b32_e64 v28, v11, v34, s23
	v_cndmask_b32_e64 v27, v33, v35, s23
	v_lshl_add_u32 v29, v23, 3, v12
	v_add_nc_u32_e32 v32, 1, v23
	v_add_nc_u32_e32 v23, -1, v24
	ds_read_b64 v[29:30], v29 offset:32768
	v_cndmask_b32_e64 v36, v32, v36, s23
	v_min_u32_e32 v23, v32, v23
	v_cndmask_b32_e64 v8, v8, v32, s23
	v_lshl_add_u32 v23, v23, 3, v12
	v_cmp_lt_u32_e64 s24, v8, v131
	ds_read_b64 v[23:24], v23
	s_waitcnt lgkmcnt(0)
	v_cndmask_b32_e64 v11, v24, v11, s23
	v_cndmask_b32_e64 v37, v23, v33, s23
	v_cndmask_b32_e64 v38, v34, v24, s23
	v_cndmask_b32_e64 v39, v35, v23, s23
	v_cmp_ge_u32_e64 s23, v36, v132
	v_and_b32_e32 v24, v11, v161
	v_and_b32_e32 v23, v37, v160
	v_and_b32_e32 v33, v38, v161
	v_and_b32_e32 v32, v39, v160
	v_cmp_le_u64_e64 s25, v[23:24], v[32:33]
	s_and_b32 s24, s24, s25
	s_or_b32 s23, s23, s24
	v_cndmask_b32_e64 v23, v36, v8, s23
	v_cndmask_b32_e64 v24, v132, v131, s23
	v_cndmask_b32_e64 v33, v11, v38, s23
	v_cndmask_b32_e64 v32, v37, v39, s23
	v_lshl_add_u32 v34, v23, 3, v12
	v_add_nc_u32_e32 v48, 1, v23
	v_add_nc_u32_e32 v23, -1, v24
	ds_read_b64 v[34:35], v34 offset:32768
	v_cndmask_b32_e64 v52, v48, v36, s23
	v_min_u32_e32 v23, v48, v23
	v_cndmask_b32_e64 v8, v8, v48, s23
	v_lshl_add_u32 v23, v23, 3, v12
	v_cmp_lt_u32_e64 s24, v8, v131
	;; [unrolled: 27-line block ×7, first 2 shown]
	ds_read_b64 v[23:24], v23
	s_waitcnt lgkmcnt(0)
	v_cndmask_b32_e64 v11, v24, v11, s23
	v_cndmask_b32_e64 v85, v23, v81, s23
	;; [unrolled: 1-line block ×4, first 2 shown]
	v_cmp_ge_u32_e64 s23, v84, v132
	v_and_b32_e32 v24, v11, v161
	v_and_b32_e32 v23, v85, v160
	;; [unrolled: 1-line block ×4, first 2 shown]
	v_cmp_le_u64_e64 s25, v[23:24], v[80:81]
	s_and_b32 s24, s24, s25
	s_or_b32 s23, s23, s24
	v_cndmask_b32_e64 v23, v84, v8, s23
	v_cndmask_b32_e64 v24, v132, v131, s23
	;; [unrolled: 1-line block ×4, first 2 shown]
	v_lshl_add_u32 v80, v23, 3, v12
	v_add_nc_u32_e32 v96, 1, v23
	v_add_nc_u32_e32 v23, -1, v24
	ds_read_b64 v[80:81], v80 offset:32768
	v_cndmask_b32_e64 v8, v8, v96, s23
	v_min_u32_e32 v23, v96, v23
	v_cndmask_b32_e64 v101, v96, v84, s23
	v_cmp_lt_u32_e64 s24, v8, v131
	v_lshl_add_u32 v23, v23, 3, v12
	ds_read_b64 v[23:24], v23
	s_waitcnt lgkmcnt(0)
	v_cndmask_b32_e64 v11, v24, v11, s23
	v_cndmask_b32_e64 v98, v23, v85, s23
	;; [unrolled: 1-line block ×4, first 2 shown]
	v_cmp_ge_u32_e64 s23, v101, v132
	v_and_b32_e32 v24, v11, v161
	v_and_b32_e32 v23, v98, v160
	;; [unrolled: 1-line block ×4, first 2 shown]
	v_cmp_le_u64_e64 s25, v[23:24], v[82:83]
	s_and_b32 s24, s24, s25
	s_or_b32 s23, s23, s24
	v_cndmask_b32_e64 v23, v101, v8, s23
	v_cndmask_b32_e64 v24, v132, v131, s23
	;; [unrolled: 1-line block ×4, first 2 shown]
	v_lshl_add_u32 v82, v23, 3, v12
	ds_read_b64 v[84:85], v82 offset:32768
	v_add_nc_u32_e32 v82, 1, v23
	v_add_nc_u32_e32 v23, -1, v24
	v_cndmask_b32_e64 v103, v82, v101, s23
	v_min_u32_e32 v23, v82, v23
	v_cndmask_b32_e64 v8, v8, v82, s23
	v_lshl_add_u32 v23, v23, 3, v12
	v_cmp_lt_u32_e64 s24, v8, v131
	ds_read_b64 v[23:24], v23
	s_waitcnt lgkmcnt(0)
	v_cndmask_b32_e64 v11, v24, v11, s23
	v_cndmask_b32_e64 v98, v23, v98, s23
	;; [unrolled: 1-line block ×4, first 2 shown]
	v_cmp_ge_u32_e64 s23, v103, v132
	v_and_b32_e32 v24, v11, v161
	v_and_b32_e32 v23, v98, v160
	;; [unrolled: 1-line block ×4, first 2 shown]
	v_cmp_le_u64_e64 s25, v[23:24], v[82:83]
	s_and_b32 s24, s24, s25
	s_or_b32 s23, s23, s24
	v_cndmask_b32_e64 v23, v103, v8, s23
	v_cndmask_b32_e64 v24, v132, v131, s23
	;; [unrolled: 1-line block ×4, first 2 shown]
	v_lshl_add_u32 v100, v23, 3, v12
	v_add_nc_u32_e32 v112, 1, v23
	v_add_nc_u32_e32 v23, -1, v24
	ds_read_b64 v[100:101], v100 offset:32768
	v_cndmask_b32_e64 v8, v8, v112, s23
	v_min_u32_e32 v23, v112, v23
	v_cndmask_b32_e64 v135, v112, v103, s23
	v_cmp_lt_u32_e64 s24, v8, v131
	v_lshl_add_u32 v23, v23, 3, v12
	ds_read_b64 v[23:24], v23
	s_waitcnt lgkmcnt(0)
	v_cndmask_b32_e64 v11, v24, v11, s23
	v_cndmask_b32_e64 v113, v23, v98, s23
	;; [unrolled: 1-line block ×4, first 2 shown]
	v_cmp_ge_u32_e64 s23, v135, v132
	v_and_b32_e32 v24, v11, v161
	v_and_b32_e32 v23, v113, v160
	;; [unrolled: 1-line block ×4, first 2 shown]
	v_cmp_le_u64_e64 s25, v[23:24], v[98:99]
	s_and_b32 s24, s24, s25
	s_or_b32 s23, s23, s24
	v_cndmask_b32_e64 v23, v135, v8, s23
	v_cndmask_b32_e64 v24, v132, v131, s23
	;; [unrolled: 1-line block ×4, first 2 shown]
	v_lshl_add_u32 v98, v23, 3, v12
	v_add_nc_u32_e32 v112, 1, v23
	v_add_nc_u32_e32 v23, -1, v24
	ds_read_b64 v[98:99], v98 offset:32768
	v_cndmask_b32_e64 v135, v112, v135, s23
	v_min_u32_e32 v23, v112, v23
	v_cndmask_b32_e64 v8, v8, v112, s23
	v_lshl_add_u32 v23, v23, 3, v12
	v_cmp_lt_u32_e64 s24, v8, v131
	ds_read_b64 v[23:24], v23
	s_waitcnt lgkmcnt(0)
	v_cndmask_b32_e64 v11, v24, v11, s23
	v_cndmask_b32_e64 v144, v23, v113, s23
	;; [unrolled: 1-line block ×4, first 2 shown]
	v_cmp_ge_u32_e64 s23, v135, v132
	v_and_b32_e32 v24, v11, v161
	v_and_b32_e32 v23, v144, v160
	;; [unrolled: 1-line block ×4, first 2 shown]
	v_cmp_le_u64_e64 s25, v[23:24], v[112:113]
	s_and_b32 s24, s24, s25
	s_or_b32 s23, s23, s24
	v_cndmask_b32_e64 v8, v135, v8, s23
	v_cndmask_b32_e64 v24, v11, v133, s23
	;; [unrolled: 1-line block ×3, first 2 shown]
	v_lshl_add_u32 v8, v8, 3, v12
	ds_read_b64 v[112:113], v8 offset:32768
.LBB716_322:
	s_or_b32 exec_lo, exec_lo, s26
	v_and_b32_e32 v8, 0x100, v151
	v_and_b32_e32 v133, 0xf0, v151
	s_mov_b32 s24, exec_lo
	; wave barrier
	v_or_b32_e32 v11, 0x80, v8
	v_min_u32_e32 v134, v114, v133
	ds_write2_b64 v31, v[0:1], v[9:10] offset1:1
	ds_write2_b64 v119, v[4:5], v[15:16] offset1:1
	ds_write2_b64 v31, v[17:18], v[21:22] offset0:2 offset1:3
	ds_write2_b64 v117, v[19:20], v[25:26] offset1:1
	ds_write2_b64 v31, v[27:28], v[32:33] offset0:4 offset1:5
	ds_write2_b64 v118, v[29:30], v[34:35] offset1:1
	ds_write2_b64 v31, v[36:37], v[48:49] offset0:6 offset1:7
	ds_write2_b64 v115, v[38:39], v[50:51] offset1:1
	v_min_u32_e32 v131, v114, v11
	ds_write2_b64 v31, v[52:53], v[64:65] offset0:8 offset1:9
	ds_write2_b64 v116, v[54:55], v[66:67] offset1:1
	ds_write2_b64 v31, v[70:71], v[86:87] offset0:10 offset1:11
	ds_write2_b64 v128, v[68:69], v[80:81] offset1:1
	;; [unrolled: 2-line block ×3, first 2 shown]
	ds_write2_b64 v31, v[102:103], v[23:24] offset0:14 offset1:15
	s_waitcnt lgkmcnt(15)
	ds_write2_b64 v130, v[98:99], v[112:113] offset1:1
	v_add_nc_u32_e32 v11, 0x80, v131
	v_sub_nc_u32_e32 v133, v131, v8
	; wave barrier
	v_min_u32_e32 v132, v114, v11
	v_min_u32_e32 v135, v134, v133
	v_lshl_add_u32 v133, v8, 3, v12
	v_sub_nc_u32_e32 v11, v132, v131
	v_sub_nc_u32_e64 v11, v134, v11 clamp
	v_cmpx_lt_u32_e64 v11, v135
	s_cbranch_execz .LBB716_326
; %bb.323:
	v_lshlrev_b32_e32 v144, 3, v131
	v_lshlrev_b32_e32 v145, 3, v134
	s_mov_b32 s25, 0
	v_add3_u32 v144, v12, v144, v145
	.p2align	6
.LBB716_324:                            ; =>This Inner Loop Header: Depth=1
	v_add_nc_u32_e32 v145, v135, v11
	v_lshrrev_b32_e32 v149, 1, v145
	v_not_b32_e32 v145, v149
	v_lshl_add_u32 v146, v149, 3, v133
	v_lshl_add_u32 v147, v145, 3, v144
	ds_read_b64 v[145:146], v146
	ds_read_b64 v[147:148], v147
	s_waitcnt lgkmcnt(1)
	v_and_b32_e32 v146, v146, v161
	v_and_b32_e32 v145, v145, v160
	s_waitcnt lgkmcnt(0)
	v_and_b32_e32 v148, v148, v161
	v_and_b32_e32 v147, v147, v160
	v_cmp_gt_u64_e64 s23, v[147:148], v[145:146]
	v_add_nc_u32_e32 v145, 1, v149
	v_cndmask_b32_e64 v135, v135, v149, s23
	v_cndmask_b32_e64 v11, v145, v11, s23
	v_cmp_ge_u32_e64 s23, v11, v135
	s_or_b32 s25, s23, s25
	s_andn2_b32 exec_lo, exec_lo, s25
	s_cbranch_execnz .LBB716_324
; %bb.325:
	s_or_b32 exec_lo, exec_lo, s25
.LBB716_326:
	s_or_b32 exec_lo, exec_lo, s24
	v_add_nc_u32_e32 v135, v131, v134
	v_add_nc_u32_e32 v134, v11, v8
	v_sub_nc_u32_e32 v135, v135, v11
	v_cmp_le_u32_e64 s23, v134, v131
	v_cmp_le_u32_e64 s24, v135, v132
	s_or_b32 s23, s23, s24
	s_and_saveexec_b32 s26, s23
	s_cbranch_execz .LBB716_332
; %bb.327:
	v_cmp_lt_u32_e64 s23, v134, v131
                                        ; implicit-def: $vgpr8_vgpr9
	s_and_saveexec_b32 s24, s23
; %bb.328:
	v_lshl_add_u32 v0, v11, 3, v133
	ds_read_b64 v[8:9], v0
; %bb.329:
	s_or_b32 exec_lo, exec_lo, s24
	v_cmp_ge_u32_e64 s24, v135, v132
	s_mov_b32 s27, exec_lo
                                        ; implicit-def: $vgpr10_vgpr11
	v_cmpx_lt_u32_e64 v135, v132
; %bb.330:
	v_lshl_add_u32 v0, v135, 3, v12
	ds_read_b64 v[10:11], v0
; %bb.331:
	s_or_b32 exec_lo, exec_lo, s27
	s_waitcnt lgkmcnt(0)
	v_and_b32_e32 v1, v11, v161
	v_and_b32_e32 v0, v10, v160
	;; [unrolled: 1-line block ×4, first 2 shown]
	v_cmp_le_u64_e64 s25, v[0:1], v[4:5]
	s_and_b32 s23, s23, s25
	s_or_b32 s23, s24, s23
	v_cndmask_b32_e64 v15, v135, v134, s23
	v_cndmask_b32_e64 v16, v132, v131, s23
	v_cndmask_b32_e64 v1, v11, v9, s23
	v_cndmask_b32_e64 v0, v10, v8, s23
	v_lshl_add_u32 v4, v15, 3, v12
	v_add_nc_u32_e32 v17, 1, v15
	v_add_nc_u32_e32 v15, -1, v16
	ds_read_b64 v[4:5], v4 offset:32768
	v_cndmask_b32_e64 v24, v134, v17, s23
	v_min_u32_e32 v15, v17, v15
	v_cndmask_b32_e64 v23, v17, v135, s23
	v_cmp_lt_u32_e64 s24, v24, v131
	v_lshl_add_u32 v15, v15, 3, v12
	ds_read_b64 v[15:16], v15
	s_waitcnt lgkmcnt(0)
	v_cndmask_b32_e64 v19, v16, v11, s23
	v_cndmask_b32_e64 v20, v15, v10, s23
	v_cndmask_b32_e64 v21, v9, v16, s23
	v_cndmask_b32_e64 v22, v8, v15, s23
	v_cmp_ge_u32_e64 s23, v23, v132
	v_and_b32_e32 v9, v19, v161
	v_and_b32_e32 v8, v20, v160
	;; [unrolled: 1-line block ×4, first 2 shown]
	v_cmp_le_u64_e64 s25, v[8:9], v[10:11]
	s_and_b32 s24, s24, s25
	s_or_b32 s23, s23, s24
	v_cndmask_b32_e64 v8, v23, v24, s23
	v_cndmask_b32_e64 v11, v132, v131, s23
	;; [unrolled: 1-line block ×4, first 2 shown]
	v_lshl_add_u32 v15, v8, 3, v12
	v_add_nc_u32_e32 v8, 1, v8
	v_add_nc_u32_e32 v11, -1, v11
	ds_read_b64 v[15:16], v15 offset:32768
	v_cndmask_b32_e64 v23, v8, v23, s23
	v_min_u32_e32 v11, v8, v11
	v_cndmask_b32_e64 v8, v24, v8, s23
	v_lshl_add_u32 v11, v11, 3, v12
	v_cmp_lt_u32_e64 s24, v8, v131
	ds_read_b64 v[17:18], v11
	s_waitcnt lgkmcnt(0)
	v_cndmask_b32_e64 v11, v18, v19, s23
	v_cndmask_b32_e64 v25, v17, v20, s23
	;; [unrolled: 1-line block ×4, first 2 shown]
	v_cmp_ge_u32_e64 s23, v23, v132
	v_and_b32_e32 v18, v11, v161
	v_and_b32_e32 v17, v25, v160
	;; [unrolled: 1-line block ×4, first 2 shown]
	v_cmp_le_u64_e64 s25, v[17:18], v[19:20]
	s_and_b32 s24, s24, s25
	s_or_b32 s23, s23, s24
	v_cndmask_b32_e64 v21, v23, v8, s23
	v_cndmask_b32_e64 v22, v132, v131, s23
	;; [unrolled: 1-line block ×4, first 2 shown]
	v_lshl_add_u32 v19, v21, 3, v12
	v_add_nc_u32_e32 v24, 1, v21
	v_add_nc_u32_e32 v21, -1, v22
	ds_read_b64 v[19:20], v19 offset:32768
	v_cndmask_b32_e64 v30, v24, v23, s23
	v_min_u32_e32 v21, v24, v21
	v_cndmask_b32_e64 v8, v8, v24, s23
	v_lshl_add_u32 v21, v21, 3, v12
	v_cmp_lt_u32_e64 s24, v8, v131
	ds_read_b64 v[21:22], v21
	s_waitcnt lgkmcnt(0)
	v_cndmask_b32_e64 v11, v22, v11, s23
	v_cndmask_b32_e64 v28, v21, v25, s23
	;; [unrolled: 1-line block ×4, first 2 shown]
	v_cmp_ge_u32_e64 s23, v30, v132
	v_and_b32_e32 v22, v11, v161
	v_and_b32_e32 v21, v28, v160
	;; [unrolled: 1-line block ×4, first 2 shown]
	v_cmp_le_u64_e64 s25, v[21:22], v[23:24]
	s_and_b32 s24, s24, s25
	s_or_b32 s23, s23, s24
	v_cndmask_b32_e64 v23, v30, v8, s23
	v_cndmask_b32_e64 v24, v132, v131, s23
	;; [unrolled: 1-line block ×4, first 2 shown]
	v_lshl_add_u32 v25, v23, 3, v12
	v_add_nc_u32_e32 v32, 1, v23
	v_add_nc_u32_e32 v23, -1, v24
	ds_read_b64 v[25:26], v25 offset:32768
	v_cndmask_b32_e64 v8, v8, v32, s23
	v_min_u32_e32 v23, v32, v23
	v_cndmask_b32_e64 v36, v32, v30, s23
	v_cmp_lt_u32_e64 s24, v8, v131
	v_lshl_add_u32 v23, v23, 3, v12
	ds_read_b64 v[23:24], v23
	s_waitcnt lgkmcnt(0)
	v_cndmask_b32_e64 v11, v24, v11, s23
	v_cndmask_b32_e64 v33, v23, v28, s23
	v_cndmask_b32_e64 v34, v29, v24, s23
	v_cndmask_b32_e64 v35, v27, v23, s23
	v_cmp_ge_u32_e64 s23, v36, v132
	v_and_b32_e32 v24, v11, v161
	v_and_b32_e32 v23, v33, v160
	v_and_b32_e32 v28, v34, v161
	v_and_b32_e32 v27, v35, v160
	v_cmp_le_u64_e64 s25, v[23:24], v[27:28]
	s_and_b32 s24, s24, s25
	s_or_b32 s23, s23, s24
	v_cndmask_b32_e64 v23, v36, v8, s23
	v_cndmask_b32_e64 v24, v132, v131, s23
	v_cndmask_b32_e64 v28, v11, v34, s23
	v_cndmask_b32_e64 v27, v33, v35, s23
	v_lshl_add_u32 v29, v23, 3, v12
	v_add_nc_u32_e32 v32, 1, v23
	v_add_nc_u32_e32 v23, -1, v24
	ds_read_b64 v[29:30], v29 offset:32768
	v_cndmask_b32_e64 v36, v32, v36, s23
	v_min_u32_e32 v23, v32, v23
	v_cndmask_b32_e64 v8, v8, v32, s23
	v_lshl_add_u32 v23, v23, 3, v12
	v_cmp_lt_u32_e64 s24, v8, v131
	ds_read_b64 v[23:24], v23
	s_waitcnt lgkmcnt(0)
	v_cndmask_b32_e64 v11, v24, v11, s23
	v_cndmask_b32_e64 v37, v23, v33, s23
	v_cndmask_b32_e64 v38, v34, v24, s23
	v_cndmask_b32_e64 v39, v35, v23, s23
	v_cmp_ge_u32_e64 s23, v36, v132
	v_and_b32_e32 v24, v11, v161
	v_and_b32_e32 v23, v37, v160
	v_and_b32_e32 v33, v38, v161
	v_and_b32_e32 v32, v39, v160
	v_cmp_le_u64_e64 s25, v[23:24], v[32:33]
	s_and_b32 s24, s24, s25
	s_or_b32 s23, s23, s24
	v_cndmask_b32_e64 v23, v36, v8, s23
	v_cndmask_b32_e64 v24, v132, v131, s23
	v_cndmask_b32_e64 v33, v11, v38, s23
	v_cndmask_b32_e64 v32, v37, v39, s23
	v_lshl_add_u32 v34, v23, 3, v12
	v_add_nc_u32_e32 v48, 1, v23
	v_add_nc_u32_e32 v23, -1, v24
	ds_read_b64 v[34:35], v34 offset:32768
	v_cndmask_b32_e64 v52, v48, v36, s23
	v_min_u32_e32 v23, v48, v23
	v_cndmask_b32_e64 v8, v8, v48, s23
	v_lshl_add_u32 v23, v23, 3, v12
	v_cmp_lt_u32_e64 s24, v8, v131
	;; [unrolled: 27-line block ×7, first 2 shown]
	ds_read_b64 v[23:24], v23
	s_waitcnt lgkmcnt(0)
	v_cndmask_b32_e64 v11, v24, v11, s23
	v_cndmask_b32_e64 v85, v23, v81, s23
	;; [unrolled: 1-line block ×4, first 2 shown]
	v_cmp_ge_u32_e64 s23, v84, v132
	v_and_b32_e32 v24, v11, v161
	v_and_b32_e32 v23, v85, v160
	;; [unrolled: 1-line block ×4, first 2 shown]
	v_cmp_le_u64_e64 s25, v[23:24], v[80:81]
	s_and_b32 s24, s24, s25
	s_or_b32 s23, s23, s24
	v_cndmask_b32_e64 v23, v84, v8, s23
	v_cndmask_b32_e64 v24, v132, v131, s23
	;; [unrolled: 1-line block ×4, first 2 shown]
	v_lshl_add_u32 v80, v23, 3, v12
	v_add_nc_u32_e32 v96, 1, v23
	v_add_nc_u32_e32 v23, -1, v24
	ds_read_b64 v[80:81], v80 offset:32768
	v_cndmask_b32_e64 v8, v8, v96, s23
	v_min_u32_e32 v23, v96, v23
	v_cndmask_b32_e64 v101, v96, v84, s23
	v_cmp_lt_u32_e64 s24, v8, v131
	v_lshl_add_u32 v23, v23, 3, v12
	ds_read_b64 v[23:24], v23
	s_waitcnt lgkmcnt(0)
	v_cndmask_b32_e64 v11, v24, v11, s23
	v_cndmask_b32_e64 v98, v23, v85, s23
	;; [unrolled: 1-line block ×4, first 2 shown]
	v_cmp_ge_u32_e64 s23, v101, v132
	v_and_b32_e32 v24, v11, v161
	v_and_b32_e32 v23, v98, v160
	;; [unrolled: 1-line block ×4, first 2 shown]
	v_cmp_le_u64_e64 s25, v[23:24], v[82:83]
	s_and_b32 s24, s24, s25
	s_or_b32 s23, s23, s24
	v_cndmask_b32_e64 v23, v101, v8, s23
	v_cndmask_b32_e64 v24, v132, v131, s23
	;; [unrolled: 1-line block ×4, first 2 shown]
	v_lshl_add_u32 v82, v23, 3, v12
	ds_read_b64 v[84:85], v82 offset:32768
	v_add_nc_u32_e32 v82, 1, v23
	v_add_nc_u32_e32 v23, -1, v24
	v_cndmask_b32_e64 v103, v82, v101, s23
	v_min_u32_e32 v23, v82, v23
	v_cndmask_b32_e64 v8, v8, v82, s23
	v_lshl_add_u32 v23, v23, 3, v12
	v_cmp_lt_u32_e64 s24, v8, v131
	ds_read_b64 v[23:24], v23
	s_waitcnt lgkmcnt(0)
	v_cndmask_b32_e64 v11, v24, v11, s23
	v_cndmask_b32_e64 v98, v23, v98, s23
	;; [unrolled: 1-line block ×4, first 2 shown]
	v_cmp_ge_u32_e64 s23, v103, v132
	v_and_b32_e32 v24, v11, v161
	v_and_b32_e32 v23, v98, v160
	;; [unrolled: 1-line block ×4, first 2 shown]
	v_cmp_le_u64_e64 s25, v[23:24], v[82:83]
	s_and_b32 s24, s24, s25
	s_or_b32 s23, s23, s24
	v_cndmask_b32_e64 v23, v103, v8, s23
	v_cndmask_b32_e64 v24, v132, v131, s23
	;; [unrolled: 1-line block ×4, first 2 shown]
	v_lshl_add_u32 v100, v23, 3, v12
	v_add_nc_u32_e32 v112, 1, v23
	v_add_nc_u32_e32 v23, -1, v24
	ds_read_b64 v[100:101], v100 offset:32768
	v_cndmask_b32_e64 v8, v8, v112, s23
	v_min_u32_e32 v23, v112, v23
	v_cndmask_b32_e64 v135, v112, v103, s23
	v_cmp_lt_u32_e64 s24, v8, v131
	v_lshl_add_u32 v23, v23, 3, v12
	ds_read_b64 v[23:24], v23
	s_waitcnt lgkmcnt(0)
	v_cndmask_b32_e64 v11, v24, v11, s23
	v_cndmask_b32_e64 v113, v23, v98, s23
	v_cndmask_b32_e64 v133, v99, v24, s23
	v_cndmask_b32_e64 v134, v102, v23, s23
	v_cmp_ge_u32_e64 s23, v135, v132
	v_and_b32_e32 v24, v11, v161
	v_and_b32_e32 v23, v113, v160
	;; [unrolled: 1-line block ×4, first 2 shown]
	v_cmp_le_u64_e64 s25, v[23:24], v[98:99]
	s_and_b32 s24, s24, s25
	s_or_b32 s23, s23, s24
	v_cndmask_b32_e64 v23, v135, v8, s23
	v_cndmask_b32_e64 v24, v132, v131, s23
	;; [unrolled: 1-line block ×4, first 2 shown]
	v_lshl_add_u32 v98, v23, 3, v12
	v_add_nc_u32_e32 v112, 1, v23
	v_add_nc_u32_e32 v23, -1, v24
	ds_read_b64 v[98:99], v98 offset:32768
	v_cndmask_b32_e64 v135, v112, v135, s23
	v_min_u32_e32 v23, v112, v23
	v_cndmask_b32_e64 v8, v8, v112, s23
	v_lshl_add_u32 v23, v23, 3, v12
	v_cmp_lt_u32_e64 s24, v8, v131
	ds_read_b64 v[23:24], v23
	s_waitcnt lgkmcnt(0)
	v_cndmask_b32_e64 v11, v24, v11, s23
	v_cndmask_b32_e64 v144, v23, v113, s23
	;; [unrolled: 1-line block ×4, first 2 shown]
	v_cmp_ge_u32_e64 s23, v135, v132
	v_and_b32_e32 v24, v11, v161
	v_and_b32_e32 v23, v144, v160
	;; [unrolled: 1-line block ×4, first 2 shown]
	v_cmp_le_u64_e64 s25, v[23:24], v[112:113]
	s_and_b32 s24, s24, s25
	s_or_b32 s23, s23, s24
	v_cndmask_b32_e64 v8, v135, v8, s23
	v_cndmask_b32_e64 v24, v11, v133, s23
	;; [unrolled: 1-line block ×3, first 2 shown]
	v_lshl_add_u32 v8, v8, 3, v12
	ds_read_b64 v[112:113], v8 offset:32768
.LBB716_332:
	s_or_b32 exec_lo, exec_lo, s26
	v_min_u32_e32 v11, 0x100, v114
	; wave barrier
	ds_write2_b64 v31, v[0:1], v[9:10] offset1:1
	ds_write2_b64 v119, v[4:5], v[15:16] offset1:1
	ds_write2_b64 v31, v[17:18], v[21:22] offset0:2 offset1:3
	ds_write2_b64 v117, v[19:20], v[25:26] offset1:1
	ds_write2_b64 v31, v[27:28], v[32:33] offset0:4 offset1:5
	ds_write2_b64 v118, v[29:30], v[34:35] offset1:1
	v_add_nc_u32_e32 v8, 0x100, v11
	ds_write2_b64 v31, v[36:37], v[48:49] offset0:6 offset1:7
	ds_write2_b64 v115, v[38:39], v[50:51] offset1:1
	ds_write2_b64 v31, v[52:53], v[64:65] offset0:8 offset1:9
	ds_write2_b64 v116, v[54:55], v[66:67] offset1:1
	s_mov_b32 s24, exec_lo
	ds_write2_b64 v31, v[70:71], v[86:87] offset0:10 offset1:11
	ds_write2_b64 v128, v[68:69], v[80:81] offset1:1
	ds_write2_b64 v31, v[96:97], v[82:83] offset0:12 offset1:13
	ds_write2_b64 v129, v[84:85], v[100:101] offset1:1
	ds_write2_b64 v31, v[102:103], v[23:24] offset0:14 offset1:15
	s_waitcnt lgkmcnt(15)
	ds_write2_b64 v130, v[98:99], v[112:113] offset1:1
	v_min_u32_e32 v119, v114, v8
	v_min_u32_e32 v8, v114, v151
	; wave barrier
	v_sub_nc_u32_e32 v114, v119, v11
	v_min_u32_e32 v115, v8, v11
	v_sub_nc_u32_e64 v114, v8, v114 clamp
	v_cmpx_lt_u32_e64 v114, v115
	s_cbranch_execz .LBB716_336
; %bb.333:
	v_lshlrev_b32_e32 v31, 3, v11
	v_lshlrev_b32_e32 v116, 3, v8
	s_mov_b32 s25, 0
	v_add3_u32 v31, v12, v31, v116
	.p2align	6
.LBB716_334:                            ; =>This Inner Loop Header: Depth=1
	v_add_nc_u32_e32 v116, v115, v114
	v_lshrrev_b32_e32 v118, 1, v116
	v_not_b32_e32 v116, v118
	v_lshl_add_u32 v117, v118, 3, v12
	v_lshl_add_u32 v128, v116, 3, v31
	ds_read_b64 v[116:117], v117
	ds_read_b64 v[128:129], v128
	s_waitcnt lgkmcnt(1)
	v_and_b32_e32 v117, v117, v161
	v_and_b32_e32 v116, v116, v160
	s_waitcnt lgkmcnt(0)
	v_and_b32_e32 v129, v129, v161
	v_and_b32_e32 v128, v128, v160
	v_cmp_gt_u64_e64 s23, v[128:129], v[116:117]
	v_add_nc_u32_e32 v116, 1, v118
	v_cndmask_b32_e64 v115, v115, v118, s23
	v_cndmask_b32_e64 v114, v116, v114, s23
	v_cmp_ge_u32_e64 s23, v114, v115
	s_or_b32 s25, s23, s25
	s_andn2_b32 exec_lo, exec_lo, s25
	s_cbranch_execnz .LBB716_334
; %bb.335:
	s_or_b32 exec_lo, exec_lo, s25
.LBB716_336:
	s_or_b32 exec_lo, exec_lo, s24
	v_add_nc_u32_e32 v8, v11, v8
	v_cmp_le_u32_e64 s23, v114, v11
	v_sub_nc_u32_e32 v31, v8, v114
	v_cmp_le_u32_e64 s24, v31, v119
	s_or_b32 s23, s23, s24
	s_and_saveexec_b32 s59, s23
	s_cbranch_execz .LBB716_342
; %bb.337:
	v_cmp_lt_u32_e64 s23, v114, v11
                                        ; implicit-def: $vgpr0_vgpr1
	s_and_saveexec_b32 s24, s23
; %bb.338:
	v_lshl_add_u32 v0, v114, 3, v12
	ds_read_b64 v[0:1], v0
; %bb.339:
	s_or_b32 exec_lo, exec_lo, s24
	v_cmp_ge_u32_e64 s24, v31, v119
	s_mov_b32 s26, exec_lo
                                        ; implicit-def: $vgpr8_vgpr9
	v_cmpx_lt_u32_e64 v31, v119
; %bb.340:
	v_lshl_add_u32 v4, v31, 3, v12
	ds_read_b64 v[8:9], v4
; %bb.341:
	s_or_b32 exec_lo, exec_lo, s26
	s_waitcnt lgkmcnt(0)
	v_and_b32_e32 v5, v9, v161
	v_and_b32_e32 v4, v8, v160
	;; [unrolled: 1-line block ×4, first 2 shown]
	v_cmp_le_u64_e64 s25, v[4:5], v[15:16]
	s_and_b32 s23, s23, s25
	s_or_b32 s23, s24, s23
	v_cndmask_b32_e64 v4, v31, v114, s23
	v_cndmask_b32_e64 v5, v119, v11, s23
	v_add_nc_u32_e32 v22, 1, v4
	v_add_nc_u32_e32 v5, -1, v5
	v_lshl_add_u32 v4, v4, 3, v12
	v_cndmask_b32_e64 v25, v22, v31, s23
	v_min_u32_e32 v5, v22, v5
	v_cmp_ge_u32_e64 s26, v25, v119
	v_lshl_add_u32 v5, v5, 3, v12
	ds_read_b64 v[15:16], v5
	v_cndmask_b32_e64 v5, v114, v22, s23
	v_cmp_lt_u32_e64 s25, v5, v11
	s_waitcnt lgkmcnt(0)
	v_cndmask_b32_e64 v10, v16, v9, s23
	v_cndmask_b32_e64 v17, v15, v8, s23
	;; [unrolled: 1-line block ×5, first 2 shown]
	v_and_b32_e32 v16, v10, v161
	v_and_b32_e32 v15, v17, v160
	;; [unrolled: 1-line block ×4, first 2 shown]
	v_cndmask_b32_e64 v1, v9, v1, s23
	v_cmp_le_u64_e64 s24, v[15:16], v[19:20]
	s_and_b32 s24, s25, s24
	s_or_b32 s24, s26, s24
	v_cndmask_b32_e64 v26, v25, v5, s24
	v_cndmask_b32_e64 v15, v119, v11, s24
	;; [unrolled: 1-line block ×3, first 2 shown]
	v_add_nc_u32_e32 v28, 1, v26
	v_add_nc_u32_e32 v15, -1, v15
	v_cndmask_b32_e64 v5, v5, v28, s24
	v_min_u32_e32 v15, v28, v15
	v_cndmask_b32_e64 v25, v28, v25, s24
	v_cmp_lt_u32_e64 s26, v5, v11
	v_lshl_add_u32 v15, v15, 3, v12
	v_cmp_ge_u32_e64 s27, v25, v119
	ds_read_b64 v[15:16], v15
	s_waitcnt lgkmcnt(0)
	v_cndmask_b32_e64 v24, v16, v10, s24
	v_cndmask_b32_e64 v22, v15, v17, s24
	;; [unrolled: 1-line block ×5, first 2 shown]
	v_and_b32_e32 v16, v24, v161
	v_and_b32_e32 v15, v22, v160
	;; [unrolled: 1-line block ×4, first 2 shown]
	v_cmp_le_u64_e64 s25, v[15:16], v[19:20]
	s_and_b32 s25, s26, s25
	s_or_b32 s25, s27, s25
	v_cndmask_b32_e64 v28, v25, v5, s25
	v_cndmask_b32_e64 v15, v119, v11, s25
	;; [unrolled: 1-line block ×4, first 2 shown]
	v_add_nc_u32_e32 v29, 1, v28
	v_add_nc_u32_e32 v15, -1, v15
	v_cndmask_b32_e64 v5, v5, v29, s25
	v_min_u32_e32 v15, v29, v15
	v_cndmask_b32_e64 v25, v29, v25, s25
	v_cmp_lt_u32_e64 s27, v5, v11
	v_lshl_add_u32 v15, v15, 3, v12
	v_cmp_ge_u32_e64 s28, v25, v119
	ds_read_b64 v[15:16], v15
	s_waitcnt lgkmcnt(0)
	v_cndmask_b32_e64 v33, v16, v24, s25
	v_cndmask_b32_e64 v48, v15, v22, s25
	;; [unrolled: 1-line block ×4, first 2 shown]
	v_and_b32_e32 v16, v33, v161
	v_and_b32_e32 v15, v48, v160
	;; [unrolled: 1-line block ×4, first 2 shown]
	v_cmp_le_u64_e64 s26, v[15:16], v[19:20]
	s_and_b32 s26, s27, s26
	s_or_b32 s26, s28, s26
	v_cndmask_b32_e64 v29, v25, v5, s26
	v_cndmask_b32_e64 v15, v119, v11, s26
	;; [unrolled: 1-line block ×4, first 2 shown]
	v_add_nc_u32_e32 v30, 1, v29
	v_add_nc_u32_e32 v15, -1, v15
	v_cndmask_b32_e64 v5, v5, v30, s26
	v_min_u32_e32 v15, v30, v15
	v_cndmask_b32_e64 v25, v30, v25, s26
	v_cmp_lt_u32_e64 s28, v5, v11
	v_lshl_add_u32 v15, v15, 3, v12
	v_cmp_ge_u32_e64 s29, v25, v119
	ds_read_b64 v[15:16], v15
	s_waitcnt lgkmcnt(0)
	v_cndmask_b32_e64 v53, v16, v33, s26
	v_cndmask_b32_e64 v64, v15, v48, s26
	;; [unrolled: 1-line block ×4, first 2 shown]
	v_and_b32_e32 v16, v53, v161
	v_and_b32_e32 v15, v64, v160
	v_and_b32_e32 v20, v65, v161
	v_and_b32_e32 v19, v70, v160
	v_cmp_le_u64_e64 s27, v[15:16], v[19:20]
	s_and_b32 s27, s28, s27
	s_or_b32 s27, s29, s27
	v_cndmask_b32_e64 v30, v25, v5, s27
	v_cndmask_b32_e64 v15, v119, v11, s27
	;; [unrolled: 1-line block ×3, first 2 shown]
	v_add_nc_u32_e32 v31, 1, v30
	v_add_nc_u32_e32 v15, -1, v15
	v_cndmask_b32_e64 v5, v5, v31, s27
	v_min_u32_e32 v15, v31, v15
	v_cndmask_b32_e64 v25, v31, v25, s27
	v_cmp_lt_u32_e64 s29, v5, v11
	v_lshl_add_u32 v15, v15, 3, v12
	v_cmp_ge_u32_e64 s40, v25, v119
	ds_read_b64 v[15:16], v15
	s_waitcnt lgkmcnt(0)
	v_cndmask_b32_e64 v71, v16, v53, s27
	v_cndmask_b32_e64 v82, v15, v64, s27
	;; [unrolled: 1-line block ×4, first 2 shown]
	v_and_b32_e32 v16, v71, v161
	v_and_b32_e32 v15, v82, v160
	;; [unrolled: 1-line block ×4, first 2 shown]
	v_cmp_le_u64_e64 s28, v[15:16], v[19:20]
	s_and_b32 s28, s29, s28
	s_or_b32 s28, s40, s28
	v_cndmask_b32_e64 v31, v25, v5, s28
	v_cndmask_b32_e64 v15, v119, v11, s28
	;; [unrolled: 1-line block ×3, first 2 shown]
	v_add_nc_u32_e32 v32, 1, v31
	v_add_nc_u32_e32 v15, -1, v15
	v_cndmask_b32_e64 v5, v5, v32, s28
	v_min_u32_e32 v15, v32, v15
	v_cndmask_b32_e64 v25, v32, v25, s28
	v_cmp_lt_u32_e64 s40, v5, v11
	v_lshl_add_u32 v15, v15, 3, v12
	v_cmp_ge_u32_e64 s41, v25, v119
	ds_read_b64 v[15:16], v15
	s_waitcnt lgkmcnt(0)
	v_cndmask_b32_e64 v87, v16, v71, s28
	v_cndmask_b32_e64 v96, v15, v82, s28
	;; [unrolled: 1-line block ×4, first 2 shown]
	v_and_b32_e32 v16, v87, v161
	v_and_b32_e32 v15, v96, v160
	;; [unrolled: 1-line block ×4, first 2 shown]
	v_cmp_le_u64_e64 s29, v[15:16], v[19:20]
	s_and_b32 s29, s40, s29
	s_or_b32 s29, s41, s29
	v_cndmask_b32_e64 v32, v25, v5, s29
	v_cndmask_b32_e64 v15, v119, v11, s29
	v_add_nc_u32_e32 v34, 1, v32
	v_add_nc_u32_e32 v15, -1, v15
	v_lshl_add_u32 v39, v32, 3, v12
	v_cndmask_b32_e64 v5, v5, v34, s29
	v_min_u32_e32 v15, v34, v15
	v_cndmask_b32_e64 v25, v34, v25, s29
	v_cmp_lt_u32_e64 s41, v5, v11
	v_lshl_add_u32 v15, v15, 3, v12
	v_cmp_ge_u32_e64 s42, v25, v119
	ds_read_b64 v[15:16], v15
	s_waitcnt lgkmcnt(0)
	v_cndmask_b32_e64 v103, v16, v87, s29
	v_cndmask_b32_e64 v112, v15, v96, s29
	;; [unrolled: 1-line block ×4, first 2 shown]
	v_and_b32_e32 v16, v103, v161
	v_and_b32_e32 v15, v112, v160
	;; [unrolled: 1-line block ×4, first 2 shown]
	v_cmp_le_u64_e64 s40, v[15:16], v[19:20]
	s_and_b32 s40, s41, s40
	s_or_b32 s40, s42, s40
	v_cndmask_b32_e64 v34, v25, v5, s40
	v_cndmask_b32_e64 v15, v119, v11, s40
	;; [unrolled: 1-line block ×4, first 2 shown]
	v_add_nc_u32_e32 v35, 1, v34
	v_add_nc_u32_e32 v15, -1, v15
	v_lshl_add_u32 v50, v34, 3, v12
	v_cndmask_b32_e64 v5, v5, v35, s40
	v_min_u32_e32 v15, v35, v15
	v_cndmask_b32_e64 v25, v35, v25, s40
	v_cmp_lt_u32_e64 s42, v5, v11
	v_lshl_add_u32 v15, v15, 3, v12
	v_cmp_ge_u32_e64 s43, v25, v119
	ds_read_b64 v[15:16], v15
	s_waitcnt lgkmcnt(0)
	v_cndmask_b32_e64 v115, v16, v103, s40
	v_cndmask_b32_e64 v116, v15, v112, s40
	;; [unrolled: 1-line block ×4, first 2 shown]
	v_and_b32_e32 v16, v115, v161
	v_and_b32_e32 v15, v116, v160
	;; [unrolled: 1-line block ×4, first 2 shown]
	v_cmp_le_u64_e64 s41, v[15:16], v[19:20]
	s_and_b32 s41, s42, s41
	s_or_b32 s41, s43, s41
	v_cndmask_b32_e64 v35, v25, v5, s41
	v_cndmask_b32_e64 v15, v119, v11, s41
	;; [unrolled: 1-line block ×3, first 2 shown]
	v_add_nc_u32_e32 v36, 1, v35
	v_add_nc_u32_e32 v15, -1, v15
	v_cndmask_b32_e64 v5, v5, v36, s41
	v_min_u32_e32 v15, v36, v15
	v_cndmask_b32_e64 v25, v36, v25, s41
	v_cmp_lt_u32_e64 s43, v5, v11
	v_lshl_add_u32 v15, v15, 3, v12
	v_cmp_ge_u32_e64 s44, v25, v119
	ds_read_b64 v[15:16], v15
	s_waitcnt lgkmcnt(0)
	v_cndmask_b32_e64 v128, v16, v115, s41
	v_cndmask_b32_e64 v129, v15, v116, s41
	;; [unrolled: 1-line block ×4, first 2 shown]
	v_and_b32_e32 v16, v128, v161
	v_and_b32_e32 v15, v129, v160
	v_and_b32_e32 v20, v130, v161
	v_and_b32_e32 v19, v131, v160
	v_cmp_le_u64_e64 s42, v[15:16], v[19:20]
	s_and_b32 s42, s43, s42
	s_or_b32 s42, s44, s42
	v_cndmask_b32_e64 v36, v25, v5, s42
	v_cndmask_b32_e64 v15, v119, v11, s42
	;; [unrolled: 1-line block ×3, first 2 shown]
	v_add_nc_u32_e32 v37, 1, v36
	v_add_nc_u32_e32 v15, -1, v15
	v_lshl_add_u32 v36, v36, 3, v12
	v_cndmask_b32_e64 v5, v5, v37, s42
	v_min_u32_e32 v15, v37, v15
	v_cndmask_b32_e64 v25, v37, v25, s42
	v_cmp_lt_u32_e64 s44, v5, v11
	v_lshl_add_u32 v15, v15, 3, v12
	v_cmp_ge_u32_e64 s45, v25, v119
	ds_read_b64 v[15:16], v15
	s_waitcnt lgkmcnt(0)
	v_cndmask_b32_e64 v132, v16, v128, s42
	v_cndmask_b32_e64 v133, v15, v129, s42
	;; [unrolled: 1-line block ×4, first 2 shown]
	v_and_b32_e32 v16, v132, v161
	v_and_b32_e32 v15, v133, v160
	;; [unrolled: 1-line block ×4, first 2 shown]
	v_cmp_le_u64_e64 s43, v[15:16], v[19:20]
	s_and_b32 s43, s44, s43
	s_or_b32 s43, s45, s43
	v_cndmask_b32_e64 v37, v25, v5, s43
	v_cndmask_b32_e64 v15, v119, v11, s43
	;; [unrolled: 1-line block ×4, first 2 shown]
	v_add_nc_u32_e32 v38, 1, v37
	v_add_nc_u32_e32 v15, -1, v15
	v_cndmask_b32_e64 v5, v5, v38, s43
	v_min_u32_e32 v15, v38, v15
	v_cndmask_b32_e64 v25, v38, v25, s43
	v_cmp_lt_u32_e64 s45, v5, v11
	v_lshl_add_u32 v15, v15, 3, v12
	v_cmp_ge_u32_e64 s46, v25, v119
	ds_read_b64 v[15:16], v15
	s_waitcnt lgkmcnt(0)
	v_cndmask_b32_e64 v144, v16, v132, s43
	v_cndmask_b32_e64 v145, v15, v133, s43
	v_cndmask_b32_e64 v146, v134, v16, s43
	v_cndmask_b32_e64 v147, v135, v15, s43
	v_and_b32_e32 v16, v144, v161
	v_and_b32_e32 v15, v145, v160
	v_and_b32_e32 v20, v146, v161
	v_and_b32_e32 v19, v147, v160
	v_cmp_le_u64_e64 s44, v[15:16], v[19:20]
	s_and_b32 s44, s45, s44
	s_or_b32 s44, s46, s44
	v_cndmask_b32_e64 v68, v25, v5, s44
	v_cndmask_b32_e64 v15, v119, v11, s44
	v_add_nc_u32_e32 v38, 1, v68
	v_add_nc_u32_e32 v15, -1, v15
	v_cndmask_b32_e64 v5, v5, v38, s44
	v_min_u32_e32 v15, v38, v15
	v_cndmask_b32_e64 v25, v38, v25, s44
	v_cmp_lt_u32_e64 s46, v5, v11
	v_lshl_add_u32 v15, v15, 3, v12
	v_cmp_ge_u32_e64 s47, v25, v119
	ds_read_b64 v[15:16], v15
	s_waitcnt lgkmcnt(0)
	v_cndmask_b32_e64 v148, v16, v144, s44
	v_cndmask_b32_e64 v149, v15, v145, s44
	v_cndmask_b32_e64 v151, v146, v16, s44
	v_cndmask_b32_e64 v162, v147, v15, s44
	v_and_b32_e32 v16, v148, v161
	v_and_b32_e32 v15, v149, v160
	v_and_b32_e32 v20, v151, v161
	v_and_b32_e32 v19, v162, v160
	v_cmp_le_u64_e64 s45, v[15:16], v[19:20]
	s_and_b32 s45, s46, s45
	s_or_b32 s45, s47, s45
	v_cndmask_b32_e64 v69, v25, v5, s45
	v_cndmask_b32_e64 v15, v119, v11, s45
	;; [unrolled: 23-line block ×3, first 2 shown]
	v_cndmask_b32_e64 v83, v163, v165, s46
	v_add_nc_u32_e32 v38, 1, v80
	v_add_nc_u32_e32 v15, -1, v15
	v_lshl_add_u32 v98, v80, 3, v12
	v_cndmask_b32_e64 v179, v5, v38, s46
	v_min_u32_e32 v15, v38, v15
	v_cndmask_b32_e64 v180, v38, v25, s46
	v_lshl_add_u32 v25, v29, 3, v12
	v_lshl_add_u32 v29, v30, 3, v12
	v_cmp_lt_u32_e64 s56, v179, v11
	v_lshl_add_u32 v15, v15, 3, v12
	v_cmp_ge_u32_e64 s57, v180, v119
	v_lshl_add_u32 v38, v31, 3, v12
	ds_read_b64 v[15:16], v15
	s_waitcnt lgkmcnt(0)
	v_cndmask_b32_e64 v167, v16, v163, s46
	v_cndmask_b32_e64 v176, v15, v164, s46
	;; [unrolled: 1-line block ×4, first 2 shown]
	v_and_b32_e32 v16, v167, v161
	v_and_b32_e32 v15, v176, v160
	;; [unrolled: 1-line block ×4, first 2 shown]
	v_cmp_le_u64_e64 s47, v[15:16], v[19:20]
	v_lshl_add_u32 v19, v28, 3, v12
	v_lshl_add_u32 v16, v26, 3, v12
	s_and_b32 s47, s56, s47
	s_or_b32 s47, s57, s47
	v_cndmask_b32_e64 v81, v180, v179, s47
	v_cndmask_b32_e64 v5, v119, v11, s47
	v_cndmask_b32_e64 v103, v167, v177, s47
	v_add_nc_u32_e32 v181, 1, v81
	v_add_nc_u32_e32 v15, -1, v5
	ds_read_b64 v[4:5], v4 offset:32768
	v_lshl_add_u32 v99, v81, 3, v12
	v_min_u32_e32 v28, v181, v15
	ds_read_b64 v[15:16], v16 offset:32768
	ds_read_b64 v[19:20], v19 offset:32768
	;; [unrolled: 1-line block ×4, first 2 shown]
	v_lshl_add_u32 v28, v28, 3, v12
	ds_read_b64 v[31:32], v28
	v_lshl_add_u32 v28, v35, 3, v12
	ds_read_b64 v[34:35], v38 offset:32768
	ds_read_b64 v[38:39], v39 offset:32768
	;; [unrolled: 1-line block ×5, first 2 shown]
	v_lshl_add_u32 v28, v37, 3, v12
	v_lshl_add_u32 v36, v68, 3, v12
	;; [unrolled: 1-line block ×3, first 2 shown]
	ds_read_b64 v[68:69], v28 offset:32768
	ds_read_b64 v[80:81], v36 offset:32768
	;; [unrolled: 1-line block ×5, first 2 shown]
	v_cndmask_b32_e64 v28, v53, v65, s27
	v_cndmask_b32_e64 v53, v115, v117, s41
	;; [unrolled: 1-line block ×3, first 2 shown]
	s_waitcnt lgkmcnt(10)
	v_cndmask_b32_e64 v8, v32, v167, s47
	v_cndmask_b32_e64 v182, v31, v176, s47
	;; [unrolled: 1-line block ×4, first 2 shown]
	v_and_b32_e32 v32, v8, v161
	v_and_b32_e32 v31, v182, v160
	;; [unrolled: 1-line block ×4, first 2 shown]
	v_cndmask_b32_e64 v160, v179, v181, s47
	v_cndmask_b32_e64 v161, v181, v180, s47
	v_cmp_le_u64_e64 s23, v[31:32], v[36:37]
	v_cmp_lt_u32_e64 s24, v160, v11
	v_cmp_ge_u32_e64 s25, v161, v119
	v_cndmask_b32_e64 v32, v82, v86, s28
	v_cndmask_b32_e64 v37, v87, v97, s29
	;; [unrolled: 1-line block ×3, first 2 shown]
	s_and_b32 s23, s24, s23
	v_cndmask_b32_e64 v87, v144, v146, s44
	s_or_b32 s23, s25, s23
	v_cndmask_b32_e64 v86, v145, v147, s44
	v_cndmask_b32_e64 v11, v161, v160, s23
	v_cndmask_b32_e64 v97, v148, v151, s45
	v_cndmask_b32_e64 v96, v149, v162, s45
	v_cndmask_b32_e64 v82, v164, v166, s46
	v_cndmask_b32_e64 v102, v176, v178, s47
	v_lshl_add_u32 v11, v11, 3, v12
	v_cndmask_b32_e64 v24, v8, v183, s23
	v_cndmask_b32_e64 v23, v182, v192, s23
	ds_read_b64 v[112:113], v11 offset:32768
.LBB716_342:
	s_or_b32 exec_lo, exec_lo, s59
	; wave barrier
	s_waitcnt lgkmcnt(0)
	s_waitcnt_vscnt null, 0x0
	s_barrier
                                        ; implicit-def: $vgpr151
                                        ; implicit-def: $vgpr114
                                        ; implicit-def: $vgpr115
                                        ; implicit-def: $vgpr8
.LBB716_343:
	s_andn2_saveexec_b32 s46, s58
	s_cbranch_execz .LBB716_637
; %bb.344:
	s_load_dwordx2 s[24:25], s[8:9], 0x0
	v_mov_b32_e32 v11, 0
	s_waitcnt lgkmcnt(0)
	s_cmp_lt_u32 s13, s25
	s_cselect_b32 s13, 14, 20
	s_add_u32 s26, s8, s13
	s_addc_u32 s27, s9, 0
	s_cmp_lt_u32 s12, s24
	global_load_ushort v12, v11, s[26:27]
	s_cselect_b32 s12, 12, 18
	s_add_u32 s8, s8, s12
	s_addc_u32 s9, s9, 0
	global_load_ushort v11, v11, s[8:9]
	s_mov_b32 s9, exec_lo
	s_waitcnt vmcnt(1)
	v_mad_u32_u24 v12, v115, v12, v114
	s_waitcnt vmcnt(0)
	v_mul_lo_u32 v11, v12, v11
	v_add_lshl_u32 v160, v11, v8, 4
	v_cmpx_gt_u32_e32 0x1000, v160
	s_cbranch_execz .LBB716_586
; %bb.345:
	v_mov_b32_e32 v12, v10
	v_mov_b32_e32 v115, v16
	v_mov_b32_e32 v11, v9
	v_mov_b32_e32 v114, v15
	s_mov_b32 s12, exec_lo
	v_cmpx_gt_i64_e64 v[9:10], v[0:1]
	s_cbranch_execz .LBB716_347
; %bb.346:
	v_mov_b32_e32 v12, v1
	v_mov_b32_e32 v115, v5
	v_mov_b32_e32 v11, v0
	v_mov_b32_e32 v0, v9
	v_mov_b32_e32 v114, v4
	v_mov_b32_e32 v4, v15
	v_mov_b32_e32 v1, v10
	v_mov_b32_e32 v5, v16
.LBB716_347:
	s_or_b32 exec_lo, exec_lo, s12
	v_mov_b32_e32 v15, v21
	v_mov_b32_e32 v117, v26
	v_mov_b32_e32 v16, v22
	v_mov_b32_e32 v116, v25
	s_mov_b32 s12, exec_lo
	v_cmpx_gt_i64_e64 v[21:22], v[17:18]
	s_cbranch_execz .LBB716_349
; %bb.348:
	v_mov_b32_e32 v15, v17
	v_mov_b32_e32 v117, v20
	v_mov_b32_e32 v16, v18
	v_mov_b32_e32 v17, v21
	v_mov_b32_e32 v116, v19
	v_mov_b32_e32 v19, v25
	v_mov_b32_e32 v18, v22
	v_mov_b32_e32 v20, v26
.LBB716_349:
	s_or_b32 exec_lo, exec_lo, s12
	;; [unrolled: 18-line block ×8, first 2 shown]
	v_cmp_gt_i64_e64 s8, v[17:18], v[11:12]
	v_mov_b32_e32 v49, v18
	v_mov_b32_e32 v81, v20
	;; [unrolled: 1-line block ×4, first 2 shown]
	s_and_saveexec_b32 s12, s8
	s_xor_b32 s8, exec_lo, s12
	s_cbranch_execz .LBB716_363
; %bb.362:
	v_mov_b32_e32 v49, v12
	v_mov_b32_e32 v80, v114
	v_mov_b32_e32 v48, v11
	v_mov_b32_e32 v11, v17
	v_mov_b32_e32 v81, v115
	v_mov_b32_e32 v115, v20
	v_mov_b32_e32 v12, v18
	v_mov_b32_e32 v114, v19
.LBB716_363:
	s_or_b32 exec_lo, exec_lo, s8
	v_mov_b32_e32 v17, v27
	v_mov_b32_e32 v87, v30
	v_mov_b32_e32 v18, v28
	v_mov_b32_e32 v86, v29
	s_mov_b32 s12, exec_lo
	v_cmpx_gt_i64_e64 v[27:28], v[15:16]
	s_cbranch_execz .LBB716_365
; %bb.364:
	v_mov_b32_e32 v18, v16
	v_mov_b32_e32 v86, v116
	v_mov_b32_e32 v17, v15
	v_mov_b32_e32 v15, v27
	v_mov_b32_e32 v87, v117
	v_mov_b32_e32 v117, v30
	v_mov_b32_e32 v16, v28
	v_mov_b32_e32 v116, v29
.LBB716_365:
	s_or_b32 exec_lo, exec_lo, s12
	v_mov_b32_e32 v19, v36
	v_mov_b32_e32 v97, v39
	v_mov_b32_e32 v20, v37
	v_mov_b32_e32 v96, v38
	s_mov_b32 s12, exec_lo
	v_cmpx_gt_i64_e64 v[36:37], v[21:22]
	;; [unrolled: 18-line block ×111, first 2 shown]
	s_cbranch_execz .LBB716_585
; %bb.584:
	v_mov_b32_e32 v103, v83
	v_mov_b32_e32 v101, v99
	;; [unrolled: 1-line block ×8, first 2 shown]
.LBB716_585:
	s_or_b32 exec_lo, exec_lo, s12
.LBB716_586:
	s_or_b32 exec_lo, exec_lo, s9
	v_and_b32_e32 v8, 0xfffffe00, v160
	v_or_b32_e32 v11, 16, v151
	v_and_b32_e32 v129, 16, v151
	s_mov_b32 s9, exec_lo
	v_sub_nc_u32_e64 v114, 0x1000, v8 clamp
	v_lshlrev_b32_e32 v12, 3, v8
	v_min_u32_e32 v131, v114, v11
	v_lshl_or_b32 v31, v151, 3, v12
	v_min_u32_e32 v134, v114, v129
	v_add_nc_u32_e32 v8, 16, v131
	v_add_nc_u32_e32 v128, 0x8000, v31
	;; [unrolled: 1-line block ×5, first 2 shown]
	v_min_u32_e32 v132, v114, v8
	v_and_b32_e32 v8, 0x1e0, v151
	v_add_nc_u32_e32 v117, 0x8040, v31
	v_add_nc_u32_e32 v115, 0x8050, v31
	;; [unrolled: 1-line block ×3, first 2 shown]
	v_sub_nc_u32_e32 v11, v132, v131
	v_sub_nc_u32_e32 v130, v131, v8
	v_lshl_or_b32 v133, v8, 3, v12
	ds_write2_b64 v31, v[0:1], v[9:10] offset1:1
	ds_write2_b64 v31, v[17:18], v[21:22] offset0:2 offset1:3
	v_sub_nc_u32_e64 v11, v134, v11 clamp
	v_min_u32_e32 v135, v134, v130
	v_add_nc_u32_e32 v130, 0x8070, v31
	ds_write2_b64 v31, v[27:28], v[32:33] offset0:4 offset1:5
	ds_write2_b64 v31, v[36:37], v[48:49] offset0:6 offset1:7
	;; [unrolled: 1-line block ×3, first 2 shown]
	ds_write2_b64 v128, v[4:5], v[15:16] offset1:1
	ds_write2_b64 v118, v[19:20], v[25:26] offset1:1
	;; [unrolled: 1-line block ×5, first 2 shown]
	ds_write2_b64 v31, v[70:71], v[86:87] offset0:10 offset1:11
	ds_write2_b64 v115, v[68:69], v[80:81] offset1:1
	ds_write2_b64 v31, v[96:97], v[82:83] offset0:12 offset1:13
	ds_write2_b64 v129, v[84:85], v[100:101] offset1:1
	;; [unrolled: 2-line block ×3, first 2 shown]
	; wave barrier
	v_cmpx_lt_u32_e64 v11, v135
	s_cbranch_execz .LBB716_590
; %bb.587:
	v_lshlrev_b32_e32 v144, 3, v131
	v_lshlrev_b32_e32 v145, 3, v134
	s_mov_b32 s12, 0
	v_add3_u32 v144, v12, v144, v145
	.p2align	6
.LBB716_588:                            ; =>This Inner Loop Header: Depth=1
	v_add_nc_u32_e32 v145, v135, v11
	v_lshrrev_b32_e32 v149, 1, v145
	v_not_b32_e32 v145, v149
	v_lshl_add_u32 v146, v149, 3, v133
	v_lshl_add_u32 v147, v145, 3, v144
	ds_read_b64 v[145:146], v146
	ds_read_b64 v[147:148], v147
	s_waitcnt lgkmcnt(0)
	v_cmp_gt_i64_e64 s8, v[147:148], v[145:146]
	v_add_nc_u32_e32 v145, 1, v149
	v_cndmask_b32_e64 v135, v135, v149, s8
	v_cndmask_b32_e64 v11, v145, v11, s8
	v_cmp_ge_u32_e64 s8, v11, v135
	s_or_b32 s12, s8, s12
	s_andn2_b32 exec_lo, exec_lo, s12
	s_cbranch_execnz .LBB716_588
; %bb.589:
	s_or_b32 exec_lo, exec_lo, s12
.LBB716_590:
	s_or_b32 exec_lo, exec_lo, s9
	v_add_nc_u32_e32 v135, v131, v134
	v_add_nc_u32_e32 v134, v11, v8
	v_sub_nc_u32_e32 v135, v135, v11
	v_cmp_le_u32_e64 s8, v134, v131
	v_cmp_le_u32_e64 s9, v135, v132
	s_or_b32 s8, s8, s9
	s_and_saveexec_b32 s13, s8
	s_cbranch_execz .LBB716_596
; %bb.591:
	v_cmp_lt_u32_e64 s8, v134, v131
                                        ; implicit-def: $vgpr8_vgpr9
	s_and_saveexec_b32 s9, s8
; %bb.592:
	v_lshl_add_u32 v0, v11, 3, v133
	ds_read_b64 v[8:9], v0
; %bb.593:
	s_or_b32 exec_lo, exec_lo, s9
	v_cmp_ge_u32_e64 s9, v135, v132
	s_mov_b32 s23, exec_lo
                                        ; implicit-def: $vgpr10_vgpr11
	v_cmpx_lt_u32_e64 v135, v132
; %bb.594:
	v_lshl_add_u32 v0, v135, 3, v12
	ds_read_b64 v[10:11], v0
; %bb.595:
	s_or_b32 exec_lo, exec_lo, s23
	s_waitcnt lgkmcnt(0)
	v_cmp_le_i64_e64 s12, v[10:11], v[8:9]
	s_and_b32 s8, s8, s12
	s_or_b32 s8, s9, s8
	v_cndmask_b32_e64 v15, v135, v134, s8
	v_cndmask_b32_e64 v16, v132, v131, s8
	;; [unrolled: 1-line block ×4, first 2 shown]
	v_lshl_add_u32 v4, v15, 3, v12
	v_add_nc_u32_e32 v21, 1, v15
	v_add_nc_u32_e32 v15, -1, v16
	ds_read_b64 v[4:5], v4 offset:32768
	v_min_u32_e32 v15, v21, v15
	v_lshl_add_u32 v15, v15, 3, v12
	ds_read_b64 v[15:16], v15
	s_waitcnt lgkmcnt(0)
	v_cndmask_b32_e64 v18, v16, v11, s8
	v_cndmask_b32_e64 v17, v15, v10, s8
	;; [unrolled: 1-line block ×6, first 2 shown]
	v_cmp_le_i64_e64 s12, v[17:18], v[19:20]
	v_cmp_lt_u32_e64 s9, v11, v131
	v_cmp_ge_u32_e64 s8, v8, v132
	s_and_b32 s9, s9, s12
	s_or_b32 s8, s8, s9
	v_cndmask_b32_e64 v21, v8, v11, s8
	v_cndmask_b32_e64 v22, v132, v131, s8
	v_cndmask_b32_e64 v10, v18, v20, s8
	v_cndmask_b32_e64 v9, v17, v19, s8
	v_lshl_add_u32 v15, v21, 3, v12
	v_add_nc_u32_e32 v25, 1, v21
	v_add_nc_u32_e32 v21, -1, v22
	ds_read_b64 v[15:16], v15 offset:32768
	v_cndmask_b32_e64 v11, v11, v25, s8
	v_min_u32_e32 v21, v25, v21
	v_cndmask_b32_e64 v8, v25, v8, s8
	v_cmp_lt_u32_e64 s9, v11, v131
	v_lshl_add_u32 v21, v21, 3, v12
	ds_read_b64 v[21:22], v21
	s_waitcnt lgkmcnt(0)
	v_cndmask_b32_e64 v24, v22, v18, s8
	v_cndmask_b32_e64 v23, v21, v17, s8
	v_cndmask_b32_e64 v22, v20, v22, s8
	v_cndmask_b32_e64 v21, v19, v21, s8
	v_cmp_ge_u32_e64 s8, v8, v132
	v_cmp_le_i64_e64 s12, v[23:24], v[21:22]
	s_and_b32 s9, s9, s12
	s_or_b32 s8, s8, s9
	v_cndmask_b32_e64 v25, v8, v11, s8
	v_cndmask_b32_e64 v26, v132, v131, s8
	v_cndmask_b32_e64 v18, v24, v22, s8
	v_cndmask_b32_e64 v17, v23, v21, s8
	v_lshl_add_u32 v19, v25, 3, v12
	v_add_nc_u32_e32 v29, 1, v25
	v_add_nc_u32_e32 v25, -1, v26
	ds_read_b64 v[19:20], v19 offset:32768
	v_cndmask_b32_e64 v11, v11, v29, s8
	v_min_u32_e32 v25, v29, v25
	v_cndmask_b32_e64 v8, v29, v8, s8
	v_cmp_lt_u32_e64 s9, v11, v131
	v_lshl_add_u32 v25, v25, 3, v12
	ds_read_b64 v[25:26], v25
	s_waitcnt lgkmcnt(0)
	v_cndmask_b32_e64 v24, v26, v24, s8
	v_cndmask_b32_e64 v23, v25, v23, s8
	v_cndmask_b32_e64 v28, v22, v26, s8
	v_cndmask_b32_e64 v27, v21, v25, s8
	v_cmp_ge_u32_e64 s8, v8, v132
	v_cmp_le_i64_e64 s12, v[23:24], v[27:28]
	;; [unrolled: 23-line block ×14, first 2 shown]
	s_and_b32 s9, s9, s12
	s_or_b32 s8, s8, s9
	v_cndmask_b32_e64 v8, v8, v11, s8
	v_cndmask_b32_e64 v24, v24, v113, s8
	;; [unrolled: 1-line block ×3, first 2 shown]
	v_lshl_add_u32 v8, v8, 3, v12
	ds_read_b64 v[112:113], v8 offset:32768
.LBB716_596:
	s_or_b32 exec_lo, exec_lo, s13
	v_and_b32_e32 v8, 0x1c0, v151
	v_and_b32_e32 v133, 48, v151
	s_mov_b32 s9, exec_lo
	; wave barrier
	v_or_b32_e32 v11, 32, v8
	v_min_u32_e32 v134, v114, v133
	ds_write2_b64 v31, v[0:1], v[9:10] offset1:1
	ds_write2_b64 v128, v[4:5], v[15:16] offset1:1
	ds_write2_b64 v31, v[17:18], v[21:22] offset0:2 offset1:3
	ds_write2_b64 v118, v[19:20], v[25:26] offset1:1
	ds_write2_b64 v31, v[27:28], v[32:33] offset0:4 offset1:5
	;; [unrolled: 2-line block ×3, first 2 shown]
	ds_write2_b64 v116, v[38:39], v[50:51] offset1:1
	v_min_u32_e32 v131, v114, v11
	ds_write2_b64 v31, v[52:53], v[64:65] offset0:8 offset1:9
	ds_write2_b64 v117, v[54:55], v[66:67] offset1:1
	ds_write2_b64 v31, v[70:71], v[86:87] offset0:10 offset1:11
	ds_write2_b64 v115, v[68:69], v[80:81] offset1:1
	;; [unrolled: 2-line block ×3, first 2 shown]
	ds_write2_b64 v31, v[102:103], v[23:24] offset0:14 offset1:15
	s_waitcnt lgkmcnt(15)
	ds_write2_b64 v130, v[98:99], v[112:113] offset1:1
	v_add_nc_u32_e32 v11, 32, v131
	v_sub_nc_u32_e32 v133, v131, v8
	; wave barrier
	v_min_u32_e32 v132, v114, v11
	v_min_u32_e32 v135, v134, v133
	v_lshl_add_u32 v133, v8, 3, v12
	v_sub_nc_u32_e32 v11, v132, v131
	v_sub_nc_u32_e64 v11, v134, v11 clamp
	v_cmpx_lt_u32_e64 v11, v135
	s_cbranch_execz .LBB716_600
; %bb.597:
	v_lshlrev_b32_e32 v144, 3, v131
	v_lshlrev_b32_e32 v145, 3, v134
	s_mov_b32 s12, 0
	v_add3_u32 v144, v12, v144, v145
	.p2align	6
.LBB716_598:                            ; =>This Inner Loop Header: Depth=1
	v_add_nc_u32_e32 v145, v135, v11
	v_lshrrev_b32_e32 v149, 1, v145
	v_not_b32_e32 v145, v149
	v_lshl_add_u32 v146, v149, 3, v133
	v_lshl_add_u32 v147, v145, 3, v144
	ds_read_b64 v[145:146], v146
	ds_read_b64 v[147:148], v147
	s_waitcnt lgkmcnt(0)
	v_cmp_gt_i64_e64 s8, v[147:148], v[145:146]
	v_add_nc_u32_e32 v145, 1, v149
	v_cndmask_b32_e64 v135, v135, v149, s8
	v_cndmask_b32_e64 v11, v145, v11, s8
	v_cmp_ge_u32_e64 s8, v11, v135
	s_or_b32 s12, s8, s12
	s_andn2_b32 exec_lo, exec_lo, s12
	s_cbranch_execnz .LBB716_598
; %bb.599:
	s_or_b32 exec_lo, exec_lo, s12
.LBB716_600:
	s_or_b32 exec_lo, exec_lo, s9
	v_add_nc_u32_e32 v135, v131, v134
	v_add_nc_u32_e32 v134, v11, v8
	v_sub_nc_u32_e32 v135, v135, v11
	v_cmp_le_u32_e64 s8, v134, v131
	v_cmp_le_u32_e64 s9, v135, v132
	s_or_b32 s8, s8, s9
	s_and_saveexec_b32 s13, s8
	s_cbranch_execz .LBB716_606
; %bb.601:
	v_cmp_lt_u32_e64 s8, v134, v131
                                        ; implicit-def: $vgpr8_vgpr9
	s_and_saveexec_b32 s9, s8
; %bb.602:
	v_lshl_add_u32 v0, v11, 3, v133
	ds_read_b64 v[8:9], v0
; %bb.603:
	s_or_b32 exec_lo, exec_lo, s9
	v_cmp_ge_u32_e64 s9, v135, v132
	s_mov_b32 s23, exec_lo
                                        ; implicit-def: $vgpr10_vgpr11
	v_cmpx_lt_u32_e64 v135, v132
; %bb.604:
	v_lshl_add_u32 v0, v135, 3, v12
	ds_read_b64 v[10:11], v0
; %bb.605:
	s_or_b32 exec_lo, exec_lo, s23
	s_waitcnt lgkmcnt(0)
	v_cmp_le_i64_e64 s12, v[10:11], v[8:9]
	s_and_b32 s8, s8, s12
	s_or_b32 s8, s9, s8
	v_cndmask_b32_e64 v15, v135, v134, s8
	v_cndmask_b32_e64 v16, v132, v131, s8
	;; [unrolled: 1-line block ×4, first 2 shown]
	v_lshl_add_u32 v4, v15, 3, v12
	v_add_nc_u32_e32 v21, 1, v15
	v_add_nc_u32_e32 v15, -1, v16
	ds_read_b64 v[4:5], v4 offset:32768
	v_min_u32_e32 v15, v21, v15
	v_lshl_add_u32 v15, v15, 3, v12
	ds_read_b64 v[15:16], v15
	s_waitcnt lgkmcnt(0)
	v_cndmask_b32_e64 v18, v16, v11, s8
	v_cndmask_b32_e64 v17, v15, v10, s8
	;; [unrolled: 1-line block ×6, first 2 shown]
	v_cmp_le_i64_e64 s12, v[17:18], v[19:20]
	v_cmp_lt_u32_e64 s9, v11, v131
	v_cmp_ge_u32_e64 s8, v8, v132
	s_and_b32 s9, s9, s12
	s_or_b32 s8, s8, s9
	v_cndmask_b32_e64 v21, v8, v11, s8
	v_cndmask_b32_e64 v22, v132, v131, s8
	v_cndmask_b32_e64 v10, v18, v20, s8
	v_cndmask_b32_e64 v9, v17, v19, s8
	v_lshl_add_u32 v15, v21, 3, v12
	v_add_nc_u32_e32 v25, 1, v21
	v_add_nc_u32_e32 v21, -1, v22
	ds_read_b64 v[15:16], v15 offset:32768
	v_cndmask_b32_e64 v11, v11, v25, s8
	v_min_u32_e32 v21, v25, v21
	v_cndmask_b32_e64 v8, v25, v8, s8
	v_cmp_lt_u32_e64 s9, v11, v131
	v_lshl_add_u32 v21, v21, 3, v12
	ds_read_b64 v[21:22], v21
	s_waitcnt lgkmcnt(0)
	v_cndmask_b32_e64 v24, v22, v18, s8
	v_cndmask_b32_e64 v23, v21, v17, s8
	v_cndmask_b32_e64 v22, v20, v22, s8
	v_cndmask_b32_e64 v21, v19, v21, s8
	v_cmp_ge_u32_e64 s8, v8, v132
	v_cmp_le_i64_e64 s12, v[23:24], v[21:22]
	s_and_b32 s9, s9, s12
	s_or_b32 s8, s8, s9
	v_cndmask_b32_e64 v25, v8, v11, s8
	v_cndmask_b32_e64 v26, v132, v131, s8
	v_cndmask_b32_e64 v18, v24, v22, s8
	v_cndmask_b32_e64 v17, v23, v21, s8
	v_lshl_add_u32 v19, v25, 3, v12
	v_add_nc_u32_e32 v29, 1, v25
	v_add_nc_u32_e32 v25, -1, v26
	ds_read_b64 v[19:20], v19 offset:32768
	v_cndmask_b32_e64 v11, v11, v29, s8
	v_min_u32_e32 v25, v29, v25
	v_cndmask_b32_e64 v8, v29, v8, s8
	v_cmp_lt_u32_e64 s9, v11, v131
	v_lshl_add_u32 v25, v25, 3, v12
	ds_read_b64 v[25:26], v25
	s_waitcnt lgkmcnt(0)
	v_cndmask_b32_e64 v24, v26, v24, s8
	v_cndmask_b32_e64 v23, v25, v23, s8
	v_cndmask_b32_e64 v28, v22, v26, s8
	v_cndmask_b32_e64 v27, v21, v25, s8
	v_cmp_ge_u32_e64 s8, v8, v132
	v_cmp_le_i64_e64 s12, v[23:24], v[27:28]
	;; [unrolled: 23-line block ×14, first 2 shown]
	s_and_b32 s9, s9, s12
	s_or_b32 s8, s8, s9
	v_cndmask_b32_e64 v8, v8, v11, s8
	v_cndmask_b32_e64 v24, v24, v113, s8
	;; [unrolled: 1-line block ×3, first 2 shown]
	v_lshl_add_u32 v8, v8, 3, v12
	ds_read_b64 v[112:113], v8 offset:32768
.LBB716_606:
	s_or_b32 exec_lo, exec_lo, s13
	v_and_b32_e32 v8, 0x180, v151
	v_and_b32_e32 v133, 0x70, v151
	s_mov_b32 s9, exec_lo
	; wave barrier
	v_or_b32_e32 v11, 64, v8
	v_min_u32_e32 v134, v114, v133
	ds_write2_b64 v31, v[0:1], v[9:10] offset1:1
	ds_write2_b64 v128, v[4:5], v[15:16] offset1:1
	ds_write2_b64 v31, v[17:18], v[21:22] offset0:2 offset1:3
	ds_write2_b64 v118, v[19:20], v[25:26] offset1:1
	ds_write2_b64 v31, v[27:28], v[32:33] offset0:4 offset1:5
	;; [unrolled: 2-line block ×3, first 2 shown]
	ds_write2_b64 v116, v[38:39], v[50:51] offset1:1
	v_min_u32_e32 v131, v114, v11
	ds_write2_b64 v31, v[52:53], v[64:65] offset0:8 offset1:9
	ds_write2_b64 v117, v[54:55], v[66:67] offset1:1
	ds_write2_b64 v31, v[70:71], v[86:87] offset0:10 offset1:11
	ds_write2_b64 v115, v[68:69], v[80:81] offset1:1
	;; [unrolled: 2-line block ×3, first 2 shown]
	ds_write2_b64 v31, v[102:103], v[23:24] offset0:14 offset1:15
	s_waitcnt lgkmcnt(15)
	ds_write2_b64 v130, v[98:99], v[112:113] offset1:1
	v_add_nc_u32_e32 v11, 64, v131
	v_sub_nc_u32_e32 v133, v131, v8
	; wave barrier
	v_min_u32_e32 v132, v114, v11
	v_min_u32_e32 v135, v134, v133
	v_lshl_add_u32 v133, v8, 3, v12
	v_sub_nc_u32_e32 v11, v132, v131
	v_sub_nc_u32_e64 v11, v134, v11 clamp
	v_cmpx_lt_u32_e64 v11, v135
	s_cbranch_execz .LBB716_610
; %bb.607:
	v_lshlrev_b32_e32 v144, 3, v131
	v_lshlrev_b32_e32 v145, 3, v134
	s_mov_b32 s12, 0
	v_add3_u32 v144, v12, v144, v145
	.p2align	6
.LBB716_608:                            ; =>This Inner Loop Header: Depth=1
	v_add_nc_u32_e32 v145, v135, v11
	v_lshrrev_b32_e32 v149, 1, v145
	v_not_b32_e32 v145, v149
	v_lshl_add_u32 v146, v149, 3, v133
	v_lshl_add_u32 v147, v145, 3, v144
	ds_read_b64 v[145:146], v146
	ds_read_b64 v[147:148], v147
	s_waitcnt lgkmcnt(0)
	v_cmp_gt_i64_e64 s8, v[147:148], v[145:146]
	v_add_nc_u32_e32 v145, 1, v149
	v_cndmask_b32_e64 v135, v135, v149, s8
	v_cndmask_b32_e64 v11, v145, v11, s8
	v_cmp_ge_u32_e64 s8, v11, v135
	s_or_b32 s12, s8, s12
	s_andn2_b32 exec_lo, exec_lo, s12
	s_cbranch_execnz .LBB716_608
; %bb.609:
	s_or_b32 exec_lo, exec_lo, s12
.LBB716_610:
	s_or_b32 exec_lo, exec_lo, s9
	v_add_nc_u32_e32 v135, v131, v134
	v_add_nc_u32_e32 v134, v11, v8
	v_sub_nc_u32_e32 v135, v135, v11
	v_cmp_le_u32_e64 s8, v134, v131
	v_cmp_le_u32_e64 s9, v135, v132
	s_or_b32 s8, s8, s9
	s_and_saveexec_b32 s13, s8
	s_cbranch_execz .LBB716_616
; %bb.611:
	v_cmp_lt_u32_e64 s8, v134, v131
                                        ; implicit-def: $vgpr8_vgpr9
	s_and_saveexec_b32 s9, s8
; %bb.612:
	v_lshl_add_u32 v0, v11, 3, v133
	ds_read_b64 v[8:9], v0
; %bb.613:
	s_or_b32 exec_lo, exec_lo, s9
	v_cmp_ge_u32_e64 s9, v135, v132
	s_mov_b32 s23, exec_lo
                                        ; implicit-def: $vgpr10_vgpr11
	v_cmpx_lt_u32_e64 v135, v132
; %bb.614:
	v_lshl_add_u32 v0, v135, 3, v12
	ds_read_b64 v[10:11], v0
; %bb.615:
	s_or_b32 exec_lo, exec_lo, s23
	s_waitcnt lgkmcnt(0)
	v_cmp_le_i64_e64 s12, v[10:11], v[8:9]
	s_and_b32 s8, s8, s12
	s_or_b32 s8, s9, s8
	v_cndmask_b32_e64 v15, v135, v134, s8
	v_cndmask_b32_e64 v16, v132, v131, s8
	;; [unrolled: 1-line block ×4, first 2 shown]
	v_lshl_add_u32 v4, v15, 3, v12
	v_add_nc_u32_e32 v21, 1, v15
	v_add_nc_u32_e32 v15, -1, v16
	ds_read_b64 v[4:5], v4 offset:32768
	v_min_u32_e32 v15, v21, v15
	v_lshl_add_u32 v15, v15, 3, v12
	ds_read_b64 v[15:16], v15
	s_waitcnt lgkmcnt(0)
	v_cndmask_b32_e64 v18, v16, v11, s8
	v_cndmask_b32_e64 v17, v15, v10, s8
	;; [unrolled: 1-line block ×6, first 2 shown]
	v_cmp_le_i64_e64 s12, v[17:18], v[19:20]
	v_cmp_lt_u32_e64 s9, v11, v131
	v_cmp_ge_u32_e64 s8, v8, v132
	s_and_b32 s9, s9, s12
	s_or_b32 s8, s8, s9
	v_cndmask_b32_e64 v21, v8, v11, s8
	v_cndmask_b32_e64 v22, v132, v131, s8
	v_cndmask_b32_e64 v10, v18, v20, s8
	v_cndmask_b32_e64 v9, v17, v19, s8
	v_lshl_add_u32 v15, v21, 3, v12
	v_add_nc_u32_e32 v25, 1, v21
	v_add_nc_u32_e32 v21, -1, v22
	ds_read_b64 v[15:16], v15 offset:32768
	v_cndmask_b32_e64 v11, v11, v25, s8
	v_min_u32_e32 v21, v25, v21
	v_cndmask_b32_e64 v8, v25, v8, s8
	v_cmp_lt_u32_e64 s9, v11, v131
	v_lshl_add_u32 v21, v21, 3, v12
	ds_read_b64 v[21:22], v21
	s_waitcnt lgkmcnt(0)
	v_cndmask_b32_e64 v24, v22, v18, s8
	v_cndmask_b32_e64 v23, v21, v17, s8
	v_cndmask_b32_e64 v22, v20, v22, s8
	v_cndmask_b32_e64 v21, v19, v21, s8
	v_cmp_ge_u32_e64 s8, v8, v132
	v_cmp_le_i64_e64 s12, v[23:24], v[21:22]
	s_and_b32 s9, s9, s12
	s_or_b32 s8, s8, s9
	v_cndmask_b32_e64 v25, v8, v11, s8
	v_cndmask_b32_e64 v26, v132, v131, s8
	v_cndmask_b32_e64 v18, v24, v22, s8
	v_cndmask_b32_e64 v17, v23, v21, s8
	v_lshl_add_u32 v19, v25, 3, v12
	v_add_nc_u32_e32 v29, 1, v25
	v_add_nc_u32_e32 v25, -1, v26
	ds_read_b64 v[19:20], v19 offset:32768
	v_cndmask_b32_e64 v11, v11, v29, s8
	v_min_u32_e32 v25, v29, v25
	v_cndmask_b32_e64 v8, v29, v8, s8
	v_cmp_lt_u32_e64 s9, v11, v131
	v_lshl_add_u32 v25, v25, 3, v12
	ds_read_b64 v[25:26], v25
	s_waitcnt lgkmcnt(0)
	v_cndmask_b32_e64 v24, v26, v24, s8
	v_cndmask_b32_e64 v23, v25, v23, s8
	v_cndmask_b32_e64 v28, v22, v26, s8
	v_cndmask_b32_e64 v27, v21, v25, s8
	v_cmp_ge_u32_e64 s8, v8, v132
	v_cmp_le_i64_e64 s12, v[23:24], v[27:28]
	;; [unrolled: 23-line block ×14, first 2 shown]
	s_and_b32 s9, s9, s12
	s_or_b32 s8, s8, s9
	v_cndmask_b32_e64 v8, v8, v11, s8
	v_cndmask_b32_e64 v24, v24, v113, s8
	;; [unrolled: 1-line block ×3, first 2 shown]
	v_lshl_add_u32 v8, v8, 3, v12
	ds_read_b64 v[112:113], v8 offset:32768
.LBB716_616:
	s_or_b32 exec_lo, exec_lo, s13
	v_and_b32_e32 v8, 0x100, v151
	v_and_b32_e32 v133, 0xf0, v151
	s_mov_b32 s9, exec_lo
	; wave barrier
	v_or_b32_e32 v11, 0x80, v8
	v_min_u32_e32 v134, v114, v133
	ds_write2_b64 v31, v[0:1], v[9:10] offset1:1
	ds_write2_b64 v128, v[4:5], v[15:16] offset1:1
	ds_write2_b64 v31, v[17:18], v[21:22] offset0:2 offset1:3
	ds_write2_b64 v118, v[19:20], v[25:26] offset1:1
	ds_write2_b64 v31, v[27:28], v[32:33] offset0:4 offset1:5
	;; [unrolled: 2-line block ×3, first 2 shown]
	ds_write2_b64 v116, v[38:39], v[50:51] offset1:1
	v_min_u32_e32 v131, v114, v11
	ds_write2_b64 v31, v[52:53], v[64:65] offset0:8 offset1:9
	ds_write2_b64 v117, v[54:55], v[66:67] offset1:1
	ds_write2_b64 v31, v[70:71], v[86:87] offset0:10 offset1:11
	ds_write2_b64 v115, v[68:69], v[80:81] offset1:1
	;; [unrolled: 2-line block ×3, first 2 shown]
	ds_write2_b64 v31, v[102:103], v[23:24] offset0:14 offset1:15
	s_waitcnt lgkmcnt(15)
	ds_write2_b64 v130, v[98:99], v[112:113] offset1:1
	v_add_nc_u32_e32 v11, 0x80, v131
	v_sub_nc_u32_e32 v133, v131, v8
	; wave barrier
	v_min_u32_e32 v132, v114, v11
	v_min_u32_e32 v135, v134, v133
	v_lshl_add_u32 v133, v8, 3, v12
	v_sub_nc_u32_e32 v11, v132, v131
	v_sub_nc_u32_e64 v11, v134, v11 clamp
	v_cmpx_lt_u32_e64 v11, v135
	s_cbranch_execz .LBB716_620
; %bb.617:
	v_lshlrev_b32_e32 v144, 3, v131
	v_lshlrev_b32_e32 v145, 3, v134
	s_mov_b32 s12, 0
	v_add3_u32 v144, v12, v144, v145
	.p2align	6
.LBB716_618:                            ; =>This Inner Loop Header: Depth=1
	v_add_nc_u32_e32 v145, v135, v11
	v_lshrrev_b32_e32 v149, 1, v145
	v_not_b32_e32 v145, v149
	v_lshl_add_u32 v146, v149, 3, v133
	v_lshl_add_u32 v147, v145, 3, v144
	ds_read_b64 v[145:146], v146
	ds_read_b64 v[147:148], v147
	s_waitcnt lgkmcnt(0)
	v_cmp_gt_i64_e64 s8, v[147:148], v[145:146]
	v_add_nc_u32_e32 v145, 1, v149
	v_cndmask_b32_e64 v135, v135, v149, s8
	v_cndmask_b32_e64 v11, v145, v11, s8
	v_cmp_ge_u32_e64 s8, v11, v135
	s_or_b32 s12, s8, s12
	s_andn2_b32 exec_lo, exec_lo, s12
	s_cbranch_execnz .LBB716_618
; %bb.619:
	s_or_b32 exec_lo, exec_lo, s12
.LBB716_620:
	s_or_b32 exec_lo, exec_lo, s9
	v_add_nc_u32_e32 v135, v131, v134
	v_add_nc_u32_e32 v134, v11, v8
	v_sub_nc_u32_e32 v135, v135, v11
	v_cmp_le_u32_e64 s8, v134, v131
	v_cmp_le_u32_e64 s9, v135, v132
	s_or_b32 s8, s8, s9
	s_and_saveexec_b32 s13, s8
	s_cbranch_execz .LBB716_626
; %bb.621:
	v_cmp_lt_u32_e64 s8, v134, v131
                                        ; implicit-def: $vgpr8_vgpr9
	s_and_saveexec_b32 s9, s8
; %bb.622:
	v_lshl_add_u32 v0, v11, 3, v133
	ds_read_b64 v[8:9], v0
; %bb.623:
	s_or_b32 exec_lo, exec_lo, s9
	v_cmp_ge_u32_e64 s9, v135, v132
	s_mov_b32 s23, exec_lo
                                        ; implicit-def: $vgpr10_vgpr11
	v_cmpx_lt_u32_e64 v135, v132
; %bb.624:
	v_lshl_add_u32 v0, v135, 3, v12
	ds_read_b64 v[10:11], v0
; %bb.625:
	s_or_b32 exec_lo, exec_lo, s23
	s_waitcnt lgkmcnt(0)
	v_cmp_le_i64_e64 s12, v[10:11], v[8:9]
	s_and_b32 s8, s8, s12
	s_or_b32 s8, s9, s8
	v_cndmask_b32_e64 v15, v135, v134, s8
	v_cndmask_b32_e64 v16, v132, v131, s8
	;; [unrolled: 1-line block ×4, first 2 shown]
	v_lshl_add_u32 v4, v15, 3, v12
	v_add_nc_u32_e32 v21, 1, v15
	v_add_nc_u32_e32 v15, -1, v16
	ds_read_b64 v[4:5], v4 offset:32768
	v_min_u32_e32 v15, v21, v15
	v_lshl_add_u32 v15, v15, 3, v12
	ds_read_b64 v[15:16], v15
	s_waitcnt lgkmcnt(0)
	v_cndmask_b32_e64 v18, v16, v11, s8
	v_cndmask_b32_e64 v17, v15, v10, s8
	;; [unrolled: 1-line block ×6, first 2 shown]
	v_cmp_le_i64_e64 s12, v[17:18], v[19:20]
	v_cmp_lt_u32_e64 s9, v11, v131
	v_cmp_ge_u32_e64 s8, v8, v132
	s_and_b32 s9, s9, s12
	s_or_b32 s8, s8, s9
	v_cndmask_b32_e64 v21, v8, v11, s8
	v_cndmask_b32_e64 v22, v132, v131, s8
	v_cndmask_b32_e64 v10, v18, v20, s8
	v_cndmask_b32_e64 v9, v17, v19, s8
	v_lshl_add_u32 v15, v21, 3, v12
	v_add_nc_u32_e32 v25, 1, v21
	v_add_nc_u32_e32 v21, -1, v22
	ds_read_b64 v[15:16], v15 offset:32768
	v_cndmask_b32_e64 v11, v11, v25, s8
	v_min_u32_e32 v21, v25, v21
	v_cndmask_b32_e64 v8, v25, v8, s8
	v_cmp_lt_u32_e64 s9, v11, v131
	v_lshl_add_u32 v21, v21, 3, v12
	ds_read_b64 v[21:22], v21
	s_waitcnt lgkmcnt(0)
	v_cndmask_b32_e64 v24, v22, v18, s8
	v_cndmask_b32_e64 v23, v21, v17, s8
	v_cndmask_b32_e64 v22, v20, v22, s8
	v_cndmask_b32_e64 v21, v19, v21, s8
	v_cmp_ge_u32_e64 s8, v8, v132
	v_cmp_le_i64_e64 s12, v[23:24], v[21:22]
	s_and_b32 s9, s9, s12
	s_or_b32 s8, s8, s9
	v_cndmask_b32_e64 v25, v8, v11, s8
	v_cndmask_b32_e64 v26, v132, v131, s8
	v_cndmask_b32_e64 v18, v24, v22, s8
	v_cndmask_b32_e64 v17, v23, v21, s8
	v_lshl_add_u32 v19, v25, 3, v12
	v_add_nc_u32_e32 v29, 1, v25
	v_add_nc_u32_e32 v25, -1, v26
	ds_read_b64 v[19:20], v19 offset:32768
	v_cndmask_b32_e64 v11, v11, v29, s8
	v_min_u32_e32 v25, v29, v25
	v_cndmask_b32_e64 v8, v29, v8, s8
	v_cmp_lt_u32_e64 s9, v11, v131
	v_lshl_add_u32 v25, v25, 3, v12
	ds_read_b64 v[25:26], v25
	s_waitcnt lgkmcnt(0)
	v_cndmask_b32_e64 v24, v26, v24, s8
	v_cndmask_b32_e64 v23, v25, v23, s8
	v_cndmask_b32_e64 v28, v22, v26, s8
	v_cndmask_b32_e64 v27, v21, v25, s8
	v_cmp_ge_u32_e64 s8, v8, v132
	v_cmp_le_i64_e64 s12, v[23:24], v[27:28]
	;; [unrolled: 23-line block ×14, first 2 shown]
	s_and_b32 s9, s9, s12
	s_or_b32 s8, s8, s9
	v_cndmask_b32_e64 v8, v8, v11, s8
	v_cndmask_b32_e64 v24, v24, v113, s8
	;; [unrolled: 1-line block ×3, first 2 shown]
	v_lshl_add_u32 v8, v8, 3, v12
	ds_read_b64 v[112:113], v8 offset:32768
.LBB716_626:
	s_or_b32 exec_lo, exec_lo, s13
	v_min_u32_e32 v11, 0x100, v114
	; wave barrier
	ds_write2_b64 v31, v[0:1], v[9:10] offset1:1
	ds_write2_b64 v128, v[4:5], v[15:16] offset1:1
	ds_write2_b64 v31, v[17:18], v[21:22] offset0:2 offset1:3
	ds_write2_b64 v118, v[19:20], v[25:26] offset1:1
	ds_write2_b64 v31, v[27:28], v[32:33] offset0:4 offset1:5
	ds_write2_b64 v119, v[29:30], v[34:35] offset1:1
	v_add_nc_u32_e32 v8, 0x100, v11
	ds_write2_b64 v31, v[36:37], v[48:49] offset0:6 offset1:7
	ds_write2_b64 v116, v[38:39], v[50:51] offset1:1
	ds_write2_b64 v31, v[52:53], v[64:65] offset0:8 offset1:9
	ds_write2_b64 v117, v[54:55], v[66:67] offset1:1
	s_mov_b32 s9, exec_lo
	ds_write2_b64 v31, v[70:71], v[86:87] offset0:10 offset1:11
	ds_write2_b64 v115, v[68:69], v[80:81] offset1:1
	ds_write2_b64 v31, v[96:97], v[82:83] offset0:12 offset1:13
	ds_write2_b64 v129, v[84:85], v[100:101] offset1:1
	ds_write2_b64 v31, v[102:103], v[23:24] offset0:14 offset1:15
	s_waitcnt lgkmcnt(15)
	ds_write2_b64 v130, v[98:99], v[112:113] offset1:1
	v_min_u32_e32 v128, v114, v8
	v_min_u32_e32 v8, v114, v151
	; wave barrier
	v_sub_nc_u32_e32 v114, v128, v11
	v_min_u32_e32 v116, v8, v11
	v_sub_nc_u32_e64 v114, v8, v114 clamp
	v_cmpx_lt_u32_e64 v114, v116
	s_cbranch_execz .LBB716_630
; %bb.627:
	v_lshlrev_b32_e32 v31, 3, v11
	v_lshlrev_b32_e32 v115, 3, v8
	s_mov_b32 s12, 0
	v_add3_u32 v31, v12, v31, v115
	.p2align	6
.LBB716_628:                            ; =>This Inner Loop Header: Depth=1
	v_add_nc_u32_e32 v115, v116, v114
	v_lshrrev_b32_e32 v115, 1, v115
	v_not_b32_e32 v117, v115
	v_lshl_add_u32 v118, v115, 3, v12
	v_lshl_add_u32 v119, v117, 3, v31
	ds_read_b64 v[117:118], v118
	ds_read_b64 v[129:130], v119
	s_waitcnt lgkmcnt(0)
	v_cmp_gt_i64_e64 s8, v[129:130], v[117:118]
	v_add_nc_u32_e32 v117, 1, v115
	v_cndmask_b32_e64 v116, v116, v115, s8
	v_cndmask_b32_e64 v114, v117, v114, s8
	v_cmp_ge_u32_e64 s8, v114, v116
	s_or_b32 s12, s8, s12
	s_andn2_b32 exec_lo, exec_lo, s12
	s_cbranch_execnz .LBB716_628
; %bb.629:
	s_or_b32 exec_lo, exec_lo, s12
.LBB716_630:
	s_or_b32 exec_lo, exec_lo, s9
	v_add_nc_u32_e32 v8, v11, v8
	v_cmp_le_u32_e64 s8, v114, v11
	v_sub_nc_u32_e32 v31, v8, v114
	v_cmp_le_u32_e64 s9, v31, v128
	s_or_b32 s8, s8, s9
	s_and_saveexec_b32 s47, s8
	s_cbranch_execz .LBB716_636
; %bb.631:
	v_cmp_lt_u32_e64 s8, v114, v11
                                        ; implicit-def: $vgpr0_vgpr1
	s_and_saveexec_b32 s9, s8
; %bb.632:
	v_lshl_add_u32 v0, v114, 3, v12
	ds_read_b64 v[0:1], v0
; %bb.633:
	s_or_b32 exec_lo, exec_lo, s9
	v_cmp_ge_u32_e64 s9, v31, v128
	s_mov_b32 s13, exec_lo
                                        ; implicit-def: $vgpr8_vgpr9
	v_cmpx_lt_u32_e64 v31, v128
; %bb.634:
	v_lshl_add_u32 v4, v31, 3, v12
	ds_read_b64 v[8:9], v4
; %bb.635:
	s_or_b32 exec_lo, exec_lo, s13
	s_waitcnt lgkmcnt(0)
	v_cmp_le_i64_e64 s12, v[8:9], v[0:1]
	s_and_b32 s8, s8, s12
	s_or_b32 s8, s9, s8
	v_cndmask_b32_e64 v10, v31, v114, s8
	v_cndmask_b32_e64 v4, v128, v11, s8
	v_add_nc_u32_e32 v15, 1, v10
	v_add_nc_u32_e32 v4, -1, v4
	v_cndmask_b32_e64 v16, v114, v15, s8
	v_min_u32_e32 v4, v15, v4
	v_cndmask_b32_e64 v15, v15, v31, s8
	v_cmp_lt_u32_e64 s12, v16, v11
	v_lshl_add_u32 v4, v4, 3, v12
	v_cmp_ge_u32_e64 s13, v15, v128
	ds_read_b64 v[4:5], v4
	s_waitcnt lgkmcnt(0)
	v_cndmask_b32_e64 v18, v5, v9, s8
	v_cndmask_b32_e64 v17, v4, v8, s8
	;; [unrolled: 1-line block ×6, first 2 shown]
	v_cmp_le_i64_e64 s9, v[17:18], v[21:22]
	s_and_b32 s9, s12, s9
	s_or_b32 s9, s13, s9
	v_cndmask_b32_e64 v19, v15, v16, s9
	v_cndmask_b32_e64 v4, v128, v11, s9
	v_cndmask_b32_e64 v9, v17, v21, s9
	v_add_nc_u32_e32 v20, 1, v19
	v_add_nc_u32_e32 v4, -1, v4
	v_cndmask_b32_e64 v16, v16, v20, s9
	v_min_u32_e32 v4, v20, v4
	v_cndmask_b32_e64 v15, v20, v15, s9
	v_cmp_lt_u32_e64 s13, v16, v11
	v_lshl_add_u32 v4, v4, 3, v12
	v_cmp_ge_u32_e64 s23, v15, v128
	ds_read_b64 v[4:5], v4
	s_waitcnt lgkmcnt(0)
	v_cndmask_b32_e64 v24, v5, v18, s9
	v_cndmask_b32_e64 v23, v4, v17, s9
	;; [unrolled: 1-line block ×4, first 2 shown]
	v_cmp_le_i64_e64 s12, v[23:24], v[27:28]
	s_and_b32 s12, s13, s12
	s_or_b32 s12, s23, s12
	v_cndmask_b32_e64 v20, v15, v16, s12
	v_cndmask_b32_e64 v4, v128, v11, s12
	;; [unrolled: 1-line block ×3, first 2 shown]
	v_add_nc_u32_e32 v25, 1, v20
	v_add_nc_u32_e32 v4, -1, v4
	v_cndmask_b32_e64 v16, v16, v25, s12
	v_min_u32_e32 v4, v25, v4
	v_cndmask_b32_e64 v15, v25, v15, s12
	v_cmp_lt_u32_e64 s23, v16, v11
	v_lshl_add_u32 v4, v4, 3, v12
	v_cmp_ge_u32_e64 s24, v15, v128
	ds_read_b64 v[4:5], v4
	s_waitcnt lgkmcnt(0)
	v_cndmask_b32_e64 v32, v5, v24, s12
	v_cndmask_b32_e64 v31, v4, v23, s12
	v_cndmask_b32_e64 v37, v28, v5, s12
	v_cndmask_b32_e64 v36, v27, v4, s12
	v_cmp_le_i64_e64 s13, v[31:32], v[36:37]
	s_and_b32 s13, s23, s13
	s_or_b32 s13, s24, s13
	v_cndmask_b32_e64 v25, v15, v16, s13
	v_cndmask_b32_e64 v4, v128, v11, s13
	;; [unrolled: 1-line block ×3, first 2 shown]
	v_add_nc_u32_e32 v26, 1, v25
	v_add_nc_u32_e32 v4, -1, v4
	v_lshl_add_u32 v25, v25, 3, v12
	v_cndmask_b32_e64 v16, v16, v26, s13
	v_min_u32_e32 v4, v26, v4
	v_cndmask_b32_e64 v15, v26, v15, s13
	v_cmp_lt_u32_e64 s24, v16, v11
	v_lshl_add_u32 v4, v4, 3, v12
	v_cmp_ge_u32_e64 s25, v15, v128
	ds_read_b64 v[4:5], v4
	s_waitcnt lgkmcnt(0)
	v_cndmask_b32_e64 v49, v5, v32, s13
	v_cndmask_b32_e64 v48, v4, v31, s13
	;; [unrolled: 1-line block ×4, first 2 shown]
	v_cmp_le_i64_e64 s23, v[48:49], v[52:53]
	s_and_b32 s23, s24, s23
	s_or_b32 s23, s25, s23
	v_cndmask_b32_e64 v26, v15, v16, s23
	v_cndmask_b32_e64 v4, v128, v11, s23
	v_cndmask_b32_e64 v27, v48, v52, s23
	v_add_nc_u32_e32 v29, 1, v26
	v_add_nc_u32_e32 v4, -1, v4
	v_cndmask_b32_e64 v16, v16, v29, s23
	v_min_u32_e32 v4, v29, v4
	v_cndmask_b32_e64 v15, v29, v15, s23
	v_cmp_lt_u32_e64 s25, v16, v11
	v_lshl_add_u32 v4, v4, 3, v12
	v_cmp_ge_u32_e64 s26, v15, v128
	ds_read_b64 v[4:5], v4
	s_waitcnt lgkmcnt(0)
	v_cndmask_b32_e64 v65, v5, v49, s23
	v_cndmask_b32_e64 v64, v4, v48, s23
	;; [unrolled: 1-line block ×4, first 2 shown]
	v_cmp_le_i64_e64 s24, v[64:65], v[70:71]
	s_and_b32 s24, s25, s24
	s_or_b32 s24, s26, s24
	v_cndmask_b32_e64 v33, v15, v16, s24
	v_cndmask_b32_e64 v4, v128, v11, s24
	v_add_nc_u32_e32 v29, 1, v33
	v_add_nc_u32_e32 v4, -1, v4
	v_lshl_add_u32 v33, v33, 3, v12
	v_cndmask_b32_e64 v16, v16, v29, s24
	v_min_u32_e32 v4, v29, v4
	v_cndmask_b32_e64 v15, v29, v15, s24
	v_cmp_lt_u32_e64 s26, v16, v11
	v_lshl_add_u32 v4, v4, 3, v12
	v_cmp_ge_u32_e64 s27, v15, v128
	ds_read_b64 v[4:5], v4
	s_waitcnt lgkmcnt(0)
	v_cndmask_b32_e64 v83, v5, v65, s24
	v_cndmask_b32_e64 v82, v4, v64, s24
	v_cndmask_b32_e64 v87, v71, v5, s24
	v_cndmask_b32_e64 v86, v70, v4, s24
	v_cmp_le_i64_e64 s25, v[82:83], v[86:87]
	s_and_b32 s25, s26, s25
	s_or_b32 s25, s27, s25
	v_cndmask_b32_e64 v34, v15, v16, s25
	v_cndmask_b32_e64 v4, v128, v11, s25
	v_cndmask_b32_e64 v36, v82, v86, s25
	v_add_nc_u32_e32 v29, 1, v34
	v_add_nc_u32_e32 v4, -1, v4
	v_lshl_add_u32 v51, v34, 3, v12
	v_cndmask_b32_e64 v16, v16, v29, s25
	v_min_u32_e32 v4, v29, v4
	v_cndmask_b32_e64 v15, v29, v15, s25
	v_cmp_lt_u32_e64 s27, v16, v11
	v_lshl_add_u32 v4, v4, 3, v12
	v_cmp_ge_u32_e64 s28, v15, v128
	ds_read_b64 v[4:5], v4
	s_waitcnt lgkmcnt(0)
	v_cndmask_b32_e64 v97, v5, v83, s25
	v_cndmask_b32_e64 v96, v4, v82, s25
	v_cndmask_b32_e64 v103, v87, v5, s25
	v_cndmask_b32_e64 v102, v86, v4, s25
	v_cmp_le_i64_e64 s26, v[96:97], v[102:103]
	s_and_b32 s26, s27, s26
	s_or_b32 s26, s28, s26
	v_cndmask_b32_e64 v35, v15, v16, s26
	;; [unrolled: 21-line block ×4, first 2 shown]
	v_cndmask_b32_e64 v4, v128, v11, s28
	v_add_nc_u32_e32 v29, 1, v39
	v_add_nc_u32_e32 v4, -1, v4
	v_lshl_add_u32 v66, v39, 3, v12
	v_cndmask_b32_e64 v16, v16, v29, s28
	v_min_u32_e32 v4, v29, v4
	v_cndmask_b32_e64 v15, v29, v15, s28
	v_cmp_lt_u32_e64 s40, v16, v11
	v_lshl_add_u32 v4, v4, 3, v12
	v_cmp_ge_u32_e64 s41, v15, v128
	ds_read_b64 v[4:5], v4
	s_waitcnt lgkmcnt(0)
	v_cndmask_b32_e64 v132, v5, v119, s28
	v_cndmask_b32_e64 v131, v4, v118, s28
	;; [unrolled: 1-line block ×4, first 2 shown]
	v_cmp_le_i64_e64 s29, v[131:132], v[133:134]
	s_and_b32 s29, s40, s29
	s_or_b32 s29, s41, s29
	v_cndmask_b32_e64 v68, v15, v16, s29
	v_cndmask_b32_e64 v4, v128, v11, s29
	v_add_nc_u32_e32 v29, 1, v68
	v_add_nc_u32_e32 v4, -1, v4
	v_cndmask_b32_e64 v16, v16, v29, s29
	v_min_u32_e32 v4, v29, v4
	v_cndmask_b32_e64 v15, v29, v15, s29
	v_cmp_lt_u32_e64 s41, v16, v11
	v_lshl_add_u32 v4, v4, 3, v12
	v_cmp_ge_u32_e64 s42, v15, v128
	ds_read_b64 v[4:5], v4
	s_waitcnt lgkmcnt(0)
	v_cndmask_b32_e64 v145, v5, v132, s29
	v_cndmask_b32_e64 v144, v4, v131, s29
	v_cndmask_b32_e64 v147, v134, v5, s29
	v_cndmask_b32_e64 v146, v133, v4, s29
	v_cmp_le_i64_e64 s40, v[144:145], v[146:147]
	s_and_b32 s40, s41, s40
	s_or_b32 s40, s42, s40
	v_cndmask_b32_e64 v69, v15, v16, s40
	v_cndmask_b32_e64 v4, v128, v11, s40
	v_cndmask_b32_e64 v86, v144, v146, s40
	v_add_nc_u32_e32 v29, 1, v69
	v_add_nc_u32_e32 v4, -1, v4
	v_lshl_add_u32 v84, v69, 3, v12
	v_cndmask_b32_e64 v16, v16, v29, s40
	v_min_u32_e32 v4, v29, v4
	v_cndmask_b32_e64 v15, v29, v15, s40
	v_cmp_lt_u32_e64 s42, v16, v11
	v_lshl_add_u32 v4, v4, 3, v12
	v_cmp_ge_u32_e64 s43, v15, v128
	ds_read_b64 v[4:5], v4
	s_waitcnt lgkmcnt(0)
	v_cndmask_b32_e64 v149, v5, v145, s40
	v_cndmask_b32_e64 v148, v4, v144, s40
	v_cndmask_b32_e64 v161, v147, v5, s40
	v_cndmask_b32_e64 v160, v146, v4, s40
	v_cmp_le_i64_e64 s41, v[148:149], v[160:161]
	s_and_b32 s41, s42, s41
	s_or_b32 s41, s43, s41
	v_cndmask_b32_e64 v80, v15, v16, s41
	v_cndmask_b32_e64 v4, v128, v11, s41
	v_cndmask_b32_e64 v96, v148, v160, s41
	v_add_nc_u32_e32 v29, 1, v80
	v_add_nc_u32_e32 v4, -1, v4
	v_lshl_add_u32 v85, v80, 3, v12
	;; [unrolled: 21-line block ×3, first 2 shown]
	v_cndmask_b32_e64 v135, v16, v29, s42
	v_min_u32_e32 v4, v29, v4
	v_cndmask_b32_e64 v151, v29, v15, s42
	v_lshl_add_u32 v16, v19, 3, v12
	v_lshl_add_u32 v19, v20, 3, v12
	v_cmp_lt_u32_e64 s44, v135, v11
	v_lshl_add_u32 v4, v4, 3, v12
	v_cmp_ge_u32_e64 s45, v151, v128
	v_lshl_add_u32 v29, v26, 3, v12
	ds_read_b64 v[4:5], v4
	s_waitcnt lgkmcnt(0)
	v_cndmask_b32_e64 v167, v5, v163, s42
	v_cndmask_b32_e64 v166, v4, v162, s42
	v_cndmask_b32_e64 v177, v165, v5, s42
	v_cndmask_b32_e64 v176, v164, v4, s42
	v_lshl_add_u32 v4, v10, 3, v12
	v_cmp_le_i64_e64 s43, v[166:167], v[176:177]
	ds_read_b64 v[4:5], v4 offset:32768
	s_and_b32 s43, s44, s43
	s_or_b32 s43, s45, s43
	v_cndmask_b32_e64 v10, v151, v135, s43
	v_cndmask_b32_e64 v15, v128, v11, s43
	;; [unrolled: 1-line block ×3, first 2 shown]
	v_add_nc_u32_e32 v182, 1, v10
	v_add_nc_u32_e32 v15, -1, v15
	v_lshl_add_u32 v10, v10, 3, v12
	v_cndmask_b32_e64 v8, v135, v182, s43
	v_min_u32_e32 v50, v182, v15
	ds_read_b64 v[15:16], v16 offset:32768
	ds_read_b64 v[19:20], v19 offset:32768
	;; [unrolled: 1-line block ×4, first 2 shown]
	v_lshl_add_u32 v50, v50, 3, v12
	ds_read_b64 v[112:113], v50
	ds_read_b64 v[34:35], v33 offset:32768
	ds_read_b64 v[38:39], v51 offset:32768
	;; [unrolled: 1-line block ×5, first 2 shown]
	v_lshl_add_u32 v33, v68, 3, v12
	ds_read_b64 v[68:69], v33 offset:32768
	ds_read_b64 v[80:81], v84 offset:32768
	;; [unrolled: 1-line block ×5, first 2 shown]
	v_cndmask_b32_e64 v33, v182, v151, s43
	v_cndmask_b32_e64 v10, v18, v22, s9
	v_cmp_lt_u32_e64 s9, v8, v11
	v_cndmask_b32_e64 v18, v24, v28, s12
	v_cndmask_b32_e64 v22, v32, v37, s13
	v_cmp_ge_u32_e64 s12, v33, v128
	v_cndmask_b32_e64 v28, v49, v53, s23
	v_cndmask_b32_e64 v32, v64, v70, s24
	;; [unrolled: 1-line block ×6, first 2 shown]
	s_waitcnt lgkmcnt(10)
	v_cndmask_b32_e64 v179, v113, v167, s43
	v_cndmask_b32_e64 v178, v112, v166, s43
	;; [unrolled: 1-line block ×8, first 2 shown]
	v_cmp_le_i64_e64 s8, v[178:179], v[180:181]
	v_cndmask_b32_e64 v103, v167, v177, s43
	s_and_b32 s8, s9, s8
	s_or_b32 s8, s12, s8
	v_cndmask_b32_e64 v8, v33, v8, s8
	v_cndmask_b32_e64 v33, v65, v71, s24
	v_cndmask_b32_e64 v65, v119, v130, s28
	v_cndmask_b32_e64 v71, v132, v134, s29
	v_cndmask_b32_e64 v24, v179, v181, s8
	v_lshl_add_u32 v8, v8, 3, v12
	v_cndmask_b32_e64 v23, v178, v180, s8
	ds_read_b64 v[112:113], v8 offset:32768
.LBB716_636:
	s_or_b32 exec_lo, exec_lo, s47
	; wave barrier
	s_waitcnt lgkmcnt(0)
	s_waitcnt_vscnt null, 0x0
	s_barrier
.LBB716_637:
	s_or_b32 exec_lo, exec_lo, s46
	v_add_co_u32 v2, s8, v2, v13
	v_add_co_ci_u32_e64 v3, null, v3, v14, s8
	s_waitcnt vmcnt(0) lgkmcnt(0)
	s_waitcnt_vscnt null, 0x0
	buffer_gl0_inv
	v_add_co_u32 v2, s8, v2, v150
	v_add_co_ci_u32_e64 v3, null, 0, v3, s8
	; wave barrier
	s_and_saveexec_b32 s8, vcc_lo
	s_cbranch_execnz .LBB716_686
; %bb.638:
	s_or_b32 exec_lo, exec_lo, s8
	s_and_saveexec_b32 s8, s4
	s_cbranch_execnz .LBB716_687
.LBB716_639:
	s_or_b32 exec_lo, exec_lo, s8
	s_and_saveexec_b32 s8, s5
	s_cbranch_execnz .LBB716_688
.LBB716_640:
	s_or_b32 exec_lo, exec_lo, s8
	s_and_saveexec_b32 s8, s6
	s_cbranch_execnz .LBB716_689
.LBB716_641:
	s_or_b32 exec_lo, exec_lo, s8
	s_and_saveexec_b32 s8, s7
	s_cbranch_execnz .LBB716_690
.LBB716_642:
	s_or_b32 exec_lo, exec_lo, s8
	s_and_saveexec_b32 s8, s10
	s_cbranch_execnz .LBB716_691
.LBB716_643:
	s_or_b32 exec_lo, exec_lo, s8
	s_and_saveexec_b32 s8, s11
	s_cbranch_execnz .LBB716_692
.LBB716_644:
	s_or_b32 exec_lo, exec_lo, s8
	s_and_saveexec_b32 s8, s21
	s_cbranch_execnz .LBB716_693
.LBB716_645:
	s_or_b32 exec_lo, exec_lo, s8
	s_and_saveexec_b32 s8, s22
	s_cbranch_execnz .LBB716_694
.LBB716_646:
	s_or_b32 exec_lo, exec_lo, s8
	s_and_saveexec_b32 s8, s14
	s_cbranch_execnz .LBB716_695
.LBB716_647:
	s_or_b32 exec_lo, exec_lo, s8
	s_and_saveexec_b32 s8, s15
	s_cbranch_execnz .LBB716_696
.LBB716_648:
	s_or_b32 exec_lo, exec_lo, s8
	s_and_saveexec_b32 s8, s16
	s_cbranch_execnz .LBB716_697
.LBB716_649:
	s_or_b32 exec_lo, exec_lo, s8
	s_and_saveexec_b32 s8, s17
	s_cbranch_execnz .LBB716_698
.LBB716_650:
	s_or_b32 exec_lo, exec_lo, s8
	s_and_saveexec_b32 s8, s18
	s_cbranch_execnz .LBB716_699
.LBB716_651:
	s_or_b32 exec_lo, exec_lo, s8
	s_and_saveexec_b32 s8, s19
	s_cbranch_execnz .LBB716_700
.LBB716_652:
	s_or_b32 exec_lo, exec_lo, s8
	s_and_saveexec_b32 s8, s20
	s_cbranch_execz .LBB716_654
.LBB716_653:
	flat_store_dwordx2 v[2:3], v[23:24] offset:120
.LBB716_654:
	s_or_b32 exec_lo, exec_lo, s8
	v_add_co_u32 v0, s8, v6, v13
	v_add_co_ci_u32_e64 v1, null, v7, v14, s8
	v_add_co_u32 v0, s8, v0, v150
	v_add_co_ci_u32_e64 v1, null, 0, v1, s8
	; wave barrier
	s_and_saveexec_b32 s8, vcc_lo
	s_cbranch_execnz .LBB716_701
; %bb.655:
	s_or_b32 exec_lo, exec_lo, s8
	s_and_saveexec_b32 s8, s4
	s_cbranch_execnz .LBB716_702
.LBB716_656:
	s_or_b32 exec_lo, exec_lo, s8
	s_and_saveexec_b32 s4, s5
	s_cbranch_execnz .LBB716_703
.LBB716_657:
	s_or_b32 exec_lo, exec_lo, s4
	s_and_saveexec_b32 s4, s6
	s_cbranch_execnz .LBB716_704
.LBB716_658:
	s_or_b32 exec_lo, exec_lo, s4
	s_and_saveexec_b32 s4, s7
	s_cbranch_execnz .LBB716_705
.LBB716_659:
	s_or_b32 exec_lo, exec_lo, s4
	s_and_saveexec_b32 s4, s10
	s_cbranch_execnz .LBB716_706
.LBB716_660:
	s_or_b32 exec_lo, exec_lo, s4
	s_and_saveexec_b32 s4, s11
	s_cbranch_execnz .LBB716_707
.LBB716_661:
	s_or_b32 exec_lo, exec_lo, s4
	s_and_saveexec_b32 s4, s21
	s_cbranch_execnz .LBB716_708
.LBB716_662:
	s_or_b32 exec_lo, exec_lo, s4
	s_and_saveexec_b32 s4, s22
	s_cbranch_execnz .LBB716_709
.LBB716_663:
	s_or_b32 exec_lo, exec_lo, s4
	s_and_saveexec_b32 s4, s14
	s_cbranch_execnz .LBB716_710
.LBB716_664:
	s_or_b32 exec_lo, exec_lo, s4
	s_and_saveexec_b32 s4, s15
	s_cbranch_execnz .LBB716_711
.LBB716_665:
	s_or_b32 exec_lo, exec_lo, s4
	s_and_saveexec_b32 s4, s16
	s_cbranch_execnz .LBB716_712
.LBB716_666:
	s_or_b32 exec_lo, exec_lo, s4
	s_and_saveexec_b32 s4, s17
	s_cbranch_execnz .LBB716_713
.LBB716_667:
	s_or_b32 exec_lo, exec_lo, s4
	s_and_saveexec_b32 s4, s18
	s_cbranch_execnz .LBB716_714
.LBB716_668:
	s_or_b32 exec_lo, exec_lo, s4
	s_and_saveexec_b32 s4, s19
	s_cbranch_execnz .LBB716_715
.LBB716_669:
	s_or_b32 exec_lo, exec_lo, s4
	s_and_saveexec_b32 s4, s20
	s_cbranch_execnz .LBB716_716
.LBB716_670:
	s_or_b32 exec_lo, exec_lo, s4
	s_waitcnt lgkmcnt(0)
	s_setpc_b64 s[30:31]
.LBB716_671:
	flat_load_dwordx2 v[4:5], v[114:115]
	s_or_b32 exec_lo, exec_lo, s23
	s_and_saveexec_b32 s23, s4
                                        ; implicit-def: $vgpr15_vgpr16
	s_cbranch_execz .LBB716_34
.LBB716_672:
	flat_load_dwordx2 v[15:16], v[114:115] offset:8
	s_or_b32 exec_lo, exec_lo, s23
                                        ; implicit-def: $vgpr19_vgpr20
	s_and_saveexec_b32 s23, s5
	s_cbranch_execz .LBB716_35
.LBB716_673:
	flat_load_dwordx2 v[19:20], v[114:115] offset:16
	s_or_b32 exec_lo, exec_lo, s23
	s_and_saveexec_b32 s23, s6
                                        ; implicit-def: $vgpr25_vgpr26
	s_cbranch_execz .LBB716_36
.LBB716_674:
	flat_load_dwordx2 v[25:26], v[114:115] offset:24
	s_or_b32 exec_lo, exec_lo, s23
                                        ; implicit-def: $vgpr29_vgpr30
	s_and_saveexec_b32 s23, s7
	s_cbranch_execz .LBB716_37
.LBB716_675:
	flat_load_dwordx2 v[29:30], v[114:115] offset:32
	s_or_b32 exec_lo, exec_lo, s23
	s_and_saveexec_b32 s23, s10
                                        ; implicit-def: $vgpr34_vgpr35
	s_cbranch_execz .LBB716_38
.LBB716_676:
	flat_load_dwordx2 v[34:35], v[114:115] offset:40
	s_or_b32 exec_lo, exec_lo, s23
                                        ; implicit-def: $vgpr38_vgpr39
	s_and_saveexec_b32 s23, s11
	s_cbranch_execz .LBB716_39
.LBB716_677:
	flat_load_dwordx2 v[38:39], v[114:115] offset:48
	s_or_b32 exec_lo, exec_lo, s23
	s_and_saveexec_b32 s23, s21
                                        ; implicit-def: $vgpr50_vgpr51
	s_cbranch_execz .LBB716_40
.LBB716_678:
	flat_load_dwordx2 v[50:51], v[114:115] offset:56
	s_or_b32 exec_lo, exec_lo, s23
                                        ; implicit-def: $vgpr54_vgpr55
	s_and_saveexec_b32 s23, s22
	s_cbranch_execz .LBB716_41
.LBB716_679:
	flat_load_dwordx2 v[54:55], v[114:115] offset:64
	s_or_b32 exec_lo, exec_lo, s23
	s_and_saveexec_b32 s23, s14
                                        ; implicit-def: $vgpr66_vgpr67
	s_cbranch_execz .LBB716_42
.LBB716_680:
	flat_load_dwordx2 v[66:67], v[114:115] offset:72
	s_or_b32 exec_lo, exec_lo, s23
                                        ; implicit-def: $vgpr68_vgpr69
	s_and_saveexec_b32 s23, s15
	s_cbranch_execz .LBB716_43
.LBB716_681:
	flat_load_dwordx2 v[68:69], v[114:115] offset:80
	s_or_b32 exec_lo, exec_lo, s23
	s_and_saveexec_b32 s23, s16
                                        ; implicit-def: $vgpr80_vgpr81
	s_cbranch_execz .LBB716_44
.LBB716_682:
	flat_load_dwordx2 v[80:81], v[114:115] offset:88
	s_or_b32 exec_lo, exec_lo, s23
                                        ; implicit-def: $vgpr84_vgpr85
	s_and_saveexec_b32 s23, s17
	s_cbranch_execz .LBB716_45
.LBB716_683:
	flat_load_dwordx2 v[84:85], v[114:115] offset:96
	s_or_b32 exec_lo, exec_lo, s23
	s_and_saveexec_b32 s23, s18
                                        ; implicit-def: $vgpr100_vgpr101
	s_cbranch_execz .LBB716_46
.LBB716_684:
	flat_load_dwordx2 v[100:101], v[114:115] offset:104
	s_or_b32 exec_lo, exec_lo, s23
                                        ; implicit-def: $vgpr98_vgpr99
	s_and_saveexec_b32 s23, s19
	s_cbranch_execz .LBB716_47
.LBB716_685:
	flat_load_dwordx2 v[98:99], v[114:115] offset:112
	s_or_b32 exec_lo, exec_lo, s23
	s_and_saveexec_b32 s23, s20
                                        ; implicit-def: $vgpr112_vgpr113
	s_cbranch_execnz .LBB716_48
	s_branch .LBB716_49
.LBB716_686:
	flat_store_dwordx2 v[2:3], v[0:1]
	s_or_b32 exec_lo, exec_lo, s8
	s_and_saveexec_b32 s8, s4
	s_cbranch_execz .LBB716_639
.LBB716_687:
	flat_store_dwordx2 v[2:3], v[9:10] offset:8
	s_or_b32 exec_lo, exec_lo, s8
	s_and_saveexec_b32 s8, s5
	s_cbranch_execz .LBB716_640
.LBB716_688:
	flat_store_dwordx2 v[2:3], v[17:18] offset:16
	s_or_b32 exec_lo, exec_lo, s8
	s_and_saveexec_b32 s8, s6
	s_cbranch_execz .LBB716_641
.LBB716_689:
	flat_store_dwordx2 v[2:3], v[21:22] offset:24
	s_or_b32 exec_lo, exec_lo, s8
	s_and_saveexec_b32 s8, s7
	s_cbranch_execz .LBB716_642
.LBB716_690:
	flat_store_dwordx2 v[2:3], v[27:28] offset:32
	s_or_b32 exec_lo, exec_lo, s8
	s_and_saveexec_b32 s8, s10
	s_cbranch_execz .LBB716_643
.LBB716_691:
	flat_store_dwordx2 v[2:3], v[32:33] offset:40
	s_or_b32 exec_lo, exec_lo, s8
	s_and_saveexec_b32 s8, s11
	s_cbranch_execz .LBB716_644
.LBB716_692:
	flat_store_dwordx2 v[2:3], v[36:37] offset:48
	s_or_b32 exec_lo, exec_lo, s8
	s_and_saveexec_b32 s8, s21
	s_cbranch_execz .LBB716_645
.LBB716_693:
	flat_store_dwordx2 v[2:3], v[48:49] offset:56
	s_or_b32 exec_lo, exec_lo, s8
	s_and_saveexec_b32 s8, s22
	s_cbranch_execz .LBB716_646
.LBB716_694:
	flat_store_dwordx2 v[2:3], v[52:53] offset:64
	s_or_b32 exec_lo, exec_lo, s8
	s_and_saveexec_b32 s8, s14
	s_cbranch_execz .LBB716_647
.LBB716_695:
	flat_store_dwordx2 v[2:3], v[64:65] offset:72
	s_or_b32 exec_lo, exec_lo, s8
	s_and_saveexec_b32 s8, s15
	s_cbranch_execz .LBB716_648
.LBB716_696:
	flat_store_dwordx2 v[2:3], v[70:71] offset:80
	s_or_b32 exec_lo, exec_lo, s8
	s_and_saveexec_b32 s8, s16
	s_cbranch_execz .LBB716_649
.LBB716_697:
	flat_store_dwordx2 v[2:3], v[86:87] offset:88
	s_or_b32 exec_lo, exec_lo, s8
	s_and_saveexec_b32 s8, s17
	s_cbranch_execz .LBB716_650
.LBB716_698:
	flat_store_dwordx2 v[2:3], v[96:97] offset:96
	s_or_b32 exec_lo, exec_lo, s8
	s_and_saveexec_b32 s8, s18
	s_cbranch_execz .LBB716_651
.LBB716_699:
	flat_store_dwordx2 v[2:3], v[82:83] offset:104
	s_or_b32 exec_lo, exec_lo, s8
	s_and_saveexec_b32 s8, s19
	s_cbranch_execz .LBB716_652
.LBB716_700:
	flat_store_dwordx2 v[2:3], v[102:103] offset:112
	s_or_b32 exec_lo, exec_lo, s8
	s_and_saveexec_b32 s8, s20
	s_cbranch_execnz .LBB716_653
	s_branch .LBB716_654
.LBB716_701:
	flat_store_dwordx2 v[0:1], v[4:5]
	s_or_b32 exec_lo, exec_lo, s8
	s_and_saveexec_b32 s8, s4
	s_cbranch_execz .LBB716_656
.LBB716_702:
	flat_store_dwordx2 v[0:1], v[15:16] offset:8
	s_or_b32 exec_lo, exec_lo, s8
	s_and_saveexec_b32 s4, s5
	s_cbranch_execz .LBB716_657
.LBB716_703:
	flat_store_dwordx2 v[0:1], v[19:20] offset:16
	s_or_b32 exec_lo, exec_lo, s4
	s_and_saveexec_b32 s4, s6
	s_cbranch_execz .LBB716_658
.LBB716_704:
	flat_store_dwordx2 v[0:1], v[25:26] offset:24
	s_or_b32 exec_lo, exec_lo, s4
	s_and_saveexec_b32 s4, s7
	s_cbranch_execz .LBB716_659
.LBB716_705:
	flat_store_dwordx2 v[0:1], v[29:30] offset:32
	s_or_b32 exec_lo, exec_lo, s4
	s_and_saveexec_b32 s4, s10
	s_cbranch_execz .LBB716_660
.LBB716_706:
	flat_store_dwordx2 v[0:1], v[34:35] offset:40
	s_or_b32 exec_lo, exec_lo, s4
	s_and_saveexec_b32 s4, s11
	s_cbranch_execz .LBB716_661
.LBB716_707:
	flat_store_dwordx2 v[0:1], v[38:39] offset:48
	s_or_b32 exec_lo, exec_lo, s4
	s_and_saveexec_b32 s4, s21
	s_cbranch_execz .LBB716_662
.LBB716_708:
	flat_store_dwordx2 v[0:1], v[50:51] offset:56
	s_or_b32 exec_lo, exec_lo, s4
	s_and_saveexec_b32 s4, s22
	s_cbranch_execz .LBB716_663
.LBB716_709:
	flat_store_dwordx2 v[0:1], v[54:55] offset:64
	s_or_b32 exec_lo, exec_lo, s4
	s_and_saveexec_b32 s4, s14
	s_cbranch_execz .LBB716_664
.LBB716_710:
	flat_store_dwordx2 v[0:1], v[66:67] offset:72
	s_or_b32 exec_lo, exec_lo, s4
	s_and_saveexec_b32 s4, s15
	s_cbranch_execz .LBB716_665
.LBB716_711:
	flat_store_dwordx2 v[0:1], v[68:69] offset:80
	s_or_b32 exec_lo, exec_lo, s4
	s_and_saveexec_b32 s4, s16
	s_cbranch_execz .LBB716_666
.LBB716_712:
	flat_store_dwordx2 v[0:1], v[80:81] offset:88
	s_or_b32 exec_lo, exec_lo, s4
	s_and_saveexec_b32 s4, s17
	s_cbranch_execz .LBB716_667
.LBB716_713:
	flat_store_dwordx2 v[0:1], v[84:85] offset:96
	s_or_b32 exec_lo, exec_lo, s4
	s_and_saveexec_b32 s4, s18
	s_cbranch_execz .LBB716_668
.LBB716_714:
	flat_store_dwordx2 v[0:1], v[100:101] offset:104
	s_or_b32 exec_lo, exec_lo, s4
	s_and_saveexec_b32 s4, s19
	s_cbranch_execz .LBB716_669
.LBB716_715:
	flat_store_dwordx2 v[0:1], v[98:99] offset:112
	s_or_b32 exec_lo, exec_lo, s4
	s_and_saveexec_b32 s4, s20
	s_cbranch_execz .LBB716_670
.LBB716_716:
	flat_store_dwordx2 v[0:1], v[112:113] offset:120
	s_or_b32 exec_lo, exec_lo, s4
	s_waitcnt lgkmcnt(0)
	s_setpc_b64 s[30:31]
.Lfunc_end716:
	.size	_ZN7rocprim17ROCPRIM_400000_NS6detail26segmented_warp_sort_helperINS1_20WarpSortHelperConfigILj32ELj16ELj256EEEllLi256ELb1EvE4sortIPKlPlS8_S9_EEvT_T0_T1_T2_jjjjRNS5_12storage_typeE, .Lfunc_end716-_ZN7rocprim17ROCPRIM_400000_NS6detail26segmented_warp_sort_helperINS1_20WarpSortHelperConfigILj32ELj16ELj256EEEllLi256ELb1EvE4sortIPKlPlS8_S9_EEvT_T0_T1_T2_jjjjRNS5_12storage_typeE
                                        ; -- End function
	.set .L_ZN7rocprim17ROCPRIM_400000_NS6detail26segmented_warp_sort_helperINS1_20WarpSortHelperConfigILj32ELj16ELj256EEEllLi256ELb1EvE4sortIPKlPlS8_S9_EEvT_T0_T1_T2_jjjjRNS5_12storage_typeE.num_vgpr, 193
	.set .L_ZN7rocprim17ROCPRIM_400000_NS6detail26segmented_warp_sort_helperINS1_20WarpSortHelperConfigILj32ELj16ELj256EEEllLi256ELb1EvE4sortIPKlPlS8_S9_EEvT_T0_T1_T2_jjjjRNS5_12storage_typeE.num_agpr, 0
	.set .L_ZN7rocprim17ROCPRIM_400000_NS6detail26segmented_warp_sort_helperINS1_20WarpSortHelperConfigILj32ELj16ELj256EEEllLi256ELb1EvE4sortIPKlPlS8_S9_EEvT_T0_T1_T2_jjjjRNS5_12storage_typeE.numbered_sgpr, 60
	.set .L_ZN7rocprim17ROCPRIM_400000_NS6detail26segmented_warp_sort_helperINS1_20WarpSortHelperConfigILj32ELj16ELj256EEEllLi256ELb1EvE4sortIPKlPlS8_S9_EEvT_T0_T1_T2_jjjjRNS5_12storage_typeE.num_named_barrier, 0
	.set .L_ZN7rocprim17ROCPRIM_400000_NS6detail26segmented_warp_sort_helperINS1_20WarpSortHelperConfigILj32ELj16ELj256EEEllLi256ELb1EvE4sortIPKlPlS8_S9_EEvT_T0_T1_T2_jjjjRNS5_12storage_typeE.private_seg_size, 0
	.set .L_ZN7rocprim17ROCPRIM_400000_NS6detail26segmented_warp_sort_helperINS1_20WarpSortHelperConfigILj32ELj16ELj256EEEllLi256ELb1EvE4sortIPKlPlS8_S9_EEvT_T0_T1_T2_jjjjRNS5_12storage_typeE.uses_vcc, 1
	.set .L_ZN7rocprim17ROCPRIM_400000_NS6detail26segmented_warp_sort_helperINS1_20WarpSortHelperConfigILj32ELj16ELj256EEEllLi256ELb1EvE4sortIPKlPlS8_S9_EEvT_T0_T1_T2_jjjjRNS5_12storage_typeE.uses_flat_scratch, 0
	.set .L_ZN7rocprim17ROCPRIM_400000_NS6detail26segmented_warp_sort_helperINS1_20WarpSortHelperConfigILj32ELj16ELj256EEEllLi256ELb1EvE4sortIPKlPlS8_S9_EEvT_T0_T1_T2_jjjjRNS5_12storage_typeE.has_dyn_sized_stack, 0
	.set .L_ZN7rocprim17ROCPRIM_400000_NS6detail26segmented_warp_sort_helperINS1_20WarpSortHelperConfigILj32ELj16ELj256EEEllLi256ELb1EvE4sortIPKlPlS8_S9_EEvT_T0_T1_T2_jjjjRNS5_12storage_typeE.has_recursion, 0
	.set .L_ZN7rocprim17ROCPRIM_400000_NS6detail26segmented_warp_sort_helperINS1_20WarpSortHelperConfigILj32ELj16ELj256EEEllLi256ELb1EvE4sortIPKlPlS8_S9_EEvT_T0_T1_T2_jjjjRNS5_12storage_typeE.has_indirect_call, 0
	.section	.AMDGPU.csdata,"",@progbits
; Function info:
; codeLenInByte = 51844
; TotalNumSgprs: 62
; NumVgprs: 193
; ScratchSize: 0
; MemoryBound: 0
	.section	.text._ZN7rocprim17ROCPRIM_400000_NS6detail17trampoline_kernelINS0_14default_configENS1_36segmented_radix_sort_config_selectorIllEEZNS1_25segmented_radix_sort_implIS3_Lb1EPKlPlS8_S9_N2at6native12_GLOBAL__N_18offset_tEEE10hipError_tPvRmT1_PNSt15iterator_traitsISH_E10value_typeET2_T3_PNSI_ISN_E10value_typeET4_jRbjT5_ST_jjP12ihipStream_tbEUlT_E0_NS1_11comp_targetILNS1_3genE8ELNS1_11target_archE1030ELNS1_3gpuE2ELNS1_3repE0EEENS1_60segmented_radix_sort_warp_sort_medium_config_static_selectorELNS0_4arch9wavefront6targetE0EEEvSH_,"axG",@progbits,_ZN7rocprim17ROCPRIM_400000_NS6detail17trampoline_kernelINS0_14default_configENS1_36segmented_radix_sort_config_selectorIllEEZNS1_25segmented_radix_sort_implIS3_Lb1EPKlPlS8_S9_N2at6native12_GLOBAL__N_18offset_tEEE10hipError_tPvRmT1_PNSt15iterator_traitsISH_E10value_typeET2_T3_PNSI_ISN_E10value_typeET4_jRbjT5_ST_jjP12ihipStream_tbEUlT_E0_NS1_11comp_targetILNS1_3genE8ELNS1_11target_archE1030ELNS1_3gpuE2ELNS1_3repE0EEENS1_60segmented_radix_sort_warp_sort_medium_config_static_selectorELNS0_4arch9wavefront6targetE0EEEvSH_,comdat
	.globl	_ZN7rocprim17ROCPRIM_400000_NS6detail17trampoline_kernelINS0_14default_configENS1_36segmented_radix_sort_config_selectorIllEEZNS1_25segmented_radix_sort_implIS3_Lb1EPKlPlS8_S9_N2at6native12_GLOBAL__N_18offset_tEEE10hipError_tPvRmT1_PNSt15iterator_traitsISH_E10value_typeET2_T3_PNSI_ISN_E10value_typeET4_jRbjT5_ST_jjP12ihipStream_tbEUlT_E0_NS1_11comp_targetILNS1_3genE8ELNS1_11target_archE1030ELNS1_3gpuE2ELNS1_3repE0EEENS1_60segmented_radix_sort_warp_sort_medium_config_static_selectorELNS0_4arch9wavefront6targetE0EEEvSH_ ; -- Begin function _ZN7rocprim17ROCPRIM_400000_NS6detail17trampoline_kernelINS0_14default_configENS1_36segmented_radix_sort_config_selectorIllEEZNS1_25segmented_radix_sort_implIS3_Lb1EPKlPlS8_S9_N2at6native12_GLOBAL__N_18offset_tEEE10hipError_tPvRmT1_PNSt15iterator_traitsISH_E10value_typeET2_T3_PNSI_ISN_E10value_typeET4_jRbjT5_ST_jjP12ihipStream_tbEUlT_E0_NS1_11comp_targetILNS1_3genE8ELNS1_11target_archE1030ELNS1_3gpuE2ELNS1_3repE0EEENS1_60segmented_radix_sort_warp_sort_medium_config_static_selectorELNS0_4arch9wavefront6targetE0EEEvSH_
	.p2align	8
	.type	_ZN7rocprim17ROCPRIM_400000_NS6detail17trampoline_kernelINS0_14default_configENS1_36segmented_radix_sort_config_selectorIllEEZNS1_25segmented_radix_sort_implIS3_Lb1EPKlPlS8_S9_N2at6native12_GLOBAL__N_18offset_tEEE10hipError_tPvRmT1_PNSt15iterator_traitsISH_E10value_typeET2_T3_PNSI_ISN_E10value_typeET4_jRbjT5_ST_jjP12ihipStream_tbEUlT_E0_NS1_11comp_targetILNS1_3genE8ELNS1_11target_archE1030ELNS1_3gpuE2ELNS1_3repE0EEENS1_60segmented_radix_sort_warp_sort_medium_config_static_selectorELNS0_4arch9wavefront6targetE0EEEvSH_,@function
_ZN7rocprim17ROCPRIM_400000_NS6detail17trampoline_kernelINS0_14default_configENS1_36segmented_radix_sort_config_selectorIllEEZNS1_25segmented_radix_sort_implIS3_Lb1EPKlPlS8_S9_N2at6native12_GLOBAL__N_18offset_tEEE10hipError_tPvRmT1_PNSt15iterator_traitsISH_E10value_typeET2_T3_PNSI_ISN_E10value_typeET4_jRbjT5_ST_jjP12ihipStream_tbEUlT_E0_NS1_11comp_targetILNS1_3genE8ELNS1_11target_archE1030ELNS1_3gpuE2ELNS1_3repE0EEENS1_60segmented_radix_sort_warp_sort_medium_config_static_selectorELNS0_4arch9wavefront6targetE0EEEvSH_: ; @_ZN7rocprim17ROCPRIM_400000_NS6detail17trampoline_kernelINS0_14default_configENS1_36segmented_radix_sort_config_selectorIllEEZNS1_25segmented_radix_sort_implIS3_Lb1EPKlPlS8_S9_N2at6native12_GLOBAL__N_18offset_tEEE10hipError_tPvRmT1_PNSt15iterator_traitsISH_E10value_typeET2_T3_PNSI_ISN_E10value_typeET4_jRbjT5_ST_jjP12ihipStream_tbEUlT_E0_NS1_11comp_targetILNS1_3genE8ELNS1_11target_archE1030ELNS1_3gpuE2ELNS1_3repE0EEENS1_60segmented_radix_sort_warp_sort_medium_config_static_selectorELNS0_4arch9wavefront6targetE0EEEvSH_
; %bb.0:
	s_add_u32 s0, s0, s8
	s_load_dword s8, s[4:5], 0x64
	s_addc_u32 s1, s1, 0
	s_mov_b32 s32, 0
	s_waitcnt lgkmcnt(0)
	s_lshr_b32 s9, s8, 16
	s_and_b32 s8, s8, 0xffff
	v_mad_u32_u24 v3, v2, s9, v1
	s_load_dword s9, s[4:5], 0x34
	v_mad_u64_u32 v[3:4], null, v3, s8, v[0:1]
	s_mov_b32 s8, exec_lo
	v_lshrrev_b32_e32 v3, 5, v3
	v_lshl_add_u32 v3, s6, 3, v3
	s_waitcnt lgkmcnt(0)
	v_cmpx_gt_u32_e64 s9, v3
	s_cbranch_execz .LBB717_6
; %bb.1:
	s_clause 0x1
	s_load_dwordx2 s[12:13], s[4:5], 0x38
	s_load_dwordx4 s[8:11], s[4:5], 0x40
	v_mov_b32_e32 v4, 0
	v_lshlrev_b64 v[3:4], 2, v[3:4]
	s_waitcnt lgkmcnt(0)
	v_add_co_u32 v3, vcc_lo, s12, v3
	v_add_co_ci_u32_e64 v4, null, s13, v4, vcc_lo
	global_load_dword v3, v[3:4], off
	s_waitcnt vmcnt(0)
	v_add_nc_u32_e32 v4, s9, v3
	v_add_nc_u32_e32 v3, s11, v3
	v_mul_lo_u32 v40, v4, s8
	v_mul_lo_u32 v41, v3, s10
	v_cmp_gt_u32_e32 vcc_lo, v41, v40
	s_and_b32 exec_lo, exec_lo, vcc_lo
	s_cbranch_execz .LBB717_6
; %bb.2:
	s_clause 0x3
	s_load_dword s8, s[4:5], 0x30
	s_load_dwordx4 s[36:39], s[4:5], 0x20
	s_load_dwordx8 s[48:55], s[4:5], 0x0
	s_load_dwordx2 s[34:35], s[4:5], 0x50
	v_lshlrev_b32_e32 v43, 20, v2
	v_lshlrev_b32_e32 v44, 10, v1
	s_waitcnt lgkmcnt(0)
	s_bitcmp0_b32 s8, 0
	s_mov_b32 s8, -1
	s_cbranch_scc0 .LBB717_4
; %bb.3:
	v_or3_b32 v31, v0, v44, v43
	v_mov_b32_e32 v42, v0
	v_mov_b32_e32 v0, s48
	;; [unrolled: 1-line block ×13, first 2 shown]
	s_add_u32 s8, s4, 0x58
	s_addc_u32 s9, s5, 0
	s_getpc_b64 s[10:11]
	s_add_u32 s10, s10, _ZN7rocprim17ROCPRIM_400000_NS6detail26segmented_warp_sort_helperINS1_20WarpSortHelperConfigILj32ELj16ELj256EEEllLi256ELb1EvE4sortIPKlPlS8_S9_EEvT_T0_T1_T2_jjjjRNS5_12storage_typeE@rel32@lo+4
	s_addc_u32 s11, s11, _ZN7rocprim17ROCPRIM_400000_NS6detail26segmented_warp_sort_helperINS1_20WarpSortHelperConfigILj32ELj16ELj256EEEllLi256ELb1EvE4sortIPKlPlS8_S9_EEvT_T0_T1_T2_jjjjRNS5_12storage_typeE@rel32@hi+12
	s_mov_b32 s12, s6
	s_mov_b32 s13, s7
	s_mov_b64 s[36:37], s[4:5]
	s_mov_b32 s33, s7
	s_mov_b32 s50, s6
	s_swappc_b64 s[30:31], s[10:11]
	v_mov_b32_e32 v0, v42
	s_mov_b32 s6, s50
	s_mov_b32 s7, s33
	s_mov_b64 s[4:5], s[36:37]
	s_mov_b32 s8, 0
.LBB717_4:
	s_andn2_b32 vcc_lo, exec_lo, s8
	s_cbranch_vccnz .LBB717_6
; %bb.5:
	v_or3_b32 v31, v0, v44, v43
	v_mov_b32_e32 v0, s48
	v_mov_b32_e32 v1, s49
	;; [unrolled: 1-line block ×12, first 2 shown]
	s_add_u32 s8, s4, 0x58
	s_addc_u32 s9, s5, 0
	s_getpc_b64 s[4:5]
	s_add_u32 s4, s4, _ZN7rocprim17ROCPRIM_400000_NS6detail26segmented_warp_sort_helperINS1_20WarpSortHelperConfigILj32ELj16ELj256EEEllLi256ELb1EvE4sortIPKlPlS8_S9_EEvT_T0_T1_T2_jjjjRNS5_12storage_typeE@rel32@lo+4
	s_addc_u32 s5, s5, _ZN7rocprim17ROCPRIM_400000_NS6detail26segmented_warp_sort_helperINS1_20WarpSortHelperConfigILj32ELj16ELj256EEEllLi256ELb1EvE4sortIPKlPlS8_S9_EEvT_T0_T1_T2_jjjjRNS5_12storage_typeE@rel32@hi+12
	s_mov_b32 s12, s6
	s_mov_b32 s13, s7
	s_swappc_b64 s[30:31], s[4:5]
.LBB717_6:
	s_endpgm
	.section	.rodata,"a",@progbits
	.p2align	6, 0x0
	.amdhsa_kernel _ZN7rocprim17ROCPRIM_400000_NS6detail17trampoline_kernelINS0_14default_configENS1_36segmented_radix_sort_config_selectorIllEEZNS1_25segmented_radix_sort_implIS3_Lb1EPKlPlS8_S9_N2at6native12_GLOBAL__N_18offset_tEEE10hipError_tPvRmT1_PNSt15iterator_traitsISH_E10value_typeET2_T3_PNSI_ISN_E10value_typeET4_jRbjT5_ST_jjP12ihipStream_tbEUlT_E0_NS1_11comp_targetILNS1_3genE8ELNS1_11target_archE1030ELNS1_3gpuE2ELNS1_3repE0EEENS1_60segmented_radix_sort_warp_sort_medium_config_static_selectorELNS0_4arch9wavefront6targetE0EEEvSH_
		.amdhsa_group_segment_fixed_size 65536
		.amdhsa_private_segment_fixed_size 0
		.amdhsa_kernarg_size 344
		.amdhsa_user_sgpr_count 6
		.amdhsa_user_sgpr_private_segment_buffer 1
		.amdhsa_user_sgpr_dispatch_ptr 0
		.amdhsa_user_sgpr_queue_ptr 0
		.amdhsa_user_sgpr_kernarg_segment_ptr 1
		.amdhsa_user_sgpr_dispatch_id 0
		.amdhsa_user_sgpr_flat_scratch_init 0
		.amdhsa_user_sgpr_private_segment_size 0
		.amdhsa_wavefront_size32 1
		.amdhsa_uses_dynamic_stack 0
		.amdhsa_system_sgpr_private_segment_wavefront_offset 0
		.amdhsa_system_sgpr_workgroup_id_x 1
		.amdhsa_system_sgpr_workgroup_id_y 1
		.amdhsa_system_sgpr_workgroup_id_z 0
		.amdhsa_system_sgpr_workgroup_info 0
		.amdhsa_system_vgpr_workitem_id 2
		.amdhsa_next_free_vgpr 193
		.amdhsa_next_free_sgpr 60
		.amdhsa_reserve_vcc 1
		.amdhsa_reserve_flat_scratch 0
		.amdhsa_float_round_mode_32 0
		.amdhsa_float_round_mode_16_64 0
		.amdhsa_float_denorm_mode_32 3
		.amdhsa_float_denorm_mode_16_64 3
		.amdhsa_dx10_clamp 1
		.amdhsa_ieee_mode 1
		.amdhsa_fp16_overflow 0
		.amdhsa_workgroup_processor_mode 1
		.amdhsa_memory_ordered 1
		.amdhsa_forward_progress 1
		.amdhsa_shared_vgpr_count 0
		.amdhsa_exception_fp_ieee_invalid_op 0
		.amdhsa_exception_fp_denorm_src 0
		.amdhsa_exception_fp_ieee_div_zero 0
		.amdhsa_exception_fp_ieee_overflow 0
		.amdhsa_exception_fp_ieee_underflow 0
		.amdhsa_exception_fp_ieee_inexact 0
		.amdhsa_exception_int_div_zero 0
	.end_amdhsa_kernel
	.section	.text._ZN7rocprim17ROCPRIM_400000_NS6detail17trampoline_kernelINS0_14default_configENS1_36segmented_radix_sort_config_selectorIllEEZNS1_25segmented_radix_sort_implIS3_Lb1EPKlPlS8_S9_N2at6native12_GLOBAL__N_18offset_tEEE10hipError_tPvRmT1_PNSt15iterator_traitsISH_E10value_typeET2_T3_PNSI_ISN_E10value_typeET4_jRbjT5_ST_jjP12ihipStream_tbEUlT_E0_NS1_11comp_targetILNS1_3genE8ELNS1_11target_archE1030ELNS1_3gpuE2ELNS1_3repE0EEENS1_60segmented_radix_sort_warp_sort_medium_config_static_selectorELNS0_4arch9wavefront6targetE0EEEvSH_,"axG",@progbits,_ZN7rocprim17ROCPRIM_400000_NS6detail17trampoline_kernelINS0_14default_configENS1_36segmented_radix_sort_config_selectorIllEEZNS1_25segmented_radix_sort_implIS3_Lb1EPKlPlS8_S9_N2at6native12_GLOBAL__N_18offset_tEEE10hipError_tPvRmT1_PNSt15iterator_traitsISH_E10value_typeET2_T3_PNSI_ISN_E10value_typeET4_jRbjT5_ST_jjP12ihipStream_tbEUlT_E0_NS1_11comp_targetILNS1_3genE8ELNS1_11target_archE1030ELNS1_3gpuE2ELNS1_3repE0EEENS1_60segmented_radix_sort_warp_sort_medium_config_static_selectorELNS0_4arch9wavefront6targetE0EEEvSH_,comdat
.Lfunc_end717:
	.size	_ZN7rocprim17ROCPRIM_400000_NS6detail17trampoline_kernelINS0_14default_configENS1_36segmented_radix_sort_config_selectorIllEEZNS1_25segmented_radix_sort_implIS3_Lb1EPKlPlS8_S9_N2at6native12_GLOBAL__N_18offset_tEEE10hipError_tPvRmT1_PNSt15iterator_traitsISH_E10value_typeET2_T3_PNSI_ISN_E10value_typeET4_jRbjT5_ST_jjP12ihipStream_tbEUlT_E0_NS1_11comp_targetILNS1_3genE8ELNS1_11target_archE1030ELNS1_3gpuE2ELNS1_3repE0EEENS1_60segmented_radix_sort_warp_sort_medium_config_static_selectorELNS0_4arch9wavefront6targetE0EEEvSH_, .Lfunc_end717-_ZN7rocprim17ROCPRIM_400000_NS6detail17trampoline_kernelINS0_14default_configENS1_36segmented_radix_sort_config_selectorIllEEZNS1_25segmented_radix_sort_implIS3_Lb1EPKlPlS8_S9_N2at6native12_GLOBAL__N_18offset_tEEE10hipError_tPvRmT1_PNSt15iterator_traitsISH_E10value_typeET2_T3_PNSI_ISN_E10value_typeET4_jRbjT5_ST_jjP12ihipStream_tbEUlT_E0_NS1_11comp_targetILNS1_3genE8ELNS1_11target_archE1030ELNS1_3gpuE2ELNS1_3repE0EEENS1_60segmented_radix_sort_warp_sort_medium_config_static_selectorELNS0_4arch9wavefront6targetE0EEEvSH_
                                        ; -- End function
	.set _ZN7rocprim17ROCPRIM_400000_NS6detail17trampoline_kernelINS0_14default_configENS1_36segmented_radix_sort_config_selectorIllEEZNS1_25segmented_radix_sort_implIS3_Lb1EPKlPlS8_S9_N2at6native12_GLOBAL__N_18offset_tEEE10hipError_tPvRmT1_PNSt15iterator_traitsISH_E10value_typeET2_T3_PNSI_ISN_E10value_typeET4_jRbjT5_ST_jjP12ihipStream_tbEUlT_E0_NS1_11comp_targetILNS1_3genE8ELNS1_11target_archE1030ELNS1_3gpuE2ELNS1_3repE0EEENS1_60segmented_radix_sort_warp_sort_medium_config_static_selectorELNS0_4arch9wavefront6targetE0EEEvSH_.num_vgpr, max(45, .L_ZN7rocprim17ROCPRIM_400000_NS6detail26segmented_warp_sort_helperINS1_20WarpSortHelperConfigILj32ELj16ELj256EEEllLi256ELb1EvE4sortIPKlPlS8_S9_EEvT_T0_T1_T2_jjjjRNS5_12storage_typeE.num_vgpr)
	.set _ZN7rocprim17ROCPRIM_400000_NS6detail17trampoline_kernelINS0_14default_configENS1_36segmented_radix_sort_config_selectorIllEEZNS1_25segmented_radix_sort_implIS3_Lb1EPKlPlS8_S9_N2at6native12_GLOBAL__N_18offset_tEEE10hipError_tPvRmT1_PNSt15iterator_traitsISH_E10value_typeET2_T3_PNSI_ISN_E10value_typeET4_jRbjT5_ST_jjP12ihipStream_tbEUlT_E0_NS1_11comp_targetILNS1_3genE8ELNS1_11target_archE1030ELNS1_3gpuE2ELNS1_3repE0EEENS1_60segmented_radix_sort_warp_sort_medium_config_static_selectorELNS0_4arch9wavefront6targetE0EEEvSH_.num_agpr, max(0, .L_ZN7rocprim17ROCPRIM_400000_NS6detail26segmented_warp_sort_helperINS1_20WarpSortHelperConfigILj32ELj16ELj256EEEllLi256ELb1EvE4sortIPKlPlS8_S9_EEvT_T0_T1_T2_jjjjRNS5_12storage_typeE.num_agpr)
	.set _ZN7rocprim17ROCPRIM_400000_NS6detail17trampoline_kernelINS0_14default_configENS1_36segmented_radix_sort_config_selectorIllEEZNS1_25segmented_radix_sort_implIS3_Lb1EPKlPlS8_S9_N2at6native12_GLOBAL__N_18offset_tEEE10hipError_tPvRmT1_PNSt15iterator_traitsISH_E10value_typeET2_T3_PNSI_ISN_E10value_typeET4_jRbjT5_ST_jjP12ihipStream_tbEUlT_E0_NS1_11comp_targetILNS1_3genE8ELNS1_11target_archE1030ELNS1_3gpuE2ELNS1_3repE0EEENS1_60segmented_radix_sort_warp_sort_medium_config_static_selectorELNS0_4arch9wavefront6targetE0EEEvSH_.numbered_sgpr, max(56, .L_ZN7rocprim17ROCPRIM_400000_NS6detail26segmented_warp_sort_helperINS1_20WarpSortHelperConfigILj32ELj16ELj256EEEllLi256ELb1EvE4sortIPKlPlS8_S9_EEvT_T0_T1_T2_jjjjRNS5_12storage_typeE.numbered_sgpr)
	.set _ZN7rocprim17ROCPRIM_400000_NS6detail17trampoline_kernelINS0_14default_configENS1_36segmented_radix_sort_config_selectorIllEEZNS1_25segmented_radix_sort_implIS3_Lb1EPKlPlS8_S9_N2at6native12_GLOBAL__N_18offset_tEEE10hipError_tPvRmT1_PNSt15iterator_traitsISH_E10value_typeET2_T3_PNSI_ISN_E10value_typeET4_jRbjT5_ST_jjP12ihipStream_tbEUlT_E0_NS1_11comp_targetILNS1_3genE8ELNS1_11target_archE1030ELNS1_3gpuE2ELNS1_3repE0EEENS1_60segmented_radix_sort_warp_sort_medium_config_static_selectorELNS0_4arch9wavefront6targetE0EEEvSH_.num_named_barrier, max(0, .L_ZN7rocprim17ROCPRIM_400000_NS6detail26segmented_warp_sort_helperINS1_20WarpSortHelperConfigILj32ELj16ELj256EEEllLi256ELb1EvE4sortIPKlPlS8_S9_EEvT_T0_T1_T2_jjjjRNS5_12storage_typeE.num_named_barrier)
	.set _ZN7rocprim17ROCPRIM_400000_NS6detail17trampoline_kernelINS0_14default_configENS1_36segmented_radix_sort_config_selectorIllEEZNS1_25segmented_radix_sort_implIS3_Lb1EPKlPlS8_S9_N2at6native12_GLOBAL__N_18offset_tEEE10hipError_tPvRmT1_PNSt15iterator_traitsISH_E10value_typeET2_T3_PNSI_ISN_E10value_typeET4_jRbjT5_ST_jjP12ihipStream_tbEUlT_E0_NS1_11comp_targetILNS1_3genE8ELNS1_11target_archE1030ELNS1_3gpuE2ELNS1_3repE0EEENS1_60segmented_radix_sort_warp_sort_medium_config_static_selectorELNS0_4arch9wavefront6targetE0EEEvSH_.private_seg_size, 0+max(.L_ZN7rocprim17ROCPRIM_400000_NS6detail26segmented_warp_sort_helperINS1_20WarpSortHelperConfigILj32ELj16ELj256EEEllLi256ELb1EvE4sortIPKlPlS8_S9_EEvT_T0_T1_T2_jjjjRNS5_12storage_typeE.private_seg_size)
	.set _ZN7rocprim17ROCPRIM_400000_NS6detail17trampoline_kernelINS0_14default_configENS1_36segmented_radix_sort_config_selectorIllEEZNS1_25segmented_radix_sort_implIS3_Lb1EPKlPlS8_S9_N2at6native12_GLOBAL__N_18offset_tEEE10hipError_tPvRmT1_PNSt15iterator_traitsISH_E10value_typeET2_T3_PNSI_ISN_E10value_typeET4_jRbjT5_ST_jjP12ihipStream_tbEUlT_E0_NS1_11comp_targetILNS1_3genE8ELNS1_11target_archE1030ELNS1_3gpuE2ELNS1_3repE0EEENS1_60segmented_radix_sort_warp_sort_medium_config_static_selectorELNS0_4arch9wavefront6targetE0EEEvSH_.uses_vcc, or(1, .L_ZN7rocprim17ROCPRIM_400000_NS6detail26segmented_warp_sort_helperINS1_20WarpSortHelperConfigILj32ELj16ELj256EEEllLi256ELb1EvE4sortIPKlPlS8_S9_EEvT_T0_T1_T2_jjjjRNS5_12storage_typeE.uses_vcc)
	.set _ZN7rocprim17ROCPRIM_400000_NS6detail17trampoline_kernelINS0_14default_configENS1_36segmented_radix_sort_config_selectorIllEEZNS1_25segmented_radix_sort_implIS3_Lb1EPKlPlS8_S9_N2at6native12_GLOBAL__N_18offset_tEEE10hipError_tPvRmT1_PNSt15iterator_traitsISH_E10value_typeET2_T3_PNSI_ISN_E10value_typeET4_jRbjT5_ST_jjP12ihipStream_tbEUlT_E0_NS1_11comp_targetILNS1_3genE8ELNS1_11target_archE1030ELNS1_3gpuE2ELNS1_3repE0EEENS1_60segmented_radix_sort_warp_sort_medium_config_static_selectorELNS0_4arch9wavefront6targetE0EEEvSH_.uses_flat_scratch, or(0, .L_ZN7rocprim17ROCPRIM_400000_NS6detail26segmented_warp_sort_helperINS1_20WarpSortHelperConfigILj32ELj16ELj256EEEllLi256ELb1EvE4sortIPKlPlS8_S9_EEvT_T0_T1_T2_jjjjRNS5_12storage_typeE.uses_flat_scratch)
	.set _ZN7rocprim17ROCPRIM_400000_NS6detail17trampoline_kernelINS0_14default_configENS1_36segmented_radix_sort_config_selectorIllEEZNS1_25segmented_radix_sort_implIS3_Lb1EPKlPlS8_S9_N2at6native12_GLOBAL__N_18offset_tEEE10hipError_tPvRmT1_PNSt15iterator_traitsISH_E10value_typeET2_T3_PNSI_ISN_E10value_typeET4_jRbjT5_ST_jjP12ihipStream_tbEUlT_E0_NS1_11comp_targetILNS1_3genE8ELNS1_11target_archE1030ELNS1_3gpuE2ELNS1_3repE0EEENS1_60segmented_radix_sort_warp_sort_medium_config_static_selectorELNS0_4arch9wavefront6targetE0EEEvSH_.has_dyn_sized_stack, or(0, .L_ZN7rocprim17ROCPRIM_400000_NS6detail26segmented_warp_sort_helperINS1_20WarpSortHelperConfigILj32ELj16ELj256EEEllLi256ELb1EvE4sortIPKlPlS8_S9_EEvT_T0_T1_T2_jjjjRNS5_12storage_typeE.has_dyn_sized_stack)
	.set _ZN7rocprim17ROCPRIM_400000_NS6detail17trampoline_kernelINS0_14default_configENS1_36segmented_radix_sort_config_selectorIllEEZNS1_25segmented_radix_sort_implIS3_Lb1EPKlPlS8_S9_N2at6native12_GLOBAL__N_18offset_tEEE10hipError_tPvRmT1_PNSt15iterator_traitsISH_E10value_typeET2_T3_PNSI_ISN_E10value_typeET4_jRbjT5_ST_jjP12ihipStream_tbEUlT_E0_NS1_11comp_targetILNS1_3genE8ELNS1_11target_archE1030ELNS1_3gpuE2ELNS1_3repE0EEENS1_60segmented_radix_sort_warp_sort_medium_config_static_selectorELNS0_4arch9wavefront6targetE0EEEvSH_.has_recursion, or(0, .L_ZN7rocprim17ROCPRIM_400000_NS6detail26segmented_warp_sort_helperINS1_20WarpSortHelperConfigILj32ELj16ELj256EEEllLi256ELb1EvE4sortIPKlPlS8_S9_EEvT_T0_T1_T2_jjjjRNS5_12storage_typeE.has_recursion)
	.set _ZN7rocprim17ROCPRIM_400000_NS6detail17trampoline_kernelINS0_14default_configENS1_36segmented_radix_sort_config_selectorIllEEZNS1_25segmented_radix_sort_implIS3_Lb1EPKlPlS8_S9_N2at6native12_GLOBAL__N_18offset_tEEE10hipError_tPvRmT1_PNSt15iterator_traitsISH_E10value_typeET2_T3_PNSI_ISN_E10value_typeET4_jRbjT5_ST_jjP12ihipStream_tbEUlT_E0_NS1_11comp_targetILNS1_3genE8ELNS1_11target_archE1030ELNS1_3gpuE2ELNS1_3repE0EEENS1_60segmented_radix_sort_warp_sort_medium_config_static_selectorELNS0_4arch9wavefront6targetE0EEEvSH_.has_indirect_call, or(0, .L_ZN7rocprim17ROCPRIM_400000_NS6detail26segmented_warp_sort_helperINS1_20WarpSortHelperConfigILj32ELj16ELj256EEEllLi256ELb1EvE4sortIPKlPlS8_S9_EEvT_T0_T1_T2_jjjjRNS5_12storage_typeE.has_indirect_call)
	.section	.AMDGPU.csdata,"",@progbits
; Kernel info:
; codeLenInByte = 500
; TotalNumSgprs: 62
; NumVgprs: 193
; ScratchSize: 0
; MemoryBound: 0
; FloatMode: 240
; IeeeMode: 1
; LDSByteSize: 65536 bytes/workgroup (compile time only)
; SGPRBlocks: 0
; VGPRBlocks: 24
; NumSGPRsForWavesPerEU: 62
; NumVGPRsForWavesPerEU: 193
; Occupancy: 4
; WaveLimiterHint : 0
; COMPUTE_PGM_RSRC2:SCRATCH_EN: 0
; COMPUTE_PGM_RSRC2:USER_SGPR: 6
; COMPUTE_PGM_RSRC2:TRAP_HANDLER: 0
; COMPUTE_PGM_RSRC2:TGID_X_EN: 1
; COMPUTE_PGM_RSRC2:TGID_Y_EN: 1
; COMPUTE_PGM_RSRC2:TGID_Z_EN: 0
; COMPUTE_PGM_RSRC2:TIDIG_COMP_CNT: 2
	.section	.text._ZN7rocprim17ROCPRIM_400000_NS6detail17trampoline_kernelINS0_14default_configENS1_36segmented_radix_sort_config_selectorIllEEZNS1_25segmented_radix_sort_implIS3_Lb1EPKlPlS8_S9_N2at6native12_GLOBAL__N_18offset_tEEE10hipError_tPvRmT1_PNSt15iterator_traitsISH_E10value_typeET2_T3_PNSI_ISN_E10value_typeET4_jRbjT5_ST_jjP12ihipStream_tbEUlT_E1_NS1_11comp_targetILNS1_3genE0ELNS1_11target_archE4294967295ELNS1_3gpuE0ELNS1_3repE0EEENS1_59segmented_radix_sort_warp_sort_small_config_static_selectorELNS0_4arch9wavefront6targetE0EEEvSH_,"axG",@progbits,_ZN7rocprim17ROCPRIM_400000_NS6detail17trampoline_kernelINS0_14default_configENS1_36segmented_radix_sort_config_selectorIllEEZNS1_25segmented_radix_sort_implIS3_Lb1EPKlPlS8_S9_N2at6native12_GLOBAL__N_18offset_tEEE10hipError_tPvRmT1_PNSt15iterator_traitsISH_E10value_typeET2_T3_PNSI_ISN_E10value_typeET4_jRbjT5_ST_jjP12ihipStream_tbEUlT_E1_NS1_11comp_targetILNS1_3genE0ELNS1_11target_archE4294967295ELNS1_3gpuE0ELNS1_3repE0EEENS1_59segmented_radix_sort_warp_sort_small_config_static_selectorELNS0_4arch9wavefront6targetE0EEEvSH_,comdat
	.globl	_ZN7rocprim17ROCPRIM_400000_NS6detail17trampoline_kernelINS0_14default_configENS1_36segmented_radix_sort_config_selectorIllEEZNS1_25segmented_radix_sort_implIS3_Lb1EPKlPlS8_S9_N2at6native12_GLOBAL__N_18offset_tEEE10hipError_tPvRmT1_PNSt15iterator_traitsISH_E10value_typeET2_T3_PNSI_ISN_E10value_typeET4_jRbjT5_ST_jjP12ihipStream_tbEUlT_E1_NS1_11comp_targetILNS1_3genE0ELNS1_11target_archE4294967295ELNS1_3gpuE0ELNS1_3repE0EEENS1_59segmented_radix_sort_warp_sort_small_config_static_selectorELNS0_4arch9wavefront6targetE0EEEvSH_ ; -- Begin function _ZN7rocprim17ROCPRIM_400000_NS6detail17trampoline_kernelINS0_14default_configENS1_36segmented_radix_sort_config_selectorIllEEZNS1_25segmented_radix_sort_implIS3_Lb1EPKlPlS8_S9_N2at6native12_GLOBAL__N_18offset_tEEE10hipError_tPvRmT1_PNSt15iterator_traitsISH_E10value_typeET2_T3_PNSI_ISN_E10value_typeET4_jRbjT5_ST_jjP12ihipStream_tbEUlT_E1_NS1_11comp_targetILNS1_3genE0ELNS1_11target_archE4294967295ELNS1_3gpuE0ELNS1_3repE0EEENS1_59segmented_radix_sort_warp_sort_small_config_static_selectorELNS0_4arch9wavefront6targetE0EEEvSH_
	.p2align	8
	.type	_ZN7rocprim17ROCPRIM_400000_NS6detail17trampoline_kernelINS0_14default_configENS1_36segmented_radix_sort_config_selectorIllEEZNS1_25segmented_radix_sort_implIS3_Lb1EPKlPlS8_S9_N2at6native12_GLOBAL__N_18offset_tEEE10hipError_tPvRmT1_PNSt15iterator_traitsISH_E10value_typeET2_T3_PNSI_ISN_E10value_typeET4_jRbjT5_ST_jjP12ihipStream_tbEUlT_E1_NS1_11comp_targetILNS1_3genE0ELNS1_11target_archE4294967295ELNS1_3gpuE0ELNS1_3repE0EEENS1_59segmented_radix_sort_warp_sort_small_config_static_selectorELNS0_4arch9wavefront6targetE0EEEvSH_,@function
_ZN7rocprim17ROCPRIM_400000_NS6detail17trampoline_kernelINS0_14default_configENS1_36segmented_radix_sort_config_selectorIllEEZNS1_25segmented_radix_sort_implIS3_Lb1EPKlPlS8_S9_N2at6native12_GLOBAL__N_18offset_tEEE10hipError_tPvRmT1_PNSt15iterator_traitsISH_E10value_typeET2_T3_PNSI_ISN_E10value_typeET4_jRbjT5_ST_jjP12ihipStream_tbEUlT_E1_NS1_11comp_targetILNS1_3genE0ELNS1_11target_archE4294967295ELNS1_3gpuE0ELNS1_3repE0EEENS1_59segmented_radix_sort_warp_sort_small_config_static_selectorELNS0_4arch9wavefront6targetE0EEEvSH_: ; @_ZN7rocprim17ROCPRIM_400000_NS6detail17trampoline_kernelINS0_14default_configENS1_36segmented_radix_sort_config_selectorIllEEZNS1_25segmented_radix_sort_implIS3_Lb1EPKlPlS8_S9_N2at6native12_GLOBAL__N_18offset_tEEE10hipError_tPvRmT1_PNSt15iterator_traitsISH_E10value_typeET2_T3_PNSI_ISN_E10value_typeET4_jRbjT5_ST_jjP12ihipStream_tbEUlT_E1_NS1_11comp_targetILNS1_3genE0ELNS1_11target_archE4294967295ELNS1_3gpuE0ELNS1_3repE0EEENS1_59segmented_radix_sort_warp_sort_small_config_static_selectorELNS0_4arch9wavefront6targetE0EEEvSH_
; %bb.0:
	.section	.rodata,"a",@progbits
	.p2align	6, 0x0
	.amdhsa_kernel _ZN7rocprim17ROCPRIM_400000_NS6detail17trampoline_kernelINS0_14default_configENS1_36segmented_radix_sort_config_selectorIllEEZNS1_25segmented_radix_sort_implIS3_Lb1EPKlPlS8_S9_N2at6native12_GLOBAL__N_18offset_tEEE10hipError_tPvRmT1_PNSt15iterator_traitsISH_E10value_typeET2_T3_PNSI_ISN_E10value_typeET4_jRbjT5_ST_jjP12ihipStream_tbEUlT_E1_NS1_11comp_targetILNS1_3genE0ELNS1_11target_archE4294967295ELNS1_3gpuE0ELNS1_3repE0EEENS1_59segmented_radix_sort_warp_sort_small_config_static_selectorELNS0_4arch9wavefront6targetE0EEEvSH_
		.amdhsa_group_segment_fixed_size 0
		.amdhsa_private_segment_fixed_size 0
		.amdhsa_kernarg_size 88
		.amdhsa_user_sgpr_count 6
		.amdhsa_user_sgpr_private_segment_buffer 1
		.amdhsa_user_sgpr_dispatch_ptr 0
		.amdhsa_user_sgpr_queue_ptr 0
		.amdhsa_user_sgpr_kernarg_segment_ptr 1
		.amdhsa_user_sgpr_dispatch_id 0
		.amdhsa_user_sgpr_flat_scratch_init 0
		.amdhsa_user_sgpr_private_segment_size 0
		.amdhsa_wavefront_size32 1
		.amdhsa_uses_dynamic_stack 0
		.amdhsa_system_sgpr_private_segment_wavefront_offset 0
		.amdhsa_system_sgpr_workgroup_id_x 1
		.amdhsa_system_sgpr_workgroup_id_y 0
		.amdhsa_system_sgpr_workgroup_id_z 0
		.amdhsa_system_sgpr_workgroup_info 0
		.amdhsa_system_vgpr_workitem_id 0
		.amdhsa_next_free_vgpr 1
		.amdhsa_next_free_sgpr 1
		.amdhsa_reserve_vcc 0
		.amdhsa_reserve_flat_scratch 0
		.amdhsa_float_round_mode_32 0
		.amdhsa_float_round_mode_16_64 0
		.amdhsa_float_denorm_mode_32 3
		.amdhsa_float_denorm_mode_16_64 3
		.amdhsa_dx10_clamp 1
		.amdhsa_ieee_mode 1
		.amdhsa_fp16_overflow 0
		.amdhsa_workgroup_processor_mode 1
		.amdhsa_memory_ordered 1
		.amdhsa_forward_progress 1
		.amdhsa_shared_vgpr_count 0
		.amdhsa_exception_fp_ieee_invalid_op 0
		.amdhsa_exception_fp_denorm_src 0
		.amdhsa_exception_fp_ieee_div_zero 0
		.amdhsa_exception_fp_ieee_overflow 0
		.amdhsa_exception_fp_ieee_underflow 0
		.amdhsa_exception_fp_ieee_inexact 0
		.amdhsa_exception_int_div_zero 0
	.end_amdhsa_kernel
	.section	.text._ZN7rocprim17ROCPRIM_400000_NS6detail17trampoline_kernelINS0_14default_configENS1_36segmented_radix_sort_config_selectorIllEEZNS1_25segmented_radix_sort_implIS3_Lb1EPKlPlS8_S9_N2at6native12_GLOBAL__N_18offset_tEEE10hipError_tPvRmT1_PNSt15iterator_traitsISH_E10value_typeET2_T3_PNSI_ISN_E10value_typeET4_jRbjT5_ST_jjP12ihipStream_tbEUlT_E1_NS1_11comp_targetILNS1_3genE0ELNS1_11target_archE4294967295ELNS1_3gpuE0ELNS1_3repE0EEENS1_59segmented_radix_sort_warp_sort_small_config_static_selectorELNS0_4arch9wavefront6targetE0EEEvSH_,"axG",@progbits,_ZN7rocprim17ROCPRIM_400000_NS6detail17trampoline_kernelINS0_14default_configENS1_36segmented_radix_sort_config_selectorIllEEZNS1_25segmented_radix_sort_implIS3_Lb1EPKlPlS8_S9_N2at6native12_GLOBAL__N_18offset_tEEE10hipError_tPvRmT1_PNSt15iterator_traitsISH_E10value_typeET2_T3_PNSI_ISN_E10value_typeET4_jRbjT5_ST_jjP12ihipStream_tbEUlT_E1_NS1_11comp_targetILNS1_3genE0ELNS1_11target_archE4294967295ELNS1_3gpuE0ELNS1_3repE0EEENS1_59segmented_radix_sort_warp_sort_small_config_static_selectorELNS0_4arch9wavefront6targetE0EEEvSH_,comdat
.Lfunc_end718:
	.size	_ZN7rocprim17ROCPRIM_400000_NS6detail17trampoline_kernelINS0_14default_configENS1_36segmented_radix_sort_config_selectorIllEEZNS1_25segmented_radix_sort_implIS3_Lb1EPKlPlS8_S9_N2at6native12_GLOBAL__N_18offset_tEEE10hipError_tPvRmT1_PNSt15iterator_traitsISH_E10value_typeET2_T3_PNSI_ISN_E10value_typeET4_jRbjT5_ST_jjP12ihipStream_tbEUlT_E1_NS1_11comp_targetILNS1_3genE0ELNS1_11target_archE4294967295ELNS1_3gpuE0ELNS1_3repE0EEENS1_59segmented_radix_sort_warp_sort_small_config_static_selectorELNS0_4arch9wavefront6targetE0EEEvSH_, .Lfunc_end718-_ZN7rocprim17ROCPRIM_400000_NS6detail17trampoline_kernelINS0_14default_configENS1_36segmented_radix_sort_config_selectorIllEEZNS1_25segmented_radix_sort_implIS3_Lb1EPKlPlS8_S9_N2at6native12_GLOBAL__N_18offset_tEEE10hipError_tPvRmT1_PNSt15iterator_traitsISH_E10value_typeET2_T3_PNSI_ISN_E10value_typeET4_jRbjT5_ST_jjP12ihipStream_tbEUlT_E1_NS1_11comp_targetILNS1_3genE0ELNS1_11target_archE4294967295ELNS1_3gpuE0ELNS1_3repE0EEENS1_59segmented_radix_sort_warp_sort_small_config_static_selectorELNS0_4arch9wavefront6targetE0EEEvSH_
                                        ; -- End function
	.set _ZN7rocprim17ROCPRIM_400000_NS6detail17trampoline_kernelINS0_14default_configENS1_36segmented_radix_sort_config_selectorIllEEZNS1_25segmented_radix_sort_implIS3_Lb1EPKlPlS8_S9_N2at6native12_GLOBAL__N_18offset_tEEE10hipError_tPvRmT1_PNSt15iterator_traitsISH_E10value_typeET2_T3_PNSI_ISN_E10value_typeET4_jRbjT5_ST_jjP12ihipStream_tbEUlT_E1_NS1_11comp_targetILNS1_3genE0ELNS1_11target_archE4294967295ELNS1_3gpuE0ELNS1_3repE0EEENS1_59segmented_radix_sort_warp_sort_small_config_static_selectorELNS0_4arch9wavefront6targetE0EEEvSH_.num_vgpr, 0
	.set _ZN7rocprim17ROCPRIM_400000_NS6detail17trampoline_kernelINS0_14default_configENS1_36segmented_radix_sort_config_selectorIllEEZNS1_25segmented_radix_sort_implIS3_Lb1EPKlPlS8_S9_N2at6native12_GLOBAL__N_18offset_tEEE10hipError_tPvRmT1_PNSt15iterator_traitsISH_E10value_typeET2_T3_PNSI_ISN_E10value_typeET4_jRbjT5_ST_jjP12ihipStream_tbEUlT_E1_NS1_11comp_targetILNS1_3genE0ELNS1_11target_archE4294967295ELNS1_3gpuE0ELNS1_3repE0EEENS1_59segmented_radix_sort_warp_sort_small_config_static_selectorELNS0_4arch9wavefront6targetE0EEEvSH_.num_agpr, 0
	.set _ZN7rocprim17ROCPRIM_400000_NS6detail17trampoline_kernelINS0_14default_configENS1_36segmented_radix_sort_config_selectorIllEEZNS1_25segmented_radix_sort_implIS3_Lb1EPKlPlS8_S9_N2at6native12_GLOBAL__N_18offset_tEEE10hipError_tPvRmT1_PNSt15iterator_traitsISH_E10value_typeET2_T3_PNSI_ISN_E10value_typeET4_jRbjT5_ST_jjP12ihipStream_tbEUlT_E1_NS1_11comp_targetILNS1_3genE0ELNS1_11target_archE4294967295ELNS1_3gpuE0ELNS1_3repE0EEENS1_59segmented_radix_sort_warp_sort_small_config_static_selectorELNS0_4arch9wavefront6targetE0EEEvSH_.numbered_sgpr, 0
	.set _ZN7rocprim17ROCPRIM_400000_NS6detail17trampoline_kernelINS0_14default_configENS1_36segmented_radix_sort_config_selectorIllEEZNS1_25segmented_radix_sort_implIS3_Lb1EPKlPlS8_S9_N2at6native12_GLOBAL__N_18offset_tEEE10hipError_tPvRmT1_PNSt15iterator_traitsISH_E10value_typeET2_T3_PNSI_ISN_E10value_typeET4_jRbjT5_ST_jjP12ihipStream_tbEUlT_E1_NS1_11comp_targetILNS1_3genE0ELNS1_11target_archE4294967295ELNS1_3gpuE0ELNS1_3repE0EEENS1_59segmented_radix_sort_warp_sort_small_config_static_selectorELNS0_4arch9wavefront6targetE0EEEvSH_.num_named_barrier, 0
	.set _ZN7rocprim17ROCPRIM_400000_NS6detail17trampoline_kernelINS0_14default_configENS1_36segmented_radix_sort_config_selectorIllEEZNS1_25segmented_radix_sort_implIS3_Lb1EPKlPlS8_S9_N2at6native12_GLOBAL__N_18offset_tEEE10hipError_tPvRmT1_PNSt15iterator_traitsISH_E10value_typeET2_T3_PNSI_ISN_E10value_typeET4_jRbjT5_ST_jjP12ihipStream_tbEUlT_E1_NS1_11comp_targetILNS1_3genE0ELNS1_11target_archE4294967295ELNS1_3gpuE0ELNS1_3repE0EEENS1_59segmented_radix_sort_warp_sort_small_config_static_selectorELNS0_4arch9wavefront6targetE0EEEvSH_.private_seg_size, 0
	.set _ZN7rocprim17ROCPRIM_400000_NS6detail17trampoline_kernelINS0_14default_configENS1_36segmented_radix_sort_config_selectorIllEEZNS1_25segmented_radix_sort_implIS3_Lb1EPKlPlS8_S9_N2at6native12_GLOBAL__N_18offset_tEEE10hipError_tPvRmT1_PNSt15iterator_traitsISH_E10value_typeET2_T3_PNSI_ISN_E10value_typeET4_jRbjT5_ST_jjP12ihipStream_tbEUlT_E1_NS1_11comp_targetILNS1_3genE0ELNS1_11target_archE4294967295ELNS1_3gpuE0ELNS1_3repE0EEENS1_59segmented_radix_sort_warp_sort_small_config_static_selectorELNS0_4arch9wavefront6targetE0EEEvSH_.uses_vcc, 0
	.set _ZN7rocprim17ROCPRIM_400000_NS6detail17trampoline_kernelINS0_14default_configENS1_36segmented_radix_sort_config_selectorIllEEZNS1_25segmented_radix_sort_implIS3_Lb1EPKlPlS8_S9_N2at6native12_GLOBAL__N_18offset_tEEE10hipError_tPvRmT1_PNSt15iterator_traitsISH_E10value_typeET2_T3_PNSI_ISN_E10value_typeET4_jRbjT5_ST_jjP12ihipStream_tbEUlT_E1_NS1_11comp_targetILNS1_3genE0ELNS1_11target_archE4294967295ELNS1_3gpuE0ELNS1_3repE0EEENS1_59segmented_radix_sort_warp_sort_small_config_static_selectorELNS0_4arch9wavefront6targetE0EEEvSH_.uses_flat_scratch, 0
	.set _ZN7rocprim17ROCPRIM_400000_NS6detail17trampoline_kernelINS0_14default_configENS1_36segmented_radix_sort_config_selectorIllEEZNS1_25segmented_radix_sort_implIS3_Lb1EPKlPlS8_S9_N2at6native12_GLOBAL__N_18offset_tEEE10hipError_tPvRmT1_PNSt15iterator_traitsISH_E10value_typeET2_T3_PNSI_ISN_E10value_typeET4_jRbjT5_ST_jjP12ihipStream_tbEUlT_E1_NS1_11comp_targetILNS1_3genE0ELNS1_11target_archE4294967295ELNS1_3gpuE0ELNS1_3repE0EEENS1_59segmented_radix_sort_warp_sort_small_config_static_selectorELNS0_4arch9wavefront6targetE0EEEvSH_.has_dyn_sized_stack, 0
	.set _ZN7rocprim17ROCPRIM_400000_NS6detail17trampoline_kernelINS0_14default_configENS1_36segmented_radix_sort_config_selectorIllEEZNS1_25segmented_radix_sort_implIS3_Lb1EPKlPlS8_S9_N2at6native12_GLOBAL__N_18offset_tEEE10hipError_tPvRmT1_PNSt15iterator_traitsISH_E10value_typeET2_T3_PNSI_ISN_E10value_typeET4_jRbjT5_ST_jjP12ihipStream_tbEUlT_E1_NS1_11comp_targetILNS1_3genE0ELNS1_11target_archE4294967295ELNS1_3gpuE0ELNS1_3repE0EEENS1_59segmented_radix_sort_warp_sort_small_config_static_selectorELNS0_4arch9wavefront6targetE0EEEvSH_.has_recursion, 0
	.set _ZN7rocprim17ROCPRIM_400000_NS6detail17trampoline_kernelINS0_14default_configENS1_36segmented_radix_sort_config_selectorIllEEZNS1_25segmented_radix_sort_implIS3_Lb1EPKlPlS8_S9_N2at6native12_GLOBAL__N_18offset_tEEE10hipError_tPvRmT1_PNSt15iterator_traitsISH_E10value_typeET2_T3_PNSI_ISN_E10value_typeET4_jRbjT5_ST_jjP12ihipStream_tbEUlT_E1_NS1_11comp_targetILNS1_3genE0ELNS1_11target_archE4294967295ELNS1_3gpuE0ELNS1_3repE0EEENS1_59segmented_radix_sort_warp_sort_small_config_static_selectorELNS0_4arch9wavefront6targetE0EEEvSH_.has_indirect_call, 0
	.section	.AMDGPU.csdata,"",@progbits
; Kernel info:
; codeLenInByte = 0
; TotalNumSgprs: 0
; NumVgprs: 0
; ScratchSize: 0
; MemoryBound: 0
; FloatMode: 240
; IeeeMode: 1
; LDSByteSize: 0 bytes/workgroup (compile time only)
; SGPRBlocks: 0
; VGPRBlocks: 0
; NumSGPRsForWavesPerEU: 1
; NumVGPRsForWavesPerEU: 1
; Occupancy: 16
; WaveLimiterHint : 0
; COMPUTE_PGM_RSRC2:SCRATCH_EN: 0
; COMPUTE_PGM_RSRC2:USER_SGPR: 6
; COMPUTE_PGM_RSRC2:TRAP_HANDLER: 0
; COMPUTE_PGM_RSRC2:TGID_X_EN: 1
; COMPUTE_PGM_RSRC2:TGID_Y_EN: 0
; COMPUTE_PGM_RSRC2:TGID_Z_EN: 0
; COMPUTE_PGM_RSRC2:TIDIG_COMP_CNT: 0
	.section	.text._ZN7rocprim17ROCPRIM_400000_NS6detail17trampoline_kernelINS0_14default_configENS1_36segmented_radix_sort_config_selectorIllEEZNS1_25segmented_radix_sort_implIS3_Lb1EPKlPlS8_S9_N2at6native12_GLOBAL__N_18offset_tEEE10hipError_tPvRmT1_PNSt15iterator_traitsISH_E10value_typeET2_T3_PNSI_ISN_E10value_typeET4_jRbjT5_ST_jjP12ihipStream_tbEUlT_E1_NS1_11comp_targetILNS1_3genE5ELNS1_11target_archE942ELNS1_3gpuE9ELNS1_3repE0EEENS1_59segmented_radix_sort_warp_sort_small_config_static_selectorELNS0_4arch9wavefront6targetE0EEEvSH_,"axG",@progbits,_ZN7rocprim17ROCPRIM_400000_NS6detail17trampoline_kernelINS0_14default_configENS1_36segmented_radix_sort_config_selectorIllEEZNS1_25segmented_radix_sort_implIS3_Lb1EPKlPlS8_S9_N2at6native12_GLOBAL__N_18offset_tEEE10hipError_tPvRmT1_PNSt15iterator_traitsISH_E10value_typeET2_T3_PNSI_ISN_E10value_typeET4_jRbjT5_ST_jjP12ihipStream_tbEUlT_E1_NS1_11comp_targetILNS1_3genE5ELNS1_11target_archE942ELNS1_3gpuE9ELNS1_3repE0EEENS1_59segmented_radix_sort_warp_sort_small_config_static_selectorELNS0_4arch9wavefront6targetE0EEEvSH_,comdat
	.globl	_ZN7rocprim17ROCPRIM_400000_NS6detail17trampoline_kernelINS0_14default_configENS1_36segmented_radix_sort_config_selectorIllEEZNS1_25segmented_radix_sort_implIS3_Lb1EPKlPlS8_S9_N2at6native12_GLOBAL__N_18offset_tEEE10hipError_tPvRmT1_PNSt15iterator_traitsISH_E10value_typeET2_T3_PNSI_ISN_E10value_typeET4_jRbjT5_ST_jjP12ihipStream_tbEUlT_E1_NS1_11comp_targetILNS1_3genE5ELNS1_11target_archE942ELNS1_3gpuE9ELNS1_3repE0EEENS1_59segmented_radix_sort_warp_sort_small_config_static_selectorELNS0_4arch9wavefront6targetE0EEEvSH_ ; -- Begin function _ZN7rocprim17ROCPRIM_400000_NS6detail17trampoline_kernelINS0_14default_configENS1_36segmented_radix_sort_config_selectorIllEEZNS1_25segmented_radix_sort_implIS3_Lb1EPKlPlS8_S9_N2at6native12_GLOBAL__N_18offset_tEEE10hipError_tPvRmT1_PNSt15iterator_traitsISH_E10value_typeET2_T3_PNSI_ISN_E10value_typeET4_jRbjT5_ST_jjP12ihipStream_tbEUlT_E1_NS1_11comp_targetILNS1_3genE5ELNS1_11target_archE942ELNS1_3gpuE9ELNS1_3repE0EEENS1_59segmented_radix_sort_warp_sort_small_config_static_selectorELNS0_4arch9wavefront6targetE0EEEvSH_
	.p2align	8
	.type	_ZN7rocprim17ROCPRIM_400000_NS6detail17trampoline_kernelINS0_14default_configENS1_36segmented_radix_sort_config_selectorIllEEZNS1_25segmented_radix_sort_implIS3_Lb1EPKlPlS8_S9_N2at6native12_GLOBAL__N_18offset_tEEE10hipError_tPvRmT1_PNSt15iterator_traitsISH_E10value_typeET2_T3_PNSI_ISN_E10value_typeET4_jRbjT5_ST_jjP12ihipStream_tbEUlT_E1_NS1_11comp_targetILNS1_3genE5ELNS1_11target_archE942ELNS1_3gpuE9ELNS1_3repE0EEENS1_59segmented_radix_sort_warp_sort_small_config_static_selectorELNS0_4arch9wavefront6targetE0EEEvSH_,@function
_ZN7rocprim17ROCPRIM_400000_NS6detail17trampoline_kernelINS0_14default_configENS1_36segmented_radix_sort_config_selectorIllEEZNS1_25segmented_radix_sort_implIS3_Lb1EPKlPlS8_S9_N2at6native12_GLOBAL__N_18offset_tEEE10hipError_tPvRmT1_PNSt15iterator_traitsISH_E10value_typeET2_T3_PNSI_ISN_E10value_typeET4_jRbjT5_ST_jjP12ihipStream_tbEUlT_E1_NS1_11comp_targetILNS1_3genE5ELNS1_11target_archE942ELNS1_3gpuE9ELNS1_3repE0EEENS1_59segmented_radix_sort_warp_sort_small_config_static_selectorELNS0_4arch9wavefront6targetE0EEEvSH_: ; @_ZN7rocprim17ROCPRIM_400000_NS6detail17trampoline_kernelINS0_14default_configENS1_36segmented_radix_sort_config_selectorIllEEZNS1_25segmented_radix_sort_implIS3_Lb1EPKlPlS8_S9_N2at6native12_GLOBAL__N_18offset_tEEE10hipError_tPvRmT1_PNSt15iterator_traitsISH_E10value_typeET2_T3_PNSI_ISN_E10value_typeET4_jRbjT5_ST_jjP12ihipStream_tbEUlT_E1_NS1_11comp_targetILNS1_3genE5ELNS1_11target_archE942ELNS1_3gpuE9ELNS1_3repE0EEENS1_59segmented_radix_sort_warp_sort_small_config_static_selectorELNS0_4arch9wavefront6targetE0EEEvSH_
; %bb.0:
	.section	.rodata,"a",@progbits
	.p2align	6, 0x0
	.amdhsa_kernel _ZN7rocprim17ROCPRIM_400000_NS6detail17trampoline_kernelINS0_14default_configENS1_36segmented_radix_sort_config_selectorIllEEZNS1_25segmented_radix_sort_implIS3_Lb1EPKlPlS8_S9_N2at6native12_GLOBAL__N_18offset_tEEE10hipError_tPvRmT1_PNSt15iterator_traitsISH_E10value_typeET2_T3_PNSI_ISN_E10value_typeET4_jRbjT5_ST_jjP12ihipStream_tbEUlT_E1_NS1_11comp_targetILNS1_3genE5ELNS1_11target_archE942ELNS1_3gpuE9ELNS1_3repE0EEENS1_59segmented_radix_sort_warp_sort_small_config_static_selectorELNS0_4arch9wavefront6targetE0EEEvSH_
		.amdhsa_group_segment_fixed_size 0
		.amdhsa_private_segment_fixed_size 0
		.amdhsa_kernarg_size 88
		.amdhsa_user_sgpr_count 6
		.amdhsa_user_sgpr_private_segment_buffer 1
		.amdhsa_user_sgpr_dispatch_ptr 0
		.amdhsa_user_sgpr_queue_ptr 0
		.amdhsa_user_sgpr_kernarg_segment_ptr 1
		.amdhsa_user_sgpr_dispatch_id 0
		.amdhsa_user_sgpr_flat_scratch_init 0
		.amdhsa_user_sgpr_private_segment_size 0
		.amdhsa_wavefront_size32 1
		.amdhsa_uses_dynamic_stack 0
		.amdhsa_system_sgpr_private_segment_wavefront_offset 0
		.amdhsa_system_sgpr_workgroup_id_x 1
		.amdhsa_system_sgpr_workgroup_id_y 0
		.amdhsa_system_sgpr_workgroup_id_z 0
		.amdhsa_system_sgpr_workgroup_info 0
		.amdhsa_system_vgpr_workitem_id 0
		.amdhsa_next_free_vgpr 1
		.amdhsa_next_free_sgpr 1
		.amdhsa_reserve_vcc 0
		.amdhsa_reserve_flat_scratch 0
		.amdhsa_float_round_mode_32 0
		.amdhsa_float_round_mode_16_64 0
		.amdhsa_float_denorm_mode_32 3
		.amdhsa_float_denorm_mode_16_64 3
		.amdhsa_dx10_clamp 1
		.amdhsa_ieee_mode 1
		.amdhsa_fp16_overflow 0
		.amdhsa_workgroup_processor_mode 1
		.amdhsa_memory_ordered 1
		.amdhsa_forward_progress 1
		.amdhsa_shared_vgpr_count 0
		.amdhsa_exception_fp_ieee_invalid_op 0
		.amdhsa_exception_fp_denorm_src 0
		.amdhsa_exception_fp_ieee_div_zero 0
		.amdhsa_exception_fp_ieee_overflow 0
		.amdhsa_exception_fp_ieee_underflow 0
		.amdhsa_exception_fp_ieee_inexact 0
		.amdhsa_exception_int_div_zero 0
	.end_amdhsa_kernel
	.section	.text._ZN7rocprim17ROCPRIM_400000_NS6detail17trampoline_kernelINS0_14default_configENS1_36segmented_radix_sort_config_selectorIllEEZNS1_25segmented_radix_sort_implIS3_Lb1EPKlPlS8_S9_N2at6native12_GLOBAL__N_18offset_tEEE10hipError_tPvRmT1_PNSt15iterator_traitsISH_E10value_typeET2_T3_PNSI_ISN_E10value_typeET4_jRbjT5_ST_jjP12ihipStream_tbEUlT_E1_NS1_11comp_targetILNS1_3genE5ELNS1_11target_archE942ELNS1_3gpuE9ELNS1_3repE0EEENS1_59segmented_radix_sort_warp_sort_small_config_static_selectorELNS0_4arch9wavefront6targetE0EEEvSH_,"axG",@progbits,_ZN7rocprim17ROCPRIM_400000_NS6detail17trampoline_kernelINS0_14default_configENS1_36segmented_radix_sort_config_selectorIllEEZNS1_25segmented_radix_sort_implIS3_Lb1EPKlPlS8_S9_N2at6native12_GLOBAL__N_18offset_tEEE10hipError_tPvRmT1_PNSt15iterator_traitsISH_E10value_typeET2_T3_PNSI_ISN_E10value_typeET4_jRbjT5_ST_jjP12ihipStream_tbEUlT_E1_NS1_11comp_targetILNS1_3genE5ELNS1_11target_archE942ELNS1_3gpuE9ELNS1_3repE0EEENS1_59segmented_radix_sort_warp_sort_small_config_static_selectorELNS0_4arch9wavefront6targetE0EEEvSH_,comdat
.Lfunc_end719:
	.size	_ZN7rocprim17ROCPRIM_400000_NS6detail17trampoline_kernelINS0_14default_configENS1_36segmented_radix_sort_config_selectorIllEEZNS1_25segmented_radix_sort_implIS3_Lb1EPKlPlS8_S9_N2at6native12_GLOBAL__N_18offset_tEEE10hipError_tPvRmT1_PNSt15iterator_traitsISH_E10value_typeET2_T3_PNSI_ISN_E10value_typeET4_jRbjT5_ST_jjP12ihipStream_tbEUlT_E1_NS1_11comp_targetILNS1_3genE5ELNS1_11target_archE942ELNS1_3gpuE9ELNS1_3repE0EEENS1_59segmented_radix_sort_warp_sort_small_config_static_selectorELNS0_4arch9wavefront6targetE0EEEvSH_, .Lfunc_end719-_ZN7rocprim17ROCPRIM_400000_NS6detail17trampoline_kernelINS0_14default_configENS1_36segmented_radix_sort_config_selectorIllEEZNS1_25segmented_radix_sort_implIS3_Lb1EPKlPlS8_S9_N2at6native12_GLOBAL__N_18offset_tEEE10hipError_tPvRmT1_PNSt15iterator_traitsISH_E10value_typeET2_T3_PNSI_ISN_E10value_typeET4_jRbjT5_ST_jjP12ihipStream_tbEUlT_E1_NS1_11comp_targetILNS1_3genE5ELNS1_11target_archE942ELNS1_3gpuE9ELNS1_3repE0EEENS1_59segmented_radix_sort_warp_sort_small_config_static_selectorELNS0_4arch9wavefront6targetE0EEEvSH_
                                        ; -- End function
	.set _ZN7rocprim17ROCPRIM_400000_NS6detail17trampoline_kernelINS0_14default_configENS1_36segmented_radix_sort_config_selectorIllEEZNS1_25segmented_radix_sort_implIS3_Lb1EPKlPlS8_S9_N2at6native12_GLOBAL__N_18offset_tEEE10hipError_tPvRmT1_PNSt15iterator_traitsISH_E10value_typeET2_T3_PNSI_ISN_E10value_typeET4_jRbjT5_ST_jjP12ihipStream_tbEUlT_E1_NS1_11comp_targetILNS1_3genE5ELNS1_11target_archE942ELNS1_3gpuE9ELNS1_3repE0EEENS1_59segmented_radix_sort_warp_sort_small_config_static_selectorELNS0_4arch9wavefront6targetE0EEEvSH_.num_vgpr, 0
	.set _ZN7rocprim17ROCPRIM_400000_NS6detail17trampoline_kernelINS0_14default_configENS1_36segmented_radix_sort_config_selectorIllEEZNS1_25segmented_radix_sort_implIS3_Lb1EPKlPlS8_S9_N2at6native12_GLOBAL__N_18offset_tEEE10hipError_tPvRmT1_PNSt15iterator_traitsISH_E10value_typeET2_T3_PNSI_ISN_E10value_typeET4_jRbjT5_ST_jjP12ihipStream_tbEUlT_E1_NS1_11comp_targetILNS1_3genE5ELNS1_11target_archE942ELNS1_3gpuE9ELNS1_3repE0EEENS1_59segmented_radix_sort_warp_sort_small_config_static_selectorELNS0_4arch9wavefront6targetE0EEEvSH_.num_agpr, 0
	.set _ZN7rocprim17ROCPRIM_400000_NS6detail17trampoline_kernelINS0_14default_configENS1_36segmented_radix_sort_config_selectorIllEEZNS1_25segmented_radix_sort_implIS3_Lb1EPKlPlS8_S9_N2at6native12_GLOBAL__N_18offset_tEEE10hipError_tPvRmT1_PNSt15iterator_traitsISH_E10value_typeET2_T3_PNSI_ISN_E10value_typeET4_jRbjT5_ST_jjP12ihipStream_tbEUlT_E1_NS1_11comp_targetILNS1_3genE5ELNS1_11target_archE942ELNS1_3gpuE9ELNS1_3repE0EEENS1_59segmented_radix_sort_warp_sort_small_config_static_selectorELNS0_4arch9wavefront6targetE0EEEvSH_.numbered_sgpr, 0
	.set _ZN7rocprim17ROCPRIM_400000_NS6detail17trampoline_kernelINS0_14default_configENS1_36segmented_radix_sort_config_selectorIllEEZNS1_25segmented_radix_sort_implIS3_Lb1EPKlPlS8_S9_N2at6native12_GLOBAL__N_18offset_tEEE10hipError_tPvRmT1_PNSt15iterator_traitsISH_E10value_typeET2_T3_PNSI_ISN_E10value_typeET4_jRbjT5_ST_jjP12ihipStream_tbEUlT_E1_NS1_11comp_targetILNS1_3genE5ELNS1_11target_archE942ELNS1_3gpuE9ELNS1_3repE0EEENS1_59segmented_radix_sort_warp_sort_small_config_static_selectorELNS0_4arch9wavefront6targetE0EEEvSH_.num_named_barrier, 0
	.set _ZN7rocprim17ROCPRIM_400000_NS6detail17trampoline_kernelINS0_14default_configENS1_36segmented_radix_sort_config_selectorIllEEZNS1_25segmented_radix_sort_implIS3_Lb1EPKlPlS8_S9_N2at6native12_GLOBAL__N_18offset_tEEE10hipError_tPvRmT1_PNSt15iterator_traitsISH_E10value_typeET2_T3_PNSI_ISN_E10value_typeET4_jRbjT5_ST_jjP12ihipStream_tbEUlT_E1_NS1_11comp_targetILNS1_3genE5ELNS1_11target_archE942ELNS1_3gpuE9ELNS1_3repE0EEENS1_59segmented_radix_sort_warp_sort_small_config_static_selectorELNS0_4arch9wavefront6targetE0EEEvSH_.private_seg_size, 0
	.set _ZN7rocprim17ROCPRIM_400000_NS6detail17trampoline_kernelINS0_14default_configENS1_36segmented_radix_sort_config_selectorIllEEZNS1_25segmented_radix_sort_implIS3_Lb1EPKlPlS8_S9_N2at6native12_GLOBAL__N_18offset_tEEE10hipError_tPvRmT1_PNSt15iterator_traitsISH_E10value_typeET2_T3_PNSI_ISN_E10value_typeET4_jRbjT5_ST_jjP12ihipStream_tbEUlT_E1_NS1_11comp_targetILNS1_3genE5ELNS1_11target_archE942ELNS1_3gpuE9ELNS1_3repE0EEENS1_59segmented_radix_sort_warp_sort_small_config_static_selectorELNS0_4arch9wavefront6targetE0EEEvSH_.uses_vcc, 0
	.set _ZN7rocprim17ROCPRIM_400000_NS6detail17trampoline_kernelINS0_14default_configENS1_36segmented_radix_sort_config_selectorIllEEZNS1_25segmented_radix_sort_implIS3_Lb1EPKlPlS8_S9_N2at6native12_GLOBAL__N_18offset_tEEE10hipError_tPvRmT1_PNSt15iterator_traitsISH_E10value_typeET2_T3_PNSI_ISN_E10value_typeET4_jRbjT5_ST_jjP12ihipStream_tbEUlT_E1_NS1_11comp_targetILNS1_3genE5ELNS1_11target_archE942ELNS1_3gpuE9ELNS1_3repE0EEENS1_59segmented_radix_sort_warp_sort_small_config_static_selectorELNS0_4arch9wavefront6targetE0EEEvSH_.uses_flat_scratch, 0
	.set _ZN7rocprim17ROCPRIM_400000_NS6detail17trampoline_kernelINS0_14default_configENS1_36segmented_radix_sort_config_selectorIllEEZNS1_25segmented_radix_sort_implIS3_Lb1EPKlPlS8_S9_N2at6native12_GLOBAL__N_18offset_tEEE10hipError_tPvRmT1_PNSt15iterator_traitsISH_E10value_typeET2_T3_PNSI_ISN_E10value_typeET4_jRbjT5_ST_jjP12ihipStream_tbEUlT_E1_NS1_11comp_targetILNS1_3genE5ELNS1_11target_archE942ELNS1_3gpuE9ELNS1_3repE0EEENS1_59segmented_radix_sort_warp_sort_small_config_static_selectorELNS0_4arch9wavefront6targetE0EEEvSH_.has_dyn_sized_stack, 0
	.set _ZN7rocprim17ROCPRIM_400000_NS6detail17trampoline_kernelINS0_14default_configENS1_36segmented_radix_sort_config_selectorIllEEZNS1_25segmented_radix_sort_implIS3_Lb1EPKlPlS8_S9_N2at6native12_GLOBAL__N_18offset_tEEE10hipError_tPvRmT1_PNSt15iterator_traitsISH_E10value_typeET2_T3_PNSI_ISN_E10value_typeET4_jRbjT5_ST_jjP12ihipStream_tbEUlT_E1_NS1_11comp_targetILNS1_3genE5ELNS1_11target_archE942ELNS1_3gpuE9ELNS1_3repE0EEENS1_59segmented_radix_sort_warp_sort_small_config_static_selectorELNS0_4arch9wavefront6targetE0EEEvSH_.has_recursion, 0
	.set _ZN7rocprim17ROCPRIM_400000_NS6detail17trampoline_kernelINS0_14default_configENS1_36segmented_radix_sort_config_selectorIllEEZNS1_25segmented_radix_sort_implIS3_Lb1EPKlPlS8_S9_N2at6native12_GLOBAL__N_18offset_tEEE10hipError_tPvRmT1_PNSt15iterator_traitsISH_E10value_typeET2_T3_PNSI_ISN_E10value_typeET4_jRbjT5_ST_jjP12ihipStream_tbEUlT_E1_NS1_11comp_targetILNS1_3genE5ELNS1_11target_archE942ELNS1_3gpuE9ELNS1_3repE0EEENS1_59segmented_radix_sort_warp_sort_small_config_static_selectorELNS0_4arch9wavefront6targetE0EEEvSH_.has_indirect_call, 0
	.section	.AMDGPU.csdata,"",@progbits
; Kernel info:
; codeLenInByte = 0
; TotalNumSgprs: 0
; NumVgprs: 0
; ScratchSize: 0
; MemoryBound: 0
; FloatMode: 240
; IeeeMode: 1
; LDSByteSize: 0 bytes/workgroup (compile time only)
; SGPRBlocks: 0
; VGPRBlocks: 0
; NumSGPRsForWavesPerEU: 1
; NumVGPRsForWavesPerEU: 1
; Occupancy: 16
; WaveLimiterHint : 0
; COMPUTE_PGM_RSRC2:SCRATCH_EN: 0
; COMPUTE_PGM_RSRC2:USER_SGPR: 6
; COMPUTE_PGM_RSRC2:TRAP_HANDLER: 0
; COMPUTE_PGM_RSRC2:TGID_X_EN: 1
; COMPUTE_PGM_RSRC2:TGID_Y_EN: 0
; COMPUTE_PGM_RSRC2:TGID_Z_EN: 0
; COMPUTE_PGM_RSRC2:TIDIG_COMP_CNT: 0
	.section	.text._ZN7rocprim17ROCPRIM_400000_NS6detail17trampoline_kernelINS0_14default_configENS1_36segmented_radix_sort_config_selectorIllEEZNS1_25segmented_radix_sort_implIS3_Lb1EPKlPlS8_S9_N2at6native12_GLOBAL__N_18offset_tEEE10hipError_tPvRmT1_PNSt15iterator_traitsISH_E10value_typeET2_T3_PNSI_ISN_E10value_typeET4_jRbjT5_ST_jjP12ihipStream_tbEUlT_E1_NS1_11comp_targetILNS1_3genE4ELNS1_11target_archE910ELNS1_3gpuE8ELNS1_3repE0EEENS1_59segmented_radix_sort_warp_sort_small_config_static_selectorELNS0_4arch9wavefront6targetE0EEEvSH_,"axG",@progbits,_ZN7rocprim17ROCPRIM_400000_NS6detail17trampoline_kernelINS0_14default_configENS1_36segmented_radix_sort_config_selectorIllEEZNS1_25segmented_radix_sort_implIS3_Lb1EPKlPlS8_S9_N2at6native12_GLOBAL__N_18offset_tEEE10hipError_tPvRmT1_PNSt15iterator_traitsISH_E10value_typeET2_T3_PNSI_ISN_E10value_typeET4_jRbjT5_ST_jjP12ihipStream_tbEUlT_E1_NS1_11comp_targetILNS1_3genE4ELNS1_11target_archE910ELNS1_3gpuE8ELNS1_3repE0EEENS1_59segmented_radix_sort_warp_sort_small_config_static_selectorELNS0_4arch9wavefront6targetE0EEEvSH_,comdat
	.globl	_ZN7rocprim17ROCPRIM_400000_NS6detail17trampoline_kernelINS0_14default_configENS1_36segmented_radix_sort_config_selectorIllEEZNS1_25segmented_radix_sort_implIS3_Lb1EPKlPlS8_S9_N2at6native12_GLOBAL__N_18offset_tEEE10hipError_tPvRmT1_PNSt15iterator_traitsISH_E10value_typeET2_T3_PNSI_ISN_E10value_typeET4_jRbjT5_ST_jjP12ihipStream_tbEUlT_E1_NS1_11comp_targetILNS1_3genE4ELNS1_11target_archE910ELNS1_3gpuE8ELNS1_3repE0EEENS1_59segmented_radix_sort_warp_sort_small_config_static_selectorELNS0_4arch9wavefront6targetE0EEEvSH_ ; -- Begin function _ZN7rocprim17ROCPRIM_400000_NS6detail17trampoline_kernelINS0_14default_configENS1_36segmented_radix_sort_config_selectorIllEEZNS1_25segmented_radix_sort_implIS3_Lb1EPKlPlS8_S9_N2at6native12_GLOBAL__N_18offset_tEEE10hipError_tPvRmT1_PNSt15iterator_traitsISH_E10value_typeET2_T3_PNSI_ISN_E10value_typeET4_jRbjT5_ST_jjP12ihipStream_tbEUlT_E1_NS1_11comp_targetILNS1_3genE4ELNS1_11target_archE910ELNS1_3gpuE8ELNS1_3repE0EEENS1_59segmented_radix_sort_warp_sort_small_config_static_selectorELNS0_4arch9wavefront6targetE0EEEvSH_
	.p2align	8
	.type	_ZN7rocprim17ROCPRIM_400000_NS6detail17trampoline_kernelINS0_14default_configENS1_36segmented_radix_sort_config_selectorIllEEZNS1_25segmented_radix_sort_implIS3_Lb1EPKlPlS8_S9_N2at6native12_GLOBAL__N_18offset_tEEE10hipError_tPvRmT1_PNSt15iterator_traitsISH_E10value_typeET2_T3_PNSI_ISN_E10value_typeET4_jRbjT5_ST_jjP12ihipStream_tbEUlT_E1_NS1_11comp_targetILNS1_3genE4ELNS1_11target_archE910ELNS1_3gpuE8ELNS1_3repE0EEENS1_59segmented_radix_sort_warp_sort_small_config_static_selectorELNS0_4arch9wavefront6targetE0EEEvSH_,@function
_ZN7rocprim17ROCPRIM_400000_NS6detail17trampoline_kernelINS0_14default_configENS1_36segmented_radix_sort_config_selectorIllEEZNS1_25segmented_radix_sort_implIS3_Lb1EPKlPlS8_S9_N2at6native12_GLOBAL__N_18offset_tEEE10hipError_tPvRmT1_PNSt15iterator_traitsISH_E10value_typeET2_T3_PNSI_ISN_E10value_typeET4_jRbjT5_ST_jjP12ihipStream_tbEUlT_E1_NS1_11comp_targetILNS1_3genE4ELNS1_11target_archE910ELNS1_3gpuE8ELNS1_3repE0EEENS1_59segmented_radix_sort_warp_sort_small_config_static_selectorELNS0_4arch9wavefront6targetE0EEEvSH_: ; @_ZN7rocprim17ROCPRIM_400000_NS6detail17trampoline_kernelINS0_14default_configENS1_36segmented_radix_sort_config_selectorIllEEZNS1_25segmented_radix_sort_implIS3_Lb1EPKlPlS8_S9_N2at6native12_GLOBAL__N_18offset_tEEE10hipError_tPvRmT1_PNSt15iterator_traitsISH_E10value_typeET2_T3_PNSI_ISN_E10value_typeET4_jRbjT5_ST_jjP12ihipStream_tbEUlT_E1_NS1_11comp_targetILNS1_3genE4ELNS1_11target_archE910ELNS1_3gpuE8ELNS1_3repE0EEENS1_59segmented_radix_sort_warp_sort_small_config_static_selectorELNS0_4arch9wavefront6targetE0EEEvSH_
; %bb.0:
	.section	.rodata,"a",@progbits
	.p2align	6, 0x0
	.amdhsa_kernel _ZN7rocprim17ROCPRIM_400000_NS6detail17trampoline_kernelINS0_14default_configENS1_36segmented_radix_sort_config_selectorIllEEZNS1_25segmented_radix_sort_implIS3_Lb1EPKlPlS8_S9_N2at6native12_GLOBAL__N_18offset_tEEE10hipError_tPvRmT1_PNSt15iterator_traitsISH_E10value_typeET2_T3_PNSI_ISN_E10value_typeET4_jRbjT5_ST_jjP12ihipStream_tbEUlT_E1_NS1_11comp_targetILNS1_3genE4ELNS1_11target_archE910ELNS1_3gpuE8ELNS1_3repE0EEENS1_59segmented_radix_sort_warp_sort_small_config_static_selectorELNS0_4arch9wavefront6targetE0EEEvSH_
		.amdhsa_group_segment_fixed_size 0
		.amdhsa_private_segment_fixed_size 0
		.amdhsa_kernarg_size 88
		.amdhsa_user_sgpr_count 6
		.amdhsa_user_sgpr_private_segment_buffer 1
		.amdhsa_user_sgpr_dispatch_ptr 0
		.amdhsa_user_sgpr_queue_ptr 0
		.amdhsa_user_sgpr_kernarg_segment_ptr 1
		.amdhsa_user_sgpr_dispatch_id 0
		.amdhsa_user_sgpr_flat_scratch_init 0
		.amdhsa_user_sgpr_private_segment_size 0
		.amdhsa_wavefront_size32 1
		.amdhsa_uses_dynamic_stack 0
		.amdhsa_system_sgpr_private_segment_wavefront_offset 0
		.amdhsa_system_sgpr_workgroup_id_x 1
		.amdhsa_system_sgpr_workgroup_id_y 0
		.amdhsa_system_sgpr_workgroup_id_z 0
		.amdhsa_system_sgpr_workgroup_info 0
		.amdhsa_system_vgpr_workitem_id 0
		.amdhsa_next_free_vgpr 1
		.amdhsa_next_free_sgpr 1
		.amdhsa_reserve_vcc 0
		.amdhsa_reserve_flat_scratch 0
		.amdhsa_float_round_mode_32 0
		.amdhsa_float_round_mode_16_64 0
		.amdhsa_float_denorm_mode_32 3
		.amdhsa_float_denorm_mode_16_64 3
		.amdhsa_dx10_clamp 1
		.amdhsa_ieee_mode 1
		.amdhsa_fp16_overflow 0
		.amdhsa_workgroup_processor_mode 1
		.amdhsa_memory_ordered 1
		.amdhsa_forward_progress 1
		.amdhsa_shared_vgpr_count 0
		.amdhsa_exception_fp_ieee_invalid_op 0
		.amdhsa_exception_fp_denorm_src 0
		.amdhsa_exception_fp_ieee_div_zero 0
		.amdhsa_exception_fp_ieee_overflow 0
		.amdhsa_exception_fp_ieee_underflow 0
		.amdhsa_exception_fp_ieee_inexact 0
		.amdhsa_exception_int_div_zero 0
	.end_amdhsa_kernel
	.section	.text._ZN7rocprim17ROCPRIM_400000_NS6detail17trampoline_kernelINS0_14default_configENS1_36segmented_radix_sort_config_selectorIllEEZNS1_25segmented_radix_sort_implIS3_Lb1EPKlPlS8_S9_N2at6native12_GLOBAL__N_18offset_tEEE10hipError_tPvRmT1_PNSt15iterator_traitsISH_E10value_typeET2_T3_PNSI_ISN_E10value_typeET4_jRbjT5_ST_jjP12ihipStream_tbEUlT_E1_NS1_11comp_targetILNS1_3genE4ELNS1_11target_archE910ELNS1_3gpuE8ELNS1_3repE0EEENS1_59segmented_radix_sort_warp_sort_small_config_static_selectorELNS0_4arch9wavefront6targetE0EEEvSH_,"axG",@progbits,_ZN7rocprim17ROCPRIM_400000_NS6detail17trampoline_kernelINS0_14default_configENS1_36segmented_radix_sort_config_selectorIllEEZNS1_25segmented_radix_sort_implIS3_Lb1EPKlPlS8_S9_N2at6native12_GLOBAL__N_18offset_tEEE10hipError_tPvRmT1_PNSt15iterator_traitsISH_E10value_typeET2_T3_PNSI_ISN_E10value_typeET4_jRbjT5_ST_jjP12ihipStream_tbEUlT_E1_NS1_11comp_targetILNS1_3genE4ELNS1_11target_archE910ELNS1_3gpuE8ELNS1_3repE0EEENS1_59segmented_radix_sort_warp_sort_small_config_static_selectorELNS0_4arch9wavefront6targetE0EEEvSH_,comdat
.Lfunc_end720:
	.size	_ZN7rocprim17ROCPRIM_400000_NS6detail17trampoline_kernelINS0_14default_configENS1_36segmented_radix_sort_config_selectorIllEEZNS1_25segmented_radix_sort_implIS3_Lb1EPKlPlS8_S9_N2at6native12_GLOBAL__N_18offset_tEEE10hipError_tPvRmT1_PNSt15iterator_traitsISH_E10value_typeET2_T3_PNSI_ISN_E10value_typeET4_jRbjT5_ST_jjP12ihipStream_tbEUlT_E1_NS1_11comp_targetILNS1_3genE4ELNS1_11target_archE910ELNS1_3gpuE8ELNS1_3repE0EEENS1_59segmented_radix_sort_warp_sort_small_config_static_selectorELNS0_4arch9wavefront6targetE0EEEvSH_, .Lfunc_end720-_ZN7rocprim17ROCPRIM_400000_NS6detail17trampoline_kernelINS0_14default_configENS1_36segmented_radix_sort_config_selectorIllEEZNS1_25segmented_radix_sort_implIS3_Lb1EPKlPlS8_S9_N2at6native12_GLOBAL__N_18offset_tEEE10hipError_tPvRmT1_PNSt15iterator_traitsISH_E10value_typeET2_T3_PNSI_ISN_E10value_typeET4_jRbjT5_ST_jjP12ihipStream_tbEUlT_E1_NS1_11comp_targetILNS1_3genE4ELNS1_11target_archE910ELNS1_3gpuE8ELNS1_3repE0EEENS1_59segmented_radix_sort_warp_sort_small_config_static_selectorELNS0_4arch9wavefront6targetE0EEEvSH_
                                        ; -- End function
	.set _ZN7rocprim17ROCPRIM_400000_NS6detail17trampoline_kernelINS0_14default_configENS1_36segmented_radix_sort_config_selectorIllEEZNS1_25segmented_radix_sort_implIS3_Lb1EPKlPlS8_S9_N2at6native12_GLOBAL__N_18offset_tEEE10hipError_tPvRmT1_PNSt15iterator_traitsISH_E10value_typeET2_T3_PNSI_ISN_E10value_typeET4_jRbjT5_ST_jjP12ihipStream_tbEUlT_E1_NS1_11comp_targetILNS1_3genE4ELNS1_11target_archE910ELNS1_3gpuE8ELNS1_3repE0EEENS1_59segmented_radix_sort_warp_sort_small_config_static_selectorELNS0_4arch9wavefront6targetE0EEEvSH_.num_vgpr, 0
	.set _ZN7rocprim17ROCPRIM_400000_NS6detail17trampoline_kernelINS0_14default_configENS1_36segmented_radix_sort_config_selectorIllEEZNS1_25segmented_radix_sort_implIS3_Lb1EPKlPlS8_S9_N2at6native12_GLOBAL__N_18offset_tEEE10hipError_tPvRmT1_PNSt15iterator_traitsISH_E10value_typeET2_T3_PNSI_ISN_E10value_typeET4_jRbjT5_ST_jjP12ihipStream_tbEUlT_E1_NS1_11comp_targetILNS1_3genE4ELNS1_11target_archE910ELNS1_3gpuE8ELNS1_3repE0EEENS1_59segmented_radix_sort_warp_sort_small_config_static_selectorELNS0_4arch9wavefront6targetE0EEEvSH_.num_agpr, 0
	.set _ZN7rocprim17ROCPRIM_400000_NS6detail17trampoline_kernelINS0_14default_configENS1_36segmented_radix_sort_config_selectorIllEEZNS1_25segmented_radix_sort_implIS3_Lb1EPKlPlS8_S9_N2at6native12_GLOBAL__N_18offset_tEEE10hipError_tPvRmT1_PNSt15iterator_traitsISH_E10value_typeET2_T3_PNSI_ISN_E10value_typeET4_jRbjT5_ST_jjP12ihipStream_tbEUlT_E1_NS1_11comp_targetILNS1_3genE4ELNS1_11target_archE910ELNS1_3gpuE8ELNS1_3repE0EEENS1_59segmented_radix_sort_warp_sort_small_config_static_selectorELNS0_4arch9wavefront6targetE0EEEvSH_.numbered_sgpr, 0
	.set _ZN7rocprim17ROCPRIM_400000_NS6detail17trampoline_kernelINS0_14default_configENS1_36segmented_radix_sort_config_selectorIllEEZNS1_25segmented_radix_sort_implIS3_Lb1EPKlPlS8_S9_N2at6native12_GLOBAL__N_18offset_tEEE10hipError_tPvRmT1_PNSt15iterator_traitsISH_E10value_typeET2_T3_PNSI_ISN_E10value_typeET4_jRbjT5_ST_jjP12ihipStream_tbEUlT_E1_NS1_11comp_targetILNS1_3genE4ELNS1_11target_archE910ELNS1_3gpuE8ELNS1_3repE0EEENS1_59segmented_radix_sort_warp_sort_small_config_static_selectorELNS0_4arch9wavefront6targetE0EEEvSH_.num_named_barrier, 0
	.set _ZN7rocprim17ROCPRIM_400000_NS6detail17trampoline_kernelINS0_14default_configENS1_36segmented_radix_sort_config_selectorIllEEZNS1_25segmented_radix_sort_implIS3_Lb1EPKlPlS8_S9_N2at6native12_GLOBAL__N_18offset_tEEE10hipError_tPvRmT1_PNSt15iterator_traitsISH_E10value_typeET2_T3_PNSI_ISN_E10value_typeET4_jRbjT5_ST_jjP12ihipStream_tbEUlT_E1_NS1_11comp_targetILNS1_3genE4ELNS1_11target_archE910ELNS1_3gpuE8ELNS1_3repE0EEENS1_59segmented_radix_sort_warp_sort_small_config_static_selectorELNS0_4arch9wavefront6targetE0EEEvSH_.private_seg_size, 0
	.set _ZN7rocprim17ROCPRIM_400000_NS6detail17trampoline_kernelINS0_14default_configENS1_36segmented_radix_sort_config_selectorIllEEZNS1_25segmented_radix_sort_implIS3_Lb1EPKlPlS8_S9_N2at6native12_GLOBAL__N_18offset_tEEE10hipError_tPvRmT1_PNSt15iterator_traitsISH_E10value_typeET2_T3_PNSI_ISN_E10value_typeET4_jRbjT5_ST_jjP12ihipStream_tbEUlT_E1_NS1_11comp_targetILNS1_3genE4ELNS1_11target_archE910ELNS1_3gpuE8ELNS1_3repE0EEENS1_59segmented_radix_sort_warp_sort_small_config_static_selectorELNS0_4arch9wavefront6targetE0EEEvSH_.uses_vcc, 0
	.set _ZN7rocprim17ROCPRIM_400000_NS6detail17trampoline_kernelINS0_14default_configENS1_36segmented_radix_sort_config_selectorIllEEZNS1_25segmented_radix_sort_implIS3_Lb1EPKlPlS8_S9_N2at6native12_GLOBAL__N_18offset_tEEE10hipError_tPvRmT1_PNSt15iterator_traitsISH_E10value_typeET2_T3_PNSI_ISN_E10value_typeET4_jRbjT5_ST_jjP12ihipStream_tbEUlT_E1_NS1_11comp_targetILNS1_3genE4ELNS1_11target_archE910ELNS1_3gpuE8ELNS1_3repE0EEENS1_59segmented_radix_sort_warp_sort_small_config_static_selectorELNS0_4arch9wavefront6targetE0EEEvSH_.uses_flat_scratch, 0
	.set _ZN7rocprim17ROCPRIM_400000_NS6detail17trampoline_kernelINS0_14default_configENS1_36segmented_radix_sort_config_selectorIllEEZNS1_25segmented_radix_sort_implIS3_Lb1EPKlPlS8_S9_N2at6native12_GLOBAL__N_18offset_tEEE10hipError_tPvRmT1_PNSt15iterator_traitsISH_E10value_typeET2_T3_PNSI_ISN_E10value_typeET4_jRbjT5_ST_jjP12ihipStream_tbEUlT_E1_NS1_11comp_targetILNS1_3genE4ELNS1_11target_archE910ELNS1_3gpuE8ELNS1_3repE0EEENS1_59segmented_radix_sort_warp_sort_small_config_static_selectorELNS0_4arch9wavefront6targetE0EEEvSH_.has_dyn_sized_stack, 0
	.set _ZN7rocprim17ROCPRIM_400000_NS6detail17trampoline_kernelINS0_14default_configENS1_36segmented_radix_sort_config_selectorIllEEZNS1_25segmented_radix_sort_implIS3_Lb1EPKlPlS8_S9_N2at6native12_GLOBAL__N_18offset_tEEE10hipError_tPvRmT1_PNSt15iterator_traitsISH_E10value_typeET2_T3_PNSI_ISN_E10value_typeET4_jRbjT5_ST_jjP12ihipStream_tbEUlT_E1_NS1_11comp_targetILNS1_3genE4ELNS1_11target_archE910ELNS1_3gpuE8ELNS1_3repE0EEENS1_59segmented_radix_sort_warp_sort_small_config_static_selectorELNS0_4arch9wavefront6targetE0EEEvSH_.has_recursion, 0
	.set _ZN7rocprim17ROCPRIM_400000_NS6detail17trampoline_kernelINS0_14default_configENS1_36segmented_radix_sort_config_selectorIllEEZNS1_25segmented_radix_sort_implIS3_Lb1EPKlPlS8_S9_N2at6native12_GLOBAL__N_18offset_tEEE10hipError_tPvRmT1_PNSt15iterator_traitsISH_E10value_typeET2_T3_PNSI_ISN_E10value_typeET4_jRbjT5_ST_jjP12ihipStream_tbEUlT_E1_NS1_11comp_targetILNS1_3genE4ELNS1_11target_archE910ELNS1_3gpuE8ELNS1_3repE0EEENS1_59segmented_radix_sort_warp_sort_small_config_static_selectorELNS0_4arch9wavefront6targetE0EEEvSH_.has_indirect_call, 0
	.section	.AMDGPU.csdata,"",@progbits
; Kernel info:
; codeLenInByte = 0
; TotalNumSgprs: 0
; NumVgprs: 0
; ScratchSize: 0
; MemoryBound: 0
; FloatMode: 240
; IeeeMode: 1
; LDSByteSize: 0 bytes/workgroup (compile time only)
; SGPRBlocks: 0
; VGPRBlocks: 0
; NumSGPRsForWavesPerEU: 1
; NumVGPRsForWavesPerEU: 1
; Occupancy: 16
; WaveLimiterHint : 0
; COMPUTE_PGM_RSRC2:SCRATCH_EN: 0
; COMPUTE_PGM_RSRC2:USER_SGPR: 6
; COMPUTE_PGM_RSRC2:TRAP_HANDLER: 0
; COMPUTE_PGM_RSRC2:TGID_X_EN: 1
; COMPUTE_PGM_RSRC2:TGID_Y_EN: 0
; COMPUTE_PGM_RSRC2:TGID_Z_EN: 0
; COMPUTE_PGM_RSRC2:TIDIG_COMP_CNT: 0
	.section	.text._ZN7rocprim17ROCPRIM_400000_NS6detail17trampoline_kernelINS0_14default_configENS1_36segmented_radix_sort_config_selectorIllEEZNS1_25segmented_radix_sort_implIS3_Lb1EPKlPlS8_S9_N2at6native12_GLOBAL__N_18offset_tEEE10hipError_tPvRmT1_PNSt15iterator_traitsISH_E10value_typeET2_T3_PNSI_ISN_E10value_typeET4_jRbjT5_ST_jjP12ihipStream_tbEUlT_E1_NS1_11comp_targetILNS1_3genE3ELNS1_11target_archE908ELNS1_3gpuE7ELNS1_3repE0EEENS1_59segmented_radix_sort_warp_sort_small_config_static_selectorELNS0_4arch9wavefront6targetE0EEEvSH_,"axG",@progbits,_ZN7rocprim17ROCPRIM_400000_NS6detail17trampoline_kernelINS0_14default_configENS1_36segmented_radix_sort_config_selectorIllEEZNS1_25segmented_radix_sort_implIS3_Lb1EPKlPlS8_S9_N2at6native12_GLOBAL__N_18offset_tEEE10hipError_tPvRmT1_PNSt15iterator_traitsISH_E10value_typeET2_T3_PNSI_ISN_E10value_typeET4_jRbjT5_ST_jjP12ihipStream_tbEUlT_E1_NS1_11comp_targetILNS1_3genE3ELNS1_11target_archE908ELNS1_3gpuE7ELNS1_3repE0EEENS1_59segmented_radix_sort_warp_sort_small_config_static_selectorELNS0_4arch9wavefront6targetE0EEEvSH_,comdat
	.globl	_ZN7rocprim17ROCPRIM_400000_NS6detail17trampoline_kernelINS0_14default_configENS1_36segmented_radix_sort_config_selectorIllEEZNS1_25segmented_radix_sort_implIS3_Lb1EPKlPlS8_S9_N2at6native12_GLOBAL__N_18offset_tEEE10hipError_tPvRmT1_PNSt15iterator_traitsISH_E10value_typeET2_T3_PNSI_ISN_E10value_typeET4_jRbjT5_ST_jjP12ihipStream_tbEUlT_E1_NS1_11comp_targetILNS1_3genE3ELNS1_11target_archE908ELNS1_3gpuE7ELNS1_3repE0EEENS1_59segmented_radix_sort_warp_sort_small_config_static_selectorELNS0_4arch9wavefront6targetE0EEEvSH_ ; -- Begin function _ZN7rocprim17ROCPRIM_400000_NS6detail17trampoline_kernelINS0_14default_configENS1_36segmented_radix_sort_config_selectorIllEEZNS1_25segmented_radix_sort_implIS3_Lb1EPKlPlS8_S9_N2at6native12_GLOBAL__N_18offset_tEEE10hipError_tPvRmT1_PNSt15iterator_traitsISH_E10value_typeET2_T3_PNSI_ISN_E10value_typeET4_jRbjT5_ST_jjP12ihipStream_tbEUlT_E1_NS1_11comp_targetILNS1_3genE3ELNS1_11target_archE908ELNS1_3gpuE7ELNS1_3repE0EEENS1_59segmented_radix_sort_warp_sort_small_config_static_selectorELNS0_4arch9wavefront6targetE0EEEvSH_
	.p2align	8
	.type	_ZN7rocprim17ROCPRIM_400000_NS6detail17trampoline_kernelINS0_14default_configENS1_36segmented_radix_sort_config_selectorIllEEZNS1_25segmented_radix_sort_implIS3_Lb1EPKlPlS8_S9_N2at6native12_GLOBAL__N_18offset_tEEE10hipError_tPvRmT1_PNSt15iterator_traitsISH_E10value_typeET2_T3_PNSI_ISN_E10value_typeET4_jRbjT5_ST_jjP12ihipStream_tbEUlT_E1_NS1_11comp_targetILNS1_3genE3ELNS1_11target_archE908ELNS1_3gpuE7ELNS1_3repE0EEENS1_59segmented_radix_sort_warp_sort_small_config_static_selectorELNS0_4arch9wavefront6targetE0EEEvSH_,@function
_ZN7rocprim17ROCPRIM_400000_NS6detail17trampoline_kernelINS0_14default_configENS1_36segmented_radix_sort_config_selectorIllEEZNS1_25segmented_radix_sort_implIS3_Lb1EPKlPlS8_S9_N2at6native12_GLOBAL__N_18offset_tEEE10hipError_tPvRmT1_PNSt15iterator_traitsISH_E10value_typeET2_T3_PNSI_ISN_E10value_typeET4_jRbjT5_ST_jjP12ihipStream_tbEUlT_E1_NS1_11comp_targetILNS1_3genE3ELNS1_11target_archE908ELNS1_3gpuE7ELNS1_3repE0EEENS1_59segmented_radix_sort_warp_sort_small_config_static_selectorELNS0_4arch9wavefront6targetE0EEEvSH_: ; @_ZN7rocprim17ROCPRIM_400000_NS6detail17trampoline_kernelINS0_14default_configENS1_36segmented_radix_sort_config_selectorIllEEZNS1_25segmented_radix_sort_implIS3_Lb1EPKlPlS8_S9_N2at6native12_GLOBAL__N_18offset_tEEE10hipError_tPvRmT1_PNSt15iterator_traitsISH_E10value_typeET2_T3_PNSI_ISN_E10value_typeET4_jRbjT5_ST_jjP12ihipStream_tbEUlT_E1_NS1_11comp_targetILNS1_3genE3ELNS1_11target_archE908ELNS1_3gpuE7ELNS1_3repE0EEENS1_59segmented_radix_sort_warp_sort_small_config_static_selectorELNS0_4arch9wavefront6targetE0EEEvSH_
; %bb.0:
	.section	.rodata,"a",@progbits
	.p2align	6, 0x0
	.amdhsa_kernel _ZN7rocprim17ROCPRIM_400000_NS6detail17trampoline_kernelINS0_14default_configENS1_36segmented_radix_sort_config_selectorIllEEZNS1_25segmented_radix_sort_implIS3_Lb1EPKlPlS8_S9_N2at6native12_GLOBAL__N_18offset_tEEE10hipError_tPvRmT1_PNSt15iterator_traitsISH_E10value_typeET2_T3_PNSI_ISN_E10value_typeET4_jRbjT5_ST_jjP12ihipStream_tbEUlT_E1_NS1_11comp_targetILNS1_3genE3ELNS1_11target_archE908ELNS1_3gpuE7ELNS1_3repE0EEENS1_59segmented_radix_sort_warp_sort_small_config_static_selectorELNS0_4arch9wavefront6targetE0EEEvSH_
		.amdhsa_group_segment_fixed_size 0
		.amdhsa_private_segment_fixed_size 0
		.amdhsa_kernarg_size 88
		.amdhsa_user_sgpr_count 6
		.amdhsa_user_sgpr_private_segment_buffer 1
		.amdhsa_user_sgpr_dispatch_ptr 0
		.amdhsa_user_sgpr_queue_ptr 0
		.amdhsa_user_sgpr_kernarg_segment_ptr 1
		.amdhsa_user_sgpr_dispatch_id 0
		.amdhsa_user_sgpr_flat_scratch_init 0
		.amdhsa_user_sgpr_private_segment_size 0
		.amdhsa_wavefront_size32 1
		.amdhsa_uses_dynamic_stack 0
		.amdhsa_system_sgpr_private_segment_wavefront_offset 0
		.amdhsa_system_sgpr_workgroup_id_x 1
		.amdhsa_system_sgpr_workgroup_id_y 0
		.amdhsa_system_sgpr_workgroup_id_z 0
		.amdhsa_system_sgpr_workgroup_info 0
		.amdhsa_system_vgpr_workitem_id 0
		.amdhsa_next_free_vgpr 1
		.amdhsa_next_free_sgpr 1
		.amdhsa_reserve_vcc 0
		.amdhsa_reserve_flat_scratch 0
		.amdhsa_float_round_mode_32 0
		.amdhsa_float_round_mode_16_64 0
		.amdhsa_float_denorm_mode_32 3
		.amdhsa_float_denorm_mode_16_64 3
		.amdhsa_dx10_clamp 1
		.amdhsa_ieee_mode 1
		.amdhsa_fp16_overflow 0
		.amdhsa_workgroup_processor_mode 1
		.amdhsa_memory_ordered 1
		.amdhsa_forward_progress 1
		.amdhsa_shared_vgpr_count 0
		.amdhsa_exception_fp_ieee_invalid_op 0
		.amdhsa_exception_fp_denorm_src 0
		.amdhsa_exception_fp_ieee_div_zero 0
		.amdhsa_exception_fp_ieee_overflow 0
		.amdhsa_exception_fp_ieee_underflow 0
		.amdhsa_exception_fp_ieee_inexact 0
		.amdhsa_exception_int_div_zero 0
	.end_amdhsa_kernel
	.section	.text._ZN7rocprim17ROCPRIM_400000_NS6detail17trampoline_kernelINS0_14default_configENS1_36segmented_radix_sort_config_selectorIllEEZNS1_25segmented_radix_sort_implIS3_Lb1EPKlPlS8_S9_N2at6native12_GLOBAL__N_18offset_tEEE10hipError_tPvRmT1_PNSt15iterator_traitsISH_E10value_typeET2_T3_PNSI_ISN_E10value_typeET4_jRbjT5_ST_jjP12ihipStream_tbEUlT_E1_NS1_11comp_targetILNS1_3genE3ELNS1_11target_archE908ELNS1_3gpuE7ELNS1_3repE0EEENS1_59segmented_radix_sort_warp_sort_small_config_static_selectorELNS0_4arch9wavefront6targetE0EEEvSH_,"axG",@progbits,_ZN7rocprim17ROCPRIM_400000_NS6detail17trampoline_kernelINS0_14default_configENS1_36segmented_radix_sort_config_selectorIllEEZNS1_25segmented_radix_sort_implIS3_Lb1EPKlPlS8_S9_N2at6native12_GLOBAL__N_18offset_tEEE10hipError_tPvRmT1_PNSt15iterator_traitsISH_E10value_typeET2_T3_PNSI_ISN_E10value_typeET4_jRbjT5_ST_jjP12ihipStream_tbEUlT_E1_NS1_11comp_targetILNS1_3genE3ELNS1_11target_archE908ELNS1_3gpuE7ELNS1_3repE0EEENS1_59segmented_radix_sort_warp_sort_small_config_static_selectorELNS0_4arch9wavefront6targetE0EEEvSH_,comdat
.Lfunc_end721:
	.size	_ZN7rocprim17ROCPRIM_400000_NS6detail17trampoline_kernelINS0_14default_configENS1_36segmented_radix_sort_config_selectorIllEEZNS1_25segmented_radix_sort_implIS3_Lb1EPKlPlS8_S9_N2at6native12_GLOBAL__N_18offset_tEEE10hipError_tPvRmT1_PNSt15iterator_traitsISH_E10value_typeET2_T3_PNSI_ISN_E10value_typeET4_jRbjT5_ST_jjP12ihipStream_tbEUlT_E1_NS1_11comp_targetILNS1_3genE3ELNS1_11target_archE908ELNS1_3gpuE7ELNS1_3repE0EEENS1_59segmented_radix_sort_warp_sort_small_config_static_selectorELNS0_4arch9wavefront6targetE0EEEvSH_, .Lfunc_end721-_ZN7rocprim17ROCPRIM_400000_NS6detail17trampoline_kernelINS0_14default_configENS1_36segmented_radix_sort_config_selectorIllEEZNS1_25segmented_radix_sort_implIS3_Lb1EPKlPlS8_S9_N2at6native12_GLOBAL__N_18offset_tEEE10hipError_tPvRmT1_PNSt15iterator_traitsISH_E10value_typeET2_T3_PNSI_ISN_E10value_typeET4_jRbjT5_ST_jjP12ihipStream_tbEUlT_E1_NS1_11comp_targetILNS1_3genE3ELNS1_11target_archE908ELNS1_3gpuE7ELNS1_3repE0EEENS1_59segmented_radix_sort_warp_sort_small_config_static_selectorELNS0_4arch9wavefront6targetE0EEEvSH_
                                        ; -- End function
	.set _ZN7rocprim17ROCPRIM_400000_NS6detail17trampoline_kernelINS0_14default_configENS1_36segmented_radix_sort_config_selectorIllEEZNS1_25segmented_radix_sort_implIS3_Lb1EPKlPlS8_S9_N2at6native12_GLOBAL__N_18offset_tEEE10hipError_tPvRmT1_PNSt15iterator_traitsISH_E10value_typeET2_T3_PNSI_ISN_E10value_typeET4_jRbjT5_ST_jjP12ihipStream_tbEUlT_E1_NS1_11comp_targetILNS1_3genE3ELNS1_11target_archE908ELNS1_3gpuE7ELNS1_3repE0EEENS1_59segmented_radix_sort_warp_sort_small_config_static_selectorELNS0_4arch9wavefront6targetE0EEEvSH_.num_vgpr, 0
	.set _ZN7rocprim17ROCPRIM_400000_NS6detail17trampoline_kernelINS0_14default_configENS1_36segmented_radix_sort_config_selectorIllEEZNS1_25segmented_radix_sort_implIS3_Lb1EPKlPlS8_S9_N2at6native12_GLOBAL__N_18offset_tEEE10hipError_tPvRmT1_PNSt15iterator_traitsISH_E10value_typeET2_T3_PNSI_ISN_E10value_typeET4_jRbjT5_ST_jjP12ihipStream_tbEUlT_E1_NS1_11comp_targetILNS1_3genE3ELNS1_11target_archE908ELNS1_3gpuE7ELNS1_3repE0EEENS1_59segmented_radix_sort_warp_sort_small_config_static_selectorELNS0_4arch9wavefront6targetE0EEEvSH_.num_agpr, 0
	.set _ZN7rocprim17ROCPRIM_400000_NS6detail17trampoline_kernelINS0_14default_configENS1_36segmented_radix_sort_config_selectorIllEEZNS1_25segmented_radix_sort_implIS3_Lb1EPKlPlS8_S9_N2at6native12_GLOBAL__N_18offset_tEEE10hipError_tPvRmT1_PNSt15iterator_traitsISH_E10value_typeET2_T3_PNSI_ISN_E10value_typeET4_jRbjT5_ST_jjP12ihipStream_tbEUlT_E1_NS1_11comp_targetILNS1_3genE3ELNS1_11target_archE908ELNS1_3gpuE7ELNS1_3repE0EEENS1_59segmented_radix_sort_warp_sort_small_config_static_selectorELNS0_4arch9wavefront6targetE0EEEvSH_.numbered_sgpr, 0
	.set _ZN7rocprim17ROCPRIM_400000_NS6detail17trampoline_kernelINS0_14default_configENS1_36segmented_radix_sort_config_selectorIllEEZNS1_25segmented_radix_sort_implIS3_Lb1EPKlPlS8_S9_N2at6native12_GLOBAL__N_18offset_tEEE10hipError_tPvRmT1_PNSt15iterator_traitsISH_E10value_typeET2_T3_PNSI_ISN_E10value_typeET4_jRbjT5_ST_jjP12ihipStream_tbEUlT_E1_NS1_11comp_targetILNS1_3genE3ELNS1_11target_archE908ELNS1_3gpuE7ELNS1_3repE0EEENS1_59segmented_radix_sort_warp_sort_small_config_static_selectorELNS0_4arch9wavefront6targetE0EEEvSH_.num_named_barrier, 0
	.set _ZN7rocprim17ROCPRIM_400000_NS6detail17trampoline_kernelINS0_14default_configENS1_36segmented_radix_sort_config_selectorIllEEZNS1_25segmented_radix_sort_implIS3_Lb1EPKlPlS8_S9_N2at6native12_GLOBAL__N_18offset_tEEE10hipError_tPvRmT1_PNSt15iterator_traitsISH_E10value_typeET2_T3_PNSI_ISN_E10value_typeET4_jRbjT5_ST_jjP12ihipStream_tbEUlT_E1_NS1_11comp_targetILNS1_3genE3ELNS1_11target_archE908ELNS1_3gpuE7ELNS1_3repE0EEENS1_59segmented_radix_sort_warp_sort_small_config_static_selectorELNS0_4arch9wavefront6targetE0EEEvSH_.private_seg_size, 0
	.set _ZN7rocprim17ROCPRIM_400000_NS6detail17trampoline_kernelINS0_14default_configENS1_36segmented_radix_sort_config_selectorIllEEZNS1_25segmented_radix_sort_implIS3_Lb1EPKlPlS8_S9_N2at6native12_GLOBAL__N_18offset_tEEE10hipError_tPvRmT1_PNSt15iterator_traitsISH_E10value_typeET2_T3_PNSI_ISN_E10value_typeET4_jRbjT5_ST_jjP12ihipStream_tbEUlT_E1_NS1_11comp_targetILNS1_3genE3ELNS1_11target_archE908ELNS1_3gpuE7ELNS1_3repE0EEENS1_59segmented_radix_sort_warp_sort_small_config_static_selectorELNS0_4arch9wavefront6targetE0EEEvSH_.uses_vcc, 0
	.set _ZN7rocprim17ROCPRIM_400000_NS6detail17trampoline_kernelINS0_14default_configENS1_36segmented_radix_sort_config_selectorIllEEZNS1_25segmented_radix_sort_implIS3_Lb1EPKlPlS8_S9_N2at6native12_GLOBAL__N_18offset_tEEE10hipError_tPvRmT1_PNSt15iterator_traitsISH_E10value_typeET2_T3_PNSI_ISN_E10value_typeET4_jRbjT5_ST_jjP12ihipStream_tbEUlT_E1_NS1_11comp_targetILNS1_3genE3ELNS1_11target_archE908ELNS1_3gpuE7ELNS1_3repE0EEENS1_59segmented_radix_sort_warp_sort_small_config_static_selectorELNS0_4arch9wavefront6targetE0EEEvSH_.uses_flat_scratch, 0
	.set _ZN7rocprim17ROCPRIM_400000_NS6detail17trampoline_kernelINS0_14default_configENS1_36segmented_radix_sort_config_selectorIllEEZNS1_25segmented_radix_sort_implIS3_Lb1EPKlPlS8_S9_N2at6native12_GLOBAL__N_18offset_tEEE10hipError_tPvRmT1_PNSt15iterator_traitsISH_E10value_typeET2_T3_PNSI_ISN_E10value_typeET4_jRbjT5_ST_jjP12ihipStream_tbEUlT_E1_NS1_11comp_targetILNS1_3genE3ELNS1_11target_archE908ELNS1_3gpuE7ELNS1_3repE0EEENS1_59segmented_radix_sort_warp_sort_small_config_static_selectorELNS0_4arch9wavefront6targetE0EEEvSH_.has_dyn_sized_stack, 0
	.set _ZN7rocprim17ROCPRIM_400000_NS6detail17trampoline_kernelINS0_14default_configENS1_36segmented_radix_sort_config_selectorIllEEZNS1_25segmented_radix_sort_implIS3_Lb1EPKlPlS8_S9_N2at6native12_GLOBAL__N_18offset_tEEE10hipError_tPvRmT1_PNSt15iterator_traitsISH_E10value_typeET2_T3_PNSI_ISN_E10value_typeET4_jRbjT5_ST_jjP12ihipStream_tbEUlT_E1_NS1_11comp_targetILNS1_3genE3ELNS1_11target_archE908ELNS1_3gpuE7ELNS1_3repE0EEENS1_59segmented_radix_sort_warp_sort_small_config_static_selectorELNS0_4arch9wavefront6targetE0EEEvSH_.has_recursion, 0
	.set _ZN7rocprim17ROCPRIM_400000_NS6detail17trampoline_kernelINS0_14default_configENS1_36segmented_radix_sort_config_selectorIllEEZNS1_25segmented_radix_sort_implIS3_Lb1EPKlPlS8_S9_N2at6native12_GLOBAL__N_18offset_tEEE10hipError_tPvRmT1_PNSt15iterator_traitsISH_E10value_typeET2_T3_PNSI_ISN_E10value_typeET4_jRbjT5_ST_jjP12ihipStream_tbEUlT_E1_NS1_11comp_targetILNS1_3genE3ELNS1_11target_archE908ELNS1_3gpuE7ELNS1_3repE0EEENS1_59segmented_radix_sort_warp_sort_small_config_static_selectorELNS0_4arch9wavefront6targetE0EEEvSH_.has_indirect_call, 0
	.section	.AMDGPU.csdata,"",@progbits
; Kernel info:
; codeLenInByte = 0
; TotalNumSgprs: 0
; NumVgprs: 0
; ScratchSize: 0
; MemoryBound: 0
; FloatMode: 240
; IeeeMode: 1
; LDSByteSize: 0 bytes/workgroup (compile time only)
; SGPRBlocks: 0
; VGPRBlocks: 0
; NumSGPRsForWavesPerEU: 1
; NumVGPRsForWavesPerEU: 1
; Occupancy: 16
; WaveLimiterHint : 0
; COMPUTE_PGM_RSRC2:SCRATCH_EN: 0
; COMPUTE_PGM_RSRC2:USER_SGPR: 6
; COMPUTE_PGM_RSRC2:TRAP_HANDLER: 0
; COMPUTE_PGM_RSRC2:TGID_X_EN: 1
; COMPUTE_PGM_RSRC2:TGID_Y_EN: 0
; COMPUTE_PGM_RSRC2:TGID_Z_EN: 0
; COMPUTE_PGM_RSRC2:TIDIG_COMP_CNT: 0
	.section	.text._ZN7rocprim17ROCPRIM_400000_NS6detail17trampoline_kernelINS0_14default_configENS1_36segmented_radix_sort_config_selectorIllEEZNS1_25segmented_radix_sort_implIS3_Lb1EPKlPlS8_S9_N2at6native12_GLOBAL__N_18offset_tEEE10hipError_tPvRmT1_PNSt15iterator_traitsISH_E10value_typeET2_T3_PNSI_ISN_E10value_typeET4_jRbjT5_ST_jjP12ihipStream_tbEUlT_E1_NS1_11comp_targetILNS1_3genE2ELNS1_11target_archE906ELNS1_3gpuE6ELNS1_3repE0EEENS1_59segmented_radix_sort_warp_sort_small_config_static_selectorELNS0_4arch9wavefront6targetE0EEEvSH_,"axG",@progbits,_ZN7rocprim17ROCPRIM_400000_NS6detail17trampoline_kernelINS0_14default_configENS1_36segmented_radix_sort_config_selectorIllEEZNS1_25segmented_radix_sort_implIS3_Lb1EPKlPlS8_S9_N2at6native12_GLOBAL__N_18offset_tEEE10hipError_tPvRmT1_PNSt15iterator_traitsISH_E10value_typeET2_T3_PNSI_ISN_E10value_typeET4_jRbjT5_ST_jjP12ihipStream_tbEUlT_E1_NS1_11comp_targetILNS1_3genE2ELNS1_11target_archE906ELNS1_3gpuE6ELNS1_3repE0EEENS1_59segmented_radix_sort_warp_sort_small_config_static_selectorELNS0_4arch9wavefront6targetE0EEEvSH_,comdat
	.globl	_ZN7rocprim17ROCPRIM_400000_NS6detail17trampoline_kernelINS0_14default_configENS1_36segmented_radix_sort_config_selectorIllEEZNS1_25segmented_radix_sort_implIS3_Lb1EPKlPlS8_S9_N2at6native12_GLOBAL__N_18offset_tEEE10hipError_tPvRmT1_PNSt15iterator_traitsISH_E10value_typeET2_T3_PNSI_ISN_E10value_typeET4_jRbjT5_ST_jjP12ihipStream_tbEUlT_E1_NS1_11comp_targetILNS1_3genE2ELNS1_11target_archE906ELNS1_3gpuE6ELNS1_3repE0EEENS1_59segmented_radix_sort_warp_sort_small_config_static_selectorELNS0_4arch9wavefront6targetE0EEEvSH_ ; -- Begin function _ZN7rocprim17ROCPRIM_400000_NS6detail17trampoline_kernelINS0_14default_configENS1_36segmented_radix_sort_config_selectorIllEEZNS1_25segmented_radix_sort_implIS3_Lb1EPKlPlS8_S9_N2at6native12_GLOBAL__N_18offset_tEEE10hipError_tPvRmT1_PNSt15iterator_traitsISH_E10value_typeET2_T3_PNSI_ISN_E10value_typeET4_jRbjT5_ST_jjP12ihipStream_tbEUlT_E1_NS1_11comp_targetILNS1_3genE2ELNS1_11target_archE906ELNS1_3gpuE6ELNS1_3repE0EEENS1_59segmented_radix_sort_warp_sort_small_config_static_selectorELNS0_4arch9wavefront6targetE0EEEvSH_
	.p2align	8
	.type	_ZN7rocprim17ROCPRIM_400000_NS6detail17trampoline_kernelINS0_14default_configENS1_36segmented_radix_sort_config_selectorIllEEZNS1_25segmented_radix_sort_implIS3_Lb1EPKlPlS8_S9_N2at6native12_GLOBAL__N_18offset_tEEE10hipError_tPvRmT1_PNSt15iterator_traitsISH_E10value_typeET2_T3_PNSI_ISN_E10value_typeET4_jRbjT5_ST_jjP12ihipStream_tbEUlT_E1_NS1_11comp_targetILNS1_3genE2ELNS1_11target_archE906ELNS1_3gpuE6ELNS1_3repE0EEENS1_59segmented_radix_sort_warp_sort_small_config_static_selectorELNS0_4arch9wavefront6targetE0EEEvSH_,@function
_ZN7rocprim17ROCPRIM_400000_NS6detail17trampoline_kernelINS0_14default_configENS1_36segmented_radix_sort_config_selectorIllEEZNS1_25segmented_radix_sort_implIS3_Lb1EPKlPlS8_S9_N2at6native12_GLOBAL__N_18offset_tEEE10hipError_tPvRmT1_PNSt15iterator_traitsISH_E10value_typeET2_T3_PNSI_ISN_E10value_typeET4_jRbjT5_ST_jjP12ihipStream_tbEUlT_E1_NS1_11comp_targetILNS1_3genE2ELNS1_11target_archE906ELNS1_3gpuE6ELNS1_3repE0EEENS1_59segmented_radix_sort_warp_sort_small_config_static_selectorELNS0_4arch9wavefront6targetE0EEEvSH_: ; @_ZN7rocprim17ROCPRIM_400000_NS6detail17trampoline_kernelINS0_14default_configENS1_36segmented_radix_sort_config_selectorIllEEZNS1_25segmented_radix_sort_implIS3_Lb1EPKlPlS8_S9_N2at6native12_GLOBAL__N_18offset_tEEE10hipError_tPvRmT1_PNSt15iterator_traitsISH_E10value_typeET2_T3_PNSI_ISN_E10value_typeET4_jRbjT5_ST_jjP12ihipStream_tbEUlT_E1_NS1_11comp_targetILNS1_3genE2ELNS1_11target_archE906ELNS1_3gpuE6ELNS1_3repE0EEENS1_59segmented_radix_sort_warp_sort_small_config_static_selectorELNS0_4arch9wavefront6targetE0EEEvSH_
; %bb.0:
	.section	.rodata,"a",@progbits
	.p2align	6, 0x0
	.amdhsa_kernel _ZN7rocprim17ROCPRIM_400000_NS6detail17trampoline_kernelINS0_14default_configENS1_36segmented_radix_sort_config_selectorIllEEZNS1_25segmented_radix_sort_implIS3_Lb1EPKlPlS8_S9_N2at6native12_GLOBAL__N_18offset_tEEE10hipError_tPvRmT1_PNSt15iterator_traitsISH_E10value_typeET2_T3_PNSI_ISN_E10value_typeET4_jRbjT5_ST_jjP12ihipStream_tbEUlT_E1_NS1_11comp_targetILNS1_3genE2ELNS1_11target_archE906ELNS1_3gpuE6ELNS1_3repE0EEENS1_59segmented_radix_sort_warp_sort_small_config_static_selectorELNS0_4arch9wavefront6targetE0EEEvSH_
		.amdhsa_group_segment_fixed_size 0
		.amdhsa_private_segment_fixed_size 0
		.amdhsa_kernarg_size 88
		.amdhsa_user_sgpr_count 6
		.amdhsa_user_sgpr_private_segment_buffer 1
		.amdhsa_user_sgpr_dispatch_ptr 0
		.amdhsa_user_sgpr_queue_ptr 0
		.amdhsa_user_sgpr_kernarg_segment_ptr 1
		.amdhsa_user_sgpr_dispatch_id 0
		.amdhsa_user_sgpr_flat_scratch_init 0
		.amdhsa_user_sgpr_private_segment_size 0
		.amdhsa_wavefront_size32 1
		.amdhsa_uses_dynamic_stack 0
		.amdhsa_system_sgpr_private_segment_wavefront_offset 0
		.amdhsa_system_sgpr_workgroup_id_x 1
		.amdhsa_system_sgpr_workgroup_id_y 0
		.amdhsa_system_sgpr_workgroup_id_z 0
		.amdhsa_system_sgpr_workgroup_info 0
		.amdhsa_system_vgpr_workitem_id 0
		.amdhsa_next_free_vgpr 1
		.amdhsa_next_free_sgpr 1
		.amdhsa_reserve_vcc 0
		.amdhsa_reserve_flat_scratch 0
		.amdhsa_float_round_mode_32 0
		.amdhsa_float_round_mode_16_64 0
		.amdhsa_float_denorm_mode_32 3
		.amdhsa_float_denorm_mode_16_64 3
		.amdhsa_dx10_clamp 1
		.amdhsa_ieee_mode 1
		.amdhsa_fp16_overflow 0
		.amdhsa_workgroup_processor_mode 1
		.amdhsa_memory_ordered 1
		.amdhsa_forward_progress 1
		.amdhsa_shared_vgpr_count 0
		.amdhsa_exception_fp_ieee_invalid_op 0
		.amdhsa_exception_fp_denorm_src 0
		.amdhsa_exception_fp_ieee_div_zero 0
		.amdhsa_exception_fp_ieee_overflow 0
		.amdhsa_exception_fp_ieee_underflow 0
		.amdhsa_exception_fp_ieee_inexact 0
		.amdhsa_exception_int_div_zero 0
	.end_amdhsa_kernel
	.section	.text._ZN7rocprim17ROCPRIM_400000_NS6detail17trampoline_kernelINS0_14default_configENS1_36segmented_radix_sort_config_selectorIllEEZNS1_25segmented_radix_sort_implIS3_Lb1EPKlPlS8_S9_N2at6native12_GLOBAL__N_18offset_tEEE10hipError_tPvRmT1_PNSt15iterator_traitsISH_E10value_typeET2_T3_PNSI_ISN_E10value_typeET4_jRbjT5_ST_jjP12ihipStream_tbEUlT_E1_NS1_11comp_targetILNS1_3genE2ELNS1_11target_archE906ELNS1_3gpuE6ELNS1_3repE0EEENS1_59segmented_radix_sort_warp_sort_small_config_static_selectorELNS0_4arch9wavefront6targetE0EEEvSH_,"axG",@progbits,_ZN7rocprim17ROCPRIM_400000_NS6detail17trampoline_kernelINS0_14default_configENS1_36segmented_radix_sort_config_selectorIllEEZNS1_25segmented_radix_sort_implIS3_Lb1EPKlPlS8_S9_N2at6native12_GLOBAL__N_18offset_tEEE10hipError_tPvRmT1_PNSt15iterator_traitsISH_E10value_typeET2_T3_PNSI_ISN_E10value_typeET4_jRbjT5_ST_jjP12ihipStream_tbEUlT_E1_NS1_11comp_targetILNS1_3genE2ELNS1_11target_archE906ELNS1_3gpuE6ELNS1_3repE0EEENS1_59segmented_radix_sort_warp_sort_small_config_static_selectorELNS0_4arch9wavefront6targetE0EEEvSH_,comdat
.Lfunc_end722:
	.size	_ZN7rocprim17ROCPRIM_400000_NS6detail17trampoline_kernelINS0_14default_configENS1_36segmented_radix_sort_config_selectorIllEEZNS1_25segmented_radix_sort_implIS3_Lb1EPKlPlS8_S9_N2at6native12_GLOBAL__N_18offset_tEEE10hipError_tPvRmT1_PNSt15iterator_traitsISH_E10value_typeET2_T3_PNSI_ISN_E10value_typeET4_jRbjT5_ST_jjP12ihipStream_tbEUlT_E1_NS1_11comp_targetILNS1_3genE2ELNS1_11target_archE906ELNS1_3gpuE6ELNS1_3repE0EEENS1_59segmented_radix_sort_warp_sort_small_config_static_selectorELNS0_4arch9wavefront6targetE0EEEvSH_, .Lfunc_end722-_ZN7rocprim17ROCPRIM_400000_NS6detail17trampoline_kernelINS0_14default_configENS1_36segmented_radix_sort_config_selectorIllEEZNS1_25segmented_radix_sort_implIS3_Lb1EPKlPlS8_S9_N2at6native12_GLOBAL__N_18offset_tEEE10hipError_tPvRmT1_PNSt15iterator_traitsISH_E10value_typeET2_T3_PNSI_ISN_E10value_typeET4_jRbjT5_ST_jjP12ihipStream_tbEUlT_E1_NS1_11comp_targetILNS1_3genE2ELNS1_11target_archE906ELNS1_3gpuE6ELNS1_3repE0EEENS1_59segmented_radix_sort_warp_sort_small_config_static_selectorELNS0_4arch9wavefront6targetE0EEEvSH_
                                        ; -- End function
	.set _ZN7rocprim17ROCPRIM_400000_NS6detail17trampoline_kernelINS0_14default_configENS1_36segmented_radix_sort_config_selectorIllEEZNS1_25segmented_radix_sort_implIS3_Lb1EPKlPlS8_S9_N2at6native12_GLOBAL__N_18offset_tEEE10hipError_tPvRmT1_PNSt15iterator_traitsISH_E10value_typeET2_T3_PNSI_ISN_E10value_typeET4_jRbjT5_ST_jjP12ihipStream_tbEUlT_E1_NS1_11comp_targetILNS1_3genE2ELNS1_11target_archE906ELNS1_3gpuE6ELNS1_3repE0EEENS1_59segmented_radix_sort_warp_sort_small_config_static_selectorELNS0_4arch9wavefront6targetE0EEEvSH_.num_vgpr, 0
	.set _ZN7rocprim17ROCPRIM_400000_NS6detail17trampoline_kernelINS0_14default_configENS1_36segmented_radix_sort_config_selectorIllEEZNS1_25segmented_radix_sort_implIS3_Lb1EPKlPlS8_S9_N2at6native12_GLOBAL__N_18offset_tEEE10hipError_tPvRmT1_PNSt15iterator_traitsISH_E10value_typeET2_T3_PNSI_ISN_E10value_typeET4_jRbjT5_ST_jjP12ihipStream_tbEUlT_E1_NS1_11comp_targetILNS1_3genE2ELNS1_11target_archE906ELNS1_3gpuE6ELNS1_3repE0EEENS1_59segmented_radix_sort_warp_sort_small_config_static_selectorELNS0_4arch9wavefront6targetE0EEEvSH_.num_agpr, 0
	.set _ZN7rocprim17ROCPRIM_400000_NS6detail17trampoline_kernelINS0_14default_configENS1_36segmented_radix_sort_config_selectorIllEEZNS1_25segmented_radix_sort_implIS3_Lb1EPKlPlS8_S9_N2at6native12_GLOBAL__N_18offset_tEEE10hipError_tPvRmT1_PNSt15iterator_traitsISH_E10value_typeET2_T3_PNSI_ISN_E10value_typeET4_jRbjT5_ST_jjP12ihipStream_tbEUlT_E1_NS1_11comp_targetILNS1_3genE2ELNS1_11target_archE906ELNS1_3gpuE6ELNS1_3repE0EEENS1_59segmented_radix_sort_warp_sort_small_config_static_selectorELNS0_4arch9wavefront6targetE0EEEvSH_.numbered_sgpr, 0
	.set _ZN7rocprim17ROCPRIM_400000_NS6detail17trampoline_kernelINS0_14default_configENS1_36segmented_radix_sort_config_selectorIllEEZNS1_25segmented_radix_sort_implIS3_Lb1EPKlPlS8_S9_N2at6native12_GLOBAL__N_18offset_tEEE10hipError_tPvRmT1_PNSt15iterator_traitsISH_E10value_typeET2_T3_PNSI_ISN_E10value_typeET4_jRbjT5_ST_jjP12ihipStream_tbEUlT_E1_NS1_11comp_targetILNS1_3genE2ELNS1_11target_archE906ELNS1_3gpuE6ELNS1_3repE0EEENS1_59segmented_radix_sort_warp_sort_small_config_static_selectorELNS0_4arch9wavefront6targetE0EEEvSH_.num_named_barrier, 0
	.set _ZN7rocprim17ROCPRIM_400000_NS6detail17trampoline_kernelINS0_14default_configENS1_36segmented_radix_sort_config_selectorIllEEZNS1_25segmented_radix_sort_implIS3_Lb1EPKlPlS8_S9_N2at6native12_GLOBAL__N_18offset_tEEE10hipError_tPvRmT1_PNSt15iterator_traitsISH_E10value_typeET2_T3_PNSI_ISN_E10value_typeET4_jRbjT5_ST_jjP12ihipStream_tbEUlT_E1_NS1_11comp_targetILNS1_3genE2ELNS1_11target_archE906ELNS1_3gpuE6ELNS1_3repE0EEENS1_59segmented_radix_sort_warp_sort_small_config_static_selectorELNS0_4arch9wavefront6targetE0EEEvSH_.private_seg_size, 0
	.set _ZN7rocprim17ROCPRIM_400000_NS6detail17trampoline_kernelINS0_14default_configENS1_36segmented_radix_sort_config_selectorIllEEZNS1_25segmented_radix_sort_implIS3_Lb1EPKlPlS8_S9_N2at6native12_GLOBAL__N_18offset_tEEE10hipError_tPvRmT1_PNSt15iterator_traitsISH_E10value_typeET2_T3_PNSI_ISN_E10value_typeET4_jRbjT5_ST_jjP12ihipStream_tbEUlT_E1_NS1_11comp_targetILNS1_3genE2ELNS1_11target_archE906ELNS1_3gpuE6ELNS1_3repE0EEENS1_59segmented_radix_sort_warp_sort_small_config_static_selectorELNS0_4arch9wavefront6targetE0EEEvSH_.uses_vcc, 0
	.set _ZN7rocprim17ROCPRIM_400000_NS6detail17trampoline_kernelINS0_14default_configENS1_36segmented_radix_sort_config_selectorIllEEZNS1_25segmented_radix_sort_implIS3_Lb1EPKlPlS8_S9_N2at6native12_GLOBAL__N_18offset_tEEE10hipError_tPvRmT1_PNSt15iterator_traitsISH_E10value_typeET2_T3_PNSI_ISN_E10value_typeET4_jRbjT5_ST_jjP12ihipStream_tbEUlT_E1_NS1_11comp_targetILNS1_3genE2ELNS1_11target_archE906ELNS1_3gpuE6ELNS1_3repE0EEENS1_59segmented_radix_sort_warp_sort_small_config_static_selectorELNS0_4arch9wavefront6targetE0EEEvSH_.uses_flat_scratch, 0
	.set _ZN7rocprim17ROCPRIM_400000_NS6detail17trampoline_kernelINS0_14default_configENS1_36segmented_radix_sort_config_selectorIllEEZNS1_25segmented_radix_sort_implIS3_Lb1EPKlPlS8_S9_N2at6native12_GLOBAL__N_18offset_tEEE10hipError_tPvRmT1_PNSt15iterator_traitsISH_E10value_typeET2_T3_PNSI_ISN_E10value_typeET4_jRbjT5_ST_jjP12ihipStream_tbEUlT_E1_NS1_11comp_targetILNS1_3genE2ELNS1_11target_archE906ELNS1_3gpuE6ELNS1_3repE0EEENS1_59segmented_radix_sort_warp_sort_small_config_static_selectorELNS0_4arch9wavefront6targetE0EEEvSH_.has_dyn_sized_stack, 0
	.set _ZN7rocprim17ROCPRIM_400000_NS6detail17trampoline_kernelINS0_14default_configENS1_36segmented_radix_sort_config_selectorIllEEZNS1_25segmented_radix_sort_implIS3_Lb1EPKlPlS8_S9_N2at6native12_GLOBAL__N_18offset_tEEE10hipError_tPvRmT1_PNSt15iterator_traitsISH_E10value_typeET2_T3_PNSI_ISN_E10value_typeET4_jRbjT5_ST_jjP12ihipStream_tbEUlT_E1_NS1_11comp_targetILNS1_3genE2ELNS1_11target_archE906ELNS1_3gpuE6ELNS1_3repE0EEENS1_59segmented_radix_sort_warp_sort_small_config_static_selectorELNS0_4arch9wavefront6targetE0EEEvSH_.has_recursion, 0
	.set _ZN7rocprim17ROCPRIM_400000_NS6detail17trampoline_kernelINS0_14default_configENS1_36segmented_radix_sort_config_selectorIllEEZNS1_25segmented_radix_sort_implIS3_Lb1EPKlPlS8_S9_N2at6native12_GLOBAL__N_18offset_tEEE10hipError_tPvRmT1_PNSt15iterator_traitsISH_E10value_typeET2_T3_PNSI_ISN_E10value_typeET4_jRbjT5_ST_jjP12ihipStream_tbEUlT_E1_NS1_11comp_targetILNS1_3genE2ELNS1_11target_archE906ELNS1_3gpuE6ELNS1_3repE0EEENS1_59segmented_radix_sort_warp_sort_small_config_static_selectorELNS0_4arch9wavefront6targetE0EEEvSH_.has_indirect_call, 0
	.section	.AMDGPU.csdata,"",@progbits
; Kernel info:
; codeLenInByte = 0
; TotalNumSgprs: 0
; NumVgprs: 0
; ScratchSize: 0
; MemoryBound: 0
; FloatMode: 240
; IeeeMode: 1
; LDSByteSize: 0 bytes/workgroup (compile time only)
; SGPRBlocks: 0
; VGPRBlocks: 0
; NumSGPRsForWavesPerEU: 1
; NumVGPRsForWavesPerEU: 1
; Occupancy: 16
; WaveLimiterHint : 0
; COMPUTE_PGM_RSRC2:SCRATCH_EN: 0
; COMPUTE_PGM_RSRC2:USER_SGPR: 6
; COMPUTE_PGM_RSRC2:TRAP_HANDLER: 0
; COMPUTE_PGM_RSRC2:TGID_X_EN: 1
; COMPUTE_PGM_RSRC2:TGID_Y_EN: 0
; COMPUTE_PGM_RSRC2:TGID_Z_EN: 0
; COMPUTE_PGM_RSRC2:TIDIG_COMP_CNT: 0
	.section	.text._ZN7rocprim17ROCPRIM_400000_NS6detail17trampoline_kernelINS0_14default_configENS1_36segmented_radix_sort_config_selectorIllEEZNS1_25segmented_radix_sort_implIS3_Lb1EPKlPlS8_S9_N2at6native12_GLOBAL__N_18offset_tEEE10hipError_tPvRmT1_PNSt15iterator_traitsISH_E10value_typeET2_T3_PNSI_ISN_E10value_typeET4_jRbjT5_ST_jjP12ihipStream_tbEUlT_E1_NS1_11comp_targetILNS1_3genE10ELNS1_11target_archE1201ELNS1_3gpuE5ELNS1_3repE0EEENS1_59segmented_radix_sort_warp_sort_small_config_static_selectorELNS0_4arch9wavefront6targetE0EEEvSH_,"axG",@progbits,_ZN7rocprim17ROCPRIM_400000_NS6detail17trampoline_kernelINS0_14default_configENS1_36segmented_radix_sort_config_selectorIllEEZNS1_25segmented_radix_sort_implIS3_Lb1EPKlPlS8_S9_N2at6native12_GLOBAL__N_18offset_tEEE10hipError_tPvRmT1_PNSt15iterator_traitsISH_E10value_typeET2_T3_PNSI_ISN_E10value_typeET4_jRbjT5_ST_jjP12ihipStream_tbEUlT_E1_NS1_11comp_targetILNS1_3genE10ELNS1_11target_archE1201ELNS1_3gpuE5ELNS1_3repE0EEENS1_59segmented_radix_sort_warp_sort_small_config_static_selectorELNS0_4arch9wavefront6targetE0EEEvSH_,comdat
	.globl	_ZN7rocprim17ROCPRIM_400000_NS6detail17trampoline_kernelINS0_14default_configENS1_36segmented_radix_sort_config_selectorIllEEZNS1_25segmented_radix_sort_implIS3_Lb1EPKlPlS8_S9_N2at6native12_GLOBAL__N_18offset_tEEE10hipError_tPvRmT1_PNSt15iterator_traitsISH_E10value_typeET2_T3_PNSI_ISN_E10value_typeET4_jRbjT5_ST_jjP12ihipStream_tbEUlT_E1_NS1_11comp_targetILNS1_3genE10ELNS1_11target_archE1201ELNS1_3gpuE5ELNS1_3repE0EEENS1_59segmented_radix_sort_warp_sort_small_config_static_selectorELNS0_4arch9wavefront6targetE0EEEvSH_ ; -- Begin function _ZN7rocprim17ROCPRIM_400000_NS6detail17trampoline_kernelINS0_14default_configENS1_36segmented_radix_sort_config_selectorIllEEZNS1_25segmented_radix_sort_implIS3_Lb1EPKlPlS8_S9_N2at6native12_GLOBAL__N_18offset_tEEE10hipError_tPvRmT1_PNSt15iterator_traitsISH_E10value_typeET2_T3_PNSI_ISN_E10value_typeET4_jRbjT5_ST_jjP12ihipStream_tbEUlT_E1_NS1_11comp_targetILNS1_3genE10ELNS1_11target_archE1201ELNS1_3gpuE5ELNS1_3repE0EEENS1_59segmented_radix_sort_warp_sort_small_config_static_selectorELNS0_4arch9wavefront6targetE0EEEvSH_
	.p2align	8
	.type	_ZN7rocprim17ROCPRIM_400000_NS6detail17trampoline_kernelINS0_14default_configENS1_36segmented_radix_sort_config_selectorIllEEZNS1_25segmented_radix_sort_implIS3_Lb1EPKlPlS8_S9_N2at6native12_GLOBAL__N_18offset_tEEE10hipError_tPvRmT1_PNSt15iterator_traitsISH_E10value_typeET2_T3_PNSI_ISN_E10value_typeET4_jRbjT5_ST_jjP12ihipStream_tbEUlT_E1_NS1_11comp_targetILNS1_3genE10ELNS1_11target_archE1201ELNS1_3gpuE5ELNS1_3repE0EEENS1_59segmented_radix_sort_warp_sort_small_config_static_selectorELNS0_4arch9wavefront6targetE0EEEvSH_,@function
_ZN7rocprim17ROCPRIM_400000_NS6detail17trampoline_kernelINS0_14default_configENS1_36segmented_radix_sort_config_selectorIllEEZNS1_25segmented_radix_sort_implIS3_Lb1EPKlPlS8_S9_N2at6native12_GLOBAL__N_18offset_tEEE10hipError_tPvRmT1_PNSt15iterator_traitsISH_E10value_typeET2_T3_PNSI_ISN_E10value_typeET4_jRbjT5_ST_jjP12ihipStream_tbEUlT_E1_NS1_11comp_targetILNS1_3genE10ELNS1_11target_archE1201ELNS1_3gpuE5ELNS1_3repE0EEENS1_59segmented_radix_sort_warp_sort_small_config_static_selectorELNS0_4arch9wavefront6targetE0EEEvSH_: ; @_ZN7rocprim17ROCPRIM_400000_NS6detail17trampoline_kernelINS0_14default_configENS1_36segmented_radix_sort_config_selectorIllEEZNS1_25segmented_radix_sort_implIS3_Lb1EPKlPlS8_S9_N2at6native12_GLOBAL__N_18offset_tEEE10hipError_tPvRmT1_PNSt15iterator_traitsISH_E10value_typeET2_T3_PNSI_ISN_E10value_typeET4_jRbjT5_ST_jjP12ihipStream_tbEUlT_E1_NS1_11comp_targetILNS1_3genE10ELNS1_11target_archE1201ELNS1_3gpuE5ELNS1_3repE0EEENS1_59segmented_radix_sort_warp_sort_small_config_static_selectorELNS0_4arch9wavefront6targetE0EEEvSH_
; %bb.0:
	.section	.rodata,"a",@progbits
	.p2align	6, 0x0
	.amdhsa_kernel _ZN7rocprim17ROCPRIM_400000_NS6detail17trampoline_kernelINS0_14default_configENS1_36segmented_radix_sort_config_selectorIllEEZNS1_25segmented_radix_sort_implIS3_Lb1EPKlPlS8_S9_N2at6native12_GLOBAL__N_18offset_tEEE10hipError_tPvRmT1_PNSt15iterator_traitsISH_E10value_typeET2_T3_PNSI_ISN_E10value_typeET4_jRbjT5_ST_jjP12ihipStream_tbEUlT_E1_NS1_11comp_targetILNS1_3genE10ELNS1_11target_archE1201ELNS1_3gpuE5ELNS1_3repE0EEENS1_59segmented_radix_sort_warp_sort_small_config_static_selectorELNS0_4arch9wavefront6targetE0EEEvSH_
		.amdhsa_group_segment_fixed_size 0
		.amdhsa_private_segment_fixed_size 0
		.amdhsa_kernarg_size 88
		.amdhsa_user_sgpr_count 6
		.amdhsa_user_sgpr_private_segment_buffer 1
		.amdhsa_user_sgpr_dispatch_ptr 0
		.amdhsa_user_sgpr_queue_ptr 0
		.amdhsa_user_sgpr_kernarg_segment_ptr 1
		.amdhsa_user_sgpr_dispatch_id 0
		.amdhsa_user_sgpr_flat_scratch_init 0
		.amdhsa_user_sgpr_private_segment_size 0
		.amdhsa_wavefront_size32 1
		.amdhsa_uses_dynamic_stack 0
		.amdhsa_system_sgpr_private_segment_wavefront_offset 0
		.amdhsa_system_sgpr_workgroup_id_x 1
		.amdhsa_system_sgpr_workgroup_id_y 0
		.amdhsa_system_sgpr_workgroup_id_z 0
		.amdhsa_system_sgpr_workgroup_info 0
		.amdhsa_system_vgpr_workitem_id 0
		.amdhsa_next_free_vgpr 1
		.amdhsa_next_free_sgpr 1
		.amdhsa_reserve_vcc 0
		.amdhsa_reserve_flat_scratch 0
		.amdhsa_float_round_mode_32 0
		.amdhsa_float_round_mode_16_64 0
		.amdhsa_float_denorm_mode_32 3
		.amdhsa_float_denorm_mode_16_64 3
		.amdhsa_dx10_clamp 1
		.amdhsa_ieee_mode 1
		.amdhsa_fp16_overflow 0
		.amdhsa_workgroup_processor_mode 1
		.amdhsa_memory_ordered 1
		.amdhsa_forward_progress 1
		.amdhsa_shared_vgpr_count 0
		.amdhsa_exception_fp_ieee_invalid_op 0
		.amdhsa_exception_fp_denorm_src 0
		.amdhsa_exception_fp_ieee_div_zero 0
		.amdhsa_exception_fp_ieee_overflow 0
		.amdhsa_exception_fp_ieee_underflow 0
		.amdhsa_exception_fp_ieee_inexact 0
		.amdhsa_exception_int_div_zero 0
	.end_amdhsa_kernel
	.section	.text._ZN7rocprim17ROCPRIM_400000_NS6detail17trampoline_kernelINS0_14default_configENS1_36segmented_radix_sort_config_selectorIllEEZNS1_25segmented_radix_sort_implIS3_Lb1EPKlPlS8_S9_N2at6native12_GLOBAL__N_18offset_tEEE10hipError_tPvRmT1_PNSt15iterator_traitsISH_E10value_typeET2_T3_PNSI_ISN_E10value_typeET4_jRbjT5_ST_jjP12ihipStream_tbEUlT_E1_NS1_11comp_targetILNS1_3genE10ELNS1_11target_archE1201ELNS1_3gpuE5ELNS1_3repE0EEENS1_59segmented_radix_sort_warp_sort_small_config_static_selectorELNS0_4arch9wavefront6targetE0EEEvSH_,"axG",@progbits,_ZN7rocprim17ROCPRIM_400000_NS6detail17trampoline_kernelINS0_14default_configENS1_36segmented_radix_sort_config_selectorIllEEZNS1_25segmented_radix_sort_implIS3_Lb1EPKlPlS8_S9_N2at6native12_GLOBAL__N_18offset_tEEE10hipError_tPvRmT1_PNSt15iterator_traitsISH_E10value_typeET2_T3_PNSI_ISN_E10value_typeET4_jRbjT5_ST_jjP12ihipStream_tbEUlT_E1_NS1_11comp_targetILNS1_3genE10ELNS1_11target_archE1201ELNS1_3gpuE5ELNS1_3repE0EEENS1_59segmented_radix_sort_warp_sort_small_config_static_selectorELNS0_4arch9wavefront6targetE0EEEvSH_,comdat
.Lfunc_end723:
	.size	_ZN7rocprim17ROCPRIM_400000_NS6detail17trampoline_kernelINS0_14default_configENS1_36segmented_radix_sort_config_selectorIllEEZNS1_25segmented_radix_sort_implIS3_Lb1EPKlPlS8_S9_N2at6native12_GLOBAL__N_18offset_tEEE10hipError_tPvRmT1_PNSt15iterator_traitsISH_E10value_typeET2_T3_PNSI_ISN_E10value_typeET4_jRbjT5_ST_jjP12ihipStream_tbEUlT_E1_NS1_11comp_targetILNS1_3genE10ELNS1_11target_archE1201ELNS1_3gpuE5ELNS1_3repE0EEENS1_59segmented_radix_sort_warp_sort_small_config_static_selectorELNS0_4arch9wavefront6targetE0EEEvSH_, .Lfunc_end723-_ZN7rocprim17ROCPRIM_400000_NS6detail17trampoline_kernelINS0_14default_configENS1_36segmented_radix_sort_config_selectorIllEEZNS1_25segmented_radix_sort_implIS3_Lb1EPKlPlS8_S9_N2at6native12_GLOBAL__N_18offset_tEEE10hipError_tPvRmT1_PNSt15iterator_traitsISH_E10value_typeET2_T3_PNSI_ISN_E10value_typeET4_jRbjT5_ST_jjP12ihipStream_tbEUlT_E1_NS1_11comp_targetILNS1_3genE10ELNS1_11target_archE1201ELNS1_3gpuE5ELNS1_3repE0EEENS1_59segmented_radix_sort_warp_sort_small_config_static_selectorELNS0_4arch9wavefront6targetE0EEEvSH_
                                        ; -- End function
	.set _ZN7rocprim17ROCPRIM_400000_NS6detail17trampoline_kernelINS0_14default_configENS1_36segmented_radix_sort_config_selectorIllEEZNS1_25segmented_radix_sort_implIS3_Lb1EPKlPlS8_S9_N2at6native12_GLOBAL__N_18offset_tEEE10hipError_tPvRmT1_PNSt15iterator_traitsISH_E10value_typeET2_T3_PNSI_ISN_E10value_typeET4_jRbjT5_ST_jjP12ihipStream_tbEUlT_E1_NS1_11comp_targetILNS1_3genE10ELNS1_11target_archE1201ELNS1_3gpuE5ELNS1_3repE0EEENS1_59segmented_radix_sort_warp_sort_small_config_static_selectorELNS0_4arch9wavefront6targetE0EEEvSH_.num_vgpr, 0
	.set _ZN7rocprim17ROCPRIM_400000_NS6detail17trampoline_kernelINS0_14default_configENS1_36segmented_radix_sort_config_selectorIllEEZNS1_25segmented_radix_sort_implIS3_Lb1EPKlPlS8_S9_N2at6native12_GLOBAL__N_18offset_tEEE10hipError_tPvRmT1_PNSt15iterator_traitsISH_E10value_typeET2_T3_PNSI_ISN_E10value_typeET4_jRbjT5_ST_jjP12ihipStream_tbEUlT_E1_NS1_11comp_targetILNS1_3genE10ELNS1_11target_archE1201ELNS1_3gpuE5ELNS1_3repE0EEENS1_59segmented_radix_sort_warp_sort_small_config_static_selectorELNS0_4arch9wavefront6targetE0EEEvSH_.num_agpr, 0
	.set _ZN7rocprim17ROCPRIM_400000_NS6detail17trampoline_kernelINS0_14default_configENS1_36segmented_radix_sort_config_selectorIllEEZNS1_25segmented_radix_sort_implIS3_Lb1EPKlPlS8_S9_N2at6native12_GLOBAL__N_18offset_tEEE10hipError_tPvRmT1_PNSt15iterator_traitsISH_E10value_typeET2_T3_PNSI_ISN_E10value_typeET4_jRbjT5_ST_jjP12ihipStream_tbEUlT_E1_NS1_11comp_targetILNS1_3genE10ELNS1_11target_archE1201ELNS1_3gpuE5ELNS1_3repE0EEENS1_59segmented_radix_sort_warp_sort_small_config_static_selectorELNS0_4arch9wavefront6targetE0EEEvSH_.numbered_sgpr, 0
	.set _ZN7rocprim17ROCPRIM_400000_NS6detail17trampoline_kernelINS0_14default_configENS1_36segmented_radix_sort_config_selectorIllEEZNS1_25segmented_radix_sort_implIS3_Lb1EPKlPlS8_S9_N2at6native12_GLOBAL__N_18offset_tEEE10hipError_tPvRmT1_PNSt15iterator_traitsISH_E10value_typeET2_T3_PNSI_ISN_E10value_typeET4_jRbjT5_ST_jjP12ihipStream_tbEUlT_E1_NS1_11comp_targetILNS1_3genE10ELNS1_11target_archE1201ELNS1_3gpuE5ELNS1_3repE0EEENS1_59segmented_radix_sort_warp_sort_small_config_static_selectorELNS0_4arch9wavefront6targetE0EEEvSH_.num_named_barrier, 0
	.set _ZN7rocprim17ROCPRIM_400000_NS6detail17trampoline_kernelINS0_14default_configENS1_36segmented_radix_sort_config_selectorIllEEZNS1_25segmented_radix_sort_implIS3_Lb1EPKlPlS8_S9_N2at6native12_GLOBAL__N_18offset_tEEE10hipError_tPvRmT1_PNSt15iterator_traitsISH_E10value_typeET2_T3_PNSI_ISN_E10value_typeET4_jRbjT5_ST_jjP12ihipStream_tbEUlT_E1_NS1_11comp_targetILNS1_3genE10ELNS1_11target_archE1201ELNS1_3gpuE5ELNS1_3repE0EEENS1_59segmented_radix_sort_warp_sort_small_config_static_selectorELNS0_4arch9wavefront6targetE0EEEvSH_.private_seg_size, 0
	.set _ZN7rocprim17ROCPRIM_400000_NS6detail17trampoline_kernelINS0_14default_configENS1_36segmented_radix_sort_config_selectorIllEEZNS1_25segmented_radix_sort_implIS3_Lb1EPKlPlS8_S9_N2at6native12_GLOBAL__N_18offset_tEEE10hipError_tPvRmT1_PNSt15iterator_traitsISH_E10value_typeET2_T3_PNSI_ISN_E10value_typeET4_jRbjT5_ST_jjP12ihipStream_tbEUlT_E1_NS1_11comp_targetILNS1_3genE10ELNS1_11target_archE1201ELNS1_3gpuE5ELNS1_3repE0EEENS1_59segmented_radix_sort_warp_sort_small_config_static_selectorELNS0_4arch9wavefront6targetE0EEEvSH_.uses_vcc, 0
	.set _ZN7rocprim17ROCPRIM_400000_NS6detail17trampoline_kernelINS0_14default_configENS1_36segmented_radix_sort_config_selectorIllEEZNS1_25segmented_radix_sort_implIS3_Lb1EPKlPlS8_S9_N2at6native12_GLOBAL__N_18offset_tEEE10hipError_tPvRmT1_PNSt15iterator_traitsISH_E10value_typeET2_T3_PNSI_ISN_E10value_typeET4_jRbjT5_ST_jjP12ihipStream_tbEUlT_E1_NS1_11comp_targetILNS1_3genE10ELNS1_11target_archE1201ELNS1_3gpuE5ELNS1_3repE0EEENS1_59segmented_radix_sort_warp_sort_small_config_static_selectorELNS0_4arch9wavefront6targetE0EEEvSH_.uses_flat_scratch, 0
	.set _ZN7rocprim17ROCPRIM_400000_NS6detail17trampoline_kernelINS0_14default_configENS1_36segmented_radix_sort_config_selectorIllEEZNS1_25segmented_radix_sort_implIS3_Lb1EPKlPlS8_S9_N2at6native12_GLOBAL__N_18offset_tEEE10hipError_tPvRmT1_PNSt15iterator_traitsISH_E10value_typeET2_T3_PNSI_ISN_E10value_typeET4_jRbjT5_ST_jjP12ihipStream_tbEUlT_E1_NS1_11comp_targetILNS1_3genE10ELNS1_11target_archE1201ELNS1_3gpuE5ELNS1_3repE0EEENS1_59segmented_radix_sort_warp_sort_small_config_static_selectorELNS0_4arch9wavefront6targetE0EEEvSH_.has_dyn_sized_stack, 0
	.set _ZN7rocprim17ROCPRIM_400000_NS6detail17trampoline_kernelINS0_14default_configENS1_36segmented_radix_sort_config_selectorIllEEZNS1_25segmented_radix_sort_implIS3_Lb1EPKlPlS8_S9_N2at6native12_GLOBAL__N_18offset_tEEE10hipError_tPvRmT1_PNSt15iterator_traitsISH_E10value_typeET2_T3_PNSI_ISN_E10value_typeET4_jRbjT5_ST_jjP12ihipStream_tbEUlT_E1_NS1_11comp_targetILNS1_3genE10ELNS1_11target_archE1201ELNS1_3gpuE5ELNS1_3repE0EEENS1_59segmented_radix_sort_warp_sort_small_config_static_selectorELNS0_4arch9wavefront6targetE0EEEvSH_.has_recursion, 0
	.set _ZN7rocprim17ROCPRIM_400000_NS6detail17trampoline_kernelINS0_14default_configENS1_36segmented_radix_sort_config_selectorIllEEZNS1_25segmented_radix_sort_implIS3_Lb1EPKlPlS8_S9_N2at6native12_GLOBAL__N_18offset_tEEE10hipError_tPvRmT1_PNSt15iterator_traitsISH_E10value_typeET2_T3_PNSI_ISN_E10value_typeET4_jRbjT5_ST_jjP12ihipStream_tbEUlT_E1_NS1_11comp_targetILNS1_3genE10ELNS1_11target_archE1201ELNS1_3gpuE5ELNS1_3repE0EEENS1_59segmented_radix_sort_warp_sort_small_config_static_selectorELNS0_4arch9wavefront6targetE0EEEvSH_.has_indirect_call, 0
	.section	.AMDGPU.csdata,"",@progbits
; Kernel info:
; codeLenInByte = 0
; TotalNumSgprs: 0
; NumVgprs: 0
; ScratchSize: 0
; MemoryBound: 0
; FloatMode: 240
; IeeeMode: 1
; LDSByteSize: 0 bytes/workgroup (compile time only)
; SGPRBlocks: 0
; VGPRBlocks: 0
; NumSGPRsForWavesPerEU: 1
; NumVGPRsForWavesPerEU: 1
; Occupancy: 16
; WaveLimiterHint : 0
; COMPUTE_PGM_RSRC2:SCRATCH_EN: 0
; COMPUTE_PGM_RSRC2:USER_SGPR: 6
; COMPUTE_PGM_RSRC2:TRAP_HANDLER: 0
; COMPUTE_PGM_RSRC2:TGID_X_EN: 1
; COMPUTE_PGM_RSRC2:TGID_Y_EN: 0
; COMPUTE_PGM_RSRC2:TGID_Z_EN: 0
; COMPUTE_PGM_RSRC2:TIDIG_COMP_CNT: 0
	.section	.text._ZN7rocprim17ROCPRIM_400000_NS6detail17trampoline_kernelINS0_14default_configENS1_36segmented_radix_sort_config_selectorIllEEZNS1_25segmented_radix_sort_implIS3_Lb1EPKlPlS8_S9_N2at6native12_GLOBAL__N_18offset_tEEE10hipError_tPvRmT1_PNSt15iterator_traitsISH_E10value_typeET2_T3_PNSI_ISN_E10value_typeET4_jRbjT5_ST_jjP12ihipStream_tbEUlT_E1_NS1_11comp_targetILNS1_3genE10ELNS1_11target_archE1200ELNS1_3gpuE4ELNS1_3repE0EEENS1_59segmented_radix_sort_warp_sort_small_config_static_selectorELNS0_4arch9wavefront6targetE0EEEvSH_,"axG",@progbits,_ZN7rocprim17ROCPRIM_400000_NS6detail17trampoline_kernelINS0_14default_configENS1_36segmented_radix_sort_config_selectorIllEEZNS1_25segmented_radix_sort_implIS3_Lb1EPKlPlS8_S9_N2at6native12_GLOBAL__N_18offset_tEEE10hipError_tPvRmT1_PNSt15iterator_traitsISH_E10value_typeET2_T3_PNSI_ISN_E10value_typeET4_jRbjT5_ST_jjP12ihipStream_tbEUlT_E1_NS1_11comp_targetILNS1_3genE10ELNS1_11target_archE1200ELNS1_3gpuE4ELNS1_3repE0EEENS1_59segmented_radix_sort_warp_sort_small_config_static_selectorELNS0_4arch9wavefront6targetE0EEEvSH_,comdat
	.globl	_ZN7rocprim17ROCPRIM_400000_NS6detail17trampoline_kernelINS0_14default_configENS1_36segmented_radix_sort_config_selectorIllEEZNS1_25segmented_radix_sort_implIS3_Lb1EPKlPlS8_S9_N2at6native12_GLOBAL__N_18offset_tEEE10hipError_tPvRmT1_PNSt15iterator_traitsISH_E10value_typeET2_T3_PNSI_ISN_E10value_typeET4_jRbjT5_ST_jjP12ihipStream_tbEUlT_E1_NS1_11comp_targetILNS1_3genE10ELNS1_11target_archE1200ELNS1_3gpuE4ELNS1_3repE0EEENS1_59segmented_radix_sort_warp_sort_small_config_static_selectorELNS0_4arch9wavefront6targetE0EEEvSH_ ; -- Begin function _ZN7rocprim17ROCPRIM_400000_NS6detail17trampoline_kernelINS0_14default_configENS1_36segmented_radix_sort_config_selectorIllEEZNS1_25segmented_radix_sort_implIS3_Lb1EPKlPlS8_S9_N2at6native12_GLOBAL__N_18offset_tEEE10hipError_tPvRmT1_PNSt15iterator_traitsISH_E10value_typeET2_T3_PNSI_ISN_E10value_typeET4_jRbjT5_ST_jjP12ihipStream_tbEUlT_E1_NS1_11comp_targetILNS1_3genE10ELNS1_11target_archE1200ELNS1_3gpuE4ELNS1_3repE0EEENS1_59segmented_radix_sort_warp_sort_small_config_static_selectorELNS0_4arch9wavefront6targetE0EEEvSH_
	.p2align	8
	.type	_ZN7rocprim17ROCPRIM_400000_NS6detail17trampoline_kernelINS0_14default_configENS1_36segmented_radix_sort_config_selectorIllEEZNS1_25segmented_radix_sort_implIS3_Lb1EPKlPlS8_S9_N2at6native12_GLOBAL__N_18offset_tEEE10hipError_tPvRmT1_PNSt15iterator_traitsISH_E10value_typeET2_T3_PNSI_ISN_E10value_typeET4_jRbjT5_ST_jjP12ihipStream_tbEUlT_E1_NS1_11comp_targetILNS1_3genE10ELNS1_11target_archE1200ELNS1_3gpuE4ELNS1_3repE0EEENS1_59segmented_radix_sort_warp_sort_small_config_static_selectorELNS0_4arch9wavefront6targetE0EEEvSH_,@function
_ZN7rocprim17ROCPRIM_400000_NS6detail17trampoline_kernelINS0_14default_configENS1_36segmented_radix_sort_config_selectorIllEEZNS1_25segmented_radix_sort_implIS3_Lb1EPKlPlS8_S9_N2at6native12_GLOBAL__N_18offset_tEEE10hipError_tPvRmT1_PNSt15iterator_traitsISH_E10value_typeET2_T3_PNSI_ISN_E10value_typeET4_jRbjT5_ST_jjP12ihipStream_tbEUlT_E1_NS1_11comp_targetILNS1_3genE10ELNS1_11target_archE1200ELNS1_3gpuE4ELNS1_3repE0EEENS1_59segmented_radix_sort_warp_sort_small_config_static_selectorELNS0_4arch9wavefront6targetE0EEEvSH_: ; @_ZN7rocprim17ROCPRIM_400000_NS6detail17trampoline_kernelINS0_14default_configENS1_36segmented_radix_sort_config_selectorIllEEZNS1_25segmented_radix_sort_implIS3_Lb1EPKlPlS8_S9_N2at6native12_GLOBAL__N_18offset_tEEE10hipError_tPvRmT1_PNSt15iterator_traitsISH_E10value_typeET2_T3_PNSI_ISN_E10value_typeET4_jRbjT5_ST_jjP12ihipStream_tbEUlT_E1_NS1_11comp_targetILNS1_3genE10ELNS1_11target_archE1200ELNS1_3gpuE4ELNS1_3repE0EEENS1_59segmented_radix_sort_warp_sort_small_config_static_selectorELNS0_4arch9wavefront6targetE0EEEvSH_
; %bb.0:
	.section	.rodata,"a",@progbits
	.p2align	6, 0x0
	.amdhsa_kernel _ZN7rocprim17ROCPRIM_400000_NS6detail17trampoline_kernelINS0_14default_configENS1_36segmented_radix_sort_config_selectorIllEEZNS1_25segmented_radix_sort_implIS3_Lb1EPKlPlS8_S9_N2at6native12_GLOBAL__N_18offset_tEEE10hipError_tPvRmT1_PNSt15iterator_traitsISH_E10value_typeET2_T3_PNSI_ISN_E10value_typeET4_jRbjT5_ST_jjP12ihipStream_tbEUlT_E1_NS1_11comp_targetILNS1_3genE10ELNS1_11target_archE1200ELNS1_3gpuE4ELNS1_3repE0EEENS1_59segmented_radix_sort_warp_sort_small_config_static_selectorELNS0_4arch9wavefront6targetE0EEEvSH_
		.amdhsa_group_segment_fixed_size 0
		.amdhsa_private_segment_fixed_size 0
		.amdhsa_kernarg_size 88
		.amdhsa_user_sgpr_count 6
		.amdhsa_user_sgpr_private_segment_buffer 1
		.amdhsa_user_sgpr_dispatch_ptr 0
		.amdhsa_user_sgpr_queue_ptr 0
		.amdhsa_user_sgpr_kernarg_segment_ptr 1
		.amdhsa_user_sgpr_dispatch_id 0
		.amdhsa_user_sgpr_flat_scratch_init 0
		.amdhsa_user_sgpr_private_segment_size 0
		.amdhsa_wavefront_size32 1
		.amdhsa_uses_dynamic_stack 0
		.amdhsa_system_sgpr_private_segment_wavefront_offset 0
		.amdhsa_system_sgpr_workgroup_id_x 1
		.amdhsa_system_sgpr_workgroup_id_y 0
		.amdhsa_system_sgpr_workgroup_id_z 0
		.amdhsa_system_sgpr_workgroup_info 0
		.amdhsa_system_vgpr_workitem_id 0
		.amdhsa_next_free_vgpr 1
		.amdhsa_next_free_sgpr 1
		.amdhsa_reserve_vcc 0
		.amdhsa_reserve_flat_scratch 0
		.amdhsa_float_round_mode_32 0
		.amdhsa_float_round_mode_16_64 0
		.amdhsa_float_denorm_mode_32 3
		.amdhsa_float_denorm_mode_16_64 3
		.amdhsa_dx10_clamp 1
		.amdhsa_ieee_mode 1
		.amdhsa_fp16_overflow 0
		.amdhsa_workgroup_processor_mode 1
		.amdhsa_memory_ordered 1
		.amdhsa_forward_progress 1
		.amdhsa_shared_vgpr_count 0
		.amdhsa_exception_fp_ieee_invalid_op 0
		.amdhsa_exception_fp_denorm_src 0
		.amdhsa_exception_fp_ieee_div_zero 0
		.amdhsa_exception_fp_ieee_overflow 0
		.amdhsa_exception_fp_ieee_underflow 0
		.amdhsa_exception_fp_ieee_inexact 0
		.amdhsa_exception_int_div_zero 0
	.end_amdhsa_kernel
	.section	.text._ZN7rocprim17ROCPRIM_400000_NS6detail17trampoline_kernelINS0_14default_configENS1_36segmented_radix_sort_config_selectorIllEEZNS1_25segmented_radix_sort_implIS3_Lb1EPKlPlS8_S9_N2at6native12_GLOBAL__N_18offset_tEEE10hipError_tPvRmT1_PNSt15iterator_traitsISH_E10value_typeET2_T3_PNSI_ISN_E10value_typeET4_jRbjT5_ST_jjP12ihipStream_tbEUlT_E1_NS1_11comp_targetILNS1_3genE10ELNS1_11target_archE1200ELNS1_3gpuE4ELNS1_3repE0EEENS1_59segmented_radix_sort_warp_sort_small_config_static_selectorELNS0_4arch9wavefront6targetE0EEEvSH_,"axG",@progbits,_ZN7rocprim17ROCPRIM_400000_NS6detail17trampoline_kernelINS0_14default_configENS1_36segmented_radix_sort_config_selectorIllEEZNS1_25segmented_radix_sort_implIS3_Lb1EPKlPlS8_S9_N2at6native12_GLOBAL__N_18offset_tEEE10hipError_tPvRmT1_PNSt15iterator_traitsISH_E10value_typeET2_T3_PNSI_ISN_E10value_typeET4_jRbjT5_ST_jjP12ihipStream_tbEUlT_E1_NS1_11comp_targetILNS1_3genE10ELNS1_11target_archE1200ELNS1_3gpuE4ELNS1_3repE0EEENS1_59segmented_radix_sort_warp_sort_small_config_static_selectorELNS0_4arch9wavefront6targetE0EEEvSH_,comdat
.Lfunc_end724:
	.size	_ZN7rocprim17ROCPRIM_400000_NS6detail17trampoline_kernelINS0_14default_configENS1_36segmented_radix_sort_config_selectorIllEEZNS1_25segmented_radix_sort_implIS3_Lb1EPKlPlS8_S9_N2at6native12_GLOBAL__N_18offset_tEEE10hipError_tPvRmT1_PNSt15iterator_traitsISH_E10value_typeET2_T3_PNSI_ISN_E10value_typeET4_jRbjT5_ST_jjP12ihipStream_tbEUlT_E1_NS1_11comp_targetILNS1_3genE10ELNS1_11target_archE1200ELNS1_3gpuE4ELNS1_3repE0EEENS1_59segmented_radix_sort_warp_sort_small_config_static_selectorELNS0_4arch9wavefront6targetE0EEEvSH_, .Lfunc_end724-_ZN7rocprim17ROCPRIM_400000_NS6detail17trampoline_kernelINS0_14default_configENS1_36segmented_radix_sort_config_selectorIllEEZNS1_25segmented_radix_sort_implIS3_Lb1EPKlPlS8_S9_N2at6native12_GLOBAL__N_18offset_tEEE10hipError_tPvRmT1_PNSt15iterator_traitsISH_E10value_typeET2_T3_PNSI_ISN_E10value_typeET4_jRbjT5_ST_jjP12ihipStream_tbEUlT_E1_NS1_11comp_targetILNS1_3genE10ELNS1_11target_archE1200ELNS1_3gpuE4ELNS1_3repE0EEENS1_59segmented_radix_sort_warp_sort_small_config_static_selectorELNS0_4arch9wavefront6targetE0EEEvSH_
                                        ; -- End function
	.set _ZN7rocprim17ROCPRIM_400000_NS6detail17trampoline_kernelINS0_14default_configENS1_36segmented_radix_sort_config_selectorIllEEZNS1_25segmented_radix_sort_implIS3_Lb1EPKlPlS8_S9_N2at6native12_GLOBAL__N_18offset_tEEE10hipError_tPvRmT1_PNSt15iterator_traitsISH_E10value_typeET2_T3_PNSI_ISN_E10value_typeET4_jRbjT5_ST_jjP12ihipStream_tbEUlT_E1_NS1_11comp_targetILNS1_3genE10ELNS1_11target_archE1200ELNS1_3gpuE4ELNS1_3repE0EEENS1_59segmented_radix_sort_warp_sort_small_config_static_selectorELNS0_4arch9wavefront6targetE0EEEvSH_.num_vgpr, 0
	.set _ZN7rocprim17ROCPRIM_400000_NS6detail17trampoline_kernelINS0_14default_configENS1_36segmented_radix_sort_config_selectorIllEEZNS1_25segmented_radix_sort_implIS3_Lb1EPKlPlS8_S9_N2at6native12_GLOBAL__N_18offset_tEEE10hipError_tPvRmT1_PNSt15iterator_traitsISH_E10value_typeET2_T3_PNSI_ISN_E10value_typeET4_jRbjT5_ST_jjP12ihipStream_tbEUlT_E1_NS1_11comp_targetILNS1_3genE10ELNS1_11target_archE1200ELNS1_3gpuE4ELNS1_3repE0EEENS1_59segmented_radix_sort_warp_sort_small_config_static_selectorELNS0_4arch9wavefront6targetE0EEEvSH_.num_agpr, 0
	.set _ZN7rocprim17ROCPRIM_400000_NS6detail17trampoline_kernelINS0_14default_configENS1_36segmented_radix_sort_config_selectorIllEEZNS1_25segmented_radix_sort_implIS3_Lb1EPKlPlS8_S9_N2at6native12_GLOBAL__N_18offset_tEEE10hipError_tPvRmT1_PNSt15iterator_traitsISH_E10value_typeET2_T3_PNSI_ISN_E10value_typeET4_jRbjT5_ST_jjP12ihipStream_tbEUlT_E1_NS1_11comp_targetILNS1_3genE10ELNS1_11target_archE1200ELNS1_3gpuE4ELNS1_3repE0EEENS1_59segmented_radix_sort_warp_sort_small_config_static_selectorELNS0_4arch9wavefront6targetE0EEEvSH_.numbered_sgpr, 0
	.set _ZN7rocprim17ROCPRIM_400000_NS6detail17trampoline_kernelINS0_14default_configENS1_36segmented_radix_sort_config_selectorIllEEZNS1_25segmented_radix_sort_implIS3_Lb1EPKlPlS8_S9_N2at6native12_GLOBAL__N_18offset_tEEE10hipError_tPvRmT1_PNSt15iterator_traitsISH_E10value_typeET2_T3_PNSI_ISN_E10value_typeET4_jRbjT5_ST_jjP12ihipStream_tbEUlT_E1_NS1_11comp_targetILNS1_3genE10ELNS1_11target_archE1200ELNS1_3gpuE4ELNS1_3repE0EEENS1_59segmented_radix_sort_warp_sort_small_config_static_selectorELNS0_4arch9wavefront6targetE0EEEvSH_.num_named_barrier, 0
	.set _ZN7rocprim17ROCPRIM_400000_NS6detail17trampoline_kernelINS0_14default_configENS1_36segmented_radix_sort_config_selectorIllEEZNS1_25segmented_radix_sort_implIS3_Lb1EPKlPlS8_S9_N2at6native12_GLOBAL__N_18offset_tEEE10hipError_tPvRmT1_PNSt15iterator_traitsISH_E10value_typeET2_T3_PNSI_ISN_E10value_typeET4_jRbjT5_ST_jjP12ihipStream_tbEUlT_E1_NS1_11comp_targetILNS1_3genE10ELNS1_11target_archE1200ELNS1_3gpuE4ELNS1_3repE0EEENS1_59segmented_radix_sort_warp_sort_small_config_static_selectorELNS0_4arch9wavefront6targetE0EEEvSH_.private_seg_size, 0
	.set _ZN7rocprim17ROCPRIM_400000_NS6detail17trampoline_kernelINS0_14default_configENS1_36segmented_radix_sort_config_selectorIllEEZNS1_25segmented_radix_sort_implIS3_Lb1EPKlPlS8_S9_N2at6native12_GLOBAL__N_18offset_tEEE10hipError_tPvRmT1_PNSt15iterator_traitsISH_E10value_typeET2_T3_PNSI_ISN_E10value_typeET4_jRbjT5_ST_jjP12ihipStream_tbEUlT_E1_NS1_11comp_targetILNS1_3genE10ELNS1_11target_archE1200ELNS1_3gpuE4ELNS1_3repE0EEENS1_59segmented_radix_sort_warp_sort_small_config_static_selectorELNS0_4arch9wavefront6targetE0EEEvSH_.uses_vcc, 0
	.set _ZN7rocprim17ROCPRIM_400000_NS6detail17trampoline_kernelINS0_14default_configENS1_36segmented_radix_sort_config_selectorIllEEZNS1_25segmented_radix_sort_implIS3_Lb1EPKlPlS8_S9_N2at6native12_GLOBAL__N_18offset_tEEE10hipError_tPvRmT1_PNSt15iterator_traitsISH_E10value_typeET2_T3_PNSI_ISN_E10value_typeET4_jRbjT5_ST_jjP12ihipStream_tbEUlT_E1_NS1_11comp_targetILNS1_3genE10ELNS1_11target_archE1200ELNS1_3gpuE4ELNS1_3repE0EEENS1_59segmented_radix_sort_warp_sort_small_config_static_selectorELNS0_4arch9wavefront6targetE0EEEvSH_.uses_flat_scratch, 0
	.set _ZN7rocprim17ROCPRIM_400000_NS6detail17trampoline_kernelINS0_14default_configENS1_36segmented_radix_sort_config_selectorIllEEZNS1_25segmented_radix_sort_implIS3_Lb1EPKlPlS8_S9_N2at6native12_GLOBAL__N_18offset_tEEE10hipError_tPvRmT1_PNSt15iterator_traitsISH_E10value_typeET2_T3_PNSI_ISN_E10value_typeET4_jRbjT5_ST_jjP12ihipStream_tbEUlT_E1_NS1_11comp_targetILNS1_3genE10ELNS1_11target_archE1200ELNS1_3gpuE4ELNS1_3repE0EEENS1_59segmented_radix_sort_warp_sort_small_config_static_selectorELNS0_4arch9wavefront6targetE0EEEvSH_.has_dyn_sized_stack, 0
	.set _ZN7rocprim17ROCPRIM_400000_NS6detail17trampoline_kernelINS0_14default_configENS1_36segmented_radix_sort_config_selectorIllEEZNS1_25segmented_radix_sort_implIS3_Lb1EPKlPlS8_S9_N2at6native12_GLOBAL__N_18offset_tEEE10hipError_tPvRmT1_PNSt15iterator_traitsISH_E10value_typeET2_T3_PNSI_ISN_E10value_typeET4_jRbjT5_ST_jjP12ihipStream_tbEUlT_E1_NS1_11comp_targetILNS1_3genE10ELNS1_11target_archE1200ELNS1_3gpuE4ELNS1_3repE0EEENS1_59segmented_radix_sort_warp_sort_small_config_static_selectorELNS0_4arch9wavefront6targetE0EEEvSH_.has_recursion, 0
	.set _ZN7rocprim17ROCPRIM_400000_NS6detail17trampoline_kernelINS0_14default_configENS1_36segmented_radix_sort_config_selectorIllEEZNS1_25segmented_radix_sort_implIS3_Lb1EPKlPlS8_S9_N2at6native12_GLOBAL__N_18offset_tEEE10hipError_tPvRmT1_PNSt15iterator_traitsISH_E10value_typeET2_T3_PNSI_ISN_E10value_typeET4_jRbjT5_ST_jjP12ihipStream_tbEUlT_E1_NS1_11comp_targetILNS1_3genE10ELNS1_11target_archE1200ELNS1_3gpuE4ELNS1_3repE0EEENS1_59segmented_radix_sort_warp_sort_small_config_static_selectorELNS0_4arch9wavefront6targetE0EEEvSH_.has_indirect_call, 0
	.section	.AMDGPU.csdata,"",@progbits
; Kernel info:
; codeLenInByte = 0
; TotalNumSgprs: 0
; NumVgprs: 0
; ScratchSize: 0
; MemoryBound: 0
; FloatMode: 240
; IeeeMode: 1
; LDSByteSize: 0 bytes/workgroup (compile time only)
; SGPRBlocks: 0
; VGPRBlocks: 0
; NumSGPRsForWavesPerEU: 1
; NumVGPRsForWavesPerEU: 1
; Occupancy: 16
; WaveLimiterHint : 0
; COMPUTE_PGM_RSRC2:SCRATCH_EN: 0
; COMPUTE_PGM_RSRC2:USER_SGPR: 6
; COMPUTE_PGM_RSRC2:TRAP_HANDLER: 0
; COMPUTE_PGM_RSRC2:TGID_X_EN: 1
; COMPUTE_PGM_RSRC2:TGID_Y_EN: 0
; COMPUTE_PGM_RSRC2:TGID_Z_EN: 0
; COMPUTE_PGM_RSRC2:TIDIG_COMP_CNT: 0
	.section	.text._ZN7rocprim17ROCPRIM_400000_NS6detail17trampoline_kernelINS0_14default_configENS1_36segmented_radix_sort_config_selectorIllEEZNS1_25segmented_radix_sort_implIS3_Lb1EPKlPlS8_S9_N2at6native12_GLOBAL__N_18offset_tEEE10hipError_tPvRmT1_PNSt15iterator_traitsISH_E10value_typeET2_T3_PNSI_ISN_E10value_typeET4_jRbjT5_ST_jjP12ihipStream_tbEUlT_E1_NS1_11comp_targetILNS1_3genE9ELNS1_11target_archE1100ELNS1_3gpuE3ELNS1_3repE0EEENS1_59segmented_radix_sort_warp_sort_small_config_static_selectorELNS0_4arch9wavefront6targetE0EEEvSH_,"axG",@progbits,_ZN7rocprim17ROCPRIM_400000_NS6detail17trampoline_kernelINS0_14default_configENS1_36segmented_radix_sort_config_selectorIllEEZNS1_25segmented_radix_sort_implIS3_Lb1EPKlPlS8_S9_N2at6native12_GLOBAL__N_18offset_tEEE10hipError_tPvRmT1_PNSt15iterator_traitsISH_E10value_typeET2_T3_PNSI_ISN_E10value_typeET4_jRbjT5_ST_jjP12ihipStream_tbEUlT_E1_NS1_11comp_targetILNS1_3genE9ELNS1_11target_archE1100ELNS1_3gpuE3ELNS1_3repE0EEENS1_59segmented_radix_sort_warp_sort_small_config_static_selectorELNS0_4arch9wavefront6targetE0EEEvSH_,comdat
	.globl	_ZN7rocprim17ROCPRIM_400000_NS6detail17trampoline_kernelINS0_14default_configENS1_36segmented_radix_sort_config_selectorIllEEZNS1_25segmented_radix_sort_implIS3_Lb1EPKlPlS8_S9_N2at6native12_GLOBAL__N_18offset_tEEE10hipError_tPvRmT1_PNSt15iterator_traitsISH_E10value_typeET2_T3_PNSI_ISN_E10value_typeET4_jRbjT5_ST_jjP12ihipStream_tbEUlT_E1_NS1_11comp_targetILNS1_3genE9ELNS1_11target_archE1100ELNS1_3gpuE3ELNS1_3repE0EEENS1_59segmented_radix_sort_warp_sort_small_config_static_selectorELNS0_4arch9wavefront6targetE0EEEvSH_ ; -- Begin function _ZN7rocprim17ROCPRIM_400000_NS6detail17trampoline_kernelINS0_14default_configENS1_36segmented_radix_sort_config_selectorIllEEZNS1_25segmented_radix_sort_implIS3_Lb1EPKlPlS8_S9_N2at6native12_GLOBAL__N_18offset_tEEE10hipError_tPvRmT1_PNSt15iterator_traitsISH_E10value_typeET2_T3_PNSI_ISN_E10value_typeET4_jRbjT5_ST_jjP12ihipStream_tbEUlT_E1_NS1_11comp_targetILNS1_3genE9ELNS1_11target_archE1100ELNS1_3gpuE3ELNS1_3repE0EEENS1_59segmented_radix_sort_warp_sort_small_config_static_selectorELNS0_4arch9wavefront6targetE0EEEvSH_
	.p2align	8
	.type	_ZN7rocprim17ROCPRIM_400000_NS6detail17trampoline_kernelINS0_14default_configENS1_36segmented_radix_sort_config_selectorIllEEZNS1_25segmented_radix_sort_implIS3_Lb1EPKlPlS8_S9_N2at6native12_GLOBAL__N_18offset_tEEE10hipError_tPvRmT1_PNSt15iterator_traitsISH_E10value_typeET2_T3_PNSI_ISN_E10value_typeET4_jRbjT5_ST_jjP12ihipStream_tbEUlT_E1_NS1_11comp_targetILNS1_3genE9ELNS1_11target_archE1100ELNS1_3gpuE3ELNS1_3repE0EEENS1_59segmented_radix_sort_warp_sort_small_config_static_selectorELNS0_4arch9wavefront6targetE0EEEvSH_,@function
_ZN7rocprim17ROCPRIM_400000_NS6detail17trampoline_kernelINS0_14default_configENS1_36segmented_radix_sort_config_selectorIllEEZNS1_25segmented_radix_sort_implIS3_Lb1EPKlPlS8_S9_N2at6native12_GLOBAL__N_18offset_tEEE10hipError_tPvRmT1_PNSt15iterator_traitsISH_E10value_typeET2_T3_PNSI_ISN_E10value_typeET4_jRbjT5_ST_jjP12ihipStream_tbEUlT_E1_NS1_11comp_targetILNS1_3genE9ELNS1_11target_archE1100ELNS1_3gpuE3ELNS1_3repE0EEENS1_59segmented_radix_sort_warp_sort_small_config_static_selectorELNS0_4arch9wavefront6targetE0EEEvSH_: ; @_ZN7rocprim17ROCPRIM_400000_NS6detail17trampoline_kernelINS0_14default_configENS1_36segmented_radix_sort_config_selectorIllEEZNS1_25segmented_radix_sort_implIS3_Lb1EPKlPlS8_S9_N2at6native12_GLOBAL__N_18offset_tEEE10hipError_tPvRmT1_PNSt15iterator_traitsISH_E10value_typeET2_T3_PNSI_ISN_E10value_typeET4_jRbjT5_ST_jjP12ihipStream_tbEUlT_E1_NS1_11comp_targetILNS1_3genE9ELNS1_11target_archE1100ELNS1_3gpuE3ELNS1_3repE0EEENS1_59segmented_radix_sort_warp_sort_small_config_static_selectorELNS0_4arch9wavefront6targetE0EEEvSH_
; %bb.0:
	.section	.rodata,"a",@progbits
	.p2align	6, 0x0
	.amdhsa_kernel _ZN7rocprim17ROCPRIM_400000_NS6detail17trampoline_kernelINS0_14default_configENS1_36segmented_radix_sort_config_selectorIllEEZNS1_25segmented_radix_sort_implIS3_Lb1EPKlPlS8_S9_N2at6native12_GLOBAL__N_18offset_tEEE10hipError_tPvRmT1_PNSt15iterator_traitsISH_E10value_typeET2_T3_PNSI_ISN_E10value_typeET4_jRbjT5_ST_jjP12ihipStream_tbEUlT_E1_NS1_11comp_targetILNS1_3genE9ELNS1_11target_archE1100ELNS1_3gpuE3ELNS1_3repE0EEENS1_59segmented_radix_sort_warp_sort_small_config_static_selectorELNS0_4arch9wavefront6targetE0EEEvSH_
		.amdhsa_group_segment_fixed_size 0
		.amdhsa_private_segment_fixed_size 0
		.amdhsa_kernarg_size 88
		.amdhsa_user_sgpr_count 6
		.amdhsa_user_sgpr_private_segment_buffer 1
		.amdhsa_user_sgpr_dispatch_ptr 0
		.amdhsa_user_sgpr_queue_ptr 0
		.amdhsa_user_sgpr_kernarg_segment_ptr 1
		.amdhsa_user_sgpr_dispatch_id 0
		.amdhsa_user_sgpr_flat_scratch_init 0
		.amdhsa_user_sgpr_private_segment_size 0
		.amdhsa_wavefront_size32 1
		.amdhsa_uses_dynamic_stack 0
		.amdhsa_system_sgpr_private_segment_wavefront_offset 0
		.amdhsa_system_sgpr_workgroup_id_x 1
		.amdhsa_system_sgpr_workgroup_id_y 0
		.amdhsa_system_sgpr_workgroup_id_z 0
		.amdhsa_system_sgpr_workgroup_info 0
		.amdhsa_system_vgpr_workitem_id 0
		.amdhsa_next_free_vgpr 1
		.amdhsa_next_free_sgpr 1
		.amdhsa_reserve_vcc 0
		.amdhsa_reserve_flat_scratch 0
		.amdhsa_float_round_mode_32 0
		.amdhsa_float_round_mode_16_64 0
		.amdhsa_float_denorm_mode_32 3
		.amdhsa_float_denorm_mode_16_64 3
		.amdhsa_dx10_clamp 1
		.amdhsa_ieee_mode 1
		.amdhsa_fp16_overflow 0
		.amdhsa_workgroup_processor_mode 1
		.amdhsa_memory_ordered 1
		.amdhsa_forward_progress 1
		.amdhsa_shared_vgpr_count 0
		.amdhsa_exception_fp_ieee_invalid_op 0
		.amdhsa_exception_fp_denorm_src 0
		.amdhsa_exception_fp_ieee_div_zero 0
		.amdhsa_exception_fp_ieee_overflow 0
		.amdhsa_exception_fp_ieee_underflow 0
		.amdhsa_exception_fp_ieee_inexact 0
		.amdhsa_exception_int_div_zero 0
	.end_amdhsa_kernel
	.section	.text._ZN7rocprim17ROCPRIM_400000_NS6detail17trampoline_kernelINS0_14default_configENS1_36segmented_radix_sort_config_selectorIllEEZNS1_25segmented_radix_sort_implIS3_Lb1EPKlPlS8_S9_N2at6native12_GLOBAL__N_18offset_tEEE10hipError_tPvRmT1_PNSt15iterator_traitsISH_E10value_typeET2_T3_PNSI_ISN_E10value_typeET4_jRbjT5_ST_jjP12ihipStream_tbEUlT_E1_NS1_11comp_targetILNS1_3genE9ELNS1_11target_archE1100ELNS1_3gpuE3ELNS1_3repE0EEENS1_59segmented_radix_sort_warp_sort_small_config_static_selectorELNS0_4arch9wavefront6targetE0EEEvSH_,"axG",@progbits,_ZN7rocprim17ROCPRIM_400000_NS6detail17trampoline_kernelINS0_14default_configENS1_36segmented_radix_sort_config_selectorIllEEZNS1_25segmented_radix_sort_implIS3_Lb1EPKlPlS8_S9_N2at6native12_GLOBAL__N_18offset_tEEE10hipError_tPvRmT1_PNSt15iterator_traitsISH_E10value_typeET2_T3_PNSI_ISN_E10value_typeET4_jRbjT5_ST_jjP12ihipStream_tbEUlT_E1_NS1_11comp_targetILNS1_3genE9ELNS1_11target_archE1100ELNS1_3gpuE3ELNS1_3repE0EEENS1_59segmented_radix_sort_warp_sort_small_config_static_selectorELNS0_4arch9wavefront6targetE0EEEvSH_,comdat
.Lfunc_end725:
	.size	_ZN7rocprim17ROCPRIM_400000_NS6detail17trampoline_kernelINS0_14default_configENS1_36segmented_radix_sort_config_selectorIllEEZNS1_25segmented_radix_sort_implIS3_Lb1EPKlPlS8_S9_N2at6native12_GLOBAL__N_18offset_tEEE10hipError_tPvRmT1_PNSt15iterator_traitsISH_E10value_typeET2_T3_PNSI_ISN_E10value_typeET4_jRbjT5_ST_jjP12ihipStream_tbEUlT_E1_NS1_11comp_targetILNS1_3genE9ELNS1_11target_archE1100ELNS1_3gpuE3ELNS1_3repE0EEENS1_59segmented_radix_sort_warp_sort_small_config_static_selectorELNS0_4arch9wavefront6targetE0EEEvSH_, .Lfunc_end725-_ZN7rocprim17ROCPRIM_400000_NS6detail17trampoline_kernelINS0_14default_configENS1_36segmented_radix_sort_config_selectorIllEEZNS1_25segmented_radix_sort_implIS3_Lb1EPKlPlS8_S9_N2at6native12_GLOBAL__N_18offset_tEEE10hipError_tPvRmT1_PNSt15iterator_traitsISH_E10value_typeET2_T3_PNSI_ISN_E10value_typeET4_jRbjT5_ST_jjP12ihipStream_tbEUlT_E1_NS1_11comp_targetILNS1_3genE9ELNS1_11target_archE1100ELNS1_3gpuE3ELNS1_3repE0EEENS1_59segmented_radix_sort_warp_sort_small_config_static_selectorELNS0_4arch9wavefront6targetE0EEEvSH_
                                        ; -- End function
	.set _ZN7rocprim17ROCPRIM_400000_NS6detail17trampoline_kernelINS0_14default_configENS1_36segmented_radix_sort_config_selectorIllEEZNS1_25segmented_radix_sort_implIS3_Lb1EPKlPlS8_S9_N2at6native12_GLOBAL__N_18offset_tEEE10hipError_tPvRmT1_PNSt15iterator_traitsISH_E10value_typeET2_T3_PNSI_ISN_E10value_typeET4_jRbjT5_ST_jjP12ihipStream_tbEUlT_E1_NS1_11comp_targetILNS1_3genE9ELNS1_11target_archE1100ELNS1_3gpuE3ELNS1_3repE0EEENS1_59segmented_radix_sort_warp_sort_small_config_static_selectorELNS0_4arch9wavefront6targetE0EEEvSH_.num_vgpr, 0
	.set _ZN7rocprim17ROCPRIM_400000_NS6detail17trampoline_kernelINS0_14default_configENS1_36segmented_radix_sort_config_selectorIllEEZNS1_25segmented_radix_sort_implIS3_Lb1EPKlPlS8_S9_N2at6native12_GLOBAL__N_18offset_tEEE10hipError_tPvRmT1_PNSt15iterator_traitsISH_E10value_typeET2_T3_PNSI_ISN_E10value_typeET4_jRbjT5_ST_jjP12ihipStream_tbEUlT_E1_NS1_11comp_targetILNS1_3genE9ELNS1_11target_archE1100ELNS1_3gpuE3ELNS1_3repE0EEENS1_59segmented_radix_sort_warp_sort_small_config_static_selectorELNS0_4arch9wavefront6targetE0EEEvSH_.num_agpr, 0
	.set _ZN7rocprim17ROCPRIM_400000_NS6detail17trampoline_kernelINS0_14default_configENS1_36segmented_radix_sort_config_selectorIllEEZNS1_25segmented_radix_sort_implIS3_Lb1EPKlPlS8_S9_N2at6native12_GLOBAL__N_18offset_tEEE10hipError_tPvRmT1_PNSt15iterator_traitsISH_E10value_typeET2_T3_PNSI_ISN_E10value_typeET4_jRbjT5_ST_jjP12ihipStream_tbEUlT_E1_NS1_11comp_targetILNS1_3genE9ELNS1_11target_archE1100ELNS1_3gpuE3ELNS1_3repE0EEENS1_59segmented_radix_sort_warp_sort_small_config_static_selectorELNS0_4arch9wavefront6targetE0EEEvSH_.numbered_sgpr, 0
	.set _ZN7rocprim17ROCPRIM_400000_NS6detail17trampoline_kernelINS0_14default_configENS1_36segmented_radix_sort_config_selectorIllEEZNS1_25segmented_radix_sort_implIS3_Lb1EPKlPlS8_S9_N2at6native12_GLOBAL__N_18offset_tEEE10hipError_tPvRmT1_PNSt15iterator_traitsISH_E10value_typeET2_T3_PNSI_ISN_E10value_typeET4_jRbjT5_ST_jjP12ihipStream_tbEUlT_E1_NS1_11comp_targetILNS1_3genE9ELNS1_11target_archE1100ELNS1_3gpuE3ELNS1_3repE0EEENS1_59segmented_radix_sort_warp_sort_small_config_static_selectorELNS0_4arch9wavefront6targetE0EEEvSH_.num_named_barrier, 0
	.set _ZN7rocprim17ROCPRIM_400000_NS6detail17trampoline_kernelINS0_14default_configENS1_36segmented_radix_sort_config_selectorIllEEZNS1_25segmented_radix_sort_implIS3_Lb1EPKlPlS8_S9_N2at6native12_GLOBAL__N_18offset_tEEE10hipError_tPvRmT1_PNSt15iterator_traitsISH_E10value_typeET2_T3_PNSI_ISN_E10value_typeET4_jRbjT5_ST_jjP12ihipStream_tbEUlT_E1_NS1_11comp_targetILNS1_3genE9ELNS1_11target_archE1100ELNS1_3gpuE3ELNS1_3repE0EEENS1_59segmented_radix_sort_warp_sort_small_config_static_selectorELNS0_4arch9wavefront6targetE0EEEvSH_.private_seg_size, 0
	.set _ZN7rocprim17ROCPRIM_400000_NS6detail17trampoline_kernelINS0_14default_configENS1_36segmented_radix_sort_config_selectorIllEEZNS1_25segmented_radix_sort_implIS3_Lb1EPKlPlS8_S9_N2at6native12_GLOBAL__N_18offset_tEEE10hipError_tPvRmT1_PNSt15iterator_traitsISH_E10value_typeET2_T3_PNSI_ISN_E10value_typeET4_jRbjT5_ST_jjP12ihipStream_tbEUlT_E1_NS1_11comp_targetILNS1_3genE9ELNS1_11target_archE1100ELNS1_3gpuE3ELNS1_3repE0EEENS1_59segmented_radix_sort_warp_sort_small_config_static_selectorELNS0_4arch9wavefront6targetE0EEEvSH_.uses_vcc, 0
	.set _ZN7rocprim17ROCPRIM_400000_NS6detail17trampoline_kernelINS0_14default_configENS1_36segmented_radix_sort_config_selectorIllEEZNS1_25segmented_radix_sort_implIS3_Lb1EPKlPlS8_S9_N2at6native12_GLOBAL__N_18offset_tEEE10hipError_tPvRmT1_PNSt15iterator_traitsISH_E10value_typeET2_T3_PNSI_ISN_E10value_typeET4_jRbjT5_ST_jjP12ihipStream_tbEUlT_E1_NS1_11comp_targetILNS1_3genE9ELNS1_11target_archE1100ELNS1_3gpuE3ELNS1_3repE0EEENS1_59segmented_radix_sort_warp_sort_small_config_static_selectorELNS0_4arch9wavefront6targetE0EEEvSH_.uses_flat_scratch, 0
	.set _ZN7rocprim17ROCPRIM_400000_NS6detail17trampoline_kernelINS0_14default_configENS1_36segmented_radix_sort_config_selectorIllEEZNS1_25segmented_radix_sort_implIS3_Lb1EPKlPlS8_S9_N2at6native12_GLOBAL__N_18offset_tEEE10hipError_tPvRmT1_PNSt15iterator_traitsISH_E10value_typeET2_T3_PNSI_ISN_E10value_typeET4_jRbjT5_ST_jjP12ihipStream_tbEUlT_E1_NS1_11comp_targetILNS1_3genE9ELNS1_11target_archE1100ELNS1_3gpuE3ELNS1_3repE0EEENS1_59segmented_radix_sort_warp_sort_small_config_static_selectorELNS0_4arch9wavefront6targetE0EEEvSH_.has_dyn_sized_stack, 0
	.set _ZN7rocprim17ROCPRIM_400000_NS6detail17trampoline_kernelINS0_14default_configENS1_36segmented_radix_sort_config_selectorIllEEZNS1_25segmented_radix_sort_implIS3_Lb1EPKlPlS8_S9_N2at6native12_GLOBAL__N_18offset_tEEE10hipError_tPvRmT1_PNSt15iterator_traitsISH_E10value_typeET2_T3_PNSI_ISN_E10value_typeET4_jRbjT5_ST_jjP12ihipStream_tbEUlT_E1_NS1_11comp_targetILNS1_3genE9ELNS1_11target_archE1100ELNS1_3gpuE3ELNS1_3repE0EEENS1_59segmented_radix_sort_warp_sort_small_config_static_selectorELNS0_4arch9wavefront6targetE0EEEvSH_.has_recursion, 0
	.set _ZN7rocprim17ROCPRIM_400000_NS6detail17trampoline_kernelINS0_14default_configENS1_36segmented_radix_sort_config_selectorIllEEZNS1_25segmented_radix_sort_implIS3_Lb1EPKlPlS8_S9_N2at6native12_GLOBAL__N_18offset_tEEE10hipError_tPvRmT1_PNSt15iterator_traitsISH_E10value_typeET2_T3_PNSI_ISN_E10value_typeET4_jRbjT5_ST_jjP12ihipStream_tbEUlT_E1_NS1_11comp_targetILNS1_3genE9ELNS1_11target_archE1100ELNS1_3gpuE3ELNS1_3repE0EEENS1_59segmented_radix_sort_warp_sort_small_config_static_selectorELNS0_4arch9wavefront6targetE0EEEvSH_.has_indirect_call, 0
	.section	.AMDGPU.csdata,"",@progbits
; Kernel info:
; codeLenInByte = 0
; TotalNumSgprs: 0
; NumVgprs: 0
; ScratchSize: 0
; MemoryBound: 0
; FloatMode: 240
; IeeeMode: 1
; LDSByteSize: 0 bytes/workgroup (compile time only)
; SGPRBlocks: 0
; VGPRBlocks: 0
; NumSGPRsForWavesPerEU: 1
; NumVGPRsForWavesPerEU: 1
; Occupancy: 16
; WaveLimiterHint : 0
; COMPUTE_PGM_RSRC2:SCRATCH_EN: 0
; COMPUTE_PGM_RSRC2:USER_SGPR: 6
; COMPUTE_PGM_RSRC2:TRAP_HANDLER: 0
; COMPUTE_PGM_RSRC2:TGID_X_EN: 1
; COMPUTE_PGM_RSRC2:TGID_Y_EN: 0
; COMPUTE_PGM_RSRC2:TGID_Z_EN: 0
; COMPUTE_PGM_RSRC2:TIDIG_COMP_CNT: 0
	.text
	.p2align	2                               ; -- Begin function _ZN7rocprim17ROCPRIM_400000_NS6detail26segmented_warp_sort_helperINS1_20WarpSortHelperConfigILj16ELj8ELj256EEEllLi256ELb1EvE4sortIPKlPlS8_S9_EEvT_T0_T1_T2_jjjjRNS5_12storage_typeE
	.type	_ZN7rocprim17ROCPRIM_400000_NS6detail26segmented_warp_sort_helperINS1_20WarpSortHelperConfigILj16ELj8ELj256EEEllLi256ELb1EvE4sortIPKlPlS8_S9_EEvT_T0_T1_T2_jjjjRNS5_12storage_typeE,@function
_ZN7rocprim17ROCPRIM_400000_NS6detail26segmented_warp_sort_helperINS1_20WarpSortHelperConfigILj16ELj8ELj256EEEllLi256ELb1EvE4sortIPKlPlS8_S9_EEvT_T0_T1_T2_jjjjRNS5_12storage_typeE: ; @_ZN7rocprim17ROCPRIM_400000_NS6detail26segmented_warp_sort_helperINS1_20WarpSortHelperConfigILj16ELj8ELj256EEEllLi256ELb1EvE4sortIPKlPlS8_S9_EEvT_T0_T1_T2_jjjjRNS5_12storage_typeE
; %bb.0:
	s_waitcnt vmcnt(0) expcnt(0) lgkmcnt(0)
	v_mov_b32_e32 v13, v9
	v_mbcnt_lo_u32_b32 v9, -1, 0
	v_bfrev_b32_e32 v25, 1
	v_sub_nc_u32_e32 v20, v13, v8
	v_lshlrev_b32_e32 v67, 3, v9
	v_mov_b32_e32 v9, 0
	v_and_b32_e32 v66, 0x78, v67
	v_lshlrev_b64 v[14:15], 3, v[8:9]
	v_mov_b32_e32 v24, v9
	v_lshlrev_b32_e32 v13, 3, v66
	v_add_co_u32 v0, vcc_lo, v0, v14
	v_add_co_ci_u32_e64 v1, null, v1, v15, vcc_lo
	v_add_co_u32 v16, vcc_lo, v0, v13
	v_add_co_ci_u32_e64 v17, null, 0, v1, vcc_lo
	v_mov_b32_e32 v0, v24
	v_cmp_lt_u32_e32 vcc_lo, v66, v20
	v_mov_b32_e32 v1, v25
	s_and_saveexec_b32 s4, vcc_lo
	s_cbranch_execz .LBB726_2
; %bb.1:
	flat_load_dwordx2 v[0:1], v[16:17]
.LBB726_2:
	s_or_b32 exec_lo, exec_lo, s4
	v_or_b32_e32 v8, 1, v66
	v_cmp_lt_u32_e64 s4, v8, v20
	s_and_saveexec_b32 s5, s4
	s_cbranch_execz .LBB726_4
; %bb.3:
	flat_load_dwordx2 v[24:25], v[16:17] offset:8
.LBB726_4:
	s_or_b32 exec_lo, exec_lo, s5
	v_mov_b32_e32 v38, 0
	v_or_b32_e32 v8, 2, v66
	v_bfrev_b32_e32 v39, 1
	v_mov_b32_e32 v32, v38
	v_cmp_lt_u32_e64 s5, v8, v20
	v_mov_b32_e32 v33, v39
	s_and_saveexec_b32 s6, s5
	s_cbranch_execz .LBB726_6
; %bb.5:
	flat_load_dwordx2 v[32:33], v[16:17] offset:16
.LBB726_6:
	s_or_b32 exec_lo, exec_lo, s6
	v_or_b32_e32 v8, 3, v66
	v_cmp_lt_u32_e64 s6, v8, v20
	s_and_saveexec_b32 s7, s6
	s_cbranch_execz .LBB726_8
; %bb.7:
	flat_load_dwordx2 v[38:39], v[16:17] offset:24
.LBB726_8:
	s_or_b32 exec_lo, exec_lo, s7
	v_bfrev_b32_e32 v19, 1
	v_or_b32_e32 v8, 4, v66
	v_mov_b32_e32 v18, 0
	v_mov_b32_e32 v37, v19
	v_cmp_lt_u32_e64 s7, v8, v20
	v_mov_b32_e32 v36, v18
	s_and_saveexec_b32 s10, s7
	s_cbranch_execz .LBB726_10
; %bb.9:
	flat_load_dwordx2 v[36:37], v[16:17] offset:32
.LBB726_10:
	s_or_b32 exec_lo, exec_lo, s10
	v_or_b32_e32 v8, 5, v66
	v_cmp_lt_u32_e64 s10, v8, v20
	s_and_saveexec_b32 s11, s10
	s_cbranch_execz .LBB726_12
; %bb.11:
	flat_load_dwordx2 v[18:19], v[16:17] offset:40
.LBB726_12:
	s_or_b32 exec_lo, exec_lo, s11
	v_bfrev_b32_e32 v9, 1
	v_or_b32_e32 v21, 6, v66
	v_mov_b32_e32 v8, 0
	v_mov_b32_e32 v51, v9
	v_cmp_lt_u32_e64 s11, v21, v20
	v_mov_b32_e32 v50, v8
	s_and_saveexec_b32 s14, s11
	s_cbranch_execz .LBB726_14
; %bb.13:
	flat_load_dwordx2 v[50:51], v[16:17] offset:48
.LBB726_14:
	s_or_b32 exec_lo, exec_lo, s14
	v_or_b32_e32 v21, 7, v66
	v_cmp_lt_u32_e64 s14, v21, v20
	s_and_saveexec_b32 s15, s14
	s_cbranch_execz .LBB726_16
; %bb.15:
	flat_load_dwordx2 v[8:9], v[16:17] offset:56
.LBB726_16:
	s_or_b32 exec_lo, exec_lo, s15
	v_add_co_u32 v4, s15, v4, v14
	v_add_co_ci_u32_e64 v5, null, v5, v15, s15
	v_add_co_u32 v52, s15, v4, v13
	v_add_co_ci_u32_e64 v53, null, 0, v5, s15
	; wave barrier
                                        ; implicit-def: $vgpr4_vgpr5
	s_and_saveexec_b32 s15, vcc_lo
	s_cbranch_execnz .LBB726_243
; %bb.17:
	s_or_b32 exec_lo, exec_lo, s15
                                        ; implicit-def: $vgpr20_vgpr21
	s_and_saveexec_b32 s15, s4
	s_cbranch_execnz .LBB726_244
.LBB726_18:
	s_or_b32 exec_lo, exec_lo, s15
                                        ; implicit-def: $vgpr22_vgpr23
	s_and_saveexec_b32 s15, s5
	s_cbranch_execnz .LBB726_245
.LBB726_19:
	s_or_b32 exec_lo, exec_lo, s15
                                        ; implicit-def: $vgpr26_vgpr27
	s_and_saveexec_b32 s15, s6
	s_cbranch_execnz .LBB726_246
.LBB726_20:
	s_or_b32 exec_lo, exec_lo, s15
                                        ; implicit-def: $vgpr28_vgpr29
	s_and_saveexec_b32 s15, s7
	s_cbranch_execnz .LBB726_247
.LBB726_21:
	s_or_b32 exec_lo, exec_lo, s15
                                        ; implicit-def: $vgpr48_vgpr49
	s_and_saveexec_b32 s15, s10
	s_cbranch_execnz .LBB726_248
.LBB726_22:
	s_or_b32 exec_lo, exec_lo, s15
                                        ; implicit-def: $vgpr16_vgpr17
	s_and_saveexec_b32 s15, s11
	s_cbranch_execnz .LBB726_249
.LBB726_23:
	s_or_b32 exec_lo, exec_lo, s15
                                        ; implicit-def: $vgpr34_vgpr35
	s_and_saveexec_b32 s15, s14
	s_cbranch_execz .LBB726_25
.LBB726_24:
	flat_load_dwordx2 v[34:35], v[52:53] offset:56
.LBB726_25:
	s_or_b32 exec_lo, exec_lo, s15
	v_cmp_ne_u32_e64 s15, 0, v10
	v_cmp_ne_u32_e64 s16, 64, v11
	v_bfe_u32 v52, v31, 10, 10
	v_bfe_u32 v53, v31, 20, 10
	v_and_b32_e32 v30, 0x3ff, v31
	s_or_b32 s15, s15, s16
	; wave barrier
	s_and_saveexec_b32 s16, s15
	s_xor_b32 s25, exec_lo, s16
	s_cbranch_execz .LBB726_125
; %bb.26:
	s_load_dwordx2 s[16:17], s[8:9], 0x0
	v_mov_b32_e32 v31, 0
	s_waitcnt lgkmcnt(0)
	s_cmp_lt_u32 s13, s17
	s_cselect_b32 s15, 14, 20
	s_add_u32 s18, s8, s15
	s_addc_u32 s19, s9, 0
	s_cmp_lt_u32 s12, s16
	global_load_ushort v54, v31, s[18:19]
	s_cselect_b32 s15, 12, 18
	s_add_u32 s16, s8, s15
	s_addc_u32 s17, s9, 0
	global_load_ushort v31, v31, s[16:17]
	s_mov_b32 s16, exec_lo
	s_waitcnt vmcnt(1)
	v_mad_u32_u24 v52, v53, v54, v52
	s_waitcnt vmcnt(0)
	v_mul_lo_u32 v31, v52, v31
	v_lshlrev_b64 v[52:53], v11, -1
	v_lshlrev_b64 v[10:11], v10, -1
	v_xor_b32_e32 v69, v53, v11
	v_add_lshl_u32 v70, v31, v30, 3
	v_xor_b32_e32 v68, v52, v10
	v_cmpx_gt_u32_e32 0x800, v70
	s_cbranch_execz .LBB726_84
; %bb.27:
	v_and_b32_e32 v11, v25, v69
	v_and_b32_e32 v10, v24, v68
	;; [unrolled: 1-line block ×4, first 2 shown]
	v_cmp_gt_u64_e64 s15, v[10:11], v[30:31]
	v_mov_b32_e32 v10, v24
	v_mov_b32_e32 v31, v21
	;; [unrolled: 1-line block ×4, first 2 shown]
	s_and_saveexec_b32 s17, s15
	s_cbranch_execz .LBB726_29
; %bb.28:
	v_mov_b32_e32 v11, v1
	v_mov_b32_e32 v31, v5
	;; [unrolled: 1-line block ×8, first 2 shown]
.LBB726_29:
	s_or_b32 exec_lo, exec_lo, s17
	v_mov_b32_e32 v65, v39
	v_mov_b32_e32 v53, v27
	v_and_b32_e32 v21, v39, v69
	v_and_b32_e32 v20, v38, v68
	;; [unrolled: 1-line block ×4, first 2 shown]
	v_mov_b32_e32 v64, v38
	v_mov_b32_e32 v52, v26
	s_mov_b32 s17, exec_lo
	v_cmpx_gt_u64_e64 v[20:21], v[24:25]
	s_cbranch_execz .LBB726_31
; %bb.30:
	v_mov_b32_e32 v65, v33
	v_mov_b32_e32 v53, v23
	;; [unrolled: 1-line block ×8, first 2 shown]
.LBB726_31:
	s_or_b32 exec_lo, exec_lo, s17
	v_and_b32_e32 v21, v19, v69
	v_and_b32_e32 v20, v18, v68
	;; [unrolled: 1-line block ×4, first 2 shown]
	v_mov_b32_e32 v55, v37
	v_mov_b32_e32 v54, v36
	v_cmp_gt_u64_e64 s15, v[20:21], v[24:25]
	v_mov_b32_e32 v24, v48
	v_mov_b32_e32 v25, v49
	s_and_saveexec_b32 s17, s15
	s_cbranch_execz .LBB726_33
; %bb.32:
	v_mov_b32_e32 v24, v28
	v_mov_b32_e32 v55, v19
	;; [unrolled: 1-line block ×8, first 2 shown]
.LBB726_33:
	s_or_b32 exec_lo, exec_lo, s17
	v_and_b32_e32 v21, v9, v69
	v_and_b32_e32 v20, v8, v68
	v_and_b32_e32 v27, v51, v69
	v_and_b32_e32 v26, v50, v68
	v_mov_b32_e32 v36, v50
	v_mov_b32_e32 v37, v51
	v_cmp_gt_u64_e64 s15, v[20:21], v[26:27]
	v_mov_b32_e32 v20, v34
	v_mov_b32_e32 v21, v35
	s_and_saveexec_b32 s17, s15
	s_cbranch_execz .LBB726_35
; %bb.34:
	v_mov_b32_e32 v21, v17
	v_mov_b32_e32 v37, v9
	;; [unrolled: 1-line block ×8, first 2 shown]
.LBB726_35:
	s_or_b32 exec_lo, exec_lo, s17
	v_and_b32_e32 v27, v33, v69
	v_and_b32_e32 v26, v32, v68
	;; [unrolled: 1-line block ×4, first 2 shown]
	v_cmp_gt_u64_e64 s15, v[26:27], v[34:35]
	v_mov_b32_e32 v26, v32
	v_mov_b32_e32 v35, v23
	v_mov_b32_e32 v27, v33
	v_mov_b32_e32 v34, v22
	s_and_saveexec_b32 s17, s15
	s_xor_b32 s15, exec_lo, s17
	s_cbranch_execz .LBB726_37
; %bb.36:
	v_mov_b32_e32 v27, v11
	v_mov_b32_e32 v35, v31
	;; [unrolled: 1-line block ×8, first 2 shown]
.LBB726_37:
	s_or_b32 exec_lo, exec_lo, s15
	v_and_b32_e32 v23, v55, v69
	v_and_b32_e32 v22, v54, v68
	;; [unrolled: 1-line block ×4, first 2 shown]
	v_mov_b32_e32 v50, v64
	v_mov_b32_e32 v51, v65
	v_cmp_gt_u64_e64 s15, v[22:23], v[32:33]
	v_mov_b32_e32 v33, v29
	v_mov_b32_e32 v32, v28
	s_and_saveexec_b32 s17, s15
	s_cbranch_execz .LBB726_39
; %bb.38:
	v_mov_b32_e32 v50, v54
	v_mov_b32_e32 v32, v52
	;; [unrolled: 1-line block ×8, first 2 shown]
.LBB726_39:
	s_or_b32 exec_lo, exec_lo, s17
	v_and_b32_e32 v23, v37, v69
	v_and_b32_e32 v22, v36, v68
	;; [unrolled: 1-line block ×4, first 2 shown]
	v_cmp_gt_u64_e64 s15, v[22:23], v[28:29]
	v_mov_b32_e32 v23, v17
	v_mov_b32_e32 v29, v19
	;; [unrolled: 1-line block ×4, first 2 shown]
	s_and_saveexec_b32 s17, s15
	s_cbranch_execz .LBB726_41
; %bb.40:
	v_mov_b32_e32 v22, v24
	v_mov_b32_e32 v28, v36
	;; [unrolled: 1-line block ×8, first 2 shown]
.LBB726_41:
	s_or_b32 exec_lo, exec_lo, s17
	v_and_b32_e32 v17, v11, v69
	v_and_b32_e32 v16, v10, v68
	;; [unrolled: 1-line block ×4, first 2 shown]
	v_mov_b32_e32 v39, v31
	v_mov_b32_e32 v38, v30
	v_cmp_gt_u64_e64 s15, v[16:17], v[18:19]
	v_mov_b32_e32 v17, v11
	v_mov_b32_e32 v16, v10
	s_and_saveexec_b32 s17, s15
	s_cbranch_execz .LBB726_43
; %bb.42:
	v_mov_b32_e32 v17, v1
	v_mov_b32_e32 v39, v5
	;; [unrolled: 1-line block ×8, first 2 shown]
.LBB726_43:
	s_or_b32 exec_lo, exec_lo, s17
	v_mov_b32_e32 v65, v51
	v_mov_b32_e32 v48, v52
	v_and_b32_e32 v11, v51, v69
	v_and_b32_e32 v10, v50, v68
	;; [unrolled: 1-line block ×4, first 2 shown]
	v_mov_b32_e32 v64, v50
	v_mov_b32_e32 v49, v53
	s_mov_b32 s17, exec_lo
	v_cmpx_gt_u64_e64 v[10:11], v[18:19]
	s_cbranch_execz .LBB726_45
; %bb.44:
	v_mov_b32_e32 v65, v27
	v_mov_b32_e32 v49, v35
	v_mov_b32_e32 v64, v26
	v_mov_b32_e32 v26, v50
	v_mov_b32_e32 v48, v34
	v_mov_b32_e32 v34, v52
	v_mov_b32_e32 v27, v51
	v_mov_b32_e32 v35, v53
.LBB726_45:
	s_or_b32 exec_lo, exec_lo, s17
	v_and_b32_e32 v11, v29, v69
	v_and_b32_e32 v10, v28, v68
	v_and_b32_e32 v19, v55, v69
	v_and_b32_e32 v18, v54, v68
	v_mov_b32_e32 v52, v54
	v_mov_b32_e32 v53, v55
	v_cmp_gt_u64_e64 s15, v[10:11], v[18:19]
	v_mov_b32_e32 v18, v24
	v_mov_b32_e32 v19, v25
	s_and_saveexec_b32 s17, s15
	s_cbranch_execz .LBB726_47
; %bb.46:
	v_mov_b32_e32 v18, v32
	v_mov_b32_e32 v53, v29
	v_mov_b32_e32 v19, v33
	v_mov_b32_e32 v33, v25
	v_mov_b32_e32 v52, v28
	v_mov_b32_e32 v28, v54
	v_mov_b32_e32 v32, v24
	v_mov_b32_e32 v29, v55
.LBB726_47:
	s_or_b32 exec_lo, exec_lo, s17
	v_and_b32_e32 v11, v9, v69
	v_and_b32_e32 v10, v8, v68
	v_and_b32_e32 v25, v37, v69
	v_and_b32_e32 v24, v36, v68
	v_mov_b32_e32 v51, v37
	v_mov_b32_e32 v50, v36
	v_cmp_gt_u64_e64 s15, v[10:11], v[24:25]
	v_mov_b32_e32 v10, v20
	v_mov_b32_e32 v11, v21
	s_and_saveexec_b32 s17, s15
	;; [unrolled: 22-line block ×3, first 2 shown]
	s_cbranch_execz .LBB726_51
; %bb.50:
	v_mov_b32_e32 v21, v17
	v_mov_b32_e32 v36, v38
	v_mov_b32_e32 v20, v16
	v_mov_b32_e32 v16, v26
	v_mov_b32_e32 v37, v39
	v_mov_b32_e32 v39, v35
	v_mov_b32_e32 v17, v27
	v_mov_b32_e32 v38, v34
.LBB726_51:
	s_or_b32 exec_lo, exec_lo, s17
	v_mov_b32_e32 v54, v64
	v_mov_b32_e32 v30, v32
	v_and_b32_e32 v25, v53, v69
	v_and_b32_e32 v24, v52, v68
	;; [unrolled: 1-line block ×4, first 2 shown]
	v_mov_b32_e32 v55, v65
	v_mov_b32_e32 v31, v33
	s_mov_b32 s17, exec_lo
	v_cmpx_gt_u64_e64 v[24:25], v[26:27]
	s_cbranch_execz .LBB726_53
; %bb.52:
	v_mov_b32_e32 v55, v53
	v_mov_b32_e32 v30, v48
	v_mov_b32_e32 v54, v52
	v_mov_b32_e32 v31, v49
	v_mov_b32_e32 v49, v33
	v_mov_b32_e32 v52, v64
	v_mov_b32_e32 v48, v32
	v_mov_b32_e32 v53, v65
.LBB726_53:
	s_or_b32 exec_lo, exec_lo, s17
	v_and_b32_e32 v25, v51, v69
	v_and_b32_e32 v24, v50, v68
	v_and_b32_e32 v27, v29, v69
	v_and_b32_e32 v26, v28, v68
	v_mov_b32_e32 v33, v29
	v_mov_b32_e32 v32, v28
	v_cmp_gt_u64_e64 s15, v[24:25], v[26:27]
	v_mov_b32_e32 v25, v23
	v_mov_b32_e32 v24, v22
	s_and_saveexec_b32 s17, s15
	s_cbranch_execz .LBB726_55
; %bb.54:
	v_mov_b32_e32 v25, v19
	v_mov_b32_e32 v32, v50
	v_mov_b32_e32 v24, v18
	v_mov_b32_e32 v18, v22
	v_mov_b32_e32 v33, v51
	v_mov_b32_e32 v51, v29
	v_mov_b32_e32 v19, v23
	v_mov_b32_e32 v50, v28
.LBB726_55:
	s_or_b32 exec_lo, exec_lo, s17
	v_and_b32_e32 v23, v17, v69
	v_and_b32_e32 v22, v16, v68
	v_and_b32_e32 v27, v1, v69
	v_and_b32_e32 v26, v0, v68
	v_mov_b32_e32 v34, v38
	v_mov_b32_e32 v35, v39
	v_cmp_gt_u64_e64 s15, v[22:23], v[26:27]
	v_mov_b32_e32 v27, v17
	v_mov_b32_e32 v26, v16
	s_and_saveexec_b32 s17, s15
	;; [unrolled: 22-line block ×6, first 2 shown]
	s_cbranch_execz .LBB726_65
; %bb.64:
	v_mov_b32_e32 v10, v26
	v_mov_b32_e32 v51, v35
	;; [unrolled: 1-line block ×8, first 2 shown]
.LBB726_65:
	s_or_b32 exec_lo, exec_lo, s17
	v_mov_b32_e32 v37, v17
	v_mov_b32_e32 v49, v31
	v_and_b32_e32 v19, v55, v69
	v_and_b32_e32 v18, v54, v68
	v_and_b32_e32 v21, v17, v69
	v_and_b32_e32 v20, v16, v68
	v_mov_b32_e32 v36, v16
	v_mov_b32_e32 v48, v30
	s_mov_b32 s17, exec_lo
	v_cmpx_gt_u64_e64 v[18:19], v[20:21]
	s_cbranch_execz .LBB726_67
; %bb.66:
	v_mov_b32_e32 v36, v54
	v_mov_b32_e32 v49, v39
	v_mov_b32_e32 v37, v55
	v_mov_b32_e32 v48, v38
	v_mov_b32_e32 v39, v31
	v_mov_b32_e32 v55, v17
	v_mov_b32_e32 v38, v30
	v_mov_b32_e32 v54, v16
.LBB726_67:
	s_or_b32 exec_lo, exec_lo, s17
	v_and_b32_e32 v17, v53, v69
	v_and_b32_e32 v16, v52, v68
	v_and_b32_e32 v19, v33, v69
	v_and_b32_e32 v18, v32, v68
	v_cmp_gt_u64_e64 s15, v[16:17], v[18:19]
	v_mov_b32_e32 v16, v24
	v_mov_b32_e32 v18, v32
	v_mov_b32_e32 v17, v25
	v_mov_b32_e32 v19, v33
	s_and_saveexec_b32 s17, s15
	s_cbranch_execz .LBB726_69
; %bb.68:
	v_mov_b32_e32 v16, v28
	v_mov_b32_e32 v18, v52
	v_mov_b32_e32 v17, v29
	v_mov_b32_e32 v29, v25
	v_mov_b32_e32 v19, v53
	v_mov_b32_e32 v53, v33
	v_mov_b32_e32 v28, v24
	v_mov_b32_e32 v52, v32
.LBB726_69:
	s_or_b32 exec_lo, exec_lo, s17
	v_and_b32_e32 v21, v27, v69
	v_and_b32_e32 v20, v26, v68
	v_and_b32_e32 v25, v1, v69
	v_and_b32_e32 v24, v0, v68
	v_cmp_gt_u64_e64 s15, v[20:21], v[24:25]
	v_mov_b32_e32 v24, v26
	v_mov_b32_e32 v20, v34
	v_mov_b32_e32 v25, v27
	v_mov_b32_e32 v21, v35
	s_and_saveexec_b32 s17, s15
	s_cbranch_execz .LBB726_71
; %bb.70:
	v_mov_b32_e32 v25, v1
	v_mov_b32_e32 v21, v5
	v_mov_b32_e32 v24, v0
	v_mov_b32_e32 v0, v26
	v_mov_b32_e32 v20, v4
	v_mov_b32_e32 v4, v34
	v_mov_b32_e32 v1, v27
	v_mov_b32_e32 v5, v35
.LBB726_71:
	s_or_b32 exec_lo, exec_lo, s17
	v_and_b32_e32 v27, v37, v69
	v_and_b32_e32 v26, v36, v68
	v_and_b32_e32 v31, v11, v69
	v_and_b32_e32 v30, v10, v68
	v_cmp_gt_u64_e64 s15, v[26:27], v[30:31]
	v_mov_b32_e32 v30, v36
	v_mov_b32_e32 v26, v38
	v_mov_b32_e32 v31, v37
	v_mov_b32_e32 v27, v39
	s_and_saveexec_b32 s17, s15
	s_cbranch_execz .LBB726_73
; %bb.72:
	v_mov_b32_e32 v31, v11
	v_mov_b32_e32 v26, v50
	;; [unrolled: 1-line block ×8, first 2 shown]
.LBB726_73:
	s_or_b32 exec_lo, exec_lo, s17
	v_mov_b32_e32 v65, v29
	v_mov_b32_e32 v36, v54
	v_and_b32_e32 v33, v19, v69
	v_and_b32_e32 v32, v18, v68
	;; [unrolled: 1-line block ×4, first 2 shown]
	v_mov_b32_e32 v64, v28
	v_mov_b32_e32 v37, v55
	s_mov_b32 s17, exec_lo
	v_cmpx_gt_u64_e64 v[32:33], v[34:35]
	s_cbranch_execz .LBB726_75
; %bb.74:
	v_mov_b32_e32 v65, v49
	v_mov_b32_e32 v37, v19
	;; [unrolled: 1-line block ×8, first 2 shown]
.LBB726_75:
	s_or_b32 exec_lo, exec_lo, s17
	v_mov_b32_e32 v35, v23
	v_mov_b32_e32 v55, v53
	v_and_b32_e32 v29, v9, v69
	v_and_b32_e32 v28, v8, v68
	v_and_b32_e32 v33, v53, v69
	v_and_b32_e32 v32, v52, v68
	v_mov_b32_e32 v34, v22
	v_mov_b32_e32 v54, v52
	s_mov_b32 s17, exec_lo
	v_cmpx_gt_u64_e64 v[28:29], v[32:33]
	s_cbranch_execz .LBB726_77
; %bb.76:
	v_mov_b32_e32 v35, v17
	v_mov_b32_e32 v55, v9
	;; [unrolled: 1-line block ×8, first 2 shown]
.LBB726_77:
	s_or_b32 exec_lo, exec_lo, s17
	v_and_b32_e32 v23, v11, v69
	v_and_b32_e32 v22, v10, v68
	;; [unrolled: 1-line block ×4, first 2 shown]
	v_mov_b32_e32 v33, v11
	v_mov_b32_e32 v32, v10
	v_cmp_gt_u64_e64 s15, v[22:23], v[28:29]
	v_mov_b32_e32 v22, v50
	v_mov_b32_e32 v23, v51
	s_and_saveexec_b32 s17, s15
	s_cbranch_execz .LBB726_79
; %bb.78:
	v_mov_b32_e32 v33, v25
	v_mov_b32_e32 v23, v21
	v_mov_b32_e32 v32, v24
	v_mov_b32_e32 v25, v11
	v_mov_b32_e32 v22, v20
	v_mov_b32_e32 v20, v50
	v_mov_b32_e32 v24, v10
	v_mov_b32_e32 v21, v51
.LBB726_79:
	s_or_b32 exec_lo, exec_lo, s17
	v_and_b32_e32 v11, v37, v69
	v_and_b32_e32 v10, v36, v68
	;; [unrolled: 1-line block ×4, first 2 shown]
	v_mov_b32_e32 v39, v31
	v_mov_b32_e32 v38, v30
	v_cmp_gt_u64_e64 s15, v[10:11], v[28:29]
	v_mov_b32_e32 v28, v48
	v_mov_b32_e32 v29, v49
	s_and_saveexec_b32 s17, s15
	s_cbranch_execz .LBB726_81
; %bb.80:
	v_mov_b32_e32 v39, v37
	v_mov_b32_e32 v29, v27
	;; [unrolled: 1-line block ×8, first 2 shown]
.LBB726_81:
	s_or_b32 exec_lo, exec_lo, s17
	v_mov_b32_e32 v50, v54
	v_mov_b32_e32 v48, v64
	v_and_b32_e32 v11, v55, v69
	v_and_b32_e32 v10, v54, v68
	;; [unrolled: 1-line block ×4, first 2 shown]
	v_mov_b32_e32 v51, v55
	v_mov_b32_e32 v49, v65
	s_mov_b32 s17, exec_lo
	v_cmpx_gt_u64_e64 v[10:11], v[30:31]
	s_cbranch_execz .LBB726_83
; %bb.82:
	v_mov_b32_e32 v51, v19
	v_mov_b32_e32 v49, v17
	;; [unrolled: 1-line block ×8, first 2 shown]
.LBB726_83:
	s_or_b32 exec_lo, exec_lo, s17
.LBB726_84:
	s_or_b32 exec_lo, exec_lo, s16
	v_and_b32_e32 v10, 0xffffff00, v70
	v_or_b32_e32 v31, 8, v67
	v_mov_b32_e32 v11, 0
	v_and_b32_e32 v53, 8, v67
	v_and_b32_e32 v96, 0xf0, v67
	v_sub_nc_u32_e64 v30, 0x800, v10 clamp
	s_mov_b32 s16, exec_lo
	v_lshlrev_b64 v[10:11], 3, v[10:11]
	v_min_u32_e32 v86, v30, v31
	v_lshlrev_b32_e32 v31, 3, v67
	v_min_u32_e32 v97, v30, v53
	v_add_co_u32 v11, null, v12, v10
	v_add_nc_u32_e32 v52, 8, v86
	v_add_co_u32 v10, null, 0x4000, v11
	v_min_u32_e32 v87, v30, v52
	v_sub_nc_u32_e32 v52, v86, v96
	v_add_nc_u32_e32 v12, v11, v31
	v_add_nc_u32_e32 v31, v10, v31
	v_sub_nc_u32_e32 v53, v87, v86
	v_min_u32_e32 v52, v97, v52
	ds_write_b64 v12, v[0:1]
	ds_write_b64 v31, v[4:5]
	ds_write_b64 v12, v[24:25] offset:8
	ds_write_b64 v31, v[20:21] offset:8
	;; [unrolled: 1-line block ×14, first 2 shown]
	v_sub_nc_u32_e64 v98, v97, v53 clamp
	; wave barrier
	v_cmpx_lt_u32_e64 v98, v52
	s_cbranch_execz .LBB726_88
; %bb.85:
	v_lshlrev_b32_e32 v53, 3, v96
	v_lshlrev_b32_e32 v54, 3, v86
	s_mov_b32 s17, 0
	v_add_co_u32 v53, null, v11, v53
	v_add_co_u32 v54, null, v11, v54
	.p2align	6
.LBB726_86:                             ; =>This Inner Loop Header: Depth=1
	v_add_nc_u32_e32 v55, v52, v98
	v_lshrrev_b32_e32 v55, 1, v55
	v_xad_u32 v64, v55, -1, v97
	v_lshl_add_u32 v65, v55, 3, v53
	v_lshl_add_u32 v70, v64, 3, v54
	ds_read_b64 v[64:65], v65
	ds_read_b64 v[70:71], v70
	s_waitcnt lgkmcnt(1)
	v_and_b32_e32 v65, v65, v69
	v_and_b32_e32 v64, v64, v68
	s_waitcnt lgkmcnt(0)
	v_and_b32_e32 v71, v71, v69
	v_and_b32_e32 v70, v70, v68
	v_cmp_gt_u64_e64 s15, v[70:71], v[64:65]
	v_add_nc_u32_e32 v64, 1, v55
	v_cndmask_b32_e64 v52, v52, v55, s15
	v_cndmask_b32_e64 v98, v64, v98, s15
	v_cmp_ge_u32_e64 s15, v98, v52
	s_or_b32 s17, s15, s17
	s_andn2_b32 exec_lo, exec_lo, s17
	s_cbranch_execnz .LBB726_86
; %bb.87:
	s_or_b32 exec_lo, exec_lo, s17
.LBB726_88:
	s_or_b32 exec_lo, exec_lo, s16
	v_add_nc_u32_e32 v97, v86, v97
	v_add_nc_u32_e32 v96, v98, v96
	;; [unrolled: 1-line block ×5, first 2 shown]
	v_sub_nc_u32_e32 v97, v97, v98
	v_cmp_le_u32_e64 s15, v96, v86
	v_add_nc_u32_e32 v82, 16, v31
	v_add_nc_u32_e32 v83, 24, v12
	;; [unrolled: 1-line block ×3, first 2 shown]
	v_cmp_le_u32_e64 s16, v97, v87
	v_add_nc_u32_e32 v71, 32, v12
	v_add_nc_u32_e32 v80, 32, v31
	;; [unrolled: 1-line block ×8, first 2 shown]
	s_or_b32 s15, s15, s16
	s_and_saveexec_b32 s26, s15
	s_cbranch_execz .LBB726_94
; %bb.89:
	v_cmp_lt_u32_e64 s15, v96, v86
                                        ; implicit-def: $vgpr0_vgpr1
	s_and_saveexec_b32 s16, s15
; %bb.90:
	v_lshl_add_u32 v0, v96, 3, v11
	ds_read_b64 v[0:1], v0
; %bb.91:
	s_or_b32 exec_lo, exec_lo, s16
	v_cmp_ge_u32_e64 s16, v97, v87
	s_mov_b32 s18, exec_lo
                                        ; implicit-def: $vgpr8_vgpr9
	v_cmpx_lt_u32_e64 v97, v87
; %bb.92:
	v_lshl_add_u32 v4, v97, 3, v11
	ds_read_b64 v[8:9], v4
; %bb.93:
	s_or_b32 exec_lo, exec_lo, s18
	s_waitcnt lgkmcnt(0)
	v_and_b32_e32 v5, v9, v69
	v_and_b32_e32 v4, v8, v68
	;; [unrolled: 1-line block ×4, first 2 shown]
	v_cmp_le_u64_e64 s17, v[4:5], v[16:17]
	s_and_b32 s15, s15, s17
	s_or_b32 s15, s16, s15
	v_cndmask_b32_e64 v18, v97, v96, s15
	v_cndmask_b32_e64 v4, v87, v86, s15
	v_add_nc_u32_e32 v19, 1, v18
	v_add_nc_u32_e32 v4, -1, v4
	v_lshl_add_u32 v18, v18, 3, v10
	v_cndmask_b32_e64 v20, v96, v19, s15
	v_min_u32_e32 v4, v19, v4
	v_cndmask_b32_e64 v19, v19, v97, s15
	v_cmp_lt_u32_e64 s17, v20, v86
	v_lshl_add_u32 v4, v4, 3, v11
	v_cmp_ge_u32_e64 s18, v19, v87
	ds_read_b64 v[4:5], v4
	s_waitcnt lgkmcnt(0)
	v_cndmask_b32_e64 v24, v5, v9, s15
	v_cndmask_b32_e64 v32, v4, v8, s15
	;; [unrolled: 1-line block ×5, first 2 shown]
	v_and_b32_e32 v5, v24, v69
	v_and_b32_e32 v4, v32, v68
	;; [unrolled: 1-line block ×4, first 2 shown]
	v_cndmask_b32_e64 v0, v8, v0, s15
	v_cmp_le_u64_e64 s16, v[4:5], v[16:17]
	s_and_b32 s16, s17, s16
	s_or_b32 s16, s18, s16
	v_cndmask_b32_e64 v21, v19, v20, s16
	v_cndmask_b32_e64 v4, v87, v86, s16
	v_add_nc_u32_e32 v22, 1, v21
	v_add_nc_u32_e32 v4, -1, v4
	v_cndmask_b32_e64 v20, v20, v22, s16
	v_min_u32_e32 v4, v22, v4
	v_cndmask_b32_e64 v19, v22, v19, s16
	v_cmp_lt_u32_e64 s18, v20, v86
	v_lshl_add_u32 v4, v4, 3, v11
	v_cmp_ge_u32_e64 s19, v19, v87
	ds_read_b64 v[4:5], v4
	s_waitcnt lgkmcnt(0)
	v_cndmask_b32_e64 v36, v5, v24, s16
	v_cndmask_b32_e64 v37, v4, v32, s16
	;; [unrolled: 1-line block ×5, first 2 shown]
	v_and_b32_e32 v5, v36, v69
	v_and_b32_e32 v4, v37, v68
	;; [unrolled: 1-line block ×4, first 2 shown]
	v_cndmask_b32_e64 v24, v32, v33, s16
	v_cmp_le_u64_e64 s17, v[4:5], v[16:17]
	s_and_b32 s17, s18, s17
	s_or_b32 s17, s19, s17
	v_cndmask_b32_e64 v22, v19, v20, s17
	v_cndmask_b32_e64 v4, v87, v86, s17
	v_cndmask_b32_e64 v33, v36, v38, s17
	v_cndmask_b32_e64 v32, v37, v39, s17
	v_add_nc_u32_e32 v23, 1, v22
	v_add_nc_u32_e32 v4, -1, v4
	v_cndmask_b32_e64 v20, v20, v23, s17
	v_min_u32_e32 v4, v23, v4
	v_cndmask_b32_e64 v19, v23, v19, s17
	v_cmp_lt_u32_e64 s19, v20, v86
	v_lshl_add_u32 v4, v4, 3, v11
	v_cmp_ge_u32_e64 s20, v19, v87
	ds_read_b64 v[4:5], v4
	s_waitcnt lgkmcnt(0)
	v_cndmask_b32_e64 v50, v5, v36, s17
	v_cndmask_b32_e64 v51, v4, v37, s17
	v_cndmask_b32_e64 v96, v38, v5, s17
	v_cndmask_b32_e64 v97, v39, v4, s17
	v_and_b32_e32 v5, v50, v69
	v_and_b32_e32 v4, v51, v68
	v_and_b32_e32 v17, v96, v69
	v_and_b32_e32 v16, v97, v68
	v_cmp_le_u64_e64 s18, v[4:5], v[16:17]
	s_and_b32 s18, s19, s18
	s_or_b32 s18, s20, s18
	v_cndmask_b32_e64 v26, v19, v20, s18
	v_cndmask_b32_e64 v4, v87, v86, s18
	v_cndmask_b32_e64 v39, v50, v96, s18
	v_cndmask_b32_e64 v38, v51, v97, s18
	v_add_nc_u32_e32 v23, 1, v26
	v_add_nc_u32_e32 v4, -1, v4
	v_cndmask_b32_e64 v20, v20, v23, s18
	v_min_u32_e32 v4, v23, v4
	v_cndmask_b32_e64 v19, v23, v19, s18
	v_cmp_lt_u32_e64 s20, v20, v86
	v_lshl_add_u32 v4, v4, 3, v11
	v_cmp_ge_u32_e64 s21, v19, v87
	ds_read_b64 v[4:5], v4
	s_waitcnt lgkmcnt(0)
	v_cndmask_b32_e64 v98, v5, v50, s18
	v_cndmask_b32_e64 v99, v4, v51, s18
	v_cndmask_b32_e64 v100, v96, v5, s18
	v_cndmask_b32_e64 v101, v97, v4, s18
	v_and_b32_e32 v5, v98, v69
	v_and_b32_e32 v4, v99, v68
	v_and_b32_e32 v17, v100, v69
	v_and_b32_e32 v16, v101, v68
	;; [unrolled: 25-line block ×3, first 2 shown]
	v_cmp_le_u64_e64 s20, v[4:5], v[16:17]
	s_and_b32 s20, s21, s20
	s_or_b32 s20, s22, s20
	v_cndmask_b32_e64 v28, v19, v20, s20
	v_cndmask_b32_e64 v4, v87, v86, s20
	v_add_nc_u32_e32 v23, 1, v28
	v_add_nc_u32_e32 v4, -1, v4
	v_cndmask_b32_e64 v20, v20, v23, s20
	v_min_u32_e32 v4, v23, v4
	v_cndmask_b32_e64 v19, v23, v19, s20
	v_cmp_lt_u32_e64 s22, v20, v86
	v_lshl_add_u32 v4, v4, 3, v11
	v_cmp_ge_u32_e64 s23, v19, v87
	ds_read_b64 v[4:5], v4
	s_waitcnt lgkmcnt(0)
	v_cndmask_b32_e64 v114, v5, v102, s20
	v_cndmask_b32_e64 v115, v4, v103, s20
	;; [unrolled: 1-line block ×4, first 2 shown]
	v_and_b32_e32 v5, v114, v69
	v_and_b32_e32 v4, v115, v68
	;; [unrolled: 1-line block ×4, first 2 shown]
	v_cmp_le_u64_e64 s21, v[4:5], v[16:17]
	s_and_b32 s21, s22, s21
	s_or_b32 s21, s23, s21
	v_cndmask_b32_e64 v29, v19, v20, s21
	v_cndmask_b32_e64 v4, v87, v86, s21
	;; [unrolled: 1-line block ×4, first 2 shown]
	v_add_nc_u32_e32 v23, 1, v29
	v_add_nc_u32_e32 v4, -1, v4
	v_cndmask_b32_e64 v9, v20, v23, s21
	v_min_u32_e32 v4, v23, v4
	v_cndmask_b32_e64 v19, v23, v19, s21
	v_lshl_add_u32 v20, v21, 3, v10
	v_cmp_lt_u32_e64 s23, v9, v86
	v_lshl_add_u32 v4, v4, 3, v11
	v_cmp_ge_u32_e64 s24, v19, v87
	ds_read_b64 v[4:5], v4
	s_waitcnt lgkmcnt(0)
	v_cndmask_b32_e64 v118, v5, v114, s21
	v_cndmask_b32_e64 v119, v4, v115, s21
	;; [unrolled: 1-line block ×4, first 2 shown]
	v_and_b32_e32 v5, v118, v69
	v_and_b32_e32 v4, v119, v68
	v_and_b32_e32 v17, v128, v69
	v_and_b32_e32 v16, v129, v68
	v_cmp_le_u64_e64 s22, v[4:5], v[16:17]
	v_lshl_add_u32 v16, v22, 3, v10
	ds_read_b64 v[4:5], v18
	ds_read_b64 v[20:21], v20
	v_lshl_add_u32 v17, v27, 3, v10
	v_lshl_add_u32 v18, v28, 3, v10
	s_and_b32 s22, s23, s22
	ds_read_b64 v[22:23], v16
	s_or_b32 s22, s24, s22
	v_lshl_add_u32 v16, v26, 3, v10
	v_cndmask_b32_e64 v9, v19, v9, s22
	v_lshl_add_u32 v19, v29, 3, v10
	v_cndmask_b32_e64 v8, v119, v129, s22
	v_lshl_add_u32 v9, v9, 3, v10
	ds_read_b64 v[26:27], v16
	ds_read_b64 v[28:29], v17
	;; [unrolled: 1-line block ×5, first 2 shown]
	v_cndmask_b32_e64 v19, v102, v112, s20
	v_cndmask_b32_e64 v18, v103, v113, s20
	v_cndmask_b32_e64 v9, v118, v128, s22
.LBB726_94:
	s_or_b32 exec_lo, exec_lo, s26
	v_and_b32_e32 v96, 0xe0, v67
	v_and_b32_e32 v97, 24, v67
	s_mov_b32 s16, exec_lo
	; wave barrier
	v_or_b32_e32 v86, 16, v96
	v_min_u32_e32 v97, v30, v97
	ds_write_b64 v12, v[0:1]
	s_waitcnt lgkmcnt(8)
	ds_write_b64 v31, v[4:5]
	ds_write_b64 v84, v[24:25]
	s_waitcnt lgkmcnt(9)
	ds_write_b64 v85, v[20:21]
	;; [unrolled: 3-line block ×3, first 2 shown]
	ds_write_b64 v83, v[38:39]
	v_min_u32_e32 v86, v30, v86
	s_waitcnt lgkmcnt(11)
	ds_write_b64 v70, v[26:27]
	ds_write_b64 v71, v[36:37]
	s_waitcnt lgkmcnt(12)
	ds_write_b64 v80, v[28:29]
	ds_write_b64 v54, v[18:19]
	;; [unrolled: 3-line block ×4, first 2 shown]
	s_waitcnt lgkmcnt(15)
	ds_write_b64 v53, v[34:35]
	; wave barrier
	v_add_nc_u32_e32 v87, 16, v86
	v_sub_nc_u32_e32 v99, v86, v96
	v_min_u32_e32 v87, v30, v87
	v_min_u32_e32 v99, v97, v99
	v_sub_nc_u32_e32 v98, v87, v86
	v_sub_nc_u32_e64 v98, v97, v98 clamp
	v_cmpx_lt_u32_e64 v98, v99
	s_cbranch_execz .LBB726_98
; %bb.95:
	v_lshlrev_b32_e32 v100, 3, v96
	v_lshlrev_b32_e32 v101, 3, v86
	s_mov_b32 s17, 0
	v_add_co_u32 v100, null, v11, v100
	v_add_co_u32 v101, null, v11, v101
	.p2align	6
.LBB726_96:                             ; =>This Inner Loop Header: Depth=1
	v_add_nc_u32_e32 v102, v99, v98
	v_lshrrev_b32_e32 v114, 1, v102
	v_xad_u32 v102, v114, -1, v97
	v_lshl_add_u32 v103, v114, 3, v100
	v_lshl_add_u32 v112, v102, 3, v101
	ds_read_b64 v[102:103], v103
	ds_read_b64 v[112:113], v112
	s_waitcnt lgkmcnt(1)
	v_and_b32_e32 v103, v103, v69
	v_and_b32_e32 v102, v102, v68
	s_waitcnt lgkmcnt(0)
	v_and_b32_e32 v113, v113, v69
	v_and_b32_e32 v112, v112, v68
	v_cmp_gt_u64_e64 s15, v[112:113], v[102:103]
	v_add_nc_u32_e32 v102, 1, v114
	v_cndmask_b32_e64 v99, v99, v114, s15
	v_cndmask_b32_e64 v98, v102, v98, s15
	v_cmp_ge_u32_e64 s15, v98, v99
	s_or_b32 s17, s15, s17
	s_andn2_b32 exec_lo, exec_lo, s17
	s_cbranch_execnz .LBB726_96
; %bb.97:
	s_or_b32 exec_lo, exec_lo, s17
.LBB726_98:
	s_or_b32 exec_lo, exec_lo, s16
	v_add_nc_u32_e32 v97, v86, v97
	v_add_nc_u32_e32 v96, v98, v96
	v_sub_nc_u32_e32 v97, v97, v98
	v_cmp_le_u32_e64 s15, v96, v86
	v_cmp_le_u32_e64 s16, v97, v87
	s_or_b32 s15, s15, s16
	s_and_saveexec_b32 s26, s15
	s_cbranch_execz .LBB726_104
; %bb.99:
	v_cmp_lt_u32_e64 s15, v96, v86
                                        ; implicit-def: $vgpr0_vgpr1
	s_and_saveexec_b32 s16, s15
; %bb.100:
	v_lshl_add_u32 v0, v96, 3, v11
	ds_read_b64 v[0:1], v0
; %bb.101:
	s_or_b32 exec_lo, exec_lo, s16
	v_cmp_ge_u32_e64 s16, v97, v87
	s_mov_b32 s18, exec_lo
                                        ; implicit-def: $vgpr8_vgpr9
	v_cmpx_lt_u32_e64 v97, v87
; %bb.102:
	v_lshl_add_u32 v4, v97, 3, v11
	ds_read_b64 v[8:9], v4
; %bb.103:
	s_or_b32 exec_lo, exec_lo, s18
	s_waitcnt lgkmcnt(0)
	v_and_b32_e32 v5, v9, v69
	v_and_b32_e32 v4, v8, v68
	v_and_b32_e32 v17, v1, v69
	v_and_b32_e32 v16, v0, v68
	v_cmp_le_u64_e64 s17, v[4:5], v[16:17]
	s_and_b32 s15, s15, s17
	s_or_b32 s15, s16, s15
	v_cndmask_b32_e64 v18, v97, v96, s15
	v_cndmask_b32_e64 v4, v87, v86, s15
	v_add_nc_u32_e32 v19, 1, v18
	v_add_nc_u32_e32 v4, -1, v4
	v_lshl_add_u32 v18, v18, 3, v10
	v_cndmask_b32_e64 v20, v96, v19, s15
	v_min_u32_e32 v4, v19, v4
	v_cndmask_b32_e64 v19, v19, v97, s15
	v_cmp_lt_u32_e64 s17, v20, v86
	v_lshl_add_u32 v4, v4, 3, v11
	v_cmp_ge_u32_e64 s18, v19, v87
	ds_read_b64 v[4:5], v4
	s_waitcnt lgkmcnt(0)
	v_cndmask_b32_e64 v24, v5, v9, s15
	v_cndmask_b32_e64 v32, v4, v8, s15
	;; [unrolled: 1-line block ×5, first 2 shown]
	v_and_b32_e32 v5, v24, v69
	v_and_b32_e32 v4, v32, v68
	;; [unrolled: 1-line block ×4, first 2 shown]
	v_cndmask_b32_e64 v0, v8, v0, s15
	v_cmp_le_u64_e64 s16, v[4:5], v[16:17]
	s_and_b32 s16, s17, s16
	s_or_b32 s16, s18, s16
	v_cndmask_b32_e64 v21, v19, v20, s16
	v_cndmask_b32_e64 v4, v87, v86, s16
	v_add_nc_u32_e32 v22, 1, v21
	v_add_nc_u32_e32 v4, -1, v4
	v_cndmask_b32_e64 v20, v20, v22, s16
	v_min_u32_e32 v4, v22, v4
	v_cndmask_b32_e64 v19, v22, v19, s16
	v_cmp_lt_u32_e64 s18, v20, v86
	v_lshl_add_u32 v4, v4, 3, v11
	v_cmp_ge_u32_e64 s19, v19, v87
	ds_read_b64 v[4:5], v4
	s_waitcnt lgkmcnt(0)
	v_cndmask_b32_e64 v36, v5, v24, s16
	v_cndmask_b32_e64 v37, v4, v32, s16
	;; [unrolled: 1-line block ×5, first 2 shown]
	v_and_b32_e32 v5, v36, v69
	v_and_b32_e32 v4, v37, v68
	;; [unrolled: 1-line block ×4, first 2 shown]
	v_cndmask_b32_e64 v24, v32, v33, s16
	v_cmp_le_u64_e64 s17, v[4:5], v[16:17]
	s_and_b32 s17, s18, s17
	s_or_b32 s17, s19, s17
	v_cndmask_b32_e64 v22, v19, v20, s17
	v_cndmask_b32_e64 v4, v87, v86, s17
	v_cndmask_b32_e64 v33, v36, v38, s17
	v_cndmask_b32_e64 v32, v37, v39, s17
	v_add_nc_u32_e32 v23, 1, v22
	v_add_nc_u32_e32 v4, -1, v4
	v_cndmask_b32_e64 v20, v20, v23, s17
	v_min_u32_e32 v4, v23, v4
	v_cndmask_b32_e64 v19, v23, v19, s17
	v_cmp_lt_u32_e64 s19, v20, v86
	v_lshl_add_u32 v4, v4, 3, v11
	v_cmp_ge_u32_e64 s20, v19, v87
	ds_read_b64 v[4:5], v4
	s_waitcnt lgkmcnt(0)
	v_cndmask_b32_e64 v50, v5, v36, s17
	v_cndmask_b32_e64 v51, v4, v37, s17
	v_cndmask_b32_e64 v96, v38, v5, s17
	v_cndmask_b32_e64 v97, v39, v4, s17
	v_and_b32_e32 v5, v50, v69
	v_and_b32_e32 v4, v51, v68
	v_and_b32_e32 v17, v96, v69
	v_and_b32_e32 v16, v97, v68
	v_cmp_le_u64_e64 s18, v[4:5], v[16:17]
	s_and_b32 s18, s19, s18
	s_or_b32 s18, s20, s18
	v_cndmask_b32_e64 v26, v19, v20, s18
	v_cndmask_b32_e64 v4, v87, v86, s18
	v_cndmask_b32_e64 v39, v50, v96, s18
	v_cndmask_b32_e64 v38, v51, v97, s18
	v_add_nc_u32_e32 v23, 1, v26
	v_add_nc_u32_e32 v4, -1, v4
	v_cndmask_b32_e64 v20, v20, v23, s18
	v_min_u32_e32 v4, v23, v4
	v_cndmask_b32_e64 v19, v23, v19, s18
	v_cmp_lt_u32_e64 s20, v20, v86
	v_lshl_add_u32 v4, v4, 3, v11
	v_cmp_ge_u32_e64 s21, v19, v87
	ds_read_b64 v[4:5], v4
	s_waitcnt lgkmcnt(0)
	v_cndmask_b32_e64 v98, v5, v50, s18
	v_cndmask_b32_e64 v99, v4, v51, s18
	v_cndmask_b32_e64 v100, v96, v5, s18
	v_cndmask_b32_e64 v101, v97, v4, s18
	v_and_b32_e32 v5, v98, v69
	v_and_b32_e32 v4, v99, v68
	v_and_b32_e32 v17, v100, v69
	v_and_b32_e32 v16, v101, v68
	;; [unrolled: 25-line block ×3, first 2 shown]
	v_cmp_le_u64_e64 s20, v[4:5], v[16:17]
	s_and_b32 s20, s21, s20
	s_or_b32 s20, s22, s20
	v_cndmask_b32_e64 v28, v19, v20, s20
	v_cndmask_b32_e64 v4, v87, v86, s20
	v_add_nc_u32_e32 v23, 1, v28
	v_add_nc_u32_e32 v4, -1, v4
	v_cndmask_b32_e64 v20, v20, v23, s20
	v_min_u32_e32 v4, v23, v4
	v_cndmask_b32_e64 v19, v23, v19, s20
	v_cmp_lt_u32_e64 s22, v20, v86
	v_lshl_add_u32 v4, v4, 3, v11
	v_cmp_ge_u32_e64 s23, v19, v87
	ds_read_b64 v[4:5], v4
	s_waitcnt lgkmcnt(0)
	v_cndmask_b32_e64 v114, v5, v102, s20
	v_cndmask_b32_e64 v115, v4, v103, s20
	;; [unrolled: 1-line block ×4, first 2 shown]
	v_and_b32_e32 v5, v114, v69
	v_and_b32_e32 v4, v115, v68
	;; [unrolled: 1-line block ×4, first 2 shown]
	v_cmp_le_u64_e64 s21, v[4:5], v[16:17]
	s_and_b32 s21, s22, s21
	s_or_b32 s21, s23, s21
	v_cndmask_b32_e64 v29, v19, v20, s21
	v_cndmask_b32_e64 v4, v87, v86, s21
	;; [unrolled: 1-line block ×4, first 2 shown]
	v_add_nc_u32_e32 v23, 1, v29
	v_add_nc_u32_e32 v4, -1, v4
	v_cndmask_b32_e64 v9, v20, v23, s21
	v_min_u32_e32 v4, v23, v4
	v_cndmask_b32_e64 v19, v23, v19, s21
	v_lshl_add_u32 v20, v21, 3, v10
	v_cmp_lt_u32_e64 s23, v9, v86
	v_lshl_add_u32 v4, v4, 3, v11
	v_cmp_ge_u32_e64 s24, v19, v87
	ds_read_b64 v[4:5], v4
	s_waitcnt lgkmcnt(0)
	v_cndmask_b32_e64 v118, v5, v114, s21
	v_cndmask_b32_e64 v119, v4, v115, s21
	;; [unrolled: 1-line block ×4, first 2 shown]
	v_and_b32_e32 v5, v118, v69
	v_and_b32_e32 v4, v119, v68
	;; [unrolled: 1-line block ×4, first 2 shown]
	v_cmp_le_u64_e64 s22, v[4:5], v[16:17]
	v_lshl_add_u32 v16, v22, 3, v10
	ds_read_b64 v[4:5], v18
	ds_read_b64 v[20:21], v20
	v_lshl_add_u32 v17, v27, 3, v10
	v_lshl_add_u32 v18, v28, 3, v10
	s_and_b32 s22, s23, s22
	ds_read_b64 v[22:23], v16
	s_or_b32 s22, s24, s22
	v_lshl_add_u32 v16, v26, 3, v10
	v_cndmask_b32_e64 v9, v19, v9, s22
	v_lshl_add_u32 v19, v29, 3, v10
	v_cndmask_b32_e64 v8, v119, v129, s22
	v_lshl_add_u32 v9, v9, 3, v10
	ds_read_b64 v[26:27], v16
	ds_read_b64 v[28:29], v17
	;; [unrolled: 1-line block ×5, first 2 shown]
	v_cndmask_b32_e64 v19, v102, v112, s20
	v_cndmask_b32_e64 v18, v103, v113, s20
	;; [unrolled: 1-line block ×3, first 2 shown]
.LBB726_104:
	s_or_b32 exec_lo, exec_lo, s26
	v_and_b32_e32 v96, 0xc0, v67
	v_and_b32_e32 v97, 56, v67
	s_mov_b32 s16, exec_lo
	; wave barrier
	v_or_b32_e32 v86, 32, v96
	v_min_u32_e32 v97, v30, v97
	ds_write_b64 v12, v[0:1]
	s_waitcnt lgkmcnt(8)
	ds_write_b64 v31, v[4:5]
	ds_write_b64 v84, v[24:25]
	s_waitcnt lgkmcnt(9)
	ds_write_b64 v85, v[20:21]
	;; [unrolled: 3-line block ×3, first 2 shown]
	ds_write_b64 v83, v[38:39]
	v_min_u32_e32 v86, v30, v86
	s_waitcnt lgkmcnt(11)
	ds_write_b64 v70, v[26:27]
	ds_write_b64 v71, v[36:37]
	s_waitcnt lgkmcnt(12)
	ds_write_b64 v80, v[28:29]
	ds_write_b64 v54, v[18:19]
	;; [unrolled: 3-line block ×4, first 2 shown]
	s_waitcnt lgkmcnt(15)
	ds_write_b64 v53, v[34:35]
	; wave barrier
	v_add_nc_u32_e32 v87, 32, v86
	v_sub_nc_u32_e32 v99, v86, v96
	v_min_u32_e32 v87, v30, v87
	v_min_u32_e32 v99, v97, v99
	v_sub_nc_u32_e32 v98, v87, v86
	v_sub_nc_u32_e64 v98, v97, v98 clamp
	v_cmpx_lt_u32_e64 v98, v99
	s_cbranch_execz .LBB726_108
; %bb.105:
	v_lshlrev_b32_e32 v100, 3, v96
	v_lshlrev_b32_e32 v101, 3, v86
	s_mov_b32 s17, 0
	v_add_co_u32 v100, null, v11, v100
	v_add_co_u32 v101, null, v11, v101
	.p2align	6
.LBB726_106:                            ; =>This Inner Loop Header: Depth=1
	v_add_nc_u32_e32 v102, v99, v98
	v_lshrrev_b32_e32 v114, 1, v102
	v_xad_u32 v102, v114, -1, v97
	v_lshl_add_u32 v103, v114, 3, v100
	v_lshl_add_u32 v112, v102, 3, v101
	ds_read_b64 v[102:103], v103
	ds_read_b64 v[112:113], v112
	s_waitcnt lgkmcnt(1)
	v_and_b32_e32 v103, v103, v69
	v_and_b32_e32 v102, v102, v68
	s_waitcnt lgkmcnt(0)
	v_and_b32_e32 v113, v113, v69
	v_and_b32_e32 v112, v112, v68
	v_cmp_gt_u64_e64 s15, v[112:113], v[102:103]
	v_add_nc_u32_e32 v102, 1, v114
	v_cndmask_b32_e64 v99, v99, v114, s15
	v_cndmask_b32_e64 v98, v102, v98, s15
	v_cmp_ge_u32_e64 s15, v98, v99
	s_or_b32 s17, s15, s17
	s_andn2_b32 exec_lo, exec_lo, s17
	s_cbranch_execnz .LBB726_106
; %bb.107:
	s_or_b32 exec_lo, exec_lo, s17
.LBB726_108:
	s_or_b32 exec_lo, exec_lo, s16
	v_add_nc_u32_e32 v97, v86, v97
	v_add_nc_u32_e32 v96, v98, v96
	v_sub_nc_u32_e32 v97, v97, v98
	v_cmp_le_u32_e64 s15, v96, v86
	v_cmp_le_u32_e64 s16, v97, v87
	s_or_b32 s15, s15, s16
	s_and_saveexec_b32 s26, s15
	s_cbranch_execz .LBB726_114
; %bb.109:
	v_cmp_lt_u32_e64 s15, v96, v86
                                        ; implicit-def: $vgpr0_vgpr1
	s_and_saveexec_b32 s16, s15
; %bb.110:
	v_lshl_add_u32 v0, v96, 3, v11
	ds_read_b64 v[0:1], v0
; %bb.111:
	s_or_b32 exec_lo, exec_lo, s16
	v_cmp_ge_u32_e64 s16, v97, v87
	s_mov_b32 s18, exec_lo
                                        ; implicit-def: $vgpr8_vgpr9
	v_cmpx_lt_u32_e64 v97, v87
; %bb.112:
	v_lshl_add_u32 v4, v97, 3, v11
	ds_read_b64 v[8:9], v4
; %bb.113:
	s_or_b32 exec_lo, exec_lo, s18
	s_waitcnt lgkmcnt(0)
	v_and_b32_e32 v5, v9, v69
	v_and_b32_e32 v4, v8, v68
	;; [unrolled: 1-line block ×4, first 2 shown]
	v_cmp_le_u64_e64 s17, v[4:5], v[16:17]
	s_and_b32 s15, s15, s17
	s_or_b32 s15, s16, s15
	v_cndmask_b32_e64 v18, v97, v96, s15
	v_cndmask_b32_e64 v4, v87, v86, s15
	v_add_nc_u32_e32 v19, 1, v18
	v_add_nc_u32_e32 v4, -1, v4
	v_lshl_add_u32 v18, v18, 3, v10
	v_cndmask_b32_e64 v20, v96, v19, s15
	v_min_u32_e32 v4, v19, v4
	v_cndmask_b32_e64 v19, v19, v97, s15
	v_cmp_lt_u32_e64 s17, v20, v86
	v_lshl_add_u32 v4, v4, 3, v11
	v_cmp_ge_u32_e64 s18, v19, v87
	ds_read_b64 v[4:5], v4
	s_waitcnt lgkmcnt(0)
	v_cndmask_b32_e64 v24, v5, v9, s15
	v_cndmask_b32_e64 v32, v4, v8, s15
	v_cndmask_b32_e64 v25, v1, v5, s15
	v_cndmask_b32_e64 v33, v0, v4, s15
	v_cndmask_b32_e64 v1, v9, v1, s15
	v_and_b32_e32 v5, v24, v69
	v_and_b32_e32 v4, v32, v68
	;; [unrolled: 1-line block ×4, first 2 shown]
	v_cndmask_b32_e64 v0, v8, v0, s15
	v_cmp_le_u64_e64 s16, v[4:5], v[16:17]
	s_and_b32 s16, s17, s16
	s_or_b32 s16, s18, s16
	v_cndmask_b32_e64 v21, v19, v20, s16
	v_cndmask_b32_e64 v4, v87, v86, s16
	v_add_nc_u32_e32 v22, 1, v21
	v_add_nc_u32_e32 v4, -1, v4
	v_cndmask_b32_e64 v20, v20, v22, s16
	v_min_u32_e32 v4, v22, v4
	v_cndmask_b32_e64 v19, v22, v19, s16
	v_cmp_lt_u32_e64 s18, v20, v86
	v_lshl_add_u32 v4, v4, 3, v11
	v_cmp_ge_u32_e64 s19, v19, v87
	ds_read_b64 v[4:5], v4
	s_waitcnt lgkmcnt(0)
	v_cndmask_b32_e64 v36, v5, v24, s16
	v_cndmask_b32_e64 v37, v4, v32, s16
	;; [unrolled: 1-line block ×5, first 2 shown]
	v_and_b32_e32 v5, v36, v69
	v_and_b32_e32 v4, v37, v68
	;; [unrolled: 1-line block ×4, first 2 shown]
	v_cndmask_b32_e64 v24, v32, v33, s16
	v_cmp_le_u64_e64 s17, v[4:5], v[16:17]
	s_and_b32 s17, s18, s17
	s_or_b32 s17, s19, s17
	v_cndmask_b32_e64 v22, v19, v20, s17
	v_cndmask_b32_e64 v4, v87, v86, s17
	v_cndmask_b32_e64 v33, v36, v38, s17
	v_cndmask_b32_e64 v32, v37, v39, s17
	v_add_nc_u32_e32 v23, 1, v22
	v_add_nc_u32_e32 v4, -1, v4
	v_cndmask_b32_e64 v20, v20, v23, s17
	v_min_u32_e32 v4, v23, v4
	v_cndmask_b32_e64 v19, v23, v19, s17
	v_cmp_lt_u32_e64 s19, v20, v86
	v_lshl_add_u32 v4, v4, 3, v11
	v_cmp_ge_u32_e64 s20, v19, v87
	ds_read_b64 v[4:5], v4
	s_waitcnt lgkmcnt(0)
	v_cndmask_b32_e64 v50, v5, v36, s17
	v_cndmask_b32_e64 v51, v4, v37, s17
	v_cndmask_b32_e64 v96, v38, v5, s17
	v_cndmask_b32_e64 v97, v39, v4, s17
	v_and_b32_e32 v5, v50, v69
	v_and_b32_e32 v4, v51, v68
	v_and_b32_e32 v17, v96, v69
	v_and_b32_e32 v16, v97, v68
	v_cmp_le_u64_e64 s18, v[4:5], v[16:17]
	s_and_b32 s18, s19, s18
	s_or_b32 s18, s20, s18
	v_cndmask_b32_e64 v26, v19, v20, s18
	v_cndmask_b32_e64 v4, v87, v86, s18
	v_cndmask_b32_e64 v39, v50, v96, s18
	v_cndmask_b32_e64 v38, v51, v97, s18
	v_add_nc_u32_e32 v23, 1, v26
	v_add_nc_u32_e32 v4, -1, v4
	v_cndmask_b32_e64 v20, v20, v23, s18
	v_min_u32_e32 v4, v23, v4
	v_cndmask_b32_e64 v19, v23, v19, s18
	v_cmp_lt_u32_e64 s20, v20, v86
	v_lshl_add_u32 v4, v4, 3, v11
	v_cmp_ge_u32_e64 s21, v19, v87
	ds_read_b64 v[4:5], v4
	s_waitcnt lgkmcnt(0)
	v_cndmask_b32_e64 v98, v5, v50, s18
	v_cndmask_b32_e64 v99, v4, v51, s18
	v_cndmask_b32_e64 v100, v96, v5, s18
	v_cndmask_b32_e64 v101, v97, v4, s18
	v_and_b32_e32 v5, v98, v69
	v_and_b32_e32 v4, v99, v68
	v_and_b32_e32 v17, v100, v69
	v_and_b32_e32 v16, v101, v68
	;; [unrolled: 25-line block ×3, first 2 shown]
	v_cmp_le_u64_e64 s20, v[4:5], v[16:17]
	s_and_b32 s20, s21, s20
	s_or_b32 s20, s22, s20
	v_cndmask_b32_e64 v28, v19, v20, s20
	v_cndmask_b32_e64 v4, v87, v86, s20
	v_add_nc_u32_e32 v23, 1, v28
	v_add_nc_u32_e32 v4, -1, v4
	v_cndmask_b32_e64 v20, v20, v23, s20
	v_min_u32_e32 v4, v23, v4
	v_cndmask_b32_e64 v19, v23, v19, s20
	v_cmp_lt_u32_e64 s22, v20, v86
	v_lshl_add_u32 v4, v4, 3, v11
	v_cmp_ge_u32_e64 s23, v19, v87
	ds_read_b64 v[4:5], v4
	s_waitcnt lgkmcnt(0)
	v_cndmask_b32_e64 v114, v5, v102, s20
	v_cndmask_b32_e64 v115, v4, v103, s20
	;; [unrolled: 1-line block ×4, first 2 shown]
	v_and_b32_e32 v5, v114, v69
	v_and_b32_e32 v4, v115, v68
	;; [unrolled: 1-line block ×4, first 2 shown]
	v_cmp_le_u64_e64 s21, v[4:5], v[16:17]
	s_and_b32 s21, s22, s21
	s_or_b32 s21, s23, s21
	v_cndmask_b32_e64 v29, v19, v20, s21
	v_cndmask_b32_e64 v4, v87, v86, s21
	;; [unrolled: 1-line block ×4, first 2 shown]
	v_add_nc_u32_e32 v23, 1, v29
	v_add_nc_u32_e32 v4, -1, v4
	v_cndmask_b32_e64 v9, v20, v23, s21
	v_min_u32_e32 v4, v23, v4
	v_cndmask_b32_e64 v19, v23, v19, s21
	v_lshl_add_u32 v20, v21, 3, v10
	v_cmp_lt_u32_e64 s23, v9, v86
	v_lshl_add_u32 v4, v4, 3, v11
	v_cmp_ge_u32_e64 s24, v19, v87
	ds_read_b64 v[4:5], v4
	s_waitcnt lgkmcnt(0)
	v_cndmask_b32_e64 v118, v5, v114, s21
	v_cndmask_b32_e64 v119, v4, v115, s21
	v_cndmask_b32_e64 v128, v116, v5, s21
	v_cndmask_b32_e64 v129, v117, v4, s21
	v_and_b32_e32 v5, v118, v69
	v_and_b32_e32 v4, v119, v68
	;; [unrolled: 1-line block ×4, first 2 shown]
	v_cmp_le_u64_e64 s22, v[4:5], v[16:17]
	v_lshl_add_u32 v16, v22, 3, v10
	ds_read_b64 v[4:5], v18
	ds_read_b64 v[20:21], v20
	v_lshl_add_u32 v17, v27, 3, v10
	v_lshl_add_u32 v18, v28, 3, v10
	s_and_b32 s22, s23, s22
	ds_read_b64 v[22:23], v16
	s_or_b32 s22, s24, s22
	v_lshl_add_u32 v16, v26, 3, v10
	v_cndmask_b32_e64 v9, v19, v9, s22
	v_lshl_add_u32 v19, v29, 3, v10
	v_cndmask_b32_e64 v8, v119, v129, s22
	v_lshl_add_u32 v9, v9, 3, v10
	ds_read_b64 v[26:27], v16
	ds_read_b64 v[28:29], v17
	;; [unrolled: 1-line block ×5, first 2 shown]
	v_cndmask_b32_e64 v19, v102, v112, s20
	v_cndmask_b32_e64 v18, v103, v113, s20
	;; [unrolled: 1-line block ×3, first 2 shown]
.LBB726_114:
	s_or_b32 exec_lo, exec_lo, s26
	v_and_b32_e32 v86, 0x80, v67
	; wave barrier
	ds_write_b64 v12, v[0:1]
	s_waitcnt lgkmcnt(8)
	ds_write_b64 v31, v[4:5]
	ds_write_b64 v84, v[24:25]
	s_waitcnt lgkmcnt(9)
	ds_write_b64 v85, v[20:21]
	s_mov_b32 s16, exec_lo
	v_or_b32_e32 v67, 64, v86
	ds_write_b64 v81, v[32:33]
	s_waitcnt lgkmcnt(10)
	ds_write_b64 v82, v[22:23]
	ds_write_b64 v83, v[38:39]
	s_waitcnt lgkmcnt(11)
	ds_write_b64 v70, v[26:27]
	;; [unrolled: 3-line block ×6, first 2 shown]
	v_min_u32_e32 v67, v30, v67
	; wave barrier
	v_add_nc_u32_e32 v87, 64, v67
	v_min_u32_e32 v12, v30, v87
	v_min_u32_e32 v30, v30, v66
	v_sub_nc_u32_e32 v66, v67, v86
	v_sub_nc_u32_e32 v31, v12, v67
	v_min_u32_e32 v66, v30, v66
	v_sub_nc_u32_e64 v31, v30, v31 clamp
	v_cmpx_lt_u32_e64 v31, v66
	s_cbranch_execz .LBB726_118
; %bb.115:
	v_lshlrev_b32_e32 v52, 3, v86
	v_lshlrev_b32_e32 v53, 3, v67
	s_mov_b32 s17, 0
	v_add_co_u32 v52, null, v11, v52
	v_add_co_u32 v53, null, v11, v53
	.p2align	6
.LBB726_116:                            ; =>This Inner Loop Header: Depth=1
	v_add_nc_u32_e32 v54, v66, v31
	v_lshrrev_b32_e32 v70, 1, v54
	v_xad_u32 v54, v70, -1, v30
	v_lshl_add_u32 v55, v70, 3, v52
	v_lshl_add_u32 v64, v54, 3, v53
	ds_read_b64 v[54:55], v55
	ds_read_b64 v[64:65], v64
	s_waitcnt lgkmcnt(1)
	v_and_b32_e32 v55, v55, v69
	v_and_b32_e32 v54, v54, v68
	s_waitcnt lgkmcnt(0)
	v_and_b32_e32 v65, v65, v69
	v_and_b32_e32 v64, v64, v68
	v_cmp_gt_u64_e64 s15, v[64:65], v[54:55]
	v_add_nc_u32_e32 v54, 1, v70
	v_cndmask_b32_e64 v66, v66, v70, s15
	v_cndmask_b32_e64 v31, v54, v31, s15
	v_cmp_ge_u32_e64 s15, v31, v66
	s_or_b32 s17, s15, s17
	s_andn2_b32 exec_lo, exec_lo, s17
	s_cbranch_execnz .LBB726_116
; %bb.117:
	s_or_b32 exec_lo, exec_lo, s17
.LBB726_118:
	s_or_b32 exec_lo, exec_lo, s16
	v_add_nc_u32_e32 v52, v67, v30
	v_add_nc_u32_e32 v30, v31, v86
	v_sub_nc_u32_e32 v31, v52, v31
	v_cmp_le_u32_e64 s15, v30, v67
	v_cmp_le_u32_e64 s16, v31, v12
	s_or_b32 s15, s15, s16
	s_and_saveexec_b32 s26, s15
	s_cbranch_execz .LBB726_124
; %bb.119:
	v_cmp_lt_u32_e64 s15, v30, v67
                                        ; implicit-def: $vgpr0_vgpr1
	s_and_saveexec_b32 s16, s15
; %bb.120:
	v_lshl_add_u32 v0, v30, 3, v11
	ds_read_b64 v[0:1], v0
; %bb.121:
	s_or_b32 exec_lo, exec_lo, s16
	v_cmp_ge_u32_e64 s16, v31, v12
	s_mov_b32 s18, exec_lo
                                        ; implicit-def: $vgpr8_vgpr9
	v_cmpx_lt_u32_e64 v31, v12
; %bb.122:
	v_lshl_add_u32 v4, v31, 3, v11
	ds_read_b64 v[8:9], v4
; %bb.123:
	s_or_b32 exec_lo, exec_lo, s18
	s_waitcnt lgkmcnt(0)
	v_and_b32_e32 v5, v9, v69
	v_and_b32_e32 v4, v8, v68
	;; [unrolled: 1-line block ×4, first 2 shown]
	v_cmp_le_u64_e64 s17, v[4:5], v[16:17]
	s_and_b32 s15, s15, s17
	s_or_b32 s15, s16, s15
	v_cndmask_b32_e64 v18, v31, v30, s15
	v_cndmask_b32_e64 v4, v12, v67, s15
	v_add_nc_u32_e32 v19, 1, v18
	v_add_nc_u32_e32 v4, -1, v4
	v_lshl_add_u32 v18, v18, 3, v10
	v_cndmask_b32_e64 v20, v30, v19, s15
	v_min_u32_e32 v4, v19, v4
	v_cndmask_b32_e64 v19, v19, v31, s15
	v_cmp_lt_u32_e64 s17, v20, v67
	v_lshl_add_u32 v4, v4, 3, v11
	v_cmp_ge_u32_e64 s18, v19, v12
	ds_read_b64 v[4:5], v4
	s_waitcnt lgkmcnt(0)
	v_cndmask_b32_e64 v24, v5, v9, s15
	v_cndmask_b32_e64 v32, v4, v8, s15
	;; [unrolled: 1-line block ×5, first 2 shown]
	v_and_b32_e32 v5, v24, v69
	v_and_b32_e32 v4, v32, v68
	;; [unrolled: 1-line block ×4, first 2 shown]
	v_cndmask_b32_e64 v0, v8, v0, s15
	v_cmp_le_u64_e64 s16, v[4:5], v[16:17]
	s_and_b32 s16, s17, s16
	s_or_b32 s16, s18, s16
	v_cndmask_b32_e64 v21, v19, v20, s16
	v_cndmask_b32_e64 v4, v12, v67, s16
	v_add_nc_u32_e32 v22, 1, v21
	v_add_nc_u32_e32 v4, -1, v4
	v_cndmask_b32_e64 v20, v20, v22, s16
	v_min_u32_e32 v4, v22, v4
	v_cndmask_b32_e64 v19, v22, v19, s16
	v_cmp_lt_u32_e64 s18, v20, v67
	v_lshl_add_u32 v4, v4, 3, v11
	v_cmp_ge_u32_e64 s19, v19, v12
	ds_read_b64 v[4:5], v4
	s_waitcnt lgkmcnt(0)
	v_cndmask_b32_e64 v30, v5, v24, s16
	v_cndmask_b32_e64 v31, v4, v32, s16
	;; [unrolled: 1-line block ×5, first 2 shown]
	v_and_b32_e32 v5, v30, v69
	v_and_b32_e32 v4, v31, v68
	;; [unrolled: 1-line block ×4, first 2 shown]
	v_cndmask_b32_e64 v24, v32, v33, s16
	v_cmp_le_u64_e64 s17, v[4:5], v[16:17]
	s_and_b32 s17, s18, s17
	s_or_b32 s17, s19, s17
	v_cndmask_b32_e64 v22, v19, v20, s17
	v_cndmask_b32_e64 v4, v12, v67, s17
	;; [unrolled: 1-line block ×4, first 2 shown]
	v_add_nc_u32_e32 v23, 1, v22
	v_add_nc_u32_e32 v4, -1, v4
	v_cndmask_b32_e64 v20, v20, v23, s17
	v_min_u32_e32 v4, v23, v4
	v_cndmask_b32_e64 v19, v23, v19, s17
	v_cmp_lt_u32_e64 s19, v20, v67
	v_lshl_add_u32 v4, v4, 3, v11
	v_cmp_ge_u32_e64 s20, v19, v12
	ds_read_b64 v[4:5], v4
	s_waitcnt lgkmcnt(0)
	v_cndmask_b32_e64 v38, v5, v30, s17
	v_cndmask_b32_e64 v50, v4, v31, s17
	;; [unrolled: 1-line block ×4, first 2 shown]
	v_and_b32_e32 v5, v38, v69
	v_and_b32_e32 v4, v50, v68
	;; [unrolled: 1-line block ×4, first 2 shown]
	v_cmp_le_u64_e64 s18, v[4:5], v[16:17]
	s_and_b32 s18, s19, s18
	s_or_b32 s18, s20, s18
	v_cndmask_b32_e64 v26, v19, v20, s18
	v_cndmask_b32_e64 v4, v12, v67, s18
	v_add_nc_u32_e32 v23, 1, v26
	v_add_nc_u32_e32 v4, -1, v4
	v_cndmask_b32_e64 v20, v20, v23, s18
	v_min_u32_e32 v4, v23, v4
	v_cndmask_b32_e64 v19, v23, v19, s18
	v_cmp_lt_u32_e64 s20, v20, v67
	v_lshl_add_u32 v4, v4, 3, v11
	v_cmp_ge_u32_e64 s21, v19, v12
	ds_read_b64 v[4:5], v4
	s_waitcnt lgkmcnt(0)
	v_cndmask_b32_e64 v52, v5, v38, s18
	v_cndmask_b32_e64 v53, v4, v50, s18
	;; [unrolled: 1-line block ×5, first 2 shown]
	v_and_b32_e32 v5, v52, v69
	v_and_b32_e32 v4, v53, v68
	;; [unrolled: 1-line block ×4, first 2 shown]
	v_cndmask_b32_e64 v38, v50, v51, s18
	v_cmp_le_u64_e64 s19, v[4:5], v[16:17]
	s_and_b32 s19, s20, s19
	s_or_b32 s19, s21, s19
	v_cndmask_b32_e64 v27, v19, v20, s19
	v_cndmask_b32_e64 v4, v12, v67, s19
	;; [unrolled: 1-line block ×4, first 2 shown]
	v_add_nc_u32_e32 v23, 1, v27
	v_add_nc_u32_e32 v4, -1, v4
	v_cndmask_b32_e64 v20, v20, v23, s19
	v_min_u32_e32 v4, v23, v4
	v_cndmask_b32_e64 v19, v23, v19, s19
	v_cmp_lt_u32_e64 s21, v20, v67
	v_lshl_add_u32 v4, v4, 3, v11
	v_cmp_ge_u32_e64 s22, v19, v12
	ds_read_b64 v[4:5], v4
	s_waitcnt lgkmcnt(0)
	v_cndmask_b32_e64 v64, v5, v52, s19
	v_cndmask_b32_e64 v65, v4, v53, s19
	;; [unrolled: 1-line block ×4, first 2 shown]
	v_and_b32_e32 v5, v64, v69
	v_and_b32_e32 v4, v65, v68
	;; [unrolled: 1-line block ×4, first 2 shown]
	v_cmp_le_u64_e64 s20, v[4:5], v[16:17]
	s_and_b32 s20, s21, s20
	s_or_b32 s20, s22, s20
	v_cndmask_b32_e64 v28, v19, v20, s20
	v_cndmask_b32_e64 v4, v12, v67, s20
	v_add_nc_u32_e32 v23, 1, v28
	v_add_nc_u32_e32 v4, -1, v4
	v_cndmask_b32_e64 v20, v20, v23, s20
	v_min_u32_e32 v4, v23, v4
	v_cndmask_b32_e64 v19, v23, v19, s20
	v_cmp_lt_u32_e64 s22, v20, v67
	v_lshl_add_u32 v4, v4, 3, v11
	v_cmp_ge_u32_e64 s23, v19, v12
	ds_read_b64 v[4:5], v4
	s_waitcnt lgkmcnt(0)
	v_cndmask_b32_e64 v71, v5, v64, s20
	v_cndmask_b32_e64 v80, v4, v65, s20
	;; [unrolled: 1-line block ×4, first 2 shown]
	v_and_b32_e32 v5, v71, v69
	v_and_b32_e32 v4, v80, v68
	;; [unrolled: 1-line block ×4, first 2 shown]
	v_cmp_le_u64_e64 s21, v[4:5], v[16:17]
	s_and_b32 s21, s22, s21
	s_or_b32 s21, s23, s21
	v_cndmask_b32_e64 v29, v19, v20, s21
	v_cndmask_b32_e64 v4, v12, v67, s21
	;; [unrolled: 1-line block ×4, first 2 shown]
	v_add_nc_u32_e32 v23, 1, v29
	v_add_nc_u32_e32 v4, -1, v4
	v_cndmask_b32_e64 v9, v20, v23, s21
	v_min_u32_e32 v4, v23, v4
	v_cndmask_b32_e64 v19, v23, v19, s21
	v_lshl_add_u32 v20, v21, 3, v10
	v_cmp_lt_u32_e64 s23, v9, v67
	v_lshl_add_u32 v4, v4, 3, v11
	v_cmp_ge_u32_e64 s24, v19, v12
	v_lshl_add_u32 v12, v26, 3, v10
	ds_read_b64 v[4:5], v4
	s_waitcnt lgkmcnt(0)
	v_cndmask_b32_e64 v11, v5, v71, s21
	v_cndmask_b32_e64 v83, v4, v80, s21
	;; [unrolled: 1-line block ×4, first 2 shown]
	v_and_b32_e32 v5, v11, v69
	v_and_b32_e32 v4, v83, v68
	v_and_b32_e32 v17, v84, v69
	v_and_b32_e32 v16, v85, v68
	v_cmp_le_u64_e64 s22, v[4:5], v[16:17]
	v_lshl_add_u32 v16, v22, 3, v10
	ds_read_b64 v[4:5], v18
	ds_read_b64 v[20:21], v20
	v_lshl_add_u32 v17, v28, 3, v10
	v_lshl_add_u32 v18, v29, 3, v10
	s_and_b32 s22, s23, s22
	ds_read_b64 v[22:23], v16
	s_or_b32 s22, s24, s22
	v_lshl_add_u32 v16, v27, 3, v10
	v_cndmask_b32_e64 v9, v19, v9, s22
	v_cndmask_b32_e64 v19, v64, v66, s20
	;; [unrolled: 1-line block ×3, first 2 shown]
	v_lshl_add_u32 v9, v9, 3, v10
	ds_read_b64 v[26:27], v12
	ds_read_b64 v[28:29], v16
	;; [unrolled: 1-line block ×5, first 2 shown]
	v_cndmask_b32_e64 v18, v65, v70, s20
	v_cndmask_b32_e64 v9, v11, v84, s22
.LBB726_124:
	s_or_b32 exec_lo, exec_lo, s26
	; wave barrier
	s_waitcnt lgkmcnt(0)
	s_waitcnt_vscnt null, 0x0
	s_barrier
                                        ; implicit-def: $vgpr67
                                        ; implicit-def: $vgpr12
                                        ; implicit-def: $vgpr66
                                        ; implicit-def: $vgpr52
                                        ; implicit-def: $vgpr53
                                        ; implicit-def: $vgpr30
.LBB726_125:
	s_andn2_saveexec_b32 s21, s25
	s_cbranch_execz .LBB726_225
; %bb.126:
	s_load_dwordx2 s[16:17], s[8:9], 0x0
	v_mov_b32_e32 v10, 0
	s_waitcnt lgkmcnt(0)
	s_cmp_lt_u32 s13, s17
	s_cselect_b32 s13, 14, 20
	s_add_u32 s18, s8, s13
	s_addc_u32 s19, s9, 0
	s_cmp_lt_u32 s12, s16
	global_load_ushort v11, v10, s[18:19]
	s_cselect_b32 s12, 12, 18
	s_add_u32 s8, s8, s12
	s_addc_u32 s9, s9, 0
	global_load_ushort v10, v10, s[8:9]
	s_mov_b32 s9, exec_lo
	s_waitcnt vmcnt(1)
	v_mad_u32_u24 v11, v53, v11, v52
	s_waitcnt vmcnt(0)
	v_mul_lo_u32 v10, v11, v10
	v_add_lshl_u32 v68, v10, v30, 3
	v_cmpx_gt_u32_e32 0x800, v68
	s_cbranch_execz .LBB726_184
; %bb.127:
	v_mov_b32_e32 v10, v24
	v_mov_b32_e32 v31, v21
	v_mov_b32_e32 v11, v25
	v_mov_b32_e32 v30, v20
	s_mov_b32 s12, exec_lo
	v_cmpx_gt_i64_e64 v[24:25], v[0:1]
	s_cbranch_execz .LBB726_129
; %bb.128:
	v_mov_b32_e32 v11, v1
	v_mov_b32_e32 v31, v5
	v_mov_b32_e32 v10, v0
	v_mov_b32_e32 v0, v24
	v_mov_b32_e32 v30, v4
	v_mov_b32_e32 v4, v20
	v_mov_b32_e32 v1, v25
	v_mov_b32_e32 v5, v21
.LBB726_129:
	s_or_b32 exec_lo, exec_lo, s12
	v_mov_b32_e32 v65, v39
	v_mov_b32_e32 v53, v27
	v_mov_b32_e32 v64, v38
	v_mov_b32_e32 v52, v26
	s_mov_b32 s12, exec_lo
	v_cmpx_gt_i64_e64 v[38:39], v[32:33]
	s_cbranch_execz .LBB726_131
; %bb.130:
	v_mov_b32_e32 v65, v33
	v_mov_b32_e32 v53, v23
	v_mov_b32_e32 v64, v32
	v_mov_b32_e32 v32, v38
	v_mov_b32_e32 v52, v22
	v_mov_b32_e32 v22, v26
	v_mov_b32_e32 v33, v39
	v_mov_b32_e32 v23, v27
.LBB726_131:
	s_or_b32 exec_lo, exec_lo, s12
	v_mov_b32_e32 v24, v48
	v_mov_b32_e32 v55, v37
	v_mov_b32_e32 v25, v49
	v_mov_b32_e32 v54, v36
	s_mov_b32 s12, exec_lo
	v_cmpx_gt_i64_e64 v[18:19], v[36:37]
	s_cbranch_execz .LBB726_133
; %bb.132:
	v_mov_b32_e32 v24, v28
	v_mov_b32_e32 v55, v19
	v_mov_b32_e32 v25, v29
	v_mov_b32_e32 v28, v48
	v_mov_b32_e32 v54, v18
	v_mov_b32_e32 v18, v36
	v_mov_b32_e32 v29, v49
	v_mov_b32_e32 v19, v37
.LBB726_133:
	s_or_b32 exec_lo, exec_lo, s12
	v_mov_b32_e32 v20, v34
	v_mov_b32_e32 v36, v50
	v_mov_b32_e32 v21, v35
	v_mov_b32_e32 v37, v51
	s_mov_b32 s12, exec_lo
	v_cmpx_gt_i64_e64 v[8:9], v[50:51]
	s_cbranch_execz .LBB726_135
; %bb.134:
	v_mov_b32_e32 v21, v17
	v_mov_b32_e32 v37, v9
	v_mov_b32_e32 v20, v16
	v_mov_b32_e32 v16, v34
	v_mov_b32_e32 v36, v8
	v_mov_b32_e32 v8, v50
	v_mov_b32_e32 v17, v35
	v_mov_b32_e32 v9, v51
.LBB726_135:
	s_or_b32 exec_lo, exec_lo, s12
	v_cmp_gt_i64_e64 s8, v[32:33], v[10:11]
	v_mov_b32_e32 v26, v32
	v_mov_b32_e32 v35, v23
	;; [unrolled: 1-line block ×4, first 2 shown]
	s_and_saveexec_b32 s12, s8
	s_xor_b32 s8, exec_lo, s12
	s_cbranch_execz .LBB726_137
; %bb.136:
	v_mov_b32_e32 v27, v11
	v_mov_b32_e32 v35, v31
	v_mov_b32_e32 v26, v10
	v_mov_b32_e32 v10, v32
	v_mov_b32_e32 v34, v30
	v_mov_b32_e32 v31, v23
	v_mov_b32_e32 v11, v33
	v_mov_b32_e32 v30, v22
.LBB726_137:
	s_or_b32 exec_lo, exec_lo, s8
	v_mov_b32_e32 v50, v64
	v_mov_b32_e32 v33, v29
	v_mov_b32_e32 v51, v65
	v_mov_b32_e32 v32, v28
	s_mov_b32 s12, exec_lo
	v_cmpx_gt_i64_e64 v[54:55], v[64:65]
	s_cbranch_execz .LBB726_139
; %bb.138:
	v_mov_b32_e32 v50, v54
	v_mov_b32_e32 v32, v52
	v_mov_b32_e32 v51, v55
	v_mov_b32_e32 v33, v53
	v_mov_b32_e32 v53, v29
	v_mov_b32_e32 v54, v64
	v_mov_b32_e32 v52, v28
	v_mov_b32_e32 v55, v65
.LBB726_139:
	s_or_b32 exec_lo, exec_lo, s12
	v_mov_b32_e32 v23, v17
	v_mov_b32_e32 v29, v19
	v_mov_b32_e32 v22, v16
	v_mov_b32_e32 v28, v18
	s_mov_b32 s12, exec_lo
	v_cmpx_gt_i64_e64 v[36:37], v[18:19]
	;; [unrolled: 18-line block ×23, first 2 shown]
	s_cbranch_execz .LBB726_183
; %bb.182:
	v_mov_b32_e32 v51, v19
	v_mov_b32_e32 v49, v17
	;; [unrolled: 1-line block ×8, first 2 shown]
.LBB726_183:
	s_or_b32 exec_lo, exec_lo, s12
.LBB726_184:
	s_or_b32 exec_lo, exec_lo, s9
	v_and_b32_e32 v10, 0xffffff00, v68
	v_or_b32_e32 v31, 8, v67
	v_mov_b32_e32 v11, 0
	v_and_b32_e32 v53, 8, v67
	v_and_b32_e32 v86, 0xf0, v67
	v_sub_nc_u32_e64 v30, 0x800, v10 clamp
	s_mov_b32 s9, exec_lo
	v_lshlrev_b64 v[10:11], 3, v[10:11]
	v_min_u32_e32 v84, v30, v31
	v_lshlrev_b32_e32 v31, 3, v67
	v_min_u32_e32 v87, v30, v53
	v_add_co_u32 v11, null, v12, v10
	v_add_nc_u32_e32 v52, 8, v84
	v_add_co_u32 v10, null, 0x4000, v11
	v_min_u32_e32 v85, v30, v52
	v_sub_nc_u32_e32 v52, v84, v86
	v_add_nc_u32_e32 v12, v11, v31
	v_add_nc_u32_e32 v31, v10, v31
	v_sub_nc_u32_e32 v53, v85, v84
	v_min_u32_e32 v52, v87, v52
	ds_write_b64 v12, v[0:1]
	ds_write_b64 v31, v[4:5]
	ds_write_b64 v12, v[24:25] offset:8
	ds_write_b64 v31, v[20:21] offset:8
	;; [unrolled: 1-line block ×14, first 2 shown]
	v_sub_nc_u32_e64 v96, v87, v53 clamp
	; wave barrier
	v_cmpx_lt_u32_e64 v96, v52
	s_cbranch_execz .LBB726_188
; %bb.185:
	v_lshlrev_b32_e32 v53, 3, v86
	v_lshlrev_b32_e32 v54, 3, v84
	s_mov_b32 s12, 0
	v_add_co_u32 v53, null, v11, v53
	v_add_co_u32 v54, null, v11, v54
	.p2align	6
.LBB726_186:                            ; =>This Inner Loop Header: Depth=1
	v_add_nc_u32_e32 v55, v52, v96
	v_lshrrev_b32_e32 v55, 1, v55
	v_xad_u32 v64, v55, -1, v87
	v_lshl_add_u32 v65, v55, 3, v53
	v_lshl_add_u32 v68, v64, 3, v54
	ds_read_b64 v[64:65], v65
	ds_read_b64 v[68:69], v68
	s_waitcnt lgkmcnt(0)
	v_cmp_gt_i64_e64 s8, v[68:69], v[64:65]
	v_add_nc_u32_e32 v64, 1, v55
	v_cndmask_b32_e64 v52, v52, v55, s8
	v_cndmask_b32_e64 v96, v64, v96, s8
	v_cmp_ge_u32_e64 s8, v96, v52
	s_or_b32 s12, s8, s12
	s_andn2_b32 exec_lo, exec_lo, s12
	s_cbranch_execnz .LBB726_186
; %bb.187:
	s_or_b32 exec_lo, exec_lo, s12
.LBB726_188:
	s_or_b32 exec_lo, exec_lo, s9
	v_add_nc_u32_e32 v87, v84, v87
	v_add_nc_u32_e32 v86, v96, v86
	;; [unrolled: 1-line block ×5, first 2 shown]
	v_sub_nc_u32_e32 v87, v87, v96
	v_cmp_le_u32_e64 s8, v86, v84
	v_add_nc_u32_e32 v80, 16, v31
	v_add_nc_u32_e32 v81, 24, v12
	;; [unrolled: 1-line block ×3, first 2 shown]
	v_cmp_le_u32_e64 s9, v87, v85
	v_add_nc_u32_e32 v69, 32, v12
	v_add_nc_u32_e32 v70, 32, v31
	;; [unrolled: 1-line block ×8, first 2 shown]
	s_or_b32 s8, s8, s9
	s_and_saveexec_b32 s22, s8
	s_cbranch_execz .LBB726_194
; %bb.189:
	v_cmp_lt_u32_e64 s8, v86, v84
                                        ; implicit-def: $vgpr0_vgpr1
	s_and_saveexec_b32 s9, s8
; %bb.190:
	v_lshl_add_u32 v0, v86, 3, v11
	ds_read_b64 v[0:1], v0
; %bb.191:
	s_or_b32 exec_lo, exec_lo, s9
	v_cmp_ge_u32_e64 s9, v87, v85
	s_mov_b32 s13, exec_lo
                                        ; implicit-def: $vgpr8_vgpr9
	v_cmpx_lt_u32_e64 v87, v85
; %bb.192:
	v_lshl_add_u32 v4, v87, 3, v11
	ds_read_b64 v[8:9], v4
; %bb.193:
	s_or_b32 exec_lo, exec_lo, s13
	s_waitcnt lgkmcnt(0)
	v_cmp_le_i64_e64 s12, v[8:9], v[0:1]
	s_and_b32 s8, s8, s12
	s_or_b32 s8, s9, s8
	v_cndmask_b32_e64 v16, v87, v86, s8
	v_cndmask_b32_e64 v4, v85, v84, s8
	v_add_nc_u32_e32 v17, 1, v16
	v_add_nc_u32_e32 v4, -1, v4
	v_cndmask_b32_e64 v20, v86, v17, s8
	v_min_u32_e32 v4, v17, v4
	v_cndmask_b32_e64 v17, v17, v87, s8
	v_cmp_lt_u32_e64 s12, v20, v84
	v_lshl_add_u32 v4, v4, 3, v11
	v_cmp_ge_u32_e64 s13, v17, v85
	ds_read_b64 v[4:5], v4
	s_waitcnt lgkmcnt(0)
	v_cndmask_b32_e64 v19, v5, v9, s8
	v_cndmask_b32_e64 v18, v4, v8, s8
	;; [unrolled: 1-line block ×6, first 2 shown]
	v_cmp_le_i64_e64 s9, v[18:19], v[24:25]
	s_and_b32 s9, s12, s9
	s_or_b32 s9, s13, s9
	v_cndmask_b32_e64 v21, v17, v20, s9
	v_cndmask_b32_e64 v4, v85, v84, s9
	v_add_nc_u32_e32 v22, 1, v21
	v_add_nc_u32_e32 v4, -1, v4
	v_cndmask_b32_e64 v20, v20, v22, s9
	v_min_u32_e32 v4, v22, v4
	v_cndmask_b32_e64 v17, v22, v17, s9
	v_cmp_lt_u32_e64 s13, v20, v84
	v_lshl_add_u32 v4, v4, 3, v11
	v_cmp_ge_u32_e64 s15, v17, v85
	ds_read_b64 v[4:5], v4
	s_waitcnt lgkmcnt(0)
	v_cndmask_b32_e64 v33, v5, v19, s9
	v_cndmask_b32_e64 v32, v4, v18, s9
	v_cndmask_b32_e64 v37, v25, v5, s9
	v_cndmask_b32_e64 v36, v24, v4, s9
	v_cndmask_b32_e64 v25, v19, v25, s9
	v_cndmask_b32_e64 v24, v18, v24, s9
	v_cmp_le_i64_e64 s12, v[32:33], v[36:37]
	s_and_b32 s12, s13, s12
	s_or_b32 s12, s15, s12
	v_cndmask_b32_e64 v22, v17, v20, s12
	v_cndmask_b32_e64 v4, v85, v84, s12
	v_add_nc_u32_e32 v23, 1, v22
	v_add_nc_u32_e32 v4, -1, v4
	v_lshl_add_u32 v22, v22, 3, v10
	v_cndmask_b32_e64 v20, v20, v23, s12
	v_min_u32_e32 v4, v23, v4
	v_cndmask_b32_e64 v17, v23, v17, s12
	v_cmp_lt_u32_e64 s15, v20, v84
	v_lshl_add_u32 v4, v4, 3, v11
	v_cmp_ge_u32_e64 s16, v17, v85
	ds_read_b64 v[4:5], v4
	s_waitcnt lgkmcnt(0)
	v_cndmask_b32_e64 v39, v5, v33, s12
	v_cndmask_b32_e64 v38, v4, v32, s12
	v_cndmask_b32_e64 v51, v37, v5, s12
	v_cndmask_b32_e64 v50, v36, v4, s12
	v_cndmask_b32_e64 v33, v33, v37, s12
	v_cndmask_b32_e64 v32, v32, v36, s12
	v_cmp_le_i64_e64 s13, v[38:39], v[50:51]
	s_and_b32 s13, s15, s13
	s_or_b32 s13, s16, s13
	v_cndmask_b32_e64 v26, v17, v20, s13
	v_cndmask_b32_e64 v4, v85, v84, s13
	v_add_nc_u32_e32 v23, 1, v26
	v_add_nc_u32_e32 v4, -1, v4
	v_cndmask_b32_e64 v20, v20, v23, s13
	v_min_u32_e32 v4, v23, v4
	v_cndmask_b32_e64 v17, v23, v17, s13
	v_cmp_lt_u32_e64 s16, v20, v84
	v_lshl_add_u32 v4, v4, 3, v11
	v_cmp_ge_u32_e64 s17, v17, v85
	ds_read_b64 v[4:5], v4
	s_waitcnt lgkmcnt(0)
	v_cndmask_b32_e64 v87, v5, v39, s13
	v_cndmask_b32_e64 v86, v4, v38, s13
	;; [unrolled: 1-line block ×6, first 2 shown]
	v_cmp_le_i64_e64 s15, v[86:87], v[96:97]
	s_and_b32 s15, s16, s15
	s_or_b32 s15, s17, s15
	v_cndmask_b32_e64 v27, v17, v20, s15
	v_cndmask_b32_e64 v4, v85, v84, s15
	;; [unrolled: 1-line block ×4, first 2 shown]
	v_add_nc_u32_e32 v23, 1, v27
	v_add_nc_u32_e32 v4, -1, v4
	v_cndmask_b32_e64 v20, v20, v23, s15
	v_min_u32_e32 v4, v23, v4
	v_cndmask_b32_e64 v17, v23, v17, s15
	v_cmp_lt_u32_e64 s17, v20, v84
	v_lshl_add_u32 v4, v4, 3, v11
	v_cmp_ge_u32_e64 s18, v17, v85
	ds_read_b64 v[4:5], v4
	s_waitcnt lgkmcnt(0)
	v_cndmask_b32_e64 v99, v5, v87, s15
	v_cndmask_b32_e64 v98, v4, v86, s15
	;; [unrolled: 1-line block ×4, first 2 shown]
	v_cmp_le_i64_e64 s16, v[98:99], v[100:101]
	s_and_b32 s16, s17, s16
	s_or_b32 s16, s18, s16
	v_cndmask_b32_e64 v28, v17, v20, s16
	v_cndmask_b32_e64 v4, v85, v84, s16
	;; [unrolled: 1-line block ×4, first 2 shown]
	v_add_nc_u32_e32 v23, 1, v28
	v_add_nc_u32_e32 v4, -1, v4
	v_lshl_add_u32 v34, v28, 3, v10
	v_cndmask_b32_e64 v20, v20, v23, s16
	v_min_u32_e32 v4, v23, v4
	v_cndmask_b32_e64 v17, v23, v17, s16
	v_cmp_lt_u32_e64 s18, v20, v84
	v_lshl_add_u32 v4, v4, 3, v11
	v_cmp_ge_u32_e64 s19, v17, v85
	ds_read_b64 v[4:5], v4
	s_waitcnt lgkmcnt(0)
	v_cndmask_b32_e64 v103, v5, v99, s16
	v_cndmask_b32_e64 v102, v4, v98, s16
	;; [unrolled: 1-line block ×4, first 2 shown]
	v_cmp_le_i64_e64 s17, v[102:103], v[112:113]
	s_and_b32 s17, s18, s17
	s_or_b32 s17, s19, s17
	v_cndmask_b32_e64 v29, v17, v20, s17
	v_cndmask_b32_e64 v4, v85, v84, s17
	;; [unrolled: 1-line block ×4, first 2 shown]
	v_add_nc_u32_e32 v23, 1, v29
	v_add_nc_u32_e32 v4, -1, v4
	v_lshl_add_u32 v35, v29, 3, v10
	v_cndmask_b32_e64 v9, v20, v23, s17
	v_min_u32_e32 v4, v23, v4
	v_cmp_lt_u32_e64 s19, v9, v84
	v_lshl_add_u32 v4, v4, 3, v11
	ds_read_b64 v[4:5], v4
	s_waitcnt lgkmcnt(0)
	v_cndmask_b32_e64 v115, v5, v103, s17
	v_cndmask_b32_e64 v114, v4, v102, s17
	;; [unrolled: 1-line block ×4, first 2 shown]
	v_lshl_add_u32 v4, v16, 3, v10
	v_cndmask_b32_e64 v16, v23, v17, s17
	v_lshl_add_u32 v17, v21, 3, v10
	ds_read_b64 v[4:5], v4
	ds_read_b64 v[20:21], v17
	v_cmp_le_i64_e64 s18, v[114:115], v[116:117]
	v_cmp_ge_u32_e64 s20, v16, v85
	v_lshl_add_u32 v17, v27, 3, v10
	ds_read_b64 v[22:23], v22
	s_and_b32 s18, s19, s18
	s_or_b32 s18, s20, s18
	v_cndmask_b32_e64 v9, v16, v9, s18
	v_lshl_add_u32 v16, v26, 3, v10
	v_cndmask_b32_e64 v8, v114, v116, s18
	v_lshl_add_u32 v9, v9, 3, v10
	ds_read_b64 v[26:27], v16
	ds_read_b64 v[28:29], v17
	;; [unrolled: 1-line block ×5, first 2 shown]
	v_cndmask_b32_e64 v9, v115, v117, s18
.LBB726_194:
	s_or_b32 exec_lo, exec_lo, s22
	v_and_b32_e32 v86, 0xe0, v67
	v_and_b32_e32 v87, 24, v67
	s_mov_b32 s9, exec_lo
	; wave barrier
	v_or_b32_e32 v84, 16, v86
	v_min_u32_e32 v87, v30, v87
	ds_write_b64 v12, v[0:1]
	s_waitcnt lgkmcnt(8)
	ds_write_b64 v31, v[4:5]
	ds_write_b64 v82, v[24:25]
	s_waitcnt lgkmcnt(9)
	ds_write_b64 v83, v[20:21]
	;; [unrolled: 3-line block ×3, first 2 shown]
	ds_write_b64 v81, v[38:39]
	v_min_u32_e32 v84, v30, v84
	s_waitcnt lgkmcnt(11)
	ds_write_b64 v68, v[26:27]
	ds_write_b64 v69, v[36:37]
	s_waitcnt lgkmcnt(12)
	ds_write_b64 v70, v[28:29]
	ds_write_b64 v54, v[18:19]
	;; [unrolled: 3-line block ×4, first 2 shown]
	s_waitcnt lgkmcnt(15)
	ds_write_b64 v53, v[34:35]
	; wave barrier
	v_add_nc_u32_e32 v85, 16, v84
	v_sub_nc_u32_e32 v97, v84, v86
	v_min_u32_e32 v85, v30, v85
	v_min_u32_e32 v97, v87, v97
	v_sub_nc_u32_e32 v96, v85, v84
	v_sub_nc_u32_e64 v96, v87, v96 clamp
	v_cmpx_lt_u32_e64 v96, v97
	s_cbranch_execz .LBB726_198
; %bb.195:
	v_lshlrev_b32_e32 v98, 3, v86
	v_lshlrev_b32_e32 v99, 3, v84
	s_mov_b32 s12, 0
	v_add_co_u32 v98, null, v11, v98
	v_add_co_u32 v99, null, v11, v99
	.p2align	6
.LBB726_196:                            ; =>This Inner Loop Header: Depth=1
	v_add_nc_u32_e32 v100, v97, v96
	v_lshrrev_b32_e32 v112, 1, v100
	v_xad_u32 v100, v112, -1, v87
	v_lshl_add_u32 v101, v112, 3, v98
	v_lshl_add_u32 v102, v100, 3, v99
	ds_read_b64 v[100:101], v101
	ds_read_b64 v[102:103], v102
	s_waitcnt lgkmcnt(0)
	v_cmp_gt_i64_e64 s8, v[102:103], v[100:101]
	v_add_nc_u32_e32 v100, 1, v112
	v_cndmask_b32_e64 v97, v97, v112, s8
	v_cndmask_b32_e64 v96, v100, v96, s8
	v_cmp_ge_u32_e64 s8, v96, v97
	s_or_b32 s12, s8, s12
	s_andn2_b32 exec_lo, exec_lo, s12
	s_cbranch_execnz .LBB726_196
; %bb.197:
	s_or_b32 exec_lo, exec_lo, s12
.LBB726_198:
	s_or_b32 exec_lo, exec_lo, s9
	v_add_nc_u32_e32 v87, v84, v87
	v_add_nc_u32_e32 v86, v96, v86
	v_sub_nc_u32_e32 v87, v87, v96
	v_cmp_le_u32_e64 s8, v86, v84
	v_cmp_le_u32_e64 s9, v87, v85
	s_or_b32 s8, s8, s9
	s_and_saveexec_b32 s22, s8
	s_cbranch_execz .LBB726_204
; %bb.199:
	v_cmp_lt_u32_e64 s8, v86, v84
                                        ; implicit-def: $vgpr0_vgpr1
	s_and_saveexec_b32 s9, s8
; %bb.200:
	v_lshl_add_u32 v0, v86, 3, v11
	ds_read_b64 v[0:1], v0
; %bb.201:
	s_or_b32 exec_lo, exec_lo, s9
	v_cmp_ge_u32_e64 s9, v87, v85
	s_mov_b32 s13, exec_lo
                                        ; implicit-def: $vgpr8_vgpr9
	v_cmpx_lt_u32_e64 v87, v85
; %bb.202:
	v_lshl_add_u32 v4, v87, 3, v11
	ds_read_b64 v[8:9], v4
; %bb.203:
	s_or_b32 exec_lo, exec_lo, s13
	s_waitcnt lgkmcnt(0)
	v_cmp_le_i64_e64 s12, v[8:9], v[0:1]
	s_and_b32 s8, s8, s12
	s_or_b32 s8, s9, s8
	v_cndmask_b32_e64 v16, v87, v86, s8
	v_cndmask_b32_e64 v4, v85, v84, s8
	v_add_nc_u32_e32 v17, 1, v16
	v_add_nc_u32_e32 v4, -1, v4
	v_cndmask_b32_e64 v20, v86, v17, s8
	v_min_u32_e32 v4, v17, v4
	v_cndmask_b32_e64 v17, v17, v87, s8
	v_cmp_lt_u32_e64 s12, v20, v84
	v_lshl_add_u32 v4, v4, 3, v11
	v_cmp_ge_u32_e64 s13, v17, v85
	ds_read_b64 v[4:5], v4
	s_waitcnt lgkmcnt(0)
	v_cndmask_b32_e64 v19, v5, v9, s8
	v_cndmask_b32_e64 v18, v4, v8, s8
	;; [unrolled: 1-line block ×6, first 2 shown]
	v_cmp_le_i64_e64 s9, v[18:19], v[24:25]
	s_and_b32 s9, s12, s9
	s_or_b32 s9, s13, s9
	v_cndmask_b32_e64 v21, v17, v20, s9
	v_cndmask_b32_e64 v4, v85, v84, s9
	v_add_nc_u32_e32 v22, 1, v21
	v_add_nc_u32_e32 v4, -1, v4
	v_cndmask_b32_e64 v20, v20, v22, s9
	v_min_u32_e32 v4, v22, v4
	v_cndmask_b32_e64 v17, v22, v17, s9
	v_cmp_lt_u32_e64 s13, v20, v84
	v_lshl_add_u32 v4, v4, 3, v11
	v_cmp_ge_u32_e64 s15, v17, v85
	ds_read_b64 v[4:5], v4
	s_waitcnt lgkmcnt(0)
	v_cndmask_b32_e64 v33, v5, v19, s9
	v_cndmask_b32_e64 v32, v4, v18, s9
	;; [unrolled: 1-line block ×6, first 2 shown]
	v_cmp_le_i64_e64 s12, v[32:33], v[36:37]
	s_and_b32 s12, s13, s12
	s_or_b32 s12, s15, s12
	v_cndmask_b32_e64 v22, v17, v20, s12
	v_cndmask_b32_e64 v4, v85, v84, s12
	v_add_nc_u32_e32 v23, 1, v22
	v_add_nc_u32_e32 v4, -1, v4
	v_lshl_add_u32 v22, v22, 3, v10
	v_cndmask_b32_e64 v20, v20, v23, s12
	v_min_u32_e32 v4, v23, v4
	v_cndmask_b32_e64 v17, v23, v17, s12
	v_cmp_lt_u32_e64 s15, v20, v84
	v_lshl_add_u32 v4, v4, 3, v11
	v_cmp_ge_u32_e64 s16, v17, v85
	ds_read_b64 v[4:5], v4
	s_waitcnt lgkmcnt(0)
	v_cndmask_b32_e64 v39, v5, v33, s12
	v_cndmask_b32_e64 v38, v4, v32, s12
	;; [unrolled: 1-line block ×6, first 2 shown]
	v_cmp_le_i64_e64 s13, v[38:39], v[50:51]
	s_and_b32 s13, s15, s13
	s_or_b32 s13, s16, s13
	v_cndmask_b32_e64 v26, v17, v20, s13
	v_cndmask_b32_e64 v4, v85, v84, s13
	v_add_nc_u32_e32 v23, 1, v26
	v_add_nc_u32_e32 v4, -1, v4
	v_cndmask_b32_e64 v20, v20, v23, s13
	v_min_u32_e32 v4, v23, v4
	v_cndmask_b32_e64 v17, v23, v17, s13
	v_cmp_lt_u32_e64 s16, v20, v84
	v_lshl_add_u32 v4, v4, 3, v11
	v_cmp_ge_u32_e64 s17, v17, v85
	ds_read_b64 v[4:5], v4
	s_waitcnt lgkmcnt(0)
	v_cndmask_b32_e64 v87, v5, v39, s13
	v_cndmask_b32_e64 v86, v4, v38, s13
	;; [unrolled: 1-line block ×6, first 2 shown]
	v_cmp_le_i64_e64 s15, v[86:87], v[96:97]
	s_and_b32 s15, s16, s15
	s_or_b32 s15, s17, s15
	v_cndmask_b32_e64 v27, v17, v20, s15
	v_cndmask_b32_e64 v4, v85, v84, s15
	;; [unrolled: 1-line block ×4, first 2 shown]
	v_add_nc_u32_e32 v23, 1, v27
	v_add_nc_u32_e32 v4, -1, v4
	v_cndmask_b32_e64 v20, v20, v23, s15
	v_min_u32_e32 v4, v23, v4
	v_cndmask_b32_e64 v17, v23, v17, s15
	v_cmp_lt_u32_e64 s17, v20, v84
	v_lshl_add_u32 v4, v4, 3, v11
	v_cmp_ge_u32_e64 s18, v17, v85
	ds_read_b64 v[4:5], v4
	s_waitcnt lgkmcnt(0)
	v_cndmask_b32_e64 v99, v5, v87, s15
	v_cndmask_b32_e64 v98, v4, v86, s15
	;; [unrolled: 1-line block ×4, first 2 shown]
	v_cmp_le_i64_e64 s16, v[98:99], v[100:101]
	s_and_b32 s16, s17, s16
	s_or_b32 s16, s18, s16
	v_cndmask_b32_e64 v28, v17, v20, s16
	v_cndmask_b32_e64 v4, v85, v84, s16
	;; [unrolled: 1-line block ×4, first 2 shown]
	v_add_nc_u32_e32 v23, 1, v28
	v_add_nc_u32_e32 v4, -1, v4
	v_lshl_add_u32 v34, v28, 3, v10
	v_cndmask_b32_e64 v20, v20, v23, s16
	v_min_u32_e32 v4, v23, v4
	v_cndmask_b32_e64 v17, v23, v17, s16
	v_cmp_lt_u32_e64 s18, v20, v84
	v_lshl_add_u32 v4, v4, 3, v11
	v_cmp_ge_u32_e64 s19, v17, v85
	ds_read_b64 v[4:5], v4
	s_waitcnt lgkmcnt(0)
	v_cndmask_b32_e64 v103, v5, v99, s16
	v_cndmask_b32_e64 v102, v4, v98, s16
	v_cndmask_b32_e64 v113, v101, v5, s16
	v_cndmask_b32_e64 v112, v100, v4, s16
	v_cmp_le_i64_e64 s17, v[102:103], v[112:113]
	s_and_b32 s17, s18, s17
	s_or_b32 s17, s19, s17
	v_cndmask_b32_e64 v29, v17, v20, s17
	v_cndmask_b32_e64 v4, v85, v84, s17
	;; [unrolled: 1-line block ×4, first 2 shown]
	v_add_nc_u32_e32 v23, 1, v29
	v_add_nc_u32_e32 v4, -1, v4
	v_lshl_add_u32 v35, v29, 3, v10
	v_cndmask_b32_e64 v9, v20, v23, s17
	v_min_u32_e32 v4, v23, v4
	v_cmp_lt_u32_e64 s19, v9, v84
	v_lshl_add_u32 v4, v4, 3, v11
	ds_read_b64 v[4:5], v4
	s_waitcnt lgkmcnt(0)
	v_cndmask_b32_e64 v115, v5, v103, s17
	v_cndmask_b32_e64 v114, v4, v102, s17
	;; [unrolled: 1-line block ×4, first 2 shown]
	v_lshl_add_u32 v4, v16, 3, v10
	v_cndmask_b32_e64 v16, v23, v17, s17
	v_lshl_add_u32 v17, v21, 3, v10
	ds_read_b64 v[4:5], v4
	ds_read_b64 v[20:21], v17
	v_cmp_le_i64_e64 s18, v[114:115], v[116:117]
	v_cmp_ge_u32_e64 s20, v16, v85
	v_lshl_add_u32 v17, v27, 3, v10
	ds_read_b64 v[22:23], v22
	s_and_b32 s18, s19, s18
	s_or_b32 s18, s20, s18
	v_cndmask_b32_e64 v9, v16, v9, s18
	v_lshl_add_u32 v16, v26, 3, v10
	v_cndmask_b32_e64 v8, v114, v116, s18
	v_lshl_add_u32 v9, v9, 3, v10
	ds_read_b64 v[26:27], v16
	ds_read_b64 v[28:29], v17
	;; [unrolled: 1-line block ×5, first 2 shown]
	v_cndmask_b32_e64 v9, v115, v117, s18
.LBB726_204:
	s_or_b32 exec_lo, exec_lo, s22
	v_and_b32_e32 v86, 0xc0, v67
	v_and_b32_e32 v87, 56, v67
	s_mov_b32 s9, exec_lo
	; wave barrier
	v_or_b32_e32 v84, 32, v86
	v_min_u32_e32 v87, v30, v87
	ds_write_b64 v12, v[0:1]
	s_waitcnt lgkmcnt(8)
	ds_write_b64 v31, v[4:5]
	ds_write_b64 v82, v[24:25]
	s_waitcnt lgkmcnt(9)
	ds_write_b64 v83, v[20:21]
	;; [unrolled: 3-line block ×3, first 2 shown]
	ds_write_b64 v81, v[38:39]
	v_min_u32_e32 v84, v30, v84
	s_waitcnt lgkmcnt(11)
	ds_write_b64 v68, v[26:27]
	ds_write_b64 v69, v[36:37]
	s_waitcnt lgkmcnt(12)
	ds_write_b64 v70, v[28:29]
	ds_write_b64 v54, v[18:19]
	;; [unrolled: 3-line block ×4, first 2 shown]
	s_waitcnt lgkmcnt(15)
	ds_write_b64 v53, v[34:35]
	; wave barrier
	v_add_nc_u32_e32 v85, 32, v84
	v_sub_nc_u32_e32 v97, v84, v86
	v_min_u32_e32 v85, v30, v85
	v_min_u32_e32 v97, v87, v97
	v_sub_nc_u32_e32 v96, v85, v84
	v_sub_nc_u32_e64 v96, v87, v96 clamp
	v_cmpx_lt_u32_e64 v96, v97
	s_cbranch_execz .LBB726_208
; %bb.205:
	v_lshlrev_b32_e32 v98, 3, v86
	v_lshlrev_b32_e32 v99, 3, v84
	s_mov_b32 s12, 0
	v_add_co_u32 v98, null, v11, v98
	v_add_co_u32 v99, null, v11, v99
	.p2align	6
.LBB726_206:                            ; =>This Inner Loop Header: Depth=1
	v_add_nc_u32_e32 v100, v97, v96
	v_lshrrev_b32_e32 v112, 1, v100
	v_xad_u32 v100, v112, -1, v87
	v_lshl_add_u32 v101, v112, 3, v98
	v_lshl_add_u32 v102, v100, 3, v99
	ds_read_b64 v[100:101], v101
	ds_read_b64 v[102:103], v102
	s_waitcnt lgkmcnt(0)
	v_cmp_gt_i64_e64 s8, v[102:103], v[100:101]
	v_add_nc_u32_e32 v100, 1, v112
	v_cndmask_b32_e64 v97, v97, v112, s8
	v_cndmask_b32_e64 v96, v100, v96, s8
	v_cmp_ge_u32_e64 s8, v96, v97
	s_or_b32 s12, s8, s12
	s_andn2_b32 exec_lo, exec_lo, s12
	s_cbranch_execnz .LBB726_206
; %bb.207:
	s_or_b32 exec_lo, exec_lo, s12
.LBB726_208:
	s_or_b32 exec_lo, exec_lo, s9
	v_add_nc_u32_e32 v87, v84, v87
	v_add_nc_u32_e32 v86, v96, v86
	v_sub_nc_u32_e32 v87, v87, v96
	v_cmp_le_u32_e64 s8, v86, v84
	v_cmp_le_u32_e64 s9, v87, v85
	s_or_b32 s8, s8, s9
	s_and_saveexec_b32 s22, s8
	s_cbranch_execz .LBB726_214
; %bb.209:
	v_cmp_lt_u32_e64 s8, v86, v84
                                        ; implicit-def: $vgpr0_vgpr1
	s_and_saveexec_b32 s9, s8
; %bb.210:
	v_lshl_add_u32 v0, v86, 3, v11
	ds_read_b64 v[0:1], v0
; %bb.211:
	s_or_b32 exec_lo, exec_lo, s9
	v_cmp_ge_u32_e64 s9, v87, v85
	s_mov_b32 s13, exec_lo
                                        ; implicit-def: $vgpr8_vgpr9
	v_cmpx_lt_u32_e64 v87, v85
; %bb.212:
	v_lshl_add_u32 v4, v87, 3, v11
	ds_read_b64 v[8:9], v4
; %bb.213:
	s_or_b32 exec_lo, exec_lo, s13
	s_waitcnt lgkmcnt(0)
	v_cmp_le_i64_e64 s12, v[8:9], v[0:1]
	s_and_b32 s8, s8, s12
	s_or_b32 s8, s9, s8
	v_cndmask_b32_e64 v16, v87, v86, s8
	v_cndmask_b32_e64 v4, v85, v84, s8
	v_add_nc_u32_e32 v17, 1, v16
	v_add_nc_u32_e32 v4, -1, v4
	v_cndmask_b32_e64 v20, v86, v17, s8
	v_min_u32_e32 v4, v17, v4
	v_cndmask_b32_e64 v17, v17, v87, s8
	v_cmp_lt_u32_e64 s12, v20, v84
	v_lshl_add_u32 v4, v4, 3, v11
	v_cmp_ge_u32_e64 s13, v17, v85
	ds_read_b64 v[4:5], v4
	s_waitcnt lgkmcnt(0)
	v_cndmask_b32_e64 v19, v5, v9, s8
	v_cndmask_b32_e64 v18, v4, v8, s8
	;; [unrolled: 1-line block ×6, first 2 shown]
	v_cmp_le_i64_e64 s9, v[18:19], v[24:25]
	s_and_b32 s9, s12, s9
	s_or_b32 s9, s13, s9
	v_cndmask_b32_e64 v21, v17, v20, s9
	v_cndmask_b32_e64 v4, v85, v84, s9
	v_add_nc_u32_e32 v22, 1, v21
	v_add_nc_u32_e32 v4, -1, v4
	v_cndmask_b32_e64 v20, v20, v22, s9
	v_min_u32_e32 v4, v22, v4
	v_cndmask_b32_e64 v17, v22, v17, s9
	v_cmp_lt_u32_e64 s13, v20, v84
	v_lshl_add_u32 v4, v4, 3, v11
	v_cmp_ge_u32_e64 s15, v17, v85
	ds_read_b64 v[4:5], v4
	s_waitcnt lgkmcnt(0)
	v_cndmask_b32_e64 v33, v5, v19, s9
	v_cndmask_b32_e64 v32, v4, v18, s9
	v_cndmask_b32_e64 v37, v25, v5, s9
	v_cndmask_b32_e64 v36, v24, v4, s9
	v_cndmask_b32_e64 v25, v19, v25, s9
	v_cndmask_b32_e64 v24, v18, v24, s9
	v_cmp_le_i64_e64 s12, v[32:33], v[36:37]
	s_and_b32 s12, s13, s12
	s_or_b32 s12, s15, s12
	v_cndmask_b32_e64 v22, v17, v20, s12
	v_cndmask_b32_e64 v4, v85, v84, s12
	v_add_nc_u32_e32 v23, 1, v22
	v_add_nc_u32_e32 v4, -1, v4
	v_lshl_add_u32 v22, v22, 3, v10
	v_cndmask_b32_e64 v20, v20, v23, s12
	v_min_u32_e32 v4, v23, v4
	v_cndmask_b32_e64 v17, v23, v17, s12
	v_cmp_lt_u32_e64 s15, v20, v84
	v_lshl_add_u32 v4, v4, 3, v11
	v_cmp_ge_u32_e64 s16, v17, v85
	ds_read_b64 v[4:5], v4
	s_waitcnt lgkmcnt(0)
	v_cndmask_b32_e64 v39, v5, v33, s12
	v_cndmask_b32_e64 v38, v4, v32, s12
	;; [unrolled: 1-line block ×6, first 2 shown]
	v_cmp_le_i64_e64 s13, v[38:39], v[50:51]
	s_and_b32 s13, s15, s13
	s_or_b32 s13, s16, s13
	v_cndmask_b32_e64 v26, v17, v20, s13
	v_cndmask_b32_e64 v4, v85, v84, s13
	v_add_nc_u32_e32 v23, 1, v26
	v_add_nc_u32_e32 v4, -1, v4
	v_cndmask_b32_e64 v20, v20, v23, s13
	v_min_u32_e32 v4, v23, v4
	v_cndmask_b32_e64 v17, v23, v17, s13
	v_cmp_lt_u32_e64 s16, v20, v84
	v_lshl_add_u32 v4, v4, 3, v11
	v_cmp_ge_u32_e64 s17, v17, v85
	ds_read_b64 v[4:5], v4
	s_waitcnt lgkmcnt(0)
	v_cndmask_b32_e64 v87, v5, v39, s13
	v_cndmask_b32_e64 v86, v4, v38, s13
	;; [unrolled: 1-line block ×6, first 2 shown]
	v_cmp_le_i64_e64 s15, v[86:87], v[96:97]
	s_and_b32 s15, s16, s15
	s_or_b32 s15, s17, s15
	v_cndmask_b32_e64 v27, v17, v20, s15
	v_cndmask_b32_e64 v4, v85, v84, s15
	;; [unrolled: 1-line block ×4, first 2 shown]
	v_add_nc_u32_e32 v23, 1, v27
	v_add_nc_u32_e32 v4, -1, v4
	v_cndmask_b32_e64 v20, v20, v23, s15
	v_min_u32_e32 v4, v23, v4
	v_cndmask_b32_e64 v17, v23, v17, s15
	v_cmp_lt_u32_e64 s17, v20, v84
	v_lshl_add_u32 v4, v4, 3, v11
	v_cmp_ge_u32_e64 s18, v17, v85
	ds_read_b64 v[4:5], v4
	s_waitcnt lgkmcnt(0)
	v_cndmask_b32_e64 v99, v5, v87, s15
	v_cndmask_b32_e64 v98, v4, v86, s15
	;; [unrolled: 1-line block ×4, first 2 shown]
	v_cmp_le_i64_e64 s16, v[98:99], v[100:101]
	s_and_b32 s16, s17, s16
	s_or_b32 s16, s18, s16
	v_cndmask_b32_e64 v28, v17, v20, s16
	v_cndmask_b32_e64 v4, v85, v84, s16
	;; [unrolled: 1-line block ×4, first 2 shown]
	v_add_nc_u32_e32 v23, 1, v28
	v_add_nc_u32_e32 v4, -1, v4
	v_lshl_add_u32 v34, v28, 3, v10
	v_cndmask_b32_e64 v20, v20, v23, s16
	v_min_u32_e32 v4, v23, v4
	v_cndmask_b32_e64 v17, v23, v17, s16
	v_cmp_lt_u32_e64 s18, v20, v84
	v_lshl_add_u32 v4, v4, 3, v11
	v_cmp_ge_u32_e64 s19, v17, v85
	ds_read_b64 v[4:5], v4
	s_waitcnt lgkmcnt(0)
	v_cndmask_b32_e64 v103, v5, v99, s16
	v_cndmask_b32_e64 v102, v4, v98, s16
	;; [unrolled: 1-line block ×4, first 2 shown]
	v_cmp_le_i64_e64 s17, v[102:103], v[112:113]
	s_and_b32 s17, s18, s17
	s_or_b32 s17, s19, s17
	v_cndmask_b32_e64 v29, v17, v20, s17
	v_cndmask_b32_e64 v4, v85, v84, s17
	;; [unrolled: 1-line block ×4, first 2 shown]
	v_add_nc_u32_e32 v23, 1, v29
	v_add_nc_u32_e32 v4, -1, v4
	v_lshl_add_u32 v35, v29, 3, v10
	v_cndmask_b32_e64 v9, v20, v23, s17
	v_min_u32_e32 v4, v23, v4
	v_cmp_lt_u32_e64 s19, v9, v84
	v_lshl_add_u32 v4, v4, 3, v11
	ds_read_b64 v[4:5], v4
	s_waitcnt lgkmcnt(0)
	v_cndmask_b32_e64 v115, v5, v103, s17
	v_cndmask_b32_e64 v114, v4, v102, s17
	;; [unrolled: 1-line block ×4, first 2 shown]
	v_lshl_add_u32 v4, v16, 3, v10
	v_cndmask_b32_e64 v16, v23, v17, s17
	v_lshl_add_u32 v17, v21, 3, v10
	ds_read_b64 v[4:5], v4
	ds_read_b64 v[20:21], v17
	v_cmp_le_i64_e64 s18, v[114:115], v[116:117]
	v_cmp_ge_u32_e64 s20, v16, v85
	v_lshl_add_u32 v17, v27, 3, v10
	ds_read_b64 v[22:23], v22
	s_and_b32 s18, s19, s18
	s_or_b32 s18, s20, s18
	v_cndmask_b32_e64 v9, v16, v9, s18
	v_lshl_add_u32 v16, v26, 3, v10
	v_cndmask_b32_e64 v8, v114, v116, s18
	v_lshl_add_u32 v9, v9, 3, v10
	ds_read_b64 v[26:27], v16
	ds_read_b64 v[28:29], v17
	;; [unrolled: 1-line block ×5, first 2 shown]
	v_cndmask_b32_e64 v9, v115, v117, s18
.LBB726_214:
	s_or_b32 exec_lo, exec_lo, s22
	v_and_b32_e32 v84, 0x80, v67
	; wave barrier
	ds_write_b64 v12, v[0:1]
	s_waitcnt lgkmcnt(8)
	ds_write_b64 v31, v[4:5]
	ds_write_b64 v82, v[24:25]
	s_waitcnt lgkmcnt(9)
	ds_write_b64 v83, v[20:21]
	s_mov_b32 s9, exec_lo
	v_or_b32_e32 v67, 64, v84
	ds_write_b64 v71, v[32:33]
	s_waitcnt lgkmcnt(10)
	ds_write_b64 v80, v[22:23]
	ds_write_b64 v81, v[38:39]
	s_waitcnt lgkmcnt(11)
	ds_write_b64 v68, v[26:27]
	;; [unrolled: 3-line block ×6, first 2 shown]
	v_min_u32_e32 v67, v30, v67
	; wave barrier
	v_add_nc_u32_e32 v85, 64, v67
	v_min_u32_e32 v12, v30, v85
	v_min_u32_e32 v30, v30, v66
	v_sub_nc_u32_e32 v66, v67, v84
	v_sub_nc_u32_e32 v31, v12, v67
	v_min_u32_e32 v66, v30, v66
	v_sub_nc_u32_e64 v31, v30, v31 clamp
	v_cmpx_lt_u32_e64 v31, v66
	s_cbranch_execz .LBB726_218
; %bb.215:
	v_lshlrev_b32_e32 v52, 3, v84
	v_lshlrev_b32_e32 v53, 3, v67
	s_mov_b32 s12, 0
	v_add_co_u32 v52, null, v11, v52
	v_add_co_u32 v53, null, v11, v53
	.p2align	6
.LBB726_216:                            ; =>This Inner Loop Header: Depth=1
	v_add_nc_u32_e32 v54, v66, v31
	v_lshrrev_b32_e32 v68, 1, v54
	v_xad_u32 v54, v68, -1, v30
	v_lshl_add_u32 v55, v68, 3, v52
	v_lshl_add_u32 v64, v54, 3, v53
	ds_read_b64 v[54:55], v55
	ds_read_b64 v[64:65], v64
	s_waitcnt lgkmcnt(0)
	v_cmp_gt_i64_e64 s8, v[64:65], v[54:55]
	v_add_nc_u32_e32 v54, 1, v68
	v_cndmask_b32_e64 v66, v66, v68, s8
	v_cndmask_b32_e64 v31, v54, v31, s8
	v_cmp_ge_u32_e64 s8, v31, v66
	s_or_b32 s12, s8, s12
	s_andn2_b32 exec_lo, exec_lo, s12
	s_cbranch_execnz .LBB726_216
; %bb.217:
	s_or_b32 exec_lo, exec_lo, s12
.LBB726_218:
	s_or_b32 exec_lo, exec_lo, s9
	v_add_nc_u32_e32 v52, v67, v30
	v_add_nc_u32_e32 v30, v31, v84
	v_sub_nc_u32_e32 v31, v52, v31
	v_cmp_le_u32_e64 s8, v30, v67
	v_cmp_le_u32_e64 s9, v31, v12
	s_or_b32 s8, s8, s9
	s_and_saveexec_b32 s22, s8
	s_cbranch_execz .LBB726_224
; %bb.219:
	v_cmp_lt_u32_e64 s8, v30, v67
                                        ; implicit-def: $vgpr0_vgpr1
	s_and_saveexec_b32 s9, s8
; %bb.220:
	v_lshl_add_u32 v0, v30, 3, v11
	ds_read_b64 v[0:1], v0
; %bb.221:
	s_or_b32 exec_lo, exec_lo, s9
	v_cmp_ge_u32_e64 s9, v31, v12
	s_mov_b32 s13, exec_lo
                                        ; implicit-def: $vgpr8_vgpr9
	v_cmpx_lt_u32_e64 v31, v12
; %bb.222:
	v_lshl_add_u32 v4, v31, 3, v11
	ds_read_b64 v[8:9], v4
; %bb.223:
	s_or_b32 exec_lo, exec_lo, s13
	s_waitcnt lgkmcnt(0)
	v_cmp_le_i64_e64 s12, v[8:9], v[0:1]
	s_and_b32 s8, s8, s12
	s_or_b32 s8, s9, s8
	v_cndmask_b32_e64 v16, v31, v30, s8
	v_cndmask_b32_e64 v4, v12, v67, s8
	v_add_nc_u32_e32 v17, 1, v16
	v_add_nc_u32_e32 v4, -1, v4
	v_cndmask_b32_e64 v20, v30, v17, s8
	v_min_u32_e32 v4, v17, v4
	v_cndmask_b32_e64 v17, v17, v31, s8
	v_cmp_lt_u32_e64 s12, v20, v67
	v_lshl_add_u32 v4, v4, 3, v11
	v_cmp_ge_u32_e64 s13, v17, v12
	ds_read_b64 v[4:5], v4
	s_waitcnt lgkmcnt(0)
	v_cndmask_b32_e64 v19, v5, v9, s8
	v_cndmask_b32_e64 v18, v4, v8, s8
	v_cndmask_b32_e64 v25, v1, v5, s8
	v_cndmask_b32_e64 v24, v0, v4, s8
	v_cndmask_b32_e64 v1, v9, v1, s8
	v_cndmask_b32_e64 v0, v8, v0, s8
	v_cmp_le_i64_e64 s9, v[18:19], v[24:25]
	s_and_b32 s9, s12, s9
	s_or_b32 s9, s13, s9
	v_cndmask_b32_e64 v21, v17, v20, s9
	v_cndmask_b32_e64 v4, v12, v67, s9
	v_add_nc_u32_e32 v22, 1, v21
	v_add_nc_u32_e32 v4, -1, v4
	v_cndmask_b32_e64 v20, v20, v22, s9
	v_min_u32_e32 v4, v22, v4
	v_cndmask_b32_e64 v17, v22, v17, s9
	v_cmp_lt_u32_e64 s13, v20, v67
	v_lshl_add_u32 v4, v4, 3, v11
	v_cmp_ge_u32_e64 s15, v17, v12
	ds_read_b64 v[4:5], v4
	s_waitcnt lgkmcnt(0)
	v_cndmask_b32_e64 v31, v5, v19, s9
	v_cndmask_b32_e64 v30, v4, v18, s9
	v_cndmask_b32_e64 v33, v25, v5, s9
	v_cndmask_b32_e64 v32, v24, v4, s9
	v_cndmask_b32_e64 v25, v19, v25, s9
	v_cndmask_b32_e64 v24, v18, v24, s9
	;; [unrolled: 21-line block ×4, first 2 shown]
	v_cmp_le_i64_e64 s15, v[50:51], v[52:53]
	s_and_b32 s15, s16, s15
	s_or_b32 s15, s17, s15
	v_cndmask_b32_e64 v27, v17, v20, s15
	v_cndmask_b32_e64 v4, v12, v67, s15
	;; [unrolled: 1-line block ×4, first 2 shown]
	v_add_nc_u32_e32 v23, 1, v27
	v_add_nc_u32_e32 v4, -1, v4
	v_cndmask_b32_e64 v20, v20, v23, s15
	v_min_u32_e32 v4, v23, v4
	v_cndmask_b32_e64 v17, v23, v17, s15
	v_cmp_lt_u32_e64 s17, v20, v67
	v_lshl_add_u32 v4, v4, 3, v11
	v_cmp_ge_u32_e64 s18, v17, v12
	ds_read_b64 v[4:5], v4
	s_waitcnt lgkmcnt(0)
	v_cndmask_b32_e64 v55, v5, v51, s15
	v_cndmask_b32_e64 v54, v4, v50, s15
	;; [unrolled: 1-line block ×4, first 2 shown]
	v_cmp_le_i64_e64 s16, v[54:55], v[64:65]
	s_and_b32 s16, s17, s16
	s_or_b32 s16, s18, s16
	v_cndmask_b32_e64 v28, v17, v20, s16
	v_cndmask_b32_e64 v4, v12, v67, s16
	;; [unrolled: 1-line block ×4, first 2 shown]
	v_add_nc_u32_e32 v23, 1, v28
	v_add_nc_u32_e32 v4, -1, v4
	v_cndmask_b32_e64 v20, v20, v23, s16
	v_min_u32_e32 v4, v23, v4
	v_cndmask_b32_e64 v17, v23, v17, s16
	v_cmp_lt_u32_e64 s18, v20, v67
	v_lshl_add_u32 v4, v4, 3, v11
	v_cmp_ge_u32_e64 s19, v17, v12
	ds_read_b64 v[4:5], v4
	s_waitcnt lgkmcnt(0)
	v_cndmask_b32_e64 v69, v5, v55, s16
	v_cndmask_b32_e64 v68, v4, v54, s16
	;; [unrolled: 1-line block ×4, first 2 shown]
	v_cmp_le_i64_e64 s17, v[68:69], v[70:71]
	s_and_b32 s17, s18, s17
	s_or_b32 s17, s19, s17
	v_cndmask_b32_e64 v29, v17, v20, s17
	v_cndmask_b32_e64 v4, v12, v67, s17
	;; [unrolled: 1-line block ×4, first 2 shown]
	v_add_nc_u32_e32 v23, 1, v29
	v_add_nc_u32_e32 v4, -1, v4
	v_cndmask_b32_e64 v9, v20, v23, s17
	v_min_u32_e32 v4, v23, v4
	v_cmp_lt_u32_e64 s19, v9, v67
	v_lshl_add_u32 v4, v4, 3, v11
	v_cndmask_b32_e64 v11, v23, v17, s17
	v_lshl_add_u32 v17, v22, 3, v10
	ds_read_b64 v[4:5], v4
	v_cmp_ge_u32_e64 s20, v11, v12
	v_lshl_add_u32 v12, v27, 3, v10
	s_waitcnt lgkmcnt(0)
	v_cndmask_b32_e64 v81, v5, v69, s17
	v_cndmask_b32_e64 v80, v4, v68, s17
	;; [unrolled: 1-line block ×4, first 2 shown]
	v_lshl_add_u32 v4, v16, 3, v10
	v_lshl_add_u32 v16, v21, 3, v10
	ds_read_b64 v[4:5], v4
	ds_read_b64 v[20:21], v16
	v_cmp_le_i64_e64 s18, v[80:81], v[82:83]
	v_lshl_add_u32 v16, v28, 3, v10
	ds_read_b64 v[22:23], v17
	v_lshl_add_u32 v17, v29, 3, v10
	s_and_b32 s18, s19, s18
	s_or_b32 s18, s20, s18
	v_cndmask_b32_e64 v9, v11, v9, s18
	v_lshl_add_u32 v11, v26, 3, v10
	v_cndmask_b32_e64 v8, v80, v82, s18
	v_lshl_add_u32 v9, v9, 3, v10
	ds_read_b64 v[26:27], v11
	ds_read_b64 v[28:29], v12
	;; [unrolled: 1-line block ×5, first 2 shown]
	v_cndmask_b32_e64 v9, v81, v83, s18
.LBB726_224:
	s_or_b32 exec_lo, exec_lo, s22
	; wave barrier
	s_waitcnt lgkmcnt(0)
	s_waitcnt_vscnt null, 0x0
	s_barrier
.LBB726_225:
	s_or_b32 exec_lo, exec_lo, s21
	v_add_co_u32 v2, s8, v2, v14
	v_add_co_ci_u32_e64 v3, null, v3, v15, s8
	s_waitcnt vmcnt(0) lgkmcnt(0)
	s_waitcnt_vscnt null, 0x0
	buffer_gl0_inv
	v_add_co_u32 v2, s8, v2, v13
	v_add_co_ci_u32_e64 v3, null, 0, v3, s8
	; wave barrier
	s_and_saveexec_b32 s8, vcc_lo
	s_cbranch_execnz .LBB726_250
; %bb.226:
	s_or_b32 exec_lo, exec_lo, s8
	s_and_saveexec_b32 s8, s4
	s_cbranch_execnz .LBB726_251
.LBB726_227:
	s_or_b32 exec_lo, exec_lo, s8
	s_and_saveexec_b32 s8, s5
	s_cbranch_execnz .LBB726_252
.LBB726_228:
	s_or_b32 exec_lo, exec_lo, s8
	s_and_saveexec_b32 s8, s6
	s_cbranch_execnz .LBB726_253
.LBB726_229:
	s_or_b32 exec_lo, exec_lo, s8
	s_and_saveexec_b32 s8, s7
	s_cbranch_execnz .LBB726_254
.LBB726_230:
	s_or_b32 exec_lo, exec_lo, s8
	s_and_saveexec_b32 s8, s10
	s_cbranch_execnz .LBB726_255
.LBB726_231:
	s_or_b32 exec_lo, exec_lo, s8
	s_and_saveexec_b32 s8, s11
	s_cbranch_execnz .LBB726_256
.LBB726_232:
	s_or_b32 exec_lo, exec_lo, s8
	s_and_saveexec_b32 s8, s14
	s_cbranch_execz .LBB726_234
.LBB726_233:
	flat_store_dwordx2 v[2:3], v[8:9] offset:56
.LBB726_234:
	s_or_b32 exec_lo, exec_lo, s8
	v_add_co_u32 v0, s8, v6, v14
	v_add_co_ci_u32_e64 v1, null, v7, v15, s8
	v_add_co_u32 v0, s8, v0, v13
	v_add_co_ci_u32_e64 v1, null, 0, v1, s8
	; wave barrier
	s_and_saveexec_b32 s8, vcc_lo
	s_cbranch_execnz .LBB726_257
; %bb.235:
	s_or_b32 exec_lo, exec_lo, s8
	s_and_saveexec_b32 s8, s4
	s_cbranch_execnz .LBB726_258
.LBB726_236:
	s_or_b32 exec_lo, exec_lo, s8
	s_and_saveexec_b32 s4, s5
	s_cbranch_execnz .LBB726_259
.LBB726_237:
	s_or_b32 exec_lo, exec_lo, s4
	s_and_saveexec_b32 s4, s6
	s_cbranch_execnz .LBB726_260
.LBB726_238:
	s_or_b32 exec_lo, exec_lo, s4
	s_and_saveexec_b32 s4, s7
	s_cbranch_execnz .LBB726_261
.LBB726_239:
	s_or_b32 exec_lo, exec_lo, s4
	s_and_saveexec_b32 s4, s10
	s_cbranch_execnz .LBB726_262
.LBB726_240:
	s_or_b32 exec_lo, exec_lo, s4
	s_and_saveexec_b32 s4, s11
	s_cbranch_execnz .LBB726_263
.LBB726_241:
	s_or_b32 exec_lo, exec_lo, s4
	s_and_saveexec_b32 s4, s14
	s_cbranch_execnz .LBB726_264
.LBB726_242:
	s_or_b32 exec_lo, exec_lo, s4
	s_waitcnt lgkmcnt(0)
	s_setpc_b64 s[30:31]
.LBB726_243:
	flat_load_dwordx2 v[4:5], v[52:53]
	s_or_b32 exec_lo, exec_lo, s15
                                        ; implicit-def: $vgpr20_vgpr21
	s_and_saveexec_b32 s15, s4
	s_cbranch_execz .LBB726_18
.LBB726_244:
	flat_load_dwordx2 v[20:21], v[52:53] offset:8
	s_or_b32 exec_lo, exec_lo, s15
                                        ; implicit-def: $vgpr22_vgpr23
	s_and_saveexec_b32 s15, s5
	s_cbranch_execz .LBB726_19
.LBB726_245:
	flat_load_dwordx2 v[22:23], v[52:53] offset:16
	s_or_b32 exec_lo, exec_lo, s15
                                        ; implicit-def: $vgpr26_vgpr27
	s_and_saveexec_b32 s15, s6
	s_cbranch_execz .LBB726_20
.LBB726_246:
	flat_load_dwordx2 v[26:27], v[52:53] offset:24
	s_or_b32 exec_lo, exec_lo, s15
                                        ; implicit-def: $vgpr28_vgpr29
	s_and_saveexec_b32 s15, s7
	s_cbranch_execz .LBB726_21
.LBB726_247:
	flat_load_dwordx2 v[28:29], v[52:53] offset:32
	s_or_b32 exec_lo, exec_lo, s15
                                        ; implicit-def: $vgpr48_vgpr49
	s_and_saveexec_b32 s15, s10
	s_cbranch_execz .LBB726_22
.LBB726_248:
	flat_load_dwordx2 v[48:49], v[52:53] offset:40
	s_or_b32 exec_lo, exec_lo, s15
                                        ; implicit-def: $vgpr16_vgpr17
	s_and_saveexec_b32 s15, s11
	s_cbranch_execz .LBB726_23
.LBB726_249:
	flat_load_dwordx2 v[16:17], v[52:53] offset:48
	s_or_b32 exec_lo, exec_lo, s15
                                        ; implicit-def: $vgpr34_vgpr35
	s_and_saveexec_b32 s15, s14
	s_cbranch_execnz .LBB726_24
	s_branch .LBB726_25
.LBB726_250:
	flat_store_dwordx2 v[2:3], v[0:1]
	s_or_b32 exec_lo, exec_lo, s8
	s_and_saveexec_b32 s8, s4
	s_cbranch_execz .LBB726_227
.LBB726_251:
	flat_store_dwordx2 v[2:3], v[24:25] offset:8
	s_or_b32 exec_lo, exec_lo, s8
	s_and_saveexec_b32 s8, s5
	s_cbranch_execz .LBB726_228
.LBB726_252:
	flat_store_dwordx2 v[2:3], v[32:33] offset:16
	s_or_b32 exec_lo, exec_lo, s8
	s_and_saveexec_b32 s8, s6
	s_cbranch_execz .LBB726_229
.LBB726_253:
	flat_store_dwordx2 v[2:3], v[38:39] offset:24
	s_or_b32 exec_lo, exec_lo, s8
	s_and_saveexec_b32 s8, s7
	s_cbranch_execz .LBB726_230
.LBB726_254:
	flat_store_dwordx2 v[2:3], v[36:37] offset:32
	s_or_b32 exec_lo, exec_lo, s8
	s_and_saveexec_b32 s8, s10
	s_cbranch_execz .LBB726_231
.LBB726_255:
	flat_store_dwordx2 v[2:3], v[18:19] offset:40
	s_or_b32 exec_lo, exec_lo, s8
	s_and_saveexec_b32 s8, s11
	s_cbranch_execz .LBB726_232
.LBB726_256:
	flat_store_dwordx2 v[2:3], v[50:51] offset:48
	s_or_b32 exec_lo, exec_lo, s8
	s_and_saveexec_b32 s8, s14
	s_cbranch_execnz .LBB726_233
	s_branch .LBB726_234
.LBB726_257:
	flat_store_dwordx2 v[0:1], v[4:5]
	s_or_b32 exec_lo, exec_lo, s8
	s_and_saveexec_b32 s8, s4
	s_cbranch_execz .LBB726_236
.LBB726_258:
	flat_store_dwordx2 v[0:1], v[20:21] offset:8
	s_or_b32 exec_lo, exec_lo, s8
	s_and_saveexec_b32 s4, s5
	s_cbranch_execz .LBB726_237
.LBB726_259:
	flat_store_dwordx2 v[0:1], v[22:23] offset:16
	s_or_b32 exec_lo, exec_lo, s4
	s_and_saveexec_b32 s4, s6
	s_cbranch_execz .LBB726_238
.LBB726_260:
	flat_store_dwordx2 v[0:1], v[26:27] offset:24
	s_or_b32 exec_lo, exec_lo, s4
	s_and_saveexec_b32 s4, s7
	s_cbranch_execz .LBB726_239
.LBB726_261:
	flat_store_dwordx2 v[0:1], v[28:29] offset:32
	s_or_b32 exec_lo, exec_lo, s4
	s_and_saveexec_b32 s4, s10
	s_cbranch_execz .LBB726_240
.LBB726_262:
	flat_store_dwordx2 v[0:1], v[48:49] offset:40
	s_or_b32 exec_lo, exec_lo, s4
	s_and_saveexec_b32 s4, s11
	s_cbranch_execz .LBB726_241
.LBB726_263:
	flat_store_dwordx2 v[0:1], v[16:17] offset:48
	s_or_b32 exec_lo, exec_lo, s4
	s_and_saveexec_b32 s4, s14
	s_cbranch_execz .LBB726_242
.LBB726_264:
	flat_store_dwordx2 v[0:1], v[34:35] offset:56
	s_or_b32 exec_lo, exec_lo, s4
	s_waitcnt lgkmcnt(0)
	s_setpc_b64 s[30:31]
.Lfunc_end726:
	.size	_ZN7rocprim17ROCPRIM_400000_NS6detail26segmented_warp_sort_helperINS1_20WarpSortHelperConfigILj16ELj8ELj256EEEllLi256ELb1EvE4sortIPKlPlS8_S9_EEvT_T0_T1_T2_jjjjRNS5_12storage_typeE, .Lfunc_end726-_ZN7rocprim17ROCPRIM_400000_NS6detail26segmented_warp_sort_helperINS1_20WarpSortHelperConfigILj16ELj8ELj256EEEllLi256ELb1EvE4sortIPKlPlS8_S9_EEvT_T0_T1_T2_jjjjRNS5_12storage_typeE
                                        ; -- End function
	.set .L_ZN7rocprim17ROCPRIM_400000_NS6detail26segmented_warp_sort_helperINS1_20WarpSortHelperConfigILj16ELj8ELj256EEEllLi256ELb1EvE4sortIPKlPlS8_S9_EEvT_T0_T1_T2_jjjjRNS5_12storage_typeE.num_vgpr, 130
	.set .L_ZN7rocprim17ROCPRIM_400000_NS6detail26segmented_warp_sort_helperINS1_20WarpSortHelperConfigILj16ELj8ELj256EEEllLi256ELb1EvE4sortIPKlPlS8_S9_EEvT_T0_T1_T2_jjjjRNS5_12storage_typeE.num_agpr, 0
	.set .L_ZN7rocprim17ROCPRIM_400000_NS6detail26segmented_warp_sort_helperINS1_20WarpSortHelperConfigILj16ELj8ELj256EEEllLi256ELb1EvE4sortIPKlPlS8_S9_EEvT_T0_T1_T2_jjjjRNS5_12storage_typeE.numbered_sgpr, 32
	.set .L_ZN7rocprim17ROCPRIM_400000_NS6detail26segmented_warp_sort_helperINS1_20WarpSortHelperConfigILj16ELj8ELj256EEEllLi256ELb1EvE4sortIPKlPlS8_S9_EEvT_T0_T1_T2_jjjjRNS5_12storage_typeE.num_named_barrier, 0
	.set .L_ZN7rocprim17ROCPRIM_400000_NS6detail26segmented_warp_sort_helperINS1_20WarpSortHelperConfigILj16ELj8ELj256EEEllLi256ELb1EvE4sortIPKlPlS8_S9_EEvT_T0_T1_T2_jjjjRNS5_12storage_typeE.private_seg_size, 0
	.set .L_ZN7rocprim17ROCPRIM_400000_NS6detail26segmented_warp_sort_helperINS1_20WarpSortHelperConfigILj16ELj8ELj256EEEllLi256ELb1EvE4sortIPKlPlS8_S9_EEvT_T0_T1_T2_jjjjRNS5_12storage_typeE.uses_vcc, 1
	.set .L_ZN7rocprim17ROCPRIM_400000_NS6detail26segmented_warp_sort_helperINS1_20WarpSortHelperConfigILj16ELj8ELj256EEEllLi256ELb1EvE4sortIPKlPlS8_S9_EEvT_T0_T1_T2_jjjjRNS5_12storage_typeE.uses_flat_scratch, 0
	.set .L_ZN7rocprim17ROCPRIM_400000_NS6detail26segmented_warp_sort_helperINS1_20WarpSortHelperConfigILj16ELj8ELj256EEEllLi256ELb1EvE4sortIPKlPlS8_S9_EEvT_T0_T1_T2_jjjjRNS5_12storage_typeE.has_dyn_sized_stack, 0
	.set .L_ZN7rocprim17ROCPRIM_400000_NS6detail26segmented_warp_sort_helperINS1_20WarpSortHelperConfigILj16ELj8ELj256EEEllLi256ELb1EvE4sortIPKlPlS8_S9_EEvT_T0_T1_T2_jjjjRNS5_12storage_typeE.has_recursion, 0
	.set .L_ZN7rocprim17ROCPRIM_400000_NS6detail26segmented_warp_sort_helperINS1_20WarpSortHelperConfigILj16ELj8ELj256EEEllLi256ELb1EvE4sortIPKlPlS8_S9_EEvT_T0_T1_T2_jjjjRNS5_12storage_typeE.has_indirect_call, 0
	.section	.AMDGPU.csdata,"",@progbits
; Function info:
; codeLenInByte = 20140
; TotalNumSgprs: 34
; NumVgprs: 130
; ScratchSize: 0
; MemoryBound: 0
	.section	.text._ZN7rocprim17ROCPRIM_400000_NS6detail17trampoline_kernelINS0_14default_configENS1_36segmented_radix_sort_config_selectorIllEEZNS1_25segmented_radix_sort_implIS3_Lb1EPKlPlS8_S9_N2at6native12_GLOBAL__N_18offset_tEEE10hipError_tPvRmT1_PNSt15iterator_traitsISH_E10value_typeET2_T3_PNSI_ISN_E10value_typeET4_jRbjT5_ST_jjP12ihipStream_tbEUlT_E1_NS1_11comp_targetILNS1_3genE8ELNS1_11target_archE1030ELNS1_3gpuE2ELNS1_3repE0EEENS1_59segmented_radix_sort_warp_sort_small_config_static_selectorELNS0_4arch9wavefront6targetE0EEEvSH_,"axG",@progbits,_ZN7rocprim17ROCPRIM_400000_NS6detail17trampoline_kernelINS0_14default_configENS1_36segmented_radix_sort_config_selectorIllEEZNS1_25segmented_radix_sort_implIS3_Lb1EPKlPlS8_S9_N2at6native12_GLOBAL__N_18offset_tEEE10hipError_tPvRmT1_PNSt15iterator_traitsISH_E10value_typeET2_T3_PNSI_ISN_E10value_typeET4_jRbjT5_ST_jjP12ihipStream_tbEUlT_E1_NS1_11comp_targetILNS1_3genE8ELNS1_11target_archE1030ELNS1_3gpuE2ELNS1_3repE0EEENS1_59segmented_radix_sort_warp_sort_small_config_static_selectorELNS0_4arch9wavefront6targetE0EEEvSH_,comdat
	.globl	_ZN7rocprim17ROCPRIM_400000_NS6detail17trampoline_kernelINS0_14default_configENS1_36segmented_radix_sort_config_selectorIllEEZNS1_25segmented_radix_sort_implIS3_Lb1EPKlPlS8_S9_N2at6native12_GLOBAL__N_18offset_tEEE10hipError_tPvRmT1_PNSt15iterator_traitsISH_E10value_typeET2_T3_PNSI_ISN_E10value_typeET4_jRbjT5_ST_jjP12ihipStream_tbEUlT_E1_NS1_11comp_targetILNS1_3genE8ELNS1_11target_archE1030ELNS1_3gpuE2ELNS1_3repE0EEENS1_59segmented_radix_sort_warp_sort_small_config_static_selectorELNS0_4arch9wavefront6targetE0EEEvSH_ ; -- Begin function _ZN7rocprim17ROCPRIM_400000_NS6detail17trampoline_kernelINS0_14default_configENS1_36segmented_radix_sort_config_selectorIllEEZNS1_25segmented_radix_sort_implIS3_Lb1EPKlPlS8_S9_N2at6native12_GLOBAL__N_18offset_tEEE10hipError_tPvRmT1_PNSt15iterator_traitsISH_E10value_typeET2_T3_PNSI_ISN_E10value_typeET4_jRbjT5_ST_jjP12ihipStream_tbEUlT_E1_NS1_11comp_targetILNS1_3genE8ELNS1_11target_archE1030ELNS1_3gpuE2ELNS1_3repE0EEENS1_59segmented_radix_sort_warp_sort_small_config_static_selectorELNS0_4arch9wavefront6targetE0EEEvSH_
	.p2align	8
	.type	_ZN7rocprim17ROCPRIM_400000_NS6detail17trampoline_kernelINS0_14default_configENS1_36segmented_radix_sort_config_selectorIllEEZNS1_25segmented_radix_sort_implIS3_Lb1EPKlPlS8_S9_N2at6native12_GLOBAL__N_18offset_tEEE10hipError_tPvRmT1_PNSt15iterator_traitsISH_E10value_typeET2_T3_PNSI_ISN_E10value_typeET4_jRbjT5_ST_jjP12ihipStream_tbEUlT_E1_NS1_11comp_targetILNS1_3genE8ELNS1_11target_archE1030ELNS1_3gpuE2ELNS1_3repE0EEENS1_59segmented_radix_sort_warp_sort_small_config_static_selectorELNS0_4arch9wavefront6targetE0EEEvSH_,@function
_ZN7rocprim17ROCPRIM_400000_NS6detail17trampoline_kernelINS0_14default_configENS1_36segmented_radix_sort_config_selectorIllEEZNS1_25segmented_radix_sort_implIS3_Lb1EPKlPlS8_S9_N2at6native12_GLOBAL__N_18offset_tEEE10hipError_tPvRmT1_PNSt15iterator_traitsISH_E10value_typeET2_T3_PNSI_ISN_E10value_typeET4_jRbjT5_ST_jjP12ihipStream_tbEUlT_E1_NS1_11comp_targetILNS1_3genE8ELNS1_11target_archE1030ELNS1_3gpuE2ELNS1_3repE0EEENS1_59segmented_radix_sort_warp_sort_small_config_static_selectorELNS0_4arch9wavefront6targetE0EEEvSH_: ; @_ZN7rocprim17ROCPRIM_400000_NS6detail17trampoline_kernelINS0_14default_configENS1_36segmented_radix_sort_config_selectorIllEEZNS1_25segmented_radix_sort_implIS3_Lb1EPKlPlS8_S9_N2at6native12_GLOBAL__N_18offset_tEEE10hipError_tPvRmT1_PNSt15iterator_traitsISH_E10value_typeET2_T3_PNSI_ISN_E10value_typeET4_jRbjT5_ST_jjP12ihipStream_tbEUlT_E1_NS1_11comp_targetILNS1_3genE8ELNS1_11target_archE1030ELNS1_3gpuE2ELNS1_3repE0EEENS1_59segmented_radix_sort_warp_sort_small_config_static_selectorELNS0_4arch9wavefront6targetE0EEEvSH_
; %bb.0:
	s_add_u32 s0, s0, s8
	s_load_dword s8, s[4:5], 0x64
	s_addc_u32 s1, s1, 0
	s_mov_b32 s32, 0
	s_waitcnt lgkmcnt(0)
	s_lshr_b32 s9, s8, 16
	s_and_b32 s8, s8, 0xffff
	v_mad_u32_u24 v3, v2, s9, v1
	s_load_dword s9, s[4:5], 0x34
	v_mad_u64_u32 v[3:4], null, v3, s8, v[0:1]
	s_mov_b32 s8, exec_lo
	v_lshrrev_b32_e32 v3, 4, v3
	v_lshl_add_u32 v3, s6, 4, v3
	s_waitcnt lgkmcnt(0)
	v_cmpx_gt_u32_e64 s9, v3
	s_cbranch_execz .LBB727_6
; %bb.1:
	s_clause 0x1
	s_load_dwordx2 s[12:13], s[4:5], 0x38
	s_load_dwordx4 s[8:11], s[4:5], 0x40
	v_mov_b32_e32 v4, 0
	v_lshlrev_b64 v[3:4], 2, v[3:4]
	s_waitcnt lgkmcnt(0)
	v_sub_co_u32 v3, vcc_lo, s12, v3
	v_sub_co_ci_u32_e64 v4, null, s13, v4, vcc_lo
	global_load_dword v3, v[3:4], off offset:-4
	s_waitcnt vmcnt(0)
	v_add_nc_u32_e32 v4, s9, v3
	v_add_nc_u32_e32 v3, s11, v3
	v_mul_lo_u32 v40, v4, s8
	v_mul_lo_u32 v41, v3, s10
	v_cmp_gt_u32_e32 vcc_lo, v41, v40
	s_and_b32 exec_lo, exec_lo, vcc_lo
	s_cbranch_execz .LBB727_6
; %bb.2:
	s_clause 0x3
	s_load_dword s8, s[4:5], 0x30
	s_load_dwordx4 s[44:47], s[4:5], 0x20
	s_load_dwordx8 s[36:43], s[4:5], 0x0
	s_load_dwordx2 s[28:29], s[4:5], 0x50
	v_lshlrev_b32_e32 v43, 20, v2
	v_lshlrev_b32_e32 v44, 10, v1
	s_waitcnt lgkmcnt(0)
	s_bitcmp0_b32 s8, 0
	s_mov_b32 s8, -1
	s_cbranch_scc0 .LBB727_4
; %bb.3:
	s_mov_b64 s[10:11], src_shared_base
	v_or3_b32 v31, v0, v44, v43
	v_mov_b32_e32 v42, v0
	v_mov_b32_e32 v0, s36
	;; [unrolled: 1-line block ×15, first 2 shown]
	s_add_u32 s8, s4, 0x58
	s_addc_u32 s9, s5, 0
	s_getpc_b64 s[14:15]
	s_add_u32 s14, s14, _ZN7rocprim17ROCPRIM_400000_NS6detail26segmented_warp_sort_helperINS1_20WarpSortHelperConfigILj16ELj8ELj256EEEllLi256ELb1EvE4sortIPKlPlS8_S9_EEvT_T0_T1_T2_jjjjRNS5_12storage_typeE@rel32@lo+4
	s_addc_u32 s15, s15, _ZN7rocprim17ROCPRIM_400000_NS6detail26segmented_warp_sort_helperINS1_20WarpSortHelperConfigILj16ELj8ELj256EEEllLi256ELb1EvE4sortIPKlPlS8_S9_EEvT_T0_T1_T2_jjjjRNS5_12storage_typeE@rel32@hi+12
	s_mov_b32 s12, s6
	s_mov_b32 s13, s7
	s_mov_b64 s[34:35], s[4:5]
	s_mov_b32 s27, s7
	s_mov_b32 s33, s6
	s_swappc_b64 s[30:31], s[14:15]
	v_mov_b32_e32 v0, v42
	s_mov_b32 s6, s33
	s_mov_b32 s7, s27
	s_mov_b64 s[4:5], s[34:35]
	s_mov_b32 s8, 0
.LBB727_4:
	s_andn2_b32 vcc_lo, exec_lo, s8
	s_cbranch_vccnz .LBB727_6
; %bb.5:
	s_mov_b64 s[10:11], src_shared_base
	v_or3_b32 v31, v0, v44, v43
	v_mov_b32_e32 v0, s36
	v_mov_b32_e32 v1, s37
	;; [unrolled: 1-line block ×14, first 2 shown]
	s_add_u32 s8, s4, 0x58
	s_addc_u32 s9, s5, 0
	s_getpc_b64 s[4:5]
	s_add_u32 s4, s4, _ZN7rocprim17ROCPRIM_400000_NS6detail26segmented_warp_sort_helperINS1_20WarpSortHelperConfigILj16ELj8ELj256EEEllLi256ELb1EvE4sortIPKlPlS8_S9_EEvT_T0_T1_T2_jjjjRNS5_12storage_typeE@rel32@lo+4
	s_addc_u32 s5, s5, _ZN7rocprim17ROCPRIM_400000_NS6detail26segmented_warp_sort_helperINS1_20WarpSortHelperConfigILj16ELj8ELj256EEEllLi256ELb1EvE4sortIPKlPlS8_S9_EEvT_T0_T1_T2_jjjjRNS5_12storage_typeE@rel32@hi+12
	s_mov_b32 s12, s6
	s_mov_b32 s13, s7
	s_swappc_b64 s[30:31], s[4:5]
.LBB727_6:
	s_endpgm
	.section	.rodata,"a",@progbits
	.p2align	6, 0x0
	.amdhsa_kernel _ZN7rocprim17ROCPRIM_400000_NS6detail17trampoline_kernelINS0_14default_configENS1_36segmented_radix_sort_config_selectorIllEEZNS1_25segmented_radix_sort_implIS3_Lb1EPKlPlS8_S9_N2at6native12_GLOBAL__N_18offset_tEEE10hipError_tPvRmT1_PNSt15iterator_traitsISH_E10value_typeET2_T3_PNSI_ISN_E10value_typeET4_jRbjT5_ST_jjP12ihipStream_tbEUlT_E1_NS1_11comp_targetILNS1_3genE8ELNS1_11target_archE1030ELNS1_3gpuE2ELNS1_3repE0EEENS1_59segmented_radix_sort_warp_sort_small_config_static_selectorELNS0_4arch9wavefront6targetE0EEEvSH_
		.amdhsa_group_segment_fixed_size 32768
		.amdhsa_private_segment_fixed_size 0
		.amdhsa_kernarg_size 344
		.amdhsa_user_sgpr_count 6
		.amdhsa_user_sgpr_private_segment_buffer 1
		.amdhsa_user_sgpr_dispatch_ptr 0
		.amdhsa_user_sgpr_queue_ptr 0
		.amdhsa_user_sgpr_kernarg_segment_ptr 1
		.amdhsa_user_sgpr_dispatch_id 0
		.amdhsa_user_sgpr_flat_scratch_init 0
		.amdhsa_user_sgpr_private_segment_size 0
		.amdhsa_wavefront_size32 1
		.amdhsa_uses_dynamic_stack 0
		.amdhsa_system_sgpr_private_segment_wavefront_offset 0
		.amdhsa_system_sgpr_workgroup_id_x 1
		.amdhsa_system_sgpr_workgroup_id_y 1
		.amdhsa_system_sgpr_workgroup_id_z 0
		.amdhsa_system_sgpr_workgroup_info 0
		.amdhsa_system_vgpr_workitem_id 2
		.amdhsa_next_free_vgpr 130
		.amdhsa_next_free_sgpr 48
		.amdhsa_reserve_vcc 1
		.amdhsa_reserve_flat_scratch 0
		.amdhsa_float_round_mode_32 0
		.amdhsa_float_round_mode_16_64 0
		.amdhsa_float_denorm_mode_32 3
		.amdhsa_float_denorm_mode_16_64 3
		.amdhsa_dx10_clamp 1
		.amdhsa_ieee_mode 1
		.amdhsa_fp16_overflow 0
		.amdhsa_workgroup_processor_mode 1
		.amdhsa_memory_ordered 1
		.amdhsa_forward_progress 1
		.amdhsa_shared_vgpr_count 0
		.amdhsa_exception_fp_ieee_invalid_op 0
		.amdhsa_exception_fp_denorm_src 0
		.amdhsa_exception_fp_ieee_div_zero 0
		.amdhsa_exception_fp_ieee_overflow 0
		.amdhsa_exception_fp_ieee_underflow 0
		.amdhsa_exception_fp_ieee_inexact 0
		.amdhsa_exception_int_div_zero 0
	.end_amdhsa_kernel
	.section	.text._ZN7rocprim17ROCPRIM_400000_NS6detail17trampoline_kernelINS0_14default_configENS1_36segmented_radix_sort_config_selectorIllEEZNS1_25segmented_radix_sort_implIS3_Lb1EPKlPlS8_S9_N2at6native12_GLOBAL__N_18offset_tEEE10hipError_tPvRmT1_PNSt15iterator_traitsISH_E10value_typeET2_T3_PNSI_ISN_E10value_typeET4_jRbjT5_ST_jjP12ihipStream_tbEUlT_E1_NS1_11comp_targetILNS1_3genE8ELNS1_11target_archE1030ELNS1_3gpuE2ELNS1_3repE0EEENS1_59segmented_radix_sort_warp_sort_small_config_static_selectorELNS0_4arch9wavefront6targetE0EEEvSH_,"axG",@progbits,_ZN7rocprim17ROCPRIM_400000_NS6detail17trampoline_kernelINS0_14default_configENS1_36segmented_radix_sort_config_selectorIllEEZNS1_25segmented_radix_sort_implIS3_Lb1EPKlPlS8_S9_N2at6native12_GLOBAL__N_18offset_tEEE10hipError_tPvRmT1_PNSt15iterator_traitsISH_E10value_typeET2_T3_PNSI_ISN_E10value_typeET4_jRbjT5_ST_jjP12ihipStream_tbEUlT_E1_NS1_11comp_targetILNS1_3genE8ELNS1_11target_archE1030ELNS1_3gpuE2ELNS1_3repE0EEENS1_59segmented_radix_sort_warp_sort_small_config_static_selectorELNS0_4arch9wavefront6targetE0EEEvSH_,comdat
.Lfunc_end727:
	.size	_ZN7rocprim17ROCPRIM_400000_NS6detail17trampoline_kernelINS0_14default_configENS1_36segmented_radix_sort_config_selectorIllEEZNS1_25segmented_radix_sort_implIS3_Lb1EPKlPlS8_S9_N2at6native12_GLOBAL__N_18offset_tEEE10hipError_tPvRmT1_PNSt15iterator_traitsISH_E10value_typeET2_T3_PNSI_ISN_E10value_typeET4_jRbjT5_ST_jjP12ihipStream_tbEUlT_E1_NS1_11comp_targetILNS1_3genE8ELNS1_11target_archE1030ELNS1_3gpuE2ELNS1_3repE0EEENS1_59segmented_radix_sort_warp_sort_small_config_static_selectorELNS0_4arch9wavefront6targetE0EEEvSH_, .Lfunc_end727-_ZN7rocprim17ROCPRIM_400000_NS6detail17trampoline_kernelINS0_14default_configENS1_36segmented_radix_sort_config_selectorIllEEZNS1_25segmented_radix_sort_implIS3_Lb1EPKlPlS8_S9_N2at6native12_GLOBAL__N_18offset_tEEE10hipError_tPvRmT1_PNSt15iterator_traitsISH_E10value_typeET2_T3_PNSI_ISN_E10value_typeET4_jRbjT5_ST_jjP12ihipStream_tbEUlT_E1_NS1_11comp_targetILNS1_3genE8ELNS1_11target_archE1030ELNS1_3gpuE2ELNS1_3repE0EEENS1_59segmented_radix_sort_warp_sort_small_config_static_selectorELNS0_4arch9wavefront6targetE0EEEvSH_
                                        ; -- End function
	.set _ZN7rocprim17ROCPRIM_400000_NS6detail17trampoline_kernelINS0_14default_configENS1_36segmented_radix_sort_config_selectorIllEEZNS1_25segmented_radix_sort_implIS3_Lb1EPKlPlS8_S9_N2at6native12_GLOBAL__N_18offset_tEEE10hipError_tPvRmT1_PNSt15iterator_traitsISH_E10value_typeET2_T3_PNSI_ISN_E10value_typeET4_jRbjT5_ST_jjP12ihipStream_tbEUlT_E1_NS1_11comp_targetILNS1_3genE8ELNS1_11target_archE1030ELNS1_3gpuE2ELNS1_3repE0EEENS1_59segmented_radix_sort_warp_sort_small_config_static_selectorELNS0_4arch9wavefront6targetE0EEEvSH_.num_vgpr, max(45, .L_ZN7rocprim17ROCPRIM_400000_NS6detail26segmented_warp_sort_helperINS1_20WarpSortHelperConfigILj16ELj8ELj256EEEllLi256ELb1EvE4sortIPKlPlS8_S9_EEvT_T0_T1_T2_jjjjRNS5_12storage_typeE.num_vgpr)
	.set _ZN7rocprim17ROCPRIM_400000_NS6detail17trampoline_kernelINS0_14default_configENS1_36segmented_radix_sort_config_selectorIllEEZNS1_25segmented_radix_sort_implIS3_Lb1EPKlPlS8_S9_N2at6native12_GLOBAL__N_18offset_tEEE10hipError_tPvRmT1_PNSt15iterator_traitsISH_E10value_typeET2_T3_PNSI_ISN_E10value_typeET4_jRbjT5_ST_jjP12ihipStream_tbEUlT_E1_NS1_11comp_targetILNS1_3genE8ELNS1_11target_archE1030ELNS1_3gpuE2ELNS1_3repE0EEENS1_59segmented_radix_sort_warp_sort_small_config_static_selectorELNS0_4arch9wavefront6targetE0EEEvSH_.num_agpr, max(0, .L_ZN7rocprim17ROCPRIM_400000_NS6detail26segmented_warp_sort_helperINS1_20WarpSortHelperConfigILj16ELj8ELj256EEEllLi256ELb1EvE4sortIPKlPlS8_S9_EEvT_T0_T1_T2_jjjjRNS5_12storage_typeE.num_agpr)
	.set _ZN7rocprim17ROCPRIM_400000_NS6detail17trampoline_kernelINS0_14default_configENS1_36segmented_radix_sort_config_selectorIllEEZNS1_25segmented_radix_sort_implIS3_Lb1EPKlPlS8_S9_N2at6native12_GLOBAL__N_18offset_tEEE10hipError_tPvRmT1_PNSt15iterator_traitsISH_E10value_typeET2_T3_PNSI_ISN_E10value_typeET4_jRbjT5_ST_jjP12ihipStream_tbEUlT_E1_NS1_11comp_targetILNS1_3genE8ELNS1_11target_archE1030ELNS1_3gpuE2ELNS1_3repE0EEENS1_59segmented_radix_sort_warp_sort_small_config_static_selectorELNS0_4arch9wavefront6targetE0EEEvSH_.numbered_sgpr, max(48, .L_ZN7rocprim17ROCPRIM_400000_NS6detail26segmented_warp_sort_helperINS1_20WarpSortHelperConfigILj16ELj8ELj256EEEllLi256ELb1EvE4sortIPKlPlS8_S9_EEvT_T0_T1_T2_jjjjRNS5_12storage_typeE.numbered_sgpr)
	.set _ZN7rocprim17ROCPRIM_400000_NS6detail17trampoline_kernelINS0_14default_configENS1_36segmented_radix_sort_config_selectorIllEEZNS1_25segmented_radix_sort_implIS3_Lb1EPKlPlS8_S9_N2at6native12_GLOBAL__N_18offset_tEEE10hipError_tPvRmT1_PNSt15iterator_traitsISH_E10value_typeET2_T3_PNSI_ISN_E10value_typeET4_jRbjT5_ST_jjP12ihipStream_tbEUlT_E1_NS1_11comp_targetILNS1_3genE8ELNS1_11target_archE1030ELNS1_3gpuE2ELNS1_3repE0EEENS1_59segmented_radix_sort_warp_sort_small_config_static_selectorELNS0_4arch9wavefront6targetE0EEEvSH_.num_named_barrier, max(0, .L_ZN7rocprim17ROCPRIM_400000_NS6detail26segmented_warp_sort_helperINS1_20WarpSortHelperConfigILj16ELj8ELj256EEEllLi256ELb1EvE4sortIPKlPlS8_S9_EEvT_T0_T1_T2_jjjjRNS5_12storage_typeE.num_named_barrier)
	.set _ZN7rocprim17ROCPRIM_400000_NS6detail17trampoline_kernelINS0_14default_configENS1_36segmented_radix_sort_config_selectorIllEEZNS1_25segmented_radix_sort_implIS3_Lb1EPKlPlS8_S9_N2at6native12_GLOBAL__N_18offset_tEEE10hipError_tPvRmT1_PNSt15iterator_traitsISH_E10value_typeET2_T3_PNSI_ISN_E10value_typeET4_jRbjT5_ST_jjP12ihipStream_tbEUlT_E1_NS1_11comp_targetILNS1_3genE8ELNS1_11target_archE1030ELNS1_3gpuE2ELNS1_3repE0EEENS1_59segmented_radix_sort_warp_sort_small_config_static_selectorELNS0_4arch9wavefront6targetE0EEEvSH_.private_seg_size, 0+max(.L_ZN7rocprim17ROCPRIM_400000_NS6detail26segmented_warp_sort_helperINS1_20WarpSortHelperConfigILj16ELj8ELj256EEEllLi256ELb1EvE4sortIPKlPlS8_S9_EEvT_T0_T1_T2_jjjjRNS5_12storage_typeE.private_seg_size)
	.set _ZN7rocprim17ROCPRIM_400000_NS6detail17trampoline_kernelINS0_14default_configENS1_36segmented_radix_sort_config_selectorIllEEZNS1_25segmented_radix_sort_implIS3_Lb1EPKlPlS8_S9_N2at6native12_GLOBAL__N_18offset_tEEE10hipError_tPvRmT1_PNSt15iterator_traitsISH_E10value_typeET2_T3_PNSI_ISN_E10value_typeET4_jRbjT5_ST_jjP12ihipStream_tbEUlT_E1_NS1_11comp_targetILNS1_3genE8ELNS1_11target_archE1030ELNS1_3gpuE2ELNS1_3repE0EEENS1_59segmented_radix_sort_warp_sort_small_config_static_selectorELNS0_4arch9wavefront6targetE0EEEvSH_.uses_vcc, or(1, .L_ZN7rocprim17ROCPRIM_400000_NS6detail26segmented_warp_sort_helperINS1_20WarpSortHelperConfigILj16ELj8ELj256EEEllLi256ELb1EvE4sortIPKlPlS8_S9_EEvT_T0_T1_T2_jjjjRNS5_12storage_typeE.uses_vcc)
	.set _ZN7rocprim17ROCPRIM_400000_NS6detail17trampoline_kernelINS0_14default_configENS1_36segmented_radix_sort_config_selectorIllEEZNS1_25segmented_radix_sort_implIS3_Lb1EPKlPlS8_S9_N2at6native12_GLOBAL__N_18offset_tEEE10hipError_tPvRmT1_PNSt15iterator_traitsISH_E10value_typeET2_T3_PNSI_ISN_E10value_typeET4_jRbjT5_ST_jjP12ihipStream_tbEUlT_E1_NS1_11comp_targetILNS1_3genE8ELNS1_11target_archE1030ELNS1_3gpuE2ELNS1_3repE0EEENS1_59segmented_radix_sort_warp_sort_small_config_static_selectorELNS0_4arch9wavefront6targetE0EEEvSH_.uses_flat_scratch, or(0, .L_ZN7rocprim17ROCPRIM_400000_NS6detail26segmented_warp_sort_helperINS1_20WarpSortHelperConfigILj16ELj8ELj256EEEllLi256ELb1EvE4sortIPKlPlS8_S9_EEvT_T0_T1_T2_jjjjRNS5_12storage_typeE.uses_flat_scratch)
	.set _ZN7rocprim17ROCPRIM_400000_NS6detail17trampoline_kernelINS0_14default_configENS1_36segmented_radix_sort_config_selectorIllEEZNS1_25segmented_radix_sort_implIS3_Lb1EPKlPlS8_S9_N2at6native12_GLOBAL__N_18offset_tEEE10hipError_tPvRmT1_PNSt15iterator_traitsISH_E10value_typeET2_T3_PNSI_ISN_E10value_typeET4_jRbjT5_ST_jjP12ihipStream_tbEUlT_E1_NS1_11comp_targetILNS1_3genE8ELNS1_11target_archE1030ELNS1_3gpuE2ELNS1_3repE0EEENS1_59segmented_radix_sort_warp_sort_small_config_static_selectorELNS0_4arch9wavefront6targetE0EEEvSH_.has_dyn_sized_stack, or(0, .L_ZN7rocprim17ROCPRIM_400000_NS6detail26segmented_warp_sort_helperINS1_20WarpSortHelperConfigILj16ELj8ELj256EEEllLi256ELb1EvE4sortIPKlPlS8_S9_EEvT_T0_T1_T2_jjjjRNS5_12storage_typeE.has_dyn_sized_stack)
	.set _ZN7rocprim17ROCPRIM_400000_NS6detail17trampoline_kernelINS0_14default_configENS1_36segmented_radix_sort_config_selectorIllEEZNS1_25segmented_radix_sort_implIS3_Lb1EPKlPlS8_S9_N2at6native12_GLOBAL__N_18offset_tEEE10hipError_tPvRmT1_PNSt15iterator_traitsISH_E10value_typeET2_T3_PNSI_ISN_E10value_typeET4_jRbjT5_ST_jjP12ihipStream_tbEUlT_E1_NS1_11comp_targetILNS1_3genE8ELNS1_11target_archE1030ELNS1_3gpuE2ELNS1_3repE0EEENS1_59segmented_radix_sort_warp_sort_small_config_static_selectorELNS0_4arch9wavefront6targetE0EEEvSH_.has_recursion, or(0, .L_ZN7rocprim17ROCPRIM_400000_NS6detail26segmented_warp_sort_helperINS1_20WarpSortHelperConfigILj16ELj8ELj256EEEllLi256ELb1EvE4sortIPKlPlS8_S9_EEvT_T0_T1_T2_jjjjRNS5_12storage_typeE.has_recursion)
	.set _ZN7rocprim17ROCPRIM_400000_NS6detail17trampoline_kernelINS0_14default_configENS1_36segmented_radix_sort_config_selectorIllEEZNS1_25segmented_radix_sort_implIS3_Lb1EPKlPlS8_S9_N2at6native12_GLOBAL__N_18offset_tEEE10hipError_tPvRmT1_PNSt15iterator_traitsISH_E10value_typeET2_T3_PNSI_ISN_E10value_typeET4_jRbjT5_ST_jjP12ihipStream_tbEUlT_E1_NS1_11comp_targetILNS1_3genE8ELNS1_11target_archE1030ELNS1_3gpuE2ELNS1_3repE0EEENS1_59segmented_radix_sort_warp_sort_small_config_static_selectorELNS0_4arch9wavefront6targetE0EEEvSH_.has_indirect_call, or(0, .L_ZN7rocprim17ROCPRIM_400000_NS6detail26segmented_warp_sort_helperINS1_20WarpSortHelperConfigILj16ELj8ELj256EEEllLi256ELb1EvE4sortIPKlPlS8_S9_EEvT_T0_T1_T2_jjjjRNS5_12storage_typeE.has_indirect_call)
	.section	.AMDGPU.csdata,"",@progbits
; Kernel info:
; codeLenInByte = 524
; TotalNumSgprs: 50
; NumVgprs: 130
; ScratchSize: 0
; MemoryBound: 0
; FloatMode: 240
; IeeeMode: 1
; LDSByteSize: 32768 bytes/workgroup (compile time only)
; SGPRBlocks: 0
; VGPRBlocks: 16
; NumSGPRsForWavesPerEU: 50
; NumVGPRsForWavesPerEU: 130
; Occupancy: 7
; WaveLimiterHint : 0
; COMPUTE_PGM_RSRC2:SCRATCH_EN: 0
; COMPUTE_PGM_RSRC2:USER_SGPR: 6
; COMPUTE_PGM_RSRC2:TRAP_HANDLER: 0
; COMPUTE_PGM_RSRC2:TGID_X_EN: 1
; COMPUTE_PGM_RSRC2:TGID_Y_EN: 1
; COMPUTE_PGM_RSRC2:TGID_Z_EN: 0
; COMPUTE_PGM_RSRC2:TIDIG_COMP_CNT: 2
	.section	.text._ZN7rocprim17ROCPRIM_400000_NS6detail17trampoline_kernelINS0_14default_configENS1_36segmented_radix_sort_config_selectorIllEEZNS1_25segmented_radix_sort_implIS3_Lb1EPKlPlS8_S9_N2at6native12_GLOBAL__N_18offset_tEEE10hipError_tPvRmT1_PNSt15iterator_traitsISH_E10value_typeET2_T3_PNSI_ISN_E10value_typeET4_jRbjT5_ST_jjP12ihipStream_tbEUlT_E2_NS1_11comp_targetILNS1_3genE0ELNS1_11target_archE4294967295ELNS1_3gpuE0ELNS1_3repE0EEENS1_30default_config_static_selectorELNS0_4arch9wavefront6targetE0EEEvSH_,"axG",@progbits,_ZN7rocprim17ROCPRIM_400000_NS6detail17trampoline_kernelINS0_14default_configENS1_36segmented_radix_sort_config_selectorIllEEZNS1_25segmented_radix_sort_implIS3_Lb1EPKlPlS8_S9_N2at6native12_GLOBAL__N_18offset_tEEE10hipError_tPvRmT1_PNSt15iterator_traitsISH_E10value_typeET2_T3_PNSI_ISN_E10value_typeET4_jRbjT5_ST_jjP12ihipStream_tbEUlT_E2_NS1_11comp_targetILNS1_3genE0ELNS1_11target_archE4294967295ELNS1_3gpuE0ELNS1_3repE0EEENS1_30default_config_static_selectorELNS0_4arch9wavefront6targetE0EEEvSH_,comdat
	.globl	_ZN7rocprim17ROCPRIM_400000_NS6detail17trampoline_kernelINS0_14default_configENS1_36segmented_radix_sort_config_selectorIllEEZNS1_25segmented_radix_sort_implIS3_Lb1EPKlPlS8_S9_N2at6native12_GLOBAL__N_18offset_tEEE10hipError_tPvRmT1_PNSt15iterator_traitsISH_E10value_typeET2_T3_PNSI_ISN_E10value_typeET4_jRbjT5_ST_jjP12ihipStream_tbEUlT_E2_NS1_11comp_targetILNS1_3genE0ELNS1_11target_archE4294967295ELNS1_3gpuE0ELNS1_3repE0EEENS1_30default_config_static_selectorELNS0_4arch9wavefront6targetE0EEEvSH_ ; -- Begin function _ZN7rocprim17ROCPRIM_400000_NS6detail17trampoline_kernelINS0_14default_configENS1_36segmented_radix_sort_config_selectorIllEEZNS1_25segmented_radix_sort_implIS3_Lb1EPKlPlS8_S9_N2at6native12_GLOBAL__N_18offset_tEEE10hipError_tPvRmT1_PNSt15iterator_traitsISH_E10value_typeET2_T3_PNSI_ISN_E10value_typeET4_jRbjT5_ST_jjP12ihipStream_tbEUlT_E2_NS1_11comp_targetILNS1_3genE0ELNS1_11target_archE4294967295ELNS1_3gpuE0ELNS1_3repE0EEENS1_30default_config_static_selectorELNS0_4arch9wavefront6targetE0EEEvSH_
	.p2align	8
	.type	_ZN7rocprim17ROCPRIM_400000_NS6detail17trampoline_kernelINS0_14default_configENS1_36segmented_radix_sort_config_selectorIllEEZNS1_25segmented_radix_sort_implIS3_Lb1EPKlPlS8_S9_N2at6native12_GLOBAL__N_18offset_tEEE10hipError_tPvRmT1_PNSt15iterator_traitsISH_E10value_typeET2_T3_PNSI_ISN_E10value_typeET4_jRbjT5_ST_jjP12ihipStream_tbEUlT_E2_NS1_11comp_targetILNS1_3genE0ELNS1_11target_archE4294967295ELNS1_3gpuE0ELNS1_3repE0EEENS1_30default_config_static_selectorELNS0_4arch9wavefront6targetE0EEEvSH_,@function
_ZN7rocprim17ROCPRIM_400000_NS6detail17trampoline_kernelINS0_14default_configENS1_36segmented_radix_sort_config_selectorIllEEZNS1_25segmented_radix_sort_implIS3_Lb1EPKlPlS8_S9_N2at6native12_GLOBAL__N_18offset_tEEE10hipError_tPvRmT1_PNSt15iterator_traitsISH_E10value_typeET2_T3_PNSI_ISN_E10value_typeET4_jRbjT5_ST_jjP12ihipStream_tbEUlT_E2_NS1_11comp_targetILNS1_3genE0ELNS1_11target_archE4294967295ELNS1_3gpuE0ELNS1_3repE0EEENS1_30default_config_static_selectorELNS0_4arch9wavefront6targetE0EEEvSH_: ; @_ZN7rocprim17ROCPRIM_400000_NS6detail17trampoline_kernelINS0_14default_configENS1_36segmented_radix_sort_config_selectorIllEEZNS1_25segmented_radix_sort_implIS3_Lb1EPKlPlS8_S9_N2at6native12_GLOBAL__N_18offset_tEEE10hipError_tPvRmT1_PNSt15iterator_traitsISH_E10value_typeET2_T3_PNSI_ISN_E10value_typeET4_jRbjT5_ST_jjP12ihipStream_tbEUlT_E2_NS1_11comp_targetILNS1_3genE0ELNS1_11target_archE4294967295ELNS1_3gpuE0ELNS1_3repE0EEENS1_30default_config_static_selectorELNS0_4arch9wavefront6targetE0EEEvSH_
; %bb.0:
	.section	.rodata,"a",@progbits
	.p2align	6, 0x0
	.amdhsa_kernel _ZN7rocprim17ROCPRIM_400000_NS6detail17trampoline_kernelINS0_14default_configENS1_36segmented_radix_sort_config_selectorIllEEZNS1_25segmented_radix_sort_implIS3_Lb1EPKlPlS8_S9_N2at6native12_GLOBAL__N_18offset_tEEE10hipError_tPvRmT1_PNSt15iterator_traitsISH_E10value_typeET2_T3_PNSI_ISN_E10value_typeET4_jRbjT5_ST_jjP12ihipStream_tbEUlT_E2_NS1_11comp_targetILNS1_3genE0ELNS1_11target_archE4294967295ELNS1_3gpuE0ELNS1_3repE0EEENS1_30default_config_static_selectorELNS0_4arch9wavefront6targetE0EEEvSH_
		.amdhsa_group_segment_fixed_size 0
		.amdhsa_private_segment_fixed_size 0
		.amdhsa_kernarg_size 80
		.amdhsa_user_sgpr_count 6
		.amdhsa_user_sgpr_private_segment_buffer 1
		.amdhsa_user_sgpr_dispatch_ptr 0
		.amdhsa_user_sgpr_queue_ptr 0
		.amdhsa_user_sgpr_kernarg_segment_ptr 1
		.amdhsa_user_sgpr_dispatch_id 0
		.amdhsa_user_sgpr_flat_scratch_init 0
		.amdhsa_user_sgpr_private_segment_size 0
		.amdhsa_wavefront_size32 1
		.amdhsa_uses_dynamic_stack 0
		.amdhsa_system_sgpr_private_segment_wavefront_offset 0
		.amdhsa_system_sgpr_workgroup_id_x 1
		.amdhsa_system_sgpr_workgroup_id_y 0
		.amdhsa_system_sgpr_workgroup_id_z 0
		.amdhsa_system_sgpr_workgroup_info 0
		.amdhsa_system_vgpr_workitem_id 0
		.amdhsa_next_free_vgpr 1
		.amdhsa_next_free_sgpr 1
		.amdhsa_reserve_vcc 0
		.amdhsa_reserve_flat_scratch 0
		.amdhsa_float_round_mode_32 0
		.amdhsa_float_round_mode_16_64 0
		.amdhsa_float_denorm_mode_32 3
		.amdhsa_float_denorm_mode_16_64 3
		.amdhsa_dx10_clamp 1
		.amdhsa_ieee_mode 1
		.amdhsa_fp16_overflow 0
		.amdhsa_workgroup_processor_mode 1
		.amdhsa_memory_ordered 1
		.amdhsa_forward_progress 1
		.amdhsa_shared_vgpr_count 0
		.amdhsa_exception_fp_ieee_invalid_op 0
		.amdhsa_exception_fp_denorm_src 0
		.amdhsa_exception_fp_ieee_div_zero 0
		.amdhsa_exception_fp_ieee_overflow 0
		.amdhsa_exception_fp_ieee_underflow 0
		.amdhsa_exception_fp_ieee_inexact 0
		.amdhsa_exception_int_div_zero 0
	.end_amdhsa_kernel
	.section	.text._ZN7rocprim17ROCPRIM_400000_NS6detail17trampoline_kernelINS0_14default_configENS1_36segmented_radix_sort_config_selectorIllEEZNS1_25segmented_radix_sort_implIS3_Lb1EPKlPlS8_S9_N2at6native12_GLOBAL__N_18offset_tEEE10hipError_tPvRmT1_PNSt15iterator_traitsISH_E10value_typeET2_T3_PNSI_ISN_E10value_typeET4_jRbjT5_ST_jjP12ihipStream_tbEUlT_E2_NS1_11comp_targetILNS1_3genE0ELNS1_11target_archE4294967295ELNS1_3gpuE0ELNS1_3repE0EEENS1_30default_config_static_selectorELNS0_4arch9wavefront6targetE0EEEvSH_,"axG",@progbits,_ZN7rocprim17ROCPRIM_400000_NS6detail17trampoline_kernelINS0_14default_configENS1_36segmented_radix_sort_config_selectorIllEEZNS1_25segmented_radix_sort_implIS3_Lb1EPKlPlS8_S9_N2at6native12_GLOBAL__N_18offset_tEEE10hipError_tPvRmT1_PNSt15iterator_traitsISH_E10value_typeET2_T3_PNSI_ISN_E10value_typeET4_jRbjT5_ST_jjP12ihipStream_tbEUlT_E2_NS1_11comp_targetILNS1_3genE0ELNS1_11target_archE4294967295ELNS1_3gpuE0ELNS1_3repE0EEENS1_30default_config_static_selectorELNS0_4arch9wavefront6targetE0EEEvSH_,comdat
.Lfunc_end728:
	.size	_ZN7rocprim17ROCPRIM_400000_NS6detail17trampoline_kernelINS0_14default_configENS1_36segmented_radix_sort_config_selectorIllEEZNS1_25segmented_radix_sort_implIS3_Lb1EPKlPlS8_S9_N2at6native12_GLOBAL__N_18offset_tEEE10hipError_tPvRmT1_PNSt15iterator_traitsISH_E10value_typeET2_T3_PNSI_ISN_E10value_typeET4_jRbjT5_ST_jjP12ihipStream_tbEUlT_E2_NS1_11comp_targetILNS1_3genE0ELNS1_11target_archE4294967295ELNS1_3gpuE0ELNS1_3repE0EEENS1_30default_config_static_selectorELNS0_4arch9wavefront6targetE0EEEvSH_, .Lfunc_end728-_ZN7rocprim17ROCPRIM_400000_NS6detail17trampoline_kernelINS0_14default_configENS1_36segmented_radix_sort_config_selectorIllEEZNS1_25segmented_radix_sort_implIS3_Lb1EPKlPlS8_S9_N2at6native12_GLOBAL__N_18offset_tEEE10hipError_tPvRmT1_PNSt15iterator_traitsISH_E10value_typeET2_T3_PNSI_ISN_E10value_typeET4_jRbjT5_ST_jjP12ihipStream_tbEUlT_E2_NS1_11comp_targetILNS1_3genE0ELNS1_11target_archE4294967295ELNS1_3gpuE0ELNS1_3repE0EEENS1_30default_config_static_selectorELNS0_4arch9wavefront6targetE0EEEvSH_
                                        ; -- End function
	.set _ZN7rocprim17ROCPRIM_400000_NS6detail17trampoline_kernelINS0_14default_configENS1_36segmented_radix_sort_config_selectorIllEEZNS1_25segmented_radix_sort_implIS3_Lb1EPKlPlS8_S9_N2at6native12_GLOBAL__N_18offset_tEEE10hipError_tPvRmT1_PNSt15iterator_traitsISH_E10value_typeET2_T3_PNSI_ISN_E10value_typeET4_jRbjT5_ST_jjP12ihipStream_tbEUlT_E2_NS1_11comp_targetILNS1_3genE0ELNS1_11target_archE4294967295ELNS1_3gpuE0ELNS1_3repE0EEENS1_30default_config_static_selectorELNS0_4arch9wavefront6targetE0EEEvSH_.num_vgpr, 0
	.set _ZN7rocprim17ROCPRIM_400000_NS6detail17trampoline_kernelINS0_14default_configENS1_36segmented_radix_sort_config_selectorIllEEZNS1_25segmented_radix_sort_implIS3_Lb1EPKlPlS8_S9_N2at6native12_GLOBAL__N_18offset_tEEE10hipError_tPvRmT1_PNSt15iterator_traitsISH_E10value_typeET2_T3_PNSI_ISN_E10value_typeET4_jRbjT5_ST_jjP12ihipStream_tbEUlT_E2_NS1_11comp_targetILNS1_3genE0ELNS1_11target_archE4294967295ELNS1_3gpuE0ELNS1_3repE0EEENS1_30default_config_static_selectorELNS0_4arch9wavefront6targetE0EEEvSH_.num_agpr, 0
	.set _ZN7rocprim17ROCPRIM_400000_NS6detail17trampoline_kernelINS0_14default_configENS1_36segmented_radix_sort_config_selectorIllEEZNS1_25segmented_radix_sort_implIS3_Lb1EPKlPlS8_S9_N2at6native12_GLOBAL__N_18offset_tEEE10hipError_tPvRmT1_PNSt15iterator_traitsISH_E10value_typeET2_T3_PNSI_ISN_E10value_typeET4_jRbjT5_ST_jjP12ihipStream_tbEUlT_E2_NS1_11comp_targetILNS1_3genE0ELNS1_11target_archE4294967295ELNS1_3gpuE0ELNS1_3repE0EEENS1_30default_config_static_selectorELNS0_4arch9wavefront6targetE0EEEvSH_.numbered_sgpr, 0
	.set _ZN7rocprim17ROCPRIM_400000_NS6detail17trampoline_kernelINS0_14default_configENS1_36segmented_radix_sort_config_selectorIllEEZNS1_25segmented_radix_sort_implIS3_Lb1EPKlPlS8_S9_N2at6native12_GLOBAL__N_18offset_tEEE10hipError_tPvRmT1_PNSt15iterator_traitsISH_E10value_typeET2_T3_PNSI_ISN_E10value_typeET4_jRbjT5_ST_jjP12ihipStream_tbEUlT_E2_NS1_11comp_targetILNS1_3genE0ELNS1_11target_archE4294967295ELNS1_3gpuE0ELNS1_3repE0EEENS1_30default_config_static_selectorELNS0_4arch9wavefront6targetE0EEEvSH_.num_named_barrier, 0
	.set _ZN7rocprim17ROCPRIM_400000_NS6detail17trampoline_kernelINS0_14default_configENS1_36segmented_radix_sort_config_selectorIllEEZNS1_25segmented_radix_sort_implIS3_Lb1EPKlPlS8_S9_N2at6native12_GLOBAL__N_18offset_tEEE10hipError_tPvRmT1_PNSt15iterator_traitsISH_E10value_typeET2_T3_PNSI_ISN_E10value_typeET4_jRbjT5_ST_jjP12ihipStream_tbEUlT_E2_NS1_11comp_targetILNS1_3genE0ELNS1_11target_archE4294967295ELNS1_3gpuE0ELNS1_3repE0EEENS1_30default_config_static_selectorELNS0_4arch9wavefront6targetE0EEEvSH_.private_seg_size, 0
	.set _ZN7rocprim17ROCPRIM_400000_NS6detail17trampoline_kernelINS0_14default_configENS1_36segmented_radix_sort_config_selectorIllEEZNS1_25segmented_radix_sort_implIS3_Lb1EPKlPlS8_S9_N2at6native12_GLOBAL__N_18offset_tEEE10hipError_tPvRmT1_PNSt15iterator_traitsISH_E10value_typeET2_T3_PNSI_ISN_E10value_typeET4_jRbjT5_ST_jjP12ihipStream_tbEUlT_E2_NS1_11comp_targetILNS1_3genE0ELNS1_11target_archE4294967295ELNS1_3gpuE0ELNS1_3repE0EEENS1_30default_config_static_selectorELNS0_4arch9wavefront6targetE0EEEvSH_.uses_vcc, 0
	.set _ZN7rocprim17ROCPRIM_400000_NS6detail17trampoline_kernelINS0_14default_configENS1_36segmented_radix_sort_config_selectorIllEEZNS1_25segmented_radix_sort_implIS3_Lb1EPKlPlS8_S9_N2at6native12_GLOBAL__N_18offset_tEEE10hipError_tPvRmT1_PNSt15iterator_traitsISH_E10value_typeET2_T3_PNSI_ISN_E10value_typeET4_jRbjT5_ST_jjP12ihipStream_tbEUlT_E2_NS1_11comp_targetILNS1_3genE0ELNS1_11target_archE4294967295ELNS1_3gpuE0ELNS1_3repE0EEENS1_30default_config_static_selectorELNS0_4arch9wavefront6targetE0EEEvSH_.uses_flat_scratch, 0
	.set _ZN7rocprim17ROCPRIM_400000_NS6detail17trampoline_kernelINS0_14default_configENS1_36segmented_radix_sort_config_selectorIllEEZNS1_25segmented_radix_sort_implIS3_Lb1EPKlPlS8_S9_N2at6native12_GLOBAL__N_18offset_tEEE10hipError_tPvRmT1_PNSt15iterator_traitsISH_E10value_typeET2_T3_PNSI_ISN_E10value_typeET4_jRbjT5_ST_jjP12ihipStream_tbEUlT_E2_NS1_11comp_targetILNS1_3genE0ELNS1_11target_archE4294967295ELNS1_3gpuE0ELNS1_3repE0EEENS1_30default_config_static_selectorELNS0_4arch9wavefront6targetE0EEEvSH_.has_dyn_sized_stack, 0
	.set _ZN7rocprim17ROCPRIM_400000_NS6detail17trampoline_kernelINS0_14default_configENS1_36segmented_radix_sort_config_selectorIllEEZNS1_25segmented_radix_sort_implIS3_Lb1EPKlPlS8_S9_N2at6native12_GLOBAL__N_18offset_tEEE10hipError_tPvRmT1_PNSt15iterator_traitsISH_E10value_typeET2_T3_PNSI_ISN_E10value_typeET4_jRbjT5_ST_jjP12ihipStream_tbEUlT_E2_NS1_11comp_targetILNS1_3genE0ELNS1_11target_archE4294967295ELNS1_3gpuE0ELNS1_3repE0EEENS1_30default_config_static_selectorELNS0_4arch9wavefront6targetE0EEEvSH_.has_recursion, 0
	.set _ZN7rocprim17ROCPRIM_400000_NS6detail17trampoline_kernelINS0_14default_configENS1_36segmented_radix_sort_config_selectorIllEEZNS1_25segmented_radix_sort_implIS3_Lb1EPKlPlS8_S9_N2at6native12_GLOBAL__N_18offset_tEEE10hipError_tPvRmT1_PNSt15iterator_traitsISH_E10value_typeET2_T3_PNSI_ISN_E10value_typeET4_jRbjT5_ST_jjP12ihipStream_tbEUlT_E2_NS1_11comp_targetILNS1_3genE0ELNS1_11target_archE4294967295ELNS1_3gpuE0ELNS1_3repE0EEENS1_30default_config_static_selectorELNS0_4arch9wavefront6targetE0EEEvSH_.has_indirect_call, 0
	.section	.AMDGPU.csdata,"",@progbits
; Kernel info:
; codeLenInByte = 0
; TotalNumSgprs: 0
; NumVgprs: 0
; ScratchSize: 0
; MemoryBound: 0
; FloatMode: 240
; IeeeMode: 1
; LDSByteSize: 0 bytes/workgroup (compile time only)
; SGPRBlocks: 0
; VGPRBlocks: 0
; NumSGPRsForWavesPerEU: 1
; NumVGPRsForWavesPerEU: 1
; Occupancy: 16
; WaveLimiterHint : 0
; COMPUTE_PGM_RSRC2:SCRATCH_EN: 0
; COMPUTE_PGM_RSRC2:USER_SGPR: 6
; COMPUTE_PGM_RSRC2:TRAP_HANDLER: 0
; COMPUTE_PGM_RSRC2:TGID_X_EN: 1
; COMPUTE_PGM_RSRC2:TGID_Y_EN: 0
; COMPUTE_PGM_RSRC2:TGID_Z_EN: 0
; COMPUTE_PGM_RSRC2:TIDIG_COMP_CNT: 0
	.section	.text._ZN7rocprim17ROCPRIM_400000_NS6detail17trampoline_kernelINS0_14default_configENS1_36segmented_radix_sort_config_selectorIllEEZNS1_25segmented_radix_sort_implIS3_Lb1EPKlPlS8_S9_N2at6native12_GLOBAL__N_18offset_tEEE10hipError_tPvRmT1_PNSt15iterator_traitsISH_E10value_typeET2_T3_PNSI_ISN_E10value_typeET4_jRbjT5_ST_jjP12ihipStream_tbEUlT_E2_NS1_11comp_targetILNS1_3genE5ELNS1_11target_archE942ELNS1_3gpuE9ELNS1_3repE0EEENS1_30default_config_static_selectorELNS0_4arch9wavefront6targetE0EEEvSH_,"axG",@progbits,_ZN7rocprim17ROCPRIM_400000_NS6detail17trampoline_kernelINS0_14default_configENS1_36segmented_radix_sort_config_selectorIllEEZNS1_25segmented_radix_sort_implIS3_Lb1EPKlPlS8_S9_N2at6native12_GLOBAL__N_18offset_tEEE10hipError_tPvRmT1_PNSt15iterator_traitsISH_E10value_typeET2_T3_PNSI_ISN_E10value_typeET4_jRbjT5_ST_jjP12ihipStream_tbEUlT_E2_NS1_11comp_targetILNS1_3genE5ELNS1_11target_archE942ELNS1_3gpuE9ELNS1_3repE0EEENS1_30default_config_static_selectorELNS0_4arch9wavefront6targetE0EEEvSH_,comdat
	.globl	_ZN7rocprim17ROCPRIM_400000_NS6detail17trampoline_kernelINS0_14default_configENS1_36segmented_radix_sort_config_selectorIllEEZNS1_25segmented_radix_sort_implIS3_Lb1EPKlPlS8_S9_N2at6native12_GLOBAL__N_18offset_tEEE10hipError_tPvRmT1_PNSt15iterator_traitsISH_E10value_typeET2_T3_PNSI_ISN_E10value_typeET4_jRbjT5_ST_jjP12ihipStream_tbEUlT_E2_NS1_11comp_targetILNS1_3genE5ELNS1_11target_archE942ELNS1_3gpuE9ELNS1_3repE0EEENS1_30default_config_static_selectorELNS0_4arch9wavefront6targetE0EEEvSH_ ; -- Begin function _ZN7rocprim17ROCPRIM_400000_NS6detail17trampoline_kernelINS0_14default_configENS1_36segmented_radix_sort_config_selectorIllEEZNS1_25segmented_radix_sort_implIS3_Lb1EPKlPlS8_S9_N2at6native12_GLOBAL__N_18offset_tEEE10hipError_tPvRmT1_PNSt15iterator_traitsISH_E10value_typeET2_T3_PNSI_ISN_E10value_typeET4_jRbjT5_ST_jjP12ihipStream_tbEUlT_E2_NS1_11comp_targetILNS1_3genE5ELNS1_11target_archE942ELNS1_3gpuE9ELNS1_3repE0EEENS1_30default_config_static_selectorELNS0_4arch9wavefront6targetE0EEEvSH_
	.p2align	8
	.type	_ZN7rocprim17ROCPRIM_400000_NS6detail17trampoline_kernelINS0_14default_configENS1_36segmented_radix_sort_config_selectorIllEEZNS1_25segmented_radix_sort_implIS3_Lb1EPKlPlS8_S9_N2at6native12_GLOBAL__N_18offset_tEEE10hipError_tPvRmT1_PNSt15iterator_traitsISH_E10value_typeET2_T3_PNSI_ISN_E10value_typeET4_jRbjT5_ST_jjP12ihipStream_tbEUlT_E2_NS1_11comp_targetILNS1_3genE5ELNS1_11target_archE942ELNS1_3gpuE9ELNS1_3repE0EEENS1_30default_config_static_selectorELNS0_4arch9wavefront6targetE0EEEvSH_,@function
_ZN7rocprim17ROCPRIM_400000_NS6detail17trampoline_kernelINS0_14default_configENS1_36segmented_radix_sort_config_selectorIllEEZNS1_25segmented_radix_sort_implIS3_Lb1EPKlPlS8_S9_N2at6native12_GLOBAL__N_18offset_tEEE10hipError_tPvRmT1_PNSt15iterator_traitsISH_E10value_typeET2_T3_PNSI_ISN_E10value_typeET4_jRbjT5_ST_jjP12ihipStream_tbEUlT_E2_NS1_11comp_targetILNS1_3genE5ELNS1_11target_archE942ELNS1_3gpuE9ELNS1_3repE0EEENS1_30default_config_static_selectorELNS0_4arch9wavefront6targetE0EEEvSH_: ; @_ZN7rocprim17ROCPRIM_400000_NS6detail17trampoline_kernelINS0_14default_configENS1_36segmented_radix_sort_config_selectorIllEEZNS1_25segmented_radix_sort_implIS3_Lb1EPKlPlS8_S9_N2at6native12_GLOBAL__N_18offset_tEEE10hipError_tPvRmT1_PNSt15iterator_traitsISH_E10value_typeET2_T3_PNSI_ISN_E10value_typeET4_jRbjT5_ST_jjP12ihipStream_tbEUlT_E2_NS1_11comp_targetILNS1_3genE5ELNS1_11target_archE942ELNS1_3gpuE9ELNS1_3repE0EEENS1_30default_config_static_selectorELNS0_4arch9wavefront6targetE0EEEvSH_
; %bb.0:
	.section	.rodata,"a",@progbits
	.p2align	6, 0x0
	.amdhsa_kernel _ZN7rocprim17ROCPRIM_400000_NS6detail17trampoline_kernelINS0_14default_configENS1_36segmented_radix_sort_config_selectorIllEEZNS1_25segmented_radix_sort_implIS3_Lb1EPKlPlS8_S9_N2at6native12_GLOBAL__N_18offset_tEEE10hipError_tPvRmT1_PNSt15iterator_traitsISH_E10value_typeET2_T3_PNSI_ISN_E10value_typeET4_jRbjT5_ST_jjP12ihipStream_tbEUlT_E2_NS1_11comp_targetILNS1_3genE5ELNS1_11target_archE942ELNS1_3gpuE9ELNS1_3repE0EEENS1_30default_config_static_selectorELNS0_4arch9wavefront6targetE0EEEvSH_
		.amdhsa_group_segment_fixed_size 0
		.amdhsa_private_segment_fixed_size 0
		.amdhsa_kernarg_size 80
		.amdhsa_user_sgpr_count 6
		.amdhsa_user_sgpr_private_segment_buffer 1
		.amdhsa_user_sgpr_dispatch_ptr 0
		.amdhsa_user_sgpr_queue_ptr 0
		.amdhsa_user_sgpr_kernarg_segment_ptr 1
		.amdhsa_user_sgpr_dispatch_id 0
		.amdhsa_user_sgpr_flat_scratch_init 0
		.amdhsa_user_sgpr_private_segment_size 0
		.amdhsa_wavefront_size32 1
		.amdhsa_uses_dynamic_stack 0
		.amdhsa_system_sgpr_private_segment_wavefront_offset 0
		.amdhsa_system_sgpr_workgroup_id_x 1
		.amdhsa_system_sgpr_workgroup_id_y 0
		.amdhsa_system_sgpr_workgroup_id_z 0
		.amdhsa_system_sgpr_workgroup_info 0
		.amdhsa_system_vgpr_workitem_id 0
		.amdhsa_next_free_vgpr 1
		.amdhsa_next_free_sgpr 1
		.amdhsa_reserve_vcc 0
		.amdhsa_reserve_flat_scratch 0
		.amdhsa_float_round_mode_32 0
		.amdhsa_float_round_mode_16_64 0
		.amdhsa_float_denorm_mode_32 3
		.amdhsa_float_denorm_mode_16_64 3
		.amdhsa_dx10_clamp 1
		.amdhsa_ieee_mode 1
		.amdhsa_fp16_overflow 0
		.amdhsa_workgroup_processor_mode 1
		.amdhsa_memory_ordered 1
		.amdhsa_forward_progress 1
		.amdhsa_shared_vgpr_count 0
		.amdhsa_exception_fp_ieee_invalid_op 0
		.amdhsa_exception_fp_denorm_src 0
		.amdhsa_exception_fp_ieee_div_zero 0
		.amdhsa_exception_fp_ieee_overflow 0
		.amdhsa_exception_fp_ieee_underflow 0
		.amdhsa_exception_fp_ieee_inexact 0
		.amdhsa_exception_int_div_zero 0
	.end_amdhsa_kernel
	.section	.text._ZN7rocprim17ROCPRIM_400000_NS6detail17trampoline_kernelINS0_14default_configENS1_36segmented_radix_sort_config_selectorIllEEZNS1_25segmented_radix_sort_implIS3_Lb1EPKlPlS8_S9_N2at6native12_GLOBAL__N_18offset_tEEE10hipError_tPvRmT1_PNSt15iterator_traitsISH_E10value_typeET2_T3_PNSI_ISN_E10value_typeET4_jRbjT5_ST_jjP12ihipStream_tbEUlT_E2_NS1_11comp_targetILNS1_3genE5ELNS1_11target_archE942ELNS1_3gpuE9ELNS1_3repE0EEENS1_30default_config_static_selectorELNS0_4arch9wavefront6targetE0EEEvSH_,"axG",@progbits,_ZN7rocprim17ROCPRIM_400000_NS6detail17trampoline_kernelINS0_14default_configENS1_36segmented_radix_sort_config_selectorIllEEZNS1_25segmented_radix_sort_implIS3_Lb1EPKlPlS8_S9_N2at6native12_GLOBAL__N_18offset_tEEE10hipError_tPvRmT1_PNSt15iterator_traitsISH_E10value_typeET2_T3_PNSI_ISN_E10value_typeET4_jRbjT5_ST_jjP12ihipStream_tbEUlT_E2_NS1_11comp_targetILNS1_3genE5ELNS1_11target_archE942ELNS1_3gpuE9ELNS1_3repE0EEENS1_30default_config_static_selectorELNS0_4arch9wavefront6targetE0EEEvSH_,comdat
.Lfunc_end729:
	.size	_ZN7rocprim17ROCPRIM_400000_NS6detail17trampoline_kernelINS0_14default_configENS1_36segmented_radix_sort_config_selectorIllEEZNS1_25segmented_radix_sort_implIS3_Lb1EPKlPlS8_S9_N2at6native12_GLOBAL__N_18offset_tEEE10hipError_tPvRmT1_PNSt15iterator_traitsISH_E10value_typeET2_T3_PNSI_ISN_E10value_typeET4_jRbjT5_ST_jjP12ihipStream_tbEUlT_E2_NS1_11comp_targetILNS1_3genE5ELNS1_11target_archE942ELNS1_3gpuE9ELNS1_3repE0EEENS1_30default_config_static_selectorELNS0_4arch9wavefront6targetE0EEEvSH_, .Lfunc_end729-_ZN7rocprim17ROCPRIM_400000_NS6detail17trampoline_kernelINS0_14default_configENS1_36segmented_radix_sort_config_selectorIllEEZNS1_25segmented_radix_sort_implIS3_Lb1EPKlPlS8_S9_N2at6native12_GLOBAL__N_18offset_tEEE10hipError_tPvRmT1_PNSt15iterator_traitsISH_E10value_typeET2_T3_PNSI_ISN_E10value_typeET4_jRbjT5_ST_jjP12ihipStream_tbEUlT_E2_NS1_11comp_targetILNS1_3genE5ELNS1_11target_archE942ELNS1_3gpuE9ELNS1_3repE0EEENS1_30default_config_static_selectorELNS0_4arch9wavefront6targetE0EEEvSH_
                                        ; -- End function
	.set _ZN7rocprim17ROCPRIM_400000_NS6detail17trampoline_kernelINS0_14default_configENS1_36segmented_radix_sort_config_selectorIllEEZNS1_25segmented_radix_sort_implIS3_Lb1EPKlPlS8_S9_N2at6native12_GLOBAL__N_18offset_tEEE10hipError_tPvRmT1_PNSt15iterator_traitsISH_E10value_typeET2_T3_PNSI_ISN_E10value_typeET4_jRbjT5_ST_jjP12ihipStream_tbEUlT_E2_NS1_11comp_targetILNS1_3genE5ELNS1_11target_archE942ELNS1_3gpuE9ELNS1_3repE0EEENS1_30default_config_static_selectorELNS0_4arch9wavefront6targetE0EEEvSH_.num_vgpr, 0
	.set _ZN7rocprim17ROCPRIM_400000_NS6detail17trampoline_kernelINS0_14default_configENS1_36segmented_radix_sort_config_selectorIllEEZNS1_25segmented_radix_sort_implIS3_Lb1EPKlPlS8_S9_N2at6native12_GLOBAL__N_18offset_tEEE10hipError_tPvRmT1_PNSt15iterator_traitsISH_E10value_typeET2_T3_PNSI_ISN_E10value_typeET4_jRbjT5_ST_jjP12ihipStream_tbEUlT_E2_NS1_11comp_targetILNS1_3genE5ELNS1_11target_archE942ELNS1_3gpuE9ELNS1_3repE0EEENS1_30default_config_static_selectorELNS0_4arch9wavefront6targetE0EEEvSH_.num_agpr, 0
	.set _ZN7rocprim17ROCPRIM_400000_NS6detail17trampoline_kernelINS0_14default_configENS1_36segmented_radix_sort_config_selectorIllEEZNS1_25segmented_radix_sort_implIS3_Lb1EPKlPlS8_S9_N2at6native12_GLOBAL__N_18offset_tEEE10hipError_tPvRmT1_PNSt15iterator_traitsISH_E10value_typeET2_T3_PNSI_ISN_E10value_typeET4_jRbjT5_ST_jjP12ihipStream_tbEUlT_E2_NS1_11comp_targetILNS1_3genE5ELNS1_11target_archE942ELNS1_3gpuE9ELNS1_3repE0EEENS1_30default_config_static_selectorELNS0_4arch9wavefront6targetE0EEEvSH_.numbered_sgpr, 0
	.set _ZN7rocprim17ROCPRIM_400000_NS6detail17trampoline_kernelINS0_14default_configENS1_36segmented_radix_sort_config_selectorIllEEZNS1_25segmented_radix_sort_implIS3_Lb1EPKlPlS8_S9_N2at6native12_GLOBAL__N_18offset_tEEE10hipError_tPvRmT1_PNSt15iterator_traitsISH_E10value_typeET2_T3_PNSI_ISN_E10value_typeET4_jRbjT5_ST_jjP12ihipStream_tbEUlT_E2_NS1_11comp_targetILNS1_3genE5ELNS1_11target_archE942ELNS1_3gpuE9ELNS1_3repE0EEENS1_30default_config_static_selectorELNS0_4arch9wavefront6targetE0EEEvSH_.num_named_barrier, 0
	.set _ZN7rocprim17ROCPRIM_400000_NS6detail17trampoline_kernelINS0_14default_configENS1_36segmented_radix_sort_config_selectorIllEEZNS1_25segmented_radix_sort_implIS3_Lb1EPKlPlS8_S9_N2at6native12_GLOBAL__N_18offset_tEEE10hipError_tPvRmT1_PNSt15iterator_traitsISH_E10value_typeET2_T3_PNSI_ISN_E10value_typeET4_jRbjT5_ST_jjP12ihipStream_tbEUlT_E2_NS1_11comp_targetILNS1_3genE5ELNS1_11target_archE942ELNS1_3gpuE9ELNS1_3repE0EEENS1_30default_config_static_selectorELNS0_4arch9wavefront6targetE0EEEvSH_.private_seg_size, 0
	.set _ZN7rocprim17ROCPRIM_400000_NS6detail17trampoline_kernelINS0_14default_configENS1_36segmented_radix_sort_config_selectorIllEEZNS1_25segmented_radix_sort_implIS3_Lb1EPKlPlS8_S9_N2at6native12_GLOBAL__N_18offset_tEEE10hipError_tPvRmT1_PNSt15iterator_traitsISH_E10value_typeET2_T3_PNSI_ISN_E10value_typeET4_jRbjT5_ST_jjP12ihipStream_tbEUlT_E2_NS1_11comp_targetILNS1_3genE5ELNS1_11target_archE942ELNS1_3gpuE9ELNS1_3repE0EEENS1_30default_config_static_selectorELNS0_4arch9wavefront6targetE0EEEvSH_.uses_vcc, 0
	.set _ZN7rocprim17ROCPRIM_400000_NS6detail17trampoline_kernelINS0_14default_configENS1_36segmented_radix_sort_config_selectorIllEEZNS1_25segmented_radix_sort_implIS3_Lb1EPKlPlS8_S9_N2at6native12_GLOBAL__N_18offset_tEEE10hipError_tPvRmT1_PNSt15iterator_traitsISH_E10value_typeET2_T3_PNSI_ISN_E10value_typeET4_jRbjT5_ST_jjP12ihipStream_tbEUlT_E2_NS1_11comp_targetILNS1_3genE5ELNS1_11target_archE942ELNS1_3gpuE9ELNS1_3repE0EEENS1_30default_config_static_selectorELNS0_4arch9wavefront6targetE0EEEvSH_.uses_flat_scratch, 0
	.set _ZN7rocprim17ROCPRIM_400000_NS6detail17trampoline_kernelINS0_14default_configENS1_36segmented_radix_sort_config_selectorIllEEZNS1_25segmented_radix_sort_implIS3_Lb1EPKlPlS8_S9_N2at6native12_GLOBAL__N_18offset_tEEE10hipError_tPvRmT1_PNSt15iterator_traitsISH_E10value_typeET2_T3_PNSI_ISN_E10value_typeET4_jRbjT5_ST_jjP12ihipStream_tbEUlT_E2_NS1_11comp_targetILNS1_3genE5ELNS1_11target_archE942ELNS1_3gpuE9ELNS1_3repE0EEENS1_30default_config_static_selectorELNS0_4arch9wavefront6targetE0EEEvSH_.has_dyn_sized_stack, 0
	.set _ZN7rocprim17ROCPRIM_400000_NS6detail17trampoline_kernelINS0_14default_configENS1_36segmented_radix_sort_config_selectorIllEEZNS1_25segmented_radix_sort_implIS3_Lb1EPKlPlS8_S9_N2at6native12_GLOBAL__N_18offset_tEEE10hipError_tPvRmT1_PNSt15iterator_traitsISH_E10value_typeET2_T3_PNSI_ISN_E10value_typeET4_jRbjT5_ST_jjP12ihipStream_tbEUlT_E2_NS1_11comp_targetILNS1_3genE5ELNS1_11target_archE942ELNS1_3gpuE9ELNS1_3repE0EEENS1_30default_config_static_selectorELNS0_4arch9wavefront6targetE0EEEvSH_.has_recursion, 0
	.set _ZN7rocprim17ROCPRIM_400000_NS6detail17trampoline_kernelINS0_14default_configENS1_36segmented_radix_sort_config_selectorIllEEZNS1_25segmented_radix_sort_implIS3_Lb1EPKlPlS8_S9_N2at6native12_GLOBAL__N_18offset_tEEE10hipError_tPvRmT1_PNSt15iterator_traitsISH_E10value_typeET2_T3_PNSI_ISN_E10value_typeET4_jRbjT5_ST_jjP12ihipStream_tbEUlT_E2_NS1_11comp_targetILNS1_3genE5ELNS1_11target_archE942ELNS1_3gpuE9ELNS1_3repE0EEENS1_30default_config_static_selectorELNS0_4arch9wavefront6targetE0EEEvSH_.has_indirect_call, 0
	.section	.AMDGPU.csdata,"",@progbits
; Kernel info:
; codeLenInByte = 0
; TotalNumSgprs: 0
; NumVgprs: 0
; ScratchSize: 0
; MemoryBound: 0
; FloatMode: 240
; IeeeMode: 1
; LDSByteSize: 0 bytes/workgroup (compile time only)
; SGPRBlocks: 0
; VGPRBlocks: 0
; NumSGPRsForWavesPerEU: 1
; NumVGPRsForWavesPerEU: 1
; Occupancy: 16
; WaveLimiterHint : 0
; COMPUTE_PGM_RSRC2:SCRATCH_EN: 0
; COMPUTE_PGM_RSRC2:USER_SGPR: 6
; COMPUTE_PGM_RSRC2:TRAP_HANDLER: 0
; COMPUTE_PGM_RSRC2:TGID_X_EN: 1
; COMPUTE_PGM_RSRC2:TGID_Y_EN: 0
; COMPUTE_PGM_RSRC2:TGID_Z_EN: 0
; COMPUTE_PGM_RSRC2:TIDIG_COMP_CNT: 0
	.section	.text._ZN7rocprim17ROCPRIM_400000_NS6detail17trampoline_kernelINS0_14default_configENS1_36segmented_radix_sort_config_selectorIllEEZNS1_25segmented_radix_sort_implIS3_Lb1EPKlPlS8_S9_N2at6native12_GLOBAL__N_18offset_tEEE10hipError_tPvRmT1_PNSt15iterator_traitsISH_E10value_typeET2_T3_PNSI_ISN_E10value_typeET4_jRbjT5_ST_jjP12ihipStream_tbEUlT_E2_NS1_11comp_targetILNS1_3genE4ELNS1_11target_archE910ELNS1_3gpuE8ELNS1_3repE0EEENS1_30default_config_static_selectorELNS0_4arch9wavefront6targetE0EEEvSH_,"axG",@progbits,_ZN7rocprim17ROCPRIM_400000_NS6detail17trampoline_kernelINS0_14default_configENS1_36segmented_radix_sort_config_selectorIllEEZNS1_25segmented_radix_sort_implIS3_Lb1EPKlPlS8_S9_N2at6native12_GLOBAL__N_18offset_tEEE10hipError_tPvRmT1_PNSt15iterator_traitsISH_E10value_typeET2_T3_PNSI_ISN_E10value_typeET4_jRbjT5_ST_jjP12ihipStream_tbEUlT_E2_NS1_11comp_targetILNS1_3genE4ELNS1_11target_archE910ELNS1_3gpuE8ELNS1_3repE0EEENS1_30default_config_static_selectorELNS0_4arch9wavefront6targetE0EEEvSH_,comdat
	.globl	_ZN7rocprim17ROCPRIM_400000_NS6detail17trampoline_kernelINS0_14default_configENS1_36segmented_radix_sort_config_selectorIllEEZNS1_25segmented_radix_sort_implIS3_Lb1EPKlPlS8_S9_N2at6native12_GLOBAL__N_18offset_tEEE10hipError_tPvRmT1_PNSt15iterator_traitsISH_E10value_typeET2_T3_PNSI_ISN_E10value_typeET4_jRbjT5_ST_jjP12ihipStream_tbEUlT_E2_NS1_11comp_targetILNS1_3genE4ELNS1_11target_archE910ELNS1_3gpuE8ELNS1_3repE0EEENS1_30default_config_static_selectorELNS0_4arch9wavefront6targetE0EEEvSH_ ; -- Begin function _ZN7rocprim17ROCPRIM_400000_NS6detail17trampoline_kernelINS0_14default_configENS1_36segmented_radix_sort_config_selectorIllEEZNS1_25segmented_radix_sort_implIS3_Lb1EPKlPlS8_S9_N2at6native12_GLOBAL__N_18offset_tEEE10hipError_tPvRmT1_PNSt15iterator_traitsISH_E10value_typeET2_T3_PNSI_ISN_E10value_typeET4_jRbjT5_ST_jjP12ihipStream_tbEUlT_E2_NS1_11comp_targetILNS1_3genE4ELNS1_11target_archE910ELNS1_3gpuE8ELNS1_3repE0EEENS1_30default_config_static_selectorELNS0_4arch9wavefront6targetE0EEEvSH_
	.p2align	8
	.type	_ZN7rocprim17ROCPRIM_400000_NS6detail17trampoline_kernelINS0_14default_configENS1_36segmented_radix_sort_config_selectorIllEEZNS1_25segmented_radix_sort_implIS3_Lb1EPKlPlS8_S9_N2at6native12_GLOBAL__N_18offset_tEEE10hipError_tPvRmT1_PNSt15iterator_traitsISH_E10value_typeET2_T3_PNSI_ISN_E10value_typeET4_jRbjT5_ST_jjP12ihipStream_tbEUlT_E2_NS1_11comp_targetILNS1_3genE4ELNS1_11target_archE910ELNS1_3gpuE8ELNS1_3repE0EEENS1_30default_config_static_selectorELNS0_4arch9wavefront6targetE0EEEvSH_,@function
_ZN7rocprim17ROCPRIM_400000_NS6detail17trampoline_kernelINS0_14default_configENS1_36segmented_radix_sort_config_selectorIllEEZNS1_25segmented_radix_sort_implIS3_Lb1EPKlPlS8_S9_N2at6native12_GLOBAL__N_18offset_tEEE10hipError_tPvRmT1_PNSt15iterator_traitsISH_E10value_typeET2_T3_PNSI_ISN_E10value_typeET4_jRbjT5_ST_jjP12ihipStream_tbEUlT_E2_NS1_11comp_targetILNS1_3genE4ELNS1_11target_archE910ELNS1_3gpuE8ELNS1_3repE0EEENS1_30default_config_static_selectorELNS0_4arch9wavefront6targetE0EEEvSH_: ; @_ZN7rocprim17ROCPRIM_400000_NS6detail17trampoline_kernelINS0_14default_configENS1_36segmented_radix_sort_config_selectorIllEEZNS1_25segmented_radix_sort_implIS3_Lb1EPKlPlS8_S9_N2at6native12_GLOBAL__N_18offset_tEEE10hipError_tPvRmT1_PNSt15iterator_traitsISH_E10value_typeET2_T3_PNSI_ISN_E10value_typeET4_jRbjT5_ST_jjP12ihipStream_tbEUlT_E2_NS1_11comp_targetILNS1_3genE4ELNS1_11target_archE910ELNS1_3gpuE8ELNS1_3repE0EEENS1_30default_config_static_selectorELNS0_4arch9wavefront6targetE0EEEvSH_
; %bb.0:
	.section	.rodata,"a",@progbits
	.p2align	6, 0x0
	.amdhsa_kernel _ZN7rocprim17ROCPRIM_400000_NS6detail17trampoline_kernelINS0_14default_configENS1_36segmented_radix_sort_config_selectorIllEEZNS1_25segmented_radix_sort_implIS3_Lb1EPKlPlS8_S9_N2at6native12_GLOBAL__N_18offset_tEEE10hipError_tPvRmT1_PNSt15iterator_traitsISH_E10value_typeET2_T3_PNSI_ISN_E10value_typeET4_jRbjT5_ST_jjP12ihipStream_tbEUlT_E2_NS1_11comp_targetILNS1_3genE4ELNS1_11target_archE910ELNS1_3gpuE8ELNS1_3repE0EEENS1_30default_config_static_selectorELNS0_4arch9wavefront6targetE0EEEvSH_
		.amdhsa_group_segment_fixed_size 0
		.amdhsa_private_segment_fixed_size 0
		.amdhsa_kernarg_size 80
		.amdhsa_user_sgpr_count 6
		.amdhsa_user_sgpr_private_segment_buffer 1
		.amdhsa_user_sgpr_dispatch_ptr 0
		.amdhsa_user_sgpr_queue_ptr 0
		.amdhsa_user_sgpr_kernarg_segment_ptr 1
		.amdhsa_user_sgpr_dispatch_id 0
		.amdhsa_user_sgpr_flat_scratch_init 0
		.amdhsa_user_sgpr_private_segment_size 0
		.amdhsa_wavefront_size32 1
		.amdhsa_uses_dynamic_stack 0
		.amdhsa_system_sgpr_private_segment_wavefront_offset 0
		.amdhsa_system_sgpr_workgroup_id_x 1
		.amdhsa_system_sgpr_workgroup_id_y 0
		.amdhsa_system_sgpr_workgroup_id_z 0
		.amdhsa_system_sgpr_workgroup_info 0
		.amdhsa_system_vgpr_workitem_id 0
		.amdhsa_next_free_vgpr 1
		.amdhsa_next_free_sgpr 1
		.amdhsa_reserve_vcc 0
		.amdhsa_reserve_flat_scratch 0
		.amdhsa_float_round_mode_32 0
		.amdhsa_float_round_mode_16_64 0
		.amdhsa_float_denorm_mode_32 3
		.amdhsa_float_denorm_mode_16_64 3
		.amdhsa_dx10_clamp 1
		.amdhsa_ieee_mode 1
		.amdhsa_fp16_overflow 0
		.amdhsa_workgroup_processor_mode 1
		.amdhsa_memory_ordered 1
		.amdhsa_forward_progress 1
		.amdhsa_shared_vgpr_count 0
		.amdhsa_exception_fp_ieee_invalid_op 0
		.amdhsa_exception_fp_denorm_src 0
		.amdhsa_exception_fp_ieee_div_zero 0
		.amdhsa_exception_fp_ieee_overflow 0
		.amdhsa_exception_fp_ieee_underflow 0
		.amdhsa_exception_fp_ieee_inexact 0
		.amdhsa_exception_int_div_zero 0
	.end_amdhsa_kernel
	.section	.text._ZN7rocprim17ROCPRIM_400000_NS6detail17trampoline_kernelINS0_14default_configENS1_36segmented_radix_sort_config_selectorIllEEZNS1_25segmented_radix_sort_implIS3_Lb1EPKlPlS8_S9_N2at6native12_GLOBAL__N_18offset_tEEE10hipError_tPvRmT1_PNSt15iterator_traitsISH_E10value_typeET2_T3_PNSI_ISN_E10value_typeET4_jRbjT5_ST_jjP12ihipStream_tbEUlT_E2_NS1_11comp_targetILNS1_3genE4ELNS1_11target_archE910ELNS1_3gpuE8ELNS1_3repE0EEENS1_30default_config_static_selectorELNS0_4arch9wavefront6targetE0EEEvSH_,"axG",@progbits,_ZN7rocprim17ROCPRIM_400000_NS6detail17trampoline_kernelINS0_14default_configENS1_36segmented_radix_sort_config_selectorIllEEZNS1_25segmented_radix_sort_implIS3_Lb1EPKlPlS8_S9_N2at6native12_GLOBAL__N_18offset_tEEE10hipError_tPvRmT1_PNSt15iterator_traitsISH_E10value_typeET2_T3_PNSI_ISN_E10value_typeET4_jRbjT5_ST_jjP12ihipStream_tbEUlT_E2_NS1_11comp_targetILNS1_3genE4ELNS1_11target_archE910ELNS1_3gpuE8ELNS1_3repE0EEENS1_30default_config_static_selectorELNS0_4arch9wavefront6targetE0EEEvSH_,comdat
.Lfunc_end730:
	.size	_ZN7rocprim17ROCPRIM_400000_NS6detail17trampoline_kernelINS0_14default_configENS1_36segmented_radix_sort_config_selectorIllEEZNS1_25segmented_radix_sort_implIS3_Lb1EPKlPlS8_S9_N2at6native12_GLOBAL__N_18offset_tEEE10hipError_tPvRmT1_PNSt15iterator_traitsISH_E10value_typeET2_T3_PNSI_ISN_E10value_typeET4_jRbjT5_ST_jjP12ihipStream_tbEUlT_E2_NS1_11comp_targetILNS1_3genE4ELNS1_11target_archE910ELNS1_3gpuE8ELNS1_3repE0EEENS1_30default_config_static_selectorELNS0_4arch9wavefront6targetE0EEEvSH_, .Lfunc_end730-_ZN7rocprim17ROCPRIM_400000_NS6detail17trampoline_kernelINS0_14default_configENS1_36segmented_radix_sort_config_selectorIllEEZNS1_25segmented_radix_sort_implIS3_Lb1EPKlPlS8_S9_N2at6native12_GLOBAL__N_18offset_tEEE10hipError_tPvRmT1_PNSt15iterator_traitsISH_E10value_typeET2_T3_PNSI_ISN_E10value_typeET4_jRbjT5_ST_jjP12ihipStream_tbEUlT_E2_NS1_11comp_targetILNS1_3genE4ELNS1_11target_archE910ELNS1_3gpuE8ELNS1_3repE0EEENS1_30default_config_static_selectorELNS0_4arch9wavefront6targetE0EEEvSH_
                                        ; -- End function
	.set _ZN7rocprim17ROCPRIM_400000_NS6detail17trampoline_kernelINS0_14default_configENS1_36segmented_radix_sort_config_selectorIllEEZNS1_25segmented_radix_sort_implIS3_Lb1EPKlPlS8_S9_N2at6native12_GLOBAL__N_18offset_tEEE10hipError_tPvRmT1_PNSt15iterator_traitsISH_E10value_typeET2_T3_PNSI_ISN_E10value_typeET4_jRbjT5_ST_jjP12ihipStream_tbEUlT_E2_NS1_11comp_targetILNS1_3genE4ELNS1_11target_archE910ELNS1_3gpuE8ELNS1_3repE0EEENS1_30default_config_static_selectorELNS0_4arch9wavefront6targetE0EEEvSH_.num_vgpr, 0
	.set _ZN7rocprim17ROCPRIM_400000_NS6detail17trampoline_kernelINS0_14default_configENS1_36segmented_radix_sort_config_selectorIllEEZNS1_25segmented_radix_sort_implIS3_Lb1EPKlPlS8_S9_N2at6native12_GLOBAL__N_18offset_tEEE10hipError_tPvRmT1_PNSt15iterator_traitsISH_E10value_typeET2_T3_PNSI_ISN_E10value_typeET4_jRbjT5_ST_jjP12ihipStream_tbEUlT_E2_NS1_11comp_targetILNS1_3genE4ELNS1_11target_archE910ELNS1_3gpuE8ELNS1_3repE0EEENS1_30default_config_static_selectorELNS0_4arch9wavefront6targetE0EEEvSH_.num_agpr, 0
	.set _ZN7rocprim17ROCPRIM_400000_NS6detail17trampoline_kernelINS0_14default_configENS1_36segmented_radix_sort_config_selectorIllEEZNS1_25segmented_radix_sort_implIS3_Lb1EPKlPlS8_S9_N2at6native12_GLOBAL__N_18offset_tEEE10hipError_tPvRmT1_PNSt15iterator_traitsISH_E10value_typeET2_T3_PNSI_ISN_E10value_typeET4_jRbjT5_ST_jjP12ihipStream_tbEUlT_E2_NS1_11comp_targetILNS1_3genE4ELNS1_11target_archE910ELNS1_3gpuE8ELNS1_3repE0EEENS1_30default_config_static_selectorELNS0_4arch9wavefront6targetE0EEEvSH_.numbered_sgpr, 0
	.set _ZN7rocprim17ROCPRIM_400000_NS6detail17trampoline_kernelINS0_14default_configENS1_36segmented_radix_sort_config_selectorIllEEZNS1_25segmented_radix_sort_implIS3_Lb1EPKlPlS8_S9_N2at6native12_GLOBAL__N_18offset_tEEE10hipError_tPvRmT1_PNSt15iterator_traitsISH_E10value_typeET2_T3_PNSI_ISN_E10value_typeET4_jRbjT5_ST_jjP12ihipStream_tbEUlT_E2_NS1_11comp_targetILNS1_3genE4ELNS1_11target_archE910ELNS1_3gpuE8ELNS1_3repE0EEENS1_30default_config_static_selectorELNS0_4arch9wavefront6targetE0EEEvSH_.num_named_barrier, 0
	.set _ZN7rocprim17ROCPRIM_400000_NS6detail17trampoline_kernelINS0_14default_configENS1_36segmented_radix_sort_config_selectorIllEEZNS1_25segmented_radix_sort_implIS3_Lb1EPKlPlS8_S9_N2at6native12_GLOBAL__N_18offset_tEEE10hipError_tPvRmT1_PNSt15iterator_traitsISH_E10value_typeET2_T3_PNSI_ISN_E10value_typeET4_jRbjT5_ST_jjP12ihipStream_tbEUlT_E2_NS1_11comp_targetILNS1_3genE4ELNS1_11target_archE910ELNS1_3gpuE8ELNS1_3repE0EEENS1_30default_config_static_selectorELNS0_4arch9wavefront6targetE0EEEvSH_.private_seg_size, 0
	.set _ZN7rocprim17ROCPRIM_400000_NS6detail17trampoline_kernelINS0_14default_configENS1_36segmented_radix_sort_config_selectorIllEEZNS1_25segmented_radix_sort_implIS3_Lb1EPKlPlS8_S9_N2at6native12_GLOBAL__N_18offset_tEEE10hipError_tPvRmT1_PNSt15iterator_traitsISH_E10value_typeET2_T3_PNSI_ISN_E10value_typeET4_jRbjT5_ST_jjP12ihipStream_tbEUlT_E2_NS1_11comp_targetILNS1_3genE4ELNS1_11target_archE910ELNS1_3gpuE8ELNS1_3repE0EEENS1_30default_config_static_selectorELNS0_4arch9wavefront6targetE0EEEvSH_.uses_vcc, 0
	.set _ZN7rocprim17ROCPRIM_400000_NS6detail17trampoline_kernelINS0_14default_configENS1_36segmented_radix_sort_config_selectorIllEEZNS1_25segmented_radix_sort_implIS3_Lb1EPKlPlS8_S9_N2at6native12_GLOBAL__N_18offset_tEEE10hipError_tPvRmT1_PNSt15iterator_traitsISH_E10value_typeET2_T3_PNSI_ISN_E10value_typeET4_jRbjT5_ST_jjP12ihipStream_tbEUlT_E2_NS1_11comp_targetILNS1_3genE4ELNS1_11target_archE910ELNS1_3gpuE8ELNS1_3repE0EEENS1_30default_config_static_selectorELNS0_4arch9wavefront6targetE0EEEvSH_.uses_flat_scratch, 0
	.set _ZN7rocprim17ROCPRIM_400000_NS6detail17trampoline_kernelINS0_14default_configENS1_36segmented_radix_sort_config_selectorIllEEZNS1_25segmented_radix_sort_implIS3_Lb1EPKlPlS8_S9_N2at6native12_GLOBAL__N_18offset_tEEE10hipError_tPvRmT1_PNSt15iterator_traitsISH_E10value_typeET2_T3_PNSI_ISN_E10value_typeET4_jRbjT5_ST_jjP12ihipStream_tbEUlT_E2_NS1_11comp_targetILNS1_3genE4ELNS1_11target_archE910ELNS1_3gpuE8ELNS1_3repE0EEENS1_30default_config_static_selectorELNS0_4arch9wavefront6targetE0EEEvSH_.has_dyn_sized_stack, 0
	.set _ZN7rocprim17ROCPRIM_400000_NS6detail17trampoline_kernelINS0_14default_configENS1_36segmented_radix_sort_config_selectorIllEEZNS1_25segmented_radix_sort_implIS3_Lb1EPKlPlS8_S9_N2at6native12_GLOBAL__N_18offset_tEEE10hipError_tPvRmT1_PNSt15iterator_traitsISH_E10value_typeET2_T3_PNSI_ISN_E10value_typeET4_jRbjT5_ST_jjP12ihipStream_tbEUlT_E2_NS1_11comp_targetILNS1_3genE4ELNS1_11target_archE910ELNS1_3gpuE8ELNS1_3repE0EEENS1_30default_config_static_selectorELNS0_4arch9wavefront6targetE0EEEvSH_.has_recursion, 0
	.set _ZN7rocprim17ROCPRIM_400000_NS6detail17trampoline_kernelINS0_14default_configENS1_36segmented_radix_sort_config_selectorIllEEZNS1_25segmented_radix_sort_implIS3_Lb1EPKlPlS8_S9_N2at6native12_GLOBAL__N_18offset_tEEE10hipError_tPvRmT1_PNSt15iterator_traitsISH_E10value_typeET2_T3_PNSI_ISN_E10value_typeET4_jRbjT5_ST_jjP12ihipStream_tbEUlT_E2_NS1_11comp_targetILNS1_3genE4ELNS1_11target_archE910ELNS1_3gpuE8ELNS1_3repE0EEENS1_30default_config_static_selectorELNS0_4arch9wavefront6targetE0EEEvSH_.has_indirect_call, 0
	.section	.AMDGPU.csdata,"",@progbits
; Kernel info:
; codeLenInByte = 0
; TotalNumSgprs: 0
; NumVgprs: 0
; ScratchSize: 0
; MemoryBound: 0
; FloatMode: 240
; IeeeMode: 1
; LDSByteSize: 0 bytes/workgroup (compile time only)
; SGPRBlocks: 0
; VGPRBlocks: 0
; NumSGPRsForWavesPerEU: 1
; NumVGPRsForWavesPerEU: 1
; Occupancy: 16
; WaveLimiterHint : 0
; COMPUTE_PGM_RSRC2:SCRATCH_EN: 0
; COMPUTE_PGM_RSRC2:USER_SGPR: 6
; COMPUTE_PGM_RSRC2:TRAP_HANDLER: 0
; COMPUTE_PGM_RSRC2:TGID_X_EN: 1
; COMPUTE_PGM_RSRC2:TGID_Y_EN: 0
; COMPUTE_PGM_RSRC2:TGID_Z_EN: 0
; COMPUTE_PGM_RSRC2:TIDIG_COMP_CNT: 0
	.section	.text._ZN7rocprim17ROCPRIM_400000_NS6detail17trampoline_kernelINS0_14default_configENS1_36segmented_radix_sort_config_selectorIllEEZNS1_25segmented_radix_sort_implIS3_Lb1EPKlPlS8_S9_N2at6native12_GLOBAL__N_18offset_tEEE10hipError_tPvRmT1_PNSt15iterator_traitsISH_E10value_typeET2_T3_PNSI_ISN_E10value_typeET4_jRbjT5_ST_jjP12ihipStream_tbEUlT_E2_NS1_11comp_targetILNS1_3genE3ELNS1_11target_archE908ELNS1_3gpuE7ELNS1_3repE0EEENS1_30default_config_static_selectorELNS0_4arch9wavefront6targetE0EEEvSH_,"axG",@progbits,_ZN7rocprim17ROCPRIM_400000_NS6detail17trampoline_kernelINS0_14default_configENS1_36segmented_radix_sort_config_selectorIllEEZNS1_25segmented_radix_sort_implIS3_Lb1EPKlPlS8_S9_N2at6native12_GLOBAL__N_18offset_tEEE10hipError_tPvRmT1_PNSt15iterator_traitsISH_E10value_typeET2_T3_PNSI_ISN_E10value_typeET4_jRbjT5_ST_jjP12ihipStream_tbEUlT_E2_NS1_11comp_targetILNS1_3genE3ELNS1_11target_archE908ELNS1_3gpuE7ELNS1_3repE0EEENS1_30default_config_static_selectorELNS0_4arch9wavefront6targetE0EEEvSH_,comdat
	.globl	_ZN7rocprim17ROCPRIM_400000_NS6detail17trampoline_kernelINS0_14default_configENS1_36segmented_radix_sort_config_selectorIllEEZNS1_25segmented_radix_sort_implIS3_Lb1EPKlPlS8_S9_N2at6native12_GLOBAL__N_18offset_tEEE10hipError_tPvRmT1_PNSt15iterator_traitsISH_E10value_typeET2_T3_PNSI_ISN_E10value_typeET4_jRbjT5_ST_jjP12ihipStream_tbEUlT_E2_NS1_11comp_targetILNS1_3genE3ELNS1_11target_archE908ELNS1_3gpuE7ELNS1_3repE0EEENS1_30default_config_static_selectorELNS0_4arch9wavefront6targetE0EEEvSH_ ; -- Begin function _ZN7rocprim17ROCPRIM_400000_NS6detail17trampoline_kernelINS0_14default_configENS1_36segmented_radix_sort_config_selectorIllEEZNS1_25segmented_radix_sort_implIS3_Lb1EPKlPlS8_S9_N2at6native12_GLOBAL__N_18offset_tEEE10hipError_tPvRmT1_PNSt15iterator_traitsISH_E10value_typeET2_T3_PNSI_ISN_E10value_typeET4_jRbjT5_ST_jjP12ihipStream_tbEUlT_E2_NS1_11comp_targetILNS1_3genE3ELNS1_11target_archE908ELNS1_3gpuE7ELNS1_3repE0EEENS1_30default_config_static_selectorELNS0_4arch9wavefront6targetE0EEEvSH_
	.p2align	8
	.type	_ZN7rocprim17ROCPRIM_400000_NS6detail17trampoline_kernelINS0_14default_configENS1_36segmented_radix_sort_config_selectorIllEEZNS1_25segmented_radix_sort_implIS3_Lb1EPKlPlS8_S9_N2at6native12_GLOBAL__N_18offset_tEEE10hipError_tPvRmT1_PNSt15iterator_traitsISH_E10value_typeET2_T3_PNSI_ISN_E10value_typeET4_jRbjT5_ST_jjP12ihipStream_tbEUlT_E2_NS1_11comp_targetILNS1_3genE3ELNS1_11target_archE908ELNS1_3gpuE7ELNS1_3repE0EEENS1_30default_config_static_selectorELNS0_4arch9wavefront6targetE0EEEvSH_,@function
_ZN7rocprim17ROCPRIM_400000_NS6detail17trampoline_kernelINS0_14default_configENS1_36segmented_radix_sort_config_selectorIllEEZNS1_25segmented_radix_sort_implIS3_Lb1EPKlPlS8_S9_N2at6native12_GLOBAL__N_18offset_tEEE10hipError_tPvRmT1_PNSt15iterator_traitsISH_E10value_typeET2_T3_PNSI_ISN_E10value_typeET4_jRbjT5_ST_jjP12ihipStream_tbEUlT_E2_NS1_11comp_targetILNS1_3genE3ELNS1_11target_archE908ELNS1_3gpuE7ELNS1_3repE0EEENS1_30default_config_static_selectorELNS0_4arch9wavefront6targetE0EEEvSH_: ; @_ZN7rocprim17ROCPRIM_400000_NS6detail17trampoline_kernelINS0_14default_configENS1_36segmented_radix_sort_config_selectorIllEEZNS1_25segmented_radix_sort_implIS3_Lb1EPKlPlS8_S9_N2at6native12_GLOBAL__N_18offset_tEEE10hipError_tPvRmT1_PNSt15iterator_traitsISH_E10value_typeET2_T3_PNSI_ISN_E10value_typeET4_jRbjT5_ST_jjP12ihipStream_tbEUlT_E2_NS1_11comp_targetILNS1_3genE3ELNS1_11target_archE908ELNS1_3gpuE7ELNS1_3repE0EEENS1_30default_config_static_selectorELNS0_4arch9wavefront6targetE0EEEvSH_
; %bb.0:
	.section	.rodata,"a",@progbits
	.p2align	6, 0x0
	.amdhsa_kernel _ZN7rocprim17ROCPRIM_400000_NS6detail17trampoline_kernelINS0_14default_configENS1_36segmented_radix_sort_config_selectorIllEEZNS1_25segmented_radix_sort_implIS3_Lb1EPKlPlS8_S9_N2at6native12_GLOBAL__N_18offset_tEEE10hipError_tPvRmT1_PNSt15iterator_traitsISH_E10value_typeET2_T3_PNSI_ISN_E10value_typeET4_jRbjT5_ST_jjP12ihipStream_tbEUlT_E2_NS1_11comp_targetILNS1_3genE3ELNS1_11target_archE908ELNS1_3gpuE7ELNS1_3repE0EEENS1_30default_config_static_selectorELNS0_4arch9wavefront6targetE0EEEvSH_
		.amdhsa_group_segment_fixed_size 0
		.amdhsa_private_segment_fixed_size 0
		.amdhsa_kernarg_size 80
		.amdhsa_user_sgpr_count 6
		.amdhsa_user_sgpr_private_segment_buffer 1
		.amdhsa_user_sgpr_dispatch_ptr 0
		.amdhsa_user_sgpr_queue_ptr 0
		.amdhsa_user_sgpr_kernarg_segment_ptr 1
		.amdhsa_user_sgpr_dispatch_id 0
		.amdhsa_user_sgpr_flat_scratch_init 0
		.amdhsa_user_sgpr_private_segment_size 0
		.amdhsa_wavefront_size32 1
		.amdhsa_uses_dynamic_stack 0
		.amdhsa_system_sgpr_private_segment_wavefront_offset 0
		.amdhsa_system_sgpr_workgroup_id_x 1
		.amdhsa_system_sgpr_workgroup_id_y 0
		.amdhsa_system_sgpr_workgroup_id_z 0
		.amdhsa_system_sgpr_workgroup_info 0
		.amdhsa_system_vgpr_workitem_id 0
		.amdhsa_next_free_vgpr 1
		.amdhsa_next_free_sgpr 1
		.amdhsa_reserve_vcc 0
		.amdhsa_reserve_flat_scratch 0
		.amdhsa_float_round_mode_32 0
		.amdhsa_float_round_mode_16_64 0
		.amdhsa_float_denorm_mode_32 3
		.amdhsa_float_denorm_mode_16_64 3
		.amdhsa_dx10_clamp 1
		.amdhsa_ieee_mode 1
		.amdhsa_fp16_overflow 0
		.amdhsa_workgroup_processor_mode 1
		.amdhsa_memory_ordered 1
		.amdhsa_forward_progress 1
		.amdhsa_shared_vgpr_count 0
		.amdhsa_exception_fp_ieee_invalid_op 0
		.amdhsa_exception_fp_denorm_src 0
		.amdhsa_exception_fp_ieee_div_zero 0
		.amdhsa_exception_fp_ieee_overflow 0
		.amdhsa_exception_fp_ieee_underflow 0
		.amdhsa_exception_fp_ieee_inexact 0
		.amdhsa_exception_int_div_zero 0
	.end_amdhsa_kernel
	.section	.text._ZN7rocprim17ROCPRIM_400000_NS6detail17trampoline_kernelINS0_14default_configENS1_36segmented_radix_sort_config_selectorIllEEZNS1_25segmented_radix_sort_implIS3_Lb1EPKlPlS8_S9_N2at6native12_GLOBAL__N_18offset_tEEE10hipError_tPvRmT1_PNSt15iterator_traitsISH_E10value_typeET2_T3_PNSI_ISN_E10value_typeET4_jRbjT5_ST_jjP12ihipStream_tbEUlT_E2_NS1_11comp_targetILNS1_3genE3ELNS1_11target_archE908ELNS1_3gpuE7ELNS1_3repE0EEENS1_30default_config_static_selectorELNS0_4arch9wavefront6targetE0EEEvSH_,"axG",@progbits,_ZN7rocprim17ROCPRIM_400000_NS6detail17trampoline_kernelINS0_14default_configENS1_36segmented_radix_sort_config_selectorIllEEZNS1_25segmented_radix_sort_implIS3_Lb1EPKlPlS8_S9_N2at6native12_GLOBAL__N_18offset_tEEE10hipError_tPvRmT1_PNSt15iterator_traitsISH_E10value_typeET2_T3_PNSI_ISN_E10value_typeET4_jRbjT5_ST_jjP12ihipStream_tbEUlT_E2_NS1_11comp_targetILNS1_3genE3ELNS1_11target_archE908ELNS1_3gpuE7ELNS1_3repE0EEENS1_30default_config_static_selectorELNS0_4arch9wavefront6targetE0EEEvSH_,comdat
.Lfunc_end731:
	.size	_ZN7rocprim17ROCPRIM_400000_NS6detail17trampoline_kernelINS0_14default_configENS1_36segmented_radix_sort_config_selectorIllEEZNS1_25segmented_radix_sort_implIS3_Lb1EPKlPlS8_S9_N2at6native12_GLOBAL__N_18offset_tEEE10hipError_tPvRmT1_PNSt15iterator_traitsISH_E10value_typeET2_T3_PNSI_ISN_E10value_typeET4_jRbjT5_ST_jjP12ihipStream_tbEUlT_E2_NS1_11comp_targetILNS1_3genE3ELNS1_11target_archE908ELNS1_3gpuE7ELNS1_3repE0EEENS1_30default_config_static_selectorELNS0_4arch9wavefront6targetE0EEEvSH_, .Lfunc_end731-_ZN7rocprim17ROCPRIM_400000_NS6detail17trampoline_kernelINS0_14default_configENS1_36segmented_radix_sort_config_selectorIllEEZNS1_25segmented_radix_sort_implIS3_Lb1EPKlPlS8_S9_N2at6native12_GLOBAL__N_18offset_tEEE10hipError_tPvRmT1_PNSt15iterator_traitsISH_E10value_typeET2_T3_PNSI_ISN_E10value_typeET4_jRbjT5_ST_jjP12ihipStream_tbEUlT_E2_NS1_11comp_targetILNS1_3genE3ELNS1_11target_archE908ELNS1_3gpuE7ELNS1_3repE0EEENS1_30default_config_static_selectorELNS0_4arch9wavefront6targetE0EEEvSH_
                                        ; -- End function
	.set _ZN7rocprim17ROCPRIM_400000_NS6detail17trampoline_kernelINS0_14default_configENS1_36segmented_radix_sort_config_selectorIllEEZNS1_25segmented_radix_sort_implIS3_Lb1EPKlPlS8_S9_N2at6native12_GLOBAL__N_18offset_tEEE10hipError_tPvRmT1_PNSt15iterator_traitsISH_E10value_typeET2_T3_PNSI_ISN_E10value_typeET4_jRbjT5_ST_jjP12ihipStream_tbEUlT_E2_NS1_11comp_targetILNS1_3genE3ELNS1_11target_archE908ELNS1_3gpuE7ELNS1_3repE0EEENS1_30default_config_static_selectorELNS0_4arch9wavefront6targetE0EEEvSH_.num_vgpr, 0
	.set _ZN7rocprim17ROCPRIM_400000_NS6detail17trampoline_kernelINS0_14default_configENS1_36segmented_radix_sort_config_selectorIllEEZNS1_25segmented_radix_sort_implIS3_Lb1EPKlPlS8_S9_N2at6native12_GLOBAL__N_18offset_tEEE10hipError_tPvRmT1_PNSt15iterator_traitsISH_E10value_typeET2_T3_PNSI_ISN_E10value_typeET4_jRbjT5_ST_jjP12ihipStream_tbEUlT_E2_NS1_11comp_targetILNS1_3genE3ELNS1_11target_archE908ELNS1_3gpuE7ELNS1_3repE0EEENS1_30default_config_static_selectorELNS0_4arch9wavefront6targetE0EEEvSH_.num_agpr, 0
	.set _ZN7rocprim17ROCPRIM_400000_NS6detail17trampoline_kernelINS0_14default_configENS1_36segmented_radix_sort_config_selectorIllEEZNS1_25segmented_radix_sort_implIS3_Lb1EPKlPlS8_S9_N2at6native12_GLOBAL__N_18offset_tEEE10hipError_tPvRmT1_PNSt15iterator_traitsISH_E10value_typeET2_T3_PNSI_ISN_E10value_typeET4_jRbjT5_ST_jjP12ihipStream_tbEUlT_E2_NS1_11comp_targetILNS1_3genE3ELNS1_11target_archE908ELNS1_3gpuE7ELNS1_3repE0EEENS1_30default_config_static_selectorELNS0_4arch9wavefront6targetE0EEEvSH_.numbered_sgpr, 0
	.set _ZN7rocprim17ROCPRIM_400000_NS6detail17trampoline_kernelINS0_14default_configENS1_36segmented_radix_sort_config_selectorIllEEZNS1_25segmented_radix_sort_implIS3_Lb1EPKlPlS8_S9_N2at6native12_GLOBAL__N_18offset_tEEE10hipError_tPvRmT1_PNSt15iterator_traitsISH_E10value_typeET2_T3_PNSI_ISN_E10value_typeET4_jRbjT5_ST_jjP12ihipStream_tbEUlT_E2_NS1_11comp_targetILNS1_3genE3ELNS1_11target_archE908ELNS1_3gpuE7ELNS1_3repE0EEENS1_30default_config_static_selectorELNS0_4arch9wavefront6targetE0EEEvSH_.num_named_barrier, 0
	.set _ZN7rocprim17ROCPRIM_400000_NS6detail17trampoline_kernelINS0_14default_configENS1_36segmented_radix_sort_config_selectorIllEEZNS1_25segmented_radix_sort_implIS3_Lb1EPKlPlS8_S9_N2at6native12_GLOBAL__N_18offset_tEEE10hipError_tPvRmT1_PNSt15iterator_traitsISH_E10value_typeET2_T3_PNSI_ISN_E10value_typeET4_jRbjT5_ST_jjP12ihipStream_tbEUlT_E2_NS1_11comp_targetILNS1_3genE3ELNS1_11target_archE908ELNS1_3gpuE7ELNS1_3repE0EEENS1_30default_config_static_selectorELNS0_4arch9wavefront6targetE0EEEvSH_.private_seg_size, 0
	.set _ZN7rocprim17ROCPRIM_400000_NS6detail17trampoline_kernelINS0_14default_configENS1_36segmented_radix_sort_config_selectorIllEEZNS1_25segmented_radix_sort_implIS3_Lb1EPKlPlS8_S9_N2at6native12_GLOBAL__N_18offset_tEEE10hipError_tPvRmT1_PNSt15iterator_traitsISH_E10value_typeET2_T3_PNSI_ISN_E10value_typeET4_jRbjT5_ST_jjP12ihipStream_tbEUlT_E2_NS1_11comp_targetILNS1_3genE3ELNS1_11target_archE908ELNS1_3gpuE7ELNS1_3repE0EEENS1_30default_config_static_selectorELNS0_4arch9wavefront6targetE0EEEvSH_.uses_vcc, 0
	.set _ZN7rocprim17ROCPRIM_400000_NS6detail17trampoline_kernelINS0_14default_configENS1_36segmented_radix_sort_config_selectorIllEEZNS1_25segmented_radix_sort_implIS3_Lb1EPKlPlS8_S9_N2at6native12_GLOBAL__N_18offset_tEEE10hipError_tPvRmT1_PNSt15iterator_traitsISH_E10value_typeET2_T3_PNSI_ISN_E10value_typeET4_jRbjT5_ST_jjP12ihipStream_tbEUlT_E2_NS1_11comp_targetILNS1_3genE3ELNS1_11target_archE908ELNS1_3gpuE7ELNS1_3repE0EEENS1_30default_config_static_selectorELNS0_4arch9wavefront6targetE0EEEvSH_.uses_flat_scratch, 0
	.set _ZN7rocprim17ROCPRIM_400000_NS6detail17trampoline_kernelINS0_14default_configENS1_36segmented_radix_sort_config_selectorIllEEZNS1_25segmented_radix_sort_implIS3_Lb1EPKlPlS8_S9_N2at6native12_GLOBAL__N_18offset_tEEE10hipError_tPvRmT1_PNSt15iterator_traitsISH_E10value_typeET2_T3_PNSI_ISN_E10value_typeET4_jRbjT5_ST_jjP12ihipStream_tbEUlT_E2_NS1_11comp_targetILNS1_3genE3ELNS1_11target_archE908ELNS1_3gpuE7ELNS1_3repE0EEENS1_30default_config_static_selectorELNS0_4arch9wavefront6targetE0EEEvSH_.has_dyn_sized_stack, 0
	.set _ZN7rocprim17ROCPRIM_400000_NS6detail17trampoline_kernelINS0_14default_configENS1_36segmented_radix_sort_config_selectorIllEEZNS1_25segmented_radix_sort_implIS3_Lb1EPKlPlS8_S9_N2at6native12_GLOBAL__N_18offset_tEEE10hipError_tPvRmT1_PNSt15iterator_traitsISH_E10value_typeET2_T3_PNSI_ISN_E10value_typeET4_jRbjT5_ST_jjP12ihipStream_tbEUlT_E2_NS1_11comp_targetILNS1_3genE3ELNS1_11target_archE908ELNS1_3gpuE7ELNS1_3repE0EEENS1_30default_config_static_selectorELNS0_4arch9wavefront6targetE0EEEvSH_.has_recursion, 0
	.set _ZN7rocprim17ROCPRIM_400000_NS6detail17trampoline_kernelINS0_14default_configENS1_36segmented_radix_sort_config_selectorIllEEZNS1_25segmented_radix_sort_implIS3_Lb1EPKlPlS8_S9_N2at6native12_GLOBAL__N_18offset_tEEE10hipError_tPvRmT1_PNSt15iterator_traitsISH_E10value_typeET2_T3_PNSI_ISN_E10value_typeET4_jRbjT5_ST_jjP12ihipStream_tbEUlT_E2_NS1_11comp_targetILNS1_3genE3ELNS1_11target_archE908ELNS1_3gpuE7ELNS1_3repE0EEENS1_30default_config_static_selectorELNS0_4arch9wavefront6targetE0EEEvSH_.has_indirect_call, 0
	.section	.AMDGPU.csdata,"",@progbits
; Kernel info:
; codeLenInByte = 0
; TotalNumSgprs: 0
; NumVgprs: 0
; ScratchSize: 0
; MemoryBound: 0
; FloatMode: 240
; IeeeMode: 1
; LDSByteSize: 0 bytes/workgroup (compile time only)
; SGPRBlocks: 0
; VGPRBlocks: 0
; NumSGPRsForWavesPerEU: 1
; NumVGPRsForWavesPerEU: 1
; Occupancy: 16
; WaveLimiterHint : 0
; COMPUTE_PGM_RSRC2:SCRATCH_EN: 0
; COMPUTE_PGM_RSRC2:USER_SGPR: 6
; COMPUTE_PGM_RSRC2:TRAP_HANDLER: 0
; COMPUTE_PGM_RSRC2:TGID_X_EN: 1
; COMPUTE_PGM_RSRC2:TGID_Y_EN: 0
; COMPUTE_PGM_RSRC2:TGID_Z_EN: 0
; COMPUTE_PGM_RSRC2:TIDIG_COMP_CNT: 0
	.section	.text._ZN7rocprim17ROCPRIM_400000_NS6detail17trampoline_kernelINS0_14default_configENS1_36segmented_radix_sort_config_selectorIllEEZNS1_25segmented_radix_sort_implIS3_Lb1EPKlPlS8_S9_N2at6native12_GLOBAL__N_18offset_tEEE10hipError_tPvRmT1_PNSt15iterator_traitsISH_E10value_typeET2_T3_PNSI_ISN_E10value_typeET4_jRbjT5_ST_jjP12ihipStream_tbEUlT_E2_NS1_11comp_targetILNS1_3genE2ELNS1_11target_archE906ELNS1_3gpuE6ELNS1_3repE0EEENS1_30default_config_static_selectorELNS0_4arch9wavefront6targetE0EEEvSH_,"axG",@progbits,_ZN7rocprim17ROCPRIM_400000_NS6detail17trampoline_kernelINS0_14default_configENS1_36segmented_radix_sort_config_selectorIllEEZNS1_25segmented_radix_sort_implIS3_Lb1EPKlPlS8_S9_N2at6native12_GLOBAL__N_18offset_tEEE10hipError_tPvRmT1_PNSt15iterator_traitsISH_E10value_typeET2_T3_PNSI_ISN_E10value_typeET4_jRbjT5_ST_jjP12ihipStream_tbEUlT_E2_NS1_11comp_targetILNS1_3genE2ELNS1_11target_archE906ELNS1_3gpuE6ELNS1_3repE0EEENS1_30default_config_static_selectorELNS0_4arch9wavefront6targetE0EEEvSH_,comdat
	.globl	_ZN7rocprim17ROCPRIM_400000_NS6detail17trampoline_kernelINS0_14default_configENS1_36segmented_radix_sort_config_selectorIllEEZNS1_25segmented_radix_sort_implIS3_Lb1EPKlPlS8_S9_N2at6native12_GLOBAL__N_18offset_tEEE10hipError_tPvRmT1_PNSt15iterator_traitsISH_E10value_typeET2_T3_PNSI_ISN_E10value_typeET4_jRbjT5_ST_jjP12ihipStream_tbEUlT_E2_NS1_11comp_targetILNS1_3genE2ELNS1_11target_archE906ELNS1_3gpuE6ELNS1_3repE0EEENS1_30default_config_static_selectorELNS0_4arch9wavefront6targetE0EEEvSH_ ; -- Begin function _ZN7rocprim17ROCPRIM_400000_NS6detail17trampoline_kernelINS0_14default_configENS1_36segmented_radix_sort_config_selectorIllEEZNS1_25segmented_radix_sort_implIS3_Lb1EPKlPlS8_S9_N2at6native12_GLOBAL__N_18offset_tEEE10hipError_tPvRmT1_PNSt15iterator_traitsISH_E10value_typeET2_T3_PNSI_ISN_E10value_typeET4_jRbjT5_ST_jjP12ihipStream_tbEUlT_E2_NS1_11comp_targetILNS1_3genE2ELNS1_11target_archE906ELNS1_3gpuE6ELNS1_3repE0EEENS1_30default_config_static_selectorELNS0_4arch9wavefront6targetE0EEEvSH_
	.p2align	8
	.type	_ZN7rocprim17ROCPRIM_400000_NS6detail17trampoline_kernelINS0_14default_configENS1_36segmented_radix_sort_config_selectorIllEEZNS1_25segmented_radix_sort_implIS3_Lb1EPKlPlS8_S9_N2at6native12_GLOBAL__N_18offset_tEEE10hipError_tPvRmT1_PNSt15iterator_traitsISH_E10value_typeET2_T3_PNSI_ISN_E10value_typeET4_jRbjT5_ST_jjP12ihipStream_tbEUlT_E2_NS1_11comp_targetILNS1_3genE2ELNS1_11target_archE906ELNS1_3gpuE6ELNS1_3repE0EEENS1_30default_config_static_selectorELNS0_4arch9wavefront6targetE0EEEvSH_,@function
_ZN7rocprim17ROCPRIM_400000_NS6detail17trampoline_kernelINS0_14default_configENS1_36segmented_radix_sort_config_selectorIllEEZNS1_25segmented_radix_sort_implIS3_Lb1EPKlPlS8_S9_N2at6native12_GLOBAL__N_18offset_tEEE10hipError_tPvRmT1_PNSt15iterator_traitsISH_E10value_typeET2_T3_PNSI_ISN_E10value_typeET4_jRbjT5_ST_jjP12ihipStream_tbEUlT_E2_NS1_11comp_targetILNS1_3genE2ELNS1_11target_archE906ELNS1_3gpuE6ELNS1_3repE0EEENS1_30default_config_static_selectorELNS0_4arch9wavefront6targetE0EEEvSH_: ; @_ZN7rocprim17ROCPRIM_400000_NS6detail17trampoline_kernelINS0_14default_configENS1_36segmented_radix_sort_config_selectorIllEEZNS1_25segmented_radix_sort_implIS3_Lb1EPKlPlS8_S9_N2at6native12_GLOBAL__N_18offset_tEEE10hipError_tPvRmT1_PNSt15iterator_traitsISH_E10value_typeET2_T3_PNSI_ISN_E10value_typeET4_jRbjT5_ST_jjP12ihipStream_tbEUlT_E2_NS1_11comp_targetILNS1_3genE2ELNS1_11target_archE906ELNS1_3gpuE6ELNS1_3repE0EEENS1_30default_config_static_selectorELNS0_4arch9wavefront6targetE0EEEvSH_
; %bb.0:
	.section	.rodata,"a",@progbits
	.p2align	6, 0x0
	.amdhsa_kernel _ZN7rocprim17ROCPRIM_400000_NS6detail17trampoline_kernelINS0_14default_configENS1_36segmented_radix_sort_config_selectorIllEEZNS1_25segmented_radix_sort_implIS3_Lb1EPKlPlS8_S9_N2at6native12_GLOBAL__N_18offset_tEEE10hipError_tPvRmT1_PNSt15iterator_traitsISH_E10value_typeET2_T3_PNSI_ISN_E10value_typeET4_jRbjT5_ST_jjP12ihipStream_tbEUlT_E2_NS1_11comp_targetILNS1_3genE2ELNS1_11target_archE906ELNS1_3gpuE6ELNS1_3repE0EEENS1_30default_config_static_selectorELNS0_4arch9wavefront6targetE0EEEvSH_
		.amdhsa_group_segment_fixed_size 0
		.amdhsa_private_segment_fixed_size 0
		.amdhsa_kernarg_size 80
		.amdhsa_user_sgpr_count 6
		.amdhsa_user_sgpr_private_segment_buffer 1
		.amdhsa_user_sgpr_dispatch_ptr 0
		.amdhsa_user_sgpr_queue_ptr 0
		.amdhsa_user_sgpr_kernarg_segment_ptr 1
		.amdhsa_user_sgpr_dispatch_id 0
		.amdhsa_user_sgpr_flat_scratch_init 0
		.amdhsa_user_sgpr_private_segment_size 0
		.amdhsa_wavefront_size32 1
		.amdhsa_uses_dynamic_stack 0
		.amdhsa_system_sgpr_private_segment_wavefront_offset 0
		.amdhsa_system_sgpr_workgroup_id_x 1
		.amdhsa_system_sgpr_workgroup_id_y 0
		.amdhsa_system_sgpr_workgroup_id_z 0
		.amdhsa_system_sgpr_workgroup_info 0
		.amdhsa_system_vgpr_workitem_id 0
		.amdhsa_next_free_vgpr 1
		.amdhsa_next_free_sgpr 1
		.amdhsa_reserve_vcc 0
		.amdhsa_reserve_flat_scratch 0
		.amdhsa_float_round_mode_32 0
		.amdhsa_float_round_mode_16_64 0
		.amdhsa_float_denorm_mode_32 3
		.amdhsa_float_denorm_mode_16_64 3
		.amdhsa_dx10_clamp 1
		.amdhsa_ieee_mode 1
		.amdhsa_fp16_overflow 0
		.amdhsa_workgroup_processor_mode 1
		.amdhsa_memory_ordered 1
		.amdhsa_forward_progress 1
		.amdhsa_shared_vgpr_count 0
		.amdhsa_exception_fp_ieee_invalid_op 0
		.amdhsa_exception_fp_denorm_src 0
		.amdhsa_exception_fp_ieee_div_zero 0
		.amdhsa_exception_fp_ieee_overflow 0
		.amdhsa_exception_fp_ieee_underflow 0
		.amdhsa_exception_fp_ieee_inexact 0
		.amdhsa_exception_int_div_zero 0
	.end_amdhsa_kernel
	.section	.text._ZN7rocprim17ROCPRIM_400000_NS6detail17trampoline_kernelINS0_14default_configENS1_36segmented_radix_sort_config_selectorIllEEZNS1_25segmented_radix_sort_implIS3_Lb1EPKlPlS8_S9_N2at6native12_GLOBAL__N_18offset_tEEE10hipError_tPvRmT1_PNSt15iterator_traitsISH_E10value_typeET2_T3_PNSI_ISN_E10value_typeET4_jRbjT5_ST_jjP12ihipStream_tbEUlT_E2_NS1_11comp_targetILNS1_3genE2ELNS1_11target_archE906ELNS1_3gpuE6ELNS1_3repE0EEENS1_30default_config_static_selectorELNS0_4arch9wavefront6targetE0EEEvSH_,"axG",@progbits,_ZN7rocprim17ROCPRIM_400000_NS6detail17trampoline_kernelINS0_14default_configENS1_36segmented_radix_sort_config_selectorIllEEZNS1_25segmented_radix_sort_implIS3_Lb1EPKlPlS8_S9_N2at6native12_GLOBAL__N_18offset_tEEE10hipError_tPvRmT1_PNSt15iterator_traitsISH_E10value_typeET2_T3_PNSI_ISN_E10value_typeET4_jRbjT5_ST_jjP12ihipStream_tbEUlT_E2_NS1_11comp_targetILNS1_3genE2ELNS1_11target_archE906ELNS1_3gpuE6ELNS1_3repE0EEENS1_30default_config_static_selectorELNS0_4arch9wavefront6targetE0EEEvSH_,comdat
.Lfunc_end732:
	.size	_ZN7rocprim17ROCPRIM_400000_NS6detail17trampoline_kernelINS0_14default_configENS1_36segmented_radix_sort_config_selectorIllEEZNS1_25segmented_radix_sort_implIS3_Lb1EPKlPlS8_S9_N2at6native12_GLOBAL__N_18offset_tEEE10hipError_tPvRmT1_PNSt15iterator_traitsISH_E10value_typeET2_T3_PNSI_ISN_E10value_typeET4_jRbjT5_ST_jjP12ihipStream_tbEUlT_E2_NS1_11comp_targetILNS1_3genE2ELNS1_11target_archE906ELNS1_3gpuE6ELNS1_3repE0EEENS1_30default_config_static_selectorELNS0_4arch9wavefront6targetE0EEEvSH_, .Lfunc_end732-_ZN7rocprim17ROCPRIM_400000_NS6detail17trampoline_kernelINS0_14default_configENS1_36segmented_radix_sort_config_selectorIllEEZNS1_25segmented_radix_sort_implIS3_Lb1EPKlPlS8_S9_N2at6native12_GLOBAL__N_18offset_tEEE10hipError_tPvRmT1_PNSt15iterator_traitsISH_E10value_typeET2_T3_PNSI_ISN_E10value_typeET4_jRbjT5_ST_jjP12ihipStream_tbEUlT_E2_NS1_11comp_targetILNS1_3genE2ELNS1_11target_archE906ELNS1_3gpuE6ELNS1_3repE0EEENS1_30default_config_static_selectorELNS0_4arch9wavefront6targetE0EEEvSH_
                                        ; -- End function
	.set _ZN7rocprim17ROCPRIM_400000_NS6detail17trampoline_kernelINS0_14default_configENS1_36segmented_radix_sort_config_selectorIllEEZNS1_25segmented_radix_sort_implIS3_Lb1EPKlPlS8_S9_N2at6native12_GLOBAL__N_18offset_tEEE10hipError_tPvRmT1_PNSt15iterator_traitsISH_E10value_typeET2_T3_PNSI_ISN_E10value_typeET4_jRbjT5_ST_jjP12ihipStream_tbEUlT_E2_NS1_11comp_targetILNS1_3genE2ELNS1_11target_archE906ELNS1_3gpuE6ELNS1_3repE0EEENS1_30default_config_static_selectorELNS0_4arch9wavefront6targetE0EEEvSH_.num_vgpr, 0
	.set _ZN7rocprim17ROCPRIM_400000_NS6detail17trampoline_kernelINS0_14default_configENS1_36segmented_radix_sort_config_selectorIllEEZNS1_25segmented_radix_sort_implIS3_Lb1EPKlPlS8_S9_N2at6native12_GLOBAL__N_18offset_tEEE10hipError_tPvRmT1_PNSt15iterator_traitsISH_E10value_typeET2_T3_PNSI_ISN_E10value_typeET4_jRbjT5_ST_jjP12ihipStream_tbEUlT_E2_NS1_11comp_targetILNS1_3genE2ELNS1_11target_archE906ELNS1_3gpuE6ELNS1_3repE0EEENS1_30default_config_static_selectorELNS0_4arch9wavefront6targetE0EEEvSH_.num_agpr, 0
	.set _ZN7rocprim17ROCPRIM_400000_NS6detail17trampoline_kernelINS0_14default_configENS1_36segmented_radix_sort_config_selectorIllEEZNS1_25segmented_radix_sort_implIS3_Lb1EPKlPlS8_S9_N2at6native12_GLOBAL__N_18offset_tEEE10hipError_tPvRmT1_PNSt15iterator_traitsISH_E10value_typeET2_T3_PNSI_ISN_E10value_typeET4_jRbjT5_ST_jjP12ihipStream_tbEUlT_E2_NS1_11comp_targetILNS1_3genE2ELNS1_11target_archE906ELNS1_3gpuE6ELNS1_3repE0EEENS1_30default_config_static_selectorELNS0_4arch9wavefront6targetE0EEEvSH_.numbered_sgpr, 0
	.set _ZN7rocprim17ROCPRIM_400000_NS6detail17trampoline_kernelINS0_14default_configENS1_36segmented_radix_sort_config_selectorIllEEZNS1_25segmented_radix_sort_implIS3_Lb1EPKlPlS8_S9_N2at6native12_GLOBAL__N_18offset_tEEE10hipError_tPvRmT1_PNSt15iterator_traitsISH_E10value_typeET2_T3_PNSI_ISN_E10value_typeET4_jRbjT5_ST_jjP12ihipStream_tbEUlT_E2_NS1_11comp_targetILNS1_3genE2ELNS1_11target_archE906ELNS1_3gpuE6ELNS1_3repE0EEENS1_30default_config_static_selectorELNS0_4arch9wavefront6targetE0EEEvSH_.num_named_barrier, 0
	.set _ZN7rocprim17ROCPRIM_400000_NS6detail17trampoline_kernelINS0_14default_configENS1_36segmented_radix_sort_config_selectorIllEEZNS1_25segmented_radix_sort_implIS3_Lb1EPKlPlS8_S9_N2at6native12_GLOBAL__N_18offset_tEEE10hipError_tPvRmT1_PNSt15iterator_traitsISH_E10value_typeET2_T3_PNSI_ISN_E10value_typeET4_jRbjT5_ST_jjP12ihipStream_tbEUlT_E2_NS1_11comp_targetILNS1_3genE2ELNS1_11target_archE906ELNS1_3gpuE6ELNS1_3repE0EEENS1_30default_config_static_selectorELNS0_4arch9wavefront6targetE0EEEvSH_.private_seg_size, 0
	.set _ZN7rocprim17ROCPRIM_400000_NS6detail17trampoline_kernelINS0_14default_configENS1_36segmented_radix_sort_config_selectorIllEEZNS1_25segmented_radix_sort_implIS3_Lb1EPKlPlS8_S9_N2at6native12_GLOBAL__N_18offset_tEEE10hipError_tPvRmT1_PNSt15iterator_traitsISH_E10value_typeET2_T3_PNSI_ISN_E10value_typeET4_jRbjT5_ST_jjP12ihipStream_tbEUlT_E2_NS1_11comp_targetILNS1_3genE2ELNS1_11target_archE906ELNS1_3gpuE6ELNS1_3repE0EEENS1_30default_config_static_selectorELNS0_4arch9wavefront6targetE0EEEvSH_.uses_vcc, 0
	.set _ZN7rocprim17ROCPRIM_400000_NS6detail17trampoline_kernelINS0_14default_configENS1_36segmented_radix_sort_config_selectorIllEEZNS1_25segmented_radix_sort_implIS3_Lb1EPKlPlS8_S9_N2at6native12_GLOBAL__N_18offset_tEEE10hipError_tPvRmT1_PNSt15iterator_traitsISH_E10value_typeET2_T3_PNSI_ISN_E10value_typeET4_jRbjT5_ST_jjP12ihipStream_tbEUlT_E2_NS1_11comp_targetILNS1_3genE2ELNS1_11target_archE906ELNS1_3gpuE6ELNS1_3repE0EEENS1_30default_config_static_selectorELNS0_4arch9wavefront6targetE0EEEvSH_.uses_flat_scratch, 0
	.set _ZN7rocprim17ROCPRIM_400000_NS6detail17trampoline_kernelINS0_14default_configENS1_36segmented_radix_sort_config_selectorIllEEZNS1_25segmented_radix_sort_implIS3_Lb1EPKlPlS8_S9_N2at6native12_GLOBAL__N_18offset_tEEE10hipError_tPvRmT1_PNSt15iterator_traitsISH_E10value_typeET2_T3_PNSI_ISN_E10value_typeET4_jRbjT5_ST_jjP12ihipStream_tbEUlT_E2_NS1_11comp_targetILNS1_3genE2ELNS1_11target_archE906ELNS1_3gpuE6ELNS1_3repE0EEENS1_30default_config_static_selectorELNS0_4arch9wavefront6targetE0EEEvSH_.has_dyn_sized_stack, 0
	.set _ZN7rocprim17ROCPRIM_400000_NS6detail17trampoline_kernelINS0_14default_configENS1_36segmented_radix_sort_config_selectorIllEEZNS1_25segmented_radix_sort_implIS3_Lb1EPKlPlS8_S9_N2at6native12_GLOBAL__N_18offset_tEEE10hipError_tPvRmT1_PNSt15iterator_traitsISH_E10value_typeET2_T3_PNSI_ISN_E10value_typeET4_jRbjT5_ST_jjP12ihipStream_tbEUlT_E2_NS1_11comp_targetILNS1_3genE2ELNS1_11target_archE906ELNS1_3gpuE6ELNS1_3repE0EEENS1_30default_config_static_selectorELNS0_4arch9wavefront6targetE0EEEvSH_.has_recursion, 0
	.set _ZN7rocprim17ROCPRIM_400000_NS6detail17trampoline_kernelINS0_14default_configENS1_36segmented_radix_sort_config_selectorIllEEZNS1_25segmented_radix_sort_implIS3_Lb1EPKlPlS8_S9_N2at6native12_GLOBAL__N_18offset_tEEE10hipError_tPvRmT1_PNSt15iterator_traitsISH_E10value_typeET2_T3_PNSI_ISN_E10value_typeET4_jRbjT5_ST_jjP12ihipStream_tbEUlT_E2_NS1_11comp_targetILNS1_3genE2ELNS1_11target_archE906ELNS1_3gpuE6ELNS1_3repE0EEENS1_30default_config_static_selectorELNS0_4arch9wavefront6targetE0EEEvSH_.has_indirect_call, 0
	.section	.AMDGPU.csdata,"",@progbits
; Kernel info:
; codeLenInByte = 0
; TotalNumSgprs: 0
; NumVgprs: 0
; ScratchSize: 0
; MemoryBound: 0
; FloatMode: 240
; IeeeMode: 1
; LDSByteSize: 0 bytes/workgroup (compile time only)
; SGPRBlocks: 0
; VGPRBlocks: 0
; NumSGPRsForWavesPerEU: 1
; NumVGPRsForWavesPerEU: 1
; Occupancy: 16
; WaveLimiterHint : 0
; COMPUTE_PGM_RSRC2:SCRATCH_EN: 0
; COMPUTE_PGM_RSRC2:USER_SGPR: 6
; COMPUTE_PGM_RSRC2:TRAP_HANDLER: 0
; COMPUTE_PGM_RSRC2:TGID_X_EN: 1
; COMPUTE_PGM_RSRC2:TGID_Y_EN: 0
; COMPUTE_PGM_RSRC2:TGID_Z_EN: 0
; COMPUTE_PGM_RSRC2:TIDIG_COMP_CNT: 0
	.section	.text._ZN7rocprim17ROCPRIM_400000_NS6detail17trampoline_kernelINS0_14default_configENS1_36segmented_radix_sort_config_selectorIllEEZNS1_25segmented_radix_sort_implIS3_Lb1EPKlPlS8_S9_N2at6native12_GLOBAL__N_18offset_tEEE10hipError_tPvRmT1_PNSt15iterator_traitsISH_E10value_typeET2_T3_PNSI_ISN_E10value_typeET4_jRbjT5_ST_jjP12ihipStream_tbEUlT_E2_NS1_11comp_targetILNS1_3genE10ELNS1_11target_archE1201ELNS1_3gpuE5ELNS1_3repE0EEENS1_30default_config_static_selectorELNS0_4arch9wavefront6targetE0EEEvSH_,"axG",@progbits,_ZN7rocprim17ROCPRIM_400000_NS6detail17trampoline_kernelINS0_14default_configENS1_36segmented_radix_sort_config_selectorIllEEZNS1_25segmented_radix_sort_implIS3_Lb1EPKlPlS8_S9_N2at6native12_GLOBAL__N_18offset_tEEE10hipError_tPvRmT1_PNSt15iterator_traitsISH_E10value_typeET2_T3_PNSI_ISN_E10value_typeET4_jRbjT5_ST_jjP12ihipStream_tbEUlT_E2_NS1_11comp_targetILNS1_3genE10ELNS1_11target_archE1201ELNS1_3gpuE5ELNS1_3repE0EEENS1_30default_config_static_selectorELNS0_4arch9wavefront6targetE0EEEvSH_,comdat
	.globl	_ZN7rocprim17ROCPRIM_400000_NS6detail17trampoline_kernelINS0_14default_configENS1_36segmented_radix_sort_config_selectorIllEEZNS1_25segmented_radix_sort_implIS3_Lb1EPKlPlS8_S9_N2at6native12_GLOBAL__N_18offset_tEEE10hipError_tPvRmT1_PNSt15iterator_traitsISH_E10value_typeET2_T3_PNSI_ISN_E10value_typeET4_jRbjT5_ST_jjP12ihipStream_tbEUlT_E2_NS1_11comp_targetILNS1_3genE10ELNS1_11target_archE1201ELNS1_3gpuE5ELNS1_3repE0EEENS1_30default_config_static_selectorELNS0_4arch9wavefront6targetE0EEEvSH_ ; -- Begin function _ZN7rocprim17ROCPRIM_400000_NS6detail17trampoline_kernelINS0_14default_configENS1_36segmented_radix_sort_config_selectorIllEEZNS1_25segmented_radix_sort_implIS3_Lb1EPKlPlS8_S9_N2at6native12_GLOBAL__N_18offset_tEEE10hipError_tPvRmT1_PNSt15iterator_traitsISH_E10value_typeET2_T3_PNSI_ISN_E10value_typeET4_jRbjT5_ST_jjP12ihipStream_tbEUlT_E2_NS1_11comp_targetILNS1_3genE10ELNS1_11target_archE1201ELNS1_3gpuE5ELNS1_3repE0EEENS1_30default_config_static_selectorELNS0_4arch9wavefront6targetE0EEEvSH_
	.p2align	8
	.type	_ZN7rocprim17ROCPRIM_400000_NS6detail17trampoline_kernelINS0_14default_configENS1_36segmented_radix_sort_config_selectorIllEEZNS1_25segmented_radix_sort_implIS3_Lb1EPKlPlS8_S9_N2at6native12_GLOBAL__N_18offset_tEEE10hipError_tPvRmT1_PNSt15iterator_traitsISH_E10value_typeET2_T3_PNSI_ISN_E10value_typeET4_jRbjT5_ST_jjP12ihipStream_tbEUlT_E2_NS1_11comp_targetILNS1_3genE10ELNS1_11target_archE1201ELNS1_3gpuE5ELNS1_3repE0EEENS1_30default_config_static_selectorELNS0_4arch9wavefront6targetE0EEEvSH_,@function
_ZN7rocprim17ROCPRIM_400000_NS6detail17trampoline_kernelINS0_14default_configENS1_36segmented_radix_sort_config_selectorIllEEZNS1_25segmented_radix_sort_implIS3_Lb1EPKlPlS8_S9_N2at6native12_GLOBAL__N_18offset_tEEE10hipError_tPvRmT1_PNSt15iterator_traitsISH_E10value_typeET2_T3_PNSI_ISN_E10value_typeET4_jRbjT5_ST_jjP12ihipStream_tbEUlT_E2_NS1_11comp_targetILNS1_3genE10ELNS1_11target_archE1201ELNS1_3gpuE5ELNS1_3repE0EEENS1_30default_config_static_selectorELNS0_4arch9wavefront6targetE0EEEvSH_: ; @_ZN7rocprim17ROCPRIM_400000_NS6detail17trampoline_kernelINS0_14default_configENS1_36segmented_radix_sort_config_selectorIllEEZNS1_25segmented_radix_sort_implIS3_Lb1EPKlPlS8_S9_N2at6native12_GLOBAL__N_18offset_tEEE10hipError_tPvRmT1_PNSt15iterator_traitsISH_E10value_typeET2_T3_PNSI_ISN_E10value_typeET4_jRbjT5_ST_jjP12ihipStream_tbEUlT_E2_NS1_11comp_targetILNS1_3genE10ELNS1_11target_archE1201ELNS1_3gpuE5ELNS1_3repE0EEENS1_30default_config_static_selectorELNS0_4arch9wavefront6targetE0EEEvSH_
; %bb.0:
	.section	.rodata,"a",@progbits
	.p2align	6, 0x0
	.amdhsa_kernel _ZN7rocprim17ROCPRIM_400000_NS6detail17trampoline_kernelINS0_14default_configENS1_36segmented_radix_sort_config_selectorIllEEZNS1_25segmented_radix_sort_implIS3_Lb1EPKlPlS8_S9_N2at6native12_GLOBAL__N_18offset_tEEE10hipError_tPvRmT1_PNSt15iterator_traitsISH_E10value_typeET2_T3_PNSI_ISN_E10value_typeET4_jRbjT5_ST_jjP12ihipStream_tbEUlT_E2_NS1_11comp_targetILNS1_3genE10ELNS1_11target_archE1201ELNS1_3gpuE5ELNS1_3repE0EEENS1_30default_config_static_selectorELNS0_4arch9wavefront6targetE0EEEvSH_
		.amdhsa_group_segment_fixed_size 0
		.amdhsa_private_segment_fixed_size 0
		.amdhsa_kernarg_size 80
		.amdhsa_user_sgpr_count 6
		.amdhsa_user_sgpr_private_segment_buffer 1
		.amdhsa_user_sgpr_dispatch_ptr 0
		.amdhsa_user_sgpr_queue_ptr 0
		.amdhsa_user_sgpr_kernarg_segment_ptr 1
		.amdhsa_user_sgpr_dispatch_id 0
		.amdhsa_user_sgpr_flat_scratch_init 0
		.amdhsa_user_sgpr_private_segment_size 0
		.amdhsa_wavefront_size32 1
		.amdhsa_uses_dynamic_stack 0
		.amdhsa_system_sgpr_private_segment_wavefront_offset 0
		.amdhsa_system_sgpr_workgroup_id_x 1
		.amdhsa_system_sgpr_workgroup_id_y 0
		.amdhsa_system_sgpr_workgroup_id_z 0
		.amdhsa_system_sgpr_workgroup_info 0
		.amdhsa_system_vgpr_workitem_id 0
		.amdhsa_next_free_vgpr 1
		.amdhsa_next_free_sgpr 1
		.amdhsa_reserve_vcc 0
		.amdhsa_reserve_flat_scratch 0
		.amdhsa_float_round_mode_32 0
		.amdhsa_float_round_mode_16_64 0
		.amdhsa_float_denorm_mode_32 3
		.amdhsa_float_denorm_mode_16_64 3
		.amdhsa_dx10_clamp 1
		.amdhsa_ieee_mode 1
		.amdhsa_fp16_overflow 0
		.amdhsa_workgroup_processor_mode 1
		.amdhsa_memory_ordered 1
		.amdhsa_forward_progress 1
		.amdhsa_shared_vgpr_count 0
		.amdhsa_exception_fp_ieee_invalid_op 0
		.amdhsa_exception_fp_denorm_src 0
		.amdhsa_exception_fp_ieee_div_zero 0
		.amdhsa_exception_fp_ieee_overflow 0
		.amdhsa_exception_fp_ieee_underflow 0
		.amdhsa_exception_fp_ieee_inexact 0
		.amdhsa_exception_int_div_zero 0
	.end_amdhsa_kernel
	.section	.text._ZN7rocprim17ROCPRIM_400000_NS6detail17trampoline_kernelINS0_14default_configENS1_36segmented_radix_sort_config_selectorIllEEZNS1_25segmented_radix_sort_implIS3_Lb1EPKlPlS8_S9_N2at6native12_GLOBAL__N_18offset_tEEE10hipError_tPvRmT1_PNSt15iterator_traitsISH_E10value_typeET2_T3_PNSI_ISN_E10value_typeET4_jRbjT5_ST_jjP12ihipStream_tbEUlT_E2_NS1_11comp_targetILNS1_3genE10ELNS1_11target_archE1201ELNS1_3gpuE5ELNS1_3repE0EEENS1_30default_config_static_selectorELNS0_4arch9wavefront6targetE0EEEvSH_,"axG",@progbits,_ZN7rocprim17ROCPRIM_400000_NS6detail17trampoline_kernelINS0_14default_configENS1_36segmented_radix_sort_config_selectorIllEEZNS1_25segmented_radix_sort_implIS3_Lb1EPKlPlS8_S9_N2at6native12_GLOBAL__N_18offset_tEEE10hipError_tPvRmT1_PNSt15iterator_traitsISH_E10value_typeET2_T3_PNSI_ISN_E10value_typeET4_jRbjT5_ST_jjP12ihipStream_tbEUlT_E2_NS1_11comp_targetILNS1_3genE10ELNS1_11target_archE1201ELNS1_3gpuE5ELNS1_3repE0EEENS1_30default_config_static_selectorELNS0_4arch9wavefront6targetE0EEEvSH_,comdat
.Lfunc_end733:
	.size	_ZN7rocprim17ROCPRIM_400000_NS6detail17trampoline_kernelINS0_14default_configENS1_36segmented_radix_sort_config_selectorIllEEZNS1_25segmented_radix_sort_implIS3_Lb1EPKlPlS8_S9_N2at6native12_GLOBAL__N_18offset_tEEE10hipError_tPvRmT1_PNSt15iterator_traitsISH_E10value_typeET2_T3_PNSI_ISN_E10value_typeET4_jRbjT5_ST_jjP12ihipStream_tbEUlT_E2_NS1_11comp_targetILNS1_3genE10ELNS1_11target_archE1201ELNS1_3gpuE5ELNS1_3repE0EEENS1_30default_config_static_selectorELNS0_4arch9wavefront6targetE0EEEvSH_, .Lfunc_end733-_ZN7rocprim17ROCPRIM_400000_NS6detail17trampoline_kernelINS0_14default_configENS1_36segmented_radix_sort_config_selectorIllEEZNS1_25segmented_radix_sort_implIS3_Lb1EPKlPlS8_S9_N2at6native12_GLOBAL__N_18offset_tEEE10hipError_tPvRmT1_PNSt15iterator_traitsISH_E10value_typeET2_T3_PNSI_ISN_E10value_typeET4_jRbjT5_ST_jjP12ihipStream_tbEUlT_E2_NS1_11comp_targetILNS1_3genE10ELNS1_11target_archE1201ELNS1_3gpuE5ELNS1_3repE0EEENS1_30default_config_static_selectorELNS0_4arch9wavefront6targetE0EEEvSH_
                                        ; -- End function
	.set _ZN7rocprim17ROCPRIM_400000_NS6detail17trampoline_kernelINS0_14default_configENS1_36segmented_radix_sort_config_selectorIllEEZNS1_25segmented_radix_sort_implIS3_Lb1EPKlPlS8_S9_N2at6native12_GLOBAL__N_18offset_tEEE10hipError_tPvRmT1_PNSt15iterator_traitsISH_E10value_typeET2_T3_PNSI_ISN_E10value_typeET4_jRbjT5_ST_jjP12ihipStream_tbEUlT_E2_NS1_11comp_targetILNS1_3genE10ELNS1_11target_archE1201ELNS1_3gpuE5ELNS1_3repE0EEENS1_30default_config_static_selectorELNS0_4arch9wavefront6targetE0EEEvSH_.num_vgpr, 0
	.set _ZN7rocprim17ROCPRIM_400000_NS6detail17trampoline_kernelINS0_14default_configENS1_36segmented_radix_sort_config_selectorIllEEZNS1_25segmented_radix_sort_implIS3_Lb1EPKlPlS8_S9_N2at6native12_GLOBAL__N_18offset_tEEE10hipError_tPvRmT1_PNSt15iterator_traitsISH_E10value_typeET2_T3_PNSI_ISN_E10value_typeET4_jRbjT5_ST_jjP12ihipStream_tbEUlT_E2_NS1_11comp_targetILNS1_3genE10ELNS1_11target_archE1201ELNS1_3gpuE5ELNS1_3repE0EEENS1_30default_config_static_selectorELNS0_4arch9wavefront6targetE0EEEvSH_.num_agpr, 0
	.set _ZN7rocprim17ROCPRIM_400000_NS6detail17trampoline_kernelINS0_14default_configENS1_36segmented_radix_sort_config_selectorIllEEZNS1_25segmented_radix_sort_implIS3_Lb1EPKlPlS8_S9_N2at6native12_GLOBAL__N_18offset_tEEE10hipError_tPvRmT1_PNSt15iterator_traitsISH_E10value_typeET2_T3_PNSI_ISN_E10value_typeET4_jRbjT5_ST_jjP12ihipStream_tbEUlT_E2_NS1_11comp_targetILNS1_3genE10ELNS1_11target_archE1201ELNS1_3gpuE5ELNS1_3repE0EEENS1_30default_config_static_selectorELNS0_4arch9wavefront6targetE0EEEvSH_.numbered_sgpr, 0
	.set _ZN7rocprim17ROCPRIM_400000_NS6detail17trampoline_kernelINS0_14default_configENS1_36segmented_radix_sort_config_selectorIllEEZNS1_25segmented_radix_sort_implIS3_Lb1EPKlPlS8_S9_N2at6native12_GLOBAL__N_18offset_tEEE10hipError_tPvRmT1_PNSt15iterator_traitsISH_E10value_typeET2_T3_PNSI_ISN_E10value_typeET4_jRbjT5_ST_jjP12ihipStream_tbEUlT_E2_NS1_11comp_targetILNS1_3genE10ELNS1_11target_archE1201ELNS1_3gpuE5ELNS1_3repE0EEENS1_30default_config_static_selectorELNS0_4arch9wavefront6targetE0EEEvSH_.num_named_barrier, 0
	.set _ZN7rocprim17ROCPRIM_400000_NS6detail17trampoline_kernelINS0_14default_configENS1_36segmented_radix_sort_config_selectorIllEEZNS1_25segmented_radix_sort_implIS3_Lb1EPKlPlS8_S9_N2at6native12_GLOBAL__N_18offset_tEEE10hipError_tPvRmT1_PNSt15iterator_traitsISH_E10value_typeET2_T3_PNSI_ISN_E10value_typeET4_jRbjT5_ST_jjP12ihipStream_tbEUlT_E2_NS1_11comp_targetILNS1_3genE10ELNS1_11target_archE1201ELNS1_3gpuE5ELNS1_3repE0EEENS1_30default_config_static_selectorELNS0_4arch9wavefront6targetE0EEEvSH_.private_seg_size, 0
	.set _ZN7rocprim17ROCPRIM_400000_NS6detail17trampoline_kernelINS0_14default_configENS1_36segmented_radix_sort_config_selectorIllEEZNS1_25segmented_radix_sort_implIS3_Lb1EPKlPlS8_S9_N2at6native12_GLOBAL__N_18offset_tEEE10hipError_tPvRmT1_PNSt15iterator_traitsISH_E10value_typeET2_T3_PNSI_ISN_E10value_typeET4_jRbjT5_ST_jjP12ihipStream_tbEUlT_E2_NS1_11comp_targetILNS1_3genE10ELNS1_11target_archE1201ELNS1_3gpuE5ELNS1_3repE0EEENS1_30default_config_static_selectorELNS0_4arch9wavefront6targetE0EEEvSH_.uses_vcc, 0
	.set _ZN7rocprim17ROCPRIM_400000_NS6detail17trampoline_kernelINS0_14default_configENS1_36segmented_radix_sort_config_selectorIllEEZNS1_25segmented_radix_sort_implIS3_Lb1EPKlPlS8_S9_N2at6native12_GLOBAL__N_18offset_tEEE10hipError_tPvRmT1_PNSt15iterator_traitsISH_E10value_typeET2_T3_PNSI_ISN_E10value_typeET4_jRbjT5_ST_jjP12ihipStream_tbEUlT_E2_NS1_11comp_targetILNS1_3genE10ELNS1_11target_archE1201ELNS1_3gpuE5ELNS1_3repE0EEENS1_30default_config_static_selectorELNS0_4arch9wavefront6targetE0EEEvSH_.uses_flat_scratch, 0
	.set _ZN7rocprim17ROCPRIM_400000_NS6detail17trampoline_kernelINS0_14default_configENS1_36segmented_radix_sort_config_selectorIllEEZNS1_25segmented_radix_sort_implIS3_Lb1EPKlPlS8_S9_N2at6native12_GLOBAL__N_18offset_tEEE10hipError_tPvRmT1_PNSt15iterator_traitsISH_E10value_typeET2_T3_PNSI_ISN_E10value_typeET4_jRbjT5_ST_jjP12ihipStream_tbEUlT_E2_NS1_11comp_targetILNS1_3genE10ELNS1_11target_archE1201ELNS1_3gpuE5ELNS1_3repE0EEENS1_30default_config_static_selectorELNS0_4arch9wavefront6targetE0EEEvSH_.has_dyn_sized_stack, 0
	.set _ZN7rocprim17ROCPRIM_400000_NS6detail17trampoline_kernelINS0_14default_configENS1_36segmented_radix_sort_config_selectorIllEEZNS1_25segmented_radix_sort_implIS3_Lb1EPKlPlS8_S9_N2at6native12_GLOBAL__N_18offset_tEEE10hipError_tPvRmT1_PNSt15iterator_traitsISH_E10value_typeET2_T3_PNSI_ISN_E10value_typeET4_jRbjT5_ST_jjP12ihipStream_tbEUlT_E2_NS1_11comp_targetILNS1_3genE10ELNS1_11target_archE1201ELNS1_3gpuE5ELNS1_3repE0EEENS1_30default_config_static_selectorELNS0_4arch9wavefront6targetE0EEEvSH_.has_recursion, 0
	.set _ZN7rocprim17ROCPRIM_400000_NS6detail17trampoline_kernelINS0_14default_configENS1_36segmented_radix_sort_config_selectorIllEEZNS1_25segmented_radix_sort_implIS3_Lb1EPKlPlS8_S9_N2at6native12_GLOBAL__N_18offset_tEEE10hipError_tPvRmT1_PNSt15iterator_traitsISH_E10value_typeET2_T3_PNSI_ISN_E10value_typeET4_jRbjT5_ST_jjP12ihipStream_tbEUlT_E2_NS1_11comp_targetILNS1_3genE10ELNS1_11target_archE1201ELNS1_3gpuE5ELNS1_3repE0EEENS1_30default_config_static_selectorELNS0_4arch9wavefront6targetE0EEEvSH_.has_indirect_call, 0
	.section	.AMDGPU.csdata,"",@progbits
; Kernel info:
; codeLenInByte = 0
; TotalNumSgprs: 0
; NumVgprs: 0
; ScratchSize: 0
; MemoryBound: 0
; FloatMode: 240
; IeeeMode: 1
; LDSByteSize: 0 bytes/workgroup (compile time only)
; SGPRBlocks: 0
; VGPRBlocks: 0
; NumSGPRsForWavesPerEU: 1
; NumVGPRsForWavesPerEU: 1
; Occupancy: 16
; WaveLimiterHint : 0
; COMPUTE_PGM_RSRC2:SCRATCH_EN: 0
; COMPUTE_PGM_RSRC2:USER_SGPR: 6
; COMPUTE_PGM_RSRC2:TRAP_HANDLER: 0
; COMPUTE_PGM_RSRC2:TGID_X_EN: 1
; COMPUTE_PGM_RSRC2:TGID_Y_EN: 0
; COMPUTE_PGM_RSRC2:TGID_Z_EN: 0
; COMPUTE_PGM_RSRC2:TIDIG_COMP_CNT: 0
	.section	.text._ZN7rocprim17ROCPRIM_400000_NS6detail17trampoline_kernelINS0_14default_configENS1_36segmented_radix_sort_config_selectorIllEEZNS1_25segmented_radix_sort_implIS3_Lb1EPKlPlS8_S9_N2at6native12_GLOBAL__N_18offset_tEEE10hipError_tPvRmT1_PNSt15iterator_traitsISH_E10value_typeET2_T3_PNSI_ISN_E10value_typeET4_jRbjT5_ST_jjP12ihipStream_tbEUlT_E2_NS1_11comp_targetILNS1_3genE10ELNS1_11target_archE1200ELNS1_3gpuE4ELNS1_3repE0EEENS1_30default_config_static_selectorELNS0_4arch9wavefront6targetE0EEEvSH_,"axG",@progbits,_ZN7rocprim17ROCPRIM_400000_NS6detail17trampoline_kernelINS0_14default_configENS1_36segmented_radix_sort_config_selectorIllEEZNS1_25segmented_radix_sort_implIS3_Lb1EPKlPlS8_S9_N2at6native12_GLOBAL__N_18offset_tEEE10hipError_tPvRmT1_PNSt15iterator_traitsISH_E10value_typeET2_T3_PNSI_ISN_E10value_typeET4_jRbjT5_ST_jjP12ihipStream_tbEUlT_E2_NS1_11comp_targetILNS1_3genE10ELNS1_11target_archE1200ELNS1_3gpuE4ELNS1_3repE0EEENS1_30default_config_static_selectorELNS0_4arch9wavefront6targetE0EEEvSH_,comdat
	.globl	_ZN7rocprim17ROCPRIM_400000_NS6detail17trampoline_kernelINS0_14default_configENS1_36segmented_radix_sort_config_selectorIllEEZNS1_25segmented_radix_sort_implIS3_Lb1EPKlPlS8_S9_N2at6native12_GLOBAL__N_18offset_tEEE10hipError_tPvRmT1_PNSt15iterator_traitsISH_E10value_typeET2_T3_PNSI_ISN_E10value_typeET4_jRbjT5_ST_jjP12ihipStream_tbEUlT_E2_NS1_11comp_targetILNS1_3genE10ELNS1_11target_archE1200ELNS1_3gpuE4ELNS1_3repE0EEENS1_30default_config_static_selectorELNS0_4arch9wavefront6targetE0EEEvSH_ ; -- Begin function _ZN7rocprim17ROCPRIM_400000_NS6detail17trampoline_kernelINS0_14default_configENS1_36segmented_radix_sort_config_selectorIllEEZNS1_25segmented_radix_sort_implIS3_Lb1EPKlPlS8_S9_N2at6native12_GLOBAL__N_18offset_tEEE10hipError_tPvRmT1_PNSt15iterator_traitsISH_E10value_typeET2_T3_PNSI_ISN_E10value_typeET4_jRbjT5_ST_jjP12ihipStream_tbEUlT_E2_NS1_11comp_targetILNS1_3genE10ELNS1_11target_archE1200ELNS1_3gpuE4ELNS1_3repE0EEENS1_30default_config_static_selectorELNS0_4arch9wavefront6targetE0EEEvSH_
	.p2align	8
	.type	_ZN7rocprim17ROCPRIM_400000_NS6detail17trampoline_kernelINS0_14default_configENS1_36segmented_radix_sort_config_selectorIllEEZNS1_25segmented_radix_sort_implIS3_Lb1EPKlPlS8_S9_N2at6native12_GLOBAL__N_18offset_tEEE10hipError_tPvRmT1_PNSt15iterator_traitsISH_E10value_typeET2_T3_PNSI_ISN_E10value_typeET4_jRbjT5_ST_jjP12ihipStream_tbEUlT_E2_NS1_11comp_targetILNS1_3genE10ELNS1_11target_archE1200ELNS1_3gpuE4ELNS1_3repE0EEENS1_30default_config_static_selectorELNS0_4arch9wavefront6targetE0EEEvSH_,@function
_ZN7rocprim17ROCPRIM_400000_NS6detail17trampoline_kernelINS0_14default_configENS1_36segmented_radix_sort_config_selectorIllEEZNS1_25segmented_radix_sort_implIS3_Lb1EPKlPlS8_S9_N2at6native12_GLOBAL__N_18offset_tEEE10hipError_tPvRmT1_PNSt15iterator_traitsISH_E10value_typeET2_T3_PNSI_ISN_E10value_typeET4_jRbjT5_ST_jjP12ihipStream_tbEUlT_E2_NS1_11comp_targetILNS1_3genE10ELNS1_11target_archE1200ELNS1_3gpuE4ELNS1_3repE0EEENS1_30default_config_static_selectorELNS0_4arch9wavefront6targetE0EEEvSH_: ; @_ZN7rocprim17ROCPRIM_400000_NS6detail17trampoline_kernelINS0_14default_configENS1_36segmented_radix_sort_config_selectorIllEEZNS1_25segmented_radix_sort_implIS3_Lb1EPKlPlS8_S9_N2at6native12_GLOBAL__N_18offset_tEEE10hipError_tPvRmT1_PNSt15iterator_traitsISH_E10value_typeET2_T3_PNSI_ISN_E10value_typeET4_jRbjT5_ST_jjP12ihipStream_tbEUlT_E2_NS1_11comp_targetILNS1_3genE10ELNS1_11target_archE1200ELNS1_3gpuE4ELNS1_3repE0EEENS1_30default_config_static_selectorELNS0_4arch9wavefront6targetE0EEEvSH_
; %bb.0:
	.section	.rodata,"a",@progbits
	.p2align	6, 0x0
	.amdhsa_kernel _ZN7rocprim17ROCPRIM_400000_NS6detail17trampoline_kernelINS0_14default_configENS1_36segmented_radix_sort_config_selectorIllEEZNS1_25segmented_radix_sort_implIS3_Lb1EPKlPlS8_S9_N2at6native12_GLOBAL__N_18offset_tEEE10hipError_tPvRmT1_PNSt15iterator_traitsISH_E10value_typeET2_T3_PNSI_ISN_E10value_typeET4_jRbjT5_ST_jjP12ihipStream_tbEUlT_E2_NS1_11comp_targetILNS1_3genE10ELNS1_11target_archE1200ELNS1_3gpuE4ELNS1_3repE0EEENS1_30default_config_static_selectorELNS0_4arch9wavefront6targetE0EEEvSH_
		.amdhsa_group_segment_fixed_size 0
		.amdhsa_private_segment_fixed_size 0
		.amdhsa_kernarg_size 80
		.amdhsa_user_sgpr_count 6
		.amdhsa_user_sgpr_private_segment_buffer 1
		.amdhsa_user_sgpr_dispatch_ptr 0
		.amdhsa_user_sgpr_queue_ptr 0
		.amdhsa_user_sgpr_kernarg_segment_ptr 1
		.amdhsa_user_sgpr_dispatch_id 0
		.amdhsa_user_sgpr_flat_scratch_init 0
		.amdhsa_user_sgpr_private_segment_size 0
		.amdhsa_wavefront_size32 1
		.amdhsa_uses_dynamic_stack 0
		.amdhsa_system_sgpr_private_segment_wavefront_offset 0
		.amdhsa_system_sgpr_workgroup_id_x 1
		.amdhsa_system_sgpr_workgroup_id_y 0
		.amdhsa_system_sgpr_workgroup_id_z 0
		.amdhsa_system_sgpr_workgroup_info 0
		.amdhsa_system_vgpr_workitem_id 0
		.amdhsa_next_free_vgpr 1
		.amdhsa_next_free_sgpr 1
		.amdhsa_reserve_vcc 0
		.amdhsa_reserve_flat_scratch 0
		.amdhsa_float_round_mode_32 0
		.amdhsa_float_round_mode_16_64 0
		.amdhsa_float_denorm_mode_32 3
		.amdhsa_float_denorm_mode_16_64 3
		.amdhsa_dx10_clamp 1
		.amdhsa_ieee_mode 1
		.amdhsa_fp16_overflow 0
		.amdhsa_workgroup_processor_mode 1
		.amdhsa_memory_ordered 1
		.amdhsa_forward_progress 1
		.amdhsa_shared_vgpr_count 0
		.amdhsa_exception_fp_ieee_invalid_op 0
		.amdhsa_exception_fp_denorm_src 0
		.amdhsa_exception_fp_ieee_div_zero 0
		.amdhsa_exception_fp_ieee_overflow 0
		.amdhsa_exception_fp_ieee_underflow 0
		.amdhsa_exception_fp_ieee_inexact 0
		.amdhsa_exception_int_div_zero 0
	.end_amdhsa_kernel
	.section	.text._ZN7rocprim17ROCPRIM_400000_NS6detail17trampoline_kernelINS0_14default_configENS1_36segmented_radix_sort_config_selectorIllEEZNS1_25segmented_radix_sort_implIS3_Lb1EPKlPlS8_S9_N2at6native12_GLOBAL__N_18offset_tEEE10hipError_tPvRmT1_PNSt15iterator_traitsISH_E10value_typeET2_T3_PNSI_ISN_E10value_typeET4_jRbjT5_ST_jjP12ihipStream_tbEUlT_E2_NS1_11comp_targetILNS1_3genE10ELNS1_11target_archE1200ELNS1_3gpuE4ELNS1_3repE0EEENS1_30default_config_static_selectorELNS0_4arch9wavefront6targetE0EEEvSH_,"axG",@progbits,_ZN7rocprim17ROCPRIM_400000_NS6detail17trampoline_kernelINS0_14default_configENS1_36segmented_radix_sort_config_selectorIllEEZNS1_25segmented_radix_sort_implIS3_Lb1EPKlPlS8_S9_N2at6native12_GLOBAL__N_18offset_tEEE10hipError_tPvRmT1_PNSt15iterator_traitsISH_E10value_typeET2_T3_PNSI_ISN_E10value_typeET4_jRbjT5_ST_jjP12ihipStream_tbEUlT_E2_NS1_11comp_targetILNS1_3genE10ELNS1_11target_archE1200ELNS1_3gpuE4ELNS1_3repE0EEENS1_30default_config_static_selectorELNS0_4arch9wavefront6targetE0EEEvSH_,comdat
.Lfunc_end734:
	.size	_ZN7rocprim17ROCPRIM_400000_NS6detail17trampoline_kernelINS0_14default_configENS1_36segmented_radix_sort_config_selectorIllEEZNS1_25segmented_radix_sort_implIS3_Lb1EPKlPlS8_S9_N2at6native12_GLOBAL__N_18offset_tEEE10hipError_tPvRmT1_PNSt15iterator_traitsISH_E10value_typeET2_T3_PNSI_ISN_E10value_typeET4_jRbjT5_ST_jjP12ihipStream_tbEUlT_E2_NS1_11comp_targetILNS1_3genE10ELNS1_11target_archE1200ELNS1_3gpuE4ELNS1_3repE0EEENS1_30default_config_static_selectorELNS0_4arch9wavefront6targetE0EEEvSH_, .Lfunc_end734-_ZN7rocprim17ROCPRIM_400000_NS6detail17trampoline_kernelINS0_14default_configENS1_36segmented_radix_sort_config_selectorIllEEZNS1_25segmented_radix_sort_implIS3_Lb1EPKlPlS8_S9_N2at6native12_GLOBAL__N_18offset_tEEE10hipError_tPvRmT1_PNSt15iterator_traitsISH_E10value_typeET2_T3_PNSI_ISN_E10value_typeET4_jRbjT5_ST_jjP12ihipStream_tbEUlT_E2_NS1_11comp_targetILNS1_3genE10ELNS1_11target_archE1200ELNS1_3gpuE4ELNS1_3repE0EEENS1_30default_config_static_selectorELNS0_4arch9wavefront6targetE0EEEvSH_
                                        ; -- End function
	.set _ZN7rocprim17ROCPRIM_400000_NS6detail17trampoline_kernelINS0_14default_configENS1_36segmented_radix_sort_config_selectorIllEEZNS1_25segmented_radix_sort_implIS3_Lb1EPKlPlS8_S9_N2at6native12_GLOBAL__N_18offset_tEEE10hipError_tPvRmT1_PNSt15iterator_traitsISH_E10value_typeET2_T3_PNSI_ISN_E10value_typeET4_jRbjT5_ST_jjP12ihipStream_tbEUlT_E2_NS1_11comp_targetILNS1_3genE10ELNS1_11target_archE1200ELNS1_3gpuE4ELNS1_3repE0EEENS1_30default_config_static_selectorELNS0_4arch9wavefront6targetE0EEEvSH_.num_vgpr, 0
	.set _ZN7rocprim17ROCPRIM_400000_NS6detail17trampoline_kernelINS0_14default_configENS1_36segmented_radix_sort_config_selectorIllEEZNS1_25segmented_radix_sort_implIS3_Lb1EPKlPlS8_S9_N2at6native12_GLOBAL__N_18offset_tEEE10hipError_tPvRmT1_PNSt15iterator_traitsISH_E10value_typeET2_T3_PNSI_ISN_E10value_typeET4_jRbjT5_ST_jjP12ihipStream_tbEUlT_E2_NS1_11comp_targetILNS1_3genE10ELNS1_11target_archE1200ELNS1_3gpuE4ELNS1_3repE0EEENS1_30default_config_static_selectorELNS0_4arch9wavefront6targetE0EEEvSH_.num_agpr, 0
	.set _ZN7rocprim17ROCPRIM_400000_NS6detail17trampoline_kernelINS0_14default_configENS1_36segmented_radix_sort_config_selectorIllEEZNS1_25segmented_radix_sort_implIS3_Lb1EPKlPlS8_S9_N2at6native12_GLOBAL__N_18offset_tEEE10hipError_tPvRmT1_PNSt15iterator_traitsISH_E10value_typeET2_T3_PNSI_ISN_E10value_typeET4_jRbjT5_ST_jjP12ihipStream_tbEUlT_E2_NS1_11comp_targetILNS1_3genE10ELNS1_11target_archE1200ELNS1_3gpuE4ELNS1_3repE0EEENS1_30default_config_static_selectorELNS0_4arch9wavefront6targetE0EEEvSH_.numbered_sgpr, 0
	.set _ZN7rocprim17ROCPRIM_400000_NS6detail17trampoline_kernelINS0_14default_configENS1_36segmented_radix_sort_config_selectorIllEEZNS1_25segmented_radix_sort_implIS3_Lb1EPKlPlS8_S9_N2at6native12_GLOBAL__N_18offset_tEEE10hipError_tPvRmT1_PNSt15iterator_traitsISH_E10value_typeET2_T3_PNSI_ISN_E10value_typeET4_jRbjT5_ST_jjP12ihipStream_tbEUlT_E2_NS1_11comp_targetILNS1_3genE10ELNS1_11target_archE1200ELNS1_3gpuE4ELNS1_3repE0EEENS1_30default_config_static_selectorELNS0_4arch9wavefront6targetE0EEEvSH_.num_named_barrier, 0
	.set _ZN7rocprim17ROCPRIM_400000_NS6detail17trampoline_kernelINS0_14default_configENS1_36segmented_radix_sort_config_selectorIllEEZNS1_25segmented_radix_sort_implIS3_Lb1EPKlPlS8_S9_N2at6native12_GLOBAL__N_18offset_tEEE10hipError_tPvRmT1_PNSt15iterator_traitsISH_E10value_typeET2_T3_PNSI_ISN_E10value_typeET4_jRbjT5_ST_jjP12ihipStream_tbEUlT_E2_NS1_11comp_targetILNS1_3genE10ELNS1_11target_archE1200ELNS1_3gpuE4ELNS1_3repE0EEENS1_30default_config_static_selectorELNS0_4arch9wavefront6targetE0EEEvSH_.private_seg_size, 0
	.set _ZN7rocprim17ROCPRIM_400000_NS6detail17trampoline_kernelINS0_14default_configENS1_36segmented_radix_sort_config_selectorIllEEZNS1_25segmented_radix_sort_implIS3_Lb1EPKlPlS8_S9_N2at6native12_GLOBAL__N_18offset_tEEE10hipError_tPvRmT1_PNSt15iterator_traitsISH_E10value_typeET2_T3_PNSI_ISN_E10value_typeET4_jRbjT5_ST_jjP12ihipStream_tbEUlT_E2_NS1_11comp_targetILNS1_3genE10ELNS1_11target_archE1200ELNS1_3gpuE4ELNS1_3repE0EEENS1_30default_config_static_selectorELNS0_4arch9wavefront6targetE0EEEvSH_.uses_vcc, 0
	.set _ZN7rocprim17ROCPRIM_400000_NS6detail17trampoline_kernelINS0_14default_configENS1_36segmented_radix_sort_config_selectorIllEEZNS1_25segmented_radix_sort_implIS3_Lb1EPKlPlS8_S9_N2at6native12_GLOBAL__N_18offset_tEEE10hipError_tPvRmT1_PNSt15iterator_traitsISH_E10value_typeET2_T3_PNSI_ISN_E10value_typeET4_jRbjT5_ST_jjP12ihipStream_tbEUlT_E2_NS1_11comp_targetILNS1_3genE10ELNS1_11target_archE1200ELNS1_3gpuE4ELNS1_3repE0EEENS1_30default_config_static_selectorELNS0_4arch9wavefront6targetE0EEEvSH_.uses_flat_scratch, 0
	.set _ZN7rocprim17ROCPRIM_400000_NS6detail17trampoline_kernelINS0_14default_configENS1_36segmented_radix_sort_config_selectorIllEEZNS1_25segmented_radix_sort_implIS3_Lb1EPKlPlS8_S9_N2at6native12_GLOBAL__N_18offset_tEEE10hipError_tPvRmT1_PNSt15iterator_traitsISH_E10value_typeET2_T3_PNSI_ISN_E10value_typeET4_jRbjT5_ST_jjP12ihipStream_tbEUlT_E2_NS1_11comp_targetILNS1_3genE10ELNS1_11target_archE1200ELNS1_3gpuE4ELNS1_3repE0EEENS1_30default_config_static_selectorELNS0_4arch9wavefront6targetE0EEEvSH_.has_dyn_sized_stack, 0
	.set _ZN7rocprim17ROCPRIM_400000_NS6detail17trampoline_kernelINS0_14default_configENS1_36segmented_radix_sort_config_selectorIllEEZNS1_25segmented_radix_sort_implIS3_Lb1EPKlPlS8_S9_N2at6native12_GLOBAL__N_18offset_tEEE10hipError_tPvRmT1_PNSt15iterator_traitsISH_E10value_typeET2_T3_PNSI_ISN_E10value_typeET4_jRbjT5_ST_jjP12ihipStream_tbEUlT_E2_NS1_11comp_targetILNS1_3genE10ELNS1_11target_archE1200ELNS1_3gpuE4ELNS1_3repE0EEENS1_30default_config_static_selectorELNS0_4arch9wavefront6targetE0EEEvSH_.has_recursion, 0
	.set _ZN7rocprim17ROCPRIM_400000_NS6detail17trampoline_kernelINS0_14default_configENS1_36segmented_radix_sort_config_selectorIllEEZNS1_25segmented_radix_sort_implIS3_Lb1EPKlPlS8_S9_N2at6native12_GLOBAL__N_18offset_tEEE10hipError_tPvRmT1_PNSt15iterator_traitsISH_E10value_typeET2_T3_PNSI_ISN_E10value_typeET4_jRbjT5_ST_jjP12ihipStream_tbEUlT_E2_NS1_11comp_targetILNS1_3genE10ELNS1_11target_archE1200ELNS1_3gpuE4ELNS1_3repE0EEENS1_30default_config_static_selectorELNS0_4arch9wavefront6targetE0EEEvSH_.has_indirect_call, 0
	.section	.AMDGPU.csdata,"",@progbits
; Kernel info:
; codeLenInByte = 0
; TotalNumSgprs: 0
; NumVgprs: 0
; ScratchSize: 0
; MemoryBound: 0
; FloatMode: 240
; IeeeMode: 1
; LDSByteSize: 0 bytes/workgroup (compile time only)
; SGPRBlocks: 0
; VGPRBlocks: 0
; NumSGPRsForWavesPerEU: 1
; NumVGPRsForWavesPerEU: 1
; Occupancy: 16
; WaveLimiterHint : 0
; COMPUTE_PGM_RSRC2:SCRATCH_EN: 0
; COMPUTE_PGM_RSRC2:USER_SGPR: 6
; COMPUTE_PGM_RSRC2:TRAP_HANDLER: 0
; COMPUTE_PGM_RSRC2:TGID_X_EN: 1
; COMPUTE_PGM_RSRC2:TGID_Y_EN: 0
; COMPUTE_PGM_RSRC2:TGID_Z_EN: 0
; COMPUTE_PGM_RSRC2:TIDIG_COMP_CNT: 0
	.section	.text._ZN7rocprim17ROCPRIM_400000_NS6detail17trampoline_kernelINS0_14default_configENS1_36segmented_radix_sort_config_selectorIllEEZNS1_25segmented_radix_sort_implIS3_Lb1EPKlPlS8_S9_N2at6native12_GLOBAL__N_18offset_tEEE10hipError_tPvRmT1_PNSt15iterator_traitsISH_E10value_typeET2_T3_PNSI_ISN_E10value_typeET4_jRbjT5_ST_jjP12ihipStream_tbEUlT_E2_NS1_11comp_targetILNS1_3genE9ELNS1_11target_archE1100ELNS1_3gpuE3ELNS1_3repE0EEENS1_30default_config_static_selectorELNS0_4arch9wavefront6targetE0EEEvSH_,"axG",@progbits,_ZN7rocprim17ROCPRIM_400000_NS6detail17trampoline_kernelINS0_14default_configENS1_36segmented_radix_sort_config_selectorIllEEZNS1_25segmented_radix_sort_implIS3_Lb1EPKlPlS8_S9_N2at6native12_GLOBAL__N_18offset_tEEE10hipError_tPvRmT1_PNSt15iterator_traitsISH_E10value_typeET2_T3_PNSI_ISN_E10value_typeET4_jRbjT5_ST_jjP12ihipStream_tbEUlT_E2_NS1_11comp_targetILNS1_3genE9ELNS1_11target_archE1100ELNS1_3gpuE3ELNS1_3repE0EEENS1_30default_config_static_selectorELNS0_4arch9wavefront6targetE0EEEvSH_,comdat
	.globl	_ZN7rocprim17ROCPRIM_400000_NS6detail17trampoline_kernelINS0_14default_configENS1_36segmented_radix_sort_config_selectorIllEEZNS1_25segmented_radix_sort_implIS3_Lb1EPKlPlS8_S9_N2at6native12_GLOBAL__N_18offset_tEEE10hipError_tPvRmT1_PNSt15iterator_traitsISH_E10value_typeET2_T3_PNSI_ISN_E10value_typeET4_jRbjT5_ST_jjP12ihipStream_tbEUlT_E2_NS1_11comp_targetILNS1_3genE9ELNS1_11target_archE1100ELNS1_3gpuE3ELNS1_3repE0EEENS1_30default_config_static_selectorELNS0_4arch9wavefront6targetE0EEEvSH_ ; -- Begin function _ZN7rocprim17ROCPRIM_400000_NS6detail17trampoline_kernelINS0_14default_configENS1_36segmented_radix_sort_config_selectorIllEEZNS1_25segmented_radix_sort_implIS3_Lb1EPKlPlS8_S9_N2at6native12_GLOBAL__N_18offset_tEEE10hipError_tPvRmT1_PNSt15iterator_traitsISH_E10value_typeET2_T3_PNSI_ISN_E10value_typeET4_jRbjT5_ST_jjP12ihipStream_tbEUlT_E2_NS1_11comp_targetILNS1_3genE9ELNS1_11target_archE1100ELNS1_3gpuE3ELNS1_3repE0EEENS1_30default_config_static_selectorELNS0_4arch9wavefront6targetE0EEEvSH_
	.p2align	8
	.type	_ZN7rocprim17ROCPRIM_400000_NS6detail17trampoline_kernelINS0_14default_configENS1_36segmented_radix_sort_config_selectorIllEEZNS1_25segmented_radix_sort_implIS3_Lb1EPKlPlS8_S9_N2at6native12_GLOBAL__N_18offset_tEEE10hipError_tPvRmT1_PNSt15iterator_traitsISH_E10value_typeET2_T3_PNSI_ISN_E10value_typeET4_jRbjT5_ST_jjP12ihipStream_tbEUlT_E2_NS1_11comp_targetILNS1_3genE9ELNS1_11target_archE1100ELNS1_3gpuE3ELNS1_3repE0EEENS1_30default_config_static_selectorELNS0_4arch9wavefront6targetE0EEEvSH_,@function
_ZN7rocprim17ROCPRIM_400000_NS6detail17trampoline_kernelINS0_14default_configENS1_36segmented_radix_sort_config_selectorIllEEZNS1_25segmented_radix_sort_implIS3_Lb1EPKlPlS8_S9_N2at6native12_GLOBAL__N_18offset_tEEE10hipError_tPvRmT1_PNSt15iterator_traitsISH_E10value_typeET2_T3_PNSI_ISN_E10value_typeET4_jRbjT5_ST_jjP12ihipStream_tbEUlT_E2_NS1_11comp_targetILNS1_3genE9ELNS1_11target_archE1100ELNS1_3gpuE3ELNS1_3repE0EEENS1_30default_config_static_selectorELNS0_4arch9wavefront6targetE0EEEvSH_: ; @_ZN7rocprim17ROCPRIM_400000_NS6detail17trampoline_kernelINS0_14default_configENS1_36segmented_radix_sort_config_selectorIllEEZNS1_25segmented_radix_sort_implIS3_Lb1EPKlPlS8_S9_N2at6native12_GLOBAL__N_18offset_tEEE10hipError_tPvRmT1_PNSt15iterator_traitsISH_E10value_typeET2_T3_PNSI_ISN_E10value_typeET4_jRbjT5_ST_jjP12ihipStream_tbEUlT_E2_NS1_11comp_targetILNS1_3genE9ELNS1_11target_archE1100ELNS1_3gpuE3ELNS1_3repE0EEENS1_30default_config_static_selectorELNS0_4arch9wavefront6targetE0EEEvSH_
; %bb.0:
	.section	.rodata,"a",@progbits
	.p2align	6, 0x0
	.amdhsa_kernel _ZN7rocprim17ROCPRIM_400000_NS6detail17trampoline_kernelINS0_14default_configENS1_36segmented_radix_sort_config_selectorIllEEZNS1_25segmented_radix_sort_implIS3_Lb1EPKlPlS8_S9_N2at6native12_GLOBAL__N_18offset_tEEE10hipError_tPvRmT1_PNSt15iterator_traitsISH_E10value_typeET2_T3_PNSI_ISN_E10value_typeET4_jRbjT5_ST_jjP12ihipStream_tbEUlT_E2_NS1_11comp_targetILNS1_3genE9ELNS1_11target_archE1100ELNS1_3gpuE3ELNS1_3repE0EEENS1_30default_config_static_selectorELNS0_4arch9wavefront6targetE0EEEvSH_
		.amdhsa_group_segment_fixed_size 0
		.amdhsa_private_segment_fixed_size 0
		.amdhsa_kernarg_size 80
		.amdhsa_user_sgpr_count 6
		.amdhsa_user_sgpr_private_segment_buffer 1
		.amdhsa_user_sgpr_dispatch_ptr 0
		.amdhsa_user_sgpr_queue_ptr 0
		.amdhsa_user_sgpr_kernarg_segment_ptr 1
		.amdhsa_user_sgpr_dispatch_id 0
		.amdhsa_user_sgpr_flat_scratch_init 0
		.amdhsa_user_sgpr_private_segment_size 0
		.amdhsa_wavefront_size32 1
		.amdhsa_uses_dynamic_stack 0
		.amdhsa_system_sgpr_private_segment_wavefront_offset 0
		.amdhsa_system_sgpr_workgroup_id_x 1
		.amdhsa_system_sgpr_workgroup_id_y 0
		.amdhsa_system_sgpr_workgroup_id_z 0
		.amdhsa_system_sgpr_workgroup_info 0
		.amdhsa_system_vgpr_workitem_id 0
		.amdhsa_next_free_vgpr 1
		.amdhsa_next_free_sgpr 1
		.amdhsa_reserve_vcc 0
		.amdhsa_reserve_flat_scratch 0
		.amdhsa_float_round_mode_32 0
		.amdhsa_float_round_mode_16_64 0
		.amdhsa_float_denorm_mode_32 3
		.amdhsa_float_denorm_mode_16_64 3
		.amdhsa_dx10_clamp 1
		.amdhsa_ieee_mode 1
		.amdhsa_fp16_overflow 0
		.amdhsa_workgroup_processor_mode 1
		.amdhsa_memory_ordered 1
		.amdhsa_forward_progress 1
		.amdhsa_shared_vgpr_count 0
		.amdhsa_exception_fp_ieee_invalid_op 0
		.amdhsa_exception_fp_denorm_src 0
		.amdhsa_exception_fp_ieee_div_zero 0
		.amdhsa_exception_fp_ieee_overflow 0
		.amdhsa_exception_fp_ieee_underflow 0
		.amdhsa_exception_fp_ieee_inexact 0
		.amdhsa_exception_int_div_zero 0
	.end_amdhsa_kernel
	.section	.text._ZN7rocprim17ROCPRIM_400000_NS6detail17trampoline_kernelINS0_14default_configENS1_36segmented_radix_sort_config_selectorIllEEZNS1_25segmented_radix_sort_implIS3_Lb1EPKlPlS8_S9_N2at6native12_GLOBAL__N_18offset_tEEE10hipError_tPvRmT1_PNSt15iterator_traitsISH_E10value_typeET2_T3_PNSI_ISN_E10value_typeET4_jRbjT5_ST_jjP12ihipStream_tbEUlT_E2_NS1_11comp_targetILNS1_3genE9ELNS1_11target_archE1100ELNS1_3gpuE3ELNS1_3repE0EEENS1_30default_config_static_selectorELNS0_4arch9wavefront6targetE0EEEvSH_,"axG",@progbits,_ZN7rocprim17ROCPRIM_400000_NS6detail17trampoline_kernelINS0_14default_configENS1_36segmented_radix_sort_config_selectorIllEEZNS1_25segmented_radix_sort_implIS3_Lb1EPKlPlS8_S9_N2at6native12_GLOBAL__N_18offset_tEEE10hipError_tPvRmT1_PNSt15iterator_traitsISH_E10value_typeET2_T3_PNSI_ISN_E10value_typeET4_jRbjT5_ST_jjP12ihipStream_tbEUlT_E2_NS1_11comp_targetILNS1_3genE9ELNS1_11target_archE1100ELNS1_3gpuE3ELNS1_3repE0EEENS1_30default_config_static_selectorELNS0_4arch9wavefront6targetE0EEEvSH_,comdat
.Lfunc_end735:
	.size	_ZN7rocprim17ROCPRIM_400000_NS6detail17trampoline_kernelINS0_14default_configENS1_36segmented_radix_sort_config_selectorIllEEZNS1_25segmented_radix_sort_implIS3_Lb1EPKlPlS8_S9_N2at6native12_GLOBAL__N_18offset_tEEE10hipError_tPvRmT1_PNSt15iterator_traitsISH_E10value_typeET2_T3_PNSI_ISN_E10value_typeET4_jRbjT5_ST_jjP12ihipStream_tbEUlT_E2_NS1_11comp_targetILNS1_3genE9ELNS1_11target_archE1100ELNS1_3gpuE3ELNS1_3repE0EEENS1_30default_config_static_selectorELNS0_4arch9wavefront6targetE0EEEvSH_, .Lfunc_end735-_ZN7rocprim17ROCPRIM_400000_NS6detail17trampoline_kernelINS0_14default_configENS1_36segmented_radix_sort_config_selectorIllEEZNS1_25segmented_radix_sort_implIS3_Lb1EPKlPlS8_S9_N2at6native12_GLOBAL__N_18offset_tEEE10hipError_tPvRmT1_PNSt15iterator_traitsISH_E10value_typeET2_T3_PNSI_ISN_E10value_typeET4_jRbjT5_ST_jjP12ihipStream_tbEUlT_E2_NS1_11comp_targetILNS1_3genE9ELNS1_11target_archE1100ELNS1_3gpuE3ELNS1_3repE0EEENS1_30default_config_static_selectorELNS0_4arch9wavefront6targetE0EEEvSH_
                                        ; -- End function
	.set _ZN7rocprim17ROCPRIM_400000_NS6detail17trampoline_kernelINS0_14default_configENS1_36segmented_radix_sort_config_selectorIllEEZNS1_25segmented_radix_sort_implIS3_Lb1EPKlPlS8_S9_N2at6native12_GLOBAL__N_18offset_tEEE10hipError_tPvRmT1_PNSt15iterator_traitsISH_E10value_typeET2_T3_PNSI_ISN_E10value_typeET4_jRbjT5_ST_jjP12ihipStream_tbEUlT_E2_NS1_11comp_targetILNS1_3genE9ELNS1_11target_archE1100ELNS1_3gpuE3ELNS1_3repE0EEENS1_30default_config_static_selectorELNS0_4arch9wavefront6targetE0EEEvSH_.num_vgpr, 0
	.set _ZN7rocprim17ROCPRIM_400000_NS6detail17trampoline_kernelINS0_14default_configENS1_36segmented_radix_sort_config_selectorIllEEZNS1_25segmented_radix_sort_implIS3_Lb1EPKlPlS8_S9_N2at6native12_GLOBAL__N_18offset_tEEE10hipError_tPvRmT1_PNSt15iterator_traitsISH_E10value_typeET2_T3_PNSI_ISN_E10value_typeET4_jRbjT5_ST_jjP12ihipStream_tbEUlT_E2_NS1_11comp_targetILNS1_3genE9ELNS1_11target_archE1100ELNS1_3gpuE3ELNS1_3repE0EEENS1_30default_config_static_selectorELNS0_4arch9wavefront6targetE0EEEvSH_.num_agpr, 0
	.set _ZN7rocprim17ROCPRIM_400000_NS6detail17trampoline_kernelINS0_14default_configENS1_36segmented_radix_sort_config_selectorIllEEZNS1_25segmented_radix_sort_implIS3_Lb1EPKlPlS8_S9_N2at6native12_GLOBAL__N_18offset_tEEE10hipError_tPvRmT1_PNSt15iterator_traitsISH_E10value_typeET2_T3_PNSI_ISN_E10value_typeET4_jRbjT5_ST_jjP12ihipStream_tbEUlT_E2_NS1_11comp_targetILNS1_3genE9ELNS1_11target_archE1100ELNS1_3gpuE3ELNS1_3repE0EEENS1_30default_config_static_selectorELNS0_4arch9wavefront6targetE0EEEvSH_.numbered_sgpr, 0
	.set _ZN7rocprim17ROCPRIM_400000_NS6detail17trampoline_kernelINS0_14default_configENS1_36segmented_radix_sort_config_selectorIllEEZNS1_25segmented_radix_sort_implIS3_Lb1EPKlPlS8_S9_N2at6native12_GLOBAL__N_18offset_tEEE10hipError_tPvRmT1_PNSt15iterator_traitsISH_E10value_typeET2_T3_PNSI_ISN_E10value_typeET4_jRbjT5_ST_jjP12ihipStream_tbEUlT_E2_NS1_11comp_targetILNS1_3genE9ELNS1_11target_archE1100ELNS1_3gpuE3ELNS1_3repE0EEENS1_30default_config_static_selectorELNS0_4arch9wavefront6targetE0EEEvSH_.num_named_barrier, 0
	.set _ZN7rocprim17ROCPRIM_400000_NS6detail17trampoline_kernelINS0_14default_configENS1_36segmented_radix_sort_config_selectorIllEEZNS1_25segmented_radix_sort_implIS3_Lb1EPKlPlS8_S9_N2at6native12_GLOBAL__N_18offset_tEEE10hipError_tPvRmT1_PNSt15iterator_traitsISH_E10value_typeET2_T3_PNSI_ISN_E10value_typeET4_jRbjT5_ST_jjP12ihipStream_tbEUlT_E2_NS1_11comp_targetILNS1_3genE9ELNS1_11target_archE1100ELNS1_3gpuE3ELNS1_3repE0EEENS1_30default_config_static_selectorELNS0_4arch9wavefront6targetE0EEEvSH_.private_seg_size, 0
	.set _ZN7rocprim17ROCPRIM_400000_NS6detail17trampoline_kernelINS0_14default_configENS1_36segmented_radix_sort_config_selectorIllEEZNS1_25segmented_radix_sort_implIS3_Lb1EPKlPlS8_S9_N2at6native12_GLOBAL__N_18offset_tEEE10hipError_tPvRmT1_PNSt15iterator_traitsISH_E10value_typeET2_T3_PNSI_ISN_E10value_typeET4_jRbjT5_ST_jjP12ihipStream_tbEUlT_E2_NS1_11comp_targetILNS1_3genE9ELNS1_11target_archE1100ELNS1_3gpuE3ELNS1_3repE0EEENS1_30default_config_static_selectorELNS0_4arch9wavefront6targetE0EEEvSH_.uses_vcc, 0
	.set _ZN7rocprim17ROCPRIM_400000_NS6detail17trampoline_kernelINS0_14default_configENS1_36segmented_radix_sort_config_selectorIllEEZNS1_25segmented_radix_sort_implIS3_Lb1EPKlPlS8_S9_N2at6native12_GLOBAL__N_18offset_tEEE10hipError_tPvRmT1_PNSt15iterator_traitsISH_E10value_typeET2_T3_PNSI_ISN_E10value_typeET4_jRbjT5_ST_jjP12ihipStream_tbEUlT_E2_NS1_11comp_targetILNS1_3genE9ELNS1_11target_archE1100ELNS1_3gpuE3ELNS1_3repE0EEENS1_30default_config_static_selectorELNS0_4arch9wavefront6targetE0EEEvSH_.uses_flat_scratch, 0
	.set _ZN7rocprim17ROCPRIM_400000_NS6detail17trampoline_kernelINS0_14default_configENS1_36segmented_radix_sort_config_selectorIllEEZNS1_25segmented_radix_sort_implIS3_Lb1EPKlPlS8_S9_N2at6native12_GLOBAL__N_18offset_tEEE10hipError_tPvRmT1_PNSt15iterator_traitsISH_E10value_typeET2_T3_PNSI_ISN_E10value_typeET4_jRbjT5_ST_jjP12ihipStream_tbEUlT_E2_NS1_11comp_targetILNS1_3genE9ELNS1_11target_archE1100ELNS1_3gpuE3ELNS1_3repE0EEENS1_30default_config_static_selectorELNS0_4arch9wavefront6targetE0EEEvSH_.has_dyn_sized_stack, 0
	.set _ZN7rocprim17ROCPRIM_400000_NS6detail17trampoline_kernelINS0_14default_configENS1_36segmented_radix_sort_config_selectorIllEEZNS1_25segmented_radix_sort_implIS3_Lb1EPKlPlS8_S9_N2at6native12_GLOBAL__N_18offset_tEEE10hipError_tPvRmT1_PNSt15iterator_traitsISH_E10value_typeET2_T3_PNSI_ISN_E10value_typeET4_jRbjT5_ST_jjP12ihipStream_tbEUlT_E2_NS1_11comp_targetILNS1_3genE9ELNS1_11target_archE1100ELNS1_3gpuE3ELNS1_3repE0EEENS1_30default_config_static_selectorELNS0_4arch9wavefront6targetE0EEEvSH_.has_recursion, 0
	.set _ZN7rocprim17ROCPRIM_400000_NS6detail17trampoline_kernelINS0_14default_configENS1_36segmented_radix_sort_config_selectorIllEEZNS1_25segmented_radix_sort_implIS3_Lb1EPKlPlS8_S9_N2at6native12_GLOBAL__N_18offset_tEEE10hipError_tPvRmT1_PNSt15iterator_traitsISH_E10value_typeET2_T3_PNSI_ISN_E10value_typeET4_jRbjT5_ST_jjP12ihipStream_tbEUlT_E2_NS1_11comp_targetILNS1_3genE9ELNS1_11target_archE1100ELNS1_3gpuE3ELNS1_3repE0EEENS1_30default_config_static_selectorELNS0_4arch9wavefront6targetE0EEEvSH_.has_indirect_call, 0
	.section	.AMDGPU.csdata,"",@progbits
; Kernel info:
; codeLenInByte = 0
; TotalNumSgprs: 0
; NumVgprs: 0
; ScratchSize: 0
; MemoryBound: 0
; FloatMode: 240
; IeeeMode: 1
; LDSByteSize: 0 bytes/workgroup (compile time only)
; SGPRBlocks: 0
; VGPRBlocks: 0
; NumSGPRsForWavesPerEU: 1
; NumVGPRsForWavesPerEU: 1
; Occupancy: 16
; WaveLimiterHint : 0
; COMPUTE_PGM_RSRC2:SCRATCH_EN: 0
; COMPUTE_PGM_RSRC2:USER_SGPR: 6
; COMPUTE_PGM_RSRC2:TRAP_HANDLER: 0
; COMPUTE_PGM_RSRC2:TGID_X_EN: 1
; COMPUTE_PGM_RSRC2:TGID_Y_EN: 0
; COMPUTE_PGM_RSRC2:TGID_Z_EN: 0
; COMPUTE_PGM_RSRC2:TIDIG_COMP_CNT: 0
	.section	.text._ZN7rocprim17ROCPRIM_400000_NS6detail17trampoline_kernelINS0_14default_configENS1_36segmented_radix_sort_config_selectorIllEEZNS1_25segmented_radix_sort_implIS3_Lb1EPKlPlS8_S9_N2at6native12_GLOBAL__N_18offset_tEEE10hipError_tPvRmT1_PNSt15iterator_traitsISH_E10value_typeET2_T3_PNSI_ISN_E10value_typeET4_jRbjT5_ST_jjP12ihipStream_tbEUlT_E2_NS1_11comp_targetILNS1_3genE8ELNS1_11target_archE1030ELNS1_3gpuE2ELNS1_3repE0EEENS1_30default_config_static_selectorELNS0_4arch9wavefront6targetE0EEEvSH_,"axG",@progbits,_ZN7rocprim17ROCPRIM_400000_NS6detail17trampoline_kernelINS0_14default_configENS1_36segmented_radix_sort_config_selectorIllEEZNS1_25segmented_radix_sort_implIS3_Lb1EPKlPlS8_S9_N2at6native12_GLOBAL__N_18offset_tEEE10hipError_tPvRmT1_PNSt15iterator_traitsISH_E10value_typeET2_T3_PNSI_ISN_E10value_typeET4_jRbjT5_ST_jjP12ihipStream_tbEUlT_E2_NS1_11comp_targetILNS1_3genE8ELNS1_11target_archE1030ELNS1_3gpuE2ELNS1_3repE0EEENS1_30default_config_static_selectorELNS0_4arch9wavefront6targetE0EEEvSH_,comdat
	.globl	_ZN7rocprim17ROCPRIM_400000_NS6detail17trampoline_kernelINS0_14default_configENS1_36segmented_radix_sort_config_selectorIllEEZNS1_25segmented_radix_sort_implIS3_Lb1EPKlPlS8_S9_N2at6native12_GLOBAL__N_18offset_tEEE10hipError_tPvRmT1_PNSt15iterator_traitsISH_E10value_typeET2_T3_PNSI_ISN_E10value_typeET4_jRbjT5_ST_jjP12ihipStream_tbEUlT_E2_NS1_11comp_targetILNS1_3genE8ELNS1_11target_archE1030ELNS1_3gpuE2ELNS1_3repE0EEENS1_30default_config_static_selectorELNS0_4arch9wavefront6targetE0EEEvSH_ ; -- Begin function _ZN7rocprim17ROCPRIM_400000_NS6detail17trampoline_kernelINS0_14default_configENS1_36segmented_radix_sort_config_selectorIllEEZNS1_25segmented_radix_sort_implIS3_Lb1EPKlPlS8_S9_N2at6native12_GLOBAL__N_18offset_tEEE10hipError_tPvRmT1_PNSt15iterator_traitsISH_E10value_typeET2_T3_PNSI_ISN_E10value_typeET4_jRbjT5_ST_jjP12ihipStream_tbEUlT_E2_NS1_11comp_targetILNS1_3genE8ELNS1_11target_archE1030ELNS1_3gpuE2ELNS1_3repE0EEENS1_30default_config_static_selectorELNS0_4arch9wavefront6targetE0EEEvSH_
	.p2align	8
	.type	_ZN7rocprim17ROCPRIM_400000_NS6detail17trampoline_kernelINS0_14default_configENS1_36segmented_radix_sort_config_selectorIllEEZNS1_25segmented_radix_sort_implIS3_Lb1EPKlPlS8_S9_N2at6native12_GLOBAL__N_18offset_tEEE10hipError_tPvRmT1_PNSt15iterator_traitsISH_E10value_typeET2_T3_PNSI_ISN_E10value_typeET4_jRbjT5_ST_jjP12ihipStream_tbEUlT_E2_NS1_11comp_targetILNS1_3genE8ELNS1_11target_archE1030ELNS1_3gpuE2ELNS1_3repE0EEENS1_30default_config_static_selectorELNS0_4arch9wavefront6targetE0EEEvSH_,@function
_ZN7rocprim17ROCPRIM_400000_NS6detail17trampoline_kernelINS0_14default_configENS1_36segmented_radix_sort_config_selectorIllEEZNS1_25segmented_radix_sort_implIS3_Lb1EPKlPlS8_S9_N2at6native12_GLOBAL__N_18offset_tEEE10hipError_tPvRmT1_PNSt15iterator_traitsISH_E10value_typeET2_T3_PNSI_ISN_E10value_typeET4_jRbjT5_ST_jjP12ihipStream_tbEUlT_E2_NS1_11comp_targetILNS1_3genE8ELNS1_11target_archE1030ELNS1_3gpuE2ELNS1_3repE0EEENS1_30default_config_static_selectorELNS0_4arch9wavefront6targetE0EEEvSH_: ; @_ZN7rocprim17ROCPRIM_400000_NS6detail17trampoline_kernelINS0_14default_configENS1_36segmented_radix_sort_config_selectorIllEEZNS1_25segmented_radix_sort_implIS3_Lb1EPKlPlS8_S9_N2at6native12_GLOBAL__N_18offset_tEEE10hipError_tPvRmT1_PNSt15iterator_traitsISH_E10value_typeET2_T3_PNSI_ISN_E10value_typeET4_jRbjT5_ST_jjP12ihipStream_tbEUlT_E2_NS1_11comp_targetILNS1_3genE8ELNS1_11target_archE1030ELNS1_3gpuE2ELNS1_3repE0EEENS1_30default_config_static_selectorELNS0_4arch9wavefront6targetE0EEEvSH_
; %bb.0:
	s_add_u32 s0, s0, s8
	s_load_dwordx4 s[8:11], s[4:5], 0x34
	s_addc_u32 s1, s1, 0
	s_mov_b32 s32, 0
	s_waitcnt lgkmcnt(0)
	s_add_i32 s60, s9, s6
	s_add_i32 s61, s11, s6
	s_mul_i32 s60, s60, s8
	s_mul_i32 s61, s61, s10
	s_cmp_le_u32 s61, s60
	s_cbranch_scc1 .LBB736_1198
; %bb.1:
	s_clause 0x3
	s_load_dword s8, s[4:5], 0x30
	s_load_dwordx4 s[48:51], s[4:5], 0x20
	s_load_dwordx4 s[52:55], s[4:5], 0x44
	s_load_dwordx8 s[40:47], s[4:5], 0x0
	s_waitcnt lgkmcnt(0)
	s_bitcmp1_b32 s8, 0
	s_mov_b32 s8, -1
	s_cselect_b32 s55, -1, 0
	s_sub_i32 s62, s61, s60
	s_cmpk_lt_u32 s62, 0x1001
	s_cbranch_scc0 .LBB736_15
; %bb.2:
	s_cmpk_lt_u32 s62, 0x81
	s_cbranch_scc0 .LBB736_9
; %bb.3:
	s_load_dword s8, s[4:5], 0x5c
	s_mov_b32 s27, exec_lo
	s_waitcnt lgkmcnt(0)
	s_lshr_b32 s9, s8, 16
	s_and_b32 s8, s8, 0xffff
	v_mad_u32_u24 v3, v2, s9, v1
	v_mad_u64_u32 v[3:4], null, v3, s8, v[0:1]
	v_cmpx_gt_u32_e32 16, v3
	s_cbranch_execz .LBB736_8
; %bb.4:
	v_cndmask_b32_e64 v3, 0, 1, s55
	s_and_b32 s8, s52, 1
	v_cmp_ne_u32_e32 vcc_lo, s8, v3
	s_mov_b32 s8, -1
	s_cbranch_vccnz .LBB736_6
; %bb.5:
	v_lshlrev_b32_e32 v3, 20, v2
	v_lshlrev_b32_e32 v4, 10, v1
	s_mov_b64 s[10:11], src_shared_base
	v_mov_b32_e32 v40, v0
	v_mov_b32_e32 v41, v1
	;; [unrolled: 1-line block ×3, first 2 shown]
	v_or3_b32 v31, v0, v4, v3
	v_mov_b32_e32 v0, s40
	v_mov_b32_e32 v42, v2
	;; [unrolled: 1-line block ×14, first 2 shown]
	s_add_u32 s8, s4, 0x50
	s_addc_u32 s9, s5, 0
	s_getpc_b64 s[14:15]
	s_add_u32 s14, s14, _ZN7rocprim17ROCPRIM_400000_NS6detail26segmented_warp_sort_helperINS1_20WarpSortHelperConfigILj16ELj8ELj256EEEllLi256ELb1EvE4sortIPKlPlS8_S9_EEvT_T0_T1_T2_jjjjRNS5_12storage_typeE@rel32@lo+4
	s_addc_u32 s15, s15, _ZN7rocprim17ROCPRIM_400000_NS6detail26segmented_warp_sort_helperINS1_20WarpSortHelperConfigILj16ELj8ELj256EEEllLi256ELb1EvE4sortIPKlPlS8_S9_EEvT_T0_T1_T2_jjjjRNS5_12storage_typeE@rel32@hi+12
	s_mov_b32 s12, s6
	s_mov_b32 s13, s7
	s_mov_b64 s[28:29], s[4:5]
	s_mov_b32 s33, s7
	s_mov_b32 s34, s6
	s_swappc_b64 s[30:31], s[14:15]
	v_mov_b32_e32 v1, v41
	v_mov_b32_e32 v2, v42
	;; [unrolled: 1-line block ×3, first 2 shown]
	s_mov_b32 s6, s34
	s_mov_b32 s7, s33
	s_mov_b64 s[4:5], s[28:29]
	s_mov_b32 s8, 0
.LBB736_6:
	s_andn2_b32 vcc_lo, exec_lo, s8
	s_cbranch_vccnz .LBB736_8
; %bb.7:
	v_lshlrev_b32_e32 v3, 20, v2
	v_lshlrev_b32_e32 v4, 10, v1
	s_mov_b64 s[10:11], src_shared_base
	v_mov_b32_e32 v40, v0
	v_mov_b32_e32 v41, v1
	;; [unrolled: 1-line block ×3, first 2 shown]
	v_or3_b32 v31, v0, v4, v3
	v_mov_b32_e32 v0, s40
	v_mov_b32_e32 v42, v2
	;; [unrolled: 1-line block ×14, first 2 shown]
	s_add_u32 s8, s4, 0x50
	s_addc_u32 s9, s5, 0
	s_getpc_b64 s[14:15]
	s_add_u32 s14, s14, _ZN7rocprim17ROCPRIM_400000_NS6detail26segmented_warp_sort_helperINS1_20WarpSortHelperConfigILj16ELj8ELj256EEEllLi256ELb1EvE4sortIPKlPlS8_S9_EEvT_T0_T1_T2_jjjjRNS5_12storage_typeE@rel32@lo+4
	s_addc_u32 s15, s15, _ZN7rocprim17ROCPRIM_400000_NS6detail26segmented_warp_sort_helperINS1_20WarpSortHelperConfigILj16ELj8ELj256EEEllLi256ELb1EvE4sortIPKlPlS8_S9_EEvT_T0_T1_T2_jjjjRNS5_12storage_typeE@rel32@hi+12
	s_mov_b32 s12, s6
	s_mov_b32 s13, s7
	s_mov_b64 s[28:29], s[4:5]
	s_mov_b32 s34, s7
	s_mov_b32 s33, s6
	s_swappc_b64 s[30:31], s[14:15]
	v_mov_b32_e32 v1, v41
	v_mov_b32_e32 v2, v42
	v_mov_b32_e32 v0, v40
	s_mov_b32 s6, s33
	s_mov_b32 s7, s34
	s_mov_b64 s[4:5], s[28:29]
.LBB736_8:
	s_or_b32 exec_lo, exec_lo, s27
	s_mov_b32 s8, 0
.LBB736_9:
	s_andn2_b32 vcc_lo, exec_lo, s8
	s_cbranch_vccnz .LBB736_14
; %bb.10:
	v_cndmask_b32_e64 v3, 0, 1, s55
	s_and_b32 s8, s52, 1
	v_lshlrev_b32_e32 v41, 20, v2
	v_lshlrev_b32_e32 v42, 10, v1
	v_cmp_ne_u32_e32 vcc_lo, s8, v3
	s_mov_b32 s8, -1
	s_cbranch_vccnz .LBB736_12
; %bb.11:
	s_mov_b64 s[10:11], src_shared_base
	v_or3_b32 v31, v0, v42, v41
	v_mov_b32_e32 v40, v0
	v_mov_b32_e32 v0, s40
	;; [unrolled: 1-line block ×17, first 2 shown]
	s_add_u32 s8, s4, 0x50
	s_addc_u32 s9, s5, 0
	s_getpc_b64 s[14:15]
	s_add_u32 s14, s14, _ZN7rocprim17ROCPRIM_400000_NS6detail40segmented_radix_sort_single_block_helperIllLj256ELj16ELb1EE4sortIPKlPlS6_S7_EEbT_T0_T1_T2_jjjjRNS3_12storage_typeE@rel32@lo+4
	s_addc_u32 s15, s15, _ZN7rocprim17ROCPRIM_400000_NS6detail40segmented_radix_sort_single_block_helperIllLj256ELj16ELb1EE4sortIPKlPlS6_S7_EEbT_T0_T1_T2_jjjjRNS3_12storage_typeE@rel32@hi+12
	s_mov_b32 s12, s6
	s_mov_b32 s13, s7
	s_mov_b64 s[28:29], s[4:5]
	s_mov_b32 s27, s7
	s_mov_b32 s33, s6
	s_swappc_b64 s[30:31], s[14:15]
	v_mov_b32_e32 v1, v43
	v_mov_b32_e32 v2, v44
	;; [unrolled: 1-line block ×3, first 2 shown]
	s_mov_b32 s6, s33
	s_mov_b32 s7, s27
	s_mov_b64 s[4:5], s[28:29]
	s_mov_b32 s8, 0
.LBB736_12:
	s_andn2_b32 vcc_lo, exec_lo, s8
	s_cbranch_vccnz .LBB736_14
; %bb.13:
	s_mov_b64 s[10:11], src_shared_base
	v_or3_b32 v31, v0, v42, v41
	v_mov_b32_e32 v40, v0
	v_mov_b32_e32 v0, s40
	;; [unrolled: 1-line block ×17, first 2 shown]
	s_add_u32 s8, s4, 0x50
	s_addc_u32 s9, s5, 0
	s_getpc_b64 s[14:15]
	s_add_u32 s14, s14, _ZN7rocprim17ROCPRIM_400000_NS6detail40segmented_radix_sort_single_block_helperIllLj256ELj16ELb1EE4sortIPKlPlS6_S7_EEbT_T0_T1_T2_jjjjRNS3_12storage_typeE@rel32@lo+4
	s_addc_u32 s15, s15, _ZN7rocprim17ROCPRIM_400000_NS6detail40segmented_radix_sort_single_block_helperIllLj256ELj16ELb1EE4sortIPKlPlS6_S7_EEbT_T0_T1_T2_jjjjRNS3_12storage_typeE@rel32@hi+12
	s_mov_b32 s12, s6
	s_mov_b32 s13, s7
	s_mov_b64 s[28:29], s[4:5]
	s_mov_b32 s33, s7
	s_mov_b32 s27, s6
	s_swappc_b64 s[30:31], s[14:15]
	v_mov_b32_e32 v1, v41
	v_mov_b32_e32 v2, v42
	;; [unrolled: 1-line block ×3, first 2 shown]
	s_mov_b32 s6, s27
	s_mov_b32 s7, s33
	s_mov_b64 s[4:5], s[28:29]
.LBB736_14:
	s_mov_b32 s8, 0
.LBB736_15:
	s_andn2_b32 vcc_lo, exec_lo, s8
	s_cbranch_vccnz .LBB736_1198
; %bb.16:
	s_cmp_ge_u32 s53, s54
	s_cbranch_scc1 .LBB736_1198
; %bb.17:
	v_and_b32_e32 v6, 0xe0, v0
	v_and_b32_e32 v5, 3, v0
	v_lshlrev_b32_e32 v73, 2, v0
	v_lshlrev_b32_e32 v4, 3, v0
	v_lshrrev_b32_e32 v8, 3, v0
	v_min_u32_e32 v7, 0x60, v6
	v_lshlrev_b32_e32 v91, 2, v5
	v_mad_u32_u24 v93, v0, 12, v73
	v_or_b32_e32 v74, 0x100, v0
	v_or_b32_e32 v77, 0x200, v0
	;; [unrolled: 1-line block ×3, first 2 shown]
	v_lshlrev_b32_e32 v7, 4, v0
	v_add_nc_u32_e32 v98, v93, v73
	v_or_b32_e32 v78, 0x300, v0
	v_or_b32_e32 v79, 0x400, v0
	v_cmp_eq_u32_e64 s9, v0, v5
	v_and_b32_e32 v97, 0xe00, v7
	v_or_b32_e32 v5, 31, v6
	v_sub_nc_u32_e32 v99, v98, v7
	v_or_b32_e32 v80, 0x500, v0
	v_and_b32_e32 v92, 28, v8
	v_lshlrev_b32_e32 v6, 3, v97
	s_add_u32 s58, s4, 0x50
	v_cmp_eq_u32_e64 s4, v0, v5
	v_add_nc_u32_e32 v5, 1, v0
	v_lshl_add_u32 v101, v0, 5, v99
	v_add_co_u32 v102, s15, s50, v6
	v_add_co_ci_u32_e64 v103, null, s51, 0, s15
	v_add_co_u32 v104, s15, s44, v6
	v_add_co_ci_u32_e64 v105, null, s45, 0, s15
	;; [unrolled: 2-line block ×6, first 2 shown]
	v_add_co_u32 v115, s15, s46, v6
	v_add_co_u32 v75, s8, s44, v4
	v_add_co_ci_u32_e64 v116, null, s47, 0, s15
	v_add_co_u32 v117, s15, s40, v6
	v_mov_b32_e32 v3, 0
	v_add_co_ci_u32_e64 v76, null, s45, 0, s8
	v_or_b32_e32 v81, 0x600, v0
	v_or_b32_e32 v82, 0x700, v0
	;; [unrolled: 1-line block ×10, first 2 shown]
	v_cmp_gt_u32_e64 s8, 0x80, v0
	v_or_b32_e32 v94, 0x8200, v92
	v_cmp_gt_u32_e64 s10, 4, v0
	v_add_nc_u32_e32 v95, 0x8200, v73
	v_cmp_lt_u32_e64 s11, 31, v0
	v_add_nc_u32_e32 v96, 0x81fc, v92
	v_cmp_gt_u32_e64 s12, 8, v0
	v_cmp_eq_u32_e64 s13, 0, v0
	v_mul_u32_u24_e32 v100, 36, v5
	v_cmp_ne_u32_e64 s14, 0x80, v5
	v_mad_i32_i24 v106, 0xffffffe4, v0, v101
	v_add_co_ci_u32_e64 v118, null, s41, 0, s15
	v_mov_b32_e32 v119, 1
	v_lshlrev_b32_e32 v120, 3, v0
	v_lshlrev_b32_e32 v121, 3, v74
	;; [unrolled: 1-line block ×6, first 2 shown]
	v_mbcnt_lo_u32_b32 v126, -1, 0
	v_bfrev_b32_e32 v4, 1
	s_mov_b32 s57, 0
	s_addc_u32 s59, s5, 0
	s_mov_b32 s46, s53
	s_mov_b32 s47, s53
	s_branch .LBB736_20
.LBB736_18:                             ;   in Loop: Header=BB736_20 Depth=1
	s_waitcnt lgkmcnt(0)
	s_barrier
.LBB736_19:                             ;   in Loop: Header=BB736_20 Depth=1
	s_add_i32 s47, s47, 7
	buffer_gl0_inv
	s_cmp_ge_u32 s47, s54
	s_cbranch_scc1 .LBB736_1198
.LBB736_20:                             ; =>This Loop Header: Depth=1
                                        ;     Child Loop BB736_24 Depth 2
                                        ;     Child Loop BB736_104 Depth 2
	;; [unrolled: 1-line block ×8, first 2 shown]
	s_sub_i32 s5, s54, s47
	s_xor_b32 s55, s55, -1
	s_min_u32 s52, s5, 7
	s_cmp_lg_u32 s47, s53
	s_mov_b32 s5, -1
	ds_write2st64_b32 v73, v3, v3 offset1:4
	s_waitcnt lgkmcnt(0)
	s_waitcnt_vscnt null, 0x0
	s_cbranch_scc0 .LBB736_610
; %bb.21:                               ;   in Loop: Header=BB736_20 Depth=1
	s_lshl_b32 s5, -1, s52
	s_and_b32 vcc_lo, exec_lo, s55
	s_not_b32 s63, s5
	s_mov_b32 s5, -1
	s_cbranch_vccz .LBB736_315
; %bb.22:                               ;   in Loop: Header=BB736_20 Depth=1
	s_mov_b32 s5, s62
	s_mov_b32 s56, s60
	s_barrier
	buffer_gl0_inv
                                        ; implicit-def: $vgpr5_vgpr6
                                        ; implicit-def: $vgpr7_vgpr8
                                        ; implicit-def: $vgpr9_vgpr10
                                        ; implicit-def: $vgpr11_vgpr12
                                        ; implicit-def: $vgpr13_vgpr14
                                        ; implicit-def: $vgpr15_vgpr16
                                        ; implicit-def: $vgpr17_vgpr18
                                        ; implicit-def: $vgpr19_vgpr20
                                        ; implicit-def: $vgpr21_vgpr22
                                        ; implicit-def: $vgpr23_vgpr24
                                        ; implicit-def: $vgpr25_vgpr26
                                        ; implicit-def: $vgpr27_vgpr28
                                        ; implicit-def: $vgpr29_vgpr30
                                        ; implicit-def: $vgpr31_vgpr32
                                        ; implicit-def: $vgpr33_vgpr34
                                        ; implicit-def: $vgpr35_vgpr36
	s_branch .LBB736_24
.LBB736_23:                             ;   in Loop: Header=BB736_24 Depth=2
	s_or_b32 exec_lo, exec_lo, s16
	s_addk_i32 s5, 0xf000
	s_cmp_ge_u32 s15, s61
	s_mov_b32 s56, s15
	s_cbranch_scc1 .LBB736_92
.LBB736_24:                             ;   Parent Loop BB736_20 Depth=1
                                        ; =>  This Inner Loop Header: Depth=2
	s_add_i32 s15, s56, 0x1000
	s_mov_b32 s16, -1
	s_cmp_gt_u32 s15, s61
                                        ; implicit-def: $vgpr47_vgpr48
                                        ; implicit-def: $vgpr51_vgpr52
                                        ; implicit-def: $vgpr55_vgpr56
                                        ; implicit-def: $vgpr37_vgpr38
                                        ; implicit-def: $vgpr39_vgpr40
                                        ; implicit-def: $vgpr41_vgpr42
                                        ; implicit-def: $vgpr43_vgpr44
                                        ; implicit-def: $vgpr45_vgpr46
                                        ; implicit-def: $vgpr49_vgpr50
                                        ; implicit-def: $vgpr53_vgpr54
                                        ; implicit-def: $vgpr57_vgpr58
                                        ; implicit-def: $vgpr59_vgpr60
                                        ; implicit-def: $vgpr61_vgpr62
                                        ; implicit-def: $vgpr63_vgpr64
                                        ; implicit-def: $vgpr65_vgpr66
                                        ; implicit-def: $vgpr67_vgpr68
	s_cbranch_scc1 .LBB736_26
; %bb.25:                               ;   in Loop: Header=BB736_24 Depth=2
	s_lshl_b64 s[16:17], s[56:57], 3
	v_add_co_u32 v47, vcc_lo, v75, s16
	v_add_co_ci_u32_e64 v48, null, s17, v76, vcc_lo
	s_mov_b32 s16, 0
	v_add_co_u32 v55, vcc_lo, v47, 0x1000
	v_add_co_ci_u32_e64 v56, null, 0, v48, vcc_lo
	v_add_co_u32 v39, vcc_lo, v47, 0x2000
	v_add_co_ci_u32_e64 v40, null, 0, v48, vcc_lo
	v_add_co_u32 v43, vcc_lo, v47, 0x3000
	v_add_co_ci_u32_e64 v44, null, 0, v48, vcc_lo
	v_add_co_u32 v49, vcc_lo, v47, 0x4000
	v_add_co_ci_u32_e64 v50, null, 0, v48, vcc_lo
	v_add_co_u32 v51, vcc_lo, v47, 0x5000
	v_add_co_ci_u32_e64 v52, null, 0, v48, vcc_lo
	s_clause 0x7
	global_load_dwordx2 v[37:38], v[39:40], off offset:-2048
	global_load_dwordx2 v[39:40], v[39:40], off
	global_load_dwordx2 v[41:42], v[43:44], off offset:-2048
	global_load_dwordx2 v[43:44], v[43:44], off
	;; [unrolled: 2-line block ×4, first 2 shown]
	v_add_co_u32 v51, vcc_lo, v47, 0x6000
	v_add_co_ci_u32_e64 v52, null, 0, v48, vcc_lo
	v_add_co_u32 v65, vcc_lo, v47, 0x7000
	v_add_co_ci_u32_e64 v66, null, 0, v48, vcc_lo
	;; [unrolled: 2-line block ×3, first 2 shown]
	s_clause 0x7
	global_load_dwordx2 v[59:60], v[51:52], off offset:-2048
	global_load_dwordx2 v[61:62], v[51:52], off
	global_load_dwordx2 v[63:64], v[65:66], off offset:-2048
	global_load_dwordx2 v[65:66], v[65:66], off
	global_load_dwordx2 v[47:48], v[47:48], off
	global_load_dwordx2 v[51:52], v[55:56], off offset:-2048
	global_load_dwordx2 v[55:56], v[55:56], off
	global_load_dwordx2 v[67:68], v[67:68], off
.LBB736_26:                             ;   in Loop: Header=BB736_24 Depth=2
	s_andn2_b32 vcc_lo, exec_lo, s16
	s_movk_i32 s16, 0x1000
	s_cbranch_vccnz .LBB736_45
; %bb.27:                               ;   in Loop: Header=BB736_24 Depth=2
	s_lshl_b64 s[16:17], s[56:57], 3
	s_mov_b32 s18, exec_lo
	s_add_u32 s16, s44, s16
	s_addc_u32 s17, s45, s17
	v_cmpx_gt_u32_e64 s5, v0
	s_cbranch_execnz .LBB736_77
; %bb.28:                               ;   in Loop: Header=BB736_24 Depth=2
	s_or_b32 exec_lo, exec_lo, s18
	s_mov_b32 s18, exec_lo
	v_cmpx_gt_u32_e64 s5, v74
	s_cbranch_execnz .LBB736_78
.LBB736_29:                             ;   in Loop: Header=BB736_24 Depth=2
	s_or_b32 exec_lo, exec_lo, s18
	s_mov_b32 s18, exec_lo
	v_cmpx_gt_u32_e64 s5, v77
	s_cbranch_execnz .LBB736_79
.LBB736_30:                             ;   in Loop: Header=BB736_24 Depth=2
	s_or_b32 exec_lo, exec_lo, s18
	s_mov_b32 s18, exec_lo
	v_cmpx_gt_u32_e64 s5, v78
	s_cbranch_execnz .LBB736_80
.LBB736_31:                             ;   in Loop: Header=BB736_24 Depth=2
	s_or_b32 exec_lo, exec_lo, s18
	s_mov_b32 s18, exec_lo
	v_cmpx_gt_u32_e64 s5, v79
	s_cbranch_execnz .LBB736_81
.LBB736_32:                             ;   in Loop: Header=BB736_24 Depth=2
	s_or_b32 exec_lo, exec_lo, s18
	s_mov_b32 s18, exec_lo
	v_cmpx_gt_u32_e64 s5, v80
	s_cbranch_execnz .LBB736_82
.LBB736_33:                             ;   in Loop: Header=BB736_24 Depth=2
	s_or_b32 exec_lo, exec_lo, s18
	s_mov_b32 s18, exec_lo
	v_cmpx_gt_u32_e64 s5, v81
	s_cbranch_execnz .LBB736_83
.LBB736_34:                             ;   in Loop: Header=BB736_24 Depth=2
	s_or_b32 exec_lo, exec_lo, s18
	s_mov_b32 s18, exec_lo
	v_cmpx_gt_u32_e64 s5, v82
	s_cbranch_execnz .LBB736_84
.LBB736_35:                             ;   in Loop: Header=BB736_24 Depth=2
	s_or_b32 exec_lo, exec_lo, s18
	s_mov_b32 s18, exec_lo
	v_cmpx_gt_u32_e64 s5, v83
	s_cbranch_execnz .LBB736_85
.LBB736_36:                             ;   in Loop: Header=BB736_24 Depth=2
	s_or_b32 exec_lo, exec_lo, s18
	s_mov_b32 s18, exec_lo
	v_cmpx_gt_u32_e64 s5, v84
	s_cbranch_execnz .LBB736_86
.LBB736_37:                             ;   in Loop: Header=BB736_24 Depth=2
	s_or_b32 exec_lo, exec_lo, s18
	s_mov_b32 s18, exec_lo
	v_cmpx_gt_u32_e64 s5, v85
	s_cbranch_execnz .LBB736_87
.LBB736_38:                             ;   in Loop: Header=BB736_24 Depth=2
	s_or_b32 exec_lo, exec_lo, s18
	s_mov_b32 s18, exec_lo
	v_cmpx_gt_u32_e64 s5, v86
	s_cbranch_execnz .LBB736_88
.LBB736_39:                             ;   in Loop: Header=BB736_24 Depth=2
	s_or_b32 exec_lo, exec_lo, s18
	s_mov_b32 s18, exec_lo
	v_cmpx_gt_u32_e64 s5, v87
	s_cbranch_execnz .LBB736_89
.LBB736_40:                             ;   in Loop: Header=BB736_24 Depth=2
	s_or_b32 exec_lo, exec_lo, s18
	s_mov_b32 s18, exec_lo
	v_cmpx_gt_u32_e64 s5, v88
	s_cbranch_execnz .LBB736_90
.LBB736_41:                             ;   in Loop: Header=BB736_24 Depth=2
	s_or_b32 exec_lo, exec_lo, s18
	s_mov_b32 s18, exec_lo
	v_cmpx_gt_u32_e64 s5, v89
	s_cbranch_execnz .LBB736_91
.LBB736_42:                             ;   in Loop: Header=BB736_24 Depth=2
	s_or_b32 exec_lo, exec_lo, s18
	s_mov_b32 s18, exec_lo
	v_cmpx_gt_u32_e64 s5, v90
	s_cbranch_execz .LBB736_44
.LBB736_43:                             ;   in Loop: Header=BB736_24 Depth=2
	v_lshlrev_b32_e32 v5, 3, v90
	global_load_dwordx2 v[5:6], v5, s[16:17]
.LBB736_44:                             ;   in Loop: Header=BB736_24 Depth=2
	s_or_b32 exec_lo, exec_lo, s18
	s_waitcnt vmcnt(0)
	v_mov_b32_e32 v48, v36
	v_mov_b32_e32 v52, v34
	v_mov_b32_e32 v56, v32
	v_mov_b32_e32 v38, v30
	v_mov_b32_e32 v40, v28
	v_mov_b32_e32 v42, v26
	v_mov_b32_e32 v44, v24
	v_mov_b32_e32 v46, v22
	v_mov_b32_e32 v50, v20
	v_mov_b32_e32 v54, v18
	v_mov_b32_e32 v58, v16
	v_mov_b32_e32 v60, v14
	v_mov_b32_e32 v62, v12
	v_mov_b32_e32 v64, v10
	v_mov_b32_e32 v66, v8
	v_mov_b32_e32 v68, v6
	v_mov_b32_e32 v47, v35
	v_mov_b32_e32 v51, v33
	v_mov_b32_e32 v55, v31
	v_mov_b32_e32 v37, v29
	v_mov_b32_e32 v39, v27
	v_mov_b32_e32 v41, v25
	v_mov_b32_e32 v43, v23
	v_mov_b32_e32 v45, v21
	v_mov_b32_e32 v49, v19
	v_mov_b32_e32 v53, v17
	v_mov_b32_e32 v57, v15
	v_mov_b32_e32 v59, v13
	v_mov_b32_e32 v61, v11
	v_mov_b32_e32 v63, v9
	v_mov_b32_e32 v65, v7
	v_mov_b32_e32 v67, v5
	s_mov_b32 s16, s5
.LBB736_45:                             ;   in Loop: Header=BB736_24 Depth=2
	s_waitcnt vmcnt(0)
	v_mov_b32_e32 v5, v67
	v_mov_b32_e32 v7, v65
	;; [unrolled: 1-line block ×32, first 2 shown]
	s_mov_b32 s17, exec_lo
	v_cmpx_gt_u32_e64 s16, v0
	s_cbranch_execnz .LBB736_61
; %bb.46:                               ;   in Loop: Header=BB736_24 Depth=2
	s_or_b32 exec_lo, exec_lo, s17
	s_mov_b32 s17, exec_lo
	v_cmpx_gt_u32_e64 s16, v74
	s_cbranch_execnz .LBB736_62
.LBB736_47:                             ;   in Loop: Header=BB736_24 Depth=2
	s_or_b32 exec_lo, exec_lo, s17
	s_mov_b32 s17, exec_lo
	v_cmpx_gt_u32_e64 s16, v77
	s_cbranch_execnz .LBB736_63
.LBB736_48:                             ;   in Loop: Header=BB736_24 Depth=2
	s_or_b32 exec_lo, exec_lo, s17
	s_mov_b32 s17, exec_lo
	v_cmpx_gt_u32_e64 s16, v78
	s_cbranch_execnz .LBB736_64
.LBB736_49:                             ;   in Loop: Header=BB736_24 Depth=2
	s_or_b32 exec_lo, exec_lo, s17
	s_mov_b32 s17, exec_lo
	v_cmpx_gt_u32_e64 s16, v79
	s_cbranch_execnz .LBB736_65
.LBB736_50:                             ;   in Loop: Header=BB736_24 Depth=2
	s_or_b32 exec_lo, exec_lo, s17
	s_mov_b32 s17, exec_lo
	v_cmpx_gt_u32_e64 s16, v80
	s_cbranch_execnz .LBB736_66
.LBB736_51:                             ;   in Loop: Header=BB736_24 Depth=2
	s_or_b32 exec_lo, exec_lo, s17
	s_mov_b32 s17, exec_lo
	v_cmpx_gt_u32_e64 s16, v81
	s_cbranch_execnz .LBB736_67
.LBB736_52:                             ;   in Loop: Header=BB736_24 Depth=2
	s_or_b32 exec_lo, exec_lo, s17
	s_mov_b32 s17, exec_lo
	v_cmpx_gt_u32_e64 s16, v82
	s_cbranch_execnz .LBB736_68
.LBB736_53:                             ;   in Loop: Header=BB736_24 Depth=2
	s_or_b32 exec_lo, exec_lo, s17
	s_mov_b32 s17, exec_lo
	v_cmpx_gt_u32_e64 s16, v83
	s_cbranch_execnz .LBB736_69
.LBB736_54:                             ;   in Loop: Header=BB736_24 Depth=2
	s_or_b32 exec_lo, exec_lo, s17
	s_mov_b32 s17, exec_lo
	v_cmpx_gt_u32_e64 s16, v84
	s_cbranch_execnz .LBB736_70
.LBB736_55:                             ;   in Loop: Header=BB736_24 Depth=2
	s_or_b32 exec_lo, exec_lo, s17
	s_mov_b32 s17, exec_lo
	v_cmpx_gt_u32_e64 s16, v85
	s_cbranch_execnz .LBB736_71
.LBB736_56:                             ;   in Loop: Header=BB736_24 Depth=2
	s_or_b32 exec_lo, exec_lo, s17
	s_mov_b32 s17, exec_lo
	v_cmpx_gt_u32_e64 s16, v86
	s_cbranch_execnz .LBB736_72
.LBB736_57:                             ;   in Loop: Header=BB736_24 Depth=2
	s_or_b32 exec_lo, exec_lo, s17
	s_mov_b32 s17, exec_lo
	v_cmpx_gt_u32_e64 s16, v87
	s_cbranch_execnz .LBB736_73
.LBB736_58:                             ;   in Loop: Header=BB736_24 Depth=2
	s_or_b32 exec_lo, exec_lo, s17
	s_mov_b32 s17, exec_lo
	v_cmpx_gt_u32_e64 s16, v88
	s_cbranch_execnz .LBB736_74
.LBB736_59:                             ;   in Loop: Header=BB736_24 Depth=2
	s_or_b32 exec_lo, exec_lo, s17
	s_mov_b32 s17, exec_lo
	v_cmpx_gt_u32_e64 s16, v89
	s_cbranch_execnz .LBB736_75
.LBB736_60:                             ;   in Loop: Header=BB736_24 Depth=2
	s_or_b32 exec_lo, exec_lo, s17
	v_cmp_gt_u32_e32 vcc_lo, s16, v90
	s_and_saveexec_b32 s16, vcc_lo
	s_cbranch_execz .LBB736_23
	s_branch .LBB736_76
.LBB736_61:                             ;   in Loop: Header=BB736_24 Depth=2
	v_xor_b32_e32 v38, 0x7fffffff, v36
	v_not_b32_e32 v37, v35
	v_lshrrev_b64 v[37:38], s47, v[37:38]
	v_and_b32_e32 v37, s63, v37
	v_lshl_or_b32 v37, v37, 4, v91
	ds_add_u32 v37, v119
	s_or_b32 exec_lo, exec_lo, s17
	s_mov_b32 s17, exec_lo
	v_cmpx_gt_u32_e64 s16, v74
	s_cbranch_execz .LBB736_47
.LBB736_62:                             ;   in Loop: Header=BB736_24 Depth=2
	v_xor_b32_e32 v38, 0x7fffffff, v34
	v_not_b32_e32 v37, v33
	v_lshrrev_b64 v[37:38], s47, v[37:38]
	v_and_b32_e32 v37, s63, v37
	v_lshl_or_b32 v37, v37, 4, v91
	ds_add_u32 v37, v119
	s_or_b32 exec_lo, exec_lo, s17
	s_mov_b32 s17, exec_lo
	v_cmpx_gt_u32_e64 s16, v77
	s_cbranch_execz .LBB736_48
.LBB736_63:                             ;   in Loop: Header=BB736_24 Depth=2
	v_xor_b32_e32 v38, 0x7fffffff, v32
	v_not_b32_e32 v37, v31
	v_lshrrev_b64 v[37:38], s47, v[37:38]
	v_and_b32_e32 v37, s63, v37
	v_lshl_or_b32 v37, v37, 4, v91
	ds_add_u32 v37, v119
	s_or_b32 exec_lo, exec_lo, s17
	s_mov_b32 s17, exec_lo
	v_cmpx_gt_u32_e64 s16, v78
	s_cbranch_execz .LBB736_49
.LBB736_64:                             ;   in Loop: Header=BB736_24 Depth=2
	v_xor_b32_e32 v38, 0x7fffffff, v30
	v_not_b32_e32 v37, v29
	v_lshrrev_b64 v[37:38], s47, v[37:38]
	v_and_b32_e32 v37, s63, v37
	v_lshl_or_b32 v37, v37, 4, v91
	ds_add_u32 v37, v119
	s_or_b32 exec_lo, exec_lo, s17
	s_mov_b32 s17, exec_lo
	v_cmpx_gt_u32_e64 s16, v79
	s_cbranch_execz .LBB736_50
.LBB736_65:                             ;   in Loop: Header=BB736_24 Depth=2
	v_xor_b32_e32 v38, 0x7fffffff, v28
	v_not_b32_e32 v37, v27
	v_lshrrev_b64 v[37:38], s47, v[37:38]
	v_and_b32_e32 v37, s63, v37
	v_lshl_or_b32 v37, v37, 4, v91
	ds_add_u32 v37, v119
	s_or_b32 exec_lo, exec_lo, s17
	s_mov_b32 s17, exec_lo
	v_cmpx_gt_u32_e64 s16, v80
	s_cbranch_execz .LBB736_51
.LBB736_66:                             ;   in Loop: Header=BB736_24 Depth=2
	v_xor_b32_e32 v38, 0x7fffffff, v26
	v_not_b32_e32 v37, v25
	v_lshrrev_b64 v[37:38], s47, v[37:38]
	v_and_b32_e32 v37, s63, v37
	v_lshl_or_b32 v37, v37, 4, v91
	ds_add_u32 v37, v119
	s_or_b32 exec_lo, exec_lo, s17
	s_mov_b32 s17, exec_lo
	v_cmpx_gt_u32_e64 s16, v81
	s_cbranch_execz .LBB736_52
.LBB736_67:                             ;   in Loop: Header=BB736_24 Depth=2
	v_xor_b32_e32 v38, 0x7fffffff, v24
	v_not_b32_e32 v37, v23
	v_lshrrev_b64 v[37:38], s47, v[37:38]
	v_and_b32_e32 v37, s63, v37
	v_lshl_or_b32 v37, v37, 4, v91
	ds_add_u32 v37, v119
	s_or_b32 exec_lo, exec_lo, s17
	s_mov_b32 s17, exec_lo
	v_cmpx_gt_u32_e64 s16, v82
	s_cbranch_execz .LBB736_53
.LBB736_68:                             ;   in Loop: Header=BB736_24 Depth=2
	v_xor_b32_e32 v38, 0x7fffffff, v22
	v_not_b32_e32 v37, v21
	v_lshrrev_b64 v[37:38], s47, v[37:38]
	v_and_b32_e32 v37, s63, v37
	v_lshl_or_b32 v37, v37, 4, v91
	ds_add_u32 v37, v119
	s_or_b32 exec_lo, exec_lo, s17
	s_mov_b32 s17, exec_lo
	v_cmpx_gt_u32_e64 s16, v83
	s_cbranch_execz .LBB736_54
.LBB736_69:                             ;   in Loop: Header=BB736_24 Depth=2
	v_xor_b32_e32 v38, 0x7fffffff, v20
	v_not_b32_e32 v37, v19
	v_lshrrev_b64 v[37:38], s47, v[37:38]
	v_and_b32_e32 v37, s63, v37
	v_lshl_or_b32 v37, v37, 4, v91
	ds_add_u32 v37, v119
	s_or_b32 exec_lo, exec_lo, s17
	s_mov_b32 s17, exec_lo
	v_cmpx_gt_u32_e64 s16, v84
	s_cbranch_execz .LBB736_55
.LBB736_70:                             ;   in Loop: Header=BB736_24 Depth=2
	v_xor_b32_e32 v38, 0x7fffffff, v18
	v_not_b32_e32 v37, v17
	v_lshrrev_b64 v[37:38], s47, v[37:38]
	v_and_b32_e32 v37, s63, v37
	v_lshl_or_b32 v37, v37, 4, v91
	ds_add_u32 v37, v119
	s_or_b32 exec_lo, exec_lo, s17
	s_mov_b32 s17, exec_lo
	v_cmpx_gt_u32_e64 s16, v85
	s_cbranch_execz .LBB736_56
.LBB736_71:                             ;   in Loop: Header=BB736_24 Depth=2
	v_xor_b32_e32 v38, 0x7fffffff, v16
	v_not_b32_e32 v37, v15
	v_lshrrev_b64 v[37:38], s47, v[37:38]
	v_and_b32_e32 v37, s63, v37
	v_lshl_or_b32 v37, v37, 4, v91
	ds_add_u32 v37, v119
	s_or_b32 exec_lo, exec_lo, s17
	s_mov_b32 s17, exec_lo
	v_cmpx_gt_u32_e64 s16, v86
	s_cbranch_execz .LBB736_57
.LBB736_72:                             ;   in Loop: Header=BB736_24 Depth=2
	v_xor_b32_e32 v38, 0x7fffffff, v14
	v_not_b32_e32 v37, v13
	v_lshrrev_b64 v[37:38], s47, v[37:38]
	v_and_b32_e32 v37, s63, v37
	v_lshl_or_b32 v37, v37, 4, v91
	ds_add_u32 v37, v119
	s_or_b32 exec_lo, exec_lo, s17
	s_mov_b32 s17, exec_lo
	v_cmpx_gt_u32_e64 s16, v87
	s_cbranch_execz .LBB736_58
.LBB736_73:                             ;   in Loop: Header=BB736_24 Depth=2
	v_xor_b32_e32 v38, 0x7fffffff, v12
	v_not_b32_e32 v37, v11
	v_lshrrev_b64 v[37:38], s47, v[37:38]
	v_and_b32_e32 v37, s63, v37
	v_lshl_or_b32 v37, v37, 4, v91
	ds_add_u32 v37, v119
	s_or_b32 exec_lo, exec_lo, s17
	s_mov_b32 s17, exec_lo
	v_cmpx_gt_u32_e64 s16, v88
	s_cbranch_execz .LBB736_59
.LBB736_74:                             ;   in Loop: Header=BB736_24 Depth=2
	v_xor_b32_e32 v38, 0x7fffffff, v10
	v_not_b32_e32 v37, v9
	v_lshrrev_b64 v[37:38], s47, v[37:38]
	v_and_b32_e32 v37, s63, v37
	v_lshl_or_b32 v37, v37, 4, v91
	ds_add_u32 v37, v119
	s_or_b32 exec_lo, exec_lo, s17
	s_mov_b32 s17, exec_lo
	v_cmpx_gt_u32_e64 s16, v89
	s_cbranch_execz .LBB736_60
.LBB736_75:                             ;   in Loop: Header=BB736_24 Depth=2
	v_xor_b32_e32 v38, 0x7fffffff, v8
	v_not_b32_e32 v37, v7
	v_lshrrev_b64 v[37:38], s47, v[37:38]
	v_and_b32_e32 v37, s63, v37
	v_lshl_or_b32 v37, v37, 4, v91
	ds_add_u32 v37, v119
	s_or_b32 exec_lo, exec_lo, s17
	v_cmp_gt_u32_e32 vcc_lo, s16, v90
	s_and_saveexec_b32 s16, vcc_lo
	s_cbranch_execz .LBB736_23
.LBB736_76:                             ;   in Loop: Header=BB736_24 Depth=2
	v_xor_b32_e32 v38, 0x7fffffff, v6
	v_not_b32_e32 v37, v5
	v_lshrrev_b64 v[37:38], s47, v[37:38]
	v_and_b32_e32 v37, s63, v37
	v_lshl_or_b32 v37, v37, 4, v91
	ds_add_u32 v37, v119
	s_branch .LBB736_23
.LBB736_77:                             ;   in Loop: Header=BB736_24 Depth=2
	global_load_dwordx2 v[35:36], v120, s[16:17]
	s_or_b32 exec_lo, exec_lo, s18
	s_mov_b32 s18, exec_lo
	v_cmpx_gt_u32_e64 s5, v74
	s_cbranch_execz .LBB736_29
.LBB736_78:                             ;   in Loop: Header=BB736_24 Depth=2
	global_load_dwordx2 v[33:34], v121, s[16:17]
	s_or_b32 exec_lo, exec_lo, s18
	s_mov_b32 s18, exec_lo
	v_cmpx_gt_u32_e64 s5, v77
	s_cbranch_execz .LBB736_30
.LBB736_79:                             ;   in Loop: Header=BB736_24 Depth=2
	global_load_dwordx2 v[31:32], v122, s[16:17]
	s_or_b32 exec_lo, exec_lo, s18
	s_mov_b32 s18, exec_lo
	v_cmpx_gt_u32_e64 s5, v78
	s_cbranch_execz .LBB736_31
.LBB736_80:                             ;   in Loop: Header=BB736_24 Depth=2
	global_load_dwordx2 v[29:30], v123, s[16:17]
	s_or_b32 exec_lo, exec_lo, s18
	s_mov_b32 s18, exec_lo
	v_cmpx_gt_u32_e64 s5, v79
	s_cbranch_execz .LBB736_32
.LBB736_81:                             ;   in Loop: Header=BB736_24 Depth=2
	global_load_dwordx2 v[27:28], v124, s[16:17]
	s_or_b32 exec_lo, exec_lo, s18
	s_mov_b32 s18, exec_lo
	v_cmpx_gt_u32_e64 s5, v80
	s_cbranch_execz .LBB736_33
.LBB736_82:                             ;   in Loop: Header=BB736_24 Depth=2
	global_load_dwordx2 v[25:26], v125, s[16:17]
	s_or_b32 exec_lo, exec_lo, s18
	s_mov_b32 s18, exec_lo
	v_cmpx_gt_u32_e64 s5, v81
	s_cbranch_execz .LBB736_34
.LBB736_83:                             ;   in Loop: Header=BB736_24 Depth=2
	v_lshlrev_b32_e32 v23, 3, v81
	global_load_dwordx2 v[23:24], v23, s[16:17]
	s_or_b32 exec_lo, exec_lo, s18
	s_mov_b32 s18, exec_lo
	v_cmpx_gt_u32_e64 s5, v82
	s_cbranch_execz .LBB736_35
.LBB736_84:                             ;   in Loop: Header=BB736_24 Depth=2
	v_lshlrev_b32_e32 v21, 3, v82
	global_load_dwordx2 v[21:22], v21, s[16:17]
	s_or_b32 exec_lo, exec_lo, s18
	s_mov_b32 s18, exec_lo
	v_cmpx_gt_u32_e64 s5, v83
	s_cbranch_execz .LBB736_36
.LBB736_85:                             ;   in Loop: Header=BB736_24 Depth=2
	v_lshlrev_b32_e32 v19, 3, v83
	global_load_dwordx2 v[19:20], v19, s[16:17]
	s_or_b32 exec_lo, exec_lo, s18
	s_mov_b32 s18, exec_lo
	v_cmpx_gt_u32_e64 s5, v84
	s_cbranch_execz .LBB736_37
.LBB736_86:                             ;   in Loop: Header=BB736_24 Depth=2
	v_lshlrev_b32_e32 v17, 3, v84
	global_load_dwordx2 v[17:18], v17, s[16:17]
	s_or_b32 exec_lo, exec_lo, s18
	s_mov_b32 s18, exec_lo
	v_cmpx_gt_u32_e64 s5, v85
	s_cbranch_execz .LBB736_38
.LBB736_87:                             ;   in Loop: Header=BB736_24 Depth=2
	v_lshlrev_b32_e32 v15, 3, v85
	global_load_dwordx2 v[15:16], v15, s[16:17]
	s_or_b32 exec_lo, exec_lo, s18
	s_mov_b32 s18, exec_lo
	v_cmpx_gt_u32_e64 s5, v86
	s_cbranch_execz .LBB736_39
.LBB736_88:                             ;   in Loop: Header=BB736_24 Depth=2
	v_lshlrev_b32_e32 v13, 3, v86
	global_load_dwordx2 v[13:14], v13, s[16:17]
	s_or_b32 exec_lo, exec_lo, s18
	s_mov_b32 s18, exec_lo
	v_cmpx_gt_u32_e64 s5, v87
	s_cbranch_execz .LBB736_40
.LBB736_89:                             ;   in Loop: Header=BB736_24 Depth=2
	v_lshlrev_b32_e32 v11, 3, v87
	global_load_dwordx2 v[11:12], v11, s[16:17]
	s_or_b32 exec_lo, exec_lo, s18
	s_mov_b32 s18, exec_lo
	v_cmpx_gt_u32_e64 s5, v88
	s_cbranch_execz .LBB736_41
.LBB736_90:                             ;   in Loop: Header=BB736_24 Depth=2
	v_lshlrev_b32_e32 v9, 3, v88
	global_load_dwordx2 v[9:10], v9, s[16:17]
	s_or_b32 exec_lo, exec_lo, s18
	s_mov_b32 s18, exec_lo
	v_cmpx_gt_u32_e64 s5, v89
	s_cbranch_execz .LBB736_42
.LBB736_91:                             ;   in Loop: Header=BB736_24 Depth=2
	v_lshlrev_b32_e32 v7, 3, v89
	global_load_dwordx2 v[7:8], v7, s[16:17]
	s_or_b32 exec_lo, exec_lo, s18
	s_mov_b32 s18, exec_lo
	v_cmpx_gt_u32_e64 s5, v90
	s_cbranch_execnz .LBB736_43
	s_branch .LBB736_44
.LBB736_92:                             ;   in Loop: Header=BB736_20 Depth=1
	v_mov_b32_e32 v5, 0
	s_waitcnt lgkmcnt(0)
	s_barrier
	buffer_gl0_inv
	s_and_saveexec_b32 s5, s8
	s_cbranch_execz .LBB736_94
; %bb.93:                               ;   in Loop: Header=BB736_20 Depth=1
	ds_read2_b64 v[5:8], v93 offset1:1
	s_waitcnt lgkmcnt(0)
	v_add_nc_u32_e32 v5, v6, v5
	v_add3_u32 v5, v5, v7, v8
.LBB736_94:                             ;   in Loop: Header=BB736_20 Depth=1
	s_or_b32 exec_lo, exec_lo, s5
	v_and_b32_e32 v6, 15, v126
	v_mov_b32_dpp v7, v5 row_shr:1 row_mask:0xf bank_mask:0xf
	v_and_b32_e32 v8, 16, v126
	v_cmp_eq_u32_e64 s5, 0, v6
	v_cmp_lt_u32_e64 s15, 1, v6
	v_cmp_lt_u32_e64 s16, 3, v6
	v_cmp_lt_u32_e64 s17, 7, v6
	v_cmp_eq_u32_e64 s18, 0, v8
	v_cndmask_b32_e64 v7, v7, 0, s5
	v_add_nc_u32_e32 v5, v7, v5
	v_mov_b32_dpp v7, v5 row_shr:2 row_mask:0xf bank_mask:0xf
	v_cndmask_b32_e64 v7, 0, v7, s15
	v_add_nc_u32_e32 v5, v5, v7
	v_mov_b32_dpp v7, v5 row_shr:4 row_mask:0xf bank_mask:0xf
	;; [unrolled: 3-line block ×3, first 2 shown]
	v_cndmask_b32_e64 v6, 0, v7, s17
	v_bfe_i32 v7, v126, 4, 1
	v_add_nc_u32_e32 v5, v5, v6
	ds_swizzle_b32 v6, v5 offset:swizzle(BROADCAST,32,15)
	s_waitcnt lgkmcnt(0)
	v_and_b32_e32 v6, v7, v6
	v_add_nc_u32_e32 v5, v5, v6
	s_and_saveexec_b32 s19, s9
; %bb.95:                               ;   in Loop: Header=BB736_20 Depth=1
	ds_write_b32 v94, v5
; %bb.96:                               ;   in Loop: Header=BB736_20 Depth=1
	s_or_b32 exec_lo, exec_lo, s19
	s_waitcnt lgkmcnt(0)
	s_barrier
	buffer_gl0_inv
	s_and_saveexec_b32 s19, s10
	s_cbranch_execz .LBB736_98
; %bb.97:                               ;   in Loop: Header=BB736_20 Depth=1
	ds_read_b32 v6, v95
	v_and_b32_e32 v7, 3, v126
	v_cmp_ne_u32_e32 vcc_lo, 0, v7
	s_waitcnt lgkmcnt(0)
	v_mov_b32_dpp v8, v6 row_shr:1 row_mask:0xf bank_mask:0xf
	v_cndmask_b32_e32 v8, 0, v8, vcc_lo
	v_cmp_lt_u32_e32 vcc_lo, 1, v7
	v_add_nc_u32_e32 v6, v8, v6
	v_mov_b32_dpp v8, v6 row_shr:2 row_mask:0xf bank_mask:0xf
	v_cndmask_b32_e32 v7, 0, v8, vcc_lo
	v_add_nc_u32_e32 v6, v6, v7
	ds_write_b32 v95, v6
.LBB736_98:                             ;   in Loop: Header=BB736_20 Depth=1
	s_or_b32 exec_lo, exec_lo, s19
	v_mov_b32_e32 v6, 0
	s_waitcnt lgkmcnt(0)
	s_barrier
	buffer_gl0_inv
	s_and_saveexec_b32 s19, s11
; %bb.99:                               ;   in Loop: Header=BB736_20 Depth=1
	ds_read_b32 v6, v96
; %bb.100:                              ;   in Loop: Header=BB736_20 Depth=1
	s_or_b32 exec_lo, exec_lo, s19
	v_sub_co_u32 v7, s19, v126, 1
	s_waitcnt lgkmcnt(0)
	v_add_nc_u32_e32 v5, v6, v5
	s_barrier
	v_cmp_gt_i32_e32 vcc_lo, 0, v7
	buffer_gl0_inv
	v_cndmask_b32_e32 v7, v7, v126, vcc_lo
	v_lshlrev_b32_e32 v127, 2, v7
	ds_bpermute_b32 v5, v127, v5
	s_and_saveexec_b32 s20, s8
	s_cbranch_execz .LBB736_102
; %bb.101:                              ;   in Loop: Header=BB736_20 Depth=1
	s_waitcnt lgkmcnt(0)
	v_cndmask_b32_e64 v5, v5, v6, s19
	v_add_nc_u32_e32 v5, s60, v5
	ds_write_b32 v73, v5
.LBB736_102:                            ;   in Loop: Header=BB736_20 Depth=1
	s_or_b32 exec_lo, exec_lo, s20
	s_clause 0x1
	s_load_dword s20, s[58:59], 0x4
	s_load_dword s23, s[58:59], 0xc
	v_and_b32_e32 v6, 7, v126
	v_lshlrev_b32_e32 v7, 3, v126
	v_or_b32_e32 v128, v126, v97
	s_mov_b32 s64, s62
	s_mov_b32 s56, s60
	v_cmp_lt_u32_e64 s22, 3, v6
	v_add_co_u32 v129, vcc_lo, v102, v7
	v_add_co_ci_u32_e64 v130, null, 0, v103, vcc_lo
	v_add_co_u32 v146, vcc_lo, v104, v7
	v_or_b32_e32 v131, 32, v128
	v_or_b32_e32 v132, 64, v128
	;; [unrolled: 1-line block ×6, first 2 shown]
	s_waitcnt lgkmcnt(0)
	s_cmp_lt_u32 s7, s20
	v_or_b32_e32 v137, 0xe0, v128
	s_cselect_b32 s20, 14, 20
	v_or_b32_e32 v138, 0x100, v128
	s_add_u32 s20, s58, s20
	s_addc_u32 s21, s59, 0
	s_and_b32 s23, s23, 0xffff
	global_load_ushort v5, v3, s[20:21]
	v_cmp_eq_u32_e64 s20, 0, v6
	v_cmp_lt_u32_e64 s21, 1, v6
	v_or_b32_e32 v139, 0x120, v128
	v_or_b32_e32 v140, 0x140, v128
	;; [unrolled: 1-line block ×7, first 2 shown]
	v_add_co_ci_u32_e64 v147, null, 0, v105, vcc_lo
                                        ; implicit-def: $vgpr7_vgpr8
                                        ; implicit-def: $vgpr9_vgpr10
                                        ; implicit-def: $vgpr11_vgpr12
                                        ; implicit-def: $vgpr13_vgpr14
                                        ; implicit-def: $vgpr17_vgpr18
                                        ; implicit-def: $vgpr21_vgpr22
                                        ; implicit-def: $vgpr25_vgpr26
                                        ; implicit-def: $vgpr15_vgpr16
                                        ; implicit-def: $vgpr19_vgpr20
                                        ; implicit-def: $vgpr23_vgpr24
                                        ; implicit-def: $vgpr27_vgpr28
                                        ; implicit-def: $vgpr29_vgpr30
                                        ; implicit-def: $vgpr31_vgpr32
                                        ; implicit-def: $vgpr33_vgpr34
                                        ; implicit-def: $vgpr35_vgpr36
                                        ; implicit-def: $vgpr149
                                        ; implicit-def: $vgpr150
                                        ; implicit-def: $vgpr151
                                        ; implicit-def: $vgpr152
                                        ; implicit-def: $vgpr153
                                        ; implicit-def: $vgpr154
                                        ; implicit-def: $vgpr155
                                        ; implicit-def: $vgpr156
                                        ; implicit-def: $vgpr157
                                        ; implicit-def: $vgpr158
                                        ; implicit-def: $vgpr159
                                        ; implicit-def: $vgpr160
                                        ; implicit-def: $vgpr161
                                        ; implicit-def: $vgpr162
                                        ; implicit-def: $vgpr164
                                        ; implicit-def: $vgpr165
                                        ; implicit-def: $vgpr163
                                        ; implicit-def: $vgpr166
	s_waitcnt vmcnt(0)
	v_mad_u32_u24 v5, v2, v5, v1
	v_mad_u64_u32 v[5:6], null, v5, s23, v[0:1]
	v_lshrrev_b32_e32 v5, 3, v5
	v_and_b32_e32 v148, 0x1ffffffc, v5
                                        ; implicit-def: $vgpr5_vgpr6
	s_branch .LBB736_104
.LBB736_103:                            ;   in Loop: Header=BB736_104 Depth=2
	s_or_b32 exec_lo, exec_lo, s23
	s_addk_i32 s64, 0xf000
	s_cmp_lt_u32 s65, s61
	s_mov_b32 s56, s65
	s_cbranch_scc0 .LBB736_314
.LBB736_104:                            ;   Parent Loop BB736_20 Depth=1
                                        ; =>  This Inner Loop Header: Depth=2
	s_add_i32 s65, s56, 0x1000
	s_cmp_gt_u32 s65, s61
	s_cbranch_scc1 .LBB736_106
; %bb.105:                              ;   in Loop: Header=BB736_104 Depth=2
	s_lshl_b64 s[24:25], s[56:57], 3
	s_mov_b32 s23, -1
	v_add_co_u32 v37, vcc_lo, v146, s24
	v_add_co_ci_u32_e64 v38, null, s25, v147, vcc_lo
	v_add_co_u32 v45, vcc_lo, 0x800, v37
	v_add_co_ci_u32_e64 v46, null, 0, v38, vcc_lo
	s_clause 0xe
	global_load_dwordx2 v[39:40], v[37:38], off
	global_load_dwordx2 v[41:42], v[37:38], off offset:256
	global_load_dwordx2 v[43:44], v[37:38], off offset:512
	;; [unrolled: 1-line block ×7, first 2 shown]
	global_load_dwordx2 v[67:68], v[45:46], off
	global_load_dwordx2 v[63:64], v[45:46], off offset:256
	global_load_dwordx2 v[59:60], v[45:46], off offset:512
	;; [unrolled: 1-line block ×6, first 2 shown]
	s_movk_i32 s24, 0x1000
	s_cbranch_execz .LBB736_107
	s_branch .LBB736_138
.LBB736_106:                            ;   in Loop: Header=BB736_104 Depth=2
	s_mov_b32 s23, 0
                                        ; implicit-def: $vgpr39_vgpr40
                                        ; implicit-def: $vgpr41_vgpr42
                                        ; implicit-def: $vgpr43_vgpr44
                                        ; implicit-def: $vgpr47_vgpr48
                                        ; implicit-def: $vgpr53_vgpr54
                                        ; implicit-def: $vgpr57_vgpr58
                                        ; implicit-def: $vgpr61_vgpr62
                                        ; implicit-def: $vgpr65_vgpr66
                                        ; implicit-def: $vgpr67_vgpr68
                                        ; implicit-def: $vgpr63_vgpr64
                                        ; implicit-def: $vgpr59_vgpr60
                                        ; implicit-def: $vgpr55_vgpr56
                                        ; implicit-def: $vgpr51_vgpr52
                                        ; implicit-def: $vgpr49_vgpr50
                                        ; implicit-def: $vgpr45_vgpr46
	s_movk_i32 s24, 0x1000
.LBB736_107:                            ;   in Loop: Header=BB736_104 Depth=2
	s_waitcnt vmcnt(13)
	v_mov_b32_e32 v41, v3
	v_mov_b32_e32 v42, v4
	s_lshl_b64 s[24:25], s[56:57], 3
	s_mov_b32 s23, exec_lo
	v_add_co_u32 v37, vcc_lo, v146, s24
	v_mov_b32_e32 v39, v41
	v_add_co_ci_u32_e64 v38, null, s25, v147, vcc_lo
	v_mov_b32_e32 v40, v42
	v_cmpx_gt_u32_e64 s64, v128
	s_cbranch_execz .LBB736_109
; %bb.108:                              ;   in Loop: Header=BB736_104 Depth=2
	global_load_dwordx2 v[39:40], v[37:38], off
.LBB736_109:                            ;   in Loop: Header=BB736_104 Depth=2
	s_or_b32 exec_lo, exec_lo, s23
	s_mov_b32 s23, exec_lo
	v_cmpx_gt_u32_e64 s64, v131
	s_cbranch_execz .LBB736_111
; %bb.110:                              ;   in Loop: Header=BB736_104 Depth=2
	global_load_dwordx2 v[41:42], v[37:38], off offset:256
.LBB736_111:                            ;   in Loop: Header=BB736_104 Depth=2
	s_or_b32 exec_lo, exec_lo, s23
	s_waitcnt vmcnt(12)
	v_mov_b32_e32 v44, v4
	v_mov_b32_e32 v43, v3
	s_mov_b32 s23, exec_lo
	v_cmpx_gt_u32_e64 s64, v132
	s_cbranch_execz .LBB736_113
; %bb.112:                              ;   in Loop: Header=BB736_104 Depth=2
	global_load_dwordx2 v[43:44], v[37:38], off offset:512
.LBB736_113:                            ;   in Loop: Header=BB736_104 Depth=2
	s_or_b32 exec_lo, exec_lo, s23
	s_waitcnt vmcnt(11)
	v_mov_b32_e32 v48, v4
	v_mov_b32_e32 v47, v3
	;; [unrolled: 10-line block ×7, first 2 shown]
	s_mov_b32 s23, exec_lo
	v_cmpx_gt_u32_e64 s64, v138
	s_cbranch_execz .LBB736_125
; %bb.124:                              ;   in Loop: Header=BB736_104 Depth=2
	s_waitcnt vmcnt(0)
	v_add_co_u32 v45, vcc_lo, 0x800, v37
	v_add_co_ci_u32_e64 v46, null, 0, v38, vcc_lo
	global_load_dwordx2 v[67:68], v[45:46], off
.LBB736_125:                            ;   in Loop: Header=BB736_104 Depth=2
	s_or_b32 exec_lo, exec_lo, s23
	s_waitcnt vmcnt(5)
	v_mov_b32_e32 v64, v4
	v_mov_b32_e32 v63, v3
	s_mov_b32 s23, exec_lo
	v_cmpx_gt_u32_e64 s64, v139
	s_cbranch_execz .LBB736_127
; %bb.126:                              ;   in Loop: Header=BB736_104 Depth=2
	s_waitcnt vmcnt(0)
	v_add_co_u32 v45, vcc_lo, 0x800, v37
	v_add_co_ci_u32_e64 v46, null, 0, v38, vcc_lo
	global_load_dwordx2 v[63:64], v[45:46], off offset:256
.LBB736_127:                            ;   in Loop: Header=BB736_104 Depth=2
	s_or_b32 exec_lo, exec_lo, s23
	s_waitcnt vmcnt(4)
	v_mov_b32_e32 v60, v4
	v_mov_b32_e32 v59, v3
	s_mov_b32 s23, exec_lo
	v_cmpx_gt_u32_e64 s64, v140
	s_cbranch_execz .LBB736_129
; %bb.128:                              ;   in Loop: Header=BB736_104 Depth=2
	s_waitcnt vmcnt(0)
	v_add_co_u32 v45, vcc_lo, 0x800, v37
	v_add_co_ci_u32_e64 v46, null, 0, v38, vcc_lo
	global_load_dwordx2 v[59:60], v[45:46], off offset:512
.LBB736_129:                            ;   in Loop: Header=BB736_104 Depth=2
	;; [unrolled: 13-line block ×5, first 2 shown]
	s_or_b32 exec_lo, exec_lo, s23
	s_waitcnt vmcnt(0)
	v_mov_b32_e32 v46, v4
	v_mov_b32_e32 v45, v3
	s_mov_b32 s23, exec_lo
	v_cmpx_gt_u32_e64 s64, v144
	s_cbranch_execz .LBB736_137
; %bb.136:                              ;   in Loop: Header=BB736_104 Depth=2
	v_add_co_u32 v37, vcc_lo, 0x800, v37
	v_add_co_ci_u32_e64 v38, null, 0, v38, vcc_lo
	global_load_dwordx2 v[45:46], v[37:38], off offset:1536
.LBB736_137:                            ;   in Loop: Header=BB736_104 Depth=2
	s_or_b32 exec_lo, exec_lo, s23
	v_cmp_gt_u32_e64 s23, s64, v145
	s_sub_i32 s24, s61, s56
.LBB736_138:                            ;   in Loop: Header=BB736_104 Depth=2
	v_mov_b32_e32 v37, -1
	v_mov_b32_e32 v38, -1
	v_mov_b32_e32 v167, s64
	s_and_saveexec_b32 s25, s23
	s_cbranch_execz .LBB736_140
; %bb.139:                              ;   in Loop: Header=BB736_104 Depth=2
	s_lshl_b64 s[26:27], s[56:57], 3
	v_mov_b32_e32 v167, s24
	v_add_co_u32 v37, vcc_lo, v146, s26
	v_add_co_ci_u32_e64 v38, null, s27, v147, vcc_lo
	v_add_co_u32 v37, vcc_lo, 0x800, v37
	v_add_co_ci_u32_e64 v38, null, 0, v38, vcc_lo
	global_load_dwordx2 v[37:38], v[37:38], off offset:1792
	s_waitcnt vmcnt(0)
	v_xor_b32_e32 v38, 0x7fffffff, v38
	v_not_b32_e32 v37, v37
.LBB736_140:                            ;   in Loop: Header=BB736_104 Depth=2
	s_or_b32 exec_lo, exec_lo, s25
	s_waitcnt vmcnt(14)
	v_xor_b32_e32 v40, 0x7fffffff, v40
	v_not_b32_e32 v39, v39
	ds_write2_b32 v98, v3, v3 offset0:136 offset1:137
	ds_write2_b32 v98, v3, v3 offset0:138 offset1:139
	ds_write_b32 v98, v3 offset:560
	s_waitcnt vmcnt(0) lgkmcnt(0)
	s_barrier
	v_lshrrev_b64 v[69:70], s47, v[39:40]
	buffer_gl0_inv
	; wave barrier
	v_and_b32_e32 v70, s63, v69
	v_and_b32_e32 v69, 1, v70
	v_lshlrev_b32_e32 v71, 30, v70
	v_lshlrev_b32_e32 v72, 29, v70
	;; [unrolled: 1-line block ×4, first 2 shown]
	v_add_co_u32 v69, s23, v69, -1
	v_cndmask_b32_e64 v168, 0, 1, s23
	v_not_b32_e32 v172, v71
	v_cmp_gt_i32_e64 s23, 0, v71
	v_not_b32_e32 v71, v72
	v_lshlrev_b32_e32 v171, 26, v70
	v_cmp_ne_u32_e32 vcc_lo, 0, v168
	v_ashrrev_i32_e32 v172, 31, v172
	v_lshlrev_b32_e32 v168, 25, v70
	v_ashrrev_i32_e32 v71, 31, v71
	v_mul_u32_u24_e32 v70, 36, v70
	v_xor_b32_e32 v69, vcc_lo, v69
	v_cmp_gt_i32_e32 vcc_lo, 0, v72
	v_not_b32_e32 v72, v169
	v_xor_b32_e32 v172, s23, v172
	v_cmp_gt_i32_e64 s23, 0, v169
	v_and_b32_e32 v69, exec_lo, v69
	v_not_b32_e32 v169, v170
	v_ashrrev_i32_e32 v72, 31, v72
	v_xor_b32_e32 v71, vcc_lo, v71
	v_cmp_gt_i32_e32 vcc_lo, 0, v170
	v_and_b32_e32 v69, v69, v172
	v_not_b32_e32 v170, v171
	v_ashrrev_i32_e32 v169, 31, v169
	v_xor_b32_e32 v72, s23, v72
	v_cmp_gt_i32_e64 s23, 0, v171
	v_and_b32_e32 v69, v69, v71
	v_not_b32_e32 v71, v168
	v_ashrrev_i32_e32 v170, 31, v170
	v_xor_b32_e32 v169, vcc_lo, v169
	v_cmp_gt_i32_e32 vcc_lo, 0, v168
	v_and_b32_e32 v69, v69, v72
	v_ashrrev_i32_e32 v71, 31, v71
	v_xor_b32_e32 v72, s23, v170
	v_and_b32_e32 v69, v69, v169
	v_xor_b32_e32 v71, vcc_lo, v71
	v_add_nc_u32_e32 v169, v148, v70
	v_and_b32_e32 v69, v69, v72
	v_and_b32_e32 v69, v69, v71
	v_mbcnt_lo_u32_b32 v168, v69, 0
	v_cmp_ne_u32_e64 s23, 0, v69
	v_cmp_eq_u32_e32 vcc_lo, 0, v168
	s_and_b32 s24, s23, vcc_lo
	s_and_saveexec_b32 s23, s24
; %bb.141:                              ;   in Loop: Header=BB736_104 Depth=2
	v_bcnt_u32_b32 v69, v69, 0
	ds_write_b32 v169, v69 offset:544
; %bb.142:                              ;   in Loop: Header=BB736_104 Depth=2
	s_or_b32 exec_lo, exec_lo, s23
	v_xor_b32_e32 v42, 0x7fffffff, v42
	v_not_b32_e32 v41, v41
	; wave barrier
	v_lshrrev_b64 v[69:70], s47, v[41:42]
	v_and_b32_e32 v70, s63, v69
	v_and_b32_e32 v69, 1, v70
	v_lshlrev_b32_e32 v71, 30, v70
	v_lshlrev_b32_e32 v72, 29, v70
	v_lshlrev_b32_e32 v171, 28, v70
	v_lshlrev_b32_e32 v172, 27, v70
	v_add_co_u32 v69, s23, v69, -1
	v_cndmask_b32_e64 v170, 0, 1, s23
	v_not_b32_e32 v174, v71
	v_cmp_gt_i32_e64 s23, 0, v71
	v_not_b32_e32 v71, v72
	v_lshlrev_b32_e32 v173, 26, v70
	v_cmp_ne_u32_e32 vcc_lo, 0, v170
	v_ashrrev_i32_e32 v174, 31, v174
	v_lshlrev_b32_e32 v170, 25, v70
	v_ashrrev_i32_e32 v71, 31, v71
	v_xor_b32_e32 v69, vcc_lo, v69
	v_cmp_gt_i32_e32 vcc_lo, 0, v72
	v_not_b32_e32 v72, v171
	v_xor_b32_e32 v174, s23, v174
	v_cmp_gt_i32_e64 s23, 0, v171
	v_and_b32_e32 v69, exec_lo, v69
	v_not_b32_e32 v171, v172
	v_ashrrev_i32_e32 v72, 31, v72
	v_xor_b32_e32 v71, vcc_lo, v71
	v_cmp_gt_i32_e32 vcc_lo, 0, v172
	v_and_b32_e32 v69, v69, v174
	v_not_b32_e32 v172, v173
	v_ashrrev_i32_e32 v171, 31, v171
	v_xor_b32_e32 v72, s23, v72
	v_cmp_gt_i32_e64 s23, 0, v173
	v_and_b32_e32 v69, v69, v71
	v_not_b32_e32 v71, v170
	v_ashrrev_i32_e32 v172, 31, v172
	v_xor_b32_e32 v171, vcc_lo, v171
	v_cmp_gt_i32_e32 vcc_lo, 0, v170
	v_and_b32_e32 v69, v69, v72
	v_ashrrev_i32_e32 v71, 31, v71
	v_xor_b32_e32 v72, s23, v172
	v_mad_u32_u24 v170, v70, 36, v148
	v_mul_u32_u24_e32 v70, 36, v70
	v_and_b32_e32 v69, v69, v171
	v_xor_b32_e32 v71, vcc_lo, v71
	ds_read_b32 v170, v170 offset:544
	v_add_nc_u32_e32 v172, v148, v70
	v_and_b32_e32 v69, v69, v72
	; wave barrier
	v_and_b32_e32 v69, v69, v71
	v_mbcnt_lo_u32_b32 v171, v69, 0
	v_cmp_ne_u32_e64 s23, 0, v69
	v_cmp_eq_u32_e32 vcc_lo, 0, v171
	s_and_b32 s24, s23, vcc_lo
	s_and_saveexec_b32 s23, s24
	s_cbranch_execz .LBB736_144
; %bb.143:                              ;   in Loop: Header=BB736_104 Depth=2
	s_waitcnt lgkmcnt(0)
	v_bcnt_u32_b32 v69, v69, v170
	ds_write_b32 v172, v69 offset:544
.LBB736_144:                            ;   in Loop: Header=BB736_104 Depth=2
	s_or_b32 exec_lo, exec_lo, s23
	v_xor_b32_e32 v44, 0x7fffffff, v44
	v_not_b32_e32 v43, v43
	; wave barrier
	v_lshrrev_b64 v[69:70], s47, v[43:44]
	v_and_b32_e32 v70, s63, v69
	v_and_b32_e32 v69, 1, v70
	v_lshlrev_b32_e32 v71, 30, v70
	v_lshlrev_b32_e32 v72, 29, v70
	v_lshlrev_b32_e32 v174, 28, v70
	v_lshlrev_b32_e32 v175, 27, v70
	v_add_co_u32 v69, s23, v69, -1
	v_cndmask_b32_e64 v173, 0, 1, s23
	v_not_b32_e32 v177, v71
	v_cmp_gt_i32_e64 s23, 0, v71
	v_not_b32_e32 v71, v72
	v_lshlrev_b32_e32 v176, 26, v70
	v_cmp_ne_u32_e32 vcc_lo, 0, v173
	v_ashrrev_i32_e32 v177, 31, v177
	v_lshlrev_b32_e32 v173, 25, v70
	v_ashrrev_i32_e32 v71, 31, v71
	v_xor_b32_e32 v69, vcc_lo, v69
	v_cmp_gt_i32_e32 vcc_lo, 0, v72
	v_not_b32_e32 v72, v174
	v_xor_b32_e32 v177, s23, v177
	v_cmp_gt_i32_e64 s23, 0, v174
	v_and_b32_e32 v69, exec_lo, v69
	v_not_b32_e32 v174, v175
	v_ashrrev_i32_e32 v72, 31, v72
	v_xor_b32_e32 v71, vcc_lo, v71
	v_cmp_gt_i32_e32 vcc_lo, 0, v175
	v_and_b32_e32 v69, v69, v177
	v_not_b32_e32 v175, v176
	v_ashrrev_i32_e32 v174, 31, v174
	v_xor_b32_e32 v72, s23, v72
	v_cmp_gt_i32_e64 s23, 0, v176
	v_and_b32_e32 v69, v69, v71
	v_not_b32_e32 v71, v173
	v_ashrrev_i32_e32 v175, 31, v175
	v_xor_b32_e32 v174, vcc_lo, v174
	v_cmp_gt_i32_e32 vcc_lo, 0, v173
	v_and_b32_e32 v69, v69, v72
	v_ashrrev_i32_e32 v71, 31, v71
	v_xor_b32_e32 v72, s23, v175
	v_mad_u32_u24 v173, v70, 36, v148
	v_mul_u32_u24_e32 v70, 36, v70
	v_and_b32_e32 v69, v69, v174
	v_xor_b32_e32 v71, vcc_lo, v71
	ds_read_b32 v173, v173 offset:544
	v_add_nc_u32_e32 v175, v148, v70
	v_and_b32_e32 v69, v69, v72
	; wave barrier
	v_and_b32_e32 v69, v69, v71
	v_mbcnt_lo_u32_b32 v174, v69, 0
	v_cmp_ne_u32_e64 s23, 0, v69
	v_cmp_eq_u32_e32 vcc_lo, 0, v174
	s_and_b32 s24, s23, vcc_lo
	s_and_saveexec_b32 s23, s24
	s_cbranch_execz .LBB736_146
; %bb.145:                              ;   in Loop: Header=BB736_104 Depth=2
	s_waitcnt lgkmcnt(0)
	v_bcnt_u32_b32 v69, v69, v173
	ds_write_b32 v175, v69 offset:544
.LBB736_146:                            ;   in Loop: Header=BB736_104 Depth=2
	;; [unrolled: 64-line block ×14, first 2 shown]
	s_or_b32 exec_lo, exec_lo, s23
	v_lshrrev_b64 v[69:70], s47, v[37:38]
	; wave barrier
	v_and_b32_e32 v70, s63, v69
	v_and_b32_e32 v69, 1, v70
	v_lshlrev_b32_e32 v71, 30, v70
	v_lshlrev_b32_e32 v72, 29, v70
	;; [unrolled: 1-line block ×4, first 2 shown]
	v_add_co_u32 v69, s23, v69, -1
	v_cndmask_b32_e64 v211, 0, 1, s23
	v_not_b32_e32 v216, v71
	v_cmp_gt_i32_e64 s23, 0, v71
	v_not_b32_e32 v71, v72
	v_lshlrev_b32_e32 v215, 26, v70
	v_cmp_ne_u32_e32 vcc_lo, 0, v211
	v_ashrrev_i32_e32 v216, 31, v216
	v_lshlrev_b32_e32 v211, 25, v70
	v_ashrrev_i32_e32 v71, 31, v71
	v_xor_b32_e32 v69, vcc_lo, v69
	v_cmp_gt_i32_e32 vcc_lo, 0, v72
	v_not_b32_e32 v72, v212
	v_xor_b32_e32 v216, s23, v216
	v_cmp_gt_i32_e64 s23, 0, v212
	v_and_b32_e32 v69, exec_lo, v69
	v_not_b32_e32 v212, v214
	v_ashrrev_i32_e32 v72, 31, v72
	v_xor_b32_e32 v71, vcc_lo, v71
	v_cmp_gt_i32_e32 vcc_lo, 0, v214
	v_and_b32_e32 v69, v69, v216
	v_not_b32_e32 v214, v215
	v_ashrrev_i32_e32 v212, 31, v212
	v_xor_b32_e32 v72, s23, v72
	v_cmp_gt_i32_e64 s23, 0, v215
	v_and_b32_e32 v69, v69, v71
	v_not_b32_e32 v71, v211
	v_ashrrev_i32_e32 v214, 31, v214
	v_xor_b32_e32 v212, vcc_lo, v212
	v_cmp_gt_i32_e32 vcc_lo, 0, v211
	v_and_b32_e32 v69, v69, v72
	v_ashrrev_i32_e32 v71, 31, v71
	v_xor_b32_e32 v72, s23, v214
	v_mad_u32_u24 v211, v70, 36, v148
	v_mul_u32_u24_e32 v70, 36, v70
	v_and_b32_e32 v69, v69, v212
	v_xor_b32_e32 v71, vcc_lo, v71
	ds_read_b32 v211, v211 offset:544
	v_add_nc_u32_e32 v214, v148, v70
	v_and_b32_e32 v69, v69, v72
	; wave barrier
	v_and_b32_e32 v69, v69, v71
	v_mbcnt_lo_u32_b32 v212, v69, 0
	v_cmp_ne_u32_e64 s23, 0, v69
	v_cmp_eq_u32_e32 vcc_lo, 0, v212
	s_and_b32 s24, s23, vcc_lo
	s_and_saveexec_b32 s23, s24
	s_cbranch_execz .LBB736_172
; %bb.171:                              ;   in Loop: Header=BB736_104 Depth=2
	s_waitcnt lgkmcnt(0)
	v_bcnt_u32_b32 v69, v69, v211
	ds_write_b32 v214, v69 offset:544
.LBB736_172:                            ;   in Loop: Header=BB736_104 Depth=2
	s_or_b32 exec_lo, exec_lo, s23
	; wave barrier
	s_waitcnt lgkmcnt(0)
	s_barrier
	buffer_gl0_inv
	ds_read2_b32 v[71:72], v98 offset0:136 offset1:137
	ds_read2_b32 v[69:70], v98 offset0:138 offset1:139
	ds_read_b32 v215, v98 offset:560
	s_waitcnt lgkmcnt(1)
	v_add3_u32 v216, v72, v71, v69
	s_waitcnt lgkmcnt(0)
	v_add3_u32 v215, v216, v70, v215
	v_mov_b32_dpp v216, v215 row_shr:1 row_mask:0xf bank_mask:0xf
	v_cndmask_b32_e64 v216, v216, 0, s5
	v_add_nc_u32_e32 v215, v216, v215
	v_mov_b32_dpp v216, v215 row_shr:2 row_mask:0xf bank_mask:0xf
	v_cndmask_b32_e64 v216, 0, v216, s15
	v_add_nc_u32_e32 v215, v215, v216
	;; [unrolled: 3-line block ×4, first 2 shown]
	ds_swizzle_b32 v216, v215 offset:swizzle(BROADCAST,32,15)
	s_waitcnt lgkmcnt(0)
	v_cndmask_b32_e64 v216, v216, 0, s18
	v_add_nc_u32_e32 v215, v215, v216
	s_and_saveexec_b32 s23, s4
; %bb.173:                              ;   in Loop: Header=BB736_104 Depth=2
	ds_write_b32 v92, v215 offset:512
; %bb.174:                              ;   in Loop: Header=BB736_104 Depth=2
	s_or_b32 exec_lo, exec_lo, s23
	s_waitcnt lgkmcnt(0)
	s_barrier
	buffer_gl0_inv
	s_and_saveexec_b32 s23, s12
	s_cbranch_execz .LBB736_176
; %bb.175:                              ;   in Loop: Header=BB736_104 Depth=2
	ds_read_b32 v216, v99 offset:512
	s_waitcnt lgkmcnt(0)
	v_mov_b32_dpp v217, v216 row_shr:1 row_mask:0xf bank_mask:0xf
	v_cndmask_b32_e64 v217, v217, 0, s20
	v_add_nc_u32_e32 v216, v217, v216
	v_mov_b32_dpp v217, v216 row_shr:2 row_mask:0xf bank_mask:0xf
	v_cndmask_b32_e64 v217, 0, v217, s21
	v_add_nc_u32_e32 v216, v216, v217
	;; [unrolled: 3-line block ×3, first 2 shown]
	ds_write_b32 v99, v216 offset:512
.LBB736_176:                            ;   in Loop: Header=BB736_104 Depth=2
	s_or_b32 exec_lo, exec_lo, s23
	v_mov_b32_e32 v216, 0
	s_waitcnt lgkmcnt(0)
	s_barrier
	buffer_gl0_inv
	s_and_saveexec_b32 s23, s11
; %bb.177:                              ;   in Loop: Header=BB736_104 Depth=2
	ds_read_b32 v216, v92 offset:508
; %bb.178:                              ;   in Loop: Header=BB736_104 Depth=2
	s_or_b32 exec_lo, exec_lo, s23
	s_waitcnt lgkmcnt(0)
	v_add_nc_u32_e32 v215, v216, v215
	ds_bpermute_b32 v215, v127, v215
	s_waitcnt lgkmcnt(0)
	v_cndmask_b32_e64 v215, v215, v216, s19
	v_cndmask_b32_e64 v215, v215, 0, s13
	v_add_nc_u32_e32 v71, v215, v71
	v_add_nc_u32_e32 v72, v71, v72
	;; [unrolled: 1-line block ×4, first 2 shown]
	ds_write2_b32 v98, v215, v71 offset0:136 offset1:137
	ds_write2_b32 v98, v72, v69 offset0:138 offset1:139
	ds_write_b32 v98, v70 offset:560
	s_waitcnt lgkmcnt(0)
	s_barrier
	buffer_gl0_inv
	ds_read_b32 v69, v169 offset:544
	ds_read_b32 v219, v172 offset:544
	;; [unrolled: 1-line block ×16, first 2 shown]
	s_and_saveexec_b32 s23, s8
	s_cbranch_execz .LBB736_182
; %bb.179:                              ;   in Loop: Header=BB736_104 Depth=2
	ds_read_b32 v163, v101 offset:544
	v_mov_b32_e32 v166, 0x1000
	s_and_saveexec_b32 s24, s14
; %bb.180:                              ;   in Loop: Header=BB736_104 Depth=2
	ds_read_b32 v166, v100 offset:544
; %bb.181:                              ;   in Loop: Header=BB736_104 Depth=2
	s_or_b32 exec_lo, exec_lo, s24
	s_waitcnt lgkmcnt(0)
	v_sub_nc_u32_e32 v166, v166, v163
.LBB736_182:                            ;   in Loop: Header=BB736_104 Depth=2
	s_or_b32 exec_lo, exec_lo, s23
	s_waitcnt lgkmcnt(0)
	s_barrier
	buffer_gl0_inv
	s_and_saveexec_b32 s23, s8
	s_cbranch_execz .LBB736_184
; %bb.183:                              ;   in Loop: Header=BB736_104 Depth=2
	ds_read_b32 v191, v73
	s_waitcnt lgkmcnt(0)
	v_sub_nc_u32_e32 v191, v191, v163
	ds_write_b32 v73, v191
.LBB736_184:                            ;   in Loop: Header=BB736_104 Depth=2
	s_or_b32 exec_lo, exec_lo, s23
	v_lshlrev_b32_e32 v168, 3, v168
	v_lshlrev_b32_e32 v171, 3, v171
	;; [unrolled: 1-line block ×5, first 2 shown]
	v_lshl_add_u32 v69, v69, 3, v168
	v_lshlrev_b32_e32 v168, 3, v173
	v_lshlrev_b32_e32 v173, 3, v70
	;; [unrolled: 1-line block ×3, first 2 shown]
	v_add3_u32 v70, v171, v170, v191
	ds_write_b64 v69, v[39:40] offset:512
	v_lshlrev_b32_e32 v40, 3, v176
	v_lshlrev_b32_e32 v170, 3, v218
	v_lshlrev_b32_e32 v171, 3, v180
	v_lshlrev_b32_e32 v176, 3, v179
	v_lshlrev_b32_e32 v179, 3, v217
	v_lshlrev_b32_e32 v180, 3, v183
	v_lshlrev_b32_e32 v182, 3, v182
	v_lshlrev_b32_e32 v183, 3, v216
	ds_write_b64 v70, v[41:42] offset:512
	v_add3_u32 v39, v174, v168, v173
	v_add3_u32 v40, v177, v40, v170
	v_add3_u32 v41, v171, v176, v179
	v_lshlrev_b32_e32 v168, 3, v186
	v_lshlrev_b32_e32 v170, 3, v185
	;; [unrolled: 1-line block ×3, first 2 shown]
	v_add3_u32 v42, v180, v182, v183
	ds_write_b64 v39, v[43:44] offset:512
	ds_write_b64 v40, v[47:48] offset:512
	;; [unrolled: 1-line block ×4, first 2 shown]
	v_lshlrev_b32_e32 v44, 3, v189
	v_add3_u32 v43, v168, v170, v171
	v_lshlrev_b32_e32 v47, 3, v188
	v_lshlrev_b32_e32 v48, 3, v187
	;; [unrolled: 1-line block ×11, first 2 shown]
	v_add3_u32 v44, v44, v47, v48
	v_add3_u32 v47, v53, v54, v57
	;; [unrolled: 1-line block ×3, first 2 shown]
	v_lshlrev_b32_e32 v54, 3, v200
	v_lshlrev_b32_e32 v57, 3, v199
	;; [unrolled: 1-line block ×3, first 2 shown]
	v_add3_u32 v53, v171, v173, v174
	ds_write_b64 v43, v[61:62] offset:512
	ds_write_b64 v44, v[65:66] offset:512
	;; [unrolled: 1-line block ×5, first 2 shown]
	v_lshlrev_b32_e32 v59, 3, v172
	v_add3_u32 v54, v54, v57, v58
	v_lshlrev_b32_e32 v57, 3, v203
	v_lshlrev_b32_e32 v58, 3, v202
	;; [unrolled: 1-line block ×11, first 2 shown]
	v_add3_u32 v57, v57, v58, v59
	v_add3_u32 v58, v60, v61, v62
	;; [unrolled: 1-line block ×3, first 2 shown]
	ds_write_b64 v54, v[55:56] offset:512
	v_add3_u32 v55, v66, v67, v68
	v_cmp_lt_u32_e32 vcc_lo, v0, v167
	ds_write_b64 v57, v[51:52] offset:512
	ds_write_b64 v58, v[49:50] offset:512
	;; [unrolled: 1-line block ×4, first 2 shown]
	s_waitcnt lgkmcnt(0)
	s_barrier
	buffer_gl0_inv
	s_and_saveexec_b32 s24, vcc_lo
	s_cbranch_execnz .LBB736_253
; %bb.185:                              ;   in Loop: Header=BB736_104 Depth=2
	s_or_b32 exec_lo, exec_lo, s24
	v_cmp_lt_u32_e64 s23, v74, v167
	s_and_saveexec_b32 s25, s23
	s_cbranch_execnz .LBB736_254
.LBB736_186:                            ;   in Loop: Header=BB736_104 Depth=2
	s_or_b32 exec_lo, exec_lo, s25
	v_cmp_lt_u32_e64 s24, v77, v167
	s_and_saveexec_b32 s26, s24
	s_cbranch_execnz .LBB736_255
.LBB736_187:                            ;   in Loop: Header=BB736_104 Depth=2
	s_or_b32 exec_lo, exec_lo, s26
	v_cmp_lt_u32_e64 s25, v78, v167
	s_and_saveexec_b32 s27, s25
	s_cbranch_execnz .LBB736_256
.LBB736_188:                            ;   in Loop: Header=BB736_104 Depth=2
	s_or_b32 exec_lo, exec_lo, s27
	v_cmp_lt_u32_e64 s26, v79, v167
	s_and_saveexec_b32 s28, s26
	s_cbranch_execnz .LBB736_257
.LBB736_189:                            ;   in Loop: Header=BB736_104 Depth=2
	s_or_b32 exec_lo, exec_lo, s28
	v_cmp_lt_u32_e64 s27, v80, v167
	s_and_saveexec_b32 s29, s27
	s_cbranch_execnz .LBB736_258
.LBB736_190:                            ;   in Loop: Header=BB736_104 Depth=2
	s_or_b32 exec_lo, exec_lo, s29
	v_cmp_lt_u32_e64 s28, v81, v167
	s_and_saveexec_b32 s30, s28
	s_cbranch_execnz .LBB736_259
.LBB736_191:                            ;   in Loop: Header=BB736_104 Depth=2
	s_or_b32 exec_lo, exec_lo, s30
	v_cmp_lt_u32_e64 s29, v82, v167
	s_and_saveexec_b32 s31, s29
	s_cbranch_execnz .LBB736_260
.LBB736_192:                            ;   in Loop: Header=BB736_104 Depth=2
	s_or_b32 exec_lo, exec_lo, s31
	v_cmp_lt_u32_e64 s30, v83, v167
	s_and_saveexec_b32 s33, s30
	s_cbranch_execnz .LBB736_261
.LBB736_193:                            ;   in Loop: Header=BB736_104 Depth=2
	s_or_b32 exec_lo, exec_lo, s33
	v_cmp_lt_u32_e64 s31, v84, v167
	s_and_saveexec_b32 s34, s31
	s_cbranch_execnz .LBB736_262
.LBB736_194:                            ;   in Loop: Header=BB736_104 Depth=2
	s_or_b32 exec_lo, exec_lo, s34
	v_cmp_lt_u32_e64 s33, v85, v167
	s_and_saveexec_b32 s35, s33
	s_cbranch_execnz .LBB736_263
.LBB736_195:                            ;   in Loop: Header=BB736_104 Depth=2
	s_or_b32 exec_lo, exec_lo, s35
	v_cmp_lt_u32_e64 s34, v86, v167
	s_and_saveexec_b32 s36, s34
	s_cbranch_execnz .LBB736_264
.LBB736_196:                            ;   in Loop: Header=BB736_104 Depth=2
	s_or_b32 exec_lo, exec_lo, s36
	v_cmp_lt_u32_e64 s35, v87, v167
	s_and_saveexec_b32 s37, s35
	s_cbranch_execnz .LBB736_265
.LBB736_197:                            ;   in Loop: Header=BB736_104 Depth=2
	s_or_b32 exec_lo, exec_lo, s37
	v_cmp_lt_u32_e64 s36, v88, v167
	s_and_saveexec_b32 s38, s36
	s_cbranch_execnz .LBB736_266
.LBB736_198:                            ;   in Loop: Header=BB736_104 Depth=2
	s_or_b32 exec_lo, exec_lo, s38
	v_cmp_lt_u32_e64 s37, v89, v167
	s_and_saveexec_b32 s39, s37
	s_cbranch_execnz .LBB736_267
.LBB736_199:                            ;   in Loop: Header=BB736_104 Depth=2
	s_or_b32 exec_lo, exec_lo, s39
	v_cmp_lt_u32_e64 s38, v90, v167
	s_and_saveexec_b32 s66, s38
	s_cbranch_execz .LBB736_201
.LBB736_200:                            ;   in Loop: Header=BB736_104 Depth=2
	ds_read_b64 v[37:38], v106 offset:31232
	s_waitcnt lgkmcnt(0)
	v_lshrrev_b64 v[45:46], s47, v[37:38]
	v_mov_b32_e32 v46, v3
	v_xor_b32_e32 v38, 0x7fffffff, v38
	v_not_b32_e32 v37, v37
	v_and_b32_e32 v45, s63, v45
	v_lshlrev_b32_e32 v45, 2, v45
	ds_read_b32 v45, v45
	s_waitcnt lgkmcnt(0)
	v_add_nc_u32_e32 v45, v45, v90
	v_lshlrev_b64 v[45:46], 3, v[45:46]
	v_add_co_u32 v45, s39, s42, v45
	v_add_co_ci_u32_e64 v46, null, s43, v46, s39
	global_store_dwordx2 v[45:46], v[37:38], off
.LBB736_201:                            ;   in Loop: Header=BB736_104 Depth=2
	s_or_b32 exec_lo, exec_lo, s66
	s_lshl_b64 s[66:67], s[56:57], 3
	v_add_co_u32 v37, s39, v129, s66
	v_add_co_ci_u32_e64 v38, null, s67, v130, s39
	v_cmp_lt_u32_e64 s39, v128, v167
	s_and_saveexec_b32 s56, s39
	s_xor_b32 s39, exec_lo, s56
	s_cbranch_execnz .LBB736_268
; %bb.202:                              ;   in Loop: Header=BB736_104 Depth=2
	s_or_b32 exec_lo, exec_lo, s39
	s_mov_b32 s56, exec_lo
	v_cmpx_lt_u32_e64 v131, v167
	s_cbranch_execnz .LBB736_269
.LBB736_203:                            ;   in Loop: Header=BB736_104 Depth=2
	s_or_b32 exec_lo, exec_lo, s56
	s_mov_b32 s56, exec_lo
	v_cmpx_lt_u32_e64 v132, v167
	s_cbranch_execnz .LBB736_270
.LBB736_204:                            ;   in Loop: Header=BB736_104 Depth=2
	s_or_b32 exec_lo, exec_lo, s56
	s_mov_b32 s56, exec_lo
	v_cmpx_lt_u32_e64 v133, v167
	s_cbranch_execnz .LBB736_271
.LBB736_205:                            ;   in Loop: Header=BB736_104 Depth=2
	s_or_b32 exec_lo, exec_lo, s56
	s_mov_b32 s56, exec_lo
	v_cmpx_lt_u32_e64 v134, v167
	s_cbranch_execnz .LBB736_272
.LBB736_206:                            ;   in Loop: Header=BB736_104 Depth=2
	s_or_b32 exec_lo, exec_lo, s56
	s_mov_b32 s56, exec_lo
	v_cmpx_lt_u32_e64 v135, v167
	s_cbranch_execnz .LBB736_273
.LBB736_207:                            ;   in Loop: Header=BB736_104 Depth=2
	s_or_b32 exec_lo, exec_lo, s56
	s_mov_b32 s56, exec_lo
	v_cmpx_lt_u32_e64 v136, v167
	s_cbranch_execnz .LBB736_274
.LBB736_208:                            ;   in Loop: Header=BB736_104 Depth=2
	s_or_b32 exec_lo, exec_lo, s56
	s_mov_b32 s56, exec_lo
	v_cmpx_lt_u32_e64 v137, v167
	s_cbranch_execnz .LBB736_275
.LBB736_209:                            ;   in Loop: Header=BB736_104 Depth=2
	s_or_b32 exec_lo, exec_lo, s56
	s_mov_b32 s56, exec_lo
	v_cmpx_lt_u32_e64 v138, v167
	s_cbranch_execnz .LBB736_276
.LBB736_210:                            ;   in Loop: Header=BB736_104 Depth=2
	s_or_b32 exec_lo, exec_lo, s56
	s_mov_b32 s56, exec_lo
	v_cmpx_lt_u32_e64 v139, v167
	s_cbranch_execnz .LBB736_277
.LBB736_211:                            ;   in Loop: Header=BB736_104 Depth=2
	s_or_b32 exec_lo, exec_lo, s56
	s_mov_b32 s56, exec_lo
	v_cmpx_lt_u32_e64 v140, v167
	s_cbranch_execnz .LBB736_278
.LBB736_212:                            ;   in Loop: Header=BB736_104 Depth=2
	s_or_b32 exec_lo, exec_lo, s56
	s_mov_b32 s56, exec_lo
	v_cmpx_lt_u32_e64 v141, v167
	s_cbranch_execnz .LBB736_279
.LBB736_213:                            ;   in Loop: Header=BB736_104 Depth=2
	s_or_b32 exec_lo, exec_lo, s56
	s_mov_b32 s56, exec_lo
	v_cmpx_lt_u32_e64 v142, v167
	s_cbranch_execnz .LBB736_280
.LBB736_214:                            ;   in Loop: Header=BB736_104 Depth=2
	s_or_b32 exec_lo, exec_lo, s56
	s_mov_b32 s56, exec_lo
	v_cmpx_lt_u32_e64 v143, v167
	s_cbranch_execnz .LBB736_281
.LBB736_215:                            ;   in Loop: Header=BB736_104 Depth=2
	s_or_b32 exec_lo, exec_lo, s56
	s_mov_b32 s56, exec_lo
	v_cmpx_lt_u32_e64 v144, v167
	s_cbranch_execnz .LBB736_282
.LBB736_216:                            ;   in Loop: Header=BB736_104 Depth=2
	s_or_b32 exec_lo, exec_lo, s56
	s_mov_b32 s56, exec_lo
	v_cmpx_lt_u32_e64 v145, v167
	s_cbranch_execnz .LBB736_283
.LBB736_217:                            ;   in Loop: Header=BB736_104 Depth=2
	s_or_b32 exec_lo, exec_lo, s56
	s_and_saveexec_b32 s39, vcc_lo
	s_cbranch_execnz .LBB736_284
.LBB736_218:                            ;   in Loop: Header=BB736_104 Depth=2
	s_or_b32 exec_lo, exec_lo, s39
	s_and_saveexec_b32 s39, s23
	s_cbranch_execnz .LBB736_285
.LBB736_219:                            ;   in Loop: Header=BB736_104 Depth=2
	s_or_b32 exec_lo, exec_lo, s39
	s_and_saveexec_b32 s39, s24
	s_cbranch_execnz .LBB736_286
.LBB736_220:                            ;   in Loop: Header=BB736_104 Depth=2
	s_or_b32 exec_lo, exec_lo, s39
	s_and_saveexec_b32 s39, s25
	s_cbranch_execnz .LBB736_287
.LBB736_221:                            ;   in Loop: Header=BB736_104 Depth=2
	s_or_b32 exec_lo, exec_lo, s39
	s_and_saveexec_b32 s39, s26
	s_cbranch_execnz .LBB736_288
.LBB736_222:                            ;   in Loop: Header=BB736_104 Depth=2
	s_or_b32 exec_lo, exec_lo, s39
	s_and_saveexec_b32 s39, s27
	s_cbranch_execnz .LBB736_289
.LBB736_223:                            ;   in Loop: Header=BB736_104 Depth=2
	s_or_b32 exec_lo, exec_lo, s39
	s_and_saveexec_b32 s39, s28
	s_cbranch_execnz .LBB736_290
.LBB736_224:                            ;   in Loop: Header=BB736_104 Depth=2
	s_or_b32 exec_lo, exec_lo, s39
	s_and_saveexec_b32 s39, s29
	s_cbranch_execnz .LBB736_291
.LBB736_225:                            ;   in Loop: Header=BB736_104 Depth=2
	s_or_b32 exec_lo, exec_lo, s39
	s_and_saveexec_b32 s39, s30
	s_cbranch_execnz .LBB736_292
.LBB736_226:                            ;   in Loop: Header=BB736_104 Depth=2
	s_or_b32 exec_lo, exec_lo, s39
	s_and_saveexec_b32 s39, s31
	s_cbranch_execnz .LBB736_293
.LBB736_227:                            ;   in Loop: Header=BB736_104 Depth=2
	s_or_b32 exec_lo, exec_lo, s39
	s_and_saveexec_b32 s39, s33
	s_cbranch_execnz .LBB736_294
.LBB736_228:                            ;   in Loop: Header=BB736_104 Depth=2
	s_or_b32 exec_lo, exec_lo, s39
	s_and_saveexec_b32 s39, s34
	s_cbranch_execnz .LBB736_295
.LBB736_229:                            ;   in Loop: Header=BB736_104 Depth=2
	s_or_b32 exec_lo, exec_lo, s39
	s_and_saveexec_b32 s39, s35
	s_cbranch_execnz .LBB736_296
.LBB736_230:                            ;   in Loop: Header=BB736_104 Depth=2
	s_or_b32 exec_lo, exec_lo, s39
	s_and_saveexec_b32 s39, s36
	s_cbranch_execnz .LBB736_297
.LBB736_231:                            ;   in Loop: Header=BB736_104 Depth=2
	s_or_b32 exec_lo, exec_lo, s39
	s_and_saveexec_b32 s39, s37
	s_cbranch_execnz .LBB736_298
.LBB736_232:                            ;   in Loop: Header=BB736_104 Depth=2
	s_or_b32 exec_lo, exec_lo, s39
	s_and_saveexec_b32 s39, s38
	s_cbranch_execz .LBB736_234
.LBB736_233:                            ;   in Loop: Header=BB736_104 Depth=2
	ds_read_b64 v[37:38], v106 offset:31232
	s_waitcnt lgkmcnt(0)
	v_lshrrev_b64 v[37:38], s47, v[37:38]
	v_and_b32_e32 v149, s63, v37
.LBB736_234:                            ;   in Loop: Header=BB736_104 Depth=2
	s_or_b32 exec_lo, exec_lo, s39
	s_waitcnt vmcnt(0)
	s_waitcnt_vscnt null, 0x0
	s_barrier
	buffer_gl0_inv
	ds_write_b64 v69, v[35:36] offset:512
	ds_write_b64 v70, v[33:34] offset:512
	;; [unrolled: 1-line block ×16, first 2 shown]
	s_waitcnt lgkmcnt(0)
	s_barrier
	buffer_gl0_inv
	s_and_saveexec_b32 s39, vcc_lo
	s_cbranch_execnz .LBB736_299
; %bb.235:                              ;   in Loop: Header=BB736_104 Depth=2
	s_or_b32 exec_lo, exec_lo, s39
	s_and_saveexec_b32 s39, s23
	s_cbranch_execnz .LBB736_300
.LBB736_236:                            ;   in Loop: Header=BB736_104 Depth=2
	s_or_b32 exec_lo, exec_lo, s39
	s_and_saveexec_b32 s23, s24
	s_cbranch_execnz .LBB736_301
.LBB736_237:                            ;   in Loop: Header=BB736_104 Depth=2
	s_or_b32 exec_lo, exec_lo, s23
	s_and_saveexec_b32 s23, s25
	s_cbranch_execnz .LBB736_302
.LBB736_238:                            ;   in Loop: Header=BB736_104 Depth=2
	s_or_b32 exec_lo, exec_lo, s23
	s_and_saveexec_b32 s23, s26
	s_cbranch_execnz .LBB736_303
.LBB736_239:                            ;   in Loop: Header=BB736_104 Depth=2
	s_or_b32 exec_lo, exec_lo, s23
	s_and_saveexec_b32 s23, s27
	s_cbranch_execnz .LBB736_304
.LBB736_240:                            ;   in Loop: Header=BB736_104 Depth=2
	s_or_b32 exec_lo, exec_lo, s23
	s_and_saveexec_b32 s23, s28
	s_cbranch_execnz .LBB736_305
.LBB736_241:                            ;   in Loop: Header=BB736_104 Depth=2
	s_or_b32 exec_lo, exec_lo, s23
	s_and_saveexec_b32 s23, s29
	s_cbranch_execnz .LBB736_306
.LBB736_242:                            ;   in Loop: Header=BB736_104 Depth=2
	s_or_b32 exec_lo, exec_lo, s23
	s_and_saveexec_b32 s23, s30
	s_cbranch_execnz .LBB736_307
.LBB736_243:                            ;   in Loop: Header=BB736_104 Depth=2
	s_or_b32 exec_lo, exec_lo, s23
	s_and_saveexec_b32 s23, s31
	s_cbranch_execnz .LBB736_308
.LBB736_244:                            ;   in Loop: Header=BB736_104 Depth=2
	s_or_b32 exec_lo, exec_lo, s23
	s_and_saveexec_b32 s23, s33
	s_cbranch_execnz .LBB736_309
.LBB736_245:                            ;   in Loop: Header=BB736_104 Depth=2
	s_or_b32 exec_lo, exec_lo, s23
	s_and_saveexec_b32 s23, s34
	s_cbranch_execnz .LBB736_310
.LBB736_246:                            ;   in Loop: Header=BB736_104 Depth=2
	s_or_b32 exec_lo, exec_lo, s23
	s_and_saveexec_b32 s23, s35
	s_cbranch_execnz .LBB736_311
.LBB736_247:                            ;   in Loop: Header=BB736_104 Depth=2
	s_or_b32 exec_lo, exec_lo, s23
	s_and_saveexec_b32 s23, s36
	s_cbranch_execnz .LBB736_312
.LBB736_248:                            ;   in Loop: Header=BB736_104 Depth=2
	s_or_b32 exec_lo, exec_lo, s23
	s_and_saveexec_b32 s23, s37
	s_cbranch_execnz .LBB736_313
.LBB736_249:                            ;   in Loop: Header=BB736_104 Depth=2
	s_or_b32 exec_lo, exec_lo, s23
	s_and_saveexec_b32 s23, s38
	s_cbranch_execz .LBB736_251
.LBB736_250:                            ;   in Loop: Header=BB736_104 Depth=2
	v_lshlrev_b32_e32 v37, 2, v149
	v_mov_b32_e32 v40, v3
	ds_read_b32 v39, v37
	ds_read_b64 v[37:38], v106 offset:31232
	s_waitcnt lgkmcnt(1)
	v_add_nc_u32_e32 v39, v39, v90
	v_lshlrev_b64 v[39:40], 3, v[39:40]
	v_add_co_u32 v39, vcc_lo, s48, v39
	v_add_co_ci_u32_e64 v40, null, s49, v40, vcc_lo
	s_waitcnt lgkmcnt(0)
	global_store_dwordx2 v[39:40], v[37:38], off
.LBB736_251:                            ;   in Loop: Header=BB736_104 Depth=2
	s_or_b32 exec_lo, exec_lo, s23
	s_waitcnt_vscnt null, 0x0
	s_barrier
	buffer_gl0_inv
	s_and_saveexec_b32 s23, s8
	s_cbranch_execz .LBB736_103
; %bb.252:                              ;   in Loop: Header=BB736_104 Depth=2
	ds_read_b32 v37, v73
	s_waitcnt lgkmcnt(0)
	v_add3_u32 v37, v163, v166, v37
	ds_write_b32 v73, v37
	s_branch .LBB736_103
.LBB736_253:                            ;   in Loop: Header=BB736_104 Depth=2
	ds_read_b64 v[37:38], v106 offset:512
	s_waitcnt lgkmcnt(0)
	v_lshrrev_b64 v[45:46], s47, v[37:38]
	v_mov_b32_e32 v46, v3
	v_xor_b32_e32 v38, 0x7fffffff, v38
	v_not_b32_e32 v37, v37
	v_and_b32_e32 v45, s63, v45
	v_lshlrev_b32_e32 v45, 2, v45
	ds_read_b32 v45, v45
	s_waitcnt lgkmcnt(0)
	v_add_nc_u32_e32 v45, v45, v0
	v_lshlrev_b64 v[45:46], 3, v[45:46]
	v_add_co_u32 v45, s23, s42, v45
	v_add_co_ci_u32_e64 v46, null, s43, v46, s23
	global_store_dwordx2 v[45:46], v[37:38], off
	s_or_b32 exec_lo, exec_lo, s24
	v_cmp_lt_u32_e64 s23, v74, v167
	s_and_saveexec_b32 s25, s23
	s_cbranch_execz .LBB736_186
.LBB736_254:                            ;   in Loop: Header=BB736_104 Depth=2
	ds_read_b64 v[37:38], v106 offset:2560
	s_waitcnt lgkmcnt(0)
	v_lshrrev_b64 v[45:46], s47, v[37:38]
	v_mov_b32_e32 v46, v3
	v_xor_b32_e32 v38, 0x7fffffff, v38
	v_not_b32_e32 v37, v37
	v_and_b32_e32 v45, s63, v45
	v_lshlrev_b32_e32 v45, 2, v45
	ds_read_b32 v45, v45
	s_waitcnt lgkmcnt(0)
	v_add_nc_u32_e32 v45, v45, v74
	v_lshlrev_b64 v[45:46], 3, v[45:46]
	v_add_co_u32 v45, s24, s42, v45
	v_add_co_ci_u32_e64 v46, null, s43, v46, s24
	global_store_dwordx2 v[45:46], v[37:38], off
	s_or_b32 exec_lo, exec_lo, s25
	v_cmp_lt_u32_e64 s24, v77, v167
	s_and_saveexec_b32 s26, s24
	s_cbranch_execz .LBB736_187
.LBB736_255:                            ;   in Loop: Header=BB736_104 Depth=2
	ds_read_b64 v[37:38], v106 offset:4608
	s_waitcnt lgkmcnt(0)
	v_lshrrev_b64 v[45:46], s47, v[37:38]
	v_mov_b32_e32 v46, v3
	v_xor_b32_e32 v38, 0x7fffffff, v38
	v_not_b32_e32 v37, v37
	v_and_b32_e32 v45, s63, v45
	v_lshlrev_b32_e32 v45, 2, v45
	ds_read_b32 v45, v45
	s_waitcnt lgkmcnt(0)
	v_add_nc_u32_e32 v45, v45, v77
	v_lshlrev_b64 v[45:46], 3, v[45:46]
	v_add_co_u32 v45, s25, s42, v45
	v_add_co_ci_u32_e64 v46, null, s43, v46, s25
	global_store_dwordx2 v[45:46], v[37:38], off
	s_or_b32 exec_lo, exec_lo, s26
	v_cmp_lt_u32_e64 s25, v78, v167
	s_and_saveexec_b32 s27, s25
	s_cbranch_execz .LBB736_188
.LBB736_256:                            ;   in Loop: Header=BB736_104 Depth=2
	ds_read_b64 v[37:38], v106 offset:6656
	s_waitcnt lgkmcnt(0)
	v_lshrrev_b64 v[45:46], s47, v[37:38]
	v_mov_b32_e32 v46, v3
	v_xor_b32_e32 v38, 0x7fffffff, v38
	v_not_b32_e32 v37, v37
	v_and_b32_e32 v45, s63, v45
	v_lshlrev_b32_e32 v45, 2, v45
	ds_read_b32 v45, v45
	s_waitcnt lgkmcnt(0)
	v_add_nc_u32_e32 v45, v45, v78
	v_lshlrev_b64 v[45:46], 3, v[45:46]
	v_add_co_u32 v45, s26, s42, v45
	v_add_co_ci_u32_e64 v46, null, s43, v46, s26
	global_store_dwordx2 v[45:46], v[37:38], off
	s_or_b32 exec_lo, exec_lo, s27
	v_cmp_lt_u32_e64 s26, v79, v167
	s_and_saveexec_b32 s28, s26
	s_cbranch_execz .LBB736_189
.LBB736_257:                            ;   in Loop: Header=BB736_104 Depth=2
	ds_read_b64 v[37:38], v106 offset:8704
	s_waitcnt lgkmcnt(0)
	v_lshrrev_b64 v[45:46], s47, v[37:38]
	v_mov_b32_e32 v46, v3
	v_xor_b32_e32 v38, 0x7fffffff, v38
	v_not_b32_e32 v37, v37
	v_and_b32_e32 v45, s63, v45
	v_lshlrev_b32_e32 v45, 2, v45
	ds_read_b32 v45, v45
	s_waitcnt lgkmcnt(0)
	v_add_nc_u32_e32 v45, v45, v79
	v_lshlrev_b64 v[45:46], 3, v[45:46]
	v_add_co_u32 v45, s27, s42, v45
	v_add_co_ci_u32_e64 v46, null, s43, v46, s27
	global_store_dwordx2 v[45:46], v[37:38], off
	s_or_b32 exec_lo, exec_lo, s28
	v_cmp_lt_u32_e64 s27, v80, v167
	s_and_saveexec_b32 s29, s27
	s_cbranch_execz .LBB736_190
.LBB736_258:                            ;   in Loop: Header=BB736_104 Depth=2
	ds_read_b64 v[37:38], v106 offset:10752
	s_waitcnt lgkmcnt(0)
	v_lshrrev_b64 v[45:46], s47, v[37:38]
	v_mov_b32_e32 v46, v3
	v_xor_b32_e32 v38, 0x7fffffff, v38
	v_not_b32_e32 v37, v37
	v_and_b32_e32 v45, s63, v45
	v_lshlrev_b32_e32 v45, 2, v45
	ds_read_b32 v45, v45
	s_waitcnt lgkmcnt(0)
	v_add_nc_u32_e32 v45, v45, v80
	v_lshlrev_b64 v[45:46], 3, v[45:46]
	v_add_co_u32 v45, s28, s42, v45
	v_add_co_ci_u32_e64 v46, null, s43, v46, s28
	global_store_dwordx2 v[45:46], v[37:38], off
	s_or_b32 exec_lo, exec_lo, s29
	v_cmp_lt_u32_e64 s28, v81, v167
	s_and_saveexec_b32 s30, s28
	s_cbranch_execz .LBB736_191
.LBB736_259:                            ;   in Loop: Header=BB736_104 Depth=2
	ds_read_b64 v[37:38], v106 offset:12800
	s_waitcnt lgkmcnt(0)
	v_lshrrev_b64 v[45:46], s47, v[37:38]
	v_mov_b32_e32 v46, v3
	v_xor_b32_e32 v38, 0x7fffffff, v38
	v_not_b32_e32 v37, v37
	v_and_b32_e32 v45, s63, v45
	v_lshlrev_b32_e32 v45, 2, v45
	ds_read_b32 v45, v45
	s_waitcnt lgkmcnt(0)
	v_add_nc_u32_e32 v45, v45, v81
	v_lshlrev_b64 v[45:46], 3, v[45:46]
	v_add_co_u32 v45, s29, s42, v45
	v_add_co_ci_u32_e64 v46, null, s43, v46, s29
	global_store_dwordx2 v[45:46], v[37:38], off
	s_or_b32 exec_lo, exec_lo, s30
	v_cmp_lt_u32_e64 s29, v82, v167
	s_and_saveexec_b32 s31, s29
	s_cbranch_execz .LBB736_192
.LBB736_260:                            ;   in Loop: Header=BB736_104 Depth=2
	ds_read_b64 v[37:38], v106 offset:14848
	s_waitcnt lgkmcnt(0)
	v_lshrrev_b64 v[45:46], s47, v[37:38]
	v_mov_b32_e32 v46, v3
	v_xor_b32_e32 v38, 0x7fffffff, v38
	v_not_b32_e32 v37, v37
	v_and_b32_e32 v45, s63, v45
	v_lshlrev_b32_e32 v45, 2, v45
	ds_read_b32 v45, v45
	s_waitcnt lgkmcnt(0)
	v_add_nc_u32_e32 v45, v45, v82
	v_lshlrev_b64 v[45:46], 3, v[45:46]
	v_add_co_u32 v45, s30, s42, v45
	v_add_co_ci_u32_e64 v46, null, s43, v46, s30
	global_store_dwordx2 v[45:46], v[37:38], off
	s_or_b32 exec_lo, exec_lo, s31
	v_cmp_lt_u32_e64 s30, v83, v167
	s_and_saveexec_b32 s33, s30
	s_cbranch_execz .LBB736_193
.LBB736_261:                            ;   in Loop: Header=BB736_104 Depth=2
	ds_read_b64 v[37:38], v106 offset:16896
	s_waitcnt lgkmcnt(0)
	v_lshrrev_b64 v[45:46], s47, v[37:38]
	v_mov_b32_e32 v46, v3
	v_xor_b32_e32 v38, 0x7fffffff, v38
	v_not_b32_e32 v37, v37
	v_and_b32_e32 v45, s63, v45
	v_lshlrev_b32_e32 v45, 2, v45
	ds_read_b32 v45, v45
	s_waitcnt lgkmcnt(0)
	v_add_nc_u32_e32 v45, v45, v83
	v_lshlrev_b64 v[45:46], 3, v[45:46]
	v_add_co_u32 v45, s31, s42, v45
	v_add_co_ci_u32_e64 v46, null, s43, v46, s31
	global_store_dwordx2 v[45:46], v[37:38], off
	s_or_b32 exec_lo, exec_lo, s33
	v_cmp_lt_u32_e64 s31, v84, v167
	s_and_saveexec_b32 s34, s31
	s_cbranch_execz .LBB736_194
.LBB736_262:                            ;   in Loop: Header=BB736_104 Depth=2
	ds_read_b64 v[37:38], v106 offset:18944
	s_waitcnt lgkmcnt(0)
	v_lshrrev_b64 v[45:46], s47, v[37:38]
	v_mov_b32_e32 v46, v3
	v_xor_b32_e32 v38, 0x7fffffff, v38
	v_not_b32_e32 v37, v37
	v_and_b32_e32 v45, s63, v45
	v_lshlrev_b32_e32 v45, 2, v45
	ds_read_b32 v45, v45
	s_waitcnt lgkmcnt(0)
	v_add_nc_u32_e32 v45, v45, v84
	v_lshlrev_b64 v[45:46], 3, v[45:46]
	v_add_co_u32 v45, s33, s42, v45
	v_add_co_ci_u32_e64 v46, null, s43, v46, s33
	global_store_dwordx2 v[45:46], v[37:38], off
	s_or_b32 exec_lo, exec_lo, s34
	v_cmp_lt_u32_e64 s33, v85, v167
	s_and_saveexec_b32 s35, s33
	s_cbranch_execz .LBB736_195
.LBB736_263:                            ;   in Loop: Header=BB736_104 Depth=2
	ds_read_b64 v[37:38], v106 offset:20992
	s_waitcnt lgkmcnt(0)
	v_lshrrev_b64 v[45:46], s47, v[37:38]
	v_mov_b32_e32 v46, v3
	v_xor_b32_e32 v38, 0x7fffffff, v38
	v_not_b32_e32 v37, v37
	v_and_b32_e32 v45, s63, v45
	v_lshlrev_b32_e32 v45, 2, v45
	ds_read_b32 v45, v45
	s_waitcnt lgkmcnt(0)
	v_add_nc_u32_e32 v45, v45, v85
	v_lshlrev_b64 v[45:46], 3, v[45:46]
	v_add_co_u32 v45, s34, s42, v45
	v_add_co_ci_u32_e64 v46, null, s43, v46, s34
	global_store_dwordx2 v[45:46], v[37:38], off
	s_or_b32 exec_lo, exec_lo, s35
	v_cmp_lt_u32_e64 s34, v86, v167
	s_and_saveexec_b32 s36, s34
	s_cbranch_execz .LBB736_196
.LBB736_264:                            ;   in Loop: Header=BB736_104 Depth=2
	ds_read_b64 v[37:38], v106 offset:23040
	s_waitcnt lgkmcnt(0)
	v_lshrrev_b64 v[45:46], s47, v[37:38]
	v_mov_b32_e32 v46, v3
	v_xor_b32_e32 v38, 0x7fffffff, v38
	v_not_b32_e32 v37, v37
	v_and_b32_e32 v45, s63, v45
	v_lshlrev_b32_e32 v45, 2, v45
	ds_read_b32 v45, v45
	s_waitcnt lgkmcnt(0)
	v_add_nc_u32_e32 v45, v45, v86
	v_lshlrev_b64 v[45:46], 3, v[45:46]
	v_add_co_u32 v45, s35, s42, v45
	v_add_co_ci_u32_e64 v46, null, s43, v46, s35
	global_store_dwordx2 v[45:46], v[37:38], off
	s_or_b32 exec_lo, exec_lo, s36
	v_cmp_lt_u32_e64 s35, v87, v167
	s_and_saveexec_b32 s37, s35
	s_cbranch_execz .LBB736_197
.LBB736_265:                            ;   in Loop: Header=BB736_104 Depth=2
	ds_read_b64 v[37:38], v106 offset:25088
	s_waitcnt lgkmcnt(0)
	v_lshrrev_b64 v[45:46], s47, v[37:38]
	v_mov_b32_e32 v46, v3
	v_xor_b32_e32 v38, 0x7fffffff, v38
	v_not_b32_e32 v37, v37
	v_and_b32_e32 v45, s63, v45
	v_lshlrev_b32_e32 v45, 2, v45
	ds_read_b32 v45, v45
	s_waitcnt lgkmcnt(0)
	v_add_nc_u32_e32 v45, v45, v87
	v_lshlrev_b64 v[45:46], 3, v[45:46]
	v_add_co_u32 v45, s36, s42, v45
	v_add_co_ci_u32_e64 v46, null, s43, v46, s36
	global_store_dwordx2 v[45:46], v[37:38], off
	s_or_b32 exec_lo, exec_lo, s37
	v_cmp_lt_u32_e64 s36, v88, v167
	s_and_saveexec_b32 s38, s36
	s_cbranch_execz .LBB736_198
.LBB736_266:                            ;   in Loop: Header=BB736_104 Depth=2
	ds_read_b64 v[37:38], v106 offset:27136
	s_waitcnt lgkmcnt(0)
	v_lshrrev_b64 v[45:46], s47, v[37:38]
	v_mov_b32_e32 v46, v3
	v_xor_b32_e32 v38, 0x7fffffff, v38
	v_not_b32_e32 v37, v37
	v_and_b32_e32 v45, s63, v45
	v_lshlrev_b32_e32 v45, 2, v45
	ds_read_b32 v45, v45
	s_waitcnt lgkmcnt(0)
	v_add_nc_u32_e32 v45, v45, v88
	v_lshlrev_b64 v[45:46], 3, v[45:46]
	v_add_co_u32 v45, s37, s42, v45
	v_add_co_ci_u32_e64 v46, null, s43, v46, s37
	global_store_dwordx2 v[45:46], v[37:38], off
	s_or_b32 exec_lo, exec_lo, s38
	v_cmp_lt_u32_e64 s37, v89, v167
	s_and_saveexec_b32 s39, s37
	s_cbranch_execz .LBB736_199
.LBB736_267:                            ;   in Loop: Header=BB736_104 Depth=2
	ds_read_b64 v[37:38], v106 offset:29184
	s_waitcnt lgkmcnt(0)
	v_lshrrev_b64 v[45:46], s47, v[37:38]
	v_mov_b32_e32 v46, v3
	v_xor_b32_e32 v38, 0x7fffffff, v38
	v_not_b32_e32 v37, v37
	v_and_b32_e32 v45, s63, v45
	v_lshlrev_b32_e32 v45, 2, v45
	ds_read_b32 v45, v45
	s_waitcnt lgkmcnt(0)
	v_add_nc_u32_e32 v45, v45, v89
	v_lshlrev_b64 v[45:46], 3, v[45:46]
	v_add_co_u32 v45, s38, s42, v45
	v_add_co_ci_u32_e64 v46, null, s43, v46, s38
	global_store_dwordx2 v[45:46], v[37:38], off
	s_or_b32 exec_lo, exec_lo, s39
	v_cmp_lt_u32_e64 s38, v90, v167
	s_and_saveexec_b32 s66, s38
	s_cbranch_execnz .LBB736_200
	s_branch .LBB736_201
.LBB736_268:                            ;   in Loop: Header=BB736_104 Depth=2
	global_load_dwordx2 v[35:36], v[37:38], off
	s_or_b32 exec_lo, exec_lo, s39
	s_mov_b32 s56, exec_lo
	v_cmpx_lt_u32_e64 v131, v167
	s_cbranch_execz .LBB736_203
.LBB736_269:                            ;   in Loop: Header=BB736_104 Depth=2
	global_load_dwordx2 v[33:34], v[37:38], off offset:256
	s_or_b32 exec_lo, exec_lo, s56
	s_mov_b32 s56, exec_lo
	v_cmpx_lt_u32_e64 v132, v167
	s_cbranch_execz .LBB736_204
.LBB736_270:                            ;   in Loop: Header=BB736_104 Depth=2
	global_load_dwordx2 v[31:32], v[37:38], off offset:512
	s_or_b32 exec_lo, exec_lo, s56
	s_mov_b32 s56, exec_lo
	v_cmpx_lt_u32_e64 v133, v167
	s_cbranch_execz .LBB736_205
.LBB736_271:                            ;   in Loop: Header=BB736_104 Depth=2
	global_load_dwordx2 v[29:30], v[37:38], off offset:768
	s_or_b32 exec_lo, exec_lo, s56
	s_mov_b32 s56, exec_lo
	v_cmpx_lt_u32_e64 v134, v167
	s_cbranch_execz .LBB736_206
.LBB736_272:                            ;   in Loop: Header=BB736_104 Depth=2
	global_load_dwordx2 v[27:28], v[37:38], off offset:1024
	s_or_b32 exec_lo, exec_lo, s56
	s_mov_b32 s56, exec_lo
	v_cmpx_lt_u32_e64 v135, v167
	s_cbranch_execz .LBB736_207
.LBB736_273:                            ;   in Loop: Header=BB736_104 Depth=2
	global_load_dwordx2 v[23:24], v[37:38], off offset:1280
	s_or_b32 exec_lo, exec_lo, s56
	s_mov_b32 s56, exec_lo
	v_cmpx_lt_u32_e64 v136, v167
	s_cbranch_execz .LBB736_208
.LBB736_274:                            ;   in Loop: Header=BB736_104 Depth=2
	global_load_dwordx2 v[19:20], v[37:38], off offset:1536
	s_or_b32 exec_lo, exec_lo, s56
	s_mov_b32 s56, exec_lo
	v_cmpx_lt_u32_e64 v137, v167
	s_cbranch_execz .LBB736_209
.LBB736_275:                            ;   in Loop: Header=BB736_104 Depth=2
	global_load_dwordx2 v[15:16], v[37:38], off offset:1792
	s_or_b32 exec_lo, exec_lo, s56
	s_mov_b32 s56, exec_lo
	v_cmpx_lt_u32_e64 v138, v167
	s_cbranch_execz .LBB736_210
.LBB736_276:                            ;   in Loop: Header=BB736_104 Depth=2
	v_add_co_u32 v25, s39, 0x800, v37
	v_add_co_ci_u32_e64 v26, null, 0, v38, s39
	global_load_dwordx2 v[25:26], v[25:26], off
	s_or_b32 exec_lo, exec_lo, s56
	s_mov_b32 s56, exec_lo
	v_cmpx_lt_u32_e64 v139, v167
	s_cbranch_execz .LBB736_211
.LBB736_277:                            ;   in Loop: Header=BB736_104 Depth=2
	v_add_co_u32 v21, s39, 0x800, v37
	v_add_co_ci_u32_e64 v22, null, 0, v38, s39
	global_load_dwordx2 v[21:22], v[21:22], off offset:256
	s_or_b32 exec_lo, exec_lo, s56
	s_mov_b32 s56, exec_lo
	v_cmpx_lt_u32_e64 v140, v167
	s_cbranch_execz .LBB736_212
.LBB736_278:                            ;   in Loop: Header=BB736_104 Depth=2
	v_add_co_u32 v17, s39, 0x800, v37
	v_add_co_ci_u32_e64 v18, null, 0, v38, s39
	global_load_dwordx2 v[17:18], v[17:18], off offset:512
	s_or_b32 exec_lo, exec_lo, s56
	s_mov_b32 s56, exec_lo
	v_cmpx_lt_u32_e64 v141, v167
	s_cbranch_execz .LBB736_213
.LBB736_279:                            ;   in Loop: Header=BB736_104 Depth=2
	v_add_co_u32 v13, s39, 0x800, v37
	v_add_co_ci_u32_e64 v14, null, 0, v38, s39
	global_load_dwordx2 v[13:14], v[13:14], off offset:768
	s_or_b32 exec_lo, exec_lo, s56
	s_mov_b32 s56, exec_lo
	v_cmpx_lt_u32_e64 v142, v167
	s_cbranch_execz .LBB736_214
.LBB736_280:                            ;   in Loop: Header=BB736_104 Depth=2
	v_add_co_u32 v11, s39, 0x800, v37
	v_add_co_ci_u32_e64 v12, null, 0, v38, s39
	global_load_dwordx2 v[11:12], v[11:12], off offset:1024
	s_or_b32 exec_lo, exec_lo, s56
	s_mov_b32 s56, exec_lo
	v_cmpx_lt_u32_e64 v143, v167
	s_cbranch_execz .LBB736_215
.LBB736_281:                            ;   in Loop: Header=BB736_104 Depth=2
	v_add_co_u32 v9, s39, 0x800, v37
	v_add_co_ci_u32_e64 v10, null, 0, v38, s39
	global_load_dwordx2 v[9:10], v[9:10], off offset:1280
	s_or_b32 exec_lo, exec_lo, s56
	s_mov_b32 s56, exec_lo
	v_cmpx_lt_u32_e64 v144, v167
	s_cbranch_execz .LBB736_216
.LBB736_282:                            ;   in Loop: Header=BB736_104 Depth=2
	v_add_co_u32 v7, s39, 0x800, v37
	v_add_co_ci_u32_e64 v8, null, 0, v38, s39
	global_load_dwordx2 v[7:8], v[7:8], off offset:1536
	s_or_b32 exec_lo, exec_lo, s56
	s_mov_b32 s56, exec_lo
	v_cmpx_lt_u32_e64 v145, v167
	s_cbranch_execz .LBB736_217
.LBB736_283:                            ;   in Loop: Header=BB736_104 Depth=2
	v_add_co_u32 v5, s39, 0x800, v37
	v_add_co_ci_u32_e64 v6, null, 0, v38, s39
	global_load_dwordx2 v[5:6], v[5:6], off offset:1792
	s_or_b32 exec_lo, exec_lo, s56
	s_and_saveexec_b32 s39, vcc_lo
	s_cbranch_execz .LBB736_218
.LBB736_284:                            ;   in Loop: Header=BB736_104 Depth=2
	ds_read_b64 v[37:38], v106 offset:512
	s_waitcnt lgkmcnt(0)
	v_lshrrev_b64 v[37:38], s47, v[37:38]
	v_and_b32_e32 v165, s63, v37
	s_or_b32 exec_lo, exec_lo, s39
	s_and_saveexec_b32 s39, s23
	s_cbranch_execz .LBB736_219
.LBB736_285:                            ;   in Loop: Header=BB736_104 Depth=2
	ds_read_b64 v[37:38], v106 offset:2560
	s_waitcnt lgkmcnt(0)
	v_lshrrev_b64 v[37:38], s47, v[37:38]
	v_and_b32_e32 v164, s63, v37
	s_or_b32 exec_lo, exec_lo, s39
	s_and_saveexec_b32 s39, s24
	s_cbranch_execz .LBB736_220
.LBB736_286:                            ;   in Loop: Header=BB736_104 Depth=2
	ds_read_b64 v[37:38], v106 offset:4608
	s_waitcnt lgkmcnt(0)
	v_lshrrev_b64 v[37:38], s47, v[37:38]
	v_and_b32_e32 v162, s63, v37
	s_or_b32 exec_lo, exec_lo, s39
	s_and_saveexec_b32 s39, s25
	s_cbranch_execz .LBB736_221
.LBB736_287:                            ;   in Loop: Header=BB736_104 Depth=2
	ds_read_b64 v[37:38], v106 offset:6656
	s_waitcnt lgkmcnt(0)
	v_lshrrev_b64 v[37:38], s47, v[37:38]
	v_and_b32_e32 v161, s63, v37
	s_or_b32 exec_lo, exec_lo, s39
	s_and_saveexec_b32 s39, s26
	s_cbranch_execz .LBB736_222
.LBB736_288:                            ;   in Loop: Header=BB736_104 Depth=2
	ds_read_b64 v[37:38], v106 offset:8704
	s_waitcnt lgkmcnt(0)
	v_lshrrev_b64 v[37:38], s47, v[37:38]
	v_and_b32_e32 v160, s63, v37
	s_or_b32 exec_lo, exec_lo, s39
	s_and_saveexec_b32 s39, s27
	s_cbranch_execz .LBB736_223
.LBB736_289:                            ;   in Loop: Header=BB736_104 Depth=2
	ds_read_b64 v[37:38], v106 offset:10752
	s_waitcnt lgkmcnt(0)
	v_lshrrev_b64 v[37:38], s47, v[37:38]
	v_and_b32_e32 v159, s63, v37
	s_or_b32 exec_lo, exec_lo, s39
	s_and_saveexec_b32 s39, s28
	s_cbranch_execz .LBB736_224
.LBB736_290:                            ;   in Loop: Header=BB736_104 Depth=2
	ds_read_b64 v[37:38], v106 offset:12800
	s_waitcnt lgkmcnt(0)
	v_lshrrev_b64 v[37:38], s47, v[37:38]
	v_and_b32_e32 v158, s63, v37
	s_or_b32 exec_lo, exec_lo, s39
	s_and_saveexec_b32 s39, s29
	s_cbranch_execz .LBB736_225
.LBB736_291:                            ;   in Loop: Header=BB736_104 Depth=2
	ds_read_b64 v[37:38], v106 offset:14848
	s_waitcnt lgkmcnt(0)
	v_lshrrev_b64 v[37:38], s47, v[37:38]
	v_and_b32_e32 v157, s63, v37
	s_or_b32 exec_lo, exec_lo, s39
	s_and_saveexec_b32 s39, s30
	s_cbranch_execz .LBB736_226
.LBB736_292:                            ;   in Loop: Header=BB736_104 Depth=2
	ds_read_b64 v[37:38], v106 offset:16896
	s_waitcnt lgkmcnt(0)
	v_lshrrev_b64 v[37:38], s47, v[37:38]
	v_and_b32_e32 v156, s63, v37
	s_or_b32 exec_lo, exec_lo, s39
	s_and_saveexec_b32 s39, s31
	s_cbranch_execz .LBB736_227
.LBB736_293:                            ;   in Loop: Header=BB736_104 Depth=2
	ds_read_b64 v[37:38], v106 offset:18944
	s_waitcnt lgkmcnt(0)
	v_lshrrev_b64 v[37:38], s47, v[37:38]
	v_and_b32_e32 v155, s63, v37
	s_or_b32 exec_lo, exec_lo, s39
	s_and_saveexec_b32 s39, s33
	s_cbranch_execz .LBB736_228
.LBB736_294:                            ;   in Loop: Header=BB736_104 Depth=2
	ds_read_b64 v[37:38], v106 offset:20992
	s_waitcnt lgkmcnt(0)
	v_lshrrev_b64 v[37:38], s47, v[37:38]
	v_and_b32_e32 v154, s63, v37
	s_or_b32 exec_lo, exec_lo, s39
	s_and_saveexec_b32 s39, s34
	s_cbranch_execz .LBB736_229
.LBB736_295:                            ;   in Loop: Header=BB736_104 Depth=2
	ds_read_b64 v[37:38], v106 offset:23040
	s_waitcnt lgkmcnt(0)
	v_lshrrev_b64 v[37:38], s47, v[37:38]
	v_and_b32_e32 v153, s63, v37
	s_or_b32 exec_lo, exec_lo, s39
	s_and_saveexec_b32 s39, s35
	s_cbranch_execz .LBB736_230
.LBB736_296:                            ;   in Loop: Header=BB736_104 Depth=2
	ds_read_b64 v[37:38], v106 offset:25088
	s_waitcnt lgkmcnt(0)
	v_lshrrev_b64 v[37:38], s47, v[37:38]
	v_and_b32_e32 v152, s63, v37
	s_or_b32 exec_lo, exec_lo, s39
	s_and_saveexec_b32 s39, s36
	s_cbranch_execz .LBB736_231
.LBB736_297:                            ;   in Loop: Header=BB736_104 Depth=2
	ds_read_b64 v[37:38], v106 offset:27136
	s_waitcnt lgkmcnt(0)
	v_lshrrev_b64 v[37:38], s47, v[37:38]
	v_and_b32_e32 v151, s63, v37
	s_or_b32 exec_lo, exec_lo, s39
	s_and_saveexec_b32 s39, s37
	s_cbranch_execz .LBB736_232
.LBB736_298:                            ;   in Loop: Header=BB736_104 Depth=2
	ds_read_b64 v[37:38], v106 offset:29184
	s_waitcnt lgkmcnt(0)
	v_lshrrev_b64 v[37:38], s47, v[37:38]
	v_and_b32_e32 v150, s63, v37
	s_or_b32 exec_lo, exec_lo, s39
	s_and_saveexec_b32 s39, s38
	s_cbranch_execnz .LBB736_233
	s_branch .LBB736_234
.LBB736_299:                            ;   in Loop: Header=BB736_104 Depth=2
	v_lshlrev_b32_e32 v37, 2, v165
	v_mov_b32_e32 v40, v3
	ds_read_b32 v39, v37
	ds_read_b64 v[37:38], v106 offset:512
	s_waitcnt lgkmcnt(1)
	v_add_nc_u32_e32 v39, v39, v0
	v_lshlrev_b64 v[39:40], 3, v[39:40]
	v_add_co_u32 v39, vcc_lo, s48, v39
	v_add_co_ci_u32_e64 v40, null, s49, v40, vcc_lo
	s_waitcnt lgkmcnt(0)
	global_store_dwordx2 v[39:40], v[37:38], off
	s_or_b32 exec_lo, exec_lo, s39
	s_and_saveexec_b32 s39, s23
	s_cbranch_execz .LBB736_236
.LBB736_300:                            ;   in Loop: Header=BB736_104 Depth=2
	v_lshlrev_b32_e32 v37, 2, v164
	v_mov_b32_e32 v40, v3
	ds_read_b32 v39, v37
	ds_read_b64 v[37:38], v106 offset:2560
	s_waitcnt lgkmcnt(1)
	v_add_nc_u32_e32 v39, v39, v74
	v_lshlrev_b64 v[39:40], 3, v[39:40]
	v_add_co_u32 v39, vcc_lo, s48, v39
	v_add_co_ci_u32_e64 v40, null, s49, v40, vcc_lo
	s_waitcnt lgkmcnt(0)
	global_store_dwordx2 v[39:40], v[37:38], off
	s_or_b32 exec_lo, exec_lo, s39
	s_and_saveexec_b32 s23, s24
	s_cbranch_execz .LBB736_237
.LBB736_301:                            ;   in Loop: Header=BB736_104 Depth=2
	v_lshlrev_b32_e32 v37, 2, v162
	v_mov_b32_e32 v40, v3
	ds_read_b32 v39, v37
	ds_read_b64 v[37:38], v106 offset:4608
	s_waitcnt lgkmcnt(1)
	v_add_nc_u32_e32 v39, v39, v77
	v_lshlrev_b64 v[39:40], 3, v[39:40]
	v_add_co_u32 v39, vcc_lo, s48, v39
	v_add_co_ci_u32_e64 v40, null, s49, v40, vcc_lo
	s_waitcnt lgkmcnt(0)
	global_store_dwordx2 v[39:40], v[37:38], off
	s_or_b32 exec_lo, exec_lo, s23
	s_and_saveexec_b32 s23, s25
	s_cbranch_execz .LBB736_238
.LBB736_302:                            ;   in Loop: Header=BB736_104 Depth=2
	v_lshlrev_b32_e32 v37, 2, v161
	v_mov_b32_e32 v40, v3
	ds_read_b32 v39, v37
	ds_read_b64 v[37:38], v106 offset:6656
	s_waitcnt lgkmcnt(1)
	v_add_nc_u32_e32 v39, v39, v78
	v_lshlrev_b64 v[39:40], 3, v[39:40]
	v_add_co_u32 v39, vcc_lo, s48, v39
	v_add_co_ci_u32_e64 v40, null, s49, v40, vcc_lo
	s_waitcnt lgkmcnt(0)
	global_store_dwordx2 v[39:40], v[37:38], off
	s_or_b32 exec_lo, exec_lo, s23
	s_and_saveexec_b32 s23, s26
	s_cbranch_execz .LBB736_239
.LBB736_303:                            ;   in Loop: Header=BB736_104 Depth=2
	v_lshlrev_b32_e32 v37, 2, v160
	v_mov_b32_e32 v40, v3
	ds_read_b32 v39, v37
	ds_read_b64 v[37:38], v106 offset:8704
	s_waitcnt lgkmcnt(1)
	v_add_nc_u32_e32 v39, v39, v79
	v_lshlrev_b64 v[39:40], 3, v[39:40]
	v_add_co_u32 v39, vcc_lo, s48, v39
	v_add_co_ci_u32_e64 v40, null, s49, v40, vcc_lo
	s_waitcnt lgkmcnt(0)
	global_store_dwordx2 v[39:40], v[37:38], off
	s_or_b32 exec_lo, exec_lo, s23
	s_and_saveexec_b32 s23, s27
	s_cbranch_execz .LBB736_240
.LBB736_304:                            ;   in Loop: Header=BB736_104 Depth=2
	v_lshlrev_b32_e32 v37, 2, v159
	v_mov_b32_e32 v40, v3
	ds_read_b32 v39, v37
	ds_read_b64 v[37:38], v106 offset:10752
	s_waitcnt lgkmcnt(1)
	v_add_nc_u32_e32 v39, v39, v80
	v_lshlrev_b64 v[39:40], 3, v[39:40]
	v_add_co_u32 v39, vcc_lo, s48, v39
	v_add_co_ci_u32_e64 v40, null, s49, v40, vcc_lo
	s_waitcnt lgkmcnt(0)
	global_store_dwordx2 v[39:40], v[37:38], off
	s_or_b32 exec_lo, exec_lo, s23
	s_and_saveexec_b32 s23, s28
	s_cbranch_execz .LBB736_241
.LBB736_305:                            ;   in Loop: Header=BB736_104 Depth=2
	v_lshlrev_b32_e32 v37, 2, v158
	v_mov_b32_e32 v40, v3
	ds_read_b32 v39, v37
	ds_read_b64 v[37:38], v106 offset:12800
	s_waitcnt lgkmcnt(1)
	v_add_nc_u32_e32 v39, v39, v81
	v_lshlrev_b64 v[39:40], 3, v[39:40]
	v_add_co_u32 v39, vcc_lo, s48, v39
	v_add_co_ci_u32_e64 v40, null, s49, v40, vcc_lo
	s_waitcnt lgkmcnt(0)
	global_store_dwordx2 v[39:40], v[37:38], off
	s_or_b32 exec_lo, exec_lo, s23
	s_and_saveexec_b32 s23, s29
	s_cbranch_execz .LBB736_242
.LBB736_306:                            ;   in Loop: Header=BB736_104 Depth=2
	v_lshlrev_b32_e32 v37, 2, v157
	v_mov_b32_e32 v40, v3
	ds_read_b32 v39, v37
	ds_read_b64 v[37:38], v106 offset:14848
	s_waitcnt lgkmcnt(1)
	v_add_nc_u32_e32 v39, v39, v82
	v_lshlrev_b64 v[39:40], 3, v[39:40]
	v_add_co_u32 v39, vcc_lo, s48, v39
	v_add_co_ci_u32_e64 v40, null, s49, v40, vcc_lo
	s_waitcnt lgkmcnt(0)
	global_store_dwordx2 v[39:40], v[37:38], off
	s_or_b32 exec_lo, exec_lo, s23
	s_and_saveexec_b32 s23, s30
	s_cbranch_execz .LBB736_243
.LBB736_307:                            ;   in Loop: Header=BB736_104 Depth=2
	v_lshlrev_b32_e32 v37, 2, v156
	v_mov_b32_e32 v40, v3
	ds_read_b32 v39, v37
	ds_read_b64 v[37:38], v106 offset:16896
	s_waitcnt lgkmcnt(1)
	v_add_nc_u32_e32 v39, v39, v83
	v_lshlrev_b64 v[39:40], 3, v[39:40]
	v_add_co_u32 v39, vcc_lo, s48, v39
	v_add_co_ci_u32_e64 v40, null, s49, v40, vcc_lo
	s_waitcnt lgkmcnt(0)
	global_store_dwordx2 v[39:40], v[37:38], off
	s_or_b32 exec_lo, exec_lo, s23
	s_and_saveexec_b32 s23, s31
	s_cbranch_execz .LBB736_244
.LBB736_308:                            ;   in Loop: Header=BB736_104 Depth=2
	v_lshlrev_b32_e32 v37, 2, v155
	v_mov_b32_e32 v40, v3
	ds_read_b32 v39, v37
	ds_read_b64 v[37:38], v106 offset:18944
	s_waitcnt lgkmcnt(1)
	v_add_nc_u32_e32 v39, v39, v84
	v_lshlrev_b64 v[39:40], 3, v[39:40]
	v_add_co_u32 v39, vcc_lo, s48, v39
	v_add_co_ci_u32_e64 v40, null, s49, v40, vcc_lo
	s_waitcnt lgkmcnt(0)
	global_store_dwordx2 v[39:40], v[37:38], off
	s_or_b32 exec_lo, exec_lo, s23
	s_and_saveexec_b32 s23, s33
	s_cbranch_execz .LBB736_245
.LBB736_309:                            ;   in Loop: Header=BB736_104 Depth=2
	v_lshlrev_b32_e32 v37, 2, v154
	v_mov_b32_e32 v40, v3
	ds_read_b32 v39, v37
	ds_read_b64 v[37:38], v106 offset:20992
	s_waitcnt lgkmcnt(1)
	v_add_nc_u32_e32 v39, v39, v85
	v_lshlrev_b64 v[39:40], 3, v[39:40]
	v_add_co_u32 v39, vcc_lo, s48, v39
	v_add_co_ci_u32_e64 v40, null, s49, v40, vcc_lo
	s_waitcnt lgkmcnt(0)
	global_store_dwordx2 v[39:40], v[37:38], off
	s_or_b32 exec_lo, exec_lo, s23
	s_and_saveexec_b32 s23, s34
	s_cbranch_execz .LBB736_246
.LBB736_310:                            ;   in Loop: Header=BB736_104 Depth=2
	v_lshlrev_b32_e32 v37, 2, v153
	v_mov_b32_e32 v40, v3
	ds_read_b32 v39, v37
	ds_read_b64 v[37:38], v106 offset:23040
	s_waitcnt lgkmcnt(1)
	v_add_nc_u32_e32 v39, v39, v86
	v_lshlrev_b64 v[39:40], 3, v[39:40]
	v_add_co_u32 v39, vcc_lo, s48, v39
	v_add_co_ci_u32_e64 v40, null, s49, v40, vcc_lo
	s_waitcnt lgkmcnt(0)
	global_store_dwordx2 v[39:40], v[37:38], off
	s_or_b32 exec_lo, exec_lo, s23
	s_and_saveexec_b32 s23, s35
	s_cbranch_execz .LBB736_247
.LBB736_311:                            ;   in Loop: Header=BB736_104 Depth=2
	v_lshlrev_b32_e32 v37, 2, v152
	v_mov_b32_e32 v40, v3
	ds_read_b32 v39, v37
	ds_read_b64 v[37:38], v106 offset:25088
	s_waitcnt lgkmcnt(1)
	v_add_nc_u32_e32 v39, v39, v87
	v_lshlrev_b64 v[39:40], 3, v[39:40]
	v_add_co_u32 v39, vcc_lo, s48, v39
	v_add_co_ci_u32_e64 v40, null, s49, v40, vcc_lo
	s_waitcnt lgkmcnt(0)
	global_store_dwordx2 v[39:40], v[37:38], off
	s_or_b32 exec_lo, exec_lo, s23
	s_and_saveexec_b32 s23, s36
	s_cbranch_execz .LBB736_248
.LBB736_312:                            ;   in Loop: Header=BB736_104 Depth=2
	v_lshlrev_b32_e32 v37, 2, v151
	v_mov_b32_e32 v40, v3
	ds_read_b32 v39, v37
	ds_read_b64 v[37:38], v106 offset:27136
	s_waitcnt lgkmcnt(1)
	v_add_nc_u32_e32 v39, v39, v88
	v_lshlrev_b64 v[39:40], 3, v[39:40]
	v_add_co_u32 v39, vcc_lo, s48, v39
	v_add_co_ci_u32_e64 v40, null, s49, v40, vcc_lo
	s_waitcnt lgkmcnt(0)
	global_store_dwordx2 v[39:40], v[37:38], off
	s_or_b32 exec_lo, exec_lo, s23
	s_and_saveexec_b32 s23, s37
	s_cbranch_execz .LBB736_249
.LBB736_313:                            ;   in Loop: Header=BB736_104 Depth=2
	v_lshlrev_b32_e32 v37, 2, v150
	v_mov_b32_e32 v40, v3
	ds_read_b32 v39, v37
	ds_read_b64 v[37:38], v106 offset:29184
	s_waitcnt lgkmcnt(1)
	v_add_nc_u32_e32 v39, v39, v89
	v_lshlrev_b64 v[39:40], 3, v[39:40]
	v_add_co_u32 v39, vcc_lo, s48, v39
	v_add_co_ci_u32_e64 v40, null, s49, v40, vcc_lo
	s_waitcnt lgkmcnt(0)
	global_store_dwordx2 v[39:40], v[37:38], off
	s_or_b32 exec_lo, exec_lo, s23
	s_and_saveexec_b32 s23, s38
	s_cbranch_execnz .LBB736_250
	s_branch .LBB736_251
.LBB736_314:                            ;   in Loop: Header=BB736_20 Depth=1
	s_waitcnt lgkmcnt(0)
	s_mov_b32 s5, 0
	s_barrier
.LBB736_315:                            ;   in Loop: Header=BB736_20 Depth=1
	s_and_b32 vcc_lo, exec_lo, s5
	s_cbranch_vccz .LBB736_609
; %bb.316:                              ;   in Loop: Header=BB736_20 Depth=1
	s_mov_b32 s5, s62
	s_mov_b32 s56, s60
	s_barrier
	buffer_gl0_inv
                                        ; implicit-def: $vgpr5_vgpr6
                                        ; implicit-def: $vgpr7_vgpr8
                                        ; implicit-def: $vgpr9_vgpr10
                                        ; implicit-def: $vgpr11_vgpr12
                                        ; implicit-def: $vgpr13_vgpr14
                                        ; implicit-def: $vgpr15_vgpr16
                                        ; implicit-def: $vgpr17_vgpr18
                                        ; implicit-def: $vgpr19_vgpr20
                                        ; implicit-def: $vgpr21_vgpr22
                                        ; implicit-def: $vgpr23_vgpr24
                                        ; implicit-def: $vgpr25_vgpr26
                                        ; implicit-def: $vgpr27_vgpr28
                                        ; implicit-def: $vgpr29_vgpr30
                                        ; implicit-def: $vgpr31_vgpr32
                                        ; implicit-def: $vgpr33_vgpr34
                                        ; implicit-def: $vgpr35_vgpr36
	s_branch .LBB736_318
.LBB736_317:                            ;   in Loop: Header=BB736_318 Depth=2
	s_or_b32 exec_lo, exec_lo, s16
	s_addk_i32 s5, 0xf000
	s_cmp_ge_u32 s15, s61
	s_mov_b32 s56, s15
	s_cbranch_scc1 .LBB736_386
.LBB736_318:                            ;   Parent Loop BB736_20 Depth=1
                                        ; =>  This Inner Loop Header: Depth=2
	s_add_i32 s15, s56, 0x1000
	s_mov_b32 s16, -1
	s_cmp_gt_u32 s15, s61
                                        ; implicit-def: $vgpr47_vgpr48
                                        ; implicit-def: $vgpr51_vgpr52
                                        ; implicit-def: $vgpr55_vgpr56
                                        ; implicit-def: $vgpr37_vgpr38
                                        ; implicit-def: $vgpr39_vgpr40
                                        ; implicit-def: $vgpr41_vgpr42
                                        ; implicit-def: $vgpr43_vgpr44
                                        ; implicit-def: $vgpr45_vgpr46
                                        ; implicit-def: $vgpr49_vgpr50
                                        ; implicit-def: $vgpr53_vgpr54
                                        ; implicit-def: $vgpr57_vgpr58
                                        ; implicit-def: $vgpr59_vgpr60
                                        ; implicit-def: $vgpr61_vgpr62
                                        ; implicit-def: $vgpr63_vgpr64
                                        ; implicit-def: $vgpr65_vgpr66
                                        ; implicit-def: $vgpr67_vgpr68
	s_cbranch_scc1 .LBB736_320
; %bb.319:                              ;   in Loop: Header=BB736_318 Depth=2
	s_lshl_b64 s[16:17], s[56:57], 3
	v_add_co_u32 v47, vcc_lo, v107, s16
	v_add_co_ci_u32_e64 v48, null, s17, v108, vcc_lo
	s_mov_b32 s16, 0
	v_add_co_u32 v55, vcc_lo, v47, 0x1000
	v_add_co_ci_u32_e64 v56, null, 0, v48, vcc_lo
	v_add_co_u32 v39, vcc_lo, v47, 0x2000
	v_add_co_ci_u32_e64 v40, null, 0, v48, vcc_lo
	;; [unrolled: 2-line block ×5, first 2 shown]
	s_clause 0x7
	global_load_dwordx2 v[37:38], v[39:40], off offset:-2048
	global_load_dwordx2 v[39:40], v[39:40], off
	global_load_dwordx2 v[41:42], v[43:44], off offset:-2048
	global_load_dwordx2 v[43:44], v[43:44], off
	;; [unrolled: 2-line block ×4, first 2 shown]
	v_add_co_u32 v51, vcc_lo, v47, 0x6000
	v_add_co_ci_u32_e64 v52, null, 0, v48, vcc_lo
	v_add_co_u32 v65, vcc_lo, v47, 0x7000
	v_add_co_ci_u32_e64 v66, null, 0, v48, vcc_lo
	;; [unrolled: 2-line block ×3, first 2 shown]
	s_clause 0x7
	global_load_dwordx2 v[59:60], v[51:52], off offset:-2048
	global_load_dwordx2 v[61:62], v[51:52], off
	global_load_dwordx2 v[63:64], v[65:66], off offset:-2048
	global_load_dwordx2 v[65:66], v[65:66], off
	global_load_dwordx2 v[47:48], v[47:48], off
	global_load_dwordx2 v[51:52], v[55:56], off offset:-2048
	global_load_dwordx2 v[55:56], v[55:56], off
	global_load_dwordx2 v[67:68], v[67:68], off
.LBB736_320:                            ;   in Loop: Header=BB736_318 Depth=2
	s_andn2_b32 vcc_lo, exec_lo, s16
	s_movk_i32 s16, 0x1000
	s_cbranch_vccnz .LBB736_339
; %bb.321:                              ;   in Loop: Header=BB736_318 Depth=2
	s_lshl_b64 s[16:17], s[56:57], 3
	s_mov_b32 s18, exec_lo
	s_add_u32 s16, s42, s16
	s_addc_u32 s17, s43, s17
	v_cmpx_gt_u32_e64 s5, v0
	s_cbranch_execnz .LBB736_371
; %bb.322:                              ;   in Loop: Header=BB736_318 Depth=2
	s_or_b32 exec_lo, exec_lo, s18
	s_mov_b32 s18, exec_lo
	v_cmpx_gt_u32_e64 s5, v74
	s_cbranch_execnz .LBB736_372
.LBB736_323:                            ;   in Loop: Header=BB736_318 Depth=2
	s_or_b32 exec_lo, exec_lo, s18
	s_mov_b32 s18, exec_lo
	v_cmpx_gt_u32_e64 s5, v77
	s_cbranch_execnz .LBB736_373
.LBB736_324:                            ;   in Loop: Header=BB736_318 Depth=2
	s_or_b32 exec_lo, exec_lo, s18
	s_mov_b32 s18, exec_lo
	v_cmpx_gt_u32_e64 s5, v78
	s_cbranch_execnz .LBB736_374
.LBB736_325:                            ;   in Loop: Header=BB736_318 Depth=2
	s_or_b32 exec_lo, exec_lo, s18
	s_mov_b32 s18, exec_lo
	v_cmpx_gt_u32_e64 s5, v79
	s_cbranch_execnz .LBB736_375
.LBB736_326:                            ;   in Loop: Header=BB736_318 Depth=2
	s_or_b32 exec_lo, exec_lo, s18
	s_mov_b32 s18, exec_lo
	v_cmpx_gt_u32_e64 s5, v80
	s_cbranch_execnz .LBB736_376
.LBB736_327:                            ;   in Loop: Header=BB736_318 Depth=2
	s_or_b32 exec_lo, exec_lo, s18
	s_mov_b32 s18, exec_lo
	v_cmpx_gt_u32_e64 s5, v81
	s_cbranch_execnz .LBB736_377
.LBB736_328:                            ;   in Loop: Header=BB736_318 Depth=2
	s_or_b32 exec_lo, exec_lo, s18
	s_mov_b32 s18, exec_lo
	v_cmpx_gt_u32_e64 s5, v82
	s_cbranch_execnz .LBB736_378
.LBB736_329:                            ;   in Loop: Header=BB736_318 Depth=2
	s_or_b32 exec_lo, exec_lo, s18
	s_mov_b32 s18, exec_lo
	v_cmpx_gt_u32_e64 s5, v83
	s_cbranch_execnz .LBB736_379
.LBB736_330:                            ;   in Loop: Header=BB736_318 Depth=2
	s_or_b32 exec_lo, exec_lo, s18
	s_mov_b32 s18, exec_lo
	v_cmpx_gt_u32_e64 s5, v84
	s_cbranch_execnz .LBB736_380
.LBB736_331:                            ;   in Loop: Header=BB736_318 Depth=2
	s_or_b32 exec_lo, exec_lo, s18
	s_mov_b32 s18, exec_lo
	v_cmpx_gt_u32_e64 s5, v85
	s_cbranch_execnz .LBB736_381
.LBB736_332:                            ;   in Loop: Header=BB736_318 Depth=2
	s_or_b32 exec_lo, exec_lo, s18
	s_mov_b32 s18, exec_lo
	v_cmpx_gt_u32_e64 s5, v86
	s_cbranch_execnz .LBB736_382
.LBB736_333:                            ;   in Loop: Header=BB736_318 Depth=2
	s_or_b32 exec_lo, exec_lo, s18
	s_mov_b32 s18, exec_lo
	v_cmpx_gt_u32_e64 s5, v87
	s_cbranch_execnz .LBB736_383
.LBB736_334:                            ;   in Loop: Header=BB736_318 Depth=2
	s_or_b32 exec_lo, exec_lo, s18
	s_mov_b32 s18, exec_lo
	v_cmpx_gt_u32_e64 s5, v88
	s_cbranch_execnz .LBB736_384
.LBB736_335:                            ;   in Loop: Header=BB736_318 Depth=2
	s_or_b32 exec_lo, exec_lo, s18
	s_mov_b32 s18, exec_lo
	v_cmpx_gt_u32_e64 s5, v89
	s_cbranch_execnz .LBB736_385
.LBB736_336:                            ;   in Loop: Header=BB736_318 Depth=2
	s_or_b32 exec_lo, exec_lo, s18
	s_mov_b32 s18, exec_lo
	v_cmpx_gt_u32_e64 s5, v90
	s_cbranch_execz .LBB736_338
.LBB736_337:                            ;   in Loop: Header=BB736_318 Depth=2
	v_lshlrev_b32_e32 v5, 3, v90
	global_load_dwordx2 v[5:6], v5, s[16:17]
.LBB736_338:                            ;   in Loop: Header=BB736_318 Depth=2
	s_or_b32 exec_lo, exec_lo, s18
	s_waitcnt vmcnt(0)
	v_mov_b32_e32 v48, v36
	v_mov_b32_e32 v52, v34
	;; [unrolled: 1-line block ×32, first 2 shown]
	s_mov_b32 s16, s5
.LBB736_339:                            ;   in Loop: Header=BB736_318 Depth=2
	s_waitcnt vmcnt(0)
	v_mov_b32_e32 v5, v67
	v_mov_b32_e32 v7, v65
	;; [unrolled: 1-line block ×32, first 2 shown]
	s_mov_b32 s17, exec_lo
	v_cmpx_gt_u32_e64 s16, v0
	s_cbranch_execnz .LBB736_355
; %bb.340:                              ;   in Loop: Header=BB736_318 Depth=2
	s_or_b32 exec_lo, exec_lo, s17
	s_mov_b32 s17, exec_lo
	v_cmpx_gt_u32_e64 s16, v74
	s_cbranch_execnz .LBB736_356
.LBB736_341:                            ;   in Loop: Header=BB736_318 Depth=2
	s_or_b32 exec_lo, exec_lo, s17
	s_mov_b32 s17, exec_lo
	v_cmpx_gt_u32_e64 s16, v77
	s_cbranch_execnz .LBB736_357
.LBB736_342:                            ;   in Loop: Header=BB736_318 Depth=2
	s_or_b32 exec_lo, exec_lo, s17
	s_mov_b32 s17, exec_lo
	v_cmpx_gt_u32_e64 s16, v78
	s_cbranch_execnz .LBB736_358
.LBB736_343:                            ;   in Loop: Header=BB736_318 Depth=2
	s_or_b32 exec_lo, exec_lo, s17
	s_mov_b32 s17, exec_lo
	v_cmpx_gt_u32_e64 s16, v79
	s_cbranch_execnz .LBB736_359
.LBB736_344:                            ;   in Loop: Header=BB736_318 Depth=2
	s_or_b32 exec_lo, exec_lo, s17
	s_mov_b32 s17, exec_lo
	v_cmpx_gt_u32_e64 s16, v80
	s_cbranch_execnz .LBB736_360
.LBB736_345:                            ;   in Loop: Header=BB736_318 Depth=2
	s_or_b32 exec_lo, exec_lo, s17
	s_mov_b32 s17, exec_lo
	v_cmpx_gt_u32_e64 s16, v81
	s_cbranch_execnz .LBB736_361
.LBB736_346:                            ;   in Loop: Header=BB736_318 Depth=2
	s_or_b32 exec_lo, exec_lo, s17
	s_mov_b32 s17, exec_lo
	v_cmpx_gt_u32_e64 s16, v82
	s_cbranch_execnz .LBB736_362
.LBB736_347:                            ;   in Loop: Header=BB736_318 Depth=2
	s_or_b32 exec_lo, exec_lo, s17
	s_mov_b32 s17, exec_lo
	v_cmpx_gt_u32_e64 s16, v83
	s_cbranch_execnz .LBB736_363
.LBB736_348:                            ;   in Loop: Header=BB736_318 Depth=2
	s_or_b32 exec_lo, exec_lo, s17
	s_mov_b32 s17, exec_lo
	v_cmpx_gt_u32_e64 s16, v84
	s_cbranch_execnz .LBB736_364
.LBB736_349:                            ;   in Loop: Header=BB736_318 Depth=2
	s_or_b32 exec_lo, exec_lo, s17
	s_mov_b32 s17, exec_lo
	v_cmpx_gt_u32_e64 s16, v85
	s_cbranch_execnz .LBB736_365
.LBB736_350:                            ;   in Loop: Header=BB736_318 Depth=2
	s_or_b32 exec_lo, exec_lo, s17
	s_mov_b32 s17, exec_lo
	v_cmpx_gt_u32_e64 s16, v86
	s_cbranch_execnz .LBB736_366
.LBB736_351:                            ;   in Loop: Header=BB736_318 Depth=2
	s_or_b32 exec_lo, exec_lo, s17
	s_mov_b32 s17, exec_lo
	v_cmpx_gt_u32_e64 s16, v87
	s_cbranch_execnz .LBB736_367
.LBB736_352:                            ;   in Loop: Header=BB736_318 Depth=2
	s_or_b32 exec_lo, exec_lo, s17
	s_mov_b32 s17, exec_lo
	v_cmpx_gt_u32_e64 s16, v88
	s_cbranch_execnz .LBB736_368
.LBB736_353:                            ;   in Loop: Header=BB736_318 Depth=2
	s_or_b32 exec_lo, exec_lo, s17
	s_mov_b32 s17, exec_lo
	v_cmpx_gt_u32_e64 s16, v89
	s_cbranch_execnz .LBB736_369
.LBB736_354:                            ;   in Loop: Header=BB736_318 Depth=2
	s_or_b32 exec_lo, exec_lo, s17
	v_cmp_gt_u32_e32 vcc_lo, s16, v90
	s_and_saveexec_b32 s16, vcc_lo
	s_cbranch_execz .LBB736_317
	s_branch .LBB736_370
.LBB736_355:                            ;   in Loop: Header=BB736_318 Depth=2
	v_xor_b32_e32 v38, 0x7fffffff, v36
	v_not_b32_e32 v37, v35
	v_lshrrev_b64 v[37:38], s47, v[37:38]
	v_and_b32_e32 v37, s63, v37
	v_lshl_or_b32 v37, v37, 4, v91
	ds_add_u32 v37, v119
	s_or_b32 exec_lo, exec_lo, s17
	s_mov_b32 s17, exec_lo
	v_cmpx_gt_u32_e64 s16, v74
	s_cbranch_execz .LBB736_341
.LBB736_356:                            ;   in Loop: Header=BB736_318 Depth=2
	v_xor_b32_e32 v38, 0x7fffffff, v34
	v_not_b32_e32 v37, v33
	v_lshrrev_b64 v[37:38], s47, v[37:38]
	v_and_b32_e32 v37, s63, v37
	v_lshl_or_b32 v37, v37, 4, v91
	ds_add_u32 v37, v119
	s_or_b32 exec_lo, exec_lo, s17
	s_mov_b32 s17, exec_lo
	v_cmpx_gt_u32_e64 s16, v77
	s_cbranch_execz .LBB736_342
.LBB736_357:                            ;   in Loop: Header=BB736_318 Depth=2
	v_xor_b32_e32 v38, 0x7fffffff, v32
	v_not_b32_e32 v37, v31
	v_lshrrev_b64 v[37:38], s47, v[37:38]
	v_and_b32_e32 v37, s63, v37
	v_lshl_or_b32 v37, v37, 4, v91
	ds_add_u32 v37, v119
	s_or_b32 exec_lo, exec_lo, s17
	s_mov_b32 s17, exec_lo
	v_cmpx_gt_u32_e64 s16, v78
	s_cbranch_execz .LBB736_343
.LBB736_358:                            ;   in Loop: Header=BB736_318 Depth=2
	v_xor_b32_e32 v38, 0x7fffffff, v30
	v_not_b32_e32 v37, v29
	v_lshrrev_b64 v[37:38], s47, v[37:38]
	v_and_b32_e32 v37, s63, v37
	v_lshl_or_b32 v37, v37, 4, v91
	ds_add_u32 v37, v119
	s_or_b32 exec_lo, exec_lo, s17
	s_mov_b32 s17, exec_lo
	v_cmpx_gt_u32_e64 s16, v79
	s_cbranch_execz .LBB736_344
.LBB736_359:                            ;   in Loop: Header=BB736_318 Depth=2
	v_xor_b32_e32 v38, 0x7fffffff, v28
	v_not_b32_e32 v37, v27
	v_lshrrev_b64 v[37:38], s47, v[37:38]
	v_and_b32_e32 v37, s63, v37
	v_lshl_or_b32 v37, v37, 4, v91
	ds_add_u32 v37, v119
	s_or_b32 exec_lo, exec_lo, s17
	s_mov_b32 s17, exec_lo
	v_cmpx_gt_u32_e64 s16, v80
	s_cbranch_execz .LBB736_345
.LBB736_360:                            ;   in Loop: Header=BB736_318 Depth=2
	v_xor_b32_e32 v38, 0x7fffffff, v26
	v_not_b32_e32 v37, v25
	v_lshrrev_b64 v[37:38], s47, v[37:38]
	v_and_b32_e32 v37, s63, v37
	v_lshl_or_b32 v37, v37, 4, v91
	ds_add_u32 v37, v119
	s_or_b32 exec_lo, exec_lo, s17
	s_mov_b32 s17, exec_lo
	v_cmpx_gt_u32_e64 s16, v81
	s_cbranch_execz .LBB736_346
.LBB736_361:                            ;   in Loop: Header=BB736_318 Depth=2
	v_xor_b32_e32 v38, 0x7fffffff, v24
	v_not_b32_e32 v37, v23
	v_lshrrev_b64 v[37:38], s47, v[37:38]
	v_and_b32_e32 v37, s63, v37
	v_lshl_or_b32 v37, v37, 4, v91
	ds_add_u32 v37, v119
	s_or_b32 exec_lo, exec_lo, s17
	s_mov_b32 s17, exec_lo
	v_cmpx_gt_u32_e64 s16, v82
	s_cbranch_execz .LBB736_347
.LBB736_362:                            ;   in Loop: Header=BB736_318 Depth=2
	v_xor_b32_e32 v38, 0x7fffffff, v22
	v_not_b32_e32 v37, v21
	v_lshrrev_b64 v[37:38], s47, v[37:38]
	v_and_b32_e32 v37, s63, v37
	v_lshl_or_b32 v37, v37, 4, v91
	ds_add_u32 v37, v119
	s_or_b32 exec_lo, exec_lo, s17
	s_mov_b32 s17, exec_lo
	v_cmpx_gt_u32_e64 s16, v83
	s_cbranch_execz .LBB736_348
.LBB736_363:                            ;   in Loop: Header=BB736_318 Depth=2
	v_xor_b32_e32 v38, 0x7fffffff, v20
	v_not_b32_e32 v37, v19
	v_lshrrev_b64 v[37:38], s47, v[37:38]
	v_and_b32_e32 v37, s63, v37
	v_lshl_or_b32 v37, v37, 4, v91
	ds_add_u32 v37, v119
	s_or_b32 exec_lo, exec_lo, s17
	s_mov_b32 s17, exec_lo
	v_cmpx_gt_u32_e64 s16, v84
	s_cbranch_execz .LBB736_349
.LBB736_364:                            ;   in Loop: Header=BB736_318 Depth=2
	v_xor_b32_e32 v38, 0x7fffffff, v18
	v_not_b32_e32 v37, v17
	v_lshrrev_b64 v[37:38], s47, v[37:38]
	v_and_b32_e32 v37, s63, v37
	v_lshl_or_b32 v37, v37, 4, v91
	ds_add_u32 v37, v119
	s_or_b32 exec_lo, exec_lo, s17
	s_mov_b32 s17, exec_lo
	v_cmpx_gt_u32_e64 s16, v85
	s_cbranch_execz .LBB736_350
.LBB736_365:                            ;   in Loop: Header=BB736_318 Depth=2
	v_xor_b32_e32 v38, 0x7fffffff, v16
	v_not_b32_e32 v37, v15
	v_lshrrev_b64 v[37:38], s47, v[37:38]
	v_and_b32_e32 v37, s63, v37
	v_lshl_or_b32 v37, v37, 4, v91
	ds_add_u32 v37, v119
	s_or_b32 exec_lo, exec_lo, s17
	s_mov_b32 s17, exec_lo
	v_cmpx_gt_u32_e64 s16, v86
	s_cbranch_execz .LBB736_351
.LBB736_366:                            ;   in Loop: Header=BB736_318 Depth=2
	v_xor_b32_e32 v38, 0x7fffffff, v14
	v_not_b32_e32 v37, v13
	v_lshrrev_b64 v[37:38], s47, v[37:38]
	v_and_b32_e32 v37, s63, v37
	v_lshl_or_b32 v37, v37, 4, v91
	ds_add_u32 v37, v119
	s_or_b32 exec_lo, exec_lo, s17
	s_mov_b32 s17, exec_lo
	v_cmpx_gt_u32_e64 s16, v87
	s_cbranch_execz .LBB736_352
.LBB736_367:                            ;   in Loop: Header=BB736_318 Depth=2
	v_xor_b32_e32 v38, 0x7fffffff, v12
	v_not_b32_e32 v37, v11
	v_lshrrev_b64 v[37:38], s47, v[37:38]
	v_and_b32_e32 v37, s63, v37
	v_lshl_or_b32 v37, v37, 4, v91
	ds_add_u32 v37, v119
	s_or_b32 exec_lo, exec_lo, s17
	s_mov_b32 s17, exec_lo
	v_cmpx_gt_u32_e64 s16, v88
	s_cbranch_execz .LBB736_353
.LBB736_368:                            ;   in Loop: Header=BB736_318 Depth=2
	v_xor_b32_e32 v38, 0x7fffffff, v10
	v_not_b32_e32 v37, v9
	v_lshrrev_b64 v[37:38], s47, v[37:38]
	v_and_b32_e32 v37, s63, v37
	v_lshl_or_b32 v37, v37, 4, v91
	ds_add_u32 v37, v119
	s_or_b32 exec_lo, exec_lo, s17
	s_mov_b32 s17, exec_lo
	v_cmpx_gt_u32_e64 s16, v89
	s_cbranch_execz .LBB736_354
.LBB736_369:                            ;   in Loop: Header=BB736_318 Depth=2
	v_xor_b32_e32 v38, 0x7fffffff, v8
	v_not_b32_e32 v37, v7
	v_lshrrev_b64 v[37:38], s47, v[37:38]
	v_and_b32_e32 v37, s63, v37
	v_lshl_or_b32 v37, v37, 4, v91
	ds_add_u32 v37, v119
	s_or_b32 exec_lo, exec_lo, s17
	v_cmp_gt_u32_e32 vcc_lo, s16, v90
	s_and_saveexec_b32 s16, vcc_lo
	s_cbranch_execz .LBB736_317
.LBB736_370:                            ;   in Loop: Header=BB736_318 Depth=2
	v_xor_b32_e32 v38, 0x7fffffff, v6
	v_not_b32_e32 v37, v5
	v_lshrrev_b64 v[37:38], s47, v[37:38]
	v_and_b32_e32 v37, s63, v37
	v_lshl_or_b32 v37, v37, 4, v91
	ds_add_u32 v37, v119
	s_branch .LBB736_317
.LBB736_371:                            ;   in Loop: Header=BB736_318 Depth=2
	global_load_dwordx2 v[35:36], v120, s[16:17]
	s_or_b32 exec_lo, exec_lo, s18
	s_mov_b32 s18, exec_lo
	v_cmpx_gt_u32_e64 s5, v74
	s_cbranch_execz .LBB736_323
.LBB736_372:                            ;   in Loop: Header=BB736_318 Depth=2
	global_load_dwordx2 v[33:34], v121, s[16:17]
	s_or_b32 exec_lo, exec_lo, s18
	s_mov_b32 s18, exec_lo
	v_cmpx_gt_u32_e64 s5, v77
	s_cbranch_execz .LBB736_324
.LBB736_373:                            ;   in Loop: Header=BB736_318 Depth=2
	global_load_dwordx2 v[31:32], v122, s[16:17]
	s_or_b32 exec_lo, exec_lo, s18
	s_mov_b32 s18, exec_lo
	v_cmpx_gt_u32_e64 s5, v78
	s_cbranch_execz .LBB736_325
.LBB736_374:                            ;   in Loop: Header=BB736_318 Depth=2
	global_load_dwordx2 v[29:30], v123, s[16:17]
	s_or_b32 exec_lo, exec_lo, s18
	s_mov_b32 s18, exec_lo
	v_cmpx_gt_u32_e64 s5, v79
	s_cbranch_execz .LBB736_326
.LBB736_375:                            ;   in Loop: Header=BB736_318 Depth=2
	global_load_dwordx2 v[27:28], v124, s[16:17]
	s_or_b32 exec_lo, exec_lo, s18
	s_mov_b32 s18, exec_lo
	v_cmpx_gt_u32_e64 s5, v80
	s_cbranch_execz .LBB736_327
.LBB736_376:                            ;   in Loop: Header=BB736_318 Depth=2
	global_load_dwordx2 v[25:26], v125, s[16:17]
	s_or_b32 exec_lo, exec_lo, s18
	s_mov_b32 s18, exec_lo
	v_cmpx_gt_u32_e64 s5, v81
	s_cbranch_execz .LBB736_328
.LBB736_377:                            ;   in Loop: Header=BB736_318 Depth=2
	v_lshlrev_b32_e32 v23, 3, v81
	global_load_dwordx2 v[23:24], v23, s[16:17]
	s_or_b32 exec_lo, exec_lo, s18
	s_mov_b32 s18, exec_lo
	v_cmpx_gt_u32_e64 s5, v82
	s_cbranch_execz .LBB736_329
.LBB736_378:                            ;   in Loop: Header=BB736_318 Depth=2
	v_lshlrev_b32_e32 v21, 3, v82
	global_load_dwordx2 v[21:22], v21, s[16:17]
	s_or_b32 exec_lo, exec_lo, s18
	s_mov_b32 s18, exec_lo
	v_cmpx_gt_u32_e64 s5, v83
	s_cbranch_execz .LBB736_330
.LBB736_379:                            ;   in Loop: Header=BB736_318 Depth=2
	v_lshlrev_b32_e32 v19, 3, v83
	global_load_dwordx2 v[19:20], v19, s[16:17]
	s_or_b32 exec_lo, exec_lo, s18
	s_mov_b32 s18, exec_lo
	v_cmpx_gt_u32_e64 s5, v84
	s_cbranch_execz .LBB736_331
.LBB736_380:                            ;   in Loop: Header=BB736_318 Depth=2
	v_lshlrev_b32_e32 v17, 3, v84
	global_load_dwordx2 v[17:18], v17, s[16:17]
	s_or_b32 exec_lo, exec_lo, s18
	s_mov_b32 s18, exec_lo
	v_cmpx_gt_u32_e64 s5, v85
	s_cbranch_execz .LBB736_332
.LBB736_381:                            ;   in Loop: Header=BB736_318 Depth=2
	v_lshlrev_b32_e32 v15, 3, v85
	global_load_dwordx2 v[15:16], v15, s[16:17]
	s_or_b32 exec_lo, exec_lo, s18
	s_mov_b32 s18, exec_lo
	v_cmpx_gt_u32_e64 s5, v86
	s_cbranch_execz .LBB736_333
.LBB736_382:                            ;   in Loop: Header=BB736_318 Depth=2
	v_lshlrev_b32_e32 v13, 3, v86
	global_load_dwordx2 v[13:14], v13, s[16:17]
	s_or_b32 exec_lo, exec_lo, s18
	s_mov_b32 s18, exec_lo
	v_cmpx_gt_u32_e64 s5, v87
	s_cbranch_execz .LBB736_334
.LBB736_383:                            ;   in Loop: Header=BB736_318 Depth=2
	v_lshlrev_b32_e32 v11, 3, v87
	global_load_dwordx2 v[11:12], v11, s[16:17]
	s_or_b32 exec_lo, exec_lo, s18
	s_mov_b32 s18, exec_lo
	v_cmpx_gt_u32_e64 s5, v88
	s_cbranch_execz .LBB736_335
.LBB736_384:                            ;   in Loop: Header=BB736_318 Depth=2
	v_lshlrev_b32_e32 v9, 3, v88
	global_load_dwordx2 v[9:10], v9, s[16:17]
	s_or_b32 exec_lo, exec_lo, s18
	s_mov_b32 s18, exec_lo
	v_cmpx_gt_u32_e64 s5, v89
	s_cbranch_execz .LBB736_336
.LBB736_385:                            ;   in Loop: Header=BB736_318 Depth=2
	v_lshlrev_b32_e32 v7, 3, v89
	global_load_dwordx2 v[7:8], v7, s[16:17]
	s_or_b32 exec_lo, exec_lo, s18
	s_mov_b32 s18, exec_lo
	v_cmpx_gt_u32_e64 s5, v90
	s_cbranch_execnz .LBB736_337
	s_branch .LBB736_338
.LBB736_386:                            ;   in Loop: Header=BB736_20 Depth=1
	v_mov_b32_e32 v5, 0
	s_waitcnt lgkmcnt(0)
	s_barrier
	buffer_gl0_inv
	s_and_saveexec_b32 s5, s8
	s_cbranch_execz .LBB736_388
; %bb.387:                              ;   in Loop: Header=BB736_20 Depth=1
	ds_read2_b64 v[5:8], v93 offset1:1
	s_waitcnt lgkmcnt(0)
	v_add_nc_u32_e32 v5, v6, v5
	v_add3_u32 v5, v5, v7, v8
.LBB736_388:                            ;   in Loop: Header=BB736_20 Depth=1
	s_or_b32 exec_lo, exec_lo, s5
	v_and_b32_e32 v6, 15, v126
	v_mov_b32_dpp v7, v5 row_shr:1 row_mask:0xf bank_mask:0xf
	v_and_b32_e32 v8, 16, v126
	v_cmp_eq_u32_e64 s5, 0, v6
	v_cmp_lt_u32_e64 s15, 1, v6
	v_cmp_lt_u32_e64 s16, 3, v6
	;; [unrolled: 1-line block ×3, first 2 shown]
	v_cmp_eq_u32_e64 s18, 0, v8
	v_cndmask_b32_e64 v7, v7, 0, s5
	v_add_nc_u32_e32 v5, v7, v5
	v_mov_b32_dpp v7, v5 row_shr:2 row_mask:0xf bank_mask:0xf
	v_cndmask_b32_e64 v7, 0, v7, s15
	v_add_nc_u32_e32 v5, v5, v7
	v_mov_b32_dpp v7, v5 row_shr:4 row_mask:0xf bank_mask:0xf
	v_cndmask_b32_e64 v7, 0, v7, s16
	v_add_nc_u32_e32 v5, v5, v7
	v_mov_b32_dpp v7, v5 row_shr:8 row_mask:0xf bank_mask:0xf
	v_cndmask_b32_e64 v6, 0, v7, s17
	v_bfe_i32 v7, v126, 4, 1
	v_add_nc_u32_e32 v5, v5, v6
	ds_swizzle_b32 v6, v5 offset:swizzle(BROADCAST,32,15)
	s_waitcnt lgkmcnt(0)
	v_and_b32_e32 v6, v7, v6
	v_add_nc_u32_e32 v5, v5, v6
	s_and_saveexec_b32 s19, s9
; %bb.389:                              ;   in Loop: Header=BB736_20 Depth=1
	ds_write_b32 v94, v5
; %bb.390:                              ;   in Loop: Header=BB736_20 Depth=1
	s_or_b32 exec_lo, exec_lo, s19
	s_waitcnt lgkmcnt(0)
	s_barrier
	buffer_gl0_inv
	s_and_saveexec_b32 s19, s10
	s_cbranch_execz .LBB736_392
; %bb.391:                              ;   in Loop: Header=BB736_20 Depth=1
	ds_read_b32 v6, v95
	v_and_b32_e32 v7, 3, v126
	v_cmp_ne_u32_e32 vcc_lo, 0, v7
	s_waitcnt lgkmcnt(0)
	v_mov_b32_dpp v8, v6 row_shr:1 row_mask:0xf bank_mask:0xf
	v_cndmask_b32_e32 v8, 0, v8, vcc_lo
	v_cmp_lt_u32_e32 vcc_lo, 1, v7
	v_add_nc_u32_e32 v6, v8, v6
	v_mov_b32_dpp v8, v6 row_shr:2 row_mask:0xf bank_mask:0xf
	v_cndmask_b32_e32 v7, 0, v8, vcc_lo
	v_add_nc_u32_e32 v6, v6, v7
	ds_write_b32 v95, v6
.LBB736_392:                            ;   in Loop: Header=BB736_20 Depth=1
	s_or_b32 exec_lo, exec_lo, s19
	v_mov_b32_e32 v6, 0
	s_waitcnt lgkmcnt(0)
	s_barrier
	buffer_gl0_inv
	s_and_saveexec_b32 s19, s11
; %bb.393:                              ;   in Loop: Header=BB736_20 Depth=1
	ds_read_b32 v6, v96
; %bb.394:                              ;   in Loop: Header=BB736_20 Depth=1
	s_or_b32 exec_lo, exec_lo, s19
	v_sub_co_u32 v7, s19, v126, 1
	s_waitcnt lgkmcnt(0)
	v_add_nc_u32_e32 v5, v6, v5
	s_barrier
	v_cmp_gt_i32_e32 vcc_lo, 0, v7
	buffer_gl0_inv
	v_cndmask_b32_e32 v7, v7, v126, vcc_lo
	v_lshlrev_b32_e32 v127, 2, v7
	ds_bpermute_b32 v5, v127, v5
	s_and_saveexec_b32 s20, s8
	s_cbranch_execz .LBB736_396
; %bb.395:                              ;   in Loop: Header=BB736_20 Depth=1
	s_waitcnt lgkmcnt(0)
	v_cndmask_b32_e64 v5, v5, v6, s19
	v_add_nc_u32_e32 v5, s60, v5
	ds_write_b32 v73, v5
.LBB736_396:                            ;   in Loop: Header=BB736_20 Depth=1
	s_or_b32 exec_lo, exec_lo, s20
	s_load_dwordx2 s[20:21], s[58:59], 0x0
	v_lshlrev_b32_e32 v8, 3, v126
	v_and_b32_e32 v7, 7, v126
	v_or_b32_e32 v128, v126, v97
	s_mov_b32 s64, s62
	s_mov_b32 s56, s60
	v_add_co_u32 v129, vcc_lo, v109, v8
	v_add_co_ci_u32_e64 v130, null, 0, v110, vcc_lo
	v_add_co_u32 v146, vcc_lo, v111, v8
	v_or_b32_e32 v131, 32, v128
	v_or_b32_e32 v132, 64, v128
	v_or_b32_e32 v133, 0x60, v128
	v_or_b32_e32 v134, 0x80, v128
	v_or_b32_e32 v135, 0xa0, v128
	v_or_b32_e32 v136, 0xc0, v128
	v_or_b32_e32 v137, 0xe0, v128
	v_or_b32_e32 v138, 0x100, v128
	s_waitcnt lgkmcnt(0)
	s_cmp_lt_u32 s7, s21
	v_or_b32_e32 v139, 0x120, v128
	s_cselect_b32 s21, 14, 20
	v_or_b32_e32 v140, 0x140, v128
	s_add_u32 s22, s58, s21
	s_addc_u32 s23, s59, 0
	s_cmp_lt_u32 s6, s20
	global_load_ushort v5, v3, s[22:23]
	s_cselect_b32 s20, 12, 18
	v_or_b32_e32 v141, 0x160, v128
	s_add_u32 s20, s58, s20
	s_addc_u32 s21, s59, 0
	v_or_b32_e32 v142, 0x180, v128
	global_load_ushort v6, v3, s[20:21]
	v_cmp_eq_u32_e64 s20, 0, v7
	v_cmp_lt_u32_e64 s21, 1, v7
	v_cmp_lt_u32_e64 s22, 3, v7
	v_or_b32_e32 v143, 0x1a0, v128
	v_or_b32_e32 v144, 0x1c0, v128
	;; [unrolled: 1-line block ×3, first 2 shown]
	v_add_co_ci_u32_e64 v147, null, 0, v112, vcc_lo
                                        ; implicit-def: $vgpr7_vgpr8
                                        ; implicit-def: $vgpr9_vgpr10
                                        ; implicit-def: $vgpr11_vgpr12
                                        ; implicit-def: $vgpr13_vgpr14
                                        ; implicit-def: $vgpr17_vgpr18
                                        ; implicit-def: $vgpr21_vgpr22
                                        ; implicit-def: $vgpr25_vgpr26
                                        ; implicit-def: $vgpr15_vgpr16
                                        ; implicit-def: $vgpr19_vgpr20
                                        ; implicit-def: $vgpr23_vgpr24
                                        ; implicit-def: $vgpr27_vgpr28
                                        ; implicit-def: $vgpr29_vgpr30
                                        ; implicit-def: $vgpr31_vgpr32
                                        ; implicit-def: $vgpr33_vgpr34
                                        ; implicit-def: $vgpr35_vgpr36
                                        ; implicit-def: $vgpr149
                                        ; implicit-def: $vgpr150
                                        ; implicit-def: $vgpr151
                                        ; implicit-def: $vgpr152
                                        ; implicit-def: $vgpr153
                                        ; implicit-def: $vgpr154
                                        ; implicit-def: $vgpr155
                                        ; implicit-def: $vgpr156
                                        ; implicit-def: $vgpr157
                                        ; implicit-def: $vgpr158
                                        ; implicit-def: $vgpr159
                                        ; implicit-def: $vgpr160
                                        ; implicit-def: $vgpr161
                                        ; implicit-def: $vgpr162
                                        ; implicit-def: $vgpr164
                                        ; implicit-def: $vgpr165
                                        ; implicit-def: $vgpr163
                                        ; implicit-def: $vgpr166
	s_waitcnt vmcnt(1)
	v_mad_u32_u24 v5, v2, v5, v1
	s_waitcnt vmcnt(0)
	v_mad_u64_u32 v[5:6], null, v5, v6, v[0:1]
	v_lshrrev_b32_e32 v5, 3, v5
	v_and_b32_e32 v148, 0x1ffffffc, v5
                                        ; implicit-def: $vgpr5_vgpr6
	s_branch .LBB736_398
.LBB736_397:                            ;   in Loop: Header=BB736_398 Depth=2
	s_or_b32 exec_lo, exec_lo, s23
	s_addk_i32 s64, 0xf000
	s_cmp_lt_u32 s65, s61
	s_mov_b32 s56, s65
	s_cbranch_scc0 .LBB736_608
.LBB736_398:                            ;   Parent Loop BB736_20 Depth=1
                                        ; =>  This Inner Loop Header: Depth=2
	s_add_i32 s65, s56, 0x1000
	s_cmp_gt_u32 s65, s61
	s_cbranch_scc1 .LBB736_400
; %bb.399:                              ;   in Loop: Header=BB736_398 Depth=2
	s_lshl_b64 s[24:25], s[56:57], 3
	s_mov_b32 s23, -1
	v_add_co_u32 v37, vcc_lo, v146, s24
	v_add_co_ci_u32_e64 v38, null, s25, v147, vcc_lo
	v_add_co_u32 v45, vcc_lo, 0x800, v37
	v_add_co_ci_u32_e64 v46, null, 0, v38, vcc_lo
	s_clause 0xe
	global_load_dwordx2 v[39:40], v[37:38], off
	global_load_dwordx2 v[41:42], v[37:38], off offset:256
	global_load_dwordx2 v[43:44], v[37:38], off offset:512
	global_load_dwordx2 v[47:48], v[37:38], off offset:768
	global_load_dwordx2 v[53:54], v[37:38], off offset:1024
	global_load_dwordx2 v[57:58], v[37:38], off offset:1280
	global_load_dwordx2 v[61:62], v[37:38], off offset:1536
	global_load_dwordx2 v[65:66], v[37:38], off offset:1792
	global_load_dwordx2 v[67:68], v[45:46], off
	global_load_dwordx2 v[63:64], v[45:46], off offset:256
	global_load_dwordx2 v[59:60], v[45:46], off offset:512
	;; [unrolled: 1-line block ×6, first 2 shown]
	s_movk_i32 s24, 0x1000
	s_cbranch_execz .LBB736_401
	s_branch .LBB736_432
.LBB736_400:                            ;   in Loop: Header=BB736_398 Depth=2
	s_mov_b32 s23, 0
                                        ; implicit-def: $vgpr39_vgpr40
                                        ; implicit-def: $vgpr41_vgpr42
                                        ; implicit-def: $vgpr43_vgpr44
                                        ; implicit-def: $vgpr47_vgpr48
                                        ; implicit-def: $vgpr53_vgpr54
                                        ; implicit-def: $vgpr57_vgpr58
                                        ; implicit-def: $vgpr61_vgpr62
                                        ; implicit-def: $vgpr65_vgpr66
                                        ; implicit-def: $vgpr67_vgpr68
                                        ; implicit-def: $vgpr63_vgpr64
                                        ; implicit-def: $vgpr59_vgpr60
                                        ; implicit-def: $vgpr55_vgpr56
                                        ; implicit-def: $vgpr51_vgpr52
                                        ; implicit-def: $vgpr49_vgpr50
                                        ; implicit-def: $vgpr45_vgpr46
	s_movk_i32 s24, 0x1000
.LBB736_401:                            ;   in Loop: Header=BB736_398 Depth=2
	s_waitcnt vmcnt(13)
	v_mov_b32_e32 v41, v3
	v_mov_b32_e32 v42, v4
	s_lshl_b64 s[24:25], s[56:57], 3
	s_mov_b32 s23, exec_lo
	v_add_co_u32 v37, vcc_lo, v146, s24
	v_mov_b32_e32 v39, v41
	v_add_co_ci_u32_e64 v38, null, s25, v147, vcc_lo
	v_mov_b32_e32 v40, v42
	v_cmpx_gt_u32_e64 s64, v128
	s_cbranch_execz .LBB736_403
; %bb.402:                              ;   in Loop: Header=BB736_398 Depth=2
	global_load_dwordx2 v[39:40], v[37:38], off
.LBB736_403:                            ;   in Loop: Header=BB736_398 Depth=2
	s_or_b32 exec_lo, exec_lo, s23
	s_mov_b32 s23, exec_lo
	v_cmpx_gt_u32_e64 s64, v131
	s_cbranch_execz .LBB736_405
; %bb.404:                              ;   in Loop: Header=BB736_398 Depth=2
	global_load_dwordx2 v[41:42], v[37:38], off offset:256
.LBB736_405:                            ;   in Loop: Header=BB736_398 Depth=2
	s_or_b32 exec_lo, exec_lo, s23
	s_waitcnt vmcnt(12)
	v_mov_b32_e32 v44, v4
	v_mov_b32_e32 v43, v3
	s_mov_b32 s23, exec_lo
	v_cmpx_gt_u32_e64 s64, v132
	s_cbranch_execz .LBB736_407
; %bb.406:                              ;   in Loop: Header=BB736_398 Depth=2
	global_load_dwordx2 v[43:44], v[37:38], off offset:512
.LBB736_407:                            ;   in Loop: Header=BB736_398 Depth=2
	s_or_b32 exec_lo, exec_lo, s23
	s_waitcnt vmcnt(11)
	v_mov_b32_e32 v48, v4
	v_mov_b32_e32 v47, v3
	;; [unrolled: 10-line block ×7, first 2 shown]
	s_mov_b32 s23, exec_lo
	v_cmpx_gt_u32_e64 s64, v138
	s_cbranch_execz .LBB736_419
; %bb.418:                              ;   in Loop: Header=BB736_398 Depth=2
	s_waitcnt vmcnt(0)
	v_add_co_u32 v45, vcc_lo, 0x800, v37
	v_add_co_ci_u32_e64 v46, null, 0, v38, vcc_lo
	global_load_dwordx2 v[67:68], v[45:46], off
.LBB736_419:                            ;   in Loop: Header=BB736_398 Depth=2
	s_or_b32 exec_lo, exec_lo, s23
	s_waitcnt vmcnt(5)
	v_mov_b32_e32 v64, v4
	v_mov_b32_e32 v63, v3
	s_mov_b32 s23, exec_lo
	v_cmpx_gt_u32_e64 s64, v139
	s_cbranch_execz .LBB736_421
; %bb.420:                              ;   in Loop: Header=BB736_398 Depth=2
	s_waitcnt vmcnt(0)
	v_add_co_u32 v45, vcc_lo, 0x800, v37
	v_add_co_ci_u32_e64 v46, null, 0, v38, vcc_lo
	global_load_dwordx2 v[63:64], v[45:46], off offset:256
.LBB736_421:                            ;   in Loop: Header=BB736_398 Depth=2
	s_or_b32 exec_lo, exec_lo, s23
	s_waitcnt vmcnt(4)
	v_mov_b32_e32 v60, v4
	v_mov_b32_e32 v59, v3
	s_mov_b32 s23, exec_lo
	v_cmpx_gt_u32_e64 s64, v140
	s_cbranch_execz .LBB736_423
; %bb.422:                              ;   in Loop: Header=BB736_398 Depth=2
	s_waitcnt vmcnt(0)
	v_add_co_u32 v45, vcc_lo, 0x800, v37
	v_add_co_ci_u32_e64 v46, null, 0, v38, vcc_lo
	global_load_dwordx2 v[59:60], v[45:46], off offset:512
.LBB736_423:                            ;   in Loop: Header=BB736_398 Depth=2
	s_or_b32 exec_lo, exec_lo, s23
	s_waitcnt vmcnt(3)
	v_mov_b32_e32 v56, v4
	v_mov_b32_e32 v55, v3
	s_mov_b32 s23, exec_lo
	v_cmpx_gt_u32_e64 s64, v141
	s_cbranch_execz .LBB736_425
; %bb.424:                              ;   in Loop: Header=BB736_398 Depth=2
	s_waitcnt vmcnt(0)
	v_add_co_u32 v45, vcc_lo, 0x800, v37
	v_add_co_ci_u32_e64 v46, null, 0, v38, vcc_lo
	global_load_dwordx2 v[55:56], v[45:46], off offset:768
.LBB736_425:                            ;   in Loop: Header=BB736_398 Depth=2
	s_or_b32 exec_lo, exec_lo, s23
	s_waitcnt vmcnt(2)
	v_mov_b32_e32 v52, v4
	v_mov_b32_e32 v51, v3
	s_mov_b32 s23, exec_lo
	v_cmpx_gt_u32_e64 s64, v142
	s_cbranch_execz .LBB736_427
; %bb.426:                              ;   in Loop: Header=BB736_398 Depth=2
	s_waitcnt vmcnt(0)
	v_add_co_u32 v45, vcc_lo, 0x800, v37
	v_add_co_ci_u32_e64 v46, null, 0, v38, vcc_lo
	global_load_dwordx2 v[51:52], v[45:46], off offset:1024
.LBB736_427:                            ;   in Loop: Header=BB736_398 Depth=2
	s_or_b32 exec_lo, exec_lo, s23
	s_waitcnt vmcnt(1)
	v_mov_b32_e32 v50, v4
	v_mov_b32_e32 v49, v3
	s_mov_b32 s23, exec_lo
	v_cmpx_gt_u32_e64 s64, v143
	s_cbranch_execz .LBB736_429
; %bb.428:                              ;   in Loop: Header=BB736_398 Depth=2
	s_waitcnt vmcnt(0)
	v_add_co_u32 v45, vcc_lo, 0x800, v37
	v_add_co_ci_u32_e64 v46, null, 0, v38, vcc_lo
	global_load_dwordx2 v[49:50], v[45:46], off offset:1280
.LBB736_429:                            ;   in Loop: Header=BB736_398 Depth=2
	s_or_b32 exec_lo, exec_lo, s23
	s_waitcnt vmcnt(0)
	v_mov_b32_e32 v46, v4
	v_mov_b32_e32 v45, v3
	s_mov_b32 s23, exec_lo
	v_cmpx_gt_u32_e64 s64, v144
	s_cbranch_execz .LBB736_431
; %bb.430:                              ;   in Loop: Header=BB736_398 Depth=2
	v_add_co_u32 v37, vcc_lo, 0x800, v37
	v_add_co_ci_u32_e64 v38, null, 0, v38, vcc_lo
	global_load_dwordx2 v[45:46], v[37:38], off offset:1536
.LBB736_431:                            ;   in Loop: Header=BB736_398 Depth=2
	s_or_b32 exec_lo, exec_lo, s23
	v_cmp_gt_u32_e64 s23, s64, v145
	s_sub_i32 s24, s61, s56
.LBB736_432:                            ;   in Loop: Header=BB736_398 Depth=2
	v_mov_b32_e32 v37, -1
	v_mov_b32_e32 v38, -1
	v_mov_b32_e32 v167, s64
	s_and_saveexec_b32 s25, s23
	s_cbranch_execz .LBB736_434
; %bb.433:                              ;   in Loop: Header=BB736_398 Depth=2
	s_lshl_b64 s[26:27], s[56:57], 3
	v_mov_b32_e32 v167, s24
	v_add_co_u32 v37, vcc_lo, v146, s26
	v_add_co_ci_u32_e64 v38, null, s27, v147, vcc_lo
	v_add_co_u32 v37, vcc_lo, 0x800, v37
	v_add_co_ci_u32_e64 v38, null, 0, v38, vcc_lo
	global_load_dwordx2 v[37:38], v[37:38], off offset:1792
	s_waitcnt vmcnt(0)
	v_xor_b32_e32 v38, 0x7fffffff, v38
	v_not_b32_e32 v37, v37
.LBB736_434:                            ;   in Loop: Header=BB736_398 Depth=2
	s_or_b32 exec_lo, exec_lo, s25
	s_waitcnt vmcnt(14)
	v_xor_b32_e32 v40, 0x7fffffff, v40
	v_not_b32_e32 v39, v39
	ds_write2_b32 v98, v3, v3 offset0:136 offset1:137
	ds_write2_b32 v98, v3, v3 offset0:138 offset1:139
	ds_write_b32 v98, v3 offset:560
	s_waitcnt vmcnt(0) lgkmcnt(0)
	s_barrier
	v_lshrrev_b64 v[69:70], s47, v[39:40]
	buffer_gl0_inv
	; wave barrier
	v_and_b32_e32 v70, s63, v69
	v_and_b32_e32 v69, 1, v70
	v_lshlrev_b32_e32 v71, 30, v70
	v_lshlrev_b32_e32 v72, 29, v70
	;; [unrolled: 1-line block ×4, first 2 shown]
	v_add_co_u32 v69, s23, v69, -1
	v_cndmask_b32_e64 v168, 0, 1, s23
	v_not_b32_e32 v172, v71
	v_cmp_gt_i32_e64 s23, 0, v71
	v_not_b32_e32 v71, v72
	v_lshlrev_b32_e32 v171, 26, v70
	v_cmp_ne_u32_e32 vcc_lo, 0, v168
	v_ashrrev_i32_e32 v172, 31, v172
	v_lshlrev_b32_e32 v168, 25, v70
	v_ashrrev_i32_e32 v71, 31, v71
	v_mul_u32_u24_e32 v70, 36, v70
	v_xor_b32_e32 v69, vcc_lo, v69
	v_cmp_gt_i32_e32 vcc_lo, 0, v72
	v_not_b32_e32 v72, v169
	v_xor_b32_e32 v172, s23, v172
	v_cmp_gt_i32_e64 s23, 0, v169
	v_and_b32_e32 v69, exec_lo, v69
	v_not_b32_e32 v169, v170
	v_ashrrev_i32_e32 v72, 31, v72
	v_xor_b32_e32 v71, vcc_lo, v71
	v_cmp_gt_i32_e32 vcc_lo, 0, v170
	v_and_b32_e32 v69, v69, v172
	v_not_b32_e32 v170, v171
	v_ashrrev_i32_e32 v169, 31, v169
	v_xor_b32_e32 v72, s23, v72
	v_cmp_gt_i32_e64 s23, 0, v171
	v_and_b32_e32 v69, v69, v71
	v_not_b32_e32 v71, v168
	v_ashrrev_i32_e32 v170, 31, v170
	v_xor_b32_e32 v169, vcc_lo, v169
	v_cmp_gt_i32_e32 vcc_lo, 0, v168
	v_and_b32_e32 v69, v69, v72
	v_ashrrev_i32_e32 v71, 31, v71
	v_xor_b32_e32 v72, s23, v170
	v_and_b32_e32 v69, v69, v169
	v_xor_b32_e32 v71, vcc_lo, v71
	v_add_nc_u32_e32 v169, v148, v70
	v_and_b32_e32 v69, v69, v72
	v_and_b32_e32 v69, v69, v71
	v_mbcnt_lo_u32_b32 v168, v69, 0
	v_cmp_ne_u32_e64 s23, 0, v69
	v_cmp_eq_u32_e32 vcc_lo, 0, v168
	s_and_b32 s24, s23, vcc_lo
	s_and_saveexec_b32 s23, s24
; %bb.435:                              ;   in Loop: Header=BB736_398 Depth=2
	v_bcnt_u32_b32 v69, v69, 0
	ds_write_b32 v169, v69 offset:544
; %bb.436:                              ;   in Loop: Header=BB736_398 Depth=2
	s_or_b32 exec_lo, exec_lo, s23
	v_xor_b32_e32 v42, 0x7fffffff, v42
	v_not_b32_e32 v41, v41
	; wave barrier
	v_lshrrev_b64 v[69:70], s47, v[41:42]
	v_and_b32_e32 v70, s63, v69
	v_and_b32_e32 v69, 1, v70
	v_lshlrev_b32_e32 v71, 30, v70
	v_lshlrev_b32_e32 v72, 29, v70
	v_lshlrev_b32_e32 v171, 28, v70
	v_lshlrev_b32_e32 v172, 27, v70
	v_add_co_u32 v69, s23, v69, -1
	v_cndmask_b32_e64 v170, 0, 1, s23
	v_not_b32_e32 v174, v71
	v_cmp_gt_i32_e64 s23, 0, v71
	v_not_b32_e32 v71, v72
	v_lshlrev_b32_e32 v173, 26, v70
	v_cmp_ne_u32_e32 vcc_lo, 0, v170
	v_ashrrev_i32_e32 v174, 31, v174
	v_lshlrev_b32_e32 v170, 25, v70
	v_ashrrev_i32_e32 v71, 31, v71
	v_xor_b32_e32 v69, vcc_lo, v69
	v_cmp_gt_i32_e32 vcc_lo, 0, v72
	v_not_b32_e32 v72, v171
	v_xor_b32_e32 v174, s23, v174
	v_cmp_gt_i32_e64 s23, 0, v171
	v_and_b32_e32 v69, exec_lo, v69
	v_not_b32_e32 v171, v172
	v_ashrrev_i32_e32 v72, 31, v72
	v_xor_b32_e32 v71, vcc_lo, v71
	v_cmp_gt_i32_e32 vcc_lo, 0, v172
	v_and_b32_e32 v69, v69, v174
	v_not_b32_e32 v172, v173
	v_ashrrev_i32_e32 v171, 31, v171
	v_xor_b32_e32 v72, s23, v72
	v_cmp_gt_i32_e64 s23, 0, v173
	v_and_b32_e32 v69, v69, v71
	v_not_b32_e32 v71, v170
	v_ashrrev_i32_e32 v172, 31, v172
	v_xor_b32_e32 v171, vcc_lo, v171
	v_cmp_gt_i32_e32 vcc_lo, 0, v170
	v_and_b32_e32 v69, v69, v72
	v_ashrrev_i32_e32 v71, 31, v71
	v_xor_b32_e32 v72, s23, v172
	v_mad_u32_u24 v170, v70, 36, v148
	v_mul_u32_u24_e32 v70, 36, v70
	v_and_b32_e32 v69, v69, v171
	v_xor_b32_e32 v71, vcc_lo, v71
	ds_read_b32 v170, v170 offset:544
	v_add_nc_u32_e32 v172, v148, v70
	v_and_b32_e32 v69, v69, v72
	; wave barrier
	v_and_b32_e32 v69, v69, v71
	v_mbcnt_lo_u32_b32 v171, v69, 0
	v_cmp_ne_u32_e64 s23, 0, v69
	v_cmp_eq_u32_e32 vcc_lo, 0, v171
	s_and_b32 s24, s23, vcc_lo
	s_and_saveexec_b32 s23, s24
	s_cbranch_execz .LBB736_438
; %bb.437:                              ;   in Loop: Header=BB736_398 Depth=2
	s_waitcnt lgkmcnt(0)
	v_bcnt_u32_b32 v69, v69, v170
	ds_write_b32 v172, v69 offset:544
.LBB736_438:                            ;   in Loop: Header=BB736_398 Depth=2
	s_or_b32 exec_lo, exec_lo, s23
	v_xor_b32_e32 v44, 0x7fffffff, v44
	v_not_b32_e32 v43, v43
	; wave barrier
	v_lshrrev_b64 v[69:70], s47, v[43:44]
	v_and_b32_e32 v70, s63, v69
	v_and_b32_e32 v69, 1, v70
	v_lshlrev_b32_e32 v71, 30, v70
	v_lshlrev_b32_e32 v72, 29, v70
	v_lshlrev_b32_e32 v174, 28, v70
	v_lshlrev_b32_e32 v175, 27, v70
	v_add_co_u32 v69, s23, v69, -1
	v_cndmask_b32_e64 v173, 0, 1, s23
	v_not_b32_e32 v177, v71
	v_cmp_gt_i32_e64 s23, 0, v71
	v_not_b32_e32 v71, v72
	v_lshlrev_b32_e32 v176, 26, v70
	v_cmp_ne_u32_e32 vcc_lo, 0, v173
	v_ashrrev_i32_e32 v177, 31, v177
	v_lshlrev_b32_e32 v173, 25, v70
	v_ashrrev_i32_e32 v71, 31, v71
	v_xor_b32_e32 v69, vcc_lo, v69
	v_cmp_gt_i32_e32 vcc_lo, 0, v72
	v_not_b32_e32 v72, v174
	v_xor_b32_e32 v177, s23, v177
	v_cmp_gt_i32_e64 s23, 0, v174
	v_and_b32_e32 v69, exec_lo, v69
	v_not_b32_e32 v174, v175
	v_ashrrev_i32_e32 v72, 31, v72
	v_xor_b32_e32 v71, vcc_lo, v71
	v_cmp_gt_i32_e32 vcc_lo, 0, v175
	v_and_b32_e32 v69, v69, v177
	v_not_b32_e32 v175, v176
	v_ashrrev_i32_e32 v174, 31, v174
	v_xor_b32_e32 v72, s23, v72
	v_cmp_gt_i32_e64 s23, 0, v176
	v_and_b32_e32 v69, v69, v71
	v_not_b32_e32 v71, v173
	v_ashrrev_i32_e32 v175, 31, v175
	v_xor_b32_e32 v174, vcc_lo, v174
	v_cmp_gt_i32_e32 vcc_lo, 0, v173
	v_and_b32_e32 v69, v69, v72
	v_ashrrev_i32_e32 v71, 31, v71
	v_xor_b32_e32 v72, s23, v175
	v_mad_u32_u24 v173, v70, 36, v148
	v_mul_u32_u24_e32 v70, 36, v70
	v_and_b32_e32 v69, v69, v174
	v_xor_b32_e32 v71, vcc_lo, v71
	ds_read_b32 v173, v173 offset:544
	v_add_nc_u32_e32 v175, v148, v70
	v_and_b32_e32 v69, v69, v72
	; wave barrier
	v_and_b32_e32 v69, v69, v71
	v_mbcnt_lo_u32_b32 v174, v69, 0
	v_cmp_ne_u32_e64 s23, 0, v69
	v_cmp_eq_u32_e32 vcc_lo, 0, v174
	s_and_b32 s24, s23, vcc_lo
	s_and_saveexec_b32 s23, s24
	s_cbranch_execz .LBB736_440
; %bb.439:                              ;   in Loop: Header=BB736_398 Depth=2
	s_waitcnt lgkmcnt(0)
	v_bcnt_u32_b32 v69, v69, v173
	ds_write_b32 v175, v69 offset:544
.LBB736_440:                            ;   in Loop: Header=BB736_398 Depth=2
	;; [unrolled: 64-line block ×14, first 2 shown]
	s_or_b32 exec_lo, exec_lo, s23
	v_lshrrev_b64 v[69:70], s47, v[37:38]
	; wave barrier
	v_and_b32_e32 v70, s63, v69
	v_and_b32_e32 v69, 1, v70
	v_lshlrev_b32_e32 v71, 30, v70
	v_lshlrev_b32_e32 v72, 29, v70
	v_lshlrev_b32_e32 v212, 28, v70
	v_lshlrev_b32_e32 v214, 27, v70
	v_add_co_u32 v69, s23, v69, -1
	v_cndmask_b32_e64 v211, 0, 1, s23
	v_not_b32_e32 v216, v71
	v_cmp_gt_i32_e64 s23, 0, v71
	v_not_b32_e32 v71, v72
	v_lshlrev_b32_e32 v215, 26, v70
	v_cmp_ne_u32_e32 vcc_lo, 0, v211
	v_ashrrev_i32_e32 v216, 31, v216
	v_lshlrev_b32_e32 v211, 25, v70
	v_ashrrev_i32_e32 v71, 31, v71
	v_xor_b32_e32 v69, vcc_lo, v69
	v_cmp_gt_i32_e32 vcc_lo, 0, v72
	v_not_b32_e32 v72, v212
	v_xor_b32_e32 v216, s23, v216
	v_cmp_gt_i32_e64 s23, 0, v212
	v_and_b32_e32 v69, exec_lo, v69
	v_not_b32_e32 v212, v214
	v_ashrrev_i32_e32 v72, 31, v72
	v_xor_b32_e32 v71, vcc_lo, v71
	v_cmp_gt_i32_e32 vcc_lo, 0, v214
	v_and_b32_e32 v69, v69, v216
	v_not_b32_e32 v214, v215
	v_ashrrev_i32_e32 v212, 31, v212
	v_xor_b32_e32 v72, s23, v72
	v_cmp_gt_i32_e64 s23, 0, v215
	v_and_b32_e32 v69, v69, v71
	v_not_b32_e32 v71, v211
	v_ashrrev_i32_e32 v214, 31, v214
	v_xor_b32_e32 v212, vcc_lo, v212
	v_cmp_gt_i32_e32 vcc_lo, 0, v211
	v_and_b32_e32 v69, v69, v72
	v_ashrrev_i32_e32 v71, 31, v71
	v_xor_b32_e32 v72, s23, v214
	v_mad_u32_u24 v211, v70, 36, v148
	v_mul_u32_u24_e32 v70, 36, v70
	v_and_b32_e32 v69, v69, v212
	v_xor_b32_e32 v71, vcc_lo, v71
	ds_read_b32 v211, v211 offset:544
	v_add_nc_u32_e32 v214, v148, v70
	v_and_b32_e32 v69, v69, v72
	; wave barrier
	v_and_b32_e32 v69, v69, v71
	v_mbcnt_lo_u32_b32 v212, v69, 0
	v_cmp_ne_u32_e64 s23, 0, v69
	v_cmp_eq_u32_e32 vcc_lo, 0, v212
	s_and_b32 s24, s23, vcc_lo
	s_and_saveexec_b32 s23, s24
	s_cbranch_execz .LBB736_466
; %bb.465:                              ;   in Loop: Header=BB736_398 Depth=2
	s_waitcnt lgkmcnt(0)
	v_bcnt_u32_b32 v69, v69, v211
	ds_write_b32 v214, v69 offset:544
.LBB736_466:                            ;   in Loop: Header=BB736_398 Depth=2
	s_or_b32 exec_lo, exec_lo, s23
	; wave barrier
	s_waitcnt lgkmcnt(0)
	s_barrier
	buffer_gl0_inv
	ds_read2_b32 v[71:72], v98 offset0:136 offset1:137
	ds_read2_b32 v[69:70], v98 offset0:138 offset1:139
	ds_read_b32 v215, v98 offset:560
	s_waitcnt lgkmcnt(1)
	v_add3_u32 v216, v72, v71, v69
	s_waitcnt lgkmcnt(0)
	v_add3_u32 v215, v216, v70, v215
	v_mov_b32_dpp v216, v215 row_shr:1 row_mask:0xf bank_mask:0xf
	v_cndmask_b32_e64 v216, v216, 0, s5
	v_add_nc_u32_e32 v215, v216, v215
	v_mov_b32_dpp v216, v215 row_shr:2 row_mask:0xf bank_mask:0xf
	v_cndmask_b32_e64 v216, 0, v216, s15
	v_add_nc_u32_e32 v215, v215, v216
	;; [unrolled: 3-line block ×4, first 2 shown]
	ds_swizzle_b32 v216, v215 offset:swizzle(BROADCAST,32,15)
	s_waitcnt lgkmcnt(0)
	v_cndmask_b32_e64 v216, v216, 0, s18
	v_add_nc_u32_e32 v215, v215, v216
	s_and_saveexec_b32 s23, s4
; %bb.467:                              ;   in Loop: Header=BB736_398 Depth=2
	ds_write_b32 v92, v215 offset:512
; %bb.468:                              ;   in Loop: Header=BB736_398 Depth=2
	s_or_b32 exec_lo, exec_lo, s23
	s_waitcnt lgkmcnt(0)
	s_barrier
	buffer_gl0_inv
	s_and_saveexec_b32 s23, s12
	s_cbranch_execz .LBB736_470
; %bb.469:                              ;   in Loop: Header=BB736_398 Depth=2
	ds_read_b32 v216, v99 offset:512
	s_waitcnt lgkmcnt(0)
	v_mov_b32_dpp v217, v216 row_shr:1 row_mask:0xf bank_mask:0xf
	v_cndmask_b32_e64 v217, v217, 0, s20
	v_add_nc_u32_e32 v216, v217, v216
	v_mov_b32_dpp v217, v216 row_shr:2 row_mask:0xf bank_mask:0xf
	v_cndmask_b32_e64 v217, 0, v217, s21
	v_add_nc_u32_e32 v216, v216, v217
	v_mov_b32_dpp v217, v216 row_shr:4 row_mask:0xf bank_mask:0xf
	v_cndmask_b32_e64 v217, 0, v217, s22
	v_add_nc_u32_e32 v216, v216, v217
	ds_write_b32 v99, v216 offset:512
.LBB736_470:                            ;   in Loop: Header=BB736_398 Depth=2
	s_or_b32 exec_lo, exec_lo, s23
	v_mov_b32_e32 v216, 0
	s_waitcnt lgkmcnt(0)
	s_barrier
	buffer_gl0_inv
	s_and_saveexec_b32 s23, s11
; %bb.471:                              ;   in Loop: Header=BB736_398 Depth=2
	ds_read_b32 v216, v92 offset:508
; %bb.472:                              ;   in Loop: Header=BB736_398 Depth=2
	s_or_b32 exec_lo, exec_lo, s23
	s_waitcnt lgkmcnt(0)
	v_add_nc_u32_e32 v215, v216, v215
	ds_bpermute_b32 v215, v127, v215
	s_waitcnt lgkmcnt(0)
	v_cndmask_b32_e64 v215, v215, v216, s19
	v_cndmask_b32_e64 v215, v215, 0, s13
	v_add_nc_u32_e32 v71, v215, v71
	v_add_nc_u32_e32 v72, v71, v72
	;; [unrolled: 1-line block ×4, first 2 shown]
	ds_write2_b32 v98, v215, v71 offset0:136 offset1:137
	ds_write2_b32 v98, v72, v69 offset0:138 offset1:139
	ds_write_b32 v98, v70 offset:560
	s_waitcnt lgkmcnt(0)
	s_barrier
	buffer_gl0_inv
	ds_read_b32 v69, v169 offset:544
	ds_read_b32 v219, v172 offset:544
	;; [unrolled: 1-line block ×16, first 2 shown]
	s_and_saveexec_b32 s23, s8
	s_cbranch_execz .LBB736_476
; %bb.473:                              ;   in Loop: Header=BB736_398 Depth=2
	ds_read_b32 v163, v101 offset:544
	v_mov_b32_e32 v166, 0x1000
	s_and_saveexec_b32 s24, s14
; %bb.474:                              ;   in Loop: Header=BB736_398 Depth=2
	ds_read_b32 v166, v100 offset:544
; %bb.475:                              ;   in Loop: Header=BB736_398 Depth=2
	s_or_b32 exec_lo, exec_lo, s24
	s_waitcnt lgkmcnt(0)
	v_sub_nc_u32_e32 v166, v166, v163
.LBB736_476:                            ;   in Loop: Header=BB736_398 Depth=2
	s_or_b32 exec_lo, exec_lo, s23
	s_waitcnt lgkmcnt(0)
	s_barrier
	buffer_gl0_inv
	s_and_saveexec_b32 s23, s8
	s_cbranch_execz .LBB736_478
; %bb.477:                              ;   in Loop: Header=BB736_398 Depth=2
	ds_read_b32 v191, v73
	s_waitcnt lgkmcnt(0)
	v_sub_nc_u32_e32 v191, v191, v163
	ds_write_b32 v73, v191
.LBB736_478:                            ;   in Loop: Header=BB736_398 Depth=2
	s_or_b32 exec_lo, exec_lo, s23
	v_lshlrev_b32_e32 v168, 3, v168
	v_lshlrev_b32_e32 v171, 3, v171
	;; [unrolled: 1-line block ×5, first 2 shown]
	v_lshl_add_u32 v69, v69, 3, v168
	v_lshlrev_b32_e32 v168, 3, v173
	v_lshlrev_b32_e32 v173, 3, v70
	;; [unrolled: 1-line block ×3, first 2 shown]
	v_add3_u32 v70, v171, v170, v191
	ds_write_b64 v69, v[39:40] offset:512
	v_lshlrev_b32_e32 v40, 3, v176
	v_lshlrev_b32_e32 v170, 3, v218
	;; [unrolled: 1-line block ×8, first 2 shown]
	ds_write_b64 v70, v[41:42] offset:512
	v_add3_u32 v39, v174, v168, v173
	v_add3_u32 v40, v177, v40, v170
	;; [unrolled: 1-line block ×3, first 2 shown]
	v_lshlrev_b32_e32 v168, 3, v186
	v_lshlrev_b32_e32 v170, 3, v185
	;; [unrolled: 1-line block ×3, first 2 shown]
	v_add3_u32 v42, v180, v182, v183
	ds_write_b64 v39, v[43:44] offset:512
	ds_write_b64 v40, v[47:48] offset:512
	ds_write_b64 v41, v[53:54] offset:512
	ds_write_b64 v42, v[57:58] offset:512
	v_lshlrev_b32_e32 v44, 3, v189
	v_add3_u32 v43, v168, v170, v171
	v_lshlrev_b32_e32 v47, 3, v188
	v_lshlrev_b32_e32 v48, 3, v187
	;; [unrolled: 1-line block ×11, first 2 shown]
	v_add3_u32 v44, v44, v47, v48
	v_add3_u32 v47, v53, v54, v57
	;; [unrolled: 1-line block ×3, first 2 shown]
	v_lshlrev_b32_e32 v54, 3, v200
	v_lshlrev_b32_e32 v57, 3, v199
	;; [unrolled: 1-line block ×3, first 2 shown]
	v_add3_u32 v53, v171, v173, v174
	ds_write_b64 v43, v[61:62] offset:512
	ds_write_b64 v44, v[65:66] offset:512
	;; [unrolled: 1-line block ×5, first 2 shown]
	v_lshlrev_b32_e32 v59, 3, v172
	v_add3_u32 v54, v54, v57, v58
	v_lshlrev_b32_e32 v57, 3, v203
	v_lshlrev_b32_e32 v58, 3, v202
	;; [unrolled: 1-line block ×11, first 2 shown]
	v_add3_u32 v57, v57, v58, v59
	v_add3_u32 v58, v60, v61, v62
	;; [unrolled: 1-line block ×3, first 2 shown]
	ds_write_b64 v54, v[55:56] offset:512
	v_add3_u32 v55, v66, v67, v68
	v_cmp_lt_u32_e32 vcc_lo, v0, v167
	ds_write_b64 v57, v[51:52] offset:512
	ds_write_b64 v58, v[49:50] offset:512
	ds_write_b64 v59, v[45:46] offset:512
	ds_write_b64 v55, v[37:38] offset:512
	s_waitcnt lgkmcnt(0)
	s_barrier
	buffer_gl0_inv
	s_and_saveexec_b32 s24, vcc_lo
	s_cbranch_execnz .LBB736_547
; %bb.479:                              ;   in Loop: Header=BB736_398 Depth=2
	s_or_b32 exec_lo, exec_lo, s24
	v_cmp_lt_u32_e64 s23, v74, v167
	s_and_saveexec_b32 s25, s23
	s_cbranch_execnz .LBB736_548
.LBB736_480:                            ;   in Loop: Header=BB736_398 Depth=2
	s_or_b32 exec_lo, exec_lo, s25
	v_cmp_lt_u32_e64 s24, v77, v167
	s_and_saveexec_b32 s26, s24
	s_cbranch_execnz .LBB736_549
.LBB736_481:                            ;   in Loop: Header=BB736_398 Depth=2
	s_or_b32 exec_lo, exec_lo, s26
	v_cmp_lt_u32_e64 s25, v78, v167
	s_and_saveexec_b32 s27, s25
	s_cbranch_execnz .LBB736_550
.LBB736_482:                            ;   in Loop: Header=BB736_398 Depth=2
	s_or_b32 exec_lo, exec_lo, s27
	v_cmp_lt_u32_e64 s26, v79, v167
	s_and_saveexec_b32 s28, s26
	s_cbranch_execnz .LBB736_551
.LBB736_483:                            ;   in Loop: Header=BB736_398 Depth=2
	s_or_b32 exec_lo, exec_lo, s28
	v_cmp_lt_u32_e64 s27, v80, v167
	s_and_saveexec_b32 s29, s27
	s_cbranch_execnz .LBB736_552
.LBB736_484:                            ;   in Loop: Header=BB736_398 Depth=2
	s_or_b32 exec_lo, exec_lo, s29
	v_cmp_lt_u32_e64 s28, v81, v167
	s_and_saveexec_b32 s30, s28
	s_cbranch_execnz .LBB736_553
.LBB736_485:                            ;   in Loop: Header=BB736_398 Depth=2
	s_or_b32 exec_lo, exec_lo, s30
	v_cmp_lt_u32_e64 s29, v82, v167
	s_and_saveexec_b32 s31, s29
	s_cbranch_execnz .LBB736_554
.LBB736_486:                            ;   in Loop: Header=BB736_398 Depth=2
	s_or_b32 exec_lo, exec_lo, s31
	v_cmp_lt_u32_e64 s30, v83, v167
	s_and_saveexec_b32 s33, s30
	s_cbranch_execnz .LBB736_555
.LBB736_487:                            ;   in Loop: Header=BB736_398 Depth=2
	s_or_b32 exec_lo, exec_lo, s33
	v_cmp_lt_u32_e64 s31, v84, v167
	s_and_saveexec_b32 s34, s31
	s_cbranch_execnz .LBB736_556
.LBB736_488:                            ;   in Loop: Header=BB736_398 Depth=2
	s_or_b32 exec_lo, exec_lo, s34
	v_cmp_lt_u32_e64 s33, v85, v167
	s_and_saveexec_b32 s35, s33
	s_cbranch_execnz .LBB736_557
.LBB736_489:                            ;   in Loop: Header=BB736_398 Depth=2
	s_or_b32 exec_lo, exec_lo, s35
	v_cmp_lt_u32_e64 s34, v86, v167
	s_and_saveexec_b32 s36, s34
	s_cbranch_execnz .LBB736_558
.LBB736_490:                            ;   in Loop: Header=BB736_398 Depth=2
	s_or_b32 exec_lo, exec_lo, s36
	v_cmp_lt_u32_e64 s35, v87, v167
	s_and_saveexec_b32 s37, s35
	s_cbranch_execnz .LBB736_559
.LBB736_491:                            ;   in Loop: Header=BB736_398 Depth=2
	s_or_b32 exec_lo, exec_lo, s37
	v_cmp_lt_u32_e64 s36, v88, v167
	s_and_saveexec_b32 s38, s36
	s_cbranch_execnz .LBB736_560
.LBB736_492:                            ;   in Loop: Header=BB736_398 Depth=2
	s_or_b32 exec_lo, exec_lo, s38
	v_cmp_lt_u32_e64 s37, v89, v167
	s_and_saveexec_b32 s39, s37
	s_cbranch_execnz .LBB736_561
.LBB736_493:                            ;   in Loop: Header=BB736_398 Depth=2
	s_or_b32 exec_lo, exec_lo, s39
	v_cmp_lt_u32_e64 s38, v90, v167
	s_and_saveexec_b32 s66, s38
	s_cbranch_execz .LBB736_495
.LBB736_494:                            ;   in Loop: Header=BB736_398 Depth=2
	ds_read_b64 v[37:38], v106 offset:31232
	s_waitcnt lgkmcnt(0)
	v_lshrrev_b64 v[45:46], s47, v[37:38]
	v_mov_b32_e32 v46, v3
	v_xor_b32_e32 v38, 0x7fffffff, v38
	v_not_b32_e32 v37, v37
	v_and_b32_e32 v45, s63, v45
	v_lshlrev_b32_e32 v45, 2, v45
	ds_read_b32 v45, v45
	s_waitcnt lgkmcnt(0)
	v_add_nc_u32_e32 v45, v45, v90
	v_lshlrev_b64 v[45:46], 3, v[45:46]
	v_add_co_u32 v45, s39, s44, v45
	v_add_co_ci_u32_e64 v46, null, s45, v46, s39
	global_store_dwordx2 v[45:46], v[37:38], off
.LBB736_495:                            ;   in Loop: Header=BB736_398 Depth=2
	s_or_b32 exec_lo, exec_lo, s66
	s_lshl_b64 s[66:67], s[56:57], 3
	v_add_co_u32 v37, s39, v129, s66
	v_add_co_ci_u32_e64 v38, null, s67, v130, s39
	v_cmp_lt_u32_e64 s39, v128, v167
	s_and_saveexec_b32 s56, s39
	s_xor_b32 s39, exec_lo, s56
	s_cbranch_execnz .LBB736_562
; %bb.496:                              ;   in Loop: Header=BB736_398 Depth=2
	s_or_b32 exec_lo, exec_lo, s39
	s_mov_b32 s56, exec_lo
	v_cmpx_lt_u32_e64 v131, v167
	s_cbranch_execnz .LBB736_563
.LBB736_497:                            ;   in Loop: Header=BB736_398 Depth=2
	s_or_b32 exec_lo, exec_lo, s56
	s_mov_b32 s56, exec_lo
	v_cmpx_lt_u32_e64 v132, v167
	s_cbranch_execnz .LBB736_564
.LBB736_498:                            ;   in Loop: Header=BB736_398 Depth=2
	s_or_b32 exec_lo, exec_lo, s56
	s_mov_b32 s56, exec_lo
	v_cmpx_lt_u32_e64 v133, v167
	s_cbranch_execnz .LBB736_565
.LBB736_499:                            ;   in Loop: Header=BB736_398 Depth=2
	s_or_b32 exec_lo, exec_lo, s56
	s_mov_b32 s56, exec_lo
	v_cmpx_lt_u32_e64 v134, v167
	s_cbranch_execnz .LBB736_566
.LBB736_500:                            ;   in Loop: Header=BB736_398 Depth=2
	s_or_b32 exec_lo, exec_lo, s56
	s_mov_b32 s56, exec_lo
	v_cmpx_lt_u32_e64 v135, v167
	s_cbranch_execnz .LBB736_567
.LBB736_501:                            ;   in Loop: Header=BB736_398 Depth=2
	s_or_b32 exec_lo, exec_lo, s56
	s_mov_b32 s56, exec_lo
	v_cmpx_lt_u32_e64 v136, v167
	s_cbranch_execnz .LBB736_568
.LBB736_502:                            ;   in Loop: Header=BB736_398 Depth=2
	s_or_b32 exec_lo, exec_lo, s56
	s_mov_b32 s56, exec_lo
	v_cmpx_lt_u32_e64 v137, v167
	s_cbranch_execnz .LBB736_569
.LBB736_503:                            ;   in Loop: Header=BB736_398 Depth=2
	s_or_b32 exec_lo, exec_lo, s56
	s_mov_b32 s56, exec_lo
	v_cmpx_lt_u32_e64 v138, v167
	s_cbranch_execnz .LBB736_570
.LBB736_504:                            ;   in Loop: Header=BB736_398 Depth=2
	s_or_b32 exec_lo, exec_lo, s56
	s_mov_b32 s56, exec_lo
	v_cmpx_lt_u32_e64 v139, v167
	s_cbranch_execnz .LBB736_571
.LBB736_505:                            ;   in Loop: Header=BB736_398 Depth=2
	s_or_b32 exec_lo, exec_lo, s56
	s_mov_b32 s56, exec_lo
	v_cmpx_lt_u32_e64 v140, v167
	s_cbranch_execnz .LBB736_572
.LBB736_506:                            ;   in Loop: Header=BB736_398 Depth=2
	s_or_b32 exec_lo, exec_lo, s56
	s_mov_b32 s56, exec_lo
	v_cmpx_lt_u32_e64 v141, v167
	s_cbranch_execnz .LBB736_573
.LBB736_507:                            ;   in Loop: Header=BB736_398 Depth=2
	s_or_b32 exec_lo, exec_lo, s56
	s_mov_b32 s56, exec_lo
	v_cmpx_lt_u32_e64 v142, v167
	s_cbranch_execnz .LBB736_574
.LBB736_508:                            ;   in Loop: Header=BB736_398 Depth=2
	s_or_b32 exec_lo, exec_lo, s56
	s_mov_b32 s56, exec_lo
	v_cmpx_lt_u32_e64 v143, v167
	s_cbranch_execnz .LBB736_575
.LBB736_509:                            ;   in Loop: Header=BB736_398 Depth=2
	s_or_b32 exec_lo, exec_lo, s56
	s_mov_b32 s56, exec_lo
	v_cmpx_lt_u32_e64 v144, v167
	s_cbranch_execnz .LBB736_576
.LBB736_510:                            ;   in Loop: Header=BB736_398 Depth=2
	s_or_b32 exec_lo, exec_lo, s56
	s_mov_b32 s56, exec_lo
	v_cmpx_lt_u32_e64 v145, v167
	s_cbranch_execnz .LBB736_577
.LBB736_511:                            ;   in Loop: Header=BB736_398 Depth=2
	s_or_b32 exec_lo, exec_lo, s56
	s_and_saveexec_b32 s39, vcc_lo
	s_cbranch_execnz .LBB736_578
.LBB736_512:                            ;   in Loop: Header=BB736_398 Depth=2
	s_or_b32 exec_lo, exec_lo, s39
	s_and_saveexec_b32 s39, s23
	s_cbranch_execnz .LBB736_579
.LBB736_513:                            ;   in Loop: Header=BB736_398 Depth=2
	s_or_b32 exec_lo, exec_lo, s39
	s_and_saveexec_b32 s39, s24
	s_cbranch_execnz .LBB736_580
.LBB736_514:                            ;   in Loop: Header=BB736_398 Depth=2
	s_or_b32 exec_lo, exec_lo, s39
	s_and_saveexec_b32 s39, s25
	s_cbranch_execnz .LBB736_581
.LBB736_515:                            ;   in Loop: Header=BB736_398 Depth=2
	s_or_b32 exec_lo, exec_lo, s39
	s_and_saveexec_b32 s39, s26
	s_cbranch_execnz .LBB736_582
.LBB736_516:                            ;   in Loop: Header=BB736_398 Depth=2
	s_or_b32 exec_lo, exec_lo, s39
	s_and_saveexec_b32 s39, s27
	s_cbranch_execnz .LBB736_583
.LBB736_517:                            ;   in Loop: Header=BB736_398 Depth=2
	s_or_b32 exec_lo, exec_lo, s39
	s_and_saveexec_b32 s39, s28
	s_cbranch_execnz .LBB736_584
.LBB736_518:                            ;   in Loop: Header=BB736_398 Depth=2
	s_or_b32 exec_lo, exec_lo, s39
	s_and_saveexec_b32 s39, s29
	s_cbranch_execnz .LBB736_585
.LBB736_519:                            ;   in Loop: Header=BB736_398 Depth=2
	s_or_b32 exec_lo, exec_lo, s39
	s_and_saveexec_b32 s39, s30
	s_cbranch_execnz .LBB736_586
.LBB736_520:                            ;   in Loop: Header=BB736_398 Depth=2
	s_or_b32 exec_lo, exec_lo, s39
	s_and_saveexec_b32 s39, s31
	s_cbranch_execnz .LBB736_587
.LBB736_521:                            ;   in Loop: Header=BB736_398 Depth=2
	s_or_b32 exec_lo, exec_lo, s39
	s_and_saveexec_b32 s39, s33
	s_cbranch_execnz .LBB736_588
.LBB736_522:                            ;   in Loop: Header=BB736_398 Depth=2
	s_or_b32 exec_lo, exec_lo, s39
	s_and_saveexec_b32 s39, s34
	s_cbranch_execnz .LBB736_589
.LBB736_523:                            ;   in Loop: Header=BB736_398 Depth=2
	s_or_b32 exec_lo, exec_lo, s39
	s_and_saveexec_b32 s39, s35
	s_cbranch_execnz .LBB736_590
.LBB736_524:                            ;   in Loop: Header=BB736_398 Depth=2
	s_or_b32 exec_lo, exec_lo, s39
	s_and_saveexec_b32 s39, s36
	s_cbranch_execnz .LBB736_591
.LBB736_525:                            ;   in Loop: Header=BB736_398 Depth=2
	s_or_b32 exec_lo, exec_lo, s39
	s_and_saveexec_b32 s39, s37
	s_cbranch_execnz .LBB736_592
.LBB736_526:                            ;   in Loop: Header=BB736_398 Depth=2
	s_or_b32 exec_lo, exec_lo, s39
	s_and_saveexec_b32 s39, s38
	s_cbranch_execz .LBB736_528
.LBB736_527:                            ;   in Loop: Header=BB736_398 Depth=2
	ds_read_b64 v[37:38], v106 offset:31232
	s_waitcnt lgkmcnt(0)
	v_lshrrev_b64 v[37:38], s47, v[37:38]
	v_and_b32_e32 v149, s63, v37
.LBB736_528:                            ;   in Loop: Header=BB736_398 Depth=2
	s_or_b32 exec_lo, exec_lo, s39
	s_waitcnt vmcnt(0)
	s_waitcnt_vscnt null, 0x0
	s_barrier
	buffer_gl0_inv
	ds_write_b64 v69, v[35:36] offset:512
	ds_write_b64 v70, v[33:34] offset:512
	;; [unrolled: 1-line block ×16, first 2 shown]
	s_waitcnt lgkmcnt(0)
	s_barrier
	buffer_gl0_inv
	s_and_saveexec_b32 s39, vcc_lo
	s_cbranch_execnz .LBB736_593
; %bb.529:                              ;   in Loop: Header=BB736_398 Depth=2
	s_or_b32 exec_lo, exec_lo, s39
	s_and_saveexec_b32 s39, s23
	s_cbranch_execnz .LBB736_594
.LBB736_530:                            ;   in Loop: Header=BB736_398 Depth=2
	s_or_b32 exec_lo, exec_lo, s39
	s_and_saveexec_b32 s23, s24
	s_cbranch_execnz .LBB736_595
.LBB736_531:                            ;   in Loop: Header=BB736_398 Depth=2
	s_or_b32 exec_lo, exec_lo, s23
	s_and_saveexec_b32 s23, s25
	s_cbranch_execnz .LBB736_596
.LBB736_532:                            ;   in Loop: Header=BB736_398 Depth=2
	s_or_b32 exec_lo, exec_lo, s23
	s_and_saveexec_b32 s23, s26
	s_cbranch_execnz .LBB736_597
.LBB736_533:                            ;   in Loop: Header=BB736_398 Depth=2
	s_or_b32 exec_lo, exec_lo, s23
	s_and_saveexec_b32 s23, s27
	s_cbranch_execnz .LBB736_598
.LBB736_534:                            ;   in Loop: Header=BB736_398 Depth=2
	s_or_b32 exec_lo, exec_lo, s23
	s_and_saveexec_b32 s23, s28
	s_cbranch_execnz .LBB736_599
.LBB736_535:                            ;   in Loop: Header=BB736_398 Depth=2
	s_or_b32 exec_lo, exec_lo, s23
	s_and_saveexec_b32 s23, s29
	s_cbranch_execnz .LBB736_600
.LBB736_536:                            ;   in Loop: Header=BB736_398 Depth=2
	s_or_b32 exec_lo, exec_lo, s23
	s_and_saveexec_b32 s23, s30
	s_cbranch_execnz .LBB736_601
.LBB736_537:                            ;   in Loop: Header=BB736_398 Depth=2
	s_or_b32 exec_lo, exec_lo, s23
	s_and_saveexec_b32 s23, s31
	s_cbranch_execnz .LBB736_602
.LBB736_538:                            ;   in Loop: Header=BB736_398 Depth=2
	s_or_b32 exec_lo, exec_lo, s23
	s_and_saveexec_b32 s23, s33
	s_cbranch_execnz .LBB736_603
.LBB736_539:                            ;   in Loop: Header=BB736_398 Depth=2
	s_or_b32 exec_lo, exec_lo, s23
	s_and_saveexec_b32 s23, s34
	s_cbranch_execnz .LBB736_604
.LBB736_540:                            ;   in Loop: Header=BB736_398 Depth=2
	s_or_b32 exec_lo, exec_lo, s23
	s_and_saveexec_b32 s23, s35
	s_cbranch_execnz .LBB736_605
.LBB736_541:                            ;   in Loop: Header=BB736_398 Depth=2
	s_or_b32 exec_lo, exec_lo, s23
	s_and_saveexec_b32 s23, s36
	s_cbranch_execnz .LBB736_606
.LBB736_542:                            ;   in Loop: Header=BB736_398 Depth=2
	s_or_b32 exec_lo, exec_lo, s23
	s_and_saveexec_b32 s23, s37
	s_cbranch_execnz .LBB736_607
.LBB736_543:                            ;   in Loop: Header=BB736_398 Depth=2
	s_or_b32 exec_lo, exec_lo, s23
	s_and_saveexec_b32 s23, s38
	s_cbranch_execz .LBB736_545
.LBB736_544:                            ;   in Loop: Header=BB736_398 Depth=2
	v_lshlrev_b32_e32 v37, 2, v149
	v_mov_b32_e32 v40, v3
	ds_read_b32 v39, v37
	ds_read_b64 v[37:38], v106 offset:31232
	s_waitcnt lgkmcnt(1)
	v_add_nc_u32_e32 v39, v39, v90
	v_lshlrev_b64 v[39:40], 3, v[39:40]
	v_add_co_u32 v39, vcc_lo, s50, v39
	v_add_co_ci_u32_e64 v40, null, s51, v40, vcc_lo
	s_waitcnt lgkmcnt(0)
	global_store_dwordx2 v[39:40], v[37:38], off
.LBB736_545:                            ;   in Loop: Header=BB736_398 Depth=2
	s_or_b32 exec_lo, exec_lo, s23
	s_waitcnt_vscnt null, 0x0
	s_barrier
	buffer_gl0_inv
	s_and_saveexec_b32 s23, s8
	s_cbranch_execz .LBB736_397
; %bb.546:                              ;   in Loop: Header=BB736_398 Depth=2
	ds_read_b32 v37, v73
	s_waitcnt lgkmcnt(0)
	v_add3_u32 v37, v163, v166, v37
	ds_write_b32 v73, v37
	s_branch .LBB736_397
.LBB736_547:                            ;   in Loop: Header=BB736_398 Depth=2
	ds_read_b64 v[37:38], v106 offset:512
	s_waitcnt lgkmcnt(0)
	v_lshrrev_b64 v[45:46], s47, v[37:38]
	v_mov_b32_e32 v46, v3
	v_xor_b32_e32 v38, 0x7fffffff, v38
	v_not_b32_e32 v37, v37
	v_and_b32_e32 v45, s63, v45
	v_lshlrev_b32_e32 v45, 2, v45
	ds_read_b32 v45, v45
	s_waitcnt lgkmcnt(0)
	v_add_nc_u32_e32 v45, v45, v0
	v_lshlrev_b64 v[45:46], 3, v[45:46]
	v_add_co_u32 v45, s23, s44, v45
	v_add_co_ci_u32_e64 v46, null, s45, v46, s23
	global_store_dwordx2 v[45:46], v[37:38], off
	s_or_b32 exec_lo, exec_lo, s24
	v_cmp_lt_u32_e64 s23, v74, v167
	s_and_saveexec_b32 s25, s23
	s_cbranch_execz .LBB736_480
.LBB736_548:                            ;   in Loop: Header=BB736_398 Depth=2
	ds_read_b64 v[37:38], v106 offset:2560
	s_waitcnt lgkmcnt(0)
	v_lshrrev_b64 v[45:46], s47, v[37:38]
	v_mov_b32_e32 v46, v3
	v_xor_b32_e32 v38, 0x7fffffff, v38
	v_not_b32_e32 v37, v37
	v_and_b32_e32 v45, s63, v45
	v_lshlrev_b32_e32 v45, 2, v45
	ds_read_b32 v45, v45
	s_waitcnt lgkmcnt(0)
	v_add_nc_u32_e32 v45, v45, v74
	v_lshlrev_b64 v[45:46], 3, v[45:46]
	v_add_co_u32 v45, s24, s44, v45
	v_add_co_ci_u32_e64 v46, null, s45, v46, s24
	global_store_dwordx2 v[45:46], v[37:38], off
	s_or_b32 exec_lo, exec_lo, s25
	v_cmp_lt_u32_e64 s24, v77, v167
	s_and_saveexec_b32 s26, s24
	s_cbranch_execz .LBB736_481
.LBB736_549:                            ;   in Loop: Header=BB736_398 Depth=2
	ds_read_b64 v[37:38], v106 offset:4608
	s_waitcnt lgkmcnt(0)
	v_lshrrev_b64 v[45:46], s47, v[37:38]
	v_mov_b32_e32 v46, v3
	v_xor_b32_e32 v38, 0x7fffffff, v38
	v_not_b32_e32 v37, v37
	v_and_b32_e32 v45, s63, v45
	v_lshlrev_b32_e32 v45, 2, v45
	ds_read_b32 v45, v45
	s_waitcnt lgkmcnt(0)
	v_add_nc_u32_e32 v45, v45, v77
	v_lshlrev_b64 v[45:46], 3, v[45:46]
	v_add_co_u32 v45, s25, s44, v45
	v_add_co_ci_u32_e64 v46, null, s45, v46, s25
	global_store_dwordx2 v[45:46], v[37:38], off
	s_or_b32 exec_lo, exec_lo, s26
	v_cmp_lt_u32_e64 s25, v78, v167
	s_and_saveexec_b32 s27, s25
	s_cbranch_execz .LBB736_482
.LBB736_550:                            ;   in Loop: Header=BB736_398 Depth=2
	ds_read_b64 v[37:38], v106 offset:6656
	s_waitcnt lgkmcnt(0)
	v_lshrrev_b64 v[45:46], s47, v[37:38]
	v_mov_b32_e32 v46, v3
	v_xor_b32_e32 v38, 0x7fffffff, v38
	v_not_b32_e32 v37, v37
	v_and_b32_e32 v45, s63, v45
	v_lshlrev_b32_e32 v45, 2, v45
	ds_read_b32 v45, v45
	s_waitcnt lgkmcnt(0)
	v_add_nc_u32_e32 v45, v45, v78
	v_lshlrev_b64 v[45:46], 3, v[45:46]
	v_add_co_u32 v45, s26, s44, v45
	v_add_co_ci_u32_e64 v46, null, s45, v46, s26
	global_store_dwordx2 v[45:46], v[37:38], off
	s_or_b32 exec_lo, exec_lo, s27
	v_cmp_lt_u32_e64 s26, v79, v167
	s_and_saveexec_b32 s28, s26
	s_cbranch_execz .LBB736_483
.LBB736_551:                            ;   in Loop: Header=BB736_398 Depth=2
	ds_read_b64 v[37:38], v106 offset:8704
	s_waitcnt lgkmcnt(0)
	v_lshrrev_b64 v[45:46], s47, v[37:38]
	v_mov_b32_e32 v46, v3
	v_xor_b32_e32 v38, 0x7fffffff, v38
	v_not_b32_e32 v37, v37
	v_and_b32_e32 v45, s63, v45
	v_lshlrev_b32_e32 v45, 2, v45
	ds_read_b32 v45, v45
	s_waitcnt lgkmcnt(0)
	v_add_nc_u32_e32 v45, v45, v79
	v_lshlrev_b64 v[45:46], 3, v[45:46]
	v_add_co_u32 v45, s27, s44, v45
	v_add_co_ci_u32_e64 v46, null, s45, v46, s27
	global_store_dwordx2 v[45:46], v[37:38], off
	s_or_b32 exec_lo, exec_lo, s28
	v_cmp_lt_u32_e64 s27, v80, v167
	s_and_saveexec_b32 s29, s27
	s_cbranch_execz .LBB736_484
.LBB736_552:                            ;   in Loop: Header=BB736_398 Depth=2
	ds_read_b64 v[37:38], v106 offset:10752
	s_waitcnt lgkmcnt(0)
	v_lshrrev_b64 v[45:46], s47, v[37:38]
	v_mov_b32_e32 v46, v3
	v_xor_b32_e32 v38, 0x7fffffff, v38
	v_not_b32_e32 v37, v37
	v_and_b32_e32 v45, s63, v45
	v_lshlrev_b32_e32 v45, 2, v45
	ds_read_b32 v45, v45
	s_waitcnt lgkmcnt(0)
	v_add_nc_u32_e32 v45, v45, v80
	v_lshlrev_b64 v[45:46], 3, v[45:46]
	v_add_co_u32 v45, s28, s44, v45
	v_add_co_ci_u32_e64 v46, null, s45, v46, s28
	global_store_dwordx2 v[45:46], v[37:38], off
	s_or_b32 exec_lo, exec_lo, s29
	v_cmp_lt_u32_e64 s28, v81, v167
	s_and_saveexec_b32 s30, s28
	s_cbranch_execz .LBB736_485
.LBB736_553:                            ;   in Loop: Header=BB736_398 Depth=2
	ds_read_b64 v[37:38], v106 offset:12800
	s_waitcnt lgkmcnt(0)
	v_lshrrev_b64 v[45:46], s47, v[37:38]
	v_mov_b32_e32 v46, v3
	v_xor_b32_e32 v38, 0x7fffffff, v38
	v_not_b32_e32 v37, v37
	v_and_b32_e32 v45, s63, v45
	v_lshlrev_b32_e32 v45, 2, v45
	ds_read_b32 v45, v45
	s_waitcnt lgkmcnt(0)
	v_add_nc_u32_e32 v45, v45, v81
	v_lshlrev_b64 v[45:46], 3, v[45:46]
	v_add_co_u32 v45, s29, s44, v45
	v_add_co_ci_u32_e64 v46, null, s45, v46, s29
	global_store_dwordx2 v[45:46], v[37:38], off
	s_or_b32 exec_lo, exec_lo, s30
	v_cmp_lt_u32_e64 s29, v82, v167
	s_and_saveexec_b32 s31, s29
	s_cbranch_execz .LBB736_486
.LBB736_554:                            ;   in Loop: Header=BB736_398 Depth=2
	ds_read_b64 v[37:38], v106 offset:14848
	s_waitcnt lgkmcnt(0)
	v_lshrrev_b64 v[45:46], s47, v[37:38]
	v_mov_b32_e32 v46, v3
	v_xor_b32_e32 v38, 0x7fffffff, v38
	v_not_b32_e32 v37, v37
	v_and_b32_e32 v45, s63, v45
	v_lshlrev_b32_e32 v45, 2, v45
	ds_read_b32 v45, v45
	s_waitcnt lgkmcnt(0)
	v_add_nc_u32_e32 v45, v45, v82
	v_lshlrev_b64 v[45:46], 3, v[45:46]
	v_add_co_u32 v45, s30, s44, v45
	v_add_co_ci_u32_e64 v46, null, s45, v46, s30
	global_store_dwordx2 v[45:46], v[37:38], off
	s_or_b32 exec_lo, exec_lo, s31
	v_cmp_lt_u32_e64 s30, v83, v167
	s_and_saveexec_b32 s33, s30
	s_cbranch_execz .LBB736_487
.LBB736_555:                            ;   in Loop: Header=BB736_398 Depth=2
	ds_read_b64 v[37:38], v106 offset:16896
	s_waitcnt lgkmcnt(0)
	v_lshrrev_b64 v[45:46], s47, v[37:38]
	v_mov_b32_e32 v46, v3
	v_xor_b32_e32 v38, 0x7fffffff, v38
	v_not_b32_e32 v37, v37
	v_and_b32_e32 v45, s63, v45
	v_lshlrev_b32_e32 v45, 2, v45
	ds_read_b32 v45, v45
	s_waitcnt lgkmcnt(0)
	v_add_nc_u32_e32 v45, v45, v83
	v_lshlrev_b64 v[45:46], 3, v[45:46]
	v_add_co_u32 v45, s31, s44, v45
	v_add_co_ci_u32_e64 v46, null, s45, v46, s31
	global_store_dwordx2 v[45:46], v[37:38], off
	s_or_b32 exec_lo, exec_lo, s33
	v_cmp_lt_u32_e64 s31, v84, v167
	s_and_saveexec_b32 s34, s31
	s_cbranch_execz .LBB736_488
.LBB736_556:                            ;   in Loop: Header=BB736_398 Depth=2
	ds_read_b64 v[37:38], v106 offset:18944
	s_waitcnt lgkmcnt(0)
	v_lshrrev_b64 v[45:46], s47, v[37:38]
	v_mov_b32_e32 v46, v3
	v_xor_b32_e32 v38, 0x7fffffff, v38
	v_not_b32_e32 v37, v37
	v_and_b32_e32 v45, s63, v45
	v_lshlrev_b32_e32 v45, 2, v45
	ds_read_b32 v45, v45
	s_waitcnt lgkmcnt(0)
	v_add_nc_u32_e32 v45, v45, v84
	v_lshlrev_b64 v[45:46], 3, v[45:46]
	v_add_co_u32 v45, s33, s44, v45
	v_add_co_ci_u32_e64 v46, null, s45, v46, s33
	global_store_dwordx2 v[45:46], v[37:38], off
	s_or_b32 exec_lo, exec_lo, s34
	v_cmp_lt_u32_e64 s33, v85, v167
	s_and_saveexec_b32 s35, s33
	s_cbranch_execz .LBB736_489
.LBB736_557:                            ;   in Loop: Header=BB736_398 Depth=2
	ds_read_b64 v[37:38], v106 offset:20992
	s_waitcnt lgkmcnt(0)
	v_lshrrev_b64 v[45:46], s47, v[37:38]
	v_mov_b32_e32 v46, v3
	v_xor_b32_e32 v38, 0x7fffffff, v38
	v_not_b32_e32 v37, v37
	v_and_b32_e32 v45, s63, v45
	v_lshlrev_b32_e32 v45, 2, v45
	ds_read_b32 v45, v45
	s_waitcnt lgkmcnt(0)
	v_add_nc_u32_e32 v45, v45, v85
	v_lshlrev_b64 v[45:46], 3, v[45:46]
	v_add_co_u32 v45, s34, s44, v45
	v_add_co_ci_u32_e64 v46, null, s45, v46, s34
	global_store_dwordx2 v[45:46], v[37:38], off
	s_or_b32 exec_lo, exec_lo, s35
	v_cmp_lt_u32_e64 s34, v86, v167
	s_and_saveexec_b32 s36, s34
	s_cbranch_execz .LBB736_490
.LBB736_558:                            ;   in Loop: Header=BB736_398 Depth=2
	ds_read_b64 v[37:38], v106 offset:23040
	s_waitcnt lgkmcnt(0)
	v_lshrrev_b64 v[45:46], s47, v[37:38]
	v_mov_b32_e32 v46, v3
	v_xor_b32_e32 v38, 0x7fffffff, v38
	v_not_b32_e32 v37, v37
	v_and_b32_e32 v45, s63, v45
	v_lshlrev_b32_e32 v45, 2, v45
	ds_read_b32 v45, v45
	s_waitcnt lgkmcnt(0)
	v_add_nc_u32_e32 v45, v45, v86
	v_lshlrev_b64 v[45:46], 3, v[45:46]
	v_add_co_u32 v45, s35, s44, v45
	v_add_co_ci_u32_e64 v46, null, s45, v46, s35
	global_store_dwordx2 v[45:46], v[37:38], off
	s_or_b32 exec_lo, exec_lo, s36
	v_cmp_lt_u32_e64 s35, v87, v167
	s_and_saveexec_b32 s37, s35
	s_cbranch_execz .LBB736_491
.LBB736_559:                            ;   in Loop: Header=BB736_398 Depth=2
	ds_read_b64 v[37:38], v106 offset:25088
	s_waitcnt lgkmcnt(0)
	v_lshrrev_b64 v[45:46], s47, v[37:38]
	v_mov_b32_e32 v46, v3
	v_xor_b32_e32 v38, 0x7fffffff, v38
	v_not_b32_e32 v37, v37
	v_and_b32_e32 v45, s63, v45
	v_lshlrev_b32_e32 v45, 2, v45
	ds_read_b32 v45, v45
	s_waitcnt lgkmcnt(0)
	v_add_nc_u32_e32 v45, v45, v87
	v_lshlrev_b64 v[45:46], 3, v[45:46]
	v_add_co_u32 v45, s36, s44, v45
	v_add_co_ci_u32_e64 v46, null, s45, v46, s36
	global_store_dwordx2 v[45:46], v[37:38], off
	s_or_b32 exec_lo, exec_lo, s37
	v_cmp_lt_u32_e64 s36, v88, v167
	s_and_saveexec_b32 s38, s36
	s_cbranch_execz .LBB736_492
.LBB736_560:                            ;   in Loop: Header=BB736_398 Depth=2
	ds_read_b64 v[37:38], v106 offset:27136
	s_waitcnt lgkmcnt(0)
	v_lshrrev_b64 v[45:46], s47, v[37:38]
	v_mov_b32_e32 v46, v3
	v_xor_b32_e32 v38, 0x7fffffff, v38
	v_not_b32_e32 v37, v37
	v_and_b32_e32 v45, s63, v45
	v_lshlrev_b32_e32 v45, 2, v45
	ds_read_b32 v45, v45
	s_waitcnt lgkmcnt(0)
	v_add_nc_u32_e32 v45, v45, v88
	v_lshlrev_b64 v[45:46], 3, v[45:46]
	v_add_co_u32 v45, s37, s44, v45
	v_add_co_ci_u32_e64 v46, null, s45, v46, s37
	global_store_dwordx2 v[45:46], v[37:38], off
	s_or_b32 exec_lo, exec_lo, s38
	v_cmp_lt_u32_e64 s37, v89, v167
	s_and_saveexec_b32 s39, s37
	s_cbranch_execz .LBB736_493
.LBB736_561:                            ;   in Loop: Header=BB736_398 Depth=2
	ds_read_b64 v[37:38], v106 offset:29184
	s_waitcnt lgkmcnt(0)
	v_lshrrev_b64 v[45:46], s47, v[37:38]
	v_mov_b32_e32 v46, v3
	v_xor_b32_e32 v38, 0x7fffffff, v38
	v_not_b32_e32 v37, v37
	v_and_b32_e32 v45, s63, v45
	v_lshlrev_b32_e32 v45, 2, v45
	ds_read_b32 v45, v45
	s_waitcnt lgkmcnt(0)
	v_add_nc_u32_e32 v45, v45, v89
	v_lshlrev_b64 v[45:46], 3, v[45:46]
	v_add_co_u32 v45, s38, s44, v45
	v_add_co_ci_u32_e64 v46, null, s45, v46, s38
	global_store_dwordx2 v[45:46], v[37:38], off
	s_or_b32 exec_lo, exec_lo, s39
	v_cmp_lt_u32_e64 s38, v90, v167
	s_and_saveexec_b32 s66, s38
	s_cbranch_execnz .LBB736_494
	s_branch .LBB736_495
.LBB736_562:                            ;   in Loop: Header=BB736_398 Depth=2
	global_load_dwordx2 v[35:36], v[37:38], off
	s_or_b32 exec_lo, exec_lo, s39
	s_mov_b32 s56, exec_lo
	v_cmpx_lt_u32_e64 v131, v167
	s_cbranch_execz .LBB736_497
.LBB736_563:                            ;   in Loop: Header=BB736_398 Depth=2
	global_load_dwordx2 v[33:34], v[37:38], off offset:256
	s_or_b32 exec_lo, exec_lo, s56
	s_mov_b32 s56, exec_lo
	v_cmpx_lt_u32_e64 v132, v167
	s_cbranch_execz .LBB736_498
.LBB736_564:                            ;   in Loop: Header=BB736_398 Depth=2
	global_load_dwordx2 v[31:32], v[37:38], off offset:512
	s_or_b32 exec_lo, exec_lo, s56
	s_mov_b32 s56, exec_lo
	v_cmpx_lt_u32_e64 v133, v167
	s_cbranch_execz .LBB736_499
.LBB736_565:                            ;   in Loop: Header=BB736_398 Depth=2
	global_load_dwordx2 v[29:30], v[37:38], off offset:768
	s_or_b32 exec_lo, exec_lo, s56
	s_mov_b32 s56, exec_lo
	v_cmpx_lt_u32_e64 v134, v167
	s_cbranch_execz .LBB736_500
.LBB736_566:                            ;   in Loop: Header=BB736_398 Depth=2
	global_load_dwordx2 v[27:28], v[37:38], off offset:1024
	s_or_b32 exec_lo, exec_lo, s56
	s_mov_b32 s56, exec_lo
	v_cmpx_lt_u32_e64 v135, v167
	s_cbranch_execz .LBB736_501
.LBB736_567:                            ;   in Loop: Header=BB736_398 Depth=2
	global_load_dwordx2 v[23:24], v[37:38], off offset:1280
	s_or_b32 exec_lo, exec_lo, s56
	s_mov_b32 s56, exec_lo
	v_cmpx_lt_u32_e64 v136, v167
	s_cbranch_execz .LBB736_502
.LBB736_568:                            ;   in Loop: Header=BB736_398 Depth=2
	global_load_dwordx2 v[19:20], v[37:38], off offset:1536
	s_or_b32 exec_lo, exec_lo, s56
	s_mov_b32 s56, exec_lo
	v_cmpx_lt_u32_e64 v137, v167
	s_cbranch_execz .LBB736_503
.LBB736_569:                            ;   in Loop: Header=BB736_398 Depth=2
	global_load_dwordx2 v[15:16], v[37:38], off offset:1792
	s_or_b32 exec_lo, exec_lo, s56
	s_mov_b32 s56, exec_lo
	v_cmpx_lt_u32_e64 v138, v167
	s_cbranch_execz .LBB736_504
.LBB736_570:                            ;   in Loop: Header=BB736_398 Depth=2
	v_add_co_u32 v25, s39, 0x800, v37
	v_add_co_ci_u32_e64 v26, null, 0, v38, s39
	global_load_dwordx2 v[25:26], v[25:26], off
	s_or_b32 exec_lo, exec_lo, s56
	s_mov_b32 s56, exec_lo
	v_cmpx_lt_u32_e64 v139, v167
	s_cbranch_execz .LBB736_505
.LBB736_571:                            ;   in Loop: Header=BB736_398 Depth=2
	v_add_co_u32 v21, s39, 0x800, v37
	v_add_co_ci_u32_e64 v22, null, 0, v38, s39
	global_load_dwordx2 v[21:22], v[21:22], off offset:256
	s_or_b32 exec_lo, exec_lo, s56
	s_mov_b32 s56, exec_lo
	v_cmpx_lt_u32_e64 v140, v167
	s_cbranch_execz .LBB736_506
.LBB736_572:                            ;   in Loop: Header=BB736_398 Depth=2
	v_add_co_u32 v17, s39, 0x800, v37
	v_add_co_ci_u32_e64 v18, null, 0, v38, s39
	global_load_dwordx2 v[17:18], v[17:18], off offset:512
	s_or_b32 exec_lo, exec_lo, s56
	s_mov_b32 s56, exec_lo
	v_cmpx_lt_u32_e64 v141, v167
	s_cbranch_execz .LBB736_507
.LBB736_573:                            ;   in Loop: Header=BB736_398 Depth=2
	v_add_co_u32 v13, s39, 0x800, v37
	v_add_co_ci_u32_e64 v14, null, 0, v38, s39
	global_load_dwordx2 v[13:14], v[13:14], off offset:768
	s_or_b32 exec_lo, exec_lo, s56
	s_mov_b32 s56, exec_lo
	v_cmpx_lt_u32_e64 v142, v167
	s_cbranch_execz .LBB736_508
.LBB736_574:                            ;   in Loop: Header=BB736_398 Depth=2
	v_add_co_u32 v11, s39, 0x800, v37
	v_add_co_ci_u32_e64 v12, null, 0, v38, s39
	global_load_dwordx2 v[11:12], v[11:12], off offset:1024
	s_or_b32 exec_lo, exec_lo, s56
	s_mov_b32 s56, exec_lo
	v_cmpx_lt_u32_e64 v143, v167
	s_cbranch_execz .LBB736_509
.LBB736_575:                            ;   in Loop: Header=BB736_398 Depth=2
	v_add_co_u32 v9, s39, 0x800, v37
	v_add_co_ci_u32_e64 v10, null, 0, v38, s39
	global_load_dwordx2 v[9:10], v[9:10], off offset:1280
	s_or_b32 exec_lo, exec_lo, s56
	s_mov_b32 s56, exec_lo
	v_cmpx_lt_u32_e64 v144, v167
	s_cbranch_execz .LBB736_510
.LBB736_576:                            ;   in Loop: Header=BB736_398 Depth=2
	v_add_co_u32 v7, s39, 0x800, v37
	v_add_co_ci_u32_e64 v8, null, 0, v38, s39
	global_load_dwordx2 v[7:8], v[7:8], off offset:1536
	s_or_b32 exec_lo, exec_lo, s56
	s_mov_b32 s56, exec_lo
	v_cmpx_lt_u32_e64 v145, v167
	s_cbranch_execz .LBB736_511
.LBB736_577:                            ;   in Loop: Header=BB736_398 Depth=2
	v_add_co_u32 v5, s39, 0x800, v37
	v_add_co_ci_u32_e64 v6, null, 0, v38, s39
	global_load_dwordx2 v[5:6], v[5:6], off offset:1792
	s_or_b32 exec_lo, exec_lo, s56
	s_and_saveexec_b32 s39, vcc_lo
	s_cbranch_execz .LBB736_512
.LBB736_578:                            ;   in Loop: Header=BB736_398 Depth=2
	ds_read_b64 v[37:38], v106 offset:512
	s_waitcnt lgkmcnt(0)
	v_lshrrev_b64 v[37:38], s47, v[37:38]
	v_and_b32_e32 v165, s63, v37
	s_or_b32 exec_lo, exec_lo, s39
	s_and_saveexec_b32 s39, s23
	s_cbranch_execz .LBB736_513
.LBB736_579:                            ;   in Loop: Header=BB736_398 Depth=2
	ds_read_b64 v[37:38], v106 offset:2560
	s_waitcnt lgkmcnt(0)
	v_lshrrev_b64 v[37:38], s47, v[37:38]
	v_and_b32_e32 v164, s63, v37
	s_or_b32 exec_lo, exec_lo, s39
	s_and_saveexec_b32 s39, s24
	s_cbranch_execz .LBB736_514
.LBB736_580:                            ;   in Loop: Header=BB736_398 Depth=2
	ds_read_b64 v[37:38], v106 offset:4608
	s_waitcnt lgkmcnt(0)
	v_lshrrev_b64 v[37:38], s47, v[37:38]
	v_and_b32_e32 v162, s63, v37
	s_or_b32 exec_lo, exec_lo, s39
	s_and_saveexec_b32 s39, s25
	s_cbranch_execz .LBB736_515
.LBB736_581:                            ;   in Loop: Header=BB736_398 Depth=2
	ds_read_b64 v[37:38], v106 offset:6656
	s_waitcnt lgkmcnt(0)
	v_lshrrev_b64 v[37:38], s47, v[37:38]
	v_and_b32_e32 v161, s63, v37
	s_or_b32 exec_lo, exec_lo, s39
	s_and_saveexec_b32 s39, s26
	s_cbranch_execz .LBB736_516
.LBB736_582:                            ;   in Loop: Header=BB736_398 Depth=2
	ds_read_b64 v[37:38], v106 offset:8704
	s_waitcnt lgkmcnt(0)
	v_lshrrev_b64 v[37:38], s47, v[37:38]
	v_and_b32_e32 v160, s63, v37
	s_or_b32 exec_lo, exec_lo, s39
	s_and_saveexec_b32 s39, s27
	s_cbranch_execz .LBB736_517
.LBB736_583:                            ;   in Loop: Header=BB736_398 Depth=2
	ds_read_b64 v[37:38], v106 offset:10752
	s_waitcnt lgkmcnt(0)
	v_lshrrev_b64 v[37:38], s47, v[37:38]
	v_and_b32_e32 v159, s63, v37
	s_or_b32 exec_lo, exec_lo, s39
	s_and_saveexec_b32 s39, s28
	s_cbranch_execz .LBB736_518
.LBB736_584:                            ;   in Loop: Header=BB736_398 Depth=2
	ds_read_b64 v[37:38], v106 offset:12800
	s_waitcnt lgkmcnt(0)
	v_lshrrev_b64 v[37:38], s47, v[37:38]
	v_and_b32_e32 v158, s63, v37
	s_or_b32 exec_lo, exec_lo, s39
	s_and_saveexec_b32 s39, s29
	s_cbranch_execz .LBB736_519
.LBB736_585:                            ;   in Loop: Header=BB736_398 Depth=2
	ds_read_b64 v[37:38], v106 offset:14848
	s_waitcnt lgkmcnt(0)
	v_lshrrev_b64 v[37:38], s47, v[37:38]
	v_and_b32_e32 v157, s63, v37
	s_or_b32 exec_lo, exec_lo, s39
	s_and_saveexec_b32 s39, s30
	s_cbranch_execz .LBB736_520
.LBB736_586:                            ;   in Loop: Header=BB736_398 Depth=2
	ds_read_b64 v[37:38], v106 offset:16896
	s_waitcnt lgkmcnt(0)
	v_lshrrev_b64 v[37:38], s47, v[37:38]
	v_and_b32_e32 v156, s63, v37
	s_or_b32 exec_lo, exec_lo, s39
	s_and_saveexec_b32 s39, s31
	s_cbranch_execz .LBB736_521
.LBB736_587:                            ;   in Loop: Header=BB736_398 Depth=2
	ds_read_b64 v[37:38], v106 offset:18944
	s_waitcnt lgkmcnt(0)
	v_lshrrev_b64 v[37:38], s47, v[37:38]
	v_and_b32_e32 v155, s63, v37
	s_or_b32 exec_lo, exec_lo, s39
	s_and_saveexec_b32 s39, s33
	s_cbranch_execz .LBB736_522
.LBB736_588:                            ;   in Loop: Header=BB736_398 Depth=2
	ds_read_b64 v[37:38], v106 offset:20992
	s_waitcnt lgkmcnt(0)
	v_lshrrev_b64 v[37:38], s47, v[37:38]
	v_and_b32_e32 v154, s63, v37
	s_or_b32 exec_lo, exec_lo, s39
	s_and_saveexec_b32 s39, s34
	s_cbranch_execz .LBB736_523
.LBB736_589:                            ;   in Loop: Header=BB736_398 Depth=2
	ds_read_b64 v[37:38], v106 offset:23040
	s_waitcnt lgkmcnt(0)
	v_lshrrev_b64 v[37:38], s47, v[37:38]
	v_and_b32_e32 v153, s63, v37
	s_or_b32 exec_lo, exec_lo, s39
	s_and_saveexec_b32 s39, s35
	s_cbranch_execz .LBB736_524
.LBB736_590:                            ;   in Loop: Header=BB736_398 Depth=2
	ds_read_b64 v[37:38], v106 offset:25088
	s_waitcnt lgkmcnt(0)
	v_lshrrev_b64 v[37:38], s47, v[37:38]
	v_and_b32_e32 v152, s63, v37
	s_or_b32 exec_lo, exec_lo, s39
	s_and_saveexec_b32 s39, s36
	s_cbranch_execz .LBB736_525
.LBB736_591:                            ;   in Loop: Header=BB736_398 Depth=2
	ds_read_b64 v[37:38], v106 offset:27136
	s_waitcnt lgkmcnt(0)
	v_lshrrev_b64 v[37:38], s47, v[37:38]
	v_and_b32_e32 v151, s63, v37
	s_or_b32 exec_lo, exec_lo, s39
	s_and_saveexec_b32 s39, s37
	s_cbranch_execz .LBB736_526
.LBB736_592:                            ;   in Loop: Header=BB736_398 Depth=2
	ds_read_b64 v[37:38], v106 offset:29184
	s_waitcnt lgkmcnt(0)
	v_lshrrev_b64 v[37:38], s47, v[37:38]
	v_and_b32_e32 v150, s63, v37
	s_or_b32 exec_lo, exec_lo, s39
	s_and_saveexec_b32 s39, s38
	s_cbranch_execnz .LBB736_527
	s_branch .LBB736_528
.LBB736_593:                            ;   in Loop: Header=BB736_398 Depth=2
	v_lshlrev_b32_e32 v37, 2, v165
	v_mov_b32_e32 v40, v3
	ds_read_b32 v39, v37
	ds_read_b64 v[37:38], v106 offset:512
	s_waitcnt lgkmcnt(1)
	v_add_nc_u32_e32 v39, v39, v0
	v_lshlrev_b64 v[39:40], 3, v[39:40]
	v_add_co_u32 v39, vcc_lo, s50, v39
	v_add_co_ci_u32_e64 v40, null, s51, v40, vcc_lo
	s_waitcnt lgkmcnt(0)
	global_store_dwordx2 v[39:40], v[37:38], off
	s_or_b32 exec_lo, exec_lo, s39
	s_and_saveexec_b32 s39, s23
	s_cbranch_execz .LBB736_530
.LBB736_594:                            ;   in Loop: Header=BB736_398 Depth=2
	v_lshlrev_b32_e32 v37, 2, v164
	v_mov_b32_e32 v40, v3
	ds_read_b32 v39, v37
	ds_read_b64 v[37:38], v106 offset:2560
	s_waitcnt lgkmcnt(1)
	v_add_nc_u32_e32 v39, v39, v74
	v_lshlrev_b64 v[39:40], 3, v[39:40]
	v_add_co_u32 v39, vcc_lo, s50, v39
	v_add_co_ci_u32_e64 v40, null, s51, v40, vcc_lo
	s_waitcnt lgkmcnt(0)
	global_store_dwordx2 v[39:40], v[37:38], off
	s_or_b32 exec_lo, exec_lo, s39
	s_and_saveexec_b32 s23, s24
	s_cbranch_execz .LBB736_531
.LBB736_595:                            ;   in Loop: Header=BB736_398 Depth=2
	v_lshlrev_b32_e32 v37, 2, v162
	v_mov_b32_e32 v40, v3
	ds_read_b32 v39, v37
	ds_read_b64 v[37:38], v106 offset:4608
	s_waitcnt lgkmcnt(1)
	v_add_nc_u32_e32 v39, v39, v77
	v_lshlrev_b64 v[39:40], 3, v[39:40]
	v_add_co_u32 v39, vcc_lo, s50, v39
	v_add_co_ci_u32_e64 v40, null, s51, v40, vcc_lo
	s_waitcnt lgkmcnt(0)
	global_store_dwordx2 v[39:40], v[37:38], off
	s_or_b32 exec_lo, exec_lo, s23
	s_and_saveexec_b32 s23, s25
	s_cbranch_execz .LBB736_532
.LBB736_596:                            ;   in Loop: Header=BB736_398 Depth=2
	v_lshlrev_b32_e32 v37, 2, v161
	v_mov_b32_e32 v40, v3
	ds_read_b32 v39, v37
	ds_read_b64 v[37:38], v106 offset:6656
	s_waitcnt lgkmcnt(1)
	v_add_nc_u32_e32 v39, v39, v78
	v_lshlrev_b64 v[39:40], 3, v[39:40]
	v_add_co_u32 v39, vcc_lo, s50, v39
	v_add_co_ci_u32_e64 v40, null, s51, v40, vcc_lo
	s_waitcnt lgkmcnt(0)
	global_store_dwordx2 v[39:40], v[37:38], off
	s_or_b32 exec_lo, exec_lo, s23
	s_and_saveexec_b32 s23, s26
	s_cbranch_execz .LBB736_533
.LBB736_597:                            ;   in Loop: Header=BB736_398 Depth=2
	v_lshlrev_b32_e32 v37, 2, v160
	v_mov_b32_e32 v40, v3
	ds_read_b32 v39, v37
	ds_read_b64 v[37:38], v106 offset:8704
	s_waitcnt lgkmcnt(1)
	v_add_nc_u32_e32 v39, v39, v79
	v_lshlrev_b64 v[39:40], 3, v[39:40]
	v_add_co_u32 v39, vcc_lo, s50, v39
	v_add_co_ci_u32_e64 v40, null, s51, v40, vcc_lo
	s_waitcnt lgkmcnt(0)
	global_store_dwordx2 v[39:40], v[37:38], off
	s_or_b32 exec_lo, exec_lo, s23
	s_and_saveexec_b32 s23, s27
	s_cbranch_execz .LBB736_534
.LBB736_598:                            ;   in Loop: Header=BB736_398 Depth=2
	v_lshlrev_b32_e32 v37, 2, v159
	v_mov_b32_e32 v40, v3
	ds_read_b32 v39, v37
	ds_read_b64 v[37:38], v106 offset:10752
	s_waitcnt lgkmcnt(1)
	v_add_nc_u32_e32 v39, v39, v80
	v_lshlrev_b64 v[39:40], 3, v[39:40]
	v_add_co_u32 v39, vcc_lo, s50, v39
	v_add_co_ci_u32_e64 v40, null, s51, v40, vcc_lo
	s_waitcnt lgkmcnt(0)
	global_store_dwordx2 v[39:40], v[37:38], off
	s_or_b32 exec_lo, exec_lo, s23
	s_and_saveexec_b32 s23, s28
	s_cbranch_execz .LBB736_535
.LBB736_599:                            ;   in Loop: Header=BB736_398 Depth=2
	v_lshlrev_b32_e32 v37, 2, v158
	v_mov_b32_e32 v40, v3
	ds_read_b32 v39, v37
	ds_read_b64 v[37:38], v106 offset:12800
	s_waitcnt lgkmcnt(1)
	v_add_nc_u32_e32 v39, v39, v81
	v_lshlrev_b64 v[39:40], 3, v[39:40]
	v_add_co_u32 v39, vcc_lo, s50, v39
	v_add_co_ci_u32_e64 v40, null, s51, v40, vcc_lo
	s_waitcnt lgkmcnt(0)
	global_store_dwordx2 v[39:40], v[37:38], off
	s_or_b32 exec_lo, exec_lo, s23
	s_and_saveexec_b32 s23, s29
	s_cbranch_execz .LBB736_536
.LBB736_600:                            ;   in Loop: Header=BB736_398 Depth=2
	v_lshlrev_b32_e32 v37, 2, v157
	v_mov_b32_e32 v40, v3
	ds_read_b32 v39, v37
	ds_read_b64 v[37:38], v106 offset:14848
	s_waitcnt lgkmcnt(1)
	v_add_nc_u32_e32 v39, v39, v82
	v_lshlrev_b64 v[39:40], 3, v[39:40]
	v_add_co_u32 v39, vcc_lo, s50, v39
	v_add_co_ci_u32_e64 v40, null, s51, v40, vcc_lo
	s_waitcnt lgkmcnt(0)
	global_store_dwordx2 v[39:40], v[37:38], off
	s_or_b32 exec_lo, exec_lo, s23
	s_and_saveexec_b32 s23, s30
	s_cbranch_execz .LBB736_537
.LBB736_601:                            ;   in Loop: Header=BB736_398 Depth=2
	v_lshlrev_b32_e32 v37, 2, v156
	v_mov_b32_e32 v40, v3
	ds_read_b32 v39, v37
	ds_read_b64 v[37:38], v106 offset:16896
	s_waitcnt lgkmcnt(1)
	v_add_nc_u32_e32 v39, v39, v83
	v_lshlrev_b64 v[39:40], 3, v[39:40]
	v_add_co_u32 v39, vcc_lo, s50, v39
	v_add_co_ci_u32_e64 v40, null, s51, v40, vcc_lo
	s_waitcnt lgkmcnt(0)
	global_store_dwordx2 v[39:40], v[37:38], off
	s_or_b32 exec_lo, exec_lo, s23
	s_and_saveexec_b32 s23, s31
	s_cbranch_execz .LBB736_538
.LBB736_602:                            ;   in Loop: Header=BB736_398 Depth=2
	v_lshlrev_b32_e32 v37, 2, v155
	v_mov_b32_e32 v40, v3
	ds_read_b32 v39, v37
	ds_read_b64 v[37:38], v106 offset:18944
	s_waitcnt lgkmcnt(1)
	v_add_nc_u32_e32 v39, v39, v84
	v_lshlrev_b64 v[39:40], 3, v[39:40]
	v_add_co_u32 v39, vcc_lo, s50, v39
	v_add_co_ci_u32_e64 v40, null, s51, v40, vcc_lo
	s_waitcnt lgkmcnt(0)
	global_store_dwordx2 v[39:40], v[37:38], off
	s_or_b32 exec_lo, exec_lo, s23
	s_and_saveexec_b32 s23, s33
	s_cbranch_execz .LBB736_539
.LBB736_603:                            ;   in Loop: Header=BB736_398 Depth=2
	v_lshlrev_b32_e32 v37, 2, v154
	v_mov_b32_e32 v40, v3
	ds_read_b32 v39, v37
	ds_read_b64 v[37:38], v106 offset:20992
	s_waitcnt lgkmcnt(1)
	v_add_nc_u32_e32 v39, v39, v85
	v_lshlrev_b64 v[39:40], 3, v[39:40]
	v_add_co_u32 v39, vcc_lo, s50, v39
	v_add_co_ci_u32_e64 v40, null, s51, v40, vcc_lo
	s_waitcnt lgkmcnt(0)
	global_store_dwordx2 v[39:40], v[37:38], off
	s_or_b32 exec_lo, exec_lo, s23
	s_and_saveexec_b32 s23, s34
	s_cbranch_execz .LBB736_540
.LBB736_604:                            ;   in Loop: Header=BB736_398 Depth=2
	v_lshlrev_b32_e32 v37, 2, v153
	v_mov_b32_e32 v40, v3
	ds_read_b32 v39, v37
	ds_read_b64 v[37:38], v106 offset:23040
	s_waitcnt lgkmcnt(1)
	v_add_nc_u32_e32 v39, v39, v86
	v_lshlrev_b64 v[39:40], 3, v[39:40]
	v_add_co_u32 v39, vcc_lo, s50, v39
	v_add_co_ci_u32_e64 v40, null, s51, v40, vcc_lo
	s_waitcnt lgkmcnt(0)
	global_store_dwordx2 v[39:40], v[37:38], off
	s_or_b32 exec_lo, exec_lo, s23
	s_and_saveexec_b32 s23, s35
	s_cbranch_execz .LBB736_541
.LBB736_605:                            ;   in Loop: Header=BB736_398 Depth=2
	v_lshlrev_b32_e32 v37, 2, v152
	v_mov_b32_e32 v40, v3
	ds_read_b32 v39, v37
	ds_read_b64 v[37:38], v106 offset:25088
	s_waitcnt lgkmcnt(1)
	v_add_nc_u32_e32 v39, v39, v87
	v_lshlrev_b64 v[39:40], 3, v[39:40]
	v_add_co_u32 v39, vcc_lo, s50, v39
	v_add_co_ci_u32_e64 v40, null, s51, v40, vcc_lo
	s_waitcnt lgkmcnt(0)
	global_store_dwordx2 v[39:40], v[37:38], off
	s_or_b32 exec_lo, exec_lo, s23
	s_and_saveexec_b32 s23, s36
	s_cbranch_execz .LBB736_542
.LBB736_606:                            ;   in Loop: Header=BB736_398 Depth=2
	v_lshlrev_b32_e32 v37, 2, v151
	v_mov_b32_e32 v40, v3
	ds_read_b32 v39, v37
	ds_read_b64 v[37:38], v106 offset:27136
	s_waitcnt lgkmcnt(1)
	v_add_nc_u32_e32 v39, v39, v88
	v_lshlrev_b64 v[39:40], 3, v[39:40]
	v_add_co_u32 v39, vcc_lo, s50, v39
	v_add_co_ci_u32_e64 v40, null, s51, v40, vcc_lo
	s_waitcnt lgkmcnt(0)
	global_store_dwordx2 v[39:40], v[37:38], off
	s_or_b32 exec_lo, exec_lo, s23
	s_and_saveexec_b32 s23, s37
	s_cbranch_execz .LBB736_543
.LBB736_607:                            ;   in Loop: Header=BB736_398 Depth=2
	v_lshlrev_b32_e32 v37, 2, v150
	v_mov_b32_e32 v40, v3
	ds_read_b32 v39, v37
	ds_read_b64 v[37:38], v106 offset:29184
	s_waitcnt lgkmcnt(1)
	v_add_nc_u32_e32 v39, v39, v89
	v_lshlrev_b64 v[39:40], 3, v[39:40]
	v_add_co_u32 v39, vcc_lo, s50, v39
	v_add_co_ci_u32_e64 v40, null, s51, v40, vcc_lo
	s_waitcnt lgkmcnt(0)
	global_store_dwordx2 v[39:40], v[37:38], off
	s_or_b32 exec_lo, exec_lo, s23
	s_and_saveexec_b32 s23, s38
	s_cbranch_execnz .LBB736_544
	s_branch .LBB736_545
.LBB736_608:                            ;   in Loop: Header=BB736_20 Depth=1
	s_waitcnt lgkmcnt(0)
	s_barrier
.LBB736_609:                            ;   in Loop: Header=BB736_20 Depth=1
	s_mov_b32 s5, 0
.LBB736_610:                            ;   in Loop: Header=BB736_20 Depth=1
	s_andn2_b32 vcc_lo, exec_lo, s5
	s_cbranch_vccnz .LBB736_19
; %bb.611:                              ;   in Loop: Header=BB736_20 Depth=1
	s_lshl_b32 s5, -1, s52
	s_and_b32 vcc_lo, exec_lo, s55
	s_not_b32 s52, s5
	s_mov_b32 s5, -1
	s_cbranch_vccz .LBB736_905
; %bb.612:                              ;   in Loop: Header=BB736_20 Depth=1
	s_mov_b32 s5, s62
	s_mov_b32 s56, s60
	s_barrier
	buffer_gl0_inv
                                        ; implicit-def: $vgpr5_vgpr6
                                        ; implicit-def: $vgpr7_vgpr8
                                        ; implicit-def: $vgpr9_vgpr10
                                        ; implicit-def: $vgpr11_vgpr12
                                        ; implicit-def: $vgpr13_vgpr14
                                        ; implicit-def: $vgpr15_vgpr16
                                        ; implicit-def: $vgpr17_vgpr18
                                        ; implicit-def: $vgpr19_vgpr20
                                        ; implicit-def: $vgpr21_vgpr22
                                        ; implicit-def: $vgpr23_vgpr24
                                        ; implicit-def: $vgpr25_vgpr26
                                        ; implicit-def: $vgpr27_vgpr28
                                        ; implicit-def: $vgpr29_vgpr30
                                        ; implicit-def: $vgpr31_vgpr32
                                        ; implicit-def: $vgpr33_vgpr34
                                        ; implicit-def: $vgpr35_vgpr36
	s_branch .LBB736_614
.LBB736_613:                            ;   in Loop: Header=BB736_614 Depth=2
	s_or_b32 exec_lo, exec_lo, s16
	s_addk_i32 s5, 0xf000
	s_cmp_ge_u32 s15, s61
	s_mov_b32 s56, s15
	s_cbranch_scc1 .LBB736_682
.LBB736_614:                            ;   Parent Loop BB736_20 Depth=1
                                        ; =>  This Inner Loop Header: Depth=2
	s_add_i32 s15, s56, 0x1000
	s_mov_b32 s16, -1
	s_cmp_gt_u32 s15, s61
                                        ; implicit-def: $vgpr47_vgpr48
                                        ; implicit-def: $vgpr51_vgpr52
                                        ; implicit-def: $vgpr55_vgpr56
                                        ; implicit-def: $vgpr37_vgpr38
                                        ; implicit-def: $vgpr39_vgpr40
                                        ; implicit-def: $vgpr41_vgpr42
                                        ; implicit-def: $vgpr43_vgpr44
                                        ; implicit-def: $vgpr45_vgpr46
                                        ; implicit-def: $vgpr49_vgpr50
                                        ; implicit-def: $vgpr53_vgpr54
                                        ; implicit-def: $vgpr57_vgpr58
                                        ; implicit-def: $vgpr59_vgpr60
                                        ; implicit-def: $vgpr61_vgpr62
                                        ; implicit-def: $vgpr63_vgpr64
                                        ; implicit-def: $vgpr65_vgpr66
                                        ; implicit-def: $vgpr67_vgpr68
	s_cbranch_scc1 .LBB736_616
; %bb.615:                              ;   in Loop: Header=BB736_614 Depth=2
	s_lshl_b64 s[16:17], s[56:57], 3
	v_add_co_u32 v47, vcc_lo, v113, s16
	v_add_co_ci_u32_e64 v48, null, s17, v114, vcc_lo
	s_mov_b32 s16, 0
	v_add_co_u32 v55, vcc_lo, v47, 0x1000
	v_add_co_ci_u32_e64 v56, null, 0, v48, vcc_lo
	v_add_co_u32 v39, vcc_lo, v47, 0x2000
	v_add_co_ci_u32_e64 v40, null, 0, v48, vcc_lo
	;; [unrolled: 2-line block ×5, first 2 shown]
	s_clause 0x7
	global_load_dwordx2 v[37:38], v[39:40], off offset:-2048
	global_load_dwordx2 v[39:40], v[39:40], off
	global_load_dwordx2 v[41:42], v[43:44], off offset:-2048
	global_load_dwordx2 v[43:44], v[43:44], off
	;; [unrolled: 2-line block ×4, first 2 shown]
	v_add_co_u32 v51, vcc_lo, v47, 0x6000
	v_add_co_ci_u32_e64 v52, null, 0, v48, vcc_lo
	v_add_co_u32 v65, vcc_lo, v47, 0x7000
	v_add_co_ci_u32_e64 v66, null, 0, v48, vcc_lo
	;; [unrolled: 2-line block ×3, first 2 shown]
	s_clause 0x7
	global_load_dwordx2 v[59:60], v[51:52], off offset:-2048
	global_load_dwordx2 v[61:62], v[51:52], off
	global_load_dwordx2 v[63:64], v[65:66], off offset:-2048
	global_load_dwordx2 v[65:66], v[65:66], off
	global_load_dwordx2 v[47:48], v[47:48], off
	global_load_dwordx2 v[51:52], v[55:56], off offset:-2048
	global_load_dwordx2 v[55:56], v[55:56], off
	global_load_dwordx2 v[67:68], v[67:68], off
.LBB736_616:                            ;   in Loop: Header=BB736_614 Depth=2
	s_andn2_b32 vcc_lo, exec_lo, s16
	s_movk_i32 s16, 0x1000
	s_cbranch_vccnz .LBB736_635
; %bb.617:                              ;   in Loop: Header=BB736_614 Depth=2
	s_lshl_b64 s[16:17], s[56:57], 3
	s_mov_b32 s18, exec_lo
	s_add_u32 s16, s40, s16
	s_addc_u32 s17, s41, s17
	v_cmpx_gt_u32_e64 s5, v0
	s_cbranch_execnz .LBB736_667
; %bb.618:                              ;   in Loop: Header=BB736_614 Depth=2
	s_or_b32 exec_lo, exec_lo, s18
	s_mov_b32 s18, exec_lo
	v_cmpx_gt_u32_e64 s5, v74
	s_cbranch_execnz .LBB736_668
.LBB736_619:                            ;   in Loop: Header=BB736_614 Depth=2
	s_or_b32 exec_lo, exec_lo, s18
	s_mov_b32 s18, exec_lo
	v_cmpx_gt_u32_e64 s5, v77
	s_cbranch_execnz .LBB736_669
.LBB736_620:                            ;   in Loop: Header=BB736_614 Depth=2
	s_or_b32 exec_lo, exec_lo, s18
	s_mov_b32 s18, exec_lo
	v_cmpx_gt_u32_e64 s5, v78
	s_cbranch_execnz .LBB736_670
.LBB736_621:                            ;   in Loop: Header=BB736_614 Depth=2
	s_or_b32 exec_lo, exec_lo, s18
	s_mov_b32 s18, exec_lo
	v_cmpx_gt_u32_e64 s5, v79
	s_cbranch_execnz .LBB736_671
.LBB736_622:                            ;   in Loop: Header=BB736_614 Depth=2
	s_or_b32 exec_lo, exec_lo, s18
	s_mov_b32 s18, exec_lo
	v_cmpx_gt_u32_e64 s5, v80
	s_cbranch_execnz .LBB736_672
.LBB736_623:                            ;   in Loop: Header=BB736_614 Depth=2
	s_or_b32 exec_lo, exec_lo, s18
	s_mov_b32 s18, exec_lo
	v_cmpx_gt_u32_e64 s5, v81
	s_cbranch_execnz .LBB736_673
.LBB736_624:                            ;   in Loop: Header=BB736_614 Depth=2
	s_or_b32 exec_lo, exec_lo, s18
	s_mov_b32 s18, exec_lo
	v_cmpx_gt_u32_e64 s5, v82
	s_cbranch_execnz .LBB736_674
.LBB736_625:                            ;   in Loop: Header=BB736_614 Depth=2
	s_or_b32 exec_lo, exec_lo, s18
	s_mov_b32 s18, exec_lo
	v_cmpx_gt_u32_e64 s5, v83
	s_cbranch_execnz .LBB736_675
.LBB736_626:                            ;   in Loop: Header=BB736_614 Depth=2
	s_or_b32 exec_lo, exec_lo, s18
	s_mov_b32 s18, exec_lo
	v_cmpx_gt_u32_e64 s5, v84
	s_cbranch_execnz .LBB736_676
.LBB736_627:                            ;   in Loop: Header=BB736_614 Depth=2
	s_or_b32 exec_lo, exec_lo, s18
	s_mov_b32 s18, exec_lo
	v_cmpx_gt_u32_e64 s5, v85
	s_cbranch_execnz .LBB736_677
.LBB736_628:                            ;   in Loop: Header=BB736_614 Depth=2
	s_or_b32 exec_lo, exec_lo, s18
	s_mov_b32 s18, exec_lo
	v_cmpx_gt_u32_e64 s5, v86
	s_cbranch_execnz .LBB736_678
.LBB736_629:                            ;   in Loop: Header=BB736_614 Depth=2
	s_or_b32 exec_lo, exec_lo, s18
	s_mov_b32 s18, exec_lo
	v_cmpx_gt_u32_e64 s5, v87
	s_cbranch_execnz .LBB736_679
.LBB736_630:                            ;   in Loop: Header=BB736_614 Depth=2
	s_or_b32 exec_lo, exec_lo, s18
	s_mov_b32 s18, exec_lo
	v_cmpx_gt_u32_e64 s5, v88
	s_cbranch_execnz .LBB736_680
.LBB736_631:                            ;   in Loop: Header=BB736_614 Depth=2
	s_or_b32 exec_lo, exec_lo, s18
	s_mov_b32 s18, exec_lo
	v_cmpx_gt_u32_e64 s5, v89
	s_cbranch_execnz .LBB736_681
.LBB736_632:                            ;   in Loop: Header=BB736_614 Depth=2
	s_or_b32 exec_lo, exec_lo, s18
	s_mov_b32 s18, exec_lo
	v_cmpx_gt_u32_e64 s5, v90
	s_cbranch_execz .LBB736_634
.LBB736_633:                            ;   in Loop: Header=BB736_614 Depth=2
	v_lshlrev_b32_e32 v5, 3, v90
	global_load_dwordx2 v[5:6], v5, s[16:17]
.LBB736_634:                            ;   in Loop: Header=BB736_614 Depth=2
	s_or_b32 exec_lo, exec_lo, s18
	s_waitcnt vmcnt(0)
	v_mov_b32_e32 v48, v36
	v_mov_b32_e32 v52, v34
	;; [unrolled: 1-line block ×32, first 2 shown]
	s_mov_b32 s16, s5
.LBB736_635:                            ;   in Loop: Header=BB736_614 Depth=2
	s_waitcnt vmcnt(0)
	v_mov_b32_e32 v5, v67
	v_mov_b32_e32 v7, v65
	;; [unrolled: 1-line block ×32, first 2 shown]
	s_mov_b32 s17, exec_lo
	v_cmpx_gt_u32_e64 s16, v0
	s_cbranch_execnz .LBB736_651
; %bb.636:                              ;   in Loop: Header=BB736_614 Depth=2
	s_or_b32 exec_lo, exec_lo, s17
	s_mov_b32 s17, exec_lo
	v_cmpx_gt_u32_e64 s16, v74
	s_cbranch_execnz .LBB736_652
.LBB736_637:                            ;   in Loop: Header=BB736_614 Depth=2
	s_or_b32 exec_lo, exec_lo, s17
	s_mov_b32 s17, exec_lo
	v_cmpx_gt_u32_e64 s16, v77
	s_cbranch_execnz .LBB736_653
.LBB736_638:                            ;   in Loop: Header=BB736_614 Depth=2
	s_or_b32 exec_lo, exec_lo, s17
	s_mov_b32 s17, exec_lo
	v_cmpx_gt_u32_e64 s16, v78
	s_cbranch_execnz .LBB736_654
.LBB736_639:                            ;   in Loop: Header=BB736_614 Depth=2
	s_or_b32 exec_lo, exec_lo, s17
	s_mov_b32 s17, exec_lo
	v_cmpx_gt_u32_e64 s16, v79
	s_cbranch_execnz .LBB736_655
.LBB736_640:                            ;   in Loop: Header=BB736_614 Depth=2
	s_or_b32 exec_lo, exec_lo, s17
	s_mov_b32 s17, exec_lo
	v_cmpx_gt_u32_e64 s16, v80
	s_cbranch_execnz .LBB736_656
.LBB736_641:                            ;   in Loop: Header=BB736_614 Depth=2
	s_or_b32 exec_lo, exec_lo, s17
	s_mov_b32 s17, exec_lo
	v_cmpx_gt_u32_e64 s16, v81
	s_cbranch_execnz .LBB736_657
.LBB736_642:                            ;   in Loop: Header=BB736_614 Depth=2
	s_or_b32 exec_lo, exec_lo, s17
	s_mov_b32 s17, exec_lo
	v_cmpx_gt_u32_e64 s16, v82
	s_cbranch_execnz .LBB736_658
.LBB736_643:                            ;   in Loop: Header=BB736_614 Depth=2
	s_or_b32 exec_lo, exec_lo, s17
	s_mov_b32 s17, exec_lo
	v_cmpx_gt_u32_e64 s16, v83
	s_cbranch_execnz .LBB736_659
.LBB736_644:                            ;   in Loop: Header=BB736_614 Depth=2
	s_or_b32 exec_lo, exec_lo, s17
	s_mov_b32 s17, exec_lo
	v_cmpx_gt_u32_e64 s16, v84
	s_cbranch_execnz .LBB736_660
.LBB736_645:                            ;   in Loop: Header=BB736_614 Depth=2
	s_or_b32 exec_lo, exec_lo, s17
	s_mov_b32 s17, exec_lo
	v_cmpx_gt_u32_e64 s16, v85
	s_cbranch_execnz .LBB736_661
.LBB736_646:                            ;   in Loop: Header=BB736_614 Depth=2
	s_or_b32 exec_lo, exec_lo, s17
	s_mov_b32 s17, exec_lo
	v_cmpx_gt_u32_e64 s16, v86
	s_cbranch_execnz .LBB736_662
.LBB736_647:                            ;   in Loop: Header=BB736_614 Depth=2
	s_or_b32 exec_lo, exec_lo, s17
	s_mov_b32 s17, exec_lo
	v_cmpx_gt_u32_e64 s16, v87
	s_cbranch_execnz .LBB736_663
.LBB736_648:                            ;   in Loop: Header=BB736_614 Depth=2
	s_or_b32 exec_lo, exec_lo, s17
	s_mov_b32 s17, exec_lo
	v_cmpx_gt_u32_e64 s16, v88
	s_cbranch_execnz .LBB736_664
.LBB736_649:                            ;   in Loop: Header=BB736_614 Depth=2
	s_or_b32 exec_lo, exec_lo, s17
	s_mov_b32 s17, exec_lo
	v_cmpx_gt_u32_e64 s16, v89
	s_cbranch_execnz .LBB736_665
.LBB736_650:                            ;   in Loop: Header=BB736_614 Depth=2
	s_or_b32 exec_lo, exec_lo, s17
	v_cmp_gt_u32_e32 vcc_lo, s16, v90
	s_and_saveexec_b32 s16, vcc_lo
	s_cbranch_execz .LBB736_613
	s_branch .LBB736_666
.LBB736_651:                            ;   in Loop: Header=BB736_614 Depth=2
	v_xor_b32_e32 v38, 0x7fffffff, v36
	v_not_b32_e32 v37, v35
	v_lshrrev_b64 v[37:38], s46, v[37:38]
	v_and_b32_e32 v37, s52, v37
	v_lshl_or_b32 v37, v37, 4, v91
	ds_add_u32 v37, v119
	s_or_b32 exec_lo, exec_lo, s17
	s_mov_b32 s17, exec_lo
	v_cmpx_gt_u32_e64 s16, v74
	s_cbranch_execz .LBB736_637
.LBB736_652:                            ;   in Loop: Header=BB736_614 Depth=2
	v_xor_b32_e32 v38, 0x7fffffff, v34
	v_not_b32_e32 v37, v33
	v_lshrrev_b64 v[37:38], s46, v[37:38]
	v_and_b32_e32 v37, s52, v37
	v_lshl_or_b32 v37, v37, 4, v91
	ds_add_u32 v37, v119
	s_or_b32 exec_lo, exec_lo, s17
	s_mov_b32 s17, exec_lo
	v_cmpx_gt_u32_e64 s16, v77
	s_cbranch_execz .LBB736_638
.LBB736_653:                            ;   in Loop: Header=BB736_614 Depth=2
	v_xor_b32_e32 v38, 0x7fffffff, v32
	v_not_b32_e32 v37, v31
	v_lshrrev_b64 v[37:38], s46, v[37:38]
	v_and_b32_e32 v37, s52, v37
	v_lshl_or_b32 v37, v37, 4, v91
	ds_add_u32 v37, v119
	s_or_b32 exec_lo, exec_lo, s17
	s_mov_b32 s17, exec_lo
	v_cmpx_gt_u32_e64 s16, v78
	s_cbranch_execz .LBB736_639
.LBB736_654:                            ;   in Loop: Header=BB736_614 Depth=2
	v_xor_b32_e32 v38, 0x7fffffff, v30
	v_not_b32_e32 v37, v29
	v_lshrrev_b64 v[37:38], s46, v[37:38]
	v_and_b32_e32 v37, s52, v37
	v_lshl_or_b32 v37, v37, 4, v91
	ds_add_u32 v37, v119
	s_or_b32 exec_lo, exec_lo, s17
	s_mov_b32 s17, exec_lo
	v_cmpx_gt_u32_e64 s16, v79
	s_cbranch_execz .LBB736_640
.LBB736_655:                            ;   in Loop: Header=BB736_614 Depth=2
	v_xor_b32_e32 v38, 0x7fffffff, v28
	v_not_b32_e32 v37, v27
	v_lshrrev_b64 v[37:38], s46, v[37:38]
	v_and_b32_e32 v37, s52, v37
	v_lshl_or_b32 v37, v37, 4, v91
	ds_add_u32 v37, v119
	s_or_b32 exec_lo, exec_lo, s17
	s_mov_b32 s17, exec_lo
	v_cmpx_gt_u32_e64 s16, v80
	s_cbranch_execz .LBB736_641
.LBB736_656:                            ;   in Loop: Header=BB736_614 Depth=2
	v_xor_b32_e32 v38, 0x7fffffff, v26
	v_not_b32_e32 v37, v25
	v_lshrrev_b64 v[37:38], s46, v[37:38]
	v_and_b32_e32 v37, s52, v37
	v_lshl_or_b32 v37, v37, 4, v91
	ds_add_u32 v37, v119
	s_or_b32 exec_lo, exec_lo, s17
	s_mov_b32 s17, exec_lo
	v_cmpx_gt_u32_e64 s16, v81
	s_cbranch_execz .LBB736_642
.LBB736_657:                            ;   in Loop: Header=BB736_614 Depth=2
	v_xor_b32_e32 v38, 0x7fffffff, v24
	v_not_b32_e32 v37, v23
	v_lshrrev_b64 v[37:38], s46, v[37:38]
	v_and_b32_e32 v37, s52, v37
	v_lshl_or_b32 v37, v37, 4, v91
	ds_add_u32 v37, v119
	s_or_b32 exec_lo, exec_lo, s17
	s_mov_b32 s17, exec_lo
	v_cmpx_gt_u32_e64 s16, v82
	s_cbranch_execz .LBB736_643
.LBB736_658:                            ;   in Loop: Header=BB736_614 Depth=2
	v_xor_b32_e32 v38, 0x7fffffff, v22
	v_not_b32_e32 v37, v21
	v_lshrrev_b64 v[37:38], s46, v[37:38]
	v_and_b32_e32 v37, s52, v37
	v_lshl_or_b32 v37, v37, 4, v91
	ds_add_u32 v37, v119
	s_or_b32 exec_lo, exec_lo, s17
	s_mov_b32 s17, exec_lo
	v_cmpx_gt_u32_e64 s16, v83
	s_cbranch_execz .LBB736_644
.LBB736_659:                            ;   in Loop: Header=BB736_614 Depth=2
	v_xor_b32_e32 v38, 0x7fffffff, v20
	v_not_b32_e32 v37, v19
	v_lshrrev_b64 v[37:38], s46, v[37:38]
	v_and_b32_e32 v37, s52, v37
	v_lshl_or_b32 v37, v37, 4, v91
	ds_add_u32 v37, v119
	s_or_b32 exec_lo, exec_lo, s17
	s_mov_b32 s17, exec_lo
	v_cmpx_gt_u32_e64 s16, v84
	s_cbranch_execz .LBB736_645
.LBB736_660:                            ;   in Loop: Header=BB736_614 Depth=2
	v_xor_b32_e32 v38, 0x7fffffff, v18
	v_not_b32_e32 v37, v17
	v_lshrrev_b64 v[37:38], s46, v[37:38]
	v_and_b32_e32 v37, s52, v37
	v_lshl_or_b32 v37, v37, 4, v91
	ds_add_u32 v37, v119
	s_or_b32 exec_lo, exec_lo, s17
	s_mov_b32 s17, exec_lo
	v_cmpx_gt_u32_e64 s16, v85
	s_cbranch_execz .LBB736_646
.LBB736_661:                            ;   in Loop: Header=BB736_614 Depth=2
	v_xor_b32_e32 v38, 0x7fffffff, v16
	v_not_b32_e32 v37, v15
	v_lshrrev_b64 v[37:38], s46, v[37:38]
	v_and_b32_e32 v37, s52, v37
	v_lshl_or_b32 v37, v37, 4, v91
	ds_add_u32 v37, v119
	s_or_b32 exec_lo, exec_lo, s17
	s_mov_b32 s17, exec_lo
	v_cmpx_gt_u32_e64 s16, v86
	s_cbranch_execz .LBB736_647
.LBB736_662:                            ;   in Loop: Header=BB736_614 Depth=2
	v_xor_b32_e32 v38, 0x7fffffff, v14
	v_not_b32_e32 v37, v13
	v_lshrrev_b64 v[37:38], s46, v[37:38]
	v_and_b32_e32 v37, s52, v37
	v_lshl_or_b32 v37, v37, 4, v91
	ds_add_u32 v37, v119
	s_or_b32 exec_lo, exec_lo, s17
	s_mov_b32 s17, exec_lo
	v_cmpx_gt_u32_e64 s16, v87
	s_cbranch_execz .LBB736_648
.LBB736_663:                            ;   in Loop: Header=BB736_614 Depth=2
	v_xor_b32_e32 v38, 0x7fffffff, v12
	v_not_b32_e32 v37, v11
	v_lshrrev_b64 v[37:38], s46, v[37:38]
	v_and_b32_e32 v37, s52, v37
	v_lshl_or_b32 v37, v37, 4, v91
	ds_add_u32 v37, v119
	s_or_b32 exec_lo, exec_lo, s17
	s_mov_b32 s17, exec_lo
	v_cmpx_gt_u32_e64 s16, v88
	s_cbranch_execz .LBB736_649
.LBB736_664:                            ;   in Loop: Header=BB736_614 Depth=2
	v_xor_b32_e32 v38, 0x7fffffff, v10
	v_not_b32_e32 v37, v9
	v_lshrrev_b64 v[37:38], s46, v[37:38]
	v_and_b32_e32 v37, s52, v37
	v_lshl_or_b32 v37, v37, 4, v91
	ds_add_u32 v37, v119
	s_or_b32 exec_lo, exec_lo, s17
	s_mov_b32 s17, exec_lo
	v_cmpx_gt_u32_e64 s16, v89
	s_cbranch_execz .LBB736_650
.LBB736_665:                            ;   in Loop: Header=BB736_614 Depth=2
	v_xor_b32_e32 v38, 0x7fffffff, v8
	v_not_b32_e32 v37, v7
	v_lshrrev_b64 v[37:38], s46, v[37:38]
	v_and_b32_e32 v37, s52, v37
	v_lshl_or_b32 v37, v37, 4, v91
	ds_add_u32 v37, v119
	s_or_b32 exec_lo, exec_lo, s17
	v_cmp_gt_u32_e32 vcc_lo, s16, v90
	s_and_saveexec_b32 s16, vcc_lo
	s_cbranch_execz .LBB736_613
.LBB736_666:                            ;   in Loop: Header=BB736_614 Depth=2
	v_xor_b32_e32 v38, 0x7fffffff, v6
	v_not_b32_e32 v37, v5
	v_lshrrev_b64 v[37:38], s46, v[37:38]
	v_and_b32_e32 v37, s52, v37
	v_lshl_or_b32 v37, v37, 4, v91
	ds_add_u32 v37, v119
	s_branch .LBB736_613
.LBB736_667:                            ;   in Loop: Header=BB736_614 Depth=2
	global_load_dwordx2 v[35:36], v120, s[16:17]
	s_or_b32 exec_lo, exec_lo, s18
	s_mov_b32 s18, exec_lo
	v_cmpx_gt_u32_e64 s5, v74
	s_cbranch_execz .LBB736_619
.LBB736_668:                            ;   in Loop: Header=BB736_614 Depth=2
	global_load_dwordx2 v[33:34], v121, s[16:17]
	s_or_b32 exec_lo, exec_lo, s18
	s_mov_b32 s18, exec_lo
	v_cmpx_gt_u32_e64 s5, v77
	s_cbranch_execz .LBB736_620
.LBB736_669:                            ;   in Loop: Header=BB736_614 Depth=2
	global_load_dwordx2 v[31:32], v122, s[16:17]
	s_or_b32 exec_lo, exec_lo, s18
	s_mov_b32 s18, exec_lo
	v_cmpx_gt_u32_e64 s5, v78
	s_cbranch_execz .LBB736_621
.LBB736_670:                            ;   in Loop: Header=BB736_614 Depth=2
	global_load_dwordx2 v[29:30], v123, s[16:17]
	s_or_b32 exec_lo, exec_lo, s18
	s_mov_b32 s18, exec_lo
	v_cmpx_gt_u32_e64 s5, v79
	s_cbranch_execz .LBB736_622
.LBB736_671:                            ;   in Loop: Header=BB736_614 Depth=2
	global_load_dwordx2 v[27:28], v124, s[16:17]
	s_or_b32 exec_lo, exec_lo, s18
	s_mov_b32 s18, exec_lo
	v_cmpx_gt_u32_e64 s5, v80
	s_cbranch_execz .LBB736_623
.LBB736_672:                            ;   in Loop: Header=BB736_614 Depth=2
	global_load_dwordx2 v[25:26], v125, s[16:17]
	s_or_b32 exec_lo, exec_lo, s18
	s_mov_b32 s18, exec_lo
	v_cmpx_gt_u32_e64 s5, v81
	s_cbranch_execz .LBB736_624
.LBB736_673:                            ;   in Loop: Header=BB736_614 Depth=2
	v_lshlrev_b32_e32 v23, 3, v81
	global_load_dwordx2 v[23:24], v23, s[16:17]
	s_or_b32 exec_lo, exec_lo, s18
	s_mov_b32 s18, exec_lo
	v_cmpx_gt_u32_e64 s5, v82
	s_cbranch_execz .LBB736_625
.LBB736_674:                            ;   in Loop: Header=BB736_614 Depth=2
	v_lshlrev_b32_e32 v21, 3, v82
	global_load_dwordx2 v[21:22], v21, s[16:17]
	s_or_b32 exec_lo, exec_lo, s18
	s_mov_b32 s18, exec_lo
	v_cmpx_gt_u32_e64 s5, v83
	s_cbranch_execz .LBB736_626
.LBB736_675:                            ;   in Loop: Header=BB736_614 Depth=2
	v_lshlrev_b32_e32 v19, 3, v83
	global_load_dwordx2 v[19:20], v19, s[16:17]
	s_or_b32 exec_lo, exec_lo, s18
	s_mov_b32 s18, exec_lo
	v_cmpx_gt_u32_e64 s5, v84
	s_cbranch_execz .LBB736_627
.LBB736_676:                            ;   in Loop: Header=BB736_614 Depth=2
	v_lshlrev_b32_e32 v17, 3, v84
	global_load_dwordx2 v[17:18], v17, s[16:17]
	s_or_b32 exec_lo, exec_lo, s18
	s_mov_b32 s18, exec_lo
	v_cmpx_gt_u32_e64 s5, v85
	s_cbranch_execz .LBB736_628
.LBB736_677:                            ;   in Loop: Header=BB736_614 Depth=2
	v_lshlrev_b32_e32 v15, 3, v85
	global_load_dwordx2 v[15:16], v15, s[16:17]
	s_or_b32 exec_lo, exec_lo, s18
	s_mov_b32 s18, exec_lo
	v_cmpx_gt_u32_e64 s5, v86
	s_cbranch_execz .LBB736_629
.LBB736_678:                            ;   in Loop: Header=BB736_614 Depth=2
	v_lshlrev_b32_e32 v13, 3, v86
	global_load_dwordx2 v[13:14], v13, s[16:17]
	s_or_b32 exec_lo, exec_lo, s18
	s_mov_b32 s18, exec_lo
	v_cmpx_gt_u32_e64 s5, v87
	s_cbranch_execz .LBB736_630
.LBB736_679:                            ;   in Loop: Header=BB736_614 Depth=2
	v_lshlrev_b32_e32 v11, 3, v87
	global_load_dwordx2 v[11:12], v11, s[16:17]
	s_or_b32 exec_lo, exec_lo, s18
	s_mov_b32 s18, exec_lo
	v_cmpx_gt_u32_e64 s5, v88
	s_cbranch_execz .LBB736_631
.LBB736_680:                            ;   in Loop: Header=BB736_614 Depth=2
	v_lshlrev_b32_e32 v9, 3, v88
	global_load_dwordx2 v[9:10], v9, s[16:17]
	s_or_b32 exec_lo, exec_lo, s18
	s_mov_b32 s18, exec_lo
	v_cmpx_gt_u32_e64 s5, v89
	s_cbranch_execz .LBB736_632
.LBB736_681:                            ;   in Loop: Header=BB736_614 Depth=2
	v_lshlrev_b32_e32 v7, 3, v89
	global_load_dwordx2 v[7:8], v7, s[16:17]
	s_or_b32 exec_lo, exec_lo, s18
	s_mov_b32 s18, exec_lo
	v_cmpx_gt_u32_e64 s5, v90
	s_cbranch_execnz .LBB736_633
	s_branch .LBB736_634
.LBB736_682:                            ;   in Loop: Header=BB736_20 Depth=1
	v_mov_b32_e32 v5, 0
	s_waitcnt lgkmcnt(0)
	s_barrier
	buffer_gl0_inv
	s_and_saveexec_b32 s5, s8
	s_cbranch_execz .LBB736_684
; %bb.683:                              ;   in Loop: Header=BB736_20 Depth=1
	ds_read2_b64 v[5:8], v93 offset1:1
	s_waitcnt lgkmcnt(0)
	v_add_nc_u32_e32 v5, v6, v5
	v_add3_u32 v5, v5, v7, v8
.LBB736_684:                            ;   in Loop: Header=BB736_20 Depth=1
	s_or_b32 exec_lo, exec_lo, s5
	v_and_b32_e32 v6, 15, v126
	v_mov_b32_dpp v7, v5 row_shr:1 row_mask:0xf bank_mask:0xf
	v_and_b32_e32 v8, 16, v126
	v_cmp_eq_u32_e64 s5, 0, v6
	v_cmp_lt_u32_e64 s15, 1, v6
	v_cmp_lt_u32_e64 s16, 3, v6
	;; [unrolled: 1-line block ×3, first 2 shown]
	v_cmp_eq_u32_e64 s18, 0, v8
	v_cndmask_b32_e64 v7, v7, 0, s5
	v_add_nc_u32_e32 v5, v7, v5
	v_mov_b32_dpp v7, v5 row_shr:2 row_mask:0xf bank_mask:0xf
	v_cndmask_b32_e64 v7, 0, v7, s15
	v_add_nc_u32_e32 v5, v5, v7
	v_mov_b32_dpp v7, v5 row_shr:4 row_mask:0xf bank_mask:0xf
	;; [unrolled: 3-line block ×3, first 2 shown]
	v_cndmask_b32_e64 v6, 0, v7, s17
	v_bfe_i32 v7, v126, 4, 1
	v_add_nc_u32_e32 v5, v5, v6
	ds_swizzle_b32 v6, v5 offset:swizzle(BROADCAST,32,15)
	s_waitcnt lgkmcnt(0)
	v_and_b32_e32 v6, v7, v6
	v_add_nc_u32_e32 v5, v5, v6
	s_and_saveexec_b32 s19, s9
; %bb.685:                              ;   in Loop: Header=BB736_20 Depth=1
	ds_write_b32 v94, v5
; %bb.686:                              ;   in Loop: Header=BB736_20 Depth=1
	s_or_b32 exec_lo, exec_lo, s19
	s_waitcnt lgkmcnt(0)
	s_barrier
	buffer_gl0_inv
	s_and_saveexec_b32 s19, s10
	s_cbranch_execz .LBB736_688
; %bb.687:                              ;   in Loop: Header=BB736_20 Depth=1
	ds_read_b32 v6, v95
	v_and_b32_e32 v7, 3, v126
	v_cmp_ne_u32_e32 vcc_lo, 0, v7
	s_waitcnt lgkmcnt(0)
	v_mov_b32_dpp v8, v6 row_shr:1 row_mask:0xf bank_mask:0xf
	v_cndmask_b32_e32 v8, 0, v8, vcc_lo
	v_cmp_lt_u32_e32 vcc_lo, 1, v7
	v_add_nc_u32_e32 v6, v8, v6
	v_mov_b32_dpp v8, v6 row_shr:2 row_mask:0xf bank_mask:0xf
	v_cndmask_b32_e32 v7, 0, v8, vcc_lo
	v_add_nc_u32_e32 v6, v6, v7
	ds_write_b32 v95, v6
.LBB736_688:                            ;   in Loop: Header=BB736_20 Depth=1
	s_or_b32 exec_lo, exec_lo, s19
	v_mov_b32_e32 v6, 0
	s_waitcnt lgkmcnt(0)
	s_barrier
	buffer_gl0_inv
	s_and_saveexec_b32 s19, s11
; %bb.689:                              ;   in Loop: Header=BB736_20 Depth=1
	ds_read_b32 v6, v96
; %bb.690:                              ;   in Loop: Header=BB736_20 Depth=1
	s_or_b32 exec_lo, exec_lo, s19
	v_sub_co_u32 v7, s19, v126, 1
	s_waitcnt lgkmcnt(0)
	v_add_nc_u32_e32 v5, v6, v5
	s_barrier
	v_cmp_gt_i32_e32 vcc_lo, 0, v7
	buffer_gl0_inv
	v_cndmask_b32_e32 v7, v7, v126, vcc_lo
	v_lshlrev_b32_e32 v127, 2, v7
	ds_bpermute_b32 v5, v127, v5
	s_and_saveexec_b32 s20, s8
	s_cbranch_execz .LBB736_692
; %bb.691:                              ;   in Loop: Header=BB736_20 Depth=1
	s_waitcnt lgkmcnt(0)
	v_cndmask_b32_e64 v5, v5, v6, s19
	v_add_nc_u32_e32 v5, s60, v5
	ds_write_b32 v73, v5
.LBB736_692:                            ;   in Loop: Header=BB736_20 Depth=1
	s_or_b32 exec_lo, exec_lo, s20
	s_load_dwordx2 s[20:21], s[58:59], 0x0
	v_lshlrev_b32_e32 v8, 3, v126
	v_and_b32_e32 v7, 7, v126
	v_or_b32_e32 v128, v126, v97
	s_mov_b32 s63, s62
	s_mov_b32 s56, s60
	v_add_co_u32 v129, vcc_lo, v115, v8
	v_add_co_ci_u32_e64 v130, null, 0, v116, vcc_lo
	v_add_co_u32 v146, vcc_lo, v117, v8
	v_or_b32_e32 v131, 32, v128
	v_or_b32_e32 v132, 64, v128
	;; [unrolled: 1-line block ×8, first 2 shown]
	s_waitcnt lgkmcnt(0)
	s_cmp_lt_u32 s7, s21
	v_or_b32_e32 v139, 0x120, v128
	s_cselect_b32 s21, 14, 20
	v_or_b32_e32 v140, 0x140, v128
	s_add_u32 s22, s58, s21
	s_addc_u32 s23, s59, 0
	s_cmp_lt_u32 s6, s20
	global_load_ushort v5, v3, s[22:23]
	s_cselect_b32 s20, 12, 18
	v_or_b32_e32 v141, 0x160, v128
	s_add_u32 s20, s58, s20
	s_addc_u32 s21, s59, 0
	v_or_b32_e32 v142, 0x180, v128
	global_load_ushort v6, v3, s[20:21]
	v_cmp_eq_u32_e64 s20, 0, v7
	v_cmp_lt_u32_e64 s21, 1, v7
	v_cmp_lt_u32_e64 s22, 3, v7
	v_or_b32_e32 v143, 0x1a0, v128
	v_or_b32_e32 v144, 0x1c0, v128
	;; [unrolled: 1-line block ×3, first 2 shown]
	v_add_co_ci_u32_e64 v147, null, 0, v118, vcc_lo
                                        ; implicit-def: $vgpr7_vgpr8
                                        ; implicit-def: $vgpr9_vgpr10
                                        ; implicit-def: $vgpr11_vgpr12
                                        ; implicit-def: $vgpr13_vgpr14
                                        ; implicit-def: $vgpr17_vgpr18
                                        ; implicit-def: $vgpr21_vgpr22
                                        ; implicit-def: $vgpr25_vgpr26
                                        ; implicit-def: $vgpr15_vgpr16
                                        ; implicit-def: $vgpr19_vgpr20
                                        ; implicit-def: $vgpr23_vgpr24
                                        ; implicit-def: $vgpr27_vgpr28
                                        ; implicit-def: $vgpr29_vgpr30
                                        ; implicit-def: $vgpr31_vgpr32
                                        ; implicit-def: $vgpr33_vgpr34
                                        ; implicit-def: $vgpr35_vgpr36
                                        ; implicit-def: $vgpr149
                                        ; implicit-def: $vgpr150
                                        ; implicit-def: $vgpr151
                                        ; implicit-def: $vgpr152
                                        ; implicit-def: $vgpr153
                                        ; implicit-def: $vgpr154
                                        ; implicit-def: $vgpr155
                                        ; implicit-def: $vgpr156
                                        ; implicit-def: $vgpr157
                                        ; implicit-def: $vgpr158
                                        ; implicit-def: $vgpr159
                                        ; implicit-def: $vgpr160
                                        ; implicit-def: $vgpr161
                                        ; implicit-def: $vgpr162
                                        ; implicit-def: $vgpr164
                                        ; implicit-def: $vgpr165
                                        ; implicit-def: $vgpr163
                                        ; implicit-def: $vgpr166
	s_waitcnt vmcnt(1)
	v_mad_u32_u24 v5, v2, v5, v1
	s_waitcnt vmcnt(0)
	v_mad_u64_u32 v[5:6], null, v5, v6, v[0:1]
	v_lshrrev_b32_e32 v5, 3, v5
	v_and_b32_e32 v148, 0x1ffffffc, v5
                                        ; implicit-def: $vgpr5_vgpr6
	s_branch .LBB736_694
.LBB736_693:                            ;   in Loop: Header=BB736_694 Depth=2
	s_or_b32 exec_lo, exec_lo, s23
	s_addk_i32 s63, 0xf000
	s_cmp_lt_u32 s64, s61
	s_mov_b32 s56, s64
	s_cbranch_scc0 .LBB736_904
.LBB736_694:                            ;   Parent Loop BB736_20 Depth=1
                                        ; =>  This Inner Loop Header: Depth=2
	s_add_i32 s64, s56, 0x1000
	s_cmp_gt_u32 s64, s61
	s_cbranch_scc1 .LBB736_696
; %bb.695:                              ;   in Loop: Header=BB736_694 Depth=2
	s_lshl_b64 s[24:25], s[56:57], 3
	s_mov_b32 s23, -1
	v_add_co_u32 v37, vcc_lo, v146, s24
	v_add_co_ci_u32_e64 v38, null, s25, v147, vcc_lo
	v_add_co_u32 v45, vcc_lo, 0x800, v37
	v_add_co_ci_u32_e64 v46, null, 0, v38, vcc_lo
	s_clause 0xe
	global_load_dwordx2 v[39:40], v[37:38], off
	global_load_dwordx2 v[41:42], v[37:38], off offset:256
	global_load_dwordx2 v[43:44], v[37:38], off offset:512
	;; [unrolled: 1-line block ×7, first 2 shown]
	global_load_dwordx2 v[67:68], v[45:46], off
	global_load_dwordx2 v[63:64], v[45:46], off offset:256
	global_load_dwordx2 v[59:60], v[45:46], off offset:512
	;; [unrolled: 1-line block ×6, first 2 shown]
	s_movk_i32 s24, 0x1000
	s_cbranch_execz .LBB736_697
	s_branch .LBB736_728
.LBB736_696:                            ;   in Loop: Header=BB736_694 Depth=2
	s_mov_b32 s23, 0
                                        ; implicit-def: $vgpr39_vgpr40
                                        ; implicit-def: $vgpr41_vgpr42
                                        ; implicit-def: $vgpr43_vgpr44
                                        ; implicit-def: $vgpr47_vgpr48
                                        ; implicit-def: $vgpr53_vgpr54
                                        ; implicit-def: $vgpr57_vgpr58
                                        ; implicit-def: $vgpr61_vgpr62
                                        ; implicit-def: $vgpr65_vgpr66
                                        ; implicit-def: $vgpr67_vgpr68
                                        ; implicit-def: $vgpr63_vgpr64
                                        ; implicit-def: $vgpr59_vgpr60
                                        ; implicit-def: $vgpr55_vgpr56
                                        ; implicit-def: $vgpr51_vgpr52
                                        ; implicit-def: $vgpr49_vgpr50
                                        ; implicit-def: $vgpr45_vgpr46
	s_movk_i32 s24, 0x1000
.LBB736_697:                            ;   in Loop: Header=BB736_694 Depth=2
	s_waitcnt vmcnt(13)
	v_mov_b32_e32 v41, v3
	v_mov_b32_e32 v42, v4
	s_lshl_b64 s[24:25], s[56:57], 3
	s_mov_b32 s23, exec_lo
	v_add_co_u32 v37, vcc_lo, v146, s24
	v_mov_b32_e32 v39, v41
	v_add_co_ci_u32_e64 v38, null, s25, v147, vcc_lo
	v_mov_b32_e32 v40, v42
	v_cmpx_gt_u32_e64 s63, v128
	s_cbranch_execz .LBB736_699
; %bb.698:                              ;   in Loop: Header=BB736_694 Depth=2
	global_load_dwordx2 v[39:40], v[37:38], off
.LBB736_699:                            ;   in Loop: Header=BB736_694 Depth=2
	s_or_b32 exec_lo, exec_lo, s23
	s_mov_b32 s23, exec_lo
	v_cmpx_gt_u32_e64 s63, v131
	s_cbranch_execz .LBB736_701
; %bb.700:                              ;   in Loop: Header=BB736_694 Depth=2
	global_load_dwordx2 v[41:42], v[37:38], off offset:256
.LBB736_701:                            ;   in Loop: Header=BB736_694 Depth=2
	s_or_b32 exec_lo, exec_lo, s23
	s_waitcnt vmcnt(12)
	v_mov_b32_e32 v44, v4
	v_mov_b32_e32 v43, v3
	s_mov_b32 s23, exec_lo
	v_cmpx_gt_u32_e64 s63, v132
	s_cbranch_execz .LBB736_703
; %bb.702:                              ;   in Loop: Header=BB736_694 Depth=2
	global_load_dwordx2 v[43:44], v[37:38], off offset:512
.LBB736_703:                            ;   in Loop: Header=BB736_694 Depth=2
	s_or_b32 exec_lo, exec_lo, s23
	s_waitcnt vmcnt(11)
	v_mov_b32_e32 v48, v4
	v_mov_b32_e32 v47, v3
	;; [unrolled: 10-line block ×7, first 2 shown]
	s_mov_b32 s23, exec_lo
	v_cmpx_gt_u32_e64 s63, v138
	s_cbranch_execz .LBB736_715
; %bb.714:                              ;   in Loop: Header=BB736_694 Depth=2
	s_waitcnt vmcnt(0)
	v_add_co_u32 v45, vcc_lo, 0x800, v37
	v_add_co_ci_u32_e64 v46, null, 0, v38, vcc_lo
	global_load_dwordx2 v[67:68], v[45:46], off
.LBB736_715:                            ;   in Loop: Header=BB736_694 Depth=2
	s_or_b32 exec_lo, exec_lo, s23
	s_waitcnt vmcnt(5)
	v_mov_b32_e32 v64, v4
	v_mov_b32_e32 v63, v3
	s_mov_b32 s23, exec_lo
	v_cmpx_gt_u32_e64 s63, v139
	s_cbranch_execz .LBB736_717
; %bb.716:                              ;   in Loop: Header=BB736_694 Depth=2
	s_waitcnt vmcnt(0)
	v_add_co_u32 v45, vcc_lo, 0x800, v37
	v_add_co_ci_u32_e64 v46, null, 0, v38, vcc_lo
	global_load_dwordx2 v[63:64], v[45:46], off offset:256
.LBB736_717:                            ;   in Loop: Header=BB736_694 Depth=2
	s_or_b32 exec_lo, exec_lo, s23
	s_waitcnt vmcnt(4)
	v_mov_b32_e32 v60, v4
	v_mov_b32_e32 v59, v3
	s_mov_b32 s23, exec_lo
	v_cmpx_gt_u32_e64 s63, v140
	s_cbranch_execz .LBB736_719
; %bb.718:                              ;   in Loop: Header=BB736_694 Depth=2
	s_waitcnt vmcnt(0)
	v_add_co_u32 v45, vcc_lo, 0x800, v37
	v_add_co_ci_u32_e64 v46, null, 0, v38, vcc_lo
	global_load_dwordx2 v[59:60], v[45:46], off offset:512
.LBB736_719:                            ;   in Loop: Header=BB736_694 Depth=2
	;; [unrolled: 13-line block ×5, first 2 shown]
	s_or_b32 exec_lo, exec_lo, s23
	s_waitcnt vmcnt(0)
	v_mov_b32_e32 v46, v4
	v_mov_b32_e32 v45, v3
	s_mov_b32 s23, exec_lo
	v_cmpx_gt_u32_e64 s63, v144
	s_cbranch_execz .LBB736_727
; %bb.726:                              ;   in Loop: Header=BB736_694 Depth=2
	v_add_co_u32 v37, vcc_lo, 0x800, v37
	v_add_co_ci_u32_e64 v38, null, 0, v38, vcc_lo
	global_load_dwordx2 v[45:46], v[37:38], off offset:1536
.LBB736_727:                            ;   in Loop: Header=BB736_694 Depth=2
	s_or_b32 exec_lo, exec_lo, s23
	v_cmp_gt_u32_e64 s23, s63, v145
	s_sub_i32 s24, s61, s56
.LBB736_728:                            ;   in Loop: Header=BB736_694 Depth=2
	v_mov_b32_e32 v37, -1
	v_mov_b32_e32 v38, -1
	v_mov_b32_e32 v167, s63
	s_and_saveexec_b32 s25, s23
	s_cbranch_execz .LBB736_730
; %bb.729:                              ;   in Loop: Header=BB736_694 Depth=2
	s_lshl_b64 s[26:27], s[56:57], 3
	v_mov_b32_e32 v167, s24
	v_add_co_u32 v37, vcc_lo, v146, s26
	v_add_co_ci_u32_e64 v38, null, s27, v147, vcc_lo
	v_add_co_u32 v37, vcc_lo, 0x800, v37
	v_add_co_ci_u32_e64 v38, null, 0, v38, vcc_lo
	global_load_dwordx2 v[37:38], v[37:38], off offset:1792
	s_waitcnt vmcnt(0)
	v_xor_b32_e32 v38, 0x7fffffff, v38
	v_not_b32_e32 v37, v37
.LBB736_730:                            ;   in Loop: Header=BB736_694 Depth=2
	s_or_b32 exec_lo, exec_lo, s25
	s_waitcnt vmcnt(14)
	v_xor_b32_e32 v40, 0x7fffffff, v40
	v_not_b32_e32 v39, v39
	ds_write2_b32 v98, v3, v3 offset0:136 offset1:137
	ds_write2_b32 v98, v3, v3 offset0:138 offset1:139
	ds_write_b32 v98, v3 offset:560
	s_waitcnt vmcnt(0) lgkmcnt(0)
	s_barrier
	v_lshrrev_b64 v[69:70], s46, v[39:40]
	buffer_gl0_inv
	; wave barrier
	v_and_b32_e32 v70, s52, v69
	v_and_b32_e32 v69, 1, v70
	v_lshlrev_b32_e32 v71, 30, v70
	v_lshlrev_b32_e32 v72, 29, v70
	;; [unrolled: 1-line block ×4, first 2 shown]
	v_add_co_u32 v69, s23, v69, -1
	v_cndmask_b32_e64 v168, 0, 1, s23
	v_not_b32_e32 v172, v71
	v_cmp_gt_i32_e64 s23, 0, v71
	v_not_b32_e32 v71, v72
	v_lshlrev_b32_e32 v171, 26, v70
	v_cmp_ne_u32_e32 vcc_lo, 0, v168
	v_ashrrev_i32_e32 v172, 31, v172
	v_lshlrev_b32_e32 v168, 25, v70
	v_ashrrev_i32_e32 v71, 31, v71
	v_mul_u32_u24_e32 v70, 36, v70
	v_xor_b32_e32 v69, vcc_lo, v69
	v_cmp_gt_i32_e32 vcc_lo, 0, v72
	v_not_b32_e32 v72, v169
	v_xor_b32_e32 v172, s23, v172
	v_cmp_gt_i32_e64 s23, 0, v169
	v_and_b32_e32 v69, exec_lo, v69
	v_not_b32_e32 v169, v170
	v_ashrrev_i32_e32 v72, 31, v72
	v_xor_b32_e32 v71, vcc_lo, v71
	v_cmp_gt_i32_e32 vcc_lo, 0, v170
	v_and_b32_e32 v69, v69, v172
	v_not_b32_e32 v170, v171
	v_ashrrev_i32_e32 v169, 31, v169
	v_xor_b32_e32 v72, s23, v72
	v_cmp_gt_i32_e64 s23, 0, v171
	v_and_b32_e32 v69, v69, v71
	v_not_b32_e32 v71, v168
	v_ashrrev_i32_e32 v170, 31, v170
	v_xor_b32_e32 v169, vcc_lo, v169
	v_cmp_gt_i32_e32 vcc_lo, 0, v168
	v_and_b32_e32 v69, v69, v72
	v_ashrrev_i32_e32 v71, 31, v71
	v_xor_b32_e32 v72, s23, v170
	v_and_b32_e32 v69, v69, v169
	v_xor_b32_e32 v71, vcc_lo, v71
	v_add_nc_u32_e32 v169, v148, v70
	v_and_b32_e32 v69, v69, v72
	v_and_b32_e32 v69, v69, v71
	v_mbcnt_lo_u32_b32 v168, v69, 0
	v_cmp_ne_u32_e64 s23, 0, v69
	v_cmp_eq_u32_e32 vcc_lo, 0, v168
	s_and_b32 s24, s23, vcc_lo
	s_and_saveexec_b32 s23, s24
; %bb.731:                              ;   in Loop: Header=BB736_694 Depth=2
	v_bcnt_u32_b32 v69, v69, 0
	ds_write_b32 v169, v69 offset:544
; %bb.732:                              ;   in Loop: Header=BB736_694 Depth=2
	s_or_b32 exec_lo, exec_lo, s23
	v_xor_b32_e32 v42, 0x7fffffff, v42
	v_not_b32_e32 v41, v41
	; wave barrier
	v_lshrrev_b64 v[69:70], s46, v[41:42]
	v_and_b32_e32 v70, s52, v69
	v_and_b32_e32 v69, 1, v70
	v_lshlrev_b32_e32 v71, 30, v70
	v_lshlrev_b32_e32 v72, 29, v70
	v_lshlrev_b32_e32 v171, 28, v70
	v_lshlrev_b32_e32 v172, 27, v70
	v_add_co_u32 v69, s23, v69, -1
	v_cndmask_b32_e64 v170, 0, 1, s23
	v_not_b32_e32 v174, v71
	v_cmp_gt_i32_e64 s23, 0, v71
	v_not_b32_e32 v71, v72
	v_lshlrev_b32_e32 v173, 26, v70
	v_cmp_ne_u32_e32 vcc_lo, 0, v170
	v_ashrrev_i32_e32 v174, 31, v174
	v_lshlrev_b32_e32 v170, 25, v70
	v_ashrrev_i32_e32 v71, 31, v71
	v_xor_b32_e32 v69, vcc_lo, v69
	v_cmp_gt_i32_e32 vcc_lo, 0, v72
	v_not_b32_e32 v72, v171
	v_xor_b32_e32 v174, s23, v174
	v_cmp_gt_i32_e64 s23, 0, v171
	v_and_b32_e32 v69, exec_lo, v69
	v_not_b32_e32 v171, v172
	v_ashrrev_i32_e32 v72, 31, v72
	v_xor_b32_e32 v71, vcc_lo, v71
	v_cmp_gt_i32_e32 vcc_lo, 0, v172
	v_and_b32_e32 v69, v69, v174
	v_not_b32_e32 v172, v173
	v_ashrrev_i32_e32 v171, 31, v171
	v_xor_b32_e32 v72, s23, v72
	v_cmp_gt_i32_e64 s23, 0, v173
	v_and_b32_e32 v69, v69, v71
	v_not_b32_e32 v71, v170
	v_ashrrev_i32_e32 v172, 31, v172
	v_xor_b32_e32 v171, vcc_lo, v171
	v_cmp_gt_i32_e32 vcc_lo, 0, v170
	v_and_b32_e32 v69, v69, v72
	v_ashrrev_i32_e32 v71, 31, v71
	v_xor_b32_e32 v72, s23, v172
	v_mad_u32_u24 v170, v70, 36, v148
	v_mul_u32_u24_e32 v70, 36, v70
	v_and_b32_e32 v69, v69, v171
	v_xor_b32_e32 v71, vcc_lo, v71
	ds_read_b32 v170, v170 offset:544
	v_add_nc_u32_e32 v172, v148, v70
	v_and_b32_e32 v69, v69, v72
	; wave barrier
	v_and_b32_e32 v69, v69, v71
	v_mbcnt_lo_u32_b32 v171, v69, 0
	v_cmp_ne_u32_e64 s23, 0, v69
	v_cmp_eq_u32_e32 vcc_lo, 0, v171
	s_and_b32 s24, s23, vcc_lo
	s_and_saveexec_b32 s23, s24
	s_cbranch_execz .LBB736_734
; %bb.733:                              ;   in Loop: Header=BB736_694 Depth=2
	s_waitcnt lgkmcnt(0)
	v_bcnt_u32_b32 v69, v69, v170
	ds_write_b32 v172, v69 offset:544
.LBB736_734:                            ;   in Loop: Header=BB736_694 Depth=2
	s_or_b32 exec_lo, exec_lo, s23
	v_xor_b32_e32 v44, 0x7fffffff, v44
	v_not_b32_e32 v43, v43
	; wave barrier
	v_lshrrev_b64 v[69:70], s46, v[43:44]
	v_and_b32_e32 v70, s52, v69
	v_and_b32_e32 v69, 1, v70
	v_lshlrev_b32_e32 v71, 30, v70
	v_lshlrev_b32_e32 v72, 29, v70
	v_lshlrev_b32_e32 v174, 28, v70
	v_lshlrev_b32_e32 v175, 27, v70
	v_add_co_u32 v69, s23, v69, -1
	v_cndmask_b32_e64 v173, 0, 1, s23
	v_not_b32_e32 v177, v71
	v_cmp_gt_i32_e64 s23, 0, v71
	v_not_b32_e32 v71, v72
	v_lshlrev_b32_e32 v176, 26, v70
	v_cmp_ne_u32_e32 vcc_lo, 0, v173
	v_ashrrev_i32_e32 v177, 31, v177
	v_lshlrev_b32_e32 v173, 25, v70
	v_ashrrev_i32_e32 v71, 31, v71
	v_xor_b32_e32 v69, vcc_lo, v69
	v_cmp_gt_i32_e32 vcc_lo, 0, v72
	v_not_b32_e32 v72, v174
	v_xor_b32_e32 v177, s23, v177
	v_cmp_gt_i32_e64 s23, 0, v174
	v_and_b32_e32 v69, exec_lo, v69
	v_not_b32_e32 v174, v175
	v_ashrrev_i32_e32 v72, 31, v72
	v_xor_b32_e32 v71, vcc_lo, v71
	v_cmp_gt_i32_e32 vcc_lo, 0, v175
	v_and_b32_e32 v69, v69, v177
	v_not_b32_e32 v175, v176
	v_ashrrev_i32_e32 v174, 31, v174
	v_xor_b32_e32 v72, s23, v72
	v_cmp_gt_i32_e64 s23, 0, v176
	v_and_b32_e32 v69, v69, v71
	v_not_b32_e32 v71, v173
	v_ashrrev_i32_e32 v175, 31, v175
	v_xor_b32_e32 v174, vcc_lo, v174
	v_cmp_gt_i32_e32 vcc_lo, 0, v173
	v_and_b32_e32 v69, v69, v72
	v_ashrrev_i32_e32 v71, 31, v71
	v_xor_b32_e32 v72, s23, v175
	v_mad_u32_u24 v173, v70, 36, v148
	v_mul_u32_u24_e32 v70, 36, v70
	v_and_b32_e32 v69, v69, v174
	v_xor_b32_e32 v71, vcc_lo, v71
	ds_read_b32 v173, v173 offset:544
	v_add_nc_u32_e32 v175, v148, v70
	v_and_b32_e32 v69, v69, v72
	; wave barrier
	v_and_b32_e32 v69, v69, v71
	v_mbcnt_lo_u32_b32 v174, v69, 0
	v_cmp_ne_u32_e64 s23, 0, v69
	v_cmp_eq_u32_e32 vcc_lo, 0, v174
	s_and_b32 s24, s23, vcc_lo
	s_and_saveexec_b32 s23, s24
	s_cbranch_execz .LBB736_736
; %bb.735:                              ;   in Loop: Header=BB736_694 Depth=2
	s_waitcnt lgkmcnt(0)
	v_bcnt_u32_b32 v69, v69, v173
	ds_write_b32 v175, v69 offset:544
.LBB736_736:                            ;   in Loop: Header=BB736_694 Depth=2
	;; [unrolled: 64-line block ×14, first 2 shown]
	s_or_b32 exec_lo, exec_lo, s23
	v_lshrrev_b64 v[69:70], s46, v[37:38]
	; wave barrier
	v_and_b32_e32 v70, s52, v69
	v_and_b32_e32 v69, 1, v70
	v_lshlrev_b32_e32 v71, 30, v70
	v_lshlrev_b32_e32 v72, 29, v70
	;; [unrolled: 1-line block ×4, first 2 shown]
	v_add_co_u32 v69, s23, v69, -1
	v_cndmask_b32_e64 v211, 0, 1, s23
	v_not_b32_e32 v216, v71
	v_cmp_gt_i32_e64 s23, 0, v71
	v_not_b32_e32 v71, v72
	v_lshlrev_b32_e32 v215, 26, v70
	v_cmp_ne_u32_e32 vcc_lo, 0, v211
	v_ashrrev_i32_e32 v216, 31, v216
	v_lshlrev_b32_e32 v211, 25, v70
	v_ashrrev_i32_e32 v71, 31, v71
	v_xor_b32_e32 v69, vcc_lo, v69
	v_cmp_gt_i32_e32 vcc_lo, 0, v72
	v_not_b32_e32 v72, v212
	v_xor_b32_e32 v216, s23, v216
	v_cmp_gt_i32_e64 s23, 0, v212
	v_and_b32_e32 v69, exec_lo, v69
	v_not_b32_e32 v212, v214
	v_ashrrev_i32_e32 v72, 31, v72
	v_xor_b32_e32 v71, vcc_lo, v71
	v_cmp_gt_i32_e32 vcc_lo, 0, v214
	v_and_b32_e32 v69, v69, v216
	v_not_b32_e32 v214, v215
	v_ashrrev_i32_e32 v212, 31, v212
	v_xor_b32_e32 v72, s23, v72
	v_cmp_gt_i32_e64 s23, 0, v215
	v_and_b32_e32 v69, v69, v71
	v_not_b32_e32 v71, v211
	v_ashrrev_i32_e32 v214, 31, v214
	v_xor_b32_e32 v212, vcc_lo, v212
	v_cmp_gt_i32_e32 vcc_lo, 0, v211
	v_and_b32_e32 v69, v69, v72
	v_ashrrev_i32_e32 v71, 31, v71
	v_xor_b32_e32 v72, s23, v214
	v_mad_u32_u24 v211, v70, 36, v148
	v_mul_u32_u24_e32 v70, 36, v70
	v_and_b32_e32 v69, v69, v212
	v_xor_b32_e32 v71, vcc_lo, v71
	ds_read_b32 v211, v211 offset:544
	v_add_nc_u32_e32 v214, v148, v70
	v_and_b32_e32 v69, v69, v72
	; wave barrier
	v_and_b32_e32 v69, v69, v71
	v_mbcnt_lo_u32_b32 v212, v69, 0
	v_cmp_ne_u32_e64 s23, 0, v69
	v_cmp_eq_u32_e32 vcc_lo, 0, v212
	s_and_b32 s24, s23, vcc_lo
	s_and_saveexec_b32 s23, s24
	s_cbranch_execz .LBB736_762
; %bb.761:                              ;   in Loop: Header=BB736_694 Depth=2
	s_waitcnt lgkmcnt(0)
	v_bcnt_u32_b32 v69, v69, v211
	ds_write_b32 v214, v69 offset:544
.LBB736_762:                            ;   in Loop: Header=BB736_694 Depth=2
	s_or_b32 exec_lo, exec_lo, s23
	; wave barrier
	s_waitcnt lgkmcnt(0)
	s_barrier
	buffer_gl0_inv
	ds_read2_b32 v[71:72], v98 offset0:136 offset1:137
	ds_read2_b32 v[69:70], v98 offset0:138 offset1:139
	ds_read_b32 v215, v98 offset:560
	s_waitcnt lgkmcnt(1)
	v_add3_u32 v216, v72, v71, v69
	s_waitcnt lgkmcnt(0)
	v_add3_u32 v215, v216, v70, v215
	v_mov_b32_dpp v216, v215 row_shr:1 row_mask:0xf bank_mask:0xf
	v_cndmask_b32_e64 v216, v216, 0, s5
	v_add_nc_u32_e32 v215, v216, v215
	v_mov_b32_dpp v216, v215 row_shr:2 row_mask:0xf bank_mask:0xf
	v_cndmask_b32_e64 v216, 0, v216, s15
	v_add_nc_u32_e32 v215, v215, v216
	;; [unrolled: 3-line block ×4, first 2 shown]
	ds_swizzle_b32 v216, v215 offset:swizzle(BROADCAST,32,15)
	s_waitcnt lgkmcnt(0)
	v_cndmask_b32_e64 v216, v216, 0, s18
	v_add_nc_u32_e32 v215, v215, v216
	s_and_saveexec_b32 s23, s4
; %bb.763:                              ;   in Loop: Header=BB736_694 Depth=2
	ds_write_b32 v92, v215 offset:512
; %bb.764:                              ;   in Loop: Header=BB736_694 Depth=2
	s_or_b32 exec_lo, exec_lo, s23
	s_waitcnt lgkmcnt(0)
	s_barrier
	buffer_gl0_inv
	s_and_saveexec_b32 s23, s12
	s_cbranch_execz .LBB736_766
; %bb.765:                              ;   in Loop: Header=BB736_694 Depth=2
	ds_read_b32 v216, v99 offset:512
	s_waitcnt lgkmcnt(0)
	v_mov_b32_dpp v217, v216 row_shr:1 row_mask:0xf bank_mask:0xf
	v_cndmask_b32_e64 v217, v217, 0, s20
	v_add_nc_u32_e32 v216, v217, v216
	v_mov_b32_dpp v217, v216 row_shr:2 row_mask:0xf bank_mask:0xf
	v_cndmask_b32_e64 v217, 0, v217, s21
	v_add_nc_u32_e32 v216, v216, v217
	v_mov_b32_dpp v217, v216 row_shr:4 row_mask:0xf bank_mask:0xf
	v_cndmask_b32_e64 v217, 0, v217, s22
	v_add_nc_u32_e32 v216, v216, v217
	ds_write_b32 v99, v216 offset:512
.LBB736_766:                            ;   in Loop: Header=BB736_694 Depth=2
	s_or_b32 exec_lo, exec_lo, s23
	v_mov_b32_e32 v216, 0
	s_waitcnt lgkmcnt(0)
	s_barrier
	buffer_gl0_inv
	s_and_saveexec_b32 s23, s11
; %bb.767:                              ;   in Loop: Header=BB736_694 Depth=2
	ds_read_b32 v216, v92 offset:508
; %bb.768:                              ;   in Loop: Header=BB736_694 Depth=2
	s_or_b32 exec_lo, exec_lo, s23
	s_waitcnt lgkmcnt(0)
	v_add_nc_u32_e32 v215, v216, v215
	ds_bpermute_b32 v215, v127, v215
	s_waitcnt lgkmcnt(0)
	v_cndmask_b32_e64 v215, v215, v216, s19
	v_cndmask_b32_e64 v215, v215, 0, s13
	v_add_nc_u32_e32 v71, v215, v71
	v_add_nc_u32_e32 v72, v71, v72
	;; [unrolled: 1-line block ×4, first 2 shown]
	ds_write2_b32 v98, v215, v71 offset0:136 offset1:137
	ds_write2_b32 v98, v72, v69 offset0:138 offset1:139
	ds_write_b32 v98, v70 offset:560
	s_waitcnt lgkmcnt(0)
	s_barrier
	buffer_gl0_inv
	ds_read_b32 v69, v169 offset:544
	ds_read_b32 v219, v172 offset:544
	;; [unrolled: 1-line block ×16, first 2 shown]
	s_and_saveexec_b32 s23, s8
	s_cbranch_execz .LBB736_772
; %bb.769:                              ;   in Loop: Header=BB736_694 Depth=2
	ds_read_b32 v163, v101 offset:544
	v_mov_b32_e32 v166, 0x1000
	s_and_saveexec_b32 s24, s14
; %bb.770:                              ;   in Loop: Header=BB736_694 Depth=2
	ds_read_b32 v166, v100 offset:544
; %bb.771:                              ;   in Loop: Header=BB736_694 Depth=2
	s_or_b32 exec_lo, exec_lo, s24
	s_waitcnt lgkmcnt(0)
	v_sub_nc_u32_e32 v166, v166, v163
.LBB736_772:                            ;   in Loop: Header=BB736_694 Depth=2
	s_or_b32 exec_lo, exec_lo, s23
	s_waitcnt lgkmcnt(0)
	s_barrier
	buffer_gl0_inv
	s_and_saveexec_b32 s23, s8
	s_cbranch_execz .LBB736_774
; %bb.773:                              ;   in Loop: Header=BB736_694 Depth=2
	ds_read_b32 v191, v73
	s_waitcnt lgkmcnt(0)
	v_sub_nc_u32_e32 v191, v191, v163
	ds_write_b32 v73, v191
.LBB736_774:                            ;   in Loop: Header=BB736_694 Depth=2
	s_or_b32 exec_lo, exec_lo, s23
	v_lshlrev_b32_e32 v168, 3, v168
	v_lshlrev_b32_e32 v171, 3, v171
	;; [unrolled: 1-line block ×5, first 2 shown]
	v_lshl_add_u32 v69, v69, 3, v168
	v_lshlrev_b32_e32 v168, 3, v173
	v_lshlrev_b32_e32 v173, 3, v70
	;; [unrolled: 1-line block ×3, first 2 shown]
	v_add3_u32 v70, v171, v170, v191
	ds_write_b64 v69, v[39:40] offset:512
	v_lshlrev_b32_e32 v40, 3, v176
	v_lshlrev_b32_e32 v170, 3, v218
	;; [unrolled: 1-line block ×8, first 2 shown]
	ds_write_b64 v70, v[41:42] offset:512
	v_add3_u32 v39, v174, v168, v173
	v_add3_u32 v40, v177, v40, v170
	;; [unrolled: 1-line block ×3, first 2 shown]
	v_lshlrev_b32_e32 v168, 3, v186
	v_lshlrev_b32_e32 v170, 3, v185
	;; [unrolled: 1-line block ×3, first 2 shown]
	v_add3_u32 v42, v180, v182, v183
	ds_write_b64 v39, v[43:44] offset:512
	ds_write_b64 v40, v[47:48] offset:512
	;; [unrolled: 1-line block ×4, first 2 shown]
	v_lshlrev_b32_e32 v44, 3, v189
	v_add3_u32 v43, v168, v170, v171
	v_lshlrev_b32_e32 v47, 3, v188
	v_lshlrev_b32_e32 v48, 3, v187
	;; [unrolled: 1-line block ×11, first 2 shown]
	v_add3_u32 v44, v44, v47, v48
	v_add3_u32 v47, v53, v54, v57
	;; [unrolled: 1-line block ×3, first 2 shown]
	v_lshlrev_b32_e32 v54, 3, v200
	v_lshlrev_b32_e32 v57, 3, v199
	;; [unrolled: 1-line block ×3, first 2 shown]
	v_add3_u32 v53, v171, v173, v174
	ds_write_b64 v43, v[61:62] offset:512
	ds_write_b64 v44, v[65:66] offset:512
	;; [unrolled: 1-line block ×5, first 2 shown]
	v_lshlrev_b32_e32 v59, 3, v172
	v_add3_u32 v54, v54, v57, v58
	v_lshlrev_b32_e32 v57, 3, v203
	v_lshlrev_b32_e32 v58, 3, v202
	;; [unrolled: 1-line block ×11, first 2 shown]
	v_add3_u32 v57, v57, v58, v59
	v_add3_u32 v58, v60, v61, v62
	;; [unrolled: 1-line block ×3, first 2 shown]
	ds_write_b64 v54, v[55:56] offset:512
	v_add3_u32 v55, v66, v67, v68
	v_cmp_lt_u32_e32 vcc_lo, v0, v167
	ds_write_b64 v57, v[51:52] offset:512
	ds_write_b64 v58, v[49:50] offset:512
	;; [unrolled: 1-line block ×4, first 2 shown]
	s_waitcnt lgkmcnt(0)
	s_barrier
	buffer_gl0_inv
	s_and_saveexec_b32 s24, vcc_lo
	s_cbranch_execnz .LBB736_843
; %bb.775:                              ;   in Loop: Header=BB736_694 Depth=2
	s_or_b32 exec_lo, exec_lo, s24
	v_cmp_lt_u32_e64 s23, v74, v167
	s_and_saveexec_b32 s25, s23
	s_cbranch_execnz .LBB736_844
.LBB736_776:                            ;   in Loop: Header=BB736_694 Depth=2
	s_or_b32 exec_lo, exec_lo, s25
	v_cmp_lt_u32_e64 s24, v77, v167
	s_and_saveexec_b32 s26, s24
	s_cbranch_execnz .LBB736_845
.LBB736_777:                            ;   in Loop: Header=BB736_694 Depth=2
	s_or_b32 exec_lo, exec_lo, s26
	v_cmp_lt_u32_e64 s25, v78, v167
	s_and_saveexec_b32 s27, s25
	s_cbranch_execnz .LBB736_846
.LBB736_778:                            ;   in Loop: Header=BB736_694 Depth=2
	s_or_b32 exec_lo, exec_lo, s27
	v_cmp_lt_u32_e64 s26, v79, v167
	s_and_saveexec_b32 s28, s26
	s_cbranch_execnz .LBB736_847
.LBB736_779:                            ;   in Loop: Header=BB736_694 Depth=2
	s_or_b32 exec_lo, exec_lo, s28
	v_cmp_lt_u32_e64 s27, v80, v167
	s_and_saveexec_b32 s29, s27
	s_cbranch_execnz .LBB736_848
.LBB736_780:                            ;   in Loop: Header=BB736_694 Depth=2
	s_or_b32 exec_lo, exec_lo, s29
	v_cmp_lt_u32_e64 s28, v81, v167
	s_and_saveexec_b32 s30, s28
	s_cbranch_execnz .LBB736_849
.LBB736_781:                            ;   in Loop: Header=BB736_694 Depth=2
	s_or_b32 exec_lo, exec_lo, s30
	v_cmp_lt_u32_e64 s29, v82, v167
	s_and_saveexec_b32 s31, s29
	s_cbranch_execnz .LBB736_850
.LBB736_782:                            ;   in Loop: Header=BB736_694 Depth=2
	s_or_b32 exec_lo, exec_lo, s31
	v_cmp_lt_u32_e64 s30, v83, v167
	s_and_saveexec_b32 s33, s30
	s_cbranch_execnz .LBB736_851
.LBB736_783:                            ;   in Loop: Header=BB736_694 Depth=2
	s_or_b32 exec_lo, exec_lo, s33
	v_cmp_lt_u32_e64 s31, v84, v167
	s_and_saveexec_b32 s34, s31
	s_cbranch_execnz .LBB736_852
.LBB736_784:                            ;   in Loop: Header=BB736_694 Depth=2
	s_or_b32 exec_lo, exec_lo, s34
	v_cmp_lt_u32_e64 s33, v85, v167
	s_and_saveexec_b32 s35, s33
	s_cbranch_execnz .LBB736_853
.LBB736_785:                            ;   in Loop: Header=BB736_694 Depth=2
	s_or_b32 exec_lo, exec_lo, s35
	v_cmp_lt_u32_e64 s34, v86, v167
	s_and_saveexec_b32 s36, s34
	s_cbranch_execnz .LBB736_854
.LBB736_786:                            ;   in Loop: Header=BB736_694 Depth=2
	s_or_b32 exec_lo, exec_lo, s36
	v_cmp_lt_u32_e64 s35, v87, v167
	s_and_saveexec_b32 s37, s35
	s_cbranch_execnz .LBB736_855
.LBB736_787:                            ;   in Loop: Header=BB736_694 Depth=2
	s_or_b32 exec_lo, exec_lo, s37
	v_cmp_lt_u32_e64 s36, v88, v167
	s_and_saveexec_b32 s38, s36
	s_cbranch_execnz .LBB736_856
.LBB736_788:                            ;   in Loop: Header=BB736_694 Depth=2
	s_or_b32 exec_lo, exec_lo, s38
	v_cmp_lt_u32_e64 s37, v89, v167
	s_and_saveexec_b32 s39, s37
	s_cbranch_execnz .LBB736_857
.LBB736_789:                            ;   in Loop: Header=BB736_694 Depth=2
	s_or_b32 exec_lo, exec_lo, s39
	v_cmp_lt_u32_e64 s38, v90, v167
	s_and_saveexec_b32 s65, s38
	s_cbranch_execz .LBB736_791
.LBB736_790:                            ;   in Loop: Header=BB736_694 Depth=2
	ds_read_b64 v[37:38], v106 offset:31232
	s_waitcnt lgkmcnt(0)
	v_lshrrev_b64 v[45:46], s46, v[37:38]
	v_mov_b32_e32 v46, v3
	v_xor_b32_e32 v38, 0x7fffffff, v38
	v_not_b32_e32 v37, v37
	v_and_b32_e32 v45, s52, v45
	v_lshlrev_b32_e32 v45, 2, v45
	ds_read_b32 v45, v45
	s_waitcnt lgkmcnt(0)
	v_add_nc_u32_e32 v45, v45, v90
	v_lshlrev_b64 v[45:46], 3, v[45:46]
	v_add_co_u32 v45, s39, s42, v45
	v_add_co_ci_u32_e64 v46, null, s43, v46, s39
	global_store_dwordx2 v[45:46], v[37:38], off
.LBB736_791:                            ;   in Loop: Header=BB736_694 Depth=2
	s_or_b32 exec_lo, exec_lo, s65
	s_lshl_b64 s[66:67], s[56:57], 3
	v_add_co_u32 v37, s39, v129, s66
	v_add_co_ci_u32_e64 v38, null, s67, v130, s39
	v_cmp_lt_u32_e64 s39, v128, v167
	s_and_saveexec_b32 s56, s39
	s_xor_b32 s39, exec_lo, s56
	s_cbranch_execnz .LBB736_858
; %bb.792:                              ;   in Loop: Header=BB736_694 Depth=2
	s_or_b32 exec_lo, exec_lo, s39
	s_mov_b32 s56, exec_lo
	v_cmpx_lt_u32_e64 v131, v167
	s_cbranch_execnz .LBB736_859
.LBB736_793:                            ;   in Loop: Header=BB736_694 Depth=2
	s_or_b32 exec_lo, exec_lo, s56
	s_mov_b32 s56, exec_lo
	v_cmpx_lt_u32_e64 v132, v167
	s_cbranch_execnz .LBB736_860
.LBB736_794:                            ;   in Loop: Header=BB736_694 Depth=2
	s_or_b32 exec_lo, exec_lo, s56
	s_mov_b32 s56, exec_lo
	v_cmpx_lt_u32_e64 v133, v167
	s_cbranch_execnz .LBB736_861
.LBB736_795:                            ;   in Loop: Header=BB736_694 Depth=2
	s_or_b32 exec_lo, exec_lo, s56
	s_mov_b32 s56, exec_lo
	v_cmpx_lt_u32_e64 v134, v167
	s_cbranch_execnz .LBB736_862
.LBB736_796:                            ;   in Loop: Header=BB736_694 Depth=2
	s_or_b32 exec_lo, exec_lo, s56
	s_mov_b32 s56, exec_lo
	v_cmpx_lt_u32_e64 v135, v167
	s_cbranch_execnz .LBB736_863
.LBB736_797:                            ;   in Loop: Header=BB736_694 Depth=2
	s_or_b32 exec_lo, exec_lo, s56
	s_mov_b32 s56, exec_lo
	v_cmpx_lt_u32_e64 v136, v167
	s_cbranch_execnz .LBB736_864
.LBB736_798:                            ;   in Loop: Header=BB736_694 Depth=2
	s_or_b32 exec_lo, exec_lo, s56
	s_mov_b32 s56, exec_lo
	v_cmpx_lt_u32_e64 v137, v167
	s_cbranch_execnz .LBB736_865
.LBB736_799:                            ;   in Loop: Header=BB736_694 Depth=2
	s_or_b32 exec_lo, exec_lo, s56
	s_mov_b32 s56, exec_lo
	v_cmpx_lt_u32_e64 v138, v167
	s_cbranch_execnz .LBB736_866
.LBB736_800:                            ;   in Loop: Header=BB736_694 Depth=2
	s_or_b32 exec_lo, exec_lo, s56
	s_mov_b32 s56, exec_lo
	v_cmpx_lt_u32_e64 v139, v167
	s_cbranch_execnz .LBB736_867
.LBB736_801:                            ;   in Loop: Header=BB736_694 Depth=2
	s_or_b32 exec_lo, exec_lo, s56
	s_mov_b32 s56, exec_lo
	v_cmpx_lt_u32_e64 v140, v167
	s_cbranch_execnz .LBB736_868
.LBB736_802:                            ;   in Loop: Header=BB736_694 Depth=2
	s_or_b32 exec_lo, exec_lo, s56
	s_mov_b32 s56, exec_lo
	v_cmpx_lt_u32_e64 v141, v167
	s_cbranch_execnz .LBB736_869
.LBB736_803:                            ;   in Loop: Header=BB736_694 Depth=2
	s_or_b32 exec_lo, exec_lo, s56
	s_mov_b32 s56, exec_lo
	v_cmpx_lt_u32_e64 v142, v167
	s_cbranch_execnz .LBB736_870
.LBB736_804:                            ;   in Loop: Header=BB736_694 Depth=2
	s_or_b32 exec_lo, exec_lo, s56
	s_mov_b32 s56, exec_lo
	v_cmpx_lt_u32_e64 v143, v167
	s_cbranch_execnz .LBB736_871
.LBB736_805:                            ;   in Loop: Header=BB736_694 Depth=2
	s_or_b32 exec_lo, exec_lo, s56
	s_mov_b32 s56, exec_lo
	v_cmpx_lt_u32_e64 v144, v167
	s_cbranch_execnz .LBB736_872
.LBB736_806:                            ;   in Loop: Header=BB736_694 Depth=2
	s_or_b32 exec_lo, exec_lo, s56
	s_mov_b32 s56, exec_lo
	v_cmpx_lt_u32_e64 v145, v167
	s_cbranch_execnz .LBB736_873
.LBB736_807:                            ;   in Loop: Header=BB736_694 Depth=2
	s_or_b32 exec_lo, exec_lo, s56
	s_and_saveexec_b32 s39, vcc_lo
	s_cbranch_execnz .LBB736_874
.LBB736_808:                            ;   in Loop: Header=BB736_694 Depth=2
	s_or_b32 exec_lo, exec_lo, s39
	s_and_saveexec_b32 s39, s23
	s_cbranch_execnz .LBB736_875
.LBB736_809:                            ;   in Loop: Header=BB736_694 Depth=2
	s_or_b32 exec_lo, exec_lo, s39
	s_and_saveexec_b32 s39, s24
	s_cbranch_execnz .LBB736_876
.LBB736_810:                            ;   in Loop: Header=BB736_694 Depth=2
	s_or_b32 exec_lo, exec_lo, s39
	s_and_saveexec_b32 s39, s25
	s_cbranch_execnz .LBB736_877
.LBB736_811:                            ;   in Loop: Header=BB736_694 Depth=2
	s_or_b32 exec_lo, exec_lo, s39
	s_and_saveexec_b32 s39, s26
	s_cbranch_execnz .LBB736_878
.LBB736_812:                            ;   in Loop: Header=BB736_694 Depth=2
	s_or_b32 exec_lo, exec_lo, s39
	s_and_saveexec_b32 s39, s27
	s_cbranch_execnz .LBB736_879
.LBB736_813:                            ;   in Loop: Header=BB736_694 Depth=2
	s_or_b32 exec_lo, exec_lo, s39
	s_and_saveexec_b32 s39, s28
	s_cbranch_execnz .LBB736_880
.LBB736_814:                            ;   in Loop: Header=BB736_694 Depth=2
	s_or_b32 exec_lo, exec_lo, s39
	s_and_saveexec_b32 s39, s29
	s_cbranch_execnz .LBB736_881
.LBB736_815:                            ;   in Loop: Header=BB736_694 Depth=2
	s_or_b32 exec_lo, exec_lo, s39
	s_and_saveexec_b32 s39, s30
	s_cbranch_execnz .LBB736_882
.LBB736_816:                            ;   in Loop: Header=BB736_694 Depth=2
	s_or_b32 exec_lo, exec_lo, s39
	s_and_saveexec_b32 s39, s31
	s_cbranch_execnz .LBB736_883
.LBB736_817:                            ;   in Loop: Header=BB736_694 Depth=2
	s_or_b32 exec_lo, exec_lo, s39
	s_and_saveexec_b32 s39, s33
	s_cbranch_execnz .LBB736_884
.LBB736_818:                            ;   in Loop: Header=BB736_694 Depth=2
	s_or_b32 exec_lo, exec_lo, s39
	s_and_saveexec_b32 s39, s34
	s_cbranch_execnz .LBB736_885
.LBB736_819:                            ;   in Loop: Header=BB736_694 Depth=2
	s_or_b32 exec_lo, exec_lo, s39
	s_and_saveexec_b32 s39, s35
	s_cbranch_execnz .LBB736_886
.LBB736_820:                            ;   in Loop: Header=BB736_694 Depth=2
	s_or_b32 exec_lo, exec_lo, s39
	s_and_saveexec_b32 s39, s36
	s_cbranch_execnz .LBB736_887
.LBB736_821:                            ;   in Loop: Header=BB736_694 Depth=2
	s_or_b32 exec_lo, exec_lo, s39
	s_and_saveexec_b32 s39, s37
	s_cbranch_execnz .LBB736_888
.LBB736_822:                            ;   in Loop: Header=BB736_694 Depth=2
	s_or_b32 exec_lo, exec_lo, s39
	s_and_saveexec_b32 s39, s38
	s_cbranch_execz .LBB736_824
.LBB736_823:                            ;   in Loop: Header=BB736_694 Depth=2
	ds_read_b64 v[37:38], v106 offset:31232
	s_waitcnt lgkmcnt(0)
	v_lshrrev_b64 v[37:38], s46, v[37:38]
	v_and_b32_e32 v149, s52, v37
.LBB736_824:                            ;   in Loop: Header=BB736_694 Depth=2
	s_or_b32 exec_lo, exec_lo, s39
	s_waitcnt vmcnt(0)
	s_waitcnt_vscnt null, 0x0
	s_barrier
	buffer_gl0_inv
	ds_write_b64 v69, v[35:36] offset:512
	ds_write_b64 v70, v[33:34] offset:512
	;; [unrolled: 1-line block ×16, first 2 shown]
	s_waitcnt lgkmcnt(0)
	s_barrier
	buffer_gl0_inv
	s_and_saveexec_b32 s39, vcc_lo
	s_cbranch_execnz .LBB736_889
; %bb.825:                              ;   in Loop: Header=BB736_694 Depth=2
	s_or_b32 exec_lo, exec_lo, s39
	s_and_saveexec_b32 s39, s23
	s_cbranch_execnz .LBB736_890
.LBB736_826:                            ;   in Loop: Header=BB736_694 Depth=2
	s_or_b32 exec_lo, exec_lo, s39
	s_and_saveexec_b32 s23, s24
	s_cbranch_execnz .LBB736_891
.LBB736_827:                            ;   in Loop: Header=BB736_694 Depth=2
	s_or_b32 exec_lo, exec_lo, s23
	s_and_saveexec_b32 s23, s25
	s_cbranch_execnz .LBB736_892
.LBB736_828:                            ;   in Loop: Header=BB736_694 Depth=2
	s_or_b32 exec_lo, exec_lo, s23
	s_and_saveexec_b32 s23, s26
	s_cbranch_execnz .LBB736_893
.LBB736_829:                            ;   in Loop: Header=BB736_694 Depth=2
	s_or_b32 exec_lo, exec_lo, s23
	s_and_saveexec_b32 s23, s27
	s_cbranch_execnz .LBB736_894
.LBB736_830:                            ;   in Loop: Header=BB736_694 Depth=2
	s_or_b32 exec_lo, exec_lo, s23
	s_and_saveexec_b32 s23, s28
	s_cbranch_execnz .LBB736_895
.LBB736_831:                            ;   in Loop: Header=BB736_694 Depth=2
	s_or_b32 exec_lo, exec_lo, s23
	s_and_saveexec_b32 s23, s29
	s_cbranch_execnz .LBB736_896
.LBB736_832:                            ;   in Loop: Header=BB736_694 Depth=2
	s_or_b32 exec_lo, exec_lo, s23
	s_and_saveexec_b32 s23, s30
	s_cbranch_execnz .LBB736_897
.LBB736_833:                            ;   in Loop: Header=BB736_694 Depth=2
	s_or_b32 exec_lo, exec_lo, s23
	s_and_saveexec_b32 s23, s31
	s_cbranch_execnz .LBB736_898
.LBB736_834:                            ;   in Loop: Header=BB736_694 Depth=2
	s_or_b32 exec_lo, exec_lo, s23
	s_and_saveexec_b32 s23, s33
	s_cbranch_execnz .LBB736_899
.LBB736_835:                            ;   in Loop: Header=BB736_694 Depth=2
	s_or_b32 exec_lo, exec_lo, s23
	s_and_saveexec_b32 s23, s34
	s_cbranch_execnz .LBB736_900
.LBB736_836:                            ;   in Loop: Header=BB736_694 Depth=2
	s_or_b32 exec_lo, exec_lo, s23
	s_and_saveexec_b32 s23, s35
	s_cbranch_execnz .LBB736_901
.LBB736_837:                            ;   in Loop: Header=BB736_694 Depth=2
	s_or_b32 exec_lo, exec_lo, s23
	s_and_saveexec_b32 s23, s36
	s_cbranch_execnz .LBB736_902
.LBB736_838:                            ;   in Loop: Header=BB736_694 Depth=2
	s_or_b32 exec_lo, exec_lo, s23
	s_and_saveexec_b32 s23, s37
	s_cbranch_execnz .LBB736_903
.LBB736_839:                            ;   in Loop: Header=BB736_694 Depth=2
	s_or_b32 exec_lo, exec_lo, s23
	s_and_saveexec_b32 s23, s38
	s_cbranch_execz .LBB736_841
.LBB736_840:                            ;   in Loop: Header=BB736_694 Depth=2
	v_lshlrev_b32_e32 v37, 2, v149
	v_mov_b32_e32 v40, v3
	ds_read_b32 v39, v37
	ds_read_b64 v[37:38], v106 offset:31232
	s_waitcnt lgkmcnt(1)
	v_add_nc_u32_e32 v39, v39, v90
	v_lshlrev_b64 v[39:40], 3, v[39:40]
	v_add_co_u32 v39, vcc_lo, s48, v39
	v_add_co_ci_u32_e64 v40, null, s49, v40, vcc_lo
	s_waitcnt lgkmcnt(0)
	global_store_dwordx2 v[39:40], v[37:38], off
.LBB736_841:                            ;   in Loop: Header=BB736_694 Depth=2
	s_or_b32 exec_lo, exec_lo, s23
	s_waitcnt_vscnt null, 0x0
	s_barrier
	buffer_gl0_inv
	s_and_saveexec_b32 s23, s8
	s_cbranch_execz .LBB736_693
; %bb.842:                              ;   in Loop: Header=BB736_694 Depth=2
	ds_read_b32 v37, v73
	s_waitcnt lgkmcnt(0)
	v_add3_u32 v37, v163, v166, v37
	ds_write_b32 v73, v37
	s_branch .LBB736_693
.LBB736_843:                            ;   in Loop: Header=BB736_694 Depth=2
	ds_read_b64 v[37:38], v106 offset:512
	s_waitcnt lgkmcnt(0)
	v_lshrrev_b64 v[45:46], s46, v[37:38]
	v_mov_b32_e32 v46, v3
	v_xor_b32_e32 v38, 0x7fffffff, v38
	v_not_b32_e32 v37, v37
	v_and_b32_e32 v45, s52, v45
	v_lshlrev_b32_e32 v45, 2, v45
	ds_read_b32 v45, v45
	s_waitcnt lgkmcnt(0)
	v_add_nc_u32_e32 v45, v45, v0
	v_lshlrev_b64 v[45:46], 3, v[45:46]
	v_add_co_u32 v45, s23, s42, v45
	v_add_co_ci_u32_e64 v46, null, s43, v46, s23
	global_store_dwordx2 v[45:46], v[37:38], off
	s_or_b32 exec_lo, exec_lo, s24
	v_cmp_lt_u32_e64 s23, v74, v167
	s_and_saveexec_b32 s25, s23
	s_cbranch_execz .LBB736_776
.LBB736_844:                            ;   in Loop: Header=BB736_694 Depth=2
	ds_read_b64 v[37:38], v106 offset:2560
	s_waitcnt lgkmcnt(0)
	v_lshrrev_b64 v[45:46], s46, v[37:38]
	v_mov_b32_e32 v46, v3
	v_xor_b32_e32 v38, 0x7fffffff, v38
	v_not_b32_e32 v37, v37
	v_and_b32_e32 v45, s52, v45
	v_lshlrev_b32_e32 v45, 2, v45
	ds_read_b32 v45, v45
	s_waitcnt lgkmcnt(0)
	v_add_nc_u32_e32 v45, v45, v74
	v_lshlrev_b64 v[45:46], 3, v[45:46]
	v_add_co_u32 v45, s24, s42, v45
	v_add_co_ci_u32_e64 v46, null, s43, v46, s24
	global_store_dwordx2 v[45:46], v[37:38], off
	s_or_b32 exec_lo, exec_lo, s25
	v_cmp_lt_u32_e64 s24, v77, v167
	s_and_saveexec_b32 s26, s24
	s_cbranch_execz .LBB736_777
.LBB736_845:                            ;   in Loop: Header=BB736_694 Depth=2
	ds_read_b64 v[37:38], v106 offset:4608
	s_waitcnt lgkmcnt(0)
	v_lshrrev_b64 v[45:46], s46, v[37:38]
	v_mov_b32_e32 v46, v3
	v_xor_b32_e32 v38, 0x7fffffff, v38
	v_not_b32_e32 v37, v37
	v_and_b32_e32 v45, s52, v45
	v_lshlrev_b32_e32 v45, 2, v45
	ds_read_b32 v45, v45
	s_waitcnt lgkmcnt(0)
	v_add_nc_u32_e32 v45, v45, v77
	v_lshlrev_b64 v[45:46], 3, v[45:46]
	v_add_co_u32 v45, s25, s42, v45
	v_add_co_ci_u32_e64 v46, null, s43, v46, s25
	global_store_dwordx2 v[45:46], v[37:38], off
	s_or_b32 exec_lo, exec_lo, s26
	v_cmp_lt_u32_e64 s25, v78, v167
	s_and_saveexec_b32 s27, s25
	s_cbranch_execz .LBB736_778
.LBB736_846:                            ;   in Loop: Header=BB736_694 Depth=2
	ds_read_b64 v[37:38], v106 offset:6656
	s_waitcnt lgkmcnt(0)
	v_lshrrev_b64 v[45:46], s46, v[37:38]
	v_mov_b32_e32 v46, v3
	v_xor_b32_e32 v38, 0x7fffffff, v38
	v_not_b32_e32 v37, v37
	v_and_b32_e32 v45, s52, v45
	v_lshlrev_b32_e32 v45, 2, v45
	ds_read_b32 v45, v45
	s_waitcnt lgkmcnt(0)
	v_add_nc_u32_e32 v45, v45, v78
	v_lshlrev_b64 v[45:46], 3, v[45:46]
	v_add_co_u32 v45, s26, s42, v45
	v_add_co_ci_u32_e64 v46, null, s43, v46, s26
	global_store_dwordx2 v[45:46], v[37:38], off
	s_or_b32 exec_lo, exec_lo, s27
	v_cmp_lt_u32_e64 s26, v79, v167
	s_and_saveexec_b32 s28, s26
	s_cbranch_execz .LBB736_779
.LBB736_847:                            ;   in Loop: Header=BB736_694 Depth=2
	ds_read_b64 v[37:38], v106 offset:8704
	s_waitcnt lgkmcnt(0)
	v_lshrrev_b64 v[45:46], s46, v[37:38]
	v_mov_b32_e32 v46, v3
	v_xor_b32_e32 v38, 0x7fffffff, v38
	v_not_b32_e32 v37, v37
	v_and_b32_e32 v45, s52, v45
	v_lshlrev_b32_e32 v45, 2, v45
	ds_read_b32 v45, v45
	s_waitcnt lgkmcnt(0)
	v_add_nc_u32_e32 v45, v45, v79
	v_lshlrev_b64 v[45:46], 3, v[45:46]
	v_add_co_u32 v45, s27, s42, v45
	v_add_co_ci_u32_e64 v46, null, s43, v46, s27
	global_store_dwordx2 v[45:46], v[37:38], off
	s_or_b32 exec_lo, exec_lo, s28
	v_cmp_lt_u32_e64 s27, v80, v167
	s_and_saveexec_b32 s29, s27
	s_cbranch_execz .LBB736_780
.LBB736_848:                            ;   in Loop: Header=BB736_694 Depth=2
	ds_read_b64 v[37:38], v106 offset:10752
	s_waitcnt lgkmcnt(0)
	v_lshrrev_b64 v[45:46], s46, v[37:38]
	v_mov_b32_e32 v46, v3
	v_xor_b32_e32 v38, 0x7fffffff, v38
	v_not_b32_e32 v37, v37
	v_and_b32_e32 v45, s52, v45
	v_lshlrev_b32_e32 v45, 2, v45
	ds_read_b32 v45, v45
	s_waitcnt lgkmcnt(0)
	v_add_nc_u32_e32 v45, v45, v80
	v_lshlrev_b64 v[45:46], 3, v[45:46]
	v_add_co_u32 v45, s28, s42, v45
	v_add_co_ci_u32_e64 v46, null, s43, v46, s28
	global_store_dwordx2 v[45:46], v[37:38], off
	s_or_b32 exec_lo, exec_lo, s29
	v_cmp_lt_u32_e64 s28, v81, v167
	s_and_saveexec_b32 s30, s28
	s_cbranch_execz .LBB736_781
.LBB736_849:                            ;   in Loop: Header=BB736_694 Depth=2
	ds_read_b64 v[37:38], v106 offset:12800
	s_waitcnt lgkmcnt(0)
	v_lshrrev_b64 v[45:46], s46, v[37:38]
	v_mov_b32_e32 v46, v3
	v_xor_b32_e32 v38, 0x7fffffff, v38
	v_not_b32_e32 v37, v37
	v_and_b32_e32 v45, s52, v45
	v_lshlrev_b32_e32 v45, 2, v45
	ds_read_b32 v45, v45
	s_waitcnt lgkmcnt(0)
	v_add_nc_u32_e32 v45, v45, v81
	v_lshlrev_b64 v[45:46], 3, v[45:46]
	v_add_co_u32 v45, s29, s42, v45
	v_add_co_ci_u32_e64 v46, null, s43, v46, s29
	global_store_dwordx2 v[45:46], v[37:38], off
	s_or_b32 exec_lo, exec_lo, s30
	v_cmp_lt_u32_e64 s29, v82, v167
	s_and_saveexec_b32 s31, s29
	s_cbranch_execz .LBB736_782
.LBB736_850:                            ;   in Loop: Header=BB736_694 Depth=2
	ds_read_b64 v[37:38], v106 offset:14848
	s_waitcnt lgkmcnt(0)
	v_lshrrev_b64 v[45:46], s46, v[37:38]
	v_mov_b32_e32 v46, v3
	v_xor_b32_e32 v38, 0x7fffffff, v38
	v_not_b32_e32 v37, v37
	v_and_b32_e32 v45, s52, v45
	v_lshlrev_b32_e32 v45, 2, v45
	ds_read_b32 v45, v45
	s_waitcnt lgkmcnt(0)
	v_add_nc_u32_e32 v45, v45, v82
	v_lshlrev_b64 v[45:46], 3, v[45:46]
	v_add_co_u32 v45, s30, s42, v45
	v_add_co_ci_u32_e64 v46, null, s43, v46, s30
	global_store_dwordx2 v[45:46], v[37:38], off
	s_or_b32 exec_lo, exec_lo, s31
	v_cmp_lt_u32_e64 s30, v83, v167
	s_and_saveexec_b32 s33, s30
	s_cbranch_execz .LBB736_783
.LBB736_851:                            ;   in Loop: Header=BB736_694 Depth=2
	ds_read_b64 v[37:38], v106 offset:16896
	s_waitcnt lgkmcnt(0)
	v_lshrrev_b64 v[45:46], s46, v[37:38]
	v_mov_b32_e32 v46, v3
	v_xor_b32_e32 v38, 0x7fffffff, v38
	v_not_b32_e32 v37, v37
	v_and_b32_e32 v45, s52, v45
	v_lshlrev_b32_e32 v45, 2, v45
	ds_read_b32 v45, v45
	s_waitcnt lgkmcnt(0)
	v_add_nc_u32_e32 v45, v45, v83
	v_lshlrev_b64 v[45:46], 3, v[45:46]
	v_add_co_u32 v45, s31, s42, v45
	v_add_co_ci_u32_e64 v46, null, s43, v46, s31
	global_store_dwordx2 v[45:46], v[37:38], off
	s_or_b32 exec_lo, exec_lo, s33
	v_cmp_lt_u32_e64 s31, v84, v167
	s_and_saveexec_b32 s34, s31
	s_cbranch_execz .LBB736_784
.LBB736_852:                            ;   in Loop: Header=BB736_694 Depth=2
	ds_read_b64 v[37:38], v106 offset:18944
	s_waitcnt lgkmcnt(0)
	v_lshrrev_b64 v[45:46], s46, v[37:38]
	v_mov_b32_e32 v46, v3
	v_xor_b32_e32 v38, 0x7fffffff, v38
	v_not_b32_e32 v37, v37
	v_and_b32_e32 v45, s52, v45
	v_lshlrev_b32_e32 v45, 2, v45
	ds_read_b32 v45, v45
	s_waitcnt lgkmcnt(0)
	v_add_nc_u32_e32 v45, v45, v84
	v_lshlrev_b64 v[45:46], 3, v[45:46]
	v_add_co_u32 v45, s33, s42, v45
	v_add_co_ci_u32_e64 v46, null, s43, v46, s33
	global_store_dwordx2 v[45:46], v[37:38], off
	s_or_b32 exec_lo, exec_lo, s34
	v_cmp_lt_u32_e64 s33, v85, v167
	s_and_saveexec_b32 s35, s33
	s_cbranch_execz .LBB736_785
.LBB736_853:                            ;   in Loop: Header=BB736_694 Depth=2
	ds_read_b64 v[37:38], v106 offset:20992
	s_waitcnt lgkmcnt(0)
	v_lshrrev_b64 v[45:46], s46, v[37:38]
	v_mov_b32_e32 v46, v3
	v_xor_b32_e32 v38, 0x7fffffff, v38
	v_not_b32_e32 v37, v37
	v_and_b32_e32 v45, s52, v45
	v_lshlrev_b32_e32 v45, 2, v45
	ds_read_b32 v45, v45
	s_waitcnt lgkmcnt(0)
	v_add_nc_u32_e32 v45, v45, v85
	v_lshlrev_b64 v[45:46], 3, v[45:46]
	v_add_co_u32 v45, s34, s42, v45
	v_add_co_ci_u32_e64 v46, null, s43, v46, s34
	global_store_dwordx2 v[45:46], v[37:38], off
	s_or_b32 exec_lo, exec_lo, s35
	v_cmp_lt_u32_e64 s34, v86, v167
	s_and_saveexec_b32 s36, s34
	s_cbranch_execz .LBB736_786
.LBB736_854:                            ;   in Loop: Header=BB736_694 Depth=2
	ds_read_b64 v[37:38], v106 offset:23040
	s_waitcnt lgkmcnt(0)
	v_lshrrev_b64 v[45:46], s46, v[37:38]
	v_mov_b32_e32 v46, v3
	v_xor_b32_e32 v38, 0x7fffffff, v38
	v_not_b32_e32 v37, v37
	v_and_b32_e32 v45, s52, v45
	v_lshlrev_b32_e32 v45, 2, v45
	ds_read_b32 v45, v45
	s_waitcnt lgkmcnt(0)
	v_add_nc_u32_e32 v45, v45, v86
	v_lshlrev_b64 v[45:46], 3, v[45:46]
	v_add_co_u32 v45, s35, s42, v45
	v_add_co_ci_u32_e64 v46, null, s43, v46, s35
	global_store_dwordx2 v[45:46], v[37:38], off
	s_or_b32 exec_lo, exec_lo, s36
	v_cmp_lt_u32_e64 s35, v87, v167
	s_and_saveexec_b32 s37, s35
	s_cbranch_execz .LBB736_787
.LBB736_855:                            ;   in Loop: Header=BB736_694 Depth=2
	ds_read_b64 v[37:38], v106 offset:25088
	s_waitcnt lgkmcnt(0)
	v_lshrrev_b64 v[45:46], s46, v[37:38]
	v_mov_b32_e32 v46, v3
	v_xor_b32_e32 v38, 0x7fffffff, v38
	v_not_b32_e32 v37, v37
	v_and_b32_e32 v45, s52, v45
	v_lshlrev_b32_e32 v45, 2, v45
	ds_read_b32 v45, v45
	s_waitcnt lgkmcnt(0)
	v_add_nc_u32_e32 v45, v45, v87
	v_lshlrev_b64 v[45:46], 3, v[45:46]
	v_add_co_u32 v45, s36, s42, v45
	v_add_co_ci_u32_e64 v46, null, s43, v46, s36
	global_store_dwordx2 v[45:46], v[37:38], off
	s_or_b32 exec_lo, exec_lo, s37
	v_cmp_lt_u32_e64 s36, v88, v167
	s_and_saveexec_b32 s38, s36
	s_cbranch_execz .LBB736_788
.LBB736_856:                            ;   in Loop: Header=BB736_694 Depth=2
	ds_read_b64 v[37:38], v106 offset:27136
	s_waitcnt lgkmcnt(0)
	v_lshrrev_b64 v[45:46], s46, v[37:38]
	v_mov_b32_e32 v46, v3
	v_xor_b32_e32 v38, 0x7fffffff, v38
	v_not_b32_e32 v37, v37
	v_and_b32_e32 v45, s52, v45
	v_lshlrev_b32_e32 v45, 2, v45
	ds_read_b32 v45, v45
	s_waitcnt lgkmcnt(0)
	v_add_nc_u32_e32 v45, v45, v88
	v_lshlrev_b64 v[45:46], 3, v[45:46]
	v_add_co_u32 v45, s37, s42, v45
	v_add_co_ci_u32_e64 v46, null, s43, v46, s37
	global_store_dwordx2 v[45:46], v[37:38], off
	s_or_b32 exec_lo, exec_lo, s38
	v_cmp_lt_u32_e64 s37, v89, v167
	s_and_saveexec_b32 s39, s37
	s_cbranch_execz .LBB736_789
.LBB736_857:                            ;   in Loop: Header=BB736_694 Depth=2
	ds_read_b64 v[37:38], v106 offset:29184
	s_waitcnt lgkmcnt(0)
	v_lshrrev_b64 v[45:46], s46, v[37:38]
	v_mov_b32_e32 v46, v3
	v_xor_b32_e32 v38, 0x7fffffff, v38
	v_not_b32_e32 v37, v37
	v_and_b32_e32 v45, s52, v45
	v_lshlrev_b32_e32 v45, 2, v45
	ds_read_b32 v45, v45
	s_waitcnt lgkmcnt(0)
	v_add_nc_u32_e32 v45, v45, v89
	v_lshlrev_b64 v[45:46], 3, v[45:46]
	v_add_co_u32 v45, s38, s42, v45
	v_add_co_ci_u32_e64 v46, null, s43, v46, s38
	global_store_dwordx2 v[45:46], v[37:38], off
	s_or_b32 exec_lo, exec_lo, s39
	v_cmp_lt_u32_e64 s38, v90, v167
	s_and_saveexec_b32 s65, s38
	s_cbranch_execnz .LBB736_790
	s_branch .LBB736_791
.LBB736_858:                            ;   in Loop: Header=BB736_694 Depth=2
	global_load_dwordx2 v[35:36], v[37:38], off
	s_or_b32 exec_lo, exec_lo, s39
	s_mov_b32 s56, exec_lo
	v_cmpx_lt_u32_e64 v131, v167
	s_cbranch_execz .LBB736_793
.LBB736_859:                            ;   in Loop: Header=BB736_694 Depth=2
	global_load_dwordx2 v[33:34], v[37:38], off offset:256
	s_or_b32 exec_lo, exec_lo, s56
	s_mov_b32 s56, exec_lo
	v_cmpx_lt_u32_e64 v132, v167
	s_cbranch_execz .LBB736_794
.LBB736_860:                            ;   in Loop: Header=BB736_694 Depth=2
	global_load_dwordx2 v[31:32], v[37:38], off offset:512
	s_or_b32 exec_lo, exec_lo, s56
	s_mov_b32 s56, exec_lo
	v_cmpx_lt_u32_e64 v133, v167
	s_cbranch_execz .LBB736_795
.LBB736_861:                            ;   in Loop: Header=BB736_694 Depth=2
	global_load_dwordx2 v[29:30], v[37:38], off offset:768
	s_or_b32 exec_lo, exec_lo, s56
	s_mov_b32 s56, exec_lo
	v_cmpx_lt_u32_e64 v134, v167
	s_cbranch_execz .LBB736_796
.LBB736_862:                            ;   in Loop: Header=BB736_694 Depth=2
	global_load_dwordx2 v[27:28], v[37:38], off offset:1024
	s_or_b32 exec_lo, exec_lo, s56
	s_mov_b32 s56, exec_lo
	v_cmpx_lt_u32_e64 v135, v167
	s_cbranch_execz .LBB736_797
.LBB736_863:                            ;   in Loop: Header=BB736_694 Depth=2
	global_load_dwordx2 v[23:24], v[37:38], off offset:1280
	s_or_b32 exec_lo, exec_lo, s56
	s_mov_b32 s56, exec_lo
	v_cmpx_lt_u32_e64 v136, v167
	s_cbranch_execz .LBB736_798
.LBB736_864:                            ;   in Loop: Header=BB736_694 Depth=2
	global_load_dwordx2 v[19:20], v[37:38], off offset:1536
	s_or_b32 exec_lo, exec_lo, s56
	s_mov_b32 s56, exec_lo
	v_cmpx_lt_u32_e64 v137, v167
	s_cbranch_execz .LBB736_799
.LBB736_865:                            ;   in Loop: Header=BB736_694 Depth=2
	global_load_dwordx2 v[15:16], v[37:38], off offset:1792
	s_or_b32 exec_lo, exec_lo, s56
	s_mov_b32 s56, exec_lo
	v_cmpx_lt_u32_e64 v138, v167
	s_cbranch_execz .LBB736_800
.LBB736_866:                            ;   in Loop: Header=BB736_694 Depth=2
	v_add_co_u32 v25, s39, 0x800, v37
	v_add_co_ci_u32_e64 v26, null, 0, v38, s39
	global_load_dwordx2 v[25:26], v[25:26], off
	s_or_b32 exec_lo, exec_lo, s56
	s_mov_b32 s56, exec_lo
	v_cmpx_lt_u32_e64 v139, v167
	s_cbranch_execz .LBB736_801
.LBB736_867:                            ;   in Loop: Header=BB736_694 Depth=2
	v_add_co_u32 v21, s39, 0x800, v37
	v_add_co_ci_u32_e64 v22, null, 0, v38, s39
	global_load_dwordx2 v[21:22], v[21:22], off offset:256
	s_or_b32 exec_lo, exec_lo, s56
	s_mov_b32 s56, exec_lo
	v_cmpx_lt_u32_e64 v140, v167
	s_cbranch_execz .LBB736_802
.LBB736_868:                            ;   in Loop: Header=BB736_694 Depth=2
	v_add_co_u32 v17, s39, 0x800, v37
	v_add_co_ci_u32_e64 v18, null, 0, v38, s39
	global_load_dwordx2 v[17:18], v[17:18], off offset:512
	s_or_b32 exec_lo, exec_lo, s56
	s_mov_b32 s56, exec_lo
	v_cmpx_lt_u32_e64 v141, v167
	s_cbranch_execz .LBB736_803
.LBB736_869:                            ;   in Loop: Header=BB736_694 Depth=2
	v_add_co_u32 v13, s39, 0x800, v37
	v_add_co_ci_u32_e64 v14, null, 0, v38, s39
	global_load_dwordx2 v[13:14], v[13:14], off offset:768
	s_or_b32 exec_lo, exec_lo, s56
	s_mov_b32 s56, exec_lo
	v_cmpx_lt_u32_e64 v142, v167
	s_cbranch_execz .LBB736_804
.LBB736_870:                            ;   in Loop: Header=BB736_694 Depth=2
	v_add_co_u32 v11, s39, 0x800, v37
	v_add_co_ci_u32_e64 v12, null, 0, v38, s39
	global_load_dwordx2 v[11:12], v[11:12], off offset:1024
	s_or_b32 exec_lo, exec_lo, s56
	s_mov_b32 s56, exec_lo
	v_cmpx_lt_u32_e64 v143, v167
	s_cbranch_execz .LBB736_805
.LBB736_871:                            ;   in Loop: Header=BB736_694 Depth=2
	v_add_co_u32 v9, s39, 0x800, v37
	v_add_co_ci_u32_e64 v10, null, 0, v38, s39
	global_load_dwordx2 v[9:10], v[9:10], off offset:1280
	s_or_b32 exec_lo, exec_lo, s56
	s_mov_b32 s56, exec_lo
	v_cmpx_lt_u32_e64 v144, v167
	s_cbranch_execz .LBB736_806
.LBB736_872:                            ;   in Loop: Header=BB736_694 Depth=2
	v_add_co_u32 v7, s39, 0x800, v37
	v_add_co_ci_u32_e64 v8, null, 0, v38, s39
	global_load_dwordx2 v[7:8], v[7:8], off offset:1536
	s_or_b32 exec_lo, exec_lo, s56
	s_mov_b32 s56, exec_lo
	v_cmpx_lt_u32_e64 v145, v167
	s_cbranch_execz .LBB736_807
.LBB736_873:                            ;   in Loop: Header=BB736_694 Depth=2
	v_add_co_u32 v5, s39, 0x800, v37
	v_add_co_ci_u32_e64 v6, null, 0, v38, s39
	global_load_dwordx2 v[5:6], v[5:6], off offset:1792
	s_or_b32 exec_lo, exec_lo, s56
	s_and_saveexec_b32 s39, vcc_lo
	s_cbranch_execz .LBB736_808
.LBB736_874:                            ;   in Loop: Header=BB736_694 Depth=2
	ds_read_b64 v[37:38], v106 offset:512
	s_waitcnt lgkmcnt(0)
	v_lshrrev_b64 v[37:38], s46, v[37:38]
	v_and_b32_e32 v165, s52, v37
	s_or_b32 exec_lo, exec_lo, s39
	s_and_saveexec_b32 s39, s23
	s_cbranch_execz .LBB736_809
.LBB736_875:                            ;   in Loop: Header=BB736_694 Depth=2
	ds_read_b64 v[37:38], v106 offset:2560
	s_waitcnt lgkmcnt(0)
	v_lshrrev_b64 v[37:38], s46, v[37:38]
	v_and_b32_e32 v164, s52, v37
	s_or_b32 exec_lo, exec_lo, s39
	s_and_saveexec_b32 s39, s24
	s_cbranch_execz .LBB736_810
.LBB736_876:                            ;   in Loop: Header=BB736_694 Depth=2
	ds_read_b64 v[37:38], v106 offset:4608
	s_waitcnt lgkmcnt(0)
	v_lshrrev_b64 v[37:38], s46, v[37:38]
	v_and_b32_e32 v162, s52, v37
	s_or_b32 exec_lo, exec_lo, s39
	s_and_saveexec_b32 s39, s25
	s_cbranch_execz .LBB736_811
.LBB736_877:                            ;   in Loop: Header=BB736_694 Depth=2
	ds_read_b64 v[37:38], v106 offset:6656
	s_waitcnt lgkmcnt(0)
	v_lshrrev_b64 v[37:38], s46, v[37:38]
	v_and_b32_e32 v161, s52, v37
	s_or_b32 exec_lo, exec_lo, s39
	s_and_saveexec_b32 s39, s26
	s_cbranch_execz .LBB736_812
.LBB736_878:                            ;   in Loop: Header=BB736_694 Depth=2
	ds_read_b64 v[37:38], v106 offset:8704
	s_waitcnt lgkmcnt(0)
	v_lshrrev_b64 v[37:38], s46, v[37:38]
	v_and_b32_e32 v160, s52, v37
	s_or_b32 exec_lo, exec_lo, s39
	s_and_saveexec_b32 s39, s27
	s_cbranch_execz .LBB736_813
.LBB736_879:                            ;   in Loop: Header=BB736_694 Depth=2
	ds_read_b64 v[37:38], v106 offset:10752
	s_waitcnt lgkmcnt(0)
	v_lshrrev_b64 v[37:38], s46, v[37:38]
	v_and_b32_e32 v159, s52, v37
	s_or_b32 exec_lo, exec_lo, s39
	s_and_saveexec_b32 s39, s28
	s_cbranch_execz .LBB736_814
.LBB736_880:                            ;   in Loop: Header=BB736_694 Depth=2
	ds_read_b64 v[37:38], v106 offset:12800
	s_waitcnt lgkmcnt(0)
	v_lshrrev_b64 v[37:38], s46, v[37:38]
	v_and_b32_e32 v158, s52, v37
	s_or_b32 exec_lo, exec_lo, s39
	s_and_saveexec_b32 s39, s29
	s_cbranch_execz .LBB736_815
.LBB736_881:                            ;   in Loop: Header=BB736_694 Depth=2
	ds_read_b64 v[37:38], v106 offset:14848
	s_waitcnt lgkmcnt(0)
	v_lshrrev_b64 v[37:38], s46, v[37:38]
	v_and_b32_e32 v157, s52, v37
	s_or_b32 exec_lo, exec_lo, s39
	s_and_saveexec_b32 s39, s30
	s_cbranch_execz .LBB736_816
.LBB736_882:                            ;   in Loop: Header=BB736_694 Depth=2
	ds_read_b64 v[37:38], v106 offset:16896
	s_waitcnt lgkmcnt(0)
	v_lshrrev_b64 v[37:38], s46, v[37:38]
	v_and_b32_e32 v156, s52, v37
	s_or_b32 exec_lo, exec_lo, s39
	s_and_saveexec_b32 s39, s31
	s_cbranch_execz .LBB736_817
.LBB736_883:                            ;   in Loop: Header=BB736_694 Depth=2
	ds_read_b64 v[37:38], v106 offset:18944
	s_waitcnt lgkmcnt(0)
	v_lshrrev_b64 v[37:38], s46, v[37:38]
	v_and_b32_e32 v155, s52, v37
	s_or_b32 exec_lo, exec_lo, s39
	s_and_saveexec_b32 s39, s33
	s_cbranch_execz .LBB736_818
.LBB736_884:                            ;   in Loop: Header=BB736_694 Depth=2
	ds_read_b64 v[37:38], v106 offset:20992
	s_waitcnt lgkmcnt(0)
	v_lshrrev_b64 v[37:38], s46, v[37:38]
	v_and_b32_e32 v154, s52, v37
	s_or_b32 exec_lo, exec_lo, s39
	s_and_saveexec_b32 s39, s34
	s_cbranch_execz .LBB736_819
.LBB736_885:                            ;   in Loop: Header=BB736_694 Depth=2
	ds_read_b64 v[37:38], v106 offset:23040
	s_waitcnt lgkmcnt(0)
	v_lshrrev_b64 v[37:38], s46, v[37:38]
	v_and_b32_e32 v153, s52, v37
	s_or_b32 exec_lo, exec_lo, s39
	s_and_saveexec_b32 s39, s35
	s_cbranch_execz .LBB736_820
.LBB736_886:                            ;   in Loop: Header=BB736_694 Depth=2
	ds_read_b64 v[37:38], v106 offset:25088
	s_waitcnt lgkmcnt(0)
	v_lshrrev_b64 v[37:38], s46, v[37:38]
	v_and_b32_e32 v152, s52, v37
	s_or_b32 exec_lo, exec_lo, s39
	s_and_saveexec_b32 s39, s36
	s_cbranch_execz .LBB736_821
.LBB736_887:                            ;   in Loop: Header=BB736_694 Depth=2
	ds_read_b64 v[37:38], v106 offset:27136
	s_waitcnt lgkmcnt(0)
	v_lshrrev_b64 v[37:38], s46, v[37:38]
	v_and_b32_e32 v151, s52, v37
	s_or_b32 exec_lo, exec_lo, s39
	s_and_saveexec_b32 s39, s37
	s_cbranch_execz .LBB736_822
.LBB736_888:                            ;   in Loop: Header=BB736_694 Depth=2
	ds_read_b64 v[37:38], v106 offset:29184
	s_waitcnt lgkmcnt(0)
	v_lshrrev_b64 v[37:38], s46, v[37:38]
	v_and_b32_e32 v150, s52, v37
	s_or_b32 exec_lo, exec_lo, s39
	s_and_saveexec_b32 s39, s38
	s_cbranch_execnz .LBB736_823
	s_branch .LBB736_824
.LBB736_889:                            ;   in Loop: Header=BB736_694 Depth=2
	v_lshlrev_b32_e32 v37, 2, v165
	v_mov_b32_e32 v40, v3
	ds_read_b32 v39, v37
	ds_read_b64 v[37:38], v106 offset:512
	s_waitcnt lgkmcnt(1)
	v_add_nc_u32_e32 v39, v39, v0
	v_lshlrev_b64 v[39:40], 3, v[39:40]
	v_add_co_u32 v39, vcc_lo, s48, v39
	v_add_co_ci_u32_e64 v40, null, s49, v40, vcc_lo
	s_waitcnt lgkmcnt(0)
	global_store_dwordx2 v[39:40], v[37:38], off
	s_or_b32 exec_lo, exec_lo, s39
	s_and_saveexec_b32 s39, s23
	s_cbranch_execz .LBB736_826
.LBB736_890:                            ;   in Loop: Header=BB736_694 Depth=2
	v_lshlrev_b32_e32 v37, 2, v164
	v_mov_b32_e32 v40, v3
	ds_read_b32 v39, v37
	ds_read_b64 v[37:38], v106 offset:2560
	s_waitcnt lgkmcnt(1)
	v_add_nc_u32_e32 v39, v39, v74
	v_lshlrev_b64 v[39:40], 3, v[39:40]
	v_add_co_u32 v39, vcc_lo, s48, v39
	v_add_co_ci_u32_e64 v40, null, s49, v40, vcc_lo
	s_waitcnt lgkmcnt(0)
	global_store_dwordx2 v[39:40], v[37:38], off
	s_or_b32 exec_lo, exec_lo, s39
	s_and_saveexec_b32 s23, s24
	s_cbranch_execz .LBB736_827
.LBB736_891:                            ;   in Loop: Header=BB736_694 Depth=2
	v_lshlrev_b32_e32 v37, 2, v162
	v_mov_b32_e32 v40, v3
	ds_read_b32 v39, v37
	ds_read_b64 v[37:38], v106 offset:4608
	s_waitcnt lgkmcnt(1)
	v_add_nc_u32_e32 v39, v39, v77
	v_lshlrev_b64 v[39:40], 3, v[39:40]
	v_add_co_u32 v39, vcc_lo, s48, v39
	v_add_co_ci_u32_e64 v40, null, s49, v40, vcc_lo
	s_waitcnt lgkmcnt(0)
	global_store_dwordx2 v[39:40], v[37:38], off
	s_or_b32 exec_lo, exec_lo, s23
	s_and_saveexec_b32 s23, s25
	s_cbranch_execz .LBB736_828
.LBB736_892:                            ;   in Loop: Header=BB736_694 Depth=2
	v_lshlrev_b32_e32 v37, 2, v161
	v_mov_b32_e32 v40, v3
	ds_read_b32 v39, v37
	ds_read_b64 v[37:38], v106 offset:6656
	s_waitcnt lgkmcnt(1)
	v_add_nc_u32_e32 v39, v39, v78
	v_lshlrev_b64 v[39:40], 3, v[39:40]
	v_add_co_u32 v39, vcc_lo, s48, v39
	v_add_co_ci_u32_e64 v40, null, s49, v40, vcc_lo
	s_waitcnt lgkmcnt(0)
	global_store_dwordx2 v[39:40], v[37:38], off
	s_or_b32 exec_lo, exec_lo, s23
	s_and_saveexec_b32 s23, s26
	s_cbranch_execz .LBB736_829
.LBB736_893:                            ;   in Loop: Header=BB736_694 Depth=2
	v_lshlrev_b32_e32 v37, 2, v160
	v_mov_b32_e32 v40, v3
	ds_read_b32 v39, v37
	ds_read_b64 v[37:38], v106 offset:8704
	s_waitcnt lgkmcnt(1)
	v_add_nc_u32_e32 v39, v39, v79
	v_lshlrev_b64 v[39:40], 3, v[39:40]
	v_add_co_u32 v39, vcc_lo, s48, v39
	v_add_co_ci_u32_e64 v40, null, s49, v40, vcc_lo
	s_waitcnt lgkmcnt(0)
	global_store_dwordx2 v[39:40], v[37:38], off
	s_or_b32 exec_lo, exec_lo, s23
	s_and_saveexec_b32 s23, s27
	s_cbranch_execz .LBB736_830
.LBB736_894:                            ;   in Loop: Header=BB736_694 Depth=2
	v_lshlrev_b32_e32 v37, 2, v159
	v_mov_b32_e32 v40, v3
	ds_read_b32 v39, v37
	ds_read_b64 v[37:38], v106 offset:10752
	s_waitcnt lgkmcnt(1)
	v_add_nc_u32_e32 v39, v39, v80
	v_lshlrev_b64 v[39:40], 3, v[39:40]
	v_add_co_u32 v39, vcc_lo, s48, v39
	v_add_co_ci_u32_e64 v40, null, s49, v40, vcc_lo
	s_waitcnt lgkmcnt(0)
	global_store_dwordx2 v[39:40], v[37:38], off
	s_or_b32 exec_lo, exec_lo, s23
	s_and_saveexec_b32 s23, s28
	s_cbranch_execz .LBB736_831
.LBB736_895:                            ;   in Loop: Header=BB736_694 Depth=2
	v_lshlrev_b32_e32 v37, 2, v158
	v_mov_b32_e32 v40, v3
	ds_read_b32 v39, v37
	ds_read_b64 v[37:38], v106 offset:12800
	s_waitcnt lgkmcnt(1)
	v_add_nc_u32_e32 v39, v39, v81
	v_lshlrev_b64 v[39:40], 3, v[39:40]
	v_add_co_u32 v39, vcc_lo, s48, v39
	v_add_co_ci_u32_e64 v40, null, s49, v40, vcc_lo
	s_waitcnt lgkmcnt(0)
	global_store_dwordx2 v[39:40], v[37:38], off
	s_or_b32 exec_lo, exec_lo, s23
	s_and_saveexec_b32 s23, s29
	s_cbranch_execz .LBB736_832
.LBB736_896:                            ;   in Loop: Header=BB736_694 Depth=2
	v_lshlrev_b32_e32 v37, 2, v157
	v_mov_b32_e32 v40, v3
	ds_read_b32 v39, v37
	ds_read_b64 v[37:38], v106 offset:14848
	s_waitcnt lgkmcnt(1)
	v_add_nc_u32_e32 v39, v39, v82
	v_lshlrev_b64 v[39:40], 3, v[39:40]
	v_add_co_u32 v39, vcc_lo, s48, v39
	v_add_co_ci_u32_e64 v40, null, s49, v40, vcc_lo
	s_waitcnt lgkmcnt(0)
	global_store_dwordx2 v[39:40], v[37:38], off
	s_or_b32 exec_lo, exec_lo, s23
	s_and_saveexec_b32 s23, s30
	s_cbranch_execz .LBB736_833
.LBB736_897:                            ;   in Loop: Header=BB736_694 Depth=2
	v_lshlrev_b32_e32 v37, 2, v156
	v_mov_b32_e32 v40, v3
	ds_read_b32 v39, v37
	ds_read_b64 v[37:38], v106 offset:16896
	s_waitcnt lgkmcnt(1)
	v_add_nc_u32_e32 v39, v39, v83
	v_lshlrev_b64 v[39:40], 3, v[39:40]
	v_add_co_u32 v39, vcc_lo, s48, v39
	v_add_co_ci_u32_e64 v40, null, s49, v40, vcc_lo
	s_waitcnt lgkmcnt(0)
	global_store_dwordx2 v[39:40], v[37:38], off
	s_or_b32 exec_lo, exec_lo, s23
	s_and_saveexec_b32 s23, s31
	s_cbranch_execz .LBB736_834
.LBB736_898:                            ;   in Loop: Header=BB736_694 Depth=2
	v_lshlrev_b32_e32 v37, 2, v155
	v_mov_b32_e32 v40, v3
	ds_read_b32 v39, v37
	ds_read_b64 v[37:38], v106 offset:18944
	s_waitcnt lgkmcnt(1)
	v_add_nc_u32_e32 v39, v39, v84
	v_lshlrev_b64 v[39:40], 3, v[39:40]
	v_add_co_u32 v39, vcc_lo, s48, v39
	v_add_co_ci_u32_e64 v40, null, s49, v40, vcc_lo
	s_waitcnt lgkmcnt(0)
	global_store_dwordx2 v[39:40], v[37:38], off
	s_or_b32 exec_lo, exec_lo, s23
	s_and_saveexec_b32 s23, s33
	s_cbranch_execz .LBB736_835
.LBB736_899:                            ;   in Loop: Header=BB736_694 Depth=2
	v_lshlrev_b32_e32 v37, 2, v154
	v_mov_b32_e32 v40, v3
	ds_read_b32 v39, v37
	ds_read_b64 v[37:38], v106 offset:20992
	s_waitcnt lgkmcnt(1)
	v_add_nc_u32_e32 v39, v39, v85
	v_lshlrev_b64 v[39:40], 3, v[39:40]
	v_add_co_u32 v39, vcc_lo, s48, v39
	v_add_co_ci_u32_e64 v40, null, s49, v40, vcc_lo
	s_waitcnt lgkmcnt(0)
	global_store_dwordx2 v[39:40], v[37:38], off
	s_or_b32 exec_lo, exec_lo, s23
	s_and_saveexec_b32 s23, s34
	s_cbranch_execz .LBB736_836
.LBB736_900:                            ;   in Loop: Header=BB736_694 Depth=2
	v_lshlrev_b32_e32 v37, 2, v153
	v_mov_b32_e32 v40, v3
	ds_read_b32 v39, v37
	ds_read_b64 v[37:38], v106 offset:23040
	s_waitcnt lgkmcnt(1)
	v_add_nc_u32_e32 v39, v39, v86
	v_lshlrev_b64 v[39:40], 3, v[39:40]
	v_add_co_u32 v39, vcc_lo, s48, v39
	v_add_co_ci_u32_e64 v40, null, s49, v40, vcc_lo
	s_waitcnt lgkmcnt(0)
	global_store_dwordx2 v[39:40], v[37:38], off
	s_or_b32 exec_lo, exec_lo, s23
	s_and_saveexec_b32 s23, s35
	s_cbranch_execz .LBB736_837
.LBB736_901:                            ;   in Loop: Header=BB736_694 Depth=2
	v_lshlrev_b32_e32 v37, 2, v152
	v_mov_b32_e32 v40, v3
	ds_read_b32 v39, v37
	ds_read_b64 v[37:38], v106 offset:25088
	s_waitcnt lgkmcnt(1)
	v_add_nc_u32_e32 v39, v39, v87
	v_lshlrev_b64 v[39:40], 3, v[39:40]
	v_add_co_u32 v39, vcc_lo, s48, v39
	v_add_co_ci_u32_e64 v40, null, s49, v40, vcc_lo
	s_waitcnt lgkmcnt(0)
	global_store_dwordx2 v[39:40], v[37:38], off
	s_or_b32 exec_lo, exec_lo, s23
	s_and_saveexec_b32 s23, s36
	s_cbranch_execz .LBB736_838
.LBB736_902:                            ;   in Loop: Header=BB736_694 Depth=2
	v_lshlrev_b32_e32 v37, 2, v151
	v_mov_b32_e32 v40, v3
	ds_read_b32 v39, v37
	ds_read_b64 v[37:38], v106 offset:27136
	s_waitcnt lgkmcnt(1)
	v_add_nc_u32_e32 v39, v39, v88
	v_lshlrev_b64 v[39:40], 3, v[39:40]
	v_add_co_u32 v39, vcc_lo, s48, v39
	v_add_co_ci_u32_e64 v40, null, s49, v40, vcc_lo
	s_waitcnt lgkmcnt(0)
	global_store_dwordx2 v[39:40], v[37:38], off
	s_or_b32 exec_lo, exec_lo, s23
	s_and_saveexec_b32 s23, s37
	s_cbranch_execz .LBB736_839
.LBB736_903:                            ;   in Loop: Header=BB736_694 Depth=2
	v_lshlrev_b32_e32 v37, 2, v150
	v_mov_b32_e32 v40, v3
	ds_read_b32 v39, v37
	ds_read_b64 v[37:38], v106 offset:29184
	s_waitcnt lgkmcnt(1)
	v_add_nc_u32_e32 v39, v39, v89
	v_lshlrev_b64 v[39:40], 3, v[39:40]
	v_add_co_u32 v39, vcc_lo, s48, v39
	v_add_co_ci_u32_e64 v40, null, s49, v40, vcc_lo
	s_waitcnt lgkmcnt(0)
	global_store_dwordx2 v[39:40], v[37:38], off
	s_or_b32 exec_lo, exec_lo, s23
	s_and_saveexec_b32 s23, s38
	s_cbranch_execnz .LBB736_840
	s_branch .LBB736_841
.LBB736_904:                            ;   in Loop: Header=BB736_20 Depth=1
	s_waitcnt lgkmcnt(0)
	s_mov_b32 s5, 0
	s_barrier
.LBB736_905:                            ;   in Loop: Header=BB736_20 Depth=1
	s_and_b32 vcc_lo, exec_lo, s5
	s_cbranch_vccz .LBB736_19
; %bb.906:                              ;   in Loop: Header=BB736_20 Depth=1
	s_mov_b32 s5, s62
	s_mov_b32 s56, s60
	s_barrier
	buffer_gl0_inv
                                        ; implicit-def: $vgpr5_vgpr6
                                        ; implicit-def: $vgpr7_vgpr8
                                        ; implicit-def: $vgpr9_vgpr10
                                        ; implicit-def: $vgpr11_vgpr12
                                        ; implicit-def: $vgpr13_vgpr14
                                        ; implicit-def: $vgpr15_vgpr16
                                        ; implicit-def: $vgpr17_vgpr18
                                        ; implicit-def: $vgpr19_vgpr20
                                        ; implicit-def: $vgpr21_vgpr22
                                        ; implicit-def: $vgpr23_vgpr24
                                        ; implicit-def: $vgpr25_vgpr26
                                        ; implicit-def: $vgpr27_vgpr28
                                        ; implicit-def: $vgpr29_vgpr30
                                        ; implicit-def: $vgpr31_vgpr32
                                        ; implicit-def: $vgpr33_vgpr34
                                        ; implicit-def: $vgpr35_vgpr36
	s_branch .LBB736_908
.LBB736_907:                            ;   in Loop: Header=BB736_908 Depth=2
	s_or_b32 exec_lo, exec_lo, s16
	s_addk_i32 s5, 0xf000
	s_cmp_ge_u32 s15, s61
	s_mov_b32 s56, s15
	s_cbranch_scc1 .LBB736_976
.LBB736_908:                            ;   Parent Loop BB736_20 Depth=1
                                        ; =>  This Inner Loop Header: Depth=2
	s_add_i32 s15, s56, 0x1000
	s_mov_b32 s16, -1
	s_cmp_gt_u32 s15, s61
                                        ; implicit-def: $vgpr47_vgpr48
                                        ; implicit-def: $vgpr51_vgpr52
                                        ; implicit-def: $vgpr55_vgpr56
                                        ; implicit-def: $vgpr37_vgpr38
                                        ; implicit-def: $vgpr39_vgpr40
                                        ; implicit-def: $vgpr41_vgpr42
                                        ; implicit-def: $vgpr43_vgpr44
                                        ; implicit-def: $vgpr45_vgpr46
                                        ; implicit-def: $vgpr49_vgpr50
                                        ; implicit-def: $vgpr53_vgpr54
                                        ; implicit-def: $vgpr57_vgpr58
                                        ; implicit-def: $vgpr59_vgpr60
                                        ; implicit-def: $vgpr61_vgpr62
                                        ; implicit-def: $vgpr63_vgpr64
                                        ; implicit-def: $vgpr65_vgpr66
                                        ; implicit-def: $vgpr67_vgpr68
	s_cbranch_scc1 .LBB736_910
; %bb.909:                              ;   in Loop: Header=BB736_908 Depth=2
	s_lshl_b64 s[16:17], s[56:57], 3
	v_add_co_u32 v47, vcc_lo, v113, s16
	v_add_co_ci_u32_e64 v48, null, s17, v114, vcc_lo
	s_mov_b32 s16, 0
	v_add_co_u32 v55, vcc_lo, v47, 0x1000
	v_add_co_ci_u32_e64 v56, null, 0, v48, vcc_lo
	v_add_co_u32 v39, vcc_lo, v47, 0x2000
	v_add_co_ci_u32_e64 v40, null, 0, v48, vcc_lo
	;; [unrolled: 2-line block ×5, first 2 shown]
	s_clause 0x7
	global_load_dwordx2 v[37:38], v[39:40], off offset:-2048
	global_load_dwordx2 v[39:40], v[39:40], off
	global_load_dwordx2 v[41:42], v[43:44], off offset:-2048
	global_load_dwordx2 v[43:44], v[43:44], off
	;; [unrolled: 2-line block ×4, first 2 shown]
	v_add_co_u32 v51, vcc_lo, v47, 0x6000
	v_add_co_ci_u32_e64 v52, null, 0, v48, vcc_lo
	v_add_co_u32 v65, vcc_lo, v47, 0x7000
	v_add_co_ci_u32_e64 v66, null, 0, v48, vcc_lo
	;; [unrolled: 2-line block ×3, first 2 shown]
	s_clause 0x7
	global_load_dwordx2 v[59:60], v[51:52], off offset:-2048
	global_load_dwordx2 v[61:62], v[51:52], off
	global_load_dwordx2 v[63:64], v[65:66], off offset:-2048
	global_load_dwordx2 v[65:66], v[65:66], off
	global_load_dwordx2 v[47:48], v[47:48], off
	global_load_dwordx2 v[51:52], v[55:56], off offset:-2048
	global_load_dwordx2 v[55:56], v[55:56], off
	global_load_dwordx2 v[67:68], v[67:68], off
.LBB736_910:                            ;   in Loop: Header=BB736_908 Depth=2
	s_andn2_b32 vcc_lo, exec_lo, s16
	s_movk_i32 s16, 0x1000
	s_cbranch_vccnz .LBB736_929
; %bb.911:                              ;   in Loop: Header=BB736_908 Depth=2
	s_lshl_b64 s[16:17], s[56:57], 3
	s_mov_b32 s18, exec_lo
	s_add_u32 s16, s40, s16
	s_addc_u32 s17, s41, s17
	v_cmpx_gt_u32_e64 s5, v0
	s_cbranch_execnz .LBB736_961
; %bb.912:                              ;   in Loop: Header=BB736_908 Depth=2
	s_or_b32 exec_lo, exec_lo, s18
	s_mov_b32 s18, exec_lo
	v_cmpx_gt_u32_e64 s5, v74
	s_cbranch_execnz .LBB736_962
.LBB736_913:                            ;   in Loop: Header=BB736_908 Depth=2
	s_or_b32 exec_lo, exec_lo, s18
	s_mov_b32 s18, exec_lo
	v_cmpx_gt_u32_e64 s5, v77
	s_cbranch_execnz .LBB736_963
.LBB736_914:                            ;   in Loop: Header=BB736_908 Depth=2
	s_or_b32 exec_lo, exec_lo, s18
	s_mov_b32 s18, exec_lo
	v_cmpx_gt_u32_e64 s5, v78
	s_cbranch_execnz .LBB736_964
.LBB736_915:                            ;   in Loop: Header=BB736_908 Depth=2
	s_or_b32 exec_lo, exec_lo, s18
	s_mov_b32 s18, exec_lo
	v_cmpx_gt_u32_e64 s5, v79
	s_cbranch_execnz .LBB736_965
.LBB736_916:                            ;   in Loop: Header=BB736_908 Depth=2
	s_or_b32 exec_lo, exec_lo, s18
	s_mov_b32 s18, exec_lo
	v_cmpx_gt_u32_e64 s5, v80
	s_cbranch_execnz .LBB736_966
.LBB736_917:                            ;   in Loop: Header=BB736_908 Depth=2
	s_or_b32 exec_lo, exec_lo, s18
	s_mov_b32 s18, exec_lo
	v_cmpx_gt_u32_e64 s5, v81
	s_cbranch_execnz .LBB736_967
.LBB736_918:                            ;   in Loop: Header=BB736_908 Depth=2
	s_or_b32 exec_lo, exec_lo, s18
	s_mov_b32 s18, exec_lo
	v_cmpx_gt_u32_e64 s5, v82
	s_cbranch_execnz .LBB736_968
.LBB736_919:                            ;   in Loop: Header=BB736_908 Depth=2
	s_or_b32 exec_lo, exec_lo, s18
	s_mov_b32 s18, exec_lo
	v_cmpx_gt_u32_e64 s5, v83
	s_cbranch_execnz .LBB736_969
.LBB736_920:                            ;   in Loop: Header=BB736_908 Depth=2
	s_or_b32 exec_lo, exec_lo, s18
	s_mov_b32 s18, exec_lo
	v_cmpx_gt_u32_e64 s5, v84
	s_cbranch_execnz .LBB736_970
.LBB736_921:                            ;   in Loop: Header=BB736_908 Depth=2
	s_or_b32 exec_lo, exec_lo, s18
	s_mov_b32 s18, exec_lo
	v_cmpx_gt_u32_e64 s5, v85
	s_cbranch_execnz .LBB736_971
.LBB736_922:                            ;   in Loop: Header=BB736_908 Depth=2
	s_or_b32 exec_lo, exec_lo, s18
	s_mov_b32 s18, exec_lo
	v_cmpx_gt_u32_e64 s5, v86
	s_cbranch_execnz .LBB736_972
.LBB736_923:                            ;   in Loop: Header=BB736_908 Depth=2
	s_or_b32 exec_lo, exec_lo, s18
	s_mov_b32 s18, exec_lo
	v_cmpx_gt_u32_e64 s5, v87
	s_cbranch_execnz .LBB736_973
.LBB736_924:                            ;   in Loop: Header=BB736_908 Depth=2
	s_or_b32 exec_lo, exec_lo, s18
	s_mov_b32 s18, exec_lo
	v_cmpx_gt_u32_e64 s5, v88
	s_cbranch_execnz .LBB736_974
.LBB736_925:                            ;   in Loop: Header=BB736_908 Depth=2
	s_or_b32 exec_lo, exec_lo, s18
	s_mov_b32 s18, exec_lo
	v_cmpx_gt_u32_e64 s5, v89
	s_cbranch_execnz .LBB736_975
.LBB736_926:                            ;   in Loop: Header=BB736_908 Depth=2
	s_or_b32 exec_lo, exec_lo, s18
	s_mov_b32 s18, exec_lo
	v_cmpx_gt_u32_e64 s5, v90
	s_cbranch_execz .LBB736_928
.LBB736_927:                            ;   in Loop: Header=BB736_908 Depth=2
	v_lshlrev_b32_e32 v5, 3, v90
	global_load_dwordx2 v[5:6], v5, s[16:17]
.LBB736_928:                            ;   in Loop: Header=BB736_908 Depth=2
	s_or_b32 exec_lo, exec_lo, s18
	s_waitcnt vmcnt(0)
	v_mov_b32_e32 v48, v36
	v_mov_b32_e32 v52, v34
	;; [unrolled: 1-line block ×32, first 2 shown]
	s_mov_b32 s16, s5
.LBB736_929:                            ;   in Loop: Header=BB736_908 Depth=2
	s_waitcnt vmcnt(0)
	v_mov_b32_e32 v5, v67
	v_mov_b32_e32 v7, v65
	;; [unrolled: 1-line block ×32, first 2 shown]
	s_mov_b32 s17, exec_lo
	v_cmpx_gt_u32_e64 s16, v0
	s_cbranch_execnz .LBB736_945
; %bb.930:                              ;   in Loop: Header=BB736_908 Depth=2
	s_or_b32 exec_lo, exec_lo, s17
	s_mov_b32 s17, exec_lo
	v_cmpx_gt_u32_e64 s16, v74
	s_cbranch_execnz .LBB736_946
.LBB736_931:                            ;   in Loop: Header=BB736_908 Depth=2
	s_or_b32 exec_lo, exec_lo, s17
	s_mov_b32 s17, exec_lo
	v_cmpx_gt_u32_e64 s16, v77
	s_cbranch_execnz .LBB736_947
.LBB736_932:                            ;   in Loop: Header=BB736_908 Depth=2
	s_or_b32 exec_lo, exec_lo, s17
	s_mov_b32 s17, exec_lo
	v_cmpx_gt_u32_e64 s16, v78
	s_cbranch_execnz .LBB736_948
.LBB736_933:                            ;   in Loop: Header=BB736_908 Depth=2
	s_or_b32 exec_lo, exec_lo, s17
	s_mov_b32 s17, exec_lo
	v_cmpx_gt_u32_e64 s16, v79
	s_cbranch_execnz .LBB736_949
.LBB736_934:                            ;   in Loop: Header=BB736_908 Depth=2
	s_or_b32 exec_lo, exec_lo, s17
	s_mov_b32 s17, exec_lo
	v_cmpx_gt_u32_e64 s16, v80
	s_cbranch_execnz .LBB736_950
.LBB736_935:                            ;   in Loop: Header=BB736_908 Depth=2
	s_or_b32 exec_lo, exec_lo, s17
	s_mov_b32 s17, exec_lo
	v_cmpx_gt_u32_e64 s16, v81
	s_cbranch_execnz .LBB736_951
.LBB736_936:                            ;   in Loop: Header=BB736_908 Depth=2
	s_or_b32 exec_lo, exec_lo, s17
	s_mov_b32 s17, exec_lo
	v_cmpx_gt_u32_e64 s16, v82
	s_cbranch_execnz .LBB736_952
.LBB736_937:                            ;   in Loop: Header=BB736_908 Depth=2
	s_or_b32 exec_lo, exec_lo, s17
	s_mov_b32 s17, exec_lo
	v_cmpx_gt_u32_e64 s16, v83
	s_cbranch_execnz .LBB736_953
.LBB736_938:                            ;   in Loop: Header=BB736_908 Depth=2
	s_or_b32 exec_lo, exec_lo, s17
	s_mov_b32 s17, exec_lo
	v_cmpx_gt_u32_e64 s16, v84
	s_cbranch_execnz .LBB736_954
.LBB736_939:                            ;   in Loop: Header=BB736_908 Depth=2
	s_or_b32 exec_lo, exec_lo, s17
	s_mov_b32 s17, exec_lo
	v_cmpx_gt_u32_e64 s16, v85
	s_cbranch_execnz .LBB736_955
.LBB736_940:                            ;   in Loop: Header=BB736_908 Depth=2
	s_or_b32 exec_lo, exec_lo, s17
	s_mov_b32 s17, exec_lo
	v_cmpx_gt_u32_e64 s16, v86
	s_cbranch_execnz .LBB736_956
.LBB736_941:                            ;   in Loop: Header=BB736_908 Depth=2
	s_or_b32 exec_lo, exec_lo, s17
	s_mov_b32 s17, exec_lo
	v_cmpx_gt_u32_e64 s16, v87
	s_cbranch_execnz .LBB736_957
.LBB736_942:                            ;   in Loop: Header=BB736_908 Depth=2
	s_or_b32 exec_lo, exec_lo, s17
	s_mov_b32 s17, exec_lo
	v_cmpx_gt_u32_e64 s16, v88
	s_cbranch_execnz .LBB736_958
.LBB736_943:                            ;   in Loop: Header=BB736_908 Depth=2
	s_or_b32 exec_lo, exec_lo, s17
	s_mov_b32 s17, exec_lo
	v_cmpx_gt_u32_e64 s16, v89
	s_cbranch_execnz .LBB736_959
.LBB736_944:                            ;   in Loop: Header=BB736_908 Depth=2
	s_or_b32 exec_lo, exec_lo, s17
	v_cmp_gt_u32_e32 vcc_lo, s16, v90
	s_and_saveexec_b32 s16, vcc_lo
	s_cbranch_execz .LBB736_907
	s_branch .LBB736_960
.LBB736_945:                            ;   in Loop: Header=BB736_908 Depth=2
	v_xor_b32_e32 v38, 0x7fffffff, v36
	v_not_b32_e32 v37, v35
	v_lshrrev_b64 v[37:38], s46, v[37:38]
	v_and_b32_e32 v37, s52, v37
	v_lshl_or_b32 v37, v37, 4, v91
	ds_add_u32 v37, v119
	s_or_b32 exec_lo, exec_lo, s17
	s_mov_b32 s17, exec_lo
	v_cmpx_gt_u32_e64 s16, v74
	s_cbranch_execz .LBB736_931
.LBB736_946:                            ;   in Loop: Header=BB736_908 Depth=2
	v_xor_b32_e32 v38, 0x7fffffff, v34
	v_not_b32_e32 v37, v33
	v_lshrrev_b64 v[37:38], s46, v[37:38]
	v_and_b32_e32 v37, s52, v37
	v_lshl_or_b32 v37, v37, 4, v91
	ds_add_u32 v37, v119
	s_or_b32 exec_lo, exec_lo, s17
	s_mov_b32 s17, exec_lo
	v_cmpx_gt_u32_e64 s16, v77
	s_cbranch_execz .LBB736_932
.LBB736_947:                            ;   in Loop: Header=BB736_908 Depth=2
	v_xor_b32_e32 v38, 0x7fffffff, v32
	v_not_b32_e32 v37, v31
	v_lshrrev_b64 v[37:38], s46, v[37:38]
	v_and_b32_e32 v37, s52, v37
	v_lshl_or_b32 v37, v37, 4, v91
	ds_add_u32 v37, v119
	s_or_b32 exec_lo, exec_lo, s17
	s_mov_b32 s17, exec_lo
	v_cmpx_gt_u32_e64 s16, v78
	s_cbranch_execz .LBB736_933
.LBB736_948:                            ;   in Loop: Header=BB736_908 Depth=2
	v_xor_b32_e32 v38, 0x7fffffff, v30
	v_not_b32_e32 v37, v29
	v_lshrrev_b64 v[37:38], s46, v[37:38]
	v_and_b32_e32 v37, s52, v37
	v_lshl_or_b32 v37, v37, 4, v91
	ds_add_u32 v37, v119
	s_or_b32 exec_lo, exec_lo, s17
	s_mov_b32 s17, exec_lo
	v_cmpx_gt_u32_e64 s16, v79
	s_cbranch_execz .LBB736_934
.LBB736_949:                            ;   in Loop: Header=BB736_908 Depth=2
	v_xor_b32_e32 v38, 0x7fffffff, v28
	v_not_b32_e32 v37, v27
	v_lshrrev_b64 v[37:38], s46, v[37:38]
	v_and_b32_e32 v37, s52, v37
	v_lshl_or_b32 v37, v37, 4, v91
	ds_add_u32 v37, v119
	s_or_b32 exec_lo, exec_lo, s17
	s_mov_b32 s17, exec_lo
	v_cmpx_gt_u32_e64 s16, v80
	s_cbranch_execz .LBB736_935
.LBB736_950:                            ;   in Loop: Header=BB736_908 Depth=2
	v_xor_b32_e32 v38, 0x7fffffff, v26
	v_not_b32_e32 v37, v25
	v_lshrrev_b64 v[37:38], s46, v[37:38]
	v_and_b32_e32 v37, s52, v37
	v_lshl_or_b32 v37, v37, 4, v91
	ds_add_u32 v37, v119
	s_or_b32 exec_lo, exec_lo, s17
	s_mov_b32 s17, exec_lo
	v_cmpx_gt_u32_e64 s16, v81
	s_cbranch_execz .LBB736_936
.LBB736_951:                            ;   in Loop: Header=BB736_908 Depth=2
	v_xor_b32_e32 v38, 0x7fffffff, v24
	v_not_b32_e32 v37, v23
	v_lshrrev_b64 v[37:38], s46, v[37:38]
	v_and_b32_e32 v37, s52, v37
	v_lshl_or_b32 v37, v37, 4, v91
	ds_add_u32 v37, v119
	s_or_b32 exec_lo, exec_lo, s17
	s_mov_b32 s17, exec_lo
	v_cmpx_gt_u32_e64 s16, v82
	s_cbranch_execz .LBB736_937
.LBB736_952:                            ;   in Loop: Header=BB736_908 Depth=2
	v_xor_b32_e32 v38, 0x7fffffff, v22
	v_not_b32_e32 v37, v21
	v_lshrrev_b64 v[37:38], s46, v[37:38]
	v_and_b32_e32 v37, s52, v37
	v_lshl_or_b32 v37, v37, 4, v91
	ds_add_u32 v37, v119
	s_or_b32 exec_lo, exec_lo, s17
	s_mov_b32 s17, exec_lo
	v_cmpx_gt_u32_e64 s16, v83
	s_cbranch_execz .LBB736_938
.LBB736_953:                            ;   in Loop: Header=BB736_908 Depth=2
	v_xor_b32_e32 v38, 0x7fffffff, v20
	v_not_b32_e32 v37, v19
	v_lshrrev_b64 v[37:38], s46, v[37:38]
	v_and_b32_e32 v37, s52, v37
	v_lshl_or_b32 v37, v37, 4, v91
	ds_add_u32 v37, v119
	s_or_b32 exec_lo, exec_lo, s17
	s_mov_b32 s17, exec_lo
	v_cmpx_gt_u32_e64 s16, v84
	s_cbranch_execz .LBB736_939
.LBB736_954:                            ;   in Loop: Header=BB736_908 Depth=2
	v_xor_b32_e32 v38, 0x7fffffff, v18
	v_not_b32_e32 v37, v17
	v_lshrrev_b64 v[37:38], s46, v[37:38]
	v_and_b32_e32 v37, s52, v37
	v_lshl_or_b32 v37, v37, 4, v91
	ds_add_u32 v37, v119
	s_or_b32 exec_lo, exec_lo, s17
	s_mov_b32 s17, exec_lo
	v_cmpx_gt_u32_e64 s16, v85
	s_cbranch_execz .LBB736_940
.LBB736_955:                            ;   in Loop: Header=BB736_908 Depth=2
	v_xor_b32_e32 v38, 0x7fffffff, v16
	v_not_b32_e32 v37, v15
	v_lshrrev_b64 v[37:38], s46, v[37:38]
	v_and_b32_e32 v37, s52, v37
	v_lshl_or_b32 v37, v37, 4, v91
	ds_add_u32 v37, v119
	s_or_b32 exec_lo, exec_lo, s17
	s_mov_b32 s17, exec_lo
	v_cmpx_gt_u32_e64 s16, v86
	s_cbranch_execz .LBB736_941
.LBB736_956:                            ;   in Loop: Header=BB736_908 Depth=2
	v_xor_b32_e32 v38, 0x7fffffff, v14
	v_not_b32_e32 v37, v13
	v_lshrrev_b64 v[37:38], s46, v[37:38]
	v_and_b32_e32 v37, s52, v37
	v_lshl_or_b32 v37, v37, 4, v91
	ds_add_u32 v37, v119
	s_or_b32 exec_lo, exec_lo, s17
	s_mov_b32 s17, exec_lo
	v_cmpx_gt_u32_e64 s16, v87
	s_cbranch_execz .LBB736_942
.LBB736_957:                            ;   in Loop: Header=BB736_908 Depth=2
	v_xor_b32_e32 v38, 0x7fffffff, v12
	v_not_b32_e32 v37, v11
	v_lshrrev_b64 v[37:38], s46, v[37:38]
	v_and_b32_e32 v37, s52, v37
	v_lshl_or_b32 v37, v37, 4, v91
	ds_add_u32 v37, v119
	s_or_b32 exec_lo, exec_lo, s17
	s_mov_b32 s17, exec_lo
	v_cmpx_gt_u32_e64 s16, v88
	s_cbranch_execz .LBB736_943
.LBB736_958:                            ;   in Loop: Header=BB736_908 Depth=2
	v_xor_b32_e32 v38, 0x7fffffff, v10
	v_not_b32_e32 v37, v9
	v_lshrrev_b64 v[37:38], s46, v[37:38]
	v_and_b32_e32 v37, s52, v37
	v_lshl_or_b32 v37, v37, 4, v91
	ds_add_u32 v37, v119
	s_or_b32 exec_lo, exec_lo, s17
	s_mov_b32 s17, exec_lo
	v_cmpx_gt_u32_e64 s16, v89
	s_cbranch_execz .LBB736_944
.LBB736_959:                            ;   in Loop: Header=BB736_908 Depth=2
	v_xor_b32_e32 v38, 0x7fffffff, v8
	v_not_b32_e32 v37, v7
	v_lshrrev_b64 v[37:38], s46, v[37:38]
	v_and_b32_e32 v37, s52, v37
	v_lshl_or_b32 v37, v37, 4, v91
	ds_add_u32 v37, v119
	s_or_b32 exec_lo, exec_lo, s17
	v_cmp_gt_u32_e32 vcc_lo, s16, v90
	s_and_saveexec_b32 s16, vcc_lo
	s_cbranch_execz .LBB736_907
.LBB736_960:                            ;   in Loop: Header=BB736_908 Depth=2
	v_xor_b32_e32 v38, 0x7fffffff, v6
	v_not_b32_e32 v37, v5
	v_lshrrev_b64 v[37:38], s46, v[37:38]
	v_and_b32_e32 v37, s52, v37
	v_lshl_or_b32 v37, v37, 4, v91
	ds_add_u32 v37, v119
	s_branch .LBB736_907
.LBB736_961:                            ;   in Loop: Header=BB736_908 Depth=2
	global_load_dwordx2 v[35:36], v120, s[16:17]
	s_or_b32 exec_lo, exec_lo, s18
	s_mov_b32 s18, exec_lo
	v_cmpx_gt_u32_e64 s5, v74
	s_cbranch_execz .LBB736_913
.LBB736_962:                            ;   in Loop: Header=BB736_908 Depth=2
	global_load_dwordx2 v[33:34], v121, s[16:17]
	s_or_b32 exec_lo, exec_lo, s18
	s_mov_b32 s18, exec_lo
	v_cmpx_gt_u32_e64 s5, v77
	s_cbranch_execz .LBB736_914
.LBB736_963:                            ;   in Loop: Header=BB736_908 Depth=2
	global_load_dwordx2 v[31:32], v122, s[16:17]
	s_or_b32 exec_lo, exec_lo, s18
	s_mov_b32 s18, exec_lo
	v_cmpx_gt_u32_e64 s5, v78
	s_cbranch_execz .LBB736_915
.LBB736_964:                            ;   in Loop: Header=BB736_908 Depth=2
	global_load_dwordx2 v[29:30], v123, s[16:17]
	s_or_b32 exec_lo, exec_lo, s18
	s_mov_b32 s18, exec_lo
	v_cmpx_gt_u32_e64 s5, v79
	s_cbranch_execz .LBB736_916
.LBB736_965:                            ;   in Loop: Header=BB736_908 Depth=2
	global_load_dwordx2 v[27:28], v124, s[16:17]
	s_or_b32 exec_lo, exec_lo, s18
	s_mov_b32 s18, exec_lo
	v_cmpx_gt_u32_e64 s5, v80
	s_cbranch_execz .LBB736_917
.LBB736_966:                            ;   in Loop: Header=BB736_908 Depth=2
	global_load_dwordx2 v[25:26], v125, s[16:17]
	s_or_b32 exec_lo, exec_lo, s18
	s_mov_b32 s18, exec_lo
	v_cmpx_gt_u32_e64 s5, v81
	s_cbranch_execz .LBB736_918
.LBB736_967:                            ;   in Loop: Header=BB736_908 Depth=2
	v_lshlrev_b32_e32 v23, 3, v81
	global_load_dwordx2 v[23:24], v23, s[16:17]
	s_or_b32 exec_lo, exec_lo, s18
	s_mov_b32 s18, exec_lo
	v_cmpx_gt_u32_e64 s5, v82
	s_cbranch_execz .LBB736_919
.LBB736_968:                            ;   in Loop: Header=BB736_908 Depth=2
	v_lshlrev_b32_e32 v21, 3, v82
	global_load_dwordx2 v[21:22], v21, s[16:17]
	s_or_b32 exec_lo, exec_lo, s18
	s_mov_b32 s18, exec_lo
	v_cmpx_gt_u32_e64 s5, v83
	s_cbranch_execz .LBB736_920
.LBB736_969:                            ;   in Loop: Header=BB736_908 Depth=2
	v_lshlrev_b32_e32 v19, 3, v83
	global_load_dwordx2 v[19:20], v19, s[16:17]
	s_or_b32 exec_lo, exec_lo, s18
	s_mov_b32 s18, exec_lo
	v_cmpx_gt_u32_e64 s5, v84
	s_cbranch_execz .LBB736_921
.LBB736_970:                            ;   in Loop: Header=BB736_908 Depth=2
	v_lshlrev_b32_e32 v17, 3, v84
	global_load_dwordx2 v[17:18], v17, s[16:17]
	s_or_b32 exec_lo, exec_lo, s18
	s_mov_b32 s18, exec_lo
	v_cmpx_gt_u32_e64 s5, v85
	s_cbranch_execz .LBB736_922
.LBB736_971:                            ;   in Loop: Header=BB736_908 Depth=2
	v_lshlrev_b32_e32 v15, 3, v85
	global_load_dwordx2 v[15:16], v15, s[16:17]
	s_or_b32 exec_lo, exec_lo, s18
	s_mov_b32 s18, exec_lo
	v_cmpx_gt_u32_e64 s5, v86
	s_cbranch_execz .LBB736_923
.LBB736_972:                            ;   in Loop: Header=BB736_908 Depth=2
	v_lshlrev_b32_e32 v13, 3, v86
	global_load_dwordx2 v[13:14], v13, s[16:17]
	s_or_b32 exec_lo, exec_lo, s18
	s_mov_b32 s18, exec_lo
	v_cmpx_gt_u32_e64 s5, v87
	s_cbranch_execz .LBB736_924
.LBB736_973:                            ;   in Loop: Header=BB736_908 Depth=2
	v_lshlrev_b32_e32 v11, 3, v87
	global_load_dwordx2 v[11:12], v11, s[16:17]
	s_or_b32 exec_lo, exec_lo, s18
	s_mov_b32 s18, exec_lo
	v_cmpx_gt_u32_e64 s5, v88
	s_cbranch_execz .LBB736_925
.LBB736_974:                            ;   in Loop: Header=BB736_908 Depth=2
	v_lshlrev_b32_e32 v9, 3, v88
	global_load_dwordx2 v[9:10], v9, s[16:17]
	s_or_b32 exec_lo, exec_lo, s18
	s_mov_b32 s18, exec_lo
	v_cmpx_gt_u32_e64 s5, v89
	s_cbranch_execz .LBB736_926
.LBB736_975:                            ;   in Loop: Header=BB736_908 Depth=2
	v_lshlrev_b32_e32 v7, 3, v89
	global_load_dwordx2 v[7:8], v7, s[16:17]
	s_or_b32 exec_lo, exec_lo, s18
	s_mov_b32 s18, exec_lo
	v_cmpx_gt_u32_e64 s5, v90
	s_cbranch_execnz .LBB736_927
	s_branch .LBB736_928
.LBB736_976:                            ;   in Loop: Header=BB736_20 Depth=1
	v_mov_b32_e32 v5, 0
	s_waitcnt lgkmcnt(0)
	s_barrier
	buffer_gl0_inv
	s_and_saveexec_b32 s5, s8
	s_cbranch_execz .LBB736_978
; %bb.977:                              ;   in Loop: Header=BB736_20 Depth=1
	ds_read2_b64 v[5:8], v93 offset1:1
	s_waitcnt lgkmcnt(0)
	v_add_nc_u32_e32 v5, v6, v5
	v_add3_u32 v5, v5, v7, v8
.LBB736_978:                            ;   in Loop: Header=BB736_20 Depth=1
	s_or_b32 exec_lo, exec_lo, s5
	v_and_b32_e32 v6, 15, v126
	v_mov_b32_dpp v7, v5 row_shr:1 row_mask:0xf bank_mask:0xf
	v_and_b32_e32 v8, 16, v126
	v_cmp_eq_u32_e64 s5, 0, v6
	v_cmp_lt_u32_e64 s15, 1, v6
	v_cmp_lt_u32_e64 s16, 3, v6
	;; [unrolled: 1-line block ×3, first 2 shown]
	v_cmp_eq_u32_e64 s18, 0, v8
	v_cndmask_b32_e64 v7, v7, 0, s5
	v_add_nc_u32_e32 v5, v7, v5
	v_mov_b32_dpp v7, v5 row_shr:2 row_mask:0xf bank_mask:0xf
	v_cndmask_b32_e64 v7, 0, v7, s15
	v_add_nc_u32_e32 v5, v5, v7
	v_mov_b32_dpp v7, v5 row_shr:4 row_mask:0xf bank_mask:0xf
	;; [unrolled: 3-line block ×3, first 2 shown]
	v_cndmask_b32_e64 v6, 0, v7, s17
	v_bfe_i32 v7, v126, 4, 1
	v_add_nc_u32_e32 v5, v5, v6
	ds_swizzle_b32 v6, v5 offset:swizzle(BROADCAST,32,15)
	s_waitcnt lgkmcnt(0)
	v_and_b32_e32 v6, v7, v6
	v_add_nc_u32_e32 v5, v5, v6
	s_and_saveexec_b32 s19, s9
; %bb.979:                              ;   in Loop: Header=BB736_20 Depth=1
	ds_write_b32 v94, v5
; %bb.980:                              ;   in Loop: Header=BB736_20 Depth=1
	s_or_b32 exec_lo, exec_lo, s19
	s_waitcnt lgkmcnt(0)
	s_barrier
	buffer_gl0_inv
	s_and_saveexec_b32 s19, s10
	s_cbranch_execz .LBB736_982
; %bb.981:                              ;   in Loop: Header=BB736_20 Depth=1
	ds_read_b32 v6, v95
	v_and_b32_e32 v7, 3, v126
	v_cmp_ne_u32_e32 vcc_lo, 0, v7
	s_waitcnt lgkmcnt(0)
	v_mov_b32_dpp v8, v6 row_shr:1 row_mask:0xf bank_mask:0xf
	v_cndmask_b32_e32 v8, 0, v8, vcc_lo
	v_cmp_lt_u32_e32 vcc_lo, 1, v7
	v_add_nc_u32_e32 v6, v8, v6
	v_mov_b32_dpp v8, v6 row_shr:2 row_mask:0xf bank_mask:0xf
	v_cndmask_b32_e32 v7, 0, v8, vcc_lo
	v_add_nc_u32_e32 v6, v6, v7
	ds_write_b32 v95, v6
.LBB736_982:                            ;   in Loop: Header=BB736_20 Depth=1
	s_or_b32 exec_lo, exec_lo, s19
	v_mov_b32_e32 v6, 0
	s_waitcnt lgkmcnt(0)
	s_barrier
	buffer_gl0_inv
	s_and_saveexec_b32 s19, s11
; %bb.983:                              ;   in Loop: Header=BB736_20 Depth=1
	ds_read_b32 v6, v96
; %bb.984:                              ;   in Loop: Header=BB736_20 Depth=1
	s_or_b32 exec_lo, exec_lo, s19
	v_sub_co_u32 v7, s19, v126, 1
	s_waitcnt lgkmcnt(0)
	v_add_nc_u32_e32 v5, v6, v5
	s_barrier
	v_cmp_gt_i32_e32 vcc_lo, 0, v7
	buffer_gl0_inv
	v_cndmask_b32_e32 v7, v7, v126, vcc_lo
	v_lshlrev_b32_e32 v127, 2, v7
	ds_bpermute_b32 v5, v127, v5
	s_and_saveexec_b32 s20, s8
	s_cbranch_execz .LBB736_986
; %bb.985:                              ;   in Loop: Header=BB736_20 Depth=1
	s_waitcnt lgkmcnt(0)
	v_cndmask_b32_e64 v5, v5, v6, s19
	v_add_nc_u32_e32 v5, s60, v5
	ds_write_b32 v73, v5
.LBB736_986:                            ;   in Loop: Header=BB736_20 Depth=1
	s_or_b32 exec_lo, exec_lo, s20
	s_load_dwordx2 s[20:21], s[58:59], 0x0
	v_lshlrev_b32_e32 v8, 3, v126
	v_and_b32_e32 v7, 7, v126
	v_or_b32_e32 v128, v126, v97
	s_mov_b32 s63, s62
	s_mov_b32 s56, s60
	v_add_co_u32 v129, vcc_lo, v115, v8
	v_add_co_ci_u32_e64 v130, null, 0, v116, vcc_lo
	v_add_co_u32 v146, vcc_lo, v117, v8
	v_or_b32_e32 v131, 32, v128
	v_or_b32_e32 v132, 64, v128
	;; [unrolled: 1-line block ×8, first 2 shown]
	s_waitcnt lgkmcnt(0)
	s_cmp_lt_u32 s7, s21
	v_or_b32_e32 v139, 0x120, v128
	s_cselect_b32 s21, 14, 20
	v_or_b32_e32 v140, 0x140, v128
	s_add_u32 s22, s58, s21
	s_addc_u32 s23, s59, 0
	s_cmp_lt_u32 s6, s20
	global_load_ushort v5, v3, s[22:23]
	s_cselect_b32 s20, 12, 18
	v_or_b32_e32 v141, 0x160, v128
	s_add_u32 s20, s58, s20
	s_addc_u32 s21, s59, 0
	v_or_b32_e32 v142, 0x180, v128
	global_load_ushort v6, v3, s[20:21]
	v_cmp_eq_u32_e64 s20, 0, v7
	v_cmp_lt_u32_e64 s21, 1, v7
	v_cmp_lt_u32_e64 s22, 3, v7
	v_or_b32_e32 v143, 0x1a0, v128
	v_or_b32_e32 v144, 0x1c0, v128
	;; [unrolled: 1-line block ×3, first 2 shown]
	v_add_co_ci_u32_e64 v147, null, 0, v118, vcc_lo
                                        ; implicit-def: $vgpr7_vgpr8
                                        ; implicit-def: $vgpr9_vgpr10
                                        ; implicit-def: $vgpr11_vgpr12
                                        ; implicit-def: $vgpr13_vgpr14
                                        ; implicit-def: $vgpr17_vgpr18
                                        ; implicit-def: $vgpr21_vgpr22
                                        ; implicit-def: $vgpr25_vgpr26
                                        ; implicit-def: $vgpr15_vgpr16
                                        ; implicit-def: $vgpr19_vgpr20
                                        ; implicit-def: $vgpr23_vgpr24
                                        ; implicit-def: $vgpr27_vgpr28
                                        ; implicit-def: $vgpr29_vgpr30
                                        ; implicit-def: $vgpr31_vgpr32
                                        ; implicit-def: $vgpr33_vgpr34
                                        ; implicit-def: $vgpr35_vgpr36
                                        ; implicit-def: $vgpr149
                                        ; implicit-def: $vgpr150
                                        ; implicit-def: $vgpr151
                                        ; implicit-def: $vgpr152
                                        ; implicit-def: $vgpr153
                                        ; implicit-def: $vgpr154
                                        ; implicit-def: $vgpr155
                                        ; implicit-def: $vgpr156
                                        ; implicit-def: $vgpr157
                                        ; implicit-def: $vgpr158
                                        ; implicit-def: $vgpr159
                                        ; implicit-def: $vgpr160
                                        ; implicit-def: $vgpr161
                                        ; implicit-def: $vgpr162
                                        ; implicit-def: $vgpr164
                                        ; implicit-def: $vgpr165
                                        ; implicit-def: $vgpr163
                                        ; implicit-def: $vgpr166
	s_waitcnt vmcnt(1)
	v_mad_u32_u24 v5, v2, v5, v1
	s_waitcnt vmcnt(0)
	v_mad_u64_u32 v[5:6], null, v5, v6, v[0:1]
	v_lshrrev_b32_e32 v5, 3, v5
	v_and_b32_e32 v148, 0x1ffffffc, v5
                                        ; implicit-def: $vgpr5_vgpr6
	s_branch .LBB736_988
.LBB736_987:                            ;   in Loop: Header=BB736_988 Depth=2
	s_or_b32 exec_lo, exec_lo, s23
	s_addk_i32 s63, 0xf000
	s_cmp_lt_u32 s64, s61
	s_mov_b32 s56, s64
	s_cbranch_scc0 .LBB736_18
.LBB736_988:                            ;   Parent Loop BB736_20 Depth=1
                                        ; =>  This Inner Loop Header: Depth=2
	s_add_i32 s64, s56, 0x1000
	s_cmp_gt_u32 s64, s61
	s_cbranch_scc1 .LBB736_990
; %bb.989:                              ;   in Loop: Header=BB736_988 Depth=2
	s_lshl_b64 s[24:25], s[56:57], 3
	s_mov_b32 s23, -1
	v_add_co_u32 v37, vcc_lo, v146, s24
	v_add_co_ci_u32_e64 v38, null, s25, v147, vcc_lo
	v_add_co_u32 v45, vcc_lo, 0x800, v37
	v_add_co_ci_u32_e64 v46, null, 0, v38, vcc_lo
	s_clause 0xe
	global_load_dwordx2 v[39:40], v[37:38], off
	global_load_dwordx2 v[41:42], v[37:38], off offset:256
	global_load_dwordx2 v[43:44], v[37:38], off offset:512
	;; [unrolled: 1-line block ×7, first 2 shown]
	global_load_dwordx2 v[67:68], v[45:46], off
	global_load_dwordx2 v[63:64], v[45:46], off offset:256
	global_load_dwordx2 v[59:60], v[45:46], off offset:512
	;; [unrolled: 1-line block ×6, first 2 shown]
	s_movk_i32 s24, 0x1000
	s_cbranch_execz .LBB736_991
	s_branch .LBB736_1022
.LBB736_990:                            ;   in Loop: Header=BB736_988 Depth=2
	s_mov_b32 s23, 0
                                        ; implicit-def: $vgpr39_vgpr40
                                        ; implicit-def: $vgpr41_vgpr42
                                        ; implicit-def: $vgpr43_vgpr44
                                        ; implicit-def: $vgpr47_vgpr48
                                        ; implicit-def: $vgpr53_vgpr54
                                        ; implicit-def: $vgpr57_vgpr58
                                        ; implicit-def: $vgpr61_vgpr62
                                        ; implicit-def: $vgpr65_vgpr66
                                        ; implicit-def: $vgpr67_vgpr68
                                        ; implicit-def: $vgpr63_vgpr64
                                        ; implicit-def: $vgpr59_vgpr60
                                        ; implicit-def: $vgpr55_vgpr56
                                        ; implicit-def: $vgpr51_vgpr52
                                        ; implicit-def: $vgpr49_vgpr50
                                        ; implicit-def: $vgpr45_vgpr46
	s_movk_i32 s24, 0x1000
.LBB736_991:                            ;   in Loop: Header=BB736_988 Depth=2
	s_waitcnt vmcnt(13)
	v_mov_b32_e32 v41, v3
	v_mov_b32_e32 v42, v4
	s_lshl_b64 s[24:25], s[56:57], 3
	s_mov_b32 s23, exec_lo
	v_add_co_u32 v37, vcc_lo, v146, s24
	v_mov_b32_e32 v39, v41
	v_add_co_ci_u32_e64 v38, null, s25, v147, vcc_lo
	v_mov_b32_e32 v40, v42
	v_cmpx_gt_u32_e64 s63, v128
	s_cbranch_execz .LBB736_993
; %bb.992:                              ;   in Loop: Header=BB736_988 Depth=2
	global_load_dwordx2 v[39:40], v[37:38], off
.LBB736_993:                            ;   in Loop: Header=BB736_988 Depth=2
	s_or_b32 exec_lo, exec_lo, s23
	s_mov_b32 s23, exec_lo
	v_cmpx_gt_u32_e64 s63, v131
	s_cbranch_execz .LBB736_995
; %bb.994:                              ;   in Loop: Header=BB736_988 Depth=2
	global_load_dwordx2 v[41:42], v[37:38], off offset:256
.LBB736_995:                            ;   in Loop: Header=BB736_988 Depth=2
	s_or_b32 exec_lo, exec_lo, s23
	s_waitcnt vmcnt(12)
	v_mov_b32_e32 v44, v4
	v_mov_b32_e32 v43, v3
	s_mov_b32 s23, exec_lo
	v_cmpx_gt_u32_e64 s63, v132
	s_cbranch_execz .LBB736_997
; %bb.996:                              ;   in Loop: Header=BB736_988 Depth=2
	global_load_dwordx2 v[43:44], v[37:38], off offset:512
.LBB736_997:                            ;   in Loop: Header=BB736_988 Depth=2
	s_or_b32 exec_lo, exec_lo, s23
	s_waitcnt vmcnt(11)
	v_mov_b32_e32 v48, v4
	v_mov_b32_e32 v47, v3
	;; [unrolled: 10-line block ×3, first 2 shown]
	s_mov_b32 s23, exec_lo
	v_cmpx_gt_u32_e64 s63, v134
	s_cbranch_execz .LBB736_1001
; %bb.1000:                             ;   in Loop: Header=BB736_988 Depth=2
	global_load_dwordx2 v[53:54], v[37:38], off offset:1024
.LBB736_1001:                           ;   in Loop: Header=BB736_988 Depth=2
	s_or_b32 exec_lo, exec_lo, s23
	s_waitcnt vmcnt(9)
	v_mov_b32_e32 v58, v4
	v_mov_b32_e32 v57, v3
	s_mov_b32 s23, exec_lo
	v_cmpx_gt_u32_e64 s63, v135
	s_cbranch_execz .LBB736_1003
; %bb.1002:                             ;   in Loop: Header=BB736_988 Depth=2
	global_load_dwordx2 v[57:58], v[37:38], off offset:1280
.LBB736_1003:                           ;   in Loop: Header=BB736_988 Depth=2
	s_or_b32 exec_lo, exec_lo, s23
	s_waitcnt vmcnt(8)
	v_mov_b32_e32 v62, v4
	v_mov_b32_e32 v61, v3
	;; [unrolled: 10-line block ×4, first 2 shown]
	s_mov_b32 s23, exec_lo
	v_cmpx_gt_u32_e64 s63, v138
	s_cbranch_execz .LBB736_1009
; %bb.1008:                             ;   in Loop: Header=BB736_988 Depth=2
	s_waitcnt vmcnt(0)
	v_add_co_u32 v45, vcc_lo, 0x800, v37
	v_add_co_ci_u32_e64 v46, null, 0, v38, vcc_lo
	global_load_dwordx2 v[67:68], v[45:46], off
.LBB736_1009:                           ;   in Loop: Header=BB736_988 Depth=2
	s_or_b32 exec_lo, exec_lo, s23
	s_waitcnt vmcnt(5)
	v_mov_b32_e32 v64, v4
	v_mov_b32_e32 v63, v3
	s_mov_b32 s23, exec_lo
	v_cmpx_gt_u32_e64 s63, v139
	s_cbranch_execz .LBB736_1011
; %bb.1010:                             ;   in Loop: Header=BB736_988 Depth=2
	s_waitcnt vmcnt(0)
	v_add_co_u32 v45, vcc_lo, 0x800, v37
	v_add_co_ci_u32_e64 v46, null, 0, v38, vcc_lo
	global_load_dwordx2 v[63:64], v[45:46], off offset:256
.LBB736_1011:                           ;   in Loop: Header=BB736_988 Depth=2
	s_or_b32 exec_lo, exec_lo, s23
	s_waitcnt vmcnt(4)
	v_mov_b32_e32 v60, v4
	v_mov_b32_e32 v59, v3
	s_mov_b32 s23, exec_lo
	v_cmpx_gt_u32_e64 s63, v140
	s_cbranch_execz .LBB736_1013
; %bb.1012:                             ;   in Loop: Header=BB736_988 Depth=2
	s_waitcnt vmcnt(0)
	v_add_co_u32 v45, vcc_lo, 0x800, v37
	v_add_co_ci_u32_e64 v46, null, 0, v38, vcc_lo
	global_load_dwordx2 v[59:60], v[45:46], off offset:512
.LBB736_1013:                           ;   in Loop: Header=BB736_988 Depth=2
	;; [unrolled: 13-line block ×5, first 2 shown]
	s_or_b32 exec_lo, exec_lo, s23
	s_waitcnt vmcnt(0)
	v_mov_b32_e32 v46, v4
	v_mov_b32_e32 v45, v3
	s_mov_b32 s23, exec_lo
	v_cmpx_gt_u32_e64 s63, v144
	s_cbranch_execz .LBB736_1021
; %bb.1020:                             ;   in Loop: Header=BB736_988 Depth=2
	v_add_co_u32 v37, vcc_lo, 0x800, v37
	v_add_co_ci_u32_e64 v38, null, 0, v38, vcc_lo
	global_load_dwordx2 v[45:46], v[37:38], off offset:1536
.LBB736_1021:                           ;   in Loop: Header=BB736_988 Depth=2
	s_or_b32 exec_lo, exec_lo, s23
	v_cmp_gt_u32_e64 s23, s63, v145
	s_sub_i32 s24, s61, s56
.LBB736_1022:                           ;   in Loop: Header=BB736_988 Depth=2
	v_mov_b32_e32 v37, -1
	v_mov_b32_e32 v38, -1
	v_mov_b32_e32 v167, s63
	s_and_saveexec_b32 s25, s23
	s_cbranch_execz .LBB736_1024
; %bb.1023:                             ;   in Loop: Header=BB736_988 Depth=2
	s_lshl_b64 s[26:27], s[56:57], 3
	v_mov_b32_e32 v167, s24
	v_add_co_u32 v37, vcc_lo, v146, s26
	v_add_co_ci_u32_e64 v38, null, s27, v147, vcc_lo
	v_add_co_u32 v37, vcc_lo, 0x800, v37
	v_add_co_ci_u32_e64 v38, null, 0, v38, vcc_lo
	global_load_dwordx2 v[37:38], v[37:38], off offset:1792
	s_waitcnt vmcnt(0)
	v_xor_b32_e32 v38, 0x7fffffff, v38
	v_not_b32_e32 v37, v37
.LBB736_1024:                           ;   in Loop: Header=BB736_988 Depth=2
	s_or_b32 exec_lo, exec_lo, s25
	s_waitcnt vmcnt(14)
	v_xor_b32_e32 v40, 0x7fffffff, v40
	v_not_b32_e32 v39, v39
	ds_write2_b32 v98, v3, v3 offset0:136 offset1:137
	ds_write2_b32 v98, v3, v3 offset0:138 offset1:139
	ds_write_b32 v98, v3 offset:560
	s_waitcnt vmcnt(0) lgkmcnt(0)
	s_barrier
	v_lshrrev_b64 v[69:70], s46, v[39:40]
	buffer_gl0_inv
	; wave barrier
	v_and_b32_e32 v70, s52, v69
	v_and_b32_e32 v69, 1, v70
	v_lshlrev_b32_e32 v71, 30, v70
	v_lshlrev_b32_e32 v72, 29, v70
	;; [unrolled: 1-line block ×4, first 2 shown]
	v_add_co_u32 v69, s23, v69, -1
	v_cndmask_b32_e64 v168, 0, 1, s23
	v_not_b32_e32 v172, v71
	v_cmp_gt_i32_e64 s23, 0, v71
	v_not_b32_e32 v71, v72
	v_lshlrev_b32_e32 v171, 26, v70
	v_cmp_ne_u32_e32 vcc_lo, 0, v168
	v_ashrrev_i32_e32 v172, 31, v172
	v_lshlrev_b32_e32 v168, 25, v70
	v_ashrrev_i32_e32 v71, 31, v71
	v_mul_u32_u24_e32 v70, 36, v70
	v_xor_b32_e32 v69, vcc_lo, v69
	v_cmp_gt_i32_e32 vcc_lo, 0, v72
	v_not_b32_e32 v72, v169
	v_xor_b32_e32 v172, s23, v172
	v_cmp_gt_i32_e64 s23, 0, v169
	v_and_b32_e32 v69, exec_lo, v69
	v_not_b32_e32 v169, v170
	v_ashrrev_i32_e32 v72, 31, v72
	v_xor_b32_e32 v71, vcc_lo, v71
	v_cmp_gt_i32_e32 vcc_lo, 0, v170
	v_and_b32_e32 v69, v69, v172
	v_not_b32_e32 v170, v171
	v_ashrrev_i32_e32 v169, 31, v169
	v_xor_b32_e32 v72, s23, v72
	v_cmp_gt_i32_e64 s23, 0, v171
	v_and_b32_e32 v69, v69, v71
	v_not_b32_e32 v71, v168
	v_ashrrev_i32_e32 v170, 31, v170
	v_xor_b32_e32 v169, vcc_lo, v169
	v_cmp_gt_i32_e32 vcc_lo, 0, v168
	v_and_b32_e32 v69, v69, v72
	v_ashrrev_i32_e32 v71, 31, v71
	v_xor_b32_e32 v72, s23, v170
	v_and_b32_e32 v69, v69, v169
	v_xor_b32_e32 v71, vcc_lo, v71
	v_add_nc_u32_e32 v169, v148, v70
	v_and_b32_e32 v69, v69, v72
	v_and_b32_e32 v69, v69, v71
	v_mbcnt_lo_u32_b32 v168, v69, 0
	v_cmp_ne_u32_e64 s23, 0, v69
	v_cmp_eq_u32_e32 vcc_lo, 0, v168
	s_and_b32 s24, s23, vcc_lo
	s_and_saveexec_b32 s23, s24
; %bb.1025:                             ;   in Loop: Header=BB736_988 Depth=2
	v_bcnt_u32_b32 v69, v69, 0
	ds_write_b32 v169, v69 offset:544
; %bb.1026:                             ;   in Loop: Header=BB736_988 Depth=2
	s_or_b32 exec_lo, exec_lo, s23
	v_xor_b32_e32 v42, 0x7fffffff, v42
	v_not_b32_e32 v41, v41
	; wave barrier
	v_lshrrev_b64 v[69:70], s46, v[41:42]
	v_and_b32_e32 v70, s52, v69
	v_and_b32_e32 v69, 1, v70
	v_lshlrev_b32_e32 v71, 30, v70
	v_lshlrev_b32_e32 v72, 29, v70
	v_lshlrev_b32_e32 v171, 28, v70
	v_lshlrev_b32_e32 v172, 27, v70
	v_add_co_u32 v69, s23, v69, -1
	v_cndmask_b32_e64 v170, 0, 1, s23
	v_not_b32_e32 v174, v71
	v_cmp_gt_i32_e64 s23, 0, v71
	v_not_b32_e32 v71, v72
	v_lshlrev_b32_e32 v173, 26, v70
	v_cmp_ne_u32_e32 vcc_lo, 0, v170
	v_ashrrev_i32_e32 v174, 31, v174
	v_lshlrev_b32_e32 v170, 25, v70
	v_ashrrev_i32_e32 v71, 31, v71
	v_xor_b32_e32 v69, vcc_lo, v69
	v_cmp_gt_i32_e32 vcc_lo, 0, v72
	v_not_b32_e32 v72, v171
	v_xor_b32_e32 v174, s23, v174
	v_cmp_gt_i32_e64 s23, 0, v171
	v_and_b32_e32 v69, exec_lo, v69
	v_not_b32_e32 v171, v172
	v_ashrrev_i32_e32 v72, 31, v72
	v_xor_b32_e32 v71, vcc_lo, v71
	v_cmp_gt_i32_e32 vcc_lo, 0, v172
	v_and_b32_e32 v69, v69, v174
	v_not_b32_e32 v172, v173
	v_ashrrev_i32_e32 v171, 31, v171
	v_xor_b32_e32 v72, s23, v72
	v_cmp_gt_i32_e64 s23, 0, v173
	v_and_b32_e32 v69, v69, v71
	v_not_b32_e32 v71, v170
	v_ashrrev_i32_e32 v172, 31, v172
	v_xor_b32_e32 v171, vcc_lo, v171
	v_cmp_gt_i32_e32 vcc_lo, 0, v170
	v_and_b32_e32 v69, v69, v72
	v_ashrrev_i32_e32 v71, 31, v71
	v_xor_b32_e32 v72, s23, v172
	v_mad_u32_u24 v170, v70, 36, v148
	v_mul_u32_u24_e32 v70, 36, v70
	v_and_b32_e32 v69, v69, v171
	v_xor_b32_e32 v71, vcc_lo, v71
	ds_read_b32 v170, v170 offset:544
	v_add_nc_u32_e32 v172, v148, v70
	v_and_b32_e32 v69, v69, v72
	; wave barrier
	v_and_b32_e32 v69, v69, v71
	v_mbcnt_lo_u32_b32 v171, v69, 0
	v_cmp_ne_u32_e64 s23, 0, v69
	v_cmp_eq_u32_e32 vcc_lo, 0, v171
	s_and_b32 s24, s23, vcc_lo
	s_and_saveexec_b32 s23, s24
	s_cbranch_execz .LBB736_1028
; %bb.1027:                             ;   in Loop: Header=BB736_988 Depth=2
	s_waitcnt lgkmcnt(0)
	v_bcnt_u32_b32 v69, v69, v170
	ds_write_b32 v172, v69 offset:544
.LBB736_1028:                           ;   in Loop: Header=BB736_988 Depth=2
	s_or_b32 exec_lo, exec_lo, s23
	v_xor_b32_e32 v44, 0x7fffffff, v44
	v_not_b32_e32 v43, v43
	; wave barrier
	v_lshrrev_b64 v[69:70], s46, v[43:44]
	v_and_b32_e32 v70, s52, v69
	v_and_b32_e32 v69, 1, v70
	v_lshlrev_b32_e32 v71, 30, v70
	v_lshlrev_b32_e32 v72, 29, v70
	v_lshlrev_b32_e32 v174, 28, v70
	v_lshlrev_b32_e32 v175, 27, v70
	v_add_co_u32 v69, s23, v69, -1
	v_cndmask_b32_e64 v173, 0, 1, s23
	v_not_b32_e32 v177, v71
	v_cmp_gt_i32_e64 s23, 0, v71
	v_not_b32_e32 v71, v72
	v_lshlrev_b32_e32 v176, 26, v70
	v_cmp_ne_u32_e32 vcc_lo, 0, v173
	v_ashrrev_i32_e32 v177, 31, v177
	v_lshlrev_b32_e32 v173, 25, v70
	v_ashrrev_i32_e32 v71, 31, v71
	v_xor_b32_e32 v69, vcc_lo, v69
	v_cmp_gt_i32_e32 vcc_lo, 0, v72
	v_not_b32_e32 v72, v174
	v_xor_b32_e32 v177, s23, v177
	v_cmp_gt_i32_e64 s23, 0, v174
	v_and_b32_e32 v69, exec_lo, v69
	v_not_b32_e32 v174, v175
	v_ashrrev_i32_e32 v72, 31, v72
	v_xor_b32_e32 v71, vcc_lo, v71
	v_cmp_gt_i32_e32 vcc_lo, 0, v175
	v_and_b32_e32 v69, v69, v177
	v_not_b32_e32 v175, v176
	v_ashrrev_i32_e32 v174, 31, v174
	v_xor_b32_e32 v72, s23, v72
	v_cmp_gt_i32_e64 s23, 0, v176
	v_and_b32_e32 v69, v69, v71
	v_not_b32_e32 v71, v173
	v_ashrrev_i32_e32 v175, 31, v175
	v_xor_b32_e32 v174, vcc_lo, v174
	v_cmp_gt_i32_e32 vcc_lo, 0, v173
	v_and_b32_e32 v69, v69, v72
	v_ashrrev_i32_e32 v71, 31, v71
	v_xor_b32_e32 v72, s23, v175
	v_mad_u32_u24 v173, v70, 36, v148
	v_mul_u32_u24_e32 v70, 36, v70
	v_and_b32_e32 v69, v69, v174
	v_xor_b32_e32 v71, vcc_lo, v71
	ds_read_b32 v173, v173 offset:544
	v_add_nc_u32_e32 v175, v148, v70
	v_and_b32_e32 v69, v69, v72
	; wave barrier
	v_and_b32_e32 v69, v69, v71
	v_mbcnt_lo_u32_b32 v174, v69, 0
	v_cmp_ne_u32_e64 s23, 0, v69
	v_cmp_eq_u32_e32 vcc_lo, 0, v174
	s_and_b32 s24, s23, vcc_lo
	s_and_saveexec_b32 s23, s24
	s_cbranch_execz .LBB736_1030
; %bb.1029:                             ;   in Loop: Header=BB736_988 Depth=2
	s_waitcnt lgkmcnt(0)
	v_bcnt_u32_b32 v69, v69, v173
	ds_write_b32 v175, v69 offset:544
.LBB736_1030:                           ;   in Loop: Header=BB736_988 Depth=2
	;; [unrolled: 64-line block ×14, first 2 shown]
	s_or_b32 exec_lo, exec_lo, s23
	v_lshrrev_b64 v[69:70], s46, v[37:38]
	; wave barrier
	v_and_b32_e32 v70, s52, v69
	v_and_b32_e32 v69, 1, v70
	v_lshlrev_b32_e32 v71, 30, v70
	v_lshlrev_b32_e32 v72, 29, v70
	;; [unrolled: 1-line block ×4, first 2 shown]
	v_add_co_u32 v69, s23, v69, -1
	v_cndmask_b32_e64 v211, 0, 1, s23
	v_not_b32_e32 v216, v71
	v_cmp_gt_i32_e64 s23, 0, v71
	v_not_b32_e32 v71, v72
	v_lshlrev_b32_e32 v215, 26, v70
	v_cmp_ne_u32_e32 vcc_lo, 0, v211
	v_ashrrev_i32_e32 v216, 31, v216
	v_lshlrev_b32_e32 v211, 25, v70
	v_ashrrev_i32_e32 v71, 31, v71
	v_xor_b32_e32 v69, vcc_lo, v69
	v_cmp_gt_i32_e32 vcc_lo, 0, v72
	v_not_b32_e32 v72, v212
	v_xor_b32_e32 v216, s23, v216
	v_cmp_gt_i32_e64 s23, 0, v212
	v_and_b32_e32 v69, exec_lo, v69
	v_not_b32_e32 v212, v214
	v_ashrrev_i32_e32 v72, 31, v72
	v_xor_b32_e32 v71, vcc_lo, v71
	v_cmp_gt_i32_e32 vcc_lo, 0, v214
	v_and_b32_e32 v69, v69, v216
	v_not_b32_e32 v214, v215
	v_ashrrev_i32_e32 v212, 31, v212
	v_xor_b32_e32 v72, s23, v72
	v_cmp_gt_i32_e64 s23, 0, v215
	v_and_b32_e32 v69, v69, v71
	v_not_b32_e32 v71, v211
	v_ashrrev_i32_e32 v214, 31, v214
	v_xor_b32_e32 v212, vcc_lo, v212
	v_cmp_gt_i32_e32 vcc_lo, 0, v211
	v_and_b32_e32 v69, v69, v72
	v_ashrrev_i32_e32 v71, 31, v71
	v_xor_b32_e32 v72, s23, v214
	v_mad_u32_u24 v211, v70, 36, v148
	v_mul_u32_u24_e32 v70, 36, v70
	v_and_b32_e32 v69, v69, v212
	v_xor_b32_e32 v71, vcc_lo, v71
	ds_read_b32 v211, v211 offset:544
	v_add_nc_u32_e32 v214, v148, v70
	v_and_b32_e32 v69, v69, v72
	; wave barrier
	v_and_b32_e32 v69, v69, v71
	v_mbcnt_lo_u32_b32 v212, v69, 0
	v_cmp_ne_u32_e64 s23, 0, v69
	v_cmp_eq_u32_e32 vcc_lo, 0, v212
	s_and_b32 s24, s23, vcc_lo
	s_and_saveexec_b32 s23, s24
	s_cbranch_execz .LBB736_1056
; %bb.1055:                             ;   in Loop: Header=BB736_988 Depth=2
	s_waitcnt lgkmcnt(0)
	v_bcnt_u32_b32 v69, v69, v211
	ds_write_b32 v214, v69 offset:544
.LBB736_1056:                           ;   in Loop: Header=BB736_988 Depth=2
	s_or_b32 exec_lo, exec_lo, s23
	; wave barrier
	s_waitcnt lgkmcnt(0)
	s_barrier
	buffer_gl0_inv
	ds_read2_b32 v[71:72], v98 offset0:136 offset1:137
	ds_read2_b32 v[69:70], v98 offset0:138 offset1:139
	ds_read_b32 v215, v98 offset:560
	s_waitcnt lgkmcnt(1)
	v_add3_u32 v216, v72, v71, v69
	s_waitcnt lgkmcnt(0)
	v_add3_u32 v215, v216, v70, v215
	v_mov_b32_dpp v216, v215 row_shr:1 row_mask:0xf bank_mask:0xf
	v_cndmask_b32_e64 v216, v216, 0, s5
	v_add_nc_u32_e32 v215, v216, v215
	v_mov_b32_dpp v216, v215 row_shr:2 row_mask:0xf bank_mask:0xf
	v_cndmask_b32_e64 v216, 0, v216, s15
	v_add_nc_u32_e32 v215, v215, v216
	;; [unrolled: 3-line block ×4, first 2 shown]
	ds_swizzle_b32 v216, v215 offset:swizzle(BROADCAST,32,15)
	s_waitcnt lgkmcnt(0)
	v_cndmask_b32_e64 v216, v216, 0, s18
	v_add_nc_u32_e32 v215, v215, v216
	s_and_saveexec_b32 s23, s4
; %bb.1057:                             ;   in Loop: Header=BB736_988 Depth=2
	ds_write_b32 v92, v215 offset:512
; %bb.1058:                             ;   in Loop: Header=BB736_988 Depth=2
	s_or_b32 exec_lo, exec_lo, s23
	s_waitcnt lgkmcnt(0)
	s_barrier
	buffer_gl0_inv
	s_and_saveexec_b32 s23, s12
	s_cbranch_execz .LBB736_1060
; %bb.1059:                             ;   in Loop: Header=BB736_988 Depth=2
	ds_read_b32 v216, v99 offset:512
	s_waitcnt lgkmcnt(0)
	v_mov_b32_dpp v217, v216 row_shr:1 row_mask:0xf bank_mask:0xf
	v_cndmask_b32_e64 v217, v217, 0, s20
	v_add_nc_u32_e32 v216, v217, v216
	v_mov_b32_dpp v217, v216 row_shr:2 row_mask:0xf bank_mask:0xf
	v_cndmask_b32_e64 v217, 0, v217, s21
	v_add_nc_u32_e32 v216, v216, v217
	;; [unrolled: 3-line block ×3, first 2 shown]
	ds_write_b32 v99, v216 offset:512
.LBB736_1060:                           ;   in Loop: Header=BB736_988 Depth=2
	s_or_b32 exec_lo, exec_lo, s23
	v_mov_b32_e32 v216, 0
	s_waitcnt lgkmcnt(0)
	s_barrier
	buffer_gl0_inv
	s_and_saveexec_b32 s23, s11
; %bb.1061:                             ;   in Loop: Header=BB736_988 Depth=2
	ds_read_b32 v216, v92 offset:508
; %bb.1062:                             ;   in Loop: Header=BB736_988 Depth=2
	s_or_b32 exec_lo, exec_lo, s23
	s_waitcnt lgkmcnt(0)
	v_add_nc_u32_e32 v215, v216, v215
	ds_bpermute_b32 v215, v127, v215
	s_waitcnt lgkmcnt(0)
	v_cndmask_b32_e64 v215, v215, v216, s19
	v_cndmask_b32_e64 v215, v215, 0, s13
	v_add_nc_u32_e32 v71, v215, v71
	v_add_nc_u32_e32 v72, v71, v72
	;; [unrolled: 1-line block ×4, first 2 shown]
	ds_write2_b32 v98, v215, v71 offset0:136 offset1:137
	ds_write2_b32 v98, v72, v69 offset0:138 offset1:139
	ds_write_b32 v98, v70 offset:560
	s_waitcnt lgkmcnt(0)
	s_barrier
	buffer_gl0_inv
	ds_read_b32 v69, v169 offset:544
	ds_read_b32 v219, v172 offset:544
	;; [unrolled: 1-line block ×16, first 2 shown]
	s_and_saveexec_b32 s23, s8
	s_cbranch_execz .LBB736_1066
; %bb.1063:                             ;   in Loop: Header=BB736_988 Depth=2
	ds_read_b32 v163, v101 offset:544
	v_mov_b32_e32 v166, 0x1000
	s_and_saveexec_b32 s24, s14
; %bb.1064:                             ;   in Loop: Header=BB736_988 Depth=2
	ds_read_b32 v166, v100 offset:544
; %bb.1065:                             ;   in Loop: Header=BB736_988 Depth=2
	s_or_b32 exec_lo, exec_lo, s24
	s_waitcnt lgkmcnt(0)
	v_sub_nc_u32_e32 v166, v166, v163
.LBB736_1066:                           ;   in Loop: Header=BB736_988 Depth=2
	s_or_b32 exec_lo, exec_lo, s23
	s_waitcnt lgkmcnt(0)
	s_barrier
	buffer_gl0_inv
	s_and_saveexec_b32 s23, s8
	s_cbranch_execz .LBB736_1068
; %bb.1067:                             ;   in Loop: Header=BB736_988 Depth=2
	ds_read_b32 v191, v73
	s_waitcnt lgkmcnt(0)
	v_sub_nc_u32_e32 v191, v191, v163
	ds_write_b32 v73, v191
.LBB736_1068:                           ;   in Loop: Header=BB736_988 Depth=2
	s_or_b32 exec_lo, exec_lo, s23
	v_lshlrev_b32_e32 v168, 3, v168
	v_lshlrev_b32_e32 v171, 3, v171
	;; [unrolled: 1-line block ×5, first 2 shown]
	v_lshl_add_u32 v69, v69, 3, v168
	v_lshlrev_b32_e32 v168, 3, v173
	v_lshlrev_b32_e32 v173, 3, v70
	;; [unrolled: 1-line block ×3, first 2 shown]
	v_add3_u32 v70, v171, v170, v191
	ds_write_b64 v69, v[39:40] offset:512
	v_lshlrev_b32_e32 v40, 3, v176
	v_lshlrev_b32_e32 v170, 3, v218
	;; [unrolled: 1-line block ×8, first 2 shown]
	ds_write_b64 v70, v[41:42] offset:512
	v_add3_u32 v39, v174, v168, v173
	v_add3_u32 v40, v177, v40, v170
	;; [unrolled: 1-line block ×3, first 2 shown]
	v_lshlrev_b32_e32 v168, 3, v186
	v_lshlrev_b32_e32 v170, 3, v185
	v_lshlrev_b32_e32 v171, 3, v215
	v_add3_u32 v42, v180, v182, v183
	ds_write_b64 v39, v[43:44] offset:512
	ds_write_b64 v40, v[47:48] offset:512
	ds_write_b64 v41, v[53:54] offset:512
	ds_write_b64 v42, v[57:58] offset:512
	v_lshlrev_b32_e32 v44, 3, v189
	v_add3_u32 v43, v168, v170, v171
	v_lshlrev_b32_e32 v47, 3, v188
	v_lshlrev_b32_e32 v48, 3, v187
	;; [unrolled: 1-line block ×11, first 2 shown]
	v_add3_u32 v44, v44, v47, v48
	v_add3_u32 v47, v53, v54, v57
	;; [unrolled: 1-line block ×3, first 2 shown]
	v_lshlrev_b32_e32 v54, 3, v200
	v_lshlrev_b32_e32 v57, 3, v199
	;; [unrolled: 1-line block ×3, first 2 shown]
	v_add3_u32 v53, v171, v173, v174
	ds_write_b64 v43, v[61:62] offset:512
	ds_write_b64 v44, v[65:66] offset:512
	ds_write_b64 v47, v[67:68] offset:512
	ds_write_b64 v48, v[63:64] offset:512
	ds_write_b64 v53, v[59:60] offset:512
	v_lshlrev_b32_e32 v59, 3, v172
	v_add3_u32 v54, v54, v57, v58
	v_lshlrev_b32_e32 v57, 3, v203
	v_lshlrev_b32_e32 v58, 3, v202
	;; [unrolled: 1-line block ×11, first 2 shown]
	v_add3_u32 v57, v57, v58, v59
	v_add3_u32 v58, v60, v61, v62
	;; [unrolled: 1-line block ×3, first 2 shown]
	ds_write_b64 v54, v[55:56] offset:512
	v_add3_u32 v55, v66, v67, v68
	v_cmp_lt_u32_e32 vcc_lo, v0, v167
	ds_write_b64 v57, v[51:52] offset:512
	ds_write_b64 v58, v[49:50] offset:512
	;; [unrolled: 1-line block ×4, first 2 shown]
	s_waitcnt lgkmcnt(0)
	s_barrier
	buffer_gl0_inv
	s_and_saveexec_b32 s24, vcc_lo
	s_cbranch_execnz .LBB736_1137
; %bb.1069:                             ;   in Loop: Header=BB736_988 Depth=2
	s_or_b32 exec_lo, exec_lo, s24
	v_cmp_lt_u32_e64 s23, v74, v167
	s_and_saveexec_b32 s25, s23
	s_cbranch_execnz .LBB736_1138
.LBB736_1070:                           ;   in Loop: Header=BB736_988 Depth=2
	s_or_b32 exec_lo, exec_lo, s25
	v_cmp_lt_u32_e64 s24, v77, v167
	s_and_saveexec_b32 s26, s24
	s_cbranch_execnz .LBB736_1139
.LBB736_1071:                           ;   in Loop: Header=BB736_988 Depth=2
	s_or_b32 exec_lo, exec_lo, s26
	v_cmp_lt_u32_e64 s25, v78, v167
	s_and_saveexec_b32 s27, s25
	s_cbranch_execnz .LBB736_1140
.LBB736_1072:                           ;   in Loop: Header=BB736_988 Depth=2
	s_or_b32 exec_lo, exec_lo, s27
	v_cmp_lt_u32_e64 s26, v79, v167
	s_and_saveexec_b32 s28, s26
	s_cbranch_execnz .LBB736_1141
.LBB736_1073:                           ;   in Loop: Header=BB736_988 Depth=2
	s_or_b32 exec_lo, exec_lo, s28
	v_cmp_lt_u32_e64 s27, v80, v167
	s_and_saveexec_b32 s29, s27
	s_cbranch_execnz .LBB736_1142
.LBB736_1074:                           ;   in Loop: Header=BB736_988 Depth=2
	s_or_b32 exec_lo, exec_lo, s29
	v_cmp_lt_u32_e64 s28, v81, v167
	s_and_saveexec_b32 s30, s28
	s_cbranch_execnz .LBB736_1143
.LBB736_1075:                           ;   in Loop: Header=BB736_988 Depth=2
	s_or_b32 exec_lo, exec_lo, s30
	v_cmp_lt_u32_e64 s29, v82, v167
	s_and_saveexec_b32 s31, s29
	s_cbranch_execnz .LBB736_1144
.LBB736_1076:                           ;   in Loop: Header=BB736_988 Depth=2
	s_or_b32 exec_lo, exec_lo, s31
	v_cmp_lt_u32_e64 s30, v83, v167
	s_and_saveexec_b32 s33, s30
	s_cbranch_execnz .LBB736_1145
.LBB736_1077:                           ;   in Loop: Header=BB736_988 Depth=2
	s_or_b32 exec_lo, exec_lo, s33
	v_cmp_lt_u32_e64 s31, v84, v167
	s_and_saveexec_b32 s34, s31
	s_cbranch_execnz .LBB736_1146
.LBB736_1078:                           ;   in Loop: Header=BB736_988 Depth=2
	s_or_b32 exec_lo, exec_lo, s34
	v_cmp_lt_u32_e64 s33, v85, v167
	s_and_saveexec_b32 s35, s33
	s_cbranch_execnz .LBB736_1147
.LBB736_1079:                           ;   in Loop: Header=BB736_988 Depth=2
	s_or_b32 exec_lo, exec_lo, s35
	v_cmp_lt_u32_e64 s34, v86, v167
	s_and_saveexec_b32 s36, s34
	s_cbranch_execnz .LBB736_1148
.LBB736_1080:                           ;   in Loop: Header=BB736_988 Depth=2
	s_or_b32 exec_lo, exec_lo, s36
	v_cmp_lt_u32_e64 s35, v87, v167
	s_and_saveexec_b32 s37, s35
	s_cbranch_execnz .LBB736_1149
.LBB736_1081:                           ;   in Loop: Header=BB736_988 Depth=2
	s_or_b32 exec_lo, exec_lo, s37
	v_cmp_lt_u32_e64 s36, v88, v167
	s_and_saveexec_b32 s38, s36
	s_cbranch_execnz .LBB736_1150
.LBB736_1082:                           ;   in Loop: Header=BB736_988 Depth=2
	s_or_b32 exec_lo, exec_lo, s38
	v_cmp_lt_u32_e64 s37, v89, v167
	s_and_saveexec_b32 s39, s37
	s_cbranch_execnz .LBB736_1151
.LBB736_1083:                           ;   in Loop: Header=BB736_988 Depth=2
	s_or_b32 exec_lo, exec_lo, s39
	v_cmp_lt_u32_e64 s38, v90, v167
	s_and_saveexec_b32 s65, s38
	s_cbranch_execz .LBB736_1085
.LBB736_1084:                           ;   in Loop: Header=BB736_988 Depth=2
	ds_read_b64 v[37:38], v106 offset:31232
	s_waitcnt lgkmcnt(0)
	v_lshrrev_b64 v[45:46], s46, v[37:38]
	v_mov_b32_e32 v46, v3
	v_xor_b32_e32 v38, 0x7fffffff, v38
	v_not_b32_e32 v37, v37
	v_and_b32_e32 v45, s52, v45
	v_lshlrev_b32_e32 v45, 2, v45
	ds_read_b32 v45, v45
	s_waitcnt lgkmcnt(0)
	v_add_nc_u32_e32 v45, v45, v90
	v_lshlrev_b64 v[45:46], 3, v[45:46]
	v_add_co_u32 v45, s39, s44, v45
	v_add_co_ci_u32_e64 v46, null, s45, v46, s39
	global_store_dwordx2 v[45:46], v[37:38], off
.LBB736_1085:                           ;   in Loop: Header=BB736_988 Depth=2
	s_or_b32 exec_lo, exec_lo, s65
	s_lshl_b64 s[66:67], s[56:57], 3
	v_add_co_u32 v37, s39, v129, s66
	v_add_co_ci_u32_e64 v38, null, s67, v130, s39
	v_cmp_lt_u32_e64 s39, v128, v167
	s_and_saveexec_b32 s56, s39
	s_xor_b32 s39, exec_lo, s56
	s_cbranch_execnz .LBB736_1152
; %bb.1086:                             ;   in Loop: Header=BB736_988 Depth=2
	s_or_b32 exec_lo, exec_lo, s39
	s_mov_b32 s56, exec_lo
	v_cmpx_lt_u32_e64 v131, v167
	s_cbranch_execnz .LBB736_1153
.LBB736_1087:                           ;   in Loop: Header=BB736_988 Depth=2
	s_or_b32 exec_lo, exec_lo, s56
	s_mov_b32 s56, exec_lo
	v_cmpx_lt_u32_e64 v132, v167
	s_cbranch_execnz .LBB736_1154
.LBB736_1088:                           ;   in Loop: Header=BB736_988 Depth=2
	s_or_b32 exec_lo, exec_lo, s56
	s_mov_b32 s56, exec_lo
	v_cmpx_lt_u32_e64 v133, v167
	s_cbranch_execnz .LBB736_1155
.LBB736_1089:                           ;   in Loop: Header=BB736_988 Depth=2
	s_or_b32 exec_lo, exec_lo, s56
	s_mov_b32 s56, exec_lo
	v_cmpx_lt_u32_e64 v134, v167
	s_cbranch_execnz .LBB736_1156
.LBB736_1090:                           ;   in Loop: Header=BB736_988 Depth=2
	s_or_b32 exec_lo, exec_lo, s56
	s_mov_b32 s56, exec_lo
	v_cmpx_lt_u32_e64 v135, v167
	s_cbranch_execnz .LBB736_1157
.LBB736_1091:                           ;   in Loop: Header=BB736_988 Depth=2
	s_or_b32 exec_lo, exec_lo, s56
	s_mov_b32 s56, exec_lo
	v_cmpx_lt_u32_e64 v136, v167
	s_cbranch_execnz .LBB736_1158
.LBB736_1092:                           ;   in Loop: Header=BB736_988 Depth=2
	s_or_b32 exec_lo, exec_lo, s56
	s_mov_b32 s56, exec_lo
	v_cmpx_lt_u32_e64 v137, v167
	s_cbranch_execnz .LBB736_1159
.LBB736_1093:                           ;   in Loop: Header=BB736_988 Depth=2
	s_or_b32 exec_lo, exec_lo, s56
	s_mov_b32 s56, exec_lo
	v_cmpx_lt_u32_e64 v138, v167
	s_cbranch_execnz .LBB736_1160
.LBB736_1094:                           ;   in Loop: Header=BB736_988 Depth=2
	s_or_b32 exec_lo, exec_lo, s56
	s_mov_b32 s56, exec_lo
	v_cmpx_lt_u32_e64 v139, v167
	s_cbranch_execnz .LBB736_1161
.LBB736_1095:                           ;   in Loop: Header=BB736_988 Depth=2
	s_or_b32 exec_lo, exec_lo, s56
	s_mov_b32 s56, exec_lo
	v_cmpx_lt_u32_e64 v140, v167
	s_cbranch_execnz .LBB736_1162
.LBB736_1096:                           ;   in Loop: Header=BB736_988 Depth=2
	s_or_b32 exec_lo, exec_lo, s56
	s_mov_b32 s56, exec_lo
	v_cmpx_lt_u32_e64 v141, v167
	s_cbranch_execnz .LBB736_1163
.LBB736_1097:                           ;   in Loop: Header=BB736_988 Depth=2
	s_or_b32 exec_lo, exec_lo, s56
	s_mov_b32 s56, exec_lo
	v_cmpx_lt_u32_e64 v142, v167
	s_cbranch_execnz .LBB736_1164
.LBB736_1098:                           ;   in Loop: Header=BB736_988 Depth=2
	s_or_b32 exec_lo, exec_lo, s56
	s_mov_b32 s56, exec_lo
	v_cmpx_lt_u32_e64 v143, v167
	s_cbranch_execnz .LBB736_1165
.LBB736_1099:                           ;   in Loop: Header=BB736_988 Depth=2
	s_or_b32 exec_lo, exec_lo, s56
	s_mov_b32 s56, exec_lo
	v_cmpx_lt_u32_e64 v144, v167
	s_cbranch_execnz .LBB736_1166
.LBB736_1100:                           ;   in Loop: Header=BB736_988 Depth=2
	s_or_b32 exec_lo, exec_lo, s56
	s_mov_b32 s56, exec_lo
	v_cmpx_lt_u32_e64 v145, v167
	s_cbranch_execnz .LBB736_1167
.LBB736_1101:                           ;   in Loop: Header=BB736_988 Depth=2
	s_or_b32 exec_lo, exec_lo, s56
	s_and_saveexec_b32 s39, vcc_lo
	s_cbranch_execnz .LBB736_1168
.LBB736_1102:                           ;   in Loop: Header=BB736_988 Depth=2
	s_or_b32 exec_lo, exec_lo, s39
	s_and_saveexec_b32 s39, s23
	s_cbranch_execnz .LBB736_1169
.LBB736_1103:                           ;   in Loop: Header=BB736_988 Depth=2
	s_or_b32 exec_lo, exec_lo, s39
	s_and_saveexec_b32 s39, s24
	s_cbranch_execnz .LBB736_1170
.LBB736_1104:                           ;   in Loop: Header=BB736_988 Depth=2
	s_or_b32 exec_lo, exec_lo, s39
	s_and_saveexec_b32 s39, s25
	s_cbranch_execnz .LBB736_1171
.LBB736_1105:                           ;   in Loop: Header=BB736_988 Depth=2
	s_or_b32 exec_lo, exec_lo, s39
	s_and_saveexec_b32 s39, s26
	s_cbranch_execnz .LBB736_1172
.LBB736_1106:                           ;   in Loop: Header=BB736_988 Depth=2
	s_or_b32 exec_lo, exec_lo, s39
	s_and_saveexec_b32 s39, s27
	s_cbranch_execnz .LBB736_1173
.LBB736_1107:                           ;   in Loop: Header=BB736_988 Depth=2
	s_or_b32 exec_lo, exec_lo, s39
	s_and_saveexec_b32 s39, s28
	s_cbranch_execnz .LBB736_1174
.LBB736_1108:                           ;   in Loop: Header=BB736_988 Depth=2
	s_or_b32 exec_lo, exec_lo, s39
	s_and_saveexec_b32 s39, s29
	s_cbranch_execnz .LBB736_1175
.LBB736_1109:                           ;   in Loop: Header=BB736_988 Depth=2
	s_or_b32 exec_lo, exec_lo, s39
	s_and_saveexec_b32 s39, s30
	s_cbranch_execnz .LBB736_1176
.LBB736_1110:                           ;   in Loop: Header=BB736_988 Depth=2
	s_or_b32 exec_lo, exec_lo, s39
	s_and_saveexec_b32 s39, s31
	s_cbranch_execnz .LBB736_1177
.LBB736_1111:                           ;   in Loop: Header=BB736_988 Depth=2
	s_or_b32 exec_lo, exec_lo, s39
	s_and_saveexec_b32 s39, s33
	s_cbranch_execnz .LBB736_1178
.LBB736_1112:                           ;   in Loop: Header=BB736_988 Depth=2
	s_or_b32 exec_lo, exec_lo, s39
	s_and_saveexec_b32 s39, s34
	s_cbranch_execnz .LBB736_1179
.LBB736_1113:                           ;   in Loop: Header=BB736_988 Depth=2
	s_or_b32 exec_lo, exec_lo, s39
	s_and_saveexec_b32 s39, s35
	s_cbranch_execnz .LBB736_1180
.LBB736_1114:                           ;   in Loop: Header=BB736_988 Depth=2
	s_or_b32 exec_lo, exec_lo, s39
	s_and_saveexec_b32 s39, s36
	s_cbranch_execnz .LBB736_1181
.LBB736_1115:                           ;   in Loop: Header=BB736_988 Depth=2
	s_or_b32 exec_lo, exec_lo, s39
	s_and_saveexec_b32 s39, s37
	s_cbranch_execnz .LBB736_1182
.LBB736_1116:                           ;   in Loop: Header=BB736_988 Depth=2
	s_or_b32 exec_lo, exec_lo, s39
	s_and_saveexec_b32 s39, s38
	s_cbranch_execz .LBB736_1118
.LBB736_1117:                           ;   in Loop: Header=BB736_988 Depth=2
	ds_read_b64 v[37:38], v106 offset:31232
	s_waitcnt lgkmcnt(0)
	v_lshrrev_b64 v[37:38], s46, v[37:38]
	v_and_b32_e32 v149, s52, v37
.LBB736_1118:                           ;   in Loop: Header=BB736_988 Depth=2
	s_or_b32 exec_lo, exec_lo, s39
	s_waitcnt vmcnt(0)
	s_waitcnt_vscnt null, 0x0
	s_barrier
	buffer_gl0_inv
	ds_write_b64 v69, v[35:36] offset:512
	ds_write_b64 v70, v[33:34] offset:512
	;; [unrolled: 1-line block ×16, first 2 shown]
	s_waitcnt lgkmcnt(0)
	s_barrier
	buffer_gl0_inv
	s_and_saveexec_b32 s39, vcc_lo
	s_cbranch_execnz .LBB736_1183
; %bb.1119:                             ;   in Loop: Header=BB736_988 Depth=2
	s_or_b32 exec_lo, exec_lo, s39
	s_and_saveexec_b32 s39, s23
	s_cbranch_execnz .LBB736_1184
.LBB736_1120:                           ;   in Loop: Header=BB736_988 Depth=2
	s_or_b32 exec_lo, exec_lo, s39
	s_and_saveexec_b32 s23, s24
	s_cbranch_execnz .LBB736_1185
.LBB736_1121:                           ;   in Loop: Header=BB736_988 Depth=2
	s_or_b32 exec_lo, exec_lo, s23
	s_and_saveexec_b32 s23, s25
	s_cbranch_execnz .LBB736_1186
.LBB736_1122:                           ;   in Loop: Header=BB736_988 Depth=2
	s_or_b32 exec_lo, exec_lo, s23
	s_and_saveexec_b32 s23, s26
	s_cbranch_execnz .LBB736_1187
.LBB736_1123:                           ;   in Loop: Header=BB736_988 Depth=2
	s_or_b32 exec_lo, exec_lo, s23
	s_and_saveexec_b32 s23, s27
	s_cbranch_execnz .LBB736_1188
.LBB736_1124:                           ;   in Loop: Header=BB736_988 Depth=2
	s_or_b32 exec_lo, exec_lo, s23
	s_and_saveexec_b32 s23, s28
	s_cbranch_execnz .LBB736_1189
.LBB736_1125:                           ;   in Loop: Header=BB736_988 Depth=2
	s_or_b32 exec_lo, exec_lo, s23
	s_and_saveexec_b32 s23, s29
	s_cbranch_execnz .LBB736_1190
.LBB736_1126:                           ;   in Loop: Header=BB736_988 Depth=2
	s_or_b32 exec_lo, exec_lo, s23
	s_and_saveexec_b32 s23, s30
	s_cbranch_execnz .LBB736_1191
.LBB736_1127:                           ;   in Loop: Header=BB736_988 Depth=2
	s_or_b32 exec_lo, exec_lo, s23
	s_and_saveexec_b32 s23, s31
	s_cbranch_execnz .LBB736_1192
.LBB736_1128:                           ;   in Loop: Header=BB736_988 Depth=2
	s_or_b32 exec_lo, exec_lo, s23
	s_and_saveexec_b32 s23, s33
	s_cbranch_execnz .LBB736_1193
.LBB736_1129:                           ;   in Loop: Header=BB736_988 Depth=2
	s_or_b32 exec_lo, exec_lo, s23
	s_and_saveexec_b32 s23, s34
	s_cbranch_execnz .LBB736_1194
.LBB736_1130:                           ;   in Loop: Header=BB736_988 Depth=2
	s_or_b32 exec_lo, exec_lo, s23
	s_and_saveexec_b32 s23, s35
	s_cbranch_execnz .LBB736_1195
.LBB736_1131:                           ;   in Loop: Header=BB736_988 Depth=2
	s_or_b32 exec_lo, exec_lo, s23
	s_and_saveexec_b32 s23, s36
	s_cbranch_execnz .LBB736_1196
.LBB736_1132:                           ;   in Loop: Header=BB736_988 Depth=2
	s_or_b32 exec_lo, exec_lo, s23
	s_and_saveexec_b32 s23, s37
	s_cbranch_execnz .LBB736_1197
.LBB736_1133:                           ;   in Loop: Header=BB736_988 Depth=2
	s_or_b32 exec_lo, exec_lo, s23
	s_and_saveexec_b32 s23, s38
	s_cbranch_execz .LBB736_1135
.LBB736_1134:                           ;   in Loop: Header=BB736_988 Depth=2
	v_lshlrev_b32_e32 v37, 2, v149
	v_mov_b32_e32 v40, v3
	ds_read_b32 v39, v37
	ds_read_b64 v[37:38], v106 offset:31232
	s_waitcnt lgkmcnt(1)
	v_add_nc_u32_e32 v39, v39, v90
	v_lshlrev_b64 v[39:40], 3, v[39:40]
	v_add_co_u32 v39, vcc_lo, s50, v39
	v_add_co_ci_u32_e64 v40, null, s51, v40, vcc_lo
	s_waitcnt lgkmcnt(0)
	global_store_dwordx2 v[39:40], v[37:38], off
.LBB736_1135:                           ;   in Loop: Header=BB736_988 Depth=2
	s_or_b32 exec_lo, exec_lo, s23
	s_waitcnt_vscnt null, 0x0
	s_barrier
	buffer_gl0_inv
	s_and_saveexec_b32 s23, s8
	s_cbranch_execz .LBB736_987
; %bb.1136:                             ;   in Loop: Header=BB736_988 Depth=2
	ds_read_b32 v37, v73
	s_waitcnt lgkmcnt(0)
	v_add3_u32 v37, v163, v166, v37
	ds_write_b32 v73, v37
	s_branch .LBB736_987
.LBB736_1137:                           ;   in Loop: Header=BB736_988 Depth=2
	ds_read_b64 v[37:38], v106 offset:512
	s_waitcnt lgkmcnt(0)
	v_lshrrev_b64 v[45:46], s46, v[37:38]
	v_mov_b32_e32 v46, v3
	v_xor_b32_e32 v38, 0x7fffffff, v38
	v_not_b32_e32 v37, v37
	v_and_b32_e32 v45, s52, v45
	v_lshlrev_b32_e32 v45, 2, v45
	ds_read_b32 v45, v45
	s_waitcnt lgkmcnt(0)
	v_add_nc_u32_e32 v45, v45, v0
	v_lshlrev_b64 v[45:46], 3, v[45:46]
	v_add_co_u32 v45, s23, s44, v45
	v_add_co_ci_u32_e64 v46, null, s45, v46, s23
	global_store_dwordx2 v[45:46], v[37:38], off
	s_or_b32 exec_lo, exec_lo, s24
	v_cmp_lt_u32_e64 s23, v74, v167
	s_and_saveexec_b32 s25, s23
	s_cbranch_execz .LBB736_1070
.LBB736_1138:                           ;   in Loop: Header=BB736_988 Depth=2
	ds_read_b64 v[37:38], v106 offset:2560
	s_waitcnt lgkmcnt(0)
	v_lshrrev_b64 v[45:46], s46, v[37:38]
	v_mov_b32_e32 v46, v3
	v_xor_b32_e32 v38, 0x7fffffff, v38
	v_not_b32_e32 v37, v37
	v_and_b32_e32 v45, s52, v45
	v_lshlrev_b32_e32 v45, 2, v45
	ds_read_b32 v45, v45
	s_waitcnt lgkmcnt(0)
	v_add_nc_u32_e32 v45, v45, v74
	v_lshlrev_b64 v[45:46], 3, v[45:46]
	v_add_co_u32 v45, s24, s44, v45
	v_add_co_ci_u32_e64 v46, null, s45, v46, s24
	global_store_dwordx2 v[45:46], v[37:38], off
	s_or_b32 exec_lo, exec_lo, s25
	v_cmp_lt_u32_e64 s24, v77, v167
	s_and_saveexec_b32 s26, s24
	s_cbranch_execz .LBB736_1071
.LBB736_1139:                           ;   in Loop: Header=BB736_988 Depth=2
	ds_read_b64 v[37:38], v106 offset:4608
	s_waitcnt lgkmcnt(0)
	v_lshrrev_b64 v[45:46], s46, v[37:38]
	v_mov_b32_e32 v46, v3
	v_xor_b32_e32 v38, 0x7fffffff, v38
	v_not_b32_e32 v37, v37
	v_and_b32_e32 v45, s52, v45
	v_lshlrev_b32_e32 v45, 2, v45
	ds_read_b32 v45, v45
	s_waitcnt lgkmcnt(0)
	v_add_nc_u32_e32 v45, v45, v77
	v_lshlrev_b64 v[45:46], 3, v[45:46]
	v_add_co_u32 v45, s25, s44, v45
	v_add_co_ci_u32_e64 v46, null, s45, v46, s25
	global_store_dwordx2 v[45:46], v[37:38], off
	s_or_b32 exec_lo, exec_lo, s26
	v_cmp_lt_u32_e64 s25, v78, v167
	s_and_saveexec_b32 s27, s25
	s_cbranch_execz .LBB736_1072
.LBB736_1140:                           ;   in Loop: Header=BB736_988 Depth=2
	ds_read_b64 v[37:38], v106 offset:6656
	s_waitcnt lgkmcnt(0)
	v_lshrrev_b64 v[45:46], s46, v[37:38]
	v_mov_b32_e32 v46, v3
	v_xor_b32_e32 v38, 0x7fffffff, v38
	v_not_b32_e32 v37, v37
	v_and_b32_e32 v45, s52, v45
	v_lshlrev_b32_e32 v45, 2, v45
	ds_read_b32 v45, v45
	s_waitcnt lgkmcnt(0)
	v_add_nc_u32_e32 v45, v45, v78
	v_lshlrev_b64 v[45:46], 3, v[45:46]
	v_add_co_u32 v45, s26, s44, v45
	v_add_co_ci_u32_e64 v46, null, s45, v46, s26
	global_store_dwordx2 v[45:46], v[37:38], off
	s_or_b32 exec_lo, exec_lo, s27
	v_cmp_lt_u32_e64 s26, v79, v167
	s_and_saveexec_b32 s28, s26
	s_cbranch_execz .LBB736_1073
.LBB736_1141:                           ;   in Loop: Header=BB736_988 Depth=2
	ds_read_b64 v[37:38], v106 offset:8704
	s_waitcnt lgkmcnt(0)
	v_lshrrev_b64 v[45:46], s46, v[37:38]
	v_mov_b32_e32 v46, v3
	v_xor_b32_e32 v38, 0x7fffffff, v38
	v_not_b32_e32 v37, v37
	v_and_b32_e32 v45, s52, v45
	v_lshlrev_b32_e32 v45, 2, v45
	ds_read_b32 v45, v45
	s_waitcnt lgkmcnt(0)
	v_add_nc_u32_e32 v45, v45, v79
	v_lshlrev_b64 v[45:46], 3, v[45:46]
	v_add_co_u32 v45, s27, s44, v45
	v_add_co_ci_u32_e64 v46, null, s45, v46, s27
	global_store_dwordx2 v[45:46], v[37:38], off
	s_or_b32 exec_lo, exec_lo, s28
	v_cmp_lt_u32_e64 s27, v80, v167
	s_and_saveexec_b32 s29, s27
	s_cbranch_execz .LBB736_1074
.LBB736_1142:                           ;   in Loop: Header=BB736_988 Depth=2
	ds_read_b64 v[37:38], v106 offset:10752
	s_waitcnt lgkmcnt(0)
	v_lshrrev_b64 v[45:46], s46, v[37:38]
	v_mov_b32_e32 v46, v3
	v_xor_b32_e32 v38, 0x7fffffff, v38
	v_not_b32_e32 v37, v37
	v_and_b32_e32 v45, s52, v45
	v_lshlrev_b32_e32 v45, 2, v45
	ds_read_b32 v45, v45
	s_waitcnt lgkmcnt(0)
	v_add_nc_u32_e32 v45, v45, v80
	v_lshlrev_b64 v[45:46], 3, v[45:46]
	v_add_co_u32 v45, s28, s44, v45
	v_add_co_ci_u32_e64 v46, null, s45, v46, s28
	global_store_dwordx2 v[45:46], v[37:38], off
	s_or_b32 exec_lo, exec_lo, s29
	v_cmp_lt_u32_e64 s28, v81, v167
	s_and_saveexec_b32 s30, s28
	s_cbranch_execz .LBB736_1075
.LBB736_1143:                           ;   in Loop: Header=BB736_988 Depth=2
	ds_read_b64 v[37:38], v106 offset:12800
	s_waitcnt lgkmcnt(0)
	v_lshrrev_b64 v[45:46], s46, v[37:38]
	v_mov_b32_e32 v46, v3
	v_xor_b32_e32 v38, 0x7fffffff, v38
	v_not_b32_e32 v37, v37
	v_and_b32_e32 v45, s52, v45
	v_lshlrev_b32_e32 v45, 2, v45
	ds_read_b32 v45, v45
	s_waitcnt lgkmcnt(0)
	v_add_nc_u32_e32 v45, v45, v81
	v_lshlrev_b64 v[45:46], 3, v[45:46]
	v_add_co_u32 v45, s29, s44, v45
	v_add_co_ci_u32_e64 v46, null, s45, v46, s29
	global_store_dwordx2 v[45:46], v[37:38], off
	s_or_b32 exec_lo, exec_lo, s30
	v_cmp_lt_u32_e64 s29, v82, v167
	s_and_saveexec_b32 s31, s29
	s_cbranch_execz .LBB736_1076
.LBB736_1144:                           ;   in Loop: Header=BB736_988 Depth=2
	ds_read_b64 v[37:38], v106 offset:14848
	s_waitcnt lgkmcnt(0)
	v_lshrrev_b64 v[45:46], s46, v[37:38]
	v_mov_b32_e32 v46, v3
	v_xor_b32_e32 v38, 0x7fffffff, v38
	v_not_b32_e32 v37, v37
	v_and_b32_e32 v45, s52, v45
	v_lshlrev_b32_e32 v45, 2, v45
	ds_read_b32 v45, v45
	s_waitcnt lgkmcnt(0)
	v_add_nc_u32_e32 v45, v45, v82
	v_lshlrev_b64 v[45:46], 3, v[45:46]
	v_add_co_u32 v45, s30, s44, v45
	v_add_co_ci_u32_e64 v46, null, s45, v46, s30
	global_store_dwordx2 v[45:46], v[37:38], off
	s_or_b32 exec_lo, exec_lo, s31
	v_cmp_lt_u32_e64 s30, v83, v167
	s_and_saveexec_b32 s33, s30
	s_cbranch_execz .LBB736_1077
.LBB736_1145:                           ;   in Loop: Header=BB736_988 Depth=2
	ds_read_b64 v[37:38], v106 offset:16896
	s_waitcnt lgkmcnt(0)
	v_lshrrev_b64 v[45:46], s46, v[37:38]
	v_mov_b32_e32 v46, v3
	v_xor_b32_e32 v38, 0x7fffffff, v38
	v_not_b32_e32 v37, v37
	v_and_b32_e32 v45, s52, v45
	v_lshlrev_b32_e32 v45, 2, v45
	ds_read_b32 v45, v45
	s_waitcnt lgkmcnt(0)
	v_add_nc_u32_e32 v45, v45, v83
	v_lshlrev_b64 v[45:46], 3, v[45:46]
	v_add_co_u32 v45, s31, s44, v45
	v_add_co_ci_u32_e64 v46, null, s45, v46, s31
	global_store_dwordx2 v[45:46], v[37:38], off
	s_or_b32 exec_lo, exec_lo, s33
	v_cmp_lt_u32_e64 s31, v84, v167
	s_and_saveexec_b32 s34, s31
	s_cbranch_execz .LBB736_1078
.LBB736_1146:                           ;   in Loop: Header=BB736_988 Depth=2
	ds_read_b64 v[37:38], v106 offset:18944
	s_waitcnt lgkmcnt(0)
	v_lshrrev_b64 v[45:46], s46, v[37:38]
	v_mov_b32_e32 v46, v3
	v_xor_b32_e32 v38, 0x7fffffff, v38
	v_not_b32_e32 v37, v37
	v_and_b32_e32 v45, s52, v45
	v_lshlrev_b32_e32 v45, 2, v45
	ds_read_b32 v45, v45
	s_waitcnt lgkmcnt(0)
	v_add_nc_u32_e32 v45, v45, v84
	v_lshlrev_b64 v[45:46], 3, v[45:46]
	v_add_co_u32 v45, s33, s44, v45
	v_add_co_ci_u32_e64 v46, null, s45, v46, s33
	global_store_dwordx2 v[45:46], v[37:38], off
	s_or_b32 exec_lo, exec_lo, s34
	v_cmp_lt_u32_e64 s33, v85, v167
	s_and_saveexec_b32 s35, s33
	s_cbranch_execz .LBB736_1079
.LBB736_1147:                           ;   in Loop: Header=BB736_988 Depth=2
	ds_read_b64 v[37:38], v106 offset:20992
	s_waitcnt lgkmcnt(0)
	v_lshrrev_b64 v[45:46], s46, v[37:38]
	v_mov_b32_e32 v46, v3
	v_xor_b32_e32 v38, 0x7fffffff, v38
	v_not_b32_e32 v37, v37
	v_and_b32_e32 v45, s52, v45
	v_lshlrev_b32_e32 v45, 2, v45
	ds_read_b32 v45, v45
	s_waitcnt lgkmcnt(0)
	v_add_nc_u32_e32 v45, v45, v85
	v_lshlrev_b64 v[45:46], 3, v[45:46]
	v_add_co_u32 v45, s34, s44, v45
	v_add_co_ci_u32_e64 v46, null, s45, v46, s34
	global_store_dwordx2 v[45:46], v[37:38], off
	s_or_b32 exec_lo, exec_lo, s35
	v_cmp_lt_u32_e64 s34, v86, v167
	s_and_saveexec_b32 s36, s34
	s_cbranch_execz .LBB736_1080
.LBB736_1148:                           ;   in Loop: Header=BB736_988 Depth=2
	ds_read_b64 v[37:38], v106 offset:23040
	s_waitcnt lgkmcnt(0)
	v_lshrrev_b64 v[45:46], s46, v[37:38]
	v_mov_b32_e32 v46, v3
	v_xor_b32_e32 v38, 0x7fffffff, v38
	v_not_b32_e32 v37, v37
	v_and_b32_e32 v45, s52, v45
	v_lshlrev_b32_e32 v45, 2, v45
	ds_read_b32 v45, v45
	s_waitcnt lgkmcnt(0)
	v_add_nc_u32_e32 v45, v45, v86
	v_lshlrev_b64 v[45:46], 3, v[45:46]
	v_add_co_u32 v45, s35, s44, v45
	v_add_co_ci_u32_e64 v46, null, s45, v46, s35
	global_store_dwordx2 v[45:46], v[37:38], off
	s_or_b32 exec_lo, exec_lo, s36
	v_cmp_lt_u32_e64 s35, v87, v167
	s_and_saveexec_b32 s37, s35
	s_cbranch_execz .LBB736_1081
.LBB736_1149:                           ;   in Loop: Header=BB736_988 Depth=2
	ds_read_b64 v[37:38], v106 offset:25088
	s_waitcnt lgkmcnt(0)
	v_lshrrev_b64 v[45:46], s46, v[37:38]
	v_mov_b32_e32 v46, v3
	v_xor_b32_e32 v38, 0x7fffffff, v38
	v_not_b32_e32 v37, v37
	v_and_b32_e32 v45, s52, v45
	v_lshlrev_b32_e32 v45, 2, v45
	ds_read_b32 v45, v45
	s_waitcnt lgkmcnt(0)
	v_add_nc_u32_e32 v45, v45, v87
	v_lshlrev_b64 v[45:46], 3, v[45:46]
	v_add_co_u32 v45, s36, s44, v45
	v_add_co_ci_u32_e64 v46, null, s45, v46, s36
	global_store_dwordx2 v[45:46], v[37:38], off
	s_or_b32 exec_lo, exec_lo, s37
	v_cmp_lt_u32_e64 s36, v88, v167
	s_and_saveexec_b32 s38, s36
	s_cbranch_execz .LBB736_1082
.LBB736_1150:                           ;   in Loop: Header=BB736_988 Depth=2
	ds_read_b64 v[37:38], v106 offset:27136
	s_waitcnt lgkmcnt(0)
	v_lshrrev_b64 v[45:46], s46, v[37:38]
	v_mov_b32_e32 v46, v3
	v_xor_b32_e32 v38, 0x7fffffff, v38
	v_not_b32_e32 v37, v37
	v_and_b32_e32 v45, s52, v45
	v_lshlrev_b32_e32 v45, 2, v45
	ds_read_b32 v45, v45
	s_waitcnt lgkmcnt(0)
	v_add_nc_u32_e32 v45, v45, v88
	v_lshlrev_b64 v[45:46], 3, v[45:46]
	v_add_co_u32 v45, s37, s44, v45
	v_add_co_ci_u32_e64 v46, null, s45, v46, s37
	global_store_dwordx2 v[45:46], v[37:38], off
	s_or_b32 exec_lo, exec_lo, s38
	v_cmp_lt_u32_e64 s37, v89, v167
	s_and_saveexec_b32 s39, s37
	s_cbranch_execz .LBB736_1083
.LBB736_1151:                           ;   in Loop: Header=BB736_988 Depth=2
	ds_read_b64 v[37:38], v106 offset:29184
	s_waitcnt lgkmcnt(0)
	v_lshrrev_b64 v[45:46], s46, v[37:38]
	v_mov_b32_e32 v46, v3
	v_xor_b32_e32 v38, 0x7fffffff, v38
	v_not_b32_e32 v37, v37
	v_and_b32_e32 v45, s52, v45
	v_lshlrev_b32_e32 v45, 2, v45
	ds_read_b32 v45, v45
	s_waitcnt lgkmcnt(0)
	v_add_nc_u32_e32 v45, v45, v89
	v_lshlrev_b64 v[45:46], 3, v[45:46]
	v_add_co_u32 v45, s38, s44, v45
	v_add_co_ci_u32_e64 v46, null, s45, v46, s38
	global_store_dwordx2 v[45:46], v[37:38], off
	s_or_b32 exec_lo, exec_lo, s39
	v_cmp_lt_u32_e64 s38, v90, v167
	s_and_saveexec_b32 s65, s38
	s_cbranch_execnz .LBB736_1084
	s_branch .LBB736_1085
.LBB736_1152:                           ;   in Loop: Header=BB736_988 Depth=2
	global_load_dwordx2 v[35:36], v[37:38], off
	s_or_b32 exec_lo, exec_lo, s39
	s_mov_b32 s56, exec_lo
	v_cmpx_lt_u32_e64 v131, v167
	s_cbranch_execz .LBB736_1087
.LBB736_1153:                           ;   in Loop: Header=BB736_988 Depth=2
	global_load_dwordx2 v[33:34], v[37:38], off offset:256
	s_or_b32 exec_lo, exec_lo, s56
	s_mov_b32 s56, exec_lo
	v_cmpx_lt_u32_e64 v132, v167
	s_cbranch_execz .LBB736_1088
.LBB736_1154:                           ;   in Loop: Header=BB736_988 Depth=2
	global_load_dwordx2 v[31:32], v[37:38], off offset:512
	s_or_b32 exec_lo, exec_lo, s56
	s_mov_b32 s56, exec_lo
	v_cmpx_lt_u32_e64 v133, v167
	s_cbranch_execz .LBB736_1089
.LBB736_1155:                           ;   in Loop: Header=BB736_988 Depth=2
	global_load_dwordx2 v[29:30], v[37:38], off offset:768
	s_or_b32 exec_lo, exec_lo, s56
	s_mov_b32 s56, exec_lo
	v_cmpx_lt_u32_e64 v134, v167
	s_cbranch_execz .LBB736_1090
.LBB736_1156:                           ;   in Loop: Header=BB736_988 Depth=2
	global_load_dwordx2 v[27:28], v[37:38], off offset:1024
	s_or_b32 exec_lo, exec_lo, s56
	s_mov_b32 s56, exec_lo
	v_cmpx_lt_u32_e64 v135, v167
	s_cbranch_execz .LBB736_1091
.LBB736_1157:                           ;   in Loop: Header=BB736_988 Depth=2
	global_load_dwordx2 v[23:24], v[37:38], off offset:1280
	s_or_b32 exec_lo, exec_lo, s56
	s_mov_b32 s56, exec_lo
	v_cmpx_lt_u32_e64 v136, v167
	s_cbranch_execz .LBB736_1092
.LBB736_1158:                           ;   in Loop: Header=BB736_988 Depth=2
	global_load_dwordx2 v[19:20], v[37:38], off offset:1536
	s_or_b32 exec_lo, exec_lo, s56
	s_mov_b32 s56, exec_lo
	v_cmpx_lt_u32_e64 v137, v167
	s_cbranch_execz .LBB736_1093
.LBB736_1159:                           ;   in Loop: Header=BB736_988 Depth=2
	global_load_dwordx2 v[15:16], v[37:38], off offset:1792
	s_or_b32 exec_lo, exec_lo, s56
	s_mov_b32 s56, exec_lo
	v_cmpx_lt_u32_e64 v138, v167
	s_cbranch_execz .LBB736_1094
.LBB736_1160:                           ;   in Loop: Header=BB736_988 Depth=2
	v_add_co_u32 v25, s39, 0x800, v37
	v_add_co_ci_u32_e64 v26, null, 0, v38, s39
	global_load_dwordx2 v[25:26], v[25:26], off
	s_or_b32 exec_lo, exec_lo, s56
	s_mov_b32 s56, exec_lo
	v_cmpx_lt_u32_e64 v139, v167
	s_cbranch_execz .LBB736_1095
.LBB736_1161:                           ;   in Loop: Header=BB736_988 Depth=2
	v_add_co_u32 v21, s39, 0x800, v37
	v_add_co_ci_u32_e64 v22, null, 0, v38, s39
	global_load_dwordx2 v[21:22], v[21:22], off offset:256
	s_or_b32 exec_lo, exec_lo, s56
	s_mov_b32 s56, exec_lo
	v_cmpx_lt_u32_e64 v140, v167
	s_cbranch_execz .LBB736_1096
.LBB736_1162:                           ;   in Loop: Header=BB736_988 Depth=2
	v_add_co_u32 v17, s39, 0x800, v37
	v_add_co_ci_u32_e64 v18, null, 0, v38, s39
	global_load_dwordx2 v[17:18], v[17:18], off offset:512
	s_or_b32 exec_lo, exec_lo, s56
	s_mov_b32 s56, exec_lo
	v_cmpx_lt_u32_e64 v141, v167
	s_cbranch_execz .LBB736_1097
.LBB736_1163:                           ;   in Loop: Header=BB736_988 Depth=2
	v_add_co_u32 v13, s39, 0x800, v37
	v_add_co_ci_u32_e64 v14, null, 0, v38, s39
	global_load_dwordx2 v[13:14], v[13:14], off offset:768
	s_or_b32 exec_lo, exec_lo, s56
	s_mov_b32 s56, exec_lo
	v_cmpx_lt_u32_e64 v142, v167
	s_cbranch_execz .LBB736_1098
.LBB736_1164:                           ;   in Loop: Header=BB736_988 Depth=2
	v_add_co_u32 v11, s39, 0x800, v37
	v_add_co_ci_u32_e64 v12, null, 0, v38, s39
	global_load_dwordx2 v[11:12], v[11:12], off offset:1024
	s_or_b32 exec_lo, exec_lo, s56
	s_mov_b32 s56, exec_lo
	v_cmpx_lt_u32_e64 v143, v167
	s_cbranch_execz .LBB736_1099
.LBB736_1165:                           ;   in Loop: Header=BB736_988 Depth=2
	v_add_co_u32 v9, s39, 0x800, v37
	v_add_co_ci_u32_e64 v10, null, 0, v38, s39
	global_load_dwordx2 v[9:10], v[9:10], off offset:1280
	s_or_b32 exec_lo, exec_lo, s56
	s_mov_b32 s56, exec_lo
	v_cmpx_lt_u32_e64 v144, v167
	s_cbranch_execz .LBB736_1100
.LBB736_1166:                           ;   in Loop: Header=BB736_988 Depth=2
	v_add_co_u32 v7, s39, 0x800, v37
	v_add_co_ci_u32_e64 v8, null, 0, v38, s39
	global_load_dwordx2 v[7:8], v[7:8], off offset:1536
	s_or_b32 exec_lo, exec_lo, s56
	s_mov_b32 s56, exec_lo
	v_cmpx_lt_u32_e64 v145, v167
	s_cbranch_execz .LBB736_1101
.LBB736_1167:                           ;   in Loop: Header=BB736_988 Depth=2
	v_add_co_u32 v5, s39, 0x800, v37
	v_add_co_ci_u32_e64 v6, null, 0, v38, s39
	global_load_dwordx2 v[5:6], v[5:6], off offset:1792
	s_or_b32 exec_lo, exec_lo, s56
	s_and_saveexec_b32 s39, vcc_lo
	s_cbranch_execz .LBB736_1102
.LBB736_1168:                           ;   in Loop: Header=BB736_988 Depth=2
	ds_read_b64 v[37:38], v106 offset:512
	s_waitcnt lgkmcnt(0)
	v_lshrrev_b64 v[37:38], s46, v[37:38]
	v_and_b32_e32 v165, s52, v37
	s_or_b32 exec_lo, exec_lo, s39
	s_and_saveexec_b32 s39, s23
	s_cbranch_execz .LBB736_1103
.LBB736_1169:                           ;   in Loop: Header=BB736_988 Depth=2
	ds_read_b64 v[37:38], v106 offset:2560
	s_waitcnt lgkmcnt(0)
	v_lshrrev_b64 v[37:38], s46, v[37:38]
	v_and_b32_e32 v164, s52, v37
	s_or_b32 exec_lo, exec_lo, s39
	s_and_saveexec_b32 s39, s24
	s_cbranch_execz .LBB736_1104
.LBB736_1170:                           ;   in Loop: Header=BB736_988 Depth=2
	ds_read_b64 v[37:38], v106 offset:4608
	s_waitcnt lgkmcnt(0)
	v_lshrrev_b64 v[37:38], s46, v[37:38]
	v_and_b32_e32 v162, s52, v37
	s_or_b32 exec_lo, exec_lo, s39
	s_and_saveexec_b32 s39, s25
	s_cbranch_execz .LBB736_1105
.LBB736_1171:                           ;   in Loop: Header=BB736_988 Depth=2
	ds_read_b64 v[37:38], v106 offset:6656
	s_waitcnt lgkmcnt(0)
	v_lshrrev_b64 v[37:38], s46, v[37:38]
	v_and_b32_e32 v161, s52, v37
	s_or_b32 exec_lo, exec_lo, s39
	s_and_saveexec_b32 s39, s26
	s_cbranch_execz .LBB736_1106
.LBB736_1172:                           ;   in Loop: Header=BB736_988 Depth=2
	ds_read_b64 v[37:38], v106 offset:8704
	s_waitcnt lgkmcnt(0)
	v_lshrrev_b64 v[37:38], s46, v[37:38]
	v_and_b32_e32 v160, s52, v37
	s_or_b32 exec_lo, exec_lo, s39
	s_and_saveexec_b32 s39, s27
	s_cbranch_execz .LBB736_1107
.LBB736_1173:                           ;   in Loop: Header=BB736_988 Depth=2
	ds_read_b64 v[37:38], v106 offset:10752
	s_waitcnt lgkmcnt(0)
	v_lshrrev_b64 v[37:38], s46, v[37:38]
	v_and_b32_e32 v159, s52, v37
	s_or_b32 exec_lo, exec_lo, s39
	s_and_saveexec_b32 s39, s28
	s_cbranch_execz .LBB736_1108
.LBB736_1174:                           ;   in Loop: Header=BB736_988 Depth=2
	ds_read_b64 v[37:38], v106 offset:12800
	s_waitcnt lgkmcnt(0)
	v_lshrrev_b64 v[37:38], s46, v[37:38]
	v_and_b32_e32 v158, s52, v37
	s_or_b32 exec_lo, exec_lo, s39
	s_and_saveexec_b32 s39, s29
	s_cbranch_execz .LBB736_1109
.LBB736_1175:                           ;   in Loop: Header=BB736_988 Depth=2
	ds_read_b64 v[37:38], v106 offset:14848
	s_waitcnt lgkmcnt(0)
	v_lshrrev_b64 v[37:38], s46, v[37:38]
	v_and_b32_e32 v157, s52, v37
	s_or_b32 exec_lo, exec_lo, s39
	s_and_saveexec_b32 s39, s30
	s_cbranch_execz .LBB736_1110
.LBB736_1176:                           ;   in Loop: Header=BB736_988 Depth=2
	ds_read_b64 v[37:38], v106 offset:16896
	s_waitcnt lgkmcnt(0)
	v_lshrrev_b64 v[37:38], s46, v[37:38]
	v_and_b32_e32 v156, s52, v37
	s_or_b32 exec_lo, exec_lo, s39
	s_and_saveexec_b32 s39, s31
	s_cbranch_execz .LBB736_1111
.LBB736_1177:                           ;   in Loop: Header=BB736_988 Depth=2
	ds_read_b64 v[37:38], v106 offset:18944
	s_waitcnt lgkmcnt(0)
	v_lshrrev_b64 v[37:38], s46, v[37:38]
	v_and_b32_e32 v155, s52, v37
	s_or_b32 exec_lo, exec_lo, s39
	s_and_saveexec_b32 s39, s33
	s_cbranch_execz .LBB736_1112
.LBB736_1178:                           ;   in Loop: Header=BB736_988 Depth=2
	ds_read_b64 v[37:38], v106 offset:20992
	s_waitcnt lgkmcnt(0)
	v_lshrrev_b64 v[37:38], s46, v[37:38]
	v_and_b32_e32 v154, s52, v37
	s_or_b32 exec_lo, exec_lo, s39
	s_and_saveexec_b32 s39, s34
	s_cbranch_execz .LBB736_1113
.LBB736_1179:                           ;   in Loop: Header=BB736_988 Depth=2
	ds_read_b64 v[37:38], v106 offset:23040
	s_waitcnt lgkmcnt(0)
	v_lshrrev_b64 v[37:38], s46, v[37:38]
	v_and_b32_e32 v153, s52, v37
	s_or_b32 exec_lo, exec_lo, s39
	s_and_saveexec_b32 s39, s35
	s_cbranch_execz .LBB736_1114
.LBB736_1180:                           ;   in Loop: Header=BB736_988 Depth=2
	ds_read_b64 v[37:38], v106 offset:25088
	s_waitcnt lgkmcnt(0)
	v_lshrrev_b64 v[37:38], s46, v[37:38]
	v_and_b32_e32 v152, s52, v37
	s_or_b32 exec_lo, exec_lo, s39
	s_and_saveexec_b32 s39, s36
	s_cbranch_execz .LBB736_1115
.LBB736_1181:                           ;   in Loop: Header=BB736_988 Depth=2
	ds_read_b64 v[37:38], v106 offset:27136
	s_waitcnt lgkmcnt(0)
	v_lshrrev_b64 v[37:38], s46, v[37:38]
	v_and_b32_e32 v151, s52, v37
	s_or_b32 exec_lo, exec_lo, s39
	s_and_saveexec_b32 s39, s37
	s_cbranch_execz .LBB736_1116
.LBB736_1182:                           ;   in Loop: Header=BB736_988 Depth=2
	ds_read_b64 v[37:38], v106 offset:29184
	s_waitcnt lgkmcnt(0)
	v_lshrrev_b64 v[37:38], s46, v[37:38]
	v_and_b32_e32 v150, s52, v37
	s_or_b32 exec_lo, exec_lo, s39
	s_and_saveexec_b32 s39, s38
	s_cbranch_execnz .LBB736_1117
	s_branch .LBB736_1118
.LBB736_1183:                           ;   in Loop: Header=BB736_988 Depth=2
	v_lshlrev_b32_e32 v37, 2, v165
	v_mov_b32_e32 v40, v3
	ds_read_b32 v39, v37
	ds_read_b64 v[37:38], v106 offset:512
	s_waitcnt lgkmcnt(1)
	v_add_nc_u32_e32 v39, v39, v0
	v_lshlrev_b64 v[39:40], 3, v[39:40]
	v_add_co_u32 v39, vcc_lo, s50, v39
	v_add_co_ci_u32_e64 v40, null, s51, v40, vcc_lo
	s_waitcnt lgkmcnt(0)
	global_store_dwordx2 v[39:40], v[37:38], off
	s_or_b32 exec_lo, exec_lo, s39
	s_and_saveexec_b32 s39, s23
	s_cbranch_execz .LBB736_1120
.LBB736_1184:                           ;   in Loop: Header=BB736_988 Depth=2
	v_lshlrev_b32_e32 v37, 2, v164
	v_mov_b32_e32 v40, v3
	ds_read_b32 v39, v37
	ds_read_b64 v[37:38], v106 offset:2560
	s_waitcnt lgkmcnt(1)
	v_add_nc_u32_e32 v39, v39, v74
	v_lshlrev_b64 v[39:40], 3, v[39:40]
	v_add_co_u32 v39, vcc_lo, s50, v39
	v_add_co_ci_u32_e64 v40, null, s51, v40, vcc_lo
	s_waitcnt lgkmcnt(0)
	global_store_dwordx2 v[39:40], v[37:38], off
	s_or_b32 exec_lo, exec_lo, s39
	s_and_saveexec_b32 s23, s24
	s_cbranch_execz .LBB736_1121
.LBB736_1185:                           ;   in Loop: Header=BB736_988 Depth=2
	v_lshlrev_b32_e32 v37, 2, v162
	v_mov_b32_e32 v40, v3
	ds_read_b32 v39, v37
	ds_read_b64 v[37:38], v106 offset:4608
	s_waitcnt lgkmcnt(1)
	v_add_nc_u32_e32 v39, v39, v77
	v_lshlrev_b64 v[39:40], 3, v[39:40]
	v_add_co_u32 v39, vcc_lo, s50, v39
	v_add_co_ci_u32_e64 v40, null, s51, v40, vcc_lo
	s_waitcnt lgkmcnt(0)
	global_store_dwordx2 v[39:40], v[37:38], off
	s_or_b32 exec_lo, exec_lo, s23
	s_and_saveexec_b32 s23, s25
	s_cbranch_execz .LBB736_1122
.LBB736_1186:                           ;   in Loop: Header=BB736_988 Depth=2
	v_lshlrev_b32_e32 v37, 2, v161
	v_mov_b32_e32 v40, v3
	ds_read_b32 v39, v37
	ds_read_b64 v[37:38], v106 offset:6656
	s_waitcnt lgkmcnt(1)
	v_add_nc_u32_e32 v39, v39, v78
	v_lshlrev_b64 v[39:40], 3, v[39:40]
	v_add_co_u32 v39, vcc_lo, s50, v39
	v_add_co_ci_u32_e64 v40, null, s51, v40, vcc_lo
	s_waitcnt lgkmcnt(0)
	global_store_dwordx2 v[39:40], v[37:38], off
	s_or_b32 exec_lo, exec_lo, s23
	s_and_saveexec_b32 s23, s26
	s_cbranch_execz .LBB736_1123
.LBB736_1187:                           ;   in Loop: Header=BB736_988 Depth=2
	v_lshlrev_b32_e32 v37, 2, v160
	v_mov_b32_e32 v40, v3
	ds_read_b32 v39, v37
	ds_read_b64 v[37:38], v106 offset:8704
	s_waitcnt lgkmcnt(1)
	v_add_nc_u32_e32 v39, v39, v79
	v_lshlrev_b64 v[39:40], 3, v[39:40]
	v_add_co_u32 v39, vcc_lo, s50, v39
	v_add_co_ci_u32_e64 v40, null, s51, v40, vcc_lo
	s_waitcnt lgkmcnt(0)
	global_store_dwordx2 v[39:40], v[37:38], off
	s_or_b32 exec_lo, exec_lo, s23
	s_and_saveexec_b32 s23, s27
	s_cbranch_execz .LBB736_1124
.LBB736_1188:                           ;   in Loop: Header=BB736_988 Depth=2
	v_lshlrev_b32_e32 v37, 2, v159
	v_mov_b32_e32 v40, v3
	ds_read_b32 v39, v37
	ds_read_b64 v[37:38], v106 offset:10752
	s_waitcnt lgkmcnt(1)
	v_add_nc_u32_e32 v39, v39, v80
	v_lshlrev_b64 v[39:40], 3, v[39:40]
	v_add_co_u32 v39, vcc_lo, s50, v39
	v_add_co_ci_u32_e64 v40, null, s51, v40, vcc_lo
	s_waitcnt lgkmcnt(0)
	global_store_dwordx2 v[39:40], v[37:38], off
	s_or_b32 exec_lo, exec_lo, s23
	s_and_saveexec_b32 s23, s28
	s_cbranch_execz .LBB736_1125
.LBB736_1189:                           ;   in Loop: Header=BB736_988 Depth=2
	v_lshlrev_b32_e32 v37, 2, v158
	v_mov_b32_e32 v40, v3
	ds_read_b32 v39, v37
	ds_read_b64 v[37:38], v106 offset:12800
	s_waitcnt lgkmcnt(1)
	v_add_nc_u32_e32 v39, v39, v81
	v_lshlrev_b64 v[39:40], 3, v[39:40]
	v_add_co_u32 v39, vcc_lo, s50, v39
	v_add_co_ci_u32_e64 v40, null, s51, v40, vcc_lo
	s_waitcnt lgkmcnt(0)
	global_store_dwordx2 v[39:40], v[37:38], off
	s_or_b32 exec_lo, exec_lo, s23
	s_and_saveexec_b32 s23, s29
	s_cbranch_execz .LBB736_1126
.LBB736_1190:                           ;   in Loop: Header=BB736_988 Depth=2
	v_lshlrev_b32_e32 v37, 2, v157
	v_mov_b32_e32 v40, v3
	ds_read_b32 v39, v37
	ds_read_b64 v[37:38], v106 offset:14848
	s_waitcnt lgkmcnt(1)
	v_add_nc_u32_e32 v39, v39, v82
	v_lshlrev_b64 v[39:40], 3, v[39:40]
	v_add_co_u32 v39, vcc_lo, s50, v39
	v_add_co_ci_u32_e64 v40, null, s51, v40, vcc_lo
	s_waitcnt lgkmcnt(0)
	global_store_dwordx2 v[39:40], v[37:38], off
	s_or_b32 exec_lo, exec_lo, s23
	s_and_saveexec_b32 s23, s30
	s_cbranch_execz .LBB736_1127
.LBB736_1191:                           ;   in Loop: Header=BB736_988 Depth=2
	v_lshlrev_b32_e32 v37, 2, v156
	v_mov_b32_e32 v40, v3
	ds_read_b32 v39, v37
	ds_read_b64 v[37:38], v106 offset:16896
	s_waitcnt lgkmcnt(1)
	v_add_nc_u32_e32 v39, v39, v83
	v_lshlrev_b64 v[39:40], 3, v[39:40]
	v_add_co_u32 v39, vcc_lo, s50, v39
	v_add_co_ci_u32_e64 v40, null, s51, v40, vcc_lo
	s_waitcnt lgkmcnt(0)
	global_store_dwordx2 v[39:40], v[37:38], off
	s_or_b32 exec_lo, exec_lo, s23
	s_and_saveexec_b32 s23, s31
	s_cbranch_execz .LBB736_1128
.LBB736_1192:                           ;   in Loop: Header=BB736_988 Depth=2
	v_lshlrev_b32_e32 v37, 2, v155
	v_mov_b32_e32 v40, v3
	ds_read_b32 v39, v37
	ds_read_b64 v[37:38], v106 offset:18944
	s_waitcnt lgkmcnt(1)
	v_add_nc_u32_e32 v39, v39, v84
	v_lshlrev_b64 v[39:40], 3, v[39:40]
	v_add_co_u32 v39, vcc_lo, s50, v39
	v_add_co_ci_u32_e64 v40, null, s51, v40, vcc_lo
	s_waitcnt lgkmcnt(0)
	global_store_dwordx2 v[39:40], v[37:38], off
	s_or_b32 exec_lo, exec_lo, s23
	s_and_saveexec_b32 s23, s33
	s_cbranch_execz .LBB736_1129
.LBB736_1193:                           ;   in Loop: Header=BB736_988 Depth=2
	v_lshlrev_b32_e32 v37, 2, v154
	v_mov_b32_e32 v40, v3
	ds_read_b32 v39, v37
	ds_read_b64 v[37:38], v106 offset:20992
	s_waitcnt lgkmcnt(1)
	v_add_nc_u32_e32 v39, v39, v85
	v_lshlrev_b64 v[39:40], 3, v[39:40]
	v_add_co_u32 v39, vcc_lo, s50, v39
	v_add_co_ci_u32_e64 v40, null, s51, v40, vcc_lo
	s_waitcnt lgkmcnt(0)
	global_store_dwordx2 v[39:40], v[37:38], off
	s_or_b32 exec_lo, exec_lo, s23
	s_and_saveexec_b32 s23, s34
	s_cbranch_execz .LBB736_1130
.LBB736_1194:                           ;   in Loop: Header=BB736_988 Depth=2
	v_lshlrev_b32_e32 v37, 2, v153
	v_mov_b32_e32 v40, v3
	ds_read_b32 v39, v37
	ds_read_b64 v[37:38], v106 offset:23040
	s_waitcnt lgkmcnt(1)
	v_add_nc_u32_e32 v39, v39, v86
	v_lshlrev_b64 v[39:40], 3, v[39:40]
	v_add_co_u32 v39, vcc_lo, s50, v39
	v_add_co_ci_u32_e64 v40, null, s51, v40, vcc_lo
	s_waitcnt lgkmcnt(0)
	global_store_dwordx2 v[39:40], v[37:38], off
	s_or_b32 exec_lo, exec_lo, s23
	s_and_saveexec_b32 s23, s35
	s_cbranch_execz .LBB736_1131
.LBB736_1195:                           ;   in Loop: Header=BB736_988 Depth=2
	v_lshlrev_b32_e32 v37, 2, v152
	v_mov_b32_e32 v40, v3
	ds_read_b32 v39, v37
	ds_read_b64 v[37:38], v106 offset:25088
	s_waitcnt lgkmcnt(1)
	v_add_nc_u32_e32 v39, v39, v87
	v_lshlrev_b64 v[39:40], 3, v[39:40]
	v_add_co_u32 v39, vcc_lo, s50, v39
	v_add_co_ci_u32_e64 v40, null, s51, v40, vcc_lo
	s_waitcnt lgkmcnt(0)
	global_store_dwordx2 v[39:40], v[37:38], off
	s_or_b32 exec_lo, exec_lo, s23
	s_and_saveexec_b32 s23, s36
	s_cbranch_execz .LBB736_1132
.LBB736_1196:                           ;   in Loop: Header=BB736_988 Depth=2
	v_lshlrev_b32_e32 v37, 2, v151
	v_mov_b32_e32 v40, v3
	ds_read_b32 v39, v37
	ds_read_b64 v[37:38], v106 offset:27136
	s_waitcnt lgkmcnt(1)
	v_add_nc_u32_e32 v39, v39, v88
	v_lshlrev_b64 v[39:40], 3, v[39:40]
	v_add_co_u32 v39, vcc_lo, s50, v39
	v_add_co_ci_u32_e64 v40, null, s51, v40, vcc_lo
	s_waitcnt lgkmcnt(0)
	global_store_dwordx2 v[39:40], v[37:38], off
	s_or_b32 exec_lo, exec_lo, s23
	s_and_saveexec_b32 s23, s37
	s_cbranch_execz .LBB736_1133
.LBB736_1197:                           ;   in Loop: Header=BB736_988 Depth=2
	v_lshlrev_b32_e32 v37, 2, v150
	v_mov_b32_e32 v40, v3
	ds_read_b32 v39, v37
	ds_read_b64 v[37:38], v106 offset:29184
	s_waitcnt lgkmcnt(1)
	v_add_nc_u32_e32 v39, v39, v89
	v_lshlrev_b64 v[39:40], 3, v[39:40]
	v_add_co_u32 v39, vcc_lo, s50, v39
	v_add_co_ci_u32_e64 v40, null, s51, v40, vcc_lo
	s_waitcnt lgkmcnt(0)
	global_store_dwordx2 v[39:40], v[37:38], off
	s_or_b32 exec_lo, exec_lo, s23
	s_and_saveexec_b32 s23, s38
	s_cbranch_execnz .LBB736_1134
	s_branch .LBB736_1135
.LBB736_1198:
	s_endpgm
	.section	.rodata,"a",@progbits
	.p2align	6, 0x0
	.amdhsa_kernel _ZN7rocprim17ROCPRIM_400000_NS6detail17trampoline_kernelINS0_14default_configENS1_36segmented_radix_sort_config_selectorIllEEZNS1_25segmented_radix_sort_implIS3_Lb1EPKlPlS8_S9_N2at6native12_GLOBAL__N_18offset_tEEE10hipError_tPvRmT1_PNSt15iterator_traitsISH_E10value_typeET2_T3_PNSI_ISN_E10value_typeET4_jRbjT5_ST_jjP12ihipStream_tbEUlT_E2_NS1_11comp_targetILNS1_3genE8ELNS1_11target_archE1030ELNS1_3gpuE2ELNS1_3repE0EEENS1_30default_config_static_selectorELNS0_4arch9wavefront6targetE0EEEvSH_
		.amdhsa_group_segment_fixed_size 33296
		.amdhsa_private_segment_fixed_size 176
		.amdhsa_kernarg_size 336
		.amdhsa_user_sgpr_count 6
		.amdhsa_user_sgpr_private_segment_buffer 1
		.amdhsa_user_sgpr_dispatch_ptr 0
		.amdhsa_user_sgpr_queue_ptr 0
		.amdhsa_user_sgpr_kernarg_segment_ptr 1
		.amdhsa_user_sgpr_dispatch_id 0
		.amdhsa_user_sgpr_flat_scratch_init 0
		.amdhsa_user_sgpr_private_segment_size 0
		.amdhsa_wavefront_size32 1
		.amdhsa_uses_dynamic_stack 0
		.amdhsa_system_sgpr_private_segment_wavefront_offset 1
		.amdhsa_system_sgpr_workgroup_id_x 1
		.amdhsa_system_sgpr_workgroup_id_y 1
		.amdhsa_system_sgpr_workgroup_id_z 0
		.amdhsa_system_sgpr_workgroup_info 0
		.amdhsa_system_vgpr_workitem_id 2
		.amdhsa_next_free_vgpr 248
		.amdhsa_next_free_sgpr 68
		.amdhsa_reserve_vcc 1
		.amdhsa_reserve_flat_scratch 0
		.amdhsa_float_round_mode_32 0
		.amdhsa_float_round_mode_16_64 0
		.amdhsa_float_denorm_mode_32 3
		.amdhsa_float_denorm_mode_16_64 3
		.amdhsa_dx10_clamp 1
		.amdhsa_ieee_mode 1
		.amdhsa_fp16_overflow 0
		.amdhsa_workgroup_processor_mode 1
		.amdhsa_memory_ordered 1
		.amdhsa_forward_progress 1
		.amdhsa_shared_vgpr_count 0
		.amdhsa_exception_fp_ieee_invalid_op 0
		.amdhsa_exception_fp_denorm_src 0
		.amdhsa_exception_fp_ieee_div_zero 0
		.amdhsa_exception_fp_ieee_overflow 0
		.amdhsa_exception_fp_ieee_underflow 0
		.amdhsa_exception_fp_ieee_inexact 0
		.amdhsa_exception_int_div_zero 0
	.end_amdhsa_kernel
	.section	.text._ZN7rocprim17ROCPRIM_400000_NS6detail17trampoline_kernelINS0_14default_configENS1_36segmented_radix_sort_config_selectorIllEEZNS1_25segmented_radix_sort_implIS3_Lb1EPKlPlS8_S9_N2at6native12_GLOBAL__N_18offset_tEEE10hipError_tPvRmT1_PNSt15iterator_traitsISH_E10value_typeET2_T3_PNSI_ISN_E10value_typeET4_jRbjT5_ST_jjP12ihipStream_tbEUlT_E2_NS1_11comp_targetILNS1_3genE8ELNS1_11target_archE1030ELNS1_3gpuE2ELNS1_3repE0EEENS1_30default_config_static_selectorELNS0_4arch9wavefront6targetE0EEEvSH_,"axG",@progbits,_ZN7rocprim17ROCPRIM_400000_NS6detail17trampoline_kernelINS0_14default_configENS1_36segmented_radix_sort_config_selectorIllEEZNS1_25segmented_radix_sort_implIS3_Lb1EPKlPlS8_S9_N2at6native12_GLOBAL__N_18offset_tEEE10hipError_tPvRmT1_PNSt15iterator_traitsISH_E10value_typeET2_T3_PNSI_ISN_E10value_typeET4_jRbjT5_ST_jjP12ihipStream_tbEUlT_E2_NS1_11comp_targetILNS1_3genE8ELNS1_11target_archE1030ELNS1_3gpuE2ELNS1_3repE0EEENS1_30default_config_static_selectorELNS0_4arch9wavefront6targetE0EEEvSH_,comdat
.Lfunc_end736:
	.size	_ZN7rocprim17ROCPRIM_400000_NS6detail17trampoline_kernelINS0_14default_configENS1_36segmented_radix_sort_config_selectorIllEEZNS1_25segmented_radix_sort_implIS3_Lb1EPKlPlS8_S9_N2at6native12_GLOBAL__N_18offset_tEEE10hipError_tPvRmT1_PNSt15iterator_traitsISH_E10value_typeET2_T3_PNSI_ISN_E10value_typeET4_jRbjT5_ST_jjP12ihipStream_tbEUlT_E2_NS1_11comp_targetILNS1_3genE8ELNS1_11target_archE1030ELNS1_3gpuE2ELNS1_3repE0EEENS1_30default_config_static_selectorELNS0_4arch9wavefront6targetE0EEEvSH_, .Lfunc_end736-_ZN7rocprim17ROCPRIM_400000_NS6detail17trampoline_kernelINS0_14default_configENS1_36segmented_radix_sort_config_selectorIllEEZNS1_25segmented_radix_sort_implIS3_Lb1EPKlPlS8_S9_N2at6native12_GLOBAL__N_18offset_tEEE10hipError_tPvRmT1_PNSt15iterator_traitsISH_E10value_typeET2_T3_PNSI_ISN_E10value_typeET4_jRbjT5_ST_jjP12ihipStream_tbEUlT_E2_NS1_11comp_targetILNS1_3genE8ELNS1_11target_archE1030ELNS1_3gpuE2ELNS1_3repE0EEENS1_30default_config_static_selectorELNS0_4arch9wavefront6targetE0EEEvSH_
                                        ; -- End function
	.set _ZN7rocprim17ROCPRIM_400000_NS6detail17trampoline_kernelINS0_14default_configENS1_36segmented_radix_sort_config_selectorIllEEZNS1_25segmented_radix_sort_implIS3_Lb1EPKlPlS8_S9_N2at6native12_GLOBAL__N_18offset_tEEE10hipError_tPvRmT1_PNSt15iterator_traitsISH_E10value_typeET2_T3_PNSI_ISN_E10value_typeET4_jRbjT5_ST_jjP12ihipStream_tbEUlT_E2_NS1_11comp_targetILNS1_3genE8ELNS1_11target_archE1030ELNS1_3gpuE2ELNS1_3repE0EEENS1_30default_config_static_selectorELNS0_4arch9wavefront6targetE0EEEvSH_.num_vgpr, max(220, .L_ZN7rocprim17ROCPRIM_400000_NS6detail26segmented_warp_sort_helperINS1_20WarpSortHelperConfigILj16ELj8ELj256EEEllLi256ELb1EvE4sortIPKlPlS8_S9_EEvT_T0_T1_T2_jjjjRNS5_12storage_typeE.num_vgpr, .L_ZN7rocprim17ROCPRIM_400000_NS6detail40segmented_radix_sort_single_block_helperIllLj256ELj16ELb1EE4sortIPKlPlS6_S7_EEbT_T0_T1_T2_jjjjRNS3_12storage_typeE.num_vgpr)
	.set _ZN7rocprim17ROCPRIM_400000_NS6detail17trampoline_kernelINS0_14default_configENS1_36segmented_radix_sort_config_selectorIllEEZNS1_25segmented_radix_sort_implIS3_Lb1EPKlPlS8_S9_N2at6native12_GLOBAL__N_18offset_tEEE10hipError_tPvRmT1_PNSt15iterator_traitsISH_E10value_typeET2_T3_PNSI_ISN_E10value_typeET4_jRbjT5_ST_jjP12ihipStream_tbEUlT_E2_NS1_11comp_targetILNS1_3genE8ELNS1_11target_archE1030ELNS1_3gpuE2ELNS1_3repE0EEENS1_30default_config_static_selectorELNS0_4arch9wavefront6targetE0EEEvSH_.num_agpr, max(0, .L_ZN7rocprim17ROCPRIM_400000_NS6detail26segmented_warp_sort_helperINS1_20WarpSortHelperConfigILj16ELj8ELj256EEEllLi256ELb1EvE4sortIPKlPlS8_S9_EEvT_T0_T1_T2_jjjjRNS5_12storage_typeE.num_agpr, .L_ZN7rocprim17ROCPRIM_400000_NS6detail40segmented_radix_sort_single_block_helperIllLj256ELj16ELb1EE4sortIPKlPlS6_S7_EEbT_T0_T1_T2_jjjjRNS3_12storage_typeE.num_agpr)
	.set _ZN7rocprim17ROCPRIM_400000_NS6detail17trampoline_kernelINS0_14default_configENS1_36segmented_radix_sort_config_selectorIllEEZNS1_25segmented_radix_sort_implIS3_Lb1EPKlPlS8_S9_N2at6native12_GLOBAL__N_18offset_tEEE10hipError_tPvRmT1_PNSt15iterator_traitsISH_E10value_typeET2_T3_PNSI_ISN_E10value_typeET4_jRbjT5_ST_jjP12ihipStream_tbEUlT_E2_NS1_11comp_targetILNS1_3genE8ELNS1_11target_archE1030ELNS1_3gpuE2ELNS1_3repE0EEENS1_30default_config_static_selectorELNS0_4arch9wavefront6targetE0EEEvSH_.numbered_sgpr, max(68, .L_ZN7rocprim17ROCPRIM_400000_NS6detail26segmented_warp_sort_helperINS1_20WarpSortHelperConfigILj16ELj8ELj256EEEllLi256ELb1EvE4sortIPKlPlS8_S9_EEvT_T0_T1_T2_jjjjRNS5_12storage_typeE.numbered_sgpr, .L_ZN7rocprim17ROCPRIM_400000_NS6detail40segmented_radix_sort_single_block_helperIllLj256ELj16ELb1EE4sortIPKlPlS6_S7_EEbT_T0_T1_T2_jjjjRNS3_12storage_typeE.numbered_sgpr)
	.set _ZN7rocprim17ROCPRIM_400000_NS6detail17trampoline_kernelINS0_14default_configENS1_36segmented_radix_sort_config_selectorIllEEZNS1_25segmented_radix_sort_implIS3_Lb1EPKlPlS8_S9_N2at6native12_GLOBAL__N_18offset_tEEE10hipError_tPvRmT1_PNSt15iterator_traitsISH_E10value_typeET2_T3_PNSI_ISN_E10value_typeET4_jRbjT5_ST_jjP12ihipStream_tbEUlT_E2_NS1_11comp_targetILNS1_3genE8ELNS1_11target_archE1030ELNS1_3gpuE2ELNS1_3repE0EEENS1_30default_config_static_selectorELNS0_4arch9wavefront6targetE0EEEvSH_.num_named_barrier, max(0, .L_ZN7rocprim17ROCPRIM_400000_NS6detail26segmented_warp_sort_helperINS1_20WarpSortHelperConfigILj16ELj8ELj256EEEllLi256ELb1EvE4sortIPKlPlS8_S9_EEvT_T0_T1_T2_jjjjRNS5_12storage_typeE.num_named_barrier, .L_ZN7rocprim17ROCPRIM_400000_NS6detail40segmented_radix_sort_single_block_helperIllLj256ELj16ELb1EE4sortIPKlPlS6_S7_EEbT_T0_T1_T2_jjjjRNS3_12storage_typeE.num_named_barrier)
	.set _ZN7rocprim17ROCPRIM_400000_NS6detail17trampoline_kernelINS0_14default_configENS1_36segmented_radix_sort_config_selectorIllEEZNS1_25segmented_radix_sort_implIS3_Lb1EPKlPlS8_S9_N2at6native12_GLOBAL__N_18offset_tEEE10hipError_tPvRmT1_PNSt15iterator_traitsISH_E10value_typeET2_T3_PNSI_ISN_E10value_typeET4_jRbjT5_ST_jjP12ihipStream_tbEUlT_E2_NS1_11comp_targetILNS1_3genE8ELNS1_11target_archE1030ELNS1_3gpuE2ELNS1_3repE0EEENS1_30default_config_static_selectorELNS0_4arch9wavefront6targetE0EEEvSH_.private_seg_size, 0+max(.L_ZN7rocprim17ROCPRIM_400000_NS6detail26segmented_warp_sort_helperINS1_20WarpSortHelperConfigILj16ELj8ELj256EEEllLi256ELb1EvE4sortIPKlPlS8_S9_EEvT_T0_T1_T2_jjjjRNS5_12storage_typeE.private_seg_size, .L_ZN7rocprim17ROCPRIM_400000_NS6detail40segmented_radix_sort_single_block_helperIllLj256ELj16ELb1EE4sortIPKlPlS6_S7_EEbT_T0_T1_T2_jjjjRNS3_12storage_typeE.private_seg_size)
	.set _ZN7rocprim17ROCPRIM_400000_NS6detail17trampoline_kernelINS0_14default_configENS1_36segmented_radix_sort_config_selectorIllEEZNS1_25segmented_radix_sort_implIS3_Lb1EPKlPlS8_S9_N2at6native12_GLOBAL__N_18offset_tEEE10hipError_tPvRmT1_PNSt15iterator_traitsISH_E10value_typeET2_T3_PNSI_ISN_E10value_typeET4_jRbjT5_ST_jjP12ihipStream_tbEUlT_E2_NS1_11comp_targetILNS1_3genE8ELNS1_11target_archE1030ELNS1_3gpuE2ELNS1_3repE0EEENS1_30default_config_static_selectorELNS0_4arch9wavefront6targetE0EEEvSH_.uses_vcc, or(1, .L_ZN7rocprim17ROCPRIM_400000_NS6detail26segmented_warp_sort_helperINS1_20WarpSortHelperConfigILj16ELj8ELj256EEEllLi256ELb1EvE4sortIPKlPlS8_S9_EEvT_T0_T1_T2_jjjjRNS5_12storage_typeE.uses_vcc, .L_ZN7rocprim17ROCPRIM_400000_NS6detail40segmented_radix_sort_single_block_helperIllLj256ELj16ELb1EE4sortIPKlPlS6_S7_EEbT_T0_T1_T2_jjjjRNS3_12storage_typeE.uses_vcc)
	.set _ZN7rocprim17ROCPRIM_400000_NS6detail17trampoline_kernelINS0_14default_configENS1_36segmented_radix_sort_config_selectorIllEEZNS1_25segmented_radix_sort_implIS3_Lb1EPKlPlS8_S9_N2at6native12_GLOBAL__N_18offset_tEEE10hipError_tPvRmT1_PNSt15iterator_traitsISH_E10value_typeET2_T3_PNSI_ISN_E10value_typeET4_jRbjT5_ST_jjP12ihipStream_tbEUlT_E2_NS1_11comp_targetILNS1_3genE8ELNS1_11target_archE1030ELNS1_3gpuE2ELNS1_3repE0EEENS1_30default_config_static_selectorELNS0_4arch9wavefront6targetE0EEEvSH_.uses_flat_scratch, or(0, .L_ZN7rocprim17ROCPRIM_400000_NS6detail26segmented_warp_sort_helperINS1_20WarpSortHelperConfigILj16ELj8ELj256EEEllLi256ELb1EvE4sortIPKlPlS8_S9_EEvT_T0_T1_T2_jjjjRNS5_12storage_typeE.uses_flat_scratch, .L_ZN7rocprim17ROCPRIM_400000_NS6detail40segmented_radix_sort_single_block_helperIllLj256ELj16ELb1EE4sortIPKlPlS6_S7_EEbT_T0_T1_T2_jjjjRNS3_12storage_typeE.uses_flat_scratch)
	.set _ZN7rocprim17ROCPRIM_400000_NS6detail17trampoline_kernelINS0_14default_configENS1_36segmented_radix_sort_config_selectorIllEEZNS1_25segmented_radix_sort_implIS3_Lb1EPKlPlS8_S9_N2at6native12_GLOBAL__N_18offset_tEEE10hipError_tPvRmT1_PNSt15iterator_traitsISH_E10value_typeET2_T3_PNSI_ISN_E10value_typeET4_jRbjT5_ST_jjP12ihipStream_tbEUlT_E2_NS1_11comp_targetILNS1_3genE8ELNS1_11target_archE1030ELNS1_3gpuE2ELNS1_3repE0EEENS1_30default_config_static_selectorELNS0_4arch9wavefront6targetE0EEEvSH_.has_dyn_sized_stack, or(0, .L_ZN7rocprim17ROCPRIM_400000_NS6detail26segmented_warp_sort_helperINS1_20WarpSortHelperConfigILj16ELj8ELj256EEEllLi256ELb1EvE4sortIPKlPlS8_S9_EEvT_T0_T1_T2_jjjjRNS5_12storage_typeE.has_dyn_sized_stack, .L_ZN7rocprim17ROCPRIM_400000_NS6detail40segmented_radix_sort_single_block_helperIllLj256ELj16ELb1EE4sortIPKlPlS6_S7_EEbT_T0_T1_T2_jjjjRNS3_12storage_typeE.has_dyn_sized_stack)
	.set _ZN7rocprim17ROCPRIM_400000_NS6detail17trampoline_kernelINS0_14default_configENS1_36segmented_radix_sort_config_selectorIllEEZNS1_25segmented_radix_sort_implIS3_Lb1EPKlPlS8_S9_N2at6native12_GLOBAL__N_18offset_tEEE10hipError_tPvRmT1_PNSt15iterator_traitsISH_E10value_typeET2_T3_PNSI_ISN_E10value_typeET4_jRbjT5_ST_jjP12ihipStream_tbEUlT_E2_NS1_11comp_targetILNS1_3genE8ELNS1_11target_archE1030ELNS1_3gpuE2ELNS1_3repE0EEENS1_30default_config_static_selectorELNS0_4arch9wavefront6targetE0EEEvSH_.has_recursion, or(0, .L_ZN7rocprim17ROCPRIM_400000_NS6detail26segmented_warp_sort_helperINS1_20WarpSortHelperConfigILj16ELj8ELj256EEEllLi256ELb1EvE4sortIPKlPlS8_S9_EEvT_T0_T1_T2_jjjjRNS5_12storage_typeE.has_recursion, .L_ZN7rocprim17ROCPRIM_400000_NS6detail40segmented_radix_sort_single_block_helperIllLj256ELj16ELb1EE4sortIPKlPlS6_S7_EEbT_T0_T1_T2_jjjjRNS3_12storage_typeE.has_recursion)
	.set _ZN7rocprim17ROCPRIM_400000_NS6detail17trampoline_kernelINS0_14default_configENS1_36segmented_radix_sort_config_selectorIllEEZNS1_25segmented_radix_sort_implIS3_Lb1EPKlPlS8_S9_N2at6native12_GLOBAL__N_18offset_tEEE10hipError_tPvRmT1_PNSt15iterator_traitsISH_E10value_typeET2_T3_PNSI_ISN_E10value_typeET4_jRbjT5_ST_jjP12ihipStream_tbEUlT_E2_NS1_11comp_targetILNS1_3genE8ELNS1_11target_archE1030ELNS1_3gpuE2ELNS1_3repE0EEENS1_30default_config_static_selectorELNS0_4arch9wavefront6targetE0EEEvSH_.has_indirect_call, or(0, .L_ZN7rocprim17ROCPRIM_400000_NS6detail26segmented_warp_sort_helperINS1_20WarpSortHelperConfigILj16ELj8ELj256EEEllLi256ELb1EvE4sortIPKlPlS8_S9_EEvT_T0_T1_T2_jjjjRNS5_12storage_typeE.has_indirect_call, .L_ZN7rocprim17ROCPRIM_400000_NS6detail40segmented_radix_sort_single_block_helperIllLj256ELj16ELb1EE4sortIPKlPlS6_S7_EEbT_T0_T1_T2_jjjjRNS3_12storage_typeE.has_indirect_call)
	.section	.AMDGPU.csdata,"",@progbits
; Kernel info:
; codeLenInByte = 64960
; TotalNumSgprs: 70
; NumVgprs: 248
; ScratchSize: 176
; MemoryBound: 0
; FloatMode: 240
; IeeeMode: 1
; LDSByteSize: 33296 bytes/workgroup (compile time only)
; SGPRBlocks: 0
; VGPRBlocks: 30
; NumSGPRsForWavesPerEU: 70
; NumVGPRsForWavesPerEU: 248
; Occupancy: 4
; WaveLimiterHint : 1
; COMPUTE_PGM_RSRC2:SCRATCH_EN: 1
; COMPUTE_PGM_RSRC2:USER_SGPR: 6
; COMPUTE_PGM_RSRC2:TRAP_HANDLER: 0
; COMPUTE_PGM_RSRC2:TGID_X_EN: 1
; COMPUTE_PGM_RSRC2:TGID_Y_EN: 1
; COMPUTE_PGM_RSRC2:TGID_Z_EN: 0
; COMPUTE_PGM_RSRC2:TIDIG_COMP_CNT: 2
	.section	.text._ZN7rocprim17ROCPRIM_400000_NS6detail17trampoline_kernelINS0_13select_configILj256ELj13ELNS0_17block_load_methodE3ELS4_3ELS4_3ELNS0_20block_scan_algorithmE0ELj4294967295EEENS1_25partition_config_selectorILNS1_17partition_subalgoE4EjNS0_10empty_typeEbEEZZNS1_14partition_implILS8_4ELb0ES6_15HIP_vector_typeIjLj2EENS0_17counting_iteratorIjlEEPS9_SG_NS0_5tupleIJPjSI_NS0_16reverse_iteratorISI_EEEEENSH_IJSG_SG_SG_EEES9_SI_JZNS1_25segmented_radix_sort_implINS0_14default_configELb0EPKlPlSQ_SR_N2at6native12_GLOBAL__N_18offset_tEEE10hipError_tPvRmT1_PNSt15iterator_traitsISZ_E10value_typeET2_T3_PNS10_IS15_E10value_typeET4_jRbjT5_S1B_jjP12ihipStream_tbEUljE_ZNSN_ISO_Lb0ESQ_SR_SQ_SR_SV_EESW_SX_SY_SZ_S13_S14_S15_S18_S19_jS1A_jS1B_S1B_jjS1D_bEUljE0_EEESW_SX_SY_S15_S19_S1B_T6_T7_T9_mT8_S1D_bDpT10_ENKUlT_T0_E_clISt17integral_constantIbLb0EES1R_EEDaS1M_S1N_EUlS1M_E_NS1_11comp_targetILNS1_3genE0ELNS1_11target_archE4294967295ELNS1_3gpuE0ELNS1_3repE0EEENS1_30default_config_static_selectorELNS0_4arch9wavefront6targetE0EEEvSZ_,"axG",@progbits,_ZN7rocprim17ROCPRIM_400000_NS6detail17trampoline_kernelINS0_13select_configILj256ELj13ELNS0_17block_load_methodE3ELS4_3ELS4_3ELNS0_20block_scan_algorithmE0ELj4294967295EEENS1_25partition_config_selectorILNS1_17partition_subalgoE4EjNS0_10empty_typeEbEEZZNS1_14partition_implILS8_4ELb0ES6_15HIP_vector_typeIjLj2EENS0_17counting_iteratorIjlEEPS9_SG_NS0_5tupleIJPjSI_NS0_16reverse_iteratorISI_EEEEENSH_IJSG_SG_SG_EEES9_SI_JZNS1_25segmented_radix_sort_implINS0_14default_configELb0EPKlPlSQ_SR_N2at6native12_GLOBAL__N_18offset_tEEE10hipError_tPvRmT1_PNSt15iterator_traitsISZ_E10value_typeET2_T3_PNS10_IS15_E10value_typeET4_jRbjT5_S1B_jjP12ihipStream_tbEUljE_ZNSN_ISO_Lb0ESQ_SR_SQ_SR_SV_EESW_SX_SY_SZ_S13_S14_S15_S18_S19_jS1A_jS1B_S1B_jjS1D_bEUljE0_EEESW_SX_SY_S15_S19_S1B_T6_T7_T9_mT8_S1D_bDpT10_ENKUlT_T0_E_clISt17integral_constantIbLb0EES1R_EEDaS1M_S1N_EUlS1M_E_NS1_11comp_targetILNS1_3genE0ELNS1_11target_archE4294967295ELNS1_3gpuE0ELNS1_3repE0EEENS1_30default_config_static_selectorELNS0_4arch9wavefront6targetE0EEEvSZ_,comdat
	.globl	_ZN7rocprim17ROCPRIM_400000_NS6detail17trampoline_kernelINS0_13select_configILj256ELj13ELNS0_17block_load_methodE3ELS4_3ELS4_3ELNS0_20block_scan_algorithmE0ELj4294967295EEENS1_25partition_config_selectorILNS1_17partition_subalgoE4EjNS0_10empty_typeEbEEZZNS1_14partition_implILS8_4ELb0ES6_15HIP_vector_typeIjLj2EENS0_17counting_iteratorIjlEEPS9_SG_NS0_5tupleIJPjSI_NS0_16reverse_iteratorISI_EEEEENSH_IJSG_SG_SG_EEES9_SI_JZNS1_25segmented_radix_sort_implINS0_14default_configELb0EPKlPlSQ_SR_N2at6native12_GLOBAL__N_18offset_tEEE10hipError_tPvRmT1_PNSt15iterator_traitsISZ_E10value_typeET2_T3_PNS10_IS15_E10value_typeET4_jRbjT5_S1B_jjP12ihipStream_tbEUljE_ZNSN_ISO_Lb0ESQ_SR_SQ_SR_SV_EESW_SX_SY_SZ_S13_S14_S15_S18_S19_jS1A_jS1B_S1B_jjS1D_bEUljE0_EEESW_SX_SY_S15_S19_S1B_T6_T7_T9_mT8_S1D_bDpT10_ENKUlT_T0_E_clISt17integral_constantIbLb0EES1R_EEDaS1M_S1N_EUlS1M_E_NS1_11comp_targetILNS1_3genE0ELNS1_11target_archE4294967295ELNS1_3gpuE0ELNS1_3repE0EEENS1_30default_config_static_selectorELNS0_4arch9wavefront6targetE0EEEvSZ_ ; -- Begin function _ZN7rocprim17ROCPRIM_400000_NS6detail17trampoline_kernelINS0_13select_configILj256ELj13ELNS0_17block_load_methodE3ELS4_3ELS4_3ELNS0_20block_scan_algorithmE0ELj4294967295EEENS1_25partition_config_selectorILNS1_17partition_subalgoE4EjNS0_10empty_typeEbEEZZNS1_14partition_implILS8_4ELb0ES6_15HIP_vector_typeIjLj2EENS0_17counting_iteratorIjlEEPS9_SG_NS0_5tupleIJPjSI_NS0_16reverse_iteratorISI_EEEEENSH_IJSG_SG_SG_EEES9_SI_JZNS1_25segmented_radix_sort_implINS0_14default_configELb0EPKlPlSQ_SR_N2at6native12_GLOBAL__N_18offset_tEEE10hipError_tPvRmT1_PNSt15iterator_traitsISZ_E10value_typeET2_T3_PNS10_IS15_E10value_typeET4_jRbjT5_S1B_jjP12ihipStream_tbEUljE_ZNSN_ISO_Lb0ESQ_SR_SQ_SR_SV_EESW_SX_SY_SZ_S13_S14_S15_S18_S19_jS1A_jS1B_S1B_jjS1D_bEUljE0_EEESW_SX_SY_S15_S19_S1B_T6_T7_T9_mT8_S1D_bDpT10_ENKUlT_T0_E_clISt17integral_constantIbLb0EES1R_EEDaS1M_S1N_EUlS1M_E_NS1_11comp_targetILNS1_3genE0ELNS1_11target_archE4294967295ELNS1_3gpuE0ELNS1_3repE0EEENS1_30default_config_static_selectorELNS0_4arch9wavefront6targetE0EEEvSZ_
	.p2align	8
	.type	_ZN7rocprim17ROCPRIM_400000_NS6detail17trampoline_kernelINS0_13select_configILj256ELj13ELNS0_17block_load_methodE3ELS4_3ELS4_3ELNS0_20block_scan_algorithmE0ELj4294967295EEENS1_25partition_config_selectorILNS1_17partition_subalgoE4EjNS0_10empty_typeEbEEZZNS1_14partition_implILS8_4ELb0ES6_15HIP_vector_typeIjLj2EENS0_17counting_iteratorIjlEEPS9_SG_NS0_5tupleIJPjSI_NS0_16reverse_iteratorISI_EEEEENSH_IJSG_SG_SG_EEES9_SI_JZNS1_25segmented_radix_sort_implINS0_14default_configELb0EPKlPlSQ_SR_N2at6native12_GLOBAL__N_18offset_tEEE10hipError_tPvRmT1_PNSt15iterator_traitsISZ_E10value_typeET2_T3_PNS10_IS15_E10value_typeET4_jRbjT5_S1B_jjP12ihipStream_tbEUljE_ZNSN_ISO_Lb0ESQ_SR_SQ_SR_SV_EESW_SX_SY_SZ_S13_S14_S15_S18_S19_jS1A_jS1B_S1B_jjS1D_bEUljE0_EEESW_SX_SY_S15_S19_S1B_T6_T7_T9_mT8_S1D_bDpT10_ENKUlT_T0_E_clISt17integral_constantIbLb0EES1R_EEDaS1M_S1N_EUlS1M_E_NS1_11comp_targetILNS1_3genE0ELNS1_11target_archE4294967295ELNS1_3gpuE0ELNS1_3repE0EEENS1_30default_config_static_selectorELNS0_4arch9wavefront6targetE0EEEvSZ_,@function
_ZN7rocprim17ROCPRIM_400000_NS6detail17trampoline_kernelINS0_13select_configILj256ELj13ELNS0_17block_load_methodE3ELS4_3ELS4_3ELNS0_20block_scan_algorithmE0ELj4294967295EEENS1_25partition_config_selectorILNS1_17partition_subalgoE4EjNS0_10empty_typeEbEEZZNS1_14partition_implILS8_4ELb0ES6_15HIP_vector_typeIjLj2EENS0_17counting_iteratorIjlEEPS9_SG_NS0_5tupleIJPjSI_NS0_16reverse_iteratorISI_EEEEENSH_IJSG_SG_SG_EEES9_SI_JZNS1_25segmented_radix_sort_implINS0_14default_configELb0EPKlPlSQ_SR_N2at6native12_GLOBAL__N_18offset_tEEE10hipError_tPvRmT1_PNSt15iterator_traitsISZ_E10value_typeET2_T3_PNS10_IS15_E10value_typeET4_jRbjT5_S1B_jjP12ihipStream_tbEUljE_ZNSN_ISO_Lb0ESQ_SR_SQ_SR_SV_EESW_SX_SY_SZ_S13_S14_S15_S18_S19_jS1A_jS1B_S1B_jjS1D_bEUljE0_EEESW_SX_SY_S15_S19_S1B_T6_T7_T9_mT8_S1D_bDpT10_ENKUlT_T0_E_clISt17integral_constantIbLb0EES1R_EEDaS1M_S1N_EUlS1M_E_NS1_11comp_targetILNS1_3genE0ELNS1_11target_archE4294967295ELNS1_3gpuE0ELNS1_3repE0EEENS1_30default_config_static_selectorELNS0_4arch9wavefront6targetE0EEEvSZ_: ; @_ZN7rocprim17ROCPRIM_400000_NS6detail17trampoline_kernelINS0_13select_configILj256ELj13ELNS0_17block_load_methodE3ELS4_3ELS4_3ELNS0_20block_scan_algorithmE0ELj4294967295EEENS1_25partition_config_selectorILNS1_17partition_subalgoE4EjNS0_10empty_typeEbEEZZNS1_14partition_implILS8_4ELb0ES6_15HIP_vector_typeIjLj2EENS0_17counting_iteratorIjlEEPS9_SG_NS0_5tupleIJPjSI_NS0_16reverse_iteratorISI_EEEEENSH_IJSG_SG_SG_EEES9_SI_JZNS1_25segmented_radix_sort_implINS0_14default_configELb0EPKlPlSQ_SR_N2at6native12_GLOBAL__N_18offset_tEEE10hipError_tPvRmT1_PNSt15iterator_traitsISZ_E10value_typeET2_T3_PNS10_IS15_E10value_typeET4_jRbjT5_S1B_jjP12ihipStream_tbEUljE_ZNSN_ISO_Lb0ESQ_SR_SQ_SR_SV_EESW_SX_SY_SZ_S13_S14_S15_S18_S19_jS1A_jS1B_S1B_jjS1D_bEUljE0_EEESW_SX_SY_S15_S19_S1B_T6_T7_T9_mT8_S1D_bDpT10_ENKUlT_T0_E_clISt17integral_constantIbLb0EES1R_EEDaS1M_S1N_EUlS1M_E_NS1_11comp_targetILNS1_3genE0ELNS1_11target_archE4294967295ELNS1_3gpuE0ELNS1_3repE0EEENS1_30default_config_static_selectorELNS0_4arch9wavefront6targetE0EEEvSZ_
; %bb.0:
	.section	.rodata,"a",@progbits
	.p2align	6, 0x0
	.amdhsa_kernel _ZN7rocprim17ROCPRIM_400000_NS6detail17trampoline_kernelINS0_13select_configILj256ELj13ELNS0_17block_load_methodE3ELS4_3ELS4_3ELNS0_20block_scan_algorithmE0ELj4294967295EEENS1_25partition_config_selectorILNS1_17partition_subalgoE4EjNS0_10empty_typeEbEEZZNS1_14partition_implILS8_4ELb0ES6_15HIP_vector_typeIjLj2EENS0_17counting_iteratorIjlEEPS9_SG_NS0_5tupleIJPjSI_NS0_16reverse_iteratorISI_EEEEENSH_IJSG_SG_SG_EEES9_SI_JZNS1_25segmented_radix_sort_implINS0_14default_configELb0EPKlPlSQ_SR_N2at6native12_GLOBAL__N_18offset_tEEE10hipError_tPvRmT1_PNSt15iterator_traitsISZ_E10value_typeET2_T3_PNS10_IS15_E10value_typeET4_jRbjT5_S1B_jjP12ihipStream_tbEUljE_ZNSN_ISO_Lb0ESQ_SR_SQ_SR_SV_EESW_SX_SY_SZ_S13_S14_S15_S18_S19_jS1A_jS1B_S1B_jjS1D_bEUljE0_EEESW_SX_SY_S15_S19_S1B_T6_T7_T9_mT8_S1D_bDpT10_ENKUlT_T0_E_clISt17integral_constantIbLb0EES1R_EEDaS1M_S1N_EUlS1M_E_NS1_11comp_targetILNS1_3genE0ELNS1_11target_archE4294967295ELNS1_3gpuE0ELNS1_3repE0EEENS1_30default_config_static_selectorELNS0_4arch9wavefront6targetE0EEEvSZ_
		.amdhsa_group_segment_fixed_size 0
		.amdhsa_private_segment_fixed_size 0
		.amdhsa_kernarg_size 176
		.amdhsa_user_sgpr_count 6
		.amdhsa_user_sgpr_private_segment_buffer 1
		.amdhsa_user_sgpr_dispatch_ptr 0
		.amdhsa_user_sgpr_queue_ptr 0
		.amdhsa_user_sgpr_kernarg_segment_ptr 1
		.amdhsa_user_sgpr_dispatch_id 0
		.amdhsa_user_sgpr_flat_scratch_init 0
		.amdhsa_user_sgpr_private_segment_size 0
		.amdhsa_wavefront_size32 1
		.amdhsa_uses_dynamic_stack 0
		.amdhsa_system_sgpr_private_segment_wavefront_offset 0
		.amdhsa_system_sgpr_workgroup_id_x 1
		.amdhsa_system_sgpr_workgroup_id_y 0
		.amdhsa_system_sgpr_workgroup_id_z 0
		.amdhsa_system_sgpr_workgroup_info 0
		.amdhsa_system_vgpr_workitem_id 0
		.amdhsa_next_free_vgpr 1
		.amdhsa_next_free_sgpr 1
		.amdhsa_reserve_vcc 0
		.amdhsa_reserve_flat_scratch 0
		.amdhsa_float_round_mode_32 0
		.amdhsa_float_round_mode_16_64 0
		.amdhsa_float_denorm_mode_32 3
		.amdhsa_float_denorm_mode_16_64 3
		.amdhsa_dx10_clamp 1
		.amdhsa_ieee_mode 1
		.amdhsa_fp16_overflow 0
		.amdhsa_workgroup_processor_mode 1
		.amdhsa_memory_ordered 1
		.amdhsa_forward_progress 1
		.amdhsa_shared_vgpr_count 0
		.amdhsa_exception_fp_ieee_invalid_op 0
		.amdhsa_exception_fp_denorm_src 0
		.amdhsa_exception_fp_ieee_div_zero 0
		.amdhsa_exception_fp_ieee_overflow 0
		.amdhsa_exception_fp_ieee_underflow 0
		.amdhsa_exception_fp_ieee_inexact 0
		.amdhsa_exception_int_div_zero 0
	.end_amdhsa_kernel
	.section	.text._ZN7rocprim17ROCPRIM_400000_NS6detail17trampoline_kernelINS0_13select_configILj256ELj13ELNS0_17block_load_methodE3ELS4_3ELS4_3ELNS0_20block_scan_algorithmE0ELj4294967295EEENS1_25partition_config_selectorILNS1_17partition_subalgoE4EjNS0_10empty_typeEbEEZZNS1_14partition_implILS8_4ELb0ES6_15HIP_vector_typeIjLj2EENS0_17counting_iteratorIjlEEPS9_SG_NS0_5tupleIJPjSI_NS0_16reverse_iteratorISI_EEEEENSH_IJSG_SG_SG_EEES9_SI_JZNS1_25segmented_radix_sort_implINS0_14default_configELb0EPKlPlSQ_SR_N2at6native12_GLOBAL__N_18offset_tEEE10hipError_tPvRmT1_PNSt15iterator_traitsISZ_E10value_typeET2_T3_PNS10_IS15_E10value_typeET4_jRbjT5_S1B_jjP12ihipStream_tbEUljE_ZNSN_ISO_Lb0ESQ_SR_SQ_SR_SV_EESW_SX_SY_SZ_S13_S14_S15_S18_S19_jS1A_jS1B_S1B_jjS1D_bEUljE0_EEESW_SX_SY_S15_S19_S1B_T6_T7_T9_mT8_S1D_bDpT10_ENKUlT_T0_E_clISt17integral_constantIbLb0EES1R_EEDaS1M_S1N_EUlS1M_E_NS1_11comp_targetILNS1_3genE0ELNS1_11target_archE4294967295ELNS1_3gpuE0ELNS1_3repE0EEENS1_30default_config_static_selectorELNS0_4arch9wavefront6targetE0EEEvSZ_,"axG",@progbits,_ZN7rocprim17ROCPRIM_400000_NS6detail17trampoline_kernelINS0_13select_configILj256ELj13ELNS0_17block_load_methodE3ELS4_3ELS4_3ELNS0_20block_scan_algorithmE0ELj4294967295EEENS1_25partition_config_selectorILNS1_17partition_subalgoE4EjNS0_10empty_typeEbEEZZNS1_14partition_implILS8_4ELb0ES6_15HIP_vector_typeIjLj2EENS0_17counting_iteratorIjlEEPS9_SG_NS0_5tupleIJPjSI_NS0_16reverse_iteratorISI_EEEEENSH_IJSG_SG_SG_EEES9_SI_JZNS1_25segmented_radix_sort_implINS0_14default_configELb0EPKlPlSQ_SR_N2at6native12_GLOBAL__N_18offset_tEEE10hipError_tPvRmT1_PNSt15iterator_traitsISZ_E10value_typeET2_T3_PNS10_IS15_E10value_typeET4_jRbjT5_S1B_jjP12ihipStream_tbEUljE_ZNSN_ISO_Lb0ESQ_SR_SQ_SR_SV_EESW_SX_SY_SZ_S13_S14_S15_S18_S19_jS1A_jS1B_S1B_jjS1D_bEUljE0_EEESW_SX_SY_S15_S19_S1B_T6_T7_T9_mT8_S1D_bDpT10_ENKUlT_T0_E_clISt17integral_constantIbLb0EES1R_EEDaS1M_S1N_EUlS1M_E_NS1_11comp_targetILNS1_3genE0ELNS1_11target_archE4294967295ELNS1_3gpuE0ELNS1_3repE0EEENS1_30default_config_static_selectorELNS0_4arch9wavefront6targetE0EEEvSZ_,comdat
.Lfunc_end737:
	.size	_ZN7rocprim17ROCPRIM_400000_NS6detail17trampoline_kernelINS0_13select_configILj256ELj13ELNS0_17block_load_methodE3ELS4_3ELS4_3ELNS0_20block_scan_algorithmE0ELj4294967295EEENS1_25partition_config_selectorILNS1_17partition_subalgoE4EjNS0_10empty_typeEbEEZZNS1_14partition_implILS8_4ELb0ES6_15HIP_vector_typeIjLj2EENS0_17counting_iteratorIjlEEPS9_SG_NS0_5tupleIJPjSI_NS0_16reverse_iteratorISI_EEEEENSH_IJSG_SG_SG_EEES9_SI_JZNS1_25segmented_radix_sort_implINS0_14default_configELb0EPKlPlSQ_SR_N2at6native12_GLOBAL__N_18offset_tEEE10hipError_tPvRmT1_PNSt15iterator_traitsISZ_E10value_typeET2_T3_PNS10_IS15_E10value_typeET4_jRbjT5_S1B_jjP12ihipStream_tbEUljE_ZNSN_ISO_Lb0ESQ_SR_SQ_SR_SV_EESW_SX_SY_SZ_S13_S14_S15_S18_S19_jS1A_jS1B_S1B_jjS1D_bEUljE0_EEESW_SX_SY_S15_S19_S1B_T6_T7_T9_mT8_S1D_bDpT10_ENKUlT_T0_E_clISt17integral_constantIbLb0EES1R_EEDaS1M_S1N_EUlS1M_E_NS1_11comp_targetILNS1_3genE0ELNS1_11target_archE4294967295ELNS1_3gpuE0ELNS1_3repE0EEENS1_30default_config_static_selectorELNS0_4arch9wavefront6targetE0EEEvSZ_, .Lfunc_end737-_ZN7rocprim17ROCPRIM_400000_NS6detail17trampoline_kernelINS0_13select_configILj256ELj13ELNS0_17block_load_methodE3ELS4_3ELS4_3ELNS0_20block_scan_algorithmE0ELj4294967295EEENS1_25partition_config_selectorILNS1_17partition_subalgoE4EjNS0_10empty_typeEbEEZZNS1_14partition_implILS8_4ELb0ES6_15HIP_vector_typeIjLj2EENS0_17counting_iteratorIjlEEPS9_SG_NS0_5tupleIJPjSI_NS0_16reverse_iteratorISI_EEEEENSH_IJSG_SG_SG_EEES9_SI_JZNS1_25segmented_radix_sort_implINS0_14default_configELb0EPKlPlSQ_SR_N2at6native12_GLOBAL__N_18offset_tEEE10hipError_tPvRmT1_PNSt15iterator_traitsISZ_E10value_typeET2_T3_PNS10_IS15_E10value_typeET4_jRbjT5_S1B_jjP12ihipStream_tbEUljE_ZNSN_ISO_Lb0ESQ_SR_SQ_SR_SV_EESW_SX_SY_SZ_S13_S14_S15_S18_S19_jS1A_jS1B_S1B_jjS1D_bEUljE0_EEESW_SX_SY_S15_S19_S1B_T6_T7_T9_mT8_S1D_bDpT10_ENKUlT_T0_E_clISt17integral_constantIbLb0EES1R_EEDaS1M_S1N_EUlS1M_E_NS1_11comp_targetILNS1_3genE0ELNS1_11target_archE4294967295ELNS1_3gpuE0ELNS1_3repE0EEENS1_30default_config_static_selectorELNS0_4arch9wavefront6targetE0EEEvSZ_
                                        ; -- End function
	.set _ZN7rocprim17ROCPRIM_400000_NS6detail17trampoline_kernelINS0_13select_configILj256ELj13ELNS0_17block_load_methodE3ELS4_3ELS4_3ELNS0_20block_scan_algorithmE0ELj4294967295EEENS1_25partition_config_selectorILNS1_17partition_subalgoE4EjNS0_10empty_typeEbEEZZNS1_14partition_implILS8_4ELb0ES6_15HIP_vector_typeIjLj2EENS0_17counting_iteratorIjlEEPS9_SG_NS0_5tupleIJPjSI_NS0_16reverse_iteratorISI_EEEEENSH_IJSG_SG_SG_EEES9_SI_JZNS1_25segmented_radix_sort_implINS0_14default_configELb0EPKlPlSQ_SR_N2at6native12_GLOBAL__N_18offset_tEEE10hipError_tPvRmT1_PNSt15iterator_traitsISZ_E10value_typeET2_T3_PNS10_IS15_E10value_typeET4_jRbjT5_S1B_jjP12ihipStream_tbEUljE_ZNSN_ISO_Lb0ESQ_SR_SQ_SR_SV_EESW_SX_SY_SZ_S13_S14_S15_S18_S19_jS1A_jS1B_S1B_jjS1D_bEUljE0_EEESW_SX_SY_S15_S19_S1B_T6_T7_T9_mT8_S1D_bDpT10_ENKUlT_T0_E_clISt17integral_constantIbLb0EES1R_EEDaS1M_S1N_EUlS1M_E_NS1_11comp_targetILNS1_3genE0ELNS1_11target_archE4294967295ELNS1_3gpuE0ELNS1_3repE0EEENS1_30default_config_static_selectorELNS0_4arch9wavefront6targetE0EEEvSZ_.num_vgpr, 0
	.set _ZN7rocprim17ROCPRIM_400000_NS6detail17trampoline_kernelINS0_13select_configILj256ELj13ELNS0_17block_load_methodE3ELS4_3ELS4_3ELNS0_20block_scan_algorithmE0ELj4294967295EEENS1_25partition_config_selectorILNS1_17partition_subalgoE4EjNS0_10empty_typeEbEEZZNS1_14partition_implILS8_4ELb0ES6_15HIP_vector_typeIjLj2EENS0_17counting_iteratorIjlEEPS9_SG_NS0_5tupleIJPjSI_NS0_16reverse_iteratorISI_EEEEENSH_IJSG_SG_SG_EEES9_SI_JZNS1_25segmented_radix_sort_implINS0_14default_configELb0EPKlPlSQ_SR_N2at6native12_GLOBAL__N_18offset_tEEE10hipError_tPvRmT1_PNSt15iterator_traitsISZ_E10value_typeET2_T3_PNS10_IS15_E10value_typeET4_jRbjT5_S1B_jjP12ihipStream_tbEUljE_ZNSN_ISO_Lb0ESQ_SR_SQ_SR_SV_EESW_SX_SY_SZ_S13_S14_S15_S18_S19_jS1A_jS1B_S1B_jjS1D_bEUljE0_EEESW_SX_SY_S15_S19_S1B_T6_T7_T9_mT8_S1D_bDpT10_ENKUlT_T0_E_clISt17integral_constantIbLb0EES1R_EEDaS1M_S1N_EUlS1M_E_NS1_11comp_targetILNS1_3genE0ELNS1_11target_archE4294967295ELNS1_3gpuE0ELNS1_3repE0EEENS1_30default_config_static_selectorELNS0_4arch9wavefront6targetE0EEEvSZ_.num_agpr, 0
	.set _ZN7rocprim17ROCPRIM_400000_NS6detail17trampoline_kernelINS0_13select_configILj256ELj13ELNS0_17block_load_methodE3ELS4_3ELS4_3ELNS0_20block_scan_algorithmE0ELj4294967295EEENS1_25partition_config_selectorILNS1_17partition_subalgoE4EjNS0_10empty_typeEbEEZZNS1_14partition_implILS8_4ELb0ES6_15HIP_vector_typeIjLj2EENS0_17counting_iteratorIjlEEPS9_SG_NS0_5tupleIJPjSI_NS0_16reverse_iteratorISI_EEEEENSH_IJSG_SG_SG_EEES9_SI_JZNS1_25segmented_radix_sort_implINS0_14default_configELb0EPKlPlSQ_SR_N2at6native12_GLOBAL__N_18offset_tEEE10hipError_tPvRmT1_PNSt15iterator_traitsISZ_E10value_typeET2_T3_PNS10_IS15_E10value_typeET4_jRbjT5_S1B_jjP12ihipStream_tbEUljE_ZNSN_ISO_Lb0ESQ_SR_SQ_SR_SV_EESW_SX_SY_SZ_S13_S14_S15_S18_S19_jS1A_jS1B_S1B_jjS1D_bEUljE0_EEESW_SX_SY_S15_S19_S1B_T6_T7_T9_mT8_S1D_bDpT10_ENKUlT_T0_E_clISt17integral_constantIbLb0EES1R_EEDaS1M_S1N_EUlS1M_E_NS1_11comp_targetILNS1_3genE0ELNS1_11target_archE4294967295ELNS1_3gpuE0ELNS1_3repE0EEENS1_30default_config_static_selectorELNS0_4arch9wavefront6targetE0EEEvSZ_.numbered_sgpr, 0
	.set _ZN7rocprim17ROCPRIM_400000_NS6detail17trampoline_kernelINS0_13select_configILj256ELj13ELNS0_17block_load_methodE3ELS4_3ELS4_3ELNS0_20block_scan_algorithmE0ELj4294967295EEENS1_25partition_config_selectorILNS1_17partition_subalgoE4EjNS0_10empty_typeEbEEZZNS1_14partition_implILS8_4ELb0ES6_15HIP_vector_typeIjLj2EENS0_17counting_iteratorIjlEEPS9_SG_NS0_5tupleIJPjSI_NS0_16reverse_iteratorISI_EEEEENSH_IJSG_SG_SG_EEES9_SI_JZNS1_25segmented_radix_sort_implINS0_14default_configELb0EPKlPlSQ_SR_N2at6native12_GLOBAL__N_18offset_tEEE10hipError_tPvRmT1_PNSt15iterator_traitsISZ_E10value_typeET2_T3_PNS10_IS15_E10value_typeET4_jRbjT5_S1B_jjP12ihipStream_tbEUljE_ZNSN_ISO_Lb0ESQ_SR_SQ_SR_SV_EESW_SX_SY_SZ_S13_S14_S15_S18_S19_jS1A_jS1B_S1B_jjS1D_bEUljE0_EEESW_SX_SY_S15_S19_S1B_T6_T7_T9_mT8_S1D_bDpT10_ENKUlT_T0_E_clISt17integral_constantIbLb0EES1R_EEDaS1M_S1N_EUlS1M_E_NS1_11comp_targetILNS1_3genE0ELNS1_11target_archE4294967295ELNS1_3gpuE0ELNS1_3repE0EEENS1_30default_config_static_selectorELNS0_4arch9wavefront6targetE0EEEvSZ_.num_named_barrier, 0
	.set _ZN7rocprim17ROCPRIM_400000_NS6detail17trampoline_kernelINS0_13select_configILj256ELj13ELNS0_17block_load_methodE3ELS4_3ELS4_3ELNS0_20block_scan_algorithmE0ELj4294967295EEENS1_25partition_config_selectorILNS1_17partition_subalgoE4EjNS0_10empty_typeEbEEZZNS1_14partition_implILS8_4ELb0ES6_15HIP_vector_typeIjLj2EENS0_17counting_iteratorIjlEEPS9_SG_NS0_5tupleIJPjSI_NS0_16reverse_iteratorISI_EEEEENSH_IJSG_SG_SG_EEES9_SI_JZNS1_25segmented_radix_sort_implINS0_14default_configELb0EPKlPlSQ_SR_N2at6native12_GLOBAL__N_18offset_tEEE10hipError_tPvRmT1_PNSt15iterator_traitsISZ_E10value_typeET2_T3_PNS10_IS15_E10value_typeET4_jRbjT5_S1B_jjP12ihipStream_tbEUljE_ZNSN_ISO_Lb0ESQ_SR_SQ_SR_SV_EESW_SX_SY_SZ_S13_S14_S15_S18_S19_jS1A_jS1B_S1B_jjS1D_bEUljE0_EEESW_SX_SY_S15_S19_S1B_T6_T7_T9_mT8_S1D_bDpT10_ENKUlT_T0_E_clISt17integral_constantIbLb0EES1R_EEDaS1M_S1N_EUlS1M_E_NS1_11comp_targetILNS1_3genE0ELNS1_11target_archE4294967295ELNS1_3gpuE0ELNS1_3repE0EEENS1_30default_config_static_selectorELNS0_4arch9wavefront6targetE0EEEvSZ_.private_seg_size, 0
	.set _ZN7rocprim17ROCPRIM_400000_NS6detail17trampoline_kernelINS0_13select_configILj256ELj13ELNS0_17block_load_methodE3ELS4_3ELS4_3ELNS0_20block_scan_algorithmE0ELj4294967295EEENS1_25partition_config_selectorILNS1_17partition_subalgoE4EjNS0_10empty_typeEbEEZZNS1_14partition_implILS8_4ELb0ES6_15HIP_vector_typeIjLj2EENS0_17counting_iteratorIjlEEPS9_SG_NS0_5tupleIJPjSI_NS0_16reverse_iteratorISI_EEEEENSH_IJSG_SG_SG_EEES9_SI_JZNS1_25segmented_radix_sort_implINS0_14default_configELb0EPKlPlSQ_SR_N2at6native12_GLOBAL__N_18offset_tEEE10hipError_tPvRmT1_PNSt15iterator_traitsISZ_E10value_typeET2_T3_PNS10_IS15_E10value_typeET4_jRbjT5_S1B_jjP12ihipStream_tbEUljE_ZNSN_ISO_Lb0ESQ_SR_SQ_SR_SV_EESW_SX_SY_SZ_S13_S14_S15_S18_S19_jS1A_jS1B_S1B_jjS1D_bEUljE0_EEESW_SX_SY_S15_S19_S1B_T6_T7_T9_mT8_S1D_bDpT10_ENKUlT_T0_E_clISt17integral_constantIbLb0EES1R_EEDaS1M_S1N_EUlS1M_E_NS1_11comp_targetILNS1_3genE0ELNS1_11target_archE4294967295ELNS1_3gpuE0ELNS1_3repE0EEENS1_30default_config_static_selectorELNS0_4arch9wavefront6targetE0EEEvSZ_.uses_vcc, 0
	.set _ZN7rocprim17ROCPRIM_400000_NS6detail17trampoline_kernelINS0_13select_configILj256ELj13ELNS0_17block_load_methodE3ELS4_3ELS4_3ELNS0_20block_scan_algorithmE0ELj4294967295EEENS1_25partition_config_selectorILNS1_17partition_subalgoE4EjNS0_10empty_typeEbEEZZNS1_14partition_implILS8_4ELb0ES6_15HIP_vector_typeIjLj2EENS0_17counting_iteratorIjlEEPS9_SG_NS0_5tupleIJPjSI_NS0_16reverse_iteratorISI_EEEEENSH_IJSG_SG_SG_EEES9_SI_JZNS1_25segmented_radix_sort_implINS0_14default_configELb0EPKlPlSQ_SR_N2at6native12_GLOBAL__N_18offset_tEEE10hipError_tPvRmT1_PNSt15iterator_traitsISZ_E10value_typeET2_T3_PNS10_IS15_E10value_typeET4_jRbjT5_S1B_jjP12ihipStream_tbEUljE_ZNSN_ISO_Lb0ESQ_SR_SQ_SR_SV_EESW_SX_SY_SZ_S13_S14_S15_S18_S19_jS1A_jS1B_S1B_jjS1D_bEUljE0_EEESW_SX_SY_S15_S19_S1B_T6_T7_T9_mT8_S1D_bDpT10_ENKUlT_T0_E_clISt17integral_constantIbLb0EES1R_EEDaS1M_S1N_EUlS1M_E_NS1_11comp_targetILNS1_3genE0ELNS1_11target_archE4294967295ELNS1_3gpuE0ELNS1_3repE0EEENS1_30default_config_static_selectorELNS0_4arch9wavefront6targetE0EEEvSZ_.uses_flat_scratch, 0
	.set _ZN7rocprim17ROCPRIM_400000_NS6detail17trampoline_kernelINS0_13select_configILj256ELj13ELNS0_17block_load_methodE3ELS4_3ELS4_3ELNS0_20block_scan_algorithmE0ELj4294967295EEENS1_25partition_config_selectorILNS1_17partition_subalgoE4EjNS0_10empty_typeEbEEZZNS1_14partition_implILS8_4ELb0ES6_15HIP_vector_typeIjLj2EENS0_17counting_iteratorIjlEEPS9_SG_NS0_5tupleIJPjSI_NS0_16reverse_iteratorISI_EEEEENSH_IJSG_SG_SG_EEES9_SI_JZNS1_25segmented_radix_sort_implINS0_14default_configELb0EPKlPlSQ_SR_N2at6native12_GLOBAL__N_18offset_tEEE10hipError_tPvRmT1_PNSt15iterator_traitsISZ_E10value_typeET2_T3_PNS10_IS15_E10value_typeET4_jRbjT5_S1B_jjP12ihipStream_tbEUljE_ZNSN_ISO_Lb0ESQ_SR_SQ_SR_SV_EESW_SX_SY_SZ_S13_S14_S15_S18_S19_jS1A_jS1B_S1B_jjS1D_bEUljE0_EEESW_SX_SY_S15_S19_S1B_T6_T7_T9_mT8_S1D_bDpT10_ENKUlT_T0_E_clISt17integral_constantIbLb0EES1R_EEDaS1M_S1N_EUlS1M_E_NS1_11comp_targetILNS1_3genE0ELNS1_11target_archE4294967295ELNS1_3gpuE0ELNS1_3repE0EEENS1_30default_config_static_selectorELNS0_4arch9wavefront6targetE0EEEvSZ_.has_dyn_sized_stack, 0
	.set _ZN7rocprim17ROCPRIM_400000_NS6detail17trampoline_kernelINS0_13select_configILj256ELj13ELNS0_17block_load_methodE3ELS4_3ELS4_3ELNS0_20block_scan_algorithmE0ELj4294967295EEENS1_25partition_config_selectorILNS1_17partition_subalgoE4EjNS0_10empty_typeEbEEZZNS1_14partition_implILS8_4ELb0ES6_15HIP_vector_typeIjLj2EENS0_17counting_iteratorIjlEEPS9_SG_NS0_5tupleIJPjSI_NS0_16reverse_iteratorISI_EEEEENSH_IJSG_SG_SG_EEES9_SI_JZNS1_25segmented_radix_sort_implINS0_14default_configELb0EPKlPlSQ_SR_N2at6native12_GLOBAL__N_18offset_tEEE10hipError_tPvRmT1_PNSt15iterator_traitsISZ_E10value_typeET2_T3_PNS10_IS15_E10value_typeET4_jRbjT5_S1B_jjP12ihipStream_tbEUljE_ZNSN_ISO_Lb0ESQ_SR_SQ_SR_SV_EESW_SX_SY_SZ_S13_S14_S15_S18_S19_jS1A_jS1B_S1B_jjS1D_bEUljE0_EEESW_SX_SY_S15_S19_S1B_T6_T7_T9_mT8_S1D_bDpT10_ENKUlT_T0_E_clISt17integral_constantIbLb0EES1R_EEDaS1M_S1N_EUlS1M_E_NS1_11comp_targetILNS1_3genE0ELNS1_11target_archE4294967295ELNS1_3gpuE0ELNS1_3repE0EEENS1_30default_config_static_selectorELNS0_4arch9wavefront6targetE0EEEvSZ_.has_recursion, 0
	.set _ZN7rocprim17ROCPRIM_400000_NS6detail17trampoline_kernelINS0_13select_configILj256ELj13ELNS0_17block_load_methodE3ELS4_3ELS4_3ELNS0_20block_scan_algorithmE0ELj4294967295EEENS1_25partition_config_selectorILNS1_17partition_subalgoE4EjNS0_10empty_typeEbEEZZNS1_14partition_implILS8_4ELb0ES6_15HIP_vector_typeIjLj2EENS0_17counting_iteratorIjlEEPS9_SG_NS0_5tupleIJPjSI_NS0_16reverse_iteratorISI_EEEEENSH_IJSG_SG_SG_EEES9_SI_JZNS1_25segmented_radix_sort_implINS0_14default_configELb0EPKlPlSQ_SR_N2at6native12_GLOBAL__N_18offset_tEEE10hipError_tPvRmT1_PNSt15iterator_traitsISZ_E10value_typeET2_T3_PNS10_IS15_E10value_typeET4_jRbjT5_S1B_jjP12ihipStream_tbEUljE_ZNSN_ISO_Lb0ESQ_SR_SQ_SR_SV_EESW_SX_SY_SZ_S13_S14_S15_S18_S19_jS1A_jS1B_S1B_jjS1D_bEUljE0_EEESW_SX_SY_S15_S19_S1B_T6_T7_T9_mT8_S1D_bDpT10_ENKUlT_T0_E_clISt17integral_constantIbLb0EES1R_EEDaS1M_S1N_EUlS1M_E_NS1_11comp_targetILNS1_3genE0ELNS1_11target_archE4294967295ELNS1_3gpuE0ELNS1_3repE0EEENS1_30default_config_static_selectorELNS0_4arch9wavefront6targetE0EEEvSZ_.has_indirect_call, 0
	.section	.AMDGPU.csdata,"",@progbits
; Kernel info:
; codeLenInByte = 0
; TotalNumSgprs: 0
; NumVgprs: 0
; ScratchSize: 0
; MemoryBound: 0
; FloatMode: 240
; IeeeMode: 1
; LDSByteSize: 0 bytes/workgroup (compile time only)
; SGPRBlocks: 0
; VGPRBlocks: 0
; NumSGPRsForWavesPerEU: 1
; NumVGPRsForWavesPerEU: 1
; Occupancy: 16
; WaveLimiterHint : 0
; COMPUTE_PGM_RSRC2:SCRATCH_EN: 0
; COMPUTE_PGM_RSRC2:USER_SGPR: 6
; COMPUTE_PGM_RSRC2:TRAP_HANDLER: 0
; COMPUTE_PGM_RSRC2:TGID_X_EN: 1
; COMPUTE_PGM_RSRC2:TGID_Y_EN: 0
; COMPUTE_PGM_RSRC2:TGID_Z_EN: 0
; COMPUTE_PGM_RSRC2:TIDIG_COMP_CNT: 0
	.section	.text._ZN7rocprim17ROCPRIM_400000_NS6detail17trampoline_kernelINS0_13select_configILj256ELj13ELNS0_17block_load_methodE3ELS4_3ELS4_3ELNS0_20block_scan_algorithmE0ELj4294967295EEENS1_25partition_config_selectorILNS1_17partition_subalgoE4EjNS0_10empty_typeEbEEZZNS1_14partition_implILS8_4ELb0ES6_15HIP_vector_typeIjLj2EENS0_17counting_iteratorIjlEEPS9_SG_NS0_5tupleIJPjSI_NS0_16reverse_iteratorISI_EEEEENSH_IJSG_SG_SG_EEES9_SI_JZNS1_25segmented_radix_sort_implINS0_14default_configELb0EPKlPlSQ_SR_N2at6native12_GLOBAL__N_18offset_tEEE10hipError_tPvRmT1_PNSt15iterator_traitsISZ_E10value_typeET2_T3_PNS10_IS15_E10value_typeET4_jRbjT5_S1B_jjP12ihipStream_tbEUljE_ZNSN_ISO_Lb0ESQ_SR_SQ_SR_SV_EESW_SX_SY_SZ_S13_S14_S15_S18_S19_jS1A_jS1B_S1B_jjS1D_bEUljE0_EEESW_SX_SY_S15_S19_S1B_T6_T7_T9_mT8_S1D_bDpT10_ENKUlT_T0_E_clISt17integral_constantIbLb0EES1R_EEDaS1M_S1N_EUlS1M_E_NS1_11comp_targetILNS1_3genE5ELNS1_11target_archE942ELNS1_3gpuE9ELNS1_3repE0EEENS1_30default_config_static_selectorELNS0_4arch9wavefront6targetE0EEEvSZ_,"axG",@progbits,_ZN7rocprim17ROCPRIM_400000_NS6detail17trampoline_kernelINS0_13select_configILj256ELj13ELNS0_17block_load_methodE3ELS4_3ELS4_3ELNS0_20block_scan_algorithmE0ELj4294967295EEENS1_25partition_config_selectorILNS1_17partition_subalgoE4EjNS0_10empty_typeEbEEZZNS1_14partition_implILS8_4ELb0ES6_15HIP_vector_typeIjLj2EENS0_17counting_iteratorIjlEEPS9_SG_NS0_5tupleIJPjSI_NS0_16reverse_iteratorISI_EEEEENSH_IJSG_SG_SG_EEES9_SI_JZNS1_25segmented_radix_sort_implINS0_14default_configELb0EPKlPlSQ_SR_N2at6native12_GLOBAL__N_18offset_tEEE10hipError_tPvRmT1_PNSt15iterator_traitsISZ_E10value_typeET2_T3_PNS10_IS15_E10value_typeET4_jRbjT5_S1B_jjP12ihipStream_tbEUljE_ZNSN_ISO_Lb0ESQ_SR_SQ_SR_SV_EESW_SX_SY_SZ_S13_S14_S15_S18_S19_jS1A_jS1B_S1B_jjS1D_bEUljE0_EEESW_SX_SY_S15_S19_S1B_T6_T7_T9_mT8_S1D_bDpT10_ENKUlT_T0_E_clISt17integral_constantIbLb0EES1R_EEDaS1M_S1N_EUlS1M_E_NS1_11comp_targetILNS1_3genE5ELNS1_11target_archE942ELNS1_3gpuE9ELNS1_3repE0EEENS1_30default_config_static_selectorELNS0_4arch9wavefront6targetE0EEEvSZ_,comdat
	.globl	_ZN7rocprim17ROCPRIM_400000_NS6detail17trampoline_kernelINS0_13select_configILj256ELj13ELNS0_17block_load_methodE3ELS4_3ELS4_3ELNS0_20block_scan_algorithmE0ELj4294967295EEENS1_25partition_config_selectorILNS1_17partition_subalgoE4EjNS0_10empty_typeEbEEZZNS1_14partition_implILS8_4ELb0ES6_15HIP_vector_typeIjLj2EENS0_17counting_iteratorIjlEEPS9_SG_NS0_5tupleIJPjSI_NS0_16reverse_iteratorISI_EEEEENSH_IJSG_SG_SG_EEES9_SI_JZNS1_25segmented_radix_sort_implINS0_14default_configELb0EPKlPlSQ_SR_N2at6native12_GLOBAL__N_18offset_tEEE10hipError_tPvRmT1_PNSt15iterator_traitsISZ_E10value_typeET2_T3_PNS10_IS15_E10value_typeET4_jRbjT5_S1B_jjP12ihipStream_tbEUljE_ZNSN_ISO_Lb0ESQ_SR_SQ_SR_SV_EESW_SX_SY_SZ_S13_S14_S15_S18_S19_jS1A_jS1B_S1B_jjS1D_bEUljE0_EEESW_SX_SY_S15_S19_S1B_T6_T7_T9_mT8_S1D_bDpT10_ENKUlT_T0_E_clISt17integral_constantIbLb0EES1R_EEDaS1M_S1N_EUlS1M_E_NS1_11comp_targetILNS1_3genE5ELNS1_11target_archE942ELNS1_3gpuE9ELNS1_3repE0EEENS1_30default_config_static_selectorELNS0_4arch9wavefront6targetE0EEEvSZ_ ; -- Begin function _ZN7rocprim17ROCPRIM_400000_NS6detail17trampoline_kernelINS0_13select_configILj256ELj13ELNS0_17block_load_methodE3ELS4_3ELS4_3ELNS0_20block_scan_algorithmE0ELj4294967295EEENS1_25partition_config_selectorILNS1_17partition_subalgoE4EjNS0_10empty_typeEbEEZZNS1_14partition_implILS8_4ELb0ES6_15HIP_vector_typeIjLj2EENS0_17counting_iteratorIjlEEPS9_SG_NS0_5tupleIJPjSI_NS0_16reverse_iteratorISI_EEEEENSH_IJSG_SG_SG_EEES9_SI_JZNS1_25segmented_radix_sort_implINS0_14default_configELb0EPKlPlSQ_SR_N2at6native12_GLOBAL__N_18offset_tEEE10hipError_tPvRmT1_PNSt15iterator_traitsISZ_E10value_typeET2_T3_PNS10_IS15_E10value_typeET4_jRbjT5_S1B_jjP12ihipStream_tbEUljE_ZNSN_ISO_Lb0ESQ_SR_SQ_SR_SV_EESW_SX_SY_SZ_S13_S14_S15_S18_S19_jS1A_jS1B_S1B_jjS1D_bEUljE0_EEESW_SX_SY_S15_S19_S1B_T6_T7_T9_mT8_S1D_bDpT10_ENKUlT_T0_E_clISt17integral_constantIbLb0EES1R_EEDaS1M_S1N_EUlS1M_E_NS1_11comp_targetILNS1_3genE5ELNS1_11target_archE942ELNS1_3gpuE9ELNS1_3repE0EEENS1_30default_config_static_selectorELNS0_4arch9wavefront6targetE0EEEvSZ_
	.p2align	8
	.type	_ZN7rocprim17ROCPRIM_400000_NS6detail17trampoline_kernelINS0_13select_configILj256ELj13ELNS0_17block_load_methodE3ELS4_3ELS4_3ELNS0_20block_scan_algorithmE0ELj4294967295EEENS1_25partition_config_selectorILNS1_17partition_subalgoE4EjNS0_10empty_typeEbEEZZNS1_14partition_implILS8_4ELb0ES6_15HIP_vector_typeIjLj2EENS0_17counting_iteratorIjlEEPS9_SG_NS0_5tupleIJPjSI_NS0_16reverse_iteratorISI_EEEEENSH_IJSG_SG_SG_EEES9_SI_JZNS1_25segmented_radix_sort_implINS0_14default_configELb0EPKlPlSQ_SR_N2at6native12_GLOBAL__N_18offset_tEEE10hipError_tPvRmT1_PNSt15iterator_traitsISZ_E10value_typeET2_T3_PNS10_IS15_E10value_typeET4_jRbjT5_S1B_jjP12ihipStream_tbEUljE_ZNSN_ISO_Lb0ESQ_SR_SQ_SR_SV_EESW_SX_SY_SZ_S13_S14_S15_S18_S19_jS1A_jS1B_S1B_jjS1D_bEUljE0_EEESW_SX_SY_S15_S19_S1B_T6_T7_T9_mT8_S1D_bDpT10_ENKUlT_T0_E_clISt17integral_constantIbLb0EES1R_EEDaS1M_S1N_EUlS1M_E_NS1_11comp_targetILNS1_3genE5ELNS1_11target_archE942ELNS1_3gpuE9ELNS1_3repE0EEENS1_30default_config_static_selectorELNS0_4arch9wavefront6targetE0EEEvSZ_,@function
_ZN7rocprim17ROCPRIM_400000_NS6detail17trampoline_kernelINS0_13select_configILj256ELj13ELNS0_17block_load_methodE3ELS4_3ELS4_3ELNS0_20block_scan_algorithmE0ELj4294967295EEENS1_25partition_config_selectorILNS1_17partition_subalgoE4EjNS0_10empty_typeEbEEZZNS1_14partition_implILS8_4ELb0ES6_15HIP_vector_typeIjLj2EENS0_17counting_iteratorIjlEEPS9_SG_NS0_5tupleIJPjSI_NS0_16reverse_iteratorISI_EEEEENSH_IJSG_SG_SG_EEES9_SI_JZNS1_25segmented_radix_sort_implINS0_14default_configELb0EPKlPlSQ_SR_N2at6native12_GLOBAL__N_18offset_tEEE10hipError_tPvRmT1_PNSt15iterator_traitsISZ_E10value_typeET2_T3_PNS10_IS15_E10value_typeET4_jRbjT5_S1B_jjP12ihipStream_tbEUljE_ZNSN_ISO_Lb0ESQ_SR_SQ_SR_SV_EESW_SX_SY_SZ_S13_S14_S15_S18_S19_jS1A_jS1B_S1B_jjS1D_bEUljE0_EEESW_SX_SY_S15_S19_S1B_T6_T7_T9_mT8_S1D_bDpT10_ENKUlT_T0_E_clISt17integral_constantIbLb0EES1R_EEDaS1M_S1N_EUlS1M_E_NS1_11comp_targetILNS1_3genE5ELNS1_11target_archE942ELNS1_3gpuE9ELNS1_3repE0EEENS1_30default_config_static_selectorELNS0_4arch9wavefront6targetE0EEEvSZ_: ; @_ZN7rocprim17ROCPRIM_400000_NS6detail17trampoline_kernelINS0_13select_configILj256ELj13ELNS0_17block_load_methodE3ELS4_3ELS4_3ELNS0_20block_scan_algorithmE0ELj4294967295EEENS1_25partition_config_selectorILNS1_17partition_subalgoE4EjNS0_10empty_typeEbEEZZNS1_14partition_implILS8_4ELb0ES6_15HIP_vector_typeIjLj2EENS0_17counting_iteratorIjlEEPS9_SG_NS0_5tupleIJPjSI_NS0_16reverse_iteratorISI_EEEEENSH_IJSG_SG_SG_EEES9_SI_JZNS1_25segmented_radix_sort_implINS0_14default_configELb0EPKlPlSQ_SR_N2at6native12_GLOBAL__N_18offset_tEEE10hipError_tPvRmT1_PNSt15iterator_traitsISZ_E10value_typeET2_T3_PNS10_IS15_E10value_typeET4_jRbjT5_S1B_jjP12ihipStream_tbEUljE_ZNSN_ISO_Lb0ESQ_SR_SQ_SR_SV_EESW_SX_SY_SZ_S13_S14_S15_S18_S19_jS1A_jS1B_S1B_jjS1D_bEUljE0_EEESW_SX_SY_S15_S19_S1B_T6_T7_T9_mT8_S1D_bDpT10_ENKUlT_T0_E_clISt17integral_constantIbLb0EES1R_EEDaS1M_S1N_EUlS1M_E_NS1_11comp_targetILNS1_3genE5ELNS1_11target_archE942ELNS1_3gpuE9ELNS1_3repE0EEENS1_30default_config_static_selectorELNS0_4arch9wavefront6targetE0EEEvSZ_
; %bb.0:
	.section	.rodata,"a",@progbits
	.p2align	6, 0x0
	.amdhsa_kernel _ZN7rocprim17ROCPRIM_400000_NS6detail17trampoline_kernelINS0_13select_configILj256ELj13ELNS0_17block_load_methodE3ELS4_3ELS4_3ELNS0_20block_scan_algorithmE0ELj4294967295EEENS1_25partition_config_selectorILNS1_17partition_subalgoE4EjNS0_10empty_typeEbEEZZNS1_14partition_implILS8_4ELb0ES6_15HIP_vector_typeIjLj2EENS0_17counting_iteratorIjlEEPS9_SG_NS0_5tupleIJPjSI_NS0_16reverse_iteratorISI_EEEEENSH_IJSG_SG_SG_EEES9_SI_JZNS1_25segmented_radix_sort_implINS0_14default_configELb0EPKlPlSQ_SR_N2at6native12_GLOBAL__N_18offset_tEEE10hipError_tPvRmT1_PNSt15iterator_traitsISZ_E10value_typeET2_T3_PNS10_IS15_E10value_typeET4_jRbjT5_S1B_jjP12ihipStream_tbEUljE_ZNSN_ISO_Lb0ESQ_SR_SQ_SR_SV_EESW_SX_SY_SZ_S13_S14_S15_S18_S19_jS1A_jS1B_S1B_jjS1D_bEUljE0_EEESW_SX_SY_S15_S19_S1B_T6_T7_T9_mT8_S1D_bDpT10_ENKUlT_T0_E_clISt17integral_constantIbLb0EES1R_EEDaS1M_S1N_EUlS1M_E_NS1_11comp_targetILNS1_3genE5ELNS1_11target_archE942ELNS1_3gpuE9ELNS1_3repE0EEENS1_30default_config_static_selectorELNS0_4arch9wavefront6targetE0EEEvSZ_
		.amdhsa_group_segment_fixed_size 0
		.amdhsa_private_segment_fixed_size 0
		.amdhsa_kernarg_size 176
		.amdhsa_user_sgpr_count 6
		.amdhsa_user_sgpr_private_segment_buffer 1
		.amdhsa_user_sgpr_dispatch_ptr 0
		.amdhsa_user_sgpr_queue_ptr 0
		.amdhsa_user_sgpr_kernarg_segment_ptr 1
		.amdhsa_user_sgpr_dispatch_id 0
		.amdhsa_user_sgpr_flat_scratch_init 0
		.amdhsa_user_sgpr_private_segment_size 0
		.amdhsa_wavefront_size32 1
		.amdhsa_uses_dynamic_stack 0
		.amdhsa_system_sgpr_private_segment_wavefront_offset 0
		.amdhsa_system_sgpr_workgroup_id_x 1
		.amdhsa_system_sgpr_workgroup_id_y 0
		.amdhsa_system_sgpr_workgroup_id_z 0
		.amdhsa_system_sgpr_workgroup_info 0
		.amdhsa_system_vgpr_workitem_id 0
		.amdhsa_next_free_vgpr 1
		.amdhsa_next_free_sgpr 1
		.amdhsa_reserve_vcc 0
		.amdhsa_reserve_flat_scratch 0
		.amdhsa_float_round_mode_32 0
		.amdhsa_float_round_mode_16_64 0
		.amdhsa_float_denorm_mode_32 3
		.amdhsa_float_denorm_mode_16_64 3
		.amdhsa_dx10_clamp 1
		.amdhsa_ieee_mode 1
		.amdhsa_fp16_overflow 0
		.amdhsa_workgroup_processor_mode 1
		.amdhsa_memory_ordered 1
		.amdhsa_forward_progress 1
		.amdhsa_shared_vgpr_count 0
		.amdhsa_exception_fp_ieee_invalid_op 0
		.amdhsa_exception_fp_denorm_src 0
		.amdhsa_exception_fp_ieee_div_zero 0
		.amdhsa_exception_fp_ieee_overflow 0
		.amdhsa_exception_fp_ieee_underflow 0
		.amdhsa_exception_fp_ieee_inexact 0
		.amdhsa_exception_int_div_zero 0
	.end_amdhsa_kernel
	.section	.text._ZN7rocprim17ROCPRIM_400000_NS6detail17trampoline_kernelINS0_13select_configILj256ELj13ELNS0_17block_load_methodE3ELS4_3ELS4_3ELNS0_20block_scan_algorithmE0ELj4294967295EEENS1_25partition_config_selectorILNS1_17partition_subalgoE4EjNS0_10empty_typeEbEEZZNS1_14partition_implILS8_4ELb0ES6_15HIP_vector_typeIjLj2EENS0_17counting_iteratorIjlEEPS9_SG_NS0_5tupleIJPjSI_NS0_16reverse_iteratorISI_EEEEENSH_IJSG_SG_SG_EEES9_SI_JZNS1_25segmented_radix_sort_implINS0_14default_configELb0EPKlPlSQ_SR_N2at6native12_GLOBAL__N_18offset_tEEE10hipError_tPvRmT1_PNSt15iterator_traitsISZ_E10value_typeET2_T3_PNS10_IS15_E10value_typeET4_jRbjT5_S1B_jjP12ihipStream_tbEUljE_ZNSN_ISO_Lb0ESQ_SR_SQ_SR_SV_EESW_SX_SY_SZ_S13_S14_S15_S18_S19_jS1A_jS1B_S1B_jjS1D_bEUljE0_EEESW_SX_SY_S15_S19_S1B_T6_T7_T9_mT8_S1D_bDpT10_ENKUlT_T0_E_clISt17integral_constantIbLb0EES1R_EEDaS1M_S1N_EUlS1M_E_NS1_11comp_targetILNS1_3genE5ELNS1_11target_archE942ELNS1_3gpuE9ELNS1_3repE0EEENS1_30default_config_static_selectorELNS0_4arch9wavefront6targetE0EEEvSZ_,"axG",@progbits,_ZN7rocprim17ROCPRIM_400000_NS6detail17trampoline_kernelINS0_13select_configILj256ELj13ELNS0_17block_load_methodE3ELS4_3ELS4_3ELNS0_20block_scan_algorithmE0ELj4294967295EEENS1_25partition_config_selectorILNS1_17partition_subalgoE4EjNS0_10empty_typeEbEEZZNS1_14partition_implILS8_4ELb0ES6_15HIP_vector_typeIjLj2EENS0_17counting_iteratorIjlEEPS9_SG_NS0_5tupleIJPjSI_NS0_16reverse_iteratorISI_EEEEENSH_IJSG_SG_SG_EEES9_SI_JZNS1_25segmented_radix_sort_implINS0_14default_configELb0EPKlPlSQ_SR_N2at6native12_GLOBAL__N_18offset_tEEE10hipError_tPvRmT1_PNSt15iterator_traitsISZ_E10value_typeET2_T3_PNS10_IS15_E10value_typeET4_jRbjT5_S1B_jjP12ihipStream_tbEUljE_ZNSN_ISO_Lb0ESQ_SR_SQ_SR_SV_EESW_SX_SY_SZ_S13_S14_S15_S18_S19_jS1A_jS1B_S1B_jjS1D_bEUljE0_EEESW_SX_SY_S15_S19_S1B_T6_T7_T9_mT8_S1D_bDpT10_ENKUlT_T0_E_clISt17integral_constantIbLb0EES1R_EEDaS1M_S1N_EUlS1M_E_NS1_11comp_targetILNS1_3genE5ELNS1_11target_archE942ELNS1_3gpuE9ELNS1_3repE0EEENS1_30default_config_static_selectorELNS0_4arch9wavefront6targetE0EEEvSZ_,comdat
.Lfunc_end738:
	.size	_ZN7rocprim17ROCPRIM_400000_NS6detail17trampoline_kernelINS0_13select_configILj256ELj13ELNS0_17block_load_methodE3ELS4_3ELS4_3ELNS0_20block_scan_algorithmE0ELj4294967295EEENS1_25partition_config_selectorILNS1_17partition_subalgoE4EjNS0_10empty_typeEbEEZZNS1_14partition_implILS8_4ELb0ES6_15HIP_vector_typeIjLj2EENS0_17counting_iteratorIjlEEPS9_SG_NS0_5tupleIJPjSI_NS0_16reverse_iteratorISI_EEEEENSH_IJSG_SG_SG_EEES9_SI_JZNS1_25segmented_radix_sort_implINS0_14default_configELb0EPKlPlSQ_SR_N2at6native12_GLOBAL__N_18offset_tEEE10hipError_tPvRmT1_PNSt15iterator_traitsISZ_E10value_typeET2_T3_PNS10_IS15_E10value_typeET4_jRbjT5_S1B_jjP12ihipStream_tbEUljE_ZNSN_ISO_Lb0ESQ_SR_SQ_SR_SV_EESW_SX_SY_SZ_S13_S14_S15_S18_S19_jS1A_jS1B_S1B_jjS1D_bEUljE0_EEESW_SX_SY_S15_S19_S1B_T6_T7_T9_mT8_S1D_bDpT10_ENKUlT_T0_E_clISt17integral_constantIbLb0EES1R_EEDaS1M_S1N_EUlS1M_E_NS1_11comp_targetILNS1_3genE5ELNS1_11target_archE942ELNS1_3gpuE9ELNS1_3repE0EEENS1_30default_config_static_selectorELNS0_4arch9wavefront6targetE0EEEvSZ_, .Lfunc_end738-_ZN7rocprim17ROCPRIM_400000_NS6detail17trampoline_kernelINS0_13select_configILj256ELj13ELNS0_17block_load_methodE3ELS4_3ELS4_3ELNS0_20block_scan_algorithmE0ELj4294967295EEENS1_25partition_config_selectorILNS1_17partition_subalgoE4EjNS0_10empty_typeEbEEZZNS1_14partition_implILS8_4ELb0ES6_15HIP_vector_typeIjLj2EENS0_17counting_iteratorIjlEEPS9_SG_NS0_5tupleIJPjSI_NS0_16reverse_iteratorISI_EEEEENSH_IJSG_SG_SG_EEES9_SI_JZNS1_25segmented_radix_sort_implINS0_14default_configELb0EPKlPlSQ_SR_N2at6native12_GLOBAL__N_18offset_tEEE10hipError_tPvRmT1_PNSt15iterator_traitsISZ_E10value_typeET2_T3_PNS10_IS15_E10value_typeET4_jRbjT5_S1B_jjP12ihipStream_tbEUljE_ZNSN_ISO_Lb0ESQ_SR_SQ_SR_SV_EESW_SX_SY_SZ_S13_S14_S15_S18_S19_jS1A_jS1B_S1B_jjS1D_bEUljE0_EEESW_SX_SY_S15_S19_S1B_T6_T7_T9_mT8_S1D_bDpT10_ENKUlT_T0_E_clISt17integral_constantIbLb0EES1R_EEDaS1M_S1N_EUlS1M_E_NS1_11comp_targetILNS1_3genE5ELNS1_11target_archE942ELNS1_3gpuE9ELNS1_3repE0EEENS1_30default_config_static_selectorELNS0_4arch9wavefront6targetE0EEEvSZ_
                                        ; -- End function
	.set _ZN7rocprim17ROCPRIM_400000_NS6detail17trampoline_kernelINS0_13select_configILj256ELj13ELNS0_17block_load_methodE3ELS4_3ELS4_3ELNS0_20block_scan_algorithmE0ELj4294967295EEENS1_25partition_config_selectorILNS1_17partition_subalgoE4EjNS0_10empty_typeEbEEZZNS1_14partition_implILS8_4ELb0ES6_15HIP_vector_typeIjLj2EENS0_17counting_iteratorIjlEEPS9_SG_NS0_5tupleIJPjSI_NS0_16reverse_iteratorISI_EEEEENSH_IJSG_SG_SG_EEES9_SI_JZNS1_25segmented_radix_sort_implINS0_14default_configELb0EPKlPlSQ_SR_N2at6native12_GLOBAL__N_18offset_tEEE10hipError_tPvRmT1_PNSt15iterator_traitsISZ_E10value_typeET2_T3_PNS10_IS15_E10value_typeET4_jRbjT5_S1B_jjP12ihipStream_tbEUljE_ZNSN_ISO_Lb0ESQ_SR_SQ_SR_SV_EESW_SX_SY_SZ_S13_S14_S15_S18_S19_jS1A_jS1B_S1B_jjS1D_bEUljE0_EEESW_SX_SY_S15_S19_S1B_T6_T7_T9_mT8_S1D_bDpT10_ENKUlT_T0_E_clISt17integral_constantIbLb0EES1R_EEDaS1M_S1N_EUlS1M_E_NS1_11comp_targetILNS1_3genE5ELNS1_11target_archE942ELNS1_3gpuE9ELNS1_3repE0EEENS1_30default_config_static_selectorELNS0_4arch9wavefront6targetE0EEEvSZ_.num_vgpr, 0
	.set _ZN7rocprim17ROCPRIM_400000_NS6detail17trampoline_kernelINS0_13select_configILj256ELj13ELNS0_17block_load_methodE3ELS4_3ELS4_3ELNS0_20block_scan_algorithmE0ELj4294967295EEENS1_25partition_config_selectorILNS1_17partition_subalgoE4EjNS0_10empty_typeEbEEZZNS1_14partition_implILS8_4ELb0ES6_15HIP_vector_typeIjLj2EENS0_17counting_iteratorIjlEEPS9_SG_NS0_5tupleIJPjSI_NS0_16reverse_iteratorISI_EEEEENSH_IJSG_SG_SG_EEES9_SI_JZNS1_25segmented_radix_sort_implINS0_14default_configELb0EPKlPlSQ_SR_N2at6native12_GLOBAL__N_18offset_tEEE10hipError_tPvRmT1_PNSt15iterator_traitsISZ_E10value_typeET2_T3_PNS10_IS15_E10value_typeET4_jRbjT5_S1B_jjP12ihipStream_tbEUljE_ZNSN_ISO_Lb0ESQ_SR_SQ_SR_SV_EESW_SX_SY_SZ_S13_S14_S15_S18_S19_jS1A_jS1B_S1B_jjS1D_bEUljE0_EEESW_SX_SY_S15_S19_S1B_T6_T7_T9_mT8_S1D_bDpT10_ENKUlT_T0_E_clISt17integral_constantIbLb0EES1R_EEDaS1M_S1N_EUlS1M_E_NS1_11comp_targetILNS1_3genE5ELNS1_11target_archE942ELNS1_3gpuE9ELNS1_3repE0EEENS1_30default_config_static_selectorELNS0_4arch9wavefront6targetE0EEEvSZ_.num_agpr, 0
	.set _ZN7rocprim17ROCPRIM_400000_NS6detail17trampoline_kernelINS0_13select_configILj256ELj13ELNS0_17block_load_methodE3ELS4_3ELS4_3ELNS0_20block_scan_algorithmE0ELj4294967295EEENS1_25partition_config_selectorILNS1_17partition_subalgoE4EjNS0_10empty_typeEbEEZZNS1_14partition_implILS8_4ELb0ES6_15HIP_vector_typeIjLj2EENS0_17counting_iteratorIjlEEPS9_SG_NS0_5tupleIJPjSI_NS0_16reverse_iteratorISI_EEEEENSH_IJSG_SG_SG_EEES9_SI_JZNS1_25segmented_radix_sort_implINS0_14default_configELb0EPKlPlSQ_SR_N2at6native12_GLOBAL__N_18offset_tEEE10hipError_tPvRmT1_PNSt15iterator_traitsISZ_E10value_typeET2_T3_PNS10_IS15_E10value_typeET4_jRbjT5_S1B_jjP12ihipStream_tbEUljE_ZNSN_ISO_Lb0ESQ_SR_SQ_SR_SV_EESW_SX_SY_SZ_S13_S14_S15_S18_S19_jS1A_jS1B_S1B_jjS1D_bEUljE0_EEESW_SX_SY_S15_S19_S1B_T6_T7_T9_mT8_S1D_bDpT10_ENKUlT_T0_E_clISt17integral_constantIbLb0EES1R_EEDaS1M_S1N_EUlS1M_E_NS1_11comp_targetILNS1_3genE5ELNS1_11target_archE942ELNS1_3gpuE9ELNS1_3repE0EEENS1_30default_config_static_selectorELNS0_4arch9wavefront6targetE0EEEvSZ_.numbered_sgpr, 0
	.set _ZN7rocprim17ROCPRIM_400000_NS6detail17trampoline_kernelINS0_13select_configILj256ELj13ELNS0_17block_load_methodE3ELS4_3ELS4_3ELNS0_20block_scan_algorithmE0ELj4294967295EEENS1_25partition_config_selectorILNS1_17partition_subalgoE4EjNS0_10empty_typeEbEEZZNS1_14partition_implILS8_4ELb0ES6_15HIP_vector_typeIjLj2EENS0_17counting_iteratorIjlEEPS9_SG_NS0_5tupleIJPjSI_NS0_16reverse_iteratorISI_EEEEENSH_IJSG_SG_SG_EEES9_SI_JZNS1_25segmented_radix_sort_implINS0_14default_configELb0EPKlPlSQ_SR_N2at6native12_GLOBAL__N_18offset_tEEE10hipError_tPvRmT1_PNSt15iterator_traitsISZ_E10value_typeET2_T3_PNS10_IS15_E10value_typeET4_jRbjT5_S1B_jjP12ihipStream_tbEUljE_ZNSN_ISO_Lb0ESQ_SR_SQ_SR_SV_EESW_SX_SY_SZ_S13_S14_S15_S18_S19_jS1A_jS1B_S1B_jjS1D_bEUljE0_EEESW_SX_SY_S15_S19_S1B_T6_T7_T9_mT8_S1D_bDpT10_ENKUlT_T0_E_clISt17integral_constantIbLb0EES1R_EEDaS1M_S1N_EUlS1M_E_NS1_11comp_targetILNS1_3genE5ELNS1_11target_archE942ELNS1_3gpuE9ELNS1_3repE0EEENS1_30default_config_static_selectorELNS0_4arch9wavefront6targetE0EEEvSZ_.num_named_barrier, 0
	.set _ZN7rocprim17ROCPRIM_400000_NS6detail17trampoline_kernelINS0_13select_configILj256ELj13ELNS0_17block_load_methodE3ELS4_3ELS4_3ELNS0_20block_scan_algorithmE0ELj4294967295EEENS1_25partition_config_selectorILNS1_17partition_subalgoE4EjNS0_10empty_typeEbEEZZNS1_14partition_implILS8_4ELb0ES6_15HIP_vector_typeIjLj2EENS0_17counting_iteratorIjlEEPS9_SG_NS0_5tupleIJPjSI_NS0_16reverse_iteratorISI_EEEEENSH_IJSG_SG_SG_EEES9_SI_JZNS1_25segmented_radix_sort_implINS0_14default_configELb0EPKlPlSQ_SR_N2at6native12_GLOBAL__N_18offset_tEEE10hipError_tPvRmT1_PNSt15iterator_traitsISZ_E10value_typeET2_T3_PNS10_IS15_E10value_typeET4_jRbjT5_S1B_jjP12ihipStream_tbEUljE_ZNSN_ISO_Lb0ESQ_SR_SQ_SR_SV_EESW_SX_SY_SZ_S13_S14_S15_S18_S19_jS1A_jS1B_S1B_jjS1D_bEUljE0_EEESW_SX_SY_S15_S19_S1B_T6_T7_T9_mT8_S1D_bDpT10_ENKUlT_T0_E_clISt17integral_constantIbLb0EES1R_EEDaS1M_S1N_EUlS1M_E_NS1_11comp_targetILNS1_3genE5ELNS1_11target_archE942ELNS1_3gpuE9ELNS1_3repE0EEENS1_30default_config_static_selectorELNS0_4arch9wavefront6targetE0EEEvSZ_.private_seg_size, 0
	.set _ZN7rocprim17ROCPRIM_400000_NS6detail17trampoline_kernelINS0_13select_configILj256ELj13ELNS0_17block_load_methodE3ELS4_3ELS4_3ELNS0_20block_scan_algorithmE0ELj4294967295EEENS1_25partition_config_selectorILNS1_17partition_subalgoE4EjNS0_10empty_typeEbEEZZNS1_14partition_implILS8_4ELb0ES6_15HIP_vector_typeIjLj2EENS0_17counting_iteratorIjlEEPS9_SG_NS0_5tupleIJPjSI_NS0_16reverse_iteratorISI_EEEEENSH_IJSG_SG_SG_EEES9_SI_JZNS1_25segmented_radix_sort_implINS0_14default_configELb0EPKlPlSQ_SR_N2at6native12_GLOBAL__N_18offset_tEEE10hipError_tPvRmT1_PNSt15iterator_traitsISZ_E10value_typeET2_T3_PNS10_IS15_E10value_typeET4_jRbjT5_S1B_jjP12ihipStream_tbEUljE_ZNSN_ISO_Lb0ESQ_SR_SQ_SR_SV_EESW_SX_SY_SZ_S13_S14_S15_S18_S19_jS1A_jS1B_S1B_jjS1D_bEUljE0_EEESW_SX_SY_S15_S19_S1B_T6_T7_T9_mT8_S1D_bDpT10_ENKUlT_T0_E_clISt17integral_constantIbLb0EES1R_EEDaS1M_S1N_EUlS1M_E_NS1_11comp_targetILNS1_3genE5ELNS1_11target_archE942ELNS1_3gpuE9ELNS1_3repE0EEENS1_30default_config_static_selectorELNS0_4arch9wavefront6targetE0EEEvSZ_.uses_vcc, 0
	.set _ZN7rocprim17ROCPRIM_400000_NS6detail17trampoline_kernelINS0_13select_configILj256ELj13ELNS0_17block_load_methodE3ELS4_3ELS4_3ELNS0_20block_scan_algorithmE0ELj4294967295EEENS1_25partition_config_selectorILNS1_17partition_subalgoE4EjNS0_10empty_typeEbEEZZNS1_14partition_implILS8_4ELb0ES6_15HIP_vector_typeIjLj2EENS0_17counting_iteratorIjlEEPS9_SG_NS0_5tupleIJPjSI_NS0_16reverse_iteratorISI_EEEEENSH_IJSG_SG_SG_EEES9_SI_JZNS1_25segmented_radix_sort_implINS0_14default_configELb0EPKlPlSQ_SR_N2at6native12_GLOBAL__N_18offset_tEEE10hipError_tPvRmT1_PNSt15iterator_traitsISZ_E10value_typeET2_T3_PNS10_IS15_E10value_typeET4_jRbjT5_S1B_jjP12ihipStream_tbEUljE_ZNSN_ISO_Lb0ESQ_SR_SQ_SR_SV_EESW_SX_SY_SZ_S13_S14_S15_S18_S19_jS1A_jS1B_S1B_jjS1D_bEUljE0_EEESW_SX_SY_S15_S19_S1B_T6_T7_T9_mT8_S1D_bDpT10_ENKUlT_T0_E_clISt17integral_constantIbLb0EES1R_EEDaS1M_S1N_EUlS1M_E_NS1_11comp_targetILNS1_3genE5ELNS1_11target_archE942ELNS1_3gpuE9ELNS1_3repE0EEENS1_30default_config_static_selectorELNS0_4arch9wavefront6targetE0EEEvSZ_.uses_flat_scratch, 0
	.set _ZN7rocprim17ROCPRIM_400000_NS6detail17trampoline_kernelINS0_13select_configILj256ELj13ELNS0_17block_load_methodE3ELS4_3ELS4_3ELNS0_20block_scan_algorithmE0ELj4294967295EEENS1_25partition_config_selectorILNS1_17partition_subalgoE4EjNS0_10empty_typeEbEEZZNS1_14partition_implILS8_4ELb0ES6_15HIP_vector_typeIjLj2EENS0_17counting_iteratorIjlEEPS9_SG_NS0_5tupleIJPjSI_NS0_16reverse_iteratorISI_EEEEENSH_IJSG_SG_SG_EEES9_SI_JZNS1_25segmented_radix_sort_implINS0_14default_configELb0EPKlPlSQ_SR_N2at6native12_GLOBAL__N_18offset_tEEE10hipError_tPvRmT1_PNSt15iterator_traitsISZ_E10value_typeET2_T3_PNS10_IS15_E10value_typeET4_jRbjT5_S1B_jjP12ihipStream_tbEUljE_ZNSN_ISO_Lb0ESQ_SR_SQ_SR_SV_EESW_SX_SY_SZ_S13_S14_S15_S18_S19_jS1A_jS1B_S1B_jjS1D_bEUljE0_EEESW_SX_SY_S15_S19_S1B_T6_T7_T9_mT8_S1D_bDpT10_ENKUlT_T0_E_clISt17integral_constantIbLb0EES1R_EEDaS1M_S1N_EUlS1M_E_NS1_11comp_targetILNS1_3genE5ELNS1_11target_archE942ELNS1_3gpuE9ELNS1_3repE0EEENS1_30default_config_static_selectorELNS0_4arch9wavefront6targetE0EEEvSZ_.has_dyn_sized_stack, 0
	.set _ZN7rocprim17ROCPRIM_400000_NS6detail17trampoline_kernelINS0_13select_configILj256ELj13ELNS0_17block_load_methodE3ELS4_3ELS4_3ELNS0_20block_scan_algorithmE0ELj4294967295EEENS1_25partition_config_selectorILNS1_17partition_subalgoE4EjNS0_10empty_typeEbEEZZNS1_14partition_implILS8_4ELb0ES6_15HIP_vector_typeIjLj2EENS0_17counting_iteratorIjlEEPS9_SG_NS0_5tupleIJPjSI_NS0_16reverse_iteratorISI_EEEEENSH_IJSG_SG_SG_EEES9_SI_JZNS1_25segmented_radix_sort_implINS0_14default_configELb0EPKlPlSQ_SR_N2at6native12_GLOBAL__N_18offset_tEEE10hipError_tPvRmT1_PNSt15iterator_traitsISZ_E10value_typeET2_T3_PNS10_IS15_E10value_typeET4_jRbjT5_S1B_jjP12ihipStream_tbEUljE_ZNSN_ISO_Lb0ESQ_SR_SQ_SR_SV_EESW_SX_SY_SZ_S13_S14_S15_S18_S19_jS1A_jS1B_S1B_jjS1D_bEUljE0_EEESW_SX_SY_S15_S19_S1B_T6_T7_T9_mT8_S1D_bDpT10_ENKUlT_T0_E_clISt17integral_constantIbLb0EES1R_EEDaS1M_S1N_EUlS1M_E_NS1_11comp_targetILNS1_3genE5ELNS1_11target_archE942ELNS1_3gpuE9ELNS1_3repE0EEENS1_30default_config_static_selectorELNS0_4arch9wavefront6targetE0EEEvSZ_.has_recursion, 0
	.set _ZN7rocprim17ROCPRIM_400000_NS6detail17trampoline_kernelINS0_13select_configILj256ELj13ELNS0_17block_load_methodE3ELS4_3ELS4_3ELNS0_20block_scan_algorithmE0ELj4294967295EEENS1_25partition_config_selectorILNS1_17partition_subalgoE4EjNS0_10empty_typeEbEEZZNS1_14partition_implILS8_4ELb0ES6_15HIP_vector_typeIjLj2EENS0_17counting_iteratorIjlEEPS9_SG_NS0_5tupleIJPjSI_NS0_16reverse_iteratorISI_EEEEENSH_IJSG_SG_SG_EEES9_SI_JZNS1_25segmented_radix_sort_implINS0_14default_configELb0EPKlPlSQ_SR_N2at6native12_GLOBAL__N_18offset_tEEE10hipError_tPvRmT1_PNSt15iterator_traitsISZ_E10value_typeET2_T3_PNS10_IS15_E10value_typeET4_jRbjT5_S1B_jjP12ihipStream_tbEUljE_ZNSN_ISO_Lb0ESQ_SR_SQ_SR_SV_EESW_SX_SY_SZ_S13_S14_S15_S18_S19_jS1A_jS1B_S1B_jjS1D_bEUljE0_EEESW_SX_SY_S15_S19_S1B_T6_T7_T9_mT8_S1D_bDpT10_ENKUlT_T0_E_clISt17integral_constantIbLb0EES1R_EEDaS1M_S1N_EUlS1M_E_NS1_11comp_targetILNS1_3genE5ELNS1_11target_archE942ELNS1_3gpuE9ELNS1_3repE0EEENS1_30default_config_static_selectorELNS0_4arch9wavefront6targetE0EEEvSZ_.has_indirect_call, 0
	.section	.AMDGPU.csdata,"",@progbits
; Kernel info:
; codeLenInByte = 0
; TotalNumSgprs: 0
; NumVgprs: 0
; ScratchSize: 0
; MemoryBound: 0
; FloatMode: 240
; IeeeMode: 1
; LDSByteSize: 0 bytes/workgroup (compile time only)
; SGPRBlocks: 0
; VGPRBlocks: 0
; NumSGPRsForWavesPerEU: 1
; NumVGPRsForWavesPerEU: 1
; Occupancy: 16
; WaveLimiterHint : 0
; COMPUTE_PGM_RSRC2:SCRATCH_EN: 0
; COMPUTE_PGM_RSRC2:USER_SGPR: 6
; COMPUTE_PGM_RSRC2:TRAP_HANDLER: 0
; COMPUTE_PGM_RSRC2:TGID_X_EN: 1
; COMPUTE_PGM_RSRC2:TGID_Y_EN: 0
; COMPUTE_PGM_RSRC2:TGID_Z_EN: 0
; COMPUTE_PGM_RSRC2:TIDIG_COMP_CNT: 0
	.section	.text._ZN7rocprim17ROCPRIM_400000_NS6detail17trampoline_kernelINS0_13select_configILj256ELj13ELNS0_17block_load_methodE3ELS4_3ELS4_3ELNS0_20block_scan_algorithmE0ELj4294967295EEENS1_25partition_config_selectorILNS1_17partition_subalgoE4EjNS0_10empty_typeEbEEZZNS1_14partition_implILS8_4ELb0ES6_15HIP_vector_typeIjLj2EENS0_17counting_iteratorIjlEEPS9_SG_NS0_5tupleIJPjSI_NS0_16reverse_iteratorISI_EEEEENSH_IJSG_SG_SG_EEES9_SI_JZNS1_25segmented_radix_sort_implINS0_14default_configELb0EPKlPlSQ_SR_N2at6native12_GLOBAL__N_18offset_tEEE10hipError_tPvRmT1_PNSt15iterator_traitsISZ_E10value_typeET2_T3_PNS10_IS15_E10value_typeET4_jRbjT5_S1B_jjP12ihipStream_tbEUljE_ZNSN_ISO_Lb0ESQ_SR_SQ_SR_SV_EESW_SX_SY_SZ_S13_S14_S15_S18_S19_jS1A_jS1B_S1B_jjS1D_bEUljE0_EEESW_SX_SY_S15_S19_S1B_T6_T7_T9_mT8_S1D_bDpT10_ENKUlT_T0_E_clISt17integral_constantIbLb0EES1R_EEDaS1M_S1N_EUlS1M_E_NS1_11comp_targetILNS1_3genE4ELNS1_11target_archE910ELNS1_3gpuE8ELNS1_3repE0EEENS1_30default_config_static_selectorELNS0_4arch9wavefront6targetE0EEEvSZ_,"axG",@progbits,_ZN7rocprim17ROCPRIM_400000_NS6detail17trampoline_kernelINS0_13select_configILj256ELj13ELNS0_17block_load_methodE3ELS4_3ELS4_3ELNS0_20block_scan_algorithmE0ELj4294967295EEENS1_25partition_config_selectorILNS1_17partition_subalgoE4EjNS0_10empty_typeEbEEZZNS1_14partition_implILS8_4ELb0ES6_15HIP_vector_typeIjLj2EENS0_17counting_iteratorIjlEEPS9_SG_NS0_5tupleIJPjSI_NS0_16reverse_iteratorISI_EEEEENSH_IJSG_SG_SG_EEES9_SI_JZNS1_25segmented_radix_sort_implINS0_14default_configELb0EPKlPlSQ_SR_N2at6native12_GLOBAL__N_18offset_tEEE10hipError_tPvRmT1_PNSt15iterator_traitsISZ_E10value_typeET2_T3_PNS10_IS15_E10value_typeET4_jRbjT5_S1B_jjP12ihipStream_tbEUljE_ZNSN_ISO_Lb0ESQ_SR_SQ_SR_SV_EESW_SX_SY_SZ_S13_S14_S15_S18_S19_jS1A_jS1B_S1B_jjS1D_bEUljE0_EEESW_SX_SY_S15_S19_S1B_T6_T7_T9_mT8_S1D_bDpT10_ENKUlT_T0_E_clISt17integral_constantIbLb0EES1R_EEDaS1M_S1N_EUlS1M_E_NS1_11comp_targetILNS1_3genE4ELNS1_11target_archE910ELNS1_3gpuE8ELNS1_3repE0EEENS1_30default_config_static_selectorELNS0_4arch9wavefront6targetE0EEEvSZ_,comdat
	.globl	_ZN7rocprim17ROCPRIM_400000_NS6detail17trampoline_kernelINS0_13select_configILj256ELj13ELNS0_17block_load_methodE3ELS4_3ELS4_3ELNS0_20block_scan_algorithmE0ELj4294967295EEENS1_25partition_config_selectorILNS1_17partition_subalgoE4EjNS0_10empty_typeEbEEZZNS1_14partition_implILS8_4ELb0ES6_15HIP_vector_typeIjLj2EENS0_17counting_iteratorIjlEEPS9_SG_NS0_5tupleIJPjSI_NS0_16reverse_iteratorISI_EEEEENSH_IJSG_SG_SG_EEES9_SI_JZNS1_25segmented_radix_sort_implINS0_14default_configELb0EPKlPlSQ_SR_N2at6native12_GLOBAL__N_18offset_tEEE10hipError_tPvRmT1_PNSt15iterator_traitsISZ_E10value_typeET2_T3_PNS10_IS15_E10value_typeET4_jRbjT5_S1B_jjP12ihipStream_tbEUljE_ZNSN_ISO_Lb0ESQ_SR_SQ_SR_SV_EESW_SX_SY_SZ_S13_S14_S15_S18_S19_jS1A_jS1B_S1B_jjS1D_bEUljE0_EEESW_SX_SY_S15_S19_S1B_T6_T7_T9_mT8_S1D_bDpT10_ENKUlT_T0_E_clISt17integral_constantIbLb0EES1R_EEDaS1M_S1N_EUlS1M_E_NS1_11comp_targetILNS1_3genE4ELNS1_11target_archE910ELNS1_3gpuE8ELNS1_3repE0EEENS1_30default_config_static_selectorELNS0_4arch9wavefront6targetE0EEEvSZ_ ; -- Begin function _ZN7rocprim17ROCPRIM_400000_NS6detail17trampoline_kernelINS0_13select_configILj256ELj13ELNS0_17block_load_methodE3ELS4_3ELS4_3ELNS0_20block_scan_algorithmE0ELj4294967295EEENS1_25partition_config_selectorILNS1_17partition_subalgoE4EjNS0_10empty_typeEbEEZZNS1_14partition_implILS8_4ELb0ES6_15HIP_vector_typeIjLj2EENS0_17counting_iteratorIjlEEPS9_SG_NS0_5tupleIJPjSI_NS0_16reverse_iteratorISI_EEEEENSH_IJSG_SG_SG_EEES9_SI_JZNS1_25segmented_radix_sort_implINS0_14default_configELb0EPKlPlSQ_SR_N2at6native12_GLOBAL__N_18offset_tEEE10hipError_tPvRmT1_PNSt15iterator_traitsISZ_E10value_typeET2_T3_PNS10_IS15_E10value_typeET4_jRbjT5_S1B_jjP12ihipStream_tbEUljE_ZNSN_ISO_Lb0ESQ_SR_SQ_SR_SV_EESW_SX_SY_SZ_S13_S14_S15_S18_S19_jS1A_jS1B_S1B_jjS1D_bEUljE0_EEESW_SX_SY_S15_S19_S1B_T6_T7_T9_mT8_S1D_bDpT10_ENKUlT_T0_E_clISt17integral_constantIbLb0EES1R_EEDaS1M_S1N_EUlS1M_E_NS1_11comp_targetILNS1_3genE4ELNS1_11target_archE910ELNS1_3gpuE8ELNS1_3repE0EEENS1_30default_config_static_selectorELNS0_4arch9wavefront6targetE0EEEvSZ_
	.p2align	8
	.type	_ZN7rocprim17ROCPRIM_400000_NS6detail17trampoline_kernelINS0_13select_configILj256ELj13ELNS0_17block_load_methodE3ELS4_3ELS4_3ELNS0_20block_scan_algorithmE0ELj4294967295EEENS1_25partition_config_selectorILNS1_17partition_subalgoE4EjNS0_10empty_typeEbEEZZNS1_14partition_implILS8_4ELb0ES6_15HIP_vector_typeIjLj2EENS0_17counting_iteratorIjlEEPS9_SG_NS0_5tupleIJPjSI_NS0_16reverse_iteratorISI_EEEEENSH_IJSG_SG_SG_EEES9_SI_JZNS1_25segmented_radix_sort_implINS0_14default_configELb0EPKlPlSQ_SR_N2at6native12_GLOBAL__N_18offset_tEEE10hipError_tPvRmT1_PNSt15iterator_traitsISZ_E10value_typeET2_T3_PNS10_IS15_E10value_typeET4_jRbjT5_S1B_jjP12ihipStream_tbEUljE_ZNSN_ISO_Lb0ESQ_SR_SQ_SR_SV_EESW_SX_SY_SZ_S13_S14_S15_S18_S19_jS1A_jS1B_S1B_jjS1D_bEUljE0_EEESW_SX_SY_S15_S19_S1B_T6_T7_T9_mT8_S1D_bDpT10_ENKUlT_T0_E_clISt17integral_constantIbLb0EES1R_EEDaS1M_S1N_EUlS1M_E_NS1_11comp_targetILNS1_3genE4ELNS1_11target_archE910ELNS1_3gpuE8ELNS1_3repE0EEENS1_30default_config_static_selectorELNS0_4arch9wavefront6targetE0EEEvSZ_,@function
_ZN7rocprim17ROCPRIM_400000_NS6detail17trampoline_kernelINS0_13select_configILj256ELj13ELNS0_17block_load_methodE3ELS4_3ELS4_3ELNS0_20block_scan_algorithmE0ELj4294967295EEENS1_25partition_config_selectorILNS1_17partition_subalgoE4EjNS0_10empty_typeEbEEZZNS1_14partition_implILS8_4ELb0ES6_15HIP_vector_typeIjLj2EENS0_17counting_iteratorIjlEEPS9_SG_NS0_5tupleIJPjSI_NS0_16reverse_iteratorISI_EEEEENSH_IJSG_SG_SG_EEES9_SI_JZNS1_25segmented_radix_sort_implINS0_14default_configELb0EPKlPlSQ_SR_N2at6native12_GLOBAL__N_18offset_tEEE10hipError_tPvRmT1_PNSt15iterator_traitsISZ_E10value_typeET2_T3_PNS10_IS15_E10value_typeET4_jRbjT5_S1B_jjP12ihipStream_tbEUljE_ZNSN_ISO_Lb0ESQ_SR_SQ_SR_SV_EESW_SX_SY_SZ_S13_S14_S15_S18_S19_jS1A_jS1B_S1B_jjS1D_bEUljE0_EEESW_SX_SY_S15_S19_S1B_T6_T7_T9_mT8_S1D_bDpT10_ENKUlT_T0_E_clISt17integral_constantIbLb0EES1R_EEDaS1M_S1N_EUlS1M_E_NS1_11comp_targetILNS1_3genE4ELNS1_11target_archE910ELNS1_3gpuE8ELNS1_3repE0EEENS1_30default_config_static_selectorELNS0_4arch9wavefront6targetE0EEEvSZ_: ; @_ZN7rocprim17ROCPRIM_400000_NS6detail17trampoline_kernelINS0_13select_configILj256ELj13ELNS0_17block_load_methodE3ELS4_3ELS4_3ELNS0_20block_scan_algorithmE0ELj4294967295EEENS1_25partition_config_selectorILNS1_17partition_subalgoE4EjNS0_10empty_typeEbEEZZNS1_14partition_implILS8_4ELb0ES6_15HIP_vector_typeIjLj2EENS0_17counting_iteratorIjlEEPS9_SG_NS0_5tupleIJPjSI_NS0_16reverse_iteratorISI_EEEEENSH_IJSG_SG_SG_EEES9_SI_JZNS1_25segmented_radix_sort_implINS0_14default_configELb0EPKlPlSQ_SR_N2at6native12_GLOBAL__N_18offset_tEEE10hipError_tPvRmT1_PNSt15iterator_traitsISZ_E10value_typeET2_T3_PNS10_IS15_E10value_typeET4_jRbjT5_S1B_jjP12ihipStream_tbEUljE_ZNSN_ISO_Lb0ESQ_SR_SQ_SR_SV_EESW_SX_SY_SZ_S13_S14_S15_S18_S19_jS1A_jS1B_S1B_jjS1D_bEUljE0_EEESW_SX_SY_S15_S19_S1B_T6_T7_T9_mT8_S1D_bDpT10_ENKUlT_T0_E_clISt17integral_constantIbLb0EES1R_EEDaS1M_S1N_EUlS1M_E_NS1_11comp_targetILNS1_3genE4ELNS1_11target_archE910ELNS1_3gpuE8ELNS1_3repE0EEENS1_30default_config_static_selectorELNS0_4arch9wavefront6targetE0EEEvSZ_
; %bb.0:
	.section	.rodata,"a",@progbits
	.p2align	6, 0x0
	.amdhsa_kernel _ZN7rocprim17ROCPRIM_400000_NS6detail17trampoline_kernelINS0_13select_configILj256ELj13ELNS0_17block_load_methodE3ELS4_3ELS4_3ELNS0_20block_scan_algorithmE0ELj4294967295EEENS1_25partition_config_selectorILNS1_17partition_subalgoE4EjNS0_10empty_typeEbEEZZNS1_14partition_implILS8_4ELb0ES6_15HIP_vector_typeIjLj2EENS0_17counting_iteratorIjlEEPS9_SG_NS0_5tupleIJPjSI_NS0_16reverse_iteratorISI_EEEEENSH_IJSG_SG_SG_EEES9_SI_JZNS1_25segmented_radix_sort_implINS0_14default_configELb0EPKlPlSQ_SR_N2at6native12_GLOBAL__N_18offset_tEEE10hipError_tPvRmT1_PNSt15iterator_traitsISZ_E10value_typeET2_T3_PNS10_IS15_E10value_typeET4_jRbjT5_S1B_jjP12ihipStream_tbEUljE_ZNSN_ISO_Lb0ESQ_SR_SQ_SR_SV_EESW_SX_SY_SZ_S13_S14_S15_S18_S19_jS1A_jS1B_S1B_jjS1D_bEUljE0_EEESW_SX_SY_S15_S19_S1B_T6_T7_T9_mT8_S1D_bDpT10_ENKUlT_T0_E_clISt17integral_constantIbLb0EES1R_EEDaS1M_S1N_EUlS1M_E_NS1_11comp_targetILNS1_3genE4ELNS1_11target_archE910ELNS1_3gpuE8ELNS1_3repE0EEENS1_30default_config_static_selectorELNS0_4arch9wavefront6targetE0EEEvSZ_
		.amdhsa_group_segment_fixed_size 0
		.amdhsa_private_segment_fixed_size 0
		.amdhsa_kernarg_size 176
		.amdhsa_user_sgpr_count 6
		.amdhsa_user_sgpr_private_segment_buffer 1
		.amdhsa_user_sgpr_dispatch_ptr 0
		.amdhsa_user_sgpr_queue_ptr 0
		.amdhsa_user_sgpr_kernarg_segment_ptr 1
		.amdhsa_user_sgpr_dispatch_id 0
		.amdhsa_user_sgpr_flat_scratch_init 0
		.amdhsa_user_sgpr_private_segment_size 0
		.amdhsa_wavefront_size32 1
		.amdhsa_uses_dynamic_stack 0
		.amdhsa_system_sgpr_private_segment_wavefront_offset 0
		.amdhsa_system_sgpr_workgroup_id_x 1
		.amdhsa_system_sgpr_workgroup_id_y 0
		.amdhsa_system_sgpr_workgroup_id_z 0
		.amdhsa_system_sgpr_workgroup_info 0
		.amdhsa_system_vgpr_workitem_id 0
		.amdhsa_next_free_vgpr 1
		.amdhsa_next_free_sgpr 1
		.amdhsa_reserve_vcc 0
		.amdhsa_reserve_flat_scratch 0
		.amdhsa_float_round_mode_32 0
		.amdhsa_float_round_mode_16_64 0
		.amdhsa_float_denorm_mode_32 3
		.amdhsa_float_denorm_mode_16_64 3
		.amdhsa_dx10_clamp 1
		.amdhsa_ieee_mode 1
		.amdhsa_fp16_overflow 0
		.amdhsa_workgroup_processor_mode 1
		.amdhsa_memory_ordered 1
		.amdhsa_forward_progress 1
		.amdhsa_shared_vgpr_count 0
		.amdhsa_exception_fp_ieee_invalid_op 0
		.amdhsa_exception_fp_denorm_src 0
		.amdhsa_exception_fp_ieee_div_zero 0
		.amdhsa_exception_fp_ieee_overflow 0
		.amdhsa_exception_fp_ieee_underflow 0
		.amdhsa_exception_fp_ieee_inexact 0
		.amdhsa_exception_int_div_zero 0
	.end_amdhsa_kernel
	.section	.text._ZN7rocprim17ROCPRIM_400000_NS6detail17trampoline_kernelINS0_13select_configILj256ELj13ELNS0_17block_load_methodE3ELS4_3ELS4_3ELNS0_20block_scan_algorithmE0ELj4294967295EEENS1_25partition_config_selectorILNS1_17partition_subalgoE4EjNS0_10empty_typeEbEEZZNS1_14partition_implILS8_4ELb0ES6_15HIP_vector_typeIjLj2EENS0_17counting_iteratorIjlEEPS9_SG_NS0_5tupleIJPjSI_NS0_16reverse_iteratorISI_EEEEENSH_IJSG_SG_SG_EEES9_SI_JZNS1_25segmented_radix_sort_implINS0_14default_configELb0EPKlPlSQ_SR_N2at6native12_GLOBAL__N_18offset_tEEE10hipError_tPvRmT1_PNSt15iterator_traitsISZ_E10value_typeET2_T3_PNS10_IS15_E10value_typeET4_jRbjT5_S1B_jjP12ihipStream_tbEUljE_ZNSN_ISO_Lb0ESQ_SR_SQ_SR_SV_EESW_SX_SY_SZ_S13_S14_S15_S18_S19_jS1A_jS1B_S1B_jjS1D_bEUljE0_EEESW_SX_SY_S15_S19_S1B_T6_T7_T9_mT8_S1D_bDpT10_ENKUlT_T0_E_clISt17integral_constantIbLb0EES1R_EEDaS1M_S1N_EUlS1M_E_NS1_11comp_targetILNS1_3genE4ELNS1_11target_archE910ELNS1_3gpuE8ELNS1_3repE0EEENS1_30default_config_static_selectorELNS0_4arch9wavefront6targetE0EEEvSZ_,"axG",@progbits,_ZN7rocprim17ROCPRIM_400000_NS6detail17trampoline_kernelINS0_13select_configILj256ELj13ELNS0_17block_load_methodE3ELS4_3ELS4_3ELNS0_20block_scan_algorithmE0ELj4294967295EEENS1_25partition_config_selectorILNS1_17partition_subalgoE4EjNS0_10empty_typeEbEEZZNS1_14partition_implILS8_4ELb0ES6_15HIP_vector_typeIjLj2EENS0_17counting_iteratorIjlEEPS9_SG_NS0_5tupleIJPjSI_NS0_16reverse_iteratorISI_EEEEENSH_IJSG_SG_SG_EEES9_SI_JZNS1_25segmented_radix_sort_implINS0_14default_configELb0EPKlPlSQ_SR_N2at6native12_GLOBAL__N_18offset_tEEE10hipError_tPvRmT1_PNSt15iterator_traitsISZ_E10value_typeET2_T3_PNS10_IS15_E10value_typeET4_jRbjT5_S1B_jjP12ihipStream_tbEUljE_ZNSN_ISO_Lb0ESQ_SR_SQ_SR_SV_EESW_SX_SY_SZ_S13_S14_S15_S18_S19_jS1A_jS1B_S1B_jjS1D_bEUljE0_EEESW_SX_SY_S15_S19_S1B_T6_T7_T9_mT8_S1D_bDpT10_ENKUlT_T0_E_clISt17integral_constantIbLb0EES1R_EEDaS1M_S1N_EUlS1M_E_NS1_11comp_targetILNS1_3genE4ELNS1_11target_archE910ELNS1_3gpuE8ELNS1_3repE0EEENS1_30default_config_static_selectorELNS0_4arch9wavefront6targetE0EEEvSZ_,comdat
.Lfunc_end739:
	.size	_ZN7rocprim17ROCPRIM_400000_NS6detail17trampoline_kernelINS0_13select_configILj256ELj13ELNS0_17block_load_methodE3ELS4_3ELS4_3ELNS0_20block_scan_algorithmE0ELj4294967295EEENS1_25partition_config_selectorILNS1_17partition_subalgoE4EjNS0_10empty_typeEbEEZZNS1_14partition_implILS8_4ELb0ES6_15HIP_vector_typeIjLj2EENS0_17counting_iteratorIjlEEPS9_SG_NS0_5tupleIJPjSI_NS0_16reverse_iteratorISI_EEEEENSH_IJSG_SG_SG_EEES9_SI_JZNS1_25segmented_radix_sort_implINS0_14default_configELb0EPKlPlSQ_SR_N2at6native12_GLOBAL__N_18offset_tEEE10hipError_tPvRmT1_PNSt15iterator_traitsISZ_E10value_typeET2_T3_PNS10_IS15_E10value_typeET4_jRbjT5_S1B_jjP12ihipStream_tbEUljE_ZNSN_ISO_Lb0ESQ_SR_SQ_SR_SV_EESW_SX_SY_SZ_S13_S14_S15_S18_S19_jS1A_jS1B_S1B_jjS1D_bEUljE0_EEESW_SX_SY_S15_S19_S1B_T6_T7_T9_mT8_S1D_bDpT10_ENKUlT_T0_E_clISt17integral_constantIbLb0EES1R_EEDaS1M_S1N_EUlS1M_E_NS1_11comp_targetILNS1_3genE4ELNS1_11target_archE910ELNS1_3gpuE8ELNS1_3repE0EEENS1_30default_config_static_selectorELNS0_4arch9wavefront6targetE0EEEvSZ_, .Lfunc_end739-_ZN7rocprim17ROCPRIM_400000_NS6detail17trampoline_kernelINS0_13select_configILj256ELj13ELNS0_17block_load_methodE3ELS4_3ELS4_3ELNS0_20block_scan_algorithmE0ELj4294967295EEENS1_25partition_config_selectorILNS1_17partition_subalgoE4EjNS0_10empty_typeEbEEZZNS1_14partition_implILS8_4ELb0ES6_15HIP_vector_typeIjLj2EENS0_17counting_iteratorIjlEEPS9_SG_NS0_5tupleIJPjSI_NS0_16reverse_iteratorISI_EEEEENSH_IJSG_SG_SG_EEES9_SI_JZNS1_25segmented_radix_sort_implINS0_14default_configELb0EPKlPlSQ_SR_N2at6native12_GLOBAL__N_18offset_tEEE10hipError_tPvRmT1_PNSt15iterator_traitsISZ_E10value_typeET2_T3_PNS10_IS15_E10value_typeET4_jRbjT5_S1B_jjP12ihipStream_tbEUljE_ZNSN_ISO_Lb0ESQ_SR_SQ_SR_SV_EESW_SX_SY_SZ_S13_S14_S15_S18_S19_jS1A_jS1B_S1B_jjS1D_bEUljE0_EEESW_SX_SY_S15_S19_S1B_T6_T7_T9_mT8_S1D_bDpT10_ENKUlT_T0_E_clISt17integral_constantIbLb0EES1R_EEDaS1M_S1N_EUlS1M_E_NS1_11comp_targetILNS1_3genE4ELNS1_11target_archE910ELNS1_3gpuE8ELNS1_3repE0EEENS1_30default_config_static_selectorELNS0_4arch9wavefront6targetE0EEEvSZ_
                                        ; -- End function
	.set _ZN7rocprim17ROCPRIM_400000_NS6detail17trampoline_kernelINS0_13select_configILj256ELj13ELNS0_17block_load_methodE3ELS4_3ELS4_3ELNS0_20block_scan_algorithmE0ELj4294967295EEENS1_25partition_config_selectorILNS1_17partition_subalgoE4EjNS0_10empty_typeEbEEZZNS1_14partition_implILS8_4ELb0ES6_15HIP_vector_typeIjLj2EENS0_17counting_iteratorIjlEEPS9_SG_NS0_5tupleIJPjSI_NS0_16reverse_iteratorISI_EEEEENSH_IJSG_SG_SG_EEES9_SI_JZNS1_25segmented_radix_sort_implINS0_14default_configELb0EPKlPlSQ_SR_N2at6native12_GLOBAL__N_18offset_tEEE10hipError_tPvRmT1_PNSt15iterator_traitsISZ_E10value_typeET2_T3_PNS10_IS15_E10value_typeET4_jRbjT5_S1B_jjP12ihipStream_tbEUljE_ZNSN_ISO_Lb0ESQ_SR_SQ_SR_SV_EESW_SX_SY_SZ_S13_S14_S15_S18_S19_jS1A_jS1B_S1B_jjS1D_bEUljE0_EEESW_SX_SY_S15_S19_S1B_T6_T7_T9_mT8_S1D_bDpT10_ENKUlT_T0_E_clISt17integral_constantIbLb0EES1R_EEDaS1M_S1N_EUlS1M_E_NS1_11comp_targetILNS1_3genE4ELNS1_11target_archE910ELNS1_3gpuE8ELNS1_3repE0EEENS1_30default_config_static_selectorELNS0_4arch9wavefront6targetE0EEEvSZ_.num_vgpr, 0
	.set _ZN7rocprim17ROCPRIM_400000_NS6detail17trampoline_kernelINS0_13select_configILj256ELj13ELNS0_17block_load_methodE3ELS4_3ELS4_3ELNS0_20block_scan_algorithmE0ELj4294967295EEENS1_25partition_config_selectorILNS1_17partition_subalgoE4EjNS0_10empty_typeEbEEZZNS1_14partition_implILS8_4ELb0ES6_15HIP_vector_typeIjLj2EENS0_17counting_iteratorIjlEEPS9_SG_NS0_5tupleIJPjSI_NS0_16reverse_iteratorISI_EEEEENSH_IJSG_SG_SG_EEES9_SI_JZNS1_25segmented_radix_sort_implINS0_14default_configELb0EPKlPlSQ_SR_N2at6native12_GLOBAL__N_18offset_tEEE10hipError_tPvRmT1_PNSt15iterator_traitsISZ_E10value_typeET2_T3_PNS10_IS15_E10value_typeET4_jRbjT5_S1B_jjP12ihipStream_tbEUljE_ZNSN_ISO_Lb0ESQ_SR_SQ_SR_SV_EESW_SX_SY_SZ_S13_S14_S15_S18_S19_jS1A_jS1B_S1B_jjS1D_bEUljE0_EEESW_SX_SY_S15_S19_S1B_T6_T7_T9_mT8_S1D_bDpT10_ENKUlT_T0_E_clISt17integral_constantIbLb0EES1R_EEDaS1M_S1N_EUlS1M_E_NS1_11comp_targetILNS1_3genE4ELNS1_11target_archE910ELNS1_3gpuE8ELNS1_3repE0EEENS1_30default_config_static_selectorELNS0_4arch9wavefront6targetE0EEEvSZ_.num_agpr, 0
	.set _ZN7rocprim17ROCPRIM_400000_NS6detail17trampoline_kernelINS0_13select_configILj256ELj13ELNS0_17block_load_methodE3ELS4_3ELS4_3ELNS0_20block_scan_algorithmE0ELj4294967295EEENS1_25partition_config_selectorILNS1_17partition_subalgoE4EjNS0_10empty_typeEbEEZZNS1_14partition_implILS8_4ELb0ES6_15HIP_vector_typeIjLj2EENS0_17counting_iteratorIjlEEPS9_SG_NS0_5tupleIJPjSI_NS0_16reverse_iteratorISI_EEEEENSH_IJSG_SG_SG_EEES9_SI_JZNS1_25segmented_radix_sort_implINS0_14default_configELb0EPKlPlSQ_SR_N2at6native12_GLOBAL__N_18offset_tEEE10hipError_tPvRmT1_PNSt15iterator_traitsISZ_E10value_typeET2_T3_PNS10_IS15_E10value_typeET4_jRbjT5_S1B_jjP12ihipStream_tbEUljE_ZNSN_ISO_Lb0ESQ_SR_SQ_SR_SV_EESW_SX_SY_SZ_S13_S14_S15_S18_S19_jS1A_jS1B_S1B_jjS1D_bEUljE0_EEESW_SX_SY_S15_S19_S1B_T6_T7_T9_mT8_S1D_bDpT10_ENKUlT_T0_E_clISt17integral_constantIbLb0EES1R_EEDaS1M_S1N_EUlS1M_E_NS1_11comp_targetILNS1_3genE4ELNS1_11target_archE910ELNS1_3gpuE8ELNS1_3repE0EEENS1_30default_config_static_selectorELNS0_4arch9wavefront6targetE0EEEvSZ_.numbered_sgpr, 0
	.set _ZN7rocprim17ROCPRIM_400000_NS6detail17trampoline_kernelINS0_13select_configILj256ELj13ELNS0_17block_load_methodE3ELS4_3ELS4_3ELNS0_20block_scan_algorithmE0ELj4294967295EEENS1_25partition_config_selectorILNS1_17partition_subalgoE4EjNS0_10empty_typeEbEEZZNS1_14partition_implILS8_4ELb0ES6_15HIP_vector_typeIjLj2EENS0_17counting_iteratorIjlEEPS9_SG_NS0_5tupleIJPjSI_NS0_16reverse_iteratorISI_EEEEENSH_IJSG_SG_SG_EEES9_SI_JZNS1_25segmented_radix_sort_implINS0_14default_configELb0EPKlPlSQ_SR_N2at6native12_GLOBAL__N_18offset_tEEE10hipError_tPvRmT1_PNSt15iterator_traitsISZ_E10value_typeET2_T3_PNS10_IS15_E10value_typeET4_jRbjT5_S1B_jjP12ihipStream_tbEUljE_ZNSN_ISO_Lb0ESQ_SR_SQ_SR_SV_EESW_SX_SY_SZ_S13_S14_S15_S18_S19_jS1A_jS1B_S1B_jjS1D_bEUljE0_EEESW_SX_SY_S15_S19_S1B_T6_T7_T9_mT8_S1D_bDpT10_ENKUlT_T0_E_clISt17integral_constantIbLb0EES1R_EEDaS1M_S1N_EUlS1M_E_NS1_11comp_targetILNS1_3genE4ELNS1_11target_archE910ELNS1_3gpuE8ELNS1_3repE0EEENS1_30default_config_static_selectorELNS0_4arch9wavefront6targetE0EEEvSZ_.num_named_barrier, 0
	.set _ZN7rocprim17ROCPRIM_400000_NS6detail17trampoline_kernelINS0_13select_configILj256ELj13ELNS0_17block_load_methodE3ELS4_3ELS4_3ELNS0_20block_scan_algorithmE0ELj4294967295EEENS1_25partition_config_selectorILNS1_17partition_subalgoE4EjNS0_10empty_typeEbEEZZNS1_14partition_implILS8_4ELb0ES6_15HIP_vector_typeIjLj2EENS0_17counting_iteratorIjlEEPS9_SG_NS0_5tupleIJPjSI_NS0_16reverse_iteratorISI_EEEEENSH_IJSG_SG_SG_EEES9_SI_JZNS1_25segmented_radix_sort_implINS0_14default_configELb0EPKlPlSQ_SR_N2at6native12_GLOBAL__N_18offset_tEEE10hipError_tPvRmT1_PNSt15iterator_traitsISZ_E10value_typeET2_T3_PNS10_IS15_E10value_typeET4_jRbjT5_S1B_jjP12ihipStream_tbEUljE_ZNSN_ISO_Lb0ESQ_SR_SQ_SR_SV_EESW_SX_SY_SZ_S13_S14_S15_S18_S19_jS1A_jS1B_S1B_jjS1D_bEUljE0_EEESW_SX_SY_S15_S19_S1B_T6_T7_T9_mT8_S1D_bDpT10_ENKUlT_T0_E_clISt17integral_constantIbLb0EES1R_EEDaS1M_S1N_EUlS1M_E_NS1_11comp_targetILNS1_3genE4ELNS1_11target_archE910ELNS1_3gpuE8ELNS1_3repE0EEENS1_30default_config_static_selectorELNS0_4arch9wavefront6targetE0EEEvSZ_.private_seg_size, 0
	.set _ZN7rocprim17ROCPRIM_400000_NS6detail17trampoline_kernelINS0_13select_configILj256ELj13ELNS0_17block_load_methodE3ELS4_3ELS4_3ELNS0_20block_scan_algorithmE0ELj4294967295EEENS1_25partition_config_selectorILNS1_17partition_subalgoE4EjNS0_10empty_typeEbEEZZNS1_14partition_implILS8_4ELb0ES6_15HIP_vector_typeIjLj2EENS0_17counting_iteratorIjlEEPS9_SG_NS0_5tupleIJPjSI_NS0_16reverse_iteratorISI_EEEEENSH_IJSG_SG_SG_EEES9_SI_JZNS1_25segmented_radix_sort_implINS0_14default_configELb0EPKlPlSQ_SR_N2at6native12_GLOBAL__N_18offset_tEEE10hipError_tPvRmT1_PNSt15iterator_traitsISZ_E10value_typeET2_T3_PNS10_IS15_E10value_typeET4_jRbjT5_S1B_jjP12ihipStream_tbEUljE_ZNSN_ISO_Lb0ESQ_SR_SQ_SR_SV_EESW_SX_SY_SZ_S13_S14_S15_S18_S19_jS1A_jS1B_S1B_jjS1D_bEUljE0_EEESW_SX_SY_S15_S19_S1B_T6_T7_T9_mT8_S1D_bDpT10_ENKUlT_T0_E_clISt17integral_constantIbLb0EES1R_EEDaS1M_S1N_EUlS1M_E_NS1_11comp_targetILNS1_3genE4ELNS1_11target_archE910ELNS1_3gpuE8ELNS1_3repE0EEENS1_30default_config_static_selectorELNS0_4arch9wavefront6targetE0EEEvSZ_.uses_vcc, 0
	.set _ZN7rocprim17ROCPRIM_400000_NS6detail17trampoline_kernelINS0_13select_configILj256ELj13ELNS0_17block_load_methodE3ELS4_3ELS4_3ELNS0_20block_scan_algorithmE0ELj4294967295EEENS1_25partition_config_selectorILNS1_17partition_subalgoE4EjNS0_10empty_typeEbEEZZNS1_14partition_implILS8_4ELb0ES6_15HIP_vector_typeIjLj2EENS0_17counting_iteratorIjlEEPS9_SG_NS0_5tupleIJPjSI_NS0_16reverse_iteratorISI_EEEEENSH_IJSG_SG_SG_EEES9_SI_JZNS1_25segmented_radix_sort_implINS0_14default_configELb0EPKlPlSQ_SR_N2at6native12_GLOBAL__N_18offset_tEEE10hipError_tPvRmT1_PNSt15iterator_traitsISZ_E10value_typeET2_T3_PNS10_IS15_E10value_typeET4_jRbjT5_S1B_jjP12ihipStream_tbEUljE_ZNSN_ISO_Lb0ESQ_SR_SQ_SR_SV_EESW_SX_SY_SZ_S13_S14_S15_S18_S19_jS1A_jS1B_S1B_jjS1D_bEUljE0_EEESW_SX_SY_S15_S19_S1B_T6_T7_T9_mT8_S1D_bDpT10_ENKUlT_T0_E_clISt17integral_constantIbLb0EES1R_EEDaS1M_S1N_EUlS1M_E_NS1_11comp_targetILNS1_3genE4ELNS1_11target_archE910ELNS1_3gpuE8ELNS1_3repE0EEENS1_30default_config_static_selectorELNS0_4arch9wavefront6targetE0EEEvSZ_.uses_flat_scratch, 0
	.set _ZN7rocprim17ROCPRIM_400000_NS6detail17trampoline_kernelINS0_13select_configILj256ELj13ELNS0_17block_load_methodE3ELS4_3ELS4_3ELNS0_20block_scan_algorithmE0ELj4294967295EEENS1_25partition_config_selectorILNS1_17partition_subalgoE4EjNS0_10empty_typeEbEEZZNS1_14partition_implILS8_4ELb0ES6_15HIP_vector_typeIjLj2EENS0_17counting_iteratorIjlEEPS9_SG_NS0_5tupleIJPjSI_NS0_16reverse_iteratorISI_EEEEENSH_IJSG_SG_SG_EEES9_SI_JZNS1_25segmented_radix_sort_implINS0_14default_configELb0EPKlPlSQ_SR_N2at6native12_GLOBAL__N_18offset_tEEE10hipError_tPvRmT1_PNSt15iterator_traitsISZ_E10value_typeET2_T3_PNS10_IS15_E10value_typeET4_jRbjT5_S1B_jjP12ihipStream_tbEUljE_ZNSN_ISO_Lb0ESQ_SR_SQ_SR_SV_EESW_SX_SY_SZ_S13_S14_S15_S18_S19_jS1A_jS1B_S1B_jjS1D_bEUljE0_EEESW_SX_SY_S15_S19_S1B_T6_T7_T9_mT8_S1D_bDpT10_ENKUlT_T0_E_clISt17integral_constantIbLb0EES1R_EEDaS1M_S1N_EUlS1M_E_NS1_11comp_targetILNS1_3genE4ELNS1_11target_archE910ELNS1_3gpuE8ELNS1_3repE0EEENS1_30default_config_static_selectorELNS0_4arch9wavefront6targetE0EEEvSZ_.has_dyn_sized_stack, 0
	.set _ZN7rocprim17ROCPRIM_400000_NS6detail17trampoline_kernelINS0_13select_configILj256ELj13ELNS0_17block_load_methodE3ELS4_3ELS4_3ELNS0_20block_scan_algorithmE0ELj4294967295EEENS1_25partition_config_selectorILNS1_17partition_subalgoE4EjNS0_10empty_typeEbEEZZNS1_14partition_implILS8_4ELb0ES6_15HIP_vector_typeIjLj2EENS0_17counting_iteratorIjlEEPS9_SG_NS0_5tupleIJPjSI_NS0_16reverse_iteratorISI_EEEEENSH_IJSG_SG_SG_EEES9_SI_JZNS1_25segmented_radix_sort_implINS0_14default_configELb0EPKlPlSQ_SR_N2at6native12_GLOBAL__N_18offset_tEEE10hipError_tPvRmT1_PNSt15iterator_traitsISZ_E10value_typeET2_T3_PNS10_IS15_E10value_typeET4_jRbjT5_S1B_jjP12ihipStream_tbEUljE_ZNSN_ISO_Lb0ESQ_SR_SQ_SR_SV_EESW_SX_SY_SZ_S13_S14_S15_S18_S19_jS1A_jS1B_S1B_jjS1D_bEUljE0_EEESW_SX_SY_S15_S19_S1B_T6_T7_T9_mT8_S1D_bDpT10_ENKUlT_T0_E_clISt17integral_constantIbLb0EES1R_EEDaS1M_S1N_EUlS1M_E_NS1_11comp_targetILNS1_3genE4ELNS1_11target_archE910ELNS1_3gpuE8ELNS1_3repE0EEENS1_30default_config_static_selectorELNS0_4arch9wavefront6targetE0EEEvSZ_.has_recursion, 0
	.set _ZN7rocprim17ROCPRIM_400000_NS6detail17trampoline_kernelINS0_13select_configILj256ELj13ELNS0_17block_load_methodE3ELS4_3ELS4_3ELNS0_20block_scan_algorithmE0ELj4294967295EEENS1_25partition_config_selectorILNS1_17partition_subalgoE4EjNS0_10empty_typeEbEEZZNS1_14partition_implILS8_4ELb0ES6_15HIP_vector_typeIjLj2EENS0_17counting_iteratorIjlEEPS9_SG_NS0_5tupleIJPjSI_NS0_16reverse_iteratorISI_EEEEENSH_IJSG_SG_SG_EEES9_SI_JZNS1_25segmented_radix_sort_implINS0_14default_configELb0EPKlPlSQ_SR_N2at6native12_GLOBAL__N_18offset_tEEE10hipError_tPvRmT1_PNSt15iterator_traitsISZ_E10value_typeET2_T3_PNS10_IS15_E10value_typeET4_jRbjT5_S1B_jjP12ihipStream_tbEUljE_ZNSN_ISO_Lb0ESQ_SR_SQ_SR_SV_EESW_SX_SY_SZ_S13_S14_S15_S18_S19_jS1A_jS1B_S1B_jjS1D_bEUljE0_EEESW_SX_SY_S15_S19_S1B_T6_T7_T9_mT8_S1D_bDpT10_ENKUlT_T0_E_clISt17integral_constantIbLb0EES1R_EEDaS1M_S1N_EUlS1M_E_NS1_11comp_targetILNS1_3genE4ELNS1_11target_archE910ELNS1_3gpuE8ELNS1_3repE0EEENS1_30default_config_static_selectorELNS0_4arch9wavefront6targetE0EEEvSZ_.has_indirect_call, 0
	.section	.AMDGPU.csdata,"",@progbits
; Kernel info:
; codeLenInByte = 0
; TotalNumSgprs: 0
; NumVgprs: 0
; ScratchSize: 0
; MemoryBound: 0
; FloatMode: 240
; IeeeMode: 1
; LDSByteSize: 0 bytes/workgroup (compile time only)
; SGPRBlocks: 0
; VGPRBlocks: 0
; NumSGPRsForWavesPerEU: 1
; NumVGPRsForWavesPerEU: 1
; Occupancy: 16
; WaveLimiterHint : 0
; COMPUTE_PGM_RSRC2:SCRATCH_EN: 0
; COMPUTE_PGM_RSRC2:USER_SGPR: 6
; COMPUTE_PGM_RSRC2:TRAP_HANDLER: 0
; COMPUTE_PGM_RSRC2:TGID_X_EN: 1
; COMPUTE_PGM_RSRC2:TGID_Y_EN: 0
; COMPUTE_PGM_RSRC2:TGID_Z_EN: 0
; COMPUTE_PGM_RSRC2:TIDIG_COMP_CNT: 0
	.section	.text._ZN7rocprim17ROCPRIM_400000_NS6detail17trampoline_kernelINS0_13select_configILj256ELj13ELNS0_17block_load_methodE3ELS4_3ELS4_3ELNS0_20block_scan_algorithmE0ELj4294967295EEENS1_25partition_config_selectorILNS1_17partition_subalgoE4EjNS0_10empty_typeEbEEZZNS1_14partition_implILS8_4ELb0ES6_15HIP_vector_typeIjLj2EENS0_17counting_iteratorIjlEEPS9_SG_NS0_5tupleIJPjSI_NS0_16reverse_iteratorISI_EEEEENSH_IJSG_SG_SG_EEES9_SI_JZNS1_25segmented_radix_sort_implINS0_14default_configELb0EPKlPlSQ_SR_N2at6native12_GLOBAL__N_18offset_tEEE10hipError_tPvRmT1_PNSt15iterator_traitsISZ_E10value_typeET2_T3_PNS10_IS15_E10value_typeET4_jRbjT5_S1B_jjP12ihipStream_tbEUljE_ZNSN_ISO_Lb0ESQ_SR_SQ_SR_SV_EESW_SX_SY_SZ_S13_S14_S15_S18_S19_jS1A_jS1B_S1B_jjS1D_bEUljE0_EEESW_SX_SY_S15_S19_S1B_T6_T7_T9_mT8_S1D_bDpT10_ENKUlT_T0_E_clISt17integral_constantIbLb0EES1R_EEDaS1M_S1N_EUlS1M_E_NS1_11comp_targetILNS1_3genE3ELNS1_11target_archE908ELNS1_3gpuE7ELNS1_3repE0EEENS1_30default_config_static_selectorELNS0_4arch9wavefront6targetE0EEEvSZ_,"axG",@progbits,_ZN7rocprim17ROCPRIM_400000_NS6detail17trampoline_kernelINS0_13select_configILj256ELj13ELNS0_17block_load_methodE3ELS4_3ELS4_3ELNS0_20block_scan_algorithmE0ELj4294967295EEENS1_25partition_config_selectorILNS1_17partition_subalgoE4EjNS0_10empty_typeEbEEZZNS1_14partition_implILS8_4ELb0ES6_15HIP_vector_typeIjLj2EENS0_17counting_iteratorIjlEEPS9_SG_NS0_5tupleIJPjSI_NS0_16reverse_iteratorISI_EEEEENSH_IJSG_SG_SG_EEES9_SI_JZNS1_25segmented_radix_sort_implINS0_14default_configELb0EPKlPlSQ_SR_N2at6native12_GLOBAL__N_18offset_tEEE10hipError_tPvRmT1_PNSt15iterator_traitsISZ_E10value_typeET2_T3_PNS10_IS15_E10value_typeET4_jRbjT5_S1B_jjP12ihipStream_tbEUljE_ZNSN_ISO_Lb0ESQ_SR_SQ_SR_SV_EESW_SX_SY_SZ_S13_S14_S15_S18_S19_jS1A_jS1B_S1B_jjS1D_bEUljE0_EEESW_SX_SY_S15_S19_S1B_T6_T7_T9_mT8_S1D_bDpT10_ENKUlT_T0_E_clISt17integral_constantIbLb0EES1R_EEDaS1M_S1N_EUlS1M_E_NS1_11comp_targetILNS1_3genE3ELNS1_11target_archE908ELNS1_3gpuE7ELNS1_3repE0EEENS1_30default_config_static_selectorELNS0_4arch9wavefront6targetE0EEEvSZ_,comdat
	.globl	_ZN7rocprim17ROCPRIM_400000_NS6detail17trampoline_kernelINS0_13select_configILj256ELj13ELNS0_17block_load_methodE3ELS4_3ELS4_3ELNS0_20block_scan_algorithmE0ELj4294967295EEENS1_25partition_config_selectorILNS1_17partition_subalgoE4EjNS0_10empty_typeEbEEZZNS1_14partition_implILS8_4ELb0ES6_15HIP_vector_typeIjLj2EENS0_17counting_iteratorIjlEEPS9_SG_NS0_5tupleIJPjSI_NS0_16reverse_iteratorISI_EEEEENSH_IJSG_SG_SG_EEES9_SI_JZNS1_25segmented_radix_sort_implINS0_14default_configELb0EPKlPlSQ_SR_N2at6native12_GLOBAL__N_18offset_tEEE10hipError_tPvRmT1_PNSt15iterator_traitsISZ_E10value_typeET2_T3_PNS10_IS15_E10value_typeET4_jRbjT5_S1B_jjP12ihipStream_tbEUljE_ZNSN_ISO_Lb0ESQ_SR_SQ_SR_SV_EESW_SX_SY_SZ_S13_S14_S15_S18_S19_jS1A_jS1B_S1B_jjS1D_bEUljE0_EEESW_SX_SY_S15_S19_S1B_T6_T7_T9_mT8_S1D_bDpT10_ENKUlT_T0_E_clISt17integral_constantIbLb0EES1R_EEDaS1M_S1N_EUlS1M_E_NS1_11comp_targetILNS1_3genE3ELNS1_11target_archE908ELNS1_3gpuE7ELNS1_3repE0EEENS1_30default_config_static_selectorELNS0_4arch9wavefront6targetE0EEEvSZ_ ; -- Begin function _ZN7rocprim17ROCPRIM_400000_NS6detail17trampoline_kernelINS0_13select_configILj256ELj13ELNS0_17block_load_methodE3ELS4_3ELS4_3ELNS0_20block_scan_algorithmE0ELj4294967295EEENS1_25partition_config_selectorILNS1_17partition_subalgoE4EjNS0_10empty_typeEbEEZZNS1_14partition_implILS8_4ELb0ES6_15HIP_vector_typeIjLj2EENS0_17counting_iteratorIjlEEPS9_SG_NS0_5tupleIJPjSI_NS0_16reverse_iteratorISI_EEEEENSH_IJSG_SG_SG_EEES9_SI_JZNS1_25segmented_radix_sort_implINS0_14default_configELb0EPKlPlSQ_SR_N2at6native12_GLOBAL__N_18offset_tEEE10hipError_tPvRmT1_PNSt15iterator_traitsISZ_E10value_typeET2_T3_PNS10_IS15_E10value_typeET4_jRbjT5_S1B_jjP12ihipStream_tbEUljE_ZNSN_ISO_Lb0ESQ_SR_SQ_SR_SV_EESW_SX_SY_SZ_S13_S14_S15_S18_S19_jS1A_jS1B_S1B_jjS1D_bEUljE0_EEESW_SX_SY_S15_S19_S1B_T6_T7_T9_mT8_S1D_bDpT10_ENKUlT_T0_E_clISt17integral_constantIbLb0EES1R_EEDaS1M_S1N_EUlS1M_E_NS1_11comp_targetILNS1_3genE3ELNS1_11target_archE908ELNS1_3gpuE7ELNS1_3repE0EEENS1_30default_config_static_selectorELNS0_4arch9wavefront6targetE0EEEvSZ_
	.p2align	8
	.type	_ZN7rocprim17ROCPRIM_400000_NS6detail17trampoline_kernelINS0_13select_configILj256ELj13ELNS0_17block_load_methodE3ELS4_3ELS4_3ELNS0_20block_scan_algorithmE0ELj4294967295EEENS1_25partition_config_selectorILNS1_17partition_subalgoE4EjNS0_10empty_typeEbEEZZNS1_14partition_implILS8_4ELb0ES6_15HIP_vector_typeIjLj2EENS0_17counting_iteratorIjlEEPS9_SG_NS0_5tupleIJPjSI_NS0_16reverse_iteratorISI_EEEEENSH_IJSG_SG_SG_EEES9_SI_JZNS1_25segmented_radix_sort_implINS0_14default_configELb0EPKlPlSQ_SR_N2at6native12_GLOBAL__N_18offset_tEEE10hipError_tPvRmT1_PNSt15iterator_traitsISZ_E10value_typeET2_T3_PNS10_IS15_E10value_typeET4_jRbjT5_S1B_jjP12ihipStream_tbEUljE_ZNSN_ISO_Lb0ESQ_SR_SQ_SR_SV_EESW_SX_SY_SZ_S13_S14_S15_S18_S19_jS1A_jS1B_S1B_jjS1D_bEUljE0_EEESW_SX_SY_S15_S19_S1B_T6_T7_T9_mT8_S1D_bDpT10_ENKUlT_T0_E_clISt17integral_constantIbLb0EES1R_EEDaS1M_S1N_EUlS1M_E_NS1_11comp_targetILNS1_3genE3ELNS1_11target_archE908ELNS1_3gpuE7ELNS1_3repE0EEENS1_30default_config_static_selectorELNS0_4arch9wavefront6targetE0EEEvSZ_,@function
_ZN7rocprim17ROCPRIM_400000_NS6detail17trampoline_kernelINS0_13select_configILj256ELj13ELNS0_17block_load_methodE3ELS4_3ELS4_3ELNS0_20block_scan_algorithmE0ELj4294967295EEENS1_25partition_config_selectorILNS1_17partition_subalgoE4EjNS0_10empty_typeEbEEZZNS1_14partition_implILS8_4ELb0ES6_15HIP_vector_typeIjLj2EENS0_17counting_iteratorIjlEEPS9_SG_NS0_5tupleIJPjSI_NS0_16reverse_iteratorISI_EEEEENSH_IJSG_SG_SG_EEES9_SI_JZNS1_25segmented_radix_sort_implINS0_14default_configELb0EPKlPlSQ_SR_N2at6native12_GLOBAL__N_18offset_tEEE10hipError_tPvRmT1_PNSt15iterator_traitsISZ_E10value_typeET2_T3_PNS10_IS15_E10value_typeET4_jRbjT5_S1B_jjP12ihipStream_tbEUljE_ZNSN_ISO_Lb0ESQ_SR_SQ_SR_SV_EESW_SX_SY_SZ_S13_S14_S15_S18_S19_jS1A_jS1B_S1B_jjS1D_bEUljE0_EEESW_SX_SY_S15_S19_S1B_T6_T7_T9_mT8_S1D_bDpT10_ENKUlT_T0_E_clISt17integral_constantIbLb0EES1R_EEDaS1M_S1N_EUlS1M_E_NS1_11comp_targetILNS1_3genE3ELNS1_11target_archE908ELNS1_3gpuE7ELNS1_3repE0EEENS1_30default_config_static_selectorELNS0_4arch9wavefront6targetE0EEEvSZ_: ; @_ZN7rocprim17ROCPRIM_400000_NS6detail17trampoline_kernelINS0_13select_configILj256ELj13ELNS0_17block_load_methodE3ELS4_3ELS4_3ELNS0_20block_scan_algorithmE0ELj4294967295EEENS1_25partition_config_selectorILNS1_17partition_subalgoE4EjNS0_10empty_typeEbEEZZNS1_14partition_implILS8_4ELb0ES6_15HIP_vector_typeIjLj2EENS0_17counting_iteratorIjlEEPS9_SG_NS0_5tupleIJPjSI_NS0_16reverse_iteratorISI_EEEEENSH_IJSG_SG_SG_EEES9_SI_JZNS1_25segmented_radix_sort_implINS0_14default_configELb0EPKlPlSQ_SR_N2at6native12_GLOBAL__N_18offset_tEEE10hipError_tPvRmT1_PNSt15iterator_traitsISZ_E10value_typeET2_T3_PNS10_IS15_E10value_typeET4_jRbjT5_S1B_jjP12ihipStream_tbEUljE_ZNSN_ISO_Lb0ESQ_SR_SQ_SR_SV_EESW_SX_SY_SZ_S13_S14_S15_S18_S19_jS1A_jS1B_S1B_jjS1D_bEUljE0_EEESW_SX_SY_S15_S19_S1B_T6_T7_T9_mT8_S1D_bDpT10_ENKUlT_T0_E_clISt17integral_constantIbLb0EES1R_EEDaS1M_S1N_EUlS1M_E_NS1_11comp_targetILNS1_3genE3ELNS1_11target_archE908ELNS1_3gpuE7ELNS1_3repE0EEENS1_30default_config_static_selectorELNS0_4arch9wavefront6targetE0EEEvSZ_
; %bb.0:
	.section	.rodata,"a",@progbits
	.p2align	6, 0x0
	.amdhsa_kernel _ZN7rocprim17ROCPRIM_400000_NS6detail17trampoline_kernelINS0_13select_configILj256ELj13ELNS0_17block_load_methodE3ELS4_3ELS4_3ELNS0_20block_scan_algorithmE0ELj4294967295EEENS1_25partition_config_selectorILNS1_17partition_subalgoE4EjNS0_10empty_typeEbEEZZNS1_14partition_implILS8_4ELb0ES6_15HIP_vector_typeIjLj2EENS0_17counting_iteratorIjlEEPS9_SG_NS0_5tupleIJPjSI_NS0_16reverse_iteratorISI_EEEEENSH_IJSG_SG_SG_EEES9_SI_JZNS1_25segmented_radix_sort_implINS0_14default_configELb0EPKlPlSQ_SR_N2at6native12_GLOBAL__N_18offset_tEEE10hipError_tPvRmT1_PNSt15iterator_traitsISZ_E10value_typeET2_T3_PNS10_IS15_E10value_typeET4_jRbjT5_S1B_jjP12ihipStream_tbEUljE_ZNSN_ISO_Lb0ESQ_SR_SQ_SR_SV_EESW_SX_SY_SZ_S13_S14_S15_S18_S19_jS1A_jS1B_S1B_jjS1D_bEUljE0_EEESW_SX_SY_S15_S19_S1B_T6_T7_T9_mT8_S1D_bDpT10_ENKUlT_T0_E_clISt17integral_constantIbLb0EES1R_EEDaS1M_S1N_EUlS1M_E_NS1_11comp_targetILNS1_3genE3ELNS1_11target_archE908ELNS1_3gpuE7ELNS1_3repE0EEENS1_30default_config_static_selectorELNS0_4arch9wavefront6targetE0EEEvSZ_
		.amdhsa_group_segment_fixed_size 0
		.amdhsa_private_segment_fixed_size 0
		.amdhsa_kernarg_size 176
		.amdhsa_user_sgpr_count 6
		.amdhsa_user_sgpr_private_segment_buffer 1
		.amdhsa_user_sgpr_dispatch_ptr 0
		.amdhsa_user_sgpr_queue_ptr 0
		.amdhsa_user_sgpr_kernarg_segment_ptr 1
		.amdhsa_user_sgpr_dispatch_id 0
		.amdhsa_user_sgpr_flat_scratch_init 0
		.amdhsa_user_sgpr_private_segment_size 0
		.amdhsa_wavefront_size32 1
		.amdhsa_uses_dynamic_stack 0
		.amdhsa_system_sgpr_private_segment_wavefront_offset 0
		.amdhsa_system_sgpr_workgroup_id_x 1
		.amdhsa_system_sgpr_workgroup_id_y 0
		.amdhsa_system_sgpr_workgroup_id_z 0
		.amdhsa_system_sgpr_workgroup_info 0
		.amdhsa_system_vgpr_workitem_id 0
		.amdhsa_next_free_vgpr 1
		.amdhsa_next_free_sgpr 1
		.amdhsa_reserve_vcc 0
		.amdhsa_reserve_flat_scratch 0
		.amdhsa_float_round_mode_32 0
		.amdhsa_float_round_mode_16_64 0
		.amdhsa_float_denorm_mode_32 3
		.amdhsa_float_denorm_mode_16_64 3
		.amdhsa_dx10_clamp 1
		.amdhsa_ieee_mode 1
		.amdhsa_fp16_overflow 0
		.amdhsa_workgroup_processor_mode 1
		.amdhsa_memory_ordered 1
		.amdhsa_forward_progress 1
		.amdhsa_shared_vgpr_count 0
		.amdhsa_exception_fp_ieee_invalid_op 0
		.amdhsa_exception_fp_denorm_src 0
		.amdhsa_exception_fp_ieee_div_zero 0
		.amdhsa_exception_fp_ieee_overflow 0
		.amdhsa_exception_fp_ieee_underflow 0
		.amdhsa_exception_fp_ieee_inexact 0
		.amdhsa_exception_int_div_zero 0
	.end_amdhsa_kernel
	.section	.text._ZN7rocprim17ROCPRIM_400000_NS6detail17trampoline_kernelINS0_13select_configILj256ELj13ELNS0_17block_load_methodE3ELS4_3ELS4_3ELNS0_20block_scan_algorithmE0ELj4294967295EEENS1_25partition_config_selectorILNS1_17partition_subalgoE4EjNS0_10empty_typeEbEEZZNS1_14partition_implILS8_4ELb0ES6_15HIP_vector_typeIjLj2EENS0_17counting_iteratorIjlEEPS9_SG_NS0_5tupleIJPjSI_NS0_16reverse_iteratorISI_EEEEENSH_IJSG_SG_SG_EEES9_SI_JZNS1_25segmented_radix_sort_implINS0_14default_configELb0EPKlPlSQ_SR_N2at6native12_GLOBAL__N_18offset_tEEE10hipError_tPvRmT1_PNSt15iterator_traitsISZ_E10value_typeET2_T3_PNS10_IS15_E10value_typeET4_jRbjT5_S1B_jjP12ihipStream_tbEUljE_ZNSN_ISO_Lb0ESQ_SR_SQ_SR_SV_EESW_SX_SY_SZ_S13_S14_S15_S18_S19_jS1A_jS1B_S1B_jjS1D_bEUljE0_EEESW_SX_SY_S15_S19_S1B_T6_T7_T9_mT8_S1D_bDpT10_ENKUlT_T0_E_clISt17integral_constantIbLb0EES1R_EEDaS1M_S1N_EUlS1M_E_NS1_11comp_targetILNS1_3genE3ELNS1_11target_archE908ELNS1_3gpuE7ELNS1_3repE0EEENS1_30default_config_static_selectorELNS0_4arch9wavefront6targetE0EEEvSZ_,"axG",@progbits,_ZN7rocprim17ROCPRIM_400000_NS6detail17trampoline_kernelINS0_13select_configILj256ELj13ELNS0_17block_load_methodE3ELS4_3ELS4_3ELNS0_20block_scan_algorithmE0ELj4294967295EEENS1_25partition_config_selectorILNS1_17partition_subalgoE4EjNS0_10empty_typeEbEEZZNS1_14partition_implILS8_4ELb0ES6_15HIP_vector_typeIjLj2EENS0_17counting_iteratorIjlEEPS9_SG_NS0_5tupleIJPjSI_NS0_16reverse_iteratorISI_EEEEENSH_IJSG_SG_SG_EEES9_SI_JZNS1_25segmented_radix_sort_implINS0_14default_configELb0EPKlPlSQ_SR_N2at6native12_GLOBAL__N_18offset_tEEE10hipError_tPvRmT1_PNSt15iterator_traitsISZ_E10value_typeET2_T3_PNS10_IS15_E10value_typeET4_jRbjT5_S1B_jjP12ihipStream_tbEUljE_ZNSN_ISO_Lb0ESQ_SR_SQ_SR_SV_EESW_SX_SY_SZ_S13_S14_S15_S18_S19_jS1A_jS1B_S1B_jjS1D_bEUljE0_EEESW_SX_SY_S15_S19_S1B_T6_T7_T9_mT8_S1D_bDpT10_ENKUlT_T0_E_clISt17integral_constantIbLb0EES1R_EEDaS1M_S1N_EUlS1M_E_NS1_11comp_targetILNS1_3genE3ELNS1_11target_archE908ELNS1_3gpuE7ELNS1_3repE0EEENS1_30default_config_static_selectorELNS0_4arch9wavefront6targetE0EEEvSZ_,comdat
.Lfunc_end740:
	.size	_ZN7rocprim17ROCPRIM_400000_NS6detail17trampoline_kernelINS0_13select_configILj256ELj13ELNS0_17block_load_methodE3ELS4_3ELS4_3ELNS0_20block_scan_algorithmE0ELj4294967295EEENS1_25partition_config_selectorILNS1_17partition_subalgoE4EjNS0_10empty_typeEbEEZZNS1_14partition_implILS8_4ELb0ES6_15HIP_vector_typeIjLj2EENS0_17counting_iteratorIjlEEPS9_SG_NS0_5tupleIJPjSI_NS0_16reverse_iteratorISI_EEEEENSH_IJSG_SG_SG_EEES9_SI_JZNS1_25segmented_radix_sort_implINS0_14default_configELb0EPKlPlSQ_SR_N2at6native12_GLOBAL__N_18offset_tEEE10hipError_tPvRmT1_PNSt15iterator_traitsISZ_E10value_typeET2_T3_PNS10_IS15_E10value_typeET4_jRbjT5_S1B_jjP12ihipStream_tbEUljE_ZNSN_ISO_Lb0ESQ_SR_SQ_SR_SV_EESW_SX_SY_SZ_S13_S14_S15_S18_S19_jS1A_jS1B_S1B_jjS1D_bEUljE0_EEESW_SX_SY_S15_S19_S1B_T6_T7_T9_mT8_S1D_bDpT10_ENKUlT_T0_E_clISt17integral_constantIbLb0EES1R_EEDaS1M_S1N_EUlS1M_E_NS1_11comp_targetILNS1_3genE3ELNS1_11target_archE908ELNS1_3gpuE7ELNS1_3repE0EEENS1_30default_config_static_selectorELNS0_4arch9wavefront6targetE0EEEvSZ_, .Lfunc_end740-_ZN7rocprim17ROCPRIM_400000_NS6detail17trampoline_kernelINS0_13select_configILj256ELj13ELNS0_17block_load_methodE3ELS4_3ELS4_3ELNS0_20block_scan_algorithmE0ELj4294967295EEENS1_25partition_config_selectorILNS1_17partition_subalgoE4EjNS0_10empty_typeEbEEZZNS1_14partition_implILS8_4ELb0ES6_15HIP_vector_typeIjLj2EENS0_17counting_iteratorIjlEEPS9_SG_NS0_5tupleIJPjSI_NS0_16reverse_iteratorISI_EEEEENSH_IJSG_SG_SG_EEES9_SI_JZNS1_25segmented_radix_sort_implINS0_14default_configELb0EPKlPlSQ_SR_N2at6native12_GLOBAL__N_18offset_tEEE10hipError_tPvRmT1_PNSt15iterator_traitsISZ_E10value_typeET2_T3_PNS10_IS15_E10value_typeET4_jRbjT5_S1B_jjP12ihipStream_tbEUljE_ZNSN_ISO_Lb0ESQ_SR_SQ_SR_SV_EESW_SX_SY_SZ_S13_S14_S15_S18_S19_jS1A_jS1B_S1B_jjS1D_bEUljE0_EEESW_SX_SY_S15_S19_S1B_T6_T7_T9_mT8_S1D_bDpT10_ENKUlT_T0_E_clISt17integral_constantIbLb0EES1R_EEDaS1M_S1N_EUlS1M_E_NS1_11comp_targetILNS1_3genE3ELNS1_11target_archE908ELNS1_3gpuE7ELNS1_3repE0EEENS1_30default_config_static_selectorELNS0_4arch9wavefront6targetE0EEEvSZ_
                                        ; -- End function
	.set _ZN7rocprim17ROCPRIM_400000_NS6detail17trampoline_kernelINS0_13select_configILj256ELj13ELNS0_17block_load_methodE3ELS4_3ELS4_3ELNS0_20block_scan_algorithmE0ELj4294967295EEENS1_25partition_config_selectorILNS1_17partition_subalgoE4EjNS0_10empty_typeEbEEZZNS1_14partition_implILS8_4ELb0ES6_15HIP_vector_typeIjLj2EENS0_17counting_iteratorIjlEEPS9_SG_NS0_5tupleIJPjSI_NS0_16reverse_iteratorISI_EEEEENSH_IJSG_SG_SG_EEES9_SI_JZNS1_25segmented_radix_sort_implINS0_14default_configELb0EPKlPlSQ_SR_N2at6native12_GLOBAL__N_18offset_tEEE10hipError_tPvRmT1_PNSt15iterator_traitsISZ_E10value_typeET2_T3_PNS10_IS15_E10value_typeET4_jRbjT5_S1B_jjP12ihipStream_tbEUljE_ZNSN_ISO_Lb0ESQ_SR_SQ_SR_SV_EESW_SX_SY_SZ_S13_S14_S15_S18_S19_jS1A_jS1B_S1B_jjS1D_bEUljE0_EEESW_SX_SY_S15_S19_S1B_T6_T7_T9_mT8_S1D_bDpT10_ENKUlT_T0_E_clISt17integral_constantIbLb0EES1R_EEDaS1M_S1N_EUlS1M_E_NS1_11comp_targetILNS1_3genE3ELNS1_11target_archE908ELNS1_3gpuE7ELNS1_3repE0EEENS1_30default_config_static_selectorELNS0_4arch9wavefront6targetE0EEEvSZ_.num_vgpr, 0
	.set _ZN7rocprim17ROCPRIM_400000_NS6detail17trampoline_kernelINS0_13select_configILj256ELj13ELNS0_17block_load_methodE3ELS4_3ELS4_3ELNS0_20block_scan_algorithmE0ELj4294967295EEENS1_25partition_config_selectorILNS1_17partition_subalgoE4EjNS0_10empty_typeEbEEZZNS1_14partition_implILS8_4ELb0ES6_15HIP_vector_typeIjLj2EENS0_17counting_iteratorIjlEEPS9_SG_NS0_5tupleIJPjSI_NS0_16reverse_iteratorISI_EEEEENSH_IJSG_SG_SG_EEES9_SI_JZNS1_25segmented_radix_sort_implINS0_14default_configELb0EPKlPlSQ_SR_N2at6native12_GLOBAL__N_18offset_tEEE10hipError_tPvRmT1_PNSt15iterator_traitsISZ_E10value_typeET2_T3_PNS10_IS15_E10value_typeET4_jRbjT5_S1B_jjP12ihipStream_tbEUljE_ZNSN_ISO_Lb0ESQ_SR_SQ_SR_SV_EESW_SX_SY_SZ_S13_S14_S15_S18_S19_jS1A_jS1B_S1B_jjS1D_bEUljE0_EEESW_SX_SY_S15_S19_S1B_T6_T7_T9_mT8_S1D_bDpT10_ENKUlT_T0_E_clISt17integral_constantIbLb0EES1R_EEDaS1M_S1N_EUlS1M_E_NS1_11comp_targetILNS1_3genE3ELNS1_11target_archE908ELNS1_3gpuE7ELNS1_3repE0EEENS1_30default_config_static_selectorELNS0_4arch9wavefront6targetE0EEEvSZ_.num_agpr, 0
	.set _ZN7rocprim17ROCPRIM_400000_NS6detail17trampoline_kernelINS0_13select_configILj256ELj13ELNS0_17block_load_methodE3ELS4_3ELS4_3ELNS0_20block_scan_algorithmE0ELj4294967295EEENS1_25partition_config_selectorILNS1_17partition_subalgoE4EjNS0_10empty_typeEbEEZZNS1_14partition_implILS8_4ELb0ES6_15HIP_vector_typeIjLj2EENS0_17counting_iteratorIjlEEPS9_SG_NS0_5tupleIJPjSI_NS0_16reverse_iteratorISI_EEEEENSH_IJSG_SG_SG_EEES9_SI_JZNS1_25segmented_radix_sort_implINS0_14default_configELb0EPKlPlSQ_SR_N2at6native12_GLOBAL__N_18offset_tEEE10hipError_tPvRmT1_PNSt15iterator_traitsISZ_E10value_typeET2_T3_PNS10_IS15_E10value_typeET4_jRbjT5_S1B_jjP12ihipStream_tbEUljE_ZNSN_ISO_Lb0ESQ_SR_SQ_SR_SV_EESW_SX_SY_SZ_S13_S14_S15_S18_S19_jS1A_jS1B_S1B_jjS1D_bEUljE0_EEESW_SX_SY_S15_S19_S1B_T6_T7_T9_mT8_S1D_bDpT10_ENKUlT_T0_E_clISt17integral_constantIbLb0EES1R_EEDaS1M_S1N_EUlS1M_E_NS1_11comp_targetILNS1_3genE3ELNS1_11target_archE908ELNS1_3gpuE7ELNS1_3repE0EEENS1_30default_config_static_selectorELNS0_4arch9wavefront6targetE0EEEvSZ_.numbered_sgpr, 0
	.set _ZN7rocprim17ROCPRIM_400000_NS6detail17trampoline_kernelINS0_13select_configILj256ELj13ELNS0_17block_load_methodE3ELS4_3ELS4_3ELNS0_20block_scan_algorithmE0ELj4294967295EEENS1_25partition_config_selectorILNS1_17partition_subalgoE4EjNS0_10empty_typeEbEEZZNS1_14partition_implILS8_4ELb0ES6_15HIP_vector_typeIjLj2EENS0_17counting_iteratorIjlEEPS9_SG_NS0_5tupleIJPjSI_NS0_16reverse_iteratorISI_EEEEENSH_IJSG_SG_SG_EEES9_SI_JZNS1_25segmented_radix_sort_implINS0_14default_configELb0EPKlPlSQ_SR_N2at6native12_GLOBAL__N_18offset_tEEE10hipError_tPvRmT1_PNSt15iterator_traitsISZ_E10value_typeET2_T3_PNS10_IS15_E10value_typeET4_jRbjT5_S1B_jjP12ihipStream_tbEUljE_ZNSN_ISO_Lb0ESQ_SR_SQ_SR_SV_EESW_SX_SY_SZ_S13_S14_S15_S18_S19_jS1A_jS1B_S1B_jjS1D_bEUljE0_EEESW_SX_SY_S15_S19_S1B_T6_T7_T9_mT8_S1D_bDpT10_ENKUlT_T0_E_clISt17integral_constantIbLb0EES1R_EEDaS1M_S1N_EUlS1M_E_NS1_11comp_targetILNS1_3genE3ELNS1_11target_archE908ELNS1_3gpuE7ELNS1_3repE0EEENS1_30default_config_static_selectorELNS0_4arch9wavefront6targetE0EEEvSZ_.num_named_barrier, 0
	.set _ZN7rocprim17ROCPRIM_400000_NS6detail17trampoline_kernelINS0_13select_configILj256ELj13ELNS0_17block_load_methodE3ELS4_3ELS4_3ELNS0_20block_scan_algorithmE0ELj4294967295EEENS1_25partition_config_selectorILNS1_17partition_subalgoE4EjNS0_10empty_typeEbEEZZNS1_14partition_implILS8_4ELb0ES6_15HIP_vector_typeIjLj2EENS0_17counting_iteratorIjlEEPS9_SG_NS0_5tupleIJPjSI_NS0_16reverse_iteratorISI_EEEEENSH_IJSG_SG_SG_EEES9_SI_JZNS1_25segmented_radix_sort_implINS0_14default_configELb0EPKlPlSQ_SR_N2at6native12_GLOBAL__N_18offset_tEEE10hipError_tPvRmT1_PNSt15iterator_traitsISZ_E10value_typeET2_T3_PNS10_IS15_E10value_typeET4_jRbjT5_S1B_jjP12ihipStream_tbEUljE_ZNSN_ISO_Lb0ESQ_SR_SQ_SR_SV_EESW_SX_SY_SZ_S13_S14_S15_S18_S19_jS1A_jS1B_S1B_jjS1D_bEUljE0_EEESW_SX_SY_S15_S19_S1B_T6_T7_T9_mT8_S1D_bDpT10_ENKUlT_T0_E_clISt17integral_constantIbLb0EES1R_EEDaS1M_S1N_EUlS1M_E_NS1_11comp_targetILNS1_3genE3ELNS1_11target_archE908ELNS1_3gpuE7ELNS1_3repE0EEENS1_30default_config_static_selectorELNS0_4arch9wavefront6targetE0EEEvSZ_.private_seg_size, 0
	.set _ZN7rocprim17ROCPRIM_400000_NS6detail17trampoline_kernelINS0_13select_configILj256ELj13ELNS0_17block_load_methodE3ELS4_3ELS4_3ELNS0_20block_scan_algorithmE0ELj4294967295EEENS1_25partition_config_selectorILNS1_17partition_subalgoE4EjNS0_10empty_typeEbEEZZNS1_14partition_implILS8_4ELb0ES6_15HIP_vector_typeIjLj2EENS0_17counting_iteratorIjlEEPS9_SG_NS0_5tupleIJPjSI_NS0_16reverse_iteratorISI_EEEEENSH_IJSG_SG_SG_EEES9_SI_JZNS1_25segmented_radix_sort_implINS0_14default_configELb0EPKlPlSQ_SR_N2at6native12_GLOBAL__N_18offset_tEEE10hipError_tPvRmT1_PNSt15iterator_traitsISZ_E10value_typeET2_T3_PNS10_IS15_E10value_typeET4_jRbjT5_S1B_jjP12ihipStream_tbEUljE_ZNSN_ISO_Lb0ESQ_SR_SQ_SR_SV_EESW_SX_SY_SZ_S13_S14_S15_S18_S19_jS1A_jS1B_S1B_jjS1D_bEUljE0_EEESW_SX_SY_S15_S19_S1B_T6_T7_T9_mT8_S1D_bDpT10_ENKUlT_T0_E_clISt17integral_constantIbLb0EES1R_EEDaS1M_S1N_EUlS1M_E_NS1_11comp_targetILNS1_3genE3ELNS1_11target_archE908ELNS1_3gpuE7ELNS1_3repE0EEENS1_30default_config_static_selectorELNS0_4arch9wavefront6targetE0EEEvSZ_.uses_vcc, 0
	.set _ZN7rocprim17ROCPRIM_400000_NS6detail17trampoline_kernelINS0_13select_configILj256ELj13ELNS0_17block_load_methodE3ELS4_3ELS4_3ELNS0_20block_scan_algorithmE0ELj4294967295EEENS1_25partition_config_selectorILNS1_17partition_subalgoE4EjNS0_10empty_typeEbEEZZNS1_14partition_implILS8_4ELb0ES6_15HIP_vector_typeIjLj2EENS0_17counting_iteratorIjlEEPS9_SG_NS0_5tupleIJPjSI_NS0_16reverse_iteratorISI_EEEEENSH_IJSG_SG_SG_EEES9_SI_JZNS1_25segmented_radix_sort_implINS0_14default_configELb0EPKlPlSQ_SR_N2at6native12_GLOBAL__N_18offset_tEEE10hipError_tPvRmT1_PNSt15iterator_traitsISZ_E10value_typeET2_T3_PNS10_IS15_E10value_typeET4_jRbjT5_S1B_jjP12ihipStream_tbEUljE_ZNSN_ISO_Lb0ESQ_SR_SQ_SR_SV_EESW_SX_SY_SZ_S13_S14_S15_S18_S19_jS1A_jS1B_S1B_jjS1D_bEUljE0_EEESW_SX_SY_S15_S19_S1B_T6_T7_T9_mT8_S1D_bDpT10_ENKUlT_T0_E_clISt17integral_constantIbLb0EES1R_EEDaS1M_S1N_EUlS1M_E_NS1_11comp_targetILNS1_3genE3ELNS1_11target_archE908ELNS1_3gpuE7ELNS1_3repE0EEENS1_30default_config_static_selectorELNS0_4arch9wavefront6targetE0EEEvSZ_.uses_flat_scratch, 0
	.set _ZN7rocprim17ROCPRIM_400000_NS6detail17trampoline_kernelINS0_13select_configILj256ELj13ELNS0_17block_load_methodE3ELS4_3ELS4_3ELNS0_20block_scan_algorithmE0ELj4294967295EEENS1_25partition_config_selectorILNS1_17partition_subalgoE4EjNS0_10empty_typeEbEEZZNS1_14partition_implILS8_4ELb0ES6_15HIP_vector_typeIjLj2EENS0_17counting_iteratorIjlEEPS9_SG_NS0_5tupleIJPjSI_NS0_16reverse_iteratorISI_EEEEENSH_IJSG_SG_SG_EEES9_SI_JZNS1_25segmented_radix_sort_implINS0_14default_configELb0EPKlPlSQ_SR_N2at6native12_GLOBAL__N_18offset_tEEE10hipError_tPvRmT1_PNSt15iterator_traitsISZ_E10value_typeET2_T3_PNS10_IS15_E10value_typeET4_jRbjT5_S1B_jjP12ihipStream_tbEUljE_ZNSN_ISO_Lb0ESQ_SR_SQ_SR_SV_EESW_SX_SY_SZ_S13_S14_S15_S18_S19_jS1A_jS1B_S1B_jjS1D_bEUljE0_EEESW_SX_SY_S15_S19_S1B_T6_T7_T9_mT8_S1D_bDpT10_ENKUlT_T0_E_clISt17integral_constantIbLb0EES1R_EEDaS1M_S1N_EUlS1M_E_NS1_11comp_targetILNS1_3genE3ELNS1_11target_archE908ELNS1_3gpuE7ELNS1_3repE0EEENS1_30default_config_static_selectorELNS0_4arch9wavefront6targetE0EEEvSZ_.has_dyn_sized_stack, 0
	.set _ZN7rocprim17ROCPRIM_400000_NS6detail17trampoline_kernelINS0_13select_configILj256ELj13ELNS0_17block_load_methodE3ELS4_3ELS4_3ELNS0_20block_scan_algorithmE0ELj4294967295EEENS1_25partition_config_selectorILNS1_17partition_subalgoE4EjNS0_10empty_typeEbEEZZNS1_14partition_implILS8_4ELb0ES6_15HIP_vector_typeIjLj2EENS0_17counting_iteratorIjlEEPS9_SG_NS0_5tupleIJPjSI_NS0_16reverse_iteratorISI_EEEEENSH_IJSG_SG_SG_EEES9_SI_JZNS1_25segmented_radix_sort_implINS0_14default_configELb0EPKlPlSQ_SR_N2at6native12_GLOBAL__N_18offset_tEEE10hipError_tPvRmT1_PNSt15iterator_traitsISZ_E10value_typeET2_T3_PNS10_IS15_E10value_typeET4_jRbjT5_S1B_jjP12ihipStream_tbEUljE_ZNSN_ISO_Lb0ESQ_SR_SQ_SR_SV_EESW_SX_SY_SZ_S13_S14_S15_S18_S19_jS1A_jS1B_S1B_jjS1D_bEUljE0_EEESW_SX_SY_S15_S19_S1B_T6_T7_T9_mT8_S1D_bDpT10_ENKUlT_T0_E_clISt17integral_constantIbLb0EES1R_EEDaS1M_S1N_EUlS1M_E_NS1_11comp_targetILNS1_3genE3ELNS1_11target_archE908ELNS1_3gpuE7ELNS1_3repE0EEENS1_30default_config_static_selectorELNS0_4arch9wavefront6targetE0EEEvSZ_.has_recursion, 0
	.set _ZN7rocprim17ROCPRIM_400000_NS6detail17trampoline_kernelINS0_13select_configILj256ELj13ELNS0_17block_load_methodE3ELS4_3ELS4_3ELNS0_20block_scan_algorithmE0ELj4294967295EEENS1_25partition_config_selectorILNS1_17partition_subalgoE4EjNS0_10empty_typeEbEEZZNS1_14partition_implILS8_4ELb0ES6_15HIP_vector_typeIjLj2EENS0_17counting_iteratorIjlEEPS9_SG_NS0_5tupleIJPjSI_NS0_16reverse_iteratorISI_EEEEENSH_IJSG_SG_SG_EEES9_SI_JZNS1_25segmented_radix_sort_implINS0_14default_configELb0EPKlPlSQ_SR_N2at6native12_GLOBAL__N_18offset_tEEE10hipError_tPvRmT1_PNSt15iterator_traitsISZ_E10value_typeET2_T3_PNS10_IS15_E10value_typeET4_jRbjT5_S1B_jjP12ihipStream_tbEUljE_ZNSN_ISO_Lb0ESQ_SR_SQ_SR_SV_EESW_SX_SY_SZ_S13_S14_S15_S18_S19_jS1A_jS1B_S1B_jjS1D_bEUljE0_EEESW_SX_SY_S15_S19_S1B_T6_T7_T9_mT8_S1D_bDpT10_ENKUlT_T0_E_clISt17integral_constantIbLb0EES1R_EEDaS1M_S1N_EUlS1M_E_NS1_11comp_targetILNS1_3genE3ELNS1_11target_archE908ELNS1_3gpuE7ELNS1_3repE0EEENS1_30default_config_static_selectorELNS0_4arch9wavefront6targetE0EEEvSZ_.has_indirect_call, 0
	.section	.AMDGPU.csdata,"",@progbits
; Kernel info:
; codeLenInByte = 0
; TotalNumSgprs: 0
; NumVgprs: 0
; ScratchSize: 0
; MemoryBound: 0
; FloatMode: 240
; IeeeMode: 1
; LDSByteSize: 0 bytes/workgroup (compile time only)
; SGPRBlocks: 0
; VGPRBlocks: 0
; NumSGPRsForWavesPerEU: 1
; NumVGPRsForWavesPerEU: 1
; Occupancy: 16
; WaveLimiterHint : 0
; COMPUTE_PGM_RSRC2:SCRATCH_EN: 0
; COMPUTE_PGM_RSRC2:USER_SGPR: 6
; COMPUTE_PGM_RSRC2:TRAP_HANDLER: 0
; COMPUTE_PGM_RSRC2:TGID_X_EN: 1
; COMPUTE_PGM_RSRC2:TGID_Y_EN: 0
; COMPUTE_PGM_RSRC2:TGID_Z_EN: 0
; COMPUTE_PGM_RSRC2:TIDIG_COMP_CNT: 0
	.section	.text._ZN7rocprim17ROCPRIM_400000_NS6detail17trampoline_kernelINS0_13select_configILj256ELj13ELNS0_17block_load_methodE3ELS4_3ELS4_3ELNS0_20block_scan_algorithmE0ELj4294967295EEENS1_25partition_config_selectorILNS1_17partition_subalgoE4EjNS0_10empty_typeEbEEZZNS1_14partition_implILS8_4ELb0ES6_15HIP_vector_typeIjLj2EENS0_17counting_iteratorIjlEEPS9_SG_NS0_5tupleIJPjSI_NS0_16reverse_iteratorISI_EEEEENSH_IJSG_SG_SG_EEES9_SI_JZNS1_25segmented_radix_sort_implINS0_14default_configELb0EPKlPlSQ_SR_N2at6native12_GLOBAL__N_18offset_tEEE10hipError_tPvRmT1_PNSt15iterator_traitsISZ_E10value_typeET2_T3_PNS10_IS15_E10value_typeET4_jRbjT5_S1B_jjP12ihipStream_tbEUljE_ZNSN_ISO_Lb0ESQ_SR_SQ_SR_SV_EESW_SX_SY_SZ_S13_S14_S15_S18_S19_jS1A_jS1B_S1B_jjS1D_bEUljE0_EEESW_SX_SY_S15_S19_S1B_T6_T7_T9_mT8_S1D_bDpT10_ENKUlT_T0_E_clISt17integral_constantIbLb0EES1R_EEDaS1M_S1N_EUlS1M_E_NS1_11comp_targetILNS1_3genE2ELNS1_11target_archE906ELNS1_3gpuE6ELNS1_3repE0EEENS1_30default_config_static_selectorELNS0_4arch9wavefront6targetE0EEEvSZ_,"axG",@progbits,_ZN7rocprim17ROCPRIM_400000_NS6detail17trampoline_kernelINS0_13select_configILj256ELj13ELNS0_17block_load_methodE3ELS4_3ELS4_3ELNS0_20block_scan_algorithmE0ELj4294967295EEENS1_25partition_config_selectorILNS1_17partition_subalgoE4EjNS0_10empty_typeEbEEZZNS1_14partition_implILS8_4ELb0ES6_15HIP_vector_typeIjLj2EENS0_17counting_iteratorIjlEEPS9_SG_NS0_5tupleIJPjSI_NS0_16reverse_iteratorISI_EEEEENSH_IJSG_SG_SG_EEES9_SI_JZNS1_25segmented_radix_sort_implINS0_14default_configELb0EPKlPlSQ_SR_N2at6native12_GLOBAL__N_18offset_tEEE10hipError_tPvRmT1_PNSt15iterator_traitsISZ_E10value_typeET2_T3_PNS10_IS15_E10value_typeET4_jRbjT5_S1B_jjP12ihipStream_tbEUljE_ZNSN_ISO_Lb0ESQ_SR_SQ_SR_SV_EESW_SX_SY_SZ_S13_S14_S15_S18_S19_jS1A_jS1B_S1B_jjS1D_bEUljE0_EEESW_SX_SY_S15_S19_S1B_T6_T7_T9_mT8_S1D_bDpT10_ENKUlT_T0_E_clISt17integral_constantIbLb0EES1R_EEDaS1M_S1N_EUlS1M_E_NS1_11comp_targetILNS1_3genE2ELNS1_11target_archE906ELNS1_3gpuE6ELNS1_3repE0EEENS1_30default_config_static_selectorELNS0_4arch9wavefront6targetE0EEEvSZ_,comdat
	.globl	_ZN7rocprim17ROCPRIM_400000_NS6detail17trampoline_kernelINS0_13select_configILj256ELj13ELNS0_17block_load_methodE3ELS4_3ELS4_3ELNS0_20block_scan_algorithmE0ELj4294967295EEENS1_25partition_config_selectorILNS1_17partition_subalgoE4EjNS0_10empty_typeEbEEZZNS1_14partition_implILS8_4ELb0ES6_15HIP_vector_typeIjLj2EENS0_17counting_iteratorIjlEEPS9_SG_NS0_5tupleIJPjSI_NS0_16reverse_iteratorISI_EEEEENSH_IJSG_SG_SG_EEES9_SI_JZNS1_25segmented_radix_sort_implINS0_14default_configELb0EPKlPlSQ_SR_N2at6native12_GLOBAL__N_18offset_tEEE10hipError_tPvRmT1_PNSt15iterator_traitsISZ_E10value_typeET2_T3_PNS10_IS15_E10value_typeET4_jRbjT5_S1B_jjP12ihipStream_tbEUljE_ZNSN_ISO_Lb0ESQ_SR_SQ_SR_SV_EESW_SX_SY_SZ_S13_S14_S15_S18_S19_jS1A_jS1B_S1B_jjS1D_bEUljE0_EEESW_SX_SY_S15_S19_S1B_T6_T7_T9_mT8_S1D_bDpT10_ENKUlT_T0_E_clISt17integral_constantIbLb0EES1R_EEDaS1M_S1N_EUlS1M_E_NS1_11comp_targetILNS1_3genE2ELNS1_11target_archE906ELNS1_3gpuE6ELNS1_3repE0EEENS1_30default_config_static_selectorELNS0_4arch9wavefront6targetE0EEEvSZ_ ; -- Begin function _ZN7rocprim17ROCPRIM_400000_NS6detail17trampoline_kernelINS0_13select_configILj256ELj13ELNS0_17block_load_methodE3ELS4_3ELS4_3ELNS0_20block_scan_algorithmE0ELj4294967295EEENS1_25partition_config_selectorILNS1_17partition_subalgoE4EjNS0_10empty_typeEbEEZZNS1_14partition_implILS8_4ELb0ES6_15HIP_vector_typeIjLj2EENS0_17counting_iteratorIjlEEPS9_SG_NS0_5tupleIJPjSI_NS0_16reverse_iteratorISI_EEEEENSH_IJSG_SG_SG_EEES9_SI_JZNS1_25segmented_radix_sort_implINS0_14default_configELb0EPKlPlSQ_SR_N2at6native12_GLOBAL__N_18offset_tEEE10hipError_tPvRmT1_PNSt15iterator_traitsISZ_E10value_typeET2_T3_PNS10_IS15_E10value_typeET4_jRbjT5_S1B_jjP12ihipStream_tbEUljE_ZNSN_ISO_Lb0ESQ_SR_SQ_SR_SV_EESW_SX_SY_SZ_S13_S14_S15_S18_S19_jS1A_jS1B_S1B_jjS1D_bEUljE0_EEESW_SX_SY_S15_S19_S1B_T6_T7_T9_mT8_S1D_bDpT10_ENKUlT_T0_E_clISt17integral_constantIbLb0EES1R_EEDaS1M_S1N_EUlS1M_E_NS1_11comp_targetILNS1_3genE2ELNS1_11target_archE906ELNS1_3gpuE6ELNS1_3repE0EEENS1_30default_config_static_selectorELNS0_4arch9wavefront6targetE0EEEvSZ_
	.p2align	8
	.type	_ZN7rocprim17ROCPRIM_400000_NS6detail17trampoline_kernelINS0_13select_configILj256ELj13ELNS0_17block_load_methodE3ELS4_3ELS4_3ELNS0_20block_scan_algorithmE0ELj4294967295EEENS1_25partition_config_selectorILNS1_17partition_subalgoE4EjNS0_10empty_typeEbEEZZNS1_14partition_implILS8_4ELb0ES6_15HIP_vector_typeIjLj2EENS0_17counting_iteratorIjlEEPS9_SG_NS0_5tupleIJPjSI_NS0_16reverse_iteratorISI_EEEEENSH_IJSG_SG_SG_EEES9_SI_JZNS1_25segmented_radix_sort_implINS0_14default_configELb0EPKlPlSQ_SR_N2at6native12_GLOBAL__N_18offset_tEEE10hipError_tPvRmT1_PNSt15iterator_traitsISZ_E10value_typeET2_T3_PNS10_IS15_E10value_typeET4_jRbjT5_S1B_jjP12ihipStream_tbEUljE_ZNSN_ISO_Lb0ESQ_SR_SQ_SR_SV_EESW_SX_SY_SZ_S13_S14_S15_S18_S19_jS1A_jS1B_S1B_jjS1D_bEUljE0_EEESW_SX_SY_S15_S19_S1B_T6_T7_T9_mT8_S1D_bDpT10_ENKUlT_T0_E_clISt17integral_constantIbLb0EES1R_EEDaS1M_S1N_EUlS1M_E_NS1_11comp_targetILNS1_3genE2ELNS1_11target_archE906ELNS1_3gpuE6ELNS1_3repE0EEENS1_30default_config_static_selectorELNS0_4arch9wavefront6targetE0EEEvSZ_,@function
_ZN7rocprim17ROCPRIM_400000_NS6detail17trampoline_kernelINS0_13select_configILj256ELj13ELNS0_17block_load_methodE3ELS4_3ELS4_3ELNS0_20block_scan_algorithmE0ELj4294967295EEENS1_25partition_config_selectorILNS1_17partition_subalgoE4EjNS0_10empty_typeEbEEZZNS1_14partition_implILS8_4ELb0ES6_15HIP_vector_typeIjLj2EENS0_17counting_iteratorIjlEEPS9_SG_NS0_5tupleIJPjSI_NS0_16reverse_iteratorISI_EEEEENSH_IJSG_SG_SG_EEES9_SI_JZNS1_25segmented_radix_sort_implINS0_14default_configELb0EPKlPlSQ_SR_N2at6native12_GLOBAL__N_18offset_tEEE10hipError_tPvRmT1_PNSt15iterator_traitsISZ_E10value_typeET2_T3_PNS10_IS15_E10value_typeET4_jRbjT5_S1B_jjP12ihipStream_tbEUljE_ZNSN_ISO_Lb0ESQ_SR_SQ_SR_SV_EESW_SX_SY_SZ_S13_S14_S15_S18_S19_jS1A_jS1B_S1B_jjS1D_bEUljE0_EEESW_SX_SY_S15_S19_S1B_T6_T7_T9_mT8_S1D_bDpT10_ENKUlT_T0_E_clISt17integral_constantIbLb0EES1R_EEDaS1M_S1N_EUlS1M_E_NS1_11comp_targetILNS1_3genE2ELNS1_11target_archE906ELNS1_3gpuE6ELNS1_3repE0EEENS1_30default_config_static_selectorELNS0_4arch9wavefront6targetE0EEEvSZ_: ; @_ZN7rocprim17ROCPRIM_400000_NS6detail17trampoline_kernelINS0_13select_configILj256ELj13ELNS0_17block_load_methodE3ELS4_3ELS4_3ELNS0_20block_scan_algorithmE0ELj4294967295EEENS1_25partition_config_selectorILNS1_17partition_subalgoE4EjNS0_10empty_typeEbEEZZNS1_14partition_implILS8_4ELb0ES6_15HIP_vector_typeIjLj2EENS0_17counting_iteratorIjlEEPS9_SG_NS0_5tupleIJPjSI_NS0_16reverse_iteratorISI_EEEEENSH_IJSG_SG_SG_EEES9_SI_JZNS1_25segmented_radix_sort_implINS0_14default_configELb0EPKlPlSQ_SR_N2at6native12_GLOBAL__N_18offset_tEEE10hipError_tPvRmT1_PNSt15iterator_traitsISZ_E10value_typeET2_T3_PNS10_IS15_E10value_typeET4_jRbjT5_S1B_jjP12ihipStream_tbEUljE_ZNSN_ISO_Lb0ESQ_SR_SQ_SR_SV_EESW_SX_SY_SZ_S13_S14_S15_S18_S19_jS1A_jS1B_S1B_jjS1D_bEUljE0_EEESW_SX_SY_S15_S19_S1B_T6_T7_T9_mT8_S1D_bDpT10_ENKUlT_T0_E_clISt17integral_constantIbLb0EES1R_EEDaS1M_S1N_EUlS1M_E_NS1_11comp_targetILNS1_3genE2ELNS1_11target_archE906ELNS1_3gpuE6ELNS1_3repE0EEENS1_30default_config_static_selectorELNS0_4arch9wavefront6targetE0EEEvSZ_
; %bb.0:
	.section	.rodata,"a",@progbits
	.p2align	6, 0x0
	.amdhsa_kernel _ZN7rocprim17ROCPRIM_400000_NS6detail17trampoline_kernelINS0_13select_configILj256ELj13ELNS0_17block_load_methodE3ELS4_3ELS4_3ELNS0_20block_scan_algorithmE0ELj4294967295EEENS1_25partition_config_selectorILNS1_17partition_subalgoE4EjNS0_10empty_typeEbEEZZNS1_14partition_implILS8_4ELb0ES6_15HIP_vector_typeIjLj2EENS0_17counting_iteratorIjlEEPS9_SG_NS0_5tupleIJPjSI_NS0_16reverse_iteratorISI_EEEEENSH_IJSG_SG_SG_EEES9_SI_JZNS1_25segmented_radix_sort_implINS0_14default_configELb0EPKlPlSQ_SR_N2at6native12_GLOBAL__N_18offset_tEEE10hipError_tPvRmT1_PNSt15iterator_traitsISZ_E10value_typeET2_T3_PNS10_IS15_E10value_typeET4_jRbjT5_S1B_jjP12ihipStream_tbEUljE_ZNSN_ISO_Lb0ESQ_SR_SQ_SR_SV_EESW_SX_SY_SZ_S13_S14_S15_S18_S19_jS1A_jS1B_S1B_jjS1D_bEUljE0_EEESW_SX_SY_S15_S19_S1B_T6_T7_T9_mT8_S1D_bDpT10_ENKUlT_T0_E_clISt17integral_constantIbLb0EES1R_EEDaS1M_S1N_EUlS1M_E_NS1_11comp_targetILNS1_3genE2ELNS1_11target_archE906ELNS1_3gpuE6ELNS1_3repE0EEENS1_30default_config_static_selectorELNS0_4arch9wavefront6targetE0EEEvSZ_
		.amdhsa_group_segment_fixed_size 0
		.amdhsa_private_segment_fixed_size 0
		.amdhsa_kernarg_size 176
		.amdhsa_user_sgpr_count 6
		.amdhsa_user_sgpr_private_segment_buffer 1
		.amdhsa_user_sgpr_dispatch_ptr 0
		.amdhsa_user_sgpr_queue_ptr 0
		.amdhsa_user_sgpr_kernarg_segment_ptr 1
		.amdhsa_user_sgpr_dispatch_id 0
		.amdhsa_user_sgpr_flat_scratch_init 0
		.amdhsa_user_sgpr_private_segment_size 0
		.amdhsa_wavefront_size32 1
		.amdhsa_uses_dynamic_stack 0
		.amdhsa_system_sgpr_private_segment_wavefront_offset 0
		.amdhsa_system_sgpr_workgroup_id_x 1
		.amdhsa_system_sgpr_workgroup_id_y 0
		.amdhsa_system_sgpr_workgroup_id_z 0
		.amdhsa_system_sgpr_workgroup_info 0
		.amdhsa_system_vgpr_workitem_id 0
		.amdhsa_next_free_vgpr 1
		.amdhsa_next_free_sgpr 1
		.amdhsa_reserve_vcc 0
		.amdhsa_reserve_flat_scratch 0
		.amdhsa_float_round_mode_32 0
		.amdhsa_float_round_mode_16_64 0
		.amdhsa_float_denorm_mode_32 3
		.amdhsa_float_denorm_mode_16_64 3
		.amdhsa_dx10_clamp 1
		.amdhsa_ieee_mode 1
		.amdhsa_fp16_overflow 0
		.amdhsa_workgroup_processor_mode 1
		.amdhsa_memory_ordered 1
		.amdhsa_forward_progress 1
		.amdhsa_shared_vgpr_count 0
		.amdhsa_exception_fp_ieee_invalid_op 0
		.amdhsa_exception_fp_denorm_src 0
		.amdhsa_exception_fp_ieee_div_zero 0
		.amdhsa_exception_fp_ieee_overflow 0
		.amdhsa_exception_fp_ieee_underflow 0
		.amdhsa_exception_fp_ieee_inexact 0
		.amdhsa_exception_int_div_zero 0
	.end_amdhsa_kernel
	.section	.text._ZN7rocprim17ROCPRIM_400000_NS6detail17trampoline_kernelINS0_13select_configILj256ELj13ELNS0_17block_load_methodE3ELS4_3ELS4_3ELNS0_20block_scan_algorithmE0ELj4294967295EEENS1_25partition_config_selectorILNS1_17partition_subalgoE4EjNS0_10empty_typeEbEEZZNS1_14partition_implILS8_4ELb0ES6_15HIP_vector_typeIjLj2EENS0_17counting_iteratorIjlEEPS9_SG_NS0_5tupleIJPjSI_NS0_16reverse_iteratorISI_EEEEENSH_IJSG_SG_SG_EEES9_SI_JZNS1_25segmented_radix_sort_implINS0_14default_configELb0EPKlPlSQ_SR_N2at6native12_GLOBAL__N_18offset_tEEE10hipError_tPvRmT1_PNSt15iterator_traitsISZ_E10value_typeET2_T3_PNS10_IS15_E10value_typeET4_jRbjT5_S1B_jjP12ihipStream_tbEUljE_ZNSN_ISO_Lb0ESQ_SR_SQ_SR_SV_EESW_SX_SY_SZ_S13_S14_S15_S18_S19_jS1A_jS1B_S1B_jjS1D_bEUljE0_EEESW_SX_SY_S15_S19_S1B_T6_T7_T9_mT8_S1D_bDpT10_ENKUlT_T0_E_clISt17integral_constantIbLb0EES1R_EEDaS1M_S1N_EUlS1M_E_NS1_11comp_targetILNS1_3genE2ELNS1_11target_archE906ELNS1_3gpuE6ELNS1_3repE0EEENS1_30default_config_static_selectorELNS0_4arch9wavefront6targetE0EEEvSZ_,"axG",@progbits,_ZN7rocprim17ROCPRIM_400000_NS6detail17trampoline_kernelINS0_13select_configILj256ELj13ELNS0_17block_load_methodE3ELS4_3ELS4_3ELNS0_20block_scan_algorithmE0ELj4294967295EEENS1_25partition_config_selectorILNS1_17partition_subalgoE4EjNS0_10empty_typeEbEEZZNS1_14partition_implILS8_4ELb0ES6_15HIP_vector_typeIjLj2EENS0_17counting_iteratorIjlEEPS9_SG_NS0_5tupleIJPjSI_NS0_16reverse_iteratorISI_EEEEENSH_IJSG_SG_SG_EEES9_SI_JZNS1_25segmented_radix_sort_implINS0_14default_configELb0EPKlPlSQ_SR_N2at6native12_GLOBAL__N_18offset_tEEE10hipError_tPvRmT1_PNSt15iterator_traitsISZ_E10value_typeET2_T3_PNS10_IS15_E10value_typeET4_jRbjT5_S1B_jjP12ihipStream_tbEUljE_ZNSN_ISO_Lb0ESQ_SR_SQ_SR_SV_EESW_SX_SY_SZ_S13_S14_S15_S18_S19_jS1A_jS1B_S1B_jjS1D_bEUljE0_EEESW_SX_SY_S15_S19_S1B_T6_T7_T9_mT8_S1D_bDpT10_ENKUlT_T0_E_clISt17integral_constantIbLb0EES1R_EEDaS1M_S1N_EUlS1M_E_NS1_11comp_targetILNS1_3genE2ELNS1_11target_archE906ELNS1_3gpuE6ELNS1_3repE0EEENS1_30default_config_static_selectorELNS0_4arch9wavefront6targetE0EEEvSZ_,comdat
.Lfunc_end741:
	.size	_ZN7rocprim17ROCPRIM_400000_NS6detail17trampoline_kernelINS0_13select_configILj256ELj13ELNS0_17block_load_methodE3ELS4_3ELS4_3ELNS0_20block_scan_algorithmE0ELj4294967295EEENS1_25partition_config_selectorILNS1_17partition_subalgoE4EjNS0_10empty_typeEbEEZZNS1_14partition_implILS8_4ELb0ES6_15HIP_vector_typeIjLj2EENS0_17counting_iteratorIjlEEPS9_SG_NS0_5tupleIJPjSI_NS0_16reverse_iteratorISI_EEEEENSH_IJSG_SG_SG_EEES9_SI_JZNS1_25segmented_radix_sort_implINS0_14default_configELb0EPKlPlSQ_SR_N2at6native12_GLOBAL__N_18offset_tEEE10hipError_tPvRmT1_PNSt15iterator_traitsISZ_E10value_typeET2_T3_PNS10_IS15_E10value_typeET4_jRbjT5_S1B_jjP12ihipStream_tbEUljE_ZNSN_ISO_Lb0ESQ_SR_SQ_SR_SV_EESW_SX_SY_SZ_S13_S14_S15_S18_S19_jS1A_jS1B_S1B_jjS1D_bEUljE0_EEESW_SX_SY_S15_S19_S1B_T6_T7_T9_mT8_S1D_bDpT10_ENKUlT_T0_E_clISt17integral_constantIbLb0EES1R_EEDaS1M_S1N_EUlS1M_E_NS1_11comp_targetILNS1_3genE2ELNS1_11target_archE906ELNS1_3gpuE6ELNS1_3repE0EEENS1_30default_config_static_selectorELNS0_4arch9wavefront6targetE0EEEvSZ_, .Lfunc_end741-_ZN7rocprim17ROCPRIM_400000_NS6detail17trampoline_kernelINS0_13select_configILj256ELj13ELNS0_17block_load_methodE3ELS4_3ELS4_3ELNS0_20block_scan_algorithmE0ELj4294967295EEENS1_25partition_config_selectorILNS1_17partition_subalgoE4EjNS0_10empty_typeEbEEZZNS1_14partition_implILS8_4ELb0ES6_15HIP_vector_typeIjLj2EENS0_17counting_iteratorIjlEEPS9_SG_NS0_5tupleIJPjSI_NS0_16reverse_iteratorISI_EEEEENSH_IJSG_SG_SG_EEES9_SI_JZNS1_25segmented_radix_sort_implINS0_14default_configELb0EPKlPlSQ_SR_N2at6native12_GLOBAL__N_18offset_tEEE10hipError_tPvRmT1_PNSt15iterator_traitsISZ_E10value_typeET2_T3_PNS10_IS15_E10value_typeET4_jRbjT5_S1B_jjP12ihipStream_tbEUljE_ZNSN_ISO_Lb0ESQ_SR_SQ_SR_SV_EESW_SX_SY_SZ_S13_S14_S15_S18_S19_jS1A_jS1B_S1B_jjS1D_bEUljE0_EEESW_SX_SY_S15_S19_S1B_T6_T7_T9_mT8_S1D_bDpT10_ENKUlT_T0_E_clISt17integral_constantIbLb0EES1R_EEDaS1M_S1N_EUlS1M_E_NS1_11comp_targetILNS1_3genE2ELNS1_11target_archE906ELNS1_3gpuE6ELNS1_3repE0EEENS1_30default_config_static_selectorELNS0_4arch9wavefront6targetE0EEEvSZ_
                                        ; -- End function
	.set _ZN7rocprim17ROCPRIM_400000_NS6detail17trampoline_kernelINS0_13select_configILj256ELj13ELNS0_17block_load_methodE3ELS4_3ELS4_3ELNS0_20block_scan_algorithmE0ELj4294967295EEENS1_25partition_config_selectorILNS1_17partition_subalgoE4EjNS0_10empty_typeEbEEZZNS1_14partition_implILS8_4ELb0ES6_15HIP_vector_typeIjLj2EENS0_17counting_iteratorIjlEEPS9_SG_NS0_5tupleIJPjSI_NS0_16reverse_iteratorISI_EEEEENSH_IJSG_SG_SG_EEES9_SI_JZNS1_25segmented_radix_sort_implINS0_14default_configELb0EPKlPlSQ_SR_N2at6native12_GLOBAL__N_18offset_tEEE10hipError_tPvRmT1_PNSt15iterator_traitsISZ_E10value_typeET2_T3_PNS10_IS15_E10value_typeET4_jRbjT5_S1B_jjP12ihipStream_tbEUljE_ZNSN_ISO_Lb0ESQ_SR_SQ_SR_SV_EESW_SX_SY_SZ_S13_S14_S15_S18_S19_jS1A_jS1B_S1B_jjS1D_bEUljE0_EEESW_SX_SY_S15_S19_S1B_T6_T7_T9_mT8_S1D_bDpT10_ENKUlT_T0_E_clISt17integral_constantIbLb0EES1R_EEDaS1M_S1N_EUlS1M_E_NS1_11comp_targetILNS1_3genE2ELNS1_11target_archE906ELNS1_3gpuE6ELNS1_3repE0EEENS1_30default_config_static_selectorELNS0_4arch9wavefront6targetE0EEEvSZ_.num_vgpr, 0
	.set _ZN7rocprim17ROCPRIM_400000_NS6detail17trampoline_kernelINS0_13select_configILj256ELj13ELNS0_17block_load_methodE3ELS4_3ELS4_3ELNS0_20block_scan_algorithmE0ELj4294967295EEENS1_25partition_config_selectorILNS1_17partition_subalgoE4EjNS0_10empty_typeEbEEZZNS1_14partition_implILS8_4ELb0ES6_15HIP_vector_typeIjLj2EENS0_17counting_iteratorIjlEEPS9_SG_NS0_5tupleIJPjSI_NS0_16reverse_iteratorISI_EEEEENSH_IJSG_SG_SG_EEES9_SI_JZNS1_25segmented_radix_sort_implINS0_14default_configELb0EPKlPlSQ_SR_N2at6native12_GLOBAL__N_18offset_tEEE10hipError_tPvRmT1_PNSt15iterator_traitsISZ_E10value_typeET2_T3_PNS10_IS15_E10value_typeET4_jRbjT5_S1B_jjP12ihipStream_tbEUljE_ZNSN_ISO_Lb0ESQ_SR_SQ_SR_SV_EESW_SX_SY_SZ_S13_S14_S15_S18_S19_jS1A_jS1B_S1B_jjS1D_bEUljE0_EEESW_SX_SY_S15_S19_S1B_T6_T7_T9_mT8_S1D_bDpT10_ENKUlT_T0_E_clISt17integral_constantIbLb0EES1R_EEDaS1M_S1N_EUlS1M_E_NS1_11comp_targetILNS1_3genE2ELNS1_11target_archE906ELNS1_3gpuE6ELNS1_3repE0EEENS1_30default_config_static_selectorELNS0_4arch9wavefront6targetE0EEEvSZ_.num_agpr, 0
	.set _ZN7rocprim17ROCPRIM_400000_NS6detail17trampoline_kernelINS0_13select_configILj256ELj13ELNS0_17block_load_methodE3ELS4_3ELS4_3ELNS0_20block_scan_algorithmE0ELj4294967295EEENS1_25partition_config_selectorILNS1_17partition_subalgoE4EjNS0_10empty_typeEbEEZZNS1_14partition_implILS8_4ELb0ES6_15HIP_vector_typeIjLj2EENS0_17counting_iteratorIjlEEPS9_SG_NS0_5tupleIJPjSI_NS0_16reverse_iteratorISI_EEEEENSH_IJSG_SG_SG_EEES9_SI_JZNS1_25segmented_radix_sort_implINS0_14default_configELb0EPKlPlSQ_SR_N2at6native12_GLOBAL__N_18offset_tEEE10hipError_tPvRmT1_PNSt15iterator_traitsISZ_E10value_typeET2_T3_PNS10_IS15_E10value_typeET4_jRbjT5_S1B_jjP12ihipStream_tbEUljE_ZNSN_ISO_Lb0ESQ_SR_SQ_SR_SV_EESW_SX_SY_SZ_S13_S14_S15_S18_S19_jS1A_jS1B_S1B_jjS1D_bEUljE0_EEESW_SX_SY_S15_S19_S1B_T6_T7_T9_mT8_S1D_bDpT10_ENKUlT_T0_E_clISt17integral_constantIbLb0EES1R_EEDaS1M_S1N_EUlS1M_E_NS1_11comp_targetILNS1_3genE2ELNS1_11target_archE906ELNS1_3gpuE6ELNS1_3repE0EEENS1_30default_config_static_selectorELNS0_4arch9wavefront6targetE0EEEvSZ_.numbered_sgpr, 0
	.set _ZN7rocprim17ROCPRIM_400000_NS6detail17trampoline_kernelINS0_13select_configILj256ELj13ELNS0_17block_load_methodE3ELS4_3ELS4_3ELNS0_20block_scan_algorithmE0ELj4294967295EEENS1_25partition_config_selectorILNS1_17partition_subalgoE4EjNS0_10empty_typeEbEEZZNS1_14partition_implILS8_4ELb0ES6_15HIP_vector_typeIjLj2EENS0_17counting_iteratorIjlEEPS9_SG_NS0_5tupleIJPjSI_NS0_16reverse_iteratorISI_EEEEENSH_IJSG_SG_SG_EEES9_SI_JZNS1_25segmented_radix_sort_implINS0_14default_configELb0EPKlPlSQ_SR_N2at6native12_GLOBAL__N_18offset_tEEE10hipError_tPvRmT1_PNSt15iterator_traitsISZ_E10value_typeET2_T3_PNS10_IS15_E10value_typeET4_jRbjT5_S1B_jjP12ihipStream_tbEUljE_ZNSN_ISO_Lb0ESQ_SR_SQ_SR_SV_EESW_SX_SY_SZ_S13_S14_S15_S18_S19_jS1A_jS1B_S1B_jjS1D_bEUljE0_EEESW_SX_SY_S15_S19_S1B_T6_T7_T9_mT8_S1D_bDpT10_ENKUlT_T0_E_clISt17integral_constantIbLb0EES1R_EEDaS1M_S1N_EUlS1M_E_NS1_11comp_targetILNS1_3genE2ELNS1_11target_archE906ELNS1_3gpuE6ELNS1_3repE0EEENS1_30default_config_static_selectorELNS0_4arch9wavefront6targetE0EEEvSZ_.num_named_barrier, 0
	.set _ZN7rocprim17ROCPRIM_400000_NS6detail17trampoline_kernelINS0_13select_configILj256ELj13ELNS0_17block_load_methodE3ELS4_3ELS4_3ELNS0_20block_scan_algorithmE0ELj4294967295EEENS1_25partition_config_selectorILNS1_17partition_subalgoE4EjNS0_10empty_typeEbEEZZNS1_14partition_implILS8_4ELb0ES6_15HIP_vector_typeIjLj2EENS0_17counting_iteratorIjlEEPS9_SG_NS0_5tupleIJPjSI_NS0_16reverse_iteratorISI_EEEEENSH_IJSG_SG_SG_EEES9_SI_JZNS1_25segmented_radix_sort_implINS0_14default_configELb0EPKlPlSQ_SR_N2at6native12_GLOBAL__N_18offset_tEEE10hipError_tPvRmT1_PNSt15iterator_traitsISZ_E10value_typeET2_T3_PNS10_IS15_E10value_typeET4_jRbjT5_S1B_jjP12ihipStream_tbEUljE_ZNSN_ISO_Lb0ESQ_SR_SQ_SR_SV_EESW_SX_SY_SZ_S13_S14_S15_S18_S19_jS1A_jS1B_S1B_jjS1D_bEUljE0_EEESW_SX_SY_S15_S19_S1B_T6_T7_T9_mT8_S1D_bDpT10_ENKUlT_T0_E_clISt17integral_constantIbLb0EES1R_EEDaS1M_S1N_EUlS1M_E_NS1_11comp_targetILNS1_3genE2ELNS1_11target_archE906ELNS1_3gpuE6ELNS1_3repE0EEENS1_30default_config_static_selectorELNS0_4arch9wavefront6targetE0EEEvSZ_.private_seg_size, 0
	.set _ZN7rocprim17ROCPRIM_400000_NS6detail17trampoline_kernelINS0_13select_configILj256ELj13ELNS0_17block_load_methodE3ELS4_3ELS4_3ELNS0_20block_scan_algorithmE0ELj4294967295EEENS1_25partition_config_selectorILNS1_17partition_subalgoE4EjNS0_10empty_typeEbEEZZNS1_14partition_implILS8_4ELb0ES6_15HIP_vector_typeIjLj2EENS0_17counting_iteratorIjlEEPS9_SG_NS0_5tupleIJPjSI_NS0_16reverse_iteratorISI_EEEEENSH_IJSG_SG_SG_EEES9_SI_JZNS1_25segmented_radix_sort_implINS0_14default_configELb0EPKlPlSQ_SR_N2at6native12_GLOBAL__N_18offset_tEEE10hipError_tPvRmT1_PNSt15iterator_traitsISZ_E10value_typeET2_T3_PNS10_IS15_E10value_typeET4_jRbjT5_S1B_jjP12ihipStream_tbEUljE_ZNSN_ISO_Lb0ESQ_SR_SQ_SR_SV_EESW_SX_SY_SZ_S13_S14_S15_S18_S19_jS1A_jS1B_S1B_jjS1D_bEUljE0_EEESW_SX_SY_S15_S19_S1B_T6_T7_T9_mT8_S1D_bDpT10_ENKUlT_T0_E_clISt17integral_constantIbLb0EES1R_EEDaS1M_S1N_EUlS1M_E_NS1_11comp_targetILNS1_3genE2ELNS1_11target_archE906ELNS1_3gpuE6ELNS1_3repE0EEENS1_30default_config_static_selectorELNS0_4arch9wavefront6targetE0EEEvSZ_.uses_vcc, 0
	.set _ZN7rocprim17ROCPRIM_400000_NS6detail17trampoline_kernelINS0_13select_configILj256ELj13ELNS0_17block_load_methodE3ELS4_3ELS4_3ELNS0_20block_scan_algorithmE0ELj4294967295EEENS1_25partition_config_selectorILNS1_17partition_subalgoE4EjNS0_10empty_typeEbEEZZNS1_14partition_implILS8_4ELb0ES6_15HIP_vector_typeIjLj2EENS0_17counting_iteratorIjlEEPS9_SG_NS0_5tupleIJPjSI_NS0_16reverse_iteratorISI_EEEEENSH_IJSG_SG_SG_EEES9_SI_JZNS1_25segmented_radix_sort_implINS0_14default_configELb0EPKlPlSQ_SR_N2at6native12_GLOBAL__N_18offset_tEEE10hipError_tPvRmT1_PNSt15iterator_traitsISZ_E10value_typeET2_T3_PNS10_IS15_E10value_typeET4_jRbjT5_S1B_jjP12ihipStream_tbEUljE_ZNSN_ISO_Lb0ESQ_SR_SQ_SR_SV_EESW_SX_SY_SZ_S13_S14_S15_S18_S19_jS1A_jS1B_S1B_jjS1D_bEUljE0_EEESW_SX_SY_S15_S19_S1B_T6_T7_T9_mT8_S1D_bDpT10_ENKUlT_T0_E_clISt17integral_constantIbLb0EES1R_EEDaS1M_S1N_EUlS1M_E_NS1_11comp_targetILNS1_3genE2ELNS1_11target_archE906ELNS1_3gpuE6ELNS1_3repE0EEENS1_30default_config_static_selectorELNS0_4arch9wavefront6targetE0EEEvSZ_.uses_flat_scratch, 0
	.set _ZN7rocprim17ROCPRIM_400000_NS6detail17trampoline_kernelINS0_13select_configILj256ELj13ELNS0_17block_load_methodE3ELS4_3ELS4_3ELNS0_20block_scan_algorithmE0ELj4294967295EEENS1_25partition_config_selectorILNS1_17partition_subalgoE4EjNS0_10empty_typeEbEEZZNS1_14partition_implILS8_4ELb0ES6_15HIP_vector_typeIjLj2EENS0_17counting_iteratorIjlEEPS9_SG_NS0_5tupleIJPjSI_NS0_16reverse_iteratorISI_EEEEENSH_IJSG_SG_SG_EEES9_SI_JZNS1_25segmented_radix_sort_implINS0_14default_configELb0EPKlPlSQ_SR_N2at6native12_GLOBAL__N_18offset_tEEE10hipError_tPvRmT1_PNSt15iterator_traitsISZ_E10value_typeET2_T3_PNS10_IS15_E10value_typeET4_jRbjT5_S1B_jjP12ihipStream_tbEUljE_ZNSN_ISO_Lb0ESQ_SR_SQ_SR_SV_EESW_SX_SY_SZ_S13_S14_S15_S18_S19_jS1A_jS1B_S1B_jjS1D_bEUljE0_EEESW_SX_SY_S15_S19_S1B_T6_T7_T9_mT8_S1D_bDpT10_ENKUlT_T0_E_clISt17integral_constantIbLb0EES1R_EEDaS1M_S1N_EUlS1M_E_NS1_11comp_targetILNS1_3genE2ELNS1_11target_archE906ELNS1_3gpuE6ELNS1_3repE0EEENS1_30default_config_static_selectorELNS0_4arch9wavefront6targetE0EEEvSZ_.has_dyn_sized_stack, 0
	.set _ZN7rocprim17ROCPRIM_400000_NS6detail17trampoline_kernelINS0_13select_configILj256ELj13ELNS0_17block_load_methodE3ELS4_3ELS4_3ELNS0_20block_scan_algorithmE0ELj4294967295EEENS1_25partition_config_selectorILNS1_17partition_subalgoE4EjNS0_10empty_typeEbEEZZNS1_14partition_implILS8_4ELb0ES6_15HIP_vector_typeIjLj2EENS0_17counting_iteratorIjlEEPS9_SG_NS0_5tupleIJPjSI_NS0_16reverse_iteratorISI_EEEEENSH_IJSG_SG_SG_EEES9_SI_JZNS1_25segmented_radix_sort_implINS0_14default_configELb0EPKlPlSQ_SR_N2at6native12_GLOBAL__N_18offset_tEEE10hipError_tPvRmT1_PNSt15iterator_traitsISZ_E10value_typeET2_T3_PNS10_IS15_E10value_typeET4_jRbjT5_S1B_jjP12ihipStream_tbEUljE_ZNSN_ISO_Lb0ESQ_SR_SQ_SR_SV_EESW_SX_SY_SZ_S13_S14_S15_S18_S19_jS1A_jS1B_S1B_jjS1D_bEUljE0_EEESW_SX_SY_S15_S19_S1B_T6_T7_T9_mT8_S1D_bDpT10_ENKUlT_T0_E_clISt17integral_constantIbLb0EES1R_EEDaS1M_S1N_EUlS1M_E_NS1_11comp_targetILNS1_3genE2ELNS1_11target_archE906ELNS1_3gpuE6ELNS1_3repE0EEENS1_30default_config_static_selectorELNS0_4arch9wavefront6targetE0EEEvSZ_.has_recursion, 0
	.set _ZN7rocprim17ROCPRIM_400000_NS6detail17trampoline_kernelINS0_13select_configILj256ELj13ELNS0_17block_load_methodE3ELS4_3ELS4_3ELNS0_20block_scan_algorithmE0ELj4294967295EEENS1_25partition_config_selectorILNS1_17partition_subalgoE4EjNS0_10empty_typeEbEEZZNS1_14partition_implILS8_4ELb0ES6_15HIP_vector_typeIjLj2EENS0_17counting_iteratorIjlEEPS9_SG_NS0_5tupleIJPjSI_NS0_16reverse_iteratorISI_EEEEENSH_IJSG_SG_SG_EEES9_SI_JZNS1_25segmented_radix_sort_implINS0_14default_configELb0EPKlPlSQ_SR_N2at6native12_GLOBAL__N_18offset_tEEE10hipError_tPvRmT1_PNSt15iterator_traitsISZ_E10value_typeET2_T3_PNS10_IS15_E10value_typeET4_jRbjT5_S1B_jjP12ihipStream_tbEUljE_ZNSN_ISO_Lb0ESQ_SR_SQ_SR_SV_EESW_SX_SY_SZ_S13_S14_S15_S18_S19_jS1A_jS1B_S1B_jjS1D_bEUljE0_EEESW_SX_SY_S15_S19_S1B_T6_T7_T9_mT8_S1D_bDpT10_ENKUlT_T0_E_clISt17integral_constantIbLb0EES1R_EEDaS1M_S1N_EUlS1M_E_NS1_11comp_targetILNS1_3genE2ELNS1_11target_archE906ELNS1_3gpuE6ELNS1_3repE0EEENS1_30default_config_static_selectorELNS0_4arch9wavefront6targetE0EEEvSZ_.has_indirect_call, 0
	.section	.AMDGPU.csdata,"",@progbits
; Kernel info:
; codeLenInByte = 0
; TotalNumSgprs: 0
; NumVgprs: 0
; ScratchSize: 0
; MemoryBound: 0
; FloatMode: 240
; IeeeMode: 1
; LDSByteSize: 0 bytes/workgroup (compile time only)
; SGPRBlocks: 0
; VGPRBlocks: 0
; NumSGPRsForWavesPerEU: 1
; NumVGPRsForWavesPerEU: 1
; Occupancy: 16
; WaveLimiterHint : 0
; COMPUTE_PGM_RSRC2:SCRATCH_EN: 0
; COMPUTE_PGM_RSRC2:USER_SGPR: 6
; COMPUTE_PGM_RSRC2:TRAP_HANDLER: 0
; COMPUTE_PGM_RSRC2:TGID_X_EN: 1
; COMPUTE_PGM_RSRC2:TGID_Y_EN: 0
; COMPUTE_PGM_RSRC2:TGID_Z_EN: 0
; COMPUTE_PGM_RSRC2:TIDIG_COMP_CNT: 0
	.section	.text._ZN7rocprim17ROCPRIM_400000_NS6detail17trampoline_kernelINS0_13select_configILj256ELj13ELNS0_17block_load_methodE3ELS4_3ELS4_3ELNS0_20block_scan_algorithmE0ELj4294967295EEENS1_25partition_config_selectorILNS1_17partition_subalgoE4EjNS0_10empty_typeEbEEZZNS1_14partition_implILS8_4ELb0ES6_15HIP_vector_typeIjLj2EENS0_17counting_iteratorIjlEEPS9_SG_NS0_5tupleIJPjSI_NS0_16reverse_iteratorISI_EEEEENSH_IJSG_SG_SG_EEES9_SI_JZNS1_25segmented_radix_sort_implINS0_14default_configELb0EPKlPlSQ_SR_N2at6native12_GLOBAL__N_18offset_tEEE10hipError_tPvRmT1_PNSt15iterator_traitsISZ_E10value_typeET2_T3_PNS10_IS15_E10value_typeET4_jRbjT5_S1B_jjP12ihipStream_tbEUljE_ZNSN_ISO_Lb0ESQ_SR_SQ_SR_SV_EESW_SX_SY_SZ_S13_S14_S15_S18_S19_jS1A_jS1B_S1B_jjS1D_bEUljE0_EEESW_SX_SY_S15_S19_S1B_T6_T7_T9_mT8_S1D_bDpT10_ENKUlT_T0_E_clISt17integral_constantIbLb0EES1R_EEDaS1M_S1N_EUlS1M_E_NS1_11comp_targetILNS1_3genE10ELNS1_11target_archE1200ELNS1_3gpuE4ELNS1_3repE0EEENS1_30default_config_static_selectorELNS0_4arch9wavefront6targetE0EEEvSZ_,"axG",@progbits,_ZN7rocprim17ROCPRIM_400000_NS6detail17trampoline_kernelINS0_13select_configILj256ELj13ELNS0_17block_load_methodE3ELS4_3ELS4_3ELNS0_20block_scan_algorithmE0ELj4294967295EEENS1_25partition_config_selectorILNS1_17partition_subalgoE4EjNS0_10empty_typeEbEEZZNS1_14partition_implILS8_4ELb0ES6_15HIP_vector_typeIjLj2EENS0_17counting_iteratorIjlEEPS9_SG_NS0_5tupleIJPjSI_NS0_16reverse_iteratorISI_EEEEENSH_IJSG_SG_SG_EEES9_SI_JZNS1_25segmented_radix_sort_implINS0_14default_configELb0EPKlPlSQ_SR_N2at6native12_GLOBAL__N_18offset_tEEE10hipError_tPvRmT1_PNSt15iterator_traitsISZ_E10value_typeET2_T3_PNS10_IS15_E10value_typeET4_jRbjT5_S1B_jjP12ihipStream_tbEUljE_ZNSN_ISO_Lb0ESQ_SR_SQ_SR_SV_EESW_SX_SY_SZ_S13_S14_S15_S18_S19_jS1A_jS1B_S1B_jjS1D_bEUljE0_EEESW_SX_SY_S15_S19_S1B_T6_T7_T9_mT8_S1D_bDpT10_ENKUlT_T0_E_clISt17integral_constantIbLb0EES1R_EEDaS1M_S1N_EUlS1M_E_NS1_11comp_targetILNS1_3genE10ELNS1_11target_archE1200ELNS1_3gpuE4ELNS1_3repE0EEENS1_30default_config_static_selectorELNS0_4arch9wavefront6targetE0EEEvSZ_,comdat
	.globl	_ZN7rocprim17ROCPRIM_400000_NS6detail17trampoline_kernelINS0_13select_configILj256ELj13ELNS0_17block_load_methodE3ELS4_3ELS4_3ELNS0_20block_scan_algorithmE0ELj4294967295EEENS1_25partition_config_selectorILNS1_17partition_subalgoE4EjNS0_10empty_typeEbEEZZNS1_14partition_implILS8_4ELb0ES6_15HIP_vector_typeIjLj2EENS0_17counting_iteratorIjlEEPS9_SG_NS0_5tupleIJPjSI_NS0_16reverse_iteratorISI_EEEEENSH_IJSG_SG_SG_EEES9_SI_JZNS1_25segmented_radix_sort_implINS0_14default_configELb0EPKlPlSQ_SR_N2at6native12_GLOBAL__N_18offset_tEEE10hipError_tPvRmT1_PNSt15iterator_traitsISZ_E10value_typeET2_T3_PNS10_IS15_E10value_typeET4_jRbjT5_S1B_jjP12ihipStream_tbEUljE_ZNSN_ISO_Lb0ESQ_SR_SQ_SR_SV_EESW_SX_SY_SZ_S13_S14_S15_S18_S19_jS1A_jS1B_S1B_jjS1D_bEUljE0_EEESW_SX_SY_S15_S19_S1B_T6_T7_T9_mT8_S1D_bDpT10_ENKUlT_T0_E_clISt17integral_constantIbLb0EES1R_EEDaS1M_S1N_EUlS1M_E_NS1_11comp_targetILNS1_3genE10ELNS1_11target_archE1200ELNS1_3gpuE4ELNS1_3repE0EEENS1_30default_config_static_selectorELNS0_4arch9wavefront6targetE0EEEvSZ_ ; -- Begin function _ZN7rocprim17ROCPRIM_400000_NS6detail17trampoline_kernelINS0_13select_configILj256ELj13ELNS0_17block_load_methodE3ELS4_3ELS4_3ELNS0_20block_scan_algorithmE0ELj4294967295EEENS1_25partition_config_selectorILNS1_17partition_subalgoE4EjNS0_10empty_typeEbEEZZNS1_14partition_implILS8_4ELb0ES6_15HIP_vector_typeIjLj2EENS0_17counting_iteratorIjlEEPS9_SG_NS0_5tupleIJPjSI_NS0_16reverse_iteratorISI_EEEEENSH_IJSG_SG_SG_EEES9_SI_JZNS1_25segmented_radix_sort_implINS0_14default_configELb0EPKlPlSQ_SR_N2at6native12_GLOBAL__N_18offset_tEEE10hipError_tPvRmT1_PNSt15iterator_traitsISZ_E10value_typeET2_T3_PNS10_IS15_E10value_typeET4_jRbjT5_S1B_jjP12ihipStream_tbEUljE_ZNSN_ISO_Lb0ESQ_SR_SQ_SR_SV_EESW_SX_SY_SZ_S13_S14_S15_S18_S19_jS1A_jS1B_S1B_jjS1D_bEUljE0_EEESW_SX_SY_S15_S19_S1B_T6_T7_T9_mT8_S1D_bDpT10_ENKUlT_T0_E_clISt17integral_constantIbLb0EES1R_EEDaS1M_S1N_EUlS1M_E_NS1_11comp_targetILNS1_3genE10ELNS1_11target_archE1200ELNS1_3gpuE4ELNS1_3repE0EEENS1_30default_config_static_selectorELNS0_4arch9wavefront6targetE0EEEvSZ_
	.p2align	8
	.type	_ZN7rocprim17ROCPRIM_400000_NS6detail17trampoline_kernelINS0_13select_configILj256ELj13ELNS0_17block_load_methodE3ELS4_3ELS4_3ELNS0_20block_scan_algorithmE0ELj4294967295EEENS1_25partition_config_selectorILNS1_17partition_subalgoE4EjNS0_10empty_typeEbEEZZNS1_14partition_implILS8_4ELb0ES6_15HIP_vector_typeIjLj2EENS0_17counting_iteratorIjlEEPS9_SG_NS0_5tupleIJPjSI_NS0_16reverse_iteratorISI_EEEEENSH_IJSG_SG_SG_EEES9_SI_JZNS1_25segmented_radix_sort_implINS0_14default_configELb0EPKlPlSQ_SR_N2at6native12_GLOBAL__N_18offset_tEEE10hipError_tPvRmT1_PNSt15iterator_traitsISZ_E10value_typeET2_T3_PNS10_IS15_E10value_typeET4_jRbjT5_S1B_jjP12ihipStream_tbEUljE_ZNSN_ISO_Lb0ESQ_SR_SQ_SR_SV_EESW_SX_SY_SZ_S13_S14_S15_S18_S19_jS1A_jS1B_S1B_jjS1D_bEUljE0_EEESW_SX_SY_S15_S19_S1B_T6_T7_T9_mT8_S1D_bDpT10_ENKUlT_T0_E_clISt17integral_constantIbLb0EES1R_EEDaS1M_S1N_EUlS1M_E_NS1_11comp_targetILNS1_3genE10ELNS1_11target_archE1200ELNS1_3gpuE4ELNS1_3repE0EEENS1_30default_config_static_selectorELNS0_4arch9wavefront6targetE0EEEvSZ_,@function
_ZN7rocprim17ROCPRIM_400000_NS6detail17trampoline_kernelINS0_13select_configILj256ELj13ELNS0_17block_load_methodE3ELS4_3ELS4_3ELNS0_20block_scan_algorithmE0ELj4294967295EEENS1_25partition_config_selectorILNS1_17partition_subalgoE4EjNS0_10empty_typeEbEEZZNS1_14partition_implILS8_4ELb0ES6_15HIP_vector_typeIjLj2EENS0_17counting_iteratorIjlEEPS9_SG_NS0_5tupleIJPjSI_NS0_16reverse_iteratorISI_EEEEENSH_IJSG_SG_SG_EEES9_SI_JZNS1_25segmented_radix_sort_implINS0_14default_configELb0EPKlPlSQ_SR_N2at6native12_GLOBAL__N_18offset_tEEE10hipError_tPvRmT1_PNSt15iterator_traitsISZ_E10value_typeET2_T3_PNS10_IS15_E10value_typeET4_jRbjT5_S1B_jjP12ihipStream_tbEUljE_ZNSN_ISO_Lb0ESQ_SR_SQ_SR_SV_EESW_SX_SY_SZ_S13_S14_S15_S18_S19_jS1A_jS1B_S1B_jjS1D_bEUljE0_EEESW_SX_SY_S15_S19_S1B_T6_T7_T9_mT8_S1D_bDpT10_ENKUlT_T0_E_clISt17integral_constantIbLb0EES1R_EEDaS1M_S1N_EUlS1M_E_NS1_11comp_targetILNS1_3genE10ELNS1_11target_archE1200ELNS1_3gpuE4ELNS1_3repE0EEENS1_30default_config_static_selectorELNS0_4arch9wavefront6targetE0EEEvSZ_: ; @_ZN7rocprim17ROCPRIM_400000_NS6detail17trampoline_kernelINS0_13select_configILj256ELj13ELNS0_17block_load_methodE3ELS4_3ELS4_3ELNS0_20block_scan_algorithmE0ELj4294967295EEENS1_25partition_config_selectorILNS1_17partition_subalgoE4EjNS0_10empty_typeEbEEZZNS1_14partition_implILS8_4ELb0ES6_15HIP_vector_typeIjLj2EENS0_17counting_iteratorIjlEEPS9_SG_NS0_5tupleIJPjSI_NS0_16reverse_iteratorISI_EEEEENSH_IJSG_SG_SG_EEES9_SI_JZNS1_25segmented_radix_sort_implINS0_14default_configELb0EPKlPlSQ_SR_N2at6native12_GLOBAL__N_18offset_tEEE10hipError_tPvRmT1_PNSt15iterator_traitsISZ_E10value_typeET2_T3_PNS10_IS15_E10value_typeET4_jRbjT5_S1B_jjP12ihipStream_tbEUljE_ZNSN_ISO_Lb0ESQ_SR_SQ_SR_SV_EESW_SX_SY_SZ_S13_S14_S15_S18_S19_jS1A_jS1B_S1B_jjS1D_bEUljE0_EEESW_SX_SY_S15_S19_S1B_T6_T7_T9_mT8_S1D_bDpT10_ENKUlT_T0_E_clISt17integral_constantIbLb0EES1R_EEDaS1M_S1N_EUlS1M_E_NS1_11comp_targetILNS1_3genE10ELNS1_11target_archE1200ELNS1_3gpuE4ELNS1_3repE0EEENS1_30default_config_static_selectorELNS0_4arch9wavefront6targetE0EEEvSZ_
; %bb.0:
	.section	.rodata,"a",@progbits
	.p2align	6, 0x0
	.amdhsa_kernel _ZN7rocprim17ROCPRIM_400000_NS6detail17trampoline_kernelINS0_13select_configILj256ELj13ELNS0_17block_load_methodE3ELS4_3ELS4_3ELNS0_20block_scan_algorithmE0ELj4294967295EEENS1_25partition_config_selectorILNS1_17partition_subalgoE4EjNS0_10empty_typeEbEEZZNS1_14partition_implILS8_4ELb0ES6_15HIP_vector_typeIjLj2EENS0_17counting_iteratorIjlEEPS9_SG_NS0_5tupleIJPjSI_NS0_16reverse_iteratorISI_EEEEENSH_IJSG_SG_SG_EEES9_SI_JZNS1_25segmented_radix_sort_implINS0_14default_configELb0EPKlPlSQ_SR_N2at6native12_GLOBAL__N_18offset_tEEE10hipError_tPvRmT1_PNSt15iterator_traitsISZ_E10value_typeET2_T3_PNS10_IS15_E10value_typeET4_jRbjT5_S1B_jjP12ihipStream_tbEUljE_ZNSN_ISO_Lb0ESQ_SR_SQ_SR_SV_EESW_SX_SY_SZ_S13_S14_S15_S18_S19_jS1A_jS1B_S1B_jjS1D_bEUljE0_EEESW_SX_SY_S15_S19_S1B_T6_T7_T9_mT8_S1D_bDpT10_ENKUlT_T0_E_clISt17integral_constantIbLb0EES1R_EEDaS1M_S1N_EUlS1M_E_NS1_11comp_targetILNS1_3genE10ELNS1_11target_archE1200ELNS1_3gpuE4ELNS1_3repE0EEENS1_30default_config_static_selectorELNS0_4arch9wavefront6targetE0EEEvSZ_
		.amdhsa_group_segment_fixed_size 0
		.amdhsa_private_segment_fixed_size 0
		.amdhsa_kernarg_size 176
		.amdhsa_user_sgpr_count 6
		.amdhsa_user_sgpr_private_segment_buffer 1
		.amdhsa_user_sgpr_dispatch_ptr 0
		.amdhsa_user_sgpr_queue_ptr 0
		.amdhsa_user_sgpr_kernarg_segment_ptr 1
		.amdhsa_user_sgpr_dispatch_id 0
		.amdhsa_user_sgpr_flat_scratch_init 0
		.amdhsa_user_sgpr_private_segment_size 0
		.amdhsa_wavefront_size32 1
		.amdhsa_uses_dynamic_stack 0
		.amdhsa_system_sgpr_private_segment_wavefront_offset 0
		.amdhsa_system_sgpr_workgroup_id_x 1
		.amdhsa_system_sgpr_workgroup_id_y 0
		.amdhsa_system_sgpr_workgroup_id_z 0
		.amdhsa_system_sgpr_workgroup_info 0
		.amdhsa_system_vgpr_workitem_id 0
		.amdhsa_next_free_vgpr 1
		.amdhsa_next_free_sgpr 1
		.amdhsa_reserve_vcc 0
		.amdhsa_reserve_flat_scratch 0
		.amdhsa_float_round_mode_32 0
		.amdhsa_float_round_mode_16_64 0
		.amdhsa_float_denorm_mode_32 3
		.amdhsa_float_denorm_mode_16_64 3
		.amdhsa_dx10_clamp 1
		.amdhsa_ieee_mode 1
		.amdhsa_fp16_overflow 0
		.amdhsa_workgroup_processor_mode 1
		.amdhsa_memory_ordered 1
		.amdhsa_forward_progress 1
		.amdhsa_shared_vgpr_count 0
		.amdhsa_exception_fp_ieee_invalid_op 0
		.amdhsa_exception_fp_denorm_src 0
		.amdhsa_exception_fp_ieee_div_zero 0
		.amdhsa_exception_fp_ieee_overflow 0
		.amdhsa_exception_fp_ieee_underflow 0
		.amdhsa_exception_fp_ieee_inexact 0
		.amdhsa_exception_int_div_zero 0
	.end_amdhsa_kernel
	.section	.text._ZN7rocprim17ROCPRIM_400000_NS6detail17trampoline_kernelINS0_13select_configILj256ELj13ELNS0_17block_load_methodE3ELS4_3ELS4_3ELNS0_20block_scan_algorithmE0ELj4294967295EEENS1_25partition_config_selectorILNS1_17partition_subalgoE4EjNS0_10empty_typeEbEEZZNS1_14partition_implILS8_4ELb0ES6_15HIP_vector_typeIjLj2EENS0_17counting_iteratorIjlEEPS9_SG_NS0_5tupleIJPjSI_NS0_16reverse_iteratorISI_EEEEENSH_IJSG_SG_SG_EEES9_SI_JZNS1_25segmented_radix_sort_implINS0_14default_configELb0EPKlPlSQ_SR_N2at6native12_GLOBAL__N_18offset_tEEE10hipError_tPvRmT1_PNSt15iterator_traitsISZ_E10value_typeET2_T3_PNS10_IS15_E10value_typeET4_jRbjT5_S1B_jjP12ihipStream_tbEUljE_ZNSN_ISO_Lb0ESQ_SR_SQ_SR_SV_EESW_SX_SY_SZ_S13_S14_S15_S18_S19_jS1A_jS1B_S1B_jjS1D_bEUljE0_EEESW_SX_SY_S15_S19_S1B_T6_T7_T9_mT8_S1D_bDpT10_ENKUlT_T0_E_clISt17integral_constantIbLb0EES1R_EEDaS1M_S1N_EUlS1M_E_NS1_11comp_targetILNS1_3genE10ELNS1_11target_archE1200ELNS1_3gpuE4ELNS1_3repE0EEENS1_30default_config_static_selectorELNS0_4arch9wavefront6targetE0EEEvSZ_,"axG",@progbits,_ZN7rocprim17ROCPRIM_400000_NS6detail17trampoline_kernelINS0_13select_configILj256ELj13ELNS0_17block_load_methodE3ELS4_3ELS4_3ELNS0_20block_scan_algorithmE0ELj4294967295EEENS1_25partition_config_selectorILNS1_17partition_subalgoE4EjNS0_10empty_typeEbEEZZNS1_14partition_implILS8_4ELb0ES6_15HIP_vector_typeIjLj2EENS0_17counting_iteratorIjlEEPS9_SG_NS0_5tupleIJPjSI_NS0_16reverse_iteratorISI_EEEEENSH_IJSG_SG_SG_EEES9_SI_JZNS1_25segmented_radix_sort_implINS0_14default_configELb0EPKlPlSQ_SR_N2at6native12_GLOBAL__N_18offset_tEEE10hipError_tPvRmT1_PNSt15iterator_traitsISZ_E10value_typeET2_T3_PNS10_IS15_E10value_typeET4_jRbjT5_S1B_jjP12ihipStream_tbEUljE_ZNSN_ISO_Lb0ESQ_SR_SQ_SR_SV_EESW_SX_SY_SZ_S13_S14_S15_S18_S19_jS1A_jS1B_S1B_jjS1D_bEUljE0_EEESW_SX_SY_S15_S19_S1B_T6_T7_T9_mT8_S1D_bDpT10_ENKUlT_T0_E_clISt17integral_constantIbLb0EES1R_EEDaS1M_S1N_EUlS1M_E_NS1_11comp_targetILNS1_3genE10ELNS1_11target_archE1200ELNS1_3gpuE4ELNS1_3repE0EEENS1_30default_config_static_selectorELNS0_4arch9wavefront6targetE0EEEvSZ_,comdat
.Lfunc_end742:
	.size	_ZN7rocprim17ROCPRIM_400000_NS6detail17trampoline_kernelINS0_13select_configILj256ELj13ELNS0_17block_load_methodE3ELS4_3ELS4_3ELNS0_20block_scan_algorithmE0ELj4294967295EEENS1_25partition_config_selectorILNS1_17partition_subalgoE4EjNS0_10empty_typeEbEEZZNS1_14partition_implILS8_4ELb0ES6_15HIP_vector_typeIjLj2EENS0_17counting_iteratorIjlEEPS9_SG_NS0_5tupleIJPjSI_NS0_16reverse_iteratorISI_EEEEENSH_IJSG_SG_SG_EEES9_SI_JZNS1_25segmented_radix_sort_implINS0_14default_configELb0EPKlPlSQ_SR_N2at6native12_GLOBAL__N_18offset_tEEE10hipError_tPvRmT1_PNSt15iterator_traitsISZ_E10value_typeET2_T3_PNS10_IS15_E10value_typeET4_jRbjT5_S1B_jjP12ihipStream_tbEUljE_ZNSN_ISO_Lb0ESQ_SR_SQ_SR_SV_EESW_SX_SY_SZ_S13_S14_S15_S18_S19_jS1A_jS1B_S1B_jjS1D_bEUljE0_EEESW_SX_SY_S15_S19_S1B_T6_T7_T9_mT8_S1D_bDpT10_ENKUlT_T0_E_clISt17integral_constantIbLb0EES1R_EEDaS1M_S1N_EUlS1M_E_NS1_11comp_targetILNS1_3genE10ELNS1_11target_archE1200ELNS1_3gpuE4ELNS1_3repE0EEENS1_30default_config_static_selectorELNS0_4arch9wavefront6targetE0EEEvSZ_, .Lfunc_end742-_ZN7rocprim17ROCPRIM_400000_NS6detail17trampoline_kernelINS0_13select_configILj256ELj13ELNS0_17block_load_methodE3ELS4_3ELS4_3ELNS0_20block_scan_algorithmE0ELj4294967295EEENS1_25partition_config_selectorILNS1_17partition_subalgoE4EjNS0_10empty_typeEbEEZZNS1_14partition_implILS8_4ELb0ES6_15HIP_vector_typeIjLj2EENS0_17counting_iteratorIjlEEPS9_SG_NS0_5tupleIJPjSI_NS0_16reverse_iteratorISI_EEEEENSH_IJSG_SG_SG_EEES9_SI_JZNS1_25segmented_radix_sort_implINS0_14default_configELb0EPKlPlSQ_SR_N2at6native12_GLOBAL__N_18offset_tEEE10hipError_tPvRmT1_PNSt15iterator_traitsISZ_E10value_typeET2_T3_PNS10_IS15_E10value_typeET4_jRbjT5_S1B_jjP12ihipStream_tbEUljE_ZNSN_ISO_Lb0ESQ_SR_SQ_SR_SV_EESW_SX_SY_SZ_S13_S14_S15_S18_S19_jS1A_jS1B_S1B_jjS1D_bEUljE0_EEESW_SX_SY_S15_S19_S1B_T6_T7_T9_mT8_S1D_bDpT10_ENKUlT_T0_E_clISt17integral_constantIbLb0EES1R_EEDaS1M_S1N_EUlS1M_E_NS1_11comp_targetILNS1_3genE10ELNS1_11target_archE1200ELNS1_3gpuE4ELNS1_3repE0EEENS1_30default_config_static_selectorELNS0_4arch9wavefront6targetE0EEEvSZ_
                                        ; -- End function
	.set _ZN7rocprim17ROCPRIM_400000_NS6detail17trampoline_kernelINS0_13select_configILj256ELj13ELNS0_17block_load_methodE3ELS4_3ELS4_3ELNS0_20block_scan_algorithmE0ELj4294967295EEENS1_25partition_config_selectorILNS1_17partition_subalgoE4EjNS0_10empty_typeEbEEZZNS1_14partition_implILS8_4ELb0ES6_15HIP_vector_typeIjLj2EENS0_17counting_iteratorIjlEEPS9_SG_NS0_5tupleIJPjSI_NS0_16reverse_iteratorISI_EEEEENSH_IJSG_SG_SG_EEES9_SI_JZNS1_25segmented_radix_sort_implINS0_14default_configELb0EPKlPlSQ_SR_N2at6native12_GLOBAL__N_18offset_tEEE10hipError_tPvRmT1_PNSt15iterator_traitsISZ_E10value_typeET2_T3_PNS10_IS15_E10value_typeET4_jRbjT5_S1B_jjP12ihipStream_tbEUljE_ZNSN_ISO_Lb0ESQ_SR_SQ_SR_SV_EESW_SX_SY_SZ_S13_S14_S15_S18_S19_jS1A_jS1B_S1B_jjS1D_bEUljE0_EEESW_SX_SY_S15_S19_S1B_T6_T7_T9_mT8_S1D_bDpT10_ENKUlT_T0_E_clISt17integral_constantIbLb0EES1R_EEDaS1M_S1N_EUlS1M_E_NS1_11comp_targetILNS1_3genE10ELNS1_11target_archE1200ELNS1_3gpuE4ELNS1_3repE0EEENS1_30default_config_static_selectorELNS0_4arch9wavefront6targetE0EEEvSZ_.num_vgpr, 0
	.set _ZN7rocprim17ROCPRIM_400000_NS6detail17trampoline_kernelINS0_13select_configILj256ELj13ELNS0_17block_load_methodE3ELS4_3ELS4_3ELNS0_20block_scan_algorithmE0ELj4294967295EEENS1_25partition_config_selectorILNS1_17partition_subalgoE4EjNS0_10empty_typeEbEEZZNS1_14partition_implILS8_4ELb0ES6_15HIP_vector_typeIjLj2EENS0_17counting_iteratorIjlEEPS9_SG_NS0_5tupleIJPjSI_NS0_16reverse_iteratorISI_EEEEENSH_IJSG_SG_SG_EEES9_SI_JZNS1_25segmented_radix_sort_implINS0_14default_configELb0EPKlPlSQ_SR_N2at6native12_GLOBAL__N_18offset_tEEE10hipError_tPvRmT1_PNSt15iterator_traitsISZ_E10value_typeET2_T3_PNS10_IS15_E10value_typeET4_jRbjT5_S1B_jjP12ihipStream_tbEUljE_ZNSN_ISO_Lb0ESQ_SR_SQ_SR_SV_EESW_SX_SY_SZ_S13_S14_S15_S18_S19_jS1A_jS1B_S1B_jjS1D_bEUljE0_EEESW_SX_SY_S15_S19_S1B_T6_T7_T9_mT8_S1D_bDpT10_ENKUlT_T0_E_clISt17integral_constantIbLb0EES1R_EEDaS1M_S1N_EUlS1M_E_NS1_11comp_targetILNS1_3genE10ELNS1_11target_archE1200ELNS1_3gpuE4ELNS1_3repE0EEENS1_30default_config_static_selectorELNS0_4arch9wavefront6targetE0EEEvSZ_.num_agpr, 0
	.set _ZN7rocprim17ROCPRIM_400000_NS6detail17trampoline_kernelINS0_13select_configILj256ELj13ELNS0_17block_load_methodE3ELS4_3ELS4_3ELNS0_20block_scan_algorithmE0ELj4294967295EEENS1_25partition_config_selectorILNS1_17partition_subalgoE4EjNS0_10empty_typeEbEEZZNS1_14partition_implILS8_4ELb0ES6_15HIP_vector_typeIjLj2EENS0_17counting_iteratorIjlEEPS9_SG_NS0_5tupleIJPjSI_NS0_16reverse_iteratorISI_EEEEENSH_IJSG_SG_SG_EEES9_SI_JZNS1_25segmented_radix_sort_implINS0_14default_configELb0EPKlPlSQ_SR_N2at6native12_GLOBAL__N_18offset_tEEE10hipError_tPvRmT1_PNSt15iterator_traitsISZ_E10value_typeET2_T3_PNS10_IS15_E10value_typeET4_jRbjT5_S1B_jjP12ihipStream_tbEUljE_ZNSN_ISO_Lb0ESQ_SR_SQ_SR_SV_EESW_SX_SY_SZ_S13_S14_S15_S18_S19_jS1A_jS1B_S1B_jjS1D_bEUljE0_EEESW_SX_SY_S15_S19_S1B_T6_T7_T9_mT8_S1D_bDpT10_ENKUlT_T0_E_clISt17integral_constantIbLb0EES1R_EEDaS1M_S1N_EUlS1M_E_NS1_11comp_targetILNS1_3genE10ELNS1_11target_archE1200ELNS1_3gpuE4ELNS1_3repE0EEENS1_30default_config_static_selectorELNS0_4arch9wavefront6targetE0EEEvSZ_.numbered_sgpr, 0
	.set _ZN7rocprim17ROCPRIM_400000_NS6detail17trampoline_kernelINS0_13select_configILj256ELj13ELNS0_17block_load_methodE3ELS4_3ELS4_3ELNS0_20block_scan_algorithmE0ELj4294967295EEENS1_25partition_config_selectorILNS1_17partition_subalgoE4EjNS0_10empty_typeEbEEZZNS1_14partition_implILS8_4ELb0ES6_15HIP_vector_typeIjLj2EENS0_17counting_iteratorIjlEEPS9_SG_NS0_5tupleIJPjSI_NS0_16reverse_iteratorISI_EEEEENSH_IJSG_SG_SG_EEES9_SI_JZNS1_25segmented_radix_sort_implINS0_14default_configELb0EPKlPlSQ_SR_N2at6native12_GLOBAL__N_18offset_tEEE10hipError_tPvRmT1_PNSt15iterator_traitsISZ_E10value_typeET2_T3_PNS10_IS15_E10value_typeET4_jRbjT5_S1B_jjP12ihipStream_tbEUljE_ZNSN_ISO_Lb0ESQ_SR_SQ_SR_SV_EESW_SX_SY_SZ_S13_S14_S15_S18_S19_jS1A_jS1B_S1B_jjS1D_bEUljE0_EEESW_SX_SY_S15_S19_S1B_T6_T7_T9_mT8_S1D_bDpT10_ENKUlT_T0_E_clISt17integral_constantIbLb0EES1R_EEDaS1M_S1N_EUlS1M_E_NS1_11comp_targetILNS1_3genE10ELNS1_11target_archE1200ELNS1_3gpuE4ELNS1_3repE0EEENS1_30default_config_static_selectorELNS0_4arch9wavefront6targetE0EEEvSZ_.num_named_barrier, 0
	.set _ZN7rocprim17ROCPRIM_400000_NS6detail17trampoline_kernelINS0_13select_configILj256ELj13ELNS0_17block_load_methodE3ELS4_3ELS4_3ELNS0_20block_scan_algorithmE0ELj4294967295EEENS1_25partition_config_selectorILNS1_17partition_subalgoE4EjNS0_10empty_typeEbEEZZNS1_14partition_implILS8_4ELb0ES6_15HIP_vector_typeIjLj2EENS0_17counting_iteratorIjlEEPS9_SG_NS0_5tupleIJPjSI_NS0_16reverse_iteratorISI_EEEEENSH_IJSG_SG_SG_EEES9_SI_JZNS1_25segmented_radix_sort_implINS0_14default_configELb0EPKlPlSQ_SR_N2at6native12_GLOBAL__N_18offset_tEEE10hipError_tPvRmT1_PNSt15iterator_traitsISZ_E10value_typeET2_T3_PNS10_IS15_E10value_typeET4_jRbjT5_S1B_jjP12ihipStream_tbEUljE_ZNSN_ISO_Lb0ESQ_SR_SQ_SR_SV_EESW_SX_SY_SZ_S13_S14_S15_S18_S19_jS1A_jS1B_S1B_jjS1D_bEUljE0_EEESW_SX_SY_S15_S19_S1B_T6_T7_T9_mT8_S1D_bDpT10_ENKUlT_T0_E_clISt17integral_constantIbLb0EES1R_EEDaS1M_S1N_EUlS1M_E_NS1_11comp_targetILNS1_3genE10ELNS1_11target_archE1200ELNS1_3gpuE4ELNS1_3repE0EEENS1_30default_config_static_selectorELNS0_4arch9wavefront6targetE0EEEvSZ_.private_seg_size, 0
	.set _ZN7rocprim17ROCPRIM_400000_NS6detail17trampoline_kernelINS0_13select_configILj256ELj13ELNS0_17block_load_methodE3ELS4_3ELS4_3ELNS0_20block_scan_algorithmE0ELj4294967295EEENS1_25partition_config_selectorILNS1_17partition_subalgoE4EjNS0_10empty_typeEbEEZZNS1_14partition_implILS8_4ELb0ES6_15HIP_vector_typeIjLj2EENS0_17counting_iteratorIjlEEPS9_SG_NS0_5tupleIJPjSI_NS0_16reverse_iteratorISI_EEEEENSH_IJSG_SG_SG_EEES9_SI_JZNS1_25segmented_radix_sort_implINS0_14default_configELb0EPKlPlSQ_SR_N2at6native12_GLOBAL__N_18offset_tEEE10hipError_tPvRmT1_PNSt15iterator_traitsISZ_E10value_typeET2_T3_PNS10_IS15_E10value_typeET4_jRbjT5_S1B_jjP12ihipStream_tbEUljE_ZNSN_ISO_Lb0ESQ_SR_SQ_SR_SV_EESW_SX_SY_SZ_S13_S14_S15_S18_S19_jS1A_jS1B_S1B_jjS1D_bEUljE0_EEESW_SX_SY_S15_S19_S1B_T6_T7_T9_mT8_S1D_bDpT10_ENKUlT_T0_E_clISt17integral_constantIbLb0EES1R_EEDaS1M_S1N_EUlS1M_E_NS1_11comp_targetILNS1_3genE10ELNS1_11target_archE1200ELNS1_3gpuE4ELNS1_3repE0EEENS1_30default_config_static_selectorELNS0_4arch9wavefront6targetE0EEEvSZ_.uses_vcc, 0
	.set _ZN7rocprim17ROCPRIM_400000_NS6detail17trampoline_kernelINS0_13select_configILj256ELj13ELNS0_17block_load_methodE3ELS4_3ELS4_3ELNS0_20block_scan_algorithmE0ELj4294967295EEENS1_25partition_config_selectorILNS1_17partition_subalgoE4EjNS0_10empty_typeEbEEZZNS1_14partition_implILS8_4ELb0ES6_15HIP_vector_typeIjLj2EENS0_17counting_iteratorIjlEEPS9_SG_NS0_5tupleIJPjSI_NS0_16reverse_iteratorISI_EEEEENSH_IJSG_SG_SG_EEES9_SI_JZNS1_25segmented_radix_sort_implINS0_14default_configELb0EPKlPlSQ_SR_N2at6native12_GLOBAL__N_18offset_tEEE10hipError_tPvRmT1_PNSt15iterator_traitsISZ_E10value_typeET2_T3_PNS10_IS15_E10value_typeET4_jRbjT5_S1B_jjP12ihipStream_tbEUljE_ZNSN_ISO_Lb0ESQ_SR_SQ_SR_SV_EESW_SX_SY_SZ_S13_S14_S15_S18_S19_jS1A_jS1B_S1B_jjS1D_bEUljE0_EEESW_SX_SY_S15_S19_S1B_T6_T7_T9_mT8_S1D_bDpT10_ENKUlT_T0_E_clISt17integral_constantIbLb0EES1R_EEDaS1M_S1N_EUlS1M_E_NS1_11comp_targetILNS1_3genE10ELNS1_11target_archE1200ELNS1_3gpuE4ELNS1_3repE0EEENS1_30default_config_static_selectorELNS0_4arch9wavefront6targetE0EEEvSZ_.uses_flat_scratch, 0
	.set _ZN7rocprim17ROCPRIM_400000_NS6detail17trampoline_kernelINS0_13select_configILj256ELj13ELNS0_17block_load_methodE3ELS4_3ELS4_3ELNS0_20block_scan_algorithmE0ELj4294967295EEENS1_25partition_config_selectorILNS1_17partition_subalgoE4EjNS0_10empty_typeEbEEZZNS1_14partition_implILS8_4ELb0ES6_15HIP_vector_typeIjLj2EENS0_17counting_iteratorIjlEEPS9_SG_NS0_5tupleIJPjSI_NS0_16reverse_iteratorISI_EEEEENSH_IJSG_SG_SG_EEES9_SI_JZNS1_25segmented_radix_sort_implINS0_14default_configELb0EPKlPlSQ_SR_N2at6native12_GLOBAL__N_18offset_tEEE10hipError_tPvRmT1_PNSt15iterator_traitsISZ_E10value_typeET2_T3_PNS10_IS15_E10value_typeET4_jRbjT5_S1B_jjP12ihipStream_tbEUljE_ZNSN_ISO_Lb0ESQ_SR_SQ_SR_SV_EESW_SX_SY_SZ_S13_S14_S15_S18_S19_jS1A_jS1B_S1B_jjS1D_bEUljE0_EEESW_SX_SY_S15_S19_S1B_T6_T7_T9_mT8_S1D_bDpT10_ENKUlT_T0_E_clISt17integral_constantIbLb0EES1R_EEDaS1M_S1N_EUlS1M_E_NS1_11comp_targetILNS1_3genE10ELNS1_11target_archE1200ELNS1_3gpuE4ELNS1_3repE0EEENS1_30default_config_static_selectorELNS0_4arch9wavefront6targetE0EEEvSZ_.has_dyn_sized_stack, 0
	.set _ZN7rocprim17ROCPRIM_400000_NS6detail17trampoline_kernelINS0_13select_configILj256ELj13ELNS0_17block_load_methodE3ELS4_3ELS4_3ELNS0_20block_scan_algorithmE0ELj4294967295EEENS1_25partition_config_selectorILNS1_17partition_subalgoE4EjNS0_10empty_typeEbEEZZNS1_14partition_implILS8_4ELb0ES6_15HIP_vector_typeIjLj2EENS0_17counting_iteratorIjlEEPS9_SG_NS0_5tupleIJPjSI_NS0_16reverse_iteratorISI_EEEEENSH_IJSG_SG_SG_EEES9_SI_JZNS1_25segmented_radix_sort_implINS0_14default_configELb0EPKlPlSQ_SR_N2at6native12_GLOBAL__N_18offset_tEEE10hipError_tPvRmT1_PNSt15iterator_traitsISZ_E10value_typeET2_T3_PNS10_IS15_E10value_typeET4_jRbjT5_S1B_jjP12ihipStream_tbEUljE_ZNSN_ISO_Lb0ESQ_SR_SQ_SR_SV_EESW_SX_SY_SZ_S13_S14_S15_S18_S19_jS1A_jS1B_S1B_jjS1D_bEUljE0_EEESW_SX_SY_S15_S19_S1B_T6_T7_T9_mT8_S1D_bDpT10_ENKUlT_T0_E_clISt17integral_constantIbLb0EES1R_EEDaS1M_S1N_EUlS1M_E_NS1_11comp_targetILNS1_3genE10ELNS1_11target_archE1200ELNS1_3gpuE4ELNS1_3repE0EEENS1_30default_config_static_selectorELNS0_4arch9wavefront6targetE0EEEvSZ_.has_recursion, 0
	.set _ZN7rocprim17ROCPRIM_400000_NS6detail17trampoline_kernelINS0_13select_configILj256ELj13ELNS0_17block_load_methodE3ELS4_3ELS4_3ELNS0_20block_scan_algorithmE0ELj4294967295EEENS1_25partition_config_selectorILNS1_17partition_subalgoE4EjNS0_10empty_typeEbEEZZNS1_14partition_implILS8_4ELb0ES6_15HIP_vector_typeIjLj2EENS0_17counting_iteratorIjlEEPS9_SG_NS0_5tupleIJPjSI_NS0_16reverse_iteratorISI_EEEEENSH_IJSG_SG_SG_EEES9_SI_JZNS1_25segmented_radix_sort_implINS0_14default_configELb0EPKlPlSQ_SR_N2at6native12_GLOBAL__N_18offset_tEEE10hipError_tPvRmT1_PNSt15iterator_traitsISZ_E10value_typeET2_T3_PNS10_IS15_E10value_typeET4_jRbjT5_S1B_jjP12ihipStream_tbEUljE_ZNSN_ISO_Lb0ESQ_SR_SQ_SR_SV_EESW_SX_SY_SZ_S13_S14_S15_S18_S19_jS1A_jS1B_S1B_jjS1D_bEUljE0_EEESW_SX_SY_S15_S19_S1B_T6_T7_T9_mT8_S1D_bDpT10_ENKUlT_T0_E_clISt17integral_constantIbLb0EES1R_EEDaS1M_S1N_EUlS1M_E_NS1_11comp_targetILNS1_3genE10ELNS1_11target_archE1200ELNS1_3gpuE4ELNS1_3repE0EEENS1_30default_config_static_selectorELNS0_4arch9wavefront6targetE0EEEvSZ_.has_indirect_call, 0
	.section	.AMDGPU.csdata,"",@progbits
; Kernel info:
; codeLenInByte = 0
; TotalNumSgprs: 0
; NumVgprs: 0
; ScratchSize: 0
; MemoryBound: 0
; FloatMode: 240
; IeeeMode: 1
; LDSByteSize: 0 bytes/workgroup (compile time only)
; SGPRBlocks: 0
; VGPRBlocks: 0
; NumSGPRsForWavesPerEU: 1
; NumVGPRsForWavesPerEU: 1
; Occupancy: 16
; WaveLimiterHint : 0
; COMPUTE_PGM_RSRC2:SCRATCH_EN: 0
; COMPUTE_PGM_RSRC2:USER_SGPR: 6
; COMPUTE_PGM_RSRC2:TRAP_HANDLER: 0
; COMPUTE_PGM_RSRC2:TGID_X_EN: 1
; COMPUTE_PGM_RSRC2:TGID_Y_EN: 0
; COMPUTE_PGM_RSRC2:TGID_Z_EN: 0
; COMPUTE_PGM_RSRC2:TIDIG_COMP_CNT: 0
	.section	.text._ZN7rocprim17ROCPRIM_400000_NS6detail17trampoline_kernelINS0_13select_configILj256ELj13ELNS0_17block_load_methodE3ELS4_3ELS4_3ELNS0_20block_scan_algorithmE0ELj4294967295EEENS1_25partition_config_selectorILNS1_17partition_subalgoE4EjNS0_10empty_typeEbEEZZNS1_14partition_implILS8_4ELb0ES6_15HIP_vector_typeIjLj2EENS0_17counting_iteratorIjlEEPS9_SG_NS0_5tupleIJPjSI_NS0_16reverse_iteratorISI_EEEEENSH_IJSG_SG_SG_EEES9_SI_JZNS1_25segmented_radix_sort_implINS0_14default_configELb0EPKlPlSQ_SR_N2at6native12_GLOBAL__N_18offset_tEEE10hipError_tPvRmT1_PNSt15iterator_traitsISZ_E10value_typeET2_T3_PNS10_IS15_E10value_typeET4_jRbjT5_S1B_jjP12ihipStream_tbEUljE_ZNSN_ISO_Lb0ESQ_SR_SQ_SR_SV_EESW_SX_SY_SZ_S13_S14_S15_S18_S19_jS1A_jS1B_S1B_jjS1D_bEUljE0_EEESW_SX_SY_S15_S19_S1B_T6_T7_T9_mT8_S1D_bDpT10_ENKUlT_T0_E_clISt17integral_constantIbLb0EES1R_EEDaS1M_S1N_EUlS1M_E_NS1_11comp_targetILNS1_3genE9ELNS1_11target_archE1100ELNS1_3gpuE3ELNS1_3repE0EEENS1_30default_config_static_selectorELNS0_4arch9wavefront6targetE0EEEvSZ_,"axG",@progbits,_ZN7rocprim17ROCPRIM_400000_NS6detail17trampoline_kernelINS0_13select_configILj256ELj13ELNS0_17block_load_methodE3ELS4_3ELS4_3ELNS0_20block_scan_algorithmE0ELj4294967295EEENS1_25partition_config_selectorILNS1_17partition_subalgoE4EjNS0_10empty_typeEbEEZZNS1_14partition_implILS8_4ELb0ES6_15HIP_vector_typeIjLj2EENS0_17counting_iteratorIjlEEPS9_SG_NS0_5tupleIJPjSI_NS0_16reverse_iteratorISI_EEEEENSH_IJSG_SG_SG_EEES9_SI_JZNS1_25segmented_radix_sort_implINS0_14default_configELb0EPKlPlSQ_SR_N2at6native12_GLOBAL__N_18offset_tEEE10hipError_tPvRmT1_PNSt15iterator_traitsISZ_E10value_typeET2_T3_PNS10_IS15_E10value_typeET4_jRbjT5_S1B_jjP12ihipStream_tbEUljE_ZNSN_ISO_Lb0ESQ_SR_SQ_SR_SV_EESW_SX_SY_SZ_S13_S14_S15_S18_S19_jS1A_jS1B_S1B_jjS1D_bEUljE0_EEESW_SX_SY_S15_S19_S1B_T6_T7_T9_mT8_S1D_bDpT10_ENKUlT_T0_E_clISt17integral_constantIbLb0EES1R_EEDaS1M_S1N_EUlS1M_E_NS1_11comp_targetILNS1_3genE9ELNS1_11target_archE1100ELNS1_3gpuE3ELNS1_3repE0EEENS1_30default_config_static_selectorELNS0_4arch9wavefront6targetE0EEEvSZ_,comdat
	.globl	_ZN7rocprim17ROCPRIM_400000_NS6detail17trampoline_kernelINS0_13select_configILj256ELj13ELNS0_17block_load_methodE3ELS4_3ELS4_3ELNS0_20block_scan_algorithmE0ELj4294967295EEENS1_25partition_config_selectorILNS1_17partition_subalgoE4EjNS0_10empty_typeEbEEZZNS1_14partition_implILS8_4ELb0ES6_15HIP_vector_typeIjLj2EENS0_17counting_iteratorIjlEEPS9_SG_NS0_5tupleIJPjSI_NS0_16reverse_iteratorISI_EEEEENSH_IJSG_SG_SG_EEES9_SI_JZNS1_25segmented_radix_sort_implINS0_14default_configELb0EPKlPlSQ_SR_N2at6native12_GLOBAL__N_18offset_tEEE10hipError_tPvRmT1_PNSt15iterator_traitsISZ_E10value_typeET2_T3_PNS10_IS15_E10value_typeET4_jRbjT5_S1B_jjP12ihipStream_tbEUljE_ZNSN_ISO_Lb0ESQ_SR_SQ_SR_SV_EESW_SX_SY_SZ_S13_S14_S15_S18_S19_jS1A_jS1B_S1B_jjS1D_bEUljE0_EEESW_SX_SY_S15_S19_S1B_T6_T7_T9_mT8_S1D_bDpT10_ENKUlT_T0_E_clISt17integral_constantIbLb0EES1R_EEDaS1M_S1N_EUlS1M_E_NS1_11comp_targetILNS1_3genE9ELNS1_11target_archE1100ELNS1_3gpuE3ELNS1_3repE0EEENS1_30default_config_static_selectorELNS0_4arch9wavefront6targetE0EEEvSZ_ ; -- Begin function _ZN7rocprim17ROCPRIM_400000_NS6detail17trampoline_kernelINS0_13select_configILj256ELj13ELNS0_17block_load_methodE3ELS4_3ELS4_3ELNS0_20block_scan_algorithmE0ELj4294967295EEENS1_25partition_config_selectorILNS1_17partition_subalgoE4EjNS0_10empty_typeEbEEZZNS1_14partition_implILS8_4ELb0ES6_15HIP_vector_typeIjLj2EENS0_17counting_iteratorIjlEEPS9_SG_NS0_5tupleIJPjSI_NS0_16reverse_iteratorISI_EEEEENSH_IJSG_SG_SG_EEES9_SI_JZNS1_25segmented_radix_sort_implINS0_14default_configELb0EPKlPlSQ_SR_N2at6native12_GLOBAL__N_18offset_tEEE10hipError_tPvRmT1_PNSt15iterator_traitsISZ_E10value_typeET2_T3_PNS10_IS15_E10value_typeET4_jRbjT5_S1B_jjP12ihipStream_tbEUljE_ZNSN_ISO_Lb0ESQ_SR_SQ_SR_SV_EESW_SX_SY_SZ_S13_S14_S15_S18_S19_jS1A_jS1B_S1B_jjS1D_bEUljE0_EEESW_SX_SY_S15_S19_S1B_T6_T7_T9_mT8_S1D_bDpT10_ENKUlT_T0_E_clISt17integral_constantIbLb0EES1R_EEDaS1M_S1N_EUlS1M_E_NS1_11comp_targetILNS1_3genE9ELNS1_11target_archE1100ELNS1_3gpuE3ELNS1_3repE0EEENS1_30default_config_static_selectorELNS0_4arch9wavefront6targetE0EEEvSZ_
	.p2align	8
	.type	_ZN7rocprim17ROCPRIM_400000_NS6detail17trampoline_kernelINS0_13select_configILj256ELj13ELNS0_17block_load_methodE3ELS4_3ELS4_3ELNS0_20block_scan_algorithmE0ELj4294967295EEENS1_25partition_config_selectorILNS1_17partition_subalgoE4EjNS0_10empty_typeEbEEZZNS1_14partition_implILS8_4ELb0ES6_15HIP_vector_typeIjLj2EENS0_17counting_iteratorIjlEEPS9_SG_NS0_5tupleIJPjSI_NS0_16reverse_iteratorISI_EEEEENSH_IJSG_SG_SG_EEES9_SI_JZNS1_25segmented_radix_sort_implINS0_14default_configELb0EPKlPlSQ_SR_N2at6native12_GLOBAL__N_18offset_tEEE10hipError_tPvRmT1_PNSt15iterator_traitsISZ_E10value_typeET2_T3_PNS10_IS15_E10value_typeET4_jRbjT5_S1B_jjP12ihipStream_tbEUljE_ZNSN_ISO_Lb0ESQ_SR_SQ_SR_SV_EESW_SX_SY_SZ_S13_S14_S15_S18_S19_jS1A_jS1B_S1B_jjS1D_bEUljE0_EEESW_SX_SY_S15_S19_S1B_T6_T7_T9_mT8_S1D_bDpT10_ENKUlT_T0_E_clISt17integral_constantIbLb0EES1R_EEDaS1M_S1N_EUlS1M_E_NS1_11comp_targetILNS1_3genE9ELNS1_11target_archE1100ELNS1_3gpuE3ELNS1_3repE0EEENS1_30default_config_static_selectorELNS0_4arch9wavefront6targetE0EEEvSZ_,@function
_ZN7rocprim17ROCPRIM_400000_NS6detail17trampoline_kernelINS0_13select_configILj256ELj13ELNS0_17block_load_methodE3ELS4_3ELS4_3ELNS0_20block_scan_algorithmE0ELj4294967295EEENS1_25partition_config_selectorILNS1_17partition_subalgoE4EjNS0_10empty_typeEbEEZZNS1_14partition_implILS8_4ELb0ES6_15HIP_vector_typeIjLj2EENS0_17counting_iteratorIjlEEPS9_SG_NS0_5tupleIJPjSI_NS0_16reverse_iteratorISI_EEEEENSH_IJSG_SG_SG_EEES9_SI_JZNS1_25segmented_radix_sort_implINS0_14default_configELb0EPKlPlSQ_SR_N2at6native12_GLOBAL__N_18offset_tEEE10hipError_tPvRmT1_PNSt15iterator_traitsISZ_E10value_typeET2_T3_PNS10_IS15_E10value_typeET4_jRbjT5_S1B_jjP12ihipStream_tbEUljE_ZNSN_ISO_Lb0ESQ_SR_SQ_SR_SV_EESW_SX_SY_SZ_S13_S14_S15_S18_S19_jS1A_jS1B_S1B_jjS1D_bEUljE0_EEESW_SX_SY_S15_S19_S1B_T6_T7_T9_mT8_S1D_bDpT10_ENKUlT_T0_E_clISt17integral_constantIbLb0EES1R_EEDaS1M_S1N_EUlS1M_E_NS1_11comp_targetILNS1_3genE9ELNS1_11target_archE1100ELNS1_3gpuE3ELNS1_3repE0EEENS1_30default_config_static_selectorELNS0_4arch9wavefront6targetE0EEEvSZ_: ; @_ZN7rocprim17ROCPRIM_400000_NS6detail17trampoline_kernelINS0_13select_configILj256ELj13ELNS0_17block_load_methodE3ELS4_3ELS4_3ELNS0_20block_scan_algorithmE0ELj4294967295EEENS1_25partition_config_selectorILNS1_17partition_subalgoE4EjNS0_10empty_typeEbEEZZNS1_14partition_implILS8_4ELb0ES6_15HIP_vector_typeIjLj2EENS0_17counting_iteratorIjlEEPS9_SG_NS0_5tupleIJPjSI_NS0_16reverse_iteratorISI_EEEEENSH_IJSG_SG_SG_EEES9_SI_JZNS1_25segmented_radix_sort_implINS0_14default_configELb0EPKlPlSQ_SR_N2at6native12_GLOBAL__N_18offset_tEEE10hipError_tPvRmT1_PNSt15iterator_traitsISZ_E10value_typeET2_T3_PNS10_IS15_E10value_typeET4_jRbjT5_S1B_jjP12ihipStream_tbEUljE_ZNSN_ISO_Lb0ESQ_SR_SQ_SR_SV_EESW_SX_SY_SZ_S13_S14_S15_S18_S19_jS1A_jS1B_S1B_jjS1D_bEUljE0_EEESW_SX_SY_S15_S19_S1B_T6_T7_T9_mT8_S1D_bDpT10_ENKUlT_T0_E_clISt17integral_constantIbLb0EES1R_EEDaS1M_S1N_EUlS1M_E_NS1_11comp_targetILNS1_3genE9ELNS1_11target_archE1100ELNS1_3gpuE3ELNS1_3repE0EEENS1_30default_config_static_selectorELNS0_4arch9wavefront6targetE0EEEvSZ_
; %bb.0:
	.section	.rodata,"a",@progbits
	.p2align	6, 0x0
	.amdhsa_kernel _ZN7rocprim17ROCPRIM_400000_NS6detail17trampoline_kernelINS0_13select_configILj256ELj13ELNS0_17block_load_methodE3ELS4_3ELS4_3ELNS0_20block_scan_algorithmE0ELj4294967295EEENS1_25partition_config_selectorILNS1_17partition_subalgoE4EjNS0_10empty_typeEbEEZZNS1_14partition_implILS8_4ELb0ES6_15HIP_vector_typeIjLj2EENS0_17counting_iteratorIjlEEPS9_SG_NS0_5tupleIJPjSI_NS0_16reverse_iteratorISI_EEEEENSH_IJSG_SG_SG_EEES9_SI_JZNS1_25segmented_radix_sort_implINS0_14default_configELb0EPKlPlSQ_SR_N2at6native12_GLOBAL__N_18offset_tEEE10hipError_tPvRmT1_PNSt15iterator_traitsISZ_E10value_typeET2_T3_PNS10_IS15_E10value_typeET4_jRbjT5_S1B_jjP12ihipStream_tbEUljE_ZNSN_ISO_Lb0ESQ_SR_SQ_SR_SV_EESW_SX_SY_SZ_S13_S14_S15_S18_S19_jS1A_jS1B_S1B_jjS1D_bEUljE0_EEESW_SX_SY_S15_S19_S1B_T6_T7_T9_mT8_S1D_bDpT10_ENKUlT_T0_E_clISt17integral_constantIbLb0EES1R_EEDaS1M_S1N_EUlS1M_E_NS1_11comp_targetILNS1_3genE9ELNS1_11target_archE1100ELNS1_3gpuE3ELNS1_3repE0EEENS1_30default_config_static_selectorELNS0_4arch9wavefront6targetE0EEEvSZ_
		.amdhsa_group_segment_fixed_size 0
		.amdhsa_private_segment_fixed_size 0
		.amdhsa_kernarg_size 176
		.amdhsa_user_sgpr_count 6
		.amdhsa_user_sgpr_private_segment_buffer 1
		.amdhsa_user_sgpr_dispatch_ptr 0
		.amdhsa_user_sgpr_queue_ptr 0
		.amdhsa_user_sgpr_kernarg_segment_ptr 1
		.amdhsa_user_sgpr_dispatch_id 0
		.amdhsa_user_sgpr_flat_scratch_init 0
		.amdhsa_user_sgpr_private_segment_size 0
		.amdhsa_wavefront_size32 1
		.amdhsa_uses_dynamic_stack 0
		.amdhsa_system_sgpr_private_segment_wavefront_offset 0
		.amdhsa_system_sgpr_workgroup_id_x 1
		.amdhsa_system_sgpr_workgroup_id_y 0
		.amdhsa_system_sgpr_workgroup_id_z 0
		.amdhsa_system_sgpr_workgroup_info 0
		.amdhsa_system_vgpr_workitem_id 0
		.amdhsa_next_free_vgpr 1
		.amdhsa_next_free_sgpr 1
		.amdhsa_reserve_vcc 0
		.amdhsa_reserve_flat_scratch 0
		.amdhsa_float_round_mode_32 0
		.amdhsa_float_round_mode_16_64 0
		.amdhsa_float_denorm_mode_32 3
		.amdhsa_float_denorm_mode_16_64 3
		.amdhsa_dx10_clamp 1
		.amdhsa_ieee_mode 1
		.amdhsa_fp16_overflow 0
		.amdhsa_workgroup_processor_mode 1
		.amdhsa_memory_ordered 1
		.amdhsa_forward_progress 1
		.amdhsa_shared_vgpr_count 0
		.amdhsa_exception_fp_ieee_invalid_op 0
		.amdhsa_exception_fp_denorm_src 0
		.amdhsa_exception_fp_ieee_div_zero 0
		.amdhsa_exception_fp_ieee_overflow 0
		.amdhsa_exception_fp_ieee_underflow 0
		.amdhsa_exception_fp_ieee_inexact 0
		.amdhsa_exception_int_div_zero 0
	.end_amdhsa_kernel
	.section	.text._ZN7rocprim17ROCPRIM_400000_NS6detail17trampoline_kernelINS0_13select_configILj256ELj13ELNS0_17block_load_methodE3ELS4_3ELS4_3ELNS0_20block_scan_algorithmE0ELj4294967295EEENS1_25partition_config_selectorILNS1_17partition_subalgoE4EjNS0_10empty_typeEbEEZZNS1_14partition_implILS8_4ELb0ES6_15HIP_vector_typeIjLj2EENS0_17counting_iteratorIjlEEPS9_SG_NS0_5tupleIJPjSI_NS0_16reverse_iteratorISI_EEEEENSH_IJSG_SG_SG_EEES9_SI_JZNS1_25segmented_radix_sort_implINS0_14default_configELb0EPKlPlSQ_SR_N2at6native12_GLOBAL__N_18offset_tEEE10hipError_tPvRmT1_PNSt15iterator_traitsISZ_E10value_typeET2_T3_PNS10_IS15_E10value_typeET4_jRbjT5_S1B_jjP12ihipStream_tbEUljE_ZNSN_ISO_Lb0ESQ_SR_SQ_SR_SV_EESW_SX_SY_SZ_S13_S14_S15_S18_S19_jS1A_jS1B_S1B_jjS1D_bEUljE0_EEESW_SX_SY_S15_S19_S1B_T6_T7_T9_mT8_S1D_bDpT10_ENKUlT_T0_E_clISt17integral_constantIbLb0EES1R_EEDaS1M_S1N_EUlS1M_E_NS1_11comp_targetILNS1_3genE9ELNS1_11target_archE1100ELNS1_3gpuE3ELNS1_3repE0EEENS1_30default_config_static_selectorELNS0_4arch9wavefront6targetE0EEEvSZ_,"axG",@progbits,_ZN7rocprim17ROCPRIM_400000_NS6detail17trampoline_kernelINS0_13select_configILj256ELj13ELNS0_17block_load_methodE3ELS4_3ELS4_3ELNS0_20block_scan_algorithmE0ELj4294967295EEENS1_25partition_config_selectorILNS1_17partition_subalgoE4EjNS0_10empty_typeEbEEZZNS1_14partition_implILS8_4ELb0ES6_15HIP_vector_typeIjLj2EENS0_17counting_iteratorIjlEEPS9_SG_NS0_5tupleIJPjSI_NS0_16reverse_iteratorISI_EEEEENSH_IJSG_SG_SG_EEES9_SI_JZNS1_25segmented_radix_sort_implINS0_14default_configELb0EPKlPlSQ_SR_N2at6native12_GLOBAL__N_18offset_tEEE10hipError_tPvRmT1_PNSt15iterator_traitsISZ_E10value_typeET2_T3_PNS10_IS15_E10value_typeET4_jRbjT5_S1B_jjP12ihipStream_tbEUljE_ZNSN_ISO_Lb0ESQ_SR_SQ_SR_SV_EESW_SX_SY_SZ_S13_S14_S15_S18_S19_jS1A_jS1B_S1B_jjS1D_bEUljE0_EEESW_SX_SY_S15_S19_S1B_T6_T7_T9_mT8_S1D_bDpT10_ENKUlT_T0_E_clISt17integral_constantIbLb0EES1R_EEDaS1M_S1N_EUlS1M_E_NS1_11comp_targetILNS1_3genE9ELNS1_11target_archE1100ELNS1_3gpuE3ELNS1_3repE0EEENS1_30default_config_static_selectorELNS0_4arch9wavefront6targetE0EEEvSZ_,comdat
.Lfunc_end743:
	.size	_ZN7rocprim17ROCPRIM_400000_NS6detail17trampoline_kernelINS0_13select_configILj256ELj13ELNS0_17block_load_methodE3ELS4_3ELS4_3ELNS0_20block_scan_algorithmE0ELj4294967295EEENS1_25partition_config_selectorILNS1_17partition_subalgoE4EjNS0_10empty_typeEbEEZZNS1_14partition_implILS8_4ELb0ES6_15HIP_vector_typeIjLj2EENS0_17counting_iteratorIjlEEPS9_SG_NS0_5tupleIJPjSI_NS0_16reverse_iteratorISI_EEEEENSH_IJSG_SG_SG_EEES9_SI_JZNS1_25segmented_radix_sort_implINS0_14default_configELb0EPKlPlSQ_SR_N2at6native12_GLOBAL__N_18offset_tEEE10hipError_tPvRmT1_PNSt15iterator_traitsISZ_E10value_typeET2_T3_PNS10_IS15_E10value_typeET4_jRbjT5_S1B_jjP12ihipStream_tbEUljE_ZNSN_ISO_Lb0ESQ_SR_SQ_SR_SV_EESW_SX_SY_SZ_S13_S14_S15_S18_S19_jS1A_jS1B_S1B_jjS1D_bEUljE0_EEESW_SX_SY_S15_S19_S1B_T6_T7_T9_mT8_S1D_bDpT10_ENKUlT_T0_E_clISt17integral_constantIbLb0EES1R_EEDaS1M_S1N_EUlS1M_E_NS1_11comp_targetILNS1_3genE9ELNS1_11target_archE1100ELNS1_3gpuE3ELNS1_3repE0EEENS1_30default_config_static_selectorELNS0_4arch9wavefront6targetE0EEEvSZ_, .Lfunc_end743-_ZN7rocprim17ROCPRIM_400000_NS6detail17trampoline_kernelINS0_13select_configILj256ELj13ELNS0_17block_load_methodE3ELS4_3ELS4_3ELNS0_20block_scan_algorithmE0ELj4294967295EEENS1_25partition_config_selectorILNS1_17partition_subalgoE4EjNS0_10empty_typeEbEEZZNS1_14partition_implILS8_4ELb0ES6_15HIP_vector_typeIjLj2EENS0_17counting_iteratorIjlEEPS9_SG_NS0_5tupleIJPjSI_NS0_16reverse_iteratorISI_EEEEENSH_IJSG_SG_SG_EEES9_SI_JZNS1_25segmented_radix_sort_implINS0_14default_configELb0EPKlPlSQ_SR_N2at6native12_GLOBAL__N_18offset_tEEE10hipError_tPvRmT1_PNSt15iterator_traitsISZ_E10value_typeET2_T3_PNS10_IS15_E10value_typeET4_jRbjT5_S1B_jjP12ihipStream_tbEUljE_ZNSN_ISO_Lb0ESQ_SR_SQ_SR_SV_EESW_SX_SY_SZ_S13_S14_S15_S18_S19_jS1A_jS1B_S1B_jjS1D_bEUljE0_EEESW_SX_SY_S15_S19_S1B_T6_T7_T9_mT8_S1D_bDpT10_ENKUlT_T0_E_clISt17integral_constantIbLb0EES1R_EEDaS1M_S1N_EUlS1M_E_NS1_11comp_targetILNS1_3genE9ELNS1_11target_archE1100ELNS1_3gpuE3ELNS1_3repE0EEENS1_30default_config_static_selectorELNS0_4arch9wavefront6targetE0EEEvSZ_
                                        ; -- End function
	.set _ZN7rocprim17ROCPRIM_400000_NS6detail17trampoline_kernelINS0_13select_configILj256ELj13ELNS0_17block_load_methodE3ELS4_3ELS4_3ELNS0_20block_scan_algorithmE0ELj4294967295EEENS1_25partition_config_selectorILNS1_17partition_subalgoE4EjNS0_10empty_typeEbEEZZNS1_14partition_implILS8_4ELb0ES6_15HIP_vector_typeIjLj2EENS0_17counting_iteratorIjlEEPS9_SG_NS0_5tupleIJPjSI_NS0_16reverse_iteratorISI_EEEEENSH_IJSG_SG_SG_EEES9_SI_JZNS1_25segmented_radix_sort_implINS0_14default_configELb0EPKlPlSQ_SR_N2at6native12_GLOBAL__N_18offset_tEEE10hipError_tPvRmT1_PNSt15iterator_traitsISZ_E10value_typeET2_T3_PNS10_IS15_E10value_typeET4_jRbjT5_S1B_jjP12ihipStream_tbEUljE_ZNSN_ISO_Lb0ESQ_SR_SQ_SR_SV_EESW_SX_SY_SZ_S13_S14_S15_S18_S19_jS1A_jS1B_S1B_jjS1D_bEUljE0_EEESW_SX_SY_S15_S19_S1B_T6_T7_T9_mT8_S1D_bDpT10_ENKUlT_T0_E_clISt17integral_constantIbLb0EES1R_EEDaS1M_S1N_EUlS1M_E_NS1_11comp_targetILNS1_3genE9ELNS1_11target_archE1100ELNS1_3gpuE3ELNS1_3repE0EEENS1_30default_config_static_selectorELNS0_4arch9wavefront6targetE0EEEvSZ_.num_vgpr, 0
	.set _ZN7rocprim17ROCPRIM_400000_NS6detail17trampoline_kernelINS0_13select_configILj256ELj13ELNS0_17block_load_methodE3ELS4_3ELS4_3ELNS0_20block_scan_algorithmE0ELj4294967295EEENS1_25partition_config_selectorILNS1_17partition_subalgoE4EjNS0_10empty_typeEbEEZZNS1_14partition_implILS8_4ELb0ES6_15HIP_vector_typeIjLj2EENS0_17counting_iteratorIjlEEPS9_SG_NS0_5tupleIJPjSI_NS0_16reverse_iteratorISI_EEEEENSH_IJSG_SG_SG_EEES9_SI_JZNS1_25segmented_radix_sort_implINS0_14default_configELb0EPKlPlSQ_SR_N2at6native12_GLOBAL__N_18offset_tEEE10hipError_tPvRmT1_PNSt15iterator_traitsISZ_E10value_typeET2_T3_PNS10_IS15_E10value_typeET4_jRbjT5_S1B_jjP12ihipStream_tbEUljE_ZNSN_ISO_Lb0ESQ_SR_SQ_SR_SV_EESW_SX_SY_SZ_S13_S14_S15_S18_S19_jS1A_jS1B_S1B_jjS1D_bEUljE0_EEESW_SX_SY_S15_S19_S1B_T6_T7_T9_mT8_S1D_bDpT10_ENKUlT_T0_E_clISt17integral_constantIbLb0EES1R_EEDaS1M_S1N_EUlS1M_E_NS1_11comp_targetILNS1_3genE9ELNS1_11target_archE1100ELNS1_3gpuE3ELNS1_3repE0EEENS1_30default_config_static_selectorELNS0_4arch9wavefront6targetE0EEEvSZ_.num_agpr, 0
	.set _ZN7rocprim17ROCPRIM_400000_NS6detail17trampoline_kernelINS0_13select_configILj256ELj13ELNS0_17block_load_methodE3ELS4_3ELS4_3ELNS0_20block_scan_algorithmE0ELj4294967295EEENS1_25partition_config_selectorILNS1_17partition_subalgoE4EjNS0_10empty_typeEbEEZZNS1_14partition_implILS8_4ELb0ES6_15HIP_vector_typeIjLj2EENS0_17counting_iteratorIjlEEPS9_SG_NS0_5tupleIJPjSI_NS0_16reverse_iteratorISI_EEEEENSH_IJSG_SG_SG_EEES9_SI_JZNS1_25segmented_radix_sort_implINS0_14default_configELb0EPKlPlSQ_SR_N2at6native12_GLOBAL__N_18offset_tEEE10hipError_tPvRmT1_PNSt15iterator_traitsISZ_E10value_typeET2_T3_PNS10_IS15_E10value_typeET4_jRbjT5_S1B_jjP12ihipStream_tbEUljE_ZNSN_ISO_Lb0ESQ_SR_SQ_SR_SV_EESW_SX_SY_SZ_S13_S14_S15_S18_S19_jS1A_jS1B_S1B_jjS1D_bEUljE0_EEESW_SX_SY_S15_S19_S1B_T6_T7_T9_mT8_S1D_bDpT10_ENKUlT_T0_E_clISt17integral_constantIbLb0EES1R_EEDaS1M_S1N_EUlS1M_E_NS1_11comp_targetILNS1_3genE9ELNS1_11target_archE1100ELNS1_3gpuE3ELNS1_3repE0EEENS1_30default_config_static_selectorELNS0_4arch9wavefront6targetE0EEEvSZ_.numbered_sgpr, 0
	.set _ZN7rocprim17ROCPRIM_400000_NS6detail17trampoline_kernelINS0_13select_configILj256ELj13ELNS0_17block_load_methodE3ELS4_3ELS4_3ELNS0_20block_scan_algorithmE0ELj4294967295EEENS1_25partition_config_selectorILNS1_17partition_subalgoE4EjNS0_10empty_typeEbEEZZNS1_14partition_implILS8_4ELb0ES6_15HIP_vector_typeIjLj2EENS0_17counting_iteratorIjlEEPS9_SG_NS0_5tupleIJPjSI_NS0_16reverse_iteratorISI_EEEEENSH_IJSG_SG_SG_EEES9_SI_JZNS1_25segmented_radix_sort_implINS0_14default_configELb0EPKlPlSQ_SR_N2at6native12_GLOBAL__N_18offset_tEEE10hipError_tPvRmT1_PNSt15iterator_traitsISZ_E10value_typeET2_T3_PNS10_IS15_E10value_typeET4_jRbjT5_S1B_jjP12ihipStream_tbEUljE_ZNSN_ISO_Lb0ESQ_SR_SQ_SR_SV_EESW_SX_SY_SZ_S13_S14_S15_S18_S19_jS1A_jS1B_S1B_jjS1D_bEUljE0_EEESW_SX_SY_S15_S19_S1B_T6_T7_T9_mT8_S1D_bDpT10_ENKUlT_T0_E_clISt17integral_constantIbLb0EES1R_EEDaS1M_S1N_EUlS1M_E_NS1_11comp_targetILNS1_3genE9ELNS1_11target_archE1100ELNS1_3gpuE3ELNS1_3repE0EEENS1_30default_config_static_selectorELNS0_4arch9wavefront6targetE0EEEvSZ_.num_named_barrier, 0
	.set _ZN7rocprim17ROCPRIM_400000_NS6detail17trampoline_kernelINS0_13select_configILj256ELj13ELNS0_17block_load_methodE3ELS4_3ELS4_3ELNS0_20block_scan_algorithmE0ELj4294967295EEENS1_25partition_config_selectorILNS1_17partition_subalgoE4EjNS0_10empty_typeEbEEZZNS1_14partition_implILS8_4ELb0ES6_15HIP_vector_typeIjLj2EENS0_17counting_iteratorIjlEEPS9_SG_NS0_5tupleIJPjSI_NS0_16reverse_iteratorISI_EEEEENSH_IJSG_SG_SG_EEES9_SI_JZNS1_25segmented_radix_sort_implINS0_14default_configELb0EPKlPlSQ_SR_N2at6native12_GLOBAL__N_18offset_tEEE10hipError_tPvRmT1_PNSt15iterator_traitsISZ_E10value_typeET2_T3_PNS10_IS15_E10value_typeET4_jRbjT5_S1B_jjP12ihipStream_tbEUljE_ZNSN_ISO_Lb0ESQ_SR_SQ_SR_SV_EESW_SX_SY_SZ_S13_S14_S15_S18_S19_jS1A_jS1B_S1B_jjS1D_bEUljE0_EEESW_SX_SY_S15_S19_S1B_T6_T7_T9_mT8_S1D_bDpT10_ENKUlT_T0_E_clISt17integral_constantIbLb0EES1R_EEDaS1M_S1N_EUlS1M_E_NS1_11comp_targetILNS1_3genE9ELNS1_11target_archE1100ELNS1_3gpuE3ELNS1_3repE0EEENS1_30default_config_static_selectorELNS0_4arch9wavefront6targetE0EEEvSZ_.private_seg_size, 0
	.set _ZN7rocprim17ROCPRIM_400000_NS6detail17trampoline_kernelINS0_13select_configILj256ELj13ELNS0_17block_load_methodE3ELS4_3ELS4_3ELNS0_20block_scan_algorithmE0ELj4294967295EEENS1_25partition_config_selectorILNS1_17partition_subalgoE4EjNS0_10empty_typeEbEEZZNS1_14partition_implILS8_4ELb0ES6_15HIP_vector_typeIjLj2EENS0_17counting_iteratorIjlEEPS9_SG_NS0_5tupleIJPjSI_NS0_16reverse_iteratorISI_EEEEENSH_IJSG_SG_SG_EEES9_SI_JZNS1_25segmented_radix_sort_implINS0_14default_configELb0EPKlPlSQ_SR_N2at6native12_GLOBAL__N_18offset_tEEE10hipError_tPvRmT1_PNSt15iterator_traitsISZ_E10value_typeET2_T3_PNS10_IS15_E10value_typeET4_jRbjT5_S1B_jjP12ihipStream_tbEUljE_ZNSN_ISO_Lb0ESQ_SR_SQ_SR_SV_EESW_SX_SY_SZ_S13_S14_S15_S18_S19_jS1A_jS1B_S1B_jjS1D_bEUljE0_EEESW_SX_SY_S15_S19_S1B_T6_T7_T9_mT8_S1D_bDpT10_ENKUlT_T0_E_clISt17integral_constantIbLb0EES1R_EEDaS1M_S1N_EUlS1M_E_NS1_11comp_targetILNS1_3genE9ELNS1_11target_archE1100ELNS1_3gpuE3ELNS1_3repE0EEENS1_30default_config_static_selectorELNS0_4arch9wavefront6targetE0EEEvSZ_.uses_vcc, 0
	.set _ZN7rocprim17ROCPRIM_400000_NS6detail17trampoline_kernelINS0_13select_configILj256ELj13ELNS0_17block_load_methodE3ELS4_3ELS4_3ELNS0_20block_scan_algorithmE0ELj4294967295EEENS1_25partition_config_selectorILNS1_17partition_subalgoE4EjNS0_10empty_typeEbEEZZNS1_14partition_implILS8_4ELb0ES6_15HIP_vector_typeIjLj2EENS0_17counting_iteratorIjlEEPS9_SG_NS0_5tupleIJPjSI_NS0_16reverse_iteratorISI_EEEEENSH_IJSG_SG_SG_EEES9_SI_JZNS1_25segmented_radix_sort_implINS0_14default_configELb0EPKlPlSQ_SR_N2at6native12_GLOBAL__N_18offset_tEEE10hipError_tPvRmT1_PNSt15iterator_traitsISZ_E10value_typeET2_T3_PNS10_IS15_E10value_typeET4_jRbjT5_S1B_jjP12ihipStream_tbEUljE_ZNSN_ISO_Lb0ESQ_SR_SQ_SR_SV_EESW_SX_SY_SZ_S13_S14_S15_S18_S19_jS1A_jS1B_S1B_jjS1D_bEUljE0_EEESW_SX_SY_S15_S19_S1B_T6_T7_T9_mT8_S1D_bDpT10_ENKUlT_T0_E_clISt17integral_constantIbLb0EES1R_EEDaS1M_S1N_EUlS1M_E_NS1_11comp_targetILNS1_3genE9ELNS1_11target_archE1100ELNS1_3gpuE3ELNS1_3repE0EEENS1_30default_config_static_selectorELNS0_4arch9wavefront6targetE0EEEvSZ_.uses_flat_scratch, 0
	.set _ZN7rocprim17ROCPRIM_400000_NS6detail17trampoline_kernelINS0_13select_configILj256ELj13ELNS0_17block_load_methodE3ELS4_3ELS4_3ELNS0_20block_scan_algorithmE0ELj4294967295EEENS1_25partition_config_selectorILNS1_17partition_subalgoE4EjNS0_10empty_typeEbEEZZNS1_14partition_implILS8_4ELb0ES6_15HIP_vector_typeIjLj2EENS0_17counting_iteratorIjlEEPS9_SG_NS0_5tupleIJPjSI_NS0_16reverse_iteratorISI_EEEEENSH_IJSG_SG_SG_EEES9_SI_JZNS1_25segmented_radix_sort_implINS0_14default_configELb0EPKlPlSQ_SR_N2at6native12_GLOBAL__N_18offset_tEEE10hipError_tPvRmT1_PNSt15iterator_traitsISZ_E10value_typeET2_T3_PNS10_IS15_E10value_typeET4_jRbjT5_S1B_jjP12ihipStream_tbEUljE_ZNSN_ISO_Lb0ESQ_SR_SQ_SR_SV_EESW_SX_SY_SZ_S13_S14_S15_S18_S19_jS1A_jS1B_S1B_jjS1D_bEUljE0_EEESW_SX_SY_S15_S19_S1B_T6_T7_T9_mT8_S1D_bDpT10_ENKUlT_T0_E_clISt17integral_constantIbLb0EES1R_EEDaS1M_S1N_EUlS1M_E_NS1_11comp_targetILNS1_3genE9ELNS1_11target_archE1100ELNS1_3gpuE3ELNS1_3repE0EEENS1_30default_config_static_selectorELNS0_4arch9wavefront6targetE0EEEvSZ_.has_dyn_sized_stack, 0
	.set _ZN7rocprim17ROCPRIM_400000_NS6detail17trampoline_kernelINS0_13select_configILj256ELj13ELNS0_17block_load_methodE3ELS4_3ELS4_3ELNS0_20block_scan_algorithmE0ELj4294967295EEENS1_25partition_config_selectorILNS1_17partition_subalgoE4EjNS0_10empty_typeEbEEZZNS1_14partition_implILS8_4ELb0ES6_15HIP_vector_typeIjLj2EENS0_17counting_iteratorIjlEEPS9_SG_NS0_5tupleIJPjSI_NS0_16reverse_iteratorISI_EEEEENSH_IJSG_SG_SG_EEES9_SI_JZNS1_25segmented_radix_sort_implINS0_14default_configELb0EPKlPlSQ_SR_N2at6native12_GLOBAL__N_18offset_tEEE10hipError_tPvRmT1_PNSt15iterator_traitsISZ_E10value_typeET2_T3_PNS10_IS15_E10value_typeET4_jRbjT5_S1B_jjP12ihipStream_tbEUljE_ZNSN_ISO_Lb0ESQ_SR_SQ_SR_SV_EESW_SX_SY_SZ_S13_S14_S15_S18_S19_jS1A_jS1B_S1B_jjS1D_bEUljE0_EEESW_SX_SY_S15_S19_S1B_T6_T7_T9_mT8_S1D_bDpT10_ENKUlT_T0_E_clISt17integral_constantIbLb0EES1R_EEDaS1M_S1N_EUlS1M_E_NS1_11comp_targetILNS1_3genE9ELNS1_11target_archE1100ELNS1_3gpuE3ELNS1_3repE0EEENS1_30default_config_static_selectorELNS0_4arch9wavefront6targetE0EEEvSZ_.has_recursion, 0
	.set _ZN7rocprim17ROCPRIM_400000_NS6detail17trampoline_kernelINS0_13select_configILj256ELj13ELNS0_17block_load_methodE3ELS4_3ELS4_3ELNS0_20block_scan_algorithmE0ELj4294967295EEENS1_25partition_config_selectorILNS1_17partition_subalgoE4EjNS0_10empty_typeEbEEZZNS1_14partition_implILS8_4ELb0ES6_15HIP_vector_typeIjLj2EENS0_17counting_iteratorIjlEEPS9_SG_NS0_5tupleIJPjSI_NS0_16reverse_iteratorISI_EEEEENSH_IJSG_SG_SG_EEES9_SI_JZNS1_25segmented_radix_sort_implINS0_14default_configELb0EPKlPlSQ_SR_N2at6native12_GLOBAL__N_18offset_tEEE10hipError_tPvRmT1_PNSt15iterator_traitsISZ_E10value_typeET2_T3_PNS10_IS15_E10value_typeET4_jRbjT5_S1B_jjP12ihipStream_tbEUljE_ZNSN_ISO_Lb0ESQ_SR_SQ_SR_SV_EESW_SX_SY_SZ_S13_S14_S15_S18_S19_jS1A_jS1B_S1B_jjS1D_bEUljE0_EEESW_SX_SY_S15_S19_S1B_T6_T7_T9_mT8_S1D_bDpT10_ENKUlT_T0_E_clISt17integral_constantIbLb0EES1R_EEDaS1M_S1N_EUlS1M_E_NS1_11comp_targetILNS1_3genE9ELNS1_11target_archE1100ELNS1_3gpuE3ELNS1_3repE0EEENS1_30default_config_static_selectorELNS0_4arch9wavefront6targetE0EEEvSZ_.has_indirect_call, 0
	.section	.AMDGPU.csdata,"",@progbits
; Kernel info:
; codeLenInByte = 0
; TotalNumSgprs: 0
; NumVgprs: 0
; ScratchSize: 0
; MemoryBound: 0
; FloatMode: 240
; IeeeMode: 1
; LDSByteSize: 0 bytes/workgroup (compile time only)
; SGPRBlocks: 0
; VGPRBlocks: 0
; NumSGPRsForWavesPerEU: 1
; NumVGPRsForWavesPerEU: 1
; Occupancy: 16
; WaveLimiterHint : 0
; COMPUTE_PGM_RSRC2:SCRATCH_EN: 0
; COMPUTE_PGM_RSRC2:USER_SGPR: 6
; COMPUTE_PGM_RSRC2:TRAP_HANDLER: 0
; COMPUTE_PGM_RSRC2:TGID_X_EN: 1
; COMPUTE_PGM_RSRC2:TGID_Y_EN: 0
; COMPUTE_PGM_RSRC2:TGID_Z_EN: 0
; COMPUTE_PGM_RSRC2:TIDIG_COMP_CNT: 0
	.section	.text._ZN7rocprim17ROCPRIM_400000_NS6detail17trampoline_kernelINS0_13select_configILj256ELj13ELNS0_17block_load_methodE3ELS4_3ELS4_3ELNS0_20block_scan_algorithmE0ELj4294967295EEENS1_25partition_config_selectorILNS1_17partition_subalgoE4EjNS0_10empty_typeEbEEZZNS1_14partition_implILS8_4ELb0ES6_15HIP_vector_typeIjLj2EENS0_17counting_iteratorIjlEEPS9_SG_NS0_5tupleIJPjSI_NS0_16reverse_iteratorISI_EEEEENSH_IJSG_SG_SG_EEES9_SI_JZNS1_25segmented_radix_sort_implINS0_14default_configELb0EPKlPlSQ_SR_N2at6native12_GLOBAL__N_18offset_tEEE10hipError_tPvRmT1_PNSt15iterator_traitsISZ_E10value_typeET2_T3_PNS10_IS15_E10value_typeET4_jRbjT5_S1B_jjP12ihipStream_tbEUljE_ZNSN_ISO_Lb0ESQ_SR_SQ_SR_SV_EESW_SX_SY_SZ_S13_S14_S15_S18_S19_jS1A_jS1B_S1B_jjS1D_bEUljE0_EEESW_SX_SY_S15_S19_S1B_T6_T7_T9_mT8_S1D_bDpT10_ENKUlT_T0_E_clISt17integral_constantIbLb0EES1R_EEDaS1M_S1N_EUlS1M_E_NS1_11comp_targetILNS1_3genE8ELNS1_11target_archE1030ELNS1_3gpuE2ELNS1_3repE0EEENS1_30default_config_static_selectorELNS0_4arch9wavefront6targetE0EEEvSZ_,"axG",@progbits,_ZN7rocprim17ROCPRIM_400000_NS6detail17trampoline_kernelINS0_13select_configILj256ELj13ELNS0_17block_load_methodE3ELS4_3ELS4_3ELNS0_20block_scan_algorithmE0ELj4294967295EEENS1_25partition_config_selectorILNS1_17partition_subalgoE4EjNS0_10empty_typeEbEEZZNS1_14partition_implILS8_4ELb0ES6_15HIP_vector_typeIjLj2EENS0_17counting_iteratorIjlEEPS9_SG_NS0_5tupleIJPjSI_NS0_16reverse_iteratorISI_EEEEENSH_IJSG_SG_SG_EEES9_SI_JZNS1_25segmented_radix_sort_implINS0_14default_configELb0EPKlPlSQ_SR_N2at6native12_GLOBAL__N_18offset_tEEE10hipError_tPvRmT1_PNSt15iterator_traitsISZ_E10value_typeET2_T3_PNS10_IS15_E10value_typeET4_jRbjT5_S1B_jjP12ihipStream_tbEUljE_ZNSN_ISO_Lb0ESQ_SR_SQ_SR_SV_EESW_SX_SY_SZ_S13_S14_S15_S18_S19_jS1A_jS1B_S1B_jjS1D_bEUljE0_EEESW_SX_SY_S15_S19_S1B_T6_T7_T9_mT8_S1D_bDpT10_ENKUlT_T0_E_clISt17integral_constantIbLb0EES1R_EEDaS1M_S1N_EUlS1M_E_NS1_11comp_targetILNS1_3genE8ELNS1_11target_archE1030ELNS1_3gpuE2ELNS1_3repE0EEENS1_30default_config_static_selectorELNS0_4arch9wavefront6targetE0EEEvSZ_,comdat
	.globl	_ZN7rocprim17ROCPRIM_400000_NS6detail17trampoline_kernelINS0_13select_configILj256ELj13ELNS0_17block_load_methodE3ELS4_3ELS4_3ELNS0_20block_scan_algorithmE0ELj4294967295EEENS1_25partition_config_selectorILNS1_17partition_subalgoE4EjNS0_10empty_typeEbEEZZNS1_14partition_implILS8_4ELb0ES6_15HIP_vector_typeIjLj2EENS0_17counting_iteratorIjlEEPS9_SG_NS0_5tupleIJPjSI_NS0_16reverse_iteratorISI_EEEEENSH_IJSG_SG_SG_EEES9_SI_JZNS1_25segmented_radix_sort_implINS0_14default_configELb0EPKlPlSQ_SR_N2at6native12_GLOBAL__N_18offset_tEEE10hipError_tPvRmT1_PNSt15iterator_traitsISZ_E10value_typeET2_T3_PNS10_IS15_E10value_typeET4_jRbjT5_S1B_jjP12ihipStream_tbEUljE_ZNSN_ISO_Lb0ESQ_SR_SQ_SR_SV_EESW_SX_SY_SZ_S13_S14_S15_S18_S19_jS1A_jS1B_S1B_jjS1D_bEUljE0_EEESW_SX_SY_S15_S19_S1B_T6_T7_T9_mT8_S1D_bDpT10_ENKUlT_T0_E_clISt17integral_constantIbLb0EES1R_EEDaS1M_S1N_EUlS1M_E_NS1_11comp_targetILNS1_3genE8ELNS1_11target_archE1030ELNS1_3gpuE2ELNS1_3repE0EEENS1_30default_config_static_selectorELNS0_4arch9wavefront6targetE0EEEvSZ_ ; -- Begin function _ZN7rocprim17ROCPRIM_400000_NS6detail17trampoline_kernelINS0_13select_configILj256ELj13ELNS0_17block_load_methodE3ELS4_3ELS4_3ELNS0_20block_scan_algorithmE0ELj4294967295EEENS1_25partition_config_selectorILNS1_17partition_subalgoE4EjNS0_10empty_typeEbEEZZNS1_14partition_implILS8_4ELb0ES6_15HIP_vector_typeIjLj2EENS0_17counting_iteratorIjlEEPS9_SG_NS0_5tupleIJPjSI_NS0_16reverse_iteratorISI_EEEEENSH_IJSG_SG_SG_EEES9_SI_JZNS1_25segmented_radix_sort_implINS0_14default_configELb0EPKlPlSQ_SR_N2at6native12_GLOBAL__N_18offset_tEEE10hipError_tPvRmT1_PNSt15iterator_traitsISZ_E10value_typeET2_T3_PNS10_IS15_E10value_typeET4_jRbjT5_S1B_jjP12ihipStream_tbEUljE_ZNSN_ISO_Lb0ESQ_SR_SQ_SR_SV_EESW_SX_SY_SZ_S13_S14_S15_S18_S19_jS1A_jS1B_S1B_jjS1D_bEUljE0_EEESW_SX_SY_S15_S19_S1B_T6_T7_T9_mT8_S1D_bDpT10_ENKUlT_T0_E_clISt17integral_constantIbLb0EES1R_EEDaS1M_S1N_EUlS1M_E_NS1_11comp_targetILNS1_3genE8ELNS1_11target_archE1030ELNS1_3gpuE2ELNS1_3repE0EEENS1_30default_config_static_selectorELNS0_4arch9wavefront6targetE0EEEvSZ_
	.p2align	8
	.type	_ZN7rocprim17ROCPRIM_400000_NS6detail17trampoline_kernelINS0_13select_configILj256ELj13ELNS0_17block_load_methodE3ELS4_3ELS4_3ELNS0_20block_scan_algorithmE0ELj4294967295EEENS1_25partition_config_selectorILNS1_17partition_subalgoE4EjNS0_10empty_typeEbEEZZNS1_14partition_implILS8_4ELb0ES6_15HIP_vector_typeIjLj2EENS0_17counting_iteratorIjlEEPS9_SG_NS0_5tupleIJPjSI_NS0_16reverse_iteratorISI_EEEEENSH_IJSG_SG_SG_EEES9_SI_JZNS1_25segmented_radix_sort_implINS0_14default_configELb0EPKlPlSQ_SR_N2at6native12_GLOBAL__N_18offset_tEEE10hipError_tPvRmT1_PNSt15iterator_traitsISZ_E10value_typeET2_T3_PNS10_IS15_E10value_typeET4_jRbjT5_S1B_jjP12ihipStream_tbEUljE_ZNSN_ISO_Lb0ESQ_SR_SQ_SR_SV_EESW_SX_SY_SZ_S13_S14_S15_S18_S19_jS1A_jS1B_S1B_jjS1D_bEUljE0_EEESW_SX_SY_S15_S19_S1B_T6_T7_T9_mT8_S1D_bDpT10_ENKUlT_T0_E_clISt17integral_constantIbLb0EES1R_EEDaS1M_S1N_EUlS1M_E_NS1_11comp_targetILNS1_3genE8ELNS1_11target_archE1030ELNS1_3gpuE2ELNS1_3repE0EEENS1_30default_config_static_selectorELNS0_4arch9wavefront6targetE0EEEvSZ_,@function
_ZN7rocprim17ROCPRIM_400000_NS6detail17trampoline_kernelINS0_13select_configILj256ELj13ELNS0_17block_load_methodE3ELS4_3ELS4_3ELNS0_20block_scan_algorithmE0ELj4294967295EEENS1_25partition_config_selectorILNS1_17partition_subalgoE4EjNS0_10empty_typeEbEEZZNS1_14partition_implILS8_4ELb0ES6_15HIP_vector_typeIjLj2EENS0_17counting_iteratorIjlEEPS9_SG_NS0_5tupleIJPjSI_NS0_16reverse_iteratorISI_EEEEENSH_IJSG_SG_SG_EEES9_SI_JZNS1_25segmented_radix_sort_implINS0_14default_configELb0EPKlPlSQ_SR_N2at6native12_GLOBAL__N_18offset_tEEE10hipError_tPvRmT1_PNSt15iterator_traitsISZ_E10value_typeET2_T3_PNS10_IS15_E10value_typeET4_jRbjT5_S1B_jjP12ihipStream_tbEUljE_ZNSN_ISO_Lb0ESQ_SR_SQ_SR_SV_EESW_SX_SY_SZ_S13_S14_S15_S18_S19_jS1A_jS1B_S1B_jjS1D_bEUljE0_EEESW_SX_SY_S15_S19_S1B_T6_T7_T9_mT8_S1D_bDpT10_ENKUlT_T0_E_clISt17integral_constantIbLb0EES1R_EEDaS1M_S1N_EUlS1M_E_NS1_11comp_targetILNS1_3genE8ELNS1_11target_archE1030ELNS1_3gpuE2ELNS1_3repE0EEENS1_30default_config_static_selectorELNS0_4arch9wavefront6targetE0EEEvSZ_: ; @_ZN7rocprim17ROCPRIM_400000_NS6detail17trampoline_kernelINS0_13select_configILj256ELj13ELNS0_17block_load_methodE3ELS4_3ELS4_3ELNS0_20block_scan_algorithmE0ELj4294967295EEENS1_25partition_config_selectorILNS1_17partition_subalgoE4EjNS0_10empty_typeEbEEZZNS1_14partition_implILS8_4ELb0ES6_15HIP_vector_typeIjLj2EENS0_17counting_iteratorIjlEEPS9_SG_NS0_5tupleIJPjSI_NS0_16reverse_iteratorISI_EEEEENSH_IJSG_SG_SG_EEES9_SI_JZNS1_25segmented_radix_sort_implINS0_14default_configELb0EPKlPlSQ_SR_N2at6native12_GLOBAL__N_18offset_tEEE10hipError_tPvRmT1_PNSt15iterator_traitsISZ_E10value_typeET2_T3_PNS10_IS15_E10value_typeET4_jRbjT5_S1B_jjP12ihipStream_tbEUljE_ZNSN_ISO_Lb0ESQ_SR_SQ_SR_SV_EESW_SX_SY_SZ_S13_S14_S15_S18_S19_jS1A_jS1B_S1B_jjS1D_bEUljE0_EEESW_SX_SY_S15_S19_S1B_T6_T7_T9_mT8_S1D_bDpT10_ENKUlT_T0_E_clISt17integral_constantIbLb0EES1R_EEDaS1M_S1N_EUlS1M_E_NS1_11comp_targetILNS1_3genE8ELNS1_11target_archE1030ELNS1_3gpuE2ELNS1_3repE0EEENS1_30default_config_static_selectorELNS0_4arch9wavefront6targetE0EEEvSZ_
; %bb.0:
	s_clause 0x6
	s_load_dword s3, s[4:5], 0x80
	s_load_dwordx2 s[34:35], s[4:5], 0x10
	s_load_dwordx2 s[0:1], s[4:5], 0x68
	s_load_dword s7, s[4:5], 0x8
	s_load_dwordx4 s[24:27], s[4:5], 0x58
	s_load_dwordx2 s[40:41], s[4:5], 0xa8
	s_load_dwordx8 s[16:23], s[4:5], 0x88
	s_mul_i32 s42, s6, 0xd00
	s_waitcnt lgkmcnt(0)
	s_mul_i32 s2, s3, 0xd00
	s_add_i32 s3, s3, -1
	s_add_u32 s8, s34, s2
	s_addc_u32 s9, s35, 0
	s_load_dwordx4 s[28:31], s[26:27], 0x0
	s_cmp_eq_u32 s6, s3
	v_cmp_gt_u64_e64 s1, s[0:1], s[8:9]
	s_cselect_b32 s33, -1, 0
	s_cmp_lg_u32 s6, s3
	s_cselect_b32 s3, -1, 0
	s_add_i32 s7, s7, s42
	s_or_b32 s1, s3, s1
	s_add_i32 s7, s7, s34
	s_and_b32 vcc_lo, exec_lo, s1
	v_add_nc_u32_e32 v1, s7, v0
	s_mov_b32 s3, -1
	v_add_nc_u32_e32 v2, 0x100, v1
	v_add_nc_u32_e32 v3, 0x200, v1
	v_add_nc_u32_e32 v4, 0x300, v1
	v_add_nc_u32_e32 v5, 0x400, v1
	v_add_nc_u32_e32 v6, 0x500, v1
	v_add_nc_u32_e32 v7, 0x600, v1
	v_add_nc_u32_e32 v8, 0x700, v1
	v_add_nc_u32_e32 v9, 0x800, v1
	v_add_nc_u32_e32 v10, 0x900, v1
	v_add_nc_u32_e32 v11, 0xa00, v1
	v_add_nc_u32_e32 v12, 0xb00, v1
	v_add_nc_u32_e32 v13, 0xc00, v1
	s_cbranch_vccz .LBB744_2
; %bb.1:
	v_lshlrev_b32_e32 v14, 2, v0
	s_mov_b32 s3, 0
	ds_write2st64_b32 v14, v1, v2 offset1:4
	ds_write2st64_b32 v14, v3, v4 offset0:8 offset1:12
	ds_write2st64_b32 v14, v5, v6 offset0:16 offset1:20
	;; [unrolled: 1-line block ×5, first 2 shown]
	ds_write_b32 v14, v13 offset:12288
	s_waitcnt lgkmcnt(0)
	s_barrier
.LBB744_2:
	s_andn2_b32 vcc_lo, exec_lo, s3
	s_add_i32 s2, s2, s34
	s_cbranch_vccnz .LBB744_4
; %bb.3:
	v_lshlrev_b32_e32 v14, 2, v0
	ds_write2st64_b32 v14, v1, v2 offset1:4
	ds_write2st64_b32 v14, v3, v4 offset0:8 offset1:12
	ds_write2st64_b32 v14, v5, v6 offset0:16 offset1:20
	;; [unrolled: 1-line block ×5, first 2 shown]
	ds_write_b32 v14, v13 offset:12288
	s_waitcnt lgkmcnt(0)
	s_barrier
.LBB744_4:
	v_mul_u32_u24_e32 v29, 13, v0
	s_clause 0x1
	s_load_dwordx4 s[36:39], s[4:5], 0x28
	s_load_dwordx2 s[26:27], s[4:5], 0x38
	s_waitcnt lgkmcnt(0)
	buffer_gl0_inv
	v_cndmask_b32_e64 v27, 0, 1, s1
	s_sub_i32 s43, s0, s2
	v_lshlrev_b32_e32 v1, 2, v29
	s_andn2_b32 vcc_lo, exec_lo, s1
	ds_read_b32 v28, v1 offset:48
	ds_read2_b32 v[9:10], v1 offset0:10 offset1:11
	ds_read2_b32 v[11:12], v1 offset0:8 offset1:9
	;; [unrolled: 1-line block ×4, first 2 shown]
	ds_read2_b32 v[19:20], v1 offset1:1
	ds_read2_b32 v[17:18], v1 offset0:2 offset1:3
	s_waitcnt lgkmcnt(0)
	s_barrier
	buffer_gl0_inv
	s_cbranch_vccnz .LBB744_32
; %bb.5:
	v_add_nc_u32_e32 v1, s17, v19
	v_add_nc_u32_e32 v2, s19, v19
	s_mov_b32 s45, 0
	s_mov_b32 s44, 0
	s_mov_b32 s1, exec_lo
	v_mul_lo_u32 v1, v1, s16
	v_mul_lo_u32 v2, v2, s18
	v_sub_nc_u32_e32 v1, v1, v2
	v_cmp_lt_u32_e32 vcc_lo, s20, v1
	v_cmpx_ge_u32_e64 s20, v1
	s_cbranch_execz .LBB744_7
; %bb.6:
	v_add_nc_u32_e32 v1, s22, v19
	v_add_nc_u32_e32 v2, s40, v19
	v_mul_lo_u32 v1, v1, s21
	v_mul_lo_u32 v2, v2, s23
	v_sub_nc_u32_e32 v1, v1, v2
	v_cmp_lt_u32_e64 s0, s41, v1
	s_and_b32 s44, s0, exec_lo
.LBB744_7:
	s_or_b32 exec_lo, exec_lo, s1
	v_add_nc_u32_e32 v1, s17, v20
	v_add_nc_u32_e32 v2, s19, v20
	s_mov_b32 s2, exec_lo
	v_mul_lo_u32 v1, v1, s16
	v_mul_lo_u32 v2, v2, s18
	v_sub_nc_u32_e32 v1, v1, v2
	v_cmp_lt_u32_e64 s0, s20, v1
	v_cmpx_ge_u32_e64 s20, v1
	s_cbranch_execz .LBB744_9
; %bb.8:
	v_add_nc_u32_e32 v1, s22, v20
	v_add_nc_u32_e32 v2, s40, v20
	v_mul_lo_u32 v1, v1, s21
	v_mul_lo_u32 v2, v2, s23
	v_sub_nc_u32_e32 v1, v1, v2
	v_cmp_lt_u32_e64 s1, s41, v1
	s_and_b32 s45, s1, exec_lo
.LBB744_9:
	s_or_b32 exec_lo, exec_lo, s2
	v_add_nc_u32_e32 v1, s17, v17
	v_add_nc_u32_e32 v2, s19, v17
	s_mov_b32 s47, 0
	s_mov_b32 s46, 0
	s_mov_b32 s3, exec_lo
	v_mul_lo_u32 v1, v1, s16
	v_mul_lo_u32 v2, v2, s18
	v_sub_nc_u32_e32 v1, v1, v2
	v_cmp_lt_u32_e64 s1, s20, v1
	v_cmpx_ge_u32_e64 s20, v1
	s_cbranch_execz .LBB744_11
; %bb.10:
	v_add_nc_u32_e32 v1, s22, v17
	v_add_nc_u32_e32 v2, s40, v17
	v_mul_lo_u32 v1, v1, s21
	v_mul_lo_u32 v2, v2, s23
	v_sub_nc_u32_e32 v1, v1, v2
	v_cmp_lt_u32_e64 s2, s41, v1
	s_and_b32 s46, s2, exec_lo
.LBB744_11:
	s_or_b32 exec_lo, exec_lo, s3
	v_add_nc_u32_e32 v1, s17, v18
	v_add_nc_u32_e32 v2, s19, v18
	s_mov_b32 s7, exec_lo
	v_mul_lo_u32 v1, v1, s16
	v_mul_lo_u32 v2, v2, s18
	v_sub_nc_u32_e32 v1, v1, v2
	v_cmp_lt_u32_e64 s2, s20, v1
	v_cmpx_ge_u32_e64 s20, v1
	s_cbranch_execz .LBB744_13
; %bb.12:
	v_add_nc_u32_e32 v1, s22, v18
	v_add_nc_u32_e32 v2, s40, v18
	v_mul_lo_u32 v1, v1, s21
	v_mul_lo_u32 v2, v2, s23
	v_sub_nc_u32_e32 v1, v1, v2
	v_cmp_lt_u32_e64 s3, s41, v1
	s_and_b32 s47, s3, exec_lo
.LBB744_13:
	s_or_b32 exec_lo, exec_lo, s7
	v_add_nc_u32_e32 v1, s17, v15
	v_add_nc_u32_e32 v2, s19, v15
	s_mov_b32 s49, 0
	s_mov_b32 s48, 0
	s_mov_b32 s8, exec_lo
	v_mul_lo_u32 v1, v1, s16
	v_mul_lo_u32 v2, v2, s18
	v_sub_nc_u32_e32 v1, v1, v2
	v_cmp_lt_u32_e64 s3, s20, v1
	;; [unrolled: 40-line block ×6, first 2 shown]
	v_cmpx_ge_u32_e64 s20, v1
	s_cbranch_execz .LBB744_31
; %bb.30:
	v_add_nc_u32_e32 v1, s22, v28
	v_add_nc_u32_e32 v2, s40, v28
	v_mul_lo_u32 v1, v1, s21
	v_mul_lo_u32 v2, v2, s23
	v_sub_nc_u32_e32 v1, v1, v2
	v_cmp_lt_u32_e64 s15, s41, v1
	s_and_b32 s57, s15, exec_lo
.LBB744_31:
	s_or_b32 exec_lo, exec_lo, s58
	v_cndmask_b32_e64 v2, 0, 1, s0
	v_cndmask_b32_e64 v4, 0, 1, s2
	v_cndmask_b32_e64 v1, 0, 1, vcc_lo
	v_cndmask_b32_e64 v3, 0, 1, s1
	v_cndmask_b32_e64 v6, 0, 1, s7
	v_lshlrev_b16 v2, 8, v2
	v_lshlrev_b16 v4, 8, v4
	v_cndmask_b32_e64 v8, 0, 1, s9
	v_cndmask_b32_e64 v22, 0, 1, s11
	;; [unrolled: 1-line block ×3, first 2 shown]
	v_or_b32_e32 v1, v1, v2
	v_or_b32_sdwa v2, v3, v4 dst_sel:WORD_1 dst_unused:UNUSED_PAD src0_sel:DWORD src1_sel:DWORD
	v_cndmask_b32_e64 v3, 0, 1, s44
	v_cndmask_b32_e64 v5, 0, 1, s3
	;; [unrolled: 1-line block ×11, first 2 shown]
	v_or_b32_sdwa v30, v1, v2 dst_sel:DWORD dst_unused:UNUSED_PAD src0_sel:WORD_0 src1_sel:DWORD
	v_lshlrev_b16 v1, 8, v6
	v_lshlrev_b16 v2, 8, v8
	;; [unrolled: 1-line block ×5, first 2 shown]
	v_cndmask_b32_e64 v26, 0, 1, s53
	v_cndmask_b32_e64 v32, 0, 1, s51
	;; [unrolled: 1-line block ×5, first 2 shown]
	v_or_b32_e32 v1, v5, v1
	v_or_b32_sdwa v2, v7, v2 dst_sel:WORD_1 dst_unused:UNUSED_PAD src0_sel:DWORD src1_sel:DWORD
	v_or_b32_e32 v5, v21, v6
	v_or_b32_sdwa v6, v23, v8 dst_sel:WORD_1 dst_unused:UNUSED_PAD src0_sel:DWORD src1_sel:DWORD
	v_or_b32_e32 v3, v4, v3
	v_lshlrev_b16 v4, 8, v39
	v_lshlrev_b16 v7, 8, v36
	;; [unrolled: 1-line block ×5, first 2 shown]
	v_or_b32_sdwa v4, v40, v4 dst_sel:WORD_1 dst_unused:UNUSED_PAD src0_sel:DWORD src1_sel:DWORD
	v_or_b32_e32 v7, v38, v7
	v_or_b32_sdwa v8, v35, v8 dst_sel:WORD_1 dst_unused:UNUSED_PAD src0_sel:DWORD src1_sel:DWORD
	v_or_b32_e32 v21, v32, v21
	v_or_b32_sdwa v22, v26, v22 dst_sel:WORD_1 dst_unused:UNUSED_PAD src0_sel:DWORD src1_sel:DWORD
	v_cndmask_b32_e64 v34, 0, 1, s55
	v_cndmask_b32_e64 v37, 0, 1, s57
	v_or_b32_sdwa v32, v1, v2 dst_sel:DWORD dst_unused:UNUSED_PAD src0_sel:WORD_0 src1_sel:DWORD
	v_or_b32_sdwa v35, v5, v6 dst_sel:DWORD dst_unused:UNUSED_PAD src0_sel:WORD_0 src1_sel:DWORD
	;; [unrolled: 1-line block ×5, first 2 shown]
	s_load_dwordx2 s[4:5], s[4:5], 0x78
	s_and_b32 vcc_lo, exec_lo, s54
	s_add_i32 s7, s43, 0xd00
	s_cbranch_vccnz .LBB744_33
	s_branch .LBB744_110
.LBB744_32:
                                        ; implicit-def: $vgpr37
                                        ; implicit-def: $vgpr34
                                        ; implicit-def: $vgpr33
                                        ; implicit-def: $vgpr31
                                        ; implicit-def: $vgpr36
                                        ; implicit-def: $vgpr35
                                        ; implicit-def: $vgpr32
                                        ; implicit-def: $vgpr30
	s_load_dwordx2 s[4:5], s[4:5], 0x78
	s_add_i32 s7, s43, 0xd00
	s_cbranch_execz .LBB744_110
.LBB744_33:
	v_mov_b32_e32 v2, 0
	v_mov_b32_e32 v1, 0
	s_mov_b32 s1, exec_lo
	v_cmpx_gt_u32_e64 s7, v29
	s_cbranch_execz .LBB744_37
; %bb.34:
	v_add_nc_u32_e32 v1, s17, v19
	v_add_nc_u32_e32 v2, s19, v19
	s_mov_b32 s3, 0
	s_mov_b32 s2, exec_lo
	v_mul_lo_u32 v1, v1, s16
	v_mul_lo_u32 v2, v2, s18
	v_sub_nc_u32_e32 v1, v1, v2
	v_cmp_lt_u32_e32 vcc_lo, s20, v1
	v_cmpx_ge_u32_e64 s20, v1
	s_cbranch_execz .LBB744_36
; %bb.35:
	v_add_nc_u32_e32 v1, s22, v19
	v_add_nc_u32_e32 v2, s40, v19
	v_mul_lo_u32 v1, v1, s21
	v_mul_lo_u32 v2, v2, s23
	v_sub_nc_u32_e32 v1, v1, v2
	v_cmp_lt_u32_e64 s0, s41, v1
	s_and_b32 s3, s0, exec_lo
.LBB744_36:
	s_or_b32 exec_lo, exec_lo, s2
	v_cndmask_b32_e64 v2, 0, 1, s3
	v_cndmask_b32_e64 v1, 0, 1, vcc_lo
.LBB744_37:
	s_or_b32 exec_lo, exec_lo, s1
	v_add_nc_u32_e32 v3, 1, v29
	v_lshlrev_b16 v21, 8, v2
	v_and_b32_e32 v6, 0xff, v1
	v_lshlrev_b16 v7, 8, 0
                                        ; implicit-def: $vgpr5
                                        ; implicit-def: $vgpr8
                                        ; implicit-def: $vgpr2
                                        ; implicit-def: $vgpr4
	v_cmp_le_u32_e32 vcc_lo, s7, v3
                                        ; implicit-def: $vgpr3
	s_and_saveexec_b32 s0, vcc_lo
	s_xor_b32 s0, exec_lo, s0
	s_cbranch_execz .LBB744_39
; %bb.38:
	v_mov_b32_e32 v1, 8
	v_mov_b32_e32 v2, 0xff
	;; [unrolled: 1-line block ×3, first 2 shown]
	v_and_b32_e32 v4, 0xffff, v7
	v_and_b32_e32 v3, 0xffff, v7
	v_lshrrev_b32_sdwa v1, v1, v21 dst_sel:BYTE_1 dst_unused:UNUSED_PAD src0_sel:DWORD src1_sel:WORD_0
	v_and_b32_sdwa v2, v21, v2 dst_sel:DWORD dst_unused:UNUSED_PAD src0_sel:WORD_0 src1_sel:DWORD
                                        ; implicit-def: $vgpr21
	v_or_b32_e32 v1, v2, v1
	v_and_b32_e32 v2, 0xffff, v7
                                        ; implicit-def: $vgpr7
	v_and_b32_e32 v8, 0xffff, v1
                                        ; implicit-def: $vgpr1
.LBB744_39:
	s_andn2_saveexec_b32 s1, s0
	s_cbranch_execz .LBB744_43
; %bb.40:
	v_add_nc_u32_e32 v2, s17, v20
	v_add_nc_u32_e32 v3, s19, v20
	s_mov_b32 s2, 0
	s_mov_b32 s3, exec_lo
	v_mul_lo_u32 v2, v2, s16
	v_mul_lo_u32 v3, v3, s18
	v_sub_nc_u32_e32 v2, v2, v3
	v_cmp_lt_u32_e32 vcc_lo, s20, v2
	v_cmpx_ge_u32_e64 s20, v2
	s_cbranch_execz .LBB744_42
; %bb.41:
	v_add_nc_u32_e32 v2, s22, v20
	v_add_nc_u32_e32 v3, s40, v20
	v_mul_lo_u32 v2, v2, s21
	v_mul_lo_u32 v3, v3, s23
	v_sub_nc_u32_e32 v2, v2, v3
	v_cmp_lt_u32_e64 s0, s41, v2
	s_and_b32 s2, s0, exec_lo
.LBB744_42:
	s_or_b32 exec_lo, exec_lo, s3
	v_mov_b32_e32 v2, 0xff
	v_mov_b32_e32 v3, 8
	v_cndmask_b32_e64 v4, 0, 1, vcc_lo
	v_mov_b32_e32 v5, 0
	v_and_b32_sdwa v2, v21, v2 dst_sel:DWORD dst_unused:UNUSED_PAD src0_sel:WORD_0 src1_sel:DWORD
	v_lshrrev_b32_sdwa v3, v3, v21 dst_sel:BYTE_1 dst_unused:UNUSED_PAD src0_sel:DWORD src1_sel:WORD_0
	v_lshlrev_b16 v4, 8, v4
	v_or_b32_e32 v2, v2, v3
	v_cndmask_b32_e64 v3, 0, 1, s2
	v_or_b32_sdwa v1, v1, v4 dst_sel:DWORD dst_unused:UNUSED_PAD src0_sel:BYTE_0 src1_sel:DWORD
	v_and_b32_e32 v4, 0xffff, v7
	v_and_b32_e32 v8, 0xffff, v2
	v_mov_b32_e32 v2, 0
	v_and_b32_e32 v6, 0xffff, v1
	v_lshl_or_b32 v8, v3, 16, v8
	v_and_b32_e32 v3, 0xffff, v7
.LBB744_43:
	s_or_b32 exec_lo, exec_lo, s1
	v_add_nc_u32_e32 v1, 2, v29
                                        ; implicit-def: $vgpr7
	v_cmp_le_u32_e32 vcc_lo, s7, v1
                                        ; implicit-def: $vgpr1
	s_and_saveexec_b32 s0, vcc_lo
	s_xor_b32 s0, exec_lo, s0
	s_cbranch_execz .LBB744_45
; %bb.44:
	v_lshrrev_b32_e32 v1, 24, v6
	v_mov_b32_e32 v7, 8
	v_and_b32_e32 v21, 0xff0000, v8
	v_perm_b32 v4, v4, v4, 0x3060504
	v_perm_b32 v1, v1, v6, 0x40c0100
	v_lshrrev_b32_sdwa v6, v7, v1 dst_sel:BYTE_1 dst_unused:UNUSED_PAD src0_sel:DWORD src1_sel:DWORD
	v_or_b32_sdwa v6, v1, v6 dst_sel:DWORD dst_unused:UNUSED_PAD src0_sel:BYTE_0 src1_sel:DWORD
	v_and_b32_e32 v6, 0xffff, v6
	v_and_or_b32 v7, 0xff000000, v1, v6
	v_perm_b32 v1, v8, v21, 0x3020504
                                        ; implicit-def: $vgpr6
                                        ; implicit-def: $vgpr8
.LBB744_45:
	s_andn2_saveexec_b32 s1, s0
	s_cbranch_execz .LBB744_49
; %bb.46:
	v_add_nc_u32_e32 v1, s17, v17
	v_add_nc_u32_e32 v7, s19, v17
	s_mov_b32 s2, 0
	s_mov_b32 s3, exec_lo
	v_mul_lo_u32 v1, v1, s16
	v_mul_lo_u32 v7, v7, s18
	v_sub_nc_u32_e32 v1, v1, v7
	v_cmp_lt_u32_e32 vcc_lo, s20, v1
	v_cmpx_ge_u32_e64 s20, v1
	s_cbranch_execz .LBB744_48
; %bb.47:
	v_add_nc_u32_e32 v1, s22, v17
	v_add_nc_u32_e32 v7, s40, v17
	v_mul_lo_u32 v1, v1, s21
	v_mul_lo_u32 v7, v7, s23
	v_sub_nc_u32_e32 v1, v1, v7
	v_cmp_lt_u32_e64 s0, s41, v1
	s_and_b32 s2, s0, exec_lo
.LBB744_48:
	s_or_b32 exec_lo, exec_lo, s3
	v_mov_b32_e32 v1, 8
	v_mov_b32_e32 v7, 24
	v_cndmask_b32_e64 v22, 0, 1, s2
	v_mov_b32_e32 v23, 0xff
	v_cndmask_b32_e64 v21, 0, 1, vcc_lo
	v_lshrrev_b32_sdwa v24, v1, v6 dst_sel:BYTE_1 dst_unused:UNUSED_PAD src0_sel:DWORD src1_sel:DWORD
	v_lshrrev_b32_sdwa v7, v7, v6 dst_sel:BYTE_1 dst_unused:UNUSED_PAD src0_sel:DWORD src1_sel:DWORD
	;; [unrolled: 1-line block ×3, first 2 shown]
	v_lshlrev_b16 v22, 8, v22
	v_and_b32_sdwa v23, v8, v23 dst_sel:DWORD dst_unused:UNUSED_PAD src0_sel:WORD_1 src1_sel:DWORD
	v_or_b32_sdwa v6, v6, v24 dst_sel:DWORD dst_unused:UNUSED_PAD src0_sel:BYTE_0 src1_sel:DWORD
	v_or_b32_sdwa v7, v21, v7 dst_sel:WORD_1 dst_unused:UNUSED_PAD src0_sel:DWORD src1_sel:DWORD
	v_or_b32_sdwa v1, v8, v1 dst_sel:DWORD dst_unused:UNUSED_PAD src0_sel:BYTE_0 src1_sel:DWORD
	v_or_b32_sdwa v8, v23, v22 dst_sel:WORD_1 dst_unused:UNUSED_PAD src0_sel:DWORD src1_sel:DWORD
	v_or_b32_sdwa v7, v6, v7 dst_sel:DWORD dst_unused:UNUSED_PAD src0_sel:WORD_0 src1_sel:DWORD
	v_or_b32_sdwa v1, v1, v8 dst_sel:DWORD dst_unused:UNUSED_PAD src0_sel:WORD_0 src1_sel:DWORD
.LBB744_49:
	s_or_b32 exec_lo, exec_lo, s1
	v_add_nc_u32_e32 v6, 3, v29
                                        ; implicit-def: $vgpr30
	v_cmp_le_u32_e32 vcc_lo, s7, v6
                                        ; implicit-def: $vgpr6
	s_and_saveexec_b32 s0, vcc_lo
	s_xor_b32 s0, exec_lo, s0
	s_cbranch_execz .LBB744_51
; %bb.50:
	v_mov_b32_e32 v6, 24
	v_mov_b32_e32 v8, 0xff
	;; [unrolled: 1-line block ×3, first 2 shown]
	v_and_b32_e32 v22, 0xff0000, v7
	v_perm_b32 v4, v4, v4, 0x3060504
	v_lshrrev_b32_sdwa v6, v6, v5 dst_sel:BYTE_1 dst_unused:UNUSED_PAD src0_sel:DWORD src1_sel:DWORD
	v_and_b32_sdwa v8, v5, v8 dst_sel:DWORD dst_unused:UNUSED_PAD src0_sel:WORD_1 src1_sel:DWORD
	v_lshrrev_b32_sdwa v5, v21, v5 dst_sel:BYTE_1 dst_unused:UNUSED_PAD src0_sel:DWORD src1_sel:DWORD
	v_perm_b32 v30, v7, v22, 0x3020504
	v_perm_b32 v3, v3, v3, 0x3060504
                                        ; implicit-def: $vgpr7
	v_or_b32_sdwa v6, v8, v6 dst_sel:WORD_1 dst_unused:UNUSED_PAD src0_sel:DWORD src1_sel:DWORD
	v_or_b32_sdwa v6, v5, v6 dst_sel:DWORD dst_unused:UNUSED_PAD src0_sel:WORD_0 src1_sel:DWORD
                                        ; implicit-def: $vgpr5
.LBB744_51:
	s_andn2_saveexec_b32 s1, s0
	s_cbranch_execz .LBB744_55
; %bb.52:
	v_add_nc_u32_e32 v6, s17, v18
	v_add_nc_u32_e32 v8, s19, v18
	s_mov_b32 s2, 0
	s_mov_b32 s3, exec_lo
	v_mul_lo_u32 v6, v6, s16
	v_mul_lo_u32 v8, v8, s18
	v_sub_nc_u32_e32 v6, v6, v8
	v_cmp_lt_u32_e32 vcc_lo, s20, v6
	v_cmpx_ge_u32_e64 s20, v6
	s_cbranch_execz .LBB744_54
; %bb.53:
	v_add_nc_u32_e32 v6, s22, v18
	v_add_nc_u32_e32 v8, s40, v18
	v_mul_lo_u32 v6, v6, s21
	v_mul_lo_u32 v8, v8, s23
	v_sub_nc_u32_e32 v6, v6, v8
	v_cmp_lt_u32_e64 s0, s41, v6
	s_and_b32 s2, s0, exec_lo
.LBB744_54:
	s_or_b32 exec_lo, exec_lo, s3
	v_mov_b32_e32 v6, 8
	v_cndmask_b32_e64 v8, 0, 1, vcc_lo
	v_mov_b32_e32 v21, 0xff
	v_mov_b32_e32 v22, 24
	v_cndmask_b32_e64 v23, 0, 1, s2
	v_lshrrev_b32_sdwa v24, v6, v7 dst_sel:BYTE_1 dst_unused:UNUSED_PAD src0_sel:DWORD src1_sel:DWORD
	v_lshlrev_b16 v8, 8, v8
	v_and_b32_sdwa v25, v7, v21 dst_sel:DWORD dst_unused:UNUSED_PAD src0_sel:WORD_1 src1_sel:DWORD
	v_lshrrev_b32_sdwa v22, v22, v5 dst_sel:BYTE_1 dst_unused:UNUSED_PAD src0_sel:DWORD src1_sel:DWORD
	v_and_b32_sdwa v21, v5, v21 dst_sel:DWORD dst_unused:UNUSED_PAD src0_sel:WORD_1 src1_sel:DWORD
	v_lshrrev_b32_sdwa v5, v6, v5 dst_sel:BYTE_1 dst_unused:UNUSED_PAD src0_sel:DWORD src1_sel:DWORD
	v_or_b32_sdwa v6, v7, v24 dst_sel:DWORD dst_unused:UNUSED_PAD src0_sel:BYTE_0 src1_sel:DWORD
	v_or_b32_sdwa v7, v25, v8 dst_sel:WORD_1 dst_unused:UNUSED_PAD src0_sel:DWORD src1_sel:DWORD
	v_or_b32_sdwa v8, v21, v22 dst_sel:WORD_1 dst_unused:UNUSED_PAD src0_sel:DWORD src1_sel:DWORD
	v_or_b32_e32 v5, v23, v5
	v_or_b32_sdwa v30, v6, v7 dst_sel:DWORD dst_unused:UNUSED_PAD src0_sel:WORD_0 src1_sel:DWORD
	v_or_b32_sdwa v6, v5, v8 dst_sel:DWORD dst_unused:UNUSED_PAD src0_sel:WORD_0 src1_sel:DWORD
.LBB744_55:
	s_or_b32 exec_lo, exec_lo, s1
	v_add_nc_u32_e32 v5, 4, v29
                                        ; implicit-def: $vgpr7
	v_cmp_le_u32_e32 vcc_lo, s7, v5
                                        ; implicit-def: $vgpr5
	s_and_saveexec_b32 s0, vcc_lo
	s_xor_b32 s0, exec_lo, s0
	s_cbranch_execz .LBB744_57
; %bb.56:
	v_mov_b32_e32 v5, 24
	v_mov_b32_e32 v7, 0xff
	;; [unrolled: 1-line block ×3, first 2 shown]
	v_perm_b32 v3, v3, v3, 0x3060504
	v_lshrrev_b32_sdwa v21, v5, v4 dst_sel:BYTE_1 dst_unused:UNUSED_PAD src0_sel:DWORD src1_sel:DWORD
	v_and_b32_sdwa v22, v4, v7 dst_sel:DWORD dst_unused:UNUSED_PAD src0_sel:WORD_1 src1_sel:DWORD
	v_lshrrev_b32_sdwa v5, v5, v6 dst_sel:BYTE_1 dst_unused:UNUSED_PAD src0_sel:DWORD src1_sel:DWORD
	v_and_b32_sdwa v7, v6, v7 dst_sel:DWORD dst_unused:UNUSED_PAD src0_sel:WORD_1 src1_sel:DWORD
	v_lshrrev_b32_sdwa v4, v8, v4 dst_sel:BYTE_1 dst_unused:UNUSED_PAD src0_sel:DWORD src1_sel:DWORD
	v_or_b32_sdwa v8, v22, v21 dst_sel:WORD_1 dst_unused:UNUSED_PAD src0_sel:DWORD src1_sel:DWORD
	v_or_b32_e32 v7, v7, v5
	v_or_b32_sdwa v5, v4, v8 dst_sel:DWORD dst_unused:UNUSED_PAD src0_sel:WORD_0 src1_sel:DWORD
                                        ; implicit-def: $vgpr4
	v_perm_b32 v7, v7, v6, 0x5040c00
                                        ; implicit-def: $vgpr6
.LBB744_57:
	s_andn2_saveexec_b32 s1, s0
	s_cbranch_execz .LBB744_61
; %bb.58:
	v_add_nc_u32_e32 v5, s17, v15
	v_add_nc_u32_e32 v7, s19, v15
	s_mov_b32 s2, 0
	s_mov_b32 s3, exec_lo
	v_mul_lo_u32 v5, v5, s16
	v_mul_lo_u32 v7, v7, s18
	v_sub_nc_u32_e32 v5, v5, v7
	v_cmp_lt_u32_e32 vcc_lo, s20, v5
	v_cmpx_ge_u32_e64 s20, v5
	s_cbranch_execz .LBB744_60
; %bb.59:
	v_add_nc_u32_e32 v5, s22, v15
	v_add_nc_u32_e32 v7, s40, v15
	v_mul_lo_u32 v5, v5, s21
	v_mul_lo_u32 v7, v7, s23
	v_sub_nc_u32_e32 v5, v5, v7
	v_cmp_lt_u32_e64 s0, s41, v5
	s_and_b32 s2, s0, exec_lo
.LBB744_60:
	s_or_b32 exec_lo, exec_lo, s3
	v_mov_b32_e32 v5, 24
	v_mov_b32_e32 v7, 0xff
	;; [unrolled: 1-line block ×3, first 2 shown]
	v_cndmask_b32_e64 v21, 0, 1, s2
	v_cndmask_b32_e64 v22, 0, 1, vcc_lo
	v_lshrrev_b32_sdwa v23, v5, v4 dst_sel:BYTE_1 dst_unused:UNUSED_PAD src0_sel:DWORD src1_sel:DWORD
	v_and_b32_sdwa v24, v4, v7 dst_sel:DWORD dst_unused:UNUSED_PAD src0_sel:WORD_1 src1_sel:DWORD
	v_lshrrev_b32_sdwa v4, v8, v4 dst_sel:BYTE_1 dst_unused:UNUSED_PAD src0_sel:DWORD src1_sel:DWORD
	v_lshlrev_b16 v8, 8, v21
	v_lshrrev_b32_sdwa v5, v5, v6 dst_sel:BYTE_1 dst_unused:UNUSED_PAD src0_sel:DWORD src1_sel:DWORD
	v_and_b32_sdwa v7, v6, v7 dst_sel:DWORD dst_unused:UNUSED_PAD src0_sel:WORD_1 src1_sel:DWORD
	v_or_b32_sdwa v21, v24, v23 dst_sel:WORD_1 dst_unused:UNUSED_PAD src0_sel:DWORD src1_sel:DWORD
	v_or_b32_e32 v4, v22, v4
	v_or_b32_sdwa v6, v6, v8 dst_sel:DWORD dst_unused:UNUSED_PAD src0_sel:BYTE_0 src1_sel:DWORD
	v_or_b32_sdwa v7, v7, v5 dst_sel:WORD_1 dst_unused:UNUSED_PAD src0_sel:DWORD src1_sel:DWORD
	v_or_b32_sdwa v5, v4, v21 dst_sel:DWORD dst_unused:UNUSED_PAD src0_sel:WORD_0 src1_sel:DWORD
	v_or_b32_sdwa v7, v6, v7 dst_sel:DWORD dst_unused:UNUSED_PAD src0_sel:WORD_0 src1_sel:DWORD
.LBB744_61:
	s_or_b32 exec_lo, exec_lo, s1
	v_add_nc_u32_e32 v4, 5, v29
                                        ; implicit-def: $vgpr6
	v_cmp_le_u32_e32 vcc_lo, s7, v4
                                        ; implicit-def: $vgpr4
	s_and_saveexec_b32 s0, vcc_lo
	s_xor_b32 s0, exec_lo, s0
	s_cbranch_execz .LBB744_63
; %bb.62:
	v_lshrrev_b32_e32 v4, 24, v7
	v_mov_b32_e32 v6, 8
	v_mov_b32_e32 v8, 0xff
	v_perm_b32 v3, v3, v3, 0x3060504
	v_perm_b32 v4, v4, v7, 0x40c0100
	v_mov_b32_e32 v7, 24
	v_and_b32_sdwa v8, v5, v8 dst_sel:DWORD dst_unused:UNUSED_PAD src0_sel:WORD_1 src1_sel:DWORD
	v_lshrrev_b32_sdwa v6, v6, v4 dst_sel:BYTE_1 dst_unused:UNUSED_PAD src0_sel:DWORD src1_sel:DWORD
	v_lshrrev_b32_sdwa v7, v7, v5 dst_sel:BYTE_1 dst_unused:UNUSED_PAD src0_sel:DWORD src1_sel:DWORD
	v_or_b32_sdwa v6, v4, v6 dst_sel:DWORD dst_unused:UNUSED_PAD src0_sel:BYTE_0 src1_sel:DWORD
	v_or_b32_e32 v7, v8, v7
	v_and_b32_e32 v8, 0xffff, v6
	v_perm_b32 v6, v7, v5, 0x5040c00
                                        ; implicit-def: $vgpr5
                                        ; implicit-def: $vgpr7
	v_and_or_b32 v4, 0xff000000, v4, v8
.LBB744_63:
	s_andn2_saveexec_b32 s1, s0
	s_cbranch_execz .LBB744_67
; %bb.64:
	v_add_nc_u32_e32 v4, s17, v16
	v_add_nc_u32_e32 v6, s19, v16
	s_mov_b32 s2, 0
	s_mov_b32 s3, exec_lo
	v_mul_lo_u32 v4, v4, s16
	v_mul_lo_u32 v6, v6, s18
	v_sub_nc_u32_e32 v4, v4, v6
	v_cmp_lt_u32_e32 vcc_lo, s20, v4
	v_cmpx_ge_u32_e64 s20, v4
	s_cbranch_execz .LBB744_66
; %bb.65:
	v_add_nc_u32_e32 v4, s22, v16
	v_add_nc_u32_e32 v6, s40, v16
	v_mul_lo_u32 v4, v4, s21
	v_mul_lo_u32 v6, v6, s23
	v_sub_nc_u32_e32 v4, v4, v6
	v_cmp_lt_u32_e64 s0, s41, v4
	s_and_b32 s2, s0, exec_lo
.LBB744_66:
	s_or_b32 exec_lo, exec_lo, s3
	v_cndmask_b32_e64 v4, 0, 1, vcc_lo
	v_mov_b32_e32 v6, 24
	v_mov_b32_e32 v8, 0xff
	;; [unrolled: 1-line block ×3, first 2 shown]
	v_cndmask_b32_e64 v22, 0, 1, s2
	v_lshlrev_b16 v4, 8, v4
	v_lshrrev_b32_sdwa v23, v6, v5 dst_sel:BYTE_1 dst_unused:UNUSED_PAD src0_sel:DWORD src1_sel:DWORD
	v_and_b32_sdwa v8, v5, v8 dst_sel:DWORD dst_unused:UNUSED_PAD src0_sel:WORD_1 src1_sel:DWORD
	v_lshrrev_b32_sdwa v21, v21, v7 dst_sel:BYTE_1 dst_unused:UNUSED_PAD src0_sel:DWORD src1_sel:DWORD
	v_lshrrev_b32_sdwa v6, v6, v7 dst_sel:BYTE_1 dst_unused:UNUSED_PAD src0_sel:DWORD src1_sel:DWORD
	v_or_b32_sdwa v4, v5, v4 dst_sel:DWORD dst_unused:UNUSED_PAD src0_sel:BYTE_0 src1_sel:DWORD
	v_or_b32_sdwa v5, v8, v23 dst_sel:WORD_1 dst_unused:UNUSED_PAD src0_sel:DWORD src1_sel:DWORD
	v_or_b32_sdwa v7, v7, v21 dst_sel:DWORD dst_unused:UNUSED_PAD src0_sel:BYTE_0 src1_sel:DWORD
	v_or_b32_sdwa v8, v22, v6 dst_sel:WORD_1 dst_unused:UNUSED_PAD src0_sel:DWORD src1_sel:DWORD
	v_or_b32_sdwa v6, v4, v5 dst_sel:DWORD dst_unused:UNUSED_PAD src0_sel:WORD_0 src1_sel:DWORD
	v_or_b32_sdwa v4, v7, v8 dst_sel:DWORD dst_unused:UNUSED_PAD src0_sel:WORD_0 src1_sel:DWORD
.LBB744_67:
	s_or_b32 exec_lo, exec_lo, s1
	v_add_nc_u32_e32 v5, 6, v29
                                        ; implicit-def: $vgpr31
	v_cmp_le_u32_e32 vcc_lo, s7, v5
                                        ; implicit-def: $vgpr5
	s_and_saveexec_b32 s0, vcc_lo
	s_xor_b32 s0, exec_lo, s0
	s_cbranch_execz .LBB744_69
; %bb.68:
	v_lshrrev_b32_e32 v5, 24, v6
	v_mov_b32_e32 v7, 8
	v_perm_b32 v3, v3, v3, 0x3060504
	v_perm_b32 v5, v5, v6, 0x40c0100
	v_lshrrev_b32_sdwa v6, v7, v5 dst_sel:BYTE_1 dst_unused:UNUSED_PAD src0_sel:DWORD src1_sel:DWORD
	v_and_b32_e32 v7, 0xff0000, v4
	v_or_b32_sdwa v6, v5, v6 dst_sel:DWORD dst_unused:UNUSED_PAD src0_sel:BYTE_0 src1_sel:DWORD
	v_perm_b32 v31, v4, v7, 0x3020504
                                        ; implicit-def: $vgpr4
	v_and_b32_e32 v6, 0xffff, v6
	v_and_or_b32 v5, 0xff000000, v5, v6
                                        ; implicit-def: $vgpr6
.LBB744_69:
	s_andn2_saveexec_b32 s1, s0
	s_cbranch_execz .LBB744_73
; %bb.70:
	v_add_nc_u32_e32 v5, s17, v13
	v_add_nc_u32_e32 v7, s19, v13
	s_mov_b32 s2, 0
	s_mov_b32 s3, exec_lo
	v_mul_lo_u32 v5, v5, s16
	v_mul_lo_u32 v7, v7, s18
	v_sub_nc_u32_e32 v5, v5, v7
	v_cmp_lt_u32_e32 vcc_lo, s20, v5
	v_cmpx_ge_u32_e64 s20, v5
	s_cbranch_execz .LBB744_72
; %bb.71:
	v_add_nc_u32_e32 v5, s22, v13
	v_add_nc_u32_e32 v7, s40, v13
	v_mul_lo_u32 v5, v5, s21
	v_mul_lo_u32 v7, v7, s23
	v_sub_nc_u32_e32 v5, v5, v7
	v_cmp_lt_u32_e64 s0, s41, v5
	s_and_b32 s2, s0, exec_lo
.LBB744_72:
	s_or_b32 exec_lo, exec_lo, s3
	v_mov_b32_e32 v5, 8
	v_mov_b32_e32 v7, 24
	v_cndmask_b32_e64 v21, 0, 1, s2
	v_mov_b32_e32 v22, 0xff
	v_cndmask_b32_e64 v8, 0, 1, vcc_lo
	v_lshrrev_b32_sdwa v23, v5, v6 dst_sel:BYTE_1 dst_unused:UNUSED_PAD src0_sel:DWORD src1_sel:DWORD
	v_lshrrev_b32_sdwa v7, v7, v6 dst_sel:BYTE_1 dst_unused:UNUSED_PAD src0_sel:DWORD src1_sel:DWORD
	;; [unrolled: 1-line block ×3, first 2 shown]
	v_lshlrev_b16 v21, 8, v21
	v_and_b32_sdwa v22, v4, v22 dst_sel:DWORD dst_unused:UNUSED_PAD src0_sel:WORD_1 src1_sel:DWORD
	v_or_b32_sdwa v6, v6, v23 dst_sel:DWORD dst_unused:UNUSED_PAD src0_sel:BYTE_0 src1_sel:DWORD
	v_or_b32_sdwa v7, v8, v7 dst_sel:WORD_1 dst_unused:UNUSED_PAD src0_sel:DWORD src1_sel:DWORD
	v_or_b32_sdwa v4, v4, v5 dst_sel:DWORD dst_unused:UNUSED_PAD src0_sel:BYTE_0 src1_sel:DWORD
	v_or_b32_sdwa v8, v22, v21 dst_sel:WORD_1 dst_unused:UNUSED_PAD src0_sel:DWORD src1_sel:DWORD
	v_or_b32_sdwa v5, v6, v7 dst_sel:DWORD dst_unused:UNUSED_PAD src0_sel:WORD_0 src1_sel:DWORD
	v_or_b32_sdwa v31, v4, v8 dst_sel:DWORD dst_unused:UNUSED_PAD src0_sel:WORD_0 src1_sel:DWORD
.LBB744_73:
	s_or_b32 exec_lo, exec_lo, s1
	v_add_nc_u32_e32 v4, 7, v29
                                        ; implicit-def: $vgpr32
	v_cmp_le_u32_e32 vcc_lo, s7, v4
                                        ; implicit-def: $vgpr4
	s_and_saveexec_b32 s0, vcc_lo
	s_xor_b32 s0, exec_lo, s0
	s_cbranch_execz .LBB744_75
; %bb.74:
	v_mov_b32_e32 v4, 24
	v_mov_b32_e32 v6, 0xff
	v_mov_b32_e32 v7, 8
	v_lshrrev_b32_sdwa v4, v4, v3 dst_sel:BYTE_1 dst_unused:UNUSED_PAD src0_sel:DWORD src1_sel:DWORD
	v_and_b32_sdwa v6, v3, v6 dst_sel:DWORD dst_unused:UNUSED_PAD src0_sel:WORD_1 src1_sel:DWORD
	v_lshrrev_b32_sdwa v3, v7, v3 dst_sel:BYTE_1 dst_unused:UNUSED_PAD src0_sel:DWORD src1_sel:DWORD
	v_and_b32_e32 v7, 0xff0000, v5
	v_or_b32_sdwa v4, v6, v4 dst_sel:WORD_1 dst_unused:UNUSED_PAD src0_sel:DWORD src1_sel:DWORD
	v_perm_b32 v32, v5, v7, 0x3020504
                                        ; implicit-def: $vgpr5
	v_or_b32_sdwa v4, v3, v4 dst_sel:DWORD dst_unused:UNUSED_PAD src0_sel:WORD_0 src1_sel:DWORD
                                        ; implicit-def: $vgpr3
.LBB744_75:
	s_andn2_saveexec_b32 s1, s0
	s_cbranch_execz .LBB744_79
; %bb.76:
	v_add_nc_u32_e32 v4, s17, v14
	v_add_nc_u32_e32 v6, s19, v14
	s_mov_b32 s2, 0
	s_mov_b32 s3, exec_lo
	v_mul_lo_u32 v4, v4, s16
	v_mul_lo_u32 v6, v6, s18
	v_sub_nc_u32_e32 v4, v4, v6
	v_cmp_lt_u32_e32 vcc_lo, s20, v4
	v_cmpx_ge_u32_e64 s20, v4
	s_cbranch_execz .LBB744_78
; %bb.77:
	v_add_nc_u32_e32 v4, s22, v14
	v_add_nc_u32_e32 v6, s40, v14
	v_mul_lo_u32 v4, v4, s21
	v_mul_lo_u32 v6, v6, s23
	v_sub_nc_u32_e32 v4, v4, v6
	v_cmp_lt_u32_e64 s0, s41, v4
	s_and_b32 s2, s0, exec_lo
.LBB744_78:
	s_or_b32 exec_lo, exec_lo, s3
	v_mov_b32_e32 v4, 8
	v_cndmask_b32_e64 v6, 0, 1, vcc_lo
	v_mov_b32_e32 v7, 0xff
	v_mov_b32_e32 v8, 24
	v_cndmask_b32_e64 v21, 0, 1, s2
	v_lshrrev_b32_sdwa v22, v4, v5 dst_sel:BYTE_1 dst_unused:UNUSED_PAD src0_sel:DWORD src1_sel:DWORD
	v_lshlrev_b16 v6, 8, v6
	v_and_b32_sdwa v23, v5, v7 dst_sel:DWORD dst_unused:UNUSED_PAD src0_sel:WORD_1 src1_sel:DWORD
	v_lshrrev_b32_sdwa v8, v8, v3 dst_sel:BYTE_1 dst_unused:UNUSED_PAD src0_sel:DWORD src1_sel:DWORD
	v_and_b32_sdwa v7, v3, v7 dst_sel:DWORD dst_unused:UNUSED_PAD src0_sel:WORD_1 src1_sel:DWORD
	v_lshrrev_b32_sdwa v3, v4, v3 dst_sel:BYTE_1 dst_unused:UNUSED_PAD src0_sel:DWORD src1_sel:DWORD
	v_or_b32_sdwa v4, v5, v22 dst_sel:DWORD dst_unused:UNUSED_PAD src0_sel:BYTE_0 src1_sel:DWORD
	v_or_b32_sdwa v5, v23, v6 dst_sel:WORD_1 dst_unused:UNUSED_PAD src0_sel:DWORD src1_sel:DWORD
	v_or_b32_sdwa v6, v7, v8 dst_sel:WORD_1 dst_unused:UNUSED_PAD src0_sel:DWORD src1_sel:DWORD
	v_or_b32_e32 v3, v21, v3
	v_or_b32_sdwa v32, v4, v5 dst_sel:DWORD dst_unused:UNUSED_PAD src0_sel:WORD_0 src1_sel:DWORD
	v_or_b32_sdwa v4, v3, v6 dst_sel:DWORD dst_unused:UNUSED_PAD src0_sel:WORD_0 src1_sel:DWORD
.LBB744_79:
	s_or_b32 exec_lo, exec_lo, s1
	v_add_nc_u32_e32 v3, 8, v29
                                        ; implicit-def: $vgpr5
	v_cmp_le_u32_e32 vcc_lo, s7, v3
                                        ; implicit-def: $vgpr3
	s_and_saveexec_b32 s0, vcc_lo
	s_xor_b32 s0, exec_lo, s0
	s_cbranch_execz .LBB744_81
; %bb.80:
	v_mov_b32_e32 v3, 24
	v_mov_b32_e32 v5, 0xff
	;; [unrolled: 1-line block ×3, first 2 shown]
	v_perm_b32 v1, v1, v1, 0x3060504
	v_lshrrev_b32_sdwa v7, v3, v4 dst_sel:BYTE_1 dst_unused:UNUSED_PAD src0_sel:DWORD src1_sel:DWORD
	v_lshrrev_b32_sdwa v3, v3, v2 dst_sel:BYTE_1 dst_unused:UNUSED_PAD src0_sel:DWORD src1_sel:DWORD
	v_and_b32_sdwa v8, v2, v5 dst_sel:DWORD dst_unused:UNUSED_PAD src0_sel:WORD_1 src1_sel:DWORD
	v_and_b32_sdwa v5, v4, v5 dst_sel:DWORD dst_unused:UNUSED_PAD src0_sel:WORD_1 src1_sel:DWORD
	v_lshrrev_b32_sdwa v2, v6, v2 dst_sel:BYTE_1 dst_unused:UNUSED_PAD src0_sel:DWORD src1_sel:DWORD
	v_or_b32_sdwa v3, v8, v3 dst_sel:WORD_1 dst_unused:UNUSED_PAD src0_sel:DWORD src1_sel:DWORD
	v_or_b32_e32 v5, v5, v7
	v_or_b32_sdwa v3, v2, v3 dst_sel:DWORD dst_unused:UNUSED_PAD src0_sel:WORD_0 src1_sel:DWORD
	v_perm_b32 v5, v5, v4, 0x5040c00
                                        ; implicit-def: $vgpr2
                                        ; implicit-def: $vgpr4
.LBB744_81:
	s_andn2_saveexec_b32 s1, s0
	s_cbranch_execz .LBB744_85
; %bb.82:
	v_add_nc_u32_e32 v3, s17, v11
	v_add_nc_u32_e32 v5, s19, v11
	s_mov_b32 s2, 0
	s_mov_b32 s3, exec_lo
	v_mul_lo_u32 v3, v3, s16
	v_mul_lo_u32 v5, v5, s18
	v_sub_nc_u32_e32 v3, v3, v5
	v_cmp_lt_u32_e32 vcc_lo, s20, v3
	v_cmpx_ge_u32_e64 s20, v3
	s_cbranch_execz .LBB744_84
; %bb.83:
	v_add_nc_u32_e32 v3, s22, v11
	v_add_nc_u32_e32 v5, s40, v11
	v_mul_lo_u32 v3, v3, s21
	v_mul_lo_u32 v5, v5, s23
	v_sub_nc_u32_e32 v3, v3, v5
	v_cmp_lt_u32_e64 s0, s41, v3
	s_and_b32 s2, s0, exec_lo
.LBB744_84:
	s_or_b32 exec_lo, exec_lo, s3
	v_mov_b32_e32 v3, 24
	v_mov_b32_e32 v5, 0xff
	v_mov_b32_e32 v6, 8
	v_cndmask_b32_e64 v7, 0, 1, s2
	v_cndmask_b32_e64 v8, 0, 1, vcc_lo
	v_lshrrev_b32_sdwa v21, v3, v2 dst_sel:BYTE_1 dst_unused:UNUSED_PAD src0_sel:DWORD src1_sel:DWORD
	v_and_b32_sdwa v22, v2, v5 dst_sel:DWORD dst_unused:UNUSED_PAD src0_sel:WORD_1 src1_sel:DWORD
	v_lshrrev_b32_sdwa v2, v6, v2 dst_sel:BYTE_1 dst_unused:UNUSED_PAD src0_sel:DWORD src1_sel:DWORD
	v_lshlrev_b16 v6, 8, v7
	v_lshrrev_b32_sdwa v3, v3, v4 dst_sel:BYTE_1 dst_unused:UNUSED_PAD src0_sel:DWORD src1_sel:DWORD
	v_and_b32_sdwa v5, v4, v5 dst_sel:DWORD dst_unused:UNUSED_PAD src0_sel:WORD_1 src1_sel:DWORD
	v_or_b32_sdwa v7, v22, v21 dst_sel:WORD_1 dst_unused:UNUSED_PAD src0_sel:DWORD src1_sel:DWORD
	v_or_b32_e32 v2, v8, v2
	v_or_b32_sdwa v4, v4, v6 dst_sel:DWORD dst_unused:UNUSED_PAD src0_sel:BYTE_0 src1_sel:DWORD
	v_or_b32_sdwa v5, v5, v3 dst_sel:WORD_1 dst_unused:UNUSED_PAD src0_sel:DWORD src1_sel:DWORD
	v_or_b32_sdwa v3, v2, v7 dst_sel:DWORD dst_unused:UNUSED_PAD src0_sel:WORD_0 src1_sel:DWORD
	v_or_b32_sdwa v5, v4, v5 dst_sel:DWORD dst_unused:UNUSED_PAD src0_sel:WORD_0 src1_sel:DWORD
.LBB744_85:
	s_or_b32 exec_lo, exec_lo, s1
	v_add_nc_u32_e32 v2, 9, v29
                                        ; implicit-def: $vgpr4
	v_cmp_le_u32_e32 vcc_lo, s7, v2
                                        ; implicit-def: $vgpr2
	s_and_saveexec_b32 s0, vcc_lo
	s_xor_b32 s0, exec_lo, s0
	s_cbranch_execz .LBB744_87
; %bb.86:
	v_lshrrev_b32_e32 v2, 24, v5
	v_mov_b32_e32 v4, 8
	v_mov_b32_e32 v6, 0xff
	v_perm_b32 v1, v1, v1, 0x3060504
	v_perm_b32 v2, v2, v5, 0x40c0100
	v_mov_b32_e32 v5, 24
	v_and_b32_sdwa v6, v3, v6 dst_sel:DWORD dst_unused:UNUSED_PAD src0_sel:WORD_1 src1_sel:DWORD
	v_lshrrev_b32_sdwa v4, v4, v2 dst_sel:BYTE_1 dst_unused:UNUSED_PAD src0_sel:DWORD src1_sel:DWORD
	v_lshrrev_b32_sdwa v5, v5, v3 dst_sel:BYTE_1 dst_unused:UNUSED_PAD src0_sel:DWORD src1_sel:DWORD
	v_or_b32_sdwa v4, v2, v4 dst_sel:DWORD dst_unused:UNUSED_PAD src0_sel:BYTE_0 src1_sel:DWORD
	v_or_b32_e32 v5, v6, v5
	v_and_b32_e32 v6, 0xffff, v4
	v_perm_b32 v4, v5, v3, 0x5040c00
                                        ; implicit-def: $vgpr3
                                        ; implicit-def: $vgpr5
	v_and_or_b32 v2, 0xff000000, v2, v6
.LBB744_87:
	s_andn2_saveexec_b32 s1, s0
	s_cbranch_execz .LBB744_91
; %bb.88:
	v_add_nc_u32_e32 v2, s17, v12
	v_add_nc_u32_e32 v4, s19, v12
	s_mov_b32 s2, 0
	s_mov_b32 s3, exec_lo
	v_mul_lo_u32 v2, v2, s16
	v_mul_lo_u32 v4, v4, s18
	v_sub_nc_u32_e32 v2, v2, v4
	v_cmp_lt_u32_e32 vcc_lo, s20, v2
	v_cmpx_ge_u32_e64 s20, v2
	s_cbranch_execz .LBB744_90
; %bb.89:
	v_add_nc_u32_e32 v2, s22, v12
	v_add_nc_u32_e32 v4, s40, v12
	v_mul_lo_u32 v2, v2, s21
	v_mul_lo_u32 v4, v4, s23
	v_sub_nc_u32_e32 v2, v2, v4
	v_cmp_lt_u32_e64 s0, s41, v2
	s_and_b32 s2, s0, exec_lo
.LBB744_90:
	s_or_b32 exec_lo, exec_lo, s3
	v_cndmask_b32_e64 v2, 0, 1, vcc_lo
	v_mov_b32_e32 v4, 24
	v_mov_b32_e32 v6, 0xff
	;; [unrolled: 1-line block ×3, first 2 shown]
	v_cndmask_b32_e64 v8, 0, 1, s2
	v_lshlrev_b16 v2, 8, v2
	v_lshrrev_b32_sdwa v21, v4, v3 dst_sel:BYTE_1 dst_unused:UNUSED_PAD src0_sel:DWORD src1_sel:DWORD
	v_and_b32_sdwa v6, v3, v6 dst_sel:DWORD dst_unused:UNUSED_PAD src0_sel:WORD_1 src1_sel:DWORD
	v_lshrrev_b32_sdwa v7, v7, v5 dst_sel:BYTE_1 dst_unused:UNUSED_PAD src0_sel:DWORD src1_sel:DWORD
	v_lshrrev_b32_sdwa v4, v4, v5 dst_sel:BYTE_1 dst_unused:UNUSED_PAD src0_sel:DWORD src1_sel:DWORD
	v_or_b32_sdwa v2, v3, v2 dst_sel:DWORD dst_unused:UNUSED_PAD src0_sel:BYTE_0 src1_sel:DWORD
	v_or_b32_sdwa v3, v6, v21 dst_sel:WORD_1 dst_unused:UNUSED_PAD src0_sel:DWORD src1_sel:DWORD
	v_or_b32_sdwa v5, v5, v7 dst_sel:DWORD dst_unused:UNUSED_PAD src0_sel:BYTE_0 src1_sel:DWORD
	v_or_b32_sdwa v6, v8, v4 dst_sel:WORD_1 dst_unused:UNUSED_PAD src0_sel:DWORD src1_sel:DWORD
	v_or_b32_sdwa v4, v2, v3 dst_sel:DWORD dst_unused:UNUSED_PAD src0_sel:WORD_0 src1_sel:DWORD
	v_or_b32_sdwa v2, v5, v6 dst_sel:DWORD dst_unused:UNUSED_PAD src0_sel:WORD_0 src1_sel:DWORD
.LBB744_91:
	s_or_b32 exec_lo, exec_lo, s1
	v_add_nc_u32_e32 v3, 10, v29
                                        ; implicit-def: $vgpr33
	v_cmp_le_u32_e32 vcc_lo, s7, v3
                                        ; implicit-def: $vgpr3
	s_and_saveexec_b32 s0, vcc_lo
	s_xor_b32 s0, exec_lo, s0
	s_cbranch_execz .LBB744_93
; %bb.92:
	v_lshrrev_b32_e32 v3, 24, v4
	v_mov_b32_e32 v5, 8
	v_perm_b32 v1, v1, v1, 0x3060504
	v_perm_b32 v3, v3, v4, 0x40c0100
	v_lshrrev_b32_sdwa v4, v5, v3 dst_sel:BYTE_1 dst_unused:UNUSED_PAD src0_sel:DWORD src1_sel:DWORD
	v_and_b32_e32 v5, 0xff0000, v2
	v_or_b32_sdwa v4, v3, v4 dst_sel:DWORD dst_unused:UNUSED_PAD src0_sel:BYTE_0 src1_sel:DWORD
	v_perm_b32 v33, v2, v5, 0x3020504
                                        ; implicit-def: $vgpr2
	v_and_b32_e32 v4, 0xffff, v4
	v_and_or_b32 v3, 0xff000000, v3, v4
                                        ; implicit-def: $vgpr4
.LBB744_93:
	s_andn2_saveexec_b32 s1, s0
	s_cbranch_execz .LBB744_97
; %bb.94:
	v_add_nc_u32_e32 v3, s17, v9
	v_add_nc_u32_e32 v5, s19, v9
	s_mov_b32 s2, 0
	s_mov_b32 s3, exec_lo
	v_mul_lo_u32 v3, v3, s16
	v_mul_lo_u32 v5, v5, s18
	v_sub_nc_u32_e32 v3, v3, v5
	v_cmp_lt_u32_e32 vcc_lo, s20, v3
	v_cmpx_ge_u32_e64 s20, v3
	s_cbranch_execz .LBB744_96
; %bb.95:
	v_add_nc_u32_e32 v3, s22, v9
	v_add_nc_u32_e32 v5, s40, v9
	v_mul_lo_u32 v3, v3, s21
	v_mul_lo_u32 v5, v5, s23
	v_sub_nc_u32_e32 v3, v3, v5
	v_cmp_lt_u32_e64 s0, s41, v3
	s_and_b32 s2, s0, exec_lo
.LBB744_96:
	s_or_b32 exec_lo, exec_lo, s3
	v_mov_b32_e32 v3, 8
	v_mov_b32_e32 v5, 24
	v_cndmask_b32_e64 v7, 0, 1, s2
	v_mov_b32_e32 v8, 0xff
	v_cndmask_b32_e64 v6, 0, 1, vcc_lo
	v_lshrrev_b32_sdwa v21, v3, v4 dst_sel:BYTE_1 dst_unused:UNUSED_PAD src0_sel:DWORD src1_sel:DWORD
	v_lshrrev_b32_sdwa v5, v5, v4 dst_sel:BYTE_1 dst_unused:UNUSED_PAD src0_sel:DWORD src1_sel:DWORD
	;; [unrolled: 1-line block ×3, first 2 shown]
	v_lshlrev_b16 v7, 8, v7
	v_and_b32_sdwa v8, v2, v8 dst_sel:DWORD dst_unused:UNUSED_PAD src0_sel:WORD_1 src1_sel:DWORD
	v_or_b32_sdwa v4, v4, v21 dst_sel:DWORD dst_unused:UNUSED_PAD src0_sel:BYTE_0 src1_sel:DWORD
	v_or_b32_sdwa v5, v6, v5 dst_sel:WORD_1 dst_unused:UNUSED_PAD src0_sel:DWORD src1_sel:DWORD
	v_or_b32_sdwa v2, v2, v3 dst_sel:DWORD dst_unused:UNUSED_PAD src0_sel:BYTE_0 src1_sel:DWORD
	v_or_b32_sdwa v6, v8, v7 dst_sel:WORD_1 dst_unused:UNUSED_PAD src0_sel:DWORD src1_sel:DWORD
	v_or_b32_sdwa v3, v4, v5 dst_sel:DWORD dst_unused:UNUSED_PAD src0_sel:WORD_0 src1_sel:DWORD
	v_or_b32_sdwa v33, v2, v6 dst_sel:DWORD dst_unused:UNUSED_PAD src0_sel:WORD_0 src1_sel:DWORD
.LBB744_97:
	s_or_b32 exec_lo, exec_lo, s1
	v_add_nc_u32_e32 v2, 11, v29
	v_mov_b32_e32 v34, 0
	s_mov_b32 s0, exec_lo
                                        ; implicit-def: $vgpr35
	v_cmpx_le_u32_e64 s7, v2
	s_xor_b32 s0, exec_lo, s0
; %bb.98:
	v_and_b32_e32 v2, 0xff0000, v3
	v_perm_b32 v1, v1, v1, 0x3060504
	v_perm_b32 v35, v3, v2, 0x3020504
                                        ; implicit-def: $vgpr3
; %bb.99:
	s_andn2_saveexec_b32 s1, s0
	s_cbranch_execz .LBB744_103
; %bb.100:
	v_add_nc_u32_e32 v2, s17, v10
	v_add_nc_u32_e32 v4, s19, v10
	s_mov_b32 s2, 0
	s_mov_b32 s3, exec_lo
	v_mul_lo_u32 v2, v2, s16
	v_mul_lo_u32 v4, v4, s18
	v_sub_nc_u32_e32 v2, v2, v4
	v_cmp_lt_u32_e32 vcc_lo, s20, v2
	v_cmpx_ge_u32_e64 s20, v2
	s_cbranch_execz .LBB744_102
; %bb.101:
	v_add_nc_u32_e32 v2, s22, v10
	v_add_nc_u32_e32 v4, s40, v10
	v_mul_lo_u32 v2, v2, s21
	v_mul_lo_u32 v4, v4, s23
	v_sub_nc_u32_e32 v2, v2, v4
	v_cmp_lt_u32_e64 s0, s41, v2
	s_and_b32 s2, s0, exec_lo
.LBB744_102:
	s_or_b32 exec_lo, exec_lo, s3
	v_mov_b32_e32 v2, 8
	v_cndmask_b32_e64 v4, 0, 1, vcc_lo
	v_mov_b32_e32 v5, 0xff
	v_cndmask_b32_e64 v34, 0, 1, s2
	v_lshrrev_b32_sdwa v2, v2, v3 dst_sel:BYTE_1 dst_unused:UNUSED_PAD src0_sel:DWORD src1_sel:DWORD
	v_lshlrev_b16 v4, 8, v4
	v_and_b32_sdwa v5, v3, v5 dst_sel:DWORD dst_unused:UNUSED_PAD src0_sel:WORD_1 src1_sel:DWORD
	v_or_b32_sdwa v2, v3, v2 dst_sel:DWORD dst_unused:UNUSED_PAD src0_sel:BYTE_0 src1_sel:DWORD
	v_or_b32_sdwa v3, v5, v4 dst_sel:WORD_1 dst_unused:UNUSED_PAD src0_sel:DWORD src1_sel:DWORD
	v_or_b32_sdwa v35, v2, v3 dst_sel:DWORD dst_unused:UNUSED_PAD src0_sel:WORD_0 src1_sel:DWORD
.LBB744_103:
	s_or_b32 exec_lo, exec_lo, s1
	v_add_nc_u32_e32 v2, 12, v29
	s_mov_b32 s0, exec_lo
                                        ; implicit-def: $vgpr36
	v_cmpx_le_u32_e64 s7, v2
	s_xor_b32 s0, exec_lo, s0
	s_cbranch_execz .LBB744_105
; %bb.104:
	v_mov_b32_e32 v2, 24
	v_mov_b32_e32 v3, 0xff
	;; [unrolled: 1-line block ×3, first 2 shown]
	v_lshrrev_b32_sdwa v2, v2, v1 dst_sel:BYTE_1 dst_unused:UNUSED_PAD src0_sel:DWORD src1_sel:DWORD
	v_and_b32_sdwa v3, v1, v3 dst_sel:DWORD dst_unused:UNUSED_PAD src0_sel:WORD_1 src1_sel:DWORD
	v_lshrrev_b32_sdwa v1, v4, v1 dst_sel:BYTE_1 dst_unused:UNUSED_PAD src0_sel:DWORD src1_sel:DWORD
	v_or_b32_sdwa v2, v3, v2 dst_sel:WORD_1 dst_unused:UNUSED_PAD src0_sel:DWORD src1_sel:DWORD
	v_or_b32_sdwa v36, v1, v2 dst_sel:DWORD dst_unused:UNUSED_PAD src0_sel:WORD_0 src1_sel:DWORD
                                        ; implicit-def: $vgpr1
.LBB744_105:
	s_or_saveexec_b32 s1, s0
	v_mov_b32_e32 v37, 0
	s_xor_b32 exec_lo, exec_lo, s1
	s_cbranch_execz .LBB744_109
; %bb.106:
	v_add_nc_u32_e32 v2, s17, v28
	v_add_nc_u32_e32 v3, s19, v28
	s_mov_b32 s2, 0
	s_mov_b32 s3, exec_lo
	v_mul_lo_u32 v2, v2, s16
	v_mul_lo_u32 v3, v3, s18
	v_sub_nc_u32_e32 v2, v2, v3
	v_cmp_lt_u32_e32 vcc_lo, s20, v2
	v_cmpx_ge_u32_e64 s20, v2
	s_cbranch_execz .LBB744_108
; %bb.107:
	v_add_nc_u32_e32 v2, s22, v28
	v_add_nc_u32_e32 v3, s40, v28
	v_mul_lo_u32 v2, v2, s21
	v_mul_lo_u32 v3, v3, s23
	v_sub_nc_u32_e32 v2, v2, v3
	v_cmp_lt_u32_e64 s0, s41, v2
	s_and_b32 s2, s0, exec_lo
.LBB744_108:
	s_or_b32 exec_lo, exec_lo, s3
	v_mov_b32_e32 v2, 24
	v_mov_b32_e32 v3, 0xff
	;; [unrolled: 1-line block ×3, first 2 shown]
	v_cndmask_b32_e64 v5, 0, 1, vcc_lo
	v_cndmask_b32_e64 v37, 0, 1, s2
	v_lshrrev_b32_sdwa v2, v2, v1 dst_sel:BYTE_1 dst_unused:UNUSED_PAD src0_sel:DWORD src1_sel:DWORD
	v_and_b32_sdwa v3, v1, v3 dst_sel:DWORD dst_unused:UNUSED_PAD src0_sel:WORD_1 src1_sel:DWORD
	v_lshrrev_b32_sdwa v1, v4, v1 dst_sel:BYTE_1 dst_unused:UNUSED_PAD src0_sel:DWORD src1_sel:DWORD
	v_or_b32_sdwa v2, v3, v2 dst_sel:WORD_1 dst_unused:UNUSED_PAD src0_sel:DWORD src1_sel:DWORD
	v_or_b32_e32 v1, v5, v1
	v_or_b32_sdwa v36, v1, v2 dst_sel:DWORD dst_unused:UNUSED_PAD src0_sel:WORD_0 src1_sel:DWORD
.LBB744_109:
	s_or_b32 exec_lo, exec_lo, s1
.LBB744_110:
	v_and_b32_e32 v60, 0xff, v30
	v_bfe_u32 v61, v36, 8, 8
	v_bfe_u32 v57, v30, 8, 8
	;; [unrolled: 1-line block ×4, first 2 shown]
	v_lshrrev_b32_e32 v43, 24, v36
	v_lshrrev_b32_e32 v42, 24, v30
	v_and_b32_e32 v56, 0xff, v31
	v_and_b32_e32 v54, 0xff, v32
	v_bfe_u32 v55, v31, 8, 8
	v_add3_u32 v1, v57, v60, v59
	v_add3_u32 v2, v58, v61, v43
	v_bfe_u32 v52, v32, 8, 8
	v_bfe_u32 v53, v31, 16, 8
	;; [unrolled: 1-line block ×3, first 2 shown]
	v_lshrrev_b32_e32 v41, 24, v31
	v_add3_u32 v1, v1, v42, v54
	v_add3_u32 v2, v2, v56, v55
	v_lshrrev_b32_e32 v40, 24, v32
	v_and_b32_e32 v51, 0xff, v33
	v_and_b32_e32 v49, 0xff, v35
	v_bfe_u32 v50, v33, 8, 8
	v_add3_u32 v1, v1, v52, v46
	v_add3_u32 v2, v2, v53, v41
	v_bfe_u32 v47, v35, 8, 8
	v_bfe_u32 v48, v33, 16, 8
	;; [unrolled: 1-line block ×3, first 2 shown]
	v_lshrrev_b32_e32 v39, 24, v33
	v_add3_u32 v1, v1, v40, v49
	v_add3_u32 v2, v2, v51, v50
	v_mbcnt_lo_u32_b32 v62, -1, 0
	v_lshrrev_b32_e32 v38, 24, v35
	v_and_b32_e32 v44, 0xff, v34
	v_and_b32_e32 v3, 0xff, v36
	;; [unrolled: 1-line block ×3, first 2 shown]
	v_add3_u32 v1, v1, v47, v45
	v_add3_u32 v2, v2, v48, v39
	v_and_b32_e32 v64, 15, v62
	v_and_b32_e32 v66, 16, v62
	v_lshrrev_b32_e32 v63, 5, v0
	v_add3_u32 v67, v1, v38, v3
	v_add3_u32 v68, v2, v44, v4
	v_cmp_eq_u32_e64 s1, 0, v64
	v_cmp_lt_u32_e64 s0, 1, v64
	v_cmp_lt_u32_e64 s2, 3, v64
	v_or_b32_e32 v65, 31, v0
	s_cmp_lg_u32 s6, 0
	s_mov_b32 s3, -1
	v_cmp_lt_u32_e32 vcc_lo, 7, v64
	s_cbranch_scc0 .LBB744_132
; %bb.111:
	v_mov_b32_dpp v1, v68 row_shr:1 row_mask:0xf bank_mask:0xf
	v_mov_b32_dpp v2, v67 row_shr:1 row_mask:0xf bank_mask:0xf
	s_mov_b32 s3, exec_lo
	v_add_nc_u32_e32 v1, v1, v68
	v_add_nc_u32_e32 v2, v2, v67
	v_cndmask_b32_e64 v1, v1, v68, s1
	v_cndmask_b32_e64 v2, v2, v67, s1
	v_mov_b32_dpp v3, v1 row_shr:2 row_mask:0xf bank_mask:0xf
	v_mov_b32_dpp v4, v2 row_shr:2 row_mask:0xf bank_mask:0xf
	v_add_nc_u32_e32 v3, v1, v3
	v_add_nc_u32_e32 v4, v2, v4
	v_cndmask_b32_e64 v1, v1, v3, s0
	v_cndmask_b32_e64 v2, v2, v4, s0
	v_mov_b32_dpp v3, v1 row_shr:4 row_mask:0xf bank_mask:0xf
	v_mov_b32_dpp v4, v2 row_shr:4 row_mask:0xf bank_mask:0xf
	;; [unrolled: 6-line block ×3, first 2 shown]
	v_add_nc_u32_e32 v3, v1, v3
	v_add_nc_u32_e32 v4, v2, v4
	v_cndmask_b32_e32 v1, v1, v3, vcc_lo
	v_cndmask_b32_e32 v2, v2, v4, vcc_lo
	v_cmp_eq_u32_e32 vcc_lo, 0, v66
	ds_swizzle_b32 v3, v1 offset:swizzle(BROADCAST,32,15)
	ds_swizzle_b32 v4, v2 offset:swizzle(BROADCAST,32,15)
	s_waitcnt lgkmcnt(0)
	v_add_nc_u32_e32 v3, v1, v3
	v_add_nc_u32_e32 v4, v2, v4
	v_cmpx_eq_u32_e64 v0, v65
	s_cbranch_execz .LBB744_113
; %bb.112:
	v_lshlrev_b32_e32 v7, 3, v63
	v_cndmask_b32_e32 v6, v3, v1, vcc_lo
	v_cndmask_b32_e32 v5, v4, v2, vcc_lo
	ds_write_b64 v7, v[5:6]
.LBB744_113:
	s_or_b32 exec_lo, exec_lo, s3
	s_mov_b32 s3, exec_lo
	s_waitcnt lgkmcnt(0)
	s_barrier
	buffer_gl0_inv
	v_cmpx_gt_u32_e32 8, v0
	s_cbranch_execz .LBB744_115
; %bb.114:
	v_lshlrev_b32_e32 v7, 3, v0
	v_and_b32_e32 v22, 7, v62
	ds_read_b64 v[5:6], v7
	v_cmp_eq_u32_e64 s2, 0, v22
	s_waitcnt lgkmcnt(0)
	v_mov_b32_dpp v8, v5 row_shr:1 row_mask:0xf bank_mask:0xf
	v_mov_b32_dpp v21, v6 row_shr:1 row_mask:0xf bank_mask:0xf
	v_add_nc_u32_e32 v8, v8, v5
	v_add_nc_u32_e32 v21, v21, v6
	v_cndmask_b32_e64 v5, v8, v5, s2
	v_cndmask_b32_e64 v6, v21, v6, s2
	v_cmp_lt_u32_e64 s2, 1, v22
	v_mov_b32_dpp v8, v5 row_shr:2 row_mask:0xf bank_mask:0xf
	v_mov_b32_dpp v21, v6 row_shr:2 row_mask:0xf bank_mask:0xf
	v_add_nc_u32_e32 v8, v5, v8
	v_add_nc_u32_e32 v21, v6, v21
	v_cndmask_b32_e64 v5, v5, v8, s2
	v_cndmask_b32_e64 v6, v6, v21, s2
	v_cmp_lt_u32_e64 s2, 3, v22
	v_mov_b32_dpp v8, v5 row_shr:4 row_mask:0xf bank_mask:0xf
	v_mov_b32_dpp v21, v6 row_shr:4 row_mask:0xf bank_mask:0xf
	v_cndmask_b32_e64 v8, 0, v8, s2
	v_cndmask_b32_e64 v21, 0, v21, s2
	v_add_nc_u32_e32 v5, v8, v5
	v_add_nc_u32_e32 v6, v21, v6
	ds_write_b64 v7, v[5:6]
.LBB744_115:
	s_or_b32 exec_lo, exec_lo, s3
	v_cndmask_b32_e32 v1, v3, v1, vcc_lo
	v_cndmask_b32_e32 v2, v4, v2, vcc_lo
	s_mov_b32 s3, exec_lo
	v_cmp_gt_u32_e32 vcc_lo, 32, v0
	s_waitcnt lgkmcnt(0)
	s_barrier
	buffer_gl0_inv
                                        ; implicit-def: $vgpr21
	v_cmpx_lt_u32_e32 31, v0
	s_cbranch_execz .LBB744_117
; %bb.116:
	v_lshl_add_u32 v3, v63, 3, -8
	ds_read_b64 v[21:22], v3
	s_waitcnt lgkmcnt(0)
	v_add_nc_u32_e32 v1, v22, v1
	v_add_nc_u32_e32 v2, v21, v2
.LBB744_117:
	s_or_b32 exec_lo, exec_lo, s3
	v_sub_co_u32 v3, s2, v62, 1
	v_cmp_gt_i32_e64 s3, 0, v3
	v_cndmask_b32_e64 v3, v3, v62, s3
	v_lshlrev_b32_e32 v3, 2, v3
	ds_bpermute_b32 v69, v3, v2
	ds_bpermute_b32 v70, v3, v1
	s_and_saveexec_b32 s3, vcc_lo
	s_cbranch_execz .LBB744_137
; %bb.118:
	v_mov_b32_e32 v4, 0
	ds_read_b64 v[1:2], v4 offset:56
	s_and_saveexec_b32 s8, s2
	s_cbranch_execz .LBB744_120
; %bb.119:
	s_add_i32 s10, s6, 32
	s_mov_b32 s11, 0
	v_mov_b32_e32 v3, 1
	s_lshl_b64 s[10:11], s[10:11], 4
	s_add_u32 s10, s4, s10
	s_addc_u32 s11, s5, s11
	v_mov_b32_e32 v5, s10
	v_mov_b32_e32 v6, s11
	s_waitcnt lgkmcnt(0)
	;;#ASMSTART
	global_store_dwordx4 v[5:6], v[1:4] off	
s_waitcnt vmcnt(0)
	;;#ASMEND
.LBB744_120:
	s_or_b32 exec_lo, exec_lo, s8
	v_xad_u32 v23, v62, -1, s6
	s_mov_b32 s9, 0
	v_add_nc_u32_e32 v3, 32, v23
	v_lshlrev_b64 v[5:6], 4, v[3:4]
	v_add_co_u32 v24, vcc_lo, s4, v5
	v_add_co_ci_u32_e64 v25, null, s5, v6, vcc_lo
	;;#ASMSTART
	global_load_dwordx4 v[5:8], v[24:25] off glc dlc	
s_waitcnt vmcnt(0)
	;;#ASMEND
	v_cmp_eq_u16_sdwa s10, v7, v4 src0_sel:BYTE_0 src1_sel:DWORD
	s_and_saveexec_b32 s8, s10
	s_cbranch_execz .LBB744_124
; %bb.121:
	v_mov_b32_e32 v3, 0
.LBB744_122:                            ; =>This Inner Loop Header: Depth=1
	;;#ASMSTART
	global_load_dwordx4 v[5:8], v[24:25] off glc dlc	
s_waitcnt vmcnt(0)
	;;#ASMEND
	v_cmp_ne_u16_sdwa s10, v7, v3 src0_sel:BYTE_0 src1_sel:DWORD
	s_or_b32 s9, s10, s9
	s_andn2_b32 exec_lo, exec_lo, s9
	s_cbranch_execnz .LBB744_122
; %bb.123:
	s_or_b32 exec_lo, exec_lo, s9
.LBB744_124:
	s_or_b32 exec_lo, exec_lo, s8
	v_cmp_ne_u32_e32 vcc_lo, 31, v62
	v_mov_b32_e32 v72, 2
	v_lshlrev_b32_e64 v73, v62, -1
	v_add_nc_u32_e32 v75, 2, v62
	v_add_nc_u32_e32 v77, 4, v62
	v_add_co_ci_u32_e64 v3, null, 0, v62, vcc_lo
	v_cmp_eq_u16_sdwa s8, v7, v72 src0_sel:BYTE_0 src1_sel:DWORD
	v_cmp_gt_u32_e32 vcc_lo, 30, v62
	v_add_nc_u32_e32 v79, 8, v62
	v_lshlrev_b32_e32 v71, 2, v3
	v_lshl_or_b32 v80, v62, 2, 64
	v_and_b32_e32 v8, s8, v73
	v_cndmask_b32_e64 v24, 0, 2, vcc_lo
	v_add_nc_u32_e32 v81, 16, v62
	ds_bpermute_b32 v3, v71, v6
	ds_bpermute_b32 v4, v71, v5
	v_or_b32_e32 v8, 0x80000000, v8
	v_add_lshl_u32 v74, v24, v62, 2
	v_ffbl_b32_e32 v8, v8
	v_cmp_lt_u32_e32 vcc_lo, v62, v8
	s_waitcnt lgkmcnt(1)
	v_add_nc_u32_e32 v3, v3, v6
	s_waitcnt lgkmcnt(0)
	v_add_nc_u32_e32 v4, v4, v5
	v_cndmask_b32_e32 v3, v6, v3, vcc_lo
	v_cndmask_b32_e32 v4, v5, v4, vcc_lo
	v_cmp_gt_u32_e32 vcc_lo, 28, v62
	ds_bpermute_b32 v5, v74, v3
	ds_bpermute_b32 v6, v74, v4
	v_cndmask_b32_e64 v24, 0, 4, vcc_lo
	v_cmp_gt_u32_e32 vcc_lo, v75, v8
	v_add_lshl_u32 v76, v24, v62, 2
	s_waitcnt lgkmcnt(1)
	v_add_nc_u32_e32 v5, v3, v5
	s_waitcnt lgkmcnt(0)
	v_add_nc_u32_e32 v6, v4, v6
	v_cndmask_b32_e32 v3, v5, v3, vcc_lo
	v_cndmask_b32_e32 v4, v6, v4, vcc_lo
	v_cmp_gt_u32_e32 vcc_lo, 24, v62
	ds_bpermute_b32 v5, v76, v3
	ds_bpermute_b32 v6, v76, v4
	v_cndmask_b32_e64 v24, 0, 8, vcc_lo
	v_cmp_gt_u32_e32 vcc_lo, v77, v8
	v_add_lshl_u32 v78, v24, v62, 2
	v_mov_b32_e32 v24, 0
	s_waitcnt lgkmcnt(1)
	v_add_nc_u32_e32 v5, v3, v5
	s_waitcnt lgkmcnt(0)
	v_add_nc_u32_e32 v6, v4, v6
	v_cndmask_b32_e32 v3, v5, v3, vcc_lo
	v_cndmask_b32_e32 v4, v6, v4, vcc_lo
	v_cmp_gt_u32_e32 vcc_lo, v79, v8
	ds_bpermute_b32 v5, v78, v3
	ds_bpermute_b32 v6, v78, v4
	s_waitcnt lgkmcnt(1)
	v_add_nc_u32_e32 v5, v3, v5
	s_waitcnt lgkmcnt(0)
	v_add_nc_u32_e32 v6, v4, v6
	v_cndmask_b32_e32 v3, v5, v3, vcc_lo
	v_cndmask_b32_e32 v4, v6, v4, vcc_lo
	v_cmp_le_u32_e32 vcc_lo, v81, v8
	ds_bpermute_b32 v6, v80, v3
	ds_bpermute_b32 v5, v80, v4
	s_waitcnt lgkmcnt(1)
	v_cndmask_b32_e32 v6, 0, v6, vcc_lo
	s_waitcnt lgkmcnt(0)
	v_cndmask_b32_e32 v5, 0, v5, vcc_lo
	v_add_nc_u32_e32 v6, v6, v3
	v_add_nc_u32_e32 v5, v5, v4
	s_branch .LBB744_128
.LBB744_125:                            ;   in Loop: Header=BB744_128 Depth=1
	s_or_b32 exec_lo, exec_lo, s9
.LBB744_126:                            ;   in Loop: Header=BB744_128 Depth=1
	s_or_b32 exec_lo, exec_lo, s8
	ds_bpermute_b32 v8, v71, v5
	ds_bpermute_b32 v25, v71, v6
	v_cmp_eq_u16_sdwa s8, v7, v72 src0_sel:BYTE_0 src1_sel:DWORD
	v_subrev_nc_u32_e32 v23, 32, v23
	v_and_or_b32 v26, s8, v73, 0x80000000
	s_mov_b32 s8, 0
	v_ffbl_b32_e32 v26, v26
	v_cmp_lt_u32_e32 vcc_lo, v62, v26
	s_waitcnt lgkmcnt(1)
	v_add_nc_u32_e32 v8, v8, v5
	s_waitcnt lgkmcnt(0)
	v_add_nc_u32_e32 v25, v25, v6
	v_cndmask_b32_e32 v5, v5, v8, vcc_lo
	v_cndmask_b32_e32 v6, v6, v25, vcc_lo
	v_cmp_gt_u32_e32 vcc_lo, v75, v26
	ds_bpermute_b32 v8, v74, v5
	ds_bpermute_b32 v25, v74, v6
	s_waitcnt lgkmcnt(1)
	v_add_nc_u32_e32 v8, v5, v8
	s_waitcnt lgkmcnt(0)
	v_add_nc_u32_e32 v25, v6, v25
	v_cndmask_b32_e32 v5, v8, v5, vcc_lo
	v_cndmask_b32_e32 v6, v25, v6, vcc_lo
	v_cmp_gt_u32_e32 vcc_lo, v77, v26
	ds_bpermute_b32 v8, v76, v5
	ds_bpermute_b32 v25, v76, v6
	;; [unrolled: 9-line block ×3, first 2 shown]
	s_waitcnt lgkmcnt(1)
	v_add_nc_u32_e32 v8, v5, v8
	s_waitcnt lgkmcnt(0)
	v_add_nc_u32_e32 v25, v6, v25
	v_cndmask_b32_e32 v5, v8, v5, vcc_lo
	v_cndmask_b32_e32 v6, v25, v6, vcc_lo
	v_cmp_le_u32_e32 vcc_lo, v81, v26
	ds_bpermute_b32 v8, v80, v5
	ds_bpermute_b32 v25, v80, v6
	s_waitcnt lgkmcnt(1)
	v_cndmask_b32_e32 v8, 0, v8, vcc_lo
	s_waitcnt lgkmcnt(0)
	v_cndmask_b32_e32 v25, 0, v25, vcc_lo
	v_add3_u32 v5, v5, v3, v8
	v_add3_u32 v6, v6, v4, v25
.LBB744_127:                            ;   in Loop: Header=BB744_128 Depth=1
	s_and_b32 vcc_lo, exec_lo, s8
	s_cbranch_vccnz .LBB744_133
.LBB744_128:                            ; =>This Loop Header: Depth=1
                                        ;     Child Loop BB744_131 Depth 2
	v_cmp_ne_u16_sdwa s8, v7, v72 src0_sel:BYTE_0 src1_sel:DWORD
	v_mov_b32_e32 v3, v5
	v_mov_b32_e32 v4, v6
                                        ; implicit-def: $vgpr7
                                        ; implicit-def: $vgpr5_vgpr6
	s_cmp_lg_u32 s8, exec_lo
	s_mov_b32 s8, -1
	s_cbranch_scc1 .LBB744_127
; %bb.129:                              ;   in Loop: Header=BB744_128 Depth=1
	v_lshlrev_b64 v[5:6], 4, v[23:24]
	v_add_co_u32 v25, vcc_lo, s4, v5
	v_add_co_ci_u32_e64 v26, null, s5, v6, vcc_lo
	;;#ASMSTART
	global_load_dwordx4 v[5:8], v[25:26] off glc dlc	
s_waitcnt vmcnt(0)
	;;#ASMEND
	v_cmp_eq_u16_sdwa s9, v7, v24 src0_sel:BYTE_0 src1_sel:DWORD
	s_and_saveexec_b32 s8, s9
	s_cbranch_execz .LBB744_126
; %bb.130:                              ;   in Loop: Header=BB744_128 Depth=1
	s_mov_b32 s9, 0
.LBB744_131:                            ;   Parent Loop BB744_128 Depth=1
                                        ; =>  This Inner Loop Header: Depth=2
	;;#ASMSTART
	global_load_dwordx4 v[5:8], v[25:26] off glc dlc	
s_waitcnt vmcnt(0)
	;;#ASMEND
	v_cmp_ne_u16_sdwa s10, v7, v24 src0_sel:BYTE_0 src1_sel:DWORD
	s_or_b32 s9, s10, s9
	s_andn2_b32 exec_lo, exec_lo, s9
	s_cbranch_execnz .LBB744_131
	s_branch .LBB744_125
.LBB744_132:
                                        ; implicit-def: $vgpr23
                                        ; implicit-def: $vgpr3
                                        ; implicit-def: $vgpr24
	s_and_b32 vcc_lo, exec_lo, s3
	s_cbranch_vccnz .LBB744_138
	s_branch .LBB744_147
.LBB744_133:
	s_and_saveexec_b32 s8, s2
	s_cbranch_execnz .LBB744_375
; %bb.134:
	s_or_b32 exec_lo, exec_lo, s8
	s_and_saveexec_b32 s6, s2
	s_cbranch_execnz .LBB744_376
.LBB744_135:
	s_or_b32 exec_lo, exec_lo, s6
	v_cmp_eq_u32_e32 vcc_lo, 0, v0
	s_and_b32 exec_lo, exec_lo, vcc_lo
.LBB744_136:
	v_mov_b32_e32 v1, 0
	ds_write_b64 v1, v[3:4] offset:56
.LBB744_137:
	s_or_b32 exec_lo, exec_lo, s3
	v_mov_b32_e32 v1, 0
	s_waitcnt lgkmcnt(0)
	s_barrier
	buffer_gl0_inv
	v_cndmask_b32_e64 v7, v69, v21, s2
	ds_read_b64 v[5:6], v1 offset:56
	s_waitcnt lgkmcnt(0)
	s_barrier
	buffer_gl0_inv
	ds_read_b128 v[1:4], v1 offset:13312
	v_cndmask_b32_e64 v8, v70, v22, s2
	v_cmp_eq_u32_e32 vcc_lo, 0, v0
	v_add_nc_u32_e32 v7, v5, v7
	v_add_nc_u32_e32 v8, v6, v8
	v_cndmask_b32_e32 v24, v7, v5, vcc_lo
	v_cndmask_b32_e32 v23, v8, v6, vcc_lo
	s_branch .LBB744_147
.LBB744_138:
	s_waitcnt lgkmcnt(0)
	v_mov_b32_dpp v1, v67 row_shr:1 row_mask:0xf bank_mask:0xf
	v_mov_b32_dpp v2, v68 row_shr:1 row_mask:0xf bank_mask:0xf
	v_cmp_lt_u32_e32 vcc_lo, 3, v64
	v_add_nc_u32_e32 v1, v1, v67
	v_add_nc_u32_e32 v2, v2, v68
	v_cndmask_b32_e64 v1, v1, v67, s1
	v_cndmask_b32_e64 v2, v2, v68, s1
	s_mov_b32 s1, exec_lo
	v_mov_b32_dpp v3, v1 row_shr:2 row_mask:0xf bank_mask:0xf
	v_mov_b32_dpp v4, v2 row_shr:2 row_mask:0xf bank_mask:0xf
	v_add_nc_u32_e32 v3, v1, v3
	v_add_nc_u32_e32 v4, v2, v4
	v_cndmask_b32_e64 v1, v1, v3, s0
	v_cndmask_b32_e64 v2, v2, v4, s0
	v_mov_b32_dpp v3, v1 row_shr:4 row_mask:0xf bank_mask:0xf
	v_mov_b32_dpp v4, v2 row_shr:4 row_mask:0xf bank_mask:0xf
	v_add_nc_u32_e32 v3, v1, v3
	v_add_nc_u32_e32 v4, v2, v4
	v_cndmask_b32_e32 v3, v1, v3, vcc_lo
	v_cndmask_b32_e32 v2, v2, v4, vcc_lo
	v_cmp_lt_u32_e32 vcc_lo, 7, v64
	v_mov_b32_dpp v1, v3 row_shr:8 row_mask:0xf bank_mask:0xf
	v_mov_b32_dpp v4, v2 row_shr:8 row_mask:0xf bank_mask:0xf
	v_add_nc_u32_e32 v5, v3, v1
	v_add_nc_u32_e32 v1, v2, v4
	v_cndmask_b32_e32 v1, v2, v1, vcc_lo
	v_cndmask_b32_e32 v2, v3, v5, vcc_lo
	v_cmp_eq_u32_e32 vcc_lo, 0, v66
	ds_swizzle_b32 v3, v1 offset:swizzle(BROADCAST,32,15)
	ds_swizzle_b32 v4, v2 offset:swizzle(BROADCAST,32,15)
	s_waitcnt lgkmcnt(1)
	v_add_nc_u32_e32 v3, v1, v3
	s_waitcnt lgkmcnt(0)
	v_add_nc_u32_e32 v4, v2, v4
	v_cmpx_eq_u32_e64 v0, v65
	s_cbranch_execz .LBB744_140
; %bb.139:
	v_cndmask_b32_e32 v5, v4, v2, vcc_lo
	v_cndmask_b32_e32 v6, v3, v1, vcc_lo
	v_lshlrev_b32_e32 v7, 3, v63
	ds_write_b64 v7, v[5:6]
.LBB744_140:
	s_or_b32 exec_lo, exec_lo, s1
	s_mov_b32 s1, exec_lo
	s_waitcnt lgkmcnt(0)
	s_barrier
	buffer_gl0_inv
	v_cmpx_gt_u32_e32 8, v0
	s_cbranch_execz .LBB744_142
; %bb.141:
	v_lshlrev_b32_e32 v7, 3, v0
	v_and_b32_e32 v22, 7, v62
	ds_read_b64 v[5:6], v7
	v_cmp_eq_u32_e64 s0, 0, v22
	s_waitcnt lgkmcnt(0)
	v_mov_b32_dpp v8, v5 row_shr:1 row_mask:0xf bank_mask:0xf
	v_mov_b32_dpp v21, v6 row_shr:1 row_mask:0xf bank_mask:0xf
	v_add_nc_u32_e32 v8, v8, v5
	v_add_nc_u32_e32 v21, v21, v6
	v_cndmask_b32_e64 v5, v8, v5, s0
	v_cndmask_b32_e64 v6, v21, v6, s0
	v_cmp_lt_u32_e64 s0, 1, v22
	v_mov_b32_dpp v8, v5 row_shr:2 row_mask:0xf bank_mask:0xf
	v_mov_b32_dpp v21, v6 row_shr:2 row_mask:0xf bank_mask:0xf
	v_add_nc_u32_e32 v8, v5, v8
	v_add_nc_u32_e32 v21, v6, v21
	v_cndmask_b32_e64 v5, v5, v8, s0
	v_cndmask_b32_e64 v6, v6, v21, s0
	v_cmp_lt_u32_e64 s0, 3, v22
	v_mov_b32_dpp v8, v5 row_shr:4 row_mask:0xf bank_mask:0xf
	v_mov_b32_dpp v21, v6 row_shr:4 row_mask:0xf bank_mask:0xf
	v_cndmask_b32_e64 v8, 0, v8, s0
	v_cndmask_b32_e64 v21, 0, v21, s0
	v_add_nc_u32_e32 v5, v8, v5
	v_add_nc_u32_e32 v6, v21, v6
	ds_write_b64 v7, v[5:6]
.LBB744_142:
	s_or_b32 exec_lo, exec_lo, s1
	v_mov_b32_e32 v7, 0
	v_mov_b32_e32 v5, 0
	;; [unrolled: 1-line block ×3, first 2 shown]
	s_mov_b32 s1, exec_lo
	s_waitcnt lgkmcnt(0)
	s_barrier
	buffer_gl0_inv
	v_cmpx_lt_u32_e32 31, v0
; %bb.143:
	v_lshl_add_u32 v5, v63, 3, -8
	ds_read_b64 v[5:6], v5
; %bb.144:
	s_or_b32 exec_lo, exec_lo, s1
	v_sub_co_u32 v8, s0, v62, 1
	v_cndmask_b32_e32 v2, v4, v2, vcc_lo
	v_cndmask_b32_e32 v1, v3, v1, vcc_lo
	v_cmp_eq_u32_e32 vcc_lo, 0, v0
	v_cmp_gt_i32_e64 s1, 0, v8
	s_waitcnt lgkmcnt(0)
	v_add_nc_u32_e32 v2, v5, v2
	v_add_nc_u32_e32 v1, v6, v1
	v_cndmask_b32_e64 v4, v8, v62, s1
	v_lshlrev_b32_e32 v3, 2, v4
	ds_bpermute_b32 v8, v3, v2
	ds_bpermute_b32 v21, v3, v1
	ds_read_b64 v[1:2], v7 offset:56
	s_and_saveexec_b32 s1, vcc_lo
	s_cbranch_execz .LBB744_146
; %bb.145:
	s_add_u32 s2, s4, 0x200
	s_addc_u32 s3, s5, 0
	v_mov_b32_e32 v3, 2
	v_mov_b32_e32 v23, s3
	;; [unrolled: 1-line block ×4, first 2 shown]
	s_waitcnt lgkmcnt(0)
	;;#ASMSTART
	global_store_dwordx4 v[22:23], v[1:4] off	
s_waitcnt vmcnt(0)
	;;#ASMEND
.LBB744_146:
	s_or_b32 exec_lo, exec_lo, s1
	s_waitcnt lgkmcnt(1)
	v_cndmask_b32_e64 v3, v21, v6, s0
	v_cndmask_b32_e64 v5, v8, v5, s0
	v_mov_b32_e32 v4, 0
	s_waitcnt lgkmcnt(0)
	s_barrier
	v_cndmask_b32_e64 v23, v3, 0, vcc_lo
	v_cndmask_b32_e64 v24, v5, 0, vcc_lo
	v_mov_b32_e32 v3, 0
	buffer_gl0_inv
.LBB744_147:
	v_add_nc_u32_e32 v61, v23, v61
	v_add_nc_u32_e32 v60, v24, v60
	s_waitcnt lgkmcnt(0)
	v_sub_nc_u32_e32 v23, v23, v4
	v_lshrrev_b32_e32 v26, 8, v36
	v_lshlrev_b32_e32 v66, 1, v1
	v_add_nc_u32_e32 v58, v61, v58
	v_sub_nc_u32_e32 v61, v61, v4
	v_add_nc_u32_e32 v57, v60, v57
	v_sub_nc_u32_e32 v24, v24, v3
	v_sub_nc_u32_e32 v60, v60, v3
	v_add_nc_u32_e32 v23, v23, v1
	v_add_nc_u32_e32 v61, v61, v1
	v_and_b32_e32 v26, 1, v26
	v_mov_b32_e32 v68, 1
	v_add3_u32 v29, v66, v2, v29
	v_add_nc_u32_e32 v73, v24, v23
	v_add_nc_u32_e32 v72, v61, v60
	v_cmp_eq_u32_e32 vcc_lo, 1, v26
	v_and_b32_sdwa v71, v68, v36 dst_sel:DWORD dst_unused:UNUSED_PAD src0_sel:DWORD src1_sel:WORD_1
	v_lshrrev_b32_e32 v25, 8, v30
	v_sub_nc_u32_e32 v73, v29, v73
	v_sub_nc_u32_e32 v72, v29, v72
	v_and_b32_e32 v67, 1, v30
	v_add_nc_u32_e32 v62, v58, v43
	v_and_b32_e32 v25, 1, v25
	v_cndmask_b32_e32 v23, v73, v23, vcc_lo
	v_add_nc_u32_e32 v72, 1, v72
	v_cmp_eq_u32_e32 vcc_lo, 1, v71
	v_sub_nc_u32_e32 v58, v58, v4
	v_add_nc_u32_e32 v59, v57, v59
	v_sub_nc_u32_e32 v57, v57, v3
	v_add_co_u32 v5, s0, s28, v3
	v_cndmask_b32_e32 v26, v72, v61, vcc_lo
	v_cmp_eq_u32_e32 vcc_lo, 1, v67
	v_add_nc_u32_e32 v58, v58, v1
	v_add_co_ci_u32_e64 v6, null, s29, 0, s0
	v_sub_co_u32 v64, s0, s30, v1
	v_cndmask_b32_e32 v67, v23, v24, vcc_lo
	v_cmp_eq_u32_e32 vcc_lo, 1, v25
	v_sub_co_ci_u32_e64 v65, null, s31, 0, s0
	v_and_b32_e32 v43, 1, v43
	v_add_nc_u32_e32 v56, v62, v56
	v_cndmask_b32_e32 v25, v26, v60, vcc_lo
	v_add_nc_u32_e32 v26, v58, v57
	v_add_co_u32 v23, vcc_lo, v64, v4
	v_add_co_ci_u32_e64 v24, null, 0, v65, vcc_lo
	v_sub_nc_u32_e32 v26, v29, v26
	v_sub_nc_u32_e32 v62, v62, v4
	v_and_b32_sdwa v30, v68, v30 dst_sel:DWORD dst_unused:UNUSED_PAD src0_sel:DWORD src1_sel:WORD_1
	v_cmp_eq_u32_e32 vcc_lo, 1, v43
	v_add_nc_u32_e32 v63, v59, v42
	v_add_nc_u32_e32 v26, 2, v26
	v_sub_nc_u32_e32 v59, v59, v3
	v_add_nc_u32_e32 v62, v62, v1
	v_add_nc_u32_e32 v55, v56, v55
	v_lshlrev_b32_e32 v60, 2, v67
	v_cndmask_b32_e32 v26, v26, v58, vcc_lo
	v_cmp_eq_u32_e32 vcc_lo, 1, v30
	v_lshlrev_b32_e32 v25, 2, v25
	v_sub_nc_u32_e32 v56, v56, v4
	v_add_nc_u32_e32 v43, v59, v62
	v_sub_nc_u32_e32 v58, v63, v3
	v_cndmask_b32_e32 v26, v26, v57, vcc_lo
	ds_write_b32 v60, v19
	v_add_nc_u32_e32 v56, v56, v1
	v_sub_nc_u32_e32 v19, v29, v43
	ds_write_b32 v25, v20
	v_lshlrev_b32_e32 v25, 2, v26
	v_and_b32_e32 v26, 1, v31
	v_lshrrev_b32_e32 v22, 8, v31
	v_add_nc_u32_e32 v54, v63, v54
	v_add_nc_u32_e32 v20, v58, v56
	;; [unrolled: 1-line block ×3, first 2 shown]
	v_and_b32_e32 v30, 1, v42
	v_sub_nc_u32_e32 v42, v55, v4
	v_cmp_eq_u32_e32 vcc_lo, 1, v26
	v_sub_nc_u32_e32 v20, v29, v20
	v_and_b32_e32 v22, 1, v22
	v_sub_nc_u32_e32 v26, v54, v3
	v_add_nc_u32_e32 v42, v42, v1
	v_cndmask_b32_e32 v19, v19, v62, vcc_lo
	v_cmp_eq_u32_e32 vcc_lo, 1, v30
	v_add_nc_u32_e32 v20, 4, v20
	v_and_b32_e32 v30, 1, v32
	v_add_nc_u32_e32 v43, v26, v42
	v_lshrrev_b32_e32 v21, 8, v32
	v_cndmask_b32_e32 v19, v19, v59, vcc_lo
	v_cmp_eq_u32_e32 vcc_lo, 1, v22
	v_add_nc_u32_e32 v53, v55, v53
	ds_write_b32 v25, v17
	v_and_b32_sdwa v25, v68, v31 dst_sel:DWORD dst_unused:UNUSED_PAD src0_sel:DWORD src1_sel:WORD_1
	v_lshlrev_b32_e32 v17, 2, v19
	v_cndmask_b32_e32 v20, v20, v56, vcc_lo
	v_sub_nc_u32_e32 v19, v29, v43
	v_cmp_eq_u32_e32 vcc_lo, 1, v30
	v_add_nc_u32_e32 v52, v54, v52
	v_add_nc_u32_e32 v69, v53, v41
	v_and_b32_e32 v21, 1, v21
	v_sub_nc_u32_e32 v22, v53, v4
	v_cndmask_b32_e32 v20, v20, v58, vcc_lo
	v_add_nc_u32_e32 v19, 5, v19
	v_cmp_eq_u32_e32 vcc_lo, 1, v25
	v_add_nc_u32_e32 v46, v52, v46
	v_sub_nc_u32_e32 v30, v52, v3
	v_sub_nc_u32_e32 v31, v69, v4
	v_add_nc_u32_e32 v22, v22, v1
	v_cndmask_b32_e32 v19, v19, v42, vcc_lo
	v_cmp_eq_u32_e32 vcc_lo, 1, v21
	v_sub_nc_u32_e32 v25, v46, v3
	v_add_nc_u32_e32 v31, v31, v1
	v_lshlrev_b32_e32 v20, 2, v20
	v_add_nc_u32_e32 v42, v30, v22
	v_cndmask_b32_e32 v19, v19, v26, vcc_lo
	ds_write_b32 v17, v18
	v_add_nc_u32_e32 v21, v25, v31
	ds_write_b32 v20, v15
	v_sub_nc_u32_e32 v17, v29, v42
	v_lshlrev_b32_e32 v15, 2, v19
	v_and_b32_e32 v19, 1, v41
	v_sub_nc_u32_e32 v18, v29, v21
	v_and_b32_e32 v21, 1, v33
	v_add_nc_u32_e32 v17, 6, v17
	v_add_nc_u32_e32 v51, v69, v51
	v_cmp_eq_u32_e32 vcc_lo, 1, v19
	v_and_b32_sdwa v20, v68, v32 dst_sel:DWORD dst_unused:UNUSED_PAD src0_sel:DWORD src1_sel:WORD_1
	v_add_nc_u32_e32 v18, 7, v18
	v_add_nc_u32_e32 v70, v46, v40
	v_sub_nc_u32_e32 v19, v51, v4
	v_cndmask_b32_e32 v17, v17, v22, vcc_lo
	v_cmp_eq_u32_e32 vcc_lo, 1, v21
	v_and_b32_e32 v22, 1, v40
	v_add_nc_u32_e32 v50, v51, v50
	v_sub_nc_u32_e32 v21, v70, v3
	v_add_nc_u32_e32 v19, v19, v1
	v_cndmask_b32_e32 v18, v18, v31, vcc_lo
	v_cmp_eq_u32_e32 vcc_lo, 1, v20
	v_lshrrev_b32_e32 v8, 8, v33
	v_add_nc_u32_e32 v49, v70, v49
	v_add_nc_u32_e32 v20, v21, v19
	ds_write_b32 v15, v16
	v_cndmask_b32_e32 v17, v17, v30, vcc_lo
	v_cmp_eq_u32_e32 vcc_lo, 1, v22
	v_sub_nc_u32_e32 v15, v50, v4
	v_add_nc_u32_e32 v48, v50, v48
	v_and_b32_e32 v8, 1, v8
	v_lshlrev_b32_e32 v16, 2, v17
	v_cndmask_b32_e32 v18, v18, v25, vcc_lo
	v_add_nc_u32_e32 v15, v15, v1
	v_add_nc_u32_e32 v47, v49, v47
	v_cmp_eq_u32_e32 vcc_lo, 1, v8
	v_lshrrev_b32_e32 v7, 8, v35
	v_lshlrev_b32_e32 v17, 2, v18
	v_sub_nc_u32_e32 v18, v29, v20
	v_sub_nc_u32_e32 v20, v49, v3
	ds_write_b32 v16, v13
	ds_write_b32 v17, v14
	v_and_b32_e32 v16, 1, v35
	v_add_nc_u32_e32 v13, 8, v18
	v_add_nc_u32_e32 v14, v20, v15
	v_sub_nc_u32_e32 v17, v48, v4
	v_add_nc_u32_e32 v74, v48, v39
	v_add_nc_u32_e32 v45, v47, v45
	v_cndmask_b32_e32 v8, v13, v19, vcc_lo
	v_sub_nc_u32_e32 v13, v29, v14
	v_sub_nc_u32_e32 v14, v47, v3
	v_add_nc_u32_e32 v17, v17, v1
	v_cmp_eq_u32_e32 vcc_lo, 1, v16
	v_and_b32_sdwa v16, v68, v33 dst_sel:DWORD dst_unused:UNUSED_PAD src0_sel:DWORD src1_sel:WORD_1
	v_add_nc_u32_e32 v44, v74, v44
	v_add_nc_u32_e32 v13, 9, v13
	v_and_b32_e32 v7, 1, v7
	v_cndmask_b32_e32 v8, v8, v21, vcc_lo
	v_add_nc_u32_e32 v18, v14, v17
	v_sub_nc_u32_e32 v19, v74, v4
	v_cmp_eq_u32_e32 vcc_lo, 1, v16
	v_add_nc_u32_e32 v61, v45, v38
	v_and_b32_e32 v25, 1, v37
	v_sub_nc_u32_e32 v16, v29, v18
	v_sub_nc_u32_e32 v18, v45, v3
	v_cndmask_b32_e32 v13, v13, v15, vcc_lo
	v_sub_nc_u32_e32 v15, v44, v4
	v_add_nc_u32_e32 v19, v19, v1
	v_cmp_eq_u32_e32 vcc_lo, 1, v7
	v_sub_nc_u32_e32 v3, v61, v3
	v_add_nc_u32_e32 v16, 10, v16
	v_add_nc_u32_e32 v15, v15, v1
	v_and_b32_sdwa v22, v68, v35 dst_sel:DWORD dst_unused:UNUSED_PAD src0_sel:DWORD src1_sel:WORD_1
	v_cndmask_b32_e32 v7, v13, v20, vcc_lo
	v_add_nc_u32_e32 v13, v18, v19
	v_and_b32_e32 v20, 1, v39
	v_add_nc_u32_e32 v21, v3, v15
	v_lshlrev_b32_e32 v8, 2, v8
	v_lshlrev_b32_e32 v7, 2, v7
	v_sub_nc_u32_e32 v13, v29, v13
	v_cmp_eq_u32_e32 vcc_lo, 1, v20
	v_and_b32_e32 v20, 1, v34
	v_add_nc_u32_e32 v13, 11, v13
	v_cndmask_b32_e32 v16, v16, v17, vcc_lo
	v_sub_nc_u32_e32 v17, v29, v21
	v_cmp_eq_u32_e32 vcc_lo, 1, v20
	v_and_b32_e32 v21, 1, v38
	v_add_nc_u32_e32 v17, 12, v17
	v_cndmask_b32_e32 v13, v13, v19, vcc_lo
	v_cmp_eq_u32_e32 vcc_lo, 1, v25
	v_and_b32_e32 v19, 1, v36
	v_cndmask_b32_e32 v15, v17, v15, vcc_lo
	v_cmp_eq_u32_e32 vcc_lo, 1, v22
	v_cndmask_b32_e32 v14, v16, v14, vcc_lo
	v_cmp_eq_u32_e32 vcc_lo, 1, v21
	v_lshlrev_b32_e32 v14, 2, v14
	v_cndmask_b32_e32 v13, v13, v18, vcc_lo
	v_cmp_eq_u32_e32 vcc_lo, 1, v19
	v_lshlrev_b32_e32 v13, 2, v13
	v_cndmask_b32_e32 v3, v15, v3, vcc_lo
	v_lshlrev_b32_e32 v3, 2, v3
	ds_write_b32 v8, v11
	ds_write_b32 v7, v12
	;; [unrolled: 1-line block ×5, first 2 shown]
	v_add_co_u32 v3, s0, v2, v66
	v_add_co_ci_u32_e64 v7, null, 0, 0, s0
	s_add_u32 s0, s34, s42
	v_add_co_u32 v3, vcc_lo, v3, v23
	v_add_co_ci_u32_e64 v7, null, v7, v24, vcc_lo
	s_addc_u32 s1, s35, 0
	v_add_co_u32 v3, vcc_lo, v3, v5
	v_add_co_ci_u32_e64 v9, null, v7, v6, vcc_lo
	v_lshlrev_b64 v[7:8], 2, v[23:24]
	v_sub_co_u32 v3, vcc_lo, s0, v3
	v_sub_co_ci_u32_e64 v11, null, s1, v9, vcc_lo
	v_lshlrev_b64 v[9:10], 2, v[5:6]
	v_add_co_u32 v7, vcc_lo, s38, v7
	v_add_co_ci_u32_e64 v8, null, s39, v8, vcc_lo
	v_cmp_ne_u32_e32 vcc_lo, 1, v27
	v_add_co_u32 v9, s0, s36, v9
	v_add_nc_u32_e32 v12, v1, v2
	v_add_co_ci_u32_e64 v10, null, s37, v10, s0
	s_and_b32 vcc_lo, exec_lo, vcc_lo
	s_mov_b32 s0, -1
	s_waitcnt lgkmcnt(0)
	s_barrier
	buffer_gl0_inv
	s_cbranch_vccz .LBB744_151
; %bb.148:
	s_and_b32 vcc_lo, exec_lo, s0
	s_cbranch_vccnz .LBB744_256
.LBB744_149:
	v_cmp_eq_u32_e32 vcc_lo, 0, v0
	s_and_b32 s0, vcc_lo, s33
	s_and_saveexec_b32 s1, s0
	s_cbranch_execnz .LBB744_374
.LBB744_150:
	s_endpgm
.LBB744_151:
	s_mov_b32 s0, exec_lo
	v_cmpx_ge_u32_e64 v0, v1
	s_xor_b32 s0, exec_lo, s0
	s_cbranch_execz .LBB744_157
; %bb.152:
	s_mov_b32 s1, exec_lo
	v_cmpx_ge_u32_e64 v0, v12
	s_xor_b32 s1, exec_lo, s1
	s_cbranch_execz .LBB744_154
; %bb.153:
	v_lshlrev_b32_e32 v13, 2, v0
	ds_read_b32 v15, v13
	v_add_co_u32 v13, vcc_lo, v3, v0
	v_add_co_ci_u32_e64 v14, null, 0, v11, vcc_lo
	v_lshlrev_b64 v[13:14], 2, v[13:14]
	v_sub_co_u32 v13, vcc_lo, s26, v13
	v_sub_co_ci_u32_e64 v14, null, s27, v14, vcc_lo
	s_waitcnt lgkmcnt(0)
	global_store_dword v[13:14], v15, off offset:-4
.LBB744_154:
	s_andn2_saveexec_b32 s1, s1
	s_cbranch_execz .LBB744_156
; %bb.155:
	v_lshlrev_b32_e32 v13, 2, v0
	v_readfirstlane_b32 s2, v7
	v_readfirstlane_b32 s3, v8
	ds_read_b32 v14, v13
	s_waitcnt lgkmcnt(0)
	global_store_dword v13, v14, s[2:3]
.LBB744_156:
	s_or_b32 exec_lo, exec_lo, s1
.LBB744_157:
	s_andn2_saveexec_b32 s0, s0
	s_cbranch_execz .LBB744_159
; %bb.158:
	v_lshlrev_b32_e32 v13, 2, v0
	v_readfirstlane_b32 s2, v9
	v_readfirstlane_b32 s3, v10
	ds_read_b32 v14, v13
	s_waitcnt lgkmcnt(0)
	global_store_dword v13, v14, s[2:3]
.LBB744_159:
	s_or_b32 exec_lo, exec_lo, s0
	v_or_b32_e32 v13, 0x100, v0
	s_mov_b32 s0, exec_lo
	v_cmpx_ge_u32_e64 v13, v1
	s_xor_b32 s0, exec_lo, s0
	s_cbranch_execz .LBB744_165
; %bb.160:
	s_mov_b32 s1, exec_lo
	v_cmpx_ge_u32_e64 v13, v12
	s_xor_b32 s1, exec_lo, s1
	s_cbranch_execz .LBB744_162
; %bb.161:
	v_lshlrev_b32_e32 v13, 2, v0
	ds_read_b32 v15, v13 offset:1024
	v_add_co_u32 v13, vcc_lo, v3, v0
	v_add_co_ci_u32_e64 v14, null, 0, v11, vcc_lo
	v_lshlrev_b64 v[13:14], 2, v[13:14]
	v_sub_co_u32 v13, vcc_lo, s26, v13
	v_sub_co_ci_u32_e64 v14, null, s27, v14, vcc_lo
	s_waitcnt lgkmcnt(0)
	global_store_dword v[13:14], v15, off offset:-1028
.LBB744_162:
	s_andn2_saveexec_b32 s1, s1
	s_cbranch_execz .LBB744_164
; %bb.163:
	v_lshlrev_b32_e32 v13, 2, v0
	v_readfirstlane_b32 s2, v7
	v_readfirstlane_b32 s3, v8
	ds_read_b32 v14, v13 offset:1024
	s_waitcnt lgkmcnt(0)
	global_store_dword v13, v14, s[2:3] offset:1024
.LBB744_164:
	s_or_b32 exec_lo, exec_lo, s1
.LBB744_165:
	s_andn2_saveexec_b32 s0, s0
	s_cbranch_execz .LBB744_167
; %bb.166:
	v_lshlrev_b32_e32 v13, 2, v0
	v_readfirstlane_b32 s2, v9
	v_readfirstlane_b32 s3, v10
	ds_read_b32 v14, v13 offset:1024
	s_waitcnt lgkmcnt(0)
	global_store_dword v13, v14, s[2:3] offset:1024
.LBB744_167:
	s_or_b32 exec_lo, exec_lo, s0
	v_or_b32_e32 v13, 0x200, v0
	s_mov_b32 s0, exec_lo
	v_cmpx_ge_u32_e64 v13, v1
	s_xor_b32 s0, exec_lo, s0
	s_cbranch_execz .LBB744_173
; %bb.168:
	s_mov_b32 s1, exec_lo
	v_cmpx_ge_u32_e64 v13, v12
	s_xor_b32 s1, exec_lo, s1
	s_cbranch_execz .LBB744_170
; %bb.169:
	v_lshlrev_b32_e32 v15, 2, v0
	v_add_co_u32 v13, vcc_lo, v3, v0
	v_add_co_ci_u32_e64 v14, null, 0, v11, vcc_lo
	ds_read_b32 v15, v15 offset:2048
	v_lshlrev_b64 v[13:14], 2, v[13:14]
	v_sub_co_u32 v13, vcc_lo, s26, v13
	v_sub_co_ci_u32_e64 v14, null, s27, v14, vcc_lo
	v_add_co_u32 v13, vcc_lo, 0xfffff800, v13
	v_add_co_ci_u32_e64 v14, null, -1, v14, vcc_lo
	s_waitcnt lgkmcnt(0)
	global_store_dword v[13:14], v15, off offset:-4
                                        ; implicit-def: $vgpr13
.LBB744_170:
	s_andn2_saveexec_b32 s1, s1
	s_cbranch_execz .LBB744_172
; %bb.171:
	v_lshlrev_b32_e32 v14, 2, v0
	v_lshlrev_b32_e32 v13, 2, v13
	v_readfirstlane_b32 s2, v7
	v_readfirstlane_b32 s3, v8
	ds_read_b32 v14, v14 offset:2048
	s_waitcnt lgkmcnt(0)
	global_store_dword v13, v14, s[2:3]
.LBB744_172:
	s_or_b32 exec_lo, exec_lo, s1
                                        ; implicit-def: $vgpr13
.LBB744_173:
	s_andn2_saveexec_b32 s0, s0
	s_cbranch_execz .LBB744_175
; %bb.174:
	v_lshlrev_b32_e32 v14, 2, v0
	v_lshlrev_b32_e32 v13, 2, v13
	v_readfirstlane_b32 s2, v9
	v_readfirstlane_b32 s3, v10
	ds_read_b32 v14, v14 offset:2048
	s_waitcnt lgkmcnt(0)
	global_store_dword v13, v14, s[2:3]
.LBB744_175:
	s_or_b32 exec_lo, exec_lo, s0
	v_or_b32_e32 v13, 0x300, v0
	s_mov_b32 s0, exec_lo
	v_cmpx_ge_u32_e64 v13, v1
	s_xor_b32 s0, exec_lo, s0
	s_cbranch_execz .LBB744_181
; %bb.176:
	s_mov_b32 s1, exec_lo
	v_cmpx_ge_u32_e64 v13, v12
	s_xor_b32 s1, exec_lo, s1
	s_cbranch_execz .LBB744_178
; %bb.177:
	v_lshlrev_b32_e32 v14, 2, v0
	v_add_co_u32 v13, vcc_lo, v3, v13
	ds_read_b32 v15, v14 offset:3072
	v_add_co_ci_u32_e64 v14, null, 0, v11, vcc_lo
	v_lshlrev_b64 v[13:14], 2, v[13:14]
	v_sub_co_u32 v13, vcc_lo, s26, v13
	v_sub_co_ci_u32_e64 v14, null, s27, v14, vcc_lo
	s_waitcnt lgkmcnt(0)
	global_store_dword v[13:14], v15, off offset:-4
                                        ; implicit-def: $vgpr13
.LBB744_178:
	s_andn2_saveexec_b32 s1, s1
	s_cbranch_execz .LBB744_180
; %bb.179:
	v_lshlrev_b32_e32 v14, 2, v0
	v_lshlrev_b32_e32 v13, 2, v13
	v_readfirstlane_b32 s2, v7
	v_readfirstlane_b32 s3, v8
	ds_read_b32 v14, v14 offset:3072
	s_waitcnt lgkmcnt(0)
	global_store_dword v13, v14, s[2:3]
.LBB744_180:
	s_or_b32 exec_lo, exec_lo, s1
                                        ; implicit-def: $vgpr13
.LBB744_181:
	s_andn2_saveexec_b32 s0, s0
	s_cbranch_execz .LBB744_183
; %bb.182:
	v_lshlrev_b32_e32 v14, 2, v0
	v_lshlrev_b32_e32 v13, 2, v13
	v_readfirstlane_b32 s2, v9
	v_readfirstlane_b32 s3, v10
	ds_read_b32 v14, v14 offset:3072
	s_waitcnt lgkmcnt(0)
	global_store_dword v13, v14, s[2:3]
.LBB744_183:
	s_or_b32 exec_lo, exec_lo, s0
	v_or_b32_e32 v13, 0x400, v0
	s_mov_b32 s0, exec_lo
	v_cmpx_ge_u32_e64 v13, v1
	s_xor_b32 s0, exec_lo, s0
	s_cbranch_execz .LBB744_189
; %bb.184:
	s_mov_b32 s1, exec_lo
	v_cmpx_ge_u32_e64 v13, v12
	s_xor_b32 s1, exec_lo, s1
	s_cbranch_execz .LBB744_186
; %bb.185:
	v_lshlrev_b32_e32 v14, 2, v0
	v_add_co_u32 v13, vcc_lo, v3, v13
	ds_read_b32 v15, v14 offset:4096
	v_add_co_ci_u32_e64 v14, null, 0, v11, vcc_lo
	v_lshlrev_b64 v[13:14], 2, v[13:14]
	v_sub_co_u32 v13, vcc_lo, s26, v13
	v_sub_co_ci_u32_e64 v14, null, s27, v14, vcc_lo
	s_waitcnt lgkmcnt(0)
	global_store_dword v[13:14], v15, off offset:-4
                                        ; implicit-def: $vgpr13
.LBB744_186:
	s_andn2_saveexec_b32 s1, s1
	s_cbranch_execz .LBB744_188
; %bb.187:
	v_lshlrev_b32_e32 v14, 2, v0
	v_lshlrev_b32_e32 v13, 2, v13
	v_readfirstlane_b32 s2, v7
	v_readfirstlane_b32 s3, v8
	ds_read_b32 v14, v14 offset:4096
	s_waitcnt lgkmcnt(0)
	global_store_dword v13, v14, s[2:3]
.LBB744_188:
	s_or_b32 exec_lo, exec_lo, s1
                                        ; implicit-def: $vgpr13
.LBB744_189:
	;; [unrolled: 48-line block ×10, first 2 shown]
	s_andn2_saveexec_b32 s0, s0
	s_cbranch_execz .LBB744_255
; %bb.254:
	v_lshlrev_b32_e32 v14, 2, v0
	v_lshlrev_b32_e32 v13, 2, v13
	v_readfirstlane_b32 s2, v9
	v_readfirstlane_b32 s3, v10
	ds_read_b32 v14, v14 offset:12288
	s_waitcnt lgkmcnt(0)
	global_store_dword v13, v14, s[2:3]
.LBB744_255:
	s_or_b32 exec_lo, exec_lo, s0
	s_branch .LBB744_149
.LBB744_256:
	s_mov_b32 s0, exec_lo
	v_cmpx_gt_u32_e64 s7, v0
	s_cbranch_execz .LBB744_265
; %bb.257:
	s_mov_b32 s1, exec_lo
	v_cmpx_ge_u32_e64 v0, v1
	s_xor_b32 s1, exec_lo, s1
	s_cbranch_execz .LBB744_263
; %bb.258:
	s_mov_b32 s2, exec_lo
	v_cmpx_ge_u32_e64 v0, v12
	s_xor_b32 s2, exec_lo, s2
	s_cbranch_execz .LBB744_260
; %bb.259:
	v_lshlrev_b32_e32 v13, 2, v0
	ds_read_b32 v15, v13
	v_add_co_u32 v13, vcc_lo, v3, v0
	v_add_co_ci_u32_e64 v14, null, 0, v11, vcc_lo
	v_lshlrev_b64 v[13:14], 2, v[13:14]
	v_sub_co_u32 v13, vcc_lo, s26, v13
	v_sub_co_ci_u32_e64 v14, null, s27, v14, vcc_lo
	s_waitcnt lgkmcnt(0)
	global_store_dword v[13:14], v15, off offset:-4
.LBB744_260:
	s_andn2_saveexec_b32 s2, s2
	s_cbranch_execz .LBB744_262
; %bb.261:
	v_lshlrev_b32_e32 v13, 2, v0
	v_readfirstlane_b32 s4, v7
	v_readfirstlane_b32 s5, v8
	ds_read_b32 v14, v13
	s_waitcnt lgkmcnt(0)
	global_store_dword v13, v14, s[4:5]
.LBB744_262:
	s_or_b32 exec_lo, exec_lo, s2
.LBB744_263:
	s_andn2_saveexec_b32 s1, s1
	s_cbranch_execz .LBB744_265
; %bb.264:
	v_lshlrev_b32_e32 v13, 2, v0
	v_readfirstlane_b32 s2, v9
	v_readfirstlane_b32 s3, v10
	ds_read_b32 v14, v13
	s_waitcnt lgkmcnt(0)
	global_store_dword v13, v14, s[2:3]
.LBB744_265:
	s_or_b32 exec_lo, exec_lo, s0
	v_or_b32_e32 v13, 0x100, v0
	s_mov_b32 s0, exec_lo
	v_cmpx_gt_u32_e64 s7, v13
	s_cbranch_execz .LBB744_274
; %bb.266:
	s_mov_b32 s1, exec_lo
	v_cmpx_ge_u32_e64 v13, v1
	s_xor_b32 s1, exec_lo, s1
	s_cbranch_execz .LBB744_272
; %bb.267:
	s_mov_b32 s2, exec_lo
	v_cmpx_ge_u32_e64 v13, v12
	s_xor_b32 s2, exec_lo, s2
	s_cbranch_execz .LBB744_269
; %bb.268:
	v_lshlrev_b32_e32 v13, 2, v0
	ds_read_b32 v15, v13 offset:1024
	v_add_co_u32 v13, vcc_lo, v3, v0
	v_add_co_ci_u32_e64 v14, null, 0, v11, vcc_lo
	v_lshlrev_b64 v[13:14], 2, v[13:14]
	v_sub_co_u32 v13, vcc_lo, s26, v13
	v_sub_co_ci_u32_e64 v14, null, s27, v14, vcc_lo
	s_waitcnt lgkmcnt(0)
	global_store_dword v[13:14], v15, off offset:-1028
.LBB744_269:
	s_andn2_saveexec_b32 s2, s2
	s_cbranch_execz .LBB744_271
; %bb.270:
	v_lshlrev_b32_e32 v13, 2, v0
	v_readfirstlane_b32 s4, v7
	v_readfirstlane_b32 s5, v8
	ds_read_b32 v14, v13 offset:1024
	s_waitcnt lgkmcnt(0)
	global_store_dword v13, v14, s[4:5] offset:1024
.LBB744_271:
	s_or_b32 exec_lo, exec_lo, s2
.LBB744_272:
	s_andn2_saveexec_b32 s1, s1
	s_cbranch_execz .LBB744_274
; %bb.273:
	v_lshlrev_b32_e32 v13, 2, v0
	v_readfirstlane_b32 s2, v9
	v_readfirstlane_b32 s3, v10
	ds_read_b32 v14, v13 offset:1024
	s_waitcnt lgkmcnt(0)
	global_store_dword v13, v14, s[2:3] offset:1024
.LBB744_274:
	s_or_b32 exec_lo, exec_lo, s0
	v_or_b32_e32 v13, 0x200, v0
	s_mov_b32 s0, exec_lo
	v_cmpx_gt_u32_e64 s7, v13
	s_cbranch_execz .LBB744_283
; %bb.275:
	s_mov_b32 s1, exec_lo
	v_cmpx_ge_u32_e64 v13, v1
	s_xor_b32 s1, exec_lo, s1
	s_cbranch_execz .LBB744_281
; %bb.276:
	s_mov_b32 s2, exec_lo
	v_cmpx_ge_u32_e64 v13, v12
	s_xor_b32 s2, exec_lo, s2
	s_cbranch_execz .LBB744_278
; %bb.277:
	v_lshlrev_b32_e32 v15, 2, v0
	v_add_co_u32 v13, vcc_lo, v3, v0
	v_add_co_ci_u32_e64 v14, null, 0, v11, vcc_lo
	ds_read_b32 v15, v15 offset:2048
	v_lshlrev_b64 v[13:14], 2, v[13:14]
	v_sub_co_u32 v13, vcc_lo, s26, v13
	v_sub_co_ci_u32_e64 v14, null, s27, v14, vcc_lo
	v_add_co_u32 v13, vcc_lo, 0xfffff800, v13
	v_add_co_ci_u32_e64 v14, null, -1, v14, vcc_lo
	s_waitcnt lgkmcnt(0)
	global_store_dword v[13:14], v15, off offset:-4
                                        ; implicit-def: $vgpr13
.LBB744_278:
	s_andn2_saveexec_b32 s2, s2
	s_cbranch_execz .LBB744_280
; %bb.279:
	v_lshlrev_b32_e32 v14, 2, v0
	v_lshlrev_b32_e32 v13, 2, v13
	v_readfirstlane_b32 s4, v7
	v_readfirstlane_b32 s5, v8
	ds_read_b32 v14, v14 offset:2048
	s_waitcnt lgkmcnt(0)
	global_store_dword v13, v14, s[4:5]
.LBB744_280:
	s_or_b32 exec_lo, exec_lo, s2
                                        ; implicit-def: $vgpr13
.LBB744_281:
	s_andn2_saveexec_b32 s1, s1
	s_cbranch_execz .LBB744_283
; %bb.282:
	v_lshlrev_b32_e32 v14, 2, v0
	v_lshlrev_b32_e32 v13, 2, v13
	v_readfirstlane_b32 s2, v9
	v_readfirstlane_b32 s3, v10
	ds_read_b32 v14, v14 offset:2048
	s_waitcnt lgkmcnt(0)
	global_store_dword v13, v14, s[2:3]
.LBB744_283:
	s_or_b32 exec_lo, exec_lo, s0
	v_or_b32_e32 v13, 0x300, v0
	s_mov_b32 s0, exec_lo
	v_cmpx_gt_u32_e64 s7, v13
	s_cbranch_execz .LBB744_292
; %bb.284:
	s_mov_b32 s1, exec_lo
	v_cmpx_ge_u32_e64 v13, v1
	s_xor_b32 s1, exec_lo, s1
	s_cbranch_execz .LBB744_290
; %bb.285:
	s_mov_b32 s2, exec_lo
	v_cmpx_ge_u32_e64 v13, v12
	s_xor_b32 s2, exec_lo, s2
	s_cbranch_execz .LBB744_287
; %bb.286:
	v_lshlrev_b32_e32 v14, 2, v0
	v_add_co_u32 v13, vcc_lo, v3, v13
	ds_read_b32 v15, v14 offset:3072
	v_add_co_ci_u32_e64 v14, null, 0, v11, vcc_lo
	v_lshlrev_b64 v[13:14], 2, v[13:14]
	v_sub_co_u32 v13, vcc_lo, s26, v13
	v_sub_co_ci_u32_e64 v14, null, s27, v14, vcc_lo
	s_waitcnt lgkmcnt(0)
	global_store_dword v[13:14], v15, off offset:-4
                                        ; implicit-def: $vgpr13
.LBB744_287:
	s_andn2_saveexec_b32 s2, s2
	s_cbranch_execz .LBB744_289
; %bb.288:
	v_lshlrev_b32_e32 v14, 2, v0
	v_lshlrev_b32_e32 v13, 2, v13
	v_readfirstlane_b32 s4, v7
	v_readfirstlane_b32 s5, v8
	ds_read_b32 v14, v14 offset:3072
	s_waitcnt lgkmcnt(0)
	global_store_dword v13, v14, s[4:5]
.LBB744_289:
	s_or_b32 exec_lo, exec_lo, s2
                                        ; implicit-def: $vgpr13
.LBB744_290:
	s_andn2_saveexec_b32 s1, s1
	s_cbranch_execz .LBB744_292
; %bb.291:
	v_lshlrev_b32_e32 v14, 2, v0
	v_lshlrev_b32_e32 v13, 2, v13
	v_readfirstlane_b32 s2, v9
	v_readfirstlane_b32 s3, v10
	ds_read_b32 v14, v14 offset:3072
	s_waitcnt lgkmcnt(0)
	global_store_dword v13, v14, s[2:3]
.LBB744_292:
	s_or_b32 exec_lo, exec_lo, s0
	v_or_b32_e32 v13, 0x400, v0
	s_mov_b32 s0, exec_lo
	v_cmpx_gt_u32_e64 s7, v13
	s_cbranch_execz .LBB744_301
; %bb.293:
	s_mov_b32 s1, exec_lo
	v_cmpx_ge_u32_e64 v13, v1
	s_xor_b32 s1, exec_lo, s1
	s_cbranch_execz .LBB744_299
; %bb.294:
	s_mov_b32 s2, exec_lo
	v_cmpx_ge_u32_e64 v13, v12
	s_xor_b32 s2, exec_lo, s2
	s_cbranch_execz .LBB744_296
; %bb.295:
	v_lshlrev_b32_e32 v14, 2, v0
	v_add_co_u32 v13, vcc_lo, v3, v13
	ds_read_b32 v15, v14 offset:4096
	v_add_co_ci_u32_e64 v14, null, 0, v11, vcc_lo
	v_lshlrev_b64 v[13:14], 2, v[13:14]
	v_sub_co_u32 v13, vcc_lo, s26, v13
	v_sub_co_ci_u32_e64 v14, null, s27, v14, vcc_lo
	s_waitcnt lgkmcnt(0)
	global_store_dword v[13:14], v15, off offset:-4
                                        ; implicit-def: $vgpr13
.LBB744_296:
	s_andn2_saveexec_b32 s2, s2
	s_cbranch_execz .LBB744_298
; %bb.297:
	v_lshlrev_b32_e32 v14, 2, v0
	v_lshlrev_b32_e32 v13, 2, v13
	v_readfirstlane_b32 s4, v7
	v_readfirstlane_b32 s5, v8
	ds_read_b32 v14, v14 offset:4096
	s_waitcnt lgkmcnt(0)
	global_store_dword v13, v14, s[4:5]
.LBB744_298:
	s_or_b32 exec_lo, exec_lo, s2
                                        ; implicit-def: $vgpr13
.LBB744_299:
	s_andn2_saveexec_b32 s1, s1
	s_cbranch_execz .LBB744_301
; %bb.300:
	v_lshlrev_b32_e32 v14, 2, v0
	v_lshlrev_b32_e32 v13, 2, v13
	v_readfirstlane_b32 s2, v9
	v_readfirstlane_b32 s3, v10
	ds_read_b32 v14, v14 offset:4096
	s_waitcnt lgkmcnt(0)
	global_store_dword v13, v14, s[2:3]
.LBB744_301:
	s_or_b32 exec_lo, exec_lo, s0
	v_or_b32_e32 v13, 0x500, v0
	s_mov_b32 s0, exec_lo
	v_cmpx_gt_u32_e64 s7, v13
	s_cbranch_execz .LBB744_310
; %bb.302:
	s_mov_b32 s1, exec_lo
	v_cmpx_ge_u32_e64 v13, v1
	s_xor_b32 s1, exec_lo, s1
	s_cbranch_execz .LBB744_308
; %bb.303:
	s_mov_b32 s2, exec_lo
	v_cmpx_ge_u32_e64 v13, v12
	s_xor_b32 s2, exec_lo, s2
	s_cbranch_execz .LBB744_305
; %bb.304:
	v_lshlrev_b32_e32 v14, 2, v0
	v_add_co_u32 v13, vcc_lo, v3, v13
	ds_read_b32 v15, v14 offset:5120
	v_add_co_ci_u32_e64 v14, null, 0, v11, vcc_lo
	v_lshlrev_b64 v[13:14], 2, v[13:14]
	v_sub_co_u32 v13, vcc_lo, s26, v13
	v_sub_co_ci_u32_e64 v14, null, s27, v14, vcc_lo
	s_waitcnt lgkmcnt(0)
	global_store_dword v[13:14], v15, off offset:-4
                                        ; implicit-def: $vgpr13
.LBB744_305:
	s_andn2_saveexec_b32 s2, s2
	s_cbranch_execz .LBB744_307
; %bb.306:
	v_lshlrev_b32_e32 v14, 2, v0
	v_lshlrev_b32_e32 v13, 2, v13
	v_readfirstlane_b32 s4, v7
	v_readfirstlane_b32 s5, v8
	ds_read_b32 v14, v14 offset:5120
	s_waitcnt lgkmcnt(0)
	global_store_dword v13, v14, s[4:5]
.LBB744_307:
	s_or_b32 exec_lo, exec_lo, s2
                                        ; implicit-def: $vgpr13
.LBB744_308:
	s_andn2_saveexec_b32 s1, s1
	s_cbranch_execz .LBB744_310
; %bb.309:
	v_lshlrev_b32_e32 v14, 2, v0
	v_lshlrev_b32_e32 v13, 2, v13
	v_readfirstlane_b32 s2, v9
	v_readfirstlane_b32 s3, v10
	ds_read_b32 v14, v14 offset:5120
	s_waitcnt lgkmcnt(0)
	global_store_dword v13, v14, s[2:3]
.LBB744_310:
	s_or_b32 exec_lo, exec_lo, s0
	v_or_b32_e32 v13, 0x600, v0
	s_mov_b32 s0, exec_lo
	v_cmpx_gt_u32_e64 s7, v13
	s_cbranch_execz .LBB744_319
; %bb.311:
	s_mov_b32 s1, exec_lo
	v_cmpx_ge_u32_e64 v13, v1
	s_xor_b32 s1, exec_lo, s1
	s_cbranch_execz .LBB744_317
; %bb.312:
	s_mov_b32 s2, exec_lo
	v_cmpx_ge_u32_e64 v13, v12
	s_xor_b32 s2, exec_lo, s2
	s_cbranch_execz .LBB744_314
; %bb.313:
	v_lshlrev_b32_e32 v14, 2, v0
	v_add_co_u32 v13, vcc_lo, v3, v13
	ds_read_b32 v15, v14 offset:6144
	v_add_co_ci_u32_e64 v14, null, 0, v11, vcc_lo
	v_lshlrev_b64 v[13:14], 2, v[13:14]
	v_sub_co_u32 v13, vcc_lo, s26, v13
	v_sub_co_ci_u32_e64 v14, null, s27, v14, vcc_lo
	s_waitcnt lgkmcnt(0)
	global_store_dword v[13:14], v15, off offset:-4
                                        ; implicit-def: $vgpr13
.LBB744_314:
	s_andn2_saveexec_b32 s2, s2
	s_cbranch_execz .LBB744_316
; %bb.315:
	v_lshlrev_b32_e32 v14, 2, v0
	v_lshlrev_b32_e32 v13, 2, v13
	v_readfirstlane_b32 s4, v7
	v_readfirstlane_b32 s5, v8
	ds_read_b32 v14, v14 offset:6144
	s_waitcnt lgkmcnt(0)
	global_store_dword v13, v14, s[4:5]
.LBB744_316:
	s_or_b32 exec_lo, exec_lo, s2
                                        ; implicit-def: $vgpr13
.LBB744_317:
	s_andn2_saveexec_b32 s1, s1
	s_cbranch_execz .LBB744_319
; %bb.318:
	v_lshlrev_b32_e32 v14, 2, v0
	v_lshlrev_b32_e32 v13, 2, v13
	v_readfirstlane_b32 s2, v9
	v_readfirstlane_b32 s3, v10
	ds_read_b32 v14, v14 offset:6144
	s_waitcnt lgkmcnt(0)
	global_store_dword v13, v14, s[2:3]
.LBB744_319:
	s_or_b32 exec_lo, exec_lo, s0
	v_or_b32_e32 v13, 0x700, v0
	s_mov_b32 s0, exec_lo
	v_cmpx_gt_u32_e64 s7, v13
	s_cbranch_execz .LBB744_328
; %bb.320:
	s_mov_b32 s1, exec_lo
	v_cmpx_ge_u32_e64 v13, v1
	s_xor_b32 s1, exec_lo, s1
	s_cbranch_execz .LBB744_326
; %bb.321:
	s_mov_b32 s2, exec_lo
	v_cmpx_ge_u32_e64 v13, v12
	s_xor_b32 s2, exec_lo, s2
	s_cbranch_execz .LBB744_323
; %bb.322:
	v_lshlrev_b32_e32 v14, 2, v0
	v_add_co_u32 v13, vcc_lo, v3, v13
	ds_read_b32 v15, v14 offset:7168
	v_add_co_ci_u32_e64 v14, null, 0, v11, vcc_lo
	v_lshlrev_b64 v[13:14], 2, v[13:14]
	v_sub_co_u32 v13, vcc_lo, s26, v13
	v_sub_co_ci_u32_e64 v14, null, s27, v14, vcc_lo
	s_waitcnt lgkmcnt(0)
	global_store_dword v[13:14], v15, off offset:-4
                                        ; implicit-def: $vgpr13
.LBB744_323:
	s_andn2_saveexec_b32 s2, s2
	s_cbranch_execz .LBB744_325
; %bb.324:
	v_lshlrev_b32_e32 v14, 2, v0
	v_lshlrev_b32_e32 v13, 2, v13
	v_readfirstlane_b32 s4, v7
	v_readfirstlane_b32 s5, v8
	ds_read_b32 v14, v14 offset:7168
	s_waitcnt lgkmcnt(0)
	global_store_dword v13, v14, s[4:5]
.LBB744_325:
	s_or_b32 exec_lo, exec_lo, s2
                                        ; implicit-def: $vgpr13
.LBB744_326:
	s_andn2_saveexec_b32 s1, s1
	s_cbranch_execz .LBB744_328
; %bb.327:
	v_lshlrev_b32_e32 v14, 2, v0
	v_lshlrev_b32_e32 v13, 2, v13
	v_readfirstlane_b32 s2, v9
	v_readfirstlane_b32 s3, v10
	ds_read_b32 v14, v14 offset:7168
	s_waitcnt lgkmcnt(0)
	global_store_dword v13, v14, s[2:3]
.LBB744_328:
	s_or_b32 exec_lo, exec_lo, s0
	v_or_b32_e32 v13, 0x800, v0
	s_mov_b32 s0, exec_lo
	v_cmpx_gt_u32_e64 s7, v13
	s_cbranch_execz .LBB744_337
; %bb.329:
	s_mov_b32 s1, exec_lo
	v_cmpx_ge_u32_e64 v13, v1
	s_xor_b32 s1, exec_lo, s1
	s_cbranch_execz .LBB744_335
; %bb.330:
	s_mov_b32 s2, exec_lo
	v_cmpx_ge_u32_e64 v13, v12
	s_xor_b32 s2, exec_lo, s2
	s_cbranch_execz .LBB744_332
; %bb.331:
	v_lshlrev_b32_e32 v14, 2, v0
	v_add_co_u32 v13, vcc_lo, v3, v13
	ds_read_b32 v15, v14 offset:8192
	v_add_co_ci_u32_e64 v14, null, 0, v11, vcc_lo
	v_lshlrev_b64 v[13:14], 2, v[13:14]
	v_sub_co_u32 v13, vcc_lo, s26, v13
	v_sub_co_ci_u32_e64 v14, null, s27, v14, vcc_lo
	s_waitcnt lgkmcnt(0)
	global_store_dword v[13:14], v15, off offset:-4
                                        ; implicit-def: $vgpr13
.LBB744_332:
	s_andn2_saveexec_b32 s2, s2
	s_cbranch_execz .LBB744_334
; %bb.333:
	v_lshlrev_b32_e32 v14, 2, v0
	v_lshlrev_b32_e32 v13, 2, v13
	v_readfirstlane_b32 s4, v7
	v_readfirstlane_b32 s5, v8
	ds_read_b32 v14, v14 offset:8192
	s_waitcnt lgkmcnt(0)
	global_store_dword v13, v14, s[4:5]
.LBB744_334:
	s_or_b32 exec_lo, exec_lo, s2
                                        ; implicit-def: $vgpr13
.LBB744_335:
	s_andn2_saveexec_b32 s1, s1
	s_cbranch_execz .LBB744_337
; %bb.336:
	v_lshlrev_b32_e32 v14, 2, v0
	v_lshlrev_b32_e32 v13, 2, v13
	v_readfirstlane_b32 s2, v9
	v_readfirstlane_b32 s3, v10
	ds_read_b32 v14, v14 offset:8192
	s_waitcnt lgkmcnt(0)
	global_store_dword v13, v14, s[2:3]
.LBB744_337:
	s_or_b32 exec_lo, exec_lo, s0
	v_or_b32_e32 v13, 0x900, v0
	s_mov_b32 s0, exec_lo
	v_cmpx_gt_u32_e64 s7, v13
	s_cbranch_execz .LBB744_346
; %bb.338:
	s_mov_b32 s1, exec_lo
	v_cmpx_ge_u32_e64 v13, v1
	s_xor_b32 s1, exec_lo, s1
	s_cbranch_execz .LBB744_344
; %bb.339:
	s_mov_b32 s2, exec_lo
	v_cmpx_ge_u32_e64 v13, v12
	s_xor_b32 s2, exec_lo, s2
	s_cbranch_execz .LBB744_341
; %bb.340:
	v_lshlrev_b32_e32 v14, 2, v0
	v_add_co_u32 v13, vcc_lo, v3, v13
	ds_read_b32 v15, v14 offset:9216
	v_add_co_ci_u32_e64 v14, null, 0, v11, vcc_lo
	v_lshlrev_b64 v[13:14], 2, v[13:14]
	v_sub_co_u32 v13, vcc_lo, s26, v13
	v_sub_co_ci_u32_e64 v14, null, s27, v14, vcc_lo
	s_waitcnt lgkmcnt(0)
	global_store_dword v[13:14], v15, off offset:-4
                                        ; implicit-def: $vgpr13
.LBB744_341:
	s_andn2_saveexec_b32 s2, s2
	s_cbranch_execz .LBB744_343
; %bb.342:
	v_lshlrev_b32_e32 v14, 2, v0
	v_lshlrev_b32_e32 v13, 2, v13
	v_readfirstlane_b32 s4, v7
	v_readfirstlane_b32 s5, v8
	ds_read_b32 v14, v14 offset:9216
	s_waitcnt lgkmcnt(0)
	global_store_dword v13, v14, s[4:5]
.LBB744_343:
	s_or_b32 exec_lo, exec_lo, s2
                                        ; implicit-def: $vgpr13
.LBB744_344:
	s_andn2_saveexec_b32 s1, s1
	s_cbranch_execz .LBB744_346
; %bb.345:
	v_lshlrev_b32_e32 v14, 2, v0
	v_lshlrev_b32_e32 v13, 2, v13
	v_readfirstlane_b32 s2, v9
	v_readfirstlane_b32 s3, v10
	ds_read_b32 v14, v14 offset:9216
	s_waitcnt lgkmcnt(0)
	global_store_dword v13, v14, s[2:3]
.LBB744_346:
	s_or_b32 exec_lo, exec_lo, s0
	v_or_b32_e32 v13, 0xa00, v0
	s_mov_b32 s0, exec_lo
	v_cmpx_gt_u32_e64 s7, v13
	s_cbranch_execz .LBB744_355
; %bb.347:
	s_mov_b32 s1, exec_lo
	v_cmpx_ge_u32_e64 v13, v1
	s_xor_b32 s1, exec_lo, s1
	s_cbranch_execz .LBB744_353
; %bb.348:
	s_mov_b32 s2, exec_lo
	v_cmpx_ge_u32_e64 v13, v12
	s_xor_b32 s2, exec_lo, s2
	s_cbranch_execz .LBB744_350
; %bb.349:
	v_lshlrev_b32_e32 v14, 2, v0
	v_add_co_u32 v13, vcc_lo, v3, v13
	ds_read_b32 v15, v14 offset:10240
	v_add_co_ci_u32_e64 v14, null, 0, v11, vcc_lo
	v_lshlrev_b64 v[13:14], 2, v[13:14]
	v_sub_co_u32 v13, vcc_lo, s26, v13
	v_sub_co_ci_u32_e64 v14, null, s27, v14, vcc_lo
	s_waitcnt lgkmcnt(0)
	global_store_dword v[13:14], v15, off offset:-4
                                        ; implicit-def: $vgpr13
.LBB744_350:
	s_andn2_saveexec_b32 s2, s2
	s_cbranch_execz .LBB744_352
; %bb.351:
	v_lshlrev_b32_e32 v14, 2, v0
	v_lshlrev_b32_e32 v13, 2, v13
	v_readfirstlane_b32 s4, v7
	v_readfirstlane_b32 s5, v8
	ds_read_b32 v14, v14 offset:10240
	s_waitcnt lgkmcnt(0)
	global_store_dword v13, v14, s[4:5]
.LBB744_352:
	s_or_b32 exec_lo, exec_lo, s2
                                        ; implicit-def: $vgpr13
.LBB744_353:
	s_andn2_saveexec_b32 s1, s1
	s_cbranch_execz .LBB744_355
; %bb.354:
	v_lshlrev_b32_e32 v14, 2, v0
	v_lshlrev_b32_e32 v13, 2, v13
	v_readfirstlane_b32 s2, v9
	v_readfirstlane_b32 s3, v10
	ds_read_b32 v14, v14 offset:10240
	s_waitcnt lgkmcnt(0)
	global_store_dword v13, v14, s[2:3]
.LBB744_355:
	s_or_b32 exec_lo, exec_lo, s0
	v_or_b32_e32 v13, 0xb00, v0
	s_mov_b32 s0, exec_lo
	v_cmpx_gt_u32_e64 s7, v13
	s_cbranch_execz .LBB744_364
; %bb.356:
	s_mov_b32 s1, exec_lo
	v_cmpx_ge_u32_e64 v13, v1
	s_xor_b32 s1, exec_lo, s1
	s_cbranch_execz .LBB744_362
; %bb.357:
	s_mov_b32 s2, exec_lo
	v_cmpx_ge_u32_e64 v13, v12
	s_xor_b32 s2, exec_lo, s2
	s_cbranch_execz .LBB744_359
; %bb.358:
	v_lshlrev_b32_e32 v14, 2, v0
	v_add_co_u32 v13, vcc_lo, v3, v13
	ds_read_b32 v15, v14 offset:11264
	v_add_co_ci_u32_e64 v14, null, 0, v11, vcc_lo
	v_lshlrev_b64 v[13:14], 2, v[13:14]
	v_sub_co_u32 v13, vcc_lo, s26, v13
	v_sub_co_ci_u32_e64 v14, null, s27, v14, vcc_lo
	s_waitcnt lgkmcnt(0)
	global_store_dword v[13:14], v15, off offset:-4
                                        ; implicit-def: $vgpr13
.LBB744_359:
	s_andn2_saveexec_b32 s2, s2
	s_cbranch_execz .LBB744_361
; %bb.360:
	v_lshlrev_b32_e32 v14, 2, v0
	v_lshlrev_b32_e32 v13, 2, v13
	v_readfirstlane_b32 s4, v7
	v_readfirstlane_b32 s5, v8
	ds_read_b32 v14, v14 offset:11264
	s_waitcnt lgkmcnt(0)
	global_store_dword v13, v14, s[4:5]
.LBB744_361:
	s_or_b32 exec_lo, exec_lo, s2
                                        ; implicit-def: $vgpr13
.LBB744_362:
	s_andn2_saveexec_b32 s1, s1
	s_cbranch_execz .LBB744_364
; %bb.363:
	v_lshlrev_b32_e32 v14, 2, v0
	v_lshlrev_b32_e32 v13, 2, v13
	v_readfirstlane_b32 s2, v9
	v_readfirstlane_b32 s3, v10
	ds_read_b32 v14, v14 offset:11264
	s_waitcnt lgkmcnt(0)
	global_store_dword v13, v14, s[2:3]
.LBB744_364:
	s_or_b32 exec_lo, exec_lo, s0
	v_or_b32_e32 v13, 0xc00, v0
	s_mov_b32 s0, exec_lo
	v_cmpx_gt_u32_e64 s7, v13
	s_cbranch_execz .LBB744_373
; %bb.365:
	s_mov_b32 s1, exec_lo
	v_cmpx_ge_u32_e64 v13, v1
	s_xor_b32 s1, exec_lo, s1
	s_cbranch_execz .LBB744_371
; %bb.366:
	s_mov_b32 s2, exec_lo
	v_cmpx_ge_u32_e64 v13, v12
	s_xor_b32 s2, exec_lo, s2
	s_cbranch_execz .LBB744_368
; %bb.367:
	v_lshlrev_b32_e32 v7, 2, v0
	ds_read_b32 v9, v7 offset:12288
	v_add_co_u32 v7, vcc_lo, v3, v13
	v_add_co_ci_u32_e64 v8, null, 0, v11, vcc_lo
                                        ; implicit-def: $vgpr13
	v_lshlrev_b64 v[7:8], 2, v[7:8]
	v_sub_co_u32 v7, vcc_lo, s26, v7
	v_sub_co_ci_u32_e64 v8, null, s27, v8, vcc_lo
	s_waitcnt lgkmcnt(0)
	global_store_dword v[7:8], v9, off offset:-4
                                        ; implicit-def: $vgpr7_vgpr8
.LBB744_368:
	s_andn2_saveexec_b32 s2, s2
	s_cbranch_execz .LBB744_370
; %bb.369:
	v_lshlrev_b32_e32 v3, 2, v0
	v_lshlrev_b32_e32 v9, 2, v13
	v_readfirstlane_b32 s4, v7
	v_readfirstlane_b32 s5, v8
	ds_read_b32 v3, v3 offset:12288
	s_waitcnt lgkmcnt(0)
	global_store_dword v9, v3, s[4:5]
.LBB744_370:
	s_or_b32 exec_lo, exec_lo, s2
                                        ; implicit-def: $vgpr13
                                        ; implicit-def: $vgpr9_vgpr10
.LBB744_371:
	s_andn2_saveexec_b32 s1, s1
	s_cbranch_execz .LBB744_373
; %bb.372:
	v_lshlrev_b32_e32 v3, 2, v0
	v_lshlrev_b32_e32 v7, 2, v13
	v_readfirstlane_b32 s2, v9
	v_readfirstlane_b32 s3, v10
	ds_read_b32 v3, v3 offset:12288
	s_waitcnt lgkmcnt(0)
	global_store_dword v7, v3, s[2:3]
.LBB744_373:
	s_or_b32 exec_lo, exec_lo, s0
	v_cmp_eq_u32_e32 vcc_lo, 0, v0
	s_and_b32 s0, vcc_lo, s33
	s_and_saveexec_b32 s1, s0
	s_cbranch_execz .LBB744_150
.LBB744_374:
	v_add_co_u32 v0, s0, s30, v2
	v_add_co_ci_u32_e64 v3, null, s31, 0, s0
	v_mov_b32_e32 v7, 0
	v_add_co_u32 v2, vcc_lo, v0, v4
	v_add_co_ci_u32_e64 v3, null, 0, v3, vcc_lo
	v_add_co_u32 v0, vcc_lo, v5, v1
	v_add_co_ci_u32_e64 v1, null, 0, v6, vcc_lo
	global_store_dwordx4 v7, v[0:3], s[24:25]
	s_endpgm
.LBB744_375:
	s_add_i32 s10, s6, 32
	s_mov_b32 s11, 0
	v_add_nc_u32_e32 v6, v4, v2
	s_lshl_b64 s[10:11], s[10:11], 4
	v_add_nc_u32_e32 v5, v3, v1
	s_add_u32 s10, s4, s10
	s_addc_u32 s11, s5, s11
	v_mov_b32_e32 v7, 2
	v_mov_b32_e32 v24, s11
	;; [unrolled: 1-line block ×4, first 2 shown]
	;;#ASMSTART
	global_store_dwordx4 v[23:24], v[5:8] off	
s_waitcnt vmcnt(0)
	;;#ASMEND
	s_or_b32 exec_lo, exec_lo, s8
	s_and_saveexec_b32 s6, s2
	s_cbranch_execz .LBB744_135
.LBB744_376:
	v_mov_b32_e32 v5, 0
	ds_write_b128 v5, v[1:4] offset:13312
	s_or_b32 exec_lo, exec_lo, s6
	v_cmp_eq_u32_e32 vcc_lo, 0, v0
	s_and_b32 exec_lo, exec_lo, vcc_lo
	s_cbranch_execnz .LBB744_136
	s_branch .LBB744_137
	.section	.rodata,"a",@progbits
	.p2align	6, 0x0
	.amdhsa_kernel _ZN7rocprim17ROCPRIM_400000_NS6detail17trampoline_kernelINS0_13select_configILj256ELj13ELNS0_17block_load_methodE3ELS4_3ELS4_3ELNS0_20block_scan_algorithmE0ELj4294967295EEENS1_25partition_config_selectorILNS1_17partition_subalgoE4EjNS0_10empty_typeEbEEZZNS1_14partition_implILS8_4ELb0ES6_15HIP_vector_typeIjLj2EENS0_17counting_iteratorIjlEEPS9_SG_NS0_5tupleIJPjSI_NS0_16reverse_iteratorISI_EEEEENSH_IJSG_SG_SG_EEES9_SI_JZNS1_25segmented_radix_sort_implINS0_14default_configELb0EPKlPlSQ_SR_N2at6native12_GLOBAL__N_18offset_tEEE10hipError_tPvRmT1_PNSt15iterator_traitsISZ_E10value_typeET2_T3_PNS10_IS15_E10value_typeET4_jRbjT5_S1B_jjP12ihipStream_tbEUljE_ZNSN_ISO_Lb0ESQ_SR_SQ_SR_SV_EESW_SX_SY_SZ_S13_S14_S15_S18_S19_jS1A_jS1B_S1B_jjS1D_bEUljE0_EEESW_SX_SY_S15_S19_S1B_T6_T7_T9_mT8_S1D_bDpT10_ENKUlT_T0_E_clISt17integral_constantIbLb0EES1R_EEDaS1M_S1N_EUlS1M_E_NS1_11comp_targetILNS1_3genE8ELNS1_11target_archE1030ELNS1_3gpuE2ELNS1_3repE0EEENS1_30default_config_static_selectorELNS0_4arch9wavefront6targetE0EEEvSZ_
		.amdhsa_group_segment_fixed_size 13328
		.amdhsa_private_segment_fixed_size 0
		.amdhsa_kernarg_size 176
		.amdhsa_user_sgpr_count 6
		.amdhsa_user_sgpr_private_segment_buffer 1
		.amdhsa_user_sgpr_dispatch_ptr 0
		.amdhsa_user_sgpr_queue_ptr 0
		.amdhsa_user_sgpr_kernarg_segment_ptr 1
		.amdhsa_user_sgpr_dispatch_id 0
		.amdhsa_user_sgpr_flat_scratch_init 0
		.amdhsa_user_sgpr_private_segment_size 0
		.amdhsa_wavefront_size32 1
		.amdhsa_uses_dynamic_stack 0
		.amdhsa_system_sgpr_private_segment_wavefront_offset 0
		.amdhsa_system_sgpr_workgroup_id_x 1
		.amdhsa_system_sgpr_workgroup_id_y 0
		.amdhsa_system_sgpr_workgroup_id_z 0
		.amdhsa_system_sgpr_workgroup_info 0
		.amdhsa_system_vgpr_workitem_id 0
		.amdhsa_next_free_vgpr 82
		.amdhsa_next_free_sgpr 59
		.amdhsa_reserve_vcc 1
		.amdhsa_reserve_flat_scratch 0
		.amdhsa_float_round_mode_32 0
		.amdhsa_float_round_mode_16_64 0
		.amdhsa_float_denorm_mode_32 3
		.amdhsa_float_denorm_mode_16_64 3
		.amdhsa_dx10_clamp 1
		.amdhsa_ieee_mode 1
		.amdhsa_fp16_overflow 0
		.amdhsa_workgroup_processor_mode 1
		.amdhsa_memory_ordered 1
		.amdhsa_forward_progress 1
		.amdhsa_shared_vgpr_count 0
		.amdhsa_exception_fp_ieee_invalid_op 0
		.amdhsa_exception_fp_denorm_src 0
		.amdhsa_exception_fp_ieee_div_zero 0
		.amdhsa_exception_fp_ieee_overflow 0
		.amdhsa_exception_fp_ieee_underflow 0
		.amdhsa_exception_fp_ieee_inexact 0
		.amdhsa_exception_int_div_zero 0
	.end_amdhsa_kernel
	.section	.text._ZN7rocprim17ROCPRIM_400000_NS6detail17trampoline_kernelINS0_13select_configILj256ELj13ELNS0_17block_load_methodE3ELS4_3ELS4_3ELNS0_20block_scan_algorithmE0ELj4294967295EEENS1_25partition_config_selectorILNS1_17partition_subalgoE4EjNS0_10empty_typeEbEEZZNS1_14partition_implILS8_4ELb0ES6_15HIP_vector_typeIjLj2EENS0_17counting_iteratorIjlEEPS9_SG_NS0_5tupleIJPjSI_NS0_16reverse_iteratorISI_EEEEENSH_IJSG_SG_SG_EEES9_SI_JZNS1_25segmented_radix_sort_implINS0_14default_configELb0EPKlPlSQ_SR_N2at6native12_GLOBAL__N_18offset_tEEE10hipError_tPvRmT1_PNSt15iterator_traitsISZ_E10value_typeET2_T3_PNS10_IS15_E10value_typeET4_jRbjT5_S1B_jjP12ihipStream_tbEUljE_ZNSN_ISO_Lb0ESQ_SR_SQ_SR_SV_EESW_SX_SY_SZ_S13_S14_S15_S18_S19_jS1A_jS1B_S1B_jjS1D_bEUljE0_EEESW_SX_SY_S15_S19_S1B_T6_T7_T9_mT8_S1D_bDpT10_ENKUlT_T0_E_clISt17integral_constantIbLb0EES1R_EEDaS1M_S1N_EUlS1M_E_NS1_11comp_targetILNS1_3genE8ELNS1_11target_archE1030ELNS1_3gpuE2ELNS1_3repE0EEENS1_30default_config_static_selectorELNS0_4arch9wavefront6targetE0EEEvSZ_,"axG",@progbits,_ZN7rocprim17ROCPRIM_400000_NS6detail17trampoline_kernelINS0_13select_configILj256ELj13ELNS0_17block_load_methodE3ELS4_3ELS4_3ELNS0_20block_scan_algorithmE0ELj4294967295EEENS1_25partition_config_selectorILNS1_17partition_subalgoE4EjNS0_10empty_typeEbEEZZNS1_14partition_implILS8_4ELb0ES6_15HIP_vector_typeIjLj2EENS0_17counting_iteratorIjlEEPS9_SG_NS0_5tupleIJPjSI_NS0_16reverse_iteratorISI_EEEEENSH_IJSG_SG_SG_EEES9_SI_JZNS1_25segmented_radix_sort_implINS0_14default_configELb0EPKlPlSQ_SR_N2at6native12_GLOBAL__N_18offset_tEEE10hipError_tPvRmT1_PNSt15iterator_traitsISZ_E10value_typeET2_T3_PNS10_IS15_E10value_typeET4_jRbjT5_S1B_jjP12ihipStream_tbEUljE_ZNSN_ISO_Lb0ESQ_SR_SQ_SR_SV_EESW_SX_SY_SZ_S13_S14_S15_S18_S19_jS1A_jS1B_S1B_jjS1D_bEUljE0_EEESW_SX_SY_S15_S19_S1B_T6_T7_T9_mT8_S1D_bDpT10_ENKUlT_T0_E_clISt17integral_constantIbLb0EES1R_EEDaS1M_S1N_EUlS1M_E_NS1_11comp_targetILNS1_3genE8ELNS1_11target_archE1030ELNS1_3gpuE2ELNS1_3repE0EEENS1_30default_config_static_selectorELNS0_4arch9wavefront6targetE0EEEvSZ_,comdat
.Lfunc_end744:
	.size	_ZN7rocprim17ROCPRIM_400000_NS6detail17trampoline_kernelINS0_13select_configILj256ELj13ELNS0_17block_load_methodE3ELS4_3ELS4_3ELNS0_20block_scan_algorithmE0ELj4294967295EEENS1_25partition_config_selectorILNS1_17partition_subalgoE4EjNS0_10empty_typeEbEEZZNS1_14partition_implILS8_4ELb0ES6_15HIP_vector_typeIjLj2EENS0_17counting_iteratorIjlEEPS9_SG_NS0_5tupleIJPjSI_NS0_16reverse_iteratorISI_EEEEENSH_IJSG_SG_SG_EEES9_SI_JZNS1_25segmented_radix_sort_implINS0_14default_configELb0EPKlPlSQ_SR_N2at6native12_GLOBAL__N_18offset_tEEE10hipError_tPvRmT1_PNSt15iterator_traitsISZ_E10value_typeET2_T3_PNS10_IS15_E10value_typeET4_jRbjT5_S1B_jjP12ihipStream_tbEUljE_ZNSN_ISO_Lb0ESQ_SR_SQ_SR_SV_EESW_SX_SY_SZ_S13_S14_S15_S18_S19_jS1A_jS1B_S1B_jjS1D_bEUljE0_EEESW_SX_SY_S15_S19_S1B_T6_T7_T9_mT8_S1D_bDpT10_ENKUlT_T0_E_clISt17integral_constantIbLb0EES1R_EEDaS1M_S1N_EUlS1M_E_NS1_11comp_targetILNS1_3genE8ELNS1_11target_archE1030ELNS1_3gpuE2ELNS1_3repE0EEENS1_30default_config_static_selectorELNS0_4arch9wavefront6targetE0EEEvSZ_, .Lfunc_end744-_ZN7rocprim17ROCPRIM_400000_NS6detail17trampoline_kernelINS0_13select_configILj256ELj13ELNS0_17block_load_methodE3ELS4_3ELS4_3ELNS0_20block_scan_algorithmE0ELj4294967295EEENS1_25partition_config_selectorILNS1_17partition_subalgoE4EjNS0_10empty_typeEbEEZZNS1_14partition_implILS8_4ELb0ES6_15HIP_vector_typeIjLj2EENS0_17counting_iteratorIjlEEPS9_SG_NS0_5tupleIJPjSI_NS0_16reverse_iteratorISI_EEEEENSH_IJSG_SG_SG_EEES9_SI_JZNS1_25segmented_radix_sort_implINS0_14default_configELb0EPKlPlSQ_SR_N2at6native12_GLOBAL__N_18offset_tEEE10hipError_tPvRmT1_PNSt15iterator_traitsISZ_E10value_typeET2_T3_PNS10_IS15_E10value_typeET4_jRbjT5_S1B_jjP12ihipStream_tbEUljE_ZNSN_ISO_Lb0ESQ_SR_SQ_SR_SV_EESW_SX_SY_SZ_S13_S14_S15_S18_S19_jS1A_jS1B_S1B_jjS1D_bEUljE0_EEESW_SX_SY_S15_S19_S1B_T6_T7_T9_mT8_S1D_bDpT10_ENKUlT_T0_E_clISt17integral_constantIbLb0EES1R_EEDaS1M_S1N_EUlS1M_E_NS1_11comp_targetILNS1_3genE8ELNS1_11target_archE1030ELNS1_3gpuE2ELNS1_3repE0EEENS1_30default_config_static_selectorELNS0_4arch9wavefront6targetE0EEEvSZ_
                                        ; -- End function
	.set _ZN7rocprim17ROCPRIM_400000_NS6detail17trampoline_kernelINS0_13select_configILj256ELj13ELNS0_17block_load_methodE3ELS4_3ELS4_3ELNS0_20block_scan_algorithmE0ELj4294967295EEENS1_25partition_config_selectorILNS1_17partition_subalgoE4EjNS0_10empty_typeEbEEZZNS1_14partition_implILS8_4ELb0ES6_15HIP_vector_typeIjLj2EENS0_17counting_iteratorIjlEEPS9_SG_NS0_5tupleIJPjSI_NS0_16reverse_iteratorISI_EEEEENSH_IJSG_SG_SG_EEES9_SI_JZNS1_25segmented_radix_sort_implINS0_14default_configELb0EPKlPlSQ_SR_N2at6native12_GLOBAL__N_18offset_tEEE10hipError_tPvRmT1_PNSt15iterator_traitsISZ_E10value_typeET2_T3_PNS10_IS15_E10value_typeET4_jRbjT5_S1B_jjP12ihipStream_tbEUljE_ZNSN_ISO_Lb0ESQ_SR_SQ_SR_SV_EESW_SX_SY_SZ_S13_S14_S15_S18_S19_jS1A_jS1B_S1B_jjS1D_bEUljE0_EEESW_SX_SY_S15_S19_S1B_T6_T7_T9_mT8_S1D_bDpT10_ENKUlT_T0_E_clISt17integral_constantIbLb0EES1R_EEDaS1M_S1N_EUlS1M_E_NS1_11comp_targetILNS1_3genE8ELNS1_11target_archE1030ELNS1_3gpuE2ELNS1_3repE0EEENS1_30default_config_static_selectorELNS0_4arch9wavefront6targetE0EEEvSZ_.num_vgpr, 82
	.set _ZN7rocprim17ROCPRIM_400000_NS6detail17trampoline_kernelINS0_13select_configILj256ELj13ELNS0_17block_load_methodE3ELS4_3ELS4_3ELNS0_20block_scan_algorithmE0ELj4294967295EEENS1_25partition_config_selectorILNS1_17partition_subalgoE4EjNS0_10empty_typeEbEEZZNS1_14partition_implILS8_4ELb0ES6_15HIP_vector_typeIjLj2EENS0_17counting_iteratorIjlEEPS9_SG_NS0_5tupleIJPjSI_NS0_16reverse_iteratorISI_EEEEENSH_IJSG_SG_SG_EEES9_SI_JZNS1_25segmented_radix_sort_implINS0_14default_configELb0EPKlPlSQ_SR_N2at6native12_GLOBAL__N_18offset_tEEE10hipError_tPvRmT1_PNSt15iterator_traitsISZ_E10value_typeET2_T3_PNS10_IS15_E10value_typeET4_jRbjT5_S1B_jjP12ihipStream_tbEUljE_ZNSN_ISO_Lb0ESQ_SR_SQ_SR_SV_EESW_SX_SY_SZ_S13_S14_S15_S18_S19_jS1A_jS1B_S1B_jjS1D_bEUljE0_EEESW_SX_SY_S15_S19_S1B_T6_T7_T9_mT8_S1D_bDpT10_ENKUlT_T0_E_clISt17integral_constantIbLb0EES1R_EEDaS1M_S1N_EUlS1M_E_NS1_11comp_targetILNS1_3genE8ELNS1_11target_archE1030ELNS1_3gpuE2ELNS1_3repE0EEENS1_30default_config_static_selectorELNS0_4arch9wavefront6targetE0EEEvSZ_.num_agpr, 0
	.set _ZN7rocprim17ROCPRIM_400000_NS6detail17trampoline_kernelINS0_13select_configILj256ELj13ELNS0_17block_load_methodE3ELS4_3ELS4_3ELNS0_20block_scan_algorithmE0ELj4294967295EEENS1_25partition_config_selectorILNS1_17partition_subalgoE4EjNS0_10empty_typeEbEEZZNS1_14partition_implILS8_4ELb0ES6_15HIP_vector_typeIjLj2EENS0_17counting_iteratorIjlEEPS9_SG_NS0_5tupleIJPjSI_NS0_16reverse_iteratorISI_EEEEENSH_IJSG_SG_SG_EEES9_SI_JZNS1_25segmented_radix_sort_implINS0_14default_configELb0EPKlPlSQ_SR_N2at6native12_GLOBAL__N_18offset_tEEE10hipError_tPvRmT1_PNSt15iterator_traitsISZ_E10value_typeET2_T3_PNS10_IS15_E10value_typeET4_jRbjT5_S1B_jjP12ihipStream_tbEUljE_ZNSN_ISO_Lb0ESQ_SR_SQ_SR_SV_EESW_SX_SY_SZ_S13_S14_S15_S18_S19_jS1A_jS1B_S1B_jjS1D_bEUljE0_EEESW_SX_SY_S15_S19_S1B_T6_T7_T9_mT8_S1D_bDpT10_ENKUlT_T0_E_clISt17integral_constantIbLb0EES1R_EEDaS1M_S1N_EUlS1M_E_NS1_11comp_targetILNS1_3genE8ELNS1_11target_archE1030ELNS1_3gpuE2ELNS1_3repE0EEENS1_30default_config_static_selectorELNS0_4arch9wavefront6targetE0EEEvSZ_.numbered_sgpr, 59
	.set _ZN7rocprim17ROCPRIM_400000_NS6detail17trampoline_kernelINS0_13select_configILj256ELj13ELNS0_17block_load_methodE3ELS4_3ELS4_3ELNS0_20block_scan_algorithmE0ELj4294967295EEENS1_25partition_config_selectorILNS1_17partition_subalgoE4EjNS0_10empty_typeEbEEZZNS1_14partition_implILS8_4ELb0ES6_15HIP_vector_typeIjLj2EENS0_17counting_iteratorIjlEEPS9_SG_NS0_5tupleIJPjSI_NS0_16reverse_iteratorISI_EEEEENSH_IJSG_SG_SG_EEES9_SI_JZNS1_25segmented_radix_sort_implINS0_14default_configELb0EPKlPlSQ_SR_N2at6native12_GLOBAL__N_18offset_tEEE10hipError_tPvRmT1_PNSt15iterator_traitsISZ_E10value_typeET2_T3_PNS10_IS15_E10value_typeET4_jRbjT5_S1B_jjP12ihipStream_tbEUljE_ZNSN_ISO_Lb0ESQ_SR_SQ_SR_SV_EESW_SX_SY_SZ_S13_S14_S15_S18_S19_jS1A_jS1B_S1B_jjS1D_bEUljE0_EEESW_SX_SY_S15_S19_S1B_T6_T7_T9_mT8_S1D_bDpT10_ENKUlT_T0_E_clISt17integral_constantIbLb0EES1R_EEDaS1M_S1N_EUlS1M_E_NS1_11comp_targetILNS1_3genE8ELNS1_11target_archE1030ELNS1_3gpuE2ELNS1_3repE0EEENS1_30default_config_static_selectorELNS0_4arch9wavefront6targetE0EEEvSZ_.num_named_barrier, 0
	.set _ZN7rocprim17ROCPRIM_400000_NS6detail17trampoline_kernelINS0_13select_configILj256ELj13ELNS0_17block_load_methodE3ELS4_3ELS4_3ELNS0_20block_scan_algorithmE0ELj4294967295EEENS1_25partition_config_selectorILNS1_17partition_subalgoE4EjNS0_10empty_typeEbEEZZNS1_14partition_implILS8_4ELb0ES6_15HIP_vector_typeIjLj2EENS0_17counting_iteratorIjlEEPS9_SG_NS0_5tupleIJPjSI_NS0_16reverse_iteratorISI_EEEEENSH_IJSG_SG_SG_EEES9_SI_JZNS1_25segmented_radix_sort_implINS0_14default_configELb0EPKlPlSQ_SR_N2at6native12_GLOBAL__N_18offset_tEEE10hipError_tPvRmT1_PNSt15iterator_traitsISZ_E10value_typeET2_T3_PNS10_IS15_E10value_typeET4_jRbjT5_S1B_jjP12ihipStream_tbEUljE_ZNSN_ISO_Lb0ESQ_SR_SQ_SR_SV_EESW_SX_SY_SZ_S13_S14_S15_S18_S19_jS1A_jS1B_S1B_jjS1D_bEUljE0_EEESW_SX_SY_S15_S19_S1B_T6_T7_T9_mT8_S1D_bDpT10_ENKUlT_T0_E_clISt17integral_constantIbLb0EES1R_EEDaS1M_S1N_EUlS1M_E_NS1_11comp_targetILNS1_3genE8ELNS1_11target_archE1030ELNS1_3gpuE2ELNS1_3repE0EEENS1_30default_config_static_selectorELNS0_4arch9wavefront6targetE0EEEvSZ_.private_seg_size, 0
	.set _ZN7rocprim17ROCPRIM_400000_NS6detail17trampoline_kernelINS0_13select_configILj256ELj13ELNS0_17block_load_methodE3ELS4_3ELS4_3ELNS0_20block_scan_algorithmE0ELj4294967295EEENS1_25partition_config_selectorILNS1_17partition_subalgoE4EjNS0_10empty_typeEbEEZZNS1_14partition_implILS8_4ELb0ES6_15HIP_vector_typeIjLj2EENS0_17counting_iteratorIjlEEPS9_SG_NS0_5tupleIJPjSI_NS0_16reverse_iteratorISI_EEEEENSH_IJSG_SG_SG_EEES9_SI_JZNS1_25segmented_radix_sort_implINS0_14default_configELb0EPKlPlSQ_SR_N2at6native12_GLOBAL__N_18offset_tEEE10hipError_tPvRmT1_PNSt15iterator_traitsISZ_E10value_typeET2_T3_PNS10_IS15_E10value_typeET4_jRbjT5_S1B_jjP12ihipStream_tbEUljE_ZNSN_ISO_Lb0ESQ_SR_SQ_SR_SV_EESW_SX_SY_SZ_S13_S14_S15_S18_S19_jS1A_jS1B_S1B_jjS1D_bEUljE0_EEESW_SX_SY_S15_S19_S1B_T6_T7_T9_mT8_S1D_bDpT10_ENKUlT_T0_E_clISt17integral_constantIbLb0EES1R_EEDaS1M_S1N_EUlS1M_E_NS1_11comp_targetILNS1_3genE8ELNS1_11target_archE1030ELNS1_3gpuE2ELNS1_3repE0EEENS1_30default_config_static_selectorELNS0_4arch9wavefront6targetE0EEEvSZ_.uses_vcc, 1
	.set _ZN7rocprim17ROCPRIM_400000_NS6detail17trampoline_kernelINS0_13select_configILj256ELj13ELNS0_17block_load_methodE3ELS4_3ELS4_3ELNS0_20block_scan_algorithmE0ELj4294967295EEENS1_25partition_config_selectorILNS1_17partition_subalgoE4EjNS0_10empty_typeEbEEZZNS1_14partition_implILS8_4ELb0ES6_15HIP_vector_typeIjLj2EENS0_17counting_iteratorIjlEEPS9_SG_NS0_5tupleIJPjSI_NS0_16reverse_iteratorISI_EEEEENSH_IJSG_SG_SG_EEES9_SI_JZNS1_25segmented_radix_sort_implINS0_14default_configELb0EPKlPlSQ_SR_N2at6native12_GLOBAL__N_18offset_tEEE10hipError_tPvRmT1_PNSt15iterator_traitsISZ_E10value_typeET2_T3_PNS10_IS15_E10value_typeET4_jRbjT5_S1B_jjP12ihipStream_tbEUljE_ZNSN_ISO_Lb0ESQ_SR_SQ_SR_SV_EESW_SX_SY_SZ_S13_S14_S15_S18_S19_jS1A_jS1B_S1B_jjS1D_bEUljE0_EEESW_SX_SY_S15_S19_S1B_T6_T7_T9_mT8_S1D_bDpT10_ENKUlT_T0_E_clISt17integral_constantIbLb0EES1R_EEDaS1M_S1N_EUlS1M_E_NS1_11comp_targetILNS1_3genE8ELNS1_11target_archE1030ELNS1_3gpuE2ELNS1_3repE0EEENS1_30default_config_static_selectorELNS0_4arch9wavefront6targetE0EEEvSZ_.uses_flat_scratch, 0
	.set _ZN7rocprim17ROCPRIM_400000_NS6detail17trampoline_kernelINS0_13select_configILj256ELj13ELNS0_17block_load_methodE3ELS4_3ELS4_3ELNS0_20block_scan_algorithmE0ELj4294967295EEENS1_25partition_config_selectorILNS1_17partition_subalgoE4EjNS0_10empty_typeEbEEZZNS1_14partition_implILS8_4ELb0ES6_15HIP_vector_typeIjLj2EENS0_17counting_iteratorIjlEEPS9_SG_NS0_5tupleIJPjSI_NS0_16reverse_iteratorISI_EEEEENSH_IJSG_SG_SG_EEES9_SI_JZNS1_25segmented_radix_sort_implINS0_14default_configELb0EPKlPlSQ_SR_N2at6native12_GLOBAL__N_18offset_tEEE10hipError_tPvRmT1_PNSt15iterator_traitsISZ_E10value_typeET2_T3_PNS10_IS15_E10value_typeET4_jRbjT5_S1B_jjP12ihipStream_tbEUljE_ZNSN_ISO_Lb0ESQ_SR_SQ_SR_SV_EESW_SX_SY_SZ_S13_S14_S15_S18_S19_jS1A_jS1B_S1B_jjS1D_bEUljE0_EEESW_SX_SY_S15_S19_S1B_T6_T7_T9_mT8_S1D_bDpT10_ENKUlT_T0_E_clISt17integral_constantIbLb0EES1R_EEDaS1M_S1N_EUlS1M_E_NS1_11comp_targetILNS1_3genE8ELNS1_11target_archE1030ELNS1_3gpuE2ELNS1_3repE0EEENS1_30default_config_static_selectorELNS0_4arch9wavefront6targetE0EEEvSZ_.has_dyn_sized_stack, 0
	.set _ZN7rocprim17ROCPRIM_400000_NS6detail17trampoline_kernelINS0_13select_configILj256ELj13ELNS0_17block_load_methodE3ELS4_3ELS4_3ELNS0_20block_scan_algorithmE0ELj4294967295EEENS1_25partition_config_selectorILNS1_17partition_subalgoE4EjNS0_10empty_typeEbEEZZNS1_14partition_implILS8_4ELb0ES6_15HIP_vector_typeIjLj2EENS0_17counting_iteratorIjlEEPS9_SG_NS0_5tupleIJPjSI_NS0_16reverse_iteratorISI_EEEEENSH_IJSG_SG_SG_EEES9_SI_JZNS1_25segmented_radix_sort_implINS0_14default_configELb0EPKlPlSQ_SR_N2at6native12_GLOBAL__N_18offset_tEEE10hipError_tPvRmT1_PNSt15iterator_traitsISZ_E10value_typeET2_T3_PNS10_IS15_E10value_typeET4_jRbjT5_S1B_jjP12ihipStream_tbEUljE_ZNSN_ISO_Lb0ESQ_SR_SQ_SR_SV_EESW_SX_SY_SZ_S13_S14_S15_S18_S19_jS1A_jS1B_S1B_jjS1D_bEUljE0_EEESW_SX_SY_S15_S19_S1B_T6_T7_T9_mT8_S1D_bDpT10_ENKUlT_T0_E_clISt17integral_constantIbLb0EES1R_EEDaS1M_S1N_EUlS1M_E_NS1_11comp_targetILNS1_3genE8ELNS1_11target_archE1030ELNS1_3gpuE2ELNS1_3repE0EEENS1_30default_config_static_selectorELNS0_4arch9wavefront6targetE0EEEvSZ_.has_recursion, 0
	.set _ZN7rocprim17ROCPRIM_400000_NS6detail17trampoline_kernelINS0_13select_configILj256ELj13ELNS0_17block_load_methodE3ELS4_3ELS4_3ELNS0_20block_scan_algorithmE0ELj4294967295EEENS1_25partition_config_selectorILNS1_17partition_subalgoE4EjNS0_10empty_typeEbEEZZNS1_14partition_implILS8_4ELb0ES6_15HIP_vector_typeIjLj2EENS0_17counting_iteratorIjlEEPS9_SG_NS0_5tupleIJPjSI_NS0_16reverse_iteratorISI_EEEEENSH_IJSG_SG_SG_EEES9_SI_JZNS1_25segmented_radix_sort_implINS0_14default_configELb0EPKlPlSQ_SR_N2at6native12_GLOBAL__N_18offset_tEEE10hipError_tPvRmT1_PNSt15iterator_traitsISZ_E10value_typeET2_T3_PNS10_IS15_E10value_typeET4_jRbjT5_S1B_jjP12ihipStream_tbEUljE_ZNSN_ISO_Lb0ESQ_SR_SQ_SR_SV_EESW_SX_SY_SZ_S13_S14_S15_S18_S19_jS1A_jS1B_S1B_jjS1D_bEUljE0_EEESW_SX_SY_S15_S19_S1B_T6_T7_T9_mT8_S1D_bDpT10_ENKUlT_T0_E_clISt17integral_constantIbLb0EES1R_EEDaS1M_S1N_EUlS1M_E_NS1_11comp_targetILNS1_3genE8ELNS1_11target_archE1030ELNS1_3gpuE2ELNS1_3repE0EEENS1_30default_config_static_selectorELNS0_4arch9wavefront6targetE0EEEvSZ_.has_indirect_call, 0
	.section	.AMDGPU.csdata,"",@progbits
; Kernel info:
; codeLenInByte = 16236
; TotalNumSgprs: 61
; NumVgprs: 82
; ScratchSize: 0
; MemoryBound: 0
; FloatMode: 240
; IeeeMode: 1
; LDSByteSize: 13328 bytes/workgroup (compile time only)
; SGPRBlocks: 0
; VGPRBlocks: 10
; NumSGPRsForWavesPerEU: 61
; NumVGPRsForWavesPerEU: 82
; Occupancy: 10
; WaveLimiterHint : 1
; COMPUTE_PGM_RSRC2:SCRATCH_EN: 0
; COMPUTE_PGM_RSRC2:USER_SGPR: 6
; COMPUTE_PGM_RSRC2:TRAP_HANDLER: 0
; COMPUTE_PGM_RSRC2:TGID_X_EN: 1
; COMPUTE_PGM_RSRC2:TGID_Y_EN: 0
; COMPUTE_PGM_RSRC2:TGID_Z_EN: 0
; COMPUTE_PGM_RSRC2:TIDIG_COMP_CNT: 0
	.section	.text._ZN7rocprim17ROCPRIM_400000_NS6detail17trampoline_kernelINS0_13select_configILj256ELj13ELNS0_17block_load_methodE3ELS4_3ELS4_3ELNS0_20block_scan_algorithmE0ELj4294967295EEENS1_25partition_config_selectorILNS1_17partition_subalgoE4EjNS0_10empty_typeEbEEZZNS1_14partition_implILS8_4ELb0ES6_15HIP_vector_typeIjLj2EENS0_17counting_iteratorIjlEEPS9_SG_NS0_5tupleIJPjSI_NS0_16reverse_iteratorISI_EEEEENSH_IJSG_SG_SG_EEES9_SI_JZNS1_25segmented_radix_sort_implINS0_14default_configELb0EPKlPlSQ_SR_N2at6native12_GLOBAL__N_18offset_tEEE10hipError_tPvRmT1_PNSt15iterator_traitsISZ_E10value_typeET2_T3_PNS10_IS15_E10value_typeET4_jRbjT5_S1B_jjP12ihipStream_tbEUljE_ZNSN_ISO_Lb0ESQ_SR_SQ_SR_SV_EESW_SX_SY_SZ_S13_S14_S15_S18_S19_jS1A_jS1B_S1B_jjS1D_bEUljE0_EEESW_SX_SY_S15_S19_S1B_T6_T7_T9_mT8_S1D_bDpT10_ENKUlT_T0_E_clISt17integral_constantIbLb1EES1R_EEDaS1M_S1N_EUlS1M_E_NS1_11comp_targetILNS1_3genE0ELNS1_11target_archE4294967295ELNS1_3gpuE0ELNS1_3repE0EEENS1_30default_config_static_selectorELNS0_4arch9wavefront6targetE0EEEvSZ_,"axG",@progbits,_ZN7rocprim17ROCPRIM_400000_NS6detail17trampoline_kernelINS0_13select_configILj256ELj13ELNS0_17block_load_methodE3ELS4_3ELS4_3ELNS0_20block_scan_algorithmE0ELj4294967295EEENS1_25partition_config_selectorILNS1_17partition_subalgoE4EjNS0_10empty_typeEbEEZZNS1_14partition_implILS8_4ELb0ES6_15HIP_vector_typeIjLj2EENS0_17counting_iteratorIjlEEPS9_SG_NS0_5tupleIJPjSI_NS0_16reverse_iteratorISI_EEEEENSH_IJSG_SG_SG_EEES9_SI_JZNS1_25segmented_radix_sort_implINS0_14default_configELb0EPKlPlSQ_SR_N2at6native12_GLOBAL__N_18offset_tEEE10hipError_tPvRmT1_PNSt15iterator_traitsISZ_E10value_typeET2_T3_PNS10_IS15_E10value_typeET4_jRbjT5_S1B_jjP12ihipStream_tbEUljE_ZNSN_ISO_Lb0ESQ_SR_SQ_SR_SV_EESW_SX_SY_SZ_S13_S14_S15_S18_S19_jS1A_jS1B_S1B_jjS1D_bEUljE0_EEESW_SX_SY_S15_S19_S1B_T6_T7_T9_mT8_S1D_bDpT10_ENKUlT_T0_E_clISt17integral_constantIbLb1EES1R_EEDaS1M_S1N_EUlS1M_E_NS1_11comp_targetILNS1_3genE0ELNS1_11target_archE4294967295ELNS1_3gpuE0ELNS1_3repE0EEENS1_30default_config_static_selectorELNS0_4arch9wavefront6targetE0EEEvSZ_,comdat
	.globl	_ZN7rocprim17ROCPRIM_400000_NS6detail17trampoline_kernelINS0_13select_configILj256ELj13ELNS0_17block_load_methodE3ELS4_3ELS4_3ELNS0_20block_scan_algorithmE0ELj4294967295EEENS1_25partition_config_selectorILNS1_17partition_subalgoE4EjNS0_10empty_typeEbEEZZNS1_14partition_implILS8_4ELb0ES6_15HIP_vector_typeIjLj2EENS0_17counting_iteratorIjlEEPS9_SG_NS0_5tupleIJPjSI_NS0_16reverse_iteratorISI_EEEEENSH_IJSG_SG_SG_EEES9_SI_JZNS1_25segmented_radix_sort_implINS0_14default_configELb0EPKlPlSQ_SR_N2at6native12_GLOBAL__N_18offset_tEEE10hipError_tPvRmT1_PNSt15iterator_traitsISZ_E10value_typeET2_T3_PNS10_IS15_E10value_typeET4_jRbjT5_S1B_jjP12ihipStream_tbEUljE_ZNSN_ISO_Lb0ESQ_SR_SQ_SR_SV_EESW_SX_SY_SZ_S13_S14_S15_S18_S19_jS1A_jS1B_S1B_jjS1D_bEUljE0_EEESW_SX_SY_S15_S19_S1B_T6_T7_T9_mT8_S1D_bDpT10_ENKUlT_T0_E_clISt17integral_constantIbLb1EES1R_EEDaS1M_S1N_EUlS1M_E_NS1_11comp_targetILNS1_3genE0ELNS1_11target_archE4294967295ELNS1_3gpuE0ELNS1_3repE0EEENS1_30default_config_static_selectorELNS0_4arch9wavefront6targetE0EEEvSZ_ ; -- Begin function _ZN7rocprim17ROCPRIM_400000_NS6detail17trampoline_kernelINS0_13select_configILj256ELj13ELNS0_17block_load_methodE3ELS4_3ELS4_3ELNS0_20block_scan_algorithmE0ELj4294967295EEENS1_25partition_config_selectorILNS1_17partition_subalgoE4EjNS0_10empty_typeEbEEZZNS1_14partition_implILS8_4ELb0ES6_15HIP_vector_typeIjLj2EENS0_17counting_iteratorIjlEEPS9_SG_NS0_5tupleIJPjSI_NS0_16reverse_iteratorISI_EEEEENSH_IJSG_SG_SG_EEES9_SI_JZNS1_25segmented_radix_sort_implINS0_14default_configELb0EPKlPlSQ_SR_N2at6native12_GLOBAL__N_18offset_tEEE10hipError_tPvRmT1_PNSt15iterator_traitsISZ_E10value_typeET2_T3_PNS10_IS15_E10value_typeET4_jRbjT5_S1B_jjP12ihipStream_tbEUljE_ZNSN_ISO_Lb0ESQ_SR_SQ_SR_SV_EESW_SX_SY_SZ_S13_S14_S15_S18_S19_jS1A_jS1B_S1B_jjS1D_bEUljE0_EEESW_SX_SY_S15_S19_S1B_T6_T7_T9_mT8_S1D_bDpT10_ENKUlT_T0_E_clISt17integral_constantIbLb1EES1R_EEDaS1M_S1N_EUlS1M_E_NS1_11comp_targetILNS1_3genE0ELNS1_11target_archE4294967295ELNS1_3gpuE0ELNS1_3repE0EEENS1_30default_config_static_selectorELNS0_4arch9wavefront6targetE0EEEvSZ_
	.p2align	8
	.type	_ZN7rocprim17ROCPRIM_400000_NS6detail17trampoline_kernelINS0_13select_configILj256ELj13ELNS0_17block_load_methodE3ELS4_3ELS4_3ELNS0_20block_scan_algorithmE0ELj4294967295EEENS1_25partition_config_selectorILNS1_17partition_subalgoE4EjNS0_10empty_typeEbEEZZNS1_14partition_implILS8_4ELb0ES6_15HIP_vector_typeIjLj2EENS0_17counting_iteratorIjlEEPS9_SG_NS0_5tupleIJPjSI_NS0_16reverse_iteratorISI_EEEEENSH_IJSG_SG_SG_EEES9_SI_JZNS1_25segmented_radix_sort_implINS0_14default_configELb0EPKlPlSQ_SR_N2at6native12_GLOBAL__N_18offset_tEEE10hipError_tPvRmT1_PNSt15iterator_traitsISZ_E10value_typeET2_T3_PNS10_IS15_E10value_typeET4_jRbjT5_S1B_jjP12ihipStream_tbEUljE_ZNSN_ISO_Lb0ESQ_SR_SQ_SR_SV_EESW_SX_SY_SZ_S13_S14_S15_S18_S19_jS1A_jS1B_S1B_jjS1D_bEUljE0_EEESW_SX_SY_S15_S19_S1B_T6_T7_T9_mT8_S1D_bDpT10_ENKUlT_T0_E_clISt17integral_constantIbLb1EES1R_EEDaS1M_S1N_EUlS1M_E_NS1_11comp_targetILNS1_3genE0ELNS1_11target_archE4294967295ELNS1_3gpuE0ELNS1_3repE0EEENS1_30default_config_static_selectorELNS0_4arch9wavefront6targetE0EEEvSZ_,@function
_ZN7rocprim17ROCPRIM_400000_NS6detail17trampoline_kernelINS0_13select_configILj256ELj13ELNS0_17block_load_methodE3ELS4_3ELS4_3ELNS0_20block_scan_algorithmE0ELj4294967295EEENS1_25partition_config_selectorILNS1_17partition_subalgoE4EjNS0_10empty_typeEbEEZZNS1_14partition_implILS8_4ELb0ES6_15HIP_vector_typeIjLj2EENS0_17counting_iteratorIjlEEPS9_SG_NS0_5tupleIJPjSI_NS0_16reverse_iteratorISI_EEEEENSH_IJSG_SG_SG_EEES9_SI_JZNS1_25segmented_radix_sort_implINS0_14default_configELb0EPKlPlSQ_SR_N2at6native12_GLOBAL__N_18offset_tEEE10hipError_tPvRmT1_PNSt15iterator_traitsISZ_E10value_typeET2_T3_PNS10_IS15_E10value_typeET4_jRbjT5_S1B_jjP12ihipStream_tbEUljE_ZNSN_ISO_Lb0ESQ_SR_SQ_SR_SV_EESW_SX_SY_SZ_S13_S14_S15_S18_S19_jS1A_jS1B_S1B_jjS1D_bEUljE0_EEESW_SX_SY_S15_S19_S1B_T6_T7_T9_mT8_S1D_bDpT10_ENKUlT_T0_E_clISt17integral_constantIbLb1EES1R_EEDaS1M_S1N_EUlS1M_E_NS1_11comp_targetILNS1_3genE0ELNS1_11target_archE4294967295ELNS1_3gpuE0ELNS1_3repE0EEENS1_30default_config_static_selectorELNS0_4arch9wavefront6targetE0EEEvSZ_: ; @_ZN7rocprim17ROCPRIM_400000_NS6detail17trampoline_kernelINS0_13select_configILj256ELj13ELNS0_17block_load_methodE3ELS4_3ELS4_3ELNS0_20block_scan_algorithmE0ELj4294967295EEENS1_25partition_config_selectorILNS1_17partition_subalgoE4EjNS0_10empty_typeEbEEZZNS1_14partition_implILS8_4ELb0ES6_15HIP_vector_typeIjLj2EENS0_17counting_iteratorIjlEEPS9_SG_NS0_5tupleIJPjSI_NS0_16reverse_iteratorISI_EEEEENSH_IJSG_SG_SG_EEES9_SI_JZNS1_25segmented_radix_sort_implINS0_14default_configELb0EPKlPlSQ_SR_N2at6native12_GLOBAL__N_18offset_tEEE10hipError_tPvRmT1_PNSt15iterator_traitsISZ_E10value_typeET2_T3_PNS10_IS15_E10value_typeET4_jRbjT5_S1B_jjP12ihipStream_tbEUljE_ZNSN_ISO_Lb0ESQ_SR_SQ_SR_SV_EESW_SX_SY_SZ_S13_S14_S15_S18_S19_jS1A_jS1B_S1B_jjS1D_bEUljE0_EEESW_SX_SY_S15_S19_S1B_T6_T7_T9_mT8_S1D_bDpT10_ENKUlT_T0_E_clISt17integral_constantIbLb1EES1R_EEDaS1M_S1N_EUlS1M_E_NS1_11comp_targetILNS1_3genE0ELNS1_11target_archE4294967295ELNS1_3gpuE0ELNS1_3repE0EEENS1_30default_config_static_selectorELNS0_4arch9wavefront6targetE0EEEvSZ_
; %bb.0:
	.section	.rodata,"a",@progbits
	.p2align	6, 0x0
	.amdhsa_kernel _ZN7rocprim17ROCPRIM_400000_NS6detail17trampoline_kernelINS0_13select_configILj256ELj13ELNS0_17block_load_methodE3ELS4_3ELS4_3ELNS0_20block_scan_algorithmE0ELj4294967295EEENS1_25partition_config_selectorILNS1_17partition_subalgoE4EjNS0_10empty_typeEbEEZZNS1_14partition_implILS8_4ELb0ES6_15HIP_vector_typeIjLj2EENS0_17counting_iteratorIjlEEPS9_SG_NS0_5tupleIJPjSI_NS0_16reverse_iteratorISI_EEEEENSH_IJSG_SG_SG_EEES9_SI_JZNS1_25segmented_radix_sort_implINS0_14default_configELb0EPKlPlSQ_SR_N2at6native12_GLOBAL__N_18offset_tEEE10hipError_tPvRmT1_PNSt15iterator_traitsISZ_E10value_typeET2_T3_PNS10_IS15_E10value_typeET4_jRbjT5_S1B_jjP12ihipStream_tbEUljE_ZNSN_ISO_Lb0ESQ_SR_SQ_SR_SV_EESW_SX_SY_SZ_S13_S14_S15_S18_S19_jS1A_jS1B_S1B_jjS1D_bEUljE0_EEESW_SX_SY_S15_S19_S1B_T6_T7_T9_mT8_S1D_bDpT10_ENKUlT_T0_E_clISt17integral_constantIbLb1EES1R_EEDaS1M_S1N_EUlS1M_E_NS1_11comp_targetILNS1_3genE0ELNS1_11target_archE4294967295ELNS1_3gpuE0ELNS1_3repE0EEENS1_30default_config_static_selectorELNS0_4arch9wavefront6targetE0EEEvSZ_
		.amdhsa_group_segment_fixed_size 0
		.amdhsa_private_segment_fixed_size 0
		.amdhsa_kernarg_size 184
		.amdhsa_user_sgpr_count 6
		.amdhsa_user_sgpr_private_segment_buffer 1
		.amdhsa_user_sgpr_dispatch_ptr 0
		.amdhsa_user_sgpr_queue_ptr 0
		.amdhsa_user_sgpr_kernarg_segment_ptr 1
		.amdhsa_user_sgpr_dispatch_id 0
		.amdhsa_user_sgpr_flat_scratch_init 0
		.amdhsa_user_sgpr_private_segment_size 0
		.amdhsa_wavefront_size32 1
		.amdhsa_uses_dynamic_stack 0
		.amdhsa_system_sgpr_private_segment_wavefront_offset 0
		.amdhsa_system_sgpr_workgroup_id_x 1
		.amdhsa_system_sgpr_workgroup_id_y 0
		.amdhsa_system_sgpr_workgroup_id_z 0
		.amdhsa_system_sgpr_workgroup_info 0
		.amdhsa_system_vgpr_workitem_id 0
		.amdhsa_next_free_vgpr 1
		.amdhsa_next_free_sgpr 1
		.amdhsa_reserve_vcc 0
		.amdhsa_reserve_flat_scratch 0
		.amdhsa_float_round_mode_32 0
		.amdhsa_float_round_mode_16_64 0
		.amdhsa_float_denorm_mode_32 3
		.amdhsa_float_denorm_mode_16_64 3
		.amdhsa_dx10_clamp 1
		.amdhsa_ieee_mode 1
		.amdhsa_fp16_overflow 0
		.amdhsa_workgroup_processor_mode 1
		.amdhsa_memory_ordered 1
		.amdhsa_forward_progress 1
		.amdhsa_shared_vgpr_count 0
		.amdhsa_exception_fp_ieee_invalid_op 0
		.amdhsa_exception_fp_denorm_src 0
		.amdhsa_exception_fp_ieee_div_zero 0
		.amdhsa_exception_fp_ieee_overflow 0
		.amdhsa_exception_fp_ieee_underflow 0
		.amdhsa_exception_fp_ieee_inexact 0
		.amdhsa_exception_int_div_zero 0
	.end_amdhsa_kernel
	.section	.text._ZN7rocprim17ROCPRIM_400000_NS6detail17trampoline_kernelINS0_13select_configILj256ELj13ELNS0_17block_load_methodE3ELS4_3ELS4_3ELNS0_20block_scan_algorithmE0ELj4294967295EEENS1_25partition_config_selectorILNS1_17partition_subalgoE4EjNS0_10empty_typeEbEEZZNS1_14partition_implILS8_4ELb0ES6_15HIP_vector_typeIjLj2EENS0_17counting_iteratorIjlEEPS9_SG_NS0_5tupleIJPjSI_NS0_16reverse_iteratorISI_EEEEENSH_IJSG_SG_SG_EEES9_SI_JZNS1_25segmented_radix_sort_implINS0_14default_configELb0EPKlPlSQ_SR_N2at6native12_GLOBAL__N_18offset_tEEE10hipError_tPvRmT1_PNSt15iterator_traitsISZ_E10value_typeET2_T3_PNS10_IS15_E10value_typeET4_jRbjT5_S1B_jjP12ihipStream_tbEUljE_ZNSN_ISO_Lb0ESQ_SR_SQ_SR_SV_EESW_SX_SY_SZ_S13_S14_S15_S18_S19_jS1A_jS1B_S1B_jjS1D_bEUljE0_EEESW_SX_SY_S15_S19_S1B_T6_T7_T9_mT8_S1D_bDpT10_ENKUlT_T0_E_clISt17integral_constantIbLb1EES1R_EEDaS1M_S1N_EUlS1M_E_NS1_11comp_targetILNS1_3genE0ELNS1_11target_archE4294967295ELNS1_3gpuE0ELNS1_3repE0EEENS1_30default_config_static_selectorELNS0_4arch9wavefront6targetE0EEEvSZ_,"axG",@progbits,_ZN7rocprim17ROCPRIM_400000_NS6detail17trampoline_kernelINS0_13select_configILj256ELj13ELNS0_17block_load_methodE3ELS4_3ELS4_3ELNS0_20block_scan_algorithmE0ELj4294967295EEENS1_25partition_config_selectorILNS1_17partition_subalgoE4EjNS0_10empty_typeEbEEZZNS1_14partition_implILS8_4ELb0ES6_15HIP_vector_typeIjLj2EENS0_17counting_iteratorIjlEEPS9_SG_NS0_5tupleIJPjSI_NS0_16reverse_iteratorISI_EEEEENSH_IJSG_SG_SG_EEES9_SI_JZNS1_25segmented_radix_sort_implINS0_14default_configELb0EPKlPlSQ_SR_N2at6native12_GLOBAL__N_18offset_tEEE10hipError_tPvRmT1_PNSt15iterator_traitsISZ_E10value_typeET2_T3_PNS10_IS15_E10value_typeET4_jRbjT5_S1B_jjP12ihipStream_tbEUljE_ZNSN_ISO_Lb0ESQ_SR_SQ_SR_SV_EESW_SX_SY_SZ_S13_S14_S15_S18_S19_jS1A_jS1B_S1B_jjS1D_bEUljE0_EEESW_SX_SY_S15_S19_S1B_T6_T7_T9_mT8_S1D_bDpT10_ENKUlT_T0_E_clISt17integral_constantIbLb1EES1R_EEDaS1M_S1N_EUlS1M_E_NS1_11comp_targetILNS1_3genE0ELNS1_11target_archE4294967295ELNS1_3gpuE0ELNS1_3repE0EEENS1_30default_config_static_selectorELNS0_4arch9wavefront6targetE0EEEvSZ_,comdat
.Lfunc_end745:
	.size	_ZN7rocprim17ROCPRIM_400000_NS6detail17trampoline_kernelINS0_13select_configILj256ELj13ELNS0_17block_load_methodE3ELS4_3ELS4_3ELNS0_20block_scan_algorithmE0ELj4294967295EEENS1_25partition_config_selectorILNS1_17partition_subalgoE4EjNS0_10empty_typeEbEEZZNS1_14partition_implILS8_4ELb0ES6_15HIP_vector_typeIjLj2EENS0_17counting_iteratorIjlEEPS9_SG_NS0_5tupleIJPjSI_NS0_16reverse_iteratorISI_EEEEENSH_IJSG_SG_SG_EEES9_SI_JZNS1_25segmented_radix_sort_implINS0_14default_configELb0EPKlPlSQ_SR_N2at6native12_GLOBAL__N_18offset_tEEE10hipError_tPvRmT1_PNSt15iterator_traitsISZ_E10value_typeET2_T3_PNS10_IS15_E10value_typeET4_jRbjT5_S1B_jjP12ihipStream_tbEUljE_ZNSN_ISO_Lb0ESQ_SR_SQ_SR_SV_EESW_SX_SY_SZ_S13_S14_S15_S18_S19_jS1A_jS1B_S1B_jjS1D_bEUljE0_EEESW_SX_SY_S15_S19_S1B_T6_T7_T9_mT8_S1D_bDpT10_ENKUlT_T0_E_clISt17integral_constantIbLb1EES1R_EEDaS1M_S1N_EUlS1M_E_NS1_11comp_targetILNS1_3genE0ELNS1_11target_archE4294967295ELNS1_3gpuE0ELNS1_3repE0EEENS1_30default_config_static_selectorELNS0_4arch9wavefront6targetE0EEEvSZ_, .Lfunc_end745-_ZN7rocprim17ROCPRIM_400000_NS6detail17trampoline_kernelINS0_13select_configILj256ELj13ELNS0_17block_load_methodE3ELS4_3ELS4_3ELNS0_20block_scan_algorithmE0ELj4294967295EEENS1_25partition_config_selectorILNS1_17partition_subalgoE4EjNS0_10empty_typeEbEEZZNS1_14partition_implILS8_4ELb0ES6_15HIP_vector_typeIjLj2EENS0_17counting_iteratorIjlEEPS9_SG_NS0_5tupleIJPjSI_NS0_16reverse_iteratorISI_EEEEENSH_IJSG_SG_SG_EEES9_SI_JZNS1_25segmented_radix_sort_implINS0_14default_configELb0EPKlPlSQ_SR_N2at6native12_GLOBAL__N_18offset_tEEE10hipError_tPvRmT1_PNSt15iterator_traitsISZ_E10value_typeET2_T3_PNS10_IS15_E10value_typeET4_jRbjT5_S1B_jjP12ihipStream_tbEUljE_ZNSN_ISO_Lb0ESQ_SR_SQ_SR_SV_EESW_SX_SY_SZ_S13_S14_S15_S18_S19_jS1A_jS1B_S1B_jjS1D_bEUljE0_EEESW_SX_SY_S15_S19_S1B_T6_T7_T9_mT8_S1D_bDpT10_ENKUlT_T0_E_clISt17integral_constantIbLb1EES1R_EEDaS1M_S1N_EUlS1M_E_NS1_11comp_targetILNS1_3genE0ELNS1_11target_archE4294967295ELNS1_3gpuE0ELNS1_3repE0EEENS1_30default_config_static_selectorELNS0_4arch9wavefront6targetE0EEEvSZ_
                                        ; -- End function
	.set _ZN7rocprim17ROCPRIM_400000_NS6detail17trampoline_kernelINS0_13select_configILj256ELj13ELNS0_17block_load_methodE3ELS4_3ELS4_3ELNS0_20block_scan_algorithmE0ELj4294967295EEENS1_25partition_config_selectorILNS1_17partition_subalgoE4EjNS0_10empty_typeEbEEZZNS1_14partition_implILS8_4ELb0ES6_15HIP_vector_typeIjLj2EENS0_17counting_iteratorIjlEEPS9_SG_NS0_5tupleIJPjSI_NS0_16reverse_iteratorISI_EEEEENSH_IJSG_SG_SG_EEES9_SI_JZNS1_25segmented_radix_sort_implINS0_14default_configELb0EPKlPlSQ_SR_N2at6native12_GLOBAL__N_18offset_tEEE10hipError_tPvRmT1_PNSt15iterator_traitsISZ_E10value_typeET2_T3_PNS10_IS15_E10value_typeET4_jRbjT5_S1B_jjP12ihipStream_tbEUljE_ZNSN_ISO_Lb0ESQ_SR_SQ_SR_SV_EESW_SX_SY_SZ_S13_S14_S15_S18_S19_jS1A_jS1B_S1B_jjS1D_bEUljE0_EEESW_SX_SY_S15_S19_S1B_T6_T7_T9_mT8_S1D_bDpT10_ENKUlT_T0_E_clISt17integral_constantIbLb1EES1R_EEDaS1M_S1N_EUlS1M_E_NS1_11comp_targetILNS1_3genE0ELNS1_11target_archE4294967295ELNS1_3gpuE0ELNS1_3repE0EEENS1_30default_config_static_selectorELNS0_4arch9wavefront6targetE0EEEvSZ_.num_vgpr, 0
	.set _ZN7rocprim17ROCPRIM_400000_NS6detail17trampoline_kernelINS0_13select_configILj256ELj13ELNS0_17block_load_methodE3ELS4_3ELS4_3ELNS0_20block_scan_algorithmE0ELj4294967295EEENS1_25partition_config_selectorILNS1_17partition_subalgoE4EjNS0_10empty_typeEbEEZZNS1_14partition_implILS8_4ELb0ES6_15HIP_vector_typeIjLj2EENS0_17counting_iteratorIjlEEPS9_SG_NS0_5tupleIJPjSI_NS0_16reverse_iteratorISI_EEEEENSH_IJSG_SG_SG_EEES9_SI_JZNS1_25segmented_radix_sort_implINS0_14default_configELb0EPKlPlSQ_SR_N2at6native12_GLOBAL__N_18offset_tEEE10hipError_tPvRmT1_PNSt15iterator_traitsISZ_E10value_typeET2_T3_PNS10_IS15_E10value_typeET4_jRbjT5_S1B_jjP12ihipStream_tbEUljE_ZNSN_ISO_Lb0ESQ_SR_SQ_SR_SV_EESW_SX_SY_SZ_S13_S14_S15_S18_S19_jS1A_jS1B_S1B_jjS1D_bEUljE0_EEESW_SX_SY_S15_S19_S1B_T6_T7_T9_mT8_S1D_bDpT10_ENKUlT_T0_E_clISt17integral_constantIbLb1EES1R_EEDaS1M_S1N_EUlS1M_E_NS1_11comp_targetILNS1_3genE0ELNS1_11target_archE4294967295ELNS1_3gpuE0ELNS1_3repE0EEENS1_30default_config_static_selectorELNS0_4arch9wavefront6targetE0EEEvSZ_.num_agpr, 0
	.set _ZN7rocprim17ROCPRIM_400000_NS6detail17trampoline_kernelINS0_13select_configILj256ELj13ELNS0_17block_load_methodE3ELS4_3ELS4_3ELNS0_20block_scan_algorithmE0ELj4294967295EEENS1_25partition_config_selectorILNS1_17partition_subalgoE4EjNS0_10empty_typeEbEEZZNS1_14partition_implILS8_4ELb0ES6_15HIP_vector_typeIjLj2EENS0_17counting_iteratorIjlEEPS9_SG_NS0_5tupleIJPjSI_NS0_16reverse_iteratorISI_EEEEENSH_IJSG_SG_SG_EEES9_SI_JZNS1_25segmented_radix_sort_implINS0_14default_configELb0EPKlPlSQ_SR_N2at6native12_GLOBAL__N_18offset_tEEE10hipError_tPvRmT1_PNSt15iterator_traitsISZ_E10value_typeET2_T3_PNS10_IS15_E10value_typeET4_jRbjT5_S1B_jjP12ihipStream_tbEUljE_ZNSN_ISO_Lb0ESQ_SR_SQ_SR_SV_EESW_SX_SY_SZ_S13_S14_S15_S18_S19_jS1A_jS1B_S1B_jjS1D_bEUljE0_EEESW_SX_SY_S15_S19_S1B_T6_T7_T9_mT8_S1D_bDpT10_ENKUlT_T0_E_clISt17integral_constantIbLb1EES1R_EEDaS1M_S1N_EUlS1M_E_NS1_11comp_targetILNS1_3genE0ELNS1_11target_archE4294967295ELNS1_3gpuE0ELNS1_3repE0EEENS1_30default_config_static_selectorELNS0_4arch9wavefront6targetE0EEEvSZ_.numbered_sgpr, 0
	.set _ZN7rocprim17ROCPRIM_400000_NS6detail17trampoline_kernelINS0_13select_configILj256ELj13ELNS0_17block_load_methodE3ELS4_3ELS4_3ELNS0_20block_scan_algorithmE0ELj4294967295EEENS1_25partition_config_selectorILNS1_17partition_subalgoE4EjNS0_10empty_typeEbEEZZNS1_14partition_implILS8_4ELb0ES6_15HIP_vector_typeIjLj2EENS0_17counting_iteratorIjlEEPS9_SG_NS0_5tupleIJPjSI_NS0_16reverse_iteratorISI_EEEEENSH_IJSG_SG_SG_EEES9_SI_JZNS1_25segmented_radix_sort_implINS0_14default_configELb0EPKlPlSQ_SR_N2at6native12_GLOBAL__N_18offset_tEEE10hipError_tPvRmT1_PNSt15iterator_traitsISZ_E10value_typeET2_T3_PNS10_IS15_E10value_typeET4_jRbjT5_S1B_jjP12ihipStream_tbEUljE_ZNSN_ISO_Lb0ESQ_SR_SQ_SR_SV_EESW_SX_SY_SZ_S13_S14_S15_S18_S19_jS1A_jS1B_S1B_jjS1D_bEUljE0_EEESW_SX_SY_S15_S19_S1B_T6_T7_T9_mT8_S1D_bDpT10_ENKUlT_T0_E_clISt17integral_constantIbLb1EES1R_EEDaS1M_S1N_EUlS1M_E_NS1_11comp_targetILNS1_3genE0ELNS1_11target_archE4294967295ELNS1_3gpuE0ELNS1_3repE0EEENS1_30default_config_static_selectorELNS0_4arch9wavefront6targetE0EEEvSZ_.num_named_barrier, 0
	.set _ZN7rocprim17ROCPRIM_400000_NS6detail17trampoline_kernelINS0_13select_configILj256ELj13ELNS0_17block_load_methodE3ELS4_3ELS4_3ELNS0_20block_scan_algorithmE0ELj4294967295EEENS1_25partition_config_selectorILNS1_17partition_subalgoE4EjNS0_10empty_typeEbEEZZNS1_14partition_implILS8_4ELb0ES6_15HIP_vector_typeIjLj2EENS0_17counting_iteratorIjlEEPS9_SG_NS0_5tupleIJPjSI_NS0_16reverse_iteratorISI_EEEEENSH_IJSG_SG_SG_EEES9_SI_JZNS1_25segmented_radix_sort_implINS0_14default_configELb0EPKlPlSQ_SR_N2at6native12_GLOBAL__N_18offset_tEEE10hipError_tPvRmT1_PNSt15iterator_traitsISZ_E10value_typeET2_T3_PNS10_IS15_E10value_typeET4_jRbjT5_S1B_jjP12ihipStream_tbEUljE_ZNSN_ISO_Lb0ESQ_SR_SQ_SR_SV_EESW_SX_SY_SZ_S13_S14_S15_S18_S19_jS1A_jS1B_S1B_jjS1D_bEUljE0_EEESW_SX_SY_S15_S19_S1B_T6_T7_T9_mT8_S1D_bDpT10_ENKUlT_T0_E_clISt17integral_constantIbLb1EES1R_EEDaS1M_S1N_EUlS1M_E_NS1_11comp_targetILNS1_3genE0ELNS1_11target_archE4294967295ELNS1_3gpuE0ELNS1_3repE0EEENS1_30default_config_static_selectorELNS0_4arch9wavefront6targetE0EEEvSZ_.private_seg_size, 0
	.set _ZN7rocprim17ROCPRIM_400000_NS6detail17trampoline_kernelINS0_13select_configILj256ELj13ELNS0_17block_load_methodE3ELS4_3ELS4_3ELNS0_20block_scan_algorithmE0ELj4294967295EEENS1_25partition_config_selectorILNS1_17partition_subalgoE4EjNS0_10empty_typeEbEEZZNS1_14partition_implILS8_4ELb0ES6_15HIP_vector_typeIjLj2EENS0_17counting_iteratorIjlEEPS9_SG_NS0_5tupleIJPjSI_NS0_16reverse_iteratorISI_EEEEENSH_IJSG_SG_SG_EEES9_SI_JZNS1_25segmented_radix_sort_implINS0_14default_configELb0EPKlPlSQ_SR_N2at6native12_GLOBAL__N_18offset_tEEE10hipError_tPvRmT1_PNSt15iterator_traitsISZ_E10value_typeET2_T3_PNS10_IS15_E10value_typeET4_jRbjT5_S1B_jjP12ihipStream_tbEUljE_ZNSN_ISO_Lb0ESQ_SR_SQ_SR_SV_EESW_SX_SY_SZ_S13_S14_S15_S18_S19_jS1A_jS1B_S1B_jjS1D_bEUljE0_EEESW_SX_SY_S15_S19_S1B_T6_T7_T9_mT8_S1D_bDpT10_ENKUlT_T0_E_clISt17integral_constantIbLb1EES1R_EEDaS1M_S1N_EUlS1M_E_NS1_11comp_targetILNS1_3genE0ELNS1_11target_archE4294967295ELNS1_3gpuE0ELNS1_3repE0EEENS1_30default_config_static_selectorELNS0_4arch9wavefront6targetE0EEEvSZ_.uses_vcc, 0
	.set _ZN7rocprim17ROCPRIM_400000_NS6detail17trampoline_kernelINS0_13select_configILj256ELj13ELNS0_17block_load_methodE3ELS4_3ELS4_3ELNS0_20block_scan_algorithmE0ELj4294967295EEENS1_25partition_config_selectorILNS1_17partition_subalgoE4EjNS0_10empty_typeEbEEZZNS1_14partition_implILS8_4ELb0ES6_15HIP_vector_typeIjLj2EENS0_17counting_iteratorIjlEEPS9_SG_NS0_5tupleIJPjSI_NS0_16reverse_iteratorISI_EEEEENSH_IJSG_SG_SG_EEES9_SI_JZNS1_25segmented_radix_sort_implINS0_14default_configELb0EPKlPlSQ_SR_N2at6native12_GLOBAL__N_18offset_tEEE10hipError_tPvRmT1_PNSt15iterator_traitsISZ_E10value_typeET2_T3_PNS10_IS15_E10value_typeET4_jRbjT5_S1B_jjP12ihipStream_tbEUljE_ZNSN_ISO_Lb0ESQ_SR_SQ_SR_SV_EESW_SX_SY_SZ_S13_S14_S15_S18_S19_jS1A_jS1B_S1B_jjS1D_bEUljE0_EEESW_SX_SY_S15_S19_S1B_T6_T7_T9_mT8_S1D_bDpT10_ENKUlT_T0_E_clISt17integral_constantIbLb1EES1R_EEDaS1M_S1N_EUlS1M_E_NS1_11comp_targetILNS1_3genE0ELNS1_11target_archE4294967295ELNS1_3gpuE0ELNS1_3repE0EEENS1_30default_config_static_selectorELNS0_4arch9wavefront6targetE0EEEvSZ_.uses_flat_scratch, 0
	.set _ZN7rocprim17ROCPRIM_400000_NS6detail17trampoline_kernelINS0_13select_configILj256ELj13ELNS0_17block_load_methodE3ELS4_3ELS4_3ELNS0_20block_scan_algorithmE0ELj4294967295EEENS1_25partition_config_selectorILNS1_17partition_subalgoE4EjNS0_10empty_typeEbEEZZNS1_14partition_implILS8_4ELb0ES6_15HIP_vector_typeIjLj2EENS0_17counting_iteratorIjlEEPS9_SG_NS0_5tupleIJPjSI_NS0_16reverse_iteratorISI_EEEEENSH_IJSG_SG_SG_EEES9_SI_JZNS1_25segmented_radix_sort_implINS0_14default_configELb0EPKlPlSQ_SR_N2at6native12_GLOBAL__N_18offset_tEEE10hipError_tPvRmT1_PNSt15iterator_traitsISZ_E10value_typeET2_T3_PNS10_IS15_E10value_typeET4_jRbjT5_S1B_jjP12ihipStream_tbEUljE_ZNSN_ISO_Lb0ESQ_SR_SQ_SR_SV_EESW_SX_SY_SZ_S13_S14_S15_S18_S19_jS1A_jS1B_S1B_jjS1D_bEUljE0_EEESW_SX_SY_S15_S19_S1B_T6_T7_T9_mT8_S1D_bDpT10_ENKUlT_T0_E_clISt17integral_constantIbLb1EES1R_EEDaS1M_S1N_EUlS1M_E_NS1_11comp_targetILNS1_3genE0ELNS1_11target_archE4294967295ELNS1_3gpuE0ELNS1_3repE0EEENS1_30default_config_static_selectorELNS0_4arch9wavefront6targetE0EEEvSZ_.has_dyn_sized_stack, 0
	.set _ZN7rocprim17ROCPRIM_400000_NS6detail17trampoline_kernelINS0_13select_configILj256ELj13ELNS0_17block_load_methodE3ELS4_3ELS4_3ELNS0_20block_scan_algorithmE0ELj4294967295EEENS1_25partition_config_selectorILNS1_17partition_subalgoE4EjNS0_10empty_typeEbEEZZNS1_14partition_implILS8_4ELb0ES6_15HIP_vector_typeIjLj2EENS0_17counting_iteratorIjlEEPS9_SG_NS0_5tupleIJPjSI_NS0_16reverse_iteratorISI_EEEEENSH_IJSG_SG_SG_EEES9_SI_JZNS1_25segmented_radix_sort_implINS0_14default_configELb0EPKlPlSQ_SR_N2at6native12_GLOBAL__N_18offset_tEEE10hipError_tPvRmT1_PNSt15iterator_traitsISZ_E10value_typeET2_T3_PNS10_IS15_E10value_typeET4_jRbjT5_S1B_jjP12ihipStream_tbEUljE_ZNSN_ISO_Lb0ESQ_SR_SQ_SR_SV_EESW_SX_SY_SZ_S13_S14_S15_S18_S19_jS1A_jS1B_S1B_jjS1D_bEUljE0_EEESW_SX_SY_S15_S19_S1B_T6_T7_T9_mT8_S1D_bDpT10_ENKUlT_T0_E_clISt17integral_constantIbLb1EES1R_EEDaS1M_S1N_EUlS1M_E_NS1_11comp_targetILNS1_3genE0ELNS1_11target_archE4294967295ELNS1_3gpuE0ELNS1_3repE0EEENS1_30default_config_static_selectorELNS0_4arch9wavefront6targetE0EEEvSZ_.has_recursion, 0
	.set _ZN7rocprim17ROCPRIM_400000_NS6detail17trampoline_kernelINS0_13select_configILj256ELj13ELNS0_17block_load_methodE3ELS4_3ELS4_3ELNS0_20block_scan_algorithmE0ELj4294967295EEENS1_25partition_config_selectorILNS1_17partition_subalgoE4EjNS0_10empty_typeEbEEZZNS1_14partition_implILS8_4ELb0ES6_15HIP_vector_typeIjLj2EENS0_17counting_iteratorIjlEEPS9_SG_NS0_5tupleIJPjSI_NS0_16reverse_iteratorISI_EEEEENSH_IJSG_SG_SG_EEES9_SI_JZNS1_25segmented_radix_sort_implINS0_14default_configELb0EPKlPlSQ_SR_N2at6native12_GLOBAL__N_18offset_tEEE10hipError_tPvRmT1_PNSt15iterator_traitsISZ_E10value_typeET2_T3_PNS10_IS15_E10value_typeET4_jRbjT5_S1B_jjP12ihipStream_tbEUljE_ZNSN_ISO_Lb0ESQ_SR_SQ_SR_SV_EESW_SX_SY_SZ_S13_S14_S15_S18_S19_jS1A_jS1B_S1B_jjS1D_bEUljE0_EEESW_SX_SY_S15_S19_S1B_T6_T7_T9_mT8_S1D_bDpT10_ENKUlT_T0_E_clISt17integral_constantIbLb1EES1R_EEDaS1M_S1N_EUlS1M_E_NS1_11comp_targetILNS1_3genE0ELNS1_11target_archE4294967295ELNS1_3gpuE0ELNS1_3repE0EEENS1_30default_config_static_selectorELNS0_4arch9wavefront6targetE0EEEvSZ_.has_indirect_call, 0
	.section	.AMDGPU.csdata,"",@progbits
; Kernel info:
; codeLenInByte = 0
; TotalNumSgprs: 0
; NumVgprs: 0
; ScratchSize: 0
; MemoryBound: 0
; FloatMode: 240
; IeeeMode: 1
; LDSByteSize: 0 bytes/workgroup (compile time only)
; SGPRBlocks: 0
; VGPRBlocks: 0
; NumSGPRsForWavesPerEU: 1
; NumVGPRsForWavesPerEU: 1
; Occupancy: 16
; WaveLimiterHint : 0
; COMPUTE_PGM_RSRC2:SCRATCH_EN: 0
; COMPUTE_PGM_RSRC2:USER_SGPR: 6
; COMPUTE_PGM_RSRC2:TRAP_HANDLER: 0
; COMPUTE_PGM_RSRC2:TGID_X_EN: 1
; COMPUTE_PGM_RSRC2:TGID_Y_EN: 0
; COMPUTE_PGM_RSRC2:TGID_Z_EN: 0
; COMPUTE_PGM_RSRC2:TIDIG_COMP_CNT: 0
	.section	.text._ZN7rocprim17ROCPRIM_400000_NS6detail17trampoline_kernelINS0_13select_configILj256ELj13ELNS0_17block_load_methodE3ELS4_3ELS4_3ELNS0_20block_scan_algorithmE0ELj4294967295EEENS1_25partition_config_selectorILNS1_17partition_subalgoE4EjNS0_10empty_typeEbEEZZNS1_14partition_implILS8_4ELb0ES6_15HIP_vector_typeIjLj2EENS0_17counting_iteratorIjlEEPS9_SG_NS0_5tupleIJPjSI_NS0_16reverse_iteratorISI_EEEEENSH_IJSG_SG_SG_EEES9_SI_JZNS1_25segmented_radix_sort_implINS0_14default_configELb0EPKlPlSQ_SR_N2at6native12_GLOBAL__N_18offset_tEEE10hipError_tPvRmT1_PNSt15iterator_traitsISZ_E10value_typeET2_T3_PNS10_IS15_E10value_typeET4_jRbjT5_S1B_jjP12ihipStream_tbEUljE_ZNSN_ISO_Lb0ESQ_SR_SQ_SR_SV_EESW_SX_SY_SZ_S13_S14_S15_S18_S19_jS1A_jS1B_S1B_jjS1D_bEUljE0_EEESW_SX_SY_S15_S19_S1B_T6_T7_T9_mT8_S1D_bDpT10_ENKUlT_T0_E_clISt17integral_constantIbLb1EES1R_EEDaS1M_S1N_EUlS1M_E_NS1_11comp_targetILNS1_3genE5ELNS1_11target_archE942ELNS1_3gpuE9ELNS1_3repE0EEENS1_30default_config_static_selectorELNS0_4arch9wavefront6targetE0EEEvSZ_,"axG",@progbits,_ZN7rocprim17ROCPRIM_400000_NS6detail17trampoline_kernelINS0_13select_configILj256ELj13ELNS0_17block_load_methodE3ELS4_3ELS4_3ELNS0_20block_scan_algorithmE0ELj4294967295EEENS1_25partition_config_selectorILNS1_17partition_subalgoE4EjNS0_10empty_typeEbEEZZNS1_14partition_implILS8_4ELb0ES6_15HIP_vector_typeIjLj2EENS0_17counting_iteratorIjlEEPS9_SG_NS0_5tupleIJPjSI_NS0_16reverse_iteratorISI_EEEEENSH_IJSG_SG_SG_EEES9_SI_JZNS1_25segmented_radix_sort_implINS0_14default_configELb0EPKlPlSQ_SR_N2at6native12_GLOBAL__N_18offset_tEEE10hipError_tPvRmT1_PNSt15iterator_traitsISZ_E10value_typeET2_T3_PNS10_IS15_E10value_typeET4_jRbjT5_S1B_jjP12ihipStream_tbEUljE_ZNSN_ISO_Lb0ESQ_SR_SQ_SR_SV_EESW_SX_SY_SZ_S13_S14_S15_S18_S19_jS1A_jS1B_S1B_jjS1D_bEUljE0_EEESW_SX_SY_S15_S19_S1B_T6_T7_T9_mT8_S1D_bDpT10_ENKUlT_T0_E_clISt17integral_constantIbLb1EES1R_EEDaS1M_S1N_EUlS1M_E_NS1_11comp_targetILNS1_3genE5ELNS1_11target_archE942ELNS1_3gpuE9ELNS1_3repE0EEENS1_30default_config_static_selectorELNS0_4arch9wavefront6targetE0EEEvSZ_,comdat
	.globl	_ZN7rocprim17ROCPRIM_400000_NS6detail17trampoline_kernelINS0_13select_configILj256ELj13ELNS0_17block_load_methodE3ELS4_3ELS4_3ELNS0_20block_scan_algorithmE0ELj4294967295EEENS1_25partition_config_selectorILNS1_17partition_subalgoE4EjNS0_10empty_typeEbEEZZNS1_14partition_implILS8_4ELb0ES6_15HIP_vector_typeIjLj2EENS0_17counting_iteratorIjlEEPS9_SG_NS0_5tupleIJPjSI_NS0_16reverse_iteratorISI_EEEEENSH_IJSG_SG_SG_EEES9_SI_JZNS1_25segmented_radix_sort_implINS0_14default_configELb0EPKlPlSQ_SR_N2at6native12_GLOBAL__N_18offset_tEEE10hipError_tPvRmT1_PNSt15iterator_traitsISZ_E10value_typeET2_T3_PNS10_IS15_E10value_typeET4_jRbjT5_S1B_jjP12ihipStream_tbEUljE_ZNSN_ISO_Lb0ESQ_SR_SQ_SR_SV_EESW_SX_SY_SZ_S13_S14_S15_S18_S19_jS1A_jS1B_S1B_jjS1D_bEUljE0_EEESW_SX_SY_S15_S19_S1B_T6_T7_T9_mT8_S1D_bDpT10_ENKUlT_T0_E_clISt17integral_constantIbLb1EES1R_EEDaS1M_S1N_EUlS1M_E_NS1_11comp_targetILNS1_3genE5ELNS1_11target_archE942ELNS1_3gpuE9ELNS1_3repE0EEENS1_30default_config_static_selectorELNS0_4arch9wavefront6targetE0EEEvSZ_ ; -- Begin function _ZN7rocprim17ROCPRIM_400000_NS6detail17trampoline_kernelINS0_13select_configILj256ELj13ELNS0_17block_load_methodE3ELS4_3ELS4_3ELNS0_20block_scan_algorithmE0ELj4294967295EEENS1_25partition_config_selectorILNS1_17partition_subalgoE4EjNS0_10empty_typeEbEEZZNS1_14partition_implILS8_4ELb0ES6_15HIP_vector_typeIjLj2EENS0_17counting_iteratorIjlEEPS9_SG_NS0_5tupleIJPjSI_NS0_16reverse_iteratorISI_EEEEENSH_IJSG_SG_SG_EEES9_SI_JZNS1_25segmented_radix_sort_implINS0_14default_configELb0EPKlPlSQ_SR_N2at6native12_GLOBAL__N_18offset_tEEE10hipError_tPvRmT1_PNSt15iterator_traitsISZ_E10value_typeET2_T3_PNS10_IS15_E10value_typeET4_jRbjT5_S1B_jjP12ihipStream_tbEUljE_ZNSN_ISO_Lb0ESQ_SR_SQ_SR_SV_EESW_SX_SY_SZ_S13_S14_S15_S18_S19_jS1A_jS1B_S1B_jjS1D_bEUljE0_EEESW_SX_SY_S15_S19_S1B_T6_T7_T9_mT8_S1D_bDpT10_ENKUlT_T0_E_clISt17integral_constantIbLb1EES1R_EEDaS1M_S1N_EUlS1M_E_NS1_11comp_targetILNS1_3genE5ELNS1_11target_archE942ELNS1_3gpuE9ELNS1_3repE0EEENS1_30default_config_static_selectorELNS0_4arch9wavefront6targetE0EEEvSZ_
	.p2align	8
	.type	_ZN7rocprim17ROCPRIM_400000_NS6detail17trampoline_kernelINS0_13select_configILj256ELj13ELNS0_17block_load_methodE3ELS4_3ELS4_3ELNS0_20block_scan_algorithmE0ELj4294967295EEENS1_25partition_config_selectorILNS1_17partition_subalgoE4EjNS0_10empty_typeEbEEZZNS1_14partition_implILS8_4ELb0ES6_15HIP_vector_typeIjLj2EENS0_17counting_iteratorIjlEEPS9_SG_NS0_5tupleIJPjSI_NS0_16reverse_iteratorISI_EEEEENSH_IJSG_SG_SG_EEES9_SI_JZNS1_25segmented_radix_sort_implINS0_14default_configELb0EPKlPlSQ_SR_N2at6native12_GLOBAL__N_18offset_tEEE10hipError_tPvRmT1_PNSt15iterator_traitsISZ_E10value_typeET2_T3_PNS10_IS15_E10value_typeET4_jRbjT5_S1B_jjP12ihipStream_tbEUljE_ZNSN_ISO_Lb0ESQ_SR_SQ_SR_SV_EESW_SX_SY_SZ_S13_S14_S15_S18_S19_jS1A_jS1B_S1B_jjS1D_bEUljE0_EEESW_SX_SY_S15_S19_S1B_T6_T7_T9_mT8_S1D_bDpT10_ENKUlT_T0_E_clISt17integral_constantIbLb1EES1R_EEDaS1M_S1N_EUlS1M_E_NS1_11comp_targetILNS1_3genE5ELNS1_11target_archE942ELNS1_3gpuE9ELNS1_3repE0EEENS1_30default_config_static_selectorELNS0_4arch9wavefront6targetE0EEEvSZ_,@function
_ZN7rocprim17ROCPRIM_400000_NS6detail17trampoline_kernelINS0_13select_configILj256ELj13ELNS0_17block_load_methodE3ELS4_3ELS4_3ELNS0_20block_scan_algorithmE0ELj4294967295EEENS1_25partition_config_selectorILNS1_17partition_subalgoE4EjNS0_10empty_typeEbEEZZNS1_14partition_implILS8_4ELb0ES6_15HIP_vector_typeIjLj2EENS0_17counting_iteratorIjlEEPS9_SG_NS0_5tupleIJPjSI_NS0_16reverse_iteratorISI_EEEEENSH_IJSG_SG_SG_EEES9_SI_JZNS1_25segmented_radix_sort_implINS0_14default_configELb0EPKlPlSQ_SR_N2at6native12_GLOBAL__N_18offset_tEEE10hipError_tPvRmT1_PNSt15iterator_traitsISZ_E10value_typeET2_T3_PNS10_IS15_E10value_typeET4_jRbjT5_S1B_jjP12ihipStream_tbEUljE_ZNSN_ISO_Lb0ESQ_SR_SQ_SR_SV_EESW_SX_SY_SZ_S13_S14_S15_S18_S19_jS1A_jS1B_S1B_jjS1D_bEUljE0_EEESW_SX_SY_S15_S19_S1B_T6_T7_T9_mT8_S1D_bDpT10_ENKUlT_T0_E_clISt17integral_constantIbLb1EES1R_EEDaS1M_S1N_EUlS1M_E_NS1_11comp_targetILNS1_3genE5ELNS1_11target_archE942ELNS1_3gpuE9ELNS1_3repE0EEENS1_30default_config_static_selectorELNS0_4arch9wavefront6targetE0EEEvSZ_: ; @_ZN7rocprim17ROCPRIM_400000_NS6detail17trampoline_kernelINS0_13select_configILj256ELj13ELNS0_17block_load_methodE3ELS4_3ELS4_3ELNS0_20block_scan_algorithmE0ELj4294967295EEENS1_25partition_config_selectorILNS1_17partition_subalgoE4EjNS0_10empty_typeEbEEZZNS1_14partition_implILS8_4ELb0ES6_15HIP_vector_typeIjLj2EENS0_17counting_iteratorIjlEEPS9_SG_NS0_5tupleIJPjSI_NS0_16reverse_iteratorISI_EEEEENSH_IJSG_SG_SG_EEES9_SI_JZNS1_25segmented_radix_sort_implINS0_14default_configELb0EPKlPlSQ_SR_N2at6native12_GLOBAL__N_18offset_tEEE10hipError_tPvRmT1_PNSt15iterator_traitsISZ_E10value_typeET2_T3_PNS10_IS15_E10value_typeET4_jRbjT5_S1B_jjP12ihipStream_tbEUljE_ZNSN_ISO_Lb0ESQ_SR_SQ_SR_SV_EESW_SX_SY_SZ_S13_S14_S15_S18_S19_jS1A_jS1B_S1B_jjS1D_bEUljE0_EEESW_SX_SY_S15_S19_S1B_T6_T7_T9_mT8_S1D_bDpT10_ENKUlT_T0_E_clISt17integral_constantIbLb1EES1R_EEDaS1M_S1N_EUlS1M_E_NS1_11comp_targetILNS1_3genE5ELNS1_11target_archE942ELNS1_3gpuE9ELNS1_3repE0EEENS1_30default_config_static_selectorELNS0_4arch9wavefront6targetE0EEEvSZ_
; %bb.0:
	.section	.rodata,"a",@progbits
	.p2align	6, 0x0
	.amdhsa_kernel _ZN7rocprim17ROCPRIM_400000_NS6detail17trampoline_kernelINS0_13select_configILj256ELj13ELNS0_17block_load_methodE3ELS4_3ELS4_3ELNS0_20block_scan_algorithmE0ELj4294967295EEENS1_25partition_config_selectorILNS1_17partition_subalgoE4EjNS0_10empty_typeEbEEZZNS1_14partition_implILS8_4ELb0ES6_15HIP_vector_typeIjLj2EENS0_17counting_iteratorIjlEEPS9_SG_NS0_5tupleIJPjSI_NS0_16reverse_iteratorISI_EEEEENSH_IJSG_SG_SG_EEES9_SI_JZNS1_25segmented_radix_sort_implINS0_14default_configELb0EPKlPlSQ_SR_N2at6native12_GLOBAL__N_18offset_tEEE10hipError_tPvRmT1_PNSt15iterator_traitsISZ_E10value_typeET2_T3_PNS10_IS15_E10value_typeET4_jRbjT5_S1B_jjP12ihipStream_tbEUljE_ZNSN_ISO_Lb0ESQ_SR_SQ_SR_SV_EESW_SX_SY_SZ_S13_S14_S15_S18_S19_jS1A_jS1B_S1B_jjS1D_bEUljE0_EEESW_SX_SY_S15_S19_S1B_T6_T7_T9_mT8_S1D_bDpT10_ENKUlT_T0_E_clISt17integral_constantIbLb1EES1R_EEDaS1M_S1N_EUlS1M_E_NS1_11comp_targetILNS1_3genE5ELNS1_11target_archE942ELNS1_3gpuE9ELNS1_3repE0EEENS1_30default_config_static_selectorELNS0_4arch9wavefront6targetE0EEEvSZ_
		.amdhsa_group_segment_fixed_size 0
		.amdhsa_private_segment_fixed_size 0
		.amdhsa_kernarg_size 184
		.amdhsa_user_sgpr_count 6
		.amdhsa_user_sgpr_private_segment_buffer 1
		.amdhsa_user_sgpr_dispatch_ptr 0
		.amdhsa_user_sgpr_queue_ptr 0
		.amdhsa_user_sgpr_kernarg_segment_ptr 1
		.amdhsa_user_sgpr_dispatch_id 0
		.amdhsa_user_sgpr_flat_scratch_init 0
		.amdhsa_user_sgpr_private_segment_size 0
		.amdhsa_wavefront_size32 1
		.amdhsa_uses_dynamic_stack 0
		.amdhsa_system_sgpr_private_segment_wavefront_offset 0
		.amdhsa_system_sgpr_workgroup_id_x 1
		.amdhsa_system_sgpr_workgroup_id_y 0
		.amdhsa_system_sgpr_workgroup_id_z 0
		.amdhsa_system_sgpr_workgroup_info 0
		.amdhsa_system_vgpr_workitem_id 0
		.amdhsa_next_free_vgpr 1
		.amdhsa_next_free_sgpr 1
		.amdhsa_reserve_vcc 0
		.amdhsa_reserve_flat_scratch 0
		.amdhsa_float_round_mode_32 0
		.amdhsa_float_round_mode_16_64 0
		.amdhsa_float_denorm_mode_32 3
		.amdhsa_float_denorm_mode_16_64 3
		.amdhsa_dx10_clamp 1
		.amdhsa_ieee_mode 1
		.amdhsa_fp16_overflow 0
		.amdhsa_workgroup_processor_mode 1
		.amdhsa_memory_ordered 1
		.amdhsa_forward_progress 1
		.amdhsa_shared_vgpr_count 0
		.amdhsa_exception_fp_ieee_invalid_op 0
		.amdhsa_exception_fp_denorm_src 0
		.amdhsa_exception_fp_ieee_div_zero 0
		.amdhsa_exception_fp_ieee_overflow 0
		.amdhsa_exception_fp_ieee_underflow 0
		.amdhsa_exception_fp_ieee_inexact 0
		.amdhsa_exception_int_div_zero 0
	.end_amdhsa_kernel
	.section	.text._ZN7rocprim17ROCPRIM_400000_NS6detail17trampoline_kernelINS0_13select_configILj256ELj13ELNS0_17block_load_methodE3ELS4_3ELS4_3ELNS0_20block_scan_algorithmE0ELj4294967295EEENS1_25partition_config_selectorILNS1_17partition_subalgoE4EjNS0_10empty_typeEbEEZZNS1_14partition_implILS8_4ELb0ES6_15HIP_vector_typeIjLj2EENS0_17counting_iteratorIjlEEPS9_SG_NS0_5tupleIJPjSI_NS0_16reverse_iteratorISI_EEEEENSH_IJSG_SG_SG_EEES9_SI_JZNS1_25segmented_radix_sort_implINS0_14default_configELb0EPKlPlSQ_SR_N2at6native12_GLOBAL__N_18offset_tEEE10hipError_tPvRmT1_PNSt15iterator_traitsISZ_E10value_typeET2_T3_PNS10_IS15_E10value_typeET4_jRbjT5_S1B_jjP12ihipStream_tbEUljE_ZNSN_ISO_Lb0ESQ_SR_SQ_SR_SV_EESW_SX_SY_SZ_S13_S14_S15_S18_S19_jS1A_jS1B_S1B_jjS1D_bEUljE0_EEESW_SX_SY_S15_S19_S1B_T6_T7_T9_mT8_S1D_bDpT10_ENKUlT_T0_E_clISt17integral_constantIbLb1EES1R_EEDaS1M_S1N_EUlS1M_E_NS1_11comp_targetILNS1_3genE5ELNS1_11target_archE942ELNS1_3gpuE9ELNS1_3repE0EEENS1_30default_config_static_selectorELNS0_4arch9wavefront6targetE0EEEvSZ_,"axG",@progbits,_ZN7rocprim17ROCPRIM_400000_NS6detail17trampoline_kernelINS0_13select_configILj256ELj13ELNS0_17block_load_methodE3ELS4_3ELS4_3ELNS0_20block_scan_algorithmE0ELj4294967295EEENS1_25partition_config_selectorILNS1_17partition_subalgoE4EjNS0_10empty_typeEbEEZZNS1_14partition_implILS8_4ELb0ES6_15HIP_vector_typeIjLj2EENS0_17counting_iteratorIjlEEPS9_SG_NS0_5tupleIJPjSI_NS0_16reverse_iteratorISI_EEEEENSH_IJSG_SG_SG_EEES9_SI_JZNS1_25segmented_radix_sort_implINS0_14default_configELb0EPKlPlSQ_SR_N2at6native12_GLOBAL__N_18offset_tEEE10hipError_tPvRmT1_PNSt15iterator_traitsISZ_E10value_typeET2_T3_PNS10_IS15_E10value_typeET4_jRbjT5_S1B_jjP12ihipStream_tbEUljE_ZNSN_ISO_Lb0ESQ_SR_SQ_SR_SV_EESW_SX_SY_SZ_S13_S14_S15_S18_S19_jS1A_jS1B_S1B_jjS1D_bEUljE0_EEESW_SX_SY_S15_S19_S1B_T6_T7_T9_mT8_S1D_bDpT10_ENKUlT_T0_E_clISt17integral_constantIbLb1EES1R_EEDaS1M_S1N_EUlS1M_E_NS1_11comp_targetILNS1_3genE5ELNS1_11target_archE942ELNS1_3gpuE9ELNS1_3repE0EEENS1_30default_config_static_selectorELNS0_4arch9wavefront6targetE0EEEvSZ_,comdat
.Lfunc_end746:
	.size	_ZN7rocprim17ROCPRIM_400000_NS6detail17trampoline_kernelINS0_13select_configILj256ELj13ELNS0_17block_load_methodE3ELS4_3ELS4_3ELNS0_20block_scan_algorithmE0ELj4294967295EEENS1_25partition_config_selectorILNS1_17partition_subalgoE4EjNS0_10empty_typeEbEEZZNS1_14partition_implILS8_4ELb0ES6_15HIP_vector_typeIjLj2EENS0_17counting_iteratorIjlEEPS9_SG_NS0_5tupleIJPjSI_NS0_16reverse_iteratorISI_EEEEENSH_IJSG_SG_SG_EEES9_SI_JZNS1_25segmented_radix_sort_implINS0_14default_configELb0EPKlPlSQ_SR_N2at6native12_GLOBAL__N_18offset_tEEE10hipError_tPvRmT1_PNSt15iterator_traitsISZ_E10value_typeET2_T3_PNS10_IS15_E10value_typeET4_jRbjT5_S1B_jjP12ihipStream_tbEUljE_ZNSN_ISO_Lb0ESQ_SR_SQ_SR_SV_EESW_SX_SY_SZ_S13_S14_S15_S18_S19_jS1A_jS1B_S1B_jjS1D_bEUljE0_EEESW_SX_SY_S15_S19_S1B_T6_T7_T9_mT8_S1D_bDpT10_ENKUlT_T0_E_clISt17integral_constantIbLb1EES1R_EEDaS1M_S1N_EUlS1M_E_NS1_11comp_targetILNS1_3genE5ELNS1_11target_archE942ELNS1_3gpuE9ELNS1_3repE0EEENS1_30default_config_static_selectorELNS0_4arch9wavefront6targetE0EEEvSZ_, .Lfunc_end746-_ZN7rocprim17ROCPRIM_400000_NS6detail17trampoline_kernelINS0_13select_configILj256ELj13ELNS0_17block_load_methodE3ELS4_3ELS4_3ELNS0_20block_scan_algorithmE0ELj4294967295EEENS1_25partition_config_selectorILNS1_17partition_subalgoE4EjNS0_10empty_typeEbEEZZNS1_14partition_implILS8_4ELb0ES6_15HIP_vector_typeIjLj2EENS0_17counting_iteratorIjlEEPS9_SG_NS0_5tupleIJPjSI_NS0_16reverse_iteratorISI_EEEEENSH_IJSG_SG_SG_EEES9_SI_JZNS1_25segmented_radix_sort_implINS0_14default_configELb0EPKlPlSQ_SR_N2at6native12_GLOBAL__N_18offset_tEEE10hipError_tPvRmT1_PNSt15iterator_traitsISZ_E10value_typeET2_T3_PNS10_IS15_E10value_typeET4_jRbjT5_S1B_jjP12ihipStream_tbEUljE_ZNSN_ISO_Lb0ESQ_SR_SQ_SR_SV_EESW_SX_SY_SZ_S13_S14_S15_S18_S19_jS1A_jS1B_S1B_jjS1D_bEUljE0_EEESW_SX_SY_S15_S19_S1B_T6_T7_T9_mT8_S1D_bDpT10_ENKUlT_T0_E_clISt17integral_constantIbLb1EES1R_EEDaS1M_S1N_EUlS1M_E_NS1_11comp_targetILNS1_3genE5ELNS1_11target_archE942ELNS1_3gpuE9ELNS1_3repE0EEENS1_30default_config_static_selectorELNS0_4arch9wavefront6targetE0EEEvSZ_
                                        ; -- End function
	.set _ZN7rocprim17ROCPRIM_400000_NS6detail17trampoline_kernelINS0_13select_configILj256ELj13ELNS0_17block_load_methodE3ELS4_3ELS4_3ELNS0_20block_scan_algorithmE0ELj4294967295EEENS1_25partition_config_selectorILNS1_17partition_subalgoE4EjNS0_10empty_typeEbEEZZNS1_14partition_implILS8_4ELb0ES6_15HIP_vector_typeIjLj2EENS0_17counting_iteratorIjlEEPS9_SG_NS0_5tupleIJPjSI_NS0_16reverse_iteratorISI_EEEEENSH_IJSG_SG_SG_EEES9_SI_JZNS1_25segmented_radix_sort_implINS0_14default_configELb0EPKlPlSQ_SR_N2at6native12_GLOBAL__N_18offset_tEEE10hipError_tPvRmT1_PNSt15iterator_traitsISZ_E10value_typeET2_T3_PNS10_IS15_E10value_typeET4_jRbjT5_S1B_jjP12ihipStream_tbEUljE_ZNSN_ISO_Lb0ESQ_SR_SQ_SR_SV_EESW_SX_SY_SZ_S13_S14_S15_S18_S19_jS1A_jS1B_S1B_jjS1D_bEUljE0_EEESW_SX_SY_S15_S19_S1B_T6_T7_T9_mT8_S1D_bDpT10_ENKUlT_T0_E_clISt17integral_constantIbLb1EES1R_EEDaS1M_S1N_EUlS1M_E_NS1_11comp_targetILNS1_3genE5ELNS1_11target_archE942ELNS1_3gpuE9ELNS1_3repE0EEENS1_30default_config_static_selectorELNS0_4arch9wavefront6targetE0EEEvSZ_.num_vgpr, 0
	.set _ZN7rocprim17ROCPRIM_400000_NS6detail17trampoline_kernelINS0_13select_configILj256ELj13ELNS0_17block_load_methodE3ELS4_3ELS4_3ELNS0_20block_scan_algorithmE0ELj4294967295EEENS1_25partition_config_selectorILNS1_17partition_subalgoE4EjNS0_10empty_typeEbEEZZNS1_14partition_implILS8_4ELb0ES6_15HIP_vector_typeIjLj2EENS0_17counting_iteratorIjlEEPS9_SG_NS0_5tupleIJPjSI_NS0_16reverse_iteratorISI_EEEEENSH_IJSG_SG_SG_EEES9_SI_JZNS1_25segmented_radix_sort_implINS0_14default_configELb0EPKlPlSQ_SR_N2at6native12_GLOBAL__N_18offset_tEEE10hipError_tPvRmT1_PNSt15iterator_traitsISZ_E10value_typeET2_T3_PNS10_IS15_E10value_typeET4_jRbjT5_S1B_jjP12ihipStream_tbEUljE_ZNSN_ISO_Lb0ESQ_SR_SQ_SR_SV_EESW_SX_SY_SZ_S13_S14_S15_S18_S19_jS1A_jS1B_S1B_jjS1D_bEUljE0_EEESW_SX_SY_S15_S19_S1B_T6_T7_T9_mT8_S1D_bDpT10_ENKUlT_T0_E_clISt17integral_constantIbLb1EES1R_EEDaS1M_S1N_EUlS1M_E_NS1_11comp_targetILNS1_3genE5ELNS1_11target_archE942ELNS1_3gpuE9ELNS1_3repE0EEENS1_30default_config_static_selectorELNS0_4arch9wavefront6targetE0EEEvSZ_.num_agpr, 0
	.set _ZN7rocprim17ROCPRIM_400000_NS6detail17trampoline_kernelINS0_13select_configILj256ELj13ELNS0_17block_load_methodE3ELS4_3ELS4_3ELNS0_20block_scan_algorithmE0ELj4294967295EEENS1_25partition_config_selectorILNS1_17partition_subalgoE4EjNS0_10empty_typeEbEEZZNS1_14partition_implILS8_4ELb0ES6_15HIP_vector_typeIjLj2EENS0_17counting_iteratorIjlEEPS9_SG_NS0_5tupleIJPjSI_NS0_16reverse_iteratorISI_EEEEENSH_IJSG_SG_SG_EEES9_SI_JZNS1_25segmented_radix_sort_implINS0_14default_configELb0EPKlPlSQ_SR_N2at6native12_GLOBAL__N_18offset_tEEE10hipError_tPvRmT1_PNSt15iterator_traitsISZ_E10value_typeET2_T3_PNS10_IS15_E10value_typeET4_jRbjT5_S1B_jjP12ihipStream_tbEUljE_ZNSN_ISO_Lb0ESQ_SR_SQ_SR_SV_EESW_SX_SY_SZ_S13_S14_S15_S18_S19_jS1A_jS1B_S1B_jjS1D_bEUljE0_EEESW_SX_SY_S15_S19_S1B_T6_T7_T9_mT8_S1D_bDpT10_ENKUlT_T0_E_clISt17integral_constantIbLb1EES1R_EEDaS1M_S1N_EUlS1M_E_NS1_11comp_targetILNS1_3genE5ELNS1_11target_archE942ELNS1_3gpuE9ELNS1_3repE0EEENS1_30default_config_static_selectorELNS0_4arch9wavefront6targetE0EEEvSZ_.numbered_sgpr, 0
	.set _ZN7rocprim17ROCPRIM_400000_NS6detail17trampoline_kernelINS0_13select_configILj256ELj13ELNS0_17block_load_methodE3ELS4_3ELS4_3ELNS0_20block_scan_algorithmE0ELj4294967295EEENS1_25partition_config_selectorILNS1_17partition_subalgoE4EjNS0_10empty_typeEbEEZZNS1_14partition_implILS8_4ELb0ES6_15HIP_vector_typeIjLj2EENS0_17counting_iteratorIjlEEPS9_SG_NS0_5tupleIJPjSI_NS0_16reverse_iteratorISI_EEEEENSH_IJSG_SG_SG_EEES9_SI_JZNS1_25segmented_radix_sort_implINS0_14default_configELb0EPKlPlSQ_SR_N2at6native12_GLOBAL__N_18offset_tEEE10hipError_tPvRmT1_PNSt15iterator_traitsISZ_E10value_typeET2_T3_PNS10_IS15_E10value_typeET4_jRbjT5_S1B_jjP12ihipStream_tbEUljE_ZNSN_ISO_Lb0ESQ_SR_SQ_SR_SV_EESW_SX_SY_SZ_S13_S14_S15_S18_S19_jS1A_jS1B_S1B_jjS1D_bEUljE0_EEESW_SX_SY_S15_S19_S1B_T6_T7_T9_mT8_S1D_bDpT10_ENKUlT_T0_E_clISt17integral_constantIbLb1EES1R_EEDaS1M_S1N_EUlS1M_E_NS1_11comp_targetILNS1_3genE5ELNS1_11target_archE942ELNS1_3gpuE9ELNS1_3repE0EEENS1_30default_config_static_selectorELNS0_4arch9wavefront6targetE0EEEvSZ_.num_named_barrier, 0
	.set _ZN7rocprim17ROCPRIM_400000_NS6detail17trampoline_kernelINS0_13select_configILj256ELj13ELNS0_17block_load_methodE3ELS4_3ELS4_3ELNS0_20block_scan_algorithmE0ELj4294967295EEENS1_25partition_config_selectorILNS1_17partition_subalgoE4EjNS0_10empty_typeEbEEZZNS1_14partition_implILS8_4ELb0ES6_15HIP_vector_typeIjLj2EENS0_17counting_iteratorIjlEEPS9_SG_NS0_5tupleIJPjSI_NS0_16reverse_iteratorISI_EEEEENSH_IJSG_SG_SG_EEES9_SI_JZNS1_25segmented_radix_sort_implINS0_14default_configELb0EPKlPlSQ_SR_N2at6native12_GLOBAL__N_18offset_tEEE10hipError_tPvRmT1_PNSt15iterator_traitsISZ_E10value_typeET2_T3_PNS10_IS15_E10value_typeET4_jRbjT5_S1B_jjP12ihipStream_tbEUljE_ZNSN_ISO_Lb0ESQ_SR_SQ_SR_SV_EESW_SX_SY_SZ_S13_S14_S15_S18_S19_jS1A_jS1B_S1B_jjS1D_bEUljE0_EEESW_SX_SY_S15_S19_S1B_T6_T7_T9_mT8_S1D_bDpT10_ENKUlT_T0_E_clISt17integral_constantIbLb1EES1R_EEDaS1M_S1N_EUlS1M_E_NS1_11comp_targetILNS1_3genE5ELNS1_11target_archE942ELNS1_3gpuE9ELNS1_3repE0EEENS1_30default_config_static_selectorELNS0_4arch9wavefront6targetE0EEEvSZ_.private_seg_size, 0
	.set _ZN7rocprim17ROCPRIM_400000_NS6detail17trampoline_kernelINS0_13select_configILj256ELj13ELNS0_17block_load_methodE3ELS4_3ELS4_3ELNS0_20block_scan_algorithmE0ELj4294967295EEENS1_25partition_config_selectorILNS1_17partition_subalgoE4EjNS0_10empty_typeEbEEZZNS1_14partition_implILS8_4ELb0ES6_15HIP_vector_typeIjLj2EENS0_17counting_iteratorIjlEEPS9_SG_NS0_5tupleIJPjSI_NS0_16reverse_iteratorISI_EEEEENSH_IJSG_SG_SG_EEES9_SI_JZNS1_25segmented_radix_sort_implINS0_14default_configELb0EPKlPlSQ_SR_N2at6native12_GLOBAL__N_18offset_tEEE10hipError_tPvRmT1_PNSt15iterator_traitsISZ_E10value_typeET2_T3_PNS10_IS15_E10value_typeET4_jRbjT5_S1B_jjP12ihipStream_tbEUljE_ZNSN_ISO_Lb0ESQ_SR_SQ_SR_SV_EESW_SX_SY_SZ_S13_S14_S15_S18_S19_jS1A_jS1B_S1B_jjS1D_bEUljE0_EEESW_SX_SY_S15_S19_S1B_T6_T7_T9_mT8_S1D_bDpT10_ENKUlT_T0_E_clISt17integral_constantIbLb1EES1R_EEDaS1M_S1N_EUlS1M_E_NS1_11comp_targetILNS1_3genE5ELNS1_11target_archE942ELNS1_3gpuE9ELNS1_3repE0EEENS1_30default_config_static_selectorELNS0_4arch9wavefront6targetE0EEEvSZ_.uses_vcc, 0
	.set _ZN7rocprim17ROCPRIM_400000_NS6detail17trampoline_kernelINS0_13select_configILj256ELj13ELNS0_17block_load_methodE3ELS4_3ELS4_3ELNS0_20block_scan_algorithmE0ELj4294967295EEENS1_25partition_config_selectorILNS1_17partition_subalgoE4EjNS0_10empty_typeEbEEZZNS1_14partition_implILS8_4ELb0ES6_15HIP_vector_typeIjLj2EENS0_17counting_iteratorIjlEEPS9_SG_NS0_5tupleIJPjSI_NS0_16reverse_iteratorISI_EEEEENSH_IJSG_SG_SG_EEES9_SI_JZNS1_25segmented_radix_sort_implINS0_14default_configELb0EPKlPlSQ_SR_N2at6native12_GLOBAL__N_18offset_tEEE10hipError_tPvRmT1_PNSt15iterator_traitsISZ_E10value_typeET2_T3_PNS10_IS15_E10value_typeET4_jRbjT5_S1B_jjP12ihipStream_tbEUljE_ZNSN_ISO_Lb0ESQ_SR_SQ_SR_SV_EESW_SX_SY_SZ_S13_S14_S15_S18_S19_jS1A_jS1B_S1B_jjS1D_bEUljE0_EEESW_SX_SY_S15_S19_S1B_T6_T7_T9_mT8_S1D_bDpT10_ENKUlT_T0_E_clISt17integral_constantIbLb1EES1R_EEDaS1M_S1N_EUlS1M_E_NS1_11comp_targetILNS1_3genE5ELNS1_11target_archE942ELNS1_3gpuE9ELNS1_3repE0EEENS1_30default_config_static_selectorELNS0_4arch9wavefront6targetE0EEEvSZ_.uses_flat_scratch, 0
	.set _ZN7rocprim17ROCPRIM_400000_NS6detail17trampoline_kernelINS0_13select_configILj256ELj13ELNS0_17block_load_methodE3ELS4_3ELS4_3ELNS0_20block_scan_algorithmE0ELj4294967295EEENS1_25partition_config_selectorILNS1_17partition_subalgoE4EjNS0_10empty_typeEbEEZZNS1_14partition_implILS8_4ELb0ES6_15HIP_vector_typeIjLj2EENS0_17counting_iteratorIjlEEPS9_SG_NS0_5tupleIJPjSI_NS0_16reverse_iteratorISI_EEEEENSH_IJSG_SG_SG_EEES9_SI_JZNS1_25segmented_radix_sort_implINS0_14default_configELb0EPKlPlSQ_SR_N2at6native12_GLOBAL__N_18offset_tEEE10hipError_tPvRmT1_PNSt15iterator_traitsISZ_E10value_typeET2_T3_PNS10_IS15_E10value_typeET4_jRbjT5_S1B_jjP12ihipStream_tbEUljE_ZNSN_ISO_Lb0ESQ_SR_SQ_SR_SV_EESW_SX_SY_SZ_S13_S14_S15_S18_S19_jS1A_jS1B_S1B_jjS1D_bEUljE0_EEESW_SX_SY_S15_S19_S1B_T6_T7_T9_mT8_S1D_bDpT10_ENKUlT_T0_E_clISt17integral_constantIbLb1EES1R_EEDaS1M_S1N_EUlS1M_E_NS1_11comp_targetILNS1_3genE5ELNS1_11target_archE942ELNS1_3gpuE9ELNS1_3repE0EEENS1_30default_config_static_selectorELNS0_4arch9wavefront6targetE0EEEvSZ_.has_dyn_sized_stack, 0
	.set _ZN7rocprim17ROCPRIM_400000_NS6detail17trampoline_kernelINS0_13select_configILj256ELj13ELNS0_17block_load_methodE3ELS4_3ELS4_3ELNS0_20block_scan_algorithmE0ELj4294967295EEENS1_25partition_config_selectorILNS1_17partition_subalgoE4EjNS0_10empty_typeEbEEZZNS1_14partition_implILS8_4ELb0ES6_15HIP_vector_typeIjLj2EENS0_17counting_iteratorIjlEEPS9_SG_NS0_5tupleIJPjSI_NS0_16reverse_iteratorISI_EEEEENSH_IJSG_SG_SG_EEES9_SI_JZNS1_25segmented_radix_sort_implINS0_14default_configELb0EPKlPlSQ_SR_N2at6native12_GLOBAL__N_18offset_tEEE10hipError_tPvRmT1_PNSt15iterator_traitsISZ_E10value_typeET2_T3_PNS10_IS15_E10value_typeET4_jRbjT5_S1B_jjP12ihipStream_tbEUljE_ZNSN_ISO_Lb0ESQ_SR_SQ_SR_SV_EESW_SX_SY_SZ_S13_S14_S15_S18_S19_jS1A_jS1B_S1B_jjS1D_bEUljE0_EEESW_SX_SY_S15_S19_S1B_T6_T7_T9_mT8_S1D_bDpT10_ENKUlT_T0_E_clISt17integral_constantIbLb1EES1R_EEDaS1M_S1N_EUlS1M_E_NS1_11comp_targetILNS1_3genE5ELNS1_11target_archE942ELNS1_3gpuE9ELNS1_3repE0EEENS1_30default_config_static_selectorELNS0_4arch9wavefront6targetE0EEEvSZ_.has_recursion, 0
	.set _ZN7rocprim17ROCPRIM_400000_NS6detail17trampoline_kernelINS0_13select_configILj256ELj13ELNS0_17block_load_methodE3ELS4_3ELS4_3ELNS0_20block_scan_algorithmE0ELj4294967295EEENS1_25partition_config_selectorILNS1_17partition_subalgoE4EjNS0_10empty_typeEbEEZZNS1_14partition_implILS8_4ELb0ES6_15HIP_vector_typeIjLj2EENS0_17counting_iteratorIjlEEPS9_SG_NS0_5tupleIJPjSI_NS0_16reverse_iteratorISI_EEEEENSH_IJSG_SG_SG_EEES9_SI_JZNS1_25segmented_radix_sort_implINS0_14default_configELb0EPKlPlSQ_SR_N2at6native12_GLOBAL__N_18offset_tEEE10hipError_tPvRmT1_PNSt15iterator_traitsISZ_E10value_typeET2_T3_PNS10_IS15_E10value_typeET4_jRbjT5_S1B_jjP12ihipStream_tbEUljE_ZNSN_ISO_Lb0ESQ_SR_SQ_SR_SV_EESW_SX_SY_SZ_S13_S14_S15_S18_S19_jS1A_jS1B_S1B_jjS1D_bEUljE0_EEESW_SX_SY_S15_S19_S1B_T6_T7_T9_mT8_S1D_bDpT10_ENKUlT_T0_E_clISt17integral_constantIbLb1EES1R_EEDaS1M_S1N_EUlS1M_E_NS1_11comp_targetILNS1_3genE5ELNS1_11target_archE942ELNS1_3gpuE9ELNS1_3repE0EEENS1_30default_config_static_selectorELNS0_4arch9wavefront6targetE0EEEvSZ_.has_indirect_call, 0
	.section	.AMDGPU.csdata,"",@progbits
; Kernel info:
; codeLenInByte = 0
; TotalNumSgprs: 0
; NumVgprs: 0
; ScratchSize: 0
; MemoryBound: 0
; FloatMode: 240
; IeeeMode: 1
; LDSByteSize: 0 bytes/workgroup (compile time only)
; SGPRBlocks: 0
; VGPRBlocks: 0
; NumSGPRsForWavesPerEU: 1
; NumVGPRsForWavesPerEU: 1
; Occupancy: 16
; WaveLimiterHint : 0
; COMPUTE_PGM_RSRC2:SCRATCH_EN: 0
; COMPUTE_PGM_RSRC2:USER_SGPR: 6
; COMPUTE_PGM_RSRC2:TRAP_HANDLER: 0
; COMPUTE_PGM_RSRC2:TGID_X_EN: 1
; COMPUTE_PGM_RSRC2:TGID_Y_EN: 0
; COMPUTE_PGM_RSRC2:TGID_Z_EN: 0
; COMPUTE_PGM_RSRC2:TIDIG_COMP_CNT: 0
	.section	.text._ZN7rocprim17ROCPRIM_400000_NS6detail17trampoline_kernelINS0_13select_configILj256ELj13ELNS0_17block_load_methodE3ELS4_3ELS4_3ELNS0_20block_scan_algorithmE0ELj4294967295EEENS1_25partition_config_selectorILNS1_17partition_subalgoE4EjNS0_10empty_typeEbEEZZNS1_14partition_implILS8_4ELb0ES6_15HIP_vector_typeIjLj2EENS0_17counting_iteratorIjlEEPS9_SG_NS0_5tupleIJPjSI_NS0_16reverse_iteratorISI_EEEEENSH_IJSG_SG_SG_EEES9_SI_JZNS1_25segmented_radix_sort_implINS0_14default_configELb0EPKlPlSQ_SR_N2at6native12_GLOBAL__N_18offset_tEEE10hipError_tPvRmT1_PNSt15iterator_traitsISZ_E10value_typeET2_T3_PNS10_IS15_E10value_typeET4_jRbjT5_S1B_jjP12ihipStream_tbEUljE_ZNSN_ISO_Lb0ESQ_SR_SQ_SR_SV_EESW_SX_SY_SZ_S13_S14_S15_S18_S19_jS1A_jS1B_S1B_jjS1D_bEUljE0_EEESW_SX_SY_S15_S19_S1B_T6_T7_T9_mT8_S1D_bDpT10_ENKUlT_T0_E_clISt17integral_constantIbLb1EES1R_EEDaS1M_S1N_EUlS1M_E_NS1_11comp_targetILNS1_3genE4ELNS1_11target_archE910ELNS1_3gpuE8ELNS1_3repE0EEENS1_30default_config_static_selectorELNS0_4arch9wavefront6targetE0EEEvSZ_,"axG",@progbits,_ZN7rocprim17ROCPRIM_400000_NS6detail17trampoline_kernelINS0_13select_configILj256ELj13ELNS0_17block_load_methodE3ELS4_3ELS4_3ELNS0_20block_scan_algorithmE0ELj4294967295EEENS1_25partition_config_selectorILNS1_17partition_subalgoE4EjNS0_10empty_typeEbEEZZNS1_14partition_implILS8_4ELb0ES6_15HIP_vector_typeIjLj2EENS0_17counting_iteratorIjlEEPS9_SG_NS0_5tupleIJPjSI_NS0_16reverse_iteratorISI_EEEEENSH_IJSG_SG_SG_EEES9_SI_JZNS1_25segmented_radix_sort_implINS0_14default_configELb0EPKlPlSQ_SR_N2at6native12_GLOBAL__N_18offset_tEEE10hipError_tPvRmT1_PNSt15iterator_traitsISZ_E10value_typeET2_T3_PNS10_IS15_E10value_typeET4_jRbjT5_S1B_jjP12ihipStream_tbEUljE_ZNSN_ISO_Lb0ESQ_SR_SQ_SR_SV_EESW_SX_SY_SZ_S13_S14_S15_S18_S19_jS1A_jS1B_S1B_jjS1D_bEUljE0_EEESW_SX_SY_S15_S19_S1B_T6_T7_T9_mT8_S1D_bDpT10_ENKUlT_T0_E_clISt17integral_constantIbLb1EES1R_EEDaS1M_S1N_EUlS1M_E_NS1_11comp_targetILNS1_3genE4ELNS1_11target_archE910ELNS1_3gpuE8ELNS1_3repE0EEENS1_30default_config_static_selectorELNS0_4arch9wavefront6targetE0EEEvSZ_,comdat
	.globl	_ZN7rocprim17ROCPRIM_400000_NS6detail17trampoline_kernelINS0_13select_configILj256ELj13ELNS0_17block_load_methodE3ELS4_3ELS4_3ELNS0_20block_scan_algorithmE0ELj4294967295EEENS1_25partition_config_selectorILNS1_17partition_subalgoE4EjNS0_10empty_typeEbEEZZNS1_14partition_implILS8_4ELb0ES6_15HIP_vector_typeIjLj2EENS0_17counting_iteratorIjlEEPS9_SG_NS0_5tupleIJPjSI_NS0_16reverse_iteratorISI_EEEEENSH_IJSG_SG_SG_EEES9_SI_JZNS1_25segmented_radix_sort_implINS0_14default_configELb0EPKlPlSQ_SR_N2at6native12_GLOBAL__N_18offset_tEEE10hipError_tPvRmT1_PNSt15iterator_traitsISZ_E10value_typeET2_T3_PNS10_IS15_E10value_typeET4_jRbjT5_S1B_jjP12ihipStream_tbEUljE_ZNSN_ISO_Lb0ESQ_SR_SQ_SR_SV_EESW_SX_SY_SZ_S13_S14_S15_S18_S19_jS1A_jS1B_S1B_jjS1D_bEUljE0_EEESW_SX_SY_S15_S19_S1B_T6_T7_T9_mT8_S1D_bDpT10_ENKUlT_T0_E_clISt17integral_constantIbLb1EES1R_EEDaS1M_S1N_EUlS1M_E_NS1_11comp_targetILNS1_3genE4ELNS1_11target_archE910ELNS1_3gpuE8ELNS1_3repE0EEENS1_30default_config_static_selectorELNS0_4arch9wavefront6targetE0EEEvSZ_ ; -- Begin function _ZN7rocprim17ROCPRIM_400000_NS6detail17trampoline_kernelINS0_13select_configILj256ELj13ELNS0_17block_load_methodE3ELS4_3ELS4_3ELNS0_20block_scan_algorithmE0ELj4294967295EEENS1_25partition_config_selectorILNS1_17partition_subalgoE4EjNS0_10empty_typeEbEEZZNS1_14partition_implILS8_4ELb0ES6_15HIP_vector_typeIjLj2EENS0_17counting_iteratorIjlEEPS9_SG_NS0_5tupleIJPjSI_NS0_16reverse_iteratorISI_EEEEENSH_IJSG_SG_SG_EEES9_SI_JZNS1_25segmented_radix_sort_implINS0_14default_configELb0EPKlPlSQ_SR_N2at6native12_GLOBAL__N_18offset_tEEE10hipError_tPvRmT1_PNSt15iterator_traitsISZ_E10value_typeET2_T3_PNS10_IS15_E10value_typeET4_jRbjT5_S1B_jjP12ihipStream_tbEUljE_ZNSN_ISO_Lb0ESQ_SR_SQ_SR_SV_EESW_SX_SY_SZ_S13_S14_S15_S18_S19_jS1A_jS1B_S1B_jjS1D_bEUljE0_EEESW_SX_SY_S15_S19_S1B_T6_T7_T9_mT8_S1D_bDpT10_ENKUlT_T0_E_clISt17integral_constantIbLb1EES1R_EEDaS1M_S1N_EUlS1M_E_NS1_11comp_targetILNS1_3genE4ELNS1_11target_archE910ELNS1_3gpuE8ELNS1_3repE0EEENS1_30default_config_static_selectorELNS0_4arch9wavefront6targetE0EEEvSZ_
	.p2align	8
	.type	_ZN7rocprim17ROCPRIM_400000_NS6detail17trampoline_kernelINS0_13select_configILj256ELj13ELNS0_17block_load_methodE3ELS4_3ELS4_3ELNS0_20block_scan_algorithmE0ELj4294967295EEENS1_25partition_config_selectorILNS1_17partition_subalgoE4EjNS0_10empty_typeEbEEZZNS1_14partition_implILS8_4ELb0ES6_15HIP_vector_typeIjLj2EENS0_17counting_iteratorIjlEEPS9_SG_NS0_5tupleIJPjSI_NS0_16reverse_iteratorISI_EEEEENSH_IJSG_SG_SG_EEES9_SI_JZNS1_25segmented_radix_sort_implINS0_14default_configELb0EPKlPlSQ_SR_N2at6native12_GLOBAL__N_18offset_tEEE10hipError_tPvRmT1_PNSt15iterator_traitsISZ_E10value_typeET2_T3_PNS10_IS15_E10value_typeET4_jRbjT5_S1B_jjP12ihipStream_tbEUljE_ZNSN_ISO_Lb0ESQ_SR_SQ_SR_SV_EESW_SX_SY_SZ_S13_S14_S15_S18_S19_jS1A_jS1B_S1B_jjS1D_bEUljE0_EEESW_SX_SY_S15_S19_S1B_T6_T7_T9_mT8_S1D_bDpT10_ENKUlT_T0_E_clISt17integral_constantIbLb1EES1R_EEDaS1M_S1N_EUlS1M_E_NS1_11comp_targetILNS1_3genE4ELNS1_11target_archE910ELNS1_3gpuE8ELNS1_3repE0EEENS1_30default_config_static_selectorELNS0_4arch9wavefront6targetE0EEEvSZ_,@function
_ZN7rocprim17ROCPRIM_400000_NS6detail17trampoline_kernelINS0_13select_configILj256ELj13ELNS0_17block_load_methodE3ELS4_3ELS4_3ELNS0_20block_scan_algorithmE0ELj4294967295EEENS1_25partition_config_selectorILNS1_17partition_subalgoE4EjNS0_10empty_typeEbEEZZNS1_14partition_implILS8_4ELb0ES6_15HIP_vector_typeIjLj2EENS0_17counting_iteratorIjlEEPS9_SG_NS0_5tupleIJPjSI_NS0_16reverse_iteratorISI_EEEEENSH_IJSG_SG_SG_EEES9_SI_JZNS1_25segmented_radix_sort_implINS0_14default_configELb0EPKlPlSQ_SR_N2at6native12_GLOBAL__N_18offset_tEEE10hipError_tPvRmT1_PNSt15iterator_traitsISZ_E10value_typeET2_T3_PNS10_IS15_E10value_typeET4_jRbjT5_S1B_jjP12ihipStream_tbEUljE_ZNSN_ISO_Lb0ESQ_SR_SQ_SR_SV_EESW_SX_SY_SZ_S13_S14_S15_S18_S19_jS1A_jS1B_S1B_jjS1D_bEUljE0_EEESW_SX_SY_S15_S19_S1B_T6_T7_T9_mT8_S1D_bDpT10_ENKUlT_T0_E_clISt17integral_constantIbLb1EES1R_EEDaS1M_S1N_EUlS1M_E_NS1_11comp_targetILNS1_3genE4ELNS1_11target_archE910ELNS1_3gpuE8ELNS1_3repE0EEENS1_30default_config_static_selectorELNS0_4arch9wavefront6targetE0EEEvSZ_: ; @_ZN7rocprim17ROCPRIM_400000_NS6detail17trampoline_kernelINS0_13select_configILj256ELj13ELNS0_17block_load_methodE3ELS4_3ELS4_3ELNS0_20block_scan_algorithmE0ELj4294967295EEENS1_25partition_config_selectorILNS1_17partition_subalgoE4EjNS0_10empty_typeEbEEZZNS1_14partition_implILS8_4ELb0ES6_15HIP_vector_typeIjLj2EENS0_17counting_iteratorIjlEEPS9_SG_NS0_5tupleIJPjSI_NS0_16reverse_iteratorISI_EEEEENSH_IJSG_SG_SG_EEES9_SI_JZNS1_25segmented_radix_sort_implINS0_14default_configELb0EPKlPlSQ_SR_N2at6native12_GLOBAL__N_18offset_tEEE10hipError_tPvRmT1_PNSt15iterator_traitsISZ_E10value_typeET2_T3_PNS10_IS15_E10value_typeET4_jRbjT5_S1B_jjP12ihipStream_tbEUljE_ZNSN_ISO_Lb0ESQ_SR_SQ_SR_SV_EESW_SX_SY_SZ_S13_S14_S15_S18_S19_jS1A_jS1B_S1B_jjS1D_bEUljE0_EEESW_SX_SY_S15_S19_S1B_T6_T7_T9_mT8_S1D_bDpT10_ENKUlT_T0_E_clISt17integral_constantIbLb1EES1R_EEDaS1M_S1N_EUlS1M_E_NS1_11comp_targetILNS1_3genE4ELNS1_11target_archE910ELNS1_3gpuE8ELNS1_3repE0EEENS1_30default_config_static_selectorELNS0_4arch9wavefront6targetE0EEEvSZ_
; %bb.0:
	.section	.rodata,"a",@progbits
	.p2align	6, 0x0
	.amdhsa_kernel _ZN7rocprim17ROCPRIM_400000_NS6detail17trampoline_kernelINS0_13select_configILj256ELj13ELNS0_17block_load_methodE3ELS4_3ELS4_3ELNS0_20block_scan_algorithmE0ELj4294967295EEENS1_25partition_config_selectorILNS1_17partition_subalgoE4EjNS0_10empty_typeEbEEZZNS1_14partition_implILS8_4ELb0ES6_15HIP_vector_typeIjLj2EENS0_17counting_iteratorIjlEEPS9_SG_NS0_5tupleIJPjSI_NS0_16reverse_iteratorISI_EEEEENSH_IJSG_SG_SG_EEES9_SI_JZNS1_25segmented_radix_sort_implINS0_14default_configELb0EPKlPlSQ_SR_N2at6native12_GLOBAL__N_18offset_tEEE10hipError_tPvRmT1_PNSt15iterator_traitsISZ_E10value_typeET2_T3_PNS10_IS15_E10value_typeET4_jRbjT5_S1B_jjP12ihipStream_tbEUljE_ZNSN_ISO_Lb0ESQ_SR_SQ_SR_SV_EESW_SX_SY_SZ_S13_S14_S15_S18_S19_jS1A_jS1B_S1B_jjS1D_bEUljE0_EEESW_SX_SY_S15_S19_S1B_T6_T7_T9_mT8_S1D_bDpT10_ENKUlT_T0_E_clISt17integral_constantIbLb1EES1R_EEDaS1M_S1N_EUlS1M_E_NS1_11comp_targetILNS1_3genE4ELNS1_11target_archE910ELNS1_3gpuE8ELNS1_3repE0EEENS1_30default_config_static_selectorELNS0_4arch9wavefront6targetE0EEEvSZ_
		.amdhsa_group_segment_fixed_size 0
		.amdhsa_private_segment_fixed_size 0
		.amdhsa_kernarg_size 184
		.amdhsa_user_sgpr_count 6
		.amdhsa_user_sgpr_private_segment_buffer 1
		.amdhsa_user_sgpr_dispatch_ptr 0
		.amdhsa_user_sgpr_queue_ptr 0
		.amdhsa_user_sgpr_kernarg_segment_ptr 1
		.amdhsa_user_sgpr_dispatch_id 0
		.amdhsa_user_sgpr_flat_scratch_init 0
		.amdhsa_user_sgpr_private_segment_size 0
		.amdhsa_wavefront_size32 1
		.amdhsa_uses_dynamic_stack 0
		.amdhsa_system_sgpr_private_segment_wavefront_offset 0
		.amdhsa_system_sgpr_workgroup_id_x 1
		.amdhsa_system_sgpr_workgroup_id_y 0
		.amdhsa_system_sgpr_workgroup_id_z 0
		.amdhsa_system_sgpr_workgroup_info 0
		.amdhsa_system_vgpr_workitem_id 0
		.amdhsa_next_free_vgpr 1
		.amdhsa_next_free_sgpr 1
		.amdhsa_reserve_vcc 0
		.amdhsa_reserve_flat_scratch 0
		.amdhsa_float_round_mode_32 0
		.amdhsa_float_round_mode_16_64 0
		.amdhsa_float_denorm_mode_32 3
		.amdhsa_float_denorm_mode_16_64 3
		.amdhsa_dx10_clamp 1
		.amdhsa_ieee_mode 1
		.amdhsa_fp16_overflow 0
		.amdhsa_workgroup_processor_mode 1
		.amdhsa_memory_ordered 1
		.amdhsa_forward_progress 1
		.amdhsa_shared_vgpr_count 0
		.amdhsa_exception_fp_ieee_invalid_op 0
		.amdhsa_exception_fp_denorm_src 0
		.amdhsa_exception_fp_ieee_div_zero 0
		.amdhsa_exception_fp_ieee_overflow 0
		.amdhsa_exception_fp_ieee_underflow 0
		.amdhsa_exception_fp_ieee_inexact 0
		.amdhsa_exception_int_div_zero 0
	.end_amdhsa_kernel
	.section	.text._ZN7rocprim17ROCPRIM_400000_NS6detail17trampoline_kernelINS0_13select_configILj256ELj13ELNS0_17block_load_methodE3ELS4_3ELS4_3ELNS0_20block_scan_algorithmE0ELj4294967295EEENS1_25partition_config_selectorILNS1_17partition_subalgoE4EjNS0_10empty_typeEbEEZZNS1_14partition_implILS8_4ELb0ES6_15HIP_vector_typeIjLj2EENS0_17counting_iteratorIjlEEPS9_SG_NS0_5tupleIJPjSI_NS0_16reverse_iteratorISI_EEEEENSH_IJSG_SG_SG_EEES9_SI_JZNS1_25segmented_radix_sort_implINS0_14default_configELb0EPKlPlSQ_SR_N2at6native12_GLOBAL__N_18offset_tEEE10hipError_tPvRmT1_PNSt15iterator_traitsISZ_E10value_typeET2_T3_PNS10_IS15_E10value_typeET4_jRbjT5_S1B_jjP12ihipStream_tbEUljE_ZNSN_ISO_Lb0ESQ_SR_SQ_SR_SV_EESW_SX_SY_SZ_S13_S14_S15_S18_S19_jS1A_jS1B_S1B_jjS1D_bEUljE0_EEESW_SX_SY_S15_S19_S1B_T6_T7_T9_mT8_S1D_bDpT10_ENKUlT_T0_E_clISt17integral_constantIbLb1EES1R_EEDaS1M_S1N_EUlS1M_E_NS1_11comp_targetILNS1_3genE4ELNS1_11target_archE910ELNS1_3gpuE8ELNS1_3repE0EEENS1_30default_config_static_selectorELNS0_4arch9wavefront6targetE0EEEvSZ_,"axG",@progbits,_ZN7rocprim17ROCPRIM_400000_NS6detail17trampoline_kernelINS0_13select_configILj256ELj13ELNS0_17block_load_methodE3ELS4_3ELS4_3ELNS0_20block_scan_algorithmE0ELj4294967295EEENS1_25partition_config_selectorILNS1_17partition_subalgoE4EjNS0_10empty_typeEbEEZZNS1_14partition_implILS8_4ELb0ES6_15HIP_vector_typeIjLj2EENS0_17counting_iteratorIjlEEPS9_SG_NS0_5tupleIJPjSI_NS0_16reverse_iteratorISI_EEEEENSH_IJSG_SG_SG_EEES9_SI_JZNS1_25segmented_radix_sort_implINS0_14default_configELb0EPKlPlSQ_SR_N2at6native12_GLOBAL__N_18offset_tEEE10hipError_tPvRmT1_PNSt15iterator_traitsISZ_E10value_typeET2_T3_PNS10_IS15_E10value_typeET4_jRbjT5_S1B_jjP12ihipStream_tbEUljE_ZNSN_ISO_Lb0ESQ_SR_SQ_SR_SV_EESW_SX_SY_SZ_S13_S14_S15_S18_S19_jS1A_jS1B_S1B_jjS1D_bEUljE0_EEESW_SX_SY_S15_S19_S1B_T6_T7_T9_mT8_S1D_bDpT10_ENKUlT_T0_E_clISt17integral_constantIbLb1EES1R_EEDaS1M_S1N_EUlS1M_E_NS1_11comp_targetILNS1_3genE4ELNS1_11target_archE910ELNS1_3gpuE8ELNS1_3repE0EEENS1_30default_config_static_selectorELNS0_4arch9wavefront6targetE0EEEvSZ_,comdat
.Lfunc_end747:
	.size	_ZN7rocprim17ROCPRIM_400000_NS6detail17trampoline_kernelINS0_13select_configILj256ELj13ELNS0_17block_load_methodE3ELS4_3ELS4_3ELNS0_20block_scan_algorithmE0ELj4294967295EEENS1_25partition_config_selectorILNS1_17partition_subalgoE4EjNS0_10empty_typeEbEEZZNS1_14partition_implILS8_4ELb0ES6_15HIP_vector_typeIjLj2EENS0_17counting_iteratorIjlEEPS9_SG_NS0_5tupleIJPjSI_NS0_16reverse_iteratorISI_EEEEENSH_IJSG_SG_SG_EEES9_SI_JZNS1_25segmented_radix_sort_implINS0_14default_configELb0EPKlPlSQ_SR_N2at6native12_GLOBAL__N_18offset_tEEE10hipError_tPvRmT1_PNSt15iterator_traitsISZ_E10value_typeET2_T3_PNS10_IS15_E10value_typeET4_jRbjT5_S1B_jjP12ihipStream_tbEUljE_ZNSN_ISO_Lb0ESQ_SR_SQ_SR_SV_EESW_SX_SY_SZ_S13_S14_S15_S18_S19_jS1A_jS1B_S1B_jjS1D_bEUljE0_EEESW_SX_SY_S15_S19_S1B_T6_T7_T9_mT8_S1D_bDpT10_ENKUlT_T0_E_clISt17integral_constantIbLb1EES1R_EEDaS1M_S1N_EUlS1M_E_NS1_11comp_targetILNS1_3genE4ELNS1_11target_archE910ELNS1_3gpuE8ELNS1_3repE0EEENS1_30default_config_static_selectorELNS0_4arch9wavefront6targetE0EEEvSZ_, .Lfunc_end747-_ZN7rocprim17ROCPRIM_400000_NS6detail17trampoline_kernelINS0_13select_configILj256ELj13ELNS0_17block_load_methodE3ELS4_3ELS4_3ELNS0_20block_scan_algorithmE0ELj4294967295EEENS1_25partition_config_selectorILNS1_17partition_subalgoE4EjNS0_10empty_typeEbEEZZNS1_14partition_implILS8_4ELb0ES6_15HIP_vector_typeIjLj2EENS0_17counting_iteratorIjlEEPS9_SG_NS0_5tupleIJPjSI_NS0_16reverse_iteratorISI_EEEEENSH_IJSG_SG_SG_EEES9_SI_JZNS1_25segmented_radix_sort_implINS0_14default_configELb0EPKlPlSQ_SR_N2at6native12_GLOBAL__N_18offset_tEEE10hipError_tPvRmT1_PNSt15iterator_traitsISZ_E10value_typeET2_T3_PNS10_IS15_E10value_typeET4_jRbjT5_S1B_jjP12ihipStream_tbEUljE_ZNSN_ISO_Lb0ESQ_SR_SQ_SR_SV_EESW_SX_SY_SZ_S13_S14_S15_S18_S19_jS1A_jS1B_S1B_jjS1D_bEUljE0_EEESW_SX_SY_S15_S19_S1B_T6_T7_T9_mT8_S1D_bDpT10_ENKUlT_T0_E_clISt17integral_constantIbLb1EES1R_EEDaS1M_S1N_EUlS1M_E_NS1_11comp_targetILNS1_3genE4ELNS1_11target_archE910ELNS1_3gpuE8ELNS1_3repE0EEENS1_30default_config_static_selectorELNS0_4arch9wavefront6targetE0EEEvSZ_
                                        ; -- End function
	.set _ZN7rocprim17ROCPRIM_400000_NS6detail17trampoline_kernelINS0_13select_configILj256ELj13ELNS0_17block_load_methodE3ELS4_3ELS4_3ELNS0_20block_scan_algorithmE0ELj4294967295EEENS1_25partition_config_selectorILNS1_17partition_subalgoE4EjNS0_10empty_typeEbEEZZNS1_14partition_implILS8_4ELb0ES6_15HIP_vector_typeIjLj2EENS0_17counting_iteratorIjlEEPS9_SG_NS0_5tupleIJPjSI_NS0_16reverse_iteratorISI_EEEEENSH_IJSG_SG_SG_EEES9_SI_JZNS1_25segmented_radix_sort_implINS0_14default_configELb0EPKlPlSQ_SR_N2at6native12_GLOBAL__N_18offset_tEEE10hipError_tPvRmT1_PNSt15iterator_traitsISZ_E10value_typeET2_T3_PNS10_IS15_E10value_typeET4_jRbjT5_S1B_jjP12ihipStream_tbEUljE_ZNSN_ISO_Lb0ESQ_SR_SQ_SR_SV_EESW_SX_SY_SZ_S13_S14_S15_S18_S19_jS1A_jS1B_S1B_jjS1D_bEUljE0_EEESW_SX_SY_S15_S19_S1B_T6_T7_T9_mT8_S1D_bDpT10_ENKUlT_T0_E_clISt17integral_constantIbLb1EES1R_EEDaS1M_S1N_EUlS1M_E_NS1_11comp_targetILNS1_3genE4ELNS1_11target_archE910ELNS1_3gpuE8ELNS1_3repE0EEENS1_30default_config_static_selectorELNS0_4arch9wavefront6targetE0EEEvSZ_.num_vgpr, 0
	.set _ZN7rocprim17ROCPRIM_400000_NS6detail17trampoline_kernelINS0_13select_configILj256ELj13ELNS0_17block_load_methodE3ELS4_3ELS4_3ELNS0_20block_scan_algorithmE0ELj4294967295EEENS1_25partition_config_selectorILNS1_17partition_subalgoE4EjNS0_10empty_typeEbEEZZNS1_14partition_implILS8_4ELb0ES6_15HIP_vector_typeIjLj2EENS0_17counting_iteratorIjlEEPS9_SG_NS0_5tupleIJPjSI_NS0_16reverse_iteratorISI_EEEEENSH_IJSG_SG_SG_EEES9_SI_JZNS1_25segmented_radix_sort_implINS0_14default_configELb0EPKlPlSQ_SR_N2at6native12_GLOBAL__N_18offset_tEEE10hipError_tPvRmT1_PNSt15iterator_traitsISZ_E10value_typeET2_T3_PNS10_IS15_E10value_typeET4_jRbjT5_S1B_jjP12ihipStream_tbEUljE_ZNSN_ISO_Lb0ESQ_SR_SQ_SR_SV_EESW_SX_SY_SZ_S13_S14_S15_S18_S19_jS1A_jS1B_S1B_jjS1D_bEUljE0_EEESW_SX_SY_S15_S19_S1B_T6_T7_T9_mT8_S1D_bDpT10_ENKUlT_T0_E_clISt17integral_constantIbLb1EES1R_EEDaS1M_S1N_EUlS1M_E_NS1_11comp_targetILNS1_3genE4ELNS1_11target_archE910ELNS1_3gpuE8ELNS1_3repE0EEENS1_30default_config_static_selectorELNS0_4arch9wavefront6targetE0EEEvSZ_.num_agpr, 0
	.set _ZN7rocprim17ROCPRIM_400000_NS6detail17trampoline_kernelINS0_13select_configILj256ELj13ELNS0_17block_load_methodE3ELS4_3ELS4_3ELNS0_20block_scan_algorithmE0ELj4294967295EEENS1_25partition_config_selectorILNS1_17partition_subalgoE4EjNS0_10empty_typeEbEEZZNS1_14partition_implILS8_4ELb0ES6_15HIP_vector_typeIjLj2EENS0_17counting_iteratorIjlEEPS9_SG_NS0_5tupleIJPjSI_NS0_16reverse_iteratorISI_EEEEENSH_IJSG_SG_SG_EEES9_SI_JZNS1_25segmented_radix_sort_implINS0_14default_configELb0EPKlPlSQ_SR_N2at6native12_GLOBAL__N_18offset_tEEE10hipError_tPvRmT1_PNSt15iterator_traitsISZ_E10value_typeET2_T3_PNS10_IS15_E10value_typeET4_jRbjT5_S1B_jjP12ihipStream_tbEUljE_ZNSN_ISO_Lb0ESQ_SR_SQ_SR_SV_EESW_SX_SY_SZ_S13_S14_S15_S18_S19_jS1A_jS1B_S1B_jjS1D_bEUljE0_EEESW_SX_SY_S15_S19_S1B_T6_T7_T9_mT8_S1D_bDpT10_ENKUlT_T0_E_clISt17integral_constantIbLb1EES1R_EEDaS1M_S1N_EUlS1M_E_NS1_11comp_targetILNS1_3genE4ELNS1_11target_archE910ELNS1_3gpuE8ELNS1_3repE0EEENS1_30default_config_static_selectorELNS0_4arch9wavefront6targetE0EEEvSZ_.numbered_sgpr, 0
	.set _ZN7rocprim17ROCPRIM_400000_NS6detail17trampoline_kernelINS0_13select_configILj256ELj13ELNS0_17block_load_methodE3ELS4_3ELS4_3ELNS0_20block_scan_algorithmE0ELj4294967295EEENS1_25partition_config_selectorILNS1_17partition_subalgoE4EjNS0_10empty_typeEbEEZZNS1_14partition_implILS8_4ELb0ES6_15HIP_vector_typeIjLj2EENS0_17counting_iteratorIjlEEPS9_SG_NS0_5tupleIJPjSI_NS0_16reverse_iteratorISI_EEEEENSH_IJSG_SG_SG_EEES9_SI_JZNS1_25segmented_radix_sort_implINS0_14default_configELb0EPKlPlSQ_SR_N2at6native12_GLOBAL__N_18offset_tEEE10hipError_tPvRmT1_PNSt15iterator_traitsISZ_E10value_typeET2_T3_PNS10_IS15_E10value_typeET4_jRbjT5_S1B_jjP12ihipStream_tbEUljE_ZNSN_ISO_Lb0ESQ_SR_SQ_SR_SV_EESW_SX_SY_SZ_S13_S14_S15_S18_S19_jS1A_jS1B_S1B_jjS1D_bEUljE0_EEESW_SX_SY_S15_S19_S1B_T6_T7_T9_mT8_S1D_bDpT10_ENKUlT_T0_E_clISt17integral_constantIbLb1EES1R_EEDaS1M_S1N_EUlS1M_E_NS1_11comp_targetILNS1_3genE4ELNS1_11target_archE910ELNS1_3gpuE8ELNS1_3repE0EEENS1_30default_config_static_selectorELNS0_4arch9wavefront6targetE0EEEvSZ_.num_named_barrier, 0
	.set _ZN7rocprim17ROCPRIM_400000_NS6detail17trampoline_kernelINS0_13select_configILj256ELj13ELNS0_17block_load_methodE3ELS4_3ELS4_3ELNS0_20block_scan_algorithmE0ELj4294967295EEENS1_25partition_config_selectorILNS1_17partition_subalgoE4EjNS0_10empty_typeEbEEZZNS1_14partition_implILS8_4ELb0ES6_15HIP_vector_typeIjLj2EENS0_17counting_iteratorIjlEEPS9_SG_NS0_5tupleIJPjSI_NS0_16reverse_iteratorISI_EEEEENSH_IJSG_SG_SG_EEES9_SI_JZNS1_25segmented_radix_sort_implINS0_14default_configELb0EPKlPlSQ_SR_N2at6native12_GLOBAL__N_18offset_tEEE10hipError_tPvRmT1_PNSt15iterator_traitsISZ_E10value_typeET2_T3_PNS10_IS15_E10value_typeET4_jRbjT5_S1B_jjP12ihipStream_tbEUljE_ZNSN_ISO_Lb0ESQ_SR_SQ_SR_SV_EESW_SX_SY_SZ_S13_S14_S15_S18_S19_jS1A_jS1B_S1B_jjS1D_bEUljE0_EEESW_SX_SY_S15_S19_S1B_T6_T7_T9_mT8_S1D_bDpT10_ENKUlT_T0_E_clISt17integral_constantIbLb1EES1R_EEDaS1M_S1N_EUlS1M_E_NS1_11comp_targetILNS1_3genE4ELNS1_11target_archE910ELNS1_3gpuE8ELNS1_3repE0EEENS1_30default_config_static_selectorELNS0_4arch9wavefront6targetE0EEEvSZ_.private_seg_size, 0
	.set _ZN7rocprim17ROCPRIM_400000_NS6detail17trampoline_kernelINS0_13select_configILj256ELj13ELNS0_17block_load_methodE3ELS4_3ELS4_3ELNS0_20block_scan_algorithmE0ELj4294967295EEENS1_25partition_config_selectorILNS1_17partition_subalgoE4EjNS0_10empty_typeEbEEZZNS1_14partition_implILS8_4ELb0ES6_15HIP_vector_typeIjLj2EENS0_17counting_iteratorIjlEEPS9_SG_NS0_5tupleIJPjSI_NS0_16reverse_iteratorISI_EEEEENSH_IJSG_SG_SG_EEES9_SI_JZNS1_25segmented_radix_sort_implINS0_14default_configELb0EPKlPlSQ_SR_N2at6native12_GLOBAL__N_18offset_tEEE10hipError_tPvRmT1_PNSt15iterator_traitsISZ_E10value_typeET2_T3_PNS10_IS15_E10value_typeET4_jRbjT5_S1B_jjP12ihipStream_tbEUljE_ZNSN_ISO_Lb0ESQ_SR_SQ_SR_SV_EESW_SX_SY_SZ_S13_S14_S15_S18_S19_jS1A_jS1B_S1B_jjS1D_bEUljE0_EEESW_SX_SY_S15_S19_S1B_T6_T7_T9_mT8_S1D_bDpT10_ENKUlT_T0_E_clISt17integral_constantIbLb1EES1R_EEDaS1M_S1N_EUlS1M_E_NS1_11comp_targetILNS1_3genE4ELNS1_11target_archE910ELNS1_3gpuE8ELNS1_3repE0EEENS1_30default_config_static_selectorELNS0_4arch9wavefront6targetE0EEEvSZ_.uses_vcc, 0
	.set _ZN7rocprim17ROCPRIM_400000_NS6detail17trampoline_kernelINS0_13select_configILj256ELj13ELNS0_17block_load_methodE3ELS4_3ELS4_3ELNS0_20block_scan_algorithmE0ELj4294967295EEENS1_25partition_config_selectorILNS1_17partition_subalgoE4EjNS0_10empty_typeEbEEZZNS1_14partition_implILS8_4ELb0ES6_15HIP_vector_typeIjLj2EENS0_17counting_iteratorIjlEEPS9_SG_NS0_5tupleIJPjSI_NS0_16reverse_iteratorISI_EEEEENSH_IJSG_SG_SG_EEES9_SI_JZNS1_25segmented_radix_sort_implINS0_14default_configELb0EPKlPlSQ_SR_N2at6native12_GLOBAL__N_18offset_tEEE10hipError_tPvRmT1_PNSt15iterator_traitsISZ_E10value_typeET2_T3_PNS10_IS15_E10value_typeET4_jRbjT5_S1B_jjP12ihipStream_tbEUljE_ZNSN_ISO_Lb0ESQ_SR_SQ_SR_SV_EESW_SX_SY_SZ_S13_S14_S15_S18_S19_jS1A_jS1B_S1B_jjS1D_bEUljE0_EEESW_SX_SY_S15_S19_S1B_T6_T7_T9_mT8_S1D_bDpT10_ENKUlT_T0_E_clISt17integral_constantIbLb1EES1R_EEDaS1M_S1N_EUlS1M_E_NS1_11comp_targetILNS1_3genE4ELNS1_11target_archE910ELNS1_3gpuE8ELNS1_3repE0EEENS1_30default_config_static_selectorELNS0_4arch9wavefront6targetE0EEEvSZ_.uses_flat_scratch, 0
	.set _ZN7rocprim17ROCPRIM_400000_NS6detail17trampoline_kernelINS0_13select_configILj256ELj13ELNS0_17block_load_methodE3ELS4_3ELS4_3ELNS0_20block_scan_algorithmE0ELj4294967295EEENS1_25partition_config_selectorILNS1_17partition_subalgoE4EjNS0_10empty_typeEbEEZZNS1_14partition_implILS8_4ELb0ES6_15HIP_vector_typeIjLj2EENS0_17counting_iteratorIjlEEPS9_SG_NS0_5tupleIJPjSI_NS0_16reverse_iteratorISI_EEEEENSH_IJSG_SG_SG_EEES9_SI_JZNS1_25segmented_radix_sort_implINS0_14default_configELb0EPKlPlSQ_SR_N2at6native12_GLOBAL__N_18offset_tEEE10hipError_tPvRmT1_PNSt15iterator_traitsISZ_E10value_typeET2_T3_PNS10_IS15_E10value_typeET4_jRbjT5_S1B_jjP12ihipStream_tbEUljE_ZNSN_ISO_Lb0ESQ_SR_SQ_SR_SV_EESW_SX_SY_SZ_S13_S14_S15_S18_S19_jS1A_jS1B_S1B_jjS1D_bEUljE0_EEESW_SX_SY_S15_S19_S1B_T6_T7_T9_mT8_S1D_bDpT10_ENKUlT_T0_E_clISt17integral_constantIbLb1EES1R_EEDaS1M_S1N_EUlS1M_E_NS1_11comp_targetILNS1_3genE4ELNS1_11target_archE910ELNS1_3gpuE8ELNS1_3repE0EEENS1_30default_config_static_selectorELNS0_4arch9wavefront6targetE0EEEvSZ_.has_dyn_sized_stack, 0
	.set _ZN7rocprim17ROCPRIM_400000_NS6detail17trampoline_kernelINS0_13select_configILj256ELj13ELNS0_17block_load_methodE3ELS4_3ELS4_3ELNS0_20block_scan_algorithmE0ELj4294967295EEENS1_25partition_config_selectorILNS1_17partition_subalgoE4EjNS0_10empty_typeEbEEZZNS1_14partition_implILS8_4ELb0ES6_15HIP_vector_typeIjLj2EENS0_17counting_iteratorIjlEEPS9_SG_NS0_5tupleIJPjSI_NS0_16reverse_iteratorISI_EEEEENSH_IJSG_SG_SG_EEES9_SI_JZNS1_25segmented_radix_sort_implINS0_14default_configELb0EPKlPlSQ_SR_N2at6native12_GLOBAL__N_18offset_tEEE10hipError_tPvRmT1_PNSt15iterator_traitsISZ_E10value_typeET2_T3_PNS10_IS15_E10value_typeET4_jRbjT5_S1B_jjP12ihipStream_tbEUljE_ZNSN_ISO_Lb0ESQ_SR_SQ_SR_SV_EESW_SX_SY_SZ_S13_S14_S15_S18_S19_jS1A_jS1B_S1B_jjS1D_bEUljE0_EEESW_SX_SY_S15_S19_S1B_T6_T7_T9_mT8_S1D_bDpT10_ENKUlT_T0_E_clISt17integral_constantIbLb1EES1R_EEDaS1M_S1N_EUlS1M_E_NS1_11comp_targetILNS1_3genE4ELNS1_11target_archE910ELNS1_3gpuE8ELNS1_3repE0EEENS1_30default_config_static_selectorELNS0_4arch9wavefront6targetE0EEEvSZ_.has_recursion, 0
	.set _ZN7rocprim17ROCPRIM_400000_NS6detail17trampoline_kernelINS0_13select_configILj256ELj13ELNS0_17block_load_methodE3ELS4_3ELS4_3ELNS0_20block_scan_algorithmE0ELj4294967295EEENS1_25partition_config_selectorILNS1_17partition_subalgoE4EjNS0_10empty_typeEbEEZZNS1_14partition_implILS8_4ELb0ES6_15HIP_vector_typeIjLj2EENS0_17counting_iteratorIjlEEPS9_SG_NS0_5tupleIJPjSI_NS0_16reverse_iteratorISI_EEEEENSH_IJSG_SG_SG_EEES9_SI_JZNS1_25segmented_radix_sort_implINS0_14default_configELb0EPKlPlSQ_SR_N2at6native12_GLOBAL__N_18offset_tEEE10hipError_tPvRmT1_PNSt15iterator_traitsISZ_E10value_typeET2_T3_PNS10_IS15_E10value_typeET4_jRbjT5_S1B_jjP12ihipStream_tbEUljE_ZNSN_ISO_Lb0ESQ_SR_SQ_SR_SV_EESW_SX_SY_SZ_S13_S14_S15_S18_S19_jS1A_jS1B_S1B_jjS1D_bEUljE0_EEESW_SX_SY_S15_S19_S1B_T6_T7_T9_mT8_S1D_bDpT10_ENKUlT_T0_E_clISt17integral_constantIbLb1EES1R_EEDaS1M_S1N_EUlS1M_E_NS1_11comp_targetILNS1_3genE4ELNS1_11target_archE910ELNS1_3gpuE8ELNS1_3repE0EEENS1_30default_config_static_selectorELNS0_4arch9wavefront6targetE0EEEvSZ_.has_indirect_call, 0
	.section	.AMDGPU.csdata,"",@progbits
; Kernel info:
; codeLenInByte = 0
; TotalNumSgprs: 0
; NumVgprs: 0
; ScratchSize: 0
; MemoryBound: 0
; FloatMode: 240
; IeeeMode: 1
; LDSByteSize: 0 bytes/workgroup (compile time only)
; SGPRBlocks: 0
; VGPRBlocks: 0
; NumSGPRsForWavesPerEU: 1
; NumVGPRsForWavesPerEU: 1
; Occupancy: 16
; WaveLimiterHint : 0
; COMPUTE_PGM_RSRC2:SCRATCH_EN: 0
; COMPUTE_PGM_RSRC2:USER_SGPR: 6
; COMPUTE_PGM_RSRC2:TRAP_HANDLER: 0
; COMPUTE_PGM_RSRC2:TGID_X_EN: 1
; COMPUTE_PGM_RSRC2:TGID_Y_EN: 0
; COMPUTE_PGM_RSRC2:TGID_Z_EN: 0
; COMPUTE_PGM_RSRC2:TIDIG_COMP_CNT: 0
	.section	.text._ZN7rocprim17ROCPRIM_400000_NS6detail17trampoline_kernelINS0_13select_configILj256ELj13ELNS0_17block_load_methodE3ELS4_3ELS4_3ELNS0_20block_scan_algorithmE0ELj4294967295EEENS1_25partition_config_selectorILNS1_17partition_subalgoE4EjNS0_10empty_typeEbEEZZNS1_14partition_implILS8_4ELb0ES6_15HIP_vector_typeIjLj2EENS0_17counting_iteratorIjlEEPS9_SG_NS0_5tupleIJPjSI_NS0_16reverse_iteratorISI_EEEEENSH_IJSG_SG_SG_EEES9_SI_JZNS1_25segmented_radix_sort_implINS0_14default_configELb0EPKlPlSQ_SR_N2at6native12_GLOBAL__N_18offset_tEEE10hipError_tPvRmT1_PNSt15iterator_traitsISZ_E10value_typeET2_T3_PNS10_IS15_E10value_typeET4_jRbjT5_S1B_jjP12ihipStream_tbEUljE_ZNSN_ISO_Lb0ESQ_SR_SQ_SR_SV_EESW_SX_SY_SZ_S13_S14_S15_S18_S19_jS1A_jS1B_S1B_jjS1D_bEUljE0_EEESW_SX_SY_S15_S19_S1B_T6_T7_T9_mT8_S1D_bDpT10_ENKUlT_T0_E_clISt17integral_constantIbLb1EES1R_EEDaS1M_S1N_EUlS1M_E_NS1_11comp_targetILNS1_3genE3ELNS1_11target_archE908ELNS1_3gpuE7ELNS1_3repE0EEENS1_30default_config_static_selectorELNS0_4arch9wavefront6targetE0EEEvSZ_,"axG",@progbits,_ZN7rocprim17ROCPRIM_400000_NS6detail17trampoline_kernelINS0_13select_configILj256ELj13ELNS0_17block_load_methodE3ELS4_3ELS4_3ELNS0_20block_scan_algorithmE0ELj4294967295EEENS1_25partition_config_selectorILNS1_17partition_subalgoE4EjNS0_10empty_typeEbEEZZNS1_14partition_implILS8_4ELb0ES6_15HIP_vector_typeIjLj2EENS0_17counting_iteratorIjlEEPS9_SG_NS0_5tupleIJPjSI_NS0_16reverse_iteratorISI_EEEEENSH_IJSG_SG_SG_EEES9_SI_JZNS1_25segmented_radix_sort_implINS0_14default_configELb0EPKlPlSQ_SR_N2at6native12_GLOBAL__N_18offset_tEEE10hipError_tPvRmT1_PNSt15iterator_traitsISZ_E10value_typeET2_T3_PNS10_IS15_E10value_typeET4_jRbjT5_S1B_jjP12ihipStream_tbEUljE_ZNSN_ISO_Lb0ESQ_SR_SQ_SR_SV_EESW_SX_SY_SZ_S13_S14_S15_S18_S19_jS1A_jS1B_S1B_jjS1D_bEUljE0_EEESW_SX_SY_S15_S19_S1B_T6_T7_T9_mT8_S1D_bDpT10_ENKUlT_T0_E_clISt17integral_constantIbLb1EES1R_EEDaS1M_S1N_EUlS1M_E_NS1_11comp_targetILNS1_3genE3ELNS1_11target_archE908ELNS1_3gpuE7ELNS1_3repE0EEENS1_30default_config_static_selectorELNS0_4arch9wavefront6targetE0EEEvSZ_,comdat
	.globl	_ZN7rocprim17ROCPRIM_400000_NS6detail17trampoline_kernelINS0_13select_configILj256ELj13ELNS0_17block_load_methodE3ELS4_3ELS4_3ELNS0_20block_scan_algorithmE0ELj4294967295EEENS1_25partition_config_selectorILNS1_17partition_subalgoE4EjNS0_10empty_typeEbEEZZNS1_14partition_implILS8_4ELb0ES6_15HIP_vector_typeIjLj2EENS0_17counting_iteratorIjlEEPS9_SG_NS0_5tupleIJPjSI_NS0_16reverse_iteratorISI_EEEEENSH_IJSG_SG_SG_EEES9_SI_JZNS1_25segmented_radix_sort_implINS0_14default_configELb0EPKlPlSQ_SR_N2at6native12_GLOBAL__N_18offset_tEEE10hipError_tPvRmT1_PNSt15iterator_traitsISZ_E10value_typeET2_T3_PNS10_IS15_E10value_typeET4_jRbjT5_S1B_jjP12ihipStream_tbEUljE_ZNSN_ISO_Lb0ESQ_SR_SQ_SR_SV_EESW_SX_SY_SZ_S13_S14_S15_S18_S19_jS1A_jS1B_S1B_jjS1D_bEUljE0_EEESW_SX_SY_S15_S19_S1B_T6_T7_T9_mT8_S1D_bDpT10_ENKUlT_T0_E_clISt17integral_constantIbLb1EES1R_EEDaS1M_S1N_EUlS1M_E_NS1_11comp_targetILNS1_3genE3ELNS1_11target_archE908ELNS1_3gpuE7ELNS1_3repE0EEENS1_30default_config_static_selectorELNS0_4arch9wavefront6targetE0EEEvSZ_ ; -- Begin function _ZN7rocprim17ROCPRIM_400000_NS6detail17trampoline_kernelINS0_13select_configILj256ELj13ELNS0_17block_load_methodE3ELS4_3ELS4_3ELNS0_20block_scan_algorithmE0ELj4294967295EEENS1_25partition_config_selectorILNS1_17partition_subalgoE4EjNS0_10empty_typeEbEEZZNS1_14partition_implILS8_4ELb0ES6_15HIP_vector_typeIjLj2EENS0_17counting_iteratorIjlEEPS9_SG_NS0_5tupleIJPjSI_NS0_16reverse_iteratorISI_EEEEENSH_IJSG_SG_SG_EEES9_SI_JZNS1_25segmented_radix_sort_implINS0_14default_configELb0EPKlPlSQ_SR_N2at6native12_GLOBAL__N_18offset_tEEE10hipError_tPvRmT1_PNSt15iterator_traitsISZ_E10value_typeET2_T3_PNS10_IS15_E10value_typeET4_jRbjT5_S1B_jjP12ihipStream_tbEUljE_ZNSN_ISO_Lb0ESQ_SR_SQ_SR_SV_EESW_SX_SY_SZ_S13_S14_S15_S18_S19_jS1A_jS1B_S1B_jjS1D_bEUljE0_EEESW_SX_SY_S15_S19_S1B_T6_T7_T9_mT8_S1D_bDpT10_ENKUlT_T0_E_clISt17integral_constantIbLb1EES1R_EEDaS1M_S1N_EUlS1M_E_NS1_11comp_targetILNS1_3genE3ELNS1_11target_archE908ELNS1_3gpuE7ELNS1_3repE0EEENS1_30default_config_static_selectorELNS0_4arch9wavefront6targetE0EEEvSZ_
	.p2align	8
	.type	_ZN7rocprim17ROCPRIM_400000_NS6detail17trampoline_kernelINS0_13select_configILj256ELj13ELNS0_17block_load_methodE3ELS4_3ELS4_3ELNS0_20block_scan_algorithmE0ELj4294967295EEENS1_25partition_config_selectorILNS1_17partition_subalgoE4EjNS0_10empty_typeEbEEZZNS1_14partition_implILS8_4ELb0ES6_15HIP_vector_typeIjLj2EENS0_17counting_iteratorIjlEEPS9_SG_NS0_5tupleIJPjSI_NS0_16reverse_iteratorISI_EEEEENSH_IJSG_SG_SG_EEES9_SI_JZNS1_25segmented_radix_sort_implINS0_14default_configELb0EPKlPlSQ_SR_N2at6native12_GLOBAL__N_18offset_tEEE10hipError_tPvRmT1_PNSt15iterator_traitsISZ_E10value_typeET2_T3_PNS10_IS15_E10value_typeET4_jRbjT5_S1B_jjP12ihipStream_tbEUljE_ZNSN_ISO_Lb0ESQ_SR_SQ_SR_SV_EESW_SX_SY_SZ_S13_S14_S15_S18_S19_jS1A_jS1B_S1B_jjS1D_bEUljE0_EEESW_SX_SY_S15_S19_S1B_T6_T7_T9_mT8_S1D_bDpT10_ENKUlT_T0_E_clISt17integral_constantIbLb1EES1R_EEDaS1M_S1N_EUlS1M_E_NS1_11comp_targetILNS1_3genE3ELNS1_11target_archE908ELNS1_3gpuE7ELNS1_3repE0EEENS1_30default_config_static_selectorELNS0_4arch9wavefront6targetE0EEEvSZ_,@function
_ZN7rocprim17ROCPRIM_400000_NS6detail17trampoline_kernelINS0_13select_configILj256ELj13ELNS0_17block_load_methodE3ELS4_3ELS4_3ELNS0_20block_scan_algorithmE0ELj4294967295EEENS1_25partition_config_selectorILNS1_17partition_subalgoE4EjNS0_10empty_typeEbEEZZNS1_14partition_implILS8_4ELb0ES6_15HIP_vector_typeIjLj2EENS0_17counting_iteratorIjlEEPS9_SG_NS0_5tupleIJPjSI_NS0_16reverse_iteratorISI_EEEEENSH_IJSG_SG_SG_EEES9_SI_JZNS1_25segmented_radix_sort_implINS0_14default_configELb0EPKlPlSQ_SR_N2at6native12_GLOBAL__N_18offset_tEEE10hipError_tPvRmT1_PNSt15iterator_traitsISZ_E10value_typeET2_T3_PNS10_IS15_E10value_typeET4_jRbjT5_S1B_jjP12ihipStream_tbEUljE_ZNSN_ISO_Lb0ESQ_SR_SQ_SR_SV_EESW_SX_SY_SZ_S13_S14_S15_S18_S19_jS1A_jS1B_S1B_jjS1D_bEUljE0_EEESW_SX_SY_S15_S19_S1B_T6_T7_T9_mT8_S1D_bDpT10_ENKUlT_T0_E_clISt17integral_constantIbLb1EES1R_EEDaS1M_S1N_EUlS1M_E_NS1_11comp_targetILNS1_3genE3ELNS1_11target_archE908ELNS1_3gpuE7ELNS1_3repE0EEENS1_30default_config_static_selectorELNS0_4arch9wavefront6targetE0EEEvSZ_: ; @_ZN7rocprim17ROCPRIM_400000_NS6detail17trampoline_kernelINS0_13select_configILj256ELj13ELNS0_17block_load_methodE3ELS4_3ELS4_3ELNS0_20block_scan_algorithmE0ELj4294967295EEENS1_25partition_config_selectorILNS1_17partition_subalgoE4EjNS0_10empty_typeEbEEZZNS1_14partition_implILS8_4ELb0ES6_15HIP_vector_typeIjLj2EENS0_17counting_iteratorIjlEEPS9_SG_NS0_5tupleIJPjSI_NS0_16reverse_iteratorISI_EEEEENSH_IJSG_SG_SG_EEES9_SI_JZNS1_25segmented_radix_sort_implINS0_14default_configELb0EPKlPlSQ_SR_N2at6native12_GLOBAL__N_18offset_tEEE10hipError_tPvRmT1_PNSt15iterator_traitsISZ_E10value_typeET2_T3_PNS10_IS15_E10value_typeET4_jRbjT5_S1B_jjP12ihipStream_tbEUljE_ZNSN_ISO_Lb0ESQ_SR_SQ_SR_SV_EESW_SX_SY_SZ_S13_S14_S15_S18_S19_jS1A_jS1B_S1B_jjS1D_bEUljE0_EEESW_SX_SY_S15_S19_S1B_T6_T7_T9_mT8_S1D_bDpT10_ENKUlT_T0_E_clISt17integral_constantIbLb1EES1R_EEDaS1M_S1N_EUlS1M_E_NS1_11comp_targetILNS1_3genE3ELNS1_11target_archE908ELNS1_3gpuE7ELNS1_3repE0EEENS1_30default_config_static_selectorELNS0_4arch9wavefront6targetE0EEEvSZ_
; %bb.0:
	.section	.rodata,"a",@progbits
	.p2align	6, 0x0
	.amdhsa_kernel _ZN7rocprim17ROCPRIM_400000_NS6detail17trampoline_kernelINS0_13select_configILj256ELj13ELNS0_17block_load_methodE3ELS4_3ELS4_3ELNS0_20block_scan_algorithmE0ELj4294967295EEENS1_25partition_config_selectorILNS1_17partition_subalgoE4EjNS0_10empty_typeEbEEZZNS1_14partition_implILS8_4ELb0ES6_15HIP_vector_typeIjLj2EENS0_17counting_iteratorIjlEEPS9_SG_NS0_5tupleIJPjSI_NS0_16reverse_iteratorISI_EEEEENSH_IJSG_SG_SG_EEES9_SI_JZNS1_25segmented_radix_sort_implINS0_14default_configELb0EPKlPlSQ_SR_N2at6native12_GLOBAL__N_18offset_tEEE10hipError_tPvRmT1_PNSt15iterator_traitsISZ_E10value_typeET2_T3_PNS10_IS15_E10value_typeET4_jRbjT5_S1B_jjP12ihipStream_tbEUljE_ZNSN_ISO_Lb0ESQ_SR_SQ_SR_SV_EESW_SX_SY_SZ_S13_S14_S15_S18_S19_jS1A_jS1B_S1B_jjS1D_bEUljE0_EEESW_SX_SY_S15_S19_S1B_T6_T7_T9_mT8_S1D_bDpT10_ENKUlT_T0_E_clISt17integral_constantIbLb1EES1R_EEDaS1M_S1N_EUlS1M_E_NS1_11comp_targetILNS1_3genE3ELNS1_11target_archE908ELNS1_3gpuE7ELNS1_3repE0EEENS1_30default_config_static_selectorELNS0_4arch9wavefront6targetE0EEEvSZ_
		.amdhsa_group_segment_fixed_size 0
		.amdhsa_private_segment_fixed_size 0
		.amdhsa_kernarg_size 184
		.amdhsa_user_sgpr_count 6
		.amdhsa_user_sgpr_private_segment_buffer 1
		.amdhsa_user_sgpr_dispatch_ptr 0
		.amdhsa_user_sgpr_queue_ptr 0
		.amdhsa_user_sgpr_kernarg_segment_ptr 1
		.amdhsa_user_sgpr_dispatch_id 0
		.amdhsa_user_sgpr_flat_scratch_init 0
		.amdhsa_user_sgpr_private_segment_size 0
		.amdhsa_wavefront_size32 1
		.amdhsa_uses_dynamic_stack 0
		.amdhsa_system_sgpr_private_segment_wavefront_offset 0
		.amdhsa_system_sgpr_workgroup_id_x 1
		.amdhsa_system_sgpr_workgroup_id_y 0
		.amdhsa_system_sgpr_workgroup_id_z 0
		.amdhsa_system_sgpr_workgroup_info 0
		.amdhsa_system_vgpr_workitem_id 0
		.amdhsa_next_free_vgpr 1
		.amdhsa_next_free_sgpr 1
		.amdhsa_reserve_vcc 0
		.amdhsa_reserve_flat_scratch 0
		.amdhsa_float_round_mode_32 0
		.amdhsa_float_round_mode_16_64 0
		.amdhsa_float_denorm_mode_32 3
		.amdhsa_float_denorm_mode_16_64 3
		.amdhsa_dx10_clamp 1
		.amdhsa_ieee_mode 1
		.amdhsa_fp16_overflow 0
		.amdhsa_workgroup_processor_mode 1
		.amdhsa_memory_ordered 1
		.amdhsa_forward_progress 1
		.amdhsa_shared_vgpr_count 0
		.amdhsa_exception_fp_ieee_invalid_op 0
		.amdhsa_exception_fp_denorm_src 0
		.amdhsa_exception_fp_ieee_div_zero 0
		.amdhsa_exception_fp_ieee_overflow 0
		.amdhsa_exception_fp_ieee_underflow 0
		.amdhsa_exception_fp_ieee_inexact 0
		.amdhsa_exception_int_div_zero 0
	.end_amdhsa_kernel
	.section	.text._ZN7rocprim17ROCPRIM_400000_NS6detail17trampoline_kernelINS0_13select_configILj256ELj13ELNS0_17block_load_methodE3ELS4_3ELS4_3ELNS0_20block_scan_algorithmE0ELj4294967295EEENS1_25partition_config_selectorILNS1_17partition_subalgoE4EjNS0_10empty_typeEbEEZZNS1_14partition_implILS8_4ELb0ES6_15HIP_vector_typeIjLj2EENS0_17counting_iteratorIjlEEPS9_SG_NS0_5tupleIJPjSI_NS0_16reverse_iteratorISI_EEEEENSH_IJSG_SG_SG_EEES9_SI_JZNS1_25segmented_radix_sort_implINS0_14default_configELb0EPKlPlSQ_SR_N2at6native12_GLOBAL__N_18offset_tEEE10hipError_tPvRmT1_PNSt15iterator_traitsISZ_E10value_typeET2_T3_PNS10_IS15_E10value_typeET4_jRbjT5_S1B_jjP12ihipStream_tbEUljE_ZNSN_ISO_Lb0ESQ_SR_SQ_SR_SV_EESW_SX_SY_SZ_S13_S14_S15_S18_S19_jS1A_jS1B_S1B_jjS1D_bEUljE0_EEESW_SX_SY_S15_S19_S1B_T6_T7_T9_mT8_S1D_bDpT10_ENKUlT_T0_E_clISt17integral_constantIbLb1EES1R_EEDaS1M_S1N_EUlS1M_E_NS1_11comp_targetILNS1_3genE3ELNS1_11target_archE908ELNS1_3gpuE7ELNS1_3repE0EEENS1_30default_config_static_selectorELNS0_4arch9wavefront6targetE0EEEvSZ_,"axG",@progbits,_ZN7rocprim17ROCPRIM_400000_NS6detail17trampoline_kernelINS0_13select_configILj256ELj13ELNS0_17block_load_methodE3ELS4_3ELS4_3ELNS0_20block_scan_algorithmE0ELj4294967295EEENS1_25partition_config_selectorILNS1_17partition_subalgoE4EjNS0_10empty_typeEbEEZZNS1_14partition_implILS8_4ELb0ES6_15HIP_vector_typeIjLj2EENS0_17counting_iteratorIjlEEPS9_SG_NS0_5tupleIJPjSI_NS0_16reverse_iteratorISI_EEEEENSH_IJSG_SG_SG_EEES9_SI_JZNS1_25segmented_radix_sort_implINS0_14default_configELb0EPKlPlSQ_SR_N2at6native12_GLOBAL__N_18offset_tEEE10hipError_tPvRmT1_PNSt15iterator_traitsISZ_E10value_typeET2_T3_PNS10_IS15_E10value_typeET4_jRbjT5_S1B_jjP12ihipStream_tbEUljE_ZNSN_ISO_Lb0ESQ_SR_SQ_SR_SV_EESW_SX_SY_SZ_S13_S14_S15_S18_S19_jS1A_jS1B_S1B_jjS1D_bEUljE0_EEESW_SX_SY_S15_S19_S1B_T6_T7_T9_mT8_S1D_bDpT10_ENKUlT_T0_E_clISt17integral_constantIbLb1EES1R_EEDaS1M_S1N_EUlS1M_E_NS1_11comp_targetILNS1_3genE3ELNS1_11target_archE908ELNS1_3gpuE7ELNS1_3repE0EEENS1_30default_config_static_selectorELNS0_4arch9wavefront6targetE0EEEvSZ_,comdat
.Lfunc_end748:
	.size	_ZN7rocprim17ROCPRIM_400000_NS6detail17trampoline_kernelINS0_13select_configILj256ELj13ELNS0_17block_load_methodE3ELS4_3ELS4_3ELNS0_20block_scan_algorithmE0ELj4294967295EEENS1_25partition_config_selectorILNS1_17partition_subalgoE4EjNS0_10empty_typeEbEEZZNS1_14partition_implILS8_4ELb0ES6_15HIP_vector_typeIjLj2EENS0_17counting_iteratorIjlEEPS9_SG_NS0_5tupleIJPjSI_NS0_16reverse_iteratorISI_EEEEENSH_IJSG_SG_SG_EEES9_SI_JZNS1_25segmented_radix_sort_implINS0_14default_configELb0EPKlPlSQ_SR_N2at6native12_GLOBAL__N_18offset_tEEE10hipError_tPvRmT1_PNSt15iterator_traitsISZ_E10value_typeET2_T3_PNS10_IS15_E10value_typeET4_jRbjT5_S1B_jjP12ihipStream_tbEUljE_ZNSN_ISO_Lb0ESQ_SR_SQ_SR_SV_EESW_SX_SY_SZ_S13_S14_S15_S18_S19_jS1A_jS1B_S1B_jjS1D_bEUljE0_EEESW_SX_SY_S15_S19_S1B_T6_T7_T9_mT8_S1D_bDpT10_ENKUlT_T0_E_clISt17integral_constantIbLb1EES1R_EEDaS1M_S1N_EUlS1M_E_NS1_11comp_targetILNS1_3genE3ELNS1_11target_archE908ELNS1_3gpuE7ELNS1_3repE0EEENS1_30default_config_static_selectorELNS0_4arch9wavefront6targetE0EEEvSZ_, .Lfunc_end748-_ZN7rocprim17ROCPRIM_400000_NS6detail17trampoline_kernelINS0_13select_configILj256ELj13ELNS0_17block_load_methodE3ELS4_3ELS4_3ELNS0_20block_scan_algorithmE0ELj4294967295EEENS1_25partition_config_selectorILNS1_17partition_subalgoE4EjNS0_10empty_typeEbEEZZNS1_14partition_implILS8_4ELb0ES6_15HIP_vector_typeIjLj2EENS0_17counting_iteratorIjlEEPS9_SG_NS0_5tupleIJPjSI_NS0_16reverse_iteratorISI_EEEEENSH_IJSG_SG_SG_EEES9_SI_JZNS1_25segmented_radix_sort_implINS0_14default_configELb0EPKlPlSQ_SR_N2at6native12_GLOBAL__N_18offset_tEEE10hipError_tPvRmT1_PNSt15iterator_traitsISZ_E10value_typeET2_T3_PNS10_IS15_E10value_typeET4_jRbjT5_S1B_jjP12ihipStream_tbEUljE_ZNSN_ISO_Lb0ESQ_SR_SQ_SR_SV_EESW_SX_SY_SZ_S13_S14_S15_S18_S19_jS1A_jS1B_S1B_jjS1D_bEUljE0_EEESW_SX_SY_S15_S19_S1B_T6_T7_T9_mT8_S1D_bDpT10_ENKUlT_T0_E_clISt17integral_constantIbLb1EES1R_EEDaS1M_S1N_EUlS1M_E_NS1_11comp_targetILNS1_3genE3ELNS1_11target_archE908ELNS1_3gpuE7ELNS1_3repE0EEENS1_30default_config_static_selectorELNS0_4arch9wavefront6targetE0EEEvSZ_
                                        ; -- End function
	.set _ZN7rocprim17ROCPRIM_400000_NS6detail17trampoline_kernelINS0_13select_configILj256ELj13ELNS0_17block_load_methodE3ELS4_3ELS4_3ELNS0_20block_scan_algorithmE0ELj4294967295EEENS1_25partition_config_selectorILNS1_17partition_subalgoE4EjNS0_10empty_typeEbEEZZNS1_14partition_implILS8_4ELb0ES6_15HIP_vector_typeIjLj2EENS0_17counting_iteratorIjlEEPS9_SG_NS0_5tupleIJPjSI_NS0_16reverse_iteratorISI_EEEEENSH_IJSG_SG_SG_EEES9_SI_JZNS1_25segmented_radix_sort_implINS0_14default_configELb0EPKlPlSQ_SR_N2at6native12_GLOBAL__N_18offset_tEEE10hipError_tPvRmT1_PNSt15iterator_traitsISZ_E10value_typeET2_T3_PNS10_IS15_E10value_typeET4_jRbjT5_S1B_jjP12ihipStream_tbEUljE_ZNSN_ISO_Lb0ESQ_SR_SQ_SR_SV_EESW_SX_SY_SZ_S13_S14_S15_S18_S19_jS1A_jS1B_S1B_jjS1D_bEUljE0_EEESW_SX_SY_S15_S19_S1B_T6_T7_T9_mT8_S1D_bDpT10_ENKUlT_T0_E_clISt17integral_constantIbLb1EES1R_EEDaS1M_S1N_EUlS1M_E_NS1_11comp_targetILNS1_3genE3ELNS1_11target_archE908ELNS1_3gpuE7ELNS1_3repE0EEENS1_30default_config_static_selectorELNS0_4arch9wavefront6targetE0EEEvSZ_.num_vgpr, 0
	.set _ZN7rocprim17ROCPRIM_400000_NS6detail17trampoline_kernelINS0_13select_configILj256ELj13ELNS0_17block_load_methodE3ELS4_3ELS4_3ELNS0_20block_scan_algorithmE0ELj4294967295EEENS1_25partition_config_selectorILNS1_17partition_subalgoE4EjNS0_10empty_typeEbEEZZNS1_14partition_implILS8_4ELb0ES6_15HIP_vector_typeIjLj2EENS0_17counting_iteratorIjlEEPS9_SG_NS0_5tupleIJPjSI_NS0_16reverse_iteratorISI_EEEEENSH_IJSG_SG_SG_EEES9_SI_JZNS1_25segmented_radix_sort_implINS0_14default_configELb0EPKlPlSQ_SR_N2at6native12_GLOBAL__N_18offset_tEEE10hipError_tPvRmT1_PNSt15iterator_traitsISZ_E10value_typeET2_T3_PNS10_IS15_E10value_typeET4_jRbjT5_S1B_jjP12ihipStream_tbEUljE_ZNSN_ISO_Lb0ESQ_SR_SQ_SR_SV_EESW_SX_SY_SZ_S13_S14_S15_S18_S19_jS1A_jS1B_S1B_jjS1D_bEUljE0_EEESW_SX_SY_S15_S19_S1B_T6_T7_T9_mT8_S1D_bDpT10_ENKUlT_T0_E_clISt17integral_constantIbLb1EES1R_EEDaS1M_S1N_EUlS1M_E_NS1_11comp_targetILNS1_3genE3ELNS1_11target_archE908ELNS1_3gpuE7ELNS1_3repE0EEENS1_30default_config_static_selectorELNS0_4arch9wavefront6targetE0EEEvSZ_.num_agpr, 0
	.set _ZN7rocprim17ROCPRIM_400000_NS6detail17trampoline_kernelINS0_13select_configILj256ELj13ELNS0_17block_load_methodE3ELS4_3ELS4_3ELNS0_20block_scan_algorithmE0ELj4294967295EEENS1_25partition_config_selectorILNS1_17partition_subalgoE4EjNS0_10empty_typeEbEEZZNS1_14partition_implILS8_4ELb0ES6_15HIP_vector_typeIjLj2EENS0_17counting_iteratorIjlEEPS9_SG_NS0_5tupleIJPjSI_NS0_16reverse_iteratorISI_EEEEENSH_IJSG_SG_SG_EEES9_SI_JZNS1_25segmented_radix_sort_implINS0_14default_configELb0EPKlPlSQ_SR_N2at6native12_GLOBAL__N_18offset_tEEE10hipError_tPvRmT1_PNSt15iterator_traitsISZ_E10value_typeET2_T3_PNS10_IS15_E10value_typeET4_jRbjT5_S1B_jjP12ihipStream_tbEUljE_ZNSN_ISO_Lb0ESQ_SR_SQ_SR_SV_EESW_SX_SY_SZ_S13_S14_S15_S18_S19_jS1A_jS1B_S1B_jjS1D_bEUljE0_EEESW_SX_SY_S15_S19_S1B_T6_T7_T9_mT8_S1D_bDpT10_ENKUlT_T0_E_clISt17integral_constantIbLb1EES1R_EEDaS1M_S1N_EUlS1M_E_NS1_11comp_targetILNS1_3genE3ELNS1_11target_archE908ELNS1_3gpuE7ELNS1_3repE0EEENS1_30default_config_static_selectorELNS0_4arch9wavefront6targetE0EEEvSZ_.numbered_sgpr, 0
	.set _ZN7rocprim17ROCPRIM_400000_NS6detail17trampoline_kernelINS0_13select_configILj256ELj13ELNS0_17block_load_methodE3ELS4_3ELS4_3ELNS0_20block_scan_algorithmE0ELj4294967295EEENS1_25partition_config_selectorILNS1_17partition_subalgoE4EjNS0_10empty_typeEbEEZZNS1_14partition_implILS8_4ELb0ES6_15HIP_vector_typeIjLj2EENS0_17counting_iteratorIjlEEPS9_SG_NS0_5tupleIJPjSI_NS0_16reverse_iteratorISI_EEEEENSH_IJSG_SG_SG_EEES9_SI_JZNS1_25segmented_radix_sort_implINS0_14default_configELb0EPKlPlSQ_SR_N2at6native12_GLOBAL__N_18offset_tEEE10hipError_tPvRmT1_PNSt15iterator_traitsISZ_E10value_typeET2_T3_PNS10_IS15_E10value_typeET4_jRbjT5_S1B_jjP12ihipStream_tbEUljE_ZNSN_ISO_Lb0ESQ_SR_SQ_SR_SV_EESW_SX_SY_SZ_S13_S14_S15_S18_S19_jS1A_jS1B_S1B_jjS1D_bEUljE0_EEESW_SX_SY_S15_S19_S1B_T6_T7_T9_mT8_S1D_bDpT10_ENKUlT_T0_E_clISt17integral_constantIbLb1EES1R_EEDaS1M_S1N_EUlS1M_E_NS1_11comp_targetILNS1_3genE3ELNS1_11target_archE908ELNS1_3gpuE7ELNS1_3repE0EEENS1_30default_config_static_selectorELNS0_4arch9wavefront6targetE0EEEvSZ_.num_named_barrier, 0
	.set _ZN7rocprim17ROCPRIM_400000_NS6detail17trampoline_kernelINS0_13select_configILj256ELj13ELNS0_17block_load_methodE3ELS4_3ELS4_3ELNS0_20block_scan_algorithmE0ELj4294967295EEENS1_25partition_config_selectorILNS1_17partition_subalgoE4EjNS0_10empty_typeEbEEZZNS1_14partition_implILS8_4ELb0ES6_15HIP_vector_typeIjLj2EENS0_17counting_iteratorIjlEEPS9_SG_NS0_5tupleIJPjSI_NS0_16reverse_iteratorISI_EEEEENSH_IJSG_SG_SG_EEES9_SI_JZNS1_25segmented_radix_sort_implINS0_14default_configELb0EPKlPlSQ_SR_N2at6native12_GLOBAL__N_18offset_tEEE10hipError_tPvRmT1_PNSt15iterator_traitsISZ_E10value_typeET2_T3_PNS10_IS15_E10value_typeET4_jRbjT5_S1B_jjP12ihipStream_tbEUljE_ZNSN_ISO_Lb0ESQ_SR_SQ_SR_SV_EESW_SX_SY_SZ_S13_S14_S15_S18_S19_jS1A_jS1B_S1B_jjS1D_bEUljE0_EEESW_SX_SY_S15_S19_S1B_T6_T7_T9_mT8_S1D_bDpT10_ENKUlT_T0_E_clISt17integral_constantIbLb1EES1R_EEDaS1M_S1N_EUlS1M_E_NS1_11comp_targetILNS1_3genE3ELNS1_11target_archE908ELNS1_3gpuE7ELNS1_3repE0EEENS1_30default_config_static_selectorELNS0_4arch9wavefront6targetE0EEEvSZ_.private_seg_size, 0
	.set _ZN7rocprim17ROCPRIM_400000_NS6detail17trampoline_kernelINS0_13select_configILj256ELj13ELNS0_17block_load_methodE3ELS4_3ELS4_3ELNS0_20block_scan_algorithmE0ELj4294967295EEENS1_25partition_config_selectorILNS1_17partition_subalgoE4EjNS0_10empty_typeEbEEZZNS1_14partition_implILS8_4ELb0ES6_15HIP_vector_typeIjLj2EENS0_17counting_iteratorIjlEEPS9_SG_NS0_5tupleIJPjSI_NS0_16reverse_iteratorISI_EEEEENSH_IJSG_SG_SG_EEES9_SI_JZNS1_25segmented_radix_sort_implINS0_14default_configELb0EPKlPlSQ_SR_N2at6native12_GLOBAL__N_18offset_tEEE10hipError_tPvRmT1_PNSt15iterator_traitsISZ_E10value_typeET2_T3_PNS10_IS15_E10value_typeET4_jRbjT5_S1B_jjP12ihipStream_tbEUljE_ZNSN_ISO_Lb0ESQ_SR_SQ_SR_SV_EESW_SX_SY_SZ_S13_S14_S15_S18_S19_jS1A_jS1B_S1B_jjS1D_bEUljE0_EEESW_SX_SY_S15_S19_S1B_T6_T7_T9_mT8_S1D_bDpT10_ENKUlT_T0_E_clISt17integral_constantIbLb1EES1R_EEDaS1M_S1N_EUlS1M_E_NS1_11comp_targetILNS1_3genE3ELNS1_11target_archE908ELNS1_3gpuE7ELNS1_3repE0EEENS1_30default_config_static_selectorELNS0_4arch9wavefront6targetE0EEEvSZ_.uses_vcc, 0
	.set _ZN7rocprim17ROCPRIM_400000_NS6detail17trampoline_kernelINS0_13select_configILj256ELj13ELNS0_17block_load_methodE3ELS4_3ELS4_3ELNS0_20block_scan_algorithmE0ELj4294967295EEENS1_25partition_config_selectorILNS1_17partition_subalgoE4EjNS0_10empty_typeEbEEZZNS1_14partition_implILS8_4ELb0ES6_15HIP_vector_typeIjLj2EENS0_17counting_iteratorIjlEEPS9_SG_NS0_5tupleIJPjSI_NS0_16reverse_iteratorISI_EEEEENSH_IJSG_SG_SG_EEES9_SI_JZNS1_25segmented_radix_sort_implINS0_14default_configELb0EPKlPlSQ_SR_N2at6native12_GLOBAL__N_18offset_tEEE10hipError_tPvRmT1_PNSt15iterator_traitsISZ_E10value_typeET2_T3_PNS10_IS15_E10value_typeET4_jRbjT5_S1B_jjP12ihipStream_tbEUljE_ZNSN_ISO_Lb0ESQ_SR_SQ_SR_SV_EESW_SX_SY_SZ_S13_S14_S15_S18_S19_jS1A_jS1B_S1B_jjS1D_bEUljE0_EEESW_SX_SY_S15_S19_S1B_T6_T7_T9_mT8_S1D_bDpT10_ENKUlT_T0_E_clISt17integral_constantIbLb1EES1R_EEDaS1M_S1N_EUlS1M_E_NS1_11comp_targetILNS1_3genE3ELNS1_11target_archE908ELNS1_3gpuE7ELNS1_3repE0EEENS1_30default_config_static_selectorELNS0_4arch9wavefront6targetE0EEEvSZ_.uses_flat_scratch, 0
	.set _ZN7rocprim17ROCPRIM_400000_NS6detail17trampoline_kernelINS0_13select_configILj256ELj13ELNS0_17block_load_methodE3ELS4_3ELS4_3ELNS0_20block_scan_algorithmE0ELj4294967295EEENS1_25partition_config_selectorILNS1_17partition_subalgoE4EjNS0_10empty_typeEbEEZZNS1_14partition_implILS8_4ELb0ES6_15HIP_vector_typeIjLj2EENS0_17counting_iteratorIjlEEPS9_SG_NS0_5tupleIJPjSI_NS0_16reverse_iteratorISI_EEEEENSH_IJSG_SG_SG_EEES9_SI_JZNS1_25segmented_radix_sort_implINS0_14default_configELb0EPKlPlSQ_SR_N2at6native12_GLOBAL__N_18offset_tEEE10hipError_tPvRmT1_PNSt15iterator_traitsISZ_E10value_typeET2_T3_PNS10_IS15_E10value_typeET4_jRbjT5_S1B_jjP12ihipStream_tbEUljE_ZNSN_ISO_Lb0ESQ_SR_SQ_SR_SV_EESW_SX_SY_SZ_S13_S14_S15_S18_S19_jS1A_jS1B_S1B_jjS1D_bEUljE0_EEESW_SX_SY_S15_S19_S1B_T6_T7_T9_mT8_S1D_bDpT10_ENKUlT_T0_E_clISt17integral_constantIbLb1EES1R_EEDaS1M_S1N_EUlS1M_E_NS1_11comp_targetILNS1_3genE3ELNS1_11target_archE908ELNS1_3gpuE7ELNS1_3repE0EEENS1_30default_config_static_selectorELNS0_4arch9wavefront6targetE0EEEvSZ_.has_dyn_sized_stack, 0
	.set _ZN7rocprim17ROCPRIM_400000_NS6detail17trampoline_kernelINS0_13select_configILj256ELj13ELNS0_17block_load_methodE3ELS4_3ELS4_3ELNS0_20block_scan_algorithmE0ELj4294967295EEENS1_25partition_config_selectorILNS1_17partition_subalgoE4EjNS0_10empty_typeEbEEZZNS1_14partition_implILS8_4ELb0ES6_15HIP_vector_typeIjLj2EENS0_17counting_iteratorIjlEEPS9_SG_NS0_5tupleIJPjSI_NS0_16reverse_iteratorISI_EEEEENSH_IJSG_SG_SG_EEES9_SI_JZNS1_25segmented_radix_sort_implINS0_14default_configELb0EPKlPlSQ_SR_N2at6native12_GLOBAL__N_18offset_tEEE10hipError_tPvRmT1_PNSt15iterator_traitsISZ_E10value_typeET2_T3_PNS10_IS15_E10value_typeET4_jRbjT5_S1B_jjP12ihipStream_tbEUljE_ZNSN_ISO_Lb0ESQ_SR_SQ_SR_SV_EESW_SX_SY_SZ_S13_S14_S15_S18_S19_jS1A_jS1B_S1B_jjS1D_bEUljE0_EEESW_SX_SY_S15_S19_S1B_T6_T7_T9_mT8_S1D_bDpT10_ENKUlT_T0_E_clISt17integral_constantIbLb1EES1R_EEDaS1M_S1N_EUlS1M_E_NS1_11comp_targetILNS1_3genE3ELNS1_11target_archE908ELNS1_3gpuE7ELNS1_3repE0EEENS1_30default_config_static_selectorELNS0_4arch9wavefront6targetE0EEEvSZ_.has_recursion, 0
	.set _ZN7rocprim17ROCPRIM_400000_NS6detail17trampoline_kernelINS0_13select_configILj256ELj13ELNS0_17block_load_methodE3ELS4_3ELS4_3ELNS0_20block_scan_algorithmE0ELj4294967295EEENS1_25partition_config_selectorILNS1_17partition_subalgoE4EjNS0_10empty_typeEbEEZZNS1_14partition_implILS8_4ELb0ES6_15HIP_vector_typeIjLj2EENS0_17counting_iteratorIjlEEPS9_SG_NS0_5tupleIJPjSI_NS0_16reverse_iteratorISI_EEEEENSH_IJSG_SG_SG_EEES9_SI_JZNS1_25segmented_radix_sort_implINS0_14default_configELb0EPKlPlSQ_SR_N2at6native12_GLOBAL__N_18offset_tEEE10hipError_tPvRmT1_PNSt15iterator_traitsISZ_E10value_typeET2_T3_PNS10_IS15_E10value_typeET4_jRbjT5_S1B_jjP12ihipStream_tbEUljE_ZNSN_ISO_Lb0ESQ_SR_SQ_SR_SV_EESW_SX_SY_SZ_S13_S14_S15_S18_S19_jS1A_jS1B_S1B_jjS1D_bEUljE0_EEESW_SX_SY_S15_S19_S1B_T6_T7_T9_mT8_S1D_bDpT10_ENKUlT_T0_E_clISt17integral_constantIbLb1EES1R_EEDaS1M_S1N_EUlS1M_E_NS1_11comp_targetILNS1_3genE3ELNS1_11target_archE908ELNS1_3gpuE7ELNS1_3repE0EEENS1_30default_config_static_selectorELNS0_4arch9wavefront6targetE0EEEvSZ_.has_indirect_call, 0
	.section	.AMDGPU.csdata,"",@progbits
; Kernel info:
; codeLenInByte = 0
; TotalNumSgprs: 0
; NumVgprs: 0
; ScratchSize: 0
; MemoryBound: 0
; FloatMode: 240
; IeeeMode: 1
; LDSByteSize: 0 bytes/workgroup (compile time only)
; SGPRBlocks: 0
; VGPRBlocks: 0
; NumSGPRsForWavesPerEU: 1
; NumVGPRsForWavesPerEU: 1
; Occupancy: 16
; WaveLimiterHint : 0
; COMPUTE_PGM_RSRC2:SCRATCH_EN: 0
; COMPUTE_PGM_RSRC2:USER_SGPR: 6
; COMPUTE_PGM_RSRC2:TRAP_HANDLER: 0
; COMPUTE_PGM_RSRC2:TGID_X_EN: 1
; COMPUTE_PGM_RSRC2:TGID_Y_EN: 0
; COMPUTE_PGM_RSRC2:TGID_Z_EN: 0
; COMPUTE_PGM_RSRC2:TIDIG_COMP_CNT: 0
	.section	.text._ZN7rocprim17ROCPRIM_400000_NS6detail17trampoline_kernelINS0_13select_configILj256ELj13ELNS0_17block_load_methodE3ELS4_3ELS4_3ELNS0_20block_scan_algorithmE0ELj4294967295EEENS1_25partition_config_selectorILNS1_17partition_subalgoE4EjNS0_10empty_typeEbEEZZNS1_14partition_implILS8_4ELb0ES6_15HIP_vector_typeIjLj2EENS0_17counting_iteratorIjlEEPS9_SG_NS0_5tupleIJPjSI_NS0_16reverse_iteratorISI_EEEEENSH_IJSG_SG_SG_EEES9_SI_JZNS1_25segmented_radix_sort_implINS0_14default_configELb0EPKlPlSQ_SR_N2at6native12_GLOBAL__N_18offset_tEEE10hipError_tPvRmT1_PNSt15iterator_traitsISZ_E10value_typeET2_T3_PNS10_IS15_E10value_typeET4_jRbjT5_S1B_jjP12ihipStream_tbEUljE_ZNSN_ISO_Lb0ESQ_SR_SQ_SR_SV_EESW_SX_SY_SZ_S13_S14_S15_S18_S19_jS1A_jS1B_S1B_jjS1D_bEUljE0_EEESW_SX_SY_S15_S19_S1B_T6_T7_T9_mT8_S1D_bDpT10_ENKUlT_T0_E_clISt17integral_constantIbLb1EES1R_EEDaS1M_S1N_EUlS1M_E_NS1_11comp_targetILNS1_3genE2ELNS1_11target_archE906ELNS1_3gpuE6ELNS1_3repE0EEENS1_30default_config_static_selectorELNS0_4arch9wavefront6targetE0EEEvSZ_,"axG",@progbits,_ZN7rocprim17ROCPRIM_400000_NS6detail17trampoline_kernelINS0_13select_configILj256ELj13ELNS0_17block_load_methodE3ELS4_3ELS4_3ELNS0_20block_scan_algorithmE0ELj4294967295EEENS1_25partition_config_selectorILNS1_17partition_subalgoE4EjNS0_10empty_typeEbEEZZNS1_14partition_implILS8_4ELb0ES6_15HIP_vector_typeIjLj2EENS0_17counting_iteratorIjlEEPS9_SG_NS0_5tupleIJPjSI_NS0_16reverse_iteratorISI_EEEEENSH_IJSG_SG_SG_EEES9_SI_JZNS1_25segmented_radix_sort_implINS0_14default_configELb0EPKlPlSQ_SR_N2at6native12_GLOBAL__N_18offset_tEEE10hipError_tPvRmT1_PNSt15iterator_traitsISZ_E10value_typeET2_T3_PNS10_IS15_E10value_typeET4_jRbjT5_S1B_jjP12ihipStream_tbEUljE_ZNSN_ISO_Lb0ESQ_SR_SQ_SR_SV_EESW_SX_SY_SZ_S13_S14_S15_S18_S19_jS1A_jS1B_S1B_jjS1D_bEUljE0_EEESW_SX_SY_S15_S19_S1B_T6_T7_T9_mT8_S1D_bDpT10_ENKUlT_T0_E_clISt17integral_constantIbLb1EES1R_EEDaS1M_S1N_EUlS1M_E_NS1_11comp_targetILNS1_3genE2ELNS1_11target_archE906ELNS1_3gpuE6ELNS1_3repE0EEENS1_30default_config_static_selectorELNS0_4arch9wavefront6targetE0EEEvSZ_,comdat
	.globl	_ZN7rocprim17ROCPRIM_400000_NS6detail17trampoline_kernelINS0_13select_configILj256ELj13ELNS0_17block_load_methodE3ELS4_3ELS4_3ELNS0_20block_scan_algorithmE0ELj4294967295EEENS1_25partition_config_selectorILNS1_17partition_subalgoE4EjNS0_10empty_typeEbEEZZNS1_14partition_implILS8_4ELb0ES6_15HIP_vector_typeIjLj2EENS0_17counting_iteratorIjlEEPS9_SG_NS0_5tupleIJPjSI_NS0_16reverse_iteratorISI_EEEEENSH_IJSG_SG_SG_EEES9_SI_JZNS1_25segmented_radix_sort_implINS0_14default_configELb0EPKlPlSQ_SR_N2at6native12_GLOBAL__N_18offset_tEEE10hipError_tPvRmT1_PNSt15iterator_traitsISZ_E10value_typeET2_T3_PNS10_IS15_E10value_typeET4_jRbjT5_S1B_jjP12ihipStream_tbEUljE_ZNSN_ISO_Lb0ESQ_SR_SQ_SR_SV_EESW_SX_SY_SZ_S13_S14_S15_S18_S19_jS1A_jS1B_S1B_jjS1D_bEUljE0_EEESW_SX_SY_S15_S19_S1B_T6_T7_T9_mT8_S1D_bDpT10_ENKUlT_T0_E_clISt17integral_constantIbLb1EES1R_EEDaS1M_S1N_EUlS1M_E_NS1_11comp_targetILNS1_3genE2ELNS1_11target_archE906ELNS1_3gpuE6ELNS1_3repE0EEENS1_30default_config_static_selectorELNS0_4arch9wavefront6targetE0EEEvSZ_ ; -- Begin function _ZN7rocprim17ROCPRIM_400000_NS6detail17trampoline_kernelINS0_13select_configILj256ELj13ELNS0_17block_load_methodE3ELS4_3ELS4_3ELNS0_20block_scan_algorithmE0ELj4294967295EEENS1_25partition_config_selectorILNS1_17partition_subalgoE4EjNS0_10empty_typeEbEEZZNS1_14partition_implILS8_4ELb0ES6_15HIP_vector_typeIjLj2EENS0_17counting_iteratorIjlEEPS9_SG_NS0_5tupleIJPjSI_NS0_16reverse_iteratorISI_EEEEENSH_IJSG_SG_SG_EEES9_SI_JZNS1_25segmented_radix_sort_implINS0_14default_configELb0EPKlPlSQ_SR_N2at6native12_GLOBAL__N_18offset_tEEE10hipError_tPvRmT1_PNSt15iterator_traitsISZ_E10value_typeET2_T3_PNS10_IS15_E10value_typeET4_jRbjT5_S1B_jjP12ihipStream_tbEUljE_ZNSN_ISO_Lb0ESQ_SR_SQ_SR_SV_EESW_SX_SY_SZ_S13_S14_S15_S18_S19_jS1A_jS1B_S1B_jjS1D_bEUljE0_EEESW_SX_SY_S15_S19_S1B_T6_T7_T9_mT8_S1D_bDpT10_ENKUlT_T0_E_clISt17integral_constantIbLb1EES1R_EEDaS1M_S1N_EUlS1M_E_NS1_11comp_targetILNS1_3genE2ELNS1_11target_archE906ELNS1_3gpuE6ELNS1_3repE0EEENS1_30default_config_static_selectorELNS0_4arch9wavefront6targetE0EEEvSZ_
	.p2align	8
	.type	_ZN7rocprim17ROCPRIM_400000_NS6detail17trampoline_kernelINS0_13select_configILj256ELj13ELNS0_17block_load_methodE3ELS4_3ELS4_3ELNS0_20block_scan_algorithmE0ELj4294967295EEENS1_25partition_config_selectorILNS1_17partition_subalgoE4EjNS0_10empty_typeEbEEZZNS1_14partition_implILS8_4ELb0ES6_15HIP_vector_typeIjLj2EENS0_17counting_iteratorIjlEEPS9_SG_NS0_5tupleIJPjSI_NS0_16reverse_iteratorISI_EEEEENSH_IJSG_SG_SG_EEES9_SI_JZNS1_25segmented_radix_sort_implINS0_14default_configELb0EPKlPlSQ_SR_N2at6native12_GLOBAL__N_18offset_tEEE10hipError_tPvRmT1_PNSt15iterator_traitsISZ_E10value_typeET2_T3_PNS10_IS15_E10value_typeET4_jRbjT5_S1B_jjP12ihipStream_tbEUljE_ZNSN_ISO_Lb0ESQ_SR_SQ_SR_SV_EESW_SX_SY_SZ_S13_S14_S15_S18_S19_jS1A_jS1B_S1B_jjS1D_bEUljE0_EEESW_SX_SY_S15_S19_S1B_T6_T7_T9_mT8_S1D_bDpT10_ENKUlT_T0_E_clISt17integral_constantIbLb1EES1R_EEDaS1M_S1N_EUlS1M_E_NS1_11comp_targetILNS1_3genE2ELNS1_11target_archE906ELNS1_3gpuE6ELNS1_3repE0EEENS1_30default_config_static_selectorELNS0_4arch9wavefront6targetE0EEEvSZ_,@function
_ZN7rocprim17ROCPRIM_400000_NS6detail17trampoline_kernelINS0_13select_configILj256ELj13ELNS0_17block_load_methodE3ELS4_3ELS4_3ELNS0_20block_scan_algorithmE0ELj4294967295EEENS1_25partition_config_selectorILNS1_17partition_subalgoE4EjNS0_10empty_typeEbEEZZNS1_14partition_implILS8_4ELb0ES6_15HIP_vector_typeIjLj2EENS0_17counting_iteratorIjlEEPS9_SG_NS0_5tupleIJPjSI_NS0_16reverse_iteratorISI_EEEEENSH_IJSG_SG_SG_EEES9_SI_JZNS1_25segmented_radix_sort_implINS0_14default_configELb0EPKlPlSQ_SR_N2at6native12_GLOBAL__N_18offset_tEEE10hipError_tPvRmT1_PNSt15iterator_traitsISZ_E10value_typeET2_T3_PNS10_IS15_E10value_typeET4_jRbjT5_S1B_jjP12ihipStream_tbEUljE_ZNSN_ISO_Lb0ESQ_SR_SQ_SR_SV_EESW_SX_SY_SZ_S13_S14_S15_S18_S19_jS1A_jS1B_S1B_jjS1D_bEUljE0_EEESW_SX_SY_S15_S19_S1B_T6_T7_T9_mT8_S1D_bDpT10_ENKUlT_T0_E_clISt17integral_constantIbLb1EES1R_EEDaS1M_S1N_EUlS1M_E_NS1_11comp_targetILNS1_3genE2ELNS1_11target_archE906ELNS1_3gpuE6ELNS1_3repE0EEENS1_30default_config_static_selectorELNS0_4arch9wavefront6targetE0EEEvSZ_: ; @_ZN7rocprim17ROCPRIM_400000_NS6detail17trampoline_kernelINS0_13select_configILj256ELj13ELNS0_17block_load_methodE3ELS4_3ELS4_3ELNS0_20block_scan_algorithmE0ELj4294967295EEENS1_25partition_config_selectorILNS1_17partition_subalgoE4EjNS0_10empty_typeEbEEZZNS1_14partition_implILS8_4ELb0ES6_15HIP_vector_typeIjLj2EENS0_17counting_iteratorIjlEEPS9_SG_NS0_5tupleIJPjSI_NS0_16reverse_iteratorISI_EEEEENSH_IJSG_SG_SG_EEES9_SI_JZNS1_25segmented_radix_sort_implINS0_14default_configELb0EPKlPlSQ_SR_N2at6native12_GLOBAL__N_18offset_tEEE10hipError_tPvRmT1_PNSt15iterator_traitsISZ_E10value_typeET2_T3_PNS10_IS15_E10value_typeET4_jRbjT5_S1B_jjP12ihipStream_tbEUljE_ZNSN_ISO_Lb0ESQ_SR_SQ_SR_SV_EESW_SX_SY_SZ_S13_S14_S15_S18_S19_jS1A_jS1B_S1B_jjS1D_bEUljE0_EEESW_SX_SY_S15_S19_S1B_T6_T7_T9_mT8_S1D_bDpT10_ENKUlT_T0_E_clISt17integral_constantIbLb1EES1R_EEDaS1M_S1N_EUlS1M_E_NS1_11comp_targetILNS1_3genE2ELNS1_11target_archE906ELNS1_3gpuE6ELNS1_3repE0EEENS1_30default_config_static_selectorELNS0_4arch9wavefront6targetE0EEEvSZ_
; %bb.0:
	.section	.rodata,"a",@progbits
	.p2align	6, 0x0
	.amdhsa_kernel _ZN7rocprim17ROCPRIM_400000_NS6detail17trampoline_kernelINS0_13select_configILj256ELj13ELNS0_17block_load_methodE3ELS4_3ELS4_3ELNS0_20block_scan_algorithmE0ELj4294967295EEENS1_25partition_config_selectorILNS1_17partition_subalgoE4EjNS0_10empty_typeEbEEZZNS1_14partition_implILS8_4ELb0ES6_15HIP_vector_typeIjLj2EENS0_17counting_iteratorIjlEEPS9_SG_NS0_5tupleIJPjSI_NS0_16reverse_iteratorISI_EEEEENSH_IJSG_SG_SG_EEES9_SI_JZNS1_25segmented_radix_sort_implINS0_14default_configELb0EPKlPlSQ_SR_N2at6native12_GLOBAL__N_18offset_tEEE10hipError_tPvRmT1_PNSt15iterator_traitsISZ_E10value_typeET2_T3_PNS10_IS15_E10value_typeET4_jRbjT5_S1B_jjP12ihipStream_tbEUljE_ZNSN_ISO_Lb0ESQ_SR_SQ_SR_SV_EESW_SX_SY_SZ_S13_S14_S15_S18_S19_jS1A_jS1B_S1B_jjS1D_bEUljE0_EEESW_SX_SY_S15_S19_S1B_T6_T7_T9_mT8_S1D_bDpT10_ENKUlT_T0_E_clISt17integral_constantIbLb1EES1R_EEDaS1M_S1N_EUlS1M_E_NS1_11comp_targetILNS1_3genE2ELNS1_11target_archE906ELNS1_3gpuE6ELNS1_3repE0EEENS1_30default_config_static_selectorELNS0_4arch9wavefront6targetE0EEEvSZ_
		.amdhsa_group_segment_fixed_size 0
		.amdhsa_private_segment_fixed_size 0
		.amdhsa_kernarg_size 184
		.amdhsa_user_sgpr_count 6
		.amdhsa_user_sgpr_private_segment_buffer 1
		.amdhsa_user_sgpr_dispatch_ptr 0
		.amdhsa_user_sgpr_queue_ptr 0
		.amdhsa_user_sgpr_kernarg_segment_ptr 1
		.amdhsa_user_sgpr_dispatch_id 0
		.amdhsa_user_sgpr_flat_scratch_init 0
		.amdhsa_user_sgpr_private_segment_size 0
		.amdhsa_wavefront_size32 1
		.amdhsa_uses_dynamic_stack 0
		.amdhsa_system_sgpr_private_segment_wavefront_offset 0
		.amdhsa_system_sgpr_workgroup_id_x 1
		.amdhsa_system_sgpr_workgroup_id_y 0
		.amdhsa_system_sgpr_workgroup_id_z 0
		.amdhsa_system_sgpr_workgroup_info 0
		.amdhsa_system_vgpr_workitem_id 0
		.amdhsa_next_free_vgpr 1
		.amdhsa_next_free_sgpr 1
		.amdhsa_reserve_vcc 0
		.amdhsa_reserve_flat_scratch 0
		.amdhsa_float_round_mode_32 0
		.amdhsa_float_round_mode_16_64 0
		.amdhsa_float_denorm_mode_32 3
		.amdhsa_float_denorm_mode_16_64 3
		.amdhsa_dx10_clamp 1
		.amdhsa_ieee_mode 1
		.amdhsa_fp16_overflow 0
		.amdhsa_workgroup_processor_mode 1
		.amdhsa_memory_ordered 1
		.amdhsa_forward_progress 1
		.amdhsa_shared_vgpr_count 0
		.amdhsa_exception_fp_ieee_invalid_op 0
		.amdhsa_exception_fp_denorm_src 0
		.amdhsa_exception_fp_ieee_div_zero 0
		.amdhsa_exception_fp_ieee_overflow 0
		.amdhsa_exception_fp_ieee_underflow 0
		.amdhsa_exception_fp_ieee_inexact 0
		.amdhsa_exception_int_div_zero 0
	.end_amdhsa_kernel
	.section	.text._ZN7rocprim17ROCPRIM_400000_NS6detail17trampoline_kernelINS0_13select_configILj256ELj13ELNS0_17block_load_methodE3ELS4_3ELS4_3ELNS0_20block_scan_algorithmE0ELj4294967295EEENS1_25partition_config_selectorILNS1_17partition_subalgoE4EjNS0_10empty_typeEbEEZZNS1_14partition_implILS8_4ELb0ES6_15HIP_vector_typeIjLj2EENS0_17counting_iteratorIjlEEPS9_SG_NS0_5tupleIJPjSI_NS0_16reverse_iteratorISI_EEEEENSH_IJSG_SG_SG_EEES9_SI_JZNS1_25segmented_radix_sort_implINS0_14default_configELb0EPKlPlSQ_SR_N2at6native12_GLOBAL__N_18offset_tEEE10hipError_tPvRmT1_PNSt15iterator_traitsISZ_E10value_typeET2_T3_PNS10_IS15_E10value_typeET4_jRbjT5_S1B_jjP12ihipStream_tbEUljE_ZNSN_ISO_Lb0ESQ_SR_SQ_SR_SV_EESW_SX_SY_SZ_S13_S14_S15_S18_S19_jS1A_jS1B_S1B_jjS1D_bEUljE0_EEESW_SX_SY_S15_S19_S1B_T6_T7_T9_mT8_S1D_bDpT10_ENKUlT_T0_E_clISt17integral_constantIbLb1EES1R_EEDaS1M_S1N_EUlS1M_E_NS1_11comp_targetILNS1_3genE2ELNS1_11target_archE906ELNS1_3gpuE6ELNS1_3repE0EEENS1_30default_config_static_selectorELNS0_4arch9wavefront6targetE0EEEvSZ_,"axG",@progbits,_ZN7rocprim17ROCPRIM_400000_NS6detail17trampoline_kernelINS0_13select_configILj256ELj13ELNS0_17block_load_methodE3ELS4_3ELS4_3ELNS0_20block_scan_algorithmE0ELj4294967295EEENS1_25partition_config_selectorILNS1_17partition_subalgoE4EjNS0_10empty_typeEbEEZZNS1_14partition_implILS8_4ELb0ES6_15HIP_vector_typeIjLj2EENS0_17counting_iteratorIjlEEPS9_SG_NS0_5tupleIJPjSI_NS0_16reverse_iteratorISI_EEEEENSH_IJSG_SG_SG_EEES9_SI_JZNS1_25segmented_radix_sort_implINS0_14default_configELb0EPKlPlSQ_SR_N2at6native12_GLOBAL__N_18offset_tEEE10hipError_tPvRmT1_PNSt15iterator_traitsISZ_E10value_typeET2_T3_PNS10_IS15_E10value_typeET4_jRbjT5_S1B_jjP12ihipStream_tbEUljE_ZNSN_ISO_Lb0ESQ_SR_SQ_SR_SV_EESW_SX_SY_SZ_S13_S14_S15_S18_S19_jS1A_jS1B_S1B_jjS1D_bEUljE0_EEESW_SX_SY_S15_S19_S1B_T6_T7_T9_mT8_S1D_bDpT10_ENKUlT_T0_E_clISt17integral_constantIbLb1EES1R_EEDaS1M_S1N_EUlS1M_E_NS1_11comp_targetILNS1_3genE2ELNS1_11target_archE906ELNS1_3gpuE6ELNS1_3repE0EEENS1_30default_config_static_selectorELNS0_4arch9wavefront6targetE0EEEvSZ_,comdat
.Lfunc_end749:
	.size	_ZN7rocprim17ROCPRIM_400000_NS6detail17trampoline_kernelINS0_13select_configILj256ELj13ELNS0_17block_load_methodE3ELS4_3ELS4_3ELNS0_20block_scan_algorithmE0ELj4294967295EEENS1_25partition_config_selectorILNS1_17partition_subalgoE4EjNS0_10empty_typeEbEEZZNS1_14partition_implILS8_4ELb0ES6_15HIP_vector_typeIjLj2EENS0_17counting_iteratorIjlEEPS9_SG_NS0_5tupleIJPjSI_NS0_16reverse_iteratorISI_EEEEENSH_IJSG_SG_SG_EEES9_SI_JZNS1_25segmented_radix_sort_implINS0_14default_configELb0EPKlPlSQ_SR_N2at6native12_GLOBAL__N_18offset_tEEE10hipError_tPvRmT1_PNSt15iterator_traitsISZ_E10value_typeET2_T3_PNS10_IS15_E10value_typeET4_jRbjT5_S1B_jjP12ihipStream_tbEUljE_ZNSN_ISO_Lb0ESQ_SR_SQ_SR_SV_EESW_SX_SY_SZ_S13_S14_S15_S18_S19_jS1A_jS1B_S1B_jjS1D_bEUljE0_EEESW_SX_SY_S15_S19_S1B_T6_T7_T9_mT8_S1D_bDpT10_ENKUlT_T0_E_clISt17integral_constantIbLb1EES1R_EEDaS1M_S1N_EUlS1M_E_NS1_11comp_targetILNS1_3genE2ELNS1_11target_archE906ELNS1_3gpuE6ELNS1_3repE0EEENS1_30default_config_static_selectorELNS0_4arch9wavefront6targetE0EEEvSZ_, .Lfunc_end749-_ZN7rocprim17ROCPRIM_400000_NS6detail17trampoline_kernelINS0_13select_configILj256ELj13ELNS0_17block_load_methodE3ELS4_3ELS4_3ELNS0_20block_scan_algorithmE0ELj4294967295EEENS1_25partition_config_selectorILNS1_17partition_subalgoE4EjNS0_10empty_typeEbEEZZNS1_14partition_implILS8_4ELb0ES6_15HIP_vector_typeIjLj2EENS0_17counting_iteratorIjlEEPS9_SG_NS0_5tupleIJPjSI_NS0_16reverse_iteratorISI_EEEEENSH_IJSG_SG_SG_EEES9_SI_JZNS1_25segmented_radix_sort_implINS0_14default_configELb0EPKlPlSQ_SR_N2at6native12_GLOBAL__N_18offset_tEEE10hipError_tPvRmT1_PNSt15iterator_traitsISZ_E10value_typeET2_T3_PNS10_IS15_E10value_typeET4_jRbjT5_S1B_jjP12ihipStream_tbEUljE_ZNSN_ISO_Lb0ESQ_SR_SQ_SR_SV_EESW_SX_SY_SZ_S13_S14_S15_S18_S19_jS1A_jS1B_S1B_jjS1D_bEUljE0_EEESW_SX_SY_S15_S19_S1B_T6_T7_T9_mT8_S1D_bDpT10_ENKUlT_T0_E_clISt17integral_constantIbLb1EES1R_EEDaS1M_S1N_EUlS1M_E_NS1_11comp_targetILNS1_3genE2ELNS1_11target_archE906ELNS1_3gpuE6ELNS1_3repE0EEENS1_30default_config_static_selectorELNS0_4arch9wavefront6targetE0EEEvSZ_
                                        ; -- End function
	.set _ZN7rocprim17ROCPRIM_400000_NS6detail17trampoline_kernelINS0_13select_configILj256ELj13ELNS0_17block_load_methodE3ELS4_3ELS4_3ELNS0_20block_scan_algorithmE0ELj4294967295EEENS1_25partition_config_selectorILNS1_17partition_subalgoE4EjNS0_10empty_typeEbEEZZNS1_14partition_implILS8_4ELb0ES6_15HIP_vector_typeIjLj2EENS0_17counting_iteratorIjlEEPS9_SG_NS0_5tupleIJPjSI_NS0_16reverse_iteratorISI_EEEEENSH_IJSG_SG_SG_EEES9_SI_JZNS1_25segmented_radix_sort_implINS0_14default_configELb0EPKlPlSQ_SR_N2at6native12_GLOBAL__N_18offset_tEEE10hipError_tPvRmT1_PNSt15iterator_traitsISZ_E10value_typeET2_T3_PNS10_IS15_E10value_typeET4_jRbjT5_S1B_jjP12ihipStream_tbEUljE_ZNSN_ISO_Lb0ESQ_SR_SQ_SR_SV_EESW_SX_SY_SZ_S13_S14_S15_S18_S19_jS1A_jS1B_S1B_jjS1D_bEUljE0_EEESW_SX_SY_S15_S19_S1B_T6_T7_T9_mT8_S1D_bDpT10_ENKUlT_T0_E_clISt17integral_constantIbLb1EES1R_EEDaS1M_S1N_EUlS1M_E_NS1_11comp_targetILNS1_3genE2ELNS1_11target_archE906ELNS1_3gpuE6ELNS1_3repE0EEENS1_30default_config_static_selectorELNS0_4arch9wavefront6targetE0EEEvSZ_.num_vgpr, 0
	.set _ZN7rocprim17ROCPRIM_400000_NS6detail17trampoline_kernelINS0_13select_configILj256ELj13ELNS0_17block_load_methodE3ELS4_3ELS4_3ELNS0_20block_scan_algorithmE0ELj4294967295EEENS1_25partition_config_selectorILNS1_17partition_subalgoE4EjNS0_10empty_typeEbEEZZNS1_14partition_implILS8_4ELb0ES6_15HIP_vector_typeIjLj2EENS0_17counting_iteratorIjlEEPS9_SG_NS0_5tupleIJPjSI_NS0_16reverse_iteratorISI_EEEEENSH_IJSG_SG_SG_EEES9_SI_JZNS1_25segmented_radix_sort_implINS0_14default_configELb0EPKlPlSQ_SR_N2at6native12_GLOBAL__N_18offset_tEEE10hipError_tPvRmT1_PNSt15iterator_traitsISZ_E10value_typeET2_T3_PNS10_IS15_E10value_typeET4_jRbjT5_S1B_jjP12ihipStream_tbEUljE_ZNSN_ISO_Lb0ESQ_SR_SQ_SR_SV_EESW_SX_SY_SZ_S13_S14_S15_S18_S19_jS1A_jS1B_S1B_jjS1D_bEUljE0_EEESW_SX_SY_S15_S19_S1B_T6_T7_T9_mT8_S1D_bDpT10_ENKUlT_T0_E_clISt17integral_constantIbLb1EES1R_EEDaS1M_S1N_EUlS1M_E_NS1_11comp_targetILNS1_3genE2ELNS1_11target_archE906ELNS1_3gpuE6ELNS1_3repE0EEENS1_30default_config_static_selectorELNS0_4arch9wavefront6targetE0EEEvSZ_.num_agpr, 0
	.set _ZN7rocprim17ROCPRIM_400000_NS6detail17trampoline_kernelINS0_13select_configILj256ELj13ELNS0_17block_load_methodE3ELS4_3ELS4_3ELNS0_20block_scan_algorithmE0ELj4294967295EEENS1_25partition_config_selectorILNS1_17partition_subalgoE4EjNS0_10empty_typeEbEEZZNS1_14partition_implILS8_4ELb0ES6_15HIP_vector_typeIjLj2EENS0_17counting_iteratorIjlEEPS9_SG_NS0_5tupleIJPjSI_NS0_16reverse_iteratorISI_EEEEENSH_IJSG_SG_SG_EEES9_SI_JZNS1_25segmented_radix_sort_implINS0_14default_configELb0EPKlPlSQ_SR_N2at6native12_GLOBAL__N_18offset_tEEE10hipError_tPvRmT1_PNSt15iterator_traitsISZ_E10value_typeET2_T3_PNS10_IS15_E10value_typeET4_jRbjT5_S1B_jjP12ihipStream_tbEUljE_ZNSN_ISO_Lb0ESQ_SR_SQ_SR_SV_EESW_SX_SY_SZ_S13_S14_S15_S18_S19_jS1A_jS1B_S1B_jjS1D_bEUljE0_EEESW_SX_SY_S15_S19_S1B_T6_T7_T9_mT8_S1D_bDpT10_ENKUlT_T0_E_clISt17integral_constantIbLb1EES1R_EEDaS1M_S1N_EUlS1M_E_NS1_11comp_targetILNS1_3genE2ELNS1_11target_archE906ELNS1_3gpuE6ELNS1_3repE0EEENS1_30default_config_static_selectorELNS0_4arch9wavefront6targetE0EEEvSZ_.numbered_sgpr, 0
	.set _ZN7rocprim17ROCPRIM_400000_NS6detail17trampoline_kernelINS0_13select_configILj256ELj13ELNS0_17block_load_methodE3ELS4_3ELS4_3ELNS0_20block_scan_algorithmE0ELj4294967295EEENS1_25partition_config_selectorILNS1_17partition_subalgoE4EjNS0_10empty_typeEbEEZZNS1_14partition_implILS8_4ELb0ES6_15HIP_vector_typeIjLj2EENS0_17counting_iteratorIjlEEPS9_SG_NS0_5tupleIJPjSI_NS0_16reverse_iteratorISI_EEEEENSH_IJSG_SG_SG_EEES9_SI_JZNS1_25segmented_radix_sort_implINS0_14default_configELb0EPKlPlSQ_SR_N2at6native12_GLOBAL__N_18offset_tEEE10hipError_tPvRmT1_PNSt15iterator_traitsISZ_E10value_typeET2_T3_PNS10_IS15_E10value_typeET4_jRbjT5_S1B_jjP12ihipStream_tbEUljE_ZNSN_ISO_Lb0ESQ_SR_SQ_SR_SV_EESW_SX_SY_SZ_S13_S14_S15_S18_S19_jS1A_jS1B_S1B_jjS1D_bEUljE0_EEESW_SX_SY_S15_S19_S1B_T6_T7_T9_mT8_S1D_bDpT10_ENKUlT_T0_E_clISt17integral_constantIbLb1EES1R_EEDaS1M_S1N_EUlS1M_E_NS1_11comp_targetILNS1_3genE2ELNS1_11target_archE906ELNS1_3gpuE6ELNS1_3repE0EEENS1_30default_config_static_selectorELNS0_4arch9wavefront6targetE0EEEvSZ_.num_named_barrier, 0
	.set _ZN7rocprim17ROCPRIM_400000_NS6detail17trampoline_kernelINS0_13select_configILj256ELj13ELNS0_17block_load_methodE3ELS4_3ELS4_3ELNS0_20block_scan_algorithmE0ELj4294967295EEENS1_25partition_config_selectorILNS1_17partition_subalgoE4EjNS0_10empty_typeEbEEZZNS1_14partition_implILS8_4ELb0ES6_15HIP_vector_typeIjLj2EENS0_17counting_iteratorIjlEEPS9_SG_NS0_5tupleIJPjSI_NS0_16reverse_iteratorISI_EEEEENSH_IJSG_SG_SG_EEES9_SI_JZNS1_25segmented_radix_sort_implINS0_14default_configELb0EPKlPlSQ_SR_N2at6native12_GLOBAL__N_18offset_tEEE10hipError_tPvRmT1_PNSt15iterator_traitsISZ_E10value_typeET2_T3_PNS10_IS15_E10value_typeET4_jRbjT5_S1B_jjP12ihipStream_tbEUljE_ZNSN_ISO_Lb0ESQ_SR_SQ_SR_SV_EESW_SX_SY_SZ_S13_S14_S15_S18_S19_jS1A_jS1B_S1B_jjS1D_bEUljE0_EEESW_SX_SY_S15_S19_S1B_T6_T7_T9_mT8_S1D_bDpT10_ENKUlT_T0_E_clISt17integral_constantIbLb1EES1R_EEDaS1M_S1N_EUlS1M_E_NS1_11comp_targetILNS1_3genE2ELNS1_11target_archE906ELNS1_3gpuE6ELNS1_3repE0EEENS1_30default_config_static_selectorELNS0_4arch9wavefront6targetE0EEEvSZ_.private_seg_size, 0
	.set _ZN7rocprim17ROCPRIM_400000_NS6detail17trampoline_kernelINS0_13select_configILj256ELj13ELNS0_17block_load_methodE3ELS4_3ELS4_3ELNS0_20block_scan_algorithmE0ELj4294967295EEENS1_25partition_config_selectorILNS1_17partition_subalgoE4EjNS0_10empty_typeEbEEZZNS1_14partition_implILS8_4ELb0ES6_15HIP_vector_typeIjLj2EENS0_17counting_iteratorIjlEEPS9_SG_NS0_5tupleIJPjSI_NS0_16reverse_iteratorISI_EEEEENSH_IJSG_SG_SG_EEES9_SI_JZNS1_25segmented_radix_sort_implINS0_14default_configELb0EPKlPlSQ_SR_N2at6native12_GLOBAL__N_18offset_tEEE10hipError_tPvRmT1_PNSt15iterator_traitsISZ_E10value_typeET2_T3_PNS10_IS15_E10value_typeET4_jRbjT5_S1B_jjP12ihipStream_tbEUljE_ZNSN_ISO_Lb0ESQ_SR_SQ_SR_SV_EESW_SX_SY_SZ_S13_S14_S15_S18_S19_jS1A_jS1B_S1B_jjS1D_bEUljE0_EEESW_SX_SY_S15_S19_S1B_T6_T7_T9_mT8_S1D_bDpT10_ENKUlT_T0_E_clISt17integral_constantIbLb1EES1R_EEDaS1M_S1N_EUlS1M_E_NS1_11comp_targetILNS1_3genE2ELNS1_11target_archE906ELNS1_3gpuE6ELNS1_3repE0EEENS1_30default_config_static_selectorELNS0_4arch9wavefront6targetE0EEEvSZ_.uses_vcc, 0
	.set _ZN7rocprim17ROCPRIM_400000_NS6detail17trampoline_kernelINS0_13select_configILj256ELj13ELNS0_17block_load_methodE3ELS4_3ELS4_3ELNS0_20block_scan_algorithmE0ELj4294967295EEENS1_25partition_config_selectorILNS1_17partition_subalgoE4EjNS0_10empty_typeEbEEZZNS1_14partition_implILS8_4ELb0ES6_15HIP_vector_typeIjLj2EENS0_17counting_iteratorIjlEEPS9_SG_NS0_5tupleIJPjSI_NS0_16reverse_iteratorISI_EEEEENSH_IJSG_SG_SG_EEES9_SI_JZNS1_25segmented_radix_sort_implINS0_14default_configELb0EPKlPlSQ_SR_N2at6native12_GLOBAL__N_18offset_tEEE10hipError_tPvRmT1_PNSt15iterator_traitsISZ_E10value_typeET2_T3_PNS10_IS15_E10value_typeET4_jRbjT5_S1B_jjP12ihipStream_tbEUljE_ZNSN_ISO_Lb0ESQ_SR_SQ_SR_SV_EESW_SX_SY_SZ_S13_S14_S15_S18_S19_jS1A_jS1B_S1B_jjS1D_bEUljE0_EEESW_SX_SY_S15_S19_S1B_T6_T7_T9_mT8_S1D_bDpT10_ENKUlT_T0_E_clISt17integral_constantIbLb1EES1R_EEDaS1M_S1N_EUlS1M_E_NS1_11comp_targetILNS1_3genE2ELNS1_11target_archE906ELNS1_3gpuE6ELNS1_3repE0EEENS1_30default_config_static_selectorELNS0_4arch9wavefront6targetE0EEEvSZ_.uses_flat_scratch, 0
	.set _ZN7rocprim17ROCPRIM_400000_NS6detail17trampoline_kernelINS0_13select_configILj256ELj13ELNS0_17block_load_methodE3ELS4_3ELS4_3ELNS0_20block_scan_algorithmE0ELj4294967295EEENS1_25partition_config_selectorILNS1_17partition_subalgoE4EjNS0_10empty_typeEbEEZZNS1_14partition_implILS8_4ELb0ES6_15HIP_vector_typeIjLj2EENS0_17counting_iteratorIjlEEPS9_SG_NS0_5tupleIJPjSI_NS0_16reverse_iteratorISI_EEEEENSH_IJSG_SG_SG_EEES9_SI_JZNS1_25segmented_radix_sort_implINS0_14default_configELb0EPKlPlSQ_SR_N2at6native12_GLOBAL__N_18offset_tEEE10hipError_tPvRmT1_PNSt15iterator_traitsISZ_E10value_typeET2_T3_PNS10_IS15_E10value_typeET4_jRbjT5_S1B_jjP12ihipStream_tbEUljE_ZNSN_ISO_Lb0ESQ_SR_SQ_SR_SV_EESW_SX_SY_SZ_S13_S14_S15_S18_S19_jS1A_jS1B_S1B_jjS1D_bEUljE0_EEESW_SX_SY_S15_S19_S1B_T6_T7_T9_mT8_S1D_bDpT10_ENKUlT_T0_E_clISt17integral_constantIbLb1EES1R_EEDaS1M_S1N_EUlS1M_E_NS1_11comp_targetILNS1_3genE2ELNS1_11target_archE906ELNS1_3gpuE6ELNS1_3repE0EEENS1_30default_config_static_selectorELNS0_4arch9wavefront6targetE0EEEvSZ_.has_dyn_sized_stack, 0
	.set _ZN7rocprim17ROCPRIM_400000_NS6detail17trampoline_kernelINS0_13select_configILj256ELj13ELNS0_17block_load_methodE3ELS4_3ELS4_3ELNS0_20block_scan_algorithmE0ELj4294967295EEENS1_25partition_config_selectorILNS1_17partition_subalgoE4EjNS0_10empty_typeEbEEZZNS1_14partition_implILS8_4ELb0ES6_15HIP_vector_typeIjLj2EENS0_17counting_iteratorIjlEEPS9_SG_NS0_5tupleIJPjSI_NS0_16reverse_iteratorISI_EEEEENSH_IJSG_SG_SG_EEES9_SI_JZNS1_25segmented_radix_sort_implINS0_14default_configELb0EPKlPlSQ_SR_N2at6native12_GLOBAL__N_18offset_tEEE10hipError_tPvRmT1_PNSt15iterator_traitsISZ_E10value_typeET2_T3_PNS10_IS15_E10value_typeET4_jRbjT5_S1B_jjP12ihipStream_tbEUljE_ZNSN_ISO_Lb0ESQ_SR_SQ_SR_SV_EESW_SX_SY_SZ_S13_S14_S15_S18_S19_jS1A_jS1B_S1B_jjS1D_bEUljE0_EEESW_SX_SY_S15_S19_S1B_T6_T7_T9_mT8_S1D_bDpT10_ENKUlT_T0_E_clISt17integral_constantIbLb1EES1R_EEDaS1M_S1N_EUlS1M_E_NS1_11comp_targetILNS1_3genE2ELNS1_11target_archE906ELNS1_3gpuE6ELNS1_3repE0EEENS1_30default_config_static_selectorELNS0_4arch9wavefront6targetE0EEEvSZ_.has_recursion, 0
	.set _ZN7rocprim17ROCPRIM_400000_NS6detail17trampoline_kernelINS0_13select_configILj256ELj13ELNS0_17block_load_methodE3ELS4_3ELS4_3ELNS0_20block_scan_algorithmE0ELj4294967295EEENS1_25partition_config_selectorILNS1_17partition_subalgoE4EjNS0_10empty_typeEbEEZZNS1_14partition_implILS8_4ELb0ES6_15HIP_vector_typeIjLj2EENS0_17counting_iteratorIjlEEPS9_SG_NS0_5tupleIJPjSI_NS0_16reverse_iteratorISI_EEEEENSH_IJSG_SG_SG_EEES9_SI_JZNS1_25segmented_radix_sort_implINS0_14default_configELb0EPKlPlSQ_SR_N2at6native12_GLOBAL__N_18offset_tEEE10hipError_tPvRmT1_PNSt15iterator_traitsISZ_E10value_typeET2_T3_PNS10_IS15_E10value_typeET4_jRbjT5_S1B_jjP12ihipStream_tbEUljE_ZNSN_ISO_Lb0ESQ_SR_SQ_SR_SV_EESW_SX_SY_SZ_S13_S14_S15_S18_S19_jS1A_jS1B_S1B_jjS1D_bEUljE0_EEESW_SX_SY_S15_S19_S1B_T6_T7_T9_mT8_S1D_bDpT10_ENKUlT_T0_E_clISt17integral_constantIbLb1EES1R_EEDaS1M_S1N_EUlS1M_E_NS1_11comp_targetILNS1_3genE2ELNS1_11target_archE906ELNS1_3gpuE6ELNS1_3repE0EEENS1_30default_config_static_selectorELNS0_4arch9wavefront6targetE0EEEvSZ_.has_indirect_call, 0
	.section	.AMDGPU.csdata,"",@progbits
; Kernel info:
; codeLenInByte = 0
; TotalNumSgprs: 0
; NumVgprs: 0
; ScratchSize: 0
; MemoryBound: 0
; FloatMode: 240
; IeeeMode: 1
; LDSByteSize: 0 bytes/workgroup (compile time only)
; SGPRBlocks: 0
; VGPRBlocks: 0
; NumSGPRsForWavesPerEU: 1
; NumVGPRsForWavesPerEU: 1
; Occupancy: 16
; WaveLimiterHint : 0
; COMPUTE_PGM_RSRC2:SCRATCH_EN: 0
; COMPUTE_PGM_RSRC2:USER_SGPR: 6
; COMPUTE_PGM_RSRC2:TRAP_HANDLER: 0
; COMPUTE_PGM_RSRC2:TGID_X_EN: 1
; COMPUTE_PGM_RSRC2:TGID_Y_EN: 0
; COMPUTE_PGM_RSRC2:TGID_Z_EN: 0
; COMPUTE_PGM_RSRC2:TIDIG_COMP_CNT: 0
	.section	.text._ZN7rocprim17ROCPRIM_400000_NS6detail17trampoline_kernelINS0_13select_configILj256ELj13ELNS0_17block_load_methodE3ELS4_3ELS4_3ELNS0_20block_scan_algorithmE0ELj4294967295EEENS1_25partition_config_selectorILNS1_17partition_subalgoE4EjNS0_10empty_typeEbEEZZNS1_14partition_implILS8_4ELb0ES6_15HIP_vector_typeIjLj2EENS0_17counting_iteratorIjlEEPS9_SG_NS0_5tupleIJPjSI_NS0_16reverse_iteratorISI_EEEEENSH_IJSG_SG_SG_EEES9_SI_JZNS1_25segmented_radix_sort_implINS0_14default_configELb0EPKlPlSQ_SR_N2at6native12_GLOBAL__N_18offset_tEEE10hipError_tPvRmT1_PNSt15iterator_traitsISZ_E10value_typeET2_T3_PNS10_IS15_E10value_typeET4_jRbjT5_S1B_jjP12ihipStream_tbEUljE_ZNSN_ISO_Lb0ESQ_SR_SQ_SR_SV_EESW_SX_SY_SZ_S13_S14_S15_S18_S19_jS1A_jS1B_S1B_jjS1D_bEUljE0_EEESW_SX_SY_S15_S19_S1B_T6_T7_T9_mT8_S1D_bDpT10_ENKUlT_T0_E_clISt17integral_constantIbLb1EES1R_EEDaS1M_S1N_EUlS1M_E_NS1_11comp_targetILNS1_3genE10ELNS1_11target_archE1200ELNS1_3gpuE4ELNS1_3repE0EEENS1_30default_config_static_selectorELNS0_4arch9wavefront6targetE0EEEvSZ_,"axG",@progbits,_ZN7rocprim17ROCPRIM_400000_NS6detail17trampoline_kernelINS0_13select_configILj256ELj13ELNS0_17block_load_methodE3ELS4_3ELS4_3ELNS0_20block_scan_algorithmE0ELj4294967295EEENS1_25partition_config_selectorILNS1_17partition_subalgoE4EjNS0_10empty_typeEbEEZZNS1_14partition_implILS8_4ELb0ES6_15HIP_vector_typeIjLj2EENS0_17counting_iteratorIjlEEPS9_SG_NS0_5tupleIJPjSI_NS0_16reverse_iteratorISI_EEEEENSH_IJSG_SG_SG_EEES9_SI_JZNS1_25segmented_radix_sort_implINS0_14default_configELb0EPKlPlSQ_SR_N2at6native12_GLOBAL__N_18offset_tEEE10hipError_tPvRmT1_PNSt15iterator_traitsISZ_E10value_typeET2_T3_PNS10_IS15_E10value_typeET4_jRbjT5_S1B_jjP12ihipStream_tbEUljE_ZNSN_ISO_Lb0ESQ_SR_SQ_SR_SV_EESW_SX_SY_SZ_S13_S14_S15_S18_S19_jS1A_jS1B_S1B_jjS1D_bEUljE0_EEESW_SX_SY_S15_S19_S1B_T6_T7_T9_mT8_S1D_bDpT10_ENKUlT_T0_E_clISt17integral_constantIbLb1EES1R_EEDaS1M_S1N_EUlS1M_E_NS1_11comp_targetILNS1_3genE10ELNS1_11target_archE1200ELNS1_3gpuE4ELNS1_3repE0EEENS1_30default_config_static_selectorELNS0_4arch9wavefront6targetE0EEEvSZ_,comdat
	.globl	_ZN7rocprim17ROCPRIM_400000_NS6detail17trampoline_kernelINS0_13select_configILj256ELj13ELNS0_17block_load_methodE3ELS4_3ELS4_3ELNS0_20block_scan_algorithmE0ELj4294967295EEENS1_25partition_config_selectorILNS1_17partition_subalgoE4EjNS0_10empty_typeEbEEZZNS1_14partition_implILS8_4ELb0ES6_15HIP_vector_typeIjLj2EENS0_17counting_iteratorIjlEEPS9_SG_NS0_5tupleIJPjSI_NS0_16reverse_iteratorISI_EEEEENSH_IJSG_SG_SG_EEES9_SI_JZNS1_25segmented_radix_sort_implINS0_14default_configELb0EPKlPlSQ_SR_N2at6native12_GLOBAL__N_18offset_tEEE10hipError_tPvRmT1_PNSt15iterator_traitsISZ_E10value_typeET2_T3_PNS10_IS15_E10value_typeET4_jRbjT5_S1B_jjP12ihipStream_tbEUljE_ZNSN_ISO_Lb0ESQ_SR_SQ_SR_SV_EESW_SX_SY_SZ_S13_S14_S15_S18_S19_jS1A_jS1B_S1B_jjS1D_bEUljE0_EEESW_SX_SY_S15_S19_S1B_T6_T7_T9_mT8_S1D_bDpT10_ENKUlT_T0_E_clISt17integral_constantIbLb1EES1R_EEDaS1M_S1N_EUlS1M_E_NS1_11comp_targetILNS1_3genE10ELNS1_11target_archE1200ELNS1_3gpuE4ELNS1_3repE0EEENS1_30default_config_static_selectorELNS0_4arch9wavefront6targetE0EEEvSZ_ ; -- Begin function _ZN7rocprim17ROCPRIM_400000_NS6detail17trampoline_kernelINS0_13select_configILj256ELj13ELNS0_17block_load_methodE3ELS4_3ELS4_3ELNS0_20block_scan_algorithmE0ELj4294967295EEENS1_25partition_config_selectorILNS1_17partition_subalgoE4EjNS0_10empty_typeEbEEZZNS1_14partition_implILS8_4ELb0ES6_15HIP_vector_typeIjLj2EENS0_17counting_iteratorIjlEEPS9_SG_NS0_5tupleIJPjSI_NS0_16reverse_iteratorISI_EEEEENSH_IJSG_SG_SG_EEES9_SI_JZNS1_25segmented_radix_sort_implINS0_14default_configELb0EPKlPlSQ_SR_N2at6native12_GLOBAL__N_18offset_tEEE10hipError_tPvRmT1_PNSt15iterator_traitsISZ_E10value_typeET2_T3_PNS10_IS15_E10value_typeET4_jRbjT5_S1B_jjP12ihipStream_tbEUljE_ZNSN_ISO_Lb0ESQ_SR_SQ_SR_SV_EESW_SX_SY_SZ_S13_S14_S15_S18_S19_jS1A_jS1B_S1B_jjS1D_bEUljE0_EEESW_SX_SY_S15_S19_S1B_T6_T7_T9_mT8_S1D_bDpT10_ENKUlT_T0_E_clISt17integral_constantIbLb1EES1R_EEDaS1M_S1N_EUlS1M_E_NS1_11comp_targetILNS1_3genE10ELNS1_11target_archE1200ELNS1_3gpuE4ELNS1_3repE0EEENS1_30default_config_static_selectorELNS0_4arch9wavefront6targetE0EEEvSZ_
	.p2align	8
	.type	_ZN7rocprim17ROCPRIM_400000_NS6detail17trampoline_kernelINS0_13select_configILj256ELj13ELNS0_17block_load_methodE3ELS4_3ELS4_3ELNS0_20block_scan_algorithmE0ELj4294967295EEENS1_25partition_config_selectorILNS1_17partition_subalgoE4EjNS0_10empty_typeEbEEZZNS1_14partition_implILS8_4ELb0ES6_15HIP_vector_typeIjLj2EENS0_17counting_iteratorIjlEEPS9_SG_NS0_5tupleIJPjSI_NS0_16reverse_iteratorISI_EEEEENSH_IJSG_SG_SG_EEES9_SI_JZNS1_25segmented_radix_sort_implINS0_14default_configELb0EPKlPlSQ_SR_N2at6native12_GLOBAL__N_18offset_tEEE10hipError_tPvRmT1_PNSt15iterator_traitsISZ_E10value_typeET2_T3_PNS10_IS15_E10value_typeET4_jRbjT5_S1B_jjP12ihipStream_tbEUljE_ZNSN_ISO_Lb0ESQ_SR_SQ_SR_SV_EESW_SX_SY_SZ_S13_S14_S15_S18_S19_jS1A_jS1B_S1B_jjS1D_bEUljE0_EEESW_SX_SY_S15_S19_S1B_T6_T7_T9_mT8_S1D_bDpT10_ENKUlT_T0_E_clISt17integral_constantIbLb1EES1R_EEDaS1M_S1N_EUlS1M_E_NS1_11comp_targetILNS1_3genE10ELNS1_11target_archE1200ELNS1_3gpuE4ELNS1_3repE0EEENS1_30default_config_static_selectorELNS0_4arch9wavefront6targetE0EEEvSZ_,@function
_ZN7rocprim17ROCPRIM_400000_NS6detail17trampoline_kernelINS0_13select_configILj256ELj13ELNS0_17block_load_methodE3ELS4_3ELS4_3ELNS0_20block_scan_algorithmE0ELj4294967295EEENS1_25partition_config_selectorILNS1_17partition_subalgoE4EjNS0_10empty_typeEbEEZZNS1_14partition_implILS8_4ELb0ES6_15HIP_vector_typeIjLj2EENS0_17counting_iteratorIjlEEPS9_SG_NS0_5tupleIJPjSI_NS0_16reverse_iteratorISI_EEEEENSH_IJSG_SG_SG_EEES9_SI_JZNS1_25segmented_radix_sort_implINS0_14default_configELb0EPKlPlSQ_SR_N2at6native12_GLOBAL__N_18offset_tEEE10hipError_tPvRmT1_PNSt15iterator_traitsISZ_E10value_typeET2_T3_PNS10_IS15_E10value_typeET4_jRbjT5_S1B_jjP12ihipStream_tbEUljE_ZNSN_ISO_Lb0ESQ_SR_SQ_SR_SV_EESW_SX_SY_SZ_S13_S14_S15_S18_S19_jS1A_jS1B_S1B_jjS1D_bEUljE0_EEESW_SX_SY_S15_S19_S1B_T6_T7_T9_mT8_S1D_bDpT10_ENKUlT_T0_E_clISt17integral_constantIbLb1EES1R_EEDaS1M_S1N_EUlS1M_E_NS1_11comp_targetILNS1_3genE10ELNS1_11target_archE1200ELNS1_3gpuE4ELNS1_3repE0EEENS1_30default_config_static_selectorELNS0_4arch9wavefront6targetE0EEEvSZ_: ; @_ZN7rocprim17ROCPRIM_400000_NS6detail17trampoline_kernelINS0_13select_configILj256ELj13ELNS0_17block_load_methodE3ELS4_3ELS4_3ELNS0_20block_scan_algorithmE0ELj4294967295EEENS1_25partition_config_selectorILNS1_17partition_subalgoE4EjNS0_10empty_typeEbEEZZNS1_14partition_implILS8_4ELb0ES6_15HIP_vector_typeIjLj2EENS0_17counting_iteratorIjlEEPS9_SG_NS0_5tupleIJPjSI_NS0_16reverse_iteratorISI_EEEEENSH_IJSG_SG_SG_EEES9_SI_JZNS1_25segmented_radix_sort_implINS0_14default_configELb0EPKlPlSQ_SR_N2at6native12_GLOBAL__N_18offset_tEEE10hipError_tPvRmT1_PNSt15iterator_traitsISZ_E10value_typeET2_T3_PNS10_IS15_E10value_typeET4_jRbjT5_S1B_jjP12ihipStream_tbEUljE_ZNSN_ISO_Lb0ESQ_SR_SQ_SR_SV_EESW_SX_SY_SZ_S13_S14_S15_S18_S19_jS1A_jS1B_S1B_jjS1D_bEUljE0_EEESW_SX_SY_S15_S19_S1B_T6_T7_T9_mT8_S1D_bDpT10_ENKUlT_T0_E_clISt17integral_constantIbLb1EES1R_EEDaS1M_S1N_EUlS1M_E_NS1_11comp_targetILNS1_3genE10ELNS1_11target_archE1200ELNS1_3gpuE4ELNS1_3repE0EEENS1_30default_config_static_selectorELNS0_4arch9wavefront6targetE0EEEvSZ_
; %bb.0:
	.section	.rodata,"a",@progbits
	.p2align	6, 0x0
	.amdhsa_kernel _ZN7rocprim17ROCPRIM_400000_NS6detail17trampoline_kernelINS0_13select_configILj256ELj13ELNS0_17block_load_methodE3ELS4_3ELS4_3ELNS0_20block_scan_algorithmE0ELj4294967295EEENS1_25partition_config_selectorILNS1_17partition_subalgoE4EjNS0_10empty_typeEbEEZZNS1_14partition_implILS8_4ELb0ES6_15HIP_vector_typeIjLj2EENS0_17counting_iteratorIjlEEPS9_SG_NS0_5tupleIJPjSI_NS0_16reverse_iteratorISI_EEEEENSH_IJSG_SG_SG_EEES9_SI_JZNS1_25segmented_radix_sort_implINS0_14default_configELb0EPKlPlSQ_SR_N2at6native12_GLOBAL__N_18offset_tEEE10hipError_tPvRmT1_PNSt15iterator_traitsISZ_E10value_typeET2_T3_PNS10_IS15_E10value_typeET4_jRbjT5_S1B_jjP12ihipStream_tbEUljE_ZNSN_ISO_Lb0ESQ_SR_SQ_SR_SV_EESW_SX_SY_SZ_S13_S14_S15_S18_S19_jS1A_jS1B_S1B_jjS1D_bEUljE0_EEESW_SX_SY_S15_S19_S1B_T6_T7_T9_mT8_S1D_bDpT10_ENKUlT_T0_E_clISt17integral_constantIbLb1EES1R_EEDaS1M_S1N_EUlS1M_E_NS1_11comp_targetILNS1_3genE10ELNS1_11target_archE1200ELNS1_3gpuE4ELNS1_3repE0EEENS1_30default_config_static_selectorELNS0_4arch9wavefront6targetE0EEEvSZ_
		.amdhsa_group_segment_fixed_size 0
		.amdhsa_private_segment_fixed_size 0
		.amdhsa_kernarg_size 184
		.amdhsa_user_sgpr_count 6
		.amdhsa_user_sgpr_private_segment_buffer 1
		.amdhsa_user_sgpr_dispatch_ptr 0
		.amdhsa_user_sgpr_queue_ptr 0
		.amdhsa_user_sgpr_kernarg_segment_ptr 1
		.amdhsa_user_sgpr_dispatch_id 0
		.amdhsa_user_sgpr_flat_scratch_init 0
		.amdhsa_user_sgpr_private_segment_size 0
		.amdhsa_wavefront_size32 1
		.amdhsa_uses_dynamic_stack 0
		.amdhsa_system_sgpr_private_segment_wavefront_offset 0
		.amdhsa_system_sgpr_workgroup_id_x 1
		.amdhsa_system_sgpr_workgroup_id_y 0
		.amdhsa_system_sgpr_workgroup_id_z 0
		.amdhsa_system_sgpr_workgroup_info 0
		.amdhsa_system_vgpr_workitem_id 0
		.amdhsa_next_free_vgpr 1
		.amdhsa_next_free_sgpr 1
		.amdhsa_reserve_vcc 0
		.amdhsa_reserve_flat_scratch 0
		.amdhsa_float_round_mode_32 0
		.amdhsa_float_round_mode_16_64 0
		.amdhsa_float_denorm_mode_32 3
		.amdhsa_float_denorm_mode_16_64 3
		.amdhsa_dx10_clamp 1
		.amdhsa_ieee_mode 1
		.amdhsa_fp16_overflow 0
		.amdhsa_workgroup_processor_mode 1
		.amdhsa_memory_ordered 1
		.amdhsa_forward_progress 1
		.amdhsa_shared_vgpr_count 0
		.amdhsa_exception_fp_ieee_invalid_op 0
		.amdhsa_exception_fp_denorm_src 0
		.amdhsa_exception_fp_ieee_div_zero 0
		.amdhsa_exception_fp_ieee_overflow 0
		.amdhsa_exception_fp_ieee_underflow 0
		.amdhsa_exception_fp_ieee_inexact 0
		.amdhsa_exception_int_div_zero 0
	.end_amdhsa_kernel
	.section	.text._ZN7rocprim17ROCPRIM_400000_NS6detail17trampoline_kernelINS0_13select_configILj256ELj13ELNS0_17block_load_methodE3ELS4_3ELS4_3ELNS0_20block_scan_algorithmE0ELj4294967295EEENS1_25partition_config_selectorILNS1_17partition_subalgoE4EjNS0_10empty_typeEbEEZZNS1_14partition_implILS8_4ELb0ES6_15HIP_vector_typeIjLj2EENS0_17counting_iteratorIjlEEPS9_SG_NS0_5tupleIJPjSI_NS0_16reverse_iteratorISI_EEEEENSH_IJSG_SG_SG_EEES9_SI_JZNS1_25segmented_radix_sort_implINS0_14default_configELb0EPKlPlSQ_SR_N2at6native12_GLOBAL__N_18offset_tEEE10hipError_tPvRmT1_PNSt15iterator_traitsISZ_E10value_typeET2_T3_PNS10_IS15_E10value_typeET4_jRbjT5_S1B_jjP12ihipStream_tbEUljE_ZNSN_ISO_Lb0ESQ_SR_SQ_SR_SV_EESW_SX_SY_SZ_S13_S14_S15_S18_S19_jS1A_jS1B_S1B_jjS1D_bEUljE0_EEESW_SX_SY_S15_S19_S1B_T6_T7_T9_mT8_S1D_bDpT10_ENKUlT_T0_E_clISt17integral_constantIbLb1EES1R_EEDaS1M_S1N_EUlS1M_E_NS1_11comp_targetILNS1_3genE10ELNS1_11target_archE1200ELNS1_3gpuE4ELNS1_3repE0EEENS1_30default_config_static_selectorELNS0_4arch9wavefront6targetE0EEEvSZ_,"axG",@progbits,_ZN7rocprim17ROCPRIM_400000_NS6detail17trampoline_kernelINS0_13select_configILj256ELj13ELNS0_17block_load_methodE3ELS4_3ELS4_3ELNS0_20block_scan_algorithmE0ELj4294967295EEENS1_25partition_config_selectorILNS1_17partition_subalgoE4EjNS0_10empty_typeEbEEZZNS1_14partition_implILS8_4ELb0ES6_15HIP_vector_typeIjLj2EENS0_17counting_iteratorIjlEEPS9_SG_NS0_5tupleIJPjSI_NS0_16reverse_iteratorISI_EEEEENSH_IJSG_SG_SG_EEES9_SI_JZNS1_25segmented_radix_sort_implINS0_14default_configELb0EPKlPlSQ_SR_N2at6native12_GLOBAL__N_18offset_tEEE10hipError_tPvRmT1_PNSt15iterator_traitsISZ_E10value_typeET2_T3_PNS10_IS15_E10value_typeET4_jRbjT5_S1B_jjP12ihipStream_tbEUljE_ZNSN_ISO_Lb0ESQ_SR_SQ_SR_SV_EESW_SX_SY_SZ_S13_S14_S15_S18_S19_jS1A_jS1B_S1B_jjS1D_bEUljE0_EEESW_SX_SY_S15_S19_S1B_T6_T7_T9_mT8_S1D_bDpT10_ENKUlT_T0_E_clISt17integral_constantIbLb1EES1R_EEDaS1M_S1N_EUlS1M_E_NS1_11comp_targetILNS1_3genE10ELNS1_11target_archE1200ELNS1_3gpuE4ELNS1_3repE0EEENS1_30default_config_static_selectorELNS0_4arch9wavefront6targetE0EEEvSZ_,comdat
.Lfunc_end750:
	.size	_ZN7rocprim17ROCPRIM_400000_NS6detail17trampoline_kernelINS0_13select_configILj256ELj13ELNS0_17block_load_methodE3ELS4_3ELS4_3ELNS0_20block_scan_algorithmE0ELj4294967295EEENS1_25partition_config_selectorILNS1_17partition_subalgoE4EjNS0_10empty_typeEbEEZZNS1_14partition_implILS8_4ELb0ES6_15HIP_vector_typeIjLj2EENS0_17counting_iteratorIjlEEPS9_SG_NS0_5tupleIJPjSI_NS0_16reverse_iteratorISI_EEEEENSH_IJSG_SG_SG_EEES9_SI_JZNS1_25segmented_radix_sort_implINS0_14default_configELb0EPKlPlSQ_SR_N2at6native12_GLOBAL__N_18offset_tEEE10hipError_tPvRmT1_PNSt15iterator_traitsISZ_E10value_typeET2_T3_PNS10_IS15_E10value_typeET4_jRbjT5_S1B_jjP12ihipStream_tbEUljE_ZNSN_ISO_Lb0ESQ_SR_SQ_SR_SV_EESW_SX_SY_SZ_S13_S14_S15_S18_S19_jS1A_jS1B_S1B_jjS1D_bEUljE0_EEESW_SX_SY_S15_S19_S1B_T6_T7_T9_mT8_S1D_bDpT10_ENKUlT_T0_E_clISt17integral_constantIbLb1EES1R_EEDaS1M_S1N_EUlS1M_E_NS1_11comp_targetILNS1_3genE10ELNS1_11target_archE1200ELNS1_3gpuE4ELNS1_3repE0EEENS1_30default_config_static_selectorELNS0_4arch9wavefront6targetE0EEEvSZ_, .Lfunc_end750-_ZN7rocprim17ROCPRIM_400000_NS6detail17trampoline_kernelINS0_13select_configILj256ELj13ELNS0_17block_load_methodE3ELS4_3ELS4_3ELNS0_20block_scan_algorithmE0ELj4294967295EEENS1_25partition_config_selectorILNS1_17partition_subalgoE4EjNS0_10empty_typeEbEEZZNS1_14partition_implILS8_4ELb0ES6_15HIP_vector_typeIjLj2EENS0_17counting_iteratorIjlEEPS9_SG_NS0_5tupleIJPjSI_NS0_16reverse_iteratorISI_EEEEENSH_IJSG_SG_SG_EEES9_SI_JZNS1_25segmented_radix_sort_implINS0_14default_configELb0EPKlPlSQ_SR_N2at6native12_GLOBAL__N_18offset_tEEE10hipError_tPvRmT1_PNSt15iterator_traitsISZ_E10value_typeET2_T3_PNS10_IS15_E10value_typeET4_jRbjT5_S1B_jjP12ihipStream_tbEUljE_ZNSN_ISO_Lb0ESQ_SR_SQ_SR_SV_EESW_SX_SY_SZ_S13_S14_S15_S18_S19_jS1A_jS1B_S1B_jjS1D_bEUljE0_EEESW_SX_SY_S15_S19_S1B_T6_T7_T9_mT8_S1D_bDpT10_ENKUlT_T0_E_clISt17integral_constantIbLb1EES1R_EEDaS1M_S1N_EUlS1M_E_NS1_11comp_targetILNS1_3genE10ELNS1_11target_archE1200ELNS1_3gpuE4ELNS1_3repE0EEENS1_30default_config_static_selectorELNS0_4arch9wavefront6targetE0EEEvSZ_
                                        ; -- End function
	.set _ZN7rocprim17ROCPRIM_400000_NS6detail17trampoline_kernelINS0_13select_configILj256ELj13ELNS0_17block_load_methodE3ELS4_3ELS4_3ELNS0_20block_scan_algorithmE0ELj4294967295EEENS1_25partition_config_selectorILNS1_17partition_subalgoE4EjNS0_10empty_typeEbEEZZNS1_14partition_implILS8_4ELb0ES6_15HIP_vector_typeIjLj2EENS0_17counting_iteratorIjlEEPS9_SG_NS0_5tupleIJPjSI_NS0_16reverse_iteratorISI_EEEEENSH_IJSG_SG_SG_EEES9_SI_JZNS1_25segmented_radix_sort_implINS0_14default_configELb0EPKlPlSQ_SR_N2at6native12_GLOBAL__N_18offset_tEEE10hipError_tPvRmT1_PNSt15iterator_traitsISZ_E10value_typeET2_T3_PNS10_IS15_E10value_typeET4_jRbjT5_S1B_jjP12ihipStream_tbEUljE_ZNSN_ISO_Lb0ESQ_SR_SQ_SR_SV_EESW_SX_SY_SZ_S13_S14_S15_S18_S19_jS1A_jS1B_S1B_jjS1D_bEUljE0_EEESW_SX_SY_S15_S19_S1B_T6_T7_T9_mT8_S1D_bDpT10_ENKUlT_T0_E_clISt17integral_constantIbLb1EES1R_EEDaS1M_S1N_EUlS1M_E_NS1_11comp_targetILNS1_3genE10ELNS1_11target_archE1200ELNS1_3gpuE4ELNS1_3repE0EEENS1_30default_config_static_selectorELNS0_4arch9wavefront6targetE0EEEvSZ_.num_vgpr, 0
	.set _ZN7rocprim17ROCPRIM_400000_NS6detail17trampoline_kernelINS0_13select_configILj256ELj13ELNS0_17block_load_methodE3ELS4_3ELS4_3ELNS0_20block_scan_algorithmE0ELj4294967295EEENS1_25partition_config_selectorILNS1_17partition_subalgoE4EjNS0_10empty_typeEbEEZZNS1_14partition_implILS8_4ELb0ES6_15HIP_vector_typeIjLj2EENS0_17counting_iteratorIjlEEPS9_SG_NS0_5tupleIJPjSI_NS0_16reverse_iteratorISI_EEEEENSH_IJSG_SG_SG_EEES9_SI_JZNS1_25segmented_radix_sort_implINS0_14default_configELb0EPKlPlSQ_SR_N2at6native12_GLOBAL__N_18offset_tEEE10hipError_tPvRmT1_PNSt15iterator_traitsISZ_E10value_typeET2_T3_PNS10_IS15_E10value_typeET4_jRbjT5_S1B_jjP12ihipStream_tbEUljE_ZNSN_ISO_Lb0ESQ_SR_SQ_SR_SV_EESW_SX_SY_SZ_S13_S14_S15_S18_S19_jS1A_jS1B_S1B_jjS1D_bEUljE0_EEESW_SX_SY_S15_S19_S1B_T6_T7_T9_mT8_S1D_bDpT10_ENKUlT_T0_E_clISt17integral_constantIbLb1EES1R_EEDaS1M_S1N_EUlS1M_E_NS1_11comp_targetILNS1_3genE10ELNS1_11target_archE1200ELNS1_3gpuE4ELNS1_3repE0EEENS1_30default_config_static_selectorELNS0_4arch9wavefront6targetE0EEEvSZ_.num_agpr, 0
	.set _ZN7rocprim17ROCPRIM_400000_NS6detail17trampoline_kernelINS0_13select_configILj256ELj13ELNS0_17block_load_methodE3ELS4_3ELS4_3ELNS0_20block_scan_algorithmE0ELj4294967295EEENS1_25partition_config_selectorILNS1_17partition_subalgoE4EjNS0_10empty_typeEbEEZZNS1_14partition_implILS8_4ELb0ES6_15HIP_vector_typeIjLj2EENS0_17counting_iteratorIjlEEPS9_SG_NS0_5tupleIJPjSI_NS0_16reverse_iteratorISI_EEEEENSH_IJSG_SG_SG_EEES9_SI_JZNS1_25segmented_radix_sort_implINS0_14default_configELb0EPKlPlSQ_SR_N2at6native12_GLOBAL__N_18offset_tEEE10hipError_tPvRmT1_PNSt15iterator_traitsISZ_E10value_typeET2_T3_PNS10_IS15_E10value_typeET4_jRbjT5_S1B_jjP12ihipStream_tbEUljE_ZNSN_ISO_Lb0ESQ_SR_SQ_SR_SV_EESW_SX_SY_SZ_S13_S14_S15_S18_S19_jS1A_jS1B_S1B_jjS1D_bEUljE0_EEESW_SX_SY_S15_S19_S1B_T6_T7_T9_mT8_S1D_bDpT10_ENKUlT_T0_E_clISt17integral_constantIbLb1EES1R_EEDaS1M_S1N_EUlS1M_E_NS1_11comp_targetILNS1_3genE10ELNS1_11target_archE1200ELNS1_3gpuE4ELNS1_3repE0EEENS1_30default_config_static_selectorELNS0_4arch9wavefront6targetE0EEEvSZ_.numbered_sgpr, 0
	.set _ZN7rocprim17ROCPRIM_400000_NS6detail17trampoline_kernelINS0_13select_configILj256ELj13ELNS0_17block_load_methodE3ELS4_3ELS4_3ELNS0_20block_scan_algorithmE0ELj4294967295EEENS1_25partition_config_selectorILNS1_17partition_subalgoE4EjNS0_10empty_typeEbEEZZNS1_14partition_implILS8_4ELb0ES6_15HIP_vector_typeIjLj2EENS0_17counting_iteratorIjlEEPS9_SG_NS0_5tupleIJPjSI_NS0_16reverse_iteratorISI_EEEEENSH_IJSG_SG_SG_EEES9_SI_JZNS1_25segmented_radix_sort_implINS0_14default_configELb0EPKlPlSQ_SR_N2at6native12_GLOBAL__N_18offset_tEEE10hipError_tPvRmT1_PNSt15iterator_traitsISZ_E10value_typeET2_T3_PNS10_IS15_E10value_typeET4_jRbjT5_S1B_jjP12ihipStream_tbEUljE_ZNSN_ISO_Lb0ESQ_SR_SQ_SR_SV_EESW_SX_SY_SZ_S13_S14_S15_S18_S19_jS1A_jS1B_S1B_jjS1D_bEUljE0_EEESW_SX_SY_S15_S19_S1B_T6_T7_T9_mT8_S1D_bDpT10_ENKUlT_T0_E_clISt17integral_constantIbLb1EES1R_EEDaS1M_S1N_EUlS1M_E_NS1_11comp_targetILNS1_3genE10ELNS1_11target_archE1200ELNS1_3gpuE4ELNS1_3repE0EEENS1_30default_config_static_selectorELNS0_4arch9wavefront6targetE0EEEvSZ_.num_named_barrier, 0
	.set _ZN7rocprim17ROCPRIM_400000_NS6detail17trampoline_kernelINS0_13select_configILj256ELj13ELNS0_17block_load_methodE3ELS4_3ELS4_3ELNS0_20block_scan_algorithmE0ELj4294967295EEENS1_25partition_config_selectorILNS1_17partition_subalgoE4EjNS0_10empty_typeEbEEZZNS1_14partition_implILS8_4ELb0ES6_15HIP_vector_typeIjLj2EENS0_17counting_iteratorIjlEEPS9_SG_NS0_5tupleIJPjSI_NS0_16reverse_iteratorISI_EEEEENSH_IJSG_SG_SG_EEES9_SI_JZNS1_25segmented_radix_sort_implINS0_14default_configELb0EPKlPlSQ_SR_N2at6native12_GLOBAL__N_18offset_tEEE10hipError_tPvRmT1_PNSt15iterator_traitsISZ_E10value_typeET2_T3_PNS10_IS15_E10value_typeET4_jRbjT5_S1B_jjP12ihipStream_tbEUljE_ZNSN_ISO_Lb0ESQ_SR_SQ_SR_SV_EESW_SX_SY_SZ_S13_S14_S15_S18_S19_jS1A_jS1B_S1B_jjS1D_bEUljE0_EEESW_SX_SY_S15_S19_S1B_T6_T7_T9_mT8_S1D_bDpT10_ENKUlT_T0_E_clISt17integral_constantIbLb1EES1R_EEDaS1M_S1N_EUlS1M_E_NS1_11comp_targetILNS1_3genE10ELNS1_11target_archE1200ELNS1_3gpuE4ELNS1_3repE0EEENS1_30default_config_static_selectorELNS0_4arch9wavefront6targetE0EEEvSZ_.private_seg_size, 0
	.set _ZN7rocprim17ROCPRIM_400000_NS6detail17trampoline_kernelINS0_13select_configILj256ELj13ELNS0_17block_load_methodE3ELS4_3ELS4_3ELNS0_20block_scan_algorithmE0ELj4294967295EEENS1_25partition_config_selectorILNS1_17partition_subalgoE4EjNS0_10empty_typeEbEEZZNS1_14partition_implILS8_4ELb0ES6_15HIP_vector_typeIjLj2EENS0_17counting_iteratorIjlEEPS9_SG_NS0_5tupleIJPjSI_NS0_16reverse_iteratorISI_EEEEENSH_IJSG_SG_SG_EEES9_SI_JZNS1_25segmented_radix_sort_implINS0_14default_configELb0EPKlPlSQ_SR_N2at6native12_GLOBAL__N_18offset_tEEE10hipError_tPvRmT1_PNSt15iterator_traitsISZ_E10value_typeET2_T3_PNS10_IS15_E10value_typeET4_jRbjT5_S1B_jjP12ihipStream_tbEUljE_ZNSN_ISO_Lb0ESQ_SR_SQ_SR_SV_EESW_SX_SY_SZ_S13_S14_S15_S18_S19_jS1A_jS1B_S1B_jjS1D_bEUljE0_EEESW_SX_SY_S15_S19_S1B_T6_T7_T9_mT8_S1D_bDpT10_ENKUlT_T0_E_clISt17integral_constantIbLb1EES1R_EEDaS1M_S1N_EUlS1M_E_NS1_11comp_targetILNS1_3genE10ELNS1_11target_archE1200ELNS1_3gpuE4ELNS1_3repE0EEENS1_30default_config_static_selectorELNS0_4arch9wavefront6targetE0EEEvSZ_.uses_vcc, 0
	.set _ZN7rocprim17ROCPRIM_400000_NS6detail17trampoline_kernelINS0_13select_configILj256ELj13ELNS0_17block_load_methodE3ELS4_3ELS4_3ELNS0_20block_scan_algorithmE0ELj4294967295EEENS1_25partition_config_selectorILNS1_17partition_subalgoE4EjNS0_10empty_typeEbEEZZNS1_14partition_implILS8_4ELb0ES6_15HIP_vector_typeIjLj2EENS0_17counting_iteratorIjlEEPS9_SG_NS0_5tupleIJPjSI_NS0_16reverse_iteratorISI_EEEEENSH_IJSG_SG_SG_EEES9_SI_JZNS1_25segmented_radix_sort_implINS0_14default_configELb0EPKlPlSQ_SR_N2at6native12_GLOBAL__N_18offset_tEEE10hipError_tPvRmT1_PNSt15iterator_traitsISZ_E10value_typeET2_T3_PNS10_IS15_E10value_typeET4_jRbjT5_S1B_jjP12ihipStream_tbEUljE_ZNSN_ISO_Lb0ESQ_SR_SQ_SR_SV_EESW_SX_SY_SZ_S13_S14_S15_S18_S19_jS1A_jS1B_S1B_jjS1D_bEUljE0_EEESW_SX_SY_S15_S19_S1B_T6_T7_T9_mT8_S1D_bDpT10_ENKUlT_T0_E_clISt17integral_constantIbLb1EES1R_EEDaS1M_S1N_EUlS1M_E_NS1_11comp_targetILNS1_3genE10ELNS1_11target_archE1200ELNS1_3gpuE4ELNS1_3repE0EEENS1_30default_config_static_selectorELNS0_4arch9wavefront6targetE0EEEvSZ_.uses_flat_scratch, 0
	.set _ZN7rocprim17ROCPRIM_400000_NS6detail17trampoline_kernelINS0_13select_configILj256ELj13ELNS0_17block_load_methodE3ELS4_3ELS4_3ELNS0_20block_scan_algorithmE0ELj4294967295EEENS1_25partition_config_selectorILNS1_17partition_subalgoE4EjNS0_10empty_typeEbEEZZNS1_14partition_implILS8_4ELb0ES6_15HIP_vector_typeIjLj2EENS0_17counting_iteratorIjlEEPS9_SG_NS0_5tupleIJPjSI_NS0_16reverse_iteratorISI_EEEEENSH_IJSG_SG_SG_EEES9_SI_JZNS1_25segmented_radix_sort_implINS0_14default_configELb0EPKlPlSQ_SR_N2at6native12_GLOBAL__N_18offset_tEEE10hipError_tPvRmT1_PNSt15iterator_traitsISZ_E10value_typeET2_T3_PNS10_IS15_E10value_typeET4_jRbjT5_S1B_jjP12ihipStream_tbEUljE_ZNSN_ISO_Lb0ESQ_SR_SQ_SR_SV_EESW_SX_SY_SZ_S13_S14_S15_S18_S19_jS1A_jS1B_S1B_jjS1D_bEUljE0_EEESW_SX_SY_S15_S19_S1B_T6_T7_T9_mT8_S1D_bDpT10_ENKUlT_T0_E_clISt17integral_constantIbLb1EES1R_EEDaS1M_S1N_EUlS1M_E_NS1_11comp_targetILNS1_3genE10ELNS1_11target_archE1200ELNS1_3gpuE4ELNS1_3repE0EEENS1_30default_config_static_selectorELNS0_4arch9wavefront6targetE0EEEvSZ_.has_dyn_sized_stack, 0
	.set _ZN7rocprim17ROCPRIM_400000_NS6detail17trampoline_kernelINS0_13select_configILj256ELj13ELNS0_17block_load_methodE3ELS4_3ELS4_3ELNS0_20block_scan_algorithmE0ELj4294967295EEENS1_25partition_config_selectorILNS1_17partition_subalgoE4EjNS0_10empty_typeEbEEZZNS1_14partition_implILS8_4ELb0ES6_15HIP_vector_typeIjLj2EENS0_17counting_iteratorIjlEEPS9_SG_NS0_5tupleIJPjSI_NS0_16reverse_iteratorISI_EEEEENSH_IJSG_SG_SG_EEES9_SI_JZNS1_25segmented_radix_sort_implINS0_14default_configELb0EPKlPlSQ_SR_N2at6native12_GLOBAL__N_18offset_tEEE10hipError_tPvRmT1_PNSt15iterator_traitsISZ_E10value_typeET2_T3_PNS10_IS15_E10value_typeET4_jRbjT5_S1B_jjP12ihipStream_tbEUljE_ZNSN_ISO_Lb0ESQ_SR_SQ_SR_SV_EESW_SX_SY_SZ_S13_S14_S15_S18_S19_jS1A_jS1B_S1B_jjS1D_bEUljE0_EEESW_SX_SY_S15_S19_S1B_T6_T7_T9_mT8_S1D_bDpT10_ENKUlT_T0_E_clISt17integral_constantIbLb1EES1R_EEDaS1M_S1N_EUlS1M_E_NS1_11comp_targetILNS1_3genE10ELNS1_11target_archE1200ELNS1_3gpuE4ELNS1_3repE0EEENS1_30default_config_static_selectorELNS0_4arch9wavefront6targetE0EEEvSZ_.has_recursion, 0
	.set _ZN7rocprim17ROCPRIM_400000_NS6detail17trampoline_kernelINS0_13select_configILj256ELj13ELNS0_17block_load_methodE3ELS4_3ELS4_3ELNS0_20block_scan_algorithmE0ELj4294967295EEENS1_25partition_config_selectorILNS1_17partition_subalgoE4EjNS0_10empty_typeEbEEZZNS1_14partition_implILS8_4ELb0ES6_15HIP_vector_typeIjLj2EENS0_17counting_iteratorIjlEEPS9_SG_NS0_5tupleIJPjSI_NS0_16reverse_iteratorISI_EEEEENSH_IJSG_SG_SG_EEES9_SI_JZNS1_25segmented_radix_sort_implINS0_14default_configELb0EPKlPlSQ_SR_N2at6native12_GLOBAL__N_18offset_tEEE10hipError_tPvRmT1_PNSt15iterator_traitsISZ_E10value_typeET2_T3_PNS10_IS15_E10value_typeET4_jRbjT5_S1B_jjP12ihipStream_tbEUljE_ZNSN_ISO_Lb0ESQ_SR_SQ_SR_SV_EESW_SX_SY_SZ_S13_S14_S15_S18_S19_jS1A_jS1B_S1B_jjS1D_bEUljE0_EEESW_SX_SY_S15_S19_S1B_T6_T7_T9_mT8_S1D_bDpT10_ENKUlT_T0_E_clISt17integral_constantIbLb1EES1R_EEDaS1M_S1N_EUlS1M_E_NS1_11comp_targetILNS1_3genE10ELNS1_11target_archE1200ELNS1_3gpuE4ELNS1_3repE0EEENS1_30default_config_static_selectorELNS0_4arch9wavefront6targetE0EEEvSZ_.has_indirect_call, 0
	.section	.AMDGPU.csdata,"",@progbits
; Kernel info:
; codeLenInByte = 0
; TotalNumSgprs: 0
; NumVgprs: 0
; ScratchSize: 0
; MemoryBound: 0
; FloatMode: 240
; IeeeMode: 1
; LDSByteSize: 0 bytes/workgroup (compile time only)
; SGPRBlocks: 0
; VGPRBlocks: 0
; NumSGPRsForWavesPerEU: 1
; NumVGPRsForWavesPerEU: 1
; Occupancy: 16
; WaveLimiterHint : 0
; COMPUTE_PGM_RSRC2:SCRATCH_EN: 0
; COMPUTE_PGM_RSRC2:USER_SGPR: 6
; COMPUTE_PGM_RSRC2:TRAP_HANDLER: 0
; COMPUTE_PGM_RSRC2:TGID_X_EN: 1
; COMPUTE_PGM_RSRC2:TGID_Y_EN: 0
; COMPUTE_PGM_RSRC2:TGID_Z_EN: 0
; COMPUTE_PGM_RSRC2:TIDIG_COMP_CNT: 0
	.section	.text._ZN7rocprim17ROCPRIM_400000_NS6detail17trampoline_kernelINS0_13select_configILj256ELj13ELNS0_17block_load_methodE3ELS4_3ELS4_3ELNS0_20block_scan_algorithmE0ELj4294967295EEENS1_25partition_config_selectorILNS1_17partition_subalgoE4EjNS0_10empty_typeEbEEZZNS1_14partition_implILS8_4ELb0ES6_15HIP_vector_typeIjLj2EENS0_17counting_iteratorIjlEEPS9_SG_NS0_5tupleIJPjSI_NS0_16reverse_iteratorISI_EEEEENSH_IJSG_SG_SG_EEES9_SI_JZNS1_25segmented_radix_sort_implINS0_14default_configELb0EPKlPlSQ_SR_N2at6native12_GLOBAL__N_18offset_tEEE10hipError_tPvRmT1_PNSt15iterator_traitsISZ_E10value_typeET2_T3_PNS10_IS15_E10value_typeET4_jRbjT5_S1B_jjP12ihipStream_tbEUljE_ZNSN_ISO_Lb0ESQ_SR_SQ_SR_SV_EESW_SX_SY_SZ_S13_S14_S15_S18_S19_jS1A_jS1B_S1B_jjS1D_bEUljE0_EEESW_SX_SY_S15_S19_S1B_T6_T7_T9_mT8_S1D_bDpT10_ENKUlT_T0_E_clISt17integral_constantIbLb1EES1R_EEDaS1M_S1N_EUlS1M_E_NS1_11comp_targetILNS1_3genE9ELNS1_11target_archE1100ELNS1_3gpuE3ELNS1_3repE0EEENS1_30default_config_static_selectorELNS0_4arch9wavefront6targetE0EEEvSZ_,"axG",@progbits,_ZN7rocprim17ROCPRIM_400000_NS6detail17trampoline_kernelINS0_13select_configILj256ELj13ELNS0_17block_load_methodE3ELS4_3ELS4_3ELNS0_20block_scan_algorithmE0ELj4294967295EEENS1_25partition_config_selectorILNS1_17partition_subalgoE4EjNS0_10empty_typeEbEEZZNS1_14partition_implILS8_4ELb0ES6_15HIP_vector_typeIjLj2EENS0_17counting_iteratorIjlEEPS9_SG_NS0_5tupleIJPjSI_NS0_16reverse_iteratorISI_EEEEENSH_IJSG_SG_SG_EEES9_SI_JZNS1_25segmented_radix_sort_implINS0_14default_configELb0EPKlPlSQ_SR_N2at6native12_GLOBAL__N_18offset_tEEE10hipError_tPvRmT1_PNSt15iterator_traitsISZ_E10value_typeET2_T3_PNS10_IS15_E10value_typeET4_jRbjT5_S1B_jjP12ihipStream_tbEUljE_ZNSN_ISO_Lb0ESQ_SR_SQ_SR_SV_EESW_SX_SY_SZ_S13_S14_S15_S18_S19_jS1A_jS1B_S1B_jjS1D_bEUljE0_EEESW_SX_SY_S15_S19_S1B_T6_T7_T9_mT8_S1D_bDpT10_ENKUlT_T0_E_clISt17integral_constantIbLb1EES1R_EEDaS1M_S1N_EUlS1M_E_NS1_11comp_targetILNS1_3genE9ELNS1_11target_archE1100ELNS1_3gpuE3ELNS1_3repE0EEENS1_30default_config_static_selectorELNS0_4arch9wavefront6targetE0EEEvSZ_,comdat
	.globl	_ZN7rocprim17ROCPRIM_400000_NS6detail17trampoline_kernelINS0_13select_configILj256ELj13ELNS0_17block_load_methodE3ELS4_3ELS4_3ELNS0_20block_scan_algorithmE0ELj4294967295EEENS1_25partition_config_selectorILNS1_17partition_subalgoE4EjNS0_10empty_typeEbEEZZNS1_14partition_implILS8_4ELb0ES6_15HIP_vector_typeIjLj2EENS0_17counting_iteratorIjlEEPS9_SG_NS0_5tupleIJPjSI_NS0_16reverse_iteratorISI_EEEEENSH_IJSG_SG_SG_EEES9_SI_JZNS1_25segmented_radix_sort_implINS0_14default_configELb0EPKlPlSQ_SR_N2at6native12_GLOBAL__N_18offset_tEEE10hipError_tPvRmT1_PNSt15iterator_traitsISZ_E10value_typeET2_T3_PNS10_IS15_E10value_typeET4_jRbjT5_S1B_jjP12ihipStream_tbEUljE_ZNSN_ISO_Lb0ESQ_SR_SQ_SR_SV_EESW_SX_SY_SZ_S13_S14_S15_S18_S19_jS1A_jS1B_S1B_jjS1D_bEUljE0_EEESW_SX_SY_S15_S19_S1B_T6_T7_T9_mT8_S1D_bDpT10_ENKUlT_T0_E_clISt17integral_constantIbLb1EES1R_EEDaS1M_S1N_EUlS1M_E_NS1_11comp_targetILNS1_3genE9ELNS1_11target_archE1100ELNS1_3gpuE3ELNS1_3repE0EEENS1_30default_config_static_selectorELNS0_4arch9wavefront6targetE0EEEvSZ_ ; -- Begin function _ZN7rocprim17ROCPRIM_400000_NS6detail17trampoline_kernelINS0_13select_configILj256ELj13ELNS0_17block_load_methodE3ELS4_3ELS4_3ELNS0_20block_scan_algorithmE0ELj4294967295EEENS1_25partition_config_selectorILNS1_17partition_subalgoE4EjNS0_10empty_typeEbEEZZNS1_14partition_implILS8_4ELb0ES6_15HIP_vector_typeIjLj2EENS0_17counting_iteratorIjlEEPS9_SG_NS0_5tupleIJPjSI_NS0_16reverse_iteratorISI_EEEEENSH_IJSG_SG_SG_EEES9_SI_JZNS1_25segmented_radix_sort_implINS0_14default_configELb0EPKlPlSQ_SR_N2at6native12_GLOBAL__N_18offset_tEEE10hipError_tPvRmT1_PNSt15iterator_traitsISZ_E10value_typeET2_T3_PNS10_IS15_E10value_typeET4_jRbjT5_S1B_jjP12ihipStream_tbEUljE_ZNSN_ISO_Lb0ESQ_SR_SQ_SR_SV_EESW_SX_SY_SZ_S13_S14_S15_S18_S19_jS1A_jS1B_S1B_jjS1D_bEUljE0_EEESW_SX_SY_S15_S19_S1B_T6_T7_T9_mT8_S1D_bDpT10_ENKUlT_T0_E_clISt17integral_constantIbLb1EES1R_EEDaS1M_S1N_EUlS1M_E_NS1_11comp_targetILNS1_3genE9ELNS1_11target_archE1100ELNS1_3gpuE3ELNS1_3repE0EEENS1_30default_config_static_selectorELNS0_4arch9wavefront6targetE0EEEvSZ_
	.p2align	8
	.type	_ZN7rocprim17ROCPRIM_400000_NS6detail17trampoline_kernelINS0_13select_configILj256ELj13ELNS0_17block_load_methodE3ELS4_3ELS4_3ELNS0_20block_scan_algorithmE0ELj4294967295EEENS1_25partition_config_selectorILNS1_17partition_subalgoE4EjNS0_10empty_typeEbEEZZNS1_14partition_implILS8_4ELb0ES6_15HIP_vector_typeIjLj2EENS0_17counting_iteratorIjlEEPS9_SG_NS0_5tupleIJPjSI_NS0_16reverse_iteratorISI_EEEEENSH_IJSG_SG_SG_EEES9_SI_JZNS1_25segmented_radix_sort_implINS0_14default_configELb0EPKlPlSQ_SR_N2at6native12_GLOBAL__N_18offset_tEEE10hipError_tPvRmT1_PNSt15iterator_traitsISZ_E10value_typeET2_T3_PNS10_IS15_E10value_typeET4_jRbjT5_S1B_jjP12ihipStream_tbEUljE_ZNSN_ISO_Lb0ESQ_SR_SQ_SR_SV_EESW_SX_SY_SZ_S13_S14_S15_S18_S19_jS1A_jS1B_S1B_jjS1D_bEUljE0_EEESW_SX_SY_S15_S19_S1B_T6_T7_T9_mT8_S1D_bDpT10_ENKUlT_T0_E_clISt17integral_constantIbLb1EES1R_EEDaS1M_S1N_EUlS1M_E_NS1_11comp_targetILNS1_3genE9ELNS1_11target_archE1100ELNS1_3gpuE3ELNS1_3repE0EEENS1_30default_config_static_selectorELNS0_4arch9wavefront6targetE0EEEvSZ_,@function
_ZN7rocprim17ROCPRIM_400000_NS6detail17trampoline_kernelINS0_13select_configILj256ELj13ELNS0_17block_load_methodE3ELS4_3ELS4_3ELNS0_20block_scan_algorithmE0ELj4294967295EEENS1_25partition_config_selectorILNS1_17partition_subalgoE4EjNS0_10empty_typeEbEEZZNS1_14partition_implILS8_4ELb0ES6_15HIP_vector_typeIjLj2EENS0_17counting_iteratorIjlEEPS9_SG_NS0_5tupleIJPjSI_NS0_16reverse_iteratorISI_EEEEENSH_IJSG_SG_SG_EEES9_SI_JZNS1_25segmented_radix_sort_implINS0_14default_configELb0EPKlPlSQ_SR_N2at6native12_GLOBAL__N_18offset_tEEE10hipError_tPvRmT1_PNSt15iterator_traitsISZ_E10value_typeET2_T3_PNS10_IS15_E10value_typeET4_jRbjT5_S1B_jjP12ihipStream_tbEUljE_ZNSN_ISO_Lb0ESQ_SR_SQ_SR_SV_EESW_SX_SY_SZ_S13_S14_S15_S18_S19_jS1A_jS1B_S1B_jjS1D_bEUljE0_EEESW_SX_SY_S15_S19_S1B_T6_T7_T9_mT8_S1D_bDpT10_ENKUlT_T0_E_clISt17integral_constantIbLb1EES1R_EEDaS1M_S1N_EUlS1M_E_NS1_11comp_targetILNS1_3genE9ELNS1_11target_archE1100ELNS1_3gpuE3ELNS1_3repE0EEENS1_30default_config_static_selectorELNS0_4arch9wavefront6targetE0EEEvSZ_: ; @_ZN7rocprim17ROCPRIM_400000_NS6detail17trampoline_kernelINS0_13select_configILj256ELj13ELNS0_17block_load_methodE3ELS4_3ELS4_3ELNS0_20block_scan_algorithmE0ELj4294967295EEENS1_25partition_config_selectorILNS1_17partition_subalgoE4EjNS0_10empty_typeEbEEZZNS1_14partition_implILS8_4ELb0ES6_15HIP_vector_typeIjLj2EENS0_17counting_iteratorIjlEEPS9_SG_NS0_5tupleIJPjSI_NS0_16reverse_iteratorISI_EEEEENSH_IJSG_SG_SG_EEES9_SI_JZNS1_25segmented_radix_sort_implINS0_14default_configELb0EPKlPlSQ_SR_N2at6native12_GLOBAL__N_18offset_tEEE10hipError_tPvRmT1_PNSt15iterator_traitsISZ_E10value_typeET2_T3_PNS10_IS15_E10value_typeET4_jRbjT5_S1B_jjP12ihipStream_tbEUljE_ZNSN_ISO_Lb0ESQ_SR_SQ_SR_SV_EESW_SX_SY_SZ_S13_S14_S15_S18_S19_jS1A_jS1B_S1B_jjS1D_bEUljE0_EEESW_SX_SY_S15_S19_S1B_T6_T7_T9_mT8_S1D_bDpT10_ENKUlT_T0_E_clISt17integral_constantIbLb1EES1R_EEDaS1M_S1N_EUlS1M_E_NS1_11comp_targetILNS1_3genE9ELNS1_11target_archE1100ELNS1_3gpuE3ELNS1_3repE0EEENS1_30default_config_static_selectorELNS0_4arch9wavefront6targetE0EEEvSZ_
; %bb.0:
	.section	.rodata,"a",@progbits
	.p2align	6, 0x0
	.amdhsa_kernel _ZN7rocprim17ROCPRIM_400000_NS6detail17trampoline_kernelINS0_13select_configILj256ELj13ELNS0_17block_load_methodE3ELS4_3ELS4_3ELNS0_20block_scan_algorithmE0ELj4294967295EEENS1_25partition_config_selectorILNS1_17partition_subalgoE4EjNS0_10empty_typeEbEEZZNS1_14partition_implILS8_4ELb0ES6_15HIP_vector_typeIjLj2EENS0_17counting_iteratorIjlEEPS9_SG_NS0_5tupleIJPjSI_NS0_16reverse_iteratorISI_EEEEENSH_IJSG_SG_SG_EEES9_SI_JZNS1_25segmented_radix_sort_implINS0_14default_configELb0EPKlPlSQ_SR_N2at6native12_GLOBAL__N_18offset_tEEE10hipError_tPvRmT1_PNSt15iterator_traitsISZ_E10value_typeET2_T3_PNS10_IS15_E10value_typeET4_jRbjT5_S1B_jjP12ihipStream_tbEUljE_ZNSN_ISO_Lb0ESQ_SR_SQ_SR_SV_EESW_SX_SY_SZ_S13_S14_S15_S18_S19_jS1A_jS1B_S1B_jjS1D_bEUljE0_EEESW_SX_SY_S15_S19_S1B_T6_T7_T9_mT8_S1D_bDpT10_ENKUlT_T0_E_clISt17integral_constantIbLb1EES1R_EEDaS1M_S1N_EUlS1M_E_NS1_11comp_targetILNS1_3genE9ELNS1_11target_archE1100ELNS1_3gpuE3ELNS1_3repE0EEENS1_30default_config_static_selectorELNS0_4arch9wavefront6targetE0EEEvSZ_
		.amdhsa_group_segment_fixed_size 0
		.amdhsa_private_segment_fixed_size 0
		.amdhsa_kernarg_size 184
		.amdhsa_user_sgpr_count 6
		.amdhsa_user_sgpr_private_segment_buffer 1
		.amdhsa_user_sgpr_dispatch_ptr 0
		.amdhsa_user_sgpr_queue_ptr 0
		.amdhsa_user_sgpr_kernarg_segment_ptr 1
		.amdhsa_user_sgpr_dispatch_id 0
		.amdhsa_user_sgpr_flat_scratch_init 0
		.amdhsa_user_sgpr_private_segment_size 0
		.amdhsa_wavefront_size32 1
		.amdhsa_uses_dynamic_stack 0
		.amdhsa_system_sgpr_private_segment_wavefront_offset 0
		.amdhsa_system_sgpr_workgroup_id_x 1
		.amdhsa_system_sgpr_workgroup_id_y 0
		.amdhsa_system_sgpr_workgroup_id_z 0
		.amdhsa_system_sgpr_workgroup_info 0
		.amdhsa_system_vgpr_workitem_id 0
		.amdhsa_next_free_vgpr 1
		.amdhsa_next_free_sgpr 1
		.amdhsa_reserve_vcc 0
		.amdhsa_reserve_flat_scratch 0
		.amdhsa_float_round_mode_32 0
		.amdhsa_float_round_mode_16_64 0
		.amdhsa_float_denorm_mode_32 3
		.amdhsa_float_denorm_mode_16_64 3
		.amdhsa_dx10_clamp 1
		.amdhsa_ieee_mode 1
		.amdhsa_fp16_overflow 0
		.amdhsa_workgroup_processor_mode 1
		.amdhsa_memory_ordered 1
		.amdhsa_forward_progress 1
		.amdhsa_shared_vgpr_count 0
		.amdhsa_exception_fp_ieee_invalid_op 0
		.amdhsa_exception_fp_denorm_src 0
		.amdhsa_exception_fp_ieee_div_zero 0
		.amdhsa_exception_fp_ieee_overflow 0
		.amdhsa_exception_fp_ieee_underflow 0
		.amdhsa_exception_fp_ieee_inexact 0
		.amdhsa_exception_int_div_zero 0
	.end_amdhsa_kernel
	.section	.text._ZN7rocprim17ROCPRIM_400000_NS6detail17trampoline_kernelINS0_13select_configILj256ELj13ELNS0_17block_load_methodE3ELS4_3ELS4_3ELNS0_20block_scan_algorithmE0ELj4294967295EEENS1_25partition_config_selectorILNS1_17partition_subalgoE4EjNS0_10empty_typeEbEEZZNS1_14partition_implILS8_4ELb0ES6_15HIP_vector_typeIjLj2EENS0_17counting_iteratorIjlEEPS9_SG_NS0_5tupleIJPjSI_NS0_16reverse_iteratorISI_EEEEENSH_IJSG_SG_SG_EEES9_SI_JZNS1_25segmented_radix_sort_implINS0_14default_configELb0EPKlPlSQ_SR_N2at6native12_GLOBAL__N_18offset_tEEE10hipError_tPvRmT1_PNSt15iterator_traitsISZ_E10value_typeET2_T3_PNS10_IS15_E10value_typeET4_jRbjT5_S1B_jjP12ihipStream_tbEUljE_ZNSN_ISO_Lb0ESQ_SR_SQ_SR_SV_EESW_SX_SY_SZ_S13_S14_S15_S18_S19_jS1A_jS1B_S1B_jjS1D_bEUljE0_EEESW_SX_SY_S15_S19_S1B_T6_T7_T9_mT8_S1D_bDpT10_ENKUlT_T0_E_clISt17integral_constantIbLb1EES1R_EEDaS1M_S1N_EUlS1M_E_NS1_11comp_targetILNS1_3genE9ELNS1_11target_archE1100ELNS1_3gpuE3ELNS1_3repE0EEENS1_30default_config_static_selectorELNS0_4arch9wavefront6targetE0EEEvSZ_,"axG",@progbits,_ZN7rocprim17ROCPRIM_400000_NS6detail17trampoline_kernelINS0_13select_configILj256ELj13ELNS0_17block_load_methodE3ELS4_3ELS4_3ELNS0_20block_scan_algorithmE0ELj4294967295EEENS1_25partition_config_selectorILNS1_17partition_subalgoE4EjNS0_10empty_typeEbEEZZNS1_14partition_implILS8_4ELb0ES6_15HIP_vector_typeIjLj2EENS0_17counting_iteratorIjlEEPS9_SG_NS0_5tupleIJPjSI_NS0_16reverse_iteratorISI_EEEEENSH_IJSG_SG_SG_EEES9_SI_JZNS1_25segmented_radix_sort_implINS0_14default_configELb0EPKlPlSQ_SR_N2at6native12_GLOBAL__N_18offset_tEEE10hipError_tPvRmT1_PNSt15iterator_traitsISZ_E10value_typeET2_T3_PNS10_IS15_E10value_typeET4_jRbjT5_S1B_jjP12ihipStream_tbEUljE_ZNSN_ISO_Lb0ESQ_SR_SQ_SR_SV_EESW_SX_SY_SZ_S13_S14_S15_S18_S19_jS1A_jS1B_S1B_jjS1D_bEUljE0_EEESW_SX_SY_S15_S19_S1B_T6_T7_T9_mT8_S1D_bDpT10_ENKUlT_T0_E_clISt17integral_constantIbLb1EES1R_EEDaS1M_S1N_EUlS1M_E_NS1_11comp_targetILNS1_3genE9ELNS1_11target_archE1100ELNS1_3gpuE3ELNS1_3repE0EEENS1_30default_config_static_selectorELNS0_4arch9wavefront6targetE0EEEvSZ_,comdat
.Lfunc_end751:
	.size	_ZN7rocprim17ROCPRIM_400000_NS6detail17trampoline_kernelINS0_13select_configILj256ELj13ELNS0_17block_load_methodE3ELS4_3ELS4_3ELNS0_20block_scan_algorithmE0ELj4294967295EEENS1_25partition_config_selectorILNS1_17partition_subalgoE4EjNS0_10empty_typeEbEEZZNS1_14partition_implILS8_4ELb0ES6_15HIP_vector_typeIjLj2EENS0_17counting_iteratorIjlEEPS9_SG_NS0_5tupleIJPjSI_NS0_16reverse_iteratorISI_EEEEENSH_IJSG_SG_SG_EEES9_SI_JZNS1_25segmented_radix_sort_implINS0_14default_configELb0EPKlPlSQ_SR_N2at6native12_GLOBAL__N_18offset_tEEE10hipError_tPvRmT1_PNSt15iterator_traitsISZ_E10value_typeET2_T3_PNS10_IS15_E10value_typeET4_jRbjT5_S1B_jjP12ihipStream_tbEUljE_ZNSN_ISO_Lb0ESQ_SR_SQ_SR_SV_EESW_SX_SY_SZ_S13_S14_S15_S18_S19_jS1A_jS1B_S1B_jjS1D_bEUljE0_EEESW_SX_SY_S15_S19_S1B_T6_T7_T9_mT8_S1D_bDpT10_ENKUlT_T0_E_clISt17integral_constantIbLb1EES1R_EEDaS1M_S1N_EUlS1M_E_NS1_11comp_targetILNS1_3genE9ELNS1_11target_archE1100ELNS1_3gpuE3ELNS1_3repE0EEENS1_30default_config_static_selectorELNS0_4arch9wavefront6targetE0EEEvSZ_, .Lfunc_end751-_ZN7rocprim17ROCPRIM_400000_NS6detail17trampoline_kernelINS0_13select_configILj256ELj13ELNS0_17block_load_methodE3ELS4_3ELS4_3ELNS0_20block_scan_algorithmE0ELj4294967295EEENS1_25partition_config_selectorILNS1_17partition_subalgoE4EjNS0_10empty_typeEbEEZZNS1_14partition_implILS8_4ELb0ES6_15HIP_vector_typeIjLj2EENS0_17counting_iteratorIjlEEPS9_SG_NS0_5tupleIJPjSI_NS0_16reverse_iteratorISI_EEEEENSH_IJSG_SG_SG_EEES9_SI_JZNS1_25segmented_radix_sort_implINS0_14default_configELb0EPKlPlSQ_SR_N2at6native12_GLOBAL__N_18offset_tEEE10hipError_tPvRmT1_PNSt15iterator_traitsISZ_E10value_typeET2_T3_PNS10_IS15_E10value_typeET4_jRbjT5_S1B_jjP12ihipStream_tbEUljE_ZNSN_ISO_Lb0ESQ_SR_SQ_SR_SV_EESW_SX_SY_SZ_S13_S14_S15_S18_S19_jS1A_jS1B_S1B_jjS1D_bEUljE0_EEESW_SX_SY_S15_S19_S1B_T6_T7_T9_mT8_S1D_bDpT10_ENKUlT_T0_E_clISt17integral_constantIbLb1EES1R_EEDaS1M_S1N_EUlS1M_E_NS1_11comp_targetILNS1_3genE9ELNS1_11target_archE1100ELNS1_3gpuE3ELNS1_3repE0EEENS1_30default_config_static_selectorELNS0_4arch9wavefront6targetE0EEEvSZ_
                                        ; -- End function
	.set _ZN7rocprim17ROCPRIM_400000_NS6detail17trampoline_kernelINS0_13select_configILj256ELj13ELNS0_17block_load_methodE3ELS4_3ELS4_3ELNS0_20block_scan_algorithmE0ELj4294967295EEENS1_25partition_config_selectorILNS1_17partition_subalgoE4EjNS0_10empty_typeEbEEZZNS1_14partition_implILS8_4ELb0ES6_15HIP_vector_typeIjLj2EENS0_17counting_iteratorIjlEEPS9_SG_NS0_5tupleIJPjSI_NS0_16reverse_iteratorISI_EEEEENSH_IJSG_SG_SG_EEES9_SI_JZNS1_25segmented_radix_sort_implINS0_14default_configELb0EPKlPlSQ_SR_N2at6native12_GLOBAL__N_18offset_tEEE10hipError_tPvRmT1_PNSt15iterator_traitsISZ_E10value_typeET2_T3_PNS10_IS15_E10value_typeET4_jRbjT5_S1B_jjP12ihipStream_tbEUljE_ZNSN_ISO_Lb0ESQ_SR_SQ_SR_SV_EESW_SX_SY_SZ_S13_S14_S15_S18_S19_jS1A_jS1B_S1B_jjS1D_bEUljE0_EEESW_SX_SY_S15_S19_S1B_T6_T7_T9_mT8_S1D_bDpT10_ENKUlT_T0_E_clISt17integral_constantIbLb1EES1R_EEDaS1M_S1N_EUlS1M_E_NS1_11comp_targetILNS1_3genE9ELNS1_11target_archE1100ELNS1_3gpuE3ELNS1_3repE0EEENS1_30default_config_static_selectorELNS0_4arch9wavefront6targetE0EEEvSZ_.num_vgpr, 0
	.set _ZN7rocprim17ROCPRIM_400000_NS6detail17trampoline_kernelINS0_13select_configILj256ELj13ELNS0_17block_load_methodE3ELS4_3ELS4_3ELNS0_20block_scan_algorithmE0ELj4294967295EEENS1_25partition_config_selectorILNS1_17partition_subalgoE4EjNS0_10empty_typeEbEEZZNS1_14partition_implILS8_4ELb0ES6_15HIP_vector_typeIjLj2EENS0_17counting_iteratorIjlEEPS9_SG_NS0_5tupleIJPjSI_NS0_16reverse_iteratorISI_EEEEENSH_IJSG_SG_SG_EEES9_SI_JZNS1_25segmented_radix_sort_implINS0_14default_configELb0EPKlPlSQ_SR_N2at6native12_GLOBAL__N_18offset_tEEE10hipError_tPvRmT1_PNSt15iterator_traitsISZ_E10value_typeET2_T3_PNS10_IS15_E10value_typeET4_jRbjT5_S1B_jjP12ihipStream_tbEUljE_ZNSN_ISO_Lb0ESQ_SR_SQ_SR_SV_EESW_SX_SY_SZ_S13_S14_S15_S18_S19_jS1A_jS1B_S1B_jjS1D_bEUljE0_EEESW_SX_SY_S15_S19_S1B_T6_T7_T9_mT8_S1D_bDpT10_ENKUlT_T0_E_clISt17integral_constantIbLb1EES1R_EEDaS1M_S1N_EUlS1M_E_NS1_11comp_targetILNS1_3genE9ELNS1_11target_archE1100ELNS1_3gpuE3ELNS1_3repE0EEENS1_30default_config_static_selectorELNS0_4arch9wavefront6targetE0EEEvSZ_.num_agpr, 0
	.set _ZN7rocprim17ROCPRIM_400000_NS6detail17trampoline_kernelINS0_13select_configILj256ELj13ELNS0_17block_load_methodE3ELS4_3ELS4_3ELNS0_20block_scan_algorithmE0ELj4294967295EEENS1_25partition_config_selectorILNS1_17partition_subalgoE4EjNS0_10empty_typeEbEEZZNS1_14partition_implILS8_4ELb0ES6_15HIP_vector_typeIjLj2EENS0_17counting_iteratorIjlEEPS9_SG_NS0_5tupleIJPjSI_NS0_16reverse_iteratorISI_EEEEENSH_IJSG_SG_SG_EEES9_SI_JZNS1_25segmented_radix_sort_implINS0_14default_configELb0EPKlPlSQ_SR_N2at6native12_GLOBAL__N_18offset_tEEE10hipError_tPvRmT1_PNSt15iterator_traitsISZ_E10value_typeET2_T3_PNS10_IS15_E10value_typeET4_jRbjT5_S1B_jjP12ihipStream_tbEUljE_ZNSN_ISO_Lb0ESQ_SR_SQ_SR_SV_EESW_SX_SY_SZ_S13_S14_S15_S18_S19_jS1A_jS1B_S1B_jjS1D_bEUljE0_EEESW_SX_SY_S15_S19_S1B_T6_T7_T9_mT8_S1D_bDpT10_ENKUlT_T0_E_clISt17integral_constantIbLb1EES1R_EEDaS1M_S1N_EUlS1M_E_NS1_11comp_targetILNS1_3genE9ELNS1_11target_archE1100ELNS1_3gpuE3ELNS1_3repE0EEENS1_30default_config_static_selectorELNS0_4arch9wavefront6targetE0EEEvSZ_.numbered_sgpr, 0
	.set _ZN7rocprim17ROCPRIM_400000_NS6detail17trampoline_kernelINS0_13select_configILj256ELj13ELNS0_17block_load_methodE3ELS4_3ELS4_3ELNS0_20block_scan_algorithmE0ELj4294967295EEENS1_25partition_config_selectorILNS1_17partition_subalgoE4EjNS0_10empty_typeEbEEZZNS1_14partition_implILS8_4ELb0ES6_15HIP_vector_typeIjLj2EENS0_17counting_iteratorIjlEEPS9_SG_NS0_5tupleIJPjSI_NS0_16reverse_iteratorISI_EEEEENSH_IJSG_SG_SG_EEES9_SI_JZNS1_25segmented_radix_sort_implINS0_14default_configELb0EPKlPlSQ_SR_N2at6native12_GLOBAL__N_18offset_tEEE10hipError_tPvRmT1_PNSt15iterator_traitsISZ_E10value_typeET2_T3_PNS10_IS15_E10value_typeET4_jRbjT5_S1B_jjP12ihipStream_tbEUljE_ZNSN_ISO_Lb0ESQ_SR_SQ_SR_SV_EESW_SX_SY_SZ_S13_S14_S15_S18_S19_jS1A_jS1B_S1B_jjS1D_bEUljE0_EEESW_SX_SY_S15_S19_S1B_T6_T7_T9_mT8_S1D_bDpT10_ENKUlT_T0_E_clISt17integral_constantIbLb1EES1R_EEDaS1M_S1N_EUlS1M_E_NS1_11comp_targetILNS1_3genE9ELNS1_11target_archE1100ELNS1_3gpuE3ELNS1_3repE0EEENS1_30default_config_static_selectorELNS0_4arch9wavefront6targetE0EEEvSZ_.num_named_barrier, 0
	.set _ZN7rocprim17ROCPRIM_400000_NS6detail17trampoline_kernelINS0_13select_configILj256ELj13ELNS0_17block_load_methodE3ELS4_3ELS4_3ELNS0_20block_scan_algorithmE0ELj4294967295EEENS1_25partition_config_selectorILNS1_17partition_subalgoE4EjNS0_10empty_typeEbEEZZNS1_14partition_implILS8_4ELb0ES6_15HIP_vector_typeIjLj2EENS0_17counting_iteratorIjlEEPS9_SG_NS0_5tupleIJPjSI_NS0_16reverse_iteratorISI_EEEEENSH_IJSG_SG_SG_EEES9_SI_JZNS1_25segmented_radix_sort_implINS0_14default_configELb0EPKlPlSQ_SR_N2at6native12_GLOBAL__N_18offset_tEEE10hipError_tPvRmT1_PNSt15iterator_traitsISZ_E10value_typeET2_T3_PNS10_IS15_E10value_typeET4_jRbjT5_S1B_jjP12ihipStream_tbEUljE_ZNSN_ISO_Lb0ESQ_SR_SQ_SR_SV_EESW_SX_SY_SZ_S13_S14_S15_S18_S19_jS1A_jS1B_S1B_jjS1D_bEUljE0_EEESW_SX_SY_S15_S19_S1B_T6_T7_T9_mT8_S1D_bDpT10_ENKUlT_T0_E_clISt17integral_constantIbLb1EES1R_EEDaS1M_S1N_EUlS1M_E_NS1_11comp_targetILNS1_3genE9ELNS1_11target_archE1100ELNS1_3gpuE3ELNS1_3repE0EEENS1_30default_config_static_selectorELNS0_4arch9wavefront6targetE0EEEvSZ_.private_seg_size, 0
	.set _ZN7rocprim17ROCPRIM_400000_NS6detail17trampoline_kernelINS0_13select_configILj256ELj13ELNS0_17block_load_methodE3ELS4_3ELS4_3ELNS0_20block_scan_algorithmE0ELj4294967295EEENS1_25partition_config_selectorILNS1_17partition_subalgoE4EjNS0_10empty_typeEbEEZZNS1_14partition_implILS8_4ELb0ES6_15HIP_vector_typeIjLj2EENS0_17counting_iteratorIjlEEPS9_SG_NS0_5tupleIJPjSI_NS0_16reverse_iteratorISI_EEEEENSH_IJSG_SG_SG_EEES9_SI_JZNS1_25segmented_radix_sort_implINS0_14default_configELb0EPKlPlSQ_SR_N2at6native12_GLOBAL__N_18offset_tEEE10hipError_tPvRmT1_PNSt15iterator_traitsISZ_E10value_typeET2_T3_PNS10_IS15_E10value_typeET4_jRbjT5_S1B_jjP12ihipStream_tbEUljE_ZNSN_ISO_Lb0ESQ_SR_SQ_SR_SV_EESW_SX_SY_SZ_S13_S14_S15_S18_S19_jS1A_jS1B_S1B_jjS1D_bEUljE0_EEESW_SX_SY_S15_S19_S1B_T6_T7_T9_mT8_S1D_bDpT10_ENKUlT_T0_E_clISt17integral_constantIbLb1EES1R_EEDaS1M_S1N_EUlS1M_E_NS1_11comp_targetILNS1_3genE9ELNS1_11target_archE1100ELNS1_3gpuE3ELNS1_3repE0EEENS1_30default_config_static_selectorELNS0_4arch9wavefront6targetE0EEEvSZ_.uses_vcc, 0
	.set _ZN7rocprim17ROCPRIM_400000_NS6detail17trampoline_kernelINS0_13select_configILj256ELj13ELNS0_17block_load_methodE3ELS4_3ELS4_3ELNS0_20block_scan_algorithmE0ELj4294967295EEENS1_25partition_config_selectorILNS1_17partition_subalgoE4EjNS0_10empty_typeEbEEZZNS1_14partition_implILS8_4ELb0ES6_15HIP_vector_typeIjLj2EENS0_17counting_iteratorIjlEEPS9_SG_NS0_5tupleIJPjSI_NS0_16reverse_iteratorISI_EEEEENSH_IJSG_SG_SG_EEES9_SI_JZNS1_25segmented_radix_sort_implINS0_14default_configELb0EPKlPlSQ_SR_N2at6native12_GLOBAL__N_18offset_tEEE10hipError_tPvRmT1_PNSt15iterator_traitsISZ_E10value_typeET2_T3_PNS10_IS15_E10value_typeET4_jRbjT5_S1B_jjP12ihipStream_tbEUljE_ZNSN_ISO_Lb0ESQ_SR_SQ_SR_SV_EESW_SX_SY_SZ_S13_S14_S15_S18_S19_jS1A_jS1B_S1B_jjS1D_bEUljE0_EEESW_SX_SY_S15_S19_S1B_T6_T7_T9_mT8_S1D_bDpT10_ENKUlT_T0_E_clISt17integral_constantIbLb1EES1R_EEDaS1M_S1N_EUlS1M_E_NS1_11comp_targetILNS1_3genE9ELNS1_11target_archE1100ELNS1_3gpuE3ELNS1_3repE0EEENS1_30default_config_static_selectorELNS0_4arch9wavefront6targetE0EEEvSZ_.uses_flat_scratch, 0
	.set _ZN7rocprim17ROCPRIM_400000_NS6detail17trampoline_kernelINS0_13select_configILj256ELj13ELNS0_17block_load_methodE3ELS4_3ELS4_3ELNS0_20block_scan_algorithmE0ELj4294967295EEENS1_25partition_config_selectorILNS1_17partition_subalgoE4EjNS0_10empty_typeEbEEZZNS1_14partition_implILS8_4ELb0ES6_15HIP_vector_typeIjLj2EENS0_17counting_iteratorIjlEEPS9_SG_NS0_5tupleIJPjSI_NS0_16reverse_iteratorISI_EEEEENSH_IJSG_SG_SG_EEES9_SI_JZNS1_25segmented_radix_sort_implINS0_14default_configELb0EPKlPlSQ_SR_N2at6native12_GLOBAL__N_18offset_tEEE10hipError_tPvRmT1_PNSt15iterator_traitsISZ_E10value_typeET2_T3_PNS10_IS15_E10value_typeET4_jRbjT5_S1B_jjP12ihipStream_tbEUljE_ZNSN_ISO_Lb0ESQ_SR_SQ_SR_SV_EESW_SX_SY_SZ_S13_S14_S15_S18_S19_jS1A_jS1B_S1B_jjS1D_bEUljE0_EEESW_SX_SY_S15_S19_S1B_T6_T7_T9_mT8_S1D_bDpT10_ENKUlT_T0_E_clISt17integral_constantIbLb1EES1R_EEDaS1M_S1N_EUlS1M_E_NS1_11comp_targetILNS1_3genE9ELNS1_11target_archE1100ELNS1_3gpuE3ELNS1_3repE0EEENS1_30default_config_static_selectorELNS0_4arch9wavefront6targetE0EEEvSZ_.has_dyn_sized_stack, 0
	.set _ZN7rocprim17ROCPRIM_400000_NS6detail17trampoline_kernelINS0_13select_configILj256ELj13ELNS0_17block_load_methodE3ELS4_3ELS4_3ELNS0_20block_scan_algorithmE0ELj4294967295EEENS1_25partition_config_selectorILNS1_17partition_subalgoE4EjNS0_10empty_typeEbEEZZNS1_14partition_implILS8_4ELb0ES6_15HIP_vector_typeIjLj2EENS0_17counting_iteratorIjlEEPS9_SG_NS0_5tupleIJPjSI_NS0_16reverse_iteratorISI_EEEEENSH_IJSG_SG_SG_EEES9_SI_JZNS1_25segmented_radix_sort_implINS0_14default_configELb0EPKlPlSQ_SR_N2at6native12_GLOBAL__N_18offset_tEEE10hipError_tPvRmT1_PNSt15iterator_traitsISZ_E10value_typeET2_T3_PNS10_IS15_E10value_typeET4_jRbjT5_S1B_jjP12ihipStream_tbEUljE_ZNSN_ISO_Lb0ESQ_SR_SQ_SR_SV_EESW_SX_SY_SZ_S13_S14_S15_S18_S19_jS1A_jS1B_S1B_jjS1D_bEUljE0_EEESW_SX_SY_S15_S19_S1B_T6_T7_T9_mT8_S1D_bDpT10_ENKUlT_T0_E_clISt17integral_constantIbLb1EES1R_EEDaS1M_S1N_EUlS1M_E_NS1_11comp_targetILNS1_3genE9ELNS1_11target_archE1100ELNS1_3gpuE3ELNS1_3repE0EEENS1_30default_config_static_selectorELNS0_4arch9wavefront6targetE0EEEvSZ_.has_recursion, 0
	.set _ZN7rocprim17ROCPRIM_400000_NS6detail17trampoline_kernelINS0_13select_configILj256ELj13ELNS0_17block_load_methodE3ELS4_3ELS4_3ELNS0_20block_scan_algorithmE0ELj4294967295EEENS1_25partition_config_selectorILNS1_17partition_subalgoE4EjNS0_10empty_typeEbEEZZNS1_14partition_implILS8_4ELb0ES6_15HIP_vector_typeIjLj2EENS0_17counting_iteratorIjlEEPS9_SG_NS0_5tupleIJPjSI_NS0_16reverse_iteratorISI_EEEEENSH_IJSG_SG_SG_EEES9_SI_JZNS1_25segmented_radix_sort_implINS0_14default_configELb0EPKlPlSQ_SR_N2at6native12_GLOBAL__N_18offset_tEEE10hipError_tPvRmT1_PNSt15iterator_traitsISZ_E10value_typeET2_T3_PNS10_IS15_E10value_typeET4_jRbjT5_S1B_jjP12ihipStream_tbEUljE_ZNSN_ISO_Lb0ESQ_SR_SQ_SR_SV_EESW_SX_SY_SZ_S13_S14_S15_S18_S19_jS1A_jS1B_S1B_jjS1D_bEUljE0_EEESW_SX_SY_S15_S19_S1B_T6_T7_T9_mT8_S1D_bDpT10_ENKUlT_T0_E_clISt17integral_constantIbLb1EES1R_EEDaS1M_S1N_EUlS1M_E_NS1_11comp_targetILNS1_3genE9ELNS1_11target_archE1100ELNS1_3gpuE3ELNS1_3repE0EEENS1_30default_config_static_selectorELNS0_4arch9wavefront6targetE0EEEvSZ_.has_indirect_call, 0
	.section	.AMDGPU.csdata,"",@progbits
; Kernel info:
; codeLenInByte = 0
; TotalNumSgprs: 0
; NumVgprs: 0
; ScratchSize: 0
; MemoryBound: 0
; FloatMode: 240
; IeeeMode: 1
; LDSByteSize: 0 bytes/workgroup (compile time only)
; SGPRBlocks: 0
; VGPRBlocks: 0
; NumSGPRsForWavesPerEU: 1
; NumVGPRsForWavesPerEU: 1
; Occupancy: 16
; WaveLimiterHint : 0
; COMPUTE_PGM_RSRC2:SCRATCH_EN: 0
; COMPUTE_PGM_RSRC2:USER_SGPR: 6
; COMPUTE_PGM_RSRC2:TRAP_HANDLER: 0
; COMPUTE_PGM_RSRC2:TGID_X_EN: 1
; COMPUTE_PGM_RSRC2:TGID_Y_EN: 0
; COMPUTE_PGM_RSRC2:TGID_Z_EN: 0
; COMPUTE_PGM_RSRC2:TIDIG_COMP_CNT: 0
	.section	.text._ZN7rocprim17ROCPRIM_400000_NS6detail17trampoline_kernelINS0_13select_configILj256ELj13ELNS0_17block_load_methodE3ELS4_3ELS4_3ELNS0_20block_scan_algorithmE0ELj4294967295EEENS1_25partition_config_selectorILNS1_17partition_subalgoE4EjNS0_10empty_typeEbEEZZNS1_14partition_implILS8_4ELb0ES6_15HIP_vector_typeIjLj2EENS0_17counting_iteratorIjlEEPS9_SG_NS0_5tupleIJPjSI_NS0_16reverse_iteratorISI_EEEEENSH_IJSG_SG_SG_EEES9_SI_JZNS1_25segmented_radix_sort_implINS0_14default_configELb0EPKlPlSQ_SR_N2at6native12_GLOBAL__N_18offset_tEEE10hipError_tPvRmT1_PNSt15iterator_traitsISZ_E10value_typeET2_T3_PNS10_IS15_E10value_typeET4_jRbjT5_S1B_jjP12ihipStream_tbEUljE_ZNSN_ISO_Lb0ESQ_SR_SQ_SR_SV_EESW_SX_SY_SZ_S13_S14_S15_S18_S19_jS1A_jS1B_S1B_jjS1D_bEUljE0_EEESW_SX_SY_S15_S19_S1B_T6_T7_T9_mT8_S1D_bDpT10_ENKUlT_T0_E_clISt17integral_constantIbLb1EES1R_EEDaS1M_S1N_EUlS1M_E_NS1_11comp_targetILNS1_3genE8ELNS1_11target_archE1030ELNS1_3gpuE2ELNS1_3repE0EEENS1_30default_config_static_selectorELNS0_4arch9wavefront6targetE0EEEvSZ_,"axG",@progbits,_ZN7rocprim17ROCPRIM_400000_NS6detail17trampoline_kernelINS0_13select_configILj256ELj13ELNS0_17block_load_methodE3ELS4_3ELS4_3ELNS0_20block_scan_algorithmE0ELj4294967295EEENS1_25partition_config_selectorILNS1_17partition_subalgoE4EjNS0_10empty_typeEbEEZZNS1_14partition_implILS8_4ELb0ES6_15HIP_vector_typeIjLj2EENS0_17counting_iteratorIjlEEPS9_SG_NS0_5tupleIJPjSI_NS0_16reverse_iteratorISI_EEEEENSH_IJSG_SG_SG_EEES9_SI_JZNS1_25segmented_radix_sort_implINS0_14default_configELb0EPKlPlSQ_SR_N2at6native12_GLOBAL__N_18offset_tEEE10hipError_tPvRmT1_PNSt15iterator_traitsISZ_E10value_typeET2_T3_PNS10_IS15_E10value_typeET4_jRbjT5_S1B_jjP12ihipStream_tbEUljE_ZNSN_ISO_Lb0ESQ_SR_SQ_SR_SV_EESW_SX_SY_SZ_S13_S14_S15_S18_S19_jS1A_jS1B_S1B_jjS1D_bEUljE0_EEESW_SX_SY_S15_S19_S1B_T6_T7_T9_mT8_S1D_bDpT10_ENKUlT_T0_E_clISt17integral_constantIbLb1EES1R_EEDaS1M_S1N_EUlS1M_E_NS1_11comp_targetILNS1_3genE8ELNS1_11target_archE1030ELNS1_3gpuE2ELNS1_3repE0EEENS1_30default_config_static_selectorELNS0_4arch9wavefront6targetE0EEEvSZ_,comdat
	.globl	_ZN7rocprim17ROCPRIM_400000_NS6detail17trampoline_kernelINS0_13select_configILj256ELj13ELNS0_17block_load_methodE3ELS4_3ELS4_3ELNS0_20block_scan_algorithmE0ELj4294967295EEENS1_25partition_config_selectorILNS1_17partition_subalgoE4EjNS0_10empty_typeEbEEZZNS1_14partition_implILS8_4ELb0ES6_15HIP_vector_typeIjLj2EENS0_17counting_iteratorIjlEEPS9_SG_NS0_5tupleIJPjSI_NS0_16reverse_iteratorISI_EEEEENSH_IJSG_SG_SG_EEES9_SI_JZNS1_25segmented_radix_sort_implINS0_14default_configELb0EPKlPlSQ_SR_N2at6native12_GLOBAL__N_18offset_tEEE10hipError_tPvRmT1_PNSt15iterator_traitsISZ_E10value_typeET2_T3_PNS10_IS15_E10value_typeET4_jRbjT5_S1B_jjP12ihipStream_tbEUljE_ZNSN_ISO_Lb0ESQ_SR_SQ_SR_SV_EESW_SX_SY_SZ_S13_S14_S15_S18_S19_jS1A_jS1B_S1B_jjS1D_bEUljE0_EEESW_SX_SY_S15_S19_S1B_T6_T7_T9_mT8_S1D_bDpT10_ENKUlT_T0_E_clISt17integral_constantIbLb1EES1R_EEDaS1M_S1N_EUlS1M_E_NS1_11comp_targetILNS1_3genE8ELNS1_11target_archE1030ELNS1_3gpuE2ELNS1_3repE0EEENS1_30default_config_static_selectorELNS0_4arch9wavefront6targetE0EEEvSZ_ ; -- Begin function _ZN7rocprim17ROCPRIM_400000_NS6detail17trampoline_kernelINS0_13select_configILj256ELj13ELNS0_17block_load_methodE3ELS4_3ELS4_3ELNS0_20block_scan_algorithmE0ELj4294967295EEENS1_25partition_config_selectorILNS1_17partition_subalgoE4EjNS0_10empty_typeEbEEZZNS1_14partition_implILS8_4ELb0ES6_15HIP_vector_typeIjLj2EENS0_17counting_iteratorIjlEEPS9_SG_NS0_5tupleIJPjSI_NS0_16reverse_iteratorISI_EEEEENSH_IJSG_SG_SG_EEES9_SI_JZNS1_25segmented_radix_sort_implINS0_14default_configELb0EPKlPlSQ_SR_N2at6native12_GLOBAL__N_18offset_tEEE10hipError_tPvRmT1_PNSt15iterator_traitsISZ_E10value_typeET2_T3_PNS10_IS15_E10value_typeET4_jRbjT5_S1B_jjP12ihipStream_tbEUljE_ZNSN_ISO_Lb0ESQ_SR_SQ_SR_SV_EESW_SX_SY_SZ_S13_S14_S15_S18_S19_jS1A_jS1B_S1B_jjS1D_bEUljE0_EEESW_SX_SY_S15_S19_S1B_T6_T7_T9_mT8_S1D_bDpT10_ENKUlT_T0_E_clISt17integral_constantIbLb1EES1R_EEDaS1M_S1N_EUlS1M_E_NS1_11comp_targetILNS1_3genE8ELNS1_11target_archE1030ELNS1_3gpuE2ELNS1_3repE0EEENS1_30default_config_static_selectorELNS0_4arch9wavefront6targetE0EEEvSZ_
	.p2align	8
	.type	_ZN7rocprim17ROCPRIM_400000_NS6detail17trampoline_kernelINS0_13select_configILj256ELj13ELNS0_17block_load_methodE3ELS4_3ELS4_3ELNS0_20block_scan_algorithmE0ELj4294967295EEENS1_25partition_config_selectorILNS1_17partition_subalgoE4EjNS0_10empty_typeEbEEZZNS1_14partition_implILS8_4ELb0ES6_15HIP_vector_typeIjLj2EENS0_17counting_iteratorIjlEEPS9_SG_NS0_5tupleIJPjSI_NS0_16reverse_iteratorISI_EEEEENSH_IJSG_SG_SG_EEES9_SI_JZNS1_25segmented_radix_sort_implINS0_14default_configELb0EPKlPlSQ_SR_N2at6native12_GLOBAL__N_18offset_tEEE10hipError_tPvRmT1_PNSt15iterator_traitsISZ_E10value_typeET2_T3_PNS10_IS15_E10value_typeET4_jRbjT5_S1B_jjP12ihipStream_tbEUljE_ZNSN_ISO_Lb0ESQ_SR_SQ_SR_SV_EESW_SX_SY_SZ_S13_S14_S15_S18_S19_jS1A_jS1B_S1B_jjS1D_bEUljE0_EEESW_SX_SY_S15_S19_S1B_T6_T7_T9_mT8_S1D_bDpT10_ENKUlT_T0_E_clISt17integral_constantIbLb1EES1R_EEDaS1M_S1N_EUlS1M_E_NS1_11comp_targetILNS1_3genE8ELNS1_11target_archE1030ELNS1_3gpuE2ELNS1_3repE0EEENS1_30default_config_static_selectorELNS0_4arch9wavefront6targetE0EEEvSZ_,@function
_ZN7rocprim17ROCPRIM_400000_NS6detail17trampoline_kernelINS0_13select_configILj256ELj13ELNS0_17block_load_methodE3ELS4_3ELS4_3ELNS0_20block_scan_algorithmE0ELj4294967295EEENS1_25partition_config_selectorILNS1_17partition_subalgoE4EjNS0_10empty_typeEbEEZZNS1_14partition_implILS8_4ELb0ES6_15HIP_vector_typeIjLj2EENS0_17counting_iteratorIjlEEPS9_SG_NS0_5tupleIJPjSI_NS0_16reverse_iteratorISI_EEEEENSH_IJSG_SG_SG_EEES9_SI_JZNS1_25segmented_radix_sort_implINS0_14default_configELb0EPKlPlSQ_SR_N2at6native12_GLOBAL__N_18offset_tEEE10hipError_tPvRmT1_PNSt15iterator_traitsISZ_E10value_typeET2_T3_PNS10_IS15_E10value_typeET4_jRbjT5_S1B_jjP12ihipStream_tbEUljE_ZNSN_ISO_Lb0ESQ_SR_SQ_SR_SV_EESW_SX_SY_SZ_S13_S14_S15_S18_S19_jS1A_jS1B_S1B_jjS1D_bEUljE0_EEESW_SX_SY_S15_S19_S1B_T6_T7_T9_mT8_S1D_bDpT10_ENKUlT_T0_E_clISt17integral_constantIbLb1EES1R_EEDaS1M_S1N_EUlS1M_E_NS1_11comp_targetILNS1_3genE8ELNS1_11target_archE1030ELNS1_3gpuE2ELNS1_3repE0EEENS1_30default_config_static_selectorELNS0_4arch9wavefront6targetE0EEEvSZ_: ; @_ZN7rocprim17ROCPRIM_400000_NS6detail17trampoline_kernelINS0_13select_configILj256ELj13ELNS0_17block_load_methodE3ELS4_3ELS4_3ELNS0_20block_scan_algorithmE0ELj4294967295EEENS1_25partition_config_selectorILNS1_17partition_subalgoE4EjNS0_10empty_typeEbEEZZNS1_14partition_implILS8_4ELb0ES6_15HIP_vector_typeIjLj2EENS0_17counting_iteratorIjlEEPS9_SG_NS0_5tupleIJPjSI_NS0_16reverse_iteratorISI_EEEEENSH_IJSG_SG_SG_EEES9_SI_JZNS1_25segmented_radix_sort_implINS0_14default_configELb0EPKlPlSQ_SR_N2at6native12_GLOBAL__N_18offset_tEEE10hipError_tPvRmT1_PNSt15iterator_traitsISZ_E10value_typeET2_T3_PNS10_IS15_E10value_typeET4_jRbjT5_S1B_jjP12ihipStream_tbEUljE_ZNSN_ISO_Lb0ESQ_SR_SQ_SR_SV_EESW_SX_SY_SZ_S13_S14_S15_S18_S19_jS1A_jS1B_S1B_jjS1D_bEUljE0_EEESW_SX_SY_S15_S19_S1B_T6_T7_T9_mT8_S1D_bDpT10_ENKUlT_T0_E_clISt17integral_constantIbLb1EES1R_EEDaS1M_S1N_EUlS1M_E_NS1_11comp_targetILNS1_3genE8ELNS1_11target_archE1030ELNS1_3gpuE2ELNS1_3repE0EEENS1_30default_config_static_selectorELNS0_4arch9wavefront6targetE0EEEvSZ_
; %bb.0:
	s_endpgm
	.section	.rodata,"a",@progbits
	.p2align	6, 0x0
	.amdhsa_kernel _ZN7rocprim17ROCPRIM_400000_NS6detail17trampoline_kernelINS0_13select_configILj256ELj13ELNS0_17block_load_methodE3ELS4_3ELS4_3ELNS0_20block_scan_algorithmE0ELj4294967295EEENS1_25partition_config_selectorILNS1_17partition_subalgoE4EjNS0_10empty_typeEbEEZZNS1_14partition_implILS8_4ELb0ES6_15HIP_vector_typeIjLj2EENS0_17counting_iteratorIjlEEPS9_SG_NS0_5tupleIJPjSI_NS0_16reverse_iteratorISI_EEEEENSH_IJSG_SG_SG_EEES9_SI_JZNS1_25segmented_radix_sort_implINS0_14default_configELb0EPKlPlSQ_SR_N2at6native12_GLOBAL__N_18offset_tEEE10hipError_tPvRmT1_PNSt15iterator_traitsISZ_E10value_typeET2_T3_PNS10_IS15_E10value_typeET4_jRbjT5_S1B_jjP12ihipStream_tbEUljE_ZNSN_ISO_Lb0ESQ_SR_SQ_SR_SV_EESW_SX_SY_SZ_S13_S14_S15_S18_S19_jS1A_jS1B_S1B_jjS1D_bEUljE0_EEESW_SX_SY_S15_S19_S1B_T6_T7_T9_mT8_S1D_bDpT10_ENKUlT_T0_E_clISt17integral_constantIbLb1EES1R_EEDaS1M_S1N_EUlS1M_E_NS1_11comp_targetILNS1_3genE8ELNS1_11target_archE1030ELNS1_3gpuE2ELNS1_3repE0EEENS1_30default_config_static_selectorELNS0_4arch9wavefront6targetE0EEEvSZ_
		.amdhsa_group_segment_fixed_size 0
		.amdhsa_private_segment_fixed_size 0
		.amdhsa_kernarg_size 184
		.amdhsa_user_sgpr_count 6
		.amdhsa_user_sgpr_private_segment_buffer 1
		.amdhsa_user_sgpr_dispatch_ptr 0
		.amdhsa_user_sgpr_queue_ptr 0
		.amdhsa_user_sgpr_kernarg_segment_ptr 1
		.amdhsa_user_sgpr_dispatch_id 0
		.amdhsa_user_sgpr_flat_scratch_init 0
		.amdhsa_user_sgpr_private_segment_size 0
		.amdhsa_wavefront_size32 1
		.amdhsa_uses_dynamic_stack 0
		.amdhsa_system_sgpr_private_segment_wavefront_offset 0
		.amdhsa_system_sgpr_workgroup_id_x 1
		.amdhsa_system_sgpr_workgroup_id_y 0
		.amdhsa_system_sgpr_workgroup_id_z 0
		.amdhsa_system_sgpr_workgroup_info 0
		.amdhsa_system_vgpr_workitem_id 0
		.amdhsa_next_free_vgpr 1
		.amdhsa_next_free_sgpr 1
		.amdhsa_reserve_vcc 0
		.amdhsa_reserve_flat_scratch 0
		.amdhsa_float_round_mode_32 0
		.amdhsa_float_round_mode_16_64 0
		.amdhsa_float_denorm_mode_32 3
		.amdhsa_float_denorm_mode_16_64 3
		.amdhsa_dx10_clamp 1
		.amdhsa_ieee_mode 1
		.amdhsa_fp16_overflow 0
		.amdhsa_workgroup_processor_mode 1
		.amdhsa_memory_ordered 1
		.amdhsa_forward_progress 1
		.amdhsa_shared_vgpr_count 0
		.amdhsa_exception_fp_ieee_invalid_op 0
		.amdhsa_exception_fp_denorm_src 0
		.amdhsa_exception_fp_ieee_div_zero 0
		.amdhsa_exception_fp_ieee_overflow 0
		.amdhsa_exception_fp_ieee_underflow 0
		.amdhsa_exception_fp_ieee_inexact 0
		.amdhsa_exception_int_div_zero 0
	.end_amdhsa_kernel
	.section	.text._ZN7rocprim17ROCPRIM_400000_NS6detail17trampoline_kernelINS0_13select_configILj256ELj13ELNS0_17block_load_methodE3ELS4_3ELS4_3ELNS0_20block_scan_algorithmE0ELj4294967295EEENS1_25partition_config_selectorILNS1_17partition_subalgoE4EjNS0_10empty_typeEbEEZZNS1_14partition_implILS8_4ELb0ES6_15HIP_vector_typeIjLj2EENS0_17counting_iteratorIjlEEPS9_SG_NS0_5tupleIJPjSI_NS0_16reverse_iteratorISI_EEEEENSH_IJSG_SG_SG_EEES9_SI_JZNS1_25segmented_radix_sort_implINS0_14default_configELb0EPKlPlSQ_SR_N2at6native12_GLOBAL__N_18offset_tEEE10hipError_tPvRmT1_PNSt15iterator_traitsISZ_E10value_typeET2_T3_PNS10_IS15_E10value_typeET4_jRbjT5_S1B_jjP12ihipStream_tbEUljE_ZNSN_ISO_Lb0ESQ_SR_SQ_SR_SV_EESW_SX_SY_SZ_S13_S14_S15_S18_S19_jS1A_jS1B_S1B_jjS1D_bEUljE0_EEESW_SX_SY_S15_S19_S1B_T6_T7_T9_mT8_S1D_bDpT10_ENKUlT_T0_E_clISt17integral_constantIbLb1EES1R_EEDaS1M_S1N_EUlS1M_E_NS1_11comp_targetILNS1_3genE8ELNS1_11target_archE1030ELNS1_3gpuE2ELNS1_3repE0EEENS1_30default_config_static_selectorELNS0_4arch9wavefront6targetE0EEEvSZ_,"axG",@progbits,_ZN7rocprim17ROCPRIM_400000_NS6detail17trampoline_kernelINS0_13select_configILj256ELj13ELNS0_17block_load_methodE3ELS4_3ELS4_3ELNS0_20block_scan_algorithmE0ELj4294967295EEENS1_25partition_config_selectorILNS1_17partition_subalgoE4EjNS0_10empty_typeEbEEZZNS1_14partition_implILS8_4ELb0ES6_15HIP_vector_typeIjLj2EENS0_17counting_iteratorIjlEEPS9_SG_NS0_5tupleIJPjSI_NS0_16reverse_iteratorISI_EEEEENSH_IJSG_SG_SG_EEES9_SI_JZNS1_25segmented_radix_sort_implINS0_14default_configELb0EPKlPlSQ_SR_N2at6native12_GLOBAL__N_18offset_tEEE10hipError_tPvRmT1_PNSt15iterator_traitsISZ_E10value_typeET2_T3_PNS10_IS15_E10value_typeET4_jRbjT5_S1B_jjP12ihipStream_tbEUljE_ZNSN_ISO_Lb0ESQ_SR_SQ_SR_SV_EESW_SX_SY_SZ_S13_S14_S15_S18_S19_jS1A_jS1B_S1B_jjS1D_bEUljE0_EEESW_SX_SY_S15_S19_S1B_T6_T7_T9_mT8_S1D_bDpT10_ENKUlT_T0_E_clISt17integral_constantIbLb1EES1R_EEDaS1M_S1N_EUlS1M_E_NS1_11comp_targetILNS1_3genE8ELNS1_11target_archE1030ELNS1_3gpuE2ELNS1_3repE0EEENS1_30default_config_static_selectorELNS0_4arch9wavefront6targetE0EEEvSZ_,comdat
.Lfunc_end752:
	.size	_ZN7rocprim17ROCPRIM_400000_NS6detail17trampoline_kernelINS0_13select_configILj256ELj13ELNS0_17block_load_methodE3ELS4_3ELS4_3ELNS0_20block_scan_algorithmE0ELj4294967295EEENS1_25partition_config_selectorILNS1_17partition_subalgoE4EjNS0_10empty_typeEbEEZZNS1_14partition_implILS8_4ELb0ES6_15HIP_vector_typeIjLj2EENS0_17counting_iteratorIjlEEPS9_SG_NS0_5tupleIJPjSI_NS0_16reverse_iteratorISI_EEEEENSH_IJSG_SG_SG_EEES9_SI_JZNS1_25segmented_radix_sort_implINS0_14default_configELb0EPKlPlSQ_SR_N2at6native12_GLOBAL__N_18offset_tEEE10hipError_tPvRmT1_PNSt15iterator_traitsISZ_E10value_typeET2_T3_PNS10_IS15_E10value_typeET4_jRbjT5_S1B_jjP12ihipStream_tbEUljE_ZNSN_ISO_Lb0ESQ_SR_SQ_SR_SV_EESW_SX_SY_SZ_S13_S14_S15_S18_S19_jS1A_jS1B_S1B_jjS1D_bEUljE0_EEESW_SX_SY_S15_S19_S1B_T6_T7_T9_mT8_S1D_bDpT10_ENKUlT_T0_E_clISt17integral_constantIbLb1EES1R_EEDaS1M_S1N_EUlS1M_E_NS1_11comp_targetILNS1_3genE8ELNS1_11target_archE1030ELNS1_3gpuE2ELNS1_3repE0EEENS1_30default_config_static_selectorELNS0_4arch9wavefront6targetE0EEEvSZ_, .Lfunc_end752-_ZN7rocprim17ROCPRIM_400000_NS6detail17trampoline_kernelINS0_13select_configILj256ELj13ELNS0_17block_load_methodE3ELS4_3ELS4_3ELNS0_20block_scan_algorithmE0ELj4294967295EEENS1_25partition_config_selectorILNS1_17partition_subalgoE4EjNS0_10empty_typeEbEEZZNS1_14partition_implILS8_4ELb0ES6_15HIP_vector_typeIjLj2EENS0_17counting_iteratorIjlEEPS9_SG_NS0_5tupleIJPjSI_NS0_16reverse_iteratorISI_EEEEENSH_IJSG_SG_SG_EEES9_SI_JZNS1_25segmented_radix_sort_implINS0_14default_configELb0EPKlPlSQ_SR_N2at6native12_GLOBAL__N_18offset_tEEE10hipError_tPvRmT1_PNSt15iterator_traitsISZ_E10value_typeET2_T3_PNS10_IS15_E10value_typeET4_jRbjT5_S1B_jjP12ihipStream_tbEUljE_ZNSN_ISO_Lb0ESQ_SR_SQ_SR_SV_EESW_SX_SY_SZ_S13_S14_S15_S18_S19_jS1A_jS1B_S1B_jjS1D_bEUljE0_EEESW_SX_SY_S15_S19_S1B_T6_T7_T9_mT8_S1D_bDpT10_ENKUlT_T0_E_clISt17integral_constantIbLb1EES1R_EEDaS1M_S1N_EUlS1M_E_NS1_11comp_targetILNS1_3genE8ELNS1_11target_archE1030ELNS1_3gpuE2ELNS1_3repE0EEENS1_30default_config_static_selectorELNS0_4arch9wavefront6targetE0EEEvSZ_
                                        ; -- End function
	.set _ZN7rocprim17ROCPRIM_400000_NS6detail17trampoline_kernelINS0_13select_configILj256ELj13ELNS0_17block_load_methodE3ELS4_3ELS4_3ELNS0_20block_scan_algorithmE0ELj4294967295EEENS1_25partition_config_selectorILNS1_17partition_subalgoE4EjNS0_10empty_typeEbEEZZNS1_14partition_implILS8_4ELb0ES6_15HIP_vector_typeIjLj2EENS0_17counting_iteratorIjlEEPS9_SG_NS0_5tupleIJPjSI_NS0_16reverse_iteratorISI_EEEEENSH_IJSG_SG_SG_EEES9_SI_JZNS1_25segmented_radix_sort_implINS0_14default_configELb0EPKlPlSQ_SR_N2at6native12_GLOBAL__N_18offset_tEEE10hipError_tPvRmT1_PNSt15iterator_traitsISZ_E10value_typeET2_T3_PNS10_IS15_E10value_typeET4_jRbjT5_S1B_jjP12ihipStream_tbEUljE_ZNSN_ISO_Lb0ESQ_SR_SQ_SR_SV_EESW_SX_SY_SZ_S13_S14_S15_S18_S19_jS1A_jS1B_S1B_jjS1D_bEUljE0_EEESW_SX_SY_S15_S19_S1B_T6_T7_T9_mT8_S1D_bDpT10_ENKUlT_T0_E_clISt17integral_constantIbLb1EES1R_EEDaS1M_S1N_EUlS1M_E_NS1_11comp_targetILNS1_3genE8ELNS1_11target_archE1030ELNS1_3gpuE2ELNS1_3repE0EEENS1_30default_config_static_selectorELNS0_4arch9wavefront6targetE0EEEvSZ_.num_vgpr, 0
	.set _ZN7rocprim17ROCPRIM_400000_NS6detail17trampoline_kernelINS0_13select_configILj256ELj13ELNS0_17block_load_methodE3ELS4_3ELS4_3ELNS0_20block_scan_algorithmE0ELj4294967295EEENS1_25partition_config_selectorILNS1_17partition_subalgoE4EjNS0_10empty_typeEbEEZZNS1_14partition_implILS8_4ELb0ES6_15HIP_vector_typeIjLj2EENS0_17counting_iteratorIjlEEPS9_SG_NS0_5tupleIJPjSI_NS0_16reverse_iteratorISI_EEEEENSH_IJSG_SG_SG_EEES9_SI_JZNS1_25segmented_radix_sort_implINS0_14default_configELb0EPKlPlSQ_SR_N2at6native12_GLOBAL__N_18offset_tEEE10hipError_tPvRmT1_PNSt15iterator_traitsISZ_E10value_typeET2_T3_PNS10_IS15_E10value_typeET4_jRbjT5_S1B_jjP12ihipStream_tbEUljE_ZNSN_ISO_Lb0ESQ_SR_SQ_SR_SV_EESW_SX_SY_SZ_S13_S14_S15_S18_S19_jS1A_jS1B_S1B_jjS1D_bEUljE0_EEESW_SX_SY_S15_S19_S1B_T6_T7_T9_mT8_S1D_bDpT10_ENKUlT_T0_E_clISt17integral_constantIbLb1EES1R_EEDaS1M_S1N_EUlS1M_E_NS1_11comp_targetILNS1_3genE8ELNS1_11target_archE1030ELNS1_3gpuE2ELNS1_3repE0EEENS1_30default_config_static_selectorELNS0_4arch9wavefront6targetE0EEEvSZ_.num_agpr, 0
	.set _ZN7rocprim17ROCPRIM_400000_NS6detail17trampoline_kernelINS0_13select_configILj256ELj13ELNS0_17block_load_methodE3ELS4_3ELS4_3ELNS0_20block_scan_algorithmE0ELj4294967295EEENS1_25partition_config_selectorILNS1_17partition_subalgoE4EjNS0_10empty_typeEbEEZZNS1_14partition_implILS8_4ELb0ES6_15HIP_vector_typeIjLj2EENS0_17counting_iteratorIjlEEPS9_SG_NS0_5tupleIJPjSI_NS0_16reverse_iteratorISI_EEEEENSH_IJSG_SG_SG_EEES9_SI_JZNS1_25segmented_radix_sort_implINS0_14default_configELb0EPKlPlSQ_SR_N2at6native12_GLOBAL__N_18offset_tEEE10hipError_tPvRmT1_PNSt15iterator_traitsISZ_E10value_typeET2_T3_PNS10_IS15_E10value_typeET4_jRbjT5_S1B_jjP12ihipStream_tbEUljE_ZNSN_ISO_Lb0ESQ_SR_SQ_SR_SV_EESW_SX_SY_SZ_S13_S14_S15_S18_S19_jS1A_jS1B_S1B_jjS1D_bEUljE0_EEESW_SX_SY_S15_S19_S1B_T6_T7_T9_mT8_S1D_bDpT10_ENKUlT_T0_E_clISt17integral_constantIbLb1EES1R_EEDaS1M_S1N_EUlS1M_E_NS1_11comp_targetILNS1_3genE8ELNS1_11target_archE1030ELNS1_3gpuE2ELNS1_3repE0EEENS1_30default_config_static_selectorELNS0_4arch9wavefront6targetE0EEEvSZ_.numbered_sgpr, 0
	.set _ZN7rocprim17ROCPRIM_400000_NS6detail17trampoline_kernelINS0_13select_configILj256ELj13ELNS0_17block_load_methodE3ELS4_3ELS4_3ELNS0_20block_scan_algorithmE0ELj4294967295EEENS1_25partition_config_selectorILNS1_17partition_subalgoE4EjNS0_10empty_typeEbEEZZNS1_14partition_implILS8_4ELb0ES6_15HIP_vector_typeIjLj2EENS0_17counting_iteratorIjlEEPS9_SG_NS0_5tupleIJPjSI_NS0_16reverse_iteratorISI_EEEEENSH_IJSG_SG_SG_EEES9_SI_JZNS1_25segmented_radix_sort_implINS0_14default_configELb0EPKlPlSQ_SR_N2at6native12_GLOBAL__N_18offset_tEEE10hipError_tPvRmT1_PNSt15iterator_traitsISZ_E10value_typeET2_T3_PNS10_IS15_E10value_typeET4_jRbjT5_S1B_jjP12ihipStream_tbEUljE_ZNSN_ISO_Lb0ESQ_SR_SQ_SR_SV_EESW_SX_SY_SZ_S13_S14_S15_S18_S19_jS1A_jS1B_S1B_jjS1D_bEUljE0_EEESW_SX_SY_S15_S19_S1B_T6_T7_T9_mT8_S1D_bDpT10_ENKUlT_T0_E_clISt17integral_constantIbLb1EES1R_EEDaS1M_S1N_EUlS1M_E_NS1_11comp_targetILNS1_3genE8ELNS1_11target_archE1030ELNS1_3gpuE2ELNS1_3repE0EEENS1_30default_config_static_selectorELNS0_4arch9wavefront6targetE0EEEvSZ_.num_named_barrier, 0
	.set _ZN7rocprim17ROCPRIM_400000_NS6detail17trampoline_kernelINS0_13select_configILj256ELj13ELNS0_17block_load_methodE3ELS4_3ELS4_3ELNS0_20block_scan_algorithmE0ELj4294967295EEENS1_25partition_config_selectorILNS1_17partition_subalgoE4EjNS0_10empty_typeEbEEZZNS1_14partition_implILS8_4ELb0ES6_15HIP_vector_typeIjLj2EENS0_17counting_iteratorIjlEEPS9_SG_NS0_5tupleIJPjSI_NS0_16reverse_iteratorISI_EEEEENSH_IJSG_SG_SG_EEES9_SI_JZNS1_25segmented_radix_sort_implINS0_14default_configELb0EPKlPlSQ_SR_N2at6native12_GLOBAL__N_18offset_tEEE10hipError_tPvRmT1_PNSt15iterator_traitsISZ_E10value_typeET2_T3_PNS10_IS15_E10value_typeET4_jRbjT5_S1B_jjP12ihipStream_tbEUljE_ZNSN_ISO_Lb0ESQ_SR_SQ_SR_SV_EESW_SX_SY_SZ_S13_S14_S15_S18_S19_jS1A_jS1B_S1B_jjS1D_bEUljE0_EEESW_SX_SY_S15_S19_S1B_T6_T7_T9_mT8_S1D_bDpT10_ENKUlT_T0_E_clISt17integral_constantIbLb1EES1R_EEDaS1M_S1N_EUlS1M_E_NS1_11comp_targetILNS1_3genE8ELNS1_11target_archE1030ELNS1_3gpuE2ELNS1_3repE0EEENS1_30default_config_static_selectorELNS0_4arch9wavefront6targetE0EEEvSZ_.private_seg_size, 0
	.set _ZN7rocprim17ROCPRIM_400000_NS6detail17trampoline_kernelINS0_13select_configILj256ELj13ELNS0_17block_load_methodE3ELS4_3ELS4_3ELNS0_20block_scan_algorithmE0ELj4294967295EEENS1_25partition_config_selectorILNS1_17partition_subalgoE4EjNS0_10empty_typeEbEEZZNS1_14partition_implILS8_4ELb0ES6_15HIP_vector_typeIjLj2EENS0_17counting_iteratorIjlEEPS9_SG_NS0_5tupleIJPjSI_NS0_16reverse_iteratorISI_EEEEENSH_IJSG_SG_SG_EEES9_SI_JZNS1_25segmented_radix_sort_implINS0_14default_configELb0EPKlPlSQ_SR_N2at6native12_GLOBAL__N_18offset_tEEE10hipError_tPvRmT1_PNSt15iterator_traitsISZ_E10value_typeET2_T3_PNS10_IS15_E10value_typeET4_jRbjT5_S1B_jjP12ihipStream_tbEUljE_ZNSN_ISO_Lb0ESQ_SR_SQ_SR_SV_EESW_SX_SY_SZ_S13_S14_S15_S18_S19_jS1A_jS1B_S1B_jjS1D_bEUljE0_EEESW_SX_SY_S15_S19_S1B_T6_T7_T9_mT8_S1D_bDpT10_ENKUlT_T0_E_clISt17integral_constantIbLb1EES1R_EEDaS1M_S1N_EUlS1M_E_NS1_11comp_targetILNS1_3genE8ELNS1_11target_archE1030ELNS1_3gpuE2ELNS1_3repE0EEENS1_30default_config_static_selectorELNS0_4arch9wavefront6targetE0EEEvSZ_.uses_vcc, 0
	.set _ZN7rocprim17ROCPRIM_400000_NS6detail17trampoline_kernelINS0_13select_configILj256ELj13ELNS0_17block_load_methodE3ELS4_3ELS4_3ELNS0_20block_scan_algorithmE0ELj4294967295EEENS1_25partition_config_selectorILNS1_17partition_subalgoE4EjNS0_10empty_typeEbEEZZNS1_14partition_implILS8_4ELb0ES6_15HIP_vector_typeIjLj2EENS0_17counting_iteratorIjlEEPS9_SG_NS0_5tupleIJPjSI_NS0_16reverse_iteratorISI_EEEEENSH_IJSG_SG_SG_EEES9_SI_JZNS1_25segmented_radix_sort_implINS0_14default_configELb0EPKlPlSQ_SR_N2at6native12_GLOBAL__N_18offset_tEEE10hipError_tPvRmT1_PNSt15iterator_traitsISZ_E10value_typeET2_T3_PNS10_IS15_E10value_typeET4_jRbjT5_S1B_jjP12ihipStream_tbEUljE_ZNSN_ISO_Lb0ESQ_SR_SQ_SR_SV_EESW_SX_SY_SZ_S13_S14_S15_S18_S19_jS1A_jS1B_S1B_jjS1D_bEUljE0_EEESW_SX_SY_S15_S19_S1B_T6_T7_T9_mT8_S1D_bDpT10_ENKUlT_T0_E_clISt17integral_constantIbLb1EES1R_EEDaS1M_S1N_EUlS1M_E_NS1_11comp_targetILNS1_3genE8ELNS1_11target_archE1030ELNS1_3gpuE2ELNS1_3repE0EEENS1_30default_config_static_selectorELNS0_4arch9wavefront6targetE0EEEvSZ_.uses_flat_scratch, 0
	.set _ZN7rocprim17ROCPRIM_400000_NS6detail17trampoline_kernelINS0_13select_configILj256ELj13ELNS0_17block_load_methodE3ELS4_3ELS4_3ELNS0_20block_scan_algorithmE0ELj4294967295EEENS1_25partition_config_selectorILNS1_17partition_subalgoE4EjNS0_10empty_typeEbEEZZNS1_14partition_implILS8_4ELb0ES6_15HIP_vector_typeIjLj2EENS0_17counting_iteratorIjlEEPS9_SG_NS0_5tupleIJPjSI_NS0_16reverse_iteratorISI_EEEEENSH_IJSG_SG_SG_EEES9_SI_JZNS1_25segmented_radix_sort_implINS0_14default_configELb0EPKlPlSQ_SR_N2at6native12_GLOBAL__N_18offset_tEEE10hipError_tPvRmT1_PNSt15iterator_traitsISZ_E10value_typeET2_T3_PNS10_IS15_E10value_typeET4_jRbjT5_S1B_jjP12ihipStream_tbEUljE_ZNSN_ISO_Lb0ESQ_SR_SQ_SR_SV_EESW_SX_SY_SZ_S13_S14_S15_S18_S19_jS1A_jS1B_S1B_jjS1D_bEUljE0_EEESW_SX_SY_S15_S19_S1B_T6_T7_T9_mT8_S1D_bDpT10_ENKUlT_T0_E_clISt17integral_constantIbLb1EES1R_EEDaS1M_S1N_EUlS1M_E_NS1_11comp_targetILNS1_3genE8ELNS1_11target_archE1030ELNS1_3gpuE2ELNS1_3repE0EEENS1_30default_config_static_selectorELNS0_4arch9wavefront6targetE0EEEvSZ_.has_dyn_sized_stack, 0
	.set _ZN7rocprim17ROCPRIM_400000_NS6detail17trampoline_kernelINS0_13select_configILj256ELj13ELNS0_17block_load_methodE3ELS4_3ELS4_3ELNS0_20block_scan_algorithmE0ELj4294967295EEENS1_25partition_config_selectorILNS1_17partition_subalgoE4EjNS0_10empty_typeEbEEZZNS1_14partition_implILS8_4ELb0ES6_15HIP_vector_typeIjLj2EENS0_17counting_iteratorIjlEEPS9_SG_NS0_5tupleIJPjSI_NS0_16reverse_iteratorISI_EEEEENSH_IJSG_SG_SG_EEES9_SI_JZNS1_25segmented_radix_sort_implINS0_14default_configELb0EPKlPlSQ_SR_N2at6native12_GLOBAL__N_18offset_tEEE10hipError_tPvRmT1_PNSt15iterator_traitsISZ_E10value_typeET2_T3_PNS10_IS15_E10value_typeET4_jRbjT5_S1B_jjP12ihipStream_tbEUljE_ZNSN_ISO_Lb0ESQ_SR_SQ_SR_SV_EESW_SX_SY_SZ_S13_S14_S15_S18_S19_jS1A_jS1B_S1B_jjS1D_bEUljE0_EEESW_SX_SY_S15_S19_S1B_T6_T7_T9_mT8_S1D_bDpT10_ENKUlT_T0_E_clISt17integral_constantIbLb1EES1R_EEDaS1M_S1N_EUlS1M_E_NS1_11comp_targetILNS1_3genE8ELNS1_11target_archE1030ELNS1_3gpuE2ELNS1_3repE0EEENS1_30default_config_static_selectorELNS0_4arch9wavefront6targetE0EEEvSZ_.has_recursion, 0
	.set _ZN7rocprim17ROCPRIM_400000_NS6detail17trampoline_kernelINS0_13select_configILj256ELj13ELNS0_17block_load_methodE3ELS4_3ELS4_3ELNS0_20block_scan_algorithmE0ELj4294967295EEENS1_25partition_config_selectorILNS1_17partition_subalgoE4EjNS0_10empty_typeEbEEZZNS1_14partition_implILS8_4ELb0ES6_15HIP_vector_typeIjLj2EENS0_17counting_iteratorIjlEEPS9_SG_NS0_5tupleIJPjSI_NS0_16reverse_iteratorISI_EEEEENSH_IJSG_SG_SG_EEES9_SI_JZNS1_25segmented_radix_sort_implINS0_14default_configELb0EPKlPlSQ_SR_N2at6native12_GLOBAL__N_18offset_tEEE10hipError_tPvRmT1_PNSt15iterator_traitsISZ_E10value_typeET2_T3_PNS10_IS15_E10value_typeET4_jRbjT5_S1B_jjP12ihipStream_tbEUljE_ZNSN_ISO_Lb0ESQ_SR_SQ_SR_SV_EESW_SX_SY_SZ_S13_S14_S15_S18_S19_jS1A_jS1B_S1B_jjS1D_bEUljE0_EEESW_SX_SY_S15_S19_S1B_T6_T7_T9_mT8_S1D_bDpT10_ENKUlT_T0_E_clISt17integral_constantIbLb1EES1R_EEDaS1M_S1N_EUlS1M_E_NS1_11comp_targetILNS1_3genE8ELNS1_11target_archE1030ELNS1_3gpuE2ELNS1_3repE0EEENS1_30default_config_static_selectorELNS0_4arch9wavefront6targetE0EEEvSZ_.has_indirect_call, 0
	.section	.AMDGPU.csdata,"",@progbits
; Kernel info:
; codeLenInByte = 4
; TotalNumSgprs: 0
; NumVgprs: 0
; ScratchSize: 0
; MemoryBound: 0
; FloatMode: 240
; IeeeMode: 1
; LDSByteSize: 0 bytes/workgroup (compile time only)
; SGPRBlocks: 0
; VGPRBlocks: 0
; NumSGPRsForWavesPerEU: 1
; NumVGPRsForWavesPerEU: 1
; Occupancy: 16
; WaveLimiterHint : 0
; COMPUTE_PGM_RSRC2:SCRATCH_EN: 0
; COMPUTE_PGM_RSRC2:USER_SGPR: 6
; COMPUTE_PGM_RSRC2:TRAP_HANDLER: 0
; COMPUTE_PGM_RSRC2:TGID_X_EN: 1
; COMPUTE_PGM_RSRC2:TGID_Y_EN: 0
; COMPUTE_PGM_RSRC2:TGID_Z_EN: 0
; COMPUTE_PGM_RSRC2:TIDIG_COMP_CNT: 0
	.section	.text._ZN7rocprim17ROCPRIM_400000_NS6detail17trampoline_kernelINS0_13select_configILj256ELj13ELNS0_17block_load_methodE3ELS4_3ELS4_3ELNS0_20block_scan_algorithmE0ELj4294967295EEENS1_25partition_config_selectorILNS1_17partition_subalgoE4EjNS0_10empty_typeEbEEZZNS1_14partition_implILS8_4ELb0ES6_15HIP_vector_typeIjLj2EENS0_17counting_iteratorIjlEEPS9_SG_NS0_5tupleIJPjSI_NS0_16reverse_iteratorISI_EEEEENSH_IJSG_SG_SG_EEES9_SI_JZNS1_25segmented_radix_sort_implINS0_14default_configELb0EPKlPlSQ_SR_N2at6native12_GLOBAL__N_18offset_tEEE10hipError_tPvRmT1_PNSt15iterator_traitsISZ_E10value_typeET2_T3_PNS10_IS15_E10value_typeET4_jRbjT5_S1B_jjP12ihipStream_tbEUljE_ZNSN_ISO_Lb0ESQ_SR_SQ_SR_SV_EESW_SX_SY_SZ_S13_S14_S15_S18_S19_jS1A_jS1B_S1B_jjS1D_bEUljE0_EEESW_SX_SY_S15_S19_S1B_T6_T7_T9_mT8_S1D_bDpT10_ENKUlT_T0_E_clISt17integral_constantIbLb1EES1Q_IbLb0EEEEDaS1M_S1N_EUlS1M_E_NS1_11comp_targetILNS1_3genE0ELNS1_11target_archE4294967295ELNS1_3gpuE0ELNS1_3repE0EEENS1_30default_config_static_selectorELNS0_4arch9wavefront6targetE0EEEvSZ_,"axG",@progbits,_ZN7rocprim17ROCPRIM_400000_NS6detail17trampoline_kernelINS0_13select_configILj256ELj13ELNS0_17block_load_methodE3ELS4_3ELS4_3ELNS0_20block_scan_algorithmE0ELj4294967295EEENS1_25partition_config_selectorILNS1_17partition_subalgoE4EjNS0_10empty_typeEbEEZZNS1_14partition_implILS8_4ELb0ES6_15HIP_vector_typeIjLj2EENS0_17counting_iteratorIjlEEPS9_SG_NS0_5tupleIJPjSI_NS0_16reverse_iteratorISI_EEEEENSH_IJSG_SG_SG_EEES9_SI_JZNS1_25segmented_radix_sort_implINS0_14default_configELb0EPKlPlSQ_SR_N2at6native12_GLOBAL__N_18offset_tEEE10hipError_tPvRmT1_PNSt15iterator_traitsISZ_E10value_typeET2_T3_PNS10_IS15_E10value_typeET4_jRbjT5_S1B_jjP12ihipStream_tbEUljE_ZNSN_ISO_Lb0ESQ_SR_SQ_SR_SV_EESW_SX_SY_SZ_S13_S14_S15_S18_S19_jS1A_jS1B_S1B_jjS1D_bEUljE0_EEESW_SX_SY_S15_S19_S1B_T6_T7_T9_mT8_S1D_bDpT10_ENKUlT_T0_E_clISt17integral_constantIbLb1EES1Q_IbLb0EEEEDaS1M_S1N_EUlS1M_E_NS1_11comp_targetILNS1_3genE0ELNS1_11target_archE4294967295ELNS1_3gpuE0ELNS1_3repE0EEENS1_30default_config_static_selectorELNS0_4arch9wavefront6targetE0EEEvSZ_,comdat
	.globl	_ZN7rocprim17ROCPRIM_400000_NS6detail17trampoline_kernelINS0_13select_configILj256ELj13ELNS0_17block_load_methodE3ELS4_3ELS4_3ELNS0_20block_scan_algorithmE0ELj4294967295EEENS1_25partition_config_selectorILNS1_17partition_subalgoE4EjNS0_10empty_typeEbEEZZNS1_14partition_implILS8_4ELb0ES6_15HIP_vector_typeIjLj2EENS0_17counting_iteratorIjlEEPS9_SG_NS0_5tupleIJPjSI_NS0_16reverse_iteratorISI_EEEEENSH_IJSG_SG_SG_EEES9_SI_JZNS1_25segmented_radix_sort_implINS0_14default_configELb0EPKlPlSQ_SR_N2at6native12_GLOBAL__N_18offset_tEEE10hipError_tPvRmT1_PNSt15iterator_traitsISZ_E10value_typeET2_T3_PNS10_IS15_E10value_typeET4_jRbjT5_S1B_jjP12ihipStream_tbEUljE_ZNSN_ISO_Lb0ESQ_SR_SQ_SR_SV_EESW_SX_SY_SZ_S13_S14_S15_S18_S19_jS1A_jS1B_S1B_jjS1D_bEUljE0_EEESW_SX_SY_S15_S19_S1B_T6_T7_T9_mT8_S1D_bDpT10_ENKUlT_T0_E_clISt17integral_constantIbLb1EES1Q_IbLb0EEEEDaS1M_S1N_EUlS1M_E_NS1_11comp_targetILNS1_3genE0ELNS1_11target_archE4294967295ELNS1_3gpuE0ELNS1_3repE0EEENS1_30default_config_static_selectorELNS0_4arch9wavefront6targetE0EEEvSZ_ ; -- Begin function _ZN7rocprim17ROCPRIM_400000_NS6detail17trampoline_kernelINS0_13select_configILj256ELj13ELNS0_17block_load_methodE3ELS4_3ELS4_3ELNS0_20block_scan_algorithmE0ELj4294967295EEENS1_25partition_config_selectorILNS1_17partition_subalgoE4EjNS0_10empty_typeEbEEZZNS1_14partition_implILS8_4ELb0ES6_15HIP_vector_typeIjLj2EENS0_17counting_iteratorIjlEEPS9_SG_NS0_5tupleIJPjSI_NS0_16reverse_iteratorISI_EEEEENSH_IJSG_SG_SG_EEES9_SI_JZNS1_25segmented_radix_sort_implINS0_14default_configELb0EPKlPlSQ_SR_N2at6native12_GLOBAL__N_18offset_tEEE10hipError_tPvRmT1_PNSt15iterator_traitsISZ_E10value_typeET2_T3_PNS10_IS15_E10value_typeET4_jRbjT5_S1B_jjP12ihipStream_tbEUljE_ZNSN_ISO_Lb0ESQ_SR_SQ_SR_SV_EESW_SX_SY_SZ_S13_S14_S15_S18_S19_jS1A_jS1B_S1B_jjS1D_bEUljE0_EEESW_SX_SY_S15_S19_S1B_T6_T7_T9_mT8_S1D_bDpT10_ENKUlT_T0_E_clISt17integral_constantIbLb1EES1Q_IbLb0EEEEDaS1M_S1N_EUlS1M_E_NS1_11comp_targetILNS1_3genE0ELNS1_11target_archE4294967295ELNS1_3gpuE0ELNS1_3repE0EEENS1_30default_config_static_selectorELNS0_4arch9wavefront6targetE0EEEvSZ_
	.p2align	8
	.type	_ZN7rocprim17ROCPRIM_400000_NS6detail17trampoline_kernelINS0_13select_configILj256ELj13ELNS0_17block_load_methodE3ELS4_3ELS4_3ELNS0_20block_scan_algorithmE0ELj4294967295EEENS1_25partition_config_selectorILNS1_17partition_subalgoE4EjNS0_10empty_typeEbEEZZNS1_14partition_implILS8_4ELb0ES6_15HIP_vector_typeIjLj2EENS0_17counting_iteratorIjlEEPS9_SG_NS0_5tupleIJPjSI_NS0_16reverse_iteratorISI_EEEEENSH_IJSG_SG_SG_EEES9_SI_JZNS1_25segmented_radix_sort_implINS0_14default_configELb0EPKlPlSQ_SR_N2at6native12_GLOBAL__N_18offset_tEEE10hipError_tPvRmT1_PNSt15iterator_traitsISZ_E10value_typeET2_T3_PNS10_IS15_E10value_typeET4_jRbjT5_S1B_jjP12ihipStream_tbEUljE_ZNSN_ISO_Lb0ESQ_SR_SQ_SR_SV_EESW_SX_SY_SZ_S13_S14_S15_S18_S19_jS1A_jS1B_S1B_jjS1D_bEUljE0_EEESW_SX_SY_S15_S19_S1B_T6_T7_T9_mT8_S1D_bDpT10_ENKUlT_T0_E_clISt17integral_constantIbLb1EES1Q_IbLb0EEEEDaS1M_S1N_EUlS1M_E_NS1_11comp_targetILNS1_3genE0ELNS1_11target_archE4294967295ELNS1_3gpuE0ELNS1_3repE0EEENS1_30default_config_static_selectorELNS0_4arch9wavefront6targetE0EEEvSZ_,@function
_ZN7rocprim17ROCPRIM_400000_NS6detail17trampoline_kernelINS0_13select_configILj256ELj13ELNS0_17block_load_methodE3ELS4_3ELS4_3ELNS0_20block_scan_algorithmE0ELj4294967295EEENS1_25partition_config_selectorILNS1_17partition_subalgoE4EjNS0_10empty_typeEbEEZZNS1_14partition_implILS8_4ELb0ES6_15HIP_vector_typeIjLj2EENS0_17counting_iteratorIjlEEPS9_SG_NS0_5tupleIJPjSI_NS0_16reverse_iteratorISI_EEEEENSH_IJSG_SG_SG_EEES9_SI_JZNS1_25segmented_radix_sort_implINS0_14default_configELb0EPKlPlSQ_SR_N2at6native12_GLOBAL__N_18offset_tEEE10hipError_tPvRmT1_PNSt15iterator_traitsISZ_E10value_typeET2_T3_PNS10_IS15_E10value_typeET4_jRbjT5_S1B_jjP12ihipStream_tbEUljE_ZNSN_ISO_Lb0ESQ_SR_SQ_SR_SV_EESW_SX_SY_SZ_S13_S14_S15_S18_S19_jS1A_jS1B_S1B_jjS1D_bEUljE0_EEESW_SX_SY_S15_S19_S1B_T6_T7_T9_mT8_S1D_bDpT10_ENKUlT_T0_E_clISt17integral_constantIbLb1EES1Q_IbLb0EEEEDaS1M_S1N_EUlS1M_E_NS1_11comp_targetILNS1_3genE0ELNS1_11target_archE4294967295ELNS1_3gpuE0ELNS1_3repE0EEENS1_30default_config_static_selectorELNS0_4arch9wavefront6targetE0EEEvSZ_: ; @_ZN7rocprim17ROCPRIM_400000_NS6detail17trampoline_kernelINS0_13select_configILj256ELj13ELNS0_17block_load_methodE3ELS4_3ELS4_3ELNS0_20block_scan_algorithmE0ELj4294967295EEENS1_25partition_config_selectorILNS1_17partition_subalgoE4EjNS0_10empty_typeEbEEZZNS1_14partition_implILS8_4ELb0ES6_15HIP_vector_typeIjLj2EENS0_17counting_iteratorIjlEEPS9_SG_NS0_5tupleIJPjSI_NS0_16reverse_iteratorISI_EEEEENSH_IJSG_SG_SG_EEES9_SI_JZNS1_25segmented_radix_sort_implINS0_14default_configELb0EPKlPlSQ_SR_N2at6native12_GLOBAL__N_18offset_tEEE10hipError_tPvRmT1_PNSt15iterator_traitsISZ_E10value_typeET2_T3_PNS10_IS15_E10value_typeET4_jRbjT5_S1B_jjP12ihipStream_tbEUljE_ZNSN_ISO_Lb0ESQ_SR_SQ_SR_SV_EESW_SX_SY_SZ_S13_S14_S15_S18_S19_jS1A_jS1B_S1B_jjS1D_bEUljE0_EEESW_SX_SY_S15_S19_S1B_T6_T7_T9_mT8_S1D_bDpT10_ENKUlT_T0_E_clISt17integral_constantIbLb1EES1Q_IbLb0EEEEDaS1M_S1N_EUlS1M_E_NS1_11comp_targetILNS1_3genE0ELNS1_11target_archE4294967295ELNS1_3gpuE0ELNS1_3repE0EEENS1_30default_config_static_selectorELNS0_4arch9wavefront6targetE0EEEvSZ_
; %bb.0:
	.section	.rodata,"a",@progbits
	.p2align	6, 0x0
	.amdhsa_kernel _ZN7rocprim17ROCPRIM_400000_NS6detail17trampoline_kernelINS0_13select_configILj256ELj13ELNS0_17block_load_methodE3ELS4_3ELS4_3ELNS0_20block_scan_algorithmE0ELj4294967295EEENS1_25partition_config_selectorILNS1_17partition_subalgoE4EjNS0_10empty_typeEbEEZZNS1_14partition_implILS8_4ELb0ES6_15HIP_vector_typeIjLj2EENS0_17counting_iteratorIjlEEPS9_SG_NS0_5tupleIJPjSI_NS0_16reverse_iteratorISI_EEEEENSH_IJSG_SG_SG_EEES9_SI_JZNS1_25segmented_radix_sort_implINS0_14default_configELb0EPKlPlSQ_SR_N2at6native12_GLOBAL__N_18offset_tEEE10hipError_tPvRmT1_PNSt15iterator_traitsISZ_E10value_typeET2_T3_PNS10_IS15_E10value_typeET4_jRbjT5_S1B_jjP12ihipStream_tbEUljE_ZNSN_ISO_Lb0ESQ_SR_SQ_SR_SV_EESW_SX_SY_SZ_S13_S14_S15_S18_S19_jS1A_jS1B_S1B_jjS1D_bEUljE0_EEESW_SX_SY_S15_S19_S1B_T6_T7_T9_mT8_S1D_bDpT10_ENKUlT_T0_E_clISt17integral_constantIbLb1EES1Q_IbLb0EEEEDaS1M_S1N_EUlS1M_E_NS1_11comp_targetILNS1_3genE0ELNS1_11target_archE4294967295ELNS1_3gpuE0ELNS1_3repE0EEENS1_30default_config_static_selectorELNS0_4arch9wavefront6targetE0EEEvSZ_
		.amdhsa_group_segment_fixed_size 0
		.amdhsa_private_segment_fixed_size 0
		.amdhsa_kernarg_size 176
		.amdhsa_user_sgpr_count 6
		.amdhsa_user_sgpr_private_segment_buffer 1
		.amdhsa_user_sgpr_dispatch_ptr 0
		.amdhsa_user_sgpr_queue_ptr 0
		.amdhsa_user_sgpr_kernarg_segment_ptr 1
		.amdhsa_user_sgpr_dispatch_id 0
		.amdhsa_user_sgpr_flat_scratch_init 0
		.amdhsa_user_sgpr_private_segment_size 0
		.amdhsa_wavefront_size32 1
		.amdhsa_uses_dynamic_stack 0
		.amdhsa_system_sgpr_private_segment_wavefront_offset 0
		.amdhsa_system_sgpr_workgroup_id_x 1
		.amdhsa_system_sgpr_workgroup_id_y 0
		.amdhsa_system_sgpr_workgroup_id_z 0
		.amdhsa_system_sgpr_workgroup_info 0
		.amdhsa_system_vgpr_workitem_id 0
		.amdhsa_next_free_vgpr 1
		.amdhsa_next_free_sgpr 1
		.amdhsa_reserve_vcc 0
		.amdhsa_reserve_flat_scratch 0
		.amdhsa_float_round_mode_32 0
		.amdhsa_float_round_mode_16_64 0
		.amdhsa_float_denorm_mode_32 3
		.amdhsa_float_denorm_mode_16_64 3
		.amdhsa_dx10_clamp 1
		.amdhsa_ieee_mode 1
		.amdhsa_fp16_overflow 0
		.amdhsa_workgroup_processor_mode 1
		.amdhsa_memory_ordered 1
		.amdhsa_forward_progress 1
		.amdhsa_shared_vgpr_count 0
		.amdhsa_exception_fp_ieee_invalid_op 0
		.amdhsa_exception_fp_denorm_src 0
		.amdhsa_exception_fp_ieee_div_zero 0
		.amdhsa_exception_fp_ieee_overflow 0
		.amdhsa_exception_fp_ieee_underflow 0
		.amdhsa_exception_fp_ieee_inexact 0
		.amdhsa_exception_int_div_zero 0
	.end_amdhsa_kernel
	.section	.text._ZN7rocprim17ROCPRIM_400000_NS6detail17trampoline_kernelINS0_13select_configILj256ELj13ELNS0_17block_load_methodE3ELS4_3ELS4_3ELNS0_20block_scan_algorithmE0ELj4294967295EEENS1_25partition_config_selectorILNS1_17partition_subalgoE4EjNS0_10empty_typeEbEEZZNS1_14partition_implILS8_4ELb0ES6_15HIP_vector_typeIjLj2EENS0_17counting_iteratorIjlEEPS9_SG_NS0_5tupleIJPjSI_NS0_16reverse_iteratorISI_EEEEENSH_IJSG_SG_SG_EEES9_SI_JZNS1_25segmented_radix_sort_implINS0_14default_configELb0EPKlPlSQ_SR_N2at6native12_GLOBAL__N_18offset_tEEE10hipError_tPvRmT1_PNSt15iterator_traitsISZ_E10value_typeET2_T3_PNS10_IS15_E10value_typeET4_jRbjT5_S1B_jjP12ihipStream_tbEUljE_ZNSN_ISO_Lb0ESQ_SR_SQ_SR_SV_EESW_SX_SY_SZ_S13_S14_S15_S18_S19_jS1A_jS1B_S1B_jjS1D_bEUljE0_EEESW_SX_SY_S15_S19_S1B_T6_T7_T9_mT8_S1D_bDpT10_ENKUlT_T0_E_clISt17integral_constantIbLb1EES1Q_IbLb0EEEEDaS1M_S1N_EUlS1M_E_NS1_11comp_targetILNS1_3genE0ELNS1_11target_archE4294967295ELNS1_3gpuE0ELNS1_3repE0EEENS1_30default_config_static_selectorELNS0_4arch9wavefront6targetE0EEEvSZ_,"axG",@progbits,_ZN7rocprim17ROCPRIM_400000_NS6detail17trampoline_kernelINS0_13select_configILj256ELj13ELNS0_17block_load_methodE3ELS4_3ELS4_3ELNS0_20block_scan_algorithmE0ELj4294967295EEENS1_25partition_config_selectorILNS1_17partition_subalgoE4EjNS0_10empty_typeEbEEZZNS1_14partition_implILS8_4ELb0ES6_15HIP_vector_typeIjLj2EENS0_17counting_iteratorIjlEEPS9_SG_NS0_5tupleIJPjSI_NS0_16reverse_iteratorISI_EEEEENSH_IJSG_SG_SG_EEES9_SI_JZNS1_25segmented_radix_sort_implINS0_14default_configELb0EPKlPlSQ_SR_N2at6native12_GLOBAL__N_18offset_tEEE10hipError_tPvRmT1_PNSt15iterator_traitsISZ_E10value_typeET2_T3_PNS10_IS15_E10value_typeET4_jRbjT5_S1B_jjP12ihipStream_tbEUljE_ZNSN_ISO_Lb0ESQ_SR_SQ_SR_SV_EESW_SX_SY_SZ_S13_S14_S15_S18_S19_jS1A_jS1B_S1B_jjS1D_bEUljE0_EEESW_SX_SY_S15_S19_S1B_T6_T7_T9_mT8_S1D_bDpT10_ENKUlT_T0_E_clISt17integral_constantIbLb1EES1Q_IbLb0EEEEDaS1M_S1N_EUlS1M_E_NS1_11comp_targetILNS1_3genE0ELNS1_11target_archE4294967295ELNS1_3gpuE0ELNS1_3repE0EEENS1_30default_config_static_selectorELNS0_4arch9wavefront6targetE0EEEvSZ_,comdat
.Lfunc_end753:
	.size	_ZN7rocprim17ROCPRIM_400000_NS6detail17trampoline_kernelINS0_13select_configILj256ELj13ELNS0_17block_load_methodE3ELS4_3ELS4_3ELNS0_20block_scan_algorithmE0ELj4294967295EEENS1_25partition_config_selectorILNS1_17partition_subalgoE4EjNS0_10empty_typeEbEEZZNS1_14partition_implILS8_4ELb0ES6_15HIP_vector_typeIjLj2EENS0_17counting_iteratorIjlEEPS9_SG_NS0_5tupleIJPjSI_NS0_16reverse_iteratorISI_EEEEENSH_IJSG_SG_SG_EEES9_SI_JZNS1_25segmented_radix_sort_implINS0_14default_configELb0EPKlPlSQ_SR_N2at6native12_GLOBAL__N_18offset_tEEE10hipError_tPvRmT1_PNSt15iterator_traitsISZ_E10value_typeET2_T3_PNS10_IS15_E10value_typeET4_jRbjT5_S1B_jjP12ihipStream_tbEUljE_ZNSN_ISO_Lb0ESQ_SR_SQ_SR_SV_EESW_SX_SY_SZ_S13_S14_S15_S18_S19_jS1A_jS1B_S1B_jjS1D_bEUljE0_EEESW_SX_SY_S15_S19_S1B_T6_T7_T9_mT8_S1D_bDpT10_ENKUlT_T0_E_clISt17integral_constantIbLb1EES1Q_IbLb0EEEEDaS1M_S1N_EUlS1M_E_NS1_11comp_targetILNS1_3genE0ELNS1_11target_archE4294967295ELNS1_3gpuE0ELNS1_3repE0EEENS1_30default_config_static_selectorELNS0_4arch9wavefront6targetE0EEEvSZ_, .Lfunc_end753-_ZN7rocprim17ROCPRIM_400000_NS6detail17trampoline_kernelINS0_13select_configILj256ELj13ELNS0_17block_load_methodE3ELS4_3ELS4_3ELNS0_20block_scan_algorithmE0ELj4294967295EEENS1_25partition_config_selectorILNS1_17partition_subalgoE4EjNS0_10empty_typeEbEEZZNS1_14partition_implILS8_4ELb0ES6_15HIP_vector_typeIjLj2EENS0_17counting_iteratorIjlEEPS9_SG_NS0_5tupleIJPjSI_NS0_16reverse_iteratorISI_EEEEENSH_IJSG_SG_SG_EEES9_SI_JZNS1_25segmented_radix_sort_implINS0_14default_configELb0EPKlPlSQ_SR_N2at6native12_GLOBAL__N_18offset_tEEE10hipError_tPvRmT1_PNSt15iterator_traitsISZ_E10value_typeET2_T3_PNS10_IS15_E10value_typeET4_jRbjT5_S1B_jjP12ihipStream_tbEUljE_ZNSN_ISO_Lb0ESQ_SR_SQ_SR_SV_EESW_SX_SY_SZ_S13_S14_S15_S18_S19_jS1A_jS1B_S1B_jjS1D_bEUljE0_EEESW_SX_SY_S15_S19_S1B_T6_T7_T9_mT8_S1D_bDpT10_ENKUlT_T0_E_clISt17integral_constantIbLb1EES1Q_IbLb0EEEEDaS1M_S1N_EUlS1M_E_NS1_11comp_targetILNS1_3genE0ELNS1_11target_archE4294967295ELNS1_3gpuE0ELNS1_3repE0EEENS1_30default_config_static_selectorELNS0_4arch9wavefront6targetE0EEEvSZ_
                                        ; -- End function
	.set _ZN7rocprim17ROCPRIM_400000_NS6detail17trampoline_kernelINS0_13select_configILj256ELj13ELNS0_17block_load_methodE3ELS4_3ELS4_3ELNS0_20block_scan_algorithmE0ELj4294967295EEENS1_25partition_config_selectorILNS1_17partition_subalgoE4EjNS0_10empty_typeEbEEZZNS1_14partition_implILS8_4ELb0ES6_15HIP_vector_typeIjLj2EENS0_17counting_iteratorIjlEEPS9_SG_NS0_5tupleIJPjSI_NS0_16reverse_iteratorISI_EEEEENSH_IJSG_SG_SG_EEES9_SI_JZNS1_25segmented_radix_sort_implINS0_14default_configELb0EPKlPlSQ_SR_N2at6native12_GLOBAL__N_18offset_tEEE10hipError_tPvRmT1_PNSt15iterator_traitsISZ_E10value_typeET2_T3_PNS10_IS15_E10value_typeET4_jRbjT5_S1B_jjP12ihipStream_tbEUljE_ZNSN_ISO_Lb0ESQ_SR_SQ_SR_SV_EESW_SX_SY_SZ_S13_S14_S15_S18_S19_jS1A_jS1B_S1B_jjS1D_bEUljE0_EEESW_SX_SY_S15_S19_S1B_T6_T7_T9_mT8_S1D_bDpT10_ENKUlT_T0_E_clISt17integral_constantIbLb1EES1Q_IbLb0EEEEDaS1M_S1N_EUlS1M_E_NS1_11comp_targetILNS1_3genE0ELNS1_11target_archE4294967295ELNS1_3gpuE0ELNS1_3repE0EEENS1_30default_config_static_selectorELNS0_4arch9wavefront6targetE0EEEvSZ_.num_vgpr, 0
	.set _ZN7rocprim17ROCPRIM_400000_NS6detail17trampoline_kernelINS0_13select_configILj256ELj13ELNS0_17block_load_methodE3ELS4_3ELS4_3ELNS0_20block_scan_algorithmE0ELj4294967295EEENS1_25partition_config_selectorILNS1_17partition_subalgoE4EjNS0_10empty_typeEbEEZZNS1_14partition_implILS8_4ELb0ES6_15HIP_vector_typeIjLj2EENS0_17counting_iteratorIjlEEPS9_SG_NS0_5tupleIJPjSI_NS0_16reverse_iteratorISI_EEEEENSH_IJSG_SG_SG_EEES9_SI_JZNS1_25segmented_radix_sort_implINS0_14default_configELb0EPKlPlSQ_SR_N2at6native12_GLOBAL__N_18offset_tEEE10hipError_tPvRmT1_PNSt15iterator_traitsISZ_E10value_typeET2_T3_PNS10_IS15_E10value_typeET4_jRbjT5_S1B_jjP12ihipStream_tbEUljE_ZNSN_ISO_Lb0ESQ_SR_SQ_SR_SV_EESW_SX_SY_SZ_S13_S14_S15_S18_S19_jS1A_jS1B_S1B_jjS1D_bEUljE0_EEESW_SX_SY_S15_S19_S1B_T6_T7_T9_mT8_S1D_bDpT10_ENKUlT_T0_E_clISt17integral_constantIbLb1EES1Q_IbLb0EEEEDaS1M_S1N_EUlS1M_E_NS1_11comp_targetILNS1_3genE0ELNS1_11target_archE4294967295ELNS1_3gpuE0ELNS1_3repE0EEENS1_30default_config_static_selectorELNS0_4arch9wavefront6targetE0EEEvSZ_.num_agpr, 0
	.set _ZN7rocprim17ROCPRIM_400000_NS6detail17trampoline_kernelINS0_13select_configILj256ELj13ELNS0_17block_load_methodE3ELS4_3ELS4_3ELNS0_20block_scan_algorithmE0ELj4294967295EEENS1_25partition_config_selectorILNS1_17partition_subalgoE4EjNS0_10empty_typeEbEEZZNS1_14partition_implILS8_4ELb0ES6_15HIP_vector_typeIjLj2EENS0_17counting_iteratorIjlEEPS9_SG_NS0_5tupleIJPjSI_NS0_16reverse_iteratorISI_EEEEENSH_IJSG_SG_SG_EEES9_SI_JZNS1_25segmented_radix_sort_implINS0_14default_configELb0EPKlPlSQ_SR_N2at6native12_GLOBAL__N_18offset_tEEE10hipError_tPvRmT1_PNSt15iterator_traitsISZ_E10value_typeET2_T3_PNS10_IS15_E10value_typeET4_jRbjT5_S1B_jjP12ihipStream_tbEUljE_ZNSN_ISO_Lb0ESQ_SR_SQ_SR_SV_EESW_SX_SY_SZ_S13_S14_S15_S18_S19_jS1A_jS1B_S1B_jjS1D_bEUljE0_EEESW_SX_SY_S15_S19_S1B_T6_T7_T9_mT8_S1D_bDpT10_ENKUlT_T0_E_clISt17integral_constantIbLb1EES1Q_IbLb0EEEEDaS1M_S1N_EUlS1M_E_NS1_11comp_targetILNS1_3genE0ELNS1_11target_archE4294967295ELNS1_3gpuE0ELNS1_3repE0EEENS1_30default_config_static_selectorELNS0_4arch9wavefront6targetE0EEEvSZ_.numbered_sgpr, 0
	.set _ZN7rocprim17ROCPRIM_400000_NS6detail17trampoline_kernelINS0_13select_configILj256ELj13ELNS0_17block_load_methodE3ELS4_3ELS4_3ELNS0_20block_scan_algorithmE0ELj4294967295EEENS1_25partition_config_selectorILNS1_17partition_subalgoE4EjNS0_10empty_typeEbEEZZNS1_14partition_implILS8_4ELb0ES6_15HIP_vector_typeIjLj2EENS0_17counting_iteratorIjlEEPS9_SG_NS0_5tupleIJPjSI_NS0_16reverse_iteratorISI_EEEEENSH_IJSG_SG_SG_EEES9_SI_JZNS1_25segmented_radix_sort_implINS0_14default_configELb0EPKlPlSQ_SR_N2at6native12_GLOBAL__N_18offset_tEEE10hipError_tPvRmT1_PNSt15iterator_traitsISZ_E10value_typeET2_T3_PNS10_IS15_E10value_typeET4_jRbjT5_S1B_jjP12ihipStream_tbEUljE_ZNSN_ISO_Lb0ESQ_SR_SQ_SR_SV_EESW_SX_SY_SZ_S13_S14_S15_S18_S19_jS1A_jS1B_S1B_jjS1D_bEUljE0_EEESW_SX_SY_S15_S19_S1B_T6_T7_T9_mT8_S1D_bDpT10_ENKUlT_T0_E_clISt17integral_constantIbLb1EES1Q_IbLb0EEEEDaS1M_S1N_EUlS1M_E_NS1_11comp_targetILNS1_3genE0ELNS1_11target_archE4294967295ELNS1_3gpuE0ELNS1_3repE0EEENS1_30default_config_static_selectorELNS0_4arch9wavefront6targetE0EEEvSZ_.num_named_barrier, 0
	.set _ZN7rocprim17ROCPRIM_400000_NS6detail17trampoline_kernelINS0_13select_configILj256ELj13ELNS0_17block_load_methodE3ELS4_3ELS4_3ELNS0_20block_scan_algorithmE0ELj4294967295EEENS1_25partition_config_selectorILNS1_17partition_subalgoE4EjNS0_10empty_typeEbEEZZNS1_14partition_implILS8_4ELb0ES6_15HIP_vector_typeIjLj2EENS0_17counting_iteratorIjlEEPS9_SG_NS0_5tupleIJPjSI_NS0_16reverse_iteratorISI_EEEEENSH_IJSG_SG_SG_EEES9_SI_JZNS1_25segmented_radix_sort_implINS0_14default_configELb0EPKlPlSQ_SR_N2at6native12_GLOBAL__N_18offset_tEEE10hipError_tPvRmT1_PNSt15iterator_traitsISZ_E10value_typeET2_T3_PNS10_IS15_E10value_typeET4_jRbjT5_S1B_jjP12ihipStream_tbEUljE_ZNSN_ISO_Lb0ESQ_SR_SQ_SR_SV_EESW_SX_SY_SZ_S13_S14_S15_S18_S19_jS1A_jS1B_S1B_jjS1D_bEUljE0_EEESW_SX_SY_S15_S19_S1B_T6_T7_T9_mT8_S1D_bDpT10_ENKUlT_T0_E_clISt17integral_constantIbLb1EES1Q_IbLb0EEEEDaS1M_S1N_EUlS1M_E_NS1_11comp_targetILNS1_3genE0ELNS1_11target_archE4294967295ELNS1_3gpuE0ELNS1_3repE0EEENS1_30default_config_static_selectorELNS0_4arch9wavefront6targetE0EEEvSZ_.private_seg_size, 0
	.set _ZN7rocprim17ROCPRIM_400000_NS6detail17trampoline_kernelINS0_13select_configILj256ELj13ELNS0_17block_load_methodE3ELS4_3ELS4_3ELNS0_20block_scan_algorithmE0ELj4294967295EEENS1_25partition_config_selectorILNS1_17partition_subalgoE4EjNS0_10empty_typeEbEEZZNS1_14partition_implILS8_4ELb0ES6_15HIP_vector_typeIjLj2EENS0_17counting_iteratorIjlEEPS9_SG_NS0_5tupleIJPjSI_NS0_16reverse_iteratorISI_EEEEENSH_IJSG_SG_SG_EEES9_SI_JZNS1_25segmented_radix_sort_implINS0_14default_configELb0EPKlPlSQ_SR_N2at6native12_GLOBAL__N_18offset_tEEE10hipError_tPvRmT1_PNSt15iterator_traitsISZ_E10value_typeET2_T3_PNS10_IS15_E10value_typeET4_jRbjT5_S1B_jjP12ihipStream_tbEUljE_ZNSN_ISO_Lb0ESQ_SR_SQ_SR_SV_EESW_SX_SY_SZ_S13_S14_S15_S18_S19_jS1A_jS1B_S1B_jjS1D_bEUljE0_EEESW_SX_SY_S15_S19_S1B_T6_T7_T9_mT8_S1D_bDpT10_ENKUlT_T0_E_clISt17integral_constantIbLb1EES1Q_IbLb0EEEEDaS1M_S1N_EUlS1M_E_NS1_11comp_targetILNS1_3genE0ELNS1_11target_archE4294967295ELNS1_3gpuE0ELNS1_3repE0EEENS1_30default_config_static_selectorELNS0_4arch9wavefront6targetE0EEEvSZ_.uses_vcc, 0
	.set _ZN7rocprim17ROCPRIM_400000_NS6detail17trampoline_kernelINS0_13select_configILj256ELj13ELNS0_17block_load_methodE3ELS4_3ELS4_3ELNS0_20block_scan_algorithmE0ELj4294967295EEENS1_25partition_config_selectorILNS1_17partition_subalgoE4EjNS0_10empty_typeEbEEZZNS1_14partition_implILS8_4ELb0ES6_15HIP_vector_typeIjLj2EENS0_17counting_iteratorIjlEEPS9_SG_NS0_5tupleIJPjSI_NS0_16reverse_iteratorISI_EEEEENSH_IJSG_SG_SG_EEES9_SI_JZNS1_25segmented_radix_sort_implINS0_14default_configELb0EPKlPlSQ_SR_N2at6native12_GLOBAL__N_18offset_tEEE10hipError_tPvRmT1_PNSt15iterator_traitsISZ_E10value_typeET2_T3_PNS10_IS15_E10value_typeET4_jRbjT5_S1B_jjP12ihipStream_tbEUljE_ZNSN_ISO_Lb0ESQ_SR_SQ_SR_SV_EESW_SX_SY_SZ_S13_S14_S15_S18_S19_jS1A_jS1B_S1B_jjS1D_bEUljE0_EEESW_SX_SY_S15_S19_S1B_T6_T7_T9_mT8_S1D_bDpT10_ENKUlT_T0_E_clISt17integral_constantIbLb1EES1Q_IbLb0EEEEDaS1M_S1N_EUlS1M_E_NS1_11comp_targetILNS1_3genE0ELNS1_11target_archE4294967295ELNS1_3gpuE0ELNS1_3repE0EEENS1_30default_config_static_selectorELNS0_4arch9wavefront6targetE0EEEvSZ_.uses_flat_scratch, 0
	.set _ZN7rocprim17ROCPRIM_400000_NS6detail17trampoline_kernelINS0_13select_configILj256ELj13ELNS0_17block_load_methodE3ELS4_3ELS4_3ELNS0_20block_scan_algorithmE0ELj4294967295EEENS1_25partition_config_selectorILNS1_17partition_subalgoE4EjNS0_10empty_typeEbEEZZNS1_14partition_implILS8_4ELb0ES6_15HIP_vector_typeIjLj2EENS0_17counting_iteratorIjlEEPS9_SG_NS0_5tupleIJPjSI_NS0_16reverse_iteratorISI_EEEEENSH_IJSG_SG_SG_EEES9_SI_JZNS1_25segmented_radix_sort_implINS0_14default_configELb0EPKlPlSQ_SR_N2at6native12_GLOBAL__N_18offset_tEEE10hipError_tPvRmT1_PNSt15iterator_traitsISZ_E10value_typeET2_T3_PNS10_IS15_E10value_typeET4_jRbjT5_S1B_jjP12ihipStream_tbEUljE_ZNSN_ISO_Lb0ESQ_SR_SQ_SR_SV_EESW_SX_SY_SZ_S13_S14_S15_S18_S19_jS1A_jS1B_S1B_jjS1D_bEUljE0_EEESW_SX_SY_S15_S19_S1B_T6_T7_T9_mT8_S1D_bDpT10_ENKUlT_T0_E_clISt17integral_constantIbLb1EES1Q_IbLb0EEEEDaS1M_S1N_EUlS1M_E_NS1_11comp_targetILNS1_3genE0ELNS1_11target_archE4294967295ELNS1_3gpuE0ELNS1_3repE0EEENS1_30default_config_static_selectorELNS0_4arch9wavefront6targetE0EEEvSZ_.has_dyn_sized_stack, 0
	.set _ZN7rocprim17ROCPRIM_400000_NS6detail17trampoline_kernelINS0_13select_configILj256ELj13ELNS0_17block_load_methodE3ELS4_3ELS4_3ELNS0_20block_scan_algorithmE0ELj4294967295EEENS1_25partition_config_selectorILNS1_17partition_subalgoE4EjNS0_10empty_typeEbEEZZNS1_14partition_implILS8_4ELb0ES6_15HIP_vector_typeIjLj2EENS0_17counting_iteratorIjlEEPS9_SG_NS0_5tupleIJPjSI_NS0_16reverse_iteratorISI_EEEEENSH_IJSG_SG_SG_EEES9_SI_JZNS1_25segmented_radix_sort_implINS0_14default_configELb0EPKlPlSQ_SR_N2at6native12_GLOBAL__N_18offset_tEEE10hipError_tPvRmT1_PNSt15iterator_traitsISZ_E10value_typeET2_T3_PNS10_IS15_E10value_typeET4_jRbjT5_S1B_jjP12ihipStream_tbEUljE_ZNSN_ISO_Lb0ESQ_SR_SQ_SR_SV_EESW_SX_SY_SZ_S13_S14_S15_S18_S19_jS1A_jS1B_S1B_jjS1D_bEUljE0_EEESW_SX_SY_S15_S19_S1B_T6_T7_T9_mT8_S1D_bDpT10_ENKUlT_T0_E_clISt17integral_constantIbLb1EES1Q_IbLb0EEEEDaS1M_S1N_EUlS1M_E_NS1_11comp_targetILNS1_3genE0ELNS1_11target_archE4294967295ELNS1_3gpuE0ELNS1_3repE0EEENS1_30default_config_static_selectorELNS0_4arch9wavefront6targetE0EEEvSZ_.has_recursion, 0
	.set _ZN7rocprim17ROCPRIM_400000_NS6detail17trampoline_kernelINS0_13select_configILj256ELj13ELNS0_17block_load_methodE3ELS4_3ELS4_3ELNS0_20block_scan_algorithmE0ELj4294967295EEENS1_25partition_config_selectorILNS1_17partition_subalgoE4EjNS0_10empty_typeEbEEZZNS1_14partition_implILS8_4ELb0ES6_15HIP_vector_typeIjLj2EENS0_17counting_iteratorIjlEEPS9_SG_NS0_5tupleIJPjSI_NS0_16reverse_iteratorISI_EEEEENSH_IJSG_SG_SG_EEES9_SI_JZNS1_25segmented_radix_sort_implINS0_14default_configELb0EPKlPlSQ_SR_N2at6native12_GLOBAL__N_18offset_tEEE10hipError_tPvRmT1_PNSt15iterator_traitsISZ_E10value_typeET2_T3_PNS10_IS15_E10value_typeET4_jRbjT5_S1B_jjP12ihipStream_tbEUljE_ZNSN_ISO_Lb0ESQ_SR_SQ_SR_SV_EESW_SX_SY_SZ_S13_S14_S15_S18_S19_jS1A_jS1B_S1B_jjS1D_bEUljE0_EEESW_SX_SY_S15_S19_S1B_T6_T7_T9_mT8_S1D_bDpT10_ENKUlT_T0_E_clISt17integral_constantIbLb1EES1Q_IbLb0EEEEDaS1M_S1N_EUlS1M_E_NS1_11comp_targetILNS1_3genE0ELNS1_11target_archE4294967295ELNS1_3gpuE0ELNS1_3repE0EEENS1_30default_config_static_selectorELNS0_4arch9wavefront6targetE0EEEvSZ_.has_indirect_call, 0
	.section	.AMDGPU.csdata,"",@progbits
; Kernel info:
; codeLenInByte = 0
; TotalNumSgprs: 0
; NumVgprs: 0
; ScratchSize: 0
; MemoryBound: 0
; FloatMode: 240
; IeeeMode: 1
; LDSByteSize: 0 bytes/workgroup (compile time only)
; SGPRBlocks: 0
; VGPRBlocks: 0
; NumSGPRsForWavesPerEU: 1
; NumVGPRsForWavesPerEU: 1
; Occupancy: 16
; WaveLimiterHint : 0
; COMPUTE_PGM_RSRC2:SCRATCH_EN: 0
; COMPUTE_PGM_RSRC2:USER_SGPR: 6
; COMPUTE_PGM_RSRC2:TRAP_HANDLER: 0
; COMPUTE_PGM_RSRC2:TGID_X_EN: 1
; COMPUTE_PGM_RSRC2:TGID_Y_EN: 0
; COMPUTE_PGM_RSRC2:TGID_Z_EN: 0
; COMPUTE_PGM_RSRC2:TIDIG_COMP_CNT: 0
	.section	.text._ZN7rocprim17ROCPRIM_400000_NS6detail17trampoline_kernelINS0_13select_configILj256ELj13ELNS0_17block_load_methodE3ELS4_3ELS4_3ELNS0_20block_scan_algorithmE0ELj4294967295EEENS1_25partition_config_selectorILNS1_17partition_subalgoE4EjNS0_10empty_typeEbEEZZNS1_14partition_implILS8_4ELb0ES6_15HIP_vector_typeIjLj2EENS0_17counting_iteratorIjlEEPS9_SG_NS0_5tupleIJPjSI_NS0_16reverse_iteratorISI_EEEEENSH_IJSG_SG_SG_EEES9_SI_JZNS1_25segmented_radix_sort_implINS0_14default_configELb0EPKlPlSQ_SR_N2at6native12_GLOBAL__N_18offset_tEEE10hipError_tPvRmT1_PNSt15iterator_traitsISZ_E10value_typeET2_T3_PNS10_IS15_E10value_typeET4_jRbjT5_S1B_jjP12ihipStream_tbEUljE_ZNSN_ISO_Lb0ESQ_SR_SQ_SR_SV_EESW_SX_SY_SZ_S13_S14_S15_S18_S19_jS1A_jS1B_S1B_jjS1D_bEUljE0_EEESW_SX_SY_S15_S19_S1B_T6_T7_T9_mT8_S1D_bDpT10_ENKUlT_T0_E_clISt17integral_constantIbLb1EES1Q_IbLb0EEEEDaS1M_S1N_EUlS1M_E_NS1_11comp_targetILNS1_3genE5ELNS1_11target_archE942ELNS1_3gpuE9ELNS1_3repE0EEENS1_30default_config_static_selectorELNS0_4arch9wavefront6targetE0EEEvSZ_,"axG",@progbits,_ZN7rocprim17ROCPRIM_400000_NS6detail17trampoline_kernelINS0_13select_configILj256ELj13ELNS0_17block_load_methodE3ELS4_3ELS4_3ELNS0_20block_scan_algorithmE0ELj4294967295EEENS1_25partition_config_selectorILNS1_17partition_subalgoE4EjNS0_10empty_typeEbEEZZNS1_14partition_implILS8_4ELb0ES6_15HIP_vector_typeIjLj2EENS0_17counting_iteratorIjlEEPS9_SG_NS0_5tupleIJPjSI_NS0_16reverse_iteratorISI_EEEEENSH_IJSG_SG_SG_EEES9_SI_JZNS1_25segmented_radix_sort_implINS0_14default_configELb0EPKlPlSQ_SR_N2at6native12_GLOBAL__N_18offset_tEEE10hipError_tPvRmT1_PNSt15iterator_traitsISZ_E10value_typeET2_T3_PNS10_IS15_E10value_typeET4_jRbjT5_S1B_jjP12ihipStream_tbEUljE_ZNSN_ISO_Lb0ESQ_SR_SQ_SR_SV_EESW_SX_SY_SZ_S13_S14_S15_S18_S19_jS1A_jS1B_S1B_jjS1D_bEUljE0_EEESW_SX_SY_S15_S19_S1B_T6_T7_T9_mT8_S1D_bDpT10_ENKUlT_T0_E_clISt17integral_constantIbLb1EES1Q_IbLb0EEEEDaS1M_S1N_EUlS1M_E_NS1_11comp_targetILNS1_3genE5ELNS1_11target_archE942ELNS1_3gpuE9ELNS1_3repE0EEENS1_30default_config_static_selectorELNS0_4arch9wavefront6targetE0EEEvSZ_,comdat
	.globl	_ZN7rocprim17ROCPRIM_400000_NS6detail17trampoline_kernelINS0_13select_configILj256ELj13ELNS0_17block_load_methodE3ELS4_3ELS4_3ELNS0_20block_scan_algorithmE0ELj4294967295EEENS1_25partition_config_selectorILNS1_17partition_subalgoE4EjNS0_10empty_typeEbEEZZNS1_14partition_implILS8_4ELb0ES6_15HIP_vector_typeIjLj2EENS0_17counting_iteratorIjlEEPS9_SG_NS0_5tupleIJPjSI_NS0_16reverse_iteratorISI_EEEEENSH_IJSG_SG_SG_EEES9_SI_JZNS1_25segmented_radix_sort_implINS0_14default_configELb0EPKlPlSQ_SR_N2at6native12_GLOBAL__N_18offset_tEEE10hipError_tPvRmT1_PNSt15iterator_traitsISZ_E10value_typeET2_T3_PNS10_IS15_E10value_typeET4_jRbjT5_S1B_jjP12ihipStream_tbEUljE_ZNSN_ISO_Lb0ESQ_SR_SQ_SR_SV_EESW_SX_SY_SZ_S13_S14_S15_S18_S19_jS1A_jS1B_S1B_jjS1D_bEUljE0_EEESW_SX_SY_S15_S19_S1B_T6_T7_T9_mT8_S1D_bDpT10_ENKUlT_T0_E_clISt17integral_constantIbLb1EES1Q_IbLb0EEEEDaS1M_S1N_EUlS1M_E_NS1_11comp_targetILNS1_3genE5ELNS1_11target_archE942ELNS1_3gpuE9ELNS1_3repE0EEENS1_30default_config_static_selectorELNS0_4arch9wavefront6targetE0EEEvSZ_ ; -- Begin function _ZN7rocprim17ROCPRIM_400000_NS6detail17trampoline_kernelINS0_13select_configILj256ELj13ELNS0_17block_load_methodE3ELS4_3ELS4_3ELNS0_20block_scan_algorithmE0ELj4294967295EEENS1_25partition_config_selectorILNS1_17partition_subalgoE4EjNS0_10empty_typeEbEEZZNS1_14partition_implILS8_4ELb0ES6_15HIP_vector_typeIjLj2EENS0_17counting_iteratorIjlEEPS9_SG_NS0_5tupleIJPjSI_NS0_16reverse_iteratorISI_EEEEENSH_IJSG_SG_SG_EEES9_SI_JZNS1_25segmented_radix_sort_implINS0_14default_configELb0EPKlPlSQ_SR_N2at6native12_GLOBAL__N_18offset_tEEE10hipError_tPvRmT1_PNSt15iterator_traitsISZ_E10value_typeET2_T3_PNS10_IS15_E10value_typeET4_jRbjT5_S1B_jjP12ihipStream_tbEUljE_ZNSN_ISO_Lb0ESQ_SR_SQ_SR_SV_EESW_SX_SY_SZ_S13_S14_S15_S18_S19_jS1A_jS1B_S1B_jjS1D_bEUljE0_EEESW_SX_SY_S15_S19_S1B_T6_T7_T9_mT8_S1D_bDpT10_ENKUlT_T0_E_clISt17integral_constantIbLb1EES1Q_IbLb0EEEEDaS1M_S1N_EUlS1M_E_NS1_11comp_targetILNS1_3genE5ELNS1_11target_archE942ELNS1_3gpuE9ELNS1_3repE0EEENS1_30default_config_static_selectorELNS0_4arch9wavefront6targetE0EEEvSZ_
	.p2align	8
	.type	_ZN7rocprim17ROCPRIM_400000_NS6detail17trampoline_kernelINS0_13select_configILj256ELj13ELNS0_17block_load_methodE3ELS4_3ELS4_3ELNS0_20block_scan_algorithmE0ELj4294967295EEENS1_25partition_config_selectorILNS1_17partition_subalgoE4EjNS0_10empty_typeEbEEZZNS1_14partition_implILS8_4ELb0ES6_15HIP_vector_typeIjLj2EENS0_17counting_iteratorIjlEEPS9_SG_NS0_5tupleIJPjSI_NS0_16reverse_iteratorISI_EEEEENSH_IJSG_SG_SG_EEES9_SI_JZNS1_25segmented_radix_sort_implINS0_14default_configELb0EPKlPlSQ_SR_N2at6native12_GLOBAL__N_18offset_tEEE10hipError_tPvRmT1_PNSt15iterator_traitsISZ_E10value_typeET2_T3_PNS10_IS15_E10value_typeET4_jRbjT5_S1B_jjP12ihipStream_tbEUljE_ZNSN_ISO_Lb0ESQ_SR_SQ_SR_SV_EESW_SX_SY_SZ_S13_S14_S15_S18_S19_jS1A_jS1B_S1B_jjS1D_bEUljE0_EEESW_SX_SY_S15_S19_S1B_T6_T7_T9_mT8_S1D_bDpT10_ENKUlT_T0_E_clISt17integral_constantIbLb1EES1Q_IbLb0EEEEDaS1M_S1N_EUlS1M_E_NS1_11comp_targetILNS1_3genE5ELNS1_11target_archE942ELNS1_3gpuE9ELNS1_3repE0EEENS1_30default_config_static_selectorELNS0_4arch9wavefront6targetE0EEEvSZ_,@function
_ZN7rocprim17ROCPRIM_400000_NS6detail17trampoline_kernelINS0_13select_configILj256ELj13ELNS0_17block_load_methodE3ELS4_3ELS4_3ELNS0_20block_scan_algorithmE0ELj4294967295EEENS1_25partition_config_selectorILNS1_17partition_subalgoE4EjNS0_10empty_typeEbEEZZNS1_14partition_implILS8_4ELb0ES6_15HIP_vector_typeIjLj2EENS0_17counting_iteratorIjlEEPS9_SG_NS0_5tupleIJPjSI_NS0_16reverse_iteratorISI_EEEEENSH_IJSG_SG_SG_EEES9_SI_JZNS1_25segmented_radix_sort_implINS0_14default_configELb0EPKlPlSQ_SR_N2at6native12_GLOBAL__N_18offset_tEEE10hipError_tPvRmT1_PNSt15iterator_traitsISZ_E10value_typeET2_T3_PNS10_IS15_E10value_typeET4_jRbjT5_S1B_jjP12ihipStream_tbEUljE_ZNSN_ISO_Lb0ESQ_SR_SQ_SR_SV_EESW_SX_SY_SZ_S13_S14_S15_S18_S19_jS1A_jS1B_S1B_jjS1D_bEUljE0_EEESW_SX_SY_S15_S19_S1B_T6_T7_T9_mT8_S1D_bDpT10_ENKUlT_T0_E_clISt17integral_constantIbLb1EES1Q_IbLb0EEEEDaS1M_S1N_EUlS1M_E_NS1_11comp_targetILNS1_3genE5ELNS1_11target_archE942ELNS1_3gpuE9ELNS1_3repE0EEENS1_30default_config_static_selectorELNS0_4arch9wavefront6targetE0EEEvSZ_: ; @_ZN7rocprim17ROCPRIM_400000_NS6detail17trampoline_kernelINS0_13select_configILj256ELj13ELNS0_17block_load_methodE3ELS4_3ELS4_3ELNS0_20block_scan_algorithmE0ELj4294967295EEENS1_25partition_config_selectorILNS1_17partition_subalgoE4EjNS0_10empty_typeEbEEZZNS1_14partition_implILS8_4ELb0ES6_15HIP_vector_typeIjLj2EENS0_17counting_iteratorIjlEEPS9_SG_NS0_5tupleIJPjSI_NS0_16reverse_iteratorISI_EEEEENSH_IJSG_SG_SG_EEES9_SI_JZNS1_25segmented_radix_sort_implINS0_14default_configELb0EPKlPlSQ_SR_N2at6native12_GLOBAL__N_18offset_tEEE10hipError_tPvRmT1_PNSt15iterator_traitsISZ_E10value_typeET2_T3_PNS10_IS15_E10value_typeET4_jRbjT5_S1B_jjP12ihipStream_tbEUljE_ZNSN_ISO_Lb0ESQ_SR_SQ_SR_SV_EESW_SX_SY_SZ_S13_S14_S15_S18_S19_jS1A_jS1B_S1B_jjS1D_bEUljE0_EEESW_SX_SY_S15_S19_S1B_T6_T7_T9_mT8_S1D_bDpT10_ENKUlT_T0_E_clISt17integral_constantIbLb1EES1Q_IbLb0EEEEDaS1M_S1N_EUlS1M_E_NS1_11comp_targetILNS1_3genE5ELNS1_11target_archE942ELNS1_3gpuE9ELNS1_3repE0EEENS1_30default_config_static_selectorELNS0_4arch9wavefront6targetE0EEEvSZ_
; %bb.0:
	.section	.rodata,"a",@progbits
	.p2align	6, 0x0
	.amdhsa_kernel _ZN7rocprim17ROCPRIM_400000_NS6detail17trampoline_kernelINS0_13select_configILj256ELj13ELNS0_17block_load_methodE3ELS4_3ELS4_3ELNS0_20block_scan_algorithmE0ELj4294967295EEENS1_25partition_config_selectorILNS1_17partition_subalgoE4EjNS0_10empty_typeEbEEZZNS1_14partition_implILS8_4ELb0ES6_15HIP_vector_typeIjLj2EENS0_17counting_iteratorIjlEEPS9_SG_NS0_5tupleIJPjSI_NS0_16reverse_iteratorISI_EEEEENSH_IJSG_SG_SG_EEES9_SI_JZNS1_25segmented_radix_sort_implINS0_14default_configELb0EPKlPlSQ_SR_N2at6native12_GLOBAL__N_18offset_tEEE10hipError_tPvRmT1_PNSt15iterator_traitsISZ_E10value_typeET2_T3_PNS10_IS15_E10value_typeET4_jRbjT5_S1B_jjP12ihipStream_tbEUljE_ZNSN_ISO_Lb0ESQ_SR_SQ_SR_SV_EESW_SX_SY_SZ_S13_S14_S15_S18_S19_jS1A_jS1B_S1B_jjS1D_bEUljE0_EEESW_SX_SY_S15_S19_S1B_T6_T7_T9_mT8_S1D_bDpT10_ENKUlT_T0_E_clISt17integral_constantIbLb1EES1Q_IbLb0EEEEDaS1M_S1N_EUlS1M_E_NS1_11comp_targetILNS1_3genE5ELNS1_11target_archE942ELNS1_3gpuE9ELNS1_3repE0EEENS1_30default_config_static_selectorELNS0_4arch9wavefront6targetE0EEEvSZ_
		.amdhsa_group_segment_fixed_size 0
		.amdhsa_private_segment_fixed_size 0
		.amdhsa_kernarg_size 176
		.amdhsa_user_sgpr_count 6
		.amdhsa_user_sgpr_private_segment_buffer 1
		.amdhsa_user_sgpr_dispatch_ptr 0
		.amdhsa_user_sgpr_queue_ptr 0
		.amdhsa_user_sgpr_kernarg_segment_ptr 1
		.amdhsa_user_sgpr_dispatch_id 0
		.amdhsa_user_sgpr_flat_scratch_init 0
		.amdhsa_user_sgpr_private_segment_size 0
		.amdhsa_wavefront_size32 1
		.amdhsa_uses_dynamic_stack 0
		.amdhsa_system_sgpr_private_segment_wavefront_offset 0
		.amdhsa_system_sgpr_workgroup_id_x 1
		.amdhsa_system_sgpr_workgroup_id_y 0
		.amdhsa_system_sgpr_workgroup_id_z 0
		.amdhsa_system_sgpr_workgroup_info 0
		.amdhsa_system_vgpr_workitem_id 0
		.amdhsa_next_free_vgpr 1
		.amdhsa_next_free_sgpr 1
		.amdhsa_reserve_vcc 0
		.amdhsa_reserve_flat_scratch 0
		.amdhsa_float_round_mode_32 0
		.amdhsa_float_round_mode_16_64 0
		.amdhsa_float_denorm_mode_32 3
		.amdhsa_float_denorm_mode_16_64 3
		.amdhsa_dx10_clamp 1
		.amdhsa_ieee_mode 1
		.amdhsa_fp16_overflow 0
		.amdhsa_workgroup_processor_mode 1
		.amdhsa_memory_ordered 1
		.amdhsa_forward_progress 1
		.amdhsa_shared_vgpr_count 0
		.amdhsa_exception_fp_ieee_invalid_op 0
		.amdhsa_exception_fp_denorm_src 0
		.amdhsa_exception_fp_ieee_div_zero 0
		.amdhsa_exception_fp_ieee_overflow 0
		.amdhsa_exception_fp_ieee_underflow 0
		.amdhsa_exception_fp_ieee_inexact 0
		.amdhsa_exception_int_div_zero 0
	.end_amdhsa_kernel
	.section	.text._ZN7rocprim17ROCPRIM_400000_NS6detail17trampoline_kernelINS0_13select_configILj256ELj13ELNS0_17block_load_methodE3ELS4_3ELS4_3ELNS0_20block_scan_algorithmE0ELj4294967295EEENS1_25partition_config_selectorILNS1_17partition_subalgoE4EjNS0_10empty_typeEbEEZZNS1_14partition_implILS8_4ELb0ES6_15HIP_vector_typeIjLj2EENS0_17counting_iteratorIjlEEPS9_SG_NS0_5tupleIJPjSI_NS0_16reverse_iteratorISI_EEEEENSH_IJSG_SG_SG_EEES9_SI_JZNS1_25segmented_radix_sort_implINS0_14default_configELb0EPKlPlSQ_SR_N2at6native12_GLOBAL__N_18offset_tEEE10hipError_tPvRmT1_PNSt15iterator_traitsISZ_E10value_typeET2_T3_PNS10_IS15_E10value_typeET4_jRbjT5_S1B_jjP12ihipStream_tbEUljE_ZNSN_ISO_Lb0ESQ_SR_SQ_SR_SV_EESW_SX_SY_SZ_S13_S14_S15_S18_S19_jS1A_jS1B_S1B_jjS1D_bEUljE0_EEESW_SX_SY_S15_S19_S1B_T6_T7_T9_mT8_S1D_bDpT10_ENKUlT_T0_E_clISt17integral_constantIbLb1EES1Q_IbLb0EEEEDaS1M_S1N_EUlS1M_E_NS1_11comp_targetILNS1_3genE5ELNS1_11target_archE942ELNS1_3gpuE9ELNS1_3repE0EEENS1_30default_config_static_selectorELNS0_4arch9wavefront6targetE0EEEvSZ_,"axG",@progbits,_ZN7rocprim17ROCPRIM_400000_NS6detail17trampoline_kernelINS0_13select_configILj256ELj13ELNS0_17block_load_methodE3ELS4_3ELS4_3ELNS0_20block_scan_algorithmE0ELj4294967295EEENS1_25partition_config_selectorILNS1_17partition_subalgoE4EjNS0_10empty_typeEbEEZZNS1_14partition_implILS8_4ELb0ES6_15HIP_vector_typeIjLj2EENS0_17counting_iteratorIjlEEPS9_SG_NS0_5tupleIJPjSI_NS0_16reverse_iteratorISI_EEEEENSH_IJSG_SG_SG_EEES9_SI_JZNS1_25segmented_radix_sort_implINS0_14default_configELb0EPKlPlSQ_SR_N2at6native12_GLOBAL__N_18offset_tEEE10hipError_tPvRmT1_PNSt15iterator_traitsISZ_E10value_typeET2_T3_PNS10_IS15_E10value_typeET4_jRbjT5_S1B_jjP12ihipStream_tbEUljE_ZNSN_ISO_Lb0ESQ_SR_SQ_SR_SV_EESW_SX_SY_SZ_S13_S14_S15_S18_S19_jS1A_jS1B_S1B_jjS1D_bEUljE0_EEESW_SX_SY_S15_S19_S1B_T6_T7_T9_mT8_S1D_bDpT10_ENKUlT_T0_E_clISt17integral_constantIbLb1EES1Q_IbLb0EEEEDaS1M_S1N_EUlS1M_E_NS1_11comp_targetILNS1_3genE5ELNS1_11target_archE942ELNS1_3gpuE9ELNS1_3repE0EEENS1_30default_config_static_selectorELNS0_4arch9wavefront6targetE0EEEvSZ_,comdat
.Lfunc_end754:
	.size	_ZN7rocprim17ROCPRIM_400000_NS6detail17trampoline_kernelINS0_13select_configILj256ELj13ELNS0_17block_load_methodE3ELS4_3ELS4_3ELNS0_20block_scan_algorithmE0ELj4294967295EEENS1_25partition_config_selectorILNS1_17partition_subalgoE4EjNS0_10empty_typeEbEEZZNS1_14partition_implILS8_4ELb0ES6_15HIP_vector_typeIjLj2EENS0_17counting_iteratorIjlEEPS9_SG_NS0_5tupleIJPjSI_NS0_16reverse_iteratorISI_EEEEENSH_IJSG_SG_SG_EEES9_SI_JZNS1_25segmented_radix_sort_implINS0_14default_configELb0EPKlPlSQ_SR_N2at6native12_GLOBAL__N_18offset_tEEE10hipError_tPvRmT1_PNSt15iterator_traitsISZ_E10value_typeET2_T3_PNS10_IS15_E10value_typeET4_jRbjT5_S1B_jjP12ihipStream_tbEUljE_ZNSN_ISO_Lb0ESQ_SR_SQ_SR_SV_EESW_SX_SY_SZ_S13_S14_S15_S18_S19_jS1A_jS1B_S1B_jjS1D_bEUljE0_EEESW_SX_SY_S15_S19_S1B_T6_T7_T9_mT8_S1D_bDpT10_ENKUlT_T0_E_clISt17integral_constantIbLb1EES1Q_IbLb0EEEEDaS1M_S1N_EUlS1M_E_NS1_11comp_targetILNS1_3genE5ELNS1_11target_archE942ELNS1_3gpuE9ELNS1_3repE0EEENS1_30default_config_static_selectorELNS0_4arch9wavefront6targetE0EEEvSZ_, .Lfunc_end754-_ZN7rocprim17ROCPRIM_400000_NS6detail17trampoline_kernelINS0_13select_configILj256ELj13ELNS0_17block_load_methodE3ELS4_3ELS4_3ELNS0_20block_scan_algorithmE0ELj4294967295EEENS1_25partition_config_selectorILNS1_17partition_subalgoE4EjNS0_10empty_typeEbEEZZNS1_14partition_implILS8_4ELb0ES6_15HIP_vector_typeIjLj2EENS0_17counting_iteratorIjlEEPS9_SG_NS0_5tupleIJPjSI_NS0_16reverse_iteratorISI_EEEEENSH_IJSG_SG_SG_EEES9_SI_JZNS1_25segmented_radix_sort_implINS0_14default_configELb0EPKlPlSQ_SR_N2at6native12_GLOBAL__N_18offset_tEEE10hipError_tPvRmT1_PNSt15iterator_traitsISZ_E10value_typeET2_T3_PNS10_IS15_E10value_typeET4_jRbjT5_S1B_jjP12ihipStream_tbEUljE_ZNSN_ISO_Lb0ESQ_SR_SQ_SR_SV_EESW_SX_SY_SZ_S13_S14_S15_S18_S19_jS1A_jS1B_S1B_jjS1D_bEUljE0_EEESW_SX_SY_S15_S19_S1B_T6_T7_T9_mT8_S1D_bDpT10_ENKUlT_T0_E_clISt17integral_constantIbLb1EES1Q_IbLb0EEEEDaS1M_S1N_EUlS1M_E_NS1_11comp_targetILNS1_3genE5ELNS1_11target_archE942ELNS1_3gpuE9ELNS1_3repE0EEENS1_30default_config_static_selectorELNS0_4arch9wavefront6targetE0EEEvSZ_
                                        ; -- End function
	.set _ZN7rocprim17ROCPRIM_400000_NS6detail17trampoline_kernelINS0_13select_configILj256ELj13ELNS0_17block_load_methodE3ELS4_3ELS4_3ELNS0_20block_scan_algorithmE0ELj4294967295EEENS1_25partition_config_selectorILNS1_17partition_subalgoE4EjNS0_10empty_typeEbEEZZNS1_14partition_implILS8_4ELb0ES6_15HIP_vector_typeIjLj2EENS0_17counting_iteratorIjlEEPS9_SG_NS0_5tupleIJPjSI_NS0_16reverse_iteratorISI_EEEEENSH_IJSG_SG_SG_EEES9_SI_JZNS1_25segmented_radix_sort_implINS0_14default_configELb0EPKlPlSQ_SR_N2at6native12_GLOBAL__N_18offset_tEEE10hipError_tPvRmT1_PNSt15iterator_traitsISZ_E10value_typeET2_T3_PNS10_IS15_E10value_typeET4_jRbjT5_S1B_jjP12ihipStream_tbEUljE_ZNSN_ISO_Lb0ESQ_SR_SQ_SR_SV_EESW_SX_SY_SZ_S13_S14_S15_S18_S19_jS1A_jS1B_S1B_jjS1D_bEUljE0_EEESW_SX_SY_S15_S19_S1B_T6_T7_T9_mT8_S1D_bDpT10_ENKUlT_T0_E_clISt17integral_constantIbLb1EES1Q_IbLb0EEEEDaS1M_S1N_EUlS1M_E_NS1_11comp_targetILNS1_3genE5ELNS1_11target_archE942ELNS1_3gpuE9ELNS1_3repE0EEENS1_30default_config_static_selectorELNS0_4arch9wavefront6targetE0EEEvSZ_.num_vgpr, 0
	.set _ZN7rocprim17ROCPRIM_400000_NS6detail17trampoline_kernelINS0_13select_configILj256ELj13ELNS0_17block_load_methodE3ELS4_3ELS4_3ELNS0_20block_scan_algorithmE0ELj4294967295EEENS1_25partition_config_selectorILNS1_17partition_subalgoE4EjNS0_10empty_typeEbEEZZNS1_14partition_implILS8_4ELb0ES6_15HIP_vector_typeIjLj2EENS0_17counting_iteratorIjlEEPS9_SG_NS0_5tupleIJPjSI_NS0_16reverse_iteratorISI_EEEEENSH_IJSG_SG_SG_EEES9_SI_JZNS1_25segmented_radix_sort_implINS0_14default_configELb0EPKlPlSQ_SR_N2at6native12_GLOBAL__N_18offset_tEEE10hipError_tPvRmT1_PNSt15iterator_traitsISZ_E10value_typeET2_T3_PNS10_IS15_E10value_typeET4_jRbjT5_S1B_jjP12ihipStream_tbEUljE_ZNSN_ISO_Lb0ESQ_SR_SQ_SR_SV_EESW_SX_SY_SZ_S13_S14_S15_S18_S19_jS1A_jS1B_S1B_jjS1D_bEUljE0_EEESW_SX_SY_S15_S19_S1B_T6_T7_T9_mT8_S1D_bDpT10_ENKUlT_T0_E_clISt17integral_constantIbLb1EES1Q_IbLb0EEEEDaS1M_S1N_EUlS1M_E_NS1_11comp_targetILNS1_3genE5ELNS1_11target_archE942ELNS1_3gpuE9ELNS1_3repE0EEENS1_30default_config_static_selectorELNS0_4arch9wavefront6targetE0EEEvSZ_.num_agpr, 0
	.set _ZN7rocprim17ROCPRIM_400000_NS6detail17trampoline_kernelINS0_13select_configILj256ELj13ELNS0_17block_load_methodE3ELS4_3ELS4_3ELNS0_20block_scan_algorithmE0ELj4294967295EEENS1_25partition_config_selectorILNS1_17partition_subalgoE4EjNS0_10empty_typeEbEEZZNS1_14partition_implILS8_4ELb0ES6_15HIP_vector_typeIjLj2EENS0_17counting_iteratorIjlEEPS9_SG_NS0_5tupleIJPjSI_NS0_16reverse_iteratorISI_EEEEENSH_IJSG_SG_SG_EEES9_SI_JZNS1_25segmented_radix_sort_implINS0_14default_configELb0EPKlPlSQ_SR_N2at6native12_GLOBAL__N_18offset_tEEE10hipError_tPvRmT1_PNSt15iterator_traitsISZ_E10value_typeET2_T3_PNS10_IS15_E10value_typeET4_jRbjT5_S1B_jjP12ihipStream_tbEUljE_ZNSN_ISO_Lb0ESQ_SR_SQ_SR_SV_EESW_SX_SY_SZ_S13_S14_S15_S18_S19_jS1A_jS1B_S1B_jjS1D_bEUljE0_EEESW_SX_SY_S15_S19_S1B_T6_T7_T9_mT8_S1D_bDpT10_ENKUlT_T0_E_clISt17integral_constantIbLb1EES1Q_IbLb0EEEEDaS1M_S1N_EUlS1M_E_NS1_11comp_targetILNS1_3genE5ELNS1_11target_archE942ELNS1_3gpuE9ELNS1_3repE0EEENS1_30default_config_static_selectorELNS0_4arch9wavefront6targetE0EEEvSZ_.numbered_sgpr, 0
	.set _ZN7rocprim17ROCPRIM_400000_NS6detail17trampoline_kernelINS0_13select_configILj256ELj13ELNS0_17block_load_methodE3ELS4_3ELS4_3ELNS0_20block_scan_algorithmE0ELj4294967295EEENS1_25partition_config_selectorILNS1_17partition_subalgoE4EjNS0_10empty_typeEbEEZZNS1_14partition_implILS8_4ELb0ES6_15HIP_vector_typeIjLj2EENS0_17counting_iteratorIjlEEPS9_SG_NS0_5tupleIJPjSI_NS0_16reverse_iteratorISI_EEEEENSH_IJSG_SG_SG_EEES9_SI_JZNS1_25segmented_radix_sort_implINS0_14default_configELb0EPKlPlSQ_SR_N2at6native12_GLOBAL__N_18offset_tEEE10hipError_tPvRmT1_PNSt15iterator_traitsISZ_E10value_typeET2_T3_PNS10_IS15_E10value_typeET4_jRbjT5_S1B_jjP12ihipStream_tbEUljE_ZNSN_ISO_Lb0ESQ_SR_SQ_SR_SV_EESW_SX_SY_SZ_S13_S14_S15_S18_S19_jS1A_jS1B_S1B_jjS1D_bEUljE0_EEESW_SX_SY_S15_S19_S1B_T6_T7_T9_mT8_S1D_bDpT10_ENKUlT_T0_E_clISt17integral_constantIbLb1EES1Q_IbLb0EEEEDaS1M_S1N_EUlS1M_E_NS1_11comp_targetILNS1_3genE5ELNS1_11target_archE942ELNS1_3gpuE9ELNS1_3repE0EEENS1_30default_config_static_selectorELNS0_4arch9wavefront6targetE0EEEvSZ_.num_named_barrier, 0
	.set _ZN7rocprim17ROCPRIM_400000_NS6detail17trampoline_kernelINS0_13select_configILj256ELj13ELNS0_17block_load_methodE3ELS4_3ELS4_3ELNS0_20block_scan_algorithmE0ELj4294967295EEENS1_25partition_config_selectorILNS1_17partition_subalgoE4EjNS0_10empty_typeEbEEZZNS1_14partition_implILS8_4ELb0ES6_15HIP_vector_typeIjLj2EENS0_17counting_iteratorIjlEEPS9_SG_NS0_5tupleIJPjSI_NS0_16reverse_iteratorISI_EEEEENSH_IJSG_SG_SG_EEES9_SI_JZNS1_25segmented_radix_sort_implINS0_14default_configELb0EPKlPlSQ_SR_N2at6native12_GLOBAL__N_18offset_tEEE10hipError_tPvRmT1_PNSt15iterator_traitsISZ_E10value_typeET2_T3_PNS10_IS15_E10value_typeET4_jRbjT5_S1B_jjP12ihipStream_tbEUljE_ZNSN_ISO_Lb0ESQ_SR_SQ_SR_SV_EESW_SX_SY_SZ_S13_S14_S15_S18_S19_jS1A_jS1B_S1B_jjS1D_bEUljE0_EEESW_SX_SY_S15_S19_S1B_T6_T7_T9_mT8_S1D_bDpT10_ENKUlT_T0_E_clISt17integral_constantIbLb1EES1Q_IbLb0EEEEDaS1M_S1N_EUlS1M_E_NS1_11comp_targetILNS1_3genE5ELNS1_11target_archE942ELNS1_3gpuE9ELNS1_3repE0EEENS1_30default_config_static_selectorELNS0_4arch9wavefront6targetE0EEEvSZ_.private_seg_size, 0
	.set _ZN7rocprim17ROCPRIM_400000_NS6detail17trampoline_kernelINS0_13select_configILj256ELj13ELNS0_17block_load_methodE3ELS4_3ELS4_3ELNS0_20block_scan_algorithmE0ELj4294967295EEENS1_25partition_config_selectorILNS1_17partition_subalgoE4EjNS0_10empty_typeEbEEZZNS1_14partition_implILS8_4ELb0ES6_15HIP_vector_typeIjLj2EENS0_17counting_iteratorIjlEEPS9_SG_NS0_5tupleIJPjSI_NS0_16reverse_iteratorISI_EEEEENSH_IJSG_SG_SG_EEES9_SI_JZNS1_25segmented_radix_sort_implINS0_14default_configELb0EPKlPlSQ_SR_N2at6native12_GLOBAL__N_18offset_tEEE10hipError_tPvRmT1_PNSt15iterator_traitsISZ_E10value_typeET2_T3_PNS10_IS15_E10value_typeET4_jRbjT5_S1B_jjP12ihipStream_tbEUljE_ZNSN_ISO_Lb0ESQ_SR_SQ_SR_SV_EESW_SX_SY_SZ_S13_S14_S15_S18_S19_jS1A_jS1B_S1B_jjS1D_bEUljE0_EEESW_SX_SY_S15_S19_S1B_T6_T7_T9_mT8_S1D_bDpT10_ENKUlT_T0_E_clISt17integral_constantIbLb1EES1Q_IbLb0EEEEDaS1M_S1N_EUlS1M_E_NS1_11comp_targetILNS1_3genE5ELNS1_11target_archE942ELNS1_3gpuE9ELNS1_3repE0EEENS1_30default_config_static_selectorELNS0_4arch9wavefront6targetE0EEEvSZ_.uses_vcc, 0
	.set _ZN7rocprim17ROCPRIM_400000_NS6detail17trampoline_kernelINS0_13select_configILj256ELj13ELNS0_17block_load_methodE3ELS4_3ELS4_3ELNS0_20block_scan_algorithmE0ELj4294967295EEENS1_25partition_config_selectorILNS1_17partition_subalgoE4EjNS0_10empty_typeEbEEZZNS1_14partition_implILS8_4ELb0ES6_15HIP_vector_typeIjLj2EENS0_17counting_iteratorIjlEEPS9_SG_NS0_5tupleIJPjSI_NS0_16reverse_iteratorISI_EEEEENSH_IJSG_SG_SG_EEES9_SI_JZNS1_25segmented_radix_sort_implINS0_14default_configELb0EPKlPlSQ_SR_N2at6native12_GLOBAL__N_18offset_tEEE10hipError_tPvRmT1_PNSt15iterator_traitsISZ_E10value_typeET2_T3_PNS10_IS15_E10value_typeET4_jRbjT5_S1B_jjP12ihipStream_tbEUljE_ZNSN_ISO_Lb0ESQ_SR_SQ_SR_SV_EESW_SX_SY_SZ_S13_S14_S15_S18_S19_jS1A_jS1B_S1B_jjS1D_bEUljE0_EEESW_SX_SY_S15_S19_S1B_T6_T7_T9_mT8_S1D_bDpT10_ENKUlT_T0_E_clISt17integral_constantIbLb1EES1Q_IbLb0EEEEDaS1M_S1N_EUlS1M_E_NS1_11comp_targetILNS1_3genE5ELNS1_11target_archE942ELNS1_3gpuE9ELNS1_3repE0EEENS1_30default_config_static_selectorELNS0_4arch9wavefront6targetE0EEEvSZ_.uses_flat_scratch, 0
	.set _ZN7rocprim17ROCPRIM_400000_NS6detail17trampoline_kernelINS0_13select_configILj256ELj13ELNS0_17block_load_methodE3ELS4_3ELS4_3ELNS0_20block_scan_algorithmE0ELj4294967295EEENS1_25partition_config_selectorILNS1_17partition_subalgoE4EjNS0_10empty_typeEbEEZZNS1_14partition_implILS8_4ELb0ES6_15HIP_vector_typeIjLj2EENS0_17counting_iteratorIjlEEPS9_SG_NS0_5tupleIJPjSI_NS0_16reverse_iteratorISI_EEEEENSH_IJSG_SG_SG_EEES9_SI_JZNS1_25segmented_radix_sort_implINS0_14default_configELb0EPKlPlSQ_SR_N2at6native12_GLOBAL__N_18offset_tEEE10hipError_tPvRmT1_PNSt15iterator_traitsISZ_E10value_typeET2_T3_PNS10_IS15_E10value_typeET4_jRbjT5_S1B_jjP12ihipStream_tbEUljE_ZNSN_ISO_Lb0ESQ_SR_SQ_SR_SV_EESW_SX_SY_SZ_S13_S14_S15_S18_S19_jS1A_jS1B_S1B_jjS1D_bEUljE0_EEESW_SX_SY_S15_S19_S1B_T6_T7_T9_mT8_S1D_bDpT10_ENKUlT_T0_E_clISt17integral_constantIbLb1EES1Q_IbLb0EEEEDaS1M_S1N_EUlS1M_E_NS1_11comp_targetILNS1_3genE5ELNS1_11target_archE942ELNS1_3gpuE9ELNS1_3repE0EEENS1_30default_config_static_selectorELNS0_4arch9wavefront6targetE0EEEvSZ_.has_dyn_sized_stack, 0
	.set _ZN7rocprim17ROCPRIM_400000_NS6detail17trampoline_kernelINS0_13select_configILj256ELj13ELNS0_17block_load_methodE3ELS4_3ELS4_3ELNS0_20block_scan_algorithmE0ELj4294967295EEENS1_25partition_config_selectorILNS1_17partition_subalgoE4EjNS0_10empty_typeEbEEZZNS1_14partition_implILS8_4ELb0ES6_15HIP_vector_typeIjLj2EENS0_17counting_iteratorIjlEEPS9_SG_NS0_5tupleIJPjSI_NS0_16reverse_iteratorISI_EEEEENSH_IJSG_SG_SG_EEES9_SI_JZNS1_25segmented_radix_sort_implINS0_14default_configELb0EPKlPlSQ_SR_N2at6native12_GLOBAL__N_18offset_tEEE10hipError_tPvRmT1_PNSt15iterator_traitsISZ_E10value_typeET2_T3_PNS10_IS15_E10value_typeET4_jRbjT5_S1B_jjP12ihipStream_tbEUljE_ZNSN_ISO_Lb0ESQ_SR_SQ_SR_SV_EESW_SX_SY_SZ_S13_S14_S15_S18_S19_jS1A_jS1B_S1B_jjS1D_bEUljE0_EEESW_SX_SY_S15_S19_S1B_T6_T7_T9_mT8_S1D_bDpT10_ENKUlT_T0_E_clISt17integral_constantIbLb1EES1Q_IbLb0EEEEDaS1M_S1N_EUlS1M_E_NS1_11comp_targetILNS1_3genE5ELNS1_11target_archE942ELNS1_3gpuE9ELNS1_3repE0EEENS1_30default_config_static_selectorELNS0_4arch9wavefront6targetE0EEEvSZ_.has_recursion, 0
	.set _ZN7rocprim17ROCPRIM_400000_NS6detail17trampoline_kernelINS0_13select_configILj256ELj13ELNS0_17block_load_methodE3ELS4_3ELS4_3ELNS0_20block_scan_algorithmE0ELj4294967295EEENS1_25partition_config_selectorILNS1_17partition_subalgoE4EjNS0_10empty_typeEbEEZZNS1_14partition_implILS8_4ELb0ES6_15HIP_vector_typeIjLj2EENS0_17counting_iteratorIjlEEPS9_SG_NS0_5tupleIJPjSI_NS0_16reverse_iteratorISI_EEEEENSH_IJSG_SG_SG_EEES9_SI_JZNS1_25segmented_radix_sort_implINS0_14default_configELb0EPKlPlSQ_SR_N2at6native12_GLOBAL__N_18offset_tEEE10hipError_tPvRmT1_PNSt15iterator_traitsISZ_E10value_typeET2_T3_PNS10_IS15_E10value_typeET4_jRbjT5_S1B_jjP12ihipStream_tbEUljE_ZNSN_ISO_Lb0ESQ_SR_SQ_SR_SV_EESW_SX_SY_SZ_S13_S14_S15_S18_S19_jS1A_jS1B_S1B_jjS1D_bEUljE0_EEESW_SX_SY_S15_S19_S1B_T6_T7_T9_mT8_S1D_bDpT10_ENKUlT_T0_E_clISt17integral_constantIbLb1EES1Q_IbLb0EEEEDaS1M_S1N_EUlS1M_E_NS1_11comp_targetILNS1_3genE5ELNS1_11target_archE942ELNS1_3gpuE9ELNS1_3repE0EEENS1_30default_config_static_selectorELNS0_4arch9wavefront6targetE0EEEvSZ_.has_indirect_call, 0
	.section	.AMDGPU.csdata,"",@progbits
; Kernel info:
; codeLenInByte = 0
; TotalNumSgprs: 0
; NumVgprs: 0
; ScratchSize: 0
; MemoryBound: 0
; FloatMode: 240
; IeeeMode: 1
; LDSByteSize: 0 bytes/workgroup (compile time only)
; SGPRBlocks: 0
; VGPRBlocks: 0
; NumSGPRsForWavesPerEU: 1
; NumVGPRsForWavesPerEU: 1
; Occupancy: 16
; WaveLimiterHint : 0
; COMPUTE_PGM_RSRC2:SCRATCH_EN: 0
; COMPUTE_PGM_RSRC2:USER_SGPR: 6
; COMPUTE_PGM_RSRC2:TRAP_HANDLER: 0
; COMPUTE_PGM_RSRC2:TGID_X_EN: 1
; COMPUTE_PGM_RSRC2:TGID_Y_EN: 0
; COMPUTE_PGM_RSRC2:TGID_Z_EN: 0
; COMPUTE_PGM_RSRC2:TIDIG_COMP_CNT: 0
	.section	.text._ZN7rocprim17ROCPRIM_400000_NS6detail17trampoline_kernelINS0_13select_configILj256ELj13ELNS0_17block_load_methodE3ELS4_3ELS4_3ELNS0_20block_scan_algorithmE0ELj4294967295EEENS1_25partition_config_selectorILNS1_17partition_subalgoE4EjNS0_10empty_typeEbEEZZNS1_14partition_implILS8_4ELb0ES6_15HIP_vector_typeIjLj2EENS0_17counting_iteratorIjlEEPS9_SG_NS0_5tupleIJPjSI_NS0_16reverse_iteratorISI_EEEEENSH_IJSG_SG_SG_EEES9_SI_JZNS1_25segmented_radix_sort_implINS0_14default_configELb0EPKlPlSQ_SR_N2at6native12_GLOBAL__N_18offset_tEEE10hipError_tPvRmT1_PNSt15iterator_traitsISZ_E10value_typeET2_T3_PNS10_IS15_E10value_typeET4_jRbjT5_S1B_jjP12ihipStream_tbEUljE_ZNSN_ISO_Lb0ESQ_SR_SQ_SR_SV_EESW_SX_SY_SZ_S13_S14_S15_S18_S19_jS1A_jS1B_S1B_jjS1D_bEUljE0_EEESW_SX_SY_S15_S19_S1B_T6_T7_T9_mT8_S1D_bDpT10_ENKUlT_T0_E_clISt17integral_constantIbLb1EES1Q_IbLb0EEEEDaS1M_S1N_EUlS1M_E_NS1_11comp_targetILNS1_3genE4ELNS1_11target_archE910ELNS1_3gpuE8ELNS1_3repE0EEENS1_30default_config_static_selectorELNS0_4arch9wavefront6targetE0EEEvSZ_,"axG",@progbits,_ZN7rocprim17ROCPRIM_400000_NS6detail17trampoline_kernelINS0_13select_configILj256ELj13ELNS0_17block_load_methodE3ELS4_3ELS4_3ELNS0_20block_scan_algorithmE0ELj4294967295EEENS1_25partition_config_selectorILNS1_17partition_subalgoE4EjNS0_10empty_typeEbEEZZNS1_14partition_implILS8_4ELb0ES6_15HIP_vector_typeIjLj2EENS0_17counting_iteratorIjlEEPS9_SG_NS0_5tupleIJPjSI_NS0_16reverse_iteratorISI_EEEEENSH_IJSG_SG_SG_EEES9_SI_JZNS1_25segmented_radix_sort_implINS0_14default_configELb0EPKlPlSQ_SR_N2at6native12_GLOBAL__N_18offset_tEEE10hipError_tPvRmT1_PNSt15iterator_traitsISZ_E10value_typeET2_T3_PNS10_IS15_E10value_typeET4_jRbjT5_S1B_jjP12ihipStream_tbEUljE_ZNSN_ISO_Lb0ESQ_SR_SQ_SR_SV_EESW_SX_SY_SZ_S13_S14_S15_S18_S19_jS1A_jS1B_S1B_jjS1D_bEUljE0_EEESW_SX_SY_S15_S19_S1B_T6_T7_T9_mT8_S1D_bDpT10_ENKUlT_T0_E_clISt17integral_constantIbLb1EES1Q_IbLb0EEEEDaS1M_S1N_EUlS1M_E_NS1_11comp_targetILNS1_3genE4ELNS1_11target_archE910ELNS1_3gpuE8ELNS1_3repE0EEENS1_30default_config_static_selectorELNS0_4arch9wavefront6targetE0EEEvSZ_,comdat
	.globl	_ZN7rocprim17ROCPRIM_400000_NS6detail17trampoline_kernelINS0_13select_configILj256ELj13ELNS0_17block_load_methodE3ELS4_3ELS4_3ELNS0_20block_scan_algorithmE0ELj4294967295EEENS1_25partition_config_selectorILNS1_17partition_subalgoE4EjNS0_10empty_typeEbEEZZNS1_14partition_implILS8_4ELb0ES6_15HIP_vector_typeIjLj2EENS0_17counting_iteratorIjlEEPS9_SG_NS0_5tupleIJPjSI_NS0_16reverse_iteratorISI_EEEEENSH_IJSG_SG_SG_EEES9_SI_JZNS1_25segmented_radix_sort_implINS0_14default_configELb0EPKlPlSQ_SR_N2at6native12_GLOBAL__N_18offset_tEEE10hipError_tPvRmT1_PNSt15iterator_traitsISZ_E10value_typeET2_T3_PNS10_IS15_E10value_typeET4_jRbjT5_S1B_jjP12ihipStream_tbEUljE_ZNSN_ISO_Lb0ESQ_SR_SQ_SR_SV_EESW_SX_SY_SZ_S13_S14_S15_S18_S19_jS1A_jS1B_S1B_jjS1D_bEUljE0_EEESW_SX_SY_S15_S19_S1B_T6_T7_T9_mT8_S1D_bDpT10_ENKUlT_T0_E_clISt17integral_constantIbLb1EES1Q_IbLb0EEEEDaS1M_S1N_EUlS1M_E_NS1_11comp_targetILNS1_3genE4ELNS1_11target_archE910ELNS1_3gpuE8ELNS1_3repE0EEENS1_30default_config_static_selectorELNS0_4arch9wavefront6targetE0EEEvSZ_ ; -- Begin function _ZN7rocprim17ROCPRIM_400000_NS6detail17trampoline_kernelINS0_13select_configILj256ELj13ELNS0_17block_load_methodE3ELS4_3ELS4_3ELNS0_20block_scan_algorithmE0ELj4294967295EEENS1_25partition_config_selectorILNS1_17partition_subalgoE4EjNS0_10empty_typeEbEEZZNS1_14partition_implILS8_4ELb0ES6_15HIP_vector_typeIjLj2EENS0_17counting_iteratorIjlEEPS9_SG_NS0_5tupleIJPjSI_NS0_16reverse_iteratorISI_EEEEENSH_IJSG_SG_SG_EEES9_SI_JZNS1_25segmented_radix_sort_implINS0_14default_configELb0EPKlPlSQ_SR_N2at6native12_GLOBAL__N_18offset_tEEE10hipError_tPvRmT1_PNSt15iterator_traitsISZ_E10value_typeET2_T3_PNS10_IS15_E10value_typeET4_jRbjT5_S1B_jjP12ihipStream_tbEUljE_ZNSN_ISO_Lb0ESQ_SR_SQ_SR_SV_EESW_SX_SY_SZ_S13_S14_S15_S18_S19_jS1A_jS1B_S1B_jjS1D_bEUljE0_EEESW_SX_SY_S15_S19_S1B_T6_T7_T9_mT8_S1D_bDpT10_ENKUlT_T0_E_clISt17integral_constantIbLb1EES1Q_IbLb0EEEEDaS1M_S1N_EUlS1M_E_NS1_11comp_targetILNS1_3genE4ELNS1_11target_archE910ELNS1_3gpuE8ELNS1_3repE0EEENS1_30default_config_static_selectorELNS0_4arch9wavefront6targetE0EEEvSZ_
	.p2align	8
	.type	_ZN7rocprim17ROCPRIM_400000_NS6detail17trampoline_kernelINS0_13select_configILj256ELj13ELNS0_17block_load_methodE3ELS4_3ELS4_3ELNS0_20block_scan_algorithmE0ELj4294967295EEENS1_25partition_config_selectorILNS1_17partition_subalgoE4EjNS0_10empty_typeEbEEZZNS1_14partition_implILS8_4ELb0ES6_15HIP_vector_typeIjLj2EENS0_17counting_iteratorIjlEEPS9_SG_NS0_5tupleIJPjSI_NS0_16reverse_iteratorISI_EEEEENSH_IJSG_SG_SG_EEES9_SI_JZNS1_25segmented_radix_sort_implINS0_14default_configELb0EPKlPlSQ_SR_N2at6native12_GLOBAL__N_18offset_tEEE10hipError_tPvRmT1_PNSt15iterator_traitsISZ_E10value_typeET2_T3_PNS10_IS15_E10value_typeET4_jRbjT5_S1B_jjP12ihipStream_tbEUljE_ZNSN_ISO_Lb0ESQ_SR_SQ_SR_SV_EESW_SX_SY_SZ_S13_S14_S15_S18_S19_jS1A_jS1B_S1B_jjS1D_bEUljE0_EEESW_SX_SY_S15_S19_S1B_T6_T7_T9_mT8_S1D_bDpT10_ENKUlT_T0_E_clISt17integral_constantIbLb1EES1Q_IbLb0EEEEDaS1M_S1N_EUlS1M_E_NS1_11comp_targetILNS1_3genE4ELNS1_11target_archE910ELNS1_3gpuE8ELNS1_3repE0EEENS1_30default_config_static_selectorELNS0_4arch9wavefront6targetE0EEEvSZ_,@function
_ZN7rocprim17ROCPRIM_400000_NS6detail17trampoline_kernelINS0_13select_configILj256ELj13ELNS0_17block_load_methodE3ELS4_3ELS4_3ELNS0_20block_scan_algorithmE0ELj4294967295EEENS1_25partition_config_selectorILNS1_17partition_subalgoE4EjNS0_10empty_typeEbEEZZNS1_14partition_implILS8_4ELb0ES6_15HIP_vector_typeIjLj2EENS0_17counting_iteratorIjlEEPS9_SG_NS0_5tupleIJPjSI_NS0_16reverse_iteratorISI_EEEEENSH_IJSG_SG_SG_EEES9_SI_JZNS1_25segmented_radix_sort_implINS0_14default_configELb0EPKlPlSQ_SR_N2at6native12_GLOBAL__N_18offset_tEEE10hipError_tPvRmT1_PNSt15iterator_traitsISZ_E10value_typeET2_T3_PNS10_IS15_E10value_typeET4_jRbjT5_S1B_jjP12ihipStream_tbEUljE_ZNSN_ISO_Lb0ESQ_SR_SQ_SR_SV_EESW_SX_SY_SZ_S13_S14_S15_S18_S19_jS1A_jS1B_S1B_jjS1D_bEUljE0_EEESW_SX_SY_S15_S19_S1B_T6_T7_T9_mT8_S1D_bDpT10_ENKUlT_T0_E_clISt17integral_constantIbLb1EES1Q_IbLb0EEEEDaS1M_S1N_EUlS1M_E_NS1_11comp_targetILNS1_3genE4ELNS1_11target_archE910ELNS1_3gpuE8ELNS1_3repE0EEENS1_30default_config_static_selectorELNS0_4arch9wavefront6targetE0EEEvSZ_: ; @_ZN7rocprim17ROCPRIM_400000_NS6detail17trampoline_kernelINS0_13select_configILj256ELj13ELNS0_17block_load_methodE3ELS4_3ELS4_3ELNS0_20block_scan_algorithmE0ELj4294967295EEENS1_25partition_config_selectorILNS1_17partition_subalgoE4EjNS0_10empty_typeEbEEZZNS1_14partition_implILS8_4ELb0ES6_15HIP_vector_typeIjLj2EENS0_17counting_iteratorIjlEEPS9_SG_NS0_5tupleIJPjSI_NS0_16reverse_iteratorISI_EEEEENSH_IJSG_SG_SG_EEES9_SI_JZNS1_25segmented_radix_sort_implINS0_14default_configELb0EPKlPlSQ_SR_N2at6native12_GLOBAL__N_18offset_tEEE10hipError_tPvRmT1_PNSt15iterator_traitsISZ_E10value_typeET2_T3_PNS10_IS15_E10value_typeET4_jRbjT5_S1B_jjP12ihipStream_tbEUljE_ZNSN_ISO_Lb0ESQ_SR_SQ_SR_SV_EESW_SX_SY_SZ_S13_S14_S15_S18_S19_jS1A_jS1B_S1B_jjS1D_bEUljE0_EEESW_SX_SY_S15_S19_S1B_T6_T7_T9_mT8_S1D_bDpT10_ENKUlT_T0_E_clISt17integral_constantIbLb1EES1Q_IbLb0EEEEDaS1M_S1N_EUlS1M_E_NS1_11comp_targetILNS1_3genE4ELNS1_11target_archE910ELNS1_3gpuE8ELNS1_3repE0EEENS1_30default_config_static_selectorELNS0_4arch9wavefront6targetE0EEEvSZ_
; %bb.0:
	.section	.rodata,"a",@progbits
	.p2align	6, 0x0
	.amdhsa_kernel _ZN7rocprim17ROCPRIM_400000_NS6detail17trampoline_kernelINS0_13select_configILj256ELj13ELNS0_17block_load_methodE3ELS4_3ELS4_3ELNS0_20block_scan_algorithmE0ELj4294967295EEENS1_25partition_config_selectorILNS1_17partition_subalgoE4EjNS0_10empty_typeEbEEZZNS1_14partition_implILS8_4ELb0ES6_15HIP_vector_typeIjLj2EENS0_17counting_iteratorIjlEEPS9_SG_NS0_5tupleIJPjSI_NS0_16reverse_iteratorISI_EEEEENSH_IJSG_SG_SG_EEES9_SI_JZNS1_25segmented_radix_sort_implINS0_14default_configELb0EPKlPlSQ_SR_N2at6native12_GLOBAL__N_18offset_tEEE10hipError_tPvRmT1_PNSt15iterator_traitsISZ_E10value_typeET2_T3_PNS10_IS15_E10value_typeET4_jRbjT5_S1B_jjP12ihipStream_tbEUljE_ZNSN_ISO_Lb0ESQ_SR_SQ_SR_SV_EESW_SX_SY_SZ_S13_S14_S15_S18_S19_jS1A_jS1B_S1B_jjS1D_bEUljE0_EEESW_SX_SY_S15_S19_S1B_T6_T7_T9_mT8_S1D_bDpT10_ENKUlT_T0_E_clISt17integral_constantIbLb1EES1Q_IbLb0EEEEDaS1M_S1N_EUlS1M_E_NS1_11comp_targetILNS1_3genE4ELNS1_11target_archE910ELNS1_3gpuE8ELNS1_3repE0EEENS1_30default_config_static_selectorELNS0_4arch9wavefront6targetE0EEEvSZ_
		.amdhsa_group_segment_fixed_size 0
		.amdhsa_private_segment_fixed_size 0
		.amdhsa_kernarg_size 176
		.amdhsa_user_sgpr_count 6
		.amdhsa_user_sgpr_private_segment_buffer 1
		.amdhsa_user_sgpr_dispatch_ptr 0
		.amdhsa_user_sgpr_queue_ptr 0
		.amdhsa_user_sgpr_kernarg_segment_ptr 1
		.amdhsa_user_sgpr_dispatch_id 0
		.amdhsa_user_sgpr_flat_scratch_init 0
		.amdhsa_user_sgpr_private_segment_size 0
		.amdhsa_wavefront_size32 1
		.amdhsa_uses_dynamic_stack 0
		.amdhsa_system_sgpr_private_segment_wavefront_offset 0
		.amdhsa_system_sgpr_workgroup_id_x 1
		.amdhsa_system_sgpr_workgroup_id_y 0
		.amdhsa_system_sgpr_workgroup_id_z 0
		.amdhsa_system_sgpr_workgroup_info 0
		.amdhsa_system_vgpr_workitem_id 0
		.amdhsa_next_free_vgpr 1
		.amdhsa_next_free_sgpr 1
		.amdhsa_reserve_vcc 0
		.amdhsa_reserve_flat_scratch 0
		.amdhsa_float_round_mode_32 0
		.amdhsa_float_round_mode_16_64 0
		.amdhsa_float_denorm_mode_32 3
		.amdhsa_float_denorm_mode_16_64 3
		.amdhsa_dx10_clamp 1
		.amdhsa_ieee_mode 1
		.amdhsa_fp16_overflow 0
		.amdhsa_workgroup_processor_mode 1
		.amdhsa_memory_ordered 1
		.amdhsa_forward_progress 1
		.amdhsa_shared_vgpr_count 0
		.amdhsa_exception_fp_ieee_invalid_op 0
		.amdhsa_exception_fp_denorm_src 0
		.amdhsa_exception_fp_ieee_div_zero 0
		.amdhsa_exception_fp_ieee_overflow 0
		.amdhsa_exception_fp_ieee_underflow 0
		.amdhsa_exception_fp_ieee_inexact 0
		.amdhsa_exception_int_div_zero 0
	.end_amdhsa_kernel
	.section	.text._ZN7rocprim17ROCPRIM_400000_NS6detail17trampoline_kernelINS0_13select_configILj256ELj13ELNS0_17block_load_methodE3ELS4_3ELS4_3ELNS0_20block_scan_algorithmE0ELj4294967295EEENS1_25partition_config_selectorILNS1_17partition_subalgoE4EjNS0_10empty_typeEbEEZZNS1_14partition_implILS8_4ELb0ES6_15HIP_vector_typeIjLj2EENS0_17counting_iteratorIjlEEPS9_SG_NS0_5tupleIJPjSI_NS0_16reverse_iteratorISI_EEEEENSH_IJSG_SG_SG_EEES9_SI_JZNS1_25segmented_radix_sort_implINS0_14default_configELb0EPKlPlSQ_SR_N2at6native12_GLOBAL__N_18offset_tEEE10hipError_tPvRmT1_PNSt15iterator_traitsISZ_E10value_typeET2_T3_PNS10_IS15_E10value_typeET4_jRbjT5_S1B_jjP12ihipStream_tbEUljE_ZNSN_ISO_Lb0ESQ_SR_SQ_SR_SV_EESW_SX_SY_SZ_S13_S14_S15_S18_S19_jS1A_jS1B_S1B_jjS1D_bEUljE0_EEESW_SX_SY_S15_S19_S1B_T6_T7_T9_mT8_S1D_bDpT10_ENKUlT_T0_E_clISt17integral_constantIbLb1EES1Q_IbLb0EEEEDaS1M_S1N_EUlS1M_E_NS1_11comp_targetILNS1_3genE4ELNS1_11target_archE910ELNS1_3gpuE8ELNS1_3repE0EEENS1_30default_config_static_selectorELNS0_4arch9wavefront6targetE0EEEvSZ_,"axG",@progbits,_ZN7rocprim17ROCPRIM_400000_NS6detail17trampoline_kernelINS0_13select_configILj256ELj13ELNS0_17block_load_methodE3ELS4_3ELS4_3ELNS0_20block_scan_algorithmE0ELj4294967295EEENS1_25partition_config_selectorILNS1_17partition_subalgoE4EjNS0_10empty_typeEbEEZZNS1_14partition_implILS8_4ELb0ES6_15HIP_vector_typeIjLj2EENS0_17counting_iteratorIjlEEPS9_SG_NS0_5tupleIJPjSI_NS0_16reverse_iteratorISI_EEEEENSH_IJSG_SG_SG_EEES9_SI_JZNS1_25segmented_radix_sort_implINS0_14default_configELb0EPKlPlSQ_SR_N2at6native12_GLOBAL__N_18offset_tEEE10hipError_tPvRmT1_PNSt15iterator_traitsISZ_E10value_typeET2_T3_PNS10_IS15_E10value_typeET4_jRbjT5_S1B_jjP12ihipStream_tbEUljE_ZNSN_ISO_Lb0ESQ_SR_SQ_SR_SV_EESW_SX_SY_SZ_S13_S14_S15_S18_S19_jS1A_jS1B_S1B_jjS1D_bEUljE0_EEESW_SX_SY_S15_S19_S1B_T6_T7_T9_mT8_S1D_bDpT10_ENKUlT_T0_E_clISt17integral_constantIbLb1EES1Q_IbLb0EEEEDaS1M_S1N_EUlS1M_E_NS1_11comp_targetILNS1_3genE4ELNS1_11target_archE910ELNS1_3gpuE8ELNS1_3repE0EEENS1_30default_config_static_selectorELNS0_4arch9wavefront6targetE0EEEvSZ_,comdat
.Lfunc_end755:
	.size	_ZN7rocprim17ROCPRIM_400000_NS6detail17trampoline_kernelINS0_13select_configILj256ELj13ELNS0_17block_load_methodE3ELS4_3ELS4_3ELNS0_20block_scan_algorithmE0ELj4294967295EEENS1_25partition_config_selectorILNS1_17partition_subalgoE4EjNS0_10empty_typeEbEEZZNS1_14partition_implILS8_4ELb0ES6_15HIP_vector_typeIjLj2EENS0_17counting_iteratorIjlEEPS9_SG_NS0_5tupleIJPjSI_NS0_16reverse_iteratorISI_EEEEENSH_IJSG_SG_SG_EEES9_SI_JZNS1_25segmented_radix_sort_implINS0_14default_configELb0EPKlPlSQ_SR_N2at6native12_GLOBAL__N_18offset_tEEE10hipError_tPvRmT1_PNSt15iterator_traitsISZ_E10value_typeET2_T3_PNS10_IS15_E10value_typeET4_jRbjT5_S1B_jjP12ihipStream_tbEUljE_ZNSN_ISO_Lb0ESQ_SR_SQ_SR_SV_EESW_SX_SY_SZ_S13_S14_S15_S18_S19_jS1A_jS1B_S1B_jjS1D_bEUljE0_EEESW_SX_SY_S15_S19_S1B_T6_T7_T9_mT8_S1D_bDpT10_ENKUlT_T0_E_clISt17integral_constantIbLb1EES1Q_IbLb0EEEEDaS1M_S1N_EUlS1M_E_NS1_11comp_targetILNS1_3genE4ELNS1_11target_archE910ELNS1_3gpuE8ELNS1_3repE0EEENS1_30default_config_static_selectorELNS0_4arch9wavefront6targetE0EEEvSZ_, .Lfunc_end755-_ZN7rocprim17ROCPRIM_400000_NS6detail17trampoline_kernelINS0_13select_configILj256ELj13ELNS0_17block_load_methodE3ELS4_3ELS4_3ELNS0_20block_scan_algorithmE0ELj4294967295EEENS1_25partition_config_selectorILNS1_17partition_subalgoE4EjNS0_10empty_typeEbEEZZNS1_14partition_implILS8_4ELb0ES6_15HIP_vector_typeIjLj2EENS0_17counting_iteratorIjlEEPS9_SG_NS0_5tupleIJPjSI_NS0_16reverse_iteratorISI_EEEEENSH_IJSG_SG_SG_EEES9_SI_JZNS1_25segmented_radix_sort_implINS0_14default_configELb0EPKlPlSQ_SR_N2at6native12_GLOBAL__N_18offset_tEEE10hipError_tPvRmT1_PNSt15iterator_traitsISZ_E10value_typeET2_T3_PNS10_IS15_E10value_typeET4_jRbjT5_S1B_jjP12ihipStream_tbEUljE_ZNSN_ISO_Lb0ESQ_SR_SQ_SR_SV_EESW_SX_SY_SZ_S13_S14_S15_S18_S19_jS1A_jS1B_S1B_jjS1D_bEUljE0_EEESW_SX_SY_S15_S19_S1B_T6_T7_T9_mT8_S1D_bDpT10_ENKUlT_T0_E_clISt17integral_constantIbLb1EES1Q_IbLb0EEEEDaS1M_S1N_EUlS1M_E_NS1_11comp_targetILNS1_3genE4ELNS1_11target_archE910ELNS1_3gpuE8ELNS1_3repE0EEENS1_30default_config_static_selectorELNS0_4arch9wavefront6targetE0EEEvSZ_
                                        ; -- End function
	.set _ZN7rocprim17ROCPRIM_400000_NS6detail17trampoline_kernelINS0_13select_configILj256ELj13ELNS0_17block_load_methodE3ELS4_3ELS4_3ELNS0_20block_scan_algorithmE0ELj4294967295EEENS1_25partition_config_selectorILNS1_17partition_subalgoE4EjNS0_10empty_typeEbEEZZNS1_14partition_implILS8_4ELb0ES6_15HIP_vector_typeIjLj2EENS0_17counting_iteratorIjlEEPS9_SG_NS0_5tupleIJPjSI_NS0_16reverse_iteratorISI_EEEEENSH_IJSG_SG_SG_EEES9_SI_JZNS1_25segmented_radix_sort_implINS0_14default_configELb0EPKlPlSQ_SR_N2at6native12_GLOBAL__N_18offset_tEEE10hipError_tPvRmT1_PNSt15iterator_traitsISZ_E10value_typeET2_T3_PNS10_IS15_E10value_typeET4_jRbjT5_S1B_jjP12ihipStream_tbEUljE_ZNSN_ISO_Lb0ESQ_SR_SQ_SR_SV_EESW_SX_SY_SZ_S13_S14_S15_S18_S19_jS1A_jS1B_S1B_jjS1D_bEUljE0_EEESW_SX_SY_S15_S19_S1B_T6_T7_T9_mT8_S1D_bDpT10_ENKUlT_T0_E_clISt17integral_constantIbLb1EES1Q_IbLb0EEEEDaS1M_S1N_EUlS1M_E_NS1_11comp_targetILNS1_3genE4ELNS1_11target_archE910ELNS1_3gpuE8ELNS1_3repE0EEENS1_30default_config_static_selectorELNS0_4arch9wavefront6targetE0EEEvSZ_.num_vgpr, 0
	.set _ZN7rocprim17ROCPRIM_400000_NS6detail17trampoline_kernelINS0_13select_configILj256ELj13ELNS0_17block_load_methodE3ELS4_3ELS4_3ELNS0_20block_scan_algorithmE0ELj4294967295EEENS1_25partition_config_selectorILNS1_17partition_subalgoE4EjNS0_10empty_typeEbEEZZNS1_14partition_implILS8_4ELb0ES6_15HIP_vector_typeIjLj2EENS0_17counting_iteratorIjlEEPS9_SG_NS0_5tupleIJPjSI_NS0_16reverse_iteratorISI_EEEEENSH_IJSG_SG_SG_EEES9_SI_JZNS1_25segmented_radix_sort_implINS0_14default_configELb0EPKlPlSQ_SR_N2at6native12_GLOBAL__N_18offset_tEEE10hipError_tPvRmT1_PNSt15iterator_traitsISZ_E10value_typeET2_T3_PNS10_IS15_E10value_typeET4_jRbjT5_S1B_jjP12ihipStream_tbEUljE_ZNSN_ISO_Lb0ESQ_SR_SQ_SR_SV_EESW_SX_SY_SZ_S13_S14_S15_S18_S19_jS1A_jS1B_S1B_jjS1D_bEUljE0_EEESW_SX_SY_S15_S19_S1B_T6_T7_T9_mT8_S1D_bDpT10_ENKUlT_T0_E_clISt17integral_constantIbLb1EES1Q_IbLb0EEEEDaS1M_S1N_EUlS1M_E_NS1_11comp_targetILNS1_3genE4ELNS1_11target_archE910ELNS1_3gpuE8ELNS1_3repE0EEENS1_30default_config_static_selectorELNS0_4arch9wavefront6targetE0EEEvSZ_.num_agpr, 0
	.set _ZN7rocprim17ROCPRIM_400000_NS6detail17trampoline_kernelINS0_13select_configILj256ELj13ELNS0_17block_load_methodE3ELS4_3ELS4_3ELNS0_20block_scan_algorithmE0ELj4294967295EEENS1_25partition_config_selectorILNS1_17partition_subalgoE4EjNS0_10empty_typeEbEEZZNS1_14partition_implILS8_4ELb0ES6_15HIP_vector_typeIjLj2EENS0_17counting_iteratorIjlEEPS9_SG_NS0_5tupleIJPjSI_NS0_16reverse_iteratorISI_EEEEENSH_IJSG_SG_SG_EEES9_SI_JZNS1_25segmented_radix_sort_implINS0_14default_configELb0EPKlPlSQ_SR_N2at6native12_GLOBAL__N_18offset_tEEE10hipError_tPvRmT1_PNSt15iterator_traitsISZ_E10value_typeET2_T3_PNS10_IS15_E10value_typeET4_jRbjT5_S1B_jjP12ihipStream_tbEUljE_ZNSN_ISO_Lb0ESQ_SR_SQ_SR_SV_EESW_SX_SY_SZ_S13_S14_S15_S18_S19_jS1A_jS1B_S1B_jjS1D_bEUljE0_EEESW_SX_SY_S15_S19_S1B_T6_T7_T9_mT8_S1D_bDpT10_ENKUlT_T0_E_clISt17integral_constantIbLb1EES1Q_IbLb0EEEEDaS1M_S1N_EUlS1M_E_NS1_11comp_targetILNS1_3genE4ELNS1_11target_archE910ELNS1_3gpuE8ELNS1_3repE0EEENS1_30default_config_static_selectorELNS0_4arch9wavefront6targetE0EEEvSZ_.numbered_sgpr, 0
	.set _ZN7rocprim17ROCPRIM_400000_NS6detail17trampoline_kernelINS0_13select_configILj256ELj13ELNS0_17block_load_methodE3ELS4_3ELS4_3ELNS0_20block_scan_algorithmE0ELj4294967295EEENS1_25partition_config_selectorILNS1_17partition_subalgoE4EjNS0_10empty_typeEbEEZZNS1_14partition_implILS8_4ELb0ES6_15HIP_vector_typeIjLj2EENS0_17counting_iteratorIjlEEPS9_SG_NS0_5tupleIJPjSI_NS0_16reverse_iteratorISI_EEEEENSH_IJSG_SG_SG_EEES9_SI_JZNS1_25segmented_radix_sort_implINS0_14default_configELb0EPKlPlSQ_SR_N2at6native12_GLOBAL__N_18offset_tEEE10hipError_tPvRmT1_PNSt15iterator_traitsISZ_E10value_typeET2_T3_PNS10_IS15_E10value_typeET4_jRbjT5_S1B_jjP12ihipStream_tbEUljE_ZNSN_ISO_Lb0ESQ_SR_SQ_SR_SV_EESW_SX_SY_SZ_S13_S14_S15_S18_S19_jS1A_jS1B_S1B_jjS1D_bEUljE0_EEESW_SX_SY_S15_S19_S1B_T6_T7_T9_mT8_S1D_bDpT10_ENKUlT_T0_E_clISt17integral_constantIbLb1EES1Q_IbLb0EEEEDaS1M_S1N_EUlS1M_E_NS1_11comp_targetILNS1_3genE4ELNS1_11target_archE910ELNS1_3gpuE8ELNS1_3repE0EEENS1_30default_config_static_selectorELNS0_4arch9wavefront6targetE0EEEvSZ_.num_named_barrier, 0
	.set _ZN7rocprim17ROCPRIM_400000_NS6detail17trampoline_kernelINS0_13select_configILj256ELj13ELNS0_17block_load_methodE3ELS4_3ELS4_3ELNS0_20block_scan_algorithmE0ELj4294967295EEENS1_25partition_config_selectorILNS1_17partition_subalgoE4EjNS0_10empty_typeEbEEZZNS1_14partition_implILS8_4ELb0ES6_15HIP_vector_typeIjLj2EENS0_17counting_iteratorIjlEEPS9_SG_NS0_5tupleIJPjSI_NS0_16reverse_iteratorISI_EEEEENSH_IJSG_SG_SG_EEES9_SI_JZNS1_25segmented_radix_sort_implINS0_14default_configELb0EPKlPlSQ_SR_N2at6native12_GLOBAL__N_18offset_tEEE10hipError_tPvRmT1_PNSt15iterator_traitsISZ_E10value_typeET2_T3_PNS10_IS15_E10value_typeET4_jRbjT5_S1B_jjP12ihipStream_tbEUljE_ZNSN_ISO_Lb0ESQ_SR_SQ_SR_SV_EESW_SX_SY_SZ_S13_S14_S15_S18_S19_jS1A_jS1B_S1B_jjS1D_bEUljE0_EEESW_SX_SY_S15_S19_S1B_T6_T7_T9_mT8_S1D_bDpT10_ENKUlT_T0_E_clISt17integral_constantIbLb1EES1Q_IbLb0EEEEDaS1M_S1N_EUlS1M_E_NS1_11comp_targetILNS1_3genE4ELNS1_11target_archE910ELNS1_3gpuE8ELNS1_3repE0EEENS1_30default_config_static_selectorELNS0_4arch9wavefront6targetE0EEEvSZ_.private_seg_size, 0
	.set _ZN7rocprim17ROCPRIM_400000_NS6detail17trampoline_kernelINS0_13select_configILj256ELj13ELNS0_17block_load_methodE3ELS4_3ELS4_3ELNS0_20block_scan_algorithmE0ELj4294967295EEENS1_25partition_config_selectorILNS1_17partition_subalgoE4EjNS0_10empty_typeEbEEZZNS1_14partition_implILS8_4ELb0ES6_15HIP_vector_typeIjLj2EENS0_17counting_iteratorIjlEEPS9_SG_NS0_5tupleIJPjSI_NS0_16reverse_iteratorISI_EEEEENSH_IJSG_SG_SG_EEES9_SI_JZNS1_25segmented_radix_sort_implINS0_14default_configELb0EPKlPlSQ_SR_N2at6native12_GLOBAL__N_18offset_tEEE10hipError_tPvRmT1_PNSt15iterator_traitsISZ_E10value_typeET2_T3_PNS10_IS15_E10value_typeET4_jRbjT5_S1B_jjP12ihipStream_tbEUljE_ZNSN_ISO_Lb0ESQ_SR_SQ_SR_SV_EESW_SX_SY_SZ_S13_S14_S15_S18_S19_jS1A_jS1B_S1B_jjS1D_bEUljE0_EEESW_SX_SY_S15_S19_S1B_T6_T7_T9_mT8_S1D_bDpT10_ENKUlT_T0_E_clISt17integral_constantIbLb1EES1Q_IbLb0EEEEDaS1M_S1N_EUlS1M_E_NS1_11comp_targetILNS1_3genE4ELNS1_11target_archE910ELNS1_3gpuE8ELNS1_3repE0EEENS1_30default_config_static_selectorELNS0_4arch9wavefront6targetE0EEEvSZ_.uses_vcc, 0
	.set _ZN7rocprim17ROCPRIM_400000_NS6detail17trampoline_kernelINS0_13select_configILj256ELj13ELNS0_17block_load_methodE3ELS4_3ELS4_3ELNS0_20block_scan_algorithmE0ELj4294967295EEENS1_25partition_config_selectorILNS1_17partition_subalgoE4EjNS0_10empty_typeEbEEZZNS1_14partition_implILS8_4ELb0ES6_15HIP_vector_typeIjLj2EENS0_17counting_iteratorIjlEEPS9_SG_NS0_5tupleIJPjSI_NS0_16reverse_iteratorISI_EEEEENSH_IJSG_SG_SG_EEES9_SI_JZNS1_25segmented_radix_sort_implINS0_14default_configELb0EPKlPlSQ_SR_N2at6native12_GLOBAL__N_18offset_tEEE10hipError_tPvRmT1_PNSt15iterator_traitsISZ_E10value_typeET2_T3_PNS10_IS15_E10value_typeET4_jRbjT5_S1B_jjP12ihipStream_tbEUljE_ZNSN_ISO_Lb0ESQ_SR_SQ_SR_SV_EESW_SX_SY_SZ_S13_S14_S15_S18_S19_jS1A_jS1B_S1B_jjS1D_bEUljE0_EEESW_SX_SY_S15_S19_S1B_T6_T7_T9_mT8_S1D_bDpT10_ENKUlT_T0_E_clISt17integral_constantIbLb1EES1Q_IbLb0EEEEDaS1M_S1N_EUlS1M_E_NS1_11comp_targetILNS1_3genE4ELNS1_11target_archE910ELNS1_3gpuE8ELNS1_3repE0EEENS1_30default_config_static_selectorELNS0_4arch9wavefront6targetE0EEEvSZ_.uses_flat_scratch, 0
	.set _ZN7rocprim17ROCPRIM_400000_NS6detail17trampoline_kernelINS0_13select_configILj256ELj13ELNS0_17block_load_methodE3ELS4_3ELS4_3ELNS0_20block_scan_algorithmE0ELj4294967295EEENS1_25partition_config_selectorILNS1_17partition_subalgoE4EjNS0_10empty_typeEbEEZZNS1_14partition_implILS8_4ELb0ES6_15HIP_vector_typeIjLj2EENS0_17counting_iteratorIjlEEPS9_SG_NS0_5tupleIJPjSI_NS0_16reverse_iteratorISI_EEEEENSH_IJSG_SG_SG_EEES9_SI_JZNS1_25segmented_radix_sort_implINS0_14default_configELb0EPKlPlSQ_SR_N2at6native12_GLOBAL__N_18offset_tEEE10hipError_tPvRmT1_PNSt15iterator_traitsISZ_E10value_typeET2_T3_PNS10_IS15_E10value_typeET4_jRbjT5_S1B_jjP12ihipStream_tbEUljE_ZNSN_ISO_Lb0ESQ_SR_SQ_SR_SV_EESW_SX_SY_SZ_S13_S14_S15_S18_S19_jS1A_jS1B_S1B_jjS1D_bEUljE0_EEESW_SX_SY_S15_S19_S1B_T6_T7_T9_mT8_S1D_bDpT10_ENKUlT_T0_E_clISt17integral_constantIbLb1EES1Q_IbLb0EEEEDaS1M_S1N_EUlS1M_E_NS1_11comp_targetILNS1_3genE4ELNS1_11target_archE910ELNS1_3gpuE8ELNS1_3repE0EEENS1_30default_config_static_selectorELNS0_4arch9wavefront6targetE0EEEvSZ_.has_dyn_sized_stack, 0
	.set _ZN7rocprim17ROCPRIM_400000_NS6detail17trampoline_kernelINS0_13select_configILj256ELj13ELNS0_17block_load_methodE3ELS4_3ELS4_3ELNS0_20block_scan_algorithmE0ELj4294967295EEENS1_25partition_config_selectorILNS1_17partition_subalgoE4EjNS0_10empty_typeEbEEZZNS1_14partition_implILS8_4ELb0ES6_15HIP_vector_typeIjLj2EENS0_17counting_iteratorIjlEEPS9_SG_NS0_5tupleIJPjSI_NS0_16reverse_iteratorISI_EEEEENSH_IJSG_SG_SG_EEES9_SI_JZNS1_25segmented_radix_sort_implINS0_14default_configELb0EPKlPlSQ_SR_N2at6native12_GLOBAL__N_18offset_tEEE10hipError_tPvRmT1_PNSt15iterator_traitsISZ_E10value_typeET2_T3_PNS10_IS15_E10value_typeET4_jRbjT5_S1B_jjP12ihipStream_tbEUljE_ZNSN_ISO_Lb0ESQ_SR_SQ_SR_SV_EESW_SX_SY_SZ_S13_S14_S15_S18_S19_jS1A_jS1B_S1B_jjS1D_bEUljE0_EEESW_SX_SY_S15_S19_S1B_T6_T7_T9_mT8_S1D_bDpT10_ENKUlT_T0_E_clISt17integral_constantIbLb1EES1Q_IbLb0EEEEDaS1M_S1N_EUlS1M_E_NS1_11comp_targetILNS1_3genE4ELNS1_11target_archE910ELNS1_3gpuE8ELNS1_3repE0EEENS1_30default_config_static_selectorELNS0_4arch9wavefront6targetE0EEEvSZ_.has_recursion, 0
	.set _ZN7rocprim17ROCPRIM_400000_NS6detail17trampoline_kernelINS0_13select_configILj256ELj13ELNS0_17block_load_methodE3ELS4_3ELS4_3ELNS0_20block_scan_algorithmE0ELj4294967295EEENS1_25partition_config_selectorILNS1_17partition_subalgoE4EjNS0_10empty_typeEbEEZZNS1_14partition_implILS8_4ELb0ES6_15HIP_vector_typeIjLj2EENS0_17counting_iteratorIjlEEPS9_SG_NS0_5tupleIJPjSI_NS0_16reverse_iteratorISI_EEEEENSH_IJSG_SG_SG_EEES9_SI_JZNS1_25segmented_radix_sort_implINS0_14default_configELb0EPKlPlSQ_SR_N2at6native12_GLOBAL__N_18offset_tEEE10hipError_tPvRmT1_PNSt15iterator_traitsISZ_E10value_typeET2_T3_PNS10_IS15_E10value_typeET4_jRbjT5_S1B_jjP12ihipStream_tbEUljE_ZNSN_ISO_Lb0ESQ_SR_SQ_SR_SV_EESW_SX_SY_SZ_S13_S14_S15_S18_S19_jS1A_jS1B_S1B_jjS1D_bEUljE0_EEESW_SX_SY_S15_S19_S1B_T6_T7_T9_mT8_S1D_bDpT10_ENKUlT_T0_E_clISt17integral_constantIbLb1EES1Q_IbLb0EEEEDaS1M_S1N_EUlS1M_E_NS1_11comp_targetILNS1_3genE4ELNS1_11target_archE910ELNS1_3gpuE8ELNS1_3repE0EEENS1_30default_config_static_selectorELNS0_4arch9wavefront6targetE0EEEvSZ_.has_indirect_call, 0
	.section	.AMDGPU.csdata,"",@progbits
; Kernel info:
; codeLenInByte = 0
; TotalNumSgprs: 0
; NumVgprs: 0
; ScratchSize: 0
; MemoryBound: 0
; FloatMode: 240
; IeeeMode: 1
; LDSByteSize: 0 bytes/workgroup (compile time only)
; SGPRBlocks: 0
; VGPRBlocks: 0
; NumSGPRsForWavesPerEU: 1
; NumVGPRsForWavesPerEU: 1
; Occupancy: 16
; WaveLimiterHint : 0
; COMPUTE_PGM_RSRC2:SCRATCH_EN: 0
; COMPUTE_PGM_RSRC2:USER_SGPR: 6
; COMPUTE_PGM_RSRC2:TRAP_HANDLER: 0
; COMPUTE_PGM_RSRC2:TGID_X_EN: 1
; COMPUTE_PGM_RSRC2:TGID_Y_EN: 0
; COMPUTE_PGM_RSRC2:TGID_Z_EN: 0
; COMPUTE_PGM_RSRC2:TIDIG_COMP_CNT: 0
	.section	.text._ZN7rocprim17ROCPRIM_400000_NS6detail17trampoline_kernelINS0_13select_configILj256ELj13ELNS0_17block_load_methodE3ELS4_3ELS4_3ELNS0_20block_scan_algorithmE0ELj4294967295EEENS1_25partition_config_selectorILNS1_17partition_subalgoE4EjNS0_10empty_typeEbEEZZNS1_14partition_implILS8_4ELb0ES6_15HIP_vector_typeIjLj2EENS0_17counting_iteratorIjlEEPS9_SG_NS0_5tupleIJPjSI_NS0_16reverse_iteratorISI_EEEEENSH_IJSG_SG_SG_EEES9_SI_JZNS1_25segmented_radix_sort_implINS0_14default_configELb0EPKlPlSQ_SR_N2at6native12_GLOBAL__N_18offset_tEEE10hipError_tPvRmT1_PNSt15iterator_traitsISZ_E10value_typeET2_T3_PNS10_IS15_E10value_typeET4_jRbjT5_S1B_jjP12ihipStream_tbEUljE_ZNSN_ISO_Lb0ESQ_SR_SQ_SR_SV_EESW_SX_SY_SZ_S13_S14_S15_S18_S19_jS1A_jS1B_S1B_jjS1D_bEUljE0_EEESW_SX_SY_S15_S19_S1B_T6_T7_T9_mT8_S1D_bDpT10_ENKUlT_T0_E_clISt17integral_constantIbLb1EES1Q_IbLb0EEEEDaS1M_S1N_EUlS1M_E_NS1_11comp_targetILNS1_3genE3ELNS1_11target_archE908ELNS1_3gpuE7ELNS1_3repE0EEENS1_30default_config_static_selectorELNS0_4arch9wavefront6targetE0EEEvSZ_,"axG",@progbits,_ZN7rocprim17ROCPRIM_400000_NS6detail17trampoline_kernelINS0_13select_configILj256ELj13ELNS0_17block_load_methodE3ELS4_3ELS4_3ELNS0_20block_scan_algorithmE0ELj4294967295EEENS1_25partition_config_selectorILNS1_17partition_subalgoE4EjNS0_10empty_typeEbEEZZNS1_14partition_implILS8_4ELb0ES6_15HIP_vector_typeIjLj2EENS0_17counting_iteratorIjlEEPS9_SG_NS0_5tupleIJPjSI_NS0_16reverse_iteratorISI_EEEEENSH_IJSG_SG_SG_EEES9_SI_JZNS1_25segmented_radix_sort_implINS0_14default_configELb0EPKlPlSQ_SR_N2at6native12_GLOBAL__N_18offset_tEEE10hipError_tPvRmT1_PNSt15iterator_traitsISZ_E10value_typeET2_T3_PNS10_IS15_E10value_typeET4_jRbjT5_S1B_jjP12ihipStream_tbEUljE_ZNSN_ISO_Lb0ESQ_SR_SQ_SR_SV_EESW_SX_SY_SZ_S13_S14_S15_S18_S19_jS1A_jS1B_S1B_jjS1D_bEUljE0_EEESW_SX_SY_S15_S19_S1B_T6_T7_T9_mT8_S1D_bDpT10_ENKUlT_T0_E_clISt17integral_constantIbLb1EES1Q_IbLb0EEEEDaS1M_S1N_EUlS1M_E_NS1_11comp_targetILNS1_3genE3ELNS1_11target_archE908ELNS1_3gpuE7ELNS1_3repE0EEENS1_30default_config_static_selectorELNS0_4arch9wavefront6targetE0EEEvSZ_,comdat
	.globl	_ZN7rocprim17ROCPRIM_400000_NS6detail17trampoline_kernelINS0_13select_configILj256ELj13ELNS0_17block_load_methodE3ELS4_3ELS4_3ELNS0_20block_scan_algorithmE0ELj4294967295EEENS1_25partition_config_selectorILNS1_17partition_subalgoE4EjNS0_10empty_typeEbEEZZNS1_14partition_implILS8_4ELb0ES6_15HIP_vector_typeIjLj2EENS0_17counting_iteratorIjlEEPS9_SG_NS0_5tupleIJPjSI_NS0_16reverse_iteratorISI_EEEEENSH_IJSG_SG_SG_EEES9_SI_JZNS1_25segmented_radix_sort_implINS0_14default_configELb0EPKlPlSQ_SR_N2at6native12_GLOBAL__N_18offset_tEEE10hipError_tPvRmT1_PNSt15iterator_traitsISZ_E10value_typeET2_T3_PNS10_IS15_E10value_typeET4_jRbjT5_S1B_jjP12ihipStream_tbEUljE_ZNSN_ISO_Lb0ESQ_SR_SQ_SR_SV_EESW_SX_SY_SZ_S13_S14_S15_S18_S19_jS1A_jS1B_S1B_jjS1D_bEUljE0_EEESW_SX_SY_S15_S19_S1B_T6_T7_T9_mT8_S1D_bDpT10_ENKUlT_T0_E_clISt17integral_constantIbLb1EES1Q_IbLb0EEEEDaS1M_S1N_EUlS1M_E_NS1_11comp_targetILNS1_3genE3ELNS1_11target_archE908ELNS1_3gpuE7ELNS1_3repE0EEENS1_30default_config_static_selectorELNS0_4arch9wavefront6targetE0EEEvSZ_ ; -- Begin function _ZN7rocprim17ROCPRIM_400000_NS6detail17trampoline_kernelINS0_13select_configILj256ELj13ELNS0_17block_load_methodE3ELS4_3ELS4_3ELNS0_20block_scan_algorithmE0ELj4294967295EEENS1_25partition_config_selectorILNS1_17partition_subalgoE4EjNS0_10empty_typeEbEEZZNS1_14partition_implILS8_4ELb0ES6_15HIP_vector_typeIjLj2EENS0_17counting_iteratorIjlEEPS9_SG_NS0_5tupleIJPjSI_NS0_16reverse_iteratorISI_EEEEENSH_IJSG_SG_SG_EEES9_SI_JZNS1_25segmented_radix_sort_implINS0_14default_configELb0EPKlPlSQ_SR_N2at6native12_GLOBAL__N_18offset_tEEE10hipError_tPvRmT1_PNSt15iterator_traitsISZ_E10value_typeET2_T3_PNS10_IS15_E10value_typeET4_jRbjT5_S1B_jjP12ihipStream_tbEUljE_ZNSN_ISO_Lb0ESQ_SR_SQ_SR_SV_EESW_SX_SY_SZ_S13_S14_S15_S18_S19_jS1A_jS1B_S1B_jjS1D_bEUljE0_EEESW_SX_SY_S15_S19_S1B_T6_T7_T9_mT8_S1D_bDpT10_ENKUlT_T0_E_clISt17integral_constantIbLb1EES1Q_IbLb0EEEEDaS1M_S1N_EUlS1M_E_NS1_11comp_targetILNS1_3genE3ELNS1_11target_archE908ELNS1_3gpuE7ELNS1_3repE0EEENS1_30default_config_static_selectorELNS0_4arch9wavefront6targetE0EEEvSZ_
	.p2align	8
	.type	_ZN7rocprim17ROCPRIM_400000_NS6detail17trampoline_kernelINS0_13select_configILj256ELj13ELNS0_17block_load_methodE3ELS4_3ELS4_3ELNS0_20block_scan_algorithmE0ELj4294967295EEENS1_25partition_config_selectorILNS1_17partition_subalgoE4EjNS0_10empty_typeEbEEZZNS1_14partition_implILS8_4ELb0ES6_15HIP_vector_typeIjLj2EENS0_17counting_iteratorIjlEEPS9_SG_NS0_5tupleIJPjSI_NS0_16reverse_iteratorISI_EEEEENSH_IJSG_SG_SG_EEES9_SI_JZNS1_25segmented_radix_sort_implINS0_14default_configELb0EPKlPlSQ_SR_N2at6native12_GLOBAL__N_18offset_tEEE10hipError_tPvRmT1_PNSt15iterator_traitsISZ_E10value_typeET2_T3_PNS10_IS15_E10value_typeET4_jRbjT5_S1B_jjP12ihipStream_tbEUljE_ZNSN_ISO_Lb0ESQ_SR_SQ_SR_SV_EESW_SX_SY_SZ_S13_S14_S15_S18_S19_jS1A_jS1B_S1B_jjS1D_bEUljE0_EEESW_SX_SY_S15_S19_S1B_T6_T7_T9_mT8_S1D_bDpT10_ENKUlT_T0_E_clISt17integral_constantIbLb1EES1Q_IbLb0EEEEDaS1M_S1N_EUlS1M_E_NS1_11comp_targetILNS1_3genE3ELNS1_11target_archE908ELNS1_3gpuE7ELNS1_3repE0EEENS1_30default_config_static_selectorELNS0_4arch9wavefront6targetE0EEEvSZ_,@function
_ZN7rocprim17ROCPRIM_400000_NS6detail17trampoline_kernelINS0_13select_configILj256ELj13ELNS0_17block_load_methodE3ELS4_3ELS4_3ELNS0_20block_scan_algorithmE0ELj4294967295EEENS1_25partition_config_selectorILNS1_17partition_subalgoE4EjNS0_10empty_typeEbEEZZNS1_14partition_implILS8_4ELb0ES6_15HIP_vector_typeIjLj2EENS0_17counting_iteratorIjlEEPS9_SG_NS0_5tupleIJPjSI_NS0_16reverse_iteratorISI_EEEEENSH_IJSG_SG_SG_EEES9_SI_JZNS1_25segmented_radix_sort_implINS0_14default_configELb0EPKlPlSQ_SR_N2at6native12_GLOBAL__N_18offset_tEEE10hipError_tPvRmT1_PNSt15iterator_traitsISZ_E10value_typeET2_T3_PNS10_IS15_E10value_typeET4_jRbjT5_S1B_jjP12ihipStream_tbEUljE_ZNSN_ISO_Lb0ESQ_SR_SQ_SR_SV_EESW_SX_SY_SZ_S13_S14_S15_S18_S19_jS1A_jS1B_S1B_jjS1D_bEUljE0_EEESW_SX_SY_S15_S19_S1B_T6_T7_T9_mT8_S1D_bDpT10_ENKUlT_T0_E_clISt17integral_constantIbLb1EES1Q_IbLb0EEEEDaS1M_S1N_EUlS1M_E_NS1_11comp_targetILNS1_3genE3ELNS1_11target_archE908ELNS1_3gpuE7ELNS1_3repE0EEENS1_30default_config_static_selectorELNS0_4arch9wavefront6targetE0EEEvSZ_: ; @_ZN7rocprim17ROCPRIM_400000_NS6detail17trampoline_kernelINS0_13select_configILj256ELj13ELNS0_17block_load_methodE3ELS4_3ELS4_3ELNS0_20block_scan_algorithmE0ELj4294967295EEENS1_25partition_config_selectorILNS1_17partition_subalgoE4EjNS0_10empty_typeEbEEZZNS1_14partition_implILS8_4ELb0ES6_15HIP_vector_typeIjLj2EENS0_17counting_iteratorIjlEEPS9_SG_NS0_5tupleIJPjSI_NS0_16reverse_iteratorISI_EEEEENSH_IJSG_SG_SG_EEES9_SI_JZNS1_25segmented_radix_sort_implINS0_14default_configELb0EPKlPlSQ_SR_N2at6native12_GLOBAL__N_18offset_tEEE10hipError_tPvRmT1_PNSt15iterator_traitsISZ_E10value_typeET2_T3_PNS10_IS15_E10value_typeET4_jRbjT5_S1B_jjP12ihipStream_tbEUljE_ZNSN_ISO_Lb0ESQ_SR_SQ_SR_SV_EESW_SX_SY_SZ_S13_S14_S15_S18_S19_jS1A_jS1B_S1B_jjS1D_bEUljE0_EEESW_SX_SY_S15_S19_S1B_T6_T7_T9_mT8_S1D_bDpT10_ENKUlT_T0_E_clISt17integral_constantIbLb1EES1Q_IbLb0EEEEDaS1M_S1N_EUlS1M_E_NS1_11comp_targetILNS1_3genE3ELNS1_11target_archE908ELNS1_3gpuE7ELNS1_3repE0EEENS1_30default_config_static_selectorELNS0_4arch9wavefront6targetE0EEEvSZ_
; %bb.0:
	.section	.rodata,"a",@progbits
	.p2align	6, 0x0
	.amdhsa_kernel _ZN7rocprim17ROCPRIM_400000_NS6detail17trampoline_kernelINS0_13select_configILj256ELj13ELNS0_17block_load_methodE3ELS4_3ELS4_3ELNS0_20block_scan_algorithmE0ELj4294967295EEENS1_25partition_config_selectorILNS1_17partition_subalgoE4EjNS0_10empty_typeEbEEZZNS1_14partition_implILS8_4ELb0ES6_15HIP_vector_typeIjLj2EENS0_17counting_iteratorIjlEEPS9_SG_NS0_5tupleIJPjSI_NS0_16reverse_iteratorISI_EEEEENSH_IJSG_SG_SG_EEES9_SI_JZNS1_25segmented_radix_sort_implINS0_14default_configELb0EPKlPlSQ_SR_N2at6native12_GLOBAL__N_18offset_tEEE10hipError_tPvRmT1_PNSt15iterator_traitsISZ_E10value_typeET2_T3_PNS10_IS15_E10value_typeET4_jRbjT5_S1B_jjP12ihipStream_tbEUljE_ZNSN_ISO_Lb0ESQ_SR_SQ_SR_SV_EESW_SX_SY_SZ_S13_S14_S15_S18_S19_jS1A_jS1B_S1B_jjS1D_bEUljE0_EEESW_SX_SY_S15_S19_S1B_T6_T7_T9_mT8_S1D_bDpT10_ENKUlT_T0_E_clISt17integral_constantIbLb1EES1Q_IbLb0EEEEDaS1M_S1N_EUlS1M_E_NS1_11comp_targetILNS1_3genE3ELNS1_11target_archE908ELNS1_3gpuE7ELNS1_3repE0EEENS1_30default_config_static_selectorELNS0_4arch9wavefront6targetE0EEEvSZ_
		.amdhsa_group_segment_fixed_size 0
		.amdhsa_private_segment_fixed_size 0
		.amdhsa_kernarg_size 176
		.amdhsa_user_sgpr_count 6
		.amdhsa_user_sgpr_private_segment_buffer 1
		.amdhsa_user_sgpr_dispatch_ptr 0
		.amdhsa_user_sgpr_queue_ptr 0
		.amdhsa_user_sgpr_kernarg_segment_ptr 1
		.amdhsa_user_sgpr_dispatch_id 0
		.amdhsa_user_sgpr_flat_scratch_init 0
		.amdhsa_user_sgpr_private_segment_size 0
		.amdhsa_wavefront_size32 1
		.amdhsa_uses_dynamic_stack 0
		.amdhsa_system_sgpr_private_segment_wavefront_offset 0
		.amdhsa_system_sgpr_workgroup_id_x 1
		.amdhsa_system_sgpr_workgroup_id_y 0
		.amdhsa_system_sgpr_workgroup_id_z 0
		.amdhsa_system_sgpr_workgroup_info 0
		.amdhsa_system_vgpr_workitem_id 0
		.amdhsa_next_free_vgpr 1
		.amdhsa_next_free_sgpr 1
		.amdhsa_reserve_vcc 0
		.amdhsa_reserve_flat_scratch 0
		.amdhsa_float_round_mode_32 0
		.amdhsa_float_round_mode_16_64 0
		.amdhsa_float_denorm_mode_32 3
		.amdhsa_float_denorm_mode_16_64 3
		.amdhsa_dx10_clamp 1
		.amdhsa_ieee_mode 1
		.amdhsa_fp16_overflow 0
		.amdhsa_workgroup_processor_mode 1
		.amdhsa_memory_ordered 1
		.amdhsa_forward_progress 1
		.amdhsa_shared_vgpr_count 0
		.amdhsa_exception_fp_ieee_invalid_op 0
		.amdhsa_exception_fp_denorm_src 0
		.amdhsa_exception_fp_ieee_div_zero 0
		.amdhsa_exception_fp_ieee_overflow 0
		.amdhsa_exception_fp_ieee_underflow 0
		.amdhsa_exception_fp_ieee_inexact 0
		.amdhsa_exception_int_div_zero 0
	.end_amdhsa_kernel
	.section	.text._ZN7rocprim17ROCPRIM_400000_NS6detail17trampoline_kernelINS0_13select_configILj256ELj13ELNS0_17block_load_methodE3ELS4_3ELS4_3ELNS0_20block_scan_algorithmE0ELj4294967295EEENS1_25partition_config_selectorILNS1_17partition_subalgoE4EjNS0_10empty_typeEbEEZZNS1_14partition_implILS8_4ELb0ES6_15HIP_vector_typeIjLj2EENS0_17counting_iteratorIjlEEPS9_SG_NS0_5tupleIJPjSI_NS0_16reverse_iteratorISI_EEEEENSH_IJSG_SG_SG_EEES9_SI_JZNS1_25segmented_radix_sort_implINS0_14default_configELb0EPKlPlSQ_SR_N2at6native12_GLOBAL__N_18offset_tEEE10hipError_tPvRmT1_PNSt15iterator_traitsISZ_E10value_typeET2_T3_PNS10_IS15_E10value_typeET4_jRbjT5_S1B_jjP12ihipStream_tbEUljE_ZNSN_ISO_Lb0ESQ_SR_SQ_SR_SV_EESW_SX_SY_SZ_S13_S14_S15_S18_S19_jS1A_jS1B_S1B_jjS1D_bEUljE0_EEESW_SX_SY_S15_S19_S1B_T6_T7_T9_mT8_S1D_bDpT10_ENKUlT_T0_E_clISt17integral_constantIbLb1EES1Q_IbLb0EEEEDaS1M_S1N_EUlS1M_E_NS1_11comp_targetILNS1_3genE3ELNS1_11target_archE908ELNS1_3gpuE7ELNS1_3repE0EEENS1_30default_config_static_selectorELNS0_4arch9wavefront6targetE0EEEvSZ_,"axG",@progbits,_ZN7rocprim17ROCPRIM_400000_NS6detail17trampoline_kernelINS0_13select_configILj256ELj13ELNS0_17block_load_methodE3ELS4_3ELS4_3ELNS0_20block_scan_algorithmE0ELj4294967295EEENS1_25partition_config_selectorILNS1_17partition_subalgoE4EjNS0_10empty_typeEbEEZZNS1_14partition_implILS8_4ELb0ES6_15HIP_vector_typeIjLj2EENS0_17counting_iteratorIjlEEPS9_SG_NS0_5tupleIJPjSI_NS0_16reverse_iteratorISI_EEEEENSH_IJSG_SG_SG_EEES9_SI_JZNS1_25segmented_radix_sort_implINS0_14default_configELb0EPKlPlSQ_SR_N2at6native12_GLOBAL__N_18offset_tEEE10hipError_tPvRmT1_PNSt15iterator_traitsISZ_E10value_typeET2_T3_PNS10_IS15_E10value_typeET4_jRbjT5_S1B_jjP12ihipStream_tbEUljE_ZNSN_ISO_Lb0ESQ_SR_SQ_SR_SV_EESW_SX_SY_SZ_S13_S14_S15_S18_S19_jS1A_jS1B_S1B_jjS1D_bEUljE0_EEESW_SX_SY_S15_S19_S1B_T6_T7_T9_mT8_S1D_bDpT10_ENKUlT_T0_E_clISt17integral_constantIbLb1EES1Q_IbLb0EEEEDaS1M_S1N_EUlS1M_E_NS1_11comp_targetILNS1_3genE3ELNS1_11target_archE908ELNS1_3gpuE7ELNS1_3repE0EEENS1_30default_config_static_selectorELNS0_4arch9wavefront6targetE0EEEvSZ_,comdat
.Lfunc_end756:
	.size	_ZN7rocprim17ROCPRIM_400000_NS6detail17trampoline_kernelINS0_13select_configILj256ELj13ELNS0_17block_load_methodE3ELS4_3ELS4_3ELNS0_20block_scan_algorithmE0ELj4294967295EEENS1_25partition_config_selectorILNS1_17partition_subalgoE4EjNS0_10empty_typeEbEEZZNS1_14partition_implILS8_4ELb0ES6_15HIP_vector_typeIjLj2EENS0_17counting_iteratorIjlEEPS9_SG_NS0_5tupleIJPjSI_NS0_16reverse_iteratorISI_EEEEENSH_IJSG_SG_SG_EEES9_SI_JZNS1_25segmented_radix_sort_implINS0_14default_configELb0EPKlPlSQ_SR_N2at6native12_GLOBAL__N_18offset_tEEE10hipError_tPvRmT1_PNSt15iterator_traitsISZ_E10value_typeET2_T3_PNS10_IS15_E10value_typeET4_jRbjT5_S1B_jjP12ihipStream_tbEUljE_ZNSN_ISO_Lb0ESQ_SR_SQ_SR_SV_EESW_SX_SY_SZ_S13_S14_S15_S18_S19_jS1A_jS1B_S1B_jjS1D_bEUljE0_EEESW_SX_SY_S15_S19_S1B_T6_T7_T9_mT8_S1D_bDpT10_ENKUlT_T0_E_clISt17integral_constantIbLb1EES1Q_IbLb0EEEEDaS1M_S1N_EUlS1M_E_NS1_11comp_targetILNS1_3genE3ELNS1_11target_archE908ELNS1_3gpuE7ELNS1_3repE0EEENS1_30default_config_static_selectorELNS0_4arch9wavefront6targetE0EEEvSZ_, .Lfunc_end756-_ZN7rocprim17ROCPRIM_400000_NS6detail17trampoline_kernelINS0_13select_configILj256ELj13ELNS0_17block_load_methodE3ELS4_3ELS4_3ELNS0_20block_scan_algorithmE0ELj4294967295EEENS1_25partition_config_selectorILNS1_17partition_subalgoE4EjNS0_10empty_typeEbEEZZNS1_14partition_implILS8_4ELb0ES6_15HIP_vector_typeIjLj2EENS0_17counting_iteratorIjlEEPS9_SG_NS0_5tupleIJPjSI_NS0_16reverse_iteratorISI_EEEEENSH_IJSG_SG_SG_EEES9_SI_JZNS1_25segmented_radix_sort_implINS0_14default_configELb0EPKlPlSQ_SR_N2at6native12_GLOBAL__N_18offset_tEEE10hipError_tPvRmT1_PNSt15iterator_traitsISZ_E10value_typeET2_T3_PNS10_IS15_E10value_typeET4_jRbjT5_S1B_jjP12ihipStream_tbEUljE_ZNSN_ISO_Lb0ESQ_SR_SQ_SR_SV_EESW_SX_SY_SZ_S13_S14_S15_S18_S19_jS1A_jS1B_S1B_jjS1D_bEUljE0_EEESW_SX_SY_S15_S19_S1B_T6_T7_T9_mT8_S1D_bDpT10_ENKUlT_T0_E_clISt17integral_constantIbLb1EES1Q_IbLb0EEEEDaS1M_S1N_EUlS1M_E_NS1_11comp_targetILNS1_3genE3ELNS1_11target_archE908ELNS1_3gpuE7ELNS1_3repE0EEENS1_30default_config_static_selectorELNS0_4arch9wavefront6targetE0EEEvSZ_
                                        ; -- End function
	.set _ZN7rocprim17ROCPRIM_400000_NS6detail17trampoline_kernelINS0_13select_configILj256ELj13ELNS0_17block_load_methodE3ELS4_3ELS4_3ELNS0_20block_scan_algorithmE0ELj4294967295EEENS1_25partition_config_selectorILNS1_17partition_subalgoE4EjNS0_10empty_typeEbEEZZNS1_14partition_implILS8_4ELb0ES6_15HIP_vector_typeIjLj2EENS0_17counting_iteratorIjlEEPS9_SG_NS0_5tupleIJPjSI_NS0_16reverse_iteratorISI_EEEEENSH_IJSG_SG_SG_EEES9_SI_JZNS1_25segmented_radix_sort_implINS0_14default_configELb0EPKlPlSQ_SR_N2at6native12_GLOBAL__N_18offset_tEEE10hipError_tPvRmT1_PNSt15iterator_traitsISZ_E10value_typeET2_T3_PNS10_IS15_E10value_typeET4_jRbjT5_S1B_jjP12ihipStream_tbEUljE_ZNSN_ISO_Lb0ESQ_SR_SQ_SR_SV_EESW_SX_SY_SZ_S13_S14_S15_S18_S19_jS1A_jS1B_S1B_jjS1D_bEUljE0_EEESW_SX_SY_S15_S19_S1B_T6_T7_T9_mT8_S1D_bDpT10_ENKUlT_T0_E_clISt17integral_constantIbLb1EES1Q_IbLb0EEEEDaS1M_S1N_EUlS1M_E_NS1_11comp_targetILNS1_3genE3ELNS1_11target_archE908ELNS1_3gpuE7ELNS1_3repE0EEENS1_30default_config_static_selectorELNS0_4arch9wavefront6targetE0EEEvSZ_.num_vgpr, 0
	.set _ZN7rocprim17ROCPRIM_400000_NS6detail17trampoline_kernelINS0_13select_configILj256ELj13ELNS0_17block_load_methodE3ELS4_3ELS4_3ELNS0_20block_scan_algorithmE0ELj4294967295EEENS1_25partition_config_selectorILNS1_17partition_subalgoE4EjNS0_10empty_typeEbEEZZNS1_14partition_implILS8_4ELb0ES6_15HIP_vector_typeIjLj2EENS0_17counting_iteratorIjlEEPS9_SG_NS0_5tupleIJPjSI_NS0_16reverse_iteratorISI_EEEEENSH_IJSG_SG_SG_EEES9_SI_JZNS1_25segmented_radix_sort_implINS0_14default_configELb0EPKlPlSQ_SR_N2at6native12_GLOBAL__N_18offset_tEEE10hipError_tPvRmT1_PNSt15iterator_traitsISZ_E10value_typeET2_T3_PNS10_IS15_E10value_typeET4_jRbjT5_S1B_jjP12ihipStream_tbEUljE_ZNSN_ISO_Lb0ESQ_SR_SQ_SR_SV_EESW_SX_SY_SZ_S13_S14_S15_S18_S19_jS1A_jS1B_S1B_jjS1D_bEUljE0_EEESW_SX_SY_S15_S19_S1B_T6_T7_T9_mT8_S1D_bDpT10_ENKUlT_T0_E_clISt17integral_constantIbLb1EES1Q_IbLb0EEEEDaS1M_S1N_EUlS1M_E_NS1_11comp_targetILNS1_3genE3ELNS1_11target_archE908ELNS1_3gpuE7ELNS1_3repE0EEENS1_30default_config_static_selectorELNS0_4arch9wavefront6targetE0EEEvSZ_.num_agpr, 0
	.set _ZN7rocprim17ROCPRIM_400000_NS6detail17trampoline_kernelINS0_13select_configILj256ELj13ELNS0_17block_load_methodE3ELS4_3ELS4_3ELNS0_20block_scan_algorithmE0ELj4294967295EEENS1_25partition_config_selectorILNS1_17partition_subalgoE4EjNS0_10empty_typeEbEEZZNS1_14partition_implILS8_4ELb0ES6_15HIP_vector_typeIjLj2EENS0_17counting_iteratorIjlEEPS9_SG_NS0_5tupleIJPjSI_NS0_16reverse_iteratorISI_EEEEENSH_IJSG_SG_SG_EEES9_SI_JZNS1_25segmented_radix_sort_implINS0_14default_configELb0EPKlPlSQ_SR_N2at6native12_GLOBAL__N_18offset_tEEE10hipError_tPvRmT1_PNSt15iterator_traitsISZ_E10value_typeET2_T3_PNS10_IS15_E10value_typeET4_jRbjT5_S1B_jjP12ihipStream_tbEUljE_ZNSN_ISO_Lb0ESQ_SR_SQ_SR_SV_EESW_SX_SY_SZ_S13_S14_S15_S18_S19_jS1A_jS1B_S1B_jjS1D_bEUljE0_EEESW_SX_SY_S15_S19_S1B_T6_T7_T9_mT8_S1D_bDpT10_ENKUlT_T0_E_clISt17integral_constantIbLb1EES1Q_IbLb0EEEEDaS1M_S1N_EUlS1M_E_NS1_11comp_targetILNS1_3genE3ELNS1_11target_archE908ELNS1_3gpuE7ELNS1_3repE0EEENS1_30default_config_static_selectorELNS0_4arch9wavefront6targetE0EEEvSZ_.numbered_sgpr, 0
	.set _ZN7rocprim17ROCPRIM_400000_NS6detail17trampoline_kernelINS0_13select_configILj256ELj13ELNS0_17block_load_methodE3ELS4_3ELS4_3ELNS0_20block_scan_algorithmE0ELj4294967295EEENS1_25partition_config_selectorILNS1_17partition_subalgoE4EjNS0_10empty_typeEbEEZZNS1_14partition_implILS8_4ELb0ES6_15HIP_vector_typeIjLj2EENS0_17counting_iteratorIjlEEPS9_SG_NS0_5tupleIJPjSI_NS0_16reverse_iteratorISI_EEEEENSH_IJSG_SG_SG_EEES9_SI_JZNS1_25segmented_radix_sort_implINS0_14default_configELb0EPKlPlSQ_SR_N2at6native12_GLOBAL__N_18offset_tEEE10hipError_tPvRmT1_PNSt15iterator_traitsISZ_E10value_typeET2_T3_PNS10_IS15_E10value_typeET4_jRbjT5_S1B_jjP12ihipStream_tbEUljE_ZNSN_ISO_Lb0ESQ_SR_SQ_SR_SV_EESW_SX_SY_SZ_S13_S14_S15_S18_S19_jS1A_jS1B_S1B_jjS1D_bEUljE0_EEESW_SX_SY_S15_S19_S1B_T6_T7_T9_mT8_S1D_bDpT10_ENKUlT_T0_E_clISt17integral_constantIbLb1EES1Q_IbLb0EEEEDaS1M_S1N_EUlS1M_E_NS1_11comp_targetILNS1_3genE3ELNS1_11target_archE908ELNS1_3gpuE7ELNS1_3repE0EEENS1_30default_config_static_selectorELNS0_4arch9wavefront6targetE0EEEvSZ_.num_named_barrier, 0
	.set _ZN7rocprim17ROCPRIM_400000_NS6detail17trampoline_kernelINS0_13select_configILj256ELj13ELNS0_17block_load_methodE3ELS4_3ELS4_3ELNS0_20block_scan_algorithmE0ELj4294967295EEENS1_25partition_config_selectorILNS1_17partition_subalgoE4EjNS0_10empty_typeEbEEZZNS1_14partition_implILS8_4ELb0ES6_15HIP_vector_typeIjLj2EENS0_17counting_iteratorIjlEEPS9_SG_NS0_5tupleIJPjSI_NS0_16reverse_iteratorISI_EEEEENSH_IJSG_SG_SG_EEES9_SI_JZNS1_25segmented_radix_sort_implINS0_14default_configELb0EPKlPlSQ_SR_N2at6native12_GLOBAL__N_18offset_tEEE10hipError_tPvRmT1_PNSt15iterator_traitsISZ_E10value_typeET2_T3_PNS10_IS15_E10value_typeET4_jRbjT5_S1B_jjP12ihipStream_tbEUljE_ZNSN_ISO_Lb0ESQ_SR_SQ_SR_SV_EESW_SX_SY_SZ_S13_S14_S15_S18_S19_jS1A_jS1B_S1B_jjS1D_bEUljE0_EEESW_SX_SY_S15_S19_S1B_T6_T7_T9_mT8_S1D_bDpT10_ENKUlT_T0_E_clISt17integral_constantIbLb1EES1Q_IbLb0EEEEDaS1M_S1N_EUlS1M_E_NS1_11comp_targetILNS1_3genE3ELNS1_11target_archE908ELNS1_3gpuE7ELNS1_3repE0EEENS1_30default_config_static_selectorELNS0_4arch9wavefront6targetE0EEEvSZ_.private_seg_size, 0
	.set _ZN7rocprim17ROCPRIM_400000_NS6detail17trampoline_kernelINS0_13select_configILj256ELj13ELNS0_17block_load_methodE3ELS4_3ELS4_3ELNS0_20block_scan_algorithmE0ELj4294967295EEENS1_25partition_config_selectorILNS1_17partition_subalgoE4EjNS0_10empty_typeEbEEZZNS1_14partition_implILS8_4ELb0ES6_15HIP_vector_typeIjLj2EENS0_17counting_iteratorIjlEEPS9_SG_NS0_5tupleIJPjSI_NS0_16reverse_iteratorISI_EEEEENSH_IJSG_SG_SG_EEES9_SI_JZNS1_25segmented_radix_sort_implINS0_14default_configELb0EPKlPlSQ_SR_N2at6native12_GLOBAL__N_18offset_tEEE10hipError_tPvRmT1_PNSt15iterator_traitsISZ_E10value_typeET2_T3_PNS10_IS15_E10value_typeET4_jRbjT5_S1B_jjP12ihipStream_tbEUljE_ZNSN_ISO_Lb0ESQ_SR_SQ_SR_SV_EESW_SX_SY_SZ_S13_S14_S15_S18_S19_jS1A_jS1B_S1B_jjS1D_bEUljE0_EEESW_SX_SY_S15_S19_S1B_T6_T7_T9_mT8_S1D_bDpT10_ENKUlT_T0_E_clISt17integral_constantIbLb1EES1Q_IbLb0EEEEDaS1M_S1N_EUlS1M_E_NS1_11comp_targetILNS1_3genE3ELNS1_11target_archE908ELNS1_3gpuE7ELNS1_3repE0EEENS1_30default_config_static_selectorELNS0_4arch9wavefront6targetE0EEEvSZ_.uses_vcc, 0
	.set _ZN7rocprim17ROCPRIM_400000_NS6detail17trampoline_kernelINS0_13select_configILj256ELj13ELNS0_17block_load_methodE3ELS4_3ELS4_3ELNS0_20block_scan_algorithmE0ELj4294967295EEENS1_25partition_config_selectorILNS1_17partition_subalgoE4EjNS0_10empty_typeEbEEZZNS1_14partition_implILS8_4ELb0ES6_15HIP_vector_typeIjLj2EENS0_17counting_iteratorIjlEEPS9_SG_NS0_5tupleIJPjSI_NS0_16reverse_iteratorISI_EEEEENSH_IJSG_SG_SG_EEES9_SI_JZNS1_25segmented_radix_sort_implINS0_14default_configELb0EPKlPlSQ_SR_N2at6native12_GLOBAL__N_18offset_tEEE10hipError_tPvRmT1_PNSt15iterator_traitsISZ_E10value_typeET2_T3_PNS10_IS15_E10value_typeET4_jRbjT5_S1B_jjP12ihipStream_tbEUljE_ZNSN_ISO_Lb0ESQ_SR_SQ_SR_SV_EESW_SX_SY_SZ_S13_S14_S15_S18_S19_jS1A_jS1B_S1B_jjS1D_bEUljE0_EEESW_SX_SY_S15_S19_S1B_T6_T7_T9_mT8_S1D_bDpT10_ENKUlT_T0_E_clISt17integral_constantIbLb1EES1Q_IbLb0EEEEDaS1M_S1N_EUlS1M_E_NS1_11comp_targetILNS1_3genE3ELNS1_11target_archE908ELNS1_3gpuE7ELNS1_3repE0EEENS1_30default_config_static_selectorELNS0_4arch9wavefront6targetE0EEEvSZ_.uses_flat_scratch, 0
	.set _ZN7rocprim17ROCPRIM_400000_NS6detail17trampoline_kernelINS0_13select_configILj256ELj13ELNS0_17block_load_methodE3ELS4_3ELS4_3ELNS0_20block_scan_algorithmE0ELj4294967295EEENS1_25partition_config_selectorILNS1_17partition_subalgoE4EjNS0_10empty_typeEbEEZZNS1_14partition_implILS8_4ELb0ES6_15HIP_vector_typeIjLj2EENS0_17counting_iteratorIjlEEPS9_SG_NS0_5tupleIJPjSI_NS0_16reverse_iteratorISI_EEEEENSH_IJSG_SG_SG_EEES9_SI_JZNS1_25segmented_radix_sort_implINS0_14default_configELb0EPKlPlSQ_SR_N2at6native12_GLOBAL__N_18offset_tEEE10hipError_tPvRmT1_PNSt15iterator_traitsISZ_E10value_typeET2_T3_PNS10_IS15_E10value_typeET4_jRbjT5_S1B_jjP12ihipStream_tbEUljE_ZNSN_ISO_Lb0ESQ_SR_SQ_SR_SV_EESW_SX_SY_SZ_S13_S14_S15_S18_S19_jS1A_jS1B_S1B_jjS1D_bEUljE0_EEESW_SX_SY_S15_S19_S1B_T6_T7_T9_mT8_S1D_bDpT10_ENKUlT_T0_E_clISt17integral_constantIbLb1EES1Q_IbLb0EEEEDaS1M_S1N_EUlS1M_E_NS1_11comp_targetILNS1_3genE3ELNS1_11target_archE908ELNS1_3gpuE7ELNS1_3repE0EEENS1_30default_config_static_selectorELNS0_4arch9wavefront6targetE0EEEvSZ_.has_dyn_sized_stack, 0
	.set _ZN7rocprim17ROCPRIM_400000_NS6detail17trampoline_kernelINS0_13select_configILj256ELj13ELNS0_17block_load_methodE3ELS4_3ELS4_3ELNS0_20block_scan_algorithmE0ELj4294967295EEENS1_25partition_config_selectorILNS1_17partition_subalgoE4EjNS0_10empty_typeEbEEZZNS1_14partition_implILS8_4ELb0ES6_15HIP_vector_typeIjLj2EENS0_17counting_iteratorIjlEEPS9_SG_NS0_5tupleIJPjSI_NS0_16reverse_iteratorISI_EEEEENSH_IJSG_SG_SG_EEES9_SI_JZNS1_25segmented_radix_sort_implINS0_14default_configELb0EPKlPlSQ_SR_N2at6native12_GLOBAL__N_18offset_tEEE10hipError_tPvRmT1_PNSt15iterator_traitsISZ_E10value_typeET2_T3_PNS10_IS15_E10value_typeET4_jRbjT5_S1B_jjP12ihipStream_tbEUljE_ZNSN_ISO_Lb0ESQ_SR_SQ_SR_SV_EESW_SX_SY_SZ_S13_S14_S15_S18_S19_jS1A_jS1B_S1B_jjS1D_bEUljE0_EEESW_SX_SY_S15_S19_S1B_T6_T7_T9_mT8_S1D_bDpT10_ENKUlT_T0_E_clISt17integral_constantIbLb1EES1Q_IbLb0EEEEDaS1M_S1N_EUlS1M_E_NS1_11comp_targetILNS1_3genE3ELNS1_11target_archE908ELNS1_3gpuE7ELNS1_3repE0EEENS1_30default_config_static_selectorELNS0_4arch9wavefront6targetE0EEEvSZ_.has_recursion, 0
	.set _ZN7rocprim17ROCPRIM_400000_NS6detail17trampoline_kernelINS0_13select_configILj256ELj13ELNS0_17block_load_methodE3ELS4_3ELS4_3ELNS0_20block_scan_algorithmE0ELj4294967295EEENS1_25partition_config_selectorILNS1_17partition_subalgoE4EjNS0_10empty_typeEbEEZZNS1_14partition_implILS8_4ELb0ES6_15HIP_vector_typeIjLj2EENS0_17counting_iteratorIjlEEPS9_SG_NS0_5tupleIJPjSI_NS0_16reverse_iteratorISI_EEEEENSH_IJSG_SG_SG_EEES9_SI_JZNS1_25segmented_radix_sort_implINS0_14default_configELb0EPKlPlSQ_SR_N2at6native12_GLOBAL__N_18offset_tEEE10hipError_tPvRmT1_PNSt15iterator_traitsISZ_E10value_typeET2_T3_PNS10_IS15_E10value_typeET4_jRbjT5_S1B_jjP12ihipStream_tbEUljE_ZNSN_ISO_Lb0ESQ_SR_SQ_SR_SV_EESW_SX_SY_SZ_S13_S14_S15_S18_S19_jS1A_jS1B_S1B_jjS1D_bEUljE0_EEESW_SX_SY_S15_S19_S1B_T6_T7_T9_mT8_S1D_bDpT10_ENKUlT_T0_E_clISt17integral_constantIbLb1EES1Q_IbLb0EEEEDaS1M_S1N_EUlS1M_E_NS1_11comp_targetILNS1_3genE3ELNS1_11target_archE908ELNS1_3gpuE7ELNS1_3repE0EEENS1_30default_config_static_selectorELNS0_4arch9wavefront6targetE0EEEvSZ_.has_indirect_call, 0
	.section	.AMDGPU.csdata,"",@progbits
; Kernel info:
; codeLenInByte = 0
; TotalNumSgprs: 0
; NumVgprs: 0
; ScratchSize: 0
; MemoryBound: 0
; FloatMode: 240
; IeeeMode: 1
; LDSByteSize: 0 bytes/workgroup (compile time only)
; SGPRBlocks: 0
; VGPRBlocks: 0
; NumSGPRsForWavesPerEU: 1
; NumVGPRsForWavesPerEU: 1
; Occupancy: 16
; WaveLimiterHint : 0
; COMPUTE_PGM_RSRC2:SCRATCH_EN: 0
; COMPUTE_PGM_RSRC2:USER_SGPR: 6
; COMPUTE_PGM_RSRC2:TRAP_HANDLER: 0
; COMPUTE_PGM_RSRC2:TGID_X_EN: 1
; COMPUTE_PGM_RSRC2:TGID_Y_EN: 0
; COMPUTE_PGM_RSRC2:TGID_Z_EN: 0
; COMPUTE_PGM_RSRC2:TIDIG_COMP_CNT: 0
	.section	.text._ZN7rocprim17ROCPRIM_400000_NS6detail17trampoline_kernelINS0_13select_configILj256ELj13ELNS0_17block_load_methodE3ELS4_3ELS4_3ELNS0_20block_scan_algorithmE0ELj4294967295EEENS1_25partition_config_selectorILNS1_17partition_subalgoE4EjNS0_10empty_typeEbEEZZNS1_14partition_implILS8_4ELb0ES6_15HIP_vector_typeIjLj2EENS0_17counting_iteratorIjlEEPS9_SG_NS0_5tupleIJPjSI_NS0_16reverse_iteratorISI_EEEEENSH_IJSG_SG_SG_EEES9_SI_JZNS1_25segmented_radix_sort_implINS0_14default_configELb0EPKlPlSQ_SR_N2at6native12_GLOBAL__N_18offset_tEEE10hipError_tPvRmT1_PNSt15iterator_traitsISZ_E10value_typeET2_T3_PNS10_IS15_E10value_typeET4_jRbjT5_S1B_jjP12ihipStream_tbEUljE_ZNSN_ISO_Lb0ESQ_SR_SQ_SR_SV_EESW_SX_SY_SZ_S13_S14_S15_S18_S19_jS1A_jS1B_S1B_jjS1D_bEUljE0_EEESW_SX_SY_S15_S19_S1B_T6_T7_T9_mT8_S1D_bDpT10_ENKUlT_T0_E_clISt17integral_constantIbLb1EES1Q_IbLb0EEEEDaS1M_S1N_EUlS1M_E_NS1_11comp_targetILNS1_3genE2ELNS1_11target_archE906ELNS1_3gpuE6ELNS1_3repE0EEENS1_30default_config_static_selectorELNS0_4arch9wavefront6targetE0EEEvSZ_,"axG",@progbits,_ZN7rocprim17ROCPRIM_400000_NS6detail17trampoline_kernelINS0_13select_configILj256ELj13ELNS0_17block_load_methodE3ELS4_3ELS4_3ELNS0_20block_scan_algorithmE0ELj4294967295EEENS1_25partition_config_selectorILNS1_17partition_subalgoE4EjNS0_10empty_typeEbEEZZNS1_14partition_implILS8_4ELb0ES6_15HIP_vector_typeIjLj2EENS0_17counting_iteratorIjlEEPS9_SG_NS0_5tupleIJPjSI_NS0_16reverse_iteratorISI_EEEEENSH_IJSG_SG_SG_EEES9_SI_JZNS1_25segmented_radix_sort_implINS0_14default_configELb0EPKlPlSQ_SR_N2at6native12_GLOBAL__N_18offset_tEEE10hipError_tPvRmT1_PNSt15iterator_traitsISZ_E10value_typeET2_T3_PNS10_IS15_E10value_typeET4_jRbjT5_S1B_jjP12ihipStream_tbEUljE_ZNSN_ISO_Lb0ESQ_SR_SQ_SR_SV_EESW_SX_SY_SZ_S13_S14_S15_S18_S19_jS1A_jS1B_S1B_jjS1D_bEUljE0_EEESW_SX_SY_S15_S19_S1B_T6_T7_T9_mT8_S1D_bDpT10_ENKUlT_T0_E_clISt17integral_constantIbLb1EES1Q_IbLb0EEEEDaS1M_S1N_EUlS1M_E_NS1_11comp_targetILNS1_3genE2ELNS1_11target_archE906ELNS1_3gpuE6ELNS1_3repE0EEENS1_30default_config_static_selectorELNS0_4arch9wavefront6targetE0EEEvSZ_,comdat
	.globl	_ZN7rocprim17ROCPRIM_400000_NS6detail17trampoline_kernelINS0_13select_configILj256ELj13ELNS0_17block_load_methodE3ELS4_3ELS4_3ELNS0_20block_scan_algorithmE0ELj4294967295EEENS1_25partition_config_selectorILNS1_17partition_subalgoE4EjNS0_10empty_typeEbEEZZNS1_14partition_implILS8_4ELb0ES6_15HIP_vector_typeIjLj2EENS0_17counting_iteratorIjlEEPS9_SG_NS0_5tupleIJPjSI_NS0_16reverse_iteratorISI_EEEEENSH_IJSG_SG_SG_EEES9_SI_JZNS1_25segmented_radix_sort_implINS0_14default_configELb0EPKlPlSQ_SR_N2at6native12_GLOBAL__N_18offset_tEEE10hipError_tPvRmT1_PNSt15iterator_traitsISZ_E10value_typeET2_T3_PNS10_IS15_E10value_typeET4_jRbjT5_S1B_jjP12ihipStream_tbEUljE_ZNSN_ISO_Lb0ESQ_SR_SQ_SR_SV_EESW_SX_SY_SZ_S13_S14_S15_S18_S19_jS1A_jS1B_S1B_jjS1D_bEUljE0_EEESW_SX_SY_S15_S19_S1B_T6_T7_T9_mT8_S1D_bDpT10_ENKUlT_T0_E_clISt17integral_constantIbLb1EES1Q_IbLb0EEEEDaS1M_S1N_EUlS1M_E_NS1_11comp_targetILNS1_3genE2ELNS1_11target_archE906ELNS1_3gpuE6ELNS1_3repE0EEENS1_30default_config_static_selectorELNS0_4arch9wavefront6targetE0EEEvSZ_ ; -- Begin function _ZN7rocprim17ROCPRIM_400000_NS6detail17trampoline_kernelINS0_13select_configILj256ELj13ELNS0_17block_load_methodE3ELS4_3ELS4_3ELNS0_20block_scan_algorithmE0ELj4294967295EEENS1_25partition_config_selectorILNS1_17partition_subalgoE4EjNS0_10empty_typeEbEEZZNS1_14partition_implILS8_4ELb0ES6_15HIP_vector_typeIjLj2EENS0_17counting_iteratorIjlEEPS9_SG_NS0_5tupleIJPjSI_NS0_16reverse_iteratorISI_EEEEENSH_IJSG_SG_SG_EEES9_SI_JZNS1_25segmented_radix_sort_implINS0_14default_configELb0EPKlPlSQ_SR_N2at6native12_GLOBAL__N_18offset_tEEE10hipError_tPvRmT1_PNSt15iterator_traitsISZ_E10value_typeET2_T3_PNS10_IS15_E10value_typeET4_jRbjT5_S1B_jjP12ihipStream_tbEUljE_ZNSN_ISO_Lb0ESQ_SR_SQ_SR_SV_EESW_SX_SY_SZ_S13_S14_S15_S18_S19_jS1A_jS1B_S1B_jjS1D_bEUljE0_EEESW_SX_SY_S15_S19_S1B_T6_T7_T9_mT8_S1D_bDpT10_ENKUlT_T0_E_clISt17integral_constantIbLb1EES1Q_IbLb0EEEEDaS1M_S1N_EUlS1M_E_NS1_11comp_targetILNS1_3genE2ELNS1_11target_archE906ELNS1_3gpuE6ELNS1_3repE0EEENS1_30default_config_static_selectorELNS0_4arch9wavefront6targetE0EEEvSZ_
	.p2align	8
	.type	_ZN7rocprim17ROCPRIM_400000_NS6detail17trampoline_kernelINS0_13select_configILj256ELj13ELNS0_17block_load_methodE3ELS4_3ELS4_3ELNS0_20block_scan_algorithmE0ELj4294967295EEENS1_25partition_config_selectorILNS1_17partition_subalgoE4EjNS0_10empty_typeEbEEZZNS1_14partition_implILS8_4ELb0ES6_15HIP_vector_typeIjLj2EENS0_17counting_iteratorIjlEEPS9_SG_NS0_5tupleIJPjSI_NS0_16reverse_iteratorISI_EEEEENSH_IJSG_SG_SG_EEES9_SI_JZNS1_25segmented_radix_sort_implINS0_14default_configELb0EPKlPlSQ_SR_N2at6native12_GLOBAL__N_18offset_tEEE10hipError_tPvRmT1_PNSt15iterator_traitsISZ_E10value_typeET2_T3_PNS10_IS15_E10value_typeET4_jRbjT5_S1B_jjP12ihipStream_tbEUljE_ZNSN_ISO_Lb0ESQ_SR_SQ_SR_SV_EESW_SX_SY_SZ_S13_S14_S15_S18_S19_jS1A_jS1B_S1B_jjS1D_bEUljE0_EEESW_SX_SY_S15_S19_S1B_T6_T7_T9_mT8_S1D_bDpT10_ENKUlT_T0_E_clISt17integral_constantIbLb1EES1Q_IbLb0EEEEDaS1M_S1N_EUlS1M_E_NS1_11comp_targetILNS1_3genE2ELNS1_11target_archE906ELNS1_3gpuE6ELNS1_3repE0EEENS1_30default_config_static_selectorELNS0_4arch9wavefront6targetE0EEEvSZ_,@function
_ZN7rocprim17ROCPRIM_400000_NS6detail17trampoline_kernelINS0_13select_configILj256ELj13ELNS0_17block_load_methodE3ELS4_3ELS4_3ELNS0_20block_scan_algorithmE0ELj4294967295EEENS1_25partition_config_selectorILNS1_17partition_subalgoE4EjNS0_10empty_typeEbEEZZNS1_14partition_implILS8_4ELb0ES6_15HIP_vector_typeIjLj2EENS0_17counting_iteratorIjlEEPS9_SG_NS0_5tupleIJPjSI_NS0_16reverse_iteratorISI_EEEEENSH_IJSG_SG_SG_EEES9_SI_JZNS1_25segmented_radix_sort_implINS0_14default_configELb0EPKlPlSQ_SR_N2at6native12_GLOBAL__N_18offset_tEEE10hipError_tPvRmT1_PNSt15iterator_traitsISZ_E10value_typeET2_T3_PNS10_IS15_E10value_typeET4_jRbjT5_S1B_jjP12ihipStream_tbEUljE_ZNSN_ISO_Lb0ESQ_SR_SQ_SR_SV_EESW_SX_SY_SZ_S13_S14_S15_S18_S19_jS1A_jS1B_S1B_jjS1D_bEUljE0_EEESW_SX_SY_S15_S19_S1B_T6_T7_T9_mT8_S1D_bDpT10_ENKUlT_T0_E_clISt17integral_constantIbLb1EES1Q_IbLb0EEEEDaS1M_S1N_EUlS1M_E_NS1_11comp_targetILNS1_3genE2ELNS1_11target_archE906ELNS1_3gpuE6ELNS1_3repE0EEENS1_30default_config_static_selectorELNS0_4arch9wavefront6targetE0EEEvSZ_: ; @_ZN7rocprim17ROCPRIM_400000_NS6detail17trampoline_kernelINS0_13select_configILj256ELj13ELNS0_17block_load_methodE3ELS4_3ELS4_3ELNS0_20block_scan_algorithmE0ELj4294967295EEENS1_25partition_config_selectorILNS1_17partition_subalgoE4EjNS0_10empty_typeEbEEZZNS1_14partition_implILS8_4ELb0ES6_15HIP_vector_typeIjLj2EENS0_17counting_iteratorIjlEEPS9_SG_NS0_5tupleIJPjSI_NS0_16reverse_iteratorISI_EEEEENSH_IJSG_SG_SG_EEES9_SI_JZNS1_25segmented_radix_sort_implINS0_14default_configELb0EPKlPlSQ_SR_N2at6native12_GLOBAL__N_18offset_tEEE10hipError_tPvRmT1_PNSt15iterator_traitsISZ_E10value_typeET2_T3_PNS10_IS15_E10value_typeET4_jRbjT5_S1B_jjP12ihipStream_tbEUljE_ZNSN_ISO_Lb0ESQ_SR_SQ_SR_SV_EESW_SX_SY_SZ_S13_S14_S15_S18_S19_jS1A_jS1B_S1B_jjS1D_bEUljE0_EEESW_SX_SY_S15_S19_S1B_T6_T7_T9_mT8_S1D_bDpT10_ENKUlT_T0_E_clISt17integral_constantIbLb1EES1Q_IbLb0EEEEDaS1M_S1N_EUlS1M_E_NS1_11comp_targetILNS1_3genE2ELNS1_11target_archE906ELNS1_3gpuE6ELNS1_3repE0EEENS1_30default_config_static_selectorELNS0_4arch9wavefront6targetE0EEEvSZ_
; %bb.0:
	.section	.rodata,"a",@progbits
	.p2align	6, 0x0
	.amdhsa_kernel _ZN7rocprim17ROCPRIM_400000_NS6detail17trampoline_kernelINS0_13select_configILj256ELj13ELNS0_17block_load_methodE3ELS4_3ELS4_3ELNS0_20block_scan_algorithmE0ELj4294967295EEENS1_25partition_config_selectorILNS1_17partition_subalgoE4EjNS0_10empty_typeEbEEZZNS1_14partition_implILS8_4ELb0ES6_15HIP_vector_typeIjLj2EENS0_17counting_iteratorIjlEEPS9_SG_NS0_5tupleIJPjSI_NS0_16reverse_iteratorISI_EEEEENSH_IJSG_SG_SG_EEES9_SI_JZNS1_25segmented_radix_sort_implINS0_14default_configELb0EPKlPlSQ_SR_N2at6native12_GLOBAL__N_18offset_tEEE10hipError_tPvRmT1_PNSt15iterator_traitsISZ_E10value_typeET2_T3_PNS10_IS15_E10value_typeET4_jRbjT5_S1B_jjP12ihipStream_tbEUljE_ZNSN_ISO_Lb0ESQ_SR_SQ_SR_SV_EESW_SX_SY_SZ_S13_S14_S15_S18_S19_jS1A_jS1B_S1B_jjS1D_bEUljE0_EEESW_SX_SY_S15_S19_S1B_T6_T7_T9_mT8_S1D_bDpT10_ENKUlT_T0_E_clISt17integral_constantIbLb1EES1Q_IbLb0EEEEDaS1M_S1N_EUlS1M_E_NS1_11comp_targetILNS1_3genE2ELNS1_11target_archE906ELNS1_3gpuE6ELNS1_3repE0EEENS1_30default_config_static_selectorELNS0_4arch9wavefront6targetE0EEEvSZ_
		.amdhsa_group_segment_fixed_size 0
		.amdhsa_private_segment_fixed_size 0
		.amdhsa_kernarg_size 176
		.amdhsa_user_sgpr_count 6
		.amdhsa_user_sgpr_private_segment_buffer 1
		.amdhsa_user_sgpr_dispatch_ptr 0
		.amdhsa_user_sgpr_queue_ptr 0
		.amdhsa_user_sgpr_kernarg_segment_ptr 1
		.amdhsa_user_sgpr_dispatch_id 0
		.amdhsa_user_sgpr_flat_scratch_init 0
		.amdhsa_user_sgpr_private_segment_size 0
		.amdhsa_wavefront_size32 1
		.amdhsa_uses_dynamic_stack 0
		.amdhsa_system_sgpr_private_segment_wavefront_offset 0
		.amdhsa_system_sgpr_workgroup_id_x 1
		.amdhsa_system_sgpr_workgroup_id_y 0
		.amdhsa_system_sgpr_workgroup_id_z 0
		.amdhsa_system_sgpr_workgroup_info 0
		.amdhsa_system_vgpr_workitem_id 0
		.amdhsa_next_free_vgpr 1
		.amdhsa_next_free_sgpr 1
		.amdhsa_reserve_vcc 0
		.amdhsa_reserve_flat_scratch 0
		.amdhsa_float_round_mode_32 0
		.amdhsa_float_round_mode_16_64 0
		.amdhsa_float_denorm_mode_32 3
		.amdhsa_float_denorm_mode_16_64 3
		.amdhsa_dx10_clamp 1
		.amdhsa_ieee_mode 1
		.amdhsa_fp16_overflow 0
		.amdhsa_workgroup_processor_mode 1
		.amdhsa_memory_ordered 1
		.amdhsa_forward_progress 1
		.amdhsa_shared_vgpr_count 0
		.amdhsa_exception_fp_ieee_invalid_op 0
		.amdhsa_exception_fp_denorm_src 0
		.amdhsa_exception_fp_ieee_div_zero 0
		.amdhsa_exception_fp_ieee_overflow 0
		.amdhsa_exception_fp_ieee_underflow 0
		.amdhsa_exception_fp_ieee_inexact 0
		.amdhsa_exception_int_div_zero 0
	.end_amdhsa_kernel
	.section	.text._ZN7rocprim17ROCPRIM_400000_NS6detail17trampoline_kernelINS0_13select_configILj256ELj13ELNS0_17block_load_methodE3ELS4_3ELS4_3ELNS0_20block_scan_algorithmE0ELj4294967295EEENS1_25partition_config_selectorILNS1_17partition_subalgoE4EjNS0_10empty_typeEbEEZZNS1_14partition_implILS8_4ELb0ES6_15HIP_vector_typeIjLj2EENS0_17counting_iteratorIjlEEPS9_SG_NS0_5tupleIJPjSI_NS0_16reverse_iteratorISI_EEEEENSH_IJSG_SG_SG_EEES9_SI_JZNS1_25segmented_radix_sort_implINS0_14default_configELb0EPKlPlSQ_SR_N2at6native12_GLOBAL__N_18offset_tEEE10hipError_tPvRmT1_PNSt15iterator_traitsISZ_E10value_typeET2_T3_PNS10_IS15_E10value_typeET4_jRbjT5_S1B_jjP12ihipStream_tbEUljE_ZNSN_ISO_Lb0ESQ_SR_SQ_SR_SV_EESW_SX_SY_SZ_S13_S14_S15_S18_S19_jS1A_jS1B_S1B_jjS1D_bEUljE0_EEESW_SX_SY_S15_S19_S1B_T6_T7_T9_mT8_S1D_bDpT10_ENKUlT_T0_E_clISt17integral_constantIbLb1EES1Q_IbLb0EEEEDaS1M_S1N_EUlS1M_E_NS1_11comp_targetILNS1_3genE2ELNS1_11target_archE906ELNS1_3gpuE6ELNS1_3repE0EEENS1_30default_config_static_selectorELNS0_4arch9wavefront6targetE0EEEvSZ_,"axG",@progbits,_ZN7rocprim17ROCPRIM_400000_NS6detail17trampoline_kernelINS0_13select_configILj256ELj13ELNS0_17block_load_methodE3ELS4_3ELS4_3ELNS0_20block_scan_algorithmE0ELj4294967295EEENS1_25partition_config_selectorILNS1_17partition_subalgoE4EjNS0_10empty_typeEbEEZZNS1_14partition_implILS8_4ELb0ES6_15HIP_vector_typeIjLj2EENS0_17counting_iteratorIjlEEPS9_SG_NS0_5tupleIJPjSI_NS0_16reverse_iteratorISI_EEEEENSH_IJSG_SG_SG_EEES9_SI_JZNS1_25segmented_radix_sort_implINS0_14default_configELb0EPKlPlSQ_SR_N2at6native12_GLOBAL__N_18offset_tEEE10hipError_tPvRmT1_PNSt15iterator_traitsISZ_E10value_typeET2_T3_PNS10_IS15_E10value_typeET4_jRbjT5_S1B_jjP12ihipStream_tbEUljE_ZNSN_ISO_Lb0ESQ_SR_SQ_SR_SV_EESW_SX_SY_SZ_S13_S14_S15_S18_S19_jS1A_jS1B_S1B_jjS1D_bEUljE0_EEESW_SX_SY_S15_S19_S1B_T6_T7_T9_mT8_S1D_bDpT10_ENKUlT_T0_E_clISt17integral_constantIbLb1EES1Q_IbLb0EEEEDaS1M_S1N_EUlS1M_E_NS1_11comp_targetILNS1_3genE2ELNS1_11target_archE906ELNS1_3gpuE6ELNS1_3repE0EEENS1_30default_config_static_selectorELNS0_4arch9wavefront6targetE0EEEvSZ_,comdat
.Lfunc_end757:
	.size	_ZN7rocprim17ROCPRIM_400000_NS6detail17trampoline_kernelINS0_13select_configILj256ELj13ELNS0_17block_load_methodE3ELS4_3ELS4_3ELNS0_20block_scan_algorithmE0ELj4294967295EEENS1_25partition_config_selectorILNS1_17partition_subalgoE4EjNS0_10empty_typeEbEEZZNS1_14partition_implILS8_4ELb0ES6_15HIP_vector_typeIjLj2EENS0_17counting_iteratorIjlEEPS9_SG_NS0_5tupleIJPjSI_NS0_16reverse_iteratorISI_EEEEENSH_IJSG_SG_SG_EEES9_SI_JZNS1_25segmented_radix_sort_implINS0_14default_configELb0EPKlPlSQ_SR_N2at6native12_GLOBAL__N_18offset_tEEE10hipError_tPvRmT1_PNSt15iterator_traitsISZ_E10value_typeET2_T3_PNS10_IS15_E10value_typeET4_jRbjT5_S1B_jjP12ihipStream_tbEUljE_ZNSN_ISO_Lb0ESQ_SR_SQ_SR_SV_EESW_SX_SY_SZ_S13_S14_S15_S18_S19_jS1A_jS1B_S1B_jjS1D_bEUljE0_EEESW_SX_SY_S15_S19_S1B_T6_T7_T9_mT8_S1D_bDpT10_ENKUlT_T0_E_clISt17integral_constantIbLb1EES1Q_IbLb0EEEEDaS1M_S1N_EUlS1M_E_NS1_11comp_targetILNS1_3genE2ELNS1_11target_archE906ELNS1_3gpuE6ELNS1_3repE0EEENS1_30default_config_static_selectorELNS0_4arch9wavefront6targetE0EEEvSZ_, .Lfunc_end757-_ZN7rocprim17ROCPRIM_400000_NS6detail17trampoline_kernelINS0_13select_configILj256ELj13ELNS0_17block_load_methodE3ELS4_3ELS4_3ELNS0_20block_scan_algorithmE0ELj4294967295EEENS1_25partition_config_selectorILNS1_17partition_subalgoE4EjNS0_10empty_typeEbEEZZNS1_14partition_implILS8_4ELb0ES6_15HIP_vector_typeIjLj2EENS0_17counting_iteratorIjlEEPS9_SG_NS0_5tupleIJPjSI_NS0_16reverse_iteratorISI_EEEEENSH_IJSG_SG_SG_EEES9_SI_JZNS1_25segmented_radix_sort_implINS0_14default_configELb0EPKlPlSQ_SR_N2at6native12_GLOBAL__N_18offset_tEEE10hipError_tPvRmT1_PNSt15iterator_traitsISZ_E10value_typeET2_T3_PNS10_IS15_E10value_typeET4_jRbjT5_S1B_jjP12ihipStream_tbEUljE_ZNSN_ISO_Lb0ESQ_SR_SQ_SR_SV_EESW_SX_SY_SZ_S13_S14_S15_S18_S19_jS1A_jS1B_S1B_jjS1D_bEUljE0_EEESW_SX_SY_S15_S19_S1B_T6_T7_T9_mT8_S1D_bDpT10_ENKUlT_T0_E_clISt17integral_constantIbLb1EES1Q_IbLb0EEEEDaS1M_S1N_EUlS1M_E_NS1_11comp_targetILNS1_3genE2ELNS1_11target_archE906ELNS1_3gpuE6ELNS1_3repE0EEENS1_30default_config_static_selectorELNS0_4arch9wavefront6targetE0EEEvSZ_
                                        ; -- End function
	.set _ZN7rocprim17ROCPRIM_400000_NS6detail17trampoline_kernelINS0_13select_configILj256ELj13ELNS0_17block_load_methodE3ELS4_3ELS4_3ELNS0_20block_scan_algorithmE0ELj4294967295EEENS1_25partition_config_selectorILNS1_17partition_subalgoE4EjNS0_10empty_typeEbEEZZNS1_14partition_implILS8_4ELb0ES6_15HIP_vector_typeIjLj2EENS0_17counting_iteratorIjlEEPS9_SG_NS0_5tupleIJPjSI_NS0_16reverse_iteratorISI_EEEEENSH_IJSG_SG_SG_EEES9_SI_JZNS1_25segmented_radix_sort_implINS0_14default_configELb0EPKlPlSQ_SR_N2at6native12_GLOBAL__N_18offset_tEEE10hipError_tPvRmT1_PNSt15iterator_traitsISZ_E10value_typeET2_T3_PNS10_IS15_E10value_typeET4_jRbjT5_S1B_jjP12ihipStream_tbEUljE_ZNSN_ISO_Lb0ESQ_SR_SQ_SR_SV_EESW_SX_SY_SZ_S13_S14_S15_S18_S19_jS1A_jS1B_S1B_jjS1D_bEUljE0_EEESW_SX_SY_S15_S19_S1B_T6_T7_T9_mT8_S1D_bDpT10_ENKUlT_T0_E_clISt17integral_constantIbLb1EES1Q_IbLb0EEEEDaS1M_S1N_EUlS1M_E_NS1_11comp_targetILNS1_3genE2ELNS1_11target_archE906ELNS1_3gpuE6ELNS1_3repE0EEENS1_30default_config_static_selectorELNS0_4arch9wavefront6targetE0EEEvSZ_.num_vgpr, 0
	.set _ZN7rocprim17ROCPRIM_400000_NS6detail17trampoline_kernelINS0_13select_configILj256ELj13ELNS0_17block_load_methodE3ELS4_3ELS4_3ELNS0_20block_scan_algorithmE0ELj4294967295EEENS1_25partition_config_selectorILNS1_17partition_subalgoE4EjNS0_10empty_typeEbEEZZNS1_14partition_implILS8_4ELb0ES6_15HIP_vector_typeIjLj2EENS0_17counting_iteratorIjlEEPS9_SG_NS0_5tupleIJPjSI_NS0_16reverse_iteratorISI_EEEEENSH_IJSG_SG_SG_EEES9_SI_JZNS1_25segmented_radix_sort_implINS0_14default_configELb0EPKlPlSQ_SR_N2at6native12_GLOBAL__N_18offset_tEEE10hipError_tPvRmT1_PNSt15iterator_traitsISZ_E10value_typeET2_T3_PNS10_IS15_E10value_typeET4_jRbjT5_S1B_jjP12ihipStream_tbEUljE_ZNSN_ISO_Lb0ESQ_SR_SQ_SR_SV_EESW_SX_SY_SZ_S13_S14_S15_S18_S19_jS1A_jS1B_S1B_jjS1D_bEUljE0_EEESW_SX_SY_S15_S19_S1B_T6_T7_T9_mT8_S1D_bDpT10_ENKUlT_T0_E_clISt17integral_constantIbLb1EES1Q_IbLb0EEEEDaS1M_S1N_EUlS1M_E_NS1_11comp_targetILNS1_3genE2ELNS1_11target_archE906ELNS1_3gpuE6ELNS1_3repE0EEENS1_30default_config_static_selectorELNS0_4arch9wavefront6targetE0EEEvSZ_.num_agpr, 0
	.set _ZN7rocprim17ROCPRIM_400000_NS6detail17trampoline_kernelINS0_13select_configILj256ELj13ELNS0_17block_load_methodE3ELS4_3ELS4_3ELNS0_20block_scan_algorithmE0ELj4294967295EEENS1_25partition_config_selectorILNS1_17partition_subalgoE4EjNS0_10empty_typeEbEEZZNS1_14partition_implILS8_4ELb0ES6_15HIP_vector_typeIjLj2EENS0_17counting_iteratorIjlEEPS9_SG_NS0_5tupleIJPjSI_NS0_16reverse_iteratorISI_EEEEENSH_IJSG_SG_SG_EEES9_SI_JZNS1_25segmented_radix_sort_implINS0_14default_configELb0EPKlPlSQ_SR_N2at6native12_GLOBAL__N_18offset_tEEE10hipError_tPvRmT1_PNSt15iterator_traitsISZ_E10value_typeET2_T3_PNS10_IS15_E10value_typeET4_jRbjT5_S1B_jjP12ihipStream_tbEUljE_ZNSN_ISO_Lb0ESQ_SR_SQ_SR_SV_EESW_SX_SY_SZ_S13_S14_S15_S18_S19_jS1A_jS1B_S1B_jjS1D_bEUljE0_EEESW_SX_SY_S15_S19_S1B_T6_T7_T9_mT8_S1D_bDpT10_ENKUlT_T0_E_clISt17integral_constantIbLb1EES1Q_IbLb0EEEEDaS1M_S1N_EUlS1M_E_NS1_11comp_targetILNS1_3genE2ELNS1_11target_archE906ELNS1_3gpuE6ELNS1_3repE0EEENS1_30default_config_static_selectorELNS0_4arch9wavefront6targetE0EEEvSZ_.numbered_sgpr, 0
	.set _ZN7rocprim17ROCPRIM_400000_NS6detail17trampoline_kernelINS0_13select_configILj256ELj13ELNS0_17block_load_methodE3ELS4_3ELS4_3ELNS0_20block_scan_algorithmE0ELj4294967295EEENS1_25partition_config_selectorILNS1_17partition_subalgoE4EjNS0_10empty_typeEbEEZZNS1_14partition_implILS8_4ELb0ES6_15HIP_vector_typeIjLj2EENS0_17counting_iteratorIjlEEPS9_SG_NS0_5tupleIJPjSI_NS0_16reverse_iteratorISI_EEEEENSH_IJSG_SG_SG_EEES9_SI_JZNS1_25segmented_radix_sort_implINS0_14default_configELb0EPKlPlSQ_SR_N2at6native12_GLOBAL__N_18offset_tEEE10hipError_tPvRmT1_PNSt15iterator_traitsISZ_E10value_typeET2_T3_PNS10_IS15_E10value_typeET4_jRbjT5_S1B_jjP12ihipStream_tbEUljE_ZNSN_ISO_Lb0ESQ_SR_SQ_SR_SV_EESW_SX_SY_SZ_S13_S14_S15_S18_S19_jS1A_jS1B_S1B_jjS1D_bEUljE0_EEESW_SX_SY_S15_S19_S1B_T6_T7_T9_mT8_S1D_bDpT10_ENKUlT_T0_E_clISt17integral_constantIbLb1EES1Q_IbLb0EEEEDaS1M_S1N_EUlS1M_E_NS1_11comp_targetILNS1_3genE2ELNS1_11target_archE906ELNS1_3gpuE6ELNS1_3repE0EEENS1_30default_config_static_selectorELNS0_4arch9wavefront6targetE0EEEvSZ_.num_named_barrier, 0
	.set _ZN7rocprim17ROCPRIM_400000_NS6detail17trampoline_kernelINS0_13select_configILj256ELj13ELNS0_17block_load_methodE3ELS4_3ELS4_3ELNS0_20block_scan_algorithmE0ELj4294967295EEENS1_25partition_config_selectorILNS1_17partition_subalgoE4EjNS0_10empty_typeEbEEZZNS1_14partition_implILS8_4ELb0ES6_15HIP_vector_typeIjLj2EENS0_17counting_iteratorIjlEEPS9_SG_NS0_5tupleIJPjSI_NS0_16reverse_iteratorISI_EEEEENSH_IJSG_SG_SG_EEES9_SI_JZNS1_25segmented_radix_sort_implINS0_14default_configELb0EPKlPlSQ_SR_N2at6native12_GLOBAL__N_18offset_tEEE10hipError_tPvRmT1_PNSt15iterator_traitsISZ_E10value_typeET2_T3_PNS10_IS15_E10value_typeET4_jRbjT5_S1B_jjP12ihipStream_tbEUljE_ZNSN_ISO_Lb0ESQ_SR_SQ_SR_SV_EESW_SX_SY_SZ_S13_S14_S15_S18_S19_jS1A_jS1B_S1B_jjS1D_bEUljE0_EEESW_SX_SY_S15_S19_S1B_T6_T7_T9_mT8_S1D_bDpT10_ENKUlT_T0_E_clISt17integral_constantIbLb1EES1Q_IbLb0EEEEDaS1M_S1N_EUlS1M_E_NS1_11comp_targetILNS1_3genE2ELNS1_11target_archE906ELNS1_3gpuE6ELNS1_3repE0EEENS1_30default_config_static_selectorELNS0_4arch9wavefront6targetE0EEEvSZ_.private_seg_size, 0
	.set _ZN7rocprim17ROCPRIM_400000_NS6detail17trampoline_kernelINS0_13select_configILj256ELj13ELNS0_17block_load_methodE3ELS4_3ELS4_3ELNS0_20block_scan_algorithmE0ELj4294967295EEENS1_25partition_config_selectorILNS1_17partition_subalgoE4EjNS0_10empty_typeEbEEZZNS1_14partition_implILS8_4ELb0ES6_15HIP_vector_typeIjLj2EENS0_17counting_iteratorIjlEEPS9_SG_NS0_5tupleIJPjSI_NS0_16reverse_iteratorISI_EEEEENSH_IJSG_SG_SG_EEES9_SI_JZNS1_25segmented_radix_sort_implINS0_14default_configELb0EPKlPlSQ_SR_N2at6native12_GLOBAL__N_18offset_tEEE10hipError_tPvRmT1_PNSt15iterator_traitsISZ_E10value_typeET2_T3_PNS10_IS15_E10value_typeET4_jRbjT5_S1B_jjP12ihipStream_tbEUljE_ZNSN_ISO_Lb0ESQ_SR_SQ_SR_SV_EESW_SX_SY_SZ_S13_S14_S15_S18_S19_jS1A_jS1B_S1B_jjS1D_bEUljE0_EEESW_SX_SY_S15_S19_S1B_T6_T7_T9_mT8_S1D_bDpT10_ENKUlT_T0_E_clISt17integral_constantIbLb1EES1Q_IbLb0EEEEDaS1M_S1N_EUlS1M_E_NS1_11comp_targetILNS1_3genE2ELNS1_11target_archE906ELNS1_3gpuE6ELNS1_3repE0EEENS1_30default_config_static_selectorELNS0_4arch9wavefront6targetE0EEEvSZ_.uses_vcc, 0
	.set _ZN7rocprim17ROCPRIM_400000_NS6detail17trampoline_kernelINS0_13select_configILj256ELj13ELNS0_17block_load_methodE3ELS4_3ELS4_3ELNS0_20block_scan_algorithmE0ELj4294967295EEENS1_25partition_config_selectorILNS1_17partition_subalgoE4EjNS0_10empty_typeEbEEZZNS1_14partition_implILS8_4ELb0ES6_15HIP_vector_typeIjLj2EENS0_17counting_iteratorIjlEEPS9_SG_NS0_5tupleIJPjSI_NS0_16reverse_iteratorISI_EEEEENSH_IJSG_SG_SG_EEES9_SI_JZNS1_25segmented_radix_sort_implINS0_14default_configELb0EPKlPlSQ_SR_N2at6native12_GLOBAL__N_18offset_tEEE10hipError_tPvRmT1_PNSt15iterator_traitsISZ_E10value_typeET2_T3_PNS10_IS15_E10value_typeET4_jRbjT5_S1B_jjP12ihipStream_tbEUljE_ZNSN_ISO_Lb0ESQ_SR_SQ_SR_SV_EESW_SX_SY_SZ_S13_S14_S15_S18_S19_jS1A_jS1B_S1B_jjS1D_bEUljE0_EEESW_SX_SY_S15_S19_S1B_T6_T7_T9_mT8_S1D_bDpT10_ENKUlT_T0_E_clISt17integral_constantIbLb1EES1Q_IbLb0EEEEDaS1M_S1N_EUlS1M_E_NS1_11comp_targetILNS1_3genE2ELNS1_11target_archE906ELNS1_3gpuE6ELNS1_3repE0EEENS1_30default_config_static_selectorELNS0_4arch9wavefront6targetE0EEEvSZ_.uses_flat_scratch, 0
	.set _ZN7rocprim17ROCPRIM_400000_NS6detail17trampoline_kernelINS0_13select_configILj256ELj13ELNS0_17block_load_methodE3ELS4_3ELS4_3ELNS0_20block_scan_algorithmE0ELj4294967295EEENS1_25partition_config_selectorILNS1_17partition_subalgoE4EjNS0_10empty_typeEbEEZZNS1_14partition_implILS8_4ELb0ES6_15HIP_vector_typeIjLj2EENS0_17counting_iteratorIjlEEPS9_SG_NS0_5tupleIJPjSI_NS0_16reverse_iteratorISI_EEEEENSH_IJSG_SG_SG_EEES9_SI_JZNS1_25segmented_radix_sort_implINS0_14default_configELb0EPKlPlSQ_SR_N2at6native12_GLOBAL__N_18offset_tEEE10hipError_tPvRmT1_PNSt15iterator_traitsISZ_E10value_typeET2_T3_PNS10_IS15_E10value_typeET4_jRbjT5_S1B_jjP12ihipStream_tbEUljE_ZNSN_ISO_Lb0ESQ_SR_SQ_SR_SV_EESW_SX_SY_SZ_S13_S14_S15_S18_S19_jS1A_jS1B_S1B_jjS1D_bEUljE0_EEESW_SX_SY_S15_S19_S1B_T6_T7_T9_mT8_S1D_bDpT10_ENKUlT_T0_E_clISt17integral_constantIbLb1EES1Q_IbLb0EEEEDaS1M_S1N_EUlS1M_E_NS1_11comp_targetILNS1_3genE2ELNS1_11target_archE906ELNS1_3gpuE6ELNS1_3repE0EEENS1_30default_config_static_selectorELNS0_4arch9wavefront6targetE0EEEvSZ_.has_dyn_sized_stack, 0
	.set _ZN7rocprim17ROCPRIM_400000_NS6detail17trampoline_kernelINS0_13select_configILj256ELj13ELNS0_17block_load_methodE3ELS4_3ELS4_3ELNS0_20block_scan_algorithmE0ELj4294967295EEENS1_25partition_config_selectorILNS1_17partition_subalgoE4EjNS0_10empty_typeEbEEZZNS1_14partition_implILS8_4ELb0ES6_15HIP_vector_typeIjLj2EENS0_17counting_iteratorIjlEEPS9_SG_NS0_5tupleIJPjSI_NS0_16reverse_iteratorISI_EEEEENSH_IJSG_SG_SG_EEES9_SI_JZNS1_25segmented_radix_sort_implINS0_14default_configELb0EPKlPlSQ_SR_N2at6native12_GLOBAL__N_18offset_tEEE10hipError_tPvRmT1_PNSt15iterator_traitsISZ_E10value_typeET2_T3_PNS10_IS15_E10value_typeET4_jRbjT5_S1B_jjP12ihipStream_tbEUljE_ZNSN_ISO_Lb0ESQ_SR_SQ_SR_SV_EESW_SX_SY_SZ_S13_S14_S15_S18_S19_jS1A_jS1B_S1B_jjS1D_bEUljE0_EEESW_SX_SY_S15_S19_S1B_T6_T7_T9_mT8_S1D_bDpT10_ENKUlT_T0_E_clISt17integral_constantIbLb1EES1Q_IbLb0EEEEDaS1M_S1N_EUlS1M_E_NS1_11comp_targetILNS1_3genE2ELNS1_11target_archE906ELNS1_3gpuE6ELNS1_3repE0EEENS1_30default_config_static_selectorELNS0_4arch9wavefront6targetE0EEEvSZ_.has_recursion, 0
	.set _ZN7rocprim17ROCPRIM_400000_NS6detail17trampoline_kernelINS0_13select_configILj256ELj13ELNS0_17block_load_methodE3ELS4_3ELS4_3ELNS0_20block_scan_algorithmE0ELj4294967295EEENS1_25partition_config_selectorILNS1_17partition_subalgoE4EjNS0_10empty_typeEbEEZZNS1_14partition_implILS8_4ELb0ES6_15HIP_vector_typeIjLj2EENS0_17counting_iteratorIjlEEPS9_SG_NS0_5tupleIJPjSI_NS0_16reverse_iteratorISI_EEEEENSH_IJSG_SG_SG_EEES9_SI_JZNS1_25segmented_radix_sort_implINS0_14default_configELb0EPKlPlSQ_SR_N2at6native12_GLOBAL__N_18offset_tEEE10hipError_tPvRmT1_PNSt15iterator_traitsISZ_E10value_typeET2_T3_PNS10_IS15_E10value_typeET4_jRbjT5_S1B_jjP12ihipStream_tbEUljE_ZNSN_ISO_Lb0ESQ_SR_SQ_SR_SV_EESW_SX_SY_SZ_S13_S14_S15_S18_S19_jS1A_jS1B_S1B_jjS1D_bEUljE0_EEESW_SX_SY_S15_S19_S1B_T6_T7_T9_mT8_S1D_bDpT10_ENKUlT_T0_E_clISt17integral_constantIbLb1EES1Q_IbLb0EEEEDaS1M_S1N_EUlS1M_E_NS1_11comp_targetILNS1_3genE2ELNS1_11target_archE906ELNS1_3gpuE6ELNS1_3repE0EEENS1_30default_config_static_selectorELNS0_4arch9wavefront6targetE0EEEvSZ_.has_indirect_call, 0
	.section	.AMDGPU.csdata,"",@progbits
; Kernel info:
; codeLenInByte = 0
; TotalNumSgprs: 0
; NumVgprs: 0
; ScratchSize: 0
; MemoryBound: 0
; FloatMode: 240
; IeeeMode: 1
; LDSByteSize: 0 bytes/workgroup (compile time only)
; SGPRBlocks: 0
; VGPRBlocks: 0
; NumSGPRsForWavesPerEU: 1
; NumVGPRsForWavesPerEU: 1
; Occupancy: 16
; WaveLimiterHint : 0
; COMPUTE_PGM_RSRC2:SCRATCH_EN: 0
; COMPUTE_PGM_RSRC2:USER_SGPR: 6
; COMPUTE_PGM_RSRC2:TRAP_HANDLER: 0
; COMPUTE_PGM_RSRC2:TGID_X_EN: 1
; COMPUTE_PGM_RSRC2:TGID_Y_EN: 0
; COMPUTE_PGM_RSRC2:TGID_Z_EN: 0
; COMPUTE_PGM_RSRC2:TIDIG_COMP_CNT: 0
	.section	.text._ZN7rocprim17ROCPRIM_400000_NS6detail17trampoline_kernelINS0_13select_configILj256ELj13ELNS0_17block_load_methodE3ELS4_3ELS4_3ELNS0_20block_scan_algorithmE0ELj4294967295EEENS1_25partition_config_selectorILNS1_17partition_subalgoE4EjNS0_10empty_typeEbEEZZNS1_14partition_implILS8_4ELb0ES6_15HIP_vector_typeIjLj2EENS0_17counting_iteratorIjlEEPS9_SG_NS0_5tupleIJPjSI_NS0_16reverse_iteratorISI_EEEEENSH_IJSG_SG_SG_EEES9_SI_JZNS1_25segmented_radix_sort_implINS0_14default_configELb0EPKlPlSQ_SR_N2at6native12_GLOBAL__N_18offset_tEEE10hipError_tPvRmT1_PNSt15iterator_traitsISZ_E10value_typeET2_T3_PNS10_IS15_E10value_typeET4_jRbjT5_S1B_jjP12ihipStream_tbEUljE_ZNSN_ISO_Lb0ESQ_SR_SQ_SR_SV_EESW_SX_SY_SZ_S13_S14_S15_S18_S19_jS1A_jS1B_S1B_jjS1D_bEUljE0_EEESW_SX_SY_S15_S19_S1B_T6_T7_T9_mT8_S1D_bDpT10_ENKUlT_T0_E_clISt17integral_constantIbLb1EES1Q_IbLb0EEEEDaS1M_S1N_EUlS1M_E_NS1_11comp_targetILNS1_3genE10ELNS1_11target_archE1200ELNS1_3gpuE4ELNS1_3repE0EEENS1_30default_config_static_selectorELNS0_4arch9wavefront6targetE0EEEvSZ_,"axG",@progbits,_ZN7rocprim17ROCPRIM_400000_NS6detail17trampoline_kernelINS0_13select_configILj256ELj13ELNS0_17block_load_methodE3ELS4_3ELS4_3ELNS0_20block_scan_algorithmE0ELj4294967295EEENS1_25partition_config_selectorILNS1_17partition_subalgoE4EjNS0_10empty_typeEbEEZZNS1_14partition_implILS8_4ELb0ES6_15HIP_vector_typeIjLj2EENS0_17counting_iteratorIjlEEPS9_SG_NS0_5tupleIJPjSI_NS0_16reverse_iteratorISI_EEEEENSH_IJSG_SG_SG_EEES9_SI_JZNS1_25segmented_radix_sort_implINS0_14default_configELb0EPKlPlSQ_SR_N2at6native12_GLOBAL__N_18offset_tEEE10hipError_tPvRmT1_PNSt15iterator_traitsISZ_E10value_typeET2_T3_PNS10_IS15_E10value_typeET4_jRbjT5_S1B_jjP12ihipStream_tbEUljE_ZNSN_ISO_Lb0ESQ_SR_SQ_SR_SV_EESW_SX_SY_SZ_S13_S14_S15_S18_S19_jS1A_jS1B_S1B_jjS1D_bEUljE0_EEESW_SX_SY_S15_S19_S1B_T6_T7_T9_mT8_S1D_bDpT10_ENKUlT_T0_E_clISt17integral_constantIbLb1EES1Q_IbLb0EEEEDaS1M_S1N_EUlS1M_E_NS1_11comp_targetILNS1_3genE10ELNS1_11target_archE1200ELNS1_3gpuE4ELNS1_3repE0EEENS1_30default_config_static_selectorELNS0_4arch9wavefront6targetE0EEEvSZ_,comdat
	.globl	_ZN7rocprim17ROCPRIM_400000_NS6detail17trampoline_kernelINS0_13select_configILj256ELj13ELNS0_17block_load_methodE3ELS4_3ELS4_3ELNS0_20block_scan_algorithmE0ELj4294967295EEENS1_25partition_config_selectorILNS1_17partition_subalgoE4EjNS0_10empty_typeEbEEZZNS1_14partition_implILS8_4ELb0ES6_15HIP_vector_typeIjLj2EENS0_17counting_iteratorIjlEEPS9_SG_NS0_5tupleIJPjSI_NS0_16reverse_iteratorISI_EEEEENSH_IJSG_SG_SG_EEES9_SI_JZNS1_25segmented_radix_sort_implINS0_14default_configELb0EPKlPlSQ_SR_N2at6native12_GLOBAL__N_18offset_tEEE10hipError_tPvRmT1_PNSt15iterator_traitsISZ_E10value_typeET2_T3_PNS10_IS15_E10value_typeET4_jRbjT5_S1B_jjP12ihipStream_tbEUljE_ZNSN_ISO_Lb0ESQ_SR_SQ_SR_SV_EESW_SX_SY_SZ_S13_S14_S15_S18_S19_jS1A_jS1B_S1B_jjS1D_bEUljE0_EEESW_SX_SY_S15_S19_S1B_T6_T7_T9_mT8_S1D_bDpT10_ENKUlT_T0_E_clISt17integral_constantIbLb1EES1Q_IbLb0EEEEDaS1M_S1N_EUlS1M_E_NS1_11comp_targetILNS1_3genE10ELNS1_11target_archE1200ELNS1_3gpuE4ELNS1_3repE0EEENS1_30default_config_static_selectorELNS0_4arch9wavefront6targetE0EEEvSZ_ ; -- Begin function _ZN7rocprim17ROCPRIM_400000_NS6detail17trampoline_kernelINS0_13select_configILj256ELj13ELNS0_17block_load_methodE3ELS4_3ELS4_3ELNS0_20block_scan_algorithmE0ELj4294967295EEENS1_25partition_config_selectorILNS1_17partition_subalgoE4EjNS0_10empty_typeEbEEZZNS1_14partition_implILS8_4ELb0ES6_15HIP_vector_typeIjLj2EENS0_17counting_iteratorIjlEEPS9_SG_NS0_5tupleIJPjSI_NS0_16reverse_iteratorISI_EEEEENSH_IJSG_SG_SG_EEES9_SI_JZNS1_25segmented_radix_sort_implINS0_14default_configELb0EPKlPlSQ_SR_N2at6native12_GLOBAL__N_18offset_tEEE10hipError_tPvRmT1_PNSt15iterator_traitsISZ_E10value_typeET2_T3_PNS10_IS15_E10value_typeET4_jRbjT5_S1B_jjP12ihipStream_tbEUljE_ZNSN_ISO_Lb0ESQ_SR_SQ_SR_SV_EESW_SX_SY_SZ_S13_S14_S15_S18_S19_jS1A_jS1B_S1B_jjS1D_bEUljE0_EEESW_SX_SY_S15_S19_S1B_T6_T7_T9_mT8_S1D_bDpT10_ENKUlT_T0_E_clISt17integral_constantIbLb1EES1Q_IbLb0EEEEDaS1M_S1N_EUlS1M_E_NS1_11comp_targetILNS1_3genE10ELNS1_11target_archE1200ELNS1_3gpuE4ELNS1_3repE0EEENS1_30default_config_static_selectorELNS0_4arch9wavefront6targetE0EEEvSZ_
	.p2align	8
	.type	_ZN7rocprim17ROCPRIM_400000_NS6detail17trampoline_kernelINS0_13select_configILj256ELj13ELNS0_17block_load_methodE3ELS4_3ELS4_3ELNS0_20block_scan_algorithmE0ELj4294967295EEENS1_25partition_config_selectorILNS1_17partition_subalgoE4EjNS0_10empty_typeEbEEZZNS1_14partition_implILS8_4ELb0ES6_15HIP_vector_typeIjLj2EENS0_17counting_iteratorIjlEEPS9_SG_NS0_5tupleIJPjSI_NS0_16reverse_iteratorISI_EEEEENSH_IJSG_SG_SG_EEES9_SI_JZNS1_25segmented_radix_sort_implINS0_14default_configELb0EPKlPlSQ_SR_N2at6native12_GLOBAL__N_18offset_tEEE10hipError_tPvRmT1_PNSt15iterator_traitsISZ_E10value_typeET2_T3_PNS10_IS15_E10value_typeET4_jRbjT5_S1B_jjP12ihipStream_tbEUljE_ZNSN_ISO_Lb0ESQ_SR_SQ_SR_SV_EESW_SX_SY_SZ_S13_S14_S15_S18_S19_jS1A_jS1B_S1B_jjS1D_bEUljE0_EEESW_SX_SY_S15_S19_S1B_T6_T7_T9_mT8_S1D_bDpT10_ENKUlT_T0_E_clISt17integral_constantIbLb1EES1Q_IbLb0EEEEDaS1M_S1N_EUlS1M_E_NS1_11comp_targetILNS1_3genE10ELNS1_11target_archE1200ELNS1_3gpuE4ELNS1_3repE0EEENS1_30default_config_static_selectorELNS0_4arch9wavefront6targetE0EEEvSZ_,@function
_ZN7rocprim17ROCPRIM_400000_NS6detail17trampoline_kernelINS0_13select_configILj256ELj13ELNS0_17block_load_methodE3ELS4_3ELS4_3ELNS0_20block_scan_algorithmE0ELj4294967295EEENS1_25partition_config_selectorILNS1_17partition_subalgoE4EjNS0_10empty_typeEbEEZZNS1_14partition_implILS8_4ELb0ES6_15HIP_vector_typeIjLj2EENS0_17counting_iteratorIjlEEPS9_SG_NS0_5tupleIJPjSI_NS0_16reverse_iteratorISI_EEEEENSH_IJSG_SG_SG_EEES9_SI_JZNS1_25segmented_radix_sort_implINS0_14default_configELb0EPKlPlSQ_SR_N2at6native12_GLOBAL__N_18offset_tEEE10hipError_tPvRmT1_PNSt15iterator_traitsISZ_E10value_typeET2_T3_PNS10_IS15_E10value_typeET4_jRbjT5_S1B_jjP12ihipStream_tbEUljE_ZNSN_ISO_Lb0ESQ_SR_SQ_SR_SV_EESW_SX_SY_SZ_S13_S14_S15_S18_S19_jS1A_jS1B_S1B_jjS1D_bEUljE0_EEESW_SX_SY_S15_S19_S1B_T6_T7_T9_mT8_S1D_bDpT10_ENKUlT_T0_E_clISt17integral_constantIbLb1EES1Q_IbLb0EEEEDaS1M_S1N_EUlS1M_E_NS1_11comp_targetILNS1_3genE10ELNS1_11target_archE1200ELNS1_3gpuE4ELNS1_3repE0EEENS1_30default_config_static_selectorELNS0_4arch9wavefront6targetE0EEEvSZ_: ; @_ZN7rocprim17ROCPRIM_400000_NS6detail17trampoline_kernelINS0_13select_configILj256ELj13ELNS0_17block_load_methodE3ELS4_3ELS4_3ELNS0_20block_scan_algorithmE0ELj4294967295EEENS1_25partition_config_selectorILNS1_17partition_subalgoE4EjNS0_10empty_typeEbEEZZNS1_14partition_implILS8_4ELb0ES6_15HIP_vector_typeIjLj2EENS0_17counting_iteratorIjlEEPS9_SG_NS0_5tupleIJPjSI_NS0_16reverse_iteratorISI_EEEEENSH_IJSG_SG_SG_EEES9_SI_JZNS1_25segmented_radix_sort_implINS0_14default_configELb0EPKlPlSQ_SR_N2at6native12_GLOBAL__N_18offset_tEEE10hipError_tPvRmT1_PNSt15iterator_traitsISZ_E10value_typeET2_T3_PNS10_IS15_E10value_typeET4_jRbjT5_S1B_jjP12ihipStream_tbEUljE_ZNSN_ISO_Lb0ESQ_SR_SQ_SR_SV_EESW_SX_SY_SZ_S13_S14_S15_S18_S19_jS1A_jS1B_S1B_jjS1D_bEUljE0_EEESW_SX_SY_S15_S19_S1B_T6_T7_T9_mT8_S1D_bDpT10_ENKUlT_T0_E_clISt17integral_constantIbLb1EES1Q_IbLb0EEEEDaS1M_S1N_EUlS1M_E_NS1_11comp_targetILNS1_3genE10ELNS1_11target_archE1200ELNS1_3gpuE4ELNS1_3repE0EEENS1_30default_config_static_selectorELNS0_4arch9wavefront6targetE0EEEvSZ_
; %bb.0:
	.section	.rodata,"a",@progbits
	.p2align	6, 0x0
	.amdhsa_kernel _ZN7rocprim17ROCPRIM_400000_NS6detail17trampoline_kernelINS0_13select_configILj256ELj13ELNS0_17block_load_methodE3ELS4_3ELS4_3ELNS0_20block_scan_algorithmE0ELj4294967295EEENS1_25partition_config_selectorILNS1_17partition_subalgoE4EjNS0_10empty_typeEbEEZZNS1_14partition_implILS8_4ELb0ES6_15HIP_vector_typeIjLj2EENS0_17counting_iteratorIjlEEPS9_SG_NS0_5tupleIJPjSI_NS0_16reverse_iteratorISI_EEEEENSH_IJSG_SG_SG_EEES9_SI_JZNS1_25segmented_radix_sort_implINS0_14default_configELb0EPKlPlSQ_SR_N2at6native12_GLOBAL__N_18offset_tEEE10hipError_tPvRmT1_PNSt15iterator_traitsISZ_E10value_typeET2_T3_PNS10_IS15_E10value_typeET4_jRbjT5_S1B_jjP12ihipStream_tbEUljE_ZNSN_ISO_Lb0ESQ_SR_SQ_SR_SV_EESW_SX_SY_SZ_S13_S14_S15_S18_S19_jS1A_jS1B_S1B_jjS1D_bEUljE0_EEESW_SX_SY_S15_S19_S1B_T6_T7_T9_mT8_S1D_bDpT10_ENKUlT_T0_E_clISt17integral_constantIbLb1EES1Q_IbLb0EEEEDaS1M_S1N_EUlS1M_E_NS1_11comp_targetILNS1_3genE10ELNS1_11target_archE1200ELNS1_3gpuE4ELNS1_3repE0EEENS1_30default_config_static_selectorELNS0_4arch9wavefront6targetE0EEEvSZ_
		.amdhsa_group_segment_fixed_size 0
		.amdhsa_private_segment_fixed_size 0
		.amdhsa_kernarg_size 176
		.amdhsa_user_sgpr_count 6
		.amdhsa_user_sgpr_private_segment_buffer 1
		.amdhsa_user_sgpr_dispatch_ptr 0
		.amdhsa_user_sgpr_queue_ptr 0
		.amdhsa_user_sgpr_kernarg_segment_ptr 1
		.amdhsa_user_sgpr_dispatch_id 0
		.amdhsa_user_sgpr_flat_scratch_init 0
		.amdhsa_user_sgpr_private_segment_size 0
		.amdhsa_wavefront_size32 1
		.amdhsa_uses_dynamic_stack 0
		.amdhsa_system_sgpr_private_segment_wavefront_offset 0
		.amdhsa_system_sgpr_workgroup_id_x 1
		.amdhsa_system_sgpr_workgroup_id_y 0
		.amdhsa_system_sgpr_workgroup_id_z 0
		.amdhsa_system_sgpr_workgroup_info 0
		.amdhsa_system_vgpr_workitem_id 0
		.amdhsa_next_free_vgpr 1
		.amdhsa_next_free_sgpr 1
		.amdhsa_reserve_vcc 0
		.amdhsa_reserve_flat_scratch 0
		.amdhsa_float_round_mode_32 0
		.amdhsa_float_round_mode_16_64 0
		.amdhsa_float_denorm_mode_32 3
		.amdhsa_float_denorm_mode_16_64 3
		.amdhsa_dx10_clamp 1
		.amdhsa_ieee_mode 1
		.amdhsa_fp16_overflow 0
		.amdhsa_workgroup_processor_mode 1
		.amdhsa_memory_ordered 1
		.amdhsa_forward_progress 1
		.amdhsa_shared_vgpr_count 0
		.amdhsa_exception_fp_ieee_invalid_op 0
		.amdhsa_exception_fp_denorm_src 0
		.amdhsa_exception_fp_ieee_div_zero 0
		.amdhsa_exception_fp_ieee_overflow 0
		.amdhsa_exception_fp_ieee_underflow 0
		.amdhsa_exception_fp_ieee_inexact 0
		.amdhsa_exception_int_div_zero 0
	.end_amdhsa_kernel
	.section	.text._ZN7rocprim17ROCPRIM_400000_NS6detail17trampoline_kernelINS0_13select_configILj256ELj13ELNS0_17block_load_methodE3ELS4_3ELS4_3ELNS0_20block_scan_algorithmE0ELj4294967295EEENS1_25partition_config_selectorILNS1_17partition_subalgoE4EjNS0_10empty_typeEbEEZZNS1_14partition_implILS8_4ELb0ES6_15HIP_vector_typeIjLj2EENS0_17counting_iteratorIjlEEPS9_SG_NS0_5tupleIJPjSI_NS0_16reverse_iteratorISI_EEEEENSH_IJSG_SG_SG_EEES9_SI_JZNS1_25segmented_radix_sort_implINS0_14default_configELb0EPKlPlSQ_SR_N2at6native12_GLOBAL__N_18offset_tEEE10hipError_tPvRmT1_PNSt15iterator_traitsISZ_E10value_typeET2_T3_PNS10_IS15_E10value_typeET4_jRbjT5_S1B_jjP12ihipStream_tbEUljE_ZNSN_ISO_Lb0ESQ_SR_SQ_SR_SV_EESW_SX_SY_SZ_S13_S14_S15_S18_S19_jS1A_jS1B_S1B_jjS1D_bEUljE0_EEESW_SX_SY_S15_S19_S1B_T6_T7_T9_mT8_S1D_bDpT10_ENKUlT_T0_E_clISt17integral_constantIbLb1EES1Q_IbLb0EEEEDaS1M_S1N_EUlS1M_E_NS1_11comp_targetILNS1_3genE10ELNS1_11target_archE1200ELNS1_3gpuE4ELNS1_3repE0EEENS1_30default_config_static_selectorELNS0_4arch9wavefront6targetE0EEEvSZ_,"axG",@progbits,_ZN7rocprim17ROCPRIM_400000_NS6detail17trampoline_kernelINS0_13select_configILj256ELj13ELNS0_17block_load_methodE3ELS4_3ELS4_3ELNS0_20block_scan_algorithmE0ELj4294967295EEENS1_25partition_config_selectorILNS1_17partition_subalgoE4EjNS0_10empty_typeEbEEZZNS1_14partition_implILS8_4ELb0ES6_15HIP_vector_typeIjLj2EENS0_17counting_iteratorIjlEEPS9_SG_NS0_5tupleIJPjSI_NS0_16reverse_iteratorISI_EEEEENSH_IJSG_SG_SG_EEES9_SI_JZNS1_25segmented_radix_sort_implINS0_14default_configELb0EPKlPlSQ_SR_N2at6native12_GLOBAL__N_18offset_tEEE10hipError_tPvRmT1_PNSt15iterator_traitsISZ_E10value_typeET2_T3_PNS10_IS15_E10value_typeET4_jRbjT5_S1B_jjP12ihipStream_tbEUljE_ZNSN_ISO_Lb0ESQ_SR_SQ_SR_SV_EESW_SX_SY_SZ_S13_S14_S15_S18_S19_jS1A_jS1B_S1B_jjS1D_bEUljE0_EEESW_SX_SY_S15_S19_S1B_T6_T7_T9_mT8_S1D_bDpT10_ENKUlT_T0_E_clISt17integral_constantIbLb1EES1Q_IbLb0EEEEDaS1M_S1N_EUlS1M_E_NS1_11comp_targetILNS1_3genE10ELNS1_11target_archE1200ELNS1_3gpuE4ELNS1_3repE0EEENS1_30default_config_static_selectorELNS0_4arch9wavefront6targetE0EEEvSZ_,comdat
.Lfunc_end758:
	.size	_ZN7rocprim17ROCPRIM_400000_NS6detail17trampoline_kernelINS0_13select_configILj256ELj13ELNS0_17block_load_methodE3ELS4_3ELS4_3ELNS0_20block_scan_algorithmE0ELj4294967295EEENS1_25partition_config_selectorILNS1_17partition_subalgoE4EjNS0_10empty_typeEbEEZZNS1_14partition_implILS8_4ELb0ES6_15HIP_vector_typeIjLj2EENS0_17counting_iteratorIjlEEPS9_SG_NS0_5tupleIJPjSI_NS0_16reverse_iteratorISI_EEEEENSH_IJSG_SG_SG_EEES9_SI_JZNS1_25segmented_radix_sort_implINS0_14default_configELb0EPKlPlSQ_SR_N2at6native12_GLOBAL__N_18offset_tEEE10hipError_tPvRmT1_PNSt15iterator_traitsISZ_E10value_typeET2_T3_PNS10_IS15_E10value_typeET4_jRbjT5_S1B_jjP12ihipStream_tbEUljE_ZNSN_ISO_Lb0ESQ_SR_SQ_SR_SV_EESW_SX_SY_SZ_S13_S14_S15_S18_S19_jS1A_jS1B_S1B_jjS1D_bEUljE0_EEESW_SX_SY_S15_S19_S1B_T6_T7_T9_mT8_S1D_bDpT10_ENKUlT_T0_E_clISt17integral_constantIbLb1EES1Q_IbLb0EEEEDaS1M_S1N_EUlS1M_E_NS1_11comp_targetILNS1_3genE10ELNS1_11target_archE1200ELNS1_3gpuE4ELNS1_3repE0EEENS1_30default_config_static_selectorELNS0_4arch9wavefront6targetE0EEEvSZ_, .Lfunc_end758-_ZN7rocprim17ROCPRIM_400000_NS6detail17trampoline_kernelINS0_13select_configILj256ELj13ELNS0_17block_load_methodE3ELS4_3ELS4_3ELNS0_20block_scan_algorithmE0ELj4294967295EEENS1_25partition_config_selectorILNS1_17partition_subalgoE4EjNS0_10empty_typeEbEEZZNS1_14partition_implILS8_4ELb0ES6_15HIP_vector_typeIjLj2EENS0_17counting_iteratorIjlEEPS9_SG_NS0_5tupleIJPjSI_NS0_16reverse_iteratorISI_EEEEENSH_IJSG_SG_SG_EEES9_SI_JZNS1_25segmented_radix_sort_implINS0_14default_configELb0EPKlPlSQ_SR_N2at6native12_GLOBAL__N_18offset_tEEE10hipError_tPvRmT1_PNSt15iterator_traitsISZ_E10value_typeET2_T3_PNS10_IS15_E10value_typeET4_jRbjT5_S1B_jjP12ihipStream_tbEUljE_ZNSN_ISO_Lb0ESQ_SR_SQ_SR_SV_EESW_SX_SY_SZ_S13_S14_S15_S18_S19_jS1A_jS1B_S1B_jjS1D_bEUljE0_EEESW_SX_SY_S15_S19_S1B_T6_T7_T9_mT8_S1D_bDpT10_ENKUlT_T0_E_clISt17integral_constantIbLb1EES1Q_IbLb0EEEEDaS1M_S1N_EUlS1M_E_NS1_11comp_targetILNS1_3genE10ELNS1_11target_archE1200ELNS1_3gpuE4ELNS1_3repE0EEENS1_30default_config_static_selectorELNS0_4arch9wavefront6targetE0EEEvSZ_
                                        ; -- End function
	.set _ZN7rocprim17ROCPRIM_400000_NS6detail17trampoline_kernelINS0_13select_configILj256ELj13ELNS0_17block_load_methodE3ELS4_3ELS4_3ELNS0_20block_scan_algorithmE0ELj4294967295EEENS1_25partition_config_selectorILNS1_17partition_subalgoE4EjNS0_10empty_typeEbEEZZNS1_14partition_implILS8_4ELb0ES6_15HIP_vector_typeIjLj2EENS0_17counting_iteratorIjlEEPS9_SG_NS0_5tupleIJPjSI_NS0_16reverse_iteratorISI_EEEEENSH_IJSG_SG_SG_EEES9_SI_JZNS1_25segmented_radix_sort_implINS0_14default_configELb0EPKlPlSQ_SR_N2at6native12_GLOBAL__N_18offset_tEEE10hipError_tPvRmT1_PNSt15iterator_traitsISZ_E10value_typeET2_T3_PNS10_IS15_E10value_typeET4_jRbjT5_S1B_jjP12ihipStream_tbEUljE_ZNSN_ISO_Lb0ESQ_SR_SQ_SR_SV_EESW_SX_SY_SZ_S13_S14_S15_S18_S19_jS1A_jS1B_S1B_jjS1D_bEUljE0_EEESW_SX_SY_S15_S19_S1B_T6_T7_T9_mT8_S1D_bDpT10_ENKUlT_T0_E_clISt17integral_constantIbLb1EES1Q_IbLb0EEEEDaS1M_S1N_EUlS1M_E_NS1_11comp_targetILNS1_3genE10ELNS1_11target_archE1200ELNS1_3gpuE4ELNS1_3repE0EEENS1_30default_config_static_selectorELNS0_4arch9wavefront6targetE0EEEvSZ_.num_vgpr, 0
	.set _ZN7rocprim17ROCPRIM_400000_NS6detail17trampoline_kernelINS0_13select_configILj256ELj13ELNS0_17block_load_methodE3ELS4_3ELS4_3ELNS0_20block_scan_algorithmE0ELj4294967295EEENS1_25partition_config_selectorILNS1_17partition_subalgoE4EjNS0_10empty_typeEbEEZZNS1_14partition_implILS8_4ELb0ES6_15HIP_vector_typeIjLj2EENS0_17counting_iteratorIjlEEPS9_SG_NS0_5tupleIJPjSI_NS0_16reverse_iteratorISI_EEEEENSH_IJSG_SG_SG_EEES9_SI_JZNS1_25segmented_radix_sort_implINS0_14default_configELb0EPKlPlSQ_SR_N2at6native12_GLOBAL__N_18offset_tEEE10hipError_tPvRmT1_PNSt15iterator_traitsISZ_E10value_typeET2_T3_PNS10_IS15_E10value_typeET4_jRbjT5_S1B_jjP12ihipStream_tbEUljE_ZNSN_ISO_Lb0ESQ_SR_SQ_SR_SV_EESW_SX_SY_SZ_S13_S14_S15_S18_S19_jS1A_jS1B_S1B_jjS1D_bEUljE0_EEESW_SX_SY_S15_S19_S1B_T6_T7_T9_mT8_S1D_bDpT10_ENKUlT_T0_E_clISt17integral_constantIbLb1EES1Q_IbLb0EEEEDaS1M_S1N_EUlS1M_E_NS1_11comp_targetILNS1_3genE10ELNS1_11target_archE1200ELNS1_3gpuE4ELNS1_3repE0EEENS1_30default_config_static_selectorELNS0_4arch9wavefront6targetE0EEEvSZ_.num_agpr, 0
	.set _ZN7rocprim17ROCPRIM_400000_NS6detail17trampoline_kernelINS0_13select_configILj256ELj13ELNS0_17block_load_methodE3ELS4_3ELS4_3ELNS0_20block_scan_algorithmE0ELj4294967295EEENS1_25partition_config_selectorILNS1_17partition_subalgoE4EjNS0_10empty_typeEbEEZZNS1_14partition_implILS8_4ELb0ES6_15HIP_vector_typeIjLj2EENS0_17counting_iteratorIjlEEPS9_SG_NS0_5tupleIJPjSI_NS0_16reverse_iteratorISI_EEEEENSH_IJSG_SG_SG_EEES9_SI_JZNS1_25segmented_radix_sort_implINS0_14default_configELb0EPKlPlSQ_SR_N2at6native12_GLOBAL__N_18offset_tEEE10hipError_tPvRmT1_PNSt15iterator_traitsISZ_E10value_typeET2_T3_PNS10_IS15_E10value_typeET4_jRbjT5_S1B_jjP12ihipStream_tbEUljE_ZNSN_ISO_Lb0ESQ_SR_SQ_SR_SV_EESW_SX_SY_SZ_S13_S14_S15_S18_S19_jS1A_jS1B_S1B_jjS1D_bEUljE0_EEESW_SX_SY_S15_S19_S1B_T6_T7_T9_mT8_S1D_bDpT10_ENKUlT_T0_E_clISt17integral_constantIbLb1EES1Q_IbLb0EEEEDaS1M_S1N_EUlS1M_E_NS1_11comp_targetILNS1_3genE10ELNS1_11target_archE1200ELNS1_3gpuE4ELNS1_3repE0EEENS1_30default_config_static_selectorELNS0_4arch9wavefront6targetE0EEEvSZ_.numbered_sgpr, 0
	.set _ZN7rocprim17ROCPRIM_400000_NS6detail17trampoline_kernelINS0_13select_configILj256ELj13ELNS0_17block_load_methodE3ELS4_3ELS4_3ELNS0_20block_scan_algorithmE0ELj4294967295EEENS1_25partition_config_selectorILNS1_17partition_subalgoE4EjNS0_10empty_typeEbEEZZNS1_14partition_implILS8_4ELb0ES6_15HIP_vector_typeIjLj2EENS0_17counting_iteratorIjlEEPS9_SG_NS0_5tupleIJPjSI_NS0_16reverse_iteratorISI_EEEEENSH_IJSG_SG_SG_EEES9_SI_JZNS1_25segmented_radix_sort_implINS0_14default_configELb0EPKlPlSQ_SR_N2at6native12_GLOBAL__N_18offset_tEEE10hipError_tPvRmT1_PNSt15iterator_traitsISZ_E10value_typeET2_T3_PNS10_IS15_E10value_typeET4_jRbjT5_S1B_jjP12ihipStream_tbEUljE_ZNSN_ISO_Lb0ESQ_SR_SQ_SR_SV_EESW_SX_SY_SZ_S13_S14_S15_S18_S19_jS1A_jS1B_S1B_jjS1D_bEUljE0_EEESW_SX_SY_S15_S19_S1B_T6_T7_T9_mT8_S1D_bDpT10_ENKUlT_T0_E_clISt17integral_constantIbLb1EES1Q_IbLb0EEEEDaS1M_S1N_EUlS1M_E_NS1_11comp_targetILNS1_3genE10ELNS1_11target_archE1200ELNS1_3gpuE4ELNS1_3repE0EEENS1_30default_config_static_selectorELNS0_4arch9wavefront6targetE0EEEvSZ_.num_named_barrier, 0
	.set _ZN7rocprim17ROCPRIM_400000_NS6detail17trampoline_kernelINS0_13select_configILj256ELj13ELNS0_17block_load_methodE3ELS4_3ELS4_3ELNS0_20block_scan_algorithmE0ELj4294967295EEENS1_25partition_config_selectorILNS1_17partition_subalgoE4EjNS0_10empty_typeEbEEZZNS1_14partition_implILS8_4ELb0ES6_15HIP_vector_typeIjLj2EENS0_17counting_iteratorIjlEEPS9_SG_NS0_5tupleIJPjSI_NS0_16reverse_iteratorISI_EEEEENSH_IJSG_SG_SG_EEES9_SI_JZNS1_25segmented_radix_sort_implINS0_14default_configELb0EPKlPlSQ_SR_N2at6native12_GLOBAL__N_18offset_tEEE10hipError_tPvRmT1_PNSt15iterator_traitsISZ_E10value_typeET2_T3_PNS10_IS15_E10value_typeET4_jRbjT5_S1B_jjP12ihipStream_tbEUljE_ZNSN_ISO_Lb0ESQ_SR_SQ_SR_SV_EESW_SX_SY_SZ_S13_S14_S15_S18_S19_jS1A_jS1B_S1B_jjS1D_bEUljE0_EEESW_SX_SY_S15_S19_S1B_T6_T7_T9_mT8_S1D_bDpT10_ENKUlT_T0_E_clISt17integral_constantIbLb1EES1Q_IbLb0EEEEDaS1M_S1N_EUlS1M_E_NS1_11comp_targetILNS1_3genE10ELNS1_11target_archE1200ELNS1_3gpuE4ELNS1_3repE0EEENS1_30default_config_static_selectorELNS0_4arch9wavefront6targetE0EEEvSZ_.private_seg_size, 0
	.set _ZN7rocprim17ROCPRIM_400000_NS6detail17trampoline_kernelINS0_13select_configILj256ELj13ELNS0_17block_load_methodE3ELS4_3ELS4_3ELNS0_20block_scan_algorithmE0ELj4294967295EEENS1_25partition_config_selectorILNS1_17partition_subalgoE4EjNS0_10empty_typeEbEEZZNS1_14partition_implILS8_4ELb0ES6_15HIP_vector_typeIjLj2EENS0_17counting_iteratorIjlEEPS9_SG_NS0_5tupleIJPjSI_NS0_16reverse_iteratorISI_EEEEENSH_IJSG_SG_SG_EEES9_SI_JZNS1_25segmented_radix_sort_implINS0_14default_configELb0EPKlPlSQ_SR_N2at6native12_GLOBAL__N_18offset_tEEE10hipError_tPvRmT1_PNSt15iterator_traitsISZ_E10value_typeET2_T3_PNS10_IS15_E10value_typeET4_jRbjT5_S1B_jjP12ihipStream_tbEUljE_ZNSN_ISO_Lb0ESQ_SR_SQ_SR_SV_EESW_SX_SY_SZ_S13_S14_S15_S18_S19_jS1A_jS1B_S1B_jjS1D_bEUljE0_EEESW_SX_SY_S15_S19_S1B_T6_T7_T9_mT8_S1D_bDpT10_ENKUlT_T0_E_clISt17integral_constantIbLb1EES1Q_IbLb0EEEEDaS1M_S1N_EUlS1M_E_NS1_11comp_targetILNS1_3genE10ELNS1_11target_archE1200ELNS1_3gpuE4ELNS1_3repE0EEENS1_30default_config_static_selectorELNS0_4arch9wavefront6targetE0EEEvSZ_.uses_vcc, 0
	.set _ZN7rocprim17ROCPRIM_400000_NS6detail17trampoline_kernelINS0_13select_configILj256ELj13ELNS0_17block_load_methodE3ELS4_3ELS4_3ELNS0_20block_scan_algorithmE0ELj4294967295EEENS1_25partition_config_selectorILNS1_17partition_subalgoE4EjNS0_10empty_typeEbEEZZNS1_14partition_implILS8_4ELb0ES6_15HIP_vector_typeIjLj2EENS0_17counting_iteratorIjlEEPS9_SG_NS0_5tupleIJPjSI_NS0_16reverse_iteratorISI_EEEEENSH_IJSG_SG_SG_EEES9_SI_JZNS1_25segmented_radix_sort_implINS0_14default_configELb0EPKlPlSQ_SR_N2at6native12_GLOBAL__N_18offset_tEEE10hipError_tPvRmT1_PNSt15iterator_traitsISZ_E10value_typeET2_T3_PNS10_IS15_E10value_typeET4_jRbjT5_S1B_jjP12ihipStream_tbEUljE_ZNSN_ISO_Lb0ESQ_SR_SQ_SR_SV_EESW_SX_SY_SZ_S13_S14_S15_S18_S19_jS1A_jS1B_S1B_jjS1D_bEUljE0_EEESW_SX_SY_S15_S19_S1B_T6_T7_T9_mT8_S1D_bDpT10_ENKUlT_T0_E_clISt17integral_constantIbLb1EES1Q_IbLb0EEEEDaS1M_S1N_EUlS1M_E_NS1_11comp_targetILNS1_3genE10ELNS1_11target_archE1200ELNS1_3gpuE4ELNS1_3repE0EEENS1_30default_config_static_selectorELNS0_4arch9wavefront6targetE0EEEvSZ_.uses_flat_scratch, 0
	.set _ZN7rocprim17ROCPRIM_400000_NS6detail17trampoline_kernelINS0_13select_configILj256ELj13ELNS0_17block_load_methodE3ELS4_3ELS4_3ELNS0_20block_scan_algorithmE0ELj4294967295EEENS1_25partition_config_selectorILNS1_17partition_subalgoE4EjNS0_10empty_typeEbEEZZNS1_14partition_implILS8_4ELb0ES6_15HIP_vector_typeIjLj2EENS0_17counting_iteratorIjlEEPS9_SG_NS0_5tupleIJPjSI_NS0_16reverse_iteratorISI_EEEEENSH_IJSG_SG_SG_EEES9_SI_JZNS1_25segmented_radix_sort_implINS0_14default_configELb0EPKlPlSQ_SR_N2at6native12_GLOBAL__N_18offset_tEEE10hipError_tPvRmT1_PNSt15iterator_traitsISZ_E10value_typeET2_T3_PNS10_IS15_E10value_typeET4_jRbjT5_S1B_jjP12ihipStream_tbEUljE_ZNSN_ISO_Lb0ESQ_SR_SQ_SR_SV_EESW_SX_SY_SZ_S13_S14_S15_S18_S19_jS1A_jS1B_S1B_jjS1D_bEUljE0_EEESW_SX_SY_S15_S19_S1B_T6_T7_T9_mT8_S1D_bDpT10_ENKUlT_T0_E_clISt17integral_constantIbLb1EES1Q_IbLb0EEEEDaS1M_S1N_EUlS1M_E_NS1_11comp_targetILNS1_3genE10ELNS1_11target_archE1200ELNS1_3gpuE4ELNS1_3repE0EEENS1_30default_config_static_selectorELNS0_4arch9wavefront6targetE0EEEvSZ_.has_dyn_sized_stack, 0
	.set _ZN7rocprim17ROCPRIM_400000_NS6detail17trampoline_kernelINS0_13select_configILj256ELj13ELNS0_17block_load_methodE3ELS4_3ELS4_3ELNS0_20block_scan_algorithmE0ELj4294967295EEENS1_25partition_config_selectorILNS1_17partition_subalgoE4EjNS0_10empty_typeEbEEZZNS1_14partition_implILS8_4ELb0ES6_15HIP_vector_typeIjLj2EENS0_17counting_iteratorIjlEEPS9_SG_NS0_5tupleIJPjSI_NS0_16reverse_iteratorISI_EEEEENSH_IJSG_SG_SG_EEES9_SI_JZNS1_25segmented_radix_sort_implINS0_14default_configELb0EPKlPlSQ_SR_N2at6native12_GLOBAL__N_18offset_tEEE10hipError_tPvRmT1_PNSt15iterator_traitsISZ_E10value_typeET2_T3_PNS10_IS15_E10value_typeET4_jRbjT5_S1B_jjP12ihipStream_tbEUljE_ZNSN_ISO_Lb0ESQ_SR_SQ_SR_SV_EESW_SX_SY_SZ_S13_S14_S15_S18_S19_jS1A_jS1B_S1B_jjS1D_bEUljE0_EEESW_SX_SY_S15_S19_S1B_T6_T7_T9_mT8_S1D_bDpT10_ENKUlT_T0_E_clISt17integral_constantIbLb1EES1Q_IbLb0EEEEDaS1M_S1N_EUlS1M_E_NS1_11comp_targetILNS1_3genE10ELNS1_11target_archE1200ELNS1_3gpuE4ELNS1_3repE0EEENS1_30default_config_static_selectorELNS0_4arch9wavefront6targetE0EEEvSZ_.has_recursion, 0
	.set _ZN7rocprim17ROCPRIM_400000_NS6detail17trampoline_kernelINS0_13select_configILj256ELj13ELNS0_17block_load_methodE3ELS4_3ELS4_3ELNS0_20block_scan_algorithmE0ELj4294967295EEENS1_25partition_config_selectorILNS1_17partition_subalgoE4EjNS0_10empty_typeEbEEZZNS1_14partition_implILS8_4ELb0ES6_15HIP_vector_typeIjLj2EENS0_17counting_iteratorIjlEEPS9_SG_NS0_5tupleIJPjSI_NS0_16reverse_iteratorISI_EEEEENSH_IJSG_SG_SG_EEES9_SI_JZNS1_25segmented_radix_sort_implINS0_14default_configELb0EPKlPlSQ_SR_N2at6native12_GLOBAL__N_18offset_tEEE10hipError_tPvRmT1_PNSt15iterator_traitsISZ_E10value_typeET2_T3_PNS10_IS15_E10value_typeET4_jRbjT5_S1B_jjP12ihipStream_tbEUljE_ZNSN_ISO_Lb0ESQ_SR_SQ_SR_SV_EESW_SX_SY_SZ_S13_S14_S15_S18_S19_jS1A_jS1B_S1B_jjS1D_bEUljE0_EEESW_SX_SY_S15_S19_S1B_T6_T7_T9_mT8_S1D_bDpT10_ENKUlT_T0_E_clISt17integral_constantIbLb1EES1Q_IbLb0EEEEDaS1M_S1N_EUlS1M_E_NS1_11comp_targetILNS1_3genE10ELNS1_11target_archE1200ELNS1_3gpuE4ELNS1_3repE0EEENS1_30default_config_static_selectorELNS0_4arch9wavefront6targetE0EEEvSZ_.has_indirect_call, 0
	.section	.AMDGPU.csdata,"",@progbits
; Kernel info:
; codeLenInByte = 0
; TotalNumSgprs: 0
; NumVgprs: 0
; ScratchSize: 0
; MemoryBound: 0
; FloatMode: 240
; IeeeMode: 1
; LDSByteSize: 0 bytes/workgroup (compile time only)
; SGPRBlocks: 0
; VGPRBlocks: 0
; NumSGPRsForWavesPerEU: 1
; NumVGPRsForWavesPerEU: 1
; Occupancy: 16
; WaveLimiterHint : 0
; COMPUTE_PGM_RSRC2:SCRATCH_EN: 0
; COMPUTE_PGM_RSRC2:USER_SGPR: 6
; COMPUTE_PGM_RSRC2:TRAP_HANDLER: 0
; COMPUTE_PGM_RSRC2:TGID_X_EN: 1
; COMPUTE_PGM_RSRC2:TGID_Y_EN: 0
; COMPUTE_PGM_RSRC2:TGID_Z_EN: 0
; COMPUTE_PGM_RSRC2:TIDIG_COMP_CNT: 0
	.section	.text._ZN7rocprim17ROCPRIM_400000_NS6detail17trampoline_kernelINS0_13select_configILj256ELj13ELNS0_17block_load_methodE3ELS4_3ELS4_3ELNS0_20block_scan_algorithmE0ELj4294967295EEENS1_25partition_config_selectorILNS1_17partition_subalgoE4EjNS0_10empty_typeEbEEZZNS1_14partition_implILS8_4ELb0ES6_15HIP_vector_typeIjLj2EENS0_17counting_iteratorIjlEEPS9_SG_NS0_5tupleIJPjSI_NS0_16reverse_iteratorISI_EEEEENSH_IJSG_SG_SG_EEES9_SI_JZNS1_25segmented_radix_sort_implINS0_14default_configELb0EPKlPlSQ_SR_N2at6native12_GLOBAL__N_18offset_tEEE10hipError_tPvRmT1_PNSt15iterator_traitsISZ_E10value_typeET2_T3_PNS10_IS15_E10value_typeET4_jRbjT5_S1B_jjP12ihipStream_tbEUljE_ZNSN_ISO_Lb0ESQ_SR_SQ_SR_SV_EESW_SX_SY_SZ_S13_S14_S15_S18_S19_jS1A_jS1B_S1B_jjS1D_bEUljE0_EEESW_SX_SY_S15_S19_S1B_T6_T7_T9_mT8_S1D_bDpT10_ENKUlT_T0_E_clISt17integral_constantIbLb1EES1Q_IbLb0EEEEDaS1M_S1N_EUlS1M_E_NS1_11comp_targetILNS1_3genE9ELNS1_11target_archE1100ELNS1_3gpuE3ELNS1_3repE0EEENS1_30default_config_static_selectorELNS0_4arch9wavefront6targetE0EEEvSZ_,"axG",@progbits,_ZN7rocprim17ROCPRIM_400000_NS6detail17trampoline_kernelINS0_13select_configILj256ELj13ELNS0_17block_load_methodE3ELS4_3ELS4_3ELNS0_20block_scan_algorithmE0ELj4294967295EEENS1_25partition_config_selectorILNS1_17partition_subalgoE4EjNS0_10empty_typeEbEEZZNS1_14partition_implILS8_4ELb0ES6_15HIP_vector_typeIjLj2EENS0_17counting_iteratorIjlEEPS9_SG_NS0_5tupleIJPjSI_NS0_16reverse_iteratorISI_EEEEENSH_IJSG_SG_SG_EEES9_SI_JZNS1_25segmented_radix_sort_implINS0_14default_configELb0EPKlPlSQ_SR_N2at6native12_GLOBAL__N_18offset_tEEE10hipError_tPvRmT1_PNSt15iterator_traitsISZ_E10value_typeET2_T3_PNS10_IS15_E10value_typeET4_jRbjT5_S1B_jjP12ihipStream_tbEUljE_ZNSN_ISO_Lb0ESQ_SR_SQ_SR_SV_EESW_SX_SY_SZ_S13_S14_S15_S18_S19_jS1A_jS1B_S1B_jjS1D_bEUljE0_EEESW_SX_SY_S15_S19_S1B_T6_T7_T9_mT8_S1D_bDpT10_ENKUlT_T0_E_clISt17integral_constantIbLb1EES1Q_IbLb0EEEEDaS1M_S1N_EUlS1M_E_NS1_11comp_targetILNS1_3genE9ELNS1_11target_archE1100ELNS1_3gpuE3ELNS1_3repE0EEENS1_30default_config_static_selectorELNS0_4arch9wavefront6targetE0EEEvSZ_,comdat
	.globl	_ZN7rocprim17ROCPRIM_400000_NS6detail17trampoline_kernelINS0_13select_configILj256ELj13ELNS0_17block_load_methodE3ELS4_3ELS4_3ELNS0_20block_scan_algorithmE0ELj4294967295EEENS1_25partition_config_selectorILNS1_17partition_subalgoE4EjNS0_10empty_typeEbEEZZNS1_14partition_implILS8_4ELb0ES6_15HIP_vector_typeIjLj2EENS0_17counting_iteratorIjlEEPS9_SG_NS0_5tupleIJPjSI_NS0_16reverse_iteratorISI_EEEEENSH_IJSG_SG_SG_EEES9_SI_JZNS1_25segmented_radix_sort_implINS0_14default_configELb0EPKlPlSQ_SR_N2at6native12_GLOBAL__N_18offset_tEEE10hipError_tPvRmT1_PNSt15iterator_traitsISZ_E10value_typeET2_T3_PNS10_IS15_E10value_typeET4_jRbjT5_S1B_jjP12ihipStream_tbEUljE_ZNSN_ISO_Lb0ESQ_SR_SQ_SR_SV_EESW_SX_SY_SZ_S13_S14_S15_S18_S19_jS1A_jS1B_S1B_jjS1D_bEUljE0_EEESW_SX_SY_S15_S19_S1B_T6_T7_T9_mT8_S1D_bDpT10_ENKUlT_T0_E_clISt17integral_constantIbLb1EES1Q_IbLb0EEEEDaS1M_S1N_EUlS1M_E_NS1_11comp_targetILNS1_3genE9ELNS1_11target_archE1100ELNS1_3gpuE3ELNS1_3repE0EEENS1_30default_config_static_selectorELNS0_4arch9wavefront6targetE0EEEvSZ_ ; -- Begin function _ZN7rocprim17ROCPRIM_400000_NS6detail17trampoline_kernelINS0_13select_configILj256ELj13ELNS0_17block_load_methodE3ELS4_3ELS4_3ELNS0_20block_scan_algorithmE0ELj4294967295EEENS1_25partition_config_selectorILNS1_17partition_subalgoE4EjNS0_10empty_typeEbEEZZNS1_14partition_implILS8_4ELb0ES6_15HIP_vector_typeIjLj2EENS0_17counting_iteratorIjlEEPS9_SG_NS0_5tupleIJPjSI_NS0_16reverse_iteratorISI_EEEEENSH_IJSG_SG_SG_EEES9_SI_JZNS1_25segmented_radix_sort_implINS0_14default_configELb0EPKlPlSQ_SR_N2at6native12_GLOBAL__N_18offset_tEEE10hipError_tPvRmT1_PNSt15iterator_traitsISZ_E10value_typeET2_T3_PNS10_IS15_E10value_typeET4_jRbjT5_S1B_jjP12ihipStream_tbEUljE_ZNSN_ISO_Lb0ESQ_SR_SQ_SR_SV_EESW_SX_SY_SZ_S13_S14_S15_S18_S19_jS1A_jS1B_S1B_jjS1D_bEUljE0_EEESW_SX_SY_S15_S19_S1B_T6_T7_T9_mT8_S1D_bDpT10_ENKUlT_T0_E_clISt17integral_constantIbLb1EES1Q_IbLb0EEEEDaS1M_S1N_EUlS1M_E_NS1_11comp_targetILNS1_3genE9ELNS1_11target_archE1100ELNS1_3gpuE3ELNS1_3repE0EEENS1_30default_config_static_selectorELNS0_4arch9wavefront6targetE0EEEvSZ_
	.p2align	8
	.type	_ZN7rocprim17ROCPRIM_400000_NS6detail17trampoline_kernelINS0_13select_configILj256ELj13ELNS0_17block_load_methodE3ELS4_3ELS4_3ELNS0_20block_scan_algorithmE0ELj4294967295EEENS1_25partition_config_selectorILNS1_17partition_subalgoE4EjNS0_10empty_typeEbEEZZNS1_14partition_implILS8_4ELb0ES6_15HIP_vector_typeIjLj2EENS0_17counting_iteratorIjlEEPS9_SG_NS0_5tupleIJPjSI_NS0_16reverse_iteratorISI_EEEEENSH_IJSG_SG_SG_EEES9_SI_JZNS1_25segmented_radix_sort_implINS0_14default_configELb0EPKlPlSQ_SR_N2at6native12_GLOBAL__N_18offset_tEEE10hipError_tPvRmT1_PNSt15iterator_traitsISZ_E10value_typeET2_T3_PNS10_IS15_E10value_typeET4_jRbjT5_S1B_jjP12ihipStream_tbEUljE_ZNSN_ISO_Lb0ESQ_SR_SQ_SR_SV_EESW_SX_SY_SZ_S13_S14_S15_S18_S19_jS1A_jS1B_S1B_jjS1D_bEUljE0_EEESW_SX_SY_S15_S19_S1B_T6_T7_T9_mT8_S1D_bDpT10_ENKUlT_T0_E_clISt17integral_constantIbLb1EES1Q_IbLb0EEEEDaS1M_S1N_EUlS1M_E_NS1_11comp_targetILNS1_3genE9ELNS1_11target_archE1100ELNS1_3gpuE3ELNS1_3repE0EEENS1_30default_config_static_selectorELNS0_4arch9wavefront6targetE0EEEvSZ_,@function
_ZN7rocprim17ROCPRIM_400000_NS6detail17trampoline_kernelINS0_13select_configILj256ELj13ELNS0_17block_load_methodE3ELS4_3ELS4_3ELNS0_20block_scan_algorithmE0ELj4294967295EEENS1_25partition_config_selectorILNS1_17partition_subalgoE4EjNS0_10empty_typeEbEEZZNS1_14partition_implILS8_4ELb0ES6_15HIP_vector_typeIjLj2EENS0_17counting_iteratorIjlEEPS9_SG_NS0_5tupleIJPjSI_NS0_16reverse_iteratorISI_EEEEENSH_IJSG_SG_SG_EEES9_SI_JZNS1_25segmented_radix_sort_implINS0_14default_configELb0EPKlPlSQ_SR_N2at6native12_GLOBAL__N_18offset_tEEE10hipError_tPvRmT1_PNSt15iterator_traitsISZ_E10value_typeET2_T3_PNS10_IS15_E10value_typeET4_jRbjT5_S1B_jjP12ihipStream_tbEUljE_ZNSN_ISO_Lb0ESQ_SR_SQ_SR_SV_EESW_SX_SY_SZ_S13_S14_S15_S18_S19_jS1A_jS1B_S1B_jjS1D_bEUljE0_EEESW_SX_SY_S15_S19_S1B_T6_T7_T9_mT8_S1D_bDpT10_ENKUlT_T0_E_clISt17integral_constantIbLb1EES1Q_IbLb0EEEEDaS1M_S1N_EUlS1M_E_NS1_11comp_targetILNS1_3genE9ELNS1_11target_archE1100ELNS1_3gpuE3ELNS1_3repE0EEENS1_30default_config_static_selectorELNS0_4arch9wavefront6targetE0EEEvSZ_: ; @_ZN7rocprim17ROCPRIM_400000_NS6detail17trampoline_kernelINS0_13select_configILj256ELj13ELNS0_17block_load_methodE3ELS4_3ELS4_3ELNS0_20block_scan_algorithmE0ELj4294967295EEENS1_25partition_config_selectorILNS1_17partition_subalgoE4EjNS0_10empty_typeEbEEZZNS1_14partition_implILS8_4ELb0ES6_15HIP_vector_typeIjLj2EENS0_17counting_iteratorIjlEEPS9_SG_NS0_5tupleIJPjSI_NS0_16reverse_iteratorISI_EEEEENSH_IJSG_SG_SG_EEES9_SI_JZNS1_25segmented_radix_sort_implINS0_14default_configELb0EPKlPlSQ_SR_N2at6native12_GLOBAL__N_18offset_tEEE10hipError_tPvRmT1_PNSt15iterator_traitsISZ_E10value_typeET2_T3_PNS10_IS15_E10value_typeET4_jRbjT5_S1B_jjP12ihipStream_tbEUljE_ZNSN_ISO_Lb0ESQ_SR_SQ_SR_SV_EESW_SX_SY_SZ_S13_S14_S15_S18_S19_jS1A_jS1B_S1B_jjS1D_bEUljE0_EEESW_SX_SY_S15_S19_S1B_T6_T7_T9_mT8_S1D_bDpT10_ENKUlT_T0_E_clISt17integral_constantIbLb1EES1Q_IbLb0EEEEDaS1M_S1N_EUlS1M_E_NS1_11comp_targetILNS1_3genE9ELNS1_11target_archE1100ELNS1_3gpuE3ELNS1_3repE0EEENS1_30default_config_static_selectorELNS0_4arch9wavefront6targetE0EEEvSZ_
; %bb.0:
	.section	.rodata,"a",@progbits
	.p2align	6, 0x0
	.amdhsa_kernel _ZN7rocprim17ROCPRIM_400000_NS6detail17trampoline_kernelINS0_13select_configILj256ELj13ELNS0_17block_load_methodE3ELS4_3ELS4_3ELNS0_20block_scan_algorithmE0ELj4294967295EEENS1_25partition_config_selectorILNS1_17partition_subalgoE4EjNS0_10empty_typeEbEEZZNS1_14partition_implILS8_4ELb0ES6_15HIP_vector_typeIjLj2EENS0_17counting_iteratorIjlEEPS9_SG_NS0_5tupleIJPjSI_NS0_16reverse_iteratorISI_EEEEENSH_IJSG_SG_SG_EEES9_SI_JZNS1_25segmented_radix_sort_implINS0_14default_configELb0EPKlPlSQ_SR_N2at6native12_GLOBAL__N_18offset_tEEE10hipError_tPvRmT1_PNSt15iterator_traitsISZ_E10value_typeET2_T3_PNS10_IS15_E10value_typeET4_jRbjT5_S1B_jjP12ihipStream_tbEUljE_ZNSN_ISO_Lb0ESQ_SR_SQ_SR_SV_EESW_SX_SY_SZ_S13_S14_S15_S18_S19_jS1A_jS1B_S1B_jjS1D_bEUljE0_EEESW_SX_SY_S15_S19_S1B_T6_T7_T9_mT8_S1D_bDpT10_ENKUlT_T0_E_clISt17integral_constantIbLb1EES1Q_IbLb0EEEEDaS1M_S1N_EUlS1M_E_NS1_11comp_targetILNS1_3genE9ELNS1_11target_archE1100ELNS1_3gpuE3ELNS1_3repE0EEENS1_30default_config_static_selectorELNS0_4arch9wavefront6targetE0EEEvSZ_
		.amdhsa_group_segment_fixed_size 0
		.amdhsa_private_segment_fixed_size 0
		.amdhsa_kernarg_size 176
		.amdhsa_user_sgpr_count 6
		.amdhsa_user_sgpr_private_segment_buffer 1
		.amdhsa_user_sgpr_dispatch_ptr 0
		.amdhsa_user_sgpr_queue_ptr 0
		.amdhsa_user_sgpr_kernarg_segment_ptr 1
		.amdhsa_user_sgpr_dispatch_id 0
		.amdhsa_user_sgpr_flat_scratch_init 0
		.amdhsa_user_sgpr_private_segment_size 0
		.amdhsa_wavefront_size32 1
		.amdhsa_uses_dynamic_stack 0
		.amdhsa_system_sgpr_private_segment_wavefront_offset 0
		.amdhsa_system_sgpr_workgroup_id_x 1
		.amdhsa_system_sgpr_workgroup_id_y 0
		.amdhsa_system_sgpr_workgroup_id_z 0
		.amdhsa_system_sgpr_workgroup_info 0
		.amdhsa_system_vgpr_workitem_id 0
		.amdhsa_next_free_vgpr 1
		.amdhsa_next_free_sgpr 1
		.amdhsa_reserve_vcc 0
		.amdhsa_reserve_flat_scratch 0
		.amdhsa_float_round_mode_32 0
		.amdhsa_float_round_mode_16_64 0
		.amdhsa_float_denorm_mode_32 3
		.amdhsa_float_denorm_mode_16_64 3
		.amdhsa_dx10_clamp 1
		.amdhsa_ieee_mode 1
		.amdhsa_fp16_overflow 0
		.amdhsa_workgroup_processor_mode 1
		.amdhsa_memory_ordered 1
		.amdhsa_forward_progress 1
		.amdhsa_shared_vgpr_count 0
		.amdhsa_exception_fp_ieee_invalid_op 0
		.amdhsa_exception_fp_denorm_src 0
		.amdhsa_exception_fp_ieee_div_zero 0
		.amdhsa_exception_fp_ieee_overflow 0
		.amdhsa_exception_fp_ieee_underflow 0
		.amdhsa_exception_fp_ieee_inexact 0
		.amdhsa_exception_int_div_zero 0
	.end_amdhsa_kernel
	.section	.text._ZN7rocprim17ROCPRIM_400000_NS6detail17trampoline_kernelINS0_13select_configILj256ELj13ELNS0_17block_load_methodE3ELS4_3ELS4_3ELNS0_20block_scan_algorithmE0ELj4294967295EEENS1_25partition_config_selectorILNS1_17partition_subalgoE4EjNS0_10empty_typeEbEEZZNS1_14partition_implILS8_4ELb0ES6_15HIP_vector_typeIjLj2EENS0_17counting_iteratorIjlEEPS9_SG_NS0_5tupleIJPjSI_NS0_16reverse_iteratorISI_EEEEENSH_IJSG_SG_SG_EEES9_SI_JZNS1_25segmented_radix_sort_implINS0_14default_configELb0EPKlPlSQ_SR_N2at6native12_GLOBAL__N_18offset_tEEE10hipError_tPvRmT1_PNSt15iterator_traitsISZ_E10value_typeET2_T3_PNS10_IS15_E10value_typeET4_jRbjT5_S1B_jjP12ihipStream_tbEUljE_ZNSN_ISO_Lb0ESQ_SR_SQ_SR_SV_EESW_SX_SY_SZ_S13_S14_S15_S18_S19_jS1A_jS1B_S1B_jjS1D_bEUljE0_EEESW_SX_SY_S15_S19_S1B_T6_T7_T9_mT8_S1D_bDpT10_ENKUlT_T0_E_clISt17integral_constantIbLb1EES1Q_IbLb0EEEEDaS1M_S1N_EUlS1M_E_NS1_11comp_targetILNS1_3genE9ELNS1_11target_archE1100ELNS1_3gpuE3ELNS1_3repE0EEENS1_30default_config_static_selectorELNS0_4arch9wavefront6targetE0EEEvSZ_,"axG",@progbits,_ZN7rocprim17ROCPRIM_400000_NS6detail17trampoline_kernelINS0_13select_configILj256ELj13ELNS0_17block_load_methodE3ELS4_3ELS4_3ELNS0_20block_scan_algorithmE0ELj4294967295EEENS1_25partition_config_selectorILNS1_17partition_subalgoE4EjNS0_10empty_typeEbEEZZNS1_14partition_implILS8_4ELb0ES6_15HIP_vector_typeIjLj2EENS0_17counting_iteratorIjlEEPS9_SG_NS0_5tupleIJPjSI_NS0_16reverse_iteratorISI_EEEEENSH_IJSG_SG_SG_EEES9_SI_JZNS1_25segmented_radix_sort_implINS0_14default_configELb0EPKlPlSQ_SR_N2at6native12_GLOBAL__N_18offset_tEEE10hipError_tPvRmT1_PNSt15iterator_traitsISZ_E10value_typeET2_T3_PNS10_IS15_E10value_typeET4_jRbjT5_S1B_jjP12ihipStream_tbEUljE_ZNSN_ISO_Lb0ESQ_SR_SQ_SR_SV_EESW_SX_SY_SZ_S13_S14_S15_S18_S19_jS1A_jS1B_S1B_jjS1D_bEUljE0_EEESW_SX_SY_S15_S19_S1B_T6_T7_T9_mT8_S1D_bDpT10_ENKUlT_T0_E_clISt17integral_constantIbLb1EES1Q_IbLb0EEEEDaS1M_S1N_EUlS1M_E_NS1_11comp_targetILNS1_3genE9ELNS1_11target_archE1100ELNS1_3gpuE3ELNS1_3repE0EEENS1_30default_config_static_selectorELNS0_4arch9wavefront6targetE0EEEvSZ_,comdat
.Lfunc_end759:
	.size	_ZN7rocprim17ROCPRIM_400000_NS6detail17trampoline_kernelINS0_13select_configILj256ELj13ELNS0_17block_load_methodE3ELS4_3ELS4_3ELNS0_20block_scan_algorithmE0ELj4294967295EEENS1_25partition_config_selectorILNS1_17partition_subalgoE4EjNS0_10empty_typeEbEEZZNS1_14partition_implILS8_4ELb0ES6_15HIP_vector_typeIjLj2EENS0_17counting_iteratorIjlEEPS9_SG_NS0_5tupleIJPjSI_NS0_16reverse_iteratorISI_EEEEENSH_IJSG_SG_SG_EEES9_SI_JZNS1_25segmented_radix_sort_implINS0_14default_configELb0EPKlPlSQ_SR_N2at6native12_GLOBAL__N_18offset_tEEE10hipError_tPvRmT1_PNSt15iterator_traitsISZ_E10value_typeET2_T3_PNS10_IS15_E10value_typeET4_jRbjT5_S1B_jjP12ihipStream_tbEUljE_ZNSN_ISO_Lb0ESQ_SR_SQ_SR_SV_EESW_SX_SY_SZ_S13_S14_S15_S18_S19_jS1A_jS1B_S1B_jjS1D_bEUljE0_EEESW_SX_SY_S15_S19_S1B_T6_T7_T9_mT8_S1D_bDpT10_ENKUlT_T0_E_clISt17integral_constantIbLb1EES1Q_IbLb0EEEEDaS1M_S1N_EUlS1M_E_NS1_11comp_targetILNS1_3genE9ELNS1_11target_archE1100ELNS1_3gpuE3ELNS1_3repE0EEENS1_30default_config_static_selectorELNS0_4arch9wavefront6targetE0EEEvSZ_, .Lfunc_end759-_ZN7rocprim17ROCPRIM_400000_NS6detail17trampoline_kernelINS0_13select_configILj256ELj13ELNS0_17block_load_methodE3ELS4_3ELS4_3ELNS0_20block_scan_algorithmE0ELj4294967295EEENS1_25partition_config_selectorILNS1_17partition_subalgoE4EjNS0_10empty_typeEbEEZZNS1_14partition_implILS8_4ELb0ES6_15HIP_vector_typeIjLj2EENS0_17counting_iteratorIjlEEPS9_SG_NS0_5tupleIJPjSI_NS0_16reverse_iteratorISI_EEEEENSH_IJSG_SG_SG_EEES9_SI_JZNS1_25segmented_radix_sort_implINS0_14default_configELb0EPKlPlSQ_SR_N2at6native12_GLOBAL__N_18offset_tEEE10hipError_tPvRmT1_PNSt15iterator_traitsISZ_E10value_typeET2_T3_PNS10_IS15_E10value_typeET4_jRbjT5_S1B_jjP12ihipStream_tbEUljE_ZNSN_ISO_Lb0ESQ_SR_SQ_SR_SV_EESW_SX_SY_SZ_S13_S14_S15_S18_S19_jS1A_jS1B_S1B_jjS1D_bEUljE0_EEESW_SX_SY_S15_S19_S1B_T6_T7_T9_mT8_S1D_bDpT10_ENKUlT_T0_E_clISt17integral_constantIbLb1EES1Q_IbLb0EEEEDaS1M_S1N_EUlS1M_E_NS1_11comp_targetILNS1_3genE9ELNS1_11target_archE1100ELNS1_3gpuE3ELNS1_3repE0EEENS1_30default_config_static_selectorELNS0_4arch9wavefront6targetE0EEEvSZ_
                                        ; -- End function
	.set _ZN7rocprim17ROCPRIM_400000_NS6detail17trampoline_kernelINS0_13select_configILj256ELj13ELNS0_17block_load_methodE3ELS4_3ELS4_3ELNS0_20block_scan_algorithmE0ELj4294967295EEENS1_25partition_config_selectorILNS1_17partition_subalgoE4EjNS0_10empty_typeEbEEZZNS1_14partition_implILS8_4ELb0ES6_15HIP_vector_typeIjLj2EENS0_17counting_iteratorIjlEEPS9_SG_NS0_5tupleIJPjSI_NS0_16reverse_iteratorISI_EEEEENSH_IJSG_SG_SG_EEES9_SI_JZNS1_25segmented_radix_sort_implINS0_14default_configELb0EPKlPlSQ_SR_N2at6native12_GLOBAL__N_18offset_tEEE10hipError_tPvRmT1_PNSt15iterator_traitsISZ_E10value_typeET2_T3_PNS10_IS15_E10value_typeET4_jRbjT5_S1B_jjP12ihipStream_tbEUljE_ZNSN_ISO_Lb0ESQ_SR_SQ_SR_SV_EESW_SX_SY_SZ_S13_S14_S15_S18_S19_jS1A_jS1B_S1B_jjS1D_bEUljE0_EEESW_SX_SY_S15_S19_S1B_T6_T7_T9_mT8_S1D_bDpT10_ENKUlT_T0_E_clISt17integral_constantIbLb1EES1Q_IbLb0EEEEDaS1M_S1N_EUlS1M_E_NS1_11comp_targetILNS1_3genE9ELNS1_11target_archE1100ELNS1_3gpuE3ELNS1_3repE0EEENS1_30default_config_static_selectorELNS0_4arch9wavefront6targetE0EEEvSZ_.num_vgpr, 0
	.set _ZN7rocprim17ROCPRIM_400000_NS6detail17trampoline_kernelINS0_13select_configILj256ELj13ELNS0_17block_load_methodE3ELS4_3ELS4_3ELNS0_20block_scan_algorithmE0ELj4294967295EEENS1_25partition_config_selectorILNS1_17partition_subalgoE4EjNS0_10empty_typeEbEEZZNS1_14partition_implILS8_4ELb0ES6_15HIP_vector_typeIjLj2EENS0_17counting_iteratorIjlEEPS9_SG_NS0_5tupleIJPjSI_NS0_16reverse_iteratorISI_EEEEENSH_IJSG_SG_SG_EEES9_SI_JZNS1_25segmented_radix_sort_implINS0_14default_configELb0EPKlPlSQ_SR_N2at6native12_GLOBAL__N_18offset_tEEE10hipError_tPvRmT1_PNSt15iterator_traitsISZ_E10value_typeET2_T3_PNS10_IS15_E10value_typeET4_jRbjT5_S1B_jjP12ihipStream_tbEUljE_ZNSN_ISO_Lb0ESQ_SR_SQ_SR_SV_EESW_SX_SY_SZ_S13_S14_S15_S18_S19_jS1A_jS1B_S1B_jjS1D_bEUljE0_EEESW_SX_SY_S15_S19_S1B_T6_T7_T9_mT8_S1D_bDpT10_ENKUlT_T0_E_clISt17integral_constantIbLb1EES1Q_IbLb0EEEEDaS1M_S1N_EUlS1M_E_NS1_11comp_targetILNS1_3genE9ELNS1_11target_archE1100ELNS1_3gpuE3ELNS1_3repE0EEENS1_30default_config_static_selectorELNS0_4arch9wavefront6targetE0EEEvSZ_.num_agpr, 0
	.set _ZN7rocprim17ROCPRIM_400000_NS6detail17trampoline_kernelINS0_13select_configILj256ELj13ELNS0_17block_load_methodE3ELS4_3ELS4_3ELNS0_20block_scan_algorithmE0ELj4294967295EEENS1_25partition_config_selectorILNS1_17partition_subalgoE4EjNS0_10empty_typeEbEEZZNS1_14partition_implILS8_4ELb0ES6_15HIP_vector_typeIjLj2EENS0_17counting_iteratorIjlEEPS9_SG_NS0_5tupleIJPjSI_NS0_16reverse_iteratorISI_EEEEENSH_IJSG_SG_SG_EEES9_SI_JZNS1_25segmented_radix_sort_implINS0_14default_configELb0EPKlPlSQ_SR_N2at6native12_GLOBAL__N_18offset_tEEE10hipError_tPvRmT1_PNSt15iterator_traitsISZ_E10value_typeET2_T3_PNS10_IS15_E10value_typeET4_jRbjT5_S1B_jjP12ihipStream_tbEUljE_ZNSN_ISO_Lb0ESQ_SR_SQ_SR_SV_EESW_SX_SY_SZ_S13_S14_S15_S18_S19_jS1A_jS1B_S1B_jjS1D_bEUljE0_EEESW_SX_SY_S15_S19_S1B_T6_T7_T9_mT8_S1D_bDpT10_ENKUlT_T0_E_clISt17integral_constantIbLb1EES1Q_IbLb0EEEEDaS1M_S1N_EUlS1M_E_NS1_11comp_targetILNS1_3genE9ELNS1_11target_archE1100ELNS1_3gpuE3ELNS1_3repE0EEENS1_30default_config_static_selectorELNS0_4arch9wavefront6targetE0EEEvSZ_.numbered_sgpr, 0
	.set _ZN7rocprim17ROCPRIM_400000_NS6detail17trampoline_kernelINS0_13select_configILj256ELj13ELNS0_17block_load_methodE3ELS4_3ELS4_3ELNS0_20block_scan_algorithmE0ELj4294967295EEENS1_25partition_config_selectorILNS1_17partition_subalgoE4EjNS0_10empty_typeEbEEZZNS1_14partition_implILS8_4ELb0ES6_15HIP_vector_typeIjLj2EENS0_17counting_iteratorIjlEEPS9_SG_NS0_5tupleIJPjSI_NS0_16reverse_iteratorISI_EEEEENSH_IJSG_SG_SG_EEES9_SI_JZNS1_25segmented_radix_sort_implINS0_14default_configELb0EPKlPlSQ_SR_N2at6native12_GLOBAL__N_18offset_tEEE10hipError_tPvRmT1_PNSt15iterator_traitsISZ_E10value_typeET2_T3_PNS10_IS15_E10value_typeET4_jRbjT5_S1B_jjP12ihipStream_tbEUljE_ZNSN_ISO_Lb0ESQ_SR_SQ_SR_SV_EESW_SX_SY_SZ_S13_S14_S15_S18_S19_jS1A_jS1B_S1B_jjS1D_bEUljE0_EEESW_SX_SY_S15_S19_S1B_T6_T7_T9_mT8_S1D_bDpT10_ENKUlT_T0_E_clISt17integral_constantIbLb1EES1Q_IbLb0EEEEDaS1M_S1N_EUlS1M_E_NS1_11comp_targetILNS1_3genE9ELNS1_11target_archE1100ELNS1_3gpuE3ELNS1_3repE0EEENS1_30default_config_static_selectorELNS0_4arch9wavefront6targetE0EEEvSZ_.num_named_barrier, 0
	.set _ZN7rocprim17ROCPRIM_400000_NS6detail17trampoline_kernelINS0_13select_configILj256ELj13ELNS0_17block_load_methodE3ELS4_3ELS4_3ELNS0_20block_scan_algorithmE0ELj4294967295EEENS1_25partition_config_selectorILNS1_17partition_subalgoE4EjNS0_10empty_typeEbEEZZNS1_14partition_implILS8_4ELb0ES6_15HIP_vector_typeIjLj2EENS0_17counting_iteratorIjlEEPS9_SG_NS0_5tupleIJPjSI_NS0_16reverse_iteratorISI_EEEEENSH_IJSG_SG_SG_EEES9_SI_JZNS1_25segmented_radix_sort_implINS0_14default_configELb0EPKlPlSQ_SR_N2at6native12_GLOBAL__N_18offset_tEEE10hipError_tPvRmT1_PNSt15iterator_traitsISZ_E10value_typeET2_T3_PNS10_IS15_E10value_typeET4_jRbjT5_S1B_jjP12ihipStream_tbEUljE_ZNSN_ISO_Lb0ESQ_SR_SQ_SR_SV_EESW_SX_SY_SZ_S13_S14_S15_S18_S19_jS1A_jS1B_S1B_jjS1D_bEUljE0_EEESW_SX_SY_S15_S19_S1B_T6_T7_T9_mT8_S1D_bDpT10_ENKUlT_T0_E_clISt17integral_constantIbLb1EES1Q_IbLb0EEEEDaS1M_S1N_EUlS1M_E_NS1_11comp_targetILNS1_3genE9ELNS1_11target_archE1100ELNS1_3gpuE3ELNS1_3repE0EEENS1_30default_config_static_selectorELNS0_4arch9wavefront6targetE0EEEvSZ_.private_seg_size, 0
	.set _ZN7rocprim17ROCPRIM_400000_NS6detail17trampoline_kernelINS0_13select_configILj256ELj13ELNS0_17block_load_methodE3ELS4_3ELS4_3ELNS0_20block_scan_algorithmE0ELj4294967295EEENS1_25partition_config_selectorILNS1_17partition_subalgoE4EjNS0_10empty_typeEbEEZZNS1_14partition_implILS8_4ELb0ES6_15HIP_vector_typeIjLj2EENS0_17counting_iteratorIjlEEPS9_SG_NS0_5tupleIJPjSI_NS0_16reverse_iteratorISI_EEEEENSH_IJSG_SG_SG_EEES9_SI_JZNS1_25segmented_radix_sort_implINS0_14default_configELb0EPKlPlSQ_SR_N2at6native12_GLOBAL__N_18offset_tEEE10hipError_tPvRmT1_PNSt15iterator_traitsISZ_E10value_typeET2_T3_PNS10_IS15_E10value_typeET4_jRbjT5_S1B_jjP12ihipStream_tbEUljE_ZNSN_ISO_Lb0ESQ_SR_SQ_SR_SV_EESW_SX_SY_SZ_S13_S14_S15_S18_S19_jS1A_jS1B_S1B_jjS1D_bEUljE0_EEESW_SX_SY_S15_S19_S1B_T6_T7_T9_mT8_S1D_bDpT10_ENKUlT_T0_E_clISt17integral_constantIbLb1EES1Q_IbLb0EEEEDaS1M_S1N_EUlS1M_E_NS1_11comp_targetILNS1_3genE9ELNS1_11target_archE1100ELNS1_3gpuE3ELNS1_3repE0EEENS1_30default_config_static_selectorELNS0_4arch9wavefront6targetE0EEEvSZ_.uses_vcc, 0
	.set _ZN7rocprim17ROCPRIM_400000_NS6detail17trampoline_kernelINS0_13select_configILj256ELj13ELNS0_17block_load_methodE3ELS4_3ELS4_3ELNS0_20block_scan_algorithmE0ELj4294967295EEENS1_25partition_config_selectorILNS1_17partition_subalgoE4EjNS0_10empty_typeEbEEZZNS1_14partition_implILS8_4ELb0ES6_15HIP_vector_typeIjLj2EENS0_17counting_iteratorIjlEEPS9_SG_NS0_5tupleIJPjSI_NS0_16reverse_iteratorISI_EEEEENSH_IJSG_SG_SG_EEES9_SI_JZNS1_25segmented_radix_sort_implINS0_14default_configELb0EPKlPlSQ_SR_N2at6native12_GLOBAL__N_18offset_tEEE10hipError_tPvRmT1_PNSt15iterator_traitsISZ_E10value_typeET2_T3_PNS10_IS15_E10value_typeET4_jRbjT5_S1B_jjP12ihipStream_tbEUljE_ZNSN_ISO_Lb0ESQ_SR_SQ_SR_SV_EESW_SX_SY_SZ_S13_S14_S15_S18_S19_jS1A_jS1B_S1B_jjS1D_bEUljE0_EEESW_SX_SY_S15_S19_S1B_T6_T7_T9_mT8_S1D_bDpT10_ENKUlT_T0_E_clISt17integral_constantIbLb1EES1Q_IbLb0EEEEDaS1M_S1N_EUlS1M_E_NS1_11comp_targetILNS1_3genE9ELNS1_11target_archE1100ELNS1_3gpuE3ELNS1_3repE0EEENS1_30default_config_static_selectorELNS0_4arch9wavefront6targetE0EEEvSZ_.uses_flat_scratch, 0
	.set _ZN7rocprim17ROCPRIM_400000_NS6detail17trampoline_kernelINS0_13select_configILj256ELj13ELNS0_17block_load_methodE3ELS4_3ELS4_3ELNS0_20block_scan_algorithmE0ELj4294967295EEENS1_25partition_config_selectorILNS1_17partition_subalgoE4EjNS0_10empty_typeEbEEZZNS1_14partition_implILS8_4ELb0ES6_15HIP_vector_typeIjLj2EENS0_17counting_iteratorIjlEEPS9_SG_NS0_5tupleIJPjSI_NS0_16reverse_iteratorISI_EEEEENSH_IJSG_SG_SG_EEES9_SI_JZNS1_25segmented_radix_sort_implINS0_14default_configELb0EPKlPlSQ_SR_N2at6native12_GLOBAL__N_18offset_tEEE10hipError_tPvRmT1_PNSt15iterator_traitsISZ_E10value_typeET2_T3_PNS10_IS15_E10value_typeET4_jRbjT5_S1B_jjP12ihipStream_tbEUljE_ZNSN_ISO_Lb0ESQ_SR_SQ_SR_SV_EESW_SX_SY_SZ_S13_S14_S15_S18_S19_jS1A_jS1B_S1B_jjS1D_bEUljE0_EEESW_SX_SY_S15_S19_S1B_T6_T7_T9_mT8_S1D_bDpT10_ENKUlT_T0_E_clISt17integral_constantIbLb1EES1Q_IbLb0EEEEDaS1M_S1N_EUlS1M_E_NS1_11comp_targetILNS1_3genE9ELNS1_11target_archE1100ELNS1_3gpuE3ELNS1_3repE0EEENS1_30default_config_static_selectorELNS0_4arch9wavefront6targetE0EEEvSZ_.has_dyn_sized_stack, 0
	.set _ZN7rocprim17ROCPRIM_400000_NS6detail17trampoline_kernelINS0_13select_configILj256ELj13ELNS0_17block_load_methodE3ELS4_3ELS4_3ELNS0_20block_scan_algorithmE0ELj4294967295EEENS1_25partition_config_selectorILNS1_17partition_subalgoE4EjNS0_10empty_typeEbEEZZNS1_14partition_implILS8_4ELb0ES6_15HIP_vector_typeIjLj2EENS0_17counting_iteratorIjlEEPS9_SG_NS0_5tupleIJPjSI_NS0_16reverse_iteratorISI_EEEEENSH_IJSG_SG_SG_EEES9_SI_JZNS1_25segmented_radix_sort_implINS0_14default_configELb0EPKlPlSQ_SR_N2at6native12_GLOBAL__N_18offset_tEEE10hipError_tPvRmT1_PNSt15iterator_traitsISZ_E10value_typeET2_T3_PNS10_IS15_E10value_typeET4_jRbjT5_S1B_jjP12ihipStream_tbEUljE_ZNSN_ISO_Lb0ESQ_SR_SQ_SR_SV_EESW_SX_SY_SZ_S13_S14_S15_S18_S19_jS1A_jS1B_S1B_jjS1D_bEUljE0_EEESW_SX_SY_S15_S19_S1B_T6_T7_T9_mT8_S1D_bDpT10_ENKUlT_T0_E_clISt17integral_constantIbLb1EES1Q_IbLb0EEEEDaS1M_S1N_EUlS1M_E_NS1_11comp_targetILNS1_3genE9ELNS1_11target_archE1100ELNS1_3gpuE3ELNS1_3repE0EEENS1_30default_config_static_selectorELNS0_4arch9wavefront6targetE0EEEvSZ_.has_recursion, 0
	.set _ZN7rocprim17ROCPRIM_400000_NS6detail17trampoline_kernelINS0_13select_configILj256ELj13ELNS0_17block_load_methodE3ELS4_3ELS4_3ELNS0_20block_scan_algorithmE0ELj4294967295EEENS1_25partition_config_selectorILNS1_17partition_subalgoE4EjNS0_10empty_typeEbEEZZNS1_14partition_implILS8_4ELb0ES6_15HIP_vector_typeIjLj2EENS0_17counting_iteratorIjlEEPS9_SG_NS0_5tupleIJPjSI_NS0_16reverse_iteratorISI_EEEEENSH_IJSG_SG_SG_EEES9_SI_JZNS1_25segmented_radix_sort_implINS0_14default_configELb0EPKlPlSQ_SR_N2at6native12_GLOBAL__N_18offset_tEEE10hipError_tPvRmT1_PNSt15iterator_traitsISZ_E10value_typeET2_T3_PNS10_IS15_E10value_typeET4_jRbjT5_S1B_jjP12ihipStream_tbEUljE_ZNSN_ISO_Lb0ESQ_SR_SQ_SR_SV_EESW_SX_SY_SZ_S13_S14_S15_S18_S19_jS1A_jS1B_S1B_jjS1D_bEUljE0_EEESW_SX_SY_S15_S19_S1B_T6_T7_T9_mT8_S1D_bDpT10_ENKUlT_T0_E_clISt17integral_constantIbLb1EES1Q_IbLb0EEEEDaS1M_S1N_EUlS1M_E_NS1_11comp_targetILNS1_3genE9ELNS1_11target_archE1100ELNS1_3gpuE3ELNS1_3repE0EEENS1_30default_config_static_selectorELNS0_4arch9wavefront6targetE0EEEvSZ_.has_indirect_call, 0
	.section	.AMDGPU.csdata,"",@progbits
; Kernel info:
; codeLenInByte = 0
; TotalNumSgprs: 0
; NumVgprs: 0
; ScratchSize: 0
; MemoryBound: 0
; FloatMode: 240
; IeeeMode: 1
; LDSByteSize: 0 bytes/workgroup (compile time only)
; SGPRBlocks: 0
; VGPRBlocks: 0
; NumSGPRsForWavesPerEU: 1
; NumVGPRsForWavesPerEU: 1
; Occupancy: 16
; WaveLimiterHint : 0
; COMPUTE_PGM_RSRC2:SCRATCH_EN: 0
; COMPUTE_PGM_RSRC2:USER_SGPR: 6
; COMPUTE_PGM_RSRC2:TRAP_HANDLER: 0
; COMPUTE_PGM_RSRC2:TGID_X_EN: 1
; COMPUTE_PGM_RSRC2:TGID_Y_EN: 0
; COMPUTE_PGM_RSRC2:TGID_Z_EN: 0
; COMPUTE_PGM_RSRC2:TIDIG_COMP_CNT: 0
	.section	.text._ZN7rocprim17ROCPRIM_400000_NS6detail17trampoline_kernelINS0_13select_configILj256ELj13ELNS0_17block_load_methodE3ELS4_3ELS4_3ELNS0_20block_scan_algorithmE0ELj4294967295EEENS1_25partition_config_selectorILNS1_17partition_subalgoE4EjNS0_10empty_typeEbEEZZNS1_14partition_implILS8_4ELb0ES6_15HIP_vector_typeIjLj2EENS0_17counting_iteratorIjlEEPS9_SG_NS0_5tupleIJPjSI_NS0_16reverse_iteratorISI_EEEEENSH_IJSG_SG_SG_EEES9_SI_JZNS1_25segmented_radix_sort_implINS0_14default_configELb0EPKlPlSQ_SR_N2at6native12_GLOBAL__N_18offset_tEEE10hipError_tPvRmT1_PNSt15iterator_traitsISZ_E10value_typeET2_T3_PNS10_IS15_E10value_typeET4_jRbjT5_S1B_jjP12ihipStream_tbEUljE_ZNSN_ISO_Lb0ESQ_SR_SQ_SR_SV_EESW_SX_SY_SZ_S13_S14_S15_S18_S19_jS1A_jS1B_S1B_jjS1D_bEUljE0_EEESW_SX_SY_S15_S19_S1B_T6_T7_T9_mT8_S1D_bDpT10_ENKUlT_T0_E_clISt17integral_constantIbLb1EES1Q_IbLb0EEEEDaS1M_S1N_EUlS1M_E_NS1_11comp_targetILNS1_3genE8ELNS1_11target_archE1030ELNS1_3gpuE2ELNS1_3repE0EEENS1_30default_config_static_selectorELNS0_4arch9wavefront6targetE0EEEvSZ_,"axG",@progbits,_ZN7rocprim17ROCPRIM_400000_NS6detail17trampoline_kernelINS0_13select_configILj256ELj13ELNS0_17block_load_methodE3ELS4_3ELS4_3ELNS0_20block_scan_algorithmE0ELj4294967295EEENS1_25partition_config_selectorILNS1_17partition_subalgoE4EjNS0_10empty_typeEbEEZZNS1_14partition_implILS8_4ELb0ES6_15HIP_vector_typeIjLj2EENS0_17counting_iteratorIjlEEPS9_SG_NS0_5tupleIJPjSI_NS0_16reverse_iteratorISI_EEEEENSH_IJSG_SG_SG_EEES9_SI_JZNS1_25segmented_radix_sort_implINS0_14default_configELb0EPKlPlSQ_SR_N2at6native12_GLOBAL__N_18offset_tEEE10hipError_tPvRmT1_PNSt15iterator_traitsISZ_E10value_typeET2_T3_PNS10_IS15_E10value_typeET4_jRbjT5_S1B_jjP12ihipStream_tbEUljE_ZNSN_ISO_Lb0ESQ_SR_SQ_SR_SV_EESW_SX_SY_SZ_S13_S14_S15_S18_S19_jS1A_jS1B_S1B_jjS1D_bEUljE0_EEESW_SX_SY_S15_S19_S1B_T6_T7_T9_mT8_S1D_bDpT10_ENKUlT_T0_E_clISt17integral_constantIbLb1EES1Q_IbLb0EEEEDaS1M_S1N_EUlS1M_E_NS1_11comp_targetILNS1_3genE8ELNS1_11target_archE1030ELNS1_3gpuE2ELNS1_3repE0EEENS1_30default_config_static_selectorELNS0_4arch9wavefront6targetE0EEEvSZ_,comdat
	.globl	_ZN7rocprim17ROCPRIM_400000_NS6detail17trampoline_kernelINS0_13select_configILj256ELj13ELNS0_17block_load_methodE3ELS4_3ELS4_3ELNS0_20block_scan_algorithmE0ELj4294967295EEENS1_25partition_config_selectorILNS1_17partition_subalgoE4EjNS0_10empty_typeEbEEZZNS1_14partition_implILS8_4ELb0ES6_15HIP_vector_typeIjLj2EENS0_17counting_iteratorIjlEEPS9_SG_NS0_5tupleIJPjSI_NS0_16reverse_iteratorISI_EEEEENSH_IJSG_SG_SG_EEES9_SI_JZNS1_25segmented_radix_sort_implINS0_14default_configELb0EPKlPlSQ_SR_N2at6native12_GLOBAL__N_18offset_tEEE10hipError_tPvRmT1_PNSt15iterator_traitsISZ_E10value_typeET2_T3_PNS10_IS15_E10value_typeET4_jRbjT5_S1B_jjP12ihipStream_tbEUljE_ZNSN_ISO_Lb0ESQ_SR_SQ_SR_SV_EESW_SX_SY_SZ_S13_S14_S15_S18_S19_jS1A_jS1B_S1B_jjS1D_bEUljE0_EEESW_SX_SY_S15_S19_S1B_T6_T7_T9_mT8_S1D_bDpT10_ENKUlT_T0_E_clISt17integral_constantIbLb1EES1Q_IbLb0EEEEDaS1M_S1N_EUlS1M_E_NS1_11comp_targetILNS1_3genE8ELNS1_11target_archE1030ELNS1_3gpuE2ELNS1_3repE0EEENS1_30default_config_static_selectorELNS0_4arch9wavefront6targetE0EEEvSZ_ ; -- Begin function _ZN7rocprim17ROCPRIM_400000_NS6detail17trampoline_kernelINS0_13select_configILj256ELj13ELNS0_17block_load_methodE3ELS4_3ELS4_3ELNS0_20block_scan_algorithmE0ELj4294967295EEENS1_25partition_config_selectorILNS1_17partition_subalgoE4EjNS0_10empty_typeEbEEZZNS1_14partition_implILS8_4ELb0ES6_15HIP_vector_typeIjLj2EENS0_17counting_iteratorIjlEEPS9_SG_NS0_5tupleIJPjSI_NS0_16reverse_iteratorISI_EEEEENSH_IJSG_SG_SG_EEES9_SI_JZNS1_25segmented_radix_sort_implINS0_14default_configELb0EPKlPlSQ_SR_N2at6native12_GLOBAL__N_18offset_tEEE10hipError_tPvRmT1_PNSt15iterator_traitsISZ_E10value_typeET2_T3_PNS10_IS15_E10value_typeET4_jRbjT5_S1B_jjP12ihipStream_tbEUljE_ZNSN_ISO_Lb0ESQ_SR_SQ_SR_SV_EESW_SX_SY_SZ_S13_S14_S15_S18_S19_jS1A_jS1B_S1B_jjS1D_bEUljE0_EEESW_SX_SY_S15_S19_S1B_T6_T7_T9_mT8_S1D_bDpT10_ENKUlT_T0_E_clISt17integral_constantIbLb1EES1Q_IbLb0EEEEDaS1M_S1N_EUlS1M_E_NS1_11comp_targetILNS1_3genE8ELNS1_11target_archE1030ELNS1_3gpuE2ELNS1_3repE0EEENS1_30default_config_static_selectorELNS0_4arch9wavefront6targetE0EEEvSZ_
	.p2align	8
	.type	_ZN7rocprim17ROCPRIM_400000_NS6detail17trampoline_kernelINS0_13select_configILj256ELj13ELNS0_17block_load_methodE3ELS4_3ELS4_3ELNS0_20block_scan_algorithmE0ELj4294967295EEENS1_25partition_config_selectorILNS1_17partition_subalgoE4EjNS0_10empty_typeEbEEZZNS1_14partition_implILS8_4ELb0ES6_15HIP_vector_typeIjLj2EENS0_17counting_iteratorIjlEEPS9_SG_NS0_5tupleIJPjSI_NS0_16reverse_iteratorISI_EEEEENSH_IJSG_SG_SG_EEES9_SI_JZNS1_25segmented_radix_sort_implINS0_14default_configELb0EPKlPlSQ_SR_N2at6native12_GLOBAL__N_18offset_tEEE10hipError_tPvRmT1_PNSt15iterator_traitsISZ_E10value_typeET2_T3_PNS10_IS15_E10value_typeET4_jRbjT5_S1B_jjP12ihipStream_tbEUljE_ZNSN_ISO_Lb0ESQ_SR_SQ_SR_SV_EESW_SX_SY_SZ_S13_S14_S15_S18_S19_jS1A_jS1B_S1B_jjS1D_bEUljE0_EEESW_SX_SY_S15_S19_S1B_T6_T7_T9_mT8_S1D_bDpT10_ENKUlT_T0_E_clISt17integral_constantIbLb1EES1Q_IbLb0EEEEDaS1M_S1N_EUlS1M_E_NS1_11comp_targetILNS1_3genE8ELNS1_11target_archE1030ELNS1_3gpuE2ELNS1_3repE0EEENS1_30default_config_static_selectorELNS0_4arch9wavefront6targetE0EEEvSZ_,@function
_ZN7rocprim17ROCPRIM_400000_NS6detail17trampoline_kernelINS0_13select_configILj256ELj13ELNS0_17block_load_methodE3ELS4_3ELS4_3ELNS0_20block_scan_algorithmE0ELj4294967295EEENS1_25partition_config_selectorILNS1_17partition_subalgoE4EjNS0_10empty_typeEbEEZZNS1_14partition_implILS8_4ELb0ES6_15HIP_vector_typeIjLj2EENS0_17counting_iteratorIjlEEPS9_SG_NS0_5tupleIJPjSI_NS0_16reverse_iteratorISI_EEEEENSH_IJSG_SG_SG_EEES9_SI_JZNS1_25segmented_radix_sort_implINS0_14default_configELb0EPKlPlSQ_SR_N2at6native12_GLOBAL__N_18offset_tEEE10hipError_tPvRmT1_PNSt15iterator_traitsISZ_E10value_typeET2_T3_PNS10_IS15_E10value_typeET4_jRbjT5_S1B_jjP12ihipStream_tbEUljE_ZNSN_ISO_Lb0ESQ_SR_SQ_SR_SV_EESW_SX_SY_SZ_S13_S14_S15_S18_S19_jS1A_jS1B_S1B_jjS1D_bEUljE0_EEESW_SX_SY_S15_S19_S1B_T6_T7_T9_mT8_S1D_bDpT10_ENKUlT_T0_E_clISt17integral_constantIbLb1EES1Q_IbLb0EEEEDaS1M_S1N_EUlS1M_E_NS1_11comp_targetILNS1_3genE8ELNS1_11target_archE1030ELNS1_3gpuE2ELNS1_3repE0EEENS1_30default_config_static_selectorELNS0_4arch9wavefront6targetE0EEEvSZ_: ; @_ZN7rocprim17ROCPRIM_400000_NS6detail17trampoline_kernelINS0_13select_configILj256ELj13ELNS0_17block_load_methodE3ELS4_3ELS4_3ELNS0_20block_scan_algorithmE0ELj4294967295EEENS1_25partition_config_selectorILNS1_17partition_subalgoE4EjNS0_10empty_typeEbEEZZNS1_14partition_implILS8_4ELb0ES6_15HIP_vector_typeIjLj2EENS0_17counting_iteratorIjlEEPS9_SG_NS0_5tupleIJPjSI_NS0_16reverse_iteratorISI_EEEEENSH_IJSG_SG_SG_EEES9_SI_JZNS1_25segmented_radix_sort_implINS0_14default_configELb0EPKlPlSQ_SR_N2at6native12_GLOBAL__N_18offset_tEEE10hipError_tPvRmT1_PNSt15iterator_traitsISZ_E10value_typeET2_T3_PNS10_IS15_E10value_typeET4_jRbjT5_S1B_jjP12ihipStream_tbEUljE_ZNSN_ISO_Lb0ESQ_SR_SQ_SR_SV_EESW_SX_SY_SZ_S13_S14_S15_S18_S19_jS1A_jS1B_S1B_jjS1D_bEUljE0_EEESW_SX_SY_S15_S19_S1B_T6_T7_T9_mT8_S1D_bDpT10_ENKUlT_T0_E_clISt17integral_constantIbLb1EES1Q_IbLb0EEEEDaS1M_S1N_EUlS1M_E_NS1_11comp_targetILNS1_3genE8ELNS1_11target_archE1030ELNS1_3gpuE2ELNS1_3repE0EEENS1_30default_config_static_selectorELNS0_4arch9wavefront6targetE0EEEvSZ_
; %bb.0:
	s_endpgm
	.section	.rodata,"a",@progbits
	.p2align	6, 0x0
	.amdhsa_kernel _ZN7rocprim17ROCPRIM_400000_NS6detail17trampoline_kernelINS0_13select_configILj256ELj13ELNS0_17block_load_methodE3ELS4_3ELS4_3ELNS0_20block_scan_algorithmE0ELj4294967295EEENS1_25partition_config_selectorILNS1_17partition_subalgoE4EjNS0_10empty_typeEbEEZZNS1_14partition_implILS8_4ELb0ES6_15HIP_vector_typeIjLj2EENS0_17counting_iteratorIjlEEPS9_SG_NS0_5tupleIJPjSI_NS0_16reverse_iteratorISI_EEEEENSH_IJSG_SG_SG_EEES9_SI_JZNS1_25segmented_radix_sort_implINS0_14default_configELb0EPKlPlSQ_SR_N2at6native12_GLOBAL__N_18offset_tEEE10hipError_tPvRmT1_PNSt15iterator_traitsISZ_E10value_typeET2_T3_PNS10_IS15_E10value_typeET4_jRbjT5_S1B_jjP12ihipStream_tbEUljE_ZNSN_ISO_Lb0ESQ_SR_SQ_SR_SV_EESW_SX_SY_SZ_S13_S14_S15_S18_S19_jS1A_jS1B_S1B_jjS1D_bEUljE0_EEESW_SX_SY_S15_S19_S1B_T6_T7_T9_mT8_S1D_bDpT10_ENKUlT_T0_E_clISt17integral_constantIbLb1EES1Q_IbLb0EEEEDaS1M_S1N_EUlS1M_E_NS1_11comp_targetILNS1_3genE8ELNS1_11target_archE1030ELNS1_3gpuE2ELNS1_3repE0EEENS1_30default_config_static_selectorELNS0_4arch9wavefront6targetE0EEEvSZ_
		.amdhsa_group_segment_fixed_size 0
		.amdhsa_private_segment_fixed_size 0
		.amdhsa_kernarg_size 176
		.amdhsa_user_sgpr_count 6
		.amdhsa_user_sgpr_private_segment_buffer 1
		.amdhsa_user_sgpr_dispatch_ptr 0
		.amdhsa_user_sgpr_queue_ptr 0
		.amdhsa_user_sgpr_kernarg_segment_ptr 1
		.amdhsa_user_sgpr_dispatch_id 0
		.amdhsa_user_sgpr_flat_scratch_init 0
		.amdhsa_user_sgpr_private_segment_size 0
		.amdhsa_wavefront_size32 1
		.amdhsa_uses_dynamic_stack 0
		.amdhsa_system_sgpr_private_segment_wavefront_offset 0
		.amdhsa_system_sgpr_workgroup_id_x 1
		.amdhsa_system_sgpr_workgroup_id_y 0
		.amdhsa_system_sgpr_workgroup_id_z 0
		.amdhsa_system_sgpr_workgroup_info 0
		.amdhsa_system_vgpr_workitem_id 0
		.amdhsa_next_free_vgpr 1
		.amdhsa_next_free_sgpr 1
		.amdhsa_reserve_vcc 0
		.amdhsa_reserve_flat_scratch 0
		.amdhsa_float_round_mode_32 0
		.amdhsa_float_round_mode_16_64 0
		.amdhsa_float_denorm_mode_32 3
		.amdhsa_float_denorm_mode_16_64 3
		.amdhsa_dx10_clamp 1
		.amdhsa_ieee_mode 1
		.amdhsa_fp16_overflow 0
		.amdhsa_workgroup_processor_mode 1
		.amdhsa_memory_ordered 1
		.amdhsa_forward_progress 1
		.amdhsa_shared_vgpr_count 0
		.amdhsa_exception_fp_ieee_invalid_op 0
		.amdhsa_exception_fp_denorm_src 0
		.amdhsa_exception_fp_ieee_div_zero 0
		.amdhsa_exception_fp_ieee_overflow 0
		.amdhsa_exception_fp_ieee_underflow 0
		.amdhsa_exception_fp_ieee_inexact 0
		.amdhsa_exception_int_div_zero 0
	.end_amdhsa_kernel
	.section	.text._ZN7rocprim17ROCPRIM_400000_NS6detail17trampoline_kernelINS0_13select_configILj256ELj13ELNS0_17block_load_methodE3ELS4_3ELS4_3ELNS0_20block_scan_algorithmE0ELj4294967295EEENS1_25partition_config_selectorILNS1_17partition_subalgoE4EjNS0_10empty_typeEbEEZZNS1_14partition_implILS8_4ELb0ES6_15HIP_vector_typeIjLj2EENS0_17counting_iteratorIjlEEPS9_SG_NS0_5tupleIJPjSI_NS0_16reverse_iteratorISI_EEEEENSH_IJSG_SG_SG_EEES9_SI_JZNS1_25segmented_radix_sort_implINS0_14default_configELb0EPKlPlSQ_SR_N2at6native12_GLOBAL__N_18offset_tEEE10hipError_tPvRmT1_PNSt15iterator_traitsISZ_E10value_typeET2_T3_PNS10_IS15_E10value_typeET4_jRbjT5_S1B_jjP12ihipStream_tbEUljE_ZNSN_ISO_Lb0ESQ_SR_SQ_SR_SV_EESW_SX_SY_SZ_S13_S14_S15_S18_S19_jS1A_jS1B_S1B_jjS1D_bEUljE0_EEESW_SX_SY_S15_S19_S1B_T6_T7_T9_mT8_S1D_bDpT10_ENKUlT_T0_E_clISt17integral_constantIbLb1EES1Q_IbLb0EEEEDaS1M_S1N_EUlS1M_E_NS1_11comp_targetILNS1_3genE8ELNS1_11target_archE1030ELNS1_3gpuE2ELNS1_3repE0EEENS1_30default_config_static_selectorELNS0_4arch9wavefront6targetE0EEEvSZ_,"axG",@progbits,_ZN7rocprim17ROCPRIM_400000_NS6detail17trampoline_kernelINS0_13select_configILj256ELj13ELNS0_17block_load_methodE3ELS4_3ELS4_3ELNS0_20block_scan_algorithmE0ELj4294967295EEENS1_25partition_config_selectorILNS1_17partition_subalgoE4EjNS0_10empty_typeEbEEZZNS1_14partition_implILS8_4ELb0ES6_15HIP_vector_typeIjLj2EENS0_17counting_iteratorIjlEEPS9_SG_NS0_5tupleIJPjSI_NS0_16reverse_iteratorISI_EEEEENSH_IJSG_SG_SG_EEES9_SI_JZNS1_25segmented_radix_sort_implINS0_14default_configELb0EPKlPlSQ_SR_N2at6native12_GLOBAL__N_18offset_tEEE10hipError_tPvRmT1_PNSt15iterator_traitsISZ_E10value_typeET2_T3_PNS10_IS15_E10value_typeET4_jRbjT5_S1B_jjP12ihipStream_tbEUljE_ZNSN_ISO_Lb0ESQ_SR_SQ_SR_SV_EESW_SX_SY_SZ_S13_S14_S15_S18_S19_jS1A_jS1B_S1B_jjS1D_bEUljE0_EEESW_SX_SY_S15_S19_S1B_T6_T7_T9_mT8_S1D_bDpT10_ENKUlT_T0_E_clISt17integral_constantIbLb1EES1Q_IbLb0EEEEDaS1M_S1N_EUlS1M_E_NS1_11comp_targetILNS1_3genE8ELNS1_11target_archE1030ELNS1_3gpuE2ELNS1_3repE0EEENS1_30default_config_static_selectorELNS0_4arch9wavefront6targetE0EEEvSZ_,comdat
.Lfunc_end760:
	.size	_ZN7rocprim17ROCPRIM_400000_NS6detail17trampoline_kernelINS0_13select_configILj256ELj13ELNS0_17block_load_methodE3ELS4_3ELS4_3ELNS0_20block_scan_algorithmE0ELj4294967295EEENS1_25partition_config_selectorILNS1_17partition_subalgoE4EjNS0_10empty_typeEbEEZZNS1_14partition_implILS8_4ELb0ES6_15HIP_vector_typeIjLj2EENS0_17counting_iteratorIjlEEPS9_SG_NS0_5tupleIJPjSI_NS0_16reverse_iteratorISI_EEEEENSH_IJSG_SG_SG_EEES9_SI_JZNS1_25segmented_radix_sort_implINS0_14default_configELb0EPKlPlSQ_SR_N2at6native12_GLOBAL__N_18offset_tEEE10hipError_tPvRmT1_PNSt15iterator_traitsISZ_E10value_typeET2_T3_PNS10_IS15_E10value_typeET4_jRbjT5_S1B_jjP12ihipStream_tbEUljE_ZNSN_ISO_Lb0ESQ_SR_SQ_SR_SV_EESW_SX_SY_SZ_S13_S14_S15_S18_S19_jS1A_jS1B_S1B_jjS1D_bEUljE0_EEESW_SX_SY_S15_S19_S1B_T6_T7_T9_mT8_S1D_bDpT10_ENKUlT_T0_E_clISt17integral_constantIbLb1EES1Q_IbLb0EEEEDaS1M_S1N_EUlS1M_E_NS1_11comp_targetILNS1_3genE8ELNS1_11target_archE1030ELNS1_3gpuE2ELNS1_3repE0EEENS1_30default_config_static_selectorELNS0_4arch9wavefront6targetE0EEEvSZ_, .Lfunc_end760-_ZN7rocprim17ROCPRIM_400000_NS6detail17trampoline_kernelINS0_13select_configILj256ELj13ELNS0_17block_load_methodE3ELS4_3ELS4_3ELNS0_20block_scan_algorithmE0ELj4294967295EEENS1_25partition_config_selectorILNS1_17partition_subalgoE4EjNS0_10empty_typeEbEEZZNS1_14partition_implILS8_4ELb0ES6_15HIP_vector_typeIjLj2EENS0_17counting_iteratorIjlEEPS9_SG_NS0_5tupleIJPjSI_NS0_16reverse_iteratorISI_EEEEENSH_IJSG_SG_SG_EEES9_SI_JZNS1_25segmented_radix_sort_implINS0_14default_configELb0EPKlPlSQ_SR_N2at6native12_GLOBAL__N_18offset_tEEE10hipError_tPvRmT1_PNSt15iterator_traitsISZ_E10value_typeET2_T3_PNS10_IS15_E10value_typeET4_jRbjT5_S1B_jjP12ihipStream_tbEUljE_ZNSN_ISO_Lb0ESQ_SR_SQ_SR_SV_EESW_SX_SY_SZ_S13_S14_S15_S18_S19_jS1A_jS1B_S1B_jjS1D_bEUljE0_EEESW_SX_SY_S15_S19_S1B_T6_T7_T9_mT8_S1D_bDpT10_ENKUlT_T0_E_clISt17integral_constantIbLb1EES1Q_IbLb0EEEEDaS1M_S1N_EUlS1M_E_NS1_11comp_targetILNS1_3genE8ELNS1_11target_archE1030ELNS1_3gpuE2ELNS1_3repE0EEENS1_30default_config_static_selectorELNS0_4arch9wavefront6targetE0EEEvSZ_
                                        ; -- End function
	.set _ZN7rocprim17ROCPRIM_400000_NS6detail17trampoline_kernelINS0_13select_configILj256ELj13ELNS0_17block_load_methodE3ELS4_3ELS4_3ELNS0_20block_scan_algorithmE0ELj4294967295EEENS1_25partition_config_selectorILNS1_17partition_subalgoE4EjNS0_10empty_typeEbEEZZNS1_14partition_implILS8_4ELb0ES6_15HIP_vector_typeIjLj2EENS0_17counting_iteratorIjlEEPS9_SG_NS0_5tupleIJPjSI_NS0_16reverse_iteratorISI_EEEEENSH_IJSG_SG_SG_EEES9_SI_JZNS1_25segmented_radix_sort_implINS0_14default_configELb0EPKlPlSQ_SR_N2at6native12_GLOBAL__N_18offset_tEEE10hipError_tPvRmT1_PNSt15iterator_traitsISZ_E10value_typeET2_T3_PNS10_IS15_E10value_typeET4_jRbjT5_S1B_jjP12ihipStream_tbEUljE_ZNSN_ISO_Lb0ESQ_SR_SQ_SR_SV_EESW_SX_SY_SZ_S13_S14_S15_S18_S19_jS1A_jS1B_S1B_jjS1D_bEUljE0_EEESW_SX_SY_S15_S19_S1B_T6_T7_T9_mT8_S1D_bDpT10_ENKUlT_T0_E_clISt17integral_constantIbLb1EES1Q_IbLb0EEEEDaS1M_S1N_EUlS1M_E_NS1_11comp_targetILNS1_3genE8ELNS1_11target_archE1030ELNS1_3gpuE2ELNS1_3repE0EEENS1_30default_config_static_selectorELNS0_4arch9wavefront6targetE0EEEvSZ_.num_vgpr, 0
	.set _ZN7rocprim17ROCPRIM_400000_NS6detail17trampoline_kernelINS0_13select_configILj256ELj13ELNS0_17block_load_methodE3ELS4_3ELS4_3ELNS0_20block_scan_algorithmE0ELj4294967295EEENS1_25partition_config_selectorILNS1_17partition_subalgoE4EjNS0_10empty_typeEbEEZZNS1_14partition_implILS8_4ELb0ES6_15HIP_vector_typeIjLj2EENS0_17counting_iteratorIjlEEPS9_SG_NS0_5tupleIJPjSI_NS0_16reverse_iteratorISI_EEEEENSH_IJSG_SG_SG_EEES9_SI_JZNS1_25segmented_radix_sort_implINS0_14default_configELb0EPKlPlSQ_SR_N2at6native12_GLOBAL__N_18offset_tEEE10hipError_tPvRmT1_PNSt15iterator_traitsISZ_E10value_typeET2_T3_PNS10_IS15_E10value_typeET4_jRbjT5_S1B_jjP12ihipStream_tbEUljE_ZNSN_ISO_Lb0ESQ_SR_SQ_SR_SV_EESW_SX_SY_SZ_S13_S14_S15_S18_S19_jS1A_jS1B_S1B_jjS1D_bEUljE0_EEESW_SX_SY_S15_S19_S1B_T6_T7_T9_mT8_S1D_bDpT10_ENKUlT_T0_E_clISt17integral_constantIbLb1EES1Q_IbLb0EEEEDaS1M_S1N_EUlS1M_E_NS1_11comp_targetILNS1_3genE8ELNS1_11target_archE1030ELNS1_3gpuE2ELNS1_3repE0EEENS1_30default_config_static_selectorELNS0_4arch9wavefront6targetE0EEEvSZ_.num_agpr, 0
	.set _ZN7rocprim17ROCPRIM_400000_NS6detail17trampoline_kernelINS0_13select_configILj256ELj13ELNS0_17block_load_methodE3ELS4_3ELS4_3ELNS0_20block_scan_algorithmE0ELj4294967295EEENS1_25partition_config_selectorILNS1_17partition_subalgoE4EjNS0_10empty_typeEbEEZZNS1_14partition_implILS8_4ELb0ES6_15HIP_vector_typeIjLj2EENS0_17counting_iteratorIjlEEPS9_SG_NS0_5tupleIJPjSI_NS0_16reverse_iteratorISI_EEEEENSH_IJSG_SG_SG_EEES9_SI_JZNS1_25segmented_radix_sort_implINS0_14default_configELb0EPKlPlSQ_SR_N2at6native12_GLOBAL__N_18offset_tEEE10hipError_tPvRmT1_PNSt15iterator_traitsISZ_E10value_typeET2_T3_PNS10_IS15_E10value_typeET4_jRbjT5_S1B_jjP12ihipStream_tbEUljE_ZNSN_ISO_Lb0ESQ_SR_SQ_SR_SV_EESW_SX_SY_SZ_S13_S14_S15_S18_S19_jS1A_jS1B_S1B_jjS1D_bEUljE0_EEESW_SX_SY_S15_S19_S1B_T6_T7_T9_mT8_S1D_bDpT10_ENKUlT_T0_E_clISt17integral_constantIbLb1EES1Q_IbLb0EEEEDaS1M_S1N_EUlS1M_E_NS1_11comp_targetILNS1_3genE8ELNS1_11target_archE1030ELNS1_3gpuE2ELNS1_3repE0EEENS1_30default_config_static_selectorELNS0_4arch9wavefront6targetE0EEEvSZ_.numbered_sgpr, 0
	.set _ZN7rocprim17ROCPRIM_400000_NS6detail17trampoline_kernelINS0_13select_configILj256ELj13ELNS0_17block_load_methodE3ELS4_3ELS4_3ELNS0_20block_scan_algorithmE0ELj4294967295EEENS1_25partition_config_selectorILNS1_17partition_subalgoE4EjNS0_10empty_typeEbEEZZNS1_14partition_implILS8_4ELb0ES6_15HIP_vector_typeIjLj2EENS0_17counting_iteratorIjlEEPS9_SG_NS0_5tupleIJPjSI_NS0_16reverse_iteratorISI_EEEEENSH_IJSG_SG_SG_EEES9_SI_JZNS1_25segmented_radix_sort_implINS0_14default_configELb0EPKlPlSQ_SR_N2at6native12_GLOBAL__N_18offset_tEEE10hipError_tPvRmT1_PNSt15iterator_traitsISZ_E10value_typeET2_T3_PNS10_IS15_E10value_typeET4_jRbjT5_S1B_jjP12ihipStream_tbEUljE_ZNSN_ISO_Lb0ESQ_SR_SQ_SR_SV_EESW_SX_SY_SZ_S13_S14_S15_S18_S19_jS1A_jS1B_S1B_jjS1D_bEUljE0_EEESW_SX_SY_S15_S19_S1B_T6_T7_T9_mT8_S1D_bDpT10_ENKUlT_T0_E_clISt17integral_constantIbLb1EES1Q_IbLb0EEEEDaS1M_S1N_EUlS1M_E_NS1_11comp_targetILNS1_3genE8ELNS1_11target_archE1030ELNS1_3gpuE2ELNS1_3repE0EEENS1_30default_config_static_selectorELNS0_4arch9wavefront6targetE0EEEvSZ_.num_named_barrier, 0
	.set _ZN7rocprim17ROCPRIM_400000_NS6detail17trampoline_kernelINS0_13select_configILj256ELj13ELNS0_17block_load_methodE3ELS4_3ELS4_3ELNS0_20block_scan_algorithmE0ELj4294967295EEENS1_25partition_config_selectorILNS1_17partition_subalgoE4EjNS0_10empty_typeEbEEZZNS1_14partition_implILS8_4ELb0ES6_15HIP_vector_typeIjLj2EENS0_17counting_iteratorIjlEEPS9_SG_NS0_5tupleIJPjSI_NS0_16reverse_iteratorISI_EEEEENSH_IJSG_SG_SG_EEES9_SI_JZNS1_25segmented_radix_sort_implINS0_14default_configELb0EPKlPlSQ_SR_N2at6native12_GLOBAL__N_18offset_tEEE10hipError_tPvRmT1_PNSt15iterator_traitsISZ_E10value_typeET2_T3_PNS10_IS15_E10value_typeET4_jRbjT5_S1B_jjP12ihipStream_tbEUljE_ZNSN_ISO_Lb0ESQ_SR_SQ_SR_SV_EESW_SX_SY_SZ_S13_S14_S15_S18_S19_jS1A_jS1B_S1B_jjS1D_bEUljE0_EEESW_SX_SY_S15_S19_S1B_T6_T7_T9_mT8_S1D_bDpT10_ENKUlT_T0_E_clISt17integral_constantIbLb1EES1Q_IbLb0EEEEDaS1M_S1N_EUlS1M_E_NS1_11comp_targetILNS1_3genE8ELNS1_11target_archE1030ELNS1_3gpuE2ELNS1_3repE0EEENS1_30default_config_static_selectorELNS0_4arch9wavefront6targetE0EEEvSZ_.private_seg_size, 0
	.set _ZN7rocprim17ROCPRIM_400000_NS6detail17trampoline_kernelINS0_13select_configILj256ELj13ELNS0_17block_load_methodE3ELS4_3ELS4_3ELNS0_20block_scan_algorithmE0ELj4294967295EEENS1_25partition_config_selectorILNS1_17partition_subalgoE4EjNS0_10empty_typeEbEEZZNS1_14partition_implILS8_4ELb0ES6_15HIP_vector_typeIjLj2EENS0_17counting_iteratorIjlEEPS9_SG_NS0_5tupleIJPjSI_NS0_16reverse_iteratorISI_EEEEENSH_IJSG_SG_SG_EEES9_SI_JZNS1_25segmented_radix_sort_implINS0_14default_configELb0EPKlPlSQ_SR_N2at6native12_GLOBAL__N_18offset_tEEE10hipError_tPvRmT1_PNSt15iterator_traitsISZ_E10value_typeET2_T3_PNS10_IS15_E10value_typeET4_jRbjT5_S1B_jjP12ihipStream_tbEUljE_ZNSN_ISO_Lb0ESQ_SR_SQ_SR_SV_EESW_SX_SY_SZ_S13_S14_S15_S18_S19_jS1A_jS1B_S1B_jjS1D_bEUljE0_EEESW_SX_SY_S15_S19_S1B_T6_T7_T9_mT8_S1D_bDpT10_ENKUlT_T0_E_clISt17integral_constantIbLb1EES1Q_IbLb0EEEEDaS1M_S1N_EUlS1M_E_NS1_11comp_targetILNS1_3genE8ELNS1_11target_archE1030ELNS1_3gpuE2ELNS1_3repE0EEENS1_30default_config_static_selectorELNS0_4arch9wavefront6targetE0EEEvSZ_.uses_vcc, 0
	.set _ZN7rocprim17ROCPRIM_400000_NS6detail17trampoline_kernelINS0_13select_configILj256ELj13ELNS0_17block_load_methodE3ELS4_3ELS4_3ELNS0_20block_scan_algorithmE0ELj4294967295EEENS1_25partition_config_selectorILNS1_17partition_subalgoE4EjNS0_10empty_typeEbEEZZNS1_14partition_implILS8_4ELb0ES6_15HIP_vector_typeIjLj2EENS0_17counting_iteratorIjlEEPS9_SG_NS0_5tupleIJPjSI_NS0_16reverse_iteratorISI_EEEEENSH_IJSG_SG_SG_EEES9_SI_JZNS1_25segmented_radix_sort_implINS0_14default_configELb0EPKlPlSQ_SR_N2at6native12_GLOBAL__N_18offset_tEEE10hipError_tPvRmT1_PNSt15iterator_traitsISZ_E10value_typeET2_T3_PNS10_IS15_E10value_typeET4_jRbjT5_S1B_jjP12ihipStream_tbEUljE_ZNSN_ISO_Lb0ESQ_SR_SQ_SR_SV_EESW_SX_SY_SZ_S13_S14_S15_S18_S19_jS1A_jS1B_S1B_jjS1D_bEUljE0_EEESW_SX_SY_S15_S19_S1B_T6_T7_T9_mT8_S1D_bDpT10_ENKUlT_T0_E_clISt17integral_constantIbLb1EES1Q_IbLb0EEEEDaS1M_S1N_EUlS1M_E_NS1_11comp_targetILNS1_3genE8ELNS1_11target_archE1030ELNS1_3gpuE2ELNS1_3repE0EEENS1_30default_config_static_selectorELNS0_4arch9wavefront6targetE0EEEvSZ_.uses_flat_scratch, 0
	.set _ZN7rocprim17ROCPRIM_400000_NS6detail17trampoline_kernelINS0_13select_configILj256ELj13ELNS0_17block_load_methodE3ELS4_3ELS4_3ELNS0_20block_scan_algorithmE0ELj4294967295EEENS1_25partition_config_selectorILNS1_17partition_subalgoE4EjNS0_10empty_typeEbEEZZNS1_14partition_implILS8_4ELb0ES6_15HIP_vector_typeIjLj2EENS0_17counting_iteratorIjlEEPS9_SG_NS0_5tupleIJPjSI_NS0_16reverse_iteratorISI_EEEEENSH_IJSG_SG_SG_EEES9_SI_JZNS1_25segmented_radix_sort_implINS0_14default_configELb0EPKlPlSQ_SR_N2at6native12_GLOBAL__N_18offset_tEEE10hipError_tPvRmT1_PNSt15iterator_traitsISZ_E10value_typeET2_T3_PNS10_IS15_E10value_typeET4_jRbjT5_S1B_jjP12ihipStream_tbEUljE_ZNSN_ISO_Lb0ESQ_SR_SQ_SR_SV_EESW_SX_SY_SZ_S13_S14_S15_S18_S19_jS1A_jS1B_S1B_jjS1D_bEUljE0_EEESW_SX_SY_S15_S19_S1B_T6_T7_T9_mT8_S1D_bDpT10_ENKUlT_T0_E_clISt17integral_constantIbLb1EES1Q_IbLb0EEEEDaS1M_S1N_EUlS1M_E_NS1_11comp_targetILNS1_3genE8ELNS1_11target_archE1030ELNS1_3gpuE2ELNS1_3repE0EEENS1_30default_config_static_selectorELNS0_4arch9wavefront6targetE0EEEvSZ_.has_dyn_sized_stack, 0
	.set _ZN7rocprim17ROCPRIM_400000_NS6detail17trampoline_kernelINS0_13select_configILj256ELj13ELNS0_17block_load_methodE3ELS4_3ELS4_3ELNS0_20block_scan_algorithmE0ELj4294967295EEENS1_25partition_config_selectorILNS1_17partition_subalgoE4EjNS0_10empty_typeEbEEZZNS1_14partition_implILS8_4ELb0ES6_15HIP_vector_typeIjLj2EENS0_17counting_iteratorIjlEEPS9_SG_NS0_5tupleIJPjSI_NS0_16reverse_iteratorISI_EEEEENSH_IJSG_SG_SG_EEES9_SI_JZNS1_25segmented_radix_sort_implINS0_14default_configELb0EPKlPlSQ_SR_N2at6native12_GLOBAL__N_18offset_tEEE10hipError_tPvRmT1_PNSt15iterator_traitsISZ_E10value_typeET2_T3_PNS10_IS15_E10value_typeET4_jRbjT5_S1B_jjP12ihipStream_tbEUljE_ZNSN_ISO_Lb0ESQ_SR_SQ_SR_SV_EESW_SX_SY_SZ_S13_S14_S15_S18_S19_jS1A_jS1B_S1B_jjS1D_bEUljE0_EEESW_SX_SY_S15_S19_S1B_T6_T7_T9_mT8_S1D_bDpT10_ENKUlT_T0_E_clISt17integral_constantIbLb1EES1Q_IbLb0EEEEDaS1M_S1N_EUlS1M_E_NS1_11comp_targetILNS1_3genE8ELNS1_11target_archE1030ELNS1_3gpuE2ELNS1_3repE0EEENS1_30default_config_static_selectorELNS0_4arch9wavefront6targetE0EEEvSZ_.has_recursion, 0
	.set _ZN7rocprim17ROCPRIM_400000_NS6detail17trampoline_kernelINS0_13select_configILj256ELj13ELNS0_17block_load_methodE3ELS4_3ELS4_3ELNS0_20block_scan_algorithmE0ELj4294967295EEENS1_25partition_config_selectorILNS1_17partition_subalgoE4EjNS0_10empty_typeEbEEZZNS1_14partition_implILS8_4ELb0ES6_15HIP_vector_typeIjLj2EENS0_17counting_iteratorIjlEEPS9_SG_NS0_5tupleIJPjSI_NS0_16reverse_iteratorISI_EEEEENSH_IJSG_SG_SG_EEES9_SI_JZNS1_25segmented_radix_sort_implINS0_14default_configELb0EPKlPlSQ_SR_N2at6native12_GLOBAL__N_18offset_tEEE10hipError_tPvRmT1_PNSt15iterator_traitsISZ_E10value_typeET2_T3_PNS10_IS15_E10value_typeET4_jRbjT5_S1B_jjP12ihipStream_tbEUljE_ZNSN_ISO_Lb0ESQ_SR_SQ_SR_SV_EESW_SX_SY_SZ_S13_S14_S15_S18_S19_jS1A_jS1B_S1B_jjS1D_bEUljE0_EEESW_SX_SY_S15_S19_S1B_T6_T7_T9_mT8_S1D_bDpT10_ENKUlT_T0_E_clISt17integral_constantIbLb1EES1Q_IbLb0EEEEDaS1M_S1N_EUlS1M_E_NS1_11comp_targetILNS1_3genE8ELNS1_11target_archE1030ELNS1_3gpuE2ELNS1_3repE0EEENS1_30default_config_static_selectorELNS0_4arch9wavefront6targetE0EEEvSZ_.has_indirect_call, 0
	.section	.AMDGPU.csdata,"",@progbits
; Kernel info:
; codeLenInByte = 4
; TotalNumSgprs: 0
; NumVgprs: 0
; ScratchSize: 0
; MemoryBound: 0
; FloatMode: 240
; IeeeMode: 1
; LDSByteSize: 0 bytes/workgroup (compile time only)
; SGPRBlocks: 0
; VGPRBlocks: 0
; NumSGPRsForWavesPerEU: 1
; NumVGPRsForWavesPerEU: 1
; Occupancy: 16
; WaveLimiterHint : 0
; COMPUTE_PGM_RSRC2:SCRATCH_EN: 0
; COMPUTE_PGM_RSRC2:USER_SGPR: 6
; COMPUTE_PGM_RSRC2:TRAP_HANDLER: 0
; COMPUTE_PGM_RSRC2:TGID_X_EN: 1
; COMPUTE_PGM_RSRC2:TGID_Y_EN: 0
; COMPUTE_PGM_RSRC2:TGID_Z_EN: 0
; COMPUTE_PGM_RSRC2:TIDIG_COMP_CNT: 0
	.section	.text._ZN7rocprim17ROCPRIM_400000_NS6detail17trampoline_kernelINS0_13select_configILj256ELj13ELNS0_17block_load_methodE3ELS4_3ELS4_3ELNS0_20block_scan_algorithmE0ELj4294967295EEENS1_25partition_config_selectorILNS1_17partition_subalgoE4EjNS0_10empty_typeEbEEZZNS1_14partition_implILS8_4ELb0ES6_15HIP_vector_typeIjLj2EENS0_17counting_iteratorIjlEEPS9_SG_NS0_5tupleIJPjSI_NS0_16reverse_iteratorISI_EEEEENSH_IJSG_SG_SG_EEES9_SI_JZNS1_25segmented_radix_sort_implINS0_14default_configELb0EPKlPlSQ_SR_N2at6native12_GLOBAL__N_18offset_tEEE10hipError_tPvRmT1_PNSt15iterator_traitsISZ_E10value_typeET2_T3_PNS10_IS15_E10value_typeET4_jRbjT5_S1B_jjP12ihipStream_tbEUljE_ZNSN_ISO_Lb0ESQ_SR_SQ_SR_SV_EESW_SX_SY_SZ_S13_S14_S15_S18_S19_jS1A_jS1B_S1B_jjS1D_bEUljE0_EEESW_SX_SY_S15_S19_S1B_T6_T7_T9_mT8_S1D_bDpT10_ENKUlT_T0_E_clISt17integral_constantIbLb0EES1Q_IbLb1EEEEDaS1M_S1N_EUlS1M_E_NS1_11comp_targetILNS1_3genE0ELNS1_11target_archE4294967295ELNS1_3gpuE0ELNS1_3repE0EEENS1_30default_config_static_selectorELNS0_4arch9wavefront6targetE0EEEvSZ_,"axG",@progbits,_ZN7rocprim17ROCPRIM_400000_NS6detail17trampoline_kernelINS0_13select_configILj256ELj13ELNS0_17block_load_methodE3ELS4_3ELS4_3ELNS0_20block_scan_algorithmE0ELj4294967295EEENS1_25partition_config_selectorILNS1_17partition_subalgoE4EjNS0_10empty_typeEbEEZZNS1_14partition_implILS8_4ELb0ES6_15HIP_vector_typeIjLj2EENS0_17counting_iteratorIjlEEPS9_SG_NS0_5tupleIJPjSI_NS0_16reverse_iteratorISI_EEEEENSH_IJSG_SG_SG_EEES9_SI_JZNS1_25segmented_radix_sort_implINS0_14default_configELb0EPKlPlSQ_SR_N2at6native12_GLOBAL__N_18offset_tEEE10hipError_tPvRmT1_PNSt15iterator_traitsISZ_E10value_typeET2_T3_PNS10_IS15_E10value_typeET4_jRbjT5_S1B_jjP12ihipStream_tbEUljE_ZNSN_ISO_Lb0ESQ_SR_SQ_SR_SV_EESW_SX_SY_SZ_S13_S14_S15_S18_S19_jS1A_jS1B_S1B_jjS1D_bEUljE0_EEESW_SX_SY_S15_S19_S1B_T6_T7_T9_mT8_S1D_bDpT10_ENKUlT_T0_E_clISt17integral_constantIbLb0EES1Q_IbLb1EEEEDaS1M_S1N_EUlS1M_E_NS1_11comp_targetILNS1_3genE0ELNS1_11target_archE4294967295ELNS1_3gpuE0ELNS1_3repE0EEENS1_30default_config_static_selectorELNS0_4arch9wavefront6targetE0EEEvSZ_,comdat
	.globl	_ZN7rocprim17ROCPRIM_400000_NS6detail17trampoline_kernelINS0_13select_configILj256ELj13ELNS0_17block_load_methodE3ELS4_3ELS4_3ELNS0_20block_scan_algorithmE0ELj4294967295EEENS1_25partition_config_selectorILNS1_17partition_subalgoE4EjNS0_10empty_typeEbEEZZNS1_14partition_implILS8_4ELb0ES6_15HIP_vector_typeIjLj2EENS0_17counting_iteratorIjlEEPS9_SG_NS0_5tupleIJPjSI_NS0_16reverse_iteratorISI_EEEEENSH_IJSG_SG_SG_EEES9_SI_JZNS1_25segmented_radix_sort_implINS0_14default_configELb0EPKlPlSQ_SR_N2at6native12_GLOBAL__N_18offset_tEEE10hipError_tPvRmT1_PNSt15iterator_traitsISZ_E10value_typeET2_T3_PNS10_IS15_E10value_typeET4_jRbjT5_S1B_jjP12ihipStream_tbEUljE_ZNSN_ISO_Lb0ESQ_SR_SQ_SR_SV_EESW_SX_SY_SZ_S13_S14_S15_S18_S19_jS1A_jS1B_S1B_jjS1D_bEUljE0_EEESW_SX_SY_S15_S19_S1B_T6_T7_T9_mT8_S1D_bDpT10_ENKUlT_T0_E_clISt17integral_constantIbLb0EES1Q_IbLb1EEEEDaS1M_S1N_EUlS1M_E_NS1_11comp_targetILNS1_3genE0ELNS1_11target_archE4294967295ELNS1_3gpuE0ELNS1_3repE0EEENS1_30default_config_static_selectorELNS0_4arch9wavefront6targetE0EEEvSZ_ ; -- Begin function _ZN7rocprim17ROCPRIM_400000_NS6detail17trampoline_kernelINS0_13select_configILj256ELj13ELNS0_17block_load_methodE3ELS4_3ELS4_3ELNS0_20block_scan_algorithmE0ELj4294967295EEENS1_25partition_config_selectorILNS1_17partition_subalgoE4EjNS0_10empty_typeEbEEZZNS1_14partition_implILS8_4ELb0ES6_15HIP_vector_typeIjLj2EENS0_17counting_iteratorIjlEEPS9_SG_NS0_5tupleIJPjSI_NS0_16reverse_iteratorISI_EEEEENSH_IJSG_SG_SG_EEES9_SI_JZNS1_25segmented_radix_sort_implINS0_14default_configELb0EPKlPlSQ_SR_N2at6native12_GLOBAL__N_18offset_tEEE10hipError_tPvRmT1_PNSt15iterator_traitsISZ_E10value_typeET2_T3_PNS10_IS15_E10value_typeET4_jRbjT5_S1B_jjP12ihipStream_tbEUljE_ZNSN_ISO_Lb0ESQ_SR_SQ_SR_SV_EESW_SX_SY_SZ_S13_S14_S15_S18_S19_jS1A_jS1B_S1B_jjS1D_bEUljE0_EEESW_SX_SY_S15_S19_S1B_T6_T7_T9_mT8_S1D_bDpT10_ENKUlT_T0_E_clISt17integral_constantIbLb0EES1Q_IbLb1EEEEDaS1M_S1N_EUlS1M_E_NS1_11comp_targetILNS1_3genE0ELNS1_11target_archE4294967295ELNS1_3gpuE0ELNS1_3repE0EEENS1_30default_config_static_selectorELNS0_4arch9wavefront6targetE0EEEvSZ_
	.p2align	8
	.type	_ZN7rocprim17ROCPRIM_400000_NS6detail17trampoline_kernelINS0_13select_configILj256ELj13ELNS0_17block_load_methodE3ELS4_3ELS4_3ELNS0_20block_scan_algorithmE0ELj4294967295EEENS1_25partition_config_selectorILNS1_17partition_subalgoE4EjNS0_10empty_typeEbEEZZNS1_14partition_implILS8_4ELb0ES6_15HIP_vector_typeIjLj2EENS0_17counting_iteratorIjlEEPS9_SG_NS0_5tupleIJPjSI_NS0_16reverse_iteratorISI_EEEEENSH_IJSG_SG_SG_EEES9_SI_JZNS1_25segmented_radix_sort_implINS0_14default_configELb0EPKlPlSQ_SR_N2at6native12_GLOBAL__N_18offset_tEEE10hipError_tPvRmT1_PNSt15iterator_traitsISZ_E10value_typeET2_T3_PNS10_IS15_E10value_typeET4_jRbjT5_S1B_jjP12ihipStream_tbEUljE_ZNSN_ISO_Lb0ESQ_SR_SQ_SR_SV_EESW_SX_SY_SZ_S13_S14_S15_S18_S19_jS1A_jS1B_S1B_jjS1D_bEUljE0_EEESW_SX_SY_S15_S19_S1B_T6_T7_T9_mT8_S1D_bDpT10_ENKUlT_T0_E_clISt17integral_constantIbLb0EES1Q_IbLb1EEEEDaS1M_S1N_EUlS1M_E_NS1_11comp_targetILNS1_3genE0ELNS1_11target_archE4294967295ELNS1_3gpuE0ELNS1_3repE0EEENS1_30default_config_static_selectorELNS0_4arch9wavefront6targetE0EEEvSZ_,@function
_ZN7rocprim17ROCPRIM_400000_NS6detail17trampoline_kernelINS0_13select_configILj256ELj13ELNS0_17block_load_methodE3ELS4_3ELS4_3ELNS0_20block_scan_algorithmE0ELj4294967295EEENS1_25partition_config_selectorILNS1_17partition_subalgoE4EjNS0_10empty_typeEbEEZZNS1_14partition_implILS8_4ELb0ES6_15HIP_vector_typeIjLj2EENS0_17counting_iteratorIjlEEPS9_SG_NS0_5tupleIJPjSI_NS0_16reverse_iteratorISI_EEEEENSH_IJSG_SG_SG_EEES9_SI_JZNS1_25segmented_radix_sort_implINS0_14default_configELb0EPKlPlSQ_SR_N2at6native12_GLOBAL__N_18offset_tEEE10hipError_tPvRmT1_PNSt15iterator_traitsISZ_E10value_typeET2_T3_PNS10_IS15_E10value_typeET4_jRbjT5_S1B_jjP12ihipStream_tbEUljE_ZNSN_ISO_Lb0ESQ_SR_SQ_SR_SV_EESW_SX_SY_SZ_S13_S14_S15_S18_S19_jS1A_jS1B_S1B_jjS1D_bEUljE0_EEESW_SX_SY_S15_S19_S1B_T6_T7_T9_mT8_S1D_bDpT10_ENKUlT_T0_E_clISt17integral_constantIbLb0EES1Q_IbLb1EEEEDaS1M_S1N_EUlS1M_E_NS1_11comp_targetILNS1_3genE0ELNS1_11target_archE4294967295ELNS1_3gpuE0ELNS1_3repE0EEENS1_30default_config_static_selectorELNS0_4arch9wavefront6targetE0EEEvSZ_: ; @_ZN7rocprim17ROCPRIM_400000_NS6detail17trampoline_kernelINS0_13select_configILj256ELj13ELNS0_17block_load_methodE3ELS4_3ELS4_3ELNS0_20block_scan_algorithmE0ELj4294967295EEENS1_25partition_config_selectorILNS1_17partition_subalgoE4EjNS0_10empty_typeEbEEZZNS1_14partition_implILS8_4ELb0ES6_15HIP_vector_typeIjLj2EENS0_17counting_iteratorIjlEEPS9_SG_NS0_5tupleIJPjSI_NS0_16reverse_iteratorISI_EEEEENSH_IJSG_SG_SG_EEES9_SI_JZNS1_25segmented_radix_sort_implINS0_14default_configELb0EPKlPlSQ_SR_N2at6native12_GLOBAL__N_18offset_tEEE10hipError_tPvRmT1_PNSt15iterator_traitsISZ_E10value_typeET2_T3_PNS10_IS15_E10value_typeET4_jRbjT5_S1B_jjP12ihipStream_tbEUljE_ZNSN_ISO_Lb0ESQ_SR_SQ_SR_SV_EESW_SX_SY_SZ_S13_S14_S15_S18_S19_jS1A_jS1B_S1B_jjS1D_bEUljE0_EEESW_SX_SY_S15_S19_S1B_T6_T7_T9_mT8_S1D_bDpT10_ENKUlT_T0_E_clISt17integral_constantIbLb0EES1Q_IbLb1EEEEDaS1M_S1N_EUlS1M_E_NS1_11comp_targetILNS1_3genE0ELNS1_11target_archE4294967295ELNS1_3gpuE0ELNS1_3repE0EEENS1_30default_config_static_selectorELNS0_4arch9wavefront6targetE0EEEvSZ_
; %bb.0:
	.section	.rodata,"a",@progbits
	.p2align	6, 0x0
	.amdhsa_kernel _ZN7rocprim17ROCPRIM_400000_NS6detail17trampoline_kernelINS0_13select_configILj256ELj13ELNS0_17block_load_methodE3ELS4_3ELS4_3ELNS0_20block_scan_algorithmE0ELj4294967295EEENS1_25partition_config_selectorILNS1_17partition_subalgoE4EjNS0_10empty_typeEbEEZZNS1_14partition_implILS8_4ELb0ES6_15HIP_vector_typeIjLj2EENS0_17counting_iteratorIjlEEPS9_SG_NS0_5tupleIJPjSI_NS0_16reverse_iteratorISI_EEEEENSH_IJSG_SG_SG_EEES9_SI_JZNS1_25segmented_radix_sort_implINS0_14default_configELb0EPKlPlSQ_SR_N2at6native12_GLOBAL__N_18offset_tEEE10hipError_tPvRmT1_PNSt15iterator_traitsISZ_E10value_typeET2_T3_PNS10_IS15_E10value_typeET4_jRbjT5_S1B_jjP12ihipStream_tbEUljE_ZNSN_ISO_Lb0ESQ_SR_SQ_SR_SV_EESW_SX_SY_SZ_S13_S14_S15_S18_S19_jS1A_jS1B_S1B_jjS1D_bEUljE0_EEESW_SX_SY_S15_S19_S1B_T6_T7_T9_mT8_S1D_bDpT10_ENKUlT_T0_E_clISt17integral_constantIbLb0EES1Q_IbLb1EEEEDaS1M_S1N_EUlS1M_E_NS1_11comp_targetILNS1_3genE0ELNS1_11target_archE4294967295ELNS1_3gpuE0ELNS1_3repE0EEENS1_30default_config_static_selectorELNS0_4arch9wavefront6targetE0EEEvSZ_
		.amdhsa_group_segment_fixed_size 0
		.amdhsa_private_segment_fixed_size 0
		.amdhsa_kernarg_size 184
		.amdhsa_user_sgpr_count 6
		.amdhsa_user_sgpr_private_segment_buffer 1
		.amdhsa_user_sgpr_dispatch_ptr 0
		.amdhsa_user_sgpr_queue_ptr 0
		.amdhsa_user_sgpr_kernarg_segment_ptr 1
		.amdhsa_user_sgpr_dispatch_id 0
		.amdhsa_user_sgpr_flat_scratch_init 0
		.amdhsa_user_sgpr_private_segment_size 0
		.amdhsa_wavefront_size32 1
		.amdhsa_uses_dynamic_stack 0
		.amdhsa_system_sgpr_private_segment_wavefront_offset 0
		.amdhsa_system_sgpr_workgroup_id_x 1
		.amdhsa_system_sgpr_workgroup_id_y 0
		.amdhsa_system_sgpr_workgroup_id_z 0
		.amdhsa_system_sgpr_workgroup_info 0
		.amdhsa_system_vgpr_workitem_id 0
		.amdhsa_next_free_vgpr 1
		.amdhsa_next_free_sgpr 1
		.amdhsa_reserve_vcc 0
		.amdhsa_reserve_flat_scratch 0
		.amdhsa_float_round_mode_32 0
		.amdhsa_float_round_mode_16_64 0
		.amdhsa_float_denorm_mode_32 3
		.amdhsa_float_denorm_mode_16_64 3
		.amdhsa_dx10_clamp 1
		.amdhsa_ieee_mode 1
		.amdhsa_fp16_overflow 0
		.amdhsa_workgroup_processor_mode 1
		.amdhsa_memory_ordered 1
		.amdhsa_forward_progress 1
		.amdhsa_shared_vgpr_count 0
		.amdhsa_exception_fp_ieee_invalid_op 0
		.amdhsa_exception_fp_denorm_src 0
		.amdhsa_exception_fp_ieee_div_zero 0
		.amdhsa_exception_fp_ieee_overflow 0
		.amdhsa_exception_fp_ieee_underflow 0
		.amdhsa_exception_fp_ieee_inexact 0
		.amdhsa_exception_int_div_zero 0
	.end_amdhsa_kernel
	.section	.text._ZN7rocprim17ROCPRIM_400000_NS6detail17trampoline_kernelINS0_13select_configILj256ELj13ELNS0_17block_load_methodE3ELS4_3ELS4_3ELNS0_20block_scan_algorithmE0ELj4294967295EEENS1_25partition_config_selectorILNS1_17partition_subalgoE4EjNS0_10empty_typeEbEEZZNS1_14partition_implILS8_4ELb0ES6_15HIP_vector_typeIjLj2EENS0_17counting_iteratorIjlEEPS9_SG_NS0_5tupleIJPjSI_NS0_16reverse_iteratorISI_EEEEENSH_IJSG_SG_SG_EEES9_SI_JZNS1_25segmented_radix_sort_implINS0_14default_configELb0EPKlPlSQ_SR_N2at6native12_GLOBAL__N_18offset_tEEE10hipError_tPvRmT1_PNSt15iterator_traitsISZ_E10value_typeET2_T3_PNS10_IS15_E10value_typeET4_jRbjT5_S1B_jjP12ihipStream_tbEUljE_ZNSN_ISO_Lb0ESQ_SR_SQ_SR_SV_EESW_SX_SY_SZ_S13_S14_S15_S18_S19_jS1A_jS1B_S1B_jjS1D_bEUljE0_EEESW_SX_SY_S15_S19_S1B_T6_T7_T9_mT8_S1D_bDpT10_ENKUlT_T0_E_clISt17integral_constantIbLb0EES1Q_IbLb1EEEEDaS1M_S1N_EUlS1M_E_NS1_11comp_targetILNS1_3genE0ELNS1_11target_archE4294967295ELNS1_3gpuE0ELNS1_3repE0EEENS1_30default_config_static_selectorELNS0_4arch9wavefront6targetE0EEEvSZ_,"axG",@progbits,_ZN7rocprim17ROCPRIM_400000_NS6detail17trampoline_kernelINS0_13select_configILj256ELj13ELNS0_17block_load_methodE3ELS4_3ELS4_3ELNS0_20block_scan_algorithmE0ELj4294967295EEENS1_25partition_config_selectorILNS1_17partition_subalgoE4EjNS0_10empty_typeEbEEZZNS1_14partition_implILS8_4ELb0ES6_15HIP_vector_typeIjLj2EENS0_17counting_iteratorIjlEEPS9_SG_NS0_5tupleIJPjSI_NS0_16reverse_iteratorISI_EEEEENSH_IJSG_SG_SG_EEES9_SI_JZNS1_25segmented_radix_sort_implINS0_14default_configELb0EPKlPlSQ_SR_N2at6native12_GLOBAL__N_18offset_tEEE10hipError_tPvRmT1_PNSt15iterator_traitsISZ_E10value_typeET2_T3_PNS10_IS15_E10value_typeET4_jRbjT5_S1B_jjP12ihipStream_tbEUljE_ZNSN_ISO_Lb0ESQ_SR_SQ_SR_SV_EESW_SX_SY_SZ_S13_S14_S15_S18_S19_jS1A_jS1B_S1B_jjS1D_bEUljE0_EEESW_SX_SY_S15_S19_S1B_T6_T7_T9_mT8_S1D_bDpT10_ENKUlT_T0_E_clISt17integral_constantIbLb0EES1Q_IbLb1EEEEDaS1M_S1N_EUlS1M_E_NS1_11comp_targetILNS1_3genE0ELNS1_11target_archE4294967295ELNS1_3gpuE0ELNS1_3repE0EEENS1_30default_config_static_selectorELNS0_4arch9wavefront6targetE0EEEvSZ_,comdat
.Lfunc_end761:
	.size	_ZN7rocprim17ROCPRIM_400000_NS6detail17trampoline_kernelINS0_13select_configILj256ELj13ELNS0_17block_load_methodE3ELS4_3ELS4_3ELNS0_20block_scan_algorithmE0ELj4294967295EEENS1_25partition_config_selectorILNS1_17partition_subalgoE4EjNS0_10empty_typeEbEEZZNS1_14partition_implILS8_4ELb0ES6_15HIP_vector_typeIjLj2EENS0_17counting_iteratorIjlEEPS9_SG_NS0_5tupleIJPjSI_NS0_16reverse_iteratorISI_EEEEENSH_IJSG_SG_SG_EEES9_SI_JZNS1_25segmented_radix_sort_implINS0_14default_configELb0EPKlPlSQ_SR_N2at6native12_GLOBAL__N_18offset_tEEE10hipError_tPvRmT1_PNSt15iterator_traitsISZ_E10value_typeET2_T3_PNS10_IS15_E10value_typeET4_jRbjT5_S1B_jjP12ihipStream_tbEUljE_ZNSN_ISO_Lb0ESQ_SR_SQ_SR_SV_EESW_SX_SY_SZ_S13_S14_S15_S18_S19_jS1A_jS1B_S1B_jjS1D_bEUljE0_EEESW_SX_SY_S15_S19_S1B_T6_T7_T9_mT8_S1D_bDpT10_ENKUlT_T0_E_clISt17integral_constantIbLb0EES1Q_IbLb1EEEEDaS1M_S1N_EUlS1M_E_NS1_11comp_targetILNS1_3genE0ELNS1_11target_archE4294967295ELNS1_3gpuE0ELNS1_3repE0EEENS1_30default_config_static_selectorELNS0_4arch9wavefront6targetE0EEEvSZ_, .Lfunc_end761-_ZN7rocprim17ROCPRIM_400000_NS6detail17trampoline_kernelINS0_13select_configILj256ELj13ELNS0_17block_load_methodE3ELS4_3ELS4_3ELNS0_20block_scan_algorithmE0ELj4294967295EEENS1_25partition_config_selectorILNS1_17partition_subalgoE4EjNS0_10empty_typeEbEEZZNS1_14partition_implILS8_4ELb0ES6_15HIP_vector_typeIjLj2EENS0_17counting_iteratorIjlEEPS9_SG_NS0_5tupleIJPjSI_NS0_16reverse_iteratorISI_EEEEENSH_IJSG_SG_SG_EEES9_SI_JZNS1_25segmented_radix_sort_implINS0_14default_configELb0EPKlPlSQ_SR_N2at6native12_GLOBAL__N_18offset_tEEE10hipError_tPvRmT1_PNSt15iterator_traitsISZ_E10value_typeET2_T3_PNS10_IS15_E10value_typeET4_jRbjT5_S1B_jjP12ihipStream_tbEUljE_ZNSN_ISO_Lb0ESQ_SR_SQ_SR_SV_EESW_SX_SY_SZ_S13_S14_S15_S18_S19_jS1A_jS1B_S1B_jjS1D_bEUljE0_EEESW_SX_SY_S15_S19_S1B_T6_T7_T9_mT8_S1D_bDpT10_ENKUlT_T0_E_clISt17integral_constantIbLb0EES1Q_IbLb1EEEEDaS1M_S1N_EUlS1M_E_NS1_11comp_targetILNS1_3genE0ELNS1_11target_archE4294967295ELNS1_3gpuE0ELNS1_3repE0EEENS1_30default_config_static_selectorELNS0_4arch9wavefront6targetE0EEEvSZ_
                                        ; -- End function
	.set _ZN7rocprim17ROCPRIM_400000_NS6detail17trampoline_kernelINS0_13select_configILj256ELj13ELNS0_17block_load_methodE3ELS4_3ELS4_3ELNS0_20block_scan_algorithmE0ELj4294967295EEENS1_25partition_config_selectorILNS1_17partition_subalgoE4EjNS0_10empty_typeEbEEZZNS1_14partition_implILS8_4ELb0ES6_15HIP_vector_typeIjLj2EENS0_17counting_iteratorIjlEEPS9_SG_NS0_5tupleIJPjSI_NS0_16reverse_iteratorISI_EEEEENSH_IJSG_SG_SG_EEES9_SI_JZNS1_25segmented_radix_sort_implINS0_14default_configELb0EPKlPlSQ_SR_N2at6native12_GLOBAL__N_18offset_tEEE10hipError_tPvRmT1_PNSt15iterator_traitsISZ_E10value_typeET2_T3_PNS10_IS15_E10value_typeET4_jRbjT5_S1B_jjP12ihipStream_tbEUljE_ZNSN_ISO_Lb0ESQ_SR_SQ_SR_SV_EESW_SX_SY_SZ_S13_S14_S15_S18_S19_jS1A_jS1B_S1B_jjS1D_bEUljE0_EEESW_SX_SY_S15_S19_S1B_T6_T7_T9_mT8_S1D_bDpT10_ENKUlT_T0_E_clISt17integral_constantIbLb0EES1Q_IbLb1EEEEDaS1M_S1N_EUlS1M_E_NS1_11comp_targetILNS1_3genE0ELNS1_11target_archE4294967295ELNS1_3gpuE0ELNS1_3repE0EEENS1_30default_config_static_selectorELNS0_4arch9wavefront6targetE0EEEvSZ_.num_vgpr, 0
	.set _ZN7rocprim17ROCPRIM_400000_NS6detail17trampoline_kernelINS0_13select_configILj256ELj13ELNS0_17block_load_methodE3ELS4_3ELS4_3ELNS0_20block_scan_algorithmE0ELj4294967295EEENS1_25partition_config_selectorILNS1_17partition_subalgoE4EjNS0_10empty_typeEbEEZZNS1_14partition_implILS8_4ELb0ES6_15HIP_vector_typeIjLj2EENS0_17counting_iteratorIjlEEPS9_SG_NS0_5tupleIJPjSI_NS0_16reverse_iteratorISI_EEEEENSH_IJSG_SG_SG_EEES9_SI_JZNS1_25segmented_radix_sort_implINS0_14default_configELb0EPKlPlSQ_SR_N2at6native12_GLOBAL__N_18offset_tEEE10hipError_tPvRmT1_PNSt15iterator_traitsISZ_E10value_typeET2_T3_PNS10_IS15_E10value_typeET4_jRbjT5_S1B_jjP12ihipStream_tbEUljE_ZNSN_ISO_Lb0ESQ_SR_SQ_SR_SV_EESW_SX_SY_SZ_S13_S14_S15_S18_S19_jS1A_jS1B_S1B_jjS1D_bEUljE0_EEESW_SX_SY_S15_S19_S1B_T6_T7_T9_mT8_S1D_bDpT10_ENKUlT_T0_E_clISt17integral_constantIbLb0EES1Q_IbLb1EEEEDaS1M_S1N_EUlS1M_E_NS1_11comp_targetILNS1_3genE0ELNS1_11target_archE4294967295ELNS1_3gpuE0ELNS1_3repE0EEENS1_30default_config_static_selectorELNS0_4arch9wavefront6targetE0EEEvSZ_.num_agpr, 0
	.set _ZN7rocprim17ROCPRIM_400000_NS6detail17trampoline_kernelINS0_13select_configILj256ELj13ELNS0_17block_load_methodE3ELS4_3ELS4_3ELNS0_20block_scan_algorithmE0ELj4294967295EEENS1_25partition_config_selectorILNS1_17partition_subalgoE4EjNS0_10empty_typeEbEEZZNS1_14partition_implILS8_4ELb0ES6_15HIP_vector_typeIjLj2EENS0_17counting_iteratorIjlEEPS9_SG_NS0_5tupleIJPjSI_NS0_16reverse_iteratorISI_EEEEENSH_IJSG_SG_SG_EEES9_SI_JZNS1_25segmented_radix_sort_implINS0_14default_configELb0EPKlPlSQ_SR_N2at6native12_GLOBAL__N_18offset_tEEE10hipError_tPvRmT1_PNSt15iterator_traitsISZ_E10value_typeET2_T3_PNS10_IS15_E10value_typeET4_jRbjT5_S1B_jjP12ihipStream_tbEUljE_ZNSN_ISO_Lb0ESQ_SR_SQ_SR_SV_EESW_SX_SY_SZ_S13_S14_S15_S18_S19_jS1A_jS1B_S1B_jjS1D_bEUljE0_EEESW_SX_SY_S15_S19_S1B_T6_T7_T9_mT8_S1D_bDpT10_ENKUlT_T0_E_clISt17integral_constantIbLb0EES1Q_IbLb1EEEEDaS1M_S1N_EUlS1M_E_NS1_11comp_targetILNS1_3genE0ELNS1_11target_archE4294967295ELNS1_3gpuE0ELNS1_3repE0EEENS1_30default_config_static_selectorELNS0_4arch9wavefront6targetE0EEEvSZ_.numbered_sgpr, 0
	.set _ZN7rocprim17ROCPRIM_400000_NS6detail17trampoline_kernelINS0_13select_configILj256ELj13ELNS0_17block_load_methodE3ELS4_3ELS4_3ELNS0_20block_scan_algorithmE0ELj4294967295EEENS1_25partition_config_selectorILNS1_17partition_subalgoE4EjNS0_10empty_typeEbEEZZNS1_14partition_implILS8_4ELb0ES6_15HIP_vector_typeIjLj2EENS0_17counting_iteratorIjlEEPS9_SG_NS0_5tupleIJPjSI_NS0_16reverse_iteratorISI_EEEEENSH_IJSG_SG_SG_EEES9_SI_JZNS1_25segmented_radix_sort_implINS0_14default_configELb0EPKlPlSQ_SR_N2at6native12_GLOBAL__N_18offset_tEEE10hipError_tPvRmT1_PNSt15iterator_traitsISZ_E10value_typeET2_T3_PNS10_IS15_E10value_typeET4_jRbjT5_S1B_jjP12ihipStream_tbEUljE_ZNSN_ISO_Lb0ESQ_SR_SQ_SR_SV_EESW_SX_SY_SZ_S13_S14_S15_S18_S19_jS1A_jS1B_S1B_jjS1D_bEUljE0_EEESW_SX_SY_S15_S19_S1B_T6_T7_T9_mT8_S1D_bDpT10_ENKUlT_T0_E_clISt17integral_constantIbLb0EES1Q_IbLb1EEEEDaS1M_S1N_EUlS1M_E_NS1_11comp_targetILNS1_3genE0ELNS1_11target_archE4294967295ELNS1_3gpuE0ELNS1_3repE0EEENS1_30default_config_static_selectorELNS0_4arch9wavefront6targetE0EEEvSZ_.num_named_barrier, 0
	.set _ZN7rocprim17ROCPRIM_400000_NS6detail17trampoline_kernelINS0_13select_configILj256ELj13ELNS0_17block_load_methodE3ELS4_3ELS4_3ELNS0_20block_scan_algorithmE0ELj4294967295EEENS1_25partition_config_selectorILNS1_17partition_subalgoE4EjNS0_10empty_typeEbEEZZNS1_14partition_implILS8_4ELb0ES6_15HIP_vector_typeIjLj2EENS0_17counting_iteratorIjlEEPS9_SG_NS0_5tupleIJPjSI_NS0_16reverse_iteratorISI_EEEEENSH_IJSG_SG_SG_EEES9_SI_JZNS1_25segmented_radix_sort_implINS0_14default_configELb0EPKlPlSQ_SR_N2at6native12_GLOBAL__N_18offset_tEEE10hipError_tPvRmT1_PNSt15iterator_traitsISZ_E10value_typeET2_T3_PNS10_IS15_E10value_typeET4_jRbjT5_S1B_jjP12ihipStream_tbEUljE_ZNSN_ISO_Lb0ESQ_SR_SQ_SR_SV_EESW_SX_SY_SZ_S13_S14_S15_S18_S19_jS1A_jS1B_S1B_jjS1D_bEUljE0_EEESW_SX_SY_S15_S19_S1B_T6_T7_T9_mT8_S1D_bDpT10_ENKUlT_T0_E_clISt17integral_constantIbLb0EES1Q_IbLb1EEEEDaS1M_S1N_EUlS1M_E_NS1_11comp_targetILNS1_3genE0ELNS1_11target_archE4294967295ELNS1_3gpuE0ELNS1_3repE0EEENS1_30default_config_static_selectorELNS0_4arch9wavefront6targetE0EEEvSZ_.private_seg_size, 0
	.set _ZN7rocprim17ROCPRIM_400000_NS6detail17trampoline_kernelINS0_13select_configILj256ELj13ELNS0_17block_load_methodE3ELS4_3ELS4_3ELNS0_20block_scan_algorithmE0ELj4294967295EEENS1_25partition_config_selectorILNS1_17partition_subalgoE4EjNS0_10empty_typeEbEEZZNS1_14partition_implILS8_4ELb0ES6_15HIP_vector_typeIjLj2EENS0_17counting_iteratorIjlEEPS9_SG_NS0_5tupleIJPjSI_NS0_16reverse_iteratorISI_EEEEENSH_IJSG_SG_SG_EEES9_SI_JZNS1_25segmented_radix_sort_implINS0_14default_configELb0EPKlPlSQ_SR_N2at6native12_GLOBAL__N_18offset_tEEE10hipError_tPvRmT1_PNSt15iterator_traitsISZ_E10value_typeET2_T3_PNS10_IS15_E10value_typeET4_jRbjT5_S1B_jjP12ihipStream_tbEUljE_ZNSN_ISO_Lb0ESQ_SR_SQ_SR_SV_EESW_SX_SY_SZ_S13_S14_S15_S18_S19_jS1A_jS1B_S1B_jjS1D_bEUljE0_EEESW_SX_SY_S15_S19_S1B_T6_T7_T9_mT8_S1D_bDpT10_ENKUlT_T0_E_clISt17integral_constantIbLb0EES1Q_IbLb1EEEEDaS1M_S1N_EUlS1M_E_NS1_11comp_targetILNS1_3genE0ELNS1_11target_archE4294967295ELNS1_3gpuE0ELNS1_3repE0EEENS1_30default_config_static_selectorELNS0_4arch9wavefront6targetE0EEEvSZ_.uses_vcc, 0
	.set _ZN7rocprim17ROCPRIM_400000_NS6detail17trampoline_kernelINS0_13select_configILj256ELj13ELNS0_17block_load_methodE3ELS4_3ELS4_3ELNS0_20block_scan_algorithmE0ELj4294967295EEENS1_25partition_config_selectorILNS1_17partition_subalgoE4EjNS0_10empty_typeEbEEZZNS1_14partition_implILS8_4ELb0ES6_15HIP_vector_typeIjLj2EENS0_17counting_iteratorIjlEEPS9_SG_NS0_5tupleIJPjSI_NS0_16reverse_iteratorISI_EEEEENSH_IJSG_SG_SG_EEES9_SI_JZNS1_25segmented_radix_sort_implINS0_14default_configELb0EPKlPlSQ_SR_N2at6native12_GLOBAL__N_18offset_tEEE10hipError_tPvRmT1_PNSt15iterator_traitsISZ_E10value_typeET2_T3_PNS10_IS15_E10value_typeET4_jRbjT5_S1B_jjP12ihipStream_tbEUljE_ZNSN_ISO_Lb0ESQ_SR_SQ_SR_SV_EESW_SX_SY_SZ_S13_S14_S15_S18_S19_jS1A_jS1B_S1B_jjS1D_bEUljE0_EEESW_SX_SY_S15_S19_S1B_T6_T7_T9_mT8_S1D_bDpT10_ENKUlT_T0_E_clISt17integral_constantIbLb0EES1Q_IbLb1EEEEDaS1M_S1N_EUlS1M_E_NS1_11comp_targetILNS1_3genE0ELNS1_11target_archE4294967295ELNS1_3gpuE0ELNS1_3repE0EEENS1_30default_config_static_selectorELNS0_4arch9wavefront6targetE0EEEvSZ_.uses_flat_scratch, 0
	.set _ZN7rocprim17ROCPRIM_400000_NS6detail17trampoline_kernelINS0_13select_configILj256ELj13ELNS0_17block_load_methodE3ELS4_3ELS4_3ELNS0_20block_scan_algorithmE0ELj4294967295EEENS1_25partition_config_selectorILNS1_17partition_subalgoE4EjNS0_10empty_typeEbEEZZNS1_14partition_implILS8_4ELb0ES6_15HIP_vector_typeIjLj2EENS0_17counting_iteratorIjlEEPS9_SG_NS0_5tupleIJPjSI_NS0_16reverse_iteratorISI_EEEEENSH_IJSG_SG_SG_EEES9_SI_JZNS1_25segmented_radix_sort_implINS0_14default_configELb0EPKlPlSQ_SR_N2at6native12_GLOBAL__N_18offset_tEEE10hipError_tPvRmT1_PNSt15iterator_traitsISZ_E10value_typeET2_T3_PNS10_IS15_E10value_typeET4_jRbjT5_S1B_jjP12ihipStream_tbEUljE_ZNSN_ISO_Lb0ESQ_SR_SQ_SR_SV_EESW_SX_SY_SZ_S13_S14_S15_S18_S19_jS1A_jS1B_S1B_jjS1D_bEUljE0_EEESW_SX_SY_S15_S19_S1B_T6_T7_T9_mT8_S1D_bDpT10_ENKUlT_T0_E_clISt17integral_constantIbLb0EES1Q_IbLb1EEEEDaS1M_S1N_EUlS1M_E_NS1_11comp_targetILNS1_3genE0ELNS1_11target_archE4294967295ELNS1_3gpuE0ELNS1_3repE0EEENS1_30default_config_static_selectorELNS0_4arch9wavefront6targetE0EEEvSZ_.has_dyn_sized_stack, 0
	.set _ZN7rocprim17ROCPRIM_400000_NS6detail17trampoline_kernelINS0_13select_configILj256ELj13ELNS0_17block_load_methodE3ELS4_3ELS4_3ELNS0_20block_scan_algorithmE0ELj4294967295EEENS1_25partition_config_selectorILNS1_17partition_subalgoE4EjNS0_10empty_typeEbEEZZNS1_14partition_implILS8_4ELb0ES6_15HIP_vector_typeIjLj2EENS0_17counting_iteratorIjlEEPS9_SG_NS0_5tupleIJPjSI_NS0_16reverse_iteratorISI_EEEEENSH_IJSG_SG_SG_EEES9_SI_JZNS1_25segmented_radix_sort_implINS0_14default_configELb0EPKlPlSQ_SR_N2at6native12_GLOBAL__N_18offset_tEEE10hipError_tPvRmT1_PNSt15iterator_traitsISZ_E10value_typeET2_T3_PNS10_IS15_E10value_typeET4_jRbjT5_S1B_jjP12ihipStream_tbEUljE_ZNSN_ISO_Lb0ESQ_SR_SQ_SR_SV_EESW_SX_SY_SZ_S13_S14_S15_S18_S19_jS1A_jS1B_S1B_jjS1D_bEUljE0_EEESW_SX_SY_S15_S19_S1B_T6_T7_T9_mT8_S1D_bDpT10_ENKUlT_T0_E_clISt17integral_constantIbLb0EES1Q_IbLb1EEEEDaS1M_S1N_EUlS1M_E_NS1_11comp_targetILNS1_3genE0ELNS1_11target_archE4294967295ELNS1_3gpuE0ELNS1_3repE0EEENS1_30default_config_static_selectorELNS0_4arch9wavefront6targetE0EEEvSZ_.has_recursion, 0
	.set _ZN7rocprim17ROCPRIM_400000_NS6detail17trampoline_kernelINS0_13select_configILj256ELj13ELNS0_17block_load_methodE3ELS4_3ELS4_3ELNS0_20block_scan_algorithmE0ELj4294967295EEENS1_25partition_config_selectorILNS1_17partition_subalgoE4EjNS0_10empty_typeEbEEZZNS1_14partition_implILS8_4ELb0ES6_15HIP_vector_typeIjLj2EENS0_17counting_iteratorIjlEEPS9_SG_NS0_5tupleIJPjSI_NS0_16reverse_iteratorISI_EEEEENSH_IJSG_SG_SG_EEES9_SI_JZNS1_25segmented_radix_sort_implINS0_14default_configELb0EPKlPlSQ_SR_N2at6native12_GLOBAL__N_18offset_tEEE10hipError_tPvRmT1_PNSt15iterator_traitsISZ_E10value_typeET2_T3_PNS10_IS15_E10value_typeET4_jRbjT5_S1B_jjP12ihipStream_tbEUljE_ZNSN_ISO_Lb0ESQ_SR_SQ_SR_SV_EESW_SX_SY_SZ_S13_S14_S15_S18_S19_jS1A_jS1B_S1B_jjS1D_bEUljE0_EEESW_SX_SY_S15_S19_S1B_T6_T7_T9_mT8_S1D_bDpT10_ENKUlT_T0_E_clISt17integral_constantIbLb0EES1Q_IbLb1EEEEDaS1M_S1N_EUlS1M_E_NS1_11comp_targetILNS1_3genE0ELNS1_11target_archE4294967295ELNS1_3gpuE0ELNS1_3repE0EEENS1_30default_config_static_selectorELNS0_4arch9wavefront6targetE0EEEvSZ_.has_indirect_call, 0
	.section	.AMDGPU.csdata,"",@progbits
; Kernel info:
; codeLenInByte = 0
; TotalNumSgprs: 0
; NumVgprs: 0
; ScratchSize: 0
; MemoryBound: 0
; FloatMode: 240
; IeeeMode: 1
; LDSByteSize: 0 bytes/workgroup (compile time only)
; SGPRBlocks: 0
; VGPRBlocks: 0
; NumSGPRsForWavesPerEU: 1
; NumVGPRsForWavesPerEU: 1
; Occupancy: 16
; WaveLimiterHint : 0
; COMPUTE_PGM_RSRC2:SCRATCH_EN: 0
; COMPUTE_PGM_RSRC2:USER_SGPR: 6
; COMPUTE_PGM_RSRC2:TRAP_HANDLER: 0
; COMPUTE_PGM_RSRC2:TGID_X_EN: 1
; COMPUTE_PGM_RSRC2:TGID_Y_EN: 0
; COMPUTE_PGM_RSRC2:TGID_Z_EN: 0
; COMPUTE_PGM_RSRC2:TIDIG_COMP_CNT: 0
	.section	.text._ZN7rocprim17ROCPRIM_400000_NS6detail17trampoline_kernelINS0_13select_configILj256ELj13ELNS0_17block_load_methodE3ELS4_3ELS4_3ELNS0_20block_scan_algorithmE0ELj4294967295EEENS1_25partition_config_selectorILNS1_17partition_subalgoE4EjNS0_10empty_typeEbEEZZNS1_14partition_implILS8_4ELb0ES6_15HIP_vector_typeIjLj2EENS0_17counting_iteratorIjlEEPS9_SG_NS0_5tupleIJPjSI_NS0_16reverse_iteratorISI_EEEEENSH_IJSG_SG_SG_EEES9_SI_JZNS1_25segmented_radix_sort_implINS0_14default_configELb0EPKlPlSQ_SR_N2at6native12_GLOBAL__N_18offset_tEEE10hipError_tPvRmT1_PNSt15iterator_traitsISZ_E10value_typeET2_T3_PNS10_IS15_E10value_typeET4_jRbjT5_S1B_jjP12ihipStream_tbEUljE_ZNSN_ISO_Lb0ESQ_SR_SQ_SR_SV_EESW_SX_SY_SZ_S13_S14_S15_S18_S19_jS1A_jS1B_S1B_jjS1D_bEUljE0_EEESW_SX_SY_S15_S19_S1B_T6_T7_T9_mT8_S1D_bDpT10_ENKUlT_T0_E_clISt17integral_constantIbLb0EES1Q_IbLb1EEEEDaS1M_S1N_EUlS1M_E_NS1_11comp_targetILNS1_3genE5ELNS1_11target_archE942ELNS1_3gpuE9ELNS1_3repE0EEENS1_30default_config_static_selectorELNS0_4arch9wavefront6targetE0EEEvSZ_,"axG",@progbits,_ZN7rocprim17ROCPRIM_400000_NS6detail17trampoline_kernelINS0_13select_configILj256ELj13ELNS0_17block_load_methodE3ELS4_3ELS4_3ELNS0_20block_scan_algorithmE0ELj4294967295EEENS1_25partition_config_selectorILNS1_17partition_subalgoE4EjNS0_10empty_typeEbEEZZNS1_14partition_implILS8_4ELb0ES6_15HIP_vector_typeIjLj2EENS0_17counting_iteratorIjlEEPS9_SG_NS0_5tupleIJPjSI_NS0_16reverse_iteratorISI_EEEEENSH_IJSG_SG_SG_EEES9_SI_JZNS1_25segmented_radix_sort_implINS0_14default_configELb0EPKlPlSQ_SR_N2at6native12_GLOBAL__N_18offset_tEEE10hipError_tPvRmT1_PNSt15iterator_traitsISZ_E10value_typeET2_T3_PNS10_IS15_E10value_typeET4_jRbjT5_S1B_jjP12ihipStream_tbEUljE_ZNSN_ISO_Lb0ESQ_SR_SQ_SR_SV_EESW_SX_SY_SZ_S13_S14_S15_S18_S19_jS1A_jS1B_S1B_jjS1D_bEUljE0_EEESW_SX_SY_S15_S19_S1B_T6_T7_T9_mT8_S1D_bDpT10_ENKUlT_T0_E_clISt17integral_constantIbLb0EES1Q_IbLb1EEEEDaS1M_S1N_EUlS1M_E_NS1_11comp_targetILNS1_3genE5ELNS1_11target_archE942ELNS1_3gpuE9ELNS1_3repE0EEENS1_30default_config_static_selectorELNS0_4arch9wavefront6targetE0EEEvSZ_,comdat
	.globl	_ZN7rocprim17ROCPRIM_400000_NS6detail17trampoline_kernelINS0_13select_configILj256ELj13ELNS0_17block_load_methodE3ELS4_3ELS4_3ELNS0_20block_scan_algorithmE0ELj4294967295EEENS1_25partition_config_selectorILNS1_17partition_subalgoE4EjNS0_10empty_typeEbEEZZNS1_14partition_implILS8_4ELb0ES6_15HIP_vector_typeIjLj2EENS0_17counting_iteratorIjlEEPS9_SG_NS0_5tupleIJPjSI_NS0_16reverse_iteratorISI_EEEEENSH_IJSG_SG_SG_EEES9_SI_JZNS1_25segmented_radix_sort_implINS0_14default_configELb0EPKlPlSQ_SR_N2at6native12_GLOBAL__N_18offset_tEEE10hipError_tPvRmT1_PNSt15iterator_traitsISZ_E10value_typeET2_T3_PNS10_IS15_E10value_typeET4_jRbjT5_S1B_jjP12ihipStream_tbEUljE_ZNSN_ISO_Lb0ESQ_SR_SQ_SR_SV_EESW_SX_SY_SZ_S13_S14_S15_S18_S19_jS1A_jS1B_S1B_jjS1D_bEUljE0_EEESW_SX_SY_S15_S19_S1B_T6_T7_T9_mT8_S1D_bDpT10_ENKUlT_T0_E_clISt17integral_constantIbLb0EES1Q_IbLb1EEEEDaS1M_S1N_EUlS1M_E_NS1_11comp_targetILNS1_3genE5ELNS1_11target_archE942ELNS1_3gpuE9ELNS1_3repE0EEENS1_30default_config_static_selectorELNS0_4arch9wavefront6targetE0EEEvSZ_ ; -- Begin function _ZN7rocprim17ROCPRIM_400000_NS6detail17trampoline_kernelINS0_13select_configILj256ELj13ELNS0_17block_load_methodE3ELS4_3ELS4_3ELNS0_20block_scan_algorithmE0ELj4294967295EEENS1_25partition_config_selectorILNS1_17partition_subalgoE4EjNS0_10empty_typeEbEEZZNS1_14partition_implILS8_4ELb0ES6_15HIP_vector_typeIjLj2EENS0_17counting_iteratorIjlEEPS9_SG_NS0_5tupleIJPjSI_NS0_16reverse_iteratorISI_EEEEENSH_IJSG_SG_SG_EEES9_SI_JZNS1_25segmented_radix_sort_implINS0_14default_configELb0EPKlPlSQ_SR_N2at6native12_GLOBAL__N_18offset_tEEE10hipError_tPvRmT1_PNSt15iterator_traitsISZ_E10value_typeET2_T3_PNS10_IS15_E10value_typeET4_jRbjT5_S1B_jjP12ihipStream_tbEUljE_ZNSN_ISO_Lb0ESQ_SR_SQ_SR_SV_EESW_SX_SY_SZ_S13_S14_S15_S18_S19_jS1A_jS1B_S1B_jjS1D_bEUljE0_EEESW_SX_SY_S15_S19_S1B_T6_T7_T9_mT8_S1D_bDpT10_ENKUlT_T0_E_clISt17integral_constantIbLb0EES1Q_IbLb1EEEEDaS1M_S1N_EUlS1M_E_NS1_11comp_targetILNS1_3genE5ELNS1_11target_archE942ELNS1_3gpuE9ELNS1_3repE0EEENS1_30default_config_static_selectorELNS0_4arch9wavefront6targetE0EEEvSZ_
	.p2align	8
	.type	_ZN7rocprim17ROCPRIM_400000_NS6detail17trampoline_kernelINS0_13select_configILj256ELj13ELNS0_17block_load_methodE3ELS4_3ELS4_3ELNS0_20block_scan_algorithmE0ELj4294967295EEENS1_25partition_config_selectorILNS1_17partition_subalgoE4EjNS0_10empty_typeEbEEZZNS1_14partition_implILS8_4ELb0ES6_15HIP_vector_typeIjLj2EENS0_17counting_iteratorIjlEEPS9_SG_NS0_5tupleIJPjSI_NS0_16reverse_iteratorISI_EEEEENSH_IJSG_SG_SG_EEES9_SI_JZNS1_25segmented_radix_sort_implINS0_14default_configELb0EPKlPlSQ_SR_N2at6native12_GLOBAL__N_18offset_tEEE10hipError_tPvRmT1_PNSt15iterator_traitsISZ_E10value_typeET2_T3_PNS10_IS15_E10value_typeET4_jRbjT5_S1B_jjP12ihipStream_tbEUljE_ZNSN_ISO_Lb0ESQ_SR_SQ_SR_SV_EESW_SX_SY_SZ_S13_S14_S15_S18_S19_jS1A_jS1B_S1B_jjS1D_bEUljE0_EEESW_SX_SY_S15_S19_S1B_T6_T7_T9_mT8_S1D_bDpT10_ENKUlT_T0_E_clISt17integral_constantIbLb0EES1Q_IbLb1EEEEDaS1M_S1N_EUlS1M_E_NS1_11comp_targetILNS1_3genE5ELNS1_11target_archE942ELNS1_3gpuE9ELNS1_3repE0EEENS1_30default_config_static_selectorELNS0_4arch9wavefront6targetE0EEEvSZ_,@function
_ZN7rocprim17ROCPRIM_400000_NS6detail17trampoline_kernelINS0_13select_configILj256ELj13ELNS0_17block_load_methodE3ELS4_3ELS4_3ELNS0_20block_scan_algorithmE0ELj4294967295EEENS1_25partition_config_selectorILNS1_17partition_subalgoE4EjNS0_10empty_typeEbEEZZNS1_14partition_implILS8_4ELb0ES6_15HIP_vector_typeIjLj2EENS0_17counting_iteratorIjlEEPS9_SG_NS0_5tupleIJPjSI_NS0_16reverse_iteratorISI_EEEEENSH_IJSG_SG_SG_EEES9_SI_JZNS1_25segmented_radix_sort_implINS0_14default_configELb0EPKlPlSQ_SR_N2at6native12_GLOBAL__N_18offset_tEEE10hipError_tPvRmT1_PNSt15iterator_traitsISZ_E10value_typeET2_T3_PNS10_IS15_E10value_typeET4_jRbjT5_S1B_jjP12ihipStream_tbEUljE_ZNSN_ISO_Lb0ESQ_SR_SQ_SR_SV_EESW_SX_SY_SZ_S13_S14_S15_S18_S19_jS1A_jS1B_S1B_jjS1D_bEUljE0_EEESW_SX_SY_S15_S19_S1B_T6_T7_T9_mT8_S1D_bDpT10_ENKUlT_T0_E_clISt17integral_constantIbLb0EES1Q_IbLb1EEEEDaS1M_S1N_EUlS1M_E_NS1_11comp_targetILNS1_3genE5ELNS1_11target_archE942ELNS1_3gpuE9ELNS1_3repE0EEENS1_30default_config_static_selectorELNS0_4arch9wavefront6targetE0EEEvSZ_: ; @_ZN7rocprim17ROCPRIM_400000_NS6detail17trampoline_kernelINS0_13select_configILj256ELj13ELNS0_17block_load_methodE3ELS4_3ELS4_3ELNS0_20block_scan_algorithmE0ELj4294967295EEENS1_25partition_config_selectorILNS1_17partition_subalgoE4EjNS0_10empty_typeEbEEZZNS1_14partition_implILS8_4ELb0ES6_15HIP_vector_typeIjLj2EENS0_17counting_iteratorIjlEEPS9_SG_NS0_5tupleIJPjSI_NS0_16reverse_iteratorISI_EEEEENSH_IJSG_SG_SG_EEES9_SI_JZNS1_25segmented_radix_sort_implINS0_14default_configELb0EPKlPlSQ_SR_N2at6native12_GLOBAL__N_18offset_tEEE10hipError_tPvRmT1_PNSt15iterator_traitsISZ_E10value_typeET2_T3_PNS10_IS15_E10value_typeET4_jRbjT5_S1B_jjP12ihipStream_tbEUljE_ZNSN_ISO_Lb0ESQ_SR_SQ_SR_SV_EESW_SX_SY_SZ_S13_S14_S15_S18_S19_jS1A_jS1B_S1B_jjS1D_bEUljE0_EEESW_SX_SY_S15_S19_S1B_T6_T7_T9_mT8_S1D_bDpT10_ENKUlT_T0_E_clISt17integral_constantIbLb0EES1Q_IbLb1EEEEDaS1M_S1N_EUlS1M_E_NS1_11comp_targetILNS1_3genE5ELNS1_11target_archE942ELNS1_3gpuE9ELNS1_3repE0EEENS1_30default_config_static_selectorELNS0_4arch9wavefront6targetE0EEEvSZ_
; %bb.0:
	.section	.rodata,"a",@progbits
	.p2align	6, 0x0
	.amdhsa_kernel _ZN7rocprim17ROCPRIM_400000_NS6detail17trampoline_kernelINS0_13select_configILj256ELj13ELNS0_17block_load_methodE3ELS4_3ELS4_3ELNS0_20block_scan_algorithmE0ELj4294967295EEENS1_25partition_config_selectorILNS1_17partition_subalgoE4EjNS0_10empty_typeEbEEZZNS1_14partition_implILS8_4ELb0ES6_15HIP_vector_typeIjLj2EENS0_17counting_iteratorIjlEEPS9_SG_NS0_5tupleIJPjSI_NS0_16reverse_iteratorISI_EEEEENSH_IJSG_SG_SG_EEES9_SI_JZNS1_25segmented_radix_sort_implINS0_14default_configELb0EPKlPlSQ_SR_N2at6native12_GLOBAL__N_18offset_tEEE10hipError_tPvRmT1_PNSt15iterator_traitsISZ_E10value_typeET2_T3_PNS10_IS15_E10value_typeET4_jRbjT5_S1B_jjP12ihipStream_tbEUljE_ZNSN_ISO_Lb0ESQ_SR_SQ_SR_SV_EESW_SX_SY_SZ_S13_S14_S15_S18_S19_jS1A_jS1B_S1B_jjS1D_bEUljE0_EEESW_SX_SY_S15_S19_S1B_T6_T7_T9_mT8_S1D_bDpT10_ENKUlT_T0_E_clISt17integral_constantIbLb0EES1Q_IbLb1EEEEDaS1M_S1N_EUlS1M_E_NS1_11comp_targetILNS1_3genE5ELNS1_11target_archE942ELNS1_3gpuE9ELNS1_3repE0EEENS1_30default_config_static_selectorELNS0_4arch9wavefront6targetE0EEEvSZ_
		.amdhsa_group_segment_fixed_size 0
		.amdhsa_private_segment_fixed_size 0
		.amdhsa_kernarg_size 184
		.amdhsa_user_sgpr_count 6
		.amdhsa_user_sgpr_private_segment_buffer 1
		.amdhsa_user_sgpr_dispatch_ptr 0
		.amdhsa_user_sgpr_queue_ptr 0
		.amdhsa_user_sgpr_kernarg_segment_ptr 1
		.amdhsa_user_sgpr_dispatch_id 0
		.amdhsa_user_sgpr_flat_scratch_init 0
		.amdhsa_user_sgpr_private_segment_size 0
		.amdhsa_wavefront_size32 1
		.amdhsa_uses_dynamic_stack 0
		.amdhsa_system_sgpr_private_segment_wavefront_offset 0
		.amdhsa_system_sgpr_workgroup_id_x 1
		.amdhsa_system_sgpr_workgroup_id_y 0
		.amdhsa_system_sgpr_workgroup_id_z 0
		.amdhsa_system_sgpr_workgroup_info 0
		.amdhsa_system_vgpr_workitem_id 0
		.amdhsa_next_free_vgpr 1
		.amdhsa_next_free_sgpr 1
		.amdhsa_reserve_vcc 0
		.amdhsa_reserve_flat_scratch 0
		.amdhsa_float_round_mode_32 0
		.amdhsa_float_round_mode_16_64 0
		.amdhsa_float_denorm_mode_32 3
		.amdhsa_float_denorm_mode_16_64 3
		.amdhsa_dx10_clamp 1
		.amdhsa_ieee_mode 1
		.amdhsa_fp16_overflow 0
		.amdhsa_workgroup_processor_mode 1
		.amdhsa_memory_ordered 1
		.amdhsa_forward_progress 1
		.amdhsa_shared_vgpr_count 0
		.amdhsa_exception_fp_ieee_invalid_op 0
		.amdhsa_exception_fp_denorm_src 0
		.amdhsa_exception_fp_ieee_div_zero 0
		.amdhsa_exception_fp_ieee_overflow 0
		.amdhsa_exception_fp_ieee_underflow 0
		.amdhsa_exception_fp_ieee_inexact 0
		.amdhsa_exception_int_div_zero 0
	.end_amdhsa_kernel
	.section	.text._ZN7rocprim17ROCPRIM_400000_NS6detail17trampoline_kernelINS0_13select_configILj256ELj13ELNS0_17block_load_methodE3ELS4_3ELS4_3ELNS0_20block_scan_algorithmE0ELj4294967295EEENS1_25partition_config_selectorILNS1_17partition_subalgoE4EjNS0_10empty_typeEbEEZZNS1_14partition_implILS8_4ELb0ES6_15HIP_vector_typeIjLj2EENS0_17counting_iteratorIjlEEPS9_SG_NS0_5tupleIJPjSI_NS0_16reverse_iteratorISI_EEEEENSH_IJSG_SG_SG_EEES9_SI_JZNS1_25segmented_radix_sort_implINS0_14default_configELb0EPKlPlSQ_SR_N2at6native12_GLOBAL__N_18offset_tEEE10hipError_tPvRmT1_PNSt15iterator_traitsISZ_E10value_typeET2_T3_PNS10_IS15_E10value_typeET4_jRbjT5_S1B_jjP12ihipStream_tbEUljE_ZNSN_ISO_Lb0ESQ_SR_SQ_SR_SV_EESW_SX_SY_SZ_S13_S14_S15_S18_S19_jS1A_jS1B_S1B_jjS1D_bEUljE0_EEESW_SX_SY_S15_S19_S1B_T6_T7_T9_mT8_S1D_bDpT10_ENKUlT_T0_E_clISt17integral_constantIbLb0EES1Q_IbLb1EEEEDaS1M_S1N_EUlS1M_E_NS1_11comp_targetILNS1_3genE5ELNS1_11target_archE942ELNS1_3gpuE9ELNS1_3repE0EEENS1_30default_config_static_selectorELNS0_4arch9wavefront6targetE0EEEvSZ_,"axG",@progbits,_ZN7rocprim17ROCPRIM_400000_NS6detail17trampoline_kernelINS0_13select_configILj256ELj13ELNS0_17block_load_methodE3ELS4_3ELS4_3ELNS0_20block_scan_algorithmE0ELj4294967295EEENS1_25partition_config_selectorILNS1_17partition_subalgoE4EjNS0_10empty_typeEbEEZZNS1_14partition_implILS8_4ELb0ES6_15HIP_vector_typeIjLj2EENS0_17counting_iteratorIjlEEPS9_SG_NS0_5tupleIJPjSI_NS0_16reverse_iteratorISI_EEEEENSH_IJSG_SG_SG_EEES9_SI_JZNS1_25segmented_radix_sort_implINS0_14default_configELb0EPKlPlSQ_SR_N2at6native12_GLOBAL__N_18offset_tEEE10hipError_tPvRmT1_PNSt15iterator_traitsISZ_E10value_typeET2_T3_PNS10_IS15_E10value_typeET4_jRbjT5_S1B_jjP12ihipStream_tbEUljE_ZNSN_ISO_Lb0ESQ_SR_SQ_SR_SV_EESW_SX_SY_SZ_S13_S14_S15_S18_S19_jS1A_jS1B_S1B_jjS1D_bEUljE0_EEESW_SX_SY_S15_S19_S1B_T6_T7_T9_mT8_S1D_bDpT10_ENKUlT_T0_E_clISt17integral_constantIbLb0EES1Q_IbLb1EEEEDaS1M_S1N_EUlS1M_E_NS1_11comp_targetILNS1_3genE5ELNS1_11target_archE942ELNS1_3gpuE9ELNS1_3repE0EEENS1_30default_config_static_selectorELNS0_4arch9wavefront6targetE0EEEvSZ_,comdat
.Lfunc_end762:
	.size	_ZN7rocprim17ROCPRIM_400000_NS6detail17trampoline_kernelINS0_13select_configILj256ELj13ELNS0_17block_load_methodE3ELS4_3ELS4_3ELNS0_20block_scan_algorithmE0ELj4294967295EEENS1_25partition_config_selectorILNS1_17partition_subalgoE4EjNS0_10empty_typeEbEEZZNS1_14partition_implILS8_4ELb0ES6_15HIP_vector_typeIjLj2EENS0_17counting_iteratorIjlEEPS9_SG_NS0_5tupleIJPjSI_NS0_16reverse_iteratorISI_EEEEENSH_IJSG_SG_SG_EEES9_SI_JZNS1_25segmented_radix_sort_implINS0_14default_configELb0EPKlPlSQ_SR_N2at6native12_GLOBAL__N_18offset_tEEE10hipError_tPvRmT1_PNSt15iterator_traitsISZ_E10value_typeET2_T3_PNS10_IS15_E10value_typeET4_jRbjT5_S1B_jjP12ihipStream_tbEUljE_ZNSN_ISO_Lb0ESQ_SR_SQ_SR_SV_EESW_SX_SY_SZ_S13_S14_S15_S18_S19_jS1A_jS1B_S1B_jjS1D_bEUljE0_EEESW_SX_SY_S15_S19_S1B_T6_T7_T9_mT8_S1D_bDpT10_ENKUlT_T0_E_clISt17integral_constantIbLb0EES1Q_IbLb1EEEEDaS1M_S1N_EUlS1M_E_NS1_11comp_targetILNS1_3genE5ELNS1_11target_archE942ELNS1_3gpuE9ELNS1_3repE0EEENS1_30default_config_static_selectorELNS0_4arch9wavefront6targetE0EEEvSZ_, .Lfunc_end762-_ZN7rocprim17ROCPRIM_400000_NS6detail17trampoline_kernelINS0_13select_configILj256ELj13ELNS0_17block_load_methodE3ELS4_3ELS4_3ELNS0_20block_scan_algorithmE0ELj4294967295EEENS1_25partition_config_selectorILNS1_17partition_subalgoE4EjNS0_10empty_typeEbEEZZNS1_14partition_implILS8_4ELb0ES6_15HIP_vector_typeIjLj2EENS0_17counting_iteratorIjlEEPS9_SG_NS0_5tupleIJPjSI_NS0_16reverse_iteratorISI_EEEEENSH_IJSG_SG_SG_EEES9_SI_JZNS1_25segmented_radix_sort_implINS0_14default_configELb0EPKlPlSQ_SR_N2at6native12_GLOBAL__N_18offset_tEEE10hipError_tPvRmT1_PNSt15iterator_traitsISZ_E10value_typeET2_T3_PNS10_IS15_E10value_typeET4_jRbjT5_S1B_jjP12ihipStream_tbEUljE_ZNSN_ISO_Lb0ESQ_SR_SQ_SR_SV_EESW_SX_SY_SZ_S13_S14_S15_S18_S19_jS1A_jS1B_S1B_jjS1D_bEUljE0_EEESW_SX_SY_S15_S19_S1B_T6_T7_T9_mT8_S1D_bDpT10_ENKUlT_T0_E_clISt17integral_constantIbLb0EES1Q_IbLb1EEEEDaS1M_S1N_EUlS1M_E_NS1_11comp_targetILNS1_3genE5ELNS1_11target_archE942ELNS1_3gpuE9ELNS1_3repE0EEENS1_30default_config_static_selectorELNS0_4arch9wavefront6targetE0EEEvSZ_
                                        ; -- End function
	.set _ZN7rocprim17ROCPRIM_400000_NS6detail17trampoline_kernelINS0_13select_configILj256ELj13ELNS0_17block_load_methodE3ELS4_3ELS4_3ELNS0_20block_scan_algorithmE0ELj4294967295EEENS1_25partition_config_selectorILNS1_17partition_subalgoE4EjNS0_10empty_typeEbEEZZNS1_14partition_implILS8_4ELb0ES6_15HIP_vector_typeIjLj2EENS0_17counting_iteratorIjlEEPS9_SG_NS0_5tupleIJPjSI_NS0_16reverse_iteratorISI_EEEEENSH_IJSG_SG_SG_EEES9_SI_JZNS1_25segmented_radix_sort_implINS0_14default_configELb0EPKlPlSQ_SR_N2at6native12_GLOBAL__N_18offset_tEEE10hipError_tPvRmT1_PNSt15iterator_traitsISZ_E10value_typeET2_T3_PNS10_IS15_E10value_typeET4_jRbjT5_S1B_jjP12ihipStream_tbEUljE_ZNSN_ISO_Lb0ESQ_SR_SQ_SR_SV_EESW_SX_SY_SZ_S13_S14_S15_S18_S19_jS1A_jS1B_S1B_jjS1D_bEUljE0_EEESW_SX_SY_S15_S19_S1B_T6_T7_T9_mT8_S1D_bDpT10_ENKUlT_T0_E_clISt17integral_constantIbLb0EES1Q_IbLb1EEEEDaS1M_S1N_EUlS1M_E_NS1_11comp_targetILNS1_3genE5ELNS1_11target_archE942ELNS1_3gpuE9ELNS1_3repE0EEENS1_30default_config_static_selectorELNS0_4arch9wavefront6targetE0EEEvSZ_.num_vgpr, 0
	.set _ZN7rocprim17ROCPRIM_400000_NS6detail17trampoline_kernelINS0_13select_configILj256ELj13ELNS0_17block_load_methodE3ELS4_3ELS4_3ELNS0_20block_scan_algorithmE0ELj4294967295EEENS1_25partition_config_selectorILNS1_17partition_subalgoE4EjNS0_10empty_typeEbEEZZNS1_14partition_implILS8_4ELb0ES6_15HIP_vector_typeIjLj2EENS0_17counting_iteratorIjlEEPS9_SG_NS0_5tupleIJPjSI_NS0_16reverse_iteratorISI_EEEEENSH_IJSG_SG_SG_EEES9_SI_JZNS1_25segmented_radix_sort_implINS0_14default_configELb0EPKlPlSQ_SR_N2at6native12_GLOBAL__N_18offset_tEEE10hipError_tPvRmT1_PNSt15iterator_traitsISZ_E10value_typeET2_T3_PNS10_IS15_E10value_typeET4_jRbjT5_S1B_jjP12ihipStream_tbEUljE_ZNSN_ISO_Lb0ESQ_SR_SQ_SR_SV_EESW_SX_SY_SZ_S13_S14_S15_S18_S19_jS1A_jS1B_S1B_jjS1D_bEUljE0_EEESW_SX_SY_S15_S19_S1B_T6_T7_T9_mT8_S1D_bDpT10_ENKUlT_T0_E_clISt17integral_constantIbLb0EES1Q_IbLb1EEEEDaS1M_S1N_EUlS1M_E_NS1_11comp_targetILNS1_3genE5ELNS1_11target_archE942ELNS1_3gpuE9ELNS1_3repE0EEENS1_30default_config_static_selectorELNS0_4arch9wavefront6targetE0EEEvSZ_.num_agpr, 0
	.set _ZN7rocprim17ROCPRIM_400000_NS6detail17trampoline_kernelINS0_13select_configILj256ELj13ELNS0_17block_load_methodE3ELS4_3ELS4_3ELNS0_20block_scan_algorithmE0ELj4294967295EEENS1_25partition_config_selectorILNS1_17partition_subalgoE4EjNS0_10empty_typeEbEEZZNS1_14partition_implILS8_4ELb0ES6_15HIP_vector_typeIjLj2EENS0_17counting_iteratorIjlEEPS9_SG_NS0_5tupleIJPjSI_NS0_16reverse_iteratorISI_EEEEENSH_IJSG_SG_SG_EEES9_SI_JZNS1_25segmented_radix_sort_implINS0_14default_configELb0EPKlPlSQ_SR_N2at6native12_GLOBAL__N_18offset_tEEE10hipError_tPvRmT1_PNSt15iterator_traitsISZ_E10value_typeET2_T3_PNS10_IS15_E10value_typeET4_jRbjT5_S1B_jjP12ihipStream_tbEUljE_ZNSN_ISO_Lb0ESQ_SR_SQ_SR_SV_EESW_SX_SY_SZ_S13_S14_S15_S18_S19_jS1A_jS1B_S1B_jjS1D_bEUljE0_EEESW_SX_SY_S15_S19_S1B_T6_T7_T9_mT8_S1D_bDpT10_ENKUlT_T0_E_clISt17integral_constantIbLb0EES1Q_IbLb1EEEEDaS1M_S1N_EUlS1M_E_NS1_11comp_targetILNS1_3genE5ELNS1_11target_archE942ELNS1_3gpuE9ELNS1_3repE0EEENS1_30default_config_static_selectorELNS0_4arch9wavefront6targetE0EEEvSZ_.numbered_sgpr, 0
	.set _ZN7rocprim17ROCPRIM_400000_NS6detail17trampoline_kernelINS0_13select_configILj256ELj13ELNS0_17block_load_methodE3ELS4_3ELS4_3ELNS0_20block_scan_algorithmE0ELj4294967295EEENS1_25partition_config_selectorILNS1_17partition_subalgoE4EjNS0_10empty_typeEbEEZZNS1_14partition_implILS8_4ELb0ES6_15HIP_vector_typeIjLj2EENS0_17counting_iteratorIjlEEPS9_SG_NS0_5tupleIJPjSI_NS0_16reverse_iteratorISI_EEEEENSH_IJSG_SG_SG_EEES9_SI_JZNS1_25segmented_radix_sort_implINS0_14default_configELb0EPKlPlSQ_SR_N2at6native12_GLOBAL__N_18offset_tEEE10hipError_tPvRmT1_PNSt15iterator_traitsISZ_E10value_typeET2_T3_PNS10_IS15_E10value_typeET4_jRbjT5_S1B_jjP12ihipStream_tbEUljE_ZNSN_ISO_Lb0ESQ_SR_SQ_SR_SV_EESW_SX_SY_SZ_S13_S14_S15_S18_S19_jS1A_jS1B_S1B_jjS1D_bEUljE0_EEESW_SX_SY_S15_S19_S1B_T6_T7_T9_mT8_S1D_bDpT10_ENKUlT_T0_E_clISt17integral_constantIbLb0EES1Q_IbLb1EEEEDaS1M_S1N_EUlS1M_E_NS1_11comp_targetILNS1_3genE5ELNS1_11target_archE942ELNS1_3gpuE9ELNS1_3repE0EEENS1_30default_config_static_selectorELNS0_4arch9wavefront6targetE0EEEvSZ_.num_named_barrier, 0
	.set _ZN7rocprim17ROCPRIM_400000_NS6detail17trampoline_kernelINS0_13select_configILj256ELj13ELNS0_17block_load_methodE3ELS4_3ELS4_3ELNS0_20block_scan_algorithmE0ELj4294967295EEENS1_25partition_config_selectorILNS1_17partition_subalgoE4EjNS0_10empty_typeEbEEZZNS1_14partition_implILS8_4ELb0ES6_15HIP_vector_typeIjLj2EENS0_17counting_iteratorIjlEEPS9_SG_NS0_5tupleIJPjSI_NS0_16reverse_iteratorISI_EEEEENSH_IJSG_SG_SG_EEES9_SI_JZNS1_25segmented_radix_sort_implINS0_14default_configELb0EPKlPlSQ_SR_N2at6native12_GLOBAL__N_18offset_tEEE10hipError_tPvRmT1_PNSt15iterator_traitsISZ_E10value_typeET2_T3_PNS10_IS15_E10value_typeET4_jRbjT5_S1B_jjP12ihipStream_tbEUljE_ZNSN_ISO_Lb0ESQ_SR_SQ_SR_SV_EESW_SX_SY_SZ_S13_S14_S15_S18_S19_jS1A_jS1B_S1B_jjS1D_bEUljE0_EEESW_SX_SY_S15_S19_S1B_T6_T7_T9_mT8_S1D_bDpT10_ENKUlT_T0_E_clISt17integral_constantIbLb0EES1Q_IbLb1EEEEDaS1M_S1N_EUlS1M_E_NS1_11comp_targetILNS1_3genE5ELNS1_11target_archE942ELNS1_3gpuE9ELNS1_3repE0EEENS1_30default_config_static_selectorELNS0_4arch9wavefront6targetE0EEEvSZ_.private_seg_size, 0
	.set _ZN7rocprim17ROCPRIM_400000_NS6detail17trampoline_kernelINS0_13select_configILj256ELj13ELNS0_17block_load_methodE3ELS4_3ELS4_3ELNS0_20block_scan_algorithmE0ELj4294967295EEENS1_25partition_config_selectorILNS1_17partition_subalgoE4EjNS0_10empty_typeEbEEZZNS1_14partition_implILS8_4ELb0ES6_15HIP_vector_typeIjLj2EENS0_17counting_iteratorIjlEEPS9_SG_NS0_5tupleIJPjSI_NS0_16reverse_iteratorISI_EEEEENSH_IJSG_SG_SG_EEES9_SI_JZNS1_25segmented_radix_sort_implINS0_14default_configELb0EPKlPlSQ_SR_N2at6native12_GLOBAL__N_18offset_tEEE10hipError_tPvRmT1_PNSt15iterator_traitsISZ_E10value_typeET2_T3_PNS10_IS15_E10value_typeET4_jRbjT5_S1B_jjP12ihipStream_tbEUljE_ZNSN_ISO_Lb0ESQ_SR_SQ_SR_SV_EESW_SX_SY_SZ_S13_S14_S15_S18_S19_jS1A_jS1B_S1B_jjS1D_bEUljE0_EEESW_SX_SY_S15_S19_S1B_T6_T7_T9_mT8_S1D_bDpT10_ENKUlT_T0_E_clISt17integral_constantIbLb0EES1Q_IbLb1EEEEDaS1M_S1N_EUlS1M_E_NS1_11comp_targetILNS1_3genE5ELNS1_11target_archE942ELNS1_3gpuE9ELNS1_3repE0EEENS1_30default_config_static_selectorELNS0_4arch9wavefront6targetE0EEEvSZ_.uses_vcc, 0
	.set _ZN7rocprim17ROCPRIM_400000_NS6detail17trampoline_kernelINS0_13select_configILj256ELj13ELNS0_17block_load_methodE3ELS4_3ELS4_3ELNS0_20block_scan_algorithmE0ELj4294967295EEENS1_25partition_config_selectorILNS1_17partition_subalgoE4EjNS0_10empty_typeEbEEZZNS1_14partition_implILS8_4ELb0ES6_15HIP_vector_typeIjLj2EENS0_17counting_iteratorIjlEEPS9_SG_NS0_5tupleIJPjSI_NS0_16reverse_iteratorISI_EEEEENSH_IJSG_SG_SG_EEES9_SI_JZNS1_25segmented_radix_sort_implINS0_14default_configELb0EPKlPlSQ_SR_N2at6native12_GLOBAL__N_18offset_tEEE10hipError_tPvRmT1_PNSt15iterator_traitsISZ_E10value_typeET2_T3_PNS10_IS15_E10value_typeET4_jRbjT5_S1B_jjP12ihipStream_tbEUljE_ZNSN_ISO_Lb0ESQ_SR_SQ_SR_SV_EESW_SX_SY_SZ_S13_S14_S15_S18_S19_jS1A_jS1B_S1B_jjS1D_bEUljE0_EEESW_SX_SY_S15_S19_S1B_T6_T7_T9_mT8_S1D_bDpT10_ENKUlT_T0_E_clISt17integral_constantIbLb0EES1Q_IbLb1EEEEDaS1M_S1N_EUlS1M_E_NS1_11comp_targetILNS1_3genE5ELNS1_11target_archE942ELNS1_3gpuE9ELNS1_3repE0EEENS1_30default_config_static_selectorELNS0_4arch9wavefront6targetE0EEEvSZ_.uses_flat_scratch, 0
	.set _ZN7rocprim17ROCPRIM_400000_NS6detail17trampoline_kernelINS0_13select_configILj256ELj13ELNS0_17block_load_methodE3ELS4_3ELS4_3ELNS0_20block_scan_algorithmE0ELj4294967295EEENS1_25partition_config_selectorILNS1_17partition_subalgoE4EjNS0_10empty_typeEbEEZZNS1_14partition_implILS8_4ELb0ES6_15HIP_vector_typeIjLj2EENS0_17counting_iteratorIjlEEPS9_SG_NS0_5tupleIJPjSI_NS0_16reverse_iteratorISI_EEEEENSH_IJSG_SG_SG_EEES9_SI_JZNS1_25segmented_radix_sort_implINS0_14default_configELb0EPKlPlSQ_SR_N2at6native12_GLOBAL__N_18offset_tEEE10hipError_tPvRmT1_PNSt15iterator_traitsISZ_E10value_typeET2_T3_PNS10_IS15_E10value_typeET4_jRbjT5_S1B_jjP12ihipStream_tbEUljE_ZNSN_ISO_Lb0ESQ_SR_SQ_SR_SV_EESW_SX_SY_SZ_S13_S14_S15_S18_S19_jS1A_jS1B_S1B_jjS1D_bEUljE0_EEESW_SX_SY_S15_S19_S1B_T6_T7_T9_mT8_S1D_bDpT10_ENKUlT_T0_E_clISt17integral_constantIbLb0EES1Q_IbLb1EEEEDaS1M_S1N_EUlS1M_E_NS1_11comp_targetILNS1_3genE5ELNS1_11target_archE942ELNS1_3gpuE9ELNS1_3repE0EEENS1_30default_config_static_selectorELNS0_4arch9wavefront6targetE0EEEvSZ_.has_dyn_sized_stack, 0
	.set _ZN7rocprim17ROCPRIM_400000_NS6detail17trampoline_kernelINS0_13select_configILj256ELj13ELNS0_17block_load_methodE3ELS4_3ELS4_3ELNS0_20block_scan_algorithmE0ELj4294967295EEENS1_25partition_config_selectorILNS1_17partition_subalgoE4EjNS0_10empty_typeEbEEZZNS1_14partition_implILS8_4ELb0ES6_15HIP_vector_typeIjLj2EENS0_17counting_iteratorIjlEEPS9_SG_NS0_5tupleIJPjSI_NS0_16reverse_iteratorISI_EEEEENSH_IJSG_SG_SG_EEES9_SI_JZNS1_25segmented_radix_sort_implINS0_14default_configELb0EPKlPlSQ_SR_N2at6native12_GLOBAL__N_18offset_tEEE10hipError_tPvRmT1_PNSt15iterator_traitsISZ_E10value_typeET2_T3_PNS10_IS15_E10value_typeET4_jRbjT5_S1B_jjP12ihipStream_tbEUljE_ZNSN_ISO_Lb0ESQ_SR_SQ_SR_SV_EESW_SX_SY_SZ_S13_S14_S15_S18_S19_jS1A_jS1B_S1B_jjS1D_bEUljE0_EEESW_SX_SY_S15_S19_S1B_T6_T7_T9_mT8_S1D_bDpT10_ENKUlT_T0_E_clISt17integral_constantIbLb0EES1Q_IbLb1EEEEDaS1M_S1N_EUlS1M_E_NS1_11comp_targetILNS1_3genE5ELNS1_11target_archE942ELNS1_3gpuE9ELNS1_3repE0EEENS1_30default_config_static_selectorELNS0_4arch9wavefront6targetE0EEEvSZ_.has_recursion, 0
	.set _ZN7rocprim17ROCPRIM_400000_NS6detail17trampoline_kernelINS0_13select_configILj256ELj13ELNS0_17block_load_methodE3ELS4_3ELS4_3ELNS0_20block_scan_algorithmE0ELj4294967295EEENS1_25partition_config_selectorILNS1_17partition_subalgoE4EjNS0_10empty_typeEbEEZZNS1_14partition_implILS8_4ELb0ES6_15HIP_vector_typeIjLj2EENS0_17counting_iteratorIjlEEPS9_SG_NS0_5tupleIJPjSI_NS0_16reverse_iteratorISI_EEEEENSH_IJSG_SG_SG_EEES9_SI_JZNS1_25segmented_radix_sort_implINS0_14default_configELb0EPKlPlSQ_SR_N2at6native12_GLOBAL__N_18offset_tEEE10hipError_tPvRmT1_PNSt15iterator_traitsISZ_E10value_typeET2_T3_PNS10_IS15_E10value_typeET4_jRbjT5_S1B_jjP12ihipStream_tbEUljE_ZNSN_ISO_Lb0ESQ_SR_SQ_SR_SV_EESW_SX_SY_SZ_S13_S14_S15_S18_S19_jS1A_jS1B_S1B_jjS1D_bEUljE0_EEESW_SX_SY_S15_S19_S1B_T6_T7_T9_mT8_S1D_bDpT10_ENKUlT_T0_E_clISt17integral_constantIbLb0EES1Q_IbLb1EEEEDaS1M_S1N_EUlS1M_E_NS1_11comp_targetILNS1_3genE5ELNS1_11target_archE942ELNS1_3gpuE9ELNS1_3repE0EEENS1_30default_config_static_selectorELNS0_4arch9wavefront6targetE0EEEvSZ_.has_indirect_call, 0
	.section	.AMDGPU.csdata,"",@progbits
; Kernel info:
; codeLenInByte = 0
; TotalNumSgprs: 0
; NumVgprs: 0
; ScratchSize: 0
; MemoryBound: 0
; FloatMode: 240
; IeeeMode: 1
; LDSByteSize: 0 bytes/workgroup (compile time only)
; SGPRBlocks: 0
; VGPRBlocks: 0
; NumSGPRsForWavesPerEU: 1
; NumVGPRsForWavesPerEU: 1
; Occupancy: 16
; WaveLimiterHint : 0
; COMPUTE_PGM_RSRC2:SCRATCH_EN: 0
; COMPUTE_PGM_RSRC2:USER_SGPR: 6
; COMPUTE_PGM_RSRC2:TRAP_HANDLER: 0
; COMPUTE_PGM_RSRC2:TGID_X_EN: 1
; COMPUTE_PGM_RSRC2:TGID_Y_EN: 0
; COMPUTE_PGM_RSRC2:TGID_Z_EN: 0
; COMPUTE_PGM_RSRC2:TIDIG_COMP_CNT: 0
	.section	.text._ZN7rocprim17ROCPRIM_400000_NS6detail17trampoline_kernelINS0_13select_configILj256ELj13ELNS0_17block_load_methodE3ELS4_3ELS4_3ELNS0_20block_scan_algorithmE0ELj4294967295EEENS1_25partition_config_selectorILNS1_17partition_subalgoE4EjNS0_10empty_typeEbEEZZNS1_14partition_implILS8_4ELb0ES6_15HIP_vector_typeIjLj2EENS0_17counting_iteratorIjlEEPS9_SG_NS0_5tupleIJPjSI_NS0_16reverse_iteratorISI_EEEEENSH_IJSG_SG_SG_EEES9_SI_JZNS1_25segmented_radix_sort_implINS0_14default_configELb0EPKlPlSQ_SR_N2at6native12_GLOBAL__N_18offset_tEEE10hipError_tPvRmT1_PNSt15iterator_traitsISZ_E10value_typeET2_T3_PNS10_IS15_E10value_typeET4_jRbjT5_S1B_jjP12ihipStream_tbEUljE_ZNSN_ISO_Lb0ESQ_SR_SQ_SR_SV_EESW_SX_SY_SZ_S13_S14_S15_S18_S19_jS1A_jS1B_S1B_jjS1D_bEUljE0_EEESW_SX_SY_S15_S19_S1B_T6_T7_T9_mT8_S1D_bDpT10_ENKUlT_T0_E_clISt17integral_constantIbLb0EES1Q_IbLb1EEEEDaS1M_S1N_EUlS1M_E_NS1_11comp_targetILNS1_3genE4ELNS1_11target_archE910ELNS1_3gpuE8ELNS1_3repE0EEENS1_30default_config_static_selectorELNS0_4arch9wavefront6targetE0EEEvSZ_,"axG",@progbits,_ZN7rocprim17ROCPRIM_400000_NS6detail17trampoline_kernelINS0_13select_configILj256ELj13ELNS0_17block_load_methodE3ELS4_3ELS4_3ELNS0_20block_scan_algorithmE0ELj4294967295EEENS1_25partition_config_selectorILNS1_17partition_subalgoE4EjNS0_10empty_typeEbEEZZNS1_14partition_implILS8_4ELb0ES6_15HIP_vector_typeIjLj2EENS0_17counting_iteratorIjlEEPS9_SG_NS0_5tupleIJPjSI_NS0_16reverse_iteratorISI_EEEEENSH_IJSG_SG_SG_EEES9_SI_JZNS1_25segmented_radix_sort_implINS0_14default_configELb0EPKlPlSQ_SR_N2at6native12_GLOBAL__N_18offset_tEEE10hipError_tPvRmT1_PNSt15iterator_traitsISZ_E10value_typeET2_T3_PNS10_IS15_E10value_typeET4_jRbjT5_S1B_jjP12ihipStream_tbEUljE_ZNSN_ISO_Lb0ESQ_SR_SQ_SR_SV_EESW_SX_SY_SZ_S13_S14_S15_S18_S19_jS1A_jS1B_S1B_jjS1D_bEUljE0_EEESW_SX_SY_S15_S19_S1B_T6_T7_T9_mT8_S1D_bDpT10_ENKUlT_T0_E_clISt17integral_constantIbLb0EES1Q_IbLb1EEEEDaS1M_S1N_EUlS1M_E_NS1_11comp_targetILNS1_3genE4ELNS1_11target_archE910ELNS1_3gpuE8ELNS1_3repE0EEENS1_30default_config_static_selectorELNS0_4arch9wavefront6targetE0EEEvSZ_,comdat
	.globl	_ZN7rocprim17ROCPRIM_400000_NS6detail17trampoline_kernelINS0_13select_configILj256ELj13ELNS0_17block_load_methodE3ELS4_3ELS4_3ELNS0_20block_scan_algorithmE0ELj4294967295EEENS1_25partition_config_selectorILNS1_17partition_subalgoE4EjNS0_10empty_typeEbEEZZNS1_14partition_implILS8_4ELb0ES6_15HIP_vector_typeIjLj2EENS0_17counting_iteratorIjlEEPS9_SG_NS0_5tupleIJPjSI_NS0_16reverse_iteratorISI_EEEEENSH_IJSG_SG_SG_EEES9_SI_JZNS1_25segmented_radix_sort_implINS0_14default_configELb0EPKlPlSQ_SR_N2at6native12_GLOBAL__N_18offset_tEEE10hipError_tPvRmT1_PNSt15iterator_traitsISZ_E10value_typeET2_T3_PNS10_IS15_E10value_typeET4_jRbjT5_S1B_jjP12ihipStream_tbEUljE_ZNSN_ISO_Lb0ESQ_SR_SQ_SR_SV_EESW_SX_SY_SZ_S13_S14_S15_S18_S19_jS1A_jS1B_S1B_jjS1D_bEUljE0_EEESW_SX_SY_S15_S19_S1B_T6_T7_T9_mT8_S1D_bDpT10_ENKUlT_T0_E_clISt17integral_constantIbLb0EES1Q_IbLb1EEEEDaS1M_S1N_EUlS1M_E_NS1_11comp_targetILNS1_3genE4ELNS1_11target_archE910ELNS1_3gpuE8ELNS1_3repE0EEENS1_30default_config_static_selectorELNS0_4arch9wavefront6targetE0EEEvSZ_ ; -- Begin function _ZN7rocprim17ROCPRIM_400000_NS6detail17trampoline_kernelINS0_13select_configILj256ELj13ELNS0_17block_load_methodE3ELS4_3ELS4_3ELNS0_20block_scan_algorithmE0ELj4294967295EEENS1_25partition_config_selectorILNS1_17partition_subalgoE4EjNS0_10empty_typeEbEEZZNS1_14partition_implILS8_4ELb0ES6_15HIP_vector_typeIjLj2EENS0_17counting_iteratorIjlEEPS9_SG_NS0_5tupleIJPjSI_NS0_16reverse_iteratorISI_EEEEENSH_IJSG_SG_SG_EEES9_SI_JZNS1_25segmented_radix_sort_implINS0_14default_configELb0EPKlPlSQ_SR_N2at6native12_GLOBAL__N_18offset_tEEE10hipError_tPvRmT1_PNSt15iterator_traitsISZ_E10value_typeET2_T3_PNS10_IS15_E10value_typeET4_jRbjT5_S1B_jjP12ihipStream_tbEUljE_ZNSN_ISO_Lb0ESQ_SR_SQ_SR_SV_EESW_SX_SY_SZ_S13_S14_S15_S18_S19_jS1A_jS1B_S1B_jjS1D_bEUljE0_EEESW_SX_SY_S15_S19_S1B_T6_T7_T9_mT8_S1D_bDpT10_ENKUlT_T0_E_clISt17integral_constantIbLb0EES1Q_IbLb1EEEEDaS1M_S1N_EUlS1M_E_NS1_11comp_targetILNS1_3genE4ELNS1_11target_archE910ELNS1_3gpuE8ELNS1_3repE0EEENS1_30default_config_static_selectorELNS0_4arch9wavefront6targetE0EEEvSZ_
	.p2align	8
	.type	_ZN7rocprim17ROCPRIM_400000_NS6detail17trampoline_kernelINS0_13select_configILj256ELj13ELNS0_17block_load_methodE3ELS4_3ELS4_3ELNS0_20block_scan_algorithmE0ELj4294967295EEENS1_25partition_config_selectorILNS1_17partition_subalgoE4EjNS0_10empty_typeEbEEZZNS1_14partition_implILS8_4ELb0ES6_15HIP_vector_typeIjLj2EENS0_17counting_iteratorIjlEEPS9_SG_NS0_5tupleIJPjSI_NS0_16reverse_iteratorISI_EEEEENSH_IJSG_SG_SG_EEES9_SI_JZNS1_25segmented_radix_sort_implINS0_14default_configELb0EPKlPlSQ_SR_N2at6native12_GLOBAL__N_18offset_tEEE10hipError_tPvRmT1_PNSt15iterator_traitsISZ_E10value_typeET2_T3_PNS10_IS15_E10value_typeET4_jRbjT5_S1B_jjP12ihipStream_tbEUljE_ZNSN_ISO_Lb0ESQ_SR_SQ_SR_SV_EESW_SX_SY_SZ_S13_S14_S15_S18_S19_jS1A_jS1B_S1B_jjS1D_bEUljE0_EEESW_SX_SY_S15_S19_S1B_T6_T7_T9_mT8_S1D_bDpT10_ENKUlT_T0_E_clISt17integral_constantIbLb0EES1Q_IbLb1EEEEDaS1M_S1N_EUlS1M_E_NS1_11comp_targetILNS1_3genE4ELNS1_11target_archE910ELNS1_3gpuE8ELNS1_3repE0EEENS1_30default_config_static_selectorELNS0_4arch9wavefront6targetE0EEEvSZ_,@function
_ZN7rocprim17ROCPRIM_400000_NS6detail17trampoline_kernelINS0_13select_configILj256ELj13ELNS0_17block_load_methodE3ELS4_3ELS4_3ELNS0_20block_scan_algorithmE0ELj4294967295EEENS1_25partition_config_selectorILNS1_17partition_subalgoE4EjNS0_10empty_typeEbEEZZNS1_14partition_implILS8_4ELb0ES6_15HIP_vector_typeIjLj2EENS0_17counting_iteratorIjlEEPS9_SG_NS0_5tupleIJPjSI_NS0_16reverse_iteratorISI_EEEEENSH_IJSG_SG_SG_EEES9_SI_JZNS1_25segmented_radix_sort_implINS0_14default_configELb0EPKlPlSQ_SR_N2at6native12_GLOBAL__N_18offset_tEEE10hipError_tPvRmT1_PNSt15iterator_traitsISZ_E10value_typeET2_T3_PNS10_IS15_E10value_typeET4_jRbjT5_S1B_jjP12ihipStream_tbEUljE_ZNSN_ISO_Lb0ESQ_SR_SQ_SR_SV_EESW_SX_SY_SZ_S13_S14_S15_S18_S19_jS1A_jS1B_S1B_jjS1D_bEUljE0_EEESW_SX_SY_S15_S19_S1B_T6_T7_T9_mT8_S1D_bDpT10_ENKUlT_T0_E_clISt17integral_constantIbLb0EES1Q_IbLb1EEEEDaS1M_S1N_EUlS1M_E_NS1_11comp_targetILNS1_3genE4ELNS1_11target_archE910ELNS1_3gpuE8ELNS1_3repE0EEENS1_30default_config_static_selectorELNS0_4arch9wavefront6targetE0EEEvSZ_: ; @_ZN7rocprim17ROCPRIM_400000_NS6detail17trampoline_kernelINS0_13select_configILj256ELj13ELNS0_17block_load_methodE3ELS4_3ELS4_3ELNS0_20block_scan_algorithmE0ELj4294967295EEENS1_25partition_config_selectorILNS1_17partition_subalgoE4EjNS0_10empty_typeEbEEZZNS1_14partition_implILS8_4ELb0ES6_15HIP_vector_typeIjLj2EENS0_17counting_iteratorIjlEEPS9_SG_NS0_5tupleIJPjSI_NS0_16reverse_iteratorISI_EEEEENSH_IJSG_SG_SG_EEES9_SI_JZNS1_25segmented_radix_sort_implINS0_14default_configELb0EPKlPlSQ_SR_N2at6native12_GLOBAL__N_18offset_tEEE10hipError_tPvRmT1_PNSt15iterator_traitsISZ_E10value_typeET2_T3_PNS10_IS15_E10value_typeET4_jRbjT5_S1B_jjP12ihipStream_tbEUljE_ZNSN_ISO_Lb0ESQ_SR_SQ_SR_SV_EESW_SX_SY_SZ_S13_S14_S15_S18_S19_jS1A_jS1B_S1B_jjS1D_bEUljE0_EEESW_SX_SY_S15_S19_S1B_T6_T7_T9_mT8_S1D_bDpT10_ENKUlT_T0_E_clISt17integral_constantIbLb0EES1Q_IbLb1EEEEDaS1M_S1N_EUlS1M_E_NS1_11comp_targetILNS1_3genE4ELNS1_11target_archE910ELNS1_3gpuE8ELNS1_3repE0EEENS1_30default_config_static_selectorELNS0_4arch9wavefront6targetE0EEEvSZ_
; %bb.0:
	.section	.rodata,"a",@progbits
	.p2align	6, 0x0
	.amdhsa_kernel _ZN7rocprim17ROCPRIM_400000_NS6detail17trampoline_kernelINS0_13select_configILj256ELj13ELNS0_17block_load_methodE3ELS4_3ELS4_3ELNS0_20block_scan_algorithmE0ELj4294967295EEENS1_25partition_config_selectorILNS1_17partition_subalgoE4EjNS0_10empty_typeEbEEZZNS1_14partition_implILS8_4ELb0ES6_15HIP_vector_typeIjLj2EENS0_17counting_iteratorIjlEEPS9_SG_NS0_5tupleIJPjSI_NS0_16reverse_iteratorISI_EEEEENSH_IJSG_SG_SG_EEES9_SI_JZNS1_25segmented_radix_sort_implINS0_14default_configELb0EPKlPlSQ_SR_N2at6native12_GLOBAL__N_18offset_tEEE10hipError_tPvRmT1_PNSt15iterator_traitsISZ_E10value_typeET2_T3_PNS10_IS15_E10value_typeET4_jRbjT5_S1B_jjP12ihipStream_tbEUljE_ZNSN_ISO_Lb0ESQ_SR_SQ_SR_SV_EESW_SX_SY_SZ_S13_S14_S15_S18_S19_jS1A_jS1B_S1B_jjS1D_bEUljE0_EEESW_SX_SY_S15_S19_S1B_T6_T7_T9_mT8_S1D_bDpT10_ENKUlT_T0_E_clISt17integral_constantIbLb0EES1Q_IbLb1EEEEDaS1M_S1N_EUlS1M_E_NS1_11comp_targetILNS1_3genE4ELNS1_11target_archE910ELNS1_3gpuE8ELNS1_3repE0EEENS1_30default_config_static_selectorELNS0_4arch9wavefront6targetE0EEEvSZ_
		.amdhsa_group_segment_fixed_size 0
		.amdhsa_private_segment_fixed_size 0
		.amdhsa_kernarg_size 184
		.amdhsa_user_sgpr_count 6
		.amdhsa_user_sgpr_private_segment_buffer 1
		.amdhsa_user_sgpr_dispatch_ptr 0
		.amdhsa_user_sgpr_queue_ptr 0
		.amdhsa_user_sgpr_kernarg_segment_ptr 1
		.amdhsa_user_sgpr_dispatch_id 0
		.amdhsa_user_sgpr_flat_scratch_init 0
		.amdhsa_user_sgpr_private_segment_size 0
		.amdhsa_wavefront_size32 1
		.amdhsa_uses_dynamic_stack 0
		.amdhsa_system_sgpr_private_segment_wavefront_offset 0
		.amdhsa_system_sgpr_workgroup_id_x 1
		.amdhsa_system_sgpr_workgroup_id_y 0
		.amdhsa_system_sgpr_workgroup_id_z 0
		.amdhsa_system_sgpr_workgroup_info 0
		.amdhsa_system_vgpr_workitem_id 0
		.amdhsa_next_free_vgpr 1
		.amdhsa_next_free_sgpr 1
		.amdhsa_reserve_vcc 0
		.amdhsa_reserve_flat_scratch 0
		.amdhsa_float_round_mode_32 0
		.amdhsa_float_round_mode_16_64 0
		.amdhsa_float_denorm_mode_32 3
		.amdhsa_float_denorm_mode_16_64 3
		.amdhsa_dx10_clamp 1
		.amdhsa_ieee_mode 1
		.amdhsa_fp16_overflow 0
		.amdhsa_workgroup_processor_mode 1
		.amdhsa_memory_ordered 1
		.amdhsa_forward_progress 1
		.amdhsa_shared_vgpr_count 0
		.amdhsa_exception_fp_ieee_invalid_op 0
		.amdhsa_exception_fp_denorm_src 0
		.amdhsa_exception_fp_ieee_div_zero 0
		.amdhsa_exception_fp_ieee_overflow 0
		.amdhsa_exception_fp_ieee_underflow 0
		.amdhsa_exception_fp_ieee_inexact 0
		.amdhsa_exception_int_div_zero 0
	.end_amdhsa_kernel
	.section	.text._ZN7rocprim17ROCPRIM_400000_NS6detail17trampoline_kernelINS0_13select_configILj256ELj13ELNS0_17block_load_methodE3ELS4_3ELS4_3ELNS0_20block_scan_algorithmE0ELj4294967295EEENS1_25partition_config_selectorILNS1_17partition_subalgoE4EjNS0_10empty_typeEbEEZZNS1_14partition_implILS8_4ELb0ES6_15HIP_vector_typeIjLj2EENS0_17counting_iteratorIjlEEPS9_SG_NS0_5tupleIJPjSI_NS0_16reverse_iteratorISI_EEEEENSH_IJSG_SG_SG_EEES9_SI_JZNS1_25segmented_radix_sort_implINS0_14default_configELb0EPKlPlSQ_SR_N2at6native12_GLOBAL__N_18offset_tEEE10hipError_tPvRmT1_PNSt15iterator_traitsISZ_E10value_typeET2_T3_PNS10_IS15_E10value_typeET4_jRbjT5_S1B_jjP12ihipStream_tbEUljE_ZNSN_ISO_Lb0ESQ_SR_SQ_SR_SV_EESW_SX_SY_SZ_S13_S14_S15_S18_S19_jS1A_jS1B_S1B_jjS1D_bEUljE0_EEESW_SX_SY_S15_S19_S1B_T6_T7_T9_mT8_S1D_bDpT10_ENKUlT_T0_E_clISt17integral_constantIbLb0EES1Q_IbLb1EEEEDaS1M_S1N_EUlS1M_E_NS1_11comp_targetILNS1_3genE4ELNS1_11target_archE910ELNS1_3gpuE8ELNS1_3repE0EEENS1_30default_config_static_selectorELNS0_4arch9wavefront6targetE0EEEvSZ_,"axG",@progbits,_ZN7rocprim17ROCPRIM_400000_NS6detail17trampoline_kernelINS0_13select_configILj256ELj13ELNS0_17block_load_methodE3ELS4_3ELS4_3ELNS0_20block_scan_algorithmE0ELj4294967295EEENS1_25partition_config_selectorILNS1_17partition_subalgoE4EjNS0_10empty_typeEbEEZZNS1_14partition_implILS8_4ELb0ES6_15HIP_vector_typeIjLj2EENS0_17counting_iteratorIjlEEPS9_SG_NS0_5tupleIJPjSI_NS0_16reverse_iteratorISI_EEEEENSH_IJSG_SG_SG_EEES9_SI_JZNS1_25segmented_radix_sort_implINS0_14default_configELb0EPKlPlSQ_SR_N2at6native12_GLOBAL__N_18offset_tEEE10hipError_tPvRmT1_PNSt15iterator_traitsISZ_E10value_typeET2_T3_PNS10_IS15_E10value_typeET4_jRbjT5_S1B_jjP12ihipStream_tbEUljE_ZNSN_ISO_Lb0ESQ_SR_SQ_SR_SV_EESW_SX_SY_SZ_S13_S14_S15_S18_S19_jS1A_jS1B_S1B_jjS1D_bEUljE0_EEESW_SX_SY_S15_S19_S1B_T6_T7_T9_mT8_S1D_bDpT10_ENKUlT_T0_E_clISt17integral_constantIbLb0EES1Q_IbLb1EEEEDaS1M_S1N_EUlS1M_E_NS1_11comp_targetILNS1_3genE4ELNS1_11target_archE910ELNS1_3gpuE8ELNS1_3repE0EEENS1_30default_config_static_selectorELNS0_4arch9wavefront6targetE0EEEvSZ_,comdat
.Lfunc_end763:
	.size	_ZN7rocprim17ROCPRIM_400000_NS6detail17trampoline_kernelINS0_13select_configILj256ELj13ELNS0_17block_load_methodE3ELS4_3ELS4_3ELNS0_20block_scan_algorithmE0ELj4294967295EEENS1_25partition_config_selectorILNS1_17partition_subalgoE4EjNS0_10empty_typeEbEEZZNS1_14partition_implILS8_4ELb0ES6_15HIP_vector_typeIjLj2EENS0_17counting_iteratorIjlEEPS9_SG_NS0_5tupleIJPjSI_NS0_16reverse_iteratorISI_EEEEENSH_IJSG_SG_SG_EEES9_SI_JZNS1_25segmented_radix_sort_implINS0_14default_configELb0EPKlPlSQ_SR_N2at6native12_GLOBAL__N_18offset_tEEE10hipError_tPvRmT1_PNSt15iterator_traitsISZ_E10value_typeET2_T3_PNS10_IS15_E10value_typeET4_jRbjT5_S1B_jjP12ihipStream_tbEUljE_ZNSN_ISO_Lb0ESQ_SR_SQ_SR_SV_EESW_SX_SY_SZ_S13_S14_S15_S18_S19_jS1A_jS1B_S1B_jjS1D_bEUljE0_EEESW_SX_SY_S15_S19_S1B_T6_T7_T9_mT8_S1D_bDpT10_ENKUlT_T0_E_clISt17integral_constantIbLb0EES1Q_IbLb1EEEEDaS1M_S1N_EUlS1M_E_NS1_11comp_targetILNS1_3genE4ELNS1_11target_archE910ELNS1_3gpuE8ELNS1_3repE0EEENS1_30default_config_static_selectorELNS0_4arch9wavefront6targetE0EEEvSZ_, .Lfunc_end763-_ZN7rocprim17ROCPRIM_400000_NS6detail17trampoline_kernelINS0_13select_configILj256ELj13ELNS0_17block_load_methodE3ELS4_3ELS4_3ELNS0_20block_scan_algorithmE0ELj4294967295EEENS1_25partition_config_selectorILNS1_17partition_subalgoE4EjNS0_10empty_typeEbEEZZNS1_14partition_implILS8_4ELb0ES6_15HIP_vector_typeIjLj2EENS0_17counting_iteratorIjlEEPS9_SG_NS0_5tupleIJPjSI_NS0_16reverse_iteratorISI_EEEEENSH_IJSG_SG_SG_EEES9_SI_JZNS1_25segmented_radix_sort_implINS0_14default_configELb0EPKlPlSQ_SR_N2at6native12_GLOBAL__N_18offset_tEEE10hipError_tPvRmT1_PNSt15iterator_traitsISZ_E10value_typeET2_T3_PNS10_IS15_E10value_typeET4_jRbjT5_S1B_jjP12ihipStream_tbEUljE_ZNSN_ISO_Lb0ESQ_SR_SQ_SR_SV_EESW_SX_SY_SZ_S13_S14_S15_S18_S19_jS1A_jS1B_S1B_jjS1D_bEUljE0_EEESW_SX_SY_S15_S19_S1B_T6_T7_T9_mT8_S1D_bDpT10_ENKUlT_T0_E_clISt17integral_constantIbLb0EES1Q_IbLb1EEEEDaS1M_S1N_EUlS1M_E_NS1_11comp_targetILNS1_3genE4ELNS1_11target_archE910ELNS1_3gpuE8ELNS1_3repE0EEENS1_30default_config_static_selectorELNS0_4arch9wavefront6targetE0EEEvSZ_
                                        ; -- End function
	.set _ZN7rocprim17ROCPRIM_400000_NS6detail17trampoline_kernelINS0_13select_configILj256ELj13ELNS0_17block_load_methodE3ELS4_3ELS4_3ELNS0_20block_scan_algorithmE0ELj4294967295EEENS1_25partition_config_selectorILNS1_17partition_subalgoE4EjNS0_10empty_typeEbEEZZNS1_14partition_implILS8_4ELb0ES6_15HIP_vector_typeIjLj2EENS0_17counting_iteratorIjlEEPS9_SG_NS0_5tupleIJPjSI_NS0_16reverse_iteratorISI_EEEEENSH_IJSG_SG_SG_EEES9_SI_JZNS1_25segmented_radix_sort_implINS0_14default_configELb0EPKlPlSQ_SR_N2at6native12_GLOBAL__N_18offset_tEEE10hipError_tPvRmT1_PNSt15iterator_traitsISZ_E10value_typeET2_T3_PNS10_IS15_E10value_typeET4_jRbjT5_S1B_jjP12ihipStream_tbEUljE_ZNSN_ISO_Lb0ESQ_SR_SQ_SR_SV_EESW_SX_SY_SZ_S13_S14_S15_S18_S19_jS1A_jS1B_S1B_jjS1D_bEUljE0_EEESW_SX_SY_S15_S19_S1B_T6_T7_T9_mT8_S1D_bDpT10_ENKUlT_T0_E_clISt17integral_constantIbLb0EES1Q_IbLb1EEEEDaS1M_S1N_EUlS1M_E_NS1_11comp_targetILNS1_3genE4ELNS1_11target_archE910ELNS1_3gpuE8ELNS1_3repE0EEENS1_30default_config_static_selectorELNS0_4arch9wavefront6targetE0EEEvSZ_.num_vgpr, 0
	.set _ZN7rocprim17ROCPRIM_400000_NS6detail17trampoline_kernelINS0_13select_configILj256ELj13ELNS0_17block_load_methodE3ELS4_3ELS4_3ELNS0_20block_scan_algorithmE0ELj4294967295EEENS1_25partition_config_selectorILNS1_17partition_subalgoE4EjNS0_10empty_typeEbEEZZNS1_14partition_implILS8_4ELb0ES6_15HIP_vector_typeIjLj2EENS0_17counting_iteratorIjlEEPS9_SG_NS0_5tupleIJPjSI_NS0_16reverse_iteratorISI_EEEEENSH_IJSG_SG_SG_EEES9_SI_JZNS1_25segmented_radix_sort_implINS0_14default_configELb0EPKlPlSQ_SR_N2at6native12_GLOBAL__N_18offset_tEEE10hipError_tPvRmT1_PNSt15iterator_traitsISZ_E10value_typeET2_T3_PNS10_IS15_E10value_typeET4_jRbjT5_S1B_jjP12ihipStream_tbEUljE_ZNSN_ISO_Lb0ESQ_SR_SQ_SR_SV_EESW_SX_SY_SZ_S13_S14_S15_S18_S19_jS1A_jS1B_S1B_jjS1D_bEUljE0_EEESW_SX_SY_S15_S19_S1B_T6_T7_T9_mT8_S1D_bDpT10_ENKUlT_T0_E_clISt17integral_constantIbLb0EES1Q_IbLb1EEEEDaS1M_S1N_EUlS1M_E_NS1_11comp_targetILNS1_3genE4ELNS1_11target_archE910ELNS1_3gpuE8ELNS1_3repE0EEENS1_30default_config_static_selectorELNS0_4arch9wavefront6targetE0EEEvSZ_.num_agpr, 0
	.set _ZN7rocprim17ROCPRIM_400000_NS6detail17trampoline_kernelINS0_13select_configILj256ELj13ELNS0_17block_load_methodE3ELS4_3ELS4_3ELNS0_20block_scan_algorithmE0ELj4294967295EEENS1_25partition_config_selectorILNS1_17partition_subalgoE4EjNS0_10empty_typeEbEEZZNS1_14partition_implILS8_4ELb0ES6_15HIP_vector_typeIjLj2EENS0_17counting_iteratorIjlEEPS9_SG_NS0_5tupleIJPjSI_NS0_16reverse_iteratorISI_EEEEENSH_IJSG_SG_SG_EEES9_SI_JZNS1_25segmented_radix_sort_implINS0_14default_configELb0EPKlPlSQ_SR_N2at6native12_GLOBAL__N_18offset_tEEE10hipError_tPvRmT1_PNSt15iterator_traitsISZ_E10value_typeET2_T3_PNS10_IS15_E10value_typeET4_jRbjT5_S1B_jjP12ihipStream_tbEUljE_ZNSN_ISO_Lb0ESQ_SR_SQ_SR_SV_EESW_SX_SY_SZ_S13_S14_S15_S18_S19_jS1A_jS1B_S1B_jjS1D_bEUljE0_EEESW_SX_SY_S15_S19_S1B_T6_T7_T9_mT8_S1D_bDpT10_ENKUlT_T0_E_clISt17integral_constantIbLb0EES1Q_IbLb1EEEEDaS1M_S1N_EUlS1M_E_NS1_11comp_targetILNS1_3genE4ELNS1_11target_archE910ELNS1_3gpuE8ELNS1_3repE0EEENS1_30default_config_static_selectorELNS0_4arch9wavefront6targetE0EEEvSZ_.numbered_sgpr, 0
	.set _ZN7rocprim17ROCPRIM_400000_NS6detail17trampoline_kernelINS0_13select_configILj256ELj13ELNS0_17block_load_methodE3ELS4_3ELS4_3ELNS0_20block_scan_algorithmE0ELj4294967295EEENS1_25partition_config_selectorILNS1_17partition_subalgoE4EjNS0_10empty_typeEbEEZZNS1_14partition_implILS8_4ELb0ES6_15HIP_vector_typeIjLj2EENS0_17counting_iteratorIjlEEPS9_SG_NS0_5tupleIJPjSI_NS0_16reverse_iteratorISI_EEEEENSH_IJSG_SG_SG_EEES9_SI_JZNS1_25segmented_radix_sort_implINS0_14default_configELb0EPKlPlSQ_SR_N2at6native12_GLOBAL__N_18offset_tEEE10hipError_tPvRmT1_PNSt15iterator_traitsISZ_E10value_typeET2_T3_PNS10_IS15_E10value_typeET4_jRbjT5_S1B_jjP12ihipStream_tbEUljE_ZNSN_ISO_Lb0ESQ_SR_SQ_SR_SV_EESW_SX_SY_SZ_S13_S14_S15_S18_S19_jS1A_jS1B_S1B_jjS1D_bEUljE0_EEESW_SX_SY_S15_S19_S1B_T6_T7_T9_mT8_S1D_bDpT10_ENKUlT_T0_E_clISt17integral_constantIbLb0EES1Q_IbLb1EEEEDaS1M_S1N_EUlS1M_E_NS1_11comp_targetILNS1_3genE4ELNS1_11target_archE910ELNS1_3gpuE8ELNS1_3repE0EEENS1_30default_config_static_selectorELNS0_4arch9wavefront6targetE0EEEvSZ_.num_named_barrier, 0
	.set _ZN7rocprim17ROCPRIM_400000_NS6detail17trampoline_kernelINS0_13select_configILj256ELj13ELNS0_17block_load_methodE3ELS4_3ELS4_3ELNS0_20block_scan_algorithmE0ELj4294967295EEENS1_25partition_config_selectorILNS1_17partition_subalgoE4EjNS0_10empty_typeEbEEZZNS1_14partition_implILS8_4ELb0ES6_15HIP_vector_typeIjLj2EENS0_17counting_iteratorIjlEEPS9_SG_NS0_5tupleIJPjSI_NS0_16reverse_iteratorISI_EEEEENSH_IJSG_SG_SG_EEES9_SI_JZNS1_25segmented_radix_sort_implINS0_14default_configELb0EPKlPlSQ_SR_N2at6native12_GLOBAL__N_18offset_tEEE10hipError_tPvRmT1_PNSt15iterator_traitsISZ_E10value_typeET2_T3_PNS10_IS15_E10value_typeET4_jRbjT5_S1B_jjP12ihipStream_tbEUljE_ZNSN_ISO_Lb0ESQ_SR_SQ_SR_SV_EESW_SX_SY_SZ_S13_S14_S15_S18_S19_jS1A_jS1B_S1B_jjS1D_bEUljE0_EEESW_SX_SY_S15_S19_S1B_T6_T7_T9_mT8_S1D_bDpT10_ENKUlT_T0_E_clISt17integral_constantIbLb0EES1Q_IbLb1EEEEDaS1M_S1N_EUlS1M_E_NS1_11comp_targetILNS1_3genE4ELNS1_11target_archE910ELNS1_3gpuE8ELNS1_3repE0EEENS1_30default_config_static_selectorELNS0_4arch9wavefront6targetE0EEEvSZ_.private_seg_size, 0
	.set _ZN7rocprim17ROCPRIM_400000_NS6detail17trampoline_kernelINS0_13select_configILj256ELj13ELNS0_17block_load_methodE3ELS4_3ELS4_3ELNS0_20block_scan_algorithmE0ELj4294967295EEENS1_25partition_config_selectorILNS1_17partition_subalgoE4EjNS0_10empty_typeEbEEZZNS1_14partition_implILS8_4ELb0ES6_15HIP_vector_typeIjLj2EENS0_17counting_iteratorIjlEEPS9_SG_NS0_5tupleIJPjSI_NS0_16reverse_iteratorISI_EEEEENSH_IJSG_SG_SG_EEES9_SI_JZNS1_25segmented_radix_sort_implINS0_14default_configELb0EPKlPlSQ_SR_N2at6native12_GLOBAL__N_18offset_tEEE10hipError_tPvRmT1_PNSt15iterator_traitsISZ_E10value_typeET2_T3_PNS10_IS15_E10value_typeET4_jRbjT5_S1B_jjP12ihipStream_tbEUljE_ZNSN_ISO_Lb0ESQ_SR_SQ_SR_SV_EESW_SX_SY_SZ_S13_S14_S15_S18_S19_jS1A_jS1B_S1B_jjS1D_bEUljE0_EEESW_SX_SY_S15_S19_S1B_T6_T7_T9_mT8_S1D_bDpT10_ENKUlT_T0_E_clISt17integral_constantIbLb0EES1Q_IbLb1EEEEDaS1M_S1N_EUlS1M_E_NS1_11comp_targetILNS1_3genE4ELNS1_11target_archE910ELNS1_3gpuE8ELNS1_3repE0EEENS1_30default_config_static_selectorELNS0_4arch9wavefront6targetE0EEEvSZ_.uses_vcc, 0
	.set _ZN7rocprim17ROCPRIM_400000_NS6detail17trampoline_kernelINS0_13select_configILj256ELj13ELNS0_17block_load_methodE3ELS4_3ELS4_3ELNS0_20block_scan_algorithmE0ELj4294967295EEENS1_25partition_config_selectorILNS1_17partition_subalgoE4EjNS0_10empty_typeEbEEZZNS1_14partition_implILS8_4ELb0ES6_15HIP_vector_typeIjLj2EENS0_17counting_iteratorIjlEEPS9_SG_NS0_5tupleIJPjSI_NS0_16reverse_iteratorISI_EEEEENSH_IJSG_SG_SG_EEES9_SI_JZNS1_25segmented_radix_sort_implINS0_14default_configELb0EPKlPlSQ_SR_N2at6native12_GLOBAL__N_18offset_tEEE10hipError_tPvRmT1_PNSt15iterator_traitsISZ_E10value_typeET2_T3_PNS10_IS15_E10value_typeET4_jRbjT5_S1B_jjP12ihipStream_tbEUljE_ZNSN_ISO_Lb0ESQ_SR_SQ_SR_SV_EESW_SX_SY_SZ_S13_S14_S15_S18_S19_jS1A_jS1B_S1B_jjS1D_bEUljE0_EEESW_SX_SY_S15_S19_S1B_T6_T7_T9_mT8_S1D_bDpT10_ENKUlT_T0_E_clISt17integral_constantIbLb0EES1Q_IbLb1EEEEDaS1M_S1N_EUlS1M_E_NS1_11comp_targetILNS1_3genE4ELNS1_11target_archE910ELNS1_3gpuE8ELNS1_3repE0EEENS1_30default_config_static_selectorELNS0_4arch9wavefront6targetE0EEEvSZ_.uses_flat_scratch, 0
	.set _ZN7rocprim17ROCPRIM_400000_NS6detail17trampoline_kernelINS0_13select_configILj256ELj13ELNS0_17block_load_methodE3ELS4_3ELS4_3ELNS0_20block_scan_algorithmE0ELj4294967295EEENS1_25partition_config_selectorILNS1_17partition_subalgoE4EjNS0_10empty_typeEbEEZZNS1_14partition_implILS8_4ELb0ES6_15HIP_vector_typeIjLj2EENS0_17counting_iteratorIjlEEPS9_SG_NS0_5tupleIJPjSI_NS0_16reverse_iteratorISI_EEEEENSH_IJSG_SG_SG_EEES9_SI_JZNS1_25segmented_radix_sort_implINS0_14default_configELb0EPKlPlSQ_SR_N2at6native12_GLOBAL__N_18offset_tEEE10hipError_tPvRmT1_PNSt15iterator_traitsISZ_E10value_typeET2_T3_PNS10_IS15_E10value_typeET4_jRbjT5_S1B_jjP12ihipStream_tbEUljE_ZNSN_ISO_Lb0ESQ_SR_SQ_SR_SV_EESW_SX_SY_SZ_S13_S14_S15_S18_S19_jS1A_jS1B_S1B_jjS1D_bEUljE0_EEESW_SX_SY_S15_S19_S1B_T6_T7_T9_mT8_S1D_bDpT10_ENKUlT_T0_E_clISt17integral_constantIbLb0EES1Q_IbLb1EEEEDaS1M_S1N_EUlS1M_E_NS1_11comp_targetILNS1_3genE4ELNS1_11target_archE910ELNS1_3gpuE8ELNS1_3repE0EEENS1_30default_config_static_selectorELNS0_4arch9wavefront6targetE0EEEvSZ_.has_dyn_sized_stack, 0
	.set _ZN7rocprim17ROCPRIM_400000_NS6detail17trampoline_kernelINS0_13select_configILj256ELj13ELNS0_17block_load_methodE3ELS4_3ELS4_3ELNS0_20block_scan_algorithmE0ELj4294967295EEENS1_25partition_config_selectorILNS1_17partition_subalgoE4EjNS0_10empty_typeEbEEZZNS1_14partition_implILS8_4ELb0ES6_15HIP_vector_typeIjLj2EENS0_17counting_iteratorIjlEEPS9_SG_NS0_5tupleIJPjSI_NS0_16reverse_iteratorISI_EEEEENSH_IJSG_SG_SG_EEES9_SI_JZNS1_25segmented_radix_sort_implINS0_14default_configELb0EPKlPlSQ_SR_N2at6native12_GLOBAL__N_18offset_tEEE10hipError_tPvRmT1_PNSt15iterator_traitsISZ_E10value_typeET2_T3_PNS10_IS15_E10value_typeET4_jRbjT5_S1B_jjP12ihipStream_tbEUljE_ZNSN_ISO_Lb0ESQ_SR_SQ_SR_SV_EESW_SX_SY_SZ_S13_S14_S15_S18_S19_jS1A_jS1B_S1B_jjS1D_bEUljE0_EEESW_SX_SY_S15_S19_S1B_T6_T7_T9_mT8_S1D_bDpT10_ENKUlT_T0_E_clISt17integral_constantIbLb0EES1Q_IbLb1EEEEDaS1M_S1N_EUlS1M_E_NS1_11comp_targetILNS1_3genE4ELNS1_11target_archE910ELNS1_3gpuE8ELNS1_3repE0EEENS1_30default_config_static_selectorELNS0_4arch9wavefront6targetE0EEEvSZ_.has_recursion, 0
	.set _ZN7rocprim17ROCPRIM_400000_NS6detail17trampoline_kernelINS0_13select_configILj256ELj13ELNS0_17block_load_methodE3ELS4_3ELS4_3ELNS0_20block_scan_algorithmE0ELj4294967295EEENS1_25partition_config_selectorILNS1_17partition_subalgoE4EjNS0_10empty_typeEbEEZZNS1_14partition_implILS8_4ELb0ES6_15HIP_vector_typeIjLj2EENS0_17counting_iteratorIjlEEPS9_SG_NS0_5tupleIJPjSI_NS0_16reverse_iteratorISI_EEEEENSH_IJSG_SG_SG_EEES9_SI_JZNS1_25segmented_radix_sort_implINS0_14default_configELb0EPKlPlSQ_SR_N2at6native12_GLOBAL__N_18offset_tEEE10hipError_tPvRmT1_PNSt15iterator_traitsISZ_E10value_typeET2_T3_PNS10_IS15_E10value_typeET4_jRbjT5_S1B_jjP12ihipStream_tbEUljE_ZNSN_ISO_Lb0ESQ_SR_SQ_SR_SV_EESW_SX_SY_SZ_S13_S14_S15_S18_S19_jS1A_jS1B_S1B_jjS1D_bEUljE0_EEESW_SX_SY_S15_S19_S1B_T6_T7_T9_mT8_S1D_bDpT10_ENKUlT_T0_E_clISt17integral_constantIbLb0EES1Q_IbLb1EEEEDaS1M_S1N_EUlS1M_E_NS1_11comp_targetILNS1_3genE4ELNS1_11target_archE910ELNS1_3gpuE8ELNS1_3repE0EEENS1_30default_config_static_selectorELNS0_4arch9wavefront6targetE0EEEvSZ_.has_indirect_call, 0
	.section	.AMDGPU.csdata,"",@progbits
; Kernel info:
; codeLenInByte = 0
; TotalNumSgprs: 0
; NumVgprs: 0
; ScratchSize: 0
; MemoryBound: 0
; FloatMode: 240
; IeeeMode: 1
; LDSByteSize: 0 bytes/workgroup (compile time only)
; SGPRBlocks: 0
; VGPRBlocks: 0
; NumSGPRsForWavesPerEU: 1
; NumVGPRsForWavesPerEU: 1
; Occupancy: 16
; WaveLimiterHint : 0
; COMPUTE_PGM_RSRC2:SCRATCH_EN: 0
; COMPUTE_PGM_RSRC2:USER_SGPR: 6
; COMPUTE_PGM_RSRC2:TRAP_HANDLER: 0
; COMPUTE_PGM_RSRC2:TGID_X_EN: 1
; COMPUTE_PGM_RSRC2:TGID_Y_EN: 0
; COMPUTE_PGM_RSRC2:TGID_Z_EN: 0
; COMPUTE_PGM_RSRC2:TIDIG_COMP_CNT: 0
	.section	.text._ZN7rocprim17ROCPRIM_400000_NS6detail17trampoline_kernelINS0_13select_configILj256ELj13ELNS0_17block_load_methodE3ELS4_3ELS4_3ELNS0_20block_scan_algorithmE0ELj4294967295EEENS1_25partition_config_selectorILNS1_17partition_subalgoE4EjNS0_10empty_typeEbEEZZNS1_14partition_implILS8_4ELb0ES6_15HIP_vector_typeIjLj2EENS0_17counting_iteratorIjlEEPS9_SG_NS0_5tupleIJPjSI_NS0_16reverse_iteratorISI_EEEEENSH_IJSG_SG_SG_EEES9_SI_JZNS1_25segmented_radix_sort_implINS0_14default_configELb0EPKlPlSQ_SR_N2at6native12_GLOBAL__N_18offset_tEEE10hipError_tPvRmT1_PNSt15iterator_traitsISZ_E10value_typeET2_T3_PNS10_IS15_E10value_typeET4_jRbjT5_S1B_jjP12ihipStream_tbEUljE_ZNSN_ISO_Lb0ESQ_SR_SQ_SR_SV_EESW_SX_SY_SZ_S13_S14_S15_S18_S19_jS1A_jS1B_S1B_jjS1D_bEUljE0_EEESW_SX_SY_S15_S19_S1B_T6_T7_T9_mT8_S1D_bDpT10_ENKUlT_T0_E_clISt17integral_constantIbLb0EES1Q_IbLb1EEEEDaS1M_S1N_EUlS1M_E_NS1_11comp_targetILNS1_3genE3ELNS1_11target_archE908ELNS1_3gpuE7ELNS1_3repE0EEENS1_30default_config_static_selectorELNS0_4arch9wavefront6targetE0EEEvSZ_,"axG",@progbits,_ZN7rocprim17ROCPRIM_400000_NS6detail17trampoline_kernelINS0_13select_configILj256ELj13ELNS0_17block_load_methodE3ELS4_3ELS4_3ELNS0_20block_scan_algorithmE0ELj4294967295EEENS1_25partition_config_selectorILNS1_17partition_subalgoE4EjNS0_10empty_typeEbEEZZNS1_14partition_implILS8_4ELb0ES6_15HIP_vector_typeIjLj2EENS0_17counting_iteratorIjlEEPS9_SG_NS0_5tupleIJPjSI_NS0_16reverse_iteratorISI_EEEEENSH_IJSG_SG_SG_EEES9_SI_JZNS1_25segmented_radix_sort_implINS0_14default_configELb0EPKlPlSQ_SR_N2at6native12_GLOBAL__N_18offset_tEEE10hipError_tPvRmT1_PNSt15iterator_traitsISZ_E10value_typeET2_T3_PNS10_IS15_E10value_typeET4_jRbjT5_S1B_jjP12ihipStream_tbEUljE_ZNSN_ISO_Lb0ESQ_SR_SQ_SR_SV_EESW_SX_SY_SZ_S13_S14_S15_S18_S19_jS1A_jS1B_S1B_jjS1D_bEUljE0_EEESW_SX_SY_S15_S19_S1B_T6_T7_T9_mT8_S1D_bDpT10_ENKUlT_T0_E_clISt17integral_constantIbLb0EES1Q_IbLb1EEEEDaS1M_S1N_EUlS1M_E_NS1_11comp_targetILNS1_3genE3ELNS1_11target_archE908ELNS1_3gpuE7ELNS1_3repE0EEENS1_30default_config_static_selectorELNS0_4arch9wavefront6targetE0EEEvSZ_,comdat
	.globl	_ZN7rocprim17ROCPRIM_400000_NS6detail17trampoline_kernelINS0_13select_configILj256ELj13ELNS0_17block_load_methodE3ELS4_3ELS4_3ELNS0_20block_scan_algorithmE0ELj4294967295EEENS1_25partition_config_selectorILNS1_17partition_subalgoE4EjNS0_10empty_typeEbEEZZNS1_14partition_implILS8_4ELb0ES6_15HIP_vector_typeIjLj2EENS0_17counting_iteratorIjlEEPS9_SG_NS0_5tupleIJPjSI_NS0_16reverse_iteratorISI_EEEEENSH_IJSG_SG_SG_EEES9_SI_JZNS1_25segmented_radix_sort_implINS0_14default_configELb0EPKlPlSQ_SR_N2at6native12_GLOBAL__N_18offset_tEEE10hipError_tPvRmT1_PNSt15iterator_traitsISZ_E10value_typeET2_T3_PNS10_IS15_E10value_typeET4_jRbjT5_S1B_jjP12ihipStream_tbEUljE_ZNSN_ISO_Lb0ESQ_SR_SQ_SR_SV_EESW_SX_SY_SZ_S13_S14_S15_S18_S19_jS1A_jS1B_S1B_jjS1D_bEUljE0_EEESW_SX_SY_S15_S19_S1B_T6_T7_T9_mT8_S1D_bDpT10_ENKUlT_T0_E_clISt17integral_constantIbLb0EES1Q_IbLb1EEEEDaS1M_S1N_EUlS1M_E_NS1_11comp_targetILNS1_3genE3ELNS1_11target_archE908ELNS1_3gpuE7ELNS1_3repE0EEENS1_30default_config_static_selectorELNS0_4arch9wavefront6targetE0EEEvSZ_ ; -- Begin function _ZN7rocprim17ROCPRIM_400000_NS6detail17trampoline_kernelINS0_13select_configILj256ELj13ELNS0_17block_load_methodE3ELS4_3ELS4_3ELNS0_20block_scan_algorithmE0ELj4294967295EEENS1_25partition_config_selectorILNS1_17partition_subalgoE4EjNS0_10empty_typeEbEEZZNS1_14partition_implILS8_4ELb0ES6_15HIP_vector_typeIjLj2EENS0_17counting_iteratorIjlEEPS9_SG_NS0_5tupleIJPjSI_NS0_16reverse_iteratorISI_EEEEENSH_IJSG_SG_SG_EEES9_SI_JZNS1_25segmented_radix_sort_implINS0_14default_configELb0EPKlPlSQ_SR_N2at6native12_GLOBAL__N_18offset_tEEE10hipError_tPvRmT1_PNSt15iterator_traitsISZ_E10value_typeET2_T3_PNS10_IS15_E10value_typeET4_jRbjT5_S1B_jjP12ihipStream_tbEUljE_ZNSN_ISO_Lb0ESQ_SR_SQ_SR_SV_EESW_SX_SY_SZ_S13_S14_S15_S18_S19_jS1A_jS1B_S1B_jjS1D_bEUljE0_EEESW_SX_SY_S15_S19_S1B_T6_T7_T9_mT8_S1D_bDpT10_ENKUlT_T0_E_clISt17integral_constantIbLb0EES1Q_IbLb1EEEEDaS1M_S1N_EUlS1M_E_NS1_11comp_targetILNS1_3genE3ELNS1_11target_archE908ELNS1_3gpuE7ELNS1_3repE0EEENS1_30default_config_static_selectorELNS0_4arch9wavefront6targetE0EEEvSZ_
	.p2align	8
	.type	_ZN7rocprim17ROCPRIM_400000_NS6detail17trampoline_kernelINS0_13select_configILj256ELj13ELNS0_17block_load_methodE3ELS4_3ELS4_3ELNS0_20block_scan_algorithmE0ELj4294967295EEENS1_25partition_config_selectorILNS1_17partition_subalgoE4EjNS0_10empty_typeEbEEZZNS1_14partition_implILS8_4ELb0ES6_15HIP_vector_typeIjLj2EENS0_17counting_iteratorIjlEEPS9_SG_NS0_5tupleIJPjSI_NS0_16reverse_iteratorISI_EEEEENSH_IJSG_SG_SG_EEES9_SI_JZNS1_25segmented_radix_sort_implINS0_14default_configELb0EPKlPlSQ_SR_N2at6native12_GLOBAL__N_18offset_tEEE10hipError_tPvRmT1_PNSt15iterator_traitsISZ_E10value_typeET2_T3_PNS10_IS15_E10value_typeET4_jRbjT5_S1B_jjP12ihipStream_tbEUljE_ZNSN_ISO_Lb0ESQ_SR_SQ_SR_SV_EESW_SX_SY_SZ_S13_S14_S15_S18_S19_jS1A_jS1B_S1B_jjS1D_bEUljE0_EEESW_SX_SY_S15_S19_S1B_T6_T7_T9_mT8_S1D_bDpT10_ENKUlT_T0_E_clISt17integral_constantIbLb0EES1Q_IbLb1EEEEDaS1M_S1N_EUlS1M_E_NS1_11comp_targetILNS1_3genE3ELNS1_11target_archE908ELNS1_3gpuE7ELNS1_3repE0EEENS1_30default_config_static_selectorELNS0_4arch9wavefront6targetE0EEEvSZ_,@function
_ZN7rocprim17ROCPRIM_400000_NS6detail17trampoline_kernelINS0_13select_configILj256ELj13ELNS0_17block_load_methodE3ELS4_3ELS4_3ELNS0_20block_scan_algorithmE0ELj4294967295EEENS1_25partition_config_selectorILNS1_17partition_subalgoE4EjNS0_10empty_typeEbEEZZNS1_14partition_implILS8_4ELb0ES6_15HIP_vector_typeIjLj2EENS0_17counting_iteratorIjlEEPS9_SG_NS0_5tupleIJPjSI_NS0_16reverse_iteratorISI_EEEEENSH_IJSG_SG_SG_EEES9_SI_JZNS1_25segmented_radix_sort_implINS0_14default_configELb0EPKlPlSQ_SR_N2at6native12_GLOBAL__N_18offset_tEEE10hipError_tPvRmT1_PNSt15iterator_traitsISZ_E10value_typeET2_T3_PNS10_IS15_E10value_typeET4_jRbjT5_S1B_jjP12ihipStream_tbEUljE_ZNSN_ISO_Lb0ESQ_SR_SQ_SR_SV_EESW_SX_SY_SZ_S13_S14_S15_S18_S19_jS1A_jS1B_S1B_jjS1D_bEUljE0_EEESW_SX_SY_S15_S19_S1B_T6_T7_T9_mT8_S1D_bDpT10_ENKUlT_T0_E_clISt17integral_constantIbLb0EES1Q_IbLb1EEEEDaS1M_S1N_EUlS1M_E_NS1_11comp_targetILNS1_3genE3ELNS1_11target_archE908ELNS1_3gpuE7ELNS1_3repE0EEENS1_30default_config_static_selectorELNS0_4arch9wavefront6targetE0EEEvSZ_: ; @_ZN7rocprim17ROCPRIM_400000_NS6detail17trampoline_kernelINS0_13select_configILj256ELj13ELNS0_17block_load_methodE3ELS4_3ELS4_3ELNS0_20block_scan_algorithmE0ELj4294967295EEENS1_25partition_config_selectorILNS1_17partition_subalgoE4EjNS0_10empty_typeEbEEZZNS1_14partition_implILS8_4ELb0ES6_15HIP_vector_typeIjLj2EENS0_17counting_iteratorIjlEEPS9_SG_NS0_5tupleIJPjSI_NS0_16reverse_iteratorISI_EEEEENSH_IJSG_SG_SG_EEES9_SI_JZNS1_25segmented_radix_sort_implINS0_14default_configELb0EPKlPlSQ_SR_N2at6native12_GLOBAL__N_18offset_tEEE10hipError_tPvRmT1_PNSt15iterator_traitsISZ_E10value_typeET2_T3_PNS10_IS15_E10value_typeET4_jRbjT5_S1B_jjP12ihipStream_tbEUljE_ZNSN_ISO_Lb0ESQ_SR_SQ_SR_SV_EESW_SX_SY_SZ_S13_S14_S15_S18_S19_jS1A_jS1B_S1B_jjS1D_bEUljE0_EEESW_SX_SY_S15_S19_S1B_T6_T7_T9_mT8_S1D_bDpT10_ENKUlT_T0_E_clISt17integral_constantIbLb0EES1Q_IbLb1EEEEDaS1M_S1N_EUlS1M_E_NS1_11comp_targetILNS1_3genE3ELNS1_11target_archE908ELNS1_3gpuE7ELNS1_3repE0EEENS1_30default_config_static_selectorELNS0_4arch9wavefront6targetE0EEEvSZ_
; %bb.0:
	.section	.rodata,"a",@progbits
	.p2align	6, 0x0
	.amdhsa_kernel _ZN7rocprim17ROCPRIM_400000_NS6detail17trampoline_kernelINS0_13select_configILj256ELj13ELNS0_17block_load_methodE3ELS4_3ELS4_3ELNS0_20block_scan_algorithmE0ELj4294967295EEENS1_25partition_config_selectorILNS1_17partition_subalgoE4EjNS0_10empty_typeEbEEZZNS1_14partition_implILS8_4ELb0ES6_15HIP_vector_typeIjLj2EENS0_17counting_iteratorIjlEEPS9_SG_NS0_5tupleIJPjSI_NS0_16reverse_iteratorISI_EEEEENSH_IJSG_SG_SG_EEES9_SI_JZNS1_25segmented_radix_sort_implINS0_14default_configELb0EPKlPlSQ_SR_N2at6native12_GLOBAL__N_18offset_tEEE10hipError_tPvRmT1_PNSt15iterator_traitsISZ_E10value_typeET2_T3_PNS10_IS15_E10value_typeET4_jRbjT5_S1B_jjP12ihipStream_tbEUljE_ZNSN_ISO_Lb0ESQ_SR_SQ_SR_SV_EESW_SX_SY_SZ_S13_S14_S15_S18_S19_jS1A_jS1B_S1B_jjS1D_bEUljE0_EEESW_SX_SY_S15_S19_S1B_T6_T7_T9_mT8_S1D_bDpT10_ENKUlT_T0_E_clISt17integral_constantIbLb0EES1Q_IbLb1EEEEDaS1M_S1N_EUlS1M_E_NS1_11comp_targetILNS1_3genE3ELNS1_11target_archE908ELNS1_3gpuE7ELNS1_3repE0EEENS1_30default_config_static_selectorELNS0_4arch9wavefront6targetE0EEEvSZ_
		.amdhsa_group_segment_fixed_size 0
		.amdhsa_private_segment_fixed_size 0
		.amdhsa_kernarg_size 184
		.amdhsa_user_sgpr_count 6
		.amdhsa_user_sgpr_private_segment_buffer 1
		.amdhsa_user_sgpr_dispatch_ptr 0
		.amdhsa_user_sgpr_queue_ptr 0
		.amdhsa_user_sgpr_kernarg_segment_ptr 1
		.amdhsa_user_sgpr_dispatch_id 0
		.amdhsa_user_sgpr_flat_scratch_init 0
		.amdhsa_user_sgpr_private_segment_size 0
		.amdhsa_wavefront_size32 1
		.amdhsa_uses_dynamic_stack 0
		.amdhsa_system_sgpr_private_segment_wavefront_offset 0
		.amdhsa_system_sgpr_workgroup_id_x 1
		.amdhsa_system_sgpr_workgroup_id_y 0
		.amdhsa_system_sgpr_workgroup_id_z 0
		.amdhsa_system_sgpr_workgroup_info 0
		.amdhsa_system_vgpr_workitem_id 0
		.amdhsa_next_free_vgpr 1
		.amdhsa_next_free_sgpr 1
		.amdhsa_reserve_vcc 0
		.amdhsa_reserve_flat_scratch 0
		.amdhsa_float_round_mode_32 0
		.amdhsa_float_round_mode_16_64 0
		.amdhsa_float_denorm_mode_32 3
		.amdhsa_float_denorm_mode_16_64 3
		.amdhsa_dx10_clamp 1
		.amdhsa_ieee_mode 1
		.amdhsa_fp16_overflow 0
		.amdhsa_workgroup_processor_mode 1
		.amdhsa_memory_ordered 1
		.amdhsa_forward_progress 1
		.amdhsa_shared_vgpr_count 0
		.amdhsa_exception_fp_ieee_invalid_op 0
		.amdhsa_exception_fp_denorm_src 0
		.amdhsa_exception_fp_ieee_div_zero 0
		.amdhsa_exception_fp_ieee_overflow 0
		.amdhsa_exception_fp_ieee_underflow 0
		.amdhsa_exception_fp_ieee_inexact 0
		.amdhsa_exception_int_div_zero 0
	.end_amdhsa_kernel
	.section	.text._ZN7rocprim17ROCPRIM_400000_NS6detail17trampoline_kernelINS0_13select_configILj256ELj13ELNS0_17block_load_methodE3ELS4_3ELS4_3ELNS0_20block_scan_algorithmE0ELj4294967295EEENS1_25partition_config_selectorILNS1_17partition_subalgoE4EjNS0_10empty_typeEbEEZZNS1_14partition_implILS8_4ELb0ES6_15HIP_vector_typeIjLj2EENS0_17counting_iteratorIjlEEPS9_SG_NS0_5tupleIJPjSI_NS0_16reverse_iteratorISI_EEEEENSH_IJSG_SG_SG_EEES9_SI_JZNS1_25segmented_radix_sort_implINS0_14default_configELb0EPKlPlSQ_SR_N2at6native12_GLOBAL__N_18offset_tEEE10hipError_tPvRmT1_PNSt15iterator_traitsISZ_E10value_typeET2_T3_PNS10_IS15_E10value_typeET4_jRbjT5_S1B_jjP12ihipStream_tbEUljE_ZNSN_ISO_Lb0ESQ_SR_SQ_SR_SV_EESW_SX_SY_SZ_S13_S14_S15_S18_S19_jS1A_jS1B_S1B_jjS1D_bEUljE0_EEESW_SX_SY_S15_S19_S1B_T6_T7_T9_mT8_S1D_bDpT10_ENKUlT_T0_E_clISt17integral_constantIbLb0EES1Q_IbLb1EEEEDaS1M_S1N_EUlS1M_E_NS1_11comp_targetILNS1_3genE3ELNS1_11target_archE908ELNS1_3gpuE7ELNS1_3repE0EEENS1_30default_config_static_selectorELNS0_4arch9wavefront6targetE0EEEvSZ_,"axG",@progbits,_ZN7rocprim17ROCPRIM_400000_NS6detail17trampoline_kernelINS0_13select_configILj256ELj13ELNS0_17block_load_methodE3ELS4_3ELS4_3ELNS0_20block_scan_algorithmE0ELj4294967295EEENS1_25partition_config_selectorILNS1_17partition_subalgoE4EjNS0_10empty_typeEbEEZZNS1_14partition_implILS8_4ELb0ES6_15HIP_vector_typeIjLj2EENS0_17counting_iteratorIjlEEPS9_SG_NS0_5tupleIJPjSI_NS0_16reverse_iteratorISI_EEEEENSH_IJSG_SG_SG_EEES9_SI_JZNS1_25segmented_radix_sort_implINS0_14default_configELb0EPKlPlSQ_SR_N2at6native12_GLOBAL__N_18offset_tEEE10hipError_tPvRmT1_PNSt15iterator_traitsISZ_E10value_typeET2_T3_PNS10_IS15_E10value_typeET4_jRbjT5_S1B_jjP12ihipStream_tbEUljE_ZNSN_ISO_Lb0ESQ_SR_SQ_SR_SV_EESW_SX_SY_SZ_S13_S14_S15_S18_S19_jS1A_jS1B_S1B_jjS1D_bEUljE0_EEESW_SX_SY_S15_S19_S1B_T6_T7_T9_mT8_S1D_bDpT10_ENKUlT_T0_E_clISt17integral_constantIbLb0EES1Q_IbLb1EEEEDaS1M_S1N_EUlS1M_E_NS1_11comp_targetILNS1_3genE3ELNS1_11target_archE908ELNS1_3gpuE7ELNS1_3repE0EEENS1_30default_config_static_selectorELNS0_4arch9wavefront6targetE0EEEvSZ_,comdat
.Lfunc_end764:
	.size	_ZN7rocprim17ROCPRIM_400000_NS6detail17trampoline_kernelINS0_13select_configILj256ELj13ELNS0_17block_load_methodE3ELS4_3ELS4_3ELNS0_20block_scan_algorithmE0ELj4294967295EEENS1_25partition_config_selectorILNS1_17partition_subalgoE4EjNS0_10empty_typeEbEEZZNS1_14partition_implILS8_4ELb0ES6_15HIP_vector_typeIjLj2EENS0_17counting_iteratorIjlEEPS9_SG_NS0_5tupleIJPjSI_NS0_16reverse_iteratorISI_EEEEENSH_IJSG_SG_SG_EEES9_SI_JZNS1_25segmented_radix_sort_implINS0_14default_configELb0EPKlPlSQ_SR_N2at6native12_GLOBAL__N_18offset_tEEE10hipError_tPvRmT1_PNSt15iterator_traitsISZ_E10value_typeET2_T3_PNS10_IS15_E10value_typeET4_jRbjT5_S1B_jjP12ihipStream_tbEUljE_ZNSN_ISO_Lb0ESQ_SR_SQ_SR_SV_EESW_SX_SY_SZ_S13_S14_S15_S18_S19_jS1A_jS1B_S1B_jjS1D_bEUljE0_EEESW_SX_SY_S15_S19_S1B_T6_T7_T9_mT8_S1D_bDpT10_ENKUlT_T0_E_clISt17integral_constantIbLb0EES1Q_IbLb1EEEEDaS1M_S1N_EUlS1M_E_NS1_11comp_targetILNS1_3genE3ELNS1_11target_archE908ELNS1_3gpuE7ELNS1_3repE0EEENS1_30default_config_static_selectorELNS0_4arch9wavefront6targetE0EEEvSZ_, .Lfunc_end764-_ZN7rocprim17ROCPRIM_400000_NS6detail17trampoline_kernelINS0_13select_configILj256ELj13ELNS0_17block_load_methodE3ELS4_3ELS4_3ELNS0_20block_scan_algorithmE0ELj4294967295EEENS1_25partition_config_selectorILNS1_17partition_subalgoE4EjNS0_10empty_typeEbEEZZNS1_14partition_implILS8_4ELb0ES6_15HIP_vector_typeIjLj2EENS0_17counting_iteratorIjlEEPS9_SG_NS0_5tupleIJPjSI_NS0_16reverse_iteratorISI_EEEEENSH_IJSG_SG_SG_EEES9_SI_JZNS1_25segmented_radix_sort_implINS0_14default_configELb0EPKlPlSQ_SR_N2at6native12_GLOBAL__N_18offset_tEEE10hipError_tPvRmT1_PNSt15iterator_traitsISZ_E10value_typeET2_T3_PNS10_IS15_E10value_typeET4_jRbjT5_S1B_jjP12ihipStream_tbEUljE_ZNSN_ISO_Lb0ESQ_SR_SQ_SR_SV_EESW_SX_SY_SZ_S13_S14_S15_S18_S19_jS1A_jS1B_S1B_jjS1D_bEUljE0_EEESW_SX_SY_S15_S19_S1B_T6_T7_T9_mT8_S1D_bDpT10_ENKUlT_T0_E_clISt17integral_constantIbLb0EES1Q_IbLb1EEEEDaS1M_S1N_EUlS1M_E_NS1_11comp_targetILNS1_3genE3ELNS1_11target_archE908ELNS1_3gpuE7ELNS1_3repE0EEENS1_30default_config_static_selectorELNS0_4arch9wavefront6targetE0EEEvSZ_
                                        ; -- End function
	.set _ZN7rocprim17ROCPRIM_400000_NS6detail17trampoline_kernelINS0_13select_configILj256ELj13ELNS0_17block_load_methodE3ELS4_3ELS4_3ELNS0_20block_scan_algorithmE0ELj4294967295EEENS1_25partition_config_selectorILNS1_17partition_subalgoE4EjNS0_10empty_typeEbEEZZNS1_14partition_implILS8_4ELb0ES6_15HIP_vector_typeIjLj2EENS0_17counting_iteratorIjlEEPS9_SG_NS0_5tupleIJPjSI_NS0_16reverse_iteratorISI_EEEEENSH_IJSG_SG_SG_EEES9_SI_JZNS1_25segmented_radix_sort_implINS0_14default_configELb0EPKlPlSQ_SR_N2at6native12_GLOBAL__N_18offset_tEEE10hipError_tPvRmT1_PNSt15iterator_traitsISZ_E10value_typeET2_T3_PNS10_IS15_E10value_typeET4_jRbjT5_S1B_jjP12ihipStream_tbEUljE_ZNSN_ISO_Lb0ESQ_SR_SQ_SR_SV_EESW_SX_SY_SZ_S13_S14_S15_S18_S19_jS1A_jS1B_S1B_jjS1D_bEUljE0_EEESW_SX_SY_S15_S19_S1B_T6_T7_T9_mT8_S1D_bDpT10_ENKUlT_T0_E_clISt17integral_constantIbLb0EES1Q_IbLb1EEEEDaS1M_S1N_EUlS1M_E_NS1_11comp_targetILNS1_3genE3ELNS1_11target_archE908ELNS1_3gpuE7ELNS1_3repE0EEENS1_30default_config_static_selectorELNS0_4arch9wavefront6targetE0EEEvSZ_.num_vgpr, 0
	.set _ZN7rocprim17ROCPRIM_400000_NS6detail17trampoline_kernelINS0_13select_configILj256ELj13ELNS0_17block_load_methodE3ELS4_3ELS4_3ELNS0_20block_scan_algorithmE0ELj4294967295EEENS1_25partition_config_selectorILNS1_17partition_subalgoE4EjNS0_10empty_typeEbEEZZNS1_14partition_implILS8_4ELb0ES6_15HIP_vector_typeIjLj2EENS0_17counting_iteratorIjlEEPS9_SG_NS0_5tupleIJPjSI_NS0_16reverse_iteratorISI_EEEEENSH_IJSG_SG_SG_EEES9_SI_JZNS1_25segmented_radix_sort_implINS0_14default_configELb0EPKlPlSQ_SR_N2at6native12_GLOBAL__N_18offset_tEEE10hipError_tPvRmT1_PNSt15iterator_traitsISZ_E10value_typeET2_T3_PNS10_IS15_E10value_typeET4_jRbjT5_S1B_jjP12ihipStream_tbEUljE_ZNSN_ISO_Lb0ESQ_SR_SQ_SR_SV_EESW_SX_SY_SZ_S13_S14_S15_S18_S19_jS1A_jS1B_S1B_jjS1D_bEUljE0_EEESW_SX_SY_S15_S19_S1B_T6_T7_T9_mT8_S1D_bDpT10_ENKUlT_T0_E_clISt17integral_constantIbLb0EES1Q_IbLb1EEEEDaS1M_S1N_EUlS1M_E_NS1_11comp_targetILNS1_3genE3ELNS1_11target_archE908ELNS1_3gpuE7ELNS1_3repE0EEENS1_30default_config_static_selectorELNS0_4arch9wavefront6targetE0EEEvSZ_.num_agpr, 0
	.set _ZN7rocprim17ROCPRIM_400000_NS6detail17trampoline_kernelINS0_13select_configILj256ELj13ELNS0_17block_load_methodE3ELS4_3ELS4_3ELNS0_20block_scan_algorithmE0ELj4294967295EEENS1_25partition_config_selectorILNS1_17partition_subalgoE4EjNS0_10empty_typeEbEEZZNS1_14partition_implILS8_4ELb0ES6_15HIP_vector_typeIjLj2EENS0_17counting_iteratorIjlEEPS9_SG_NS0_5tupleIJPjSI_NS0_16reverse_iteratorISI_EEEEENSH_IJSG_SG_SG_EEES9_SI_JZNS1_25segmented_radix_sort_implINS0_14default_configELb0EPKlPlSQ_SR_N2at6native12_GLOBAL__N_18offset_tEEE10hipError_tPvRmT1_PNSt15iterator_traitsISZ_E10value_typeET2_T3_PNS10_IS15_E10value_typeET4_jRbjT5_S1B_jjP12ihipStream_tbEUljE_ZNSN_ISO_Lb0ESQ_SR_SQ_SR_SV_EESW_SX_SY_SZ_S13_S14_S15_S18_S19_jS1A_jS1B_S1B_jjS1D_bEUljE0_EEESW_SX_SY_S15_S19_S1B_T6_T7_T9_mT8_S1D_bDpT10_ENKUlT_T0_E_clISt17integral_constantIbLb0EES1Q_IbLb1EEEEDaS1M_S1N_EUlS1M_E_NS1_11comp_targetILNS1_3genE3ELNS1_11target_archE908ELNS1_3gpuE7ELNS1_3repE0EEENS1_30default_config_static_selectorELNS0_4arch9wavefront6targetE0EEEvSZ_.numbered_sgpr, 0
	.set _ZN7rocprim17ROCPRIM_400000_NS6detail17trampoline_kernelINS0_13select_configILj256ELj13ELNS0_17block_load_methodE3ELS4_3ELS4_3ELNS0_20block_scan_algorithmE0ELj4294967295EEENS1_25partition_config_selectorILNS1_17partition_subalgoE4EjNS0_10empty_typeEbEEZZNS1_14partition_implILS8_4ELb0ES6_15HIP_vector_typeIjLj2EENS0_17counting_iteratorIjlEEPS9_SG_NS0_5tupleIJPjSI_NS0_16reverse_iteratorISI_EEEEENSH_IJSG_SG_SG_EEES9_SI_JZNS1_25segmented_radix_sort_implINS0_14default_configELb0EPKlPlSQ_SR_N2at6native12_GLOBAL__N_18offset_tEEE10hipError_tPvRmT1_PNSt15iterator_traitsISZ_E10value_typeET2_T3_PNS10_IS15_E10value_typeET4_jRbjT5_S1B_jjP12ihipStream_tbEUljE_ZNSN_ISO_Lb0ESQ_SR_SQ_SR_SV_EESW_SX_SY_SZ_S13_S14_S15_S18_S19_jS1A_jS1B_S1B_jjS1D_bEUljE0_EEESW_SX_SY_S15_S19_S1B_T6_T7_T9_mT8_S1D_bDpT10_ENKUlT_T0_E_clISt17integral_constantIbLb0EES1Q_IbLb1EEEEDaS1M_S1N_EUlS1M_E_NS1_11comp_targetILNS1_3genE3ELNS1_11target_archE908ELNS1_3gpuE7ELNS1_3repE0EEENS1_30default_config_static_selectorELNS0_4arch9wavefront6targetE0EEEvSZ_.num_named_barrier, 0
	.set _ZN7rocprim17ROCPRIM_400000_NS6detail17trampoline_kernelINS0_13select_configILj256ELj13ELNS0_17block_load_methodE3ELS4_3ELS4_3ELNS0_20block_scan_algorithmE0ELj4294967295EEENS1_25partition_config_selectorILNS1_17partition_subalgoE4EjNS0_10empty_typeEbEEZZNS1_14partition_implILS8_4ELb0ES6_15HIP_vector_typeIjLj2EENS0_17counting_iteratorIjlEEPS9_SG_NS0_5tupleIJPjSI_NS0_16reverse_iteratorISI_EEEEENSH_IJSG_SG_SG_EEES9_SI_JZNS1_25segmented_radix_sort_implINS0_14default_configELb0EPKlPlSQ_SR_N2at6native12_GLOBAL__N_18offset_tEEE10hipError_tPvRmT1_PNSt15iterator_traitsISZ_E10value_typeET2_T3_PNS10_IS15_E10value_typeET4_jRbjT5_S1B_jjP12ihipStream_tbEUljE_ZNSN_ISO_Lb0ESQ_SR_SQ_SR_SV_EESW_SX_SY_SZ_S13_S14_S15_S18_S19_jS1A_jS1B_S1B_jjS1D_bEUljE0_EEESW_SX_SY_S15_S19_S1B_T6_T7_T9_mT8_S1D_bDpT10_ENKUlT_T0_E_clISt17integral_constantIbLb0EES1Q_IbLb1EEEEDaS1M_S1N_EUlS1M_E_NS1_11comp_targetILNS1_3genE3ELNS1_11target_archE908ELNS1_3gpuE7ELNS1_3repE0EEENS1_30default_config_static_selectorELNS0_4arch9wavefront6targetE0EEEvSZ_.private_seg_size, 0
	.set _ZN7rocprim17ROCPRIM_400000_NS6detail17trampoline_kernelINS0_13select_configILj256ELj13ELNS0_17block_load_methodE3ELS4_3ELS4_3ELNS0_20block_scan_algorithmE0ELj4294967295EEENS1_25partition_config_selectorILNS1_17partition_subalgoE4EjNS0_10empty_typeEbEEZZNS1_14partition_implILS8_4ELb0ES6_15HIP_vector_typeIjLj2EENS0_17counting_iteratorIjlEEPS9_SG_NS0_5tupleIJPjSI_NS0_16reverse_iteratorISI_EEEEENSH_IJSG_SG_SG_EEES9_SI_JZNS1_25segmented_radix_sort_implINS0_14default_configELb0EPKlPlSQ_SR_N2at6native12_GLOBAL__N_18offset_tEEE10hipError_tPvRmT1_PNSt15iterator_traitsISZ_E10value_typeET2_T3_PNS10_IS15_E10value_typeET4_jRbjT5_S1B_jjP12ihipStream_tbEUljE_ZNSN_ISO_Lb0ESQ_SR_SQ_SR_SV_EESW_SX_SY_SZ_S13_S14_S15_S18_S19_jS1A_jS1B_S1B_jjS1D_bEUljE0_EEESW_SX_SY_S15_S19_S1B_T6_T7_T9_mT8_S1D_bDpT10_ENKUlT_T0_E_clISt17integral_constantIbLb0EES1Q_IbLb1EEEEDaS1M_S1N_EUlS1M_E_NS1_11comp_targetILNS1_3genE3ELNS1_11target_archE908ELNS1_3gpuE7ELNS1_3repE0EEENS1_30default_config_static_selectorELNS0_4arch9wavefront6targetE0EEEvSZ_.uses_vcc, 0
	.set _ZN7rocprim17ROCPRIM_400000_NS6detail17trampoline_kernelINS0_13select_configILj256ELj13ELNS0_17block_load_methodE3ELS4_3ELS4_3ELNS0_20block_scan_algorithmE0ELj4294967295EEENS1_25partition_config_selectorILNS1_17partition_subalgoE4EjNS0_10empty_typeEbEEZZNS1_14partition_implILS8_4ELb0ES6_15HIP_vector_typeIjLj2EENS0_17counting_iteratorIjlEEPS9_SG_NS0_5tupleIJPjSI_NS0_16reverse_iteratorISI_EEEEENSH_IJSG_SG_SG_EEES9_SI_JZNS1_25segmented_radix_sort_implINS0_14default_configELb0EPKlPlSQ_SR_N2at6native12_GLOBAL__N_18offset_tEEE10hipError_tPvRmT1_PNSt15iterator_traitsISZ_E10value_typeET2_T3_PNS10_IS15_E10value_typeET4_jRbjT5_S1B_jjP12ihipStream_tbEUljE_ZNSN_ISO_Lb0ESQ_SR_SQ_SR_SV_EESW_SX_SY_SZ_S13_S14_S15_S18_S19_jS1A_jS1B_S1B_jjS1D_bEUljE0_EEESW_SX_SY_S15_S19_S1B_T6_T7_T9_mT8_S1D_bDpT10_ENKUlT_T0_E_clISt17integral_constantIbLb0EES1Q_IbLb1EEEEDaS1M_S1N_EUlS1M_E_NS1_11comp_targetILNS1_3genE3ELNS1_11target_archE908ELNS1_3gpuE7ELNS1_3repE0EEENS1_30default_config_static_selectorELNS0_4arch9wavefront6targetE0EEEvSZ_.uses_flat_scratch, 0
	.set _ZN7rocprim17ROCPRIM_400000_NS6detail17trampoline_kernelINS0_13select_configILj256ELj13ELNS0_17block_load_methodE3ELS4_3ELS4_3ELNS0_20block_scan_algorithmE0ELj4294967295EEENS1_25partition_config_selectorILNS1_17partition_subalgoE4EjNS0_10empty_typeEbEEZZNS1_14partition_implILS8_4ELb0ES6_15HIP_vector_typeIjLj2EENS0_17counting_iteratorIjlEEPS9_SG_NS0_5tupleIJPjSI_NS0_16reverse_iteratorISI_EEEEENSH_IJSG_SG_SG_EEES9_SI_JZNS1_25segmented_radix_sort_implINS0_14default_configELb0EPKlPlSQ_SR_N2at6native12_GLOBAL__N_18offset_tEEE10hipError_tPvRmT1_PNSt15iterator_traitsISZ_E10value_typeET2_T3_PNS10_IS15_E10value_typeET4_jRbjT5_S1B_jjP12ihipStream_tbEUljE_ZNSN_ISO_Lb0ESQ_SR_SQ_SR_SV_EESW_SX_SY_SZ_S13_S14_S15_S18_S19_jS1A_jS1B_S1B_jjS1D_bEUljE0_EEESW_SX_SY_S15_S19_S1B_T6_T7_T9_mT8_S1D_bDpT10_ENKUlT_T0_E_clISt17integral_constantIbLb0EES1Q_IbLb1EEEEDaS1M_S1N_EUlS1M_E_NS1_11comp_targetILNS1_3genE3ELNS1_11target_archE908ELNS1_3gpuE7ELNS1_3repE0EEENS1_30default_config_static_selectorELNS0_4arch9wavefront6targetE0EEEvSZ_.has_dyn_sized_stack, 0
	.set _ZN7rocprim17ROCPRIM_400000_NS6detail17trampoline_kernelINS0_13select_configILj256ELj13ELNS0_17block_load_methodE3ELS4_3ELS4_3ELNS0_20block_scan_algorithmE0ELj4294967295EEENS1_25partition_config_selectorILNS1_17partition_subalgoE4EjNS0_10empty_typeEbEEZZNS1_14partition_implILS8_4ELb0ES6_15HIP_vector_typeIjLj2EENS0_17counting_iteratorIjlEEPS9_SG_NS0_5tupleIJPjSI_NS0_16reverse_iteratorISI_EEEEENSH_IJSG_SG_SG_EEES9_SI_JZNS1_25segmented_radix_sort_implINS0_14default_configELb0EPKlPlSQ_SR_N2at6native12_GLOBAL__N_18offset_tEEE10hipError_tPvRmT1_PNSt15iterator_traitsISZ_E10value_typeET2_T3_PNS10_IS15_E10value_typeET4_jRbjT5_S1B_jjP12ihipStream_tbEUljE_ZNSN_ISO_Lb0ESQ_SR_SQ_SR_SV_EESW_SX_SY_SZ_S13_S14_S15_S18_S19_jS1A_jS1B_S1B_jjS1D_bEUljE0_EEESW_SX_SY_S15_S19_S1B_T6_T7_T9_mT8_S1D_bDpT10_ENKUlT_T0_E_clISt17integral_constantIbLb0EES1Q_IbLb1EEEEDaS1M_S1N_EUlS1M_E_NS1_11comp_targetILNS1_3genE3ELNS1_11target_archE908ELNS1_3gpuE7ELNS1_3repE0EEENS1_30default_config_static_selectorELNS0_4arch9wavefront6targetE0EEEvSZ_.has_recursion, 0
	.set _ZN7rocprim17ROCPRIM_400000_NS6detail17trampoline_kernelINS0_13select_configILj256ELj13ELNS0_17block_load_methodE3ELS4_3ELS4_3ELNS0_20block_scan_algorithmE0ELj4294967295EEENS1_25partition_config_selectorILNS1_17partition_subalgoE4EjNS0_10empty_typeEbEEZZNS1_14partition_implILS8_4ELb0ES6_15HIP_vector_typeIjLj2EENS0_17counting_iteratorIjlEEPS9_SG_NS0_5tupleIJPjSI_NS0_16reverse_iteratorISI_EEEEENSH_IJSG_SG_SG_EEES9_SI_JZNS1_25segmented_radix_sort_implINS0_14default_configELb0EPKlPlSQ_SR_N2at6native12_GLOBAL__N_18offset_tEEE10hipError_tPvRmT1_PNSt15iterator_traitsISZ_E10value_typeET2_T3_PNS10_IS15_E10value_typeET4_jRbjT5_S1B_jjP12ihipStream_tbEUljE_ZNSN_ISO_Lb0ESQ_SR_SQ_SR_SV_EESW_SX_SY_SZ_S13_S14_S15_S18_S19_jS1A_jS1B_S1B_jjS1D_bEUljE0_EEESW_SX_SY_S15_S19_S1B_T6_T7_T9_mT8_S1D_bDpT10_ENKUlT_T0_E_clISt17integral_constantIbLb0EES1Q_IbLb1EEEEDaS1M_S1N_EUlS1M_E_NS1_11comp_targetILNS1_3genE3ELNS1_11target_archE908ELNS1_3gpuE7ELNS1_3repE0EEENS1_30default_config_static_selectorELNS0_4arch9wavefront6targetE0EEEvSZ_.has_indirect_call, 0
	.section	.AMDGPU.csdata,"",@progbits
; Kernel info:
; codeLenInByte = 0
; TotalNumSgprs: 0
; NumVgprs: 0
; ScratchSize: 0
; MemoryBound: 0
; FloatMode: 240
; IeeeMode: 1
; LDSByteSize: 0 bytes/workgroup (compile time only)
; SGPRBlocks: 0
; VGPRBlocks: 0
; NumSGPRsForWavesPerEU: 1
; NumVGPRsForWavesPerEU: 1
; Occupancy: 16
; WaveLimiterHint : 0
; COMPUTE_PGM_RSRC2:SCRATCH_EN: 0
; COMPUTE_PGM_RSRC2:USER_SGPR: 6
; COMPUTE_PGM_RSRC2:TRAP_HANDLER: 0
; COMPUTE_PGM_RSRC2:TGID_X_EN: 1
; COMPUTE_PGM_RSRC2:TGID_Y_EN: 0
; COMPUTE_PGM_RSRC2:TGID_Z_EN: 0
; COMPUTE_PGM_RSRC2:TIDIG_COMP_CNT: 0
	.section	.text._ZN7rocprim17ROCPRIM_400000_NS6detail17trampoline_kernelINS0_13select_configILj256ELj13ELNS0_17block_load_methodE3ELS4_3ELS4_3ELNS0_20block_scan_algorithmE0ELj4294967295EEENS1_25partition_config_selectorILNS1_17partition_subalgoE4EjNS0_10empty_typeEbEEZZNS1_14partition_implILS8_4ELb0ES6_15HIP_vector_typeIjLj2EENS0_17counting_iteratorIjlEEPS9_SG_NS0_5tupleIJPjSI_NS0_16reverse_iteratorISI_EEEEENSH_IJSG_SG_SG_EEES9_SI_JZNS1_25segmented_radix_sort_implINS0_14default_configELb0EPKlPlSQ_SR_N2at6native12_GLOBAL__N_18offset_tEEE10hipError_tPvRmT1_PNSt15iterator_traitsISZ_E10value_typeET2_T3_PNS10_IS15_E10value_typeET4_jRbjT5_S1B_jjP12ihipStream_tbEUljE_ZNSN_ISO_Lb0ESQ_SR_SQ_SR_SV_EESW_SX_SY_SZ_S13_S14_S15_S18_S19_jS1A_jS1B_S1B_jjS1D_bEUljE0_EEESW_SX_SY_S15_S19_S1B_T6_T7_T9_mT8_S1D_bDpT10_ENKUlT_T0_E_clISt17integral_constantIbLb0EES1Q_IbLb1EEEEDaS1M_S1N_EUlS1M_E_NS1_11comp_targetILNS1_3genE2ELNS1_11target_archE906ELNS1_3gpuE6ELNS1_3repE0EEENS1_30default_config_static_selectorELNS0_4arch9wavefront6targetE0EEEvSZ_,"axG",@progbits,_ZN7rocprim17ROCPRIM_400000_NS6detail17trampoline_kernelINS0_13select_configILj256ELj13ELNS0_17block_load_methodE3ELS4_3ELS4_3ELNS0_20block_scan_algorithmE0ELj4294967295EEENS1_25partition_config_selectorILNS1_17partition_subalgoE4EjNS0_10empty_typeEbEEZZNS1_14partition_implILS8_4ELb0ES6_15HIP_vector_typeIjLj2EENS0_17counting_iteratorIjlEEPS9_SG_NS0_5tupleIJPjSI_NS0_16reverse_iteratorISI_EEEEENSH_IJSG_SG_SG_EEES9_SI_JZNS1_25segmented_radix_sort_implINS0_14default_configELb0EPKlPlSQ_SR_N2at6native12_GLOBAL__N_18offset_tEEE10hipError_tPvRmT1_PNSt15iterator_traitsISZ_E10value_typeET2_T3_PNS10_IS15_E10value_typeET4_jRbjT5_S1B_jjP12ihipStream_tbEUljE_ZNSN_ISO_Lb0ESQ_SR_SQ_SR_SV_EESW_SX_SY_SZ_S13_S14_S15_S18_S19_jS1A_jS1B_S1B_jjS1D_bEUljE0_EEESW_SX_SY_S15_S19_S1B_T6_T7_T9_mT8_S1D_bDpT10_ENKUlT_T0_E_clISt17integral_constantIbLb0EES1Q_IbLb1EEEEDaS1M_S1N_EUlS1M_E_NS1_11comp_targetILNS1_3genE2ELNS1_11target_archE906ELNS1_3gpuE6ELNS1_3repE0EEENS1_30default_config_static_selectorELNS0_4arch9wavefront6targetE0EEEvSZ_,comdat
	.globl	_ZN7rocprim17ROCPRIM_400000_NS6detail17trampoline_kernelINS0_13select_configILj256ELj13ELNS0_17block_load_methodE3ELS4_3ELS4_3ELNS0_20block_scan_algorithmE0ELj4294967295EEENS1_25partition_config_selectorILNS1_17partition_subalgoE4EjNS0_10empty_typeEbEEZZNS1_14partition_implILS8_4ELb0ES6_15HIP_vector_typeIjLj2EENS0_17counting_iteratorIjlEEPS9_SG_NS0_5tupleIJPjSI_NS0_16reverse_iteratorISI_EEEEENSH_IJSG_SG_SG_EEES9_SI_JZNS1_25segmented_radix_sort_implINS0_14default_configELb0EPKlPlSQ_SR_N2at6native12_GLOBAL__N_18offset_tEEE10hipError_tPvRmT1_PNSt15iterator_traitsISZ_E10value_typeET2_T3_PNS10_IS15_E10value_typeET4_jRbjT5_S1B_jjP12ihipStream_tbEUljE_ZNSN_ISO_Lb0ESQ_SR_SQ_SR_SV_EESW_SX_SY_SZ_S13_S14_S15_S18_S19_jS1A_jS1B_S1B_jjS1D_bEUljE0_EEESW_SX_SY_S15_S19_S1B_T6_T7_T9_mT8_S1D_bDpT10_ENKUlT_T0_E_clISt17integral_constantIbLb0EES1Q_IbLb1EEEEDaS1M_S1N_EUlS1M_E_NS1_11comp_targetILNS1_3genE2ELNS1_11target_archE906ELNS1_3gpuE6ELNS1_3repE0EEENS1_30default_config_static_selectorELNS0_4arch9wavefront6targetE0EEEvSZ_ ; -- Begin function _ZN7rocprim17ROCPRIM_400000_NS6detail17trampoline_kernelINS0_13select_configILj256ELj13ELNS0_17block_load_methodE3ELS4_3ELS4_3ELNS0_20block_scan_algorithmE0ELj4294967295EEENS1_25partition_config_selectorILNS1_17partition_subalgoE4EjNS0_10empty_typeEbEEZZNS1_14partition_implILS8_4ELb0ES6_15HIP_vector_typeIjLj2EENS0_17counting_iteratorIjlEEPS9_SG_NS0_5tupleIJPjSI_NS0_16reverse_iteratorISI_EEEEENSH_IJSG_SG_SG_EEES9_SI_JZNS1_25segmented_radix_sort_implINS0_14default_configELb0EPKlPlSQ_SR_N2at6native12_GLOBAL__N_18offset_tEEE10hipError_tPvRmT1_PNSt15iterator_traitsISZ_E10value_typeET2_T3_PNS10_IS15_E10value_typeET4_jRbjT5_S1B_jjP12ihipStream_tbEUljE_ZNSN_ISO_Lb0ESQ_SR_SQ_SR_SV_EESW_SX_SY_SZ_S13_S14_S15_S18_S19_jS1A_jS1B_S1B_jjS1D_bEUljE0_EEESW_SX_SY_S15_S19_S1B_T6_T7_T9_mT8_S1D_bDpT10_ENKUlT_T0_E_clISt17integral_constantIbLb0EES1Q_IbLb1EEEEDaS1M_S1N_EUlS1M_E_NS1_11comp_targetILNS1_3genE2ELNS1_11target_archE906ELNS1_3gpuE6ELNS1_3repE0EEENS1_30default_config_static_selectorELNS0_4arch9wavefront6targetE0EEEvSZ_
	.p2align	8
	.type	_ZN7rocprim17ROCPRIM_400000_NS6detail17trampoline_kernelINS0_13select_configILj256ELj13ELNS0_17block_load_methodE3ELS4_3ELS4_3ELNS0_20block_scan_algorithmE0ELj4294967295EEENS1_25partition_config_selectorILNS1_17partition_subalgoE4EjNS0_10empty_typeEbEEZZNS1_14partition_implILS8_4ELb0ES6_15HIP_vector_typeIjLj2EENS0_17counting_iteratorIjlEEPS9_SG_NS0_5tupleIJPjSI_NS0_16reverse_iteratorISI_EEEEENSH_IJSG_SG_SG_EEES9_SI_JZNS1_25segmented_radix_sort_implINS0_14default_configELb0EPKlPlSQ_SR_N2at6native12_GLOBAL__N_18offset_tEEE10hipError_tPvRmT1_PNSt15iterator_traitsISZ_E10value_typeET2_T3_PNS10_IS15_E10value_typeET4_jRbjT5_S1B_jjP12ihipStream_tbEUljE_ZNSN_ISO_Lb0ESQ_SR_SQ_SR_SV_EESW_SX_SY_SZ_S13_S14_S15_S18_S19_jS1A_jS1B_S1B_jjS1D_bEUljE0_EEESW_SX_SY_S15_S19_S1B_T6_T7_T9_mT8_S1D_bDpT10_ENKUlT_T0_E_clISt17integral_constantIbLb0EES1Q_IbLb1EEEEDaS1M_S1N_EUlS1M_E_NS1_11comp_targetILNS1_3genE2ELNS1_11target_archE906ELNS1_3gpuE6ELNS1_3repE0EEENS1_30default_config_static_selectorELNS0_4arch9wavefront6targetE0EEEvSZ_,@function
_ZN7rocprim17ROCPRIM_400000_NS6detail17trampoline_kernelINS0_13select_configILj256ELj13ELNS0_17block_load_methodE3ELS4_3ELS4_3ELNS0_20block_scan_algorithmE0ELj4294967295EEENS1_25partition_config_selectorILNS1_17partition_subalgoE4EjNS0_10empty_typeEbEEZZNS1_14partition_implILS8_4ELb0ES6_15HIP_vector_typeIjLj2EENS0_17counting_iteratorIjlEEPS9_SG_NS0_5tupleIJPjSI_NS0_16reverse_iteratorISI_EEEEENSH_IJSG_SG_SG_EEES9_SI_JZNS1_25segmented_radix_sort_implINS0_14default_configELb0EPKlPlSQ_SR_N2at6native12_GLOBAL__N_18offset_tEEE10hipError_tPvRmT1_PNSt15iterator_traitsISZ_E10value_typeET2_T3_PNS10_IS15_E10value_typeET4_jRbjT5_S1B_jjP12ihipStream_tbEUljE_ZNSN_ISO_Lb0ESQ_SR_SQ_SR_SV_EESW_SX_SY_SZ_S13_S14_S15_S18_S19_jS1A_jS1B_S1B_jjS1D_bEUljE0_EEESW_SX_SY_S15_S19_S1B_T6_T7_T9_mT8_S1D_bDpT10_ENKUlT_T0_E_clISt17integral_constantIbLb0EES1Q_IbLb1EEEEDaS1M_S1N_EUlS1M_E_NS1_11comp_targetILNS1_3genE2ELNS1_11target_archE906ELNS1_3gpuE6ELNS1_3repE0EEENS1_30default_config_static_selectorELNS0_4arch9wavefront6targetE0EEEvSZ_: ; @_ZN7rocprim17ROCPRIM_400000_NS6detail17trampoline_kernelINS0_13select_configILj256ELj13ELNS0_17block_load_methodE3ELS4_3ELS4_3ELNS0_20block_scan_algorithmE0ELj4294967295EEENS1_25partition_config_selectorILNS1_17partition_subalgoE4EjNS0_10empty_typeEbEEZZNS1_14partition_implILS8_4ELb0ES6_15HIP_vector_typeIjLj2EENS0_17counting_iteratorIjlEEPS9_SG_NS0_5tupleIJPjSI_NS0_16reverse_iteratorISI_EEEEENSH_IJSG_SG_SG_EEES9_SI_JZNS1_25segmented_radix_sort_implINS0_14default_configELb0EPKlPlSQ_SR_N2at6native12_GLOBAL__N_18offset_tEEE10hipError_tPvRmT1_PNSt15iterator_traitsISZ_E10value_typeET2_T3_PNS10_IS15_E10value_typeET4_jRbjT5_S1B_jjP12ihipStream_tbEUljE_ZNSN_ISO_Lb0ESQ_SR_SQ_SR_SV_EESW_SX_SY_SZ_S13_S14_S15_S18_S19_jS1A_jS1B_S1B_jjS1D_bEUljE0_EEESW_SX_SY_S15_S19_S1B_T6_T7_T9_mT8_S1D_bDpT10_ENKUlT_T0_E_clISt17integral_constantIbLb0EES1Q_IbLb1EEEEDaS1M_S1N_EUlS1M_E_NS1_11comp_targetILNS1_3genE2ELNS1_11target_archE906ELNS1_3gpuE6ELNS1_3repE0EEENS1_30default_config_static_selectorELNS0_4arch9wavefront6targetE0EEEvSZ_
; %bb.0:
	.section	.rodata,"a",@progbits
	.p2align	6, 0x0
	.amdhsa_kernel _ZN7rocprim17ROCPRIM_400000_NS6detail17trampoline_kernelINS0_13select_configILj256ELj13ELNS0_17block_load_methodE3ELS4_3ELS4_3ELNS0_20block_scan_algorithmE0ELj4294967295EEENS1_25partition_config_selectorILNS1_17partition_subalgoE4EjNS0_10empty_typeEbEEZZNS1_14partition_implILS8_4ELb0ES6_15HIP_vector_typeIjLj2EENS0_17counting_iteratorIjlEEPS9_SG_NS0_5tupleIJPjSI_NS0_16reverse_iteratorISI_EEEEENSH_IJSG_SG_SG_EEES9_SI_JZNS1_25segmented_radix_sort_implINS0_14default_configELb0EPKlPlSQ_SR_N2at6native12_GLOBAL__N_18offset_tEEE10hipError_tPvRmT1_PNSt15iterator_traitsISZ_E10value_typeET2_T3_PNS10_IS15_E10value_typeET4_jRbjT5_S1B_jjP12ihipStream_tbEUljE_ZNSN_ISO_Lb0ESQ_SR_SQ_SR_SV_EESW_SX_SY_SZ_S13_S14_S15_S18_S19_jS1A_jS1B_S1B_jjS1D_bEUljE0_EEESW_SX_SY_S15_S19_S1B_T6_T7_T9_mT8_S1D_bDpT10_ENKUlT_T0_E_clISt17integral_constantIbLb0EES1Q_IbLb1EEEEDaS1M_S1N_EUlS1M_E_NS1_11comp_targetILNS1_3genE2ELNS1_11target_archE906ELNS1_3gpuE6ELNS1_3repE0EEENS1_30default_config_static_selectorELNS0_4arch9wavefront6targetE0EEEvSZ_
		.amdhsa_group_segment_fixed_size 0
		.amdhsa_private_segment_fixed_size 0
		.amdhsa_kernarg_size 184
		.amdhsa_user_sgpr_count 6
		.amdhsa_user_sgpr_private_segment_buffer 1
		.amdhsa_user_sgpr_dispatch_ptr 0
		.amdhsa_user_sgpr_queue_ptr 0
		.amdhsa_user_sgpr_kernarg_segment_ptr 1
		.amdhsa_user_sgpr_dispatch_id 0
		.amdhsa_user_sgpr_flat_scratch_init 0
		.amdhsa_user_sgpr_private_segment_size 0
		.amdhsa_wavefront_size32 1
		.amdhsa_uses_dynamic_stack 0
		.amdhsa_system_sgpr_private_segment_wavefront_offset 0
		.amdhsa_system_sgpr_workgroup_id_x 1
		.amdhsa_system_sgpr_workgroup_id_y 0
		.amdhsa_system_sgpr_workgroup_id_z 0
		.amdhsa_system_sgpr_workgroup_info 0
		.amdhsa_system_vgpr_workitem_id 0
		.amdhsa_next_free_vgpr 1
		.amdhsa_next_free_sgpr 1
		.amdhsa_reserve_vcc 0
		.amdhsa_reserve_flat_scratch 0
		.amdhsa_float_round_mode_32 0
		.amdhsa_float_round_mode_16_64 0
		.amdhsa_float_denorm_mode_32 3
		.amdhsa_float_denorm_mode_16_64 3
		.amdhsa_dx10_clamp 1
		.amdhsa_ieee_mode 1
		.amdhsa_fp16_overflow 0
		.amdhsa_workgroup_processor_mode 1
		.amdhsa_memory_ordered 1
		.amdhsa_forward_progress 1
		.amdhsa_shared_vgpr_count 0
		.amdhsa_exception_fp_ieee_invalid_op 0
		.amdhsa_exception_fp_denorm_src 0
		.amdhsa_exception_fp_ieee_div_zero 0
		.amdhsa_exception_fp_ieee_overflow 0
		.amdhsa_exception_fp_ieee_underflow 0
		.amdhsa_exception_fp_ieee_inexact 0
		.amdhsa_exception_int_div_zero 0
	.end_amdhsa_kernel
	.section	.text._ZN7rocprim17ROCPRIM_400000_NS6detail17trampoline_kernelINS0_13select_configILj256ELj13ELNS0_17block_load_methodE3ELS4_3ELS4_3ELNS0_20block_scan_algorithmE0ELj4294967295EEENS1_25partition_config_selectorILNS1_17partition_subalgoE4EjNS0_10empty_typeEbEEZZNS1_14partition_implILS8_4ELb0ES6_15HIP_vector_typeIjLj2EENS0_17counting_iteratorIjlEEPS9_SG_NS0_5tupleIJPjSI_NS0_16reverse_iteratorISI_EEEEENSH_IJSG_SG_SG_EEES9_SI_JZNS1_25segmented_radix_sort_implINS0_14default_configELb0EPKlPlSQ_SR_N2at6native12_GLOBAL__N_18offset_tEEE10hipError_tPvRmT1_PNSt15iterator_traitsISZ_E10value_typeET2_T3_PNS10_IS15_E10value_typeET4_jRbjT5_S1B_jjP12ihipStream_tbEUljE_ZNSN_ISO_Lb0ESQ_SR_SQ_SR_SV_EESW_SX_SY_SZ_S13_S14_S15_S18_S19_jS1A_jS1B_S1B_jjS1D_bEUljE0_EEESW_SX_SY_S15_S19_S1B_T6_T7_T9_mT8_S1D_bDpT10_ENKUlT_T0_E_clISt17integral_constantIbLb0EES1Q_IbLb1EEEEDaS1M_S1N_EUlS1M_E_NS1_11comp_targetILNS1_3genE2ELNS1_11target_archE906ELNS1_3gpuE6ELNS1_3repE0EEENS1_30default_config_static_selectorELNS0_4arch9wavefront6targetE0EEEvSZ_,"axG",@progbits,_ZN7rocprim17ROCPRIM_400000_NS6detail17trampoline_kernelINS0_13select_configILj256ELj13ELNS0_17block_load_methodE3ELS4_3ELS4_3ELNS0_20block_scan_algorithmE0ELj4294967295EEENS1_25partition_config_selectorILNS1_17partition_subalgoE4EjNS0_10empty_typeEbEEZZNS1_14partition_implILS8_4ELb0ES6_15HIP_vector_typeIjLj2EENS0_17counting_iteratorIjlEEPS9_SG_NS0_5tupleIJPjSI_NS0_16reverse_iteratorISI_EEEEENSH_IJSG_SG_SG_EEES9_SI_JZNS1_25segmented_radix_sort_implINS0_14default_configELb0EPKlPlSQ_SR_N2at6native12_GLOBAL__N_18offset_tEEE10hipError_tPvRmT1_PNSt15iterator_traitsISZ_E10value_typeET2_T3_PNS10_IS15_E10value_typeET4_jRbjT5_S1B_jjP12ihipStream_tbEUljE_ZNSN_ISO_Lb0ESQ_SR_SQ_SR_SV_EESW_SX_SY_SZ_S13_S14_S15_S18_S19_jS1A_jS1B_S1B_jjS1D_bEUljE0_EEESW_SX_SY_S15_S19_S1B_T6_T7_T9_mT8_S1D_bDpT10_ENKUlT_T0_E_clISt17integral_constantIbLb0EES1Q_IbLb1EEEEDaS1M_S1N_EUlS1M_E_NS1_11comp_targetILNS1_3genE2ELNS1_11target_archE906ELNS1_3gpuE6ELNS1_3repE0EEENS1_30default_config_static_selectorELNS0_4arch9wavefront6targetE0EEEvSZ_,comdat
.Lfunc_end765:
	.size	_ZN7rocprim17ROCPRIM_400000_NS6detail17trampoline_kernelINS0_13select_configILj256ELj13ELNS0_17block_load_methodE3ELS4_3ELS4_3ELNS0_20block_scan_algorithmE0ELj4294967295EEENS1_25partition_config_selectorILNS1_17partition_subalgoE4EjNS0_10empty_typeEbEEZZNS1_14partition_implILS8_4ELb0ES6_15HIP_vector_typeIjLj2EENS0_17counting_iteratorIjlEEPS9_SG_NS0_5tupleIJPjSI_NS0_16reverse_iteratorISI_EEEEENSH_IJSG_SG_SG_EEES9_SI_JZNS1_25segmented_radix_sort_implINS0_14default_configELb0EPKlPlSQ_SR_N2at6native12_GLOBAL__N_18offset_tEEE10hipError_tPvRmT1_PNSt15iterator_traitsISZ_E10value_typeET2_T3_PNS10_IS15_E10value_typeET4_jRbjT5_S1B_jjP12ihipStream_tbEUljE_ZNSN_ISO_Lb0ESQ_SR_SQ_SR_SV_EESW_SX_SY_SZ_S13_S14_S15_S18_S19_jS1A_jS1B_S1B_jjS1D_bEUljE0_EEESW_SX_SY_S15_S19_S1B_T6_T7_T9_mT8_S1D_bDpT10_ENKUlT_T0_E_clISt17integral_constantIbLb0EES1Q_IbLb1EEEEDaS1M_S1N_EUlS1M_E_NS1_11comp_targetILNS1_3genE2ELNS1_11target_archE906ELNS1_3gpuE6ELNS1_3repE0EEENS1_30default_config_static_selectorELNS0_4arch9wavefront6targetE0EEEvSZ_, .Lfunc_end765-_ZN7rocprim17ROCPRIM_400000_NS6detail17trampoline_kernelINS0_13select_configILj256ELj13ELNS0_17block_load_methodE3ELS4_3ELS4_3ELNS0_20block_scan_algorithmE0ELj4294967295EEENS1_25partition_config_selectorILNS1_17partition_subalgoE4EjNS0_10empty_typeEbEEZZNS1_14partition_implILS8_4ELb0ES6_15HIP_vector_typeIjLj2EENS0_17counting_iteratorIjlEEPS9_SG_NS0_5tupleIJPjSI_NS0_16reverse_iteratorISI_EEEEENSH_IJSG_SG_SG_EEES9_SI_JZNS1_25segmented_radix_sort_implINS0_14default_configELb0EPKlPlSQ_SR_N2at6native12_GLOBAL__N_18offset_tEEE10hipError_tPvRmT1_PNSt15iterator_traitsISZ_E10value_typeET2_T3_PNS10_IS15_E10value_typeET4_jRbjT5_S1B_jjP12ihipStream_tbEUljE_ZNSN_ISO_Lb0ESQ_SR_SQ_SR_SV_EESW_SX_SY_SZ_S13_S14_S15_S18_S19_jS1A_jS1B_S1B_jjS1D_bEUljE0_EEESW_SX_SY_S15_S19_S1B_T6_T7_T9_mT8_S1D_bDpT10_ENKUlT_T0_E_clISt17integral_constantIbLb0EES1Q_IbLb1EEEEDaS1M_S1N_EUlS1M_E_NS1_11comp_targetILNS1_3genE2ELNS1_11target_archE906ELNS1_3gpuE6ELNS1_3repE0EEENS1_30default_config_static_selectorELNS0_4arch9wavefront6targetE0EEEvSZ_
                                        ; -- End function
	.set _ZN7rocprim17ROCPRIM_400000_NS6detail17trampoline_kernelINS0_13select_configILj256ELj13ELNS0_17block_load_methodE3ELS4_3ELS4_3ELNS0_20block_scan_algorithmE0ELj4294967295EEENS1_25partition_config_selectorILNS1_17partition_subalgoE4EjNS0_10empty_typeEbEEZZNS1_14partition_implILS8_4ELb0ES6_15HIP_vector_typeIjLj2EENS0_17counting_iteratorIjlEEPS9_SG_NS0_5tupleIJPjSI_NS0_16reverse_iteratorISI_EEEEENSH_IJSG_SG_SG_EEES9_SI_JZNS1_25segmented_radix_sort_implINS0_14default_configELb0EPKlPlSQ_SR_N2at6native12_GLOBAL__N_18offset_tEEE10hipError_tPvRmT1_PNSt15iterator_traitsISZ_E10value_typeET2_T3_PNS10_IS15_E10value_typeET4_jRbjT5_S1B_jjP12ihipStream_tbEUljE_ZNSN_ISO_Lb0ESQ_SR_SQ_SR_SV_EESW_SX_SY_SZ_S13_S14_S15_S18_S19_jS1A_jS1B_S1B_jjS1D_bEUljE0_EEESW_SX_SY_S15_S19_S1B_T6_T7_T9_mT8_S1D_bDpT10_ENKUlT_T0_E_clISt17integral_constantIbLb0EES1Q_IbLb1EEEEDaS1M_S1N_EUlS1M_E_NS1_11comp_targetILNS1_3genE2ELNS1_11target_archE906ELNS1_3gpuE6ELNS1_3repE0EEENS1_30default_config_static_selectorELNS0_4arch9wavefront6targetE0EEEvSZ_.num_vgpr, 0
	.set _ZN7rocprim17ROCPRIM_400000_NS6detail17trampoline_kernelINS0_13select_configILj256ELj13ELNS0_17block_load_methodE3ELS4_3ELS4_3ELNS0_20block_scan_algorithmE0ELj4294967295EEENS1_25partition_config_selectorILNS1_17partition_subalgoE4EjNS0_10empty_typeEbEEZZNS1_14partition_implILS8_4ELb0ES6_15HIP_vector_typeIjLj2EENS0_17counting_iteratorIjlEEPS9_SG_NS0_5tupleIJPjSI_NS0_16reverse_iteratorISI_EEEEENSH_IJSG_SG_SG_EEES9_SI_JZNS1_25segmented_radix_sort_implINS0_14default_configELb0EPKlPlSQ_SR_N2at6native12_GLOBAL__N_18offset_tEEE10hipError_tPvRmT1_PNSt15iterator_traitsISZ_E10value_typeET2_T3_PNS10_IS15_E10value_typeET4_jRbjT5_S1B_jjP12ihipStream_tbEUljE_ZNSN_ISO_Lb0ESQ_SR_SQ_SR_SV_EESW_SX_SY_SZ_S13_S14_S15_S18_S19_jS1A_jS1B_S1B_jjS1D_bEUljE0_EEESW_SX_SY_S15_S19_S1B_T6_T7_T9_mT8_S1D_bDpT10_ENKUlT_T0_E_clISt17integral_constantIbLb0EES1Q_IbLb1EEEEDaS1M_S1N_EUlS1M_E_NS1_11comp_targetILNS1_3genE2ELNS1_11target_archE906ELNS1_3gpuE6ELNS1_3repE0EEENS1_30default_config_static_selectorELNS0_4arch9wavefront6targetE0EEEvSZ_.num_agpr, 0
	.set _ZN7rocprim17ROCPRIM_400000_NS6detail17trampoline_kernelINS0_13select_configILj256ELj13ELNS0_17block_load_methodE3ELS4_3ELS4_3ELNS0_20block_scan_algorithmE0ELj4294967295EEENS1_25partition_config_selectorILNS1_17partition_subalgoE4EjNS0_10empty_typeEbEEZZNS1_14partition_implILS8_4ELb0ES6_15HIP_vector_typeIjLj2EENS0_17counting_iteratorIjlEEPS9_SG_NS0_5tupleIJPjSI_NS0_16reverse_iteratorISI_EEEEENSH_IJSG_SG_SG_EEES9_SI_JZNS1_25segmented_radix_sort_implINS0_14default_configELb0EPKlPlSQ_SR_N2at6native12_GLOBAL__N_18offset_tEEE10hipError_tPvRmT1_PNSt15iterator_traitsISZ_E10value_typeET2_T3_PNS10_IS15_E10value_typeET4_jRbjT5_S1B_jjP12ihipStream_tbEUljE_ZNSN_ISO_Lb0ESQ_SR_SQ_SR_SV_EESW_SX_SY_SZ_S13_S14_S15_S18_S19_jS1A_jS1B_S1B_jjS1D_bEUljE0_EEESW_SX_SY_S15_S19_S1B_T6_T7_T9_mT8_S1D_bDpT10_ENKUlT_T0_E_clISt17integral_constantIbLb0EES1Q_IbLb1EEEEDaS1M_S1N_EUlS1M_E_NS1_11comp_targetILNS1_3genE2ELNS1_11target_archE906ELNS1_3gpuE6ELNS1_3repE0EEENS1_30default_config_static_selectorELNS0_4arch9wavefront6targetE0EEEvSZ_.numbered_sgpr, 0
	.set _ZN7rocprim17ROCPRIM_400000_NS6detail17trampoline_kernelINS0_13select_configILj256ELj13ELNS0_17block_load_methodE3ELS4_3ELS4_3ELNS0_20block_scan_algorithmE0ELj4294967295EEENS1_25partition_config_selectorILNS1_17partition_subalgoE4EjNS0_10empty_typeEbEEZZNS1_14partition_implILS8_4ELb0ES6_15HIP_vector_typeIjLj2EENS0_17counting_iteratorIjlEEPS9_SG_NS0_5tupleIJPjSI_NS0_16reverse_iteratorISI_EEEEENSH_IJSG_SG_SG_EEES9_SI_JZNS1_25segmented_radix_sort_implINS0_14default_configELb0EPKlPlSQ_SR_N2at6native12_GLOBAL__N_18offset_tEEE10hipError_tPvRmT1_PNSt15iterator_traitsISZ_E10value_typeET2_T3_PNS10_IS15_E10value_typeET4_jRbjT5_S1B_jjP12ihipStream_tbEUljE_ZNSN_ISO_Lb0ESQ_SR_SQ_SR_SV_EESW_SX_SY_SZ_S13_S14_S15_S18_S19_jS1A_jS1B_S1B_jjS1D_bEUljE0_EEESW_SX_SY_S15_S19_S1B_T6_T7_T9_mT8_S1D_bDpT10_ENKUlT_T0_E_clISt17integral_constantIbLb0EES1Q_IbLb1EEEEDaS1M_S1N_EUlS1M_E_NS1_11comp_targetILNS1_3genE2ELNS1_11target_archE906ELNS1_3gpuE6ELNS1_3repE0EEENS1_30default_config_static_selectorELNS0_4arch9wavefront6targetE0EEEvSZ_.num_named_barrier, 0
	.set _ZN7rocprim17ROCPRIM_400000_NS6detail17trampoline_kernelINS0_13select_configILj256ELj13ELNS0_17block_load_methodE3ELS4_3ELS4_3ELNS0_20block_scan_algorithmE0ELj4294967295EEENS1_25partition_config_selectorILNS1_17partition_subalgoE4EjNS0_10empty_typeEbEEZZNS1_14partition_implILS8_4ELb0ES6_15HIP_vector_typeIjLj2EENS0_17counting_iteratorIjlEEPS9_SG_NS0_5tupleIJPjSI_NS0_16reverse_iteratorISI_EEEEENSH_IJSG_SG_SG_EEES9_SI_JZNS1_25segmented_radix_sort_implINS0_14default_configELb0EPKlPlSQ_SR_N2at6native12_GLOBAL__N_18offset_tEEE10hipError_tPvRmT1_PNSt15iterator_traitsISZ_E10value_typeET2_T3_PNS10_IS15_E10value_typeET4_jRbjT5_S1B_jjP12ihipStream_tbEUljE_ZNSN_ISO_Lb0ESQ_SR_SQ_SR_SV_EESW_SX_SY_SZ_S13_S14_S15_S18_S19_jS1A_jS1B_S1B_jjS1D_bEUljE0_EEESW_SX_SY_S15_S19_S1B_T6_T7_T9_mT8_S1D_bDpT10_ENKUlT_T0_E_clISt17integral_constantIbLb0EES1Q_IbLb1EEEEDaS1M_S1N_EUlS1M_E_NS1_11comp_targetILNS1_3genE2ELNS1_11target_archE906ELNS1_3gpuE6ELNS1_3repE0EEENS1_30default_config_static_selectorELNS0_4arch9wavefront6targetE0EEEvSZ_.private_seg_size, 0
	.set _ZN7rocprim17ROCPRIM_400000_NS6detail17trampoline_kernelINS0_13select_configILj256ELj13ELNS0_17block_load_methodE3ELS4_3ELS4_3ELNS0_20block_scan_algorithmE0ELj4294967295EEENS1_25partition_config_selectorILNS1_17partition_subalgoE4EjNS0_10empty_typeEbEEZZNS1_14partition_implILS8_4ELb0ES6_15HIP_vector_typeIjLj2EENS0_17counting_iteratorIjlEEPS9_SG_NS0_5tupleIJPjSI_NS0_16reverse_iteratorISI_EEEEENSH_IJSG_SG_SG_EEES9_SI_JZNS1_25segmented_radix_sort_implINS0_14default_configELb0EPKlPlSQ_SR_N2at6native12_GLOBAL__N_18offset_tEEE10hipError_tPvRmT1_PNSt15iterator_traitsISZ_E10value_typeET2_T3_PNS10_IS15_E10value_typeET4_jRbjT5_S1B_jjP12ihipStream_tbEUljE_ZNSN_ISO_Lb0ESQ_SR_SQ_SR_SV_EESW_SX_SY_SZ_S13_S14_S15_S18_S19_jS1A_jS1B_S1B_jjS1D_bEUljE0_EEESW_SX_SY_S15_S19_S1B_T6_T7_T9_mT8_S1D_bDpT10_ENKUlT_T0_E_clISt17integral_constantIbLb0EES1Q_IbLb1EEEEDaS1M_S1N_EUlS1M_E_NS1_11comp_targetILNS1_3genE2ELNS1_11target_archE906ELNS1_3gpuE6ELNS1_3repE0EEENS1_30default_config_static_selectorELNS0_4arch9wavefront6targetE0EEEvSZ_.uses_vcc, 0
	.set _ZN7rocprim17ROCPRIM_400000_NS6detail17trampoline_kernelINS0_13select_configILj256ELj13ELNS0_17block_load_methodE3ELS4_3ELS4_3ELNS0_20block_scan_algorithmE0ELj4294967295EEENS1_25partition_config_selectorILNS1_17partition_subalgoE4EjNS0_10empty_typeEbEEZZNS1_14partition_implILS8_4ELb0ES6_15HIP_vector_typeIjLj2EENS0_17counting_iteratorIjlEEPS9_SG_NS0_5tupleIJPjSI_NS0_16reverse_iteratorISI_EEEEENSH_IJSG_SG_SG_EEES9_SI_JZNS1_25segmented_radix_sort_implINS0_14default_configELb0EPKlPlSQ_SR_N2at6native12_GLOBAL__N_18offset_tEEE10hipError_tPvRmT1_PNSt15iterator_traitsISZ_E10value_typeET2_T3_PNS10_IS15_E10value_typeET4_jRbjT5_S1B_jjP12ihipStream_tbEUljE_ZNSN_ISO_Lb0ESQ_SR_SQ_SR_SV_EESW_SX_SY_SZ_S13_S14_S15_S18_S19_jS1A_jS1B_S1B_jjS1D_bEUljE0_EEESW_SX_SY_S15_S19_S1B_T6_T7_T9_mT8_S1D_bDpT10_ENKUlT_T0_E_clISt17integral_constantIbLb0EES1Q_IbLb1EEEEDaS1M_S1N_EUlS1M_E_NS1_11comp_targetILNS1_3genE2ELNS1_11target_archE906ELNS1_3gpuE6ELNS1_3repE0EEENS1_30default_config_static_selectorELNS0_4arch9wavefront6targetE0EEEvSZ_.uses_flat_scratch, 0
	.set _ZN7rocprim17ROCPRIM_400000_NS6detail17trampoline_kernelINS0_13select_configILj256ELj13ELNS0_17block_load_methodE3ELS4_3ELS4_3ELNS0_20block_scan_algorithmE0ELj4294967295EEENS1_25partition_config_selectorILNS1_17partition_subalgoE4EjNS0_10empty_typeEbEEZZNS1_14partition_implILS8_4ELb0ES6_15HIP_vector_typeIjLj2EENS0_17counting_iteratorIjlEEPS9_SG_NS0_5tupleIJPjSI_NS0_16reverse_iteratorISI_EEEEENSH_IJSG_SG_SG_EEES9_SI_JZNS1_25segmented_radix_sort_implINS0_14default_configELb0EPKlPlSQ_SR_N2at6native12_GLOBAL__N_18offset_tEEE10hipError_tPvRmT1_PNSt15iterator_traitsISZ_E10value_typeET2_T3_PNS10_IS15_E10value_typeET4_jRbjT5_S1B_jjP12ihipStream_tbEUljE_ZNSN_ISO_Lb0ESQ_SR_SQ_SR_SV_EESW_SX_SY_SZ_S13_S14_S15_S18_S19_jS1A_jS1B_S1B_jjS1D_bEUljE0_EEESW_SX_SY_S15_S19_S1B_T6_T7_T9_mT8_S1D_bDpT10_ENKUlT_T0_E_clISt17integral_constantIbLb0EES1Q_IbLb1EEEEDaS1M_S1N_EUlS1M_E_NS1_11comp_targetILNS1_3genE2ELNS1_11target_archE906ELNS1_3gpuE6ELNS1_3repE0EEENS1_30default_config_static_selectorELNS0_4arch9wavefront6targetE0EEEvSZ_.has_dyn_sized_stack, 0
	.set _ZN7rocprim17ROCPRIM_400000_NS6detail17trampoline_kernelINS0_13select_configILj256ELj13ELNS0_17block_load_methodE3ELS4_3ELS4_3ELNS0_20block_scan_algorithmE0ELj4294967295EEENS1_25partition_config_selectorILNS1_17partition_subalgoE4EjNS0_10empty_typeEbEEZZNS1_14partition_implILS8_4ELb0ES6_15HIP_vector_typeIjLj2EENS0_17counting_iteratorIjlEEPS9_SG_NS0_5tupleIJPjSI_NS0_16reverse_iteratorISI_EEEEENSH_IJSG_SG_SG_EEES9_SI_JZNS1_25segmented_radix_sort_implINS0_14default_configELb0EPKlPlSQ_SR_N2at6native12_GLOBAL__N_18offset_tEEE10hipError_tPvRmT1_PNSt15iterator_traitsISZ_E10value_typeET2_T3_PNS10_IS15_E10value_typeET4_jRbjT5_S1B_jjP12ihipStream_tbEUljE_ZNSN_ISO_Lb0ESQ_SR_SQ_SR_SV_EESW_SX_SY_SZ_S13_S14_S15_S18_S19_jS1A_jS1B_S1B_jjS1D_bEUljE0_EEESW_SX_SY_S15_S19_S1B_T6_T7_T9_mT8_S1D_bDpT10_ENKUlT_T0_E_clISt17integral_constantIbLb0EES1Q_IbLb1EEEEDaS1M_S1N_EUlS1M_E_NS1_11comp_targetILNS1_3genE2ELNS1_11target_archE906ELNS1_3gpuE6ELNS1_3repE0EEENS1_30default_config_static_selectorELNS0_4arch9wavefront6targetE0EEEvSZ_.has_recursion, 0
	.set _ZN7rocprim17ROCPRIM_400000_NS6detail17trampoline_kernelINS0_13select_configILj256ELj13ELNS0_17block_load_methodE3ELS4_3ELS4_3ELNS0_20block_scan_algorithmE0ELj4294967295EEENS1_25partition_config_selectorILNS1_17partition_subalgoE4EjNS0_10empty_typeEbEEZZNS1_14partition_implILS8_4ELb0ES6_15HIP_vector_typeIjLj2EENS0_17counting_iteratorIjlEEPS9_SG_NS0_5tupleIJPjSI_NS0_16reverse_iteratorISI_EEEEENSH_IJSG_SG_SG_EEES9_SI_JZNS1_25segmented_radix_sort_implINS0_14default_configELb0EPKlPlSQ_SR_N2at6native12_GLOBAL__N_18offset_tEEE10hipError_tPvRmT1_PNSt15iterator_traitsISZ_E10value_typeET2_T3_PNS10_IS15_E10value_typeET4_jRbjT5_S1B_jjP12ihipStream_tbEUljE_ZNSN_ISO_Lb0ESQ_SR_SQ_SR_SV_EESW_SX_SY_SZ_S13_S14_S15_S18_S19_jS1A_jS1B_S1B_jjS1D_bEUljE0_EEESW_SX_SY_S15_S19_S1B_T6_T7_T9_mT8_S1D_bDpT10_ENKUlT_T0_E_clISt17integral_constantIbLb0EES1Q_IbLb1EEEEDaS1M_S1N_EUlS1M_E_NS1_11comp_targetILNS1_3genE2ELNS1_11target_archE906ELNS1_3gpuE6ELNS1_3repE0EEENS1_30default_config_static_selectorELNS0_4arch9wavefront6targetE0EEEvSZ_.has_indirect_call, 0
	.section	.AMDGPU.csdata,"",@progbits
; Kernel info:
; codeLenInByte = 0
; TotalNumSgprs: 0
; NumVgprs: 0
; ScratchSize: 0
; MemoryBound: 0
; FloatMode: 240
; IeeeMode: 1
; LDSByteSize: 0 bytes/workgroup (compile time only)
; SGPRBlocks: 0
; VGPRBlocks: 0
; NumSGPRsForWavesPerEU: 1
; NumVGPRsForWavesPerEU: 1
; Occupancy: 16
; WaveLimiterHint : 0
; COMPUTE_PGM_RSRC2:SCRATCH_EN: 0
; COMPUTE_PGM_RSRC2:USER_SGPR: 6
; COMPUTE_PGM_RSRC2:TRAP_HANDLER: 0
; COMPUTE_PGM_RSRC2:TGID_X_EN: 1
; COMPUTE_PGM_RSRC2:TGID_Y_EN: 0
; COMPUTE_PGM_RSRC2:TGID_Z_EN: 0
; COMPUTE_PGM_RSRC2:TIDIG_COMP_CNT: 0
	.section	.text._ZN7rocprim17ROCPRIM_400000_NS6detail17trampoline_kernelINS0_13select_configILj256ELj13ELNS0_17block_load_methodE3ELS4_3ELS4_3ELNS0_20block_scan_algorithmE0ELj4294967295EEENS1_25partition_config_selectorILNS1_17partition_subalgoE4EjNS0_10empty_typeEbEEZZNS1_14partition_implILS8_4ELb0ES6_15HIP_vector_typeIjLj2EENS0_17counting_iteratorIjlEEPS9_SG_NS0_5tupleIJPjSI_NS0_16reverse_iteratorISI_EEEEENSH_IJSG_SG_SG_EEES9_SI_JZNS1_25segmented_radix_sort_implINS0_14default_configELb0EPKlPlSQ_SR_N2at6native12_GLOBAL__N_18offset_tEEE10hipError_tPvRmT1_PNSt15iterator_traitsISZ_E10value_typeET2_T3_PNS10_IS15_E10value_typeET4_jRbjT5_S1B_jjP12ihipStream_tbEUljE_ZNSN_ISO_Lb0ESQ_SR_SQ_SR_SV_EESW_SX_SY_SZ_S13_S14_S15_S18_S19_jS1A_jS1B_S1B_jjS1D_bEUljE0_EEESW_SX_SY_S15_S19_S1B_T6_T7_T9_mT8_S1D_bDpT10_ENKUlT_T0_E_clISt17integral_constantIbLb0EES1Q_IbLb1EEEEDaS1M_S1N_EUlS1M_E_NS1_11comp_targetILNS1_3genE10ELNS1_11target_archE1200ELNS1_3gpuE4ELNS1_3repE0EEENS1_30default_config_static_selectorELNS0_4arch9wavefront6targetE0EEEvSZ_,"axG",@progbits,_ZN7rocprim17ROCPRIM_400000_NS6detail17trampoline_kernelINS0_13select_configILj256ELj13ELNS0_17block_load_methodE3ELS4_3ELS4_3ELNS0_20block_scan_algorithmE0ELj4294967295EEENS1_25partition_config_selectorILNS1_17partition_subalgoE4EjNS0_10empty_typeEbEEZZNS1_14partition_implILS8_4ELb0ES6_15HIP_vector_typeIjLj2EENS0_17counting_iteratorIjlEEPS9_SG_NS0_5tupleIJPjSI_NS0_16reverse_iteratorISI_EEEEENSH_IJSG_SG_SG_EEES9_SI_JZNS1_25segmented_radix_sort_implINS0_14default_configELb0EPKlPlSQ_SR_N2at6native12_GLOBAL__N_18offset_tEEE10hipError_tPvRmT1_PNSt15iterator_traitsISZ_E10value_typeET2_T3_PNS10_IS15_E10value_typeET4_jRbjT5_S1B_jjP12ihipStream_tbEUljE_ZNSN_ISO_Lb0ESQ_SR_SQ_SR_SV_EESW_SX_SY_SZ_S13_S14_S15_S18_S19_jS1A_jS1B_S1B_jjS1D_bEUljE0_EEESW_SX_SY_S15_S19_S1B_T6_T7_T9_mT8_S1D_bDpT10_ENKUlT_T0_E_clISt17integral_constantIbLb0EES1Q_IbLb1EEEEDaS1M_S1N_EUlS1M_E_NS1_11comp_targetILNS1_3genE10ELNS1_11target_archE1200ELNS1_3gpuE4ELNS1_3repE0EEENS1_30default_config_static_selectorELNS0_4arch9wavefront6targetE0EEEvSZ_,comdat
	.globl	_ZN7rocprim17ROCPRIM_400000_NS6detail17trampoline_kernelINS0_13select_configILj256ELj13ELNS0_17block_load_methodE3ELS4_3ELS4_3ELNS0_20block_scan_algorithmE0ELj4294967295EEENS1_25partition_config_selectorILNS1_17partition_subalgoE4EjNS0_10empty_typeEbEEZZNS1_14partition_implILS8_4ELb0ES6_15HIP_vector_typeIjLj2EENS0_17counting_iteratorIjlEEPS9_SG_NS0_5tupleIJPjSI_NS0_16reverse_iteratorISI_EEEEENSH_IJSG_SG_SG_EEES9_SI_JZNS1_25segmented_radix_sort_implINS0_14default_configELb0EPKlPlSQ_SR_N2at6native12_GLOBAL__N_18offset_tEEE10hipError_tPvRmT1_PNSt15iterator_traitsISZ_E10value_typeET2_T3_PNS10_IS15_E10value_typeET4_jRbjT5_S1B_jjP12ihipStream_tbEUljE_ZNSN_ISO_Lb0ESQ_SR_SQ_SR_SV_EESW_SX_SY_SZ_S13_S14_S15_S18_S19_jS1A_jS1B_S1B_jjS1D_bEUljE0_EEESW_SX_SY_S15_S19_S1B_T6_T7_T9_mT8_S1D_bDpT10_ENKUlT_T0_E_clISt17integral_constantIbLb0EES1Q_IbLb1EEEEDaS1M_S1N_EUlS1M_E_NS1_11comp_targetILNS1_3genE10ELNS1_11target_archE1200ELNS1_3gpuE4ELNS1_3repE0EEENS1_30default_config_static_selectorELNS0_4arch9wavefront6targetE0EEEvSZ_ ; -- Begin function _ZN7rocprim17ROCPRIM_400000_NS6detail17trampoline_kernelINS0_13select_configILj256ELj13ELNS0_17block_load_methodE3ELS4_3ELS4_3ELNS0_20block_scan_algorithmE0ELj4294967295EEENS1_25partition_config_selectorILNS1_17partition_subalgoE4EjNS0_10empty_typeEbEEZZNS1_14partition_implILS8_4ELb0ES6_15HIP_vector_typeIjLj2EENS0_17counting_iteratorIjlEEPS9_SG_NS0_5tupleIJPjSI_NS0_16reverse_iteratorISI_EEEEENSH_IJSG_SG_SG_EEES9_SI_JZNS1_25segmented_radix_sort_implINS0_14default_configELb0EPKlPlSQ_SR_N2at6native12_GLOBAL__N_18offset_tEEE10hipError_tPvRmT1_PNSt15iterator_traitsISZ_E10value_typeET2_T3_PNS10_IS15_E10value_typeET4_jRbjT5_S1B_jjP12ihipStream_tbEUljE_ZNSN_ISO_Lb0ESQ_SR_SQ_SR_SV_EESW_SX_SY_SZ_S13_S14_S15_S18_S19_jS1A_jS1B_S1B_jjS1D_bEUljE0_EEESW_SX_SY_S15_S19_S1B_T6_T7_T9_mT8_S1D_bDpT10_ENKUlT_T0_E_clISt17integral_constantIbLb0EES1Q_IbLb1EEEEDaS1M_S1N_EUlS1M_E_NS1_11comp_targetILNS1_3genE10ELNS1_11target_archE1200ELNS1_3gpuE4ELNS1_3repE0EEENS1_30default_config_static_selectorELNS0_4arch9wavefront6targetE0EEEvSZ_
	.p2align	8
	.type	_ZN7rocprim17ROCPRIM_400000_NS6detail17trampoline_kernelINS0_13select_configILj256ELj13ELNS0_17block_load_methodE3ELS4_3ELS4_3ELNS0_20block_scan_algorithmE0ELj4294967295EEENS1_25partition_config_selectorILNS1_17partition_subalgoE4EjNS0_10empty_typeEbEEZZNS1_14partition_implILS8_4ELb0ES6_15HIP_vector_typeIjLj2EENS0_17counting_iteratorIjlEEPS9_SG_NS0_5tupleIJPjSI_NS0_16reverse_iteratorISI_EEEEENSH_IJSG_SG_SG_EEES9_SI_JZNS1_25segmented_radix_sort_implINS0_14default_configELb0EPKlPlSQ_SR_N2at6native12_GLOBAL__N_18offset_tEEE10hipError_tPvRmT1_PNSt15iterator_traitsISZ_E10value_typeET2_T3_PNS10_IS15_E10value_typeET4_jRbjT5_S1B_jjP12ihipStream_tbEUljE_ZNSN_ISO_Lb0ESQ_SR_SQ_SR_SV_EESW_SX_SY_SZ_S13_S14_S15_S18_S19_jS1A_jS1B_S1B_jjS1D_bEUljE0_EEESW_SX_SY_S15_S19_S1B_T6_T7_T9_mT8_S1D_bDpT10_ENKUlT_T0_E_clISt17integral_constantIbLb0EES1Q_IbLb1EEEEDaS1M_S1N_EUlS1M_E_NS1_11comp_targetILNS1_3genE10ELNS1_11target_archE1200ELNS1_3gpuE4ELNS1_3repE0EEENS1_30default_config_static_selectorELNS0_4arch9wavefront6targetE0EEEvSZ_,@function
_ZN7rocprim17ROCPRIM_400000_NS6detail17trampoline_kernelINS0_13select_configILj256ELj13ELNS0_17block_load_methodE3ELS4_3ELS4_3ELNS0_20block_scan_algorithmE0ELj4294967295EEENS1_25partition_config_selectorILNS1_17partition_subalgoE4EjNS0_10empty_typeEbEEZZNS1_14partition_implILS8_4ELb0ES6_15HIP_vector_typeIjLj2EENS0_17counting_iteratorIjlEEPS9_SG_NS0_5tupleIJPjSI_NS0_16reverse_iteratorISI_EEEEENSH_IJSG_SG_SG_EEES9_SI_JZNS1_25segmented_radix_sort_implINS0_14default_configELb0EPKlPlSQ_SR_N2at6native12_GLOBAL__N_18offset_tEEE10hipError_tPvRmT1_PNSt15iterator_traitsISZ_E10value_typeET2_T3_PNS10_IS15_E10value_typeET4_jRbjT5_S1B_jjP12ihipStream_tbEUljE_ZNSN_ISO_Lb0ESQ_SR_SQ_SR_SV_EESW_SX_SY_SZ_S13_S14_S15_S18_S19_jS1A_jS1B_S1B_jjS1D_bEUljE0_EEESW_SX_SY_S15_S19_S1B_T6_T7_T9_mT8_S1D_bDpT10_ENKUlT_T0_E_clISt17integral_constantIbLb0EES1Q_IbLb1EEEEDaS1M_S1N_EUlS1M_E_NS1_11comp_targetILNS1_3genE10ELNS1_11target_archE1200ELNS1_3gpuE4ELNS1_3repE0EEENS1_30default_config_static_selectorELNS0_4arch9wavefront6targetE0EEEvSZ_: ; @_ZN7rocprim17ROCPRIM_400000_NS6detail17trampoline_kernelINS0_13select_configILj256ELj13ELNS0_17block_load_methodE3ELS4_3ELS4_3ELNS0_20block_scan_algorithmE0ELj4294967295EEENS1_25partition_config_selectorILNS1_17partition_subalgoE4EjNS0_10empty_typeEbEEZZNS1_14partition_implILS8_4ELb0ES6_15HIP_vector_typeIjLj2EENS0_17counting_iteratorIjlEEPS9_SG_NS0_5tupleIJPjSI_NS0_16reverse_iteratorISI_EEEEENSH_IJSG_SG_SG_EEES9_SI_JZNS1_25segmented_radix_sort_implINS0_14default_configELb0EPKlPlSQ_SR_N2at6native12_GLOBAL__N_18offset_tEEE10hipError_tPvRmT1_PNSt15iterator_traitsISZ_E10value_typeET2_T3_PNS10_IS15_E10value_typeET4_jRbjT5_S1B_jjP12ihipStream_tbEUljE_ZNSN_ISO_Lb0ESQ_SR_SQ_SR_SV_EESW_SX_SY_SZ_S13_S14_S15_S18_S19_jS1A_jS1B_S1B_jjS1D_bEUljE0_EEESW_SX_SY_S15_S19_S1B_T6_T7_T9_mT8_S1D_bDpT10_ENKUlT_T0_E_clISt17integral_constantIbLb0EES1Q_IbLb1EEEEDaS1M_S1N_EUlS1M_E_NS1_11comp_targetILNS1_3genE10ELNS1_11target_archE1200ELNS1_3gpuE4ELNS1_3repE0EEENS1_30default_config_static_selectorELNS0_4arch9wavefront6targetE0EEEvSZ_
; %bb.0:
	.section	.rodata,"a",@progbits
	.p2align	6, 0x0
	.amdhsa_kernel _ZN7rocprim17ROCPRIM_400000_NS6detail17trampoline_kernelINS0_13select_configILj256ELj13ELNS0_17block_load_methodE3ELS4_3ELS4_3ELNS0_20block_scan_algorithmE0ELj4294967295EEENS1_25partition_config_selectorILNS1_17partition_subalgoE4EjNS0_10empty_typeEbEEZZNS1_14partition_implILS8_4ELb0ES6_15HIP_vector_typeIjLj2EENS0_17counting_iteratorIjlEEPS9_SG_NS0_5tupleIJPjSI_NS0_16reverse_iteratorISI_EEEEENSH_IJSG_SG_SG_EEES9_SI_JZNS1_25segmented_radix_sort_implINS0_14default_configELb0EPKlPlSQ_SR_N2at6native12_GLOBAL__N_18offset_tEEE10hipError_tPvRmT1_PNSt15iterator_traitsISZ_E10value_typeET2_T3_PNS10_IS15_E10value_typeET4_jRbjT5_S1B_jjP12ihipStream_tbEUljE_ZNSN_ISO_Lb0ESQ_SR_SQ_SR_SV_EESW_SX_SY_SZ_S13_S14_S15_S18_S19_jS1A_jS1B_S1B_jjS1D_bEUljE0_EEESW_SX_SY_S15_S19_S1B_T6_T7_T9_mT8_S1D_bDpT10_ENKUlT_T0_E_clISt17integral_constantIbLb0EES1Q_IbLb1EEEEDaS1M_S1N_EUlS1M_E_NS1_11comp_targetILNS1_3genE10ELNS1_11target_archE1200ELNS1_3gpuE4ELNS1_3repE0EEENS1_30default_config_static_selectorELNS0_4arch9wavefront6targetE0EEEvSZ_
		.amdhsa_group_segment_fixed_size 0
		.amdhsa_private_segment_fixed_size 0
		.amdhsa_kernarg_size 184
		.amdhsa_user_sgpr_count 6
		.amdhsa_user_sgpr_private_segment_buffer 1
		.amdhsa_user_sgpr_dispatch_ptr 0
		.amdhsa_user_sgpr_queue_ptr 0
		.amdhsa_user_sgpr_kernarg_segment_ptr 1
		.amdhsa_user_sgpr_dispatch_id 0
		.amdhsa_user_sgpr_flat_scratch_init 0
		.amdhsa_user_sgpr_private_segment_size 0
		.amdhsa_wavefront_size32 1
		.amdhsa_uses_dynamic_stack 0
		.amdhsa_system_sgpr_private_segment_wavefront_offset 0
		.amdhsa_system_sgpr_workgroup_id_x 1
		.amdhsa_system_sgpr_workgroup_id_y 0
		.amdhsa_system_sgpr_workgroup_id_z 0
		.amdhsa_system_sgpr_workgroup_info 0
		.amdhsa_system_vgpr_workitem_id 0
		.amdhsa_next_free_vgpr 1
		.amdhsa_next_free_sgpr 1
		.amdhsa_reserve_vcc 0
		.amdhsa_reserve_flat_scratch 0
		.amdhsa_float_round_mode_32 0
		.amdhsa_float_round_mode_16_64 0
		.amdhsa_float_denorm_mode_32 3
		.amdhsa_float_denorm_mode_16_64 3
		.amdhsa_dx10_clamp 1
		.amdhsa_ieee_mode 1
		.amdhsa_fp16_overflow 0
		.amdhsa_workgroup_processor_mode 1
		.amdhsa_memory_ordered 1
		.amdhsa_forward_progress 1
		.amdhsa_shared_vgpr_count 0
		.amdhsa_exception_fp_ieee_invalid_op 0
		.amdhsa_exception_fp_denorm_src 0
		.amdhsa_exception_fp_ieee_div_zero 0
		.amdhsa_exception_fp_ieee_overflow 0
		.amdhsa_exception_fp_ieee_underflow 0
		.amdhsa_exception_fp_ieee_inexact 0
		.amdhsa_exception_int_div_zero 0
	.end_amdhsa_kernel
	.section	.text._ZN7rocprim17ROCPRIM_400000_NS6detail17trampoline_kernelINS0_13select_configILj256ELj13ELNS0_17block_load_methodE3ELS4_3ELS4_3ELNS0_20block_scan_algorithmE0ELj4294967295EEENS1_25partition_config_selectorILNS1_17partition_subalgoE4EjNS0_10empty_typeEbEEZZNS1_14partition_implILS8_4ELb0ES6_15HIP_vector_typeIjLj2EENS0_17counting_iteratorIjlEEPS9_SG_NS0_5tupleIJPjSI_NS0_16reverse_iteratorISI_EEEEENSH_IJSG_SG_SG_EEES9_SI_JZNS1_25segmented_radix_sort_implINS0_14default_configELb0EPKlPlSQ_SR_N2at6native12_GLOBAL__N_18offset_tEEE10hipError_tPvRmT1_PNSt15iterator_traitsISZ_E10value_typeET2_T3_PNS10_IS15_E10value_typeET4_jRbjT5_S1B_jjP12ihipStream_tbEUljE_ZNSN_ISO_Lb0ESQ_SR_SQ_SR_SV_EESW_SX_SY_SZ_S13_S14_S15_S18_S19_jS1A_jS1B_S1B_jjS1D_bEUljE0_EEESW_SX_SY_S15_S19_S1B_T6_T7_T9_mT8_S1D_bDpT10_ENKUlT_T0_E_clISt17integral_constantIbLb0EES1Q_IbLb1EEEEDaS1M_S1N_EUlS1M_E_NS1_11comp_targetILNS1_3genE10ELNS1_11target_archE1200ELNS1_3gpuE4ELNS1_3repE0EEENS1_30default_config_static_selectorELNS0_4arch9wavefront6targetE0EEEvSZ_,"axG",@progbits,_ZN7rocprim17ROCPRIM_400000_NS6detail17trampoline_kernelINS0_13select_configILj256ELj13ELNS0_17block_load_methodE3ELS4_3ELS4_3ELNS0_20block_scan_algorithmE0ELj4294967295EEENS1_25partition_config_selectorILNS1_17partition_subalgoE4EjNS0_10empty_typeEbEEZZNS1_14partition_implILS8_4ELb0ES6_15HIP_vector_typeIjLj2EENS0_17counting_iteratorIjlEEPS9_SG_NS0_5tupleIJPjSI_NS0_16reverse_iteratorISI_EEEEENSH_IJSG_SG_SG_EEES9_SI_JZNS1_25segmented_radix_sort_implINS0_14default_configELb0EPKlPlSQ_SR_N2at6native12_GLOBAL__N_18offset_tEEE10hipError_tPvRmT1_PNSt15iterator_traitsISZ_E10value_typeET2_T3_PNS10_IS15_E10value_typeET4_jRbjT5_S1B_jjP12ihipStream_tbEUljE_ZNSN_ISO_Lb0ESQ_SR_SQ_SR_SV_EESW_SX_SY_SZ_S13_S14_S15_S18_S19_jS1A_jS1B_S1B_jjS1D_bEUljE0_EEESW_SX_SY_S15_S19_S1B_T6_T7_T9_mT8_S1D_bDpT10_ENKUlT_T0_E_clISt17integral_constantIbLb0EES1Q_IbLb1EEEEDaS1M_S1N_EUlS1M_E_NS1_11comp_targetILNS1_3genE10ELNS1_11target_archE1200ELNS1_3gpuE4ELNS1_3repE0EEENS1_30default_config_static_selectorELNS0_4arch9wavefront6targetE0EEEvSZ_,comdat
.Lfunc_end766:
	.size	_ZN7rocprim17ROCPRIM_400000_NS6detail17trampoline_kernelINS0_13select_configILj256ELj13ELNS0_17block_load_methodE3ELS4_3ELS4_3ELNS0_20block_scan_algorithmE0ELj4294967295EEENS1_25partition_config_selectorILNS1_17partition_subalgoE4EjNS0_10empty_typeEbEEZZNS1_14partition_implILS8_4ELb0ES6_15HIP_vector_typeIjLj2EENS0_17counting_iteratorIjlEEPS9_SG_NS0_5tupleIJPjSI_NS0_16reverse_iteratorISI_EEEEENSH_IJSG_SG_SG_EEES9_SI_JZNS1_25segmented_radix_sort_implINS0_14default_configELb0EPKlPlSQ_SR_N2at6native12_GLOBAL__N_18offset_tEEE10hipError_tPvRmT1_PNSt15iterator_traitsISZ_E10value_typeET2_T3_PNS10_IS15_E10value_typeET4_jRbjT5_S1B_jjP12ihipStream_tbEUljE_ZNSN_ISO_Lb0ESQ_SR_SQ_SR_SV_EESW_SX_SY_SZ_S13_S14_S15_S18_S19_jS1A_jS1B_S1B_jjS1D_bEUljE0_EEESW_SX_SY_S15_S19_S1B_T6_T7_T9_mT8_S1D_bDpT10_ENKUlT_T0_E_clISt17integral_constantIbLb0EES1Q_IbLb1EEEEDaS1M_S1N_EUlS1M_E_NS1_11comp_targetILNS1_3genE10ELNS1_11target_archE1200ELNS1_3gpuE4ELNS1_3repE0EEENS1_30default_config_static_selectorELNS0_4arch9wavefront6targetE0EEEvSZ_, .Lfunc_end766-_ZN7rocprim17ROCPRIM_400000_NS6detail17trampoline_kernelINS0_13select_configILj256ELj13ELNS0_17block_load_methodE3ELS4_3ELS4_3ELNS0_20block_scan_algorithmE0ELj4294967295EEENS1_25partition_config_selectorILNS1_17partition_subalgoE4EjNS0_10empty_typeEbEEZZNS1_14partition_implILS8_4ELb0ES6_15HIP_vector_typeIjLj2EENS0_17counting_iteratorIjlEEPS9_SG_NS0_5tupleIJPjSI_NS0_16reverse_iteratorISI_EEEEENSH_IJSG_SG_SG_EEES9_SI_JZNS1_25segmented_radix_sort_implINS0_14default_configELb0EPKlPlSQ_SR_N2at6native12_GLOBAL__N_18offset_tEEE10hipError_tPvRmT1_PNSt15iterator_traitsISZ_E10value_typeET2_T3_PNS10_IS15_E10value_typeET4_jRbjT5_S1B_jjP12ihipStream_tbEUljE_ZNSN_ISO_Lb0ESQ_SR_SQ_SR_SV_EESW_SX_SY_SZ_S13_S14_S15_S18_S19_jS1A_jS1B_S1B_jjS1D_bEUljE0_EEESW_SX_SY_S15_S19_S1B_T6_T7_T9_mT8_S1D_bDpT10_ENKUlT_T0_E_clISt17integral_constantIbLb0EES1Q_IbLb1EEEEDaS1M_S1N_EUlS1M_E_NS1_11comp_targetILNS1_3genE10ELNS1_11target_archE1200ELNS1_3gpuE4ELNS1_3repE0EEENS1_30default_config_static_selectorELNS0_4arch9wavefront6targetE0EEEvSZ_
                                        ; -- End function
	.set _ZN7rocprim17ROCPRIM_400000_NS6detail17trampoline_kernelINS0_13select_configILj256ELj13ELNS0_17block_load_methodE3ELS4_3ELS4_3ELNS0_20block_scan_algorithmE0ELj4294967295EEENS1_25partition_config_selectorILNS1_17partition_subalgoE4EjNS0_10empty_typeEbEEZZNS1_14partition_implILS8_4ELb0ES6_15HIP_vector_typeIjLj2EENS0_17counting_iteratorIjlEEPS9_SG_NS0_5tupleIJPjSI_NS0_16reverse_iteratorISI_EEEEENSH_IJSG_SG_SG_EEES9_SI_JZNS1_25segmented_radix_sort_implINS0_14default_configELb0EPKlPlSQ_SR_N2at6native12_GLOBAL__N_18offset_tEEE10hipError_tPvRmT1_PNSt15iterator_traitsISZ_E10value_typeET2_T3_PNS10_IS15_E10value_typeET4_jRbjT5_S1B_jjP12ihipStream_tbEUljE_ZNSN_ISO_Lb0ESQ_SR_SQ_SR_SV_EESW_SX_SY_SZ_S13_S14_S15_S18_S19_jS1A_jS1B_S1B_jjS1D_bEUljE0_EEESW_SX_SY_S15_S19_S1B_T6_T7_T9_mT8_S1D_bDpT10_ENKUlT_T0_E_clISt17integral_constantIbLb0EES1Q_IbLb1EEEEDaS1M_S1N_EUlS1M_E_NS1_11comp_targetILNS1_3genE10ELNS1_11target_archE1200ELNS1_3gpuE4ELNS1_3repE0EEENS1_30default_config_static_selectorELNS0_4arch9wavefront6targetE0EEEvSZ_.num_vgpr, 0
	.set _ZN7rocprim17ROCPRIM_400000_NS6detail17trampoline_kernelINS0_13select_configILj256ELj13ELNS0_17block_load_methodE3ELS4_3ELS4_3ELNS0_20block_scan_algorithmE0ELj4294967295EEENS1_25partition_config_selectorILNS1_17partition_subalgoE4EjNS0_10empty_typeEbEEZZNS1_14partition_implILS8_4ELb0ES6_15HIP_vector_typeIjLj2EENS0_17counting_iteratorIjlEEPS9_SG_NS0_5tupleIJPjSI_NS0_16reverse_iteratorISI_EEEEENSH_IJSG_SG_SG_EEES9_SI_JZNS1_25segmented_radix_sort_implINS0_14default_configELb0EPKlPlSQ_SR_N2at6native12_GLOBAL__N_18offset_tEEE10hipError_tPvRmT1_PNSt15iterator_traitsISZ_E10value_typeET2_T3_PNS10_IS15_E10value_typeET4_jRbjT5_S1B_jjP12ihipStream_tbEUljE_ZNSN_ISO_Lb0ESQ_SR_SQ_SR_SV_EESW_SX_SY_SZ_S13_S14_S15_S18_S19_jS1A_jS1B_S1B_jjS1D_bEUljE0_EEESW_SX_SY_S15_S19_S1B_T6_T7_T9_mT8_S1D_bDpT10_ENKUlT_T0_E_clISt17integral_constantIbLb0EES1Q_IbLb1EEEEDaS1M_S1N_EUlS1M_E_NS1_11comp_targetILNS1_3genE10ELNS1_11target_archE1200ELNS1_3gpuE4ELNS1_3repE0EEENS1_30default_config_static_selectorELNS0_4arch9wavefront6targetE0EEEvSZ_.num_agpr, 0
	.set _ZN7rocprim17ROCPRIM_400000_NS6detail17trampoline_kernelINS0_13select_configILj256ELj13ELNS0_17block_load_methodE3ELS4_3ELS4_3ELNS0_20block_scan_algorithmE0ELj4294967295EEENS1_25partition_config_selectorILNS1_17partition_subalgoE4EjNS0_10empty_typeEbEEZZNS1_14partition_implILS8_4ELb0ES6_15HIP_vector_typeIjLj2EENS0_17counting_iteratorIjlEEPS9_SG_NS0_5tupleIJPjSI_NS0_16reverse_iteratorISI_EEEEENSH_IJSG_SG_SG_EEES9_SI_JZNS1_25segmented_radix_sort_implINS0_14default_configELb0EPKlPlSQ_SR_N2at6native12_GLOBAL__N_18offset_tEEE10hipError_tPvRmT1_PNSt15iterator_traitsISZ_E10value_typeET2_T3_PNS10_IS15_E10value_typeET4_jRbjT5_S1B_jjP12ihipStream_tbEUljE_ZNSN_ISO_Lb0ESQ_SR_SQ_SR_SV_EESW_SX_SY_SZ_S13_S14_S15_S18_S19_jS1A_jS1B_S1B_jjS1D_bEUljE0_EEESW_SX_SY_S15_S19_S1B_T6_T7_T9_mT8_S1D_bDpT10_ENKUlT_T0_E_clISt17integral_constantIbLb0EES1Q_IbLb1EEEEDaS1M_S1N_EUlS1M_E_NS1_11comp_targetILNS1_3genE10ELNS1_11target_archE1200ELNS1_3gpuE4ELNS1_3repE0EEENS1_30default_config_static_selectorELNS0_4arch9wavefront6targetE0EEEvSZ_.numbered_sgpr, 0
	.set _ZN7rocprim17ROCPRIM_400000_NS6detail17trampoline_kernelINS0_13select_configILj256ELj13ELNS0_17block_load_methodE3ELS4_3ELS4_3ELNS0_20block_scan_algorithmE0ELj4294967295EEENS1_25partition_config_selectorILNS1_17partition_subalgoE4EjNS0_10empty_typeEbEEZZNS1_14partition_implILS8_4ELb0ES6_15HIP_vector_typeIjLj2EENS0_17counting_iteratorIjlEEPS9_SG_NS0_5tupleIJPjSI_NS0_16reverse_iteratorISI_EEEEENSH_IJSG_SG_SG_EEES9_SI_JZNS1_25segmented_radix_sort_implINS0_14default_configELb0EPKlPlSQ_SR_N2at6native12_GLOBAL__N_18offset_tEEE10hipError_tPvRmT1_PNSt15iterator_traitsISZ_E10value_typeET2_T3_PNS10_IS15_E10value_typeET4_jRbjT5_S1B_jjP12ihipStream_tbEUljE_ZNSN_ISO_Lb0ESQ_SR_SQ_SR_SV_EESW_SX_SY_SZ_S13_S14_S15_S18_S19_jS1A_jS1B_S1B_jjS1D_bEUljE0_EEESW_SX_SY_S15_S19_S1B_T6_T7_T9_mT8_S1D_bDpT10_ENKUlT_T0_E_clISt17integral_constantIbLb0EES1Q_IbLb1EEEEDaS1M_S1N_EUlS1M_E_NS1_11comp_targetILNS1_3genE10ELNS1_11target_archE1200ELNS1_3gpuE4ELNS1_3repE0EEENS1_30default_config_static_selectorELNS0_4arch9wavefront6targetE0EEEvSZ_.num_named_barrier, 0
	.set _ZN7rocprim17ROCPRIM_400000_NS6detail17trampoline_kernelINS0_13select_configILj256ELj13ELNS0_17block_load_methodE3ELS4_3ELS4_3ELNS0_20block_scan_algorithmE0ELj4294967295EEENS1_25partition_config_selectorILNS1_17partition_subalgoE4EjNS0_10empty_typeEbEEZZNS1_14partition_implILS8_4ELb0ES6_15HIP_vector_typeIjLj2EENS0_17counting_iteratorIjlEEPS9_SG_NS0_5tupleIJPjSI_NS0_16reverse_iteratorISI_EEEEENSH_IJSG_SG_SG_EEES9_SI_JZNS1_25segmented_radix_sort_implINS0_14default_configELb0EPKlPlSQ_SR_N2at6native12_GLOBAL__N_18offset_tEEE10hipError_tPvRmT1_PNSt15iterator_traitsISZ_E10value_typeET2_T3_PNS10_IS15_E10value_typeET4_jRbjT5_S1B_jjP12ihipStream_tbEUljE_ZNSN_ISO_Lb0ESQ_SR_SQ_SR_SV_EESW_SX_SY_SZ_S13_S14_S15_S18_S19_jS1A_jS1B_S1B_jjS1D_bEUljE0_EEESW_SX_SY_S15_S19_S1B_T6_T7_T9_mT8_S1D_bDpT10_ENKUlT_T0_E_clISt17integral_constantIbLb0EES1Q_IbLb1EEEEDaS1M_S1N_EUlS1M_E_NS1_11comp_targetILNS1_3genE10ELNS1_11target_archE1200ELNS1_3gpuE4ELNS1_3repE0EEENS1_30default_config_static_selectorELNS0_4arch9wavefront6targetE0EEEvSZ_.private_seg_size, 0
	.set _ZN7rocprim17ROCPRIM_400000_NS6detail17trampoline_kernelINS0_13select_configILj256ELj13ELNS0_17block_load_methodE3ELS4_3ELS4_3ELNS0_20block_scan_algorithmE0ELj4294967295EEENS1_25partition_config_selectorILNS1_17partition_subalgoE4EjNS0_10empty_typeEbEEZZNS1_14partition_implILS8_4ELb0ES6_15HIP_vector_typeIjLj2EENS0_17counting_iteratorIjlEEPS9_SG_NS0_5tupleIJPjSI_NS0_16reverse_iteratorISI_EEEEENSH_IJSG_SG_SG_EEES9_SI_JZNS1_25segmented_radix_sort_implINS0_14default_configELb0EPKlPlSQ_SR_N2at6native12_GLOBAL__N_18offset_tEEE10hipError_tPvRmT1_PNSt15iterator_traitsISZ_E10value_typeET2_T3_PNS10_IS15_E10value_typeET4_jRbjT5_S1B_jjP12ihipStream_tbEUljE_ZNSN_ISO_Lb0ESQ_SR_SQ_SR_SV_EESW_SX_SY_SZ_S13_S14_S15_S18_S19_jS1A_jS1B_S1B_jjS1D_bEUljE0_EEESW_SX_SY_S15_S19_S1B_T6_T7_T9_mT8_S1D_bDpT10_ENKUlT_T0_E_clISt17integral_constantIbLb0EES1Q_IbLb1EEEEDaS1M_S1N_EUlS1M_E_NS1_11comp_targetILNS1_3genE10ELNS1_11target_archE1200ELNS1_3gpuE4ELNS1_3repE0EEENS1_30default_config_static_selectorELNS0_4arch9wavefront6targetE0EEEvSZ_.uses_vcc, 0
	.set _ZN7rocprim17ROCPRIM_400000_NS6detail17trampoline_kernelINS0_13select_configILj256ELj13ELNS0_17block_load_methodE3ELS4_3ELS4_3ELNS0_20block_scan_algorithmE0ELj4294967295EEENS1_25partition_config_selectorILNS1_17partition_subalgoE4EjNS0_10empty_typeEbEEZZNS1_14partition_implILS8_4ELb0ES6_15HIP_vector_typeIjLj2EENS0_17counting_iteratorIjlEEPS9_SG_NS0_5tupleIJPjSI_NS0_16reverse_iteratorISI_EEEEENSH_IJSG_SG_SG_EEES9_SI_JZNS1_25segmented_radix_sort_implINS0_14default_configELb0EPKlPlSQ_SR_N2at6native12_GLOBAL__N_18offset_tEEE10hipError_tPvRmT1_PNSt15iterator_traitsISZ_E10value_typeET2_T3_PNS10_IS15_E10value_typeET4_jRbjT5_S1B_jjP12ihipStream_tbEUljE_ZNSN_ISO_Lb0ESQ_SR_SQ_SR_SV_EESW_SX_SY_SZ_S13_S14_S15_S18_S19_jS1A_jS1B_S1B_jjS1D_bEUljE0_EEESW_SX_SY_S15_S19_S1B_T6_T7_T9_mT8_S1D_bDpT10_ENKUlT_T0_E_clISt17integral_constantIbLb0EES1Q_IbLb1EEEEDaS1M_S1N_EUlS1M_E_NS1_11comp_targetILNS1_3genE10ELNS1_11target_archE1200ELNS1_3gpuE4ELNS1_3repE0EEENS1_30default_config_static_selectorELNS0_4arch9wavefront6targetE0EEEvSZ_.uses_flat_scratch, 0
	.set _ZN7rocprim17ROCPRIM_400000_NS6detail17trampoline_kernelINS0_13select_configILj256ELj13ELNS0_17block_load_methodE3ELS4_3ELS4_3ELNS0_20block_scan_algorithmE0ELj4294967295EEENS1_25partition_config_selectorILNS1_17partition_subalgoE4EjNS0_10empty_typeEbEEZZNS1_14partition_implILS8_4ELb0ES6_15HIP_vector_typeIjLj2EENS0_17counting_iteratorIjlEEPS9_SG_NS0_5tupleIJPjSI_NS0_16reverse_iteratorISI_EEEEENSH_IJSG_SG_SG_EEES9_SI_JZNS1_25segmented_radix_sort_implINS0_14default_configELb0EPKlPlSQ_SR_N2at6native12_GLOBAL__N_18offset_tEEE10hipError_tPvRmT1_PNSt15iterator_traitsISZ_E10value_typeET2_T3_PNS10_IS15_E10value_typeET4_jRbjT5_S1B_jjP12ihipStream_tbEUljE_ZNSN_ISO_Lb0ESQ_SR_SQ_SR_SV_EESW_SX_SY_SZ_S13_S14_S15_S18_S19_jS1A_jS1B_S1B_jjS1D_bEUljE0_EEESW_SX_SY_S15_S19_S1B_T6_T7_T9_mT8_S1D_bDpT10_ENKUlT_T0_E_clISt17integral_constantIbLb0EES1Q_IbLb1EEEEDaS1M_S1N_EUlS1M_E_NS1_11comp_targetILNS1_3genE10ELNS1_11target_archE1200ELNS1_3gpuE4ELNS1_3repE0EEENS1_30default_config_static_selectorELNS0_4arch9wavefront6targetE0EEEvSZ_.has_dyn_sized_stack, 0
	.set _ZN7rocprim17ROCPRIM_400000_NS6detail17trampoline_kernelINS0_13select_configILj256ELj13ELNS0_17block_load_methodE3ELS4_3ELS4_3ELNS0_20block_scan_algorithmE0ELj4294967295EEENS1_25partition_config_selectorILNS1_17partition_subalgoE4EjNS0_10empty_typeEbEEZZNS1_14partition_implILS8_4ELb0ES6_15HIP_vector_typeIjLj2EENS0_17counting_iteratorIjlEEPS9_SG_NS0_5tupleIJPjSI_NS0_16reverse_iteratorISI_EEEEENSH_IJSG_SG_SG_EEES9_SI_JZNS1_25segmented_radix_sort_implINS0_14default_configELb0EPKlPlSQ_SR_N2at6native12_GLOBAL__N_18offset_tEEE10hipError_tPvRmT1_PNSt15iterator_traitsISZ_E10value_typeET2_T3_PNS10_IS15_E10value_typeET4_jRbjT5_S1B_jjP12ihipStream_tbEUljE_ZNSN_ISO_Lb0ESQ_SR_SQ_SR_SV_EESW_SX_SY_SZ_S13_S14_S15_S18_S19_jS1A_jS1B_S1B_jjS1D_bEUljE0_EEESW_SX_SY_S15_S19_S1B_T6_T7_T9_mT8_S1D_bDpT10_ENKUlT_T0_E_clISt17integral_constantIbLb0EES1Q_IbLb1EEEEDaS1M_S1N_EUlS1M_E_NS1_11comp_targetILNS1_3genE10ELNS1_11target_archE1200ELNS1_3gpuE4ELNS1_3repE0EEENS1_30default_config_static_selectorELNS0_4arch9wavefront6targetE0EEEvSZ_.has_recursion, 0
	.set _ZN7rocprim17ROCPRIM_400000_NS6detail17trampoline_kernelINS0_13select_configILj256ELj13ELNS0_17block_load_methodE3ELS4_3ELS4_3ELNS0_20block_scan_algorithmE0ELj4294967295EEENS1_25partition_config_selectorILNS1_17partition_subalgoE4EjNS0_10empty_typeEbEEZZNS1_14partition_implILS8_4ELb0ES6_15HIP_vector_typeIjLj2EENS0_17counting_iteratorIjlEEPS9_SG_NS0_5tupleIJPjSI_NS0_16reverse_iteratorISI_EEEEENSH_IJSG_SG_SG_EEES9_SI_JZNS1_25segmented_radix_sort_implINS0_14default_configELb0EPKlPlSQ_SR_N2at6native12_GLOBAL__N_18offset_tEEE10hipError_tPvRmT1_PNSt15iterator_traitsISZ_E10value_typeET2_T3_PNS10_IS15_E10value_typeET4_jRbjT5_S1B_jjP12ihipStream_tbEUljE_ZNSN_ISO_Lb0ESQ_SR_SQ_SR_SV_EESW_SX_SY_SZ_S13_S14_S15_S18_S19_jS1A_jS1B_S1B_jjS1D_bEUljE0_EEESW_SX_SY_S15_S19_S1B_T6_T7_T9_mT8_S1D_bDpT10_ENKUlT_T0_E_clISt17integral_constantIbLb0EES1Q_IbLb1EEEEDaS1M_S1N_EUlS1M_E_NS1_11comp_targetILNS1_3genE10ELNS1_11target_archE1200ELNS1_3gpuE4ELNS1_3repE0EEENS1_30default_config_static_selectorELNS0_4arch9wavefront6targetE0EEEvSZ_.has_indirect_call, 0
	.section	.AMDGPU.csdata,"",@progbits
; Kernel info:
; codeLenInByte = 0
; TotalNumSgprs: 0
; NumVgprs: 0
; ScratchSize: 0
; MemoryBound: 0
; FloatMode: 240
; IeeeMode: 1
; LDSByteSize: 0 bytes/workgroup (compile time only)
; SGPRBlocks: 0
; VGPRBlocks: 0
; NumSGPRsForWavesPerEU: 1
; NumVGPRsForWavesPerEU: 1
; Occupancy: 16
; WaveLimiterHint : 0
; COMPUTE_PGM_RSRC2:SCRATCH_EN: 0
; COMPUTE_PGM_RSRC2:USER_SGPR: 6
; COMPUTE_PGM_RSRC2:TRAP_HANDLER: 0
; COMPUTE_PGM_RSRC2:TGID_X_EN: 1
; COMPUTE_PGM_RSRC2:TGID_Y_EN: 0
; COMPUTE_PGM_RSRC2:TGID_Z_EN: 0
; COMPUTE_PGM_RSRC2:TIDIG_COMP_CNT: 0
	.section	.text._ZN7rocprim17ROCPRIM_400000_NS6detail17trampoline_kernelINS0_13select_configILj256ELj13ELNS0_17block_load_methodE3ELS4_3ELS4_3ELNS0_20block_scan_algorithmE0ELj4294967295EEENS1_25partition_config_selectorILNS1_17partition_subalgoE4EjNS0_10empty_typeEbEEZZNS1_14partition_implILS8_4ELb0ES6_15HIP_vector_typeIjLj2EENS0_17counting_iteratorIjlEEPS9_SG_NS0_5tupleIJPjSI_NS0_16reverse_iteratorISI_EEEEENSH_IJSG_SG_SG_EEES9_SI_JZNS1_25segmented_radix_sort_implINS0_14default_configELb0EPKlPlSQ_SR_N2at6native12_GLOBAL__N_18offset_tEEE10hipError_tPvRmT1_PNSt15iterator_traitsISZ_E10value_typeET2_T3_PNS10_IS15_E10value_typeET4_jRbjT5_S1B_jjP12ihipStream_tbEUljE_ZNSN_ISO_Lb0ESQ_SR_SQ_SR_SV_EESW_SX_SY_SZ_S13_S14_S15_S18_S19_jS1A_jS1B_S1B_jjS1D_bEUljE0_EEESW_SX_SY_S15_S19_S1B_T6_T7_T9_mT8_S1D_bDpT10_ENKUlT_T0_E_clISt17integral_constantIbLb0EES1Q_IbLb1EEEEDaS1M_S1N_EUlS1M_E_NS1_11comp_targetILNS1_3genE9ELNS1_11target_archE1100ELNS1_3gpuE3ELNS1_3repE0EEENS1_30default_config_static_selectorELNS0_4arch9wavefront6targetE0EEEvSZ_,"axG",@progbits,_ZN7rocprim17ROCPRIM_400000_NS6detail17trampoline_kernelINS0_13select_configILj256ELj13ELNS0_17block_load_methodE3ELS4_3ELS4_3ELNS0_20block_scan_algorithmE0ELj4294967295EEENS1_25partition_config_selectorILNS1_17partition_subalgoE4EjNS0_10empty_typeEbEEZZNS1_14partition_implILS8_4ELb0ES6_15HIP_vector_typeIjLj2EENS0_17counting_iteratorIjlEEPS9_SG_NS0_5tupleIJPjSI_NS0_16reverse_iteratorISI_EEEEENSH_IJSG_SG_SG_EEES9_SI_JZNS1_25segmented_radix_sort_implINS0_14default_configELb0EPKlPlSQ_SR_N2at6native12_GLOBAL__N_18offset_tEEE10hipError_tPvRmT1_PNSt15iterator_traitsISZ_E10value_typeET2_T3_PNS10_IS15_E10value_typeET4_jRbjT5_S1B_jjP12ihipStream_tbEUljE_ZNSN_ISO_Lb0ESQ_SR_SQ_SR_SV_EESW_SX_SY_SZ_S13_S14_S15_S18_S19_jS1A_jS1B_S1B_jjS1D_bEUljE0_EEESW_SX_SY_S15_S19_S1B_T6_T7_T9_mT8_S1D_bDpT10_ENKUlT_T0_E_clISt17integral_constantIbLb0EES1Q_IbLb1EEEEDaS1M_S1N_EUlS1M_E_NS1_11comp_targetILNS1_3genE9ELNS1_11target_archE1100ELNS1_3gpuE3ELNS1_3repE0EEENS1_30default_config_static_selectorELNS0_4arch9wavefront6targetE0EEEvSZ_,comdat
	.globl	_ZN7rocprim17ROCPRIM_400000_NS6detail17trampoline_kernelINS0_13select_configILj256ELj13ELNS0_17block_load_methodE3ELS4_3ELS4_3ELNS0_20block_scan_algorithmE0ELj4294967295EEENS1_25partition_config_selectorILNS1_17partition_subalgoE4EjNS0_10empty_typeEbEEZZNS1_14partition_implILS8_4ELb0ES6_15HIP_vector_typeIjLj2EENS0_17counting_iteratorIjlEEPS9_SG_NS0_5tupleIJPjSI_NS0_16reverse_iteratorISI_EEEEENSH_IJSG_SG_SG_EEES9_SI_JZNS1_25segmented_radix_sort_implINS0_14default_configELb0EPKlPlSQ_SR_N2at6native12_GLOBAL__N_18offset_tEEE10hipError_tPvRmT1_PNSt15iterator_traitsISZ_E10value_typeET2_T3_PNS10_IS15_E10value_typeET4_jRbjT5_S1B_jjP12ihipStream_tbEUljE_ZNSN_ISO_Lb0ESQ_SR_SQ_SR_SV_EESW_SX_SY_SZ_S13_S14_S15_S18_S19_jS1A_jS1B_S1B_jjS1D_bEUljE0_EEESW_SX_SY_S15_S19_S1B_T6_T7_T9_mT8_S1D_bDpT10_ENKUlT_T0_E_clISt17integral_constantIbLb0EES1Q_IbLb1EEEEDaS1M_S1N_EUlS1M_E_NS1_11comp_targetILNS1_3genE9ELNS1_11target_archE1100ELNS1_3gpuE3ELNS1_3repE0EEENS1_30default_config_static_selectorELNS0_4arch9wavefront6targetE0EEEvSZ_ ; -- Begin function _ZN7rocprim17ROCPRIM_400000_NS6detail17trampoline_kernelINS0_13select_configILj256ELj13ELNS0_17block_load_methodE3ELS4_3ELS4_3ELNS0_20block_scan_algorithmE0ELj4294967295EEENS1_25partition_config_selectorILNS1_17partition_subalgoE4EjNS0_10empty_typeEbEEZZNS1_14partition_implILS8_4ELb0ES6_15HIP_vector_typeIjLj2EENS0_17counting_iteratorIjlEEPS9_SG_NS0_5tupleIJPjSI_NS0_16reverse_iteratorISI_EEEEENSH_IJSG_SG_SG_EEES9_SI_JZNS1_25segmented_radix_sort_implINS0_14default_configELb0EPKlPlSQ_SR_N2at6native12_GLOBAL__N_18offset_tEEE10hipError_tPvRmT1_PNSt15iterator_traitsISZ_E10value_typeET2_T3_PNS10_IS15_E10value_typeET4_jRbjT5_S1B_jjP12ihipStream_tbEUljE_ZNSN_ISO_Lb0ESQ_SR_SQ_SR_SV_EESW_SX_SY_SZ_S13_S14_S15_S18_S19_jS1A_jS1B_S1B_jjS1D_bEUljE0_EEESW_SX_SY_S15_S19_S1B_T6_T7_T9_mT8_S1D_bDpT10_ENKUlT_T0_E_clISt17integral_constantIbLb0EES1Q_IbLb1EEEEDaS1M_S1N_EUlS1M_E_NS1_11comp_targetILNS1_3genE9ELNS1_11target_archE1100ELNS1_3gpuE3ELNS1_3repE0EEENS1_30default_config_static_selectorELNS0_4arch9wavefront6targetE0EEEvSZ_
	.p2align	8
	.type	_ZN7rocprim17ROCPRIM_400000_NS6detail17trampoline_kernelINS0_13select_configILj256ELj13ELNS0_17block_load_methodE3ELS4_3ELS4_3ELNS0_20block_scan_algorithmE0ELj4294967295EEENS1_25partition_config_selectorILNS1_17partition_subalgoE4EjNS0_10empty_typeEbEEZZNS1_14partition_implILS8_4ELb0ES6_15HIP_vector_typeIjLj2EENS0_17counting_iteratorIjlEEPS9_SG_NS0_5tupleIJPjSI_NS0_16reverse_iteratorISI_EEEEENSH_IJSG_SG_SG_EEES9_SI_JZNS1_25segmented_radix_sort_implINS0_14default_configELb0EPKlPlSQ_SR_N2at6native12_GLOBAL__N_18offset_tEEE10hipError_tPvRmT1_PNSt15iterator_traitsISZ_E10value_typeET2_T3_PNS10_IS15_E10value_typeET4_jRbjT5_S1B_jjP12ihipStream_tbEUljE_ZNSN_ISO_Lb0ESQ_SR_SQ_SR_SV_EESW_SX_SY_SZ_S13_S14_S15_S18_S19_jS1A_jS1B_S1B_jjS1D_bEUljE0_EEESW_SX_SY_S15_S19_S1B_T6_T7_T9_mT8_S1D_bDpT10_ENKUlT_T0_E_clISt17integral_constantIbLb0EES1Q_IbLb1EEEEDaS1M_S1N_EUlS1M_E_NS1_11comp_targetILNS1_3genE9ELNS1_11target_archE1100ELNS1_3gpuE3ELNS1_3repE0EEENS1_30default_config_static_selectorELNS0_4arch9wavefront6targetE0EEEvSZ_,@function
_ZN7rocprim17ROCPRIM_400000_NS6detail17trampoline_kernelINS0_13select_configILj256ELj13ELNS0_17block_load_methodE3ELS4_3ELS4_3ELNS0_20block_scan_algorithmE0ELj4294967295EEENS1_25partition_config_selectorILNS1_17partition_subalgoE4EjNS0_10empty_typeEbEEZZNS1_14partition_implILS8_4ELb0ES6_15HIP_vector_typeIjLj2EENS0_17counting_iteratorIjlEEPS9_SG_NS0_5tupleIJPjSI_NS0_16reverse_iteratorISI_EEEEENSH_IJSG_SG_SG_EEES9_SI_JZNS1_25segmented_radix_sort_implINS0_14default_configELb0EPKlPlSQ_SR_N2at6native12_GLOBAL__N_18offset_tEEE10hipError_tPvRmT1_PNSt15iterator_traitsISZ_E10value_typeET2_T3_PNS10_IS15_E10value_typeET4_jRbjT5_S1B_jjP12ihipStream_tbEUljE_ZNSN_ISO_Lb0ESQ_SR_SQ_SR_SV_EESW_SX_SY_SZ_S13_S14_S15_S18_S19_jS1A_jS1B_S1B_jjS1D_bEUljE0_EEESW_SX_SY_S15_S19_S1B_T6_T7_T9_mT8_S1D_bDpT10_ENKUlT_T0_E_clISt17integral_constantIbLb0EES1Q_IbLb1EEEEDaS1M_S1N_EUlS1M_E_NS1_11comp_targetILNS1_3genE9ELNS1_11target_archE1100ELNS1_3gpuE3ELNS1_3repE0EEENS1_30default_config_static_selectorELNS0_4arch9wavefront6targetE0EEEvSZ_: ; @_ZN7rocprim17ROCPRIM_400000_NS6detail17trampoline_kernelINS0_13select_configILj256ELj13ELNS0_17block_load_methodE3ELS4_3ELS4_3ELNS0_20block_scan_algorithmE0ELj4294967295EEENS1_25partition_config_selectorILNS1_17partition_subalgoE4EjNS0_10empty_typeEbEEZZNS1_14partition_implILS8_4ELb0ES6_15HIP_vector_typeIjLj2EENS0_17counting_iteratorIjlEEPS9_SG_NS0_5tupleIJPjSI_NS0_16reverse_iteratorISI_EEEEENSH_IJSG_SG_SG_EEES9_SI_JZNS1_25segmented_radix_sort_implINS0_14default_configELb0EPKlPlSQ_SR_N2at6native12_GLOBAL__N_18offset_tEEE10hipError_tPvRmT1_PNSt15iterator_traitsISZ_E10value_typeET2_T3_PNS10_IS15_E10value_typeET4_jRbjT5_S1B_jjP12ihipStream_tbEUljE_ZNSN_ISO_Lb0ESQ_SR_SQ_SR_SV_EESW_SX_SY_SZ_S13_S14_S15_S18_S19_jS1A_jS1B_S1B_jjS1D_bEUljE0_EEESW_SX_SY_S15_S19_S1B_T6_T7_T9_mT8_S1D_bDpT10_ENKUlT_T0_E_clISt17integral_constantIbLb0EES1Q_IbLb1EEEEDaS1M_S1N_EUlS1M_E_NS1_11comp_targetILNS1_3genE9ELNS1_11target_archE1100ELNS1_3gpuE3ELNS1_3repE0EEENS1_30default_config_static_selectorELNS0_4arch9wavefront6targetE0EEEvSZ_
; %bb.0:
	.section	.rodata,"a",@progbits
	.p2align	6, 0x0
	.amdhsa_kernel _ZN7rocprim17ROCPRIM_400000_NS6detail17trampoline_kernelINS0_13select_configILj256ELj13ELNS0_17block_load_methodE3ELS4_3ELS4_3ELNS0_20block_scan_algorithmE0ELj4294967295EEENS1_25partition_config_selectorILNS1_17partition_subalgoE4EjNS0_10empty_typeEbEEZZNS1_14partition_implILS8_4ELb0ES6_15HIP_vector_typeIjLj2EENS0_17counting_iteratorIjlEEPS9_SG_NS0_5tupleIJPjSI_NS0_16reverse_iteratorISI_EEEEENSH_IJSG_SG_SG_EEES9_SI_JZNS1_25segmented_radix_sort_implINS0_14default_configELb0EPKlPlSQ_SR_N2at6native12_GLOBAL__N_18offset_tEEE10hipError_tPvRmT1_PNSt15iterator_traitsISZ_E10value_typeET2_T3_PNS10_IS15_E10value_typeET4_jRbjT5_S1B_jjP12ihipStream_tbEUljE_ZNSN_ISO_Lb0ESQ_SR_SQ_SR_SV_EESW_SX_SY_SZ_S13_S14_S15_S18_S19_jS1A_jS1B_S1B_jjS1D_bEUljE0_EEESW_SX_SY_S15_S19_S1B_T6_T7_T9_mT8_S1D_bDpT10_ENKUlT_T0_E_clISt17integral_constantIbLb0EES1Q_IbLb1EEEEDaS1M_S1N_EUlS1M_E_NS1_11comp_targetILNS1_3genE9ELNS1_11target_archE1100ELNS1_3gpuE3ELNS1_3repE0EEENS1_30default_config_static_selectorELNS0_4arch9wavefront6targetE0EEEvSZ_
		.amdhsa_group_segment_fixed_size 0
		.amdhsa_private_segment_fixed_size 0
		.amdhsa_kernarg_size 184
		.amdhsa_user_sgpr_count 6
		.amdhsa_user_sgpr_private_segment_buffer 1
		.amdhsa_user_sgpr_dispatch_ptr 0
		.amdhsa_user_sgpr_queue_ptr 0
		.amdhsa_user_sgpr_kernarg_segment_ptr 1
		.amdhsa_user_sgpr_dispatch_id 0
		.amdhsa_user_sgpr_flat_scratch_init 0
		.amdhsa_user_sgpr_private_segment_size 0
		.amdhsa_wavefront_size32 1
		.amdhsa_uses_dynamic_stack 0
		.amdhsa_system_sgpr_private_segment_wavefront_offset 0
		.amdhsa_system_sgpr_workgroup_id_x 1
		.amdhsa_system_sgpr_workgroup_id_y 0
		.amdhsa_system_sgpr_workgroup_id_z 0
		.amdhsa_system_sgpr_workgroup_info 0
		.amdhsa_system_vgpr_workitem_id 0
		.amdhsa_next_free_vgpr 1
		.amdhsa_next_free_sgpr 1
		.amdhsa_reserve_vcc 0
		.amdhsa_reserve_flat_scratch 0
		.amdhsa_float_round_mode_32 0
		.amdhsa_float_round_mode_16_64 0
		.amdhsa_float_denorm_mode_32 3
		.amdhsa_float_denorm_mode_16_64 3
		.amdhsa_dx10_clamp 1
		.amdhsa_ieee_mode 1
		.amdhsa_fp16_overflow 0
		.amdhsa_workgroup_processor_mode 1
		.amdhsa_memory_ordered 1
		.amdhsa_forward_progress 1
		.amdhsa_shared_vgpr_count 0
		.amdhsa_exception_fp_ieee_invalid_op 0
		.amdhsa_exception_fp_denorm_src 0
		.amdhsa_exception_fp_ieee_div_zero 0
		.amdhsa_exception_fp_ieee_overflow 0
		.amdhsa_exception_fp_ieee_underflow 0
		.amdhsa_exception_fp_ieee_inexact 0
		.amdhsa_exception_int_div_zero 0
	.end_amdhsa_kernel
	.section	.text._ZN7rocprim17ROCPRIM_400000_NS6detail17trampoline_kernelINS0_13select_configILj256ELj13ELNS0_17block_load_methodE3ELS4_3ELS4_3ELNS0_20block_scan_algorithmE0ELj4294967295EEENS1_25partition_config_selectorILNS1_17partition_subalgoE4EjNS0_10empty_typeEbEEZZNS1_14partition_implILS8_4ELb0ES6_15HIP_vector_typeIjLj2EENS0_17counting_iteratorIjlEEPS9_SG_NS0_5tupleIJPjSI_NS0_16reverse_iteratorISI_EEEEENSH_IJSG_SG_SG_EEES9_SI_JZNS1_25segmented_radix_sort_implINS0_14default_configELb0EPKlPlSQ_SR_N2at6native12_GLOBAL__N_18offset_tEEE10hipError_tPvRmT1_PNSt15iterator_traitsISZ_E10value_typeET2_T3_PNS10_IS15_E10value_typeET4_jRbjT5_S1B_jjP12ihipStream_tbEUljE_ZNSN_ISO_Lb0ESQ_SR_SQ_SR_SV_EESW_SX_SY_SZ_S13_S14_S15_S18_S19_jS1A_jS1B_S1B_jjS1D_bEUljE0_EEESW_SX_SY_S15_S19_S1B_T6_T7_T9_mT8_S1D_bDpT10_ENKUlT_T0_E_clISt17integral_constantIbLb0EES1Q_IbLb1EEEEDaS1M_S1N_EUlS1M_E_NS1_11comp_targetILNS1_3genE9ELNS1_11target_archE1100ELNS1_3gpuE3ELNS1_3repE0EEENS1_30default_config_static_selectorELNS0_4arch9wavefront6targetE0EEEvSZ_,"axG",@progbits,_ZN7rocprim17ROCPRIM_400000_NS6detail17trampoline_kernelINS0_13select_configILj256ELj13ELNS0_17block_load_methodE3ELS4_3ELS4_3ELNS0_20block_scan_algorithmE0ELj4294967295EEENS1_25partition_config_selectorILNS1_17partition_subalgoE4EjNS0_10empty_typeEbEEZZNS1_14partition_implILS8_4ELb0ES6_15HIP_vector_typeIjLj2EENS0_17counting_iteratorIjlEEPS9_SG_NS0_5tupleIJPjSI_NS0_16reverse_iteratorISI_EEEEENSH_IJSG_SG_SG_EEES9_SI_JZNS1_25segmented_radix_sort_implINS0_14default_configELb0EPKlPlSQ_SR_N2at6native12_GLOBAL__N_18offset_tEEE10hipError_tPvRmT1_PNSt15iterator_traitsISZ_E10value_typeET2_T3_PNS10_IS15_E10value_typeET4_jRbjT5_S1B_jjP12ihipStream_tbEUljE_ZNSN_ISO_Lb0ESQ_SR_SQ_SR_SV_EESW_SX_SY_SZ_S13_S14_S15_S18_S19_jS1A_jS1B_S1B_jjS1D_bEUljE0_EEESW_SX_SY_S15_S19_S1B_T6_T7_T9_mT8_S1D_bDpT10_ENKUlT_T0_E_clISt17integral_constantIbLb0EES1Q_IbLb1EEEEDaS1M_S1N_EUlS1M_E_NS1_11comp_targetILNS1_3genE9ELNS1_11target_archE1100ELNS1_3gpuE3ELNS1_3repE0EEENS1_30default_config_static_selectorELNS0_4arch9wavefront6targetE0EEEvSZ_,comdat
.Lfunc_end767:
	.size	_ZN7rocprim17ROCPRIM_400000_NS6detail17trampoline_kernelINS0_13select_configILj256ELj13ELNS0_17block_load_methodE3ELS4_3ELS4_3ELNS0_20block_scan_algorithmE0ELj4294967295EEENS1_25partition_config_selectorILNS1_17partition_subalgoE4EjNS0_10empty_typeEbEEZZNS1_14partition_implILS8_4ELb0ES6_15HIP_vector_typeIjLj2EENS0_17counting_iteratorIjlEEPS9_SG_NS0_5tupleIJPjSI_NS0_16reverse_iteratorISI_EEEEENSH_IJSG_SG_SG_EEES9_SI_JZNS1_25segmented_radix_sort_implINS0_14default_configELb0EPKlPlSQ_SR_N2at6native12_GLOBAL__N_18offset_tEEE10hipError_tPvRmT1_PNSt15iterator_traitsISZ_E10value_typeET2_T3_PNS10_IS15_E10value_typeET4_jRbjT5_S1B_jjP12ihipStream_tbEUljE_ZNSN_ISO_Lb0ESQ_SR_SQ_SR_SV_EESW_SX_SY_SZ_S13_S14_S15_S18_S19_jS1A_jS1B_S1B_jjS1D_bEUljE0_EEESW_SX_SY_S15_S19_S1B_T6_T7_T9_mT8_S1D_bDpT10_ENKUlT_T0_E_clISt17integral_constantIbLb0EES1Q_IbLb1EEEEDaS1M_S1N_EUlS1M_E_NS1_11comp_targetILNS1_3genE9ELNS1_11target_archE1100ELNS1_3gpuE3ELNS1_3repE0EEENS1_30default_config_static_selectorELNS0_4arch9wavefront6targetE0EEEvSZ_, .Lfunc_end767-_ZN7rocprim17ROCPRIM_400000_NS6detail17trampoline_kernelINS0_13select_configILj256ELj13ELNS0_17block_load_methodE3ELS4_3ELS4_3ELNS0_20block_scan_algorithmE0ELj4294967295EEENS1_25partition_config_selectorILNS1_17partition_subalgoE4EjNS0_10empty_typeEbEEZZNS1_14partition_implILS8_4ELb0ES6_15HIP_vector_typeIjLj2EENS0_17counting_iteratorIjlEEPS9_SG_NS0_5tupleIJPjSI_NS0_16reverse_iteratorISI_EEEEENSH_IJSG_SG_SG_EEES9_SI_JZNS1_25segmented_radix_sort_implINS0_14default_configELb0EPKlPlSQ_SR_N2at6native12_GLOBAL__N_18offset_tEEE10hipError_tPvRmT1_PNSt15iterator_traitsISZ_E10value_typeET2_T3_PNS10_IS15_E10value_typeET4_jRbjT5_S1B_jjP12ihipStream_tbEUljE_ZNSN_ISO_Lb0ESQ_SR_SQ_SR_SV_EESW_SX_SY_SZ_S13_S14_S15_S18_S19_jS1A_jS1B_S1B_jjS1D_bEUljE0_EEESW_SX_SY_S15_S19_S1B_T6_T7_T9_mT8_S1D_bDpT10_ENKUlT_T0_E_clISt17integral_constantIbLb0EES1Q_IbLb1EEEEDaS1M_S1N_EUlS1M_E_NS1_11comp_targetILNS1_3genE9ELNS1_11target_archE1100ELNS1_3gpuE3ELNS1_3repE0EEENS1_30default_config_static_selectorELNS0_4arch9wavefront6targetE0EEEvSZ_
                                        ; -- End function
	.set _ZN7rocprim17ROCPRIM_400000_NS6detail17trampoline_kernelINS0_13select_configILj256ELj13ELNS0_17block_load_methodE3ELS4_3ELS4_3ELNS0_20block_scan_algorithmE0ELj4294967295EEENS1_25partition_config_selectorILNS1_17partition_subalgoE4EjNS0_10empty_typeEbEEZZNS1_14partition_implILS8_4ELb0ES6_15HIP_vector_typeIjLj2EENS0_17counting_iteratorIjlEEPS9_SG_NS0_5tupleIJPjSI_NS0_16reverse_iteratorISI_EEEEENSH_IJSG_SG_SG_EEES9_SI_JZNS1_25segmented_radix_sort_implINS0_14default_configELb0EPKlPlSQ_SR_N2at6native12_GLOBAL__N_18offset_tEEE10hipError_tPvRmT1_PNSt15iterator_traitsISZ_E10value_typeET2_T3_PNS10_IS15_E10value_typeET4_jRbjT5_S1B_jjP12ihipStream_tbEUljE_ZNSN_ISO_Lb0ESQ_SR_SQ_SR_SV_EESW_SX_SY_SZ_S13_S14_S15_S18_S19_jS1A_jS1B_S1B_jjS1D_bEUljE0_EEESW_SX_SY_S15_S19_S1B_T6_T7_T9_mT8_S1D_bDpT10_ENKUlT_T0_E_clISt17integral_constantIbLb0EES1Q_IbLb1EEEEDaS1M_S1N_EUlS1M_E_NS1_11comp_targetILNS1_3genE9ELNS1_11target_archE1100ELNS1_3gpuE3ELNS1_3repE0EEENS1_30default_config_static_selectorELNS0_4arch9wavefront6targetE0EEEvSZ_.num_vgpr, 0
	.set _ZN7rocprim17ROCPRIM_400000_NS6detail17trampoline_kernelINS0_13select_configILj256ELj13ELNS0_17block_load_methodE3ELS4_3ELS4_3ELNS0_20block_scan_algorithmE0ELj4294967295EEENS1_25partition_config_selectorILNS1_17partition_subalgoE4EjNS0_10empty_typeEbEEZZNS1_14partition_implILS8_4ELb0ES6_15HIP_vector_typeIjLj2EENS0_17counting_iteratorIjlEEPS9_SG_NS0_5tupleIJPjSI_NS0_16reverse_iteratorISI_EEEEENSH_IJSG_SG_SG_EEES9_SI_JZNS1_25segmented_radix_sort_implINS0_14default_configELb0EPKlPlSQ_SR_N2at6native12_GLOBAL__N_18offset_tEEE10hipError_tPvRmT1_PNSt15iterator_traitsISZ_E10value_typeET2_T3_PNS10_IS15_E10value_typeET4_jRbjT5_S1B_jjP12ihipStream_tbEUljE_ZNSN_ISO_Lb0ESQ_SR_SQ_SR_SV_EESW_SX_SY_SZ_S13_S14_S15_S18_S19_jS1A_jS1B_S1B_jjS1D_bEUljE0_EEESW_SX_SY_S15_S19_S1B_T6_T7_T9_mT8_S1D_bDpT10_ENKUlT_T0_E_clISt17integral_constantIbLb0EES1Q_IbLb1EEEEDaS1M_S1N_EUlS1M_E_NS1_11comp_targetILNS1_3genE9ELNS1_11target_archE1100ELNS1_3gpuE3ELNS1_3repE0EEENS1_30default_config_static_selectorELNS0_4arch9wavefront6targetE0EEEvSZ_.num_agpr, 0
	.set _ZN7rocprim17ROCPRIM_400000_NS6detail17trampoline_kernelINS0_13select_configILj256ELj13ELNS0_17block_load_methodE3ELS4_3ELS4_3ELNS0_20block_scan_algorithmE0ELj4294967295EEENS1_25partition_config_selectorILNS1_17partition_subalgoE4EjNS0_10empty_typeEbEEZZNS1_14partition_implILS8_4ELb0ES6_15HIP_vector_typeIjLj2EENS0_17counting_iteratorIjlEEPS9_SG_NS0_5tupleIJPjSI_NS0_16reverse_iteratorISI_EEEEENSH_IJSG_SG_SG_EEES9_SI_JZNS1_25segmented_radix_sort_implINS0_14default_configELb0EPKlPlSQ_SR_N2at6native12_GLOBAL__N_18offset_tEEE10hipError_tPvRmT1_PNSt15iterator_traitsISZ_E10value_typeET2_T3_PNS10_IS15_E10value_typeET4_jRbjT5_S1B_jjP12ihipStream_tbEUljE_ZNSN_ISO_Lb0ESQ_SR_SQ_SR_SV_EESW_SX_SY_SZ_S13_S14_S15_S18_S19_jS1A_jS1B_S1B_jjS1D_bEUljE0_EEESW_SX_SY_S15_S19_S1B_T6_T7_T9_mT8_S1D_bDpT10_ENKUlT_T0_E_clISt17integral_constantIbLb0EES1Q_IbLb1EEEEDaS1M_S1N_EUlS1M_E_NS1_11comp_targetILNS1_3genE9ELNS1_11target_archE1100ELNS1_3gpuE3ELNS1_3repE0EEENS1_30default_config_static_selectorELNS0_4arch9wavefront6targetE0EEEvSZ_.numbered_sgpr, 0
	.set _ZN7rocprim17ROCPRIM_400000_NS6detail17trampoline_kernelINS0_13select_configILj256ELj13ELNS0_17block_load_methodE3ELS4_3ELS4_3ELNS0_20block_scan_algorithmE0ELj4294967295EEENS1_25partition_config_selectorILNS1_17partition_subalgoE4EjNS0_10empty_typeEbEEZZNS1_14partition_implILS8_4ELb0ES6_15HIP_vector_typeIjLj2EENS0_17counting_iteratorIjlEEPS9_SG_NS0_5tupleIJPjSI_NS0_16reverse_iteratorISI_EEEEENSH_IJSG_SG_SG_EEES9_SI_JZNS1_25segmented_radix_sort_implINS0_14default_configELb0EPKlPlSQ_SR_N2at6native12_GLOBAL__N_18offset_tEEE10hipError_tPvRmT1_PNSt15iterator_traitsISZ_E10value_typeET2_T3_PNS10_IS15_E10value_typeET4_jRbjT5_S1B_jjP12ihipStream_tbEUljE_ZNSN_ISO_Lb0ESQ_SR_SQ_SR_SV_EESW_SX_SY_SZ_S13_S14_S15_S18_S19_jS1A_jS1B_S1B_jjS1D_bEUljE0_EEESW_SX_SY_S15_S19_S1B_T6_T7_T9_mT8_S1D_bDpT10_ENKUlT_T0_E_clISt17integral_constantIbLb0EES1Q_IbLb1EEEEDaS1M_S1N_EUlS1M_E_NS1_11comp_targetILNS1_3genE9ELNS1_11target_archE1100ELNS1_3gpuE3ELNS1_3repE0EEENS1_30default_config_static_selectorELNS0_4arch9wavefront6targetE0EEEvSZ_.num_named_barrier, 0
	.set _ZN7rocprim17ROCPRIM_400000_NS6detail17trampoline_kernelINS0_13select_configILj256ELj13ELNS0_17block_load_methodE3ELS4_3ELS4_3ELNS0_20block_scan_algorithmE0ELj4294967295EEENS1_25partition_config_selectorILNS1_17partition_subalgoE4EjNS0_10empty_typeEbEEZZNS1_14partition_implILS8_4ELb0ES6_15HIP_vector_typeIjLj2EENS0_17counting_iteratorIjlEEPS9_SG_NS0_5tupleIJPjSI_NS0_16reverse_iteratorISI_EEEEENSH_IJSG_SG_SG_EEES9_SI_JZNS1_25segmented_radix_sort_implINS0_14default_configELb0EPKlPlSQ_SR_N2at6native12_GLOBAL__N_18offset_tEEE10hipError_tPvRmT1_PNSt15iterator_traitsISZ_E10value_typeET2_T3_PNS10_IS15_E10value_typeET4_jRbjT5_S1B_jjP12ihipStream_tbEUljE_ZNSN_ISO_Lb0ESQ_SR_SQ_SR_SV_EESW_SX_SY_SZ_S13_S14_S15_S18_S19_jS1A_jS1B_S1B_jjS1D_bEUljE0_EEESW_SX_SY_S15_S19_S1B_T6_T7_T9_mT8_S1D_bDpT10_ENKUlT_T0_E_clISt17integral_constantIbLb0EES1Q_IbLb1EEEEDaS1M_S1N_EUlS1M_E_NS1_11comp_targetILNS1_3genE9ELNS1_11target_archE1100ELNS1_3gpuE3ELNS1_3repE0EEENS1_30default_config_static_selectorELNS0_4arch9wavefront6targetE0EEEvSZ_.private_seg_size, 0
	.set _ZN7rocprim17ROCPRIM_400000_NS6detail17trampoline_kernelINS0_13select_configILj256ELj13ELNS0_17block_load_methodE3ELS4_3ELS4_3ELNS0_20block_scan_algorithmE0ELj4294967295EEENS1_25partition_config_selectorILNS1_17partition_subalgoE4EjNS0_10empty_typeEbEEZZNS1_14partition_implILS8_4ELb0ES6_15HIP_vector_typeIjLj2EENS0_17counting_iteratorIjlEEPS9_SG_NS0_5tupleIJPjSI_NS0_16reverse_iteratorISI_EEEEENSH_IJSG_SG_SG_EEES9_SI_JZNS1_25segmented_radix_sort_implINS0_14default_configELb0EPKlPlSQ_SR_N2at6native12_GLOBAL__N_18offset_tEEE10hipError_tPvRmT1_PNSt15iterator_traitsISZ_E10value_typeET2_T3_PNS10_IS15_E10value_typeET4_jRbjT5_S1B_jjP12ihipStream_tbEUljE_ZNSN_ISO_Lb0ESQ_SR_SQ_SR_SV_EESW_SX_SY_SZ_S13_S14_S15_S18_S19_jS1A_jS1B_S1B_jjS1D_bEUljE0_EEESW_SX_SY_S15_S19_S1B_T6_T7_T9_mT8_S1D_bDpT10_ENKUlT_T0_E_clISt17integral_constantIbLb0EES1Q_IbLb1EEEEDaS1M_S1N_EUlS1M_E_NS1_11comp_targetILNS1_3genE9ELNS1_11target_archE1100ELNS1_3gpuE3ELNS1_3repE0EEENS1_30default_config_static_selectorELNS0_4arch9wavefront6targetE0EEEvSZ_.uses_vcc, 0
	.set _ZN7rocprim17ROCPRIM_400000_NS6detail17trampoline_kernelINS0_13select_configILj256ELj13ELNS0_17block_load_methodE3ELS4_3ELS4_3ELNS0_20block_scan_algorithmE0ELj4294967295EEENS1_25partition_config_selectorILNS1_17partition_subalgoE4EjNS0_10empty_typeEbEEZZNS1_14partition_implILS8_4ELb0ES6_15HIP_vector_typeIjLj2EENS0_17counting_iteratorIjlEEPS9_SG_NS0_5tupleIJPjSI_NS0_16reverse_iteratorISI_EEEEENSH_IJSG_SG_SG_EEES9_SI_JZNS1_25segmented_radix_sort_implINS0_14default_configELb0EPKlPlSQ_SR_N2at6native12_GLOBAL__N_18offset_tEEE10hipError_tPvRmT1_PNSt15iterator_traitsISZ_E10value_typeET2_T3_PNS10_IS15_E10value_typeET4_jRbjT5_S1B_jjP12ihipStream_tbEUljE_ZNSN_ISO_Lb0ESQ_SR_SQ_SR_SV_EESW_SX_SY_SZ_S13_S14_S15_S18_S19_jS1A_jS1B_S1B_jjS1D_bEUljE0_EEESW_SX_SY_S15_S19_S1B_T6_T7_T9_mT8_S1D_bDpT10_ENKUlT_T0_E_clISt17integral_constantIbLb0EES1Q_IbLb1EEEEDaS1M_S1N_EUlS1M_E_NS1_11comp_targetILNS1_3genE9ELNS1_11target_archE1100ELNS1_3gpuE3ELNS1_3repE0EEENS1_30default_config_static_selectorELNS0_4arch9wavefront6targetE0EEEvSZ_.uses_flat_scratch, 0
	.set _ZN7rocprim17ROCPRIM_400000_NS6detail17trampoline_kernelINS0_13select_configILj256ELj13ELNS0_17block_load_methodE3ELS4_3ELS4_3ELNS0_20block_scan_algorithmE0ELj4294967295EEENS1_25partition_config_selectorILNS1_17partition_subalgoE4EjNS0_10empty_typeEbEEZZNS1_14partition_implILS8_4ELb0ES6_15HIP_vector_typeIjLj2EENS0_17counting_iteratorIjlEEPS9_SG_NS0_5tupleIJPjSI_NS0_16reverse_iteratorISI_EEEEENSH_IJSG_SG_SG_EEES9_SI_JZNS1_25segmented_radix_sort_implINS0_14default_configELb0EPKlPlSQ_SR_N2at6native12_GLOBAL__N_18offset_tEEE10hipError_tPvRmT1_PNSt15iterator_traitsISZ_E10value_typeET2_T3_PNS10_IS15_E10value_typeET4_jRbjT5_S1B_jjP12ihipStream_tbEUljE_ZNSN_ISO_Lb0ESQ_SR_SQ_SR_SV_EESW_SX_SY_SZ_S13_S14_S15_S18_S19_jS1A_jS1B_S1B_jjS1D_bEUljE0_EEESW_SX_SY_S15_S19_S1B_T6_T7_T9_mT8_S1D_bDpT10_ENKUlT_T0_E_clISt17integral_constantIbLb0EES1Q_IbLb1EEEEDaS1M_S1N_EUlS1M_E_NS1_11comp_targetILNS1_3genE9ELNS1_11target_archE1100ELNS1_3gpuE3ELNS1_3repE0EEENS1_30default_config_static_selectorELNS0_4arch9wavefront6targetE0EEEvSZ_.has_dyn_sized_stack, 0
	.set _ZN7rocprim17ROCPRIM_400000_NS6detail17trampoline_kernelINS0_13select_configILj256ELj13ELNS0_17block_load_methodE3ELS4_3ELS4_3ELNS0_20block_scan_algorithmE0ELj4294967295EEENS1_25partition_config_selectorILNS1_17partition_subalgoE4EjNS0_10empty_typeEbEEZZNS1_14partition_implILS8_4ELb0ES6_15HIP_vector_typeIjLj2EENS0_17counting_iteratorIjlEEPS9_SG_NS0_5tupleIJPjSI_NS0_16reverse_iteratorISI_EEEEENSH_IJSG_SG_SG_EEES9_SI_JZNS1_25segmented_radix_sort_implINS0_14default_configELb0EPKlPlSQ_SR_N2at6native12_GLOBAL__N_18offset_tEEE10hipError_tPvRmT1_PNSt15iterator_traitsISZ_E10value_typeET2_T3_PNS10_IS15_E10value_typeET4_jRbjT5_S1B_jjP12ihipStream_tbEUljE_ZNSN_ISO_Lb0ESQ_SR_SQ_SR_SV_EESW_SX_SY_SZ_S13_S14_S15_S18_S19_jS1A_jS1B_S1B_jjS1D_bEUljE0_EEESW_SX_SY_S15_S19_S1B_T6_T7_T9_mT8_S1D_bDpT10_ENKUlT_T0_E_clISt17integral_constantIbLb0EES1Q_IbLb1EEEEDaS1M_S1N_EUlS1M_E_NS1_11comp_targetILNS1_3genE9ELNS1_11target_archE1100ELNS1_3gpuE3ELNS1_3repE0EEENS1_30default_config_static_selectorELNS0_4arch9wavefront6targetE0EEEvSZ_.has_recursion, 0
	.set _ZN7rocprim17ROCPRIM_400000_NS6detail17trampoline_kernelINS0_13select_configILj256ELj13ELNS0_17block_load_methodE3ELS4_3ELS4_3ELNS0_20block_scan_algorithmE0ELj4294967295EEENS1_25partition_config_selectorILNS1_17partition_subalgoE4EjNS0_10empty_typeEbEEZZNS1_14partition_implILS8_4ELb0ES6_15HIP_vector_typeIjLj2EENS0_17counting_iteratorIjlEEPS9_SG_NS0_5tupleIJPjSI_NS0_16reverse_iteratorISI_EEEEENSH_IJSG_SG_SG_EEES9_SI_JZNS1_25segmented_radix_sort_implINS0_14default_configELb0EPKlPlSQ_SR_N2at6native12_GLOBAL__N_18offset_tEEE10hipError_tPvRmT1_PNSt15iterator_traitsISZ_E10value_typeET2_T3_PNS10_IS15_E10value_typeET4_jRbjT5_S1B_jjP12ihipStream_tbEUljE_ZNSN_ISO_Lb0ESQ_SR_SQ_SR_SV_EESW_SX_SY_SZ_S13_S14_S15_S18_S19_jS1A_jS1B_S1B_jjS1D_bEUljE0_EEESW_SX_SY_S15_S19_S1B_T6_T7_T9_mT8_S1D_bDpT10_ENKUlT_T0_E_clISt17integral_constantIbLb0EES1Q_IbLb1EEEEDaS1M_S1N_EUlS1M_E_NS1_11comp_targetILNS1_3genE9ELNS1_11target_archE1100ELNS1_3gpuE3ELNS1_3repE0EEENS1_30default_config_static_selectorELNS0_4arch9wavefront6targetE0EEEvSZ_.has_indirect_call, 0
	.section	.AMDGPU.csdata,"",@progbits
; Kernel info:
; codeLenInByte = 0
; TotalNumSgprs: 0
; NumVgprs: 0
; ScratchSize: 0
; MemoryBound: 0
; FloatMode: 240
; IeeeMode: 1
; LDSByteSize: 0 bytes/workgroup (compile time only)
; SGPRBlocks: 0
; VGPRBlocks: 0
; NumSGPRsForWavesPerEU: 1
; NumVGPRsForWavesPerEU: 1
; Occupancy: 16
; WaveLimiterHint : 0
; COMPUTE_PGM_RSRC2:SCRATCH_EN: 0
; COMPUTE_PGM_RSRC2:USER_SGPR: 6
; COMPUTE_PGM_RSRC2:TRAP_HANDLER: 0
; COMPUTE_PGM_RSRC2:TGID_X_EN: 1
; COMPUTE_PGM_RSRC2:TGID_Y_EN: 0
; COMPUTE_PGM_RSRC2:TGID_Z_EN: 0
; COMPUTE_PGM_RSRC2:TIDIG_COMP_CNT: 0
	.section	.text._ZN7rocprim17ROCPRIM_400000_NS6detail17trampoline_kernelINS0_13select_configILj256ELj13ELNS0_17block_load_methodE3ELS4_3ELS4_3ELNS0_20block_scan_algorithmE0ELj4294967295EEENS1_25partition_config_selectorILNS1_17partition_subalgoE4EjNS0_10empty_typeEbEEZZNS1_14partition_implILS8_4ELb0ES6_15HIP_vector_typeIjLj2EENS0_17counting_iteratorIjlEEPS9_SG_NS0_5tupleIJPjSI_NS0_16reverse_iteratorISI_EEEEENSH_IJSG_SG_SG_EEES9_SI_JZNS1_25segmented_radix_sort_implINS0_14default_configELb0EPKlPlSQ_SR_N2at6native12_GLOBAL__N_18offset_tEEE10hipError_tPvRmT1_PNSt15iterator_traitsISZ_E10value_typeET2_T3_PNS10_IS15_E10value_typeET4_jRbjT5_S1B_jjP12ihipStream_tbEUljE_ZNSN_ISO_Lb0ESQ_SR_SQ_SR_SV_EESW_SX_SY_SZ_S13_S14_S15_S18_S19_jS1A_jS1B_S1B_jjS1D_bEUljE0_EEESW_SX_SY_S15_S19_S1B_T6_T7_T9_mT8_S1D_bDpT10_ENKUlT_T0_E_clISt17integral_constantIbLb0EES1Q_IbLb1EEEEDaS1M_S1N_EUlS1M_E_NS1_11comp_targetILNS1_3genE8ELNS1_11target_archE1030ELNS1_3gpuE2ELNS1_3repE0EEENS1_30default_config_static_selectorELNS0_4arch9wavefront6targetE0EEEvSZ_,"axG",@progbits,_ZN7rocprim17ROCPRIM_400000_NS6detail17trampoline_kernelINS0_13select_configILj256ELj13ELNS0_17block_load_methodE3ELS4_3ELS4_3ELNS0_20block_scan_algorithmE0ELj4294967295EEENS1_25partition_config_selectorILNS1_17partition_subalgoE4EjNS0_10empty_typeEbEEZZNS1_14partition_implILS8_4ELb0ES6_15HIP_vector_typeIjLj2EENS0_17counting_iteratorIjlEEPS9_SG_NS0_5tupleIJPjSI_NS0_16reverse_iteratorISI_EEEEENSH_IJSG_SG_SG_EEES9_SI_JZNS1_25segmented_radix_sort_implINS0_14default_configELb0EPKlPlSQ_SR_N2at6native12_GLOBAL__N_18offset_tEEE10hipError_tPvRmT1_PNSt15iterator_traitsISZ_E10value_typeET2_T3_PNS10_IS15_E10value_typeET4_jRbjT5_S1B_jjP12ihipStream_tbEUljE_ZNSN_ISO_Lb0ESQ_SR_SQ_SR_SV_EESW_SX_SY_SZ_S13_S14_S15_S18_S19_jS1A_jS1B_S1B_jjS1D_bEUljE0_EEESW_SX_SY_S15_S19_S1B_T6_T7_T9_mT8_S1D_bDpT10_ENKUlT_T0_E_clISt17integral_constantIbLb0EES1Q_IbLb1EEEEDaS1M_S1N_EUlS1M_E_NS1_11comp_targetILNS1_3genE8ELNS1_11target_archE1030ELNS1_3gpuE2ELNS1_3repE0EEENS1_30default_config_static_selectorELNS0_4arch9wavefront6targetE0EEEvSZ_,comdat
	.globl	_ZN7rocprim17ROCPRIM_400000_NS6detail17trampoline_kernelINS0_13select_configILj256ELj13ELNS0_17block_load_methodE3ELS4_3ELS4_3ELNS0_20block_scan_algorithmE0ELj4294967295EEENS1_25partition_config_selectorILNS1_17partition_subalgoE4EjNS0_10empty_typeEbEEZZNS1_14partition_implILS8_4ELb0ES6_15HIP_vector_typeIjLj2EENS0_17counting_iteratorIjlEEPS9_SG_NS0_5tupleIJPjSI_NS0_16reverse_iteratorISI_EEEEENSH_IJSG_SG_SG_EEES9_SI_JZNS1_25segmented_radix_sort_implINS0_14default_configELb0EPKlPlSQ_SR_N2at6native12_GLOBAL__N_18offset_tEEE10hipError_tPvRmT1_PNSt15iterator_traitsISZ_E10value_typeET2_T3_PNS10_IS15_E10value_typeET4_jRbjT5_S1B_jjP12ihipStream_tbEUljE_ZNSN_ISO_Lb0ESQ_SR_SQ_SR_SV_EESW_SX_SY_SZ_S13_S14_S15_S18_S19_jS1A_jS1B_S1B_jjS1D_bEUljE0_EEESW_SX_SY_S15_S19_S1B_T6_T7_T9_mT8_S1D_bDpT10_ENKUlT_T0_E_clISt17integral_constantIbLb0EES1Q_IbLb1EEEEDaS1M_S1N_EUlS1M_E_NS1_11comp_targetILNS1_3genE8ELNS1_11target_archE1030ELNS1_3gpuE2ELNS1_3repE0EEENS1_30default_config_static_selectorELNS0_4arch9wavefront6targetE0EEEvSZ_ ; -- Begin function _ZN7rocprim17ROCPRIM_400000_NS6detail17trampoline_kernelINS0_13select_configILj256ELj13ELNS0_17block_load_methodE3ELS4_3ELS4_3ELNS0_20block_scan_algorithmE0ELj4294967295EEENS1_25partition_config_selectorILNS1_17partition_subalgoE4EjNS0_10empty_typeEbEEZZNS1_14partition_implILS8_4ELb0ES6_15HIP_vector_typeIjLj2EENS0_17counting_iteratorIjlEEPS9_SG_NS0_5tupleIJPjSI_NS0_16reverse_iteratorISI_EEEEENSH_IJSG_SG_SG_EEES9_SI_JZNS1_25segmented_radix_sort_implINS0_14default_configELb0EPKlPlSQ_SR_N2at6native12_GLOBAL__N_18offset_tEEE10hipError_tPvRmT1_PNSt15iterator_traitsISZ_E10value_typeET2_T3_PNS10_IS15_E10value_typeET4_jRbjT5_S1B_jjP12ihipStream_tbEUljE_ZNSN_ISO_Lb0ESQ_SR_SQ_SR_SV_EESW_SX_SY_SZ_S13_S14_S15_S18_S19_jS1A_jS1B_S1B_jjS1D_bEUljE0_EEESW_SX_SY_S15_S19_S1B_T6_T7_T9_mT8_S1D_bDpT10_ENKUlT_T0_E_clISt17integral_constantIbLb0EES1Q_IbLb1EEEEDaS1M_S1N_EUlS1M_E_NS1_11comp_targetILNS1_3genE8ELNS1_11target_archE1030ELNS1_3gpuE2ELNS1_3repE0EEENS1_30default_config_static_selectorELNS0_4arch9wavefront6targetE0EEEvSZ_
	.p2align	8
	.type	_ZN7rocprim17ROCPRIM_400000_NS6detail17trampoline_kernelINS0_13select_configILj256ELj13ELNS0_17block_load_methodE3ELS4_3ELS4_3ELNS0_20block_scan_algorithmE0ELj4294967295EEENS1_25partition_config_selectorILNS1_17partition_subalgoE4EjNS0_10empty_typeEbEEZZNS1_14partition_implILS8_4ELb0ES6_15HIP_vector_typeIjLj2EENS0_17counting_iteratorIjlEEPS9_SG_NS0_5tupleIJPjSI_NS0_16reverse_iteratorISI_EEEEENSH_IJSG_SG_SG_EEES9_SI_JZNS1_25segmented_radix_sort_implINS0_14default_configELb0EPKlPlSQ_SR_N2at6native12_GLOBAL__N_18offset_tEEE10hipError_tPvRmT1_PNSt15iterator_traitsISZ_E10value_typeET2_T3_PNS10_IS15_E10value_typeET4_jRbjT5_S1B_jjP12ihipStream_tbEUljE_ZNSN_ISO_Lb0ESQ_SR_SQ_SR_SV_EESW_SX_SY_SZ_S13_S14_S15_S18_S19_jS1A_jS1B_S1B_jjS1D_bEUljE0_EEESW_SX_SY_S15_S19_S1B_T6_T7_T9_mT8_S1D_bDpT10_ENKUlT_T0_E_clISt17integral_constantIbLb0EES1Q_IbLb1EEEEDaS1M_S1N_EUlS1M_E_NS1_11comp_targetILNS1_3genE8ELNS1_11target_archE1030ELNS1_3gpuE2ELNS1_3repE0EEENS1_30default_config_static_selectorELNS0_4arch9wavefront6targetE0EEEvSZ_,@function
_ZN7rocprim17ROCPRIM_400000_NS6detail17trampoline_kernelINS0_13select_configILj256ELj13ELNS0_17block_load_methodE3ELS4_3ELS4_3ELNS0_20block_scan_algorithmE0ELj4294967295EEENS1_25partition_config_selectorILNS1_17partition_subalgoE4EjNS0_10empty_typeEbEEZZNS1_14partition_implILS8_4ELb0ES6_15HIP_vector_typeIjLj2EENS0_17counting_iteratorIjlEEPS9_SG_NS0_5tupleIJPjSI_NS0_16reverse_iteratorISI_EEEEENSH_IJSG_SG_SG_EEES9_SI_JZNS1_25segmented_radix_sort_implINS0_14default_configELb0EPKlPlSQ_SR_N2at6native12_GLOBAL__N_18offset_tEEE10hipError_tPvRmT1_PNSt15iterator_traitsISZ_E10value_typeET2_T3_PNS10_IS15_E10value_typeET4_jRbjT5_S1B_jjP12ihipStream_tbEUljE_ZNSN_ISO_Lb0ESQ_SR_SQ_SR_SV_EESW_SX_SY_SZ_S13_S14_S15_S18_S19_jS1A_jS1B_S1B_jjS1D_bEUljE0_EEESW_SX_SY_S15_S19_S1B_T6_T7_T9_mT8_S1D_bDpT10_ENKUlT_T0_E_clISt17integral_constantIbLb0EES1Q_IbLb1EEEEDaS1M_S1N_EUlS1M_E_NS1_11comp_targetILNS1_3genE8ELNS1_11target_archE1030ELNS1_3gpuE2ELNS1_3repE0EEENS1_30default_config_static_selectorELNS0_4arch9wavefront6targetE0EEEvSZ_: ; @_ZN7rocprim17ROCPRIM_400000_NS6detail17trampoline_kernelINS0_13select_configILj256ELj13ELNS0_17block_load_methodE3ELS4_3ELS4_3ELNS0_20block_scan_algorithmE0ELj4294967295EEENS1_25partition_config_selectorILNS1_17partition_subalgoE4EjNS0_10empty_typeEbEEZZNS1_14partition_implILS8_4ELb0ES6_15HIP_vector_typeIjLj2EENS0_17counting_iteratorIjlEEPS9_SG_NS0_5tupleIJPjSI_NS0_16reverse_iteratorISI_EEEEENSH_IJSG_SG_SG_EEES9_SI_JZNS1_25segmented_radix_sort_implINS0_14default_configELb0EPKlPlSQ_SR_N2at6native12_GLOBAL__N_18offset_tEEE10hipError_tPvRmT1_PNSt15iterator_traitsISZ_E10value_typeET2_T3_PNS10_IS15_E10value_typeET4_jRbjT5_S1B_jjP12ihipStream_tbEUljE_ZNSN_ISO_Lb0ESQ_SR_SQ_SR_SV_EESW_SX_SY_SZ_S13_S14_S15_S18_S19_jS1A_jS1B_S1B_jjS1D_bEUljE0_EEESW_SX_SY_S15_S19_S1B_T6_T7_T9_mT8_S1D_bDpT10_ENKUlT_T0_E_clISt17integral_constantIbLb0EES1Q_IbLb1EEEEDaS1M_S1N_EUlS1M_E_NS1_11comp_targetILNS1_3genE8ELNS1_11target_archE1030ELNS1_3gpuE2ELNS1_3repE0EEENS1_30default_config_static_selectorELNS0_4arch9wavefront6targetE0EEEvSZ_
; %bb.0:
	s_clause 0x7
	s_load_dwordx2 s[34:35], s[4:5], 0x10
	s_load_dwordx4 s[28:31], s[4:5], 0x28
	s_load_dwordx2 s[14:15], s[4:5], 0x38
	s_load_dwordx4 s[24:27], s[4:5], 0x58
	s_load_dwordx2 s[2:3], s[4:5], 0x68
	s_load_dwordx2 s[36:37], s[4:5], 0x78
	;; [unrolled: 1-line block ×3, first 2 shown]
	s_load_dwordx8 s[16:23], s[4:5], 0x90
	v_cmp_eq_u32_e64 s0, 0, v0
	s_and_saveexec_b32 s1, s0
	s_cbranch_execz .LBB768_4
; %bb.1:
	s_mov_b32 s7, exec_lo
	s_mov_b32 s6, exec_lo
	v_mbcnt_lo_u32_b32 v1, s7, 0
                                        ; implicit-def: $vgpr2
	v_cmpx_eq_u32_e32 0, v1
	s_cbranch_execz .LBB768_3
; %bb.2:
	s_load_dwordx2 s[8:9], s[4:5], 0x88
	s_bcnt1_i32_b32 s7, s7
	v_mov_b32_e32 v2, 0
	v_mov_b32_e32 v3, s7
	s_waitcnt lgkmcnt(0)
	global_atomic_add v2, v2, v3, s[8:9] glc
.LBB768_3:
	s_or_b32 exec_lo, exec_lo, s6
	s_waitcnt vmcnt(0)
	v_readfirstlane_b32 s6, v2
	v_mov_b32_e32 v2, 0
	v_add_nc_u32_e32 v1, s6, v1
	ds_write_b32 v2, v1
.LBB768_4:
	s_or_b32 exec_lo, exec_lo, s1
	v_mov_b32_e32 v1, 0
	s_clause 0x1
	s_load_dword s6, s[4:5], 0x8
	s_load_dword s1, s[4:5], 0x80
	s_waitcnt lgkmcnt(0)
	s_barrier
	buffer_gl0_inv
	ds_read_b32 v5, v1
	s_waitcnt lgkmcnt(0)
	s_barrier
	buffer_gl0_inv
	global_load_dwordx4 v[1:4], v1, s[26:27]
	s_add_i32 s5, s6, s34
	s_mul_i32 s4, s1, 0xd00
	s_add_i32 s1, s1, -1
	s_add_u32 s6, s34, s4
	s_addc_u32 s7, s35, 0
	v_mul_lo_u32 v31, 0xd00, v5
	v_readfirstlane_b32 s27, v5
	v_cmp_gt_u64_e64 s3, s[2:3], s[6:7]
	v_cmp_ne_u32_e32 vcc_lo, s1, v5
	s_cmp_eq_u32 s27, s1
	s_cselect_b32 s26, -1, 0
	v_add3_u32 v5, v31, s5, v0
	s_or_b32 s1, s3, vcc_lo
	s_mov_b32 s3, -1
	s_and_b32 vcc_lo, exec_lo, s1
	v_add_nc_u32_e32 v6, 0x100, v5
	v_add_nc_u32_e32 v7, 0x200, v5
	;; [unrolled: 1-line block ×12, first 2 shown]
	s_cbranch_vccz .LBB768_6
; %bb.5:
	v_lshlrev_b32_e32 v18, 2, v0
	s_mov_b32 s3, 0
	ds_write2st64_b32 v18, v5, v6 offset1:4
	ds_write2st64_b32 v18, v7, v8 offset0:8 offset1:12
	ds_write2st64_b32 v18, v9, v10 offset0:16 offset1:20
	;; [unrolled: 1-line block ×5, first 2 shown]
	ds_write_b32 v18, v17 offset:12288
	s_waitcnt vmcnt(0) lgkmcnt(0)
	s_barrier
.LBB768_6:
	s_andn2_b32 vcc_lo, exec_lo, s3
	s_add_i32 s4, s4, s34
	s_cbranch_vccnz .LBB768_8
; %bb.7:
	v_lshlrev_b32_e32 v18, 2, v0
	ds_write2st64_b32 v18, v5, v6 offset1:4
	ds_write2st64_b32 v18, v7, v8 offset0:8 offset1:12
	ds_write2st64_b32 v18, v9, v10 offset0:16 offset1:20
	ds_write2st64_b32 v18, v11, v12 offset0:24 offset1:28
	ds_write2st64_b32 v18, v13, v14 offset0:32 offset1:36
	ds_write2st64_b32 v18, v15, v16 offset0:40 offset1:44
	ds_write_b32 v18, v17 offset:12288
	s_waitcnt vmcnt(0) lgkmcnt(0)
	s_barrier
.LBB768_8:
	v_mul_u32_u24_e32 v34, 13, v0
	s_waitcnt vmcnt(0)
	buffer_gl0_inv
	v_cndmask_b32_e64 v32, 0, 1, s1
	s_sub_i32 s33, s2, s4
	s_andn2_b32 vcc_lo, exec_lo, s1
	v_lshlrev_b32_e32 v5, 2, v34
	ds_read_b32 v33, v5 offset:48
	ds_read2_b32 v[13:14], v5 offset0:10 offset1:11
	ds_read2_b32 v[15:16], v5 offset0:8 offset1:9
	ds_read2_b32 v[17:18], v5 offset0:6 offset1:7
	ds_read2_b32 v[19:20], v5 offset0:4 offset1:5
	ds_read2_b32 v[23:24], v5 offset1:1
	ds_read2_b32 v[21:22], v5 offset0:2 offset1:3
	s_waitcnt lgkmcnt(0)
	s_barrier
	buffer_gl0_inv
	s_cbranch_vccnz .LBB768_36
; %bb.9:
	v_add_nc_u32_e32 v5, s17, v23
	v_add_nc_u32_e32 v6, s19, v23
	s_mov_b32 s41, 0
	s_mov_b32 s40, 0
	s_mov_b32 s2, exec_lo
	v_mul_lo_u32 v5, v5, s16
	v_mul_lo_u32 v6, v6, s18
	v_sub_nc_u32_e32 v5, v5, v6
	v_cmp_lt_u32_e32 vcc_lo, s20, v5
	v_cmpx_ge_u32_e64 s20, v5
	s_cbranch_execz .LBB768_11
; %bb.10:
	v_add_nc_u32_e32 v5, s22, v23
	v_add_nc_u32_e32 v6, s38, v23
	v_mul_lo_u32 v5, v5, s21
	v_mul_lo_u32 v6, v6, s23
	v_sub_nc_u32_e32 v5, v5, v6
	v_cmp_lt_u32_e64 s1, s39, v5
	s_and_b32 s40, s1, exec_lo
.LBB768_11:
	s_or_b32 exec_lo, exec_lo, s2
	v_add_nc_u32_e32 v5, s17, v24
	v_add_nc_u32_e32 v6, s19, v24
	s_mov_b32 s3, exec_lo
	v_mul_lo_u32 v5, v5, s16
	v_mul_lo_u32 v6, v6, s18
	v_sub_nc_u32_e32 v5, v5, v6
	v_cmp_lt_u32_e64 s1, s20, v5
	v_cmpx_ge_u32_e64 s20, v5
	s_cbranch_execz .LBB768_13
; %bb.12:
	v_add_nc_u32_e32 v5, s22, v24
	v_add_nc_u32_e32 v6, s38, v24
	v_mul_lo_u32 v5, v5, s21
	v_mul_lo_u32 v6, v6, s23
	v_sub_nc_u32_e32 v5, v5, v6
	v_cmp_lt_u32_e64 s2, s39, v5
	s_and_b32 s41, s2, exec_lo
.LBB768_13:
	s_or_b32 exec_lo, exec_lo, s3
	v_add_nc_u32_e32 v5, s17, v21
	v_add_nc_u32_e32 v6, s19, v21
	s_mov_b32 s43, 0
	s_mov_b32 s42, 0
	s_mov_b32 s4, exec_lo
	v_mul_lo_u32 v5, v5, s16
	v_mul_lo_u32 v6, v6, s18
	v_sub_nc_u32_e32 v5, v5, v6
	v_cmp_lt_u32_e64 s2, s20, v5
	v_cmpx_ge_u32_e64 s20, v5
	s_cbranch_execz .LBB768_15
; %bb.14:
	v_add_nc_u32_e32 v5, s22, v21
	v_add_nc_u32_e32 v6, s38, v21
	v_mul_lo_u32 v5, v5, s21
	v_mul_lo_u32 v6, v6, s23
	v_sub_nc_u32_e32 v5, v5, v6
	v_cmp_lt_u32_e64 s3, s39, v5
	s_and_b32 s42, s3, exec_lo
.LBB768_15:
	s_or_b32 exec_lo, exec_lo, s4
	v_add_nc_u32_e32 v5, s17, v22
	v_add_nc_u32_e32 v6, s19, v22
	s_mov_b32 s5, exec_lo
	v_mul_lo_u32 v5, v5, s16
	v_mul_lo_u32 v6, v6, s18
	v_sub_nc_u32_e32 v5, v5, v6
	v_cmp_lt_u32_e64 s3, s20, v5
	v_cmpx_ge_u32_e64 s20, v5
	s_cbranch_execz .LBB768_17
; %bb.16:
	v_add_nc_u32_e32 v5, s22, v22
	v_add_nc_u32_e32 v6, s38, v22
	v_mul_lo_u32 v5, v5, s21
	v_mul_lo_u32 v6, v6, s23
	v_sub_nc_u32_e32 v5, v5, v6
	v_cmp_lt_u32_e64 s4, s39, v5
	s_and_b32 s43, s4, exec_lo
.LBB768_17:
	s_or_b32 exec_lo, exec_lo, s5
	v_add_nc_u32_e32 v5, s17, v19
	v_add_nc_u32_e32 v6, s19, v19
	s_mov_b32 s45, 0
	s_mov_b32 s44, 0
	s_mov_b32 s6, exec_lo
	v_mul_lo_u32 v5, v5, s16
	v_mul_lo_u32 v6, v6, s18
	v_sub_nc_u32_e32 v5, v5, v6
	v_cmp_lt_u32_e64 s4, s20, v5
	;; [unrolled: 40-line block ×6, first 2 shown]
	v_cmpx_ge_u32_e64 s20, v5
	s_cbranch_execz .LBB768_35
; %bb.34:
	v_add_nc_u32_e32 v5, s22, v33
	v_add_nc_u32_e32 v6, s38, v33
	v_mul_lo_u32 v5, v5, s21
	v_mul_lo_u32 v6, v6, s23
	v_sub_nc_u32_e32 v5, v5, v6
	v_cmp_lt_u32_e64 s13, s39, v5
	s_and_b32 s53, s13, exec_lo
.LBB768_35:
	s_or_b32 exec_lo, exec_lo, s54
	v_cndmask_b32_e64 v6, 0, 1, s1
	v_cndmask_b32_e64 v8, 0, 1, s3
	v_cndmask_b32_e64 v5, 0, 1, vcc_lo
	v_cndmask_b32_e64 v7, 0, 1, s2
	v_cndmask_b32_e64 v10, 0, 1, s5
	v_lshlrev_b16 v6, 8, v6
	v_lshlrev_b16 v8, 8, v8
	v_cndmask_b32_e64 v12, 0, 1, s7
	v_cndmask_b32_e64 v26, 0, 1, s9
	;; [unrolled: 1-line block ×3, first 2 shown]
	v_or_b32_e32 v5, v5, v6
	v_or_b32_sdwa v6, v7, v8 dst_sel:WORD_1 dst_unused:UNUSED_PAD src0_sel:DWORD src1_sel:DWORD
	v_cndmask_b32_e64 v7, 0, 1, s40
	v_cndmask_b32_e64 v9, 0, 1, s4
	;; [unrolled: 1-line block ×11, first 2 shown]
	v_or_b32_sdwa v35, v5, v6 dst_sel:DWORD dst_unused:UNUSED_PAD src0_sel:WORD_0 src1_sel:DWORD
	v_lshlrev_b16 v5, 8, v10
	v_lshlrev_b16 v6, 8, v12
	;; [unrolled: 1-line block ×5, first 2 shown]
	v_cndmask_b32_e64 v30, 0, 1, s49
	v_cndmask_b32_e64 v37, 0, 1, s47
	;; [unrolled: 1-line block ×5, first 2 shown]
	v_or_b32_e32 v5, v9, v5
	v_or_b32_sdwa v6, v11, v6 dst_sel:WORD_1 dst_unused:UNUSED_PAD src0_sel:DWORD src1_sel:DWORD
	v_or_b32_e32 v9, v25, v10
	v_or_b32_sdwa v10, v27, v12 dst_sel:WORD_1 dst_unused:UNUSED_PAD src0_sel:DWORD src1_sel:DWORD
	v_or_b32_e32 v7, v8, v7
	v_lshlrev_b16 v8, 8, v44
	v_lshlrev_b16 v11, 8, v41
	;; [unrolled: 1-line block ×5, first 2 shown]
	v_or_b32_sdwa v8, v45, v8 dst_sel:WORD_1 dst_unused:UNUSED_PAD src0_sel:DWORD src1_sel:DWORD
	v_or_b32_e32 v11, v43, v11
	v_or_b32_sdwa v12, v40, v12 dst_sel:WORD_1 dst_unused:UNUSED_PAD src0_sel:DWORD src1_sel:DWORD
	v_or_b32_e32 v25, v37, v25
	v_or_b32_sdwa v26, v30, v26 dst_sel:WORD_1 dst_unused:UNUSED_PAD src0_sel:DWORD src1_sel:DWORD
	v_cndmask_b32_e64 v39, 0, 1, s51
	v_cndmask_b32_e64 v42, 0, 1, s53
	v_or_b32_sdwa v37, v5, v6 dst_sel:DWORD dst_unused:UNUSED_PAD src0_sel:WORD_0 src1_sel:DWORD
	v_or_b32_sdwa v40, v9, v10 dst_sel:DWORD dst_unused:UNUSED_PAD src0_sel:WORD_0 src1_sel:DWORD
	;; [unrolled: 1-line block ×5, first 2 shown]
	s_and_b32 vcc_lo, exec_lo, s50
	s_add_i32 s5, s33, 0xd00
	s_cbranch_vccnz .LBB768_37
	s_branch .LBB768_114
.LBB768_36:
                                        ; implicit-def: $vgpr42
                                        ; implicit-def: $vgpr39
                                        ; implicit-def: $vgpr38
                                        ; implicit-def: $vgpr36
                                        ; implicit-def: $vgpr41
                                        ; implicit-def: $vgpr40
                                        ; implicit-def: $vgpr37
                                        ; implicit-def: $vgpr35
	s_add_i32 s5, s33, 0xd00
	s_cbranch_execz .LBB768_114
.LBB768_37:
	v_mov_b32_e32 v6, 0
	v_mov_b32_e32 v5, 0
	s_mov_b32 s2, exec_lo
	v_cmpx_gt_u32_e64 s5, v34
	s_cbranch_execz .LBB768_41
; %bb.38:
	v_add_nc_u32_e32 v5, s17, v23
	v_add_nc_u32_e32 v6, s19, v23
	s_mov_b32 s4, 0
	s_mov_b32 s3, exec_lo
	v_mul_lo_u32 v5, v5, s16
	v_mul_lo_u32 v6, v6, s18
	v_sub_nc_u32_e32 v5, v5, v6
	v_cmp_lt_u32_e32 vcc_lo, s20, v5
	v_cmpx_ge_u32_e64 s20, v5
	s_cbranch_execz .LBB768_40
; %bb.39:
	v_add_nc_u32_e32 v5, s22, v23
	v_add_nc_u32_e32 v6, s38, v23
	v_mul_lo_u32 v5, v5, s21
	v_mul_lo_u32 v6, v6, s23
	v_sub_nc_u32_e32 v5, v5, v6
	v_cmp_lt_u32_e64 s1, s39, v5
	s_and_b32 s4, s1, exec_lo
.LBB768_40:
	s_or_b32 exec_lo, exec_lo, s3
	v_cndmask_b32_e64 v6, 0, 1, s4
	v_cndmask_b32_e64 v5, 0, 1, vcc_lo
.LBB768_41:
	s_or_b32 exec_lo, exec_lo, s2
	v_add_nc_u32_e32 v7, 1, v34
	v_lshlrev_b16 v25, 8, v6
	v_and_b32_e32 v10, 0xff, v5
	v_lshlrev_b16 v11, 8, 0
                                        ; implicit-def: $vgpr9
                                        ; implicit-def: $vgpr12
                                        ; implicit-def: $vgpr6
                                        ; implicit-def: $vgpr8
	v_cmp_le_u32_e32 vcc_lo, s5, v7
                                        ; implicit-def: $vgpr7
	s_and_saveexec_b32 s1, vcc_lo
	s_xor_b32 s1, exec_lo, s1
	s_cbranch_execz .LBB768_43
; %bb.42:
	v_mov_b32_e32 v5, 8
	v_mov_b32_e32 v6, 0xff
	;; [unrolled: 1-line block ×3, first 2 shown]
	v_and_b32_e32 v8, 0xffff, v11
	v_and_b32_e32 v7, 0xffff, v11
	v_lshrrev_b32_sdwa v5, v5, v25 dst_sel:BYTE_1 dst_unused:UNUSED_PAD src0_sel:DWORD src1_sel:WORD_0
	v_and_b32_sdwa v6, v25, v6 dst_sel:DWORD dst_unused:UNUSED_PAD src0_sel:WORD_0 src1_sel:DWORD
                                        ; implicit-def: $vgpr25
	v_or_b32_e32 v5, v6, v5
	v_and_b32_e32 v6, 0xffff, v11
                                        ; implicit-def: $vgpr11
	v_and_b32_e32 v12, 0xffff, v5
                                        ; implicit-def: $vgpr5
.LBB768_43:
	s_andn2_saveexec_b32 s2, s1
	s_cbranch_execz .LBB768_47
; %bb.44:
	v_add_nc_u32_e32 v6, s17, v24
	v_add_nc_u32_e32 v7, s19, v24
	s_mov_b32 s3, 0
	s_mov_b32 s4, exec_lo
	v_mul_lo_u32 v6, v6, s16
	v_mul_lo_u32 v7, v7, s18
	v_sub_nc_u32_e32 v6, v6, v7
	v_cmp_lt_u32_e32 vcc_lo, s20, v6
	v_cmpx_ge_u32_e64 s20, v6
	s_cbranch_execz .LBB768_46
; %bb.45:
	v_add_nc_u32_e32 v6, s22, v24
	v_add_nc_u32_e32 v7, s38, v24
	v_mul_lo_u32 v6, v6, s21
	v_mul_lo_u32 v7, v7, s23
	v_sub_nc_u32_e32 v6, v6, v7
	v_cmp_lt_u32_e64 s1, s39, v6
	s_and_b32 s3, s1, exec_lo
.LBB768_46:
	s_or_b32 exec_lo, exec_lo, s4
	v_mov_b32_e32 v6, 0xff
	v_mov_b32_e32 v7, 8
	v_cndmask_b32_e64 v8, 0, 1, vcc_lo
	v_mov_b32_e32 v9, 0
	v_and_b32_sdwa v6, v25, v6 dst_sel:DWORD dst_unused:UNUSED_PAD src0_sel:WORD_0 src1_sel:DWORD
	v_lshrrev_b32_sdwa v7, v7, v25 dst_sel:BYTE_1 dst_unused:UNUSED_PAD src0_sel:DWORD src1_sel:WORD_0
	v_lshlrev_b16 v8, 8, v8
	v_or_b32_e32 v6, v6, v7
	v_cndmask_b32_e64 v7, 0, 1, s3
	v_or_b32_sdwa v5, v5, v8 dst_sel:DWORD dst_unused:UNUSED_PAD src0_sel:BYTE_0 src1_sel:DWORD
	v_and_b32_e32 v8, 0xffff, v11
	v_and_b32_e32 v12, 0xffff, v6
	v_mov_b32_e32 v6, 0
	v_and_b32_e32 v10, 0xffff, v5
	v_lshl_or_b32 v12, v7, 16, v12
	v_and_b32_e32 v7, 0xffff, v11
.LBB768_47:
	s_or_b32 exec_lo, exec_lo, s2
	v_add_nc_u32_e32 v5, 2, v34
                                        ; implicit-def: $vgpr11
	v_cmp_le_u32_e32 vcc_lo, s5, v5
                                        ; implicit-def: $vgpr5
	s_and_saveexec_b32 s1, vcc_lo
	s_xor_b32 s1, exec_lo, s1
	s_cbranch_execz .LBB768_49
; %bb.48:
	v_lshrrev_b32_e32 v5, 24, v10
	v_mov_b32_e32 v11, 8
	v_and_b32_e32 v25, 0xff0000, v12
	v_perm_b32 v8, v8, v8, 0x3060504
	v_perm_b32 v5, v5, v10, 0x40c0100
	v_lshrrev_b32_sdwa v10, v11, v5 dst_sel:BYTE_1 dst_unused:UNUSED_PAD src0_sel:DWORD src1_sel:DWORD
	v_or_b32_sdwa v10, v5, v10 dst_sel:DWORD dst_unused:UNUSED_PAD src0_sel:BYTE_0 src1_sel:DWORD
	v_and_b32_e32 v10, 0xffff, v10
	v_and_or_b32 v11, 0xff000000, v5, v10
	v_perm_b32 v5, v12, v25, 0x3020504
                                        ; implicit-def: $vgpr10
                                        ; implicit-def: $vgpr12
.LBB768_49:
	s_andn2_saveexec_b32 s2, s1
	s_cbranch_execz .LBB768_53
; %bb.50:
	v_add_nc_u32_e32 v5, s17, v21
	v_add_nc_u32_e32 v11, s19, v21
	s_mov_b32 s3, 0
	s_mov_b32 s4, exec_lo
	v_mul_lo_u32 v5, v5, s16
	v_mul_lo_u32 v11, v11, s18
	v_sub_nc_u32_e32 v5, v5, v11
	v_cmp_lt_u32_e32 vcc_lo, s20, v5
	v_cmpx_ge_u32_e64 s20, v5
	s_cbranch_execz .LBB768_52
; %bb.51:
	v_add_nc_u32_e32 v5, s22, v21
	v_add_nc_u32_e32 v11, s38, v21
	v_mul_lo_u32 v5, v5, s21
	v_mul_lo_u32 v11, v11, s23
	v_sub_nc_u32_e32 v5, v5, v11
	v_cmp_lt_u32_e64 s1, s39, v5
	s_and_b32 s3, s1, exec_lo
.LBB768_52:
	s_or_b32 exec_lo, exec_lo, s4
	v_mov_b32_e32 v5, 8
	v_mov_b32_e32 v11, 24
	v_cndmask_b32_e64 v26, 0, 1, s3
	v_mov_b32_e32 v27, 0xff
	v_cndmask_b32_e64 v25, 0, 1, vcc_lo
	v_lshrrev_b32_sdwa v28, v5, v10 dst_sel:BYTE_1 dst_unused:UNUSED_PAD src0_sel:DWORD src1_sel:DWORD
	v_lshrrev_b32_sdwa v11, v11, v10 dst_sel:BYTE_1 dst_unused:UNUSED_PAD src0_sel:DWORD src1_sel:DWORD
	;; [unrolled: 1-line block ×3, first 2 shown]
	v_lshlrev_b16 v26, 8, v26
	v_and_b32_sdwa v27, v12, v27 dst_sel:DWORD dst_unused:UNUSED_PAD src0_sel:WORD_1 src1_sel:DWORD
	v_or_b32_sdwa v10, v10, v28 dst_sel:DWORD dst_unused:UNUSED_PAD src0_sel:BYTE_0 src1_sel:DWORD
	v_or_b32_sdwa v11, v25, v11 dst_sel:WORD_1 dst_unused:UNUSED_PAD src0_sel:DWORD src1_sel:DWORD
	v_or_b32_sdwa v5, v12, v5 dst_sel:DWORD dst_unused:UNUSED_PAD src0_sel:BYTE_0 src1_sel:DWORD
	v_or_b32_sdwa v12, v27, v26 dst_sel:WORD_1 dst_unused:UNUSED_PAD src0_sel:DWORD src1_sel:DWORD
	v_or_b32_sdwa v11, v10, v11 dst_sel:DWORD dst_unused:UNUSED_PAD src0_sel:WORD_0 src1_sel:DWORD
	v_or_b32_sdwa v5, v5, v12 dst_sel:DWORD dst_unused:UNUSED_PAD src0_sel:WORD_0 src1_sel:DWORD
.LBB768_53:
	s_or_b32 exec_lo, exec_lo, s2
	v_add_nc_u32_e32 v10, 3, v34
                                        ; implicit-def: $vgpr35
	v_cmp_le_u32_e32 vcc_lo, s5, v10
                                        ; implicit-def: $vgpr10
	s_and_saveexec_b32 s1, vcc_lo
	s_xor_b32 s1, exec_lo, s1
	s_cbranch_execz .LBB768_55
; %bb.54:
	v_mov_b32_e32 v10, 24
	v_mov_b32_e32 v12, 0xff
	;; [unrolled: 1-line block ×3, first 2 shown]
	v_and_b32_e32 v26, 0xff0000, v11
	v_perm_b32 v8, v8, v8, 0x3060504
	v_lshrrev_b32_sdwa v10, v10, v9 dst_sel:BYTE_1 dst_unused:UNUSED_PAD src0_sel:DWORD src1_sel:DWORD
	v_and_b32_sdwa v12, v9, v12 dst_sel:DWORD dst_unused:UNUSED_PAD src0_sel:WORD_1 src1_sel:DWORD
	v_lshrrev_b32_sdwa v9, v25, v9 dst_sel:BYTE_1 dst_unused:UNUSED_PAD src0_sel:DWORD src1_sel:DWORD
	v_perm_b32 v35, v11, v26, 0x3020504
	v_perm_b32 v7, v7, v7, 0x3060504
                                        ; implicit-def: $vgpr11
	v_or_b32_sdwa v10, v12, v10 dst_sel:WORD_1 dst_unused:UNUSED_PAD src0_sel:DWORD src1_sel:DWORD
	v_or_b32_sdwa v10, v9, v10 dst_sel:DWORD dst_unused:UNUSED_PAD src0_sel:WORD_0 src1_sel:DWORD
                                        ; implicit-def: $vgpr9
.LBB768_55:
	s_andn2_saveexec_b32 s2, s1
	s_cbranch_execz .LBB768_59
; %bb.56:
	v_add_nc_u32_e32 v10, s17, v22
	v_add_nc_u32_e32 v12, s19, v22
	s_mov_b32 s3, 0
	s_mov_b32 s4, exec_lo
	v_mul_lo_u32 v10, v10, s16
	v_mul_lo_u32 v12, v12, s18
	v_sub_nc_u32_e32 v10, v10, v12
	v_cmp_lt_u32_e32 vcc_lo, s20, v10
	v_cmpx_ge_u32_e64 s20, v10
	s_cbranch_execz .LBB768_58
; %bb.57:
	v_add_nc_u32_e32 v10, s22, v22
	v_add_nc_u32_e32 v12, s38, v22
	v_mul_lo_u32 v10, v10, s21
	v_mul_lo_u32 v12, v12, s23
	v_sub_nc_u32_e32 v10, v10, v12
	v_cmp_lt_u32_e64 s1, s39, v10
	s_and_b32 s3, s1, exec_lo
.LBB768_58:
	s_or_b32 exec_lo, exec_lo, s4
	v_mov_b32_e32 v10, 8
	v_cndmask_b32_e64 v12, 0, 1, vcc_lo
	v_mov_b32_e32 v25, 0xff
	v_mov_b32_e32 v26, 24
	v_cndmask_b32_e64 v27, 0, 1, s3
	v_lshrrev_b32_sdwa v28, v10, v11 dst_sel:BYTE_1 dst_unused:UNUSED_PAD src0_sel:DWORD src1_sel:DWORD
	v_lshlrev_b16 v12, 8, v12
	v_and_b32_sdwa v29, v11, v25 dst_sel:DWORD dst_unused:UNUSED_PAD src0_sel:WORD_1 src1_sel:DWORD
	v_lshrrev_b32_sdwa v26, v26, v9 dst_sel:BYTE_1 dst_unused:UNUSED_PAD src0_sel:DWORD src1_sel:DWORD
	v_and_b32_sdwa v25, v9, v25 dst_sel:DWORD dst_unused:UNUSED_PAD src0_sel:WORD_1 src1_sel:DWORD
	v_lshrrev_b32_sdwa v9, v10, v9 dst_sel:BYTE_1 dst_unused:UNUSED_PAD src0_sel:DWORD src1_sel:DWORD
	v_or_b32_sdwa v10, v11, v28 dst_sel:DWORD dst_unused:UNUSED_PAD src0_sel:BYTE_0 src1_sel:DWORD
	v_or_b32_sdwa v11, v29, v12 dst_sel:WORD_1 dst_unused:UNUSED_PAD src0_sel:DWORD src1_sel:DWORD
	v_or_b32_sdwa v12, v25, v26 dst_sel:WORD_1 dst_unused:UNUSED_PAD src0_sel:DWORD src1_sel:DWORD
	v_or_b32_e32 v9, v27, v9
	v_or_b32_sdwa v35, v10, v11 dst_sel:DWORD dst_unused:UNUSED_PAD src0_sel:WORD_0 src1_sel:DWORD
	v_or_b32_sdwa v10, v9, v12 dst_sel:DWORD dst_unused:UNUSED_PAD src0_sel:WORD_0 src1_sel:DWORD
.LBB768_59:
	s_or_b32 exec_lo, exec_lo, s2
	v_add_nc_u32_e32 v9, 4, v34
                                        ; implicit-def: $vgpr11
	v_cmp_le_u32_e32 vcc_lo, s5, v9
                                        ; implicit-def: $vgpr9
	s_and_saveexec_b32 s1, vcc_lo
	s_xor_b32 s1, exec_lo, s1
	s_cbranch_execz .LBB768_61
; %bb.60:
	v_mov_b32_e32 v9, 24
	v_mov_b32_e32 v11, 0xff
	;; [unrolled: 1-line block ×3, first 2 shown]
	v_perm_b32 v7, v7, v7, 0x3060504
	v_lshrrev_b32_sdwa v25, v9, v8 dst_sel:BYTE_1 dst_unused:UNUSED_PAD src0_sel:DWORD src1_sel:DWORD
	v_and_b32_sdwa v26, v8, v11 dst_sel:DWORD dst_unused:UNUSED_PAD src0_sel:WORD_1 src1_sel:DWORD
	v_lshrrev_b32_sdwa v9, v9, v10 dst_sel:BYTE_1 dst_unused:UNUSED_PAD src0_sel:DWORD src1_sel:DWORD
	v_and_b32_sdwa v11, v10, v11 dst_sel:DWORD dst_unused:UNUSED_PAD src0_sel:WORD_1 src1_sel:DWORD
	v_lshrrev_b32_sdwa v8, v12, v8 dst_sel:BYTE_1 dst_unused:UNUSED_PAD src0_sel:DWORD src1_sel:DWORD
	v_or_b32_sdwa v12, v26, v25 dst_sel:WORD_1 dst_unused:UNUSED_PAD src0_sel:DWORD src1_sel:DWORD
	v_or_b32_e32 v11, v11, v9
	v_or_b32_sdwa v9, v8, v12 dst_sel:DWORD dst_unused:UNUSED_PAD src0_sel:WORD_0 src1_sel:DWORD
                                        ; implicit-def: $vgpr8
	v_perm_b32 v11, v11, v10, 0x5040c00
                                        ; implicit-def: $vgpr10
.LBB768_61:
	s_andn2_saveexec_b32 s2, s1
	s_cbranch_execz .LBB768_65
; %bb.62:
	v_add_nc_u32_e32 v9, s17, v19
	v_add_nc_u32_e32 v11, s19, v19
	s_mov_b32 s3, 0
	s_mov_b32 s4, exec_lo
	v_mul_lo_u32 v9, v9, s16
	v_mul_lo_u32 v11, v11, s18
	v_sub_nc_u32_e32 v9, v9, v11
	v_cmp_lt_u32_e32 vcc_lo, s20, v9
	v_cmpx_ge_u32_e64 s20, v9
	s_cbranch_execz .LBB768_64
; %bb.63:
	v_add_nc_u32_e32 v9, s22, v19
	v_add_nc_u32_e32 v11, s38, v19
	v_mul_lo_u32 v9, v9, s21
	v_mul_lo_u32 v11, v11, s23
	v_sub_nc_u32_e32 v9, v9, v11
	v_cmp_lt_u32_e64 s1, s39, v9
	s_and_b32 s3, s1, exec_lo
.LBB768_64:
	s_or_b32 exec_lo, exec_lo, s4
	v_mov_b32_e32 v9, 24
	v_mov_b32_e32 v11, 0xff
	;; [unrolled: 1-line block ×3, first 2 shown]
	v_cndmask_b32_e64 v25, 0, 1, s3
	v_cndmask_b32_e64 v26, 0, 1, vcc_lo
	v_lshrrev_b32_sdwa v27, v9, v8 dst_sel:BYTE_1 dst_unused:UNUSED_PAD src0_sel:DWORD src1_sel:DWORD
	v_and_b32_sdwa v28, v8, v11 dst_sel:DWORD dst_unused:UNUSED_PAD src0_sel:WORD_1 src1_sel:DWORD
	v_lshrrev_b32_sdwa v8, v12, v8 dst_sel:BYTE_1 dst_unused:UNUSED_PAD src0_sel:DWORD src1_sel:DWORD
	v_lshlrev_b16 v12, 8, v25
	v_lshrrev_b32_sdwa v9, v9, v10 dst_sel:BYTE_1 dst_unused:UNUSED_PAD src0_sel:DWORD src1_sel:DWORD
	v_and_b32_sdwa v11, v10, v11 dst_sel:DWORD dst_unused:UNUSED_PAD src0_sel:WORD_1 src1_sel:DWORD
	v_or_b32_sdwa v25, v28, v27 dst_sel:WORD_1 dst_unused:UNUSED_PAD src0_sel:DWORD src1_sel:DWORD
	v_or_b32_e32 v8, v26, v8
	v_or_b32_sdwa v10, v10, v12 dst_sel:DWORD dst_unused:UNUSED_PAD src0_sel:BYTE_0 src1_sel:DWORD
	v_or_b32_sdwa v11, v11, v9 dst_sel:WORD_1 dst_unused:UNUSED_PAD src0_sel:DWORD src1_sel:DWORD
	v_or_b32_sdwa v9, v8, v25 dst_sel:DWORD dst_unused:UNUSED_PAD src0_sel:WORD_0 src1_sel:DWORD
	v_or_b32_sdwa v11, v10, v11 dst_sel:DWORD dst_unused:UNUSED_PAD src0_sel:WORD_0 src1_sel:DWORD
.LBB768_65:
	s_or_b32 exec_lo, exec_lo, s2
	v_add_nc_u32_e32 v8, 5, v34
                                        ; implicit-def: $vgpr10
	v_cmp_le_u32_e32 vcc_lo, s5, v8
                                        ; implicit-def: $vgpr8
	s_and_saveexec_b32 s1, vcc_lo
	s_xor_b32 s1, exec_lo, s1
	s_cbranch_execz .LBB768_67
; %bb.66:
	v_lshrrev_b32_e32 v8, 24, v11
	v_mov_b32_e32 v10, 8
	v_mov_b32_e32 v12, 0xff
	v_perm_b32 v7, v7, v7, 0x3060504
	v_perm_b32 v8, v8, v11, 0x40c0100
	v_mov_b32_e32 v11, 24
	v_and_b32_sdwa v12, v9, v12 dst_sel:DWORD dst_unused:UNUSED_PAD src0_sel:WORD_1 src1_sel:DWORD
	v_lshrrev_b32_sdwa v10, v10, v8 dst_sel:BYTE_1 dst_unused:UNUSED_PAD src0_sel:DWORD src1_sel:DWORD
	v_lshrrev_b32_sdwa v11, v11, v9 dst_sel:BYTE_1 dst_unused:UNUSED_PAD src0_sel:DWORD src1_sel:DWORD
	v_or_b32_sdwa v10, v8, v10 dst_sel:DWORD dst_unused:UNUSED_PAD src0_sel:BYTE_0 src1_sel:DWORD
	v_or_b32_e32 v11, v12, v11
	v_and_b32_e32 v12, 0xffff, v10
	v_perm_b32 v10, v11, v9, 0x5040c00
                                        ; implicit-def: $vgpr9
                                        ; implicit-def: $vgpr11
	v_and_or_b32 v8, 0xff000000, v8, v12
.LBB768_67:
	s_andn2_saveexec_b32 s2, s1
	s_cbranch_execz .LBB768_71
; %bb.68:
	v_add_nc_u32_e32 v8, s17, v20
	v_add_nc_u32_e32 v10, s19, v20
	s_mov_b32 s3, 0
	s_mov_b32 s4, exec_lo
	v_mul_lo_u32 v8, v8, s16
	v_mul_lo_u32 v10, v10, s18
	v_sub_nc_u32_e32 v8, v8, v10
	v_cmp_lt_u32_e32 vcc_lo, s20, v8
	v_cmpx_ge_u32_e64 s20, v8
	s_cbranch_execz .LBB768_70
; %bb.69:
	v_add_nc_u32_e32 v8, s22, v20
	v_add_nc_u32_e32 v10, s38, v20
	v_mul_lo_u32 v8, v8, s21
	v_mul_lo_u32 v10, v10, s23
	v_sub_nc_u32_e32 v8, v8, v10
	v_cmp_lt_u32_e64 s1, s39, v8
	s_and_b32 s3, s1, exec_lo
.LBB768_70:
	s_or_b32 exec_lo, exec_lo, s4
	v_cndmask_b32_e64 v8, 0, 1, vcc_lo
	v_mov_b32_e32 v10, 24
	v_mov_b32_e32 v12, 0xff
	;; [unrolled: 1-line block ×3, first 2 shown]
	v_cndmask_b32_e64 v26, 0, 1, s3
	v_lshlrev_b16 v8, 8, v8
	v_lshrrev_b32_sdwa v27, v10, v9 dst_sel:BYTE_1 dst_unused:UNUSED_PAD src0_sel:DWORD src1_sel:DWORD
	v_and_b32_sdwa v12, v9, v12 dst_sel:DWORD dst_unused:UNUSED_PAD src0_sel:WORD_1 src1_sel:DWORD
	v_lshrrev_b32_sdwa v25, v25, v11 dst_sel:BYTE_1 dst_unused:UNUSED_PAD src0_sel:DWORD src1_sel:DWORD
	v_lshrrev_b32_sdwa v10, v10, v11 dst_sel:BYTE_1 dst_unused:UNUSED_PAD src0_sel:DWORD src1_sel:DWORD
	v_or_b32_sdwa v8, v9, v8 dst_sel:DWORD dst_unused:UNUSED_PAD src0_sel:BYTE_0 src1_sel:DWORD
	v_or_b32_sdwa v9, v12, v27 dst_sel:WORD_1 dst_unused:UNUSED_PAD src0_sel:DWORD src1_sel:DWORD
	v_or_b32_sdwa v11, v11, v25 dst_sel:DWORD dst_unused:UNUSED_PAD src0_sel:BYTE_0 src1_sel:DWORD
	v_or_b32_sdwa v12, v26, v10 dst_sel:WORD_1 dst_unused:UNUSED_PAD src0_sel:DWORD src1_sel:DWORD
	v_or_b32_sdwa v10, v8, v9 dst_sel:DWORD dst_unused:UNUSED_PAD src0_sel:WORD_0 src1_sel:DWORD
	v_or_b32_sdwa v8, v11, v12 dst_sel:DWORD dst_unused:UNUSED_PAD src0_sel:WORD_0 src1_sel:DWORD
.LBB768_71:
	s_or_b32 exec_lo, exec_lo, s2
	v_add_nc_u32_e32 v9, 6, v34
                                        ; implicit-def: $vgpr36
	v_cmp_le_u32_e32 vcc_lo, s5, v9
                                        ; implicit-def: $vgpr9
	s_and_saveexec_b32 s1, vcc_lo
	s_xor_b32 s1, exec_lo, s1
	s_cbranch_execz .LBB768_73
; %bb.72:
	v_lshrrev_b32_e32 v9, 24, v10
	v_mov_b32_e32 v11, 8
	v_perm_b32 v7, v7, v7, 0x3060504
	v_perm_b32 v9, v9, v10, 0x40c0100
	v_lshrrev_b32_sdwa v10, v11, v9 dst_sel:BYTE_1 dst_unused:UNUSED_PAD src0_sel:DWORD src1_sel:DWORD
	v_and_b32_e32 v11, 0xff0000, v8
	v_or_b32_sdwa v10, v9, v10 dst_sel:DWORD dst_unused:UNUSED_PAD src0_sel:BYTE_0 src1_sel:DWORD
	v_perm_b32 v36, v8, v11, 0x3020504
                                        ; implicit-def: $vgpr8
	v_and_b32_e32 v10, 0xffff, v10
	v_and_or_b32 v9, 0xff000000, v9, v10
                                        ; implicit-def: $vgpr10
.LBB768_73:
	s_andn2_saveexec_b32 s2, s1
	s_cbranch_execz .LBB768_77
; %bb.74:
	v_add_nc_u32_e32 v9, s17, v17
	v_add_nc_u32_e32 v11, s19, v17
	s_mov_b32 s3, 0
	s_mov_b32 s4, exec_lo
	v_mul_lo_u32 v9, v9, s16
	v_mul_lo_u32 v11, v11, s18
	v_sub_nc_u32_e32 v9, v9, v11
	v_cmp_lt_u32_e32 vcc_lo, s20, v9
	v_cmpx_ge_u32_e64 s20, v9
	s_cbranch_execz .LBB768_76
; %bb.75:
	v_add_nc_u32_e32 v9, s22, v17
	v_add_nc_u32_e32 v11, s38, v17
	v_mul_lo_u32 v9, v9, s21
	v_mul_lo_u32 v11, v11, s23
	v_sub_nc_u32_e32 v9, v9, v11
	v_cmp_lt_u32_e64 s1, s39, v9
	s_and_b32 s3, s1, exec_lo
.LBB768_76:
	s_or_b32 exec_lo, exec_lo, s4
	v_mov_b32_e32 v9, 8
	v_mov_b32_e32 v11, 24
	v_cndmask_b32_e64 v25, 0, 1, s3
	v_mov_b32_e32 v26, 0xff
	v_cndmask_b32_e64 v12, 0, 1, vcc_lo
	v_lshrrev_b32_sdwa v27, v9, v10 dst_sel:BYTE_1 dst_unused:UNUSED_PAD src0_sel:DWORD src1_sel:DWORD
	v_lshrrev_b32_sdwa v11, v11, v10 dst_sel:BYTE_1 dst_unused:UNUSED_PAD src0_sel:DWORD src1_sel:DWORD
	;; [unrolled: 1-line block ×3, first 2 shown]
	v_lshlrev_b16 v25, 8, v25
	v_and_b32_sdwa v26, v8, v26 dst_sel:DWORD dst_unused:UNUSED_PAD src0_sel:WORD_1 src1_sel:DWORD
	v_or_b32_sdwa v10, v10, v27 dst_sel:DWORD dst_unused:UNUSED_PAD src0_sel:BYTE_0 src1_sel:DWORD
	v_or_b32_sdwa v11, v12, v11 dst_sel:WORD_1 dst_unused:UNUSED_PAD src0_sel:DWORD src1_sel:DWORD
	v_or_b32_sdwa v8, v8, v9 dst_sel:DWORD dst_unused:UNUSED_PAD src0_sel:BYTE_0 src1_sel:DWORD
	v_or_b32_sdwa v12, v26, v25 dst_sel:WORD_1 dst_unused:UNUSED_PAD src0_sel:DWORD src1_sel:DWORD
	v_or_b32_sdwa v9, v10, v11 dst_sel:DWORD dst_unused:UNUSED_PAD src0_sel:WORD_0 src1_sel:DWORD
	v_or_b32_sdwa v36, v8, v12 dst_sel:DWORD dst_unused:UNUSED_PAD src0_sel:WORD_0 src1_sel:DWORD
.LBB768_77:
	s_or_b32 exec_lo, exec_lo, s2
	v_add_nc_u32_e32 v8, 7, v34
                                        ; implicit-def: $vgpr37
	v_cmp_le_u32_e32 vcc_lo, s5, v8
                                        ; implicit-def: $vgpr8
	s_and_saveexec_b32 s1, vcc_lo
	s_xor_b32 s1, exec_lo, s1
	s_cbranch_execz .LBB768_79
; %bb.78:
	v_mov_b32_e32 v8, 24
	v_mov_b32_e32 v10, 0xff
	;; [unrolled: 1-line block ×3, first 2 shown]
	v_lshrrev_b32_sdwa v8, v8, v7 dst_sel:BYTE_1 dst_unused:UNUSED_PAD src0_sel:DWORD src1_sel:DWORD
	v_and_b32_sdwa v10, v7, v10 dst_sel:DWORD dst_unused:UNUSED_PAD src0_sel:WORD_1 src1_sel:DWORD
	v_lshrrev_b32_sdwa v7, v11, v7 dst_sel:BYTE_1 dst_unused:UNUSED_PAD src0_sel:DWORD src1_sel:DWORD
	v_and_b32_e32 v11, 0xff0000, v9
	v_or_b32_sdwa v8, v10, v8 dst_sel:WORD_1 dst_unused:UNUSED_PAD src0_sel:DWORD src1_sel:DWORD
	v_perm_b32 v37, v9, v11, 0x3020504
                                        ; implicit-def: $vgpr9
	v_or_b32_sdwa v8, v7, v8 dst_sel:DWORD dst_unused:UNUSED_PAD src0_sel:WORD_0 src1_sel:DWORD
                                        ; implicit-def: $vgpr7
.LBB768_79:
	s_andn2_saveexec_b32 s2, s1
	s_cbranch_execz .LBB768_83
; %bb.80:
	v_add_nc_u32_e32 v8, s17, v18
	v_add_nc_u32_e32 v10, s19, v18
	s_mov_b32 s3, 0
	s_mov_b32 s4, exec_lo
	v_mul_lo_u32 v8, v8, s16
	v_mul_lo_u32 v10, v10, s18
	v_sub_nc_u32_e32 v8, v8, v10
	v_cmp_lt_u32_e32 vcc_lo, s20, v8
	v_cmpx_ge_u32_e64 s20, v8
	s_cbranch_execz .LBB768_82
; %bb.81:
	v_add_nc_u32_e32 v8, s22, v18
	v_add_nc_u32_e32 v10, s38, v18
	v_mul_lo_u32 v8, v8, s21
	v_mul_lo_u32 v10, v10, s23
	v_sub_nc_u32_e32 v8, v8, v10
	v_cmp_lt_u32_e64 s1, s39, v8
	s_and_b32 s3, s1, exec_lo
.LBB768_82:
	s_or_b32 exec_lo, exec_lo, s4
	v_mov_b32_e32 v8, 8
	v_cndmask_b32_e64 v10, 0, 1, vcc_lo
	v_mov_b32_e32 v11, 0xff
	v_mov_b32_e32 v12, 24
	v_cndmask_b32_e64 v25, 0, 1, s3
	v_lshrrev_b32_sdwa v26, v8, v9 dst_sel:BYTE_1 dst_unused:UNUSED_PAD src0_sel:DWORD src1_sel:DWORD
	v_lshlrev_b16 v10, 8, v10
	v_and_b32_sdwa v27, v9, v11 dst_sel:DWORD dst_unused:UNUSED_PAD src0_sel:WORD_1 src1_sel:DWORD
	v_lshrrev_b32_sdwa v12, v12, v7 dst_sel:BYTE_1 dst_unused:UNUSED_PAD src0_sel:DWORD src1_sel:DWORD
	v_and_b32_sdwa v11, v7, v11 dst_sel:DWORD dst_unused:UNUSED_PAD src0_sel:WORD_1 src1_sel:DWORD
	v_lshrrev_b32_sdwa v7, v8, v7 dst_sel:BYTE_1 dst_unused:UNUSED_PAD src0_sel:DWORD src1_sel:DWORD
	v_or_b32_sdwa v8, v9, v26 dst_sel:DWORD dst_unused:UNUSED_PAD src0_sel:BYTE_0 src1_sel:DWORD
	v_or_b32_sdwa v9, v27, v10 dst_sel:WORD_1 dst_unused:UNUSED_PAD src0_sel:DWORD src1_sel:DWORD
	v_or_b32_sdwa v10, v11, v12 dst_sel:WORD_1 dst_unused:UNUSED_PAD src0_sel:DWORD src1_sel:DWORD
	v_or_b32_e32 v7, v25, v7
	v_or_b32_sdwa v37, v8, v9 dst_sel:DWORD dst_unused:UNUSED_PAD src0_sel:WORD_0 src1_sel:DWORD
	v_or_b32_sdwa v8, v7, v10 dst_sel:DWORD dst_unused:UNUSED_PAD src0_sel:WORD_0 src1_sel:DWORD
.LBB768_83:
	s_or_b32 exec_lo, exec_lo, s2
	v_add_nc_u32_e32 v7, 8, v34
                                        ; implicit-def: $vgpr9
	v_cmp_le_u32_e32 vcc_lo, s5, v7
                                        ; implicit-def: $vgpr7
	s_and_saveexec_b32 s1, vcc_lo
	s_xor_b32 s1, exec_lo, s1
	s_cbranch_execz .LBB768_85
; %bb.84:
	v_mov_b32_e32 v7, 24
	v_mov_b32_e32 v9, 0xff
	;; [unrolled: 1-line block ×3, first 2 shown]
	v_perm_b32 v5, v5, v5, 0x3060504
	v_lshrrev_b32_sdwa v11, v7, v8 dst_sel:BYTE_1 dst_unused:UNUSED_PAD src0_sel:DWORD src1_sel:DWORD
	v_lshrrev_b32_sdwa v7, v7, v6 dst_sel:BYTE_1 dst_unused:UNUSED_PAD src0_sel:DWORD src1_sel:DWORD
	v_and_b32_sdwa v12, v6, v9 dst_sel:DWORD dst_unused:UNUSED_PAD src0_sel:WORD_1 src1_sel:DWORD
	v_and_b32_sdwa v9, v8, v9 dst_sel:DWORD dst_unused:UNUSED_PAD src0_sel:WORD_1 src1_sel:DWORD
	v_lshrrev_b32_sdwa v6, v10, v6 dst_sel:BYTE_1 dst_unused:UNUSED_PAD src0_sel:DWORD src1_sel:DWORD
	v_or_b32_sdwa v7, v12, v7 dst_sel:WORD_1 dst_unused:UNUSED_PAD src0_sel:DWORD src1_sel:DWORD
	v_or_b32_e32 v9, v9, v11
	v_or_b32_sdwa v7, v6, v7 dst_sel:DWORD dst_unused:UNUSED_PAD src0_sel:WORD_0 src1_sel:DWORD
	v_perm_b32 v9, v9, v8, 0x5040c00
                                        ; implicit-def: $vgpr6
                                        ; implicit-def: $vgpr8
.LBB768_85:
	s_andn2_saveexec_b32 s2, s1
	s_cbranch_execz .LBB768_89
; %bb.86:
	v_add_nc_u32_e32 v7, s17, v15
	v_add_nc_u32_e32 v9, s19, v15
	s_mov_b32 s3, 0
	s_mov_b32 s4, exec_lo
	v_mul_lo_u32 v7, v7, s16
	v_mul_lo_u32 v9, v9, s18
	v_sub_nc_u32_e32 v7, v7, v9
	v_cmp_lt_u32_e32 vcc_lo, s20, v7
	v_cmpx_ge_u32_e64 s20, v7
	s_cbranch_execz .LBB768_88
; %bb.87:
	v_add_nc_u32_e32 v7, s22, v15
	v_add_nc_u32_e32 v9, s38, v15
	v_mul_lo_u32 v7, v7, s21
	v_mul_lo_u32 v9, v9, s23
	v_sub_nc_u32_e32 v7, v7, v9
	v_cmp_lt_u32_e64 s1, s39, v7
	s_and_b32 s3, s1, exec_lo
.LBB768_88:
	s_or_b32 exec_lo, exec_lo, s4
	v_mov_b32_e32 v7, 24
	v_mov_b32_e32 v9, 0xff
	;; [unrolled: 1-line block ×3, first 2 shown]
	v_cndmask_b32_e64 v11, 0, 1, s3
	v_cndmask_b32_e64 v12, 0, 1, vcc_lo
	v_lshrrev_b32_sdwa v25, v7, v6 dst_sel:BYTE_1 dst_unused:UNUSED_PAD src0_sel:DWORD src1_sel:DWORD
	v_and_b32_sdwa v26, v6, v9 dst_sel:DWORD dst_unused:UNUSED_PAD src0_sel:WORD_1 src1_sel:DWORD
	v_lshrrev_b32_sdwa v6, v10, v6 dst_sel:BYTE_1 dst_unused:UNUSED_PAD src0_sel:DWORD src1_sel:DWORD
	v_lshlrev_b16 v10, 8, v11
	v_lshrrev_b32_sdwa v7, v7, v8 dst_sel:BYTE_1 dst_unused:UNUSED_PAD src0_sel:DWORD src1_sel:DWORD
	v_and_b32_sdwa v9, v8, v9 dst_sel:DWORD dst_unused:UNUSED_PAD src0_sel:WORD_1 src1_sel:DWORD
	v_or_b32_sdwa v11, v26, v25 dst_sel:WORD_1 dst_unused:UNUSED_PAD src0_sel:DWORD src1_sel:DWORD
	v_or_b32_e32 v6, v12, v6
	v_or_b32_sdwa v8, v8, v10 dst_sel:DWORD dst_unused:UNUSED_PAD src0_sel:BYTE_0 src1_sel:DWORD
	v_or_b32_sdwa v9, v9, v7 dst_sel:WORD_1 dst_unused:UNUSED_PAD src0_sel:DWORD src1_sel:DWORD
	v_or_b32_sdwa v7, v6, v11 dst_sel:DWORD dst_unused:UNUSED_PAD src0_sel:WORD_0 src1_sel:DWORD
	v_or_b32_sdwa v9, v8, v9 dst_sel:DWORD dst_unused:UNUSED_PAD src0_sel:WORD_0 src1_sel:DWORD
.LBB768_89:
	s_or_b32 exec_lo, exec_lo, s2
	v_add_nc_u32_e32 v6, 9, v34
                                        ; implicit-def: $vgpr8
	v_cmp_le_u32_e32 vcc_lo, s5, v6
                                        ; implicit-def: $vgpr6
	s_and_saveexec_b32 s1, vcc_lo
	s_xor_b32 s1, exec_lo, s1
	s_cbranch_execz .LBB768_91
; %bb.90:
	v_lshrrev_b32_e32 v6, 24, v9
	v_mov_b32_e32 v8, 8
	v_mov_b32_e32 v10, 0xff
	v_perm_b32 v5, v5, v5, 0x3060504
	v_perm_b32 v6, v6, v9, 0x40c0100
	v_mov_b32_e32 v9, 24
	v_and_b32_sdwa v10, v7, v10 dst_sel:DWORD dst_unused:UNUSED_PAD src0_sel:WORD_1 src1_sel:DWORD
	v_lshrrev_b32_sdwa v8, v8, v6 dst_sel:BYTE_1 dst_unused:UNUSED_PAD src0_sel:DWORD src1_sel:DWORD
	v_lshrrev_b32_sdwa v9, v9, v7 dst_sel:BYTE_1 dst_unused:UNUSED_PAD src0_sel:DWORD src1_sel:DWORD
	v_or_b32_sdwa v8, v6, v8 dst_sel:DWORD dst_unused:UNUSED_PAD src0_sel:BYTE_0 src1_sel:DWORD
	v_or_b32_e32 v9, v10, v9
	v_and_b32_e32 v10, 0xffff, v8
	v_perm_b32 v8, v9, v7, 0x5040c00
                                        ; implicit-def: $vgpr7
                                        ; implicit-def: $vgpr9
	v_and_or_b32 v6, 0xff000000, v6, v10
.LBB768_91:
	s_andn2_saveexec_b32 s2, s1
	s_cbranch_execz .LBB768_95
; %bb.92:
	v_add_nc_u32_e32 v6, s17, v16
	v_add_nc_u32_e32 v8, s19, v16
	s_mov_b32 s3, 0
	s_mov_b32 s4, exec_lo
	v_mul_lo_u32 v6, v6, s16
	v_mul_lo_u32 v8, v8, s18
	v_sub_nc_u32_e32 v6, v6, v8
	v_cmp_lt_u32_e32 vcc_lo, s20, v6
	v_cmpx_ge_u32_e64 s20, v6
	s_cbranch_execz .LBB768_94
; %bb.93:
	v_add_nc_u32_e32 v6, s22, v16
	v_add_nc_u32_e32 v8, s38, v16
	v_mul_lo_u32 v6, v6, s21
	v_mul_lo_u32 v8, v8, s23
	v_sub_nc_u32_e32 v6, v6, v8
	v_cmp_lt_u32_e64 s1, s39, v6
	s_and_b32 s3, s1, exec_lo
.LBB768_94:
	s_or_b32 exec_lo, exec_lo, s4
	v_cndmask_b32_e64 v6, 0, 1, vcc_lo
	v_mov_b32_e32 v8, 24
	v_mov_b32_e32 v10, 0xff
	;; [unrolled: 1-line block ×3, first 2 shown]
	v_cndmask_b32_e64 v12, 0, 1, s3
	v_lshlrev_b16 v6, 8, v6
	v_lshrrev_b32_sdwa v25, v8, v7 dst_sel:BYTE_1 dst_unused:UNUSED_PAD src0_sel:DWORD src1_sel:DWORD
	v_and_b32_sdwa v10, v7, v10 dst_sel:DWORD dst_unused:UNUSED_PAD src0_sel:WORD_1 src1_sel:DWORD
	v_lshrrev_b32_sdwa v11, v11, v9 dst_sel:BYTE_1 dst_unused:UNUSED_PAD src0_sel:DWORD src1_sel:DWORD
	v_lshrrev_b32_sdwa v8, v8, v9 dst_sel:BYTE_1 dst_unused:UNUSED_PAD src0_sel:DWORD src1_sel:DWORD
	v_or_b32_sdwa v6, v7, v6 dst_sel:DWORD dst_unused:UNUSED_PAD src0_sel:BYTE_0 src1_sel:DWORD
	v_or_b32_sdwa v7, v10, v25 dst_sel:WORD_1 dst_unused:UNUSED_PAD src0_sel:DWORD src1_sel:DWORD
	v_or_b32_sdwa v9, v9, v11 dst_sel:DWORD dst_unused:UNUSED_PAD src0_sel:BYTE_0 src1_sel:DWORD
	v_or_b32_sdwa v10, v12, v8 dst_sel:WORD_1 dst_unused:UNUSED_PAD src0_sel:DWORD src1_sel:DWORD
	v_or_b32_sdwa v8, v6, v7 dst_sel:DWORD dst_unused:UNUSED_PAD src0_sel:WORD_0 src1_sel:DWORD
	v_or_b32_sdwa v6, v9, v10 dst_sel:DWORD dst_unused:UNUSED_PAD src0_sel:WORD_0 src1_sel:DWORD
.LBB768_95:
	s_or_b32 exec_lo, exec_lo, s2
	v_add_nc_u32_e32 v7, 10, v34
                                        ; implicit-def: $vgpr38
	v_cmp_le_u32_e32 vcc_lo, s5, v7
                                        ; implicit-def: $vgpr7
	s_and_saveexec_b32 s1, vcc_lo
	s_xor_b32 s1, exec_lo, s1
	s_cbranch_execz .LBB768_97
; %bb.96:
	v_lshrrev_b32_e32 v7, 24, v8
	v_mov_b32_e32 v9, 8
	v_perm_b32 v5, v5, v5, 0x3060504
	v_perm_b32 v7, v7, v8, 0x40c0100
	v_lshrrev_b32_sdwa v8, v9, v7 dst_sel:BYTE_1 dst_unused:UNUSED_PAD src0_sel:DWORD src1_sel:DWORD
	v_and_b32_e32 v9, 0xff0000, v6
	v_or_b32_sdwa v8, v7, v8 dst_sel:DWORD dst_unused:UNUSED_PAD src0_sel:BYTE_0 src1_sel:DWORD
	v_perm_b32 v38, v6, v9, 0x3020504
                                        ; implicit-def: $vgpr6
	v_and_b32_e32 v8, 0xffff, v8
	v_and_or_b32 v7, 0xff000000, v7, v8
                                        ; implicit-def: $vgpr8
.LBB768_97:
	s_andn2_saveexec_b32 s2, s1
	s_cbranch_execz .LBB768_101
; %bb.98:
	v_add_nc_u32_e32 v7, s17, v13
	v_add_nc_u32_e32 v9, s19, v13
	s_mov_b32 s3, 0
	s_mov_b32 s4, exec_lo
	v_mul_lo_u32 v7, v7, s16
	v_mul_lo_u32 v9, v9, s18
	v_sub_nc_u32_e32 v7, v7, v9
	v_cmp_lt_u32_e32 vcc_lo, s20, v7
	v_cmpx_ge_u32_e64 s20, v7
	s_cbranch_execz .LBB768_100
; %bb.99:
	v_add_nc_u32_e32 v7, s22, v13
	v_add_nc_u32_e32 v9, s38, v13
	v_mul_lo_u32 v7, v7, s21
	v_mul_lo_u32 v9, v9, s23
	v_sub_nc_u32_e32 v7, v7, v9
	v_cmp_lt_u32_e64 s1, s39, v7
	s_and_b32 s3, s1, exec_lo
.LBB768_100:
	s_or_b32 exec_lo, exec_lo, s4
	v_mov_b32_e32 v7, 8
	v_mov_b32_e32 v9, 24
	v_cndmask_b32_e64 v11, 0, 1, s3
	v_mov_b32_e32 v12, 0xff
	v_cndmask_b32_e64 v10, 0, 1, vcc_lo
	v_lshrrev_b32_sdwa v25, v7, v8 dst_sel:BYTE_1 dst_unused:UNUSED_PAD src0_sel:DWORD src1_sel:DWORD
	v_lshrrev_b32_sdwa v9, v9, v8 dst_sel:BYTE_1 dst_unused:UNUSED_PAD src0_sel:DWORD src1_sel:DWORD
	;; [unrolled: 1-line block ×3, first 2 shown]
	v_lshlrev_b16 v11, 8, v11
	v_and_b32_sdwa v12, v6, v12 dst_sel:DWORD dst_unused:UNUSED_PAD src0_sel:WORD_1 src1_sel:DWORD
	v_or_b32_sdwa v8, v8, v25 dst_sel:DWORD dst_unused:UNUSED_PAD src0_sel:BYTE_0 src1_sel:DWORD
	v_or_b32_sdwa v9, v10, v9 dst_sel:WORD_1 dst_unused:UNUSED_PAD src0_sel:DWORD src1_sel:DWORD
	v_or_b32_sdwa v6, v6, v7 dst_sel:DWORD dst_unused:UNUSED_PAD src0_sel:BYTE_0 src1_sel:DWORD
	v_or_b32_sdwa v10, v12, v11 dst_sel:WORD_1 dst_unused:UNUSED_PAD src0_sel:DWORD src1_sel:DWORD
	v_or_b32_sdwa v7, v8, v9 dst_sel:DWORD dst_unused:UNUSED_PAD src0_sel:WORD_0 src1_sel:DWORD
	v_or_b32_sdwa v38, v6, v10 dst_sel:DWORD dst_unused:UNUSED_PAD src0_sel:WORD_0 src1_sel:DWORD
.LBB768_101:
	s_or_b32 exec_lo, exec_lo, s2
	v_add_nc_u32_e32 v6, 11, v34
	v_mov_b32_e32 v39, 0
	s_mov_b32 s1, exec_lo
                                        ; implicit-def: $vgpr40
	v_cmpx_le_u32_e64 s5, v6
	s_xor_b32 s1, exec_lo, s1
; %bb.102:
	v_and_b32_e32 v6, 0xff0000, v7
	v_perm_b32 v5, v5, v5, 0x3060504
	v_perm_b32 v40, v7, v6, 0x3020504
                                        ; implicit-def: $vgpr7
; %bb.103:
	s_andn2_saveexec_b32 s2, s1
	s_cbranch_execz .LBB768_107
; %bb.104:
	v_add_nc_u32_e32 v6, s17, v14
	v_add_nc_u32_e32 v8, s19, v14
	s_mov_b32 s3, 0
	s_mov_b32 s4, exec_lo
	v_mul_lo_u32 v6, v6, s16
	v_mul_lo_u32 v8, v8, s18
	v_sub_nc_u32_e32 v6, v6, v8
	v_cmp_lt_u32_e32 vcc_lo, s20, v6
	v_cmpx_ge_u32_e64 s20, v6
	s_cbranch_execz .LBB768_106
; %bb.105:
	v_add_nc_u32_e32 v6, s22, v14
	v_add_nc_u32_e32 v8, s38, v14
	v_mul_lo_u32 v6, v6, s21
	v_mul_lo_u32 v8, v8, s23
	v_sub_nc_u32_e32 v6, v6, v8
	v_cmp_lt_u32_e64 s1, s39, v6
	s_and_b32 s3, s1, exec_lo
.LBB768_106:
	s_or_b32 exec_lo, exec_lo, s4
	v_mov_b32_e32 v6, 8
	v_cndmask_b32_e64 v8, 0, 1, vcc_lo
	v_mov_b32_e32 v9, 0xff
	v_cndmask_b32_e64 v39, 0, 1, s3
	v_lshrrev_b32_sdwa v6, v6, v7 dst_sel:BYTE_1 dst_unused:UNUSED_PAD src0_sel:DWORD src1_sel:DWORD
	v_lshlrev_b16 v8, 8, v8
	v_and_b32_sdwa v9, v7, v9 dst_sel:DWORD dst_unused:UNUSED_PAD src0_sel:WORD_1 src1_sel:DWORD
	v_or_b32_sdwa v6, v7, v6 dst_sel:DWORD dst_unused:UNUSED_PAD src0_sel:BYTE_0 src1_sel:DWORD
	v_or_b32_sdwa v7, v9, v8 dst_sel:WORD_1 dst_unused:UNUSED_PAD src0_sel:DWORD src1_sel:DWORD
	v_or_b32_sdwa v40, v6, v7 dst_sel:DWORD dst_unused:UNUSED_PAD src0_sel:WORD_0 src1_sel:DWORD
.LBB768_107:
	s_or_b32 exec_lo, exec_lo, s2
	v_add_nc_u32_e32 v6, 12, v34
	s_mov_b32 s1, exec_lo
                                        ; implicit-def: $vgpr41
	v_cmpx_le_u32_e64 s5, v6
	s_xor_b32 s1, exec_lo, s1
	s_cbranch_execz .LBB768_109
; %bb.108:
	v_mov_b32_e32 v6, 24
	v_mov_b32_e32 v7, 0xff
	;; [unrolled: 1-line block ×3, first 2 shown]
	v_lshrrev_b32_sdwa v6, v6, v5 dst_sel:BYTE_1 dst_unused:UNUSED_PAD src0_sel:DWORD src1_sel:DWORD
	v_and_b32_sdwa v7, v5, v7 dst_sel:DWORD dst_unused:UNUSED_PAD src0_sel:WORD_1 src1_sel:DWORD
	v_lshrrev_b32_sdwa v5, v8, v5 dst_sel:BYTE_1 dst_unused:UNUSED_PAD src0_sel:DWORD src1_sel:DWORD
	v_or_b32_sdwa v6, v7, v6 dst_sel:WORD_1 dst_unused:UNUSED_PAD src0_sel:DWORD src1_sel:DWORD
	v_or_b32_sdwa v41, v5, v6 dst_sel:DWORD dst_unused:UNUSED_PAD src0_sel:WORD_0 src1_sel:DWORD
                                        ; implicit-def: $vgpr5
.LBB768_109:
	s_or_saveexec_b32 s2, s1
	v_mov_b32_e32 v42, 0
	s_xor_b32 exec_lo, exec_lo, s2
	s_cbranch_execz .LBB768_113
; %bb.110:
	v_add_nc_u32_e32 v6, s17, v33
	v_add_nc_u32_e32 v7, s19, v33
	s_mov_b32 s3, 0
	s_mov_b32 s4, exec_lo
	v_mul_lo_u32 v6, v6, s16
	v_mul_lo_u32 v7, v7, s18
	v_sub_nc_u32_e32 v6, v6, v7
	v_cmp_lt_u32_e32 vcc_lo, s20, v6
	v_cmpx_ge_u32_e64 s20, v6
	s_cbranch_execz .LBB768_112
; %bb.111:
	v_add_nc_u32_e32 v6, s22, v33
	v_add_nc_u32_e32 v7, s38, v33
	v_mul_lo_u32 v6, v6, s21
	v_mul_lo_u32 v7, v7, s23
	v_sub_nc_u32_e32 v6, v6, v7
	v_cmp_lt_u32_e64 s1, s39, v6
	s_and_b32 s3, s1, exec_lo
.LBB768_112:
	s_or_b32 exec_lo, exec_lo, s4
	v_mov_b32_e32 v6, 24
	v_mov_b32_e32 v7, 0xff
	;; [unrolled: 1-line block ×3, first 2 shown]
	v_cndmask_b32_e64 v9, 0, 1, vcc_lo
	v_cndmask_b32_e64 v42, 0, 1, s3
	v_lshrrev_b32_sdwa v6, v6, v5 dst_sel:BYTE_1 dst_unused:UNUSED_PAD src0_sel:DWORD src1_sel:DWORD
	v_and_b32_sdwa v7, v5, v7 dst_sel:DWORD dst_unused:UNUSED_PAD src0_sel:WORD_1 src1_sel:DWORD
	v_lshrrev_b32_sdwa v5, v8, v5 dst_sel:BYTE_1 dst_unused:UNUSED_PAD src0_sel:DWORD src1_sel:DWORD
	v_or_b32_sdwa v6, v7, v6 dst_sel:WORD_1 dst_unused:UNUSED_PAD src0_sel:DWORD src1_sel:DWORD
	v_or_b32_e32 v5, v9, v5
	v_or_b32_sdwa v41, v5, v6 dst_sel:DWORD dst_unused:UNUSED_PAD src0_sel:WORD_0 src1_sel:DWORD
.LBB768_113:
	s_or_b32 exec_lo, exec_lo, s2
.LBB768_114:
	v_and_b32_e32 v65, 0xff, v35
	v_bfe_u32 v66, v41, 8, 8
	v_bfe_u32 v62, v35, 8, 8
	;; [unrolled: 1-line block ×4, first 2 shown]
	v_lshrrev_b32_e32 v48, 24, v41
	v_lshrrev_b32_e32 v47, 24, v35
	v_and_b32_e32 v61, 0xff, v36
	v_and_b32_e32 v59, 0xff, v37
	v_bfe_u32 v60, v36, 8, 8
	v_add3_u32 v5, v62, v65, v64
	v_add3_u32 v6, v63, v66, v48
	v_bfe_u32 v57, v37, 8, 8
	v_bfe_u32 v58, v36, 16, 8
	;; [unrolled: 1-line block ×3, first 2 shown]
	v_lshrrev_b32_e32 v46, 24, v36
	v_add3_u32 v5, v5, v47, v59
	v_add3_u32 v6, v6, v61, v60
	v_lshrrev_b32_e32 v45, 24, v37
	v_and_b32_e32 v56, 0xff, v38
	v_and_b32_e32 v54, 0xff, v40
	v_bfe_u32 v55, v38, 8, 8
	v_add3_u32 v5, v5, v57, v52
	v_add3_u32 v6, v6, v58, v46
	v_bfe_u32 v51, v40, 8, 8
	v_bfe_u32 v53, v38, 16, 8
	;; [unrolled: 1-line block ×3, first 2 shown]
	v_lshrrev_b32_e32 v44, 24, v38
	v_add3_u32 v5, v5, v45, v54
	v_add3_u32 v6, v6, v56, v55
	v_mbcnt_lo_u32_b32 v67, -1, 0
	v_lshrrev_b32_e32 v43, 24, v40
	v_and_b32_e32 v50, 0xff, v39
	v_and_b32_e32 v7, 0xff, v41
	;; [unrolled: 1-line block ×3, first 2 shown]
	v_add3_u32 v5, v5, v51, v49
	v_add3_u32 v6, v6, v53, v44
	v_and_b32_e32 v69, 15, v67
	v_and_b32_e32 v71, 16, v67
	v_lshrrev_b32_e32 v68, 5, v0
	v_add3_u32 v72, v5, v43, v7
	v_add3_u32 v73, v6, v50, v8
	v_cmp_eq_u32_e64 s2, 0, v69
	v_cmp_lt_u32_e64 s1, 1, v69
	v_cmp_lt_u32_e64 s3, 3, v69
	v_or_b32_e32 v70, 31, v0
	s_cmp_lg_u32 s27, 0
	s_mov_b32 s4, -1
	v_cmp_lt_u32_e32 vcc_lo, 7, v69
	s_cbranch_scc0 .LBB768_136
; %bb.115:
	v_mov_b32_dpp v5, v73 row_shr:1 row_mask:0xf bank_mask:0xf
	v_mov_b32_dpp v6, v72 row_shr:1 row_mask:0xf bank_mask:0xf
	s_mov_b32 s4, exec_lo
	v_add_nc_u32_e32 v5, v5, v73
	v_add_nc_u32_e32 v6, v6, v72
	v_cndmask_b32_e64 v5, v5, v73, s2
	v_cndmask_b32_e64 v6, v6, v72, s2
	v_mov_b32_dpp v7, v5 row_shr:2 row_mask:0xf bank_mask:0xf
	v_mov_b32_dpp v8, v6 row_shr:2 row_mask:0xf bank_mask:0xf
	v_add_nc_u32_e32 v7, v5, v7
	v_add_nc_u32_e32 v8, v6, v8
	v_cndmask_b32_e64 v5, v5, v7, s1
	v_cndmask_b32_e64 v6, v6, v8, s1
	v_mov_b32_dpp v7, v5 row_shr:4 row_mask:0xf bank_mask:0xf
	v_mov_b32_dpp v8, v6 row_shr:4 row_mask:0xf bank_mask:0xf
	;; [unrolled: 6-line block ×3, first 2 shown]
	v_add_nc_u32_e32 v7, v5, v7
	v_add_nc_u32_e32 v8, v6, v8
	v_cndmask_b32_e32 v5, v5, v7, vcc_lo
	v_cndmask_b32_e32 v6, v6, v8, vcc_lo
	v_cmp_eq_u32_e32 vcc_lo, 0, v71
	ds_swizzle_b32 v7, v5 offset:swizzle(BROADCAST,32,15)
	ds_swizzle_b32 v8, v6 offset:swizzle(BROADCAST,32,15)
	s_waitcnt lgkmcnt(1)
	v_add_nc_u32_e32 v7, v5, v7
	s_waitcnt lgkmcnt(0)
	v_add_nc_u32_e32 v8, v6, v8
	v_cmpx_eq_u32_e64 v0, v70
	s_cbranch_execz .LBB768_117
; %bb.116:
	v_lshlrev_b32_e32 v11, 3, v68
	v_cndmask_b32_e32 v10, v7, v5, vcc_lo
	v_cndmask_b32_e32 v9, v8, v6, vcc_lo
	ds_write_b64 v11, v[9:10]
.LBB768_117:
	s_or_b32 exec_lo, exec_lo, s4
	s_mov_b32 s4, exec_lo
	s_waitcnt lgkmcnt(0)
	s_barrier
	buffer_gl0_inv
	v_cmpx_gt_u32_e32 8, v0
	s_cbranch_execz .LBB768_119
; %bb.118:
	v_lshlrev_b32_e32 v11, 3, v0
	v_and_b32_e32 v26, 7, v67
	ds_read_b64 v[9:10], v11
	v_cmp_eq_u32_e64 s3, 0, v26
	s_waitcnt lgkmcnt(0)
	v_mov_b32_dpp v12, v9 row_shr:1 row_mask:0xf bank_mask:0xf
	v_mov_b32_dpp v25, v10 row_shr:1 row_mask:0xf bank_mask:0xf
	v_add_nc_u32_e32 v12, v12, v9
	v_add_nc_u32_e32 v25, v25, v10
	v_cndmask_b32_e64 v9, v12, v9, s3
	v_cndmask_b32_e64 v10, v25, v10, s3
	v_cmp_lt_u32_e64 s3, 1, v26
	v_mov_b32_dpp v12, v9 row_shr:2 row_mask:0xf bank_mask:0xf
	v_mov_b32_dpp v25, v10 row_shr:2 row_mask:0xf bank_mask:0xf
	v_add_nc_u32_e32 v12, v9, v12
	v_add_nc_u32_e32 v25, v10, v25
	v_cndmask_b32_e64 v9, v9, v12, s3
	v_cndmask_b32_e64 v10, v10, v25, s3
	v_cmp_lt_u32_e64 s3, 3, v26
	v_mov_b32_dpp v12, v9 row_shr:4 row_mask:0xf bank_mask:0xf
	v_mov_b32_dpp v25, v10 row_shr:4 row_mask:0xf bank_mask:0xf
	v_cndmask_b32_e64 v12, 0, v12, s3
	v_cndmask_b32_e64 v25, 0, v25, s3
	v_add_nc_u32_e32 v9, v12, v9
	v_add_nc_u32_e32 v10, v25, v10
	ds_write_b64 v11, v[9:10]
.LBB768_119:
	s_or_b32 exec_lo, exec_lo, s4
	v_cndmask_b32_e32 v5, v7, v5, vcc_lo
	v_cndmask_b32_e32 v6, v8, v6, vcc_lo
	s_mov_b32 s4, exec_lo
	v_cmp_gt_u32_e32 vcc_lo, 32, v0
	s_waitcnt lgkmcnt(0)
	s_barrier
	buffer_gl0_inv
                                        ; implicit-def: $vgpr25
	v_cmpx_lt_u32_e32 31, v0
	s_cbranch_execz .LBB768_121
; %bb.120:
	v_lshl_add_u32 v7, v68, 3, -8
	ds_read_b64 v[25:26], v7
	s_waitcnt lgkmcnt(0)
	v_add_nc_u32_e32 v5, v26, v5
	v_add_nc_u32_e32 v6, v25, v6
.LBB768_121:
	s_or_b32 exec_lo, exec_lo, s4
	v_sub_co_u32 v7, s3, v67, 1
	v_cmp_gt_i32_e64 s4, 0, v7
	v_cndmask_b32_e64 v7, v7, v67, s4
	v_lshlrev_b32_e32 v7, 2, v7
	ds_bpermute_b32 v74, v7, v6
	ds_bpermute_b32 v75, v7, v5
	s_and_saveexec_b32 s4, vcc_lo
	s_cbranch_execz .LBB768_141
; %bb.122:
	v_mov_b32_e32 v8, 0
	ds_read_b64 v[5:6], v8 offset:56
	s_and_saveexec_b32 s6, s3
	s_cbranch_execz .LBB768_124
; %bb.123:
	s_add_i32 s8, s27, 32
	s_mov_b32 s9, 0
	v_mov_b32_e32 v7, 1
	s_lshl_b64 s[8:9], s[8:9], 4
	s_add_u32 s8, s36, s8
	s_addc_u32 s9, s37, s9
	v_mov_b32_e32 v10, s9
	v_mov_b32_e32 v9, s8
	s_waitcnt lgkmcnt(0)
	;;#ASMSTART
	global_store_dwordx4 v[9:10], v[5:8] off	
s_waitcnt vmcnt(0)
	;;#ASMEND
.LBB768_124:
	s_or_b32 exec_lo, exec_lo, s6
	v_xad_u32 v27, v67, -1, s27
	s_mov_b32 s7, 0
	v_add_nc_u32_e32 v7, 32, v27
	v_lshlrev_b64 v[9:10], 4, v[7:8]
	v_add_co_u32 v28, vcc_lo, s36, v9
	v_add_co_ci_u32_e64 v29, null, s37, v10, vcc_lo
	;;#ASMSTART
	global_load_dwordx4 v[9:12], v[28:29] off glc dlc	
s_waitcnt vmcnt(0)
	;;#ASMEND
	v_cmp_eq_u16_sdwa s8, v11, v8 src0_sel:BYTE_0 src1_sel:DWORD
	s_and_saveexec_b32 s6, s8
	s_cbranch_execz .LBB768_128
; %bb.125:
	v_mov_b32_e32 v7, 0
.LBB768_126:                            ; =>This Inner Loop Header: Depth=1
	;;#ASMSTART
	global_load_dwordx4 v[9:12], v[28:29] off glc dlc	
s_waitcnt vmcnt(0)
	;;#ASMEND
	v_cmp_ne_u16_sdwa s8, v11, v7 src0_sel:BYTE_0 src1_sel:DWORD
	s_or_b32 s7, s8, s7
	s_andn2_b32 exec_lo, exec_lo, s7
	s_cbranch_execnz .LBB768_126
; %bb.127:
	s_or_b32 exec_lo, exec_lo, s7
.LBB768_128:
	s_or_b32 exec_lo, exec_lo, s6
	v_cmp_ne_u32_e32 vcc_lo, 31, v67
	v_mov_b32_e32 v77, 2
	v_lshlrev_b32_e64 v78, v67, -1
	v_add_nc_u32_e32 v80, 2, v67
	v_add_nc_u32_e32 v82, 4, v67
	v_add_co_ci_u32_e64 v7, null, 0, v67, vcc_lo
	v_cmp_eq_u16_sdwa s6, v11, v77 src0_sel:BYTE_0 src1_sel:DWORD
	v_cmp_gt_u32_e32 vcc_lo, 30, v67
	v_add_nc_u32_e32 v84, 8, v67
	v_lshlrev_b32_e32 v76, 2, v7
	v_lshl_or_b32 v85, v67, 2, 64
	v_and_b32_e32 v12, s6, v78
	v_cndmask_b32_e64 v28, 0, 2, vcc_lo
	v_add_nc_u32_e32 v86, 16, v67
	ds_bpermute_b32 v7, v76, v10
	ds_bpermute_b32 v8, v76, v9
	v_or_b32_e32 v12, 0x80000000, v12
	v_add_lshl_u32 v79, v28, v67, 2
	v_ffbl_b32_e32 v12, v12
	v_cmp_lt_u32_e32 vcc_lo, v67, v12
	s_waitcnt lgkmcnt(1)
	v_add_nc_u32_e32 v7, v7, v10
	s_waitcnt lgkmcnt(0)
	v_add_nc_u32_e32 v8, v8, v9
	v_cndmask_b32_e32 v7, v10, v7, vcc_lo
	v_cndmask_b32_e32 v8, v9, v8, vcc_lo
	v_cmp_gt_u32_e32 vcc_lo, 28, v67
	ds_bpermute_b32 v9, v79, v7
	ds_bpermute_b32 v10, v79, v8
	v_cndmask_b32_e64 v28, 0, 4, vcc_lo
	v_cmp_gt_u32_e32 vcc_lo, v80, v12
	v_add_lshl_u32 v81, v28, v67, 2
	s_waitcnt lgkmcnt(1)
	v_add_nc_u32_e32 v9, v7, v9
	s_waitcnt lgkmcnt(0)
	v_add_nc_u32_e32 v10, v8, v10
	v_cndmask_b32_e32 v7, v9, v7, vcc_lo
	v_cndmask_b32_e32 v8, v10, v8, vcc_lo
	v_cmp_gt_u32_e32 vcc_lo, 24, v67
	ds_bpermute_b32 v9, v81, v7
	ds_bpermute_b32 v10, v81, v8
	v_cndmask_b32_e64 v28, 0, 8, vcc_lo
	v_cmp_gt_u32_e32 vcc_lo, v82, v12
	v_add_lshl_u32 v83, v28, v67, 2
	v_mov_b32_e32 v28, 0
	s_waitcnt lgkmcnt(1)
	v_add_nc_u32_e32 v9, v7, v9
	s_waitcnt lgkmcnt(0)
	v_add_nc_u32_e32 v10, v8, v10
	v_cndmask_b32_e32 v7, v9, v7, vcc_lo
	v_cndmask_b32_e32 v8, v10, v8, vcc_lo
	v_cmp_gt_u32_e32 vcc_lo, v84, v12
	ds_bpermute_b32 v9, v83, v7
	ds_bpermute_b32 v10, v83, v8
	s_waitcnt lgkmcnt(1)
	v_add_nc_u32_e32 v9, v7, v9
	s_waitcnt lgkmcnt(0)
	v_add_nc_u32_e32 v10, v8, v10
	v_cndmask_b32_e32 v7, v9, v7, vcc_lo
	v_cndmask_b32_e32 v8, v10, v8, vcc_lo
	v_cmp_le_u32_e32 vcc_lo, v86, v12
	ds_bpermute_b32 v10, v85, v7
	ds_bpermute_b32 v9, v85, v8
	s_waitcnt lgkmcnt(1)
	v_cndmask_b32_e32 v10, 0, v10, vcc_lo
	s_waitcnt lgkmcnt(0)
	v_cndmask_b32_e32 v9, 0, v9, vcc_lo
	v_add_nc_u32_e32 v10, v10, v7
	v_add_nc_u32_e32 v9, v9, v8
	s_branch .LBB768_132
.LBB768_129:                            ;   in Loop: Header=BB768_132 Depth=1
	s_or_b32 exec_lo, exec_lo, s7
.LBB768_130:                            ;   in Loop: Header=BB768_132 Depth=1
	s_or_b32 exec_lo, exec_lo, s6
	ds_bpermute_b32 v12, v76, v9
	ds_bpermute_b32 v29, v76, v10
	v_cmp_eq_u16_sdwa s6, v11, v77 src0_sel:BYTE_0 src1_sel:DWORD
	v_subrev_nc_u32_e32 v27, 32, v27
	v_and_or_b32 v30, s6, v78, 0x80000000
	s_mov_b32 s6, 0
	v_ffbl_b32_e32 v30, v30
	v_cmp_lt_u32_e32 vcc_lo, v67, v30
	s_waitcnt lgkmcnt(1)
	v_add_nc_u32_e32 v12, v12, v9
	s_waitcnt lgkmcnt(0)
	v_add_nc_u32_e32 v29, v29, v10
	v_cndmask_b32_e32 v9, v9, v12, vcc_lo
	v_cndmask_b32_e32 v10, v10, v29, vcc_lo
	v_cmp_gt_u32_e32 vcc_lo, v80, v30
	ds_bpermute_b32 v12, v79, v9
	ds_bpermute_b32 v29, v79, v10
	s_waitcnt lgkmcnt(1)
	v_add_nc_u32_e32 v12, v9, v12
	s_waitcnt lgkmcnt(0)
	v_add_nc_u32_e32 v29, v10, v29
	v_cndmask_b32_e32 v9, v12, v9, vcc_lo
	v_cndmask_b32_e32 v10, v29, v10, vcc_lo
	v_cmp_gt_u32_e32 vcc_lo, v82, v30
	ds_bpermute_b32 v12, v81, v9
	ds_bpermute_b32 v29, v81, v10
	;; [unrolled: 9-line block ×3, first 2 shown]
	s_waitcnt lgkmcnt(1)
	v_add_nc_u32_e32 v12, v9, v12
	s_waitcnt lgkmcnt(0)
	v_add_nc_u32_e32 v29, v10, v29
	v_cndmask_b32_e32 v9, v12, v9, vcc_lo
	v_cndmask_b32_e32 v10, v29, v10, vcc_lo
	v_cmp_le_u32_e32 vcc_lo, v86, v30
	ds_bpermute_b32 v12, v85, v9
	ds_bpermute_b32 v29, v85, v10
	s_waitcnt lgkmcnt(1)
	v_cndmask_b32_e32 v12, 0, v12, vcc_lo
	s_waitcnt lgkmcnt(0)
	v_cndmask_b32_e32 v29, 0, v29, vcc_lo
	v_add3_u32 v9, v9, v7, v12
	v_add3_u32 v10, v10, v8, v29
.LBB768_131:                            ;   in Loop: Header=BB768_132 Depth=1
	s_and_b32 vcc_lo, exec_lo, s6
	s_cbranch_vccnz .LBB768_137
.LBB768_132:                            ; =>This Loop Header: Depth=1
                                        ;     Child Loop BB768_135 Depth 2
	v_cmp_ne_u16_sdwa s6, v11, v77 src0_sel:BYTE_0 src1_sel:DWORD
	v_mov_b32_e32 v7, v9
	v_mov_b32_e32 v8, v10
                                        ; implicit-def: $vgpr11
                                        ; implicit-def: $vgpr9_vgpr10
	s_cmp_lg_u32 s6, exec_lo
	s_mov_b32 s6, -1
	s_cbranch_scc1 .LBB768_131
; %bb.133:                              ;   in Loop: Header=BB768_132 Depth=1
	v_lshlrev_b64 v[9:10], 4, v[27:28]
	v_add_co_u32 v29, vcc_lo, s36, v9
	v_add_co_ci_u32_e64 v30, null, s37, v10, vcc_lo
	;;#ASMSTART
	global_load_dwordx4 v[9:12], v[29:30] off glc dlc	
s_waitcnt vmcnt(0)
	;;#ASMEND
	v_cmp_eq_u16_sdwa s7, v11, v28 src0_sel:BYTE_0 src1_sel:DWORD
	s_and_saveexec_b32 s6, s7
	s_cbranch_execz .LBB768_130
; %bb.134:                              ;   in Loop: Header=BB768_132 Depth=1
	s_mov_b32 s7, 0
.LBB768_135:                            ;   Parent Loop BB768_132 Depth=1
                                        ; =>  This Inner Loop Header: Depth=2
	;;#ASMSTART
	global_load_dwordx4 v[9:12], v[29:30] off glc dlc	
s_waitcnt vmcnt(0)
	;;#ASMEND
	v_cmp_ne_u16_sdwa s8, v11, v28 src0_sel:BYTE_0 src1_sel:DWORD
	s_or_b32 s7, s8, s7
	s_andn2_b32 exec_lo, exec_lo, s7
	s_cbranch_execnz .LBB768_135
	s_branch .LBB768_129
.LBB768_136:
                                        ; implicit-def: $vgpr25
                                        ; implicit-def: $vgpr7
                                        ; implicit-def: $vgpr26
	s_and_b32 vcc_lo, exec_lo, s4
	s_cbranch_vccnz .LBB768_142
	s_branch .LBB768_151
.LBB768_137:
	s_and_saveexec_b32 s6, s3
	s_cbranch_execnz .LBB768_379
; %bb.138:
	s_or_b32 exec_lo, exec_lo, s6
	s_and_saveexec_b32 s6, s3
	s_cbranch_execnz .LBB768_380
.LBB768_139:
	s_or_b32 exec_lo, exec_lo, s6
	s_and_b32 exec_lo, exec_lo, s0
.LBB768_140:
	v_mov_b32_e32 v5, 0
	ds_write_b64 v5, v[7:8] offset:56
.LBB768_141:
	s_or_b32 exec_lo, exec_lo, s4
	v_mov_b32_e32 v5, 0
	s_waitcnt lgkmcnt(0)
	s_barrier
	buffer_gl0_inv
	v_cndmask_b32_e64 v11, v75, v26, s3
	ds_read_b64 v[9:10], v5 offset:56
	s_waitcnt lgkmcnt(0)
	s_barrier
	buffer_gl0_inv
	ds_read_b128 v[5:8], v5 offset:13312
	v_cndmask_b32_e64 v12, v74, v25, s3
	v_add_nc_u32_e32 v11, v10, v11
	v_add_nc_u32_e32 v12, v9, v12
	v_cndmask_b32_e64 v25, v11, v10, s0
	v_cndmask_b32_e64 v26, v12, v9, s0
	s_branch .LBB768_151
.LBB768_142:
	s_waitcnt lgkmcnt(0)
	v_mov_b32_dpp v5, v72 row_shr:1 row_mask:0xf bank_mask:0xf
	v_mov_b32_dpp v6, v73 row_shr:1 row_mask:0xf bank_mask:0xf
	v_cmp_lt_u32_e32 vcc_lo, 3, v69
	v_add_nc_u32_e32 v5, v5, v72
	v_add_nc_u32_e32 v6, v6, v73
	v_cndmask_b32_e64 v5, v5, v72, s2
	v_cndmask_b32_e64 v6, v6, v73, s2
	s_mov_b32 s2, exec_lo
	v_mov_b32_dpp v7, v5 row_shr:2 row_mask:0xf bank_mask:0xf
	v_mov_b32_dpp v8, v6 row_shr:2 row_mask:0xf bank_mask:0xf
	v_add_nc_u32_e32 v7, v5, v7
	v_add_nc_u32_e32 v8, v6, v8
	v_cndmask_b32_e64 v5, v5, v7, s1
	v_cndmask_b32_e64 v6, v6, v8, s1
	v_mov_b32_dpp v7, v5 row_shr:4 row_mask:0xf bank_mask:0xf
	v_mov_b32_dpp v8, v6 row_shr:4 row_mask:0xf bank_mask:0xf
	v_add_nc_u32_e32 v7, v5, v7
	v_add_nc_u32_e32 v8, v6, v8
	v_cndmask_b32_e32 v7, v5, v7, vcc_lo
	v_cndmask_b32_e32 v6, v6, v8, vcc_lo
	v_cmp_lt_u32_e32 vcc_lo, 7, v69
	v_mov_b32_dpp v5, v7 row_shr:8 row_mask:0xf bank_mask:0xf
	v_mov_b32_dpp v8, v6 row_shr:8 row_mask:0xf bank_mask:0xf
	v_add_nc_u32_e32 v9, v7, v5
	v_add_nc_u32_e32 v5, v6, v8
	v_cndmask_b32_e32 v5, v6, v5, vcc_lo
	v_cndmask_b32_e32 v6, v7, v9, vcc_lo
	v_cmp_eq_u32_e32 vcc_lo, 0, v71
	ds_swizzle_b32 v7, v5 offset:swizzle(BROADCAST,32,15)
	ds_swizzle_b32 v8, v6 offset:swizzle(BROADCAST,32,15)
	s_waitcnt lgkmcnt(1)
	v_add_nc_u32_e32 v7, v5, v7
	s_waitcnt lgkmcnt(0)
	v_add_nc_u32_e32 v8, v6, v8
	v_cmpx_eq_u32_e64 v0, v70
	s_cbranch_execz .LBB768_144
; %bb.143:
	v_cndmask_b32_e32 v9, v8, v6, vcc_lo
	v_cndmask_b32_e32 v10, v7, v5, vcc_lo
	v_lshlrev_b32_e32 v11, 3, v68
	ds_write_b64 v11, v[9:10]
.LBB768_144:
	s_or_b32 exec_lo, exec_lo, s2
	s_mov_b32 s2, exec_lo
	s_waitcnt lgkmcnt(0)
	s_barrier
	buffer_gl0_inv
	v_cmpx_gt_u32_e32 8, v0
	s_cbranch_execz .LBB768_146
; %bb.145:
	v_lshlrev_b32_e32 v11, 3, v0
	v_and_b32_e32 v26, 7, v67
	ds_read_b64 v[9:10], v11
	v_cmp_eq_u32_e64 s1, 0, v26
	s_waitcnt lgkmcnt(0)
	v_mov_b32_dpp v12, v9 row_shr:1 row_mask:0xf bank_mask:0xf
	v_mov_b32_dpp v25, v10 row_shr:1 row_mask:0xf bank_mask:0xf
	v_add_nc_u32_e32 v12, v12, v9
	v_add_nc_u32_e32 v25, v25, v10
	v_cndmask_b32_e64 v9, v12, v9, s1
	v_cndmask_b32_e64 v10, v25, v10, s1
	v_cmp_lt_u32_e64 s1, 1, v26
	v_mov_b32_dpp v12, v9 row_shr:2 row_mask:0xf bank_mask:0xf
	v_mov_b32_dpp v25, v10 row_shr:2 row_mask:0xf bank_mask:0xf
	v_add_nc_u32_e32 v12, v9, v12
	v_add_nc_u32_e32 v25, v10, v25
	v_cndmask_b32_e64 v9, v9, v12, s1
	v_cndmask_b32_e64 v10, v10, v25, s1
	v_cmp_lt_u32_e64 s1, 3, v26
	v_mov_b32_dpp v12, v9 row_shr:4 row_mask:0xf bank_mask:0xf
	v_mov_b32_dpp v25, v10 row_shr:4 row_mask:0xf bank_mask:0xf
	v_cndmask_b32_e64 v12, 0, v12, s1
	v_cndmask_b32_e64 v25, 0, v25, s1
	v_add_nc_u32_e32 v9, v12, v9
	v_add_nc_u32_e32 v10, v25, v10
	ds_write_b64 v11, v[9:10]
.LBB768_146:
	s_or_b32 exec_lo, exec_lo, s2
	v_mov_b32_e32 v11, 0
	v_mov_b32_e32 v9, 0
	;; [unrolled: 1-line block ×3, first 2 shown]
	s_mov_b32 s2, exec_lo
	s_waitcnt lgkmcnt(0)
	s_barrier
	buffer_gl0_inv
	v_cmpx_lt_u32_e32 31, v0
; %bb.147:
	v_lshl_add_u32 v9, v68, 3, -8
	ds_read_b64 v[9:10], v9
; %bb.148:
	s_or_b32 exec_lo, exec_lo, s2
	v_sub_co_u32 v12, s1, v67, 1
	v_cndmask_b32_e32 v6, v8, v6, vcc_lo
	v_cndmask_b32_e32 v5, v7, v5, vcc_lo
	v_cmp_gt_i32_e64 s2, 0, v12
	s_waitcnt lgkmcnt(0)
	v_add_nc_u32_e32 v6, v9, v6
	v_add_nc_u32_e32 v5, v10, v5
	v_cndmask_b32_e64 v8, v12, v67, s2
	v_lshlrev_b32_e32 v7, 2, v8
	ds_bpermute_b32 v12, v7, v6
	ds_bpermute_b32 v25, v7, v5
	ds_read_b64 v[5:6], v11 offset:56
	s_and_saveexec_b32 s2, s0
	s_cbranch_execz .LBB768_150
; %bb.149:
	s_add_u32 s6, s36, 0x200
	s_addc_u32 s7, s37, 0
	v_mov_b32_e32 v7, 2
	v_mov_b32_e32 v27, s7
	;; [unrolled: 1-line block ×4, first 2 shown]
	s_waitcnt lgkmcnt(0)
	;;#ASMSTART
	global_store_dwordx4 v[26:27], v[5:8] off	
s_waitcnt vmcnt(0)
	;;#ASMEND
.LBB768_150:
	s_or_b32 exec_lo, exec_lo, s2
	s_waitcnt lgkmcnt(1)
	v_cndmask_b32_e64 v7, v25, v10, s1
	v_cndmask_b32_e64 v9, v12, v9, s1
	v_mov_b32_e32 v8, 0
	s_waitcnt lgkmcnt(0)
	s_barrier
	v_cndmask_b32_e64 v25, v7, 0, s0
	v_cndmask_b32_e64 v26, v9, 0, s0
	v_mov_b32_e32 v7, 0
	buffer_gl0_inv
.LBB768_151:
	v_add_nc_u32_e32 v30, v25, v66
	v_add_nc_u32_e32 v29, v26, v65
	s_waitcnt lgkmcnt(0)
	v_sub_nc_u32_e32 v25, v25, v8
	v_lshrrev_b32_e32 v28, 8, v41
	v_lshlrev_b32_e32 v69, 1, v5
	v_add_nc_u32_e32 v63, v30, v63
	v_sub_nc_u32_e32 v30, v30, v8
	v_add_nc_u32_e32 v62, v29, v62
	v_sub_nc_u32_e32 v26, v26, v7
	;; [unrolled: 2-line block ×3, first 2 shown]
	v_add_nc_u32_e32 v30, v30, v5
	v_and_b32_e32 v28, 1, v28
	v_mov_b32_e32 v71, 1
	v_add3_u32 v34, v69, v6, v34
	v_add_nc_u32_e32 v75, v26, v25
	v_add_nc_u32_e32 v76, v30, v29
	v_add_co_u32 v1, vcc_lo, v1, v7
	v_add_co_ci_u32_e64 v2, null, 0, v2, vcc_lo
	v_sub_co_u32 v67, vcc_lo, v3, v5
	v_subrev_co_ci_u32_e64 v68, null, 0, v4, vcc_lo
	v_and_b32_sdwa v74, v71, v41 dst_sel:DWORD dst_unused:UNUSED_PAD src0_sel:DWORD src1_sel:WORD_1
	v_sub_nc_u32_e32 v76, v34, v76
	v_sub_nc_u32_e32 v75, v34, v75
	v_cmp_eq_u32_e32 vcc_lo, 1, v28
	v_lshrrev_b32_e32 v27, 8, v35
	v_add_nc_u32_e32 v65, v63, v48
	v_and_b32_e32 v70, 1, v35
	v_sub_nc_u32_e32 v63, v63, v8
	v_add_nc_u32_e32 v76, 1, v76
	v_cndmask_b32_e32 v25, v75, v25, vcc_lo
	v_cmp_eq_u32_e32 vcc_lo, 1, v74
	v_add_nc_u32_e32 v64, v62, v64
	v_and_b32_e32 v27, 1, v27
	v_sub_nc_u32_e32 v62, v62, v7
	v_add_nc_u32_e32 v63, v63, v5
	v_cndmask_b32_e32 v30, v76, v30, vcc_lo
	v_cmp_eq_u32_e32 vcc_lo, 1, v70
	v_and_b32_e32 v48, 1, v48
	v_add_nc_u32_e32 v61, v65, v61
	v_add_nc_u32_e32 v74, v63, v62
	v_and_b32_sdwa v35, v71, v35 dst_sel:DWORD dst_unused:UNUSED_PAD src0_sel:DWORD src1_sel:WORD_1
	v_cndmask_b32_e32 v70, v25, v26, vcc_lo
	v_cmp_eq_u32_e32 vcc_lo, 1, v27
	v_sub_nc_u32_e32 v65, v65, v8
	v_add_nc_u32_e32 v66, v64, v47
	v_add_nc_u32_e32 v60, v61, v60
	v_sub_nc_u32_e32 v61, v61, v8
	v_cndmask_b32_e32 v27, v30, v29, vcc_lo
	v_sub_nc_u32_e32 v29, v34, v74
	v_add_co_u32 v25, vcc_lo, v67, v8
	v_add_co_ci_u32_e64 v26, null, 0, v68, vcc_lo
	v_add_nc_u32_e32 v29, 2, v29
	v_cmp_eq_u32_e32 vcc_lo, 1, v48
	v_sub_nc_u32_e32 v48, v64, v7
	v_lshlrev_b32_e32 v30, 2, v70
	v_add_nc_u32_e32 v61, v61, v5
	v_lshlrev_b32_e32 v27, 2, v27
	v_cndmask_b32_e32 v29, v29, v63, vcc_lo
	v_add_nc_u32_e32 v63, v65, v5
	v_cmp_eq_u32_e32 vcc_lo, 1, v35
	v_sub_nc_u32_e32 v35, v66, v7
	v_lshrrev_b32_e32 v12, 8, v36
	ds_write_b32 v30, v23
	ds_write_b32 v27, v24
	v_and_b32_e32 v30, 1, v36
	v_cndmask_b32_e32 v29, v29, v62, vcc_lo
	v_add_nc_u32_e32 v62, v48, v63
	v_add_nc_u32_e32 v24, v35, v61
	;; [unrolled: 1-line block ×3, first 2 shown]
	v_and_b32_e32 v12, 1, v12
	v_lshlrev_b32_e32 v23, 2, v29
	v_sub_nc_u32_e32 v27, v34, v62
	v_and_b32_e32 v29, 1, v47
	v_sub_nc_u32_e32 v47, v60, v8
	v_sub_nc_u32_e32 v24, v34, v24
	v_cmp_eq_u32_e32 vcc_lo, 1, v30
	v_add_nc_u32_e32 v27, 3, v27
	v_add_nc_u32_e32 v57, v59, v57
	v_sub_nc_u32_e32 v59, v59, v7
	v_add_nc_u32_e32 v47, v47, v5
	v_add_nc_u32_e32 v24, 4, v24
	v_cndmask_b32_e32 v27, v27, v63, vcc_lo
	v_cmp_eq_u32_e32 vcc_lo, 1, v12
	v_add_nc_u32_e32 v58, v60, v58
	v_and_b32_e32 v30, 1, v37
	v_add_nc_u32_e32 v60, v59, v47
	v_lshrrev_b32_e32 v11, 8, v37
	v_cndmask_b32_e32 v12, v24, v61, vcc_lo
	v_cmp_eq_u32_e32 vcc_lo, 1, v29
	ds_write_b32 v23, v21
	v_and_b32_sdwa v23, v71, v36 dst_sel:DWORD dst_unused:UNUSED_PAD src0_sel:DWORD src1_sel:WORD_1
	v_add_nc_u32_e32 v72, v58, v46
	v_and_b32_e32 v11, 1, v11
	v_cndmask_b32_e32 v24, v27, v48, vcc_lo
	v_sub_nc_u32_e32 v27, v34, v60
	v_cmp_eq_u32_e32 vcc_lo, 1, v30
	v_add_nc_u32_e32 v52, v57, v52
	v_sub_nc_u32_e32 v29, v72, v8
	v_lshlrev_b32_e32 v21, 2, v24
	v_add_nc_u32_e32 v24, 5, v27
	v_cndmask_b32_e32 v12, v12, v35, vcc_lo
	v_sub_nc_u32_e32 v27, v58, v8
	v_cmp_eq_u32_e32 vcc_lo, 1, v23
	v_add_nc_u32_e32 v29, v29, v5
	v_add_nc_u32_e32 v56, v72, v56
	v_lshlrev_b32_e32 v12, 2, v12
	v_add_nc_u32_e32 v27, v27, v5
	v_cndmask_b32_e32 v23, v24, v47, vcc_lo
	v_sub_nc_u32_e32 v24, v57, v7
	v_cmp_eq_u32_e32 vcc_lo, 1, v11
	ds_write_b32 v21, v22
	ds_write_b32 v12, v19
	v_and_b32_e32 v22, 1, v46
	v_and_b32_e32 v35, 1, v38
	v_add_nc_u32_e32 v30, v24, v27
	v_cndmask_b32_e32 v11, v23, v59, vcc_lo
	v_sub_nc_u32_e32 v23, v52, v7
	v_cmp_eq_u32_e32 vcc_lo, 1, v22
	v_add_nc_u32_e32 v73, v52, v45
	v_sub_nc_u32_e32 v19, v34, v30
	v_sub_nc_u32_e32 v30, v56, v8
	v_add_nc_u32_e32 v12, v23, v29
	v_and_b32_sdwa v21, v71, v37 dst_sel:DWORD dst_unused:UNUSED_PAD src0_sel:DWORD src1_sel:WORD_1
	v_sub_nc_u32_e32 v36, v73, v7
	v_add_nc_u32_e32 v19, 6, v19
	v_add_nc_u32_e32 v30, v30, v5
	v_sub_nc_u32_e32 v12, v34, v12
	v_and_b32_e32 v22, 1, v45
	v_lshrrev_b32_e32 v10, 8, v38
	v_cndmask_b32_e32 v19, v19, v27, vcc_lo
	v_cmp_eq_u32_e32 vcc_lo, 1, v35
	v_add_nc_u32_e32 v12, 7, v12
	v_add_nc_u32_e32 v55, v56, v55
	;; [unrolled: 1-line block ×4, first 2 shown]
	v_and_b32_e32 v10, 1, v10
	v_cndmask_b32_e32 v12, v12, v29, vcc_lo
	v_cmp_eq_u32_e32 vcc_lo, 1, v21
	v_sub_nc_u32_e32 v21, v34, v27
	v_add_nc_u32_e32 v53, v55, v53
	v_lshlrev_b32_e32 v11, 2, v11
	v_add_nc_u32_e32 v51, v54, v51
	v_cndmask_b32_e32 v19, v19, v24, vcc_lo
	v_cmp_eq_u32_e32 vcc_lo, 1, v22
	v_sub_nc_u32_e32 v22, v55, v8
	v_add_nc_u32_e32 v21, 8, v21
	v_sub_nc_u32_e32 v24, v54, v7
	v_lshlrev_b32_e32 v19, 2, v19
	v_cndmask_b32_e32 v12, v12, v23, vcc_lo
	v_add_nc_u32_e32 v22, v22, v5
	v_cmp_eq_u32_e32 vcc_lo, 1, v10
	v_add_nc_u32_e32 v77, v53, v44
	v_and_b32_e32 v23, 1, v40
	v_lshlrev_b32_e32 v12, 2, v12
	ds_write_b32 v11, v20
	ds_write_b32 v19, v17
	;; [unrolled: 1-line block ×3, first 2 shown]
	v_cndmask_b32_e32 v10, v21, v30, vcc_lo
	v_add_nc_u32_e32 v21, v24, v22
	v_sub_nc_u32_e32 v12, v53, v8
	v_lshrrev_b32_e32 v9, 8, v40
	v_add_nc_u32_e32 v49, v51, v49
	v_cmp_eq_u32_e32 vcc_lo, 1, v23
	v_sub_nc_u32_e32 v11, v34, v21
	v_and_b32_sdwa v17, v71, v38 dst_sel:DWORD dst_unused:UNUSED_PAD src0_sel:DWORD src1_sel:WORD_1
	v_sub_nc_u32_e32 v18, v51, v7
	v_sub_nc_u32_e32 v19, v77, v8
	v_add_nc_u32_e32 v12, v12, v5
	v_cndmask_b32_e32 v10, v10, v36, vcc_lo
	v_and_b32_e32 v9, 1, v9
	v_add_nc_u32_e32 v11, 9, v11
	v_cmp_eq_u32_e32 vcc_lo, 1, v17
	v_sub_nc_u32_e32 v17, v49, v7
	v_add_nc_u32_e32 v19, v19, v5
	v_add_nc_u32_e32 v20, v18, v12
	;; [unrolled: 1-line block ×3, first 2 shown]
	v_cndmask_b32_e32 v11, v11, v22, vcc_lo
	v_cmp_eq_u32_e32 vcc_lo, 1, v9
	v_add_nc_u32_e32 v21, v17, v19
	v_sub_nc_u32_e32 v20, v34, v20
	v_and_b32_e32 v23, 1, v44
	v_add_nc_u32_e32 v50, v49, v43
	v_cndmask_b32_e32 v9, v11, v24, vcc_lo
	v_sub_nc_u32_e32 v11, v28, v8
	v_sub_nc_u32_e32 v21, v34, v21
	v_add_nc_u32_e32 v20, 10, v20
	v_and_b32_e32 v24, 1, v39
	v_cmp_eq_u32_e32 vcc_lo, 1, v23
	v_and_b32_sdwa v22, v71, v40 dst_sel:DWORD dst_unused:UNUSED_PAD src0_sel:DWORD src1_sel:WORD_1
	v_sub_nc_u32_e32 v7, v50, v7
	v_add_nc_u32_e32 v11, v11, v5
	v_add_nc_u32_e32 v21, 11, v21
	v_cndmask_b32_e32 v12, v20, v12, vcc_lo
	v_cmp_eq_u32_e32 vcc_lo, 1, v24
	v_and_b32_e32 v20, 1, v43
	v_add_nc_u32_e32 v27, v7, v11
	v_lshlrev_b32_e32 v10, 2, v10
	v_lshlrev_b32_e32 v9, 2, v9
	v_cndmask_b32_e32 v19, v21, v19, vcc_lo
	v_cmp_eq_u32_e32 vcc_lo, 1, v22
	v_sub_nc_u32_e32 v23, v34, v27
	v_cndmask_b32_e32 v12, v12, v18, vcc_lo
	v_and_b32_e32 v18, 1, v42
	v_cmp_eq_u32_e32 vcc_lo, 1, v20
	v_add_nc_u32_e32 v21, 12, v23
	v_lshlrev_b32_e32 v12, 2, v12
	v_cndmask_b32_e32 v17, v19, v17, vcc_lo
	v_and_b32_e32 v19, 1, v41
	v_cmp_eq_u32_e32 vcc_lo, 1, v18
	v_lshlrev_b32_e32 v17, 2, v17
	ds_write_b32 v10, v15
	ds_write_b32 v9, v16
	;; [unrolled: 1-line block ×4, first 2 shown]
	v_cndmask_b32_e32 v11, v21, v11, vcc_lo
	v_cmp_eq_u32_e32 vcc_lo, 1, v19
	v_add_co_u32 v9, s1, v6, v69
	v_add_co_ci_u32_e64 v10, null, 0, 0, s1
	v_cndmask_b32_e32 v7, v11, v7, vcc_lo
	v_add_co_u32 v11, s1, s34, v31
	v_add_co_ci_u32_e64 v12, null, s35, 0, s1
	v_lshlrev_b32_e32 v7, 2, v7
	v_add_nc_u32_e32 v14, v5, v6
	ds_write_b32 v7, v33
	v_add_co_u32 v7, vcc_lo, v9, v25
	v_add_co_ci_u32_e64 v9, null, v10, v26, vcc_lo
	s_waitcnt lgkmcnt(0)
	v_add_co_u32 v7, vcc_lo, v7, v1
	v_add_co_ci_u32_e64 v13, null, v9, v2, vcc_lo
	v_lshlrev_b64 v[9:10], 2, v[25:26]
	v_sub_co_u32 v7, vcc_lo, v11, v7
	v_sub_co_ci_u32_e64 v13, null, v12, v13, vcc_lo
	v_lshlrev_b64 v[11:12], 2, v[1:2]
	v_add_co_u32 v9, vcc_lo, s30, v9
	v_add_co_ci_u32_e64 v10, null, s31, v10, vcc_lo
	v_cmp_ne_u32_e32 vcc_lo, 1, v32
	v_add_co_u32 v11, s1, s28, v11
	v_add_co_ci_u32_e64 v12, null, s29, v12, s1
	s_mov_b32 s1, -1
	s_barrier
	buffer_gl0_inv
	s_cbranch_vccz .LBB768_155
; %bb.152:
	s_and_b32 vcc_lo, exec_lo, s1
	s_cbranch_vccnz .LBB768_260
.LBB768_153:
	s_and_b32 s0, s0, s26
	s_and_saveexec_b32 s1, s0
	s_cbranch_execnz .LBB768_378
.LBB768_154:
	s_endpgm
.LBB768_155:
	s_mov_b32 s1, exec_lo
	v_cmpx_ge_u32_e64 v0, v5
	s_xor_b32 s1, exec_lo, s1
	s_cbranch_execz .LBB768_161
; %bb.156:
	s_mov_b32 s2, exec_lo
	v_cmpx_ge_u32_e64 v0, v14
	s_xor_b32 s2, exec_lo, s2
	s_cbranch_execz .LBB768_158
; %bb.157:
	v_lshlrev_b32_e32 v15, 2, v0
	ds_read_b32 v17, v15
	v_add_co_u32 v15, vcc_lo, v7, v0
	v_add_co_ci_u32_e64 v16, null, 0, v13, vcc_lo
	v_lshlrev_b64 v[15:16], 2, v[15:16]
	v_sub_co_u32 v15, vcc_lo, s14, v15
	v_sub_co_ci_u32_e64 v16, null, s15, v16, vcc_lo
	s_waitcnt lgkmcnt(0)
	global_store_dword v[15:16], v17, off offset:-4
.LBB768_158:
	s_andn2_saveexec_b32 s2, s2
	s_cbranch_execz .LBB768_160
; %bb.159:
	v_lshlrev_b32_e32 v15, 2, v0
	v_readfirstlane_b32 s6, v9
	v_readfirstlane_b32 s7, v10
	ds_read_b32 v16, v15
	s_waitcnt lgkmcnt(0)
	global_store_dword v15, v16, s[6:7]
.LBB768_160:
	s_or_b32 exec_lo, exec_lo, s2
.LBB768_161:
	s_andn2_saveexec_b32 s1, s1
	s_cbranch_execz .LBB768_163
; %bb.162:
	v_lshlrev_b32_e32 v15, 2, v0
	v_readfirstlane_b32 s2, v11
	v_readfirstlane_b32 s3, v12
	ds_read_b32 v16, v15
	s_waitcnt lgkmcnt(0)
	global_store_dword v15, v16, s[2:3]
.LBB768_163:
	s_or_b32 exec_lo, exec_lo, s1
	v_or_b32_e32 v15, 0x100, v0
	s_mov_b32 s1, exec_lo
	v_cmpx_ge_u32_e64 v15, v5
	s_xor_b32 s1, exec_lo, s1
	s_cbranch_execz .LBB768_169
; %bb.164:
	s_mov_b32 s2, exec_lo
	v_cmpx_ge_u32_e64 v15, v14
	s_xor_b32 s2, exec_lo, s2
	s_cbranch_execz .LBB768_166
; %bb.165:
	v_lshlrev_b32_e32 v15, 2, v0
	ds_read_b32 v17, v15 offset:1024
	v_add_co_u32 v15, vcc_lo, v7, v0
	v_add_co_ci_u32_e64 v16, null, 0, v13, vcc_lo
	v_lshlrev_b64 v[15:16], 2, v[15:16]
	v_sub_co_u32 v15, vcc_lo, s14, v15
	v_sub_co_ci_u32_e64 v16, null, s15, v16, vcc_lo
	s_waitcnt lgkmcnt(0)
	global_store_dword v[15:16], v17, off offset:-1028
.LBB768_166:
	s_andn2_saveexec_b32 s2, s2
	s_cbranch_execz .LBB768_168
; %bb.167:
	v_lshlrev_b32_e32 v15, 2, v0
	v_readfirstlane_b32 s6, v9
	v_readfirstlane_b32 s7, v10
	ds_read_b32 v16, v15 offset:1024
	s_waitcnt lgkmcnt(0)
	global_store_dword v15, v16, s[6:7] offset:1024
.LBB768_168:
	s_or_b32 exec_lo, exec_lo, s2
.LBB768_169:
	s_andn2_saveexec_b32 s1, s1
	s_cbranch_execz .LBB768_171
; %bb.170:
	v_lshlrev_b32_e32 v15, 2, v0
	v_readfirstlane_b32 s2, v11
	v_readfirstlane_b32 s3, v12
	ds_read_b32 v16, v15 offset:1024
	s_waitcnt lgkmcnt(0)
	global_store_dword v15, v16, s[2:3] offset:1024
.LBB768_171:
	s_or_b32 exec_lo, exec_lo, s1
	v_or_b32_e32 v15, 0x200, v0
	s_mov_b32 s1, exec_lo
	v_cmpx_ge_u32_e64 v15, v5
	s_xor_b32 s1, exec_lo, s1
	s_cbranch_execz .LBB768_177
; %bb.172:
	s_mov_b32 s2, exec_lo
	v_cmpx_ge_u32_e64 v15, v14
	s_xor_b32 s2, exec_lo, s2
	s_cbranch_execz .LBB768_174
; %bb.173:
	v_lshlrev_b32_e32 v17, 2, v0
	v_add_co_u32 v15, vcc_lo, v7, v0
	v_add_co_ci_u32_e64 v16, null, 0, v13, vcc_lo
	ds_read_b32 v17, v17 offset:2048
	v_lshlrev_b64 v[15:16], 2, v[15:16]
	v_sub_co_u32 v15, vcc_lo, s14, v15
	v_sub_co_ci_u32_e64 v16, null, s15, v16, vcc_lo
	v_add_co_u32 v15, vcc_lo, 0xfffff800, v15
	v_add_co_ci_u32_e64 v16, null, -1, v16, vcc_lo
	s_waitcnt lgkmcnt(0)
	global_store_dword v[15:16], v17, off offset:-4
                                        ; implicit-def: $vgpr15
.LBB768_174:
	s_andn2_saveexec_b32 s2, s2
	s_cbranch_execz .LBB768_176
; %bb.175:
	v_lshlrev_b32_e32 v16, 2, v0
	v_lshlrev_b32_e32 v15, 2, v15
	v_readfirstlane_b32 s6, v9
	v_readfirstlane_b32 s7, v10
	ds_read_b32 v16, v16 offset:2048
	s_waitcnt lgkmcnt(0)
	global_store_dword v15, v16, s[6:7]
.LBB768_176:
	s_or_b32 exec_lo, exec_lo, s2
                                        ; implicit-def: $vgpr15
.LBB768_177:
	s_andn2_saveexec_b32 s1, s1
	s_cbranch_execz .LBB768_179
; %bb.178:
	v_lshlrev_b32_e32 v16, 2, v0
	v_lshlrev_b32_e32 v15, 2, v15
	v_readfirstlane_b32 s2, v11
	v_readfirstlane_b32 s3, v12
	ds_read_b32 v16, v16 offset:2048
	s_waitcnt lgkmcnt(0)
	global_store_dword v15, v16, s[2:3]
.LBB768_179:
	s_or_b32 exec_lo, exec_lo, s1
	v_or_b32_e32 v15, 0x300, v0
	s_mov_b32 s1, exec_lo
	v_cmpx_ge_u32_e64 v15, v5
	s_xor_b32 s1, exec_lo, s1
	s_cbranch_execz .LBB768_185
; %bb.180:
	s_mov_b32 s2, exec_lo
	v_cmpx_ge_u32_e64 v15, v14
	s_xor_b32 s2, exec_lo, s2
	s_cbranch_execz .LBB768_182
; %bb.181:
	v_lshlrev_b32_e32 v16, 2, v0
	v_add_co_u32 v15, vcc_lo, v7, v15
	ds_read_b32 v17, v16 offset:3072
	v_add_co_ci_u32_e64 v16, null, 0, v13, vcc_lo
	v_lshlrev_b64 v[15:16], 2, v[15:16]
	v_sub_co_u32 v15, vcc_lo, s14, v15
	v_sub_co_ci_u32_e64 v16, null, s15, v16, vcc_lo
	s_waitcnt lgkmcnt(0)
	global_store_dword v[15:16], v17, off offset:-4
                                        ; implicit-def: $vgpr15
.LBB768_182:
	s_andn2_saveexec_b32 s2, s2
	s_cbranch_execz .LBB768_184
; %bb.183:
	v_lshlrev_b32_e32 v16, 2, v0
	v_lshlrev_b32_e32 v15, 2, v15
	v_readfirstlane_b32 s6, v9
	v_readfirstlane_b32 s7, v10
	ds_read_b32 v16, v16 offset:3072
	s_waitcnt lgkmcnt(0)
	global_store_dword v15, v16, s[6:7]
.LBB768_184:
	s_or_b32 exec_lo, exec_lo, s2
                                        ; implicit-def: $vgpr15
.LBB768_185:
	s_andn2_saveexec_b32 s1, s1
	s_cbranch_execz .LBB768_187
; %bb.186:
	v_lshlrev_b32_e32 v16, 2, v0
	v_lshlrev_b32_e32 v15, 2, v15
	v_readfirstlane_b32 s2, v11
	v_readfirstlane_b32 s3, v12
	ds_read_b32 v16, v16 offset:3072
	s_waitcnt lgkmcnt(0)
	global_store_dword v15, v16, s[2:3]
.LBB768_187:
	s_or_b32 exec_lo, exec_lo, s1
	v_or_b32_e32 v15, 0x400, v0
	s_mov_b32 s1, exec_lo
	v_cmpx_ge_u32_e64 v15, v5
	s_xor_b32 s1, exec_lo, s1
	s_cbranch_execz .LBB768_193
; %bb.188:
	s_mov_b32 s2, exec_lo
	v_cmpx_ge_u32_e64 v15, v14
	s_xor_b32 s2, exec_lo, s2
	s_cbranch_execz .LBB768_190
; %bb.189:
	v_lshlrev_b32_e32 v16, 2, v0
	v_add_co_u32 v15, vcc_lo, v7, v15
	ds_read_b32 v17, v16 offset:4096
	v_add_co_ci_u32_e64 v16, null, 0, v13, vcc_lo
	v_lshlrev_b64 v[15:16], 2, v[15:16]
	v_sub_co_u32 v15, vcc_lo, s14, v15
	v_sub_co_ci_u32_e64 v16, null, s15, v16, vcc_lo
	s_waitcnt lgkmcnt(0)
	global_store_dword v[15:16], v17, off offset:-4
                                        ; implicit-def: $vgpr15
.LBB768_190:
	s_andn2_saveexec_b32 s2, s2
	s_cbranch_execz .LBB768_192
; %bb.191:
	v_lshlrev_b32_e32 v16, 2, v0
	v_lshlrev_b32_e32 v15, 2, v15
	v_readfirstlane_b32 s6, v9
	v_readfirstlane_b32 s7, v10
	ds_read_b32 v16, v16 offset:4096
	s_waitcnt lgkmcnt(0)
	global_store_dword v15, v16, s[6:7]
.LBB768_192:
	s_or_b32 exec_lo, exec_lo, s2
                                        ; implicit-def: $vgpr15
.LBB768_193:
	s_andn2_saveexec_b32 s1, s1
	s_cbranch_execz .LBB768_195
; %bb.194:
	v_lshlrev_b32_e32 v16, 2, v0
	v_lshlrev_b32_e32 v15, 2, v15
	v_readfirstlane_b32 s2, v11
	v_readfirstlane_b32 s3, v12
	ds_read_b32 v16, v16 offset:4096
	s_waitcnt lgkmcnt(0)
	global_store_dword v15, v16, s[2:3]
.LBB768_195:
	s_or_b32 exec_lo, exec_lo, s1
	v_or_b32_e32 v15, 0x500, v0
	s_mov_b32 s1, exec_lo
	v_cmpx_ge_u32_e64 v15, v5
	s_xor_b32 s1, exec_lo, s1
	s_cbranch_execz .LBB768_201
; %bb.196:
	s_mov_b32 s2, exec_lo
	v_cmpx_ge_u32_e64 v15, v14
	s_xor_b32 s2, exec_lo, s2
	s_cbranch_execz .LBB768_198
; %bb.197:
	v_lshlrev_b32_e32 v16, 2, v0
	v_add_co_u32 v15, vcc_lo, v7, v15
	ds_read_b32 v17, v16 offset:5120
	v_add_co_ci_u32_e64 v16, null, 0, v13, vcc_lo
	v_lshlrev_b64 v[15:16], 2, v[15:16]
	v_sub_co_u32 v15, vcc_lo, s14, v15
	v_sub_co_ci_u32_e64 v16, null, s15, v16, vcc_lo
	s_waitcnt lgkmcnt(0)
	global_store_dword v[15:16], v17, off offset:-4
                                        ; implicit-def: $vgpr15
.LBB768_198:
	s_andn2_saveexec_b32 s2, s2
	s_cbranch_execz .LBB768_200
; %bb.199:
	v_lshlrev_b32_e32 v16, 2, v0
	v_lshlrev_b32_e32 v15, 2, v15
	v_readfirstlane_b32 s6, v9
	v_readfirstlane_b32 s7, v10
	ds_read_b32 v16, v16 offset:5120
	s_waitcnt lgkmcnt(0)
	global_store_dword v15, v16, s[6:7]
.LBB768_200:
	s_or_b32 exec_lo, exec_lo, s2
                                        ; implicit-def: $vgpr15
.LBB768_201:
	s_andn2_saveexec_b32 s1, s1
	s_cbranch_execz .LBB768_203
; %bb.202:
	v_lshlrev_b32_e32 v16, 2, v0
	v_lshlrev_b32_e32 v15, 2, v15
	v_readfirstlane_b32 s2, v11
	v_readfirstlane_b32 s3, v12
	ds_read_b32 v16, v16 offset:5120
	s_waitcnt lgkmcnt(0)
	global_store_dword v15, v16, s[2:3]
.LBB768_203:
	s_or_b32 exec_lo, exec_lo, s1
	v_or_b32_e32 v15, 0x600, v0
	s_mov_b32 s1, exec_lo
	v_cmpx_ge_u32_e64 v15, v5
	s_xor_b32 s1, exec_lo, s1
	s_cbranch_execz .LBB768_209
; %bb.204:
	s_mov_b32 s2, exec_lo
	v_cmpx_ge_u32_e64 v15, v14
	s_xor_b32 s2, exec_lo, s2
	s_cbranch_execz .LBB768_206
; %bb.205:
	v_lshlrev_b32_e32 v16, 2, v0
	v_add_co_u32 v15, vcc_lo, v7, v15
	ds_read_b32 v17, v16 offset:6144
	v_add_co_ci_u32_e64 v16, null, 0, v13, vcc_lo
	v_lshlrev_b64 v[15:16], 2, v[15:16]
	v_sub_co_u32 v15, vcc_lo, s14, v15
	v_sub_co_ci_u32_e64 v16, null, s15, v16, vcc_lo
	s_waitcnt lgkmcnt(0)
	global_store_dword v[15:16], v17, off offset:-4
                                        ; implicit-def: $vgpr15
.LBB768_206:
	s_andn2_saveexec_b32 s2, s2
	s_cbranch_execz .LBB768_208
; %bb.207:
	v_lshlrev_b32_e32 v16, 2, v0
	v_lshlrev_b32_e32 v15, 2, v15
	v_readfirstlane_b32 s6, v9
	v_readfirstlane_b32 s7, v10
	ds_read_b32 v16, v16 offset:6144
	s_waitcnt lgkmcnt(0)
	global_store_dword v15, v16, s[6:7]
.LBB768_208:
	s_or_b32 exec_lo, exec_lo, s2
                                        ; implicit-def: $vgpr15
.LBB768_209:
	s_andn2_saveexec_b32 s1, s1
	s_cbranch_execz .LBB768_211
; %bb.210:
	v_lshlrev_b32_e32 v16, 2, v0
	v_lshlrev_b32_e32 v15, 2, v15
	v_readfirstlane_b32 s2, v11
	v_readfirstlane_b32 s3, v12
	ds_read_b32 v16, v16 offset:6144
	s_waitcnt lgkmcnt(0)
	global_store_dword v15, v16, s[2:3]
.LBB768_211:
	s_or_b32 exec_lo, exec_lo, s1
	v_or_b32_e32 v15, 0x700, v0
	s_mov_b32 s1, exec_lo
	v_cmpx_ge_u32_e64 v15, v5
	s_xor_b32 s1, exec_lo, s1
	s_cbranch_execz .LBB768_217
; %bb.212:
	s_mov_b32 s2, exec_lo
	v_cmpx_ge_u32_e64 v15, v14
	s_xor_b32 s2, exec_lo, s2
	s_cbranch_execz .LBB768_214
; %bb.213:
	v_lshlrev_b32_e32 v16, 2, v0
	v_add_co_u32 v15, vcc_lo, v7, v15
	ds_read_b32 v17, v16 offset:7168
	v_add_co_ci_u32_e64 v16, null, 0, v13, vcc_lo
	v_lshlrev_b64 v[15:16], 2, v[15:16]
	v_sub_co_u32 v15, vcc_lo, s14, v15
	v_sub_co_ci_u32_e64 v16, null, s15, v16, vcc_lo
	s_waitcnt lgkmcnt(0)
	global_store_dword v[15:16], v17, off offset:-4
                                        ; implicit-def: $vgpr15
.LBB768_214:
	s_andn2_saveexec_b32 s2, s2
	s_cbranch_execz .LBB768_216
; %bb.215:
	v_lshlrev_b32_e32 v16, 2, v0
	v_lshlrev_b32_e32 v15, 2, v15
	v_readfirstlane_b32 s6, v9
	v_readfirstlane_b32 s7, v10
	ds_read_b32 v16, v16 offset:7168
	s_waitcnt lgkmcnt(0)
	global_store_dword v15, v16, s[6:7]
.LBB768_216:
	s_or_b32 exec_lo, exec_lo, s2
                                        ; implicit-def: $vgpr15
.LBB768_217:
	s_andn2_saveexec_b32 s1, s1
	s_cbranch_execz .LBB768_219
; %bb.218:
	v_lshlrev_b32_e32 v16, 2, v0
	v_lshlrev_b32_e32 v15, 2, v15
	v_readfirstlane_b32 s2, v11
	v_readfirstlane_b32 s3, v12
	ds_read_b32 v16, v16 offset:7168
	s_waitcnt lgkmcnt(0)
	global_store_dword v15, v16, s[2:3]
.LBB768_219:
	s_or_b32 exec_lo, exec_lo, s1
	v_or_b32_e32 v15, 0x800, v0
	s_mov_b32 s1, exec_lo
	v_cmpx_ge_u32_e64 v15, v5
	s_xor_b32 s1, exec_lo, s1
	s_cbranch_execz .LBB768_225
; %bb.220:
	s_mov_b32 s2, exec_lo
	v_cmpx_ge_u32_e64 v15, v14
	s_xor_b32 s2, exec_lo, s2
	s_cbranch_execz .LBB768_222
; %bb.221:
	v_lshlrev_b32_e32 v16, 2, v0
	v_add_co_u32 v15, vcc_lo, v7, v15
	ds_read_b32 v17, v16 offset:8192
	v_add_co_ci_u32_e64 v16, null, 0, v13, vcc_lo
	v_lshlrev_b64 v[15:16], 2, v[15:16]
	v_sub_co_u32 v15, vcc_lo, s14, v15
	v_sub_co_ci_u32_e64 v16, null, s15, v16, vcc_lo
	s_waitcnt lgkmcnt(0)
	global_store_dword v[15:16], v17, off offset:-4
                                        ; implicit-def: $vgpr15
.LBB768_222:
	s_andn2_saveexec_b32 s2, s2
	s_cbranch_execz .LBB768_224
; %bb.223:
	v_lshlrev_b32_e32 v16, 2, v0
	v_lshlrev_b32_e32 v15, 2, v15
	v_readfirstlane_b32 s6, v9
	v_readfirstlane_b32 s7, v10
	ds_read_b32 v16, v16 offset:8192
	s_waitcnt lgkmcnt(0)
	global_store_dword v15, v16, s[6:7]
.LBB768_224:
	s_or_b32 exec_lo, exec_lo, s2
                                        ; implicit-def: $vgpr15
.LBB768_225:
	s_andn2_saveexec_b32 s1, s1
	s_cbranch_execz .LBB768_227
; %bb.226:
	v_lshlrev_b32_e32 v16, 2, v0
	v_lshlrev_b32_e32 v15, 2, v15
	v_readfirstlane_b32 s2, v11
	v_readfirstlane_b32 s3, v12
	ds_read_b32 v16, v16 offset:8192
	s_waitcnt lgkmcnt(0)
	global_store_dword v15, v16, s[2:3]
.LBB768_227:
	s_or_b32 exec_lo, exec_lo, s1
	v_or_b32_e32 v15, 0x900, v0
	s_mov_b32 s1, exec_lo
	v_cmpx_ge_u32_e64 v15, v5
	s_xor_b32 s1, exec_lo, s1
	s_cbranch_execz .LBB768_233
; %bb.228:
	s_mov_b32 s2, exec_lo
	v_cmpx_ge_u32_e64 v15, v14
	s_xor_b32 s2, exec_lo, s2
	s_cbranch_execz .LBB768_230
; %bb.229:
	v_lshlrev_b32_e32 v16, 2, v0
	v_add_co_u32 v15, vcc_lo, v7, v15
	ds_read_b32 v17, v16 offset:9216
	v_add_co_ci_u32_e64 v16, null, 0, v13, vcc_lo
	v_lshlrev_b64 v[15:16], 2, v[15:16]
	v_sub_co_u32 v15, vcc_lo, s14, v15
	v_sub_co_ci_u32_e64 v16, null, s15, v16, vcc_lo
	s_waitcnt lgkmcnt(0)
	global_store_dword v[15:16], v17, off offset:-4
                                        ; implicit-def: $vgpr15
.LBB768_230:
	s_andn2_saveexec_b32 s2, s2
	s_cbranch_execz .LBB768_232
; %bb.231:
	v_lshlrev_b32_e32 v16, 2, v0
	v_lshlrev_b32_e32 v15, 2, v15
	v_readfirstlane_b32 s6, v9
	v_readfirstlane_b32 s7, v10
	ds_read_b32 v16, v16 offset:9216
	s_waitcnt lgkmcnt(0)
	global_store_dword v15, v16, s[6:7]
.LBB768_232:
	s_or_b32 exec_lo, exec_lo, s2
                                        ; implicit-def: $vgpr15
.LBB768_233:
	s_andn2_saveexec_b32 s1, s1
	s_cbranch_execz .LBB768_235
; %bb.234:
	v_lshlrev_b32_e32 v16, 2, v0
	v_lshlrev_b32_e32 v15, 2, v15
	v_readfirstlane_b32 s2, v11
	v_readfirstlane_b32 s3, v12
	ds_read_b32 v16, v16 offset:9216
	s_waitcnt lgkmcnt(0)
	global_store_dword v15, v16, s[2:3]
.LBB768_235:
	s_or_b32 exec_lo, exec_lo, s1
	v_or_b32_e32 v15, 0xa00, v0
	s_mov_b32 s1, exec_lo
	v_cmpx_ge_u32_e64 v15, v5
	s_xor_b32 s1, exec_lo, s1
	s_cbranch_execz .LBB768_241
; %bb.236:
	s_mov_b32 s2, exec_lo
	v_cmpx_ge_u32_e64 v15, v14
	s_xor_b32 s2, exec_lo, s2
	s_cbranch_execz .LBB768_238
; %bb.237:
	v_lshlrev_b32_e32 v16, 2, v0
	v_add_co_u32 v15, vcc_lo, v7, v15
	ds_read_b32 v17, v16 offset:10240
	v_add_co_ci_u32_e64 v16, null, 0, v13, vcc_lo
	v_lshlrev_b64 v[15:16], 2, v[15:16]
	v_sub_co_u32 v15, vcc_lo, s14, v15
	v_sub_co_ci_u32_e64 v16, null, s15, v16, vcc_lo
	s_waitcnt lgkmcnt(0)
	global_store_dword v[15:16], v17, off offset:-4
                                        ; implicit-def: $vgpr15
.LBB768_238:
	s_andn2_saveexec_b32 s2, s2
	s_cbranch_execz .LBB768_240
; %bb.239:
	v_lshlrev_b32_e32 v16, 2, v0
	v_lshlrev_b32_e32 v15, 2, v15
	v_readfirstlane_b32 s6, v9
	v_readfirstlane_b32 s7, v10
	ds_read_b32 v16, v16 offset:10240
	s_waitcnt lgkmcnt(0)
	global_store_dword v15, v16, s[6:7]
.LBB768_240:
	s_or_b32 exec_lo, exec_lo, s2
                                        ; implicit-def: $vgpr15
.LBB768_241:
	s_andn2_saveexec_b32 s1, s1
	s_cbranch_execz .LBB768_243
; %bb.242:
	v_lshlrev_b32_e32 v16, 2, v0
	v_lshlrev_b32_e32 v15, 2, v15
	v_readfirstlane_b32 s2, v11
	v_readfirstlane_b32 s3, v12
	ds_read_b32 v16, v16 offset:10240
	s_waitcnt lgkmcnt(0)
	global_store_dword v15, v16, s[2:3]
.LBB768_243:
	s_or_b32 exec_lo, exec_lo, s1
	v_or_b32_e32 v15, 0xb00, v0
	s_mov_b32 s1, exec_lo
	v_cmpx_ge_u32_e64 v15, v5
	s_xor_b32 s1, exec_lo, s1
	s_cbranch_execz .LBB768_249
; %bb.244:
	s_mov_b32 s2, exec_lo
	v_cmpx_ge_u32_e64 v15, v14
	s_xor_b32 s2, exec_lo, s2
	s_cbranch_execz .LBB768_246
; %bb.245:
	v_lshlrev_b32_e32 v16, 2, v0
	v_add_co_u32 v15, vcc_lo, v7, v15
	ds_read_b32 v17, v16 offset:11264
	v_add_co_ci_u32_e64 v16, null, 0, v13, vcc_lo
	v_lshlrev_b64 v[15:16], 2, v[15:16]
	v_sub_co_u32 v15, vcc_lo, s14, v15
	v_sub_co_ci_u32_e64 v16, null, s15, v16, vcc_lo
	s_waitcnt lgkmcnt(0)
	global_store_dword v[15:16], v17, off offset:-4
                                        ; implicit-def: $vgpr15
.LBB768_246:
	s_andn2_saveexec_b32 s2, s2
	s_cbranch_execz .LBB768_248
; %bb.247:
	v_lshlrev_b32_e32 v16, 2, v0
	v_lshlrev_b32_e32 v15, 2, v15
	v_readfirstlane_b32 s6, v9
	v_readfirstlane_b32 s7, v10
	ds_read_b32 v16, v16 offset:11264
	s_waitcnt lgkmcnt(0)
	global_store_dword v15, v16, s[6:7]
.LBB768_248:
	s_or_b32 exec_lo, exec_lo, s2
                                        ; implicit-def: $vgpr15
.LBB768_249:
	s_andn2_saveexec_b32 s1, s1
	s_cbranch_execz .LBB768_251
; %bb.250:
	v_lshlrev_b32_e32 v16, 2, v0
	v_lshlrev_b32_e32 v15, 2, v15
	v_readfirstlane_b32 s2, v11
	v_readfirstlane_b32 s3, v12
	ds_read_b32 v16, v16 offset:11264
	s_waitcnt lgkmcnt(0)
	global_store_dword v15, v16, s[2:3]
.LBB768_251:
	s_or_b32 exec_lo, exec_lo, s1
	v_or_b32_e32 v15, 0xc00, v0
	s_mov_b32 s1, exec_lo
	v_cmpx_ge_u32_e64 v15, v5
	s_xor_b32 s1, exec_lo, s1
	s_cbranch_execz .LBB768_257
; %bb.252:
	s_mov_b32 s2, exec_lo
	v_cmpx_ge_u32_e64 v15, v14
	s_xor_b32 s2, exec_lo, s2
	s_cbranch_execz .LBB768_254
; %bb.253:
	v_lshlrev_b32_e32 v16, 2, v0
	v_add_co_u32 v15, vcc_lo, v7, v15
	ds_read_b32 v17, v16 offset:12288
	v_add_co_ci_u32_e64 v16, null, 0, v13, vcc_lo
	v_lshlrev_b64 v[15:16], 2, v[15:16]
	v_sub_co_u32 v15, vcc_lo, s14, v15
	v_sub_co_ci_u32_e64 v16, null, s15, v16, vcc_lo
	s_waitcnt lgkmcnt(0)
	global_store_dword v[15:16], v17, off offset:-4
                                        ; implicit-def: $vgpr15
.LBB768_254:
	s_andn2_saveexec_b32 s2, s2
	s_cbranch_execz .LBB768_256
; %bb.255:
	v_lshlrev_b32_e32 v16, 2, v0
	v_lshlrev_b32_e32 v15, 2, v15
	v_readfirstlane_b32 s6, v9
	v_readfirstlane_b32 s7, v10
	ds_read_b32 v16, v16 offset:12288
	s_waitcnt lgkmcnt(0)
	global_store_dword v15, v16, s[6:7]
.LBB768_256:
	s_or_b32 exec_lo, exec_lo, s2
                                        ; implicit-def: $vgpr15
.LBB768_257:
	s_andn2_saveexec_b32 s1, s1
	s_cbranch_execz .LBB768_259
; %bb.258:
	v_lshlrev_b32_e32 v16, 2, v0
	v_lshlrev_b32_e32 v15, 2, v15
	v_readfirstlane_b32 s2, v11
	v_readfirstlane_b32 s3, v12
	ds_read_b32 v16, v16 offset:12288
	s_waitcnt lgkmcnt(0)
	global_store_dword v15, v16, s[2:3]
.LBB768_259:
	s_or_b32 exec_lo, exec_lo, s1
	s_branch .LBB768_153
.LBB768_260:
	s_mov_b32 s1, exec_lo
	v_cmpx_gt_u32_e64 s5, v0
	s_cbranch_execz .LBB768_269
; %bb.261:
	s_mov_b32 s2, exec_lo
	v_cmpx_ge_u32_e64 v0, v5
	s_xor_b32 s2, exec_lo, s2
	s_cbranch_execz .LBB768_267
; %bb.262:
	s_mov_b32 s3, exec_lo
	v_cmpx_ge_u32_e64 v0, v14
	s_xor_b32 s3, exec_lo, s3
	s_cbranch_execz .LBB768_264
; %bb.263:
	v_lshlrev_b32_e32 v15, 2, v0
	ds_read_b32 v17, v15
	v_add_co_u32 v15, vcc_lo, v7, v0
	v_add_co_ci_u32_e64 v16, null, 0, v13, vcc_lo
	v_lshlrev_b64 v[15:16], 2, v[15:16]
	v_sub_co_u32 v15, vcc_lo, s14, v15
	v_sub_co_ci_u32_e64 v16, null, s15, v16, vcc_lo
	s_waitcnt lgkmcnt(0)
	global_store_dword v[15:16], v17, off offset:-4
.LBB768_264:
	s_andn2_saveexec_b32 s3, s3
	s_cbranch_execz .LBB768_266
; %bb.265:
	v_lshlrev_b32_e32 v15, 2, v0
	v_readfirstlane_b32 s6, v9
	v_readfirstlane_b32 s7, v10
	ds_read_b32 v16, v15
	s_waitcnt lgkmcnt(0)
	global_store_dword v15, v16, s[6:7]
.LBB768_266:
	s_or_b32 exec_lo, exec_lo, s3
.LBB768_267:
	s_andn2_saveexec_b32 s2, s2
	s_cbranch_execz .LBB768_269
; %bb.268:
	v_lshlrev_b32_e32 v15, 2, v0
	v_readfirstlane_b32 s2, v11
	v_readfirstlane_b32 s3, v12
	ds_read_b32 v16, v15
	s_waitcnt lgkmcnt(0)
	global_store_dword v15, v16, s[2:3]
.LBB768_269:
	s_or_b32 exec_lo, exec_lo, s1
	v_or_b32_e32 v15, 0x100, v0
	s_mov_b32 s1, exec_lo
	v_cmpx_gt_u32_e64 s5, v15
	s_cbranch_execz .LBB768_278
; %bb.270:
	s_mov_b32 s2, exec_lo
	v_cmpx_ge_u32_e64 v15, v5
	s_xor_b32 s2, exec_lo, s2
	s_cbranch_execz .LBB768_276
; %bb.271:
	s_mov_b32 s3, exec_lo
	v_cmpx_ge_u32_e64 v15, v14
	s_xor_b32 s3, exec_lo, s3
	s_cbranch_execz .LBB768_273
; %bb.272:
	v_lshlrev_b32_e32 v15, 2, v0
	ds_read_b32 v17, v15 offset:1024
	v_add_co_u32 v15, vcc_lo, v7, v0
	v_add_co_ci_u32_e64 v16, null, 0, v13, vcc_lo
	v_lshlrev_b64 v[15:16], 2, v[15:16]
	v_sub_co_u32 v15, vcc_lo, s14, v15
	v_sub_co_ci_u32_e64 v16, null, s15, v16, vcc_lo
	s_waitcnt lgkmcnt(0)
	global_store_dword v[15:16], v17, off offset:-1028
.LBB768_273:
	s_andn2_saveexec_b32 s3, s3
	s_cbranch_execz .LBB768_275
; %bb.274:
	v_lshlrev_b32_e32 v15, 2, v0
	v_readfirstlane_b32 s6, v9
	v_readfirstlane_b32 s7, v10
	ds_read_b32 v16, v15 offset:1024
	s_waitcnt lgkmcnt(0)
	global_store_dword v15, v16, s[6:7] offset:1024
.LBB768_275:
	s_or_b32 exec_lo, exec_lo, s3
.LBB768_276:
	s_andn2_saveexec_b32 s2, s2
	s_cbranch_execz .LBB768_278
; %bb.277:
	v_lshlrev_b32_e32 v15, 2, v0
	v_readfirstlane_b32 s2, v11
	v_readfirstlane_b32 s3, v12
	ds_read_b32 v16, v15 offset:1024
	s_waitcnt lgkmcnt(0)
	global_store_dword v15, v16, s[2:3] offset:1024
.LBB768_278:
	s_or_b32 exec_lo, exec_lo, s1
	v_or_b32_e32 v15, 0x200, v0
	s_mov_b32 s1, exec_lo
	v_cmpx_gt_u32_e64 s5, v15
	s_cbranch_execz .LBB768_287
; %bb.279:
	s_mov_b32 s2, exec_lo
	v_cmpx_ge_u32_e64 v15, v5
	s_xor_b32 s2, exec_lo, s2
	s_cbranch_execz .LBB768_285
; %bb.280:
	s_mov_b32 s3, exec_lo
	v_cmpx_ge_u32_e64 v15, v14
	s_xor_b32 s3, exec_lo, s3
	s_cbranch_execz .LBB768_282
; %bb.281:
	v_lshlrev_b32_e32 v17, 2, v0
	v_add_co_u32 v15, vcc_lo, v7, v0
	v_add_co_ci_u32_e64 v16, null, 0, v13, vcc_lo
	ds_read_b32 v17, v17 offset:2048
	v_lshlrev_b64 v[15:16], 2, v[15:16]
	v_sub_co_u32 v15, vcc_lo, s14, v15
	v_sub_co_ci_u32_e64 v16, null, s15, v16, vcc_lo
	v_add_co_u32 v15, vcc_lo, 0xfffff800, v15
	v_add_co_ci_u32_e64 v16, null, -1, v16, vcc_lo
	s_waitcnt lgkmcnt(0)
	global_store_dword v[15:16], v17, off offset:-4
                                        ; implicit-def: $vgpr15
.LBB768_282:
	s_andn2_saveexec_b32 s3, s3
	s_cbranch_execz .LBB768_284
; %bb.283:
	v_lshlrev_b32_e32 v16, 2, v0
	v_lshlrev_b32_e32 v15, 2, v15
	v_readfirstlane_b32 s6, v9
	v_readfirstlane_b32 s7, v10
	ds_read_b32 v16, v16 offset:2048
	s_waitcnt lgkmcnt(0)
	global_store_dword v15, v16, s[6:7]
.LBB768_284:
	s_or_b32 exec_lo, exec_lo, s3
                                        ; implicit-def: $vgpr15
.LBB768_285:
	s_andn2_saveexec_b32 s2, s2
	s_cbranch_execz .LBB768_287
; %bb.286:
	v_lshlrev_b32_e32 v16, 2, v0
	v_lshlrev_b32_e32 v15, 2, v15
	v_readfirstlane_b32 s2, v11
	v_readfirstlane_b32 s3, v12
	ds_read_b32 v16, v16 offset:2048
	s_waitcnt lgkmcnt(0)
	global_store_dword v15, v16, s[2:3]
.LBB768_287:
	s_or_b32 exec_lo, exec_lo, s1
	v_or_b32_e32 v15, 0x300, v0
	s_mov_b32 s1, exec_lo
	v_cmpx_gt_u32_e64 s5, v15
	s_cbranch_execz .LBB768_296
; %bb.288:
	s_mov_b32 s2, exec_lo
	v_cmpx_ge_u32_e64 v15, v5
	s_xor_b32 s2, exec_lo, s2
	s_cbranch_execz .LBB768_294
; %bb.289:
	s_mov_b32 s3, exec_lo
	v_cmpx_ge_u32_e64 v15, v14
	s_xor_b32 s3, exec_lo, s3
	s_cbranch_execz .LBB768_291
; %bb.290:
	v_lshlrev_b32_e32 v16, 2, v0
	v_add_co_u32 v15, vcc_lo, v7, v15
	ds_read_b32 v17, v16 offset:3072
	v_add_co_ci_u32_e64 v16, null, 0, v13, vcc_lo
	v_lshlrev_b64 v[15:16], 2, v[15:16]
	v_sub_co_u32 v15, vcc_lo, s14, v15
	v_sub_co_ci_u32_e64 v16, null, s15, v16, vcc_lo
	s_waitcnt lgkmcnt(0)
	global_store_dword v[15:16], v17, off offset:-4
                                        ; implicit-def: $vgpr15
.LBB768_291:
	s_andn2_saveexec_b32 s3, s3
	s_cbranch_execz .LBB768_293
; %bb.292:
	v_lshlrev_b32_e32 v16, 2, v0
	v_lshlrev_b32_e32 v15, 2, v15
	v_readfirstlane_b32 s6, v9
	v_readfirstlane_b32 s7, v10
	ds_read_b32 v16, v16 offset:3072
	s_waitcnt lgkmcnt(0)
	global_store_dword v15, v16, s[6:7]
.LBB768_293:
	s_or_b32 exec_lo, exec_lo, s3
                                        ; implicit-def: $vgpr15
.LBB768_294:
	s_andn2_saveexec_b32 s2, s2
	s_cbranch_execz .LBB768_296
; %bb.295:
	v_lshlrev_b32_e32 v16, 2, v0
	v_lshlrev_b32_e32 v15, 2, v15
	v_readfirstlane_b32 s2, v11
	v_readfirstlane_b32 s3, v12
	ds_read_b32 v16, v16 offset:3072
	s_waitcnt lgkmcnt(0)
	global_store_dword v15, v16, s[2:3]
.LBB768_296:
	s_or_b32 exec_lo, exec_lo, s1
	v_or_b32_e32 v15, 0x400, v0
	s_mov_b32 s1, exec_lo
	v_cmpx_gt_u32_e64 s5, v15
	s_cbranch_execz .LBB768_305
; %bb.297:
	s_mov_b32 s2, exec_lo
	v_cmpx_ge_u32_e64 v15, v5
	s_xor_b32 s2, exec_lo, s2
	s_cbranch_execz .LBB768_303
; %bb.298:
	s_mov_b32 s3, exec_lo
	v_cmpx_ge_u32_e64 v15, v14
	s_xor_b32 s3, exec_lo, s3
	s_cbranch_execz .LBB768_300
; %bb.299:
	v_lshlrev_b32_e32 v16, 2, v0
	v_add_co_u32 v15, vcc_lo, v7, v15
	ds_read_b32 v17, v16 offset:4096
	v_add_co_ci_u32_e64 v16, null, 0, v13, vcc_lo
	v_lshlrev_b64 v[15:16], 2, v[15:16]
	v_sub_co_u32 v15, vcc_lo, s14, v15
	v_sub_co_ci_u32_e64 v16, null, s15, v16, vcc_lo
	s_waitcnt lgkmcnt(0)
	global_store_dword v[15:16], v17, off offset:-4
                                        ; implicit-def: $vgpr15
.LBB768_300:
	s_andn2_saveexec_b32 s3, s3
	s_cbranch_execz .LBB768_302
; %bb.301:
	v_lshlrev_b32_e32 v16, 2, v0
	v_lshlrev_b32_e32 v15, 2, v15
	v_readfirstlane_b32 s6, v9
	v_readfirstlane_b32 s7, v10
	ds_read_b32 v16, v16 offset:4096
	s_waitcnt lgkmcnt(0)
	global_store_dword v15, v16, s[6:7]
.LBB768_302:
	s_or_b32 exec_lo, exec_lo, s3
                                        ; implicit-def: $vgpr15
.LBB768_303:
	s_andn2_saveexec_b32 s2, s2
	s_cbranch_execz .LBB768_305
; %bb.304:
	v_lshlrev_b32_e32 v16, 2, v0
	v_lshlrev_b32_e32 v15, 2, v15
	v_readfirstlane_b32 s2, v11
	v_readfirstlane_b32 s3, v12
	ds_read_b32 v16, v16 offset:4096
	s_waitcnt lgkmcnt(0)
	global_store_dword v15, v16, s[2:3]
.LBB768_305:
	;; [unrolled: 52-line block ×9, first 2 shown]
	s_or_b32 exec_lo, exec_lo, s1
	v_or_b32_e32 v15, 0xc00, v0
	s_mov_b32 s1, exec_lo
	v_cmpx_gt_u32_e64 s5, v15
	s_cbranch_execz .LBB768_377
; %bb.369:
	s_mov_b32 s2, exec_lo
	v_cmpx_ge_u32_e64 v15, v5
	s_xor_b32 s2, exec_lo, s2
	s_cbranch_execz .LBB768_375
; %bb.370:
	s_mov_b32 s3, exec_lo
	v_cmpx_ge_u32_e64 v15, v14
	s_xor_b32 s3, exec_lo, s3
	s_cbranch_execz .LBB768_372
; %bb.371:
	v_lshlrev_b32_e32 v0, 2, v0
	v_add_co_u32 v9, vcc_lo, v7, v15
	v_add_co_ci_u32_e64 v10, null, 0, v13, vcc_lo
	ds_read_b32 v0, v0 offset:12288
                                        ; implicit-def: $vgpr15
	v_lshlrev_b64 v[9:10], 2, v[9:10]
	v_sub_co_u32 v9, vcc_lo, s14, v9
	v_sub_co_ci_u32_e64 v10, null, s15, v10, vcc_lo
	s_waitcnt lgkmcnt(0)
	global_store_dword v[9:10], v0, off offset:-4
                                        ; implicit-def: $vgpr0
                                        ; implicit-def: $vgpr9_vgpr10
.LBB768_372:
	s_andn2_saveexec_b32 s3, s3
	s_cbranch_execz .LBB768_374
; %bb.373:
	v_lshlrev_b32_e32 v0, 2, v0
	v_lshlrev_b32_e32 v7, 2, v15
	v_readfirstlane_b32 s4, v9
	v_readfirstlane_b32 s5, v10
	ds_read_b32 v0, v0 offset:12288
	s_waitcnt lgkmcnt(0)
	global_store_dword v7, v0, s[4:5]
.LBB768_374:
	s_or_b32 exec_lo, exec_lo, s3
                                        ; implicit-def: $vgpr0
                                        ; implicit-def: $vgpr15
                                        ; implicit-def: $vgpr11_vgpr12
.LBB768_375:
	s_andn2_saveexec_b32 s2, s2
	s_cbranch_execz .LBB768_377
; %bb.376:
	v_lshlrev_b32_e32 v0, 2, v0
	v_lshlrev_b32_e32 v7, 2, v15
	v_readfirstlane_b32 s2, v11
	v_readfirstlane_b32 s3, v12
	ds_read_b32 v0, v0 offset:12288
	s_waitcnt lgkmcnt(0)
	global_store_dword v7, v0, s[2:3]
.LBB768_377:
	s_or_b32 exec_lo, exec_lo, s1
	s_and_b32 s0, s0, s26
	s_and_saveexec_b32 s1, s0
	s_cbranch_execz .LBB768_154
.LBB768_378:
	v_add_co_u32 v0, vcc_lo, v3, v6
	v_add_co_ci_u32_e64 v4, null, 0, v4, vcc_lo
	v_mov_b32_e32 v6, 0
	v_add_co_u32 v3, vcc_lo, v0, v8
	v_add_co_ci_u32_e64 v4, null, 0, v4, vcc_lo
	v_add_co_u32 v1, vcc_lo, v1, v5
	v_add_co_ci_u32_e64 v2, null, 0, v2, vcc_lo
	global_store_dwordx4 v6, v[1:4], s[24:25]
	s_endpgm
.LBB768_379:
	s_add_i32 s8, s27, 32
	s_mov_b32 s9, 0
	v_add_nc_u32_e32 v10, v8, v6
	s_lshl_b64 s[8:9], s[8:9], 4
	v_add_nc_u32_e32 v9, v7, v5
	s_add_u32 s8, s36, s8
	s_addc_u32 s9, s37, s9
	v_mov_b32_e32 v11, 2
	v_mov_b32_e32 v28, s9
	;; [unrolled: 1-line block ×4, first 2 shown]
	;;#ASMSTART
	global_store_dwordx4 v[27:28], v[9:12] off	
s_waitcnt vmcnt(0)
	;;#ASMEND
	s_or_b32 exec_lo, exec_lo, s6
	s_and_saveexec_b32 s6, s3
	s_cbranch_execz .LBB768_139
.LBB768_380:
	v_mov_b32_e32 v9, 0
	ds_write_b128 v9, v[5:8] offset:13312
	s_or_b32 exec_lo, exec_lo, s6
	s_and_b32 exec_lo, exec_lo, s0
	s_cbranch_execnz .LBB768_140
	s_branch .LBB768_141
	.section	.rodata,"a",@progbits
	.p2align	6, 0x0
	.amdhsa_kernel _ZN7rocprim17ROCPRIM_400000_NS6detail17trampoline_kernelINS0_13select_configILj256ELj13ELNS0_17block_load_methodE3ELS4_3ELS4_3ELNS0_20block_scan_algorithmE0ELj4294967295EEENS1_25partition_config_selectorILNS1_17partition_subalgoE4EjNS0_10empty_typeEbEEZZNS1_14partition_implILS8_4ELb0ES6_15HIP_vector_typeIjLj2EENS0_17counting_iteratorIjlEEPS9_SG_NS0_5tupleIJPjSI_NS0_16reverse_iteratorISI_EEEEENSH_IJSG_SG_SG_EEES9_SI_JZNS1_25segmented_radix_sort_implINS0_14default_configELb0EPKlPlSQ_SR_N2at6native12_GLOBAL__N_18offset_tEEE10hipError_tPvRmT1_PNSt15iterator_traitsISZ_E10value_typeET2_T3_PNS10_IS15_E10value_typeET4_jRbjT5_S1B_jjP12ihipStream_tbEUljE_ZNSN_ISO_Lb0ESQ_SR_SQ_SR_SV_EESW_SX_SY_SZ_S13_S14_S15_S18_S19_jS1A_jS1B_S1B_jjS1D_bEUljE0_EEESW_SX_SY_S15_S19_S1B_T6_T7_T9_mT8_S1D_bDpT10_ENKUlT_T0_E_clISt17integral_constantIbLb0EES1Q_IbLb1EEEEDaS1M_S1N_EUlS1M_E_NS1_11comp_targetILNS1_3genE8ELNS1_11target_archE1030ELNS1_3gpuE2ELNS1_3repE0EEENS1_30default_config_static_selectorELNS0_4arch9wavefront6targetE0EEEvSZ_
		.amdhsa_group_segment_fixed_size 13328
		.amdhsa_private_segment_fixed_size 0
		.amdhsa_kernarg_size 184
		.amdhsa_user_sgpr_count 6
		.amdhsa_user_sgpr_private_segment_buffer 1
		.amdhsa_user_sgpr_dispatch_ptr 0
		.amdhsa_user_sgpr_queue_ptr 0
		.amdhsa_user_sgpr_kernarg_segment_ptr 1
		.amdhsa_user_sgpr_dispatch_id 0
		.amdhsa_user_sgpr_flat_scratch_init 0
		.amdhsa_user_sgpr_private_segment_size 0
		.amdhsa_wavefront_size32 1
		.amdhsa_uses_dynamic_stack 0
		.amdhsa_system_sgpr_private_segment_wavefront_offset 0
		.amdhsa_system_sgpr_workgroup_id_x 1
		.amdhsa_system_sgpr_workgroup_id_y 0
		.amdhsa_system_sgpr_workgroup_id_z 0
		.amdhsa_system_sgpr_workgroup_info 0
		.amdhsa_system_vgpr_workitem_id 0
		.amdhsa_next_free_vgpr 87
		.amdhsa_next_free_sgpr 55
		.amdhsa_reserve_vcc 1
		.amdhsa_reserve_flat_scratch 0
		.amdhsa_float_round_mode_32 0
		.amdhsa_float_round_mode_16_64 0
		.amdhsa_float_denorm_mode_32 3
		.amdhsa_float_denorm_mode_16_64 3
		.amdhsa_dx10_clamp 1
		.amdhsa_ieee_mode 1
		.amdhsa_fp16_overflow 0
		.amdhsa_workgroup_processor_mode 1
		.amdhsa_memory_ordered 1
		.amdhsa_forward_progress 1
		.amdhsa_shared_vgpr_count 0
		.amdhsa_exception_fp_ieee_invalid_op 0
		.amdhsa_exception_fp_denorm_src 0
		.amdhsa_exception_fp_ieee_div_zero 0
		.amdhsa_exception_fp_ieee_overflow 0
		.amdhsa_exception_fp_ieee_underflow 0
		.amdhsa_exception_fp_ieee_inexact 0
		.amdhsa_exception_int_div_zero 0
	.end_amdhsa_kernel
	.section	.text._ZN7rocprim17ROCPRIM_400000_NS6detail17trampoline_kernelINS0_13select_configILj256ELj13ELNS0_17block_load_methodE3ELS4_3ELS4_3ELNS0_20block_scan_algorithmE0ELj4294967295EEENS1_25partition_config_selectorILNS1_17partition_subalgoE4EjNS0_10empty_typeEbEEZZNS1_14partition_implILS8_4ELb0ES6_15HIP_vector_typeIjLj2EENS0_17counting_iteratorIjlEEPS9_SG_NS0_5tupleIJPjSI_NS0_16reverse_iteratorISI_EEEEENSH_IJSG_SG_SG_EEES9_SI_JZNS1_25segmented_radix_sort_implINS0_14default_configELb0EPKlPlSQ_SR_N2at6native12_GLOBAL__N_18offset_tEEE10hipError_tPvRmT1_PNSt15iterator_traitsISZ_E10value_typeET2_T3_PNS10_IS15_E10value_typeET4_jRbjT5_S1B_jjP12ihipStream_tbEUljE_ZNSN_ISO_Lb0ESQ_SR_SQ_SR_SV_EESW_SX_SY_SZ_S13_S14_S15_S18_S19_jS1A_jS1B_S1B_jjS1D_bEUljE0_EEESW_SX_SY_S15_S19_S1B_T6_T7_T9_mT8_S1D_bDpT10_ENKUlT_T0_E_clISt17integral_constantIbLb0EES1Q_IbLb1EEEEDaS1M_S1N_EUlS1M_E_NS1_11comp_targetILNS1_3genE8ELNS1_11target_archE1030ELNS1_3gpuE2ELNS1_3repE0EEENS1_30default_config_static_selectorELNS0_4arch9wavefront6targetE0EEEvSZ_,"axG",@progbits,_ZN7rocprim17ROCPRIM_400000_NS6detail17trampoline_kernelINS0_13select_configILj256ELj13ELNS0_17block_load_methodE3ELS4_3ELS4_3ELNS0_20block_scan_algorithmE0ELj4294967295EEENS1_25partition_config_selectorILNS1_17partition_subalgoE4EjNS0_10empty_typeEbEEZZNS1_14partition_implILS8_4ELb0ES6_15HIP_vector_typeIjLj2EENS0_17counting_iteratorIjlEEPS9_SG_NS0_5tupleIJPjSI_NS0_16reverse_iteratorISI_EEEEENSH_IJSG_SG_SG_EEES9_SI_JZNS1_25segmented_radix_sort_implINS0_14default_configELb0EPKlPlSQ_SR_N2at6native12_GLOBAL__N_18offset_tEEE10hipError_tPvRmT1_PNSt15iterator_traitsISZ_E10value_typeET2_T3_PNS10_IS15_E10value_typeET4_jRbjT5_S1B_jjP12ihipStream_tbEUljE_ZNSN_ISO_Lb0ESQ_SR_SQ_SR_SV_EESW_SX_SY_SZ_S13_S14_S15_S18_S19_jS1A_jS1B_S1B_jjS1D_bEUljE0_EEESW_SX_SY_S15_S19_S1B_T6_T7_T9_mT8_S1D_bDpT10_ENKUlT_T0_E_clISt17integral_constantIbLb0EES1Q_IbLb1EEEEDaS1M_S1N_EUlS1M_E_NS1_11comp_targetILNS1_3genE8ELNS1_11target_archE1030ELNS1_3gpuE2ELNS1_3repE0EEENS1_30default_config_static_selectorELNS0_4arch9wavefront6targetE0EEEvSZ_,comdat
.Lfunc_end768:
	.size	_ZN7rocprim17ROCPRIM_400000_NS6detail17trampoline_kernelINS0_13select_configILj256ELj13ELNS0_17block_load_methodE3ELS4_3ELS4_3ELNS0_20block_scan_algorithmE0ELj4294967295EEENS1_25partition_config_selectorILNS1_17partition_subalgoE4EjNS0_10empty_typeEbEEZZNS1_14partition_implILS8_4ELb0ES6_15HIP_vector_typeIjLj2EENS0_17counting_iteratorIjlEEPS9_SG_NS0_5tupleIJPjSI_NS0_16reverse_iteratorISI_EEEEENSH_IJSG_SG_SG_EEES9_SI_JZNS1_25segmented_radix_sort_implINS0_14default_configELb0EPKlPlSQ_SR_N2at6native12_GLOBAL__N_18offset_tEEE10hipError_tPvRmT1_PNSt15iterator_traitsISZ_E10value_typeET2_T3_PNS10_IS15_E10value_typeET4_jRbjT5_S1B_jjP12ihipStream_tbEUljE_ZNSN_ISO_Lb0ESQ_SR_SQ_SR_SV_EESW_SX_SY_SZ_S13_S14_S15_S18_S19_jS1A_jS1B_S1B_jjS1D_bEUljE0_EEESW_SX_SY_S15_S19_S1B_T6_T7_T9_mT8_S1D_bDpT10_ENKUlT_T0_E_clISt17integral_constantIbLb0EES1Q_IbLb1EEEEDaS1M_S1N_EUlS1M_E_NS1_11comp_targetILNS1_3genE8ELNS1_11target_archE1030ELNS1_3gpuE2ELNS1_3repE0EEENS1_30default_config_static_selectorELNS0_4arch9wavefront6targetE0EEEvSZ_, .Lfunc_end768-_ZN7rocprim17ROCPRIM_400000_NS6detail17trampoline_kernelINS0_13select_configILj256ELj13ELNS0_17block_load_methodE3ELS4_3ELS4_3ELNS0_20block_scan_algorithmE0ELj4294967295EEENS1_25partition_config_selectorILNS1_17partition_subalgoE4EjNS0_10empty_typeEbEEZZNS1_14partition_implILS8_4ELb0ES6_15HIP_vector_typeIjLj2EENS0_17counting_iteratorIjlEEPS9_SG_NS0_5tupleIJPjSI_NS0_16reverse_iteratorISI_EEEEENSH_IJSG_SG_SG_EEES9_SI_JZNS1_25segmented_radix_sort_implINS0_14default_configELb0EPKlPlSQ_SR_N2at6native12_GLOBAL__N_18offset_tEEE10hipError_tPvRmT1_PNSt15iterator_traitsISZ_E10value_typeET2_T3_PNS10_IS15_E10value_typeET4_jRbjT5_S1B_jjP12ihipStream_tbEUljE_ZNSN_ISO_Lb0ESQ_SR_SQ_SR_SV_EESW_SX_SY_SZ_S13_S14_S15_S18_S19_jS1A_jS1B_S1B_jjS1D_bEUljE0_EEESW_SX_SY_S15_S19_S1B_T6_T7_T9_mT8_S1D_bDpT10_ENKUlT_T0_E_clISt17integral_constantIbLb0EES1Q_IbLb1EEEEDaS1M_S1N_EUlS1M_E_NS1_11comp_targetILNS1_3genE8ELNS1_11target_archE1030ELNS1_3gpuE2ELNS1_3repE0EEENS1_30default_config_static_selectorELNS0_4arch9wavefront6targetE0EEEvSZ_
                                        ; -- End function
	.set _ZN7rocprim17ROCPRIM_400000_NS6detail17trampoline_kernelINS0_13select_configILj256ELj13ELNS0_17block_load_methodE3ELS4_3ELS4_3ELNS0_20block_scan_algorithmE0ELj4294967295EEENS1_25partition_config_selectorILNS1_17partition_subalgoE4EjNS0_10empty_typeEbEEZZNS1_14partition_implILS8_4ELb0ES6_15HIP_vector_typeIjLj2EENS0_17counting_iteratorIjlEEPS9_SG_NS0_5tupleIJPjSI_NS0_16reverse_iteratorISI_EEEEENSH_IJSG_SG_SG_EEES9_SI_JZNS1_25segmented_radix_sort_implINS0_14default_configELb0EPKlPlSQ_SR_N2at6native12_GLOBAL__N_18offset_tEEE10hipError_tPvRmT1_PNSt15iterator_traitsISZ_E10value_typeET2_T3_PNS10_IS15_E10value_typeET4_jRbjT5_S1B_jjP12ihipStream_tbEUljE_ZNSN_ISO_Lb0ESQ_SR_SQ_SR_SV_EESW_SX_SY_SZ_S13_S14_S15_S18_S19_jS1A_jS1B_S1B_jjS1D_bEUljE0_EEESW_SX_SY_S15_S19_S1B_T6_T7_T9_mT8_S1D_bDpT10_ENKUlT_T0_E_clISt17integral_constantIbLb0EES1Q_IbLb1EEEEDaS1M_S1N_EUlS1M_E_NS1_11comp_targetILNS1_3genE8ELNS1_11target_archE1030ELNS1_3gpuE2ELNS1_3repE0EEENS1_30default_config_static_selectorELNS0_4arch9wavefront6targetE0EEEvSZ_.num_vgpr, 87
	.set _ZN7rocprim17ROCPRIM_400000_NS6detail17trampoline_kernelINS0_13select_configILj256ELj13ELNS0_17block_load_methodE3ELS4_3ELS4_3ELNS0_20block_scan_algorithmE0ELj4294967295EEENS1_25partition_config_selectorILNS1_17partition_subalgoE4EjNS0_10empty_typeEbEEZZNS1_14partition_implILS8_4ELb0ES6_15HIP_vector_typeIjLj2EENS0_17counting_iteratorIjlEEPS9_SG_NS0_5tupleIJPjSI_NS0_16reverse_iteratorISI_EEEEENSH_IJSG_SG_SG_EEES9_SI_JZNS1_25segmented_radix_sort_implINS0_14default_configELb0EPKlPlSQ_SR_N2at6native12_GLOBAL__N_18offset_tEEE10hipError_tPvRmT1_PNSt15iterator_traitsISZ_E10value_typeET2_T3_PNS10_IS15_E10value_typeET4_jRbjT5_S1B_jjP12ihipStream_tbEUljE_ZNSN_ISO_Lb0ESQ_SR_SQ_SR_SV_EESW_SX_SY_SZ_S13_S14_S15_S18_S19_jS1A_jS1B_S1B_jjS1D_bEUljE0_EEESW_SX_SY_S15_S19_S1B_T6_T7_T9_mT8_S1D_bDpT10_ENKUlT_T0_E_clISt17integral_constantIbLb0EES1Q_IbLb1EEEEDaS1M_S1N_EUlS1M_E_NS1_11comp_targetILNS1_3genE8ELNS1_11target_archE1030ELNS1_3gpuE2ELNS1_3repE0EEENS1_30default_config_static_selectorELNS0_4arch9wavefront6targetE0EEEvSZ_.num_agpr, 0
	.set _ZN7rocprim17ROCPRIM_400000_NS6detail17trampoline_kernelINS0_13select_configILj256ELj13ELNS0_17block_load_methodE3ELS4_3ELS4_3ELNS0_20block_scan_algorithmE0ELj4294967295EEENS1_25partition_config_selectorILNS1_17partition_subalgoE4EjNS0_10empty_typeEbEEZZNS1_14partition_implILS8_4ELb0ES6_15HIP_vector_typeIjLj2EENS0_17counting_iteratorIjlEEPS9_SG_NS0_5tupleIJPjSI_NS0_16reverse_iteratorISI_EEEEENSH_IJSG_SG_SG_EEES9_SI_JZNS1_25segmented_radix_sort_implINS0_14default_configELb0EPKlPlSQ_SR_N2at6native12_GLOBAL__N_18offset_tEEE10hipError_tPvRmT1_PNSt15iterator_traitsISZ_E10value_typeET2_T3_PNS10_IS15_E10value_typeET4_jRbjT5_S1B_jjP12ihipStream_tbEUljE_ZNSN_ISO_Lb0ESQ_SR_SQ_SR_SV_EESW_SX_SY_SZ_S13_S14_S15_S18_S19_jS1A_jS1B_S1B_jjS1D_bEUljE0_EEESW_SX_SY_S15_S19_S1B_T6_T7_T9_mT8_S1D_bDpT10_ENKUlT_T0_E_clISt17integral_constantIbLb0EES1Q_IbLb1EEEEDaS1M_S1N_EUlS1M_E_NS1_11comp_targetILNS1_3genE8ELNS1_11target_archE1030ELNS1_3gpuE2ELNS1_3repE0EEENS1_30default_config_static_selectorELNS0_4arch9wavefront6targetE0EEEvSZ_.numbered_sgpr, 55
	.set _ZN7rocprim17ROCPRIM_400000_NS6detail17trampoline_kernelINS0_13select_configILj256ELj13ELNS0_17block_load_methodE3ELS4_3ELS4_3ELNS0_20block_scan_algorithmE0ELj4294967295EEENS1_25partition_config_selectorILNS1_17partition_subalgoE4EjNS0_10empty_typeEbEEZZNS1_14partition_implILS8_4ELb0ES6_15HIP_vector_typeIjLj2EENS0_17counting_iteratorIjlEEPS9_SG_NS0_5tupleIJPjSI_NS0_16reverse_iteratorISI_EEEEENSH_IJSG_SG_SG_EEES9_SI_JZNS1_25segmented_radix_sort_implINS0_14default_configELb0EPKlPlSQ_SR_N2at6native12_GLOBAL__N_18offset_tEEE10hipError_tPvRmT1_PNSt15iterator_traitsISZ_E10value_typeET2_T3_PNS10_IS15_E10value_typeET4_jRbjT5_S1B_jjP12ihipStream_tbEUljE_ZNSN_ISO_Lb0ESQ_SR_SQ_SR_SV_EESW_SX_SY_SZ_S13_S14_S15_S18_S19_jS1A_jS1B_S1B_jjS1D_bEUljE0_EEESW_SX_SY_S15_S19_S1B_T6_T7_T9_mT8_S1D_bDpT10_ENKUlT_T0_E_clISt17integral_constantIbLb0EES1Q_IbLb1EEEEDaS1M_S1N_EUlS1M_E_NS1_11comp_targetILNS1_3genE8ELNS1_11target_archE1030ELNS1_3gpuE2ELNS1_3repE0EEENS1_30default_config_static_selectorELNS0_4arch9wavefront6targetE0EEEvSZ_.num_named_barrier, 0
	.set _ZN7rocprim17ROCPRIM_400000_NS6detail17trampoline_kernelINS0_13select_configILj256ELj13ELNS0_17block_load_methodE3ELS4_3ELS4_3ELNS0_20block_scan_algorithmE0ELj4294967295EEENS1_25partition_config_selectorILNS1_17partition_subalgoE4EjNS0_10empty_typeEbEEZZNS1_14partition_implILS8_4ELb0ES6_15HIP_vector_typeIjLj2EENS0_17counting_iteratorIjlEEPS9_SG_NS0_5tupleIJPjSI_NS0_16reverse_iteratorISI_EEEEENSH_IJSG_SG_SG_EEES9_SI_JZNS1_25segmented_radix_sort_implINS0_14default_configELb0EPKlPlSQ_SR_N2at6native12_GLOBAL__N_18offset_tEEE10hipError_tPvRmT1_PNSt15iterator_traitsISZ_E10value_typeET2_T3_PNS10_IS15_E10value_typeET4_jRbjT5_S1B_jjP12ihipStream_tbEUljE_ZNSN_ISO_Lb0ESQ_SR_SQ_SR_SV_EESW_SX_SY_SZ_S13_S14_S15_S18_S19_jS1A_jS1B_S1B_jjS1D_bEUljE0_EEESW_SX_SY_S15_S19_S1B_T6_T7_T9_mT8_S1D_bDpT10_ENKUlT_T0_E_clISt17integral_constantIbLb0EES1Q_IbLb1EEEEDaS1M_S1N_EUlS1M_E_NS1_11comp_targetILNS1_3genE8ELNS1_11target_archE1030ELNS1_3gpuE2ELNS1_3repE0EEENS1_30default_config_static_selectorELNS0_4arch9wavefront6targetE0EEEvSZ_.private_seg_size, 0
	.set _ZN7rocprim17ROCPRIM_400000_NS6detail17trampoline_kernelINS0_13select_configILj256ELj13ELNS0_17block_load_methodE3ELS4_3ELS4_3ELNS0_20block_scan_algorithmE0ELj4294967295EEENS1_25partition_config_selectorILNS1_17partition_subalgoE4EjNS0_10empty_typeEbEEZZNS1_14partition_implILS8_4ELb0ES6_15HIP_vector_typeIjLj2EENS0_17counting_iteratorIjlEEPS9_SG_NS0_5tupleIJPjSI_NS0_16reverse_iteratorISI_EEEEENSH_IJSG_SG_SG_EEES9_SI_JZNS1_25segmented_radix_sort_implINS0_14default_configELb0EPKlPlSQ_SR_N2at6native12_GLOBAL__N_18offset_tEEE10hipError_tPvRmT1_PNSt15iterator_traitsISZ_E10value_typeET2_T3_PNS10_IS15_E10value_typeET4_jRbjT5_S1B_jjP12ihipStream_tbEUljE_ZNSN_ISO_Lb0ESQ_SR_SQ_SR_SV_EESW_SX_SY_SZ_S13_S14_S15_S18_S19_jS1A_jS1B_S1B_jjS1D_bEUljE0_EEESW_SX_SY_S15_S19_S1B_T6_T7_T9_mT8_S1D_bDpT10_ENKUlT_T0_E_clISt17integral_constantIbLb0EES1Q_IbLb1EEEEDaS1M_S1N_EUlS1M_E_NS1_11comp_targetILNS1_3genE8ELNS1_11target_archE1030ELNS1_3gpuE2ELNS1_3repE0EEENS1_30default_config_static_selectorELNS0_4arch9wavefront6targetE0EEEvSZ_.uses_vcc, 1
	.set _ZN7rocprim17ROCPRIM_400000_NS6detail17trampoline_kernelINS0_13select_configILj256ELj13ELNS0_17block_load_methodE3ELS4_3ELS4_3ELNS0_20block_scan_algorithmE0ELj4294967295EEENS1_25partition_config_selectorILNS1_17partition_subalgoE4EjNS0_10empty_typeEbEEZZNS1_14partition_implILS8_4ELb0ES6_15HIP_vector_typeIjLj2EENS0_17counting_iteratorIjlEEPS9_SG_NS0_5tupleIJPjSI_NS0_16reverse_iteratorISI_EEEEENSH_IJSG_SG_SG_EEES9_SI_JZNS1_25segmented_radix_sort_implINS0_14default_configELb0EPKlPlSQ_SR_N2at6native12_GLOBAL__N_18offset_tEEE10hipError_tPvRmT1_PNSt15iterator_traitsISZ_E10value_typeET2_T3_PNS10_IS15_E10value_typeET4_jRbjT5_S1B_jjP12ihipStream_tbEUljE_ZNSN_ISO_Lb0ESQ_SR_SQ_SR_SV_EESW_SX_SY_SZ_S13_S14_S15_S18_S19_jS1A_jS1B_S1B_jjS1D_bEUljE0_EEESW_SX_SY_S15_S19_S1B_T6_T7_T9_mT8_S1D_bDpT10_ENKUlT_T0_E_clISt17integral_constantIbLb0EES1Q_IbLb1EEEEDaS1M_S1N_EUlS1M_E_NS1_11comp_targetILNS1_3genE8ELNS1_11target_archE1030ELNS1_3gpuE2ELNS1_3repE0EEENS1_30default_config_static_selectorELNS0_4arch9wavefront6targetE0EEEvSZ_.uses_flat_scratch, 0
	.set _ZN7rocprim17ROCPRIM_400000_NS6detail17trampoline_kernelINS0_13select_configILj256ELj13ELNS0_17block_load_methodE3ELS4_3ELS4_3ELNS0_20block_scan_algorithmE0ELj4294967295EEENS1_25partition_config_selectorILNS1_17partition_subalgoE4EjNS0_10empty_typeEbEEZZNS1_14partition_implILS8_4ELb0ES6_15HIP_vector_typeIjLj2EENS0_17counting_iteratorIjlEEPS9_SG_NS0_5tupleIJPjSI_NS0_16reverse_iteratorISI_EEEEENSH_IJSG_SG_SG_EEES9_SI_JZNS1_25segmented_radix_sort_implINS0_14default_configELb0EPKlPlSQ_SR_N2at6native12_GLOBAL__N_18offset_tEEE10hipError_tPvRmT1_PNSt15iterator_traitsISZ_E10value_typeET2_T3_PNS10_IS15_E10value_typeET4_jRbjT5_S1B_jjP12ihipStream_tbEUljE_ZNSN_ISO_Lb0ESQ_SR_SQ_SR_SV_EESW_SX_SY_SZ_S13_S14_S15_S18_S19_jS1A_jS1B_S1B_jjS1D_bEUljE0_EEESW_SX_SY_S15_S19_S1B_T6_T7_T9_mT8_S1D_bDpT10_ENKUlT_T0_E_clISt17integral_constantIbLb0EES1Q_IbLb1EEEEDaS1M_S1N_EUlS1M_E_NS1_11comp_targetILNS1_3genE8ELNS1_11target_archE1030ELNS1_3gpuE2ELNS1_3repE0EEENS1_30default_config_static_selectorELNS0_4arch9wavefront6targetE0EEEvSZ_.has_dyn_sized_stack, 0
	.set _ZN7rocprim17ROCPRIM_400000_NS6detail17trampoline_kernelINS0_13select_configILj256ELj13ELNS0_17block_load_methodE3ELS4_3ELS4_3ELNS0_20block_scan_algorithmE0ELj4294967295EEENS1_25partition_config_selectorILNS1_17partition_subalgoE4EjNS0_10empty_typeEbEEZZNS1_14partition_implILS8_4ELb0ES6_15HIP_vector_typeIjLj2EENS0_17counting_iteratorIjlEEPS9_SG_NS0_5tupleIJPjSI_NS0_16reverse_iteratorISI_EEEEENSH_IJSG_SG_SG_EEES9_SI_JZNS1_25segmented_radix_sort_implINS0_14default_configELb0EPKlPlSQ_SR_N2at6native12_GLOBAL__N_18offset_tEEE10hipError_tPvRmT1_PNSt15iterator_traitsISZ_E10value_typeET2_T3_PNS10_IS15_E10value_typeET4_jRbjT5_S1B_jjP12ihipStream_tbEUljE_ZNSN_ISO_Lb0ESQ_SR_SQ_SR_SV_EESW_SX_SY_SZ_S13_S14_S15_S18_S19_jS1A_jS1B_S1B_jjS1D_bEUljE0_EEESW_SX_SY_S15_S19_S1B_T6_T7_T9_mT8_S1D_bDpT10_ENKUlT_T0_E_clISt17integral_constantIbLb0EES1Q_IbLb1EEEEDaS1M_S1N_EUlS1M_E_NS1_11comp_targetILNS1_3genE8ELNS1_11target_archE1030ELNS1_3gpuE2ELNS1_3repE0EEENS1_30default_config_static_selectorELNS0_4arch9wavefront6targetE0EEEvSZ_.has_recursion, 0
	.set _ZN7rocprim17ROCPRIM_400000_NS6detail17trampoline_kernelINS0_13select_configILj256ELj13ELNS0_17block_load_methodE3ELS4_3ELS4_3ELNS0_20block_scan_algorithmE0ELj4294967295EEENS1_25partition_config_selectorILNS1_17partition_subalgoE4EjNS0_10empty_typeEbEEZZNS1_14partition_implILS8_4ELb0ES6_15HIP_vector_typeIjLj2EENS0_17counting_iteratorIjlEEPS9_SG_NS0_5tupleIJPjSI_NS0_16reverse_iteratorISI_EEEEENSH_IJSG_SG_SG_EEES9_SI_JZNS1_25segmented_radix_sort_implINS0_14default_configELb0EPKlPlSQ_SR_N2at6native12_GLOBAL__N_18offset_tEEE10hipError_tPvRmT1_PNSt15iterator_traitsISZ_E10value_typeET2_T3_PNS10_IS15_E10value_typeET4_jRbjT5_S1B_jjP12ihipStream_tbEUljE_ZNSN_ISO_Lb0ESQ_SR_SQ_SR_SV_EESW_SX_SY_SZ_S13_S14_S15_S18_S19_jS1A_jS1B_S1B_jjS1D_bEUljE0_EEESW_SX_SY_S15_S19_S1B_T6_T7_T9_mT8_S1D_bDpT10_ENKUlT_T0_E_clISt17integral_constantIbLb0EES1Q_IbLb1EEEEDaS1M_S1N_EUlS1M_E_NS1_11comp_targetILNS1_3genE8ELNS1_11target_archE1030ELNS1_3gpuE2ELNS1_3repE0EEENS1_30default_config_static_selectorELNS0_4arch9wavefront6targetE0EEEvSZ_.has_indirect_call, 0
	.section	.AMDGPU.csdata,"",@progbits
; Kernel info:
; codeLenInByte = 16368
; TotalNumSgprs: 57
; NumVgprs: 87
; ScratchSize: 0
; MemoryBound: 0
; FloatMode: 240
; IeeeMode: 1
; LDSByteSize: 13328 bytes/workgroup (compile time only)
; SGPRBlocks: 0
; VGPRBlocks: 10
; NumSGPRsForWavesPerEU: 57
; NumVGPRsForWavesPerEU: 87
; Occupancy: 10
; WaveLimiterHint : 1
; COMPUTE_PGM_RSRC2:SCRATCH_EN: 0
; COMPUTE_PGM_RSRC2:USER_SGPR: 6
; COMPUTE_PGM_RSRC2:TRAP_HANDLER: 0
; COMPUTE_PGM_RSRC2:TGID_X_EN: 1
; COMPUTE_PGM_RSRC2:TGID_Y_EN: 0
; COMPUTE_PGM_RSRC2:TGID_Z_EN: 0
; COMPUTE_PGM_RSRC2:TIDIG_COMP_CNT: 0
	.section	.text._ZN7rocprim17ROCPRIM_400000_NS6detail17trampoline_kernelINS0_13select_configILj256ELj13ELNS0_17block_load_methodE3ELS4_3ELS4_3ELNS0_20block_scan_algorithmE0ELj4294967295EEENS1_25partition_config_selectorILNS1_17partition_subalgoE3EjNS0_10empty_typeEbEEZZNS1_14partition_implILS8_3ELb0ES6_jNS0_17counting_iteratorIjlEEPS9_SE_NS0_5tupleIJPjSE_EEENSF_IJSE_SE_EEES9_SG_JZNS1_25segmented_radix_sort_implINS0_14default_configELb0EPKlPlSM_SN_N2at6native12_GLOBAL__N_18offset_tEEE10hipError_tPvRmT1_PNSt15iterator_traitsISV_E10value_typeET2_T3_PNSW_IS11_E10value_typeET4_jRbjT5_S17_jjP12ihipStream_tbEUljE_EEESS_ST_SU_S11_S15_S17_T6_T7_T9_mT8_S19_bDpT10_ENKUlT_T0_E_clISt17integral_constantIbLb0EES1M_EEDaS1H_S1I_EUlS1H_E_NS1_11comp_targetILNS1_3genE0ELNS1_11target_archE4294967295ELNS1_3gpuE0ELNS1_3repE0EEENS1_30default_config_static_selectorELNS0_4arch9wavefront6targetE0EEEvSV_,"axG",@progbits,_ZN7rocprim17ROCPRIM_400000_NS6detail17trampoline_kernelINS0_13select_configILj256ELj13ELNS0_17block_load_methodE3ELS4_3ELS4_3ELNS0_20block_scan_algorithmE0ELj4294967295EEENS1_25partition_config_selectorILNS1_17partition_subalgoE3EjNS0_10empty_typeEbEEZZNS1_14partition_implILS8_3ELb0ES6_jNS0_17counting_iteratorIjlEEPS9_SE_NS0_5tupleIJPjSE_EEENSF_IJSE_SE_EEES9_SG_JZNS1_25segmented_radix_sort_implINS0_14default_configELb0EPKlPlSM_SN_N2at6native12_GLOBAL__N_18offset_tEEE10hipError_tPvRmT1_PNSt15iterator_traitsISV_E10value_typeET2_T3_PNSW_IS11_E10value_typeET4_jRbjT5_S17_jjP12ihipStream_tbEUljE_EEESS_ST_SU_S11_S15_S17_T6_T7_T9_mT8_S19_bDpT10_ENKUlT_T0_E_clISt17integral_constantIbLb0EES1M_EEDaS1H_S1I_EUlS1H_E_NS1_11comp_targetILNS1_3genE0ELNS1_11target_archE4294967295ELNS1_3gpuE0ELNS1_3repE0EEENS1_30default_config_static_selectorELNS0_4arch9wavefront6targetE0EEEvSV_,comdat
	.globl	_ZN7rocprim17ROCPRIM_400000_NS6detail17trampoline_kernelINS0_13select_configILj256ELj13ELNS0_17block_load_methodE3ELS4_3ELS4_3ELNS0_20block_scan_algorithmE0ELj4294967295EEENS1_25partition_config_selectorILNS1_17partition_subalgoE3EjNS0_10empty_typeEbEEZZNS1_14partition_implILS8_3ELb0ES6_jNS0_17counting_iteratorIjlEEPS9_SE_NS0_5tupleIJPjSE_EEENSF_IJSE_SE_EEES9_SG_JZNS1_25segmented_radix_sort_implINS0_14default_configELb0EPKlPlSM_SN_N2at6native12_GLOBAL__N_18offset_tEEE10hipError_tPvRmT1_PNSt15iterator_traitsISV_E10value_typeET2_T3_PNSW_IS11_E10value_typeET4_jRbjT5_S17_jjP12ihipStream_tbEUljE_EEESS_ST_SU_S11_S15_S17_T6_T7_T9_mT8_S19_bDpT10_ENKUlT_T0_E_clISt17integral_constantIbLb0EES1M_EEDaS1H_S1I_EUlS1H_E_NS1_11comp_targetILNS1_3genE0ELNS1_11target_archE4294967295ELNS1_3gpuE0ELNS1_3repE0EEENS1_30default_config_static_selectorELNS0_4arch9wavefront6targetE0EEEvSV_ ; -- Begin function _ZN7rocprim17ROCPRIM_400000_NS6detail17trampoline_kernelINS0_13select_configILj256ELj13ELNS0_17block_load_methodE3ELS4_3ELS4_3ELNS0_20block_scan_algorithmE0ELj4294967295EEENS1_25partition_config_selectorILNS1_17partition_subalgoE3EjNS0_10empty_typeEbEEZZNS1_14partition_implILS8_3ELb0ES6_jNS0_17counting_iteratorIjlEEPS9_SE_NS0_5tupleIJPjSE_EEENSF_IJSE_SE_EEES9_SG_JZNS1_25segmented_radix_sort_implINS0_14default_configELb0EPKlPlSM_SN_N2at6native12_GLOBAL__N_18offset_tEEE10hipError_tPvRmT1_PNSt15iterator_traitsISV_E10value_typeET2_T3_PNSW_IS11_E10value_typeET4_jRbjT5_S17_jjP12ihipStream_tbEUljE_EEESS_ST_SU_S11_S15_S17_T6_T7_T9_mT8_S19_bDpT10_ENKUlT_T0_E_clISt17integral_constantIbLb0EES1M_EEDaS1H_S1I_EUlS1H_E_NS1_11comp_targetILNS1_3genE0ELNS1_11target_archE4294967295ELNS1_3gpuE0ELNS1_3repE0EEENS1_30default_config_static_selectorELNS0_4arch9wavefront6targetE0EEEvSV_
	.p2align	8
	.type	_ZN7rocprim17ROCPRIM_400000_NS6detail17trampoline_kernelINS0_13select_configILj256ELj13ELNS0_17block_load_methodE3ELS4_3ELS4_3ELNS0_20block_scan_algorithmE0ELj4294967295EEENS1_25partition_config_selectorILNS1_17partition_subalgoE3EjNS0_10empty_typeEbEEZZNS1_14partition_implILS8_3ELb0ES6_jNS0_17counting_iteratorIjlEEPS9_SE_NS0_5tupleIJPjSE_EEENSF_IJSE_SE_EEES9_SG_JZNS1_25segmented_radix_sort_implINS0_14default_configELb0EPKlPlSM_SN_N2at6native12_GLOBAL__N_18offset_tEEE10hipError_tPvRmT1_PNSt15iterator_traitsISV_E10value_typeET2_T3_PNSW_IS11_E10value_typeET4_jRbjT5_S17_jjP12ihipStream_tbEUljE_EEESS_ST_SU_S11_S15_S17_T6_T7_T9_mT8_S19_bDpT10_ENKUlT_T0_E_clISt17integral_constantIbLb0EES1M_EEDaS1H_S1I_EUlS1H_E_NS1_11comp_targetILNS1_3genE0ELNS1_11target_archE4294967295ELNS1_3gpuE0ELNS1_3repE0EEENS1_30default_config_static_selectorELNS0_4arch9wavefront6targetE0EEEvSV_,@function
_ZN7rocprim17ROCPRIM_400000_NS6detail17trampoline_kernelINS0_13select_configILj256ELj13ELNS0_17block_load_methodE3ELS4_3ELS4_3ELNS0_20block_scan_algorithmE0ELj4294967295EEENS1_25partition_config_selectorILNS1_17partition_subalgoE3EjNS0_10empty_typeEbEEZZNS1_14partition_implILS8_3ELb0ES6_jNS0_17counting_iteratorIjlEEPS9_SE_NS0_5tupleIJPjSE_EEENSF_IJSE_SE_EEES9_SG_JZNS1_25segmented_radix_sort_implINS0_14default_configELb0EPKlPlSM_SN_N2at6native12_GLOBAL__N_18offset_tEEE10hipError_tPvRmT1_PNSt15iterator_traitsISV_E10value_typeET2_T3_PNSW_IS11_E10value_typeET4_jRbjT5_S17_jjP12ihipStream_tbEUljE_EEESS_ST_SU_S11_S15_S17_T6_T7_T9_mT8_S19_bDpT10_ENKUlT_T0_E_clISt17integral_constantIbLb0EES1M_EEDaS1H_S1I_EUlS1H_E_NS1_11comp_targetILNS1_3genE0ELNS1_11target_archE4294967295ELNS1_3gpuE0ELNS1_3repE0EEENS1_30default_config_static_selectorELNS0_4arch9wavefront6targetE0EEEvSV_: ; @_ZN7rocprim17ROCPRIM_400000_NS6detail17trampoline_kernelINS0_13select_configILj256ELj13ELNS0_17block_load_methodE3ELS4_3ELS4_3ELNS0_20block_scan_algorithmE0ELj4294967295EEENS1_25partition_config_selectorILNS1_17partition_subalgoE3EjNS0_10empty_typeEbEEZZNS1_14partition_implILS8_3ELb0ES6_jNS0_17counting_iteratorIjlEEPS9_SE_NS0_5tupleIJPjSE_EEENSF_IJSE_SE_EEES9_SG_JZNS1_25segmented_radix_sort_implINS0_14default_configELb0EPKlPlSM_SN_N2at6native12_GLOBAL__N_18offset_tEEE10hipError_tPvRmT1_PNSt15iterator_traitsISV_E10value_typeET2_T3_PNSW_IS11_E10value_typeET4_jRbjT5_S17_jjP12ihipStream_tbEUljE_EEESS_ST_SU_S11_S15_S17_T6_T7_T9_mT8_S19_bDpT10_ENKUlT_T0_E_clISt17integral_constantIbLb0EES1M_EEDaS1H_S1I_EUlS1H_E_NS1_11comp_targetILNS1_3genE0ELNS1_11target_archE4294967295ELNS1_3gpuE0ELNS1_3repE0EEENS1_30default_config_static_selectorELNS0_4arch9wavefront6targetE0EEEvSV_
; %bb.0:
	.section	.rodata,"a",@progbits
	.p2align	6, 0x0
	.amdhsa_kernel _ZN7rocprim17ROCPRIM_400000_NS6detail17trampoline_kernelINS0_13select_configILj256ELj13ELNS0_17block_load_methodE3ELS4_3ELS4_3ELNS0_20block_scan_algorithmE0ELj4294967295EEENS1_25partition_config_selectorILNS1_17partition_subalgoE3EjNS0_10empty_typeEbEEZZNS1_14partition_implILS8_3ELb0ES6_jNS0_17counting_iteratorIjlEEPS9_SE_NS0_5tupleIJPjSE_EEENSF_IJSE_SE_EEES9_SG_JZNS1_25segmented_radix_sort_implINS0_14default_configELb0EPKlPlSM_SN_N2at6native12_GLOBAL__N_18offset_tEEE10hipError_tPvRmT1_PNSt15iterator_traitsISV_E10value_typeET2_T3_PNSW_IS11_E10value_typeET4_jRbjT5_S17_jjP12ihipStream_tbEUljE_EEESS_ST_SU_S11_S15_S17_T6_T7_T9_mT8_S19_bDpT10_ENKUlT_T0_E_clISt17integral_constantIbLb0EES1M_EEDaS1H_S1I_EUlS1H_E_NS1_11comp_targetILNS1_3genE0ELNS1_11target_archE4294967295ELNS1_3gpuE0ELNS1_3repE0EEENS1_30default_config_static_selectorELNS0_4arch9wavefront6targetE0EEEvSV_
		.amdhsa_group_segment_fixed_size 0
		.amdhsa_private_segment_fixed_size 0
		.amdhsa_kernarg_size 144
		.amdhsa_user_sgpr_count 6
		.amdhsa_user_sgpr_private_segment_buffer 1
		.amdhsa_user_sgpr_dispatch_ptr 0
		.amdhsa_user_sgpr_queue_ptr 0
		.amdhsa_user_sgpr_kernarg_segment_ptr 1
		.amdhsa_user_sgpr_dispatch_id 0
		.amdhsa_user_sgpr_flat_scratch_init 0
		.amdhsa_user_sgpr_private_segment_size 0
		.amdhsa_wavefront_size32 1
		.amdhsa_uses_dynamic_stack 0
		.amdhsa_system_sgpr_private_segment_wavefront_offset 0
		.amdhsa_system_sgpr_workgroup_id_x 1
		.amdhsa_system_sgpr_workgroup_id_y 0
		.amdhsa_system_sgpr_workgroup_id_z 0
		.amdhsa_system_sgpr_workgroup_info 0
		.amdhsa_system_vgpr_workitem_id 0
		.amdhsa_next_free_vgpr 1
		.amdhsa_next_free_sgpr 1
		.amdhsa_reserve_vcc 0
		.amdhsa_reserve_flat_scratch 0
		.amdhsa_float_round_mode_32 0
		.amdhsa_float_round_mode_16_64 0
		.amdhsa_float_denorm_mode_32 3
		.amdhsa_float_denorm_mode_16_64 3
		.amdhsa_dx10_clamp 1
		.amdhsa_ieee_mode 1
		.amdhsa_fp16_overflow 0
		.amdhsa_workgroup_processor_mode 1
		.amdhsa_memory_ordered 1
		.amdhsa_forward_progress 1
		.amdhsa_shared_vgpr_count 0
		.amdhsa_exception_fp_ieee_invalid_op 0
		.amdhsa_exception_fp_denorm_src 0
		.amdhsa_exception_fp_ieee_div_zero 0
		.amdhsa_exception_fp_ieee_overflow 0
		.amdhsa_exception_fp_ieee_underflow 0
		.amdhsa_exception_fp_ieee_inexact 0
		.amdhsa_exception_int_div_zero 0
	.end_amdhsa_kernel
	.section	.text._ZN7rocprim17ROCPRIM_400000_NS6detail17trampoline_kernelINS0_13select_configILj256ELj13ELNS0_17block_load_methodE3ELS4_3ELS4_3ELNS0_20block_scan_algorithmE0ELj4294967295EEENS1_25partition_config_selectorILNS1_17partition_subalgoE3EjNS0_10empty_typeEbEEZZNS1_14partition_implILS8_3ELb0ES6_jNS0_17counting_iteratorIjlEEPS9_SE_NS0_5tupleIJPjSE_EEENSF_IJSE_SE_EEES9_SG_JZNS1_25segmented_radix_sort_implINS0_14default_configELb0EPKlPlSM_SN_N2at6native12_GLOBAL__N_18offset_tEEE10hipError_tPvRmT1_PNSt15iterator_traitsISV_E10value_typeET2_T3_PNSW_IS11_E10value_typeET4_jRbjT5_S17_jjP12ihipStream_tbEUljE_EEESS_ST_SU_S11_S15_S17_T6_T7_T9_mT8_S19_bDpT10_ENKUlT_T0_E_clISt17integral_constantIbLb0EES1M_EEDaS1H_S1I_EUlS1H_E_NS1_11comp_targetILNS1_3genE0ELNS1_11target_archE4294967295ELNS1_3gpuE0ELNS1_3repE0EEENS1_30default_config_static_selectorELNS0_4arch9wavefront6targetE0EEEvSV_,"axG",@progbits,_ZN7rocprim17ROCPRIM_400000_NS6detail17trampoline_kernelINS0_13select_configILj256ELj13ELNS0_17block_load_methodE3ELS4_3ELS4_3ELNS0_20block_scan_algorithmE0ELj4294967295EEENS1_25partition_config_selectorILNS1_17partition_subalgoE3EjNS0_10empty_typeEbEEZZNS1_14partition_implILS8_3ELb0ES6_jNS0_17counting_iteratorIjlEEPS9_SE_NS0_5tupleIJPjSE_EEENSF_IJSE_SE_EEES9_SG_JZNS1_25segmented_radix_sort_implINS0_14default_configELb0EPKlPlSM_SN_N2at6native12_GLOBAL__N_18offset_tEEE10hipError_tPvRmT1_PNSt15iterator_traitsISV_E10value_typeET2_T3_PNSW_IS11_E10value_typeET4_jRbjT5_S17_jjP12ihipStream_tbEUljE_EEESS_ST_SU_S11_S15_S17_T6_T7_T9_mT8_S19_bDpT10_ENKUlT_T0_E_clISt17integral_constantIbLb0EES1M_EEDaS1H_S1I_EUlS1H_E_NS1_11comp_targetILNS1_3genE0ELNS1_11target_archE4294967295ELNS1_3gpuE0ELNS1_3repE0EEENS1_30default_config_static_selectorELNS0_4arch9wavefront6targetE0EEEvSV_,comdat
.Lfunc_end769:
	.size	_ZN7rocprim17ROCPRIM_400000_NS6detail17trampoline_kernelINS0_13select_configILj256ELj13ELNS0_17block_load_methodE3ELS4_3ELS4_3ELNS0_20block_scan_algorithmE0ELj4294967295EEENS1_25partition_config_selectorILNS1_17partition_subalgoE3EjNS0_10empty_typeEbEEZZNS1_14partition_implILS8_3ELb0ES6_jNS0_17counting_iteratorIjlEEPS9_SE_NS0_5tupleIJPjSE_EEENSF_IJSE_SE_EEES9_SG_JZNS1_25segmented_radix_sort_implINS0_14default_configELb0EPKlPlSM_SN_N2at6native12_GLOBAL__N_18offset_tEEE10hipError_tPvRmT1_PNSt15iterator_traitsISV_E10value_typeET2_T3_PNSW_IS11_E10value_typeET4_jRbjT5_S17_jjP12ihipStream_tbEUljE_EEESS_ST_SU_S11_S15_S17_T6_T7_T9_mT8_S19_bDpT10_ENKUlT_T0_E_clISt17integral_constantIbLb0EES1M_EEDaS1H_S1I_EUlS1H_E_NS1_11comp_targetILNS1_3genE0ELNS1_11target_archE4294967295ELNS1_3gpuE0ELNS1_3repE0EEENS1_30default_config_static_selectorELNS0_4arch9wavefront6targetE0EEEvSV_, .Lfunc_end769-_ZN7rocprim17ROCPRIM_400000_NS6detail17trampoline_kernelINS0_13select_configILj256ELj13ELNS0_17block_load_methodE3ELS4_3ELS4_3ELNS0_20block_scan_algorithmE0ELj4294967295EEENS1_25partition_config_selectorILNS1_17partition_subalgoE3EjNS0_10empty_typeEbEEZZNS1_14partition_implILS8_3ELb0ES6_jNS0_17counting_iteratorIjlEEPS9_SE_NS0_5tupleIJPjSE_EEENSF_IJSE_SE_EEES9_SG_JZNS1_25segmented_radix_sort_implINS0_14default_configELb0EPKlPlSM_SN_N2at6native12_GLOBAL__N_18offset_tEEE10hipError_tPvRmT1_PNSt15iterator_traitsISV_E10value_typeET2_T3_PNSW_IS11_E10value_typeET4_jRbjT5_S17_jjP12ihipStream_tbEUljE_EEESS_ST_SU_S11_S15_S17_T6_T7_T9_mT8_S19_bDpT10_ENKUlT_T0_E_clISt17integral_constantIbLb0EES1M_EEDaS1H_S1I_EUlS1H_E_NS1_11comp_targetILNS1_3genE0ELNS1_11target_archE4294967295ELNS1_3gpuE0ELNS1_3repE0EEENS1_30default_config_static_selectorELNS0_4arch9wavefront6targetE0EEEvSV_
                                        ; -- End function
	.set _ZN7rocprim17ROCPRIM_400000_NS6detail17trampoline_kernelINS0_13select_configILj256ELj13ELNS0_17block_load_methodE3ELS4_3ELS4_3ELNS0_20block_scan_algorithmE0ELj4294967295EEENS1_25partition_config_selectorILNS1_17partition_subalgoE3EjNS0_10empty_typeEbEEZZNS1_14partition_implILS8_3ELb0ES6_jNS0_17counting_iteratorIjlEEPS9_SE_NS0_5tupleIJPjSE_EEENSF_IJSE_SE_EEES9_SG_JZNS1_25segmented_radix_sort_implINS0_14default_configELb0EPKlPlSM_SN_N2at6native12_GLOBAL__N_18offset_tEEE10hipError_tPvRmT1_PNSt15iterator_traitsISV_E10value_typeET2_T3_PNSW_IS11_E10value_typeET4_jRbjT5_S17_jjP12ihipStream_tbEUljE_EEESS_ST_SU_S11_S15_S17_T6_T7_T9_mT8_S19_bDpT10_ENKUlT_T0_E_clISt17integral_constantIbLb0EES1M_EEDaS1H_S1I_EUlS1H_E_NS1_11comp_targetILNS1_3genE0ELNS1_11target_archE4294967295ELNS1_3gpuE0ELNS1_3repE0EEENS1_30default_config_static_selectorELNS0_4arch9wavefront6targetE0EEEvSV_.num_vgpr, 0
	.set _ZN7rocprim17ROCPRIM_400000_NS6detail17trampoline_kernelINS0_13select_configILj256ELj13ELNS0_17block_load_methodE3ELS4_3ELS4_3ELNS0_20block_scan_algorithmE0ELj4294967295EEENS1_25partition_config_selectorILNS1_17partition_subalgoE3EjNS0_10empty_typeEbEEZZNS1_14partition_implILS8_3ELb0ES6_jNS0_17counting_iteratorIjlEEPS9_SE_NS0_5tupleIJPjSE_EEENSF_IJSE_SE_EEES9_SG_JZNS1_25segmented_radix_sort_implINS0_14default_configELb0EPKlPlSM_SN_N2at6native12_GLOBAL__N_18offset_tEEE10hipError_tPvRmT1_PNSt15iterator_traitsISV_E10value_typeET2_T3_PNSW_IS11_E10value_typeET4_jRbjT5_S17_jjP12ihipStream_tbEUljE_EEESS_ST_SU_S11_S15_S17_T6_T7_T9_mT8_S19_bDpT10_ENKUlT_T0_E_clISt17integral_constantIbLb0EES1M_EEDaS1H_S1I_EUlS1H_E_NS1_11comp_targetILNS1_3genE0ELNS1_11target_archE4294967295ELNS1_3gpuE0ELNS1_3repE0EEENS1_30default_config_static_selectorELNS0_4arch9wavefront6targetE0EEEvSV_.num_agpr, 0
	.set _ZN7rocprim17ROCPRIM_400000_NS6detail17trampoline_kernelINS0_13select_configILj256ELj13ELNS0_17block_load_methodE3ELS4_3ELS4_3ELNS0_20block_scan_algorithmE0ELj4294967295EEENS1_25partition_config_selectorILNS1_17partition_subalgoE3EjNS0_10empty_typeEbEEZZNS1_14partition_implILS8_3ELb0ES6_jNS0_17counting_iteratorIjlEEPS9_SE_NS0_5tupleIJPjSE_EEENSF_IJSE_SE_EEES9_SG_JZNS1_25segmented_radix_sort_implINS0_14default_configELb0EPKlPlSM_SN_N2at6native12_GLOBAL__N_18offset_tEEE10hipError_tPvRmT1_PNSt15iterator_traitsISV_E10value_typeET2_T3_PNSW_IS11_E10value_typeET4_jRbjT5_S17_jjP12ihipStream_tbEUljE_EEESS_ST_SU_S11_S15_S17_T6_T7_T9_mT8_S19_bDpT10_ENKUlT_T0_E_clISt17integral_constantIbLb0EES1M_EEDaS1H_S1I_EUlS1H_E_NS1_11comp_targetILNS1_3genE0ELNS1_11target_archE4294967295ELNS1_3gpuE0ELNS1_3repE0EEENS1_30default_config_static_selectorELNS0_4arch9wavefront6targetE0EEEvSV_.numbered_sgpr, 0
	.set _ZN7rocprim17ROCPRIM_400000_NS6detail17trampoline_kernelINS0_13select_configILj256ELj13ELNS0_17block_load_methodE3ELS4_3ELS4_3ELNS0_20block_scan_algorithmE0ELj4294967295EEENS1_25partition_config_selectorILNS1_17partition_subalgoE3EjNS0_10empty_typeEbEEZZNS1_14partition_implILS8_3ELb0ES6_jNS0_17counting_iteratorIjlEEPS9_SE_NS0_5tupleIJPjSE_EEENSF_IJSE_SE_EEES9_SG_JZNS1_25segmented_radix_sort_implINS0_14default_configELb0EPKlPlSM_SN_N2at6native12_GLOBAL__N_18offset_tEEE10hipError_tPvRmT1_PNSt15iterator_traitsISV_E10value_typeET2_T3_PNSW_IS11_E10value_typeET4_jRbjT5_S17_jjP12ihipStream_tbEUljE_EEESS_ST_SU_S11_S15_S17_T6_T7_T9_mT8_S19_bDpT10_ENKUlT_T0_E_clISt17integral_constantIbLb0EES1M_EEDaS1H_S1I_EUlS1H_E_NS1_11comp_targetILNS1_3genE0ELNS1_11target_archE4294967295ELNS1_3gpuE0ELNS1_3repE0EEENS1_30default_config_static_selectorELNS0_4arch9wavefront6targetE0EEEvSV_.num_named_barrier, 0
	.set _ZN7rocprim17ROCPRIM_400000_NS6detail17trampoline_kernelINS0_13select_configILj256ELj13ELNS0_17block_load_methodE3ELS4_3ELS4_3ELNS0_20block_scan_algorithmE0ELj4294967295EEENS1_25partition_config_selectorILNS1_17partition_subalgoE3EjNS0_10empty_typeEbEEZZNS1_14partition_implILS8_3ELb0ES6_jNS0_17counting_iteratorIjlEEPS9_SE_NS0_5tupleIJPjSE_EEENSF_IJSE_SE_EEES9_SG_JZNS1_25segmented_radix_sort_implINS0_14default_configELb0EPKlPlSM_SN_N2at6native12_GLOBAL__N_18offset_tEEE10hipError_tPvRmT1_PNSt15iterator_traitsISV_E10value_typeET2_T3_PNSW_IS11_E10value_typeET4_jRbjT5_S17_jjP12ihipStream_tbEUljE_EEESS_ST_SU_S11_S15_S17_T6_T7_T9_mT8_S19_bDpT10_ENKUlT_T0_E_clISt17integral_constantIbLb0EES1M_EEDaS1H_S1I_EUlS1H_E_NS1_11comp_targetILNS1_3genE0ELNS1_11target_archE4294967295ELNS1_3gpuE0ELNS1_3repE0EEENS1_30default_config_static_selectorELNS0_4arch9wavefront6targetE0EEEvSV_.private_seg_size, 0
	.set _ZN7rocprim17ROCPRIM_400000_NS6detail17trampoline_kernelINS0_13select_configILj256ELj13ELNS0_17block_load_methodE3ELS4_3ELS4_3ELNS0_20block_scan_algorithmE0ELj4294967295EEENS1_25partition_config_selectorILNS1_17partition_subalgoE3EjNS0_10empty_typeEbEEZZNS1_14partition_implILS8_3ELb0ES6_jNS0_17counting_iteratorIjlEEPS9_SE_NS0_5tupleIJPjSE_EEENSF_IJSE_SE_EEES9_SG_JZNS1_25segmented_radix_sort_implINS0_14default_configELb0EPKlPlSM_SN_N2at6native12_GLOBAL__N_18offset_tEEE10hipError_tPvRmT1_PNSt15iterator_traitsISV_E10value_typeET2_T3_PNSW_IS11_E10value_typeET4_jRbjT5_S17_jjP12ihipStream_tbEUljE_EEESS_ST_SU_S11_S15_S17_T6_T7_T9_mT8_S19_bDpT10_ENKUlT_T0_E_clISt17integral_constantIbLb0EES1M_EEDaS1H_S1I_EUlS1H_E_NS1_11comp_targetILNS1_3genE0ELNS1_11target_archE4294967295ELNS1_3gpuE0ELNS1_3repE0EEENS1_30default_config_static_selectorELNS0_4arch9wavefront6targetE0EEEvSV_.uses_vcc, 0
	.set _ZN7rocprim17ROCPRIM_400000_NS6detail17trampoline_kernelINS0_13select_configILj256ELj13ELNS0_17block_load_methodE3ELS4_3ELS4_3ELNS0_20block_scan_algorithmE0ELj4294967295EEENS1_25partition_config_selectorILNS1_17partition_subalgoE3EjNS0_10empty_typeEbEEZZNS1_14partition_implILS8_3ELb0ES6_jNS0_17counting_iteratorIjlEEPS9_SE_NS0_5tupleIJPjSE_EEENSF_IJSE_SE_EEES9_SG_JZNS1_25segmented_radix_sort_implINS0_14default_configELb0EPKlPlSM_SN_N2at6native12_GLOBAL__N_18offset_tEEE10hipError_tPvRmT1_PNSt15iterator_traitsISV_E10value_typeET2_T3_PNSW_IS11_E10value_typeET4_jRbjT5_S17_jjP12ihipStream_tbEUljE_EEESS_ST_SU_S11_S15_S17_T6_T7_T9_mT8_S19_bDpT10_ENKUlT_T0_E_clISt17integral_constantIbLb0EES1M_EEDaS1H_S1I_EUlS1H_E_NS1_11comp_targetILNS1_3genE0ELNS1_11target_archE4294967295ELNS1_3gpuE0ELNS1_3repE0EEENS1_30default_config_static_selectorELNS0_4arch9wavefront6targetE0EEEvSV_.uses_flat_scratch, 0
	.set _ZN7rocprim17ROCPRIM_400000_NS6detail17trampoline_kernelINS0_13select_configILj256ELj13ELNS0_17block_load_methodE3ELS4_3ELS4_3ELNS0_20block_scan_algorithmE0ELj4294967295EEENS1_25partition_config_selectorILNS1_17partition_subalgoE3EjNS0_10empty_typeEbEEZZNS1_14partition_implILS8_3ELb0ES6_jNS0_17counting_iteratorIjlEEPS9_SE_NS0_5tupleIJPjSE_EEENSF_IJSE_SE_EEES9_SG_JZNS1_25segmented_radix_sort_implINS0_14default_configELb0EPKlPlSM_SN_N2at6native12_GLOBAL__N_18offset_tEEE10hipError_tPvRmT1_PNSt15iterator_traitsISV_E10value_typeET2_T3_PNSW_IS11_E10value_typeET4_jRbjT5_S17_jjP12ihipStream_tbEUljE_EEESS_ST_SU_S11_S15_S17_T6_T7_T9_mT8_S19_bDpT10_ENKUlT_T0_E_clISt17integral_constantIbLb0EES1M_EEDaS1H_S1I_EUlS1H_E_NS1_11comp_targetILNS1_3genE0ELNS1_11target_archE4294967295ELNS1_3gpuE0ELNS1_3repE0EEENS1_30default_config_static_selectorELNS0_4arch9wavefront6targetE0EEEvSV_.has_dyn_sized_stack, 0
	.set _ZN7rocprim17ROCPRIM_400000_NS6detail17trampoline_kernelINS0_13select_configILj256ELj13ELNS0_17block_load_methodE3ELS4_3ELS4_3ELNS0_20block_scan_algorithmE0ELj4294967295EEENS1_25partition_config_selectorILNS1_17partition_subalgoE3EjNS0_10empty_typeEbEEZZNS1_14partition_implILS8_3ELb0ES6_jNS0_17counting_iteratorIjlEEPS9_SE_NS0_5tupleIJPjSE_EEENSF_IJSE_SE_EEES9_SG_JZNS1_25segmented_radix_sort_implINS0_14default_configELb0EPKlPlSM_SN_N2at6native12_GLOBAL__N_18offset_tEEE10hipError_tPvRmT1_PNSt15iterator_traitsISV_E10value_typeET2_T3_PNSW_IS11_E10value_typeET4_jRbjT5_S17_jjP12ihipStream_tbEUljE_EEESS_ST_SU_S11_S15_S17_T6_T7_T9_mT8_S19_bDpT10_ENKUlT_T0_E_clISt17integral_constantIbLb0EES1M_EEDaS1H_S1I_EUlS1H_E_NS1_11comp_targetILNS1_3genE0ELNS1_11target_archE4294967295ELNS1_3gpuE0ELNS1_3repE0EEENS1_30default_config_static_selectorELNS0_4arch9wavefront6targetE0EEEvSV_.has_recursion, 0
	.set _ZN7rocprim17ROCPRIM_400000_NS6detail17trampoline_kernelINS0_13select_configILj256ELj13ELNS0_17block_load_methodE3ELS4_3ELS4_3ELNS0_20block_scan_algorithmE0ELj4294967295EEENS1_25partition_config_selectorILNS1_17partition_subalgoE3EjNS0_10empty_typeEbEEZZNS1_14partition_implILS8_3ELb0ES6_jNS0_17counting_iteratorIjlEEPS9_SE_NS0_5tupleIJPjSE_EEENSF_IJSE_SE_EEES9_SG_JZNS1_25segmented_radix_sort_implINS0_14default_configELb0EPKlPlSM_SN_N2at6native12_GLOBAL__N_18offset_tEEE10hipError_tPvRmT1_PNSt15iterator_traitsISV_E10value_typeET2_T3_PNSW_IS11_E10value_typeET4_jRbjT5_S17_jjP12ihipStream_tbEUljE_EEESS_ST_SU_S11_S15_S17_T6_T7_T9_mT8_S19_bDpT10_ENKUlT_T0_E_clISt17integral_constantIbLb0EES1M_EEDaS1H_S1I_EUlS1H_E_NS1_11comp_targetILNS1_3genE0ELNS1_11target_archE4294967295ELNS1_3gpuE0ELNS1_3repE0EEENS1_30default_config_static_selectorELNS0_4arch9wavefront6targetE0EEEvSV_.has_indirect_call, 0
	.section	.AMDGPU.csdata,"",@progbits
; Kernel info:
; codeLenInByte = 0
; TotalNumSgprs: 0
; NumVgprs: 0
; ScratchSize: 0
; MemoryBound: 0
; FloatMode: 240
; IeeeMode: 1
; LDSByteSize: 0 bytes/workgroup (compile time only)
; SGPRBlocks: 0
; VGPRBlocks: 0
; NumSGPRsForWavesPerEU: 1
; NumVGPRsForWavesPerEU: 1
; Occupancy: 16
; WaveLimiterHint : 0
; COMPUTE_PGM_RSRC2:SCRATCH_EN: 0
; COMPUTE_PGM_RSRC2:USER_SGPR: 6
; COMPUTE_PGM_RSRC2:TRAP_HANDLER: 0
; COMPUTE_PGM_RSRC2:TGID_X_EN: 1
; COMPUTE_PGM_RSRC2:TGID_Y_EN: 0
; COMPUTE_PGM_RSRC2:TGID_Z_EN: 0
; COMPUTE_PGM_RSRC2:TIDIG_COMP_CNT: 0
	.section	.text._ZN7rocprim17ROCPRIM_400000_NS6detail17trampoline_kernelINS0_13select_configILj256ELj13ELNS0_17block_load_methodE3ELS4_3ELS4_3ELNS0_20block_scan_algorithmE0ELj4294967295EEENS1_25partition_config_selectorILNS1_17partition_subalgoE3EjNS0_10empty_typeEbEEZZNS1_14partition_implILS8_3ELb0ES6_jNS0_17counting_iteratorIjlEEPS9_SE_NS0_5tupleIJPjSE_EEENSF_IJSE_SE_EEES9_SG_JZNS1_25segmented_radix_sort_implINS0_14default_configELb0EPKlPlSM_SN_N2at6native12_GLOBAL__N_18offset_tEEE10hipError_tPvRmT1_PNSt15iterator_traitsISV_E10value_typeET2_T3_PNSW_IS11_E10value_typeET4_jRbjT5_S17_jjP12ihipStream_tbEUljE_EEESS_ST_SU_S11_S15_S17_T6_T7_T9_mT8_S19_bDpT10_ENKUlT_T0_E_clISt17integral_constantIbLb0EES1M_EEDaS1H_S1I_EUlS1H_E_NS1_11comp_targetILNS1_3genE5ELNS1_11target_archE942ELNS1_3gpuE9ELNS1_3repE0EEENS1_30default_config_static_selectorELNS0_4arch9wavefront6targetE0EEEvSV_,"axG",@progbits,_ZN7rocprim17ROCPRIM_400000_NS6detail17trampoline_kernelINS0_13select_configILj256ELj13ELNS0_17block_load_methodE3ELS4_3ELS4_3ELNS0_20block_scan_algorithmE0ELj4294967295EEENS1_25partition_config_selectorILNS1_17partition_subalgoE3EjNS0_10empty_typeEbEEZZNS1_14partition_implILS8_3ELb0ES6_jNS0_17counting_iteratorIjlEEPS9_SE_NS0_5tupleIJPjSE_EEENSF_IJSE_SE_EEES9_SG_JZNS1_25segmented_radix_sort_implINS0_14default_configELb0EPKlPlSM_SN_N2at6native12_GLOBAL__N_18offset_tEEE10hipError_tPvRmT1_PNSt15iterator_traitsISV_E10value_typeET2_T3_PNSW_IS11_E10value_typeET4_jRbjT5_S17_jjP12ihipStream_tbEUljE_EEESS_ST_SU_S11_S15_S17_T6_T7_T9_mT8_S19_bDpT10_ENKUlT_T0_E_clISt17integral_constantIbLb0EES1M_EEDaS1H_S1I_EUlS1H_E_NS1_11comp_targetILNS1_3genE5ELNS1_11target_archE942ELNS1_3gpuE9ELNS1_3repE0EEENS1_30default_config_static_selectorELNS0_4arch9wavefront6targetE0EEEvSV_,comdat
	.globl	_ZN7rocprim17ROCPRIM_400000_NS6detail17trampoline_kernelINS0_13select_configILj256ELj13ELNS0_17block_load_methodE3ELS4_3ELS4_3ELNS0_20block_scan_algorithmE0ELj4294967295EEENS1_25partition_config_selectorILNS1_17partition_subalgoE3EjNS0_10empty_typeEbEEZZNS1_14partition_implILS8_3ELb0ES6_jNS0_17counting_iteratorIjlEEPS9_SE_NS0_5tupleIJPjSE_EEENSF_IJSE_SE_EEES9_SG_JZNS1_25segmented_radix_sort_implINS0_14default_configELb0EPKlPlSM_SN_N2at6native12_GLOBAL__N_18offset_tEEE10hipError_tPvRmT1_PNSt15iterator_traitsISV_E10value_typeET2_T3_PNSW_IS11_E10value_typeET4_jRbjT5_S17_jjP12ihipStream_tbEUljE_EEESS_ST_SU_S11_S15_S17_T6_T7_T9_mT8_S19_bDpT10_ENKUlT_T0_E_clISt17integral_constantIbLb0EES1M_EEDaS1H_S1I_EUlS1H_E_NS1_11comp_targetILNS1_3genE5ELNS1_11target_archE942ELNS1_3gpuE9ELNS1_3repE0EEENS1_30default_config_static_selectorELNS0_4arch9wavefront6targetE0EEEvSV_ ; -- Begin function _ZN7rocprim17ROCPRIM_400000_NS6detail17trampoline_kernelINS0_13select_configILj256ELj13ELNS0_17block_load_methodE3ELS4_3ELS4_3ELNS0_20block_scan_algorithmE0ELj4294967295EEENS1_25partition_config_selectorILNS1_17partition_subalgoE3EjNS0_10empty_typeEbEEZZNS1_14partition_implILS8_3ELb0ES6_jNS0_17counting_iteratorIjlEEPS9_SE_NS0_5tupleIJPjSE_EEENSF_IJSE_SE_EEES9_SG_JZNS1_25segmented_radix_sort_implINS0_14default_configELb0EPKlPlSM_SN_N2at6native12_GLOBAL__N_18offset_tEEE10hipError_tPvRmT1_PNSt15iterator_traitsISV_E10value_typeET2_T3_PNSW_IS11_E10value_typeET4_jRbjT5_S17_jjP12ihipStream_tbEUljE_EEESS_ST_SU_S11_S15_S17_T6_T7_T9_mT8_S19_bDpT10_ENKUlT_T0_E_clISt17integral_constantIbLb0EES1M_EEDaS1H_S1I_EUlS1H_E_NS1_11comp_targetILNS1_3genE5ELNS1_11target_archE942ELNS1_3gpuE9ELNS1_3repE0EEENS1_30default_config_static_selectorELNS0_4arch9wavefront6targetE0EEEvSV_
	.p2align	8
	.type	_ZN7rocprim17ROCPRIM_400000_NS6detail17trampoline_kernelINS0_13select_configILj256ELj13ELNS0_17block_load_methodE3ELS4_3ELS4_3ELNS0_20block_scan_algorithmE0ELj4294967295EEENS1_25partition_config_selectorILNS1_17partition_subalgoE3EjNS0_10empty_typeEbEEZZNS1_14partition_implILS8_3ELb0ES6_jNS0_17counting_iteratorIjlEEPS9_SE_NS0_5tupleIJPjSE_EEENSF_IJSE_SE_EEES9_SG_JZNS1_25segmented_radix_sort_implINS0_14default_configELb0EPKlPlSM_SN_N2at6native12_GLOBAL__N_18offset_tEEE10hipError_tPvRmT1_PNSt15iterator_traitsISV_E10value_typeET2_T3_PNSW_IS11_E10value_typeET4_jRbjT5_S17_jjP12ihipStream_tbEUljE_EEESS_ST_SU_S11_S15_S17_T6_T7_T9_mT8_S19_bDpT10_ENKUlT_T0_E_clISt17integral_constantIbLb0EES1M_EEDaS1H_S1I_EUlS1H_E_NS1_11comp_targetILNS1_3genE5ELNS1_11target_archE942ELNS1_3gpuE9ELNS1_3repE0EEENS1_30default_config_static_selectorELNS0_4arch9wavefront6targetE0EEEvSV_,@function
_ZN7rocprim17ROCPRIM_400000_NS6detail17trampoline_kernelINS0_13select_configILj256ELj13ELNS0_17block_load_methodE3ELS4_3ELS4_3ELNS0_20block_scan_algorithmE0ELj4294967295EEENS1_25partition_config_selectorILNS1_17partition_subalgoE3EjNS0_10empty_typeEbEEZZNS1_14partition_implILS8_3ELb0ES6_jNS0_17counting_iteratorIjlEEPS9_SE_NS0_5tupleIJPjSE_EEENSF_IJSE_SE_EEES9_SG_JZNS1_25segmented_radix_sort_implINS0_14default_configELb0EPKlPlSM_SN_N2at6native12_GLOBAL__N_18offset_tEEE10hipError_tPvRmT1_PNSt15iterator_traitsISV_E10value_typeET2_T3_PNSW_IS11_E10value_typeET4_jRbjT5_S17_jjP12ihipStream_tbEUljE_EEESS_ST_SU_S11_S15_S17_T6_T7_T9_mT8_S19_bDpT10_ENKUlT_T0_E_clISt17integral_constantIbLb0EES1M_EEDaS1H_S1I_EUlS1H_E_NS1_11comp_targetILNS1_3genE5ELNS1_11target_archE942ELNS1_3gpuE9ELNS1_3repE0EEENS1_30default_config_static_selectorELNS0_4arch9wavefront6targetE0EEEvSV_: ; @_ZN7rocprim17ROCPRIM_400000_NS6detail17trampoline_kernelINS0_13select_configILj256ELj13ELNS0_17block_load_methodE3ELS4_3ELS4_3ELNS0_20block_scan_algorithmE0ELj4294967295EEENS1_25partition_config_selectorILNS1_17partition_subalgoE3EjNS0_10empty_typeEbEEZZNS1_14partition_implILS8_3ELb0ES6_jNS0_17counting_iteratorIjlEEPS9_SE_NS0_5tupleIJPjSE_EEENSF_IJSE_SE_EEES9_SG_JZNS1_25segmented_radix_sort_implINS0_14default_configELb0EPKlPlSM_SN_N2at6native12_GLOBAL__N_18offset_tEEE10hipError_tPvRmT1_PNSt15iterator_traitsISV_E10value_typeET2_T3_PNSW_IS11_E10value_typeET4_jRbjT5_S17_jjP12ihipStream_tbEUljE_EEESS_ST_SU_S11_S15_S17_T6_T7_T9_mT8_S19_bDpT10_ENKUlT_T0_E_clISt17integral_constantIbLb0EES1M_EEDaS1H_S1I_EUlS1H_E_NS1_11comp_targetILNS1_3genE5ELNS1_11target_archE942ELNS1_3gpuE9ELNS1_3repE0EEENS1_30default_config_static_selectorELNS0_4arch9wavefront6targetE0EEEvSV_
; %bb.0:
	.section	.rodata,"a",@progbits
	.p2align	6, 0x0
	.amdhsa_kernel _ZN7rocprim17ROCPRIM_400000_NS6detail17trampoline_kernelINS0_13select_configILj256ELj13ELNS0_17block_load_methodE3ELS4_3ELS4_3ELNS0_20block_scan_algorithmE0ELj4294967295EEENS1_25partition_config_selectorILNS1_17partition_subalgoE3EjNS0_10empty_typeEbEEZZNS1_14partition_implILS8_3ELb0ES6_jNS0_17counting_iteratorIjlEEPS9_SE_NS0_5tupleIJPjSE_EEENSF_IJSE_SE_EEES9_SG_JZNS1_25segmented_radix_sort_implINS0_14default_configELb0EPKlPlSM_SN_N2at6native12_GLOBAL__N_18offset_tEEE10hipError_tPvRmT1_PNSt15iterator_traitsISV_E10value_typeET2_T3_PNSW_IS11_E10value_typeET4_jRbjT5_S17_jjP12ihipStream_tbEUljE_EEESS_ST_SU_S11_S15_S17_T6_T7_T9_mT8_S19_bDpT10_ENKUlT_T0_E_clISt17integral_constantIbLb0EES1M_EEDaS1H_S1I_EUlS1H_E_NS1_11comp_targetILNS1_3genE5ELNS1_11target_archE942ELNS1_3gpuE9ELNS1_3repE0EEENS1_30default_config_static_selectorELNS0_4arch9wavefront6targetE0EEEvSV_
		.amdhsa_group_segment_fixed_size 0
		.amdhsa_private_segment_fixed_size 0
		.amdhsa_kernarg_size 144
		.amdhsa_user_sgpr_count 6
		.amdhsa_user_sgpr_private_segment_buffer 1
		.amdhsa_user_sgpr_dispatch_ptr 0
		.amdhsa_user_sgpr_queue_ptr 0
		.amdhsa_user_sgpr_kernarg_segment_ptr 1
		.amdhsa_user_sgpr_dispatch_id 0
		.amdhsa_user_sgpr_flat_scratch_init 0
		.amdhsa_user_sgpr_private_segment_size 0
		.amdhsa_wavefront_size32 1
		.amdhsa_uses_dynamic_stack 0
		.amdhsa_system_sgpr_private_segment_wavefront_offset 0
		.amdhsa_system_sgpr_workgroup_id_x 1
		.amdhsa_system_sgpr_workgroup_id_y 0
		.amdhsa_system_sgpr_workgroup_id_z 0
		.amdhsa_system_sgpr_workgroup_info 0
		.amdhsa_system_vgpr_workitem_id 0
		.amdhsa_next_free_vgpr 1
		.amdhsa_next_free_sgpr 1
		.amdhsa_reserve_vcc 0
		.amdhsa_reserve_flat_scratch 0
		.amdhsa_float_round_mode_32 0
		.amdhsa_float_round_mode_16_64 0
		.amdhsa_float_denorm_mode_32 3
		.amdhsa_float_denorm_mode_16_64 3
		.amdhsa_dx10_clamp 1
		.amdhsa_ieee_mode 1
		.amdhsa_fp16_overflow 0
		.amdhsa_workgroup_processor_mode 1
		.amdhsa_memory_ordered 1
		.amdhsa_forward_progress 1
		.amdhsa_shared_vgpr_count 0
		.amdhsa_exception_fp_ieee_invalid_op 0
		.amdhsa_exception_fp_denorm_src 0
		.amdhsa_exception_fp_ieee_div_zero 0
		.amdhsa_exception_fp_ieee_overflow 0
		.amdhsa_exception_fp_ieee_underflow 0
		.amdhsa_exception_fp_ieee_inexact 0
		.amdhsa_exception_int_div_zero 0
	.end_amdhsa_kernel
	.section	.text._ZN7rocprim17ROCPRIM_400000_NS6detail17trampoline_kernelINS0_13select_configILj256ELj13ELNS0_17block_load_methodE3ELS4_3ELS4_3ELNS0_20block_scan_algorithmE0ELj4294967295EEENS1_25partition_config_selectorILNS1_17partition_subalgoE3EjNS0_10empty_typeEbEEZZNS1_14partition_implILS8_3ELb0ES6_jNS0_17counting_iteratorIjlEEPS9_SE_NS0_5tupleIJPjSE_EEENSF_IJSE_SE_EEES9_SG_JZNS1_25segmented_radix_sort_implINS0_14default_configELb0EPKlPlSM_SN_N2at6native12_GLOBAL__N_18offset_tEEE10hipError_tPvRmT1_PNSt15iterator_traitsISV_E10value_typeET2_T3_PNSW_IS11_E10value_typeET4_jRbjT5_S17_jjP12ihipStream_tbEUljE_EEESS_ST_SU_S11_S15_S17_T6_T7_T9_mT8_S19_bDpT10_ENKUlT_T0_E_clISt17integral_constantIbLb0EES1M_EEDaS1H_S1I_EUlS1H_E_NS1_11comp_targetILNS1_3genE5ELNS1_11target_archE942ELNS1_3gpuE9ELNS1_3repE0EEENS1_30default_config_static_selectorELNS0_4arch9wavefront6targetE0EEEvSV_,"axG",@progbits,_ZN7rocprim17ROCPRIM_400000_NS6detail17trampoline_kernelINS0_13select_configILj256ELj13ELNS0_17block_load_methodE3ELS4_3ELS4_3ELNS0_20block_scan_algorithmE0ELj4294967295EEENS1_25partition_config_selectorILNS1_17partition_subalgoE3EjNS0_10empty_typeEbEEZZNS1_14partition_implILS8_3ELb0ES6_jNS0_17counting_iteratorIjlEEPS9_SE_NS0_5tupleIJPjSE_EEENSF_IJSE_SE_EEES9_SG_JZNS1_25segmented_radix_sort_implINS0_14default_configELb0EPKlPlSM_SN_N2at6native12_GLOBAL__N_18offset_tEEE10hipError_tPvRmT1_PNSt15iterator_traitsISV_E10value_typeET2_T3_PNSW_IS11_E10value_typeET4_jRbjT5_S17_jjP12ihipStream_tbEUljE_EEESS_ST_SU_S11_S15_S17_T6_T7_T9_mT8_S19_bDpT10_ENKUlT_T0_E_clISt17integral_constantIbLb0EES1M_EEDaS1H_S1I_EUlS1H_E_NS1_11comp_targetILNS1_3genE5ELNS1_11target_archE942ELNS1_3gpuE9ELNS1_3repE0EEENS1_30default_config_static_selectorELNS0_4arch9wavefront6targetE0EEEvSV_,comdat
.Lfunc_end770:
	.size	_ZN7rocprim17ROCPRIM_400000_NS6detail17trampoline_kernelINS0_13select_configILj256ELj13ELNS0_17block_load_methodE3ELS4_3ELS4_3ELNS0_20block_scan_algorithmE0ELj4294967295EEENS1_25partition_config_selectorILNS1_17partition_subalgoE3EjNS0_10empty_typeEbEEZZNS1_14partition_implILS8_3ELb0ES6_jNS0_17counting_iteratorIjlEEPS9_SE_NS0_5tupleIJPjSE_EEENSF_IJSE_SE_EEES9_SG_JZNS1_25segmented_radix_sort_implINS0_14default_configELb0EPKlPlSM_SN_N2at6native12_GLOBAL__N_18offset_tEEE10hipError_tPvRmT1_PNSt15iterator_traitsISV_E10value_typeET2_T3_PNSW_IS11_E10value_typeET4_jRbjT5_S17_jjP12ihipStream_tbEUljE_EEESS_ST_SU_S11_S15_S17_T6_T7_T9_mT8_S19_bDpT10_ENKUlT_T0_E_clISt17integral_constantIbLb0EES1M_EEDaS1H_S1I_EUlS1H_E_NS1_11comp_targetILNS1_3genE5ELNS1_11target_archE942ELNS1_3gpuE9ELNS1_3repE0EEENS1_30default_config_static_selectorELNS0_4arch9wavefront6targetE0EEEvSV_, .Lfunc_end770-_ZN7rocprim17ROCPRIM_400000_NS6detail17trampoline_kernelINS0_13select_configILj256ELj13ELNS0_17block_load_methodE3ELS4_3ELS4_3ELNS0_20block_scan_algorithmE0ELj4294967295EEENS1_25partition_config_selectorILNS1_17partition_subalgoE3EjNS0_10empty_typeEbEEZZNS1_14partition_implILS8_3ELb0ES6_jNS0_17counting_iteratorIjlEEPS9_SE_NS0_5tupleIJPjSE_EEENSF_IJSE_SE_EEES9_SG_JZNS1_25segmented_radix_sort_implINS0_14default_configELb0EPKlPlSM_SN_N2at6native12_GLOBAL__N_18offset_tEEE10hipError_tPvRmT1_PNSt15iterator_traitsISV_E10value_typeET2_T3_PNSW_IS11_E10value_typeET4_jRbjT5_S17_jjP12ihipStream_tbEUljE_EEESS_ST_SU_S11_S15_S17_T6_T7_T9_mT8_S19_bDpT10_ENKUlT_T0_E_clISt17integral_constantIbLb0EES1M_EEDaS1H_S1I_EUlS1H_E_NS1_11comp_targetILNS1_3genE5ELNS1_11target_archE942ELNS1_3gpuE9ELNS1_3repE0EEENS1_30default_config_static_selectorELNS0_4arch9wavefront6targetE0EEEvSV_
                                        ; -- End function
	.set _ZN7rocprim17ROCPRIM_400000_NS6detail17trampoline_kernelINS0_13select_configILj256ELj13ELNS0_17block_load_methodE3ELS4_3ELS4_3ELNS0_20block_scan_algorithmE0ELj4294967295EEENS1_25partition_config_selectorILNS1_17partition_subalgoE3EjNS0_10empty_typeEbEEZZNS1_14partition_implILS8_3ELb0ES6_jNS0_17counting_iteratorIjlEEPS9_SE_NS0_5tupleIJPjSE_EEENSF_IJSE_SE_EEES9_SG_JZNS1_25segmented_radix_sort_implINS0_14default_configELb0EPKlPlSM_SN_N2at6native12_GLOBAL__N_18offset_tEEE10hipError_tPvRmT1_PNSt15iterator_traitsISV_E10value_typeET2_T3_PNSW_IS11_E10value_typeET4_jRbjT5_S17_jjP12ihipStream_tbEUljE_EEESS_ST_SU_S11_S15_S17_T6_T7_T9_mT8_S19_bDpT10_ENKUlT_T0_E_clISt17integral_constantIbLb0EES1M_EEDaS1H_S1I_EUlS1H_E_NS1_11comp_targetILNS1_3genE5ELNS1_11target_archE942ELNS1_3gpuE9ELNS1_3repE0EEENS1_30default_config_static_selectorELNS0_4arch9wavefront6targetE0EEEvSV_.num_vgpr, 0
	.set _ZN7rocprim17ROCPRIM_400000_NS6detail17trampoline_kernelINS0_13select_configILj256ELj13ELNS0_17block_load_methodE3ELS4_3ELS4_3ELNS0_20block_scan_algorithmE0ELj4294967295EEENS1_25partition_config_selectorILNS1_17partition_subalgoE3EjNS0_10empty_typeEbEEZZNS1_14partition_implILS8_3ELb0ES6_jNS0_17counting_iteratorIjlEEPS9_SE_NS0_5tupleIJPjSE_EEENSF_IJSE_SE_EEES9_SG_JZNS1_25segmented_radix_sort_implINS0_14default_configELb0EPKlPlSM_SN_N2at6native12_GLOBAL__N_18offset_tEEE10hipError_tPvRmT1_PNSt15iterator_traitsISV_E10value_typeET2_T3_PNSW_IS11_E10value_typeET4_jRbjT5_S17_jjP12ihipStream_tbEUljE_EEESS_ST_SU_S11_S15_S17_T6_T7_T9_mT8_S19_bDpT10_ENKUlT_T0_E_clISt17integral_constantIbLb0EES1M_EEDaS1H_S1I_EUlS1H_E_NS1_11comp_targetILNS1_3genE5ELNS1_11target_archE942ELNS1_3gpuE9ELNS1_3repE0EEENS1_30default_config_static_selectorELNS0_4arch9wavefront6targetE0EEEvSV_.num_agpr, 0
	.set _ZN7rocprim17ROCPRIM_400000_NS6detail17trampoline_kernelINS0_13select_configILj256ELj13ELNS0_17block_load_methodE3ELS4_3ELS4_3ELNS0_20block_scan_algorithmE0ELj4294967295EEENS1_25partition_config_selectorILNS1_17partition_subalgoE3EjNS0_10empty_typeEbEEZZNS1_14partition_implILS8_3ELb0ES6_jNS0_17counting_iteratorIjlEEPS9_SE_NS0_5tupleIJPjSE_EEENSF_IJSE_SE_EEES9_SG_JZNS1_25segmented_radix_sort_implINS0_14default_configELb0EPKlPlSM_SN_N2at6native12_GLOBAL__N_18offset_tEEE10hipError_tPvRmT1_PNSt15iterator_traitsISV_E10value_typeET2_T3_PNSW_IS11_E10value_typeET4_jRbjT5_S17_jjP12ihipStream_tbEUljE_EEESS_ST_SU_S11_S15_S17_T6_T7_T9_mT8_S19_bDpT10_ENKUlT_T0_E_clISt17integral_constantIbLb0EES1M_EEDaS1H_S1I_EUlS1H_E_NS1_11comp_targetILNS1_3genE5ELNS1_11target_archE942ELNS1_3gpuE9ELNS1_3repE0EEENS1_30default_config_static_selectorELNS0_4arch9wavefront6targetE0EEEvSV_.numbered_sgpr, 0
	.set _ZN7rocprim17ROCPRIM_400000_NS6detail17trampoline_kernelINS0_13select_configILj256ELj13ELNS0_17block_load_methodE3ELS4_3ELS4_3ELNS0_20block_scan_algorithmE0ELj4294967295EEENS1_25partition_config_selectorILNS1_17partition_subalgoE3EjNS0_10empty_typeEbEEZZNS1_14partition_implILS8_3ELb0ES6_jNS0_17counting_iteratorIjlEEPS9_SE_NS0_5tupleIJPjSE_EEENSF_IJSE_SE_EEES9_SG_JZNS1_25segmented_radix_sort_implINS0_14default_configELb0EPKlPlSM_SN_N2at6native12_GLOBAL__N_18offset_tEEE10hipError_tPvRmT1_PNSt15iterator_traitsISV_E10value_typeET2_T3_PNSW_IS11_E10value_typeET4_jRbjT5_S17_jjP12ihipStream_tbEUljE_EEESS_ST_SU_S11_S15_S17_T6_T7_T9_mT8_S19_bDpT10_ENKUlT_T0_E_clISt17integral_constantIbLb0EES1M_EEDaS1H_S1I_EUlS1H_E_NS1_11comp_targetILNS1_3genE5ELNS1_11target_archE942ELNS1_3gpuE9ELNS1_3repE0EEENS1_30default_config_static_selectorELNS0_4arch9wavefront6targetE0EEEvSV_.num_named_barrier, 0
	.set _ZN7rocprim17ROCPRIM_400000_NS6detail17trampoline_kernelINS0_13select_configILj256ELj13ELNS0_17block_load_methodE3ELS4_3ELS4_3ELNS0_20block_scan_algorithmE0ELj4294967295EEENS1_25partition_config_selectorILNS1_17partition_subalgoE3EjNS0_10empty_typeEbEEZZNS1_14partition_implILS8_3ELb0ES6_jNS0_17counting_iteratorIjlEEPS9_SE_NS0_5tupleIJPjSE_EEENSF_IJSE_SE_EEES9_SG_JZNS1_25segmented_radix_sort_implINS0_14default_configELb0EPKlPlSM_SN_N2at6native12_GLOBAL__N_18offset_tEEE10hipError_tPvRmT1_PNSt15iterator_traitsISV_E10value_typeET2_T3_PNSW_IS11_E10value_typeET4_jRbjT5_S17_jjP12ihipStream_tbEUljE_EEESS_ST_SU_S11_S15_S17_T6_T7_T9_mT8_S19_bDpT10_ENKUlT_T0_E_clISt17integral_constantIbLb0EES1M_EEDaS1H_S1I_EUlS1H_E_NS1_11comp_targetILNS1_3genE5ELNS1_11target_archE942ELNS1_3gpuE9ELNS1_3repE0EEENS1_30default_config_static_selectorELNS0_4arch9wavefront6targetE0EEEvSV_.private_seg_size, 0
	.set _ZN7rocprim17ROCPRIM_400000_NS6detail17trampoline_kernelINS0_13select_configILj256ELj13ELNS0_17block_load_methodE3ELS4_3ELS4_3ELNS0_20block_scan_algorithmE0ELj4294967295EEENS1_25partition_config_selectorILNS1_17partition_subalgoE3EjNS0_10empty_typeEbEEZZNS1_14partition_implILS8_3ELb0ES6_jNS0_17counting_iteratorIjlEEPS9_SE_NS0_5tupleIJPjSE_EEENSF_IJSE_SE_EEES9_SG_JZNS1_25segmented_radix_sort_implINS0_14default_configELb0EPKlPlSM_SN_N2at6native12_GLOBAL__N_18offset_tEEE10hipError_tPvRmT1_PNSt15iterator_traitsISV_E10value_typeET2_T3_PNSW_IS11_E10value_typeET4_jRbjT5_S17_jjP12ihipStream_tbEUljE_EEESS_ST_SU_S11_S15_S17_T6_T7_T9_mT8_S19_bDpT10_ENKUlT_T0_E_clISt17integral_constantIbLb0EES1M_EEDaS1H_S1I_EUlS1H_E_NS1_11comp_targetILNS1_3genE5ELNS1_11target_archE942ELNS1_3gpuE9ELNS1_3repE0EEENS1_30default_config_static_selectorELNS0_4arch9wavefront6targetE0EEEvSV_.uses_vcc, 0
	.set _ZN7rocprim17ROCPRIM_400000_NS6detail17trampoline_kernelINS0_13select_configILj256ELj13ELNS0_17block_load_methodE3ELS4_3ELS4_3ELNS0_20block_scan_algorithmE0ELj4294967295EEENS1_25partition_config_selectorILNS1_17partition_subalgoE3EjNS0_10empty_typeEbEEZZNS1_14partition_implILS8_3ELb0ES6_jNS0_17counting_iteratorIjlEEPS9_SE_NS0_5tupleIJPjSE_EEENSF_IJSE_SE_EEES9_SG_JZNS1_25segmented_radix_sort_implINS0_14default_configELb0EPKlPlSM_SN_N2at6native12_GLOBAL__N_18offset_tEEE10hipError_tPvRmT1_PNSt15iterator_traitsISV_E10value_typeET2_T3_PNSW_IS11_E10value_typeET4_jRbjT5_S17_jjP12ihipStream_tbEUljE_EEESS_ST_SU_S11_S15_S17_T6_T7_T9_mT8_S19_bDpT10_ENKUlT_T0_E_clISt17integral_constantIbLb0EES1M_EEDaS1H_S1I_EUlS1H_E_NS1_11comp_targetILNS1_3genE5ELNS1_11target_archE942ELNS1_3gpuE9ELNS1_3repE0EEENS1_30default_config_static_selectorELNS0_4arch9wavefront6targetE0EEEvSV_.uses_flat_scratch, 0
	.set _ZN7rocprim17ROCPRIM_400000_NS6detail17trampoline_kernelINS0_13select_configILj256ELj13ELNS0_17block_load_methodE3ELS4_3ELS4_3ELNS0_20block_scan_algorithmE0ELj4294967295EEENS1_25partition_config_selectorILNS1_17partition_subalgoE3EjNS0_10empty_typeEbEEZZNS1_14partition_implILS8_3ELb0ES6_jNS0_17counting_iteratorIjlEEPS9_SE_NS0_5tupleIJPjSE_EEENSF_IJSE_SE_EEES9_SG_JZNS1_25segmented_radix_sort_implINS0_14default_configELb0EPKlPlSM_SN_N2at6native12_GLOBAL__N_18offset_tEEE10hipError_tPvRmT1_PNSt15iterator_traitsISV_E10value_typeET2_T3_PNSW_IS11_E10value_typeET4_jRbjT5_S17_jjP12ihipStream_tbEUljE_EEESS_ST_SU_S11_S15_S17_T6_T7_T9_mT8_S19_bDpT10_ENKUlT_T0_E_clISt17integral_constantIbLb0EES1M_EEDaS1H_S1I_EUlS1H_E_NS1_11comp_targetILNS1_3genE5ELNS1_11target_archE942ELNS1_3gpuE9ELNS1_3repE0EEENS1_30default_config_static_selectorELNS0_4arch9wavefront6targetE0EEEvSV_.has_dyn_sized_stack, 0
	.set _ZN7rocprim17ROCPRIM_400000_NS6detail17trampoline_kernelINS0_13select_configILj256ELj13ELNS0_17block_load_methodE3ELS4_3ELS4_3ELNS0_20block_scan_algorithmE0ELj4294967295EEENS1_25partition_config_selectorILNS1_17partition_subalgoE3EjNS0_10empty_typeEbEEZZNS1_14partition_implILS8_3ELb0ES6_jNS0_17counting_iteratorIjlEEPS9_SE_NS0_5tupleIJPjSE_EEENSF_IJSE_SE_EEES9_SG_JZNS1_25segmented_radix_sort_implINS0_14default_configELb0EPKlPlSM_SN_N2at6native12_GLOBAL__N_18offset_tEEE10hipError_tPvRmT1_PNSt15iterator_traitsISV_E10value_typeET2_T3_PNSW_IS11_E10value_typeET4_jRbjT5_S17_jjP12ihipStream_tbEUljE_EEESS_ST_SU_S11_S15_S17_T6_T7_T9_mT8_S19_bDpT10_ENKUlT_T0_E_clISt17integral_constantIbLb0EES1M_EEDaS1H_S1I_EUlS1H_E_NS1_11comp_targetILNS1_3genE5ELNS1_11target_archE942ELNS1_3gpuE9ELNS1_3repE0EEENS1_30default_config_static_selectorELNS0_4arch9wavefront6targetE0EEEvSV_.has_recursion, 0
	.set _ZN7rocprim17ROCPRIM_400000_NS6detail17trampoline_kernelINS0_13select_configILj256ELj13ELNS0_17block_load_methodE3ELS4_3ELS4_3ELNS0_20block_scan_algorithmE0ELj4294967295EEENS1_25partition_config_selectorILNS1_17partition_subalgoE3EjNS0_10empty_typeEbEEZZNS1_14partition_implILS8_3ELb0ES6_jNS0_17counting_iteratorIjlEEPS9_SE_NS0_5tupleIJPjSE_EEENSF_IJSE_SE_EEES9_SG_JZNS1_25segmented_radix_sort_implINS0_14default_configELb0EPKlPlSM_SN_N2at6native12_GLOBAL__N_18offset_tEEE10hipError_tPvRmT1_PNSt15iterator_traitsISV_E10value_typeET2_T3_PNSW_IS11_E10value_typeET4_jRbjT5_S17_jjP12ihipStream_tbEUljE_EEESS_ST_SU_S11_S15_S17_T6_T7_T9_mT8_S19_bDpT10_ENKUlT_T0_E_clISt17integral_constantIbLb0EES1M_EEDaS1H_S1I_EUlS1H_E_NS1_11comp_targetILNS1_3genE5ELNS1_11target_archE942ELNS1_3gpuE9ELNS1_3repE0EEENS1_30default_config_static_selectorELNS0_4arch9wavefront6targetE0EEEvSV_.has_indirect_call, 0
	.section	.AMDGPU.csdata,"",@progbits
; Kernel info:
; codeLenInByte = 0
; TotalNumSgprs: 0
; NumVgprs: 0
; ScratchSize: 0
; MemoryBound: 0
; FloatMode: 240
; IeeeMode: 1
; LDSByteSize: 0 bytes/workgroup (compile time only)
; SGPRBlocks: 0
; VGPRBlocks: 0
; NumSGPRsForWavesPerEU: 1
; NumVGPRsForWavesPerEU: 1
; Occupancy: 16
; WaveLimiterHint : 0
; COMPUTE_PGM_RSRC2:SCRATCH_EN: 0
; COMPUTE_PGM_RSRC2:USER_SGPR: 6
; COMPUTE_PGM_RSRC2:TRAP_HANDLER: 0
; COMPUTE_PGM_RSRC2:TGID_X_EN: 1
; COMPUTE_PGM_RSRC2:TGID_Y_EN: 0
; COMPUTE_PGM_RSRC2:TGID_Z_EN: 0
; COMPUTE_PGM_RSRC2:TIDIG_COMP_CNT: 0
	.section	.text._ZN7rocprim17ROCPRIM_400000_NS6detail17trampoline_kernelINS0_13select_configILj256ELj13ELNS0_17block_load_methodE3ELS4_3ELS4_3ELNS0_20block_scan_algorithmE0ELj4294967295EEENS1_25partition_config_selectorILNS1_17partition_subalgoE3EjNS0_10empty_typeEbEEZZNS1_14partition_implILS8_3ELb0ES6_jNS0_17counting_iteratorIjlEEPS9_SE_NS0_5tupleIJPjSE_EEENSF_IJSE_SE_EEES9_SG_JZNS1_25segmented_radix_sort_implINS0_14default_configELb0EPKlPlSM_SN_N2at6native12_GLOBAL__N_18offset_tEEE10hipError_tPvRmT1_PNSt15iterator_traitsISV_E10value_typeET2_T3_PNSW_IS11_E10value_typeET4_jRbjT5_S17_jjP12ihipStream_tbEUljE_EEESS_ST_SU_S11_S15_S17_T6_T7_T9_mT8_S19_bDpT10_ENKUlT_T0_E_clISt17integral_constantIbLb0EES1M_EEDaS1H_S1I_EUlS1H_E_NS1_11comp_targetILNS1_3genE4ELNS1_11target_archE910ELNS1_3gpuE8ELNS1_3repE0EEENS1_30default_config_static_selectorELNS0_4arch9wavefront6targetE0EEEvSV_,"axG",@progbits,_ZN7rocprim17ROCPRIM_400000_NS6detail17trampoline_kernelINS0_13select_configILj256ELj13ELNS0_17block_load_methodE3ELS4_3ELS4_3ELNS0_20block_scan_algorithmE0ELj4294967295EEENS1_25partition_config_selectorILNS1_17partition_subalgoE3EjNS0_10empty_typeEbEEZZNS1_14partition_implILS8_3ELb0ES6_jNS0_17counting_iteratorIjlEEPS9_SE_NS0_5tupleIJPjSE_EEENSF_IJSE_SE_EEES9_SG_JZNS1_25segmented_radix_sort_implINS0_14default_configELb0EPKlPlSM_SN_N2at6native12_GLOBAL__N_18offset_tEEE10hipError_tPvRmT1_PNSt15iterator_traitsISV_E10value_typeET2_T3_PNSW_IS11_E10value_typeET4_jRbjT5_S17_jjP12ihipStream_tbEUljE_EEESS_ST_SU_S11_S15_S17_T6_T7_T9_mT8_S19_bDpT10_ENKUlT_T0_E_clISt17integral_constantIbLb0EES1M_EEDaS1H_S1I_EUlS1H_E_NS1_11comp_targetILNS1_3genE4ELNS1_11target_archE910ELNS1_3gpuE8ELNS1_3repE0EEENS1_30default_config_static_selectorELNS0_4arch9wavefront6targetE0EEEvSV_,comdat
	.globl	_ZN7rocprim17ROCPRIM_400000_NS6detail17trampoline_kernelINS0_13select_configILj256ELj13ELNS0_17block_load_methodE3ELS4_3ELS4_3ELNS0_20block_scan_algorithmE0ELj4294967295EEENS1_25partition_config_selectorILNS1_17partition_subalgoE3EjNS0_10empty_typeEbEEZZNS1_14partition_implILS8_3ELb0ES6_jNS0_17counting_iteratorIjlEEPS9_SE_NS0_5tupleIJPjSE_EEENSF_IJSE_SE_EEES9_SG_JZNS1_25segmented_radix_sort_implINS0_14default_configELb0EPKlPlSM_SN_N2at6native12_GLOBAL__N_18offset_tEEE10hipError_tPvRmT1_PNSt15iterator_traitsISV_E10value_typeET2_T3_PNSW_IS11_E10value_typeET4_jRbjT5_S17_jjP12ihipStream_tbEUljE_EEESS_ST_SU_S11_S15_S17_T6_T7_T9_mT8_S19_bDpT10_ENKUlT_T0_E_clISt17integral_constantIbLb0EES1M_EEDaS1H_S1I_EUlS1H_E_NS1_11comp_targetILNS1_3genE4ELNS1_11target_archE910ELNS1_3gpuE8ELNS1_3repE0EEENS1_30default_config_static_selectorELNS0_4arch9wavefront6targetE0EEEvSV_ ; -- Begin function _ZN7rocprim17ROCPRIM_400000_NS6detail17trampoline_kernelINS0_13select_configILj256ELj13ELNS0_17block_load_methodE3ELS4_3ELS4_3ELNS0_20block_scan_algorithmE0ELj4294967295EEENS1_25partition_config_selectorILNS1_17partition_subalgoE3EjNS0_10empty_typeEbEEZZNS1_14partition_implILS8_3ELb0ES6_jNS0_17counting_iteratorIjlEEPS9_SE_NS0_5tupleIJPjSE_EEENSF_IJSE_SE_EEES9_SG_JZNS1_25segmented_radix_sort_implINS0_14default_configELb0EPKlPlSM_SN_N2at6native12_GLOBAL__N_18offset_tEEE10hipError_tPvRmT1_PNSt15iterator_traitsISV_E10value_typeET2_T3_PNSW_IS11_E10value_typeET4_jRbjT5_S17_jjP12ihipStream_tbEUljE_EEESS_ST_SU_S11_S15_S17_T6_T7_T9_mT8_S19_bDpT10_ENKUlT_T0_E_clISt17integral_constantIbLb0EES1M_EEDaS1H_S1I_EUlS1H_E_NS1_11comp_targetILNS1_3genE4ELNS1_11target_archE910ELNS1_3gpuE8ELNS1_3repE0EEENS1_30default_config_static_selectorELNS0_4arch9wavefront6targetE0EEEvSV_
	.p2align	8
	.type	_ZN7rocprim17ROCPRIM_400000_NS6detail17trampoline_kernelINS0_13select_configILj256ELj13ELNS0_17block_load_methodE3ELS4_3ELS4_3ELNS0_20block_scan_algorithmE0ELj4294967295EEENS1_25partition_config_selectorILNS1_17partition_subalgoE3EjNS0_10empty_typeEbEEZZNS1_14partition_implILS8_3ELb0ES6_jNS0_17counting_iteratorIjlEEPS9_SE_NS0_5tupleIJPjSE_EEENSF_IJSE_SE_EEES9_SG_JZNS1_25segmented_radix_sort_implINS0_14default_configELb0EPKlPlSM_SN_N2at6native12_GLOBAL__N_18offset_tEEE10hipError_tPvRmT1_PNSt15iterator_traitsISV_E10value_typeET2_T3_PNSW_IS11_E10value_typeET4_jRbjT5_S17_jjP12ihipStream_tbEUljE_EEESS_ST_SU_S11_S15_S17_T6_T7_T9_mT8_S19_bDpT10_ENKUlT_T0_E_clISt17integral_constantIbLb0EES1M_EEDaS1H_S1I_EUlS1H_E_NS1_11comp_targetILNS1_3genE4ELNS1_11target_archE910ELNS1_3gpuE8ELNS1_3repE0EEENS1_30default_config_static_selectorELNS0_4arch9wavefront6targetE0EEEvSV_,@function
_ZN7rocprim17ROCPRIM_400000_NS6detail17trampoline_kernelINS0_13select_configILj256ELj13ELNS0_17block_load_methodE3ELS4_3ELS4_3ELNS0_20block_scan_algorithmE0ELj4294967295EEENS1_25partition_config_selectorILNS1_17partition_subalgoE3EjNS0_10empty_typeEbEEZZNS1_14partition_implILS8_3ELb0ES6_jNS0_17counting_iteratorIjlEEPS9_SE_NS0_5tupleIJPjSE_EEENSF_IJSE_SE_EEES9_SG_JZNS1_25segmented_radix_sort_implINS0_14default_configELb0EPKlPlSM_SN_N2at6native12_GLOBAL__N_18offset_tEEE10hipError_tPvRmT1_PNSt15iterator_traitsISV_E10value_typeET2_T3_PNSW_IS11_E10value_typeET4_jRbjT5_S17_jjP12ihipStream_tbEUljE_EEESS_ST_SU_S11_S15_S17_T6_T7_T9_mT8_S19_bDpT10_ENKUlT_T0_E_clISt17integral_constantIbLb0EES1M_EEDaS1H_S1I_EUlS1H_E_NS1_11comp_targetILNS1_3genE4ELNS1_11target_archE910ELNS1_3gpuE8ELNS1_3repE0EEENS1_30default_config_static_selectorELNS0_4arch9wavefront6targetE0EEEvSV_: ; @_ZN7rocprim17ROCPRIM_400000_NS6detail17trampoline_kernelINS0_13select_configILj256ELj13ELNS0_17block_load_methodE3ELS4_3ELS4_3ELNS0_20block_scan_algorithmE0ELj4294967295EEENS1_25partition_config_selectorILNS1_17partition_subalgoE3EjNS0_10empty_typeEbEEZZNS1_14partition_implILS8_3ELb0ES6_jNS0_17counting_iteratorIjlEEPS9_SE_NS0_5tupleIJPjSE_EEENSF_IJSE_SE_EEES9_SG_JZNS1_25segmented_radix_sort_implINS0_14default_configELb0EPKlPlSM_SN_N2at6native12_GLOBAL__N_18offset_tEEE10hipError_tPvRmT1_PNSt15iterator_traitsISV_E10value_typeET2_T3_PNSW_IS11_E10value_typeET4_jRbjT5_S17_jjP12ihipStream_tbEUljE_EEESS_ST_SU_S11_S15_S17_T6_T7_T9_mT8_S19_bDpT10_ENKUlT_T0_E_clISt17integral_constantIbLb0EES1M_EEDaS1H_S1I_EUlS1H_E_NS1_11comp_targetILNS1_3genE4ELNS1_11target_archE910ELNS1_3gpuE8ELNS1_3repE0EEENS1_30default_config_static_selectorELNS0_4arch9wavefront6targetE0EEEvSV_
; %bb.0:
	.section	.rodata,"a",@progbits
	.p2align	6, 0x0
	.amdhsa_kernel _ZN7rocprim17ROCPRIM_400000_NS6detail17trampoline_kernelINS0_13select_configILj256ELj13ELNS0_17block_load_methodE3ELS4_3ELS4_3ELNS0_20block_scan_algorithmE0ELj4294967295EEENS1_25partition_config_selectorILNS1_17partition_subalgoE3EjNS0_10empty_typeEbEEZZNS1_14partition_implILS8_3ELb0ES6_jNS0_17counting_iteratorIjlEEPS9_SE_NS0_5tupleIJPjSE_EEENSF_IJSE_SE_EEES9_SG_JZNS1_25segmented_radix_sort_implINS0_14default_configELb0EPKlPlSM_SN_N2at6native12_GLOBAL__N_18offset_tEEE10hipError_tPvRmT1_PNSt15iterator_traitsISV_E10value_typeET2_T3_PNSW_IS11_E10value_typeET4_jRbjT5_S17_jjP12ihipStream_tbEUljE_EEESS_ST_SU_S11_S15_S17_T6_T7_T9_mT8_S19_bDpT10_ENKUlT_T0_E_clISt17integral_constantIbLb0EES1M_EEDaS1H_S1I_EUlS1H_E_NS1_11comp_targetILNS1_3genE4ELNS1_11target_archE910ELNS1_3gpuE8ELNS1_3repE0EEENS1_30default_config_static_selectorELNS0_4arch9wavefront6targetE0EEEvSV_
		.amdhsa_group_segment_fixed_size 0
		.amdhsa_private_segment_fixed_size 0
		.amdhsa_kernarg_size 144
		.amdhsa_user_sgpr_count 6
		.amdhsa_user_sgpr_private_segment_buffer 1
		.amdhsa_user_sgpr_dispatch_ptr 0
		.amdhsa_user_sgpr_queue_ptr 0
		.amdhsa_user_sgpr_kernarg_segment_ptr 1
		.amdhsa_user_sgpr_dispatch_id 0
		.amdhsa_user_sgpr_flat_scratch_init 0
		.amdhsa_user_sgpr_private_segment_size 0
		.amdhsa_wavefront_size32 1
		.amdhsa_uses_dynamic_stack 0
		.amdhsa_system_sgpr_private_segment_wavefront_offset 0
		.amdhsa_system_sgpr_workgroup_id_x 1
		.amdhsa_system_sgpr_workgroup_id_y 0
		.amdhsa_system_sgpr_workgroup_id_z 0
		.amdhsa_system_sgpr_workgroup_info 0
		.amdhsa_system_vgpr_workitem_id 0
		.amdhsa_next_free_vgpr 1
		.amdhsa_next_free_sgpr 1
		.amdhsa_reserve_vcc 0
		.amdhsa_reserve_flat_scratch 0
		.amdhsa_float_round_mode_32 0
		.amdhsa_float_round_mode_16_64 0
		.amdhsa_float_denorm_mode_32 3
		.amdhsa_float_denorm_mode_16_64 3
		.amdhsa_dx10_clamp 1
		.amdhsa_ieee_mode 1
		.amdhsa_fp16_overflow 0
		.amdhsa_workgroup_processor_mode 1
		.amdhsa_memory_ordered 1
		.amdhsa_forward_progress 1
		.amdhsa_shared_vgpr_count 0
		.amdhsa_exception_fp_ieee_invalid_op 0
		.amdhsa_exception_fp_denorm_src 0
		.amdhsa_exception_fp_ieee_div_zero 0
		.amdhsa_exception_fp_ieee_overflow 0
		.amdhsa_exception_fp_ieee_underflow 0
		.amdhsa_exception_fp_ieee_inexact 0
		.amdhsa_exception_int_div_zero 0
	.end_amdhsa_kernel
	.section	.text._ZN7rocprim17ROCPRIM_400000_NS6detail17trampoline_kernelINS0_13select_configILj256ELj13ELNS0_17block_load_methodE3ELS4_3ELS4_3ELNS0_20block_scan_algorithmE0ELj4294967295EEENS1_25partition_config_selectorILNS1_17partition_subalgoE3EjNS0_10empty_typeEbEEZZNS1_14partition_implILS8_3ELb0ES6_jNS0_17counting_iteratorIjlEEPS9_SE_NS0_5tupleIJPjSE_EEENSF_IJSE_SE_EEES9_SG_JZNS1_25segmented_radix_sort_implINS0_14default_configELb0EPKlPlSM_SN_N2at6native12_GLOBAL__N_18offset_tEEE10hipError_tPvRmT1_PNSt15iterator_traitsISV_E10value_typeET2_T3_PNSW_IS11_E10value_typeET4_jRbjT5_S17_jjP12ihipStream_tbEUljE_EEESS_ST_SU_S11_S15_S17_T6_T7_T9_mT8_S19_bDpT10_ENKUlT_T0_E_clISt17integral_constantIbLb0EES1M_EEDaS1H_S1I_EUlS1H_E_NS1_11comp_targetILNS1_3genE4ELNS1_11target_archE910ELNS1_3gpuE8ELNS1_3repE0EEENS1_30default_config_static_selectorELNS0_4arch9wavefront6targetE0EEEvSV_,"axG",@progbits,_ZN7rocprim17ROCPRIM_400000_NS6detail17trampoline_kernelINS0_13select_configILj256ELj13ELNS0_17block_load_methodE3ELS4_3ELS4_3ELNS0_20block_scan_algorithmE0ELj4294967295EEENS1_25partition_config_selectorILNS1_17partition_subalgoE3EjNS0_10empty_typeEbEEZZNS1_14partition_implILS8_3ELb0ES6_jNS0_17counting_iteratorIjlEEPS9_SE_NS0_5tupleIJPjSE_EEENSF_IJSE_SE_EEES9_SG_JZNS1_25segmented_radix_sort_implINS0_14default_configELb0EPKlPlSM_SN_N2at6native12_GLOBAL__N_18offset_tEEE10hipError_tPvRmT1_PNSt15iterator_traitsISV_E10value_typeET2_T3_PNSW_IS11_E10value_typeET4_jRbjT5_S17_jjP12ihipStream_tbEUljE_EEESS_ST_SU_S11_S15_S17_T6_T7_T9_mT8_S19_bDpT10_ENKUlT_T0_E_clISt17integral_constantIbLb0EES1M_EEDaS1H_S1I_EUlS1H_E_NS1_11comp_targetILNS1_3genE4ELNS1_11target_archE910ELNS1_3gpuE8ELNS1_3repE0EEENS1_30default_config_static_selectorELNS0_4arch9wavefront6targetE0EEEvSV_,comdat
.Lfunc_end771:
	.size	_ZN7rocprim17ROCPRIM_400000_NS6detail17trampoline_kernelINS0_13select_configILj256ELj13ELNS0_17block_load_methodE3ELS4_3ELS4_3ELNS0_20block_scan_algorithmE0ELj4294967295EEENS1_25partition_config_selectorILNS1_17partition_subalgoE3EjNS0_10empty_typeEbEEZZNS1_14partition_implILS8_3ELb0ES6_jNS0_17counting_iteratorIjlEEPS9_SE_NS0_5tupleIJPjSE_EEENSF_IJSE_SE_EEES9_SG_JZNS1_25segmented_radix_sort_implINS0_14default_configELb0EPKlPlSM_SN_N2at6native12_GLOBAL__N_18offset_tEEE10hipError_tPvRmT1_PNSt15iterator_traitsISV_E10value_typeET2_T3_PNSW_IS11_E10value_typeET4_jRbjT5_S17_jjP12ihipStream_tbEUljE_EEESS_ST_SU_S11_S15_S17_T6_T7_T9_mT8_S19_bDpT10_ENKUlT_T0_E_clISt17integral_constantIbLb0EES1M_EEDaS1H_S1I_EUlS1H_E_NS1_11comp_targetILNS1_3genE4ELNS1_11target_archE910ELNS1_3gpuE8ELNS1_3repE0EEENS1_30default_config_static_selectorELNS0_4arch9wavefront6targetE0EEEvSV_, .Lfunc_end771-_ZN7rocprim17ROCPRIM_400000_NS6detail17trampoline_kernelINS0_13select_configILj256ELj13ELNS0_17block_load_methodE3ELS4_3ELS4_3ELNS0_20block_scan_algorithmE0ELj4294967295EEENS1_25partition_config_selectorILNS1_17partition_subalgoE3EjNS0_10empty_typeEbEEZZNS1_14partition_implILS8_3ELb0ES6_jNS0_17counting_iteratorIjlEEPS9_SE_NS0_5tupleIJPjSE_EEENSF_IJSE_SE_EEES9_SG_JZNS1_25segmented_radix_sort_implINS0_14default_configELb0EPKlPlSM_SN_N2at6native12_GLOBAL__N_18offset_tEEE10hipError_tPvRmT1_PNSt15iterator_traitsISV_E10value_typeET2_T3_PNSW_IS11_E10value_typeET4_jRbjT5_S17_jjP12ihipStream_tbEUljE_EEESS_ST_SU_S11_S15_S17_T6_T7_T9_mT8_S19_bDpT10_ENKUlT_T0_E_clISt17integral_constantIbLb0EES1M_EEDaS1H_S1I_EUlS1H_E_NS1_11comp_targetILNS1_3genE4ELNS1_11target_archE910ELNS1_3gpuE8ELNS1_3repE0EEENS1_30default_config_static_selectorELNS0_4arch9wavefront6targetE0EEEvSV_
                                        ; -- End function
	.set _ZN7rocprim17ROCPRIM_400000_NS6detail17trampoline_kernelINS0_13select_configILj256ELj13ELNS0_17block_load_methodE3ELS4_3ELS4_3ELNS0_20block_scan_algorithmE0ELj4294967295EEENS1_25partition_config_selectorILNS1_17partition_subalgoE3EjNS0_10empty_typeEbEEZZNS1_14partition_implILS8_3ELb0ES6_jNS0_17counting_iteratorIjlEEPS9_SE_NS0_5tupleIJPjSE_EEENSF_IJSE_SE_EEES9_SG_JZNS1_25segmented_radix_sort_implINS0_14default_configELb0EPKlPlSM_SN_N2at6native12_GLOBAL__N_18offset_tEEE10hipError_tPvRmT1_PNSt15iterator_traitsISV_E10value_typeET2_T3_PNSW_IS11_E10value_typeET4_jRbjT5_S17_jjP12ihipStream_tbEUljE_EEESS_ST_SU_S11_S15_S17_T6_T7_T9_mT8_S19_bDpT10_ENKUlT_T0_E_clISt17integral_constantIbLb0EES1M_EEDaS1H_S1I_EUlS1H_E_NS1_11comp_targetILNS1_3genE4ELNS1_11target_archE910ELNS1_3gpuE8ELNS1_3repE0EEENS1_30default_config_static_selectorELNS0_4arch9wavefront6targetE0EEEvSV_.num_vgpr, 0
	.set _ZN7rocprim17ROCPRIM_400000_NS6detail17trampoline_kernelINS0_13select_configILj256ELj13ELNS0_17block_load_methodE3ELS4_3ELS4_3ELNS0_20block_scan_algorithmE0ELj4294967295EEENS1_25partition_config_selectorILNS1_17partition_subalgoE3EjNS0_10empty_typeEbEEZZNS1_14partition_implILS8_3ELb0ES6_jNS0_17counting_iteratorIjlEEPS9_SE_NS0_5tupleIJPjSE_EEENSF_IJSE_SE_EEES9_SG_JZNS1_25segmented_radix_sort_implINS0_14default_configELb0EPKlPlSM_SN_N2at6native12_GLOBAL__N_18offset_tEEE10hipError_tPvRmT1_PNSt15iterator_traitsISV_E10value_typeET2_T3_PNSW_IS11_E10value_typeET4_jRbjT5_S17_jjP12ihipStream_tbEUljE_EEESS_ST_SU_S11_S15_S17_T6_T7_T9_mT8_S19_bDpT10_ENKUlT_T0_E_clISt17integral_constantIbLb0EES1M_EEDaS1H_S1I_EUlS1H_E_NS1_11comp_targetILNS1_3genE4ELNS1_11target_archE910ELNS1_3gpuE8ELNS1_3repE0EEENS1_30default_config_static_selectorELNS0_4arch9wavefront6targetE0EEEvSV_.num_agpr, 0
	.set _ZN7rocprim17ROCPRIM_400000_NS6detail17trampoline_kernelINS0_13select_configILj256ELj13ELNS0_17block_load_methodE3ELS4_3ELS4_3ELNS0_20block_scan_algorithmE0ELj4294967295EEENS1_25partition_config_selectorILNS1_17partition_subalgoE3EjNS0_10empty_typeEbEEZZNS1_14partition_implILS8_3ELb0ES6_jNS0_17counting_iteratorIjlEEPS9_SE_NS0_5tupleIJPjSE_EEENSF_IJSE_SE_EEES9_SG_JZNS1_25segmented_radix_sort_implINS0_14default_configELb0EPKlPlSM_SN_N2at6native12_GLOBAL__N_18offset_tEEE10hipError_tPvRmT1_PNSt15iterator_traitsISV_E10value_typeET2_T3_PNSW_IS11_E10value_typeET4_jRbjT5_S17_jjP12ihipStream_tbEUljE_EEESS_ST_SU_S11_S15_S17_T6_T7_T9_mT8_S19_bDpT10_ENKUlT_T0_E_clISt17integral_constantIbLb0EES1M_EEDaS1H_S1I_EUlS1H_E_NS1_11comp_targetILNS1_3genE4ELNS1_11target_archE910ELNS1_3gpuE8ELNS1_3repE0EEENS1_30default_config_static_selectorELNS0_4arch9wavefront6targetE0EEEvSV_.numbered_sgpr, 0
	.set _ZN7rocprim17ROCPRIM_400000_NS6detail17trampoline_kernelINS0_13select_configILj256ELj13ELNS0_17block_load_methodE3ELS4_3ELS4_3ELNS0_20block_scan_algorithmE0ELj4294967295EEENS1_25partition_config_selectorILNS1_17partition_subalgoE3EjNS0_10empty_typeEbEEZZNS1_14partition_implILS8_3ELb0ES6_jNS0_17counting_iteratorIjlEEPS9_SE_NS0_5tupleIJPjSE_EEENSF_IJSE_SE_EEES9_SG_JZNS1_25segmented_radix_sort_implINS0_14default_configELb0EPKlPlSM_SN_N2at6native12_GLOBAL__N_18offset_tEEE10hipError_tPvRmT1_PNSt15iterator_traitsISV_E10value_typeET2_T3_PNSW_IS11_E10value_typeET4_jRbjT5_S17_jjP12ihipStream_tbEUljE_EEESS_ST_SU_S11_S15_S17_T6_T7_T9_mT8_S19_bDpT10_ENKUlT_T0_E_clISt17integral_constantIbLb0EES1M_EEDaS1H_S1I_EUlS1H_E_NS1_11comp_targetILNS1_3genE4ELNS1_11target_archE910ELNS1_3gpuE8ELNS1_3repE0EEENS1_30default_config_static_selectorELNS0_4arch9wavefront6targetE0EEEvSV_.num_named_barrier, 0
	.set _ZN7rocprim17ROCPRIM_400000_NS6detail17trampoline_kernelINS0_13select_configILj256ELj13ELNS0_17block_load_methodE3ELS4_3ELS4_3ELNS0_20block_scan_algorithmE0ELj4294967295EEENS1_25partition_config_selectorILNS1_17partition_subalgoE3EjNS0_10empty_typeEbEEZZNS1_14partition_implILS8_3ELb0ES6_jNS0_17counting_iteratorIjlEEPS9_SE_NS0_5tupleIJPjSE_EEENSF_IJSE_SE_EEES9_SG_JZNS1_25segmented_radix_sort_implINS0_14default_configELb0EPKlPlSM_SN_N2at6native12_GLOBAL__N_18offset_tEEE10hipError_tPvRmT1_PNSt15iterator_traitsISV_E10value_typeET2_T3_PNSW_IS11_E10value_typeET4_jRbjT5_S17_jjP12ihipStream_tbEUljE_EEESS_ST_SU_S11_S15_S17_T6_T7_T9_mT8_S19_bDpT10_ENKUlT_T0_E_clISt17integral_constantIbLb0EES1M_EEDaS1H_S1I_EUlS1H_E_NS1_11comp_targetILNS1_3genE4ELNS1_11target_archE910ELNS1_3gpuE8ELNS1_3repE0EEENS1_30default_config_static_selectorELNS0_4arch9wavefront6targetE0EEEvSV_.private_seg_size, 0
	.set _ZN7rocprim17ROCPRIM_400000_NS6detail17trampoline_kernelINS0_13select_configILj256ELj13ELNS0_17block_load_methodE3ELS4_3ELS4_3ELNS0_20block_scan_algorithmE0ELj4294967295EEENS1_25partition_config_selectorILNS1_17partition_subalgoE3EjNS0_10empty_typeEbEEZZNS1_14partition_implILS8_3ELb0ES6_jNS0_17counting_iteratorIjlEEPS9_SE_NS0_5tupleIJPjSE_EEENSF_IJSE_SE_EEES9_SG_JZNS1_25segmented_radix_sort_implINS0_14default_configELb0EPKlPlSM_SN_N2at6native12_GLOBAL__N_18offset_tEEE10hipError_tPvRmT1_PNSt15iterator_traitsISV_E10value_typeET2_T3_PNSW_IS11_E10value_typeET4_jRbjT5_S17_jjP12ihipStream_tbEUljE_EEESS_ST_SU_S11_S15_S17_T6_T7_T9_mT8_S19_bDpT10_ENKUlT_T0_E_clISt17integral_constantIbLb0EES1M_EEDaS1H_S1I_EUlS1H_E_NS1_11comp_targetILNS1_3genE4ELNS1_11target_archE910ELNS1_3gpuE8ELNS1_3repE0EEENS1_30default_config_static_selectorELNS0_4arch9wavefront6targetE0EEEvSV_.uses_vcc, 0
	.set _ZN7rocprim17ROCPRIM_400000_NS6detail17trampoline_kernelINS0_13select_configILj256ELj13ELNS0_17block_load_methodE3ELS4_3ELS4_3ELNS0_20block_scan_algorithmE0ELj4294967295EEENS1_25partition_config_selectorILNS1_17partition_subalgoE3EjNS0_10empty_typeEbEEZZNS1_14partition_implILS8_3ELb0ES6_jNS0_17counting_iteratorIjlEEPS9_SE_NS0_5tupleIJPjSE_EEENSF_IJSE_SE_EEES9_SG_JZNS1_25segmented_radix_sort_implINS0_14default_configELb0EPKlPlSM_SN_N2at6native12_GLOBAL__N_18offset_tEEE10hipError_tPvRmT1_PNSt15iterator_traitsISV_E10value_typeET2_T3_PNSW_IS11_E10value_typeET4_jRbjT5_S17_jjP12ihipStream_tbEUljE_EEESS_ST_SU_S11_S15_S17_T6_T7_T9_mT8_S19_bDpT10_ENKUlT_T0_E_clISt17integral_constantIbLb0EES1M_EEDaS1H_S1I_EUlS1H_E_NS1_11comp_targetILNS1_3genE4ELNS1_11target_archE910ELNS1_3gpuE8ELNS1_3repE0EEENS1_30default_config_static_selectorELNS0_4arch9wavefront6targetE0EEEvSV_.uses_flat_scratch, 0
	.set _ZN7rocprim17ROCPRIM_400000_NS6detail17trampoline_kernelINS0_13select_configILj256ELj13ELNS0_17block_load_methodE3ELS4_3ELS4_3ELNS0_20block_scan_algorithmE0ELj4294967295EEENS1_25partition_config_selectorILNS1_17partition_subalgoE3EjNS0_10empty_typeEbEEZZNS1_14partition_implILS8_3ELb0ES6_jNS0_17counting_iteratorIjlEEPS9_SE_NS0_5tupleIJPjSE_EEENSF_IJSE_SE_EEES9_SG_JZNS1_25segmented_radix_sort_implINS0_14default_configELb0EPKlPlSM_SN_N2at6native12_GLOBAL__N_18offset_tEEE10hipError_tPvRmT1_PNSt15iterator_traitsISV_E10value_typeET2_T3_PNSW_IS11_E10value_typeET4_jRbjT5_S17_jjP12ihipStream_tbEUljE_EEESS_ST_SU_S11_S15_S17_T6_T7_T9_mT8_S19_bDpT10_ENKUlT_T0_E_clISt17integral_constantIbLb0EES1M_EEDaS1H_S1I_EUlS1H_E_NS1_11comp_targetILNS1_3genE4ELNS1_11target_archE910ELNS1_3gpuE8ELNS1_3repE0EEENS1_30default_config_static_selectorELNS0_4arch9wavefront6targetE0EEEvSV_.has_dyn_sized_stack, 0
	.set _ZN7rocprim17ROCPRIM_400000_NS6detail17trampoline_kernelINS0_13select_configILj256ELj13ELNS0_17block_load_methodE3ELS4_3ELS4_3ELNS0_20block_scan_algorithmE0ELj4294967295EEENS1_25partition_config_selectorILNS1_17partition_subalgoE3EjNS0_10empty_typeEbEEZZNS1_14partition_implILS8_3ELb0ES6_jNS0_17counting_iteratorIjlEEPS9_SE_NS0_5tupleIJPjSE_EEENSF_IJSE_SE_EEES9_SG_JZNS1_25segmented_radix_sort_implINS0_14default_configELb0EPKlPlSM_SN_N2at6native12_GLOBAL__N_18offset_tEEE10hipError_tPvRmT1_PNSt15iterator_traitsISV_E10value_typeET2_T3_PNSW_IS11_E10value_typeET4_jRbjT5_S17_jjP12ihipStream_tbEUljE_EEESS_ST_SU_S11_S15_S17_T6_T7_T9_mT8_S19_bDpT10_ENKUlT_T0_E_clISt17integral_constantIbLb0EES1M_EEDaS1H_S1I_EUlS1H_E_NS1_11comp_targetILNS1_3genE4ELNS1_11target_archE910ELNS1_3gpuE8ELNS1_3repE0EEENS1_30default_config_static_selectorELNS0_4arch9wavefront6targetE0EEEvSV_.has_recursion, 0
	.set _ZN7rocprim17ROCPRIM_400000_NS6detail17trampoline_kernelINS0_13select_configILj256ELj13ELNS0_17block_load_methodE3ELS4_3ELS4_3ELNS0_20block_scan_algorithmE0ELj4294967295EEENS1_25partition_config_selectorILNS1_17partition_subalgoE3EjNS0_10empty_typeEbEEZZNS1_14partition_implILS8_3ELb0ES6_jNS0_17counting_iteratorIjlEEPS9_SE_NS0_5tupleIJPjSE_EEENSF_IJSE_SE_EEES9_SG_JZNS1_25segmented_radix_sort_implINS0_14default_configELb0EPKlPlSM_SN_N2at6native12_GLOBAL__N_18offset_tEEE10hipError_tPvRmT1_PNSt15iterator_traitsISV_E10value_typeET2_T3_PNSW_IS11_E10value_typeET4_jRbjT5_S17_jjP12ihipStream_tbEUljE_EEESS_ST_SU_S11_S15_S17_T6_T7_T9_mT8_S19_bDpT10_ENKUlT_T0_E_clISt17integral_constantIbLb0EES1M_EEDaS1H_S1I_EUlS1H_E_NS1_11comp_targetILNS1_3genE4ELNS1_11target_archE910ELNS1_3gpuE8ELNS1_3repE0EEENS1_30default_config_static_selectorELNS0_4arch9wavefront6targetE0EEEvSV_.has_indirect_call, 0
	.section	.AMDGPU.csdata,"",@progbits
; Kernel info:
; codeLenInByte = 0
; TotalNumSgprs: 0
; NumVgprs: 0
; ScratchSize: 0
; MemoryBound: 0
; FloatMode: 240
; IeeeMode: 1
; LDSByteSize: 0 bytes/workgroup (compile time only)
; SGPRBlocks: 0
; VGPRBlocks: 0
; NumSGPRsForWavesPerEU: 1
; NumVGPRsForWavesPerEU: 1
; Occupancy: 16
; WaveLimiterHint : 0
; COMPUTE_PGM_RSRC2:SCRATCH_EN: 0
; COMPUTE_PGM_RSRC2:USER_SGPR: 6
; COMPUTE_PGM_RSRC2:TRAP_HANDLER: 0
; COMPUTE_PGM_RSRC2:TGID_X_EN: 1
; COMPUTE_PGM_RSRC2:TGID_Y_EN: 0
; COMPUTE_PGM_RSRC2:TGID_Z_EN: 0
; COMPUTE_PGM_RSRC2:TIDIG_COMP_CNT: 0
	.section	.text._ZN7rocprim17ROCPRIM_400000_NS6detail17trampoline_kernelINS0_13select_configILj256ELj13ELNS0_17block_load_methodE3ELS4_3ELS4_3ELNS0_20block_scan_algorithmE0ELj4294967295EEENS1_25partition_config_selectorILNS1_17partition_subalgoE3EjNS0_10empty_typeEbEEZZNS1_14partition_implILS8_3ELb0ES6_jNS0_17counting_iteratorIjlEEPS9_SE_NS0_5tupleIJPjSE_EEENSF_IJSE_SE_EEES9_SG_JZNS1_25segmented_radix_sort_implINS0_14default_configELb0EPKlPlSM_SN_N2at6native12_GLOBAL__N_18offset_tEEE10hipError_tPvRmT1_PNSt15iterator_traitsISV_E10value_typeET2_T3_PNSW_IS11_E10value_typeET4_jRbjT5_S17_jjP12ihipStream_tbEUljE_EEESS_ST_SU_S11_S15_S17_T6_T7_T9_mT8_S19_bDpT10_ENKUlT_T0_E_clISt17integral_constantIbLb0EES1M_EEDaS1H_S1I_EUlS1H_E_NS1_11comp_targetILNS1_3genE3ELNS1_11target_archE908ELNS1_3gpuE7ELNS1_3repE0EEENS1_30default_config_static_selectorELNS0_4arch9wavefront6targetE0EEEvSV_,"axG",@progbits,_ZN7rocprim17ROCPRIM_400000_NS6detail17trampoline_kernelINS0_13select_configILj256ELj13ELNS0_17block_load_methodE3ELS4_3ELS4_3ELNS0_20block_scan_algorithmE0ELj4294967295EEENS1_25partition_config_selectorILNS1_17partition_subalgoE3EjNS0_10empty_typeEbEEZZNS1_14partition_implILS8_3ELb0ES6_jNS0_17counting_iteratorIjlEEPS9_SE_NS0_5tupleIJPjSE_EEENSF_IJSE_SE_EEES9_SG_JZNS1_25segmented_radix_sort_implINS0_14default_configELb0EPKlPlSM_SN_N2at6native12_GLOBAL__N_18offset_tEEE10hipError_tPvRmT1_PNSt15iterator_traitsISV_E10value_typeET2_T3_PNSW_IS11_E10value_typeET4_jRbjT5_S17_jjP12ihipStream_tbEUljE_EEESS_ST_SU_S11_S15_S17_T6_T7_T9_mT8_S19_bDpT10_ENKUlT_T0_E_clISt17integral_constantIbLb0EES1M_EEDaS1H_S1I_EUlS1H_E_NS1_11comp_targetILNS1_3genE3ELNS1_11target_archE908ELNS1_3gpuE7ELNS1_3repE0EEENS1_30default_config_static_selectorELNS0_4arch9wavefront6targetE0EEEvSV_,comdat
	.globl	_ZN7rocprim17ROCPRIM_400000_NS6detail17trampoline_kernelINS0_13select_configILj256ELj13ELNS0_17block_load_methodE3ELS4_3ELS4_3ELNS0_20block_scan_algorithmE0ELj4294967295EEENS1_25partition_config_selectorILNS1_17partition_subalgoE3EjNS0_10empty_typeEbEEZZNS1_14partition_implILS8_3ELb0ES6_jNS0_17counting_iteratorIjlEEPS9_SE_NS0_5tupleIJPjSE_EEENSF_IJSE_SE_EEES9_SG_JZNS1_25segmented_radix_sort_implINS0_14default_configELb0EPKlPlSM_SN_N2at6native12_GLOBAL__N_18offset_tEEE10hipError_tPvRmT1_PNSt15iterator_traitsISV_E10value_typeET2_T3_PNSW_IS11_E10value_typeET4_jRbjT5_S17_jjP12ihipStream_tbEUljE_EEESS_ST_SU_S11_S15_S17_T6_T7_T9_mT8_S19_bDpT10_ENKUlT_T0_E_clISt17integral_constantIbLb0EES1M_EEDaS1H_S1I_EUlS1H_E_NS1_11comp_targetILNS1_3genE3ELNS1_11target_archE908ELNS1_3gpuE7ELNS1_3repE0EEENS1_30default_config_static_selectorELNS0_4arch9wavefront6targetE0EEEvSV_ ; -- Begin function _ZN7rocprim17ROCPRIM_400000_NS6detail17trampoline_kernelINS0_13select_configILj256ELj13ELNS0_17block_load_methodE3ELS4_3ELS4_3ELNS0_20block_scan_algorithmE0ELj4294967295EEENS1_25partition_config_selectorILNS1_17partition_subalgoE3EjNS0_10empty_typeEbEEZZNS1_14partition_implILS8_3ELb0ES6_jNS0_17counting_iteratorIjlEEPS9_SE_NS0_5tupleIJPjSE_EEENSF_IJSE_SE_EEES9_SG_JZNS1_25segmented_radix_sort_implINS0_14default_configELb0EPKlPlSM_SN_N2at6native12_GLOBAL__N_18offset_tEEE10hipError_tPvRmT1_PNSt15iterator_traitsISV_E10value_typeET2_T3_PNSW_IS11_E10value_typeET4_jRbjT5_S17_jjP12ihipStream_tbEUljE_EEESS_ST_SU_S11_S15_S17_T6_T7_T9_mT8_S19_bDpT10_ENKUlT_T0_E_clISt17integral_constantIbLb0EES1M_EEDaS1H_S1I_EUlS1H_E_NS1_11comp_targetILNS1_3genE3ELNS1_11target_archE908ELNS1_3gpuE7ELNS1_3repE0EEENS1_30default_config_static_selectorELNS0_4arch9wavefront6targetE0EEEvSV_
	.p2align	8
	.type	_ZN7rocprim17ROCPRIM_400000_NS6detail17trampoline_kernelINS0_13select_configILj256ELj13ELNS0_17block_load_methodE3ELS4_3ELS4_3ELNS0_20block_scan_algorithmE0ELj4294967295EEENS1_25partition_config_selectorILNS1_17partition_subalgoE3EjNS0_10empty_typeEbEEZZNS1_14partition_implILS8_3ELb0ES6_jNS0_17counting_iteratorIjlEEPS9_SE_NS0_5tupleIJPjSE_EEENSF_IJSE_SE_EEES9_SG_JZNS1_25segmented_radix_sort_implINS0_14default_configELb0EPKlPlSM_SN_N2at6native12_GLOBAL__N_18offset_tEEE10hipError_tPvRmT1_PNSt15iterator_traitsISV_E10value_typeET2_T3_PNSW_IS11_E10value_typeET4_jRbjT5_S17_jjP12ihipStream_tbEUljE_EEESS_ST_SU_S11_S15_S17_T6_T7_T9_mT8_S19_bDpT10_ENKUlT_T0_E_clISt17integral_constantIbLb0EES1M_EEDaS1H_S1I_EUlS1H_E_NS1_11comp_targetILNS1_3genE3ELNS1_11target_archE908ELNS1_3gpuE7ELNS1_3repE0EEENS1_30default_config_static_selectorELNS0_4arch9wavefront6targetE0EEEvSV_,@function
_ZN7rocprim17ROCPRIM_400000_NS6detail17trampoline_kernelINS0_13select_configILj256ELj13ELNS0_17block_load_methodE3ELS4_3ELS4_3ELNS0_20block_scan_algorithmE0ELj4294967295EEENS1_25partition_config_selectorILNS1_17partition_subalgoE3EjNS0_10empty_typeEbEEZZNS1_14partition_implILS8_3ELb0ES6_jNS0_17counting_iteratorIjlEEPS9_SE_NS0_5tupleIJPjSE_EEENSF_IJSE_SE_EEES9_SG_JZNS1_25segmented_radix_sort_implINS0_14default_configELb0EPKlPlSM_SN_N2at6native12_GLOBAL__N_18offset_tEEE10hipError_tPvRmT1_PNSt15iterator_traitsISV_E10value_typeET2_T3_PNSW_IS11_E10value_typeET4_jRbjT5_S17_jjP12ihipStream_tbEUljE_EEESS_ST_SU_S11_S15_S17_T6_T7_T9_mT8_S19_bDpT10_ENKUlT_T0_E_clISt17integral_constantIbLb0EES1M_EEDaS1H_S1I_EUlS1H_E_NS1_11comp_targetILNS1_3genE3ELNS1_11target_archE908ELNS1_3gpuE7ELNS1_3repE0EEENS1_30default_config_static_selectorELNS0_4arch9wavefront6targetE0EEEvSV_: ; @_ZN7rocprim17ROCPRIM_400000_NS6detail17trampoline_kernelINS0_13select_configILj256ELj13ELNS0_17block_load_methodE3ELS4_3ELS4_3ELNS0_20block_scan_algorithmE0ELj4294967295EEENS1_25partition_config_selectorILNS1_17partition_subalgoE3EjNS0_10empty_typeEbEEZZNS1_14partition_implILS8_3ELb0ES6_jNS0_17counting_iteratorIjlEEPS9_SE_NS0_5tupleIJPjSE_EEENSF_IJSE_SE_EEES9_SG_JZNS1_25segmented_radix_sort_implINS0_14default_configELb0EPKlPlSM_SN_N2at6native12_GLOBAL__N_18offset_tEEE10hipError_tPvRmT1_PNSt15iterator_traitsISV_E10value_typeET2_T3_PNSW_IS11_E10value_typeET4_jRbjT5_S17_jjP12ihipStream_tbEUljE_EEESS_ST_SU_S11_S15_S17_T6_T7_T9_mT8_S19_bDpT10_ENKUlT_T0_E_clISt17integral_constantIbLb0EES1M_EEDaS1H_S1I_EUlS1H_E_NS1_11comp_targetILNS1_3genE3ELNS1_11target_archE908ELNS1_3gpuE7ELNS1_3repE0EEENS1_30default_config_static_selectorELNS0_4arch9wavefront6targetE0EEEvSV_
; %bb.0:
	.section	.rodata,"a",@progbits
	.p2align	6, 0x0
	.amdhsa_kernel _ZN7rocprim17ROCPRIM_400000_NS6detail17trampoline_kernelINS0_13select_configILj256ELj13ELNS0_17block_load_methodE3ELS4_3ELS4_3ELNS0_20block_scan_algorithmE0ELj4294967295EEENS1_25partition_config_selectorILNS1_17partition_subalgoE3EjNS0_10empty_typeEbEEZZNS1_14partition_implILS8_3ELb0ES6_jNS0_17counting_iteratorIjlEEPS9_SE_NS0_5tupleIJPjSE_EEENSF_IJSE_SE_EEES9_SG_JZNS1_25segmented_radix_sort_implINS0_14default_configELb0EPKlPlSM_SN_N2at6native12_GLOBAL__N_18offset_tEEE10hipError_tPvRmT1_PNSt15iterator_traitsISV_E10value_typeET2_T3_PNSW_IS11_E10value_typeET4_jRbjT5_S17_jjP12ihipStream_tbEUljE_EEESS_ST_SU_S11_S15_S17_T6_T7_T9_mT8_S19_bDpT10_ENKUlT_T0_E_clISt17integral_constantIbLb0EES1M_EEDaS1H_S1I_EUlS1H_E_NS1_11comp_targetILNS1_3genE3ELNS1_11target_archE908ELNS1_3gpuE7ELNS1_3repE0EEENS1_30default_config_static_selectorELNS0_4arch9wavefront6targetE0EEEvSV_
		.amdhsa_group_segment_fixed_size 0
		.amdhsa_private_segment_fixed_size 0
		.amdhsa_kernarg_size 144
		.amdhsa_user_sgpr_count 6
		.amdhsa_user_sgpr_private_segment_buffer 1
		.amdhsa_user_sgpr_dispatch_ptr 0
		.amdhsa_user_sgpr_queue_ptr 0
		.amdhsa_user_sgpr_kernarg_segment_ptr 1
		.amdhsa_user_sgpr_dispatch_id 0
		.amdhsa_user_sgpr_flat_scratch_init 0
		.amdhsa_user_sgpr_private_segment_size 0
		.amdhsa_wavefront_size32 1
		.amdhsa_uses_dynamic_stack 0
		.amdhsa_system_sgpr_private_segment_wavefront_offset 0
		.amdhsa_system_sgpr_workgroup_id_x 1
		.amdhsa_system_sgpr_workgroup_id_y 0
		.amdhsa_system_sgpr_workgroup_id_z 0
		.amdhsa_system_sgpr_workgroup_info 0
		.amdhsa_system_vgpr_workitem_id 0
		.amdhsa_next_free_vgpr 1
		.amdhsa_next_free_sgpr 1
		.amdhsa_reserve_vcc 0
		.amdhsa_reserve_flat_scratch 0
		.amdhsa_float_round_mode_32 0
		.amdhsa_float_round_mode_16_64 0
		.amdhsa_float_denorm_mode_32 3
		.amdhsa_float_denorm_mode_16_64 3
		.amdhsa_dx10_clamp 1
		.amdhsa_ieee_mode 1
		.amdhsa_fp16_overflow 0
		.amdhsa_workgroup_processor_mode 1
		.amdhsa_memory_ordered 1
		.amdhsa_forward_progress 1
		.amdhsa_shared_vgpr_count 0
		.amdhsa_exception_fp_ieee_invalid_op 0
		.amdhsa_exception_fp_denorm_src 0
		.amdhsa_exception_fp_ieee_div_zero 0
		.amdhsa_exception_fp_ieee_overflow 0
		.amdhsa_exception_fp_ieee_underflow 0
		.amdhsa_exception_fp_ieee_inexact 0
		.amdhsa_exception_int_div_zero 0
	.end_amdhsa_kernel
	.section	.text._ZN7rocprim17ROCPRIM_400000_NS6detail17trampoline_kernelINS0_13select_configILj256ELj13ELNS0_17block_load_methodE3ELS4_3ELS4_3ELNS0_20block_scan_algorithmE0ELj4294967295EEENS1_25partition_config_selectorILNS1_17partition_subalgoE3EjNS0_10empty_typeEbEEZZNS1_14partition_implILS8_3ELb0ES6_jNS0_17counting_iteratorIjlEEPS9_SE_NS0_5tupleIJPjSE_EEENSF_IJSE_SE_EEES9_SG_JZNS1_25segmented_radix_sort_implINS0_14default_configELb0EPKlPlSM_SN_N2at6native12_GLOBAL__N_18offset_tEEE10hipError_tPvRmT1_PNSt15iterator_traitsISV_E10value_typeET2_T3_PNSW_IS11_E10value_typeET4_jRbjT5_S17_jjP12ihipStream_tbEUljE_EEESS_ST_SU_S11_S15_S17_T6_T7_T9_mT8_S19_bDpT10_ENKUlT_T0_E_clISt17integral_constantIbLb0EES1M_EEDaS1H_S1I_EUlS1H_E_NS1_11comp_targetILNS1_3genE3ELNS1_11target_archE908ELNS1_3gpuE7ELNS1_3repE0EEENS1_30default_config_static_selectorELNS0_4arch9wavefront6targetE0EEEvSV_,"axG",@progbits,_ZN7rocprim17ROCPRIM_400000_NS6detail17trampoline_kernelINS0_13select_configILj256ELj13ELNS0_17block_load_methodE3ELS4_3ELS4_3ELNS0_20block_scan_algorithmE0ELj4294967295EEENS1_25partition_config_selectorILNS1_17partition_subalgoE3EjNS0_10empty_typeEbEEZZNS1_14partition_implILS8_3ELb0ES6_jNS0_17counting_iteratorIjlEEPS9_SE_NS0_5tupleIJPjSE_EEENSF_IJSE_SE_EEES9_SG_JZNS1_25segmented_radix_sort_implINS0_14default_configELb0EPKlPlSM_SN_N2at6native12_GLOBAL__N_18offset_tEEE10hipError_tPvRmT1_PNSt15iterator_traitsISV_E10value_typeET2_T3_PNSW_IS11_E10value_typeET4_jRbjT5_S17_jjP12ihipStream_tbEUljE_EEESS_ST_SU_S11_S15_S17_T6_T7_T9_mT8_S19_bDpT10_ENKUlT_T0_E_clISt17integral_constantIbLb0EES1M_EEDaS1H_S1I_EUlS1H_E_NS1_11comp_targetILNS1_3genE3ELNS1_11target_archE908ELNS1_3gpuE7ELNS1_3repE0EEENS1_30default_config_static_selectorELNS0_4arch9wavefront6targetE0EEEvSV_,comdat
.Lfunc_end772:
	.size	_ZN7rocprim17ROCPRIM_400000_NS6detail17trampoline_kernelINS0_13select_configILj256ELj13ELNS0_17block_load_methodE3ELS4_3ELS4_3ELNS0_20block_scan_algorithmE0ELj4294967295EEENS1_25partition_config_selectorILNS1_17partition_subalgoE3EjNS0_10empty_typeEbEEZZNS1_14partition_implILS8_3ELb0ES6_jNS0_17counting_iteratorIjlEEPS9_SE_NS0_5tupleIJPjSE_EEENSF_IJSE_SE_EEES9_SG_JZNS1_25segmented_radix_sort_implINS0_14default_configELb0EPKlPlSM_SN_N2at6native12_GLOBAL__N_18offset_tEEE10hipError_tPvRmT1_PNSt15iterator_traitsISV_E10value_typeET2_T3_PNSW_IS11_E10value_typeET4_jRbjT5_S17_jjP12ihipStream_tbEUljE_EEESS_ST_SU_S11_S15_S17_T6_T7_T9_mT8_S19_bDpT10_ENKUlT_T0_E_clISt17integral_constantIbLb0EES1M_EEDaS1H_S1I_EUlS1H_E_NS1_11comp_targetILNS1_3genE3ELNS1_11target_archE908ELNS1_3gpuE7ELNS1_3repE0EEENS1_30default_config_static_selectorELNS0_4arch9wavefront6targetE0EEEvSV_, .Lfunc_end772-_ZN7rocprim17ROCPRIM_400000_NS6detail17trampoline_kernelINS0_13select_configILj256ELj13ELNS0_17block_load_methodE3ELS4_3ELS4_3ELNS0_20block_scan_algorithmE0ELj4294967295EEENS1_25partition_config_selectorILNS1_17partition_subalgoE3EjNS0_10empty_typeEbEEZZNS1_14partition_implILS8_3ELb0ES6_jNS0_17counting_iteratorIjlEEPS9_SE_NS0_5tupleIJPjSE_EEENSF_IJSE_SE_EEES9_SG_JZNS1_25segmented_radix_sort_implINS0_14default_configELb0EPKlPlSM_SN_N2at6native12_GLOBAL__N_18offset_tEEE10hipError_tPvRmT1_PNSt15iterator_traitsISV_E10value_typeET2_T3_PNSW_IS11_E10value_typeET4_jRbjT5_S17_jjP12ihipStream_tbEUljE_EEESS_ST_SU_S11_S15_S17_T6_T7_T9_mT8_S19_bDpT10_ENKUlT_T0_E_clISt17integral_constantIbLb0EES1M_EEDaS1H_S1I_EUlS1H_E_NS1_11comp_targetILNS1_3genE3ELNS1_11target_archE908ELNS1_3gpuE7ELNS1_3repE0EEENS1_30default_config_static_selectorELNS0_4arch9wavefront6targetE0EEEvSV_
                                        ; -- End function
	.set _ZN7rocprim17ROCPRIM_400000_NS6detail17trampoline_kernelINS0_13select_configILj256ELj13ELNS0_17block_load_methodE3ELS4_3ELS4_3ELNS0_20block_scan_algorithmE0ELj4294967295EEENS1_25partition_config_selectorILNS1_17partition_subalgoE3EjNS0_10empty_typeEbEEZZNS1_14partition_implILS8_3ELb0ES6_jNS0_17counting_iteratorIjlEEPS9_SE_NS0_5tupleIJPjSE_EEENSF_IJSE_SE_EEES9_SG_JZNS1_25segmented_radix_sort_implINS0_14default_configELb0EPKlPlSM_SN_N2at6native12_GLOBAL__N_18offset_tEEE10hipError_tPvRmT1_PNSt15iterator_traitsISV_E10value_typeET2_T3_PNSW_IS11_E10value_typeET4_jRbjT5_S17_jjP12ihipStream_tbEUljE_EEESS_ST_SU_S11_S15_S17_T6_T7_T9_mT8_S19_bDpT10_ENKUlT_T0_E_clISt17integral_constantIbLb0EES1M_EEDaS1H_S1I_EUlS1H_E_NS1_11comp_targetILNS1_3genE3ELNS1_11target_archE908ELNS1_3gpuE7ELNS1_3repE0EEENS1_30default_config_static_selectorELNS0_4arch9wavefront6targetE0EEEvSV_.num_vgpr, 0
	.set _ZN7rocprim17ROCPRIM_400000_NS6detail17trampoline_kernelINS0_13select_configILj256ELj13ELNS0_17block_load_methodE3ELS4_3ELS4_3ELNS0_20block_scan_algorithmE0ELj4294967295EEENS1_25partition_config_selectorILNS1_17partition_subalgoE3EjNS0_10empty_typeEbEEZZNS1_14partition_implILS8_3ELb0ES6_jNS0_17counting_iteratorIjlEEPS9_SE_NS0_5tupleIJPjSE_EEENSF_IJSE_SE_EEES9_SG_JZNS1_25segmented_radix_sort_implINS0_14default_configELb0EPKlPlSM_SN_N2at6native12_GLOBAL__N_18offset_tEEE10hipError_tPvRmT1_PNSt15iterator_traitsISV_E10value_typeET2_T3_PNSW_IS11_E10value_typeET4_jRbjT5_S17_jjP12ihipStream_tbEUljE_EEESS_ST_SU_S11_S15_S17_T6_T7_T9_mT8_S19_bDpT10_ENKUlT_T0_E_clISt17integral_constantIbLb0EES1M_EEDaS1H_S1I_EUlS1H_E_NS1_11comp_targetILNS1_3genE3ELNS1_11target_archE908ELNS1_3gpuE7ELNS1_3repE0EEENS1_30default_config_static_selectorELNS0_4arch9wavefront6targetE0EEEvSV_.num_agpr, 0
	.set _ZN7rocprim17ROCPRIM_400000_NS6detail17trampoline_kernelINS0_13select_configILj256ELj13ELNS0_17block_load_methodE3ELS4_3ELS4_3ELNS0_20block_scan_algorithmE0ELj4294967295EEENS1_25partition_config_selectorILNS1_17partition_subalgoE3EjNS0_10empty_typeEbEEZZNS1_14partition_implILS8_3ELb0ES6_jNS0_17counting_iteratorIjlEEPS9_SE_NS0_5tupleIJPjSE_EEENSF_IJSE_SE_EEES9_SG_JZNS1_25segmented_radix_sort_implINS0_14default_configELb0EPKlPlSM_SN_N2at6native12_GLOBAL__N_18offset_tEEE10hipError_tPvRmT1_PNSt15iterator_traitsISV_E10value_typeET2_T3_PNSW_IS11_E10value_typeET4_jRbjT5_S17_jjP12ihipStream_tbEUljE_EEESS_ST_SU_S11_S15_S17_T6_T7_T9_mT8_S19_bDpT10_ENKUlT_T0_E_clISt17integral_constantIbLb0EES1M_EEDaS1H_S1I_EUlS1H_E_NS1_11comp_targetILNS1_3genE3ELNS1_11target_archE908ELNS1_3gpuE7ELNS1_3repE0EEENS1_30default_config_static_selectorELNS0_4arch9wavefront6targetE0EEEvSV_.numbered_sgpr, 0
	.set _ZN7rocprim17ROCPRIM_400000_NS6detail17trampoline_kernelINS0_13select_configILj256ELj13ELNS0_17block_load_methodE3ELS4_3ELS4_3ELNS0_20block_scan_algorithmE0ELj4294967295EEENS1_25partition_config_selectorILNS1_17partition_subalgoE3EjNS0_10empty_typeEbEEZZNS1_14partition_implILS8_3ELb0ES6_jNS0_17counting_iteratorIjlEEPS9_SE_NS0_5tupleIJPjSE_EEENSF_IJSE_SE_EEES9_SG_JZNS1_25segmented_radix_sort_implINS0_14default_configELb0EPKlPlSM_SN_N2at6native12_GLOBAL__N_18offset_tEEE10hipError_tPvRmT1_PNSt15iterator_traitsISV_E10value_typeET2_T3_PNSW_IS11_E10value_typeET4_jRbjT5_S17_jjP12ihipStream_tbEUljE_EEESS_ST_SU_S11_S15_S17_T6_T7_T9_mT8_S19_bDpT10_ENKUlT_T0_E_clISt17integral_constantIbLb0EES1M_EEDaS1H_S1I_EUlS1H_E_NS1_11comp_targetILNS1_3genE3ELNS1_11target_archE908ELNS1_3gpuE7ELNS1_3repE0EEENS1_30default_config_static_selectorELNS0_4arch9wavefront6targetE0EEEvSV_.num_named_barrier, 0
	.set _ZN7rocprim17ROCPRIM_400000_NS6detail17trampoline_kernelINS0_13select_configILj256ELj13ELNS0_17block_load_methodE3ELS4_3ELS4_3ELNS0_20block_scan_algorithmE0ELj4294967295EEENS1_25partition_config_selectorILNS1_17partition_subalgoE3EjNS0_10empty_typeEbEEZZNS1_14partition_implILS8_3ELb0ES6_jNS0_17counting_iteratorIjlEEPS9_SE_NS0_5tupleIJPjSE_EEENSF_IJSE_SE_EEES9_SG_JZNS1_25segmented_radix_sort_implINS0_14default_configELb0EPKlPlSM_SN_N2at6native12_GLOBAL__N_18offset_tEEE10hipError_tPvRmT1_PNSt15iterator_traitsISV_E10value_typeET2_T3_PNSW_IS11_E10value_typeET4_jRbjT5_S17_jjP12ihipStream_tbEUljE_EEESS_ST_SU_S11_S15_S17_T6_T7_T9_mT8_S19_bDpT10_ENKUlT_T0_E_clISt17integral_constantIbLb0EES1M_EEDaS1H_S1I_EUlS1H_E_NS1_11comp_targetILNS1_3genE3ELNS1_11target_archE908ELNS1_3gpuE7ELNS1_3repE0EEENS1_30default_config_static_selectorELNS0_4arch9wavefront6targetE0EEEvSV_.private_seg_size, 0
	.set _ZN7rocprim17ROCPRIM_400000_NS6detail17trampoline_kernelINS0_13select_configILj256ELj13ELNS0_17block_load_methodE3ELS4_3ELS4_3ELNS0_20block_scan_algorithmE0ELj4294967295EEENS1_25partition_config_selectorILNS1_17partition_subalgoE3EjNS0_10empty_typeEbEEZZNS1_14partition_implILS8_3ELb0ES6_jNS0_17counting_iteratorIjlEEPS9_SE_NS0_5tupleIJPjSE_EEENSF_IJSE_SE_EEES9_SG_JZNS1_25segmented_radix_sort_implINS0_14default_configELb0EPKlPlSM_SN_N2at6native12_GLOBAL__N_18offset_tEEE10hipError_tPvRmT1_PNSt15iterator_traitsISV_E10value_typeET2_T3_PNSW_IS11_E10value_typeET4_jRbjT5_S17_jjP12ihipStream_tbEUljE_EEESS_ST_SU_S11_S15_S17_T6_T7_T9_mT8_S19_bDpT10_ENKUlT_T0_E_clISt17integral_constantIbLb0EES1M_EEDaS1H_S1I_EUlS1H_E_NS1_11comp_targetILNS1_3genE3ELNS1_11target_archE908ELNS1_3gpuE7ELNS1_3repE0EEENS1_30default_config_static_selectorELNS0_4arch9wavefront6targetE0EEEvSV_.uses_vcc, 0
	.set _ZN7rocprim17ROCPRIM_400000_NS6detail17trampoline_kernelINS0_13select_configILj256ELj13ELNS0_17block_load_methodE3ELS4_3ELS4_3ELNS0_20block_scan_algorithmE0ELj4294967295EEENS1_25partition_config_selectorILNS1_17partition_subalgoE3EjNS0_10empty_typeEbEEZZNS1_14partition_implILS8_3ELb0ES6_jNS0_17counting_iteratorIjlEEPS9_SE_NS0_5tupleIJPjSE_EEENSF_IJSE_SE_EEES9_SG_JZNS1_25segmented_radix_sort_implINS0_14default_configELb0EPKlPlSM_SN_N2at6native12_GLOBAL__N_18offset_tEEE10hipError_tPvRmT1_PNSt15iterator_traitsISV_E10value_typeET2_T3_PNSW_IS11_E10value_typeET4_jRbjT5_S17_jjP12ihipStream_tbEUljE_EEESS_ST_SU_S11_S15_S17_T6_T7_T9_mT8_S19_bDpT10_ENKUlT_T0_E_clISt17integral_constantIbLb0EES1M_EEDaS1H_S1I_EUlS1H_E_NS1_11comp_targetILNS1_3genE3ELNS1_11target_archE908ELNS1_3gpuE7ELNS1_3repE0EEENS1_30default_config_static_selectorELNS0_4arch9wavefront6targetE0EEEvSV_.uses_flat_scratch, 0
	.set _ZN7rocprim17ROCPRIM_400000_NS6detail17trampoline_kernelINS0_13select_configILj256ELj13ELNS0_17block_load_methodE3ELS4_3ELS4_3ELNS0_20block_scan_algorithmE0ELj4294967295EEENS1_25partition_config_selectorILNS1_17partition_subalgoE3EjNS0_10empty_typeEbEEZZNS1_14partition_implILS8_3ELb0ES6_jNS0_17counting_iteratorIjlEEPS9_SE_NS0_5tupleIJPjSE_EEENSF_IJSE_SE_EEES9_SG_JZNS1_25segmented_radix_sort_implINS0_14default_configELb0EPKlPlSM_SN_N2at6native12_GLOBAL__N_18offset_tEEE10hipError_tPvRmT1_PNSt15iterator_traitsISV_E10value_typeET2_T3_PNSW_IS11_E10value_typeET4_jRbjT5_S17_jjP12ihipStream_tbEUljE_EEESS_ST_SU_S11_S15_S17_T6_T7_T9_mT8_S19_bDpT10_ENKUlT_T0_E_clISt17integral_constantIbLb0EES1M_EEDaS1H_S1I_EUlS1H_E_NS1_11comp_targetILNS1_3genE3ELNS1_11target_archE908ELNS1_3gpuE7ELNS1_3repE0EEENS1_30default_config_static_selectorELNS0_4arch9wavefront6targetE0EEEvSV_.has_dyn_sized_stack, 0
	.set _ZN7rocprim17ROCPRIM_400000_NS6detail17trampoline_kernelINS0_13select_configILj256ELj13ELNS0_17block_load_methodE3ELS4_3ELS4_3ELNS0_20block_scan_algorithmE0ELj4294967295EEENS1_25partition_config_selectorILNS1_17partition_subalgoE3EjNS0_10empty_typeEbEEZZNS1_14partition_implILS8_3ELb0ES6_jNS0_17counting_iteratorIjlEEPS9_SE_NS0_5tupleIJPjSE_EEENSF_IJSE_SE_EEES9_SG_JZNS1_25segmented_radix_sort_implINS0_14default_configELb0EPKlPlSM_SN_N2at6native12_GLOBAL__N_18offset_tEEE10hipError_tPvRmT1_PNSt15iterator_traitsISV_E10value_typeET2_T3_PNSW_IS11_E10value_typeET4_jRbjT5_S17_jjP12ihipStream_tbEUljE_EEESS_ST_SU_S11_S15_S17_T6_T7_T9_mT8_S19_bDpT10_ENKUlT_T0_E_clISt17integral_constantIbLb0EES1M_EEDaS1H_S1I_EUlS1H_E_NS1_11comp_targetILNS1_3genE3ELNS1_11target_archE908ELNS1_3gpuE7ELNS1_3repE0EEENS1_30default_config_static_selectorELNS0_4arch9wavefront6targetE0EEEvSV_.has_recursion, 0
	.set _ZN7rocprim17ROCPRIM_400000_NS6detail17trampoline_kernelINS0_13select_configILj256ELj13ELNS0_17block_load_methodE3ELS4_3ELS4_3ELNS0_20block_scan_algorithmE0ELj4294967295EEENS1_25partition_config_selectorILNS1_17partition_subalgoE3EjNS0_10empty_typeEbEEZZNS1_14partition_implILS8_3ELb0ES6_jNS0_17counting_iteratorIjlEEPS9_SE_NS0_5tupleIJPjSE_EEENSF_IJSE_SE_EEES9_SG_JZNS1_25segmented_radix_sort_implINS0_14default_configELb0EPKlPlSM_SN_N2at6native12_GLOBAL__N_18offset_tEEE10hipError_tPvRmT1_PNSt15iterator_traitsISV_E10value_typeET2_T3_PNSW_IS11_E10value_typeET4_jRbjT5_S17_jjP12ihipStream_tbEUljE_EEESS_ST_SU_S11_S15_S17_T6_T7_T9_mT8_S19_bDpT10_ENKUlT_T0_E_clISt17integral_constantIbLb0EES1M_EEDaS1H_S1I_EUlS1H_E_NS1_11comp_targetILNS1_3genE3ELNS1_11target_archE908ELNS1_3gpuE7ELNS1_3repE0EEENS1_30default_config_static_selectorELNS0_4arch9wavefront6targetE0EEEvSV_.has_indirect_call, 0
	.section	.AMDGPU.csdata,"",@progbits
; Kernel info:
; codeLenInByte = 0
; TotalNumSgprs: 0
; NumVgprs: 0
; ScratchSize: 0
; MemoryBound: 0
; FloatMode: 240
; IeeeMode: 1
; LDSByteSize: 0 bytes/workgroup (compile time only)
; SGPRBlocks: 0
; VGPRBlocks: 0
; NumSGPRsForWavesPerEU: 1
; NumVGPRsForWavesPerEU: 1
; Occupancy: 16
; WaveLimiterHint : 0
; COMPUTE_PGM_RSRC2:SCRATCH_EN: 0
; COMPUTE_PGM_RSRC2:USER_SGPR: 6
; COMPUTE_PGM_RSRC2:TRAP_HANDLER: 0
; COMPUTE_PGM_RSRC2:TGID_X_EN: 1
; COMPUTE_PGM_RSRC2:TGID_Y_EN: 0
; COMPUTE_PGM_RSRC2:TGID_Z_EN: 0
; COMPUTE_PGM_RSRC2:TIDIG_COMP_CNT: 0
	.section	.text._ZN7rocprim17ROCPRIM_400000_NS6detail17trampoline_kernelINS0_13select_configILj256ELj13ELNS0_17block_load_methodE3ELS4_3ELS4_3ELNS0_20block_scan_algorithmE0ELj4294967295EEENS1_25partition_config_selectorILNS1_17partition_subalgoE3EjNS0_10empty_typeEbEEZZNS1_14partition_implILS8_3ELb0ES6_jNS0_17counting_iteratorIjlEEPS9_SE_NS0_5tupleIJPjSE_EEENSF_IJSE_SE_EEES9_SG_JZNS1_25segmented_radix_sort_implINS0_14default_configELb0EPKlPlSM_SN_N2at6native12_GLOBAL__N_18offset_tEEE10hipError_tPvRmT1_PNSt15iterator_traitsISV_E10value_typeET2_T3_PNSW_IS11_E10value_typeET4_jRbjT5_S17_jjP12ihipStream_tbEUljE_EEESS_ST_SU_S11_S15_S17_T6_T7_T9_mT8_S19_bDpT10_ENKUlT_T0_E_clISt17integral_constantIbLb0EES1M_EEDaS1H_S1I_EUlS1H_E_NS1_11comp_targetILNS1_3genE2ELNS1_11target_archE906ELNS1_3gpuE6ELNS1_3repE0EEENS1_30default_config_static_selectorELNS0_4arch9wavefront6targetE0EEEvSV_,"axG",@progbits,_ZN7rocprim17ROCPRIM_400000_NS6detail17trampoline_kernelINS0_13select_configILj256ELj13ELNS0_17block_load_methodE3ELS4_3ELS4_3ELNS0_20block_scan_algorithmE0ELj4294967295EEENS1_25partition_config_selectorILNS1_17partition_subalgoE3EjNS0_10empty_typeEbEEZZNS1_14partition_implILS8_3ELb0ES6_jNS0_17counting_iteratorIjlEEPS9_SE_NS0_5tupleIJPjSE_EEENSF_IJSE_SE_EEES9_SG_JZNS1_25segmented_radix_sort_implINS0_14default_configELb0EPKlPlSM_SN_N2at6native12_GLOBAL__N_18offset_tEEE10hipError_tPvRmT1_PNSt15iterator_traitsISV_E10value_typeET2_T3_PNSW_IS11_E10value_typeET4_jRbjT5_S17_jjP12ihipStream_tbEUljE_EEESS_ST_SU_S11_S15_S17_T6_T7_T9_mT8_S19_bDpT10_ENKUlT_T0_E_clISt17integral_constantIbLb0EES1M_EEDaS1H_S1I_EUlS1H_E_NS1_11comp_targetILNS1_3genE2ELNS1_11target_archE906ELNS1_3gpuE6ELNS1_3repE0EEENS1_30default_config_static_selectorELNS0_4arch9wavefront6targetE0EEEvSV_,comdat
	.globl	_ZN7rocprim17ROCPRIM_400000_NS6detail17trampoline_kernelINS0_13select_configILj256ELj13ELNS0_17block_load_methodE3ELS4_3ELS4_3ELNS0_20block_scan_algorithmE0ELj4294967295EEENS1_25partition_config_selectorILNS1_17partition_subalgoE3EjNS0_10empty_typeEbEEZZNS1_14partition_implILS8_3ELb0ES6_jNS0_17counting_iteratorIjlEEPS9_SE_NS0_5tupleIJPjSE_EEENSF_IJSE_SE_EEES9_SG_JZNS1_25segmented_radix_sort_implINS0_14default_configELb0EPKlPlSM_SN_N2at6native12_GLOBAL__N_18offset_tEEE10hipError_tPvRmT1_PNSt15iterator_traitsISV_E10value_typeET2_T3_PNSW_IS11_E10value_typeET4_jRbjT5_S17_jjP12ihipStream_tbEUljE_EEESS_ST_SU_S11_S15_S17_T6_T7_T9_mT8_S19_bDpT10_ENKUlT_T0_E_clISt17integral_constantIbLb0EES1M_EEDaS1H_S1I_EUlS1H_E_NS1_11comp_targetILNS1_3genE2ELNS1_11target_archE906ELNS1_3gpuE6ELNS1_3repE0EEENS1_30default_config_static_selectorELNS0_4arch9wavefront6targetE0EEEvSV_ ; -- Begin function _ZN7rocprim17ROCPRIM_400000_NS6detail17trampoline_kernelINS0_13select_configILj256ELj13ELNS0_17block_load_methodE3ELS4_3ELS4_3ELNS0_20block_scan_algorithmE0ELj4294967295EEENS1_25partition_config_selectorILNS1_17partition_subalgoE3EjNS0_10empty_typeEbEEZZNS1_14partition_implILS8_3ELb0ES6_jNS0_17counting_iteratorIjlEEPS9_SE_NS0_5tupleIJPjSE_EEENSF_IJSE_SE_EEES9_SG_JZNS1_25segmented_radix_sort_implINS0_14default_configELb0EPKlPlSM_SN_N2at6native12_GLOBAL__N_18offset_tEEE10hipError_tPvRmT1_PNSt15iterator_traitsISV_E10value_typeET2_T3_PNSW_IS11_E10value_typeET4_jRbjT5_S17_jjP12ihipStream_tbEUljE_EEESS_ST_SU_S11_S15_S17_T6_T7_T9_mT8_S19_bDpT10_ENKUlT_T0_E_clISt17integral_constantIbLb0EES1M_EEDaS1H_S1I_EUlS1H_E_NS1_11comp_targetILNS1_3genE2ELNS1_11target_archE906ELNS1_3gpuE6ELNS1_3repE0EEENS1_30default_config_static_selectorELNS0_4arch9wavefront6targetE0EEEvSV_
	.p2align	8
	.type	_ZN7rocprim17ROCPRIM_400000_NS6detail17trampoline_kernelINS0_13select_configILj256ELj13ELNS0_17block_load_methodE3ELS4_3ELS4_3ELNS0_20block_scan_algorithmE0ELj4294967295EEENS1_25partition_config_selectorILNS1_17partition_subalgoE3EjNS0_10empty_typeEbEEZZNS1_14partition_implILS8_3ELb0ES6_jNS0_17counting_iteratorIjlEEPS9_SE_NS0_5tupleIJPjSE_EEENSF_IJSE_SE_EEES9_SG_JZNS1_25segmented_radix_sort_implINS0_14default_configELb0EPKlPlSM_SN_N2at6native12_GLOBAL__N_18offset_tEEE10hipError_tPvRmT1_PNSt15iterator_traitsISV_E10value_typeET2_T3_PNSW_IS11_E10value_typeET4_jRbjT5_S17_jjP12ihipStream_tbEUljE_EEESS_ST_SU_S11_S15_S17_T6_T7_T9_mT8_S19_bDpT10_ENKUlT_T0_E_clISt17integral_constantIbLb0EES1M_EEDaS1H_S1I_EUlS1H_E_NS1_11comp_targetILNS1_3genE2ELNS1_11target_archE906ELNS1_3gpuE6ELNS1_3repE0EEENS1_30default_config_static_selectorELNS0_4arch9wavefront6targetE0EEEvSV_,@function
_ZN7rocprim17ROCPRIM_400000_NS6detail17trampoline_kernelINS0_13select_configILj256ELj13ELNS0_17block_load_methodE3ELS4_3ELS4_3ELNS0_20block_scan_algorithmE0ELj4294967295EEENS1_25partition_config_selectorILNS1_17partition_subalgoE3EjNS0_10empty_typeEbEEZZNS1_14partition_implILS8_3ELb0ES6_jNS0_17counting_iteratorIjlEEPS9_SE_NS0_5tupleIJPjSE_EEENSF_IJSE_SE_EEES9_SG_JZNS1_25segmented_radix_sort_implINS0_14default_configELb0EPKlPlSM_SN_N2at6native12_GLOBAL__N_18offset_tEEE10hipError_tPvRmT1_PNSt15iterator_traitsISV_E10value_typeET2_T3_PNSW_IS11_E10value_typeET4_jRbjT5_S17_jjP12ihipStream_tbEUljE_EEESS_ST_SU_S11_S15_S17_T6_T7_T9_mT8_S19_bDpT10_ENKUlT_T0_E_clISt17integral_constantIbLb0EES1M_EEDaS1H_S1I_EUlS1H_E_NS1_11comp_targetILNS1_3genE2ELNS1_11target_archE906ELNS1_3gpuE6ELNS1_3repE0EEENS1_30default_config_static_selectorELNS0_4arch9wavefront6targetE0EEEvSV_: ; @_ZN7rocprim17ROCPRIM_400000_NS6detail17trampoline_kernelINS0_13select_configILj256ELj13ELNS0_17block_load_methodE3ELS4_3ELS4_3ELNS0_20block_scan_algorithmE0ELj4294967295EEENS1_25partition_config_selectorILNS1_17partition_subalgoE3EjNS0_10empty_typeEbEEZZNS1_14partition_implILS8_3ELb0ES6_jNS0_17counting_iteratorIjlEEPS9_SE_NS0_5tupleIJPjSE_EEENSF_IJSE_SE_EEES9_SG_JZNS1_25segmented_radix_sort_implINS0_14default_configELb0EPKlPlSM_SN_N2at6native12_GLOBAL__N_18offset_tEEE10hipError_tPvRmT1_PNSt15iterator_traitsISV_E10value_typeET2_T3_PNSW_IS11_E10value_typeET4_jRbjT5_S17_jjP12ihipStream_tbEUljE_EEESS_ST_SU_S11_S15_S17_T6_T7_T9_mT8_S19_bDpT10_ENKUlT_T0_E_clISt17integral_constantIbLb0EES1M_EEDaS1H_S1I_EUlS1H_E_NS1_11comp_targetILNS1_3genE2ELNS1_11target_archE906ELNS1_3gpuE6ELNS1_3repE0EEENS1_30default_config_static_selectorELNS0_4arch9wavefront6targetE0EEEvSV_
; %bb.0:
	.section	.rodata,"a",@progbits
	.p2align	6, 0x0
	.amdhsa_kernel _ZN7rocprim17ROCPRIM_400000_NS6detail17trampoline_kernelINS0_13select_configILj256ELj13ELNS0_17block_load_methodE3ELS4_3ELS4_3ELNS0_20block_scan_algorithmE0ELj4294967295EEENS1_25partition_config_selectorILNS1_17partition_subalgoE3EjNS0_10empty_typeEbEEZZNS1_14partition_implILS8_3ELb0ES6_jNS0_17counting_iteratorIjlEEPS9_SE_NS0_5tupleIJPjSE_EEENSF_IJSE_SE_EEES9_SG_JZNS1_25segmented_radix_sort_implINS0_14default_configELb0EPKlPlSM_SN_N2at6native12_GLOBAL__N_18offset_tEEE10hipError_tPvRmT1_PNSt15iterator_traitsISV_E10value_typeET2_T3_PNSW_IS11_E10value_typeET4_jRbjT5_S17_jjP12ihipStream_tbEUljE_EEESS_ST_SU_S11_S15_S17_T6_T7_T9_mT8_S19_bDpT10_ENKUlT_T0_E_clISt17integral_constantIbLb0EES1M_EEDaS1H_S1I_EUlS1H_E_NS1_11comp_targetILNS1_3genE2ELNS1_11target_archE906ELNS1_3gpuE6ELNS1_3repE0EEENS1_30default_config_static_selectorELNS0_4arch9wavefront6targetE0EEEvSV_
		.amdhsa_group_segment_fixed_size 0
		.amdhsa_private_segment_fixed_size 0
		.amdhsa_kernarg_size 144
		.amdhsa_user_sgpr_count 6
		.amdhsa_user_sgpr_private_segment_buffer 1
		.amdhsa_user_sgpr_dispatch_ptr 0
		.amdhsa_user_sgpr_queue_ptr 0
		.amdhsa_user_sgpr_kernarg_segment_ptr 1
		.amdhsa_user_sgpr_dispatch_id 0
		.amdhsa_user_sgpr_flat_scratch_init 0
		.amdhsa_user_sgpr_private_segment_size 0
		.amdhsa_wavefront_size32 1
		.amdhsa_uses_dynamic_stack 0
		.amdhsa_system_sgpr_private_segment_wavefront_offset 0
		.amdhsa_system_sgpr_workgroup_id_x 1
		.amdhsa_system_sgpr_workgroup_id_y 0
		.amdhsa_system_sgpr_workgroup_id_z 0
		.amdhsa_system_sgpr_workgroup_info 0
		.amdhsa_system_vgpr_workitem_id 0
		.amdhsa_next_free_vgpr 1
		.amdhsa_next_free_sgpr 1
		.amdhsa_reserve_vcc 0
		.amdhsa_reserve_flat_scratch 0
		.amdhsa_float_round_mode_32 0
		.amdhsa_float_round_mode_16_64 0
		.amdhsa_float_denorm_mode_32 3
		.amdhsa_float_denorm_mode_16_64 3
		.amdhsa_dx10_clamp 1
		.amdhsa_ieee_mode 1
		.amdhsa_fp16_overflow 0
		.amdhsa_workgroup_processor_mode 1
		.amdhsa_memory_ordered 1
		.amdhsa_forward_progress 1
		.amdhsa_shared_vgpr_count 0
		.amdhsa_exception_fp_ieee_invalid_op 0
		.amdhsa_exception_fp_denorm_src 0
		.amdhsa_exception_fp_ieee_div_zero 0
		.amdhsa_exception_fp_ieee_overflow 0
		.amdhsa_exception_fp_ieee_underflow 0
		.amdhsa_exception_fp_ieee_inexact 0
		.amdhsa_exception_int_div_zero 0
	.end_amdhsa_kernel
	.section	.text._ZN7rocprim17ROCPRIM_400000_NS6detail17trampoline_kernelINS0_13select_configILj256ELj13ELNS0_17block_load_methodE3ELS4_3ELS4_3ELNS0_20block_scan_algorithmE0ELj4294967295EEENS1_25partition_config_selectorILNS1_17partition_subalgoE3EjNS0_10empty_typeEbEEZZNS1_14partition_implILS8_3ELb0ES6_jNS0_17counting_iteratorIjlEEPS9_SE_NS0_5tupleIJPjSE_EEENSF_IJSE_SE_EEES9_SG_JZNS1_25segmented_radix_sort_implINS0_14default_configELb0EPKlPlSM_SN_N2at6native12_GLOBAL__N_18offset_tEEE10hipError_tPvRmT1_PNSt15iterator_traitsISV_E10value_typeET2_T3_PNSW_IS11_E10value_typeET4_jRbjT5_S17_jjP12ihipStream_tbEUljE_EEESS_ST_SU_S11_S15_S17_T6_T7_T9_mT8_S19_bDpT10_ENKUlT_T0_E_clISt17integral_constantIbLb0EES1M_EEDaS1H_S1I_EUlS1H_E_NS1_11comp_targetILNS1_3genE2ELNS1_11target_archE906ELNS1_3gpuE6ELNS1_3repE0EEENS1_30default_config_static_selectorELNS0_4arch9wavefront6targetE0EEEvSV_,"axG",@progbits,_ZN7rocprim17ROCPRIM_400000_NS6detail17trampoline_kernelINS0_13select_configILj256ELj13ELNS0_17block_load_methodE3ELS4_3ELS4_3ELNS0_20block_scan_algorithmE0ELj4294967295EEENS1_25partition_config_selectorILNS1_17partition_subalgoE3EjNS0_10empty_typeEbEEZZNS1_14partition_implILS8_3ELb0ES6_jNS0_17counting_iteratorIjlEEPS9_SE_NS0_5tupleIJPjSE_EEENSF_IJSE_SE_EEES9_SG_JZNS1_25segmented_radix_sort_implINS0_14default_configELb0EPKlPlSM_SN_N2at6native12_GLOBAL__N_18offset_tEEE10hipError_tPvRmT1_PNSt15iterator_traitsISV_E10value_typeET2_T3_PNSW_IS11_E10value_typeET4_jRbjT5_S17_jjP12ihipStream_tbEUljE_EEESS_ST_SU_S11_S15_S17_T6_T7_T9_mT8_S19_bDpT10_ENKUlT_T0_E_clISt17integral_constantIbLb0EES1M_EEDaS1H_S1I_EUlS1H_E_NS1_11comp_targetILNS1_3genE2ELNS1_11target_archE906ELNS1_3gpuE6ELNS1_3repE0EEENS1_30default_config_static_selectorELNS0_4arch9wavefront6targetE0EEEvSV_,comdat
.Lfunc_end773:
	.size	_ZN7rocprim17ROCPRIM_400000_NS6detail17trampoline_kernelINS0_13select_configILj256ELj13ELNS0_17block_load_methodE3ELS4_3ELS4_3ELNS0_20block_scan_algorithmE0ELj4294967295EEENS1_25partition_config_selectorILNS1_17partition_subalgoE3EjNS0_10empty_typeEbEEZZNS1_14partition_implILS8_3ELb0ES6_jNS0_17counting_iteratorIjlEEPS9_SE_NS0_5tupleIJPjSE_EEENSF_IJSE_SE_EEES9_SG_JZNS1_25segmented_radix_sort_implINS0_14default_configELb0EPKlPlSM_SN_N2at6native12_GLOBAL__N_18offset_tEEE10hipError_tPvRmT1_PNSt15iterator_traitsISV_E10value_typeET2_T3_PNSW_IS11_E10value_typeET4_jRbjT5_S17_jjP12ihipStream_tbEUljE_EEESS_ST_SU_S11_S15_S17_T6_T7_T9_mT8_S19_bDpT10_ENKUlT_T0_E_clISt17integral_constantIbLb0EES1M_EEDaS1H_S1I_EUlS1H_E_NS1_11comp_targetILNS1_3genE2ELNS1_11target_archE906ELNS1_3gpuE6ELNS1_3repE0EEENS1_30default_config_static_selectorELNS0_4arch9wavefront6targetE0EEEvSV_, .Lfunc_end773-_ZN7rocprim17ROCPRIM_400000_NS6detail17trampoline_kernelINS0_13select_configILj256ELj13ELNS0_17block_load_methodE3ELS4_3ELS4_3ELNS0_20block_scan_algorithmE0ELj4294967295EEENS1_25partition_config_selectorILNS1_17partition_subalgoE3EjNS0_10empty_typeEbEEZZNS1_14partition_implILS8_3ELb0ES6_jNS0_17counting_iteratorIjlEEPS9_SE_NS0_5tupleIJPjSE_EEENSF_IJSE_SE_EEES9_SG_JZNS1_25segmented_radix_sort_implINS0_14default_configELb0EPKlPlSM_SN_N2at6native12_GLOBAL__N_18offset_tEEE10hipError_tPvRmT1_PNSt15iterator_traitsISV_E10value_typeET2_T3_PNSW_IS11_E10value_typeET4_jRbjT5_S17_jjP12ihipStream_tbEUljE_EEESS_ST_SU_S11_S15_S17_T6_T7_T9_mT8_S19_bDpT10_ENKUlT_T0_E_clISt17integral_constantIbLb0EES1M_EEDaS1H_S1I_EUlS1H_E_NS1_11comp_targetILNS1_3genE2ELNS1_11target_archE906ELNS1_3gpuE6ELNS1_3repE0EEENS1_30default_config_static_selectorELNS0_4arch9wavefront6targetE0EEEvSV_
                                        ; -- End function
	.set _ZN7rocprim17ROCPRIM_400000_NS6detail17trampoline_kernelINS0_13select_configILj256ELj13ELNS0_17block_load_methodE3ELS4_3ELS4_3ELNS0_20block_scan_algorithmE0ELj4294967295EEENS1_25partition_config_selectorILNS1_17partition_subalgoE3EjNS0_10empty_typeEbEEZZNS1_14partition_implILS8_3ELb0ES6_jNS0_17counting_iteratorIjlEEPS9_SE_NS0_5tupleIJPjSE_EEENSF_IJSE_SE_EEES9_SG_JZNS1_25segmented_radix_sort_implINS0_14default_configELb0EPKlPlSM_SN_N2at6native12_GLOBAL__N_18offset_tEEE10hipError_tPvRmT1_PNSt15iterator_traitsISV_E10value_typeET2_T3_PNSW_IS11_E10value_typeET4_jRbjT5_S17_jjP12ihipStream_tbEUljE_EEESS_ST_SU_S11_S15_S17_T6_T7_T9_mT8_S19_bDpT10_ENKUlT_T0_E_clISt17integral_constantIbLb0EES1M_EEDaS1H_S1I_EUlS1H_E_NS1_11comp_targetILNS1_3genE2ELNS1_11target_archE906ELNS1_3gpuE6ELNS1_3repE0EEENS1_30default_config_static_selectorELNS0_4arch9wavefront6targetE0EEEvSV_.num_vgpr, 0
	.set _ZN7rocprim17ROCPRIM_400000_NS6detail17trampoline_kernelINS0_13select_configILj256ELj13ELNS0_17block_load_methodE3ELS4_3ELS4_3ELNS0_20block_scan_algorithmE0ELj4294967295EEENS1_25partition_config_selectorILNS1_17partition_subalgoE3EjNS0_10empty_typeEbEEZZNS1_14partition_implILS8_3ELb0ES6_jNS0_17counting_iteratorIjlEEPS9_SE_NS0_5tupleIJPjSE_EEENSF_IJSE_SE_EEES9_SG_JZNS1_25segmented_radix_sort_implINS0_14default_configELb0EPKlPlSM_SN_N2at6native12_GLOBAL__N_18offset_tEEE10hipError_tPvRmT1_PNSt15iterator_traitsISV_E10value_typeET2_T3_PNSW_IS11_E10value_typeET4_jRbjT5_S17_jjP12ihipStream_tbEUljE_EEESS_ST_SU_S11_S15_S17_T6_T7_T9_mT8_S19_bDpT10_ENKUlT_T0_E_clISt17integral_constantIbLb0EES1M_EEDaS1H_S1I_EUlS1H_E_NS1_11comp_targetILNS1_3genE2ELNS1_11target_archE906ELNS1_3gpuE6ELNS1_3repE0EEENS1_30default_config_static_selectorELNS0_4arch9wavefront6targetE0EEEvSV_.num_agpr, 0
	.set _ZN7rocprim17ROCPRIM_400000_NS6detail17trampoline_kernelINS0_13select_configILj256ELj13ELNS0_17block_load_methodE3ELS4_3ELS4_3ELNS0_20block_scan_algorithmE0ELj4294967295EEENS1_25partition_config_selectorILNS1_17partition_subalgoE3EjNS0_10empty_typeEbEEZZNS1_14partition_implILS8_3ELb0ES6_jNS0_17counting_iteratorIjlEEPS9_SE_NS0_5tupleIJPjSE_EEENSF_IJSE_SE_EEES9_SG_JZNS1_25segmented_radix_sort_implINS0_14default_configELb0EPKlPlSM_SN_N2at6native12_GLOBAL__N_18offset_tEEE10hipError_tPvRmT1_PNSt15iterator_traitsISV_E10value_typeET2_T3_PNSW_IS11_E10value_typeET4_jRbjT5_S17_jjP12ihipStream_tbEUljE_EEESS_ST_SU_S11_S15_S17_T6_T7_T9_mT8_S19_bDpT10_ENKUlT_T0_E_clISt17integral_constantIbLb0EES1M_EEDaS1H_S1I_EUlS1H_E_NS1_11comp_targetILNS1_3genE2ELNS1_11target_archE906ELNS1_3gpuE6ELNS1_3repE0EEENS1_30default_config_static_selectorELNS0_4arch9wavefront6targetE0EEEvSV_.numbered_sgpr, 0
	.set _ZN7rocprim17ROCPRIM_400000_NS6detail17trampoline_kernelINS0_13select_configILj256ELj13ELNS0_17block_load_methodE3ELS4_3ELS4_3ELNS0_20block_scan_algorithmE0ELj4294967295EEENS1_25partition_config_selectorILNS1_17partition_subalgoE3EjNS0_10empty_typeEbEEZZNS1_14partition_implILS8_3ELb0ES6_jNS0_17counting_iteratorIjlEEPS9_SE_NS0_5tupleIJPjSE_EEENSF_IJSE_SE_EEES9_SG_JZNS1_25segmented_radix_sort_implINS0_14default_configELb0EPKlPlSM_SN_N2at6native12_GLOBAL__N_18offset_tEEE10hipError_tPvRmT1_PNSt15iterator_traitsISV_E10value_typeET2_T3_PNSW_IS11_E10value_typeET4_jRbjT5_S17_jjP12ihipStream_tbEUljE_EEESS_ST_SU_S11_S15_S17_T6_T7_T9_mT8_S19_bDpT10_ENKUlT_T0_E_clISt17integral_constantIbLb0EES1M_EEDaS1H_S1I_EUlS1H_E_NS1_11comp_targetILNS1_3genE2ELNS1_11target_archE906ELNS1_3gpuE6ELNS1_3repE0EEENS1_30default_config_static_selectorELNS0_4arch9wavefront6targetE0EEEvSV_.num_named_barrier, 0
	.set _ZN7rocprim17ROCPRIM_400000_NS6detail17trampoline_kernelINS0_13select_configILj256ELj13ELNS0_17block_load_methodE3ELS4_3ELS4_3ELNS0_20block_scan_algorithmE0ELj4294967295EEENS1_25partition_config_selectorILNS1_17partition_subalgoE3EjNS0_10empty_typeEbEEZZNS1_14partition_implILS8_3ELb0ES6_jNS0_17counting_iteratorIjlEEPS9_SE_NS0_5tupleIJPjSE_EEENSF_IJSE_SE_EEES9_SG_JZNS1_25segmented_radix_sort_implINS0_14default_configELb0EPKlPlSM_SN_N2at6native12_GLOBAL__N_18offset_tEEE10hipError_tPvRmT1_PNSt15iterator_traitsISV_E10value_typeET2_T3_PNSW_IS11_E10value_typeET4_jRbjT5_S17_jjP12ihipStream_tbEUljE_EEESS_ST_SU_S11_S15_S17_T6_T7_T9_mT8_S19_bDpT10_ENKUlT_T0_E_clISt17integral_constantIbLb0EES1M_EEDaS1H_S1I_EUlS1H_E_NS1_11comp_targetILNS1_3genE2ELNS1_11target_archE906ELNS1_3gpuE6ELNS1_3repE0EEENS1_30default_config_static_selectorELNS0_4arch9wavefront6targetE0EEEvSV_.private_seg_size, 0
	.set _ZN7rocprim17ROCPRIM_400000_NS6detail17trampoline_kernelINS0_13select_configILj256ELj13ELNS0_17block_load_methodE3ELS4_3ELS4_3ELNS0_20block_scan_algorithmE0ELj4294967295EEENS1_25partition_config_selectorILNS1_17partition_subalgoE3EjNS0_10empty_typeEbEEZZNS1_14partition_implILS8_3ELb0ES6_jNS0_17counting_iteratorIjlEEPS9_SE_NS0_5tupleIJPjSE_EEENSF_IJSE_SE_EEES9_SG_JZNS1_25segmented_radix_sort_implINS0_14default_configELb0EPKlPlSM_SN_N2at6native12_GLOBAL__N_18offset_tEEE10hipError_tPvRmT1_PNSt15iterator_traitsISV_E10value_typeET2_T3_PNSW_IS11_E10value_typeET4_jRbjT5_S17_jjP12ihipStream_tbEUljE_EEESS_ST_SU_S11_S15_S17_T6_T7_T9_mT8_S19_bDpT10_ENKUlT_T0_E_clISt17integral_constantIbLb0EES1M_EEDaS1H_S1I_EUlS1H_E_NS1_11comp_targetILNS1_3genE2ELNS1_11target_archE906ELNS1_3gpuE6ELNS1_3repE0EEENS1_30default_config_static_selectorELNS0_4arch9wavefront6targetE0EEEvSV_.uses_vcc, 0
	.set _ZN7rocprim17ROCPRIM_400000_NS6detail17trampoline_kernelINS0_13select_configILj256ELj13ELNS0_17block_load_methodE3ELS4_3ELS4_3ELNS0_20block_scan_algorithmE0ELj4294967295EEENS1_25partition_config_selectorILNS1_17partition_subalgoE3EjNS0_10empty_typeEbEEZZNS1_14partition_implILS8_3ELb0ES6_jNS0_17counting_iteratorIjlEEPS9_SE_NS0_5tupleIJPjSE_EEENSF_IJSE_SE_EEES9_SG_JZNS1_25segmented_radix_sort_implINS0_14default_configELb0EPKlPlSM_SN_N2at6native12_GLOBAL__N_18offset_tEEE10hipError_tPvRmT1_PNSt15iterator_traitsISV_E10value_typeET2_T3_PNSW_IS11_E10value_typeET4_jRbjT5_S17_jjP12ihipStream_tbEUljE_EEESS_ST_SU_S11_S15_S17_T6_T7_T9_mT8_S19_bDpT10_ENKUlT_T0_E_clISt17integral_constantIbLb0EES1M_EEDaS1H_S1I_EUlS1H_E_NS1_11comp_targetILNS1_3genE2ELNS1_11target_archE906ELNS1_3gpuE6ELNS1_3repE0EEENS1_30default_config_static_selectorELNS0_4arch9wavefront6targetE0EEEvSV_.uses_flat_scratch, 0
	.set _ZN7rocprim17ROCPRIM_400000_NS6detail17trampoline_kernelINS0_13select_configILj256ELj13ELNS0_17block_load_methodE3ELS4_3ELS4_3ELNS0_20block_scan_algorithmE0ELj4294967295EEENS1_25partition_config_selectorILNS1_17partition_subalgoE3EjNS0_10empty_typeEbEEZZNS1_14partition_implILS8_3ELb0ES6_jNS0_17counting_iteratorIjlEEPS9_SE_NS0_5tupleIJPjSE_EEENSF_IJSE_SE_EEES9_SG_JZNS1_25segmented_radix_sort_implINS0_14default_configELb0EPKlPlSM_SN_N2at6native12_GLOBAL__N_18offset_tEEE10hipError_tPvRmT1_PNSt15iterator_traitsISV_E10value_typeET2_T3_PNSW_IS11_E10value_typeET4_jRbjT5_S17_jjP12ihipStream_tbEUljE_EEESS_ST_SU_S11_S15_S17_T6_T7_T9_mT8_S19_bDpT10_ENKUlT_T0_E_clISt17integral_constantIbLb0EES1M_EEDaS1H_S1I_EUlS1H_E_NS1_11comp_targetILNS1_3genE2ELNS1_11target_archE906ELNS1_3gpuE6ELNS1_3repE0EEENS1_30default_config_static_selectorELNS0_4arch9wavefront6targetE0EEEvSV_.has_dyn_sized_stack, 0
	.set _ZN7rocprim17ROCPRIM_400000_NS6detail17trampoline_kernelINS0_13select_configILj256ELj13ELNS0_17block_load_methodE3ELS4_3ELS4_3ELNS0_20block_scan_algorithmE0ELj4294967295EEENS1_25partition_config_selectorILNS1_17partition_subalgoE3EjNS0_10empty_typeEbEEZZNS1_14partition_implILS8_3ELb0ES6_jNS0_17counting_iteratorIjlEEPS9_SE_NS0_5tupleIJPjSE_EEENSF_IJSE_SE_EEES9_SG_JZNS1_25segmented_radix_sort_implINS0_14default_configELb0EPKlPlSM_SN_N2at6native12_GLOBAL__N_18offset_tEEE10hipError_tPvRmT1_PNSt15iterator_traitsISV_E10value_typeET2_T3_PNSW_IS11_E10value_typeET4_jRbjT5_S17_jjP12ihipStream_tbEUljE_EEESS_ST_SU_S11_S15_S17_T6_T7_T9_mT8_S19_bDpT10_ENKUlT_T0_E_clISt17integral_constantIbLb0EES1M_EEDaS1H_S1I_EUlS1H_E_NS1_11comp_targetILNS1_3genE2ELNS1_11target_archE906ELNS1_3gpuE6ELNS1_3repE0EEENS1_30default_config_static_selectorELNS0_4arch9wavefront6targetE0EEEvSV_.has_recursion, 0
	.set _ZN7rocprim17ROCPRIM_400000_NS6detail17trampoline_kernelINS0_13select_configILj256ELj13ELNS0_17block_load_methodE3ELS4_3ELS4_3ELNS0_20block_scan_algorithmE0ELj4294967295EEENS1_25partition_config_selectorILNS1_17partition_subalgoE3EjNS0_10empty_typeEbEEZZNS1_14partition_implILS8_3ELb0ES6_jNS0_17counting_iteratorIjlEEPS9_SE_NS0_5tupleIJPjSE_EEENSF_IJSE_SE_EEES9_SG_JZNS1_25segmented_radix_sort_implINS0_14default_configELb0EPKlPlSM_SN_N2at6native12_GLOBAL__N_18offset_tEEE10hipError_tPvRmT1_PNSt15iterator_traitsISV_E10value_typeET2_T3_PNSW_IS11_E10value_typeET4_jRbjT5_S17_jjP12ihipStream_tbEUljE_EEESS_ST_SU_S11_S15_S17_T6_T7_T9_mT8_S19_bDpT10_ENKUlT_T0_E_clISt17integral_constantIbLb0EES1M_EEDaS1H_S1I_EUlS1H_E_NS1_11comp_targetILNS1_3genE2ELNS1_11target_archE906ELNS1_3gpuE6ELNS1_3repE0EEENS1_30default_config_static_selectorELNS0_4arch9wavefront6targetE0EEEvSV_.has_indirect_call, 0
	.section	.AMDGPU.csdata,"",@progbits
; Kernel info:
; codeLenInByte = 0
; TotalNumSgprs: 0
; NumVgprs: 0
; ScratchSize: 0
; MemoryBound: 0
; FloatMode: 240
; IeeeMode: 1
; LDSByteSize: 0 bytes/workgroup (compile time only)
; SGPRBlocks: 0
; VGPRBlocks: 0
; NumSGPRsForWavesPerEU: 1
; NumVGPRsForWavesPerEU: 1
; Occupancy: 16
; WaveLimiterHint : 0
; COMPUTE_PGM_RSRC2:SCRATCH_EN: 0
; COMPUTE_PGM_RSRC2:USER_SGPR: 6
; COMPUTE_PGM_RSRC2:TRAP_HANDLER: 0
; COMPUTE_PGM_RSRC2:TGID_X_EN: 1
; COMPUTE_PGM_RSRC2:TGID_Y_EN: 0
; COMPUTE_PGM_RSRC2:TGID_Z_EN: 0
; COMPUTE_PGM_RSRC2:TIDIG_COMP_CNT: 0
	.section	.text._ZN7rocprim17ROCPRIM_400000_NS6detail17trampoline_kernelINS0_13select_configILj256ELj13ELNS0_17block_load_methodE3ELS4_3ELS4_3ELNS0_20block_scan_algorithmE0ELj4294967295EEENS1_25partition_config_selectorILNS1_17partition_subalgoE3EjNS0_10empty_typeEbEEZZNS1_14partition_implILS8_3ELb0ES6_jNS0_17counting_iteratorIjlEEPS9_SE_NS0_5tupleIJPjSE_EEENSF_IJSE_SE_EEES9_SG_JZNS1_25segmented_radix_sort_implINS0_14default_configELb0EPKlPlSM_SN_N2at6native12_GLOBAL__N_18offset_tEEE10hipError_tPvRmT1_PNSt15iterator_traitsISV_E10value_typeET2_T3_PNSW_IS11_E10value_typeET4_jRbjT5_S17_jjP12ihipStream_tbEUljE_EEESS_ST_SU_S11_S15_S17_T6_T7_T9_mT8_S19_bDpT10_ENKUlT_T0_E_clISt17integral_constantIbLb0EES1M_EEDaS1H_S1I_EUlS1H_E_NS1_11comp_targetILNS1_3genE10ELNS1_11target_archE1200ELNS1_3gpuE4ELNS1_3repE0EEENS1_30default_config_static_selectorELNS0_4arch9wavefront6targetE0EEEvSV_,"axG",@progbits,_ZN7rocprim17ROCPRIM_400000_NS6detail17trampoline_kernelINS0_13select_configILj256ELj13ELNS0_17block_load_methodE3ELS4_3ELS4_3ELNS0_20block_scan_algorithmE0ELj4294967295EEENS1_25partition_config_selectorILNS1_17partition_subalgoE3EjNS0_10empty_typeEbEEZZNS1_14partition_implILS8_3ELb0ES6_jNS0_17counting_iteratorIjlEEPS9_SE_NS0_5tupleIJPjSE_EEENSF_IJSE_SE_EEES9_SG_JZNS1_25segmented_radix_sort_implINS0_14default_configELb0EPKlPlSM_SN_N2at6native12_GLOBAL__N_18offset_tEEE10hipError_tPvRmT1_PNSt15iterator_traitsISV_E10value_typeET2_T3_PNSW_IS11_E10value_typeET4_jRbjT5_S17_jjP12ihipStream_tbEUljE_EEESS_ST_SU_S11_S15_S17_T6_T7_T9_mT8_S19_bDpT10_ENKUlT_T0_E_clISt17integral_constantIbLb0EES1M_EEDaS1H_S1I_EUlS1H_E_NS1_11comp_targetILNS1_3genE10ELNS1_11target_archE1200ELNS1_3gpuE4ELNS1_3repE0EEENS1_30default_config_static_selectorELNS0_4arch9wavefront6targetE0EEEvSV_,comdat
	.globl	_ZN7rocprim17ROCPRIM_400000_NS6detail17trampoline_kernelINS0_13select_configILj256ELj13ELNS0_17block_load_methodE3ELS4_3ELS4_3ELNS0_20block_scan_algorithmE0ELj4294967295EEENS1_25partition_config_selectorILNS1_17partition_subalgoE3EjNS0_10empty_typeEbEEZZNS1_14partition_implILS8_3ELb0ES6_jNS0_17counting_iteratorIjlEEPS9_SE_NS0_5tupleIJPjSE_EEENSF_IJSE_SE_EEES9_SG_JZNS1_25segmented_radix_sort_implINS0_14default_configELb0EPKlPlSM_SN_N2at6native12_GLOBAL__N_18offset_tEEE10hipError_tPvRmT1_PNSt15iterator_traitsISV_E10value_typeET2_T3_PNSW_IS11_E10value_typeET4_jRbjT5_S17_jjP12ihipStream_tbEUljE_EEESS_ST_SU_S11_S15_S17_T6_T7_T9_mT8_S19_bDpT10_ENKUlT_T0_E_clISt17integral_constantIbLb0EES1M_EEDaS1H_S1I_EUlS1H_E_NS1_11comp_targetILNS1_3genE10ELNS1_11target_archE1200ELNS1_3gpuE4ELNS1_3repE0EEENS1_30default_config_static_selectorELNS0_4arch9wavefront6targetE0EEEvSV_ ; -- Begin function _ZN7rocprim17ROCPRIM_400000_NS6detail17trampoline_kernelINS0_13select_configILj256ELj13ELNS0_17block_load_methodE3ELS4_3ELS4_3ELNS0_20block_scan_algorithmE0ELj4294967295EEENS1_25partition_config_selectorILNS1_17partition_subalgoE3EjNS0_10empty_typeEbEEZZNS1_14partition_implILS8_3ELb0ES6_jNS0_17counting_iteratorIjlEEPS9_SE_NS0_5tupleIJPjSE_EEENSF_IJSE_SE_EEES9_SG_JZNS1_25segmented_radix_sort_implINS0_14default_configELb0EPKlPlSM_SN_N2at6native12_GLOBAL__N_18offset_tEEE10hipError_tPvRmT1_PNSt15iterator_traitsISV_E10value_typeET2_T3_PNSW_IS11_E10value_typeET4_jRbjT5_S17_jjP12ihipStream_tbEUljE_EEESS_ST_SU_S11_S15_S17_T6_T7_T9_mT8_S19_bDpT10_ENKUlT_T0_E_clISt17integral_constantIbLb0EES1M_EEDaS1H_S1I_EUlS1H_E_NS1_11comp_targetILNS1_3genE10ELNS1_11target_archE1200ELNS1_3gpuE4ELNS1_3repE0EEENS1_30default_config_static_selectorELNS0_4arch9wavefront6targetE0EEEvSV_
	.p2align	8
	.type	_ZN7rocprim17ROCPRIM_400000_NS6detail17trampoline_kernelINS0_13select_configILj256ELj13ELNS0_17block_load_methodE3ELS4_3ELS4_3ELNS0_20block_scan_algorithmE0ELj4294967295EEENS1_25partition_config_selectorILNS1_17partition_subalgoE3EjNS0_10empty_typeEbEEZZNS1_14partition_implILS8_3ELb0ES6_jNS0_17counting_iteratorIjlEEPS9_SE_NS0_5tupleIJPjSE_EEENSF_IJSE_SE_EEES9_SG_JZNS1_25segmented_radix_sort_implINS0_14default_configELb0EPKlPlSM_SN_N2at6native12_GLOBAL__N_18offset_tEEE10hipError_tPvRmT1_PNSt15iterator_traitsISV_E10value_typeET2_T3_PNSW_IS11_E10value_typeET4_jRbjT5_S17_jjP12ihipStream_tbEUljE_EEESS_ST_SU_S11_S15_S17_T6_T7_T9_mT8_S19_bDpT10_ENKUlT_T0_E_clISt17integral_constantIbLb0EES1M_EEDaS1H_S1I_EUlS1H_E_NS1_11comp_targetILNS1_3genE10ELNS1_11target_archE1200ELNS1_3gpuE4ELNS1_3repE0EEENS1_30default_config_static_selectorELNS0_4arch9wavefront6targetE0EEEvSV_,@function
_ZN7rocprim17ROCPRIM_400000_NS6detail17trampoline_kernelINS0_13select_configILj256ELj13ELNS0_17block_load_methodE3ELS4_3ELS4_3ELNS0_20block_scan_algorithmE0ELj4294967295EEENS1_25partition_config_selectorILNS1_17partition_subalgoE3EjNS0_10empty_typeEbEEZZNS1_14partition_implILS8_3ELb0ES6_jNS0_17counting_iteratorIjlEEPS9_SE_NS0_5tupleIJPjSE_EEENSF_IJSE_SE_EEES9_SG_JZNS1_25segmented_radix_sort_implINS0_14default_configELb0EPKlPlSM_SN_N2at6native12_GLOBAL__N_18offset_tEEE10hipError_tPvRmT1_PNSt15iterator_traitsISV_E10value_typeET2_T3_PNSW_IS11_E10value_typeET4_jRbjT5_S17_jjP12ihipStream_tbEUljE_EEESS_ST_SU_S11_S15_S17_T6_T7_T9_mT8_S19_bDpT10_ENKUlT_T0_E_clISt17integral_constantIbLb0EES1M_EEDaS1H_S1I_EUlS1H_E_NS1_11comp_targetILNS1_3genE10ELNS1_11target_archE1200ELNS1_3gpuE4ELNS1_3repE0EEENS1_30default_config_static_selectorELNS0_4arch9wavefront6targetE0EEEvSV_: ; @_ZN7rocprim17ROCPRIM_400000_NS6detail17trampoline_kernelINS0_13select_configILj256ELj13ELNS0_17block_load_methodE3ELS4_3ELS4_3ELNS0_20block_scan_algorithmE0ELj4294967295EEENS1_25partition_config_selectorILNS1_17partition_subalgoE3EjNS0_10empty_typeEbEEZZNS1_14partition_implILS8_3ELb0ES6_jNS0_17counting_iteratorIjlEEPS9_SE_NS0_5tupleIJPjSE_EEENSF_IJSE_SE_EEES9_SG_JZNS1_25segmented_radix_sort_implINS0_14default_configELb0EPKlPlSM_SN_N2at6native12_GLOBAL__N_18offset_tEEE10hipError_tPvRmT1_PNSt15iterator_traitsISV_E10value_typeET2_T3_PNSW_IS11_E10value_typeET4_jRbjT5_S17_jjP12ihipStream_tbEUljE_EEESS_ST_SU_S11_S15_S17_T6_T7_T9_mT8_S19_bDpT10_ENKUlT_T0_E_clISt17integral_constantIbLb0EES1M_EEDaS1H_S1I_EUlS1H_E_NS1_11comp_targetILNS1_3genE10ELNS1_11target_archE1200ELNS1_3gpuE4ELNS1_3repE0EEENS1_30default_config_static_selectorELNS0_4arch9wavefront6targetE0EEEvSV_
; %bb.0:
	.section	.rodata,"a",@progbits
	.p2align	6, 0x0
	.amdhsa_kernel _ZN7rocprim17ROCPRIM_400000_NS6detail17trampoline_kernelINS0_13select_configILj256ELj13ELNS0_17block_load_methodE3ELS4_3ELS4_3ELNS0_20block_scan_algorithmE0ELj4294967295EEENS1_25partition_config_selectorILNS1_17partition_subalgoE3EjNS0_10empty_typeEbEEZZNS1_14partition_implILS8_3ELb0ES6_jNS0_17counting_iteratorIjlEEPS9_SE_NS0_5tupleIJPjSE_EEENSF_IJSE_SE_EEES9_SG_JZNS1_25segmented_radix_sort_implINS0_14default_configELb0EPKlPlSM_SN_N2at6native12_GLOBAL__N_18offset_tEEE10hipError_tPvRmT1_PNSt15iterator_traitsISV_E10value_typeET2_T3_PNSW_IS11_E10value_typeET4_jRbjT5_S17_jjP12ihipStream_tbEUljE_EEESS_ST_SU_S11_S15_S17_T6_T7_T9_mT8_S19_bDpT10_ENKUlT_T0_E_clISt17integral_constantIbLb0EES1M_EEDaS1H_S1I_EUlS1H_E_NS1_11comp_targetILNS1_3genE10ELNS1_11target_archE1200ELNS1_3gpuE4ELNS1_3repE0EEENS1_30default_config_static_selectorELNS0_4arch9wavefront6targetE0EEEvSV_
		.amdhsa_group_segment_fixed_size 0
		.amdhsa_private_segment_fixed_size 0
		.amdhsa_kernarg_size 144
		.amdhsa_user_sgpr_count 6
		.amdhsa_user_sgpr_private_segment_buffer 1
		.amdhsa_user_sgpr_dispatch_ptr 0
		.amdhsa_user_sgpr_queue_ptr 0
		.amdhsa_user_sgpr_kernarg_segment_ptr 1
		.amdhsa_user_sgpr_dispatch_id 0
		.amdhsa_user_sgpr_flat_scratch_init 0
		.amdhsa_user_sgpr_private_segment_size 0
		.amdhsa_wavefront_size32 1
		.amdhsa_uses_dynamic_stack 0
		.amdhsa_system_sgpr_private_segment_wavefront_offset 0
		.amdhsa_system_sgpr_workgroup_id_x 1
		.amdhsa_system_sgpr_workgroup_id_y 0
		.amdhsa_system_sgpr_workgroup_id_z 0
		.amdhsa_system_sgpr_workgroup_info 0
		.amdhsa_system_vgpr_workitem_id 0
		.amdhsa_next_free_vgpr 1
		.amdhsa_next_free_sgpr 1
		.amdhsa_reserve_vcc 0
		.amdhsa_reserve_flat_scratch 0
		.amdhsa_float_round_mode_32 0
		.amdhsa_float_round_mode_16_64 0
		.amdhsa_float_denorm_mode_32 3
		.amdhsa_float_denorm_mode_16_64 3
		.amdhsa_dx10_clamp 1
		.amdhsa_ieee_mode 1
		.amdhsa_fp16_overflow 0
		.amdhsa_workgroup_processor_mode 1
		.amdhsa_memory_ordered 1
		.amdhsa_forward_progress 1
		.amdhsa_shared_vgpr_count 0
		.amdhsa_exception_fp_ieee_invalid_op 0
		.amdhsa_exception_fp_denorm_src 0
		.amdhsa_exception_fp_ieee_div_zero 0
		.amdhsa_exception_fp_ieee_overflow 0
		.amdhsa_exception_fp_ieee_underflow 0
		.amdhsa_exception_fp_ieee_inexact 0
		.amdhsa_exception_int_div_zero 0
	.end_amdhsa_kernel
	.section	.text._ZN7rocprim17ROCPRIM_400000_NS6detail17trampoline_kernelINS0_13select_configILj256ELj13ELNS0_17block_load_methodE3ELS4_3ELS4_3ELNS0_20block_scan_algorithmE0ELj4294967295EEENS1_25partition_config_selectorILNS1_17partition_subalgoE3EjNS0_10empty_typeEbEEZZNS1_14partition_implILS8_3ELb0ES6_jNS0_17counting_iteratorIjlEEPS9_SE_NS0_5tupleIJPjSE_EEENSF_IJSE_SE_EEES9_SG_JZNS1_25segmented_radix_sort_implINS0_14default_configELb0EPKlPlSM_SN_N2at6native12_GLOBAL__N_18offset_tEEE10hipError_tPvRmT1_PNSt15iterator_traitsISV_E10value_typeET2_T3_PNSW_IS11_E10value_typeET4_jRbjT5_S17_jjP12ihipStream_tbEUljE_EEESS_ST_SU_S11_S15_S17_T6_T7_T9_mT8_S19_bDpT10_ENKUlT_T0_E_clISt17integral_constantIbLb0EES1M_EEDaS1H_S1I_EUlS1H_E_NS1_11comp_targetILNS1_3genE10ELNS1_11target_archE1200ELNS1_3gpuE4ELNS1_3repE0EEENS1_30default_config_static_selectorELNS0_4arch9wavefront6targetE0EEEvSV_,"axG",@progbits,_ZN7rocprim17ROCPRIM_400000_NS6detail17trampoline_kernelINS0_13select_configILj256ELj13ELNS0_17block_load_methodE3ELS4_3ELS4_3ELNS0_20block_scan_algorithmE0ELj4294967295EEENS1_25partition_config_selectorILNS1_17partition_subalgoE3EjNS0_10empty_typeEbEEZZNS1_14partition_implILS8_3ELb0ES6_jNS0_17counting_iteratorIjlEEPS9_SE_NS0_5tupleIJPjSE_EEENSF_IJSE_SE_EEES9_SG_JZNS1_25segmented_radix_sort_implINS0_14default_configELb0EPKlPlSM_SN_N2at6native12_GLOBAL__N_18offset_tEEE10hipError_tPvRmT1_PNSt15iterator_traitsISV_E10value_typeET2_T3_PNSW_IS11_E10value_typeET4_jRbjT5_S17_jjP12ihipStream_tbEUljE_EEESS_ST_SU_S11_S15_S17_T6_T7_T9_mT8_S19_bDpT10_ENKUlT_T0_E_clISt17integral_constantIbLb0EES1M_EEDaS1H_S1I_EUlS1H_E_NS1_11comp_targetILNS1_3genE10ELNS1_11target_archE1200ELNS1_3gpuE4ELNS1_3repE0EEENS1_30default_config_static_selectorELNS0_4arch9wavefront6targetE0EEEvSV_,comdat
.Lfunc_end774:
	.size	_ZN7rocprim17ROCPRIM_400000_NS6detail17trampoline_kernelINS0_13select_configILj256ELj13ELNS0_17block_load_methodE3ELS4_3ELS4_3ELNS0_20block_scan_algorithmE0ELj4294967295EEENS1_25partition_config_selectorILNS1_17partition_subalgoE3EjNS0_10empty_typeEbEEZZNS1_14partition_implILS8_3ELb0ES6_jNS0_17counting_iteratorIjlEEPS9_SE_NS0_5tupleIJPjSE_EEENSF_IJSE_SE_EEES9_SG_JZNS1_25segmented_radix_sort_implINS0_14default_configELb0EPKlPlSM_SN_N2at6native12_GLOBAL__N_18offset_tEEE10hipError_tPvRmT1_PNSt15iterator_traitsISV_E10value_typeET2_T3_PNSW_IS11_E10value_typeET4_jRbjT5_S17_jjP12ihipStream_tbEUljE_EEESS_ST_SU_S11_S15_S17_T6_T7_T9_mT8_S19_bDpT10_ENKUlT_T0_E_clISt17integral_constantIbLb0EES1M_EEDaS1H_S1I_EUlS1H_E_NS1_11comp_targetILNS1_3genE10ELNS1_11target_archE1200ELNS1_3gpuE4ELNS1_3repE0EEENS1_30default_config_static_selectorELNS0_4arch9wavefront6targetE0EEEvSV_, .Lfunc_end774-_ZN7rocprim17ROCPRIM_400000_NS6detail17trampoline_kernelINS0_13select_configILj256ELj13ELNS0_17block_load_methodE3ELS4_3ELS4_3ELNS0_20block_scan_algorithmE0ELj4294967295EEENS1_25partition_config_selectorILNS1_17partition_subalgoE3EjNS0_10empty_typeEbEEZZNS1_14partition_implILS8_3ELb0ES6_jNS0_17counting_iteratorIjlEEPS9_SE_NS0_5tupleIJPjSE_EEENSF_IJSE_SE_EEES9_SG_JZNS1_25segmented_radix_sort_implINS0_14default_configELb0EPKlPlSM_SN_N2at6native12_GLOBAL__N_18offset_tEEE10hipError_tPvRmT1_PNSt15iterator_traitsISV_E10value_typeET2_T3_PNSW_IS11_E10value_typeET4_jRbjT5_S17_jjP12ihipStream_tbEUljE_EEESS_ST_SU_S11_S15_S17_T6_T7_T9_mT8_S19_bDpT10_ENKUlT_T0_E_clISt17integral_constantIbLb0EES1M_EEDaS1H_S1I_EUlS1H_E_NS1_11comp_targetILNS1_3genE10ELNS1_11target_archE1200ELNS1_3gpuE4ELNS1_3repE0EEENS1_30default_config_static_selectorELNS0_4arch9wavefront6targetE0EEEvSV_
                                        ; -- End function
	.set _ZN7rocprim17ROCPRIM_400000_NS6detail17trampoline_kernelINS0_13select_configILj256ELj13ELNS0_17block_load_methodE3ELS4_3ELS4_3ELNS0_20block_scan_algorithmE0ELj4294967295EEENS1_25partition_config_selectorILNS1_17partition_subalgoE3EjNS0_10empty_typeEbEEZZNS1_14partition_implILS8_3ELb0ES6_jNS0_17counting_iteratorIjlEEPS9_SE_NS0_5tupleIJPjSE_EEENSF_IJSE_SE_EEES9_SG_JZNS1_25segmented_radix_sort_implINS0_14default_configELb0EPKlPlSM_SN_N2at6native12_GLOBAL__N_18offset_tEEE10hipError_tPvRmT1_PNSt15iterator_traitsISV_E10value_typeET2_T3_PNSW_IS11_E10value_typeET4_jRbjT5_S17_jjP12ihipStream_tbEUljE_EEESS_ST_SU_S11_S15_S17_T6_T7_T9_mT8_S19_bDpT10_ENKUlT_T0_E_clISt17integral_constantIbLb0EES1M_EEDaS1H_S1I_EUlS1H_E_NS1_11comp_targetILNS1_3genE10ELNS1_11target_archE1200ELNS1_3gpuE4ELNS1_3repE0EEENS1_30default_config_static_selectorELNS0_4arch9wavefront6targetE0EEEvSV_.num_vgpr, 0
	.set _ZN7rocprim17ROCPRIM_400000_NS6detail17trampoline_kernelINS0_13select_configILj256ELj13ELNS0_17block_load_methodE3ELS4_3ELS4_3ELNS0_20block_scan_algorithmE0ELj4294967295EEENS1_25partition_config_selectorILNS1_17partition_subalgoE3EjNS0_10empty_typeEbEEZZNS1_14partition_implILS8_3ELb0ES6_jNS0_17counting_iteratorIjlEEPS9_SE_NS0_5tupleIJPjSE_EEENSF_IJSE_SE_EEES9_SG_JZNS1_25segmented_radix_sort_implINS0_14default_configELb0EPKlPlSM_SN_N2at6native12_GLOBAL__N_18offset_tEEE10hipError_tPvRmT1_PNSt15iterator_traitsISV_E10value_typeET2_T3_PNSW_IS11_E10value_typeET4_jRbjT5_S17_jjP12ihipStream_tbEUljE_EEESS_ST_SU_S11_S15_S17_T6_T7_T9_mT8_S19_bDpT10_ENKUlT_T0_E_clISt17integral_constantIbLb0EES1M_EEDaS1H_S1I_EUlS1H_E_NS1_11comp_targetILNS1_3genE10ELNS1_11target_archE1200ELNS1_3gpuE4ELNS1_3repE0EEENS1_30default_config_static_selectorELNS0_4arch9wavefront6targetE0EEEvSV_.num_agpr, 0
	.set _ZN7rocprim17ROCPRIM_400000_NS6detail17trampoline_kernelINS0_13select_configILj256ELj13ELNS0_17block_load_methodE3ELS4_3ELS4_3ELNS0_20block_scan_algorithmE0ELj4294967295EEENS1_25partition_config_selectorILNS1_17partition_subalgoE3EjNS0_10empty_typeEbEEZZNS1_14partition_implILS8_3ELb0ES6_jNS0_17counting_iteratorIjlEEPS9_SE_NS0_5tupleIJPjSE_EEENSF_IJSE_SE_EEES9_SG_JZNS1_25segmented_radix_sort_implINS0_14default_configELb0EPKlPlSM_SN_N2at6native12_GLOBAL__N_18offset_tEEE10hipError_tPvRmT1_PNSt15iterator_traitsISV_E10value_typeET2_T3_PNSW_IS11_E10value_typeET4_jRbjT5_S17_jjP12ihipStream_tbEUljE_EEESS_ST_SU_S11_S15_S17_T6_T7_T9_mT8_S19_bDpT10_ENKUlT_T0_E_clISt17integral_constantIbLb0EES1M_EEDaS1H_S1I_EUlS1H_E_NS1_11comp_targetILNS1_3genE10ELNS1_11target_archE1200ELNS1_3gpuE4ELNS1_3repE0EEENS1_30default_config_static_selectorELNS0_4arch9wavefront6targetE0EEEvSV_.numbered_sgpr, 0
	.set _ZN7rocprim17ROCPRIM_400000_NS6detail17trampoline_kernelINS0_13select_configILj256ELj13ELNS0_17block_load_methodE3ELS4_3ELS4_3ELNS0_20block_scan_algorithmE0ELj4294967295EEENS1_25partition_config_selectorILNS1_17partition_subalgoE3EjNS0_10empty_typeEbEEZZNS1_14partition_implILS8_3ELb0ES6_jNS0_17counting_iteratorIjlEEPS9_SE_NS0_5tupleIJPjSE_EEENSF_IJSE_SE_EEES9_SG_JZNS1_25segmented_radix_sort_implINS0_14default_configELb0EPKlPlSM_SN_N2at6native12_GLOBAL__N_18offset_tEEE10hipError_tPvRmT1_PNSt15iterator_traitsISV_E10value_typeET2_T3_PNSW_IS11_E10value_typeET4_jRbjT5_S17_jjP12ihipStream_tbEUljE_EEESS_ST_SU_S11_S15_S17_T6_T7_T9_mT8_S19_bDpT10_ENKUlT_T0_E_clISt17integral_constantIbLb0EES1M_EEDaS1H_S1I_EUlS1H_E_NS1_11comp_targetILNS1_3genE10ELNS1_11target_archE1200ELNS1_3gpuE4ELNS1_3repE0EEENS1_30default_config_static_selectorELNS0_4arch9wavefront6targetE0EEEvSV_.num_named_barrier, 0
	.set _ZN7rocprim17ROCPRIM_400000_NS6detail17trampoline_kernelINS0_13select_configILj256ELj13ELNS0_17block_load_methodE3ELS4_3ELS4_3ELNS0_20block_scan_algorithmE0ELj4294967295EEENS1_25partition_config_selectorILNS1_17partition_subalgoE3EjNS0_10empty_typeEbEEZZNS1_14partition_implILS8_3ELb0ES6_jNS0_17counting_iteratorIjlEEPS9_SE_NS0_5tupleIJPjSE_EEENSF_IJSE_SE_EEES9_SG_JZNS1_25segmented_radix_sort_implINS0_14default_configELb0EPKlPlSM_SN_N2at6native12_GLOBAL__N_18offset_tEEE10hipError_tPvRmT1_PNSt15iterator_traitsISV_E10value_typeET2_T3_PNSW_IS11_E10value_typeET4_jRbjT5_S17_jjP12ihipStream_tbEUljE_EEESS_ST_SU_S11_S15_S17_T6_T7_T9_mT8_S19_bDpT10_ENKUlT_T0_E_clISt17integral_constantIbLb0EES1M_EEDaS1H_S1I_EUlS1H_E_NS1_11comp_targetILNS1_3genE10ELNS1_11target_archE1200ELNS1_3gpuE4ELNS1_3repE0EEENS1_30default_config_static_selectorELNS0_4arch9wavefront6targetE0EEEvSV_.private_seg_size, 0
	.set _ZN7rocprim17ROCPRIM_400000_NS6detail17trampoline_kernelINS0_13select_configILj256ELj13ELNS0_17block_load_methodE3ELS4_3ELS4_3ELNS0_20block_scan_algorithmE0ELj4294967295EEENS1_25partition_config_selectorILNS1_17partition_subalgoE3EjNS0_10empty_typeEbEEZZNS1_14partition_implILS8_3ELb0ES6_jNS0_17counting_iteratorIjlEEPS9_SE_NS0_5tupleIJPjSE_EEENSF_IJSE_SE_EEES9_SG_JZNS1_25segmented_radix_sort_implINS0_14default_configELb0EPKlPlSM_SN_N2at6native12_GLOBAL__N_18offset_tEEE10hipError_tPvRmT1_PNSt15iterator_traitsISV_E10value_typeET2_T3_PNSW_IS11_E10value_typeET4_jRbjT5_S17_jjP12ihipStream_tbEUljE_EEESS_ST_SU_S11_S15_S17_T6_T7_T9_mT8_S19_bDpT10_ENKUlT_T0_E_clISt17integral_constantIbLb0EES1M_EEDaS1H_S1I_EUlS1H_E_NS1_11comp_targetILNS1_3genE10ELNS1_11target_archE1200ELNS1_3gpuE4ELNS1_3repE0EEENS1_30default_config_static_selectorELNS0_4arch9wavefront6targetE0EEEvSV_.uses_vcc, 0
	.set _ZN7rocprim17ROCPRIM_400000_NS6detail17trampoline_kernelINS0_13select_configILj256ELj13ELNS0_17block_load_methodE3ELS4_3ELS4_3ELNS0_20block_scan_algorithmE0ELj4294967295EEENS1_25partition_config_selectorILNS1_17partition_subalgoE3EjNS0_10empty_typeEbEEZZNS1_14partition_implILS8_3ELb0ES6_jNS0_17counting_iteratorIjlEEPS9_SE_NS0_5tupleIJPjSE_EEENSF_IJSE_SE_EEES9_SG_JZNS1_25segmented_radix_sort_implINS0_14default_configELb0EPKlPlSM_SN_N2at6native12_GLOBAL__N_18offset_tEEE10hipError_tPvRmT1_PNSt15iterator_traitsISV_E10value_typeET2_T3_PNSW_IS11_E10value_typeET4_jRbjT5_S17_jjP12ihipStream_tbEUljE_EEESS_ST_SU_S11_S15_S17_T6_T7_T9_mT8_S19_bDpT10_ENKUlT_T0_E_clISt17integral_constantIbLb0EES1M_EEDaS1H_S1I_EUlS1H_E_NS1_11comp_targetILNS1_3genE10ELNS1_11target_archE1200ELNS1_3gpuE4ELNS1_3repE0EEENS1_30default_config_static_selectorELNS0_4arch9wavefront6targetE0EEEvSV_.uses_flat_scratch, 0
	.set _ZN7rocprim17ROCPRIM_400000_NS6detail17trampoline_kernelINS0_13select_configILj256ELj13ELNS0_17block_load_methodE3ELS4_3ELS4_3ELNS0_20block_scan_algorithmE0ELj4294967295EEENS1_25partition_config_selectorILNS1_17partition_subalgoE3EjNS0_10empty_typeEbEEZZNS1_14partition_implILS8_3ELb0ES6_jNS0_17counting_iteratorIjlEEPS9_SE_NS0_5tupleIJPjSE_EEENSF_IJSE_SE_EEES9_SG_JZNS1_25segmented_radix_sort_implINS0_14default_configELb0EPKlPlSM_SN_N2at6native12_GLOBAL__N_18offset_tEEE10hipError_tPvRmT1_PNSt15iterator_traitsISV_E10value_typeET2_T3_PNSW_IS11_E10value_typeET4_jRbjT5_S17_jjP12ihipStream_tbEUljE_EEESS_ST_SU_S11_S15_S17_T6_T7_T9_mT8_S19_bDpT10_ENKUlT_T0_E_clISt17integral_constantIbLb0EES1M_EEDaS1H_S1I_EUlS1H_E_NS1_11comp_targetILNS1_3genE10ELNS1_11target_archE1200ELNS1_3gpuE4ELNS1_3repE0EEENS1_30default_config_static_selectorELNS0_4arch9wavefront6targetE0EEEvSV_.has_dyn_sized_stack, 0
	.set _ZN7rocprim17ROCPRIM_400000_NS6detail17trampoline_kernelINS0_13select_configILj256ELj13ELNS0_17block_load_methodE3ELS4_3ELS4_3ELNS0_20block_scan_algorithmE0ELj4294967295EEENS1_25partition_config_selectorILNS1_17partition_subalgoE3EjNS0_10empty_typeEbEEZZNS1_14partition_implILS8_3ELb0ES6_jNS0_17counting_iteratorIjlEEPS9_SE_NS0_5tupleIJPjSE_EEENSF_IJSE_SE_EEES9_SG_JZNS1_25segmented_radix_sort_implINS0_14default_configELb0EPKlPlSM_SN_N2at6native12_GLOBAL__N_18offset_tEEE10hipError_tPvRmT1_PNSt15iterator_traitsISV_E10value_typeET2_T3_PNSW_IS11_E10value_typeET4_jRbjT5_S17_jjP12ihipStream_tbEUljE_EEESS_ST_SU_S11_S15_S17_T6_T7_T9_mT8_S19_bDpT10_ENKUlT_T0_E_clISt17integral_constantIbLb0EES1M_EEDaS1H_S1I_EUlS1H_E_NS1_11comp_targetILNS1_3genE10ELNS1_11target_archE1200ELNS1_3gpuE4ELNS1_3repE0EEENS1_30default_config_static_selectorELNS0_4arch9wavefront6targetE0EEEvSV_.has_recursion, 0
	.set _ZN7rocprim17ROCPRIM_400000_NS6detail17trampoline_kernelINS0_13select_configILj256ELj13ELNS0_17block_load_methodE3ELS4_3ELS4_3ELNS0_20block_scan_algorithmE0ELj4294967295EEENS1_25partition_config_selectorILNS1_17partition_subalgoE3EjNS0_10empty_typeEbEEZZNS1_14partition_implILS8_3ELb0ES6_jNS0_17counting_iteratorIjlEEPS9_SE_NS0_5tupleIJPjSE_EEENSF_IJSE_SE_EEES9_SG_JZNS1_25segmented_radix_sort_implINS0_14default_configELb0EPKlPlSM_SN_N2at6native12_GLOBAL__N_18offset_tEEE10hipError_tPvRmT1_PNSt15iterator_traitsISV_E10value_typeET2_T3_PNSW_IS11_E10value_typeET4_jRbjT5_S17_jjP12ihipStream_tbEUljE_EEESS_ST_SU_S11_S15_S17_T6_T7_T9_mT8_S19_bDpT10_ENKUlT_T0_E_clISt17integral_constantIbLb0EES1M_EEDaS1H_S1I_EUlS1H_E_NS1_11comp_targetILNS1_3genE10ELNS1_11target_archE1200ELNS1_3gpuE4ELNS1_3repE0EEENS1_30default_config_static_selectorELNS0_4arch9wavefront6targetE0EEEvSV_.has_indirect_call, 0
	.section	.AMDGPU.csdata,"",@progbits
; Kernel info:
; codeLenInByte = 0
; TotalNumSgprs: 0
; NumVgprs: 0
; ScratchSize: 0
; MemoryBound: 0
; FloatMode: 240
; IeeeMode: 1
; LDSByteSize: 0 bytes/workgroup (compile time only)
; SGPRBlocks: 0
; VGPRBlocks: 0
; NumSGPRsForWavesPerEU: 1
; NumVGPRsForWavesPerEU: 1
; Occupancy: 16
; WaveLimiterHint : 0
; COMPUTE_PGM_RSRC2:SCRATCH_EN: 0
; COMPUTE_PGM_RSRC2:USER_SGPR: 6
; COMPUTE_PGM_RSRC2:TRAP_HANDLER: 0
; COMPUTE_PGM_RSRC2:TGID_X_EN: 1
; COMPUTE_PGM_RSRC2:TGID_Y_EN: 0
; COMPUTE_PGM_RSRC2:TGID_Z_EN: 0
; COMPUTE_PGM_RSRC2:TIDIG_COMP_CNT: 0
	.section	.text._ZN7rocprim17ROCPRIM_400000_NS6detail17trampoline_kernelINS0_13select_configILj256ELj13ELNS0_17block_load_methodE3ELS4_3ELS4_3ELNS0_20block_scan_algorithmE0ELj4294967295EEENS1_25partition_config_selectorILNS1_17partition_subalgoE3EjNS0_10empty_typeEbEEZZNS1_14partition_implILS8_3ELb0ES6_jNS0_17counting_iteratorIjlEEPS9_SE_NS0_5tupleIJPjSE_EEENSF_IJSE_SE_EEES9_SG_JZNS1_25segmented_radix_sort_implINS0_14default_configELb0EPKlPlSM_SN_N2at6native12_GLOBAL__N_18offset_tEEE10hipError_tPvRmT1_PNSt15iterator_traitsISV_E10value_typeET2_T3_PNSW_IS11_E10value_typeET4_jRbjT5_S17_jjP12ihipStream_tbEUljE_EEESS_ST_SU_S11_S15_S17_T6_T7_T9_mT8_S19_bDpT10_ENKUlT_T0_E_clISt17integral_constantIbLb0EES1M_EEDaS1H_S1I_EUlS1H_E_NS1_11comp_targetILNS1_3genE9ELNS1_11target_archE1100ELNS1_3gpuE3ELNS1_3repE0EEENS1_30default_config_static_selectorELNS0_4arch9wavefront6targetE0EEEvSV_,"axG",@progbits,_ZN7rocprim17ROCPRIM_400000_NS6detail17trampoline_kernelINS0_13select_configILj256ELj13ELNS0_17block_load_methodE3ELS4_3ELS4_3ELNS0_20block_scan_algorithmE0ELj4294967295EEENS1_25partition_config_selectorILNS1_17partition_subalgoE3EjNS0_10empty_typeEbEEZZNS1_14partition_implILS8_3ELb0ES6_jNS0_17counting_iteratorIjlEEPS9_SE_NS0_5tupleIJPjSE_EEENSF_IJSE_SE_EEES9_SG_JZNS1_25segmented_radix_sort_implINS0_14default_configELb0EPKlPlSM_SN_N2at6native12_GLOBAL__N_18offset_tEEE10hipError_tPvRmT1_PNSt15iterator_traitsISV_E10value_typeET2_T3_PNSW_IS11_E10value_typeET4_jRbjT5_S17_jjP12ihipStream_tbEUljE_EEESS_ST_SU_S11_S15_S17_T6_T7_T9_mT8_S19_bDpT10_ENKUlT_T0_E_clISt17integral_constantIbLb0EES1M_EEDaS1H_S1I_EUlS1H_E_NS1_11comp_targetILNS1_3genE9ELNS1_11target_archE1100ELNS1_3gpuE3ELNS1_3repE0EEENS1_30default_config_static_selectorELNS0_4arch9wavefront6targetE0EEEvSV_,comdat
	.globl	_ZN7rocprim17ROCPRIM_400000_NS6detail17trampoline_kernelINS0_13select_configILj256ELj13ELNS0_17block_load_methodE3ELS4_3ELS4_3ELNS0_20block_scan_algorithmE0ELj4294967295EEENS1_25partition_config_selectorILNS1_17partition_subalgoE3EjNS0_10empty_typeEbEEZZNS1_14partition_implILS8_3ELb0ES6_jNS0_17counting_iteratorIjlEEPS9_SE_NS0_5tupleIJPjSE_EEENSF_IJSE_SE_EEES9_SG_JZNS1_25segmented_radix_sort_implINS0_14default_configELb0EPKlPlSM_SN_N2at6native12_GLOBAL__N_18offset_tEEE10hipError_tPvRmT1_PNSt15iterator_traitsISV_E10value_typeET2_T3_PNSW_IS11_E10value_typeET4_jRbjT5_S17_jjP12ihipStream_tbEUljE_EEESS_ST_SU_S11_S15_S17_T6_T7_T9_mT8_S19_bDpT10_ENKUlT_T0_E_clISt17integral_constantIbLb0EES1M_EEDaS1H_S1I_EUlS1H_E_NS1_11comp_targetILNS1_3genE9ELNS1_11target_archE1100ELNS1_3gpuE3ELNS1_3repE0EEENS1_30default_config_static_selectorELNS0_4arch9wavefront6targetE0EEEvSV_ ; -- Begin function _ZN7rocprim17ROCPRIM_400000_NS6detail17trampoline_kernelINS0_13select_configILj256ELj13ELNS0_17block_load_methodE3ELS4_3ELS4_3ELNS0_20block_scan_algorithmE0ELj4294967295EEENS1_25partition_config_selectorILNS1_17partition_subalgoE3EjNS0_10empty_typeEbEEZZNS1_14partition_implILS8_3ELb0ES6_jNS0_17counting_iteratorIjlEEPS9_SE_NS0_5tupleIJPjSE_EEENSF_IJSE_SE_EEES9_SG_JZNS1_25segmented_radix_sort_implINS0_14default_configELb0EPKlPlSM_SN_N2at6native12_GLOBAL__N_18offset_tEEE10hipError_tPvRmT1_PNSt15iterator_traitsISV_E10value_typeET2_T3_PNSW_IS11_E10value_typeET4_jRbjT5_S17_jjP12ihipStream_tbEUljE_EEESS_ST_SU_S11_S15_S17_T6_T7_T9_mT8_S19_bDpT10_ENKUlT_T0_E_clISt17integral_constantIbLb0EES1M_EEDaS1H_S1I_EUlS1H_E_NS1_11comp_targetILNS1_3genE9ELNS1_11target_archE1100ELNS1_3gpuE3ELNS1_3repE0EEENS1_30default_config_static_selectorELNS0_4arch9wavefront6targetE0EEEvSV_
	.p2align	8
	.type	_ZN7rocprim17ROCPRIM_400000_NS6detail17trampoline_kernelINS0_13select_configILj256ELj13ELNS0_17block_load_methodE3ELS4_3ELS4_3ELNS0_20block_scan_algorithmE0ELj4294967295EEENS1_25partition_config_selectorILNS1_17partition_subalgoE3EjNS0_10empty_typeEbEEZZNS1_14partition_implILS8_3ELb0ES6_jNS0_17counting_iteratorIjlEEPS9_SE_NS0_5tupleIJPjSE_EEENSF_IJSE_SE_EEES9_SG_JZNS1_25segmented_radix_sort_implINS0_14default_configELb0EPKlPlSM_SN_N2at6native12_GLOBAL__N_18offset_tEEE10hipError_tPvRmT1_PNSt15iterator_traitsISV_E10value_typeET2_T3_PNSW_IS11_E10value_typeET4_jRbjT5_S17_jjP12ihipStream_tbEUljE_EEESS_ST_SU_S11_S15_S17_T6_T7_T9_mT8_S19_bDpT10_ENKUlT_T0_E_clISt17integral_constantIbLb0EES1M_EEDaS1H_S1I_EUlS1H_E_NS1_11comp_targetILNS1_3genE9ELNS1_11target_archE1100ELNS1_3gpuE3ELNS1_3repE0EEENS1_30default_config_static_selectorELNS0_4arch9wavefront6targetE0EEEvSV_,@function
_ZN7rocprim17ROCPRIM_400000_NS6detail17trampoline_kernelINS0_13select_configILj256ELj13ELNS0_17block_load_methodE3ELS4_3ELS4_3ELNS0_20block_scan_algorithmE0ELj4294967295EEENS1_25partition_config_selectorILNS1_17partition_subalgoE3EjNS0_10empty_typeEbEEZZNS1_14partition_implILS8_3ELb0ES6_jNS0_17counting_iteratorIjlEEPS9_SE_NS0_5tupleIJPjSE_EEENSF_IJSE_SE_EEES9_SG_JZNS1_25segmented_radix_sort_implINS0_14default_configELb0EPKlPlSM_SN_N2at6native12_GLOBAL__N_18offset_tEEE10hipError_tPvRmT1_PNSt15iterator_traitsISV_E10value_typeET2_T3_PNSW_IS11_E10value_typeET4_jRbjT5_S17_jjP12ihipStream_tbEUljE_EEESS_ST_SU_S11_S15_S17_T6_T7_T9_mT8_S19_bDpT10_ENKUlT_T0_E_clISt17integral_constantIbLb0EES1M_EEDaS1H_S1I_EUlS1H_E_NS1_11comp_targetILNS1_3genE9ELNS1_11target_archE1100ELNS1_3gpuE3ELNS1_3repE0EEENS1_30default_config_static_selectorELNS0_4arch9wavefront6targetE0EEEvSV_: ; @_ZN7rocprim17ROCPRIM_400000_NS6detail17trampoline_kernelINS0_13select_configILj256ELj13ELNS0_17block_load_methodE3ELS4_3ELS4_3ELNS0_20block_scan_algorithmE0ELj4294967295EEENS1_25partition_config_selectorILNS1_17partition_subalgoE3EjNS0_10empty_typeEbEEZZNS1_14partition_implILS8_3ELb0ES6_jNS0_17counting_iteratorIjlEEPS9_SE_NS0_5tupleIJPjSE_EEENSF_IJSE_SE_EEES9_SG_JZNS1_25segmented_radix_sort_implINS0_14default_configELb0EPKlPlSM_SN_N2at6native12_GLOBAL__N_18offset_tEEE10hipError_tPvRmT1_PNSt15iterator_traitsISV_E10value_typeET2_T3_PNSW_IS11_E10value_typeET4_jRbjT5_S17_jjP12ihipStream_tbEUljE_EEESS_ST_SU_S11_S15_S17_T6_T7_T9_mT8_S19_bDpT10_ENKUlT_T0_E_clISt17integral_constantIbLb0EES1M_EEDaS1H_S1I_EUlS1H_E_NS1_11comp_targetILNS1_3genE9ELNS1_11target_archE1100ELNS1_3gpuE3ELNS1_3repE0EEENS1_30default_config_static_selectorELNS0_4arch9wavefront6targetE0EEEvSV_
; %bb.0:
	.section	.rodata,"a",@progbits
	.p2align	6, 0x0
	.amdhsa_kernel _ZN7rocprim17ROCPRIM_400000_NS6detail17trampoline_kernelINS0_13select_configILj256ELj13ELNS0_17block_load_methodE3ELS4_3ELS4_3ELNS0_20block_scan_algorithmE0ELj4294967295EEENS1_25partition_config_selectorILNS1_17partition_subalgoE3EjNS0_10empty_typeEbEEZZNS1_14partition_implILS8_3ELb0ES6_jNS0_17counting_iteratorIjlEEPS9_SE_NS0_5tupleIJPjSE_EEENSF_IJSE_SE_EEES9_SG_JZNS1_25segmented_radix_sort_implINS0_14default_configELb0EPKlPlSM_SN_N2at6native12_GLOBAL__N_18offset_tEEE10hipError_tPvRmT1_PNSt15iterator_traitsISV_E10value_typeET2_T3_PNSW_IS11_E10value_typeET4_jRbjT5_S17_jjP12ihipStream_tbEUljE_EEESS_ST_SU_S11_S15_S17_T6_T7_T9_mT8_S19_bDpT10_ENKUlT_T0_E_clISt17integral_constantIbLb0EES1M_EEDaS1H_S1I_EUlS1H_E_NS1_11comp_targetILNS1_3genE9ELNS1_11target_archE1100ELNS1_3gpuE3ELNS1_3repE0EEENS1_30default_config_static_selectorELNS0_4arch9wavefront6targetE0EEEvSV_
		.amdhsa_group_segment_fixed_size 0
		.amdhsa_private_segment_fixed_size 0
		.amdhsa_kernarg_size 144
		.amdhsa_user_sgpr_count 6
		.amdhsa_user_sgpr_private_segment_buffer 1
		.amdhsa_user_sgpr_dispatch_ptr 0
		.amdhsa_user_sgpr_queue_ptr 0
		.amdhsa_user_sgpr_kernarg_segment_ptr 1
		.amdhsa_user_sgpr_dispatch_id 0
		.amdhsa_user_sgpr_flat_scratch_init 0
		.amdhsa_user_sgpr_private_segment_size 0
		.amdhsa_wavefront_size32 1
		.amdhsa_uses_dynamic_stack 0
		.amdhsa_system_sgpr_private_segment_wavefront_offset 0
		.amdhsa_system_sgpr_workgroup_id_x 1
		.amdhsa_system_sgpr_workgroup_id_y 0
		.amdhsa_system_sgpr_workgroup_id_z 0
		.amdhsa_system_sgpr_workgroup_info 0
		.amdhsa_system_vgpr_workitem_id 0
		.amdhsa_next_free_vgpr 1
		.amdhsa_next_free_sgpr 1
		.amdhsa_reserve_vcc 0
		.amdhsa_reserve_flat_scratch 0
		.amdhsa_float_round_mode_32 0
		.amdhsa_float_round_mode_16_64 0
		.amdhsa_float_denorm_mode_32 3
		.amdhsa_float_denorm_mode_16_64 3
		.amdhsa_dx10_clamp 1
		.amdhsa_ieee_mode 1
		.amdhsa_fp16_overflow 0
		.amdhsa_workgroup_processor_mode 1
		.amdhsa_memory_ordered 1
		.amdhsa_forward_progress 1
		.amdhsa_shared_vgpr_count 0
		.amdhsa_exception_fp_ieee_invalid_op 0
		.amdhsa_exception_fp_denorm_src 0
		.amdhsa_exception_fp_ieee_div_zero 0
		.amdhsa_exception_fp_ieee_overflow 0
		.amdhsa_exception_fp_ieee_underflow 0
		.amdhsa_exception_fp_ieee_inexact 0
		.amdhsa_exception_int_div_zero 0
	.end_amdhsa_kernel
	.section	.text._ZN7rocprim17ROCPRIM_400000_NS6detail17trampoline_kernelINS0_13select_configILj256ELj13ELNS0_17block_load_methodE3ELS4_3ELS4_3ELNS0_20block_scan_algorithmE0ELj4294967295EEENS1_25partition_config_selectorILNS1_17partition_subalgoE3EjNS0_10empty_typeEbEEZZNS1_14partition_implILS8_3ELb0ES6_jNS0_17counting_iteratorIjlEEPS9_SE_NS0_5tupleIJPjSE_EEENSF_IJSE_SE_EEES9_SG_JZNS1_25segmented_radix_sort_implINS0_14default_configELb0EPKlPlSM_SN_N2at6native12_GLOBAL__N_18offset_tEEE10hipError_tPvRmT1_PNSt15iterator_traitsISV_E10value_typeET2_T3_PNSW_IS11_E10value_typeET4_jRbjT5_S17_jjP12ihipStream_tbEUljE_EEESS_ST_SU_S11_S15_S17_T6_T7_T9_mT8_S19_bDpT10_ENKUlT_T0_E_clISt17integral_constantIbLb0EES1M_EEDaS1H_S1I_EUlS1H_E_NS1_11comp_targetILNS1_3genE9ELNS1_11target_archE1100ELNS1_3gpuE3ELNS1_3repE0EEENS1_30default_config_static_selectorELNS0_4arch9wavefront6targetE0EEEvSV_,"axG",@progbits,_ZN7rocprim17ROCPRIM_400000_NS6detail17trampoline_kernelINS0_13select_configILj256ELj13ELNS0_17block_load_methodE3ELS4_3ELS4_3ELNS0_20block_scan_algorithmE0ELj4294967295EEENS1_25partition_config_selectorILNS1_17partition_subalgoE3EjNS0_10empty_typeEbEEZZNS1_14partition_implILS8_3ELb0ES6_jNS0_17counting_iteratorIjlEEPS9_SE_NS0_5tupleIJPjSE_EEENSF_IJSE_SE_EEES9_SG_JZNS1_25segmented_radix_sort_implINS0_14default_configELb0EPKlPlSM_SN_N2at6native12_GLOBAL__N_18offset_tEEE10hipError_tPvRmT1_PNSt15iterator_traitsISV_E10value_typeET2_T3_PNSW_IS11_E10value_typeET4_jRbjT5_S17_jjP12ihipStream_tbEUljE_EEESS_ST_SU_S11_S15_S17_T6_T7_T9_mT8_S19_bDpT10_ENKUlT_T0_E_clISt17integral_constantIbLb0EES1M_EEDaS1H_S1I_EUlS1H_E_NS1_11comp_targetILNS1_3genE9ELNS1_11target_archE1100ELNS1_3gpuE3ELNS1_3repE0EEENS1_30default_config_static_selectorELNS0_4arch9wavefront6targetE0EEEvSV_,comdat
.Lfunc_end775:
	.size	_ZN7rocprim17ROCPRIM_400000_NS6detail17trampoline_kernelINS0_13select_configILj256ELj13ELNS0_17block_load_methodE3ELS4_3ELS4_3ELNS0_20block_scan_algorithmE0ELj4294967295EEENS1_25partition_config_selectorILNS1_17partition_subalgoE3EjNS0_10empty_typeEbEEZZNS1_14partition_implILS8_3ELb0ES6_jNS0_17counting_iteratorIjlEEPS9_SE_NS0_5tupleIJPjSE_EEENSF_IJSE_SE_EEES9_SG_JZNS1_25segmented_radix_sort_implINS0_14default_configELb0EPKlPlSM_SN_N2at6native12_GLOBAL__N_18offset_tEEE10hipError_tPvRmT1_PNSt15iterator_traitsISV_E10value_typeET2_T3_PNSW_IS11_E10value_typeET4_jRbjT5_S17_jjP12ihipStream_tbEUljE_EEESS_ST_SU_S11_S15_S17_T6_T7_T9_mT8_S19_bDpT10_ENKUlT_T0_E_clISt17integral_constantIbLb0EES1M_EEDaS1H_S1I_EUlS1H_E_NS1_11comp_targetILNS1_3genE9ELNS1_11target_archE1100ELNS1_3gpuE3ELNS1_3repE0EEENS1_30default_config_static_selectorELNS0_4arch9wavefront6targetE0EEEvSV_, .Lfunc_end775-_ZN7rocprim17ROCPRIM_400000_NS6detail17trampoline_kernelINS0_13select_configILj256ELj13ELNS0_17block_load_methodE3ELS4_3ELS4_3ELNS0_20block_scan_algorithmE0ELj4294967295EEENS1_25partition_config_selectorILNS1_17partition_subalgoE3EjNS0_10empty_typeEbEEZZNS1_14partition_implILS8_3ELb0ES6_jNS0_17counting_iteratorIjlEEPS9_SE_NS0_5tupleIJPjSE_EEENSF_IJSE_SE_EEES9_SG_JZNS1_25segmented_radix_sort_implINS0_14default_configELb0EPKlPlSM_SN_N2at6native12_GLOBAL__N_18offset_tEEE10hipError_tPvRmT1_PNSt15iterator_traitsISV_E10value_typeET2_T3_PNSW_IS11_E10value_typeET4_jRbjT5_S17_jjP12ihipStream_tbEUljE_EEESS_ST_SU_S11_S15_S17_T6_T7_T9_mT8_S19_bDpT10_ENKUlT_T0_E_clISt17integral_constantIbLb0EES1M_EEDaS1H_S1I_EUlS1H_E_NS1_11comp_targetILNS1_3genE9ELNS1_11target_archE1100ELNS1_3gpuE3ELNS1_3repE0EEENS1_30default_config_static_selectorELNS0_4arch9wavefront6targetE0EEEvSV_
                                        ; -- End function
	.set _ZN7rocprim17ROCPRIM_400000_NS6detail17trampoline_kernelINS0_13select_configILj256ELj13ELNS0_17block_load_methodE3ELS4_3ELS4_3ELNS0_20block_scan_algorithmE0ELj4294967295EEENS1_25partition_config_selectorILNS1_17partition_subalgoE3EjNS0_10empty_typeEbEEZZNS1_14partition_implILS8_3ELb0ES6_jNS0_17counting_iteratorIjlEEPS9_SE_NS0_5tupleIJPjSE_EEENSF_IJSE_SE_EEES9_SG_JZNS1_25segmented_radix_sort_implINS0_14default_configELb0EPKlPlSM_SN_N2at6native12_GLOBAL__N_18offset_tEEE10hipError_tPvRmT1_PNSt15iterator_traitsISV_E10value_typeET2_T3_PNSW_IS11_E10value_typeET4_jRbjT5_S17_jjP12ihipStream_tbEUljE_EEESS_ST_SU_S11_S15_S17_T6_T7_T9_mT8_S19_bDpT10_ENKUlT_T0_E_clISt17integral_constantIbLb0EES1M_EEDaS1H_S1I_EUlS1H_E_NS1_11comp_targetILNS1_3genE9ELNS1_11target_archE1100ELNS1_3gpuE3ELNS1_3repE0EEENS1_30default_config_static_selectorELNS0_4arch9wavefront6targetE0EEEvSV_.num_vgpr, 0
	.set _ZN7rocprim17ROCPRIM_400000_NS6detail17trampoline_kernelINS0_13select_configILj256ELj13ELNS0_17block_load_methodE3ELS4_3ELS4_3ELNS0_20block_scan_algorithmE0ELj4294967295EEENS1_25partition_config_selectorILNS1_17partition_subalgoE3EjNS0_10empty_typeEbEEZZNS1_14partition_implILS8_3ELb0ES6_jNS0_17counting_iteratorIjlEEPS9_SE_NS0_5tupleIJPjSE_EEENSF_IJSE_SE_EEES9_SG_JZNS1_25segmented_radix_sort_implINS0_14default_configELb0EPKlPlSM_SN_N2at6native12_GLOBAL__N_18offset_tEEE10hipError_tPvRmT1_PNSt15iterator_traitsISV_E10value_typeET2_T3_PNSW_IS11_E10value_typeET4_jRbjT5_S17_jjP12ihipStream_tbEUljE_EEESS_ST_SU_S11_S15_S17_T6_T7_T9_mT8_S19_bDpT10_ENKUlT_T0_E_clISt17integral_constantIbLb0EES1M_EEDaS1H_S1I_EUlS1H_E_NS1_11comp_targetILNS1_3genE9ELNS1_11target_archE1100ELNS1_3gpuE3ELNS1_3repE0EEENS1_30default_config_static_selectorELNS0_4arch9wavefront6targetE0EEEvSV_.num_agpr, 0
	.set _ZN7rocprim17ROCPRIM_400000_NS6detail17trampoline_kernelINS0_13select_configILj256ELj13ELNS0_17block_load_methodE3ELS4_3ELS4_3ELNS0_20block_scan_algorithmE0ELj4294967295EEENS1_25partition_config_selectorILNS1_17partition_subalgoE3EjNS0_10empty_typeEbEEZZNS1_14partition_implILS8_3ELb0ES6_jNS0_17counting_iteratorIjlEEPS9_SE_NS0_5tupleIJPjSE_EEENSF_IJSE_SE_EEES9_SG_JZNS1_25segmented_radix_sort_implINS0_14default_configELb0EPKlPlSM_SN_N2at6native12_GLOBAL__N_18offset_tEEE10hipError_tPvRmT1_PNSt15iterator_traitsISV_E10value_typeET2_T3_PNSW_IS11_E10value_typeET4_jRbjT5_S17_jjP12ihipStream_tbEUljE_EEESS_ST_SU_S11_S15_S17_T6_T7_T9_mT8_S19_bDpT10_ENKUlT_T0_E_clISt17integral_constantIbLb0EES1M_EEDaS1H_S1I_EUlS1H_E_NS1_11comp_targetILNS1_3genE9ELNS1_11target_archE1100ELNS1_3gpuE3ELNS1_3repE0EEENS1_30default_config_static_selectorELNS0_4arch9wavefront6targetE0EEEvSV_.numbered_sgpr, 0
	.set _ZN7rocprim17ROCPRIM_400000_NS6detail17trampoline_kernelINS0_13select_configILj256ELj13ELNS0_17block_load_methodE3ELS4_3ELS4_3ELNS0_20block_scan_algorithmE0ELj4294967295EEENS1_25partition_config_selectorILNS1_17partition_subalgoE3EjNS0_10empty_typeEbEEZZNS1_14partition_implILS8_3ELb0ES6_jNS0_17counting_iteratorIjlEEPS9_SE_NS0_5tupleIJPjSE_EEENSF_IJSE_SE_EEES9_SG_JZNS1_25segmented_radix_sort_implINS0_14default_configELb0EPKlPlSM_SN_N2at6native12_GLOBAL__N_18offset_tEEE10hipError_tPvRmT1_PNSt15iterator_traitsISV_E10value_typeET2_T3_PNSW_IS11_E10value_typeET4_jRbjT5_S17_jjP12ihipStream_tbEUljE_EEESS_ST_SU_S11_S15_S17_T6_T7_T9_mT8_S19_bDpT10_ENKUlT_T0_E_clISt17integral_constantIbLb0EES1M_EEDaS1H_S1I_EUlS1H_E_NS1_11comp_targetILNS1_3genE9ELNS1_11target_archE1100ELNS1_3gpuE3ELNS1_3repE0EEENS1_30default_config_static_selectorELNS0_4arch9wavefront6targetE0EEEvSV_.num_named_barrier, 0
	.set _ZN7rocprim17ROCPRIM_400000_NS6detail17trampoline_kernelINS0_13select_configILj256ELj13ELNS0_17block_load_methodE3ELS4_3ELS4_3ELNS0_20block_scan_algorithmE0ELj4294967295EEENS1_25partition_config_selectorILNS1_17partition_subalgoE3EjNS0_10empty_typeEbEEZZNS1_14partition_implILS8_3ELb0ES6_jNS0_17counting_iteratorIjlEEPS9_SE_NS0_5tupleIJPjSE_EEENSF_IJSE_SE_EEES9_SG_JZNS1_25segmented_radix_sort_implINS0_14default_configELb0EPKlPlSM_SN_N2at6native12_GLOBAL__N_18offset_tEEE10hipError_tPvRmT1_PNSt15iterator_traitsISV_E10value_typeET2_T3_PNSW_IS11_E10value_typeET4_jRbjT5_S17_jjP12ihipStream_tbEUljE_EEESS_ST_SU_S11_S15_S17_T6_T7_T9_mT8_S19_bDpT10_ENKUlT_T0_E_clISt17integral_constantIbLb0EES1M_EEDaS1H_S1I_EUlS1H_E_NS1_11comp_targetILNS1_3genE9ELNS1_11target_archE1100ELNS1_3gpuE3ELNS1_3repE0EEENS1_30default_config_static_selectorELNS0_4arch9wavefront6targetE0EEEvSV_.private_seg_size, 0
	.set _ZN7rocprim17ROCPRIM_400000_NS6detail17trampoline_kernelINS0_13select_configILj256ELj13ELNS0_17block_load_methodE3ELS4_3ELS4_3ELNS0_20block_scan_algorithmE0ELj4294967295EEENS1_25partition_config_selectorILNS1_17partition_subalgoE3EjNS0_10empty_typeEbEEZZNS1_14partition_implILS8_3ELb0ES6_jNS0_17counting_iteratorIjlEEPS9_SE_NS0_5tupleIJPjSE_EEENSF_IJSE_SE_EEES9_SG_JZNS1_25segmented_radix_sort_implINS0_14default_configELb0EPKlPlSM_SN_N2at6native12_GLOBAL__N_18offset_tEEE10hipError_tPvRmT1_PNSt15iterator_traitsISV_E10value_typeET2_T3_PNSW_IS11_E10value_typeET4_jRbjT5_S17_jjP12ihipStream_tbEUljE_EEESS_ST_SU_S11_S15_S17_T6_T7_T9_mT8_S19_bDpT10_ENKUlT_T0_E_clISt17integral_constantIbLb0EES1M_EEDaS1H_S1I_EUlS1H_E_NS1_11comp_targetILNS1_3genE9ELNS1_11target_archE1100ELNS1_3gpuE3ELNS1_3repE0EEENS1_30default_config_static_selectorELNS0_4arch9wavefront6targetE0EEEvSV_.uses_vcc, 0
	.set _ZN7rocprim17ROCPRIM_400000_NS6detail17trampoline_kernelINS0_13select_configILj256ELj13ELNS0_17block_load_methodE3ELS4_3ELS4_3ELNS0_20block_scan_algorithmE0ELj4294967295EEENS1_25partition_config_selectorILNS1_17partition_subalgoE3EjNS0_10empty_typeEbEEZZNS1_14partition_implILS8_3ELb0ES6_jNS0_17counting_iteratorIjlEEPS9_SE_NS0_5tupleIJPjSE_EEENSF_IJSE_SE_EEES9_SG_JZNS1_25segmented_radix_sort_implINS0_14default_configELb0EPKlPlSM_SN_N2at6native12_GLOBAL__N_18offset_tEEE10hipError_tPvRmT1_PNSt15iterator_traitsISV_E10value_typeET2_T3_PNSW_IS11_E10value_typeET4_jRbjT5_S17_jjP12ihipStream_tbEUljE_EEESS_ST_SU_S11_S15_S17_T6_T7_T9_mT8_S19_bDpT10_ENKUlT_T0_E_clISt17integral_constantIbLb0EES1M_EEDaS1H_S1I_EUlS1H_E_NS1_11comp_targetILNS1_3genE9ELNS1_11target_archE1100ELNS1_3gpuE3ELNS1_3repE0EEENS1_30default_config_static_selectorELNS0_4arch9wavefront6targetE0EEEvSV_.uses_flat_scratch, 0
	.set _ZN7rocprim17ROCPRIM_400000_NS6detail17trampoline_kernelINS0_13select_configILj256ELj13ELNS0_17block_load_methodE3ELS4_3ELS4_3ELNS0_20block_scan_algorithmE0ELj4294967295EEENS1_25partition_config_selectorILNS1_17partition_subalgoE3EjNS0_10empty_typeEbEEZZNS1_14partition_implILS8_3ELb0ES6_jNS0_17counting_iteratorIjlEEPS9_SE_NS0_5tupleIJPjSE_EEENSF_IJSE_SE_EEES9_SG_JZNS1_25segmented_radix_sort_implINS0_14default_configELb0EPKlPlSM_SN_N2at6native12_GLOBAL__N_18offset_tEEE10hipError_tPvRmT1_PNSt15iterator_traitsISV_E10value_typeET2_T3_PNSW_IS11_E10value_typeET4_jRbjT5_S17_jjP12ihipStream_tbEUljE_EEESS_ST_SU_S11_S15_S17_T6_T7_T9_mT8_S19_bDpT10_ENKUlT_T0_E_clISt17integral_constantIbLb0EES1M_EEDaS1H_S1I_EUlS1H_E_NS1_11comp_targetILNS1_3genE9ELNS1_11target_archE1100ELNS1_3gpuE3ELNS1_3repE0EEENS1_30default_config_static_selectorELNS0_4arch9wavefront6targetE0EEEvSV_.has_dyn_sized_stack, 0
	.set _ZN7rocprim17ROCPRIM_400000_NS6detail17trampoline_kernelINS0_13select_configILj256ELj13ELNS0_17block_load_methodE3ELS4_3ELS4_3ELNS0_20block_scan_algorithmE0ELj4294967295EEENS1_25partition_config_selectorILNS1_17partition_subalgoE3EjNS0_10empty_typeEbEEZZNS1_14partition_implILS8_3ELb0ES6_jNS0_17counting_iteratorIjlEEPS9_SE_NS0_5tupleIJPjSE_EEENSF_IJSE_SE_EEES9_SG_JZNS1_25segmented_radix_sort_implINS0_14default_configELb0EPKlPlSM_SN_N2at6native12_GLOBAL__N_18offset_tEEE10hipError_tPvRmT1_PNSt15iterator_traitsISV_E10value_typeET2_T3_PNSW_IS11_E10value_typeET4_jRbjT5_S17_jjP12ihipStream_tbEUljE_EEESS_ST_SU_S11_S15_S17_T6_T7_T9_mT8_S19_bDpT10_ENKUlT_T0_E_clISt17integral_constantIbLb0EES1M_EEDaS1H_S1I_EUlS1H_E_NS1_11comp_targetILNS1_3genE9ELNS1_11target_archE1100ELNS1_3gpuE3ELNS1_3repE0EEENS1_30default_config_static_selectorELNS0_4arch9wavefront6targetE0EEEvSV_.has_recursion, 0
	.set _ZN7rocprim17ROCPRIM_400000_NS6detail17trampoline_kernelINS0_13select_configILj256ELj13ELNS0_17block_load_methodE3ELS4_3ELS4_3ELNS0_20block_scan_algorithmE0ELj4294967295EEENS1_25partition_config_selectorILNS1_17partition_subalgoE3EjNS0_10empty_typeEbEEZZNS1_14partition_implILS8_3ELb0ES6_jNS0_17counting_iteratorIjlEEPS9_SE_NS0_5tupleIJPjSE_EEENSF_IJSE_SE_EEES9_SG_JZNS1_25segmented_radix_sort_implINS0_14default_configELb0EPKlPlSM_SN_N2at6native12_GLOBAL__N_18offset_tEEE10hipError_tPvRmT1_PNSt15iterator_traitsISV_E10value_typeET2_T3_PNSW_IS11_E10value_typeET4_jRbjT5_S17_jjP12ihipStream_tbEUljE_EEESS_ST_SU_S11_S15_S17_T6_T7_T9_mT8_S19_bDpT10_ENKUlT_T0_E_clISt17integral_constantIbLb0EES1M_EEDaS1H_S1I_EUlS1H_E_NS1_11comp_targetILNS1_3genE9ELNS1_11target_archE1100ELNS1_3gpuE3ELNS1_3repE0EEENS1_30default_config_static_selectorELNS0_4arch9wavefront6targetE0EEEvSV_.has_indirect_call, 0
	.section	.AMDGPU.csdata,"",@progbits
; Kernel info:
; codeLenInByte = 0
; TotalNumSgprs: 0
; NumVgprs: 0
; ScratchSize: 0
; MemoryBound: 0
; FloatMode: 240
; IeeeMode: 1
; LDSByteSize: 0 bytes/workgroup (compile time only)
; SGPRBlocks: 0
; VGPRBlocks: 0
; NumSGPRsForWavesPerEU: 1
; NumVGPRsForWavesPerEU: 1
; Occupancy: 16
; WaveLimiterHint : 0
; COMPUTE_PGM_RSRC2:SCRATCH_EN: 0
; COMPUTE_PGM_RSRC2:USER_SGPR: 6
; COMPUTE_PGM_RSRC2:TRAP_HANDLER: 0
; COMPUTE_PGM_RSRC2:TGID_X_EN: 1
; COMPUTE_PGM_RSRC2:TGID_Y_EN: 0
; COMPUTE_PGM_RSRC2:TGID_Z_EN: 0
; COMPUTE_PGM_RSRC2:TIDIG_COMP_CNT: 0
	.section	.text._ZN7rocprim17ROCPRIM_400000_NS6detail17trampoline_kernelINS0_13select_configILj256ELj13ELNS0_17block_load_methodE3ELS4_3ELS4_3ELNS0_20block_scan_algorithmE0ELj4294967295EEENS1_25partition_config_selectorILNS1_17partition_subalgoE3EjNS0_10empty_typeEbEEZZNS1_14partition_implILS8_3ELb0ES6_jNS0_17counting_iteratorIjlEEPS9_SE_NS0_5tupleIJPjSE_EEENSF_IJSE_SE_EEES9_SG_JZNS1_25segmented_radix_sort_implINS0_14default_configELb0EPKlPlSM_SN_N2at6native12_GLOBAL__N_18offset_tEEE10hipError_tPvRmT1_PNSt15iterator_traitsISV_E10value_typeET2_T3_PNSW_IS11_E10value_typeET4_jRbjT5_S17_jjP12ihipStream_tbEUljE_EEESS_ST_SU_S11_S15_S17_T6_T7_T9_mT8_S19_bDpT10_ENKUlT_T0_E_clISt17integral_constantIbLb0EES1M_EEDaS1H_S1I_EUlS1H_E_NS1_11comp_targetILNS1_3genE8ELNS1_11target_archE1030ELNS1_3gpuE2ELNS1_3repE0EEENS1_30default_config_static_selectorELNS0_4arch9wavefront6targetE0EEEvSV_,"axG",@progbits,_ZN7rocprim17ROCPRIM_400000_NS6detail17trampoline_kernelINS0_13select_configILj256ELj13ELNS0_17block_load_methodE3ELS4_3ELS4_3ELNS0_20block_scan_algorithmE0ELj4294967295EEENS1_25partition_config_selectorILNS1_17partition_subalgoE3EjNS0_10empty_typeEbEEZZNS1_14partition_implILS8_3ELb0ES6_jNS0_17counting_iteratorIjlEEPS9_SE_NS0_5tupleIJPjSE_EEENSF_IJSE_SE_EEES9_SG_JZNS1_25segmented_radix_sort_implINS0_14default_configELb0EPKlPlSM_SN_N2at6native12_GLOBAL__N_18offset_tEEE10hipError_tPvRmT1_PNSt15iterator_traitsISV_E10value_typeET2_T3_PNSW_IS11_E10value_typeET4_jRbjT5_S17_jjP12ihipStream_tbEUljE_EEESS_ST_SU_S11_S15_S17_T6_T7_T9_mT8_S19_bDpT10_ENKUlT_T0_E_clISt17integral_constantIbLb0EES1M_EEDaS1H_S1I_EUlS1H_E_NS1_11comp_targetILNS1_3genE8ELNS1_11target_archE1030ELNS1_3gpuE2ELNS1_3repE0EEENS1_30default_config_static_selectorELNS0_4arch9wavefront6targetE0EEEvSV_,comdat
	.globl	_ZN7rocprim17ROCPRIM_400000_NS6detail17trampoline_kernelINS0_13select_configILj256ELj13ELNS0_17block_load_methodE3ELS4_3ELS4_3ELNS0_20block_scan_algorithmE0ELj4294967295EEENS1_25partition_config_selectorILNS1_17partition_subalgoE3EjNS0_10empty_typeEbEEZZNS1_14partition_implILS8_3ELb0ES6_jNS0_17counting_iteratorIjlEEPS9_SE_NS0_5tupleIJPjSE_EEENSF_IJSE_SE_EEES9_SG_JZNS1_25segmented_radix_sort_implINS0_14default_configELb0EPKlPlSM_SN_N2at6native12_GLOBAL__N_18offset_tEEE10hipError_tPvRmT1_PNSt15iterator_traitsISV_E10value_typeET2_T3_PNSW_IS11_E10value_typeET4_jRbjT5_S17_jjP12ihipStream_tbEUljE_EEESS_ST_SU_S11_S15_S17_T6_T7_T9_mT8_S19_bDpT10_ENKUlT_T0_E_clISt17integral_constantIbLb0EES1M_EEDaS1H_S1I_EUlS1H_E_NS1_11comp_targetILNS1_3genE8ELNS1_11target_archE1030ELNS1_3gpuE2ELNS1_3repE0EEENS1_30default_config_static_selectorELNS0_4arch9wavefront6targetE0EEEvSV_ ; -- Begin function _ZN7rocprim17ROCPRIM_400000_NS6detail17trampoline_kernelINS0_13select_configILj256ELj13ELNS0_17block_load_methodE3ELS4_3ELS4_3ELNS0_20block_scan_algorithmE0ELj4294967295EEENS1_25partition_config_selectorILNS1_17partition_subalgoE3EjNS0_10empty_typeEbEEZZNS1_14partition_implILS8_3ELb0ES6_jNS0_17counting_iteratorIjlEEPS9_SE_NS0_5tupleIJPjSE_EEENSF_IJSE_SE_EEES9_SG_JZNS1_25segmented_radix_sort_implINS0_14default_configELb0EPKlPlSM_SN_N2at6native12_GLOBAL__N_18offset_tEEE10hipError_tPvRmT1_PNSt15iterator_traitsISV_E10value_typeET2_T3_PNSW_IS11_E10value_typeET4_jRbjT5_S17_jjP12ihipStream_tbEUljE_EEESS_ST_SU_S11_S15_S17_T6_T7_T9_mT8_S19_bDpT10_ENKUlT_T0_E_clISt17integral_constantIbLb0EES1M_EEDaS1H_S1I_EUlS1H_E_NS1_11comp_targetILNS1_3genE8ELNS1_11target_archE1030ELNS1_3gpuE2ELNS1_3repE0EEENS1_30default_config_static_selectorELNS0_4arch9wavefront6targetE0EEEvSV_
	.p2align	8
	.type	_ZN7rocprim17ROCPRIM_400000_NS6detail17trampoline_kernelINS0_13select_configILj256ELj13ELNS0_17block_load_methodE3ELS4_3ELS4_3ELNS0_20block_scan_algorithmE0ELj4294967295EEENS1_25partition_config_selectorILNS1_17partition_subalgoE3EjNS0_10empty_typeEbEEZZNS1_14partition_implILS8_3ELb0ES6_jNS0_17counting_iteratorIjlEEPS9_SE_NS0_5tupleIJPjSE_EEENSF_IJSE_SE_EEES9_SG_JZNS1_25segmented_radix_sort_implINS0_14default_configELb0EPKlPlSM_SN_N2at6native12_GLOBAL__N_18offset_tEEE10hipError_tPvRmT1_PNSt15iterator_traitsISV_E10value_typeET2_T3_PNSW_IS11_E10value_typeET4_jRbjT5_S17_jjP12ihipStream_tbEUljE_EEESS_ST_SU_S11_S15_S17_T6_T7_T9_mT8_S19_bDpT10_ENKUlT_T0_E_clISt17integral_constantIbLb0EES1M_EEDaS1H_S1I_EUlS1H_E_NS1_11comp_targetILNS1_3genE8ELNS1_11target_archE1030ELNS1_3gpuE2ELNS1_3repE0EEENS1_30default_config_static_selectorELNS0_4arch9wavefront6targetE0EEEvSV_,@function
_ZN7rocprim17ROCPRIM_400000_NS6detail17trampoline_kernelINS0_13select_configILj256ELj13ELNS0_17block_load_methodE3ELS4_3ELS4_3ELNS0_20block_scan_algorithmE0ELj4294967295EEENS1_25partition_config_selectorILNS1_17partition_subalgoE3EjNS0_10empty_typeEbEEZZNS1_14partition_implILS8_3ELb0ES6_jNS0_17counting_iteratorIjlEEPS9_SE_NS0_5tupleIJPjSE_EEENSF_IJSE_SE_EEES9_SG_JZNS1_25segmented_radix_sort_implINS0_14default_configELb0EPKlPlSM_SN_N2at6native12_GLOBAL__N_18offset_tEEE10hipError_tPvRmT1_PNSt15iterator_traitsISV_E10value_typeET2_T3_PNSW_IS11_E10value_typeET4_jRbjT5_S17_jjP12ihipStream_tbEUljE_EEESS_ST_SU_S11_S15_S17_T6_T7_T9_mT8_S19_bDpT10_ENKUlT_T0_E_clISt17integral_constantIbLb0EES1M_EEDaS1H_S1I_EUlS1H_E_NS1_11comp_targetILNS1_3genE8ELNS1_11target_archE1030ELNS1_3gpuE2ELNS1_3repE0EEENS1_30default_config_static_selectorELNS0_4arch9wavefront6targetE0EEEvSV_: ; @_ZN7rocprim17ROCPRIM_400000_NS6detail17trampoline_kernelINS0_13select_configILj256ELj13ELNS0_17block_load_methodE3ELS4_3ELS4_3ELNS0_20block_scan_algorithmE0ELj4294967295EEENS1_25partition_config_selectorILNS1_17partition_subalgoE3EjNS0_10empty_typeEbEEZZNS1_14partition_implILS8_3ELb0ES6_jNS0_17counting_iteratorIjlEEPS9_SE_NS0_5tupleIJPjSE_EEENSF_IJSE_SE_EEES9_SG_JZNS1_25segmented_radix_sort_implINS0_14default_configELb0EPKlPlSM_SN_N2at6native12_GLOBAL__N_18offset_tEEE10hipError_tPvRmT1_PNSt15iterator_traitsISV_E10value_typeET2_T3_PNSW_IS11_E10value_typeET4_jRbjT5_S17_jjP12ihipStream_tbEUljE_EEESS_ST_SU_S11_S15_S17_T6_T7_T9_mT8_S19_bDpT10_ENKUlT_T0_E_clISt17integral_constantIbLb0EES1M_EEDaS1H_S1I_EUlS1H_E_NS1_11comp_targetILNS1_3genE8ELNS1_11target_archE1030ELNS1_3gpuE2ELNS1_3repE0EEENS1_30default_config_static_selectorELNS0_4arch9wavefront6targetE0EEEvSV_
; %bb.0:
	s_clause 0x6
	s_load_dword s0, s[4:5], 0x70
	s_load_dwordx2 s[16:17], s[4:5], 0x10
	s_load_dwordx4 s[12:15], s[4:5], 0x48
	s_load_dwordx2 s[18:19], s[4:5], 0x58
	s_load_dword s7, s[4:5], 0x8
	s_load_dwordx4 s[8:11], s[4:5], 0x78
	s_load_dword s1, s[4:5], 0x88
	s_mul_i32 s26, s6, 0xd00
	v_lshlrev_b32_e32 v42, 2, v0
	s_waitcnt lgkmcnt(0)
	s_mul_i32 s2, s0, 0xd00
	s_add_i32 s0, s0, -1
	s_add_i32 s3, s2, s16
	s_load_dwordx2 s[20:21], s[14:15], 0x0
	s_sub_i32 s25, s18, s3
	s_addk_i32 s25, 0xd00
	s_add_u32 s2, s16, s2
	s_addc_u32 s3, s17, 0
	s_cmp_eq_u32 s6, s0
	v_cmp_gt_u64_e64 s2, s[18:19], s[2:3]
	s_cselect_b32 s24, -1, 0
	s_cmp_lg_u32 s6, s0
	s_cselect_b32 s0, -1, 0
	s_add_i32 s3, s7, s26
	s_or_b32 s2, s0, s2
	s_add_i32 s3, s3, s16
	s_and_b32 vcc_lo, exec_lo, s2
	v_add_nc_u32_e32 v1, s3, v0
	s_mov_b32 s7, -1
	s_cbranch_vccz .LBB776_2
; %bb.1:
	v_add_nc_u32_e32 v2, 0x100, v1
	v_add_nc_u32_e32 v3, 0x200, v1
	;; [unrolled: 1-line block ×12, first 2 shown]
	ds_write2st64_b32 v42, v1, v2 offset1:4
	ds_write2st64_b32 v42, v3, v4 offset0:8 offset1:12
	ds_write2st64_b32 v42, v5, v6 offset0:16 offset1:20
	;; [unrolled: 1-line block ×5, first 2 shown]
	ds_write_b32 v42, v13 offset:12288
	s_waitcnt lgkmcnt(0)
	s_mov_b32 s7, 0
	s_barrier
.LBB776_2:
	v_cmp_gt_u32_e64 s0, s25, v0
	v_or_b32_e32 v41, 0x100, v0
	v_or_b32_e32 v40, 0x200, v0
	;; [unrolled: 1-line block ×12, first 2 shown]
	s_andn2_b32 vcc_lo, exec_lo, s7
	s_cbranch_vccnz .LBB776_4
; %bb.3:
	v_add_nc_u32_e32 v2, s3, v41
	v_cmp_gt_u32_e32 vcc_lo, s25, v41
	v_add_nc_u32_e32 v3, s3, v40
	v_add_nc_u32_e32 v4, s3, v39
	;; [unrolled: 1-line block ×4, first 2 shown]
	v_cndmask_b32_e32 v2, 0, v2, vcc_lo
	v_cmp_gt_u32_e32 vcc_lo, s25, v40
	v_add_nc_u32_e32 v7, s3, v36
	v_add_nc_u32_e32 v8, s3, v35
	;; [unrolled: 1-line block ×4, first 2 shown]
	v_cndmask_b32_e32 v3, 0, v3, vcc_lo
	v_cmp_gt_u32_e32 vcc_lo, s25, v39
	v_add_nc_u32_e32 v11, s3, v32
	v_add_nc_u32_e32 v12, s3, v31
	v_cndmask_b32_e64 v1, 0, v1, s0
	v_add_nc_u32_e32 v13, s3, v30
	v_cndmask_b32_e32 v4, 0, v4, vcc_lo
	v_cmp_gt_u32_e32 vcc_lo, s25, v38
	v_cndmask_b32_e32 v5, 0, v5, vcc_lo
	v_cmp_gt_u32_e32 vcc_lo, s25, v37
	;; [unrolled: 2-line block ×9, first 2 shown]
	v_cndmask_b32_e32 v13, 0, v13, vcc_lo
	ds_write2st64_b32 v42, v1, v2 offset1:4
	ds_write2st64_b32 v42, v3, v4 offset0:8 offset1:12
	ds_write2st64_b32 v42, v5, v6 offset0:16 offset1:20
	;; [unrolled: 1-line block ×5, first 2 shown]
	ds_write_b32 v42, v13 offset:12288
	s_waitcnt lgkmcnt(0)
	s_barrier
.LBB776_4:
	v_mul_u32_u24_e32 v45, 13, v0
	s_waitcnt lgkmcnt(0)
	buffer_gl0_inv
	v_cndmask_b32_e64 v43, 0, 1, s2
	s_andn2_b32 vcc_lo, exec_lo, s2
	v_lshlrev_b32_e32 v1, 2, v45
	ds_read2_b32 v[26:27], v1 offset0:2 offset1:3
	ds_read2_b32 v[22:23], v1 offset0:6 offset1:7
	;; [unrolled: 1-line block ×3, first 2 shown]
	ds_read2_b32 v[28:29], v1 offset1:1
	ds_read2_b32 v[18:19], v1 offset0:10 offset1:11
	ds_read_b32 v44, v1 offset:48
	ds_read2_b32 v[20:21], v1 offset0:8 offset1:9
	s_waitcnt lgkmcnt(0)
	s_barrier
	buffer_gl0_inv
	s_cbranch_vccnz .LBB776_6
; %bb.5:
	v_add_nc_u32_e32 v1, s9, v27
	v_add_nc_u32_e32 v4, s9, v26
	;; [unrolled: 1-line block ×6, first 2 shown]
	v_mul_lo_u32 v4, v4, s8
	v_mul_lo_u32 v1, v1, s8
	v_mul_lo_u32 v5, v5, s10
	v_mul_lo_u32 v8, v8, s10
	v_add_nc_u32_e32 v3, s9, v28
	v_add_nc_u32_e32 v7, s11, v28
	v_mul_lo_u32 v2, v2, s8
	v_mul_lo_u32 v6, v6, s10
	v_add_nc_u32_e32 v10, s11, v25
	v_mul_lo_u32 v3, v3, s8
	v_mul_lo_u32 v7, v7, s10
	v_sub_nc_u32_e32 v1, v1, v5
	v_sub_nc_u32_e32 v4, v4, v8
	v_add_nc_u32_e32 v5, s9, v23
	v_add_nc_u32_e32 v8, s11, v23
	v_sub_nc_u32_e32 v2, v2, v6
	v_add_nc_u32_e32 v6, s9, v25
	v_add_nc_u32_e32 v9, s9, v22
	v_mul_lo_u32 v5, v5, s8
	v_mul_lo_u32 v8, v8, s10
	v_sub_nc_u32_e32 v3, v3, v7
	v_add_nc_u32_e32 v7, s9, v24
	v_add_nc_u32_e32 v11, s11, v22
	v_mul_lo_u32 v6, v6, s8
	v_mul_lo_u32 v10, v10, s10
	v_add_nc_u32_e32 v12, s11, v24
	v_mul_lo_u32 v9, v9, s8
	v_mul_lo_u32 v7, v7, s8
	;; [unrolled: 1-line block ×3, first 2 shown]
	v_sub_nc_u32_e32 v5, v5, v8
	v_mul_lo_u32 v8, v12, s10
	v_cmp_lt_u32_e32 vcc_lo, s1, v1
	v_sub_nc_u32_e32 v6, v6, v10
	v_add_nc_u32_e32 v10, s9, v19
	v_add_nc_u32_e32 v14, s11, v19
	;; [unrolled: 1-line block ×3, first 2 shown]
	v_cndmask_b32_e64 v1, 0, 1, vcc_lo
	v_cmp_lt_u32_e32 vcc_lo, s1, v2
	v_sub_nc_u32_e32 v7, v7, v8
	v_sub_nc_u32_e32 v8, v9, v11
	v_add_nc_u32_e32 v11, s9, v21
	v_mul_lo_u32 v10, v10, s8
	v_mul_lo_u32 v14, v14, s10
	v_cndmask_b32_e64 v2, 0, 1, vcc_lo
	v_cmp_lt_u32_e32 vcc_lo, s1, v5
	v_mul_lo_u32 v11, v11, s8
	v_mul_lo_u32 v15, v15, s10
	v_mov_b32_e32 v9, 8
	v_lshlrev_b16 v2, 8, v2
	v_cndmask_b32_e64 v5, 0, 1, vcc_lo
	v_cmp_lt_u32_e32 vcc_lo, s1, v6
	v_sub_nc_u32_e32 v10, v10, v14
	v_add_nc_u32_e32 v12, s9, v20
	v_add_nc_u32_e32 v16, s11, v20
	v_sub_nc_u32_e32 v11, v11, v15
	v_cndmask_b32_e64 v6, 0, 1, vcc_lo
	v_cmp_lt_u32_e32 vcc_lo, s1, v10
	v_lshrrev_b32_sdwa v2, v9, v2 dst_sel:BYTE_1 dst_unused:UNUSED_PAD src0_sel:DWORD src1_sel:DWORD
	v_add_nc_u32_e32 v13, s9, v18
	v_add_nc_u32_e32 v17, s11, v18
	v_mul_lo_u32 v12, v12, s8
	v_cndmask_b32_e64 v10, 0, 1, vcc_lo
	v_cmp_lt_u32_e32 vcc_lo, s1, v11
	v_mul_lo_u32 v16, v16, s10
	v_mul_lo_u32 v13, v13, s8
	;; [unrolled: 1-line block ×3, first 2 shown]
	v_add_nc_u32_e32 v14, s9, v44
	v_cndmask_b32_e64 v11, 0, 1, vcc_lo
	v_cmp_lt_u32_e32 vcc_lo, s1, v3
	v_add_nc_u32_e32 v15, s11, v44
	v_lshlrev_b16 v1, 8, v1
	v_sub_nc_u32_e32 v12, v12, v16
	v_lshlrev_b16 v11, 8, v11
	v_cndmask_b32_e64 v3, 0, 1, vcc_lo
	v_cmp_lt_u32_e32 vcc_lo, s1, v4
	v_sub_nc_u32_e32 v13, v13, v17
	v_mul_lo_u32 v14, v14, s8
	v_mul_lo_u32 v15, v15, s10
	v_or_b32_e32 v2, v3, v2
	v_cndmask_b32_e64 v3, 0, 1, vcc_lo
	v_cmp_lt_u32_e32 vcc_lo, s1, v7
	v_lshlrev_b16 v6, 8, v6
	v_lshlrev_b16 v10, 8, v10
	;; [unrolled: 1-line block ×3, first 2 shown]
	v_lshrrev_b32_sdwa v1, v9, v1 dst_sel:BYTE_1 dst_unused:UNUSED_PAD src0_sel:DWORD src1_sel:DWORD
	v_cndmask_b32_e64 v4, 0, 1, vcc_lo
	v_cmp_lt_u32_e32 vcc_lo, s1, v8
	v_lshrrev_b32_sdwa v8, v9, v11 dst_sel:BYTE_1 dst_unused:UNUSED_PAD src0_sel:DWORD src1_sel:DWORD
	v_lshrrev_b32_sdwa v6, v9, v6 dst_sel:BYTE_1 dst_unused:UNUSED_PAD src0_sel:DWORD src1_sel:DWORD
	v_sub_nc_u32_e32 v14, v14, v15
	v_lshrrev_b32_sdwa v9, v9, v10 dst_sel:BYTE_1 dst_unused:UNUSED_PAD src0_sel:DWORD src1_sel:DWORD
	v_cndmask_b32_e64 v7, 0, 1, vcc_lo
	v_cmp_lt_u32_e32 vcc_lo, s1, v12
	v_or_b32_sdwa v1, v3, v1 dst_sel:WORD_1 dst_unused:UNUSED_PAD src0_sel:DWORD src1_sel:DWORD
	v_or_b32_e32 v3, v4, v6
	v_or_b32_sdwa v4, v7, v5 dst_sel:WORD_1 dst_unused:UNUSED_PAD src0_sel:DWORD src1_sel:DWORD
	v_cndmask_b32_e64 v11, 0, 1, vcc_lo
	v_cmp_lt_u32_e32 vcc_lo, s1, v13
	v_or_b32_sdwa v50, v2, v1 dst_sel:DWORD dst_unused:UNUSED_PAD src0_sel:WORD_0 src1_sel:DWORD
	v_or_b32_sdwa v48, v3, v4 dst_sel:DWORD dst_unused:UNUSED_PAD src0_sel:WORD_0 src1_sel:DWORD
	v_or_b32_e32 v5, v11, v8
	v_cndmask_b32_e64 v10, 0, 1, vcc_lo
	v_cmp_lt_u32_e32 vcc_lo, s1, v14
	v_or_b32_sdwa v6, v10, v9 dst_sel:WORD_1 dst_unused:UNUSED_PAD src0_sel:DWORD src1_sel:DWORD
	v_cndmask_b32_e64 v46, 0, 1, vcc_lo
	v_or_b32_sdwa v47, v5, v6 dst_sel:DWORD dst_unused:UNUSED_PAD src0_sel:WORD_0 src1_sel:DWORD
	s_clause 0x1
	s_load_dwordx2 s[14:15], s[4:5], 0x28
	s_load_dwordx2 s[22:23], s[4:5], 0x68
	s_cbranch_execz .LBB776_7
	s_branch .LBB776_34
.LBB776_6:
                                        ; implicit-def: $vgpr46
                                        ; implicit-def: $vgpr47
                                        ; implicit-def: $vgpr48
                                        ; implicit-def: $vgpr50
	s_clause 0x1
	s_load_dwordx2 s[14:15], s[4:5], 0x28
	s_load_dwordx2 s[22:23], s[4:5], 0x68
.LBB776_7:
	v_mov_b32_e32 v2, 0
	v_mov_b32_e32 v1, 0
	s_mov_b32 s0, exec_lo
	v_cmpx_gt_u32_e64 s25, v45
	s_cbranch_execz .LBB776_9
; %bb.8:
	v_add_nc_u32_e32 v1, s9, v28
	v_add_nc_u32_e32 v3, s11, v28
	v_mul_lo_u32 v1, v1, s8
	v_mul_lo_u32 v3, v3, s10
	v_sub_nc_u32_e32 v1, v1, v3
	v_cmp_lt_u32_e32 vcc_lo, s1, v1
	v_cndmask_b32_e64 v1, 0, 1, vcc_lo
.LBB776_9:
	s_or_b32 exec_lo, exec_lo, s0
	v_add_nc_u32_e32 v3, 1, v45
	s_mov_b32 s0, exec_lo
	v_cmpx_gt_u32_e64 s25, v3
	s_cbranch_execz .LBB776_11
; %bb.10:
	v_add_nc_u32_e32 v2, s9, v29
	v_add_nc_u32_e32 v3, s11, v29
	v_mul_lo_u32 v2, v2, s8
	v_mul_lo_u32 v3, v3, s10
	v_sub_nc_u32_e32 v2, v2, v3
	v_cmp_lt_u32_e32 vcc_lo, s1, v2
	v_cndmask_b32_e64 v2, 0, 1, vcc_lo
.LBB776_11:
	s_or_b32 exec_lo, exec_lo, s0
	v_add_nc_u32_e32 v3, 2, v45
	v_mov_b32_e32 v4, 0
	v_cmp_gt_u32_e32 vcc_lo, s25, v3
	v_mov_b32_e32 v3, 0
	s_and_saveexec_b32 s0, vcc_lo
	s_cbranch_execz .LBB776_13
; %bb.12:
	v_add_nc_u32_e32 v3, s9, v26
	v_add_nc_u32_e32 v5, s11, v26
	v_mul_lo_u32 v3, v3, s8
	v_mul_lo_u32 v5, v5, s10
	v_sub_nc_u32_e32 v3, v3, v5
	v_cmp_lt_u32_e32 vcc_lo, s1, v3
	v_cndmask_b32_e64 v3, 0, 1, vcc_lo
.LBB776_13:
	s_or_b32 exec_lo, exec_lo, s0
	v_add_nc_u32_e32 v5, 3, v45
	s_mov_b32 s0, exec_lo
	v_cmpx_gt_u32_e64 s25, v5
	s_cbranch_execz .LBB776_15
; %bb.14:
	v_add_nc_u32_e32 v4, s9, v27
	v_add_nc_u32_e32 v5, s11, v27
	v_mul_lo_u32 v4, v4, s8
	v_mul_lo_u32 v5, v5, s10
	v_sub_nc_u32_e32 v4, v4, v5
	v_cmp_lt_u32_e32 vcc_lo, s1, v4
	v_cndmask_b32_e64 v4, 0, 1, vcc_lo
.LBB776_15:
	s_or_b32 exec_lo, exec_lo, s0
	v_add_nc_u32_e32 v5, 4, v45
	v_mov_b32_e32 v6, 0
	v_cmp_gt_u32_e32 vcc_lo, s25, v5
	v_mov_b32_e32 v5, 0
	s_and_saveexec_b32 s0, vcc_lo
	;; [unrolled: 30-line block ×5, first 2 shown]
	s_cbranch_execz .LBB776_29
; %bb.28:
	v_add_nc_u32_e32 v11, s9, v18
	v_add_nc_u32_e32 v13, s11, v18
	v_mul_lo_u32 v11, v11, s8
	v_mul_lo_u32 v13, v13, s10
	v_sub_nc_u32_e32 v11, v11, v13
	v_cmp_lt_u32_e32 vcc_lo, s1, v11
	v_cndmask_b32_e64 v11, 0, 1, vcc_lo
.LBB776_29:
	s_or_b32 exec_lo, exec_lo, s0
	v_add_nc_u32_e32 v13, 11, v45
	s_mov_b32 s0, exec_lo
	v_cmpx_gt_u32_e64 s25, v13
	s_cbranch_execz .LBB776_31
; %bb.30:
	v_add_nc_u32_e32 v12, s9, v19
	v_add_nc_u32_e32 v13, s11, v19
	v_mul_lo_u32 v12, v12, s8
	v_mul_lo_u32 v13, v13, s10
	v_sub_nc_u32_e32 v12, v12, v13
	v_cmp_lt_u32_e32 vcc_lo, s1, v12
	v_cndmask_b32_e64 v12, 0, 1, vcc_lo
.LBB776_31:
	s_or_b32 exec_lo, exec_lo, s0
	v_add_nc_u32_e32 v13, 12, v45
	v_mov_b32_e32 v46, 0
	s_mov_b32 s0, exec_lo
	v_cmpx_gt_u32_e64 s25, v13
	s_cbranch_execz .LBB776_33
; %bb.32:
	v_add_nc_u32_e32 v13, s9, v44
	v_add_nc_u32_e32 v14, s11, v44
	v_mul_lo_u32 v13, v13, s8
	v_mul_lo_u32 v14, v14, s10
	v_sub_nc_u32_e32 v13, v13, v14
	v_cmp_lt_u32_e32 vcc_lo, s1, v13
	v_cndmask_b32_e64 v46, 0, 1, vcc_lo
.LBB776_33:
	s_or_b32 exec_lo, exec_lo, s0
	v_lshlrev_b16 v2, 8, v2
	v_lshlrev_b16 v4, 8, v4
	;; [unrolled: 1-line block ×5, first 2 shown]
	v_or_b32_e32 v1, v1, v2
	v_lshlrev_b16 v2, 8, v12
	v_or_b32_sdwa v3, v3, v4 dst_sel:WORD_1 dst_unused:UNUSED_PAD src0_sel:DWORD src1_sel:DWORD
	v_or_b32_e32 v4, v5, v6
	v_or_b32_sdwa v5, v7, v8 dst_sel:WORD_1 dst_unused:UNUSED_PAD src0_sel:DWORD src1_sel:DWORD
	v_or_b32_e32 v6, v9, v10
	v_or_b32_sdwa v2, v11, v2 dst_sel:WORD_1 dst_unused:UNUSED_PAD src0_sel:DWORD src1_sel:DWORD
	v_or_b32_sdwa v50, v1, v3 dst_sel:DWORD dst_unused:UNUSED_PAD src0_sel:WORD_0 src1_sel:DWORD
	v_or_b32_sdwa v48, v4, v5 dst_sel:DWORD dst_unused:UNUSED_PAD src0_sel:WORD_0 src1_sel:DWORD
	;; [unrolled: 1-line block ×3, first 2 shown]
.LBB776_34:
	v_and_b32_e32 v53, 0xff, v50
	v_bfe_u32 v54, v50, 8, 8
	v_bfe_u32 v55, v50, 16, 8
	v_lshrrev_b32_e32 v52, 24, v50
	v_and_b32_e32 v56, 0xff, v48
	v_bfe_u32 v57, v48, 8, 8
	v_bfe_u32 v58, v48, 16, 8
	v_add3_u32 v1, v54, v53, v55
	v_lshrrev_b32_e32 v51, 24, v48
	v_and_b32_e32 v59, 0xff, v47
	v_bfe_u32 v60, v47, 8, 8
	v_mbcnt_lo_u32_b32 v62, -1, 0
	v_add3_u32 v1, v1, v52, v56
	v_bfe_u32 v61, v47, 16, 8
	v_lshrrev_b32_e32 v49, 24, v47
	v_and_b32_e32 v2, 0xff, v46
	v_and_b32_e32 v3, 15, v62
	v_add3_u32 v1, v1, v57, v58
	v_or_b32_e32 v4, 31, v0
	v_and_b32_e32 v5, 16, v62
	v_lshrrev_b32_e32 v63, 5, v0
	v_cmp_eq_u32_e64 s5, 0, v3
	v_add3_u32 v1, v1, v51, v59
	v_cmp_lt_u32_e64 s4, 1, v3
	v_cmp_lt_u32_e64 s3, 3, v3
	;; [unrolled: 1-line block ×3, first 2 shown]
	v_cmp_eq_u32_e64 s1, 0, v5
	v_add3_u32 v1, v1, v60, v61
	v_cmp_eq_u32_e64 s0, v0, v4
	s_cmp_lg_u32 s6, 0
	s_mov_b32 s7, -1
	v_add3_u32 v64, v1, v49, v2
	s_cbranch_scc0 .LBB776_56
; %bb.35:
	v_mov_b32_dpp v1, v64 row_shr:1 row_mask:0xf bank_mask:0xf
	v_cndmask_b32_e64 v1, v1, 0, s5
	v_add_nc_u32_e32 v1, v1, v64
	v_mov_b32_dpp v2, v1 row_shr:2 row_mask:0xf bank_mask:0xf
	v_cndmask_b32_e64 v2, 0, v2, s4
	v_add_nc_u32_e32 v1, v1, v2
	;; [unrolled: 3-line block ×4, first 2 shown]
	ds_swizzle_b32 v2, v1 offset:swizzle(BROADCAST,32,15)
	s_waitcnt lgkmcnt(0)
	v_cndmask_b32_e64 v2, v2, 0, s1
	v_add_nc_u32_e32 v1, v1, v2
	s_and_saveexec_b32 s7, s0
; %bb.36:
	v_lshlrev_b32_e32 v2, 2, v63
	ds_write_b32 v2, v1
; %bb.37:
	s_or_b32 exec_lo, exec_lo, s7
	s_mov_b32 s7, exec_lo
	s_waitcnt lgkmcnt(0)
	s_barrier
	buffer_gl0_inv
	v_cmpx_gt_u32_e32 8, v0
	s_cbranch_execz .LBB776_39
; %bb.38:
	ds_read_b32 v2, v42
	v_and_b32_e32 v3, 7, v62
	v_cmp_ne_u32_e32 vcc_lo, 0, v3
	s_waitcnt lgkmcnt(0)
	v_mov_b32_dpp v4, v2 row_shr:1 row_mask:0xf bank_mask:0xf
	v_cndmask_b32_e32 v4, 0, v4, vcc_lo
	v_cmp_lt_u32_e32 vcc_lo, 1, v3
	v_add_nc_u32_e32 v2, v4, v2
	v_mov_b32_dpp v4, v2 row_shr:2 row_mask:0xf bank_mask:0xf
	v_cndmask_b32_e32 v4, 0, v4, vcc_lo
	v_cmp_lt_u32_e32 vcc_lo, 3, v3
	v_add_nc_u32_e32 v2, v2, v4
	v_mov_b32_dpp v4, v2 row_shr:4 row_mask:0xf bank_mask:0xf
	v_cndmask_b32_e32 v3, 0, v4, vcc_lo
	v_add_nc_u32_e32 v2, v2, v3
	ds_write_b32 v42, v2
.LBB776_39:
	s_or_b32 exec_lo, exec_lo, s7
	s_mov_b32 s8, exec_lo
	v_cmp_gt_u32_e32 vcc_lo, 32, v0
	s_waitcnt lgkmcnt(0)
	s_barrier
	buffer_gl0_inv
                                        ; implicit-def: $vgpr10
	v_cmpx_lt_u32_e32 31, v0
	s_cbranch_execz .LBB776_41
; %bb.40:
	v_lshl_add_u32 v2, v63, 2, -4
	ds_read_b32 v10, v2
	s_waitcnt lgkmcnt(0)
	v_add_nc_u32_e32 v1, v10, v1
.LBB776_41:
	s_or_b32 exec_lo, exec_lo, s8
	v_sub_co_u32 v2, s7, v62, 1
	v_cmp_gt_i32_e64 s8, 0, v2
	v_cndmask_b32_e64 v2, v2, v62, s8
	v_lshlrev_b32_e32 v2, 2, v2
	ds_bpermute_b32 v11, v2, v1
	s_and_saveexec_b32 s8, vcc_lo
	s_cbranch_execz .LBB776_61
; %bb.42:
	v_mov_b32_e32 v7, 0
	ds_read_b32 v1, v7 offset:28
	s_and_saveexec_b32 s9, s7
	s_cbranch_execz .LBB776_44
; %bb.43:
	s_add_i32 s10, s6, 32
	s_mov_b32 s11, 0
	v_mov_b32_e32 v2, 1
	s_lshl_b64 s[10:11], s[10:11], 3
	s_add_u32 s10, s22, s10
	s_addc_u32 s11, s23, s11
	s_waitcnt lgkmcnt(0)
	global_store_dwordx2 v7, v[1:2], s[10:11]
.LBB776_44:
	s_or_b32 exec_lo, exec_lo, s9
	v_xad_u32 v3, v62, -1, s6
	s_mov_b32 s10, 0
	v_add_nc_u32_e32 v6, 32, v3
	v_lshlrev_b64 v[4:5], 3, v[6:7]
	v_add_co_u32 v8, vcc_lo, s22, v4
	v_add_co_ci_u32_e64 v9, null, s23, v5, vcc_lo
	global_load_dwordx2 v[5:6], v[8:9], off glc dlc
	s_waitcnt vmcnt(0)
	v_cmp_eq_u16_sdwa s11, v6, v7 src0_sel:BYTE_0 src1_sel:DWORD
	s_and_saveexec_b32 s9, s11
	s_cbranch_execz .LBB776_48
; %bb.45:
	v_mov_b32_e32 v2, 0
.LBB776_46:                             ; =>This Inner Loop Header: Depth=1
	global_load_dwordx2 v[5:6], v[8:9], off glc dlc
	s_waitcnt vmcnt(0)
	v_cmp_ne_u16_sdwa s11, v6, v2 src0_sel:BYTE_0 src1_sel:DWORD
	s_or_b32 s10, s11, s10
	s_andn2_b32 exec_lo, exec_lo, s10
	s_cbranch_execnz .LBB776_46
; %bb.47:
	s_or_b32 exec_lo, exec_lo, s10
.LBB776_48:
	s_or_b32 exec_lo, exec_lo, s9
	v_cmp_ne_u32_e32 vcc_lo, 31, v62
	v_mov_b32_e32 v12, 2
	v_lshlrev_b32_e64 v13, v62, -1
	v_add_nc_u32_e32 v15, 2, v62
	v_add_nc_u32_e32 v17, 4, v62
	v_add_co_ci_u32_e64 v2, null, 0, v62, vcc_lo
	v_cmp_eq_u16_sdwa s9, v6, v12 src0_sel:BYTE_0 src1_sel:DWORD
	v_cmp_gt_u32_e32 vcc_lo, 30, v62
	v_add_nc_u32_e32 v66, 8, v62
	v_lshlrev_b32_e32 v9, 2, v2
	v_lshl_or_b32 v67, v62, 2, 64
	v_and_or_b32 v4, s9, v13, 0x80000000
	v_cndmask_b32_e64 v7, 0, 2, vcc_lo
	v_add_nc_u32_e32 v68, 16, v62
	ds_bpermute_b32 v2, v9, v5
	v_ffbl_b32_e32 v4, v4
	v_add_lshl_u32 v14, v7, v62, 2
	v_cmp_lt_u32_e32 vcc_lo, v62, v4
	s_waitcnt lgkmcnt(0)
	v_cndmask_b32_e32 v2, 0, v2, vcc_lo
	v_cmp_gt_u32_e32 vcc_lo, 28, v62
	v_add_nc_u32_e32 v2, v2, v5
	v_cndmask_b32_e64 v7, 0, 4, vcc_lo
	v_cmp_le_u32_e32 vcc_lo, v15, v4
	ds_bpermute_b32 v5, v14, v2
	v_add_lshl_u32 v16, v7, v62, 2
	s_waitcnt lgkmcnt(0)
	v_cndmask_b32_e32 v5, 0, v5, vcc_lo
	v_cmp_gt_u32_e32 vcc_lo, 24, v62
	v_add_nc_u32_e32 v2, v2, v5
	v_cndmask_b32_e64 v7, 0, 8, vcc_lo
	v_cmp_le_u32_e32 vcc_lo, v17, v4
	ds_bpermute_b32 v5, v16, v2
	v_add_lshl_u32 v65, v7, v62, 2
	s_waitcnt lgkmcnt(0)
	v_cndmask_b32_e32 v5, 0, v5, vcc_lo
	v_cmp_le_u32_e32 vcc_lo, v66, v4
	v_add_nc_u32_e32 v2, v2, v5
	ds_bpermute_b32 v5, v65, v2
	s_waitcnt lgkmcnt(0)
	v_cndmask_b32_e32 v5, 0, v5, vcc_lo
	v_cmp_le_u32_e32 vcc_lo, v68, v4
	v_add_nc_u32_e32 v2, v2, v5
	ds_bpermute_b32 v5, v67, v2
	s_waitcnt lgkmcnt(0)
	v_cndmask_b32_e32 v4, 0, v5, vcc_lo
	v_add_nc_u32_e32 v5, v2, v4
	v_mov_b32_e32 v4, 0
	s_branch .LBB776_52
.LBB776_49:                             ;   in Loop: Header=BB776_52 Depth=1
	s_or_b32 exec_lo, exec_lo, s10
.LBB776_50:                             ;   in Loop: Header=BB776_52 Depth=1
	s_or_b32 exec_lo, exec_lo, s9
	ds_bpermute_b32 v7, v9, v5
	v_cmp_eq_u16_sdwa s9, v6, v12 src0_sel:BYTE_0 src1_sel:DWORD
	v_subrev_nc_u32_e32 v3, 32, v3
	v_and_or_b32 v8, s9, v13, 0x80000000
	s_mov_b32 s9, 0
	v_ffbl_b32_e32 v8, v8
	v_cmp_lt_u32_e32 vcc_lo, v62, v8
	s_waitcnt lgkmcnt(0)
	v_cndmask_b32_e32 v7, 0, v7, vcc_lo
	v_cmp_le_u32_e32 vcc_lo, v15, v8
	v_add_nc_u32_e32 v5, v7, v5
	ds_bpermute_b32 v7, v14, v5
	s_waitcnt lgkmcnt(0)
	v_cndmask_b32_e32 v7, 0, v7, vcc_lo
	v_cmp_le_u32_e32 vcc_lo, v17, v8
	v_add_nc_u32_e32 v5, v5, v7
	ds_bpermute_b32 v7, v16, v5
	;; [unrolled: 5-line block ×4, first 2 shown]
	s_waitcnt lgkmcnt(0)
	v_cndmask_b32_e32 v7, 0, v7, vcc_lo
	v_add3_u32 v5, v7, v2, v5
.LBB776_51:                             ;   in Loop: Header=BB776_52 Depth=1
	s_and_b32 vcc_lo, exec_lo, s9
	s_cbranch_vccnz .LBB776_57
.LBB776_52:                             ; =>This Loop Header: Depth=1
                                        ;     Child Loop BB776_55 Depth 2
	v_cmp_ne_u16_sdwa s9, v6, v12 src0_sel:BYTE_0 src1_sel:DWORD
	v_mov_b32_e32 v2, v5
                                        ; implicit-def: $vgpr5
                                        ; implicit-def: $vgpr6
	s_cmp_lg_u32 s9, exec_lo
	s_mov_b32 s9, -1
	s_cbranch_scc1 .LBB776_51
; %bb.53:                               ;   in Loop: Header=BB776_52 Depth=1
	v_lshlrev_b64 v[5:6], 3, v[3:4]
	v_add_co_u32 v7, vcc_lo, s22, v5
	v_add_co_ci_u32_e64 v8, null, s23, v6, vcc_lo
	global_load_dwordx2 v[5:6], v[7:8], off glc dlc
	s_waitcnt vmcnt(0)
	v_cmp_eq_u16_sdwa s10, v6, v4 src0_sel:BYTE_0 src1_sel:DWORD
	s_and_saveexec_b32 s9, s10
	s_cbranch_execz .LBB776_50
; %bb.54:                               ;   in Loop: Header=BB776_52 Depth=1
	s_mov_b32 s10, 0
.LBB776_55:                             ;   Parent Loop BB776_52 Depth=1
                                        ; =>  This Inner Loop Header: Depth=2
	global_load_dwordx2 v[5:6], v[7:8], off glc dlc
	s_waitcnt vmcnt(0)
	v_cmp_ne_u16_sdwa s11, v6, v4 src0_sel:BYTE_0 src1_sel:DWORD
	s_or_b32 s10, s11, s10
	s_andn2_b32 exec_lo, exec_lo, s10
	s_cbranch_execnz .LBB776_55
	s_branch .LBB776_49
.LBB776_56:
                                        ; implicit-def: $vgpr17
                                        ; implicit-def: $vgpr1_vgpr2_vgpr3_vgpr4_vgpr5_vgpr6_vgpr7_vgpr8_vgpr9_vgpr10_vgpr11_vgpr12_vgpr13_vgpr14_vgpr15_vgpr16
	s_and_b32 vcc_lo, exec_lo, s7
	s_cbranch_vccnz .LBB776_62
	s_branch .LBB776_71
.LBB776_57:
	s_and_saveexec_b32 s9, s7
	s_cbranch_execz .LBB776_59
; %bb.58:
	s_add_i32 s10, s6, 32
	s_mov_b32 s11, 0
	v_add_nc_u32_e32 v3, v2, v1
	v_mov_b32_e32 v4, 2
	s_lshl_b64 s[10:11], s[10:11], 3
	v_mov_b32_e32 v5, 0
	s_add_u32 s10, s22, s10
	s_addc_u32 s11, s23, s11
	global_store_dwordx2 v5, v[3:4], s[10:11]
	ds_write_b64 v5, v[1:2] offset:13312
.LBB776_59:
	s_or_b32 exec_lo, exec_lo, s9
	v_cmp_eq_u32_e32 vcc_lo, 0, v0
	s_and_b32 exec_lo, exec_lo, vcc_lo
; %bb.60:
	v_mov_b32_e32 v1, 0
	ds_write_b32 v1, v2 offset:28
.LBB776_61:
	s_or_b32 exec_lo, exec_lo, s8
	v_mov_b32_e32 v12, 0
	s_waitcnt lgkmcnt(0)
	s_waitcnt_vscnt null, 0x0
	s_barrier
	buffer_gl0_inv
	v_cndmask_b32_e64 v2, v11, v10, s7
	ds_read_b32 v1, v12 offset:28
	v_cmp_ne_u32_e32 vcc_lo, 0, v0
	s_waitcnt lgkmcnt(0)
	s_barrier
	buffer_gl0_inv
	ds_read_b64 v[16:17], v12 offset:13312
	v_cndmask_b32_e32 v2, 0, v2, vcc_lo
	v_add_nc_u32_e32 v1, v1, v2
	v_add_nc_u32_e32 v2, v1, v53
	;; [unrolled: 1-line block ×13, first 2 shown]
	s_branch .LBB776_71
.LBB776_62:
	v_mov_b32_dpp v1, v64 row_shr:1 row_mask:0xf bank_mask:0xf
	v_cndmask_b32_e64 v1, v1, 0, s5
	v_add_nc_u32_e32 v1, v1, v64
	v_mov_b32_dpp v2, v1 row_shr:2 row_mask:0xf bank_mask:0xf
	v_cndmask_b32_e64 v2, 0, v2, s4
	v_add_nc_u32_e32 v1, v1, v2
	;; [unrolled: 3-line block ×4, first 2 shown]
	ds_swizzle_b32 v2, v1 offset:swizzle(BROADCAST,32,15)
	s_waitcnt lgkmcnt(0)
	v_cndmask_b32_e64 v2, v2, 0, s1
	v_add_nc_u32_e32 v1, v1, v2
	s_and_saveexec_b32 s1, s0
; %bb.63:
	v_lshlrev_b32_e32 v2, 2, v63
	ds_write_b32 v2, v1
; %bb.64:
	s_or_b32 exec_lo, exec_lo, s1
	s_mov_b32 s0, exec_lo
	s_waitcnt lgkmcnt(0)
	s_barrier
	buffer_gl0_inv
	v_cmpx_gt_u32_e32 8, v0
	s_cbranch_execz .LBB776_66
; %bb.65:
	ds_read_b32 v2, v42
	v_and_b32_e32 v3, 7, v62
	v_cmp_ne_u32_e32 vcc_lo, 0, v3
	s_waitcnt lgkmcnt(0)
	v_mov_b32_dpp v4, v2 row_shr:1 row_mask:0xf bank_mask:0xf
	v_cndmask_b32_e32 v4, 0, v4, vcc_lo
	v_cmp_lt_u32_e32 vcc_lo, 1, v3
	v_add_nc_u32_e32 v2, v4, v2
	v_mov_b32_dpp v4, v2 row_shr:2 row_mask:0xf bank_mask:0xf
	v_cndmask_b32_e32 v4, 0, v4, vcc_lo
	v_cmp_lt_u32_e32 vcc_lo, 3, v3
	v_add_nc_u32_e32 v2, v2, v4
	v_mov_b32_dpp v4, v2 row_shr:4 row_mask:0xf bank_mask:0xf
	v_cndmask_b32_e32 v3, 0, v4, vcc_lo
	v_add_nc_u32_e32 v2, v2, v3
	ds_write_b32 v42, v2
.LBB776_66:
	s_or_b32 exec_lo, exec_lo, s0
	v_mov_b32_e32 v3, 0
	v_mov_b32_e32 v2, 0
	s_mov_b32 s0, exec_lo
	s_waitcnt lgkmcnt(0)
	s_barrier
	buffer_gl0_inv
	v_cmpx_lt_u32_e32 31, v0
; %bb.67:
	v_lshl_add_u32 v2, v63, 2, -4
	ds_read_b32 v2, v2
; %bb.68:
	s_or_b32 exec_lo, exec_lo, s0
	v_sub_co_u32 v4, vcc_lo, v62, 1
	s_waitcnt lgkmcnt(0)
	v_add_nc_u32_e32 v1, v2, v1
	ds_read_b32 v16, v3 offset:28
	v_cmp_gt_i32_e64 s0, 0, v4
	v_cndmask_b32_e64 v4, v4, v62, s0
	v_cmp_eq_u32_e64 s0, 0, v0
	v_lshlrev_b32_e32 v4, 2, v4
	ds_bpermute_b32 v1, v4, v1
	s_and_saveexec_b32 s1, s0
	s_cbranch_execz .LBB776_70
; %bb.69:
	v_mov_b32_e32 v3, 0
	v_mov_b32_e32 v17, 2
	s_waitcnt lgkmcnt(1)
	global_store_dwordx2 v3, v[16:17], s[22:23] offset:256
.LBB776_70:
	s_or_b32 exec_lo, exec_lo, s1
	s_waitcnt lgkmcnt(0)
	v_cndmask_b32_e32 v1, v1, v2, vcc_lo
	v_mov_b32_e32 v17, 0
	s_waitcnt_vscnt null, 0x0
	s_barrier
	buffer_gl0_inv
	v_cndmask_b32_e64 v1, v1, 0, s0
	v_add_nc_u32_e32 v2, v1, v53
	v_add_nc_u32_e32 v3, v2, v54
	;; [unrolled: 1-line block ×12, first 2 shown]
.LBB776_71:
	s_waitcnt lgkmcnt(0)
	v_add_nc_u32_e32 v45, v16, v45
	v_sub_nc_u32_e32 v1, v1, v17
	v_and_b32_e32 v54, 1, v50
	v_lshrrev_b32_e32 v53, 8, v50
	v_sub_nc_u32_e32 v2, v2, v17
	v_sub_nc_u32_e32 v3, v3, v17
	;; [unrolled: 1-line block ×3, first 2 shown]
	v_cmp_eq_u32_e32 vcc_lo, 1, v54
	v_and_b32_e32 v53, 1, v53
	v_mov_b32_e32 v56, 1
	v_sub_nc_u32_e32 v54, v45, v2
	v_sub_nc_u32_e32 v4, v4, v17
	v_cndmask_b32_e32 v1, v55, v1, vcc_lo
	v_sub_nc_u32_e32 v55, v45, v3
	v_and_b32_sdwa v50, v56, v50 dst_sel:DWORD dst_unused:UNUSED_PAD src0_sel:DWORD src1_sel:WORD_1
	v_add_nc_u32_e32 v54, 1, v54
	v_cmp_eq_u32_e32 vcc_lo, 1, v53
	v_lshlrev_b32_e32 v1, 2, v1
	v_and_b32_e32 v52, 1, v52
	v_sub_nc_u32_e32 v57, v45, v4
	v_add_nc_u32_e32 v55, 2, v55
	v_lshrrev_b32_e32 v15, 8, v48
	ds_write_b32 v1, v28
	v_cndmask_b32_e32 v1, v54, v2, vcc_lo
	v_cmp_eq_u32_e32 vcc_lo, 1, v50
	v_add_nc_u32_e32 v57, 3, v57
	v_lshrrev_b32_e32 v14, 8, v47
	v_lshlrev_b32_e32 v1, 2, v1
	v_cndmask_b32_e32 v2, v55, v3, vcc_lo
	v_cmp_eq_u32_e32 vcc_lo, 1, v52
	ds_write_b32 v1, v29
	v_lshlrev_b32_e32 v2, 2, v2
	v_cndmask_b32_e32 v3, v57, v4, vcc_lo
	v_sub_nc_u32_e32 v4, v5, v17
	v_sub_nc_u32_e32 v5, v6, v17
	v_lshlrev_b32_e32 v3, 2, v3
	v_sub_nc_u32_e32 v1, v45, v4
	v_sub_nc_u32_e32 v6, v45, v5
	ds_write_b32 v2, v26
	ds_write_b32 v3, v27
	v_and_b32_e32 v2, 1, v48
	v_add_nc_u32_e32 v1, 4, v1
	v_add_nc_u32_e32 v3, 5, v6
	v_sub_nc_u32_e32 v6, v7, v17
	v_and_b32_e32 v7, 1, v15
	v_cmp_eq_u32_e32 vcc_lo, 1, v2
	v_sub_nc_u32_e32 v2, v8, v17
	v_and_b32_e32 v8, 1, v51
	v_add_co_u32 v15, s0, s20, v17
	v_cndmask_b32_e32 v1, v1, v4, vcc_lo
	v_sub_nc_u32_e32 v4, v45, v6
	v_cmp_eq_u32_e32 vcc_lo, 1, v7
	v_and_b32_sdwa v7, v56, v48 dst_sel:DWORD dst_unused:UNUSED_PAD src0_sel:DWORD src1_sel:WORD_1
	v_lshlrev_b32_e32 v1, 2, v1
	v_add_nc_u32_e32 v4, 6, v4
	v_cndmask_b32_e32 v3, v3, v5, vcc_lo
	v_sub_nc_u32_e32 v5, v45, v2
	v_cmp_eq_u32_e32 vcc_lo, 1, v7
	v_sub_nc_u32_e32 v7, v13, v17
	v_lshlrev_b32_e32 v3, 2, v3
	v_add_nc_u32_e32 v5, 7, v5
	v_cndmask_b32_e32 v4, v4, v6, vcc_lo
	v_cmp_eq_u32_e32 vcc_lo, 1, v8
	v_sub_nc_u32_e32 v6, v9, v17
	ds_write_b32 v1, v24
	ds_write_b32 v3, v25
	v_lshlrev_b32_e32 v3, 2, v4
	v_cndmask_b32_e32 v2, v5, v2, vcc_lo
	v_sub_nc_u32_e32 v1, v45, v6
	v_and_b32_e32 v5, 1, v47
	v_sub_nc_u32_e32 v4, v10, v17
	v_and_b32_e32 v10, 1, v49
	v_lshlrev_b32_e32 v2, 2, v2
	v_add_nc_u32_e32 v1, 8, v1
	ds_write_b32 v3, v22
	ds_write_b32 v2, v23
	v_cmp_eq_u32_e32 vcc_lo, 1, v5
	v_sub_nc_u32_e32 v3, v11, v17
	v_sub_nc_u32_e32 v2, v45, v4
	;; [unrolled: 1-line block ×3, first 2 shown]
	v_and_b32_e32 v11, 1, v46
	v_cndmask_b32_e32 v1, v1, v6, vcc_lo
	v_and_b32_e32 v6, 1, v14
	v_sub_nc_u32_e32 v8, v45, v3
	v_add_nc_u32_e32 v2, 9, v2
	v_sub_nc_u32_e32 v9, v45, v5
	v_lshlrev_b32_e32 v1, 2, v1
	v_cmp_eq_u32_e32 vcc_lo, 1, v6
	v_add_nc_u32_e32 v6, 10, v8
	v_and_b32_sdwa v8, v56, v47 dst_sel:DWORD dst_unused:UNUSED_PAD src0_sel:DWORD src1_sel:WORD_1
	v_add_nc_u32_e32 v9, 11, v9
	v_add_co_ci_u32_e64 v17, null, s21, 0, s0
	v_cndmask_b32_e32 v2, v2, v4, vcc_lo
	v_cmp_eq_u32_e32 vcc_lo, 1, v8
	v_sub_nc_u32_e32 v4, v45, v7
	v_lshlrev_b32_e32 v2, 2, v2
	v_cndmask_b32_e32 v3, v6, v3, vcc_lo
	v_cmp_eq_u32_e32 vcc_lo, 1, v10
	v_add_nc_u32_e32 v4, 12, v4
	v_lshlrev_b32_e32 v3, 2, v3
	v_cndmask_b32_e32 v5, v9, v5, vcc_lo
	v_cmp_eq_u32_e32 vcc_lo, 1, v11
	v_lshlrev_b32_e32 v5, 2, v5
	v_cndmask_b32_e32 v4, v4, v7, vcc_lo
	v_cmp_ne_u32_e32 vcc_lo, 1, v43
	v_lshlrev_b32_e32 v4, 2, v4
	ds_write_b32 v1, v20
	ds_write_b32 v2, v21
	;; [unrolled: 1-line block ×5, first 2 shown]
	s_waitcnt lgkmcnt(0)
	s_barrier
	buffer_gl0_inv
	ds_read2st64_b32 v[11:12], v42 offset1:4
	ds_read2st64_b32 v[9:10], v42 offset0:8 offset1:12
	ds_read2st64_b32 v[7:8], v42 offset0:16 offset1:20
	;; [unrolled: 1-line block ×5, first 2 shown]
	ds_read_b32 v18, v42 offset:12288
	s_cbranch_vccnz .LBB776_125
; %bb.72:
	s_sub_u32 s0, s18, s26
	v_sub_co_u32 v13, vcc_lo, v15, s16
	s_subb_u32 s1, s19, 0
	v_add_co_u32 v19, s0, s0, v16
	v_subrev_co_ci_u32_e64 v14, null, s17, v17, vcc_lo
	v_add_co_ci_u32_e64 v20, null, s1, 0, s0
	v_add_co_u32 v19, vcc_lo, v19, v13
	s_mov_b32 s0, exec_lo
	v_add_co_ci_u32_e64 v20, null, v20, v14, vcc_lo
                                        ; implicit-def: $vgpr13_vgpr14
	v_cmpx_ge_u32_e64 v0, v16
	s_xor_b32 s0, exec_lo, s0
; %bb.73:
	v_not_b32_e32 v13, v0
	v_ashrrev_i32_e32 v14, 31, v13
	v_add_co_u32 v13, vcc_lo, v19, v13
	v_add_co_ci_u32_e64 v14, null, v20, v14, vcc_lo
; %bb.74:
	s_andn2_saveexec_b32 s0, s0
; %bb.75:
	v_add_co_u32 v13, vcc_lo, v15, v0
	v_add_co_ci_u32_e64 v14, null, 0, v17, vcc_lo
; %bb.76:
	s_or_b32 exec_lo, exec_lo, s0
	v_lshlrev_b64 v[13:14], 2, v[13:14]
	s_mov_b32 s0, exec_lo
	v_add_co_u32 v13, vcc_lo, s14, v13
	v_add_co_ci_u32_e64 v14, null, s15, v14, vcc_lo
	s_waitcnt lgkmcnt(6)
	global_store_dword v[13:14], v11, off
                                        ; implicit-def: $vgpr13_vgpr14
	v_cmpx_ge_u32_e64 v41, v16
	s_xor_b32 s0, exec_lo, s0
; %bb.77:
	v_xor_b32_e32 v13, 0xfffffeff, v0
	v_ashrrev_i32_e32 v14, 31, v13
	v_add_co_u32 v13, vcc_lo, v19, v13
	v_add_co_ci_u32_e64 v14, null, v20, v14, vcc_lo
; %bb.78:
	s_andn2_saveexec_b32 s0, s0
; %bb.79:
	v_add_co_u32 v13, vcc_lo, v15, v41
	v_add_co_ci_u32_e64 v14, null, 0, v17, vcc_lo
; %bb.80:
	s_or_b32 exec_lo, exec_lo, s0
	v_lshlrev_b64 v[13:14], 2, v[13:14]
	s_mov_b32 s0, exec_lo
	v_add_co_u32 v13, vcc_lo, s14, v13
	v_add_co_ci_u32_e64 v14, null, s15, v14, vcc_lo
	global_store_dword v[13:14], v12, off
                                        ; implicit-def: $vgpr13_vgpr14
	v_cmpx_ge_u32_e64 v40, v16
	s_xor_b32 s0, exec_lo, s0
; %bb.81:
	v_xor_b32_e32 v13, 0xfffffdff, v0
	v_ashrrev_i32_e32 v14, 31, v13
	v_add_co_u32 v13, vcc_lo, v19, v13
	v_add_co_ci_u32_e64 v14, null, v20, v14, vcc_lo
; %bb.82:
	s_andn2_saveexec_b32 s0, s0
; %bb.83:
	v_add_co_u32 v13, vcc_lo, v15, v40
	v_add_co_ci_u32_e64 v14, null, 0, v17, vcc_lo
; %bb.84:
	s_or_b32 exec_lo, exec_lo, s0
	v_lshlrev_b64 v[13:14], 2, v[13:14]
	s_mov_b32 s0, exec_lo
	v_add_co_u32 v13, vcc_lo, s14, v13
	v_add_co_ci_u32_e64 v14, null, s15, v14, vcc_lo
	s_waitcnt lgkmcnt(5)
	global_store_dword v[13:14], v9, off
                                        ; implicit-def: $vgpr13_vgpr14
	v_cmpx_ge_u32_e64 v39, v16
	s_xor_b32 s0, exec_lo, s0
; %bb.85:
	v_xor_b32_e32 v13, 0xfffffcff, v0
	v_ashrrev_i32_e32 v14, 31, v13
	v_add_co_u32 v13, vcc_lo, v19, v13
	v_add_co_ci_u32_e64 v14, null, v20, v14, vcc_lo
; %bb.86:
	s_andn2_saveexec_b32 s0, s0
; %bb.87:
	v_add_co_u32 v13, vcc_lo, v15, v39
	v_add_co_ci_u32_e64 v14, null, 0, v17, vcc_lo
; %bb.88:
	s_or_b32 exec_lo, exec_lo, s0
	v_lshlrev_b64 v[13:14], 2, v[13:14]
	s_mov_b32 s0, exec_lo
	v_add_co_u32 v13, vcc_lo, s14, v13
	v_add_co_ci_u32_e64 v14, null, s15, v14, vcc_lo
	global_store_dword v[13:14], v10, off
                                        ; implicit-def: $vgpr13_vgpr14
	v_cmpx_ge_u32_e64 v38, v16
	s_xor_b32 s0, exec_lo, s0
; %bb.89:
	v_xor_b32_e32 v13, 0xfffffbff, v0
	;; [unrolled: 41-line block ×6, first 2 shown]
	v_ashrrev_i32_e32 v14, 31, v13
	v_add_co_u32 v13, vcc_lo, v19, v13
	v_add_co_ci_u32_e64 v14, null, v20, v14, vcc_lo
; %bb.122:
	s_andn2_saveexec_b32 s0, s0
; %bb.123:
	v_add_co_u32 v13, vcc_lo, v15, v30
	v_add_co_ci_u32_e64 v14, null, 0, v17, vcc_lo
; %bb.124:
	s_or_b32 exec_lo, exec_lo, s0
	s_mov_b32 s0, -1
	s_branch .LBB776_205
.LBB776_125:
	s_mov_b32 s0, 0
                                        ; implicit-def: $vgpr13_vgpr14
	s_cbranch_execz .LBB776_205
; %bb.126:
	s_add_u32 s1, s16, s26
	s_addc_u32 s2, s17, 0
	s_sub_u32 s1, s18, s1
	s_subb_u32 s2, s19, s2
	v_add_co_u32 v13, s1, s1, v16
	v_add_co_ci_u32_e64 v14, null, s2, 0, s1
	s_mov_b32 s1, exec_lo
	v_add_co_u32 v19, vcc_lo, v13, v15
	v_add_co_ci_u32_e64 v20, null, v14, v17, vcc_lo
	v_cmpx_gt_u32_e64 s25, v0
	s_cbranch_execz .LBB776_162
; %bb.127:
	s_mov_b32 s2, exec_lo
                                        ; implicit-def: $vgpr13_vgpr14
	v_cmpx_ge_u32_e64 v0, v16
	s_xor_b32 s2, exec_lo, s2
; %bb.128:
	v_not_b32_e32 v13, v0
	v_ashrrev_i32_e32 v14, 31, v13
	v_add_co_u32 v13, vcc_lo, v19, v13
	v_add_co_ci_u32_e64 v14, null, v20, v14, vcc_lo
; %bb.129:
	s_andn2_saveexec_b32 s2, s2
; %bb.130:
	v_add_co_u32 v13, vcc_lo, v15, v0
	v_add_co_ci_u32_e64 v14, null, 0, v17, vcc_lo
; %bb.131:
	s_or_b32 exec_lo, exec_lo, s2
	v_lshlrev_b64 v[13:14], 2, v[13:14]
	v_add_co_u32 v13, vcc_lo, s14, v13
	v_add_co_ci_u32_e64 v14, null, s15, v14, vcc_lo
	s_waitcnt lgkmcnt(6)
	global_store_dword v[13:14], v11, off
	s_or_b32 exec_lo, exec_lo, s1
	s_mov_b32 s1, exec_lo
	v_cmpx_gt_u32_e64 s25, v41
	s_cbranch_execnz .LBB776_163
.LBB776_132:
	s_or_b32 exec_lo, exec_lo, s1
	s_mov_b32 s1, exec_lo
	v_cmpx_gt_u32_e64 s25, v40
	s_cbranch_execz .LBB776_168
.LBB776_133:
	s_mov_b32 s2, exec_lo
                                        ; implicit-def: $vgpr11_vgpr12
	v_cmpx_ge_u32_e64 v40, v16
	s_xor_b32 s2, exec_lo, s2
	s_cbranch_execz .LBB776_135
; %bb.134:
	s_waitcnt lgkmcnt(6)
	v_xor_b32_e32 v11, 0xfffffdff, v0
                                        ; implicit-def: $vgpr40
	v_ashrrev_i32_e32 v12, 31, v11
	v_add_co_u32 v11, vcc_lo, v19, v11
	v_add_co_ci_u32_e64 v12, null, v20, v12, vcc_lo
.LBB776_135:
	s_andn2_saveexec_b32 s2, s2
	s_cbranch_execz .LBB776_137
; %bb.136:
	s_waitcnt lgkmcnt(6)
	v_add_co_u32 v11, vcc_lo, v15, v40
	v_add_co_ci_u32_e64 v12, null, 0, v17, vcc_lo
.LBB776_137:
	s_or_b32 exec_lo, exec_lo, s2
	s_waitcnt lgkmcnt(6)
	v_lshlrev_b64 v[11:12], 2, v[11:12]
	v_add_co_u32 v11, vcc_lo, s14, v11
	v_add_co_ci_u32_e64 v12, null, s15, v12, vcc_lo
	s_waitcnt lgkmcnt(5)
	global_store_dword v[11:12], v9, off
	s_or_b32 exec_lo, exec_lo, s1
	s_mov_b32 s1, exec_lo
	v_cmpx_gt_u32_e64 s25, v39
	s_cbranch_execnz .LBB776_169
.LBB776_138:
	s_or_b32 exec_lo, exec_lo, s1
	s_mov_b32 s1, exec_lo
	v_cmpx_gt_u32_e64 s25, v38
	s_cbranch_execz .LBB776_174
.LBB776_139:
	s_mov_b32 s2, exec_lo
                                        ; implicit-def: $vgpr9_vgpr10
	v_cmpx_ge_u32_e64 v38, v16
	s_xor_b32 s2, exec_lo, s2
	s_cbranch_execz .LBB776_141
; %bb.140:
	s_waitcnt lgkmcnt(5)
	v_xor_b32_e32 v9, 0xfffffbff, v0
                                        ; implicit-def: $vgpr38
	v_ashrrev_i32_e32 v10, 31, v9
	v_add_co_u32 v9, vcc_lo, v19, v9
	v_add_co_ci_u32_e64 v10, null, v20, v10, vcc_lo
.LBB776_141:
	s_andn2_saveexec_b32 s2, s2
	s_cbranch_execz .LBB776_143
; %bb.142:
	s_waitcnt lgkmcnt(5)
	v_add_co_u32 v9, vcc_lo, v15, v38
	v_add_co_ci_u32_e64 v10, null, 0, v17, vcc_lo
.LBB776_143:
	s_or_b32 exec_lo, exec_lo, s2
	s_waitcnt lgkmcnt(5)
	v_lshlrev_b64 v[9:10], 2, v[9:10]
	v_add_co_u32 v9, vcc_lo, s14, v9
	v_add_co_ci_u32_e64 v10, null, s15, v10, vcc_lo
	s_waitcnt lgkmcnt(4)
	global_store_dword v[9:10], v7, off
	s_or_b32 exec_lo, exec_lo, s1
	s_mov_b32 s1, exec_lo
	v_cmpx_gt_u32_e64 s25, v37
	s_cbranch_execnz .LBB776_175
.LBB776_144:
	s_or_b32 exec_lo, exec_lo, s1
	s_mov_b32 s1, exec_lo
	v_cmpx_gt_u32_e64 s25, v36
	s_cbranch_execz .LBB776_180
.LBB776_145:
	s_mov_b32 s2, exec_lo
                                        ; implicit-def: $vgpr7_vgpr8
	v_cmpx_ge_u32_e64 v36, v16
	s_xor_b32 s2, exec_lo, s2
	s_cbranch_execz .LBB776_147
; %bb.146:
	s_waitcnt lgkmcnt(4)
	v_xor_b32_e32 v7, 0xfffff9ff, v0
                                        ; implicit-def: $vgpr36
	v_ashrrev_i32_e32 v8, 31, v7
	v_add_co_u32 v7, vcc_lo, v19, v7
	v_add_co_ci_u32_e64 v8, null, v20, v8, vcc_lo
.LBB776_147:
	s_andn2_saveexec_b32 s2, s2
	s_cbranch_execz .LBB776_149
; %bb.148:
	s_waitcnt lgkmcnt(4)
	v_add_co_u32 v7, vcc_lo, v15, v36
	v_add_co_ci_u32_e64 v8, null, 0, v17, vcc_lo
.LBB776_149:
	s_or_b32 exec_lo, exec_lo, s2
	s_waitcnt lgkmcnt(4)
	v_lshlrev_b64 v[7:8], 2, v[7:8]
	v_add_co_u32 v7, vcc_lo, s14, v7
	v_add_co_ci_u32_e64 v8, null, s15, v8, vcc_lo
	s_waitcnt lgkmcnt(3)
	global_store_dword v[7:8], v5, off
	s_or_b32 exec_lo, exec_lo, s1
	s_mov_b32 s1, exec_lo
	v_cmpx_gt_u32_e64 s25, v35
	s_cbranch_execnz .LBB776_181
.LBB776_150:
	s_or_b32 exec_lo, exec_lo, s1
	s_mov_b32 s1, exec_lo
	v_cmpx_gt_u32_e64 s25, v34
	s_cbranch_execz .LBB776_186
.LBB776_151:
	s_mov_b32 s2, exec_lo
                                        ; implicit-def: $vgpr5_vgpr6
	v_cmpx_ge_u32_e64 v34, v16
	s_xor_b32 s2, exec_lo, s2
	s_cbranch_execz .LBB776_153
; %bb.152:
	s_waitcnt lgkmcnt(3)
	v_xor_b32_e32 v5, 0xfffff7ff, v0
                                        ; implicit-def: $vgpr34
	v_ashrrev_i32_e32 v6, 31, v5
	v_add_co_u32 v5, vcc_lo, v19, v5
	v_add_co_ci_u32_e64 v6, null, v20, v6, vcc_lo
.LBB776_153:
	s_andn2_saveexec_b32 s2, s2
	s_cbranch_execz .LBB776_155
; %bb.154:
	s_waitcnt lgkmcnt(3)
	v_add_co_u32 v5, vcc_lo, v15, v34
	v_add_co_ci_u32_e64 v6, null, 0, v17, vcc_lo
.LBB776_155:
	s_or_b32 exec_lo, exec_lo, s2
	s_waitcnt lgkmcnt(3)
	v_lshlrev_b64 v[5:6], 2, v[5:6]
	v_add_co_u32 v5, vcc_lo, s14, v5
	v_add_co_ci_u32_e64 v6, null, s15, v6, vcc_lo
	s_waitcnt lgkmcnt(2)
	global_store_dword v[5:6], v3, off
	s_or_b32 exec_lo, exec_lo, s1
	s_mov_b32 s1, exec_lo
	v_cmpx_gt_u32_e64 s25, v33
	s_cbranch_execnz .LBB776_187
.LBB776_156:
	s_or_b32 exec_lo, exec_lo, s1
	s_mov_b32 s1, exec_lo
	v_cmpx_gt_u32_e64 s25, v32
	s_cbranch_execz .LBB776_192
.LBB776_157:
	s_mov_b32 s2, exec_lo
                                        ; implicit-def: $vgpr3_vgpr4
	v_cmpx_ge_u32_e64 v32, v16
	s_xor_b32 s2, exec_lo, s2
	s_cbranch_execz .LBB776_159
; %bb.158:
	s_waitcnt lgkmcnt(2)
	v_xor_b32_e32 v3, 0xfffff5ff, v0
                                        ; implicit-def: $vgpr32
	v_ashrrev_i32_e32 v4, 31, v3
	v_add_co_u32 v3, vcc_lo, v19, v3
	v_add_co_ci_u32_e64 v4, null, v20, v4, vcc_lo
.LBB776_159:
	s_andn2_saveexec_b32 s2, s2
	s_cbranch_execz .LBB776_161
; %bb.160:
	s_waitcnt lgkmcnt(2)
	v_add_co_u32 v3, vcc_lo, v15, v32
	v_add_co_ci_u32_e64 v4, null, 0, v17, vcc_lo
.LBB776_161:
	s_or_b32 exec_lo, exec_lo, s2
	s_waitcnt lgkmcnt(2)
	v_lshlrev_b64 v[3:4], 2, v[3:4]
	v_add_co_u32 v3, vcc_lo, s14, v3
	v_add_co_ci_u32_e64 v4, null, s15, v4, vcc_lo
	s_waitcnt lgkmcnt(1)
	global_store_dword v[3:4], v1, off
	s_or_b32 exec_lo, exec_lo, s1
	s_mov_b32 s1, exec_lo
	v_cmpx_gt_u32_e64 s25, v31
	s_cbranch_execz .LBB776_198
	s_branch .LBB776_193
.LBB776_162:
	s_or_b32 exec_lo, exec_lo, s1
	s_mov_b32 s1, exec_lo
	v_cmpx_gt_u32_e64 s25, v41
	s_cbranch_execz .LBB776_132
.LBB776_163:
	s_mov_b32 s2, exec_lo
                                        ; implicit-def: $vgpr13_vgpr14
	v_cmpx_ge_u32_e64 v41, v16
	s_xor_b32 s2, exec_lo, s2
	s_cbranch_execz .LBB776_165
; %bb.164:
	s_waitcnt lgkmcnt(6)
	v_xor_b32_e32 v11, 0xfffffeff, v0
                                        ; implicit-def: $vgpr41
	v_ashrrev_i32_e32 v14, 31, v11
	v_add_co_u32 v13, vcc_lo, v19, v11
	v_add_co_ci_u32_e64 v14, null, v20, v14, vcc_lo
.LBB776_165:
	s_andn2_saveexec_b32 s2, s2
; %bb.166:
	v_add_co_u32 v13, vcc_lo, v15, v41
	v_add_co_ci_u32_e64 v14, null, 0, v17, vcc_lo
; %bb.167:
	s_or_b32 exec_lo, exec_lo, s2
	v_lshlrev_b64 v[13:14], 2, v[13:14]
	v_add_co_u32 v13, vcc_lo, s14, v13
	v_add_co_ci_u32_e64 v14, null, s15, v14, vcc_lo
	s_waitcnt lgkmcnt(6)
	global_store_dword v[13:14], v12, off
	s_or_b32 exec_lo, exec_lo, s1
	s_mov_b32 s1, exec_lo
	v_cmpx_gt_u32_e64 s25, v40
	s_cbranch_execnz .LBB776_133
.LBB776_168:
	s_or_b32 exec_lo, exec_lo, s1
	s_mov_b32 s1, exec_lo
	v_cmpx_gt_u32_e64 s25, v39
	s_cbranch_execz .LBB776_138
.LBB776_169:
	s_mov_b32 s2, exec_lo
                                        ; implicit-def: $vgpr11_vgpr12
	v_cmpx_ge_u32_e64 v39, v16
	s_xor_b32 s2, exec_lo, s2
	s_cbranch_execz .LBB776_171
; %bb.170:
	s_waitcnt lgkmcnt(5)
	v_xor_b32_e32 v9, 0xfffffcff, v0
                                        ; implicit-def: $vgpr39
	v_ashrrev_i32_e32 v12, 31, v9
	v_add_co_u32 v11, vcc_lo, v19, v9
	v_add_co_ci_u32_e64 v12, null, v20, v12, vcc_lo
.LBB776_171:
	s_andn2_saveexec_b32 s2, s2
	s_cbranch_execz .LBB776_173
; %bb.172:
	s_waitcnt lgkmcnt(6)
	v_add_co_u32 v11, vcc_lo, v15, v39
	v_add_co_ci_u32_e64 v12, null, 0, v17, vcc_lo
.LBB776_173:
	s_or_b32 exec_lo, exec_lo, s2
	s_waitcnt lgkmcnt(6)
	v_lshlrev_b64 v[11:12], 2, v[11:12]
	v_add_co_u32 v11, vcc_lo, s14, v11
	v_add_co_ci_u32_e64 v12, null, s15, v12, vcc_lo
	s_waitcnt lgkmcnt(5)
	global_store_dword v[11:12], v10, off
	s_or_b32 exec_lo, exec_lo, s1
	s_mov_b32 s1, exec_lo
	v_cmpx_gt_u32_e64 s25, v38
	s_cbranch_execnz .LBB776_139
.LBB776_174:
	s_or_b32 exec_lo, exec_lo, s1
	s_mov_b32 s1, exec_lo
	v_cmpx_gt_u32_e64 s25, v37
	s_cbranch_execz .LBB776_144
.LBB776_175:
	s_mov_b32 s2, exec_lo
                                        ; implicit-def: $vgpr9_vgpr10
	v_cmpx_ge_u32_e64 v37, v16
	s_xor_b32 s2, exec_lo, s2
	s_cbranch_execz .LBB776_177
; %bb.176:
	s_waitcnt lgkmcnt(4)
	v_xor_b32_e32 v7, 0xfffffaff, v0
                                        ; implicit-def: $vgpr37
	v_ashrrev_i32_e32 v10, 31, v7
	v_add_co_u32 v9, vcc_lo, v19, v7
	v_add_co_ci_u32_e64 v10, null, v20, v10, vcc_lo
.LBB776_177:
	s_andn2_saveexec_b32 s2, s2
	s_cbranch_execz .LBB776_179
; %bb.178:
	s_waitcnt lgkmcnt(5)
	v_add_co_u32 v9, vcc_lo, v15, v37
	v_add_co_ci_u32_e64 v10, null, 0, v17, vcc_lo
.LBB776_179:
	s_or_b32 exec_lo, exec_lo, s2
	s_waitcnt lgkmcnt(5)
	v_lshlrev_b64 v[9:10], 2, v[9:10]
	v_add_co_u32 v9, vcc_lo, s14, v9
	v_add_co_ci_u32_e64 v10, null, s15, v10, vcc_lo
	s_waitcnt lgkmcnt(4)
	global_store_dword v[9:10], v8, off
	s_or_b32 exec_lo, exec_lo, s1
	s_mov_b32 s1, exec_lo
	v_cmpx_gt_u32_e64 s25, v36
	s_cbranch_execnz .LBB776_145
.LBB776_180:
	s_or_b32 exec_lo, exec_lo, s1
	s_mov_b32 s1, exec_lo
	v_cmpx_gt_u32_e64 s25, v35
	s_cbranch_execz .LBB776_150
.LBB776_181:
	s_mov_b32 s2, exec_lo
                                        ; implicit-def: $vgpr7_vgpr8
	v_cmpx_ge_u32_e64 v35, v16
	s_xor_b32 s2, exec_lo, s2
	s_cbranch_execz .LBB776_183
; %bb.182:
	s_waitcnt lgkmcnt(3)
	v_xor_b32_e32 v5, 0xfffff8ff, v0
                                        ; implicit-def: $vgpr35
	v_ashrrev_i32_e32 v8, 31, v5
	v_add_co_u32 v7, vcc_lo, v19, v5
	v_add_co_ci_u32_e64 v8, null, v20, v8, vcc_lo
.LBB776_183:
	s_andn2_saveexec_b32 s2, s2
	s_cbranch_execz .LBB776_185
; %bb.184:
	s_waitcnt lgkmcnt(4)
	v_add_co_u32 v7, vcc_lo, v15, v35
	v_add_co_ci_u32_e64 v8, null, 0, v17, vcc_lo
.LBB776_185:
	s_or_b32 exec_lo, exec_lo, s2
	s_waitcnt lgkmcnt(4)
	v_lshlrev_b64 v[7:8], 2, v[7:8]
	v_add_co_u32 v7, vcc_lo, s14, v7
	v_add_co_ci_u32_e64 v8, null, s15, v8, vcc_lo
	s_waitcnt lgkmcnt(3)
	global_store_dword v[7:8], v6, off
	s_or_b32 exec_lo, exec_lo, s1
	s_mov_b32 s1, exec_lo
	v_cmpx_gt_u32_e64 s25, v34
	s_cbranch_execnz .LBB776_151
.LBB776_186:
	s_or_b32 exec_lo, exec_lo, s1
	s_mov_b32 s1, exec_lo
	v_cmpx_gt_u32_e64 s25, v33
	s_cbranch_execz .LBB776_156
.LBB776_187:
	s_mov_b32 s2, exec_lo
                                        ; implicit-def: $vgpr5_vgpr6
	v_cmpx_ge_u32_e64 v33, v16
	s_xor_b32 s2, exec_lo, s2
	s_cbranch_execz .LBB776_189
; %bb.188:
	s_waitcnt lgkmcnt(2)
	v_xor_b32_e32 v3, 0xfffff6ff, v0
                                        ; implicit-def: $vgpr33
	v_ashrrev_i32_e32 v6, 31, v3
	v_add_co_u32 v5, vcc_lo, v19, v3
	v_add_co_ci_u32_e64 v6, null, v20, v6, vcc_lo
.LBB776_189:
	s_andn2_saveexec_b32 s2, s2
	s_cbranch_execz .LBB776_191
; %bb.190:
	s_waitcnt lgkmcnt(3)
	v_add_co_u32 v5, vcc_lo, v15, v33
	v_add_co_ci_u32_e64 v6, null, 0, v17, vcc_lo
.LBB776_191:
	s_or_b32 exec_lo, exec_lo, s2
	s_waitcnt lgkmcnt(3)
	v_lshlrev_b64 v[5:6], 2, v[5:6]
	v_add_co_u32 v5, vcc_lo, s14, v5
	v_add_co_ci_u32_e64 v6, null, s15, v6, vcc_lo
	s_waitcnt lgkmcnt(2)
	global_store_dword v[5:6], v4, off
	s_or_b32 exec_lo, exec_lo, s1
	s_mov_b32 s1, exec_lo
	v_cmpx_gt_u32_e64 s25, v32
	s_cbranch_execnz .LBB776_157
.LBB776_192:
	s_or_b32 exec_lo, exec_lo, s1
	s_mov_b32 s1, exec_lo
	v_cmpx_gt_u32_e64 s25, v31
	s_cbranch_execz .LBB776_198
.LBB776_193:
	s_mov_b32 s2, exec_lo
                                        ; implicit-def: $vgpr3_vgpr4
	v_cmpx_ge_u32_e64 v31, v16
	s_xor_b32 s2, exec_lo, s2
	s_cbranch_execz .LBB776_195
; %bb.194:
	s_waitcnt lgkmcnt(1)
	v_xor_b32_e32 v1, 0xfffff4ff, v0
                                        ; implicit-def: $vgpr31
	v_ashrrev_i32_e32 v4, 31, v1
	v_add_co_u32 v3, vcc_lo, v19, v1
	v_add_co_ci_u32_e64 v4, null, v20, v4, vcc_lo
.LBB776_195:
	s_andn2_saveexec_b32 s2, s2
	s_cbranch_execz .LBB776_197
; %bb.196:
	s_waitcnt lgkmcnt(2)
	v_add_co_u32 v3, vcc_lo, v15, v31
	v_add_co_ci_u32_e64 v4, null, 0, v17, vcc_lo
.LBB776_197:
	s_or_b32 exec_lo, exec_lo, s2
	s_waitcnt lgkmcnt(2)
	v_lshlrev_b64 v[3:4], 2, v[3:4]
	v_add_co_u32 v3, vcc_lo, s14, v3
	v_add_co_ci_u32_e64 v4, null, s15, v4, vcc_lo
	s_waitcnt lgkmcnt(1)
	global_store_dword v[3:4], v2, off
.LBB776_198:
	s_or_b32 exec_lo, exec_lo, s1
	s_mov_b32 s1, exec_lo
                                        ; implicit-def: $vgpr13_vgpr14
	v_cmpx_gt_u32_e64 s25, v30
	s_cbranch_execz .LBB776_204
; %bb.199:
	s_mov_b32 s2, exec_lo
                                        ; implicit-def: $vgpr13_vgpr14
	v_cmpx_ge_u32_e64 v30, v16
	s_xor_b32 s2, exec_lo, s2
	s_cbranch_execz .LBB776_201
; %bb.200:
	s_waitcnt lgkmcnt(1)
	v_xor_b32_e32 v1, 0xfffff3ff, v0
                                        ; implicit-def: $vgpr30
	v_ashrrev_i32_e32 v2, 31, v1
	v_add_co_u32 v13, vcc_lo, v19, v1
	v_add_co_ci_u32_e64 v14, null, v20, v2, vcc_lo
.LBB776_201:
	s_andn2_saveexec_b32 s2, s2
; %bb.202:
	v_add_co_u32 v13, vcc_lo, v15, v30
	v_add_co_ci_u32_e64 v14, null, 0, v17, vcc_lo
; %bb.203:
	s_or_b32 exec_lo, exec_lo, s2
	s_or_b32 s0, s0, exec_lo
.LBB776_204:
	s_or_b32 exec_lo, exec_lo, s1
.LBB776_205:
	s_and_saveexec_b32 s1, s0
	s_cbranch_execz .LBB776_207
; %bb.206:
	s_waitcnt lgkmcnt(1)
	v_lshlrev_b64 v[1:2], 2, v[13:14]
	v_add_co_u32 v1, vcc_lo, s14, v1
	v_add_co_ci_u32_e64 v2, null, s15, v2, vcc_lo
	s_waitcnt lgkmcnt(0)
	global_store_dword v[1:2], v18, off
.LBB776_207:
	s_or_b32 exec_lo, exec_lo, s1
	v_cmp_eq_u32_e32 vcc_lo, 0, v0
	s_and_b32 s0, vcc_lo, s24
	s_and_saveexec_b32 s1, s0
	s_cbranch_execz .LBB776_209
; %bb.208:
	v_add_co_u32 v0, vcc_lo, v15, v16
	s_waitcnt lgkmcnt(1)
	v_mov_b32_e32 v2, 0
	v_add_co_ci_u32_e64 v1, null, 0, v17, vcc_lo
	global_store_dwordx2 v2, v[0:1], s[12:13]
.LBB776_209:
	s_endpgm
	.section	.rodata,"a",@progbits
	.p2align	6, 0x0
	.amdhsa_kernel _ZN7rocprim17ROCPRIM_400000_NS6detail17trampoline_kernelINS0_13select_configILj256ELj13ELNS0_17block_load_methodE3ELS4_3ELS4_3ELNS0_20block_scan_algorithmE0ELj4294967295EEENS1_25partition_config_selectorILNS1_17partition_subalgoE3EjNS0_10empty_typeEbEEZZNS1_14partition_implILS8_3ELb0ES6_jNS0_17counting_iteratorIjlEEPS9_SE_NS0_5tupleIJPjSE_EEENSF_IJSE_SE_EEES9_SG_JZNS1_25segmented_radix_sort_implINS0_14default_configELb0EPKlPlSM_SN_N2at6native12_GLOBAL__N_18offset_tEEE10hipError_tPvRmT1_PNSt15iterator_traitsISV_E10value_typeET2_T3_PNSW_IS11_E10value_typeET4_jRbjT5_S17_jjP12ihipStream_tbEUljE_EEESS_ST_SU_S11_S15_S17_T6_T7_T9_mT8_S19_bDpT10_ENKUlT_T0_E_clISt17integral_constantIbLb0EES1M_EEDaS1H_S1I_EUlS1H_E_NS1_11comp_targetILNS1_3genE8ELNS1_11target_archE1030ELNS1_3gpuE2ELNS1_3repE0EEENS1_30default_config_static_selectorELNS0_4arch9wavefront6targetE0EEEvSV_
		.amdhsa_group_segment_fixed_size 13320
		.amdhsa_private_segment_fixed_size 0
		.amdhsa_kernarg_size 144
		.amdhsa_user_sgpr_count 6
		.amdhsa_user_sgpr_private_segment_buffer 1
		.amdhsa_user_sgpr_dispatch_ptr 0
		.amdhsa_user_sgpr_queue_ptr 0
		.amdhsa_user_sgpr_kernarg_segment_ptr 1
		.amdhsa_user_sgpr_dispatch_id 0
		.amdhsa_user_sgpr_flat_scratch_init 0
		.amdhsa_user_sgpr_private_segment_size 0
		.amdhsa_wavefront_size32 1
		.amdhsa_uses_dynamic_stack 0
		.amdhsa_system_sgpr_private_segment_wavefront_offset 0
		.amdhsa_system_sgpr_workgroup_id_x 1
		.amdhsa_system_sgpr_workgroup_id_y 0
		.amdhsa_system_sgpr_workgroup_id_z 0
		.amdhsa_system_sgpr_workgroup_info 0
		.amdhsa_system_vgpr_workitem_id 0
		.amdhsa_next_free_vgpr 69
		.amdhsa_next_free_sgpr 27
		.amdhsa_reserve_vcc 1
		.amdhsa_reserve_flat_scratch 0
		.amdhsa_float_round_mode_32 0
		.amdhsa_float_round_mode_16_64 0
		.amdhsa_float_denorm_mode_32 3
		.amdhsa_float_denorm_mode_16_64 3
		.amdhsa_dx10_clamp 1
		.amdhsa_ieee_mode 1
		.amdhsa_fp16_overflow 0
		.amdhsa_workgroup_processor_mode 1
		.amdhsa_memory_ordered 1
		.amdhsa_forward_progress 1
		.amdhsa_shared_vgpr_count 0
		.amdhsa_exception_fp_ieee_invalid_op 0
		.amdhsa_exception_fp_denorm_src 0
		.amdhsa_exception_fp_ieee_div_zero 0
		.amdhsa_exception_fp_ieee_overflow 0
		.amdhsa_exception_fp_ieee_underflow 0
		.amdhsa_exception_fp_ieee_inexact 0
		.amdhsa_exception_int_div_zero 0
	.end_amdhsa_kernel
	.section	.text._ZN7rocprim17ROCPRIM_400000_NS6detail17trampoline_kernelINS0_13select_configILj256ELj13ELNS0_17block_load_methodE3ELS4_3ELS4_3ELNS0_20block_scan_algorithmE0ELj4294967295EEENS1_25partition_config_selectorILNS1_17partition_subalgoE3EjNS0_10empty_typeEbEEZZNS1_14partition_implILS8_3ELb0ES6_jNS0_17counting_iteratorIjlEEPS9_SE_NS0_5tupleIJPjSE_EEENSF_IJSE_SE_EEES9_SG_JZNS1_25segmented_radix_sort_implINS0_14default_configELb0EPKlPlSM_SN_N2at6native12_GLOBAL__N_18offset_tEEE10hipError_tPvRmT1_PNSt15iterator_traitsISV_E10value_typeET2_T3_PNSW_IS11_E10value_typeET4_jRbjT5_S17_jjP12ihipStream_tbEUljE_EEESS_ST_SU_S11_S15_S17_T6_T7_T9_mT8_S19_bDpT10_ENKUlT_T0_E_clISt17integral_constantIbLb0EES1M_EEDaS1H_S1I_EUlS1H_E_NS1_11comp_targetILNS1_3genE8ELNS1_11target_archE1030ELNS1_3gpuE2ELNS1_3repE0EEENS1_30default_config_static_selectorELNS0_4arch9wavefront6targetE0EEEvSV_,"axG",@progbits,_ZN7rocprim17ROCPRIM_400000_NS6detail17trampoline_kernelINS0_13select_configILj256ELj13ELNS0_17block_load_methodE3ELS4_3ELS4_3ELNS0_20block_scan_algorithmE0ELj4294967295EEENS1_25partition_config_selectorILNS1_17partition_subalgoE3EjNS0_10empty_typeEbEEZZNS1_14partition_implILS8_3ELb0ES6_jNS0_17counting_iteratorIjlEEPS9_SE_NS0_5tupleIJPjSE_EEENSF_IJSE_SE_EEES9_SG_JZNS1_25segmented_radix_sort_implINS0_14default_configELb0EPKlPlSM_SN_N2at6native12_GLOBAL__N_18offset_tEEE10hipError_tPvRmT1_PNSt15iterator_traitsISV_E10value_typeET2_T3_PNSW_IS11_E10value_typeET4_jRbjT5_S17_jjP12ihipStream_tbEUljE_EEESS_ST_SU_S11_S15_S17_T6_T7_T9_mT8_S19_bDpT10_ENKUlT_T0_E_clISt17integral_constantIbLb0EES1M_EEDaS1H_S1I_EUlS1H_E_NS1_11comp_targetILNS1_3genE8ELNS1_11target_archE1030ELNS1_3gpuE2ELNS1_3repE0EEENS1_30default_config_static_selectorELNS0_4arch9wavefront6targetE0EEEvSV_,comdat
.Lfunc_end776:
	.size	_ZN7rocprim17ROCPRIM_400000_NS6detail17trampoline_kernelINS0_13select_configILj256ELj13ELNS0_17block_load_methodE3ELS4_3ELS4_3ELNS0_20block_scan_algorithmE0ELj4294967295EEENS1_25partition_config_selectorILNS1_17partition_subalgoE3EjNS0_10empty_typeEbEEZZNS1_14partition_implILS8_3ELb0ES6_jNS0_17counting_iteratorIjlEEPS9_SE_NS0_5tupleIJPjSE_EEENSF_IJSE_SE_EEES9_SG_JZNS1_25segmented_radix_sort_implINS0_14default_configELb0EPKlPlSM_SN_N2at6native12_GLOBAL__N_18offset_tEEE10hipError_tPvRmT1_PNSt15iterator_traitsISV_E10value_typeET2_T3_PNSW_IS11_E10value_typeET4_jRbjT5_S17_jjP12ihipStream_tbEUljE_EEESS_ST_SU_S11_S15_S17_T6_T7_T9_mT8_S19_bDpT10_ENKUlT_T0_E_clISt17integral_constantIbLb0EES1M_EEDaS1H_S1I_EUlS1H_E_NS1_11comp_targetILNS1_3genE8ELNS1_11target_archE1030ELNS1_3gpuE2ELNS1_3repE0EEENS1_30default_config_static_selectorELNS0_4arch9wavefront6targetE0EEEvSV_, .Lfunc_end776-_ZN7rocprim17ROCPRIM_400000_NS6detail17trampoline_kernelINS0_13select_configILj256ELj13ELNS0_17block_load_methodE3ELS4_3ELS4_3ELNS0_20block_scan_algorithmE0ELj4294967295EEENS1_25partition_config_selectorILNS1_17partition_subalgoE3EjNS0_10empty_typeEbEEZZNS1_14partition_implILS8_3ELb0ES6_jNS0_17counting_iteratorIjlEEPS9_SE_NS0_5tupleIJPjSE_EEENSF_IJSE_SE_EEES9_SG_JZNS1_25segmented_radix_sort_implINS0_14default_configELb0EPKlPlSM_SN_N2at6native12_GLOBAL__N_18offset_tEEE10hipError_tPvRmT1_PNSt15iterator_traitsISV_E10value_typeET2_T3_PNSW_IS11_E10value_typeET4_jRbjT5_S17_jjP12ihipStream_tbEUljE_EEESS_ST_SU_S11_S15_S17_T6_T7_T9_mT8_S19_bDpT10_ENKUlT_T0_E_clISt17integral_constantIbLb0EES1M_EEDaS1H_S1I_EUlS1H_E_NS1_11comp_targetILNS1_3genE8ELNS1_11target_archE1030ELNS1_3gpuE2ELNS1_3repE0EEENS1_30default_config_static_selectorELNS0_4arch9wavefront6targetE0EEEvSV_
                                        ; -- End function
	.set _ZN7rocprim17ROCPRIM_400000_NS6detail17trampoline_kernelINS0_13select_configILj256ELj13ELNS0_17block_load_methodE3ELS4_3ELS4_3ELNS0_20block_scan_algorithmE0ELj4294967295EEENS1_25partition_config_selectorILNS1_17partition_subalgoE3EjNS0_10empty_typeEbEEZZNS1_14partition_implILS8_3ELb0ES6_jNS0_17counting_iteratorIjlEEPS9_SE_NS0_5tupleIJPjSE_EEENSF_IJSE_SE_EEES9_SG_JZNS1_25segmented_radix_sort_implINS0_14default_configELb0EPKlPlSM_SN_N2at6native12_GLOBAL__N_18offset_tEEE10hipError_tPvRmT1_PNSt15iterator_traitsISV_E10value_typeET2_T3_PNSW_IS11_E10value_typeET4_jRbjT5_S17_jjP12ihipStream_tbEUljE_EEESS_ST_SU_S11_S15_S17_T6_T7_T9_mT8_S19_bDpT10_ENKUlT_T0_E_clISt17integral_constantIbLb0EES1M_EEDaS1H_S1I_EUlS1H_E_NS1_11comp_targetILNS1_3genE8ELNS1_11target_archE1030ELNS1_3gpuE2ELNS1_3repE0EEENS1_30default_config_static_selectorELNS0_4arch9wavefront6targetE0EEEvSV_.num_vgpr, 69
	.set _ZN7rocprim17ROCPRIM_400000_NS6detail17trampoline_kernelINS0_13select_configILj256ELj13ELNS0_17block_load_methodE3ELS4_3ELS4_3ELNS0_20block_scan_algorithmE0ELj4294967295EEENS1_25partition_config_selectorILNS1_17partition_subalgoE3EjNS0_10empty_typeEbEEZZNS1_14partition_implILS8_3ELb0ES6_jNS0_17counting_iteratorIjlEEPS9_SE_NS0_5tupleIJPjSE_EEENSF_IJSE_SE_EEES9_SG_JZNS1_25segmented_radix_sort_implINS0_14default_configELb0EPKlPlSM_SN_N2at6native12_GLOBAL__N_18offset_tEEE10hipError_tPvRmT1_PNSt15iterator_traitsISV_E10value_typeET2_T3_PNSW_IS11_E10value_typeET4_jRbjT5_S17_jjP12ihipStream_tbEUljE_EEESS_ST_SU_S11_S15_S17_T6_T7_T9_mT8_S19_bDpT10_ENKUlT_T0_E_clISt17integral_constantIbLb0EES1M_EEDaS1H_S1I_EUlS1H_E_NS1_11comp_targetILNS1_3genE8ELNS1_11target_archE1030ELNS1_3gpuE2ELNS1_3repE0EEENS1_30default_config_static_selectorELNS0_4arch9wavefront6targetE0EEEvSV_.num_agpr, 0
	.set _ZN7rocprim17ROCPRIM_400000_NS6detail17trampoline_kernelINS0_13select_configILj256ELj13ELNS0_17block_load_methodE3ELS4_3ELS4_3ELNS0_20block_scan_algorithmE0ELj4294967295EEENS1_25partition_config_selectorILNS1_17partition_subalgoE3EjNS0_10empty_typeEbEEZZNS1_14partition_implILS8_3ELb0ES6_jNS0_17counting_iteratorIjlEEPS9_SE_NS0_5tupleIJPjSE_EEENSF_IJSE_SE_EEES9_SG_JZNS1_25segmented_radix_sort_implINS0_14default_configELb0EPKlPlSM_SN_N2at6native12_GLOBAL__N_18offset_tEEE10hipError_tPvRmT1_PNSt15iterator_traitsISV_E10value_typeET2_T3_PNSW_IS11_E10value_typeET4_jRbjT5_S17_jjP12ihipStream_tbEUljE_EEESS_ST_SU_S11_S15_S17_T6_T7_T9_mT8_S19_bDpT10_ENKUlT_T0_E_clISt17integral_constantIbLb0EES1M_EEDaS1H_S1I_EUlS1H_E_NS1_11comp_targetILNS1_3genE8ELNS1_11target_archE1030ELNS1_3gpuE2ELNS1_3repE0EEENS1_30default_config_static_selectorELNS0_4arch9wavefront6targetE0EEEvSV_.numbered_sgpr, 27
	.set _ZN7rocprim17ROCPRIM_400000_NS6detail17trampoline_kernelINS0_13select_configILj256ELj13ELNS0_17block_load_methodE3ELS4_3ELS4_3ELNS0_20block_scan_algorithmE0ELj4294967295EEENS1_25partition_config_selectorILNS1_17partition_subalgoE3EjNS0_10empty_typeEbEEZZNS1_14partition_implILS8_3ELb0ES6_jNS0_17counting_iteratorIjlEEPS9_SE_NS0_5tupleIJPjSE_EEENSF_IJSE_SE_EEES9_SG_JZNS1_25segmented_radix_sort_implINS0_14default_configELb0EPKlPlSM_SN_N2at6native12_GLOBAL__N_18offset_tEEE10hipError_tPvRmT1_PNSt15iterator_traitsISV_E10value_typeET2_T3_PNSW_IS11_E10value_typeET4_jRbjT5_S17_jjP12ihipStream_tbEUljE_EEESS_ST_SU_S11_S15_S17_T6_T7_T9_mT8_S19_bDpT10_ENKUlT_T0_E_clISt17integral_constantIbLb0EES1M_EEDaS1H_S1I_EUlS1H_E_NS1_11comp_targetILNS1_3genE8ELNS1_11target_archE1030ELNS1_3gpuE2ELNS1_3repE0EEENS1_30default_config_static_selectorELNS0_4arch9wavefront6targetE0EEEvSV_.num_named_barrier, 0
	.set _ZN7rocprim17ROCPRIM_400000_NS6detail17trampoline_kernelINS0_13select_configILj256ELj13ELNS0_17block_load_methodE3ELS4_3ELS4_3ELNS0_20block_scan_algorithmE0ELj4294967295EEENS1_25partition_config_selectorILNS1_17partition_subalgoE3EjNS0_10empty_typeEbEEZZNS1_14partition_implILS8_3ELb0ES6_jNS0_17counting_iteratorIjlEEPS9_SE_NS0_5tupleIJPjSE_EEENSF_IJSE_SE_EEES9_SG_JZNS1_25segmented_radix_sort_implINS0_14default_configELb0EPKlPlSM_SN_N2at6native12_GLOBAL__N_18offset_tEEE10hipError_tPvRmT1_PNSt15iterator_traitsISV_E10value_typeET2_T3_PNSW_IS11_E10value_typeET4_jRbjT5_S17_jjP12ihipStream_tbEUljE_EEESS_ST_SU_S11_S15_S17_T6_T7_T9_mT8_S19_bDpT10_ENKUlT_T0_E_clISt17integral_constantIbLb0EES1M_EEDaS1H_S1I_EUlS1H_E_NS1_11comp_targetILNS1_3genE8ELNS1_11target_archE1030ELNS1_3gpuE2ELNS1_3repE0EEENS1_30default_config_static_selectorELNS0_4arch9wavefront6targetE0EEEvSV_.private_seg_size, 0
	.set _ZN7rocprim17ROCPRIM_400000_NS6detail17trampoline_kernelINS0_13select_configILj256ELj13ELNS0_17block_load_methodE3ELS4_3ELS4_3ELNS0_20block_scan_algorithmE0ELj4294967295EEENS1_25partition_config_selectorILNS1_17partition_subalgoE3EjNS0_10empty_typeEbEEZZNS1_14partition_implILS8_3ELb0ES6_jNS0_17counting_iteratorIjlEEPS9_SE_NS0_5tupleIJPjSE_EEENSF_IJSE_SE_EEES9_SG_JZNS1_25segmented_radix_sort_implINS0_14default_configELb0EPKlPlSM_SN_N2at6native12_GLOBAL__N_18offset_tEEE10hipError_tPvRmT1_PNSt15iterator_traitsISV_E10value_typeET2_T3_PNSW_IS11_E10value_typeET4_jRbjT5_S17_jjP12ihipStream_tbEUljE_EEESS_ST_SU_S11_S15_S17_T6_T7_T9_mT8_S19_bDpT10_ENKUlT_T0_E_clISt17integral_constantIbLb0EES1M_EEDaS1H_S1I_EUlS1H_E_NS1_11comp_targetILNS1_3genE8ELNS1_11target_archE1030ELNS1_3gpuE2ELNS1_3repE0EEENS1_30default_config_static_selectorELNS0_4arch9wavefront6targetE0EEEvSV_.uses_vcc, 1
	.set _ZN7rocprim17ROCPRIM_400000_NS6detail17trampoline_kernelINS0_13select_configILj256ELj13ELNS0_17block_load_methodE3ELS4_3ELS4_3ELNS0_20block_scan_algorithmE0ELj4294967295EEENS1_25partition_config_selectorILNS1_17partition_subalgoE3EjNS0_10empty_typeEbEEZZNS1_14partition_implILS8_3ELb0ES6_jNS0_17counting_iteratorIjlEEPS9_SE_NS0_5tupleIJPjSE_EEENSF_IJSE_SE_EEES9_SG_JZNS1_25segmented_radix_sort_implINS0_14default_configELb0EPKlPlSM_SN_N2at6native12_GLOBAL__N_18offset_tEEE10hipError_tPvRmT1_PNSt15iterator_traitsISV_E10value_typeET2_T3_PNSW_IS11_E10value_typeET4_jRbjT5_S17_jjP12ihipStream_tbEUljE_EEESS_ST_SU_S11_S15_S17_T6_T7_T9_mT8_S19_bDpT10_ENKUlT_T0_E_clISt17integral_constantIbLb0EES1M_EEDaS1H_S1I_EUlS1H_E_NS1_11comp_targetILNS1_3genE8ELNS1_11target_archE1030ELNS1_3gpuE2ELNS1_3repE0EEENS1_30default_config_static_selectorELNS0_4arch9wavefront6targetE0EEEvSV_.uses_flat_scratch, 0
	.set _ZN7rocprim17ROCPRIM_400000_NS6detail17trampoline_kernelINS0_13select_configILj256ELj13ELNS0_17block_load_methodE3ELS4_3ELS4_3ELNS0_20block_scan_algorithmE0ELj4294967295EEENS1_25partition_config_selectorILNS1_17partition_subalgoE3EjNS0_10empty_typeEbEEZZNS1_14partition_implILS8_3ELb0ES6_jNS0_17counting_iteratorIjlEEPS9_SE_NS0_5tupleIJPjSE_EEENSF_IJSE_SE_EEES9_SG_JZNS1_25segmented_radix_sort_implINS0_14default_configELb0EPKlPlSM_SN_N2at6native12_GLOBAL__N_18offset_tEEE10hipError_tPvRmT1_PNSt15iterator_traitsISV_E10value_typeET2_T3_PNSW_IS11_E10value_typeET4_jRbjT5_S17_jjP12ihipStream_tbEUljE_EEESS_ST_SU_S11_S15_S17_T6_T7_T9_mT8_S19_bDpT10_ENKUlT_T0_E_clISt17integral_constantIbLb0EES1M_EEDaS1H_S1I_EUlS1H_E_NS1_11comp_targetILNS1_3genE8ELNS1_11target_archE1030ELNS1_3gpuE2ELNS1_3repE0EEENS1_30default_config_static_selectorELNS0_4arch9wavefront6targetE0EEEvSV_.has_dyn_sized_stack, 0
	.set _ZN7rocprim17ROCPRIM_400000_NS6detail17trampoline_kernelINS0_13select_configILj256ELj13ELNS0_17block_load_methodE3ELS4_3ELS4_3ELNS0_20block_scan_algorithmE0ELj4294967295EEENS1_25partition_config_selectorILNS1_17partition_subalgoE3EjNS0_10empty_typeEbEEZZNS1_14partition_implILS8_3ELb0ES6_jNS0_17counting_iteratorIjlEEPS9_SE_NS0_5tupleIJPjSE_EEENSF_IJSE_SE_EEES9_SG_JZNS1_25segmented_radix_sort_implINS0_14default_configELb0EPKlPlSM_SN_N2at6native12_GLOBAL__N_18offset_tEEE10hipError_tPvRmT1_PNSt15iterator_traitsISV_E10value_typeET2_T3_PNSW_IS11_E10value_typeET4_jRbjT5_S17_jjP12ihipStream_tbEUljE_EEESS_ST_SU_S11_S15_S17_T6_T7_T9_mT8_S19_bDpT10_ENKUlT_T0_E_clISt17integral_constantIbLb0EES1M_EEDaS1H_S1I_EUlS1H_E_NS1_11comp_targetILNS1_3genE8ELNS1_11target_archE1030ELNS1_3gpuE2ELNS1_3repE0EEENS1_30default_config_static_selectorELNS0_4arch9wavefront6targetE0EEEvSV_.has_recursion, 0
	.set _ZN7rocprim17ROCPRIM_400000_NS6detail17trampoline_kernelINS0_13select_configILj256ELj13ELNS0_17block_load_methodE3ELS4_3ELS4_3ELNS0_20block_scan_algorithmE0ELj4294967295EEENS1_25partition_config_selectorILNS1_17partition_subalgoE3EjNS0_10empty_typeEbEEZZNS1_14partition_implILS8_3ELb0ES6_jNS0_17counting_iteratorIjlEEPS9_SE_NS0_5tupleIJPjSE_EEENSF_IJSE_SE_EEES9_SG_JZNS1_25segmented_radix_sort_implINS0_14default_configELb0EPKlPlSM_SN_N2at6native12_GLOBAL__N_18offset_tEEE10hipError_tPvRmT1_PNSt15iterator_traitsISV_E10value_typeET2_T3_PNSW_IS11_E10value_typeET4_jRbjT5_S17_jjP12ihipStream_tbEUljE_EEESS_ST_SU_S11_S15_S17_T6_T7_T9_mT8_S19_bDpT10_ENKUlT_T0_E_clISt17integral_constantIbLb0EES1M_EEDaS1H_S1I_EUlS1H_E_NS1_11comp_targetILNS1_3genE8ELNS1_11target_archE1030ELNS1_3gpuE2ELNS1_3repE0EEENS1_30default_config_static_selectorELNS0_4arch9wavefront6targetE0EEEvSV_.has_indirect_call, 0
	.section	.AMDGPU.csdata,"",@progbits
; Kernel info:
; codeLenInByte = 8564
; TotalNumSgprs: 29
; NumVgprs: 69
; ScratchSize: 0
; MemoryBound: 0
; FloatMode: 240
; IeeeMode: 1
; LDSByteSize: 13320 bytes/workgroup (compile time only)
; SGPRBlocks: 0
; VGPRBlocks: 8
; NumSGPRsForWavesPerEU: 29
; NumVGPRsForWavesPerEU: 69
; Occupancy: 12
; WaveLimiterHint : 0
; COMPUTE_PGM_RSRC2:SCRATCH_EN: 0
; COMPUTE_PGM_RSRC2:USER_SGPR: 6
; COMPUTE_PGM_RSRC2:TRAP_HANDLER: 0
; COMPUTE_PGM_RSRC2:TGID_X_EN: 1
; COMPUTE_PGM_RSRC2:TGID_Y_EN: 0
; COMPUTE_PGM_RSRC2:TGID_Z_EN: 0
; COMPUTE_PGM_RSRC2:TIDIG_COMP_CNT: 0
	.section	.text._ZN7rocprim17ROCPRIM_400000_NS6detail17trampoline_kernelINS0_13select_configILj256ELj13ELNS0_17block_load_methodE3ELS4_3ELS4_3ELNS0_20block_scan_algorithmE0ELj4294967295EEENS1_25partition_config_selectorILNS1_17partition_subalgoE3EjNS0_10empty_typeEbEEZZNS1_14partition_implILS8_3ELb0ES6_jNS0_17counting_iteratorIjlEEPS9_SE_NS0_5tupleIJPjSE_EEENSF_IJSE_SE_EEES9_SG_JZNS1_25segmented_radix_sort_implINS0_14default_configELb0EPKlPlSM_SN_N2at6native12_GLOBAL__N_18offset_tEEE10hipError_tPvRmT1_PNSt15iterator_traitsISV_E10value_typeET2_T3_PNSW_IS11_E10value_typeET4_jRbjT5_S17_jjP12ihipStream_tbEUljE_EEESS_ST_SU_S11_S15_S17_T6_T7_T9_mT8_S19_bDpT10_ENKUlT_T0_E_clISt17integral_constantIbLb1EES1M_EEDaS1H_S1I_EUlS1H_E_NS1_11comp_targetILNS1_3genE0ELNS1_11target_archE4294967295ELNS1_3gpuE0ELNS1_3repE0EEENS1_30default_config_static_selectorELNS0_4arch9wavefront6targetE0EEEvSV_,"axG",@progbits,_ZN7rocprim17ROCPRIM_400000_NS6detail17trampoline_kernelINS0_13select_configILj256ELj13ELNS0_17block_load_methodE3ELS4_3ELS4_3ELNS0_20block_scan_algorithmE0ELj4294967295EEENS1_25partition_config_selectorILNS1_17partition_subalgoE3EjNS0_10empty_typeEbEEZZNS1_14partition_implILS8_3ELb0ES6_jNS0_17counting_iteratorIjlEEPS9_SE_NS0_5tupleIJPjSE_EEENSF_IJSE_SE_EEES9_SG_JZNS1_25segmented_radix_sort_implINS0_14default_configELb0EPKlPlSM_SN_N2at6native12_GLOBAL__N_18offset_tEEE10hipError_tPvRmT1_PNSt15iterator_traitsISV_E10value_typeET2_T3_PNSW_IS11_E10value_typeET4_jRbjT5_S17_jjP12ihipStream_tbEUljE_EEESS_ST_SU_S11_S15_S17_T6_T7_T9_mT8_S19_bDpT10_ENKUlT_T0_E_clISt17integral_constantIbLb1EES1M_EEDaS1H_S1I_EUlS1H_E_NS1_11comp_targetILNS1_3genE0ELNS1_11target_archE4294967295ELNS1_3gpuE0ELNS1_3repE0EEENS1_30default_config_static_selectorELNS0_4arch9wavefront6targetE0EEEvSV_,comdat
	.globl	_ZN7rocprim17ROCPRIM_400000_NS6detail17trampoline_kernelINS0_13select_configILj256ELj13ELNS0_17block_load_methodE3ELS4_3ELS4_3ELNS0_20block_scan_algorithmE0ELj4294967295EEENS1_25partition_config_selectorILNS1_17partition_subalgoE3EjNS0_10empty_typeEbEEZZNS1_14partition_implILS8_3ELb0ES6_jNS0_17counting_iteratorIjlEEPS9_SE_NS0_5tupleIJPjSE_EEENSF_IJSE_SE_EEES9_SG_JZNS1_25segmented_radix_sort_implINS0_14default_configELb0EPKlPlSM_SN_N2at6native12_GLOBAL__N_18offset_tEEE10hipError_tPvRmT1_PNSt15iterator_traitsISV_E10value_typeET2_T3_PNSW_IS11_E10value_typeET4_jRbjT5_S17_jjP12ihipStream_tbEUljE_EEESS_ST_SU_S11_S15_S17_T6_T7_T9_mT8_S19_bDpT10_ENKUlT_T0_E_clISt17integral_constantIbLb1EES1M_EEDaS1H_S1I_EUlS1H_E_NS1_11comp_targetILNS1_3genE0ELNS1_11target_archE4294967295ELNS1_3gpuE0ELNS1_3repE0EEENS1_30default_config_static_selectorELNS0_4arch9wavefront6targetE0EEEvSV_ ; -- Begin function _ZN7rocprim17ROCPRIM_400000_NS6detail17trampoline_kernelINS0_13select_configILj256ELj13ELNS0_17block_load_methodE3ELS4_3ELS4_3ELNS0_20block_scan_algorithmE0ELj4294967295EEENS1_25partition_config_selectorILNS1_17partition_subalgoE3EjNS0_10empty_typeEbEEZZNS1_14partition_implILS8_3ELb0ES6_jNS0_17counting_iteratorIjlEEPS9_SE_NS0_5tupleIJPjSE_EEENSF_IJSE_SE_EEES9_SG_JZNS1_25segmented_radix_sort_implINS0_14default_configELb0EPKlPlSM_SN_N2at6native12_GLOBAL__N_18offset_tEEE10hipError_tPvRmT1_PNSt15iterator_traitsISV_E10value_typeET2_T3_PNSW_IS11_E10value_typeET4_jRbjT5_S17_jjP12ihipStream_tbEUljE_EEESS_ST_SU_S11_S15_S17_T6_T7_T9_mT8_S19_bDpT10_ENKUlT_T0_E_clISt17integral_constantIbLb1EES1M_EEDaS1H_S1I_EUlS1H_E_NS1_11comp_targetILNS1_3genE0ELNS1_11target_archE4294967295ELNS1_3gpuE0ELNS1_3repE0EEENS1_30default_config_static_selectorELNS0_4arch9wavefront6targetE0EEEvSV_
	.p2align	8
	.type	_ZN7rocprim17ROCPRIM_400000_NS6detail17trampoline_kernelINS0_13select_configILj256ELj13ELNS0_17block_load_methodE3ELS4_3ELS4_3ELNS0_20block_scan_algorithmE0ELj4294967295EEENS1_25partition_config_selectorILNS1_17partition_subalgoE3EjNS0_10empty_typeEbEEZZNS1_14partition_implILS8_3ELb0ES6_jNS0_17counting_iteratorIjlEEPS9_SE_NS0_5tupleIJPjSE_EEENSF_IJSE_SE_EEES9_SG_JZNS1_25segmented_radix_sort_implINS0_14default_configELb0EPKlPlSM_SN_N2at6native12_GLOBAL__N_18offset_tEEE10hipError_tPvRmT1_PNSt15iterator_traitsISV_E10value_typeET2_T3_PNSW_IS11_E10value_typeET4_jRbjT5_S17_jjP12ihipStream_tbEUljE_EEESS_ST_SU_S11_S15_S17_T6_T7_T9_mT8_S19_bDpT10_ENKUlT_T0_E_clISt17integral_constantIbLb1EES1M_EEDaS1H_S1I_EUlS1H_E_NS1_11comp_targetILNS1_3genE0ELNS1_11target_archE4294967295ELNS1_3gpuE0ELNS1_3repE0EEENS1_30default_config_static_selectorELNS0_4arch9wavefront6targetE0EEEvSV_,@function
_ZN7rocprim17ROCPRIM_400000_NS6detail17trampoline_kernelINS0_13select_configILj256ELj13ELNS0_17block_load_methodE3ELS4_3ELS4_3ELNS0_20block_scan_algorithmE0ELj4294967295EEENS1_25partition_config_selectorILNS1_17partition_subalgoE3EjNS0_10empty_typeEbEEZZNS1_14partition_implILS8_3ELb0ES6_jNS0_17counting_iteratorIjlEEPS9_SE_NS0_5tupleIJPjSE_EEENSF_IJSE_SE_EEES9_SG_JZNS1_25segmented_radix_sort_implINS0_14default_configELb0EPKlPlSM_SN_N2at6native12_GLOBAL__N_18offset_tEEE10hipError_tPvRmT1_PNSt15iterator_traitsISV_E10value_typeET2_T3_PNSW_IS11_E10value_typeET4_jRbjT5_S17_jjP12ihipStream_tbEUljE_EEESS_ST_SU_S11_S15_S17_T6_T7_T9_mT8_S19_bDpT10_ENKUlT_T0_E_clISt17integral_constantIbLb1EES1M_EEDaS1H_S1I_EUlS1H_E_NS1_11comp_targetILNS1_3genE0ELNS1_11target_archE4294967295ELNS1_3gpuE0ELNS1_3repE0EEENS1_30default_config_static_selectorELNS0_4arch9wavefront6targetE0EEEvSV_: ; @_ZN7rocprim17ROCPRIM_400000_NS6detail17trampoline_kernelINS0_13select_configILj256ELj13ELNS0_17block_load_methodE3ELS4_3ELS4_3ELNS0_20block_scan_algorithmE0ELj4294967295EEENS1_25partition_config_selectorILNS1_17partition_subalgoE3EjNS0_10empty_typeEbEEZZNS1_14partition_implILS8_3ELb0ES6_jNS0_17counting_iteratorIjlEEPS9_SE_NS0_5tupleIJPjSE_EEENSF_IJSE_SE_EEES9_SG_JZNS1_25segmented_radix_sort_implINS0_14default_configELb0EPKlPlSM_SN_N2at6native12_GLOBAL__N_18offset_tEEE10hipError_tPvRmT1_PNSt15iterator_traitsISV_E10value_typeET2_T3_PNSW_IS11_E10value_typeET4_jRbjT5_S17_jjP12ihipStream_tbEUljE_EEESS_ST_SU_S11_S15_S17_T6_T7_T9_mT8_S19_bDpT10_ENKUlT_T0_E_clISt17integral_constantIbLb1EES1M_EEDaS1H_S1I_EUlS1H_E_NS1_11comp_targetILNS1_3genE0ELNS1_11target_archE4294967295ELNS1_3gpuE0ELNS1_3repE0EEENS1_30default_config_static_selectorELNS0_4arch9wavefront6targetE0EEEvSV_
; %bb.0:
	.section	.rodata,"a",@progbits
	.p2align	6, 0x0
	.amdhsa_kernel _ZN7rocprim17ROCPRIM_400000_NS6detail17trampoline_kernelINS0_13select_configILj256ELj13ELNS0_17block_load_methodE3ELS4_3ELS4_3ELNS0_20block_scan_algorithmE0ELj4294967295EEENS1_25partition_config_selectorILNS1_17partition_subalgoE3EjNS0_10empty_typeEbEEZZNS1_14partition_implILS8_3ELb0ES6_jNS0_17counting_iteratorIjlEEPS9_SE_NS0_5tupleIJPjSE_EEENSF_IJSE_SE_EEES9_SG_JZNS1_25segmented_radix_sort_implINS0_14default_configELb0EPKlPlSM_SN_N2at6native12_GLOBAL__N_18offset_tEEE10hipError_tPvRmT1_PNSt15iterator_traitsISV_E10value_typeET2_T3_PNSW_IS11_E10value_typeET4_jRbjT5_S17_jjP12ihipStream_tbEUljE_EEESS_ST_SU_S11_S15_S17_T6_T7_T9_mT8_S19_bDpT10_ENKUlT_T0_E_clISt17integral_constantIbLb1EES1M_EEDaS1H_S1I_EUlS1H_E_NS1_11comp_targetILNS1_3genE0ELNS1_11target_archE4294967295ELNS1_3gpuE0ELNS1_3repE0EEENS1_30default_config_static_selectorELNS0_4arch9wavefront6targetE0EEEvSV_
		.amdhsa_group_segment_fixed_size 0
		.amdhsa_private_segment_fixed_size 0
		.amdhsa_kernarg_size 152
		.amdhsa_user_sgpr_count 6
		.amdhsa_user_sgpr_private_segment_buffer 1
		.amdhsa_user_sgpr_dispatch_ptr 0
		.amdhsa_user_sgpr_queue_ptr 0
		.amdhsa_user_sgpr_kernarg_segment_ptr 1
		.amdhsa_user_sgpr_dispatch_id 0
		.amdhsa_user_sgpr_flat_scratch_init 0
		.amdhsa_user_sgpr_private_segment_size 0
		.amdhsa_wavefront_size32 1
		.amdhsa_uses_dynamic_stack 0
		.amdhsa_system_sgpr_private_segment_wavefront_offset 0
		.amdhsa_system_sgpr_workgroup_id_x 1
		.amdhsa_system_sgpr_workgroup_id_y 0
		.amdhsa_system_sgpr_workgroup_id_z 0
		.amdhsa_system_sgpr_workgroup_info 0
		.amdhsa_system_vgpr_workitem_id 0
		.amdhsa_next_free_vgpr 1
		.amdhsa_next_free_sgpr 1
		.amdhsa_reserve_vcc 0
		.amdhsa_reserve_flat_scratch 0
		.amdhsa_float_round_mode_32 0
		.amdhsa_float_round_mode_16_64 0
		.amdhsa_float_denorm_mode_32 3
		.amdhsa_float_denorm_mode_16_64 3
		.amdhsa_dx10_clamp 1
		.amdhsa_ieee_mode 1
		.amdhsa_fp16_overflow 0
		.amdhsa_workgroup_processor_mode 1
		.amdhsa_memory_ordered 1
		.amdhsa_forward_progress 1
		.amdhsa_shared_vgpr_count 0
		.amdhsa_exception_fp_ieee_invalid_op 0
		.amdhsa_exception_fp_denorm_src 0
		.amdhsa_exception_fp_ieee_div_zero 0
		.amdhsa_exception_fp_ieee_overflow 0
		.amdhsa_exception_fp_ieee_underflow 0
		.amdhsa_exception_fp_ieee_inexact 0
		.amdhsa_exception_int_div_zero 0
	.end_amdhsa_kernel
	.section	.text._ZN7rocprim17ROCPRIM_400000_NS6detail17trampoline_kernelINS0_13select_configILj256ELj13ELNS0_17block_load_methodE3ELS4_3ELS4_3ELNS0_20block_scan_algorithmE0ELj4294967295EEENS1_25partition_config_selectorILNS1_17partition_subalgoE3EjNS0_10empty_typeEbEEZZNS1_14partition_implILS8_3ELb0ES6_jNS0_17counting_iteratorIjlEEPS9_SE_NS0_5tupleIJPjSE_EEENSF_IJSE_SE_EEES9_SG_JZNS1_25segmented_radix_sort_implINS0_14default_configELb0EPKlPlSM_SN_N2at6native12_GLOBAL__N_18offset_tEEE10hipError_tPvRmT1_PNSt15iterator_traitsISV_E10value_typeET2_T3_PNSW_IS11_E10value_typeET4_jRbjT5_S17_jjP12ihipStream_tbEUljE_EEESS_ST_SU_S11_S15_S17_T6_T7_T9_mT8_S19_bDpT10_ENKUlT_T0_E_clISt17integral_constantIbLb1EES1M_EEDaS1H_S1I_EUlS1H_E_NS1_11comp_targetILNS1_3genE0ELNS1_11target_archE4294967295ELNS1_3gpuE0ELNS1_3repE0EEENS1_30default_config_static_selectorELNS0_4arch9wavefront6targetE0EEEvSV_,"axG",@progbits,_ZN7rocprim17ROCPRIM_400000_NS6detail17trampoline_kernelINS0_13select_configILj256ELj13ELNS0_17block_load_methodE3ELS4_3ELS4_3ELNS0_20block_scan_algorithmE0ELj4294967295EEENS1_25partition_config_selectorILNS1_17partition_subalgoE3EjNS0_10empty_typeEbEEZZNS1_14partition_implILS8_3ELb0ES6_jNS0_17counting_iteratorIjlEEPS9_SE_NS0_5tupleIJPjSE_EEENSF_IJSE_SE_EEES9_SG_JZNS1_25segmented_radix_sort_implINS0_14default_configELb0EPKlPlSM_SN_N2at6native12_GLOBAL__N_18offset_tEEE10hipError_tPvRmT1_PNSt15iterator_traitsISV_E10value_typeET2_T3_PNSW_IS11_E10value_typeET4_jRbjT5_S17_jjP12ihipStream_tbEUljE_EEESS_ST_SU_S11_S15_S17_T6_T7_T9_mT8_S19_bDpT10_ENKUlT_T0_E_clISt17integral_constantIbLb1EES1M_EEDaS1H_S1I_EUlS1H_E_NS1_11comp_targetILNS1_3genE0ELNS1_11target_archE4294967295ELNS1_3gpuE0ELNS1_3repE0EEENS1_30default_config_static_selectorELNS0_4arch9wavefront6targetE0EEEvSV_,comdat
.Lfunc_end777:
	.size	_ZN7rocprim17ROCPRIM_400000_NS6detail17trampoline_kernelINS0_13select_configILj256ELj13ELNS0_17block_load_methodE3ELS4_3ELS4_3ELNS0_20block_scan_algorithmE0ELj4294967295EEENS1_25partition_config_selectorILNS1_17partition_subalgoE3EjNS0_10empty_typeEbEEZZNS1_14partition_implILS8_3ELb0ES6_jNS0_17counting_iteratorIjlEEPS9_SE_NS0_5tupleIJPjSE_EEENSF_IJSE_SE_EEES9_SG_JZNS1_25segmented_radix_sort_implINS0_14default_configELb0EPKlPlSM_SN_N2at6native12_GLOBAL__N_18offset_tEEE10hipError_tPvRmT1_PNSt15iterator_traitsISV_E10value_typeET2_T3_PNSW_IS11_E10value_typeET4_jRbjT5_S17_jjP12ihipStream_tbEUljE_EEESS_ST_SU_S11_S15_S17_T6_T7_T9_mT8_S19_bDpT10_ENKUlT_T0_E_clISt17integral_constantIbLb1EES1M_EEDaS1H_S1I_EUlS1H_E_NS1_11comp_targetILNS1_3genE0ELNS1_11target_archE4294967295ELNS1_3gpuE0ELNS1_3repE0EEENS1_30default_config_static_selectorELNS0_4arch9wavefront6targetE0EEEvSV_, .Lfunc_end777-_ZN7rocprim17ROCPRIM_400000_NS6detail17trampoline_kernelINS0_13select_configILj256ELj13ELNS0_17block_load_methodE3ELS4_3ELS4_3ELNS0_20block_scan_algorithmE0ELj4294967295EEENS1_25partition_config_selectorILNS1_17partition_subalgoE3EjNS0_10empty_typeEbEEZZNS1_14partition_implILS8_3ELb0ES6_jNS0_17counting_iteratorIjlEEPS9_SE_NS0_5tupleIJPjSE_EEENSF_IJSE_SE_EEES9_SG_JZNS1_25segmented_radix_sort_implINS0_14default_configELb0EPKlPlSM_SN_N2at6native12_GLOBAL__N_18offset_tEEE10hipError_tPvRmT1_PNSt15iterator_traitsISV_E10value_typeET2_T3_PNSW_IS11_E10value_typeET4_jRbjT5_S17_jjP12ihipStream_tbEUljE_EEESS_ST_SU_S11_S15_S17_T6_T7_T9_mT8_S19_bDpT10_ENKUlT_T0_E_clISt17integral_constantIbLb1EES1M_EEDaS1H_S1I_EUlS1H_E_NS1_11comp_targetILNS1_3genE0ELNS1_11target_archE4294967295ELNS1_3gpuE0ELNS1_3repE0EEENS1_30default_config_static_selectorELNS0_4arch9wavefront6targetE0EEEvSV_
                                        ; -- End function
	.set _ZN7rocprim17ROCPRIM_400000_NS6detail17trampoline_kernelINS0_13select_configILj256ELj13ELNS0_17block_load_methodE3ELS4_3ELS4_3ELNS0_20block_scan_algorithmE0ELj4294967295EEENS1_25partition_config_selectorILNS1_17partition_subalgoE3EjNS0_10empty_typeEbEEZZNS1_14partition_implILS8_3ELb0ES6_jNS0_17counting_iteratorIjlEEPS9_SE_NS0_5tupleIJPjSE_EEENSF_IJSE_SE_EEES9_SG_JZNS1_25segmented_radix_sort_implINS0_14default_configELb0EPKlPlSM_SN_N2at6native12_GLOBAL__N_18offset_tEEE10hipError_tPvRmT1_PNSt15iterator_traitsISV_E10value_typeET2_T3_PNSW_IS11_E10value_typeET4_jRbjT5_S17_jjP12ihipStream_tbEUljE_EEESS_ST_SU_S11_S15_S17_T6_T7_T9_mT8_S19_bDpT10_ENKUlT_T0_E_clISt17integral_constantIbLb1EES1M_EEDaS1H_S1I_EUlS1H_E_NS1_11comp_targetILNS1_3genE0ELNS1_11target_archE4294967295ELNS1_3gpuE0ELNS1_3repE0EEENS1_30default_config_static_selectorELNS0_4arch9wavefront6targetE0EEEvSV_.num_vgpr, 0
	.set _ZN7rocprim17ROCPRIM_400000_NS6detail17trampoline_kernelINS0_13select_configILj256ELj13ELNS0_17block_load_methodE3ELS4_3ELS4_3ELNS0_20block_scan_algorithmE0ELj4294967295EEENS1_25partition_config_selectorILNS1_17partition_subalgoE3EjNS0_10empty_typeEbEEZZNS1_14partition_implILS8_3ELb0ES6_jNS0_17counting_iteratorIjlEEPS9_SE_NS0_5tupleIJPjSE_EEENSF_IJSE_SE_EEES9_SG_JZNS1_25segmented_radix_sort_implINS0_14default_configELb0EPKlPlSM_SN_N2at6native12_GLOBAL__N_18offset_tEEE10hipError_tPvRmT1_PNSt15iterator_traitsISV_E10value_typeET2_T3_PNSW_IS11_E10value_typeET4_jRbjT5_S17_jjP12ihipStream_tbEUljE_EEESS_ST_SU_S11_S15_S17_T6_T7_T9_mT8_S19_bDpT10_ENKUlT_T0_E_clISt17integral_constantIbLb1EES1M_EEDaS1H_S1I_EUlS1H_E_NS1_11comp_targetILNS1_3genE0ELNS1_11target_archE4294967295ELNS1_3gpuE0ELNS1_3repE0EEENS1_30default_config_static_selectorELNS0_4arch9wavefront6targetE0EEEvSV_.num_agpr, 0
	.set _ZN7rocprim17ROCPRIM_400000_NS6detail17trampoline_kernelINS0_13select_configILj256ELj13ELNS0_17block_load_methodE3ELS4_3ELS4_3ELNS0_20block_scan_algorithmE0ELj4294967295EEENS1_25partition_config_selectorILNS1_17partition_subalgoE3EjNS0_10empty_typeEbEEZZNS1_14partition_implILS8_3ELb0ES6_jNS0_17counting_iteratorIjlEEPS9_SE_NS0_5tupleIJPjSE_EEENSF_IJSE_SE_EEES9_SG_JZNS1_25segmented_radix_sort_implINS0_14default_configELb0EPKlPlSM_SN_N2at6native12_GLOBAL__N_18offset_tEEE10hipError_tPvRmT1_PNSt15iterator_traitsISV_E10value_typeET2_T3_PNSW_IS11_E10value_typeET4_jRbjT5_S17_jjP12ihipStream_tbEUljE_EEESS_ST_SU_S11_S15_S17_T6_T7_T9_mT8_S19_bDpT10_ENKUlT_T0_E_clISt17integral_constantIbLb1EES1M_EEDaS1H_S1I_EUlS1H_E_NS1_11comp_targetILNS1_3genE0ELNS1_11target_archE4294967295ELNS1_3gpuE0ELNS1_3repE0EEENS1_30default_config_static_selectorELNS0_4arch9wavefront6targetE0EEEvSV_.numbered_sgpr, 0
	.set _ZN7rocprim17ROCPRIM_400000_NS6detail17trampoline_kernelINS0_13select_configILj256ELj13ELNS0_17block_load_methodE3ELS4_3ELS4_3ELNS0_20block_scan_algorithmE0ELj4294967295EEENS1_25partition_config_selectorILNS1_17partition_subalgoE3EjNS0_10empty_typeEbEEZZNS1_14partition_implILS8_3ELb0ES6_jNS0_17counting_iteratorIjlEEPS9_SE_NS0_5tupleIJPjSE_EEENSF_IJSE_SE_EEES9_SG_JZNS1_25segmented_radix_sort_implINS0_14default_configELb0EPKlPlSM_SN_N2at6native12_GLOBAL__N_18offset_tEEE10hipError_tPvRmT1_PNSt15iterator_traitsISV_E10value_typeET2_T3_PNSW_IS11_E10value_typeET4_jRbjT5_S17_jjP12ihipStream_tbEUljE_EEESS_ST_SU_S11_S15_S17_T6_T7_T9_mT8_S19_bDpT10_ENKUlT_T0_E_clISt17integral_constantIbLb1EES1M_EEDaS1H_S1I_EUlS1H_E_NS1_11comp_targetILNS1_3genE0ELNS1_11target_archE4294967295ELNS1_3gpuE0ELNS1_3repE0EEENS1_30default_config_static_selectorELNS0_4arch9wavefront6targetE0EEEvSV_.num_named_barrier, 0
	.set _ZN7rocprim17ROCPRIM_400000_NS6detail17trampoline_kernelINS0_13select_configILj256ELj13ELNS0_17block_load_methodE3ELS4_3ELS4_3ELNS0_20block_scan_algorithmE0ELj4294967295EEENS1_25partition_config_selectorILNS1_17partition_subalgoE3EjNS0_10empty_typeEbEEZZNS1_14partition_implILS8_3ELb0ES6_jNS0_17counting_iteratorIjlEEPS9_SE_NS0_5tupleIJPjSE_EEENSF_IJSE_SE_EEES9_SG_JZNS1_25segmented_radix_sort_implINS0_14default_configELb0EPKlPlSM_SN_N2at6native12_GLOBAL__N_18offset_tEEE10hipError_tPvRmT1_PNSt15iterator_traitsISV_E10value_typeET2_T3_PNSW_IS11_E10value_typeET4_jRbjT5_S17_jjP12ihipStream_tbEUljE_EEESS_ST_SU_S11_S15_S17_T6_T7_T9_mT8_S19_bDpT10_ENKUlT_T0_E_clISt17integral_constantIbLb1EES1M_EEDaS1H_S1I_EUlS1H_E_NS1_11comp_targetILNS1_3genE0ELNS1_11target_archE4294967295ELNS1_3gpuE0ELNS1_3repE0EEENS1_30default_config_static_selectorELNS0_4arch9wavefront6targetE0EEEvSV_.private_seg_size, 0
	.set _ZN7rocprim17ROCPRIM_400000_NS6detail17trampoline_kernelINS0_13select_configILj256ELj13ELNS0_17block_load_methodE3ELS4_3ELS4_3ELNS0_20block_scan_algorithmE0ELj4294967295EEENS1_25partition_config_selectorILNS1_17partition_subalgoE3EjNS0_10empty_typeEbEEZZNS1_14partition_implILS8_3ELb0ES6_jNS0_17counting_iteratorIjlEEPS9_SE_NS0_5tupleIJPjSE_EEENSF_IJSE_SE_EEES9_SG_JZNS1_25segmented_radix_sort_implINS0_14default_configELb0EPKlPlSM_SN_N2at6native12_GLOBAL__N_18offset_tEEE10hipError_tPvRmT1_PNSt15iterator_traitsISV_E10value_typeET2_T3_PNSW_IS11_E10value_typeET4_jRbjT5_S17_jjP12ihipStream_tbEUljE_EEESS_ST_SU_S11_S15_S17_T6_T7_T9_mT8_S19_bDpT10_ENKUlT_T0_E_clISt17integral_constantIbLb1EES1M_EEDaS1H_S1I_EUlS1H_E_NS1_11comp_targetILNS1_3genE0ELNS1_11target_archE4294967295ELNS1_3gpuE0ELNS1_3repE0EEENS1_30default_config_static_selectorELNS0_4arch9wavefront6targetE0EEEvSV_.uses_vcc, 0
	.set _ZN7rocprim17ROCPRIM_400000_NS6detail17trampoline_kernelINS0_13select_configILj256ELj13ELNS0_17block_load_methodE3ELS4_3ELS4_3ELNS0_20block_scan_algorithmE0ELj4294967295EEENS1_25partition_config_selectorILNS1_17partition_subalgoE3EjNS0_10empty_typeEbEEZZNS1_14partition_implILS8_3ELb0ES6_jNS0_17counting_iteratorIjlEEPS9_SE_NS0_5tupleIJPjSE_EEENSF_IJSE_SE_EEES9_SG_JZNS1_25segmented_radix_sort_implINS0_14default_configELb0EPKlPlSM_SN_N2at6native12_GLOBAL__N_18offset_tEEE10hipError_tPvRmT1_PNSt15iterator_traitsISV_E10value_typeET2_T3_PNSW_IS11_E10value_typeET4_jRbjT5_S17_jjP12ihipStream_tbEUljE_EEESS_ST_SU_S11_S15_S17_T6_T7_T9_mT8_S19_bDpT10_ENKUlT_T0_E_clISt17integral_constantIbLb1EES1M_EEDaS1H_S1I_EUlS1H_E_NS1_11comp_targetILNS1_3genE0ELNS1_11target_archE4294967295ELNS1_3gpuE0ELNS1_3repE0EEENS1_30default_config_static_selectorELNS0_4arch9wavefront6targetE0EEEvSV_.uses_flat_scratch, 0
	.set _ZN7rocprim17ROCPRIM_400000_NS6detail17trampoline_kernelINS0_13select_configILj256ELj13ELNS0_17block_load_methodE3ELS4_3ELS4_3ELNS0_20block_scan_algorithmE0ELj4294967295EEENS1_25partition_config_selectorILNS1_17partition_subalgoE3EjNS0_10empty_typeEbEEZZNS1_14partition_implILS8_3ELb0ES6_jNS0_17counting_iteratorIjlEEPS9_SE_NS0_5tupleIJPjSE_EEENSF_IJSE_SE_EEES9_SG_JZNS1_25segmented_radix_sort_implINS0_14default_configELb0EPKlPlSM_SN_N2at6native12_GLOBAL__N_18offset_tEEE10hipError_tPvRmT1_PNSt15iterator_traitsISV_E10value_typeET2_T3_PNSW_IS11_E10value_typeET4_jRbjT5_S17_jjP12ihipStream_tbEUljE_EEESS_ST_SU_S11_S15_S17_T6_T7_T9_mT8_S19_bDpT10_ENKUlT_T0_E_clISt17integral_constantIbLb1EES1M_EEDaS1H_S1I_EUlS1H_E_NS1_11comp_targetILNS1_3genE0ELNS1_11target_archE4294967295ELNS1_3gpuE0ELNS1_3repE0EEENS1_30default_config_static_selectorELNS0_4arch9wavefront6targetE0EEEvSV_.has_dyn_sized_stack, 0
	.set _ZN7rocprim17ROCPRIM_400000_NS6detail17trampoline_kernelINS0_13select_configILj256ELj13ELNS0_17block_load_methodE3ELS4_3ELS4_3ELNS0_20block_scan_algorithmE0ELj4294967295EEENS1_25partition_config_selectorILNS1_17partition_subalgoE3EjNS0_10empty_typeEbEEZZNS1_14partition_implILS8_3ELb0ES6_jNS0_17counting_iteratorIjlEEPS9_SE_NS0_5tupleIJPjSE_EEENSF_IJSE_SE_EEES9_SG_JZNS1_25segmented_radix_sort_implINS0_14default_configELb0EPKlPlSM_SN_N2at6native12_GLOBAL__N_18offset_tEEE10hipError_tPvRmT1_PNSt15iterator_traitsISV_E10value_typeET2_T3_PNSW_IS11_E10value_typeET4_jRbjT5_S17_jjP12ihipStream_tbEUljE_EEESS_ST_SU_S11_S15_S17_T6_T7_T9_mT8_S19_bDpT10_ENKUlT_T0_E_clISt17integral_constantIbLb1EES1M_EEDaS1H_S1I_EUlS1H_E_NS1_11comp_targetILNS1_3genE0ELNS1_11target_archE4294967295ELNS1_3gpuE0ELNS1_3repE0EEENS1_30default_config_static_selectorELNS0_4arch9wavefront6targetE0EEEvSV_.has_recursion, 0
	.set _ZN7rocprim17ROCPRIM_400000_NS6detail17trampoline_kernelINS0_13select_configILj256ELj13ELNS0_17block_load_methodE3ELS4_3ELS4_3ELNS0_20block_scan_algorithmE0ELj4294967295EEENS1_25partition_config_selectorILNS1_17partition_subalgoE3EjNS0_10empty_typeEbEEZZNS1_14partition_implILS8_3ELb0ES6_jNS0_17counting_iteratorIjlEEPS9_SE_NS0_5tupleIJPjSE_EEENSF_IJSE_SE_EEES9_SG_JZNS1_25segmented_radix_sort_implINS0_14default_configELb0EPKlPlSM_SN_N2at6native12_GLOBAL__N_18offset_tEEE10hipError_tPvRmT1_PNSt15iterator_traitsISV_E10value_typeET2_T3_PNSW_IS11_E10value_typeET4_jRbjT5_S17_jjP12ihipStream_tbEUljE_EEESS_ST_SU_S11_S15_S17_T6_T7_T9_mT8_S19_bDpT10_ENKUlT_T0_E_clISt17integral_constantIbLb1EES1M_EEDaS1H_S1I_EUlS1H_E_NS1_11comp_targetILNS1_3genE0ELNS1_11target_archE4294967295ELNS1_3gpuE0ELNS1_3repE0EEENS1_30default_config_static_selectorELNS0_4arch9wavefront6targetE0EEEvSV_.has_indirect_call, 0
	.section	.AMDGPU.csdata,"",@progbits
; Kernel info:
; codeLenInByte = 0
; TotalNumSgprs: 0
; NumVgprs: 0
; ScratchSize: 0
; MemoryBound: 0
; FloatMode: 240
; IeeeMode: 1
; LDSByteSize: 0 bytes/workgroup (compile time only)
; SGPRBlocks: 0
; VGPRBlocks: 0
; NumSGPRsForWavesPerEU: 1
; NumVGPRsForWavesPerEU: 1
; Occupancy: 16
; WaveLimiterHint : 0
; COMPUTE_PGM_RSRC2:SCRATCH_EN: 0
; COMPUTE_PGM_RSRC2:USER_SGPR: 6
; COMPUTE_PGM_RSRC2:TRAP_HANDLER: 0
; COMPUTE_PGM_RSRC2:TGID_X_EN: 1
; COMPUTE_PGM_RSRC2:TGID_Y_EN: 0
; COMPUTE_PGM_RSRC2:TGID_Z_EN: 0
; COMPUTE_PGM_RSRC2:TIDIG_COMP_CNT: 0
	.section	.text._ZN7rocprim17ROCPRIM_400000_NS6detail17trampoline_kernelINS0_13select_configILj256ELj13ELNS0_17block_load_methodE3ELS4_3ELS4_3ELNS0_20block_scan_algorithmE0ELj4294967295EEENS1_25partition_config_selectorILNS1_17partition_subalgoE3EjNS0_10empty_typeEbEEZZNS1_14partition_implILS8_3ELb0ES6_jNS0_17counting_iteratorIjlEEPS9_SE_NS0_5tupleIJPjSE_EEENSF_IJSE_SE_EEES9_SG_JZNS1_25segmented_radix_sort_implINS0_14default_configELb0EPKlPlSM_SN_N2at6native12_GLOBAL__N_18offset_tEEE10hipError_tPvRmT1_PNSt15iterator_traitsISV_E10value_typeET2_T3_PNSW_IS11_E10value_typeET4_jRbjT5_S17_jjP12ihipStream_tbEUljE_EEESS_ST_SU_S11_S15_S17_T6_T7_T9_mT8_S19_bDpT10_ENKUlT_T0_E_clISt17integral_constantIbLb1EES1M_EEDaS1H_S1I_EUlS1H_E_NS1_11comp_targetILNS1_3genE5ELNS1_11target_archE942ELNS1_3gpuE9ELNS1_3repE0EEENS1_30default_config_static_selectorELNS0_4arch9wavefront6targetE0EEEvSV_,"axG",@progbits,_ZN7rocprim17ROCPRIM_400000_NS6detail17trampoline_kernelINS0_13select_configILj256ELj13ELNS0_17block_load_methodE3ELS4_3ELS4_3ELNS0_20block_scan_algorithmE0ELj4294967295EEENS1_25partition_config_selectorILNS1_17partition_subalgoE3EjNS0_10empty_typeEbEEZZNS1_14partition_implILS8_3ELb0ES6_jNS0_17counting_iteratorIjlEEPS9_SE_NS0_5tupleIJPjSE_EEENSF_IJSE_SE_EEES9_SG_JZNS1_25segmented_radix_sort_implINS0_14default_configELb0EPKlPlSM_SN_N2at6native12_GLOBAL__N_18offset_tEEE10hipError_tPvRmT1_PNSt15iterator_traitsISV_E10value_typeET2_T3_PNSW_IS11_E10value_typeET4_jRbjT5_S17_jjP12ihipStream_tbEUljE_EEESS_ST_SU_S11_S15_S17_T6_T7_T9_mT8_S19_bDpT10_ENKUlT_T0_E_clISt17integral_constantIbLb1EES1M_EEDaS1H_S1I_EUlS1H_E_NS1_11comp_targetILNS1_3genE5ELNS1_11target_archE942ELNS1_3gpuE9ELNS1_3repE0EEENS1_30default_config_static_selectorELNS0_4arch9wavefront6targetE0EEEvSV_,comdat
	.globl	_ZN7rocprim17ROCPRIM_400000_NS6detail17trampoline_kernelINS0_13select_configILj256ELj13ELNS0_17block_load_methodE3ELS4_3ELS4_3ELNS0_20block_scan_algorithmE0ELj4294967295EEENS1_25partition_config_selectorILNS1_17partition_subalgoE3EjNS0_10empty_typeEbEEZZNS1_14partition_implILS8_3ELb0ES6_jNS0_17counting_iteratorIjlEEPS9_SE_NS0_5tupleIJPjSE_EEENSF_IJSE_SE_EEES9_SG_JZNS1_25segmented_radix_sort_implINS0_14default_configELb0EPKlPlSM_SN_N2at6native12_GLOBAL__N_18offset_tEEE10hipError_tPvRmT1_PNSt15iterator_traitsISV_E10value_typeET2_T3_PNSW_IS11_E10value_typeET4_jRbjT5_S17_jjP12ihipStream_tbEUljE_EEESS_ST_SU_S11_S15_S17_T6_T7_T9_mT8_S19_bDpT10_ENKUlT_T0_E_clISt17integral_constantIbLb1EES1M_EEDaS1H_S1I_EUlS1H_E_NS1_11comp_targetILNS1_3genE5ELNS1_11target_archE942ELNS1_3gpuE9ELNS1_3repE0EEENS1_30default_config_static_selectorELNS0_4arch9wavefront6targetE0EEEvSV_ ; -- Begin function _ZN7rocprim17ROCPRIM_400000_NS6detail17trampoline_kernelINS0_13select_configILj256ELj13ELNS0_17block_load_methodE3ELS4_3ELS4_3ELNS0_20block_scan_algorithmE0ELj4294967295EEENS1_25partition_config_selectorILNS1_17partition_subalgoE3EjNS0_10empty_typeEbEEZZNS1_14partition_implILS8_3ELb0ES6_jNS0_17counting_iteratorIjlEEPS9_SE_NS0_5tupleIJPjSE_EEENSF_IJSE_SE_EEES9_SG_JZNS1_25segmented_radix_sort_implINS0_14default_configELb0EPKlPlSM_SN_N2at6native12_GLOBAL__N_18offset_tEEE10hipError_tPvRmT1_PNSt15iterator_traitsISV_E10value_typeET2_T3_PNSW_IS11_E10value_typeET4_jRbjT5_S17_jjP12ihipStream_tbEUljE_EEESS_ST_SU_S11_S15_S17_T6_T7_T9_mT8_S19_bDpT10_ENKUlT_T0_E_clISt17integral_constantIbLb1EES1M_EEDaS1H_S1I_EUlS1H_E_NS1_11comp_targetILNS1_3genE5ELNS1_11target_archE942ELNS1_3gpuE9ELNS1_3repE0EEENS1_30default_config_static_selectorELNS0_4arch9wavefront6targetE0EEEvSV_
	.p2align	8
	.type	_ZN7rocprim17ROCPRIM_400000_NS6detail17trampoline_kernelINS0_13select_configILj256ELj13ELNS0_17block_load_methodE3ELS4_3ELS4_3ELNS0_20block_scan_algorithmE0ELj4294967295EEENS1_25partition_config_selectorILNS1_17partition_subalgoE3EjNS0_10empty_typeEbEEZZNS1_14partition_implILS8_3ELb0ES6_jNS0_17counting_iteratorIjlEEPS9_SE_NS0_5tupleIJPjSE_EEENSF_IJSE_SE_EEES9_SG_JZNS1_25segmented_radix_sort_implINS0_14default_configELb0EPKlPlSM_SN_N2at6native12_GLOBAL__N_18offset_tEEE10hipError_tPvRmT1_PNSt15iterator_traitsISV_E10value_typeET2_T3_PNSW_IS11_E10value_typeET4_jRbjT5_S17_jjP12ihipStream_tbEUljE_EEESS_ST_SU_S11_S15_S17_T6_T7_T9_mT8_S19_bDpT10_ENKUlT_T0_E_clISt17integral_constantIbLb1EES1M_EEDaS1H_S1I_EUlS1H_E_NS1_11comp_targetILNS1_3genE5ELNS1_11target_archE942ELNS1_3gpuE9ELNS1_3repE0EEENS1_30default_config_static_selectorELNS0_4arch9wavefront6targetE0EEEvSV_,@function
_ZN7rocprim17ROCPRIM_400000_NS6detail17trampoline_kernelINS0_13select_configILj256ELj13ELNS0_17block_load_methodE3ELS4_3ELS4_3ELNS0_20block_scan_algorithmE0ELj4294967295EEENS1_25partition_config_selectorILNS1_17partition_subalgoE3EjNS0_10empty_typeEbEEZZNS1_14partition_implILS8_3ELb0ES6_jNS0_17counting_iteratorIjlEEPS9_SE_NS0_5tupleIJPjSE_EEENSF_IJSE_SE_EEES9_SG_JZNS1_25segmented_radix_sort_implINS0_14default_configELb0EPKlPlSM_SN_N2at6native12_GLOBAL__N_18offset_tEEE10hipError_tPvRmT1_PNSt15iterator_traitsISV_E10value_typeET2_T3_PNSW_IS11_E10value_typeET4_jRbjT5_S17_jjP12ihipStream_tbEUljE_EEESS_ST_SU_S11_S15_S17_T6_T7_T9_mT8_S19_bDpT10_ENKUlT_T0_E_clISt17integral_constantIbLb1EES1M_EEDaS1H_S1I_EUlS1H_E_NS1_11comp_targetILNS1_3genE5ELNS1_11target_archE942ELNS1_3gpuE9ELNS1_3repE0EEENS1_30default_config_static_selectorELNS0_4arch9wavefront6targetE0EEEvSV_: ; @_ZN7rocprim17ROCPRIM_400000_NS6detail17trampoline_kernelINS0_13select_configILj256ELj13ELNS0_17block_load_methodE3ELS4_3ELS4_3ELNS0_20block_scan_algorithmE0ELj4294967295EEENS1_25partition_config_selectorILNS1_17partition_subalgoE3EjNS0_10empty_typeEbEEZZNS1_14partition_implILS8_3ELb0ES6_jNS0_17counting_iteratorIjlEEPS9_SE_NS0_5tupleIJPjSE_EEENSF_IJSE_SE_EEES9_SG_JZNS1_25segmented_radix_sort_implINS0_14default_configELb0EPKlPlSM_SN_N2at6native12_GLOBAL__N_18offset_tEEE10hipError_tPvRmT1_PNSt15iterator_traitsISV_E10value_typeET2_T3_PNSW_IS11_E10value_typeET4_jRbjT5_S17_jjP12ihipStream_tbEUljE_EEESS_ST_SU_S11_S15_S17_T6_T7_T9_mT8_S19_bDpT10_ENKUlT_T0_E_clISt17integral_constantIbLb1EES1M_EEDaS1H_S1I_EUlS1H_E_NS1_11comp_targetILNS1_3genE5ELNS1_11target_archE942ELNS1_3gpuE9ELNS1_3repE0EEENS1_30default_config_static_selectorELNS0_4arch9wavefront6targetE0EEEvSV_
; %bb.0:
	.section	.rodata,"a",@progbits
	.p2align	6, 0x0
	.amdhsa_kernel _ZN7rocprim17ROCPRIM_400000_NS6detail17trampoline_kernelINS0_13select_configILj256ELj13ELNS0_17block_load_methodE3ELS4_3ELS4_3ELNS0_20block_scan_algorithmE0ELj4294967295EEENS1_25partition_config_selectorILNS1_17partition_subalgoE3EjNS0_10empty_typeEbEEZZNS1_14partition_implILS8_3ELb0ES6_jNS0_17counting_iteratorIjlEEPS9_SE_NS0_5tupleIJPjSE_EEENSF_IJSE_SE_EEES9_SG_JZNS1_25segmented_radix_sort_implINS0_14default_configELb0EPKlPlSM_SN_N2at6native12_GLOBAL__N_18offset_tEEE10hipError_tPvRmT1_PNSt15iterator_traitsISV_E10value_typeET2_T3_PNSW_IS11_E10value_typeET4_jRbjT5_S17_jjP12ihipStream_tbEUljE_EEESS_ST_SU_S11_S15_S17_T6_T7_T9_mT8_S19_bDpT10_ENKUlT_T0_E_clISt17integral_constantIbLb1EES1M_EEDaS1H_S1I_EUlS1H_E_NS1_11comp_targetILNS1_3genE5ELNS1_11target_archE942ELNS1_3gpuE9ELNS1_3repE0EEENS1_30default_config_static_selectorELNS0_4arch9wavefront6targetE0EEEvSV_
		.amdhsa_group_segment_fixed_size 0
		.amdhsa_private_segment_fixed_size 0
		.amdhsa_kernarg_size 152
		.amdhsa_user_sgpr_count 6
		.amdhsa_user_sgpr_private_segment_buffer 1
		.amdhsa_user_sgpr_dispatch_ptr 0
		.amdhsa_user_sgpr_queue_ptr 0
		.amdhsa_user_sgpr_kernarg_segment_ptr 1
		.amdhsa_user_sgpr_dispatch_id 0
		.amdhsa_user_sgpr_flat_scratch_init 0
		.amdhsa_user_sgpr_private_segment_size 0
		.amdhsa_wavefront_size32 1
		.amdhsa_uses_dynamic_stack 0
		.amdhsa_system_sgpr_private_segment_wavefront_offset 0
		.amdhsa_system_sgpr_workgroup_id_x 1
		.amdhsa_system_sgpr_workgroup_id_y 0
		.amdhsa_system_sgpr_workgroup_id_z 0
		.amdhsa_system_sgpr_workgroup_info 0
		.amdhsa_system_vgpr_workitem_id 0
		.amdhsa_next_free_vgpr 1
		.amdhsa_next_free_sgpr 1
		.amdhsa_reserve_vcc 0
		.amdhsa_reserve_flat_scratch 0
		.amdhsa_float_round_mode_32 0
		.amdhsa_float_round_mode_16_64 0
		.amdhsa_float_denorm_mode_32 3
		.amdhsa_float_denorm_mode_16_64 3
		.amdhsa_dx10_clamp 1
		.amdhsa_ieee_mode 1
		.amdhsa_fp16_overflow 0
		.amdhsa_workgroup_processor_mode 1
		.amdhsa_memory_ordered 1
		.amdhsa_forward_progress 1
		.amdhsa_shared_vgpr_count 0
		.amdhsa_exception_fp_ieee_invalid_op 0
		.amdhsa_exception_fp_denorm_src 0
		.amdhsa_exception_fp_ieee_div_zero 0
		.amdhsa_exception_fp_ieee_overflow 0
		.amdhsa_exception_fp_ieee_underflow 0
		.amdhsa_exception_fp_ieee_inexact 0
		.amdhsa_exception_int_div_zero 0
	.end_amdhsa_kernel
	.section	.text._ZN7rocprim17ROCPRIM_400000_NS6detail17trampoline_kernelINS0_13select_configILj256ELj13ELNS0_17block_load_methodE3ELS4_3ELS4_3ELNS0_20block_scan_algorithmE0ELj4294967295EEENS1_25partition_config_selectorILNS1_17partition_subalgoE3EjNS0_10empty_typeEbEEZZNS1_14partition_implILS8_3ELb0ES6_jNS0_17counting_iteratorIjlEEPS9_SE_NS0_5tupleIJPjSE_EEENSF_IJSE_SE_EEES9_SG_JZNS1_25segmented_radix_sort_implINS0_14default_configELb0EPKlPlSM_SN_N2at6native12_GLOBAL__N_18offset_tEEE10hipError_tPvRmT1_PNSt15iterator_traitsISV_E10value_typeET2_T3_PNSW_IS11_E10value_typeET4_jRbjT5_S17_jjP12ihipStream_tbEUljE_EEESS_ST_SU_S11_S15_S17_T6_T7_T9_mT8_S19_bDpT10_ENKUlT_T0_E_clISt17integral_constantIbLb1EES1M_EEDaS1H_S1I_EUlS1H_E_NS1_11comp_targetILNS1_3genE5ELNS1_11target_archE942ELNS1_3gpuE9ELNS1_3repE0EEENS1_30default_config_static_selectorELNS0_4arch9wavefront6targetE0EEEvSV_,"axG",@progbits,_ZN7rocprim17ROCPRIM_400000_NS6detail17trampoline_kernelINS0_13select_configILj256ELj13ELNS0_17block_load_methodE3ELS4_3ELS4_3ELNS0_20block_scan_algorithmE0ELj4294967295EEENS1_25partition_config_selectorILNS1_17partition_subalgoE3EjNS0_10empty_typeEbEEZZNS1_14partition_implILS8_3ELb0ES6_jNS0_17counting_iteratorIjlEEPS9_SE_NS0_5tupleIJPjSE_EEENSF_IJSE_SE_EEES9_SG_JZNS1_25segmented_radix_sort_implINS0_14default_configELb0EPKlPlSM_SN_N2at6native12_GLOBAL__N_18offset_tEEE10hipError_tPvRmT1_PNSt15iterator_traitsISV_E10value_typeET2_T3_PNSW_IS11_E10value_typeET4_jRbjT5_S17_jjP12ihipStream_tbEUljE_EEESS_ST_SU_S11_S15_S17_T6_T7_T9_mT8_S19_bDpT10_ENKUlT_T0_E_clISt17integral_constantIbLb1EES1M_EEDaS1H_S1I_EUlS1H_E_NS1_11comp_targetILNS1_3genE5ELNS1_11target_archE942ELNS1_3gpuE9ELNS1_3repE0EEENS1_30default_config_static_selectorELNS0_4arch9wavefront6targetE0EEEvSV_,comdat
.Lfunc_end778:
	.size	_ZN7rocprim17ROCPRIM_400000_NS6detail17trampoline_kernelINS0_13select_configILj256ELj13ELNS0_17block_load_methodE3ELS4_3ELS4_3ELNS0_20block_scan_algorithmE0ELj4294967295EEENS1_25partition_config_selectorILNS1_17partition_subalgoE3EjNS0_10empty_typeEbEEZZNS1_14partition_implILS8_3ELb0ES6_jNS0_17counting_iteratorIjlEEPS9_SE_NS0_5tupleIJPjSE_EEENSF_IJSE_SE_EEES9_SG_JZNS1_25segmented_radix_sort_implINS0_14default_configELb0EPKlPlSM_SN_N2at6native12_GLOBAL__N_18offset_tEEE10hipError_tPvRmT1_PNSt15iterator_traitsISV_E10value_typeET2_T3_PNSW_IS11_E10value_typeET4_jRbjT5_S17_jjP12ihipStream_tbEUljE_EEESS_ST_SU_S11_S15_S17_T6_T7_T9_mT8_S19_bDpT10_ENKUlT_T0_E_clISt17integral_constantIbLb1EES1M_EEDaS1H_S1I_EUlS1H_E_NS1_11comp_targetILNS1_3genE5ELNS1_11target_archE942ELNS1_3gpuE9ELNS1_3repE0EEENS1_30default_config_static_selectorELNS0_4arch9wavefront6targetE0EEEvSV_, .Lfunc_end778-_ZN7rocprim17ROCPRIM_400000_NS6detail17trampoline_kernelINS0_13select_configILj256ELj13ELNS0_17block_load_methodE3ELS4_3ELS4_3ELNS0_20block_scan_algorithmE0ELj4294967295EEENS1_25partition_config_selectorILNS1_17partition_subalgoE3EjNS0_10empty_typeEbEEZZNS1_14partition_implILS8_3ELb0ES6_jNS0_17counting_iteratorIjlEEPS9_SE_NS0_5tupleIJPjSE_EEENSF_IJSE_SE_EEES9_SG_JZNS1_25segmented_radix_sort_implINS0_14default_configELb0EPKlPlSM_SN_N2at6native12_GLOBAL__N_18offset_tEEE10hipError_tPvRmT1_PNSt15iterator_traitsISV_E10value_typeET2_T3_PNSW_IS11_E10value_typeET4_jRbjT5_S17_jjP12ihipStream_tbEUljE_EEESS_ST_SU_S11_S15_S17_T6_T7_T9_mT8_S19_bDpT10_ENKUlT_T0_E_clISt17integral_constantIbLb1EES1M_EEDaS1H_S1I_EUlS1H_E_NS1_11comp_targetILNS1_3genE5ELNS1_11target_archE942ELNS1_3gpuE9ELNS1_3repE0EEENS1_30default_config_static_selectorELNS0_4arch9wavefront6targetE0EEEvSV_
                                        ; -- End function
	.set _ZN7rocprim17ROCPRIM_400000_NS6detail17trampoline_kernelINS0_13select_configILj256ELj13ELNS0_17block_load_methodE3ELS4_3ELS4_3ELNS0_20block_scan_algorithmE0ELj4294967295EEENS1_25partition_config_selectorILNS1_17partition_subalgoE3EjNS0_10empty_typeEbEEZZNS1_14partition_implILS8_3ELb0ES6_jNS0_17counting_iteratorIjlEEPS9_SE_NS0_5tupleIJPjSE_EEENSF_IJSE_SE_EEES9_SG_JZNS1_25segmented_radix_sort_implINS0_14default_configELb0EPKlPlSM_SN_N2at6native12_GLOBAL__N_18offset_tEEE10hipError_tPvRmT1_PNSt15iterator_traitsISV_E10value_typeET2_T3_PNSW_IS11_E10value_typeET4_jRbjT5_S17_jjP12ihipStream_tbEUljE_EEESS_ST_SU_S11_S15_S17_T6_T7_T9_mT8_S19_bDpT10_ENKUlT_T0_E_clISt17integral_constantIbLb1EES1M_EEDaS1H_S1I_EUlS1H_E_NS1_11comp_targetILNS1_3genE5ELNS1_11target_archE942ELNS1_3gpuE9ELNS1_3repE0EEENS1_30default_config_static_selectorELNS0_4arch9wavefront6targetE0EEEvSV_.num_vgpr, 0
	.set _ZN7rocprim17ROCPRIM_400000_NS6detail17trampoline_kernelINS0_13select_configILj256ELj13ELNS0_17block_load_methodE3ELS4_3ELS4_3ELNS0_20block_scan_algorithmE0ELj4294967295EEENS1_25partition_config_selectorILNS1_17partition_subalgoE3EjNS0_10empty_typeEbEEZZNS1_14partition_implILS8_3ELb0ES6_jNS0_17counting_iteratorIjlEEPS9_SE_NS0_5tupleIJPjSE_EEENSF_IJSE_SE_EEES9_SG_JZNS1_25segmented_radix_sort_implINS0_14default_configELb0EPKlPlSM_SN_N2at6native12_GLOBAL__N_18offset_tEEE10hipError_tPvRmT1_PNSt15iterator_traitsISV_E10value_typeET2_T3_PNSW_IS11_E10value_typeET4_jRbjT5_S17_jjP12ihipStream_tbEUljE_EEESS_ST_SU_S11_S15_S17_T6_T7_T9_mT8_S19_bDpT10_ENKUlT_T0_E_clISt17integral_constantIbLb1EES1M_EEDaS1H_S1I_EUlS1H_E_NS1_11comp_targetILNS1_3genE5ELNS1_11target_archE942ELNS1_3gpuE9ELNS1_3repE0EEENS1_30default_config_static_selectorELNS0_4arch9wavefront6targetE0EEEvSV_.num_agpr, 0
	.set _ZN7rocprim17ROCPRIM_400000_NS6detail17trampoline_kernelINS0_13select_configILj256ELj13ELNS0_17block_load_methodE3ELS4_3ELS4_3ELNS0_20block_scan_algorithmE0ELj4294967295EEENS1_25partition_config_selectorILNS1_17partition_subalgoE3EjNS0_10empty_typeEbEEZZNS1_14partition_implILS8_3ELb0ES6_jNS0_17counting_iteratorIjlEEPS9_SE_NS0_5tupleIJPjSE_EEENSF_IJSE_SE_EEES9_SG_JZNS1_25segmented_radix_sort_implINS0_14default_configELb0EPKlPlSM_SN_N2at6native12_GLOBAL__N_18offset_tEEE10hipError_tPvRmT1_PNSt15iterator_traitsISV_E10value_typeET2_T3_PNSW_IS11_E10value_typeET4_jRbjT5_S17_jjP12ihipStream_tbEUljE_EEESS_ST_SU_S11_S15_S17_T6_T7_T9_mT8_S19_bDpT10_ENKUlT_T0_E_clISt17integral_constantIbLb1EES1M_EEDaS1H_S1I_EUlS1H_E_NS1_11comp_targetILNS1_3genE5ELNS1_11target_archE942ELNS1_3gpuE9ELNS1_3repE0EEENS1_30default_config_static_selectorELNS0_4arch9wavefront6targetE0EEEvSV_.numbered_sgpr, 0
	.set _ZN7rocprim17ROCPRIM_400000_NS6detail17trampoline_kernelINS0_13select_configILj256ELj13ELNS0_17block_load_methodE3ELS4_3ELS4_3ELNS0_20block_scan_algorithmE0ELj4294967295EEENS1_25partition_config_selectorILNS1_17partition_subalgoE3EjNS0_10empty_typeEbEEZZNS1_14partition_implILS8_3ELb0ES6_jNS0_17counting_iteratorIjlEEPS9_SE_NS0_5tupleIJPjSE_EEENSF_IJSE_SE_EEES9_SG_JZNS1_25segmented_radix_sort_implINS0_14default_configELb0EPKlPlSM_SN_N2at6native12_GLOBAL__N_18offset_tEEE10hipError_tPvRmT1_PNSt15iterator_traitsISV_E10value_typeET2_T3_PNSW_IS11_E10value_typeET4_jRbjT5_S17_jjP12ihipStream_tbEUljE_EEESS_ST_SU_S11_S15_S17_T6_T7_T9_mT8_S19_bDpT10_ENKUlT_T0_E_clISt17integral_constantIbLb1EES1M_EEDaS1H_S1I_EUlS1H_E_NS1_11comp_targetILNS1_3genE5ELNS1_11target_archE942ELNS1_3gpuE9ELNS1_3repE0EEENS1_30default_config_static_selectorELNS0_4arch9wavefront6targetE0EEEvSV_.num_named_barrier, 0
	.set _ZN7rocprim17ROCPRIM_400000_NS6detail17trampoline_kernelINS0_13select_configILj256ELj13ELNS0_17block_load_methodE3ELS4_3ELS4_3ELNS0_20block_scan_algorithmE0ELj4294967295EEENS1_25partition_config_selectorILNS1_17partition_subalgoE3EjNS0_10empty_typeEbEEZZNS1_14partition_implILS8_3ELb0ES6_jNS0_17counting_iteratorIjlEEPS9_SE_NS0_5tupleIJPjSE_EEENSF_IJSE_SE_EEES9_SG_JZNS1_25segmented_radix_sort_implINS0_14default_configELb0EPKlPlSM_SN_N2at6native12_GLOBAL__N_18offset_tEEE10hipError_tPvRmT1_PNSt15iterator_traitsISV_E10value_typeET2_T3_PNSW_IS11_E10value_typeET4_jRbjT5_S17_jjP12ihipStream_tbEUljE_EEESS_ST_SU_S11_S15_S17_T6_T7_T9_mT8_S19_bDpT10_ENKUlT_T0_E_clISt17integral_constantIbLb1EES1M_EEDaS1H_S1I_EUlS1H_E_NS1_11comp_targetILNS1_3genE5ELNS1_11target_archE942ELNS1_3gpuE9ELNS1_3repE0EEENS1_30default_config_static_selectorELNS0_4arch9wavefront6targetE0EEEvSV_.private_seg_size, 0
	.set _ZN7rocprim17ROCPRIM_400000_NS6detail17trampoline_kernelINS0_13select_configILj256ELj13ELNS0_17block_load_methodE3ELS4_3ELS4_3ELNS0_20block_scan_algorithmE0ELj4294967295EEENS1_25partition_config_selectorILNS1_17partition_subalgoE3EjNS0_10empty_typeEbEEZZNS1_14partition_implILS8_3ELb0ES6_jNS0_17counting_iteratorIjlEEPS9_SE_NS0_5tupleIJPjSE_EEENSF_IJSE_SE_EEES9_SG_JZNS1_25segmented_radix_sort_implINS0_14default_configELb0EPKlPlSM_SN_N2at6native12_GLOBAL__N_18offset_tEEE10hipError_tPvRmT1_PNSt15iterator_traitsISV_E10value_typeET2_T3_PNSW_IS11_E10value_typeET4_jRbjT5_S17_jjP12ihipStream_tbEUljE_EEESS_ST_SU_S11_S15_S17_T6_T7_T9_mT8_S19_bDpT10_ENKUlT_T0_E_clISt17integral_constantIbLb1EES1M_EEDaS1H_S1I_EUlS1H_E_NS1_11comp_targetILNS1_3genE5ELNS1_11target_archE942ELNS1_3gpuE9ELNS1_3repE0EEENS1_30default_config_static_selectorELNS0_4arch9wavefront6targetE0EEEvSV_.uses_vcc, 0
	.set _ZN7rocprim17ROCPRIM_400000_NS6detail17trampoline_kernelINS0_13select_configILj256ELj13ELNS0_17block_load_methodE3ELS4_3ELS4_3ELNS0_20block_scan_algorithmE0ELj4294967295EEENS1_25partition_config_selectorILNS1_17partition_subalgoE3EjNS0_10empty_typeEbEEZZNS1_14partition_implILS8_3ELb0ES6_jNS0_17counting_iteratorIjlEEPS9_SE_NS0_5tupleIJPjSE_EEENSF_IJSE_SE_EEES9_SG_JZNS1_25segmented_radix_sort_implINS0_14default_configELb0EPKlPlSM_SN_N2at6native12_GLOBAL__N_18offset_tEEE10hipError_tPvRmT1_PNSt15iterator_traitsISV_E10value_typeET2_T3_PNSW_IS11_E10value_typeET4_jRbjT5_S17_jjP12ihipStream_tbEUljE_EEESS_ST_SU_S11_S15_S17_T6_T7_T9_mT8_S19_bDpT10_ENKUlT_T0_E_clISt17integral_constantIbLb1EES1M_EEDaS1H_S1I_EUlS1H_E_NS1_11comp_targetILNS1_3genE5ELNS1_11target_archE942ELNS1_3gpuE9ELNS1_3repE0EEENS1_30default_config_static_selectorELNS0_4arch9wavefront6targetE0EEEvSV_.uses_flat_scratch, 0
	.set _ZN7rocprim17ROCPRIM_400000_NS6detail17trampoline_kernelINS0_13select_configILj256ELj13ELNS0_17block_load_methodE3ELS4_3ELS4_3ELNS0_20block_scan_algorithmE0ELj4294967295EEENS1_25partition_config_selectorILNS1_17partition_subalgoE3EjNS0_10empty_typeEbEEZZNS1_14partition_implILS8_3ELb0ES6_jNS0_17counting_iteratorIjlEEPS9_SE_NS0_5tupleIJPjSE_EEENSF_IJSE_SE_EEES9_SG_JZNS1_25segmented_radix_sort_implINS0_14default_configELb0EPKlPlSM_SN_N2at6native12_GLOBAL__N_18offset_tEEE10hipError_tPvRmT1_PNSt15iterator_traitsISV_E10value_typeET2_T3_PNSW_IS11_E10value_typeET4_jRbjT5_S17_jjP12ihipStream_tbEUljE_EEESS_ST_SU_S11_S15_S17_T6_T7_T9_mT8_S19_bDpT10_ENKUlT_T0_E_clISt17integral_constantIbLb1EES1M_EEDaS1H_S1I_EUlS1H_E_NS1_11comp_targetILNS1_3genE5ELNS1_11target_archE942ELNS1_3gpuE9ELNS1_3repE0EEENS1_30default_config_static_selectorELNS0_4arch9wavefront6targetE0EEEvSV_.has_dyn_sized_stack, 0
	.set _ZN7rocprim17ROCPRIM_400000_NS6detail17trampoline_kernelINS0_13select_configILj256ELj13ELNS0_17block_load_methodE3ELS4_3ELS4_3ELNS0_20block_scan_algorithmE0ELj4294967295EEENS1_25partition_config_selectorILNS1_17partition_subalgoE3EjNS0_10empty_typeEbEEZZNS1_14partition_implILS8_3ELb0ES6_jNS0_17counting_iteratorIjlEEPS9_SE_NS0_5tupleIJPjSE_EEENSF_IJSE_SE_EEES9_SG_JZNS1_25segmented_radix_sort_implINS0_14default_configELb0EPKlPlSM_SN_N2at6native12_GLOBAL__N_18offset_tEEE10hipError_tPvRmT1_PNSt15iterator_traitsISV_E10value_typeET2_T3_PNSW_IS11_E10value_typeET4_jRbjT5_S17_jjP12ihipStream_tbEUljE_EEESS_ST_SU_S11_S15_S17_T6_T7_T9_mT8_S19_bDpT10_ENKUlT_T0_E_clISt17integral_constantIbLb1EES1M_EEDaS1H_S1I_EUlS1H_E_NS1_11comp_targetILNS1_3genE5ELNS1_11target_archE942ELNS1_3gpuE9ELNS1_3repE0EEENS1_30default_config_static_selectorELNS0_4arch9wavefront6targetE0EEEvSV_.has_recursion, 0
	.set _ZN7rocprim17ROCPRIM_400000_NS6detail17trampoline_kernelINS0_13select_configILj256ELj13ELNS0_17block_load_methodE3ELS4_3ELS4_3ELNS0_20block_scan_algorithmE0ELj4294967295EEENS1_25partition_config_selectorILNS1_17partition_subalgoE3EjNS0_10empty_typeEbEEZZNS1_14partition_implILS8_3ELb0ES6_jNS0_17counting_iteratorIjlEEPS9_SE_NS0_5tupleIJPjSE_EEENSF_IJSE_SE_EEES9_SG_JZNS1_25segmented_radix_sort_implINS0_14default_configELb0EPKlPlSM_SN_N2at6native12_GLOBAL__N_18offset_tEEE10hipError_tPvRmT1_PNSt15iterator_traitsISV_E10value_typeET2_T3_PNSW_IS11_E10value_typeET4_jRbjT5_S17_jjP12ihipStream_tbEUljE_EEESS_ST_SU_S11_S15_S17_T6_T7_T9_mT8_S19_bDpT10_ENKUlT_T0_E_clISt17integral_constantIbLb1EES1M_EEDaS1H_S1I_EUlS1H_E_NS1_11comp_targetILNS1_3genE5ELNS1_11target_archE942ELNS1_3gpuE9ELNS1_3repE0EEENS1_30default_config_static_selectorELNS0_4arch9wavefront6targetE0EEEvSV_.has_indirect_call, 0
	.section	.AMDGPU.csdata,"",@progbits
; Kernel info:
; codeLenInByte = 0
; TotalNumSgprs: 0
; NumVgprs: 0
; ScratchSize: 0
; MemoryBound: 0
; FloatMode: 240
; IeeeMode: 1
; LDSByteSize: 0 bytes/workgroup (compile time only)
; SGPRBlocks: 0
; VGPRBlocks: 0
; NumSGPRsForWavesPerEU: 1
; NumVGPRsForWavesPerEU: 1
; Occupancy: 16
; WaveLimiterHint : 0
; COMPUTE_PGM_RSRC2:SCRATCH_EN: 0
; COMPUTE_PGM_RSRC2:USER_SGPR: 6
; COMPUTE_PGM_RSRC2:TRAP_HANDLER: 0
; COMPUTE_PGM_RSRC2:TGID_X_EN: 1
; COMPUTE_PGM_RSRC2:TGID_Y_EN: 0
; COMPUTE_PGM_RSRC2:TGID_Z_EN: 0
; COMPUTE_PGM_RSRC2:TIDIG_COMP_CNT: 0
	.section	.text._ZN7rocprim17ROCPRIM_400000_NS6detail17trampoline_kernelINS0_13select_configILj256ELj13ELNS0_17block_load_methodE3ELS4_3ELS4_3ELNS0_20block_scan_algorithmE0ELj4294967295EEENS1_25partition_config_selectorILNS1_17partition_subalgoE3EjNS0_10empty_typeEbEEZZNS1_14partition_implILS8_3ELb0ES6_jNS0_17counting_iteratorIjlEEPS9_SE_NS0_5tupleIJPjSE_EEENSF_IJSE_SE_EEES9_SG_JZNS1_25segmented_radix_sort_implINS0_14default_configELb0EPKlPlSM_SN_N2at6native12_GLOBAL__N_18offset_tEEE10hipError_tPvRmT1_PNSt15iterator_traitsISV_E10value_typeET2_T3_PNSW_IS11_E10value_typeET4_jRbjT5_S17_jjP12ihipStream_tbEUljE_EEESS_ST_SU_S11_S15_S17_T6_T7_T9_mT8_S19_bDpT10_ENKUlT_T0_E_clISt17integral_constantIbLb1EES1M_EEDaS1H_S1I_EUlS1H_E_NS1_11comp_targetILNS1_3genE4ELNS1_11target_archE910ELNS1_3gpuE8ELNS1_3repE0EEENS1_30default_config_static_selectorELNS0_4arch9wavefront6targetE0EEEvSV_,"axG",@progbits,_ZN7rocprim17ROCPRIM_400000_NS6detail17trampoline_kernelINS0_13select_configILj256ELj13ELNS0_17block_load_methodE3ELS4_3ELS4_3ELNS0_20block_scan_algorithmE0ELj4294967295EEENS1_25partition_config_selectorILNS1_17partition_subalgoE3EjNS0_10empty_typeEbEEZZNS1_14partition_implILS8_3ELb0ES6_jNS0_17counting_iteratorIjlEEPS9_SE_NS0_5tupleIJPjSE_EEENSF_IJSE_SE_EEES9_SG_JZNS1_25segmented_radix_sort_implINS0_14default_configELb0EPKlPlSM_SN_N2at6native12_GLOBAL__N_18offset_tEEE10hipError_tPvRmT1_PNSt15iterator_traitsISV_E10value_typeET2_T3_PNSW_IS11_E10value_typeET4_jRbjT5_S17_jjP12ihipStream_tbEUljE_EEESS_ST_SU_S11_S15_S17_T6_T7_T9_mT8_S19_bDpT10_ENKUlT_T0_E_clISt17integral_constantIbLb1EES1M_EEDaS1H_S1I_EUlS1H_E_NS1_11comp_targetILNS1_3genE4ELNS1_11target_archE910ELNS1_3gpuE8ELNS1_3repE0EEENS1_30default_config_static_selectorELNS0_4arch9wavefront6targetE0EEEvSV_,comdat
	.globl	_ZN7rocprim17ROCPRIM_400000_NS6detail17trampoline_kernelINS0_13select_configILj256ELj13ELNS0_17block_load_methodE3ELS4_3ELS4_3ELNS0_20block_scan_algorithmE0ELj4294967295EEENS1_25partition_config_selectorILNS1_17partition_subalgoE3EjNS0_10empty_typeEbEEZZNS1_14partition_implILS8_3ELb0ES6_jNS0_17counting_iteratorIjlEEPS9_SE_NS0_5tupleIJPjSE_EEENSF_IJSE_SE_EEES9_SG_JZNS1_25segmented_radix_sort_implINS0_14default_configELb0EPKlPlSM_SN_N2at6native12_GLOBAL__N_18offset_tEEE10hipError_tPvRmT1_PNSt15iterator_traitsISV_E10value_typeET2_T3_PNSW_IS11_E10value_typeET4_jRbjT5_S17_jjP12ihipStream_tbEUljE_EEESS_ST_SU_S11_S15_S17_T6_T7_T9_mT8_S19_bDpT10_ENKUlT_T0_E_clISt17integral_constantIbLb1EES1M_EEDaS1H_S1I_EUlS1H_E_NS1_11comp_targetILNS1_3genE4ELNS1_11target_archE910ELNS1_3gpuE8ELNS1_3repE0EEENS1_30default_config_static_selectorELNS0_4arch9wavefront6targetE0EEEvSV_ ; -- Begin function _ZN7rocprim17ROCPRIM_400000_NS6detail17trampoline_kernelINS0_13select_configILj256ELj13ELNS0_17block_load_methodE3ELS4_3ELS4_3ELNS0_20block_scan_algorithmE0ELj4294967295EEENS1_25partition_config_selectorILNS1_17partition_subalgoE3EjNS0_10empty_typeEbEEZZNS1_14partition_implILS8_3ELb0ES6_jNS0_17counting_iteratorIjlEEPS9_SE_NS0_5tupleIJPjSE_EEENSF_IJSE_SE_EEES9_SG_JZNS1_25segmented_radix_sort_implINS0_14default_configELb0EPKlPlSM_SN_N2at6native12_GLOBAL__N_18offset_tEEE10hipError_tPvRmT1_PNSt15iterator_traitsISV_E10value_typeET2_T3_PNSW_IS11_E10value_typeET4_jRbjT5_S17_jjP12ihipStream_tbEUljE_EEESS_ST_SU_S11_S15_S17_T6_T7_T9_mT8_S19_bDpT10_ENKUlT_T0_E_clISt17integral_constantIbLb1EES1M_EEDaS1H_S1I_EUlS1H_E_NS1_11comp_targetILNS1_3genE4ELNS1_11target_archE910ELNS1_3gpuE8ELNS1_3repE0EEENS1_30default_config_static_selectorELNS0_4arch9wavefront6targetE0EEEvSV_
	.p2align	8
	.type	_ZN7rocprim17ROCPRIM_400000_NS6detail17trampoline_kernelINS0_13select_configILj256ELj13ELNS0_17block_load_methodE3ELS4_3ELS4_3ELNS0_20block_scan_algorithmE0ELj4294967295EEENS1_25partition_config_selectorILNS1_17partition_subalgoE3EjNS0_10empty_typeEbEEZZNS1_14partition_implILS8_3ELb0ES6_jNS0_17counting_iteratorIjlEEPS9_SE_NS0_5tupleIJPjSE_EEENSF_IJSE_SE_EEES9_SG_JZNS1_25segmented_radix_sort_implINS0_14default_configELb0EPKlPlSM_SN_N2at6native12_GLOBAL__N_18offset_tEEE10hipError_tPvRmT1_PNSt15iterator_traitsISV_E10value_typeET2_T3_PNSW_IS11_E10value_typeET4_jRbjT5_S17_jjP12ihipStream_tbEUljE_EEESS_ST_SU_S11_S15_S17_T6_T7_T9_mT8_S19_bDpT10_ENKUlT_T0_E_clISt17integral_constantIbLb1EES1M_EEDaS1H_S1I_EUlS1H_E_NS1_11comp_targetILNS1_3genE4ELNS1_11target_archE910ELNS1_3gpuE8ELNS1_3repE0EEENS1_30default_config_static_selectorELNS0_4arch9wavefront6targetE0EEEvSV_,@function
_ZN7rocprim17ROCPRIM_400000_NS6detail17trampoline_kernelINS0_13select_configILj256ELj13ELNS0_17block_load_methodE3ELS4_3ELS4_3ELNS0_20block_scan_algorithmE0ELj4294967295EEENS1_25partition_config_selectorILNS1_17partition_subalgoE3EjNS0_10empty_typeEbEEZZNS1_14partition_implILS8_3ELb0ES6_jNS0_17counting_iteratorIjlEEPS9_SE_NS0_5tupleIJPjSE_EEENSF_IJSE_SE_EEES9_SG_JZNS1_25segmented_radix_sort_implINS0_14default_configELb0EPKlPlSM_SN_N2at6native12_GLOBAL__N_18offset_tEEE10hipError_tPvRmT1_PNSt15iterator_traitsISV_E10value_typeET2_T3_PNSW_IS11_E10value_typeET4_jRbjT5_S17_jjP12ihipStream_tbEUljE_EEESS_ST_SU_S11_S15_S17_T6_T7_T9_mT8_S19_bDpT10_ENKUlT_T0_E_clISt17integral_constantIbLb1EES1M_EEDaS1H_S1I_EUlS1H_E_NS1_11comp_targetILNS1_3genE4ELNS1_11target_archE910ELNS1_3gpuE8ELNS1_3repE0EEENS1_30default_config_static_selectorELNS0_4arch9wavefront6targetE0EEEvSV_: ; @_ZN7rocprim17ROCPRIM_400000_NS6detail17trampoline_kernelINS0_13select_configILj256ELj13ELNS0_17block_load_methodE3ELS4_3ELS4_3ELNS0_20block_scan_algorithmE0ELj4294967295EEENS1_25partition_config_selectorILNS1_17partition_subalgoE3EjNS0_10empty_typeEbEEZZNS1_14partition_implILS8_3ELb0ES6_jNS0_17counting_iteratorIjlEEPS9_SE_NS0_5tupleIJPjSE_EEENSF_IJSE_SE_EEES9_SG_JZNS1_25segmented_radix_sort_implINS0_14default_configELb0EPKlPlSM_SN_N2at6native12_GLOBAL__N_18offset_tEEE10hipError_tPvRmT1_PNSt15iterator_traitsISV_E10value_typeET2_T3_PNSW_IS11_E10value_typeET4_jRbjT5_S17_jjP12ihipStream_tbEUljE_EEESS_ST_SU_S11_S15_S17_T6_T7_T9_mT8_S19_bDpT10_ENKUlT_T0_E_clISt17integral_constantIbLb1EES1M_EEDaS1H_S1I_EUlS1H_E_NS1_11comp_targetILNS1_3genE4ELNS1_11target_archE910ELNS1_3gpuE8ELNS1_3repE0EEENS1_30default_config_static_selectorELNS0_4arch9wavefront6targetE0EEEvSV_
; %bb.0:
	.section	.rodata,"a",@progbits
	.p2align	6, 0x0
	.amdhsa_kernel _ZN7rocprim17ROCPRIM_400000_NS6detail17trampoline_kernelINS0_13select_configILj256ELj13ELNS0_17block_load_methodE3ELS4_3ELS4_3ELNS0_20block_scan_algorithmE0ELj4294967295EEENS1_25partition_config_selectorILNS1_17partition_subalgoE3EjNS0_10empty_typeEbEEZZNS1_14partition_implILS8_3ELb0ES6_jNS0_17counting_iteratorIjlEEPS9_SE_NS0_5tupleIJPjSE_EEENSF_IJSE_SE_EEES9_SG_JZNS1_25segmented_radix_sort_implINS0_14default_configELb0EPKlPlSM_SN_N2at6native12_GLOBAL__N_18offset_tEEE10hipError_tPvRmT1_PNSt15iterator_traitsISV_E10value_typeET2_T3_PNSW_IS11_E10value_typeET4_jRbjT5_S17_jjP12ihipStream_tbEUljE_EEESS_ST_SU_S11_S15_S17_T6_T7_T9_mT8_S19_bDpT10_ENKUlT_T0_E_clISt17integral_constantIbLb1EES1M_EEDaS1H_S1I_EUlS1H_E_NS1_11comp_targetILNS1_3genE4ELNS1_11target_archE910ELNS1_3gpuE8ELNS1_3repE0EEENS1_30default_config_static_selectorELNS0_4arch9wavefront6targetE0EEEvSV_
		.amdhsa_group_segment_fixed_size 0
		.amdhsa_private_segment_fixed_size 0
		.amdhsa_kernarg_size 152
		.amdhsa_user_sgpr_count 6
		.amdhsa_user_sgpr_private_segment_buffer 1
		.amdhsa_user_sgpr_dispatch_ptr 0
		.amdhsa_user_sgpr_queue_ptr 0
		.amdhsa_user_sgpr_kernarg_segment_ptr 1
		.amdhsa_user_sgpr_dispatch_id 0
		.amdhsa_user_sgpr_flat_scratch_init 0
		.amdhsa_user_sgpr_private_segment_size 0
		.amdhsa_wavefront_size32 1
		.amdhsa_uses_dynamic_stack 0
		.amdhsa_system_sgpr_private_segment_wavefront_offset 0
		.amdhsa_system_sgpr_workgroup_id_x 1
		.amdhsa_system_sgpr_workgroup_id_y 0
		.amdhsa_system_sgpr_workgroup_id_z 0
		.amdhsa_system_sgpr_workgroup_info 0
		.amdhsa_system_vgpr_workitem_id 0
		.amdhsa_next_free_vgpr 1
		.amdhsa_next_free_sgpr 1
		.amdhsa_reserve_vcc 0
		.amdhsa_reserve_flat_scratch 0
		.amdhsa_float_round_mode_32 0
		.amdhsa_float_round_mode_16_64 0
		.amdhsa_float_denorm_mode_32 3
		.amdhsa_float_denorm_mode_16_64 3
		.amdhsa_dx10_clamp 1
		.amdhsa_ieee_mode 1
		.amdhsa_fp16_overflow 0
		.amdhsa_workgroup_processor_mode 1
		.amdhsa_memory_ordered 1
		.amdhsa_forward_progress 1
		.amdhsa_shared_vgpr_count 0
		.amdhsa_exception_fp_ieee_invalid_op 0
		.amdhsa_exception_fp_denorm_src 0
		.amdhsa_exception_fp_ieee_div_zero 0
		.amdhsa_exception_fp_ieee_overflow 0
		.amdhsa_exception_fp_ieee_underflow 0
		.amdhsa_exception_fp_ieee_inexact 0
		.amdhsa_exception_int_div_zero 0
	.end_amdhsa_kernel
	.section	.text._ZN7rocprim17ROCPRIM_400000_NS6detail17trampoline_kernelINS0_13select_configILj256ELj13ELNS0_17block_load_methodE3ELS4_3ELS4_3ELNS0_20block_scan_algorithmE0ELj4294967295EEENS1_25partition_config_selectorILNS1_17partition_subalgoE3EjNS0_10empty_typeEbEEZZNS1_14partition_implILS8_3ELb0ES6_jNS0_17counting_iteratorIjlEEPS9_SE_NS0_5tupleIJPjSE_EEENSF_IJSE_SE_EEES9_SG_JZNS1_25segmented_radix_sort_implINS0_14default_configELb0EPKlPlSM_SN_N2at6native12_GLOBAL__N_18offset_tEEE10hipError_tPvRmT1_PNSt15iterator_traitsISV_E10value_typeET2_T3_PNSW_IS11_E10value_typeET4_jRbjT5_S17_jjP12ihipStream_tbEUljE_EEESS_ST_SU_S11_S15_S17_T6_T7_T9_mT8_S19_bDpT10_ENKUlT_T0_E_clISt17integral_constantIbLb1EES1M_EEDaS1H_S1I_EUlS1H_E_NS1_11comp_targetILNS1_3genE4ELNS1_11target_archE910ELNS1_3gpuE8ELNS1_3repE0EEENS1_30default_config_static_selectorELNS0_4arch9wavefront6targetE0EEEvSV_,"axG",@progbits,_ZN7rocprim17ROCPRIM_400000_NS6detail17trampoline_kernelINS0_13select_configILj256ELj13ELNS0_17block_load_methodE3ELS4_3ELS4_3ELNS0_20block_scan_algorithmE0ELj4294967295EEENS1_25partition_config_selectorILNS1_17partition_subalgoE3EjNS0_10empty_typeEbEEZZNS1_14partition_implILS8_3ELb0ES6_jNS0_17counting_iteratorIjlEEPS9_SE_NS0_5tupleIJPjSE_EEENSF_IJSE_SE_EEES9_SG_JZNS1_25segmented_radix_sort_implINS0_14default_configELb0EPKlPlSM_SN_N2at6native12_GLOBAL__N_18offset_tEEE10hipError_tPvRmT1_PNSt15iterator_traitsISV_E10value_typeET2_T3_PNSW_IS11_E10value_typeET4_jRbjT5_S17_jjP12ihipStream_tbEUljE_EEESS_ST_SU_S11_S15_S17_T6_T7_T9_mT8_S19_bDpT10_ENKUlT_T0_E_clISt17integral_constantIbLb1EES1M_EEDaS1H_S1I_EUlS1H_E_NS1_11comp_targetILNS1_3genE4ELNS1_11target_archE910ELNS1_3gpuE8ELNS1_3repE0EEENS1_30default_config_static_selectorELNS0_4arch9wavefront6targetE0EEEvSV_,comdat
.Lfunc_end779:
	.size	_ZN7rocprim17ROCPRIM_400000_NS6detail17trampoline_kernelINS0_13select_configILj256ELj13ELNS0_17block_load_methodE3ELS4_3ELS4_3ELNS0_20block_scan_algorithmE0ELj4294967295EEENS1_25partition_config_selectorILNS1_17partition_subalgoE3EjNS0_10empty_typeEbEEZZNS1_14partition_implILS8_3ELb0ES6_jNS0_17counting_iteratorIjlEEPS9_SE_NS0_5tupleIJPjSE_EEENSF_IJSE_SE_EEES9_SG_JZNS1_25segmented_radix_sort_implINS0_14default_configELb0EPKlPlSM_SN_N2at6native12_GLOBAL__N_18offset_tEEE10hipError_tPvRmT1_PNSt15iterator_traitsISV_E10value_typeET2_T3_PNSW_IS11_E10value_typeET4_jRbjT5_S17_jjP12ihipStream_tbEUljE_EEESS_ST_SU_S11_S15_S17_T6_T7_T9_mT8_S19_bDpT10_ENKUlT_T0_E_clISt17integral_constantIbLb1EES1M_EEDaS1H_S1I_EUlS1H_E_NS1_11comp_targetILNS1_3genE4ELNS1_11target_archE910ELNS1_3gpuE8ELNS1_3repE0EEENS1_30default_config_static_selectorELNS0_4arch9wavefront6targetE0EEEvSV_, .Lfunc_end779-_ZN7rocprim17ROCPRIM_400000_NS6detail17trampoline_kernelINS0_13select_configILj256ELj13ELNS0_17block_load_methodE3ELS4_3ELS4_3ELNS0_20block_scan_algorithmE0ELj4294967295EEENS1_25partition_config_selectorILNS1_17partition_subalgoE3EjNS0_10empty_typeEbEEZZNS1_14partition_implILS8_3ELb0ES6_jNS0_17counting_iteratorIjlEEPS9_SE_NS0_5tupleIJPjSE_EEENSF_IJSE_SE_EEES9_SG_JZNS1_25segmented_radix_sort_implINS0_14default_configELb0EPKlPlSM_SN_N2at6native12_GLOBAL__N_18offset_tEEE10hipError_tPvRmT1_PNSt15iterator_traitsISV_E10value_typeET2_T3_PNSW_IS11_E10value_typeET4_jRbjT5_S17_jjP12ihipStream_tbEUljE_EEESS_ST_SU_S11_S15_S17_T6_T7_T9_mT8_S19_bDpT10_ENKUlT_T0_E_clISt17integral_constantIbLb1EES1M_EEDaS1H_S1I_EUlS1H_E_NS1_11comp_targetILNS1_3genE4ELNS1_11target_archE910ELNS1_3gpuE8ELNS1_3repE0EEENS1_30default_config_static_selectorELNS0_4arch9wavefront6targetE0EEEvSV_
                                        ; -- End function
	.set _ZN7rocprim17ROCPRIM_400000_NS6detail17trampoline_kernelINS0_13select_configILj256ELj13ELNS0_17block_load_methodE3ELS4_3ELS4_3ELNS0_20block_scan_algorithmE0ELj4294967295EEENS1_25partition_config_selectorILNS1_17partition_subalgoE3EjNS0_10empty_typeEbEEZZNS1_14partition_implILS8_3ELb0ES6_jNS0_17counting_iteratorIjlEEPS9_SE_NS0_5tupleIJPjSE_EEENSF_IJSE_SE_EEES9_SG_JZNS1_25segmented_radix_sort_implINS0_14default_configELb0EPKlPlSM_SN_N2at6native12_GLOBAL__N_18offset_tEEE10hipError_tPvRmT1_PNSt15iterator_traitsISV_E10value_typeET2_T3_PNSW_IS11_E10value_typeET4_jRbjT5_S17_jjP12ihipStream_tbEUljE_EEESS_ST_SU_S11_S15_S17_T6_T7_T9_mT8_S19_bDpT10_ENKUlT_T0_E_clISt17integral_constantIbLb1EES1M_EEDaS1H_S1I_EUlS1H_E_NS1_11comp_targetILNS1_3genE4ELNS1_11target_archE910ELNS1_3gpuE8ELNS1_3repE0EEENS1_30default_config_static_selectorELNS0_4arch9wavefront6targetE0EEEvSV_.num_vgpr, 0
	.set _ZN7rocprim17ROCPRIM_400000_NS6detail17trampoline_kernelINS0_13select_configILj256ELj13ELNS0_17block_load_methodE3ELS4_3ELS4_3ELNS0_20block_scan_algorithmE0ELj4294967295EEENS1_25partition_config_selectorILNS1_17partition_subalgoE3EjNS0_10empty_typeEbEEZZNS1_14partition_implILS8_3ELb0ES6_jNS0_17counting_iteratorIjlEEPS9_SE_NS0_5tupleIJPjSE_EEENSF_IJSE_SE_EEES9_SG_JZNS1_25segmented_radix_sort_implINS0_14default_configELb0EPKlPlSM_SN_N2at6native12_GLOBAL__N_18offset_tEEE10hipError_tPvRmT1_PNSt15iterator_traitsISV_E10value_typeET2_T3_PNSW_IS11_E10value_typeET4_jRbjT5_S17_jjP12ihipStream_tbEUljE_EEESS_ST_SU_S11_S15_S17_T6_T7_T9_mT8_S19_bDpT10_ENKUlT_T0_E_clISt17integral_constantIbLb1EES1M_EEDaS1H_S1I_EUlS1H_E_NS1_11comp_targetILNS1_3genE4ELNS1_11target_archE910ELNS1_3gpuE8ELNS1_3repE0EEENS1_30default_config_static_selectorELNS0_4arch9wavefront6targetE0EEEvSV_.num_agpr, 0
	.set _ZN7rocprim17ROCPRIM_400000_NS6detail17trampoline_kernelINS0_13select_configILj256ELj13ELNS0_17block_load_methodE3ELS4_3ELS4_3ELNS0_20block_scan_algorithmE0ELj4294967295EEENS1_25partition_config_selectorILNS1_17partition_subalgoE3EjNS0_10empty_typeEbEEZZNS1_14partition_implILS8_3ELb0ES6_jNS0_17counting_iteratorIjlEEPS9_SE_NS0_5tupleIJPjSE_EEENSF_IJSE_SE_EEES9_SG_JZNS1_25segmented_radix_sort_implINS0_14default_configELb0EPKlPlSM_SN_N2at6native12_GLOBAL__N_18offset_tEEE10hipError_tPvRmT1_PNSt15iterator_traitsISV_E10value_typeET2_T3_PNSW_IS11_E10value_typeET4_jRbjT5_S17_jjP12ihipStream_tbEUljE_EEESS_ST_SU_S11_S15_S17_T6_T7_T9_mT8_S19_bDpT10_ENKUlT_T0_E_clISt17integral_constantIbLb1EES1M_EEDaS1H_S1I_EUlS1H_E_NS1_11comp_targetILNS1_3genE4ELNS1_11target_archE910ELNS1_3gpuE8ELNS1_3repE0EEENS1_30default_config_static_selectorELNS0_4arch9wavefront6targetE0EEEvSV_.numbered_sgpr, 0
	.set _ZN7rocprim17ROCPRIM_400000_NS6detail17trampoline_kernelINS0_13select_configILj256ELj13ELNS0_17block_load_methodE3ELS4_3ELS4_3ELNS0_20block_scan_algorithmE0ELj4294967295EEENS1_25partition_config_selectorILNS1_17partition_subalgoE3EjNS0_10empty_typeEbEEZZNS1_14partition_implILS8_3ELb0ES6_jNS0_17counting_iteratorIjlEEPS9_SE_NS0_5tupleIJPjSE_EEENSF_IJSE_SE_EEES9_SG_JZNS1_25segmented_radix_sort_implINS0_14default_configELb0EPKlPlSM_SN_N2at6native12_GLOBAL__N_18offset_tEEE10hipError_tPvRmT1_PNSt15iterator_traitsISV_E10value_typeET2_T3_PNSW_IS11_E10value_typeET4_jRbjT5_S17_jjP12ihipStream_tbEUljE_EEESS_ST_SU_S11_S15_S17_T6_T7_T9_mT8_S19_bDpT10_ENKUlT_T0_E_clISt17integral_constantIbLb1EES1M_EEDaS1H_S1I_EUlS1H_E_NS1_11comp_targetILNS1_3genE4ELNS1_11target_archE910ELNS1_3gpuE8ELNS1_3repE0EEENS1_30default_config_static_selectorELNS0_4arch9wavefront6targetE0EEEvSV_.num_named_barrier, 0
	.set _ZN7rocprim17ROCPRIM_400000_NS6detail17trampoline_kernelINS0_13select_configILj256ELj13ELNS0_17block_load_methodE3ELS4_3ELS4_3ELNS0_20block_scan_algorithmE0ELj4294967295EEENS1_25partition_config_selectorILNS1_17partition_subalgoE3EjNS0_10empty_typeEbEEZZNS1_14partition_implILS8_3ELb0ES6_jNS0_17counting_iteratorIjlEEPS9_SE_NS0_5tupleIJPjSE_EEENSF_IJSE_SE_EEES9_SG_JZNS1_25segmented_radix_sort_implINS0_14default_configELb0EPKlPlSM_SN_N2at6native12_GLOBAL__N_18offset_tEEE10hipError_tPvRmT1_PNSt15iterator_traitsISV_E10value_typeET2_T3_PNSW_IS11_E10value_typeET4_jRbjT5_S17_jjP12ihipStream_tbEUljE_EEESS_ST_SU_S11_S15_S17_T6_T7_T9_mT8_S19_bDpT10_ENKUlT_T0_E_clISt17integral_constantIbLb1EES1M_EEDaS1H_S1I_EUlS1H_E_NS1_11comp_targetILNS1_3genE4ELNS1_11target_archE910ELNS1_3gpuE8ELNS1_3repE0EEENS1_30default_config_static_selectorELNS0_4arch9wavefront6targetE0EEEvSV_.private_seg_size, 0
	.set _ZN7rocprim17ROCPRIM_400000_NS6detail17trampoline_kernelINS0_13select_configILj256ELj13ELNS0_17block_load_methodE3ELS4_3ELS4_3ELNS0_20block_scan_algorithmE0ELj4294967295EEENS1_25partition_config_selectorILNS1_17partition_subalgoE3EjNS0_10empty_typeEbEEZZNS1_14partition_implILS8_3ELb0ES6_jNS0_17counting_iteratorIjlEEPS9_SE_NS0_5tupleIJPjSE_EEENSF_IJSE_SE_EEES9_SG_JZNS1_25segmented_radix_sort_implINS0_14default_configELb0EPKlPlSM_SN_N2at6native12_GLOBAL__N_18offset_tEEE10hipError_tPvRmT1_PNSt15iterator_traitsISV_E10value_typeET2_T3_PNSW_IS11_E10value_typeET4_jRbjT5_S17_jjP12ihipStream_tbEUljE_EEESS_ST_SU_S11_S15_S17_T6_T7_T9_mT8_S19_bDpT10_ENKUlT_T0_E_clISt17integral_constantIbLb1EES1M_EEDaS1H_S1I_EUlS1H_E_NS1_11comp_targetILNS1_3genE4ELNS1_11target_archE910ELNS1_3gpuE8ELNS1_3repE0EEENS1_30default_config_static_selectorELNS0_4arch9wavefront6targetE0EEEvSV_.uses_vcc, 0
	.set _ZN7rocprim17ROCPRIM_400000_NS6detail17trampoline_kernelINS0_13select_configILj256ELj13ELNS0_17block_load_methodE3ELS4_3ELS4_3ELNS0_20block_scan_algorithmE0ELj4294967295EEENS1_25partition_config_selectorILNS1_17partition_subalgoE3EjNS0_10empty_typeEbEEZZNS1_14partition_implILS8_3ELb0ES6_jNS0_17counting_iteratorIjlEEPS9_SE_NS0_5tupleIJPjSE_EEENSF_IJSE_SE_EEES9_SG_JZNS1_25segmented_radix_sort_implINS0_14default_configELb0EPKlPlSM_SN_N2at6native12_GLOBAL__N_18offset_tEEE10hipError_tPvRmT1_PNSt15iterator_traitsISV_E10value_typeET2_T3_PNSW_IS11_E10value_typeET4_jRbjT5_S17_jjP12ihipStream_tbEUljE_EEESS_ST_SU_S11_S15_S17_T6_T7_T9_mT8_S19_bDpT10_ENKUlT_T0_E_clISt17integral_constantIbLb1EES1M_EEDaS1H_S1I_EUlS1H_E_NS1_11comp_targetILNS1_3genE4ELNS1_11target_archE910ELNS1_3gpuE8ELNS1_3repE0EEENS1_30default_config_static_selectorELNS0_4arch9wavefront6targetE0EEEvSV_.uses_flat_scratch, 0
	.set _ZN7rocprim17ROCPRIM_400000_NS6detail17trampoline_kernelINS0_13select_configILj256ELj13ELNS0_17block_load_methodE3ELS4_3ELS4_3ELNS0_20block_scan_algorithmE0ELj4294967295EEENS1_25partition_config_selectorILNS1_17partition_subalgoE3EjNS0_10empty_typeEbEEZZNS1_14partition_implILS8_3ELb0ES6_jNS0_17counting_iteratorIjlEEPS9_SE_NS0_5tupleIJPjSE_EEENSF_IJSE_SE_EEES9_SG_JZNS1_25segmented_radix_sort_implINS0_14default_configELb0EPKlPlSM_SN_N2at6native12_GLOBAL__N_18offset_tEEE10hipError_tPvRmT1_PNSt15iterator_traitsISV_E10value_typeET2_T3_PNSW_IS11_E10value_typeET4_jRbjT5_S17_jjP12ihipStream_tbEUljE_EEESS_ST_SU_S11_S15_S17_T6_T7_T9_mT8_S19_bDpT10_ENKUlT_T0_E_clISt17integral_constantIbLb1EES1M_EEDaS1H_S1I_EUlS1H_E_NS1_11comp_targetILNS1_3genE4ELNS1_11target_archE910ELNS1_3gpuE8ELNS1_3repE0EEENS1_30default_config_static_selectorELNS0_4arch9wavefront6targetE0EEEvSV_.has_dyn_sized_stack, 0
	.set _ZN7rocprim17ROCPRIM_400000_NS6detail17trampoline_kernelINS0_13select_configILj256ELj13ELNS0_17block_load_methodE3ELS4_3ELS4_3ELNS0_20block_scan_algorithmE0ELj4294967295EEENS1_25partition_config_selectorILNS1_17partition_subalgoE3EjNS0_10empty_typeEbEEZZNS1_14partition_implILS8_3ELb0ES6_jNS0_17counting_iteratorIjlEEPS9_SE_NS0_5tupleIJPjSE_EEENSF_IJSE_SE_EEES9_SG_JZNS1_25segmented_radix_sort_implINS0_14default_configELb0EPKlPlSM_SN_N2at6native12_GLOBAL__N_18offset_tEEE10hipError_tPvRmT1_PNSt15iterator_traitsISV_E10value_typeET2_T3_PNSW_IS11_E10value_typeET4_jRbjT5_S17_jjP12ihipStream_tbEUljE_EEESS_ST_SU_S11_S15_S17_T6_T7_T9_mT8_S19_bDpT10_ENKUlT_T0_E_clISt17integral_constantIbLb1EES1M_EEDaS1H_S1I_EUlS1H_E_NS1_11comp_targetILNS1_3genE4ELNS1_11target_archE910ELNS1_3gpuE8ELNS1_3repE0EEENS1_30default_config_static_selectorELNS0_4arch9wavefront6targetE0EEEvSV_.has_recursion, 0
	.set _ZN7rocprim17ROCPRIM_400000_NS6detail17trampoline_kernelINS0_13select_configILj256ELj13ELNS0_17block_load_methodE3ELS4_3ELS4_3ELNS0_20block_scan_algorithmE0ELj4294967295EEENS1_25partition_config_selectorILNS1_17partition_subalgoE3EjNS0_10empty_typeEbEEZZNS1_14partition_implILS8_3ELb0ES6_jNS0_17counting_iteratorIjlEEPS9_SE_NS0_5tupleIJPjSE_EEENSF_IJSE_SE_EEES9_SG_JZNS1_25segmented_radix_sort_implINS0_14default_configELb0EPKlPlSM_SN_N2at6native12_GLOBAL__N_18offset_tEEE10hipError_tPvRmT1_PNSt15iterator_traitsISV_E10value_typeET2_T3_PNSW_IS11_E10value_typeET4_jRbjT5_S17_jjP12ihipStream_tbEUljE_EEESS_ST_SU_S11_S15_S17_T6_T7_T9_mT8_S19_bDpT10_ENKUlT_T0_E_clISt17integral_constantIbLb1EES1M_EEDaS1H_S1I_EUlS1H_E_NS1_11comp_targetILNS1_3genE4ELNS1_11target_archE910ELNS1_3gpuE8ELNS1_3repE0EEENS1_30default_config_static_selectorELNS0_4arch9wavefront6targetE0EEEvSV_.has_indirect_call, 0
	.section	.AMDGPU.csdata,"",@progbits
; Kernel info:
; codeLenInByte = 0
; TotalNumSgprs: 0
; NumVgprs: 0
; ScratchSize: 0
; MemoryBound: 0
; FloatMode: 240
; IeeeMode: 1
; LDSByteSize: 0 bytes/workgroup (compile time only)
; SGPRBlocks: 0
; VGPRBlocks: 0
; NumSGPRsForWavesPerEU: 1
; NumVGPRsForWavesPerEU: 1
; Occupancy: 16
; WaveLimiterHint : 0
; COMPUTE_PGM_RSRC2:SCRATCH_EN: 0
; COMPUTE_PGM_RSRC2:USER_SGPR: 6
; COMPUTE_PGM_RSRC2:TRAP_HANDLER: 0
; COMPUTE_PGM_RSRC2:TGID_X_EN: 1
; COMPUTE_PGM_RSRC2:TGID_Y_EN: 0
; COMPUTE_PGM_RSRC2:TGID_Z_EN: 0
; COMPUTE_PGM_RSRC2:TIDIG_COMP_CNT: 0
	.section	.text._ZN7rocprim17ROCPRIM_400000_NS6detail17trampoline_kernelINS0_13select_configILj256ELj13ELNS0_17block_load_methodE3ELS4_3ELS4_3ELNS0_20block_scan_algorithmE0ELj4294967295EEENS1_25partition_config_selectorILNS1_17partition_subalgoE3EjNS0_10empty_typeEbEEZZNS1_14partition_implILS8_3ELb0ES6_jNS0_17counting_iteratorIjlEEPS9_SE_NS0_5tupleIJPjSE_EEENSF_IJSE_SE_EEES9_SG_JZNS1_25segmented_radix_sort_implINS0_14default_configELb0EPKlPlSM_SN_N2at6native12_GLOBAL__N_18offset_tEEE10hipError_tPvRmT1_PNSt15iterator_traitsISV_E10value_typeET2_T3_PNSW_IS11_E10value_typeET4_jRbjT5_S17_jjP12ihipStream_tbEUljE_EEESS_ST_SU_S11_S15_S17_T6_T7_T9_mT8_S19_bDpT10_ENKUlT_T0_E_clISt17integral_constantIbLb1EES1M_EEDaS1H_S1I_EUlS1H_E_NS1_11comp_targetILNS1_3genE3ELNS1_11target_archE908ELNS1_3gpuE7ELNS1_3repE0EEENS1_30default_config_static_selectorELNS0_4arch9wavefront6targetE0EEEvSV_,"axG",@progbits,_ZN7rocprim17ROCPRIM_400000_NS6detail17trampoline_kernelINS0_13select_configILj256ELj13ELNS0_17block_load_methodE3ELS4_3ELS4_3ELNS0_20block_scan_algorithmE0ELj4294967295EEENS1_25partition_config_selectorILNS1_17partition_subalgoE3EjNS0_10empty_typeEbEEZZNS1_14partition_implILS8_3ELb0ES6_jNS0_17counting_iteratorIjlEEPS9_SE_NS0_5tupleIJPjSE_EEENSF_IJSE_SE_EEES9_SG_JZNS1_25segmented_radix_sort_implINS0_14default_configELb0EPKlPlSM_SN_N2at6native12_GLOBAL__N_18offset_tEEE10hipError_tPvRmT1_PNSt15iterator_traitsISV_E10value_typeET2_T3_PNSW_IS11_E10value_typeET4_jRbjT5_S17_jjP12ihipStream_tbEUljE_EEESS_ST_SU_S11_S15_S17_T6_T7_T9_mT8_S19_bDpT10_ENKUlT_T0_E_clISt17integral_constantIbLb1EES1M_EEDaS1H_S1I_EUlS1H_E_NS1_11comp_targetILNS1_3genE3ELNS1_11target_archE908ELNS1_3gpuE7ELNS1_3repE0EEENS1_30default_config_static_selectorELNS0_4arch9wavefront6targetE0EEEvSV_,comdat
	.globl	_ZN7rocprim17ROCPRIM_400000_NS6detail17trampoline_kernelINS0_13select_configILj256ELj13ELNS0_17block_load_methodE3ELS4_3ELS4_3ELNS0_20block_scan_algorithmE0ELj4294967295EEENS1_25partition_config_selectorILNS1_17partition_subalgoE3EjNS0_10empty_typeEbEEZZNS1_14partition_implILS8_3ELb0ES6_jNS0_17counting_iteratorIjlEEPS9_SE_NS0_5tupleIJPjSE_EEENSF_IJSE_SE_EEES9_SG_JZNS1_25segmented_radix_sort_implINS0_14default_configELb0EPKlPlSM_SN_N2at6native12_GLOBAL__N_18offset_tEEE10hipError_tPvRmT1_PNSt15iterator_traitsISV_E10value_typeET2_T3_PNSW_IS11_E10value_typeET4_jRbjT5_S17_jjP12ihipStream_tbEUljE_EEESS_ST_SU_S11_S15_S17_T6_T7_T9_mT8_S19_bDpT10_ENKUlT_T0_E_clISt17integral_constantIbLb1EES1M_EEDaS1H_S1I_EUlS1H_E_NS1_11comp_targetILNS1_3genE3ELNS1_11target_archE908ELNS1_3gpuE7ELNS1_3repE0EEENS1_30default_config_static_selectorELNS0_4arch9wavefront6targetE0EEEvSV_ ; -- Begin function _ZN7rocprim17ROCPRIM_400000_NS6detail17trampoline_kernelINS0_13select_configILj256ELj13ELNS0_17block_load_methodE3ELS4_3ELS4_3ELNS0_20block_scan_algorithmE0ELj4294967295EEENS1_25partition_config_selectorILNS1_17partition_subalgoE3EjNS0_10empty_typeEbEEZZNS1_14partition_implILS8_3ELb0ES6_jNS0_17counting_iteratorIjlEEPS9_SE_NS0_5tupleIJPjSE_EEENSF_IJSE_SE_EEES9_SG_JZNS1_25segmented_radix_sort_implINS0_14default_configELb0EPKlPlSM_SN_N2at6native12_GLOBAL__N_18offset_tEEE10hipError_tPvRmT1_PNSt15iterator_traitsISV_E10value_typeET2_T3_PNSW_IS11_E10value_typeET4_jRbjT5_S17_jjP12ihipStream_tbEUljE_EEESS_ST_SU_S11_S15_S17_T6_T7_T9_mT8_S19_bDpT10_ENKUlT_T0_E_clISt17integral_constantIbLb1EES1M_EEDaS1H_S1I_EUlS1H_E_NS1_11comp_targetILNS1_3genE3ELNS1_11target_archE908ELNS1_3gpuE7ELNS1_3repE0EEENS1_30default_config_static_selectorELNS0_4arch9wavefront6targetE0EEEvSV_
	.p2align	8
	.type	_ZN7rocprim17ROCPRIM_400000_NS6detail17trampoline_kernelINS0_13select_configILj256ELj13ELNS0_17block_load_methodE3ELS4_3ELS4_3ELNS0_20block_scan_algorithmE0ELj4294967295EEENS1_25partition_config_selectorILNS1_17partition_subalgoE3EjNS0_10empty_typeEbEEZZNS1_14partition_implILS8_3ELb0ES6_jNS0_17counting_iteratorIjlEEPS9_SE_NS0_5tupleIJPjSE_EEENSF_IJSE_SE_EEES9_SG_JZNS1_25segmented_radix_sort_implINS0_14default_configELb0EPKlPlSM_SN_N2at6native12_GLOBAL__N_18offset_tEEE10hipError_tPvRmT1_PNSt15iterator_traitsISV_E10value_typeET2_T3_PNSW_IS11_E10value_typeET4_jRbjT5_S17_jjP12ihipStream_tbEUljE_EEESS_ST_SU_S11_S15_S17_T6_T7_T9_mT8_S19_bDpT10_ENKUlT_T0_E_clISt17integral_constantIbLb1EES1M_EEDaS1H_S1I_EUlS1H_E_NS1_11comp_targetILNS1_3genE3ELNS1_11target_archE908ELNS1_3gpuE7ELNS1_3repE0EEENS1_30default_config_static_selectorELNS0_4arch9wavefront6targetE0EEEvSV_,@function
_ZN7rocprim17ROCPRIM_400000_NS6detail17trampoline_kernelINS0_13select_configILj256ELj13ELNS0_17block_load_methodE3ELS4_3ELS4_3ELNS0_20block_scan_algorithmE0ELj4294967295EEENS1_25partition_config_selectorILNS1_17partition_subalgoE3EjNS0_10empty_typeEbEEZZNS1_14partition_implILS8_3ELb0ES6_jNS0_17counting_iteratorIjlEEPS9_SE_NS0_5tupleIJPjSE_EEENSF_IJSE_SE_EEES9_SG_JZNS1_25segmented_radix_sort_implINS0_14default_configELb0EPKlPlSM_SN_N2at6native12_GLOBAL__N_18offset_tEEE10hipError_tPvRmT1_PNSt15iterator_traitsISV_E10value_typeET2_T3_PNSW_IS11_E10value_typeET4_jRbjT5_S17_jjP12ihipStream_tbEUljE_EEESS_ST_SU_S11_S15_S17_T6_T7_T9_mT8_S19_bDpT10_ENKUlT_T0_E_clISt17integral_constantIbLb1EES1M_EEDaS1H_S1I_EUlS1H_E_NS1_11comp_targetILNS1_3genE3ELNS1_11target_archE908ELNS1_3gpuE7ELNS1_3repE0EEENS1_30default_config_static_selectorELNS0_4arch9wavefront6targetE0EEEvSV_: ; @_ZN7rocprim17ROCPRIM_400000_NS6detail17trampoline_kernelINS0_13select_configILj256ELj13ELNS0_17block_load_methodE3ELS4_3ELS4_3ELNS0_20block_scan_algorithmE0ELj4294967295EEENS1_25partition_config_selectorILNS1_17partition_subalgoE3EjNS0_10empty_typeEbEEZZNS1_14partition_implILS8_3ELb0ES6_jNS0_17counting_iteratorIjlEEPS9_SE_NS0_5tupleIJPjSE_EEENSF_IJSE_SE_EEES9_SG_JZNS1_25segmented_radix_sort_implINS0_14default_configELb0EPKlPlSM_SN_N2at6native12_GLOBAL__N_18offset_tEEE10hipError_tPvRmT1_PNSt15iterator_traitsISV_E10value_typeET2_T3_PNSW_IS11_E10value_typeET4_jRbjT5_S17_jjP12ihipStream_tbEUljE_EEESS_ST_SU_S11_S15_S17_T6_T7_T9_mT8_S19_bDpT10_ENKUlT_T0_E_clISt17integral_constantIbLb1EES1M_EEDaS1H_S1I_EUlS1H_E_NS1_11comp_targetILNS1_3genE3ELNS1_11target_archE908ELNS1_3gpuE7ELNS1_3repE0EEENS1_30default_config_static_selectorELNS0_4arch9wavefront6targetE0EEEvSV_
; %bb.0:
	.section	.rodata,"a",@progbits
	.p2align	6, 0x0
	.amdhsa_kernel _ZN7rocprim17ROCPRIM_400000_NS6detail17trampoline_kernelINS0_13select_configILj256ELj13ELNS0_17block_load_methodE3ELS4_3ELS4_3ELNS0_20block_scan_algorithmE0ELj4294967295EEENS1_25partition_config_selectorILNS1_17partition_subalgoE3EjNS0_10empty_typeEbEEZZNS1_14partition_implILS8_3ELb0ES6_jNS0_17counting_iteratorIjlEEPS9_SE_NS0_5tupleIJPjSE_EEENSF_IJSE_SE_EEES9_SG_JZNS1_25segmented_radix_sort_implINS0_14default_configELb0EPKlPlSM_SN_N2at6native12_GLOBAL__N_18offset_tEEE10hipError_tPvRmT1_PNSt15iterator_traitsISV_E10value_typeET2_T3_PNSW_IS11_E10value_typeET4_jRbjT5_S17_jjP12ihipStream_tbEUljE_EEESS_ST_SU_S11_S15_S17_T6_T7_T9_mT8_S19_bDpT10_ENKUlT_T0_E_clISt17integral_constantIbLb1EES1M_EEDaS1H_S1I_EUlS1H_E_NS1_11comp_targetILNS1_3genE3ELNS1_11target_archE908ELNS1_3gpuE7ELNS1_3repE0EEENS1_30default_config_static_selectorELNS0_4arch9wavefront6targetE0EEEvSV_
		.amdhsa_group_segment_fixed_size 0
		.amdhsa_private_segment_fixed_size 0
		.amdhsa_kernarg_size 152
		.amdhsa_user_sgpr_count 6
		.amdhsa_user_sgpr_private_segment_buffer 1
		.amdhsa_user_sgpr_dispatch_ptr 0
		.amdhsa_user_sgpr_queue_ptr 0
		.amdhsa_user_sgpr_kernarg_segment_ptr 1
		.amdhsa_user_sgpr_dispatch_id 0
		.amdhsa_user_sgpr_flat_scratch_init 0
		.amdhsa_user_sgpr_private_segment_size 0
		.amdhsa_wavefront_size32 1
		.amdhsa_uses_dynamic_stack 0
		.amdhsa_system_sgpr_private_segment_wavefront_offset 0
		.amdhsa_system_sgpr_workgroup_id_x 1
		.amdhsa_system_sgpr_workgroup_id_y 0
		.amdhsa_system_sgpr_workgroup_id_z 0
		.amdhsa_system_sgpr_workgroup_info 0
		.amdhsa_system_vgpr_workitem_id 0
		.amdhsa_next_free_vgpr 1
		.amdhsa_next_free_sgpr 1
		.amdhsa_reserve_vcc 0
		.amdhsa_reserve_flat_scratch 0
		.amdhsa_float_round_mode_32 0
		.amdhsa_float_round_mode_16_64 0
		.amdhsa_float_denorm_mode_32 3
		.amdhsa_float_denorm_mode_16_64 3
		.amdhsa_dx10_clamp 1
		.amdhsa_ieee_mode 1
		.amdhsa_fp16_overflow 0
		.amdhsa_workgroup_processor_mode 1
		.amdhsa_memory_ordered 1
		.amdhsa_forward_progress 1
		.amdhsa_shared_vgpr_count 0
		.amdhsa_exception_fp_ieee_invalid_op 0
		.amdhsa_exception_fp_denorm_src 0
		.amdhsa_exception_fp_ieee_div_zero 0
		.amdhsa_exception_fp_ieee_overflow 0
		.amdhsa_exception_fp_ieee_underflow 0
		.amdhsa_exception_fp_ieee_inexact 0
		.amdhsa_exception_int_div_zero 0
	.end_amdhsa_kernel
	.section	.text._ZN7rocprim17ROCPRIM_400000_NS6detail17trampoline_kernelINS0_13select_configILj256ELj13ELNS0_17block_load_methodE3ELS4_3ELS4_3ELNS0_20block_scan_algorithmE0ELj4294967295EEENS1_25partition_config_selectorILNS1_17partition_subalgoE3EjNS0_10empty_typeEbEEZZNS1_14partition_implILS8_3ELb0ES6_jNS0_17counting_iteratorIjlEEPS9_SE_NS0_5tupleIJPjSE_EEENSF_IJSE_SE_EEES9_SG_JZNS1_25segmented_radix_sort_implINS0_14default_configELb0EPKlPlSM_SN_N2at6native12_GLOBAL__N_18offset_tEEE10hipError_tPvRmT1_PNSt15iterator_traitsISV_E10value_typeET2_T3_PNSW_IS11_E10value_typeET4_jRbjT5_S17_jjP12ihipStream_tbEUljE_EEESS_ST_SU_S11_S15_S17_T6_T7_T9_mT8_S19_bDpT10_ENKUlT_T0_E_clISt17integral_constantIbLb1EES1M_EEDaS1H_S1I_EUlS1H_E_NS1_11comp_targetILNS1_3genE3ELNS1_11target_archE908ELNS1_3gpuE7ELNS1_3repE0EEENS1_30default_config_static_selectorELNS0_4arch9wavefront6targetE0EEEvSV_,"axG",@progbits,_ZN7rocprim17ROCPRIM_400000_NS6detail17trampoline_kernelINS0_13select_configILj256ELj13ELNS0_17block_load_methodE3ELS4_3ELS4_3ELNS0_20block_scan_algorithmE0ELj4294967295EEENS1_25partition_config_selectorILNS1_17partition_subalgoE3EjNS0_10empty_typeEbEEZZNS1_14partition_implILS8_3ELb0ES6_jNS0_17counting_iteratorIjlEEPS9_SE_NS0_5tupleIJPjSE_EEENSF_IJSE_SE_EEES9_SG_JZNS1_25segmented_radix_sort_implINS0_14default_configELb0EPKlPlSM_SN_N2at6native12_GLOBAL__N_18offset_tEEE10hipError_tPvRmT1_PNSt15iterator_traitsISV_E10value_typeET2_T3_PNSW_IS11_E10value_typeET4_jRbjT5_S17_jjP12ihipStream_tbEUljE_EEESS_ST_SU_S11_S15_S17_T6_T7_T9_mT8_S19_bDpT10_ENKUlT_T0_E_clISt17integral_constantIbLb1EES1M_EEDaS1H_S1I_EUlS1H_E_NS1_11comp_targetILNS1_3genE3ELNS1_11target_archE908ELNS1_3gpuE7ELNS1_3repE0EEENS1_30default_config_static_selectorELNS0_4arch9wavefront6targetE0EEEvSV_,comdat
.Lfunc_end780:
	.size	_ZN7rocprim17ROCPRIM_400000_NS6detail17trampoline_kernelINS0_13select_configILj256ELj13ELNS0_17block_load_methodE3ELS4_3ELS4_3ELNS0_20block_scan_algorithmE0ELj4294967295EEENS1_25partition_config_selectorILNS1_17partition_subalgoE3EjNS0_10empty_typeEbEEZZNS1_14partition_implILS8_3ELb0ES6_jNS0_17counting_iteratorIjlEEPS9_SE_NS0_5tupleIJPjSE_EEENSF_IJSE_SE_EEES9_SG_JZNS1_25segmented_radix_sort_implINS0_14default_configELb0EPKlPlSM_SN_N2at6native12_GLOBAL__N_18offset_tEEE10hipError_tPvRmT1_PNSt15iterator_traitsISV_E10value_typeET2_T3_PNSW_IS11_E10value_typeET4_jRbjT5_S17_jjP12ihipStream_tbEUljE_EEESS_ST_SU_S11_S15_S17_T6_T7_T9_mT8_S19_bDpT10_ENKUlT_T0_E_clISt17integral_constantIbLb1EES1M_EEDaS1H_S1I_EUlS1H_E_NS1_11comp_targetILNS1_3genE3ELNS1_11target_archE908ELNS1_3gpuE7ELNS1_3repE0EEENS1_30default_config_static_selectorELNS0_4arch9wavefront6targetE0EEEvSV_, .Lfunc_end780-_ZN7rocprim17ROCPRIM_400000_NS6detail17trampoline_kernelINS0_13select_configILj256ELj13ELNS0_17block_load_methodE3ELS4_3ELS4_3ELNS0_20block_scan_algorithmE0ELj4294967295EEENS1_25partition_config_selectorILNS1_17partition_subalgoE3EjNS0_10empty_typeEbEEZZNS1_14partition_implILS8_3ELb0ES6_jNS0_17counting_iteratorIjlEEPS9_SE_NS0_5tupleIJPjSE_EEENSF_IJSE_SE_EEES9_SG_JZNS1_25segmented_radix_sort_implINS0_14default_configELb0EPKlPlSM_SN_N2at6native12_GLOBAL__N_18offset_tEEE10hipError_tPvRmT1_PNSt15iterator_traitsISV_E10value_typeET2_T3_PNSW_IS11_E10value_typeET4_jRbjT5_S17_jjP12ihipStream_tbEUljE_EEESS_ST_SU_S11_S15_S17_T6_T7_T9_mT8_S19_bDpT10_ENKUlT_T0_E_clISt17integral_constantIbLb1EES1M_EEDaS1H_S1I_EUlS1H_E_NS1_11comp_targetILNS1_3genE3ELNS1_11target_archE908ELNS1_3gpuE7ELNS1_3repE0EEENS1_30default_config_static_selectorELNS0_4arch9wavefront6targetE0EEEvSV_
                                        ; -- End function
	.set _ZN7rocprim17ROCPRIM_400000_NS6detail17trampoline_kernelINS0_13select_configILj256ELj13ELNS0_17block_load_methodE3ELS4_3ELS4_3ELNS0_20block_scan_algorithmE0ELj4294967295EEENS1_25partition_config_selectorILNS1_17partition_subalgoE3EjNS0_10empty_typeEbEEZZNS1_14partition_implILS8_3ELb0ES6_jNS0_17counting_iteratorIjlEEPS9_SE_NS0_5tupleIJPjSE_EEENSF_IJSE_SE_EEES9_SG_JZNS1_25segmented_radix_sort_implINS0_14default_configELb0EPKlPlSM_SN_N2at6native12_GLOBAL__N_18offset_tEEE10hipError_tPvRmT1_PNSt15iterator_traitsISV_E10value_typeET2_T3_PNSW_IS11_E10value_typeET4_jRbjT5_S17_jjP12ihipStream_tbEUljE_EEESS_ST_SU_S11_S15_S17_T6_T7_T9_mT8_S19_bDpT10_ENKUlT_T0_E_clISt17integral_constantIbLb1EES1M_EEDaS1H_S1I_EUlS1H_E_NS1_11comp_targetILNS1_3genE3ELNS1_11target_archE908ELNS1_3gpuE7ELNS1_3repE0EEENS1_30default_config_static_selectorELNS0_4arch9wavefront6targetE0EEEvSV_.num_vgpr, 0
	.set _ZN7rocprim17ROCPRIM_400000_NS6detail17trampoline_kernelINS0_13select_configILj256ELj13ELNS0_17block_load_methodE3ELS4_3ELS4_3ELNS0_20block_scan_algorithmE0ELj4294967295EEENS1_25partition_config_selectorILNS1_17partition_subalgoE3EjNS0_10empty_typeEbEEZZNS1_14partition_implILS8_3ELb0ES6_jNS0_17counting_iteratorIjlEEPS9_SE_NS0_5tupleIJPjSE_EEENSF_IJSE_SE_EEES9_SG_JZNS1_25segmented_radix_sort_implINS0_14default_configELb0EPKlPlSM_SN_N2at6native12_GLOBAL__N_18offset_tEEE10hipError_tPvRmT1_PNSt15iterator_traitsISV_E10value_typeET2_T3_PNSW_IS11_E10value_typeET4_jRbjT5_S17_jjP12ihipStream_tbEUljE_EEESS_ST_SU_S11_S15_S17_T6_T7_T9_mT8_S19_bDpT10_ENKUlT_T0_E_clISt17integral_constantIbLb1EES1M_EEDaS1H_S1I_EUlS1H_E_NS1_11comp_targetILNS1_3genE3ELNS1_11target_archE908ELNS1_3gpuE7ELNS1_3repE0EEENS1_30default_config_static_selectorELNS0_4arch9wavefront6targetE0EEEvSV_.num_agpr, 0
	.set _ZN7rocprim17ROCPRIM_400000_NS6detail17trampoline_kernelINS0_13select_configILj256ELj13ELNS0_17block_load_methodE3ELS4_3ELS4_3ELNS0_20block_scan_algorithmE0ELj4294967295EEENS1_25partition_config_selectorILNS1_17partition_subalgoE3EjNS0_10empty_typeEbEEZZNS1_14partition_implILS8_3ELb0ES6_jNS0_17counting_iteratorIjlEEPS9_SE_NS0_5tupleIJPjSE_EEENSF_IJSE_SE_EEES9_SG_JZNS1_25segmented_radix_sort_implINS0_14default_configELb0EPKlPlSM_SN_N2at6native12_GLOBAL__N_18offset_tEEE10hipError_tPvRmT1_PNSt15iterator_traitsISV_E10value_typeET2_T3_PNSW_IS11_E10value_typeET4_jRbjT5_S17_jjP12ihipStream_tbEUljE_EEESS_ST_SU_S11_S15_S17_T6_T7_T9_mT8_S19_bDpT10_ENKUlT_T0_E_clISt17integral_constantIbLb1EES1M_EEDaS1H_S1I_EUlS1H_E_NS1_11comp_targetILNS1_3genE3ELNS1_11target_archE908ELNS1_3gpuE7ELNS1_3repE0EEENS1_30default_config_static_selectorELNS0_4arch9wavefront6targetE0EEEvSV_.numbered_sgpr, 0
	.set _ZN7rocprim17ROCPRIM_400000_NS6detail17trampoline_kernelINS0_13select_configILj256ELj13ELNS0_17block_load_methodE3ELS4_3ELS4_3ELNS0_20block_scan_algorithmE0ELj4294967295EEENS1_25partition_config_selectorILNS1_17partition_subalgoE3EjNS0_10empty_typeEbEEZZNS1_14partition_implILS8_3ELb0ES6_jNS0_17counting_iteratorIjlEEPS9_SE_NS0_5tupleIJPjSE_EEENSF_IJSE_SE_EEES9_SG_JZNS1_25segmented_radix_sort_implINS0_14default_configELb0EPKlPlSM_SN_N2at6native12_GLOBAL__N_18offset_tEEE10hipError_tPvRmT1_PNSt15iterator_traitsISV_E10value_typeET2_T3_PNSW_IS11_E10value_typeET4_jRbjT5_S17_jjP12ihipStream_tbEUljE_EEESS_ST_SU_S11_S15_S17_T6_T7_T9_mT8_S19_bDpT10_ENKUlT_T0_E_clISt17integral_constantIbLb1EES1M_EEDaS1H_S1I_EUlS1H_E_NS1_11comp_targetILNS1_3genE3ELNS1_11target_archE908ELNS1_3gpuE7ELNS1_3repE0EEENS1_30default_config_static_selectorELNS0_4arch9wavefront6targetE0EEEvSV_.num_named_barrier, 0
	.set _ZN7rocprim17ROCPRIM_400000_NS6detail17trampoline_kernelINS0_13select_configILj256ELj13ELNS0_17block_load_methodE3ELS4_3ELS4_3ELNS0_20block_scan_algorithmE0ELj4294967295EEENS1_25partition_config_selectorILNS1_17partition_subalgoE3EjNS0_10empty_typeEbEEZZNS1_14partition_implILS8_3ELb0ES6_jNS0_17counting_iteratorIjlEEPS9_SE_NS0_5tupleIJPjSE_EEENSF_IJSE_SE_EEES9_SG_JZNS1_25segmented_radix_sort_implINS0_14default_configELb0EPKlPlSM_SN_N2at6native12_GLOBAL__N_18offset_tEEE10hipError_tPvRmT1_PNSt15iterator_traitsISV_E10value_typeET2_T3_PNSW_IS11_E10value_typeET4_jRbjT5_S17_jjP12ihipStream_tbEUljE_EEESS_ST_SU_S11_S15_S17_T6_T7_T9_mT8_S19_bDpT10_ENKUlT_T0_E_clISt17integral_constantIbLb1EES1M_EEDaS1H_S1I_EUlS1H_E_NS1_11comp_targetILNS1_3genE3ELNS1_11target_archE908ELNS1_3gpuE7ELNS1_3repE0EEENS1_30default_config_static_selectorELNS0_4arch9wavefront6targetE0EEEvSV_.private_seg_size, 0
	.set _ZN7rocprim17ROCPRIM_400000_NS6detail17trampoline_kernelINS0_13select_configILj256ELj13ELNS0_17block_load_methodE3ELS4_3ELS4_3ELNS0_20block_scan_algorithmE0ELj4294967295EEENS1_25partition_config_selectorILNS1_17partition_subalgoE3EjNS0_10empty_typeEbEEZZNS1_14partition_implILS8_3ELb0ES6_jNS0_17counting_iteratorIjlEEPS9_SE_NS0_5tupleIJPjSE_EEENSF_IJSE_SE_EEES9_SG_JZNS1_25segmented_radix_sort_implINS0_14default_configELb0EPKlPlSM_SN_N2at6native12_GLOBAL__N_18offset_tEEE10hipError_tPvRmT1_PNSt15iterator_traitsISV_E10value_typeET2_T3_PNSW_IS11_E10value_typeET4_jRbjT5_S17_jjP12ihipStream_tbEUljE_EEESS_ST_SU_S11_S15_S17_T6_T7_T9_mT8_S19_bDpT10_ENKUlT_T0_E_clISt17integral_constantIbLb1EES1M_EEDaS1H_S1I_EUlS1H_E_NS1_11comp_targetILNS1_3genE3ELNS1_11target_archE908ELNS1_3gpuE7ELNS1_3repE0EEENS1_30default_config_static_selectorELNS0_4arch9wavefront6targetE0EEEvSV_.uses_vcc, 0
	.set _ZN7rocprim17ROCPRIM_400000_NS6detail17trampoline_kernelINS0_13select_configILj256ELj13ELNS0_17block_load_methodE3ELS4_3ELS4_3ELNS0_20block_scan_algorithmE0ELj4294967295EEENS1_25partition_config_selectorILNS1_17partition_subalgoE3EjNS0_10empty_typeEbEEZZNS1_14partition_implILS8_3ELb0ES6_jNS0_17counting_iteratorIjlEEPS9_SE_NS0_5tupleIJPjSE_EEENSF_IJSE_SE_EEES9_SG_JZNS1_25segmented_radix_sort_implINS0_14default_configELb0EPKlPlSM_SN_N2at6native12_GLOBAL__N_18offset_tEEE10hipError_tPvRmT1_PNSt15iterator_traitsISV_E10value_typeET2_T3_PNSW_IS11_E10value_typeET4_jRbjT5_S17_jjP12ihipStream_tbEUljE_EEESS_ST_SU_S11_S15_S17_T6_T7_T9_mT8_S19_bDpT10_ENKUlT_T0_E_clISt17integral_constantIbLb1EES1M_EEDaS1H_S1I_EUlS1H_E_NS1_11comp_targetILNS1_3genE3ELNS1_11target_archE908ELNS1_3gpuE7ELNS1_3repE0EEENS1_30default_config_static_selectorELNS0_4arch9wavefront6targetE0EEEvSV_.uses_flat_scratch, 0
	.set _ZN7rocprim17ROCPRIM_400000_NS6detail17trampoline_kernelINS0_13select_configILj256ELj13ELNS0_17block_load_methodE3ELS4_3ELS4_3ELNS0_20block_scan_algorithmE0ELj4294967295EEENS1_25partition_config_selectorILNS1_17partition_subalgoE3EjNS0_10empty_typeEbEEZZNS1_14partition_implILS8_3ELb0ES6_jNS0_17counting_iteratorIjlEEPS9_SE_NS0_5tupleIJPjSE_EEENSF_IJSE_SE_EEES9_SG_JZNS1_25segmented_radix_sort_implINS0_14default_configELb0EPKlPlSM_SN_N2at6native12_GLOBAL__N_18offset_tEEE10hipError_tPvRmT1_PNSt15iterator_traitsISV_E10value_typeET2_T3_PNSW_IS11_E10value_typeET4_jRbjT5_S17_jjP12ihipStream_tbEUljE_EEESS_ST_SU_S11_S15_S17_T6_T7_T9_mT8_S19_bDpT10_ENKUlT_T0_E_clISt17integral_constantIbLb1EES1M_EEDaS1H_S1I_EUlS1H_E_NS1_11comp_targetILNS1_3genE3ELNS1_11target_archE908ELNS1_3gpuE7ELNS1_3repE0EEENS1_30default_config_static_selectorELNS0_4arch9wavefront6targetE0EEEvSV_.has_dyn_sized_stack, 0
	.set _ZN7rocprim17ROCPRIM_400000_NS6detail17trampoline_kernelINS0_13select_configILj256ELj13ELNS0_17block_load_methodE3ELS4_3ELS4_3ELNS0_20block_scan_algorithmE0ELj4294967295EEENS1_25partition_config_selectorILNS1_17partition_subalgoE3EjNS0_10empty_typeEbEEZZNS1_14partition_implILS8_3ELb0ES6_jNS0_17counting_iteratorIjlEEPS9_SE_NS0_5tupleIJPjSE_EEENSF_IJSE_SE_EEES9_SG_JZNS1_25segmented_radix_sort_implINS0_14default_configELb0EPKlPlSM_SN_N2at6native12_GLOBAL__N_18offset_tEEE10hipError_tPvRmT1_PNSt15iterator_traitsISV_E10value_typeET2_T3_PNSW_IS11_E10value_typeET4_jRbjT5_S17_jjP12ihipStream_tbEUljE_EEESS_ST_SU_S11_S15_S17_T6_T7_T9_mT8_S19_bDpT10_ENKUlT_T0_E_clISt17integral_constantIbLb1EES1M_EEDaS1H_S1I_EUlS1H_E_NS1_11comp_targetILNS1_3genE3ELNS1_11target_archE908ELNS1_3gpuE7ELNS1_3repE0EEENS1_30default_config_static_selectorELNS0_4arch9wavefront6targetE0EEEvSV_.has_recursion, 0
	.set _ZN7rocprim17ROCPRIM_400000_NS6detail17trampoline_kernelINS0_13select_configILj256ELj13ELNS0_17block_load_methodE3ELS4_3ELS4_3ELNS0_20block_scan_algorithmE0ELj4294967295EEENS1_25partition_config_selectorILNS1_17partition_subalgoE3EjNS0_10empty_typeEbEEZZNS1_14partition_implILS8_3ELb0ES6_jNS0_17counting_iteratorIjlEEPS9_SE_NS0_5tupleIJPjSE_EEENSF_IJSE_SE_EEES9_SG_JZNS1_25segmented_radix_sort_implINS0_14default_configELb0EPKlPlSM_SN_N2at6native12_GLOBAL__N_18offset_tEEE10hipError_tPvRmT1_PNSt15iterator_traitsISV_E10value_typeET2_T3_PNSW_IS11_E10value_typeET4_jRbjT5_S17_jjP12ihipStream_tbEUljE_EEESS_ST_SU_S11_S15_S17_T6_T7_T9_mT8_S19_bDpT10_ENKUlT_T0_E_clISt17integral_constantIbLb1EES1M_EEDaS1H_S1I_EUlS1H_E_NS1_11comp_targetILNS1_3genE3ELNS1_11target_archE908ELNS1_3gpuE7ELNS1_3repE0EEENS1_30default_config_static_selectorELNS0_4arch9wavefront6targetE0EEEvSV_.has_indirect_call, 0
	.section	.AMDGPU.csdata,"",@progbits
; Kernel info:
; codeLenInByte = 0
; TotalNumSgprs: 0
; NumVgprs: 0
; ScratchSize: 0
; MemoryBound: 0
; FloatMode: 240
; IeeeMode: 1
; LDSByteSize: 0 bytes/workgroup (compile time only)
; SGPRBlocks: 0
; VGPRBlocks: 0
; NumSGPRsForWavesPerEU: 1
; NumVGPRsForWavesPerEU: 1
; Occupancy: 16
; WaveLimiterHint : 0
; COMPUTE_PGM_RSRC2:SCRATCH_EN: 0
; COMPUTE_PGM_RSRC2:USER_SGPR: 6
; COMPUTE_PGM_RSRC2:TRAP_HANDLER: 0
; COMPUTE_PGM_RSRC2:TGID_X_EN: 1
; COMPUTE_PGM_RSRC2:TGID_Y_EN: 0
; COMPUTE_PGM_RSRC2:TGID_Z_EN: 0
; COMPUTE_PGM_RSRC2:TIDIG_COMP_CNT: 0
	.section	.text._ZN7rocprim17ROCPRIM_400000_NS6detail17trampoline_kernelINS0_13select_configILj256ELj13ELNS0_17block_load_methodE3ELS4_3ELS4_3ELNS0_20block_scan_algorithmE0ELj4294967295EEENS1_25partition_config_selectorILNS1_17partition_subalgoE3EjNS0_10empty_typeEbEEZZNS1_14partition_implILS8_3ELb0ES6_jNS0_17counting_iteratorIjlEEPS9_SE_NS0_5tupleIJPjSE_EEENSF_IJSE_SE_EEES9_SG_JZNS1_25segmented_radix_sort_implINS0_14default_configELb0EPKlPlSM_SN_N2at6native12_GLOBAL__N_18offset_tEEE10hipError_tPvRmT1_PNSt15iterator_traitsISV_E10value_typeET2_T3_PNSW_IS11_E10value_typeET4_jRbjT5_S17_jjP12ihipStream_tbEUljE_EEESS_ST_SU_S11_S15_S17_T6_T7_T9_mT8_S19_bDpT10_ENKUlT_T0_E_clISt17integral_constantIbLb1EES1M_EEDaS1H_S1I_EUlS1H_E_NS1_11comp_targetILNS1_3genE2ELNS1_11target_archE906ELNS1_3gpuE6ELNS1_3repE0EEENS1_30default_config_static_selectorELNS0_4arch9wavefront6targetE0EEEvSV_,"axG",@progbits,_ZN7rocprim17ROCPRIM_400000_NS6detail17trampoline_kernelINS0_13select_configILj256ELj13ELNS0_17block_load_methodE3ELS4_3ELS4_3ELNS0_20block_scan_algorithmE0ELj4294967295EEENS1_25partition_config_selectorILNS1_17partition_subalgoE3EjNS0_10empty_typeEbEEZZNS1_14partition_implILS8_3ELb0ES6_jNS0_17counting_iteratorIjlEEPS9_SE_NS0_5tupleIJPjSE_EEENSF_IJSE_SE_EEES9_SG_JZNS1_25segmented_radix_sort_implINS0_14default_configELb0EPKlPlSM_SN_N2at6native12_GLOBAL__N_18offset_tEEE10hipError_tPvRmT1_PNSt15iterator_traitsISV_E10value_typeET2_T3_PNSW_IS11_E10value_typeET4_jRbjT5_S17_jjP12ihipStream_tbEUljE_EEESS_ST_SU_S11_S15_S17_T6_T7_T9_mT8_S19_bDpT10_ENKUlT_T0_E_clISt17integral_constantIbLb1EES1M_EEDaS1H_S1I_EUlS1H_E_NS1_11comp_targetILNS1_3genE2ELNS1_11target_archE906ELNS1_3gpuE6ELNS1_3repE0EEENS1_30default_config_static_selectorELNS0_4arch9wavefront6targetE0EEEvSV_,comdat
	.globl	_ZN7rocprim17ROCPRIM_400000_NS6detail17trampoline_kernelINS0_13select_configILj256ELj13ELNS0_17block_load_methodE3ELS4_3ELS4_3ELNS0_20block_scan_algorithmE0ELj4294967295EEENS1_25partition_config_selectorILNS1_17partition_subalgoE3EjNS0_10empty_typeEbEEZZNS1_14partition_implILS8_3ELb0ES6_jNS0_17counting_iteratorIjlEEPS9_SE_NS0_5tupleIJPjSE_EEENSF_IJSE_SE_EEES9_SG_JZNS1_25segmented_radix_sort_implINS0_14default_configELb0EPKlPlSM_SN_N2at6native12_GLOBAL__N_18offset_tEEE10hipError_tPvRmT1_PNSt15iterator_traitsISV_E10value_typeET2_T3_PNSW_IS11_E10value_typeET4_jRbjT5_S17_jjP12ihipStream_tbEUljE_EEESS_ST_SU_S11_S15_S17_T6_T7_T9_mT8_S19_bDpT10_ENKUlT_T0_E_clISt17integral_constantIbLb1EES1M_EEDaS1H_S1I_EUlS1H_E_NS1_11comp_targetILNS1_3genE2ELNS1_11target_archE906ELNS1_3gpuE6ELNS1_3repE0EEENS1_30default_config_static_selectorELNS0_4arch9wavefront6targetE0EEEvSV_ ; -- Begin function _ZN7rocprim17ROCPRIM_400000_NS6detail17trampoline_kernelINS0_13select_configILj256ELj13ELNS0_17block_load_methodE3ELS4_3ELS4_3ELNS0_20block_scan_algorithmE0ELj4294967295EEENS1_25partition_config_selectorILNS1_17partition_subalgoE3EjNS0_10empty_typeEbEEZZNS1_14partition_implILS8_3ELb0ES6_jNS0_17counting_iteratorIjlEEPS9_SE_NS0_5tupleIJPjSE_EEENSF_IJSE_SE_EEES9_SG_JZNS1_25segmented_radix_sort_implINS0_14default_configELb0EPKlPlSM_SN_N2at6native12_GLOBAL__N_18offset_tEEE10hipError_tPvRmT1_PNSt15iterator_traitsISV_E10value_typeET2_T3_PNSW_IS11_E10value_typeET4_jRbjT5_S17_jjP12ihipStream_tbEUljE_EEESS_ST_SU_S11_S15_S17_T6_T7_T9_mT8_S19_bDpT10_ENKUlT_T0_E_clISt17integral_constantIbLb1EES1M_EEDaS1H_S1I_EUlS1H_E_NS1_11comp_targetILNS1_3genE2ELNS1_11target_archE906ELNS1_3gpuE6ELNS1_3repE0EEENS1_30default_config_static_selectorELNS0_4arch9wavefront6targetE0EEEvSV_
	.p2align	8
	.type	_ZN7rocprim17ROCPRIM_400000_NS6detail17trampoline_kernelINS0_13select_configILj256ELj13ELNS0_17block_load_methodE3ELS4_3ELS4_3ELNS0_20block_scan_algorithmE0ELj4294967295EEENS1_25partition_config_selectorILNS1_17partition_subalgoE3EjNS0_10empty_typeEbEEZZNS1_14partition_implILS8_3ELb0ES6_jNS0_17counting_iteratorIjlEEPS9_SE_NS0_5tupleIJPjSE_EEENSF_IJSE_SE_EEES9_SG_JZNS1_25segmented_radix_sort_implINS0_14default_configELb0EPKlPlSM_SN_N2at6native12_GLOBAL__N_18offset_tEEE10hipError_tPvRmT1_PNSt15iterator_traitsISV_E10value_typeET2_T3_PNSW_IS11_E10value_typeET4_jRbjT5_S17_jjP12ihipStream_tbEUljE_EEESS_ST_SU_S11_S15_S17_T6_T7_T9_mT8_S19_bDpT10_ENKUlT_T0_E_clISt17integral_constantIbLb1EES1M_EEDaS1H_S1I_EUlS1H_E_NS1_11comp_targetILNS1_3genE2ELNS1_11target_archE906ELNS1_3gpuE6ELNS1_3repE0EEENS1_30default_config_static_selectorELNS0_4arch9wavefront6targetE0EEEvSV_,@function
_ZN7rocprim17ROCPRIM_400000_NS6detail17trampoline_kernelINS0_13select_configILj256ELj13ELNS0_17block_load_methodE3ELS4_3ELS4_3ELNS0_20block_scan_algorithmE0ELj4294967295EEENS1_25partition_config_selectorILNS1_17partition_subalgoE3EjNS0_10empty_typeEbEEZZNS1_14partition_implILS8_3ELb0ES6_jNS0_17counting_iteratorIjlEEPS9_SE_NS0_5tupleIJPjSE_EEENSF_IJSE_SE_EEES9_SG_JZNS1_25segmented_radix_sort_implINS0_14default_configELb0EPKlPlSM_SN_N2at6native12_GLOBAL__N_18offset_tEEE10hipError_tPvRmT1_PNSt15iterator_traitsISV_E10value_typeET2_T3_PNSW_IS11_E10value_typeET4_jRbjT5_S17_jjP12ihipStream_tbEUljE_EEESS_ST_SU_S11_S15_S17_T6_T7_T9_mT8_S19_bDpT10_ENKUlT_T0_E_clISt17integral_constantIbLb1EES1M_EEDaS1H_S1I_EUlS1H_E_NS1_11comp_targetILNS1_3genE2ELNS1_11target_archE906ELNS1_3gpuE6ELNS1_3repE0EEENS1_30default_config_static_selectorELNS0_4arch9wavefront6targetE0EEEvSV_: ; @_ZN7rocprim17ROCPRIM_400000_NS6detail17trampoline_kernelINS0_13select_configILj256ELj13ELNS0_17block_load_methodE3ELS4_3ELS4_3ELNS0_20block_scan_algorithmE0ELj4294967295EEENS1_25partition_config_selectorILNS1_17partition_subalgoE3EjNS0_10empty_typeEbEEZZNS1_14partition_implILS8_3ELb0ES6_jNS0_17counting_iteratorIjlEEPS9_SE_NS0_5tupleIJPjSE_EEENSF_IJSE_SE_EEES9_SG_JZNS1_25segmented_radix_sort_implINS0_14default_configELb0EPKlPlSM_SN_N2at6native12_GLOBAL__N_18offset_tEEE10hipError_tPvRmT1_PNSt15iterator_traitsISV_E10value_typeET2_T3_PNSW_IS11_E10value_typeET4_jRbjT5_S17_jjP12ihipStream_tbEUljE_EEESS_ST_SU_S11_S15_S17_T6_T7_T9_mT8_S19_bDpT10_ENKUlT_T0_E_clISt17integral_constantIbLb1EES1M_EEDaS1H_S1I_EUlS1H_E_NS1_11comp_targetILNS1_3genE2ELNS1_11target_archE906ELNS1_3gpuE6ELNS1_3repE0EEENS1_30default_config_static_selectorELNS0_4arch9wavefront6targetE0EEEvSV_
; %bb.0:
	.section	.rodata,"a",@progbits
	.p2align	6, 0x0
	.amdhsa_kernel _ZN7rocprim17ROCPRIM_400000_NS6detail17trampoline_kernelINS0_13select_configILj256ELj13ELNS0_17block_load_methodE3ELS4_3ELS4_3ELNS0_20block_scan_algorithmE0ELj4294967295EEENS1_25partition_config_selectorILNS1_17partition_subalgoE3EjNS0_10empty_typeEbEEZZNS1_14partition_implILS8_3ELb0ES6_jNS0_17counting_iteratorIjlEEPS9_SE_NS0_5tupleIJPjSE_EEENSF_IJSE_SE_EEES9_SG_JZNS1_25segmented_radix_sort_implINS0_14default_configELb0EPKlPlSM_SN_N2at6native12_GLOBAL__N_18offset_tEEE10hipError_tPvRmT1_PNSt15iterator_traitsISV_E10value_typeET2_T3_PNSW_IS11_E10value_typeET4_jRbjT5_S17_jjP12ihipStream_tbEUljE_EEESS_ST_SU_S11_S15_S17_T6_T7_T9_mT8_S19_bDpT10_ENKUlT_T0_E_clISt17integral_constantIbLb1EES1M_EEDaS1H_S1I_EUlS1H_E_NS1_11comp_targetILNS1_3genE2ELNS1_11target_archE906ELNS1_3gpuE6ELNS1_3repE0EEENS1_30default_config_static_selectorELNS0_4arch9wavefront6targetE0EEEvSV_
		.amdhsa_group_segment_fixed_size 0
		.amdhsa_private_segment_fixed_size 0
		.amdhsa_kernarg_size 152
		.amdhsa_user_sgpr_count 6
		.amdhsa_user_sgpr_private_segment_buffer 1
		.amdhsa_user_sgpr_dispatch_ptr 0
		.amdhsa_user_sgpr_queue_ptr 0
		.amdhsa_user_sgpr_kernarg_segment_ptr 1
		.amdhsa_user_sgpr_dispatch_id 0
		.amdhsa_user_sgpr_flat_scratch_init 0
		.amdhsa_user_sgpr_private_segment_size 0
		.amdhsa_wavefront_size32 1
		.amdhsa_uses_dynamic_stack 0
		.amdhsa_system_sgpr_private_segment_wavefront_offset 0
		.amdhsa_system_sgpr_workgroup_id_x 1
		.amdhsa_system_sgpr_workgroup_id_y 0
		.amdhsa_system_sgpr_workgroup_id_z 0
		.amdhsa_system_sgpr_workgroup_info 0
		.amdhsa_system_vgpr_workitem_id 0
		.amdhsa_next_free_vgpr 1
		.amdhsa_next_free_sgpr 1
		.amdhsa_reserve_vcc 0
		.amdhsa_reserve_flat_scratch 0
		.amdhsa_float_round_mode_32 0
		.amdhsa_float_round_mode_16_64 0
		.amdhsa_float_denorm_mode_32 3
		.amdhsa_float_denorm_mode_16_64 3
		.amdhsa_dx10_clamp 1
		.amdhsa_ieee_mode 1
		.amdhsa_fp16_overflow 0
		.amdhsa_workgroup_processor_mode 1
		.amdhsa_memory_ordered 1
		.amdhsa_forward_progress 1
		.amdhsa_shared_vgpr_count 0
		.amdhsa_exception_fp_ieee_invalid_op 0
		.amdhsa_exception_fp_denorm_src 0
		.amdhsa_exception_fp_ieee_div_zero 0
		.amdhsa_exception_fp_ieee_overflow 0
		.amdhsa_exception_fp_ieee_underflow 0
		.amdhsa_exception_fp_ieee_inexact 0
		.amdhsa_exception_int_div_zero 0
	.end_amdhsa_kernel
	.section	.text._ZN7rocprim17ROCPRIM_400000_NS6detail17trampoline_kernelINS0_13select_configILj256ELj13ELNS0_17block_load_methodE3ELS4_3ELS4_3ELNS0_20block_scan_algorithmE0ELj4294967295EEENS1_25partition_config_selectorILNS1_17partition_subalgoE3EjNS0_10empty_typeEbEEZZNS1_14partition_implILS8_3ELb0ES6_jNS0_17counting_iteratorIjlEEPS9_SE_NS0_5tupleIJPjSE_EEENSF_IJSE_SE_EEES9_SG_JZNS1_25segmented_radix_sort_implINS0_14default_configELb0EPKlPlSM_SN_N2at6native12_GLOBAL__N_18offset_tEEE10hipError_tPvRmT1_PNSt15iterator_traitsISV_E10value_typeET2_T3_PNSW_IS11_E10value_typeET4_jRbjT5_S17_jjP12ihipStream_tbEUljE_EEESS_ST_SU_S11_S15_S17_T6_T7_T9_mT8_S19_bDpT10_ENKUlT_T0_E_clISt17integral_constantIbLb1EES1M_EEDaS1H_S1I_EUlS1H_E_NS1_11comp_targetILNS1_3genE2ELNS1_11target_archE906ELNS1_3gpuE6ELNS1_3repE0EEENS1_30default_config_static_selectorELNS0_4arch9wavefront6targetE0EEEvSV_,"axG",@progbits,_ZN7rocprim17ROCPRIM_400000_NS6detail17trampoline_kernelINS0_13select_configILj256ELj13ELNS0_17block_load_methodE3ELS4_3ELS4_3ELNS0_20block_scan_algorithmE0ELj4294967295EEENS1_25partition_config_selectorILNS1_17partition_subalgoE3EjNS0_10empty_typeEbEEZZNS1_14partition_implILS8_3ELb0ES6_jNS0_17counting_iteratorIjlEEPS9_SE_NS0_5tupleIJPjSE_EEENSF_IJSE_SE_EEES9_SG_JZNS1_25segmented_radix_sort_implINS0_14default_configELb0EPKlPlSM_SN_N2at6native12_GLOBAL__N_18offset_tEEE10hipError_tPvRmT1_PNSt15iterator_traitsISV_E10value_typeET2_T3_PNSW_IS11_E10value_typeET4_jRbjT5_S17_jjP12ihipStream_tbEUljE_EEESS_ST_SU_S11_S15_S17_T6_T7_T9_mT8_S19_bDpT10_ENKUlT_T0_E_clISt17integral_constantIbLb1EES1M_EEDaS1H_S1I_EUlS1H_E_NS1_11comp_targetILNS1_3genE2ELNS1_11target_archE906ELNS1_3gpuE6ELNS1_3repE0EEENS1_30default_config_static_selectorELNS0_4arch9wavefront6targetE0EEEvSV_,comdat
.Lfunc_end781:
	.size	_ZN7rocprim17ROCPRIM_400000_NS6detail17trampoline_kernelINS0_13select_configILj256ELj13ELNS0_17block_load_methodE3ELS4_3ELS4_3ELNS0_20block_scan_algorithmE0ELj4294967295EEENS1_25partition_config_selectorILNS1_17partition_subalgoE3EjNS0_10empty_typeEbEEZZNS1_14partition_implILS8_3ELb0ES6_jNS0_17counting_iteratorIjlEEPS9_SE_NS0_5tupleIJPjSE_EEENSF_IJSE_SE_EEES9_SG_JZNS1_25segmented_radix_sort_implINS0_14default_configELb0EPKlPlSM_SN_N2at6native12_GLOBAL__N_18offset_tEEE10hipError_tPvRmT1_PNSt15iterator_traitsISV_E10value_typeET2_T3_PNSW_IS11_E10value_typeET4_jRbjT5_S17_jjP12ihipStream_tbEUljE_EEESS_ST_SU_S11_S15_S17_T6_T7_T9_mT8_S19_bDpT10_ENKUlT_T0_E_clISt17integral_constantIbLb1EES1M_EEDaS1H_S1I_EUlS1H_E_NS1_11comp_targetILNS1_3genE2ELNS1_11target_archE906ELNS1_3gpuE6ELNS1_3repE0EEENS1_30default_config_static_selectorELNS0_4arch9wavefront6targetE0EEEvSV_, .Lfunc_end781-_ZN7rocprim17ROCPRIM_400000_NS6detail17trampoline_kernelINS0_13select_configILj256ELj13ELNS0_17block_load_methodE3ELS4_3ELS4_3ELNS0_20block_scan_algorithmE0ELj4294967295EEENS1_25partition_config_selectorILNS1_17partition_subalgoE3EjNS0_10empty_typeEbEEZZNS1_14partition_implILS8_3ELb0ES6_jNS0_17counting_iteratorIjlEEPS9_SE_NS0_5tupleIJPjSE_EEENSF_IJSE_SE_EEES9_SG_JZNS1_25segmented_radix_sort_implINS0_14default_configELb0EPKlPlSM_SN_N2at6native12_GLOBAL__N_18offset_tEEE10hipError_tPvRmT1_PNSt15iterator_traitsISV_E10value_typeET2_T3_PNSW_IS11_E10value_typeET4_jRbjT5_S17_jjP12ihipStream_tbEUljE_EEESS_ST_SU_S11_S15_S17_T6_T7_T9_mT8_S19_bDpT10_ENKUlT_T0_E_clISt17integral_constantIbLb1EES1M_EEDaS1H_S1I_EUlS1H_E_NS1_11comp_targetILNS1_3genE2ELNS1_11target_archE906ELNS1_3gpuE6ELNS1_3repE0EEENS1_30default_config_static_selectorELNS0_4arch9wavefront6targetE0EEEvSV_
                                        ; -- End function
	.set _ZN7rocprim17ROCPRIM_400000_NS6detail17trampoline_kernelINS0_13select_configILj256ELj13ELNS0_17block_load_methodE3ELS4_3ELS4_3ELNS0_20block_scan_algorithmE0ELj4294967295EEENS1_25partition_config_selectorILNS1_17partition_subalgoE3EjNS0_10empty_typeEbEEZZNS1_14partition_implILS8_3ELb0ES6_jNS0_17counting_iteratorIjlEEPS9_SE_NS0_5tupleIJPjSE_EEENSF_IJSE_SE_EEES9_SG_JZNS1_25segmented_radix_sort_implINS0_14default_configELb0EPKlPlSM_SN_N2at6native12_GLOBAL__N_18offset_tEEE10hipError_tPvRmT1_PNSt15iterator_traitsISV_E10value_typeET2_T3_PNSW_IS11_E10value_typeET4_jRbjT5_S17_jjP12ihipStream_tbEUljE_EEESS_ST_SU_S11_S15_S17_T6_T7_T9_mT8_S19_bDpT10_ENKUlT_T0_E_clISt17integral_constantIbLb1EES1M_EEDaS1H_S1I_EUlS1H_E_NS1_11comp_targetILNS1_3genE2ELNS1_11target_archE906ELNS1_3gpuE6ELNS1_3repE0EEENS1_30default_config_static_selectorELNS0_4arch9wavefront6targetE0EEEvSV_.num_vgpr, 0
	.set _ZN7rocprim17ROCPRIM_400000_NS6detail17trampoline_kernelINS0_13select_configILj256ELj13ELNS0_17block_load_methodE3ELS4_3ELS4_3ELNS0_20block_scan_algorithmE0ELj4294967295EEENS1_25partition_config_selectorILNS1_17partition_subalgoE3EjNS0_10empty_typeEbEEZZNS1_14partition_implILS8_3ELb0ES6_jNS0_17counting_iteratorIjlEEPS9_SE_NS0_5tupleIJPjSE_EEENSF_IJSE_SE_EEES9_SG_JZNS1_25segmented_radix_sort_implINS0_14default_configELb0EPKlPlSM_SN_N2at6native12_GLOBAL__N_18offset_tEEE10hipError_tPvRmT1_PNSt15iterator_traitsISV_E10value_typeET2_T3_PNSW_IS11_E10value_typeET4_jRbjT5_S17_jjP12ihipStream_tbEUljE_EEESS_ST_SU_S11_S15_S17_T6_T7_T9_mT8_S19_bDpT10_ENKUlT_T0_E_clISt17integral_constantIbLb1EES1M_EEDaS1H_S1I_EUlS1H_E_NS1_11comp_targetILNS1_3genE2ELNS1_11target_archE906ELNS1_3gpuE6ELNS1_3repE0EEENS1_30default_config_static_selectorELNS0_4arch9wavefront6targetE0EEEvSV_.num_agpr, 0
	.set _ZN7rocprim17ROCPRIM_400000_NS6detail17trampoline_kernelINS0_13select_configILj256ELj13ELNS0_17block_load_methodE3ELS4_3ELS4_3ELNS0_20block_scan_algorithmE0ELj4294967295EEENS1_25partition_config_selectorILNS1_17partition_subalgoE3EjNS0_10empty_typeEbEEZZNS1_14partition_implILS8_3ELb0ES6_jNS0_17counting_iteratorIjlEEPS9_SE_NS0_5tupleIJPjSE_EEENSF_IJSE_SE_EEES9_SG_JZNS1_25segmented_radix_sort_implINS0_14default_configELb0EPKlPlSM_SN_N2at6native12_GLOBAL__N_18offset_tEEE10hipError_tPvRmT1_PNSt15iterator_traitsISV_E10value_typeET2_T3_PNSW_IS11_E10value_typeET4_jRbjT5_S17_jjP12ihipStream_tbEUljE_EEESS_ST_SU_S11_S15_S17_T6_T7_T9_mT8_S19_bDpT10_ENKUlT_T0_E_clISt17integral_constantIbLb1EES1M_EEDaS1H_S1I_EUlS1H_E_NS1_11comp_targetILNS1_3genE2ELNS1_11target_archE906ELNS1_3gpuE6ELNS1_3repE0EEENS1_30default_config_static_selectorELNS0_4arch9wavefront6targetE0EEEvSV_.numbered_sgpr, 0
	.set _ZN7rocprim17ROCPRIM_400000_NS6detail17trampoline_kernelINS0_13select_configILj256ELj13ELNS0_17block_load_methodE3ELS4_3ELS4_3ELNS0_20block_scan_algorithmE0ELj4294967295EEENS1_25partition_config_selectorILNS1_17partition_subalgoE3EjNS0_10empty_typeEbEEZZNS1_14partition_implILS8_3ELb0ES6_jNS0_17counting_iteratorIjlEEPS9_SE_NS0_5tupleIJPjSE_EEENSF_IJSE_SE_EEES9_SG_JZNS1_25segmented_radix_sort_implINS0_14default_configELb0EPKlPlSM_SN_N2at6native12_GLOBAL__N_18offset_tEEE10hipError_tPvRmT1_PNSt15iterator_traitsISV_E10value_typeET2_T3_PNSW_IS11_E10value_typeET4_jRbjT5_S17_jjP12ihipStream_tbEUljE_EEESS_ST_SU_S11_S15_S17_T6_T7_T9_mT8_S19_bDpT10_ENKUlT_T0_E_clISt17integral_constantIbLb1EES1M_EEDaS1H_S1I_EUlS1H_E_NS1_11comp_targetILNS1_3genE2ELNS1_11target_archE906ELNS1_3gpuE6ELNS1_3repE0EEENS1_30default_config_static_selectorELNS0_4arch9wavefront6targetE0EEEvSV_.num_named_barrier, 0
	.set _ZN7rocprim17ROCPRIM_400000_NS6detail17trampoline_kernelINS0_13select_configILj256ELj13ELNS0_17block_load_methodE3ELS4_3ELS4_3ELNS0_20block_scan_algorithmE0ELj4294967295EEENS1_25partition_config_selectorILNS1_17partition_subalgoE3EjNS0_10empty_typeEbEEZZNS1_14partition_implILS8_3ELb0ES6_jNS0_17counting_iteratorIjlEEPS9_SE_NS0_5tupleIJPjSE_EEENSF_IJSE_SE_EEES9_SG_JZNS1_25segmented_radix_sort_implINS0_14default_configELb0EPKlPlSM_SN_N2at6native12_GLOBAL__N_18offset_tEEE10hipError_tPvRmT1_PNSt15iterator_traitsISV_E10value_typeET2_T3_PNSW_IS11_E10value_typeET4_jRbjT5_S17_jjP12ihipStream_tbEUljE_EEESS_ST_SU_S11_S15_S17_T6_T7_T9_mT8_S19_bDpT10_ENKUlT_T0_E_clISt17integral_constantIbLb1EES1M_EEDaS1H_S1I_EUlS1H_E_NS1_11comp_targetILNS1_3genE2ELNS1_11target_archE906ELNS1_3gpuE6ELNS1_3repE0EEENS1_30default_config_static_selectorELNS0_4arch9wavefront6targetE0EEEvSV_.private_seg_size, 0
	.set _ZN7rocprim17ROCPRIM_400000_NS6detail17trampoline_kernelINS0_13select_configILj256ELj13ELNS0_17block_load_methodE3ELS4_3ELS4_3ELNS0_20block_scan_algorithmE0ELj4294967295EEENS1_25partition_config_selectorILNS1_17partition_subalgoE3EjNS0_10empty_typeEbEEZZNS1_14partition_implILS8_3ELb0ES6_jNS0_17counting_iteratorIjlEEPS9_SE_NS0_5tupleIJPjSE_EEENSF_IJSE_SE_EEES9_SG_JZNS1_25segmented_radix_sort_implINS0_14default_configELb0EPKlPlSM_SN_N2at6native12_GLOBAL__N_18offset_tEEE10hipError_tPvRmT1_PNSt15iterator_traitsISV_E10value_typeET2_T3_PNSW_IS11_E10value_typeET4_jRbjT5_S17_jjP12ihipStream_tbEUljE_EEESS_ST_SU_S11_S15_S17_T6_T7_T9_mT8_S19_bDpT10_ENKUlT_T0_E_clISt17integral_constantIbLb1EES1M_EEDaS1H_S1I_EUlS1H_E_NS1_11comp_targetILNS1_3genE2ELNS1_11target_archE906ELNS1_3gpuE6ELNS1_3repE0EEENS1_30default_config_static_selectorELNS0_4arch9wavefront6targetE0EEEvSV_.uses_vcc, 0
	.set _ZN7rocprim17ROCPRIM_400000_NS6detail17trampoline_kernelINS0_13select_configILj256ELj13ELNS0_17block_load_methodE3ELS4_3ELS4_3ELNS0_20block_scan_algorithmE0ELj4294967295EEENS1_25partition_config_selectorILNS1_17partition_subalgoE3EjNS0_10empty_typeEbEEZZNS1_14partition_implILS8_3ELb0ES6_jNS0_17counting_iteratorIjlEEPS9_SE_NS0_5tupleIJPjSE_EEENSF_IJSE_SE_EEES9_SG_JZNS1_25segmented_radix_sort_implINS0_14default_configELb0EPKlPlSM_SN_N2at6native12_GLOBAL__N_18offset_tEEE10hipError_tPvRmT1_PNSt15iterator_traitsISV_E10value_typeET2_T3_PNSW_IS11_E10value_typeET4_jRbjT5_S17_jjP12ihipStream_tbEUljE_EEESS_ST_SU_S11_S15_S17_T6_T7_T9_mT8_S19_bDpT10_ENKUlT_T0_E_clISt17integral_constantIbLb1EES1M_EEDaS1H_S1I_EUlS1H_E_NS1_11comp_targetILNS1_3genE2ELNS1_11target_archE906ELNS1_3gpuE6ELNS1_3repE0EEENS1_30default_config_static_selectorELNS0_4arch9wavefront6targetE0EEEvSV_.uses_flat_scratch, 0
	.set _ZN7rocprim17ROCPRIM_400000_NS6detail17trampoline_kernelINS0_13select_configILj256ELj13ELNS0_17block_load_methodE3ELS4_3ELS4_3ELNS0_20block_scan_algorithmE0ELj4294967295EEENS1_25partition_config_selectorILNS1_17partition_subalgoE3EjNS0_10empty_typeEbEEZZNS1_14partition_implILS8_3ELb0ES6_jNS0_17counting_iteratorIjlEEPS9_SE_NS0_5tupleIJPjSE_EEENSF_IJSE_SE_EEES9_SG_JZNS1_25segmented_radix_sort_implINS0_14default_configELb0EPKlPlSM_SN_N2at6native12_GLOBAL__N_18offset_tEEE10hipError_tPvRmT1_PNSt15iterator_traitsISV_E10value_typeET2_T3_PNSW_IS11_E10value_typeET4_jRbjT5_S17_jjP12ihipStream_tbEUljE_EEESS_ST_SU_S11_S15_S17_T6_T7_T9_mT8_S19_bDpT10_ENKUlT_T0_E_clISt17integral_constantIbLb1EES1M_EEDaS1H_S1I_EUlS1H_E_NS1_11comp_targetILNS1_3genE2ELNS1_11target_archE906ELNS1_3gpuE6ELNS1_3repE0EEENS1_30default_config_static_selectorELNS0_4arch9wavefront6targetE0EEEvSV_.has_dyn_sized_stack, 0
	.set _ZN7rocprim17ROCPRIM_400000_NS6detail17trampoline_kernelINS0_13select_configILj256ELj13ELNS0_17block_load_methodE3ELS4_3ELS4_3ELNS0_20block_scan_algorithmE0ELj4294967295EEENS1_25partition_config_selectorILNS1_17partition_subalgoE3EjNS0_10empty_typeEbEEZZNS1_14partition_implILS8_3ELb0ES6_jNS0_17counting_iteratorIjlEEPS9_SE_NS0_5tupleIJPjSE_EEENSF_IJSE_SE_EEES9_SG_JZNS1_25segmented_radix_sort_implINS0_14default_configELb0EPKlPlSM_SN_N2at6native12_GLOBAL__N_18offset_tEEE10hipError_tPvRmT1_PNSt15iterator_traitsISV_E10value_typeET2_T3_PNSW_IS11_E10value_typeET4_jRbjT5_S17_jjP12ihipStream_tbEUljE_EEESS_ST_SU_S11_S15_S17_T6_T7_T9_mT8_S19_bDpT10_ENKUlT_T0_E_clISt17integral_constantIbLb1EES1M_EEDaS1H_S1I_EUlS1H_E_NS1_11comp_targetILNS1_3genE2ELNS1_11target_archE906ELNS1_3gpuE6ELNS1_3repE0EEENS1_30default_config_static_selectorELNS0_4arch9wavefront6targetE0EEEvSV_.has_recursion, 0
	.set _ZN7rocprim17ROCPRIM_400000_NS6detail17trampoline_kernelINS0_13select_configILj256ELj13ELNS0_17block_load_methodE3ELS4_3ELS4_3ELNS0_20block_scan_algorithmE0ELj4294967295EEENS1_25partition_config_selectorILNS1_17partition_subalgoE3EjNS0_10empty_typeEbEEZZNS1_14partition_implILS8_3ELb0ES6_jNS0_17counting_iteratorIjlEEPS9_SE_NS0_5tupleIJPjSE_EEENSF_IJSE_SE_EEES9_SG_JZNS1_25segmented_radix_sort_implINS0_14default_configELb0EPKlPlSM_SN_N2at6native12_GLOBAL__N_18offset_tEEE10hipError_tPvRmT1_PNSt15iterator_traitsISV_E10value_typeET2_T3_PNSW_IS11_E10value_typeET4_jRbjT5_S17_jjP12ihipStream_tbEUljE_EEESS_ST_SU_S11_S15_S17_T6_T7_T9_mT8_S19_bDpT10_ENKUlT_T0_E_clISt17integral_constantIbLb1EES1M_EEDaS1H_S1I_EUlS1H_E_NS1_11comp_targetILNS1_3genE2ELNS1_11target_archE906ELNS1_3gpuE6ELNS1_3repE0EEENS1_30default_config_static_selectorELNS0_4arch9wavefront6targetE0EEEvSV_.has_indirect_call, 0
	.section	.AMDGPU.csdata,"",@progbits
; Kernel info:
; codeLenInByte = 0
; TotalNumSgprs: 0
; NumVgprs: 0
; ScratchSize: 0
; MemoryBound: 0
; FloatMode: 240
; IeeeMode: 1
; LDSByteSize: 0 bytes/workgroup (compile time only)
; SGPRBlocks: 0
; VGPRBlocks: 0
; NumSGPRsForWavesPerEU: 1
; NumVGPRsForWavesPerEU: 1
; Occupancy: 16
; WaveLimiterHint : 0
; COMPUTE_PGM_RSRC2:SCRATCH_EN: 0
; COMPUTE_PGM_RSRC2:USER_SGPR: 6
; COMPUTE_PGM_RSRC2:TRAP_HANDLER: 0
; COMPUTE_PGM_RSRC2:TGID_X_EN: 1
; COMPUTE_PGM_RSRC2:TGID_Y_EN: 0
; COMPUTE_PGM_RSRC2:TGID_Z_EN: 0
; COMPUTE_PGM_RSRC2:TIDIG_COMP_CNT: 0
	.section	.text._ZN7rocprim17ROCPRIM_400000_NS6detail17trampoline_kernelINS0_13select_configILj256ELj13ELNS0_17block_load_methodE3ELS4_3ELS4_3ELNS0_20block_scan_algorithmE0ELj4294967295EEENS1_25partition_config_selectorILNS1_17partition_subalgoE3EjNS0_10empty_typeEbEEZZNS1_14partition_implILS8_3ELb0ES6_jNS0_17counting_iteratorIjlEEPS9_SE_NS0_5tupleIJPjSE_EEENSF_IJSE_SE_EEES9_SG_JZNS1_25segmented_radix_sort_implINS0_14default_configELb0EPKlPlSM_SN_N2at6native12_GLOBAL__N_18offset_tEEE10hipError_tPvRmT1_PNSt15iterator_traitsISV_E10value_typeET2_T3_PNSW_IS11_E10value_typeET4_jRbjT5_S17_jjP12ihipStream_tbEUljE_EEESS_ST_SU_S11_S15_S17_T6_T7_T9_mT8_S19_bDpT10_ENKUlT_T0_E_clISt17integral_constantIbLb1EES1M_EEDaS1H_S1I_EUlS1H_E_NS1_11comp_targetILNS1_3genE10ELNS1_11target_archE1200ELNS1_3gpuE4ELNS1_3repE0EEENS1_30default_config_static_selectorELNS0_4arch9wavefront6targetE0EEEvSV_,"axG",@progbits,_ZN7rocprim17ROCPRIM_400000_NS6detail17trampoline_kernelINS0_13select_configILj256ELj13ELNS0_17block_load_methodE3ELS4_3ELS4_3ELNS0_20block_scan_algorithmE0ELj4294967295EEENS1_25partition_config_selectorILNS1_17partition_subalgoE3EjNS0_10empty_typeEbEEZZNS1_14partition_implILS8_3ELb0ES6_jNS0_17counting_iteratorIjlEEPS9_SE_NS0_5tupleIJPjSE_EEENSF_IJSE_SE_EEES9_SG_JZNS1_25segmented_radix_sort_implINS0_14default_configELb0EPKlPlSM_SN_N2at6native12_GLOBAL__N_18offset_tEEE10hipError_tPvRmT1_PNSt15iterator_traitsISV_E10value_typeET2_T3_PNSW_IS11_E10value_typeET4_jRbjT5_S17_jjP12ihipStream_tbEUljE_EEESS_ST_SU_S11_S15_S17_T6_T7_T9_mT8_S19_bDpT10_ENKUlT_T0_E_clISt17integral_constantIbLb1EES1M_EEDaS1H_S1I_EUlS1H_E_NS1_11comp_targetILNS1_3genE10ELNS1_11target_archE1200ELNS1_3gpuE4ELNS1_3repE0EEENS1_30default_config_static_selectorELNS0_4arch9wavefront6targetE0EEEvSV_,comdat
	.globl	_ZN7rocprim17ROCPRIM_400000_NS6detail17trampoline_kernelINS0_13select_configILj256ELj13ELNS0_17block_load_methodE3ELS4_3ELS4_3ELNS0_20block_scan_algorithmE0ELj4294967295EEENS1_25partition_config_selectorILNS1_17partition_subalgoE3EjNS0_10empty_typeEbEEZZNS1_14partition_implILS8_3ELb0ES6_jNS0_17counting_iteratorIjlEEPS9_SE_NS0_5tupleIJPjSE_EEENSF_IJSE_SE_EEES9_SG_JZNS1_25segmented_radix_sort_implINS0_14default_configELb0EPKlPlSM_SN_N2at6native12_GLOBAL__N_18offset_tEEE10hipError_tPvRmT1_PNSt15iterator_traitsISV_E10value_typeET2_T3_PNSW_IS11_E10value_typeET4_jRbjT5_S17_jjP12ihipStream_tbEUljE_EEESS_ST_SU_S11_S15_S17_T6_T7_T9_mT8_S19_bDpT10_ENKUlT_T0_E_clISt17integral_constantIbLb1EES1M_EEDaS1H_S1I_EUlS1H_E_NS1_11comp_targetILNS1_3genE10ELNS1_11target_archE1200ELNS1_3gpuE4ELNS1_3repE0EEENS1_30default_config_static_selectorELNS0_4arch9wavefront6targetE0EEEvSV_ ; -- Begin function _ZN7rocprim17ROCPRIM_400000_NS6detail17trampoline_kernelINS0_13select_configILj256ELj13ELNS0_17block_load_methodE3ELS4_3ELS4_3ELNS0_20block_scan_algorithmE0ELj4294967295EEENS1_25partition_config_selectorILNS1_17partition_subalgoE3EjNS0_10empty_typeEbEEZZNS1_14partition_implILS8_3ELb0ES6_jNS0_17counting_iteratorIjlEEPS9_SE_NS0_5tupleIJPjSE_EEENSF_IJSE_SE_EEES9_SG_JZNS1_25segmented_radix_sort_implINS0_14default_configELb0EPKlPlSM_SN_N2at6native12_GLOBAL__N_18offset_tEEE10hipError_tPvRmT1_PNSt15iterator_traitsISV_E10value_typeET2_T3_PNSW_IS11_E10value_typeET4_jRbjT5_S17_jjP12ihipStream_tbEUljE_EEESS_ST_SU_S11_S15_S17_T6_T7_T9_mT8_S19_bDpT10_ENKUlT_T0_E_clISt17integral_constantIbLb1EES1M_EEDaS1H_S1I_EUlS1H_E_NS1_11comp_targetILNS1_3genE10ELNS1_11target_archE1200ELNS1_3gpuE4ELNS1_3repE0EEENS1_30default_config_static_selectorELNS0_4arch9wavefront6targetE0EEEvSV_
	.p2align	8
	.type	_ZN7rocprim17ROCPRIM_400000_NS6detail17trampoline_kernelINS0_13select_configILj256ELj13ELNS0_17block_load_methodE3ELS4_3ELS4_3ELNS0_20block_scan_algorithmE0ELj4294967295EEENS1_25partition_config_selectorILNS1_17partition_subalgoE3EjNS0_10empty_typeEbEEZZNS1_14partition_implILS8_3ELb0ES6_jNS0_17counting_iteratorIjlEEPS9_SE_NS0_5tupleIJPjSE_EEENSF_IJSE_SE_EEES9_SG_JZNS1_25segmented_radix_sort_implINS0_14default_configELb0EPKlPlSM_SN_N2at6native12_GLOBAL__N_18offset_tEEE10hipError_tPvRmT1_PNSt15iterator_traitsISV_E10value_typeET2_T3_PNSW_IS11_E10value_typeET4_jRbjT5_S17_jjP12ihipStream_tbEUljE_EEESS_ST_SU_S11_S15_S17_T6_T7_T9_mT8_S19_bDpT10_ENKUlT_T0_E_clISt17integral_constantIbLb1EES1M_EEDaS1H_S1I_EUlS1H_E_NS1_11comp_targetILNS1_3genE10ELNS1_11target_archE1200ELNS1_3gpuE4ELNS1_3repE0EEENS1_30default_config_static_selectorELNS0_4arch9wavefront6targetE0EEEvSV_,@function
_ZN7rocprim17ROCPRIM_400000_NS6detail17trampoline_kernelINS0_13select_configILj256ELj13ELNS0_17block_load_methodE3ELS4_3ELS4_3ELNS0_20block_scan_algorithmE0ELj4294967295EEENS1_25partition_config_selectorILNS1_17partition_subalgoE3EjNS0_10empty_typeEbEEZZNS1_14partition_implILS8_3ELb0ES6_jNS0_17counting_iteratorIjlEEPS9_SE_NS0_5tupleIJPjSE_EEENSF_IJSE_SE_EEES9_SG_JZNS1_25segmented_radix_sort_implINS0_14default_configELb0EPKlPlSM_SN_N2at6native12_GLOBAL__N_18offset_tEEE10hipError_tPvRmT1_PNSt15iterator_traitsISV_E10value_typeET2_T3_PNSW_IS11_E10value_typeET4_jRbjT5_S17_jjP12ihipStream_tbEUljE_EEESS_ST_SU_S11_S15_S17_T6_T7_T9_mT8_S19_bDpT10_ENKUlT_T0_E_clISt17integral_constantIbLb1EES1M_EEDaS1H_S1I_EUlS1H_E_NS1_11comp_targetILNS1_3genE10ELNS1_11target_archE1200ELNS1_3gpuE4ELNS1_3repE0EEENS1_30default_config_static_selectorELNS0_4arch9wavefront6targetE0EEEvSV_: ; @_ZN7rocprim17ROCPRIM_400000_NS6detail17trampoline_kernelINS0_13select_configILj256ELj13ELNS0_17block_load_methodE3ELS4_3ELS4_3ELNS0_20block_scan_algorithmE0ELj4294967295EEENS1_25partition_config_selectorILNS1_17partition_subalgoE3EjNS0_10empty_typeEbEEZZNS1_14partition_implILS8_3ELb0ES6_jNS0_17counting_iteratorIjlEEPS9_SE_NS0_5tupleIJPjSE_EEENSF_IJSE_SE_EEES9_SG_JZNS1_25segmented_radix_sort_implINS0_14default_configELb0EPKlPlSM_SN_N2at6native12_GLOBAL__N_18offset_tEEE10hipError_tPvRmT1_PNSt15iterator_traitsISV_E10value_typeET2_T3_PNSW_IS11_E10value_typeET4_jRbjT5_S17_jjP12ihipStream_tbEUljE_EEESS_ST_SU_S11_S15_S17_T6_T7_T9_mT8_S19_bDpT10_ENKUlT_T0_E_clISt17integral_constantIbLb1EES1M_EEDaS1H_S1I_EUlS1H_E_NS1_11comp_targetILNS1_3genE10ELNS1_11target_archE1200ELNS1_3gpuE4ELNS1_3repE0EEENS1_30default_config_static_selectorELNS0_4arch9wavefront6targetE0EEEvSV_
; %bb.0:
	.section	.rodata,"a",@progbits
	.p2align	6, 0x0
	.amdhsa_kernel _ZN7rocprim17ROCPRIM_400000_NS6detail17trampoline_kernelINS0_13select_configILj256ELj13ELNS0_17block_load_methodE3ELS4_3ELS4_3ELNS0_20block_scan_algorithmE0ELj4294967295EEENS1_25partition_config_selectorILNS1_17partition_subalgoE3EjNS0_10empty_typeEbEEZZNS1_14partition_implILS8_3ELb0ES6_jNS0_17counting_iteratorIjlEEPS9_SE_NS0_5tupleIJPjSE_EEENSF_IJSE_SE_EEES9_SG_JZNS1_25segmented_radix_sort_implINS0_14default_configELb0EPKlPlSM_SN_N2at6native12_GLOBAL__N_18offset_tEEE10hipError_tPvRmT1_PNSt15iterator_traitsISV_E10value_typeET2_T3_PNSW_IS11_E10value_typeET4_jRbjT5_S17_jjP12ihipStream_tbEUljE_EEESS_ST_SU_S11_S15_S17_T6_T7_T9_mT8_S19_bDpT10_ENKUlT_T0_E_clISt17integral_constantIbLb1EES1M_EEDaS1H_S1I_EUlS1H_E_NS1_11comp_targetILNS1_3genE10ELNS1_11target_archE1200ELNS1_3gpuE4ELNS1_3repE0EEENS1_30default_config_static_selectorELNS0_4arch9wavefront6targetE0EEEvSV_
		.amdhsa_group_segment_fixed_size 0
		.amdhsa_private_segment_fixed_size 0
		.amdhsa_kernarg_size 152
		.amdhsa_user_sgpr_count 6
		.amdhsa_user_sgpr_private_segment_buffer 1
		.amdhsa_user_sgpr_dispatch_ptr 0
		.amdhsa_user_sgpr_queue_ptr 0
		.amdhsa_user_sgpr_kernarg_segment_ptr 1
		.amdhsa_user_sgpr_dispatch_id 0
		.amdhsa_user_sgpr_flat_scratch_init 0
		.amdhsa_user_sgpr_private_segment_size 0
		.amdhsa_wavefront_size32 1
		.amdhsa_uses_dynamic_stack 0
		.amdhsa_system_sgpr_private_segment_wavefront_offset 0
		.amdhsa_system_sgpr_workgroup_id_x 1
		.amdhsa_system_sgpr_workgroup_id_y 0
		.amdhsa_system_sgpr_workgroup_id_z 0
		.amdhsa_system_sgpr_workgroup_info 0
		.amdhsa_system_vgpr_workitem_id 0
		.amdhsa_next_free_vgpr 1
		.amdhsa_next_free_sgpr 1
		.amdhsa_reserve_vcc 0
		.amdhsa_reserve_flat_scratch 0
		.amdhsa_float_round_mode_32 0
		.amdhsa_float_round_mode_16_64 0
		.amdhsa_float_denorm_mode_32 3
		.amdhsa_float_denorm_mode_16_64 3
		.amdhsa_dx10_clamp 1
		.amdhsa_ieee_mode 1
		.amdhsa_fp16_overflow 0
		.amdhsa_workgroup_processor_mode 1
		.amdhsa_memory_ordered 1
		.amdhsa_forward_progress 1
		.amdhsa_shared_vgpr_count 0
		.amdhsa_exception_fp_ieee_invalid_op 0
		.amdhsa_exception_fp_denorm_src 0
		.amdhsa_exception_fp_ieee_div_zero 0
		.amdhsa_exception_fp_ieee_overflow 0
		.amdhsa_exception_fp_ieee_underflow 0
		.amdhsa_exception_fp_ieee_inexact 0
		.amdhsa_exception_int_div_zero 0
	.end_amdhsa_kernel
	.section	.text._ZN7rocprim17ROCPRIM_400000_NS6detail17trampoline_kernelINS0_13select_configILj256ELj13ELNS0_17block_load_methodE3ELS4_3ELS4_3ELNS0_20block_scan_algorithmE0ELj4294967295EEENS1_25partition_config_selectorILNS1_17partition_subalgoE3EjNS0_10empty_typeEbEEZZNS1_14partition_implILS8_3ELb0ES6_jNS0_17counting_iteratorIjlEEPS9_SE_NS0_5tupleIJPjSE_EEENSF_IJSE_SE_EEES9_SG_JZNS1_25segmented_radix_sort_implINS0_14default_configELb0EPKlPlSM_SN_N2at6native12_GLOBAL__N_18offset_tEEE10hipError_tPvRmT1_PNSt15iterator_traitsISV_E10value_typeET2_T3_PNSW_IS11_E10value_typeET4_jRbjT5_S17_jjP12ihipStream_tbEUljE_EEESS_ST_SU_S11_S15_S17_T6_T7_T9_mT8_S19_bDpT10_ENKUlT_T0_E_clISt17integral_constantIbLb1EES1M_EEDaS1H_S1I_EUlS1H_E_NS1_11comp_targetILNS1_3genE10ELNS1_11target_archE1200ELNS1_3gpuE4ELNS1_3repE0EEENS1_30default_config_static_selectorELNS0_4arch9wavefront6targetE0EEEvSV_,"axG",@progbits,_ZN7rocprim17ROCPRIM_400000_NS6detail17trampoline_kernelINS0_13select_configILj256ELj13ELNS0_17block_load_methodE3ELS4_3ELS4_3ELNS0_20block_scan_algorithmE0ELj4294967295EEENS1_25partition_config_selectorILNS1_17partition_subalgoE3EjNS0_10empty_typeEbEEZZNS1_14partition_implILS8_3ELb0ES6_jNS0_17counting_iteratorIjlEEPS9_SE_NS0_5tupleIJPjSE_EEENSF_IJSE_SE_EEES9_SG_JZNS1_25segmented_radix_sort_implINS0_14default_configELb0EPKlPlSM_SN_N2at6native12_GLOBAL__N_18offset_tEEE10hipError_tPvRmT1_PNSt15iterator_traitsISV_E10value_typeET2_T3_PNSW_IS11_E10value_typeET4_jRbjT5_S17_jjP12ihipStream_tbEUljE_EEESS_ST_SU_S11_S15_S17_T6_T7_T9_mT8_S19_bDpT10_ENKUlT_T0_E_clISt17integral_constantIbLb1EES1M_EEDaS1H_S1I_EUlS1H_E_NS1_11comp_targetILNS1_3genE10ELNS1_11target_archE1200ELNS1_3gpuE4ELNS1_3repE0EEENS1_30default_config_static_selectorELNS0_4arch9wavefront6targetE0EEEvSV_,comdat
.Lfunc_end782:
	.size	_ZN7rocprim17ROCPRIM_400000_NS6detail17trampoline_kernelINS0_13select_configILj256ELj13ELNS0_17block_load_methodE3ELS4_3ELS4_3ELNS0_20block_scan_algorithmE0ELj4294967295EEENS1_25partition_config_selectorILNS1_17partition_subalgoE3EjNS0_10empty_typeEbEEZZNS1_14partition_implILS8_3ELb0ES6_jNS0_17counting_iteratorIjlEEPS9_SE_NS0_5tupleIJPjSE_EEENSF_IJSE_SE_EEES9_SG_JZNS1_25segmented_radix_sort_implINS0_14default_configELb0EPKlPlSM_SN_N2at6native12_GLOBAL__N_18offset_tEEE10hipError_tPvRmT1_PNSt15iterator_traitsISV_E10value_typeET2_T3_PNSW_IS11_E10value_typeET4_jRbjT5_S17_jjP12ihipStream_tbEUljE_EEESS_ST_SU_S11_S15_S17_T6_T7_T9_mT8_S19_bDpT10_ENKUlT_T0_E_clISt17integral_constantIbLb1EES1M_EEDaS1H_S1I_EUlS1H_E_NS1_11comp_targetILNS1_3genE10ELNS1_11target_archE1200ELNS1_3gpuE4ELNS1_3repE0EEENS1_30default_config_static_selectorELNS0_4arch9wavefront6targetE0EEEvSV_, .Lfunc_end782-_ZN7rocprim17ROCPRIM_400000_NS6detail17trampoline_kernelINS0_13select_configILj256ELj13ELNS0_17block_load_methodE3ELS4_3ELS4_3ELNS0_20block_scan_algorithmE0ELj4294967295EEENS1_25partition_config_selectorILNS1_17partition_subalgoE3EjNS0_10empty_typeEbEEZZNS1_14partition_implILS8_3ELb0ES6_jNS0_17counting_iteratorIjlEEPS9_SE_NS0_5tupleIJPjSE_EEENSF_IJSE_SE_EEES9_SG_JZNS1_25segmented_radix_sort_implINS0_14default_configELb0EPKlPlSM_SN_N2at6native12_GLOBAL__N_18offset_tEEE10hipError_tPvRmT1_PNSt15iterator_traitsISV_E10value_typeET2_T3_PNSW_IS11_E10value_typeET4_jRbjT5_S17_jjP12ihipStream_tbEUljE_EEESS_ST_SU_S11_S15_S17_T6_T7_T9_mT8_S19_bDpT10_ENKUlT_T0_E_clISt17integral_constantIbLb1EES1M_EEDaS1H_S1I_EUlS1H_E_NS1_11comp_targetILNS1_3genE10ELNS1_11target_archE1200ELNS1_3gpuE4ELNS1_3repE0EEENS1_30default_config_static_selectorELNS0_4arch9wavefront6targetE0EEEvSV_
                                        ; -- End function
	.set _ZN7rocprim17ROCPRIM_400000_NS6detail17trampoline_kernelINS0_13select_configILj256ELj13ELNS0_17block_load_methodE3ELS4_3ELS4_3ELNS0_20block_scan_algorithmE0ELj4294967295EEENS1_25partition_config_selectorILNS1_17partition_subalgoE3EjNS0_10empty_typeEbEEZZNS1_14partition_implILS8_3ELb0ES6_jNS0_17counting_iteratorIjlEEPS9_SE_NS0_5tupleIJPjSE_EEENSF_IJSE_SE_EEES9_SG_JZNS1_25segmented_radix_sort_implINS0_14default_configELb0EPKlPlSM_SN_N2at6native12_GLOBAL__N_18offset_tEEE10hipError_tPvRmT1_PNSt15iterator_traitsISV_E10value_typeET2_T3_PNSW_IS11_E10value_typeET4_jRbjT5_S17_jjP12ihipStream_tbEUljE_EEESS_ST_SU_S11_S15_S17_T6_T7_T9_mT8_S19_bDpT10_ENKUlT_T0_E_clISt17integral_constantIbLb1EES1M_EEDaS1H_S1I_EUlS1H_E_NS1_11comp_targetILNS1_3genE10ELNS1_11target_archE1200ELNS1_3gpuE4ELNS1_3repE0EEENS1_30default_config_static_selectorELNS0_4arch9wavefront6targetE0EEEvSV_.num_vgpr, 0
	.set _ZN7rocprim17ROCPRIM_400000_NS6detail17trampoline_kernelINS0_13select_configILj256ELj13ELNS0_17block_load_methodE3ELS4_3ELS4_3ELNS0_20block_scan_algorithmE0ELj4294967295EEENS1_25partition_config_selectorILNS1_17partition_subalgoE3EjNS0_10empty_typeEbEEZZNS1_14partition_implILS8_3ELb0ES6_jNS0_17counting_iteratorIjlEEPS9_SE_NS0_5tupleIJPjSE_EEENSF_IJSE_SE_EEES9_SG_JZNS1_25segmented_radix_sort_implINS0_14default_configELb0EPKlPlSM_SN_N2at6native12_GLOBAL__N_18offset_tEEE10hipError_tPvRmT1_PNSt15iterator_traitsISV_E10value_typeET2_T3_PNSW_IS11_E10value_typeET4_jRbjT5_S17_jjP12ihipStream_tbEUljE_EEESS_ST_SU_S11_S15_S17_T6_T7_T9_mT8_S19_bDpT10_ENKUlT_T0_E_clISt17integral_constantIbLb1EES1M_EEDaS1H_S1I_EUlS1H_E_NS1_11comp_targetILNS1_3genE10ELNS1_11target_archE1200ELNS1_3gpuE4ELNS1_3repE0EEENS1_30default_config_static_selectorELNS0_4arch9wavefront6targetE0EEEvSV_.num_agpr, 0
	.set _ZN7rocprim17ROCPRIM_400000_NS6detail17trampoline_kernelINS0_13select_configILj256ELj13ELNS0_17block_load_methodE3ELS4_3ELS4_3ELNS0_20block_scan_algorithmE0ELj4294967295EEENS1_25partition_config_selectorILNS1_17partition_subalgoE3EjNS0_10empty_typeEbEEZZNS1_14partition_implILS8_3ELb0ES6_jNS0_17counting_iteratorIjlEEPS9_SE_NS0_5tupleIJPjSE_EEENSF_IJSE_SE_EEES9_SG_JZNS1_25segmented_radix_sort_implINS0_14default_configELb0EPKlPlSM_SN_N2at6native12_GLOBAL__N_18offset_tEEE10hipError_tPvRmT1_PNSt15iterator_traitsISV_E10value_typeET2_T3_PNSW_IS11_E10value_typeET4_jRbjT5_S17_jjP12ihipStream_tbEUljE_EEESS_ST_SU_S11_S15_S17_T6_T7_T9_mT8_S19_bDpT10_ENKUlT_T0_E_clISt17integral_constantIbLb1EES1M_EEDaS1H_S1I_EUlS1H_E_NS1_11comp_targetILNS1_3genE10ELNS1_11target_archE1200ELNS1_3gpuE4ELNS1_3repE0EEENS1_30default_config_static_selectorELNS0_4arch9wavefront6targetE0EEEvSV_.numbered_sgpr, 0
	.set _ZN7rocprim17ROCPRIM_400000_NS6detail17trampoline_kernelINS0_13select_configILj256ELj13ELNS0_17block_load_methodE3ELS4_3ELS4_3ELNS0_20block_scan_algorithmE0ELj4294967295EEENS1_25partition_config_selectorILNS1_17partition_subalgoE3EjNS0_10empty_typeEbEEZZNS1_14partition_implILS8_3ELb0ES6_jNS0_17counting_iteratorIjlEEPS9_SE_NS0_5tupleIJPjSE_EEENSF_IJSE_SE_EEES9_SG_JZNS1_25segmented_radix_sort_implINS0_14default_configELb0EPKlPlSM_SN_N2at6native12_GLOBAL__N_18offset_tEEE10hipError_tPvRmT1_PNSt15iterator_traitsISV_E10value_typeET2_T3_PNSW_IS11_E10value_typeET4_jRbjT5_S17_jjP12ihipStream_tbEUljE_EEESS_ST_SU_S11_S15_S17_T6_T7_T9_mT8_S19_bDpT10_ENKUlT_T0_E_clISt17integral_constantIbLb1EES1M_EEDaS1H_S1I_EUlS1H_E_NS1_11comp_targetILNS1_3genE10ELNS1_11target_archE1200ELNS1_3gpuE4ELNS1_3repE0EEENS1_30default_config_static_selectorELNS0_4arch9wavefront6targetE0EEEvSV_.num_named_barrier, 0
	.set _ZN7rocprim17ROCPRIM_400000_NS6detail17trampoline_kernelINS0_13select_configILj256ELj13ELNS0_17block_load_methodE3ELS4_3ELS4_3ELNS0_20block_scan_algorithmE0ELj4294967295EEENS1_25partition_config_selectorILNS1_17partition_subalgoE3EjNS0_10empty_typeEbEEZZNS1_14partition_implILS8_3ELb0ES6_jNS0_17counting_iteratorIjlEEPS9_SE_NS0_5tupleIJPjSE_EEENSF_IJSE_SE_EEES9_SG_JZNS1_25segmented_radix_sort_implINS0_14default_configELb0EPKlPlSM_SN_N2at6native12_GLOBAL__N_18offset_tEEE10hipError_tPvRmT1_PNSt15iterator_traitsISV_E10value_typeET2_T3_PNSW_IS11_E10value_typeET4_jRbjT5_S17_jjP12ihipStream_tbEUljE_EEESS_ST_SU_S11_S15_S17_T6_T7_T9_mT8_S19_bDpT10_ENKUlT_T0_E_clISt17integral_constantIbLb1EES1M_EEDaS1H_S1I_EUlS1H_E_NS1_11comp_targetILNS1_3genE10ELNS1_11target_archE1200ELNS1_3gpuE4ELNS1_3repE0EEENS1_30default_config_static_selectorELNS0_4arch9wavefront6targetE0EEEvSV_.private_seg_size, 0
	.set _ZN7rocprim17ROCPRIM_400000_NS6detail17trampoline_kernelINS0_13select_configILj256ELj13ELNS0_17block_load_methodE3ELS4_3ELS4_3ELNS0_20block_scan_algorithmE0ELj4294967295EEENS1_25partition_config_selectorILNS1_17partition_subalgoE3EjNS0_10empty_typeEbEEZZNS1_14partition_implILS8_3ELb0ES6_jNS0_17counting_iteratorIjlEEPS9_SE_NS0_5tupleIJPjSE_EEENSF_IJSE_SE_EEES9_SG_JZNS1_25segmented_radix_sort_implINS0_14default_configELb0EPKlPlSM_SN_N2at6native12_GLOBAL__N_18offset_tEEE10hipError_tPvRmT1_PNSt15iterator_traitsISV_E10value_typeET2_T3_PNSW_IS11_E10value_typeET4_jRbjT5_S17_jjP12ihipStream_tbEUljE_EEESS_ST_SU_S11_S15_S17_T6_T7_T9_mT8_S19_bDpT10_ENKUlT_T0_E_clISt17integral_constantIbLb1EES1M_EEDaS1H_S1I_EUlS1H_E_NS1_11comp_targetILNS1_3genE10ELNS1_11target_archE1200ELNS1_3gpuE4ELNS1_3repE0EEENS1_30default_config_static_selectorELNS0_4arch9wavefront6targetE0EEEvSV_.uses_vcc, 0
	.set _ZN7rocprim17ROCPRIM_400000_NS6detail17trampoline_kernelINS0_13select_configILj256ELj13ELNS0_17block_load_methodE3ELS4_3ELS4_3ELNS0_20block_scan_algorithmE0ELj4294967295EEENS1_25partition_config_selectorILNS1_17partition_subalgoE3EjNS0_10empty_typeEbEEZZNS1_14partition_implILS8_3ELb0ES6_jNS0_17counting_iteratorIjlEEPS9_SE_NS0_5tupleIJPjSE_EEENSF_IJSE_SE_EEES9_SG_JZNS1_25segmented_radix_sort_implINS0_14default_configELb0EPKlPlSM_SN_N2at6native12_GLOBAL__N_18offset_tEEE10hipError_tPvRmT1_PNSt15iterator_traitsISV_E10value_typeET2_T3_PNSW_IS11_E10value_typeET4_jRbjT5_S17_jjP12ihipStream_tbEUljE_EEESS_ST_SU_S11_S15_S17_T6_T7_T9_mT8_S19_bDpT10_ENKUlT_T0_E_clISt17integral_constantIbLb1EES1M_EEDaS1H_S1I_EUlS1H_E_NS1_11comp_targetILNS1_3genE10ELNS1_11target_archE1200ELNS1_3gpuE4ELNS1_3repE0EEENS1_30default_config_static_selectorELNS0_4arch9wavefront6targetE0EEEvSV_.uses_flat_scratch, 0
	.set _ZN7rocprim17ROCPRIM_400000_NS6detail17trampoline_kernelINS0_13select_configILj256ELj13ELNS0_17block_load_methodE3ELS4_3ELS4_3ELNS0_20block_scan_algorithmE0ELj4294967295EEENS1_25partition_config_selectorILNS1_17partition_subalgoE3EjNS0_10empty_typeEbEEZZNS1_14partition_implILS8_3ELb0ES6_jNS0_17counting_iteratorIjlEEPS9_SE_NS0_5tupleIJPjSE_EEENSF_IJSE_SE_EEES9_SG_JZNS1_25segmented_radix_sort_implINS0_14default_configELb0EPKlPlSM_SN_N2at6native12_GLOBAL__N_18offset_tEEE10hipError_tPvRmT1_PNSt15iterator_traitsISV_E10value_typeET2_T3_PNSW_IS11_E10value_typeET4_jRbjT5_S17_jjP12ihipStream_tbEUljE_EEESS_ST_SU_S11_S15_S17_T6_T7_T9_mT8_S19_bDpT10_ENKUlT_T0_E_clISt17integral_constantIbLb1EES1M_EEDaS1H_S1I_EUlS1H_E_NS1_11comp_targetILNS1_3genE10ELNS1_11target_archE1200ELNS1_3gpuE4ELNS1_3repE0EEENS1_30default_config_static_selectorELNS0_4arch9wavefront6targetE0EEEvSV_.has_dyn_sized_stack, 0
	.set _ZN7rocprim17ROCPRIM_400000_NS6detail17trampoline_kernelINS0_13select_configILj256ELj13ELNS0_17block_load_methodE3ELS4_3ELS4_3ELNS0_20block_scan_algorithmE0ELj4294967295EEENS1_25partition_config_selectorILNS1_17partition_subalgoE3EjNS0_10empty_typeEbEEZZNS1_14partition_implILS8_3ELb0ES6_jNS0_17counting_iteratorIjlEEPS9_SE_NS0_5tupleIJPjSE_EEENSF_IJSE_SE_EEES9_SG_JZNS1_25segmented_radix_sort_implINS0_14default_configELb0EPKlPlSM_SN_N2at6native12_GLOBAL__N_18offset_tEEE10hipError_tPvRmT1_PNSt15iterator_traitsISV_E10value_typeET2_T3_PNSW_IS11_E10value_typeET4_jRbjT5_S17_jjP12ihipStream_tbEUljE_EEESS_ST_SU_S11_S15_S17_T6_T7_T9_mT8_S19_bDpT10_ENKUlT_T0_E_clISt17integral_constantIbLb1EES1M_EEDaS1H_S1I_EUlS1H_E_NS1_11comp_targetILNS1_3genE10ELNS1_11target_archE1200ELNS1_3gpuE4ELNS1_3repE0EEENS1_30default_config_static_selectorELNS0_4arch9wavefront6targetE0EEEvSV_.has_recursion, 0
	.set _ZN7rocprim17ROCPRIM_400000_NS6detail17trampoline_kernelINS0_13select_configILj256ELj13ELNS0_17block_load_methodE3ELS4_3ELS4_3ELNS0_20block_scan_algorithmE0ELj4294967295EEENS1_25partition_config_selectorILNS1_17partition_subalgoE3EjNS0_10empty_typeEbEEZZNS1_14partition_implILS8_3ELb0ES6_jNS0_17counting_iteratorIjlEEPS9_SE_NS0_5tupleIJPjSE_EEENSF_IJSE_SE_EEES9_SG_JZNS1_25segmented_radix_sort_implINS0_14default_configELb0EPKlPlSM_SN_N2at6native12_GLOBAL__N_18offset_tEEE10hipError_tPvRmT1_PNSt15iterator_traitsISV_E10value_typeET2_T3_PNSW_IS11_E10value_typeET4_jRbjT5_S17_jjP12ihipStream_tbEUljE_EEESS_ST_SU_S11_S15_S17_T6_T7_T9_mT8_S19_bDpT10_ENKUlT_T0_E_clISt17integral_constantIbLb1EES1M_EEDaS1H_S1I_EUlS1H_E_NS1_11comp_targetILNS1_3genE10ELNS1_11target_archE1200ELNS1_3gpuE4ELNS1_3repE0EEENS1_30default_config_static_selectorELNS0_4arch9wavefront6targetE0EEEvSV_.has_indirect_call, 0
	.section	.AMDGPU.csdata,"",@progbits
; Kernel info:
; codeLenInByte = 0
; TotalNumSgprs: 0
; NumVgprs: 0
; ScratchSize: 0
; MemoryBound: 0
; FloatMode: 240
; IeeeMode: 1
; LDSByteSize: 0 bytes/workgroup (compile time only)
; SGPRBlocks: 0
; VGPRBlocks: 0
; NumSGPRsForWavesPerEU: 1
; NumVGPRsForWavesPerEU: 1
; Occupancy: 16
; WaveLimiterHint : 0
; COMPUTE_PGM_RSRC2:SCRATCH_EN: 0
; COMPUTE_PGM_RSRC2:USER_SGPR: 6
; COMPUTE_PGM_RSRC2:TRAP_HANDLER: 0
; COMPUTE_PGM_RSRC2:TGID_X_EN: 1
; COMPUTE_PGM_RSRC2:TGID_Y_EN: 0
; COMPUTE_PGM_RSRC2:TGID_Z_EN: 0
; COMPUTE_PGM_RSRC2:TIDIG_COMP_CNT: 0
	.section	.text._ZN7rocprim17ROCPRIM_400000_NS6detail17trampoline_kernelINS0_13select_configILj256ELj13ELNS0_17block_load_methodE3ELS4_3ELS4_3ELNS0_20block_scan_algorithmE0ELj4294967295EEENS1_25partition_config_selectorILNS1_17partition_subalgoE3EjNS0_10empty_typeEbEEZZNS1_14partition_implILS8_3ELb0ES6_jNS0_17counting_iteratorIjlEEPS9_SE_NS0_5tupleIJPjSE_EEENSF_IJSE_SE_EEES9_SG_JZNS1_25segmented_radix_sort_implINS0_14default_configELb0EPKlPlSM_SN_N2at6native12_GLOBAL__N_18offset_tEEE10hipError_tPvRmT1_PNSt15iterator_traitsISV_E10value_typeET2_T3_PNSW_IS11_E10value_typeET4_jRbjT5_S17_jjP12ihipStream_tbEUljE_EEESS_ST_SU_S11_S15_S17_T6_T7_T9_mT8_S19_bDpT10_ENKUlT_T0_E_clISt17integral_constantIbLb1EES1M_EEDaS1H_S1I_EUlS1H_E_NS1_11comp_targetILNS1_3genE9ELNS1_11target_archE1100ELNS1_3gpuE3ELNS1_3repE0EEENS1_30default_config_static_selectorELNS0_4arch9wavefront6targetE0EEEvSV_,"axG",@progbits,_ZN7rocprim17ROCPRIM_400000_NS6detail17trampoline_kernelINS0_13select_configILj256ELj13ELNS0_17block_load_methodE3ELS4_3ELS4_3ELNS0_20block_scan_algorithmE0ELj4294967295EEENS1_25partition_config_selectorILNS1_17partition_subalgoE3EjNS0_10empty_typeEbEEZZNS1_14partition_implILS8_3ELb0ES6_jNS0_17counting_iteratorIjlEEPS9_SE_NS0_5tupleIJPjSE_EEENSF_IJSE_SE_EEES9_SG_JZNS1_25segmented_radix_sort_implINS0_14default_configELb0EPKlPlSM_SN_N2at6native12_GLOBAL__N_18offset_tEEE10hipError_tPvRmT1_PNSt15iterator_traitsISV_E10value_typeET2_T3_PNSW_IS11_E10value_typeET4_jRbjT5_S17_jjP12ihipStream_tbEUljE_EEESS_ST_SU_S11_S15_S17_T6_T7_T9_mT8_S19_bDpT10_ENKUlT_T0_E_clISt17integral_constantIbLb1EES1M_EEDaS1H_S1I_EUlS1H_E_NS1_11comp_targetILNS1_3genE9ELNS1_11target_archE1100ELNS1_3gpuE3ELNS1_3repE0EEENS1_30default_config_static_selectorELNS0_4arch9wavefront6targetE0EEEvSV_,comdat
	.globl	_ZN7rocprim17ROCPRIM_400000_NS6detail17trampoline_kernelINS0_13select_configILj256ELj13ELNS0_17block_load_methodE3ELS4_3ELS4_3ELNS0_20block_scan_algorithmE0ELj4294967295EEENS1_25partition_config_selectorILNS1_17partition_subalgoE3EjNS0_10empty_typeEbEEZZNS1_14partition_implILS8_3ELb0ES6_jNS0_17counting_iteratorIjlEEPS9_SE_NS0_5tupleIJPjSE_EEENSF_IJSE_SE_EEES9_SG_JZNS1_25segmented_radix_sort_implINS0_14default_configELb0EPKlPlSM_SN_N2at6native12_GLOBAL__N_18offset_tEEE10hipError_tPvRmT1_PNSt15iterator_traitsISV_E10value_typeET2_T3_PNSW_IS11_E10value_typeET4_jRbjT5_S17_jjP12ihipStream_tbEUljE_EEESS_ST_SU_S11_S15_S17_T6_T7_T9_mT8_S19_bDpT10_ENKUlT_T0_E_clISt17integral_constantIbLb1EES1M_EEDaS1H_S1I_EUlS1H_E_NS1_11comp_targetILNS1_3genE9ELNS1_11target_archE1100ELNS1_3gpuE3ELNS1_3repE0EEENS1_30default_config_static_selectorELNS0_4arch9wavefront6targetE0EEEvSV_ ; -- Begin function _ZN7rocprim17ROCPRIM_400000_NS6detail17trampoline_kernelINS0_13select_configILj256ELj13ELNS0_17block_load_methodE3ELS4_3ELS4_3ELNS0_20block_scan_algorithmE0ELj4294967295EEENS1_25partition_config_selectorILNS1_17partition_subalgoE3EjNS0_10empty_typeEbEEZZNS1_14partition_implILS8_3ELb0ES6_jNS0_17counting_iteratorIjlEEPS9_SE_NS0_5tupleIJPjSE_EEENSF_IJSE_SE_EEES9_SG_JZNS1_25segmented_radix_sort_implINS0_14default_configELb0EPKlPlSM_SN_N2at6native12_GLOBAL__N_18offset_tEEE10hipError_tPvRmT1_PNSt15iterator_traitsISV_E10value_typeET2_T3_PNSW_IS11_E10value_typeET4_jRbjT5_S17_jjP12ihipStream_tbEUljE_EEESS_ST_SU_S11_S15_S17_T6_T7_T9_mT8_S19_bDpT10_ENKUlT_T0_E_clISt17integral_constantIbLb1EES1M_EEDaS1H_S1I_EUlS1H_E_NS1_11comp_targetILNS1_3genE9ELNS1_11target_archE1100ELNS1_3gpuE3ELNS1_3repE0EEENS1_30default_config_static_selectorELNS0_4arch9wavefront6targetE0EEEvSV_
	.p2align	8
	.type	_ZN7rocprim17ROCPRIM_400000_NS6detail17trampoline_kernelINS0_13select_configILj256ELj13ELNS0_17block_load_methodE3ELS4_3ELS4_3ELNS0_20block_scan_algorithmE0ELj4294967295EEENS1_25partition_config_selectorILNS1_17partition_subalgoE3EjNS0_10empty_typeEbEEZZNS1_14partition_implILS8_3ELb0ES6_jNS0_17counting_iteratorIjlEEPS9_SE_NS0_5tupleIJPjSE_EEENSF_IJSE_SE_EEES9_SG_JZNS1_25segmented_radix_sort_implINS0_14default_configELb0EPKlPlSM_SN_N2at6native12_GLOBAL__N_18offset_tEEE10hipError_tPvRmT1_PNSt15iterator_traitsISV_E10value_typeET2_T3_PNSW_IS11_E10value_typeET4_jRbjT5_S17_jjP12ihipStream_tbEUljE_EEESS_ST_SU_S11_S15_S17_T6_T7_T9_mT8_S19_bDpT10_ENKUlT_T0_E_clISt17integral_constantIbLb1EES1M_EEDaS1H_S1I_EUlS1H_E_NS1_11comp_targetILNS1_3genE9ELNS1_11target_archE1100ELNS1_3gpuE3ELNS1_3repE0EEENS1_30default_config_static_selectorELNS0_4arch9wavefront6targetE0EEEvSV_,@function
_ZN7rocprim17ROCPRIM_400000_NS6detail17trampoline_kernelINS0_13select_configILj256ELj13ELNS0_17block_load_methodE3ELS4_3ELS4_3ELNS0_20block_scan_algorithmE0ELj4294967295EEENS1_25partition_config_selectorILNS1_17partition_subalgoE3EjNS0_10empty_typeEbEEZZNS1_14partition_implILS8_3ELb0ES6_jNS0_17counting_iteratorIjlEEPS9_SE_NS0_5tupleIJPjSE_EEENSF_IJSE_SE_EEES9_SG_JZNS1_25segmented_radix_sort_implINS0_14default_configELb0EPKlPlSM_SN_N2at6native12_GLOBAL__N_18offset_tEEE10hipError_tPvRmT1_PNSt15iterator_traitsISV_E10value_typeET2_T3_PNSW_IS11_E10value_typeET4_jRbjT5_S17_jjP12ihipStream_tbEUljE_EEESS_ST_SU_S11_S15_S17_T6_T7_T9_mT8_S19_bDpT10_ENKUlT_T0_E_clISt17integral_constantIbLb1EES1M_EEDaS1H_S1I_EUlS1H_E_NS1_11comp_targetILNS1_3genE9ELNS1_11target_archE1100ELNS1_3gpuE3ELNS1_3repE0EEENS1_30default_config_static_selectorELNS0_4arch9wavefront6targetE0EEEvSV_: ; @_ZN7rocprim17ROCPRIM_400000_NS6detail17trampoline_kernelINS0_13select_configILj256ELj13ELNS0_17block_load_methodE3ELS4_3ELS4_3ELNS0_20block_scan_algorithmE0ELj4294967295EEENS1_25partition_config_selectorILNS1_17partition_subalgoE3EjNS0_10empty_typeEbEEZZNS1_14partition_implILS8_3ELb0ES6_jNS0_17counting_iteratorIjlEEPS9_SE_NS0_5tupleIJPjSE_EEENSF_IJSE_SE_EEES9_SG_JZNS1_25segmented_radix_sort_implINS0_14default_configELb0EPKlPlSM_SN_N2at6native12_GLOBAL__N_18offset_tEEE10hipError_tPvRmT1_PNSt15iterator_traitsISV_E10value_typeET2_T3_PNSW_IS11_E10value_typeET4_jRbjT5_S17_jjP12ihipStream_tbEUljE_EEESS_ST_SU_S11_S15_S17_T6_T7_T9_mT8_S19_bDpT10_ENKUlT_T0_E_clISt17integral_constantIbLb1EES1M_EEDaS1H_S1I_EUlS1H_E_NS1_11comp_targetILNS1_3genE9ELNS1_11target_archE1100ELNS1_3gpuE3ELNS1_3repE0EEENS1_30default_config_static_selectorELNS0_4arch9wavefront6targetE0EEEvSV_
; %bb.0:
	.section	.rodata,"a",@progbits
	.p2align	6, 0x0
	.amdhsa_kernel _ZN7rocprim17ROCPRIM_400000_NS6detail17trampoline_kernelINS0_13select_configILj256ELj13ELNS0_17block_load_methodE3ELS4_3ELS4_3ELNS0_20block_scan_algorithmE0ELj4294967295EEENS1_25partition_config_selectorILNS1_17partition_subalgoE3EjNS0_10empty_typeEbEEZZNS1_14partition_implILS8_3ELb0ES6_jNS0_17counting_iteratorIjlEEPS9_SE_NS0_5tupleIJPjSE_EEENSF_IJSE_SE_EEES9_SG_JZNS1_25segmented_radix_sort_implINS0_14default_configELb0EPKlPlSM_SN_N2at6native12_GLOBAL__N_18offset_tEEE10hipError_tPvRmT1_PNSt15iterator_traitsISV_E10value_typeET2_T3_PNSW_IS11_E10value_typeET4_jRbjT5_S17_jjP12ihipStream_tbEUljE_EEESS_ST_SU_S11_S15_S17_T6_T7_T9_mT8_S19_bDpT10_ENKUlT_T0_E_clISt17integral_constantIbLb1EES1M_EEDaS1H_S1I_EUlS1H_E_NS1_11comp_targetILNS1_3genE9ELNS1_11target_archE1100ELNS1_3gpuE3ELNS1_3repE0EEENS1_30default_config_static_selectorELNS0_4arch9wavefront6targetE0EEEvSV_
		.amdhsa_group_segment_fixed_size 0
		.amdhsa_private_segment_fixed_size 0
		.amdhsa_kernarg_size 152
		.amdhsa_user_sgpr_count 6
		.amdhsa_user_sgpr_private_segment_buffer 1
		.amdhsa_user_sgpr_dispatch_ptr 0
		.amdhsa_user_sgpr_queue_ptr 0
		.amdhsa_user_sgpr_kernarg_segment_ptr 1
		.amdhsa_user_sgpr_dispatch_id 0
		.amdhsa_user_sgpr_flat_scratch_init 0
		.amdhsa_user_sgpr_private_segment_size 0
		.amdhsa_wavefront_size32 1
		.amdhsa_uses_dynamic_stack 0
		.amdhsa_system_sgpr_private_segment_wavefront_offset 0
		.amdhsa_system_sgpr_workgroup_id_x 1
		.amdhsa_system_sgpr_workgroup_id_y 0
		.amdhsa_system_sgpr_workgroup_id_z 0
		.amdhsa_system_sgpr_workgroup_info 0
		.amdhsa_system_vgpr_workitem_id 0
		.amdhsa_next_free_vgpr 1
		.amdhsa_next_free_sgpr 1
		.amdhsa_reserve_vcc 0
		.amdhsa_reserve_flat_scratch 0
		.amdhsa_float_round_mode_32 0
		.amdhsa_float_round_mode_16_64 0
		.amdhsa_float_denorm_mode_32 3
		.amdhsa_float_denorm_mode_16_64 3
		.amdhsa_dx10_clamp 1
		.amdhsa_ieee_mode 1
		.amdhsa_fp16_overflow 0
		.amdhsa_workgroup_processor_mode 1
		.amdhsa_memory_ordered 1
		.amdhsa_forward_progress 1
		.amdhsa_shared_vgpr_count 0
		.amdhsa_exception_fp_ieee_invalid_op 0
		.amdhsa_exception_fp_denorm_src 0
		.amdhsa_exception_fp_ieee_div_zero 0
		.amdhsa_exception_fp_ieee_overflow 0
		.amdhsa_exception_fp_ieee_underflow 0
		.amdhsa_exception_fp_ieee_inexact 0
		.amdhsa_exception_int_div_zero 0
	.end_amdhsa_kernel
	.section	.text._ZN7rocprim17ROCPRIM_400000_NS6detail17trampoline_kernelINS0_13select_configILj256ELj13ELNS0_17block_load_methodE3ELS4_3ELS4_3ELNS0_20block_scan_algorithmE0ELj4294967295EEENS1_25partition_config_selectorILNS1_17partition_subalgoE3EjNS0_10empty_typeEbEEZZNS1_14partition_implILS8_3ELb0ES6_jNS0_17counting_iteratorIjlEEPS9_SE_NS0_5tupleIJPjSE_EEENSF_IJSE_SE_EEES9_SG_JZNS1_25segmented_radix_sort_implINS0_14default_configELb0EPKlPlSM_SN_N2at6native12_GLOBAL__N_18offset_tEEE10hipError_tPvRmT1_PNSt15iterator_traitsISV_E10value_typeET2_T3_PNSW_IS11_E10value_typeET4_jRbjT5_S17_jjP12ihipStream_tbEUljE_EEESS_ST_SU_S11_S15_S17_T6_T7_T9_mT8_S19_bDpT10_ENKUlT_T0_E_clISt17integral_constantIbLb1EES1M_EEDaS1H_S1I_EUlS1H_E_NS1_11comp_targetILNS1_3genE9ELNS1_11target_archE1100ELNS1_3gpuE3ELNS1_3repE0EEENS1_30default_config_static_selectorELNS0_4arch9wavefront6targetE0EEEvSV_,"axG",@progbits,_ZN7rocprim17ROCPRIM_400000_NS6detail17trampoline_kernelINS0_13select_configILj256ELj13ELNS0_17block_load_methodE3ELS4_3ELS4_3ELNS0_20block_scan_algorithmE0ELj4294967295EEENS1_25partition_config_selectorILNS1_17partition_subalgoE3EjNS0_10empty_typeEbEEZZNS1_14partition_implILS8_3ELb0ES6_jNS0_17counting_iteratorIjlEEPS9_SE_NS0_5tupleIJPjSE_EEENSF_IJSE_SE_EEES9_SG_JZNS1_25segmented_radix_sort_implINS0_14default_configELb0EPKlPlSM_SN_N2at6native12_GLOBAL__N_18offset_tEEE10hipError_tPvRmT1_PNSt15iterator_traitsISV_E10value_typeET2_T3_PNSW_IS11_E10value_typeET4_jRbjT5_S17_jjP12ihipStream_tbEUljE_EEESS_ST_SU_S11_S15_S17_T6_T7_T9_mT8_S19_bDpT10_ENKUlT_T0_E_clISt17integral_constantIbLb1EES1M_EEDaS1H_S1I_EUlS1H_E_NS1_11comp_targetILNS1_3genE9ELNS1_11target_archE1100ELNS1_3gpuE3ELNS1_3repE0EEENS1_30default_config_static_selectorELNS0_4arch9wavefront6targetE0EEEvSV_,comdat
.Lfunc_end783:
	.size	_ZN7rocprim17ROCPRIM_400000_NS6detail17trampoline_kernelINS0_13select_configILj256ELj13ELNS0_17block_load_methodE3ELS4_3ELS4_3ELNS0_20block_scan_algorithmE0ELj4294967295EEENS1_25partition_config_selectorILNS1_17partition_subalgoE3EjNS0_10empty_typeEbEEZZNS1_14partition_implILS8_3ELb0ES6_jNS0_17counting_iteratorIjlEEPS9_SE_NS0_5tupleIJPjSE_EEENSF_IJSE_SE_EEES9_SG_JZNS1_25segmented_radix_sort_implINS0_14default_configELb0EPKlPlSM_SN_N2at6native12_GLOBAL__N_18offset_tEEE10hipError_tPvRmT1_PNSt15iterator_traitsISV_E10value_typeET2_T3_PNSW_IS11_E10value_typeET4_jRbjT5_S17_jjP12ihipStream_tbEUljE_EEESS_ST_SU_S11_S15_S17_T6_T7_T9_mT8_S19_bDpT10_ENKUlT_T0_E_clISt17integral_constantIbLb1EES1M_EEDaS1H_S1I_EUlS1H_E_NS1_11comp_targetILNS1_3genE9ELNS1_11target_archE1100ELNS1_3gpuE3ELNS1_3repE0EEENS1_30default_config_static_selectorELNS0_4arch9wavefront6targetE0EEEvSV_, .Lfunc_end783-_ZN7rocprim17ROCPRIM_400000_NS6detail17trampoline_kernelINS0_13select_configILj256ELj13ELNS0_17block_load_methodE3ELS4_3ELS4_3ELNS0_20block_scan_algorithmE0ELj4294967295EEENS1_25partition_config_selectorILNS1_17partition_subalgoE3EjNS0_10empty_typeEbEEZZNS1_14partition_implILS8_3ELb0ES6_jNS0_17counting_iteratorIjlEEPS9_SE_NS0_5tupleIJPjSE_EEENSF_IJSE_SE_EEES9_SG_JZNS1_25segmented_radix_sort_implINS0_14default_configELb0EPKlPlSM_SN_N2at6native12_GLOBAL__N_18offset_tEEE10hipError_tPvRmT1_PNSt15iterator_traitsISV_E10value_typeET2_T3_PNSW_IS11_E10value_typeET4_jRbjT5_S17_jjP12ihipStream_tbEUljE_EEESS_ST_SU_S11_S15_S17_T6_T7_T9_mT8_S19_bDpT10_ENKUlT_T0_E_clISt17integral_constantIbLb1EES1M_EEDaS1H_S1I_EUlS1H_E_NS1_11comp_targetILNS1_3genE9ELNS1_11target_archE1100ELNS1_3gpuE3ELNS1_3repE0EEENS1_30default_config_static_selectorELNS0_4arch9wavefront6targetE0EEEvSV_
                                        ; -- End function
	.set _ZN7rocprim17ROCPRIM_400000_NS6detail17trampoline_kernelINS0_13select_configILj256ELj13ELNS0_17block_load_methodE3ELS4_3ELS4_3ELNS0_20block_scan_algorithmE0ELj4294967295EEENS1_25partition_config_selectorILNS1_17partition_subalgoE3EjNS0_10empty_typeEbEEZZNS1_14partition_implILS8_3ELb0ES6_jNS0_17counting_iteratorIjlEEPS9_SE_NS0_5tupleIJPjSE_EEENSF_IJSE_SE_EEES9_SG_JZNS1_25segmented_radix_sort_implINS0_14default_configELb0EPKlPlSM_SN_N2at6native12_GLOBAL__N_18offset_tEEE10hipError_tPvRmT1_PNSt15iterator_traitsISV_E10value_typeET2_T3_PNSW_IS11_E10value_typeET4_jRbjT5_S17_jjP12ihipStream_tbEUljE_EEESS_ST_SU_S11_S15_S17_T6_T7_T9_mT8_S19_bDpT10_ENKUlT_T0_E_clISt17integral_constantIbLb1EES1M_EEDaS1H_S1I_EUlS1H_E_NS1_11comp_targetILNS1_3genE9ELNS1_11target_archE1100ELNS1_3gpuE3ELNS1_3repE0EEENS1_30default_config_static_selectorELNS0_4arch9wavefront6targetE0EEEvSV_.num_vgpr, 0
	.set _ZN7rocprim17ROCPRIM_400000_NS6detail17trampoline_kernelINS0_13select_configILj256ELj13ELNS0_17block_load_methodE3ELS4_3ELS4_3ELNS0_20block_scan_algorithmE0ELj4294967295EEENS1_25partition_config_selectorILNS1_17partition_subalgoE3EjNS0_10empty_typeEbEEZZNS1_14partition_implILS8_3ELb0ES6_jNS0_17counting_iteratorIjlEEPS9_SE_NS0_5tupleIJPjSE_EEENSF_IJSE_SE_EEES9_SG_JZNS1_25segmented_radix_sort_implINS0_14default_configELb0EPKlPlSM_SN_N2at6native12_GLOBAL__N_18offset_tEEE10hipError_tPvRmT1_PNSt15iterator_traitsISV_E10value_typeET2_T3_PNSW_IS11_E10value_typeET4_jRbjT5_S17_jjP12ihipStream_tbEUljE_EEESS_ST_SU_S11_S15_S17_T6_T7_T9_mT8_S19_bDpT10_ENKUlT_T0_E_clISt17integral_constantIbLb1EES1M_EEDaS1H_S1I_EUlS1H_E_NS1_11comp_targetILNS1_3genE9ELNS1_11target_archE1100ELNS1_3gpuE3ELNS1_3repE0EEENS1_30default_config_static_selectorELNS0_4arch9wavefront6targetE0EEEvSV_.num_agpr, 0
	.set _ZN7rocprim17ROCPRIM_400000_NS6detail17trampoline_kernelINS0_13select_configILj256ELj13ELNS0_17block_load_methodE3ELS4_3ELS4_3ELNS0_20block_scan_algorithmE0ELj4294967295EEENS1_25partition_config_selectorILNS1_17partition_subalgoE3EjNS0_10empty_typeEbEEZZNS1_14partition_implILS8_3ELb0ES6_jNS0_17counting_iteratorIjlEEPS9_SE_NS0_5tupleIJPjSE_EEENSF_IJSE_SE_EEES9_SG_JZNS1_25segmented_radix_sort_implINS0_14default_configELb0EPKlPlSM_SN_N2at6native12_GLOBAL__N_18offset_tEEE10hipError_tPvRmT1_PNSt15iterator_traitsISV_E10value_typeET2_T3_PNSW_IS11_E10value_typeET4_jRbjT5_S17_jjP12ihipStream_tbEUljE_EEESS_ST_SU_S11_S15_S17_T6_T7_T9_mT8_S19_bDpT10_ENKUlT_T0_E_clISt17integral_constantIbLb1EES1M_EEDaS1H_S1I_EUlS1H_E_NS1_11comp_targetILNS1_3genE9ELNS1_11target_archE1100ELNS1_3gpuE3ELNS1_3repE0EEENS1_30default_config_static_selectorELNS0_4arch9wavefront6targetE0EEEvSV_.numbered_sgpr, 0
	.set _ZN7rocprim17ROCPRIM_400000_NS6detail17trampoline_kernelINS0_13select_configILj256ELj13ELNS0_17block_load_methodE3ELS4_3ELS4_3ELNS0_20block_scan_algorithmE0ELj4294967295EEENS1_25partition_config_selectorILNS1_17partition_subalgoE3EjNS0_10empty_typeEbEEZZNS1_14partition_implILS8_3ELb0ES6_jNS0_17counting_iteratorIjlEEPS9_SE_NS0_5tupleIJPjSE_EEENSF_IJSE_SE_EEES9_SG_JZNS1_25segmented_radix_sort_implINS0_14default_configELb0EPKlPlSM_SN_N2at6native12_GLOBAL__N_18offset_tEEE10hipError_tPvRmT1_PNSt15iterator_traitsISV_E10value_typeET2_T3_PNSW_IS11_E10value_typeET4_jRbjT5_S17_jjP12ihipStream_tbEUljE_EEESS_ST_SU_S11_S15_S17_T6_T7_T9_mT8_S19_bDpT10_ENKUlT_T0_E_clISt17integral_constantIbLb1EES1M_EEDaS1H_S1I_EUlS1H_E_NS1_11comp_targetILNS1_3genE9ELNS1_11target_archE1100ELNS1_3gpuE3ELNS1_3repE0EEENS1_30default_config_static_selectorELNS0_4arch9wavefront6targetE0EEEvSV_.num_named_barrier, 0
	.set _ZN7rocprim17ROCPRIM_400000_NS6detail17trampoline_kernelINS0_13select_configILj256ELj13ELNS0_17block_load_methodE3ELS4_3ELS4_3ELNS0_20block_scan_algorithmE0ELj4294967295EEENS1_25partition_config_selectorILNS1_17partition_subalgoE3EjNS0_10empty_typeEbEEZZNS1_14partition_implILS8_3ELb0ES6_jNS0_17counting_iteratorIjlEEPS9_SE_NS0_5tupleIJPjSE_EEENSF_IJSE_SE_EEES9_SG_JZNS1_25segmented_radix_sort_implINS0_14default_configELb0EPKlPlSM_SN_N2at6native12_GLOBAL__N_18offset_tEEE10hipError_tPvRmT1_PNSt15iterator_traitsISV_E10value_typeET2_T3_PNSW_IS11_E10value_typeET4_jRbjT5_S17_jjP12ihipStream_tbEUljE_EEESS_ST_SU_S11_S15_S17_T6_T7_T9_mT8_S19_bDpT10_ENKUlT_T0_E_clISt17integral_constantIbLb1EES1M_EEDaS1H_S1I_EUlS1H_E_NS1_11comp_targetILNS1_3genE9ELNS1_11target_archE1100ELNS1_3gpuE3ELNS1_3repE0EEENS1_30default_config_static_selectorELNS0_4arch9wavefront6targetE0EEEvSV_.private_seg_size, 0
	.set _ZN7rocprim17ROCPRIM_400000_NS6detail17trampoline_kernelINS0_13select_configILj256ELj13ELNS0_17block_load_methodE3ELS4_3ELS4_3ELNS0_20block_scan_algorithmE0ELj4294967295EEENS1_25partition_config_selectorILNS1_17partition_subalgoE3EjNS0_10empty_typeEbEEZZNS1_14partition_implILS8_3ELb0ES6_jNS0_17counting_iteratorIjlEEPS9_SE_NS0_5tupleIJPjSE_EEENSF_IJSE_SE_EEES9_SG_JZNS1_25segmented_radix_sort_implINS0_14default_configELb0EPKlPlSM_SN_N2at6native12_GLOBAL__N_18offset_tEEE10hipError_tPvRmT1_PNSt15iterator_traitsISV_E10value_typeET2_T3_PNSW_IS11_E10value_typeET4_jRbjT5_S17_jjP12ihipStream_tbEUljE_EEESS_ST_SU_S11_S15_S17_T6_T7_T9_mT8_S19_bDpT10_ENKUlT_T0_E_clISt17integral_constantIbLb1EES1M_EEDaS1H_S1I_EUlS1H_E_NS1_11comp_targetILNS1_3genE9ELNS1_11target_archE1100ELNS1_3gpuE3ELNS1_3repE0EEENS1_30default_config_static_selectorELNS0_4arch9wavefront6targetE0EEEvSV_.uses_vcc, 0
	.set _ZN7rocprim17ROCPRIM_400000_NS6detail17trampoline_kernelINS0_13select_configILj256ELj13ELNS0_17block_load_methodE3ELS4_3ELS4_3ELNS0_20block_scan_algorithmE0ELj4294967295EEENS1_25partition_config_selectorILNS1_17partition_subalgoE3EjNS0_10empty_typeEbEEZZNS1_14partition_implILS8_3ELb0ES6_jNS0_17counting_iteratorIjlEEPS9_SE_NS0_5tupleIJPjSE_EEENSF_IJSE_SE_EEES9_SG_JZNS1_25segmented_radix_sort_implINS0_14default_configELb0EPKlPlSM_SN_N2at6native12_GLOBAL__N_18offset_tEEE10hipError_tPvRmT1_PNSt15iterator_traitsISV_E10value_typeET2_T3_PNSW_IS11_E10value_typeET4_jRbjT5_S17_jjP12ihipStream_tbEUljE_EEESS_ST_SU_S11_S15_S17_T6_T7_T9_mT8_S19_bDpT10_ENKUlT_T0_E_clISt17integral_constantIbLb1EES1M_EEDaS1H_S1I_EUlS1H_E_NS1_11comp_targetILNS1_3genE9ELNS1_11target_archE1100ELNS1_3gpuE3ELNS1_3repE0EEENS1_30default_config_static_selectorELNS0_4arch9wavefront6targetE0EEEvSV_.uses_flat_scratch, 0
	.set _ZN7rocprim17ROCPRIM_400000_NS6detail17trampoline_kernelINS0_13select_configILj256ELj13ELNS0_17block_load_methodE3ELS4_3ELS4_3ELNS0_20block_scan_algorithmE0ELj4294967295EEENS1_25partition_config_selectorILNS1_17partition_subalgoE3EjNS0_10empty_typeEbEEZZNS1_14partition_implILS8_3ELb0ES6_jNS0_17counting_iteratorIjlEEPS9_SE_NS0_5tupleIJPjSE_EEENSF_IJSE_SE_EEES9_SG_JZNS1_25segmented_radix_sort_implINS0_14default_configELb0EPKlPlSM_SN_N2at6native12_GLOBAL__N_18offset_tEEE10hipError_tPvRmT1_PNSt15iterator_traitsISV_E10value_typeET2_T3_PNSW_IS11_E10value_typeET4_jRbjT5_S17_jjP12ihipStream_tbEUljE_EEESS_ST_SU_S11_S15_S17_T6_T7_T9_mT8_S19_bDpT10_ENKUlT_T0_E_clISt17integral_constantIbLb1EES1M_EEDaS1H_S1I_EUlS1H_E_NS1_11comp_targetILNS1_3genE9ELNS1_11target_archE1100ELNS1_3gpuE3ELNS1_3repE0EEENS1_30default_config_static_selectorELNS0_4arch9wavefront6targetE0EEEvSV_.has_dyn_sized_stack, 0
	.set _ZN7rocprim17ROCPRIM_400000_NS6detail17trampoline_kernelINS0_13select_configILj256ELj13ELNS0_17block_load_methodE3ELS4_3ELS4_3ELNS0_20block_scan_algorithmE0ELj4294967295EEENS1_25partition_config_selectorILNS1_17partition_subalgoE3EjNS0_10empty_typeEbEEZZNS1_14partition_implILS8_3ELb0ES6_jNS0_17counting_iteratorIjlEEPS9_SE_NS0_5tupleIJPjSE_EEENSF_IJSE_SE_EEES9_SG_JZNS1_25segmented_radix_sort_implINS0_14default_configELb0EPKlPlSM_SN_N2at6native12_GLOBAL__N_18offset_tEEE10hipError_tPvRmT1_PNSt15iterator_traitsISV_E10value_typeET2_T3_PNSW_IS11_E10value_typeET4_jRbjT5_S17_jjP12ihipStream_tbEUljE_EEESS_ST_SU_S11_S15_S17_T6_T7_T9_mT8_S19_bDpT10_ENKUlT_T0_E_clISt17integral_constantIbLb1EES1M_EEDaS1H_S1I_EUlS1H_E_NS1_11comp_targetILNS1_3genE9ELNS1_11target_archE1100ELNS1_3gpuE3ELNS1_3repE0EEENS1_30default_config_static_selectorELNS0_4arch9wavefront6targetE0EEEvSV_.has_recursion, 0
	.set _ZN7rocprim17ROCPRIM_400000_NS6detail17trampoline_kernelINS0_13select_configILj256ELj13ELNS0_17block_load_methodE3ELS4_3ELS4_3ELNS0_20block_scan_algorithmE0ELj4294967295EEENS1_25partition_config_selectorILNS1_17partition_subalgoE3EjNS0_10empty_typeEbEEZZNS1_14partition_implILS8_3ELb0ES6_jNS0_17counting_iteratorIjlEEPS9_SE_NS0_5tupleIJPjSE_EEENSF_IJSE_SE_EEES9_SG_JZNS1_25segmented_radix_sort_implINS0_14default_configELb0EPKlPlSM_SN_N2at6native12_GLOBAL__N_18offset_tEEE10hipError_tPvRmT1_PNSt15iterator_traitsISV_E10value_typeET2_T3_PNSW_IS11_E10value_typeET4_jRbjT5_S17_jjP12ihipStream_tbEUljE_EEESS_ST_SU_S11_S15_S17_T6_T7_T9_mT8_S19_bDpT10_ENKUlT_T0_E_clISt17integral_constantIbLb1EES1M_EEDaS1H_S1I_EUlS1H_E_NS1_11comp_targetILNS1_3genE9ELNS1_11target_archE1100ELNS1_3gpuE3ELNS1_3repE0EEENS1_30default_config_static_selectorELNS0_4arch9wavefront6targetE0EEEvSV_.has_indirect_call, 0
	.section	.AMDGPU.csdata,"",@progbits
; Kernel info:
; codeLenInByte = 0
; TotalNumSgprs: 0
; NumVgprs: 0
; ScratchSize: 0
; MemoryBound: 0
; FloatMode: 240
; IeeeMode: 1
; LDSByteSize: 0 bytes/workgroup (compile time only)
; SGPRBlocks: 0
; VGPRBlocks: 0
; NumSGPRsForWavesPerEU: 1
; NumVGPRsForWavesPerEU: 1
; Occupancy: 16
; WaveLimiterHint : 0
; COMPUTE_PGM_RSRC2:SCRATCH_EN: 0
; COMPUTE_PGM_RSRC2:USER_SGPR: 6
; COMPUTE_PGM_RSRC2:TRAP_HANDLER: 0
; COMPUTE_PGM_RSRC2:TGID_X_EN: 1
; COMPUTE_PGM_RSRC2:TGID_Y_EN: 0
; COMPUTE_PGM_RSRC2:TGID_Z_EN: 0
; COMPUTE_PGM_RSRC2:TIDIG_COMP_CNT: 0
	.section	.text._ZN7rocprim17ROCPRIM_400000_NS6detail17trampoline_kernelINS0_13select_configILj256ELj13ELNS0_17block_load_methodE3ELS4_3ELS4_3ELNS0_20block_scan_algorithmE0ELj4294967295EEENS1_25partition_config_selectorILNS1_17partition_subalgoE3EjNS0_10empty_typeEbEEZZNS1_14partition_implILS8_3ELb0ES6_jNS0_17counting_iteratorIjlEEPS9_SE_NS0_5tupleIJPjSE_EEENSF_IJSE_SE_EEES9_SG_JZNS1_25segmented_radix_sort_implINS0_14default_configELb0EPKlPlSM_SN_N2at6native12_GLOBAL__N_18offset_tEEE10hipError_tPvRmT1_PNSt15iterator_traitsISV_E10value_typeET2_T3_PNSW_IS11_E10value_typeET4_jRbjT5_S17_jjP12ihipStream_tbEUljE_EEESS_ST_SU_S11_S15_S17_T6_T7_T9_mT8_S19_bDpT10_ENKUlT_T0_E_clISt17integral_constantIbLb1EES1M_EEDaS1H_S1I_EUlS1H_E_NS1_11comp_targetILNS1_3genE8ELNS1_11target_archE1030ELNS1_3gpuE2ELNS1_3repE0EEENS1_30default_config_static_selectorELNS0_4arch9wavefront6targetE0EEEvSV_,"axG",@progbits,_ZN7rocprim17ROCPRIM_400000_NS6detail17trampoline_kernelINS0_13select_configILj256ELj13ELNS0_17block_load_methodE3ELS4_3ELS4_3ELNS0_20block_scan_algorithmE0ELj4294967295EEENS1_25partition_config_selectorILNS1_17partition_subalgoE3EjNS0_10empty_typeEbEEZZNS1_14partition_implILS8_3ELb0ES6_jNS0_17counting_iteratorIjlEEPS9_SE_NS0_5tupleIJPjSE_EEENSF_IJSE_SE_EEES9_SG_JZNS1_25segmented_radix_sort_implINS0_14default_configELb0EPKlPlSM_SN_N2at6native12_GLOBAL__N_18offset_tEEE10hipError_tPvRmT1_PNSt15iterator_traitsISV_E10value_typeET2_T3_PNSW_IS11_E10value_typeET4_jRbjT5_S17_jjP12ihipStream_tbEUljE_EEESS_ST_SU_S11_S15_S17_T6_T7_T9_mT8_S19_bDpT10_ENKUlT_T0_E_clISt17integral_constantIbLb1EES1M_EEDaS1H_S1I_EUlS1H_E_NS1_11comp_targetILNS1_3genE8ELNS1_11target_archE1030ELNS1_3gpuE2ELNS1_3repE0EEENS1_30default_config_static_selectorELNS0_4arch9wavefront6targetE0EEEvSV_,comdat
	.globl	_ZN7rocprim17ROCPRIM_400000_NS6detail17trampoline_kernelINS0_13select_configILj256ELj13ELNS0_17block_load_methodE3ELS4_3ELS4_3ELNS0_20block_scan_algorithmE0ELj4294967295EEENS1_25partition_config_selectorILNS1_17partition_subalgoE3EjNS0_10empty_typeEbEEZZNS1_14partition_implILS8_3ELb0ES6_jNS0_17counting_iteratorIjlEEPS9_SE_NS0_5tupleIJPjSE_EEENSF_IJSE_SE_EEES9_SG_JZNS1_25segmented_radix_sort_implINS0_14default_configELb0EPKlPlSM_SN_N2at6native12_GLOBAL__N_18offset_tEEE10hipError_tPvRmT1_PNSt15iterator_traitsISV_E10value_typeET2_T3_PNSW_IS11_E10value_typeET4_jRbjT5_S17_jjP12ihipStream_tbEUljE_EEESS_ST_SU_S11_S15_S17_T6_T7_T9_mT8_S19_bDpT10_ENKUlT_T0_E_clISt17integral_constantIbLb1EES1M_EEDaS1H_S1I_EUlS1H_E_NS1_11comp_targetILNS1_3genE8ELNS1_11target_archE1030ELNS1_3gpuE2ELNS1_3repE0EEENS1_30default_config_static_selectorELNS0_4arch9wavefront6targetE0EEEvSV_ ; -- Begin function _ZN7rocprim17ROCPRIM_400000_NS6detail17trampoline_kernelINS0_13select_configILj256ELj13ELNS0_17block_load_methodE3ELS4_3ELS4_3ELNS0_20block_scan_algorithmE0ELj4294967295EEENS1_25partition_config_selectorILNS1_17partition_subalgoE3EjNS0_10empty_typeEbEEZZNS1_14partition_implILS8_3ELb0ES6_jNS0_17counting_iteratorIjlEEPS9_SE_NS0_5tupleIJPjSE_EEENSF_IJSE_SE_EEES9_SG_JZNS1_25segmented_radix_sort_implINS0_14default_configELb0EPKlPlSM_SN_N2at6native12_GLOBAL__N_18offset_tEEE10hipError_tPvRmT1_PNSt15iterator_traitsISV_E10value_typeET2_T3_PNSW_IS11_E10value_typeET4_jRbjT5_S17_jjP12ihipStream_tbEUljE_EEESS_ST_SU_S11_S15_S17_T6_T7_T9_mT8_S19_bDpT10_ENKUlT_T0_E_clISt17integral_constantIbLb1EES1M_EEDaS1H_S1I_EUlS1H_E_NS1_11comp_targetILNS1_3genE8ELNS1_11target_archE1030ELNS1_3gpuE2ELNS1_3repE0EEENS1_30default_config_static_selectorELNS0_4arch9wavefront6targetE0EEEvSV_
	.p2align	8
	.type	_ZN7rocprim17ROCPRIM_400000_NS6detail17trampoline_kernelINS0_13select_configILj256ELj13ELNS0_17block_load_methodE3ELS4_3ELS4_3ELNS0_20block_scan_algorithmE0ELj4294967295EEENS1_25partition_config_selectorILNS1_17partition_subalgoE3EjNS0_10empty_typeEbEEZZNS1_14partition_implILS8_3ELb0ES6_jNS0_17counting_iteratorIjlEEPS9_SE_NS0_5tupleIJPjSE_EEENSF_IJSE_SE_EEES9_SG_JZNS1_25segmented_radix_sort_implINS0_14default_configELb0EPKlPlSM_SN_N2at6native12_GLOBAL__N_18offset_tEEE10hipError_tPvRmT1_PNSt15iterator_traitsISV_E10value_typeET2_T3_PNSW_IS11_E10value_typeET4_jRbjT5_S17_jjP12ihipStream_tbEUljE_EEESS_ST_SU_S11_S15_S17_T6_T7_T9_mT8_S19_bDpT10_ENKUlT_T0_E_clISt17integral_constantIbLb1EES1M_EEDaS1H_S1I_EUlS1H_E_NS1_11comp_targetILNS1_3genE8ELNS1_11target_archE1030ELNS1_3gpuE2ELNS1_3repE0EEENS1_30default_config_static_selectorELNS0_4arch9wavefront6targetE0EEEvSV_,@function
_ZN7rocprim17ROCPRIM_400000_NS6detail17trampoline_kernelINS0_13select_configILj256ELj13ELNS0_17block_load_methodE3ELS4_3ELS4_3ELNS0_20block_scan_algorithmE0ELj4294967295EEENS1_25partition_config_selectorILNS1_17partition_subalgoE3EjNS0_10empty_typeEbEEZZNS1_14partition_implILS8_3ELb0ES6_jNS0_17counting_iteratorIjlEEPS9_SE_NS0_5tupleIJPjSE_EEENSF_IJSE_SE_EEES9_SG_JZNS1_25segmented_radix_sort_implINS0_14default_configELb0EPKlPlSM_SN_N2at6native12_GLOBAL__N_18offset_tEEE10hipError_tPvRmT1_PNSt15iterator_traitsISV_E10value_typeET2_T3_PNSW_IS11_E10value_typeET4_jRbjT5_S17_jjP12ihipStream_tbEUljE_EEESS_ST_SU_S11_S15_S17_T6_T7_T9_mT8_S19_bDpT10_ENKUlT_T0_E_clISt17integral_constantIbLb1EES1M_EEDaS1H_S1I_EUlS1H_E_NS1_11comp_targetILNS1_3genE8ELNS1_11target_archE1030ELNS1_3gpuE2ELNS1_3repE0EEENS1_30default_config_static_selectorELNS0_4arch9wavefront6targetE0EEEvSV_: ; @_ZN7rocprim17ROCPRIM_400000_NS6detail17trampoline_kernelINS0_13select_configILj256ELj13ELNS0_17block_load_methodE3ELS4_3ELS4_3ELNS0_20block_scan_algorithmE0ELj4294967295EEENS1_25partition_config_selectorILNS1_17partition_subalgoE3EjNS0_10empty_typeEbEEZZNS1_14partition_implILS8_3ELb0ES6_jNS0_17counting_iteratorIjlEEPS9_SE_NS0_5tupleIJPjSE_EEENSF_IJSE_SE_EEES9_SG_JZNS1_25segmented_radix_sort_implINS0_14default_configELb0EPKlPlSM_SN_N2at6native12_GLOBAL__N_18offset_tEEE10hipError_tPvRmT1_PNSt15iterator_traitsISV_E10value_typeET2_T3_PNSW_IS11_E10value_typeET4_jRbjT5_S17_jjP12ihipStream_tbEUljE_EEESS_ST_SU_S11_S15_S17_T6_T7_T9_mT8_S19_bDpT10_ENKUlT_T0_E_clISt17integral_constantIbLb1EES1M_EEDaS1H_S1I_EUlS1H_E_NS1_11comp_targetILNS1_3genE8ELNS1_11target_archE1030ELNS1_3gpuE2ELNS1_3repE0EEENS1_30default_config_static_selectorELNS0_4arch9wavefront6targetE0EEEvSV_
; %bb.0:
	s_endpgm
	.section	.rodata,"a",@progbits
	.p2align	6, 0x0
	.amdhsa_kernel _ZN7rocprim17ROCPRIM_400000_NS6detail17trampoline_kernelINS0_13select_configILj256ELj13ELNS0_17block_load_methodE3ELS4_3ELS4_3ELNS0_20block_scan_algorithmE0ELj4294967295EEENS1_25partition_config_selectorILNS1_17partition_subalgoE3EjNS0_10empty_typeEbEEZZNS1_14partition_implILS8_3ELb0ES6_jNS0_17counting_iteratorIjlEEPS9_SE_NS0_5tupleIJPjSE_EEENSF_IJSE_SE_EEES9_SG_JZNS1_25segmented_radix_sort_implINS0_14default_configELb0EPKlPlSM_SN_N2at6native12_GLOBAL__N_18offset_tEEE10hipError_tPvRmT1_PNSt15iterator_traitsISV_E10value_typeET2_T3_PNSW_IS11_E10value_typeET4_jRbjT5_S17_jjP12ihipStream_tbEUljE_EEESS_ST_SU_S11_S15_S17_T6_T7_T9_mT8_S19_bDpT10_ENKUlT_T0_E_clISt17integral_constantIbLb1EES1M_EEDaS1H_S1I_EUlS1H_E_NS1_11comp_targetILNS1_3genE8ELNS1_11target_archE1030ELNS1_3gpuE2ELNS1_3repE0EEENS1_30default_config_static_selectorELNS0_4arch9wavefront6targetE0EEEvSV_
		.amdhsa_group_segment_fixed_size 0
		.amdhsa_private_segment_fixed_size 0
		.amdhsa_kernarg_size 152
		.amdhsa_user_sgpr_count 6
		.amdhsa_user_sgpr_private_segment_buffer 1
		.amdhsa_user_sgpr_dispatch_ptr 0
		.amdhsa_user_sgpr_queue_ptr 0
		.amdhsa_user_sgpr_kernarg_segment_ptr 1
		.amdhsa_user_sgpr_dispatch_id 0
		.amdhsa_user_sgpr_flat_scratch_init 0
		.amdhsa_user_sgpr_private_segment_size 0
		.amdhsa_wavefront_size32 1
		.amdhsa_uses_dynamic_stack 0
		.amdhsa_system_sgpr_private_segment_wavefront_offset 0
		.amdhsa_system_sgpr_workgroup_id_x 1
		.amdhsa_system_sgpr_workgroup_id_y 0
		.amdhsa_system_sgpr_workgroup_id_z 0
		.amdhsa_system_sgpr_workgroup_info 0
		.amdhsa_system_vgpr_workitem_id 0
		.amdhsa_next_free_vgpr 1
		.amdhsa_next_free_sgpr 1
		.amdhsa_reserve_vcc 0
		.amdhsa_reserve_flat_scratch 0
		.amdhsa_float_round_mode_32 0
		.amdhsa_float_round_mode_16_64 0
		.amdhsa_float_denorm_mode_32 3
		.amdhsa_float_denorm_mode_16_64 3
		.amdhsa_dx10_clamp 1
		.amdhsa_ieee_mode 1
		.amdhsa_fp16_overflow 0
		.amdhsa_workgroup_processor_mode 1
		.amdhsa_memory_ordered 1
		.amdhsa_forward_progress 1
		.amdhsa_shared_vgpr_count 0
		.amdhsa_exception_fp_ieee_invalid_op 0
		.amdhsa_exception_fp_denorm_src 0
		.amdhsa_exception_fp_ieee_div_zero 0
		.amdhsa_exception_fp_ieee_overflow 0
		.amdhsa_exception_fp_ieee_underflow 0
		.amdhsa_exception_fp_ieee_inexact 0
		.amdhsa_exception_int_div_zero 0
	.end_amdhsa_kernel
	.section	.text._ZN7rocprim17ROCPRIM_400000_NS6detail17trampoline_kernelINS0_13select_configILj256ELj13ELNS0_17block_load_methodE3ELS4_3ELS4_3ELNS0_20block_scan_algorithmE0ELj4294967295EEENS1_25partition_config_selectorILNS1_17partition_subalgoE3EjNS0_10empty_typeEbEEZZNS1_14partition_implILS8_3ELb0ES6_jNS0_17counting_iteratorIjlEEPS9_SE_NS0_5tupleIJPjSE_EEENSF_IJSE_SE_EEES9_SG_JZNS1_25segmented_radix_sort_implINS0_14default_configELb0EPKlPlSM_SN_N2at6native12_GLOBAL__N_18offset_tEEE10hipError_tPvRmT1_PNSt15iterator_traitsISV_E10value_typeET2_T3_PNSW_IS11_E10value_typeET4_jRbjT5_S17_jjP12ihipStream_tbEUljE_EEESS_ST_SU_S11_S15_S17_T6_T7_T9_mT8_S19_bDpT10_ENKUlT_T0_E_clISt17integral_constantIbLb1EES1M_EEDaS1H_S1I_EUlS1H_E_NS1_11comp_targetILNS1_3genE8ELNS1_11target_archE1030ELNS1_3gpuE2ELNS1_3repE0EEENS1_30default_config_static_selectorELNS0_4arch9wavefront6targetE0EEEvSV_,"axG",@progbits,_ZN7rocprim17ROCPRIM_400000_NS6detail17trampoline_kernelINS0_13select_configILj256ELj13ELNS0_17block_load_methodE3ELS4_3ELS4_3ELNS0_20block_scan_algorithmE0ELj4294967295EEENS1_25partition_config_selectorILNS1_17partition_subalgoE3EjNS0_10empty_typeEbEEZZNS1_14partition_implILS8_3ELb0ES6_jNS0_17counting_iteratorIjlEEPS9_SE_NS0_5tupleIJPjSE_EEENSF_IJSE_SE_EEES9_SG_JZNS1_25segmented_radix_sort_implINS0_14default_configELb0EPKlPlSM_SN_N2at6native12_GLOBAL__N_18offset_tEEE10hipError_tPvRmT1_PNSt15iterator_traitsISV_E10value_typeET2_T3_PNSW_IS11_E10value_typeET4_jRbjT5_S17_jjP12ihipStream_tbEUljE_EEESS_ST_SU_S11_S15_S17_T6_T7_T9_mT8_S19_bDpT10_ENKUlT_T0_E_clISt17integral_constantIbLb1EES1M_EEDaS1H_S1I_EUlS1H_E_NS1_11comp_targetILNS1_3genE8ELNS1_11target_archE1030ELNS1_3gpuE2ELNS1_3repE0EEENS1_30default_config_static_selectorELNS0_4arch9wavefront6targetE0EEEvSV_,comdat
.Lfunc_end784:
	.size	_ZN7rocprim17ROCPRIM_400000_NS6detail17trampoline_kernelINS0_13select_configILj256ELj13ELNS0_17block_load_methodE3ELS4_3ELS4_3ELNS0_20block_scan_algorithmE0ELj4294967295EEENS1_25partition_config_selectorILNS1_17partition_subalgoE3EjNS0_10empty_typeEbEEZZNS1_14partition_implILS8_3ELb0ES6_jNS0_17counting_iteratorIjlEEPS9_SE_NS0_5tupleIJPjSE_EEENSF_IJSE_SE_EEES9_SG_JZNS1_25segmented_radix_sort_implINS0_14default_configELb0EPKlPlSM_SN_N2at6native12_GLOBAL__N_18offset_tEEE10hipError_tPvRmT1_PNSt15iterator_traitsISV_E10value_typeET2_T3_PNSW_IS11_E10value_typeET4_jRbjT5_S17_jjP12ihipStream_tbEUljE_EEESS_ST_SU_S11_S15_S17_T6_T7_T9_mT8_S19_bDpT10_ENKUlT_T0_E_clISt17integral_constantIbLb1EES1M_EEDaS1H_S1I_EUlS1H_E_NS1_11comp_targetILNS1_3genE8ELNS1_11target_archE1030ELNS1_3gpuE2ELNS1_3repE0EEENS1_30default_config_static_selectorELNS0_4arch9wavefront6targetE0EEEvSV_, .Lfunc_end784-_ZN7rocprim17ROCPRIM_400000_NS6detail17trampoline_kernelINS0_13select_configILj256ELj13ELNS0_17block_load_methodE3ELS4_3ELS4_3ELNS0_20block_scan_algorithmE0ELj4294967295EEENS1_25partition_config_selectorILNS1_17partition_subalgoE3EjNS0_10empty_typeEbEEZZNS1_14partition_implILS8_3ELb0ES6_jNS0_17counting_iteratorIjlEEPS9_SE_NS0_5tupleIJPjSE_EEENSF_IJSE_SE_EEES9_SG_JZNS1_25segmented_radix_sort_implINS0_14default_configELb0EPKlPlSM_SN_N2at6native12_GLOBAL__N_18offset_tEEE10hipError_tPvRmT1_PNSt15iterator_traitsISV_E10value_typeET2_T3_PNSW_IS11_E10value_typeET4_jRbjT5_S17_jjP12ihipStream_tbEUljE_EEESS_ST_SU_S11_S15_S17_T6_T7_T9_mT8_S19_bDpT10_ENKUlT_T0_E_clISt17integral_constantIbLb1EES1M_EEDaS1H_S1I_EUlS1H_E_NS1_11comp_targetILNS1_3genE8ELNS1_11target_archE1030ELNS1_3gpuE2ELNS1_3repE0EEENS1_30default_config_static_selectorELNS0_4arch9wavefront6targetE0EEEvSV_
                                        ; -- End function
	.set _ZN7rocprim17ROCPRIM_400000_NS6detail17trampoline_kernelINS0_13select_configILj256ELj13ELNS0_17block_load_methodE3ELS4_3ELS4_3ELNS0_20block_scan_algorithmE0ELj4294967295EEENS1_25partition_config_selectorILNS1_17partition_subalgoE3EjNS0_10empty_typeEbEEZZNS1_14partition_implILS8_3ELb0ES6_jNS0_17counting_iteratorIjlEEPS9_SE_NS0_5tupleIJPjSE_EEENSF_IJSE_SE_EEES9_SG_JZNS1_25segmented_radix_sort_implINS0_14default_configELb0EPKlPlSM_SN_N2at6native12_GLOBAL__N_18offset_tEEE10hipError_tPvRmT1_PNSt15iterator_traitsISV_E10value_typeET2_T3_PNSW_IS11_E10value_typeET4_jRbjT5_S17_jjP12ihipStream_tbEUljE_EEESS_ST_SU_S11_S15_S17_T6_T7_T9_mT8_S19_bDpT10_ENKUlT_T0_E_clISt17integral_constantIbLb1EES1M_EEDaS1H_S1I_EUlS1H_E_NS1_11comp_targetILNS1_3genE8ELNS1_11target_archE1030ELNS1_3gpuE2ELNS1_3repE0EEENS1_30default_config_static_selectorELNS0_4arch9wavefront6targetE0EEEvSV_.num_vgpr, 0
	.set _ZN7rocprim17ROCPRIM_400000_NS6detail17trampoline_kernelINS0_13select_configILj256ELj13ELNS0_17block_load_methodE3ELS4_3ELS4_3ELNS0_20block_scan_algorithmE0ELj4294967295EEENS1_25partition_config_selectorILNS1_17partition_subalgoE3EjNS0_10empty_typeEbEEZZNS1_14partition_implILS8_3ELb0ES6_jNS0_17counting_iteratorIjlEEPS9_SE_NS0_5tupleIJPjSE_EEENSF_IJSE_SE_EEES9_SG_JZNS1_25segmented_radix_sort_implINS0_14default_configELb0EPKlPlSM_SN_N2at6native12_GLOBAL__N_18offset_tEEE10hipError_tPvRmT1_PNSt15iterator_traitsISV_E10value_typeET2_T3_PNSW_IS11_E10value_typeET4_jRbjT5_S17_jjP12ihipStream_tbEUljE_EEESS_ST_SU_S11_S15_S17_T6_T7_T9_mT8_S19_bDpT10_ENKUlT_T0_E_clISt17integral_constantIbLb1EES1M_EEDaS1H_S1I_EUlS1H_E_NS1_11comp_targetILNS1_3genE8ELNS1_11target_archE1030ELNS1_3gpuE2ELNS1_3repE0EEENS1_30default_config_static_selectorELNS0_4arch9wavefront6targetE0EEEvSV_.num_agpr, 0
	.set _ZN7rocprim17ROCPRIM_400000_NS6detail17trampoline_kernelINS0_13select_configILj256ELj13ELNS0_17block_load_methodE3ELS4_3ELS4_3ELNS0_20block_scan_algorithmE0ELj4294967295EEENS1_25partition_config_selectorILNS1_17partition_subalgoE3EjNS0_10empty_typeEbEEZZNS1_14partition_implILS8_3ELb0ES6_jNS0_17counting_iteratorIjlEEPS9_SE_NS0_5tupleIJPjSE_EEENSF_IJSE_SE_EEES9_SG_JZNS1_25segmented_radix_sort_implINS0_14default_configELb0EPKlPlSM_SN_N2at6native12_GLOBAL__N_18offset_tEEE10hipError_tPvRmT1_PNSt15iterator_traitsISV_E10value_typeET2_T3_PNSW_IS11_E10value_typeET4_jRbjT5_S17_jjP12ihipStream_tbEUljE_EEESS_ST_SU_S11_S15_S17_T6_T7_T9_mT8_S19_bDpT10_ENKUlT_T0_E_clISt17integral_constantIbLb1EES1M_EEDaS1H_S1I_EUlS1H_E_NS1_11comp_targetILNS1_3genE8ELNS1_11target_archE1030ELNS1_3gpuE2ELNS1_3repE0EEENS1_30default_config_static_selectorELNS0_4arch9wavefront6targetE0EEEvSV_.numbered_sgpr, 0
	.set _ZN7rocprim17ROCPRIM_400000_NS6detail17trampoline_kernelINS0_13select_configILj256ELj13ELNS0_17block_load_methodE3ELS4_3ELS4_3ELNS0_20block_scan_algorithmE0ELj4294967295EEENS1_25partition_config_selectorILNS1_17partition_subalgoE3EjNS0_10empty_typeEbEEZZNS1_14partition_implILS8_3ELb0ES6_jNS0_17counting_iteratorIjlEEPS9_SE_NS0_5tupleIJPjSE_EEENSF_IJSE_SE_EEES9_SG_JZNS1_25segmented_radix_sort_implINS0_14default_configELb0EPKlPlSM_SN_N2at6native12_GLOBAL__N_18offset_tEEE10hipError_tPvRmT1_PNSt15iterator_traitsISV_E10value_typeET2_T3_PNSW_IS11_E10value_typeET4_jRbjT5_S17_jjP12ihipStream_tbEUljE_EEESS_ST_SU_S11_S15_S17_T6_T7_T9_mT8_S19_bDpT10_ENKUlT_T0_E_clISt17integral_constantIbLb1EES1M_EEDaS1H_S1I_EUlS1H_E_NS1_11comp_targetILNS1_3genE8ELNS1_11target_archE1030ELNS1_3gpuE2ELNS1_3repE0EEENS1_30default_config_static_selectorELNS0_4arch9wavefront6targetE0EEEvSV_.num_named_barrier, 0
	.set _ZN7rocprim17ROCPRIM_400000_NS6detail17trampoline_kernelINS0_13select_configILj256ELj13ELNS0_17block_load_methodE3ELS4_3ELS4_3ELNS0_20block_scan_algorithmE0ELj4294967295EEENS1_25partition_config_selectorILNS1_17partition_subalgoE3EjNS0_10empty_typeEbEEZZNS1_14partition_implILS8_3ELb0ES6_jNS0_17counting_iteratorIjlEEPS9_SE_NS0_5tupleIJPjSE_EEENSF_IJSE_SE_EEES9_SG_JZNS1_25segmented_radix_sort_implINS0_14default_configELb0EPKlPlSM_SN_N2at6native12_GLOBAL__N_18offset_tEEE10hipError_tPvRmT1_PNSt15iterator_traitsISV_E10value_typeET2_T3_PNSW_IS11_E10value_typeET4_jRbjT5_S17_jjP12ihipStream_tbEUljE_EEESS_ST_SU_S11_S15_S17_T6_T7_T9_mT8_S19_bDpT10_ENKUlT_T0_E_clISt17integral_constantIbLb1EES1M_EEDaS1H_S1I_EUlS1H_E_NS1_11comp_targetILNS1_3genE8ELNS1_11target_archE1030ELNS1_3gpuE2ELNS1_3repE0EEENS1_30default_config_static_selectorELNS0_4arch9wavefront6targetE0EEEvSV_.private_seg_size, 0
	.set _ZN7rocprim17ROCPRIM_400000_NS6detail17trampoline_kernelINS0_13select_configILj256ELj13ELNS0_17block_load_methodE3ELS4_3ELS4_3ELNS0_20block_scan_algorithmE0ELj4294967295EEENS1_25partition_config_selectorILNS1_17partition_subalgoE3EjNS0_10empty_typeEbEEZZNS1_14partition_implILS8_3ELb0ES6_jNS0_17counting_iteratorIjlEEPS9_SE_NS0_5tupleIJPjSE_EEENSF_IJSE_SE_EEES9_SG_JZNS1_25segmented_radix_sort_implINS0_14default_configELb0EPKlPlSM_SN_N2at6native12_GLOBAL__N_18offset_tEEE10hipError_tPvRmT1_PNSt15iterator_traitsISV_E10value_typeET2_T3_PNSW_IS11_E10value_typeET4_jRbjT5_S17_jjP12ihipStream_tbEUljE_EEESS_ST_SU_S11_S15_S17_T6_T7_T9_mT8_S19_bDpT10_ENKUlT_T0_E_clISt17integral_constantIbLb1EES1M_EEDaS1H_S1I_EUlS1H_E_NS1_11comp_targetILNS1_3genE8ELNS1_11target_archE1030ELNS1_3gpuE2ELNS1_3repE0EEENS1_30default_config_static_selectorELNS0_4arch9wavefront6targetE0EEEvSV_.uses_vcc, 0
	.set _ZN7rocprim17ROCPRIM_400000_NS6detail17trampoline_kernelINS0_13select_configILj256ELj13ELNS0_17block_load_methodE3ELS4_3ELS4_3ELNS0_20block_scan_algorithmE0ELj4294967295EEENS1_25partition_config_selectorILNS1_17partition_subalgoE3EjNS0_10empty_typeEbEEZZNS1_14partition_implILS8_3ELb0ES6_jNS0_17counting_iteratorIjlEEPS9_SE_NS0_5tupleIJPjSE_EEENSF_IJSE_SE_EEES9_SG_JZNS1_25segmented_radix_sort_implINS0_14default_configELb0EPKlPlSM_SN_N2at6native12_GLOBAL__N_18offset_tEEE10hipError_tPvRmT1_PNSt15iterator_traitsISV_E10value_typeET2_T3_PNSW_IS11_E10value_typeET4_jRbjT5_S17_jjP12ihipStream_tbEUljE_EEESS_ST_SU_S11_S15_S17_T6_T7_T9_mT8_S19_bDpT10_ENKUlT_T0_E_clISt17integral_constantIbLb1EES1M_EEDaS1H_S1I_EUlS1H_E_NS1_11comp_targetILNS1_3genE8ELNS1_11target_archE1030ELNS1_3gpuE2ELNS1_3repE0EEENS1_30default_config_static_selectorELNS0_4arch9wavefront6targetE0EEEvSV_.uses_flat_scratch, 0
	.set _ZN7rocprim17ROCPRIM_400000_NS6detail17trampoline_kernelINS0_13select_configILj256ELj13ELNS0_17block_load_methodE3ELS4_3ELS4_3ELNS0_20block_scan_algorithmE0ELj4294967295EEENS1_25partition_config_selectorILNS1_17partition_subalgoE3EjNS0_10empty_typeEbEEZZNS1_14partition_implILS8_3ELb0ES6_jNS0_17counting_iteratorIjlEEPS9_SE_NS0_5tupleIJPjSE_EEENSF_IJSE_SE_EEES9_SG_JZNS1_25segmented_radix_sort_implINS0_14default_configELb0EPKlPlSM_SN_N2at6native12_GLOBAL__N_18offset_tEEE10hipError_tPvRmT1_PNSt15iterator_traitsISV_E10value_typeET2_T3_PNSW_IS11_E10value_typeET4_jRbjT5_S17_jjP12ihipStream_tbEUljE_EEESS_ST_SU_S11_S15_S17_T6_T7_T9_mT8_S19_bDpT10_ENKUlT_T0_E_clISt17integral_constantIbLb1EES1M_EEDaS1H_S1I_EUlS1H_E_NS1_11comp_targetILNS1_3genE8ELNS1_11target_archE1030ELNS1_3gpuE2ELNS1_3repE0EEENS1_30default_config_static_selectorELNS0_4arch9wavefront6targetE0EEEvSV_.has_dyn_sized_stack, 0
	.set _ZN7rocprim17ROCPRIM_400000_NS6detail17trampoline_kernelINS0_13select_configILj256ELj13ELNS0_17block_load_methodE3ELS4_3ELS4_3ELNS0_20block_scan_algorithmE0ELj4294967295EEENS1_25partition_config_selectorILNS1_17partition_subalgoE3EjNS0_10empty_typeEbEEZZNS1_14partition_implILS8_3ELb0ES6_jNS0_17counting_iteratorIjlEEPS9_SE_NS0_5tupleIJPjSE_EEENSF_IJSE_SE_EEES9_SG_JZNS1_25segmented_radix_sort_implINS0_14default_configELb0EPKlPlSM_SN_N2at6native12_GLOBAL__N_18offset_tEEE10hipError_tPvRmT1_PNSt15iterator_traitsISV_E10value_typeET2_T3_PNSW_IS11_E10value_typeET4_jRbjT5_S17_jjP12ihipStream_tbEUljE_EEESS_ST_SU_S11_S15_S17_T6_T7_T9_mT8_S19_bDpT10_ENKUlT_T0_E_clISt17integral_constantIbLb1EES1M_EEDaS1H_S1I_EUlS1H_E_NS1_11comp_targetILNS1_3genE8ELNS1_11target_archE1030ELNS1_3gpuE2ELNS1_3repE0EEENS1_30default_config_static_selectorELNS0_4arch9wavefront6targetE0EEEvSV_.has_recursion, 0
	.set _ZN7rocprim17ROCPRIM_400000_NS6detail17trampoline_kernelINS0_13select_configILj256ELj13ELNS0_17block_load_methodE3ELS4_3ELS4_3ELNS0_20block_scan_algorithmE0ELj4294967295EEENS1_25partition_config_selectorILNS1_17partition_subalgoE3EjNS0_10empty_typeEbEEZZNS1_14partition_implILS8_3ELb0ES6_jNS0_17counting_iteratorIjlEEPS9_SE_NS0_5tupleIJPjSE_EEENSF_IJSE_SE_EEES9_SG_JZNS1_25segmented_radix_sort_implINS0_14default_configELb0EPKlPlSM_SN_N2at6native12_GLOBAL__N_18offset_tEEE10hipError_tPvRmT1_PNSt15iterator_traitsISV_E10value_typeET2_T3_PNSW_IS11_E10value_typeET4_jRbjT5_S17_jjP12ihipStream_tbEUljE_EEESS_ST_SU_S11_S15_S17_T6_T7_T9_mT8_S19_bDpT10_ENKUlT_T0_E_clISt17integral_constantIbLb1EES1M_EEDaS1H_S1I_EUlS1H_E_NS1_11comp_targetILNS1_3genE8ELNS1_11target_archE1030ELNS1_3gpuE2ELNS1_3repE0EEENS1_30default_config_static_selectorELNS0_4arch9wavefront6targetE0EEEvSV_.has_indirect_call, 0
	.section	.AMDGPU.csdata,"",@progbits
; Kernel info:
; codeLenInByte = 4
; TotalNumSgprs: 0
; NumVgprs: 0
; ScratchSize: 0
; MemoryBound: 0
; FloatMode: 240
; IeeeMode: 1
; LDSByteSize: 0 bytes/workgroup (compile time only)
; SGPRBlocks: 0
; VGPRBlocks: 0
; NumSGPRsForWavesPerEU: 1
; NumVGPRsForWavesPerEU: 1
; Occupancy: 16
; WaveLimiterHint : 0
; COMPUTE_PGM_RSRC2:SCRATCH_EN: 0
; COMPUTE_PGM_RSRC2:USER_SGPR: 6
; COMPUTE_PGM_RSRC2:TRAP_HANDLER: 0
; COMPUTE_PGM_RSRC2:TGID_X_EN: 1
; COMPUTE_PGM_RSRC2:TGID_Y_EN: 0
; COMPUTE_PGM_RSRC2:TGID_Z_EN: 0
; COMPUTE_PGM_RSRC2:TIDIG_COMP_CNT: 0
	.section	.text._ZN7rocprim17ROCPRIM_400000_NS6detail17trampoline_kernelINS0_13select_configILj256ELj13ELNS0_17block_load_methodE3ELS4_3ELS4_3ELNS0_20block_scan_algorithmE0ELj4294967295EEENS1_25partition_config_selectorILNS1_17partition_subalgoE3EjNS0_10empty_typeEbEEZZNS1_14partition_implILS8_3ELb0ES6_jNS0_17counting_iteratorIjlEEPS9_SE_NS0_5tupleIJPjSE_EEENSF_IJSE_SE_EEES9_SG_JZNS1_25segmented_radix_sort_implINS0_14default_configELb0EPKlPlSM_SN_N2at6native12_GLOBAL__N_18offset_tEEE10hipError_tPvRmT1_PNSt15iterator_traitsISV_E10value_typeET2_T3_PNSW_IS11_E10value_typeET4_jRbjT5_S17_jjP12ihipStream_tbEUljE_EEESS_ST_SU_S11_S15_S17_T6_T7_T9_mT8_S19_bDpT10_ENKUlT_T0_E_clISt17integral_constantIbLb1EES1L_IbLb0EEEEDaS1H_S1I_EUlS1H_E_NS1_11comp_targetILNS1_3genE0ELNS1_11target_archE4294967295ELNS1_3gpuE0ELNS1_3repE0EEENS1_30default_config_static_selectorELNS0_4arch9wavefront6targetE0EEEvSV_,"axG",@progbits,_ZN7rocprim17ROCPRIM_400000_NS6detail17trampoline_kernelINS0_13select_configILj256ELj13ELNS0_17block_load_methodE3ELS4_3ELS4_3ELNS0_20block_scan_algorithmE0ELj4294967295EEENS1_25partition_config_selectorILNS1_17partition_subalgoE3EjNS0_10empty_typeEbEEZZNS1_14partition_implILS8_3ELb0ES6_jNS0_17counting_iteratorIjlEEPS9_SE_NS0_5tupleIJPjSE_EEENSF_IJSE_SE_EEES9_SG_JZNS1_25segmented_radix_sort_implINS0_14default_configELb0EPKlPlSM_SN_N2at6native12_GLOBAL__N_18offset_tEEE10hipError_tPvRmT1_PNSt15iterator_traitsISV_E10value_typeET2_T3_PNSW_IS11_E10value_typeET4_jRbjT5_S17_jjP12ihipStream_tbEUljE_EEESS_ST_SU_S11_S15_S17_T6_T7_T9_mT8_S19_bDpT10_ENKUlT_T0_E_clISt17integral_constantIbLb1EES1L_IbLb0EEEEDaS1H_S1I_EUlS1H_E_NS1_11comp_targetILNS1_3genE0ELNS1_11target_archE4294967295ELNS1_3gpuE0ELNS1_3repE0EEENS1_30default_config_static_selectorELNS0_4arch9wavefront6targetE0EEEvSV_,comdat
	.globl	_ZN7rocprim17ROCPRIM_400000_NS6detail17trampoline_kernelINS0_13select_configILj256ELj13ELNS0_17block_load_methodE3ELS4_3ELS4_3ELNS0_20block_scan_algorithmE0ELj4294967295EEENS1_25partition_config_selectorILNS1_17partition_subalgoE3EjNS0_10empty_typeEbEEZZNS1_14partition_implILS8_3ELb0ES6_jNS0_17counting_iteratorIjlEEPS9_SE_NS0_5tupleIJPjSE_EEENSF_IJSE_SE_EEES9_SG_JZNS1_25segmented_radix_sort_implINS0_14default_configELb0EPKlPlSM_SN_N2at6native12_GLOBAL__N_18offset_tEEE10hipError_tPvRmT1_PNSt15iterator_traitsISV_E10value_typeET2_T3_PNSW_IS11_E10value_typeET4_jRbjT5_S17_jjP12ihipStream_tbEUljE_EEESS_ST_SU_S11_S15_S17_T6_T7_T9_mT8_S19_bDpT10_ENKUlT_T0_E_clISt17integral_constantIbLb1EES1L_IbLb0EEEEDaS1H_S1I_EUlS1H_E_NS1_11comp_targetILNS1_3genE0ELNS1_11target_archE4294967295ELNS1_3gpuE0ELNS1_3repE0EEENS1_30default_config_static_selectorELNS0_4arch9wavefront6targetE0EEEvSV_ ; -- Begin function _ZN7rocprim17ROCPRIM_400000_NS6detail17trampoline_kernelINS0_13select_configILj256ELj13ELNS0_17block_load_methodE3ELS4_3ELS4_3ELNS0_20block_scan_algorithmE0ELj4294967295EEENS1_25partition_config_selectorILNS1_17partition_subalgoE3EjNS0_10empty_typeEbEEZZNS1_14partition_implILS8_3ELb0ES6_jNS0_17counting_iteratorIjlEEPS9_SE_NS0_5tupleIJPjSE_EEENSF_IJSE_SE_EEES9_SG_JZNS1_25segmented_radix_sort_implINS0_14default_configELb0EPKlPlSM_SN_N2at6native12_GLOBAL__N_18offset_tEEE10hipError_tPvRmT1_PNSt15iterator_traitsISV_E10value_typeET2_T3_PNSW_IS11_E10value_typeET4_jRbjT5_S17_jjP12ihipStream_tbEUljE_EEESS_ST_SU_S11_S15_S17_T6_T7_T9_mT8_S19_bDpT10_ENKUlT_T0_E_clISt17integral_constantIbLb1EES1L_IbLb0EEEEDaS1H_S1I_EUlS1H_E_NS1_11comp_targetILNS1_3genE0ELNS1_11target_archE4294967295ELNS1_3gpuE0ELNS1_3repE0EEENS1_30default_config_static_selectorELNS0_4arch9wavefront6targetE0EEEvSV_
	.p2align	8
	.type	_ZN7rocprim17ROCPRIM_400000_NS6detail17trampoline_kernelINS0_13select_configILj256ELj13ELNS0_17block_load_methodE3ELS4_3ELS4_3ELNS0_20block_scan_algorithmE0ELj4294967295EEENS1_25partition_config_selectorILNS1_17partition_subalgoE3EjNS0_10empty_typeEbEEZZNS1_14partition_implILS8_3ELb0ES6_jNS0_17counting_iteratorIjlEEPS9_SE_NS0_5tupleIJPjSE_EEENSF_IJSE_SE_EEES9_SG_JZNS1_25segmented_radix_sort_implINS0_14default_configELb0EPKlPlSM_SN_N2at6native12_GLOBAL__N_18offset_tEEE10hipError_tPvRmT1_PNSt15iterator_traitsISV_E10value_typeET2_T3_PNSW_IS11_E10value_typeET4_jRbjT5_S17_jjP12ihipStream_tbEUljE_EEESS_ST_SU_S11_S15_S17_T6_T7_T9_mT8_S19_bDpT10_ENKUlT_T0_E_clISt17integral_constantIbLb1EES1L_IbLb0EEEEDaS1H_S1I_EUlS1H_E_NS1_11comp_targetILNS1_3genE0ELNS1_11target_archE4294967295ELNS1_3gpuE0ELNS1_3repE0EEENS1_30default_config_static_selectorELNS0_4arch9wavefront6targetE0EEEvSV_,@function
_ZN7rocprim17ROCPRIM_400000_NS6detail17trampoline_kernelINS0_13select_configILj256ELj13ELNS0_17block_load_methodE3ELS4_3ELS4_3ELNS0_20block_scan_algorithmE0ELj4294967295EEENS1_25partition_config_selectorILNS1_17partition_subalgoE3EjNS0_10empty_typeEbEEZZNS1_14partition_implILS8_3ELb0ES6_jNS0_17counting_iteratorIjlEEPS9_SE_NS0_5tupleIJPjSE_EEENSF_IJSE_SE_EEES9_SG_JZNS1_25segmented_radix_sort_implINS0_14default_configELb0EPKlPlSM_SN_N2at6native12_GLOBAL__N_18offset_tEEE10hipError_tPvRmT1_PNSt15iterator_traitsISV_E10value_typeET2_T3_PNSW_IS11_E10value_typeET4_jRbjT5_S17_jjP12ihipStream_tbEUljE_EEESS_ST_SU_S11_S15_S17_T6_T7_T9_mT8_S19_bDpT10_ENKUlT_T0_E_clISt17integral_constantIbLb1EES1L_IbLb0EEEEDaS1H_S1I_EUlS1H_E_NS1_11comp_targetILNS1_3genE0ELNS1_11target_archE4294967295ELNS1_3gpuE0ELNS1_3repE0EEENS1_30default_config_static_selectorELNS0_4arch9wavefront6targetE0EEEvSV_: ; @_ZN7rocprim17ROCPRIM_400000_NS6detail17trampoline_kernelINS0_13select_configILj256ELj13ELNS0_17block_load_methodE3ELS4_3ELS4_3ELNS0_20block_scan_algorithmE0ELj4294967295EEENS1_25partition_config_selectorILNS1_17partition_subalgoE3EjNS0_10empty_typeEbEEZZNS1_14partition_implILS8_3ELb0ES6_jNS0_17counting_iteratorIjlEEPS9_SE_NS0_5tupleIJPjSE_EEENSF_IJSE_SE_EEES9_SG_JZNS1_25segmented_radix_sort_implINS0_14default_configELb0EPKlPlSM_SN_N2at6native12_GLOBAL__N_18offset_tEEE10hipError_tPvRmT1_PNSt15iterator_traitsISV_E10value_typeET2_T3_PNSW_IS11_E10value_typeET4_jRbjT5_S17_jjP12ihipStream_tbEUljE_EEESS_ST_SU_S11_S15_S17_T6_T7_T9_mT8_S19_bDpT10_ENKUlT_T0_E_clISt17integral_constantIbLb1EES1L_IbLb0EEEEDaS1H_S1I_EUlS1H_E_NS1_11comp_targetILNS1_3genE0ELNS1_11target_archE4294967295ELNS1_3gpuE0ELNS1_3repE0EEENS1_30default_config_static_selectorELNS0_4arch9wavefront6targetE0EEEvSV_
; %bb.0:
	.section	.rodata,"a",@progbits
	.p2align	6, 0x0
	.amdhsa_kernel _ZN7rocprim17ROCPRIM_400000_NS6detail17trampoline_kernelINS0_13select_configILj256ELj13ELNS0_17block_load_methodE3ELS4_3ELS4_3ELNS0_20block_scan_algorithmE0ELj4294967295EEENS1_25partition_config_selectorILNS1_17partition_subalgoE3EjNS0_10empty_typeEbEEZZNS1_14partition_implILS8_3ELb0ES6_jNS0_17counting_iteratorIjlEEPS9_SE_NS0_5tupleIJPjSE_EEENSF_IJSE_SE_EEES9_SG_JZNS1_25segmented_radix_sort_implINS0_14default_configELb0EPKlPlSM_SN_N2at6native12_GLOBAL__N_18offset_tEEE10hipError_tPvRmT1_PNSt15iterator_traitsISV_E10value_typeET2_T3_PNSW_IS11_E10value_typeET4_jRbjT5_S17_jjP12ihipStream_tbEUljE_EEESS_ST_SU_S11_S15_S17_T6_T7_T9_mT8_S19_bDpT10_ENKUlT_T0_E_clISt17integral_constantIbLb1EES1L_IbLb0EEEEDaS1H_S1I_EUlS1H_E_NS1_11comp_targetILNS1_3genE0ELNS1_11target_archE4294967295ELNS1_3gpuE0ELNS1_3repE0EEENS1_30default_config_static_selectorELNS0_4arch9wavefront6targetE0EEEvSV_
		.amdhsa_group_segment_fixed_size 0
		.amdhsa_private_segment_fixed_size 0
		.amdhsa_kernarg_size 144
		.amdhsa_user_sgpr_count 6
		.amdhsa_user_sgpr_private_segment_buffer 1
		.amdhsa_user_sgpr_dispatch_ptr 0
		.amdhsa_user_sgpr_queue_ptr 0
		.amdhsa_user_sgpr_kernarg_segment_ptr 1
		.amdhsa_user_sgpr_dispatch_id 0
		.amdhsa_user_sgpr_flat_scratch_init 0
		.amdhsa_user_sgpr_private_segment_size 0
		.amdhsa_wavefront_size32 1
		.amdhsa_uses_dynamic_stack 0
		.amdhsa_system_sgpr_private_segment_wavefront_offset 0
		.amdhsa_system_sgpr_workgroup_id_x 1
		.amdhsa_system_sgpr_workgroup_id_y 0
		.amdhsa_system_sgpr_workgroup_id_z 0
		.amdhsa_system_sgpr_workgroup_info 0
		.amdhsa_system_vgpr_workitem_id 0
		.amdhsa_next_free_vgpr 1
		.amdhsa_next_free_sgpr 1
		.amdhsa_reserve_vcc 0
		.amdhsa_reserve_flat_scratch 0
		.amdhsa_float_round_mode_32 0
		.amdhsa_float_round_mode_16_64 0
		.amdhsa_float_denorm_mode_32 3
		.amdhsa_float_denorm_mode_16_64 3
		.amdhsa_dx10_clamp 1
		.amdhsa_ieee_mode 1
		.amdhsa_fp16_overflow 0
		.amdhsa_workgroup_processor_mode 1
		.amdhsa_memory_ordered 1
		.amdhsa_forward_progress 1
		.amdhsa_shared_vgpr_count 0
		.amdhsa_exception_fp_ieee_invalid_op 0
		.amdhsa_exception_fp_denorm_src 0
		.amdhsa_exception_fp_ieee_div_zero 0
		.amdhsa_exception_fp_ieee_overflow 0
		.amdhsa_exception_fp_ieee_underflow 0
		.amdhsa_exception_fp_ieee_inexact 0
		.amdhsa_exception_int_div_zero 0
	.end_amdhsa_kernel
	.section	.text._ZN7rocprim17ROCPRIM_400000_NS6detail17trampoline_kernelINS0_13select_configILj256ELj13ELNS0_17block_load_methodE3ELS4_3ELS4_3ELNS0_20block_scan_algorithmE0ELj4294967295EEENS1_25partition_config_selectorILNS1_17partition_subalgoE3EjNS0_10empty_typeEbEEZZNS1_14partition_implILS8_3ELb0ES6_jNS0_17counting_iteratorIjlEEPS9_SE_NS0_5tupleIJPjSE_EEENSF_IJSE_SE_EEES9_SG_JZNS1_25segmented_radix_sort_implINS0_14default_configELb0EPKlPlSM_SN_N2at6native12_GLOBAL__N_18offset_tEEE10hipError_tPvRmT1_PNSt15iterator_traitsISV_E10value_typeET2_T3_PNSW_IS11_E10value_typeET4_jRbjT5_S17_jjP12ihipStream_tbEUljE_EEESS_ST_SU_S11_S15_S17_T6_T7_T9_mT8_S19_bDpT10_ENKUlT_T0_E_clISt17integral_constantIbLb1EES1L_IbLb0EEEEDaS1H_S1I_EUlS1H_E_NS1_11comp_targetILNS1_3genE0ELNS1_11target_archE4294967295ELNS1_3gpuE0ELNS1_3repE0EEENS1_30default_config_static_selectorELNS0_4arch9wavefront6targetE0EEEvSV_,"axG",@progbits,_ZN7rocprim17ROCPRIM_400000_NS6detail17trampoline_kernelINS0_13select_configILj256ELj13ELNS0_17block_load_methodE3ELS4_3ELS4_3ELNS0_20block_scan_algorithmE0ELj4294967295EEENS1_25partition_config_selectorILNS1_17partition_subalgoE3EjNS0_10empty_typeEbEEZZNS1_14partition_implILS8_3ELb0ES6_jNS0_17counting_iteratorIjlEEPS9_SE_NS0_5tupleIJPjSE_EEENSF_IJSE_SE_EEES9_SG_JZNS1_25segmented_radix_sort_implINS0_14default_configELb0EPKlPlSM_SN_N2at6native12_GLOBAL__N_18offset_tEEE10hipError_tPvRmT1_PNSt15iterator_traitsISV_E10value_typeET2_T3_PNSW_IS11_E10value_typeET4_jRbjT5_S17_jjP12ihipStream_tbEUljE_EEESS_ST_SU_S11_S15_S17_T6_T7_T9_mT8_S19_bDpT10_ENKUlT_T0_E_clISt17integral_constantIbLb1EES1L_IbLb0EEEEDaS1H_S1I_EUlS1H_E_NS1_11comp_targetILNS1_3genE0ELNS1_11target_archE4294967295ELNS1_3gpuE0ELNS1_3repE0EEENS1_30default_config_static_selectorELNS0_4arch9wavefront6targetE0EEEvSV_,comdat
.Lfunc_end785:
	.size	_ZN7rocprim17ROCPRIM_400000_NS6detail17trampoline_kernelINS0_13select_configILj256ELj13ELNS0_17block_load_methodE3ELS4_3ELS4_3ELNS0_20block_scan_algorithmE0ELj4294967295EEENS1_25partition_config_selectorILNS1_17partition_subalgoE3EjNS0_10empty_typeEbEEZZNS1_14partition_implILS8_3ELb0ES6_jNS0_17counting_iteratorIjlEEPS9_SE_NS0_5tupleIJPjSE_EEENSF_IJSE_SE_EEES9_SG_JZNS1_25segmented_radix_sort_implINS0_14default_configELb0EPKlPlSM_SN_N2at6native12_GLOBAL__N_18offset_tEEE10hipError_tPvRmT1_PNSt15iterator_traitsISV_E10value_typeET2_T3_PNSW_IS11_E10value_typeET4_jRbjT5_S17_jjP12ihipStream_tbEUljE_EEESS_ST_SU_S11_S15_S17_T6_T7_T9_mT8_S19_bDpT10_ENKUlT_T0_E_clISt17integral_constantIbLb1EES1L_IbLb0EEEEDaS1H_S1I_EUlS1H_E_NS1_11comp_targetILNS1_3genE0ELNS1_11target_archE4294967295ELNS1_3gpuE0ELNS1_3repE0EEENS1_30default_config_static_selectorELNS0_4arch9wavefront6targetE0EEEvSV_, .Lfunc_end785-_ZN7rocprim17ROCPRIM_400000_NS6detail17trampoline_kernelINS0_13select_configILj256ELj13ELNS0_17block_load_methodE3ELS4_3ELS4_3ELNS0_20block_scan_algorithmE0ELj4294967295EEENS1_25partition_config_selectorILNS1_17partition_subalgoE3EjNS0_10empty_typeEbEEZZNS1_14partition_implILS8_3ELb0ES6_jNS0_17counting_iteratorIjlEEPS9_SE_NS0_5tupleIJPjSE_EEENSF_IJSE_SE_EEES9_SG_JZNS1_25segmented_radix_sort_implINS0_14default_configELb0EPKlPlSM_SN_N2at6native12_GLOBAL__N_18offset_tEEE10hipError_tPvRmT1_PNSt15iterator_traitsISV_E10value_typeET2_T3_PNSW_IS11_E10value_typeET4_jRbjT5_S17_jjP12ihipStream_tbEUljE_EEESS_ST_SU_S11_S15_S17_T6_T7_T9_mT8_S19_bDpT10_ENKUlT_T0_E_clISt17integral_constantIbLb1EES1L_IbLb0EEEEDaS1H_S1I_EUlS1H_E_NS1_11comp_targetILNS1_3genE0ELNS1_11target_archE4294967295ELNS1_3gpuE0ELNS1_3repE0EEENS1_30default_config_static_selectorELNS0_4arch9wavefront6targetE0EEEvSV_
                                        ; -- End function
	.set _ZN7rocprim17ROCPRIM_400000_NS6detail17trampoline_kernelINS0_13select_configILj256ELj13ELNS0_17block_load_methodE3ELS4_3ELS4_3ELNS0_20block_scan_algorithmE0ELj4294967295EEENS1_25partition_config_selectorILNS1_17partition_subalgoE3EjNS0_10empty_typeEbEEZZNS1_14partition_implILS8_3ELb0ES6_jNS0_17counting_iteratorIjlEEPS9_SE_NS0_5tupleIJPjSE_EEENSF_IJSE_SE_EEES9_SG_JZNS1_25segmented_radix_sort_implINS0_14default_configELb0EPKlPlSM_SN_N2at6native12_GLOBAL__N_18offset_tEEE10hipError_tPvRmT1_PNSt15iterator_traitsISV_E10value_typeET2_T3_PNSW_IS11_E10value_typeET4_jRbjT5_S17_jjP12ihipStream_tbEUljE_EEESS_ST_SU_S11_S15_S17_T6_T7_T9_mT8_S19_bDpT10_ENKUlT_T0_E_clISt17integral_constantIbLb1EES1L_IbLb0EEEEDaS1H_S1I_EUlS1H_E_NS1_11comp_targetILNS1_3genE0ELNS1_11target_archE4294967295ELNS1_3gpuE0ELNS1_3repE0EEENS1_30default_config_static_selectorELNS0_4arch9wavefront6targetE0EEEvSV_.num_vgpr, 0
	.set _ZN7rocprim17ROCPRIM_400000_NS6detail17trampoline_kernelINS0_13select_configILj256ELj13ELNS0_17block_load_methodE3ELS4_3ELS4_3ELNS0_20block_scan_algorithmE0ELj4294967295EEENS1_25partition_config_selectorILNS1_17partition_subalgoE3EjNS0_10empty_typeEbEEZZNS1_14partition_implILS8_3ELb0ES6_jNS0_17counting_iteratorIjlEEPS9_SE_NS0_5tupleIJPjSE_EEENSF_IJSE_SE_EEES9_SG_JZNS1_25segmented_radix_sort_implINS0_14default_configELb0EPKlPlSM_SN_N2at6native12_GLOBAL__N_18offset_tEEE10hipError_tPvRmT1_PNSt15iterator_traitsISV_E10value_typeET2_T3_PNSW_IS11_E10value_typeET4_jRbjT5_S17_jjP12ihipStream_tbEUljE_EEESS_ST_SU_S11_S15_S17_T6_T7_T9_mT8_S19_bDpT10_ENKUlT_T0_E_clISt17integral_constantIbLb1EES1L_IbLb0EEEEDaS1H_S1I_EUlS1H_E_NS1_11comp_targetILNS1_3genE0ELNS1_11target_archE4294967295ELNS1_3gpuE0ELNS1_3repE0EEENS1_30default_config_static_selectorELNS0_4arch9wavefront6targetE0EEEvSV_.num_agpr, 0
	.set _ZN7rocprim17ROCPRIM_400000_NS6detail17trampoline_kernelINS0_13select_configILj256ELj13ELNS0_17block_load_methodE3ELS4_3ELS4_3ELNS0_20block_scan_algorithmE0ELj4294967295EEENS1_25partition_config_selectorILNS1_17partition_subalgoE3EjNS0_10empty_typeEbEEZZNS1_14partition_implILS8_3ELb0ES6_jNS0_17counting_iteratorIjlEEPS9_SE_NS0_5tupleIJPjSE_EEENSF_IJSE_SE_EEES9_SG_JZNS1_25segmented_radix_sort_implINS0_14default_configELb0EPKlPlSM_SN_N2at6native12_GLOBAL__N_18offset_tEEE10hipError_tPvRmT1_PNSt15iterator_traitsISV_E10value_typeET2_T3_PNSW_IS11_E10value_typeET4_jRbjT5_S17_jjP12ihipStream_tbEUljE_EEESS_ST_SU_S11_S15_S17_T6_T7_T9_mT8_S19_bDpT10_ENKUlT_T0_E_clISt17integral_constantIbLb1EES1L_IbLb0EEEEDaS1H_S1I_EUlS1H_E_NS1_11comp_targetILNS1_3genE0ELNS1_11target_archE4294967295ELNS1_3gpuE0ELNS1_3repE0EEENS1_30default_config_static_selectorELNS0_4arch9wavefront6targetE0EEEvSV_.numbered_sgpr, 0
	.set _ZN7rocprim17ROCPRIM_400000_NS6detail17trampoline_kernelINS0_13select_configILj256ELj13ELNS0_17block_load_methodE3ELS4_3ELS4_3ELNS0_20block_scan_algorithmE0ELj4294967295EEENS1_25partition_config_selectorILNS1_17partition_subalgoE3EjNS0_10empty_typeEbEEZZNS1_14partition_implILS8_3ELb0ES6_jNS0_17counting_iteratorIjlEEPS9_SE_NS0_5tupleIJPjSE_EEENSF_IJSE_SE_EEES9_SG_JZNS1_25segmented_radix_sort_implINS0_14default_configELb0EPKlPlSM_SN_N2at6native12_GLOBAL__N_18offset_tEEE10hipError_tPvRmT1_PNSt15iterator_traitsISV_E10value_typeET2_T3_PNSW_IS11_E10value_typeET4_jRbjT5_S17_jjP12ihipStream_tbEUljE_EEESS_ST_SU_S11_S15_S17_T6_T7_T9_mT8_S19_bDpT10_ENKUlT_T0_E_clISt17integral_constantIbLb1EES1L_IbLb0EEEEDaS1H_S1I_EUlS1H_E_NS1_11comp_targetILNS1_3genE0ELNS1_11target_archE4294967295ELNS1_3gpuE0ELNS1_3repE0EEENS1_30default_config_static_selectorELNS0_4arch9wavefront6targetE0EEEvSV_.num_named_barrier, 0
	.set _ZN7rocprim17ROCPRIM_400000_NS6detail17trampoline_kernelINS0_13select_configILj256ELj13ELNS0_17block_load_methodE3ELS4_3ELS4_3ELNS0_20block_scan_algorithmE0ELj4294967295EEENS1_25partition_config_selectorILNS1_17partition_subalgoE3EjNS0_10empty_typeEbEEZZNS1_14partition_implILS8_3ELb0ES6_jNS0_17counting_iteratorIjlEEPS9_SE_NS0_5tupleIJPjSE_EEENSF_IJSE_SE_EEES9_SG_JZNS1_25segmented_radix_sort_implINS0_14default_configELb0EPKlPlSM_SN_N2at6native12_GLOBAL__N_18offset_tEEE10hipError_tPvRmT1_PNSt15iterator_traitsISV_E10value_typeET2_T3_PNSW_IS11_E10value_typeET4_jRbjT5_S17_jjP12ihipStream_tbEUljE_EEESS_ST_SU_S11_S15_S17_T6_T7_T9_mT8_S19_bDpT10_ENKUlT_T0_E_clISt17integral_constantIbLb1EES1L_IbLb0EEEEDaS1H_S1I_EUlS1H_E_NS1_11comp_targetILNS1_3genE0ELNS1_11target_archE4294967295ELNS1_3gpuE0ELNS1_3repE0EEENS1_30default_config_static_selectorELNS0_4arch9wavefront6targetE0EEEvSV_.private_seg_size, 0
	.set _ZN7rocprim17ROCPRIM_400000_NS6detail17trampoline_kernelINS0_13select_configILj256ELj13ELNS0_17block_load_methodE3ELS4_3ELS4_3ELNS0_20block_scan_algorithmE0ELj4294967295EEENS1_25partition_config_selectorILNS1_17partition_subalgoE3EjNS0_10empty_typeEbEEZZNS1_14partition_implILS8_3ELb0ES6_jNS0_17counting_iteratorIjlEEPS9_SE_NS0_5tupleIJPjSE_EEENSF_IJSE_SE_EEES9_SG_JZNS1_25segmented_radix_sort_implINS0_14default_configELb0EPKlPlSM_SN_N2at6native12_GLOBAL__N_18offset_tEEE10hipError_tPvRmT1_PNSt15iterator_traitsISV_E10value_typeET2_T3_PNSW_IS11_E10value_typeET4_jRbjT5_S17_jjP12ihipStream_tbEUljE_EEESS_ST_SU_S11_S15_S17_T6_T7_T9_mT8_S19_bDpT10_ENKUlT_T0_E_clISt17integral_constantIbLb1EES1L_IbLb0EEEEDaS1H_S1I_EUlS1H_E_NS1_11comp_targetILNS1_3genE0ELNS1_11target_archE4294967295ELNS1_3gpuE0ELNS1_3repE0EEENS1_30default_config_static_selectorELNS0_4arch9wavefront6targetE0EEEvSV_.uses_vcc, 0
	.set _ZN7rocprim17ROCPRIM_400000_NS6detail17trampoline_kernelINS0_13select_configILj256ELj13ELNS0_17block_load_methodE3ELS4_3ELS4_3ELNS0_20block_scan_algorithmE0ELj4294967295EEENS1_25partition_config_selectorILNS1_17partition_subalgoE3EjNS0_10empty_typeEbEEZZNS1_14partition_implILS8_3ELb0ES6_jNS0_17counting_iteratorIjlEEPS9_SE_NS0_5tupleIJPjSE_EEENSF_IJSE_SE_EEES9_SG_JZNS1_25segmented_radix_sort_implINS0_14default_configELb0EPKlPlSM_SN_N2at6native12_GLOBAL__N_18offset_tEEE10hipError_tPvRmT1_PNSt15iterator_traitsISV_E10value_typeET2_T3_PNSW_IS11_E10value_typeET4_jRbjT5_S17_jjP12ihipStream_tbEUljE_EEESS_ST_SU_S11_S15_S17_T6_T7_T9_mT8_S19_bDpT10_ENKUlT_T0_E_clISt17integral_constantIbLb1EES1L_IbLb0EEEEDaS1H_S1I_EUlS1H_E_NS1_11comp_targetILNS1_3genE0ELNS1_11target_archE4294967295ELNS1_3gpuE0ELNS1_3repE0EEENS1_30default_config_static_selectorELNS0_4arch9wavefront6targetE0EEEvSV_.uses_flat_scratch, 0
	.set _ZN7rocprim17ROCPRIM_400000_NS6detail17trampoline_kernelINS0_13select_configILj256ELj13ELNS0_17block_load_methodE3ELS4_3ELS4_3ELNS0_20block_scan_algorithmE0ELj4294967295EEENS1_25partition_config_selectorILNS1_17partition_subalgoE3EjNS0_10empty_typeEbEEZZNS1_14partition_implILS8_3ELb0ES6_jNS0_17counting_iteratorIjlEEPS9_SE_NS0_5tupleIJPjSE_EEENSF_IJSE_SE_EEES9_SG_JZNS1_25segmented_radix_sort_implINS0_14default_configELb0EPKlPlSM_SN_N2at6native12_GLOBAL__N_18offset_tEEE10hipError_tPvRmT1_PNSt15iterator_traitsISV_E10value_typeET2_T3_PNSW_IS11_E10value_typeET4_jRbjT5_S17_jjP12ihipStream_tbEUljE_EEESS_ST_SU_S11_S15_S17_T6_T7_T9_mT8_S19_bDpT10_ENKUlT_T0_E_clISt17integral_constantIbLb1EES1L_IbLb0EEEEDaS1H_S1I_EUlS1H_E_NS1_11comp_targetILNS1_3genE0ELNS1_11target_archE4294967295ELNS1_3gpuE0ELNS1_3repE0EEENS1_30default_config_static_selectorELNS0_4arch9wavefront6targetE0EEEvSV_.has_dyn_sized_stack, 0
	.set _ZN7rocprim17ROCPRIM_400000_NS6detail17trampoline_kernelINS0_13select_configILj256ELj13ELNS0_17block_load_methodE3ELS4_3ELS4_3ELNS0_20block_scan_algorithmE0ELj4294967295EEENS1_25partition_config_selectorILNS1_17partition_subalgoE3EjNS0_10empty_typeEbEEZZNS1_14partition_implILS8_3ELb0ES6_jNS0_17counting_iteratorIjlEEPS9_SE_NS0_5tupleIJPjSE_EEENSF_IJSE_SE_EEES9_SG_JZNS1_25segmented_radix_sort_implINS0_14default_configELb0EPKlPlSM_SN_N2at6native12_GLOBAL__N_18offset_tEEE10hipError_tPvRmT1_PNSt15iterator_traitsISV_E10value_typeET2_T3_PNSW_IS11_E10value_typeET4_jRbjT5_S17_jjP12ihipStream_tbEUljE_EEESS_ST_SU_S11_S15_S17_T6_T7_T9_mT8_S19_bDpT10_ENKUlT_T0_E_clISt17integral_constantIbLb1EES1L_IbLb0EEEEDaS1H_S1I_EUlS1H_E_NS1_11comp_targetILNS1_3genE0ELNS1_11target_archE4294967295ELNS1_3gpuE0ELNS1_3repE0EEENS1_30default_config_static_selectorELNS0_4arch9wavefront6targetE0EEEvSV_.has_recursion, 0
	.set _ZN7rocprim17ROCPRIM_400000_NS6detail17trampoline_kernelINS0_13select_configILj256ELj13ELNS0_17block_load_methodE3ELS4_3ELS4_3ELNS0_20block_scan_algorithmE0ELj4294967295EEENS1_25partition_config_selectorILNS1_17partition_subalgoE3EjNS0_10empty_typeEbEEZZNS1_14partition_implILS8_3ELb0ES6_jNS0_17counting_iteratorIjlEEPS9_SE_NS0_5tupleIJPjSE_EEENSF_IJSE_SE_EEES9_SG_JZNS1_25segmented_radix_sort_implINS0_14default_configELb0EPKlPlSM_SN_N2at6native12_GLOBAL__N_18offset_tEEE10hipError_tPvRmT1_PNSt15iterator_traitsISV_E10value_typeET2_T3_PNSW_IS11_E10value_typeET4_jRbjT5_S17_jjP12ihipStream_tbEUljE_EEESS_ST_SU_S11_S15_S17_T6_T7_T9_mT8_S19_bDpT10_ENKUlT_T0_E_clISt17integral_constantIbLb1EES1L_IbLb0EEEEDaS1H_S1I_EUlS1H_E_NS1_11comp_targetILNS1_3genE0ELNS1_11target_archE4294967295ELNS1_3gpuE0ELNS1_3repE0EEENS1_30default_config_static_selectorELNS0_4arch9wavefront6targetE0EEEvSV_.has_indirect_call, 0
	.section	.AMDGPU.csdata,"",@progbits
; Kernel info:
; codeLenInByte = 0
; TotalNumSgprs: 0
; NumVgprs: 0
; ScratchSize: 0
; MemoryBound: 0
; FloatMode: 240
; IeeeMode: 1
; LDSByteSize: 0 bytes/workgroup (compile time only)
; SGPRBlocks: 0
; VGPRBlocks: 0
; NumSGPRsForWavesPerEU: 1
; NumVGPRsForWavesPerEU: 1
; Occupancy: 16
; WaveLimiterHint : 0
; COMPUTE_PGM_RSRC2:SCRATCH_EN: 0
; COMPUTE_PGM_RSRC2:USER_SGPR: 6
; COMPUTE_PGM_RSRC2:TRAP_HANDLER: 0
; COMPUTE_PGM_RSRC2:TGID_X_EN: 1
; COMPUTE_PGM_RSRC2:TGID_Y_EN: 0
; COMPUTE_PGM_RSRC2:TGID_Z_EN: 0
; COMPUTE_PGM_RSRC2:TIDIG_COMP_CNT: 0
	.section	.text._ZN7rocprim17ROCPRIM_400000_NS6detail17trampoline_kernelINS0_13select_configILj256ELj13ELNS0_17block_load_methodE3ELS4_3ELS4_3ELNS0_20block_scan_algorithmE0ELj4294967295EEENS1_25partition_config_selectorILNS1_17partition_subalgoE3EjNS0_10empty_typeEbEEZZNS1_14partition_implILS8_3ELb0ES6_jNS0_17counting_iteratorIjlEEPS9_SE_NS0_5tupleIJPjSE_EEENSF_IJSE_SE_EEES9_SG_JZNS1_25segmented_radix_sort_implINS0_14default_configELb0EPKlPlSM_SN_N2at6native12_GLOBAL__N_18offset_tEEE10hipError_tPvRmT1_PNSt15iterator_traitsISV_E10value_typeET2_T3_PNSW_IS11_E10value_typeET4_jRbjT5_S17_jjP12ihipStream_tbEUljE_EEESS_ST_SU_S11_S15_S17_T6_T7_T9_mT8_S19_bDpT10_ENKUlT_T0_E_clISt17integral_constantIbLb1EES1L_IbLb0EEEEDaS1H_S1I_EUlS1H_E_NS1_11comp_targetILNS1_3genE5ELNS1_11target_archE942ELNS1_3gpuE9ELNS1_3repE0EEENS1_30default_config_static_selectorELNS0_4arch9wavefront6targetE0EEEvSV_,"axG",@progbits,_ZN7rocprim17ROCPRIM_400000_NS6detail17trampoline_kernelINS0_13select_configILj256ELj13ELNS0_17block_load_methodE3ELS4_3ELS4_3ELNS0_20block_scan_algorithmE0ELj4294967295EEENS1_25partition_config_selectorILNS1_17partition_subalgoE3EjNS0_10empty_typeEbEEZZNS1_14partition_implILS8_3ELb0ES6_jNS0_17counting_iteratorIjlEEPS9_SE_NS0_5tupleIJPjSE_EEENSF_IJSE_SE_EEES9_SG_JZNS1_25segmented_radix_sort_implINS0_14default_configELb0EPKlPlSM_SN_N2at6native12_GLOBAL__N_18offset_tEEE10hipError_tPvRmT1_PNSt15iterator_traitsISV_E10value_typeET2_T3_PNSW_IS11_E10value_typeET4_jRbjT5_S17_jjP12ihipStream_tbEUljE_EEESS_ST_SU_S11_S15_S17_T6_T7_T9_mT8_S19_bDpT10_ENKUlT_T0_E_clISt17integral_constantIbLb1EES1L_IbLb0EEEEDaS1H_S1I_EUlS1H_E_NS1_11comp_targetILNS1_3genE5ELNS1_11target_archE942ELNS1_3gpuE9ELNS1_3repE0EEENS1_30default_config_static_selectorELNS0_4arch9wavefront6targetE0EEEvSV_,comdat
	.globl	_ZN7rocprim17ROCPRIM_400000_NS6detail17trampoline_kernelINS0_13select_configILj256ELj13ELNS0_17block_load_methodE3ELS4_3ELS4_3ELNS0_20block_scan_algorithmE0ELj4294967295EEENS1_25partition_config_selectorILNS1_17partition_subalgoE3EjNS0_10empty_typeEbEEZZNS1_14partition_implILS8_3ELb0ES6_jNS0_17counting_iteratorIjlEEPS9_SE_NS0_5tupleIJPjSE_EEENSF_IJSE_SE_EEES9_SG_JZNS1_25segmented_radix_sort_implINS0_14default_configELb0EPKlPlSM_SN_N2at6native12_GLOBAL__N_18offset_tEEE10hipError_tPvRmT1_PNSt15iterator_traitsISV_E10value_typeET2_T3_PNSW_IS11_E10value_typeET4_jRbjT5_S17_jjP12ihipStream_tbEUljE_EEESS_ST_SU_S11_S15_S17_T6_T7_T9_mT8_S19_bDpT10_ENKUlT_T0_E_clISt17integral_constantIbLb1EES1L_IbLb0EEEEDaS1H_S1I_EUlS1H_E_NS1_11comp_targetILNS1_3genE5ELNS1_11target_archE942ELNS1_3gpuE9ELNS1_3repE0EEENS1_30default_config_static_selectorELNS0_4arch9wavefront6targetE0EEEvSV_ ; -- Begin function _ZN7rocprim17ROCPRIM_400000_NS6detail17trampoline_kernelINS0_13select_configILj256ELj13ELNS0_17block_load_methodE3ELS4_3ELS4_3ELNS0_20block_scan_algorithmE0ELj4294967295EEENS1_25partition_config_selectorILNS1_17partition_subalgoE3EjNS0_10empty_typeEbEEZZNS1_14partition_implILS8_3ELb0ES6_jNS0_17counting_iteratorIjlEEPS9_SE_NS0_5tupleIJPjSE_EEENSF_IJSE_SE_EEES9_SG_JZNS1_25segmented_radix_sort_implINS0_14default_configELb0EPKlPlSM_SN_N2at6native12_GLOBAL__N_18offset_tEEE10hipError_tPvRmT1_PNSt15iterator_traitsISV_E10value_typeET2_T3_PNSW_IS11_E10value_typeET4_jRbjT5_S17_jjP12ihipStream_tbEUljE_EEESS_ST_SU_S11_S15_S17_T6_T7_T9_mT8_S19_bDpT10_ENKUlT_T0_E_clISt17integral_constantIbLb1EES1L_IbLb0EEEEDaS1H_S1I_EUlS1H_E_NS1_11comp_targetILNS1_3genE5ELNS1_11target_archE942ELNS1_3gpuE9ELNS1_3repE0EEENS1_30default_config_static_selectorELNS0_4arch9wavefront6targetE0EEEvSV_
	.p2align	8
	.type	_ZN7rocprim17ROCPRIM_400000_NS6detail17trampoline_kernelINS0_13select_configILj256ELj13ELNS0_17block_load_methodE3ELS4_3ELS4_3ELNS0_20block_scan_algorithmE0ELj4294967295EEENS1_25partition_config_selectorILNS1_17partition_subalgoE3EjNS0_10empty_typeEbEEZZNS1_14partition_implILS8_3ELb0ES6_jNS0_17counting_iteratorIjlEEPS9_SE_NS0_5tupleIJPjSE_EEENSF_IJSE_SE_EEES9_SG_JZNS1_25segmented_radix_sort_implINS0_14default_configELb0EPKlPlSM_SN_N2at6native12_GLOBAL__N_18offset_tEEE10hipError_tPvRmT1_PNSt15iterator_traitsISV_E10value_typeET2_T3_PNSW_IS11_E10value_typeET4_jRbjT5_S17_jjP12ihipStream_tbEUljE_EEESS_ST_SU_S11_S15_S17_T6_T7_T9_mT8_S19_bDpT10_ENKUlT_T0_E_clISt17integral_constantIbLb1EES1L_IbLb0EEEEDaS1H_S1I_EUlS1H_E_NS1_11comp_targetILNS1_3genE5ELNS1_11target_archE942ELNS1_3gpuE9ELNS1_3repE0EEENS1_30default_config_static_selectorELNS0_4arch9wavefront6targetE0EEEvSV_,@function
_ZN7rocprim17ROCPRIM_400000_NS6detail17trampoline_kernelINS0_13select_configILj256ELj13ELNS0_17block_load_methodE3ELS4_3ELS4_3ELNS0_20block_scan_algorithmE0ELj4294967295EEENS1_25partition_config_selectorILNS1_17partition_subalgoE3EjNS0_10empty_typeEbEEZZNS1_14partition_implILS8_3ELb0ES6_jNS0_17counting_iteratorIjlEEPS9_SE_NS0_5tupleIJPjSE_EEENSF_IJSE_SE_EEES9_SG_JZNS1_25segmented_radix_sort_implINS0_14default_configELb0EPKlPlSM_SN_N2at6native12_GLOBAL__N_18offset_tEEE10hipError_tPvRmT1_PNSt15iterator_traitsISV_E10value_typeET2_T3_PNSW_IS11_E10value_typeET4_jRbjT5_S17_jjP12ihipStream_tbEUljE_EEESS_ST_SU_S11_S15_S17_T6_T7_T9_mT8_S19_bDpT10_ENKUlT_T0_E_clISt17integral_constantIbLb1EES1L_IbLb0EEEEDaS1H_S1I_EUlS1H_E_NS1_11comp_targetILNS1_3genE5ELNS1_11target_archE942ELNS1_3gpuE9ELNS1_3repE0EEENS1_30default_config_static_selectorELNS0_4arch9wavefront6targetE0EEEvSV_: ; @_ZN7rocprim17ROCPRIM_400000_NS6detail17trampoline_kernelINS0_13select_configILj256ELj13ELNS0_17block_load_methodE3ELS4_3ELS4_3ELNS0_20block_scan_algorithmE0ELj4294967295EEENS1_25partition_config_selectorILNS1_17partition_subalgoE3EjNS0_10empty_typeEbEEZZNS1_14partition_implILS8_3ELb0ES6_jNS0_17counting_iteratorIjlEEPS9_SE_NS0_5tupleIJPjSE_EEENSF_IJSE_SE_EEES9_SG_JZNS1_25segmented_radix_sort_implINS0_14default_configELb0EPKlPlSM_SN_N2at6native12_GLOBAL__N_18offset_tEEE10hipError_tPvRmT1_PNSt15iterator_traitsISV_E10value_typeET2_T3_PNSW_IS11_E10value_typeET4_jRbjT5_S17_jjP12ihipStream_tbEUljE_EEESS_ST_SU_S11_S15_S17_T6_T7_T9_mT8_S19_bDpT10_ENKUlT_T0_E_clISt17integral_constantIbLb1EES1L_IbLb0EEEEDaS1H_S1I_EUlS1H_E_NS1_11comp_targetILNS1_3genE5ELNS1_11target_archE942ELNS1_3gpuE9ELNS1_3repE0EEENS1_30default_config_static_selectorELNS0_4arch9wavefront6targetE0EEEvSV_
; %bb.0:
	.section	.rodata,"a",@progbits
	.p2align	6, 0x0
	.amdhsa_kernel _ZN7rocprim17ROCPRIM_400000_NS6detail17trampoline_kernelINS0_13select_configILj256ELj13ELNS0_17block_load_methodE3ELS4_3ELS4_3ELNS0_20block_scan_algorithmE0ELj4294967295EEENS1_25partition_config_selectorILNS1_17partition_subalgoE3EjNS0_10empty_typeEbEEZZNS1_14partition_implILS8_3ELb0ES6_jNS0_17counting_iteratorIjlEEPS9_SE_NS0_5tupleIJPjSE_EEENSF_IJSE_SE_EEES9_SG_JZNS1_25segmented_radix_sort_implINS0_14default_configELb0EPKlPlSM_SN_N2at6native12_GLOBAL__N_18offset_tEEE10hipError_tPvRmT1_PNSt15iterator_traitsISV_E10value_typeET2_T3_PNSW_IS11_E10value_typeET4_jRbjT5_S17_jjP12ihipStream_tbEUljE_EEESS_ST_SU_S11_S15_S17_T6_T7_T9_mT8_S19_bDpT10_ENKUlT_T0_E_clISt17integral_constantIbLb1EES1L_IbLb0EEEEDaS1H_S1I_EUlS1H_E_NS1_11comp_targetILNS1_3genE5ELNS1_11target_archE942ELNS1_3gpuE9ELNS1_3repE0EEENS1_30default_config_static_selectorELNS0_4arch9wavefront6targetE0EEEvSV_
		.amdhsa_group_segment_fixed_size 0
		.amdhsa_private_segment_fixed_size 0
		.amdhsa_kernarg_size 144
		.amdhsa_user_sgpr_count 6
		.amdhsa_user_sgpr_private_segment_buffer 1
		.amdhsa_user_sgpr_dispatch_ptr 0
		.amdhsa_user_sgpr_queue_ptr 0
		.amdhsa_user_sgpr_kernarg_segment_ptr 1
		.amdhsa_user_sgpr_dispatch_id 0
		.amdhsa_user_sgpr_flat_scratch_init 0
		.amdhsa_user_sgpr_private_segment_size 0
		.amdhsa_wavefront_size32 1
		.amdhsa_uses_dynamic_stack 0
		.amdhsa_system_sgpr_private_segment_wavefront_offset 0
		.amdhsa_system_sgpr_workgroup_id_x 1
		.amdhsa_system_sgpr_workgroup_id_y 0
		.amdhsa_system_sgpr_workgroup_id_z 0
		.amdhsa_system_sgpr_workgroup_info 0
		.amdhsa_system_vgpr_workitem_id 0
		.amdhsa_next_free_vgpr 1
		.amdhsa_next_free_sgpr 1
		.amdhsa_reserve_vcc 0
		.amdhsa_reserve_flat_scratch 0
		.amdhsa_float_round_mode_32 0
		.amdhsa_float_round_mode_16_64 0
		.amdhsa_float_denorm_mode_32 3
		.amdhsa_float_denorm_mode_16_64 3
		.amdhsa_dx10_clamp 1
		.amdhsa_ieee_mode 1
		.amdhsa_fp16_overflow 0
		.amdhsa_workgroup_processor_mode 1
		.amdhsa_memory_ordered 1
		.amdhsa_forward_progress 1
		.amdhsa_shared_vgpr_count 0
		.amdhsa_exception_fp_ieee_invalid_op 0
		.amdhsa_exception_fp_denorm_src 0
		.amdhsa_exception_fp_ieee_div_zero 0
		.amdhsa_exception_fp_ieee_overflow 0
		.amdhsa_exception_fp_ieee_underflow 0
		.amdhsa_exception_fp_ieee_inexact 0
		.amdhsa_exception_int_div_zero 0
	.end_amdhsa_kernel
	.section	.text._ZN7rocprim17ROCPRIM_400000_NS6detail17trampoline_kernelINS0_13select_configILj256ELj13ELNS0_17block_load_methodE3ELS4_3ELS4_3ELNS0_20block_scan_algorithmE0ELj4294967295EEENS1_25partition_config_selectorILNS1_17partition_subalgoE3EjNS0_10empty_typeEbEEZZNS1_14partition_implILS8_3ELb0ES6_jNS0_17counting_iteratorIjlEEPS9_SE_NS0_5tupleIJPjSE_EEENSF_IJSE_SE_EEES9_SG_JZNS1_25segmented_radix_sort_implINS0_14default_configELb0EPKlPlSM_SN_N2at6native12_GLOBAL__N_18offset_tEEE10hipError_tPvRmT1_PNSt15iterator_traitsISV_E10value_typeET2_T3_PNSW_IS11_E10value_typeET4_jRbjT5_S17_jjP12ihipStream_tbEUljE_EEESS_ST_SU_S11_S15_S17_T6_T7_T9_mT8_S19_bDpT10_ENKUlT_T0_E_clISt17integral_constantIbLb1EES1L_IbLb0EEEEDaS1H_S1I_EUlS1H_E_NS1_11comp_targetILNS1_3genE5ELNS1_11target_archE942ELNS1_3gpuE9ELNS1_3repE0EEENS1_30default_config_static_selectorELNS0_4arch9wavefront6targetE0EEEvSV_,"axG",@progbits,_ZN7rocprim17ROCPRIM_400000_NS6detail17trampoline_kernelINS0_13select_configILj256ELj13ELNS0_17block_load_methodE3ELS4_3ELS4_3ELNS0_20block_scan_algorithmE0ELj4294967295EEENS1_25partition_config_selectorILNS1_17partition_subalgoE3EjNS0_10empty_typeEbEEZZNS1_14partition_implILS8_3ELb0ES6_jNS0_17counting_iteratorIjlEEPS9_SE_NS0_5tupleIJPjSE_EEENSF_IJSE_SE_EEES9_SG_JZNS1_25segmented_radix_sort_implINS0_14default_configELb0EPKlPlSM_SN_N2at6native12_GLOBAL__N_18offset_tEEE10hipError_tPvRmT1_PNSt15iterator_traitsISV_E10value_typeET2_T3_PNSW_IS11_E10value_typeET4_jRbjT5_S17_jjP12ihipStream_tbEUljE_EEESS_ST_SU_S11_S15_S17_T6_T7_T9_mT8_S19_bDpT10_ENKUlT_T0_E_clISt17integral_constantIbLb1EES1L_IbLb0EEEEDaS1H_S1I_EUlS1H_E_NS1_11comp_targetILNS1_3genE5ELNS1_11target_archE942ELNS1_3gpuE9ELNS1_3repE0EEENS1_30default_config_static_selectorELNS0_4arch9wavefront6targetE0EEEvSV_,comdat
.Lfunc_end786:
	.size	_ZN7rocprim17ROCPRIM_400000_NS6detail17trampoline_kernelINS0_13select_configILj256ELj13ELNS0_17block_load_methodE3ELS4_3ELS4_3ELNS0_20block_scan_algorithmE0ELj4294967295EEENS1_25partition_config_selectorILNS1_17partition_subalgoE3EjNS0_10empty_typeEbEEZZNS1_14partition_implILS8_3ELb0ES6_jNS0_17counting_iteratorIjlEEPS9_SE_NS0_5tupleIJPjSE_EEENSF_IJSE_SE_EEES9_SG_JZNS1_25segmented_radix_sort_implINS0_14default_configELb0EPKlPlSM_SN_N2at6native12_GLOBAL__N_18offset_tEEE10hipError_tPvRmT1_PNSt15iterator_traitsISV_E10value_typeET2_T3_PNSW_IS11_E10value_typeET4_jRbjT5_S17_jjP12ihipStream_tbEUljE_EEESS_ST_SU_S11_S15_S17_T6_T7_T9_mT8_S19_bDpT10_ENKUlT_T0_E_clISt17integral_constantIbLb1EES1L_IbLb0EEEEDaS1H_S1I_EUlS1H_E_NS1_11comp_targetILNS1_3genE5ELNS1_11target_archE942ELNS1_3gpuE9ELNS1_3repE0EEENS1_30default_config_static_selectorELNS0_4arch9wavefront6targetE0EEEvSV_, .Lfunc_end786-_ZN7rocprim17ROCPRIM_400000_NS6detail17trampoline_kernelINS0_13select_configILj256ELj13ELNS0_17block_load_methodE3ELS4_3ELS4_3ELNS0_20block_scan_algorithmE0ELj4294967295EEENS1_25partition_config_selectorILNS1_17partition_subalgoE3EjNS0_10empty_typeEbEEZZNS1_14partition_implILS8_3ELb0ES6_jNS0_17counting_iteratorIjlEEPS9_SE_NS0_5tupleIJPjSE_EEENSF_IJSE_SE_EEES9_SG_JZNS1_25segmented_radix_sort_implINS0_14default_configELb0EPKlPlSM_SN_N2at6native12_GLOBAL__N_18offset_tEEE10hipError_tPvRmT1_PNSt15iterator_traitsISV_E10value_typeET2_T3_PNSW_IS11_E10value_typeET4_jRbjT5_S17_jjP12ihipStream_tbEUljE_EEESS_ST_SU_S11_S15_S17_T6_T7_T9_mT8_S19_bDpT10_ENKUlT_T0_E_clISt17integral_constantIbLb1EES1L_IbLb0EEEEDaS1H_S1I_EUlS1H_E_NS1_11comp_targetILNS1_3genE5ELNS1_11target_archE942ELNS1_3gpuE9ELNS1_3repE0EEENS1_30default_config_static_selectorELNS0_4arch9wavefront6targetE0EEEvSV_
                                        ; -- End function
	.set _ZN7rocprim17ROCPRIM_400000_NS6detail17trampoline_kernelINS0_13select_configILj256ELj13ELNS0_17block_load_methodE3ELS4_3ELS4_3ELNS0_20block_scan_algorithmE0ELj4294967295EEENS1_25partition_config_selectorILNS1_17partition_subalgoE3EjNS0_10empty_typeEbEEZZNS1_14partition_implILS8_3ELb0ES6_jNS0_17counting_iteratorIjlEEPS9_SE_NS0_5tupleIJPjSE_EEENSF_IJSE_SE_EEES9_SG_JZNS1_25segmented_radix_sort_implINS0_14default_configELb0EPKlPlSM_SN_N2at6native12_GLOBAL__N_18offset_tEEE10hipError_tPvRmT1_PNSt15iterator_traitsISV_E10value_typeET2_T3_PNSW_IS11_E10value_typeET4_jRbjT5_S17_jjP12ihipStream_tbEUljE_EEESS_ST_SU_S11_S15_S17_T6_T7_T9_mT8_S19_bDpT10_ENKUlT_T0_E_clISt17integral_constantIbLb1EES1L_IbLb0EEEEDaS1H_S1I_EUlS1H_E_NS1_11comp_targetILNS1_3genE5ELNS1_11target_archE942ELNS1_3gpuE9ELNS1_3repE0EEENS1_30default_config_static_selectorELNS0_4arch9wavefront6targetE0EEEvSV_.num_vgpr, 0
	.set _ZN7rocprim17ROCPRIM_400000_NS6detail17trampoline_kernelINS0_13select_configILj256ELj13ELNS0_17block_load_methodE3ELS4_3ELS4_3ELNS0_20block_scan_algorithmE0ELj4294967295EEENS1_25partition_config_selectorILNS1_17partition_subalgoE3EjNS0_10empty_typeEbEEZZNS1_14partition_implILS8_3ELb0ES6_jNS0_17counting_iteratorIjlEEPS9_SE_NS0_5tupleIJPjSE_EEENSF_IJSE_SE_EEES9_SG_JZNS1_25segmented_radix_sort_implINS0_14default_configELb0EPKlPlSM_SN_N2at6native12_GLOBAL__N_18offset_tEEE10hipError_tPvRmT1_PNSt15iterator_traitsISV_E10value_typeET2_T3_PNSW_IS11_E10value_typeET4_jRbjT5_S17_jjP12ihipStream_tbEUljE_EEESS_ST_SU_S11_S15_S17_T6_T7_T9_mT8_S19_bDpT10_ENKUlT_T0_E_clISt17integral_constantIbLb1EES1L_IbLb0EEEEDaS1H_S1I_EUlS1H_E_NS1_11comp_targetILNS1_3genE5ELNS1_11target_archE942ELNS1_3gpuE9ELNS1_3repE0EEENS1_30default_config_static_selectorELNS0_4arch9wavefront6targetE0EEEvSV_.num_agpr, 0
	.set _ZN7rocprim17ROCPRIM_400000_NS6detail17trampoline_kernelINS0_13select_configILj256ELj13ELNS0_17block_load_methodE3ELS4_3ELS4_3ELNS0_20block_scan_algorithmE0ELj4294967295EEENS1_25partition_config_selectorILNS1_17partition_subalgoE3EjNS0_10empty_typeEbEEZZNS1_14partition_implILS8_3ELb0ES6_jNS0_17counting_iteratorIjlEEPS9_SE_NS0_5tupleIJPjSE_EEENSF_IJSE_SE_EEES9_SG_JZNS1_25segmented_radix_sort_implINS0_14default_configELb0EPKlPlSM_SN_N2at6native12_GLOBAL__N_18offset_tEEE10hipError_tPvRmT1_PNSt15iterator_traitsISV_E10value_typeET2_T3_PNSW_IS11_E10value_typeET4_jRbjT5_S17_jjP12ihipStream_tbEUljE_EEESS_ST_SU_S11_S15_S17_T6_T7_T9_mT8_S19_bDpT10_ENKUlT_T0_E_clISt17integral_constantIbLb1EES1L_IbLb0EEEEDaS1H_S1I_EUlS1H_E_NS1_11comp_targetILNS1_3genE5ELNS1_11target_archE942ELNS1_3gpuE9ELNS1_3repE0EEENS1_30default_config_static_selectorELNS0_4arch9wavefront6targetE0EEEvSV_.numbered_sgpr, 0
	.set _ZN7rocprim17ROCPRIM_400000_NS6detail17trampoline_kernelINS0_13select_configILj256ELj13ELNS0_17block_load_methodE3ELS4_3ELS4_3ELNS0_20block_scan_algorithmE0ELj4294967295EEENS1_25partition_config_selectorILNS1_17partition_subalgoE3EjNS0_10empty_typeEbEEZZNS1_14partition_implILS8_3ELb0ES6_jNS0_17counting_iteratorIjlEEPS9_SE_NS0_5tupleIJPjSE_EEENSF_IJSE_SE_EEES9_SG_JZNS1_25segmented_radix_sort_implINS0_14default_configELb0EPKlPlSM_SN_N2at6native12_GLOBAL__N_18offset_tEEE10hipError_tPvRmT1_PNSt15iterator_traitsISV_E10value_typeET2_T3_PNSW_IS11_E10value_typeET4_jRbjT5_S17_jjP12ihipStream_tbEUljE_EEESS_ST_SU_S11_S15_S17_T6_T7_T9_mT8_S19_bDpT10_ENKUlT_T0_E_clISt17integral_constantIbLb1EES1L_IbLb0EEEEDaS1H_S1I_EUlS1H_E_NS1_11comp_targetILNS1_3genE5ELNS1_11target_archE942ELNS1_3gpuE9ELNS1_3repE0EEENS1_30default_config_static_selectorELNS0_4arch9wavefront6targetE0EEEvSV_.num_named_barrier, 0
	.set _ZN7rocprim17ROCPRIM_400000_NS6detail17trampoline_kernelINS0_13select_configILj256ELj13ELNS0_17block_load_methodE3ELS4_3ELS4_3ELNS0_20block_scan_algorithmE0ELj4294967295EEENS1_25partition_config_selectorILNS1_17partition_subalgoE3EjNS0_10empty_typeEbEEZZNS1_14partition_implILS8_3ELb0ES6_jNS0_17counting_iteratorIjlEEPS9_SE_NS0_5tupleIJPjSE_EEENSF_IJSE_SE_EEES9_SG_JZNS1_25segmented_radix_sort_implINS0_14default_configELb0EPKlPlSM_SN_N2at6native12_GLOBAL__N_18offset_tEEE10hipError_tPvRmT1_PNSt15iterator_traitsISV_E10value_typeET2_T3_PNSW_IS11_E10value_typeET4_jRbjT5_S17_jjP12ihipStream_tbEUljE_EEESS_ST_SU_S11_S15_S17_T6_T7_T9_mT8_S19_bDpT10_ENKUlT_T0_E_clISt17integral_constantIbLb1EES1L_IbLb0EEEEDaS1H_S1I_EUlS1H_E_NS1_11comp_targetILNS1_3genE5ELNS1_11target_archE942ELNS1_3gpuE9ELNS1_3repE0EEENS1_30default_config_static_selectorELNS0_4arch9wavefront6targetE0EEEvSV_.private_seg_size, 0
	.set _ZN7rocprim17ROCPRIM_400000_NS6detail17trampoline_kernelINS0_13select_configILj256ELj13ELNS0_17block_load_methodE3ELS4_3ELS4_3ELNS0_20block_scan_algorithmE0ELj4294967295EEENS1_25partition_config_selectorILNS1_17partition_subalgoE3EjNS0_10empty_typeEbEEZZNS1_14partition_implILS8_3ELb0ES6_jNS0_17counting_iteratorIjlEEPS9_SE_NS0_5tupleIJPjSE_EEENSF_IJSE_SE_EEES9_SG_JZNS1_25segmented_radix_sort_implINS0_14default_configELb0EPKlPlSM_SN_N2at6native12_GLOBAL__N_18offset_tEEE10hipError_tPvRmT1_PNSt15iterator_traitsISV_E10value_typeET2_T3_PNSW_IS11_E10value_typeET4_jRbjT5_S17_jjP12ihipStream_tbEUljE_EEESS_ST_SU_S11_S15_S17_T6_T7_T9_mT8_S19_bDpT10_ENKUlT_T0_E_clISt17integral_constantIbLb1EES1L_IbLb0EEEEDaS1H_S1I_EUlS1H_E_NS1_11comp_targetILNS1_3genE5ELNS1_11target_archE942ELNS1_3gpuE9ELNS1_3repE0EEENS1_30default_config_static_selectorELNS0_4arch9wavefront6targetE0EEEvSV_.uses_vcc, 0
	.set _ZN7rocprim17ROCPRIM_400000_NS6detail17trampoline_kernelINS0_13select_configILj256ELj13ELNS0_17block_load_methodE3ELS4_3ELS4_3ELNS0_20block_scan_algorithmE0ELj4294967295EEENS1_25partition_config_selectorILNS1_17partition_subalgoE3EjNS0_10empty_typeEbEEZZNS1_14partition_implILS8_3ELb0ES6_jNS0_17counting_iteratorIjlEEPS9_SE_NS0_5tupleIJPjSE_EEENSF_IJSE_SE_EEES9_SG_JZNS1_25segmented_radix_sort_implINS0_14default_configELb0EPKlPlSM_SN_N2at6native12_GLOBAL__N_18offset_tEEE10hipError_tPvRmT1_PNSt15iterator_traitsISV_E10value_typeET2_T3_PNSW_IS11_E10value_typeET4_jRbjT5_S17_jjP12ihipStream_tbEUljE_EEESS_ST_SU_S11_S15_S17_T6_T7_T9_mT8_S19_bDpT10_ENKUlT_T0_E_clISt17integral_constantIbLb1EES1L_IbLb0EEEEDaS1H_S1I_EUlS1H_E_NS1_11comp_targetILNS1_3genE5ELNS1_11target_archE942ELNS1_3gpuE9ELNS1_3repE0EEENS1_30default_config_static_selectorELNS0_4arch9wavefront6targetE0EEEvSV_.uses_flat_scratch, 0
	.set _ZN7rocprim17ROCPRIM_400000_NS6detail17trampoline_kernelINS0_13select_configILj256ELj13ELNS0_17block_load_methodE3ELS4_3ELS4_3ELNS0_20block_scan_algorithmE0ELj4294967295EEENS1_25partition_config_selectorILNS1_17partition_subalgoE3EjNS0_10empty_typeEbEEZZNS1_14partition_implILS8_3ELb0ES6_jNS0_17counting_iteratorIjlEEPS9_SE_NS0_5tupleIJPjSE_EEENSF_IJSE_SE_EEES9_SG_JZNS1_25segmented_radix_sort_implINS0_14default_configELb0EPKlPlSM_SN_N2at6native12_GLOBAL__N_18offset_tEEE10hipError_tPvRmT1_PNSt15iterator_traitsISV_E10value_typeET2_T3_PNSW_IS11_E10value_typeET4_jRbjT5_S17_jjP12ihipStream_tbEUljE_EEESS_ST_SU_S11_S15_S17_T6_T7_T9_mT8_S19_bDpT10_ENKUlT_T0_E_clISt17integral_constantIbLb1EES1L_IbLb0EEEEDaS1H_S1I_EUlS1H_E_NS1_11comp_targetILNS1_3genE5ELNS1_11target_archE942ELNS1_3gpuE9ELNS1_3repE0EEENS1_30default_config_static_selectorELNS0_4arch9wavefront6targetE0EEEvSV_.has_dyn_sized_stack, 0
	.set _ZN7rocprim17ROCPRIM_400000_NS6detail17trampoline_kernelINS0_13select_configILj256ELj13ELNS0_17block_load_methodE3ELS4_3ELS4_3ELNS0_20block_scan_algorithmE0ELj4294967295EEENS1_25partition_config_selectorILNS1_17partition_subalgoE3EjNS0_10empty_typeEbEEZZNS1_14partition_implILS8_3ELb0ES6_jNS0_17counting_iteratorIjlEEPS9_SE_NS0_5tupleIJPjSE_EEENSF_IJSE_SE_EEES9_SG_JZNS1_25segmented_radix_sort_implINS0_14default_configELb0EPKlPlSM_SN_N2at6native12_GLOBAL__N_18offset_tEEE10hipError_tPvRmT1_PNSt15iterator_traitsISV_E10value_typeET2_T3_PNSW_IS11_E10value_typeET4_jRbjT5_S17_jjP12ihipStream_tbEUljE_EEESS_ST_SU_S11_S15_S17_T6_T7_T9_mT8_S19_bDpT10_ENKUlT_T0_E_clISt17integral_constantIbLb1EES1L_IbLb0EEEEDaS1H_S1I_EUlS1H_E_NS1_11comp_targetILNS1_3genE5ELNS1_11target_archE942ELNS1_3gpuE9ELNS1_3repE0EEENS1_30default_config_static_selectorELNS0_4arch9wavefront6targetE0EEEvSV_.has_recursion, 0
	.set _ZN7rocprim17ROCPRIM_400000_NS6detail17trampoline_kernelINS0_13select_configILj256ELj13ELNS0_17block_load_methodE3ELS4_3ELS4_3ELNS0_20block_scan_algorithmE0ELj4294967295EEENS1_25partition_config_selectorILNS1_17partition_subalgoE3EjNS0_10empty_typeEbEEZZNS1_14partition_implILS8_3ELb0ES6_jNS0_17counting_iteratorIjlEEPS9_SE_NS0_5tupleIJPjSE_EEENSF_IJSE_SE_EEES9_SG_JZNS1_25segmented_radix_sort_implINS0_14default_configELb0EPKlPlSM_SN_N2at6native12_GLOBAL__N_18offset_tEEE10hipError_tPvRmT1_PNSt15iterator_traitsISV_E10value_typeET2_T3_PNSW_IS11_E10value_typeET4_jRbjT5_S17_jjP12ihipStream_tbEUljE_EEESS_ST_SU_S11_S15_S17_T6_T7_T9_mT8_S19_bDpT10_ENKUlT_T0_E_clISt17integral_constantIbLb1EES1L_IbLb0EEEEDaS1H_S1I_EUlS1H_E_NS1_11comp_targetILNS1_3genE5ELNS1_11target_archE942ELNS1_3gpuE9ELNS1_3repE0EEENS1_30default_config_static_selectorELNS0_4arch9wavefront6targetE0EEEvSV_.has_indirect_call, 0
	.section	.AMDGPU.csdata,"",@progbits
; Kernel info:
; codeLenInByte = 0
; TotalNumSgprs: 0
; NumVgprs: 0
; ScratchSize: 0
; MemoryBound: 0
; FloatMode: 240
; IeeeMode: 1
; LDSByteSize: 0 bytes/workgroup (compile time only)
; SGPRBlocks: 0
; VGPRBlocks: 0
; NumSGPRsForWavesPerEU: 1
; NumVGPRsForWavesPerEU: 1
; Occupancy: 16
; WaveLimiterHint : 0
; COMPUTE_PGM_RSRC2:SCRATCH_EN: 0
; COMPUTE_PGM_RSRC2:USER_SGPR: 6
; COMPUTE_PGM_RSRC2:TRAP_HANDLER: 0
; COMPUTE_PGM_RSRC2:TGID_X_EN: 1
; COMPUTE_PGM_RSRC2:TGID_Y_EN: 0
; COMPUTE_PGM_RSRC2:TGID_Z_EN: 0
; COMPUTE_PGM_RSRC2:TIDIG_COMP_CNT: 0
	.section	.text._ZN7rocprim17ROCPRIM_400000_NS6detail17trampoline_kernelINS0_13select_configILj256ELj13ELNS0_17block_load_methodE3ELS4_3ELS4_3ELNS0_20block_scan_algorithmE0ELj4294967295EEENS1_25partition_config_selectorILNS1_17partition_subalgoE3EjNS0_10empty_typeEbEEZZNS1_14partition_implILS8_3ELb0ES6_jNS0_17counting_iteratorIjlEEPS9_SE_NS0_5tupleIJPjSE_EEENSF_IJSE_SE_EEES9_SG_JZNS1_25segmented_radix_sort_implINS0_14default_configELb0EPKlPlSM_SN_N2at6native12_GLOBAL__N_18offset_tEEE10hipError_tPvRmT1_PNSt15iterator_traitsISV_E10value_typeET2_T3_PNSW_IS11_E10value_typeET4_jRbjT5_S17_jjP12ihipStream_tbEUljE_EEESS_ST_SU_S11_S15_S17_T6_T7_T9_mT8_S19_bDpT10_ENKUlT_T0_E_clISt17integral_constantIbLb1EES1L_IbLb0EEEEDaS1H_S1I_EUlS1H_E_NS1_11comp_targetILNS1_3genE4ELNS1_11target_archE910ELNS1_3gpuE8ELNS1_3repE0EEENS1_30default_config_static_selectorELNS0_4arch9wavefront6targetE0EEEvSV_,"axG",@progbits,_ZN7rocprim17ROCPRIM_400000_NS6detail17trampoline_kernelINS0_13select_configILj256ELj13ELNS0_17block_load_methodE3ELS4_3ELS4_3ELNS0_20block_scan_algorithmE0ELj4294967295EEENS1_25partition_config_selectorILNS1_17partition_subalgoE3EjNS0_10empty_typeEbEEZZNS1_14partition_implILS8_3ELb0ES6_jNS0_17counting_iteratorIjlEEPS9_SE_NS0_5tupleIJPjSE_EEENSF_IJSE_SE_EEES9_SG_JZNS1_25segmented_radix_sort_implINS0_14default_configELb0EPKlPlSM_SN_N2at6native12_GLOBAL__N_18offset_tEEE10hipError_tPvRmT1_PNSt15iterator_traitsISV_E10value_typeET2_T3_PNSW_IS11_E10value_typeET4_jRbjT5_S17_jjP12ihipStream_tbEUljE_EEESS_ST_SU_S11_S15_S17_T6_T7_T9_mT8_S19_bDpT10_ENKUlT_T0_E_clISt17integral_constantIbLb1EES1L_IbLb0EEEEDaS1H_S1I_EUlS1H_E_NS1_11comp_targetILNS1_3genE4ELNS1_11target_archE910ELNS1_3gpuE8ELNS1_3repE0EEENS1_30default_config_static_selectorELNS0_4arch9wavefront6targetE0EEEvSV_,comdat
	.globl	_ZN7rocprim17ROCPRIM_400000_NS6detail17trampoline_kernelINS0_13select_configILj256ELj13ELNS0_17block_load_methodE3ELS4_3ELS4_3ELNS0_20block_scan_algorithmE0ELj4294967295EEENS1_25partition_config_selectorILNS1_17partition_subalgoE3EjNS0_10empty_typeEbEEZZNS1_14partition_implILS8_3ELb0ES6_jNS0_17counting_iteratorIjlEEPS9_SE_NS0_5tupleIJPjSE_EEENSF_IJSE_SE_EEES9_SG_JZNS1_25segmented_radix_sort_implINS0_14default_configELb0EPKlPlSM_SN_N2at6native12_GLOBAL__N_18offset_tEEE10hipError_tPvRmT1_PNSt15iterator_traitsISV_E10value_typeET2_T3_PNSW_IS11_E10value_typeET4_jRbjT5_S17_jjP12ihipStream_tbEUljE_EEESS_ST_SU_S11_S15_S17_T6_T7_T9_mT8_S19_bDpT10_ENKUlT_T0_E_clISt17integral_constantIbLb1EES1L_IbLb0EEEEDaS1H_S1I_EUlS1H_E_NS1_11comp_targetILNS1_3genE4ELNS1_11target_archE910ELNS1_3gpuE8ELNS1_3repE0EEENS1_30default_config_static_selectorELNS0_4arch9wavefront6targetE0EEEvSV_ ; -- Begin function _ZN7rocprim17ROCPRIM_400000_NS6detail17trampoline_kernelINS0_13select_configILj256ELj13ELNS0_17block_load_methodE3ELS4_3ELS4_3ELNS0_20block_scan_algorithmE0ELj4294967295EEENS1_25partition_config_selectorILNS1_17partition_subalgoE3EjNS0_10empty_typeEbEEZZNS1_14partition_implILS8_3ELb0ES6_jNS0_17counting_iteratorIjlEEPS9_SE_NS0_5tupleIJPjSE_EEENSF_IJSE_SE_EEES9_SG_JZNS1_25segmented_radix_sort_implINS0_14default_configELb0EPKlPlSM_SN_N2at6native12_GLOBAL__N_18offset_tEEE10hipError_tPvRmT1_PNSt15iterator_traitsISV_E10value_typeET2_T3_PNSW_IS11_E10value_typeET4_jRbjT5_S17_jjP12ihipStream_tbEUljE_EEESS_ST_SU_S11_S15_S17_T6_T7_T9_mT8_S19_bDpT10_ENKUlT_T0_E_clISt17integral_constantIbLb1EES1L_IbLb0EEEEDaS1H_S1I_EUlS1H_E_NS1_11comp_targetILNS1_3genE4ELNS1_11target_archE910ELNS1_3gpuE8ELNS1_3repE0EEENS1_30default_config_static_selectorELNS0_4arch9wavefront6targetE0EEEvSV_
	.p2align	8
	.type	_ZN7rocprim17ROCPRIM_400000_NS6detail17trampoline_kernelINS0_13select_configILj256ELj13ELNS0_17block_load_methodE3ELS4_3ELS4_3ELNS0_20block_scan_algorithmE0ELj4294967295EEENS1_25partition_config_selectorILNS1_17partition_subalgoE3EjNS0_10empty_typeEbEEZZNS1_14partition_implILS8_3ELb0ES6_jNS0_17counting_iteratorIjlEEPS9_SE_NS0_5tupleIJPjSE_EEENSF_IJSE_SE_EEES9_SG_JZNS1_25segmented_radix_sort_implINS0_14default_configELb0EPKlPlSM_SN_N2at6native12_GLOBAL__N_18offset_tEEE10hipError_tPvRmT1_PNSt15iterator_traitsISV_E10value_typeET2_T3_PNSW_IS11_E10value_typeET4_jRbjT5_S17_jjP12ihipStream_tbEUljE_EEESS_ST_SU_S11_S15_S17_T6_T7_T9_mT8_S19_bDpT10_ENKUlT_T0_E_clISt17integral_constantIbLb1EES1L_IbLb0EEEEDaS1H_S1I_EUlS1H_E_NS1_11comp_targetILNS1_3genE4ELNS1_11target_archE910ELNS1_3gpuE8ELNS1_3repE0EEENS1_30default_config_static_selectorELNS0_4arch9wavefront6targetE0EEEvSV_,@function
_ZN7rocprim17ROCPRIM_400000_NS6detail17trampoline_kernelINS0_13select_configILj256ELj13ELNS0_17block_load_methodE3ELS4_3ELS4_3ELNS0_20block_scan_algorithmE0ELj4294967295EEENS1_25partition_config_selectorILNS1_17partition_subalgoE3EjNS0_10empty_typeEbEEZZNS1_14partition_implILS8_3ELb0ES6_jNS0_17counting_iteratorIjlEEPS9_SE_NS0_5tupleIJPjSE_EEENSF_IJSE_SE_EEES9_SG_JZNS1_25segmented_radix_sort_implINS0_14default_configELb0EPKlPlSM_SN_N2at6native12_GLOBAL__N_18offset_tEEE10hipError_tPvRmT1_PNSt15iterator_traitsISV_E10value_typeET2_T3_PNSW_IS11_E10value_typeET4_jRbjT5_S17_jjP12ihipStream_tbEUljE_EEESS_ST_SU_S11_S15_S17_T6_T7_T9_mT8_S19_bDpT10_ENKUlT_T0_E_clISt17integral_constantIbLb1EES1L_IbLb0EEEEDaS1H_S1I_EUlS1H_E_NS1_11comp_targetILNS1_3genE4ELNS1_11target_archE910ELNS1_3gpuE8ELNS1_3repE0EEENS1_30default_config_static_selectorELNS0_4arch9wavefront6targetE0EEEvSV_: ; @_ZN7rocprim17ROCPRIM_400000_NS6detail17trampoline_kernelINS0_13select_configILj256ELj13ELNS0_17block_load_methodE3ELS4_3ELS4_3ELNS0_20block_scan_algorithmE0ELj4294967295EEENS1_25partition_config_selectorILNS1_17partition_subalgoE3EjNS0_10empty_typeEbEEZZNS1_14partition_implILS8_3ELb0ES6_jNS0_17counting_iteratorIjlEEPS9_SE_NS0_5tupleIJPjSE_EEENSF_IJSE_SE_EEES9_SG_JZNS1_25segmented_radix_sort_implINS0_14default_configELb0EPKlPlSM_SN_N2at6native12_GLOBAL__N_18offset_tEEE10hipError_tPvRmT1_PNSt15iterator_traitsISV_E10value_typeET2_T3_PNSW_IS11_E10value_typeET4_jRbjT5_S17_jjP12ihipStream_tbEUljE_EEESS_ST_SU_S11_S15_S17_T6_T7_T9_mT8_S19_bDpT10_ENKUlT_T0_E_clISt17integral_constantIbLb1EES1L_IbLb0EEEEDaS1H_S1I_EUlS1H_E_NS1_11comp_targetILNS1_3genE4ELNS1_11target_archE910ELNS1_3gpuE8ELNS1_3repE0EEENS1_30default_config_static_selectorELNS0_4arch9wavefront6targetE0EEEvSV_
; %bb.0:
	.section	.rodata,"a",@progbits
	.p2align	6, 0x0
	.amdhsa_kernel _ZN7rocprim17ROCPRIM_400000_NS6detail17trampoline_kernelINS0_13select_configILj256ELj13ELNS0_17block_load_methodE3ELS4_3ELS4_3ELNS0_20block_scan_algorithmE0ELj4294967295EEENS1_25partition_config_selectorILNS1_17partition_subalgoE3EjNS0_10empty_typeEbEEZZNS1_14partition_implILS8_3ELb0ES6_jNS0_17counting_iteratorIjlEEPS9_SE_NS0_5tupleIJPjSE_EEENSF_IJSE_SE_EEES9_SG_JZNS1_25segmented_radix_sort_implINS0_14default_configELb0EPKlPlSM_SN_N2at6native12_GLOBAL__N_18offset_tEEE10hipError_tPvRmT1_PNSt15iterator_traitsISV_E10value_typeET2_T3_PNSW_IS11_E10value_typeET4_jRbjT5_S17_jjP12ihipStream_tbEUljE_EEESS_ST_SU_S11_S15_S17_T6_T7_T9_mT8_S19_bDpT10_ENKUlT_T0_E_clISt17integral_constantIbLb1EES1L_IbLb0EEEEDaS1H_S1I_EUlS1H_E_NS1_11comp_targetILNS1_3genE4ELNS1_11target_archE910ELNS1_3gpuE8ELNS1_3repE0EEENS1_30default_config_static_selectorELNS0_4arch9wavefront6targetE0EEEvSV_
		.amdhsa_group_segment_fixed_size 0
		.amdhsa_private_segment_fixed_size 0
		.amdhsa_kernarg_size 144
		.amdhsa_user_sgpr_count 6
		.amdhsa_user_sgpr_private_segment_buffer 1
		.amdhsa_user_sgpr_dispatch_ptr 0
		.amdhsa_user_sgpr_queue_ptr 0
		.amdhsa_user_sgpr_kernarg_segment_ptr 1
		.amdhsa_user_sgpr_dispatch_id 0
		.amdhsa_user_sgpr_flat_scratch_init 0
		.amdhsa_user_sgpr_private_segment_size 0
		.amdhsa_wavefront_size32 1
		.amdhsa_uses_dynamic_stack 0
		.amdhsa_system_sgpr_private_segment_wavefront_offset 0
		.amdhsa_system_sgpr_workgroup_id_x 1
		.amdhsa_system_sgpr_workgroup_id_y 0
		.amdhsa_system_sgpr_workgroup_id_z 0
		.amdhsa_system_sgpr_workgroup_info 0
		.amdhsa_system_vgpr_workitem_id 0
		.amdhsa_next_free_vgpr 1
		.amdhsa_next_free_sgpr 1
		.amdhsa_reserve_vcc 0
		.amdhsa_reserve_flat_scratch 0
		.amdhsa_float_round_mode_32 0
		.amdhsa_float_round_mode_16_64 0
		.amdhsa_float_denorm_mode_32 3
		.amdhsa_float_denorm_mode_16_64 3
		.amdhsa_dx10_clamp 1
		.amdhsa_ieee_mode 1
		.amdhsa_fp16_overflow 0
		.amdhsa_workgroup_processor_mode 1
		.amdhsa_memory_ordered 1
		.amdhsa_forward_progress 1
		.amdhsa_shared_vgpr_count 0
		.amdhsa_exception_fp_ieee_invalid_op 0
		.amdhsa_exception_fp_denorm_src 0
		.amdhsa_exception_fp_ieee_div_zero 0
		.amdhsa_exception_fp_ieee_overflow 0
		.amdhsa_exception_fp_ieee_underflow 0
		.amdhsa_exception_fp_ieee_inexact 0
		.amdhsa_exception_int_div_zero 0
	.end_amdhsa_kernel
	.section	.text._ZN7rocprim17ROCPRIM_400000_NS6detail17trampoline_kernelINS0_13select_configILj256ELj13ELNS0_17block_load_methodE3ELS4_3ELS4_3ELNS0_20block_scan_algorithmE0ELj4294967295EEENS1_25partition_config_selectorILNS1_17partition_subalgoE3EjNS0_10empty_typeEbEEZZNS1_14partition_implILS8_3ELb0ES6_jNS0_17counting_iteratorIjlEEPS9_SE_NS0_5tupleIJPjSE_EEENSF_IJSE_SE_EEES9_SG_JZNS1_25segmented_radix_sort_implINS0_14default_configELb0EPKlPlSM_SN_N2at6native12_GLOBAL__N_18offset_tEEE10hipError_tPvRmT1_PNSt15iterator_traitsISV_E10value_typeET2_T3_PNSW_IS11_E10value_typeET4_jRbjT5_S17_jjP12ihipStream_tbEUljE_EEESS_ST_SU_S11_S15_S17_T6_T7_T9_mT8_S19_bDpT10_ENKUlT_T0_E_clISt17integral_constantIbLb1EES1L_IbLb0EEEEDaS1H_S1I_EUlS1H_E_NS1_11comp_targetILNS1_3genE4ELNS1_11target_archE910ELNS1_3gpuE8ELNS1_3repE0EEENS1_30default_config_static_selectorELNS0_4arch9wavefront6targetE0EEEvSV_,"axG",@progbits,_ZN7rocprim17ROCPRIM_400000_NS6detail17trampoline_kernelINS0_13select_configILj256ELj13ELNS0_17block_load_methodE3ELS4_3ELS4_3ELNS0_20block_scan_algorithmE0ELj4294967295EEENS1_25partition_config_selectorILNS1_17partition_subalgoE3EjNS0_10empty_typeEbEEZZNS1_14partition_implILS8_3ELb0ES6_jNS0_17counting_iteratorIjlEEPS9_SE_NS0_5tupleIJPjSE_EEENSF_IJSE_SE_EEES9_SG_JZNS1_25segmented_radix_sort_implINS0_14default_configELb0EPKlPlSM_SN_N2at6native12_GLOBAL__N_18offset_tEEE10hipError_tPvRmT1_PNSt15iterator_traitsISV_E10value_typeET2_T3_PNSW_IS11_E10value_typeET4_jRbjT5_S17_jjP12ihipStream_tbEUljE_EEESS_ST_SU_S11_S15_S17_T6_T7_T9_mT8_S19_bDpT10_ENKUlT_T0_E_clISt17integral_constantIbLb1EES1L_IbLb0EEEEDaS1H_S1I_EUlS1H_E_NS1_11comp_targetILNS1_3genE4ELNS1_11target_archE910ELNS1_3gpuE8ELNS1_3repE0EEENS1_30default_config_static_selectorELNS0_4arch9wavefront6targetE0EEEvSV_,comdat
.Lfunc_end787:
	.size	_ZN7rocprim17ROCPRIM_400000_NS6detail17trampoline_kernelINS0_13select_configILj256ELj13ELNS0_17block_load_methodE3ELS4_3ELS4_3ELNS0_20block_scan_algorithmE0ELj4294967295EEENS1_25partition_config_selectorILNS1_17partition_subalgoE3EjNS0_10empty_typeEbEEZZNS1_14partition_implILS8_3ELb0ES6_jNS0_17counting_iteratorIjlEEPS9_SE_NS0_5tupleIJPjSE_EEENSF_IJSE_SE_EEES9_SG_JZNS1_25segmented_radix_sort_implINS0_14default_configELb0EPKlPlSM_SN_N2at6native12_GLOBAL__N_18offset_tEEE10hipError_tPvRmT1_PNSt15iterator_traitsISV_E10value_typeET2_T3_PNSW_IS11_E10value_typeET4_jRbjT5_S17_jjP12ihipStream_tbEUljE_EEESS_ST_SU_S11_S15_S17_T6_T7_T9_mT8_S19_bDpT10_ENKUlT_T0_E_clISt17integral_constantIbLb1EES1L_IbLb0EEEEDaS1H_S1I_EUlS1H_E_NS1_11comp_targetILNS1_3genE4ELNS1_11target_archE910ELNS1_3gpuE8ELNS1_3repE0EEENS1_30default_config_static_selectorELNS0_4arch9wavefront6targetE0EEEvSV_, .Lfunc_end787-_ZN7rocprim17ROCPRIM_400000_NS6detail17trampoline_kernelINS0_13select_configILj256ELj13ELNS0_17block_load_methodE3ELS4_3ELS4_3ELNS0_20block_scan_algorithmE0ELj4294967295EEENS1_25partition_config_selectorILNS1_17partition_subalgoE3EjNS0_10empty_typeEbEEZZNS1_14partition_implILS8_3ELb0ES6_jNS0_17counting_iteratorIjlEEPS9_SE_NS0_5tupleIJPjSE_EEENSF_IJSE_SE_EEES9_SG_JZNS1_25segmented_radix_sort_implINS0_14default_configELb0EPKlPlSM_SN_N2at6native12_GLOBAL__N_18offset_tEEE10hipError_tPvRmT1_PNSt15iterator_traitsISV_E10value_typeET2_T3_PNSW_IS11_E10value_typeET4_jRbjT5_S17_jjP12ihipStream_tbEUljE_EEESS_ST_SU_S11_S15_S17_T6_T7_T9_mT8_S19_bDpT10_ENKUlT_T0_E_clISt17integral_constantIbLb1EES1L_IbLb0EEEEDaS1H_S1I_EUlS1H_E_NS1_11comp_targetILNS1_3genE4ELNS1_11target_archE910ELNS1_3gpuE8ELNS1_3repE0EEENS1_30default_config_static_selectorELNS0_4arch9wavefront6targetE0EEEvSV_
                                        ; -- End function
	.set _ZN7rocprim17ROCPRIM_400000_NS6detail17trampoline_kernelINS0_13select_configILj256ELj13ELNS0_17block_load_methodE3ELS4_3ELS4_3ELNS0_20block_scan_algorithmE0ELj4294967295EEENS1_25partition_config_selectorILNS1_17partition_subalgoE3EjNS0_10empty_typeEbEEZZNS1_14partition_implILS8_3ELb0ES6_jNS0_17counting_iteratorIjlEEPS9_SE_NS0_5tupleIJPjSE_EEENSF_IJSE_SE_EEES9_SG_JZNS1_25segmented_radix_sort_implINS0_14default_configELb0EPKlPlSM_SN_N2at6native12_GLOBAL__N_18offset_tEEE10hipError_tPvRmT1_PNSt15iterator_traitsISV_E10value_typeET2_T3_PNSW_IS11_E10value_typeET4_jRbjT5_S17_jjP12ihipStream_tbEUljE_EEESS_ST_SU_S11_S15_S17_T6_T7_T9_mT8_S19_bDpT10_ENKUlT_T0_E_clISt17integral_constantIbLb1EES1L_IbLb0EEEEDaS1H_S1I_EUlS1H_E_NS1_11comp_targetILNS1_3genE4ELNS1_11target_archE910ELNS1_3gpuE8ELNS1_3repE0EEENS1_30default_config_static_selectorELNS0_4arch9wavefront6targetE0EEEvSV_.num_vgpr, 0
	.set _ZN7rocprim17ROCPRIM_400000_NS6detail17trampoline_kernelINS0_13select_configILj256ELj13ELNS0_17block_load_methodE3ELS4_3ELS4_3ELNS0_20block_scan_algorithmE0ELj4294967295EEENS1_25partition_config_selectorILNS1_17partition_subalgoE3EjNS0_10empty_typeEbEEZZNS1_14partition_implILS8_3ELb0ES6_jNS0_17counting_iteratorIjlEEPS9_SE_NS0_5tupleIJPjSE_EEENSF_IJSE_SE_EEES9_SG_JZNS1_25segmented_radix_sort_implINS0_14default_configELb0EPKlPlSM_SN_N2at6native12_GLOBAL__N_18offset_tEEE10hipError_tPvRmT1_PNSt15iterator_traitsISV_E10value_typeET2_T3_PNSW_IS11_E10value_typeET4_jRbjT5_S17_jjP12ihipStream_tbEUljE_EEESS_ST_SU_S11_S15_S17_T6_T7_T9_mT8_S19_bDpT10_ENKUlT_T0_E_clISt17integral_constantIbLb1EES1L_IbLb0EEEEDaS1H_S1I_EUlS1H_E_NS1_11comp_targetILNS1_3genE4ELNS1_11target_archE910ELNS1_3gpuE8ELNS1_3repE0EEENS1_30default_config_static_selectorELNS0_4arch9wavefront6targetE0EEEvSV_.num_agpr, 0
	.set _ZN7rocprim17ROCPRIM_400000_NS6detail17trampoline_kernelINS0_13select_configILj256ELj13ELNS0_17block_load_methodE3ELS4_3ELS4_3ELNS0_20block_scan_algorithmE0ELj4294967295EEENS1_25partition_config_selectorILNS1_17partition_subalgoE3EjNS0_10empty_typeEbEEZZNS1_14partition_implILS8_3ELb0ES6_jNS0_17counting_iteratorIjlEEPS9_SE_NS0_5tupleIJPjSE_EEENSF_IJSE_SE_EEES9_SG_JZNS1_25segmented_radix_sort_implINS0_14default_configELb0EPKlPlSM_SN_N2at6native12_GLOBAL__N_18offset_tEEE10hipError_tPvRmT1_PNSt15iterator_traitsISV_E10value_typeET2_T3_PNSW_IS11_E10value_typeET4_jRbjT5_S17_jjP12ihipStream_tbEUljE_EEESS_ST_SU_S11_S15_S17_T6_T7_T9_mT8_S19_bDpT10_ENKUlT_T0_E_clISt17integral_constantIbLb1EES1L_IbLb0EEEEDaS1H_S1I_EUlS1H_E_NS1_11comp_targetILNS1_3genE4ELNS1_11target_archE910ELNS1_3gpuE8ELNS1_3repE0EEENS1_30default_config_static_selectorELNS0_4arch9wavefront6targetE0EEEvSV_.numbered_sgpr, 0
	.set _ZN7rocprim17ROCPRIM_400000_NS6detail17trampoline_kernelINS0_13select_configILj256ELj13ELNS0_17block_load_methodE3ELS4_3ELS4_3ELNS0_20block_scan_algorithmE0ELj4294967295EEENS1_25partition_config_selectorILNS1_17partition_subalgoE3EjNS0_10empty_typeEbEEZZNS1_14partition_implILS8_3ELb0ES6_jNS0_17counting_iteratorIjlEEPS9_SE_NS0_5tupleIJPjSE_EEENSF_IJSE_SE_EEES9_SG_JZNS1_25segmented_radix_sort_implINS0_14default_configELb0EPKlPlSM_SN_N2at6native12_GLOBAL__N_18offset_tEEE10hipError_tPvRmT1_PNSt15iterator_traitsISV_E10value_typeET2_T3_PNSW_IS11_E10value_typeET4_jRbjT5_S17_jjP12ihipStream_tbEUljE_EEESS_ST_SU_S11_S15_S17_T6_T7_T9_mT8_S19_bDpT10_ENKUlT_T0_E_clISt17integral_constantIbLb1EES1L_IbLb0EEEEDaS1H_S1I_EUlS1H_E_NS1_11comp_targetILNS1_3genE4ELNS1_11target_archE910ELNS1_3gpuE8ELNS1_3repE0EEENS1_30default_config_static_selectorELNS0_4arch9wavefront6targetE0EEEvSV_.num_named_barrier, 0
	.set _ZN7rocprim17ROCPRIM_400000_NS6detail17trampoline_kernelINS0_13select_configILj256ELj13ELNS0_17block_load_methodE3ELS4_3ELS4_3ELNS0_20block_scan_algorithmE0ELj4294967295EEENS1_25partition_config_selectorILNS1_17partition_subalgoE3EjNS0_10empty_typeEbEEZZNS1_14partition_implILS8_3ELb0ES6_jNS0_17counting_iteratorIjlEEPS9_SE_NS0_5tupleIJPjSE_EEENSF_IJSE_SE_EEES9_SG_JZNS1_25segmented_radix_sort_implINS0_14default_configELb0EPKlPlSM_SN_N2at6native12_GLOBAL__N_18offset_tEEE10hipError_tPvRmT1_PNSt15iterator_traitsISV_E10value_typeET2_T3_PNSW_IS11_E10value_typeET4_jRbjT5_S17_jjP12ihipStream_tbEUljE_EEESS_ST_SU_S11_S15_S17_T6_T7_T9_mT8_S19_bDpT10_ENKUlT_T0_E_clISt17integral_constantIbLb1EES1L_IbLb0EEEEDaS1H_S1I_EUlS1H_E_NS1_11comp_targetILNS1_3genE4ELNS1_11target_archE910ELNS1_3gpuE8ELNS1_3repE0EEENS1_30default_config_static_selectorELNS0_4arch9wavefront6targetE0EEEvSV_.private_seg_size, 0
	.set _ZN7rocprim17ROCPRIM_400000_NS6detail17trampoline_kernelINS0_13select_configILj256ELj13ELNS0_17block_load_methodE3ELS4_3ELS4_3ELNS0_20block_scan_algorithmE0ELj4294967295EEENS1_25partition_config_selectorILNS1_17partition_subalgoE3EjNS0_10empty_typeEbEEZZNS1_14partition_implILS8_3ELb0ES6_jNS0_17counting_iteratorIjlEEPS9_SE_NS0_5tupleIJPjSE_EEENSF_IJSE_SE_EEES9_SG_JZNS1_25segmented_radix_sort_implINS0_14default_configELb0EPKlPlSM_SN_N2at6native12_GLOBAL__N_18offset_tEEE10hipError_tPvRmT1_PNSt15iterator_traitsISV_E10value_typeET2_T3_PNSW_IS11_E10value_typeET4_jRbjT5_S17_jjP12ihipStream_tbEUljE_EEESS_ST_SU_S11_S15_S17_T6_T7_T9_mT8_S19_bDpT10_ENKUlT_T0_E_clISt17integral_constantIbLb1EES1L_IbLb0EEEEDaS1H_S1I_EUlS1H_E_NS1_11comp_targetILNS1_3genE4ELNS1_11target_archE910ELNS1_3gpuE8ELNS1_3repE0EEENS1_30default_config_static_selectorELNS0_4arch9wavefront6targetE0EEEvSV_.uses_vcc, 0
	.set _ZN7rocprim17ROCPRIM_400000_NS6detail17trampoline_kernelINS0_13select_configILj256ELj13ELNS0_17block_load_methodE3ELS4_3ELS4_3ELNS0_20block_scan_algorithmE0ELj4294967295EEENS1_25partition_config_selectorILNS1_17partition_subalgoE3EjNS0_10empty_typeEbEEZZNS1_14partition_implILS8_3ELb0ES6_jNS0_17counting_iteratorIjlEEPS9_SE_NS0_5tupleIJPjSE_EEENSF_IJSE_SE_EEES9_SG_JZNS1_25segmented_radix_sort_implINS0_14default_configELb0EPKlPlSM_SN_N2at6native12_GLOBAL__N_18offset_tEEE10hipError_tPvRmT1_PNSt15iterator_traitsISV_E10value_typeET2_T3_PNSW_IS11_E10value_typeET4_jRbjT5_S17_jjP12ihipStream_tbEUljE_EEESS_ST_SU_S11_S15_S17_T6_T7_T9_mT8_S19_bDpT10_ENKUlT_T0_E_clISt17integral_constantIbLb1EES1L_IbLb0EEEEDaS1H_S1I_EUlS1H_E_NS1_11comp_targetILNS1_3genE4ELNS1_11target_archE910ELNS1_3gpuE8ELNS1_3repE0EEENS1_30default_config_static_selectorELNS0_4arch9wavefront6targetE0EEEvSV_.uses_flat_scratch, 0
	.set _ZN7rocprim17ROCPRIM_400000_NS6detail17trampoline_kernelINS0_13select_configILj256ELj13ELNS0_17block_load_methodE3ELS4_3ELS4_3ELNS0_20block_scan_algorithmE0ELj4294967295EEENS1_25partition_config_selectorILNS1_17partition_subalgoE3EjNS0_10empty_typeEbEEZZNS1_14partition_implILS8_3ELb0ES6_jNS0_17counting_iteratorIjlEEPS9_SE_NS0_5tupleIJPjSE_EEENSF_IJSE_SE_EEES9_SG_JZNS1_25segmented_radix_sort_implINS0_14default_configELb0EPKlPlSM_SN_N2at6native12_GLOBAL__N_18offset_tEEE10hipError_tPvRmT1_PNSt15iterator_traitsISV_E10value_typeET2_T3_PNSW_IS11_E10value_typeET4_jRbjT5_S17_jjP12ihipStream_tbEUljE_EEESS_ST_SU_S11_S15_S17_T6_T7_T9_mT8_S19_bDpT10_ENKUlT_T0_E_clISt17integral_constantIbLb1EES1L_IbLb0EEEEDaS1H_S1I_EUlS1H_E_NS1_11comp_targetILNS1_3genE4ELNS1_11target_archE910ELNS1_3gpuE8ELNS1_3repE0EEENS1_30default_config_static_selectorELNS0_4arch9wavefront6targetE0EEEvSV_.has_dyn_sized_stack, 0
	.set _ZN7rocprim17ROCPRIM_400000_NS6detail17trampoline_kernelINS0_13select_configILj256ELj13ELNS0_17block_load_methodE3ELS4_3ELS4_3ELNS0_20block_scan_algorithmE0ELj4294967295EEENS1_25partition_config_selectorILNS1_17partition_subalgoE3EjNS0_10empty_typeEbEEZZNS1_14partition_implILS8_3ELb0ES6_jNS0_17counting_iteratorIjlEEPS9_SE_NS0_5tupleIJPjSE_EEENSF_IJSE_SE_EEES9_SG_JZNS1_25segmented_radix_sort_implINS0_14default_configELb0EPKlPlSM_SN_N2at6native12_GLOBAL__N_18offset_tEEE10hipError_tPvRmT1_PNSt15iterator_traitsISV_E10value_typeET2_T3_PNSW_IS11_E10value_typeET4_jRbjT5_S17_jjP12ihipStream_tbEUljE_EEESS_ST_SU_S11_S15_S17_T6_T7_T9_mT8_S19_bDpT10_ENKUlT_T0_E_clISt17integral_constantIbLb1EES1L_IbLb0EEEEDaS1H_S1I_EUlS1H_E_NS1_11comp_targetILNS1_3genE4ELNS1_11target_archE910ELNS1_3gpuE8ELNS1_3repE0EEENS1_30default_config_static_selectorELNS0_4arch9wavefront6targetE0EEEvSV_.has_recursion, 0
	.set _ZN7rocprim17ROCPRIM_400000_NS6detail17trampoline_kernelINS0_13select_configILj256ELj13ELNS0_17block_load_methodE3ELS4_3ELS4_3ELNS0_20block_scan_algorithmE0ELj4294967295EEENS1_25partition_config_selectorILNS1_17partition_subalgoE3EjNS0_10empty_typeEbEEZZNS1_14partition_implILS8_3ELb0ES6_jNS0_17counting_iteratorIjlEEPS9_SE_NS0_5tupleIJPjSE_EEENSF_IJSE_SE_EEES9_SG_JZNS1_25segmented_radix_sort_implINS0_14default_configELb0EPKlPlSM_SN_N2at6native12_GLOBAL__N_18offset_tEEE10hipError_tPvRmT1_PNSt15iterator_traitsISV_E10value_typeET2_T3_PNSW_IS11_E10value_typeET4_jRbjT5_S17_jjP12ihipStream_tbEUljE_EEESS_ST_SU_S11_S15_S17_T6_T7_T9_mT8_S19_bDpT10_ENKUlT_T0_E_clISt17integral_constantIbLb1EES1L_IbLb0EEEEDaS1H_S1I_EUlS1H_E_NS1_11comp_targetILNS1_3genE4ELNS1_11target_archE910ELNS1_3gpuE8ELNS1_3repE0EEENS1_30default_config_static_selectorELNS0_4arch9wavefront6targetE0EEEvSV_.has_indirect_call, 0
	.section	.AMDGPU.csdata,"",@progbits
; Kernel info:
; codeLenInByte = 0
; TotalNumSgprs: 0
; NumVgprs: 0
; ScratchSize: 0
; MemoryBound: 0
; FloatMode: 240
; IeeeMode: 1
; LDSByteSize: 0 bytes/workgroup (compile time only)
; SGPRBlocks: 0
; VGPRBlocks: 0
; NumSGPRsForWavesPerEU: 1
; NumVGPRsForWavesPerEU: 1
; Occupancy: 16
; WaveLimiterHint : 0
; COMPUTE_PGM_RSRC2:SCRATCH_EN: 0
; COMPUTE_PGM_RSRC2:USER_SGPR: 6
; COMPUTE_PGM_RSRC2:TRAP_HANDLER: 0
; COMPUTE_PGM_RSRC2:TGID_X_EN: 1
; COMPUTE_PGM_RSRC2:TGID_Y_EN: 0
; COMPUTE_PGM_RSRC2:TGID_Z_EN: 0
; COMPUTE_PGM_RSRC2:TIDIG_COMP_CNT: 0
	.section	.text._ZN7rocprim17ROCPRIM_400000_NS6detail17trampoline_kernelINS0_13select_configILj256ELj13ELNS0_17block_load_methodE3ELS4_3ELS4_3ELNS0_20block_scan_algorithmE0ELj4294967295EEENS1_25partition_config_selectorILNS1_17partition_subalgoE3EjNS0_10empty_typeEbEEZZNS1_14partition_implILS8_3ELb0ES6_jNS0_17counting_iteratorIjlEEPS9_SE_NS0_5tupleIJPjSE_EEENSF_IJSE_SE_EEES9_SG_JZNS1_25segmented_radix_sort_implINS0_14default_configELb0EPKlPlSM_SN_N2at6native12_GLOBAL__N_18offset_tEEE10hipError_tPvRmT1_PNSt15iterator_traitsISV_E10value_typeET2_T3_PNSW_IS11_E10value_typeET4_jRbjT5_S17_jjP12ihipStream_tbEUljE_EEESS_ST_SU_S11_S15_S17_T6_T7_T9_mT8_S19_bDpT10_ENKUlT_T0_E_clISt17integral_constantIbLb1EES1L_IbLb0EEEEDaS1H_S1I_EUlS1H_E_NS1_11comp_targetILNS1_3genE3ELNS1_11target_archE908ELNS1_3gpuE7ELNS1_3repE0EEENS1_30default_config_static_selectorELNS0_4arch9wavefront6targetE0EEEvSV_,"axG",@progbits,_ZN7rocprim17ROCPRIM_400000_NS6detail17trampoline_kernelINS0_13select_configILj256ELj13ELNS0_17block_load_methodE3ELS4_3ELS4_3ELNS0_20block_scan_algorithmE0ELj4294967295EEENS1_25partition_config_selectorILNS1_17partition_subalgoE3EjNS0_10empty_typeEbEEZZNS1_14partition_implILS8_3ELb0ES6_jNS0_17counting_iteratorIjlEEPS9_SE_NS0_5tupleIJPjSE_EEENSF_IJSE_SE_EEES9_SG_JZNS1_25segmented_radix_sort_implINS0_14default_configELb0EPKlPlSM_SN_N2at6native12_GLOBAL__N_18offset_tEEE10hipError_tPvRmT1_PNSt15iterator_traitsISV_E10value_typeET2_T3_PNSW_IS11_E10value_typeET4_jRbjT5_S17_jjP12ihipStream_tbEUljE_EEESS_ST_SU_S11_S15_S17_T6_T7_T9_mT8_S19_bDpT10_ENKUlT_T0_E_clISt17integral_constantIbLb1EES1L_IbLb0EEEEDaS1H_S1I_EUlS1H_E_NS1_11comp_targetILNS1_3genE3ELNS1_11target_archE908ELNS1_3gpuE7ELNS1_3repE0EEENS1_30default_config_static_selectorELNS0_4arch9wavefront6targetE0EEEvSV_,comdat
	.globl	_ZN7rocprim17ROCPRIM_400000_NS6detail17trampoline_kernelINS0_13select_configILj256ELj13ELNS0_17block_load_methodE3ELS4_3ELS4_3ELNS0_20block_scan_algorithmE0ELj4294967295EEENS1_25partition_config_selectorILNS1_17partition_subalgoE3EjNS0_10empty_typeEbEEZZNS1_14partition_implILS8_3ELb0ES6_jNS0_17counting_iteratorIjlEEPS9_SE_NS0_5tupleIJPjSE_EEENSF_IJSE_SE_EEES9_SG_JZNS1_25segmented_radix_sort_implINS0_14default_configELb0EPKlPlSM_SN_N2at6native12_GLOBAL__N_18offset_tEEE10hipError_tPvRmT1_PNSt15iterator_traitsISV_E10value_typeET2_T3_PNSW_IS11_E10value_typeET4_jRbjT5_S17_jjP12ihipStream_tbEUljE_EEESS_ST_SU_S11_S15_S17_T6_T7_T9_mT8_S19_bDpT10_ENKUlT_T0_E_clISt17integral_constantIbLb1EES1L_IbLb0EEEEDaS1H_S1I_EUlS1H_E_NS1_11comp_targetILNS1_3genE3ELNS1_11target_archE908ELNS1_3gpuE7ELNS1_3repE0EEENS1_30default_config_static_selectorELNS0_4arch9wavefront6targetE0EEEvSV_ ; -- Begin function _ZN7rocprim17ROCPRIM_400000_NS6detail17trampoline_kernelINS0_13select_configILj256ELj13ELNS0_17block_load_methodE3ELS4_3ELS4_3ELNS0_20block_scan_algorithmE0ELj4294967295EEENS1_25partition_config_selectorILNS1_17partition_subalgoE3EjNS0_10empty_typeEbEEZZNS1_14partition_implILS8_3ELb0ES6_jNS0_17counting_iteratorIjlEEPS9_SE_NS0_5tupleIJPjSE_EEENSF_IJSE_SE_EEES9_SG_JZNS1_25segmented_radix_sort_implINS0_14default_configELb0EPKlPlSM_SN_N2at6native12_GLOBAL__N_18offset_tEEE10hipError_tPvRmT1_PNSt15iterator_traitsISV_E10value_typeET2_T3_PNSW_IS11_E10value_typeET4_jRbjT5_S17_jjP12ihipStream_tbEUljE_EEESS_ST_SU_S11_S15_S17_T6_T7_T9_mT8_S19_bDpT10_ENKUlT_T0_E_clISt17integral_constantIbLb1EES1L_IbLb0EEEEDaS1H_S1I_EUlS1H_E_NS1_11comp_targetILNS1_3genE3ELNS1_11target_archE908ELNS1_3gpuE7ELNS1_3repE0EEENS1_30default_config_static_selectorELNS0_4arch9wavefront6targetE0EEEvSV_
	.p2align	8
	.type	_ZN7rocprim17ROCPRIM_400000_NS6detail17trampoline_kernelINS0_13select_configILj256ELj13ELNS0_17block_load_methodE3ELS4_3ELS4_3ELNS0_20block_scan_algorithmE0ELj4294967295EEENS1_25partition_config_selectorILNS1_17partition_subalgoE3EjNS0_10empty_typeEbEEZZNS1_14partition_implILS8_3ELb0ES6_jNS0_17counting_iteratorIjlEEPS9_SE_NS0_5tupleIJPjSE_EEENSF_IJSE_SE_EEES9_SG_JZNS1_25segmented_radix_sort_implINS0_14default_configELb0EPKlPlSM_SN_N2at6native12_GLOBAL__N_18offset_tEEE10hipError_tPvRmT1_PNSt15iterator_traitsISV_E10value_typeET2_T3_PNSW_IS11_E10value_typeET4_jRbjT5_S17_jjP12ihipStream_tbEUljE_EEESS_ST_SU_S11_S15_S17_T6_T7_T9_mT8_S19_bDpT10_ENKUlT_T0_E_clISt17integral_constantIbLb1EES1L_IbLb0EEEEDaS1H_S1I_EUlS1H_E_NS1_11comp_targetILNS1_3genE3ELNS1_11target_archE908ELNS1_3gpuE7ELNS1_3repE0EEENS1_30default_config_static_selectorELNS0_4arch9wavefront6targetE0EEEvSV_,@function
_ZN7rocprim17ROCPRIM_400000_NS6detail17trampoline_kernelINS0_13select_configILj256ELj13ELNS0_17block_load_methodE3ELS4_3ELS4_3ELNS0_20block_scan_algorithmE0ELj4294967295EEENS1_25partition_config_selectorILNS1_17partition_subalgoE3EjNS0_10empty_typeEbEEZZNS1_14partition_implILS8_3ELb0ES6_jNS0_17counting_iteratorIjlEEPS9_SE_NS0_5tupleIJPjSE_EEENSF_IJSE_SE_EEES9_SG_JZNS1_25segmented_radix_sort_implINS0_14default_configELb0EPKlPlSM_SN_N2at6native12_GLOBAL__N_18offset_tEEE10hipError_tPvRmT1_PNSt15iterator_traitsISV_E10value_typeET2_T3_PNSW_IS11_E10value_typeET4_jRbjT5_S17_jjP12ihipStream_tbEUljE_EEESS_ST_SU_S11_S15_S17_T6_T7_T9_mT8_S19_bDpT10_ENKUlT_T0_E_clISt17integral_constantIbLb1EES1L_IbLb0EEEEDaS1H_S1I_EUlS1H_E_NS1_11comp_targetILNS1_3genE3ELNS1_11target_archE908ELNS1_3gpuE7ELNS1_3repE0EEENS1_30default_config_static_selectorELNS0_4arch9wavefront6targetE0EEEvSV_: ; @_ZN7rocprim17ROCPRIM_400000_NS6detail17trampoline_kernelINS0_13select_configILj256ELj13ELNS0_17block_load_methodE3ELS4_3ELS4_3ELNS0_20block_scan_algorithmE0ELj4294967295EEENS1_25partition_config_selectorILNS1_17partition_subalgoE3EjNS0_10empty_typeEbEEZZNS1_14partition_implILS8_3ELb0ES6_jNS0_17counting_iteratorIjlEEPS9_SE_NS0_5tupleIJPjSE_EEENSF_IJSE_SE_EEES9_SG_JZNS1_25segmented_radix_sort_implINS0_14default_configELb0EPKlPlSM_SN_N2at6native12_GLOBAL__N_18offset_tEEE10hipError_tPvRmT1_PNSt15iterator_traitsISV_E10value_typeET2_T3_PNSW_IS11_E10value_typeET4_jRbjT5_S17_jjP12ihipStream_tbEUljE_EEESS_ST_SU_S11_S15_S17_T6_T7_T9_mT8_S19_bDpT10_ENKUlT_T0_E_clISt17integral_constantIbLb1EES1L_IbLb0EEEEDaS1H_S1I_EUlS1H_E_NS1_11comp_targetILNS1_3genE3ELNS1_11target_archE908ELNS1_3gpuE7ELNS1_3repE0EEENS1_30default_config_static_selectorELNS0_4arch9wavefront6targetE0EEEvSV_
; %bb.0:
	.section	.rodata,"a",@progbits
	.p2align	6, 0x0
	.amdhsa_kernel _ZN7rocprim17ROCPRIM_400000_NS6detail17trampoline_kernelINS0_13select_configILj256ELj13ELNS0_17block_load_methodE3ELS4_3ELS4_3ELNS0_20block_scan_algorithmE0ELj4294967295EEENS1_25partition_config_selectorILNS1_17partition_subalgoE3EjNS0_10empty_typeEbEEZZNS1_14partition_implILS8_3ELb0ES6_jNS0_17counting_iteratorIjlEEPS9_SE_NS0_5tupleIJPjSE_EEENSF_IJSE_SE_EEES9_SG_JZNS1_25segmented_radix_sort_implINS0_14default_configELb0EPKlPlSM_SN_N2at6native12_GLOBAL__N_18offset_tEEE10hipError_tPvRmT1_PNSt15iterator_traitsISV_E10value_typeET2_T3_PNSW_IS11_E10value_typeET4_jRbjT5_S17_jjP12ihipStream_tbEUljE_EEESS_ST_SU_S11_S15_S17_T6_T7_T9_mT8_S19_bDpT10_ENKUlT_T0_E_clISt17integral_constantIbLb1EES1L_IbLb0EEEEDaS1H_S1I_EUlS1H_E_NS1_11comp_targetILNS1_3genE3ELNS1_11target_archE908ELNS1_3gpuE7ELNS1_3repE0EEENS1_30default_config_static_selectorELNS0_4arch9wavefront6targetE0EEEvSV_
		.amdhsa_group_segment_fixed_size 0
		.amdhsa_private_segment_fixed_size 0
		.amdhsa_kernarg_size 144
		.amdhsa_user_sgpr_count 6
		.amdhsa_user_sgpr_private_segment_buffer 1
		.amdhsa_user_sgpr_dispatch_ptr 0
		.amdhsa_user_sgpr_queue_ptr 0
		.amdhsa_user_sgpr_kernarg_segment_ptr 1
		.amdhsa_user_sgpr_dispatch_id 0
		.amdhsa_user_sgpr_flat_scratch_init 0
		.amdhsa_user_sgpr_private_segment_size 0
		.amdhsa_wavefront_size32 1
		.amdhsa_uses_dynamic_stack 0
		.amdhsa_system_sgpr_private_segment_wavefront_offset 0
		.amdhsa_system_sgpr_workgroup_id_x 1
		.amdhsa_system_sgpr_workgroup_id_y 0
		.amdhsa_system_sgpr_workgroup_id_z 0
		.amdhsa_system_sgpr_workgroup_info 0
		.amdhsa_system_vgpr_workitem_id 0
		.amdhsa_next_free_vgpr 1
		.amdhsa_next_free_sgpr 1
		.amdhsa_reserve_vcc 0
		.amdhsa_reserve_flat_scratch 0
		.amdhsa_float_round_mode_32 0
		.amdhsa_float_round_mode_16_64 0
		.amdhsa_float_denorm_mode_32 3
		.amdhsa_float_denorm_mode_16_64 3
		.amdhsa_dx10_clamp 1
		.amdhsa_ieee_mode 1
		.amdhsa_fp16_overflow 0
		.amdhsa_workgroup_processor_mode 1
		.amdhsa_memory_ordered 1
		.amdhsa_forward_progress 1
		.amdhsa_shared_vgpr_count 0
		.amdhsa_exception_fp_ieee_invalid_op 0
		.amdhsa_exception_fp_denorm_src 0
		.amdhsa_exception_fp_ieee_div_zero 0
		.amdhsa_exception_fp_ieee_overflow 0
		.amdhsa_exception_fp_ieee_underflow 0
		.amdhsa_exception_fp_ieee_inexact 0
		.amdhsa_exception_int_div_zero 0
	.end_amdhsa_kernel
	.section	.text._ZN7rocprim17ROCPRIM_400000_NS6detail17trampoline_kernelINS0_13select_configILj256ELj13ELNS0_17block_load_methodE3ELS4_3ELS4_3ELNS0_20block_scan_algorithmE0ELj4294967295EEENS1_25partition_config_selectorILNS1_17partition_subalgoE3EjNS0_10empty_typeEbEEZZNS1_14partition_implILS8_3ELb0ES6_jNS0_17counting_iteratorIjlEEPS9_SE_NS0_5tupleIJPjSE_EEENSF_IJSE_SE_EEES9_SG_JZNS1_25segmented_radix_sort_implINS0_14default_configELb0EPKlPlSM_SN_N2at6native12_GLOBAL__N_18offset_tEEE10hipError_tPvRmT1_PNSt15iterator_traitsISV_E10value_typeET2_T3_PNSW_IS11_E10value_typeET4_jRbjT5_S17_jjP12ihipStream_tbEUljE_EEESS_ST_SU_S11_S15_S17_T6_T7_T9_mT8_S19_bDpT10_ENKUlT_T0_E_clISt17integral_constantIbLb1EES1L_IbLb0EEEEDaS1H_S1I_EUlS1H_E_NS1_11comp_targetILNS1_3genE3ELNS1_11target_archE908ELNS1_3gpuE7ELNS1_3repE0EEENS1_30default_config_static_selectorELNS0_4arch9wavefront6targetE0EEEvSV_,"axG",@progbits,_ZN7rocprim17ROCPRIM_400000_NS6detail17trampoline_kernelINS0_13select_configILj256ELj13ELNS0_17block_load_methodE3ELS4_3ELS4_3ELNS0_20block_scan_algorithmE0ELj4294967295EEENS1_25partition_config_selectorILNS1_17partition_subalgoE3EjNS0_10empty_typeEbEEZZNS1_14partition_implILS8_3ELb0ES6_jNS0_17counting_iteratorIjlEEPS9_SE_NS0_5tupleIJPjSE_EEENSF_IJSE_SE_EEES9_SG_JZNS1_25segmented_radix_sort_implINS0_14default_configELb0EPKlPlSM_SN_N2at6native12_GLOBAL__N_18offset_tEEE10hipError_tPvRmT1_PNSt15iterator_traitsISV_E10value_typeET2_T3_PNSW_IS11_E10value_typeET4_jRbjT5_S17_jjP12ihipStream_tbEUljE_EEESS_ST_SU_S11_S15_S17_T6_T7_T9_mT8_S19_bDpT10_ENKUlT_T0_E_clISt17integral_constantIbLb1EES1L_IbLb0EEEEDaS1H_S1I_EUlS1H_E_NS1_11comp_targetILNS1_3genE3ELNS1_11target_archE908ELNS1_3gpuE7ELNS1_3repE0EEENS1_30default_config_static_selectorELNS0_4arch9wavefront6targetE0EEEvSV_,comdat
.Lfunc_end788:
	.size	_ZN7rocprim17ROCPRIM_400000_NS6detail17trampoline_kernelINS0_13select_configILj256ELj13ELNS0_17block_load_methodE3ELS4_3ELS4_3ELNS0_20block_scan_algorithmE0ELj4294967295EEENS1_25partition_config_selectorILNS1_17partition_subalgoE3EjNS0_10empty_typeEbEEZZNS1_14partition_implILS8_3ELb0ES6_jNS0_17counting_iteratorIjlEEPS9_SE_NS0_5tupleIJPjSE_EEENSF_IJSE_SE_EEES9_SG_JZNS1_25segmented_radix_sort_implINS0_14default_configELb0EPKlPlSM_SN_N2at6native12_GLOBAL__N_18offset_tEEE10hipError_tPvRmT1_PNSt15iterator_traitsISV_E10value_typeET2_T3_PNSW_IS11_E10value_typeET4_jRbjT5_S17_jjP12ihipStream_tbEUljE_EEESS_ST_SU_S11_S15_S17_T6_T7_T9_mT8_S19_bDpT10_ENKUlT_T0_E_clISt17integral_constantIbLb1EES1L_IbLb0EEEEDaS1H_S1I_EUlS1H_E_NS1_11comp_targetILNS1_3genE3ELNS1_11target_archE908ELNS1_3gpuE7ELNS1_3repE0EEENS1_30default_config_static_selectorELNS0_4arch9wavefront6targetE0EEEvSV_, .Lfunc_end788-_ZN7rocprim17ROCPRIM_400000_NS6detail17trampoline_kernelINS0_13select_configILj256ELj13ELNS0_17block_load_methodE3ELS4_3ELS4_3ELNS0_20block_scan_algorithmE0ELj4294967295EEENS1_25partition_config_selectorILNS1_17partition_subalgoE3EjNS0_10empty_typeEbEEZZNS1_14partition_implILS8_3ELb0ES6_jNS0_17counting_iteratorIjlEEPS9_SE_NS0_5tupleIJPjSE_EEENSF_IJSE_SE_EEES9_SG_JZNS1_25segmented_radix_sort_implINS0_14default_configELb0EPKlPlSM_SN_N2at6native12_GLOBAL__N_18offset_tEEE10hipError_tPvRmT1_PNSt15iterator_traitsISV_E10value_typeET2_T3_PNSW_IS11_E10value_typeET4_jRbjT5_S17_jjP12ihipStream_tbEUljE_EEESS_ST_SU_S11_S15_S17_T6_T7_T9_mT8_S19_bDpT10_ENKUlT_T0_E_clISt17integral_constantIbLb1EES1L_IbLb0EEEEDaS1H_S1I_EUlS1H_E_NS1_11comp_targetILNS1_3genE3ELNS1_11target_archE908ELNS1_3gpuE7ELNS1_3repE0EEENS1_30default_config_static_selectorELNS0_4arch9wavefront6targetE0EEEvSV_
                                        ; -- End function
	.set _ZN7rocprim17ROCPRIM_400000_NS6detail17trampoline_kernelINS0_13select_configILj256ELj13ELNS0_17block_load_methodE3ELS4_3ELS4_3ELNS0_20block_scan_algorithmE0ELj4294967295EEENS1_25partition_config_selectorILNS1_17partition_subalgoE3EjNS0_10empty_typeEbEEZZNS1_14partition_implILS8_3ELb0ES6_jNS0_17counting_iteratorIjlEEPS9_SE_NS0_5tupleIJPjSE_EEENSF_IJSE_SE_EEES9_SG_JZNS1_25segmented_radix_sort_implINS0_14default_configELb0EPKlPlSM_SN_N2at6native12_GLOBAL__N_18offset_tEEE10hipError_tPvRmT1_PNSt15iterator_traitsISV_E10value_typeET2_T3_PNSW_IS11_E10value_typeET4_jRbjT5_S17_jjP12ihipStream_tbEUljE_EEESS_ST_SU_S11_S15_S17_T6_T7_T9_mT8_S19_bDpT10_ENKUlT_T0_E_clISt17integral_constantIbLb1EES1L_IbLb0EEEEDaS1H_S1I_EUlS1H_E_NS1_11comp_targetILNS1_3genE3ELNS1_11target_archE908ELNS1_3gpuE7ELNS1_3repE0EEENS1_30default_config_static_selectorELNS0_4arch9wavefront6targetE0EEEvSV_.num_vgpr, 0
	.set _ZN7rocprim17ROCPRIM_400000_NS6detail17trampoline_kernelINS0_13select_configILj256ELj13ELNS0_17block_load_methodE3ELS4_3ELS4_3ELNS0_20block_scan_algorithmE0ELj4294967295EEENS1_25partition_config_selectorILNS1_17partition_subalgoE3EjNS0_10empty_typeEbEEZZNS1_14partition_implILS8_3ELb0ES6_jNS0_17counting_iteratorIjlEEPS9_SE_NS0_5tupleIJPjSE_EEENSF_IJSE_SE_EEES9_SG_JZNS1_25segmented_radix_sort_implINS0_14default_configELb0EPKlPlSM_SN_N2at6native12_GLOBAL__N_18offset_tEEE10hipError_tPvRmT1_PNSt15iterator_traitsISV_E10value_typeET2_T3_PNSW_IS11_E10value_typeET4_jRbjT5_S17_jjP12ihipStream_tbEUljE_EEESS_ST_SU_S11_S15_S17_T6_T7_T9_mT8_S19_bDpT10_ENKUlT_T0_E_clISt17integral_constantIbLb1EES1L_IbLb0EEEEDaS1H_S1I_EUlS1H_E_NS1_11comp_targetILNS1_3genE3ELNS1_11target_archE908ELNS1_3gpuE7ELNS1_3repE0EEENS1_30default_config_static_selectorELNS0_4arch9wavefront6targetE0EEEvSV_.num_agpr, 0
	.set _ZN7rocprim17ROCPRIM_400000_NS6detail17trampoline_kernelINS0_13select_configILj256ELj13ELNS0_17block_load_methodE3ELS4_3ELS4_3ELNS0_20block_scan_algorithmE0ELj4294967295EEENS1_25partition_config_selectorILNS1_17partition_subalgoE3EjNS0_10empty_typeEbEEZZNS1_14partition_implILS8_3ELb0ES6_jNS0_17counting_iteratorIjlEEPS9_SE_NS0_5tupleIJPjSE_EEENSF_IJSE_SE_EEES9_SG_JZNS1_25segmented_radix_sort_implINS0_14default_configELb0EPKlPlSM_SN_N2at6native12_GLOBAL__N_18offset_tEEE10hipError_tPvRmT1_PNSt15iterator_traitsISV_E10value_typeET2_T3_PNSW_IS11_E10value_typeET4_jRbjT5_S17_jjP12ihipStream_tbEUljE_EEESS_ST_SU_S11_S15_S17_T6_T7_T9_mT8_S19_bDpT10_ENKUlT_T0_E_clISt17integral_constantIbLb1EES1L_IbLb0EEEEDaS1H_S1I_EUlS1H_E_NS1_11comp_targetILNS1_3genE3ELNS1_11target_archE908ELNS1_3gpuE7ELNS1_3repE0EEENS1_30default_config_static_selectorELNS0_4arch9wavefront6targetE0EEEvSV_.numbered_sgpr, 0
	.set _ZN7rocprim17ROCPRIM_400000_NS6detail17trampoline_kernelINS0_13select_configILj256ELj13ELNS0_17block_load_methodE3ELS4_3ELS4_3ELNS0_20block_scan_algorithmE0ELj4294967295EEENS1_25partition_config_selectorILNS1_17partition_subalgoE3EjNS0_10empty_typeEbEEZZNS1_14partition_implILS8_3ELb0ES6_jNS0_17counting_iteratorIjlEEPS9_SE_NS0_5tupleIJPjSE_EEENSF_IJSE_SE_EEES9_SG_JZNS1_25segmented_radix_sort_implINS0_14default_configELb0EPKlPlSM_SN_N2at6native12_GLOBAL__N_18offset_tEEE10hipError_tPvRmT1_PNSt15iterator_traitsISV_E10value_typeET2_T3_PNSW_IS11_E10value_typeET4_jRbjT5_S17_jjP12ihipStream_tbEUljE_EEESS_ST_SU_S11_S15_S17_T6_T7_T9_mT8_S19_bDpT10_ENKUlT_T0_E_clISt17integral_constantIbLb1EES1L_IbLb0EEEEDaS1H_S1I_EUlS1H_E_NS1_11comp_targetILNS1_3genE3ELNS1_11target_archE908ELNS1_3gpuE7ELNS1_3repE0EEENS1_30default_config_static_selectorELNS0_4arch9wavefront6targetE0EEEvSV_.num_named_barrier, 0
	.set _ZN7rocprim17ROCPRIM_400000_NS6detail17trampoline_kernelINS0_13select_configILj256ELj13ELNS0_17block_load_methodE3ELS4_3ELS4_3ELNS0_20block_scan_algorithmE0ELj4294967295EEENS1_25partition_config_selectorILNS1_17partition_subalgoE3EjNS0_10empty_typeEbEEZZNS1_14partition_implILS8_3ELb0ES6_jNS0_17counting_iteratorIjlEEPS9_SE_NS0_5tupleIJPjSE_EEENSF_IJSE_SE_EEES9_SG_JZNS1_25segmented_radix_sort_implINS0_14default_configELb0EPKlPlSM_SN_N2at6native12_GLOBAL__N_18offset_tEEE10hipError_tPvRmT1_PNSt15iterator_traitsISV_E10value_typeET2_T3_PNSW_IS11_E10value_typeET4_jRbjT5_S17_jjP12ihipStream_tbEUljE_EEESS_ST_SU_S11_S15_S17_T6_T7_T9_mT8_S19_bDpT10_ENKUlT_T0_E_clISt17integral_constantIbLb1EES1L_IbLb0EEEEDaS1H_S1I_EUlS1H_E_NS1_11comp_targetILNS1_3genE3ELNS1_11target_archE908ELNS1_3gpuE7ELNS1_3repE0EEENS1_30default_config_static_selectorELNS0_4arch9wavefront6targetE0EEEvSV_.private_seg_size, 0
	.set _ZN7rocprim17ROCPRIM_400000_NS6detail17trampoline_kernelINS0_13select_configILj256ELj13ELNS0_17block_load_methodE3ELS4_3ELS4_3ELNS0_20block_scan_algorithmE0ELj4294967295EEENS1_25partition_config_selectorILNS1_17partition_subalgoE3EjNS0_10empty_typeEbEEZZNS1_14partition_implILS8_3ELb0ES6_jNS0_17counting_iteratorIjlEEPS9_SE_NS0_5tupleIJPjSE_EEENSF_IJSE_SE_EEES9_SG_JZNS1_25segmented_radix_sort_implINS0_14default_configELb0EPKlPlSM_SN_N2at6native12_GLOBAL__N_18offset_tEEE10hipError_tPvRmT1_PNSt15iterator_traitsISV_E10value_typeET2_T3_PNSW_IS11_E10value_typeET4_jRbjT5_S17_jjP12ihipStream_tbEUljE_EEESS_ST_SU_S11_S15_S17_T6_T7_T9_mT8_S19_bDpT10_ENKUlT_T0_E_clISt17integral_constantIbLb1EES1L_IbLb0EEEEDaS1H_S1I_EUlS1H_E_NS1_11comp_targetILNS1_3genE3ELNS1_11target_archE908ELNS1_3gpuE7ELNS1_3repE0EEENS1_30default_config_static_selectorELNS0_4arch9wavefront6targetE0EEEvSV_.uses_vcc, 0
	.set _ZN7rocprim17ROCPRIM_400000_NS6detail17trampoline_kernelINS0_13select_configILj256ELj13ELNS0_17block_load_methodE3ELS4_3ELS4_3ELNS0_20block_scan_algorithmE0ELj4294967295EEENS1_25partition_config_selectorILNS1_17partition_subalgoE3EjNS0_10empty_typeEbEEZZNS1_14partition_implILS8_3ELb0ES6_jNS0_17counting_iteratorIjlEEPS9_SE_NS0_5tupleIJPjSE_EEENSF_IJSE_SE_EEES9_SG_JZNS1_25segmented_radix_sort_implINS0_14default_configELb0EPKlPlSM_SN_N2at6native12_GLOBAL__N_18offset_tEEE10hipError_tPvRmT1_PNSt15iterator_traitsISV_E10value_typeET2_T3_PNSW_IS11_E10value_typeET4_jRbjT5_S17_jjP12ihipStream_tbEUljE_EEESS_ST_SU_S11_S15_S17_T6_T7_T9_mT8_S19_bDpT10_ENKUlT_T0_E_clISt17integral_constantIbLb1EES1L_IbLb0EEEEDaS1H_S1I_EUlS1H_E_NS1_11comp_targetILNS1_3genE3ELNS1_11target_archE908ELNS1_3gpuE7ELNS1_3repE0EEENS1_30default_config_static_selectorELNS0_4arch9wavefront6targetE0EEEvSV_.uses_flat_scratch, 0
	.set _ZN7rocprim17ROCPRIM_400000_NS6detail17trampoline_kernelINS0_13select_configILj256ELj13ELNS0_17block_load_methodE3ELS4_3ELS4_3ELNS0_20block_scan_algorithmE0ELj4294967295EEENS1_25partition_config_selectorILNS1_17partition_subalgoE3EjNS0_10empty_typeEbEEZZNS1_14partition_implILS8_3ELb0ES6_jNS0_17counting_iteratorIjlEEPS9_SE_NS0_5tupleIJPjSE_EEENSF_IJSE_SE_EEES9_SG_JZNS1_25segmented_radix_sort_implINS0_14default_configELb0EPKlPlSM_SN_N2at6native12_GLOBAL__N_18offset_tEEE10hipError_tPvRmT1_PNSt15iterator_traitsISV_E10value_typeET2_T3_PNSW_IS11_E10value_typeET4_jRbjT5_S17_jjP12ihipStream_tbEUljE_EEESS_ST_SU_S11_S15_S17_T6_T7_T9_mT8_S19_bDpT10_ENKUlT_T0_E_clISt17integral_constantIbLb1EES1L_IbLb0EEEEDaS1H_S1I_EUlS1H_E_NS1_11comp_targetILNS1_3genE3ELNS1_11target_archE908ELNS1_3gpuE7ELNS1_3repE0EEENS1_30default_config_static_selectorELNS0_4arch9wavefront6targetE0EEEvSV_.has_dyn_sized_stack, 0
	.set _ZN7rocprim17ROCPRIM_400000_NS6detail17trampoline_kernelINS0_13select_configILj256ELj13ELNS0_17block_load_methodE3ELS4_3ELS4_3ELNS0_20block_scan_algorithmE0ELj4294967295EEENS1_25partition_config_selectorILNS1_17partition_subalgoE3EjNS0_10empty_typeEbEEZZNS1_14partition_implILS8_3ELb0ES6_jNS0_17counting_iteratorIjlEEPS9_SE_NS0_5tupleIJPjSE_EEENSF_IJSE_SE_EEES9_SG_JZNS1_25segmented_radix_sort_implINS0_14default_configELb0EPKlPlSM_SN_N2at6native12_GLOBAL__N_18offset_tEEE10hipError_tPvRmT1_PNSt15iterator_traitsISV_E10value_typeET2_T3_PNSW_IS11_E10value_typeET4_jRbjT5_S17_jjP12ihipStream_tbEUljE_EEESS_ST_SU_S11_S15_S17_T6_T7_T9_mT8_S19_bDpT10_ENKUlT_T0_E_clISt17integral_constantIbLb1EES1L_IbLb0EEEEDaS1H_S1I_EUlS1H_E_NS1_11comp_targetILNS1_3genE3ELNS1_11target_archE908ELNS1_3gpuE7ELNS1_3repE0EEENS1_30default_config_static_selectorELNS0_4arch9wavefront6targetE0EEEvSV_.has_recursion, 0
	.set _ZN7rocprim17ROCPRIM_400000_NS6detail17trampoline_kernelINS0_13select_configILj256ELj13ELNS0_17block_load_methodE3ELS4_3ELS4_3ELNS0_20block_scan_algorithmE0ELj4294967295EEENS1_25partition_config_selectorILNS1_17partition_subalgoE3EjNS0_10empty_typeEbEEZZNS1_14partition_implILS8_3ELb0ES6_jNS0_17counting_iteratorIjlEEPS9_SE_NS0_5tupleIJPjSE_EEENSF_IJSE_SE_EEES9_SG_JZNS1_25segmented_radix_sort_implINS0_14default_configELb0EPKlPlSM_SN_N2at6native12_GLOBAL__N_18offset_tEEE10hipError_tPvRmT1_PNSt15iterator_traitsISV_E10value_typeET2_T3_PNSW_IS11_E10value_typeET4_jRbjT5_S17_jjP12ihipStream_tbEUljE_EEESS_ST_SU_S11_S15_S17_T6_T7_T9_mT8_S19_bDpT10_ENKUlT_T0_E_clISt17integral_constantIbLb1EES1L_IbLb0EEEEDaS1H_S1I_EUlS1H_E_NS1_11comp_targetILNS1_3genE3ELNS1_11target_archE908ELNS1_3gpuE7ELNS1_3repE0EEENS1_30default_config_static_selectorELNS0_4arch9wavefront6targetE0EEEvSV_.has_indirect_call, 0
	.section	.AMDGPU.csdata,"",@progbits
; Kernel info:
; codeLenInByte = 0
; TotalNumSgprs: 0
; NumVgprs: 0
; ScratchSize: 0
; MemoryBound: 0
; FloatMode: 240
; IeeeMode: 1
; LDSByteSize: 0 bytes/workgroup (compile time only)
; SGPRBlocks: 0
; VGPRBlocks: 0
; NumSGPRsForWavesPerEU: 1
; NumVGPRsForWavesPerEU: 1
; Occupancy: 16
; WaveLimiterHint : 0
; COMPUTE_PGM_RSRC2:SCRATCH_EN: 0
; COMPUTE_PGM_RSRC2:USER_SGPR: 6
; COMPUTE_PGM_RSRC2:TRAP_HANDLER: 0
; COMPUTE_PGM_RSRC2:TGID_X_EN: 1
; COMPUTE_PGM_RSRC2:TGID_Y_EN: 0
; COMPUTE_PGM_RSRC2:TGID_Z_EN: 0
; COMPUTE_PGM_RSRC2:TIDIG_COMP_CNT: 0
	.section	.text._ZN7rocprim17ROCPRIM_400000_NS6detail17trampoline_kernelINS0_13select_configILj256ELj13ELNS0_17block_load_methodE3ELS4_3ELS4_3ELNS0_20block_scan_algorithmE0ELj4294967295EEENS1_25partition_config_selectorILNS1_17partition_subalgoE3EjNS0_10empty_typeEbEEZZNS1_14partition_implILS8_3ELb0ES6_jNS0_17counting_iteratorIjlEEPS9_SE_NS0_5tupleIJPjSE_EEENSF_IJSE_SE_EEES9_SG_JZNS1_25segmented_radix_sort_implINS0_14default_configELb0EPKlPlSM_SN_N2at6native12_GLOBAL__N_18offset_tEEE10hipError_tPvRmT1_PNSt15iterator_traitsISV_E10value_typeET2_T3_PNSW_IS11_E10value_typeET4_jRbjT5_S17_jjP12ihipStream_tbEUljE_EEESS_ST_SU_S11_S15_S17_T6_T7_T9_mT8_S19_bDpT10_ENKUlT_T0_E_clISt17integral_constantIbLb1EES1L_IbLb0EEEEDaS1H_S1I_EUlS1H_E_NS1_11comp_targetILNS1_3genE2ELNS1_11target_archE906ELNS1_3gpuE6ELNS1_3repE0EEENS1_30default_config_static_selectorELNS0_4arch9wavefront6targetE0EEEvSV_,"axG",@progbits,_ZN7rocprim17ROCPRIM_400000_NS6detail17trampoline_kernelINS0_13select_configILj256ELj13ELNS0_17block_load_methodE3ELS4_3ELS4_3ELNS0_20block_scan_algorithmE0ELj4294967295EEENS1_25partition_config_selectorILNS1_17partition_subalgoE3EjNS0_10empty_typeEbEEZZNS1_14partition_implILS8_3ELb0ES6_jNS0_17counting_iteratorIjlEEPS9_SE_NS0_5tupleIJPjSE_EEENSF_IJSE_SE_EEES9_SG_JZNS1_25segmented_radix_sort_implINS0_14default_configELb0EPKlPlSM_SN_N2at6native12_GLOBAL__N_18offset_tEEE10hipError_tPvRmT1_PNSt15iterator_traitsISV_E10value_typeET2_T3_PNSW_IS11_E10value_typeET4_jRbjT5_S17_jjP12ihipStream_tbEUljE_EEESS_ST_SU_S11_S15_S17_T6_T7_T9_mT8_S19_bDpT10_ENKUlT_T0_E_clISt17integral_constantIbLb1EES1L_IbLb0EEEEDaS1H_S1I_EUlS1H_E_NS1_11comp_targetILNS1_3genE2ELNS1_11target_archE906ELNS1_3gpuE6ELNS1_3repE0EEENS1_30default_config_static_selectorELNS0_4arch9wavefront6targetE0EEEvSV_,comdat
	.globl	_ZN7rocprim17ROCPRIM_400000_NS6detail17trampoline_kernelINS0_13select_configILj256ELj13ELNS0_17block_load_methodE3ELS4_3ELS4_3ELNS0_20block_scan_algorithmE0ELj4294967295EEENS1_25partition_config_selectorILNS1_17partition_subalgoE3EjNS0_10empty_typeEbEEZZNS1_14partition_implILS8_3ELb0ES6_jNS0_17counting_iteratorIjlEEPS9_SE_NS0_5tupleIJPjSE_EEENSF_IJSE_SE_EEES9_SG_JZNS1_25segmented_radix_sort_implINS0_14default_configELb0EPKlPlSM_SN_N2at6native12_GLOBAL__N_18offset_tEEE10hipError_tPvRmT1_PNSt15iterator_traitsISV_E10value_typeET2_T3_PNSW_IS11_E10value_typeET4_jRbjT5_S17_jjP12ihipStream_tbEUljE_EEESS_ST_SU_S11_S15_S17_T6_T7_T9_mT8_S19_bDpT10_ENKUlT_T0_E_clISt17integral_constantIbLb1EES1L_IbLb0EEEEDaS1H_S1I_EUlS1H_E_NS1_11comp_targetILNS1_3genE2ELNS1_11target_archE906ELNS1_3gpuE6ELNS1_3repE0EEENS1_30default_config_static_selectorELNS0_4arch9wavefront6targetE0EEEvSV_ ; -- Begin function _ZN7rocprim17ROCPRIM_400000_NS6detail17trampoline_kernelINS0_13select_configILj256ELj13ELNS0_17block_load_methodE3ELS4_3ELS4_3ELNS0_20block_scan_algorithmE0ELj4294967295EEENS1_25partition_config_selectorILNS1_17partition_subalgoE3EjNS0_10empty_typeEbEEZZNS1_14partition_implILS8_3ELb0ES6_jNS0_17counting_iteratorIjlEEPS9_SE_NS0_5tupleIJPjSE_EEENSF_IJSE_SE_EEES9_SG_JZNS1_25segmented_radix_sort_implINS0_14default_configELb0EPKlPlSM_SN_N2at6native12_GLOBAL__N_18offset_tEEE10hipError_tPvRmT1_PNSt15iterator_traitsISV_E10value_typeET2_T3_PNSW_IS11_E10value_typeET4_jRbjT5_S17_jjP12ihipStream_tbEUljE_EEESS_ST_SU_S11_S15_S17_T6_T7_T9_mT8_S19_bDpT10_ENKUlT_T0_E_clISt17integral_constantIbLb1EES1L_IbLb0EEEEDaS1H_S1I_EUlS1H_E_NS1_11comp_targetILNS1_3genE2ELNS1_11target_archE906ELNS1_3gpuE6ELNS1_3repE0EEENS1_30default_config_static_selectorELNS0_4arch9wavefront6targetE0EEEvSV_
	.p2align	8
	.type	_ZN7rocprim17ROCPRIM_400000_NS6detail17trampoline_kernelINS0_13select_configILj256ELj13ELNS0_17block_load_methodE3ELS4_3ELS4_3ELNS0_20block_scan_algorithmE0ELj4294967295EEENS1_25partition_config_selectorILNS1_17partition_subalgoE3EjNS0_10empty_typeEbEEZZNS1_14partition_implILS8_3ELb0ES6_jNS0_17counting_iteratorIjlEEPS9_SE_NS0_5tupleIJPjSE_EEENSF_IJSE_SE_EEES9_SG_JZNS1_25segmented_radix_sort_implINS0_14default_configELb0EPKlPlSM_SN_N2at6native12_GLOBAL__N_18offset_tEEE10hipError_tPvRmT1_PNSt15iterator_traitsISV_E10value_typeET2_T3_PNSW_IS11_E10value_typeET4_jRbjT5_S17_jjP12ihipStream_tbEUljE_EEESS_ST_SU_S11_S15_S17_T6_T7_T9_mT8_S19_bDpT10_ENKUlT_T0_E_clISt17integral_constantIbLb1EES1L_IbLb0EEEEDaS1H_S1I_EUlS1H_E_NS1_11comp_targetILNS1_3genE2ELNS1_11target_archE906ELNS1_3gpuE6ELNS1_3repE0EEENS1_30default_config_static_selectorELNS0_4arch9wavefront6targetE0EEEvSV_,@function
_ZN7rocprim17ROCPRIM_400000_NS6detail17trampoline_kernelINS0_13select_configILj256ELj13ELNS0_17block_load_methodE3ELS4_3ELS4_3ELNS0_20block_scan_algorithmE0ELj4294967295EEENS1_25partition_config_selectorILNS1_17partition_subalgoE3EjNS0_10empty_typeEbEEZZNS1_14partition_implILS8_3ELb0ES6_jNS0_17counting_iteratorIjlEEPS9_SE_NS0_5tupleIJPjSE_EEENSF_IJSE_SE_EEES9_SG_JZNS1_25segmented_radix_sort_implINS0_14default_configELb0EPKlPlSM_SN_N2at6native12_GLOBAL__N_18offset_tEEE10hipError_tPvRmT1_PNSt15iterator_traitsISV_E10value_typeET2_T3_PNSW_IS11_E10value_typeET4_jRbjT5_S17_jjP12ihipStream_tbEUljE_EEESS_ST_SU_S11_S15_S17_T6_T7_T9_mT8_S19_bDpT10_ENKUlT_T0_E_clISt17integral_constantIbLb1EES1L_IbLb0EEEEDaS1H_S1I_EUlS1H_E_NS1_11comp_targetILNS1_3genE2ELNS1_11target_archE906ELNS1_3gpuE6ELNS1_3repE0EEENS1_30default_config_static_selectorELNS0_4arch9wavefront6targetE0EEEvSV_: ; @_ZN7rocprim17ROCPRIM_400000_NS6detail17trampoline_kernelINS0_13select_configILj256ELj13ELNS0_17block_load_methodE3ELS4_3ELS4_3ELNS0_20block_scan_algorithmE0ELj4294967295EEENS1_25partition_config_selectorILNS1_17partition_subalgoE3EjNS0_10empty_typeEbEEZZNS1_14partition_implILS8_3ELb0ES6_jNS0_17counting_iteratorIjlEEPS9_SE_NS0_5tupleIJPjSE_EEENSF_IJSE_SE_EEES9_SG_JZNS1_25segmented_radix_sort_implINS0_14default_configELb0EPKlPlSM_SN_N2at6native12_GLOBAL__N_18offset_tEEE10hipError_tPvRmT1_PNSt15iterator_traitsISV_E10value_typeET2_T3_PNSW_IS11_E10value_typeET4_jRbjT5_S17_jjP12ihipStream_tbEUljE_EEESS_ST_SU_S11_S15_S17_T6_T7_T9_mT8_S19_bDpT10_ENKUlT_T0_E_clISt17integral_constantIbLb1EES1L_IbLb0EEEEDaS1H_S1I_EUlS1H_E_NS1_11comp_targetILNS1_3genE2ELNS1_11target_archE906ELNS1_3gpuE6ELNS1_3repE0EEENS1_30default_config_static_selectorELNS0_4arch9wavefront6targetE0EEEvSV_
; %bb.0:
	.section	.rodata,"a",@progbits
	.p2align	6, 0x0
	.amdhsa_kernel _ZN7rocprim17ROCPRIM_400000_NS6detail17trampoline_kernelINS0_13select_configILj256ELj13ELNS0_17block_load_methodE3ELS4_3ELS4_3ELNS0_20block_scan_algorithmE0ELj4294967295EEENS1_25partition_config_selectorILNS1_17partition_subalgoE3EjNS0_10empty_typeEbEEZZNS1_14partition_implILS8_3ELb0ES6_jNS0_17counting_iteratorIjlEEPS9_SE_NS0_5tupleIJPjSE_EEENSF_IJSE_SE_EEES9_SG_JZNS1_25segmented_radix_sort_implINS0_14default_configELb0EPKlPlSM_SN_N2at6native12_GLOBAL__N_18offset_tEEE10hipError_tPvRmT1_PNSt15iterator_traitsISV_E10value_typeET2_T3_PNSW_IS11_E10value_typeET4_jRbjT5_S17_jjP12ihipStream_tbEUljE_EEESS_ST_SU_S11_S15_S17_T6_T7_T9_mT8_S19_bDpT10_ENKUlT_T0_E_clISt17integral_constantIbLb1EES1L_IbLb0EEEEDaS1H_S1I_EUlS1H_E_NS1_11comp_targetILNS1_3genE2ELNS1_11target_archE906ELNS1_3gpuE6ELNS1_3repE0EEENS1_30default_config_static_selectorELNS0_4arch9wavefront6targetE0EEEvSV_
		.amdhsa_group_segment_fixed_size 0
		.amdhsa_private_segment_fixed_size 0
		.amdhsa_kernarg_size 144
		.amdhsa_user_sgpr_count 6
		.amdhsa_user_sgpr_private_segment_buffer 1
		.amdhsa_user_sgpr_dispatch_ptr 0
		.amdhsa_user_sgpr_queue_ptr 0
		.amdhsa_user_sgpr_kernarg_segment_ptr 1
		.amdhsa_user_sgpr_dispatch_id 0
		.amdhsa_user_sgpr_flat_scratch_init 0
		.amdhsa_user_sgpr_private_segment_size 0
		.amdhsa_wavefront_size32 1
		.amdhsa_uses_dynamic_stack 0
		.amdhsa_system_sgpr_private_segment_wavefront_offset 0
		.amdhsa_system_sgpr_workgroup_id_x 1
		.amdhsa_system_sgpr_workgroup_id_y 0
		.amdhsa_system_sgpr_workgroup_id_z 0
		.amdhsa_system_sgpr_workgroup_info 0
		.amdhsa_system_vgpr_workitem_id 0
		.amdhsa_next_free_vgpr 1
		.amdhsa_next_free_sgpr 1
		.amdhsa_reserve_vcc 0
		.amdhsa_reserve_flat_scratch 0
		.amdhsa_float_round_mode_32 0
		.amdhsa_float_round_mode_16_64 0
		.amdhsa_float_denorm_mode_32 3
		.amdhsa_float_denorm_mode_16_64 3
		.amdhsa_dx10_clamp 1
		.amdhsa_ieee_mode 1
		.amdhsa_fp16_overflow 0
		.amdhsa_workgroup_processor_mode 1
		.amdhsa_memory_ordered 1
		.amdhsa_forward_progress 1
		.amdhsa_shared_vgpr_count 0
		.amdhsa_exception_fp_ieee_invalid_op 0
		.amdhsa_exception_fp_denorm_src 0
		.amdhsa_exception_fp_ieee_div_zero 0
		.amdhsa_exception_fp_ieee_overflow 0
		.amdhsa_exception_fp_ieee_underflow 0
		.amdhsa_exception_fp_ieee_inexact 0
		.amdhsa_exception_int_div_zero 0
	.end_amdhsa_kernel
	.section	.text._ZN7rocprim17ROCPRIM_400000_NS6detail17trampoline_kernelINS0_13select_configILj256ELj13ELNS0_17block_load_methodE3ELS4_3ELS4_3ELNS0_20block_scan_algorithmE0ELj4294967295EEENS1_25partition_config_selectorILNS1_17partition_subalgoE3EjNS0_10empty_typeEbEEZZNS1_14partition_implILS8_3ELb0ES6_jNS0_17counting_iteratorIjlEEPS9_SE_NS0_5tupleIJPjSE_EEENSF_IJSE_SE_EEES9_SG_JZNS1_25segmented_radix_sort_implINS0_14default_configELb0EPKlPlSM_SN_N2at6native12_GLOBAL__N_18offset_tEEE10hipError_tPvRmT1_PNSt15iterator_traitsISV_E10value_typeET2_T3_PNSW_IS11_E10value_typeET4_jRbjT5_S17_jjP12ihipStream_tbEUljE_EEESS_ST_SU_S11_S15_S17_T6_T7_T9_mT8_S19_bDpT10_ENKUlT_T0_E_clISt17integral_constantIbLb1EES1L_IbLb0EEEEDaS1H_S1I_EUlS1H_E_NS1_11comp_targetILNS1_3genE2ELNS1_11target_archE906ELNS1_3gpuE6ELNS1_3repE0EEENS1_30default_config_static_selectorELNS0_4arch9wavefront6targetE0EEEvSV_,"axG",@progbits,_ZN7rocprim17ROCPRIM_400000_NS6detail17trampoline_kernelINS0_13select_configILj256ELj13ELNS0_17block_load_methodE3ELS4_3ELS4_3ELNS0_20block_scan_algorithmE0ELj4294967295EEENS1_25partition_config_selectorILNS1_17partition_subalgoE3EjNS0_10empty_typeEbEEZZNS1_14partition_implILS8_3ELb0ES6_jNS0_17counting_iteratorIjlEEPS9_SE_NS0_5tupleIJPjSE_EEENSF_IJSE_SE_EEES9_SG_JZNS1_25segmented_radix_sort_implINS0_14default_configELb0EPKlPlSM_SN_N2at6native12_GLOBAL__N_18offset_tEEE10hipError_tPvRmT1_PNSt15iterator_traitsISV_E10value_typeET2_T3_PNSW_IS11_E10value_typeET4_jRbjT5_S17_jjP12ihipStream_tbEUljE_EEESS_ST_SU_S11_S15_S17_T6_T7_T9_mT8_S19_bDpT10_ENKUlT_T0_E_clISt17integral_constantIbLb1EES1L_IbLb0EEEEDaS1H_S1I_EUlS1H_E_NS1_11comp_targetILNS1_3genE2ELNS1_11target_archE906ELNS1_3gpuE6ELNS1_3repE0EEENS1_30default_config_static_selectorELNS0_4arch9wavefront6targetE0EEEvSV_,comdat
.Lfunc_end789:
	.size	_ZN7rocprim17ROCPRIM_400000_NS6detail17trampoline_kernelINS0_13select_configILj256ELj13ELNS0_17block_load_methodE3ELS4_3ELS4_3ELNS0_20block_scan_algorithmE0ELj4294967295EEENS1_25partition_config_selectorILNS1_17partition_subalgoE3EjNS0_10empty_typeEbEEZZNS1_14partition_implILS8_3ELb0ES6_jNS0_17counting_iteratorIjlEEPS9_SE_NS0_5tupleIJPjSE_EEENSF_IJSE_SE_EEES9_SG_JZNS1_25segmented_radix_sort_implINS0_14default_configELb0EPKlPlSM_SN_N2at6native12_GLOBAL__N_18offset_tEEE10hipError_tPvRmT1_PNSt15iterator_traitsISV_E10value_typeET2_T3_PNSW_IS11_E10value_typeET4_jRbjT5_S17_jjP12ihipStream_tbEUljE_EEESS_ST_SU_S11_S15_S17_T6_T7_T9_mT8_S19_bDpT10_ENKUlT_T0_E_clISt17integral_constantIbLb1EES1L_IbLb0EEEEDaS1H_S1I_EUlS1H_E_NS1_11comp_targetILNS1_3genE2ELNS1_11target_archE906ELNS1_3gpuE6ELNS1_3repE0EEENS1_30default_config_static_selectorELNS0_4arch9wavefront6targetE0EEEvSV_, .Lfunc_end789-_ZN7rocprim17ROCPRIM_400000_NS6detail17trampoline_kernelINS0_13select_configILj256ELj13ELNS0_17block_load_methodE3ELS4_3ELS4_3ELNS0_20block_scan_algorithmE0ELj4294967295EEENS1_25partition_config_selectorILNS1_17partition_subalgoE3EjNS0_10empty_typeEbEEZZNS1_14partition_implILS8_3ELb0ES6_jNS0_17counting_iteratorIjlEEPS9_SE_NS0_5tupleIJPjSE_EEENSF_IJSE_SE_EEES9_SG_JZNS1_25segmented_radix_sort_implINS0_14default_configELb0EPKlPlSM_SN_N2at6native12_GLOBAL__N_18offset_tEEE10hipError_tPvRmT1_PNSt15iterator_traitsISV_E10value_typeET2_T3_PNSW_IS11_E10value_typeET4_jRbjT5_S17_jjP12ihipStream_tbEUljE_EEESS_ST_SU_S11_S15_S17_T6_T7_T9_mT8_S19_bDpT10_ENKUlT_T0_E_clISt17integral_constantIbLb1EES1L_IbLb0EEEEDaS1H_S1I_EUlS1H_E_NS1_11comp_targetILNS1_3genE2ELNS1_11target_archE906ELNS1_3gpuE6ELNS1_3repE0EEENS1_30default_config_static_selectorELNS0_4arch9wavefront6targetE0EEEvSV_
                                        ; -- End function
	.set _ZN7rocprim17ROCPRIM_400000_NS6detail17trampoline_kernelINS0_13select_configILj256ELj13ELNS0_17block_load_methodE3ELS4_3ELS4_3ELNS0_20block_scan_algorithmE0ELj4294967295EEENS1_25partition_config_selectorILNS1_17partition_subalgoE3EjNS0_10empty_typeEbEEZZNS1_14partition_implILS8_3ELb0ES6_jNS0_17counting_iteratorIjlEEPS9_SE_NS0_5tupleIJPjSE_EEENSF_IJSE_SE_EEES9_SG_JZNS1_25segmented_radix_sort_implINS0_14default_configELb0EPKlPlSM_SN_N2at6native12_GLOBAL__N_18offset_tEEE10hipError_tPvRmT1_PNSt15iterator_traitsISV_E10value_typeET2_T3_PNSW_IS11_E10value_typeET4_jRbjT5_S17_jjP12ihipStream_tbEUljE_EEESS_ST_SU_S11_S15_S17_T6_T7_T9_mT8_S19_bDpT10_ENKUlT_T0_E_clISt17integral_constantIbLb1EES1L_IbLb0EEEEDaS1H_S1I_EUlS1H_E_NS1_11comp_targetILNS1_3genE2ELNS1_11target_archE906ELNS1_3gpuE6ELNS1_3repE0EEENS1_30default_config_static_selectorELNS0_4arch9wavefront6targetE0EEEvSV_.num_vgpr, 0
	.set _ZN7rocprim17ROCPRIM_400000_NS6detail17trampoline_kernelINS0_13select_configILj256ELj13ELNS0_17block_load_methodE3ELS4_3ELS4_3ELNS0_20block_scan_algorithmE0ELj4294967295EEENS1_25partition_config_selectorILNS1_17partition_subalgoE3EjNS0_10empty_typeEbEEZZNS1_14partition_implILS8_3ELb0ES6_jNS0_17counting_iteratorIjlEEPS9_SE_NS0_5tupleIJPjSE_EEENSF_IJSE_SE_EEES9_SG_JZNS1_25segmented_radix_sort_implINS0_14default_configELb0EPKlPlSM_SN_N2at6native12_GLOBAL__N_18offset_tEEE10hipError_tPvRmT1_PNSt15iterator_traitsISV_E10value_typeET2_T3_PNSW_IS11_E10value_typeET4_jRbjT5_S17_jjP12ihipStream_tbEUljE_EEESS_ST_SU_S11_S15_S17_T6_T7_T9_mT8_S19_bDpT10_ENKUlT_T0_E_clISt17integral_constantIbLb1EES1L_IbLb0EEEEDaS1H_S1I_EUlS1H_E_NS1_11comp_targetILNS1_3genE2ELNS1_11target_archE906ELNS1_3gpuE6ELNS1_3repE0EEENS1_30default_config_static_selectorELNS0_4arch9wavefront6targetE0EEEvSV_.num_agpr, 0
	.set _ZN7rocprim17ROCPRIM_400000_NS6detail17trampoline_kernelINS0_13select_configILj256ELj13ELNS0_17block_load_methodE3ELS4_3ELS4_3ELNS0_20block_scan_algorithmE0ELj4294967295EEENS1_25partition_config_selectorILNS1_17partition_subalgoE3EjNS0_10empty_typeEbEEZZNS1_14partition_implILS8_3ELb0ES6_jNS0_17counting_iteratorIjlEEPS9_SE_NS0_5tupleIJPjSE_EEENSF_IJSE_SE_EEES9_SG_JZNS1_25segmented_radix_sort_implINS0_14default_configELb0EPKlPlSM_SN_N2at6native12_GLOBAL__N_18offset_tEEE10hipError_tPvRmT1_PNSt15iterator_traitsISV_E10value_typeET2_T3_PNSW_IS11_E10value_typeET4_jRbjT5_S17_jjP12ihipStream_tbEUljE_EEESS_ST_SU_S11_S15_S17_T6_T7_T9_mT8_S19_bDpT10_ENKUlT_T0_E_clISt17integral_constantIbLb1EES1L_IbLb0EEEEDaS1H_S1I_EUlS1H_E_NS1_11comp_targetILNS1_3genE2ELNS1_11target_archE906ELNS1_3gpuE6ELNS1_3repE0EEENS1_30default_config_static_selectorELNS0_4arch9wavefront6targetE0EEEvSV_.numbered_sgpr, 0
	.set _ZN7rocprim17ROCPRIM_400000_NS6detail17trampoline_kernelINS0_13select_configILj256ELj13ELNS0_17block_load_methodE3ELS4_3ELS4_3ELNS0_20block_scan_algorithmE0ELj4294967295EEENS1_25partition_config_selectorILNS1_17partition_subalgoE3EjNS0_10empty_typeEbEEZZNS1_14partition_implILS8_3ELb0ES6_jNS0_17counting_iteratorIjlEEPS9_SE_NS0_5tupleIJPjSE_EEENSF_IJSE_SE_EEES9_SG_JZNS1_25segmented_radix_sort_implINS0_14default_configELb0EPKlPlSM_SN_N2at6native12_GLOBAL__N_18offset_tEEE10hipError_tPvRmT1_PNSt15iterator_traitsISV_E10value_typeET2_T3_PNSW_IS11_E10value_typeET4_jRbjT5_S17_jjP12ihipStream_tbEUljE_EEESS_ST_SU_S11_S15_S17_T6_T7_T9_mT8_S19_bDpT10_ENKUlT_T0_E_clISt17integral_constantIbLb1EES1L_IbLb0EEEEDaS1H_S1I_EUlS1H_E_NS1_11comp_targetILNS1_3genE2ELNS1_11target_archE906ELNS1_3gpuE6ELNS1_3repE0EEENS1_30default_config_static_selectorELNS0_4arch9wavefront6targetE0EEEvSV_.num_named_barrier, 0
	.set _ZN7rocprim17ROCPRIM_400000_NS6detail17trampoline_kernelINS0_13select_configILj256ELj13ELNS0_17block_load_methodE3ELS4_3ELS4_3ELNS0_20block_scan_algorithmE0ELj4294967295EEENS1_25partition_config_selectorILNS1_17partition_subalgoE3EjNS0_10empty_typeEbEEZZNS1_14partition_implILS8_3ELb0ES6_jNS0_17counting_iteratorIjlEEPS9_SE_NS0_5tupleIJPjSE_EEENSF_IJSE_SE_EEES9_SG_JZNS1_25segmented_radix_sort_implINS0_14default_configELb0EPKlPlSM_SN_N2at6native12_GLOBAL__N_18offset_tEEE10hipError_tPvRmT1_PNSt15iterator_traitsISV_E10value_typeET2_T3_PNSW_IS11_E10value_typeET4_jRbjT5_S17_jjP12ihipStream_tbEUljE_EEESS_ST_SU_S11_S15_S17_T6_T7_T9_mT8_S19_bDpT10_ENKUlT_T0_E_clISt17integral_constantIbLb1EES1L_IbLb0EEEEDaS1H_S1I_EUlS1H_E_NS1_11comp_targetILNS1_3genE2ELNS1_11target_archE906ELNS1_3gpuE6ELNS1_3repE0EEENS1_30default_config_static_selectorELNS0_4arch9wavefront6targetE0EEEvSV_.private_seg_size, 0
	.set _ZN7rocprim17ROCPRIM_400000_NS6detail17trampoline_kernelINS0_13select_configILj256ELj13ELNS0_17block_load_methodE3ELS4_3ELS4_3ELNS0_20block_scan_algorithmE0ELj4294967295EEENS1_25partition_config_selectorILNS1_17partition_subalgoE3EjNS0_10empty_typeEbEEZZNS1_14partition_implILS8_3ELb0ES6_jNS0_17counting_iteratorIjlEEPS9_SE_NS0_5tupleIJPjSE_EEENSF_IJSE_SE_EEES9_SG_JZNS1_25segmented_radix_sort_implINS0_14default_configELb0EPKlPlSM_SN_N2at6native12_GLOBAL__N_18offset_tEEE10hipError_tPvRmT1_PNSt15iterator_traitsISV_E10value_typeET2_T3_PNSW_IS11_E10value_typeET4_jRbjT5_S17_jjP12ihipStream_tbEUljE_EEESS_ST_SU_S11_S15_S17_T6_T7_T9_mT8_S19_bDpT10_ENKUlT_T0_E_clISt17integral_constantIbLb1EES1L_IbLb0EEEEDaS1H_S1I_EUlS1H_E_NS1_11comp_targetILNS1_3genE2ELNS1_11target_archE906ELNS1_3gpuE6ELNS1_3repE0EEENS1_30default_config_static_selectorELNS0_4arch9wavefront6targetE0EEEvSV_.uses_vcc, 0
	.set _ZN7rocprim17ROCPRIM_400000_NS6detail17trampoline_kernelINS0_13select_configILj256ELj13ELNS0_17block_load_methodE3ELS4_3ELS4_3ELNS0_20block_scan_algorithmE0ELj4294967295EEENS1_25partition_config_selectorILNS1_17partition_subalgoE3EjNS0_10empty_typeEbEEZZNS1_14partition_implILS8_3ELb0ES6_jNS0_17counting_iteratorIjlEEPS9_SE_NS0_5tupleIJPjSE_EEENSF_IJSE_SE_EEES9_SG_JZNS1_25segmented_radix_sort_implINS0_14default_configELb0EPKlPlSM_SN_N2at6native12_GLOBAL__N_18offset_tEEE10hipError_tPvRmT1_PNSt15iterator_traitsISV_E10value_typeET2_T3_PNSW_IS11_E10value_typeET4_jRbjT5_S17_jjP12ihipStream_tbEUljE_EEESS_ST_SU_S11_S15_S17_T6_T7_T9_mT8_S19_bDpT10_ENKUlT_T0_E_clISt17integral_constantIbLb1EES1L_IbLb0EEEEDaS1H_S1I_EUlS1H_E_NS1_11comp_targetILNS1_3genE2ELNS1_11target_archE906ELNS1_3gpuE6ELNS1_3repE0EEENS1_30default_config_static_selectorELNS0_4arch9wavefront6targetE0EEEvSV_.uses_flat_scratch, 0
	.set _ZN7rocprim17ROCPRIM_400000_NS6detail17trampoline_kernelINS0_13select_configILj256ELj13ELNS0_17block_load_methodE3ELS4_3ELS4_3ELNS0_20block_scan_algorithmE0ELj4294967295EEENS1_25partition_config_selectorILNS1_17partition_subalgoE3EjNS0_10empty_typeEbEEZZNS1_14partition_implILS8_3ELb0ES6_jNS0_17counting_iteratorIjlEEPS9_SE_NS0_5tupleIJPjSE_EEENSF_IJSE_SE_EEES9_SG_JZNS1_25segmented_radix_sort_implINS0_14default_configELb0EPKlPlSM_SN_N2at6native12_GLOBAL__N_18offset_tEEE10hipError_tPvRmT1_PNSt15iterator_traitsISV_E10value_typeET2_T3_PNSW_IS11_E10value_typeET4_jRbjT5_S17_jjP12ihipStream_tbEUljE_EEESS_ST_SU_S11_S15_S17_T6_T7_T9_mT8_S19_bDpT10_ENKUlT_T0_E_clISt17integral_constantIbLb1EES1L_IbLb0EEEEDaS1H_S1I_EUlS1H_E_NS1_11comp_targetILNS1_3genE2ELNS1_11target_archE906ELNS1_3gpuE6ELNS1_3repE0EEENS1_30default_config_static_selectorELNS0_4arch9wavefront6targetE0EEEvSV_.has_dyn_sized_stack, 0
	.set _ZN7rocprim17ROCPRIM_400000_NS6detail17trampoline_kernelINS0_13select_configILj256ELj13ELNS0_17block_load_methodE3ELS4_3ELS4_3ELNS0_20block_scan_algorithmE0ELj4294967295EEENS1_25partition_config_selectorILNS1_17partition_subalgoE3EjNS0_10empty_typeEbEEZZNS1_14partition_implILS8_3ELb0ES6_jNS0_17counting_iteratorIjlEEPS9_SE_NS0_5tupleIJPjSE_EEENSF_IJSE_SE_EEES9_SG_JZNS1_25segmented_radix_sort_implINS0_14default_configELb0EPKlPlSM_SN_N2at6native12_GLOBAL__N_18offset_tEEE10hipError_tPvRmT1_PNSt15iterator_traitsISV_E10value_typeET2_T3_PNSW_IS11_E10value_typeET4_jRbjT5_S17_jjP12ihipStream_tbEUljE_EEESS_ST_SU_S11_S15_S17_T6_T7_T9_mT8_S19_bDpT10_ENKUlT_T0_E_clISt17integral_constantIbLb1EES1L_IbLb0EEEEDaS1H_S1I_EUlS1H_E_NS1_11comp_targetILNS1_3genE2ELNS1_11target_archE906ELNS1_3gpuE6ELNS1_3repE0EEENS1_30default_config_static_selectorELNS0_4arch9wavefront6targetE0EEEvSV_.has_recursion, 0
	.set _ZN7rocprim17ROCPRIM_400000_NS6detail17trampoline_kernelINS0_13select_configILj256ELj13ELNS0_17block_load_methodE3ELS4_3ELS4_3ELNS0_20block_scan_algorithmE0ELj4294967295EEENS1_25partition_config_selectorILNS1_17partition_subalgoE3EjNS0_10empty_typeEbEEZZNS1_14partition_implILS8_3ELb0ES6_jNS0_17counting_iteratorIjlEEPS9_SE_NS0_5tupleIJPjSE_EEENSF_IJSE_SE_EEES9_SG_JZNS1_25segmented_radix_sort_implINS0_14default_configELb0EPKlPlSM_SN_N2at6native12_GLOBAL__N_18offset_tEEE10hipError_tPvRmT1_PNSt15iterator_traitsISV_E10value_typeET2_T3_PNSW_IS11_E10value_typeET4_jRbjT5_S17_jjP12ihipStream_tbEUljE_EEESS_ST_SU_S11_S15_S17_T6_T7_T9_mT8_S19_bDpT10_ENKUlT_T0_E_clISt17integral_constantIbLb1EES1L_IbLb0EEEEDaS1H_S1I_EUlS1H_E_NS1_11comp_targetILNS1_3genE2ELNS1_11target_archE906ELNS1_3gpuE6ELNS1_3repE0EEENS1_30default_config_static_selectorELNS0_4arch9wavefront6targetE0EEEvSV_.has_indirect_call, 0
	.section	.AMDGPU.csdata,"",@progbits
; Kernel info:
; codeLenInByte = 0
; TotalNumSgprs: 0
; NumVgprs: 0
; ScratchSize: 0
; MemoryBound: 0
; FloatMode: 240
; IeeeMode: 1
; LDSByteSize: 0 bytes/workgroup (compile time only)
; SGPRBlocks: 0
; VGPRBlocks: 0
; NumSGPRsForWavesPerEU: 1
; NumVGPRsForWavesPerEU: 1
; Occupancy: 16
; WaveLimiterHint : 0
; COMPUTE_PGM_RSRC2:SCRATCH_EN: 0
; COMPUTE_PGM_RSRC2:USER_SGPR: 6
; COMPUTE_PGM_RSRC2:TRAP_HANDLER: 0
; COMPUTE_PGM_RSRC2:TGID_X_EN: 1
; COMPUTE_PGM_RSRC2:TGID_Y_EN: 0
; COMPUTE_PGM_RSRC2:TGID_Z_EN: 0
; COMPUTE_PGM_RSRC2:TIDIG_COMP_CNT: 0
	.section	.text._ZN7rocprim17ROCPRIM_400000_NS6detail17trampoline_kernelINS0_13select_configILj256ELj13ELNS0_17block_load_methodE3ELS4_3ELS4_3ELNS0_20block_scan_algorithmE0ELj4294967295EEENS1_25partition_config_selectorILNS1_17partition_subalgoE3EjNS0_10empty_typeEbEEZZNS1_14partition_implILS8_3ELb0ES6_jNS0_17counting_iteratorIjlEEPS9_SE_NS0_5tupleIJPjSE_EEENSF_IJSE_SE_EEES9_SG_JZNS1_25segmented_radix_sort_implINS0_14default_configELb0EPKlPlSM_SN_N2at6native12_GLOBAL__N_18offset_tEEE10hipError_tPvRmT1_PNSt15iterator_traitsISV_E10value_typeET2_T3_PNSW_IS11_E10value_typeET4_jRbjT5_S17_jjP12ihipStream_tbEUljE_EEESS_ST_SU_S11_S15_S17_T6_T7_T9_mT8_S19_bDpT10_ENKUlT_T0_E_clISt17integral_constantIbLb1EES1L_IbLb0EEEEDaS1H_S1I_EUlS1H_E_NS1_11comp_targetILNS1_3genE10ELNS1_11target_archE1200ELNS1_3gpuE4ELNS1_3repE0EEENS1_30default_config_static_selectorELNS0_4arch9wavefront6targetE0EEEvSV_,"axG",@progbits,_ZN7rocprim17ROCPRIM_400000_NS6detail17trampoline_kernelINS0_13select_configILj256ELj13ELNS0_17block_load_methodE3ELS4_3ELS4_3ELNS0_20block_scan_algorithmE0ELj4294967295EEENS1_25partition_config_selectorILNS1_17partition_subalgoE3EjNS0_10empty_typeEbEEZZNS1_14partition_implILS8_3ELb0ES6_jNS0_17counting_iteratorIjlEEPS9_SE_NS0_5tupleIJPjSE_EEENSF_IJSE_SE_EEES9_SG_JZNS1_25segmented_radix_sort_implINS0_14default_configELb0EPKlPlSM_SN_N2at6native12_GLOBAL__N_18offset_tEEE10hipError_tPvRmT1_PNSt15iterator_traitsISV_E10value_typeET2_T3_PNSW_IS11_E10value_typeET4_jRbjT5_S17_jjP12ihipStream_tbEUljE_EEESS_ST_SU_S11_S15_S17_T6_T7_T9_mT8_S19_bDpT10_ENKUlT_T0_E_clISt17integral_constantIbLb1EES1L_IbLb0EEEEDaS1H_S1I_EUlS1H_E_NS1_11comp_targetILNS1_3genE10ELNS1_11target_archE1200ELNS1_3gpuE4ELNS1_3repE0EEENS1_30default_config_static_selectorELNS0_4arch9wavefront6targetE0EEEvSV_,comdat
	.globl	_ZN7rocprim17ROCPRIM_400000_NS6detail17trampoline_kernelINS0_13select_configILj256ELj13ELNS0_17block_load_methodE3ELS4_3ELS4_3ELNS0_20block_scan_algorithmE0ELj4294967295EEENS1_25partition_config_selectorILNS1_17partition_subalgoE3EjNS0_10empty_typeEbEEZZNS1_14partition_implILS8_3ELb0ES6_jNS0_17counting_iteratorIjlEEPS9_SE_NS0_5tupleIJPjSE_EEENSF_IJSE_SE_EEES9_SG_JZNS1_25segmented_radix_sort_implINS0_14default_configELb0EPKlPlSM_SN_N2at6native12_GLOBAL__N_18offset_tEEE10hipError_tPvRmT1_PNSt15iterator_traitsISV_E10value_typeET2_T3_PNSW_IS11_E10value_typeET4_jRbjT5_S17_jjP12ihipStream_tbEUljE_EEESS_ST_SU_S11_S15_S17_T6_T7_T9_mT8_S19_bDpT10_ENKUlT_T0_E_clISt17integral_constantIbLb1EES1L_IbLb0EEEEDaS1H_S1I_EUlS1H_E_NS1_11comp_targetILNS1_3genE10ELNS1_11target_archE1200ELNS1_3gpuE4ELNS1_3repE0EEENS1_30default_config_static_selectorELNS0_4arch9wavefront6targetE0EEEvSV_ ; -- Begin function _ZN7rocprim17ROCPRIM_400000_NS6detail17trampoline_kernelINS0_13select_configILj256ELj13ELNS0_17block_load_methodE3ELS4_3ELS4_3ELNS0_20block_scan_algorithmE0ELj4294967295EEENS1_25partition_config_selectorILNS1_17partition_subalgoE3EjNS0_10empty_typeEbEEZZNS1_14partition_implILS8_3ELb0ES6_jNS0_17counting_iteratorIjlEEPS9_SE_NS0_5tupleIJPjSE_EEENSF_IJSE_SE_EEES9_SG_JZNS1_25segmented_radix_sort_implINS0_14default_configELb0EPKlPlSM_SN_N2at6native12_GLOBAL__N_18offset_tEEE10hipError_tPvRmT1_PNSt15iterator_traitsISV_E10value_typeET2_T3_PNSW_IS11_E10value_typeET4_jRbjT5_S17_jjP12ihipStream_tbEUljE_EEESS_ST_SU_S11_S15_S17_T6_T7_T9_mT8_S19_bDpT10_ENKUlT_T0_E_clISt17integral_constantIbLb1EES1L_IbLb0EEEEDaS1H_S1I_EUlS1H_E_NS1_11comp_targetILNS1_3genE10ELNS1_11target_archE1200ELNS1_3gpuE4ELNS1_3repE0EEENS1_30default_config_static_selectorELNS0_4arch9wavefront6targetE0EEEvSV_
	.p2align	8
	.type	_ZN7rocprim17ROCPRIM_400000_NS6detail17trampoline_kernelINS0_13select_configILj256ELj13ELNS0_17block_load_methodE3ELS4_3ELS4_3ELNS0_20block_scan_algorithmE0ELj4294967295EEENS1_25partition_config_selectorILNS1_17partition_subalgoE3EjNS0_10empty_typeEbEEZZNS1_14partition_implILS8_3ELb0ES6_jNS0_17counting_iteratorIjlEEPS9_SE_NS0_5tupleIJPjSE_EEENSF_IJSE_SE_EEES9_SG_JZNS1_25segmented_radix_sort_implINS0_14default_configELb0EPKlPlSM_SN_N2at6native12_GLOBAL__N_18offset_tEEE10hipError_tPvRmT1_PNSt15iterator_traitsISV_E10value_typeET2_T3_PNSW_IS11_E10value_typeET4_jRbjT5_S17_jjP12ihipStream_tbEUljE_EEESS_ST_SU_S11_S15_S17_T6_T7_T9_mT8_S19_bDpT10_ENKUlT_T0_E_clISt17integral_constantIbLb1EES1L_IbLb0EEEEDaS1H_S1I_EUlS1H_E_NS1_11comp_targetILNS1_3genE10ELNS1_11target_archE1200ELNS1_3gpuE4ELNS1_3repE0EEENS1_30default_config_static_selectorELNS0_4arch9wavefront6targetE0EEEvSV_,@function
_ZN7rocprim17ROCPRIM_400000_NS6detail17trampoline_kernelINS0_13select_configILj256ELj13ELNS0_17block_load_methodE3ELS4_3ELS4_3ELNS0_20block_scan_algorithmE0ELj4294967295EEENS1_25partition_config_selectorILNS1_17partition_subalgoE3EjNS0_10empty_typeEbEEZZNS1_14partition_implILS8_3ELb0ES6_jNS0_17counting_iteratorIjlEEPS9_SE_NS0_5tupleIJPjSE_EEENSF_IJSE_SE_EEES9_SG_JZNS1_25segmented_radix_sort_implINS0_14default_configELb0EPKlPlSM_SN_N2at6native12_GLOBAL__N_18offset_tEEE10hipError_tPvRmT1_PNSt15iterator_traitsISV_E10value_typeET2_T3_PNSW_IS11_E10value_typeET4_jRbjT5_S17_jjP12ihipStream_tbEUljE_EEESS_ST_SU_S11_S15_S17_T6_T7_T9_mT8_S19_bDpT10_ENKUlT_T0_E_clISt17integral_constantIbLb1EES1L_IbLb0EEEEDaS1H_S1I_EUlS1H_E_NS1_11comp_targetILNS1_3genE10ELNS1_11target_archE1200ELNS1_3gpuE4ELNS1_3repE0EEENS1_30default_config_static_selectorELNS0_4arch9wavefront6targetE0EEEvSV_: ; @_ZN7rocprim17ROCPRIM_400000_NS6detail17trampoline_kernelINS0_13select_configILj256ELj13ELNS0_17block_load_methodE3ELS4_3ELS4_3ELNS0_20block_scan_algorithmE0ELj4294967295EEENS1_25partition_config_selectorILNS1_17partition_subalgoE3EjNS0_10empty_typeEbEEZZNS1_14partition_implILS8_3ELb0ES6_jNS0_17counting_iteratorIjlEEPS9_SE_NS0_5tupleIJPjSE_EEENSF_IJSE_SE_EEES9_SG_JZNS1_25segmented_radix_sort_implINS0_14default_configELb0EPKlPlSM_SN_N2at6native12_GLOBAL__N_18offset_tEEE10hipError_tPvRmT1_PNSt15iterator_traitsISV_E10value_typeET2_T3_PNSW_IS11_E10value_typeET4_jRbjT5_S17_jjP12ihipStream_tbEUljE_EEESS_ST_SU_S11_S15_S17_T6_T7_T9_mT8_S19_bDpT10_ENKUlT_T0_E_clISt17integral_constantIbLb1EES1L_IbLb0EEEEDaS1H_S1I_EUlS1H_E_NS1_11comp_targetILNS1_3genE10ELNS1_11target_archE1200ELNS1_3gpuE4ELNS1_3repE0EEENS1_30default_config_static_selectorELNS0_4arch9wavefront6targetE0EEEvSV_
; %bb.0:
	.section	.rodata,"a",@progbits
	.p2align	6, 0x0
	.amdhsa_kernel _ZN7rocprim17ROCPRIM_400000_NS6detail17trampoline_kernelINS0_13select_configILj256ELj13ELNS0_17block_load_methodE3ELS4_3ELS4_3ELNS0_20block_scan_algorithmE0ELj4294967295EEENS1_25partition_config_selectorILNS1_17partition_subalgoE3EjNS0_10empty_typeEbEEZZNS1_14partition_implILS8_3ELb0ES6_jNS0_17counting_iteratorIjlEEPS9_SE_NS0_5tupleIJPjSE_EEENSF_IJSE_SE_EEES9_SG_JZNS1_25segmented_radix_sort_implINS0_14default_configELb0EPKlPlSM_SN_N2at6native12_GLOBAL__N_18offset_tEEE10hipError_tPvRmT1_PNSt15iterator_traitsISV_E10value_typeET2_T3_PNSW_IS11_E10value_typeET4_jRbjT5_S17_jjP12ihipStream_tbEUljE_EEESS_ST_SU_S11_S15_S17_T6_T7_T9_mT8_S19_bDpT10_ENKUlT_T0_E_clISt17integral_constantIbLb1EES1L_IbLb0EEEEDaS1H_S1I_EUlS1H_E_NS1_11comp_targetILNS1_3genE10ELNS1_11target_archE1200ELNS1_3gpuE4ELNS1_3repE0EEENS1_30default_config_static_selectorELNS0_4arch9wavefront6targetE0EEEvSV_
		.amdhsa_group_segment_fixed_size 0
		.amdhsa_private_segment_fixed_size 0
		.amdhsa_kernarg_size 144
		.amdhsa_user_sgpr_count 6
		.amdhsa_user_sgpr_private_segment_buffer 1
		.amdhsa_user_sgpr_dispatch_ptr 0
		.amdhsa_user_sgpr_queue_ptr 0
		.amdhsa_user_sgpr_kernarg_segment_ptr 1
		.amdhsa_user_sgpr_dispatch_id 0
		.amdhsa_user_sgpr_flat_scratch_init 0
		.amdhsa_user_sgpr_private_segment_size 0
		.amdhsa_wavefront_size32 1
		.amdhsa_uses_dynamic_stack 0
		.amdhsa_system_sgpr_private_segment_wavefront_offset 0
		.amdhsa_system_sgpr_workgroup_id_x 1
		.amdhsa_system_sgpr_workgroup_id_y 0
		.amdhsa_system_sgpr_workgroup_id_z 0
		.amdhsa_system_sgpr_workgroup_info 0
		.amdhsa_system_vgpr_workitem_id 0
		.amdhsa_next_free_vgpr 1
		.amdhsa_next_free_sgpr 1
		.amdhsa_reserve_vcc 0
		.amdhsa_reserve_flat_scratch 0
		.amdhsa_float_round_mode_32 0
		.amdhsa_float_round_mode_16_64 0
		.amdhsa_float_denorm_mode_32 3
		.amdhsa_float_denorm_mode_16_64 3
		.amdhsa_dx10_clamp 1
		.amdhsa_ieee_mode 1
		.amdhsa_fp16_overflow 0
		.amdhsa_workgroup_processor_mode 1
		.amdhsa_memory_ordered 1
		.amdhsa_forward_progress 1
		.amdhsa_shared_vgpr_count 0
		.amdhsa_exception_fp_ieee_invalid_op 0
		.amdhsa_exception_fp_denorm_src 0
		.amdhsa_exception_fp_ieee_div_zero 0
		.amdhsa_exception_fp_ieee_overflow 0
		.amdhsa_exception_fp_ieee_underflow 0
		.amdhsa_exception_fp_ieee_inexact 0
		.amdhsa_exception_int_div_zero 0
	.end_amdhsa_kernel
	.section	.text._ZN7rocprim17ROCPRIM_400000_NS6detail17trampoline_kernelINS0_13select_configILj256ELj13ELNS0_17block_load_methodE3ELS4_3ELS4_3ELNS0_20block_scan_algorithmE0ELj4294967295EEENS1_25partition_config_selectorILNS1_17partition_subalgoE3EjNS0_10empty_typeEbEEZZNS1_14partition_implILS8_3ELb0ES6_jNS0_17counting_iteratorIjlEEPS9_SE_NS0_5tupleIJPjSE_EEENSF_IJSE_SE_EEES9_SG_JZNS1_25segmented_radix_sort_implINS0_14default_configELb0EPKlPlSM_SN_N2at6native12_GLOBAL__N_18offset_tEEE10hipError_tPvRmT1_PNSt15iterator_traitsISV_E10value_typeET2_T3_PNSW_IS11_E10value_typeET4_jRbjT5_S17_jjP12ihipStream_tbEUljE_EEESS_ST_SU_S11_S15_S17_T6_T7_T9_mT8_S19_bDpT10_ENKUlT_T0_E_clISt17integral_constantIbLb1EES1L_IbLb0EEEEDaS1H_S1I_EUlS1H_E_NS1_11comp_targetILNS1_3genE10ELNS1_11target_archE1200ELNS1_3gpuE4ELNS1_3repE0EEENS1_30default_config_static_selectorELNS0_4arch9wavefront6targetE0EEEvSV_,"axG",@progbits,_ZN7rocprim17ROCPRIM_400000_NS6detail17trampoline_kernelINS0_13select_configILj256ELj13ELNS0_17block_load_methodE3ELS4_3ELS4_3ELNS0_20block_scan_algorithmE0ELj4294967295EEENS1_25partition_config_selectorILNS1_17partition_subalgoE3EjNS0_10empty_typeEbEEZZNS1_14partition_implILS8_3ELb0ES6_jNS0_17counting_iteratorIjlEEPS9_SE_NS0_5tupleIJPjSE_EEENSF_IJSE_SE_EEES9_SG_JZNS1_25segmented_radix_sort_implINS0_14default_configELb0EPKlPlSM_SN_N2at6native12_GLOBAL__N_18offset_tEEE10hipError_tPvRmT1_PNSt15iterator_traitsISV_E10value_typeET2_T3_PNSW_IS11_E10value_typeET4_jRbjT5_S17_jjP12ihipStream_tbEUljE_EEESS_ST_SU_S11_S15_S17_T6_T7_T9_mT8_S19_bDpT10_ENKUlT_T0_E_clISt17integral_constantIbLb1EES1L_IbLb0EEEEDaS1H_S1I_EUlS1H_E_NS1_11comp_targetILNS1_3genE10ELNS1_11target_archE1200ELNS1_3gpuE4ELNS1_3repE0EEENS1_30default_config_static_selectorELNS0_4arch9wavefront6targetE0EEEvSV_,comdat
.Lfunc_end790:
	.size	_ZN7rocprim17ROCPRIM_400000_NS6detail17trampoline_kernelINS0_13select_configILj256ELj13ELNS0_17block_load_methodE3ELS4_3ELS4_3ELNS0_20block_scan_algorithmE0ELj4294967295EEENS1_25partition_config_selectorILNS1_17partition_subalgoE3EjNS0_10empty_typeEbEEZZNS1_14partition_implILS8_3ELb0ES6_jNS0_17counting_iteratorIjlEEPS9_SE_NS0_5tupleIJPjSE_EEENSF_IJSE_SE_EEES9_SG_JZNS1_25segmented_radix_sort_implINS0_14default_configELb0EPKlPlSM_SN_N2at6native12_GLOBAL__N_18offset_tEEE10hipError_tPvRmT1_PNSt15iterator_traitsISV_E10value_typeET2_T3_PNSW_IS11_E10value_typeET4_jRbjT5_S17_jjP12ihipStream_tbEUljE_EEESS_ST_SU_S11_S15_S17_T6_T7_T9_mT8_S19_bDpT10_ENKUlT_T0_E_clISt17integral_constantIbLb1EES1L_IbLb0EEEEDaS1H_S1I_EUlS1H_E_NS1_11comp_targetILNS1_3genE10ELNS1_11target_archE1200ELNS1_3gpuE4ELNS1_3repE0EEENS1_30default_config_static_selectorELNS0_4arch9wavefront6targetE0EEEvSV_, .Lfunc_end790-_ZN7rocprim17ROCPRIM_400000_NS6detail17trampoline_kernelINS0_13select_configILj256ELj13ELNS0_17block_load_methodE3ELS4_3ELS4_3ELNS0_20block_scan_algorithmE0ELj4294967295EEENS1_25partition_config_selectorILNS1_17partition_subalgoE3EjNS0_10empty_typeEbEEZZNS1_14partition_implILS8_3ELb0ES6_jNS0_17counting_iteratorIjlEEPS9_SE_NS0_5tupleIJPjSE_EEENSF_IJSE_SE_EEES9_SG_JZNS1_25segmented_radix_sort_implINS0_14default_configELb0EPKlPlSM_SN_N2at6native12_GLOBAL__N_18offset_tEEE10hipError_tPvRmT1_PNSt15iterator_traitsISV_E10value_typeET2_T3_PNSW_IS11_E10value_typeET4_jRbjT5_S17_jjP12ihipStream_tbEUljE_EEESS_ST_SU_S11_S15_S17_T6_T7_T9_mT8_S19_bDpT10_ENKUlT_T0_E_clISt17integral_constantIbLb1EES1L_IbLb0EEEEDaS1H_S1I_EUlS1H_E_NS1_11comp_targetILNS1_3genE10ELNS1_11target_archE1200ELNS1_3gpuE4ELNS1_3repE0EEENS1_30default_config_static_selectorELNS0_4arch9wavefront6targetE0EEEvSV_
                                        ; -- End function
	.set _ZN7rocprim17ROCPRIM_400000_NS6detail17trampoline_kernelINS0_13select_configILj256ELj13ELNS0_17block_load_methodE3ELS4_3ELS4_3ELNS0_20block_scan_algorithmE0ELj4294967295EEENS1_25partition_config_selectorILNS1_17partition_subalgoE3EjNS0_10empty_typeEbEEZZNS1_14partition_implILS8_3ELb0ES6_jNS0_17counting_iteratorIjlEEPS9_SE_NS0_5tupleIJPjSE_EEENSF_IJSE_SE_EEES9_SG_JZNS1_25segmented_radix_sort_implINS0_14default_configELb0EPKlPlSM_SN_N2at6native12_GLOBAL__N_18offset_tEEE10hipError_tPvRmT1_PNSt15iterator_traitsISV_E10value_typeET2_T3_PNSW_IS11_E10value_typeET4_jRbjT5_S17_jjP12ihipStream_tbEUljE_EEESS_ST_SU_S11_S15_S17_T6_T7_T9_mT8_S19_bDpT10_ENKUlT_T0_E_clISt17integral_constantIbLb1EES1L_IbLb0EEEEDaS1H_S1I_EUlS1H_E_NS1_11comp_targetILNS1_3genE10ELNS1_11target_archE1200ELNS1_3gpuE4ELNS1_3repE0EEENS1_30default_config_static_selectorELNS0_4arch9wavefront6targetE0EEEvSV_.num_vgpr, 0
	.set _ZN7rocprim17ROCPRIM_400000_NS6detail17trampoline_kernelINS0_13select_configILj256ELj13ELNS0_17block_load_methodE3ELS4_3ELS4_3ELNS0_20block_scan_algorithmE0ELj4294967295EEENS1_25partition_config_selectorILNS1_17partition_subalgoE3EjNS0_10empty_typeEbEEZZNS1_14partition_implILS8_3ELb0ES6_jNS0_17counting_iteratorIjlEEPS9_SE_NS0_5tupleIJPjSE_EEENSF_IJSE_SE_EEES9_SG_JZNS1_25segmented_radix_sort_implINS0_14default_configELb0EPKlPlSM_SN_N2at6native12_GLOBAL__N_18offset_tEEE10hipError_tPvRmT1_PNSt15iterator_traitsISV_E10value_typeET2_T3_PNSW_IS11_E10value_typeET4_jRbjT5_S17_jjP12ihipStream_tbEUljE_EEESS_ST_SU_S11_S15_S17_T6_T7_T9_mT8_S19_bDpT10_ENKUlT_T0_E_clISt17integral_constantIbLb1EES1L_IbLb0EEEEDaS1H_S1I_EUlS1H_E_NS1_11comp_targetILNS1_3genE10ELNS1_11target_archE1200ELNS1_3gpuE4ELNS1_3repE0EEENS1_30default_config_static_selectorELNS0_4arch9wavefront6targetE0EEEvSV_.num_agpr, 0
	.set _ZN7rocprim17ROCPRIM_400000_NS6detail17trampoline_kernelINS0_13select_configILj256ELj13ELNS0_17block_load_methodE3ELS4_3ELS4_3ELNS0_20block_scan_algorithmE0ELj4294967295EEENS1_25partition_config_selectorILNS1_17partition_subalgoE3EjNS0_10empty_typeEbEEZZNS1_14partition_implILS8_3ELb0ES6_jNS0_17counting_iteratorIjlEEPS9_SE_NS0_5tupleIJPjSE_EEENSF_IJSE_SE_EEES9_SG_JZNS1_25segmented_radix_sort_implINS0_14default_configELb0EPKlPlSM_SN_N2at6native12_GLOBAL__N_18offset_tEEE10hipError_tPvRmT1_PNSt15iterator_traitsISV_E10value_typeET2_T3_PNSW_IS11_E10value_typeET4_jRbjT5_S17_jjP12ihipStream_tbEUljE_EEESS_ST_SU_S11_S15_S17_T6_T7_T9_mT8_S19_bDpT10_ENKUlT_T0_E_clISt17integral_constantIbLb1EES1L_IbLb0EEEEDaS1H_S1I_EUlS1H_E_NS1_11comp_targetILNS1_3genE10ELNS1_11target_archE1200ELNS1_3gpuE4ELNS1_3repE0EEENS1_30default_config_static_selectorELNS0_4arch9wavefront6targetE0EEEvSV_.numbered_sgpr, 0
	.set _ZN7rocprim17ROCPRIM_400000_NS6detail17trampoline_kernelINS0_13select_configILj256ELj13ELNS0_17block_load_methodE3ELS4_3ELS4_3ELNS0_20block_scan_algorithmE0ELj4294967295EEENS1_25partition_config_selectorILNS1_17partition_subalgoE3EjNS0_10empty_typeEbEEZZNS1_14partition_implILS8_3ELb0ES6_jNS0_17counting_iteratorIjlEEPS9_SE_NS0_5tupleIJPjSE_EEENSF_IJSE_SE_EEES9_SG_JZNS1_25segmented_radix_sort_implINS0_14default_configELb0EPKlPlSM_SN_N2at6native12_GLOBAL__N_18offset_tEEE10hipError_tPvRmT1_PNSt15iterator_traitsISV_E10value_typeET2_T3_PNSW_IS11_E10value_typeET4_jRbjT5_S17_jjP12ihipStream_tbEUljE_EEESS_ST_SU_S11_S15_S17_T6_T7_T9_mT8_S19_bDpT10_ENKUlT_T0_E_clISt17integral_constantIbLb1EES1L_IbLb0EEEEDaS1H_S1I_EUlS1H_E_NS1_11comp_targetILNS1_3genE10ELNS1_11target_archE1200ELNS1_3gpuE4ELNS1_3repE0EEENS1_30default_config_static_selectorELNS0_4arch9wavefront6targetE0EEEvSV_.num_named_barrier, 0
	.set _ZN7rocprim17ROCPRIM_400000_NS6detail17trampoline_kernelINS0_13select_configILj256ELj13ELNS0_17block_load_methodE3ELS4_3ELS4_3ELNS0_20block_scan_algorithmE0ELj4294967295EEENS1_25partition_config_selectorILNS1_17partition_subalgoE3EjNS0_10empty_typeEbEEZZNS1_14partition_implILS8_3ELb0ES6_jNS0_17counting_iteratorIjlEEPS9_SE_NS0_5tupleIJPjSE_EEENSF_IJSE_SE_EEES9_SG_JZNS1_25segmented_radix_sort_implINS0_14default_configELb0EPKlPlSM_SN_N2at6native12_GLOBAL__N_18offset_tEEE10hipError_tPvRmT1_PNSt15iterator_traitsISV_E10value_typeET2_T3_PNSW_IS11_E10value_typeET4_jRbjT5_S17_jjP12ihipStream_tbEUljE_EEESS_ST_SU_S11_S15_S17_T6_T7_T9_mT8_S19_bDpT10_ENKUlT_T0_E_clISt17integral_constantIbLb1EES1L_IbLb0EEEEDaS1H_S1I_EUlS1H_E_NS1_11comp_targetILNS1_3genE10ELNS1_11target_archE1200ELNS1_3gpuE4ELNS1_3repE0EEENS1_30default_config_static_selectorELNS0_4arch9wavefront6targetE0EEEvSV_.private_seg_size, 0
	.set _ZN7rocprim17ROCPRIM_400000_NS6detail17trampoline_kernelINS0_13select_configILj256ELj13ELNS0_17block_load_methodE3ELS4_3ELS4_3ELNS0_20block_scan_algorithmE0ELj4294967295EEENS1_25partition_config_selectorILNS1_17partition_subalgoE3EjNS0_10empty_typeEbEEZZNS1_14partition_implILS8_3ELb0ES6_jNS0_17counting_iteratorIjlEEPS9_SE_NS0_5tupleIJPjSE_EEENSF_IJSE_SE_EEES9_SG_JZNS1_25segmented_radix_sort_implINS0_14default_configELb0EPKlPlSM_SN_N2at6native12_GLOBAL__N_18offset_tEEE10hipError_tPvRmT1_PNSt15iterator_traitsISV_E10value_typeET2_T3_PNSW_IS11_E10value_typeET4_jRbjT5_S17_jjP12ihipStream_tbEUljE_EEESS_ST_SU_S11_S15_S17_T6_T7_T9_mT8_S19_bDpT10_ENKUlT_T0_E_clISt17integral_constantIbLb1EES1L_IbLb0EEEEDaS1H_S1I_EUlS1H_E_NS1_11comp_targetILNS1_3genE10ELNS1_11target_archE1200ELNS1_3gpuE4ELNS1_3repE0EEENS1_30default_config_static_selectorELNS0_4arch9wavefront6targetE0EEEvSV_.uses_vcc, 0
	.set _ZN7rocprim17ROCPRIM_400000_NS6detail17trampoline_kernelINS0_13select_configILj256ELj13ELNS0_17block_load_methodE3ELS4_3ELS4_3ELNS0_20block_scan_algorithmE0ELj4294967295EEENS1_25partition_config_selectorILNS1_17partition_subalgoE3EjNS0_10empty_typeEbEEZZNS1_14partition_implILS8_3ELb0ES6_jNS0_17counting_iteratorIjlEEPS9_SE_NS0_5tupleIJPjSE_EEENSF_IJSE_SE_EEES9_SG_JZNS1_25segmented_radix_sort_implINS0_14default_configELb0EPKlPlSM_SN_N2at6native12_GLOBAL__N_18offset_tEEE10hipError_tPvRmT1_PNSt15iterator_traitsISV_E10value_typeET2_T3_PNSW_IS11_E10value_typeET4_jRbjT5_S17_jjP12ihipStream_tbEUljE_EEESS_ST_SU_S11_S15_S17_T6_T7_T9_mT8_S19_bDpT10_ENKUlT_T0_E_clISt17integral_constantIbLb1EES1L_IbLb0EEEEDaS1H_S1I_EUlS1H_E_NS1_11comp_targetILNS1_3genE10ELNS1_11target_archE1200ELNS1_3gpuE4ELNS1_3repE0EEENS1_30default_config_static_selectorELNS0_4arch9wavefront6targetE0EEEvSV_.uses_flat_scratch, 0
	.set _ZN7rocprim17ROCPRIM_400000_NS6detail17trampoline_kernelINS0_13select_configILj256ELj13ELNS0_17block_load_methodE3ELS4_3ELS4_3ELNS0_20block_scan_algorithmE0ELj4294967295EEENS1_25partition_config_selectorILNS1_17partition_subalgoE3EjNS0_10empty_typeEbEEZZNS1_14partition_implILS8_3ELb0ES6_jNS0_17counting_iteratorIjlEEPS9_SE_NS0_5tupleIJPjSE_EEENSF_IJSE_SE_EEES9_SG_JZNS1_25segmented_radix_sort_implINS0_14default_configELb0EPKlPlSM_SN_N2at6native12_GLOBAL__N_18offset_tEEE10hipError_tPvRmT1_PNSt15iterator_traitsISV_E10value_typeET2_T3_PNSW_IS11_E10value_typeET4_jRbjT5_S17_jjP12ihipStream_tbEUljE_EEESS_ST_SU_S11_S15_S17_T6_T7_T9_mT8_S19_bDpT10_ENKUlT_T0_E_clISt17integral_constantIbLb1EES1L_IbLb0EEEEDaS1H_S1I_EUlS1H_E_NS1_11comp_targetILNS1_3genE10ELNS1_11target_archE1200ELNS1_3gpuE4ELNS1_3repE0EEENS1_30default_config_static_selectorELNS0_4arch9wavefront6targetE0EEEvSV_.has_dyn_sized_stack, 0
	.set _ZN7rocprim17ROCPRIM_400000_NS6detail17trampoline_kernelINS0_13select_configILj256ELj13ELNS0_17block_load_methodE3ELS4_3ELS4_3ELNS0_20block_scan_algorithmE0ELj4294967295EEENS1_25partition_config_selectorILNS1_17partition_subalgoE3EjNS0_10empty_typeEbEEZZNS1_14partition_implILS8_3ELb0ES6_jNS0_17counting_iteratorIjlEEPS9_SE_NS0_5tupleIJPjSE_EEENSF_IJSE_SE_EEES9_SG_JZNS1_25segmented_radix_sort_implINS0_14default_configELb0EPKlPlSM_SN_N2at6native12_GLOBAL__N_18offset_tEEE10hipError_tPvRmT1_PNSt15iterator_traitsISV_E10value_typeET2_T3_PNSW_IS11_E10value_typeET4_jRbjT5_S17_jjP12ihipStream_tbEUljE_EEESS_ST_SU_S11_S15_S17_T6_T7_T9_mT8_S19_bDpT10_ENKUlT_T0_E_clISt17integral_constantIbLb1EES1L_IbLb0EEEEDaS1H_S1I_EUlS1H_E_NS1_11comp_targetILNS1_3genE10ELNS1_11target_archE1200ELNS1_3gpuE4ELNS1_3repE0EEENS1_30default_config_static_selectorELNS0_4arch9wavefront6targetE0EEEvSV_.has_recursion, 0
	.set _ZN7rocprim17ROCPRIM_400000_NS6detail17trampoline_kernelINS0_13select_configILj256ELj13ELNS0_17block_load_methodE3ELS4_3ELS4_3ELNS0_20block_scan_algorithmE0ELj4294967295EEENS1_25partition_config_selectorILNS1_17partition_subalgoE3EjNS0_10empty_typeEbEEZZNS1_14partition_implILS8_3ELb0ES6_jNS0_17counting_iteratorIjlEEPS9_SE_NS0_5tupleIJPjSE_EEENSF_IJSE_SE_EEES9_SG_JZNS1_25segmented_radix_sort_implINS0_14default_configELb0EPKlPlSM_SN_N2at6native12_GLOBAL__N_18offset_tEEE10hipError_tPvRmT1_PNSt15iterator_traitsISV_E10value_typeET2_T3_PNSW_IS11_E10value_typeET4_jRbjT5_S17_jjP12ihipStream_tbEUljE_EEESS_ST_SU_S11_S15_S17_T6_T7_T9_mT8_S19_bDpT10_ENKUlT_T0_E_clISt17integral_constantIbLb1EES1L_IbLb0EEEEDaS1H_S1I_EUlS1H_E_NS1_11comp_targetILNS1_3genE10ELNS1_11target_archE1200ELNS1_3gpuE4ELNS1_3repE0EEENS1_30default_config_static_selectorELNS0_4arch9wavefront6targetE0EEEvSV_.has_indirect_call, 0
	.section	.AMDGPU.csdata,"",@progbits
; Kernel info:
; codeLenInByte = 0
; TotalNumSgprs: 0
; NumVgprs: 0
; ScratchSize: 0
; MemoryBound: 0
; FloatMode: 240
; IeeeMode: 1
; LDSByteSize: 0 bytes/workgroup (compile time only)
; SGPRBlocks: 0
; VGPRBlocks: 0
; NumSGPRsForWavesPerEU: 1
; NumVGPRsForWavesPerEU: 1
; Occupancy: 16
; WaveLimiterHint : 0
; COMPUTE_PGM_RSRC2:SCRATCH_EN: 0
; COMPUTE_PGM_RSRC2:USER_SGPR: 6
; COMPUTE_PGM_RSRC2:TRAP_HANDLER: 0
; COMPUTE_PGM_RSRC2:TGID_X_EN: 1
; COMPUTE_PGM_RSRC2:TGID_Y_EN: 0
; COMPUTE_PGM_RSRC2:TGID_Z_EN: 0
; COMPUTE_PGM_RSRC2:TIDIG_COMP_CNT: 0
	.section	.text._ZN7rocprim17ROCPRIM_400000_NS6detail17trampoline_kernelINS0_13select_configILj256ELj13ELNS0_17block_load_methodE3ELS4_3ELS4_3ELNS0_20block_scan_algorithmE0ELj4294967295EEENS1_25partition_config_selectorILNS1_17partition_subalgoE3EjNS0_10empty_typeEbEEZZNS1_14partition_implILS8_3ELb0ES6_jNS0_17counting_iteratorIjlEEPS9_SE_NS0_5tupleIJPjSE_EEENSF_IJSE_SE_EEES9_SG_JZNS1_25segmented_radix_sort_implINS0_14default_configELb0EPKlPlSM_SN_N2at6native12_GLOBAL__N_18offset_tEEE10hipError_tPvRmT1_PNSt15iterator_traitsISV_E10value_typeET2_T3_PNSW_IS11_E10value_typeET4_jRbjT5_S17_jjP12ihipStream_tbEUljE_EEESS_ST_SU_S11_S15_S17_T6_T7_T9_mT8_S19_bDpT10_ENKUlT_T0_E_clISt17integral_constantIbLb1EES1L_IbLb0EEEEDaS1H_S1I_EUlS1H_E_NS1_11comp_targetILNS1_3genE9ELNS1_11target_archE1100ELNS1_3gpuE3ELNS1_3repE0EEENS1_30default_config_static_selectorELNS0_4arch9wavefront6targetE0EEEvSV_,"axG",@progbits,_ZN7rocprim17ROCPRIM_400000_NS6detail17trampoline_kernelINS0_13select_configILj256ELj13ELNS0_17block_load_methodE3ELS4_3ELS4_3ELNS0_20block_scan_algorithmE0ELj4294967295EEENS1_25partition_config_selectorILNS1_17partition_subalgoE3EjNS0_10empty_typeEbEEZZNS1_14partition_implILS8_3ELb0ES6_jNS0_17counting_iteratorIjlEEPS9_SE_NS0_5tupleIJPjSE_EEENSF_IJSE_SE_EEES9_SG_JZNS1_25segmented_radix_sort_implINS0_14default_configELb0EPKlPlSM_SN_N2at6native12_GLOBAL__N_18offset_tEEE10hipError_tPvRmT1_PNSt15iterator_traitsISV_E10value_typeET2_T3_PNSW_IS11_E10value_typeET4_jRbjT5_S17_jjP12ihipStream_tbEUljE_EEESS_ST_SU_S11_S15_S17_T6_T7_T9_mT8_S19_bDpT10_ENKUlT_T0_E_clISt17integral_constantIbLb1EES1L_IbLb0EEEEDaS1H_S1I_EUlS1H_E_NS1_11comp_targetILNS1_3genE9ELNS1_11target_archE1100ELNS1_3gpuE3ELNS1_3repE0EEENS1_30default_config_static_selectorELNS0_4arch9wavefront6targetE0EEEvSV_,comdat
	.globl	_ZN7rocprim17ROCPRIM_400000_NS6detail17trampoline_kernelINS0_13select_configILj256ELj13ELNS0_17block_load_methodE3ELS4_3ELS4_3ELNS0_20block_scan_algorithmE0ELj4294967295EEENS1_25partition_config_selectorILNS1_17partition_subalgoE3EjNS0_10empty_typeEbEEZZNS1_14partition_implILS8_3ELb0ES6_jNS0_17counting_iteratorIjlEEPS9_SE_NS0_5tupleIJPjSE_EEENSF_IJSE_SE_EEES9_SG_JZNS1_25segmented_radix_sort_implINS0_14default_configELb0EPKlPlSM_SN_N2at6native12_GLOBAL__N_18offset_tEEE10hipError_tPvRmT1_PNSt15iterator_traitsISV_E10value_typeET2_T3_PNSW_IS11_E10value_typeET4_jRbjT5_S17_jjP12ihipStream_tbEUljE_EEESS_ST_SU_S11_S15_S17_T6_T7_T9_mT8_S19_bDpT10_ENKUlT_T0_E_clISt17integral_constantIbLb1EES1L_IbLb0EEEEDaS1H_S1I_EUlS1H_E_NS1_11comp_targetILNS1_3genE9ELNS1_11target_archE1100ELNS1_3gpuE3ELNS1_3repE0EEENS1_30default_config_static_selectorELNS0_4arch9wavefront6targetE0EEEvSV_ ; -- Begin function _ZN7rocprim17ROCPRIM_400000_NS6detail17trampoline_kernelINS0_13select_configILj256ELj13ELNS0_17block_load_methodE3ELS4_3ELS4_3ELNS0_20block_scan_algorithmE0ELj4294967295EEENS1_25partition_config_selectorILNS1_17partition_subalgoE3EjNS0_10empty_typeEbEEZZNS1_14partition_implILS8_3ELb0ES6_jNS0_17counting_iteratorIjlEEPS9_SE_NS0_5tupleIJPjSE_EEENSF_IJSE_SE_EEES9_SG_JZNS1_25segmented_radix_sort_implINS0_14default_configELb0EPKlPlSM_SN_N2at6native12_GLOBAL__N_18offset_tEEE10hipError_tPvRmT1_PNSt15iterator_traitsISV_E10value_typeET2_T3_PNSW_IS11_E10value_typeET4_jRbjT5_S17_jjP12ihipStream_tbEUljE_EEESS_ST_SU_S11_S15_S17_T6_T7_T9_mT8_S19_bDpT10_ENKUlT_T0_E_clISt17integral_constantIbLb1EES1L_IbLb0EEEEDaS1H_S1I_EUlS1H_E_NS1_11comp_targetILNS1_3genE9ELNS1_11target_archE1100ELNS1_3gpuE3ELNS1_3repE0EEENS1_30default_config_static_selectorELNS0_4arch9wavefront6targetE0EEEvSV_
	.p2align	8
	.type	_ZN7rocprim17ROCPRIM_400000_NS6detail17trampoline_kernelINS0_13select_configILj256ELj13ELNS0_17block_load_methodE3ELS4_3ELS4_3ELNS0_20block_scan_algorithmE0ELj4294967295EEENS1_25partition_config_selectorILNS1_17partition_subalgoE3EjNS0_10empty_typeEbEEZZNS1_14partition_implILS8_3ELb0ES6_jNS0_17counting_iteratorIjlEEPS9_SE_NS0_5tupleIJPjSE_EEENSF_IJSE_SE_EEES9_SG_JZNS1_25segmented_radix_sort_implINS0_14default_configELb0EPKlPlSM_SN_N2at6native12_GLOBAL__N_18offset_tEEE10hipError_tPvRmT1_PNSt15iterator_traitsISV_E10value_typeET2_T3_PNSW_IS11_E10value_typeET4_jRbjT5_S17_jjP12ihipStream_tbEUljE_EEESS_ST_SU_S11_S15_S17_T6_T7_T9_mT8_S19_bDpT10_ENKUlT_T0_E_clISt17integral_constantIbLb1EES1L_IbLb0EEEEDaS1H_S1I_EUlS1H_E_NS1_11comp_targetILNS1_3genE9ELNS1_11target_archE1100ELNS1_3gpuE3ELNS1_3repE0EEENS1_30default_config_static_selectorELNS0_4arch9wavefront6targetE0EEEvSV_,@function
_ZN7rocprim17ROCPRIM_400000_NS6detail17trampoline_kernelINS0_13select_configILj256ELj13ELNS0_17block_load_methodE3ELS4_3ELS4_3ELNS0_20block_scan_algorithmE0ELj4294967295EEENS1_25partition_config_selectorILNS1_17partition_subalgoE3EjNS0_10empty_typeEbEEZZNS1_14partition_implILS8_3ELb0ES6_jNS0_17counting_iteratorIjlEEPS9_SE_NS0_5tupleIJPjSE_EEENSF_IJSE_SE_EEES9_SG_JZNS1_25segmented_radix_sort_implINS0_14default_configELb0EPKlPlSM_SN_N2at6native12_GLOBAL__N_18offset_tEEE10hipError_tPvRmT1_PNSt15iterator_traitsISV_E10value_typeET2_T3_PNSW_IS11_E10value_typeET4_jRbjT5_S17_jjP12ihipStream_tbEUljE_EEESS_ST_SU_S11_S15_S17_T6_T7_T9_mT8_S19_bDpT10_ENKUlT_T0_E_clISt17integral_constantIbLb1EES1L_IbLb0EEEEDaS1H_S1I_EUlS1H_E_NS1_11comp_targetILNS1_3genE9ELNS1_11target_archE1100ELNS1_3gpuE3ELNS1_3repE0EEENS1_30default_config_static_selectorELNS0_4arch9wavefront6targetE0EEEvSV_: ; @_ZN7rocprim17ROCPRIM_400000_NS6detail17trampoline_kernelINS0_13select_configILj256ELj13ELNS0_17block_load_methodE3ELS4_3ELS4_3ELNS0_20block_scan_algorithmE0ELj4294967295EEENS1_25partition_config_selectorILNS1_17partition_subalgoE3EjNS0_10empty_typeEbEEZZNS1_14partition_implILS8_3ELb0ES6_jNS0_17counting_iteratorIjlEEPS9_SE_NS0_5tupleIJPjSE_EEENSF_IJSE_SE_EEES9_SG_JZNS1_25segmented_radix_sort_implINS0_14default_configELb0EPKlPlSM_SN_N2at6native12_GLOBAL__N_18offset_tEEE10hipError_tPvRmT1_PNSt15iterator_traitsISV_E10value_typeET2_T3_PNSW_IS11_E10value_typeET4_jRbjT5_S17_jjP12ihipStream_tbEUljE_EEESS_ST_SU_S11_S15_S17_T6_T7_T9_mT8_S19_bDpT10_ENKUlT_T0_E_clISt17integral_constantIbLb1EES1L_IbLb0EEEEDaS1H_S1I_EUlS1H_E_NS1_11comp_targetILNS1_3genE9ELNS1_11target_archE1100ELNS1_3gpuE3ELNS1_3repE0EEENS1_30default_config_static_selectorELNS0_4arch9wavefront6targetE0EEEvSV_
; %bb.0:
	.section	.rodata,"a",@progbits
	.p2align	6, 0x0
	.amdhsa_kernel _ZN7rocprim17ROCPRIM_400000_NS6detail17trampoline_kernelINS0_13select_configILj256ELj13ELNS0_17block_load_methodE3ELS4_3ELS4_3ELNS0_20block_scan_algorithmE0ELj4294967295EEENS1_25partition_config_selectorILNS1_17partition_subalgoE3EjNS0_10empty_typeEbEEZZNS1_14partition_implILS8_3ELb0ES6_jNS0_17counting_iteratorIjlEEPS9_SE_NS0_5tupleIJPjSE_EEENSF_IJSE_SE_EEES9_SG_JZNS1_25segmented_radix_sort_implINS0_14default_configELb0EPKlPlSM_SN_N2at6native12_GLOBAL__N_18offset_tEEE10hipError_tPvRmT1_PNSt15iterator_traitsISV_E10value_typeET2_T3_PNSW_IS11_E10value_typeET4_jRbjT5_S17_jjP12ihipStream_tbEUljE_EEESS_ST_SU_S11_S15_S17_T6_T7_T9_mT8_S19_bDpT10_ENKUlT_T0_E_clISt17integral_constantIbLb1EES1L_IbLb0EEEEDaS1H_S1I_EUlS1H_E_NS1_11comp_targetILNS1_3genE9ELNS1_11target_archE1100ELNS1_3gpuE3ELNS1_3repE0EEENS1_30default_config_static_selectorELNS0_4arch9wavefront6targetE0EEEvSV_
		.amdhsa_group_segment_fixed_size 0
		.amdhsa_private_segment_fixed_size 0
		.amdhsa_kernarg_size 144
		.amdhsa_user_sgpr_count 6
		.amdhsa_user_sgpr_private_segment_buffer 1
		.amdhsa_user_sgpr_dispatch_ptr 0
		.amdhsa_user_sgpr_queue_ptr 0
		.amdhsa_user_sgpr_kernarg_segment_ptr 1
		.amdhsa_user_sgpr_dispatch_id 0
		.amdhsa_user_sgpr_flat_scratch_init 0
		.amdhsa_user_sgpr_private_segment_size 0
		.amdhsa_wavefront_size32 1
		.amdhsa_uses_dynamic_stack 0
		.amdhsa_system_sgpr_private_segment_wavefront_offset 0
		.amdhsa_system_sgpr_workgroup_id_x 1
		.amdhsa_system_sgpr_workgroup_id_y 0
		.amdhsa_system_sgpr_workgroup_id_z 0
		.amdhsa_system_sgpr_workgroup_info 0
		.amdhsa_system_vgpr_workitem_id 0
		.amdhsa_next_free_vgpr 1
		.amdhsa_next_free_sgpr 1
		.amdhsa_reserve_vcc 0
		.amdhsa_reserve_flat_scratch 0
		.amdhsa_float_round_mode_32 0
		.amdhsa_float_round_mode_16_64 0
		.amdhsa_float_denorm_mode_32 3
		.amdhsa_float_denorm_mode_16_64 3
		.amdhsa_dx10_clamp 1
		.amdhsa_ieee_mode 1
		.amdhsa_fp16_overflow 0
		.amdhsa_workgroup_processor_mode 1
		.amdhsa_memory_ordered 1
		.amdhsa_forward_progress 1
		.amdhsa_shared_vgpr_count 0
		.amdhsa_exception_fp_ieee_invalid_op 0
		.amdhsa_exception_fp_denorm_src 0
		.amdhsa_exception_fp_ieee_div_zero 0
		.amdhsa_exception_fp_ieee_overflow 0
		.amdhsa_exception_fp_ieee_underflow 0
		.amdhsa_exception_fp_ieee_inexact 0
		.amdhsa_exception_int_div_zero 0
	.end_amdhsa_kernel
	.section	.text._ZN7rocprim17ROCPRIM_400000_NS6detail17trampoline_kernelINS0_13select_configILj256ELj13ELNS0_17block_load_methodE3ELS4_3ELS4_3ELNS0_20block_scan_algorithmE0ELj4294967295EEENS1_25partition_config_selectorILNS1_17partition_subalgoE3EjNS0_10empty_typeEbEEZZNS1_14partition_implILS8_3ELb0ES6_jNS0_17counting_iteratorIjlEEPS9_SE_NS0_5tupleIJPjSE_EEENSF_IJSE_SE_EEES9_SG_JZNS1_25segmented_radix_sort_implINS0_14default_configELb0EPKlPlSM_SN_N2at6native12_GLOBAL__N_18offset_tEEE10hipError_tPvRmT1_PNSt15iterator_traitsISV_E10value_typeET2_T3_PNSW_IS11_E10value_typeET4_jRbjT5_S17_jjP12ihipStream_tbEUljE_EEESS_ST_SU_S11_S15_S17_T6_T7_T9_mT8_S19_bDpT10_ENKUlT_T0_E_clISt17integral_constantIbLb1EES1L_IbLb0EEEEDaS1H_S1I_EUlS1H_E_NS1_11comp_targetILNS1_3genE9ELNS1_11target_archE1100ELNS1_3gpuE3ELNS1_3repE0EEENS1_30default_config_static_selectorELNS0_4arch9wavefront6targetE0EEEvSV_,"axG",@progbits,_ZN7rocprim17ROCPRIM_400000_NS6detail17trampoline_kernelINS0_13select_configILj256ELj13ELNS0_17block_load_methodE3ELS4_3ELS4_3ELNS0_20block_scan_algorithmE0ELj4294967295EEENS1_25partition_config_selectorILNS1_17partition_subalgoE3EjNS0_10empty_typeEbEEZZNS1_14partition_implILS8_3ELb0ES6_jNS0_17counting_iteratorIjlEEPS9_SE_NS0_5tupleIJPjSE_EEENSF_IJSE_SE_EEES9_SG_JZNS1_25segmented_radix_sort_implINS0_14default_configELb0EPKlPlSM_SN_N2at6native12_GLOBAL__N_18offset_tEEE10hipError_tPvRmT1_PNSt15iterator_traitsISV_E10value_typeET2_T3_PNSW_IS11_E10value_typeET4_jRbjT5_S17_jjP12ihipStream_tbEUljE_EEESS_ST_SU_S11_S15_S17_T6_T7_T9_mT8_S19_bDpT10_ENKUlT_T0_E_clISt17integral_constantIbLb1EES1L_IbLb0EEEEDaS1H_S1I_EUlS1H_E_NS1_11comp_targetILNS1_3genE9ELNS1_11target_archE1100ELNS1_3gpuE3ELNS1_3repE0EEENS1_30default_config_static_selectorELNS0_4arch9wavefront6targetE0EEEvSV_,comdat
.Lfunc_end791:
	.size	_ZN7rocprim17ROCPRIM_400000_NS6detail17trampoline_kernelINS0_13select_configILj256ELj13ELNS0_17block_load_methodE3ELS4_3ELS4_3ELNS0_20block_scan_algorithmE0ELj4294967295EEENS1_25partition_config_selectorILNS1_17partition_subalgoE3EjNS0_10empty_typeEbEEZZNS1_14partition_implILS8_3ELb0ES6_jNS0_17counting_iteratorIjlEEPS9_SE_NS0_5tupleIJPjSE_EEENSF_IJSE_SE_EEES9_SG_JZNS1_25segmented_radix_sort_implINS0_14default_configELb0EPKlPlSM_SN_N2at6native12_GLOBAL__N_18offset_tEEE10hipError_tPvRmT1_PNSt15iterator_traitsISV_E10value_typeET2_T3_PNSW_IS11_E10value_typeET4_jRbjT5_S17_jjP12ihipStream_tbEUljE_EEESS_ST_SU_S11_S15_S17_T6_T7_T9_mT8_S19_bDpT10_ENKUlT_T0_E_clISt17integral_constantIbLb1EES1L_IbLb0EEEEDaS1H_S1I_EUlS1H_E_NS1_11comp_targetILNS1_3genE9ELNS1_11target_archE1100ELNS1_3gpuE3ELNS1_3repE0EEENS1_30default_config_static_selectorELNS0_4arch9wavefront6targetE0EEEvSV_, .Lfunc_end791-_ZN7rocprim17ROCPRIM_400000_NS6detail17trampoline_kernelINS0_13select_configILj256ELj13ELNS0_17block_load_methodE3ELS4_3ELS4_3ELNS0_20block_scan_algorithmE0ELj4294967295EEENS1_25partition_config_selectorILNS1_17partition_subalgoE3EjNS0_10empty_typeEbEEZZNS1_14partition_implILS8_3ELb0ES6_jNS0_17counting_iteratorIjlEEPS9_SE_NS0_5tupleIJPjSE_EEENSF_IJSE_SE_EEES9_SG_JZNS1_25segmented_radix_sort_implINS0_14default_configELb0EPKlPlSM_SN_N2at6native12_GLOBAL__N_18offset_tEEE10hipError_tPvRmT1_PNSt15iterator_traitsISV_E10value_typeET2_T3_PNSW_IS11_E10value_typeET4_jRbjT5_S17_jjP12ihipStream_tbEUljE_EEESS_ST_SU_S11_S15_S17_T6_T7_T9_mT8_S19_bDpT10_ENKUlT_T0_E_clISt17integral_constantIbLb1EES1L_IbLb0EEEEDaS1H_S1I_EUlS1H_E_NS1_11comp_targetILNS1_3genE9ELNS1_11target_archE1100ELNS1_3gpuE3ELNS1_3repE0EEENS1_30default_config_static_selectorELNS0_4arch9wavefront6targetE0EEEvSV_
                                        ; -- End function
	.set _ZN7rocprim17ROCPRIM_400000_NS6detail17trampoline_kernelINS0_13select_configILj256ELj13ELNS0_17block_load_methodE3ELS4_3ELS4_3ELNS0_20block_scan_algorithmE0ELj4294967295EEENS1_25partition_config_selectorILNS1_17partition_subalgoE3EjNS0_10empty_typeEbEEZZNS1_14partition_implILS8_3ELb0ES6_jNS0_17counting_iteratorIjlEEPS9_SE_NS0_5tupleIJPjSE_EEENSF_IJSE_SE_EEES9_SG_JZNS1_25segmented_radix_sort_implINS0_14default_configELb0EPKlPlSM_SN_N2at6native12_GLOBAL__N_18offset_tEEE10hipError_tPvRmT1_PNSt15iterator_traitsISV_E10value_typeET2_T3_PNSW_IS11_E10value_typeET4_jRbjT5_S17_jjP12ihipStream_tbEUljE_EEESS_ST_SU_S11_S15_S17_T6_T7_T9_mT8_S19_bDpT10_ENKUlT_T0_E_clISt17integral_constantIbLb1EES1L_IbLb0EEEEDaS1H_S1I_EUlS1H_E_NS1_11comp_targetILNS1_3genE9ELNS1_11target_archE1100ELNS1_3gpuE3ELNS1_3repE0EEENS1_30default_config_static_selectorELNS0_4arch9wavefront6targetE0EEEvSV_.num_vgpr, 0
	.set _ZN7rocprim17ROCPRIM_400000_NS6detail17trampoline_kernelINS0_13select_configILj256ELj13ELNS0_17block_load_methodE3ELS4_3ELS4_3ELNS0_20block_scan_algorithmE0ELj4294967295EEENS1_25partition_config_selectorILNS1_17partition_subalgoE3EjNS0_10empty_typeEbEEZZNS1_14partition_implILS8_3ELb0ES6_jNS0_17counting_iteratorIjlEEPS9_SE_NS0_5tupleIJPjSE_EEENSF_IJSE_SE_EEES9_SG_JZNS1_25segmented_radix_sort_implINS0_14default_configELb0EPKlPlSM_SN_N2at6native12_GLOBAL__N_18offset_tEEE10hipError_tPvRmT1_PNSt15iterator_traitsISV_E10value_typeET2_T3_PNSW_IS11_E10value_typeET4_jRbjT5_S17_jjP12ihipStream_tbEUljE_EEESS_ST_SU_S11_S15_S17_T6_T7_T9_mT8_S19_bDpT10_ENKUlT_T0_E_clISt17integral_constantIbLb1EES1L_IbLb0EEEEDaS1H_S1I_EUlS1H_E_NS1_11comp_targetILNS1_3genE9ELNS1_11target_archE1100ELNS1_3gpuE3ELNS1_3repE0EEENS1_30default_config_static_selectorELNS0_4arch9wavefront6targetE0EEEvSV_.num_agpr, 0
	.set _ZN7rocprim17ROCPRIM_400000_NS6detail17trampoline_kernelINS0_13select_configILj256ELj13ELNS0_17block_load_methodE3ELS4_3ELS4_3ELNS0_20block_scan_algorithmE0ELj4294967295EEENS1_25partition_config_selectorILNS1_17partition_subalgoE3EjNS0_10empty_typeEbEEZZNS1_14partition_implILS8_3ELb0ES6_jNS0_17counting_iteratorIjlEEPS9_SE_NS0_5tupleIJPjSE_EEENSF_IJSE_SE_EEES9_SG_JZNS1_25segmented_radix_sort_implINS0_14default_configELb0EPKlPlSM_SN_N2at6native12_GLOBAL__N_18offset_tEEE10hipError_tPvRmT1_PNSt15iterator_traitsISV_E10value_typeET2_T3_PNSW_IS11_E10value_typeET4_jRbjT5_S17_jjP12ihipStream_tbEUljE_EEESS_ST_SU_S11_S15_S17_T6_T7_T9_mT8_S19_bDpT10_ENKUlT_T0_E_clISt17integral_constantIbLb1EES1L_IbLb0EEEEDaS1H_S1I_EUlS1H_E_NS1_11comp_targetILNS1_3genE9ELNS1_11target_archE1100ELNS1_3gpuE3ELNS1_3repE0EEENS1_30default_config_static_selectorELNS0_4arch9wavefront6targetE0EEEvSV_.numbered_sgpr, 0
	.set _ZN7rocprim17ROCPRIM_400000_NS6detail17trampoline_kernelINS0_13select_configILj256ELj13ELNS0_17block_load_methodE3ELS4_3ELS4_3ELNS0_20block_scan_algorithmE0ELj4294967295EEENS1_25partition_config_selectorILNS1_17partition_subalgoE3EjNS0_10empty_typeEbEEZZNS1_14partition_implILS8_3ELb0ES6_jNS0_17counting_iteratorIjlEEPS9_SE_NS0_5tupleIJPjSE_EEENSF_IJSE_SE_EEES9_SG_JZNS1_25segmented_radix_sort_implINS0_14default_configELb0EPKlPlSM_SN_N2at6native12_GLOBAL__N_18offset_tEEE10hipError_tPvRmT1_PNSt15iterator_traitsISV_E10value_typeET2_T3_PNSW_IS11_E10value_typeET4_jRbjT5_S17_jjP12ihipStream_tbEUljE_EEESS_ST_SU_S11_S15_S17_T6_T7_T9_mT8_S19_bDpT10_ENKUlT_T0_E_clISt17integral_constantIbLb1EES1L_IbLb0EEEEDaS1H_S1I_EUlS1H_E_NS1_11comp_targetILNS1_3genE9ELNS1_11target_archE1100ELNS1_3gpuE3ELNS1_3repE0EEENS1_30default_config_static_selectorELNS0_4arch9wavefront6targetE0EEEvSV_.num_named_barrier, 0
	.set _ZN7rocprim17ROCPRIM_400000_NS6detail17trampoline_kernelINS0_13select_configILj256ELj13ELNS0_17block_load_methodE3ELS4_3ELS4_3ELNS0_20block_scan_algorithmE0ELj4294967295EEENS1_25partition_config_selectorILNS1_17partition_subalgoE3EjNS0_10empty_typeEbEEZZNS1_14partition_implILS8_3ELb0ES6_jNS0_17counting_iteratorIjlEEPS9_SE_NS0_5tupleIJPjSE_EEENSF_IJSE_SE_EEES9_SG_JZNS1_25segmented_radix_sort_implINS0_14default_configELb0EPKlPlSM_SN_N2at6native12_GLOBAL__N_18offset_tEEE10hipError_tPvRmT1_PNSt15iterator_traitsISV_E10value_typeET2_T3_PNSW_IS11_E10value_typeET4_jRbjT5_S17_jjP12ihipStream_tbEUljE_EEESS_ST_SU_S11_S15_S17_T6_T7_T9_mT8_S19_bDpT10_ENKUlT_T0_E_clISt17integral_constantIbLb1EES1L_IbLb0EEEEDaS1H_S1I_EUlS1H_E_NS1_11comp_targetILNS1_3genE9ELNS1_11target_archE1100ELNS1_3gpuE3ELNS1_3repE0EEENS1_30default_config_static_selectorELNS0_4arch9wavefront6targetE0EEEvSV_.private_seg_size, 0
	.set _ZN7rocprim17ROCPRIM_400000_NS6detail17trampoline_kernelINS0_13select_configILj256ELj13ELNS0_17block_load_methodE3ELS4_3ELS4_3ELNS0_20block_scan_algorithmE0ELj4294967295EEENS1_25partition_config_selectorILNS1_17partition_subalgoE3EjNS0_10empty_typeEbEEZZNS1_14partition_implILS8_3ELb0ES6_jNS0_17counting_iteratorIjlEEPS9_SE_NS0_5tupleIJPjSE_EEENSF_IJSE_SE_EEES9_SG_JZNS1_25segmented_radix_sort_implINS0_14default_configELb0EPKlPlSM_SN_N2at6native12_GLOBAL__N_18offset_tEEE10hipError_tPvRmT1_PNSt15iterator_traitsISV_E10value_typeET2_T3_PNSW_IS11_E10value_typeET4_jRbjT5_S17_jjP12ihipStream_tbEUljE_EEESS_ST_SU_S11_S15_S17_T6_T7_T9_mT8_S19_bDpT10_ENKUlT_T0_E_clISt17integral_constantIbLb1EES1L_IbLb0EEEEDaS1H_S1I_EUlS1H_E_NS1_11comp_targetILNS1_3genE9ELNS1_11target_archE1100ELNS1_3gpuE3ELNS1_3repE0EEENS1_30default_config_static_selectorELNS0_4arch9wavefront6targetE0EEEvSV_.uses_vcc, 0
	.set _ZN7rocprim17ROCPRIM_400000_NS6detail17trampoline_kernelINS0_13select_configILj256ELj13ELNS0_17block_load_methodE3ELS4_3ELS4_3ELNS0_20block_scan_algorithmE0ELj4294967295EEENS1_25partition_config_selectorILNS1_17partition_subalgoE3EjNS0_10empty_typeEbEEZZNS1_14partition_implILS8_3ELb0ES6_jNS0_17counting_iteratorIjlEEPS9_SE_NS0_5tupleIJPjSE_EEENSF_IJSE_SE_EEES9_SG_JZNS1_25segmented_radix_sort_implINS0_14default_configELb0EPKlPlSM_SN_N2at6native12_GLOBAL__N_18offset_tEEE10hipError_tPvRmT1_PNSt15iterator_traitsISV_E10value_typeET2_T3_PNSW_IS11_E10value_typeET4_jRbjT5_S17_jjP12ihipStream_tbEUljE_EEESS_ST_SU_S11_S15_S17_T6_T7_T9_mT8_S19_bDpT10_ENKUlT_T0_E_clISt17integral_constantIbLb1EES1L_IbLb0EEEEDaS1H_S1I_EUlS1H_E_NS1_11comp_targetILNS1_3genE9ELNS1_11target_archE1100ELNS1_3gpuE3ELNS1_3repE0EEENS1_30default_config_static_selectorELNS0_4arch9wavefront6targetE0EEEvSV_.uses_flat_scratch, 0
	.set _ZN7rocprim17ROCPRIM_400000_NS6detail17trampoline_kernelINS0_13select_configILj256ELj13ELNS0_17block_load_methodE3ELS4_3ELS4_3ELNS0_20block_scan_algorithmE0ELj4294967295EEENS1_25partition_config_selectorILNS1_17partition_subalgoE3EjNS0_10empty_typeEbEEZZNS1_14partition_implILS8_3ELb0ES6_jNS0_17counting_iteratorIjlEEPS9_SE_NS0_5tupleIJPjSE_EEENSF_IJSE_SE_EEES9_SG_JZNS1_25segmented_radix_sort_implINS0_14default_configELb0EPKlPlSM_SN_N2at6native12_GLOBAL__N_18offset_tEEE10hipError_tPvRmT1_PNSt15iterator_traitsISV_E10value_typeET2_T3_PNSW_IS11_E10value_typeET4_jRbjT5_S17_jjP12ihipStream_tbEUljE_EEESS_ST_SU_S11_S15_S17_T6_T7_T9_mT8_S19_bDpT10_ENKUlT_T0_E_clISt17integral_constantIbLb1EES1L_IbLb0EEEEDaS1H_S1I_EUlS1H_E_NS1_11comp_targetILNS1_3genE9ELNS1_11target_archE1100ELNS1_3gpuE3ELNS1_3repE0EEENS1_30default_config_static_selectorELNS0_4arch9wavefront6targetE0EEEvSV_.has_dyn_sized_stack, 0
	.set _ZN7rocprim17ROCPRIM_400000_NS6detail17trampoline_kernelINS0_13select_configILj256ELj13ELNS0_17block_load_methodE3ELS4_3ELS4_3ELNS0_20block_scan_algorithmE0ELj4294967295EEENS1_25partition_config_selectorILNS1_17partition_subalgoE3EjNS0_10empty_typeEbEEZZNS1_14partition_implILS8_3ELb0ES6_jNS0_17counting_iteratorIjlEEPS9_SE_NS0_5tupleIJPjSE_EEENSF_IJSE_SE_EEES9_SG_JZNS1_25segmented_radix_sort_implINS0_14default_configELb0EPKlPlSM_SN_N2at6native12_GLOBAL__N_18offset_tEEE10hipError_tPvRmT1_PNSt15iterator_traitsISV_E10value_typeET2_T3_PNSW_IS11_E10value_typeET4_jRbjT5_S17_jjP12ihipStream_tbEUljE_EEESS_ST_SU_S11_S15_S17_T6_T7_T9_mT8_S19_bDpT10_ENKUlT_T0_E_clISt17integral_constantIbLb1EES1L_IbLb0EEEEDaS1H_S1I_EUlS1H_E_NS1_11comp_targetILNS1_3genE9ELNS1_11target_archE1100ELNS1_3gpuE3ELNS1_3repE0EEENS1_30default_config_static_selectorELNS0_4arch9wavefront6targetE0EEEvSV_.has_recursion, 0
	.set _ZN7rocprim17ROCPRIM_400000_NS6detail17trampoline_kernelINS0_13select_configILj256ELj13ELNS0_17block_load_methodE3ELS4_3ELS4_3ELNS0_20block_scan_algorithmE0ELj4294967295EEENS1_25partition_config_selectorILNS1_17partition_subalgoE3EjNS0_10empty_typeEbEEZZNS1_14partition_implILS8_3ELb0ES6_jNS0_17counting_iteratorIjlEEPS9_SE_NS0_5tupleIJPjSE_EEENSF_IJSE_SE_EEES9_SG_JZNS1_25segmented_radix_sort_implINS0_14default_configELb0EPKlPlSM_SN_N2at6native12_GLOBAL__N_18offset_tEEE10hipError_tPvRmT1_PNSt15iterator_traitsISV_E10value_typeET2_T3_PNSW_IS11_E10value_typeET4_jRbjT5_S17_jjP12ihipStream_tbEUljE_EEESS_ST_SU_S11_S15_S17_T6_T7_T9_mT8_S19_bDpT10_ENKUlT_T0_E_clISt17integral_constantIbLb1EES1L_IbLb0EEEEDaS1H_S1I_EUlS1H_E_NS1_11comp_targetILNS1_3genE9ELNS1_11target_archE1100ELNS1_3gpuE3ELNS1_3repE0EEENS1_30default_config_static_selectorELNS0_4arch9wavefront6targetE0EEEvSV_.has_indirect_call, 0
	.section	.AMDGPU.csdata,"",@progbits
; Kernel info:
; codeLenInByte = 0
; TotalNumSgprs: 0
; NumVgprs: 0
; ScratchSize: 0
; MemoryBound: 0
; FloatMode: 240
; IeeeMode: 1
; LDSByteSize: 0 bytes/workgroup (compile time only)
; SGPRBlocks: 0
; VGPRBlocks: 0
; NumSGPRsForWavesPerEU: 1
; NumVGPRsForWavesPerEU: 1
; Occupancy: 16
; WaveLimiterHint : 0
; COMPUTE_PGM_RSRC2:SCRATCH_EN: 0
; COMPUTE_PGM_RSRC2:USER_SGPR: 6
; COMPUTE_PGM_RSRC2:TRAP_HANDLER: 0
; COMPUTE_PGM_RSRC2:TGID_X_EN: 1
; COMPUTE_PGM_RSRC2:TGID_Y_EN: 0
; COMPUTE_PGM_RSRC2:TGID_Z_EN: 0
; COMPUTE_PGM_RSRC2:TIDIG_COMP_CNT: 0
	.section	.text._ZN7rocprim17ROCPRIM_400000_NS6detail17trampoline_kernelINS0_13select_configILj256ELj13ELNS0_17block_load_methodE3ELS4_3ELS4_3ELNS0_20block_scan_algorithmE0ELj4294967295EEENS1_25partition_config_selectorILNS1_17partition_subalgoE3EjNS0_10empty_typeEbEEZZNS1_14partition_implILS8_3ELb0ES6_jNS0_17counting_iteratorIjlEEPS9_SE_NS0_5tupleIJPjSE_EEENSF_IJSE_SE_EEES9_SG_JZNS1_25segmented_radix_sort_implINS0_14default_configELb0EPKlPlSM_SN_N2at6native12_GLOBAL__N_18offset_tEEE10hipError_tPvRmT1_PNSt15iterator_traitsISV_E10value_typeET2_T3_PNSW_IS11_E10value_typeET4_jRbjT5_S17_jjP12ihipStream_tbEUljE_EEESS_ST_SU_S11_S15_S17_T6_T7_T9_mT8_S19_bDpT10_ENKUlT_T0_E_clISt17integral_constantIbLb1EES1L_IbLb0EEEEDaS1H_S1I_EUlS1H_E_NS1_11comp_targetILNS1_3genE8ELNS1_11target_archE1030ELNS1_3gpuE2ELNS1_3repE0EEENS1_30default_config_static_selectorELNS0_4arch9wavefront6targetE0EEEvSV_,"axG",@progbits,_ZN7rocprim17ROCPRIM_400000_NS6detail17trampoline_kernelINS0_13select_configILj256ELj13ELNS0_17block_load_methodE3ELS4_3ELS4_3ELNS0_20block_scan_algorithmE0ELj4294967295EEENS1_25partition_config_selectorILNS1_17partition_subalgoE3EjNS0_10empty_typeEbEEZZNS1_14partition_implILS8_3ELb0ES6_jNS0_17counting_iteratorIjlEEPS9_SE_NS0_5tupleIJPjSE_EEENSF_IJSE_SE_EEES9_SG_JZNS1_25segmented_radix_sort_implINS0_14default_configELb0EPKlPlSM_SN_N2at6native12_GLOBAL__N_18offset_tEEE10hipError_tPvRmT1_PNSt15iterator_traitsISV_E10value_typeET2_T3_PNSW_IS11_E10value_typeET4_jRbjT5_S17_jjP12ihipStream_tbEUljE_EEESS_ST_SU_S11_S15_S17_T6_T7_T9_mT8_S19_bDpT10_ENKUlT_T0_E_clISt17integral_constantIbLb1EES1L_IbLb0EEEEDaS1H_S1I_EUlS1H_E_NS1_11comp_targetILNS1_3genE8ELNS1_11target_archE1030ELNS1_3gpuE2ELNS1_3repE0EEENS1_30default_config_static_selectorELNS0_4arch9wavefront6targetE0EEEvSV_,comdat
	.globl	_ZN7rocprim17ROCPRIM_400000_NS6detail17trampoline_kernelINS0_13select_configILj256ELj13ELNS0_17block_load_methodE3ELS4_3ELS4_3ELNS0_20block_scan_algorithmE0ELj4294967295EEENS1_25partition_config_selectorILNS1_17partition_subalgoE3EjNS0_10empty_typeEbEEZZNS1_14partition_implILS8_3ELb0ES6_jNS0_17counting_iteratorIjlEEPS9_SE_NS0_5tupleIJPjSE_EEENSF_IJSE_SE_EEES9_SG_JZNS1_25segmented_radix_sort_implINS0_14default_configELb0EPKlPlSM_SN_N2at6native12_GLOBAL__N_18offset_tEEE10hipError_tPvRmT1_PNSt15iterator_traitsISV_E10value_typeET2_T3_PNSW_IS11_E10value_typeET4_jRbjT5_S17_jjP12ihipStream_tbEUljE_EEESS_ST_SU_S11_S15_S17_T6_T7_T9_mT8_S19_bDpT10_ENKUlT_T0_E_clISt17integral_constantIbLb1EES1L_IbLb0EEEEDaS1H_S1I_EUlS1H_E_NS1_11comp_targetILNS1_3genE8ELNS1_11target_archE1030ELNS1_3gpuE2ELNS1_3repE0EEENS1_30default_config_static_selectorELNS0_4arch9wavefront6targetE0EEEvSV_ ; -- Begin function _ZN7rocprim17ROCPRIM_400000_NS6detail17trampoline_kernelINS0_13select_configILj256ELj13ELNS0_17block_load_methodE3ELS4_3ELS4_3ELNS0_20block_scan_algorithmE0ELj4294967295EEENS1_25partition_config_selectorILNS1_17partition_subalgoE3EjNS0_10empty_typeEbEEZZNS1_14partition_implILS8_3ELb0ES6_jNS0_17counting_iteratorIjlEEPS9_SE_NS0_5tupleIJPjSE_EEENSF_IJSE_SE_EEES9_SG_JZNS1_25segmented_radix_sort_implINS0_14default_configELb0EPKlPlSM_SN_N2at6native12_GLOBAL__N_18offset_tEEE10hipError_tPvRmT1_PNSt15iterator_traitsISV_E10value_typeET2_T3_PNSW_IS11_E10value_typeET4_jRbjT5_S17_jjP12ihipStream_tbEUljE_EEESS_ST_SU_S11_S15_S17_T6_T7_T9_mT8_S19_bDpT10_ENKUlT_T0_E_clISt17integral_constantIbLb1EES1L_IbLb0EEEEDaS1H_S1I_EUlS1H_E_NS1_11comp_targetILNS1_3genE8ELNS1_11target_archE1030ELNS1_3gpuE2ELNS1_3repE0EEENS1_30default_config_static_selectorELNS0_4arch9wavefront6targetE0EEEvSV_
	.p2align	8
	.type	_ZN7rocprim17ROCPRIM_400000_NS6detail17trampoline_kernelINS0_13select_configILj256ELj13ELNS0_17block_load_methodE3ELS4_3ELS4_3ELNS0_20block_scan_algorithmE0ELj4294967295EEENS1_25partition_config_selectorILNS1_17partition_subalgoE3EjNS0_10empty_typeEbEEZZNS1_14partition_implILS8_3ELb0ES6_jNS0_17counting_iteratorIjlEEPS9_SE_NS0_5tupleIJPjSE_EEENSF_IJSE_SE_EEES9_SG_JZNS1_25segmented_radix_sort_implINS0_14default_configELb0EPKlPlSM_SN_N2at6native12_GLOBAL__N_18offset_tEEE10hipError_tPvRmT1_PNSt15iterator_traitsISV_E10value_typeET2_T3_PNSW_IS11_E10value_typeET4_jRbjT5_S17_jjP12ihipStream_tbEUljE_EEESS_ST_SU_S11_S15_S17_T6_T7_T9_mT8_S19_bDpT10_ENKUlT_T0_E_clISt17integral_constantIbLb1EES1L_IbLb0EEEEDaS1H_S1I_EUlS1H_E_NS1_11comp_targetILNS1_3genE8ELNS1_11target_archE1030ELNS1_3gpuE2ELNS1_3repE0EEENS1_30default_config_static_selectorELNS0_4arch9wavefront6targetE0EEEvSV_,@function
_ZN7rocprim17ROCPRIM_400000_NS6detail17trampoline_kernelINS0_13select_configILj256ELj13ELNS0_17block_load_methodE3ELS4_3ELS4_3ELNS0_20block_scan_algorithmE0ELj4294967295EEENS1_25partition_config_selectorILNS1_17partition_subalgoE3EjNS0_10empty_typeEbEEZZNS1_14partition_implILS8_3ELb0ES6_jNS0_17counting_iteratorIjlEEPS9_SE_NS0_5tupleIJPjSE_EEENSF_IJSE_SE_EEES9_SG_JZNS1_25segmented_radix_sort_implINS0_14default_configELb0EPKlPlSM_SN_N2at6native12_GLOBAL__N_18offset_tEEE10hipError_tPvRmT1_PNSt15iterator_traitsISV_E10value_typeET2_T3_PNSW_IS11_E10value_typeET4_jRbjT5_S17_jjP12ihipStream_tbEUljE_EEESS_ST_SU_S11_S15_S17_T6_T7_T9_mT8_S19_bDpT10_ENKUlT_T0_E_clISt17integral_constantIbLb1EES1L_IbLb0EEEEDaS1H_S1I_EUlS1H_E_NS1_11comp_targetILNS1_3genE8ELNS1_11target_archE1030ELNS1_3gpuE2ELNS1_3repE0EEENS1_30default_config_static_selectorELNS0_4arch9wavefront6targetE0EEEvSV_: ; @_ZN7rocprim17ROCPRIM_400000_NS6detail17trampoline_kernelINS0_13select_configILj256ELj13ELNS0_17block_load_methodE3ELS4_3ELS4_3ELNS0_20block_scan_algorithmE0ELj4294967295EEENS1_25partition_config_selectorILNS1_17partition_subalgoE3EjNS0_10empty_typeEbEEZZNS1_14partition_implILS8_3ELb0ES6_jNS0_17counting_iteratorIjlEEPS9_SE_NS0_5tupleIJPjSE_EEENSF_IJSE_SE_EEES9_SG_JZNS1_25segmented_radix_sort_implINS0_14default_configELb0EPKlPlSM_SN_N2at6native12_GLOBAL__N_18offset_tEEE10hipError_tPvRmT1_PNSt15iterator_traitsISV_E10value_typeET2_T3_PNSW_IS11_E10value_typeET4_jRbjT5_S17_jjP12ihipStream_tbEUljE_EEESS_ST_SU_S11_S15_S17_T6_T7_T9_mT8_S19_bDpT10_ENKUlT_T0_E_clISt17integral_constantIbLb1EES1L_IbLb0EEEEDaS1H_S1I_EUlS1H_E_NS1_11comp_targetILNS1_3genE8ELNS1_11target_archE1030ELNS1_3gpuE2ELNS1_3repE0EEENS1_30default_config_static_selectorELNS0_4arch9wavefront6targetE0EEEvSV_
; %bb.0:
	s_endpgm
	.section	.rodata,"a",@progbits
	.p2align	6, 0x0
	.amdhsa_kernel _ZN7rocprim17ROCPRIM_400000_NS6detail17trampoline_kernelINS0_13select_configILj256ELj13ELNS0_17block_load_methodE3ELS4_3ELS4_3ELNS0_20block_scan_algorithmE0ELj4294967295EEENS1_25partition_config_selectorILNS1_17partition_subalgoE3EjNS0_10empty_typeEbEEZZNS1_14partition_implILS8_3ELb0ES6_jNS0_17counting_iteratorIjlEEPS9_SE_NS0_5tupleIJPjSE_EEENSF_IJSE_SE_EEES9_SG_JZNS1_25segmented_radix_sort_implINS0_14default_configELb0EPKlPlSM_SN_N2at6native12_GLOBAL__N_18offset_tEEE10hipError_tPvRmT1_PNSt15iterator_traitsISV_E10value_typeET2_T3_PNSW_IS11_E10value_typeET4_jRbjT5_S17_jjP12ihipStream_tbEUljE_EEESS_ST_SU_S11_S15_S17_T6_T7_T9_mT8_S19_bDpT10_ENKUlT_T0_E_clISt17integral_constantIbLb1EES1L_IbLb0EEEEDaS1H_S1I_EUlS1H_E_NS1_11comp_targetILNS1_3genE8ELNS1_11target_archE1030ELNS1_3gpuE2ELNS1_3repE0EEENS1_30default_config_static_selectorELNS0_4arch9wavefront6targetE0EEEvSV_
		.amdhsa_group_segment_fixed_size 0
		.amdhsa_private_segment_fixed_size 0
		.amdhsa_kernarg_size 144
		.amdhsa_user_sgpr_count 6
		.amdhsa_user_sgpr_private_segment_buffer 1
		.amdhsa_user_sgpr_dispatch_ptr 0
		.amdhsa_user_sgpr_queue_ptr 0
		.amdhsa_user_sgpr_kernarg_segment_ptr 1
		.amdhsa_user_sgpr_dispatch_id 0
		.amdhsa_user_sgpr_flat_scratch_init 0
		.amdhsa_user_sgpr_private_segment_size 0
		.amdhsa_wavefront_size32 1
		.amdhsa_uses_dynamic_stack 0
		.amdhsa_system_sgpr_private_segment_wavefront_offset 0
		.amdhsa_system_sgpr_workgroup_id_x 1
		.amdhsa_system_sgpr_workgroup_id_y 0
		.amdhsa_system_sgpr_workgroup_id_z 0
		.amdhsa_system_sgpr_workgroup_info 0
		.amdhsa_system_vgpr_workitem_id 0
		.amdhsa_next_free_vgpr 1
		.amdhsa_next_free_sgpr 1
		.amdhsa_reserve_vcc 0
		.amdhsa_reserve_flat_scratch 0
		.amdhsa_float_round_mode_32 0
		.amdhsa_float_round_mode_16_64 0
		.amdhsa_float_denorm_mode_32 3
		.amdhsa_float_denorm_mode_16_64 3
		.amdhsa_dx10_clamp 1
		.amdhsa_ieee_mode 1
		.amdhsa_fp16_overflow 0
		.amdhsa_workgroup_processor_mode 1
		.amdhsa_memory_ordered 1
		.amdhsa_forward_progress 1
		.amdhsa_shared_vgpr_count 0
		.amdhsa_exception_fp_ieee_invalid_op 0
		.amdhsa_exception_fp_denorm_src 0
		.amdhsa_exception_fp_ieee_div_zero 0
		.amdhsa_exception_fp_ieee_overflow 0
		.amdhsa_exception_fp_ieee_underflow 0
		.amdhsa_exception_fp_ieee_inexact 0
		.amdhsa_exception_int_div_zero 0
	.end_amdhsa_kernel
	.section	.text._ZN7rocprim17ROCPRIM_400000_NS6detail17trampoline_kernelINS0_13select_configILj256ELj13ELNS0_17block_load_methodE3ELS4_3ELS4_3ELNS0_20block_scan_algorithmE0ELj4294967295EEENS1_25partition_config_selectorILNS1_17partition_subalgoE3EjNS0_10empty_typeEbEEZZNS1_14partition_implILS8_3ELb0ES6_jNS0_17counting_iteratorIjlEEPS9_SE_NS0_5tupleIJPjSE_EEENSF_IJSE_SE_EEES9_SG_JZNS1_25segmented_radix_sort_implINS0_14default_configELb0EPKlPlSM_SN_N2at6native12_GLOBAL__N_18offset_tEEE10hipError_tPvRmT1_PNSt15iterator_traitsISV_E10value_typeET2_T3_PNSW_IS11_E10value_typeET4_jRbjT5_S17_jjP12ihipStream_tbEUljE_EEESS_ST_SU_S11_S15_S17_T6_T7_T9_mT8_S19_bDpT10_ENKUlT_T0_E_clISt17integral_constantIbLb1EES1L_IbLb0EEEEDaS1H_S1I_EUlS1H_E_NS1_11comp_targetILNS1_3genE8ELNS1_11target_archE1030ELNS1_3gpuE2ELNS1_3repE0EEENS1_30default_config_static_selectorELNS0_4arch9wavefront6targetE0EEEvSV_,"axG",@progbits,_ZN7rocprim17ROCPRIM_400000_NS6detail17trampoline_kernelINS0_13select_configILj256ELj13ELNS0_17block_load_methodE3ELS4_3ELS4_3ELNS0_20block_scan_algorithmE0ELj4294967295EEENS1_25partition_config_selectorILNS1_17partition_subalgoE3EjNS0_10empty_typeEbEEZZNS1_14partition_implILS8_3ELb0ES6_jNS0_17counting_iteratorIjlEEPS9_SE_NS0_5tupleIJPjSE_EEENSF_IJSE_SE_EEES9_SG_JZNS1_25segmented_radix_sort_implINS0_14default_configELb0EPKlPlSM_SN_N2at6native12_GLOBAL__N_18offset_tEEE10hipError_tPvRmT1_PNSt15iterator_traitsISV_E10value_typeET2_T3_PNSW_IS11_E10value_typeET4_jRbjT5_S17_jjP12ihipStream_tbEUljE_EEESS_ST_SU_S11_S15_S17_T6_T7_T9_mT8_S19_bDpT10_ENKUlT_T0_E_clISt17integral_constantIbLb1EES1L_IbLb0EEEEDaS1H_S1I_EUlS1H_E_NS1_11comp_targetILNS1_3genE8ELNS1_11target_archE1030ELNS1_3gpuE2ELNS1_3repE0EEENS1_30default_config_static_selectorELNS0_4arch9wavefront6targetE0EEEvSV_,comdat
.Lfunc_end792:
	.size	_ZN7rocprim17ROCPRIM_400000_NS6detail17trampoline_kernelINS0_13select_configILj256ELj13ELNS0_17block_load_methodE3ELS4_3ELS4_3ELNS0_20block_scan_algorithmE0ELj4294967295EEENS1_25partition_config_selectorILNS1_17partition_subalgoE3EjNS0_10empty_typeEbEEZZNS1_14partition_implILS8_3ELb0ES6_jNS0_17counting_iteratorIjlEEPS9_SE_NS0_5tupleIJPjSE_EEENSF_IJSE_SE_EEES9_SG_JZNS1_25segmented_radix_sort_implINS0_14default_configELb0EPKlPlSM_SN_N2at6native12_GLOBAL__N_18offset_tEEE10hipError_tPvRmT1_PNSt15iterator_traitsISV_E10value_typeET2_T3_PNSW_IS11_E10value_typeET4_jRbjT5_S17_jjP12ihipStream_tbEUljE_EEESS_ST_SU_S11_S15_S17_T6_T7_T9_mT8_S19_bDpT10_ENKUlT_T0_E_clISt17integral_constantIbLb1EES1L_IbLb0EEEEDaS1H_S1I_EUlS1H_E_NS1_11comp_targetILNS1_3genE8ELNS1_11target_archE1030ELNS1_3gpuE2ELNS1_3repE0EEENS1_30default_config_static_selectorELNS0_4arch9wavefront6targetE0EEEvSV_, .Lfunc_end792-_ZN7rocprim17ROCPRIM_400000_NS6detail17trampoline_kernelINS0_13select_configILj256ELj13ELNS0_17block_load_methodE3ELS4_3ELS4_3ELNS0_20block_scan_algorithmE0ELj4294967295EEENS1_25partition_config_selectorILNS1_17partition_subalgoE3EjNS0_10empty_typeEbEEZZNS1_14partition_implILS8_3ELb0ES6_jNS0_17counting_iteratorIjlEEPS9_SE_NS0_5tupleIJPjSE_EEENSF_IJSE_SE_EEES9_SG_JZNS1_25segmented_radix_sort_implINS0_14default_configELb0EPKlPlSM_SN_N2at6native12_GLOBAL__N_18offset_tEEE10hipError_tPvRmT1_PNSt15iterator_traitsISV_E10value_typeET2_T3_PNSW_IS11_E10value_typeET4_jRbjT5_S17_jjP12ihipStream_tbEUljE_EEESS_ST_SU_S11_S15_S17_T6_T7_T9_mT8_S19_bDpT10_ENKUlT_T0_E_clISt17integral_constantIbLb1EES1L_IbLb0EEEEDaS1H_S1I_EUlS1H_E_NS1_11comp_targetILNS1_3genE8ELNS1_11target_archE1030ELNS1_3gpuE2ELNS1_3repE0EEENS1_30default_config_static_selectorELNS0_4arch9wavefront6targetE0EEEvSV_
                                        ; -- End function
	.set _ZN7rocprim17ROCPRIM_400000_NS6detail17trampoline_kernelINS0_13select_configILj256ELj13ELNS0_17block_load_methodE3ELS4_3ELS4_3ELNS0_20block_scan_algorithmE0ELj4294967295EEENS1_25partition_config_selectorILNS1_17partition_subalgoE3EjNS0_10empty_typeEbEEZZNS1_14partition_implILS8_3ELb0ES6_jNS0_17counting_iteratorIjlEEPS9_SE_NS0_5tupleIJPjSE_EEENSF_IJSE_SE_EEES9_SG_JZNS1_25segmented_radix_sort_implINS0_14default_configELb0EPKlPlSM_SN_N2at6native12_GLOBAL__N_18offset_tEEE10hipError_tPvRmT1_PNSt15iterator_traitsISV_E10value_typeET2_T3_PNSW_IS11_E10value_typeET4_jRbjT5_S17_jjP12ihipStream_tbEUljE_EEESS_ST_SU_S11_S15_S17_T6_T7_T9_mT8_S19_bDpT10_ENKUlT_T0_E_clISt17integral_constantIbLb1EES1L_IbLb0EEEEDaS1H_S1I_EUlS1H_E_NS1_11comp_targetILNS1_3genE8ELNS1_11target_archE1030ELNS1_3gpuE2ELNS1_3repE0EEENS1_30default_config_static_selectorELNS0_4arch9wavefront6targetE0EEEvSV_.num_vgpr, 0
	.set _ZN7rocprim17ROCPRIM_400000_NS6detail17trampoline_kernelINS0_13select_configILj256ELj13ELNS0_17block_load_methodE3ELS4_3ELS4_3ELNS0_20block_scan_algorithmE0ELj4294967295EEENS1_25partition_config_selectorILNS1_17partition_subalgoE3EjNS0_10empty_typeEbEEZZNS1_14partition_implILS8_3ELb0ES6_jNS0_17counting_iteratorIjlEEPS9_SE_NS0_5tupleIJPjSE_EEENSF_IJSE_SE_EEES9_SG_JZNS1_25segmented_radix_sort_implINS0_14default_configELb0EPKlPlSM_SN_N2at6native12_GLOBAL__N_18offset_tEEE10hipError_tPvRmT1_PNSt15iterator_traitsISV_E10value_typeET2_T3_PNSW_IS11_E10value_typeET4_jRbjT5_S17_jjP12ihipStream_tbEUljE_EEESS_ST_SU_S11_S15_S17_T6_T7_T9_mT8_S19_bDpT10_ENKUlT_T0_E_clISt17integral_constantIbLb1EES1L_IbLb0EEEEDaS1H_S1I_EUlS1H_E_NS1_11comp_targetILNS1_3genE8ELNS1_11target_archE1030ELNS1_3gpuE2ELNS1_3repE0EEENS1_30default_config_static_selectorELNS0_4arch9wavefront6targetE0EEEvSV_.num_agpr, 0
	.set _ZN7rocprim17ROCPRIM_400000_NS6detail17trampoline_kernelINS0_13select_configILj256ELj13ELNS0_17block_load_methodE3ELS4_3ELS4_3ELNS0_20block_scan_algorithmE0ELj4294967295EEENS1_25partition_config_selectorILNS1_17partition_subalgoE3EjNS0_10empty_typeEbEEZZNS1_14partition_implILS8_3ELb0ES6_jNS0_17counting_iteratorIjlEEPS9_SE_NS0_5tupleIJPjSE_EEENSF_IJSE_SE_EEES9_SG_JZNS1_25segmented_radix_sort_implINS0_14default_configELb0EPKlPlSM_SN_N2at6native12_GLOBAL__N_18offset_tEEE10hipError_tPvRmT1_PNSt15iterator_traitsISV_E10value_typeET2_T3_PNSW_IS11_E10value_typeET4_jRbjT5_S17_jjP12ihipStream_tbEUljE_EEESS_ST_SU_S11_S15_S17_T6_T7_T9_mT8_S19_bDpT10_ENKUlT_T0_E_clISt17integral_constantIbLb1EES1L_IbLb0EEEEDaS1H_S1I_EUlS1H_E_NS1_11comp_targetILNS1_3genE8ELNS1_11target_archE1030ELNS1_3gpuE2ELNS1_3repE0EEENS1_30default_config_static_selectorELNS0_4arch9wavefront6targetE0EEEvSV_.numbered_sgpr, 0
	.set _ZN7rocprim17ROCPRIM_400000_NS6detail17trampoline_kernelINS0_13select_configILj256ELj13ELNS0_17block_load_methodE3ELS4_3ELS4_3ELNS0_20block_scan_algorithmE0ELj4294967295EEENS1_25partition_config_selectorILNS1_17partition_subalgoE3EjNS0_10empty_typeEbEEZZNS1_14partition_implILS8_3ELb0ES6_jNS0_17counting_iteratorIjlEEPS9_SE_NS0_5tupleIJPjSE_EEENSF_IJSE_SE_EEES9_SG_JZNS1_25segmented_radix_sort_implINS0_14default_configELb0EPKlPlSM_SN_N2at6native12_GLOBAL__N_18offset_tEEE10hipError_tPvRmT1_PNSt15iterator_traitsISV_E10value_typeET2_T3_PNSW_IS11_E10value_typeET4_jRbjT5_S17_jjP12ihipStream_tbEUljE_EEESS_ST_SU_S11_S15_S17_T6_T7_T9_mT8_S19_bDpT10_ENKUlT_T0_E_clISt17integral_constantIbLb1EES1L_IbLb0EEEEDaS1H_S1I_EUlS1H_E_NS1_11comp_targetILNS1_3genE8ELNS1_11target_archE1030ELNS1_3gpuE2ELNS1_3repE0EEENS1_30default_config_static_selectorELNS0_4arch9wavefront6targetE0EEEvSV_.num_named_barrier, 0
	.set _ZN7rocprim17ROCPRIM_400000_NS6detail17trampoline_kernelINS0_13select_configILj256ELj13ELNS0_17block_load_methodE3ELS4_3ELS4_3ELNS0_20block_scan_algorithmE0ELj4294967295EEENS1_25partition_config_selectorILNS1_17partition_subalgoE3EjNS0_10empty_typeEbEEZZNS1_14partition_implILS8_3ELb0ES6_jNS0_17counting_iteratorIjlEEPS9_SE_NS0_5tupleIJPjSE_EEENSF_IJSE_SE_EEES9_SG_JZNS1_25segmented_radix_sort_implINS0_14default_configELb0EPKlPlSM_SN_N2at6native12_GLOBAL__N_18offset_tEEE10hipError_tPvRmT1_PNSt15iterator_traitsISV_E10value_typeET2_T3_PNSW_IS11_E10value_typeET4_jRbjT5_S17_jjP12ihipStream_tbEUljE_EEESS_ST_SU_S11_S15_S17_T6_T7_T9_mT8_S19_bDpT10_ENKUlT_T0_E_clISt17integral_constantIbLb1EES1L_IbLb0EEEEDaS1H_S1I_EUlS1H_E_NS1_11comp_targetILNS1_3genE8ELNS1_11target_archE1030ELNS1_3gpuE2ELNS1_3repE0EEENS1_30default_config_static_selectorELNS0_4arch9wavefront6targetE0EEEvSV_.private_seg_size, 0
	.set _ZN7rocprim17ROCPRIM_400000_NS6detail17trampoline_kernelINS0_13select_configILj256ELj13ELNS0_17block_load_methodE3ELS4_3ELS4_3ELNS0_20block_scan_algorithmE0ELj4294967295EEENS1_25partition_config_selectorILNS1_17partition_subalgoE3EjNS0_10empty_typeEbEEZZNS1_14partition_implILS8_3ELb0ES6_jNS0_17counting_iteratorIjlEEPS9_SE_NS0_5tupleIJPjSE_EEENSF_IJSE_SE_EEES9_SG_JZNS1_25segmented_radix_sort_implINS0_14default_configELb0EPKlPlSM_SN_N2at6native12_GLOBAL__N_18offset_tEEE10hipError_tPvRmT1_PNSt15iterator_traitsISV_E10value_typeET2_T3_PNSW_IS11_E10value_typeET4_jRbjT5_S17_jjP12ihipStream_tbEUljE_EEESS_ST_SU_S11_S15_S17_T6_T7_T9_mT8_S19_bDpT10_ENKUlT_T0_E_clISt17integral_constantIbLb1EES1L_IbLb0EEEEDaS1H_S1I_EUlS1H_E_NS1_11comp_targetILNS1_3genE8ELNS1_11target_archE1030ELNS1_3gpuE2ELNS1_3repE0EEENS1_30default_config_static_selectorELNS0_4arch9wavefront6targetE0EEEvSV_.uses_vcc, 0
	.set _ZN7rocprim17ROCPRIM_400000_NS6detail17trampoline_kernelINS0_13select_configILj256ELj13ELNS0_17block_load_methodE3ELS4_3ELS4_3ELNS0_20block_scan_algorithmE0ELj4294967295EEENS1_25partition_config_selectorILNS1_17partition_subalgoE3EjNS0_10empty_typeEbEEZZNS1_14partition_implILS8_3ELb0ES6_jNS0_17counting_iteratorIjlEEPS9_SE_NS0_5tupleIJPjSE_EEENSF_IJSE_SE_EEES9_SG_JZNS1_25segmented_radix_sort_implINS0_14default_configELb0EPKlPlSM_SN_N2at6native12_GLOBAL__N_18offset_tEEE10hipError_tPvRmT1_PNSt15iterator_traitsISV_E10value_typeET2_T3_PNSW_IS11_E10value_typeET4_jRbjT5_S17_jjP12ihipStream_tbEUljE_EEESS_ST_SU_S11_S15_S17_T6_T7_T9_mT8_S19_bDpT10_ENKUlT_T0_E_clISt17integral_constantIbLb1EES1L_IbLb0EEEEDaS1H_S1I_EUlS1H_E_NS1_11comp_targetILNS1_3genE8ELNS1_11target_archE1030ELNS1_3gpuE2ELNS1_3repE0EEENS1_30default_config_static_selectorELNS0_4arch9wavefront6targetE0EEEvSV_.uses_flat_scratch, 0
	.set _ZN7rocprim17ROCPRIM_400000_NS6detail17trampoline_kernelINS0_13select_configILj256ELj13ELNS0_17block_load_methodE3ELS4_3ELS4_3ELNS0_20block_scan_algorithmE0ELj4294967295EEENS1_25partition_config_selectorILNS1_17partition_subalgoE3EjNS0_10empty_typeEbEEZZNS1_14partition_implILS8_3ELb0ES6_jNS0_17counting_iteratorIjlEEPS9_SE_NS0_5tupleIJPjSE_EEENSF_IJSE_SE_EEES9_SG_JZNS1_25segmented_radix_sort_implINS0_14default_configELb0EPKlPlSM_SN_N2at6native12_GLOBAL__N_18offset_tEEE10hipError_tPvRmT1_PNSt15iterator_traitsISV_E10value_typeET2_T3_PNSW_IS11_E10value_typeET4_jRbjT5_S17_jjP12ihipStream_tbEUljE_EEESS_ST_SU_S11_S15_S17_T6_T7_T9_mT8_S19_bDpT10_ENKUlT_T0_E_clISt17integral_constantIbLb1EES1L_IbLb0EEEEDaS1H_S1I_EUlS1H_E_NS1_11comp_targetILNS1_3genE8ELNS1_11target_archE1030ELNS1_3gpuE2ELNS1_3repE0EEENS1_30default_config_static_selectorELNS0_4arch9wavefront6targetE0EEEvSV_.has_dyn_sized_stack, 0
	.set _ZN7rocprim17ROCPRIM_400000_NS6detail17trampoline_kernelINS0_13select_configILj256ELj13ELNS0_17block_load_methodE3ELS4_3ELS4_3ELNS0_20block_scan_algorithmE0ELj4294967295EEENS1_25partition_config_selectorILNS1_17partition_subalgoE3EjNS0_10empty_typeEbEEZZNS1_14partition_implILS8_3ELb0ES6_jNS0_17counting_iteratorIjlEEPS9_SE_NS0_5tupleIJPjSE_EEENSF_IJSE_SE_EEES9_SG_JZNS1_25segmented_radix_sort_implINS0_14default_configELb0EPKlPlSM_SN_N2at6native12_GLOBAL__N_18offset_tEEE10hipError_tPvRmT1_PNSt15iterator_traitsISV_E10value_typeET2_T3_PNSW_IS11_E10value_typeET4_jRbjT5_S17_jjP12ihipStream_tbEUljE_EEESS_ST_SU_S11_S15_S17_T6_T7_T9_mT8_S19_bDpT10_ENKUlT_T0_E_clISt17integral_constantIbLb1EES1L_IbLb0EEEEDaS1H_S1I_EUlS1H_E_NS1_11comp_targetILNS1_3genE8ELNS1_11target_archE1030ELNS1_3gpuE2ELNS1_3repE0EEENS1_30default_config_static_selectorELNS0_4arch9wavefront6targetE0EEEvSV_.has_recursion, 0
	.set _ZN7rocprim17ROCPRIM_400000_NS6detail17trampoline_kernelINS0_13select_configILj256ELj13ELNS0_17block_load_methodE3ELS4_3ELS4_3ELNS0_20block_scan_algorithmE0ELj4294967295EEENS1_25partition_config_selectorILNS1_17partition_subalgoE3EjNS0_10empty_typeEbEEZZNS1_14partition_implILS8_3ELb0ES6_jNS0_17counting_iteratorIjlEEPS9_SE_NS0_5tupleIJPjSE_EEENSF_IJSE_SE_EEES9_SG_JZNS1_25segmented_radix_sort_implINS0_14default_configELb0EPKlPlSM_SN_N2at6native12_GLOBAL__N_18offset_tEEE10hipError_tPvRmT1_PNSt15iterator_traitsISV_E10value_typeET2_T3_PNSW_IS11_E10value_typeET4_jRbjT5_S17_jjP12ihipStream_tbEUljE_EEESS_ST_SU_S11_S15_S17_T6_T7_T9_mT8_S19_bDpT10_ENKUlT_T0_E_clISt17integral_constantIbLb1EES1L_IbLb0EEEEDaS1H_S1I_EUlS1H_E_NS1_11comp_targetILNS1_3genE8ELNS1_11target_archE1030ELNS1_3gpuE2ELNS1_3repE0EEENS1_30default_config_static_selectorELNS0_4arch9wavefront6targetE0EEEvSV_.has_indirect_call, 0
	.section	.AMDGPU.csdata,"",@progbits
; Kernel info:
; codeLenInByte = 4
; TotalNumSgprs: 0
; NumVgprs: 0
; ScratchSize: 0
; MemoryBound: 0
; FloatMode: 240
; IeeeMode: 1
; LDSByteSize: 0 bytes/workgroup (compile time only)
; SGPRBlocks: 0
; VGPRBlocks: 0
; NumSGPRsForWavesPerEU: 1
; NumVGPRsForWavesPerEU: 1
; Occupancy: 16
; WaveLimiterHint : 0
; COMPUTE_PGM_RSRC2:SCRATCH_EN: 0
; COMPUTE_PGM_RSRC2:USER_SGPR: 6
; COMPUTE_PGM_RSRC2:TRAP_HANDLER: 0
; COMPUTE_PGM_RSRC2:TGID_X_EN: 1
; COMPUTE_PGM_RSRC2:TGID_Y_EN: 0
; COMPUTE_PGM_RSRC2:TGID_Z_EN: 0
; COMPUTE_PGM_RSRC2:TIDIG_COMP_CNT: 0
	.section	.text._ZN7rocprim17ROCPRIM_400000_NS6detail17trampoline_kernelINS0_13select_configILj256ELj13ELNS0_17block_load_methodE3ELS4_3ELS4_3ELNS0_20block_scan_algorithmE0ELj4294967295EEENS1_25partition_config_selectorILNS1_17partition_subalgoE3EjNS0_10empty_typeEbEEZZNS1_14partition_implILS8_3ELb0ES6_jNS0_17counting_iteratorIjlEEPS9_SE_NS0_5tupleIJPjSE_EEENSF_IJSE_SE_EEES9_SG_JZNS1_25segmented_radix_sort_implINS0_14default_configELb0EPKlPlSM_SN_N2at6native12_GLOBAL__N_18offset_tEEE10hipError_tPvRmT1_PNSt15iterator_traitsISV_E10value_typeET2_T3_PNSW_IS11_E10value_typeET4_jRbjT5_S17_jjP12ihipStream_tbEUljE_EEESS_ST_SU_S11_S15_S17_T6_T7_T9_mT8_S19_bDpT10_ENKUlT_T0_E_clISt17integral_constantIbLb0EES1L_IbLb1EEEEDaS1H_S1I_EUlS1H_E_NS1_11comp_targetILNS1_3genE0ELNS1_11target_archE4294967295ELNS1_3gpuE0ELNS1_3repE0EEENS1_30default_config_static_selectorELNS0_4arch9wavefront6targetE0EEEvSV_,"axG",@progbits,_ZN7rocprim17ROCPRIM_400000_NS6detail17trampoline_kernelINS0_13select_configILj256ELj13ELNS0_17block_load_methodE3ELS4_3ELS4_3ELNS0_20block_scan_algorithmE0ELj4294967295EEENS1_25partition_config_selectorILNS1_17partition_subalgoE3EjNS0_10empty_typeEbEEZZNS1_14partition_implILS8_3ELb0ES6_jNS0_17counting_iteratorIjlEEPS9_SE_NS0_5tupleIJPjSE_EEENSF_IJSE_SE_EEES9_SG_JZNS1_25segmented_radix_sort_implINS0_14default_configELb0EPKlPlSM_SN_N2at6native12_GLOBAL__N_18offset_tEEE10hipError_tPvRmT1_PNSt15iterator_traitsISV_E10value_typeET2_T3_PNSW_IS11_E10value_typeET4_jRbjT5_S17_jjP12ihipStream_tbEUljE_EEESS_ST_SU_S11_S15_S17_T6_T7_T9_mT8_S19_bDpT10_ENKUlT_T0_E_clISt17integral_constantIbLb0EES1L_IbLb1EEEEDaS1H_S1I_EUlS1H_E_NS1_11comp_targetILNS1_3genE0ELNS1_11target_archE4294967295ELNS1_3gpuE0ELNS1_3repE0EEENS1_30default_config_static_selectorELNS0_4arch9wavefront6targetE0EEEvSV_,comdat
	.globl	_ZN7rocprim17ROCPRIM_400000_NS6detail17trampoline_kernelINS0_13select_configILj256ELj13ELNS0_17block_load_methodE3ELS4_3ELS4_3ELNS0_20block_scan_algorithmE0ELj4294967295EEENS1_25partition_config_selectorILNS1_17partition_subalgoE3EjNS0_10empty_typeEbEEZZNS1_14partition_implILS8_3ELb0ES6_jNS0_17counting_iteratorIjlEEPS9_SE_NS0_5tupleIJPjSE_EEENSF_IJSE_SE_EEES9_SG_JZNS1_25segmented_radix_sort_implINS0_14default_configELb0EPKlPlSM_SN_N2at6native12_GLOBAL__N_18offset_tEEE10hipError_tPvRmT1_PNSt15iterator_traitsISV_E10value_typeET2_T3_PNSW_IS11_E10value_typeET4_jRbjT5_S17_jjP12ihipStream_tbEUljE_EEESS_ST_SU_S11_S15_S17_T6_T7_T9_mT8_S19_bDpT10_ENKUlT_T0_E_clISt17integral_constantIbLb0EES1L_IbLb1EEEEDaS1H_S1I_EUlS1H_E_NS1_11comp_targetILNS1_3genE0ELNS1_11target_archE4294967295ELNS1_3gpuE0ELNS1_3repE0EEENS1_30default_config_static_selectorELNS0_4arch9wavefront6targetE0EEEvSV_ ; -- Begin function _ZN7rocprim17ROCPRIM_400000_NS6detail17trampoline_kernelINS0_13select_configILj256ELj13ELNS0_17block_load_methodE3ELS4_3ELS4_3ELNS0_20block_scan_algorithmE0ELj4294967295EEENS1_25partition_config_selectorILNS1_17partition_subalgoE3EjNS0_10empty_typeEbEEZZNS1_14partition_implILS8_3ELb0ES6_jNS0_17counting_iteratorIjlEEPS9_SE_NS0_5tupleIJPjSE_EEENSF_IJSE_SE_EEES9_SG_JZNS1_25segmented_radix_sort_implINS0_14default_configELb0EPKlPlSM_SN_N2at6native12_GLOBAL__N_18offset_tEEE10hipError_tPvRmT1_PNSt15iterator_traitsISV_E10value_typeET2_T3_PNSW_IS11_E10value_typeET4_jRbjT5_S17_jjP12ihipStream_tbEUljE_EEESS_ST_SU_S11_S15_S17_T6_T7_T9_mT8_S19_bDpT10_ENKUlT_T0_E_clISt17integral_constantIbLb0EES1L_IbLb1EEEEDaS1H_S1I_EUlS1H_E_NS1_11comp_targetILNS1_3genE0ELNS1_11target_archE4294967295ELNS1_3gpuE0ELNS1_3repE0EEENS1_30default_config_static_selectorELNS0_4arch9wavefront6targetE0EEEvSV_
	.p2align	8
	.type	_ZN7rocprim17ROCPRIM_400000_NS6detail17trampoline_kernelINS0_13select_configILj256ELj13ELNS0_17block_load_methodE3ELS4_3ELS4_3ELNS0_20block_scan_algorithmE0ELj4294967295EEENS1_25partition_config_selectorILNS1_17partition_subalgoE3EjNS0_10empty_typeEbEEZZNS1_14partition_implILS8_3ELb0ES6_jNS0_17counting_iteratorIjlEEPS9_SE_NS0_5tupleIJPjSE_EEENSF_IJSE_SE_EEES9_SG_JZNS1_25segmented_radix_sort_implINS0_14default_configELb0EPKlPlSM_SN_N2at6native12_GLOBAL__N_18offset_tEEE10hipError_tPvRmT1_PNSt15iterator_traitsISV_E10value_typeET2_T3_PNSW_IS11_E10value_typeET4_jRbjT5_S17_jjP12ihipStream_tbEUljE_EEESS_ST_SU_S11_S15_S17_T6_T7_T9_mT8_S19_bDpT10_ENKUlT_T0_E_clISt17integral_constantIbLb0EES1L_IbLb1EEEEDaS1H_S1I_EUlS1H_E_NS1_11comp_targetILNS1_3genE0ELNS1_11target_archE4294967295ELNS1_3gpuE0ELNS1_3repE0EEENS1_30default_config_static_selectorELNS0_4arch9wavefront6targetE0EEEvSV_,@function
_ZN7rocprim17ROCPRIM_400000_NS6detail17trampoline_kernelINS0_13select_configILj256ELj13ELNS0_17block_load_methodE3ELS4_3ELS4_3ELNS0_20block_scan_algorithmE0ELj4294967295EEENS1_25partition_config_selectorILNS1_17partition_subalgoE3EjNS0_10empty_typeEbEEZZNS1_14partition_implILS8_3ELb0ES6_jNS0_17counting_iteratorIjlEEPS9_SE_NS0_5tupleIJPjSE_EEENSF_IJSE_SE_EEES9_SG_JZNS1_25segmented_radix_sort_implINS0_14default_configELb0EPKlPlSM_SN_N2at6native12_GLOBAL__N_18offset_tEEE10hipError_tPvRmT1_PNSt15iterator_traitsISV_E10value_typeET2_T3_PNSW_IS11_E10value_typeET4_jRbjT5_S17_jjP12ihipStream_tbEUljE_EEESS_ST_SU_S11_S15_S17_T6_T7_T9_mT8_S19_bDpT10_ENKUlT_T0_E_clISt17integral_constantIbLb0EES1L_IbLb1EEEEDaS1H_S1I_EUlS1H_E_NS1_11comp_targetILNS1_3genE0ELNS1_11target_archE4294967295ELNS1_3gpuE0ELNS1_3repE0EEENS1_30default_config_static_selectorELNS0_4arch9wavefront6targetE0EEEvSV_: ; @_ZN7rocprim17ROCPRIM_400000_NS6detail17trampoline_kernelINS0_13select_configILj256ELj13ELNS0_17block_load_methodE3ELS4_3ELS4_3ELNS0_20block_scan_algorithmE0ELj4294967295EEENS1_25partition_config_selectorILNS1_17partition_subalgoE3EjNS0_10empty_typeEbEEZZNS1_14partition_implILS8_3ELb0ES6_jNS0_17counting_iteratorIjlEEPS9_SE_NS0_5tupleIJPjSE_EEENSF_IJSE_SE_EEES9_SG_JZNS1_25segmented_radix_sort_implINS0_14default_configELb0EPKlPlSM_SN_N2at6native12_GLOBAL__N_18offset_tEEE10hipError_tPvRmT1_PNSt15iterator_traitsISV_E10value_typeET2_T3_PNSW_IS11_E10value_typeET4_jRbjT5_S17_jjP12ihipStream_tbEUljE_EEESS_ST_SU_S11_S15_S17_T6_T7_T9_mT8_S19_bDpT10_ENKUlT_T0_E_clISt17integral_constantIbLb0EES1L_IbLb1EEEEDaS1H_S1I_EUlS1H_E_NS1_11comp_targetILNS1_3genE0ELNS1_11target_archE4294967295ELNS1_3gpuE0ELNS1_3repE0EEENS1_30default_config_static_selectorELNS0_4arch9wavefront6targetE0EEEvSV_
; %bb.0:
	.section	.rodata,"a",@progbits
	.p2align	6, 0x0
	.amdhsa_kernel _ZN7rocprim17ROCPRIM_400000_NS6detail17trampoline_kernelINS0_13select_configILj256ELj13ELNS0_17block_load_methodE3ELS4_3ELS4_3ELNS0_20block_scan_algorithmE0ELj4294967295EEENS1_25partition_config_selectorILNS1_17partition_subalgoE3EjNS0_10empty_typeEbEEZZNS1_14partition_implILS8_3ELb0ES6_jNS0_17counting_iteratorIjlEEPS9_SE_NS0_5tupleIJPjSE_EEENSF_IJSE_SE_EEES9_SG_JZNS1_25segmented_radix_sort_implINS0_14default_configELb0EPKlPlSM_SN_N2at6native12_GLOBAL__N_18offset_tEEE10hipError_tPvRmT1_PNSt15iterator_traitsISV_E10value_typeET2_T3_PNSW_IS11_E10value_typeET4_jRbjT5_S17_jjP12ihipStream_tbEUljE_EEESS_ST_SU_S11_S15_S17_T6_T7_T9_mT8_S19_bDpT10_ENKUlT_T0_E_clISt17integral_constantIbLb0EES1L_IbLb1EEEEDaS1H_S1I_EUlS1H_E_NS1_11comp_targetILNS1_3genE0ELNS1_11target_archE4294967295ELNS1_3gpuE0ELNS1_3repE0EEENS1_30default_config_static_selectorELNS0_4arch9wavefront6targetE0EEEvSV_
		.amdhsa_group_segment_fixed_size 0
		.amdhsa_private_segment_fixed_size 0
		.amdhsa_kernarg_size 152
		.amdhsa_user_sgpr_count 6
		.amdhsa_user_sgpr_private_segment_buffer 1
		.amdhsa_user_sgpr_dispatch_ptr 0
		.amdhsa_user_sgpr_queue_ptr 0
		.amdhsa_user_sgpr_kernarg_segment_ptr 1
		.amdhsa_user_sgpr_dispatch_id 0
		.amdhsa_user_sgpr_flat_scratch_init 0
		.amdhsa_user_sgpr_private_segment_size 0
		.amdhsa_wavefront_size32 1
		.amdhsa_uses_dynamic_stack 0
		.amdhsa_system_sgpr_private_segment_wavefront_offset 0
		.amdhsa_system_sgpr_workgroup_id_x 1
		.amdhsa_system_sgpr_workgroup_id_y 0
		.amdhsa_system_sgpr_workgroup_id_z 0
		.amdhsa_system_sgpr_workgroup_info 0
		.amdhsa_system_vgpr_workitem_id 0
		.amdhsa_next_free_vgpr 1
		.amdhsa_next_free_sgpr 1
		.amdhsa_reserve_vcc 0
		.amdhsa_reserve_flat_scratch 0
		.amdhsa_float_round_mode_32 0
		.amdhsa_float_round_mode_16_64 0
		.amdhsa_float_denorm_mode_32 3
		.amdhsa_float_denorm_mode_16_64 3
		.amdhsa_dx10_clamp 1
		.amdhsa_ieee_mode 1
		.amdhsa_fp16_overflow 0
		.amdhsa_workgroup_processor_mode 1
		.amdhsa_memory_ordered 1
		.amdhsa_forward_progress 1
		.amdhsa_shared_vgpr_count 0
		.amdhsa_exception_fp_ieee_invalid_op 0
		.amdhsa_exception_fp_denorm_src 0
		.amdhsa_exception_fp_ieee_div_zero 0
		.amdhsa_exception_fp_ieee_overflow 0
		.amdhsa_exception_fp_ieee_underflow 0
		.amdhsa_exception_fp_ieee_inexact 0
		.amdhsa_exception_int_div_zero 0
	.end_amdhsa_kernel
	.section	.text._ZN7rocprim17ROCPRIM_400000_NS6detail17trampoline_kernelINS0_13select_configILj256ELj13ELNS0_17block_load_methodE3ELS4_3ELS4_3ELNS0_20block_scan_algorithmE0ELj4294967295EEENS1_25partition_config_selectorILNS1_17partition_subalgoE3EjNS0_10empty_typeEbEEZZNS1_14partition_implILS8_3ELb0ES6_jNS0_17counting_iteratorIjlEEPS9_SE_NS0_5tupleIJPjSE_EEENSF_IJSE_SE_EEES9_SG_JZNS1_25segmented_radix_sort_implINS0_14default_configELb0EPKlPlSM_SN_N2at6native12_GLOBAL__N_18offset_tEEE10hipError_tPvRmT1_PNSt15iterator_traitsISV_E10value_typeET2_T3_PNSW_IS11_E10value_typeET4_jRbjT5_S17_jjP12ihipStream_tbEUljE_EEESS_ST_SU_S11_S15_S17_T6_T7_T9_mT8_S19_bDpT10_ENKUlT_T0_E_clISt17integral_constantIbLb0EES1L_IbLb1EEEEDaS1H_S1I_EUlS1H_E_NS1_11comp_targetILNS1_3genE0ELNS1_11target_archE4294967295ELNS1_3gpuE0ELNS1_3repE0EEENS1_30default_config_static_selectorELNS0_4arch9wavefront6targetE0EEEvSV_,"axG",@progbits,_ZN7rocprim17ROCPRIM_400000_NS6detail17trampoline_kernelINS0_13select_configILj256ELj13ELNS0_17block_load_methodE3ELS4_3ELS4_3ELNS0_20block_scan_algorithmE0ELj4294967295EEENS1_25partition_config_selectorILNS1_17partition_subalgoE3EjNS0_10empty_typeEbEEZZNS1_14partition_implILS8_3ELb0ES6_jNS0_17counting_iteratorIjlEEPS9_SE_NS0_5tupleIJPjSE_EEENSF_IJSE_SE_EEES9_SG_JZNS1_25segmented_radix_sort_implINS0_14default_configELb0EPKlPlSM_SN_N2at6native12_GLOBAL__N_18offset_tEEE10hipError_tPvRmT1_PNSt15iterator_traitsISV_E10value_typeET2_T3_PNSW_IS11_E10value_typeET4_jRbjT5_S17_jjP12ihipStream_tbEUljE_EEESS_ST_SU_S11_S15_S17_T6_T7_T9_mT8_S19_bDpT10_ENKUlT_T0_E_clISt17integral_constantIbLb0EES1L_IbLb1EEEEDaS1H_S1I_EUlS1H_E_NS1_11comp_targetILNS1_3genE0ELNS1_11target_archE4294967295ELNS1_3gpuE0ELNS1_3repE0EEENS1_30default_config_static_selectorELNS0_4arch9wavefront6targetE0EEEvSV_,comdat
.Lfunc_end793:
	.size	_ZN7rocprim17ROCPRIM_400000_NS6detail17trampoline_kernelINS0_13select_configILj256ELj13ELNS0_17block_load_methodE3ELS4_3ELS4_3ELNS0_20block_scan_algorithmE0ELj4294967295EEENS1_25partition_config_selectorILNS1_17partition_subalgoE3EjNS0_10empty_typeEbEEZZNS1_14partition_implILS8_3ELb0ES6_jNS0_17counting_iteratorIjlEEPS9_SE_NS0_5tupleIJPjSE_EEENSF_IJSE_SE_EEES9_SG_JZNS1_25segmented_radix_sort_implINS0_14default_configELb0EPKlPlSM_SN_N2at6native12_GLOBAL__N_18offset_tEEE10hipError_tPvRmT1_PNSt15iterator_traitsISV_E10value_typeET2_T3_PNSW_IS11_E10value_typeET4_jRbjT5_S17_jjP12ihipStream_tbEUljE_EEESS_ST_SU_S11_S15_S17_T6_T7_T9_mT8_S19_bDpT10_ENKUlT_T0_E_clISt17integral_constantIbLb0EES1L_IbLb1EEEEDaS1H_S1I_EUlS1H_E_NS1_11comp_targetILNS1_3genE0ELNS1_11target_archE4294967295ELNS1_3gpuE0ELNS1_3repE0EEENS1_30default_config_static_selectorELNS0_4arch9wavefront6targetE0EEEvSV_, .Lfunc_end793-_ZN7rocprim17ROCPRIM_400000_NS6detail17trampoline_kernelINS0_13select_configILj256ELj13ELNS0_17block_load_methodE3ELS4_3ELS4_3ELNS0_20block_scan_algorithmE0ELj4294967295EEENS1_25partition_config_selectorILNS1_17partition_subalgoE3EjNS0_10empty_typeEbEEZZNS1_14partition_implILS8_3ELb0ES6_jNS0_17counting_iteratorIjlEEPS9_SE_NS0_5tupleIJPjSE_EEENSF_IJSE_SE_EEES9_SG_JZNS1_25segmented_radix_sort_implINS0_14default_configELb0EPKlPlSM_SN_N2at6native12_GLOBAL__N_18offset_tEEE10hipError_tPvRmT1_PNSt15iterator_traitsISV_E10value_typeET2_T3_PNSW_IS11_E10value_typeET4_jRbjT5_S17_jjP12ihipStream_tbEUljE_EEESS_ST_SU_S11_S15_S17_T6_T7_T9_mT8_S19_bDpT10_ENKUlT_T0_E_clISt17integral_constantIbLb0EES1L_IbLb1EEEEDaS1H_S1I_EUlS1H_E_NS1_11comp_targetILNS1_3genE0ELNS1_11target_archE4294967295ELNS1_3gpuE0ELNS1_3repE0EEENS1_30default_config_static_selectorELNS0_4arch9wavefront6targetE0EEEvSV_
                                        ; -- End function
	.set _ZN7rocprim17ROCPRIM_400000_NS6detail17trampoline_kernelINS0_13select_configILj256ELj13ELNS0_17block_load_methodE3ELS4_3ELS4_3ELNS0_20block_scan_algorithmE0ELj4294967295EEENS1_25partition_config_selectorILNS1_17partition_subalgoE3EjNS0_10empty_typeEbEEZZNS1_14partition_implILS8_3ELb0ES6_jNS0_17counting_iteratorIjlEEPS9_SE_NS0_5tupleIJPjSE_EEENSF_IJSE_SE_EEES9_SG_JZNS1_25segmented_radix_sort_implINS0_14default_configELb0EPKlPlSM_SN_N2at6native12_GLOBAL__N_18offset_tEEE10hipError_tPvRmT1_PNSt15iterator_traitsISV_E10value_typeET2_T3_PNSW_IS11_E10value_typeET4_jRbjT5_S17_jjP12ihipStream_tbEUljE_EEESS_ST_SU_S11_S15_S17_T6_T7_T9_mT8_S19_bDpT10_ENKUlT_T0_E_clISt17integral_constantIbLb0EES1L_IbLb1EEEEDaS1H_S1I_EUlS1H_E_NS1_11comp_targetILNS1_3genE0ELNS1_11target_archE4294967295ELNS1_3gpuE0ELNS1_3repE0EEENS1_30default_config_static_selectorELNS0_4arch9wavefront6targetE0EEEvSV_.num_vgpr, 0
	.set _ZN7rocprim17ROCPRIM_400000_NS6detail17trampoline_kernelINS0_13select_configILj256ELj13ELNS0_17block_load_methodE3ELS4_3ELS4_3ELNS0_20block_scan_algorithmE0ELj4294967295EEENS1_25partition_config_selectorILNS1_17partition_subalgoE3EjNS0_10empty_typeEbEEZZNS1_14partition_implILS8_3ELb0ES6_jNS0_17counting_iteratorIjlEEPS9_SE_NS0_5tupleIJPjSE_EEENSF_IJSE_SE_EEES9_SG_JZNS1_25segmented_radix_sort_implINS0_14default_configELb0EPKlPlSM_SN_N2at6native12_GLOBAL__N_18offset_tEEE10hipError_tPvRmT1_PNSt15iterator_traitsISV_E10value_typeET2_T3_PNSW_IS11_E10value_typeET4_jRbjT5_S17_jjP12ihipStream_tbEUljE_EEESS_ST_SU_S11_S15_S17_T6_T7_T9_mT8_S19_bDpT10_ENKUlT_T0_E_clISt17integral_constantIbLb0EES1L_IbLb1EEEEDaS1H_S1I_EUlS1H_E_NS1_11comp_targetILNS1_3genE0ELNS1_11target_archE4294967295ELNS1_3gpuE0ELNS1_3repE0EEENS1_30default_config_static_selectorELNS0_4arch9wavefront6targetE0EEEvSV_.num_agpr, 0
	.set _ZN7rocprim17ROCPRIM_400000_NS6detail17trampoline_kernelINS0_13select_configILj256ELj13ELNS0_17block_load_methodE3ELS4_3ELS4_3ELNS0_20block_scan_algorithmE0ELj4294967295EEENS1_25partition_config_selectorILNS1_17partition_subalgoE3EjNS0_10empty_typeEbEEZZNS1_14partition_implILS8_3ELb0ES6_jNS0_17counting_iteratorIjlEEPS9_SE_NS0_5tupleIJPjSE_EEENSF_IJSE_SE_EEES9_SG_JZNS1_25segmented_radix_sort_implINS0_14default_configELb0EPKlPlSM_SN_N2at6native12_GLOBAL__N_18offset_tEEE10hipError_tPvRmT1_PNSt15iterator_traitsISV_E10value_typeET2_T3_PNSW_IS11_E10value_typeET4_jRbjT5_S17_jjP12ihipStream_tbEUljE_EEESS_ST_SU_S11_S15_S17_T6_T7_T9_mT8_S19_bDpT10_ENKUlT_T0_E_clISt17integral_constantIbLb0EES1L_IbLb1EEEEDaS1H_S1I_EUlS1H_E_NS1_11comp_targetILNS1_3genE0ELNS1_11target_archE4294967295ELNS1_3gpuE0ELNS1_3repE0EEENS1_30default_config_static_selectorELNS0_4arch9wavefront6targetE0EEEvSV_.numbered_sgpr, 0
	.set _ZN7rocprim17ROCPRIM_400000_NS6detail17trampoline_kernelINS0_13select_configILj256ELj13ELNS0_17block_load_methodE3ELS4_3ELS4_3ELNS0_20block_scan_algorithmE0ELj4294967295EEENS1_25partition_config_selectorILNS1_17partition_subalgoE3EjNS0_10empty_typeEbEEZZNS1_14partition_implILS8_3ELb0ES6_jNS0_17counting_iteratorIjlEEPS9_SE_NS0_5tupleIJPjSE_EEENSF_IJSE_SE_EEES9_SG_JZNS1_25segmented_radix_sort_implINS0_14default_configELb0EPKlPlSM_SN_N2at6native12_GLOBAL__N_18offset_tEEE10hipError_tPvRmT1_PNSt15iterator_traitsISV_E10value_typeET2_T3_PNSW_IS11_E10value_typeET4_jRbjT5_S17_jjP12ihipStream_tbEUljE_EEESS_ST_SU_S11_S15_S17_T6_T7_T9_mT8_S19_bDpT10_ENKUlT_T0_E_clISt17integral_constantIbLb0EES1L_IbLb1EEEEDaS1H_S1I_EUlS1H_E_NS1_11comp_targetILNS1_3genE0ELNS1_11target_archE4294967295ELNS1_3gpuE0ELNS1_3repE0EEENS1_30default_config_static_selectorELNS0_4arch9wavefront6targetE0EEEvSV_.num_named_barrier, 0
	.set _ZN7rocprim17ROCPRIM_400000_NS6detail17trampoline_kernelINS0_13select_configILj256ELj13ELNS0_17block_load_methodE3ELS4_3ELS4_3ELNS0_20block_scan_algorithmE0ELj4294967295EEENS1_25partition_config_selectorILNS1_17partition_subalgoE3EjNS0_10empty_typeEbEEZZNS1_14partition_implILS8_3ELb0ES6_jNS0_17counting_iteratorIjlEEPS9_SE_NS0_5tupleIJPjSE_EEENSF_IJSE_SE_EEES9_SG_JZNS1_25segmented_radix_sort_implINS0_14default_configELb0EPKlPlSM_SN_N2at6native12_GLOBAL__N_18offset_tEEE10hipError_tPvRmT1_PNSt15iterator_traitsISV_E10value_typeET2_T3_PNSW_IS11_E10value_typeET4_jRbjT5_S17_jjP12ihipStream_tbEUljE_EEESS_ST_SU_S11_S15_S17_T6_T7_T9_mT8_S19_bDpT10_ENKUlT_T0_E_clISt17integral_constantIbLb0EES1L_IbLb1EEEEDaS1H_S1I_EUlS1H_E_NS1_11comp_targetILNS1_3genE0ELNS1_11target_archE4294967295ELNS1_3gpuE0ELNS1_3repE0EEENS1_30default_config_static_selectorELNS0_4arch9wavefront6targetE0EEEvSV_.private_seg_size, 0
	.set _ZN7rocprim17ROCPRIM_400000_NS6detail17trampoline_kernelINS0_13select_configILj256ELj13ELNS0_17block_load_methodE3ELS4_3ELS4_3ELNS0_20block_scan_algorithmE0ELj4294967295EEENS1_25partition_config_selectorILNS1_17partition_subalgoE3EjNS0_10empty_typeEbEEZZNS1_14partition_implILS8_3ELb0ES6_jNS0_17counting_iteratorIjlEEPS9_SE_NS0_5tupleIJPjSE_EEENSF_IJSE_SE_EEES9_SG_JZNS1_25segmented_radix_sort_implINS0_14default_configELb0EPKlPlSM_SN_N2at6native12_GLOBAL__N_18offset_tEEE10hipError_tPvRmT1_PNSt15iterator_traitsISV_E10value_typeET2_T3_PNSW_IS11_E10value_typeET4_jRbjT5_S17_jjP12ihipStream_tbEUljE_EEESS_ST_SU_S11_S15_S17_T6_T7_T9_mT8_S19_bDpT10_ENKUlT_T0_E_clISt17integral_constantIbLb0EES1L_IbLb1EEEEDaS1H_S1I_EUlS1H_E_NS1_11comp_targetILNS1_3genE0ELNS1_11target_archE4294967295ELNS1_3gpuE0ELNS1_3repE0EEENS1_30default_config_static_selectorELNS0_4arch9wavefront6targetE0EEEvSV_.uses_vcc, 0
	.set _ZN7rocprim17ROCPRIM_400000_NS6detail17trampoline_kernelINS0_13select_configILj256ELj13ELNS0_17block_load_methodE3ELS4_3ELS4_3ELNS0_20block_scan_algorithmE0ELj4294967295EEENS1_25partition_config_selectorILNS1_17partition_subalgoE3EjNS0_10empty_typeEbEEZZNS1_14partition_implILS8_3ELb0ES6_jNS0_17counting_iteratorIjlEEPS9_SE_NS0_5tupleIJPjSE_EEENSF_IJSE_SE_EEES9_SG_JZNS1_25segmented_radix_sort_implINS0_14default_configELb0EPKlPlSM_SN_N2at6native12_GLOBAL__N_18offset_tEEE10hipError_tPvRmT1_PNSt15iterator_traitsISV_E10value_typeET2_T3_PNSW_IS11_E10value_typeET4_jRbjT5_S17_jjP12ihipStream_tbEUljE_EEESS_ST_SU_S11_S15_S17_T6_T7_T9_mT8_S19_bDpT10_ENKUlT_T0_E_clISt17integral_constantIbLb0EES1L_IbLb1EEEEDaS1H_S1I_EUlS1H_E_NS1_11comp_targetILNS1_3genE0ELNS1_11target_archE4294967295ELNS1_3gpuE0ELNS1_3repE0EEENS1_30default_config_static_selectorELNS0_4arch9wavefront6targetE0EEEvSV_.uses_flat_scratch, 0
	.set _ZN7rocprim17ROCPRIM_400000_NS6detail17trampoline_kernelINS0_13select_configILj256ELj13ELNS0_17block_load_methodE3ELS4_3ELS4_3ELNS0_20block_scan_algorithmE0ELj4294967295EEENS1_25partition_config_selectorILNS1_17partition_subalgoE3EjNS0_10empty_typeEbEEZZNS1_14partition_implILS8_3ELb0ES6_jNS0_17counting_iteratorIjlEEPS9_SE_NS0_5tupleIJPjSE_EEENSF_IJSE_SE_EEES9_SG_JZNS1_25segmented_radix_sort_implINS0_14default_configELb0EPKlPlSM_SN_N2at6native12_GLOBAL__N_18offset_tEEE10hipError_tPvRmT1_PNSt15iterator_traitsISV_E10value_typeET2_T3_PNSW_IS11_E10value_typeET4_jRbjT5_S17_jjP12ihipStream_tbEUljE_EEESS_ST_SU_S11_S15_S17_T6_T7_T9_mT8_S19_bDpT10_ENKUlT_T0_E_clISt17integral_constantIbLb0EES1L_IbLb1EEEEDaS1H_S1I_EUlS1H_E_NS1_11comp_targetILNS1_3genE0ELNS1_11target_archE4294967295ELNS1_3gpuE0ELNS1_3repE0EEENS1_30default_config_static_selectorELNS0_4arch9wavefront6targetE0EEEvSV_.has_dyn_sized_stack, 0
	.set _ZN7rocprim17ROCPRIM_400000_NS6detail17trampoline_kernelINS0_13select_configILj256ELj13ELNS0_17block_load_methodE3ELS4_3ELS4_3ELNS0_20block_scan_algorithmE0ELj4294967295EEENS1_25partition_config_selectorILNS1_17partition_subalgoE3EjNS0_10empty_typeEbEEZZNS1_14partition_implILS8_3ELb0ES6_jNS0_17counting_iteratorIjlEEPS9_SE_NS0_5tupleIJPjSE_EEENSF_IJSE_SE_EEES9_SG_JZNS1_25segmented_radix_sort_implINS0_14default_configELb0EPKlPlSM_SN_N2at6native12_GLOBAL__N_18offset_tEEE10hipError_tPvRmT1_PNSt15iterator_traitsISV_E10value_typeET2_T3_PNSW_IS11_E10value_typeET4_jRbjT5_S17_jjP12ihipStream_tbEUljE_EEESS_ST_SU_S11_S15_S17_T6_T7_T9_mT8_S19_bDpT10_ENKUlT_T0_E_clISt17integral_constantIbLb0EES1L_IbLb1EEEEDaS1H_S1I_EUlS1H_E_NS1_11comp_targetILNS1_3genE0ELNS1_11target_archE4294967295ELNS1_3gpuE0ELNS1_3repE0EEENS1_30default_config_static_selectorELNS0_4arch9wavefront6targetE0EEEvSV_.has_recursion, 0
	.set _ZN7rocprim17ROCPRIM_400000_NS6detail17trampoline_kernelINS0_13select_configILj256ELj13ELNS0_17block_load_methodE3ELS4_3ELS4_3ELNS0_20block_scan_algorithmE0ELj4294967295EEENS1_25partition_config_selectorILNS1_17partition_subalgoE3EjNS0_10empty_typeEbEEZZNS1_14partition_implILS8_3ELb0ES6_jNS0_17counting_iteratorIjlEEPS9_SE_NS0_5tupleIJPjSE_EEENSF_IJSE_SE_EEES9_SG_JZNS1_25segmented_radix_sort_implINS0_14default_configELb0EPKlPlSM_SN_N2at6native12_GLOBAL__N_18offset_tEEE10hipError_tPvRmT1_PNSt15iterator_traitsISV_E10value_typeET2_T3_PNSW_IS11_E10value_typeET4_jRbjT5_S17_jjP12ihipStream_tbEUljE_EEESS_ST_SU_S11_S15_S17_T6_T7_T9_mT8_S19_bDpT10_ENKUlT_T0_E_clISt17integral_constantIbLb0EES1L_IbLb1EEEEDaS1H_S1I_EUlS1H_E_NS1_11comp_targetILNS1_3genE0ELNS1_11target_archE4294967295ELNS1_3gpuE0ELNS1_3repE0EEENS1_30default_config_static_selectorELNS0_4arch9wavefront6targetE0EEEvSV_.has_indirect_call, 0
	.section	.AMDGPU.csdata,"",@progbits
; Kernel info:
; codeLenInByte = 0
; TotalNumSgprs: 0
; NumVgprs: 0
; ScratchSize: 0
; MemoryBound: 0
; FloatMode: 240
; IeeeMode: 1
; LDSByteSize: 0 bytes/workgroup (compile time only)
; SGPRBlocks: 0
; VGPRBlocks: 0
; NumSGPRsForWavesPerEU: 1
; NumVGPRsForWavesPerEU: 1
; Occupancy: 16
; WaveLimiterHint : 0
; COMPUTE_PGM_RSRC2:SCRATCH_EN: 0
; COMPUTE_PGM_RSRC2:USER_SGPR: 6
; COMPUTE_PGM_RSRC2:TRAP_HANDLER: 0
; COMPUTE_PGM_RSRC2:TGID_X_EN: 1
; COMPUTE_PGM_RSRC2:TGID_Y_EN: 0
; COMPUTE_PGM_RSRC2:TGID_Z_EN: 0
; COMPUTE_PGM_RSRC2:TIDIG_COMP_CNT: 0
	.section	.text._ZN7rocprim17ROCPRIM_400000_NS6detail17trampoline_kernelINS0_13select_configILj256ELj13ELNS0_17block_load_methodE3ELS4_3ELS4_3ELNS0_20block_scan_algorithmE0ELj4294967295EEENS1_25partition_config_selectorILNS1_17partition_subalgoE3EjNS0_10empty_typeEbEEZZNS1_14partition_implILS8_3ELb0ES6_jNS0_17counting_iteratorIjlEEPS9_SE_NS0_5tupleIJPjSE_EEENSF_IJSE_SE_EEES9_SG_JZNS1_25segmented_radix_sort_implINS0_14default_configELb0EPKlPlSM_SN_N2at6native12_GLOBAL__N_18offset_tEEE10hipError_tPvRmT1_PNSt15iterator_traitsISV_E10value_typeET2_T3_PNSW_IS11_E10value_typeET4_jRbjT5_S17_jjP12ihipStream_tbEUljE_EEESS_ST_SU_S11_S15_S17_T6_T7_T9_mT8_S19_bDpT10_ENKUlT_T0_E_clISt17integral_constantIbLb0EES1L_IbLb1EEEEDaS1H_S1I_EUlS1H_E_NS1_11comp_targetILNS1_3genE5ELNS1_11target_archE942ELNS1_3gpuE9ELNS1_3repE0EEENS1_30default_config_static_selectorELNS0_4arch9wavefront6targetE0EEEvSV_,"axG",@progbits,_ZN7rocprim17ROCPRIM_400000_NS6detail17trampoline_kernelINS0_13select_configILj256ELj13ELNS0_17block_load_methodE3ELS4_3ELS4_3ELNS0_20block_scan_algorithmE0ELj4294967295EEENS1_25partition_config_selectorILNS1_17partition_subalgoE3EjNS0_10empty_typeEbEEZZNS1_14partition_implILS8_3ELb0ES6_jNS0_17counting_iteratorIjlEEPS9_SE_NS0_5tupleIJPjSE_EEENSF_IJSE_SE_EEES9_SG_JZNS1_25segmented_radix_sort_implINS0_14default_configELb0EPKlPlSM_SN_N2at6native12_GLOBAL__N_18offset_tEEE10hipError_tPvRmT1_PNSt15iterator_traitsISV_E10value_typeET2_T3_PNSW_IS11_E10value_typeET4_jRbjT5_S17_jjP12ihipStream_tbEUljE_EEESS_ST_SU_S11_S15_S17_T6_T7_T9_mT8_S19_bDpT10_ENKUlT_T0_E_clISt17integral_constantIbLb0EES1L_IbLb1EEEEDaS1H_S1I_EUlS1H_E_NS1_11comp_targetILNS1_3genE5ELNS1_11target_archE942ELNS1_3gpuE9ELNS1_3repE0EEENS1_30default_config_static_selectorELNS0_4arch9wavefront6targetE0EEEvSV_,comdat
	.globl	_ZN7rocprim17ROCPRIM_400000_NS6detail17trampoline_kernelINS0_13select_configILj256ELj13ELNS0_17block_load_methodE3ELS4_3ELS4_3ELNS0_20block_scan_algorithmE0ELj4294967295EEENS1_25partition_config_selectorILNS1_17partition_subalgoE3EjNS0_10empty_typeEbEEZZNS1_14partition_implILS8_3ELb0ES6_jNS0_17counting_iteratorIjlEEPS9_SE_NS0_5tupleIJPjSE_EEENSF_IJSE_SE_EEES9_SG_JZNS1_25segmented_radix_sort_implINS0_14default_configELb0EPKlPlSM_SN_N2at6native12_GLOBAL__N_18offset_tEEE10hipError_tPvRmT1_PNSt15iterator_traitsISV_E10value_typeET2_T3_PNSW_IS11_E10value_typeET4_jRbjT5_S17_jjP12ihipStream_tbEUljE_EEESS_ST_SU_S11_S15_S17_T6_T7_T9_mT8_S19_bDpT10_ENKUlT_T0_E_clISt17integral_constantIbLb0EES1L_IbLb1EEEEDaS1H_S1I_EUlS1H_E_NS1_11comp_targetILNS1_3genE5ELNS1_11target_archE942ELNS1_3gpuE9ELNS1_3repE0EEENS1_30default_config_static_selectorELNS0_4arch9wavefront6targetE0EEEvSV_ ; -- Begin function _ZN7rocprim17ROCPRIM_400000_NS6detail17trampoline_kernelINS0_13select_configILj256ELj13ELNS0_17block_load_methodE3ELS4_3ELS4_3ELNS0_20block_scan_algorithmE0ELj4294967295EEENS1_25partition_config_selectorILNS1_17partition_subalgoE3EjNS0_10empty_typeEbEEZZNS1_14partition_implILS8_3ELb0ES6_jNS0_17counting_iteratorIjlEEPS9_SE_NS0_5tupleIJPjSE_EEENSF_IJSE_SE_EEES9_SG_JZNS1_25segmented_radix_sort_implINS0_14default_configELb0EPKlPlSM_SN_N2at6native12_GLOBAL__N_18offset_tEEE10hipError_tPvRmT1_PNSt15iterator_traitsISV_E10value_typeET2_T3_PNSW_IS11_E10value_typeET4_jRbjT5_S17_jjP12ihipStream_tbEUljE_EEESS_ST_SU_S11_S15_S17_T6_T7_T9_mT8_S19_bDpT10_ENKUlT_T0_E_clISt17integral_constantIbLb0EES1L_IbLb1EEEEDaS1H_S1I_EUlS1H_E_NS1_11comp_targetILNS1_3genE5ELNS1_11target_archE942ELNS1_3gpuE9ELNS1_3repE0EEENS1_30default_config_static_selectorELNS0_4arch9wavefront6targetE0EEEvSV_
	.p2align	8
	.type	_ZN7rocprim17ROCPRIM_400000_NS6detail17trampoline_kernelINS0_13select_configILj256ELj13ELNS0_17block_load_methodE3ELS4_3ELS4_3ELNS0_20block_scan_algorithmE0ELj4294967295EEENS1_25partition_config_selectorILNS1_17partition_subalgoE3EjNS0_10empty_typeEbEEZZNS1_14partition_implILS8_3ELb0ES6_jNS0_17counting_iteratorIjlEEPS9_SE_NS0_5tupleIJPjSE_EEENSF_IJSE_SE_EEES9_SG_JZNS1_25segmented_radix_sort_implINS0_14default_configELb0EPKlPlSM_SN_N2at6native12_GLOBAL__N_18offset_tEEE10hipError_tPvRmT1_PNSt15iterator_traitsISV_E10value_typeET2_T3_PNSW_IS11_E10value_typeET4_jRbjT5_S17_jjP12ihipStream_tbEUljE_EEESS_ST_SU_S11_S15_S17_T6_T7_T9_mT8_S19_bDpT10_ENKUlT_T0_E_clISt17integral_constantIbLb0EES1L_IbLb1EEEEDaS1H_S1I_EUlS1H_E_NS1_11comp_targetILNS1_3genE5ELNS1_11target_archE942ELNS1_3gpuE9ELNS1_3repE0EEENS1_30default_config_static_selectorELNS0_4arch9wavefront6targetE0EEEvSV_,@function
_ZN7rocprim17ROCPRIM_400000_NS6detail17trampoline_kernelINS0_13select_configILj256ELj13ELNS0_17block_load_methodE3ELS4_3ELS4_3ELNS0_20block_scan_algorithmE0ELj4294967295EEENS1_25partition_config_selectorILNS1_17partition_subalgoE3EjNS0_10empty_typeEbEEZZNS1_14partition_implILS8_3ELb0ES6_jNS0_17counting_iteratorIjlEEPS9_SE_NS0_5tupleIJPjSE_EEENSF_IJSE_SE_EEES9_SG_JZNS1_25segmented_radix_sort_implINS0_14default_configELb0EPKlPlSM_SN_N2at6native12_GLOBAL__N_18offset_tEEE10hipError_tPvRmT1_PNSt15iterator_traitsISV_E10value_typeET2_T3_PNSW_IS11_E10value_typeET4_jRbjT5_S17_jjP12ihipStream_tbEUljE_EEESS_ST_SU_S11_S15_S17_T6_T7_T9_mT8_S19_bDpT10_ENKUlT_T0_E_clISt17integral_constantIbLb0EES1L_IbLb1EEEEDaS1H_S1I_EUlS1H_E_NS1_11comp_targetILNS1_3genE5ELNS1_11target_archE942ELNS1_3gpuE9ELNS1_3repE0EEENS1_30default_config_static_selectorELNS0_4arch9wavefront6targetE0EEEvSV_: ; @_ZN7rocprim17ROCPRIM_400000_NS6detail17trampoline_kernelINS0_13select_configILj256ELj13ELNS0_17block_load_methodE3ELS4_3ELS4_3ELNS0_20block_scan_algorithmE0ELj4294967295EEENS1_25partition_config_selectorILNS1_17partition_subalgoE3EjNS0_10empty_typeEbEEZZNS1_14partition_implILS8_3ELb0ES6_jNS0_17counting_iteratorIjlEEPS9_SE_NS0_5tupleIJPjSE_EEENSF_IJSE_SE_EEES9_SG_JZNS1_25segmented_radix_sort_implINS0_14default_configELb0EPKlPlSM_SN_N2at6native12_GLOBAL__N_18offset_tEEE10hipError_tPvRmT1_PNSt15iterator_traitsISV_E10value_typeET2_T3_PNSW_IS11_E10value_typeET4_jRbjT5_S17_jjP12ihipStream_tbEUljE_EEESS_ST_SU_S11_S15_S17_T6_T7_T9_mT8_S19_bDpT10_ENKUlT_T0_E_clISt17integral_constantIbLb0EES1L_IbLb1EEEEDaS1H_S1I_EUlS1H_E_NS1_11comp_targetILNS1_3genE5ELNS1_11target_archE942ELNS1_3gpuE9ELNS1_3repE0EEENS1_30default_config_static_selectorELNS0_4arch9wavefront6targetE0EEEvSV_
; %bb.0:
	.section	.rodata,"a",@progbits
	.p2align	6, 0x0
	.amdhsa_kernel _ZN7rocprim17ROCPRIM_400000_NS6detail17trampoline_kernelINS0_13select_configILj256ELj13ELNS0_17block_load_methodE3ELS4_3ELS4_3ELNS0_20block_scan_algorithmE0ELj4294967295EEENS1_25partition_config_selectorILNS1_17partition_subalgoE3EjNS0_10empty_typeEbEEZZNS1_14partition_implILS8_3ELb0ES6_jNS0_17counting_iteratorIjlEEPS9_SE_NS0_5tupleIJPjSE_EEENSF_IJSE_SE_EEES9_SG_JZNS1_25segmented_radix_sort_implINS0_14default_configELb0EPKlPlSM_SN_N2at6native12_GLOBAL__N_18offset_tEEE10hipError_tPvRmT1_PNSt15iterator_traitsISV_E10value_typeET2_T3_PNSW_IS11_E10value_typeET4_jRbjT5_S17_jjP12ihipStream_tbEUljE_EEESS_ST_SU_S11_S15_S17_T6_T7_T9_mT8_S19_bDpT10_ENKUlT_T0_E_clISt17integral_constantIbLb0EES1L_IbLb1EEEEDaS1H_S1I_EUlS1H_E_NS1_11comp_targetILNS1_3genE5ELNS1_11target_archE942ELNS1_3gpuE9ELNS1_3repE0EEENS1_30default_config_static_selectorELNS0_4arch9wavefront6targetE0EEEvSV_
		.amdhsa_group_segment_fixed_size 0
		.amdhsa_private_segment_fixed_size 0
		.amdhsa_kernarg_size 152
		.amdhsa_user_sgpr_count 6
		.amdhsa_user_sgpr_private_segment_buffer 1
		.amdhsa_user_sgpr_dispatch_ptr 0
		.amdhsa_user_sgpr_queue_ptr 0
		.amdhsa_user_sgpr_kernarg_segment_ptr 1
		.amdhsa_user_sgpr_dispatch_id 0
		.amdhsa_user_sgpr_flat_scratch_init 0
		.amdhsa_user_sgpr_private_segment_size 0
		.amdhsa_wavefront_size32 1
		.amdhsa_uses_dynamic_stack 0
		.amdhsa_system_sgpr_private_segment_wavefront_offset 0
		.amdhsa_system_sgpr_workgroup_id_x 1
		.amdhsa_system_sgpr_workgroup_id_y 0
		.amdhsa_system_sgpr_workgroup_id_z 0
		.amdhsa_system_sgpr_workgroup_info 0
		.amdhsa_system_vgpr_workitem_id 0
		.amdhsa_next_free_vgpr 1
		.amdhsa_next_free_sgpr 1
		.amdhsa_reserve_vcc 0
		.amdhsa_reserve_flat_scratch 0
		.amdhsa_float_round_mode_32 0
		.amdhsa_float_round_mode_16_64 0
		.amdhsa_float_denorm_mode_32 3
		.amdhsa_float_denorm_mode_16_64 3
		.amdhsa_dx10_clamp 1
		.amdhsa_ieee_mode 1
		.amdhsa_fp16_overflow 0
		.amdhsa_workgroup_processor_mode 1
		.amdhsa_memory_ordered 1
		.amdhsa_forward_progress 1
		.amdhsa_shared_vgpr_count 0
		.amdhsa_exception_fp_ieee_invalid_op 0
		.amdhsa_exception_fp_denorm_src 0
		.amdhsa_exception_fp_ieee_div_zero 0
		.amdhsa_exception_fp_ieee_overflow 0
		.amdhsa_exception_fp_ieee_underflow 0
		.amdhsa_exception_fp_ieee_inexact 0
		.amdhsa_exception_int_div_zero 0
	.end_amdhsa_kernel
	.section	.text._ZN7rocprim17ROCPRIM_400000_NS6detail17trampoline_kernelINS0_13select_configILj256ELj13ELNS0_17block_load_methodE3ELS4_3ELS4_3ELNS0_20block_scan_algorithmE0ELj4294967295EEENS1_25partition_config_selectorILNS1_17partition_subalgoE3EjNS0_10empty_typeEbEEZZNS1_14partition_implILS8_3ELb0ES6_jNS0_17counting_iteratorIjlEEPS9_SE_NS0_5tupleIJPjSE_EEENSF_IJSE_SE_EEES9_SG_JZNS1_25segmented_radix_sort_implINS0_14default_configELb0EPKlPlSM_SN_N2at6native12_GLOBAL__N_18offset_tEEE10hipError_tPvRmT1_PNSt15iterator_traitsISV_E10value_typeET2_T3_PNSW_IS11_E10value_typeET4_jRbjT5_S17_jjP12ihipStream_tbEUljE_EEESS_ST_SU_S11_S15_S17_T6_T7_T9_mT8_S19_bDpT10_ENKUlT_T0_E_clISt17integral_constantIbLb0EES1L_IbLb1EEEEDaS1H_S1I_EUlS1H_E_NS1_11comp_targetILNS1_3genE5ELNS1_11target_archE942ELNS1_3gpuE9ELNS1_3repE0EEENS1_30default_config_static_selectorELNS0_4arch9wavefront6targetE0EEEvSV_,"axG",@progbits,_ZN7rocprim17ROCPRIM_400000_NS6detail17trampoline_kernelINS0_13select_configILj256ELj13ELNS0_17block_load_methodE3ELS4_3ELS4_3ELNS0_20block_scan_algorithmE0ELj4294967295EEENS1_25partition_config_selectorILNS1_17partition_subalgoE3EjNS0_10empty_typeEbEEZZNS1_14partition_implILS8_3ELb0ES6_jNS0_17counting_iteratorIjlEEPS9_SE_NS0_5tupleIJPjSE_EEENSF_IJSE_SE_EEES9_SG_JZNS1_25segmented_radix_sort_implINS0_14default_configELb0EPKlPlSM_SN_N2at6native12_GLOBAL__N_18offset_tEEE10hipError_tPvRmT1_PNSt15iterator_traitsISV_E10value_typeET2_T3_PNSW_IS11_E10value_typeET4_jRbjT5_S17_jjP12ihipStream_tbEUljE_EEESS_ST_SU_S11_S15_S17_T6_T7_T9_mT8_S19_bDpT10_ENKUlT_T0_E_clISt17integral_constantIbLb0EES1L_IbLb1EEEEDaS1H_S1I_EUlS1H_E_NS1_11comp_targetILNS1_3genE5ELNS1_11target_archE942ELNS1_3gpuE9ELNS1_3repE0EEENS1_30default_config_static_selectorELNS0_4arch9wavefront6targetE0EEEvSV_,comdat
.Lfunc_end794:
	.size	_ZN7rocprim17ROCPRIM_400000_NS6detail17trampoline_kernelINS0_13select_configILj256ELj13ELNS0_17block_load_methodE3ELS4_3ELS4_3ELNS0_20block_scan_algorithmE0ELj4294967295EEENS1_25partition_config_selectorILNS1_17partition_subalgoE3EjNS0_10empty_typeEbEEZZNS1_14partition_implILS8_3ELb0ES6_jNS0_17counting_iteratorIjlEEPS9_SE_NS0_5tupleIJPjSE_EEENSF_IJSE_SE_EEES9_SG_JZNS1_25segmented_radix_sort_implINS0_14default_configELb0EPKlPlSM_SN_N2at6native12_GLOBAL__N_18offset_tEEE10hipError_tPvRmT1_PNSt15iterator_traitsISV_E10value_typeET2_T3_PNSW_IS11_E10value_typeET4_jRbjT5_S17_jjP12ihipStream_tbEUljE_EEESS_ST_SU_S11_S15_S17_T6_T7_T9_mT8_S19_bDpT10_ENKUlT_T0_E_clISt17integral_constantIbLb0EES1L_IbLb1EEEEDaS1H_S1I_EUlS1H_E_NS1_11comp_targetILNS1_3genE5ELNS1_11target_archE942ELNS1_3gpuE9ELNS1_3repE0EEENS1_30default_config_static_selectorELNS0_4arch9wavefront6targetE0EEEvSV_, .Lfunc_end794-_ZN7rocprim17ROCPRIM_400000_NS6detail17trampoline_kernelINS0_13select_configILj256ELj13ELNS0_17block_load_methodE3ELS4_3ELS4_3ELNS0_20block_scan_algorithmE0ELj4294967295EEENS1_25partition_config_selectorILNS1_17partition_subalgoE3EjNS0_10empty_typeEbEEZZNS1_14partition_implILS8_3ELb0ES6_jNS0_17counting_iteratorIjlEEPS9_SE_NS0_5tupleIJPjSE_EEENSF_IJSE_SE_EEES9_SG_JZNS1_25segmented_radix_sort_implINS0_14default_configELb0EPKlPlSM_SN_N2at6native12_GLOBAL__N_18offset_tEEE10hipError_tPvRmT1_PNSt15iterator_traitsISV_E10value_typeET2_T3_PNSW_IS11_E10value_typeET4_jRbjT5_S17_jjP12ihipStream_tbEUljE_EEESS_ST_SU_S11_S15_S17_T6_T7_T9_mT8_S19_bDpT10_ENKUlT_T0_E_clISt17integral_constantIbLb0EES1L_IbLb1EEEEDaS1H_S1I_EUlS1H_E_NS1_11comp_targetILNS1_3genE5ELNS1_11target_archE942ELNS1_3gpuE9ELNS1_3repE0EEENS1_30default_config_static_selectorELNS0_4arch9wavefront6targetE0EEEvSV_
                                        ; -- End function
	.set _ZN7rocprim17ROCPRIM_400000_NS6detail17trampoline_kernelINS0_13select_configILj256ELj13ELNS0_17block_load_methodE3ELS4_3ELS4_3ELNS0_20block_scan_algorithmE0ELj4294967295EEENS1_25partition_config_selectorILNS1_17partition_subalgoE3EjNS0_10empty_typeEbEEZZNS1_14partition_implILS8_3ELb0ES6_jNS0_17counting_iteratorIjlEEPS9_SE_NS0_5tupleIJPjSE_EEENSF_IJSE_SE_EEES9_SG_JZNS1_25segmented_radix_sort_implINS0_14default_configELb0EPKlPlSM_SN_N2at6native12_GLOBAL__N_18offset_tEEE10hipError_tPvRmT1_PNSt15iterator_traitsISV_E10value_typeET2_T3_PNSW_IS11_E10value_typeET4_jRbjT5_S17_jjP12ihipStream_tbEUljE_EEESS_ST_SU_S11_S15_S17_T6_T7_T9_mT8_S19_bDpT10_ENKUlT_T0_E_clISt17integral_constantIbLb0EES1L_IbLb1EEEEDaS1H_S1I_EUlS1H_E_NS1_11comp_targetILNS1_3genE5ELNS1_11target_archE942ELNS1_3gpuE9ELNS1_3repE0EEENS1_30default_config_static_selectorELNS0_4arch9wavefront6targetE0EEEvSV_.num_vgpr, 0
	.set _ZN7rocprim17ROCPRIM_400000_NS6detail17trampoline_kernelINS0_13select_configILj256ELj13ELNS0_17block_load_methodE3ELS4_3ELS4_3ELNS0_20block_scan_algorithmE0ELj4294967295EEENS1_25partition_config_selectorILNS1_17partition_subalgoE3EjNS0_10empty_typeEbEEZZNS1_14partition_implILS8_3ELb0ES6_jNS0_17counting_iteratorIjlEEPS9_SE_NS0_5tupleIJPjSE_EEENSF_IJSE_SE_EEES9_SG_JZNS1_25segmented_radix_sort_implINS0_14default_configELb0EPKlPlSM_SN_N2at6native12_GLOBAL__N_18offset_tEEE10hipError_tPvRmT1_PNSt15iterator_traitsISV_E10value_typeET2_T3_PNSW_IS11_E10value_typeET4_jRbjT5_S17_jjP12ihipStream_tbEUljE_EEESS_ST_SU_S11_S15_S17_T6_T7_T9_mT8_S19_bDpT10_ENKUlT_T0_E_clISt17integral_constantIbLb0EES1L_IbLb1EEEEDaS1H_S1I_EUlS1H_E_NS1_11comp_targetILNS1_3genE5ELNS1_11target_archE942ELNS1_3gpuE9ELNS1_3repE0EEENS1_30default_config_static_selectorELNS0_4arch9wavefront6targetE0EEEvSV_.num_agpr, 0
	.set _ZN7rocprim17ROCPRIM_400000_NS6detail17trampoline_kernelINS0_13select_configILj256ELj13ELNS0_17block_load_methodE3ELS4_3ELS4_3ELNS0_20block_scan_algorithmE0ELj4294967295EEENS1_25partition_config_selectorILNS1_17partition_subalgoE3EjNS0_10empty_typeEbEEZZNS1_14partition_implILS8_3ELb0ES6_jNS0_17counting_iteratorIjlEEPS9_SE_NS0_5tupleIJPjSE_EEENSF_IJSE_SE_EEES9_SG_JZNS1_25segmented_radix_sort_implINS0_14default_configELb0EPKlPlSM_SN_N2at6native12_GLOBAL__N_18offset_tEEE10hipError_tPvRmT1_PNSt15iterator_traitsISV_E10value_typeET2_T3_PNSW_IS11_E10value_typeET4_jRbjT5_S17_jjP12ihipStream_tbEUljE_EEESS_ST_SU_S11_S15_S17_T6_T7_T9_mT8_S19_bDpT10_ENKUlT_T0_E_clISt17integral_constantIbLb0EES1L_IbLb1EEEEDaS1H_S1I_EUlS1H_E_NS1_11comp_targetILNS1_3genE5ELNS1_11target_archE942ELNS1_3gpuE9ELNS1_3repE0EEENS1_30default_config_static_selectorELNS0_4arch9wavefront6targetE0EEEvSV_.numbered_sgpr, 0
	.set _ZN7rocprim17ROCPRIM_400000_NS6detail17trampoline_kernelINS0_13select_configILj256ELj13ELNS0_17block_load_methodE3ELS4_3ELS4_3ELNS0_20block_scan_algorithmE0ELj4294967295EEENS1_25partition_config_selectorILNS1_17partition_subalgoE3EjNS0_10empty_typeEbEEZZNS1_14partition_implILS8_3ELb0ES6_jNS0_17counting_iteratorIjlEEPS9_SE_NS0_5tupleIJPjSE_EEENSF_IJSE_SE_EEES9_SG_JZNS1_25segmented_radix_sort_implINS0_14default_configELb0EPKlPlSM_SN_N2at6native12_GLOBAL__N_18offset_tEEE10hipError_tPvRmT1_PNSt15iterator_traitsISV_E10value_typeET2_T3_PNSW_IS11_E10value_typeET4_jRbjT5_S17_jjP12ihipStream_tbEUljE_EEESS_ST_SU_S11_S15_S17_T6_T7_T9_mT8_S19_bDpT10_ENKUlT_T0_E_clISt17integral_constantIbLb0EES1L_IbLb1EEEEDaS1H_S1I_EUlS1H_E_NS1_11comp_targetILNS1_3genE5ELNS1_11target_archE942ELNS1_3gpuE9ELNS1_3repE0EEENS1_30default_config_static_selectorELNS0_4arch9wavefront6targetE0EEEvSV_.num_named_barrier, 0
	.set _ZN7rocprim17ROCPRIM_400000_NS6detail17trampoline_kernelINS0_13select_configILj256ELj13ELNS0_17block_load_methodE3ELS4_3ELS4_3ELNS0_20block_scan_algorithmE0ELj4294967295EEENS1_25partition_config_selectorILNS1_17partition_subalgoE3EjNS0_10empty_typeEbEEZZNS1_14partition_implILS8_3ELb0ES6_jNS0_17counting_iteratorIjlEEPS9_SE_NS0_5tupleIJPjSE_EEENSF_IJSE_SE_EEES9_SG_JZNS1_25segmented_radix_sort_implINS0_14default_configELb0EPKlPlSM_SN_N2at6native12_GLOBAL__N_18offset_tEEE10hipError_tPvRmT1_PNSt15iterator_traitsISV_E10value_typeET2_T3_PNSW_IS11_E10value_typeET4_jRbjT5_S17_jjP12ihipStream_tbEUljE_EEESS_ST_SU_S11_S15_S17_T6_T7_T9_mT8_S19_bDpT10_ENKUlT_T0_E_clISt17integral_constantIbLb0EES1L_IbLb1EEEEDaS1H_S1I_EUlS1H_E_NS1_11comp_targetILNS1_3genE5ELNS1_11target_archE942ELNS1_3gpuE9ELNS1_3repE0EEENS1_30default_config_static_selectorELNS0_4arch9wavefront6targetE0EEEvSV_.private_seg_size, 0
	.set _ZN7rocprim17ROCPRIM_400000_NS6detail17trampoline_kernelINS0_13select_configILj256ELj13ELNS0_17block_load_methodE3ELS4_3ELS4_3ELNS0_20block_scan_algorithmE0ELj4294967295EEENS1_25partition_config_selectorILNS1_17partition_subalgoE3EjNS0_10empty_typeEbEEZZNS1_14partition_implILS8_3ELb0ES6_jNS0_17counting_iteratorIjlEEPS9_SE_NS0_5tupleIJPjSE_EEENSF_IJSE_SE_EEES9_SG_JZNS1_25segmented_radix_sort_implINS0_14default_configELb0EPKlPlSM_SN_N2at6native12_GLOBAL__N_18offset_tEEE10hipError_tPvRmT1_PNSt15iterator_traitsISV_E10value_typeET2_T3_PNSW_IS11_E10value_typeET4_jRbjT5_S17_jjP12ihipStream_tbEUljE_EEESS_ST_SU_S11_S15_S17_T6_T7_T9_mT8_S19_bDpT10_ENKUlT_T0_E_clISt17integral_constantIbLb0EES1L_IbLb1EEEEDaS1H_S1I_EUlS1H_E_NS1_11comp_targetILNS1_3genE5ELNS1_11target_archE942ELNS1_3gpuE9ELNS1_3repE0EEENS1_30default_config_static_selectorELNS0_4arch9wavefront6targetE0EEEvSV_.uses_vcc, 0
	.set _ZN7rocprim17ROCPRIM_400000_NS6detail17trampoline_kernelINS0_13select_configILj256ELj13ELNS0_17block_load_methodE3ELS4_3ELS4_3ELNS0_20block_scan_algorithmE0ELj4294967295EEENS1_25partition_config_selectorILNS1_17partition_subalgoE3EjNS0_10empty_typeEbEEZZNS1_14partition_implILS8_3ELb0ES6_jNS0_17counting_iteratorIjlEEPS9_SE_NS0_5tupleIJPjSE_EEENSF_IJSE_SE_EEES9_SG_JZNS1_25segmented_radix_sort_implINS0_14default_configELb0EPKlPlSM_SN_N2at6native12_GLOBAL__N_18offset_tEEE10hipError_tPvRmT1_PNSt15iterator_traitsISV_E10value_typeET2_T3_PNSW_IS11_E10value_typeET4_jRbjT5_S17_jjP12ihipStream_tbEUljE_EEESS_ST_SU_S11_S15_S17_T6_T7_T9_mT8_S19_bDpT10_ENKUlT_T0_E_clISt17integral_constantIbLb0EES1L_IbLb1EEEEDaS1H_S1I_EUlS1H_E_NS1_11comp_targetILNS1_3genE5ELNS1_11target_archE942ELNS1_3gpuE9ELNS1_3repE0EEENS1_30default_config_static_selectorELNS0_4arch9wavefront6targetE0EEEvSV_.uses_flat_scratch, 0
	.set _ZN7rocprim17ROCPRIM_400000_NS6detail17trampoline_kernelINS0_13select_configILj256ELj13ELNS0_17block_load_methodE3ELS4_3ELS4_3ELNS0_20block_scan_algorithmE0ELj4294967295EEENS1_25partition_config_selectorILNS1_17partition_subalgoE3EjNS0_10empty_typeEbEEZZNS1_14partition_implILS8_3ELb0ES6_jNS0_17counting_iteratorIjlEEPS9_SE_NS0_5tupleIJPjSE_EEENSF_IJSE_SE_EEES9_SG_JZNS1_25segmented_radix_sort_implINS0_14default_configELb0EPKlPlSM_SN_N2at6native12_GLOBAL__N_18offset_tEEE10hipError_tPvRmT1_PNSt15iterator_traitsISV_E10value_typeET2_T3_PNSW_IS11_E10value_typeET4_jRbjT5_S17_jjP12ihipStream_tbEUljE_EEESS_ST_SU_S11_S15_S17_T6_T7_T9_mT8_S19_bDpT10_ENKUlT_T0_E_clISt17integral_constantIbLb0EES1L_IbLb1EEEEDaS1H_S1I_EUlS1H_E_NS1_11comp_targetILNS1_3genE5ELNS1_11target_archE942ELNS1_3gpuE9ELNS1_3repE0EEENS1_30default_config_static_selectorELNS0_4arch9wavefront6targetE0EEEvSV_.has_dyn_sized_stack, 0
	.set _ZN7rocprim17ROCPRIM_400000_NS6detail17trampoline_kernelINS0_13select_configILj256ELj13ELNS0_17block_load_methodE3ELS4_3ELS4_3ELNS0_20block_scan_algorithmE0ELj4294967295EEENS1_25partition_config_selectorILNS1_17partition_subalgoE3EjNS0_10empty_typeEbEEZZNS1_14partition_implILS8_3ELb0ES6_jNS0_17counting_iteratorIjlEEPS9_SE_NS0_5tupleIJPjSE_EEENSF_IJSE_SE_EEES9_SG_JZNS1_25segmented_radix_sort_implINS0_14default_configELb0EPKlPlSM_SN_N2at6native12_GLOBAL__N_18offset_tEEE10hipError_tPvRmT1_PNSt15iterator_traitsISV_E10value_typeET2_T3_PNSW_IS11_E10value_typeET4_jRbjT5_S17_jjP12ihipStream_tbEUljE_EEESS_ST_SU_S11_S15_S17_T6_T7_T9_mT8_S19_bDpT10_ENKUlT_T0_E_clISt17integral_constantIbLb0EES1L_IbLb1EEEEDaS1H_S1I_EUlS1H_E_NS1_11comp_targetILNS1_3genE5ELNS1_11target_archE942ELNS1_3gpuE9ELNS1_3repE0EEENS1_30default_config_static_selectorELNS0_4arch9wavefront6targetE0EEEvSV_.has_recursion, 0
	.set _ZN7rocprim17ROCPRIM_400000_NS6detail17trampoline_kernelINS0_13select_configILj256ELj13ELNS0_17block_load_methodE3ELS4_3ELS4_3ELNS0_20block_scan_algorithmE0ELj4294967295EEENS1_25partition_config_selectorILNS1_17partition_subalgoE3EjNS0_10empty_typeEbEEZZNS1_14partition_implILS8_3ELb0ES6_jNS0_17counting_iteratorIjlEEPS9_SE_NS0_5tupleIJPjSE_EEENSF_IJSE_SE_EEES9_SG_JZNS1_25segmented_radix_sort_implINS0_14default_configELb0EPKlPlSM_SN_N2at6native12_GLOBAL__N_18offset_tEEE10hipError_tPvRmT1_PNSt15iterator_traitsISV_E10value_typeET2_T3_PNSW_IS11_E10value_typeET4_jRbjT5_S17_jjP12ihipStream_tbEUljE_EEESS_ST_SU_S11_S15_S17_T6_T7_T9_mT8_S19_bDpT10_ENKUlT_T0_E_clISt17integral_constantIbLb0EES1L_IbLb1EEEEDaS1H_S1I_EUlS1H_E_NS1_11comp_targetILNS1_3genE5ELNS1_11target_archE942ELNS1_3gpuE9ELNS1_3repE0EEENS1_30default_config_static_selectorELNS0_4arch9wavefront6targetE0EEEvSV_.has_indirect_call, 0
	.section	.AMDGPU.csdata,"",@progbits
; Kernel info:
; codeLenInByte = 0
; TotalNumSgprs: 0
; NumVgprs: 0
; ScratchSize: 0
; MemoryBound: 0
; FloatMode: 240
; IeeeMode: 1
; LDSByteSize: 0 bytes/workgroup (compile time only)
; SGPRBlocks: 0
; VGPRBlocks: 0
; NumSGPRsForWavesPerEU: 1
; NumVGPRsForWavesPerEU: 1
; Occupancy: 16
; WaveLimiterHint : 0
; COMPUTE_PGM_RSRC2:SCRATCH_EN: 0
; COMPUTE_PGM_RSRC2:USER_SGPR: 6
; COMPUTE_PGM_RSRC2:TRAP_HANDLER: 0
; COMPUTE_PGM_RSRC2:TGID_X_EN: 1
; COMPUTE_PGM_RSRC2:TGID_Y_EN: 0
; COMPUTE_PGM_RSRC2:TGID_Z_EN: 0
; COMPUTE_PGM_RSRC2:TIDIG_COMP_CNT: 0
	.section	.text._ZN7rocprim17ROCPRIM_400000_NS6detail17trampoline_kernelINS0_13select_configILj256ELj13ELNS0_17block_load_methodE3ELS4_3ELS4_3ELNS0_20block_scan_algorithmE0ELj4294967295EEENS1_25partition_config_selectorILNS1_17partition_subalgoE3EjNS0_10empty_typeEbEEZZNS1_14partition_implILS8_3ELb0ES6_jNS0_17counting_iteratorIjlEEPS9_SE_NS0_5tupleIJPjSE_EEENSF_IJSE_SE_EEES9_SG_JZNS1_25segmented_radix_sort_implINS0_14default_configELb0EPKlPlSM_SN_N2at6native12_GLOBAL__N_18offset_tEEE10hipError_tPvRmT1_PNSt15iterator_traitsISV_E10value_typeET2_T3_PNSW_IS11_E10value_typeET4_jRbjT5_S17_jjP12ihipStream_tbEUljE_EEESS_ST_SU_S11_S15_S17_T6_T7_T9_mT8_S19_bDpT10_ENKUlT_T0_E_clISt17integral_constantIbLb0EES1L_IbLb1EEEEDaS1H_S1I_EUlS1H_E_NS1_11comp_targetILNS1_3genE4ELNS1_11target_archE910ELNS1_3gpuE8ELNS1_3repE0EEENS1_30default_config_static_selectorELNS0_4arch9wavefront6targetE0EEEvSV_,"axG",@progbits,_ZN7rocprim17ROCPRIM_400000_NS6detail17trampoline_kernelINS0_13select_configILj256ELj13ELNS0_17block_load_methodE3ELS4_3ELS4_3ELNS0_20block_scan_algorithmE0ELj4294967295EEENS1_25partition_config_selectorILNS1_17partition_subalgoE3EjNS0_10empty_typeEbEEZZNS1_14partition_implILS8_3ELb0ES6_jNS0_17counting_iteratorIjlEEPS9_SE_NS0_5tupleIJPjSE_EEENSF_IJSE_SE_EEES9_SG_JZNS1_25segmented_radix_sort_implINS0_14default_configELb0EPKlPlSM_SN_N2at6native12_GLOBAL__N_18offset_tEEE10hipError_tPvRmT1_PNSt15iterator_traitsISV_E10value_typeET2_T3_PNSW_IS11_E10value_typeET4_jRbjT5_S17_jjP12ihipStream_tbEUljE_EEESS_ST_SU_S11_S15_S17_T6_T7_T9_mT8_S19_bDpT10_ENKUlT_T0_E_clISt17integral_constantIbLb0EES1L_IbLb1EEEEDaS1H_S1I_EUlS1H_E_NS1_11comp_targetILNS1_3genE4ELNS1_11target_archE910ELNS1_3gpuE8ELNS1_3repE0EEENS1_30default_config_static_selectorELNS0_4arch9wavefront6targetE0EEEvSV_,comdat
	.globl	_ZN7rocprim17ROCPRIM_400000_NS6detail17trampoline_kernelINS0_13select_configILj256ELj13ELNS0_17block_load_methodE3ELS4_3ELS4_3ELNS0_20block_scan_algorithmE0ELj4294967295EEENS1_25partition_config_selectorILNS1_17partition_subalgoE3EjNS0_10empty_typeEbEEZZNS1_14partition_implILS8_3ELb0ES6_jNS0_17counting_iteratorIjlEEPS9_SE_NS0_5tupleIJPjSE_EEENSF_IJSE_SE_EEES9_SG_JZNS1_25segmented_radix_sort_implINS0_14default_configELb0EPKlPlSM_SN_N2at6native12_GLOBAL__N_18offset_tEEE10hipError_tPvRmT1_PNSt15iterator_traitsISV_E10value_typeET2_T3_PNSW_IS11_E10value_typeET4_jRbjT5_S17_jjP12ihipStream_tbEUljE_EEESS_ST_SU_S11_S15_S17_T6_T7_T9_mT8_S19_bDpT10_ENKUlT_T0_E_clISt17integral_constantIbLb0EES1L_IbLb1EEEEDaS1H_S1I_EUlS1H_E_NS1_11comp_targetILNS1_3genE4ELNS1_11target_archE910ELNS1_3gpuE8ELNS1_3repE0EEENS1_30default_config_static_selectorELNS0_4arch9wavefront6targetE0EEEvSV_ ; -- Begin function _ZN7rocprim17ROCPRIM_400000_NS6detail17trampoline_kernelINS0_13select_configILj256ELj13ELNS0_17block_load_methodE3ELS4_3ELS4_3ELNS0_20block_scan_algorithmE0ELj4294967295EEENS1_25partition_config_selectorILNS1_17partition_subalgoE3EjNS0_10empty_typeEbEEZZNS1_14partition_implILS8_3ELb0ES6_jNS0_17counting_iteratorIjlEEPS9_SE_NS0_5tupleIJPjSE_EEENSF_IJSE_SE_EEES9_SG_JZNS1_25segmented_radix_sort_implINS0_14default_configELb0EPKlPlSM_SN_N2at6native12_GLOBAL__N_18offset_tEEE10hipError_tPvRmT1_PNSt15iterator_traitsISV_E10value_typeET2_T3_PNSW_IS11_E10value_typeET4_jRbjT5_S17_jjP12ihipStream_tbEUljE_EEESS_ST_SU_S11_S15_S17_T6_T7_T9_mT8_S19_bDpT10_ENKUlT_T0_E_clISt17integral_constantIbLb0EES1L_IbLb1EEEEDaS1H_S1I_EUlS1H_E_NS1_11comp_targetILNS1_3genE4ELNS1_11target_archE910ELNS1_3gpuE8ELNS1_3repE0EEENS1_30default_config_static_selectorELNS0_4arch9wavefront6targetE0EEEvSV_
	.p2align	8
	.type	_ZN7rocprim17ROCPRIM_400000_NS6detail17trampoline_kernelINS0_13select_configILj256ELj13ELNS0_17block_load_methodE3ELS4_3ELS4_3ELNS0_20block_scan_algorithmE0ELj4294967295EEENS1_25partition_config_selectorILNS1_17partition_subalgoE3EjNS0_10empty_typeEbEEZZNS1_14partition_implILS8_3ELb0ES6_jNS0_17counting_iteratorIjlEEPS9_SE_NS0_5tupleIJPjSE_EEENSF_IJSE_SE_EEES9_SG_JZNS1_25segmented_radix_sort_implINS0_14default_configELb0EPKlPlSM_SN_N2at6native12_GLOBAL__N_18offset_tEEE10hipError_tPvRmT1_PNSt15iterator_traitsISV_E10value_typeET2_T3_PNSW_IS11_E10value_typeET4_jRbjT5_S17_jjP12ihipStream_tbEUljE_EEESS_ST_SU_S11_S15_S17_T6_T7_T9_mT8_S19_bDpT10_ENKUlT_T0_E_clISt17integral_constantIbLb0EES1L_IbLb1EEEEDaS1H_S1I_EUlS1H_E_NS1_11comp_targetILNS1_3genE4ELNS1_11target_archE910ELNS1_3gpuE8ELNS1_3repE0EEENS1_30default_config_static_selectorELNS0_4arch9wavefront6targetE0EEEvSV_,@function
_ZN7rocprim17ROCPRIM_400000_NS6detail17trampoline_kernelINS0_13select_configILj256ELj13ELNS0_17block_load_methodE3ELS4_3ELS4_3ELNS0_20block_scan_algorithmE0ELj4294967295EEENS1_25partition_config_selectorILNS1_17partition_subalgoE3EjNS0_10empty_typeEbEEZZNS1_14partition_implILS8_3ELb0ES6_jNS0_17counting_iteratorIjlEEPS9_SE_NS0_5tupleIJPjSE_EEENSF_IJSE_SE_EEES9_SG_JZNS1_25segmented_radix_sort_implINS0_14default_configELb0EPKlPlSM_SN_N2at6native12_GLOBAL__N_18offset_tEEE10hipError_tPvRmT1_PNSt15iterator_traitsISV_E10value_typeET2_T3_PNSW_IS11_E10value_typeET4_jRbjT5_S17_jjP12ihipStream_tbEUljE_EEESS_ST_SU_S11_S15_S17_T6_T7_T9_mT8_S19_bDpT10_ENKUlT_T0_E_clISt17integral_constantIbLb0EES1L_IbLb1EEEEDaS1H_S1I_EUlS1H_E_NS1_11comp_targetILNS1_3genE4ELNS1_11target_archE910ELNS1_3gpuE8ELNS1_3repE0EEENS1_30default_config_static_selectorELNS0_4arch9wavefront6targetE0EEEvSV_: ; @_ZN7rocprim17ROCPRIM_400000_NS6detail17trampoline_kernelINS0_13select_configILj256ELj13ELNS0_17block_load_methodE3ELS4_3ELS4_3ELNS0_20block_scan_algorithmE0ELj4294967295EEENS1_25partition_config_selectorILNS1_17partition_subalgoE3EjNS0_10empty_typeEbEEZZNS1_14partition_implILS8_3ELb0ES6_jNS0_17counting_iteratorIjlEEPS9_SE_NS0_5tupleIJPjSE_EEENSF_IJSE_SE_EEES9_SG_JZNS1_25segmented_radix_sort_implINS0_14default_configELb0EPKlPlSM_SN_N2at6native12_GLOBAL__N_18offset_tEEE10hipError_tPvRmT1_PNSt15iterator_traitsISV_E10value_typeET2_T3_PNSW_IS11_E10value_typeET4_jRbjT5_S17_jjP12ihipStream_tbEUljE_EEESS_ST_SU_S11_S15_S17_T6_T7_T9_mT8_S19_bDpT10_ENKUlT_T0_E_clISt17integral_constantIbLb0EES1L_IbLb1EEEEDaS1H_S1I_EUlS1H_E_NS1_11comp_targetILNS1_3genE4ELNS1_11target_archE910ELNS1_3gpuE8ELNS1_3repE0EEENS1_30default_config_static_selectorELNS0_4arch9wavefront6targetE0EEEvSV_
; %bb.0:
	.section	.rodata,"a",@progbits
	.p2align	6, 0x0
	.amdhsa_kernel _ZN7rocprim17ROCPRIM_400000_NS6detail17trampoline_kernelINS0_13select_configILj256ELj13ELNS0_17block_load_methodE3ELS4_3ELS4_3ELNS0_20block_scan_algorithmE0ELj4294967295EEENS1_25partition_config_selectorILNS1_17partition_subalgoE3EjNS0_10empty_typeEbEEZZNS1_14partition_implILS8_3ELb0ES6_jNS0_17counting_iteratorIjlEEPS9_SE_NS0_5tupleIJPjSE_EEENSF_IJSE_SE_EEES9_SG_JZNS1_25segmented_radix_sort_implINS0_14default_configELb0EPKlPlSM_SN_N2at6native12_GLOBAL__N_18offset_tEEE10hipError_tPvRmT1_PNSt15iterator_traitsISV_E10value_typeET2_T3_PNSW_IS11_E10value_typeET4_jRbjT5_S17_jjP12ihipStream_tbEUljE_EEESS_ST_SU_S11_S15_S17_T6_T7_T9_mT8_S19_bDpT10_ENKUlT_T0_E_clISt17integral_constantIbLb0EES1L_IbLb1EEEEDaS1H_S1I_EUlS1H_E_NS1_11comp_targetILNS1_3genE4ELNS1_11target_archE910ELNS1_3gpuE8ELNS1_3repE0EEENS1_30default_config_static_selectorELNS0_4arch9wavefront6targetE0EEEvSV_
		.amdhsa_group_segment_fixed_size 0
		.amdhsa_private_segment_fixed_size 0
		.amdhsa_kernarg_size 152
		.amdhsa_user_sgpr_count 6
		.amdhsa_user_sgpr_private_segment_buffer 1
		.amdhsa_user_sgpr_dispatch_ptr 0
		.amdhsa_user_sgpr_queue_ptr 0
		.amdhsa_user_sgpr_kernarg_segment_ptr 1
		.amdhsa_user_sgpr_dispatch_id 0
		.amdhsa_user_sgpr_flat_scratch_init 0
		.amdhsa_user_sgpr_private_segment_size 0
		.amdhsa_wavefront_size32 1
		.amdhsa_uses_dynamic_stack 0
		.amdhsa_system_sgpr_private_segment_wavefront_offset 0
		.amdhsa_system_sgpr_workgroup_id_x 1
		.amdhsa_system_sgpr_workgroup_id_y 0
		.amdhsa_system_sgpr_workgroup_id_z 0
		.amdhsa_system_sgpr_workgroup_info 0
		.amdhsa_system_vgpr_workitem_id 0
		.amdhsa_next_free_vgpr 1
		.amdhsa_next_free_sgpr 1
		.amdhsa_reserve_vcc 0
		.amdhsa_reserve_flat_scratch 0
		.amdhsa_float_round_mode_32 0
		.amdhsa_float_round_mode_16_64 0
		.amdhsa_float_denorm_mode_32 3
		.amdhsa_float_denorm_mode_16_64 3
		.amdhsa_dx10_clamp 1
		.amdhsa_ieee_mode 1
		.amdhsa_fp16_overflow 0
		.amdhsa_workgroup_processor_mode 1
		.amdhsa_memory_ordered 1
		.amdhsa_forward_progress 1
		.amdhsa_shared_vgpr_count 0
		.amdhsa_exception_fp_ieee_invalid_op 0
		.amdhsa_exception_fp_denorm_src 0
		.amdhsa_exception_fp_ieee_div_zero 0
		.amdhsa_exception_fp_ieee_overflow 0
		.amdhsa_exception_fp_ieee_underflow 0
		.amdhsa_exception_fp_ieee_inexact 0
		.amdhsa_exception_int_div_zero 0
	.end_amdhsa_kernel
	.section	.text._ZN7rocprim17ROCPRIM_400000_NS6detail17trampoline_kernelINS0_13select_configILj256ELj13ELNS0_17block_load_methodE3ELS4_3ELS4_3ELNS0_20block_scan_algorithmE0ELj4294967295EEENS1_25partition_config_selectorILNS1_17partition_subalgoE3EjNS0_10empty_typeEbEEZZNS1_14partition_implILS8_3ELb0ES6_jNS0_17counting_iteratorIjlEEPS9_SE_NS0_5tupleIJPjSE_EEENSF_IJSE_SE_EEES9_SG_JZNS1_25segmented_radix_sort_implINS0_14default_configELb0EPKlPlSM_SN_N2at6native12_GLOBAL__N_18offset_tEEE10hipError_tPvRmT1_PNSt15iterator_traitsISV_E10value_typeET2_T3_PNSW_IS11_E10value_typeET4_jRbjT5_S17_jjP12ihipStream_tbEUljE_EEESS_ST_SU_S11_S15_S17_T6_T7_T9_mT8_S19_bDpT10_ENKUlT_T0_E_clISt17integral_constantIbLb0EES1L_IbLb1EEEEDaS1H_S1I_EUlS1H_E_NS1_11comp_targetILNS1_3genE4ELNS1_11target_archE910ELNS1_3gpuE8ELNS1_3repE0EEENS1_30default_config_static_selectorELNS0_4arch9wavefront6targetE0EEEvSV_,"axG",@progbits,_ZN7rocprim17ROCPRIM_400000_NS6detail17trampoline_kernelINS0_13select_configILj256ELj13ELNS0_17block_load_methodE3ELS4_3ELS4_3ELNS0_20block_scan_algorithmE0ELj4294967295EEENS1_25partition_config_selectorILNS1_17partition_subalgoE3EjNS0_10empty_typeEbEEZZNS1_14partition_implILS8_3ELb0ES6_jNS0_17counting_iteratorIjlEEPS9_SE_NS0_5tupleIJPjSE_EEENSF_IJSE_SE_EEES9_SG_JZNS1_25segmented_radix_sort_implINS0_14default_configELb0EPKlPlSM_SN_N2at6native12_GLOBAL__N_18offset_tEEE10hipError_tPvRmT1_PNSt15iterator_traitsISV_E10value_typeET2_T3_PNSW_IS11_E10value_typeET4_jRbjT5_S17_jjP12ihipStream_tbEUljE_EEESS_ST_SU_S11_S15_S17_T6_T7_T9_mT8_S19_bDpT10_ENKUlT_T0_E_clISt17integral_constantIbLb0EES1L_IbLb1EEEEDaS1H_S1I_EUlS1H_E_NS1_11comp_targetILNS1_3genE4ELNS1_11target_archE910ELNS1_3gpuE8ELNS1_3repE0EEENS1_30default_config_static_selectorELNS0_4arch9wavefront6targetE0EEEvSV_,comdat
.Lfunc_end795:
	.size	_ZN7rocprim17ROCPRIM_400000_NS6detail17trampoline_kernelINS0_13select_configILj256ELj13ELNS0_17block_load_methodE3ELS4_3ELS4_3ELNS0_20block_scan_algorithmE0ELj4294967295EEENS1_25partition_config_selectorILNS1_17partition_subalgoE3EjNS0_10empty_typeEbEEZZNS1_14partition_implILS8_3ELb0ES6_jNS0_17counting_iteratorIjlEEPS9_SE_NS0_5tupleIJPjSE_EEENSF_IJSE_SE_EEES9_SG_JZNS1_25segmented_radix_sort_implINS0_14default_configELb0EPKlPlSM_SN_N2at6native12_GLOBAL__N_18offset_tEEE10hipError_tPvRmT1_PNSt15iterator_traitsISV_E10value_typeET2_T3_PNSW_IS11_E10value_typeET4_jRbjT5_S17_jjP12ihipStream_tbEUljE_EEESS_ST_SU_S11_S15_S17_T6_T7_T9_mT8_S19_bDpT10_ENKUlT_T0_E_clISt17integral_constantIbLb0EES1L_IbLb1EEEEDaS1H_S1I_EUlS1H_E_NS1_11comp_targetILNS1_3genE4ELNS1_11target_archE910ELNS1_3gpuE8ELNS1_3repE0EEENS1_30default_config_static_selectorELNS0_4arch9wavefront6targetE0EEEvSV_, .Lfunc_end795-_ZN7rocprim17ROCPRIM_400000_NS6detail17trampoline_kernelINS0_13select_configILj256ELj13ELNS0_17block_load_methodE3ELS4_3ELS4_3ELNS0_20block_scan_algorithmE0ELj4294967295EEENS1_25partition_config_selectorILNS1_17partition_subalgoE3EjNS0_10empty_typeEbEEZZNS1_14partition_implILS8_3ELb0ES6_jNS0_17counting_iteratorIjlEEPS9_SE_NS0_5tupleIJPjSE_EEENSF_IJSE_SE_EEES9_SG_JZNS1_25segmented_radix_sort_implINS0_14default_configELb0EPKlPlSM_SN_N2at6native12_GLOBAL__N_18offset_tEEE10hipError_tPvRmT1_PNSt15iterator_traitsISV_E10value_typeET2_T3_PNSW_IS11_E10value_typeET4_jRbjT5_S17_jjP12ihipStream_tbEUljE_EEESS_ST_SU_S11_S15_S17_T6_T7_T9_mT8_S19_bDpT10_ENKUlT_T0_E_clISt17integral_constantIbLb0EES1L_IbLb1EEEEDaS1H_S1I_EUlS1H_E_NS1_11comp_targetILNS1_3genE4ELNS1_11target_archE910ELNS1_3gpuE8ELNS1_3repE0EEENS1_30default_config_static_selectorELNS0_4arch9wavefront6targetE0EEEvSV_
                                        ; -- End function
	.set _ZN7rocprim17ROCPRIM_400000_NS6detail17trampoline_kernelINS0_13select_configILj256ELj13ELNS0_17block_load_methodE3ELS4_3ELS4_3ELNS0_20block_scan_algorithmE0ELj4294967295EEENS1_25partition_config_selectorILNS1_17partition_subalgoE3EjNS0_10empty_typeEbEEZZNS1_14partition_implILS8_3ELb0ES6_jNS0_17counting_iteratorIjlEEPS9_SE_NS0_5tupleIJPjSE_EEENSF_IJSE_SE_EEES9_SG_JZNS1_25segmented_radix_sort_implINS0_14default_configELb0EPKlPlSM_SN_N2at6native12_GLOBAL__N_18offset_tEEE10hipError_tPvRmT1_PNSt15iterator_traitsISV_E10value_typeET2_T3_PNSW_IS11_E10value_typeET4_jRbjT5_S17_jjP12ihipStream_tbEUljE_EEESS_ST_SU_S11_S15_S17_T6_T7_T9_mT8_S19_bDpT10_ENKUlT_T0_E_clISt17integral_constantIbLb0EES1L_IbLb1EEEEDaS1H_S1I_EUlS1H_E_NS1_11comp_targetILNS1_3genE4ELNS1_11target_archE910ELNS1_3gpuE8ELNS1_3repE0EEENS1_30default_config_static_selectorELNS0_4arch9wavefront6targetE0EEEvSV_.num_vgpr, 0
	.set _ZN7rocprim17ROCPRIM_400000_NS6detail17trampoline_kernelINS0_13select_configILj256ELj13ELNS0_17block_load_methodE3ELS4_3ELS4_3ELNS0_20block_scan_algorithmE0ELj4294967295EEENS1_25partition_config_selectorILNS1_17partition_subalgoE3EjNS0_10empty_typeEbEEZZNS1_14partition_implILS8_3ELb0ES6_jNS0_17counting_iteratorIjlEEPS9_SE_NS0_5tupleIJPjSE_EEENSF_IJSE_SE_EEES9_SG_JZNS1_25segmented_radix_sort_implINS0_14default_configELb0EPKlPlSM_SN_N2at6native12_GLOBAL__N_18offset_tEEE10hipError_tPvRmT1_PNSt15iterator_traitsISV_E10value_typeET2_T3_PNSW_IS11_E10value_typeET4_jRbjT5_S17_jjP12ihipStream_tbEUljE_EEESS_ST_SU_S11_S15_S17_T6_T7_T9_mT8_S19_bDpT10_ENKUlT_T0_E_clISt17integral_constantIbLb0EES1L_IbLb1EEEEDaS1H_S1I_EUlS1H_E_NS1_11comp_targetILNS1_3genE4ELNS1_11target_archE910ELNS1_3gpuE8ELNS1_3repE0EEENS1_30default_config_static_selectorELNS0_4arch9wavefront6targetE0EEEvSV_.num_agpr, 0
	.set _ZN7rocprim17ROCPRIM_400000_NS6detail17trampoline_kernelINS0_13select_configILj256ELj13ELNS0_17block_load_methodE3ELS4_3ELS4_3ELNS0_20block_scan_algorithmE0ELj4294967295EEENS1_25partition_config_selectorILNS1_17partition_subalgoE3EjNS0_10empty_typeEbEEZZNS1_14partition_implILS8_3ELb0ES6_jNS0_17counting_iteratorIjlEEPS9_SE_NS0_5tupleIJPjSE_EEENSF_IJSE_SE_EEES9_SG_JZNS1_25segmented_radix_sort_implINS0_14default_configELb0EPKlPlSM_SN_N2at6native12_GLOBAL__N_18offset_tEEE10hipError_tPvRmT1_PNSt15iterator_traitsISV_E10value_typeET2_T3_PNSW_IS11_E10value_typeET4_jRbjT5_S17_jjP12ihipStream_tbEUljE_EEESS_ST_SU_S11_S15_S17_T6_T7_T9_mT8_S19_bDpT10_ENKUlT_T0_E_clISt17integral_constantIbLb0EES1L_IbLb1EEEEDaS1H_S1I_EUlS1H_E_NS1_11comp_targetILNS1_3genE4ELNS1_11target_archE910ELNS1_3gpuE8ELNS1_3repE0EEENS1_30default_config_static_selectorELNS0_4arch9wavefront6targetE0EEEvSV_.numbered_sgpr, 0
	.set _ZN7rocprim17ROCPRIM_400000_NS6detail17trampoline_kernelINS0_13select_configILj256ELj13ELNS0_17block_load_methodE3ELS4_3ELS4_3ELNS0_20block_scan_algorithmE0ELj4294967295EEENS1_25partition_config_selectorILNS1_17partition_subalgoE3EjNS0_10empty_typeEbEEZZNS1_14partition_implILS8_3ELb0ES6_jNS0_17counting_iteratorIjlEEPS9_SE_NS0_5tupleIJPjSE_EEENSF_IJSE_SE_EEES9_SG_JZNS1_25segmented_radix_sort_implINS0_14default_configELb0EPKlPlSM_SN_N2at6native12_GLOBAL__N_18offset_tEEE10hipError_tPvRmT1_PNSt15iterator_traitsISV_E10value_typeET2_T3_PNSW_IS11_E10value_typeET4_jRbjT5_S17_jjP12ihipStream_tbEUljE_EEESS_ST_SU_S11_S15_S17_T6_T7_T9_mT8_S19_bDpT10_ENKUlT_T0_E_clISt17integral_constantIbLb0EES1L_IbLb1EEEEDaS1H_S1I_EUlS1H_E_NS1_11comp_targetILNS1_3genE4ELNS1_11target_archE910ELNS1_3gpuE8ELNS1_3repE0EEENS1_30default_config_static_selectorELNS0_4arch9wavefront6targetE0EEEvSV_.num_named_barrier, 0
	.set _ZN7rocprim17ROCPRIM_400000_NS6detail17trampoline_kernelINS0_13select_configILj256ELj13ELNS0_17block_load_methodE3ELS4_3ELS4_3ELNS0_20block_scan_algorithmE0ELj4294967295EEENS1_25partition_config_selectorILNS1_17partition_subalgoE3EjNS0_10empty_typeEbEEZZNS1_14partition_implILS8_3ELb0ES6_jNS0_17counting_iteratorIjlEEPS9_SE_NS0_5tupleIJPjSE_EEENSF_IJSE_SE_EEES9_SG_JZNS1_25segmented_radix_sort_implINS0_14default_configELb0EPKlPlSM_SN_N2at6native12_GLOBAL__N_18offset_tEEE10hipError_tPvRmT1_PNSt15iterator_traitsISV_E10value_typeET2_T3_PNSW_IS11_E10value_typeET4_jRbjT5_S17_jjP12ihipStream_tbEUljE_EEESS_ST_SU_S11_S15_S17_T6_T7_T9_mT8_S19_bDpT10_ENKUlT_T0_E_clISt17integral_constantIbLb0EES1L_IbLb1EEEEDaS1H_S1I_EUlS1H_E_NS1_11comp_targetILNS1_3genE4ELNS1_11target_archE910ELNS1_3gpuE8ELNS1_3repE0EEENS1_30default_config_static_selectorELNS0_4arch9wavefront6targetE0EEEvSV_.private_seg_size, 0
	.set _ZN7rocprim17ROCPRIM_400000_NS6detail17trampoline_kernelINS0_13select_configILj256ELj13ELNS0_17block_load_methodE3ELS4_3ELS4_3ELNS0_20block_scan_algorithmE0ELj4294967295EEENS1_25partition_config_selectorILNS1_17partition_subalgoE3EjNS0_10empty_typeEbEEZZNS1_14partition_implILS8_3ELb0ES6_jNS0_17counting_iteratorIjlEEPS9_SE_NS0_5tupleIJPjSE_EEENSF_IJSE_SE_EEES9_SG_JZNS1_25segmented_radix_sort_implINS0_14default_configELb0EPKlPlSM_SN_N2at6native12_GLOBAL__N_18offset_tEEE10hipError_tPvRmT1_PNSt15iterator_traitsISV_E10value_typeET2_T3_PNSW_IS11_E10value_typeET4_jRbjT5_S17_jjP12ihipStream_tbEUljE_EEESS_ST_SU_S11_S15_S17_T6_T7_T9_mT8_S19_bDpT10_ENKUlT_T0_E_clISt17integral_constantIbLb0EES1L_IbLb1EEEEDaS1H_S1I_EUlS1H_E_NS1_11comp_targetILNS1_3genE4ELNS1_11target_archE910ELNS1_3gpuE8ELNS1_3repE0EEENS1_30default_config_static_selectorELNS0_4arch9wavefront6targetE0EEEvSV_.uses_vcc, 0
	.set _ZN7rocprim17ROCPRIM_400000_NS6detail17trampoline_kernelINS0_13select_configILj256ELj13ELNS0_17block_load_methodE3ELS4_3ELS4_3ELNS0_20block_scan_algorithmE0ELj4294967295EEENS1_25partition_config_selectorILNS1_17partition_subalgoE3EjNS0_10empty_typeEbEEZZNS1_14partition_implILS8_3ELb0ES6_jNS0_17counting_iteratorIjlEEPS9_SE_NS0_5tupleIJPjSE_EEENSF_IJSE_SE_EEES9_SG_JZNS1_25segmented_radix_sort_implINS0_14default_configELb0EPKlPlSM_SN_N2at6native12_GLOBAL__N_18offset_tEEE10hipError_tPvRmT1_PNSt15iterator_traitsISV_E10value_typeET2_T3_PNSW_IS11_E10value_typeET4_jRbjT5_S17_jjP12ihipStream_tbEUljE_EEESS_ST_SU_S11_S15_S17_T6_T7_T9_mT8_S19_bDpT10_ENKUlT_T0_E_clISt17integral_constantIbLb0EES1L_IbLb1EEEEDaS1H_S1I_EUlS1H_E_NS1_11comp_targetILNS1_3genE4ELNS1_11target_archE910ELNS1_3gpuE8ELNS1_3repE0EEENS1_30default_config_static_selectorELNS0_4arch9wavefront6targetE0EEEvSV_.uses_flat_scratch, 0
	.set _ZN7rocprim17ROCPRIM_400000_NS6detail17trampoline_kernelINS0_13select_configILj256ELj13ELNS0_17block_load_methodE3ELS4_3ELS4_3ELNS0_20block_scan_algorithmE0ELj4294967295EEENS1_25partition_config_selectorILNS1_17partition_subalgoE3EjNS0_10empty_typeEbEEZZNS1_14partition_implILS8_3ELb0ES6_jNS0_17counting_iteratorIjlEEPS9_SE_NS0_5tupleIJPjSE_EEENSF_IJSE_SE_EEES9_SG_JZNS1_25segmented_radix_sort_implINS0_14default_configELb0EPKlPlSM_SN_N2at6native12_GLOBAL__N_18offset_tEEE10hipError_tPvRmT1_PNSt15iterator_traitsISV_E10value_typeET2_T3_PNSW_IS11_E10value_typeET4_jRbjT5_S17_jjP12ihipStream_tbEUljE_EEESS_ST_SU_S11_S15_S17_T6_T7_T9_mT8_S19_bDpT10_ENKUlT_T0_E_clISt17integral_constantIbLb0EES1L_IbLb1EEEEDaS1H_S1I_EUlS1H_E_NS1_11comp_targetILNS1_3genE4ELNS1_11target_archE910ELNS1_3gpuE8ELNS1_3repE0EEENS1_30default_config_static_selectorELNS0_4arch9wavefront6targetE0EEEvSV_.has_dyn_sized_stack, 0
	.set _ZN7rocprim17ROCPRIM_400000_NS6detail17trampoline_kernelINS0_13select_configILj256ELj13ELNS0_17block_load_methodE3ELS4_3ELS4_3ELNS0_20block_scan_algorithmE0ELj4294967295EEENS1_25partition_config_selectorILNS1_17partition_subalgoE3EjNS0_10empty_typeEbEEZZNS1_14partition_implILS8_3ELb0ES6_jNS0_17counting_iteratorIjlEEPS9_SE_NS0_5tupleIJPjSE_EEENSF_IJSE_SE_EEES9_SG_JZNS1_25segmented_radix_sort_implINS0_14default_configELb0EPKlPlSM_SN_N2at6native12_GLOBAL__N_18offset_tEEE10hipError_tPvRmT1_PNSt15iterator_traitsISV_E10value_typeET2_T3_PNSW_IS11_E10value_typeET4_jRbjT5_S17_jjP12ihipStream_tbEUljE_EEESS_ST_SU_S11_S15_S17_T6_T7_T9_mT8_S19_bDpT10_ENKUlT_T0_E_clISt17integral_constantIbLb0EES1L_IbLb1EEEEDaS1H_S1I_EUlS1H_E_NS1_11comp_targetILNS1_3genE4ELNS1_11target_archE910ELNS1_3gpuE8ELNS1_3repE0EEENS1_30default_config_static_selectorELNS0_4arch9wavefront6targetE0EEEvSV_.has_recursion, 0
	.set _ZN7rocprim17ROCPRIM_400000_NS6detail17trampoline_kernelINS0_13select_configILj256ELj13ELNS0_17block_load_methodE3ELS4_3ELS4_3ELNS0_20block_scan_algorithmE0ELj4294967295EEENS1_25partition_config_selectorILNS1_17partition_subalgoE3EjNS0_10empty_typeEbEEZZNS1_14partition_implILS8_3ELb0ES6_jNS0_17counting_iteratorIjlEEPS9_SE_NS0_5tupleIJPjSE_EEENSF_IJSE_SE_EEES9_SG_JZNS1_25segmented_radix_sort_implINS0_14default_configELb0EPKlPlSM_SN_N2at6native12_GLOBAL__N_18offset_tEEE10hipError_tPvRmT1_PNSt15iterator_traitsISV_E10value_typeET2_T3_PNSW_IS11_E10value_typeET4_jRbjT5_S17_jjP12ihipStream_tbEUljE_EEESS_ST_SU_S11_S15_S17_T6_T7_T9_mT8_S19_bDpT10_ENKUlT_T0_E_clISt17integral_constantIbLb0EES1L_IbLb1EEEEDaS1H_S1I_EUlS1H_E_NS1_11comp_targetILNS1_3genE4ELNS1_11target_archE910ELNS1_3gpuE8ELNS1_3repE0EEENS1_30default_config_static_selectorELNS0_4arch9wavefront6targetE0EEEvSV_.has_indirect_call, 0
	.section	.AMDGPU.csdata,"",@progbits
; Kernel info:
; codeLenInByte = 0
; TotalNumSgprs: 0
; NumVgprs: 0
; ScratchSize: 0
; MemoryBound: 0
; FloatMode: 240
; IeeeMode: 1
; LDSByteSize: 0 bytes/workgroup (compile time only)
; SGPRBlocks: 0
; VGPRBlocks: 0
; NumSGPRsForWavesPerEU: 1
; NumVGPRsForWavesPerEU: 1
; Occupancy: 16
; WaveLimiterHint : 0
; COMPUTE_PGM_RSRC2:SCRATCH_EN: 0
; COMPUTE_PGM_RSRC2:USER_SGPR: 6
; COMPUTE_PGM_RSRC2:TRAP_HANDLER: 0
; COMPUTE_PGM_RSRC2:TGID_X_EN: 1
; COMPUTE_PGM_RSRC2:TGID_Y_EN: 0
; COMPUTE_PGM_RSRC2:TGID_Z_EN: 0
; COMPUTE_PGM_RSRC2:TIDIG_COMP_CNT: 0
	.section	.text._ZN7rocprim17ROCPRIM_400000_NS6detail17trampoline_kernelINS0_13select_configILj256ELj13ELNS0_17block_load_methodE3ELS4_3ELS4_3ELNS0_20block_scan_algorithmE0ELj4294967295EEENS1_25partition_config_selectorILNS1_17partition_subalgoE3EjNS0_10empty_typeEbEEZZNS1_14partition_implILS8_3ELb0ES6_jNS0_17counting_iteratorIjlEEPS9_SE_NS0_5tupleIJPjSE_EEENSF_IJSE_SE_EEES9_SG_JZNS1_25segmented_radix_sort_implINS0_14default_configELb0EPKlPlSM_SN_N2at6native12_GLOBAL__N_18offset_tEEE10hipError_tPvRmT1_PNSt15iterator_traitsISV_E10value_typeET2_T3_PNSW_IS11_E10value_typeET4_jRbjT5_S17_jjP12ihipStream_tbEUljE_EEESS_ST_SU_S11_S15_S17_T6_T7_T9_mT8_S19_bDpT10_ENKUlT_T0_E_clISt17integral_constantIbLb0EES1L_IbLb1EEEEDaS1H_S1I_EUlS1H_E_NS1_11comp_targetILNS1_3genE3ELNS1_11target_archE908ELNS1_3gpuE7ELNS1_3repE0EEENS1_30default_config_static_selectorELNS0_4arch9wavefront6targetE0EEEvSV_,"axG",@progbits,_ZN7rocprim17ROCPRIM_400000_NS6detail17trampoline_kernelINS0_13select_configILj256ELj13ELNS0_17block_load_methodE3ELS4_3ELS4_3ELNS0_20block_scan_algorithmE0ELj4294967295EEENS1_25partition_config_selectorILNS1_17partition_subalgoE3EjNS0_10empty_typeEbEEZZNS1_14partition_implILS8_3ELb0ES6_jNS0_17counting_iteratorIjlEEPS9_SE_NS0_5tupleIJPjSE_EEENSF_IJSE_SE_EEES9_SG_JZNS1_25segmented_radix_sort_implINS0_14default_configELb0EPKlPlSM_SN_N2at6native12_GLOBAL__N_18offset_tEEE10hipError_tPvRmT1_PNSt15iterator_traitsISV_E10value_typeET2_T3_PNSW_IS11_E10value_typeET4_jRbjT5_S17_jjP12ihipStream_tbEUljE_EEESS_ST_SU_S11_S15_S17_T6_T7_T9_mT8_S19_bDpT10_ENKUlT_T0_E_clISt17integral_constantIbLb0EES1L_IbLb1EEEEDaS1H_S1I_EUlS1H_E_NS1_11comp_targetILNS1_3genE3ELNS1_11target_archE908ELNS1_3gpuE7ELNS1_3repE0EEENS1_30default_config_static_selectorELNS0_4arch9wavefront6targetE0EEEvSV_,comdat
	.globl	_ZN7rocprim17ROCPRIM_400000_NS6detail17trampoline_kernelINS0_13select_configILj256ELj13ELNS0_17block_load_methodE3ELS4_3ELS4_3ELNS0_20block_scan_algorithmE0ELj4294967295EEENS1_25partition_config_selectorILNS1_17partition_subalgoE3EjNS0_10empty_typeEbEEZZNS1_14partition_implILS8_3ELb0ES6_jNS0_17counting_iteratorIjlEEPS9_SE_NS0_5tupleIJPjSE_EEENSF_IJSE_SE_EEES9_SG_JZNS1_25segmented_radix_sort_implINS0_14default_configELb0EPKlPlSM_SN_N2at6native12_GLOBAL__N_18offset_tEEE10hipError_tPvRmT1_PNSt15iterator_traitsISV_E10value_typeET2_T3_PNSW_IS11_E10value_typeET4_jRbjT5_S17_jjP12ihipStream_tbEUljE_EEESS_ST_SU_S11_S15_S17_T6_T7_T9_mT8_S19_bDpT10_ENKUlT_T0_E_clISt17integral_constantIbLb0EES1L_IbLb1EEEEDaS1H_S1I_EUlS1H_E_NS1_11comp_targetILNS1_3genE3ELNS1_11target_archE908ELNS1_3gpuE7ELNS1_3repE0EEENS1_30default_config_static_selectorELNS0_4arch9wavefront6targetE0EEEvSV_ ; -- Begin function _ZN7rocprim17ROCPRIM_400000_NS6detail17trampoline_kernelINS0_13select_configILj256ELj13ELNS0_17block_load_methodE3ELS4_3ELS4_3ELNS0_20block_scan_algorithmE0ELj4294967295EEENS1_25partition_config_selectorILNS1_17partition_subalgoE3EjNS0_10empty_typeEbEEZZNS1_14partition_implILS8_3ELb0ES6_jNS0_17counting_iteratorIjlEEPS9_SE_NS0_5tupleIJPjSE_EEENSF_IJSE_SE_EEES9_SG_JZNS1_25segmented_radix_sort_implINS0_14default_configELb0EPKlPlSM_SN_N2at6native12_GLOBAL__N_18offset_tEEE10hipError_tPvRmT1_PNSt15iterator_traitsISV_E10value_typeET2_T3_PNSW_IS11_E10value_typeET4_jRbjT5_S17_jjP12ihipStream_tbEUljE_EEESS_ST_SU_S11_S15_S17_T6_T7_T9_mT8_S19_bDpT10_ENKUlT_T0_E_clISt17integral_constantIbLb0EES1L_IbLb1EEEEDaS1H_S1I_EUlS1H_E_NS1_11comp_targetILNS1_3genE3ELNS1_11target_archE908ELNS1_3gpuE7ELNS1_3repE0EEENS1_30default_config_static_selectorELNS0_4arch9wavefront6targetE0EEEvSV_
	.p2align	8
	.type	_ZN7rocprim17ROCPRIM_400000_NS6detail17trampoline_kernelINS0_13select_configILj256ELj13ELNS0_17block_load_methodE3ELS4_3ELS4_3ELNS0_20block_scan_algorithmE0ELj4294967295EEENS1_25partition_config_selectorILNS1_17partition_subalgoE3EjNS0_10empty_typeEbEEZZNS1_14partition_implILS8_3ELb0ES6_jNS0_17counting_iteratorIjlEEPS9_SE_NS0_5tupleIJPjSE_EEENSF_IJSE_SE_EEES9_SG_JZNS1_25segmented_radix_sort_implINS0_14default_configELb0EPKlPlSM_SN_N2at6native12_GLOBAL__N_18offset_tEEE10hipError_tPvRmT1_PNSt15iterator_traitsISV_E10value_typeET2_T3_PNSW_IS11_E10value_typeET4_jRbjT5_S17_jjP12ihipStream_tbEUljE_EEESS_ST_SU_S11_S15_S17_T6_T7_T9_mT8_S19_bDpT10_ENKUlT_T0_E_clISt17integral_constantIbLb0EES1L_IbLb1EEEEDaS1H_S1I_EUlS1H_E_NS1_11comp_targetILNS1_3genE3ELNS1_11target_archE908ELNS1_3gpuE7ELNS1_3repE0EEENS1_30default_config_static_selectorELNS0_4arch9wavefront6targetE0EEEvSV_,@function
_ZN7rocprim17ROCPRIM_400000_NS6detail17trampoline_kernelINS0_13select_configILj256ELj13ELNS0_17block_load_methodE3ELS4_3ELS4_3ELNS0_20block_scan_algorithmE0ELj4294967295EEENS1_25partition_config_selectorILNS1_17partition_subalgoE3EjNS0_10empty_typeEbEEZZNS1_14partition_implILS8_3ELb0ES6_jNS0_17counting_iteratorIjlEEPS9_SE_NS0_5tupleIJPjSE_EEENSF_IJSE_SE_EEES9_SG_JZNS1_25segmented_radix_sort_implINS0_14default_configELb0EPKlPlSM_SN_N2at6native12_GLOBAL__N_18offset_tEEE10hipError_tPvRmT1_PNSt15iterator_traitsISV_E10value_typeET2_T3_PNSW_IS11_E10value_typeET4_jRbjT5_S17_jjP12ihipStream_tbEUljE_EEESS_ST_SU_S11_S15_S17_T6_T7_T9_mT8_S19_bDpT10_ENKUlT_T0_E_clISt17integral_constantIbLb0EES1L_IbLb1EEEEDaS1H_S1I_EUlS1H_E_NS1_11comp_targetILNS1_3genE3ELNS1_11target_archE908ELNS1_3gpuE7ELNS1_3repE0EEENS1_30default_config_static_selectorELNS0_4arch9wavefront6targetE0EEEvSV_: ; @_ZN7rocprim17ROCPRIM_400000_NS6detail17trampoline_kernelINS0_13select_configILj256ELj13ELNS0_17block_load_methodE3ELS4_3ELS4_3ELNS0_20block_scan_algorithmE0ELj4294967295EEENS1_25partition_config_selectorILNS1_17partition_subalgoE3EjNS0_10empty_typeEbEEZZNS1_14partition_implILS8_3ELb0ES6_jNS0_17counting_iteratorIjlEEPS9_SE_NS0_5tupleIJPjSE_EEENSF_IJSE_SE_EEES9_SG_JZNS1_25segmented_radix_sort_implINS0_14default_configELb0EPKlPlSM_SN_N2at6native12_GLOBAL__N_18offset_tEEE10hipError_tPvRmT1_PNSt15iterator_traitsISV_E10value_typeET2_T3_PNSW_IS11_E10value_typeET4_jRbjT5_S17_jjP12ihipStream_tbEUljE_EEESS_ST_SU_S11_S15_S17_T6_T7_T9_mT8_S19_bDpT10_ENKUlT_T0_E_clISt17integral_constantIbLb0EES1L_IbLb1EEEEDaS1H_S1I_EUlS1H_E_NS1_11comp_targetILNS1_3genE3ELNS1_11target_archE908ELNS1_3gpuE7ELNS1_3repE0EEENS1_30default_config_static_selectorELNS0_4arch9wavefront6targetE0EEEvSV_
; %bb.0:
	.section	.rodata,"a",@progbits
	.p2align	6, 0x0
	.amdhsa_kernel _ZN7rocprim17ROCPRIM_400000_NS6detail17trampoline_kernelINS0_13select_configILj256ELj13ELNS0_17block_load_methodE3ELS4_3ELS4_3ELNS0_20block_scan_algorithmE0ELj4294967295EEENS1_25partition_config_selectorILNS1_17partition_subalgoE3EjNS0_10empty_typeEbEEZZNS1_14partition_implILS8_3ELb0ES6_jNS0_17counting_iteratorIjlEEPS9_SE_NS0_5tupleIJPjSE_EEENSF_IJSE_SE_EEES9_SG_JZNS1_25segmented_radix_sort_implINS0_14default_configELb0EPKlPlSM_SN_N2at6native12_GLOBAL__N_18offset_tEEE10hipError_tPvRmT1_PNSt15iterator_traitsISV_E10value_typeET2_T3_PNSW_IS11_E10value_typeET4_jRbjT5_S17_jjP12ihipStream_tbEUljE_EEESS_ST_SU_S11_S15_S17_T6_T7_T9_mT8_S19_bDpT10_ENKUlT_T0_E_clISt17integral_constantIbLb0EES1L_IbLb1EEEEDaS1H_S1I_EUlS1H_E_NS1_11comp_targetILNS1_3genE3ELNS1_11target_archE908ELNS1_3gpuE7ELNS1_3repE0EEENS1_30default_config_static_selectorELNS0_4arch9wavefront6targetE0EEEvSV_
		.amdhsa_group_segment_fixed_size 0
		.amdhsa_private_segment_fixed_size 0
		.amdhsa_kernarg_size 152
		.amdhsa_user_sgpr_count 6
		.amdhsa_user_sgpr_private_segment_buffer 1
		.amdhsa_user_sgpr_dispatch_ptr 0
		.amdhsa_user_sgpr_queue_ptr 0
		.amdhsa_user_sgpr_kernarg_segment_ptr 1
		.amdhsa_user_sgpr_dispatch_id 0
		.amdhsa_user_sgpr_flat_scratch_init 0
		.amdhsa_user_sgpr_private_segment_size 0
		.amdhsa_wavefront_size32 1
		.amdhsa_uses_dynamic_stack 0
		.amdhsa_system_sgpr_private_segment_wavefront_offset 0
		.amdhsa_system_sgpr_workgroup_id_x 1
		.amdhsa_system_sgpr_workgroup_id_y 0
		.amdhsa_system_sgpr_workgroup_id_z 0
		.amdhsa_system_sgpr_workgroup_info 0
		.amdhsa_system_vgpr_workitem_id 0
		.amdhsa_next_free_vgpr 1
		.amdhsa_next_free_sgpr 1
		.amdhsa_reserve_vcc 0
		.amdhsa_reserve_flat_scratch 0
		.amdhsa_float_round_mode_32 0
		.amdhsa_float_round_mode_16_64 0
		.amdhsa_float_denorm_mode_32 3
		.amdhsa_float_denorm_mode_16_64 3
		.amdhsa_dx10_clamp 1
		.amdhsa_ieee_mode 1
		.amdhsa_fp16_overflow 0
		.amdhsa_workgroup_processor_mode 1
		.amdhsa_memory_ordered 1
		.amdhsa_forward_progress 1
		.amdhsa_shared_vgpr_count 0
		.amdhsa_exception_fp_ieee_invalid_op 0
		.amdhsa_exception_fp_denorm_src 0
		.amdhsa_exception_fp_ieee_div_zero 0
		.amdhsa_exception_fp_ieee_overflow 0
		.amdhsa_exception_fp_ieee_underflow 0
		.amdhsa_exception_fp_ieee_inexact 0
		.amdhsa_exception_int_div_zero 0
	.end_amdhsa_kernel
	.section	.text._ZN7rocprim17ROCPRIM_400000_NS6detail17trampoline_kernelINS0_13select_configILj256ELj13ELNS0_17block_load_methodE3ELS4_3ELS4_3ELNS0_20block_scan_algorithmE0ELj4294967295EEENS1_25partition_config_selectorILNS1_17partition_subalgoE3EjNS0_10empty_typeEbEEZZNS1_14partition_implILS8_3ELb0ES6_jNS0_17counting_iteratorIjlEEPS9_SE_NS0_5tupleIJPjSE_EEENSF_IJSE_SE_EEES9_SG_JZNS1_25segmented_radix_sort_implINS0_14default_configELb0EPKlPlSM_SN_N2at6native12_GLOBAL__N_18offset_tEEE10hipError_tPvRmT1_PNSt15iterator_traitsISV_E10value_typeET2_T3_PNSW_IS11_E10value_typeET4_jRbjT5_S17_jjP12ihipStream_tbEUljE_EEESS_ST_SU_S11_S15_S17_T6_T7_T9_mT8_S19_bDpT10_ENKUlT_T0_E_clISt17integral_constantIbLb0EES1L_IbLb1EEEEDaS1H_S1I_EUlS1H_E_NS1_11comp_targetILNS1_3genE3ELNS1_11target_archE908ELNS1_3gpuE7ELNS1_3repE0EEENS1_30default_config_static_selectorELNS0_4arch9wavefront6targetE0EEEvSV_,"axG",@progbits,_ZN7rocprim17ROCPRIM_400000_NS6detail17trampoline_kernelINS0_13select_configILj256ELj13ELNS0_17block_load_methodE3ELS4_3ELS4_3ELNS0_20block_scan_algorithmE0ELj4294967295EEENS1_25partition_config_selectorILNS1_17partition_subalgoE3EjNS0_10empty_typeEbEEZZNS1_14partition_implILS8_3ELb0ES6_jNS0_17counting_iteratorIjlEEPS9_SE_NS0_5tupleIJPjSE_EEENSF_IJSE_SE_EEES9_SG_JZNS1_25segmented_radix_sort_implINS0_14default_configELb0EPKlPlSM_SN_N2at6native12_GLOBAL__N_18offset_tEEE10hipError_tPvRmT1_PNSt15iterator_traitsISV_E10value_typeET2_T3_PNSW_IS11_E10value_typeET4_jRbjT5_S17_jjP12ihipStream_tbEUljE_EEESS_ST_SU_S11_S15_S17_T6_T7_T9_mT8_S19_bDpT10_ENKUlT_T0_E_clISt17integral_constantIbLb0EES1L_IbLb1EEEEDaS1H_S1I_EUlS1H_E_NS1_11comp_targetILNS1_3genE3ELNS1_11target_archE908ELNS1_3gpuE7ELNS1_3repE0EEENS1_30default_config_static_selectorELNS0_4arch9wavefront6targetE0EEEvSV_,comdat
.Lfunc_end796:
	.size	_ZN7rocprim17ROCPRIM_400000_NS6detail17trampoline_kernelINS0_13select_configILj256ELj13ELNS0_17block_load_methodE3ELS4_3ELS4_3ELNS0_20block_scan_algorithmE0ELj4294967295EEENS1_25partition_config_selectorILNS1_17partition_subalgoE3EjNS0_10empty_typeEbEEZZNS1_14partition_implILS8_3ELb0ES6_jNS0_17counting_iteratorIjlEEPS9_SE_NS0_5tupleIJPjSE_EEENSF_IJSE_SE_EEES9_SG_JZNS1_25segmented_radix_sort_implINS0_14default_configELb0EPKlPlSM_SN_N2at6native12_GLOBAL__N_18offset_tEEE10hipError_tPvRmT1_PNSt15iterator_traitsISV_E10value_typeET2_T3_PNSW_IS11_E10value_typeET4_jRbjT5_S17_jjP12ihipStream_tbEUljE_EEESS_ST_SU_S11_S15_S17_T6_T7_T9_mT8_S19_bDpT10_ENKUlT_T0_E_clISt17integral_constantIbLb0EES1L_IbLb1EEEEDaS1H_S1I_EUlS1H_E_NS1_11comp_targetILNS1_3genE3ELNS1_11target_archE908ELNS1_3gpuE7ELNS1_3repE0EEENS1_30default_config_static_selectorELNS0_4arch9wavefront6targetE0EEEvSV_, .Lfunc_end796-_ZN7rocprim17ROCPRIM_400000_NS6detail17trampoline_kernelINS0_13select_configILj256ELj13ELNS0_17block_load_methodE3ELS4_3ELS4_3ELNS0_20block_scan_algorithmE0ELj4294967295EEENS1_25partition_config_selectorILNS1_17partition_subalgoE3EjNS0_10empty_typeEbEEZZNS1_14partition_implILS8_3ELb0ES6_jNS0_17counting_iteratorIjlEEPS9_SE_NS0_5tupleIJPjSE_EEENSF_IJSE_SE_EEES9_SG_JZNS1_25segmented_radix_sort_implINS0_14default_configELb0EPKlPlSM_SN_N2at6native12_GLOBAL__N_18offset_tEEE10hipError_tPvRmT1_PNSt15iterator_traitsISV_E10value_typeET2_T3_PNSW_IS11_E10value_typeET4_jRbjT5_S17_jjP12ihipStream_tbEUljE_EEESS_ST_SU_S11_S15_S17_T6_T7_T9_mT8_S19_bDpT10_ENKUlT_T0_E_clISt17integral_constantIbLb0EES1L_IbLb1EEEEDaS1H_S1I_EUlS1H_E_NS1_11comp_targetILNS1_3genE3ELNS1_11target_archE908ELNS1_3gpuE7ELNS1_3repE0EEENS1_30default_config_static_selectorELNS0_4arch9wavefront6targetE0EEEvSV_
                                        ; -- End function
	.set _ZN7rocprim17ROCPRIM_400000_NS6detail17trampoline_kernelINS0_13select_configILj256ELj13ELNS0_17block_load_methodE3ELS4_3ELS4_3ELNS0_20block_scan_algorithmE0ELj4294967295EEENS1_25partition_config_selectorILNS1_17partition_subalgoE3EjNS0_10empty_typeEbEEZZNS1_14partition_implILS8_3ELb0ES6_jNS0_17counting_iteratorIjlEEPS9_SE_NS0_5tupleIJPjSE_EEENSF_IJSE_SE_EEES9_SG_JZNS1_25segmented_radix_sort_implINS0_14default_configELb0EPKlPlSM_SN_N2at6native12_GLOBAL__N_18offset_tEEE10hipError_tPvRmT1_PNSt15iterator_traitsISV_E10value_typeET2_T3_PNSW_IS11_E10value_typeET4_jRbjT5_S17_jjP12ihipStream_tbEUljE_EEESS_ST_SU_S11_S15_S17_T6_T7_T9_mT8_S19_bDpT10_ENKUlT_T0_E_clISt17integral_constantIbLb0EES1L_IbLb1EEEEDaS1H_S1I_EUlS1H_E_NS1_11comp_targetILNS1_3genE3ELNS1_11target_archE908ELNS1_3gpuE7ELNS1_3repE0EEENS1_30default_config_static_selectorELNS0_4arch9wavefront6targetE0EEEvSV_.num_vgpr, 0
	.set _ZN7rocprim17ROCPRIM_400000_NS6detail17trampoline_kernelINS0_13select_configILj256ELj13ELNS0_17block_load_methodE3ELS4_3ELS4_3ELNS0_20block_scan_algorithmE0ELj4294967295EEENS1_25partition_config_selectorILNS1_17partition_subalgoE3EjNS0_10empty_typeEbEEZZNS1_14partition_implILS8_3ELb0ES6_jNS0_17counting_iteratorIjlEEPS9_SE_NS0_5tupleIJPjSE_EEENSF_IJSE_SE_EEES9_SG_JZNS1_25segmented_radix_sort_implINS0_14default_configELb0EPKlPlSM_SN_N2at6native12_GLOBAL__N_18offset_tEEE10hipError_tPvRmT1_PNSt15iterator_traitsISV_E10value_typeET2_T3_PNSW_IS11_E10value_typeET4_jRbjT5_S17_jjP12ihipStream_tbEUljE_EEESS_ST_SU_S11_S15_S17_T6_T7_T9_mT8_S19_bDpT10_ENKUlT_T0_E_clISt17integral_constantIbLb0EES1L_IbLb1EEEEDaS1H_S1I_EUlS1H_E_NS1_11comp_targetILNS1_3genE3ELNS1_11target_archE908ELNS1_3gpuE7ELNS1_3repE0EEENS1_30default_config_static_selectorELNS0_4arch9wavefront6targetE0EEEvSV_.num_agpr, 0
	.set _ZN7rocprim17ROCPRIM_400000_NS6detail17trampoline_kernelINS0_13select_configILj256ELj13ELNS0_17block_load_methodE3ELS4_3ELS4_3ELNS0_20block_scan_algorithmE0ELj4294967295EEENS1_25partition_config_selectorILNS1_17partition_subalgoE3EjNS0_10empty_typeEbEEZZNS1_14partition_implILS8_3ELb0ES6_jNS0_17counting_iteratorIjlEEPS9_SE_NS0_5tupleIJPjSE_EEENSF_IJSE_SE_EEES9_SG_JZNS1_25segmented_radix_sort_implINS0_14default_configELb0EPKlPlSM_SN_N2at6native12_GLOBAL__N_18offset_tEEE10hipError_tPvRmT1_PNSt15iterator_traitsISV_E10value_typeET2_T3_PNSW_IS11_E10value_typeET4_jRbjT5_S17_jjP12ihipStream_tbEUljE_EEESS_ST_SU_S11_S15_S17_T6_T7_T9_mT8_S19_bDpT10_ENKUlT_T0_E_clISt17integral_constantIbLb0EES1L_IbLb1EEEEDaS1H_S1I_EUlS1H_E_NS1_11comp_targetILNS1_3genE3ELNS1_11target_archE908ELNS1_3gpuE7ELNS1_3repE0EEENS1_30default_config_static_selectorELNS0_4arch9wavefront6targetE0EEEvSV_.numbered_sgpr, 0
	.set _ZN7rocprim17ROCPRIM_400000_NS6detail17trampoline_kernelINS0_13select_configILj256ELj13ELNS0_17block_load_methodE3ELS4_3ELS4_3ELNS0_20block_scan_algorithmE0ELj4294967295EEENS1_25partition_config_selectorILNS1_17partition_subalgoE3EjNS0_10empty_typeEbEEZZNS1_14partition_implILS8_3ELb0ES6_jNS0_17counting_iteratorIjlEEPS9_SE_NS0_5tupleIJPjSE_EEENSF_IJSE_SE_EEES9_SG_JZNS1_25segmented_radix_sort_implINS0_14default_configELb0EPKlPlSM_SN_N2at6native12_GLOBAL__N_18offset_tEEE10hipError_tPvRmT1_PNSt15iterator_traitsISV_E10value_typeET2_T3_PNSW_IS11_E10value_typeET4_jRbjT5_S17_jjP12ihipStream_tbEUljE_EEESS_ST_SU_S11_S15_S17_T6_T7_T9_mT8_S19_bDpT10_ENKUlT_T0_E_clISt17integral_constantIbLb0EES1L_IbLb1EEEEDaS1H_S1I_EUlS1H_E_NS1_11comp_targetILNS1_3genE3ELNS1_11target_archE908ELNS1_3gpuE7ELNS1_3repE0EEENS1_30default_config_static_selectorELNS0_4arch9wavefront6targetE0EEEvSV_.num_named_barrier, 0
	.set _ZN7rocprim17ROCPRIM_400000_NS6detail17trampoline_kernelINS0_13select_configILj256ELj13ELNS0_17block_load_methodE3ELS4_3ELS4_3ELNS0_20block_scan_algorithmE0ELj4294967295EEENS1_25partition_config_selectorILNS1_17partition_subalgoE3EjNS0_10empty_typeEbEEZZNS1_14partition_implILS8_3ELb0ES6_jNS0_17counting_iteratorIjlEEPS9_SE_NS0_5tupleIJPjSE_EEENSF_IJSE_SE_EEES9_SG_JZNS1_25segmented_radix_sort_implINS0_14default_configELb0EPKlPlSM_SN_N2at6native12_GLOBAL__N_18offset_tEEE10hipError_tPvRmT1_PNSt15iterator_traitsISV_E10value_typeET2_T3_PNSW_IS11_E10value_typeET4_jRbjT5_S17_jjP12ihipStream_tbEUljE_EEESS_ST_SU_S11_S15_S17_T6_T7_T9_mT8_S19_bDpT10_ENKUlT_T0_E_clISt17integral_constantIbLb0EES1L_IbLb1EEEEDaS1H_S1I_EUlS1H_E_NS1_11comp_targetILNS1_3genE3ELNS1_11target_archE908ELNS1_3gpuE7ELNS1_3repE0EEENS1_30default_config_static_selectorELNS0_4arch9wavefront6targetE0EEEvSV_.private_seg_size, 0
	.set _ZN7rocprim17ROCPRIM_400000_NS6detail17trampoline_kernelINS0_13select_configILj256ELj13ELNS0_17block_load_methodE3ELS4_3ELS4_3ELNS0_20block_scan_algorithmE0ELj4294967295EEENS1_25partition_config_selectorILNS1_17partition_subalgoE3EjNS0_10empty_typeEbEEZZNS1_14partition_implILS8_3ELb0ES6_jNS0_17counting_iteratorIjlEEPS9_SE_NS0_5tupleIJPjSE_EEENSF_IJSE_SE_EEES9_SG_JZNS1_25segmented_radix_sort_implINS0_14default_configELb0EPKlPlSM_SN_N2at6native12_GLOBAL__N_18offset_tEEE10hipError_tPvRmT1_PNSt15iterator_traitsISV_E10value_typeET2_T3_PNSW_IS11_E10value_typeET4_jRbjT5_S17_jjP12ihipStream_tbEUljE_EEESS_ST_SU_S11_S15_S17_T6_T7_T9_mT8_S19_bDpT10_ENKUlT_T0_E_clISt17integral_constantIbLb0EES1L_IbLb1EEEEDaS1H_S1I_EUlS1H_E_NS1_11comp_targetILNS1_3genE3ELNS1_11target_archE908ELNS1_3gpuE7ELNS1_3repE0EEENS1_30default_config_static_selectorELNS0_4arch9wavefront6targetE0EEEvSV_.uses_vcc, 0
	.set _ZN7rocprim17ROCPRIM_400000_NS6detail17trampoline_kernelINS0_13select_configILj256ELj13ELNS0_17block_load_methodE3ELS4_3ELS4_3ELNS0_20block_scan_algorithmE0ELj4294967295EEENS1_25partition_config_selectorILNS1_17partition_subalgoE3EjNS0_10empty_typeEbEEZZNS1_14partition_implILS8_3ELb0ES6_jNS0_17counting_iteratorIjlEEPS9_SE_NS0_5tupleIJPjSE_EEENSF_IJSE_SE_EEES9_SG_JZNS1_25segmented_radix_sort_implINS0_14default_configELb0EPKlPlSM_SN_N2at6native12_GLOBAL__N_18offset_tEEE10hipError_tPvRmT1_PNSt15iterator_traitsISV_E10value_typeET2_T3_PNSW_IS11_E10value_typeET4_jRbjT5_S17_jjP12ihipStream_tbEUljE_EEESS_ST_SU_S11_S15_S17_T6_T7_T9_mT8_S19_bDpT10_ENKUlT_T0_E_clISt17integral_constantIbLb0EES1L_IbLb1EEEEDaS1H_S1I_EUlS1H_E_NS1_11comp_targetILNS1_3genE3ELNS1_11target_archE908ELNS1_3gpuE7ELNS1_3repE0EEENS1_30default_config_static_selectorELNS0_4arch9wavefront6targetE0EEEvSV_.uses_flat_scratch, 0
	.set _ZN7rocprim17ROCPRIM_400000_NS6detail17trampoline_kernelINS0_13select_configILj256ELj13ELNS0_17block_load_methodE3ELS4_3ELS4_3ELNS0_20block_scan_algorithmE0ELj4294967295EEENS1_25partition_config_selectorILNS1_17partition_subalgoE3EjNS0_10empty_typeEbEEZZNS1_14partition_implILS8_3ELb0ES6_jNS0_17counting_iteratorIjlEEPS9_SE_NS0_5tupleIJPjSE_EEENSF_IJSE_SE_EEES9_SG_JZNS1_25segmented_radix_sort_implINS0_14default_configELb0EPKlPlSM_SN_N2at6native12_GLOBAL__N_18offset_tEEE10hipError_tPvRmT1_PNSt15iterator_traitsISV_E10value_typeET2_T3_PNSW_IS11_E10value_typeET4_jRbjT5_S17_jjP12ihipStream_tbEUljE_EEESS_ST_SU_S11_S15_S17_T6_T7_T9_mT8_S19_bDpT10_ENKUlT_T0_E_clISt17integral_constantIbLb0EES1L_IbLb1EEEEDaS1H_S1I_EUlS1H_E_NS1_11comp_targetILNS1_3genE3ELNS1_11target_archE908ELNS1_3gpuE7ELNS1_3repE0EEENS1_30default_config_static_selectorELNS0_4arch9wavefront6targetE0EEEvSV_.has_dyn_sized_stack, 0
	.set _ZN7rocprim17ROCPRIM_400000_NS6detail17trampoline_kernelINS0_13select_configILj256ELj13ELNS0_17block_load_methodE3ELS4_3ELS4_3ELNS0_20block_scan_algorithmE0ELj4294967295EEENS1_25partition_config_selectorILNS1_17partition_subalgoE3EjNS0_10empty_typeEbEEZZNS1_14partition_implILS8_3ELb0ES6_jNS0_17counting_iteratorIjlEEPS9_SE_NS0_5tupleIJPjSE_EEENSF_IJSE_SE_EEES9_SG_JZNS1_25segmented_radix_sort_implINS0_14default_configELb0EPKlPlSM_SN_N2at6native12_GLOBAL__N_18offset_tEEE10hipError_tPvRmT1_PNSt15iterator_traitsISV_E10value_typeET2_T3_PNSW_IS11_E10value_typeET4_jRbjT5_S17_jjP12ihipStream_tbEUljE_EEESS_ST_SU_S11_S15_S17_T6_T7_T9_mT8_S19_bDpT10_ENKUlT_T0_E_clISt17integral_constantIbLb0EES1L_IbLb1EEEEDaS1H_S1I_EUlS1H_E_NS1_11comp_targetILNS1_3genE3ELNS1_11target_archE908ELNS1_3gpuE7ELNS1_3repE0EEENS1_30default_config_static_selectorELNS0_4arch9wavefront6targetE0EEEvSV_.has_recursion, 0
	.set _ZN7rocprim17ROCPRIM_400000_NS6detail17trampoline_kernelINS0_13select_configILj256ELj13ELNS0_17block_load_methodE3ELS4_3ELS4_3ELNS0_20block_scan_algorithmE0ELj4294967295EEENS1_25partition_config_selectorILNS1_17partition_subalgoE3EjNS0_10empty_typeEbEEZZNS1_14partition_implILS8_3ELb0ES6_jNS0_17counting_iteratorIjlEEPS9_SE_NS0_5tupleIJPjSE_EEENSF_IJSE_SE_EEES9_SG_JZNS1_25segmented_radix_sort_implINS0_14default_configELb0EPKlPlSM_SN_N2at6native12_GLOBAL__N_18offset_tEEE10hipError_tPvRmT1_PNSt15iterator_traitsISV_E10value_typeET2_T3_PNSW_IS11_E10value_typeET4_jRbjT5_S17_jjP12ihipStream_tbEUljE_EEESS_ST_SU_S11_S15_S17_T6_T7_T9_mT8_S19_bDpT10_ENKUlT_T0_E_clISt17integral_constantIbLb0EES1L_IbLb1EEEEDaS1H_S1I_EUlS1H_E_NS1_11comp_targetILNS1_3genE3ELNS1_11target_archE908ELNS1_3gpuE7ELNS1_3repE0EEENS1_30default_config_static_selectorELNS0_4arch9wavefront6targetE0EEEvSV_.has_indirect_call, 0
	.section	.AMDGPU.csdata,"",@progbits
; Kernel info:
; codeLenInByte = 0
; TotalNumSgprs: 0
; NumVgprs: 0
; ScratchSize: 0
; MemoryBound: 0
; FloatMode: 240
; IeeeMode: 1
; LDSByteSize: 0 bytes/workgroup (compile time only)
; SGPRBlocks: 0
; VGPRBlocks: 0
; NumSGPRsForWavesPerEU: 1
; NumVGPRsForWavesPerEU: 1
; Occupancy: 16
; WaveLimiterHint : 0
; COMPUTE_PGM_RSRC2:SCRATCH_EN: 0
; COMPUTE_PGM_RSRC2:USER_SGPR: 6
; COMPUTE_PGM_RSRC2:TRAP_HANDLER: 0
; COMPUTE_PGM_RSRC2:TGID_X_EN: 1
; COMPUTE_PGM_RSRC2:TGID_Y_EN: 0
; COMPUTE_PGM_RSRC2:TGID_Z_EN: 0
; COMPUTE_PGM_RSRC2:TIDIG_COMP_CNT: 0
	.section	.text._ZN7rocprim17ROCPRIM_400000_NS6detail17trampoline_kernelINS0_13select_configILj256ELj13ELNS0_17block_load_methodE3ELS4_3ELS4_3ELNS0_20block_scan_algorithmE0ELj4294967295EEENS1_25partition_config_selectorILNS1_17partition_subalgoE3EjNS0_10empty_typeEbEEZZNS1_14partition_implILS8_3ELb0ES6_jNS0_17counting_iteratorIjlEEPS9_SE_NS0_5tupleIJPjSE_EEENSF_IJSE_SE_EEES9_SG_JZNS1_25segmented_radix_sort_implINS0_14default_configELb0EPKlPlSM_SN_N2at6native12_GLOBAL__N_18offset_tEEE10hipError_tPvRmT1_PNSt15iterator_traitsISV_E10value_typeET2_T3_PNSW_IS11_E10value_typeET4_jRbjT5_S17_jjP12ihipStream_tbEUljE_EEESS_ST_SU_S11_S15_S17_T6_T7_T9_mT8_S19_bDpT10_ENKUlT_T0_E_clISt17integral_constantIbLb0EES1L_IbLb1EEEEDaS1H_S1I_EUlS1H_E_NS1_11comp_targetILNS1_3genE2ELNS1_11target_archE906ELNS1_3gpuE6ELNS1_3repE0EEENS1_30default_config_static_selectorELNS0_4arch9wavefront6targetE0EEEvSV_,"axG",@progbits,_ZN7rocprim17ROCPRIM_400000_NS6detail17trampoline_kernelINS0_13select_configILj256ELj13ELNS0_17block_load_methodE3ELS4_3ELS4_3ELNS0_20block_scan_algorithmE0ELj4294967295EEENS1_25partition_config_selectorILNS1_17partition_subalgoE3EjNS0_10empty_typeEbEEZZNS1_14partition_implILS8_3ELb0ES6_jNS0_17counting_iteratorIjlEEPS9_SE_NS0_5tupleIJPjSE_EEENSF_IJSE_SE_EEES9_SG_JZNS1_25segmented_radix_sort_implINS0_14default_configELb0EPKlPlSM_SN_N2at6native12_GLOBAL__N_18offset_tEEE10hipError_tPvRmT1_PNSt15iterator_traitsISV_E10value_typeET2_T3_PNSW_IS11_E10value_typeET4_jRbjT5_S17_jjP12ihipStream_tbEUljE_EEESS_ST_SU_S11_S15_S17_T6_T7_T9_mT8_S19_bDpT10_ENKUlT_T0_E_clISt17integral_constantIbLb0EES1L_IbLb1EEEEDaS1H_S1I_EUlS1H_E_NS1_11comp_targetILNS1_3genE2ELNS1_11target_archE906ELNS1_3gpuE6ELNS1_3repE0EEENS1_30default_config_static_selectorELNS0_4arch9wavefront6targetE0EEEvSV_,comdat
	.globl	_ZN7rocprim17ROCPRIM_400000_NS6detail17trampoline_kernelINS0_13select_configILj256ELj13ELNS0_17block_load_methodE3ELS4_3ELS4_3ELNS0_20block_scan_algorithmE0ELj4294967295EEENS1_25partition_config_selectorILNS1_17partition_subalgoE3EjNS0_10empty_typeEbEEZZNS1_14partition_implILS8_3ELb0ES6_jNS0_17counting_iteratorIjlEEPS9_SE_NS0_5tupleIJPjSE_EEENSF_IJSE_SE_EEES9_SG_JZNS1_25segmented_radix_sort_implINS0_14default_configELb0EPKlPlSM_SN_N2at6native12_GLOBAL__N_18offset_tEEE10hipError_tPvRmT1_PNSt15iterator_traitsISV_E10value_typeET2_T3_PNSW_IS11_E10value_typeET4_jRbjT5_S17_jjP12ihipStream_tbEUljE_EEESS_ST_SU_S11_S15_S17_T6_T7_T9_mT8_S19_bDpT10_ENKUlT_T0_E_clISt17integral_constantIbLb0EES1L_IbLb1EEEEDaS1H_S1I_EUlS1H_E_NS1_11comp_targetILNS1_3genE2ELNS1_11target_archE906ELNS1_3gpuE6ELNS1_3repE0EEENS1_30default_config_static_selectorELNS0_4arch9wavefront6targetE0EEEvSV_ ; -- Begin function _ZN7rocprim17ROCPRIM_400000_NS6detail17trampoline_kernelINS0_13select_configILj256ELj13ELNS0_17block_load_methodE3ELS4_3ELS4_3ELNS0_20block_scan_algorithmE0ELj4294967295EEENS1_25partition_config_selectorILNS1_17partition_subalgoE3EjNS0_10empty_typeEbEEZZNS1_14partition_implILS8_3ELb0ES6_jNS0_17counting_iteratorIjlEEPS9_SE_NS0_5tupleIJPjSE_EEENSF_IJSE_SE_EEES9_SG_JZNS1_25segmented_radix_sort_implINS0_14default_configELb0EPKlPlSM_SN_N2at6native12_GLOBAL__N_18offset_tEEE10hipError_tPvRmT1_PNSt15iterator_traitsISV_E10value_typeET2_T3_PNSW_IS11_E10value_typeET4_jRbjT5_S17_jjP12ihipStream_tbEUljE_EEESS_ST_SU_S11_S15_S17_T6_T7_T9_mT8_S19_bDpT10_ENKUlT_T0_E_clISt17integral_constantIbLb0EES1L_IbLb1EEEEDaS1H_S1I_EUlS1H_E_NS1_11comp_targetILNS1_3genE2ELNS1_11target_archE906ELNS1_3gpuE6ELNS1_3repE0EEENS1_30default_config_static_selectorELNS0_4arch9wavefront6targetE0EEEvSV_
	.p2align	8
	.type	_ZN7rocprim17ROCPRIM_400000_NS6detail17trampoline_kernelINS0_13select_configILj256ELj13ELNS0_17block_load_methodE3ELS4_3ELS4_3ELNS0_20block_scan_algorithmE0ELj4294967295EEENS1_25partition_config_selectorILNS1_17partition_subalgoE3EjNS0_10empty_typeEbEEZZNS1_14partition_implILS8_3ELb0ES6_jNS0_17counting_iteratorIjlEEPS9_SE_NS0_5tupleIJPjSE_EEENSF_IJSE_SE_EEES9_SG_JZNS1_25segmented_radix_sort_implINS0_14default_configELb0EPKlPlSM_SN_N2at6native12_GLOBAL__N_18offset_tEEE10hipError_tPvRmT1_PNSt15iterator_traitsISV_E10value_typeET2_T3_PNSW_IS11_E10value_typeET4_jRbjT5_S17_jjP12ihipStream_tbEUljE_EEESS_ST_SU_S11_S15_S17_T6_T7_T9_mT8_S19_bDpT10_ENKUlT_T0_E_clISt17integral_constantIbLb0EES1L_IbLb1EEEEDaS1H_S1I_EUlS1H_E_NS1_11comp_targetILNS1_3genE2ELNS1_11target_archE906ELNS1_3gpuE6ELNS1_3repE0EEENS1_30default_config_static_selectorELNS0_4arch9wavefront6targetE0EEEvSV_,@function
_ZN7rocprim17ROCPRIM_400000_NS6detail17trampoline_kernelINS0_13select_configILj256ELj13ELNS0_17block_load_methodE3ELS4_3ELS4_3ELNS0_20block_scan_algorithmE0ELj4294967295EEENS1_25partition_config_selectorILNS1_17partition_subalgoE3EjNS0_10empty_typeEbEEZZNS1_14partition_implILS8_3ELb0ES6_jNS0_17counting_iteratorIjlEEPS9_SE_NS0_5tupleIJPjSE_EEENSF_IJSE_SE_EEES9_SG_JZNS1_25segmented_radix_sort_implINS0_14default_configELb0EPKlPlSM_SN_N2at6native12_GLOBAL__N_18offset_tEEE10hipError_tPvRmT1_PNSt15iterator_traitsISV_E10value_typeET2_T3_PNSW_IS11_E10value_typeET4_jRbjT5_S17_jjP12ihipStream_tbEUljE_EEESS_ST_SU_S11_S15_S17_T6_T7_T9_mT8_S19_bDpT10_ENKUlT_T0_E_clISt17integral_constantIbLb0EES1L_IbLb1EEEEDaS1H_S1I_EUlS1H_E_NS1_11comp_targetILNS1_3genE2ELNS1_11target_archE906ELNS1_3gpuE6ELNS1_3repE0EEENS1_30default_config_static_selectorELNS0_4arch9wavefront6targetE0EEEvSV_: ; @_ZN7rocprim17ROCPRIM_400000_NS6detail17trampoline_kernelINS0_13select_configILj256ELj13ELNS0_17block_load_methodE3ELS4_3ELS4_3ELNS0_20block_scan_algorithmE0ELj4294967295EEENS1_25partition_config_selectorILNS1_17partition_subalgoE3EjNS0_10empty_typeEbEEZZNS1_14partition_implILS8_3ELb0ES6_jNS0_17counting_iteratorIjlEEPS9_SE_NS0_5tupleIJPjSE_EEENSF_IJSE_SE_EEES9_SG_JZNS1_25segmented_radix_sort_implINS0_14default_configELb0EPKlPlSM_SN_N2at6native12_GLOBAL__N_18offset_tEEE10hipError_tPvRmT1_PNSt15iterator_traitsISV_E10value_typeET2_T3_PNSW_IS11_E10value_typeET4_jRbjT5_S17_jjP12ihipStream_tbEUljE_EEESS_ST_SU_S11_S15_S17_T6_T7_T9_mT8_S19_bDpT10_ENKUlT_T0_E_clISt17integral_constantIbLb0EES1L_IbLb1EEEEDaS1H_S1I_EUlS1H_E_NS1_11comp_targetILNS1_3genE2ELNS1_11target_archE906ELNS1_3gpuE6ELNS1_3repE0EEENS1_30default_config_static_selectorELNS0_4arch9wavefront6targetE0EEEvSV_
; %bb.0:
	.section	.rodata,"a",@progbits
	.p2align	6, 0x0
	.amdhsa_kernel _ZN7rocprim17ROCPRIM_400000_NS6detail17trampoline_kernelINS0_13select_configILj256ELj13ELNS0_17block_load_methodE3ELS4_3ELS4_3ELNS0_20block_scan_algorithmE0ELj4294967295EEENS1_25partition_config_selectorILNS1_17partition_subalgoE3EjNS0_10empty_typeEbEEZZNS1_14partition_implILS8_3ELb0ES6_jNS0_17counting_iteratorIjlEEPS9_SE_NS0_5tupleIJPjSE_EEENSF_IJSE_SE_EEES9_SG_JZNS1_25segmented_radix_sort_implINS0_14default_configELb0EPKlPlSM_SN_N2at6native12_GLOBAL__N_18offset_tEEE10hipError_tPvRmT1_PNSt15iterator_traitsISV_E10value_typeET2_T3_PNSW_IS11_E10value_typeET4_jRbjT5_S17_jjP12ihipStream_tbEUljE_EEESS_ST_SU_S11_S15_S17_T6_T7_T9_mT8_S19_bDpT10_ENKUlT_T0_E_clISt17integral_constantIbLb0EES1L_IbLb1EEEEDaS1H_S1I_EUlS1H_E_NS1_11comp_targetILNS1_3genE2ELNS1_11target_archE906ELNS1_3gpuE6ELNS1_3repE0EEENS1_30default_config_static_selectorELNS0_4arch9wavefront6targetE0EEEvSV_
		.amdhsa_group_segment_fixed_size 0
		.amdhsa_private_segment_fixed_size 0
		.amdhsa_kernarg_size 152
		.amdhsa_user_sgpr_count 6
		.amdhsa_user_sgpr_private_segment_buffer 1
		.amdhsa_user_sgpr_dispatch_ptr 0
		.amdhsa_user_sgpr_queue_ptr 0
		.amdhsa_user_sgpr_kernarg_segment_ptr 1
		.amdhsa_user_sgpr_dispatch_id 0
		.amdhsa_user_sgpr_flat_scratch_init 0
		.amdhsa_user_sgpr_private_segment_size 0
		.amdhsa_wavefront_size32 1
		.amdhsa_uses_dynamic_stack 0
		.amdhsa_system_sgpr_private_segment_wavefront_offset 0
		.amdhsa_system_sgpr_workgroup_id_x 1
		.amdhsa_system_sgpr_workgroup_id_y 0
		.amdhsa_system_sgpr_workgroup_id_z 0
		.amdhsa_system_sgpr_workgroup_info 0
		.amdhsa_system_vgpr_workitem_id 0
		.amdhsa_next_free_vgpr 1
		.amdhsa_next_free_sgpr 1
		.amdhsa_reserve_vcc 0
		.amdhsa_reserve_flat_scratch 0
		.amdhsa_float_round_mode_32 0
		.amdhsa_float_round_mode_16_64 0
		.amdhsa_float_denorm_mode_32 3
		.amdhsa_float_denorm_mode_16_64 3
		.amdhsa_dx10_clamp 1
		.amdhsa_ieee_mode 1
		.amdhsa_fp16_overflow 0
		.amdhsa_workgroup_processor_mode 1
		.amdhsa_memory_ordered 1
		.amdhsa_forward_progress 1
		.amdhsa_shared_vgpr_count 0
		.amdhsa_exception_fp_ieee_invalid_op 0
		.amdhsa_exception_fp_denorm_src 0
		.amdhsa_exception_fp_ieee_div_zero 0
		.amdhsa_exception_fp_ieee_overflow 0
		.amdhsa_exception_fp_ieee_underflow 0
		.amdhsa_exception_fp_ieee_inexact 0
		.amdhsa_exception_int_div_zero 0
	.end_amdhsa_kernel
	.section	.text._ZN7rocprim17ROCPRIM_400000_NS6detail17trampoline_kernelINS0_13select_configILj256ELj13ELNS0_17block_load_methodE3ELS4_3ELS4_3ELNS0_20block_scan_algorithmE0ELj4294967295EEENS1_25partition_config_selectorILNS1_17partition_subalgoE3EjNS0_10empty_typeEbEEZZNS1_14partition_implILS8_3ELb0ES6_jNS0_17counting_iteratorIjlEEPS9_SE_NS0_5tupleIJPjSE_EEENSF_IJSE_SE_EEES9_SG_JZNS1_25segmented_radix_sort_implINS0_14default_configELb0EPKlPlSM_SN_N2at6native12_GLOBAL__N_18offset_tEEE10hipError_tPvRmT1_PNSt15iterator_traitsISV_E10value_typeET2_T3_PNSW_IS11_E10value_typeET4_jRbjT5_S17_jjP12ihipStream_tbEUljE_EEESS_ST_SU_S11_S15_S17_T6_T7_T9_mT8_S19_bDpT10_ENKUlT_T0_E_clISt17integral_constantIbLb0EES1L_IbLb1EEEEDaS1H_S1I_EUlS1H_E_NS1_11comp_targetILNS1_3genE2ELNS1_11target_archE906ELNS1_3gpuE6ELNS1_3repE0EEENS1_30default_config_static_selectorELNS0_4arch9wavefront6targetE0EEEvSV_,"axG",@progbits,_ZN7rocprim17ROCPRIM_400000_NS6detail17trampoline_kernelINS0_13select_configILj256ELj13ELNS0_17block_load_methodE3ELS4_3ELS4_3ELNS0_20block_scan_algorithmE0ELj4294967295EEENS1_25partition_config_selectorILNS1_17partition_subalgoE3EjNS0_10empty_typeEbEEZZNS1_14partition_implILS8_3ELb0ES6_jNS0_17counting_iteratorIjlEEPS9_SE_NS0_5tupleIJPjSE_EEENSF_IJSE_SE_EEES9_SG_JZNS1_25segmented_radix_sort_implINS0_14default_configELb0EPKlPlSM_SN_N2at6native12_GLOBAL__N_18offset_tEEE10hipError_tPvRmT1_PNSt15iterator_traitsISV_E10value_typeET2_T3_PNSW_IS11_E10value_typeET4_jRbjT5_S17_jjP12ihipStream_tbEUljE_EEESS_ST_SU_S11_S15_S17_T6_T7_T9_mT8_S19_bDpT10_ENKUlT_T0_E_clISt17integral_constantIbLb0EES1L_IbLb1EEEEDaS1H_S1I_EUlS1H_E_NS1_11comp_targetILNS1_3genE2ELNS1_11target_archE906ELNS1_3gpuE6ELNS1_3repE0EEENS1_30default_config_static_selectorELNS0_4arch9wavefront6targetE0EEEvSV_,comdat
.Lfunc_end797:
	.size	_ZN7rocprim17ROCPRIM_400000_NS6detail17trampoline_kernelINS0_13select_configILj256ELj13ELNS0_17block_load_methodE3ELS4_3ELS4_3ELNS0_20block_scan_algorithmE0ELj4294967295EEENS1_25partition_config_selectorILNS1_17partition_subalgoE3EjNS0_10empty_typeEbEEZZNS1_14partition_implILS8_3ELb0ES6_jNS0_17counting_iteratorIjlEEPS9_SE_NS0_5tupleIJPjSE_EEENSF_IJSE_SE_EEES9_SG_JZNS1_25segmented_radix_sort_implINS0_14default_configELb0EPKlPlSM_SN_N2at6native12_GLOBAL__N_18offset_tEEE10hipError_tPvRmT1_PNSt15iterator_traitsISV_E10value_typeET2_T3_PNSW_IS11_E10value_typeET4_jRbjT5_S17_jjP12ihipStream_tbEUljE_EEESS_ST_SU_S11_S15_S17_T6_T7_T9_mT8_S19_bDpT10_ENKUlT_T0_E_clISt17integral_constantIbLb0EES1L_IbLb1EEEEDaS1H_S1I_EUlS1H_E_NS1_11comp_targetILNS1_3genE2ELNS1_11target_archE906ELNS1_3gpuE6ELNS1_3repE0EEENS1_30default_config_static_selectorELNS0_4arch9wavefront6targetE0EEEvSV_, .Lfunc_end797-_ZN7rocprim17ROCPRIM_400000_NS6detail17trampoline_kernelINS0_13select_configILj256ELj13ELNS0_17block_load_methodE3ELS4_3ELS4_3ELNS0_20block_scan_algorithmE0ELj4294967295EEENS1_25partition_config_selectorILNS1_17partition_subalgoE3EjNS0_10empty_typeEbEEZZNS1_14partition_implILS8_3ELb0ES6_jNS0_17counting_iteratorIjlEEPS9_SE_NS0_5tupleIJPjSE_EEENSF_IJSE_SE_EEES9_SG_JZNS1_25segmented_radix_sort_implINS0_14default_configELb0EPKlPlSM_SN_N2at6native12_GLOBAL__N_18offset_tEEE10hipError_tPvRmT1_PNSt15iterator_traitsISV_E10value_typeET2_T3_PNSW_IS11_E10value_typeET4_jRbjT5_S17_jjP12ihipStream_tbEUljE_EEESS_ST_SU_S11_S15_S17_T6_T7_T9_mT8_S19_bDpT10_ENKUlT_T0_E_clISt17integral_constantIbLb0EES1L_IbLb1EEEEDaS1H_S1I_EUlS1H_E_NS1_11comp_targetILNS1_3genE2ELNS1_11target_archE906ELNS1_3gpuE6ELNS1_3repE0EEENS1_30default_config_static_selectorELNS0_4arch9wavefront6targetE0EEEvSV_
                                        ; -- End function
	.set _ZN7rocprim17ROCPRIM_400000_NS6detail17trampoline_kernelINS0_13select_configILj256ELj13ELNS0_17block_load_methodE3ELS4_3ELS4_3ELNS0_20block_scan_algorithmE0ELj4294967295EEENS1_25partition_config_selectorILNS1_17partition_subalgoE3EjNS0_10empty_typeEbEEZZNS1_14partition_implILS8_3ELb0ES6_jNS0_17counting_iteratorIjlEEPS9_SE_NS0_5tupleIJPjSE_EEENSF_IJSE_SE_EEES9_SG_JZNS1_25segmented_radix_sort_implINS0_14default_configELb0EPKlPlSM_SN_N2at6native12_GLOBAL__N_18offset_tEEE10hipError_tPvRmT1_PNSt15iterator_traitsISV_E10value_typeET2_T3_PNSW_IS11_E10value_typeET4_jRbjT5_S17_jjP12ihipStream_tbEUljE_EEESS_ST_SU_S11_S15_S17_T6_T7_T9_mT8_S19_bDpT10_ENKUlT_T0_E_clISt17integral_constantIbLb0EES1L_IbLb1EEEEDaS1H_S1I_EUlS1H_E_NS1_11comp_targetILNS1_3genE2ELNS1_11target_archE906ELNS1_3gpuE6ELNS1_3repE0EEENS1_30default_config_static_selectorELNS0_4arch9wavefront6targetE0EEEvSV_.num_vgpr, 0
	.set _ZN7rocprim17ROCPRIM_400000_NS6detail17trampoline_kernelINS0_13select_configILj256ELj13ELNS0_17block_load_methodE3ELS4_3ELS4_3ELNS0_20block_scan_algorithmE0ELj4294967295EEENS1_25partition_config_selectorILNS1_17partition_subalgoE3EjNS0_10empty_typeEbEEZZNS1_14partition_implILS8_3ELb0ES6_jNS0_17counting_iteratorIjlEEPS9_SE_NS0_5tupleIJPjSE_EEENSF_IJSE_SE_EEES9_SG_JZNS1_25segmented_radix_sort_implINS0_14default_configELb0EPKlPlSM_SN_N2at6native12_GLOBAL__N_18offset_tEEE10hipError_tPvRmT1_PNSt15iterator_traitsISV_E10value_typeET2_T3_PNSW_IS11_E10value_typeET4_jRbjT5_S17_jjP12ihipStream_tbEUljE_EEESS_ST_SU_S11_S15_S17_T6_T7_T9_mT8_S19_bDpT10_ENKUlT_T0_E_clISt17integral_constantIbLb0EES1L_IbLb1EEEEDaS1H_S1I_EUlS1H_E_NS1_11comp_targetILNS1_3genE2ELNS1_11target_archE906ELNS1_3gpuE6ELNS1_3repE0EEENS1_30default_config_static_selectorELNS0_4arch9wavefront6targetE0EEEvSV_.num_agpr, 0
	.set _ZN7rocprim17ROCPRIM_400000_NS6detail17trampoline_kernelINS0_13select_configILj256ELj13ELNS0_17block_load_methodE3ELS4_3ELS4_3ELNS0_20block_scan_algorithmE0ELj4294967295EEENS1_25partition_config_selectorILNS1_17partition_subalgoE3EjNS0_10empty_typeEbEEZZNS1_14partition_implILS8_3ELb0ES6_jNS0_17counting_iteratorIjlEEPS9_SE_NS0_5tupleIJPjSE_EEENSF_IJSE_SE_EEES9_SG_JZNS1_25segmented_radix_sort_implINS0_14default_configELb0EPKlPlSM_SN_N2at6native12_GLOBAL__N_18offset_tEEE10hipError_tPvRmT1_PNSt15iterator_traitsISV_E10value_typeET2_T3_PNSW_IS11_E10value_typeET4_jRbjT5_S17_jjP12ihipStream_tbEUljE_EEESS_ST_SU_S11_S15_S17_T6_T7_T9_mT8_S19_bDpT10_ENKUlT_T0_E_clISt17integral_constantIbLb0EES1L_IbLb1EEEEDaS1H_S1I_EUlS1H_E_NS1_11comp_targetILNS1_3genE2ELNS1_11target_archE906ELNS1_3gpuE6ELNS1_3repE0EEENS1_30default_config_static_selectorELNS0_4arch9wavefront6targetE0EEEvSV_.numbered_sgpr, 0
	.set _ZN7rocprim17ROCPRIM_400000_NS6detail17trampoline_kernelINS0_13select_configILj256ELj13ELNS0_17block_load_methodE3ELS4_3ELS4_3ELNS0_20block_scan_algorithmE0ELj4294967295EEENS1_25partition_config_selectorILNS1_17partition_subalgoE3EjNS0_10empty_typeEbEEZZNS1_14partition_implILS8_3ELb0ES6_jNS0_17counting_iteratorIjlEEPS9_SE_NS0_5tupleIJPjSE_EEENSF_IJSE_SE_EEES9_SG_JZNS1_25segmented_radix_sort_implINS0_14default_configELb0EPKlPlSM_SN_N2at6native12_GLOBAL__N_18offset_tEEE10hipError_tPvRmT1_PNSt15iterator_traitsISV_E10value_typeET2_T3_PNSW_IS11_E10value_typeET4_jRbjT5_S17_jjP12ihipStream_tbEUljE_EEESS_ST_SU_S11_S15_S17_T6_T7_T9_mT8_S19_bDpT10_ENKUlT_T0_E_clISt17integral_constantIbLb0EES1L_IbLb1EEEEDaS1H_S1I_EUlS1H_E_NS1_11comp_targetILNS1_3genE2ELNS1_11target_archE906ELNS1_3gpuE6ELNS1_3repE0EEENS1_30default_config_static_selectorELNS0_4arch9wavefront6targetE0EEEvSV_.num_named_barrier, 0
	.set _ZN7rocprim17ROCPRIM_400000_NS6detail17trampoline_kernelINS0_13select_configILj256ELj13ELNS0_17block_load_methodE3ELS4_3ELS4_3ELNS0_20block_scan_algorithmE0ELj4294967295EEENS1_25partition_config_selectorILNS1_17partition_subalgoE3EjNS0_10empty_typeEbEEZZNS1_14partition_implILS8_3ELb0ES6_jNS0_17counting_iteratorIjlEEPS9_SE_NS0_5tupleIJPjSE_EEENSF_IJSE_SE_EEES9_SG_JZNS1_25segmented_radix_sort_implINS0_14default_configELb0EPKlPlSM_SN_N2at6native12_GLOBAL__N_18offset_tEEE10hipError_tPvRmT1_PNSt15iterator_traitsISV_E10value_typeET2_T3_PNSW_IS11_E10value_typeET4_jRbjT5_S17_jjP12ihipStream_tbEUljE_EEESS_ST_SU_S11_S15_S17_T6_T7_T9_mT8_S19_bDpT10_ENKUlT_T0_E_clISt17integral_constantIbLb0EES1L_IbLb1EEEEDaS1H_S1I_EUlS1H_E_NS1_11comp_targetILNS1_3genE2ELNS1_11target_archE906ELNS1_3gpuE6ELNS1_3repE0EEENS1_30default_config_static_selectorELNS0_4arch9wavefront6targetE0EEEvSV_.private_seg_size, 0
	.set _ZN7rocprim17ROCPRIM_400000_NS6detail17trampoline_kernelINS0_13select_configILj256ELj13ELNS0_17block_load_methodE3ELS4_3ELS4_3ELNS0_20block_scan_algorithmE0ELj4294967295EEENS1_25partition_config_selectorILNS1_17partition_subalgoE3EjNS0_10empty_typeEbEEZZNS1_14partition_implILS8_3ELb0ES6_jNS0_17counting_iteratorIjlEEPS9_SE_NS0_5tupleIJPjSE_EEENSF_IJSE_SE_EEES9_SG_JZNS1_25segmented_radix_sort_implINS0_14default_configELb0EPKlPlSM_SN_N2at6native12_GLOBAL__N_18offset_tEEE10hipError_tPvRmT1_PNSt15iterator_traitsISV_E10value_typeET2_T3_PNSW_IS11_E10value_typeET4_jRbjT5_S17_jjP12ihipStream_tbEUljE_EEESS_ST_SU_S11_S15_S17_T6_T7_T9_mT8_S19_bDpT10_ENKUlT_T0_E_clISt17integral_constantIbLb0EES1L_IbLb1EEEEDaS1H_S1I_EUlS1H_E_NS1_11comp_targetILNS1_3genE2ELNS1_11target_archE906ELNS1_3gpuE6ELNS1_3repE0EEENS1_30default_config_static_selectorELNS0_4arch9wavefront6targetE0EEEvSV_.uses_vcc, 0
	.set _ZN7rocprim17ROCPRIM_400000_NS6detail17trampoline_kernelINS0_13select_configILj256ELj13ELNS0_17block_load_methodE3ELS4_3ELS4_3ELNS0_20block_scan_algorithmE0ELj4294967295EEENS1_25partition_config_selectorILNS1_17partition_subalgoE3EjNS0_10empty_typeEbEEZZNS1_14partition_implILS8_3ELb0ES6_jNS0_17counting_iteratorIjlEEPS9_SE_NS0_5tupleIJPjSE_EEENSF_IJSE_SE_EEES9_SG_JZNS1_25segmented_radix_sort_implINS0_14default_configELb0EPKlPlSM_SN_N2at6native12_GLOBAL__N_18offset_tEEE10hipError_tPvRmT1_PNSt15iterator_traitsISV_E10value_typeET2_T3_PNSW_IS11_E10value_typeET4_jRbjT5_S17_jjP12ihipStream_tbEUljE_EEESS_ST_SU_S11_S15_S17_T6_T7_T9_mT8_S19_bDpT10_ENKUlT_T0_E_clISt17integral_constantIbLb0EES1L_IbLb1EEEEDaS1H_S1I_EUlS1H_E_NS1_11comp_targetILNS1_3genE2ELNS1_11target_archE906ELNS1_3gpuE6ELNS1_3repE0EEENS1_30default_config_static_selectorELNS0_4arch9wavefront6targetE0EEEvSV_.uses_flat_scratch, 0
	.set _ZN7rocprim17ROCPRIM_400000_NS6detail17trampoline_kernelINS0_13select_configILj256ELj13ELNS0_17block_load_methodE3ELS4_3ELS4_3ELNS0_20block_scan_algorithmE0ELj4294967295EEENS1_25partition_config_selectorILNS1_17partition_subalgoE3EjNS0_10empty_typeEbEEZZNS1_14partition_implILS8_3ELb0ES6_jNS0_17counting_iteratorIjlEEPS9_SE_NS0_5tupleIJPjSE_EEENSF_IJSE_SE_EEES9_SG_JZNS1_25segmented_radix_sort_implINS0_14default_configELb0EPKlPlSM_SN_N2at6native12_GLOBAL__N_18offset_tEEE10hipError_tPvRmT1_PNSt15iterator_traitsISV_E10value_typeET2_T3_PNSW_IS11_E10value_typeET4_jRbjT5_S17_jjP12ihipStream_tbEUljE_EEESS_ST_SU_S11_S15_S17_T6_T7_T9_mT8_S19_bDpT10_ENKUlT_T0_E_clISt17integral_constantIbLb0EES1L_IbLb1EEEEDaS1H_S1I_EUlS1H_E_NS1_11comp_targetILNS1_3genE2ELNS1_11target_archE906ELNS1_3gpuE6ELNS1_3repE0EEENS1_30default_config_static_selectorELNS0_4arch9wavefront6targetE0EEEvSV_.has_dyn_sized_stack, 0
	.set _ZN7rocprim17ROCPRIM_400000_NS6detail17trampoline_kernelINS0_13select_configILj256ELj13ELNS0_17block_load_methodE3ELS4_3ELS4_3ELNS0_20block_scan_algorithmE0ELj4294967295EEENS1_25partition_config_selectorILNS1_17partition_subalgoE3EjNS0_10empty_typeEbEEZZNS1_14partition_implILS8_3ELb0ES6_jNS0_17counting_iteratorIjlEEPS9_SE_NS0_5tupleIJPjSE_EEENSF_IJSE_SE_EEES9_SG_JZNS1_25segmented_radix_sort_implINS0_14default_configELb0EPKlPlSM_SN_N2at6native12_GLOBAL__N_18offset_tEEE10hipError_tPvRmT1_PNSt15iterator_traitsISV_E10value_typeET2_T3_PNSW_IS11_E10value_typeET4_jRbjT5_S17_jjP12ihipStream_tbEUljE_EEESS_ST_SU_S11_S15_S17_T6_T7_T9_mT8_S19_bDpT10_ENKUlT_T0_E_clISt17integral_constantIbLb0EES1L_IbLb1EEEEDaS1H_S1I_EUlS1H_E_NS1_11comp_targetILNS1_3genE2ELNS1_11target_archE906ELNS1_3gpuE6ELNS1_3repE0EEENS1_30default_config_static_selectorELNS0_4arch9wavefront6targetE0EEEvSV_.has_recursion, 0
	.set _ZN7rocprim17ROCPRIM_400000_NS6detail17trampoline_kernelINS0_13select_configILj256ELj13ELNS0_17block_load_methodE3ELS4_3ELS4_3ELNS0_20block_scan_algorithmE0ELj4294967295EEENS1_25partition_config_selectorILNS1_17partition_subalgoE3EjNS0_10empty_typeEbEEZZNS1_14partition_implILS8_3ELb0ES6_jNS0_17counting_iteratorIjlEEPS9_SE_NS0_5tupleIJPjSE_EEENSF_IJSE_SE_EEES9_SG_JZNS1_25segmented_radix_sort_implINS0_14default_configELb0EPKlPlSM_SN_N2at6native12_GLOBAL__N_18offset_tEEE10hipError_tPvRmT1_PNSt15iterator_traitsISV_E10value_typeET2_T3_PNSW_IS11_E10value_typeET4_jRbjT5_S17_jjP12ihipStream_tbEUljE_EEESS_ST_SU_S11_S15_S17_T6_T7_T9_mT8_S19_bDpT10_ENKUlT_T0_E_clISt17integral_constantIbLb0EES1L_IbLb1EEEEDaS1H_S1I_EUlS1H_E_NS1_11comp_targetILNS1_3genE2ELNS1_11target_archE906ELNS1_3gpuE6ELNS1_3repE0EEENS1_30default_config_static_selectorELNS0_4arch9wavefront6targetE0EEEvSV_.has_indirect_call, 0
	.section	.AMDGPU.csdata,"",@progbits
; Kernel info:
; codeLenInByte = 0
; TotalNumSgprs: 0
; NumVgprs: 0
; ScratchSize: 0
; MemoryBound: 0
; FloatMode: 240
; IeeeMode: 1
; LDSByteSize: 0 bytes/workgroup (compile time only)
; SGPRBlocks: 0
; VGPRBlocks: 0
; NumSGPRsForWavesPerEU: 1
; NumVGPRsForWavesPerEU: 1
; Occupancy: 16
; WaveLimiterHint : 0
; COMPUTE_PGM_RSRC2:SCRATCH_EN: 0
; COMPUTE_PGM_RSRC2:USER_SGPR: 6
; COMPUTE_PGM_RSRC2:TRAP_HANDLER: 0
; COMPUTE_PGM_RSRC2:TGID_X_EN: 1
; COMPUTE_PGM_RSRC2:TGID_Y_EN: 0
; COMPUTE_PGM_RSRC2:TGID_Z_EN: 0
; COMPUTE_PGM_RSRC2:TIDIG_COMP_CNT: 0
	.section	.text._ZN7rocprim17ROCPRIM_400000_NS6detail17trampoline_kernelINS0_13select_configILj256ELj13ELNS0_17block_load_methodE3ELS4_3ELS4_3ELNS0_20block_scan_algorithmE0ELj4294967295EEENS1_25partition_config_selectorILNS1_17partition_subalgoE3EjNS0_10empty_typeEbEEZZNS1_14partition_implILS8_3ELb0ES6_jNS0_17counting_iteratorIjlEEPS9_SE_NS0_5tupleIJPjSE_EEENSF_IJSE_SE_EEES9_SG_JZNS1_25segmented_radix_sort_implINS0_14default_configELb0EPKlPlSM_SN_N2at6native12_GLOBAL__N_18offset_tEEE10hipError_tPvRmT1_PNSt15iterator_traitsISV_E10value_typeET2_T3_PNSW_IS11_E10value_typeET4_jRbjT5_S17_jjP12ihipStream_tbEUljE_EEESS_ST_SU_S11_S15_S17_T6_T7_T9_mT8_S19_bDpT10_ENKUlT_T0_E_clISt17integral_constantIbLb0EES1L_IbLb1EEEEDaS1H_S1I_EUlS1H_E_NS1_11comp_targetILNS1_3genE10ELNS1_11target_archE1200ELNS1_3gpuE4ELNS1_3repE0EEENS1_30default_config_static_selectorELNS0_4arch9wavefront6targetE0EEEvSV_,"axG",@progbits,_ZN7rocprim17ROCPRIM_400000_NS6detail17trampoline_kernelINS0_13select_configILj256ELj13ELNS0_17block_load_methodE3ELS4_3ELS4_3ELNS0_20block_scan_algorithmE0ELj4294967295EEENS1_25partition_config_selectorILNS1_17partition_subalgoE3EjNS0_10empty_typeEbEEZZNS1_14partition_implILS8_3ELb0ES6_jNS0_17counting_iteratorIjlEEPS9_SE_NS0_5tupleIJPjSE_EEENSF_IJSE_SE_EEES9_SG_JZNS1_25segmented_radix_sort_implINS0_14default_configELb0EPKlPlSM_SN_N2at6native12_GLOBAL__N_18offset_tEEE10hipError_tPvRmT1_PNSt15iterator_traitsISV_E10value_typeET2_T3_PNSW_IS11_E10value_typeET4_jRbjT5_S17_jjP12ihipStream_tbEUljE_EEESS_ST_SU_S11_S15_S17_T6_T7_T9_mT8_S19_bDpT10_ENKUlT_T0_E_clISt17integral_constantIbLb0EES1L_IbLb1EEEEDaS1H_S1I_EUlS1H_E_NS1_11comp_targetILNS1_3genE10ELNS1_11target_archE1200ELNS1_3gpuE4ELNS1_3repE0EEENS1_30default_config_static_selectorELNS0_4arch9wavefront6targetE0EEEvSV_,comdat
	.globl	_ZN7rocprim17ROCPRIM_400000_NS6detail17trampoline_kernelINS0_13select_configILj256ELj13ELNS0_17block_load_methodE3ELS4_3ELS4_3ELNS0_20block_scan_algorithmE0ELj4294967295EEENS1_25partition_config_selectorILNS1_17partition_subalgoE3EjNS0_10empty_typeEbEEZZNS1_14partition_implILS8_3ELb0ES6_jNS0_17counting_iteratorIjlEEPS9_SE_NS0_5tupleIJPjSE_EEENSF_IJSE_SE_EEES9_SG_JZNS1_25segmented_radix_sort_implINS0_14default_configELb0EPKlPlSM_SN_N2at6native12_GLOBAL__N_18offset_tEEE10hipError_tPvRmT1_PNSt15iterator_traitsISV_E10value_typeET2_T3_PNSW_IS11_E10value_typeET4_jRbjT5_S17_jjP12ihipStream_tbEUljE_EEESS_ST_SU_S11_S15_S17_T6_T7_T9_mT8_S19_bDpT10_ENKUlT_T0_E_clISt17integral_constantIbLb0EES1L_IbLb1EEEEDaS1H_S1I_EUlS1H_E_NS1_11comp_targetILNS1_3genE10ELNS1_11target_archE1200ELNS1_3gpuE4ELNS1_3repE0EEENS1_30default_config_static_selectorELNS0_4arch9wavefront6targetE0EEEvSV_ ; -- Begin function _ZN7rocprim17ROCPRIM_400000_NS6detail17trampoline_kernelINS0_13select_configILj256ELj13ELNS0_17block_load_methodE3ELS4_3ELS4_3ELNS0_20block_scan_algorithmE0ELj4294967295EEENS1_25partition_config_selectorILNS1_17partition_subalgoE3EjNS0_10empty_typeEbEEZZNS1_14partition_implILS8_3ELb0ES6_jNS0_17counting_iteratorIjlEEPS9_SE_NS0_5tupleIJPjSE_EEENSF_IJSE_SE_EEES9_SG_JZNS1_25segmented_radix_sort_implINS0_14default_configELb0EPKlPlSM_SN_N2at6native12_GLOBAL__N_18offset_tEEE10hipError_tPvRmT1_PNSt15iterator_traitsISV_E10value_typeET2_T3_PNSW_IS11_E10value_typeET4_jRbjT5_S17_jjP12ihipStream_tbEUljE_EEESS_ST_SU_S11_S15_S17_T6_T7_T9_mT8_S19_bDpT10_ENKUlT_T0_E_clISt17integral_constantIbLb0EES1L_IbLb1EEEEDaS1H_S1I_EUlS1H_E_NS1_11comp_targetILNS1_3genE10ELNS1_11target_archE1200ELNS1_3gpuE4ELNS1_3repE0EEENS1_30default_config_static_selectorELNS0_4arch9wavefront6targetE0EEEvSV_
	.p2align	8
	.type	_ZN7rocprim17ROCPRIM_400000_NS6detail17trampoline_kernelINS0_13select_configILj256ELj13ELNS0_17block_load_methodE3ELS4_3ELS4_3ELNS0_20block_scan_algorithmE0ELj4294967295EEENS1_25partition_config_selectorILNS1_17partition_subalgoE3EjNS0_10empty_typeEbEEZZNS1_14partition_implILS8_3ELb0ES6_jNS0_17counting_iteratorIjlEEPS9_SE_NS0_5tupleIJPjSE_EEENSF_IJSE_SE_EEES9_SG_JZNS1_25segmented_radix_sort_implINS0_14default_configELb0EPKlPlSM_SN_N2at6native12_GLOBAL__N_18offset_tEEE10hipError_tPvRmT1_PNSt15iterator_traitsISV_E10value_typeET2_T3_PNSW_IS11_E10value_typeET4_jRbjT5_S17_jjP12ihipStream_tbEUljE_EEESS_ST_SU_S11_S15_S17_T6_T7_T9_mT8_S19_bDpT10_ENKUlT_T0_E_clISt17integral_constantIbLb0EES1L_IbLb1EEEEDaS1H_S1I_EUlS1H_E_NS1_11comp_targetILNS1_3genE10ELNS1_11target_archE1200ELNS1_3gpuE4ELNS1_3repE0EEENS1_30default_config_static_selectorELNS0_4arch9wavefront6targetE0EEEvSV_,@function
_ZN7rocprim17ROCPRIM_400000_NS6detail17trampoline_kernelINS0_13select_configILj256ELj13ELNS0_17block_load_methodE3ELS4_3ELS4_3ELNS0_20block_scan_algorithmE0ELj4294967295EEENS1_25partition_config_selectorILNS1_17partition_subalgoE3EjNS0_10empty_typeEbEEZZNS1_14partition_implILS8_3ELb0ES6_jNS0_17counting_iteratorIjlEEPS9_SE_NS0_5tupleIJPjSE_EEENSF_IJSE_SE_EEES9_SG_JZNS1_25segmented_radix_sort_implINS0_14default_configELb0EPKlPlSM_SN_N2at6native12_GLOBAL__N_18offset_tEEE10hipError_tPvRmT1_PNSt15iterator_traitsISV_E10value_typeET2_T3_PNSW_IS11_E10value_typeET4_jRbjT5_S17_jjP12ihipStream_tbEUljE_EEESS_ST_SU_S11_S15_S17_T6_T7_T9_mT8_S19_bDpT10_ENKUlT_T0_E_clISt17integral_constantIbLb0EES1L_IbLb1EEEEDaS1H_S1I_EUlS1H_E_NS1_11comp_targetILNS1_3genE10ELNS1_11target_archE1200ELNS1_3gpuE4ELNS1_3repE0EEENS1_30default_config_static_selectorELNS0_4arch9wavefront6targetE0EEEvSV_: ; @_ZN7rocprim17ROCPRIM_400000_NS6detail17trampoline_kernelINS0_13select_configILj256ELj13ELNS0_17block_load_methodE3ELS4_3ELS4_3ELNS0_20block_scan_algorithmE0ELj4294967295EEENS1_25partition_config_selectorILNS1_17partition_subalgoE3EjNS0_10empty_typeEbEEZZNS1_14partition_implILS8_3ELb0ES6_jNS0_17counting_iteratorIjlEEPS9_SE_NS0_5tupleIJPjSE_EEENSF_IJSE_SE_EEES9_SG_JZNS1_25segmented_radix_sort_implINS0_14default_configELb0EPKlPlSM_SN_N2at6native12_GLOBAL__N_18offset_tEEE10hipError_tPvRmT1_PNSt15iterator_traitsISV_E10value_typeET2_T3_PNSW_IS11_E10value_typeET4_jRbjT5_S17_jjP12ihipStream_tbEUljE_EEESS_ST_SU_S11_S15_S17_T6_T7_T9_mT8_S19_bDpT10_ENKUlT_T0_E_clISt17integral_constantIbLb0EES1L_IbLb1EEEEDaS1H_S1I_EUlS1H_E_NS1_11comp_targetILNS1_3genE10ELNS1_11target_archE1200ELNS1_3gpuE4ELNS1_3repE0EEENS1_30default_config_static_selectorELNS0_4arch9wavefront6targetE0EEEvSV_
; %bb.0:
	.section	.rodata,"a",@progbits
	.p2align	6, 0x0
	.amdhsa_kernel _ZN7rocprim17ROCPRIM_400000_NS6detail17trampoline_kernelINS0_13select_configILj256ELj13ELNS0_17block_load_methodE3ELS4_3ELS4_3ELNS0_20block_scan_algorithmE0ELj4294967295EEENS1_25partition_config_selectorILNS1_17partition_subalgoE3EjNS0_10empty_typeEbEEZZNS1_14partition_implILS8_3ELb0ES6_jNS0_17counting_iteratorIjlEEPS9_SE_NS0_5tupleIJPjSE_EEENSF_IJSE_SE_EEES9_SG_JZNS1_25segmented_radix_sort_implINS0_14default_configELb0EPKlPlSM_SN_N2at6native12_GLOBAL__N_18offset_tEEE10hipError_tPvRmT1_PNSt15iterator_traitsISV_E10value_typeET2_T3_PNSW_IS11_E10value_typeET4_jRbjT5_S17_jjP12ihipStream_tbEUljE_EEESS_ST_SU_S11_S15_S17_T6_T7_T9_mT8_S19_bDpT10_ENKUlT_T0_E_clISt17integral_constantIbLb0EES1L_IbLb1EEEEDaS1H_S1I_EUlS1H_E_NS1_11comp_targetILNS1_3genE10ELNS1_11target_archE1200ELNS1_3gpuE4ELNS1_3repE0EEENS1_30default_config_static_selectorELNS0_4arch9wavefront6targetE0EEEvSV_
		.amdhsa_group_segment_fixed_size 0
		.amdhsa_private_segment_fixed_size 0
		.amdhsa_kernarg_size 152
		.amdhsa_user_sgpr_count 6
		.amdhsa_user_sgpr_private_segment_buffer 1
		.amdhsa_user_sgpr_dispatch_ptr 0
		.amdhsa_user_sgpr_queue_ptr 0
		.amdhsa_user_sgpr_kernarg_segment_ptr 1
		.amdhsa_user_sgpr_dispatch_id 0
		.amdhsa_user_sgpr_flat_scratch_init 0
		.amdhsa_user_sgpr_private_segment_size 0
		.amdhsa_wavefront_size32 1
		.amdhsa_uses_dynamic_stack 0
		.amdhsa_system_sgpr_private_segment_wavefront_offset 0
		.amdhsa_system_sgpr_workgroup_id_x 1
		.amdhsa_system_sgpr_workgroup_id_y 0
		.amdhsa_system_sgpr_workgroup_id_z 0
		.amdhsa_system_sgpr_workgroup_info 0
		.amdhsa_system_vgpr_workitem_id 0
		.amdhsa_next_free_vgpr 1
		.amdhsa_next_free_sgpr 1
		.amdhsa_reserve_vcc 0
		.amdhsa_reserve_flat_scratch 0
		.amdhsa_float_round_mode_32 0
		.amdhsa_float_round_mode_16_64 0
		.amdhsa_float_denorm_mode_32 3
		.amdhsa_float_denorm_mode_16_64 3
		.amdhsa_dx10_clamp 1
		.amdhsa_ieee_mode 1
		.amdhsa_fp16_overflow 0
		.amdhsa_workgroup_processor_mode 1
		.amdhsa_memory_ordered 1
		.amdhsa_forward_progress 1
		.amdhsa_shared_vgpr_count 0
		.amdhsa_exception_fp_ieee_invalid_op 0
		.amdhsa_exception_fp_denorm_src 0
		.amdhsa_exception_fp_ieee_div_zero 0
		.amdhsa_exception_fp_ieee_overflow 0
		.amdhsa_exception_fp_ieee_underflow 0
		.amdhsa_exception_fp_ieee_inexact 0
		.amdhsa_exception_int_div_zero 0
	.end_amdhsa_kernel
	.section	.text._ZN7rocprim17ROCPRIM_400000_NS6detail17trampoline_kernelINS0_13select_configILj256ELj13ELNS0_17block_load_methodE3ELS4_3ELS4_3ELNS0_20block_scan_algorithmE0ELj4294967295EEENS1_25partition_config_selectorILNS1_17partition_subalgoE3EjNS0_10empty_typeEbEEZZNS1_14partition_implILS8_3ELb0ES6_jNS0_17counting_iteratorIjlEEPS9_SE_NS0_5tupleIJPjSE_EEENSF_IJSE_SE_EEES9_SG_JZNS1_25segmented_radix_sort_implINS0_14default_configELb0EPKlPlSM_SN_N2at6native12_GLOBAL__N_18offset_tEEE10hipError_tPvRmT1_PNSt15iterator_traitsISV_E10value_typeET2_T3_PNSW_IS11_E10value_typeET4_jRbjT5_S17_jjP12ihipStream_tbEUljE_EEESS_ST_SU_S11_S15_S17_T6_T7_T9_mT8_S19_bDpT10_ENKUlT_T0_E_clISt17integral_constantIbLb0EES1L_IbLb1EEEEDaS1H_S1I_EUlS1H_E_NS1_11comp_targetILNS1_3genE10ELNS1_11target_archE1200ELNS1_3gpuE4ELNS1_3repE0EEENS1_30default_config_static_selectorELNS0_4arch9wavefront6targetE0EEEvSV_,"axG",@progbits,_ZN7rocprim17ROCPRIM_400000_NS6detail17trampoline_kernelINS0_13select_configILj256ELj13ELNS0_17block_load_methodE3ELS4_3ELS4_3ELNS0_20block_scan_algorithmE0ELj4294967295EEENS1_25partition_config_selectorILNS1_17partition_subalgoE3EjNS0_10empty_typeEbEEZZNS1_14partition_implILS8_3ELb0ES6_jNS0_17counting_iteratorIjlEEPS9_SE_NS0_5tupleIJPjSE_EEENSF_IJSE_SE_EEES9_SG_JZNS1_25segmented_radix_sort_implINS0_14default_configELb0EPKlPlSM_SN_N2at6native12_GLOBAL__N_18offset_tEEE10hipError_tPvRmT1_PNSt15iterator_traitsISV_E10value_typeET2_T3_PNSW_IS11_E10value_typeET4_jRbjT5_S17_jjP12ihipStream_tbEUljE_EEESS_ST_SU_S11_S15_S17_T6_T7_T9_mT8_S19_bDpT10_ENKUlT_T0_E_clISt17integral_constantIbLb0EES1L_IbLb1EEEEDaS1H_S1I_EUlS1H_E_NS1_11comp_targetILNS1_3genE10ELNS1_11target_archE1200ELNS1_3gpuE4ELNS1_3repE0EEENS1_30default_config_static_selectorELNS0_4arch9wavefront6targetE0EEEvSV_,comdat
.Lfunc_end798:
	.size	_ZN7rocprim17ROCPRIM_400000_NS6detail17trampoline_kernelINS0_13select_configILj256ELj13ELNS0_17block_load_methodE3ELS4_3ELS4_3ELNS0_20block_scan_algorithmE0ELj4294967295EEENS1_25partition_config_selectorILNS1_17partition_subalgoE3EjNS0_10empty_typeEbEEZZNS1_14partition_implILS8_3ELb0ES6_jNS0_17counting_iteratorIjlEEPS9_SE_NS0_5tupleIJPjSE_EEENSF_IJSE_SE_EEES9_SG_JZNS1_25segmented_radix_sort_implINS0_14default_configELb0EPKlPlSM_SN_N2at6native12_GLOBAL__N_18offset_tEEE10hipError_tPvRmT1_PNSt15iterator_traitsISV_E10value_typeET2_T3_PNSW_IS11_E10value_typeET4_jRbjT5_S17_jjP12ihipStream_tbEUljE_EEESS_ST_SU_S11_S15_S17_T6_T7_T9_mT8_S19_bDpT10_ENKUlT_T0_E_clISt17integral_constantIbLb0EES1L_IbLb1EEEEDaS1H_S1I_EUlS1H_E_NS1_11comp_targetILNS1_3genE10ELNS1_11target_archE1200ELNS1_3gpuE4ELNS1_3repE0EEENS1_30default_config_static_selectorELNS0_4arch9wavefront6targetE0EEEvSV_, .Lfunc_end798-_ZN7rocprim17ROCPRIM_400000_NS6detail17trampoline_kernelINS0_13select_configILj256ELj13ELNS0_17block_load_methodE3ELS4_3ELS4_3ELNS0_20block_scan_algorithmE0ELj4294967295EEENS1_25partition_config_selectorILNS1_17partition_subalgoE3EjNS0_10empty_typeEbEEZZNS1_14partition_implILS8_3ELb0ES6_jNS0_17counting_iteratorIjlEEPS9_SE_NS0_5tupleIJPjSE_EEENSF_IJSE_SE_EEES9_SG_JZNS1_25segmented_radix_sort_implINS0_14default_configELb0EPKlPlSM_SN_N2at6native12_GLOBAL__N_18offset_tEEE10hipError_tPvRmT1_PNSt15iterator_traitsISV_E10value_typeET2_T3_PNSW_IS11_E10value_typeET4_jRbjT5_S17_jjP12ihipStream_tbEUljE_EEESS_ST_SU_S11_S15_S17_T6_T7_T9_mT8_S19_bDpT10_ENKUlT_T0_E_clISt17integral_constantIbLb0EES1L_IbLb1EEEEDaS1H_S1I_EUlS1H_E_NS1_11comp_targetILNS1_3genE10ELNS1_11target_archE1200ELNS1_3gpuE4ELNS1_3repE0EEENS1_30default_config_static_selectorELNS0_4arch9wavefront6targetE0EEEvSV_
                                        ; -- End function
	.set _ZN7rocprim17ROCPRIM_400000_NS6detail17trampoline_kernelINS0_13select_configILj256ELj13ELNS0_17block_load_methodE3ELS4_3ELS4_3ELNS0_20block_scan_algorithmE0ELj4294967295EEENS1_25partition_config_selectorILNS1_17partition_subalgoE3EjNS0_10empty_typeEbEEZZNS1_14partition_implILS8_3ELb0ES6_jNS0_17counting_iteratorIjlEEPS9_SE_NS0_5tupleIJPjSE_EEENSF_IJSE_SE_EEES9_SG_JZNS1_25segmented_radix_sort_implINS0_14default_configELb0EPKlPlSM_SN_N2at6native12_GLOBAL__N_18offset_tEEE10hipError_tPvRmT1_PNSt15iterator_traitsISV_E10value_typeET2_T3_PNSW_IS11_E10value_typeET4_jRbjT5_S17_jjP12ihipStream_tbEUljE_EEESS_ST_SU_S11_S15_S17_T6_T7_T9_mT8_S19_bDpT10_ENKUlT_T0_E_clISt17integral_constantIbLb0EES1L_IbLb1EEEEDaS1H_S1I_EUlS1H_E_NS1_11comp_targetILNS1_3genE10ELNS1_11target_archE1200ELNS1_3gpuE4ELNS1_3repE0EEENS1_30default_config_static_selectorELNS0_4arch9wavefront6targetE0EEEvSV_.num_vgpr, 0
	.set _ZN7rocprim17ROCPRIM_400000_NS6detail17trampoline_kernelINS0_13select_configILj256ELj13ELNS0_17block_load_methodE3ELS4_3ELS4_3ELNS0_20block_scan_algorithmE0ELj4294967295EEENS1_25partition_config_selectorILNS1_17partition_subalgoE3EjNS0_10empty_typeEbEEZZNS1_14partition_implILS8_3ELb0ES6_jNS0_17counting_iteratorIjlEEPS9_SE_NS0_5tupleIJPjSE_EEENSF_IJSE_SE_EEES9_SG_JZNS1_25segmented_radix_sort_implINS0_14default_configELb0EPKlPlSM_SN_N2at6native12_GLOBAL__N_18offset_tEEE10hipError_tPvRmT1_PNSt15iterator_traitsISV_E10value_typeET2_T3_PNSW_IS11_E10value_typeET4_jRbjT5_S17_jjP12ihipStream_tbEUljE_EEESS_ST_SU_S11_S15_S17_T6_T7_T9_mT8_S19_bDpT10_ENKUlT_T0_E_clISt17integral_constantIbLb0EES1L_IbLb1EEEEDaS1H_S1I_EUlS1H_E_NS1_11comp_targetILNS1_3genE10ELNS1_11target_archE1200ELNS1_3gpuE4ELNS1_3repE0EEENS1_30default_config_static_selectorELNS0_4arch9wavefront6targetE0EEEvSV_.num_agpr, 0
	.set _ZN7rocprim17ROCPRIM_400000_NS6detail17trampoline_kernelINS0_13select_configILj256ELj13ELNS0_17block_load_methodE3ELS4_3ELS4_3ELNS0_20block_scan_algorithmE0ELj4294967295EEENS1_25partition_config_selectorILNS1_17partition_subalgoE3EjNS0_10empty_typeEbEEZZNS1_14partition_implILS8_3ELb0ES6_jNS0_17counting_iteratorIjlEEPS9_SE_NS0_5tupleIJPjSE_EEENSF_IJSE_SE_EEES9_SG_JZNS1_25segmented_radix_sort_implINS0_14default_configELb0EPKlPlSM_SN_N2at6native12_GLOBAL__N_18offset_tEEE10hipError_tPvRmT1_PNSt15iterator_traitsISV_E10value_typeET2_T3_PNSW_IS11_E10value_typeET4_jRbjT5_S17_jjP12ihipStream_tbEUljE_EEESS_ST_SU_S11_S15_S17_T6_T7_T9_mT8_S19_bDpT10_ENKUlT_T0_E_clISt17integral_constantIbLb0EES1L_IbLb1EEEEDaS1H_S1I_EUlS1H_E_NS1_11comp_targetILNS1_3genE10ELNS1_11target_archE1200ELNS1_3gpuE4ELNS1_3repE0EEENS1_30default_config_static_selectorELNS0_4arch9wavefront6targetE0EEEvSV_.numbered_sgpr, 0
	.set _ZN7rocprim17ROCPRIM_400000_NS6detail17trampoline_kernelINS0_13select_configILj256ELj13ELNS0_17block_load_methodE3ELS4_3ELS4_3ELNS0_20block_scan_algorithmE0ELj4294967295EEENS1_25partition_config_selectorILNS1_17partition_subalgoE3EjNS0_10empty_typeEbEEZZNS1_14partition_implILS8_3ELb0ES6_jNS0_17counting_iteratorIjlEEPS9_SE_NS0_5tupleIJPjSE_EEENSF_IJSE_SE_EEES9_SG_JZNS1_25segmented_radix_sort_implINS0_14default_configELb0EPKlPlSM_SN_N2at6native12_GLOBAL__N_18offset_tEEE10hipError_tPvRmT1_PNSt15iterator_traitsISV_E10value_typeET2_T3_PNSW_IS11_E10value_typeET4_jRbjT5_S17_jjP12ihipStream_tbEUljE_EEESS_ST_SU_S11_S15_S17_T6_T7_T9_mT8_S19_bDpT10_ENKUlT_T0_E_clISt17integral_constantIbLb0EES1L_IbLb1EEEEDaS1H_S1I_EUlS1H_E_NS1_11comp_targetILNS1_3genE10ELNS1_11target_archE1200ELNS1_3gpuE4ELNS1_3repE0EEENS1_30default_config_static_selectorELNS0_4arch9wavefront6targetE0EEEvSV_.num_named_barrier, 0
	.set _ZN7rocprim17ROCPRIM_400000_NS6detail17trampoline_kernelINS0_13select_configILj256ELj13ELNS0_17block_load_methodE3ELS4_3ELS4_3ELNS0_20block_scan_algorithmE0ELj4294967295EEENS1_25partition_config_selectorILNS1_17partition_subalgoE3EjNS0_10empty_typeEbEEZZNS1_14partition_implILS8_3ELb0ES6_jNS0_17counting_iteratorIjlEEPS9_SE_NS0_5tupleIJPjSE_EEENSF_IJSE_SE_EEES9_SG_JZNS1_25segmented_radix_sort_implINS0_14default_configELb0EPKlPlSM_SN_N2at6native12_GLOBAL__N_18offset_tEEE10hipError_tPvRmT1_PNSt15iterator_traitsISV_E10value_typeET2_T3_PNSW_IS11_E10value_typeET4_jRbjT5_S17_jjP12ihipStream_tbEUljE_EEESS_ST_SU_S11_S15_S17_T6_T7_T9_mT8_S19_bDpT10_ENKUlT_T0_E_clISt17integral_constantIbLb0EES1L_IbLb1EEEEDaS1H_S1I_EUlS1H_E_NS1_11comp_targetILNS1_3genE10ELNS1_11target_archE1200ELNS1_3gpuE4ELNS1_3repE0EEENS1_30default_config_static_selectorELNS0_4arch9wavefront6targetE0EEEvSV_.private_seg_size, 0
	.set _ZN7rocprim17ROCPRIM_400000_NS6detail17trampoline_kernelINS0_13select_configILj256ELj13ELNS0_17block_load_methodE3ELS4_3ELS4_3ELNS0_20block_scan_algorithmE0ELj4294967295EEENS1_25partition_config_selectorILNS1_17partition_subalgoE3EjNS0_10empty_typeEbEEZZNS1_14partition_implILS8_3ELb0ES6_jNS0_17counting_iteratorIjlEEPS9_SE_NS0_5tupleIJPjSE_EEENSF_IJSE_SE_EEES9_SG_JZNS1_25segmented_radix_sort_implINS0_14default_configELb0EPKlPlSM_SN_N2at6native12_GLOBAL__N_18offset_tEEE10hipError_tPvRmT1_PNSt15iterator_traitsISV_E10value_typeET2_T3_PNSW_IS11_E10value_typeET4_jRbjT5_S17_jjP12ihipStream_tbEUljE_EEESS_ST_SU_S11_S15_S17_T6_T7_T9_mT8_S19_bDpT10_ENKUlT_T0_E_clISt17integral_constantIbLb0EES1L_IbLb1EEEEDaS1H_S1I_EUlS1H_E_NS1_11comp_targetILNS1_3genE10ELNS1_11target_archE1200ELNS1_3gpuE4ELNS1_3repE0EEENS1_30default_config_static_selectorELNS0_4arch9wavefront6targetE0EEEvSV_.uses_vcc, 0
	.set _ZN7rocprim17ROCPRIM_400000_NS6detail17trampoline_kernelINS0_13select_configILj256ELj13ELNS0_17block_load_methodE3ELS4_3ELS4_3ELNS0_20block_scan_algorithmE0ELj4294967295EEENS1_25partition_config_selectorILNS1_17partition_subalgoE3EjNS0_10empty_typeEbEEZZNS1_14partition_implILS8_3ELb0ES6_jNS0_17counting_iteratorIjlEEPS9_SE_NS0_5tupleIJPjSE_EEENSF_IJSE_SE_EEES9_SG_JZNS1_25segmented_radix_sort_implINS0_14default_configELb0EPKlPlSM_SN_N2at6native12_GLOBAL__N_18offset_tEEE10hipError_tPvRmT1_PNSt15iterator_traitsISV_E10value_typeET2_T3_PNSW_IS11_E10value_typeET4_jRbjT5_S17_jjP12ihipStream_tbEUljE_EEESS_ST_SU_S11_S15_S17_T6_T7_T9_mT8_S19_bDpT10_ENKUlT_T0_E_clISt17integral_constantIbLb0EES1L_IbLb1EEEEDaS1H_S1I_EUlS1H_E_NS1_11comp_targetILNS1_3genE10ELNS1_11target_archE1200ELNS1_3gpuE4ELNS1_3repE0EEENS1_30default_config_static_selectorELNS0_4arch9wavefront6targetE0EEEvSV_.uses_flat_scratch, 0
	.set _ZN7rocprim17ROCPRIM_400000_NS6detail17trampoline_kernelINS0_13select_configILj256ELj13ELNS0_17block_load_methodE3ELS4_3ELS4_3ELNS0_20block_scan_algorithmE0ELj4294967295EEENS1_25partition_config_selectorILNS1_17partition_subalgoE3EjNS0_10empty_typeEbEEZZNS1_14partition_implILS8_3ELb0ES6_jNS0_17counting_iteratorIjlEEPS9_SE_NS0_5tupleIJPjSE_EEENSF_IJSE_SE_EEES9_SG_JZNS1_25segmented_radix_sort_implINS0_14default_configELb0EPKlPlSM_SN_N2at6native12_GLOBAL__N_18offset_tEEE10hipError_tPvRmT1_PNSt15iterator_traitsISV_E10value_typeET2_T3_PNSW_IS11_E10value_typeET4_jRbjT5_S17_jjP12ihipStream_tbEUljE_EEESS_ST_SU_S11_S15_S17_T6_T7_T9_mT8_S19_bDpT10_ENKUlT_T0_E_clISt17integral_constantIbLb0EES1L_IbLb1EEEEDaS1H_S1I_EUlS1H_E_NS1_11comp_targetILNS1_3genE10ELNS1_11target_archE1200ELNS1_3gpuE4ELNS1_3repE0EEENS1_30default_config_static_selectorELNS0_4arch9wavefront6targetE0EEEvSV_.has_dyn_sized_stack, 0
	.set _ZN7rocprim17ROCPRIM_400000_NS6detail17trampoline_kernelINS0_13select_configILj256ELj13ELNS0_17block_load_methodE3ELS4_3ELS4_3ELNS0_20block_scan_algorithmE0ELj4294967295EEENS1_25partition_config_selectorILNS1_17partition_subalgoE3EjNS0_10empty_typeEbEEZZNS1_14partition_implILS8_3ELb0ES6_jNS0_17counting_iteratorIjlEEPS9_SE_NS0_5tupleIJPjSE_EEENSF_IJSE_SE_EEES9_SG_JZNS1_25segmented_radix_sort_implINS0_14default_configELb0EPKlPlSM_SN_N2at6native12_GLOBAL__N_18offset_tEEE10hipError_tPvRmT1_PNSt15iterator_traitsISV_E10value_typeET2_T3_PNSW_IS11_E10value_typeET4_jRbjT5_S17_jjP12ihipStream_tbEUljE_EEESS_ST_SU_S11_S15_S17_T6_T7_T9_mT8_S19_bDpT10_ENKUlT_T0_E_clISt17integral_constantIbLb0EES1L_IbLb1EEEEDaS1H_S1I_EUlS1H_E_NS1_11comp_targetILNS1_3genE10ELNS1_11target_archE1200ELNS1_3gpuE4ELNS1_3repE0EEENS1_30default_config_static_selectorELNS0_4arch9wavefront6targetE0EEEvSV_.has_recursion, 0
	.set _ZN7rocprim17ROCPRIM_400000_NS6detail17trampoline_kernelINS0_13select_configILj256ELj13ELNS0_17block_load_methodE3ELS4_3ELS4_3ELNS0_20block_scan_algorithmE0ELj4294967295EEENS1_25partition_config_selectorILNS1_17partition_subalgoE3EjNS0_10empty_typeEbEEZZNS1_14partition_implILS8_3ELb0ES6_jNS0_17counting_iteratorIjlEEPS9_SE_NS0_5tupleIJPjSE_EEENSF_IJSE_SE_EEES9_SG_JZNS1_25segmented_radix_sort_implINS0_14default_configELb0EPKlPlSM_SN_N2at6native12_GLOBAL__N_18offset_tEEE10hipError_tPvRmT1_PNSt15iterator_traitsISV_E10value_typeET2_T3_PNSW_IS11_E10value_typeET4_jRbjT5_S17_jjP12ihipStream_tbEUljE_EEESS_ST_SU_S11_S15_S17_T6_T7_T9_mT8_S19_bDpT10_ENKUlT_T0_E_clISt17integral_constantIbLb0EES1L_IbLb1EEEEDaS1H_S1I_EUlS1H_E_NS1_11comp_targetILNS1_3genE10ELNS1_11target_archE1200ELNS1_3gpuE4ELNS1_3repE0EEENS1_30default_config_static_selectorELNS0_4arch9wavefront6targetE0EEEvSV_.has_indirect_call, 0
	.section	.AMDGPU.csdata,"",@progbits
; Kernel info:
; codeLenInByte = 0
; TotalNumSgprs: 0
; NumVgprs: 0
; ScratchSize: 0
; MemoryBound: 0
; FloatMode: 240
; IeeeMode: 1
; LDSByteSize: 0 bytes/workgroup (compile time only)
; SGPRBlocks: 0
; VGPRBlocks: 0
; NumSGPRsForWavesPerEU: 1
; NumVGPRsForWavesPerEU: 1
; Occupancy: 16
; WaveLimiterHint : 0
; COMPUTE_PGM_RSRC2:SCRATCH_EN: 0
; COMPUTE_PGM_RSRC2:USER_SGPR: 6
; COMPUTE_PGM_RSRC2:TRAP_HANDLER: 0
; COMPUTE_PGM_RSRC2:TGID_X_EN: 1
; COMPUTE_PGM_RSRC2:TGID_Y_EN: 0
; COMPUTE_PGM_RSRC2:TGID_Z_EN: 0
; COMPUTE_PGM_RSRC2:TIDIG_COMP_CNT: 0
	.section	.text._ZN7rocprim17ROCPRIM_400000_NS6detail17trampoline_kernelINS0_13select_configILj256ELj13ELNS0_17block_load_methodE3ELS4_3ELS4_3ELNS0_20block_scan_algorithmE0ELj4294967295EEENS1_25partition_config_selectorILNS1_17partition_subalgoE3EjNS0_10empty_typeEbEEZZNS1_14partition_implILS8_3ELb0ES6_jNS0_17counting_iteratorIjlEEPS9_SE_NS0_5tupleIJPjSE_EEENSF_IJSE_SE_EEES9_SG_JZNS1_25segmented_radix_sort_implINS0_14default_configELb0EPKlPlSM_SN_N2at6native12_GLOBAL__N_18offset_tEEE10hipError_tPvRmT1_PNSt15iterator_traitsISV_E10value_typeET2_T3_PNSW_IS11_E10value_typeET4_jRbjT5_S17_jjP12ihipStream_tbEUljE_EEESS_ST_SU_S11_S15_S17_T6_T7_T9_mT8_S19_bDpT10_ENKUlT_T0_E_clISt17integral_constantIbLb0EES1L_IbLb1EEEEDaS1H_S1I_EUlS1H_E_NS1_11comp_targetILNS1_3genE9ELNS1_11target_archE1100ELNS1_3gpuE3ELNS1_3repE0EEENS1_30default_config_static_selectorELNS0_4arch9wavefront6targetE0EEEvSV_,"axG",@progbits,_ZN7rocprim17ROCPRIM_400000_NS6detail17trampoline_kernelINS0_13select_configILj256ELj13ELNS0_17block_load_methodE3ELS4_3ELS4_3ELNS0_20block_scan_algorithmE0ELj4294967295EEENS1_25partition_config_selectorILNS1_17partition_subalgoE3EjNS0_10empty_typeEbEEZZNS1_14partition_implILS8_3ELb0ES6_jNS0_17counting_iteratorIjlEEPS9_SE_NS0_5tupleIJPjSE_EEENSF_IJSE_SE_EEES9_SG_JZNS1_25segmented_radix_sort_implINS0_14default_configELb0EPKlPlSM_SN_N2at6native12_GLOBAL__N_18offset_tEEE10hipError_tPvRmT1_PNSt15iterator_traitsISV_E10value_typeET2_T3_PNSW_IS11_E10value_typeET4_jRbjT5_S17_jjP12ihipStream_tbEUljE_EEESS_ST_SU_S11_S15_S17_T6_T7_T9_mT8_S19_bDpT10_ENKUlT_T0_E_clISt17integral_constantIbLb0EES1L_IbLb1EEEEDaS1H_S1I_EUlS1H_E_NS1_11comp_targetILNS1_3genE9ELNS1_11target_archE1100ELNS1_3gpuE3ELNS1_3repE0EEENS1_30default_config_static_selectorELNS0_4arch9wavefront6targetE0EEEvSV_,comdat
	.globl	_ZN7rocprim17ROCPRIM_400000_NS6detail17trampoline_kernelINS0_13select_configILj256ELj13ELNS0_17block_load_methodE3ELS4_3ELS4_3ELNS0_20block_scan_algorithmE0ELj4294967295EEENS1_25partition_config_selectorILNS1_17partition_subalgoE3EjNS0_10empty_typeEbEEZZNS1_14partition_implILS8_3ELb0ES6_jNS0_17counting_iteratorIjlEEPS9_SE_NS0_5tupleIJPjSE_EEENSF_IJSE_SE_EEES9_SG_JZNS1_25segmented_radix_sort_implINS0_14default_configELb0EPKlPlSM_SN_N2at6native12_GLOBAL__N_18offset_tEEE10hipError_tPvRmT1_PNSt15iterator_traitsISV_E10value_typeET2_T3_PNSW_IS11_E10value_typeET4_jRbjT5_S17_jjP12ihipStream_tbEUljE_EEESS_ST_SU_S11_S15_S17_T6_T7_T9_mT8_S19_bDpT10_ENKUlT_T0_E_clISt17integral_constantIbLb0EES1L_IbLb1EEEEDaS1H_S1I_EUlS1H_E_NS1_11comp_targetILNS1_3genE9ELNS1_11target_archE1100ELNS1_3gpuE3ELNS1_3repE0EEENS1_30default_config_static_selectorELNS0_4arch9wavefront6targetE0EEEvSV_ ; -- Begin function _ZN7rocprim17ROCPRIM_400000_NS6detail17trampoline_kernelINS0_13select_configILj256ELj13ELNS0_17block_load_methodE3ELS4_3ELS4_3ELNS0_20block_scan_algorithmE0ELj4294967295EEENS1_25partition_config_selectorILNS1_17partition_subalgoE3EjNS0_10empty_typeEbEEZZNS1_14partition_implILS8_3ELb0ES6_jNS0_17counting_iteratorIjlEEPS9_SE_NS0_5tupleIJPjSE_EEENSF_IJSE_SE_EEES9_SG_JZNS1_25segmented_radix_sort_implINS0_14default_configELb0EPKlPlSM_SN_N2at6native12_GLOBAL__N_18offset_tEEE10hipError_tPvRmT1_PNSt15iterator_traitsISV_E10value_typeET2_T3_PNSW_IS11_E10value_typeET4_jRbjT5_S17_jjP12ihipStream_tbEUljE_EEESS_ST_SU_S11_S15_S17_T6_T7_T9_mT8_S19_bDpT10_ENKUlT_T0_E_clISt17integral_constantIbLb0EES1L_IbLb1EEEEDaS1H_S1I_EUlS1H_E_NS1_11comp_targetILNS1_3genE9ELNS1_11target_archE1100ELNS1_3gpuE3ELNS1_3repE0EEENS1_30default_config_static_selectorELNS0_4arch9wavefront6targetE0EEEvSV_
	.p2align	8
	.type	_ZN7rocprim17ROCPRIM_400000_NS6detail17trampoline_kernelINS0_13select_configILj256ELj13ELNS0_17block_load_methodE3ELS4_3ELS4_3ELNS0_20block_scan_algorithmE0ELj4294967295EEENS1_25partition_config_selectorILNS1_17partition_subalgoE3EjNS0_10empty_typeEbEEZZNS1_14partition_implILS8_3ELb0ES6_jNS0_17counting_iteratorIjlEEPS9_SE_NS0_5tupleIJPjSE_EEENSF_IJSE_SE_EEES9_SG_JZNS1_25segmented_radix_sort_implINS0_14default_configELb0EPKlPlSM_SN_N2at6native12_GLOBAL__N_18offset_tEEE10hipError_tPvRmT1_PNSt15iterator_traitsISV_E10value_typeET2_T3_PNSW_IS11_E10value_typeET4_jRbjT5_S17_jjP12ihipStream_tbEUljE_EEESS_ST_SU_S11_S15_S17_T6_T7_T9_mT8_S19_bDpT10_ENKUlT_T0_E_clISt17integral_constantIbLb0EES1L_IbLb1EEEEDaS1H_S1I_EUlS1H_E_NS1_11comp_targetILNS1_3genE9ELNS1_11target_archE1100ELNS1_3gpuE3ELNS1_3repE0EEENS1_30default_config_static_selectorELNS0_4arch9wavefront6targetE0EEEvSV_,@function
_ZN7rocprim17ROCPRIM_400000_NS6detail17trampoline_kernelINS0_13select_configILj256ELj13ELNS0_17block_load_methodE3ELS4_3ELS4_3ELNS0_20block_scan_algorithmE0ELj4294967295EEENS1_25partition_config_selectorILNS1_17partition_subalgoE3EjNS0_10empty_typeEbEEZZNS1_14partition_implILS8_3ELb0ES6_jNS0_17counting_iteratorIjlEEPS9_SE_NS0_5tupleIJPjSE_EEENSF_IJSE_SE_EEES9_SG_JZNS1_25segmented_radix_sort_implINS0_14default_configELb0EPKlPlSM_SN_N2at6native12_GLOBAL__N_18offset_tEEE10hipError_tPvRmT1_PNSt15iterator_traitsISV_E10value_typeET2_T3_PNSW_IS11_E10value_typeET4_jRbjT5_S17_jjP12ihipStream_tbEUljE_EEESS_ST_SU_S11_S15_S17_T6_T7_T9_mT8_S19_bDpT10_ENKUlT_T0_E_clISt17integral_constantIbLb0EES1L_IbLb1EEEEDaS1H_S1I_EUlS1H_E_NS1_11comp_targetILNS1_3genE9ELNS1_11target_archE1100ELNS1_3gpuE3ELNS1_3repE0EEENS1_30default_config_static_selectorELNS0_4arch9wavefront6targetE0EEEvSV_: ; @_ZN7rocprim17ROCPRIM_400000_NS6detail17trampoline_kernelINS0_13select_configILj256ELj13ELNS0_17block_load_methodE3ELS4_3ELS4_3ELNS0_20block_scan_algorithmE0ELj4294967295EEENS1_25partition_config_selectorILNS1_17partition_subalgoE3EjNS0_10empty_typeEbEEZZNS1_14partition_implILS8_3ELb0ES6_jNS0_17counting_iteratorIjlEEPS9_SE_NS0_5tupleIJPjSE_EEENSF_IJSE_SE_EEES9_SG_JZNS1_25segmented_radix_sort_implINS0_14default_configELb0EPKlPlSM_SN_N2at6native12_GLOBAL__N_18offset_tEEE10hipError_tPvRmT1_PNSt15iterator_traitsISV_E10value_typeET2_T3_PNSW_IS11_E10value_typeET4_jRbjT5_S17_jjP12ihipStream_tbEUljE_EEESS_ST_SU_S11_S15_S17_T6_T7_T9_mT8_S19_bDpT10_ENKUlT_T0_E_clISt17integral_constantIbLb0EES1L_IbLb1EEEEDaS1H_S1I_EUlS1H_E_NS1_11comp_targetILNS1_3genE9ELNS1_11target_archE1100ELNS1_3gpuE3ELNS1_3repE0EEENS1_30default_config_static_selectorELNS0_4arch9wavefront6targetE0EEEvSV_
; %bb.0:
	.section	.rodata,"a",@progbits
	.p2align	6, 0x0
	.amdhsa_kernel _ZN7rocprim17ROCPRIM_400000_NS6detail17trampoline_kernelINS0_13select_configILj256ELj13ELNS0_17block_load_methodE3ELS4_3ELS4_3ELNS0_20block_scan_algorithmE0ELj4294967295EEENS1_25partition_config_selectorILNS1_17partition_subalgoE3EjNS0_10empty_typeEbEEZZNS1_14partition_implILS8_3ELb0ES6_jNS0_17counting_iteratorIjlEEPS9_SE_NS0_5tupleIJPjSE_EEENSF_IJSE_SE_EEES9_SG_JZNS1_25segmented_radix_sort_implINS0_14default_configELb0EPKlPlSM_SN_N2at6native12_GLOBAL__N_18offset_tEEE10hipError_tPvRmT1_PNSt15iterator_traitsISV_E10value_typeET2_T3_PNSW_IS11_E10value_typeET4_jRbjT5_S17_jjP12ihipStream_tbEUljE_EEESS_ST_SU_S11_S15_S17_T6_T7_T9_mT8_S19_bDpT10_ENKUlT_T0_E_clISt17integral_constantIbLb0EES1L_IbLb1EEEEDaS1H_S1I_EUlS1H_E_NS1_11comp_targetILNS1_3genE9ELNS1_11target_archE1100ELNS1_3gpuE3ELNS1_3repE0EEENS1_30default_config_static_selectorELNS0_4arch9wavefront6targetE0EEEvSV_
		.amdhsa_group_segment_fixed_size 0
		.amdhsa_private_segment_fixed_size 0
		.amdhsa_kernarg_size 152
		.amdhsa_user_sgpr_count 6
		.amdhsa_user_sgpr_private_segment_buffer 1
		.amdhsa_user_sgpr_dispatch_ptr 0
		.amdhsa_user_sgpr_queue_ptr 0
		.amdhsa_user_sgpr_kernarg_segment_ptr 1
		.amdhsa_user_sgpr_dispatch_id 0
		.amdhsa_user_sgpr_flat_scratch_init 0
		.amdhsa_user_sgpr_private_segment_size 0
		.amdhsa_wavefront_size32 1
		.amdhsa_uses_dynamic_stack 0
		.amdhsa_system_sgpr_private_segment_wavefront_offset 0
		.amdhsa_system_sgpr_workgroup_id_x 1
		.amdhsa_system_sgpr_workgroup_id_y 0
		.amdhsa_system_sgpr_workgroup_id_z 0
		.amdhsa_system_sgpr_workgroup_info 0
		.amdhsa_system_vgpr_workitem_id 0
		.amdhsa_next_free_vgpr 1
		.amdhsa_next_free_sgpr 1
		.amdhsa_reserve_vcc 0
		.amdhsa_reserve_flat_scratch 0
		.amdhsa_float_round_mode_32 0
		.amdhsa_float_round_mode_16_64 0
		.amdhsa_float_denorm_mode_32 3
		.amdhsa_float_denorm_mode_16_64 3
		.amdhsa_dx10_clamp 1
		.amdhsa_ieee_mode 1
		.amdhsa_fp16_overflow 0
		.amdhsa_workgroup_processor_mode 1
		.amdhsa_memory_ordered 1
		.amdhsa_forward_progress 1
		.amdhsa_shared_vgpr_count 0
		.amdhsa_exception_fp_ieee_invalid_op 0
		.amdhsa_exception_fp_denorm_src 0
		.amdhsa_exception_fp_ieee_div_zero 0
		.amdhsa_exception_fp_ieee_overflow 0
		.amdhsa_exception_fp_ieee_underflow 0
		.amdhsa_exception_fp_ieee_inexact 0
		.amdhsa_exception_int_div_zero 0
	.end_amdhsa_kernel
	.section	.text._ZN7rocprim17ROCPRIM_400000_NS6detail17trampoline_kernelINS0_13select_configILj256ELj13ELNS0_17block_load_methodE3ELS4_3ELS4_3ELNS0_20block_scan_algorithmE0ELj4294967295EEENS1_25partition_config_selectorILNS1_17partition_subalgoE3EjNS0_10empty_typeEbEEZZNS1_14partition_implILS8_3ELb0ES6_jNS0_17counting_iteratorIjlEEPS9_SE_NS0_5tupleIJPjSE_EEENSF_IJSE_SE_EEES9_SG_JZNS1_25segmented_radix_sort_implINS0_14default_configELb0EPKlPlSM_SN_N2at6native12_GLOBAL__N_18offset_tEEE10hipError_tPvRmT1_PNSt15iterator_traitsISV_E10value_typeET2_T3_PNSW_IS11_E10value_typeET4_jRbjT5_S17_jjP12ihipStream_tbEUljE_EEESS_ST_SU_S11_S15_S17_T6_T7_T9_mT8_S19_bDpT10_ENKUlT_T0_E_clISt17integral_constantIbLb0EES1L_IbLb1EEEEDaS1H_S1I_EUlS1H_E_NS1_11comp_targetILNS1_3genE9ELNS1_11target_archE1100ELNS1_3gpuE3ELNS1_3repE0EEENS1_30default_config_static_selectorELNS0_4arch9wavefront6targetE0EEEvSV_,"axG",@progbits,_ZN7rocprim17ROCPRIM_400000_NS6detail17trampoline_kernelINS0_13select_configILj256ELj13ELNS0_17block_load_methodE3ELS4_3ELS4_3ELNS0_20block_scan_algorithmE0ELj4294967295EEENS1_25partition_config_selectorILNS1_17partition_subalgoE3EjNS0_10empty_typeEbEEZZNS1_14partition_implILS8_3ELb0ES6_jNS0_17counting_iteratorIjlEEPS9_SE_NS0_5tupleIJPjSE_EEENSF_IJSE_SE_EEES9_SG_JZNS1_25segmented_radix_sort_implINS0_14default_configELb0EPKlPlSM_SN_N2at6native12_GLOBAL__N_18offset_tEEE10hipError_tPvRmT1_PNSt15iterator_traitsISV_E10value_typeET2_T3_PNSW_IS11_E10value_typeET4_jRbjT5_S17_jjP12ihipStream_tbEUljE_EEESS_ST_SU_S11_S15_S17_T6_T7_T9_mT8_S19_bDpT10_ENKUlT_T0_E_clISt17integral_constantIbLb0EES1L_IbLb1EEEEDaS1H_S1I_EUlS1H_E_NS1_11comp_targetILNS1_3genE9ELNS1_11target_archE1100ELNS1_3gpuE3ELNS1_3repE0EEENS1_30default_config_static_selectorELNS0_4arch9wavefront6targetE0EEEvSV_,comdat
.Lfunc_end799:
	.size	_ZN7rocprim17ROCPRIM_400000_NS6detail17trampoline_kernelINS0_13select_configILj256ELj13ELNS0_17block_load_methodE3ELS4_3ELS4_3ELNS0_20block_scan_algorithmE0ELj4294967295EEENS1_25partition_config_selectorILNS1_17partition_subalgoE3EjNS0_10empty_typeEbEEZZNS1_14partition_implILS8_3ELb0ES6_jNS0_17counting_iteratorIjlEEPS9_SE_NS0_5tupleIJPjSE_EEENSF_IJSE_SE_EEES9_SG_JZNS1_25segmented_radix_sort_implINS0_14default_configELb0EPKlPlSM_SN_N2at6native12_GLOBAL__N_18offset_tEEE10hipError_tPvRmT1_PNSt15iterator_traitsISV_E10value_typeET2_T3_PNSW_IS11_E10value_typeET4_jRbjT5_S17_jjP12ihipStream_tbEUljE_EEESS_ST_SU_S11_S15_S17_T6_T7_T9_mT8_S19_bDpT10_ENKUlT_T0_E_clISt17integral_constantIbLb0EES1L_IbLb1EEEEDaS1H_S1I_EUlS1H_E_NS1_11comp_targetILNS1_3genE9ELNS1_11target_archE1100ELNS1_3gpuE3ELNS1_3repE0EEENS1_30default_config_static_selectorELNS0_4arch9wavefront6targetE0EEEvSV_, .Lfunc_end799-_ZN7rocprim17ROCPRIM_400000_NS6detail17trampoline_kernelINS0_13select_configILj256ELj13ELNS0_17block_load_methodE3ELS4_3ELS4_3ELNS0_20block_scan_algorithmE0ELj4294967295EEENS1_25partition_config_selectorILNS1_17partition_subalgoE3EjNS0_10empty_typeEbEEZZNS1_14partition_implILS8_3ELb0ES6_jNS0_17counting_iteratorIjlEEPS9_SE_NS0_5tupleIJPjSE_EEENSF_IJSE_SE_EEES9_SG_JZNS1_25segmented_radix_sort_implINS0_14default_configELb0EPKlPlSM_SN_N2at6native12_GLOBAL__N_18offset_tEEE10hipError_tPvRmT1_PNSt15iterator_traitsISV_E10value_typeET2_T3_PNSW_IS11_E10value_typeET4_jRbjT5_S17_jjP12ihipStream_tbEUljE_EEESS_ST_SU_S11_S15_S17_T6_T7_T9_mT8_S19_bDpT10_ENKUlT_T0_E_clISt17integral_constantIbLb0EES1L_IbLb1EEEEDaS1H_S1I_EUlS1H_E_NS1_11comp_targetILNS1_3genE9ELNS1_11target_archE1100ELNS1_3gpuE3ELNS1_3repE0EEENS1_30default_config_static_selectorELNS0_4arch9wavefront6targetE0EEEvSV_
                                        ; -- End function
	.set _ZN7rocprim17ROCPRIM_400000_NS6detail17trampoline_kernelINS0_13select_configILj256ELj13ELNS0_17block_load_methodE3ELS4_3ELS4_3ELNS0_20block_scan_algorithmE0ELj4294967295EEENS1_25partition_config_selectorILNS1_17partition_subalgoE3EjNS0_10empty_typeEbEEZZNS1_14partition_implILS8_3ELb0ES6_jNS0_17counting_iteratorIjlEEPS9_SE_NS0_5tupleIJPjSE_EEENSF_IJSE_SE_EEES9_SG_JZNS1_25segmented_radix_sort_implINS0_14default_configELb0EPKlPlSM_SN_N2at6native12_GLOBAL__N_18offset_tEEE10hipError_tPvRmT1_PNSt15iterator_traitsISV_E10value_typeET2_T3_PNSW_IS11_E10value_typeET4_jRbjT5_S17_jjP12ihipStream_tbEUljE_EEESS_ST_SU_S11_S15_S17_T6_T7_T9_mT8_S19_bDpT10_ENKUlT_T0_E_clISt17integral_constantIbLb0EES1L_IbLb1EEEEDaS1H_S1I_EUlS1H_E_NS1_11comp_targetILNS1_3genE9ELNS1_11target_archE1100ELNS1_3gpuE3ELNS1_3repE0EEENS1_30default_config_static_selectorELNS0_4arch9wavefront6targetE0EEEvSV_.num_vgpr, 0
	.set _ZN7rocprim17ROCPRIM_400000_NS6detail17trampoline_kernelINS0_13select_configILj256ELj13ELNS0_17block_load_methodE3ELS4_3ELS4_3ELNS0_20block_scan_algorithmE0ELj4294967295EEENS1_25partition_config_selectorILNS1_17partition_subalgoE3EjNS0_10empty_typeEbEEZZNS1_14partition_implILS8_3ELb0ES6_jNS0_17counting_iteratorIjlEEPS9_SE_NS0_5tupleIJPjSE_EEENSF_IJSE_SE_EEES9_SG_JZNS1_25segmented_radix_sort_implINS0_14default_configELb0EPKlPlSM_SN_N2at6native12_GLOBAL__N_18offset_tEEE10hipError_tPvRmT1_PNSt15iterator_traitsISV_E10value_typeET2_T3_PNSW_IS11_E10value_typeET4_jRbjT5_S17_jjP12ihipStream_tbEUljE_EEESS_ST_SU_S11_S15_S17_T6_T7_T9_mT8_S19_bDpT10_ENKUlT_T0_E_clISt17integral_constantIbLb0EES1L_IbLb1EEEEDaS1H_S1I_EUlS1H_E_NS1_11comp_targetILNS1_3genE9ELNS1_11target_archE1100ELNS1_3gpuE3ELNS1_3repE0EEENS1_30default_config_static_selectorELNS0_4arch9wavefront6targetE0EEEvSV_.num_agpr, 0
	.set _ZN7rocprim17ROCPRIM_400000_NS6detail17trampoline_kernelINS0_13select_configILj256ELj13ELNS0_17block_load_methodE3ELS4_3ELS4_3ELNS0_20block_scan_algorithmE0ELj4294967295EEENS1_25partition_config_selectorILNS1_17partition_subalgoE3EjNS0_10empty_typeEbEEZZNS1_14partition_implILS8_3ELb0ES6_jNS0_17counting_iteratorIjlEEPS9_SE_NS0_5tupleIJPjSE_EEENSF_IJSE_SE_EEES9_SG_JZNS1_25segmented_radix_sort_implINS0_14default_configELb0EPKlPlSM_SN_N2at6native12_GLOBAL__N_18offset_tEEE10hipError_tPvRmT1_PNSt15iterator_traitsISV_E10value_typeET2_T3_PNSW_IS11_E10value_typeET4_jRbjT5_S17_jjP12ihipStream_tbEUljE_EEESS_ST_SU_S11_S15_S17_T6_T7_T9_mT8_S19_bDpT10_ENKUlT_T0_E_clISt17integral_constantIbLb0EES1L_IbLb1EEEEDaS1H_S1I_EUlS1H_E_NS1_11comp_targetILNS1_3genE9ELNS1_11target_archE1100ELNS1_3gpuE3ELNS1_3repE0EEENS1_30default_config_static_selectorELNS0_4arch9wavefront6targetE0EEEvSV_.numbered_sgpr, 0
	.set _ZN7rocprim17ROCPRIM_400000_NS6detail17trampoline_kernelINS0_13select_configILj256ELj13ELNS0_17block_load_methodE3ELS4_3ELS4_3ELNS0_20block_scan_algorithmE0ELj4294967295EEENS1_25partition_config_selectorILNS1_17partition_subalgoE3EjNS0_10empty_typeEbEEZZNS1_14partition_implILS8_3ELb0ES6_jNS0_17counting_iteratorIjlEEPS9_SE_NS0_5tupleIJPjSE_EEENSF_IJSE_SE_EEES9_SG_JZNS1_25segmented_radix_sort_implINS0_14default_configELb0EPKlPlSM_SN_N2at6native12_GLOBAL__N_18offset_tEEE10hipError_tPvRmT1_PNSt15iterator_traitsISV_E10value_typeET2_T3_PNSW_IS11_E10value_typeET4_jRbjT5_S17_jjP12ihipStream_tbEUljE_EEESS_ST_SU_S11_S15_S17_T6_T7_T9_mT8_S19_bDpT10_ENKUlT_T0_E_clISt17integral_constantIbLb0EES1L_IbLb1EEEEDaS1H_S1I_EUlS1H_E_NS1_11comp_targetILNS1_3genE9ELNS1_11target_archE1100ELNS1_3gpuE3ELNS1_3repE0EEENS1_30default_config_static_selectorELNS0_4arch9wavefront6targetE0EEEvSV_.num_named_barrier, 0
	.set _ZN7rocprim17ROCPRIM_400000_NS6detail17trampoline_kernelINS0_13select_configILj256ELj13ELNS0_17block_load_methodE3ELS4_3ELS4_3ELNS0_20block_scan_algorithmE0ELj4294967295EEENS1_25partition_config_selectorILNS1_17partition_subalgoE3EjNS0_10empty_typeEbEEZZNS1_14partition_implILS8_3ELb0ES6_jNS0_17counting_iteratorIjlEEPS9_SE_NS0_5tupleIJPjSE_EEENSF_IJSE_SE_EEES9_SG_JZNS1_25segmented_radix_sort_implINS0_14default_configELb0EPKlPlSM_SN_N2at6native12_GLOBAL__N_18offset_tEEE10hipError_tPvRmT1_PNSt15iterator_traitsISV_E10value_typeET2_T3_PNSW_IS11_E10value_typeET4_jRbjT5_S17_jjP12ihipStream_tbEUljE_EEESS_ST_SU_S11_S15_S17_T6_T7_T9_mT8_S19_bDpT10_ENKUlT_T0_E_clISt17integral_constantIbLb0EES1L_IbLb1EEEEDaS1H_S1I_EUlS1H_E_NS1_11comp_targetILNS1_3genE9ELNS1_11target_archE1100ELNS1_3gpuE3ELNS1_3repE0EEENS1_30default_config_static_selectorELNS0_4arch9wavefront6targetE0EEEvSV_.private_seg_size, 0
	.set _ZN7rocprim17ROCPRIM_400000_NS6detail17trampoline_kernelINS0_13select_configILj256ELj13ELNS0_17block_load_methodE3ELS4_3ELS4_3ELNS0_20block_scan_algorithmE0ELj4294967295EEENS1_25partition_config_selectorILNS1_17partition_subalgoE3EjNS0_10empty_typeEbEEZZNS1_14partition_implILS8_3ELb0ES6_jNS0_17counting_iteratorIjlEEPS9_SE_NS0_5tupleIJPjSE_EEENSF_IJSE_SE_EEES9_SG_JZNS1_25segmented_radix_sort_implINS0_14default_configELb0EPKlPlSM_SN_N2at6native12_GLOBAL__N_18offset_tEEE10hipError_tPvRmT1_PNSt15iterator_traitsISV_E10value_typeET2_T3_PNSW_IS11_E10value_typeET4_jRbjT5_S17_jjP12ihipStream_tbEUljE_EEESS_ST_SU_S11_S15_S17_T6_T7_T9_mT8_S19_bDpT10_ENKUlT_T0_E_clISt17integral_constantIbLb0EES1L_IbLb1EEEEDaS1H_S1I_EUlS1H_E_NS1_11comp_targetILNS1_3genE9ELNS1_11target_archE1100ELNS1_3gpuE3ELNS1_3repE0EEENS1_30default_config_static_selectorELNS0_4arch9wavefront6targetE0EEEvSV_.uses_vcc, 0
	.set _ZN7rocprim17ROCPRIM_400000_NS6detail17trampoline_kernelINS0_13select_configILj256ELj13ELNS0_17block_load_methodE3ELS4_3ELS4_3ELNS0_20block_scan_algorithmE0ELj4294967295EEENS1_25partition_config_selectorILNS1_17partition_subalgoE3EjNS0_10empty_typeEbEEZZNS1_14partition_implILS8_3ELb0ES6_jNS0_17counting_iteratorIjlEEPS9_SE_NS0_5tupleIJPjSE_EEENSF_IJSE_SE_EEES9_SG_JZNS1_25segmented_radix_sort_implINS0_14default_configELb0EPKlPlSM_SN_N2at6native12_GLOBAL__N_18offset_tEEE10hipError_tPvRmT1_PNSt15iterator_traitsISV_E10value_typeET2_T3_PNSW_IS11_E10value_typeET4_jRbjT5_S17_jjP12ihipStream_tbEUljE_EEESS_ST_SU_S11_S15_S17_T6_T7_T9_mT8_S19_bDpT10_ENKUlT_T0_E_clISt17integral_constantIbLb0EES1L_IbLb1EEEEDaS1H_S1I_EUlS1H_E_NS1_11comp_targetILNS1_3genE9ELNS1_11target_archE1100ELNS1_3gpuE3ELNS1_3repE0EEENS1_30default_config_static_selectorELNS0_4arch9wavefront6targetE0EEEvSV_.uses_flat_scratch, 0
	.set _ZN7rocprim17ROCPRIM_400000_NS6detail17trampoline_kernelINS0_13select_configILj256ELj13ELNS0_17block_load_methodE3ELS4_3ELS4_3ELNS0_20block_scan_algorithmE0ELj4294967295EEENS1_25partition_config_selectorILNS1_17partition_subalgoE3EjNS0_10empty_typeEbEEZZNS1_14partition_implILS8_3ELb0ES6_jNS0_17counting_iteratorIjlEEPS9_SE_NS0_5tupleIJPjSE_EEENSF_IJSE_SE_EEES9_SG_JZNS1_25segmented_radix_sort_implINS0_14default_configELb0EPKlPlSM_SN_N2at6native12_GLOBAL__N_18offset_tEEE10hipError_tPvRmT1_PNSt15iterator_traitsISV_E10value_typeET2_T3_PNSW_IS11_E10value_typeET4_jRbjT5_S17_jjP12ihipStream_tbEUljE_EEESS_ST_SU_S11_S15_S17_T6_T7_T9_mT8_S19_bDpT10_ENKUlT_T0_E_clISt17integral_constantIbLb0EES1L_IbLb1EEEEDaS1H_S1I_EUlS1H_E_NS1_11comp_targetILNS1_3genE9ELNS1_11target_archE1100ELNS1_3gpuE3ELNS1_3repE0EEENS1_30default_config_static_selectorELNS0_4arch9wavefront6targetE0EEEvSV_.has_dyn_sized_stack, 0
	.set _ZN7rocprim17ROCPRIM_400000_NS6detail17trampoline_kernelINS0_13select_configILj256ELj13ELNS0_17block_load_methodE3ELS4_3ELS4_3ELNS0_20block_scan_algorithmE0ELj4294967295EEENS1_25partition_config_selectorILNS1_17partition_subalgoE3EjNS0_10empty_typeEbEEZZNS1_14partition_implILS8_3ELb0ES6_jNS0_17counting_iteratorIjlEEPS9_SE_NS0_5tupleIJPjSE_EEENSF_IJSE_SE_EEES9_SG_JZNS1_25segmented_radix_sort_implINS0_14default_configELb0EPKlPlSM_SN_N2at6native12_GLOBAL__N_18offset_tEEE10hipError_tPvRmT1_PNSt15iterator_traitsISV_E10value_typeET2_T3_PNSW_IS11_E10value_typeET4_jRbjT5_S17_jjP12ihipStream_tbEUljE_EEESS_ST_SU_S11_S15_S17_T6_T7_T9_mT8_S19_bDpT10_ENKUlT_T0_E_clISt17integral_constantIbLb0EES1L_IbLb1EEEEDaS1H_S1I_EUlS1H_E_NS1_11comp_targetILNS1_3genE9ELNS1_11target_archE1100ELNS1_3gpuE3ELNS1_3repE0EEENS1_30default_config_static_selectorELNS0_4arch9wavefront6targetE0EEEvSV_.has_recursion, 0
	.set _ZN7rocprim17ROCPRIM_400000_NS6detail17trampoline_kernelINS0_13select_configILj256ELj13ELNS0_17block_load_methodE3ELS4_3ELS4_3ELNS0_20block_scan_algorithmE0ELj4294967295EEENS1_25partition_config_selectorILNS1_17partition_subalgoE3EjNS0_10empty_typeEbEEZZNS1_14partition_implILS8_3ELb0ES6_jNS0_17counting_iteratorIjlEEPS9_SE_NS0_5tupleIJPjSE_EEENSF_IJSE_SE_EEES9_SG_JZNS1_25segmented_radix_sort_implINS0_14default_configELb0EPKlPlSM_SN_N2at6native12_GLOBAL__N_18offset_tEEE10hipError_tPvRmT1_PNSt15iterator_traitsISV_E10value_typeET2_T3_PNSW_IS11_E10value_typeET4_jRbjT5_S17_jjP12ihipStream_tbEUljE_EEESS_ST_SU_S11_S15_S17_T6_T7_T9_mT8_S19_bDpT10_ENKUlT_T0_E_clISt17integral_constantIbLb0EES1L_IbLb1EEEEDaS1H_S1I_EUlS1H_E_NS1_11comp_targetILNS1_3genE9ELNS1_11target_archE1100ELNS1_3gpuE3ELNS1_3repE0EEENS1_30default_config_static_selectorELNS0_4arch9wavefront6targetE0EEEvSV_.has_indirect_call, 0
	.section	.AMDGPU.csdata,"",@progbits
; Kernel info:
; codeLenInByte = 0
; TotalNumSgprs: 0
; NumVgprs: 0
; ScratchSize: 0
; MemoryBound: 0
; FloatMode: 240
; IeeeMode: 1
; LDSByteSize: 0 bytes/workgroup (compile time only)
; SGPRBlocks: 0
; VGPRBlocks: 0
; NumSGPRsForWavesPerEU: 1
; NumVGPRsForWavesPerEU: 1
; Occupancy: 16
; WaveLimiterHint : 0
; COMPUTE_PGM_RSRC2:SCRATCH_EN: 0
; COMPUTE_PGM_RSRC2:USER_SGPR: 6
; COMPUTE_PGM_RSRC2:TRAP_HANDLER: 0
; COMPUTE_PGM_RSRC2:TGID_X_EN: 1
; COMPUTE_PGM_RSRC2:TGID_Y_EN: 0
; COMPUTE_PGM_RSRC2:TGID_Z_EN: 0
; COMPUTE_PGM_RSRC2:TIDIG_COMP_CNT: 0
	.section	.text._ZN7rocprim17ROCPRIM_400000_NS6detail17trampoline_kernelINS0_13select_configILj256ELj13ELNS0_17block_load_methodE3ELS4_3ELS4_3ELNS0_20block_scan_algorithmE0ELj4294967295EEENS1_25partition_config_selectorILNS1_17partition_subalgoE3EjNS0_10empty_typeEbEEZZNS1_14partition_implILS8_3ELb0ES6_jNS0_17counting_iteratorIjlEEPS9_SE_NS0_5tupleIJPjSE_EEENSF_IJSE_SE_EEES9_SG_JZNS1_25segmented_radix_sort_implINS0_14default_configELb0EPKlPlSM_SN_N2at6native12_GLOBAL__N_18offset_tEEE10hipError_tPvRmT1_PNSt15iterator_traitsISV_E10value_typeET2_T3_PNSW_IS11_E10value_typeET4_jRbjT5_S17_jjP12ihipStream_tbEUljE_EEESS_ST_SU_S11_S15_S17_T6_T7_T9_mT8_S19_bDpT10_ENKUlT_T0_E_clISt17integral_constantIbLb0EES1L_IbLb1EEEEDaS1H_S1I_EUlS1H_E_NS1_11comp_targetILNS1_3genE8ELNS1_11target_archE1030ELNS1_3gpuE2ELNS1_3repE0EEENS1_30default_config_static_selectorELNS0_4arch9wavefront6targetE0EEEvSV_,"axG",@progbits,_ZN7rocprim17ROCPRIM_400000_NS6detail17trampoline_kernelINS0_13select_configILj256ELj13ELNS0_17block_load_methodE3ELS4_3ELS4_3ELNS0_20block_scan_algorithmE0ELj4294967295EEENS1_25partition_config_selectorILNS1_17partition_subalgoE3EjNS0_10empty_typeEbEEZZNS1_14partition_implILS8_3ELb0ES6_jNS0_17counting_iteratorIjlEEPS9_SE_NS0_5tupleIJPjSE_EEENSF_IJSE_SE_EEES9_SG_JZNS1_25segmented_radix_sort_implINS0_14default_configELb0EPKlPlSM_SN_N2at6native12_GLOBAL__N_18offset_tEEE10hipError_tPvRmT1_PNSt15iterator_traitsISV_E10value_typeET2_T3_PNSW_IS11_E10value_typeET4_jRbjT5_S17_jjP12ihipStream_tbEUljE_EEESS_ST_SU_S11_S15_S17_T6_T7_T9_mT8_S19_bDpT10_ENKUlT_T0_E_clISt17integral_constantIbLb0EES1L_IbLb1EEEEDaS1H_S1I_EUlS1H_E_NS1_11comp_targetILNS1_3genE8ELNS1_11target_archE1030ELNS1_3gpuE2ELNS1_3repE0EEENS1_30default_config_static_selectorELNS0_4arch9wavefront6targetE0EEEvSV_,comdat
	.globl	_ZN7rocprim17ROCPRIM_400000_NS6detail17trampoline_kernelINS0_13select_configILj256ELj13ELNS0_17block_load_methodE3ELS4_3ELS4_3ELNS0_20block_scan_algorithmE0ELj4294967295EEENS1_25partition_config_selectorILNS1_17partition_subalgoE3EjNS0_10empty_typeEbEEZZNS1_14partition_implILS8_3ELb0ES6_jNS0_17counting_iteratorIjlEEPS9_SE_NS0_5tupleIJPjSE_EEENSF_IJSE_SE_EEES9_SG_JZNS1_25segmented_radix_sort_implINS0_14default_configELb0EPKlPlSM_SN_N2at6native12_GLOBAL__N_18offset_tEEE10hipError_tPvRmT1_PNSt15iterator_traitsISV_E10value_typeET2_T3_PNSW_IS11_E10value_typeET4_jRbjT5_S17_jjP12ihipStream_tbEUljE_EEESS_ST_SU_S11_S15_S17_T6_T7_T9_mT8_S19_bDpT10_ENKUlT_T0_E_clISt17integral_constantIbLb0EES1L_IbLb1EEEEDaS1H_S1I_EUlS1H_E_NS1_11comp_targetILNS1_3genE8ELNS1_11target_archE1030ELNS1_3gpuE2ELNS1_3repE0EEENS1_30default_config_static_selectorELNS0_4arch9wavefront6targetE0EEEvSV_ ; -- Begin function _ZN7rocprim17ROCPRIM_400000_NS6detail17trampoline_kernelINS0_13select_configILj256ELj13ELNS0_17block_load_methodE3ELS4_3ELS4_3ELNS0_20block_scan_algorithmE0ELj4294967295EEENS1_25partition_config_selectorILNS1_17partition_subalgoE3EjNS0_10empty_typeEbEEZZNS1_14partition_implILS8_3ELb0ES6_jNS0_17counting_iteratorIjlEEPS9_SE_NS0_5tupleIJPjSE_EEENSF_IJSE_SE_EEES9_SG_JZNS1_25segmented_radix_sort_implINS0_14default_configELb0EPKlPlSM_SN_N2at6native12_GLOBAL__N_18offset_tEEE10hipError_tPvRmT1_PNSt15iterator_traitsISV_E10value_typeET2_T3_PNSW_IS11_E10value_typeET4_jRbjT5_S17_jjP12ihipStream_tbEUljE_EEESS_ST_SU_S11_S15_S17_T6_T7_T9_mT8_S19_bDpT10_ENKUlT_T0_E_clISt17integral_constantIbLb0EES1L_IbLb1EEEEDaS1H_S1I_EUlS1H_E_NS1_11comp_targetILNS1_3genE8ELNS1_11target_archE1030ELNS1_3gpuE2ELNS1_3repE0EEENS1_30default_config_static_selectorELNS0_4arch9wavefront6targetE0EEEvSV_
	.p2align	8
	.type	_ZN7rocprim17ROCPRIM_400000_NS6detail17trampoline_kernelINS0_13select_configILj256ELj13ELNS0_17block_load_methodE3ELS4_3ELS4_3ELNS0_20block_scan_algorithmE0ELj4294967295EEENS1_25partition_config_selectorILNS1_17partition_subalgoE3EjNS0_10empty_typeEbEEZZNS1_14partition_implILS8_3ELb0ES6_jNS0_17counting_iteratorIjlEEPS9_SE_NS0_5tupleIJPjSE_EEENSF_IJSE_SE_EEES9_SG_JZNS1_25segmented_radix_sort_implINS0_14default_configELb0EPKlPlSM_SN_N2at6native12_GLOBAL__N_18offset_tEEE10hipError_tPvRmT1_PNSt15iterator_traitsISV_E10value_typeET2_T3_PNSW_IS11_E10value_typeET4_jRbjT5_S17_jjP12ihipStream_tbEUljE_EEESS_ST_SU_S11_S15_S17_T6_T7_T9_mT8_S19_bDpT10_ENKUlT_T0_E_clISt17integral_constantIbLb0EES1L_IbLb1EEEEDaS1H_S1I_EUlS1H_E_NS1_11comp_targetILNS1_3genE8ELNS1_11target_archE1030ELNS1_3gpuE2ELNS1_3repE0EEENS1_30default_config_static_selectorELNS0_4arch9wavefront6targetE0EEEvSV_,@function
_ZN7rocprim17ROCPRIM_400000_NS6detail17trampoline_kernelINS0_13select_configILj256ELj13ELNS0_17block_load_methodE3ELS4_3ELS4_3ELNS0_20block_scan_algorithmE0ELj4294967295EEENS1_25partition_config_selectorILNS1_17partition_subalgoE3EjNS0_10empty_typeEbEEZZNS1_14partition_implILS8_3ELb0ES6_jNS0_17counting_iteratorIjlEEPS9_SE_NS0_5tupleIJPjSE_EEENSF_IJSE_SE_EEES9_SG_JZNS1_25segmented_radix_sort_implINS0_14default_configELb0EPKlPlSM_SN_N2at6native12_GLOBAL__N_18offset_tEEE10hipError_tPvRmT1_PNSt15iterator_traitsISV_E10value_typeET2_T3_PNSW_IS11_E10value_typeET4_jRbjT5_S17_jjP12ihipStream_tbEUljE_EEESS_ST_SU_S11_S15_S17_T6_T7_T9_mT8_S19_bDpT10_ENKUlT_T0_E_clISt17integral_constantIbLb0EES1L_IbLb1EEEEDaS1H_S1I_EUlS1H_E_NS1_11comp_targetILNS1_3genE8ELNS1_11target_archE1030ELNS1_3gpuE2ELNS1_3repE0EEENS1_30default_config_static_selectorELNS0_4arch9wavefront6targetE0EEEvSV_: ; @_ZN7rocprim17ROCPRIM_400000_NS6detail17trampoline_kernelINS0_13select_configILj256ELj13ELNS0_17block_load_methodE3ELS4_3ELS4_3ELNS0_20block_scan_algorithmE0ELj4294967295EEENS1_25partition_config_selectorILNS1_17partition_subalgoE3EjNS0_10empty_typeEbEEZZNS1_14partition_implILS8_3ELb0ES6_jNS0_17counting_iteratorIjlEEPS9_SE_NS0_5tupleIJPjSE_EEENSF_IJSE_SE_EEES9_SG_JZNS1_25segmented_radix_sort_implINS0_14default_configELb0EPKlPlSM_SN_N2at6native12_GLOBAL__N_18offset_tEEE10hipError_tPvRmT1_PNSt15iterator_traitsISV_E10value_typeET2_T3_PNSW_IS11_E10value_typeET4_jRbjT5_S17_jjP12ihipStream_tbEUljE_EEESS_ST_SU_S11_S15_S17_T6_T7_T9_mT8_S19_bDpT10_ENKUlT_T0_E_clISt17integral_constantIbLb0EES1L_IbLb1EEEEDaS1H_S1I_EUlS1H_E_NS1_11comp_targetILNS1_3genE8ELNS1_11target_archE1030ELNS1_3gpuE2ELNS1_3repE0EEENS1_30default_config_static_selectorELNS0_4arch9wavefront6targetE0EEEvSV_
; %bb.0:
	s_clause 0x6
	s_load_dwordx2 s[18:19], s[4:5], 0x10
	s_load_dwordx2 s[16:17], s[4:5], 0x28
	s_load_dwordx2 s[20:21], s[4:5], 0x58
	s_load_dwordx4 s[12:15], s[4:5], 0x48
	s_load_dword s2, s[4:5], 0x90
	s_load_dwordx2 s[22:23], s[4:5], 0x68
	s_load_dwordx4 s[8:11], s[4:5], 0x80
	v_cmp_eq_u32_e64 s0, 0, v0
	s_and_saveexec_b32 s1, s0
	s_cbranch_execz .LBB800_4
; %bb.1:
	s_mov_b32 s6, exec_lo
	s_mov_b32 s3, exec_lo
	v_mbcnt_lo_u32_b32 v1, s6, 0
                                        ; implicit-def: $vgpr2
	v_cmpx_eq_u32_e32 0, v1
	s_cbranch_execz .LBB800_3
; %bb.2:
	s_load_dwordx2 s[24:25], s[4:5], 0x78
	s_bcnt1_i32_b32 s6, s6
	v_mov_b32_e32 v2, 0
	v_mov_b32_e32 v3, s6
	s_waitcnt lgkmcnt(0)
	global_atomic_add v2, v2, v3, s[24:25] glc
.LBB800_3:
	s_or_b32 exec_lo, exec_lo, s3
	s_waitcnt vmcnt(0)
	v_readfirstlane_b32 s3, v2
	v_mov_b32_e32 v2, 0
	v_add_nc_u32_e32 v1, s3, v1
	ds_write_b32 v2, v1
.LBB800_4:
	s_or_b32 exec_lo, exec_lo, s1
	v_mov_b32_e32 v1, 0
	s_clause 0x1
	s_load_dword s3, s[4:5], 0x8
	s_load_dword s1, s[4:5], 0x70
	s_waitcnt lgkmcnt(0)
	s_barrier
	buffer_gl0_inv
	ds_read_b32 v2, v1
	s_waitcnt lgkmcnt(0)
	s_barrier
	buffer_gl0_inv
	global_load_dwordx2 v[18:19], v1, s[14:15]
	v_lshlrev_b32_e32 v44, 2, v0
	s_add_i32 s4, s3, s18
	s_mul_i32 s5, s1, 0xd00
	s_add_i32 s1, s1, -1
	s_add_i32 s3, s5, s18
	s_sub_i32 s15, s20, s3
	v_readfirstlane_b32 s25, v2
	s_addk_i32 s15, 0xd00
	s_add_u32 s6, s18, s5
	s_addc_u32 s7, s19, 0
	v_cmp_ne_u32_e32 vcc_lo, s1, v2
	v_cmp_gt_u64_e64 s3, s[20:21], s[6:7]
	s_cmp_eq_u32 s25, s1
	s_mul_i32 s24, s25, 0xd00
	s_cselect_b32 s14, -1, 0
	s_mov_b32 s5, -1
	s_or_b32 s3, s3, vcc_lo
	s_and_b32 vcc_lo, exec_lo, s3
	s_cbranch_vccz .LBB800_6
; %bb.5:
	v_add3_u32 v1, s24, s4, v0
	s_mov_b32 s5, 0
	v_add_nc_u32_e32 v2, 0x100, v1
	v_add_nc_u32_e32 v3, 0x200, v1
	;; [unrolled: 1-line block ×12, first 2 shown]
	ds_write2st64_b32 v44, v1, v2 offset1:4
	ds_write2st64_b32 v44, v3, v4 offset0:8 offset1:12
	ds_write2st64_b32 v44, v5, v6 offset0:16 offset1:20
	;; [unrolled: 1-line block ×5, first 2 shown]
	ds_write_b32 v44, v13 offset:12288
	s_waitcnt vmcnt(0) lgkmcnt(0)
	s_barrier
.LBB800_6:
	v_cmp_gt_u32_e64 s1, s15, v0
	v_or_b32_e32 v43, 0x100, v0
	v_or_b32_e32 v42, 0x200, v0
	;; [unrolled: 1-line block ×12, first 2 shown]
	s_andn2_b32 vcc_lo, exec_lo, s5
	s_cbranch_vccnz .LBB800_8
; %bb.7:
	s_add_i32 s4, s24, s4
	v_cmp_gt_u32_e32 vcc_lo, s15, v43
	v_add_nc_u32_e32 v2, s4, v43
	v_add_nc_u32_e32 v3, s4, v42
	;; [unrolled: 1-line block ×5, first 2 shown]
	v_cndmask_b32_e32 v2, 0, v2, vcc_lo
	v_cmp_gt_u32_e32 vcc_lo, s15, v42
	v_add_nc_u32_e32 v7, s4, v38
	v_add_nc_u32_e32 v8, s4, v37
	;; [unrolled: 1-line block ×4, first 2 shown]
	v_cndmask_b32_e32 v3, 0, v3, vcc_lo
	v_cmp_gt_u32_e32 vcc_lo, s15, v41
	v_add_nc_u32_e32 v11, s4, v34
	v_add_nc_u32_e32 v1, s4, v0
	;; [unrolled: 1-line block ×4, first 2 shown]
	v_cndmask_b32_e32 v4, 0, v4, vcc_lo
	v_cmp_gt_u32_e32 vcc_lo, s15, v40
	v_cndmask_b32_e64 v1, 0, v1, s1
	v_cndmask_b32_e32 v5, 0, v5, vcc_lo
	v_cmp_gt_u32_e32 vcc_lo, s15, v39
	v_cndmask_b32_e32 v6, 0, v6, vcc_lo
	v_cmp_gt_u32_e32 vcc_lo, s15, v38
	;; [unrolled: 2-line block ×8, first 2 shown]
	v_cndmask_b32_e32 v13, 0, v13, vcc_lo
	ds_write2st64_b32 v44, v1, v2 offset1:4
	ds_write2st64_b32 v44, v3, v4 offset0:8 offset1:12
	ds_write2st64_b32 v44, v5, v6 offset0:16 offset1:20
	;; [unrolled: 1-line block ×5, first 2 shown]
	ds_write_b32 v44, v13 offset:12288
	s_waitcnt vmcnt(0) lgkmcnt(0)
	s_barrier
.LBB800_8:
	v_mul_u32_u24_e32 v47, 13, v0
	s_waitcnt vmcnt(0)
	buffer_gl0_inv
	v_cndmask_b32_e64 v45, 0, 1, s3
	s_andn2_b32 vcc_lo, exec_lo, s3
	v_lshlrev_b32_e32 v1, 2, v47
	ds_read2_b32 v[28:29], v1 offset0:2 offset1:3
	ds_read2_b32 v[24:25], v1 offset0:6 offset1:7
	;; [unrolled: 1-line block ×3, first 2 shown]
	ds_read2_b32 v[30:31], v1 offset1:1
	ds_read2_b32 v[20:21], v1 offset0:10 offset1:11
	ds_read_b32 v46, v1 offset:48
	ds_read2_b32 v[22:23], v1 offset0:8 offset1:9
	s_waitcnt lgkmcnt(0)
	s_barrier
	buffer_gl0_inv
	s_cbranch_vccnz .LBB800_10
; %bb.9:
	v_add_nc_u32_e32 v1, s9, v29
	v_add_nc_u32_e32 v4, s9, v28
	v_add_nc_u32_e32 v5, s11, v29
	v_add_nc_u32_e32 v8, s11, v28
	v_add_nc_u32_e32 v2, s9, v31
	v_add_nc_u32_e32 v6, s11, v31
	v_mul_lo_u32 v4, v4, s8
	v_mul_lo_u32 v1, v1, s8
	v_mul_lo_u32 v5, v5, s10
	v_mul_lo_u32 v8, v8, s10
	v_add_nc_u32_e32 v3, s9, v30
	v_add_nc_u32_e32 v7, s11, v30
	v_mul_lo_u32 v2, v2, s8
	v_mul_lo_u32 v6, v6, s10
	v_add_nc_u32_e32 v10, s11, v27
	v_mul_lo_u32 v3, v3, s8
	v_mul_lo_u32 v7, v7, s10
	v_sub_nc_u32_e32 v1, v1, v5
	v_sub_nc_u32_e32 v4, v4, v8
	v_add_nc_u32_e32 v5, s9, v25
	v_add_nc_u32_e32 v8, s11, v25
	v_sub_nc_u32_e32 v2, v2, v6
	v_add_nc_u32_e32 v6, s9, v27
	v_add_nc_u32_e32 v9, s9, v24
	v_mul_lo_u32 v5, v5, s8
	v_mul_lo_u32 v8, v8, s10
	v_sub_nc_u32_e32 v3, v3, v7
	v_add_nc_u32_e32 v7, s9, v26
	v_add_nc_u32_e32 v11, s11, v24
	v_mul_lo_u32 v6, v6, s8
	v_mul_lo_u32 v10, v10, s10
	v_add_nc_u32_e32 v12, s11, v26
	v_mul_lo_u32 v9, v9, s8
	v_mul_lo_u32 v7, v7, s8
	v_mul_lo_u32 v11, v11, s10
	v_sub_nc_u32_e32 v5, v5, v8
	v_mul_lo_u32 v8, v12, s10
	v_cmp_lt_u32_e32 vcc_lo, s2, v1
	v_sub_nc_u32_e32 v6, v6, v10
	v_add_nc_u32_e32 v10, s9, v21
	v_add_nc_u32_e32 v14, s11, v21
	;; [unrolled: 1-line block ×3, first 2 shown]
	v_cndmask_b32_e64 v1, 0, 1, vcc_lo
	v_cmp_lt_u32_e32 vcc_lo, s2, v2
	v_sub_nc_u32_e32 v7, v7, v8
	v_sub_nc_u32_e32 v8, v9, v11
	v_add_nc_u32_e32 v11, s9, v23
	v_mul_lo_u32 v10, v10, s8
	v_mul_lo_u32 v14, v14, s10
	v_cndmask_b32_e64 v2, 0, 1, vcc_lo
	v_cmp_lt_u32_e32 vcc_lo, s2, v5
	v_mul_lo_u32 v11, v11, s8
	v_mul_lo_u32 v15, v15, s10
	v_mov_b32_e32 v9, 8
	v_lshlrev_b16 v2, 8, v2
	v_cndmask_b32_e64 v5, 0, 1, vcc_lo
	v_cmp_lt_u32_e32 vcc_lo, s2, v6
	v_sub_nc_u32_e32 v10, v10, v14
	v_add_nc_u32_e32 v12, s9, v22
	v_add_nc_u32_e32 v16, s11, v22
	v_sub_nc_u32_e32 v11, v11, v15
	v_cndmask_b32_e64 v6, 0, 1, vcc_lo
	v_cmp_lt_u32_e32 vcc_lo, s2, v10
	v_lshrrev_b32_sdwa v2, v9, v2 dst_sel:BYTE_1 dst_unused:UNUSED_PAD src0_sel:DWORD src1_sel:DWORD
	v_add_nc_u32_e32 v13, s9, v20
	v_add_nc_u32_e32 v17, s11, v20
	v_mul_lo_u32 v12, v12, s8
	v_cndmask_b32_e64 v10, 0, 1, vcc_lo
	v_cmp_lt_u32_e32 vcc_lo, s2, v11
	v_mul_lo_u32 v16, v16, s10
	v_mul_lo_u32 v13, v13, s8
	;; [unrolled: 1-line block ×3, first 2 shown]
	v_add_nc_u32_e32 v14, s9, v46
	v_cndmask_b32_e64 v11, 0, 1, vcc_lo
	v_cmp_lt_u32_e32 vcc_lo, s2, v3
	v_add_nc_u32_e32 v15, s11, v46
	v_lshlrev_b16 v1, 8, v1
	v_sub_nc_u32_e32 v12, v12, v16
	v_lshlrev_b16 v11, 8, v11
	v_cndmask_b32_e64 v3, 0, 1, vcc_lo
	v_cmp_lt_u32_e32 vcc_lo, s2, v4
	v_sub_nc_u32_e32 v13, v13, v17
	v_mul_lo_u32 v14, v14, s8
	v_mul_lo_u32 v15, v15, s10
	v_or_b32_e32 v2, v3, v2
	v_cndmask_b32_e64 v3, 0, 1, vcc_lo
	v_cmp_lt_u32_e32 vcc_lo, s2, v7
	v_lshlrev_b16 v6, 8, v6
	v_lshlrev_b16 v10, 8, v10
	;; [unrolled: 1-line block ×3, first 2 shown]
	v_lshrrev_b32_sdwa v1, v9, v1 dst_sel:BYTE_1 dst_unused:UNUSED_PAD src0_sel:DWORD src1_sel:DWORD
	v_cndmask_b32_e64 v4, 0, 1, vcc_lo
	v_cmp_lt_u32_e32 vcc_lo, s2, v8
	v_lshrrev_b32_sdwa v8, v9, v11 dst_sel:BYTE_1 dst_unused:UNUSED_PAD src0_sel:DWORD src1_sel:DWORD
	v_lshrrev_b32_sdwa v6, v9, v6 dst_sel:BYTE_1 dst_unused:UNUSED_PAD src0_sel:DWORD src1_sel:DWORD
	v_sub_nc_u32_e32 v14, v14, v15
	v_lshrrev_b32_sdwa v9, v9, v10 dst_sel:BYTE_1 dst_unused:UNUSED_PAD src0_sel:DWORD src1_sel:DWORD
	v_cndmask_b32_e64 v7, 0, 1, vcc_lo
	v_cmp_lt_u32_e32 vcc_lo, s2, v12
	v_or_b32_sdwa v1, v3, v1 dst_sel:WORD_1 dst_unused:UNUSED_PAD src0_sel:DWORD src1_sel:DWORD
	v_or_b32_e32 v3, v4, v6
	v_or_b32_sdwa v4, v7, v5 dst_sel:WORD_1 dst_unused:UNUSED_PAD src0_sel:DWORD src1_sel:DWORD
	v_cndmask_b32_e64 v11, 0, 1, vcc_lo
	v_cmp_lt_u32_e32 vcc_lo, s2, v13
	v_or_b32_sdwa v52, v2, v1 dst_sel:DWORD dst_unused:UNUSED_PAD src0_sel:WORD_0 src1_sel:DWORD
	v_or_b32_sdwa v50, v3, v4 dst_sel:DWORD dst_unused:UNUSED_PAD src0_sel:WORD_0 src1_sel:DWORD
	v_or_b32_e32 v5, v11, v8
	v_cndmask_b32_e64 v10, 0, 1, vcc_lo
	v_cmp_lt_u32_e32 vcc_lo, s2, v14
	v_or_b32_sdwa v6, v10, v9 dst_sel:WORD_1 dst_unused:UNUSED_PAD src0_sel:DWORD src1_sel:DWORD
	v_cndmask_b32_e64 v48, 0, 1, vcc_lo
	v_or_b32_sdwa v49, v5, v6 dst_sel:DWORD dst_unused:UNUSED_PAD src0_sel:WORD_0 src1_sel:DWORD
	s_cbranch_execz .LBB800_11
	s_branch .LBB800_38
.LBB800_10:
                                        ; implicit-def: $vgpr48
                                        ; implicit-def: $vgpr49
                                        ; implicit-def: $vgpr50
                                        ; implicit-def: $vgpr52
.LBB800_11:
	v_mov_b32_e32 v2, 0
	v_mov_b32_e32 v1, 0
	s_mov_b32 s1, exec_lo
	v_cmpx_gt_u32_e64 s15, v47
	s_cbranch_execz .LBB800_13
; %bb.12:
	v_add_nc_u32_e32 v1, s9, v30
	v_add_nc_u32_e32 v3, s11, v30
	v_mul_lo_u32 v1, v1, s8
	v_mul_lo_u32 v3, v3, s10
	v_sub_nc_u32_e32 v1, v1, v3
	v_cmp_lt_u32_e32 vcc_lo, s2, v1
	v_cndmask_b32_e64 v1, 0, 1, vcc_lo
.LBB800_13:
	s_or_b32 exec_lo, exec_lo, s1
	v_add_nc_u32_e32 v3, 1, v47
	s_mov_b32 s1, exec_lo
	v_cmpx_gt_u32_e64 s15, v3
	s_cbranch_execz .LBB800_15
; %bb.14:
	v_add_nc_u32_e32 v2, s9, v31
	v_add_nc_u32_e32 v3, s11, v31
	v_mul_lo_u32 v2, v2, s8
	v_mul_lo_u32 v3, v3, s10
	v_sub_nc_u32_e32 v2, v2, v3
	v_cmp_lt_u32_e32 vcc_lo, s2, v2
	v_cndmask_b32_e64 v2, 0, 1, vcc_lo
.LBB800_15:
	s_or_b32 exec_lo, exec_lo, s1
	v_add_nc_u32_e32 v3, 2, v47
	v_mov_b32_e32 v4, 0
	v_cmp_gt_u32_e32 vcc_lo, s15, v3
	v_mov_b32_e32 v3, 0
	s_and_saveexec_b32 s1, vcc_lo
	s_cbranch_execz .LBB800_17
; %bb.16:
	v_add_nc_u32_e32 v3, s9, v28
	v_add_nc_u32_e32 v5, s11, v28
	v_mul_lo_u32 v3, v3, s8
	v_mul_lo_u32 v5, v5, s10
	v_sub_nc_u32_e32 v3, v3, v5
	v_cmp_lt_u32_e32 vcc_lo, s2, v3
	v_cndmask_b32_e64 v3, 0, 1, vcc_lo
.LBB800_17:
	s_or_b32 exec_lo, exec_lo, s1
	v_add_nc_u32_e32 v5, 3, v47
	s_mov_b32 s1, exec_lo
	v_cmpx_gt_u32_e64 s15, v5
	s_cbranch_execz .LBB800_19
; %bb.18:
	v_add_nc_u32_e32 v4, s9, v29
	v_add_nc_u32_e32 v5, s11, v29
	v_mul_lo_u32 v4, v4, s8
	v_mul_lo_u32 v5, v5, s10
	v_sub_nc_u32_e32 v4, v4, v5
	v_cmp_lt_u32_e32 vcc_lo, s2, v4
	v_cndmask_b32_e64 v4, 0, 1, vcc_lo
.LBB800_19:
	s_or_b32 exec_lo, exec_lo, s1
	v_add_nc_u32_e32 v5, 4, v47
	v_mov_b32_e32 v6, 0
	v_cmp_gt_u32_e32 vcc_lo, s15, v5
	v_mov_b32_e32 v5, 0
	s_and_saveexec_b32 s1, vcc_lo
	;; [unrolled: 30-line block ×5, first 2 shown]
	s_cbranch_execz .LBB800_33
; %bb.32:
	v_add_nc_u32_e32 v11, s9, v20
	v_add_nc_u32_e32 v13, s11, v20
	v_mul_lo_u32 v11, v11, s8
	v_mul_lo_u32 v13, v13, s10
	v_sub_nc_u32_e32 v11, v11, v13
	v_cmp_lt_u32_e32 vcc_lo, s2, v11
	v_cndmask_b32_e64 v11, 0, 1, vcc_lo
.LBB800_33:
	s_or_b32 exec_lo, exec_lo, s1
	v_add_nc_u32_e32 v13, 11, v47
	s_mov_b32 s1, exec_lo
	v_cmpx_gt_u32_e64 s15, v13
	s_cbranch_execz .LBB800_35
; %bb.34:
	v_add_nc_u32_e32 v12, s9, v21
	v_add_nc_u32_e32 v13, s11, v21
	v_mul_lo_u32 v12, v12, s8
	v_mul_lo_u32 v13, v13, s10
	v_sub_nc_u32_e32 v12, v12, v13
	v_cmp_lt_u32_e32 vcc_lo, s2, v12
	v_cndmask_b32_e64 v12, 0, 1, vcc_lo
.LBB800_35:
	s_or_b32 exec_lo, exec_lo, s1
	v_add_nc_u32_e32 v13, 12, v47
	v_mov_b32_e32 v48, 0
	s_mov_b32 s1, exec_lo
	v_cmpx_gt_u32_e64 s15, v13
	s_cbranch_execz .LBB800_37
; %bb.36:
	v_add_nc_u32_e32 v13, s9, v46
	v_add_nc_u32_e32 v14, s11, v46
	v_mul_lo_u32 v13, v13, s8
	v_mul_lo_u32 v14, v14, s10
	v_sub_nc_u32_e32 v13, v13, v14
	v_cmp_lt_u32_e32 vcc_lo, s2, v13
	v_cndmask_b32_e64 v48, 0, 1, vcc_lo
.LBB800_37:
	s_or_b32 exec_lo, exec_lo, s1
	v_lshlrev_b16 v2, 8, v2
	v_lshlrev_b16 v4, 8, v4
	v_lshlrev_b16 v6, 8, v6
	v_lshlrev_b16 v8, 8, v8
	v_lshlrev_b16 v10, 8, v10
	v_or_b32_e32 v1, v1, v2
	v_lshlrev_b16 v2, 8, v12
	v_or_b32_sdwa v3, v3, v4 dst_sel:WORD_1 dst_unused:UNUSED_PAD src0_sel:DWORD src1_sel:DWORD
	v_or_b32_e32 v4, v5, v6
	v_or_b32_sdwa v5, v7, v8 dst_sel:WORD_1 dst_unused:UNUSED_PAD src0_sel:DWORD src1_sel:DWORD
	v_or_b32_e32 v6, v9, v10
	v_or_b32_sdwa v2, v11, v2 dst_sel:WORD_1 dst_unused:UNUSED_PAD src0_sel:DWORD src1_sel:DWORD
	v_or_b32_sdwa v52, v1, v3 dst_sel:DWORD dst_unused:UNUSED_PAD src0_sel:WORD_0 src1_sel:DWORD
	v_or_b32_sdwa v50, v4, v5 dst_sel:DWORD dst_unused:UNUSED_PAD src0_sel:WORD_0 src1_sel:DWORD
	;; [unrolled: 1-line block ×3, first 2 shown]
.LBB800_38:
	v_and_b32_e32 v55, 0xff, v52
	v_bfe_u32 v56, v52, 8, 8
	v_bfe_u32 v57, v52, 16, 8
	v_lshrrev_b32_e32 v54, 24, v52
	v_and_b32_e32 v58, 0xff, v50
	v_bfe_u32 v59, v50, 8, 8
	v_bfe_u32 v60, v50, 16, 8
	v_add3_u32 v1, v56, v55, v57
	v_lshrrev_b32_e32 v53, 24, v50
	v_and_b32_e32 v61, 0xff, v49
	v_bfe_u32 v62, v49, 8, 8
	v_mbcnt_lo_u32_b32 v64, -1, 0
	v_add3_u32 v1, v1, v54, v58
	v_bfe_u32 v63, v49, 16, 8
	v_lshrrev_b32_e32 v51, 24, v49
	v_and_b32_e32 v2, 0xff, v48
	v_and_b32_e32 v3, 15, v64
	v_add3_u32 v1, v1, v59, v60
	v_or_b32_e32 v4, 31, v0
	v_and_b32_e32 v5, 16, v64
	v_lshrrev_b32_e32 v65, 5, v0
	v_cmp_eq_u32_e64 s6, 0, v3
	v_add3_u32 v1, v1, v53, v61
	v_cmp_lt_u32_e64 s5, 1, v3
	v_cmp_lt_u32_e64 s4, 3, v3
	;; [unrolled: 1-line block ×3, first 2 shown]
	v_cmp_eq_u32_e64 s2, 0, v5
	v_add3_u32 v1, v1, v62, v63
	v_cmp_eq_u32_e64 s1, v0, v4
	s_cmp_lg_u32 s25, 0
	s_mov_b32 s7, -1
	v_add3_u32 v66, v1, v51, v2
	s_cbranch_scc0 .LBB800_60
; %bb.39:
	v_mov_b32_dpp v1, v66 row_shr:1 row_mask:0xf bank_mask:0xf
	v_cndmask_b32_e64 v1, v1, 0, s6
	v_add_nc_u32_e32 v1, v1, v66
	v_mov_b32_dpp v2, v1 row_shr:2 row_mask:0xf bank_mask:0xf
	v_cndmask_b32_e64 v2, 0, v2, s5
	v_add_nc_u32_e32 v1, v1, v2
	;; [unrolled: 3-line block ×4, first 2 shown]
	ds_swizzle_b32 v2, v1 offset:swizzle(BROADCAST,32,15)
	s_waitcnt lgkmcnt(0)
	v_cndmask_b32_e64 v2, v2, 0, s2
	v_add_nc_u32_e32 v1, v1, v2
	s_and_saveexec_b32 s7, s1
; %bb.40:
	v_lshlrev_b32_e32 v2, 2, v65
	ds_write_b32 v2, v1
; %bb.41:
	s_or_b32 exec_lo, exec_lo, s7
	s_mov_b32 s7, exec_lo
	s_waitcnt lgkmcnt(0)
	s_barrier
	buffer_gl0_inv
	v_cmpx_gt_u32_e32 8, v0
	s_cbranch_execz .LBB800_43
; %bb.42:
	ds_read_b32 v2, v44
	v_and_b32_e32 v3, 7, v64
	v_cmp_ne_u32_e32 vcc_lo, 0, v3
	s_waitcnt lgkmcnt(0)
	v_mov_b32_dpp v4, v2 row_shr:1 row_mask:0xf bank_mask:0xf
	v_cndmask_b32_e32 v4, 0, v4, vcc_lo
	v_cmp_lt_u32_e32 vcc_lo, 1, v3
	v_add_nc_u32_e32 v2, v4, v2
	v_mov_b32_dpp v4, v2 row_shr:2 row_mask:0xf bank_mask:0xf
	v_cndmask_b32_e32 v4, 0, v4, vcc_lo
	v_cmp_lt_u32_e32 vcc_lo, 3, v3
	v_add_nc_u32_e32 v2, v2, v4
	v_mov_b32_dpp v4, v2 row_shr:4 row_mask:0xf bank_mask:0xf
	v_cndmask_b32_e32 v3, 0, v4, vcc_lo
	v_add_nc_u32_e32 v2, v2, v3
	ds_write_b32 v44, v2
.LBB800_43:
	s_or_b32 exec_lo, exec_lo, s7
	s_mov_b32 s8, exec_lo
	v_cmp_gt_u32_e32 vcc_lo, 32, v0
	s_waitcnt lgkmcnt(0)
	s_barrier
	buffer_gl0_inv
                                        ; implicit-def: $vgpr10
	v_cmpx_lt_u32_e32 31, v0
	s_cbranch_execz .LBB800_45
; %bb.44:
	v_lshl_add_u32 v2, v65, 2, -4
	ds_read_b32 v10, v2
	s_waitcnt lgkmcnt(0)
	v_add_nc_u32_e32 v1, v10, v1
.LBB800_45:
	s_or_b32 exec_lo, exec_lo, s8
	v_sub_co_u32 v2, s7, v64, 1
	v_cmp_gt_i32_e64 s8, 0, v2
	v_cndmask_b32_e64 v2, v2, v64, s8
	v_lshlrev_b32_e32 v2, 2, v2
	ds_bpermute_b32 v11, v2, v1
	s_and_saveexec_b32 s8, vcc_lo
	s_cbranch_execz .LBB800_65
; %bb.46:
	v_mov_b32_e32 v7, 0
	ds_read_b32 v1, v7 offset:28
	s_and_saveexec_b32 s9, s7
	s_cbranch_execz .LBB800_48
; %bb.47:
	s_add_i32 s10, s25, 32
	s_mov_b32 s11, 0
	v_mov_b32_e32 v2, 1
	s_lshl_b64 s[10:11], s[10:11], 3
	s_add_u32 s10, s22, s10
	s_addc_u32 s11, s23, s11
	s_waitcnt lgkmcnt(0)
	global_store_dwordx2 v7, v[1:2], s[10:11]
.LBB800_48:
	s_or_b32 exec_lo, exec_lo, s9
	v_xad_u32 v3, v64, -1, s25
	s_mov_b32 s10, 0
	v_add_nc_u32_e32 v6, 32, v3
	v_lshlrev_b64 v[4:5], 3, v[6:7]
	v_add_co_u32 v8, vcc_lo, s22, v4
	v_add_co_ci_u32_e64 v9, null, s23, v5, vcc_lo
	global_load_dwordx2 v[5:6], v[8:9], off glc dlc
	s_waitcnt vmcnt(0)
	v_cmp_eq_u16_sdwa s11, v6, v7 src0_sel:BYTE_0 src1_sel:DWORD
	s_and_saveexec_b32 s9, s11
	s_cbranch_execz .LBB800_52
; %bb.49:
	v_mov_b32_e32 v2, 0
.LBB800_50:                             ; =>This Inner Loop Header: Depth=1
	global_load_dwordx2 v[5:6], v[8:9], off glc dlc
	s_waitcnt vmcnt(0)
	v_cmp_ne_u16_sdwa s11, v6, v2 src0_sel:BYTE_0 src1_sel:DWORD
	s_or_b32 s10, s11, s10
	s_andn2_b32 exec_lo, exec_lo, s10
	s_cbranch_execnz .LBB800_50
; %bb.51:
	s_or_b32 exec_lo, exec_lo, s10
.LBB800_52:
	s_or_b32 exec_lo, exec_lo, s9
	v_cmp_ne_u32_e32 vcc_lo, 31, v64
	v_mov_b32_e32 v12, 2
	v_lshlrev_b32_e64 v13, v64, -1
	v_add_nc_u32_e32 v15, 2, v64
	v_add_nc_u32_e32 v17, 4, v64
	v_add_co_ci_u32_e64 v2, null, 0, v64, vcc_lo
	v_cmp_eq_u16_sdwa s9, v6, v12 src0_sel:BYTE_0 src1_sel:DWORD
	v_cmp_gt_u32_e32 vcc_lo, 30, v64
	v_add_nc_u32_e32 v68, 8, v64
	v_lshlrev_b32_e32 v9, 2, v2
	v_lshl_or_b32 v69, v64, 2, 64
	v_and_or_b32 v4, s9, v13, 0x80000000
	v_cndmask_b32_e64 v7, 0, 2, vcc_lo
	v_add_nc_u32_e32 v70, 16, v64
	ds_bpermute_b32 v2, v9, v5
	v_ffbl_b32_e32 v4, v4
	v_add_lshl_u32 v14, v7, v64, 2
	v_cmp_lt_u32_e32 vcc_lo, v64, v4
	s_waitcnt lgkmcnt(0)
	v_cndmask_b32_e32 v2, 0, v2, vcc_lo
	v_cmp_gt_u32_e32 vcc_lo, 28, v64
	v_add_nc_u32_e32 v2, v2, v5
	v_cndmask_b32_e64 v7, 0, 4, vcc_lo
	v_cmp_le_u32_e32 vcc_lo, v15, v4
	ds_bpermute_b32 v5, v14, v2
	v_add_lshl_u32 v16, v7, v64, 2
	s_waitcnt lgkmcnt(0)
	v_cndmask_b32_e32 v5, 0, v5, vcc_lo
	v_cmp_gt_u32_e32 vcc_lo, 24, v64
	v_add_nc_u32_e32 v2, v2, v5
	v_cndmask_b32_e64 v7, 0, 8, vcc_lo
	v_cmp_le_u32_e32 vcc_lo, v17, v4
	ds_bpermute_b32 v5, v16, v2
	v_add_lshl_u32 v67, v7, v64, 2
	s_waitcnt lgkmcnt(0)
	v_cndmask_b32_e32 v5, 0, v5, vcc_lo
	v_cmp_le_u32_e32 vcc_lo, v68, v4
	v_add_nc_u32_e32 v2, v2, v5
	ds_bpermute_b32 v5, v67, v2
	s_waitcnt lgkmcnt(0)
	v_cndmask_b32_e32 v5, 0, v5, vcc_lo
	v_cmp_le_u32_e32 vcc_lo, v70, v4
	v_add_nc_u32_e32 v2, v2, v5
	ds_bpermute_b32 v5, v69, v2
	s_waitcnt lgkmcnt(0)
	v_cndmask_b32_e32 v4, 0, v5, vcc_lo
	v_add_nc_u32_e32 v5, v2, v4
	v_mov_b32_e32 v4, 0
	s_branch .LBB800_56
.LBB800_53:                             ;   in Loop: Header=BB800_56 Depth=1
	s_or_b32 exec_lo, exec_lo, s10
.LBB800_54:                             ;   in Loop: Header=BB800_56 Depth=1
	s_or_b32 exec_lo, exec_lo, s9
	ds_bpermute_b32 v7, v9, v5
	v_cmp_eq_u16_sdwa s9, v6, v12 src0_sel:BYTE_0 src1_sel:DWORD
	v_subrev_nc_u32_e32 v3, 32, v3
	v_and_or_b32 v8, s9, v13, 0x80000000
	s_mov_b32 s9, 0
	v_ffbl_b32_e32 v8, v8
	v_cmp_lt_u32_e32 vcc_lo, v64, v8
	s_waitcnt lgkmcnt(0)
	v_cndmask_b32_e32 v7, 0, v7, vcc_lo
	v_cmp_le_u32_e32 vcc_lo, v15, v8
	v_add_nc_u32_e32 v5, v7, v5
	ds_bpermute_b32 v7, v14, v5
	s_waitcnt lgkmcnt(0)
	v_cndmask_b32_e32 v7, 0, v7, vcc_lo
	v_cmp_le_u32_e32 vcc_lo, v17, v8
	v_add_nc_u32_e32 v5, v5, v7
	ds_bpermute_b32 v7, v16, v5
	;; [unrolled: 5-line block ×4, first 2 shown]
	s_waitcnt lgkmcnt(0)
	v_cndmask_b32_e32 v7, 0, v7, vcc_lo
	v_add3_u32 v5, v7, v2, v5
.LBB800_55:                             ;   in Loop: Header=BB800_56 Depth=1
	s_and_b32 vcc_lo, exec_lo, s9
	s_cbranch_vccnz .LBB800_61
.LBB800_56:                             ; =>This Loop Header: Depth=1
                                        ;     Child Loop BB800_59 Depth 2
	v_cmp_ne_u16_sdwa s9, v6, v12 src0_sel:BYTE_0 src1_sel:DWORD
	v_mov_b32_e32 v2, v5
                                        ; implicit-def: $vgpr5
                                        ; implicit-def: $vgpr6
	s_cmp_lg_u32 s9, exec_lo
	s_mov_b32 s9, -1
	s_cbranch_scc1 .LBB800_55
; %bb.57:                               ;   in Loop: Header=BB800_56 Depth=1
	v_lshlrev_b64 v[5:6], 3, v[3:4]
	v_add_co_u32 v7, vcc_lo, s22, v5
	v_add_co_ci_u32_e64 v8, null, s23, v6, vcc_lo
	global_load_dwordx2 v[5:6], v[7:8], off glc dlc
	s_waitcnt vmcnt(0)
	v_cmp_eq_u16_sdwa s10, v6, v4 src0_sel:BYTE_0 src1_sel:DWORD
	s_and_saveexec_b32 s9, s10
	s_cbranch_execz .LBB800_54
; %bb.58:                               ;   in Loop: Header=BB800_56 Depth=1
	s_mov_b32 s10, 0
.LBB800_59:                             ;   Parent Loop BB800_56 Depth=1
                                        ; =>  This Inner Loop Header: Depth=2
	global_load_dwordx2 v[5:6], v[7:8], off glc dlc
	s_waitcnt vmcnt(0)
	v_cmp_ne_u16_sdwa s11, v6, v4 src0_sel:BYTE_0 src1_sel:DWORD
	s_or_b32 s10, s11, s10
	s_andn2_b32 exec_lo, exec_lo, s10
	s_cbranch_execnz .LBB800_59
	s_branch .LBB800_53
.LBB800_60:
                                        ; implicit-def: $vgpr17
                                        ; implicit-def: $vgpr1_vgpr2_vgpr3_vgpr4_vgpr5_vgpr6_vgpr7_vgpr8_vgpr9_vgpr10_vgpr11_vgpr12_vgpr13_vgpr14_vgpr15_vgpr16
	s_and_b32 vcc_lo, exec_lo, s7
	s_cbranch_vccnz .LBB800_66
	s_branch .LBB800_75
.LBB800_61:
	s_and_saveexec_b32 s9, s7
	s_cbranch_execz .LBB800_63
; %bb.62:
	s_add_i32 s10, s25, 32
	s_mov_b32 s11, 0
	v_add_nc_u32_e32 v3, v2, v1
	v_mov_b32_e32 v4, 2
	s_lshl_b64 s[10:11], s[10:11], 3
	v_mov_b32_e32 v5, 0
	s_add_u32 s10, s22, s10
	s_addc_u32 s11, s23, s11
	global_store_dwordx2 v5, v[3:4], s[10:11]
	ds_write_b64 v5, v[1:2] offset:13312
.LBB800_63:
	s_or_b32 exec_lo, exec_lo, s9
	s_and_b32 exec_lo, exec_lo, s0
; %bb.64:
	v_mov_b32_e32 v1, 0
	ds_write_b32 v1, v2 offset:28
.LBB800_65:
	s_or_b32 exec_lo, exec_lo, s8
	v_mov_b32_e32 v12, 0
	s_waitcnt lgkmcnt(0)
	s_waitcnt_vscnt null, 0x0
	s_barrier
	buffer_gl0_inv
	v_cndmask_b32_e64 v2, v11, v10, s7
	ds_read_b32 v1, v12 offset:28
	s_waitcnt lgkmcnt(0)
	s_barrier
	buffer_gl0_inv
	v_cndmask_b32_e64 v2, v2, 0, s0
	ds_read_b64 v[16:17], v12 offset:13312
	v_add_nc_u32_e32 v1, v1, v2
	v_add_nc_u32_e32 v2, v1, v55
	;; [unrolled: 1-line block ×13, first 2 shown]
	s_branch .LBB800_75
.LBB800_66:
	v_mov_b32_dpp v1, v66 row_shr:1 row_mask:0xf bank_mask:0xf
	v_cndmask_b32_e64 v1, v1, 0, s6
	v_add_nc_u32_e32 v1, v1, v66
	v_mov_b32_dpp v2, v1 row_shr:2 row_mask:0xf bank_mask:0xf
	v_cndmask_b32_e64 v2, 0, v2, s5
	v_add_nc_u32_e32 v1, v1, v2
	;; [unrolled: 3-line block ×4, first 2 shown]
	ds_swizzle_b32 v2, v1 offset:swizzle(BROADCAST,32,15)
	s_waitcnt lgkmcnt(0)
	v_cndmask_b32_e64 v2, v2, 0, s2
	v_add_nc_u32_e32 v1, v1, v2
	s_and_saveexec_b32 s2, s1
; %bb.67:
	v_lshlrev_b32_e32 v2, 2, v65
	ds_write_b32 v2, v1
; %bb.68:
	s_or_b32 exec_lo, exec_lo, s2
	s_mov_b32 s1, exec_lo
	s_waitcnt lgkmcnt(0)
	s_barrier
	buffer_gl0_inv
	v_cmpx_gt_u32_e32 8, v0
	s_cbranch_execz .LBB800_70
; %bb.69:
	ds_read_b32 v2, v44
	v_and_b32_e32 v3, 7, v64
	v_cmp_ne_u32_e32 vcc_lo, 0, v3
	s_waitcnt lgkmcnt(0)
	v_mov_b32_dpp v4, v2 row_shr:1 row_mask:0xf bank_mask:0xf
	v_cndmask_b32_e32 v4, 0, v4, vcc_lo
	v_cmp_lt_u32_e32 vcc_lo, 1, v3
	v_add_nc_u32_e32 v2, v4, v2
	v_mov_b32_dpp v4, v2 row_shr:2 row_mask:0xf bank_mask:0xf
	v_cndmask_b32_e32 v4, 0, v4, vcc_lo
	v_cmp_lt_u32_e32 vcc_lo, 3, v3
	v_add_nc_u32_e32 v2, v2, v4
	v_mov_b32_dpp v4, v2 row_shr:4 row_mask:0xf bank_mask:0xf
	v_cndmask_b32_e32 v3, 0, v4, vcc_lo
	v_add_nc_u32_e32 v2, v2, v3
	ds_write_b32 v44, v2
.LBB800_70:
	s_or_b32 exec_lo, exec_lo, s1
	v_mov_b32_e32 v3, 0
	v_mov_b32_e32 v2, 0
	s_mov_b32 s1, exec_lo
	s_waitcnt lgkmcnt(0)
	s_barrier
	buffer_gl0_inv
	v_cmpx_lt_u32_e32 31, v0
; %bb.71:
	v_lshl_add_u32 v2, v65, 2, -4
	ds_read_b32 v2, v2
; %bb.72:
	s_or_b32 exec_lo, exec_lo, s1
	v_sub_co_u32 v4, vcc_lo, v64, 1
	s_waitcnt lgkmcnt(0)
	v_add_nc_u32_e32 v1, v2, v1
	ds_read_b32 v16, v3 offset:28
	v_cmp_gt_i32_e64 s1, 0, v4
	v_cndmask_b32_e64 v4, v4, v64, s1
	v_lshlrev_b32_e32 v4, 2, v4
	ds_bpermute_b32 v1, v4, v1
	s_and_saveexec_b32 s1, s0
	s_cbranch_execz .LBB800_74
; %bb.73:
	v_mov_b32_e32 v3, 0
	v_mov_b32_e32 v17, 2
	s_waitcnt lgkmcnt(1)
	global_store_dwordx2 v3, v[16:17], s[22:23] offset:256
.LBB800_74:
	s_or_b32 exec_lo, exec_lo, s1
	s_waitcnt lgkmcnt(0)
	v_cndmask_b32_e32 v1, v1, v2, vcc_lo
	v_mov_b32_e32 v17, 0
	s_waitcnt_vscnt null, 0x0
	s_barrier
	buffer_gl0_inv
	v_cndmask_b32_e64 v1, v1, 0, s0
	v_add_nc_u32_e32 v2, v1, v55
	v_add_nc_u32_e32 v3, v2, v56
	;; [unrolled: 1-line block ×12, first 2 shown]
.LBB800_75:
	s_waitcnt lgkmcnt(0)
	v_add_nc_u32_e32 v47, v16, v47
	v_sub_nc_u32_e32 v1, v1, v17
	v_and_b32_e32 v56, 1, v52
	v_lshrrev_b32_e32 v55, 8, v52
	v_sub_nc_u32_e32 v2, v2, v17
	v_sub_nc_u32_e32 v3, v3, v17
	;; [unrolled: 1-line block ×3, first 2 shown]
	v_cmp_eq_u32_e32 vcc_lo, 1, v56
	v_and_b32_e32 v55, 1, v55
	v_mov_b32_e32 v58, 1
	v_sub_nc_u32_e32 v56, v47, v2
	v_sub_nc_u32_e32 v4, v4, v17
	v_cndmask_b32_e32 v1, v57, v1, vcc_lo
	v_sub_nc_u32_e32 v57, v47, v3
	v_and_b32_sdwa v52, v58, v52 dst_sel:DWORD dst_unused:UNUSED_PAD src0_sel:DWORD src1_sel:WORD_1
	v_add_nc_u32_e32 v56, 1, v56
	v_cmp_eq_u32_e32 vcc_lo, 1, v55
	v_lshlrev_b32_e32 v1, 2, v1
	v_and_b32_e32 v54, 1, v54
	v_sub_nc_u32_e32 v59, v47, v4
	v_add_nc_u32_e32 v57, 2, v57
	v_lshrrev_b32_e32 v15, 8, v50
	ds_write_b32 v1, v30
	v_cndmask_b32_e32 v1, v56, v2, vcc_lo
	v_cmp_eq_u32_e32 vcc_lo, 1, v52
	v_add_nc_u32_e32 v59, 3, v59
	v_lshrrev_b32_e32 v14, 8, v49
	v_lshlrev_b32_e32 v1, 2, v1
	v_cndmask_b32_e32 v2, v57, v3, vcc_lo
	v_cmp_eq_u32_e32 vcc_lo, 1, v54
	ds_write_b32 v1, v31
	v_lshlrev_b32_e32 v2, 2, v2
	v_cndmask_b32_e32 v3, v59, v4, vcc_lo
	v_sub_nc_u32_e32 v4, v5, v17
	v_sub_nc_u32_e32 v5, v6, v17
	v_lshlrev_b32_e32 v3, 2, v3
	v_sub_nc_u32_e32 v1, v47, v4
	v_sub_nc_u32_e32 v6, v47, v5
	ds_write_b32 v2, v28
	ds_write_b32 v3, v29
	v_and_b32_e32 v2, 1, v50
	v_add_nc_u32_e32 v1, 4, v1
	v_add_nc_u32_e32 v3, 5, v6
	v_sub_nc_u32_e32 v6, v7, v17
	v_and_b32_e32 v7, 1, v15
	v_cmp_eq_u32_e32 vcc_lo, 1, v2
	v_sub_nc_u32_e32 v2, v8, v17
	v_and_b32_e32 v8, 1, v53
	v_add_co_u32 v15, s1, v18, v17
	v_cndmask_b32_e32 v1, v1, v4, vcc_lo
	v_sub_nc_u32_e32 v4, v47, v6
	v_cmp_eq_u32_e32 vcc_lo, 1, v7
	v_and_b32_sdwa v7, v58, v50 dst_sel:DWORD dst_unused:UNUSED_PAD src0_sel:DWORD src1_sel:WORD_1
	v_lshlrev_b32_e32 v1, 2, v1
	v_add_nc_u32_e32 v4, 6, v4
	v_cndmask_b32_e32 v3, v3, v5, vcc_lo
	v_sub_nc_u32_e32 v5, v47, v2
	v_cmp_eq_u32_e32 vcc_lo, 1, v7
	v_sub_nc_u32_e32 v7, v13, v17
	v_lshlrev_b32_e32 v3, 2, v3
	v_add_nc_u32_e32 v5, 7, v5
	v_cndmask_b32_e32 v4, v4, v6, vcc_lo
	v_cmp_eq_u32_e32 vcc_lo, 1, v8
	v_sub_nc_u32_e32 v6, v9, v17
	ds_write_b32 v1, v26
	ds_write_b32 v3, v27
	v_lshlrev_b32_e32 v3, 2, v4
	v_cndmask_b32_e32 v2, v5, v2, vcc_lo
	v_sub_nc_u32_e32 v1, v47, v6
	v_and_b32_e32 v5, 1, v49
	v_sub_nc_u32_e32 v4, v10, v17
	v_and_b32_e32 v10, 1, v51
	v_lshlrev_b32_e32 v2, 2, v2
	v_add_nc_u32_e32 v1, 8, v1
	ds_write_b32 v3, v24
	ds_write_b32 v2, v25
	v_cmp_eq_u32_e32 vcc_lo, 1, v5
	v_sub_nc_u32_e32 v3, v11, v17
	v_sub_nc_u32_e32 v2, v47, v4
	;; [unrolled: 1-line block ×3, first 2 shown]
	v_and_b32_e32 v11, 1, v48
	v_cndmask_b32_e32 v1, v1, v6, vcc_lo
	v_and_b32_e32 v6, 1, v14
	v_sub_nc_u32_e32 v8, v47, v3
	v_add_nc_u32_e32 v2, 9, v2
	v_sub_nc_u32_e32 v9, v47, v5
	v_lshlrev_b32_e32 v1, 2, v1
	v_cmp_eq_u32_e32 vcc_lo, 1, v6
	v_add_nc_u32_e32 v6, 10, v8
	v_and_b32_sdwa v8, v58, v49 dst_sel:DWORD dst_unused:UNUSED_PAD src0_sel:DWORD src1_sel:WORD_1
	v_add_nc_u32_e32 v9, 11, v9
	v_add_co_ci_u32_e64 v17, null, 0, v19, s1
	v_cndmask_b32_e32 v2, v2, v4, vcc_lo
	v_cmp_eq_u32_e32 vcc_lo, 1, v8
	v_sub_nc_u32_e32 v4, v47, v7
	v_lshlrev_b32_e32 v2, 2, v2
	v_cndmask_b32_e32 v3, v6, v3, vcc_lo
	v_cmp_eq_u32_e32 vcc_lo, 1, v10
	v_add_nc_u32_e32 v4, 12, v4
	v_lshlrev_b32_e32 v3, 2, v3
	v_cndmask_b32_e32 v5, v9, v5, vcc_lo
	v_cmp_eq_u32_e32 vcc_lo, 1, v11
	v_lshlrev_b32_e32 v5, 2, v5
	v_cndmask_b32_e32 v4, v4, v7, vcc_lo
	v_cmp_ne_u32_e32 vcc_lo, 1, v45
	v_lshlrev_b32_e32 v4, 2, v4
	ds_write_b32 v1, v22
	ds_write_b32 v2, v23
	;; [unrolled: 1-line block ×5, first 2 shown]
	s_waitcnt lgkmcnt(0)
	s_barrier
	buffer_gl0_inv
	ds_read2st64_b32 v[11:12], v44 offset1:4
	ds_read2st64_b32 v[9:10], v44 offset0:8 offset1:12
	ds_read2st64_b32 v[7:8], v44 offset0:16 offset1:20
	;; [unrolled: 1-line block ×5, first 2 shown]
	ds_read_b32 v20, v44 offset:12288
	s_cbranch_vccnz .LBB800_132
; %bb.76:
	s_sub_u32 s1, s20, s24
	v_sub_co_u32 v13, vcc_lo, v15, s18
	s_subb_u32 s2, s21, 0
	v_add_co_u32 v18, s1, s1, v16
	v_subrev_co_ci_u32_e64 v14, null, s19, v17, vcc_lo
	v_add_co_ci_u32_e64 v19, null, s2, 0, s1
	v_add_co_u32 v18, vcc_lo, v18, v13
	s_mov_b32 s1, exec_lo
	v_add_co_ci_u32_e64 v19, null, v19, v14, vcc_lo
                                        ; implicit-def: $vgpr13_vgpr14
	v_cmpx_ge_u32_e64 v0, v16
	s_xor_b32 s1, exec_lo, s1
; %bb.77:
	v_not_b32_e32 v13, v0
	v_ashrrev_i32_e32 v14, 31, v13
	v_add_co_u32 v13, vcc_lo, v18, v13
	v_add_co_ci_u32_e64 v14, null, v19, v14, vcc_lo
; %bb.78:
	s_andn2_saveexec_b32 s1, s1
; %bb.79:
	v_add_co_u32 v13, vcc_lo, v15, v0
	v_add_co_ci_u32_e64 v14, null, 0, v17, vcc_lo
; %bb.80:
	s_or_b32 exec_lo, exec_lo, s1
	v_lshlrev_b64 v[13:14], 2, v[13:14]
	s_mov_b32 s1, exec_lo
	v_add_co_u32 v13, vcc_lo, s16, v13
	v_add_co_ci_u32_e64 v14, null, s17, v14, vcc_lo
	s_waitcnt lgkmcnt(6)
	global_store_dword v[13:14], v11, off
                                        ; implicit-def: $vgpr13_vgpr14
	v_cmpx_ge_u32_e64 v43, v16
	s_xor_b32 s1, exec_lo, s1
; %bb.81:
	v_xor_b32_e32 v13, 0xfffffeff, v0
	v_ashrrev_i32_e32 v14, 31, v13
	v_add_co_u32 v13, vcc_lo, v18, v13
	v_add_co_ci_u32_e64 v14, null, v19, v14, vcc_lo
; %bb.82:
	s_andn2_saveexec_b32 s1, s1
; %bb.83:
	v_add_co_u32 v13, vcc_lo, v15, v43
	v_add_co_ci_u32_e64 v14, null, 0, v17, vcc_lo
; %bb.84:
	s_or_b32 exec_lo, exec_lo, s1
	v_lshlrev_b64 v[13:14], 2, v[13:14]
	s_mov_b32 s1, exec_lo
	v_add_co_u32 v13, vcc_lo, s16, v13
	v_add_co_ci_u32_e64 v14, null, s17, v14, vcc_lo
	global_store_dword v[13:14], v12, off
                                        ; implicit-def: $vgpr13_vgpr14
	v_cmpx_ge_u32_e64 v42, v16
	s_xor_b32 s1, exec_lo, s1
; %bb.85:
	v_xor_b32_e32 v13, 0xfffffdff, v0
	v_ashrrev_i32_e32 v14, 31, v13
	v_add_co_u32 v13, vcc_lo, v18, v13
	v_add_co_ci_u32_e64 v14, null, v19, v14, vcc_lo
; %bb.86:
	s_andn2_saveexec_b32 s1, s1
; %bb.87:
	v_add_co_u32 v13, vcc_lo, v15, v42
	v_add_co_ci_u32_e64 v14, null, 0, v17, vcc_lo
; %bb.88:
	s_or_b32 exec_lo, exec_lo, s1
	v_lshlrev_b64 v[13:14], 2, v[13:14]
	s_mov_b32 s1, exec_lo
	v_add_co_u32 v13, vcc_lo, s16, v13
	v_add_co_ci_u32_e64 v14, null, s17, v14, vcc_lo
	s_waitcnt lgkmcnt(5)
	global_store_dword v[13:14], v9, off
                                        ; implicit-def: $vgpr13_vgpr14
	v_cmpx_ge_u32_e64 v41, v16
	s_xor_b32 s1, exec_lo, s1
; %bb.89:
	v_xor_b32_e32 v13, 0xfffffcff, v0
	v_ashrrev_i32_e32 v14, 31, v13
	v_add_co_u32 v13, vcc_lo, v18, v13
	v_add_co_ci_u32_e64 v14, null, v19, v14, vcc_lo
; %bb.90:
	s_andn2_saveexec_b32 s1, s1
; %bb.91:
	v_add_co_u32 v13, vcc_lo, v15, v41
	v_add_co_ci_u32_e64 v14, null, 0, v17, vcc_lo
; %bb.92:
	s_or_b32 exec_lo, exec_lo, s1
	v_lshlrev_b64 v[13:14], 2, v[13:14]
	s_mov_b32 s1, exec_lo
	v_add_co_u32 v13, vcc_lo, s16, v13
	v_add_co_ci_u32_e64 v14, null, s17, v14, vcc_lo
	global_store_dword v[13:14], v10, off
                                        ; implicit-def: $vgpr13_vgpr14
	v_cmpx_ge_u32_e64 v40, v16
	s_xor_b32 s1, exec_lo, s1
; %bb.93:
	v_xor_b32_e32 v13, 0xfffffbff, v0
	;; [unrolled: 41-line block ×6, first 2 shown]
	v_ashrrev_i32_e32 v14, 31, v13
	v_add_co_u32 v13, vcc_lo, v18, v13
	v_add_co_ci_u32_e64 v14, null, v19, v14, vcc_lo
; %bb.126:
	s_andn2_saveexec_b32 s1, s1
; %bb.127:
	v_add_co_u32 v13, vcc_lo, v15, v32
	v_add_co_ci_u32_e64 v14, null, 0, v17, vcc_lo
; %bb.128:
	s_or_b32 exec_lo, exec_lo, s1
	s_mov_b32 s1, -1
.LBB800_129:
	s_and_saveexec_b32 s2, s1
	s_cbranch_execz .LBB800_212
.LBB800_130:
	s_waitcnt lgkmcnt(1)
	v_lshlrev_b64 v[0:1], 2, v[13:14]
	v_add_co_u32 v0, vcc_lo, s16, v0
	v_add_co_ci_u32_e64 v1, null, s17, v1, vcc_lo
	s_waitcnt lgkmcnt(0)
	global_store_dword v[0:1], v20, off
	s_or_b32 exec_lo, exec_lo, s2
	s_and_b32 s0, s0, s14
	s_and_saveexec_b32 s1, s0
	s_cbranch_execnz .LBB800_213
.LBB800_131:
	s_endpgm
.LBB800_132:
	s_mov_b32 s1, 0
                                        ; implicit-def: $vgpr13_vgpr14
	s_cbranch_execz .LBB800_129
; %bb.133:
	s_add_u32 s2, s18, s24
	s_addc_u32 s3, s19, 0
	s_sub_u32 s2, s20, s2
	s_subb_u32 s3, s21, s3
	v_add_co_u32 v13, s2, s2, v16
	v_add_co_ci_u32_e64 v14, null, s3, 0, s2
	s_mov_b32 s2, exec_lo
	v_add_co_u32 v18, vcc_lo, v13, v15
	v_add_co_ci_u32_e64 v19, null, v14, v17, vcc_lo
	v_cmpx_gt_u32_e64 s15, v0
	s_cbranch_execz .LBB800_169
; %bb.134:
	s_mov_b32 s3, exec_lo
                                        ; implicit-def: $vgpr13_vgpr14
	v_cmpx_ge_u32_e64 v0, v16
	s_xor_b32 s3, exec_lo, s3
; %bb.135:
	v_not_b32_e32 v13, v0
	v_ashrrev_i32_e32 v14, 31, v13
	v_add_co_u32 v13, vcc_lo, v18, v13
	v_add_co_ci_u32_e64 v14, null, v19, v14, vcc_lo
; %bb.136:
	s_andn2_saveexec_b32 s3, s3
; %bb.137:
	v_add_co_u32 v13, vcc_lo, v15, v0
	v_add_co_ci_u32_e64 v14, null, 0, v17, vcc_lo
; %bb.138:
	s_or_b32 exec_lo, exec_lo, s3
	v_lshlrev_b64 v[13:14], 2, v[13:14]
	v_add_co_u32 v13, vcc_lo, s16, v13
	v_add_co_ci_u32_e64 v14, null, s17, v14, vcc_lo
	s_waitcnt lgkmcnt(6)
	global_store_dword v[13:14], v11, off
	s_or_b32 exec_lo, exec_lo, s2
	s_mov_b32 s2, exec_lo
	v_cmpx_gt_u32_e64 s15, v43
	s_cbranch_execnz .LBB800_170
.LBB800_139:
	s_or_b32 exec_lo, exec_lo, s2
	s_mov_b32 s2, exec_lo
	v_cmpx_gt_u32_e64 s15, v42
	s_cbranch_execz .LBB800_175
.LBB800_140:
	s_mov_b32 s3, exec_lo
                                        ; implicit-def: $vgpr11_vgpr12
	v_cmpx_ge_u32_e64 v42, v16
	s_xor_b32 s3, exec_lo, s3
	s_cbranch_execz .LBB800_142
; %bb.141:
	s_waitcnt lgkmcnt(6)
	v_xor_b32_e32 v11, 0xfffffdff, v0
                                        ; implicit-def: $vgpr42
	v_ashrrev_i32_e32 v12, 31, v11
	v_add_co_u32 v11, vcc_lo, v18, v11
	v_add_co_ci_u32_e64 v12, null, v19, v12, vcc_lo
.LBB800_142:
	s_andn2_saveexec_b32 s3, s3
	s_cbranch_execz .LBB800_144
; %bb.143:
	s_waitcnt lgkmcnt(6)
	v_add_co_u32 v11, vcc_lo, v15, v42
	v_add_co_ci_u32_e64 v12, null, 0, v17, vcc_lo
.LBB800_144:
	s_or_b32 exec_lo, exec_lo, s3
	s_waitcnt lgkmcnt(6)
	v_lshlrev_b64 v[11:12], 2, v[11:12]
	v_add_co_u32 v11, vcc_lo, s16, v11
	v_add_co_ci_u32_e64 v12, null, s17, v12, vcc_lo
	s_waitcnt lgkmcnt(5)
	global_store_dword v[11:12], v9, off
	s_or_b32 exec_lo, exec_lo, s2
	s_mov_b32 s2, exec_lo
	v_cmpx_gt_u32_e64 s15, v41
	s_cbranch_execnz .LBB800_176
.LBB800_145:
	s_or_b32 exec_lo, exec_lo, s2
	s_mov_b32 s2, exec_lo
	v_cmpx_gt_u32_e64 s15, v40
	s_cbranch_execz .LBB800_181
.LBB800_146:
	s_mov_b32 s3, exec_lo
                                        ; implicit-def: $vgpr9_vgpr10
	v_cmpx_ge_u32_e64 v40, v16
	s_xor_b32 s3, exec_lo, s3
	s_cbranch_execz .LBB800_148
; %bb.147:
	s_waitcnt lgkmcnt(5)
	v_xor_b32_e32 v9, 0xfffffbff, v0
                                        ; implicit-def: $vgpr40
	v_ashrrev_i32_e32 v10, 31, v9
	v_add_co_u32 v9, vcc_lo, v18, v9
	v_add_co_ci_u32_e64 v10, null, v19, v10, vcc_lo
.LBB800_148:
	s_andn2_saveexec_b32 s3, s3
	s_cbranch_execz .LBB800_150
; %bb.149:
	s_waitcnt lgkmcnt(5)
	v_add_co_u32 v9, vcc_lo, v15, v40
	v_add_co_ci_u32_e64 v10, null, 0, v17, vcc_lo
.LBB800_150:
	s_or_b32 exec_lo, exec_lo, s3
	s_waitcnt lgkmcnt(5)
	v_lshlrev_b64 v[9:10], 2, v[9:10]
	v_add_co_u32 v9, vcc_lo, s16, v9
	v_add_co_ci_u32_e64 v10, null, s17, v10, vcc_lo
	s_waitcnt lgkmcnt(4)
	global_store_dword v[9:10], v7, off
	s_or_b32 exec_lo, exec_lo, s2
	s_mov_b32 s2, exec_lo
	v_cmpx_gt_u32_e64 s15, v39
	s_cbranch_execnz .LBB800_182
.LBB800_151:
	s_or_b32 exec_lo, exec_lo, s2
	s_mov_b32 s2, exec_lo
	v_cmpx_gt_u32_e64 s15, v38
	s_cbranch_execz .LBB800_187
.LBB800_152:
	s_mov_b32 s3, exec_lo
                                        ; implicit-def: $vgpr7_vgpr8
	v_cmpx_ge_u32_e64 v38, v16
	s_xor_b32 s3, exec_lo, s3
	s_cbranch_execz .LBB800_154
; %bb.153:
	s_waitcnt lgkmcnt(4)
	v_xor_b32_e32 v7, 0xfffff9ff, v0
                                        ; implicit-def: $vgpr38
	v_ashrrev_i32_e32 v8, 31, v7
	v_add_co_u32 v7, vcc_lo, v18, v7
	v_add_co_ci_u32_e64 v8, null, v19, v8, vcc_lo
.LBB800_154:
	s_andn2_saveexec_b32 s3, s3
	s_cbranch_execz .LBB800_156
; %bb.155:
	s_waitcnt lgkmcnt(4)
	v_add_co_u32 v7, vcc_lo, v15, v38
	v_add_co_ci_u32_e64 v8, null, 0, v17, vcc_lo
.LBB800_156:
	s_or_b32 exec_lo, exec_lo, s3
	s_waitcnt lgkmcnt(4)
	v_lshlrev_b64 v[7:8], 2, v[7:8]
	v_add_co_u32 v7, vcc_lo, s16, v7
	v_add_co_ci_u32_e64 v8, null, s17, v8, vcc_lo
	s_waitcnt lgkmcnt(3)
	global_store_dword v[7:8], v5, off
	s_or_b32 exec_lo, exec_lo, s2
	s_mov_b32 s2, exec_lo
	v_cmpx_gt_u32_e64 s15, v37
	s_cbranch_execnz .LBB800_188
.LBB800_157:
	s_or_b32 exec_lo, exec_lo, s2
	s_mov_b32 s2, exec_lo
	v_cmpx_gt_u32_e64 s15, v36
	s_cbranch_execz .LBB800_193
.LBB800_158:
	s_mov_b32 s3, exec_lo
                                        ; implicit-def: $vgpr5_vgpr6
	v_cmpx_ge_u32_e64 v36, v16
	s_xor_b32 s3, exec_lo, s3
	s_cbranch_execz .LBB800_160
; %bb.159:
	s_waitcnt lgkmcnt(3)
	v_xor_b32_e32 v5, 0xfffff7ff, v0
                                        ; implicit-def: $vgpr36
	v_ashrrev_i32_e32 v6, 31, v5
	v_add_co_u32 v5, vcc_lo, v18, v5
	v_add_co_ci_u32_e64 v6, null, v19, v6, vcc_lo
.LBB800_160:
	s_andn2_saveexec_b32 s3, s3
	s_cbranch_execz .LBB800_162
; %bb.161:
	s_waitcnt lgkmcnt(3)
	v_add_co_u32 v5, vcc_lo, v15, v36
	v_add_co_ci_u32_e64 v6, null, 0, v17, vcc_lo
.LBB800_162:
	s_or_b32 exec_lo, exec_lo, s3
	s_waitcnt lgkmcnt(3)
	v_lshlrev_b64 v[5:6], 2, v[5:6]
	v_add_co_u32 v5, vcc_lo, s16, v5
	v_add_co_ci_u32_e64 v6, null, s17, v6, vcc_lo
	s_waitcnt lgkmcnt(2)
	global_store_dword v[5:6], v3, off
	s_or_b32 exec_lo, exec_lo, s2
	s_mov_b32 s2, exec_lo
	v_cmpx_gt_u32_e64 s15, v35
	s_cbranch_execnz .LBB800_194
.LBB800_163:
	s_or_b32 exec_lo, exec_lo, s2
	s_mov_b32 s2, exec_lo
	v_cmpx_gt_u32_e64 s15, v34
	s_cbranch_execz .LBB800_199
.LBB800_164:
	s_mov_b32 s3, exec_lo
                                        ; implicit-def: $vgpr3_vgpr4
	v_cmpx_ge_u32_e64 v34, v16
	s_xor_b32 s3, exec_lo, s3
	s_cbranch_execz .LBB800_166
; %bb.165:
	s_waitcnt lgkmcnt(2)
	v_xor_b32_e32 v3, 0xfffff5ff, v0
                                        ; implicit-def: $vgpr34
	v_ashrrev_i32_e32 v4, 31, v3
	v_add_co_u32 v3, vcc_lo, v18, v3
	v_add_co_ci_u32_e64 v4, null, v19, v4, vcc_lo
.LBB800_166:
	s_andn2_saveexec_b32 s3, s3
	s_cbranch_execz .LBB800_168
; %bb.167:
	s_waitcnt lgkmcnt(2)
	v_add_co_u32 v3, vcc_lo, v15, v34
	v_add_co_ci_u32_e64 v4, null, 0, v17, vcc_lo
.LBB800_168:
	s_or_b32 exec_lo, exec_lo, s3
	s_waitcnt lgkmcnt(2)
	v_lshlrev_b64 v[3:4], 2, v[3:4]
	v_add_co_u32 v3, vcc_lo, s16, v3
	v_add_co_ci_u32_e64 v4, null, s17, v4, vcc_lo
	s_waitcnt lgkmcnt(1)
	global_store_dword v[3:4], v1, off
	s_or_b32 exec_lo, exec_lo, s2
	s_mov_b32 s2, exec_lo
	v_cmpx_gt_u32_e64 s15, v33
	s_cbranch_execz .LBB800_205
	s_branch .LBB800_200
.LBB800_169:
	s_or_b32 exec_lo, exec_lo, s2
	s_mov_b32 s2, exec_lo
	v_cmpx_gt_u32_e64 s15, v43
	s_cbranch_execz .LBB800_139
.LBB800_170:
	s_mov_b32 s3, exec_lo
                                        ; implicit-def: $vgpr13_vgpr14
	v_cmpx_ge_u32_e64 v43, v16
	s_xor_b32 s3, exec_lo, s3
	s_cbranch_execz .LBB800_172
; %bb.171:
	s_waitcnt lgkmcnt(6)
	v_xor_b32_e32 v11, 0xfffffeff, v0
                                        ; implicit-def: $vgpr43
	v_ashrrev_i32_e32 v14, 31, v11
	v_add_co_u32 v13, vcc_lo, v18, v11
	v_add_co_ci_u32_e64 v14, null, v19, v14, vcc_lo
.LBB800_172:
	s_andn2_saveexec_b32 s3, s3
; %bb.173:
	v_add_co_u32 v13, vcc_lo, v15, v43
	v_add_co_ci_u32_e64 v14, null, 0, v17, vcc_lo
; %bb.174:
	s_or_b32 exec_lo, exec_lo, s3
	v_lshlrev_b64 v[13:14], 2, v[13:14]
	v_add_co_u32 v13, vcc_lo, s16, v13
	v_add_co_ci_u32_e64 v14, null, s17, v14, vcc_lo
	s_waitcnt lgkmcnt(6)
	global_store_dword v[13:14], v12, off
	s_or_b32 exec_lo, exec_lo, s2
	s_mov_b32 s2, exec_lo
	v_cmpx_gt_u32_e64 s15, v42
	s_cbranch_execnz .LBB800_140
.LBB800_175:
	s_or_b32 exec_lo, exec_lo, s2
	s_mov_b32 s2, exec_lo
	v_cmpx_gt_u32_e64 s15, v41
	s_cbranch_execz .LBB800_145
.LBB800_176:
	s_mov_b32 s3, exec_lo
                                        ; implicit-def: $vgpr11_vgpr12
	v_cmpx_ge_u32_e64 v41, v16
	s_xor_b32 s3, exec_lo, s3
	s_cbranch_execz .LBB800_178
; %bb.177:
	s_waitcnt lgkmcnt(5)
	v_xor_b32_e32 v9, 0xfffffcff, v0
                                        ; implicit-def: $vgpr41
	v_ashrrev_i32_e32 v12, 31, v9
	v_add_co_u32 v11, vcc_lo, v18, v9
	v_add_co_ci_u32_e64 v12, null, v19, v12, vcc_lo
.LBB800_178:
	s_andn2_saveexec_b32 s3, s3
	s_cbranch_execz .LBB800_180
; %bb.179:
	s_waitcnt lgkmcnt(6)
	v_add_co_u32 v11, vcc_lo, v15, v41
	v_add_co_ci_u32_e64 v12, null, 0, v17, vcc_lo
.LBB800_180:
	s_or_b32 exec_lo, exec_lo, s3
	s_waitcnt lgkmcnt(6)
	v_lshlrev_b64 v[11:12], 2, v[11:12]
	v_add_co_u32 v11, vcc_lo, s16, v11
	v_add_co_ci_u32_e64 v12, null, s17, v12, vcc_lo
	s_waitcnt lgkmcnt(5)
	global_store_dword v[11:12], v10, off
	s_or_b32 exec_lo, exec_lo, s2
	s_mov_b32 s2, exec_lo
	v_cmpx_gt_u32_e64 s15, v40
	s_cbranch_execnz .LBB800_146
.LBB800_181:
	s_or_b32 exec_lo, exec_lo, s2
	s_mov_b32 s2, exec_lo
	v_cmpx_gt_u32_e64 s15, v39
	s_cbranch_execz .LBB800_151
.LBB800_182:
	s_mov_b32 s3, exec_lo
                                        ; implicit-def: $vgpr9_vgpr10
	v_cmpx_ge_u32_e64 v39, v16
	s_xor_b32 s3, exec_lo, s3
	s_cbranch_execz .LBB800_184
; %bb.183:
	s_waitcnt lgkmcnt(4)
	v_xor_b32_e32 v7, 0xfffffaff, v0
                                        ; implicit-def: $vgpr39
	v_ashrrev_i32_e32 v10, 31, v7
	v_add_co_u32 v9, vcc_lo, v18, v7
	v_add_co_ci_u32_e64 v10, null, v19, v10, vcc_lo
.LBB800_184:
	s_andn2_saveexec_b32 s3, s3
	s_cbranch_execz .LBB800_186
; %bb.185:
	s_waitcnt lgkmcnt(5)
	v_add_co_u32 v9, vcc_lo, v15, v39
	v_add_co_ci_u32_e64 v10, null, 0, v17, vcc_lo
.LBB800_186:
	s_or_b32 exec_lo, exec_lo, s3
	s_waitcnt lgkmcnt(5)
	v_lshlrev_b64 v[9:10], 2, v[9:10]
	v_add_co_u32 v9, vcc_lo, s16, v9
	v_add_co_ci_u32_e64 v10, null, s17, v10, vcc_lo
	s_waitcnt lgkmcnt(4)
	global_store_dword v[9:10], v8, off
	s_or_b32 exec_lo, exec_lo, s2
	s_mov_b32 s2, exec_lo
	v_cmpx_gt_u32_e64 s15, v38
	s_cbranch_execnz .LBB800_152
.LBB800_187:
	s_or_b32 exec_lo, exec_lo, s2
	s_mov_b32 s2, exec_lo
	v_cmpx_gt_u32_e64 s15, v37
	s_cbranch_execz .LBB800_157
.LBB800_188:
	s_mov_b32 s3, exec_lo
                                        ; implicit-def: $vgpr7_vgpr8
	v_cmpx_ge_u32_e64 v37, v16
	s_xor_b32 s3, exec_lo, s3
	s_cbranch_execz .LBB800_190
; %bb.189:
	s_waitcnt lgkmcnt(3)
	v_xor_b32_e32 v5, 0xfffff8ff, v0
                                        ; implicit-def: $vgpr37
	v_ashrrev_i32_e32 v8, 31, v5
	v_add_co_u32 v7, vcc_lo, v18, v5
	v_add_co_ci_u32_e64 v8, null, v19, v8, vcc_lo
.LBB800_190:
	s_andn2_saveexec_b32 s3, s3
	s_cbranch_execz .LBB800_192
; %bb.191:
	s_waitcnt lgkmcnt(4)
	v_add_co_u32 v7, vcc_lo, v15, v37
	v_add_co_ci_u32_e64 v8, null, 0, v17, vcc_lo
.LBB800_192:
	s_or_b32 exec_lo, exec_lo, s3
	s_waitcnt lgkmcnt(4)
	v_lshlrev_b64 v[7:8], 2, v[7:8]
	v_add_co_u32 v7, vcc_lo, s16, v7
	v_add_co_ci_u32_e64 v8, null, s17, v8, vcc_lo
	s_waitcnt lgkmcnt(3)
	global_store_dword v[7:8], v6, off
	s_or_b32 exec_lo, exec_lo, s2
	s_mov_b32 s2, exec_lo
	v_cmpx_gt_u32_e64 s15, v36
	s_cbranch_execnz .LBB800_158
.LBB800_193:
	s_or_b32 exec_lo, exec_lo, s2
	s_mov_b32 s2, exec_lo
	v_cmpx_gt_u32_e64 s15, v35
	s_cbranch_execz .LBB800_163
.LBB800_194:
	s_mov_b32 s3, exec_lo
                                        ; implicit-def: $vgpr5_vgpr6
	v_cmpx_ge_u32_e64 v35, v16
	s_xor_b32 s3, exec_lo, s3
	s_cbranch_execz .LBB800_196
; %bb.195:
	s_waitcnt lgkmcnt(2)
	v_xor_b32_e32 v3, 0xfffff6ff, v0
                                        ; implicit-def: $vgpr35
	v_ashrrev_i32_e32 v6, 31, v3
	v_add_co_u32 v5, vcc_lo, v18, v3
	v_add_co_ci_u32_e64 v6, null, v19, v6, vcc_lo
.LBB800_196:
	s_andn2_saveexec_b32 s3, s3
	s_cbranch_execz .LBB800_198
; %bb.197:
	s_waitcnt lgkmcnt(3)
	v_add_co_u32 v5, vcc_lo, v15, v35
	v_add_co_ci_u32_e64 v6, null, 0, v17, vcc_lo
.LBB800_198:
	s_or_b32 exec_lo, exec_lo, s3
	s_waitcnt lgkmcnt(3)
	v_lshlrev_b64 v[5:6], 2, v[5:6]
	v_add_co_u32 v5, vcc_lo, s16, v5
	v_add_co_ci_u32_e64 v6, null, s17, v6, vcc_lo
	s_waitcnt lgkmcnt(2)
	global_store_dword v[5:6], v4, off
	s_or_b32 exec_lo, exec_lo, s2
	s_mov_b32 s2, exec_lo
	v_cmpx_gt_u32_e64 s15, v34
	s_cbranch_execnz .LBB800_164
.LBB800_199:
	s_or_b32 exec_lo, exec_lo, s2
	s_mov_b32 s2, exec_lo
	v_cmpx_gt_u32_e64 s15, v33
	s_cbranch_execz .LBB800_205
.LBB800_200:
	s_mov_b32 s3, exec_lo
                                        ; implicit-def: $vgpr3_vgpr4
	v_cmpx_ge_u32_e64 v33, v16
	s_xor_b32 s3, exec_lo, s3
	s_cbranch_execz .LBB800_202
; %bb.201:
	s_waitcnt lgkmcnt(1)
	v_xor_b32_e32 v1, 0xfffff4ff, v0
                                        ; implicit-def: $vgpr33
	v_ashrrev_i32_e32 v4, 31, v1
	v_add_co_u32 v3, vcc_lo, v18, v1
	v_add_co_ci_u32_e64 v4, null, v19, v4, vcc_lo
.LBB800_202:
	s_andn2_saveexec_b32 s3, s3
	s_cbranch_execz .LBB800_204
; %bb.203:
	s_waitcnt lgkmcnt(2)
	v_add_co_u32 v3, vcc_lo, v15, v33
	v_add_co_ci_u32_e64 v4, null, 0, v17, vcc_lo
.LBB800_204:
	s_or_b32 exec_lo, exec_lo, s3
	s_waitcnt lgkmcnt(2)
	v_lshlrev_b64 v[3:4], 2, v[3:4]
	v_add_co_u32 v3, vcc_lo, s16, v3
	v_add_co_ci_u32_e64 v4, null, s17, v4, vcc_lo
	s_waitcnt lgkmcnt(1)
	global_store_dword v[3:4], v2, off
.LBB800_205:
	s_or_b32 exec_lo, exec_lo, s2
	s_mov_b32 s2, exec_lo
                                        ; implicit-def: $vgpr13_vgpr14
	v_cmpx_gt_u32_e64 s15, v32
	s_cbranch_execz .LBB800_211
; %bb.206:
	s_mov_b32 s3, exec_lo
                                        ; implicit-def: $vgpr13_vgpr14
	v_cmpx_ge_u32_e64 v32, v16
	s_xor_b32 s3, exec_lo, s3
	s_cbranch_execz .LBB800_208
; %bb.207:
	v_xor_b32_e32 v0, 0xfffff3ff, v0
                                        ; implicit-def: $vgpr32
	s_waitcnt lgkmcnt(1)
	v_ashrrev_i32_e32 v1, 31, v0
	v_add_co_u32 v13, vcc_lo, v18, v0
	v_add_co_ci_u32_e64 v14, null, v19, v1, vcc_lo
.LBB800_208:
	s_andn2_saveexec_b32 s3, s3
; %bb.209:
	v_add_co_u32 v13, vcc_lo, v15, v32
	v_add_co_ci_u32_e64 v14, null, 0, v17, vcc_lo
; %bb.210:
	s_or_b32 exec_lo, exec_lo, s3
	s_or_b32 s1, s1, exec_lo
.LBB800_211:
	s_or_b32 exec_lo, exec_lo, s2
	s_and_saveexec_b32 s2, s1
	s_cbranch_execnz .LBB800_130
.LBB800_212:
	s_or_b32 exec_lo, exec_lo, s2
	s_and_b32 s0, s0, s14
	s_and_saveexec_b32 s1, s0
	s_cbranch_execz .LBB800_131
.LBB800_213:
	v_add_co_u32 v0, vcc_lo, v15, v16
	s_waitcnt lgkmcnt(1)
	v_mov_b32_e32 v2, 0
	v_add_co_ci_u32_e64 v1, null, 0, v17, vcc_lo
	global_store_dwordx2 v2, v[0:1], s[12:13]
	s_endpgm
	.section	.rodata,"a",@progbits
	.p2align	6, 0x0
	.amdhsa_kernel _ZN7rocprim17ROCPRIM_400000_NS6detail17trampoline_kernelINS0_13select_configILj256ELj13ELNS0_17block_load_methodE3ELS4_3ELS4_3ELNS0_20block_scan_algorithmE0ELj4294967295EEENS1_25partition_config_selectorILNS1_17partition_subalgoE3EjNS0_10empty_typeEbEEZZNS1_14partition_implILS8_3ELb0ES6_jNS0_17counting_iteratorIjlEEPS9_SE_NS0_5tupleIJPjSE_EEENSF_IJSE_SE_EEES9_SG_JZNS1_25segmented_radix_sort_implINS0_14default_configELb0EPKlPlSM_SN_N2at6native12_GLOBAL__N_18offset_tEEE10hipError_tPvRmT1_PNSt15iterator_traitsISV_E10value_typeET2_T3_PNSW_IS11_E10value_typeET4_jRbjT5_S17_jjP12ihipStream_tbEUljE_EEESS_ST_SU_S11_S15_S17_T6_T7_T9_mT8_S19_bDpT10_ENKUlT_T0_E_clISt17integral_constantIbLb0EES1L_IbLb1EEEEDaS1H_S1I_EUlS1H_E_NS1_11comp_targetILNS1_3genE8ELNS1_11target_archE1030ELNS1_3gpuE2ELNS1_3repE0EEENS1_30default_config_static_selectorELNS0_4arch9wavefront6targetE0EEEvSV_
		.amdhsa_group_segment_fixed_size 13320
		.amdhsa_private_segment_fixed_size 0
		.amdhsa_kernarg_size 152
		.amdhsa_user_sgpr_count 6
		.amdhsa_user_sgpr_private_segment_buffer 1
		.amdhsa_user_sgpr_dispatch_ptr 0
		.amdhsa_user_sgpr_queue_ptr 0
		.amdhsa_user_sgpr_kernarg_segment_ptr 1
		.amdhsa_user_sgpr_dispatch_id 0
		.amdhsa_user_sgpr_flat_scratch_init 0
		.amdhsa_user_sgpr_private_segment_size 0
		.amdhsa_wavefront_size32 1
		.amdhsa_uses_dynamic_stack 0
		.amdhsa_system_sgpr_private_segment_wavefront_offset 0
		.amdhsa_system_sgpr_workgroup_id_x 1
		.amdhsa_system_sgpr_workgroup_id_y 0
		.amdhsa_system_sgpr_workgroup_id_z 0
		.amdhsa_system_sgpr_workgroup_info 0
		.amdhsa_system_vgpr_workitem_id 0
		.amdhsa_next_free_vgpr 71
		.amdhsa_next_free_sgpr 26
		.amdhsa_reserve_vcc 1
		.amdhsa_reserve_flat_scratch 0
		.amdhsa_float_round_mode_32 0
		.amdhsa_float_round_mode_16_64 0
		.amdhsa_float_denorm_mode_32 3
		.amdhsa_float_denorm_mode_16_64 3
		.amdhsa_dx10_clamp 1
		.amdhsa_ieee_mode 1
		.amdhsa_fp16_overflow 0
		.amdhsa_workgroup_processor_mode 1
		.amdhsa_memory_ordered 1
		.amdhsa_forward_progress 1
		.amdhsa_shared_vgpr_count 0
		.amdhsa_exception_fp_ieee_invalid_op 0
		.amdhsa_exception_fp_denorm_src 0
		.amdhsa_exception_fp_ieee_div_zero 0
		.amdhsa_exception_fp_ieee_overflow 0
		.amdhsa_exception_fp_ieee_underflow 0
		.amdhsa_exception_fp_ieee_inexact 0
		.amdhsa_exception_int_div_zero 0
	.end_amdhsa_kernel
	.section	.text._ZN7rocprim17ROCPRIM_400000_NS6detail17trampoline_kernelINS0_13select_configILj256ELj13ELNS0_17block_load_methodE3ELS4_3ELS4_3ELNS0_20block_scan_algorithmE0ELj4294967295EEENS1_25partition_config_selectorILNS1_17partition_subalgoE3EjNS0_10empty_typeEbEEZZNS1_14partition_implILS8_3ELb0ES6_jNS0_17counting_iteratorIjlEEPS9_SE_NS0_5tupleIJPjSE_EEENSF_IJSE_SE_EEES9_SG_JZNS1_25segmented_radix_sort_implINS0_14default_configELb0EPKlPlSM_SN_N2at6native12_GLOBAL__N_18offset_tEEE10hipError_tPvRmT1_PNSt15iterator_traitsISV_E10value_typeET2_T3_PNSW_IS11_E10value_typeET4_jRbjT5_S17_jjP12ihipStream_tbEUljE_EEESS_ST_SU_S11_S15_S17_T6_T7_T9_mT8_S19_bDpT10_ENKUlT_T0_E_clISt17integral_constantIbLb0EES1L_IbLb1EEEEDaS1H_S1I_EUlS1H_E_NS1_11comp_targetILNS1_3genE8ELNS1_11target_archE1030ELNS1_3gpuE2ELNS1_3repE0EEENS1_30default_config_static_selectorELNS0_4arch9wavefront6targetE0EEEvSV_,"axG",@progbits,_ZN7rocprim17ROCPRIM_400000_NS6detail17trampoline_kernelINS0_13select_configILj256ELj13ELNS0_17block_load_methodE3ELS4_3ELS4_3ELNS0_20block_scan_algorithmE0ELj4294967295EEENS1_25partition_config_selectorILNS1_17partition_subalgoE3EjNS0_10empty_typeEbEEZZNS1_14partition_implILS8_3ELb0ES6_jNS0_17counting_iteratorIjlEEPS9_SE_NS0_5tupleIJPjSE_EEENSF_IJSE_SE_EEES9_SG_JZNS1_25segmented_radix_sort_implINS0_14default_configELb0EPKlPlSM_SN_N2at6native12_GLOBAL__N_18offset_tEEE10hipError_tPvRmT1_PNSt15iterator_traitsISV_E10value_typeET2_T3_PNSW_IS11_E10value_typeET4_jRbjT5_S17_jjP12ihipStream_tbEUljE_EEESS_ST_SU_S11_S15_S17_T6_T7_T9_mT8_S19_bDpT10_ENKUlT_T0_E_clISt17integral_constantIbLb0EES1L_IbLb1EEEEDaS1H_S1I_EUlS1H_E_NS1_11comp_targetILNS1_3genE8ELNS1_11target_archE1030ELNS1_3gpuE2ELNS1_3repE0EEENS1_30default_config_static_selectorELNS0_4arch9wavefront6targetE0EEEvSV_,comdat
.Lfunc_end800:
	.size	_ZN7rocprim17ROCPRIM_400000_NS6detail17trampoline_kernelINS0_13select_configILj256ELj13ELNS0_17block_load_methodE3ELS4_3ELS4_3ELNS0_20block_scan_algorithmE0ELj4294967295EEENS1_25partition_config_selectorILNS1_17partition_subalgoE3EjNS0_10empty_typeEbEEZZNS1_14partition_implILS8_3ELb0ES6_jNS0_17counting_iteratorIjlEEPS9_SE_NS0_5tupleIJPjSE_EEENSF_IJSE_SE_EEES9_SG_JZNS1_25segmented_radix_sort_implINS0_14default_configELb0EPKlPlSM_SN_N2at6native12_GLOBAL__N_18offset_tEEE10hipError_tPvRmT1_PNSt15iterator_traitsISV_E10value_typeET2_T3_PNSW_IS11_E10value_typeET4_jRbjT5_S17_jjP12ihipStream_tbEUljE_EEESS_ST_SU_S11_S15_S17_T6_T7_T9_mT8_S19_bDpT10_ENKUlT_T0_E_clISt17integral_constantIbLb0EES1L_IbLb1EEEEDaS1H_S1I_EUlS1H_E_NS1_11comp_targetILNS1_3genE8ELNS1_11target_archE1030ELNS1_3gpuE2ELNS1_3repE0EEENS1_30default_config_static_selectorELNS0_4arch9wavefront6targetE0EEEvSV_, .Lfunc_end800-_ZN7rocprim17ROCPRIM_400000_NS6detail17trampoline_kernelINS0_13select_configILj256ELj13ELNS0_17block_load_methodE3ELS4_3ELS4_3ELNS0_20block_scan_algorithmE0ELj4294967295EEENS1_25partition_config_selectorILNS1_17partition_subalgoE3EjNS0_10empty_typeEbEEZZNS1_14partition_implILS8_3ELb0ES6_jNS0_17counting_iteratorIjlEEPS9_SE_NS0_5tupleIJPjSE_EEENSF_IJSE_SE_EEES9_SG_JZNS1_25segmented_radix_sort_implINS0_14default_configELb0EPKlPlSM_SN_N2at6native12_GLOBAL__N_18offset_tEEE10hipError_tPvRmT1_PNSt15iterator_traitsISV_E10value_typeET2_T3_PNSW_IS11_E10value_typeET4_jRbjT5_S17_jjP12ihipStream_tbEUljE_EEESS_ST_SU_S11_S15_S17_T6_T7_T9_mT8_S19_bDpT10_ENKUlT_T0_E_clISt17integral_constantIbLb0EES1L_IbLb1EEEEDaS1H_S1I_EUlS1H_E_NS1_11comp_targetILNS1_3genE8ELNS1_11target_archE1030ELNS1_3gpuE2ELNS1_3repE0EEENS1_30default_config_static_selectorELNS0_4arch9wavefront6targetE0EEEvSV_
                                        ; -- End function
	.set _ZN7rocprim17ROCPRIM_400000_NS6detail17trampoline_kernelINS0_13select_configILj256ELj13ELNS0_17block_load_methodE3ELS4_3ELS4_3ELNS0_20block_scan_algorithmE0ELj4294967295EEENS1_25partition_config_selectorILNS1_17partition_subalgoE3EjNS0_10empty_typeEbEEZZNS1_14partition_implILS8_3ELb0ES6_jNS0_17counting_iteratorIjlEEPS9_SE_NS0_5tupleIJPjSE_EEENSF_IJSE_SE_EEES9_SG_JZNS1_25segmented_radix_sort_implINS0_14default_configELb0EPKlPlSM_SN_N2at6native12_GLOBAL__N_18offset_tEEE10hipError_tPvRmT1_PNSt15iterator_traitsISV_E10value_typeET2_T3_PNSW_IS11_E10value_typeET4_jRbjT5_S17_jjP12ihipStream_tbEUljE_EEESS_ST_SU_S11_S15_S17_T6_T7_T9_mT8_S19_bDpT10_ENKUlT_T0_E_clISt17integral_constantIbLb0EES1L_IbLb1EEEEDaS1H_S1I_EUlS1H_E_NS1_11comp_targetILNS1_3genE8ELNS1_11target_archE1030ELNS1_3gpuE2ELNS1_3repE0EEENS1_30default_config_static_selectorELNS0_4arch9wavefront6targetE0EEEvSV_.num_vgpr, 71
	.set _ZN7rocprim17ROCPRIM_400000_NS6detail17trampoline_kernelINS0_13select_configILj256ELj13ELNS0_17block_load_methodE3ELS4_3ELS4_3ELNS0_20block_scan_algorithmE0ELj4294967295EEENS1_25partition_config_selectorILNS1_17partition_subalgoE3EjNS0_10empty_typeEbEEZZNS1_14partition_implILS8_3ELb0ES6_jNS0_17counting_iteratorIjlEEPS9_SE_NS0_5tupleIJPjSE_EEENSF_IJSE_SE_EEES9_SG_JZNS1_25segmented_radix_sort_implINS0_14default_configELb0EPKlPlSM_SN_N2at6native12_GLOBAL__N_18offset_tEEE10hipError_tPvRmT1_PNSt15iterator_traitsISV_E10value_typeET2_T3_PNSW_IS11_E10value_typeET4_jRbjT5_S17_jjP12ihipStream_tbEUljE_EEESS_ST_SU_S11_S15_S17_T6_T7_T9_mT8_S19_bDpT10_ENKUlT_T0_E_clISt17integral_constantIbLb0EES1L_IbLb1EEEEDaS1H_S1I_EUlS1H_E_NS1_11comp_targetILNS1_3genE8ELNS1_11target_archE1030ELNS1_3gpuE2ELNS1_3repE0EEENS1_30default_config_static_selectorELNS0_4arch9wavefront6targetE0EEEvSV_.num_agpr, 0
	.set _ZN7rocprim17ROCPRIM_400000_NS6detail17trampoline_kernelINS0_13select_configILj256ELj13ELNS0_17block_load_methodE3ELS4_3ELS4_3ELNS0_20block_scan_algorithmE0ELj4294967295EEENS1_25partition_config_selectorILNS1_17partition_subalgoE3EjNS0_10empty_typeEbEEZZNS1_14partition_implILS8_3ELb0ES6_jNS0_17counting_iteratorIjlEEPS9_SE_NS0_5tupleIJPjSE_EEENSF_IJSE_SE_EEES9_SG_JZNS1_25segmented_radix_sort_implINS0_14default_configELb0EPKlPlSM_SN_N2at6native12_GLOBAL__N_18offset_tEEE10hipError_tPvRmT1_PNSt15iterator_traitsISV_E10value_typeET2_T3_PNSW_IS11_E10value_typeET4_jRbjT5_S17_jjP12ihipStream_tbEUljE_EEESS_ST_SU_S11_S15_S17_T6_T7_T9_mT8_S19_bDpT10_ENKUlT_T0_E_clISt17integral_constantIbLb0EES1L_IbLb1EEEEDaS1H_S1I_EUlS1H_E_NS1_11comp_targetILNS1_3genE8ELNS1_11target_archE1030ELNS1_3gpuE2ELNS1_3repE0EEENS1_30default_config_static_selectorELNS0_4arch9wavefront6targetE0EEEvSV_.numbered_sgpr, 26
	.set _ZN7rocprim17ROCPRIM_400000_NS6detail17trampoline_kernelINS0_13select_configILj256ELj13ELNS0_17block_load_methodE3ELS4_3ELS4_3ELNS0_20block_scan_algorithmE0ELj4294967295EEENS1_25partition_config_selectorILNS1_17partition_subalgoE3EjNS0_10empty_typeEbEEZZNS1_14partition_implILS8_3ELb0ES6_jNS0_17counting_iteratorIjlEEPS9_SE_NS0_5tupleIJPjSE_EEENSF_IJSE_SE_EEES9_SG_JZNS1_25segmented_radix_sort_implINS0_14default_configELb0EPKlPlSM_SN_N2at6native12_GLOBAL__N_18offset_tEEE10hipError_tPvRmT1_PNSt15iterator_traitsISV_E10value_typeET2_T3_PNSW_IS11_E10value_typeET4_jRbjT5_S17_jjP12ihipStream_tbEUljE_EEESS_ST_SU_S11_S15_S17_T6_T7_T9_mT8_S19_bDpT10_ENKUlT_T0_E_clISt17integral_constantIbLb0EES1L_IbLb1EEEEDaS1H_S1I_EUlS1H_E_NS1_11comp_targetILNS1_3genE8ELNS1_11target_archE1030ELNS1_3gpuE2ELNS1_3repE0EEENS1_30default_config_static_selectorELNS0_4arch9wavefront6targetE0EEEvSV_.num_named_barrier, 0
	.set _ZN7rocprim17ROCPRIM_400000_NS6detail17trampoline_kernelINS0_13select_configILj256ELj13ELNS0_17block_load_methodE3ELS4_3ELS4_3ELNS0_20block_scan_algorithmE0ELj4294967295EEENS1_25partition_config_selectorILNS1_17partition_subalgoE3EjNS0_10empty_typeEbEEZZNS1_14partition_implILS8_3ELb0ES6_jNS0_17counting_iteratorIjlEEPS9_SE_NS0_5tupleIJPjSE_EEENSF_IJSE_SE_EEES9_SG_JZNS1_25segmented_radix_sort_implINS0_14default_configELb0EPKlPlSM_SN_N2at6native12_GLOBAL__N_18offset_tEEE10hipError_tPvRmT1_PNSt15iterator_traitsISV_E10value_typeET2_T3_PNSW_IS11_E10value_typeET4_jRbjT5_S17_jjP12ihipStream_tbEUljE_EEESS_ST_SU_S11_S15_S17_T6_T7_T9_mT8_S19_bDpT10_ENKUlT_T0_E_clISt17integral_constantIbLb0EES1L_IbLb1EEEEDaS1H_S1I_EUlS1H_E_NS1_11comp_targetILNS1_3genE8ELNS1_11target_archE1030ELNS1_3gpuE2ELNS1_3repE0EEENS1_30default_config_static_selectorELNS0_4arch9wavefront6targetE0EEEvSV_.private_seg_size, 0
	.set _ZN7rocprim17ROCPRIM_400000_NS6detail17trampoline_kernelINS0_13select_configILj256ELj13ELNS0_17block_load_methodE3ELS4_3ELS4_3ELNS0_20block_scan_algorithmE0ELj4294967295EEENS1_25partition_config_selectorILNS1_17partition_subalgoE3EjNS0_10empty_typeEbEEZZNS1_14partition_implILS8_3ELb0ES6_jNS0_17counting_iteratorIjlEEPS9_SE_NS0_5tupleIJPjSE_EEENSF_IJSE_SE_EEES9_SG_JZNS1_25segmented_radix_sort_implINS0_14default_configELb0EPKlPlSM_SN_N2at6native12_GLOBAL__N_18offset_tEEE10hipError_tPvRmT1_PNSt15iterator_traitsISV_E10value_typeET2_T3_PNSW_IS11_E10value_typeET4_jRbjT5_S17_jjP12ihipStream_tbEUljE_EEESS_ST_SU_S11_S15_S17_T6_T7_T9_mT8_S19_bDpT10_ENKUlT_T0_E_clISt17integral_constantIbLb0EES1L_IbLb1EEEEDaS1H_S1I_EUlS1H_E_NS1_11comp_targetILNS1_3genE8ELNS1_11target_archE1030ELNS1_3gpuE2ELNS1_3repE0EEENS1_30default_config_static_selectorELNS0_4arch9wavefront6targetE0EEEvSV_.uses_vcc, 1
	.set _ZN7rocprim17ROCPRIM_400000_NS6detail17trampoline_kernelINS0_13select_configILj256ELj13ELNS0_17block_load_methodE3ELS4_3ELS4_3ELNS0_20block_scan_algorithmE0ELj4294967295EEENS1_25partition_config_selectorILNS1_17partition_subalgoE3EjNS0_10empty_typeEbEEZZNS1_14partition_implILS8_3ELb0ES6_jNS0_17counting_iteratorIjlEEPS9_SE_NS0_5tupleIJPjSE_EEENSF_IJSE_SE_EEES9_SG_JZNS1_25segmented_radix_sort_implINS0_14default_configELb0EPKlPlSM_SN_N2at6native12_GLOBAL__N_18offset_tEEE10hipError_tPvRmT1_PNSt15iterator_traitsISV_E10value_typeET2_T3_PNSW_IS11_E10value_typeET4_jRbjT5_S17_jjP12ihipStream_tbEUljE_EEESS_ST_SU_S11_S15_S17_T6_T7_T9_mT8_S19_bDpT10_ENKUlT_T0_E_clISt17integral_constantIbLb0EES1L_IbLb1EEEEDaS1H_S1I_EUlS1H_E_NS1_11comp_targetILNS1_3genE8ELNS1_11target_archE1030ELNS1_3gpuE2ELNS1_3repE0EEENS1_30default_config_static_selectorELNS0_4arch9wavefront6targetE0EEEvSV_.uses_flat_scratch, 0
	.set _ZN7rocprim17ROCPRIM_400000_NS6detail17trampoline_kernelINS0_13select_configILj256ELj13ELNS0_17block_load_methodE3ELS4_3ELS4_3ELNS0_20block_scan_algorithmE0ELj4294967295EEENS1_25partition_config_selectorILNS1_17partition_subalgoE3EjNS0_10empty_typeEbEEZZNS1_14partition_implILS8_3ELb0ES6_jNS0_17counting_iteratorIjlEEPS9_SE_NS0_5tupleIJPjSE_EEENSF_IJSE_SE_EEES9_SG_JZNS1_25segmented_radix_sort_implINS0_14default_configELb0EPKlPlSM_SN_N2at6native12_GLOBAL__N_18offset_tEEE10hipError_tPvRmT1_PNSt15iterator_traitsISV_E10value_typeET2_T3_PNSW_IS11_E10value_typeET4_jRbjT5_S17_jjP12ihipStream_tbEUljE_EEESS_ST_SU_S11_S15_S17_T6_T7_T9_mT8_S19_bDpT10_ENKUlT_T0_E_clISt17integral_constantIbLb0EES1L_IbLb1EEEEDaS1H_S1I_EUlS1H_E_NS1_11comp_targetILNS1_3genE8ELNS1_11target_archE1030ELNS1_3gpuE2ELNS1_3repE0EEENS1_30default_config_static_selectorELNS0_4arch9wavefront6targetE0EEEvSV_.has_dyn_sized_stack, 0
	.set _ZN7rocprim17ROCPRIM_400000_NS6detail17trampoline_kernelINS0_13select_configILj256ELj13ELNS0_17block_load_methodE3ELS4_3ELS4_3ELNS0_20block_scan_algorithmE0ELj4294967295EEENS1_25partition_config_selectorILNS1_17partition_subalgoE3EjNS0_10empty_typeEbEEZZNS1_14partition_implILS8_3ELb0ES6_jNS0_17counting_iteratorIjlEEPS9_SE_NS0_5tupleIJPjSE_EEENSF_IJSE_SE_EEES9_SG_JZNS1_25segmented_radix_sort_implINS0_14default_configELb0EPKlPlSM_SN_N2at6native12_GLOBAL__N_18offset_tEEE10hipError_tPvRmT1_PNSt15iterator_traitsISV_E10value_typeET2_T3_PNSW_IS11_E10value_typeET4_jRbjT5_S17_jjP12ihipStream_tbEUljE_EEESS_ST_SU_S11_S15_S17_T6_T7_T9_mT8_S19_bDpT10_ENKUlT_T0_E_clISt17integral_constantIbLb0EES1L_IbLb1EEEEDaS1H_S1I_EUlS1H_E_NS1_11comp_targetILNS1_3genE8ELNS1_11target_archE1030ELNS1_3gpuE2ELNS1_3repE0EEENS1_30default_config_static_selectorELNS0_4arch9wavefront6targetE0EEEvSV_.has_recursion, 0
	.set _ZN7rocprim17ROCPRIM_400000_NS6detail17trampoline_kernelINS0_13select_configILj256ELj13ELNS0_17block_load_methodE3ELS4_3ELS4_3ELNS0_20block_scan_algorithmE0ELj4294967295EEENS1_25partition_config_selectorILNS1_17partition_subalgoE3EjNS0_10empty_typeEbEEZZNS1_14partition_implILS8_3ELb0ES6_jNS0_17counting_iteratorIjlEEPS9_SE_NS0_5tupleIJPjSE_EEENSF_IJSE_SE_EEES9_SG_JZNS1_25segmented_radix_sort_implINS0_14default_configELb0EPKlPlSM_SN_N2at6native12_GLOBAL__N_18offset_tEEE10hipError_tPvRmT1_PNSt15iterator_traitsISV_E10value_typeET2_T3_PNSW_IS11_E10value_typeET4_jRbjT5_S17_jjP12ihipStream_tbEUljE_EEESS_ST_SU_S11_S15_S17_T6_T7_T9_mT8_S19_bDpT10_ENKUlT_T0_E_clISt17integral_constantIbLb0EES1L_IbLb1EEEEDaS1H_S1I_EUlS1H_E_NS1_11comp_targetILNS1_3genE8ELNS1_11target_archE1030ELNS1_3gpuE2ELNS1_3repE0EEENS1_30default_config_static_selectorELNS0_4arch9wavefront6targetE0EEEvSV_.has_indirect_call, 0
	.section	.AMDGPU.csdata,"",@progbits
; Kernel info:
; codeLenInByte = 8704
; TotalNumSgprs: 28
; NumVgprs: 71
; ScratchSize: 0
; MemoryBound: 0
; FloatMode: 240
; IeeeMode: 1
; LDSByteSize: 13320 bytes/workgroup (compile time only)
; SGPRBlocks: 0
; VGPRBlocks: 8
; NumSGPRsForWavesPerEU: 28
; NumVGPRsForWavesPerEU: 71
; Occupancy: 12
; WaveLimiterHint : 0
; COMPUTE_PGM_RSRC2:SCRATCH_EN: 0
; COMPUTE_PGM_RSRC2:USER_SGPR: 6
; COMPUTE_PGM_RSRC2:TRAP_HANDLER: 0
; COMPUTE_PGM_RSRC2:TGID_X_EN: 1
; COMPUTE_PGM_RSRC2:TGID_Y_EN: 0
; COMPUTE_PGM_RSRC2:TGID_Z_EN: 0
; COMPUTE_PGM_RSRC2:TIDIG_COMP_CNT: 0
	.section	.text._ZN7rocprim17ROCPRIM_400000_NS6detail17trampoline_kernelINS0_14default_configENS1_36segmented_radix_sort_config_selectorIllEEZNS1_25segmented_radix_sort_implIS3_Lb0EPKlPlS8_S9_N2at6native12_GLOBAL__N_18offset_tEEE10hipError_tPvRmT1_PNSt15iterator_traitsISH_E10value_typeET2_T3_PNSI_ISN_E10value_typeET4_jRbjT5_ST_jjP12ihipStream_tbEUlT_E_NS1_11comp_targetILNS1_3genE0ELNS1_11target_archE4294967295ELNS1_3gpuE0ELNS1_3repE0EEENS1_30default_config_static_selectorELNS0_4arch9wavefront6targetE0EEEvSH_,"axG",@progbits,_ZN7rocprim17ROCPRIM_400000_NS6detail17trampoline_kernelINS0_14default_configENS1_36segmented_radix_sort_config_selectorIllEEZNS1_25segmented_radix_sort_implIS3_Lb0EPKlPlS8_S9_N2at6native12_GLOBAL__N_18offset_tEEE10hipError_tPvRmT1_PNSt15iterator_traitsISH_E10value_typeET2_T3_PNSI_ISN_E10value_typeET4_jRbjT5_ST_jjP12ihipStream_tbEUlT_E_NS1_11comp_targetILNS1_3genE0ELNS1_11target_archE4294967295ELNS1_3gpuE0ELNS1_3repE0EEENS1_30default_config_static_selectorELNS0_4arch9wavefront6targetE0EEEvSH_,comdat
	.globl	_ZN7rocprim17ROCPRIM_400000_NS6detail17trampoline_kernelINS0_14default_configENS1_36segmented_radix_sort_config_selectorIllEEZNS1_25segmented_radix_sort_implIS3_Lb0EPKlPlS8_S9_N2at6native12_GLOBAL__N_18offset_tEEE10hipError_tPvRmT1_PNSt15iterator_traitsISH_E10value_typeET2_T3_PNSI_ISN_E10value_typeET4_jRbjT5_ST_jjP12ihipStream_tbEUlT_E_NS1_11comp_targetILNS1_3genE0ELNS1_11target_archE4294967295ELNS1_3gpuE0ELNS1_3repE0EEENS1_30default_config_static_selectorELNS0_4arch9wavefront6targetE0EEEvSH_ ; -- Begin function _ZN7rocprim17ROCPRIM_400000_NS6detail17trampoline_kernelINS0_14default_configENS1_36segmented_radix_sort_config_selectorIllEEZNS1_25segmented_radix_sort_implIS3_Lb0EPKlPlS8_S9_N2at6native12_GLOBAL__N_18offset_tEEE10hipError_tPvRmT1_PNSt15iterator_traitsISH_E10value_typeET2_T3_PNSI_ISN_E10value_typeET4_jRbjT5_ST_jjP12ihipStream_tbEUlT_E_NS1_11comp_targetILNS1_3genE0ELNS1_11target_archE4294967295ELNS1_3gpuE0ELNS1_3repE0EEENS1_30default_config_static_selectorELNS0_4arch9wavefront6targetE0EEEvSH_
	.p2align	8
	.type	_ZN7rocprim17ROCPRIM_400000_NS6detail17trampoline_kernelINS0_14default_configENS1_36segmented_radix_sort_config_selectorIllEEZNS1_25segmented_radix_sort_implIS3_Lb0EPKlPlS8_S9_N2at6native12_GLOBAL__N_18offset_tEEE10hipError_tPvRmT1_PNSt15iterator_traitsISH_E10value_typeET2_T3_PNSI_ISN_E10value_typeET4_jRbjT5_ST_jjP12ihipStream_tbEUlT_E_NS1_11comp_targetILNS1_3genE0ELNS1_11target_archE4294967295ELNS1_3gpuE0ELNS1_3repE0EEENS1_30default_config_static_selectorELNS0_4arch9wavefront6targetE0EEEvSH_,@function
_ZN7rocprim17ROCPRIM_400000_NS6detail17trampoline_kernelINS0_14default_configENS1_36segmented_radix_sort_config_selectorIllEEZNS1_25segmented_radix_sort_implIS3_Lb0EPKlPlS8_S9_N2at6native12_GLOBAL__N_18offset_tEEE10hipError_tPvRmT1_PNSt15iterator_traitsISH_E10value_typeET2_T3_PNSI_ISN_E10value_typeET4_jRbjT5_ST_jjP12ihipStream_tbEUlT_E_NS1_11comp_targetILNS1_3genE0ELNS1_11target_archE4294967295ELNS1_3gpuE0ELNS1_3repE0EEENS1_30default_config_static_selectorELNS0_4arch9wavefront6targetE0EEEvSH_: ; @_ZN7rocprim17ROCPRIM_400000_NS6detail17trampoline_kernelINS0_14default_configENS1_36segmented_radix_sort_config_selectorIllEEZNS1_25segmented_radix_sort_implIS3_Lb0EPKlPlS8_S9_N2at6native12_GLOBAL__N_18offset_tEEE10hipError_tPvRmT1_PNSt15iterator_traitsISH_E10value_typeET2_T3_PNSI_ISN_E10value_typeET4_jRbjT5_ST_jjP12ihipStream_tbEUlT_E_NS1_11comp_targetILNS1_3genE0ELNS1_11target_archE4294967295ELNS1_3gpuE0ELNS1_3repE0EEENS1_30default_config_static_selectorELNS0_4arch9wavefront6targetE0EEEvSH_
; %bb.0:
	.section	.rodata,"a",@progbits
	.p2align	6, 0x0
	.amdhsa_kernel _ZN7rocprim17ROCPRIM_400000_NS6detail17trampoline_kernelINS0_14default_configENS1_36segmented_radix_sort_config_selectorIllEEZNS1_25segmented_radix_sort_implIS3_Lb0EPKlPlS8_S9_N2at6native12_GLOBAL__N_18offset_tEEE10hipError_tPvRmT1_PNSt15iterator_traitsISH_E10value_typeET2_T3_PNSI_ISN_E10value_typeET4_jRbjT5_ST_jjP12ihipStream_tbEUlT_E_NS1_11comp_targetILNS1_3genE0ELNS1_11target_archE4294967295ELNS1_3gpuE0ELNS1_3repE0EEENS1_30default_config_static_selectorELNS0_4arch9wavefront6targetE0EEEvSH_
		.amdhsa_group_segment_fixed_size 0
		.amdhsa_private_segment_fixed_size 0
		.amdhsa_kernarg_size 96
		.amdhsa_user_sgpr_count 6
		.amdhsa_user_sgpr_private_segment_buffer 1
		.amdhsa_user_sgpr_dispatch_ptr 0
		.amdhsa_user_sgpr_queue_ptr 0
		.amdhsa_user_sgpr_kernarg_segment_ptr 1
		.amdhsa_user_sgpr_dispatch_id 0
		.amdhsa_user_sgpr_flat_scratch_init 0
		.amdhsa_user_sgpr_private_segment_size 0
		.amdhsa_wavefront_size32 1
		.amdhsa_uses_dynamic_stack 0
		.amdhsa_system_sgpr_private_segment_wavefront_offset 0
		.amdhsa_system_sgpr_workgroup_id_x 1
		.amdhsa_system_sgpr_workgroup_id_y 0
		.amdhsa_system_sgpr_workgroup_id_z 0
		.amdhsa_system_sgpr_workgroup_info 0
		.amdhsa_system_vgpr_workitem_id 0
		.amdhsa_next_free_vgpr 1
		.amdhsa_next_free_sgpr 1
		.amdhsa_reserve_vcc 0
		.amdhsa_reserve_flat_scratch 0
		.amdhsa_float_round_mode_32 0
		.amdhsa_float_round_mode_16_64 0
		.amdhsa_float_denorm_mode_32 3
		.amdhsa_float_denorm_mode_16_64 3
		.amdhsa_dx10_clamp 1
		.amdhsa_ieee_mode 1
		.amdhsa_fp16_overflow 0
		.amdhsa_workgroup_processor_mode 1
		.amdhsa_memory_ordered 1
		.amdhsa_forward_progress 1
		.amdhsa_shared_vgpr_count 0
		.amdhsa_exception_fp_ieee_invalid_op 0
		.amdhsa_exception_fp_denorm_src 0
		.amdhsa_exception_fp_ieee_div_zero 0
		.amdhsa_exception_fp_ieee_overflow 0
		.amdhsa_exception_fp_ieee_underflow 0
		.amdhsa_exception_fp_ieee_inexact 0
		.amdhsa_exception_int_div_zero 0
	.end_amdhsa_kernel
	.section	.text._ZN7rocprim17ROCPRIM_400000_NS6detail17trampoline_kernelINS0_14default_configENS1_36segmented_radix_sort_config_selectorIllEEZNS1_25segmented_radix_sort_implIS3_Lb0EPKlPlS8_S9_N2at6native12_GLOBAL__N_18offset_tEEE10hipError_tPvRmT1_PNSt15iterator_traitsISH_E10value_typeET2_T3_PNSI_ISN_E10value_typeET4_jRbjT5_ST_jjP12ihipStream_tbEUlT_E_NS1_11comp_targetILNS1_3genE0ELNS1_11target_archE4294967295ELNS1_3gpuE0ELNS1_3repE0EEENS1_30default_config_static_selectorELNS0_4arch9wavefront6targetE0EEEvSH_,"axG",@progbits,_ZN7rocprim17ROCPRIM_400000_NS6detail17trampoline_kernelINS0_14default_configENS1_36segmented_radix_sort_config_selectorIllEEZNS1_25segmented_radix_sort_implIS3_Lb0EPKlPlS8_S9_N2at6native12_GLOBAL__N_18offset_tEEE10hipError_tPvRmT1_PNSt15iterator_traitsISH_E10value_typeET2_T3_PNSI_ISN_E10value_typeET4_jRbjT5_ST_jjP12ihipStream_tbEUlT_E_NS1_11comp_targetILNS1_3genE0ELNS1_11target_archE4294967295ELNS1_3gpuE0ELNS1_3repE0EEENS1_30default_config_static_selectorELNS0_4arch9wavefront6targetE0EEEvSH_,comdat
.Lfunc_end801:
	.size	_ZN7rocprim17ROCPRIM_400000_NS6detail17trampoline_kernelINS0_14default_configENS1_36segmented_radix_sort_config_selectorIllEEZNS1_25segmented_radix_sort_implIS3_Lb0EPKlPlS8_S9_N2at6native12_GLOBAL__N_18offset_tEEE10hipError_tPvRmT1_PNSt15iterator_traitsISH_E10value_typeET2_T3_PNSI_ISN_E10value_typeET4_jRbjT5_ST_jjP12ihipStream_tbEUlT_E_NS1_11comp_targetILNS1_3genE0ELNS1_11target_archE4294967295ELNS1_3gpuE0ELNS1_3repE0EEENS1_30default_config_static_selectorELNS0_4arch9wavefront6targetE0EEEvSH_, .Lfunc_end801-_ZN7rocprim17ROCPRIM_400000_NS6detail17trampoline_kernelINS0_14default_configENS1_36segmented_radix_sort_config_selectorIllEEZNS1_25segmented_radix_sort_implIS3_Lb0EPKlPlS8_S9_N2at6native12_GLOBAL__N_18offset_tEEE10hipError_tPvRmT1_PNSt15iterator_traitsISH_E10value_typeET2_T3_PNSI_ISN_E10value_typeET4_jRbjT5_ST_jjP12ihipStream_tbEUlT_E_NS1_11comp_targetILNS1_3genE0ELNS1_11target_archE4294967295ELNS1_3gpuE0ELNS1_3repE0EEENS1_30default_config_static_selectorELNS0_4arch9wavefront6targetE0EEEvSH_
                                        ; -- End function
	.set _ZN7rocprim17ROCPRIM_400000_NS6detail17trampoline_kernelINS0_14default_configENS1_36segmented_radix_sort_config_selectorIllEEZNS1_25segmented_radix_sort_implIS3_Lb0EPKlPlS8_S9_N2at6native12_GLOBAL__N_18offset_tEEE10hipError_tPvRmT1_PNSt15iterator_traitsISH_E10value_typeET2_T3_PNSI_ISN_E10value_typeET4_jRbjT5_ST_jjP12ihipStream_tbEUlT_E_NS1_11comp_targetILNS1_3genE0ELNS1_11target_archE4294967295ELNS1_3gpuE0ELNS1_3repE0EEENS1_30default_config_static_selectorELNS0_4arch9wavefront6targetE0EEEvSH_.num_vgpr, 0
	.set _ZN7rocprim17ROCPRIM_400000_NS6detail17trampoline_kernelINS0_14default_configENS1_36segmented_radix_sort_config_selectorIllEEZNS1_25segmented_radix_sort_implIS3_Lb0EPKlPlS8_S9_N2at6native12_GLOBAL__N_18offset_tEEE10hipError_tPvRmT1_PNSt15iterator_traitsISH_E10value_typeET2_T3_PNSI_ISN_E10value_typeET4_jRbjT5_ST_jjP12ihipStream_tbEUlT_E_NS1_11comp_targetILNS1_3genE0ELNS1_11target_archE4294967295ELNS1_3gpuE0ELNS1_3repE0EEENS1_30default_config_static_selectorELNS0_4arch9wavefront6targetE0EEEvSH_.num_agpr, 0
	.set _ZN7rocprim17ROCPRIM_400000_NS6detail17trampoline_kernelINS0_14default_configENS1_36segmented_radix_sort_config_selectorIllEEZNS1_25segmented_radix_sort_implIS3_Lb0EPKlPlS8_S9_N2at6native12_GLOBAL__N_18offset_tEEE10hipError_tPvRmT1_PNSt15iterator_traitsISH_E10value_typeET2_T3_PNSI_ISN_E10value_typeET4_jRbjT5_ST_jjP12ihipStream_tbEUlT_E_NS1_11comp_targetILNS1_3genE0ELNS1_11target_archE4294967295ELNS1_3gpuE0ELNS1_3repE0EEENS1_30default_config_static_selectorELNS0_4arch9wavefront6targetE0EEEvSH_.numbered_sgpr, 0
	.set _ZN7rocprim17ROCPRIM_400000_NS6detail17trampoline_kernelINS0_14default_configENS1_36segmented_radix_sort_config_selectorIllEEZNS1_25segmented_radix_sort_implIS3_Lb0EPKlPlS8_S9_N2at6native12_GLOBAL__N_18offset_tEEE10hipError_tPvRmT1_PNSt15iterator_traitsISH_E10value_typeET2_T3_PNSI_ISN_E10value_typeET4_jRbjT5_ST_jjP12ihipStream_tbEUlT_E_NS1_11comp_targetILNS1_3genE0ELNS1_11target_archE4294967295ELNS1_3gpuE0ELNS1_3repE0EEENS1_30default_config_static_selectorELNS0_4arch9wavefront6targetE0EEEvSH_.num_named_barrier, 0
	.set _ZN7rocprim17ROCPRIM_400000_NS6detail17trampoline_kernelINS0_14default_configENS1_36segmented_radix_sort_config_selectorIllEEZNS1_25segmented_radix_sort_implIS3_Lb0EPKlPlS8_S9_N2at6native12_GLOBAL__N_18offset_tEEE10hipError_tPvRmT1_PNSt15iterator_traitsISH_E10value_typeET2_T3_PNSI_ISN_E10value_typeET4_jRbjT5_ST_jjP12ihipStream_tbEUlT_E_NS1_11comp_targetILNS1_3genE0ELNS1_11target_archE4294967295ELNS1_3gpuE0ELNS1_3repE0EEENS1_30default_config_static_selectorELNS0_4arch9wavefront6targetE0EEEvSH_.private_seg_size, 0
	.set _ZN7rocprim17ROCPRIM_400000_NS6detail17trampoline_kernelINS0_14default_configENS1_36segmented_radix_sort_config_selectorIllEEZNS1_25segmented_radix_sort_implIS3_Lb0EPKlPlS8_S9_N2at6native12_GLOBAL__N_18offset_tEEE10hipError_tPvRmT1_PNSt15iterator_traitsISH_E10value_typeET2_T3_PNSI_ISN_E10value_typeET4_jRbjT5_ST_jjP12ihipStream_tbEUlT_E_NS1_11comp_targetILNS1_3genE0ELNS1_11target_archE4294967295ELNS1_3gpuE0ELNS1_3repE0EEENS1_30default_config_static_selectorELNS0_4arch9wavefront6targetE0EEEvSH_.uses_vcc, 0
	.set _ZN7rocprim17ROCPRIM_400000_NS6detail17trampoline_kernelINS0_14default_configENS1_36segmented_radix_sort_config_selectorIllEEZNS1_25segmented_radix_sort_implIS3_Lb0EPKlPlS8_S9_N2at6native12_GLOBAL__N_18offset_tEEE10hipError_tPvRmT1_PNSt15iterator_traitsISH_E10value_typeET2_T3_PNSI_ISN_E10value_typeET4_jRbjT5_ST_jjP12ihipStream_tbEUlT_E_NS1_11comp_targetILNS1_3genE0ELNS1_11target_archE4294967295ELNS1_3gpuE0ELNS1_3repE0EEENS1_30default_config_static_selectorELNS0_4arch9wavefront6targetE0EEEvSH_.uses_flat_scratch, 0
	.set _ZN7rocprim17ROCPRIM_400000_NS6detail17trampoline_kernelINS0_14default_configENS1_36segmented_radix_sort_config_selectorIllEEZNS1_25segmented_radix_sort_implIS3_Lb0EPKlPlS8_S9_N2at6native12_GLOBAL__N_18offset_tEEE10hipError_tPvRmT1_PNSt15iterator_traitsISH_E10value_typeET2_T3_PNSI_ISN_E10value_typeET4_jRbjT5_ST_jjP12ihipStream_tbEUlT_E_NS1_11comp_targetILNS1_3genE0ELNS1_11target_archE4294967295ELNS1_3gpuE0ELNS1_3repE0EEENS1_30default_config_static_selectorELNS0_4arch9wavefront6targetE0EEEvSH_.has_dyn_sized_stack, 0
	.set _ZN7rocprim17ROCPRIM_400000_NS6detail17trampoline_kernelINS0_14default_configENS1_36segmented_radix_sort_config_selectorIllEEZNS1_25segmented_radix_sort_implIS3_Lb0EPKlPlS8_S9_N2at6native12_GLOBAL__N_18offset_tEEE10hipError_tPvRmT1_PNSt15iterator_traitsISH_E10value_typeET2_T3_PNSI_ISN_E10value_typeET4_jRbjT5_ST_jjP12ihipStream_tbEUlT_E_NS1_11comp_targetILNS1_3genE0ELNS1_11target_archE4294967295ELNS1_3gpuE0ELNS1_3repE0EEENS1_30default_config_static_selectorELNS0_4arch9wavefront6targetE0EEEvSH_.has_recursion, 0
	.set _ZN7rocprim17ROCPRIM_400000_NS6detail17trampoline_kernelINS0_14default_configENS1_36segmented_radix_sort_config_selectorIllEEZNS1_25segmented_radix_sort_implIS3_Lb0EPKlPlS8_S9_N2at6native12_GLOBAL__N_18offset_tEEE10hipError_tPvRmT1_PNSt15iterator_traitsISH_E10value_typeET2_T3_PNSI_ISN_E10value_typeET4_jRbjT5_ST_jjP12ihipStream_tbEUlT_E_NS1_11comp_targetILNS1_3genE0ELNS1_11target_archE4294967295ELNS1_3gpuE0ELNS1_3repE0EEENS1_30default_config_static_selectorELNS0_4arch9wavefront6targetE0EEEvSH_.has_indirect_call, 0
	.section	.AMDGPU.csdata,"",@progbits
; Kernel info:
; codeLenInByte = 0
; TotalNumSgprs: 0
; NumVgprs: 0
; ScratchSize: 0
; MemoryBound: 0
; FloatMode: 240
; IeeeMode: 1
; LDSByteSize: 0 bytes/workgroup (compile time only)
; SGPRBlocks: 0
; VGPRBlocks: 0
; NumSGPRsForWavesPerEU: 1
; NumVGPRsForWavesPerEU: 1
; Occupancy: 16
; WaveLimiterHint : 0
; COMPUTE_PGM_RSRC2:SCRATCH_EN: 0
; COMPUTE_PGM_RSRC2:USER_SGPR: 6
; COMPUTE_PGM_RSRC2:TRAP_HANDLER: 0
; COMPUTE_PGM_RSRC2:TGID_X_EN: 1
; COMPUTE_PGM_RSRC2:TGID_Y_EN: 0
; COMPUTE_PGM_RSRC2:TGID_Z_EN: 0
; COMPUTE_PGM_RSRC2:TIDIG_COMP_CNT: 0
	.section	.text._ZN7rocprim17ROCPRIM_400000_NS6detail17trampoline_kernelINS0_14default_configENS1_36segmented_radix_sort_config_selectorIllEEZNS1_25segmented_radix_sort_implIS3_Lb0EPKlPlS8_S9_N2at6native12_GLOBAL__N_18offset_tEEE10hipError_tPvRmT1_PNSt15iterator_traitsISH_E10value_typeET2_T3_PNSI_ISN_E10value_typeET4_jRbjT5_ST_jjP12ihipStream_tbEUlT_E_NS1_11comp_targetILNS1_3genE5ELNS1_11target_archE942ELNS1_3gpuE9ELNS1_3repE0EEENS1_30default_config_static_selectorELNS0_4arch9wavefront6targetE0EEEvSH_,"axG",@progbits,_ZN7rocprim17ROCPRIM_400000_NS6detail17trampoline_kernelINS0_14default_configENS1_36segmented_radix_sort_config_selectorIllEEZNS1_25segmented_radix_sort_implIS3_Lb0EPKlPlS8_S9_N2at6native12_GLOBAL__N_18offset_tEEE10hipError_tPvRmT1_PNSt15iterator_traitsISH_E10value_typeET2_T3_PNSI_ISN_E10value_typeET4_jRbjT5_ST_jjP12ihipStream_tbEUlT_E_NS1_11comp_targetILNS1_3genE5ELNS1_11target_archE942ELNS1_3gpuE9ELNS1_3repE0EEENS1_30default_config_static_selectorELNS0_4arch9wavefront6targetE0EEEvSH_,comdat
	.globl	_ZN7rocprim17ROCPRIM_400000_NS6detail17trampoline_kernelINS0_14default_configENS1_36segmented_radix_sort_config_selectorIllEEZNS1_25segmented_radix_sort_implIS3_Lb0EPKlPlS8_S9_N2at6native12_GLOBAL__N_18offset_tEEE10hipError_tPvRmT1_PNSt15iterator_traitsISH_E10value_typeET2_T3_PNSI_ISN_E10value_typeET4_jRbjT5_ST_jjP12ihipStream_tbEUlT_E_NS1_11comp_targetILNS1_3genE5ELNS1_11target_archE942ELNS1_3gpuE9ELNS1_3repE0EEENS1_30default_config_static_selectorELNS0_4arch9wavefront6targetE0EEEvSH_ ; -- Begin function _ZN7rocprim17ROCPRIM_400000_NS6detail17trampoline_kernelINS0_14default_configENS1_36segmented_radix_sort_config_selectorIllEEZNS1_25segmented_radix_sort_implIS3_Lb0EPKlPlS8_S9_N2at6native12_GLOBAL__N_18offset_tEEE10hipError_tPvRmT1_PNSt15iterator_traitsISH_E10value_typeET2_T3_PNSI_ISN_E10value_typeET4_jRbjT5_ST_jjP12ihipStream_tbEUlT_E_NS1_11comp_targetILNS1_3genE5ELNS1_11target_archE942ELNS1_3gpuE9ELNS1_3repE0EEENS1_30default_config_static_selectorELNS0_4arch9wavefront6targetE0EEEvSH_
	.p2align	8
	.type	_ZN7rocprim17ROCPRIM_400000_NS6detail17trampoline_kernelINS0_14default_configENS1_36segmented_radix_sort_config_selectorIllEEZNS1_25segmented_radix_sort_implIS3_Lb0EPKlPlS8_S9_N2at6native12_GLOBAL__N_18offset_tEEE10hipError_tPvRmT1_PNSt15iterator_traitsISH_E10value_typeET2_T3_PNSI_ISN_E10value_typeET4_jRbjT5_ST_jjP12ihipStream_tbEUlT_E_NS1_11comp_targetILNS1_3genE5ELNS1_11target_archE942ELNS1_3gpuE9ELNS1_3repE0EEENS1_30default_config_static_selectorELNS0_4arch9wavefront6targetE0EEEvSH_,@function
_ZN7rocprim17ROCPRIM_400000_NS6detail17trampoline_kernelINS0_14default_configENS1_36segmented_radix_sort_config_selectorIllEEZNS1_25segmented_radix_sort_implIS3_Lb0EPKlPlS8_S9_N2at6native12_GLOBAL__N_18offset_tEEE10hipError_tPvRmT1_PNSt15iterator_traitsISH_E10value_typeET2_T3_PNSI_ISN_E10value_typeET4_jRbjT5_ST_jjP12ihipStream_tbEUlT_E_NS1_11comp_targetILNS1_3genE5ELNS1_11target_archE942ELNS1_3gpuE9ELNS1_3repE0EEENS1_30default_config_static_selectorELNS0_4arch9wavefront6targetE0EEEvSH_: ; @_ZN7rocprim17ROCPRIM_400000_NS6detail17trampoline_kernelINS0_14default_configENS1_36segmented_radix_sort_config_selectorIllEEZNS1_25segmented_radix_sort_implIS3_Lb0EPKlPlS8_S9_N2at6native12_GLOBAL__N_18offset_tEEE10hipError_tPvRmT1_PNSt15iterator_traitsISH_E10value_typeET2_T3_PNSI_ISN_E10value_typeET4_jRbjT5_ST_jjP12ihipStream_tbEUlT_E_NS1_11comp_targetILNS1_3genE5ELNS1_11target_archE942ELNS1_3gpuE9ELNS1_3repE0EEENS1_30default_config_static_selectorELNS0_4arch9wavefront6targetE0EEEvSH_
; %bb.0:
	.section	.rodata,"a",@progbits
	.p2align	6, 0x0
	.amdhsa_kernel _ZN7rocprim17ROCPRIM_400000_NS6detail17trampoline_kernelINS0_14default_configENS1_36segmented_radix_sort_config_selectorIllEEZNS1_25segmented_radix_sort_implIS3_Lb0EPKlPlS8_S9_N2at6native12_GLOBAL__N_18offset_tEEE10hipError_tPvRmT1_PNSt15iterator_traitsISH_E10value_typeET2_T3_PNSI_ISN_E10value_typeET4_jRbjT5_ST_jjP12ihipStream_tbEUlT_E_NS1_11comp_targetILNS1_3genE5ELNS1_11target_archE942ELNS1_3gpuE9ELNS1_3repE0EEENS1_30default_config_static_selectorELNS0_4arch9wavefront6targetE0EEEvSH_
		.amdhsa_group_segment_fixed_size 0
		.amdhsa_private_segment_fixed_size 0
		.amdhsa_kernarg_size 96
		.amdhsa_user_sgpr_count 6
		.amdhsa_user_sgpr_private_segment_buffer 1
		.amdhsa_user_sgpr_dispatch_ptr 0
		.amdhsa_user_sgpr_queue_ptr 0
		.amdhsa_user_sgpr_kernarg_segment_ptr 1
		.amdhsa_user_sgpr_dispatch_id 0
		.amdhsa_user_sgpr_flat_scratch_init 0
		.amdhsa_user_sgpr_private_segment_size 0
		.amdhsa_wavefront_size32 1
		.amdhsa_uses_dynamic_stack 0
		.amdhsa_system_sgpr_private_segment_wavefront_offset 0
		.amdhsa_system_sgpr_workgroup_id_x 1
		.amdhsa_system_sgpr_workgroup_id_y 0
		.amdhsa_system_sgpr_workgroup_id_z 0
		.amdhsa_system_sgpr_workgroup_info 0
		.amdhsa_system_vgpr_workitem_id 0
		.amdhsa_next_free_vgpr 1
		.amdhsa_next_free_sgpr 1
		.amdhsa_reserve_vcc 0
		.amdhsa_reserve_flat_scratch 0
		.amdhsa_float_round_mode_32 0
		.amdhsa_float_round_mode_16_64 0
		.amdhsa_float_denorm_mode_32 3
		.amdhsa_float_denorm_mode_16_64 3
		.amdhsa_dx10_clamp 1
		.amdhsa_ieee_mode 1
		.amdhsa_fp16_overflow 0
		.amdhsa_workgroup_processor_mode 1
		.amdhsa_memory_ordered 1
		.amdhsa_forward_progress 1
		.amdhsa_shared_vgpr_count 0
		.amdhsa_exception_fp_ieee_invalid_op 0
		.amdhsa_exception_fp_denorm_src 0
		.amdhsa_exception_fp_ieee_div_zero 0
		.amdhsa_exception_fp_ieee_overflow 0
		.amdhsa_exception_fp_ieee_underflow 0
		.amdhsa_exception_fp_ieee_inexact 0
		.amdhsa_exception_int_div_zero 0
	.end_amdhsa_kernel
	.section	.text._ZN7rocprim17ROCPRIM_400000_NS6detail17trampoline_kernelINS0_14default_configENS1_36segmented_radix_sort_config_selectorIllEEZNS1_25segmented_radix_sort_implIS3_Lb0EPKlPlS8_S9_N2at6native12_GLOBAL__N_18offset_tEEE10hipError_tPvRmT1_PNSt15iterator_traitsISH_E10value_typeET2_T3_PNSI_ISN_E10value_typeET4_jRbjT5_ST_jjP12ihipStream_tbEUlT_E_NS1_11comp_targetILNS1_3genE5ELNS1_11target_archE942ELNS1_3gpuE9ELNS1_3repE0EEENS1_30default_config_static_selectorELNS0_4arch9wavefront6targetE0EEEvSH_,"axG",@progbits,_ZN7rocprim17ROCPRIM_400000_NS6detail17trampoline_kernelINS0_14default_configENS1_36segmented_radix_sort_config_selectorIllEEZNS1_25segmented_radix_sort_implIS3_Lb0EPKlPlS8_S9_N2at6native12_GLOBAL__N_18offset_tEEE10hipError_tPvRmT1_PNSt15iterator_traitsISH_E10value_typeET2_T3_PNSI_ISN_E10value_typeET4_jRbjT5_ST_jjP12ihipStream_tbEUlT_E_NS1_11comp_targetILNS1_3genE5ELNS1_11target_archE942ELNS1_3gpuE9ELNS1_3repE0EEENS1_30default_config_static_selectorELNS0_4arch9wavefront6targetE0EEEvSH_,comdat
.Lfunc_end802:
	.size	_ZN7rocprim17ROCPRIM_400000_NS6detail17trampoline_kernelINS0_14default_configENS1_36segmented_radix_sort_config_selectorIllEEZNS1_25segmented_radix_sort_implIS3_Lb0EPKlPlS8_S9_N2at6native12_GLOBAL__N_18offset_tEEE10hipError_tPvRmT1_PNSt15iterator_traitsISH_E10value_typeET2_T3_PNSI_ISN_E10value_typeET4_jRbjT5_ST_jjP12ihipStream_tbEUlT_E_NS1_11comp_targetILNS1_3genE5ELNS1_11target_archE942ELNS1_3gpuE9ELNS1_3repE0EEENS1_30default_config_static_selectorELNS0_4arch9wavefront6targetE0EEEvSH_, .Lfunc_end802-_ZN7rocprim17ROCPRIM_400000_NS6detail17trampoline_kernelINS0_14default_configENS1_36segmented_radix_sort_config_selectorIllEEZNS1_25segmented_radix_sort_implIS3_Lb0EPKlPlS8_S9_N2at6native12_GLOBAL__N_18offset_tEEE10hipError_tPvRmT1_PNSt15iterator_traitsISH_E10value_typeET2_T3_PNSI_ISN_E10value_typeET4_jRbjT5_ST_jjP12ihipStream_tbEUlT_E_NS1_11comp_targetILNS1_3genE5ELNS1_11target_archE942ELNS1_3gpuE9ELNS1_3repE0EEENS1_30default_config_static_selectorELNS0_4arch9wavefront6targetE0EEEvSH_
                                        ; -- End function
	.set _ZN7rocprim17ROCPRIM_400000_NS6detail17trampoline_kernelINS0_14default_configENS1_36segmented_radix_sort_config_selectorIllEEZNS1_25segmented_radix_sort_implIS3_Lb0EPKlPlS8_S9_N2at6native12_GLOBAL__N_18offset_tEEE10hipError_tPvRmT1_PNSt15iterator_traitsISH_E10value_typeET2_T3_PNSI_ISN_E10value_typeET4_jRbjT5_ST_jjP12ihipStream_tbEUlT_E_NS1_11comp_targetILNS1_3genE5ELNS1_11target_archE942ELNS1_3gpuE9ELNS1_3repE0EEENS1_30default_config_static_selectorELNS0_4arch9wavefront6targetE0EEEvSH_.num_vgpr, 0
	.set _ZN7rocprim17ROCPRIM_400000_NS6detail17trampoline_kernelINS0_14default_configENS1_36segmented_radix_sort_config_selectorIllEEZNS1_25segmented_radix_sort_implIS3_Lb0EPKlPlS8_S9_N2at6native12_GLOBAL__N_18offset_tEEE10hipError_tPvRmT1_PNSt15iterator_traitsISH_E10value_typeET2_T3_PNSI_ISN_E10value_typeET4_jRbjT5_ST_jjP12ihipStream_tbEUlT_E_NS1_11comp_targetILNS1_3genE5ELNS1_11target_archE942ELNS1_3gpuE9ELNS1_3repE0EEENS1_30default_config_static_selectorELNS0_4arch9wavefront6targetE0EEEvSH_.num_agpr, 0
	.set _ZN7rocprim17ROCPRIM_400000_NS6detail17trampoline_kernelINS0_14default_configENS1_36segmented_radix_sort_config_selectorIllEEZNS1_25segmented_radix_sort_implIS3_Lb0EPKlPlS8_S9_N2at6native12_GLOBAL__N_18offset_tEEE10hipError_tPvRmT1_PNSt15iterator_traitsISH_E10value_typeET2_T3_PNSI_ISN_E10value_typeET4_jRbjT5_ST_jjP12ihipStream_tbEUlT_E_NS1_11comp_targetILNS1_3genE5ELNS1_11target_archE942ELNS1_3gpuE9ELNS1_3repE0EEENS1_30default_config_static_selectorELNS0_4arch9wavefront6targetE0EEEvSH_.numbered_sgpr, 0
	.set _ZN7rocprim17ROCPRIM_400000_NS6detail17trampoline_kernelINS0_14default_configENS1_36segmented_radix_sort_config_selectorIllEEZNS1_25segmented_radix_sort_implIS3_Lb0EPKlPlS8_S9_N2at6native12_GLOBAL__N_18offset_tEEE10hipError_tPvRmT1_PNSt15iterator_traitsISH_E10value_typeET2_T3_PNSI_ISN_E10value_typeET4_jRbjT5_ST_jjP12ihipStream_tbEUlT_E_NS1_11comp_targetILNS1_3genE5ELNS1_11target_archE942ELNS1_3gpuE9ELNS1_3repE0EEENS1_30default_config_static_selectorELNS0_4arch9wavefront6targetE0EEEvSH_.num_named_barrier, 0
	.set _ZN7rocprim17ROCPRIM_400000_NS6detail17trampoline_kernelINS0_14default_configENS1_36segmented_radix_sort_config_selectorIllEEZNS1_25segmented_radix_sort_implIS3_Lb0EPKlPlS8_S9_N2at6native12_GLOBAL__N_18offset_tEEE10hipError_tPvRmT1_PNSt15iterator_traitsISH_E10value_typeET2_T3_PNSI_ISN_E10value_typeET4_jRbjT5_ST_jjP12ihipStream_tbEUlT_E_NS1_11comp_targetILNS1_3genE5ELNS1_11target_archE942ELNS1_3gpuE9ELNS1_3repE0EEENS1_30default_config_static_selectorELNS0_4arch9wavefront6targetE0EEEvSH_.private_seg_size, 0
	.set _ZN7rocprim17ROCPRIM_400000_NS6detail17trampoline_kernelINS0_14default_configENS1_36segmented_radix_sort_config_selectorIllEEZNS1_25segmented_radix_sort_implIS3_Lb0EPKlPlS8_S9_N2at6native12_GLOBAL__N_18offset_tEEE10hipError_tPvRmT1_PNSt15iterator_traitsISH_E10value_typeET2_T3_PNSI_ISN_E10value_typeET4_jRbjT5_ST_jjP12ihipStream_tbEUlT_E_NS1_11comp_targetILNS1_3genE5ELNS1_11target_archE942ELNS1_3gpuE9ELNS1_3repE0EEENS1_30default_config_static_selectorELNS0_4arch9wavefront6targetE0EEEvSH_.uses_vcc, 0
	.set _ZN7rocprim17ROCPRIM_400000_NS6detail17trampoline_kernelINS0_14default_configENS1_36segmented_radix_sort_config_selectorIllEEZNS1_25segmented_radix_sort_implIS3_Lb0EPKlPlS8_S9_N2at6native12_GLOBAL__N_18offset_tEEE10hipError_tPvRmT1_PNSt15iterator_traitsISH_E10value_typeET2_T3_PNSI_ISN_E10value_typeET4_jRbjT5_ST_jjP12ihipStream_tbEUlT_E_NS1_11comp_targetILNS1_3genE5ELNS1_11target_archE942ELNS1_3gpuE9ELNS1_3repE0EEENS1_30default_config_static_selectorELNS0_4arch9wavefront6targetE0EEEvSH_.uses_flat_scratch, 0
	.set _ZN7rocprim17ROCPRIM_400000_NS6detail17trampoline_kernelINS0_14default_configENS1_36segmented_radix_sort_config_selectorIllEEZNS1_25segmented_radix_sort_implIS3_Lb0EPKlPlS8_S9_N2at6native12_GLOBAL__N_18offset_tEEE10hipError_tPvRmT1_PNSt15iterator_traitsISH_E10value_typeET2_T3_PNSI_ISN_E10value_typeET4_jRbjT5_ST_jjP12ihipStream_tbEUlT_E_NS1_11comp_targetILNS1_3genE5ELNS1_11target_archE942ELNS1_3gpuE9ELNS1_3repE0EEENS1_30default_config_static_selectorELNS0_4arch9wavefront6targetE0EEEvSH_.has_dyn_sized_stack, 0
	.set _ZN7rocprim17ROCPRIM_400000_NS6detail17trampoline_kernelINS0_14default_configENS1_36segmented_radix_sort_config_selectorIllEEZNS1_25segmented_radix_sort_implIS3_Lb0EPKlPlS8_S9_N2at6native12_GLOBAL__N_18offset_tEEE10hipError_tPvRmT1_PNSt15iterator_traitsISH_E10value_typeET2_T3_PNSI_ISN_E10value_typeET4_jRbjT5_ST_jjP12ihipStream_tbEUlT_E_NS1_11comp_targetILNS1_3genE5ELNS1_11target_archE942ELNS1_3gpuE9ELNS1_3repE0EEENS1_30default_config_static_selectorELNS0_4arch9wavefront6targetE0EEEvSH_.has_recursion, 0
	.set _ZN7rocprim17ROCPRIM_400000_NS6detail17trampoline_kernelINS0_14default_configENS1_36segmented_radix_sort_config_selectorIllEEZNS1_25segmented_radix_sort_implIS3_Lb0EPKlPlS8_S9_N2at6native12_GLOBAL__N_18offset_tEEE10hipError_tPvRmT1_PNSt15iterator_traitsISH_E10value_typeET2_T3_PNSI_ISN_E10value_typeET4_jRbjT5_ST_jjP12ihipStream_tbEUlT_E_NS1_11comp_targetILNS1_3genE5ELNS1_11target_archE942ELNS1_3gpuE9ELNS1_3repE0EEENS1_30default_config_static_selectorELNS0_4arch9wavefront6targetE0EEEvSH_.has_indirect_call, 0
	.section	.AMDGPU.csdata,"",@progbits
; Kernel info:
; codeLenInByte = 0
; TotalNumSgprs: 0
; NumVgprs: 0
; ScratchSize: 0
; MemoryBound: 0
; FloatMode: 240
; IeeeMode: 1
; LDSByteSize: 0 bytes/workgroup (compile time only)
; SGPRBlocks: 0
; VGPRBlocks: 0
; NumSGPRsForWavesPerEU: 1
; NumVGPRsForWavesPerEU: 1
; Occupancy: 16
; WaveLimiterHint : 0
; COMPUTE_PGM_RSRC2:SCRATCH_EN: 0
; COMPUTE_PGM_RSRC2:USER_SGPR: 6
; COMPUTE_PGM_RSRC2:TRAP_HANDLER: 0
; COMPUTE_PGM_RSRC2:TGID_X_EN: 1
; COMPUTE_PGM_RSRC2:TGID_Y_EN: 0
; COMPUTE_PGM_RSRC2:TGID_Z_EN: 0
; COMPUTE_PGM_RSRC2:TIDIG_COMP_CNT: 0
	.section	.text._ZN7rocprim17ROCPRIM_400000_NS6detail17trampoline_kernelINS0_14default_configENS1_36segmented_radix_sort_config_selectorIllEEZNS1_25segmented_radix_sort_implIS3_Lb0EPKlPlS8_S9_N2at6native12_GLOBAL__N_18offset_tEEE10hipError_tPvRmT1_PNSt15iterator_traitsISH_E10value_typeET2_T3_PNSI_ISN_E10value_typeET4_jRbjT5_ST_jjP12ihipStream_tbEUlT_E_NS1_11comp_targetILNS1_3genE4ELNS1_11target_archE910ELNS1_3gpuE8ELNS1_3repE0EEENS1_30default_config_static_selectorELNS0_4arch9wavefront6targetE0EEEvSH_,"axG",@progbits,_ZN7rocprim17ROCPRIM_400000_NS6detail17trampoline_kernelINS0_14default_configENS1_36segmented_radix_sort_config_selectorIllEEZNS1_25segmented_radix_sort_implIS3_Lb0EPKlPlS8_S9_N2at6native12_GLOBAL__N_18offset_tEEE10hipError_tPvRmT1_PNSt15iterator_traitsISH_E10value_typeET2_T3_PNSI_ISN_E10value_typeET4_jRbjT5_ST_jjP12ihipStream_tbEUlT_E_NS1_11comp_targetILNS1_3genE4ELNS1_11target_archE910ELNS1_3gpuE8ELNS1_3repE0EEENS1_30default_config_static_selectorELNS0_4arch9wavefront6targetE0EEEvSH_,comdat
	.globl	_ZN7rocprim17ROCPRIM_400000_NS6detail17trampoline_kernelINS0_14default_configENS1_36segmented_radix_sort_config_selectorIllEEZNS1_25segmented_radix_sort_implIS3_Lb0EPKlPlS8_S9_N2at6native12_GLOBAL__N_18offset_tEEE10hipError_tPvRmT1_PNSt15iterator_traitsISH_E10value_typeET2_T3_PNSI_ISN_E10value_typeET4_jRbjT5_ST_jjP12ihipStream_tbEUlT_E_NS1_11comp_targetILNS1_3genE4ELNS1_11target_archE910ELNS1_3gpuE8ELNS1_3repE0EEENS1_30default_config_static_selectorELNS0_4arch9wavefront6targetE0EEEvSH_ ; -- Begin function _ZN7rocprim17ROCPRIM_400000_NS6detail17trampoline_kernelINS0_14default_configENS1_36segmented_radix_sort_config_selectorIllEEZNS1_25segmented_radix_sort_implIS3_Lb0EPKlPlS8_S9_N2at6native12_GLOBAL__N_18offset_tEEE10hipError_tPvRmT1_PNSt15iterator_traitsISH_E10value_typeET2_T3_PNSI_ISN_E10value_typeET4_jRbjT5_ST_jjP12ihipStream_tbEUlT_E_NS1_11comp_targetILNS1_3genE4ELNS1_11target_archE910ELNS1_3gpuE8ELNS1_3repE0EEENS1_30default_config_static_selectorELNS0_4arch9wavefront6targetE0EEEvSH_
	.p2align	8
	.type	_ZN7rocprim17ROCPRIM_400000_NS6detail17trampoline_kernelINS0_14default_configENS1_36segmented_radix_sort_config_selectorIllEEZNS1_25segmented_radix_sort_implIS3_Lb0EPKlPlS8_S9_N2at6native12_GLOBAL__N_18offset_tEEE10hipError_tPvRmT1_PNSt15iterator_traitsISH_E10value_typeET2_T3_PNSI_ISN_E10value_typeET4_jRbjT5_ST_jjP12ihipStream_tbEUlT_E_NS1_11comp_targetILNS1_3genE4ELNS1_11target_archE910ELNS1_3gpuE8ELNS1_3repE0EEENS1_30default_config_static_selectorELNS0_4arch9wavefront6targetE0EEEvSH_,@function
_ZN7rocprim17ROCPRIM_400000_NS6detail17trampoline_kernelINS0_14default_configENS1_36segmented_radix_sort_config_selectorIllEEZNS1_25segmented_radix_sort_implIS3_Lb0EPKlPlS8_S9_N2at6native12_GLOBAL__N_18offset_tEEE10hipError_tPvRmT1_PNSt15iterator_traitsISH_E10value_typeET2_T3_PNSI_ISN_E10value_typeET4_jRbjT5_ST_jjP12ihipStream_tbEUlT_E_NS1_11comp_targetILNS1_3genE4ELNS1_11target_archE910ELNS1_3gpuE8ELNS1_3repE0EEENS1_30default_config_static_selectorELNS0_4arch9wavefront6targetE0EEEvSH_: ; @_ZN7rocprim17ROCPRIM_400000_NS6detail17trampoline_kernelINS0_14default_configENS1_36segmented_radix_sort_config_selectorIllEEZNS1_25segmented_radix_sort_implIS3_Lb0EPKlPlS8_S9_N2at6native12_GLOBAL__N_18offset_tEEE10hipError_tPvRmT1_PNSt15iterator_traitsISH_E10value_typeET2_T3_PNSI_ISN_E10value_typeET4_jRbjT5_ST_jjP12ihipStream_tbEUlT_E_NS1_11comp_targetILNS1_3genE4ELNS1_11target_archE910ELNS1_3gpuE8ELNS1_3repE0EEENS1_30default_config_static_selectorELNS0_4arch9wavefront6targetE0EEEvSH_
; %bb.0:
	.section	.rodata,"a",@progbits
	.p2align	6, 0x0
	.amdhsa_kernel _ZN7rocprim17ROCPRIM_400000_NS6detail17trampoline_kernelINS0_14default_configENS1_36segmented_radix_sort_config_selectorIllEEZNS1_25segmented_radix_sort_implIS3_Lb0EPKlPlS8_S9_N2at6native12_GLOBAL__N_18offset_tEEE10hipError_tPvRmT1_PNSt15iterator_traitsISH_E10value_typeET2_T3_PNSI_ISN_E10value_typeET4_jRbjT5_ST_jjP12ihipStream_tbEUlT_E_NS1_11comp_targetILNS1_3genE4ELNS1_11target_archE910ELNS1_3gpuE8ELNS1_3repE0EEENS1_30default_config_static_selectorELNS0_4arch9wavefront6targetE0EEEvSH_
		.amdhsa_group_segment_fixed_size 0
		.amdhsa_private_segment_fixed_size 0
		.amdhsa_kernarg_size 96
		.amdhsa_user_sgpr_count 6
		.amdhsa_user_sgpr_private_segment_buffer 1
		.amdhsa_user_sgpr_dispatch_ptr 0
		.amdhsa_user_sgpr_queue_ptr 0
		.amdhsa_user_sgpr_kernarg_segment_ptr 1
		.amdhsa_user_sgpr_dispatch_id 0
		.amdhsa_user_sgpr_flat_scratch_init 0
		.amdhsa_user_sgpr_private_segment_size 0
		.amdhsa_wavefront_size32 1
		.amdhsa_uses_dynamic_stack 0
		.amdhsa_system_sgpr_private_segment_wavefront_offset 0
		.amdhsa_system_sgpr_workgroup_id_x 1
		.amdhsa_system_sgpr_workgroup_id_y 0
		.amdhsa_system_sgpr_workgroup_id_z 0
		.amdhsa_system_sgpr_workgroup_info 0
		.amdhsa_system_vgpr_workitem_id 0
		.amdhsa_next_free_vgpr 1
		.amdhsa_next_free_sgpr 1
		.amdhsa_reserve_vcc 0
		.amdhsa_reserve_flat_scratch 0
		.amdhsa_float_round_mode_32 0
		.amdhsa_float_round_mode_16_64 0
		.amdhsa_float_denorm_mode_32 3
		.amdhsa_float_denorm_mode_16_64 3
		.amdhsa_dx10_clamp 1
		.amdhsa_ieee_mode 1
		.amdhsa_fp16_overflow 0
		.amdhsa_workgroup_processor_mode 1
		.amdhsa_memory_ordered 1
		.amdhsa_forward_progress 1
		.amdhsa_shared_vgpr_count 0
		.amdhsa_exception_fp_ieee_invalid_op 0
		.amdhsa_exception_fp_denorm_src 0
		.amdhsa_exception_fp_ieee_div_zero 0
		.amdhsa_exception_fp_ieee_overflow 0
		.amdhsa_exception_fp_ieee_underflow 0
		.amdhsa_exception_fp_ieee_inexact 0
		.amdhsa_exception_int_div_zero 0
	.end_amdhsa_kernel
	.section	.text._ZN7rocprim17ROCPRIM_400000_NS6detail17trampoline_kernelINS0_14default_configENS1_36segmented_radix_sort_config_selectorIllEEZNS1_25segmented_radix_sort_implIS3_Lb0EPKlPlS8_S9_N2at6native12_GLOBAL__N_18offset_tEEE10hipError_tPvRmT1_PNSt15iterator_traitsISH_E10value_typeET2_T3_PNSI_ISN_E10value_typeET4_jRbjT5_ST_jjP12ihipStream_tbEUlT_E_NS1_11comp_targetILNS1_3genE4ELNS1_11target_archE910ELNS1_3gpuE8ELNS1_3repE0EEENS1_30default_config_static_selectorELNS0_4arch9wavefront6targetE0EEEvSH_,"axG",@progbits,_ZN7rocprim17ROCPRIM_400000_NS6detail17trampoline_kernelINS0_14default_configENS1_36segmented_radix_sort_config_selectorIllEEZNS1_25segmented_radix_sort_implIS3_Lb0EPKlPlS8_S9_N2at6native12_GLOBAL__N_18offset_tEEE10hipError_tPvRmT1_PNSt15iterator_traitsISH_E10value_typeET2_T3_PNSI_ISN_E10value_typeET4_jRbjT5_ST_jjP12ihipStream_tbEUlT_E_NS1_11comp_targetILNS1_3genE4ELNS1_11target_archE910ELNS1_3gpuE8ELNS1_3repE0EEENS1_30default_config_static_selectorELNS0_4arch9wavefront6targetE0EEEvSH_,comdat
.Lfunc_end803:
	.size	_ZN7rocprim17ROCPRIM_400000_NS6detail17trampoline_kernelINS0_14default_configENS1_36segmented_radix_sort_config_selectorIllEEZNS1_25segmented_radix_sort_implIS3_Lb0EPKlPlS8_S9_N2at6native12_GLOBAL__N_18offset_tEEE10hipError_tPvRmT1_PNSt15iterator_traitsISH_E10value_typeET2_T3_PNSI_ISN_E10value_typeET4_jRbjT5_ST_jjP12ihipStream_tbEUlT_E_NS1_11comp_targetILNS1_3genE4ELNS1_11target_archE910ELNS1_3gpuE8ELNS1_3repE0EEENS1_30default_config_static_selectorELNS0_4arch9wavefront6targetE0EEEvSH_, .Lfunc_end803-_ZN7rocprim17ROCPRIM_400000_NS6detail17trampoline_kernelINS0_14default_configENS1_36segmented_radix_sort_config_selectorIllEEZNS1_25segmented_radix_sort_implIS3_Lb0EPKlPlS8_S9_N2at6native12_GLOBAL__N_18offset_tEEE10hipError_tPvRmT1_PNSt15iterator_traitsISH_E10value_typeET2_T3_PNSI_ISN_E10value_typeET4_jRbjT5_ST_jjP12ihipStream_tbEUlT_E_NS1_11comp_targetILNS1_3genE4ELNS1_11target_archE910ELNS1_3gpuE8ELNS1_3repE0EEENS1_30default_config_static_selectorELNS0_4arch9wavefront6targetE0EEEvSH_
                                        ; -- End function
	.set _ZN7rocprim17ROCPRIM_400000_NS6detail17trampoline_kernelINS0_14default_configENS1_36segmented_radix_sort_config_selectorIllEEZNS1_25segmented_radix_sort_implIS3_Lb0EPKlPlS8_S9_N2at6native12_GLOBAL__N_18offset_tEEE10hipError_tPvRmT1_PNSt15iterator_traitsISH_E10value_typeET2_T3_PNSI_ISN_E10value_typeET4_jRbjT5_ST_jjP12ihipStream_tbEUlT_E_NS1_11comp_targetILNS1_3genE4ELNS1_11target_archE910ELNS1_3gpuE8ELNS1_3repE0EEENS1_30default_config_static_selectorELNS0_4arch9wavefront6targetE0EEEvSH_.num_vgpr, 0
	.set _ZN7rocprim17ROCPRIM_400000_NS6detail17trampoline_kernelINS0_14default_configENS1_36segmented_radix_sort_config_selectorIllEEZNS1_25segmented_radix_sort_implIS3_Lb0EPKlPlS8_S9_N2at6native12_GLOBAL__N_18offset_tEEE10hipError_tPvRmT1_PNSt15iterator_traitsISH_E10value_typeET2_T3_PNSI_ISN_E10value_typeET4_jRbjT5_ST_jjP12ihipStream_tbEUlT_E_NS1_11comp_targetILNS1_3genE4ELNS1_11target_archE910ELNS1_3gpuE8ELNS1_3repE0EEENS1_30default_config_static_selectorELNS0_4arch9wavefront6targetE0EEEvSH_.num_agpr, 0
	.set _ZN7rocprim17ROCPRIM_400000_NS6detail17trampoline_kernelINS0_14default_configENS1_36segmented_radix_sort_config_selectorIllEEZNS1_25segmented_radix_sort_implIS3_Lb0EPKlPlS8_S9_N2at6native12_GLOBAL__N_18offset_tEEE10hipError_tPvRmT1_PNSt15iterator_traitsISH_E10value_typeET2_T3_PNSI_ISN_E10value_typeET4_jRbjT5_ST_jjP12ihipStream_tbEUlT_E_NS1_11comp_targetILNS1_3genE4ELNS1_11target_archE910ELNS1_3gpuE8ELNS1_3repE0EEENS1_30default_config_static_selectorELNS0_4arch9wavefront6targetE0EEEvSH_.numbered_sgpr, 0
	.set _ZN7rocprim17ROCPRIM_400000_NS6detail17trampoline_kernelINS0_14default_configENS1_36segmented_radix_sort_config_selectorIllEEZNS1_25segmented_radix_sort_implIS3_Lb0EPKlPlS8_S9_N2at6native12_GLOBAL__N_18offset_tEEE10hipError_tPvRmT1_PNSt15iterator_traitsISH_E10value_typeET2_T3_PNSI_ISN_E10value_typeET4_jRbjT5_ST_jjP12ihipStream_tbEUlT_E_NS1_11comp_targetILNS1_3genE4ELNS1_11target_archE910ELNS1_3gpuE8ELNS1_3repE0EEENS1_30default_config_static_selectorELNS0_4arch9wavefront6targetE0EEEvSH_.num_named_barrier, 0
	.set _ZN7rocprim17ROCPRIM_400000_NS6detail17trampoline_kernelINS0_14default_configENS1_36segmented_radix_sort_config_selectorIllEEZNS1_25segmented_radix_sort_implIS3_Lb0EPKlPlS8_S9_N2at6native12_GLOBAL__N_18offset_tEEE10hipError_tPvRmT1_PNSt15iterator_traitsISH_E10value_typeET2_T3_PNSI_ISN_E10value_typeET4_jRbjT5_ST_jjP12ihipStream_tbEUlT_E_NS1_11comp_targetILNS1_3genE4ELNS1_11target_archE910ELNS1_3gpuE8ELNS1_3repE0EEENS1_30default_config_static_selectorELNS0_4arch9wavefront6targetE0EEEvSH_.private_seg_size, 0
	.set _ZN7rocprim17ROCPRIM_400000_NS6detail17trampoline_kernelINS0_14default_configENS1_36segmented_radix_sort_config_selectorIllEEZNS1_25segmented_radix_sort_implIS3_Lb0EPKlPlS8_S9_N2at6native12_GLOBAL__N_18offset_tEEE10hipError_tPvRmT1_PNSt15iterator_traitsISH_E10value_typeET2_T3_PNSI_ISN_E10value_typeET4_jRbjT5_ST_jjP12ihipStream_tbEUlT_E_NS1_11comp_targetILNS1_3genE4ELNS1_11target_archE910ELNS1_3gpuE8ELNS1_3repE0EEENS1_30default_config_static_selectorELNS0_4arch9wavefront6targetE0EEEvSH_.uses_vcc, 0
	.set _ZN7rocprim17ROCPRIM_400000_NS6detail17trampoline_kernelINS0_14default_configENS1_36segmented_radix_sort_config_selectorIllEEZNS1_25segmented_radix_sort_implIS3_Lb0EPKlPlS8_S9_N2at6native12_GLOBAL__N_18offset_tEEE10hipError_tPvRmT1_PNSt15iterator_traitsISH_E10value_typeET2_T3_PNSI_ISN_E10value_typeET4_jRbjT5_ST_jjP12ihipStream_tbEUlT_E_NS1_11comp_targetILNS1_3genE4ELNS1_11target_archE910ELNS1_3gpuE8ELNS1_3repE0EEENS1_30default_config_static_selectorELNS0_4arch9wavefront6targetE0EEEvSH_.uses_flat_scratch, 0
	.set _ZN7rocprim17ROCPRIM_400000_NS6detail17trampoline_kernelINS0_14default_configENS1_36segmented_radix_sort_config_selectorIllEEZNS1_25segmented_radix_sort_implIS3_Lb0EPKlPlS8_S9_N2at6native12_GLOBAL__N_18offset_tEEE10hipError_tPvRmT1_PNSt15iterator_traitsISH_E10value_typeET2_T3_PNSI_ISN_E10value_typeET4_jRbjT5_ST_jjP12ihipStream_tbEUlT_E_NS1_11comp_targetILNS1_3genE4ELNS1_11target_archE910ELNS1_3gpuE8ELNS1_3repE0EEENS1_30default_config_static_selectorELNS0_4arch9wavefront6targetE0EEEvSH_.has_dyn_sized_stack, 0
	.set _ZN7rocprim17ROCPRIM_400000_NS6detail17trampoline_kernelINS0_14default_configENS1_36segmented_radix_sort_config_selectorIllEEZNS1_25segmented_radix_sort_implIS3_Lb0EPKlPlS8_S9_N2at6native12_GLOBAL__N_18offset_tEEE10hipError_tPvRmT1_PNSt15iterator_traitsISH_E10value_typeET2_T3_PNSI_ISN_E10value_typeET4_jRbjT5_ST_jjP12ihipStream_tbEUlT_E_NS1_11comp_targetILNS1_3genE4ELNS1_11target_archE910ELNS1_3gpuE8ELNS1_3repE0EEENS1_30default_config_static_selectorELNS0_4arch9wavefront6targetE0EEEvSH_.has_recursion, 0
	.set _ZN7rocprim17ROCPRIM_400000_NS6detail17trampoline_kernelINS0_14default_configENS1_36segmented_radix_sort_config_selectorIllEEZNS1_25segmented_radix_sort_implIS3_Lb0EPKlPlS8_S9_N2at6native12_GLOBAL__N_18offset_tEEE10hipError_tPvRmT1_PNSt15iterator_traitsISH_E10value_typeET2_T3_PNSI_ISN_E10value_typeET4_jRbjT5_ST_jjP12ihipStream_tbEUlT_E_NS1_11comp_targetILNS1_3genE4ELNS1_11target_archE910ELNS1_3gpuE8ELNS1_3repE0EEENS1_30default_config_static_selectorELNS0_4arch9wavefront6targetE0EEEvSH_.has_indirect_call, 0
	.section	.AMDGPU.csdata,"",@progbits
; Kernel info:
; codeLenInByte = 0
; TotalNumSgprs: 0
; NumVgprs: 0
; ScratchSize: 0
; MemoryBound: 0
; FloatMode: 240
; IeeeMode: 1
; LDSByteSize: 0 bytes/workgroup (compile time only)
; SGPRBlocks: 0
; VGPRBlocks: 0
; NumSGPRsForWavesPerEU: 1
; NumVGPRsForWavesPerEU: 1
; Occupancy: 16
; WaveLimiterHint : 0
; COMPUTE_PGM_RSRC2:SCRATCH_EN: 0
; COMPUTE_PGM_RSRC2:USER_SGPR: 6
; COMPUTE_PGM_RSRC2:TRAP_HANDLER: 0
; COMPUTE_PGM_RSRC2:TGID_X_EN: 1
; COMPUTE_PGM_RSRC2:TGID_Y_EN: 0
; COMPUTE_PGM_RSRC2:TGID_Z_EN: 0
; COMPUTE_PGM_RSRC2:TIDIG_COMP_CNT: 0
	.section	.text._ZN7rocprim17ROCPRIM_400000_NS6detail17trampoline_kernelINS0_14default_configENS1_36segmented_radix_sort_config_selectorIllEEZNS1_25segmented_radix_sort_implIS3_Lb0EPKlPlS8_S9_N2at6native12_GLOBAL__N_18offset_tEEE10hipError_tPvRmT1_PNSt15iterator_traitsISH_E10value_typeET2_T3_PNSI_ISN_E10value_typeET4_jRbjT5_ST_jjP12ihipStream_tbEUlT_E_NS1_11comp_targetILNS1_3genE3ELNS1_11target_archE908ELNS1_3gpuE7ELNS1_3repE0EEENS1_30default_config_static_selectorELNS0_4arch9wavefront6targetE0EEEvSH_,"axG",@progbits,_ZN7rocprim17ROCPRIM_400000_NS6detail17trampoline_kernelINS0_14default_configENS1_36segmented_radix_sort_config_selectorIllEEZNS1_25segmented_radix_sort_implIS3_Lb0EPKlPlS8_S9_N2at6native12_GLOBAL__N_18offset_tEEE10hipError_tPvRmT1_PNSt15iterator_traitsISH_E10value_typeET2_T3_PNSI_ISN_E10value_typeET4_jRbjT5_ST_jjP12ihipStream_tbEUlT_E_NS1_11comp_targetILNS1_3genE3ELNS1_11target_archE908ELNS1_3gpuE7ELNS1_3repE0EEENS1_30default_config_static_selectorELNS0_4arch9wavefront6targetE0EEEvSH_,comdat
	.globl	_ZN7rocprim17ROCPRIM_400000_NS6detail17trampoline_kernelINS0_14default_configENS1_36segmented_radix_sort_config_selectorIllEEZNS1_25segmented_radix_sort_implIS3_Lb0EPKlPlS8_S9_N2at6native12_GLOBAL__N_18offset_tEEE10hipError_tPvRmT1_PNSt15iterator_traitsISH_E10value_typeET2_T3_PNSI_ISN_E10value_typeET4_jRbjT5_ST_jjP12ihipStream_tbEUlT_E_NS1_11comp_targetILNS1_3genE3ELNS1_11target_archE908ELNS1_3gpuE7ELNS1_3repE0EEENS1_30default_config_static_selectorELNS0_4arch9wavefront6targetE0EEEvSH_ ; -- Begin function _ZN7rocprim17ROCPRIM_400000_NS6detail17trampoline_kernelINS0_14default_configENS1_36segmented_radix_sort_config_selectorIllEEZNS1_25segmented_radix_sort_implIS3_Lb0EPKlPlS8_S9_N2at6native12_GLOBAL__N_18offset_tEEE10hipError_tPvRmT1_PNSt15iterator_traitsISH_E10value_typeET2_T3_PNSI_ISN_E10value_typeET4_jRbjT5_ST_jjP12ihipStream_tbEUlT_E_NS1_11comp_targetILNS1_3genE3ELNS1_11target_archE908ELNS1_3gpuE7ELNS1_3repE0EEENS1_30default_config_static_selectorELNS0_4arch9wavefront6targetE0EEEvSH_
	.p2align	8
	.type	_ZN7rocprim17ROCPRIM_400000_NS6detail17trampoline_kernelINS0_14default_configENS1_36segmented_radix_sort_config_selectorIllEEZNS1_25segmented_radix_sort_implIS3_Lb0EPKlPlS8_S9_N2at6native12_GLOBAL__N_18offset_tEEE10hipError_tPvRmT1_PNSt15iterator_traitsISH_E10value_typeET2_T3_PNSI_ISN_E10value_typeET4_jRbjT5_ST_jjP12ihipStream_tbEUlT_E_NS1_11comp_targetILNS1_3genE3ELNS1_11target_archE908ELNS1_3gpuE7ELNS1_3repE0EEENS1_30default_config_static_selectorELNS0_4arch9wavefront6targetE0EEEvSH_,@function
_ZN7rocprim17ROCPRIM_400000_NS6detail17trampoline_kernelINS0_14default_configENS1_36segmented_radix_sort_config_selectorIllEEZNS1_25segmented_radix_sort_implIS3_Lb0EPKlPlS8_S9_N2at6native12_GLOBAL__N_18offset_tEEE10hipError_tPvRmT1_PNSt15iterator_traitsISH_E10value_typeET2_T3_PNSI_ISN_E10value_typeET4_jRbjT5_ST_jjP12ihipStream_tbEUlT_E_NS1_11comp_targetILNS1_3genE3ELNS1_11target_archE908ELNS1_3gpuE7ELNS1_3repE0EEENS1_30default_config_static_selectorELNS0_4arch9wavefront6targetE0EEEvSH_: ; @_ZN7rocprim17ROCPRIM_400000_NS6detail17trampoline_kernelINS0_14default_configENS1_36segmented_radix_sort_config_selectorIllEEZNS1_25segmented_radix_sort_implIS3_Lb0EPKlPlS8_S9_N2at6native12_GLOBAL__N_18offset_tEEE10hipError_tPvRmT1_PNSt15iterator_traitsISH_E10value_typeET2_T3_PNSI_ISN_E10value_typeET4_jRbjT5_ST_jjP12ihipStream_tbEUlT_E_NS1_11comp_targetILNS1_3genE3ELNS1_11target_archE908ELNS1_3gpuE7ELNS1_3repE0EEENS1_30default_config_static_selectorELNS0_4arch9wavefront6targetE0EEEvSH_
; %bb.0:
	.section	.rodata,"a",@progbits
	.p2align	6, 0x0
	.amdhsa_kernel _ZN7rocprim17ROCPRIM_400000_NS6detail17trampoline_kernelINS0_14default_configENS1_36segmented_radix_sort_config_selectorIllEEZNS1_25segmented_radix_sort_implIS3_Lb0EPKlPlS8_S9_N2at6native12_GLOBAL__N_18offset_tEEE10hipError_tPvRmT1_PNSt15iterator_traitsISH_E10value_typeET2_T3_PNSI_ISN_E10value_typeET4_jRbjT5_ST_jjP12ihipStream_tbEUlT_E_NS1_11comp_targetILNS1_3genE3ELNS1_11target_archE908ELNS1_3gpuE7ELNS1_3repE0EEENS1_30default_config_static_selectorELNS0_4arch9wavefront6targetE0EEEvSH_
		.amdhsa_group_segment_fixed_size 0
		.amdhsa_private_segment_fixed_size 0
		.amdhsa_kernarg_size 96
		.amdhsa_user_sgpr_count 6
		.amdhsa_user_sgpr_private_segment_buffer 1
		.amdhsa_user_sgpr_dispatch_ptr 0
		.amdhsa_user_sgpr_queue_ptr 0
		.amdhsa_user_sgpr_kernarg_segment_ptr 1
		.amdhsa_user_sgpr_dispatch_id 0
		.amdhsa_user_sgpr_flat_scratch_init 0
		.amdhsa_user_sgpr_private_segment_size 0
		.amdhsa_wavefront_size32 1
		.amdhsa_uses_dynamic_stack 0
		.amdhsa_system_sgpr_private_segment_wavefront_offset 0
		.amdhsa_system_sgpr_workgroup_id_x 1
		.amdhsa_system_sgpr_workgroup_id_y 0
		.amdhsa_system_sgpr_workgroup_id_z 0
		.amdhsa_system_sgpr_workgroup_info 0
		.amdhsa_system_vgpr_workitem_id 0
		.amdhsa_next_free_vgpr 1
		.amdhsa_next_free_sgpr 1
		.amdhsa_reserve_vcc 0
		.amdhsa_reserve_flat_scratch 0
		.amdhsa_float_round_mode_32 0
		.amdhsa_float_round_mode_16_64 0
		.amdhsa_float_denorm_mode_32 3
		.amdhsa_float_denorm_mode_16_64 3
		.amdhsa_dx10_clamp 1
		.amdhsa_ieee_mode 1
		.amdhsa_fp16_overflow 0
		.amdhsa_workgroup_processor_mode 1
		.amdhsa_memory_ordered 1
		.amdhsa_forward_progress 1
		.amdhsa_shared_vgpr_count 0
		.amdhsa_exception_fp_ieee_invalid_op 0
		.amdhsa_exception_fp_denorm_src 0
		.amdhsa_exception_fp_ieee_div_zero 0
		.amdhsa_exception_fp_ieee_overflow 0
		.amdhsa_exception_fp_ieee_underflow 0
		.amdhsa_exception_fp_ieee_inexact 0
		.amdhsa_exception_int_div_zero 0
	.end_amdhsa_kernel
	.section	.text._ZN7rocprim17ROCPRIM_400000_NS6detail17trampoline_kernelINS0_14default_configENS1_36segmented_radix_sort_config_selectorIllEEZNS1_25segmented_radix_sort_implIS3_Lb0EPKlPlS8_S9_N2at6native12_GLOBAL__N_18offset_tEEE10hipError_tPvRmT1_PNSt15iterator_traitsISH_E10value_typeET2_T3_PNSI_ISN_E10value_typeET4_jRbjT5_ST_jjP12ihipStream_tbEUlT_E_NS1_11comp_targetILNS1_3genE3ELNS1_11target_archE908ELNS1_3gpuE7ELNS1_3repE0EEENS1_30default_config_static_selectorELNS0_4arch9wavefront6targetE0EEEvSH_,"axG",@progbits,_ZN7rocprim17ROCPRIM_400000_NS6detail17trampoline_kernelINS0_14default_configENS1_36segmented_radix_sort_config_selectorIllEEZNS1_25segmented_radix_sort_implIS3_Lb0EPKlPlS8_S9_N2at6native12_GLOBAL__N_18offset_tEEE10hipError_tPvRmT1_PNSt15iterator_traitsISH_E10value_typeET2_T3_PNSI_ISN_E10value_typeET4_jRbjT5_ST_jjP12ihipStream_tbEUlT_E_NS1_11comp_targetILNS1_3genE3ELNS1_11target_archE908ELNS1_3gpuE7ELNS1_3repE0EEENS1_30default_config_static_selectorELNS0_4arch9wavefront6targetE0EEEvSH_,comdat
.Lfunc_end804:
	.size	_ZN7rocprim17ROCPRIM_400000_NS6detail17trampoline_kernelINS0_14default_configENS1_36segmented_radix_sort_config_selectorIllEEZNS1_25segmented_radix_sort_implIS3_Lb0EPKlPlS8_S9_N2at6native12_GLOBAL__N_18offset_tEEE10hipError_tPvRmT1_PNSt15iterator_traitsISH_E10value_typeET2_T3_PNSI_ISN_E10value_typeET4_jRbjT5_ST_jjP12ihipStream_tbEUlT_E_NS1_11comp_targetILNS1_3genE3ELNS1_11target_archE908ELNS1_3gpuE7ELNS1_3repE0EEENS1_30default_config_static_selectorELNS0_4arch9wavefront6targetE0EEEvSH_, .Lfunc_end804-_ZN7rocprim17ROCPRIM_400000_NS6detail17trampoline_kernelINS0_14default_configENS1_36segmented_radix_sort_config_selectorIllEEZNS1_25segmented_radix_sort_implIS3_Lb0EPKlPlS8_S9_N2at6native12_GLOBAL__N_18offset_tEEE10hipError_tPvRmT1_PNSt15iterator_traitsISH_E10value_typeET2_T3_PNSI_ISN_E10value_typeET4_jRbjT5_ST_jjP12ihipStream_tbEUlT_E_NS1_11comp_targetILNS1_3genE3ELNS1_11target_archE908ELNS1_3gpuE7ELNS1_3repE0EEENS1_30default_config_static_selectorELNS0_4arch9wavefront6targetE0EEEvSH_
                                        ; -- End function
	.set _ZN7rocprim17ROCPRIM_400000_NS6detail17trampoline_kernelINS0_14default_configENS1_36segmented_radix_sort_config_selectorIllEEZNS1_25segmented_radix_sort_implIS3_Lb0EPKlPlS8_S9_N2at6native12_GLOBAL__N_18offset_tEEE10hipError_tPvRmT1_PNSt15iterator_traitsISH_E10value_typeET2_T3_PNSI_ISN_E10value_typeET4_jRbjT5_ST_jjP12ihipStream_tbEUlT_E_NS1_11comp_targetILNS1_3genE3ELNS1_11target_archE908ELNS1_3gpuE7ELNS1_3repE0EEENS1_30default_config_static_selectorELNS0_4arch9wavefront6targetE0EEEvSH_.num_vgpr, 0
	.set _ZN7rocprim17ROCPRIM_400000_NS6detail17trampoline_kernelINS0_14default_configENS1_36segmented_radix_sort_config_selectorIllEEZNS1_25segmented_radix_sort_implIS3_Lb0EPKlPlS8_S9_N2at6native12_GLOBAL__N_18offset_tEEE10hipError_tPvRmT1_PNSt15iterator_traitsISH_E10value_typeET2_T3_PNSI_ISN_E10value_typeET4_jRbjT5_ST_jjP12ihipStream_tbEUlT_E_NS1_11comp_targetILNS1_3genE3ELNS1_11target_archE908ELNS1_3gpuE7ELNS1_3repE0EEENS1_30default_config_static_selectorELNS0_4arch9wavefront6targetE0EEEvSH_.num_agpr, 0
	.set _ZN7rocprim17ROCPRIM_400000_NS6detail17trampoline_kernelINS0_14default_configENS1_36segmented_radix_sort_config_selectorIllEEZNS1_25segmented_radix_sort_implIS3_Lb0EPKlPlS8_S9_N2at6native12_GLOBAL__N_18offset_tEEE10hipError_tPvRmT1_PNSt15iterator_traitsISH_E10value_typeET2_T3_PNSI_ISN_E10value_typeET4_jRbjT5_ST_jjP12ihipStream_tbEUlT_E_NS1_11comp_targetILNS1_3genE3ELNS1_11target_archE908ELNS1_3gpuE7ELNS1_3repE0EEENS1_30default_config_static_selectorELNS0_4arch9wavefront6targetE0EEEvSH_.numbered_sgpr, 0
	.set _ZN7rocprim17ROCPRIM_400000_NS6detail17trampoline_kernelINS0_14default_configENS1_36segmented_radix_sort_config_selectorIllEEZNS1_25segmented_radix_sort_implIS3_Lb0EPKlPlS8_S9_N2at6native12_GLOBAL__N_18offset_tEEE10hipError_tPvRmT1_PNSt15iterator_traitsISH_E10value_typeET2_T3_PNSI_ISN_E10value_typeET4_jRbjT5_ST_jjP12ihipStream_tbEUlT_E_NS1_11comp_targetILNS1_3genE3ELNS1_11target_archE908ELNS1_3gpuE7ELNS1_3repE0EEENS1_30default_config_static_selectorELNS0_4arch9wavefront6targetE0EEEvSH_.num_named_barrier, 0
	.set _ZN7rocprim17ROCPRIM_400000_NS6detail17trampoline_kernelINS0_14default_configENS1_36segmented_radix_sort_config_selectorIllEEZNS1_25segmented_radix_sort_implIS3_Lb0EPKlPlS8_S9_N2at6native12_GLOBAL__N_18offset_tEEE10hipError_tPvRmT1_PNSt15iterator_traitsISH_E10value_typeET2_T3_PNSI_ISN_E10value_typeET4_jRbjT5_ST_jjP12ihipStream_tbEUlT_E_NS1_11comp_targetILNS1_3genE3ELNS1_11target_archE908ELNS1_3gpuE7ELNS1_3repE0EEENS1_30default_config_static_selectorELNS0_4arch9wavefront6targetE0EEEvSH_.private_seg_size, 0
	.set _ZN7rocprim17ROCPRIM_400000_NS6detail17trampoline_kernelINS0_14default_configENS1_36segmented_radix_sort_config_selectorIllEEZNS1_25segmented_radix_sort_implIS3_Lb0EPKlPlS8_S9_N2at6native12_GLOBAL__N_18offset_tEEE10hipError_tPvRmT1_PNSt15iterator_traitsISH_E10value_typeET2_T3_PNSI_ISN_E10value_typeET4_jRbjT5_ST_jjP12ihipStream_tbEUlT_E_NS1_11comp_targetILNS1_3genE3ELNS1_11target_archE908ELNS1_3gpuE7ELNS1_3repE0EEENS1_30default_config_static_selectorELNS0_4arch9wavefront6targetE0EEEvSH_.uses_vcc, 0
	.set _ZN7rocprim17ROCPRIM_400000_NS6detail17trampoline_kernelINS0_14default_configENS1_36segmented_radix_sort_config_selectorIllEEZNS1_25segmented_radix_sort_implIS3_Lb0EPKlPlS8_S9_N2at6native12_GLOBAL__N_18offset_tEEE10hipError_tPvRmT1_PNSt15iterator_traitsISH_E10value_typeET2_T3_PNSI_ISN_E10value_typeET4_jRbjT5_ST_jjP12ihipStream_tbEUlT_E_NS1_11comp_targetILNS1_3genE3ELNS1_11target_archE908ELNS1_3gpuE7ELNS1_3repE0EEENS1_30default_config_static_selectorELNS0_4arch9wavefront6targetE0EEEvSH_.uses_flat_scratch, 0
	.set _ZN7rocprim17ROCPRIM_400000_NS6detail17trampoline_kernelINS0_14default_configENS1_36segmented_radix_sort_config_selectorIllEEZNS1_25segmented_radix_sort_implIS3_Lb0EPKlPlS8_S9_N2at6native12_GLOBAL__N_18offset_tEEE10hipError_tPvRmT1_PNSt15iterator_traitsISH_E10value_typeET2_T3_PNSI_ISN_E10value_typeET4_jRbjT5_ST_jjP12ihipStream_tbEUlT_E_NS1_11comp_targetILNS1_3genE3ELNS1_11target_archE908ELNS1_3gpuE7ELNS1_3repE0EEENS1_30default_config_static_selectorELNS0_4arch9wavefront6targetE0EEEvSH_.has_dyn_sized_stack, 0
	.set _ZN7rocprim17ROCPRIM_400000_NS6detail17trampoline_kernelINS0_14default_configENS1_36segmented_radix_sort_config_selectorIllEEZNS1_25segmented_radix_sort_implIS3_Lb0EPKlPlS8_S9_N2at6native12_GLOBAL__N_18offset_tEEE10hipError_tPvRmT1_PNSt15iterator_traitsISH_E10value_typeET2_T3_PNSI_ISN_E10value_typeET4_jRbjT5_ST_jjP12ihipStream_tbEUlT_E_NS1_11comp_targetILNS1_3genE3ELNS1_11target_archE908ELNS1_3gpuE7ELNS1_3repE0EEENS1_30default_config_static_selectorELNS0_4arch9wavefront6targetE0EEEvSH_.has_recursion, 0
	.set _ZN7rocprim17ROCPRIM_400000_NS6detail17trampoline_kernelINS0_14default_configENS1_36segmented_radix_sort_config_selectorIllEEZNS1_25segmented_radix_sort_implIS3_Lb0EPKlPlS8_S9_N2at6native12_GLOBAL__N_18offset_tEEE10hipError_tPvRmT1_PNSt15iterator_traitsISH_E10value_typeET2_T3_PNSI_ISN_E10value_typeET4_jRbjT5_ST_jjP12ihipStream_tbEUlT_E_NS1_11comp_targetILNS1_3genE3ELNS1_11target_archE908ELNS1_3gpuE7ELNS1_3repE0EEENS1_30default_config_static_selectorELNS0_4arch9wavefront6targetE0EEEvSH_.has_indirect_call, 0
	.section	.AMDGPU.csdata,"",@progbits
; Kernel info:
; codeLenInByte = 0
; TotalNumSgprs: 0
; NumVgprs: 0
; ScratchSize: 0
; MemoryBound: 0
; FloatMode: 240
; IeeeMode: 1
; LDSByteSize: 0 bytes/workgroup (compile time only)
; SGPRBlocks: 0
; VGPRBlocks: 0
; NumSGPRsForWavesPerEU: 1
; NumVGPRsForWavesPerEU: 1
; Occupancy: 16
; WaveLimiterHint : 0
; COMPUTE_PGM_RSRC2:SCRATCH_EN: 0
; COMPUTE_PGM_RSRC2:USER_SGPR: 6
; COMPUTE_PGM_RSRC2:TRAP_HANDLER: 0
; COMPUTE_PGM_RSRC2:TGID_X_EN: 1
; COMPUTE_PGM_RSRC2:TGID_Y_EN: 0
; COMPUTE_PGM_RSRC2:TGID_Z_EN: 0
; COMPUTE_PGM_RSRC2:TIDIG_COMP_CNT: 0
	.section	.text._ZN7rocprim17ROCPRIM_400000_NS6detail17trampoline_kernelINS0_14default_configENS1_36segmented_radix_sort_config_selectorIllEEZNS1_25segmented_radix_sort_implIS3_Lb0EPKlPlS8_S9_N2at6native12_GLOBAL__N_18offset_tEEE10hipError_tPvRmT1_PNSt15iterator_traitsISH_E10value_typeET2_T3_PNSI_ISN_E10value_typeET4_jRbjT5_ST_jjP12ihipStream_tbEUlT_E_NS1_11comp_targetILNS1_3genE2ELNS1_11target_archE906ELNS1_3gpuE6ELNS1_3repE0EEENS1_30default_config_static_selectorELNS0_4arch9wavefront6targetE0EEEvSH_,"axG",@progbits,_ZN7rocprim17ROCPRIM_400000_NS6detail17trampoline_kernelINS0_14default_configENS1_36segmented_radix_sort_config_selectorIllEEZNS1_25segmented_radix_sort_implIS3_Lb0EPKlPlS8_S9_N2at6native12_GLOBAL__N_18offset_tEEE10hipError_tPvRmT1_PNSt15iterator_traitsISH_E10value_typeET2_T3_PNSI_ISN_E10value_typeET4_jRbjT5_ST_jjP12ihipStream_tbEUlT_E_NS1_11comp_targetILNS1_3genE2ELNS1_11target_archE906ELNS1_3gpuE6ELNS1_3repE0EEENS1_30default_config_static_selectorELNS0_4arch9wavefront6targetE0EEEvSH_,comdat
	.globl	_ZN7rocprim17ROCPRIM_400000_NS6detail17trampoline_kernelINS0_14default_configENS1_36segmented_radix_sort_config_selectorIllEEZNS1_25segmented_radix_sort_implIS3_Lb0EPKlPlS8_S9_N2at6native12_GLOBAL__N_18offset_tEEE10hipError_tPvRmT1_PNSt15iterator_traitsISH_E10value_typeET2_T3_PNSI_ISN_E10value_typeET4_jRbjT5_ST_jjP12ihipStream_tbEUlT_E_NS1_11comp_targetILNS1_3genE2ELNS1_11target_archE906ELNS1_3gpuE6ELNS1_3repE0EEENS1_30default_config_static_selectorELNS0_4arch9wavefront6targetE0EEEvSH_ ; -- Begin function _ZN7rocprim17ROCPRIM_400000_NS6detail17trampoline_kernelINS0_14default_configENS1_36segmented_radix_sort_config_selectorIllEEZNS1_25segmented_radix_sort_implIS3_Lb0EPKlPlS8_S9_N2at6native12_GLOBAL__N_18offset_tEEE10hipError_tPvRmT1_PNSt15iterator_traitsISH_E10value_typeET2_T3_PNSI_ISN_E10value_typeET4_jRbjT5_ST_jjP12ihipStream_tbEUlT_E_NS1_11comp_targetILNS1_3genE2ELNS1_11target_archE906ELNS1_3gpuE6ELNS1_3repE0EEENS1_30default_config_static_selectorELNS0_4arch9wavefront6targetE0EEEvSH_
	.p2align	8
	.type	_ZN7rocprim17ROCPRIM_400000_NS6detail17trampoline_kernelINS0_14default_configENS1_36segmented_radix_sort_config_selectorIllEEZNS1_25segmented_radix_sort_implIS3_Lb0EPKlPlS8_S9_N2at6native12_GLOBAL__N_18offset_tEEE10hipError_tPvRmT1_PNSt15iterator_traitsISH_E10value_typeET2_T3_PNSI_ISN_E10value_typeET4_jRbjT5_ST_jjP12ihipStream_tbEUlT_E_NS1_11comp_targetILNS1_3genE2ELNS1_11target_archE906ELNS1_3gpuE6ELNS1_3repE0EEENS1_30default_config_static_selectorELNS0_4arch9wavefront6targetE0EEEvSH_,@function
_ZN7rocprim17ROCPRIM_400000_NS6detail17trampoline_kernelINS0_14default_configENS1_36segmented_radix_sort_config_selectorIllEEZNS1_25segmented_radix_sort_implIS3_Lb0EPKlPlS8_S9_N2at6native12_GLOBAL__N_18offset_tEEE10hipError_tPvRmT1_PNSt15iterator_traitsISH_E10value_typeET2_T3_PNSI_ISN_E10value_typeET4_jRbjT5_ST_jjP12ihipStream_tbEUlT_E_NS1_11comp_targetILNS1_3genE2ELNS1_11target_archE906ELNS1_3gpuE6ELNS1_3repE0EEENS1_30default_config_static_selectorELNS0_4arch9wavefront6targetE0EEEvSH_: ; @_ZN7rocprim17ROCPRIM_400000_NS6detail17trampoline_kernelINS0_14default_configENS1_36segmented_radix_sort_config_selectorIllEEZNS1_25segmented_radix_sort_implIS3_Lb0EPKlPlS8_S9_N2at6native12_GLOBAL__N_18offset_tEEE10hipError_tPvRmT1_PNSt15iterator_traitsISH_E10value_typeET2_T3_PNSI_ISN_E10value_typeET4_jRbjT5_ST_jjP12ihipStream_tbEUlT_E_NS1_11comp_targetILNS1_3genE2ELNS1_11target_archE906ELNS1_3gpuE6ELNS1_3repE0EEENS1_30default_config_static_selectorELNS0_4arch9wavefront6targetE0EEEvSH_
; %bb.0:
	.section	.rodata,"a",@progbits
	.p2align	6, 0x0
	.amdhsa_kernel _ZN7rocprim17ROCPRIM_400000_NS6detail17trampoline_kernelINS0_14default_configENS1_36segmented_radix_sort_config_selectorIllEEZNS1_25segmented_radix_sort_implIS3_Lb0EPKlPlS8_S9_N2at6native12_GLOBAL__N_18offset_tEEE10hipError_tPvRmT1_PNSt15iterator_traitsISH_E10value_typeET2_T3_PNSI_ISN_E10value_typeET4_jRbjT5_ST_jjP12ihipStream_tbEUlT_E_NS1_11comp_targetILNS1_3genE2ELNS1_11target_archE906ELNS1_3gpuE6ELNS1_3repE0EEENS1_30default_config_static_selectorELNS0_4arch9wavefront6targetE0EEEvSH_
		.amdhsa_group_segment_fixed_size 0
		.amdhsa_private_segment_fixed_size 0
		.amdhsa_kernarg_size 96
		.amdhsa_user_sgpr_count 6
		.amdhsa_user_sgpr_private_segment_buffer 1
		.amdhsa_user_sgpr_dispatch_ptr 0
		.amdhsa_user_sgpr_queue_ptr 0
		.amdhsa_user_sgpr_kernarg_segment_ptr 1
		.amdhsa_user_sgpr_dispatch_id 0
		.amdhsa_user_sgpr_flat_scratch_init 0
		.amdhsa_user_sgpr_private_segment_size 0
		.amdhsa_wavefront_size32 1
		.amdhsa_uses_dynamic_stack 0
		.amdhsa_system_sgpr_private_segment_wavefront_offset 0
		.amdhsa_system_sgpr_workgroup_id_x 1
		.amdhsa_system_sgpr_workgroup_id_y 0
		.amdhsa_system_sgpr_workgroup_id_z 0
		.amdhsa_system_sgpr_workgroup_info 0
		.amdhsa_system_vgpr_workitem_id 0
		.amdhsa_next_free_vgpr 1
		.amdhsa_next_free_sgpr 1
		.amdhsa_reserve_vcc 0
		.amdhsa_reserve_flat_scratch 0
		.amdhsa_float_round_mode_32 0
		.amdhsa_float_round_mode_16_64 0
		.amdhsa_float_denorm_mode_32 3
		.amdhsa_float_denorm_mode_16_64 3
		.amdhsa_dx10_clamp 1
		.amdhsa_ieee_mode 1
		.amdhsa_fp16_overflow 0
		.amdhsa_workgroup_processor_mode 1
		.amdhsa_memory_ordered 1
		.amdhsa_forward_progress 1
		.amdhsa_shared_vgpr_count 0
		.amdhsa_exception_fp_ieee_invalid_op 0
		.amdhsa_exception_fp_denorm_src 0
		.amdhsa_exception_fp_ieee_div_zero 0
		.amdhsa_exception_fp_ieee_overflow 0
		.amdhsa_exception_fp_ieee_underflow 0
		.amdhsa_exception_fp_ieee_inexact 0
		.amdhsa_exception_int_div_zero 0
	.end_amdhsa_kernel
	.section	.text._ZN7rocprim17ROCPRIM_400000_NS6detail17trampoline_kernelINS0_14default_configENS1_36segmented_radix_sort_config_selectorIllEEZNS1_25segmented_radix_sort_implIS3_Lb0EPKlPlS8_S9_N2at6native12_GLOBAL__N_18offset_tEEE10hipError_tPvRmT1_PNSt15iterator_traitsISH_E10value_typeET2_T3_PNSI_ISN_E10value_typeET4_jRbjT5_ST_jjP12ihipStream_tbEUlT_E_NS1_11comp_targetILNS1_3genE2ELNS1_11target_archE906ELNS1_3gpuE6ELNS1_3repE0EEENS1_30default_config_static_selectorELNS0_4arch9wavefront6targetE0EEEvSH_,"axG",@progbits,_ZN7rocprim17ROCPRIM_400000_NS6detail17trampoline_kernelINS0_14default_configENS1_36segmented_radix_sort_config_selectorIllEEZNS1_25segmented_radix_sort_implIS3_Lb0EPKlPlS8_S9_N2at6native12_GLOBAL__N_18offset_tEEE10hipError_tPvRmT1_PNSt15iterator_traitsISH_E10value_typeET2_T3_PNSI_ISN_E10value_typeET4_jRbjT5_ST_jjP12ihipStream_tbEUlT_E_NS1_11comp_targetILNS1_3genE2ELNS1_11target_archE906ELNS1_3gpuE6ELNS1_3repE0EEENS1_30default_config_static_selectorELNS0_4arch9wavefront6targetE0EEEvSH_,comdat
.Lfunc_end805:
	.size	_ZN7rocprim17ROCPRIM_400000_NS6detail17trampoline_kernelINS0_14default_configENS1_36segmented_radix_sort_config_selectorIllEEZNS1_25segmented_radix_sort_implIS3_Lb0EPKlPlS8_S9_N2at6native12_GLOBAL__N_18offset_tEEE10hipError_tPvRmT1_PNSt15iterator_traitsISH_E10value_typeET2_T3_PNSI_ISN_E10value_typeET4_jRbjT5_ST_jjP12ihipStream_tbEUlT_E_NS1_11comp_targetILNS1_3genE2ELNS1_11target_archE906ELNS1_3gpuE6ELNS1_3repE0EEENS1_30default_config_static_selectorELNS0_4arch9wavefront6targetE0EEEvSH_, .Lfunc_end805-_ZN7rocprim17ROCPRIM_400000_NS6detail17trampoline_kernelINS0_14default_configENS1_36segmented_radix_sort_config_selectorIllEEZNS1_25segmented_radix_sort_implIS3_Lb0EPKlPlS8_S9_N2at6native12_GLOBAL__N_18offset_tEEE10hipError_tPvRmT1_PNSt15iterator_traitsISH_E10value_typeET2_T3_PNSI_ISN_E10value_typeET4_jRbjT5_ST_jjP12ihipStream_tbEUlT_E_NS1_11comp_targetILNS1_3genE2ELNS1_11target_archE906ELNS1_3gpuE6ELNS1_3repE0EEENS1_30default_config_static_selectorELNS0_4arch9wavefront6targetE0EEEvSH_
                                        ; -- End function
	.set _ZN7rocprim17ROCPRIM_400000_NS6detail17trampoline_kernelINS0_14default_configENS1_36segmented_radix_sort_config_selectorIllEEZNS1_25segmented_radix_sort_implIS3_Lb0EPKlPlS8_S9_N2at6native12_GLOBAL__N_18offset_tEEE10hipError_tPvRmT1_PNSt15iterator_traitsISH_E10value_typeET2_T3_PNSI_ISN_E10value_typeET4_jRbjT5_ST_jjP12ihipStream_tbEUlT_E_NS1_11comp_targetILNS1_3genE2ELNS1_11target_archE906ELNS1_3gpuE6ELNS1_3repE0EEENS1_30default_config_static_selectorELNS0_4arch9wavefront6targetE0EEEvSH_.num_vgpr, 0
	.set _ZN7rocprim17ROCPRIM_400000_NS6detail17trampoline_kernelINS0_14default_configENS1_36segmented_radix_sort_config_selectorIllEEZNS1_25segmented_radix_sort_implIS3_Lb0EPKlPlS8_S9_N2at6native12_GLOBAL__N_18offset_tEEE10hipError_tPvRmT1_PNSt15iterator_traitsISH_E10value_typeET2_T3_PNSI_ISN_E10value_typeET4_jRbjT5_ST_jjP12ihipStream_tbEUlT_E_NS1_11comp_targetILNS1_3genE2ELNS1_11target_archE906ELNS1_3gpuE6ELNS1_3repE0EEENS1_30default_config_static_selectorELNS0_4arch9wavefront6targetE0EEEvSH_.num_agpr, 0
	.set _ZN7rocprim17ROCPRIM_400000_NS6detail17trampoline_kernelINS0_14default_configENS1_36segmented_radix_sort_config_selectorIllEEZNS1_25segmented_radix_sort_implIS3_Lb0EPKlPlS8_S9_N2at6native12_GLOBAL__N_18offset_tEEE10hipError_tPvRmT1_PNSt15iterator_traitsISH_E10value_typeET2_T3_PNSI_ISN_E10value_typeET4_jRbjT5_ST_jjP12ihipStream_tbEUlT_E_NS1_11comp_targetILNS1_3genE2ELNS1_11target_archE906ELNS1_3gpuE6ELNS1_3repE0EEENS1_30default_config_static_selectorELNS0_4arch9wavefront6targetE0EEEvSH_.numbered_sgpr, 0
	.set _ZN7rocprim17ROCPRIM_400000_NS6detail17trampoline_kernelINS0_14default_configENS1_36segmented_radix_sort_config_selectorIllEEZNS1_25segmented_radix_sort_implIS3_Lb0EPKlPlS8_S9_N2at6native12_GLOBAL__N_18offset_tEEE10hipError_tPvRmT1_PNSt15iterator_traitsISH_E10value_typeET2_T3_PNSI_ISN_E10value_typeET4_jRbjT5_ST_jjP12ihipStream_tbEUlT_E_NS1_11comp_targetILNS1_3genE2ELNS1_11target_archE906ELNS1_3gpuE6ELNS1_3repE0EEENS1_30default_config_static_selectorELNS0_4arch9wavefront6targetE0EEEvSH_.num_named_barrier, 0
	.set _ZN7rocprim17ROCPRIM_400000_NS6detail17trampoline_kernelINS0_14default_configENS1_36segmented_radix_sort_config_selectorIllEEZNS1_25segmented_radix_sort_implIS3_Lb0EPKlPlS8_S9_N2at6native12_GLOBAL__N_18offset_tEEE10hipError_tPvRmT1_PNSt15iterator_traitsISH_E10value_typeET2_T3_PNSI_ISN_E10value_typeET4_jRbjT5_ST_jjP12ihipStream_tbEUlT_E_NS1_11comp_targetILNS1_3genE2ELNS1_11target_archE906ELNS1_3gpuE6ELNS1_3repE0EEENS1_30default_config_static_selectorELNS0_4arch9wavefront6targetE0EEEvSH_.private_seg_size, 0
	.set _ZN7rocprim17ROCPRIM_400000_NS6detail17trampoline_kernelINS0_14default_configENS1_36segmented_radix_sort_config_selectorIllEEZNS1_25segmented_radix_sort_implIS3_Lb0EPKlPlS8_S9_N2at6native12_GLOBAL__N_18offset_tEEE10hipError_tPvRmT1_PNSt15iterator_traitsISH_E10value_typeET2_T3_PNSI_ISN_E10value_typeET4_jRbjT5_ST_jjP12ihipStream_tbEUlT_E_NS1_11comp_targetILNS1_3genE2ELNS1_11target_archE906ELNS1_3gpuE6ELNS1_3repE0EEENS1_30default_config_static_selectorELNS0_4arch9wavefront6targetE0EEEvSH_.uses_vcc, 0
	.set _ZN7rocprim17ROCPRIM_400000_NS6detail17trampoline_kernelINS0_14default_configENS1_36segmented_radix_sort_config_selectorIllEEZNS1_25segmented_radix_sort_implIS3_Lb0EPKlPlS8_S9_N2at6native12_GLOBAL__N_18offset_tEEE10hipError_tPvRmT1_PNSt15iterator_traitsISH_E10value_typeET2_T3_PNSI_ISN_E10value_typeET4_jRbjT5_ST_jjP12ihipStream_tbEUlT_E_NS1_11comp_targetILNS1_3genE2ELNS1_11target_archE906ELNS1_3gpuE6ELNS1_3repE0EEENS1_30default_config_static_selectorELNS0_4arch9wavefront6targetE0EEEvSH_.uses_flat_scratch, 0
	.set _ZN7rocprim17ROCPRIM_400000_NS6detail17trampoline_kernelINS0_14default_configENS1_36segmented_radix_sort_config_selectorIllEEZNS1_25segmented_radix_sort_implIS3_Lb0EPKlPlS8_S9_N2at6native12_GLOBAL__N_18offset_tEEE10hipError_tPvRmT1_PNSt15iterator_traitsISH_E10value_typeET2_T3_PNSI_ISN_E10value_typeET4_jRbjT5_ST_jjP12ihipStream_tbEUlT_E_NS1_11comp_targetILNS1_3genE2ELNS1_11target_archE906ELNS1_3gpuE6ELNS1_3repE0EEENS1_30default_config_static_selectorELNS0_4arch9wavefront6targetE0EEEvSH_.has_dyn_sized_stack, 0
	.set _ZN7rocprim17ROCPRIM_400000_NS6detail17trampoline_kernelINS0_14default_configENS1_36segmented_radix_sort_config_selectorIllEEZNS1_25segmented_radix_sort_implIS3_Lb0EPKlPlS8_S9_N2at6native12_GLOBAL__N_18offset_tEEE10hipError_tPvRmT1_PNSt15iterator_traitsISH_E10value_typeET2_T3_PNSI_ISN_E10value_typeET4_jRbjT5_ST_jjP12ihipStream_tbEUlT_E_NS1_11comp_targetILNS1_3genE2ELNS1_11target_archE906ELNS1_3gpuE6ELNS1_3repE0EEENS1_30default_config_static_selectorELNS0_4arch9wavefront6targetE0EEEvSH_.has_recursion, 0
	.set _ZN7rocprim17ROCPRIM_400000_NS6detail17trampoline_kernelINS0_14default_configENS1_36segmented_radix_sort_config_selectorIllEEZNS1_25segmented_radix_sort_implIS3_Lb0EPKlPlS8_S9_N2at6native12_GLOBAL__N_18offset_tEEE10hipError_tPvRmT1_PNSt15iterator_traitsISH_E10value_typeET2_T3_PNSI_ISN_E10value_typeET4_jRbjT5_ST_jjP12ihipStream_tbEUlT_E_NS1_11comp_targetILNS1_3genE2ELNS1_11target_archE906ELNS1_3gpuE6ELNS1_3repE0EEENS1_30default_config_static_selectorELNS0_4arch9wavefront6targetE0EEEvSH_.has_indirect_call, 0
	.section	.AMDGPU.csdata,"",@progbits
; Kernel info:
; codeLenInByte = 0
; TotalNumSgprs: 0
; NumVgprs: 0
; ScratchSize: 0
; MemoryBound: 0
; FloatMode: 240
; IeeeMode: 1
; LDSByteSize: 0 bytes/workgroup (compile time only)
; SGPRBlocks: 0
; VGPRBlocks: 0
; NumSGPRsForWavesPerEU: 1
; NumVGPRsForWavesPerEU: 1
; Occupancy: 16
; WaveLimiterHint : 0
; COMPUTE_PGM_RSRC2:SCRATCH_EN: 0
; COMPUTE_PGM_RSRC2:USER_SGPR: 6
; COMPUTE_PGM_RSRC2:TRAP_HANDLER: 0
; COMPUTE_PGM_RSRC2:TGID_X_EN: 1
; COMPUTE_PGM_RSRC2:TGID_Y_EN: 0
; COMPUTE_PGM_RSRC2:TGID_Z_EN: 0
; COMPUTE_PGM_RSRC2:TIDIG_COMP_CNT: 0
	.section	.text._ZN7rocprim17ROCPRIM_400000_NS6detail17trampoline_kernelINS0_14default_configENS1_36segmented_radix_sort_config_selectorIllEEZNS1_25segmented_radix_sort_implIS3_Lb0EPKlPlS8_S9_N2at6native12_GLOBAL__N_18offset_tEEE10hipError_tPvRmT1_PNSt15iterator_traitsISH_E10value_typeET2_T3_PNSI_ISN_E10value_typeET4_jRbjT5_ST_jjP12ihipStream_tbEUlT_E_NS1_11comp_targetILNS1_3genE10ELNS1_11target_archE1201ELNS1_3gpuE5ELNS1_3repE0EEENS1_30default_config_static_selectorELNS0_4arch9wavefront6targetE0EEEvSH_,"axG",@progbits,_ZN7rocprim17ROCPRIM_400000_NS6detail17trampoline_kernelINS0_14default_configENS1_36segmented_radix_sort_config_selectorIllEEZNS1_25segmented_radix_sort_implIS3_Lb0EPKlPlS8_S9_N2at6native12_GLOBAL__N_18offset_tEEE10hipError_tPvRmT1_PNSt15iterator_traitsISH_E10value_typeET2_T3_PNSI_ISN_E10value_typeET4_jRbjT5_ST_jjP12ihipStream_tbEUlT_E_NS1_11comp_targetILNS1_3genE10ELNS1_11target_archE1201ELNS1_3gpuE5ELNS1_3repE0EEENS1_30default_config_static_selectorELNS0_4arch9wavefront6targetE0EEEvSH_,comdat
	.globl	_ZN7rocprim17ROCPRIM_400000_NS6detail17trampoline_kernelINS0_14default_configENS1_36segmented_radix_sort_config_selectorIllEEZNS1_25segmented_radix_sort_implIS3_Lb0EPKlPlS8_S9_N2at6native12_GLOBAL__N_18offset_tEEE10hipError_tPvRmT1_PNSt15iterator_traitsISH_E10value_typeET2_T3_PNSI_ISN_E10value_typeET4_jRbjT5_ST_jjP12ihipStream_tbEUlT_E_NS1_11comp_targetILNS1_3genE10ELNS1_11target_archE1201ELNS1_3gpuE5ELNS1_3repE0EEENS1_30default_config_static_selectorELNS0_4arch9wavefront6targetE0EEEvSH_ ; -- Begin function _ZN7rocprim17ROCPRIM_400000_NS6detail17trampoline_kernelINS0_14default_configENS1_36segmented_radix_sort_config_selectorIllEEZNS1_25segmented_radix_sort_implIS3_Lb0EPKlPlS8_S9_N2at6native12_GLOBAL__N_18offset_tEEE10hipError_tPvRmT1_PNSt15iterator_traitsISH_E10value_typeET2_T3_PNSI_ISN_E10value_typeET4_jRbjT5_ST_jjP12ihipStream_tbEUlT_E_NS1_11comp_targetILNS1_3genE10ELNS1_11target_archE1201ELNS1_3gpuE5ELNS1_3repE0EEENS1_30default_config_static_selectorELNS0_4arch9wavefront6targetE0EEEvSH_
	.p2align	8
	.type	_ZN7rocprim17ROCPRIM_400000_NS6detail17trampoline_kernelINS0_14default_configENS1_36segmented_radix_sort_config_selectorIllEEZNS1_25segmented_radix_sort_implIS3_Lb0EPKlPlS8_S9_N2at6native12_GLOBAL__N_18offset_tEEE10hipError_tPvRmT1_PNSt15iterator_traitsISH_E10value_typeET2_T3_PNSI_ISN_E10value_typeET4_jRbjT5_ST_jjP12ihipStream_tbEUlT_E_NS1_11comp_targetILNS1_3genE10ELNS1_11target_archE1201ELNS1_3gpuE5ELNS1_3repE0EEENS1_30default_config_static_selectorELNS0_4arch9wavefront6targetE0EEEvSH_,@function
_ZN7rocprim17ROCPRIM_400000_NS6detail17trampoline_kernelINS0_14default_configENS1_36segmented_radix_sort_config_selectorIllEEZNS1_25segmented_radix_sort_implIS3_Lb0EPKlPlS8_S9_N2at6native12_GLOBAL__N_18offset_tEEE10hipError_tPvRmT1_PNSt15iterator_traitsISH_E10value_typeET2_T3_PNSI_ISN_E10value_typeET4_jRbjT5_ST_jjP12ihipStream_tbEUlT_E_NS1_11comp_targetILNS1_3genE10ELNS1_11target_archE1201ELNS1_3gpuE5ELNS1_3repE0EEENS1_30default_config_static_selectorELNS0_4arch9wavefront6targetE0EEEvSH_: ; @_ZN7rocprim17ROCPRIM_400000_NS6detail17trampoline_kernelINS0_14default_configENS1_36segmented_radix_sort_config_selectorIllEEZNS1_25segmented_radix_sort_implIS3_Lb0EPKlPlS8_S9_N2at6native12_GLOBAL__N_18offset_tEEE10hipError_tPvRmT1_PNSt15iterator_traitsISH_E10value_typeET2_T3_PNSI_ISN_E10value_typeET4_jRbjT5_ST_jjP12ihipStream_tbEUlT_E_NS1_11comp_targetILNS1_3genE10ELNS1_11target_archE1201ELNS1_3gpuE5ELNS1_3repE0EEENS1_30default_config_static_selectorELNS0_4arch9wavefront6targetE0EEEvSH_
; %bb.0:
	.section	.rodata,"a",@progbits
	.p2align	6, 0x0
	.amdhsa_kernel _ZN7rocprim17ROCPRIM_400000_NS6detail17trampoline_kernelINS0_14default_configENS1_36segmented_radix_sort_config_selectorIllEEZNS1_25segmented_radix_sort_implIS3_Lb0EPKlPlS8_S9_N2at6native12_GLOBAL__N_18offset_tEEE10hipError_tPvRmT1_PNSt15iterator_traitsISH_E10value_typeET2_T3_PNSI_ISN_E10value_typeET4_jRbjT5_ST_jjP12ihipStream_tbEUlT_E_NS1_11comp_targetILNS1_3genE10ELNS1_11target_archE1201ELNS1_3gpuE5ELNS1_3repE0EEENS1_30default_config_static_selectorELNS0_4arch9wavefront6targetE0EEEvSH_
		.amdhsa_group_segment_fixed_size 0
		.amdhsa_private_segment_fixed_size 0
		.amdhsa_kernarg_size 96
		.amdhsa_user_sgpr_count 6
		.amdhsa_user_sgpr_private_segment_buffer 1
		.amdhsa_user_sgpr_dispatch_ptr 0
		.amdhsa_user_sgpr_queue_ptr 0
		.amdhsa_user_sgpr_kernarg_segment_ptr 1
		.amdhsa_user_sgpr_dispatch_id 0
		.amdhsa_user_sgpr_flat_scratch_init 0
		.amdhsa_user_sgpr_private_segment_size 0
		.amdhsa_wavefront_size32 1
		.amdhsa_uses_dynamic_stack 0
		.amdhsa_system_sgpr_private_segment_wavefront_offset 0
		.amdhsa_system_sgpr_workgroup_id_x 1
		.amdhsa_system_sgpr_workgroup_id_y 0
		.amdhsa_system_sgpr_workgroup_id_z 0
		.amdhsa_system_sgpr_workgroup_info 0
		.amdhsa_system_vgpr_workitem_id 0
		.amdhsa_next_free_vgpr 1
		.amdhsa_next_free_sgpr 1
		.amdhsa_reserve_vcc 0
		.amdhsa_reserve_flat_scratch 0
		.amdhsa_float_round_mode_32 0
		.amdhsa_float_round_mode_16_64 0
		.amdhsa_float_denorm_mode_32 3
		.amdhsa_float_denorm_mode_16_64 3
		.amdhsa_dx10_clamp 1
		.amdhsa_ieee_mode 1
		.amdhsa_fp16_overflow 0
		.amdhsa_workgroup_processor_mode 1
		.amdhsa_memory_ordered 1
		.amdhsa_forward_progress 1
		.amdhsa_shared_vgpr_count 0
		.amdhsa_exception_fp_ieee_invalid_op 0
		.amdhsa_exception_fp_denorm_src 0
		.amdhsa_exception_fp_ieee_div_zero 0
		.amdhsa_exception_fp_ieee_overflow 0
		.amdhsa_exception_fp_ieee_underflow 0
		.amdhsa_exception_fp_ieee_inexact 0
		.amdhsa_exception_int_div_zero 0
	.end_amdhsa_kernel
	.section	.text._ZN7rocprim17ROCPRIM_400000_NS6detail17trampoline_kernelINS0_14default_configENS1_36segmented_radix_sort_config_selectorIllEEZNS1_25segmented_radix_sort_implIS3_Lb0EPKlPlS8_S9_N2at6native12_GLOBAL__N_18offset_tEEE10hipError_tPvRmT1_PNSt15iterator_traitsISH_E10value_typeET2_T3_PNSI_ISN_E10value_typeET4_jRbjT5_ST_jjP12ihipStream_tbEUlT_E_NS1_11comp_targetILNS1_3genE10ELNS1_11target_archE1201ELNS1_3gpuE5ELNS1_3repE0EEENS1_30default_config_static_selectorELNS0_4arch9wavefront6targetE0EEEvSH_,"axG",@progbits,_ZN7rocprim17ROCPRIM_400000_NS6detail17trampoline_kernelINS0_14default_configENS1_36segmented_radix_sort_config_selectorIllEEZNS1_25segmented_radix_sort_implIS3_Lb0EPKlPlS8_S9_N2at6native12_GLOBAL__N_18offset_tEEE10hipError_tPvRmT1_PNSt15iterator_traitsISH_E10value_typeET2_T3_PNSI_ISN_E10value_typeET4_jRbjT5_ST_jjP12ihipStream_tbEUlT_E_NS1_11comp_targetILNS1_3genE10ELNS1_11target_archE1201ELNS1_3gpuE5ELNS1_3repE0EEENS1_30default_config_static_selectorELNS0_4arch9wavefront6targetE0EEEvSH_,comdat
.Lfunc_end806:
	.size	_ZN7rocprim17ROCPRIM_400000_NS6detail17trampoline_kernelINS0_14default_configENS1_36segmented_radix_sort_config_selectorIllEEZNS1_25segmented_radix_sort_implIS3_Lb0EPKlPlS8_S9_N2at6native12_GLOBAL__N_18offset_tEEE10hipError_tPvRmT1_PNSt15iterator_traitsISH_E10value_typeET2_T3_PNSI_ISN_E10value_typeET4_jRbjT5_ST_jjP12ihipStream_tbEUlT_E_NS1_11comp_targetILNS1_3genE10ELNS1_11target_archE1201ELNS1_3gpuE5ELNS1_3repE0EEENS1_30default_config_static_selectorELNS0_4arch9wavefront6targetE0EEEvSH_, .Lfunc_end806-_ZN7rocprim17ROCPRIM_400000_NS6detail17trampoline_kernelINS0_14default_configENS1_36segmented_radix_sort_config_selectorIllEEZNS1_25segmented_radix_sort_implIS3_Lb0EPKlPlS8_S9_N2at6native12_GLOBAL__N_18offset_tEEE10hipError_tPvRmT1_PNSt15iterator_traitsISH_E10value_typeET2_T3_PNSI_ISN_E10value_typeET4_jRbjT5_ST_jjP12ihipStream_tbEUlT_E_NS1_11comp_targetILNS1_3genE10ELNS1_11target_archE1201ELNS1_3gpuE5ELNS1_3repE0EEENS1_30default_config_static_selectorELNS0_4arch9wavefront6targetE0EEEvSH_
                                        ; -- End function
	.set _ZN7rocprim17ROCPRIM_400000_NS6detail17trampoline_kernelINS0_14default_configENS1_36segmented_radix_sort_config_selectorIllEEZNS1_25segmented_radix_sort_implIS3_Lb0EPKlPlS8_S9_N2at6native12_GLOBAL__N_18offset_tEEE10hipError_tPvRmT1_PNSt15iterator_traitsISH_E10value_typeET2_T3_PNSI_ISN_E10value_typeET4_jRbjT5_ST_jjP12ihipStream_tbEUlT_E_NS1_11comp_targetILNS1_3genE10ELNS1_11target_archE1201ELNS1_3gpuE5ELNS1_3repE0EEENS1_30default_config_static_selectorELNS0_4arch9wavefront6targetE0EEEvSH_.num_vgpr, 0
	.set _ZN7rocprim17ROCPRIM_400000_NS6detail17trampoline_kernelINS0_14default_configENS1_36segmented_radix_sort_config_selectorIllEEZNS1_25segmented_radix_sort_implIS3_Lb0EPKlPlS8_S9_N2at6native12_GLOBAL__N_18offset_tEEE10hipError_tPvRmT1_PNSt15iterator_traitsISH_E10value_typeET2_T3_PNSI_ISN_E10value_typeET4_jRbjT5_ST_jjP12ihipStream_tbEUlT_E_NS1_11comp_targetILNS1_3genE10ELNS1_11target_archE1201ELNS1_3gpuE5ELNS1_3repE0EEENS1_30default_config_static_selectorELNS0_4arch9wavefront6targetE0EEEvSH_.num_agpr, 0
	.set _ZN7rocprim17ROCPRIM_400000_NS6detail17trampoline_kernelINS0_14default_configENS1_36segmented_radix_sort_config_selectorIllEEZNS1_25segmented_radix_sort_implIS3_Lb0EPKlPlS8_S9_N2at6native12_GLOBAL__N_18offset_tEEE10hipError_tPvRmT1_PNSt15iterator_traitsISH_E10value_typeET2_T3_PNSI_ISN_E10value_typeET4_jRbjT5_ST_jjP12ihipStream_tbEUlT_E_NS1_11comp_targetILNS1_3genE10ELNS1_11target_archE1201ELNS1_3gpuE5ELNS1_3repE0EEENS1_30default_config_static_selectorELNS0_4arch9wavefront6targetE0EEEvSH_.numbered_sgpr, 0
	.set _ZN7rocprim17ROCPRIM_400000_NS6detail17trampoline_kernelINS0_14default_configENS1_36segmented_radix_sort_config_selectorIllEEZNS1_25segmented_radix_sort_implIS3_Lb0EPKlPlS8_S9_N2at6native12_GLOBAL__N_18offset_tEEE10hipError_tPvRmT1_PNSt15iterator_traitsISH_E10value_typeET2_T3_PNSI_ISN_E10value_typeET4_jRbjT5_ST_jjP12ihipStream_tbEUlT_E_NS1_11comp_targetILNS1_3genE10ELNS1_11target_archE1201ELNS1_3gpuE5ELNS1_3repE0EEENS1_30default_config_static_selectorELNS0_4arch9wavefront6targetE0EEEvSH_.num_named_barrier, 0
	.set _ZN7rocprim17ROCPRIM_400000_NS6detail17trampoline_kernelINS0_14default_configENS1_36segmented_radix_sort_config_selectorIllEEZNS1_25segmented_radix_sort_implIS3_Lb0EPKlPlS8_S9_N2at6native12_GLOBAL__N_18offset_tEEE10hipError_tPvRmT1_PNSt15iterator_traitsISH_E10value_typeET2_T3_PNSI_ISN_E10value_typeET4_jRbjT5_ST_jjP12ihipStream_tbEUlT_E_NS1_11comp_targetILNS1_3genE10ELNS1_11target_archE1201ELNS1_3gpuE5ELNS1_3repE0EEENS1_30default_config_static_selectorELNS0_4arch9wavefront6targetE0EEEvSH_.private_seg_size, 0
	.set _ZN7rocprim17ROCPRIM_400000_NS6detail17trampoline_kernelINS0_14default_configENS1_36segmented_radix_sort_config_selectorIllEEZNS1_25segmented_radix_sort_implIS3_Lb0EPKlPlS8_S9_N2at6native12_GLOBAL__N_18offset_tEEE10hipError_tPvRmT1_PNSt15iterator_traitsISH_E10value_typeET2_T3_PNSI_ISN_E10value_typeET4_jRbjT5_ST_jjP12ihipStream_tbEUlT_E_NS1_11comp_targetILNS1_3genE10ELNS1_11target_archE1201ELNS1_3gpuE5ELNS1_3repE0EEENS1_30default_config_static_selectorELNS0_4arch9wavefront6targetE0EEEvSH_.uses_vcc, 0
	.set _ZN7rocprim17ROCPRIM_400000_NS6detail17trampoline_kernelINS0_14default_configENS1_36segmented_radix_sort_config_selectorIllEEZNS1_25segmented_radix_sort_implIS3_Lb0EPKlPlS8_S9_N2at6native12_GLOBAL__N_18offset_tEEE10hipError_tPvRmT1_PNSt15iterator_traitsISH_E10value_typeET2_T3_PNSI_ISN_E10value_typeET4_jRbjT5_ST_jjP12ihipStream_tbEUlT_E_NS1_11comp_targetILNS1_3genE10ELNS1_11target_archE1201ELNS1_3gpuE5ELNS1_3repE0EEENS1_30default_config_static_selectorELNS0_4arch9wavefront6targetE0EEEvSH_.uses_flat_scratch, 0
	.set _ZN7rocprim17ROCPRIM_400000_NS6detail17trampoline_kernelINS0_14default_configENS1_36segmented_radix_sort_config_selectorIllEEZNS1_25segmented_radix_sort_implIS3_Lb0EPKlPlS8_S9_N2at6native12_GLOBAL__N_18offset_tEEE10hipError_tPvRmT1_PNSt15iterator_traitsISH_E10value_typeET2_T3_PNSI_ISN_E10value_typeET4_jRbjT5_ST_jjP12ihipStream_tbEUlT_E_NS1_11comp_targetILNS1_3genE10ELNS1_11target_archE1201ELNS1_3gpuE5ELNS1_3repE0EEENS1_30default_config_static_selectorELNS0_4arch9wavefront6targetE0EEEvSH_.has_dyn_sized_stack, 0
	.set _ZN7rocprim17ROCPRIM_400000_NS6detail17trampoline_kernelINS0_14default_configENS1_36segmented_radix_sort_config_selectorIllEEZNS1_25segmented_radix_sort_implIS3_Lb0EPKlPlS8_S9_N2at6native12_GLOBAL__N_18offset_tEEE10hipError_tPvRmT1_PNSt15iterator_traitsISH_E10value_typeET2_T3_PNSI_ISN_E10value_typeET4_jRbjT5_ST_jjP12ihipStream_tbEUlT_E_NS1_11comp_targetILNS1_3genE10ELNS1_11target_archE1201ELNS1_3gpuE5ELNS1_3repE0EEENS1_30default_config_static_selectorELNS0_4arch9wavefront6targetE0EEEvSH_.has_recursion, 0
	.set _ZN7rocprim17ROCPRIM_400000_NS6detail17trampoline_kernelINS0_14default_configENS1_36segmented_radix_sort_config_selectorIllEEZNS1_25segmented_radix_sort_implIS3_Lb0EPKlPlS8_S9_N2at6native12_GLOBAL__N_18offset_tEEE10hipError_tPvRmT1_PNSt15iterator_traitsISH_E10value_typeET2_T3_PNSI_ISN_E10value_typeET4_jRbjT5_ST_jjP12ihipStream_tbEUlT_E_NS1_11comp_targetILNS1_3genE10ELNS1_11target_archE1201ELNS1_3gpuE5ELNS1_3repE0EEENS1_30default_config_static_selectorELNS0_4arch9wavefront6targetE0EEEvSH_.has_indirect_call, 0
	.section	.AMDGPU.csdata,"",@progbits
; Kernel info:
; codeLenInByte = 0
; TotalNumSgprs: 0
; NumVgprs: 0
; ScratchSize: 0
; MemoryBound: 0
; FloatMode: 240
; IeeeMode: 1
; LDSByteSize: 0 bytes/workgroup (compile time only)
; SGPRBlocks: 0
; VGPRBlocks: 0
; NumSGPRsForWavesPerEU: 1
; NumVGPRsForWavesPerEU: 1
; Occupancy: 16
; WaveLimiterHint : 0
; COMPUTE_PGM_RSRC2:SCRATCH_EN: 0
; COMPUTE_PGM_RSRC2:USER_SGPR: 6
; COMPUTE_PGM_RSRC2:TRAP_HANDLER: 0
; COMPUTE_PGM_RSRC2:TGID_X_EN: 1
; COMPUTE_PGM_RSRC2:TGID_Y_EN: 0
; COMPUTE_PGM_RSRC2:TGID_Z_EN: 0
; COMPUTE_PGM_RSRC2:TIDIG_COMP_CNT: 0
	.section	.text._ZN7rocprim17ROCPRIM_400000_NS6detail17trampoline_kernelINS0_14default_configENS1_36segmented_radix_sort_config_selectorIllEEZNS1_25segmented_radix_sort_implIS3_Lb0EPKlPlS8_S9_N2at6native12_GLOBAL__N_18offset_tEEE10hipError_tPvRmT1_PNSt15iterator_traitsISH_E10value_typeET2_T3_PNSI_ISN_E10value_typeET4_jRbjT5_ST_jjP12ihipStream_tbEUlT_E_NS1_11comp_targetILNS1_3genE10ELNS1_11target_archE1200ELNS1_3gpuE4ELNS1_3repE0EEENS1_30default_config_static_selectorELNS0_4arch9wavefront6targetE0EEEvSH_,"axG",@progbits,_ZN7rocprim17ROCPRIM_400000_NS6detail17trampoline_kernelINS0_14default_configENS1_36segmented_radix_sort_config_selectorIllEEZNS1_25segmented_radix_sort_implIS3_Lb0EPKlPlS8_S9_N2at6native12_GLOBAL__N_18offset_tEEE10hipError_tPvRmT1_PNSt15iterator_traitsISH_E10value_typeET2_T3_PNSI_ISN_E10value_typeET4_jRbjT5_ST_jjP12ihipStream_tbEUlT_E_NS1_11comp_targetILNS1_3genE10ELNS1_11target_archE1200ELNS1_3gpuE4ELNS1_3repE0EEENS1_30default_config_static_selectorELNS0_4arch9wavefront6targetE0EEEvSH_,comdat
	.globl	_ZN7rocprim17ROCPRIM_400000_NS6detail17trampoline_kernelINS0_14default_configENS1_36segmented_radix_sort_config_selectorIllEEZNS1_25segmented_radix_sort_implIS3_Lb0EPKlPlS8_S9_N2at6native12_GLOBAL__N_18offset_tEEE10hipError_tPvRmT1_PNSt15iterator_traitsISH_E10value_typeET2_T3_PNSI_ISN_E10value_typeET4_jRbjT5_ST_jjP12ihipStream_tbEUlT_E_NS1_11comp_targetILNS1_3genE10ELNS1_11target_archE1200ELNS1_3gpuE4ELNS1_3repE0EEENS1_30default_config_static_selectorELNS0_4arch9wavefront6targetE0EEEvSH_ ; -- Begin function _ZN7rocprim17ROCPRIM_400000_NS6detail17trampoline_kernelINS0_14default_configENS1_36segmented_radix_sort_config_selectorIllEEZNS1_25segmented_radix_sort_implIS3_Lb0EPKlPlS8_S9_N2at6native12_GLOBAL__N_18offset_tEEE10hipError_tPvRmT1_PNSt15iterator_traitsISH_E10value_typeET2_T3_PNSI_ISN_E10value_typeET4_jRbjT5_ST_jjP12ihipStream_tbEUlT_E_NS1_11comp_targetILNS1_3genE10ELNS1_11target_archE1200ELNS1_3gpuE4ELNS1_3repE0EEENS1_30default_config_static_selectorELNS0_4arch9wavefront6targetE0EEEvSH_
	.p2align	8
	.type	_ZN7rocprim17ROCPRIM_400000_NS6detail17trampoline_kernelINS0_14default_configENS1_36segmented_radix_sort_config_selectorIllEEZNS1_25segmented_radix_sort_implIS3_Lb0EPKlPlS8_S9_N2at6native12_GLOBAL__N_18offset_tEEE10hipError_tPvRmT1_PNSt15iterator_traitsISH_E10value_typeET2_T3_PNSI_ISN_E10value_typeET4_jRbjT5_ST_jjP12ihipStream_tbEUlT_E_NS1_11comp_targetILNS1_3genE10ELNS1_11target_archE1200ELNS1_3gpuE4ELNS1_3repE0EEENS1_30default_config_static_selectorELNS0_4arch9wavefront6targetE0EEEvSH_,@function
_ZN7rocprim17ROCPRIM_400000_NS6detail17trampoline_kernelINS0_14default_configENS1_36segmented_radix_sort_config_selectorIllEEZNS1_25segmented_radix_sort_implIS3_Lb0EPKlPlS8_S9_N2at6native12_GLOBAL__N_18offset_tEEE10hipError_tPvRmT1_PNSt15iterator_traitsISH_E10value_typeET2_T3_PNSI_ISN_E10value_typeET4_jRbjT5_ST_jjP12ihipStream_tbEUlT_E_NS1_11comp_targetILNS1_3genE10ELNS1_11target_archE1200ELNS1_3gpuE4ELNS1_3repE0EEENS1_30default_config_static_selectorELNS0_4arch9wavefront6targetE0EEEvSH_: ; @_ZN7rocprim17ROCPRIM_400000_NS6detail17trampoline_kernelINS0_14default_configENS1_36segmented_radix_sort_config_selectorIllEEZNS1_25segmented_radix_sort_implIS3_Lb0EPKlPlS8_S9_N2at6native12_GLOBAL__N_18offset_tEEE10hipError_tPvRmT1_PNSt15iterator_traitsISH_E10value_typeET2_T3_PNSI_ISN_E10value_typeET4_jRbjT5_ST_jjP12ihipStream_tbEUlT_E_NS1_11comp_targetILNS1_3genE10ELNS1_11target_archE1200ELNS1_3gpuE4ELNS1_3repE0EEENS1_30default_config_static_selectorELNS0_4arch9wavefront6targetE0EEEvSH_
; %bb.0:
	.section	.rodata,"a",@progbits
	.p2align	6, 0x0
	.amdhsa_kernel _ZN7rocprim17ROCPRIM_400000_NS6detail17trampoline_kernelINS0_14default_configENS1_36segmented_radix_sort_config_selectorIllEEZNS1_25segmented_radix_sort_implIS3_Lb0EPKlPlS8_S9_N2at6native12_GLOBAL__N_18offset_tEEE10hipError_tPvRmT1_PNSt15iterator_traitsISH_E10value_typeET2_T3_PNSI_ISN_E10value_typeET4_jRbjT5_ST_jjP12ihipStream_tbEUlT_E_NS1_11comp_targetILNS1_3genE10ELNS1_11target_archE1200ELNS1_3gpuE4ELNS1_3repE0EEENS1_30default_config_static_selectorELNS0_4arch9wavefront6targetE0EEEvSH_
		.amdhsa_group_segment_fixed_size 0
		.amdhsa_private_segment_fixed_size 0
		.amdhsa_kernarg_size 96
		.amdhsa_user_sgpr_count 6
		.amdhsa_user_sgpr_private_segment_buffer 1
		.amdhsa_user_sgpr_dispatch_ptr 0
		.amdhsa_user_sgpr_queue_ptr 0
		.amdhsa_user_sgpr_kernarg_segment_ptr 1
		.amdhsa_user_sgpr_dispatch_id 0
		.amdhsa_user_sgpr_flat_scratch_init 0
		.amdhsa_user_sgpr_private_segment_size 0
		.amdhsa_wavefront_size32 1
		.amdhsa_uses_dynamic_stack 0
		.amdhsa_system_sgpr_private_segment_wavefront_offset 0
		.amdhsa_system_sgpr_workgroup_id_x 1
		.amdhsa_system_sgpr_workgroup_id_y 0
		.amdhsa_system_sgpr_workgroup_id_z 0
		.amdhsa_system_sgpr_workgroup_info 0
		.amdhsa_system_vgpr_workitem_id 0
		.amdhsa_next_free_vgpr 1
		.amdhsa_next_free_sgpr 1
		.amdhsa_reserve_vcc 0
		.amdhsa_reserve_flat_scratch 0
		.amdhsa_float_round_mode_32 0
		.amdhsa_float_round_mode_16_64 0
		.amdhsa_float_denorm_mode_32 3
		.amdhsa_float_denorm_mode_16_64 3
		.amdhsa_dx10_clamp 1
		.amdhsa_ieee_mode 1
		.amdhsa_fp16_overflow 0
		.amdhsa_workgroup_processor_mode 1
		.amdhsa_memory_ordered 1
		.amdhsa_forward_progress 1
		.amdhsa_shared_vgpr_count 0
		.amdhsa_exception_fp_ieee_invalid_op 0
		.amdhsa_exception_fp_denorm_src 0
		.amdhsa_exception_fp_ieee_div_zero 0
		.amdhsa_exception_fp_ieee_overflow 0
		.amdhsa_exception_fp_ieee_underflow 0
		.amdhsa_exception_fp_ieee_inexact 0
		.amdhsa_exception_int_div_zero 0
	.end_amdhsa_kernel
	.section	.text._ZN7rocprim17ROCPRIM_400000_NS6detail17trampoline_kernelINS0_14default_configENS1_36segmented_radix_sort_config_selectorIllEEZNS1_25segmented_radix_sort_implIS3_Lb0EPKlPlS8_S9_N2at6native12_GLOBAL__N_18offset_tEEE10hipError_tPvRmT1_PNSt15iterator_traitsISH_E10value_typeET2_T3_PNSI_ISN_E10value_typeET4_jRbjT5_ST_jjP12ihipStream_tbEUlT_E_NS1_11comp_targetILNS1_3genE10ELNS1_11target_archE1200ELNS1_3gpuE4ELNS1_3repE0EEENS1_30default_config_static_selectorELNS0_4arch9wavefront6targetE0EEEvSH_,"axG",@progbits,_ZN7rocprim17ROCPRIM_400000_NS6detail17trampoline_kernelINS0_14default_configENS1_36segmented_radix_sort_config_selectorIllEEZNS1_25segmented_radix_sort_implIS3_Lb0EPKlPlS8_S9_N2at6native12_GLOBAL__N_18offset_tEEE10hipError_tPvRmT1_PNSt15iterator_traitsISH_E10value_typeET2_T3_PNSI_ISN_E10value_typeET4_jRbjT5_ST_jjP12ihipStream_tbEUlT_E_NS1_11comp_targetILNS1_3genE10ELNS1_11target_archE1200ELNS1_3gpuE4ELNS1_3repE0EEENS1_30default_config_static_selectorELNS0_4arch9wavefront6targetE0EEEvSH_,comdat
.Lfunc_end807:
	.size	_ZN7rocprim17ROCPRIM_400000_NS6detail17trampoline_kernelINS0_14default_configENS1_36segmented_radix_sort_config_selectorIllEEZNS1_25segmented_radix_sort_implIS3_Lb0EPKlPlS8_S9_N2at6native12_GLOBAL__N_18offset_tEEE10hipError_tPvRmT1_PNSt15iterator_traitsISH_E10value_typeET2_T3_PNSI_ISN_E10value_typeET4_jRbjT5_ST_jjP12ihipStream_tbEUlT_E_NS1_11comp_targetILNS1_3genE10ELNS1_11target_archE1200ELNS1_3gpuE4ELNS1_3repE0EEENS1_30default_config_static_selectorELNS0_4arch9wavefront6targetE0EEEvSH_, .Lfunc_end807-_ZN7rocprim17ROCPRIM_400000_NS6detail17trampoline_kernelINS0_14default_configENS1_36segmented_radix_sort_config_selectorIllEEZNS1_25segmented_radix_sort_implIS3_Lb0EPKlPlS8_S9_N2at6native12_GLOBAL__N_18offset_tEEE10hipError_tPvRmT1_PNSt15iterator_traitsISH_E10value_typeET2_T3_PNSI_ISN_E10value_typeET4_jRbjT5_ST_jjP12ihipStream_tbEUlT_E_NS1_11comp_targetILNS1_3genE10ELNS1_11target_archE1200ELNS1_3gpuE4ELNS1_3repE0EEENS1_30default_config_static_selectorELNS0_4arch9wavefront6targetE0EEEvSH_
                                        ; -- End function
	.set _ZN7rocprim17ROCPRIM_400000_NS6detail17trampoline_kernelINS0_14default_configENS1_36segmented_radix_sort_config_selectorIllEEZNS1_25segmented_radix_sort_implIS3_Lb0EPKlPlS8_S9_N2at6native12_GLOBAL__N_18offset_tEEE10hipError_tPvRmT1_PNSt15iterator_traitsISH_E10value_typeET2_T3_PNSI_ISN_E10value_typeET4_jRbjT5_ST_jjP12ihipStream_tbEUlT_E_NS1_11comp_targetILNS1_3genE10ELNS1_11target_archE1200ELNS1_3gpuE4ELNS1_3repE0EEENS1_30default_config_static_selectorELNS0_4arch9wavefront6targetE0EEEvSH_.num_vgpr, 0
	.set _ZN7rocprim17ROCPRIM_400000_NS6detail17trampoline_kernelINS0_14default_configENS1_36segmented_radix_sort_config_selectorIllEEZNS1_25segmented_radix_sort_implIS3_Lb0EPKlPlS8_S9_N2at6native12_GLOBAL__N_18offset_tEEE10hipError_tPvRmT1_PNSt15iterator_traitsISH_E10value_typeET2_T3_PNSI_ISN_E10value_typeET4_jRbjT5_ST_jjP12ihipStream_tbEUlT_E_NS1_11comp_targetILNS1_3genE10ELNS1_11target_archE1200ELNS1_3gpuE4ELNS1_3repE0EEENS1_30default_config_static_selectorELNS0_4arch9wavefront6targetE0EEEvSH_.num_agpr, 0
	.set _ZN7rocprim17ROCPRIM_400000_NS6detail17trampoline_kernelINS0_14default_configENS1_36segmented_radix_sort_config_selectorIllEEZNS1_25segmented_radix_sort_implIS3_Lb0EPKlPlS8_S9_N2at6native12_GLOBAL__N_18offset_tEEE10hipError_tPvRmT1_PNSt15iterator_traitsISH_E10value_typeET2_T3_PNSI_ISN_E10value_typeET4_jRbjT5_ST_jjP12ihipStream_tbEUlT_E_NS1_11comp_targetILNS1_3genE10ELNS1_11target_archE1200ELNS1_3gpuE4ELNS1_3repE0EEENS1_30default_config_static_selectorELNS0_4arch9wavefront6targetE0EEEvSH_.numbered_sgpr, 0
	.set _ZN7rocprim17ROCPRIM_400000_NS6detail17trampoline_kernelINS0_14default_configENS1_36segmented_radix_sort_config_selectorIllEEZNS1_25segmented_radix_sort_implIS3_Lb0EPKlPlS8_S9_N2at6native12_GLOBAL__N_18offset_tEEE10hipError_tPvRmT1_PNSt15iterator_traitsISH_E10value_typeET2_T3_PNSI_ISN_E10value_typeET4_jRbjT5_ST_jjP12ihipStream_tbEUlT_E_NS1_11comp_targetILNS1_3genE10ELNS1_11target_archE1200ELNS1_3gpuE4ELNS1_3repE0EEENS1_30default_config_static_selectorELNS0_4arch9wavefront6targetE0EEEvSH_.num_named_barrier, 0
	.set _ZN7rocprim17ROCPRIM_400000_NS6detail17trampoline_kernelINS0_14default_configENS1_36segmented_radix_sort_config_selectorIllEEZNS1_25segmented_radix_sort_implIS3_Lb0EPKlPlS8_S9_N2at6native12_GLOBAL__N_18offset_tEEE10hipError_tPvRmT1_PNSt15iterator_traitsISH_E10value_typeET2_T3_PNSI_ISN_E10value_typeET4_jRbjT5_ST_jjP12ihipStream_tbEUlT_E_NS1_11comp_targetILNS1_3genE10ELNS1_11target_archE1200ELNS1_3gpuE4ELNS1_3repE0EEENS1_30default_config_static_selectorELNS0_4arch9wavefront6targetE0EEEvSH_.private_seg_size, 0
	.set _ZN7rocprim17ROCPRIM_400000_NS6detail17trampoline_kernelINS0_14default_configENS1_36segmented_radix_sort_config_selectorIllEEZNS1_25segmented_radix_sort_implIS3_Lb0EPKlPlS8_S9_N2at6native12_GLOBAL__N_18offset_tEEE10hipError_tPvRmT1_PNSt15iterator_traitsISH_E10value_typeET2_T3_PNSI_ISN_E10value_typeET4_jRbjT5_ST_jjP12ihipStream_tbEUlT_E_NS1_11comp_targetILNS1_3genE10ELNS1_11target_archE1200ELNS1_3gpuE4ELNS1_3repE0EEENS1_30default_config_static_selectorELNS0_4arch9wavefront6targetE0EEEvSH_.uses_vcc, 0
	.set _ZN7rocprim17ROCPRIM_400000_NS6detail17trampoline_kernelINS0_14default_configENS1_36segmented_radix_sort_config_selectorIllEEZNS1_25segmented_radix_sort_implIS3_Lb0EPKlPlS8_S9_N2at6native12_GLOBAL__N_18offset_tEEE10hipError_tPvRmT1_PNSt15iterator_traitsISH_E10value_typeET2_T3_PNSI_ISN_E10value_typeET4_jRbjT5_ST_jjP12ihipStream_tbEUlT_E_NS1_11comp_targetILNS1_3genE10ELNS1_11target_archE1200ELNS1_3gpuE4ELNS1_3repE0EEENS1_30default_config_static_selectorELNS0_4arch9wavefront6targetE0EEEvSH_.uses_flat_scratch, 0
	.set _ZN7rocprim17ROCPRIM_400000_NS6detail17trampoline_kernelINS0_14default_configENS1_36segmented_radix_sort_config_selectorIllEEZNS1_25segmented_radix_sort_implIS3_Lb0EPKlPlS8_S9_N2at6native12_GLOBAL__N_18offset_tEEE10hipError_tPvRmT1_PNSt15iterator_traitsISH_E10value_typeET2_T3_PNSI_ISN_E10value_typeET4_jRbjT5_ST_jjP12ihipStream_tbEUlT_E_NS1_11comp_targetILNS1_3genE10ELNS1_11target_archE1200ELNS1_3gpuE4ELNS1_3repE0EEENS1_30default_config_static_selectorELNS0_4arch9wavefront6targetE0EEEvSH_.has_dyn_sized_stack, 0
	.set _ZN7rocprim17ROCPRIM_400000_NS6detail17trampoline_kernelINS0_14default_configENS1_36segmented_radix_sort_config_selectorIllEEZNS1_25segmented_radix_sort_implIS3_Lb0EPKlPlS8_S9_N2at6native12_GLOBAL__N_18offset_tEEE10hipError_tPvRmT1_PNSt15iterator_traitsISH_E10value_typeET2_T3_PNSI_ISN_E10value_typeET4_jRbjT5_ST_jjP12ihipStream_tbEUlT_E_NS1_11comp_targetILNS1_3genE10ELNS1_11target_archE1200ELNS1_3gpuE4ELNS1_3repE0EEENS1_30default_config_static_selectorELNS0_4arch9wavefront6targetE0EEEvSH_.has_recursion, 0
	.set _ZN7rocprim17ROCPRIM_400000_NS6detail17trampoline_kernelINS0_14default_configENS1_36segmented_radix_sort_config_selectorIllEEZNS1_25segmented_radix_sort_implIS3_Lb0EPKlPlS8_S9_N2at6native12_GLOBAL__N_18offset_tEEE10hipError_tPvRmT1_PNSt15iterator_traitsISH_E10value_typeET2_T3_PNSI_ISN_E10value_typeET4_jRbjT5_ST_jjP12ihipStream_tbEUlT_E_NS1_11comp_targetILNS1_3genE10ELNS1_11target_archE1200ELNS1_3gpuE4ELNS1_3repE0EEENS1_30default_config_static_selectorELNS0_4arch9wavefront6targetE0EEEvSH_.has_indirect_call, 0
	.section	.AMDGPU.csdata,"",@progbits
; Kernel info:
; codeLenInByte = 0
; TotalNumSgprs: 0
; NumVgprs: 0
; ScratchSize: 0
; MemoryBound: 0
; FloatMode: 240
; IeeeMode: 1
; LDSByteSize: 0 bytes/workgroup (compile time only)
; SGPRBlocks: 0
; VGPRBlocks: 0
; NumSGPRsForWavesPerEU: 1
; NumVGPRsForWavesPerEU: 1
; Occupancy: 16
; WaveLimiterHint : 0
; COMPUTE_PGM_RSRC2:SCRATCH_EN: 0
; COMPUTE_PGM_RSRC2:USER_SGPR: 6
; COMPUTE_PGM_RSRC2:TRAP_HANDLER: 0
; COMPUTE_PGM_RSRC2:TGID_X_EN: 1
; COMPUTE_PGM_RSRC2:TGID_Y_EN: 0
; COMPUTE_PGM_RSRC2:TGID_Z_EN: 0
; COMPUTE_PGM_RSRC2:TIDIG_COMP_CNT: 0
	.section	.text._ZN7rocprim17ROCPRIM_400000_NS6detail17trampoline_kernelINS0_14default_configENS1_36segmented_radix_sort_config_selectorIllEEZNS1_25segmented_radix_sort_implIS3_Lb0EPKlPlS8_S9_N2at6native12_GLOBAL__N_18offset_tEEE10hipError_tPvRmT1_PNSt15iterator_traitsISH_E10value_typeET2_T3_PNSI_ISN_E10value_typeET4_jRbjT5_ST_jjP12ihipStream_tbEUlT_E_NS1_11comp_targetILNS1_3genE9ELNS1_11target_archE1100ELNS1_3gpuE3ELNS1_3repE0EEENS1_30default_config_static_selectorELNS0_4arch9wavefront6targetE0EEEvSH_,"axG",@progbits,_ZN7rocprim17ROCPRIM_400000_NS6detail17trampoline_kernelINS0_14default_configENS1_36segmented_radix_sort_config_selectorIllEEZNS1_25segmented_radix_sort_implIS3_Lb0EPKlPlS8_S9_N2at6native12_GLOBAL__N_18offset_tEEE10hipError_tPvRmT1_PNSt15iterator_traitsISH_E10value_typeET2_T3_PNSI_ISN_E10value_typeET4_jRbjT5_ST_jjP12ihipStream_tbEUlT_E_NS1_11comp_targetILNS1_3genE9ELNS1_11target_archE1100ELNS1_3gpuE3ELNS1_3repE0EEENS1_30default_config_static_selectorELNS0_4arch9wavefront6targetE0EEEvSH_,comdat
	.globl	_ZN7rocprim17ROCPRIM_400000_NS6detail17trampoline_kernelINS0_14default_configENS1_36segmented_radix_sort_config_selectorIllEEZNS1_25segmented_radix_sort_implIS3_Lb0EPKlPlS8_S9_N2at6native12_GLOBAL__N_18offset_tEEE10hipError_tPvRmT1_PNSt15iterator_traitsISH_E10value_typeET2_T3_PNSI_ISN_E10value_typeET4_jRbjT5_ST_jjP12ihipStream_tbEUlT_E_NS1_11comp_targetILNS1_3genE9ELNS1_11target_archE1100ELNS1_3gpuE3ELNS1_3repE0EEENS1_30default_config_static_selectorELNS0_4arch9wavefront6targetE0EEEvSH_ ; -- Begin function _ZN7rocprim17ROCPRIM_400000_NS6detail17trampoline_kernelINS0_14default_configENS1_36segmented_radix_sort_config_selectorIllEEZNS1_25segmented_radix_sort_implIS3_Lb0EPKlPlS8_S9_N2at6native12_GLOBAL__N_18offset_tEEE10hipError_tPvRmT1_PNSt15iterator_traitsISH_E10value_typeET2_T3_PNSI_ISN_E10value_typeET4_jRbjT5_ST_jjP12ihipStream_tbEUlT_E_NS1_11comp_targetILNS1_3genE9ELNS1_11target_archE1100ELNS1_3gpuE3ELNS1_3repE0EEENS1_30default_config_static_selectorELNS0_4arch9wavefront6targetE0EEEvSH_
	.p2align	8
	.type	_ZN7rocprim17ROCPRIM_400000_NS6detail17trampoline_kernelINS0_14default_configENS1_36segmented_radix_sort_config_selectorIllEEZNS1_25segmented_radix_sort_implIS3_Lb0EPKlPlS8_S9_N2at6native12_GLOBAL__N_18offset_tEEE10hipError_tPvRmT1_PNSt15iterator_traitsISH_E10value_typeET2_T3_PNSI_ISN_E10value_typeET4_jRbjT5_ST_jjP12ihipStream_tbEUlT_E_NS1_11comp_targetILNS1_3genE9ELNS1_11target_archE1100ELNS1_3gpuE3ELNS1_3repE0EEENS1_30default_config_static_selectorELNS0_4arch9wavefront6targetE0EEEvSH_,@function
_ZN7rocprim17ROCPRIM_400000_NS6detail17trampoline_kernelINS0_14default_configENS1_36segmented_radix_sort_config_selectorIllEEZNS1_25segmented_radix_sort_implIS3_Lb0EPKlPlS8_S9_N2at6native12_GLOBAL__N_18offset_tEEE10hipError_tPvRmT1_PNSt15iterator_traitsISH_E10value_typeET2_T3_PNSI_ISN_E10value_typeET4_jRbjT5_ST_jjP12ihipStream_tbEUlT_E_NS1_11comp_targetILNS1_3genE9ELNS1_11target_archE1100ELNS1_3gpuE3ELNS1_3repE0EEENS1_30default_config_static_selectorELNS0_4arch9wavefront6targetE0EEEvSH_: ; @_ZN7rocprim17ROCPRIM_400000_NS6detail17trampoline_kernelINS0_14default_configENS1_36segmented_radix_sort_config_selectorIllEEZNS1_25segmented_radix_sort_implIS3_Lb0EPKlPlS8_S9_N2at6native12_GLOBAL__N_18offset_tEEE10hipError_tPvRmT1_PNSt15iterator_traitsISH_E10value_typeET2_T3_PNSI_ISN_E10value_typeET4_jRbjT5_ST_jjP12ihipStream_tbEUlT_E_NS1_11comp_targetILNS1_3genE9ELNS1_11target_archE1100ELNS1_3gpuE3ELNS1_3repE0EEENS1_30default_config_static_selectorELNS0_4arch9wavefront6targetE0EEEvSH_
; %bb.0:
	.section	.rodata,"a",@progbits
	.p2align	6, 0x0
	.amdhsa_kernel _ZN7rocprim17ROCPRIM_400000_NS6detail17trampoline_kernelINS0_14default_configENS1_36segmented_radix_sort_config_selectorIllEEZNS1_25segmented_radix_sort_implIS3_Lb0EPKlPlS8_S9_N2at6native12_GLOBAL__N_18offset_tEEE10hipError_tPvRmT1_PNSt15iterator_traitsISH_E10value_typeET2_T3_PNSI_ISN_E10value_typeET4_jRbjT5_ST_jjP12ihipStream_tbEUlT_E_NS1_11comp_targetILNS1_3genE9ELNS1_11target_archE1100ELNS1_3gpuE3ELNS1_3repE0EEENS1_30default_config_static_selectorELNS0_4arch9wavefront6targetE0EEEvSH_
		.amdhsa_group_segment_fixed_size 0
		.amdhsa_private_segment_fixed_size 0
		.amdhsa_kernarg_size 96
		.amdhsa_user_sgpr_count 6
		.amdhsa_user_sgpr_private_segment_buffer 1
		.amdhsa_user_sgpr_dispatch_ptr 0
		.amdhsa_user_sgpr_queue_ptr 0
		.amdhsa_user_sgpr_kernarg_segment_ptr 1
		.amdhsa_user_sgpr_dispatch_id 0
		.amdhsa_user_sgpr_flat_scratch_init 0
		.amdhsa_user_sgpr_private_segment_size 0
		.amdhsa_wavefront_size32 1
		.amdhsa_uses_dynamic_stack 0
		.amdhsa_system_sgpr_private_segment_wavefront_offset 0
		.amdhsa_system_sgpr_workgroup_id_x 1
		.amdhsa_system_sgpr_workgroup_id_y 0
		.amdhsa_system_sgpr_workgroup_id_z 0
		.amdhsa_system_sgpr_workgroup_info 0
		.amdhsa_system_vgpr_workitem_id 0
		.amdhsa_next_free_vgpr 1
		.amdhsa_next_free_sgpr 1
		.amdhsa_reserve_vcc 0
		.amdhsa_reserve_flat_scratch 0
		.amdhsa_float_round_mode_32 0
		.amdhsa_float_round_mode_16_64 0
		.amdhsa_float_denorm_mode_32 3
		.amdhsa_float_denorm_mode_16_64 3
		.amdhsa_dx10_clamp 1
		.amdhsa_ieee_mode 1
		.amdhsa_fp16_overflow 0
		.amdhsa_workgroup_processor_mode 1
		.amdhsa_memory_ordered 1
		.amdhsa_forward_progress 1
		.amdhsa_shared_vgpr_count 0
		.amdhsa_exception_fp_ieee_invalid_op 0
		.amdhsa_exception_fp_denorm_src 0
		.amdhsa_exception_fp_ieee_div_zero 0
		.amdhsa_exception_fp_ieee_overflow 0
		.amdhsa_exception_fp_ieee_underflow 0
		.amdhsa_exception_fp_ieee_inexact 0
		.amdhsa_exception_int_div_zero 0
	.end_amdhsa_kernel
	.section	.text._ZN7rocprim17ROCPRIM_400000_NS6detail17trampoline_kernelINS0_14default_configENS1_36segmented_radix_sort_config_selectorIllEEZNS1_25segmented_radix_sort_implIS3_Lb0EPKlPlS8_S9_N2at6native12_GLOBAL__N_18offset_tEEE10hipError_tPvRmT1_PNSt15iterator_traitsISH_E10value_typeET2_T3_PNSI_ISN_E10value_typeET4_jRbjT5_ST_jjP12ihipStream_tbEUlT_E_NS1_11comp_targetILNS1_3genE9ELNS1_11target_archE1100ELNS1_3gpuE3ELNS1_3repE0EEENS1_30default_config_static_selectorELNS0_4arch9wavefront6targetE0EEEvSH_,"axG",@progbits,_ZN7rocprim17ROCPRIM_400000_NS6detail17trampoline_kernelINS0_14default_configENS1_36segmented_radix_sort_config_selectorIllEEZNS1_25segmented_radix_sort_implIS3_Lb0EPKlPlS8_S9_N2at6native12_GLOBAL__N_18offset_tEEE10hipError_tPvRmT1_PNSt15iterator_traitsISH_E10value_typeET2_T3_PNSI_ISN_E10value_typeET4_jRbjT5_ST_jjP12ihipStream_tbEUlT_E_NS1_11comp_targetILNS1_3genE9ELNS1_11target_archE1100ELNS1_3gpuE3ELNS1_3repE0EEENS1_30default_config_static_selectorELNS0_4arch9wavefront6targetE0EEEvSH_,comdat
.Lfunc_end808:
	.size	_ZN7rocprim17ROCPRIM_400000_NS6detail17trampoline_kernelINS0_14default_configENS1_36segmented_radix_sort_config_selectorIllEEZNS1_25segmented_radix_sort_implIS3_Lb0EPKlPlS8_S9_N2at6native12_GLOBAL__N_18offset_tEEE10hipError_tPvRmT1_PNSt15iterator_traitsISH_E10value_typeET2_T3_PNSI_ISN_E10value_typeET4_jRbjT5_ST_jjP12ihipStream_tbEUlT_E_NS1_11comp_targetILNS1_3genE9ELNS1_11target_archE1100ELNS1_3gpuE3ELNS1_3repE0EEENS1_30default_config_static_selectorELNS0_4arch9wavefront6targetE0EEEvSH_, .Lfunc_end808-_ZN7rocprim17ROCPRIM_400000_NS6detail17trampoline_kernelINS0_14default_configENS1_36segmented_radix_sort_config_selectorIllEEZNS1_25segmented_radix_sort_implIS3_Lb0EPKlPlS8_S9_N2at6native12_GLOBAL__N_18offset_tEEE10hipError_tPvRmT1_PNSt15iterator_traitsISH_E10value_typeET2_T3_PNSI_ISN_E10value_typeET4_jRbjT5_ST_jjP12ihipStream_tbEUlT_E_NS1_11comp_targetILNS1_3genE9ELNS1_11target_archE1100ELNS1_3gpuE3ELNS1_3repE0EEENS1_30default_config_static_selectorELNS0_4arch9wavefront6targetE0EEEvSH_
                                        ; -- End function
	.set _ZN7rocprim17ROCPRIM_400000_NS6detail17trampoline_kernelINS0_14default_configENS1_36segmented_radix_sort_config_selectorIllEEZNS1_25segmented_radix_sort_implIS3_Lb0EPKlPlS8_S9_N2at6native12_GLOBAL__N_18offset_tEEE10hipError_tPvRmT1_PNSt15iterator_traitsISH_E10value_typeET2_T3_PNSI_ISN_E10value_typeET4_jRbjT5_ST_jjP12ihipStream_tbEUlT_E_NS1_11comp_targetILNS1_3genE9ELNS1_11target_archE1100ELNS1_3gpuE3ELNS1_3repE0EEENS1_30default_config_static_selectorELNS0_4arch9wavefront6targetE0EEEvSH_.num_vgpr, 0
	.set _ZN7rocprim17ROCPRIM_400000_NS6detail17trampoline_kernelINS0_14default_configENS1_36segmented_radix_sort_config_selectorIllEEZNS1_25segmented_radix_sort_implIS3_Lb0EPKlPlS8_S9_N2at6native12_GLOBAL__N_18offset_tEEE10hipError_tPvRmT1_PNSt15iterator_traitsISH_E10value_typeET2_T3_PNSI_ISN_E10value_typeET4_jRbjT5_ST_jjP12ihipStream_tbEUlT_E_NS1_11comp_targetILNS1_3genE9ELNS1_11target_archE1100ELNS1_3gpuE3ELNS1_3repE0EEENS1_30default_config_static_selectorELNS0_4arch9wavefront6targetE0EEEvSH_.num_agpr, 0
	.set _ZN7rocprim17ROCPRIM_400000_NS6detail17trampoline_kernelINS0_14default_configENS1_36segmented_radix_sort_config_selectorIllEEZNS1_25segmented_radix_sort_implIS3_Lb0EPKlPlS8_S9_N2at6native12_GLOBAL__N_18offset_tEEE10hipError_tPvRmT1_PNSt15iterator_traitsISH_E10value_typeET2_T3_PNSI_ISN_E10value_typeET4_jRbjT5_ST_jjP12ihipStream_tbEUlT_E_NS1_11comp_targetILNS1_3genE9ELNS1_11target_archE1100ELNS1_3gpuE3ELNS1_3repE0EEENS1_30default_config_static_selectorELNS0_4arch9wavefront6targetE0EEEvSH_.numbered_sgpr, 0
	.set _ZN7rocprim17ROCPRIM_400000_NS6detail17trampoline_kernelINS0_14default_configENS1_36segmented_radix_sort_config_selectorIllEEZNS1_25segmented_radix_sort_implIS3_Lb0EPKlPlS8_S9_N2at6native12_GLOBAL__N_18offset_tEEE10hipError_tPvRmT1_PNSt15iterator_traitsISH_E10value_typeET2_T3_PNSI_ISN_E10value_typeET4_jRbjT5_ST_jjP12ihipStream_tbEUlT_E_NS1_11comp_targetILNS1_3genE9ELNS1_11target_archE1100ELNS1_3gpuE3ELNS1_3repE0EEENS1_30default_config_static_selectorELNS0_4arch9wavefront6targetE0EEEvSH_.num_named_barrier, 0
	.set _ZN7rocprim17ROCPRIM_400000_NS6detail17trampoline_kernelINS0_14default_configENS1_36segmented_radix_sort_config_selectorIllEEZNS1_25segmented_radix_sort_implIS3_Lb0EPKlPlS8_S9_N2at6native12_GLOBAL__N_18offset_tEEE10hipError_tPvRmT1_PNSt15iterator_traitsISH_E10value_typeET2_T3_PNSI_ISN_E10value_typeET4_jRbjT5_ST_jjP12ihipStream_tbEUlT_E_NS1_11comp_targetILNS1_3genE9ELNS1_11target_archE1100ELNS1_3gpuE3ELNS1_3repE0EEENS1_30default_config_static_selectorELNS0_4arch9wavefront6targetE0EEEvSH_.private_seg_size, 0
	.set _ZN7rocprim17ROCPRIM_400000_NS6detail17trampoline_kernelINS0_14default_configENS1_36segmented_radix_sort_config_selectorIllEEZNS1_25segmented_radix_sort_implIS3_Lb0EPKlPlS8_S9_N2at6native12_GLOBAL__N_18offset_tEEE10hipError_tPvRmT1_PNSt15iterator_traitsISH_E10value_typeET2_T3_PNSI_ISN_E10value_typeET4_jRbjT5_ST_jjP12ihipStream_tbEUlT_E_NS1_11comp_targetILNS1_3genE9ELNS1_11target_archE1100ELNS1_3gpuE3ELNS1_3repE0EEENS1_30default_config_static_selectorELNS0_4arch9wavefront6targetE0EEEvSH_.uses_vcc, 0
	.set _ZN7rocprim17ROCPRIM_400000_NS6detail17trampoline_kernelINS0_14default_configENS1_36segmented_radix_sort_config_selectorIllEEZNS1_25segmented_radix_sort_implIS3_Lb0EPKlPlS8_S9_N2at6native12_GLOBAL__N_18offset_tEEE10hipError_tPvRmT1_PNSt15iterator_traitsISH_E10value_typeET2_T3_PNSI_ISN_E10value_typeET4_jRbjT5_ST_jjP12ihipStream_tbEUlT_E_NS1_11comp_targetILNS1_3genE9ELNS1_11target_archE1100ELNS1_3gpuE3ELNS1_3repE0EEENS1_30default_config_static_selectorELNS0_4arch9wavefront6targetE0EEEvSH_.uses_flat_scratch, 0
	.set _ZN7rocprim17ROCPRIM_400000_NS6detail17trampoline_kernelINS0_14default_configENS1_36segmented_radix_sort_config_selectorIllEEZNS1_25segmented_radix_sort_implIS3_Lb0EPKlPlS8_S9_N2at6native12_GLOBAL__N_18offset_tEEE10hipError_tPvRmT1_PNSt15iterator_traitsISH_E10value_typeET2_T3_PNSI_ISN_E10value_typeET4_jRbjT5_ST_jjP12ihipStream_tbEUlT_E_NS1_11comp_targetILNS1_3genE9ELNS1_11target_archE1100ELNS1_3gpuE3ELNS1_3repE0EEENS1_30default_config_static_selectorELNS0_4arch9wavefront6targetE0EEEvSH_.has_dyn_sized_stack, 0
	.set _ZN7rocprim17ROCPRIM_400000_NS6detail17trampoline_kernelINS0_14default_configENS1_36segmented_radix_sort_config_selectorIllEEZNS1_25segmented_radix_sort_implIS3_Lb0EPKlPlS8_S9_N2at6native12_GLOBAL__N_18offset_tEEE10hipError_tPvRmT1_PNSt15iterator_traitsISH_E10value_typeET2_T3_PNSI_ISN_E10value_typeET4_jRbjT5_ST_jjP12ihipStream_tbEUlT_E_NS1_11comp_targetILNS1_3genE9ELNS1_11target_archE1100ELNS1_3gpuE3ELNS1_3repE0EEENS1_30default_config_static_selectorELNS0_4arch9wavefront6targetE0EEEvSH_.has_recursion, 0
	.set _ZN7rocprim17ROCPRIM_400000_NS6detail17trampoline_kernelINS0_14default_configENS1_36segmented_radix_sort_config_selectorIllEEZNS1_25segmented_radix_sort_implIS3_Lb0EPKlPlS8_S9_N2at6native12_GLOBAL__N_18offset_tEEE10hipError_tPvRmT1_PNSt15iterator_traitsISH_E10value_typeET2_T3_PNSI_ISN_E10value_typeET4_jRbjT5_ST_jjP12ihipStream_tbEUlT_E_NS1_11comp_targetILNS1_3genE9ELNS1_11target_archE1100ELNS1_3gpuE3ELNS1_3repE0EEENS1_30default_config_static_selectorELNS0_4arch9wavefront6targetE0EEEvSH_.has_indirect_call, 0
	.section	.AMDGPU.csdata,"",@progbits
; Kernel info:
; codeLenInByte = 0
; TotalNumSgprs: 0
; NumVgprs: 0
; ScratchSize: 0
; MemoryBound: 0
; FloatMode: 240
; IeeeMode: 1
; LDSByteSize: 0 bytes/workgroup (compile time only)
; SGPRBlocks: 0
; VGPRBlocks: 0
; NumSGPRsForWavesPerEU: 1
; NumVGPRsForWavesPerEU: 1
; Occupancy: 16
; WaveLimiterHint : 0
; COMPUTE_PGM_RSRC2:SCRATCH_EN: 0
; COMPUTE_PGM_RSRC2:USER_SGPR: 6
; COMPUTE_PGM_RSRC2:TRAP_HANDLER: 0
; COMPUTE_PGM_RSRC2:TGID_X_EN: 1
; COMPUTE_PGM_RSRC2:TGID_Y_EN: 0
; COMPUTE_PGM_RSRC2:TGID_Z_EN: 0
; COMPUTE_PGM_RSRC2:TIDIG_COMP_CNT: 0
	.text
	.p2align	2                               ; -- Begin function _ZN7rocprim17ROCPRIM_400000_NS6detail40segmented_radix_sort_single_block_helperIllLj256ELj16ELb0EE4sortIPKlPlS6_S7_EEbT_T0_T1_T2_jjjjRNS3_12storage_typeE
	.type	_ZN7rocprim17ROCPRIM_400000_NS6detail40segmented_radix_sort_single_block_helperIllLj256ELj16ELb0EE4sortIPKlPlS6_S7_EEbT_T0_T1_T2_jjjjRNS3_12storage_typeE,@function
_ZN7rocprim17ROCPRIM_400000_NS6detail40segmented_radix_sort_single_block_helperIllLj256ELj16ELb0EE4sortIPKlPlS6_S7_EEbT_T0_T1_T2_jjjjRNS3_12storage_typeE: ; @_ZN7rocprim17ROCPRIM_400000_NS6detail40segmented_radix_sort_single_block_helperIllLj256ELj16ELb0EE4sortIPKlPlS6_S7_EEbT_T0_T1_T2_jjjjRNS3_12storage_typeE
; %bb.0:
	s_waitcnt vmcnt(0) expcnt(0) lgkmcnt(0)
	buffer_store_dword v40, off, s[0:3], s32 offset:168 ; 4-byte Folded Spill
	buffer_store_dword v41, off, s[0:3], s32 offset:164 ; 4-byte Folded Spill
	;; [unrolled: 1-line block ×42, first 2 shown]
	buffer_store_dword v122, off, s[0:3], s32 ; 4-byte Folded Spill
	v_sub_nc_u32_e32 v119, v9, v8
	s_mov_b32 s24, exec_lo
	v_cmpx_gt_u32_e32 0x1001, v119
	s_cbranch_execz .LBB809_372
; %bb.1:
	v_bfe_u32 v13, v31, 10, 10
	v_bfe_u32 v14, v31, 20, 10
	v_and_b32_e32 v21, 0x3ff, v31
	v_mbcnt_lo_u32_b32 v22, -1, 0
	s_mov_b32 s4, exec_lo
	v_cmpx_lt_u32_e32 0x800, v119
	s_xor_b32 s25, exec_lo, s4
	s_cbranch_execz .LBB809_143
; %bb.2:
	s_load_dwordx2 s[4:5], s[8:9], 0x0
	v_mov_b32_e32 v9, 0
	v_mov_b32_e32 v117, -1
	v_mov_b32_e32 v128, -1
	;; [unrolled: 1-line block ×4, first 2 shown]
	v_lshlrev_b64 v[112:113], 3, v[8:9]
	s_waitcnt lgkmcnt(0)
	s_cmp_lt_u32 s13, s5
	s_cselect_b32 s5, 14, 20
	s_add_u32 s6, s8, s5
	s_addc_u32 s7, s9, 0
	s_cmp_lt_u32 s12, s4
	global_load_ushort v15, v9, s[6:7]
	s_cselect_b32 s4, 12, 18
	s_add_u32 s4, s8, s4
	s_addc_u32 s5, s9, 0
	global_load_ushort v16, v9, s[4:5]
	s_waitcnt vmcnt(1)
	v_mad_u32_u24 v13, v14, v15, v13
	s_waitcnt vmcnt(0)
	v_mad_u64_u32 v[114:115], null, v13, v16, v[21:22]
	v_lshlrev_b32_e32 v13, 3, v22
	v_lshlrev_b32_e32 v14, 4, v114
	v_and_b32_e32 v8, 0xfffffe00, v14
	v_add_co_u32 v14, vcc_lo, v0, v112
	v_add_co_ci_u32_e64 v15, null, v1, v113, vcc_lo
	v_lshlrev_b64 v[0:1], 3, v[8:9]
	v_add_co_u32 v9, vcc_lo, v14, v13
	v_add_co_ci_u32_e64 v15, null, 0, v15, vcc_lo
	v_or_b32_e32 v14, v8, v22
	v_add_co_u32 v8, vcc_lo, v9, v0
	v_add_co_ci_u32_e64 v9, null, v15, v1, vcc_lo
	v_cmp_lt_u32_e32 vcc_lo, v14, v119
	s_and_saveexec_b32 s4, vcc_lo
	s_cbranch_execz .LBB809_4
; %bb.3:
	flat_load_dwordx2 v[128:129], v[8:9]
	s_waitcnt vmcnt(0) lgkmcnt(0)
	v_xor_b32_e32 v129, 0x80000000, v129
.LBB809_4:
	s_or_b32 exec_lo, exec_lo, s4
	v_or_b32_e32 v15, 32, v14
	v_cmp_lt_u32_e64 s4, v15, v119
	s_and_saveexec_b32 s5, s4
	s_cbranch_execz .LBB809_6
; %bb.5:
	flat_load_dwordx2 v[117:118], v[8:9] offset:256
	s_waitcnt vmcnt(0) lgkmcnt(0)
	v_xor_b32_e32 v118, 0x80000000, v118
.LBB809_6:
	s_or_b32 exec_lo, exec_lo, s5
	v_or_b32_e32 v15, 64, v14
	v_mov_b32_e32 v130, -1
	v_mov_b32_e32 v132, -1
	v_mov_b32_e32 v131, -1
	v_mov_b32_e32 v133, -1
	v_cmp_lt_u32_e64 s5, v15, v119
	s_and_saveexec_b32 s6, s5
	s_cbranch_execz .LBB809_8
; %bb.7:
	flat_load_dwordx2 v[132:133], v[8:9] offset:512
	s_waitcnt vmcnt(0) lgkmcnt(0)
	v_xor_b32_e32 v133, 0x80000000, v133
.LBB809_8:
	s_or_b32 exec_lo, exec_lo, s6
	v_or_b32_e32 v15, 0x60, v14
	v_cmp_lt_u32_e64 s6, v15, v119
	s_and_saveexec_b32 s7, s6
	s_cbranch_execz .LBB809_10
; %bb.9:
	flat_load_dwordx2 v[130:131], v[8:9] offset:768
	s_waitcnt vmcnt(0) lgkmcnt(0)
	v_xor_b32_e32 v131, 0x80000000, v131
.LBB809_10:
	s_or_b32 exec_lo, exec_lo, s7
	v_or_b32_e32 v15, 0x80, v14
	v_mov_b32_e32 v134, -1
	v_mov_b32_e32 v144, -1
	v_mov_b32_e32 v135, -1
	v_mov_b32_e32 v145, -1
	v_cmp_lt_u32_e64 s7, v15, v119
	s_and_saveexec_b32 s10, s7
	s_cbranch_execz .LBB809_12
; %bb.11:
	flat_load_dwordx2 v[144:145], v[8:9] offset:1024
	s_waitcnt vmcnt(0) lgkmcnt(0)
	v_xor_b32_e32 v145, 0x80000000, v145
.LBB809_12:
	s_or_b32 exec_lo, exec_lo, s10
	v_or_b32_e32 v15, 0xa0, v14
	v_cmp_lt_u32_e64 s10, v15, v119
	s_and_saveexec_b32 s11, s10
	s_cbranch_execz .LBB809_14
; %bb.13:
	flat_load_dwordx2 v[134:135], v[8:9] offset:1280
	s_waitcnt vmcnt(0) lgkmcnt(0)
	v_xor_b32_e32 v135, 0x80000000, v135
.LBB809_14:
	s_or_b32 exec_lo, exec_lo, s11
	v_or_b32_e32 v15, 0xc0, v14
	v_mov_b32_e32 v146, -1
	v_mov_b32_e32 v148, -1
	v_mov_b32_e32 v147, -1
	v_mov_b32_e32 v149, -1
	v_cmp_lt_u32_e64 s11, v15, v119
	s_and_saveexec_b32 s14, s11
	s_cbranch_execz .LBB809_16
; %bb.15:
	flat_load_dwordx2 v[148:149], v[8:9] offset:1536
	s_waitcnt vmcnt(0) lgkmcnt(0)
	v_xor_b32_e32 v149, 0x80000000, v149
.LBB809_16:
	s_or_b32 exec_lo, exec_lo, s14
	v_or_b32_e32 v15, 0xe0, v14
	v_cmp_lt_u32_e64 s14, v15, v119
	s_and_saveexec_b32 s15, s14
	s_cbranch_execz .LBB809_18
; %bb.17:
	flat_load_dwordx2 v[146:147], v[8:9] offset:1792
	s_waitcnt vmcnt(0) lgkmcnt(0)
	v_xor_b32_e32 v147, 0x80000000, v147
.LBB809_18:
	s_or_b32 exec_lo, exec_lo, s15
	v_or_b32_e32 v15, 0x100, v14
	v_mov_b32_e32 v150, -1
	v_mov_b32_e32 v160, -1
	;; [unrolled: 1-line block ×4, first 2 shown]
	v_cmp_lt_u32_e64 s15, v15, v119
	s_and_saveexec_b32 s17, s15
	s_cbranch_execz .LBB809_20
; %bb.19:
	v_add_co_u32 v15, s16, 0x800, v8
	v_add_co_ci_u32_e64 v16, null, 0, v9, s16
	flat_load_dwordx2 v[160:161], v[15:16]
	s_waitcnt vmcnt(0) lgkmcnt(0)
	v_xor_b32_e32 v161, 0x80000000, v161
.LBB809_20:
	s_or_b32 exec_lo, exec_lo, s17
	v_or_b32_e32 v15, 0x120, v14
	v_cmp_lt_u32_e64 s16, v15, v119
	s_and_saveexec_b32 s18, s16
	s_cbranch_execz .LBB809_22
; %bb.21:
	v_add_co_u32 v15, s17, 0x800, v8
	v_add_co_ci_u32_e64 v16, null, 0, v9, s17
	flat_load_dwordx2 v[150:151], v[15:16] offset:256
	s_waitcnt vmcnt(0) lgkmcnt(0)
	v_xor_b32_e32 v151, 0x80000000, v151
.LBB809_22:
	s_or_b32 exec_lo, exec_lo, s18
	v_or_b32_e32 v15, 0x140, v14
	v_mov_b32_e32 v162, -1
	v_mov_b32_e32 v164, -1
	v_mov_b32_e32 v163, -1
	v_mov_b32_e32 v165, -1
	v_cmp_lt_u32_e64 s17, v15, v119
	s_and_saveexec_b32 s19, s17
	s_cbranch_execz .LBB809_24
; %bb.23:
	v_add_co_u32 v15, s18, 0x800, v8
	v_add_co_ci_u32_e64 v16, null, 0, v9, s18
	flat_load_dwordx2 v[164:165], v[15:16] offset:512
	s_waitcnt vmcnt(0) lgkmcnt(0)
	v_xor_b32_e32 v165, 0x80000000, v165
.LBB809_24:
	s_or_b32 exec_lo, exec_lo, s19
	v_or_b32_e32 v15, 0x160, v14
	v_cmp_lt_u32_e64 s18, v15, v119
	s_and_saveexec_b32 s20, s18
	s_cbranch_execz .LBB809_26
; %bb.25:
	v_add_co_u32 v15, s19, 0x800, v8
	v_add_co_ci_u32_e64 v16, null, 0, v9, s19
	flat_load_dwordx2 v[162:163], v[15:16] offset:768
	s_waitcnt vmcnt(0) lgkmcnt(0)
	v_xor_b32_e32 v163, 0x80000000, v163
.LBB809_26:
	s_or_b32 exec_lo, exec_lo, s20
	v_or_b32_e32 v15, 0x180, v14
	v_mov_b32_e32 v166, -1
	v_mov_b32_e32 v176, -1
	v_mov_b32_e32 v167, -1
	v_mov_b32_e32 v177, -1
	v_cmp_lt_u32_e64 s19, v15, v119
	s_and_saveexec_b32 s21, s19
	s_cbranch_execz .LBB809_28
; %bb.27:
	v_add_co_u32 v15, s20, 0x800, v8
	v_add_co_ci_u32_e64 v16, null, 0, v9, s20
	flat_load_dwordx2 v[176:177], v[15:16] offset:1024
	s_waitcnt vmcnt(0) lgkmcnt(0)
	v_xor_b32_e32 v177, 0x80000000, v177
.LBB809_28:
	;; [unrolled: 28-line block ×3, first 2 shown]
	s_or_b32 exec_lo, exec_lo, s23
	v_or_b32_e32 v14, 0x1e0, v14
	v_cmp_lt_u32_e64 s22, v14, v119
	s_and_saveexec_b32 s26, s22
	s_cbranch_execz .LBB809_34
; %bb.33:
	v_add_co_u32 v8, s23, 0x800, v8
	v_add_co_ci_u32_e64 v9, null, 0, v9, s23
	flat_load_dwordx2 v[178:179], v[8:9] offset:1792
	s_waitcnt vmcnt(0) lgkmcnt(0)
	v_xor_b32_e32 v179, 0x80000000, v179
.LBB809_34:
	s_or_b32 exec_lo, exec_lo, s26
	v_add_co_u32 v4, s23, v4, v112
	v_add_co_ci_u32_e64 v5, null, v5, v113, s23
                                        ; implicit-def: $vgpr194_vgpr195
	v_add_co_u32 v4, s23, v4, v13
	v_add_co_ci_u32_e64 v5, null, 0, v5, s23
	v_add_co_u32 v0, s23, v4, v0
	v_add_co_ci_u32_e64 v1, null, v5, v1, s23
	s_and_saveexec_b32 s23, vcc_lo
	s_cbranch_execnz .LBB809_196
; %bb.35:
	s_or_b32 exec_lo, exec_lo, s23
                                        ; implicit-def: $vgpr182_vgpr183
	s_and_saveexec_b32 s23, s4
	s_cbranch_execnz .LBB809_197
.LBB809_36:
	s_or_b32 exec_lo, exec_lo, s23
                                        ; implicit-def: $vgpr192_vgpr193
	s_and_saveexec_b32 s4, s5
	s_cbranch_execnz .LBB809_198
.LBB809_37:
	s_or_b32 exec_lo, exec_lo, s4
                                        ; implicit-def: $vgpr198_vgpr199
	s_and_saveexec_b32 s4, s6
	s_cbranch_execnz .LBB809_199
.LBB809_38:
	s_or_b32 exec_lo, exec_lo, s4
                                        ; implicit-def: $vgpr196_vgpr197
	s_and_saveexec_b32 s4, s7
	s_cbranch_execnz .LBB809_200
.LBB809_39:
	s_or_b32 exec_lo, exec_lo, s4
                                        ; implicit-def: $vgpr208_vgpr209
	s_and_saveexec_b32 s4, s10
	s_cbranch_execnz .LBB809_201
.LBB809_40:
	s_or_b32 exec_lo, exec_lo, s4
                                        ; implicit-def: $vgpr210_vgpr211
	s_and_saveexec_b32 s4, s11
	s_cbranch_execnz .LBB809_202
.LBB809_41:
	s_or_b32 exec_lo, exec_lo, s4
                                        ; implicit-def: $vgpr212_vgpr213
	s_and_saveexec_b32 s4, s14
	s_cbranch_execnz .LBB809_203
.LBB809_42:
	s_or_b32 exec_lo, exec_lo, s4
                                        ; implicit-def: $vgpr214_vgpr215
	s_and_saveexec_b32 s4, s15
	s_cbranch_execnz .LBB809_204
.LBB809_43:
	s_or_b32 exec_lo, exec_lo, s4
                                        ; implicit-def: $vgpr224_vgpr225
	s_and_saveexec_b32 s4, s16
	s_cbranch_execnz .LBB809_205
.LBB809_44:
	s_or_b32 exec_lo, exec_lo, s4
                                        ; implicit-def: $vgpr226_vgpr227
	s_and_saveexec_b32 s4, s17
	s_cbranch_execnz .LBB809_206
.LBB809_45:
	s_or_b32 exec_lo, exec_lo, s4
                                        ; implicit-def: $vgpr228_vgpr229
	s_and_saveexec_b32 s4, s18
	s_cbranch_execnz .LBB809_207
.LBB809_46:
	s_or_b32 exec_lo, exec_lo, s4
                                        ; implicit-def: $vgpr230_vgpr231
	s_and_saveexec_b32 s4, s19
	s_cbranch_execnz .LBB809_208
.LBB809_47:
	s_or_b32 exec_lo, exec_lo, s4
                                        ; implicit-def: $vgpr240_vgpr241
	s_and_saveexec_b32 s4, s20
	s_cbranch_execnz .LBB809_209
.LBB809_48:
	s_or_b32 exec_lo, exec_lo, s4
                                        ; implicit-def: $vgpr242_vgpr243
	s_and_saveexec_b32 s4, s21
	s_cbranch_execnz .LBB809_210
.LBB809_49:
	s_or_b32 exec_lo, exec_lo, s4
                                        ; implicit-def: $vgpr244_vgpr245
	s_and_saveexec_b32 s4, s22
	s_cbranch_execz .LBB809_51
.LBB809_50:
	v_add_co_u32 v0, vcc_lo, 0x800, v0
	v_add_co_ci_u32_e64 v1, null, 0, v1, vcc_lo
	flat_load_dwordx2 v[244:245], v[0:1] offset:1792
.LBB809_51:
	s_or_b32 exec_lo, exec_lo, s4
	v_lshl_add_u32 v0, v21, 5, v12
	v_and_b32_e32 v1, 0x3e0, v21
	v_and_b32_e32 v4, 15, v22
	s_getpc_b64 s[4:5]
	s_add_u32 s4, s4, _ZN7rocprim17ROCPRIM_400000_NS16block_radix_sortIlLj256ELj16ElLj1ELj1ELj8ELNS0_26block_radix_rank_algorithmE2ELNS0_18block_padding_hintE2ELNS0_4arch9wavefront6targetE0EE19radix_bits_per_passE@rel32@lo+4
	s_addc_u32 s5, s5, _ZN7rocprim17ROCPRIM_400000_NS16block_radix_sortIlLj256ELj16ElLj1ELj1ELj8ELNS0_26block_radix_rank_algorithmE2ELNS0_18block_padding_hintE2ELNS0_4arch9wavefront6targetE0EE19radix_bits_per_passE@rel32@hi+12
	v_sub_co_u32 v5, s6, v22, 1
	v_add_nc_u32_e32 v246, 32, v0
	v_add_nc_u32_e32 v247, 36, v0
	;; [unrolled: 1-line block ×8, first 2 shown]
	v_min_u32_e32 v0, 0xe0, v1
	s_load_dword s22, s[4:5], 0x0
	v_cmp_eq_u32_e32 vcc_lo, 0, v4
	v_cmp_lt_u32_e64 s4, 1, v4
	v_cmp_lt_u32_e64 s5, 3, v4
	v_or_b32_e32 v0, 31, v0
	v_cmp_lt_u32_e64 s7, 7, v4
	v_lshlrev_b32_e32 v4, 4, v21
	v_and_b32_e32 v1, 16, v22
	v_cmp_gt_i32_e64 s14, 0, v5
	v_cmp_eq_u32_e64 s11, v21, v0
	v_lshrrev_b32_e32 v0, 3, v21
	v_and_or_b32 v4, 0x3e00, v4, v22
	v_cmp_eq_u32_e64 s10, 0, v1
	v_cndmask_b32_e64 v1, v5, v22, s14
	v_and_b32_e32 v5, 7, v22
	v_and_b32_e32 v0, 0x7c, v0
	v_lshl_add_u32 v58, v4, 3, v12
	v_lshrrev_b32_e32 v46, 5, v114
	v_cmp_gt_u32_e64 s14, 8, v21
	v_cmp_lt_u32_e64 s15, 31, v21
	v_add_nc_u32_e32 v56, v12, v0
	v_lshlrev_b32_e32 v47, 2, v1
	v_cmp_eq_u32_e64 s16, 0, v21
	v_mov_b32_e32 v1, 0
	v_lshl_add_u32 v57, v21, 2, v12
	v_cmp_eq_u32_e64 s17, 0, v5
	v_cmp_lt_u32_e64 s18, 1, v5
	v_cmp_lt_u32_e64 s19, 3, v5
	v_add_nc_u32_e32 v59, -4, v56
	v_add_nc_u32_e32 v60, 0x100, v58
	v_add_nc_u32_e32 v61, 0x200, v58
	;; [unrolled: 1-line block ×15, first 2 shown]
	v_sub_nc_u32_e32 v91, v11, v10
	s_mov_b32 s23, 0
	s_waitcnt vmcnt(0) lgkmcnt(0)
	s_waitcnt_vscnt null, 0x0
	s_barrier
	buffer_gl0_inv
	s_branch .LBB809_53
.LBB809_52:                             ;   in Loop: Header=BB809_53 Depth=1
	s_or_b32 exec_lo, exec_lo, s21
	s_and_b32 s20, exec_lo, s26
	s_or_b32 s23, s20, s23
	s_andn2_b32 exec_lo, exec_lo, s23
	s_cbranch_execz .LBB809_93
.LBB809_53:                             ; =>This Inner Loop Header: Depth=1
	v_min_u32_e32 v0, s22, v91
	v_mov_b32_e32 v48, v128
	v_mov_b32_e32 v49, v129
	;; [unrolled: 1-line block ×4, first 2 shown]
	v_lshlrev_b32_e64 v0, v0, -1
	v_mov_b32_e32 v52, v117
	v_lshrrev_b64 v[32:33], v10, v[48:49]
	v_mov_b32_e32 v53, v118
	v_mov_b32_e32 v4, v194
	v_not_b32_e32 v182, v0
	v_mov_b32_e32 v13, v192
	v_mov_b32_e32 v8, v198
	v_mov_b32_e32 v22, v196
	v_mov_b32_e32 v19, v208
	v_and_b32_e32 v0, v32, v182
	v_mov_b32_e32 v17, v210
	v_mov_b32_e32 v30, v212
	;; [unrolled: 1-line block ×4, first 2 shown]
	v_and_b32_e32 v54, 1, v0
	v_lshlrev_b32_e32 v81, 30, v0
	v_lshlrev_b32_e32 v83, 29, v0
	;; [unrolled: 1-line block ×4, first 2 shown]
	v_add_co_u32 v80, s20, v54, -1
	v_cndmask_b32_e64 v68, 0, 1, s20
	v_not_b32_e32 v82, v81
	v_not_b32_e32 v85, v83
	;; [unrolled: 1-line block ×3, first 2 shown]
	v_lshlrev_b32_e32 v99, 26, v0
	v_cmp_ne_u32_e64 s20, 0, v68
	v_ashrrev_i32_e32 v82, 31, v82
	v_ashrrev_i32_e32 v85, 31, v85
	v_lshlrev_b32_e32 v117, 24, v0
	v_mov_b32_e32 v24, v226
	v_xor_b32_e32 v84, s20, v80
	v_cmp_gt_i32_e64 s20, 0, v81
	v_mov_b32_e32 v38, v228
	v_not_b32_e32 v128, v117
	v_mov_b32_e32 v36, v230
	v_and_b32_e32 v84, exec_lo, v84
	v_xor_b32_e32 v87, s20, v82
	v_cmp_gt_i32_e64 s20, 0, v83
	v_mov_b32_e32 v34, v240
	v_mov_b32_e32 v32, v242
	;; [unrolled: 1-line block ×3, first 2 shown]
	v_and_b32_e32 v87, v84, v87
	v_xor_b32_e32 v98, s20, v85
	v_cmp_gt_i32_e64 s20, 0, v86
	v_ashrrev_i32_e32 v86, 31, v96
	v_not_b32_e32 v96, v97
	v_mov_b32_e32 v50, v132
	v_and_b32_e32 v98, v87, v98
	v_mov_b32_e32 v54, v130
	v_xor_b32_e32 v100, s20, v86
	v_cmp_gt_i32_e64 s20, 0, v97
	v_ashrrev_i32_e32 v96, 31, v96
	v_not_b32_e32 v97, v99
	v_mov_b32_e32 v66, v144
	v_and_b32_e32 v98, v98, v100
	v_lshlrev_b32_e32 v100, 25, v0
	v_xor_b32_e32 v101, s20, v96
	v_cmp_gt_i32_e64 s20, 0, v99
	v_ashrrev_i32_e32 v99, 31, v97
	v_lshl_add_u32 v0, v0, 3, v46
	v_not_b32_e32 v102, v100
	v_and_b32_e32 v101, v98, v101
	v_mov_b32_e32 v64, v134
	v_xor_b32_e32 v118, s20, v99
	v_cmp_gt_i32_e64 s20, 0, v100
	v_ashrrev_i32_e32 v100, 31, v102
	v_mov_b32_e32 v68, v148
	v_mov_b32_e32 v70, v146
	v_and_b32_e32 v118, v101, v118
	v_mov_b32_e32 v80, v160
	v_xor_b32_e32 v129, s20, v100
	v_cmp_gt_i32_e64 s20, 0, v117
	v_ashrrev_i32_e32 v117, 31, v128
	v_mov_b32_e32 v82, v150
	v_mov_b32_e32 v84, v164
	v_and_b32_e32 v118, v118, v129
	v_lshlrev_b64 v[128:129], 2, v[0:1]
	v_xor_b32_e32 v117, s20, v117
	v_mov_b32_e32 v86, v162
	v_mov_b32_e32 v96, v176
	;; [unrolled: 1-line block ×4, first 2 shown]
	v_and_b32_e32 v118, v118, v117
	v_add_co_u32 v117, null, v12, v128
	v_mov_b32_e32 v100, v178
	v_mov_b32_e32 v5, v195
	v_mbcnt_lo_u32_b32 v0, v118, 0
	v_cmp_ne_u32_e64 s21, 0, v118
	v_mov_b32_e32 v14, v193
	v_mov_b32_e32 v9, v199
	;; [unrolled: 1-line block ×3, first 2 shown]
	v_cmp_eq_u32_e64 s20, 0, v0
	v_mov_b32_e32 v20, v209
	v_mov_b32_e32 v18, v211
	;; [unrolled: 1-line block ×25, first 2 shown]
	v_add_co_u32 v117, null, v117, 32
	s_and_b32 s21, s21, s20
	ds_write_b32 v246, v1
	ds_write_b32 v247, v1
	ds_write_b32 v40, v1
	ds_write_b32 v41, v1
	ds_write_b32 v42, v1
	ds_write_b32 v43, v1
	ds_write_b32 v44, v1
	ds_write_b32 v45, v1
	s_waitcnt lgkmcnt(0)
	s_barrier
	buffer_gl0_inv
	; wave barrier
	s_and_saveexec_b32 s20, s21
; %bb.54:                               ;   in Loop: Header=BB809_53 Depth=1
	v_bcnt_u32_b32 v118, v118, 0
	ds_write_b32 v117, v118
; %bb.55:                               ;   in Loop: Header=BB809_53 Depth=1
	s_or_b32 exec_lo, exec_lo, s20
	v_lshrrev_b64 v[128:129], v10, v[52:53]
	; wave barrier
	v_and_b32_e32 v118, v128, v182
	v_and_b32_e32 v128, 1, v118
	v_lshlrev_b32_e32 v129, 30, v118
	v_lshlrev_b32_e32 v130, 29, v118
	;; [unrolled: 1-line block ×4, first 2 shown]
	v_add_co_u32 v128, s20, v128, -1
	v_cndmask_b32_e64 v132, 0, 1, s20
	v_not_b32_e32 v144, v129
	v_cmp_gt_i32_e64 s21, 0, v129
	v_not_b32_e32 v129, v130
	v_lshlrev_b32_e32 v134, 26, v118
	v_cmp_ne_u32_e64 s20, 0, v132
	v_ashrrev_i32_e32 v144, 31, v144
	v_lshlrev_b32_e32 v135, 25, v118
	v_ashrrev_i32_e32 v129, 31, v129
	v_lshlrev_b32_e32 v132, 24, v118
	v_xor_b32_e32 v128, s20, v128
	v_cmp_gt_i32_e64 s20, 0, v130
	v_not_b32_e32 v130, v131
	v_xor_b32_e32 v144, s21, v144
	v_cmp_gt_i32_e64 s21, 0, v131
	v_and_b32_e32 v128, exec_lo, v128
	v_not_b32_e32 v131, v133
	v_ashrrev_i32_e32 v130, 31, v130
	v_xor_b32_e32 v129, s20, v129
	v_cmp_gt_i32_e64 s20, 0, v133
	v_and_b32_e32 v128, v128, v144
	v_not_b32_e32 v133, v134
	v_ashrrev_i32_e32 v131, 31, v131
	v_xor_b32_e32 v130, s21, v130
	v_cmp_gt_i32_e64 s21, 0, v134
	v_and_b32_e32 v128, v128, v129
	;; [unrolled: 5-line block ×3, first 2 shown]
	v_not_b32_e32 v130, v132
	v_ashrrev_i32_e32 v129, 31, v129
	v_xor_b32_e32 v133, s21, v133
	v_lshl_add_u32 v118, v118, 3, v46
	v_and_b32_e32 v128, v128, v131
	v_cmp_gt_i32_e64 s21, 0, v132
	v_ashrrev_i32_e32 v130, 31, v130
	v_xor_b32_e32 v129, s20, v129
	v_lshl_add_u32 v131, v118, 2, v12
	v_and_b32_e32 v128, v128, v133
	v_xor_b32_e32 v130, s21, v130
	ds_read_b32 v118, v131 offset:32
	v_and_b32_e32 v128, v128, v129
	v_add_nc_u32_e32 v129, 32, v131
	; wave barrier
	v_and_b32_e32 v130, v128, v130
	v_mbcnt_lo_u32_b32 v128, v130, 0
	v_cmp_ne_u32_e64 s21, 0, v130
	v_cmp_eq_u32_e64 s20, 0, v128
	s_and_b32 s21, s21, s20
	s_and_saveexec_b32 s20, s21
	s_cbranch_execz .LBB809_57
; %bb.56:                               ;   in Loop: Header=BB809_53 Depth=1
	s_waitcnt lgkmcnt(0)
	v_bcnt_u32_b32 v130, v130, v118
	ds_write_b32 v129, v130
.LBB809_57:                             ;   in Loop: Header=BB809_53 Depth=1
	s_or_b32 exec_lo, exec_lo, s20
	v_lshrrev_b64 v[130:131], v10, v[50:51]
	; wave barrier
	v_and_b32_e32 v130, v130, v182
	v_and_b32_e32 v131, 1, v130
	v_lshlrev_b32_e32 v132, 30, v130
	v_lshlrev_b32_e32 v133, 29, v130
	;; [unrolled: 1-line block ×4, first 2 shown]
	v_add_co_u32 v131, s20, v131, -1
	v_cndmask_b32_e64 v135, 0, 1, s20
	v_not_b32_e32 v147, v132
	v_cmp_gt_i32_e64 s21, 0, v132
	v_not_b32_e32 v132, v133
	v_lshlrev_b32_e32 v145, 26, v130
	v_cmp_ne_u32_e64 s20, 0, v135
	v_ashrrev_i32_e32 v147, 31, v147
	v_lshlrev_b32_e32 v146, 25, v130
	v_ashrrev_i32_e32 v132, 31, v132
	v_lshlrev_b32_e32 v135, 24, v130
	v_xor_b32_e32 v131, s20, v131
	v_cmp_gt_i32_e64 s20, 0, v133
	v_not_b32_e32 v133, v134
	v_xor_b32_e32 v147, s21, v147
	v_cmp_gt_i32_e64 s21, 0, v134
	v_and_b32_e32 v131, exec_lo, v131
	v_not_b32_e32 v134, v144
	v_ashrrev_i32_e32 v133, 31, v133
	v_xor_b32_e32 v132, s20, v132
	v_cmp_gt_i32_e64 s20, 0, v144
	v_and_b32_e32 v131, v131, v147
	v_not_b32_e32 v144, v145
	v_ashrrev_i32_e32 v134, 31, v134
	v_xor_b32_e32 v133, s21, v133
	v_cmp_gt_i32_e64 s21, 0, v145
	v_and_b32_e32 v131, v131, v132
	;; [unrolled: 5-line block ×3, first 2 shown]
	v_not_b32_e32 v133, v135
	v_ashrrev_i32_e32 v132, 31, v132
	v_xor_b32_e32 v144, s21, v144
	v_lshl_add_u32 v130, v130, 3, v46
	v_and_b32_e32 v131, v131, v134
	v_cmp_gt_i32_e64 s21, 0, v135
	v_ashrrev_i32_e32 v133, 31, v133
	v_xor_b32_e32 v132, s20, v132
	v_lshl_add_u32 v134, v130, 2, v12
	v_and_b32_e32 v131, v131, v144
	v_xor_b32_e32 v133, s21, v133
	ds_read_b32 v130, v134 offset:32
	v_and_b32_e32 v131, v131, v132
	v_add_nc_u32_e32 v132, 32, v134
	; wave barrier
	v_and_b32_e32 v133, v131, v133
	v_mbcnt_lo_u32_b32 v131, v133, 0
	v_cmp_ne_u32_e64 s21, 0, v133
	v_cmp_eq_u32_e64 s20, 0, v131
	s_and_b32 s21, s21, s20
	s_and_saveexec_b32 s20, s21
	s_cbranch_execz .LBB809_59
; %bb.58:                               ;   in Loop: Header=BB809_53 Depth=1
	s_waitcnt lgkmcnt(0)
	v_bcnt_u32_b32 v133, v133, v130
	ds_write_b32 v132, v133
.LBB809_59:                             ;   in Loop: Header=BB809_53 Depth=1
	s_or_b32 exec_lo, exec_lo, s20
	v_lshrrev_b64 v[133:134], v10, v[54:55]
	; wave barrier
	v_and_b32_e32 v133, v133, v182
	v_and_b32_e32 v134, 1, v133
	v_lshlrev_b32_e32 v135, 30, v133
	v_lshlrev_b32_e32 v144, 29, v133
	;; [unrolled: 1-line block ×4, first 2 shown]
	v_add_co_u32 v134, s20, v134, -1
	v_cndmask_b32_e64 v146, 0, 1, s20
	v_not_b32_e32 v150, v135
	v_cmp_gt_i32_e64 s21, 0, v135
	v_not_b32_e32 v135, v144
	v_lshlrev_b32_e32 v148, 26, v133
	v_cmp_ne_u32_e64 s20, 0, v146
	v_ashrrev_i32_e32 v150, 31, v150
	v_lshlrev_b32_e32 v149, 25, v133
	v_ashrrev_i32_e32 v135, 31, v135
	v_lshlrev_b32_e32 v146, 24, v133
	v_xor_b32_e32 v134, s20, v134
	v_cmp_gt_i32_e64 s20, 0, v144
	v_not_b32_e32 v144, v145
	v_xor_b32_e32 v150, s21, v150
	v_cmp_gt_i32_e64 s21, 0, v145
	v_and_b32_e32 v134, exec_lo, v134
	v_not_b32_e32 v145, v147
	v_ashrrev_i32_e32 v144, 31, v144
	v_xor_b32_e32 v135, s20, v135
	v_cmp_gt_i32_e64 s20, 0, v147
	v_and_b32_e32 v134, v134, v150
	v_not_b32_e32 v147, v148
	v_ashrrev_i32_e32 v145, 31, v145
	v_xor_b32_e32 v144, s21, v144
	v_cmp_gt_i32_e64 s21, 0, v148
	v_and_b32_e32 v134, v134, v135
	;; [unrolled: 5-line block ×3, first 2 shown]
	v_not_b32_e32 v144, v146
	v_ashrrev_i32_e32 v135, 31, v135
	v_xor_b32_e32 v147, s21, v147
	v_lshl_add_u32 v133, v133, 3, v46
	v_and_b32_e32 v134, v134, v145
	v_cmp_gt_i32_e64 s21, 0, v146
	v_ashrrev_i32_e32 v144, 31, v144
	v_xor_b32_e32 v135, s20, v135
	v_lshl_add_u32 v145, v133, 2, v12
	v_and_b32_e32 v134, v134, v147
	v_xor_b32_e32 v144, s21, v144
	ds_read_b32 v133, v145 offset:32
	v_and_b32_e32 v134, v134, v135
	v_add_nc_u32_e32 v135, 32, v145
	; wave barrier
	v_and_b32_e32 v144, v134, v144
	v_mbcnt_lo_u32_b32 v134, v144, 0
	v_cmp_ne_u32_e64 s21, 0, v144
	v_cmp_eq_u32_e64 s20, 0, v134
	s_and_b32 s21, s21, s20
	s_and_saveexec_b32 s20, s21
	s_cbranch_execz .LBB809_61
; %bb.60:                               ;   in Loop: Header=BB809_53 Depth=1
	s_waitcnt lgkmcnt(0)
	v_bcnt_u32_b32 v144, v144, v133
	ds_write_b32 v135, v144
.LBB809_61:                             ;   in Loop: Header=BB809_53 Depth=1
	s_or_b32 exec_lo, exec_lo, s20
	v_lshrrev_b64 v[144:145], v10, v[66:67]
	; wave barrier
	v_and_b32_e32 v144, v144, v182
	v_and_b32_e32 v145, 1, v144
	v_lshlrev_b32_e32 v146, 30, v144
	v_lshlrev_b32_e32 v147, 29, v144
	;; [unrolled: 1-line block ×4, first 2 shown]
	v_add_co_u32 v145, s20, v145, -1
	v_cndmask_b32_e64 v149, 0, 1, s20
	v_not_b32_e32 v161, v146
	v_cmp_gt_i32_e64 s21, 0, v146
	v_not_b32_e32 v146, v147
	v_lshlrev_b32_e32 v151, 26, v144
	v_cmp_ne_u32_e64 s20, 0, v149
	v_ashrrev_i32_e32 v161, 31, v161
	v_lshlrev_b32_e32 v160, 25, v144
	v_ashrrev_i32_e32 v146, 31, v146
	v_lshlrev_b32_e32 v149, 24, v144
	v_xor_b32_e32 v145, s20, v145
	v_cmp_gt_i32_e64 s20, 0, v147
	v_not_b32_e32 v147, v148
	v_xor_b32_e32 v161, s21, v161
	v_cmp_gt_i32_e64 s21, 0, v148
	v_and_b32_e32 v145, exec_lo, v145
	v_not_b32_e32 v148, v150
	v_ashrrev_i32_e32 v147, 31, v147
	v_xor_b32_e32 v146, s20, v146
	v_cmp_gt_i32_e64 s20, 0, v150
	v_and_b32_e32 v145, v145, v161
	v_not_b32_e32 v150, v151
	v_ashrrev_i32_e32 v148, 31, v148
	v_xor_b32_e32 v147, s21, v147
	v_cmp_gt_i32_e64 s21, 0, v151
	v_and_b32_e32 v145, v145, v146
	;; [unrolled: 5-line block ×3, first 2 shown]
	v_not_b32_e32 v147, v149
	v_ashrrev_i32_e32 v146, 31, v146
	v_xor_b32_e32 v150, s21, v150
	v_lshl_add_u32 v144, v144, 3, v46
	v_and_b32_e32 v145, v145, v148
	v_cmp_gt_i32_e64 s21, 0, v149
	v_ashrrev_i32_e32 v147, 31, v147
	v_xor_b32_e32 v146, s20, v146
	v_lshl_add_u32 v148, v144, 2, v12
	v_and_b32_e32 v145, v145, v150
	v_xor_b32_e32 v147, s21, v147
	ds_read_b32 v144, v148 offset:32
	v_and_b32_e32 v145, v145, v146
	v_add_nc_u32_e32 v146, 32, v148
	; wave barrier
	v_and_b32_e32 v147, v145, v147
	v_mbcnt_lo_u32_b32 v145, v147, 0
	v_cmp_ne_u32_e64 s21, 0, v147
	v_cmp_eq_u32_e64 s20, 0, v145
	s_and_b32 s21, s21, s20
	s_and_saveexec_b32 s20, s21
	s_cbranch_execz .LBB809_63
; %bb.62:                               ;   in Loop: Header=BB809_53 Depth=1
	s_waitcnt lgkmcnt(0)
	v_bcnt_u32_b32 v147, v147, v144
	ds_write_b32 v146, v147
.LBB809_63:                             ;   in Loop: Header=BB809_53 Depth=1
	s_or_b32 exec_lo, exec_lo, s20
	v_lshrrev_b64 v[147:148], v10, v[64:65]
	; wave barrier
	v_and_b32_e32 v147, v147, v182
	v_and_b32_e32 v148, 1, v147
	v_lshlrev_b32_e32 v149, 30, v147
	v_lshlrev_b32_e32 v150, 29, v147
	;; [unrolled: 1-line block ×4, first 2 shown]
	v_add_co_u32 v148, s20, v148, -1
	v_cndmask_b32_e64 v160, 0, 1, s20
	v_not_b32_e32 v164, v149
	v_cmp_gt_i32_e64 s21, 0, v149
	v_not_b32_e32 v149, v150
	v_lshlrev_b32_e32 v162, 26, v147
	v_cmp_ne_u32_e64 s20, 0, v160
	v_ashrrev_i32_e32 v164, 31, v164
	v_lshlrev_b32_e32 v163, 25, v147
	v_ashrrev_i32_e32 v149, 31, v149
	v_lshlrev_b32_e32 v160, 24, v147
	v_xor_b32_e32 v148, s20, v148
	v_cmp_gt_i32_e64 s20, 0, v150
	v_not_b32_e32 v150, v151
	v_xor_b32_e32 v164, s21, v164
	v_cmp_gt_i32_e64 s21, 0, v151
	v_and_b32_e32 v148, exec_lo, v148
	v_not_b32_e32 v151, v161
	v_ashrrev_i32_e32 v150, 31, v150
	v_xor_b32_e32 v149, s20, v149
	v_cmp_gt_i32_e64 s20, 0, v161
	v_and_b32_e32 v148, v148, v164
	v_not_b32_e32 v161, v162
	v_ashrrev_i32_e32 v151, 31, v151
	v_xor_b32_e32 v150, s21, v150
	v_cmp_gt_i32_e64 s21, 0, v162
	v_and_b32_e32 v148, v148, v149
	;; [unrolled: 5-line block ×3, first 2 shown]
	v_not_b32_e32 v150, v160
	v_ashrrev_i32_e32 v149, 31, v149
	v_xor_b32_e32 v161, s21, v161
	v_lshl_add_u32 v147, v147, 3, v46
	v_and_b32_e32 v148, v148, v151
	v_cmp_gt_i32_e64 s21, 0, v160
	v_ashrrev_i32_e32 v150, 31, v150
	v_xor_b32_e32 v149, s20, v149
	v_lshl_add_u32 v151, v147, 2, v12
	v_and_b32_e32 v148, v148, v161
	v_xor_b32_e32 v150, s21, v150
	ds_read_b32 v147, v151 offset:32
	v_and_b32_e32 v148, v148, v149
	v_add_nc_u32_e32 v149, 32, v151
	; wave barrier
	v_and_b32_e32 v150, v148, v150
	v_mbcnt_lo_u32_b32 v148, v150, 0
	v_cmp_ne_u32_e64 s21, 0, v150
	v_cmp_eq_u32_e64 s20, 0, v148
	s_and_b32 s21, s21, s20
	s_and_saveexec_b32 s20, s21
	s_cbranch_execz .LBB809_65
; %bb.64:                               ;   in Loop: Header=BB809_53 Depth=1
	s_waitcnt lgkmcnt(0)
	v_bcnt_u32_b32 v150, v150, v147
	ds_write_b32 v149, v150
.LBB809_65:                             ;   in Loop: Header=BB809_53 Depth=1
	s_or_b32 exec_lo, exec_lo, s20
	v_lshrrev_b64 v[150:151], v10, v[68:69]
	; wave barrier
	v_and_b32_e32 v150, v150, v182
	v_and_b32_e32 v151, 1, v150
	v_lshlrev_b32_e32 v160, 30, v150
	v_lshlrev_b32_e32 v161, 29, v150
	;; [unrolled: 1-line block ×4, first 2 shown]
	v_add_co_u32 v151, s20, v151, -1
	v_cndmask_b32_e64 v163, 0, 1, s20
	v_not_b32_e32 v167, v160
	v_cmp_gt_i32_e64 s21, 0, v160
	v_not_b32_e32 v160, v161
	v_lshlrev_b32_e32 v165, 26, v150
	v_cmp_ne_u32_e64 s20, 0, v163
	v_ashrrev_i32_e32 v167, 31, v167
	v_lshlrev_b32_e32 v166, 25, v150
	v_ashrrev_i32_e32 v160, 31, v160
	v_lshlrev_b32_e32 v163, 24, v150
	v_xor_b32_e32 v151, s20, v151
	v_cmp_gt_i32_e64 s20, 0, v161
	v_not_b32_e32 v161, v162
	v_xor_b32_e32 v167, s21, v167
	v_cmp_gt_i32_e64 s21, 0, v162
	v_and_b32_e32 v151, exec_lo, v151
	v_not_b32_e32 v162, v164
	v_ashrrev_i32_e32 v161, 31, v161
	v_xor_b32_e32 v160, s20, v160
	v_cmp_gt_i32_e64 s20, 0, v164
	v_and_b32_e32 v151, v151, v167
	v_not_b32_e32 v164, v165
	v_ashrrev_i32_e32 v162, 31, v162
	v_xor_b32_e32 v161, s21, v161
	v_cmp_gt_i32_e64 s21, 0, v165
	v_and_b32_e32 v151, v151, v160
	;; [unrolled: 5-line block ×3, first 2 shown]
	v_not_b32_e32 v161, v163
	v_ashrrev_i32_e32 v160, 31, v160
	v_xor_b32_e32 v164, s21, v164
	v_lshl_add_u32 v150, v150, 3, v46
	v_and_b32_e32 v151, v151, v162
	v_cmp_gt_i32_e64 s21, 0, v163
	v_ashrrev_i32_e32 v161, 31, v161
	v_xor_b32_e32 v160, s20, v160
	v_lshl_add_u32 v162, v150, 2, v12
	v_and_b32_e32 v151, v151, v164
	v_xor_b32_e32 v161, s21, v161
	ds_read_b32 v150, v162 offset:32
	v_and_b32_e32 v151, v151, v160
	v_add_nc_u32_e32 v160, 32, v162
	; wave barrier
	v_and_b32_e32 v161, v151, v161
	v_mbcnt_lo_u32_b32 v151, v161, 0
	v_cmp_ne_u32_e64 s21, 0, v161
	v_cmp_eq_u32_e64 s20, 0, v151
	s_and_b32 s21, s21, s20
	s_and_saveexec_b32 s20, s21
	s_cbranch_execz .LBB809_67
; %bb.66:                               ;   in Loop: Header=BB809_53 Depth=1
	s_waitcnt lgkmcnt(0)
	v_bcnt_u32_b32 v161, v161, v150
	ds_write_b32 v160, v161
.LBB809_67:                             ;   in Loop: Header=BB809_53 Depth=1
	s_or_b32 exec_lo, exec_lo, s20
	v_lshrrev_b64 v[161:162], v10, v[70:71]
	; wave barrier
	v_and_b32_e32 v161, v161, v182
	v_and_b32_e32 v162, 1, v161
	v_lshlrev_b32_e32 v163, 30, v161
	v_lshlrev_b32_e32 v164, 29, v161
	;; [unrolled: 1-line block ×4, first 2 shown]
	v_add_co_u32 v162, s20, v162, -1
	v_cndmask_b32_e64 v166, 0, 1, s20
	v_not_b32_e32 v178, v163
	v_cmp_gt_i32_e64 s21, 0, v163
	v_not_b32_e32 v163, v164
	v_lshlrev_b32_e32 v176, 26, v161
	v_cmp_ne_u32_e64 s20, 0, v166
	v_ashrrev_i32_e32 v178, 31, v178
	v_lshlrev_b32_e32 v177, 25, v161
	v_ashrrev_i32_e32 v163, 31, v163
	v_lshlrev_b32_e32 v166, 24, v161
	v_xor_b32_e32 v162, s20, v162
	v_cmp_gt_i32_e64 s20, 0, v164
	v_not_b32_e32 v164, v165
	v_xor_b32_e32 v178, s21, v178
	v_cmp_gt_i32_e64 s21, 0, v165
	v_and_b32_e32 v162, exec_lo, v162
	v_not_b32_e32 v165, v167
	v_ashrrev_i32_e32 v164, 31, v164
	v_xor_b32_e32 v163, s20, v163
	v_cmp_gt_i32_e64 s20, 0, v167
	v_and_b32_e32 v162, v162, v178
	v_not_b32_e32 v167, v176
	v_ashrrev_i32_e32 v165, 31, v165
	v_xor_b32_e32 v164, s21, v164
	v_cmp_gt_i32_e64 s21, 0, v176
	v_and_b32_e32 v162, v162, v163
	;; [unrolled: 5-line block ×3, first 2 shown]
	v_not_b32_e32 v164, v166
	v_ashrrev_i32_e32 v163, 31, v163
	v_xor_b32_e32 v167, s21, v167
	v_lshl_add_u32 v161, v161, 3, v46
	v_and_b32_e32 v162, v162, v165
	v_cmp_gt_i32_e64 s21, 0, v166
	v_ashrrev_i32_e32 v164, 31, v164
	v_xor_b32_e32 v163, s20, v163
	v_lshl_add_u32 v165, v161, 2, v12
	v_and_b32_e32 v162, v162, v167
	v_xor_b32_e32 v164, s21, v164
	ds_read_b32 v161, v165 offset:32
	v_and_b32_e32 v162, v162, v163
	v_add_nc_u32_e32 v163, 32, v165
	; wave barrier
	v_and_b32_e32 v164, v162, v164
	v_mbcnt_lo_u32_b32 v162, v164, 0
	v_cmp_ne_u32_e64 s21, 0, v164
	v_cmp_eq_u32_e64 s20, 0, v162
	s_and_b32 s21, s21, s20
	s_and_saveexec_b32 s20, s21
	s_cbranch_execz .LBB809_69
; %bb.68:                               ;   in Loop: Header=BB809_53 Depth=1
	s_waitcnt lgkmcnt(0)
	v_bcnt_u32_b32 v164, v164, v161
	ds_write_b32 v163, v164
.LBB809_69:                             ;   in Loop: Header=BB809_53 Depth=1
	s_or_b32 exec_lo, exec_lo, s20
	v_lshrrev_b64 v[164:165], v10, v[80:81]
	; wave barrier
	v_and_b32_e32 v164, v164, v182
	v_and_b32_e32 v165, 1, v164
	v_lshlrev_b32_e32 v166, 30, v164
	v_lshlrev_b32_e32 v167, 29, v164
	;; [unrolled: 1-line block ×4, first 2 shown]
	v_add_co_u32 v165, s20, v165, -1
	v_cndmask_b32_e64 v177, 0, 1, s20
	v_not_b32_e32 v181, v166
	v_cmp_gt_i32_e64 s21, 0, v166
	v_not_b32_e32 v166, v167
	v_lshlrev_b32_e32 v179, 26, v164
	v_cmp_ne_u32_e64 s20, 0, v177
	v_ashrrev_i32_e32 v181, 31, v181
	v_lshlrev_b32_e32 v180, 25, v164
	v_ashrrev_i32_e32 v166, 31, v166
	v_lshlrev_b32_e32 v177, 24, v164
	v_xor_b32_e32 v165, s20, v165
	v_cmp_gt_i32_e64 s20, 0, v167
	v_not_b32_e32 v167, v176
	v_xor_b32_e32 v181, s21, v181
	v_cmp_gt_i32_e64 s21, 0, v176
	v_and_b32_e32 v165, exec_lo, v165
	v_not_b32_e32 v176, v178
	v_ashrrev_i32_e32 v167, 31, v167
	v_xor_b32_e32 v166, s20, v166
	v_cmp_gt_i32_e64 s20, 0, v178
	v_and_b32_e32 v165, v165, v181
	v_not_b32_e32 v178, v179
	v_ashrrev_i32_e32 v176, 31, v176
	v_xor_b32_e32 v167, s21, v167
	v_cmp_gt_i32_e64 s21, 0, v179
	v_and_b32_e32 v165, v165, v166
	;; [unrolled: 5-line block ×3, first 2 shown]
	v_not_b32_e32 v167, v177
	v_ashrrev_i32_e32 v166, 31, v166
	v_xor_b32_e32 v178, s21, v178
	v_lshl_add_u32 v164, v164, 3, v46
	v_and_b32_e32 v165, v165, v176
	v_cmp_gt_i32_e64 s21, 0, v177
	v_ashrrev_i32_e32 v167, 31, v167
	v_xor_b32_e32 v166, s20, v166
	v_lshl_add_u32 v176, v164, 2, v12
	v_and_b32_e32 v165, v165, v178
	v_xor_b32_e32 v167, s21, v167
	ds_read_b32 v164, v176 offset:32
	v_and_b32_e32 v165, v165, v166
	v_add_nc_u32_e32 v166, 32, v176
	; wave barrier
	v_and_b32_e32 v167, v165, v167
	v_mbcnt_lo_u32_b32 v165, v167, 0
	v_cmp_ne_u32_e64 s21, 0, v167
	v_cmp_eq_u32_e64 s20, 0, v165
	s_and_b32 s21, s21, s20
	s_and_saveexec_b32 s20, s21
	s_cbranch_execz .LBB809_71
; %bb.70:                               ;   in Loop: Header=BB809_53 Depth=1
	s_waitcnt lgkmcnt(0)
	v_bcnt_u32_b32 v167, v167, v164
	ds_write_b32 v166, v167
.LBB809_71:                             ;   in Loop: Header=BB809_53 Depth=1
	s_or_b32 exec_lo, exec_lo, s20
	v_lshrrev_b64 v[176:177], v10, v[82:83]
	; wave barrier
	v_and_b32_e32 v167, v176, v182
	v_and_b32_e32 v176, 1, v167
	v_lshlrev_b32_e32 v177, 30, v167
	v_lshlrev_b32_e32 v178, 29, v167
	;; [unrolled: 1-line block ×4, first 2 shown]
	v_add_co_u32 v176, s20, v176, -1
	v_cndmask_b32_e64 v180, 0, 1, s20
	v_not_b32_e32 v193, v177
	v_cmp_gt_i32_e64 s21, 0, v177
	v_not_b32_e32 v177, v178
	v_lshlrev_b32_e32 v183, 26, v167
	v_cmp_ne_u32_e64 s20, 0, v180
	v_ashrrev_i32_e32 v193, 31, v193
	v_lshlrev_b32_e32 v192, 25, v167
	v_ashrrev_i32_e32 v177, 31, v177
	v_lshlrev_b32_e32 v180, 24, v167
	v_xor_b32_e32 v176, s20, v176
	v_cmp_gt_i32_e64 s20, 0, v178
	v_not_b32_e32 v178, v179
	v_xor_b32_e32 v193, s21, v193
	v_cmp_gt_i32_e64 s21, 0, v179
	v_and_b32_e32 v176, exec_lo, v176
	v_not_b32_e32 v179, v181
	v_ashrrev_i32_e32 v178, 31, v178
	v_xor_b32_e32 v177, s20, v177
	v_cmp_gt_i32_e64 s20, 0, v181
	v_and_b32_e32 v176, v176, v193
	v_not_b32_e32 v181, v183
	v_ashrrev_i32_e32 v179, 31, v179
	v_xor_b32_e32 v178, s21, v178
	v_cmp_gt_i32_e64 s21, 0, v183
	v_and_b32_e32 v176, v176, v177
	;; [unrolled: 5-line block ×3, first 2 shown]
	v_not_b32_e32 v178, v180
	v_ashrrev_i32_e32 v177, 31, v177
	v_xor_b32_e32 v181, s21, v181
	v_lshl_add_u32 v167, v167, 3, v46
	v_and_b32_e32 v176, v176, v179
	v_cmp_gt_i32_e64 s21, 0, v180
	v_ashrrev_i32_e32 v178, 31, v178
	v_xor_b32_e32 v177, s20, v177
	v_lshl_add_u32 v179, v167, 2, v12
	v_and_b32_e32 v176, v176, v181
	v_xor_b32_e32 v178, s21, v178
	ds_read_b32 v167, v179 offset:32
	v_and_b32_e32 v176, v176, v177
	v_add_nc_u32_e32 v177, 32, v179
	; wave barrier
	v_and_b32_e32 v178, v176, v178
	v_mbcnt_lo_u32_b32 v176, v178, 0
	v_cmp_ne_u32_e64 s21, 0, v178
	v_cmp_eq_u32_e64 s20, 0, v176
	s_and_b32 s21, s21, s20
	s_and_saveexec_b32 s20, s21
	s_cbranch_execz .LBB809_73
; %bb.72:                               ;   in Loop: Header=BB809_53 Depth=1
	s_waitcnt lgkmcnt(0)
	v_bcnt_u32_b32 v178, v178, v167
	ds_write_b32 v177, v178
.LBB809_73:                             ;   in Loop: Header=BB809_53 Depth=1
	s_or_b32 exec_lo, exec_lo, s20
	v_lshrrev_b64 v[178:179], v10, v[84:85]
	; wave barrier
	v_and_b32_e32 v178, v178, v182
	v_and_b32_e32 v179, 1, v178
	v_lshlrev_b32_e32 v180, 30, v178
	v_lshlrev_b32_e32 v181, 29, v178
	;; [unrolled: 1-line block ×4, first 2 shown]
	v_add_co_u32 v179, s20, v179, -1
	v_cndmask_b32_e64 v192, 0, 1, s20
	v_not_b32_e32 v196, v180
	v_cmp_gt_i32_e64 s21, 0, v180
	v_not_b32_e32 v180, v181
	v_lshlrev_b32_e32 v194, 26, v178
	v_cmp_ne_u32_e64 s20, 0, v192
	v_ashrrev_i32_e32 v196, 31, v196
	v_lshlrev_b32_e32 v195, 25, v178
	v_ashrrev_i32_e32 v180, 31, v180
	v_lshlrev_b32_e32 v192, 24, v178
	v_xor_b32_e32 v179, s20, v179
	v_cmp_gt_i32_e64 s20, 0, v181
	v_not_b32_e32 v181, v183
	v_xor_b32_e32 v196, s21, v196
	v_cmp_gt_i32_e64 s21, 0, v183
	v_and_b32_e32 v179, exec_lo, v179
	v_not_b32_e32 v183, v193
	v_ashrrev_i32_e32 v181, 31, v181
	v_xor_b32_e32 v180, s20, v180
	v_cmp_gt_i32_e64 s20, 0, v193
	v_and_b32_e32 v179, v179, v196
	v_not_b32_e32 v193, v194
	v_ashrrev_i32_e32 v183, 31, v183
	v_xor_b32_e32 v181, s21, v181
	v_cmp_gt_i32_e64 s21, 0, v194
	v_and_b32_e32 v179, v179, v180
	;; [unrolled: 5-line block ×3, first 2 shown]
	v_not_b32_e32 v181, v192
	v_ashrrev_i32_e32 v180, 31, v180
	v_xor_b32_e32 v193, s21, v193
	v_lshl_add_u32 v178, v178, 3, v46
	v_and_b32_e32 v179, v179, v183
	v_cmp_gt_i32_e64 s21, 0, v192
	v_ashrrev_i32_e32 v181, 31, v181
	v_xor_b32_e32 v180, s20, v180
	v_lshl_add_u32 v183, v178, 2, v12
	v_and_b32_e32 v179, v179, v193
	v_xor_b32_e32 v181, s21, v181
	ds_read_b32 v178, v183 offset:32
	v_and_b32_e32 v179, v179, v180
	v_add_nc_u32_e32 v180, 32, v183
	; wave barrier
	v_and_b32_e32 v181, v179, v181
	v_mbcnt_lo_u32_b32 v179, v181, 0
	v_cmp_ne_u32_e64 s21, 0, v181
	v_cmp_eq_u32_e64 s20, 0, v179
	s_and_b32 s21, s21, s20
	s_and_saveexec_b32 s20, s21
	s_cbranch_execz .LBB809_75
; %bb.74:                               ;   in Loop: Header=BB809_53 Depth=1
	s_waitcnt lgkmcnt(0)
	v_bcnt_u32_b32 v181, v181, v178
	ds_write_b32 v180, v181
.LBB809_75:                             ;   in Loop: Header=BB809_53 Depth=1
	s_or_b32 exec_lo, exec_lo, s20
	v_lshrrev_b64 v[192:193], v10, v[86:87]
	; wave barrier
	v_and_b32_e32 v181, v192, v182
	v_and_b32_e32 v183, 1, v181
	v_lshlrev_b32_e32 v192, 30, v181
	v_lshlrev_b32_e32 v193, 29, v181
	;; [unrolled: 1-line block ×4, first 2 shown]
	v_add_co_u32 v183, s20, v183, -1
	v_cndmask_b32_e64 v195, 0, 1, s20
	v_not_b32_e32 v199, v192
	v_cmp_gt_i32_e64 s21, 0, v192
	v_not_b32_e32 v192, v193
	v_lshlrev_b32_e32 v197, 26, v181
	v_cmp_ne_u32_e64 s20, 0, v195
	v_ashrrev_i32_e32 v199, 31, v199
	v_lshlrev_b32_e32 v198, 25, v181
	v_ashrrev_i32_e32 v192, 31, v192
	v_lshlrev_b32_e32 v195, 24, v181
	v_xor_b32_e32 v183, s20, v183
	v_cmp_gt_i32_e64 s20, 0, v193
	v_not_b32_e32 v193, v194
	v_xor_b32_e32 v199, s21, v199
	v_cmp_gt_i32_e64 s21, 0, v194
	v_and_b32_e32 v183, exec_lo, v183
	v_not_b32_e32 v194, v196
	v_ashrrev_i32_e32 v193, 31, v193
	v_xor_b32_e32 v192, s20, v192
	v_cmp_gt_i32_e64 s20, 0, v196
	v_and_b32_e32 v183, v183, v199
	v_not_b32_e32 v196, v197
	v_ashrrev_i32_e32 v194, 31, v194
	v_xor_b32_e32 v193, s21, v193
	v_cmp_gt_i32_e64 s21, 0, v197
	v_and_b32_e32 v183, v183, v192
	;; [unrolled: 5-line block ×3, first 2 shown]
	v_not_b32_e32 v193, v195
	v_ashrrev_i32_e32 v192, 31, v192
	v_xor_b32_e32 v196, s21, v196
	v_lshl_add_u32 v181, v181, 3, v46
	v_and_b32_e32 v183, v183, v194
	v_cmp_gt_i32_e64 s21, 0, v195
	v_ashrrev_i32_e32 v193, 31, v193
	v_xor_b32_e32 v192, s20, v192
	v_lshl_add_u32 v194, v181, 2, v12
	v_and_b32_e32 v183, v183, v196
	v_xor_b32_e32 v193, s21, v193
	ds_read_b32 v181, v194 offset:32
	v_and_b32_e32 v183, v183, v192
	v_add_nc_u32_e32 v192, 32, v194
	; wave barrier
	v_and_b32_e32 v193, v183, v193
	v_mbcnt_lo_u32_b32 v183, v193, 0
	v_cmp_ne_u32_e64 s21, 0, v193
	v_cmp_eq_u32_e64 s20, 0, v183
	s_and_b32 s21, s21, s20
	s_and_saveexec_b32 s20, s21
	s_cbranch_execz .LBB809_77
; %bb.76:                               ;   in Loop: Header=BB809_53 Depth=1
	s_waitcnt lgkmcnt(0)
	v_bcnt_u32_b32 v193, v193, v181
	ds_write_b32 v192, v193
.LBB809_77:                             ;   in Loop: Header=BB809_53 Depth=1
	s_or_b32 exec_lo, exec_lo, s20
	v_lshrrev_b64 v[193:194], v10, v[96:97]
	; wave barrier
	v_and_b32_e32 v193, v193, v182
	v_and_b32_e32 v194, 1, v193
	v_lshlrev_b32_e32 v195, 30, v193
	v_lshlrev_b32_e32 v196, 29, v193
	;; [unrolled: 1-line block ×4, first 2 shown]
	v_add_co_u32 v194, s20, v194, -1
	v_cndmask_b32_e64 v198, 0, 1, s20
	v_not_b32_e32 v210, v195
	v_cmp_gt_i32_e64 s21, 0, v195
	v_not_b32_e32 v195, v196
	v_lshlrev_b32_e32 v208, 26, v193
	v_cmp_ne_u32_e64 s20, 0, v198
	v_ashrrev_i32_e32 v210, 31, v210
	v_lshlrev_b32_e32 v209, 25, v193
	v_ashrrev_i32_e32 v195, 31, v195
	v_lshlrev_b32_e32 v198, 24, v193
	v_xor_b32_e32 v194, s20, v194
	v_cmp_gt_i32_e64 s20, 0, v196
	v_not_b32_e32 v196, v197
	v_xor_b32_e32 v210, s21, v210
	v_cmp_gt_i32_e64 s21, 0, v197
	v_and_b32_e32 v194, exec_lo, v194
	v_not_b32_e32 v197, v199
	v_ashrrev_i32_e32 v196, 31, v196
	v_xor_b32_e32 v195, s20, v195
	v_cmp_gt_i32_e64 s20, 0, v199
	v_and_b32_e32 v194, v194, v210
	v_not_b32_e32 v199, v208
	v_ashrrev_i32_e32 v197, 31, v197
	v_xor_b32_e32 v196, s21, v196
	v_cmp_gt_i32_e64 s21, 0, v208
	v_and_b32_e32 v194, v194, v195
	;; [unrolled: 5-line block ×3, first 2 shown]
	v_not_b32_e32 v196, v198
	v_ashrrev_i32_e32 v195, 31, v195
	v_xor_b32_e32 v199, s21, v199
	v_lshl_add_u32 v193, v193, 3, v46
	v_and_b32_e32 v194, v194, v197
	v_cmp_gt_i32_e64 s21, 0, v198
	v_ashrrev_i32_e32 v196, 31, v196
	v_xor_b32_e32 v195, s20, v195
	v_lshl_add_u32 v197, v193, 2, v12
	v_and_b32_e32 v194, v194, v199
	v_xor_b32_e32 v196, s21, v196
	ds_read_b32 v193, v197 offset:32
	v_and_b32_e32 v194, v194, v195
	v_add_nc_u32_e32 v195, 32, v197
	; wave barrier
	v_and_b32_e32 v196, v194, v196
	v_mbcnt_lo_u32_b32 v194, v196, 0
	v_cmp_ne_u32_e64 s21, 0, v196
	v_cmp_eq_u32_e64 s20, 0, v194
	s_and_b32 s21, s21, s20
	s_and_saveexec_b32 s20, s21
	s_cbranch_execz .LBB809_79
; %bb.78:                               ;   in Loop: Header=BB809_53 Depth=1
	s_waitcnt lgkmcnt(0)
	v_bcnt_u32_b32 v196, v196, v193
	ds_write_b32 v195, v196
.LBB809_79:                             ;   in Loop: Header=BB809_53 Depth=1
	s_or_b32 exec_lo, exec_lo, s20
	v_lshrrev_b64 v[196:197], v10, v[98:99]
	; wave barrier
	v_and_b32_e32 v196, v196, v182
	v_and_b32_e32 v197, 1, v196
	v_lshlrev_b32_e32 v198, 30, v196
	v_lshlrev_b32_e32 v199, 29, v196
	;; [unrolled: 1-line block ×4, first 2 shown]
	v_add_co_u32 v197, s20, v197, -1
	v_cndmask_b32_e64 v209, 0, 1, s20
	v_not_b32_e32 v213, v198
	v_cmp_gt_i32_e64 s21, 0, v198
	v_not_b32_e32 v198, v199
	v_lshlrev_b32_e32 v211, 26, v196
	v_cmp_ne_u32_e64 s20, 0, v209
	v_ashrrev_i32_e32 v213, 31, v213
	v_lshlrev_b32_e32 v212, 25, v196
	v_ashrrev_i32_e32 v198, 31, v198
	v_lshlrev_b32_e32 v209, 24, v196
	v_xor_b32_e32 v197, s20, v197
	v_cmp_gt_i32_e64 s20, 0, v199
	v_not_b32_e32 v199, v208
	v_xor_b32_e32 v213, s21, v213
	v_cmp_gt_i32_e64 s21, 0, v208
	v_and_b32_e32 v197, exec_lo, v197
	v_not_b32_e32 v208, v210
	v_ashrrev_i32_e32 v199, 31, v199
	v_xor_b32_e32 v198, s20, v198
	v_cmp_gt_i32_e64 s20, 0, v210
	v_and_b32_e32 v197, v197, v213
	v_not_b32_e32 v210, v211
	v_ashrrev_i32_e32 v208, 31, v208
	v_xor_b32_e32 v199, s21, v199
	v_cmp_gt_i32_e64 s21, 0, v211
	v_and_b32_e32 v197, v197, v198
	;; [unrolled: 5-line block ×3, first 2 shown]
	v_not_b32_e32 v199, v209
	v_ashrrev_i32_e32 v198, 31, v198
	v_xor_b32_e32 v210, s21, v210
	v_lshl_add_u32 v196, v196, 3, v46
	v_and_b32_e32 v197, v197, v208
	v_cmp_gt_i32_e64 s21, 0, v209
	v_ashrrev_i32_e32 v199, 31, v199
	v_xor_b32_e32 v198, s20, v198
	v_lshl_add_u32 v208, v196, 2, v12
	v_and_b32_e32 v197, v197, v210
	v_xor_b32_e32 v199, s21, v199
	ds_read_b32 v196, v208 offset:32
	v_and_b32_e32 v197, v197, v198
	v_add_nc_u32_e32 v198, 32, v208
	; wave barrier
	v_and_b32_e32 v199, v197, v199
	v_mbcnt_lo_u32_b32 v197, v199, 0
	v_cmp_ne_u32_e64 s21, 0, v199
	v_cmp_eq_u32_e64 s20, 0, v197
	s_and_b32 s21, s21, s20
	s_and_saveexec_b32 s20, s21
	s_cbranch_execz .LBB809_81
; %bb.80:                               ;   in Loop: Header=BB809_53 Depth=1
	s_waitcnt lgkmcnt(0)
	v_bcnt_u32_b32 v199, v199, v196
	ds_write_b32 v198, v199
.LBB809_81:                             ;   in Loop: Header=BB809_53 Depth=1
	s_or_b32 exec_lo, exec_lo, s20
	v_lshrrev_b64 v[208:209], v10, v[102:103]
	; wave barrier
	v_and_b32_e32 v199, v208, v182
	v_and_b32_e32 v208, 1, v199
	v_lshlrev_b32_e32 v209, 30, v199
	v_lshlrev_b32_e32 v210, 29, v199
	;; [unrolled: 1-line block ×4, first 2 shown]
	v_add_co_u32 v208, s20, v208, -1
	v_cndmask_b32_e64 v212, 0, 1, s20
	v_not_b32_e32 v224, v209
	v_cmp_gt_i32_e64 s21, 0, v209
	v_not_b32_e32 v209, v210
	v_lshlrev_b32_e32 v214, 26, v199
	v_cmp_ne_u32_e64 s20, 0, v212
	v_ashrrev_i32_e32 v224, 31, v224
	v_lshlrev_b32_e32 v215, 25, v199
	v_ashrrev_i32_e32 v209, 31, v209
	v_lshlrev_b32_e32 v212, 24, v199
	v_xor_b32_e32 v208, s20, v208
	v_cmp_gt_i32_e64 s20, 0, v210
	v_not_b32_e32 v210, v211
	v_xor_b32_e32 v224, s21, v224
	v_cmp_gt_i32_e64 s21, 0, v211
	v_and_b32_e32 v208, exec_lo, v208
	v_not_b32_e32 v211, v213
	v_ashrrev_i32_e32 v210, 31, v210
	v_xor_b32_e32 v209, s20, v209
	v_cmp_gt_i32_e64 s20, 0, v213
	v_and_b32_e32 v208, v208, v224
	v_not_b32_e32 v213, v214
	v_ashrrev_i32_e32 v211, 31, v211
	v_xor_b32_e32 v210, s21, v210
	v_cmp_gt_i32_e64 s21, 0, v214
	v_and_b32_e32 v208, v208, v209
	;; [unrolled: 5-line block ×3, first 2 shown]
	v_not_b32_e32 v210, v212
	v_ashrrev_i32_e32 v209, 31, v209
	v_xor_b32_e32 v213, s21, v213
	v_lshl_add_u32 v199, v199, 3, v46
	v_and_b32_e32 v208, v208, v211
	v_cmp_gt_i32_e64 s21, 0, v212
	v_ashrrev_i32_e32 v210, 31, v210
	v_xor_b32_e32 v209, s20, v209
	v_lshl_add_u32 v211, v199, 2, v12
	v_and_b32_e32 v208, v208, v213
	v_xor_b32_e32 v210, s21, v210
	ds_read_b32 v199, v211 offset:32
	v_and_b32_e32 v208, v208, v209
	v_add_nc_u32_e32 v209, 32, v211
	; wave barrier
	v_and_b32_e32 v210, v208, v210
	v_mbcnt_lo_u32_b32 v208, v210, 0
	v_cmp_ne_u32_e64 s21, 0, v210
	v_cmp_eq_u32_e64 s20, 0, v208
	s_and_b32 s21, s21, s20
	s_and_saveexec_b32 s20, s21
	s_cbranch_execz .LBB809_83
; %bb.82:                               ;   in Loop: Header=BB809_53 Depth=1
	s_waitcnt lgkmcnt(0)
	v_bcnt_u32_b32 v210, v210, v199
	ds_write_b32 v209, v210
.LBB809_83:                             ;   in Loop: Header=BB809_53 Depth=1
	s_or_b32 exec_lo, exec_lo, s20
	v_lshrrev_b64 v[210:211], v10, v[100:101]
	; wave barrier
	v_and_b32_e32 v182, v210, v182
	v_and_b32_e32 v210, 1, v182
	v_lshlrev_b32_e32 v211, 30, v182
	v_lshlrev_b32_e32 v212, 29, v182
	;; [unrolled: 1-line block ×4, first 2 shown]
	v_add_co_u32 v210, s20, v210, -1
	v_cndmask_b32_e64 v214, 0, 1, s20
	v_not_b32_e32 v226, v211
	v_cmp_gt_i32_e64 s21, 0, v211
	v_not_b32_e32 v211, v212
	v_lshlrev_b32_e32 v224, 26, v182
	v_cmp_ne_u32_e64 s20, 0, v214
	v_ashrrev_i32_e32 v226, 31, v226
	v_lshlrev_b32_e32 v225, 25, v182
	v_ashrrev_i32_e32 v211, 31, v211
	v_lshlrev_b32_e32 v214, 24, v182
	v_xor_b32_e32 v210, s20, v210
	v_cmp_gt_i32_e64 s20, 0, v212
	v_not_b32_e32 v212, v213
	v_xor_b32_e32 v226, s21, v226
	v_cmp_gt_i32_e64 s21, 0, v213
	v_and_b32_e32 v210, exec_lo, v210
	v_not_b32_e32 v213, v215
	v_ashrrev_i32_e32 v212, 31, v212
	v_xor_b32_e32 v211, s20, v211
	v_cmp_gt_i32_e64 s20, 0, v215
	v_and_b32_e32 v210, v210, v226
	v_not_b32_e32 v215, v224
	v_ashrrev_i32_e32 v213, 31, v213
	v_xor_b32_e32 v212, s21, v212
	v_cmp_gt_i32_e64 s21, 0, v224
	v_and_b32_e32 v210, v210, v211
	;; [unrolled: 5-line block ×3, first 2 shown]
	v_not_b32_e32 v212, v214
	v_ashrrev_i32_e32 v211, 31, v211
	v_xor_b32_e32 v215, s21, v215
	v_lshl_add_u32 v182, v182, 3, v46
	v_and_b32_e32 v210, v210, v213
	v_cmp_gt_i32_e64 s21, 0, v214
	v_ashrrev_i32_e32 v212, 31, v212
	v_xor_b32_e32 v211, s20, v211
	v_lshl_add_u32 v213, v182, 2, v12
	v_and_b32_e32 v210, v210, v215
	v_xor_b32_e32 v212, s21, v212
	ds_read_b32 v182, v213 offset:32
	v_and_b32_e32 v210, v210, v211
	v_add_nc_u32_e32 v211, 32, v213
	; wave barrier
	v_and_b32_e32 v212, v210, v212
	v_mbcnt_lo_u32_b32 v210, v212, 0
	v_cmp_ne_u32_e64 s21, 0, v212
	v_cmp_eq_u32_e64 s20, 0, v210
	s_and_b32 s21, s21, s20
	s_and_saveexec_b32 s20, s21
	s_cbranch_execz .LBB809_85
; %bb.84:                               ;   in Loop: Header=BB809_53 Depth=1
	s_waitcnt lgkmcnt(0)
	v_bcnt_u32_b32 v212, v212, v182
	ds_write_b32 v211, v212
.LBB809_85:                             ;   in Loop: Header=BB809_53 Depth=1
	s_or_b32 exec_lo, exec_lo, s20
	; wave barrier
	s_waitcnt lgkmcnt(0)
	s_barrier
	buffer_gl0_inv
	ds_read_b32 v224, v246
	ds_read_b32 v225, v247
	;; [unrolled: 1-line block ×8, first 2 shown]
	s_waitcnt lgkmcnt(6)
	v_add_nc_u32_e32 v228, v225, v224
	s_waitcnt lgkmcnt(4)
	v_add3_u32 v228, v228, v226, v215
	s_waitcnt lgkmcnt(2)
	v_add3_u32 v228, v228, v214, v213
	;; [unrolled: 2-line block ×3, first 2 shown]
	v_mov_b32_dpp v228, v227 row_shr:1 row_mask:0xf bank_mask:0xf
	v_cndmask_b32_e64 v228, v228, 0, vcc_lo
	v_add_nc_u32_e32 v227, v228, v227
	v_mov_b32_dpp v228, v227 row_shr:2 row_mask:0xf bank_mask:0xf
	v_cndmask_b32_e64 v228, 0, v228, s4
	v_add_nc_u32_e32 v227, v227, v228
	v_mov_b32_dpp v228, v227 row_shr:4 row_mask:0xf bank_mask:0xf
	v_cndmask_b32_e64 v228, 0, v228, s5
	;; [unrolled: 3-line block ×3, first 2 shown]
	v_add_nc_u32_e32 v227, v227, v228
	ds_swizzle_b32 v228, v227 offset:swizzle(BROADCAST,32,15)
	s_waitcnt lgkmcnt(0)
	v_cndmask_b32_e64 v228, v228, 0, s10
	v_add_nc_u32_e32 v227, v227, v228
	s_and_saveexec_b32 s20, s11
; %bb.86:                               ;   in Loop: Header=BB809_53 Depth=1
	ds_write_b32 v56, v227
; %bb.87:                               ;   in Loop: Header=BB809_53 Depth=1
	s_or_b32 exec_lo, exec_lo, s20
	s_waitcnt lgkmcnt(0)
	s_barrier
	buffer_gl0_inv
	s_and_saveexec_b32 s20, s14
	s_cbranch_execz .LBB809_89
; %bb.88:                               ;   in Loop: Header=BB809_53 Depth=1
	ds_read_b32 v228, v57
	s_waitcnt lgkmcnt(0)
	v_mov_b32_dpp v229, v228 row_shr:1 row_mask:0xf bank_mask:0xf
	v_cndmask_b32_e64 v229, v229, 0, s17
	v_add_nc_u32_e32 v228, v229, v228
	v_mov_b32_dpp v229, v228 row_shr:2 row_mask:0xf bank_mask:0xf
	v_cndmask_b32_e64 v229, 0, v229, s18
	v_add_nc_u32_e32 v228, v228, v229
	;; [unrolled: 3-line block ×3, first 2 shown]
	ds_write_b32 v57, v228
.LBB809_89:                             ;   in Loop: Header=BB809_53 Depth=1
	s_or_b32 exec_lo, exec_lo, s20
	v_mov_b32_e32 v228, 0
	s_waitcnt lgkmcnt(0)
	s_barrier
	buffer_gl0_inv
	s_and_saveexec_b32 s20, s15
; %bb.90:                               ;   in Loop: Header=BB809_53 Depth=1
	ds_read_b32 v228, v59
; %bb.91:                               ;   in Loop: Header=BB809_53 Depth=1
	s_or_b32 exec_lo, exec_lo, s20
	s_waitcnt lgkmcnt(0)
	v_add_nc_u32_e32 v227, v228, v227
	v_mov_b32_e32 v243, v1
	v_mov_b32_e32 v245, v1
	;; [unrolled: 1-line block ×4, first 2 shown]
	ds_bpermute_b32 v227, v47, v227
	v_mov_b32_e32 v241, v1
	v_add_nc_u32_e32 v10, 8, v10
	s_mov_b32 s26, -1
	v_cmp_lt_u32_e64 s20, v10, v11
	s_waitcnt lgkmcnt(0)
	v_cndmask_b32_e64 v227, v227, v228, s6
	v_cndmask_b32_e64 v228, v227, 0, s16
	v_mov_b32_e32 v227, v1
	v_add_nc_u32_e32 v224, v228, v224
	v_add_nc_u32_e32 v230, v224, v225
	v_mov_b32_e32 v225, v1
	ds_write_b32 v246, v228
	ds_write_b32 v247, v224
	;; [unrolled: 1-line block ×3, first 2 shown]
	v_add_nc_u32_e32 v226, v230, v226
	v_add_nc_u32_e32 v240, v226, v215
	v_mov_b32_e32 v215, v1
	v_add_nc_u32_e32 v214, v240, v214
	v_add_nc_u32_e32 v242, v214, v213
	v_mov_b32_e32 v213, v1
	v_add_nc_u32_e32 v212, v242, v212
	ds_write_b32 v41, v226
	ds_write_b32 v42, v240
	;; [unrolled: 1-line block ×5, first 2 shown]
	s_waitcnt lgkmcnt(0)
	s_barrier
	buffer_gl0_inv
	ds_read_b32 v117, v117
	ds_read_b32 v212, v129
	;; [unrolled: 1-line block ×16, first 2 shown]
	v_mov_b32_e32 v129, v1
	v_mov_b32_e32 v132, v1
	;; [unrolled: 1-line block ×3, first 2 shown]
	s_waitcnt lgkmcnt(0)
	v_add_nc_u32_e32 v0, v117, v0
	v_add3_u32 v214, v128, v118, v212
	v_add3_u32 v224, v131, v130, v224
	v_add3_u32 v226, v134, v133, v226
	v_add3_u32 v228, v145, v144, v146
	v_add3_u32 v230, v148, v147, v149
	v_add3_u32 v240, v151, v150, v160
	v_add3_u32 v242, v162, v161, v163
	v_add3_u32 v244, v165, v164, v166
	v_add3_u32 v212, v176, v167, v177
	v_add3_u32 v128, v179, v178, v180
	v_add3_u32 v131, v183, v181, v192
	v_add3_u32 v134, v194, v193, v195
	v_lshlrev_b64 v[160:161], 3, v[242:243]
	v_lshlrev_b64 v[161:162], 3, v[244:245]
	v_lshlrev_b64 v[128:129], 3, v[128:129]
	v_lshlrev_b64 v[162:163], 3, v[212:213]
	v_add3_u32 v130, v208, v199, v209
	v_lshlrev_b64 v[144:145], 3, v[0:1]
	v_lshlrev_b64 v[163:164], 3, v[131:132]
	v_mov_b32_e32 v131, v1
	v_add3_u32 v117, v197, v196, v198
	v_add3_u32 v133, v210, v182, v211
	v_lshlrev_b64 v[145:146], 3, v[214:215]
	v_add_co_u32 v109, null, v12, v128
	v_lshlrev_b64 v[128:129], 3, v[134:135]
	v_mov_b32_e32 v118, v1
	v_mov_b32_e32 v134, v1
	v_lshlrev_b64 v[146:147], 3, v[224:225]
	v_lshlrev_b64 v[147:148], 3, v[226:227]
	;; [unrolled: 1-line block ×8, first 2 shown]
	v_add_co_u32 v0, null, v12, v144
	v_add_co_u32 v92, null, v12, v145
	v_add_co_u32 v93, null, v12, v146
	v_add_co_u32 v94, null, v12, v147
	v_add_co_u32 v95, null, v12, v148
	v_add_co_u32 v104, null, v12, v149
	v_add_co_u32 v105, null, v12, v150
	v_add_co_u32 v106, null, v12, v160
	v_add_co_u32 v107, null, v12, v161
	v_add_co_u32 v108, null, v12, v162
	v_add_co_u32 v110, null, v12, v163
	v_add_co_u32 v111, null, v12, v128
	v_add_co_u32 v120, null, v12, v117
	v_add_co_u32 v121, null, v12, v129
	v_add_co_u32 v122, null, v12, v130
                                        ; implicit-def: $vgpr194_vgpr195
                                        ; implicit-def: $vgpr182_vgpr183
                                        ; implicit-def: $vgpr192_vgpr193
                                        ; implicit-def: $vgpr198_vgpr199
                                        ; implicit-def: $vgpr196_vgpr197
                                        ; implicit-def: $vgpr208_vgpr209
                                        ; implicit-def: $vgpr210_vgpr211
                                        ; implicit-def: $vgpr212_vgpr213
                                        ; implicit-def: $vgpr214_vgpr215
                                        ; implicit-def: $vgpr224_vgpr225
                                        ; implicit-def: $vgpr226_vgpr227
                                        ; implicit-def: $vgpr228_vgpr229
                                        ; implicit-def: $vgpr230_vgpr231
                                        ; implicit-def: $vgpr240_vgpr241
                                        ; implicit-def: $vgpr242_vgpr243
                                        ; implicit-def: $vgpr244_vgpr245
                                        ; implicit-def: $vgpr128_vgpr129
                                        ; implicit-def: $vgpr117_vgpr118
                                        ; implicit-def: $vgpr132_vgpr133
                                        ; implicit-def: $vgpr130_vgpr131
                                        ; implicit-def: $vgpr144_vgpr145
                                        ; implicit-def: $vgpr134_vgpr135
                                        ; implicit-def: $vgpr148_vgpr149
                                        ; implicit-def: $vgpr146_vgpr147
                                        ; implicit-def: $vgpr160_vgpr161
                                        ; implicit-def: $vgpr150_vgpr151
                                        ; implicit-def: $vgpr164_vgpr165
                                        ; implicit-def: $vgpr162_vgpr163
                                        ; implicit-def: $vgpr176_vgpr177
                                        ; implicit-def: $vgpr166_vgpr167
                                        ; implicit-def: $vgpr180_vgpr181
                                        ; implicit-def: $vgpr178_vgpr179
	s_and_saveexec_b32 s21, s20
	s_cbranch_execz .LBB809_52
; %bb.92:                               ;   in Loop: Header=BB809_53 Depth=1
	s_barrier
	buffer_gl0_inv
	ds_write_b64 v0, v[48:49]
	ds_write_b64 v92, v[52:53]
	;; [unrolled: 1-line block ×16, first 2 shown]
	s_waitcnt lgkmcnt(0)
	s_barrier
	buffer_gl0_inv
	ds_read_b64 v[128:129], v58
	ds_read_b64 v[117:118], v60
	;; [unrolled: 1-line block ×16, first 2 shown]
	s_waitcnt lgkmcnt(0)
	s_barrier
	buffer_gl0_inv
	ds_write_b64 v0, v[4:5]
	ds_write_b64 v92, v[15:16]
	;; [unrolled: 1-line block ×16, first 2 shown]
	s_waitcnt lgkmcnt(0)
	s_barrier
	buffer_gl0_inv
	ds_read_b64 v[194:195], v58
	ds_read_b64 v[182:183], v60
	;; [unrolled: 1-line block ×16, first 2 shown]
	v_add_nc_u32_e32 v91, -8, v91
	s_xor_b32 s26, exec_lo, -1
	s_waitcnt lgkmcnt(0)
	s_barrier
	buffer_gl0_inv
	s_branch .LBB809_52
.LBB809_93:
	s_or_b32 exec_lo, exec_lo, s23
	v_lshl_add_u32 v1, v21, 3, v12
	s_barrier
	buffer_gl0_inv
	ds_write_b64 v0, v[48:49]
	ds_write_b64 v92, v[52:53]
	;; [unrolled: 1-line block ×16, first 2 shown]
	s_waitcnt lgkmcnt(0)
	s_barrier
	buffer_gl0_inv
	ds_read2st64_b64 v[100:103], v1 offset1:4
	ds_read2st64_b64 v[96:99], v1 offset0:8 offset1:12
	ds_read2st64_b64 v[84:87], v1 offset0:16 offset1:20
	;; [unrolled: 1-line block ×7, first 2 shown]
	s_waitcnt lgkmcnt(0)
	s_barrier
	buffer_gl0_inv
	ds_write_b64 v0, v[4:5]
	ds_write_b64 v92, v[15:16]
	;; [unrolled: 1-line block ×16, first 2 shown]
	s_waitcnt lgkmcnt(0)
	s_barrier
	buffer_gl0_inv
	ds_read2st64_b64 v[36:39], v1 offset1:4
	ds_read2st64_b64 v[32:35], v1 offset0:8 offset1:12
	ds_read2st64_b64 v[28:31], v1 offset0:16 offset1:20
	;; [unrolled: 1-line block ×7, first 2 shown]
	v_mov_b32_e32 v115, 0
	v_add_co_u32 v2, vcc_lo, v2, v112
	v_add_co_ci_u32_e64 v3, null, v3, v113, vcc_lo
	v_lshlrev_b64 v[0:1], 3, v[114:115]
	s_waitcnt lgkmcnt(0)
	s_barrier
	buffer_gl0_inv
	v_add_co_u32 v2, vcc_lo, v2, v0
	v_add_co_ci_u32_e64 v3, null, v3, v1, vcc_lo
	v_cmp_lt_u32_e32 vcc_lo, v114, v119
	s_and_saveexec_b32 s4, vcc_lo
	s_cbranch_execz .LBB809_95
; %bb.94:
	v_xor_b32_e32 v101, 0x80000000, v101
	flat_store_dwordx2 v[2:3], v[100:101]
.LBB809_95:
	s_or_b32 exec_lo, exec_lo, s4
	v_add_nc_u32_e32 v4, 0x100, v114
	v_cmp_lt_u32_e64 s4, v4, v119
	s_and_saveexec_b32 s6, s4
	s_cbranch_execz .LBB809_97
; %bb.96:
	v_add_co_u32 v4, s5, 0x800, v2
	v_xor_b32_e32 v103, 0x80000000, v103
	v_add_co_ci_u32_e64 v5, null, 0, v3, s5
	flat_store_dwordx2 v[4:5], v[102:103]
.LBB809_97:
	s_or_b32 exec_lo, exec_lo, s6
	v_add_nc_u32_e32 v4, 0x200, v114
	v_cmp_lt_u32_e64 s5, v4, v119
	s_and_saveexec_b32 s7, s5
	s_cbranch_execz .LBB809_99
; %bb.98:
	v_add_co_u32 v4, s6, 0x1000, v2
	v_xor_b32_e32 v97, 0x80000000, v97
	v_add_co_ci_u32_e64 v5, null, 0, v3, s6
	flat_store_dwordx2 v[4:5], v[96:97]
.LBB809_99:
	;; [unrolled: 11-line block ×15, first 2 shown]
	s_or_b32 exec_lo, exec_lo, s26
	v_add_co_u32 v2, s23, v6, v112
	v_add_co_ci_u32_e64 v3, null, v7, v113, s23
	v_add_co_u32 v0, s23, v2, v0
	v_add_co_ci_u32_e64 v1, null, v3, v1, s23
	s_and_saveexec_b32 s23, vcc_lo
	s_cbranch_execnz .LBB809_211
; %bb.126:
	s_or_b32 exec_lo, exec_lo, s23
	s_and_saveexec_b32 s23, s4
	s_cbranch_execnz .LBB809_212
.LBB809_127:
	s_or_b32 exec_lo, exec_lo, s23
	s_and_saveexec_b32 s4, s5
	s_cbranch_execnz .LBB809_213
.LBB809_128:
	s_or_b32 exec_lo, exec_lo, s4
	s_and_saveexec_b32 s4, s6
	s_cbranch_execnz .LBB809_214
.LBB809_129:
	s_or_b32 exec_lo, exec_lo, s4
	s_and_saveexec_b32 s4, s7
	s_cbranch_execnz .LBB809_215
.LBB809_130:
	s_or_b32 exec_lo, exec_lo, s4
	s_and_saveexec_b32 s4, s10
	s_cbranch_execnz .LBB809_216
.LBB809_131:
	s_or_b32 exec_lo, exec_lo, s4
	s_and_saveexec_b32 s4, s11
	s_cbranch_execnz .LBB809_217
.LBB809_132:
	s_or_b32 exec_lo, exec_lo, s4
	s_and_saveexec_b32 s4, s14
	s_cbranch_execnz .LBB809_218
.LBB809_133:
	s_or_b32 exec_lo, exec_lo, s4
	s_and_saveexec_b32 s4, s15
	s_cbranch_execnz .LBB809_219
.LBB809_134:
	s_or_b32 exec_lo, exec_lo, s4
	s_and_saveexec_b32 s4, s16
	s_cbranch_execnz .LBB809_220
.LBB809_135:
	s_or_b32 exec_lo, exec_lo, s4
	s_and_saveexec_b32 s4, s17
	s_cbranch_execnz .LBB809_221
.LBB809_136:
	s_or_b32 exec_lo, exec_lo, s4
	s_and_saveexec_b32 s4, s18
	s_cbranch_execnz .LBB809_222
.LBB809_137:
	s_or_b32 exec_lo, exec_lo, s4
	s_and_saveexec_b32 s4, s19
	s_cbranch_execnz .LBB809_223
.LBB809_138:
	s_or_b32 exec_lo, exec_lo, s4
	s_and_saveexec_b32 s4, s20
	s_cbranch_execnz .LBB809_224
.LBB809_139:
	s_or_b32 exec_lo, exec_lo, s4
	s_and_saveexec_b32 s4, s21
	s_cbranch_execnz .LBB809_225
.LBB809_140:
	s_or_b32 exec_lo, exec_lo, s4
	s_and_saveexec_b32 s4, s22
	s_cbranch_execz .LBB809_142
.LBB809_141:
	v_add_co_u32 v0, vcc_lo, 0x7800, v0
	v_add_co_ci_u32_e64 v1, null, 0, v1, vcc_lo
	flat_store_dwordx2 v[0:1], v[10:11]
.LBB809_142:
	s_or_b32 exec_lo, exec_lo, s4
                                        ; implicit-def: $vgpr119
                                        ; implicit-def: $vgpr0
                                        ; implicit-def: $vgpr1
                                        ; implicit-def: $vgpr2
                                        ; implicit-def: $vgpr3
                                        ; implicit-def: $vgpr4
                                        ; implicit-def: $vgpr5
                                        ; implicit-def: $vgpr6
                                        ; implicit-def: $vgpr7
                                        ; implicit-def: $vgpr8
                                        ; implicit-def: $vgpr10
                                        ; implicit-def: $vgpr11
                                        ; implicit-def: $vgpr12
                                        ; implicit-def: $vgpr13
                                        ; implicit-def: $vgpr14
                                        ; implicit-def: $vgpr21
                                        ; implicit-def: $vgpr22
.LBB809_143:
	s_andn2_saveexec_b32 s4, s25
	s_cbranch_execz .LBB809_372
; %bb.144:
	s_mov_b32 s4, exec_lo
	v_cmpx_lt_u32_e32 0x400, v119
	s_xor_b32 s22, exec_lo, s4
	s_cbranch_execz .LBB809_252
; %bb.145:
	s_load_dwordx2 s[4:5], s[8:9], 0x0
	v_mov_b32_e32 v9, 0
	v_mov_b32_e32 v53, -1
	v_mov_b32_e32 v64, -1
	;; [unrolled: 1-line block ×4, first 2 shown]
	v_lshlrev_b64 v[48:49], 3, v[8:9]
	s_waitcnt lgkmcnt(0)
	s_cmp_lt_u32 s13, s5
	s_cselect_b32 s5, 14, 20
	s_add_u32 s6, s8, s5
	s_addc_u32 s7, s9, 0
	s_cmp_lt_u32 s12, s4
	global_load_ushort v15, v9, s[6:7]
	s_cselect_b32 s4, 12, 18
	s_add_u32 s4, s8, s4
	s_addc_u32 s5, s9, 0
	global_load_ushort v16, v9, s[4:5]
	s_waitcnt vmcnt(1)
	v_mad_u32_u24 v13, v14, v15, v13
	s_waitcnt vmcnt(0)
	v_mad_u64_u32 v[50:51], null, v13, v16, v[21:22]
	v_lshlrev_b32_e32 v13, 3, v22
	v_lshlrev_b32_e32 v14, 3, v50
	v_and_b32_e32 v8, 0xffffff00, v14
	v_add_co_u32 v14, vcc_lo, v0, v48
	v_add_co_ci_u32_e64 v15, null, v1, v49, vcc_lo
	v_lshlrev_b64 v[0:1], 3, v[8:9]
	v_add_co_u32 v9, vcc_lo, v14, v13
	v_add_co_ci_u32_e64 v15, null, 0, v15, vcc_lo
	v_or_b32_e32 v14, v8, v22
	v_add_co_u32 v8, vcc_lo, v9, v0
	v_add_co_ci_u32_e64 v9, null, v15, v1, vcc_lo
	v_cmp_lt_u32_e32 vcc_lo, v14, v119
	s_and_saveexec_b32 s4, vcc_lo
	s_cbranch_execz .LBB809_147
; %bb.146:
	flat_load_dwordx2 v[64:65], v[8:9]
	s_waitcnt vmcnt(0) lgkmcnt(0)
	v_xor_b32_e32 v65, 0x80000000, v65
.LBB809_147:
	s_or_b32 exec_lo, exec_lo, s4
	v_or_b32_e32 v15, 32, v14
	v_cmp_lt_u32_e64 s4, v15, v119
	s_and_saveexec_b32 s5, s4
	s_cbranch_execz .LBB809_149
; %bb.148:
	flat_load_dwordx2 v[53:54], v[8:9] offset:256
	s_waitcnt vmcnt(0) lgkmcnt(0)
	v_xor_b32_e32 v54, 0x80000000, v54
.LBB809_149:
	s_or_b32 exec_lo, exec_lo, s5
	v_or_b32_e32 v15, 64, v14
	v_mov_b32_e32 v70, -1
	v_mov_b32_e32 v80, -1
	v_mov_b32_e32 v71, -1
	v_mov_b32_e32 v81, -1
	v_cmp_lt_u32_e64 s5, v15, v119
	s_and_saveexec_b32 s6, s5
	s_cbranch_execz .LBB809_151
; %bb.150:
	flat_load_dwordx2 v[80:81], v[8:9] offset:512
	s_waitcnt vmcnt(0) lgkmcnt(0)
	v_xor_b32_e32 v81, 0x80000000, v81
.LBB809_151:
	s_or_b32 exec_lo, exec_lo, s6
	v_or_b32_e32 v15, 0x60, v14
	v_cmp_lt_u32_e64 s6, v15, v119
	s_and_saveexec_b32 s7, s6
	s_cbranch_execz .LBB809_153
; %bb.152:
	flat_load_dwordx2 v[70:71], v[8:9] offset:768
	s_waitcnt vmcnt(0) lgkmcnt(0)
	v_xor_b32_e32 v71, 0x80000000, v71
.LBB809_153:
	s_or_b32 exec_lo, exec_lo, s7
	v_or_b32_e32 v15, 0x80, v14
	v_mov_b32_e32 v82, -1
	v_mov_b32_e32 v84, -1
	v_mov_b32_e32 v83, -1
	v_mov_b32_e32 v85, -1
	v_cmp_lt_u32_e64 s7, v15, v119
	s_and_saveexec_b32 s10, s7
	s_cbranch_execz .LBB809_155
; %bb.154:
	flat_load_dwordx2 v[84:85], v[8:9] offset:1024
	s_waitcnt vmcnt(0) lgkmcnt(0)
	v_xor_b32_e32 v85, 0x80000000, v85
.LBB809_155:
	;; [unrolled: 24-line block ×3, first 2 shown]
	s_or_b32 exec_lo, exec_lo, s14
	v_or_b32_e32 v14, 0xe0, v14
	v_cmp_lt_u32_e64 s14, v14, v119
	s_and_saveexec_b32 s15, s14
	s_cbranch_execz .LBB809_161
; %bb.160:
	flat_load_dwordx2 v[66:67], v[8:9] offset:1792
	s_waitcnt vmcnt(0) lgkmcnt(0)
	v_xor_b32_e32 v67, 0x80000000, v67
.LBB809_161:
	s_or_b32 exec_lo, exec_lo, s15
	v_add_co_u32 v4, s15, v4, v48
	v_add_co_ci_u32_e64 v5, null, v5, v49, s15
                                        ; implicit-def: $vgpr86_vgpr87
	v_add_co_u32 v4, s15, v4, v13
	v_add_co_ci_u32_e64 v5, null, 0, v5, s15
	v_add_co_u32 v0, s15, v4, v0
	v_add_co_ci_u32_e64 v1, null, v5, v1, s15
	s_and_saveexec_b32 s15, vcc_lo
	s_cbranch_execnz .LBB809_285
; %bb.162:
	s_or_b32 exec_lo, exec_lo, s15
                                        ; implicit-def: $vgpr98_vgpr99
	s_and_saveexec_b32 s15, s4
	s_cbranch_execnz .LBB809_286
.LBB809_163:
	s_or_b32 exec_lo, exec_lo, s15
                                        ; implicit-def: $vgpr96_vgpr97
	s_and_saveexec_b32 s4, s5
	s_cbranch_execnz .LBB809_287
.LBB809_164:
	s_or_b32 exec_lo, exec_lo, s4
                                        ; implicit-def: $vgpr100_vgpr101
	s_and_saveexec_b32 s4, s6
	s_cbranch_execnz .LBB809_288
.LBB809_165:
	s_or_b32 exec_lo, exec_lo, s4
                                        ; implicit-def: $vgpr102_vgpr103
	s_and_saveexec_b32 s4, s7
	s_cbranch_execnz .LBB809_289
.LBB809_166:
	s_or_b32 exec_lo, exec_lo, s4
                                        ; implicit-def: $vgpr112_vgpr113
	s_and_saveexec_b32 s4, s10
	s_cbranch_execnz .LBB809_290
.LBB809_167:
	s_or_b32 exec_lo, exec_lo, s4
                                        ; implicit-def: $vgpr114_vgpr115
	s_and_saveexec_b32 s4, s11
	s_cbranch_execnz .LBB809_291
.LBB809_168:
	s_or_b32 exec_lo, exec_lo, s4
                                        ; implicit-def: $vgpr116_vgpr117
	s_and_saveexec_b32 s4, s14
	s_cbranch_execz .LBB809_170
.LBB809_169:
	flat_load_dwordx2 v[116:117], v[0:1] offset:1792
.LBB809_170:
	s_or_b32 exec_lo, exec_lo, s4
	v_lshl_add_u32 v0, v21, 5, v12
	v_and_b32_e32 v4, 15, v22
	v_sub_co_u32 v8, s6, v22, 1
	s_getpc_b64 s[4:5]
	s_add_u32 s4, s4, _ZN7rocprim17ROCPRIM_400000_NS16block_radix_sortIlLj256ELj8ElLj1ELj1ELj8ELNS0_26block_radix_rank_algorithmE2ELNS0_18block_padding_hintE2ELNS0_4arch9wavefront6targetE0EE19radix_bits_per_passE@rel32@lo+4
	s_addc_u32 s5, s5, _ZN7rocprim17ROCPRIM_400000_NS16block_radix_sortIlLj256ELj8ElLj1ELj1ELj8ELNS0_26block_radix_rank_algorithmE2ELNS0_18block_padding_hintE2ELNS0_4arch9wavefront6targetE0EE19radix_bits_per_passE@rel32@hi+12
	v_add_nc_u32_e32 v55, 32, v0
	v_add_nc_u32_e32 v118, 36, v0
	;; [unrolled: 1-line block ×8, first 2 shown]
	v_and_b32_e32 v0, 0x3e0, v21
	v_lshlrev_b32_e32 v1, 3, v21
	s_load_dword s23, s[4:5], 0x0
	v_cmp_eq_u32_e32 vcc_lo, 0, v4
	v_cmp_lt_u32_e64 s4, 1, v4
	v_min_u32_e32 v0, 0xe0, v0
	v_cmp_lt_u32_e64 s5, 3, v4
	v_and_b32_e32 v5, 16, v22
	v_cmp_lt_u32_e64 s7, 7, v4
	v_lshrrev_b32_e32 v4, 3, v21
	v_or_b32_e32 v0, 31, v0
	v_cmp_gt_i32_e64 s11, 0, v8
	v_cmp_eq_u32_e64 s10, 0, v5
	v_lshrrev_b32_e32 v134, 5, v50
	v_cmp_gt_u32_e64 s14, 8, v21
	v_cmp_lt_u32_e64 s15, 31, v21
	v_cndmask_b32_e64 v5, v8, v22, s11
	v_cmp_eq_u32_e64 s11, v21, v0
	v_and_b32_e32 v0, 0x7c, v4
	v_and_or_b32 v4, 0x1f00, v1, v22
	v_cmp_eq_u32_e64 s16, 0, v21
	v_lshlrev_b32_e32 v135, 2, v5
	v_and_b32_e32 v5, 7, v22
	v_add_nc_u32_e32 v144, v12, v0
	v_lshl_add_u32 v146, v4, 3, v12
	v_mov_b32_e32 v1, 0
	v_lshl_add_u32 v145, v21, 2, v12
	v_cmp_eq_u32_e64 s17, 0, v5
	v_cmp_lt_u32_e64 s18, 1, v5
	v_cmp_lt_u32_e64 s19, 3, v5
	v_add_nc_u32_e32 v147, -4, v144
	v_add_nc_u32_e32 v148, 0x100, v146
	v_add_nc_u32_e32 v149, 0x200, v146
	;; [unrolled: 1-line block ×7, first 2 shown]
	v_sub_nc_u32_e32 v163, v11, v10
	s_mov_b32 s25, 0
	s_waitcnt vmcnt(0) lgkmcnt(0)
	s_waitcnt_vscnt null, 0x0
	s_barrier
	buffer_gl0_inv
	s_branch .LBB809_172
.LBB809_171:                            ;   in Loop: Header=BB809_172 Depth=1
	s_or_b32 exec_lo, exec_lo, s21
	s_and_b32 s20, exec_lo, s26
	s_or_b32 s25, s20, s25
	s_andn2_b32 exec_lo, exec_lo, s25
	s_cbranch_execz .LBB809_226
.LBB809_172:                            ; =>This Inner Loop Header: Depth=1
	v_min_u32_e32 v0, s23, v163
	v_mov_b32_e32 v24, v64
	v_mov_b32_e32 v25, v65
	;; [unrolled: 1-line block ×4, first 2 shown]
	v_lshlrev_b32_e64 v0, v0, -1
	v_mov_b32_e32 v32, v70
	v_lshrrev_b64 v[28:29], v10, v[24:25]
	v_mov_b32_e32 v33, v71
	v_mov_b32_e32 v8, v86
	v_not_b32_e32 v65, v0
	v_mov_b32_e32 v4, v98
	v_mov_b32_e32 v17, v96
	;; [unrolled: 1-line block ×4, first 2 shown]
	v_and_b32_e32 v0, v28, v65
	v_mov_b32_e32 v51, v112
	v_mov_b32_e32 v22, v114
	;; [unrolled: 1-line block ×4, first 2 shown]
	v_and_b32_e32 v36, 1, v0
	v_lshlrev_b32_e32 v37, 30, v0
	v_lshlrev_b32_e32 v38, 29, v0
	;; [unrolled: 1-line block ×4, first 2 shown]
	v_add_co_u32 v36, s20, v36, -1
	v_cndmask_b32_e64 v53, 0, 1, s20
	v_not_b32_e32 v71, v37
	v_cmp_gt_i32_e64 s21, 0, v37
	v_not_b32_e32 v37, v38
	v_lshlrev_b32_e32 v64, 26, v0
	v_cmp_ne_u32_e64 s20, 0, v53
	v_ashrrev_i32_e32 v71, 31, v71
	v_lshlrev_b32_e32 v70, 25, v0
	v_ashrrev_i32_e32 v37, 31, v37
	v_lshlrev_b32_e32 v53, 24, v0
	v_xor_b32_e32 v36, s20, v36
	v_cmp_gt_i32_e64 s20, 0, v38
	v_not_b32_e32 v38, v39
	v_xor_b32_e32 v71, s21, v71
	v_cmp_gt_i32_e64 s21, 0, v39
	v_and_b32_e32 v36, exec_lo, v36
	v_not_b32_e32 v39, v54
	v_ashrrev_i32_e32 v38, 31, v38
	v_xor_b32_e32 v37, s20, v37
	v_cmp_gt_i32_e64 s20, 0, v54
	v_and_b32_e32 v36, v36, v71
	v_not_b32_e32 v54, v64
	v_ashrrev_i32_e32 v39, 31, v39
	v_xor_b32_e32 v38, s21, v38
	v_cmp_gt_i32_e64 s21, 0, v64
	v_and_b32_e32 v36, v36, v37
	;; [unrolled: 5-line block ×4, first 2 shown]
	v_ashrrev_i32_e32 v53, 31, v64
	v_xor_b32_e32 v64, s20, v37
	v_lshl_add_u32 v0, v0, 3, v134
	v_mov_b32_e32 v30, v84
	v_and_b32_e32 v54, v36, v54
	v_xor_b32_e32 v53, s21, v53
	v_mov_b32_e32 v36, v66
	v_mov_b32_e32 v37, v67
	v_lshlrev_b64 v[66:67], 2, v[0:1]
	v_and_b32_e32 v54, v54, v64
	v_mov_b32_e32 v28, v82
	v_mov_b32_e32 v38, v68
	;; [unrolled: 1-line block ×4, first 2 shown]
	v_and_b32_e32 v54, v54, v53
	v_add_co_u32 v53, null, v12, v66
	v_mov_b32_e32 v18, v97
	v_mov_b32_e32 v16, v101
	v_mbcnt_lo_u32_b32 v0, v54, 0
	v_cmp_ne_u32_e64 s21, 0, v54
	v_mov_b32_e32 v14, v103
	v_mov_b32_e32 v52, v113
	;; [unrolled: 1-line block ×3, first 2 shown]
	v_cmp_eq_u32_e64 s20, 0, v0
	v_mov_b32_e32 v20, v117
	v_mov_b32_e32 v35, v81
	;; [unrolled: 1-line block ×5, first 2 shown]
	v_add_co_u32 v53, null, v53, 32
	s_and_b32 s21, s21, s20
	ds_write_b32 v55, v1
	ds_write_b32 v118, v1
	;; [unrolled: 1-line block ×8, first 2 shown]
	s_waitcnt lgkmcnt(0)
	s_barrier
	buffer_gl0_inv
	; wave barrier
	s_and_saveexec_b32 s20, s21
; %bb.173:                              ;   in Loop: Header=BB809_172 Depth=1
	v_bcnt_u32_b32 v54, v54, 0
	ds_write_b32 v53, v54
; %bb.174:                              ;   in Loop: Header=BB809_172 Depth=1
	s_or_b32 exec_lo, exec_lo, s20
	v_lshrrev_b64 v[66:67], v10, v[26:27]
	; wave barrier
	v_and_b32_e32 v54, v66, v65
	v_and_b32_e32 v64, 1, v54
	v_lshlrev_b32_e32 v66, 30, v54
	v_lshlrev_b32_e32 v67, 29, v54
	v_lshlrev_b32_e32 v68, 28, v54
	v_lshlrev_b32_e32 v70, 27, v54
	v_add_co_u32 v64, s20, v64, -1
	v_cndmask_b32_e64 v69, 0, 1, s20
	v_not_b32_e32 v81, v66
	v_cmp_gt_i32_e64 s21, 0, v66
	v_not_b32_e32 v66, v67
	v_lshlrev_b32_e32 v71, 26, v54
	v_cmp_ne_u32_e64 s20, 0, v69
	v_ashrrev_i32_e32 v81, 31, v81
	v_lshlrev_b32_e32 v80, 25, v54
	v_ashrrev_i32_e32 v66, 31, v66
	v_lshlrev_b32_e32 v69, 24, v54
	v_xor_b32_e32 v64, s20, v64
	v_cmp_gt_i32_e64 s20, 0, v67
	v_not_b32_e32 v67, v68
	v_xor_b32_e32 v81, s21, v81
	v_cmp_gt_i32_e64 s21, 0, v68
	v_and_b32_e32 v64, exec_lo, v64
	v_not_b32_e32 v68, v70
	v_ashrrev_i32_e32 v67, 31, v67
	v_xor_b32_e32 v66, s20, v66
	v_cmp_gt_i32_e64 s20, 0, v70
	v_and_b32_e32 v64, v64, v81
	v_not_b32_e32 v70, v71
	v_ashrrev_i32_e32 v68, 31, v68
	v_xor_b32_e32 v67, s21, v67
	v_cmp_gt_i32_e64 s21, 0, v71
	v_and_b32_e32 v64, v64, v66
	;; [unrolled: 5-line block ×3, first 2 shown]
	v_not_b32_e32 v67, v69
	v_ashrrev_i32_e32 v66, 31, v66
	v_xor_b32_e32 v70, s21, v70
	v_lshl_add_u32 v54, v54, 3, v134
	v_and_b32_e32 v64, v64, v68
	v_cmp_gt_i32_e64 s21, 0, v69
	v_ashrrev_i32_e32 v67, 31, v67
	v_xor_b32_e32 v66, s20, v66
	v_lshl_add_u32 v68, v54, 2, v12
	v_and_b32_e32 v64, v64, v70
	v_xor_b32_e32 v67, s21, v67
	ds_read_b32 v54, v68 offset:32
	v_and_b32_e32 v64, v64, v66
	v_add_nc_u32_e32 v66, 32, v68
	; wave barrier
	v_and_b32_e32 v67, v64, v67
	v_mbcnt_lo_u32_b32 v64, v67, 0
	v_cmp_ne_u32_e64 s21, 0, v67
	v_cmp_eq_u32_e64 s20, 0, v64
	s_and_b32 s21, s21, s20
	s_and_saveexec_b32 s20, s21
	s_cbranch_execz .LBB809_176
; %bb.175:                              ;   in Loop: Header=BB809_172 Depth=1
	s_waitcnt lgkmcnt(0)
	v_bcnt_u32_b32 v67, v67, v54
	ds_write_b32 v66, v67
.LBB809_176:                            ;   in Loop: Header=BB809_172 Depth=1
	s_or_b32 exec_lo, exec_lo, s20
	v_lshrrev_b64 v[67:68], v10, v[34:35]
	; wave barrier
	v_and_b32_e32 v67, v67, v65
	v_and_b32_e32 v68, 1, v67
	v_lshlrev_b32_e32 v69, 30, v67
	v_lshlrev_b32_e32 v70, 29, v67
	;; [unrolled: 1-line block ×4, first 2 shown]
	v_add_co_u32 v68, s20, v68, -1
	v_cndmask_b32_e64 v80, 0, 1, s20
	v_not_b32_e32 v84, v69
	v_cmp_gt_i32_e64 s21, 0, v69
	v_not_b32_e32 v69, v70
	v_lshlrev_b32_e32 v82, 26, v67
	v_cmp_ne_u32_e64 s20, 0, v80
	v_ashrrev_i32_e32 v84, 31, v84
	v_lshlrev_b32_e32 v83, 25, v67
	v_ashrrev_i32_e32 v69, 31, v69
	v_lshlrev_b32_e32 v80, 24, v67
	v_xor_b32_e32 v68, s20, v68
	v_cmp_gt_i32_e64 s20, 0, v70
	v_not_b32_e32 v70, v71
	v_xor_b32_e32 v84, s21, v84
	v_cmp_gt_i32_e64 s21, 0, v71
	v_and_b32_e32 v68, exec_lo, v68
	v_not_b32_e32 v71, v81
	v_ashrrev_i32_e32 v70, 31, v70
	v_xor_b32_e32 v69, s20, v69
	v_cmp_gt_i32_e64 s20, 0, v81
	v_and_b32_e32 v68, v68, v84
	v_not_b32_e32 v81, v82
	v_ashrrev_i32_e32 v71, 31, v71
	v_xor_b32_e32 v70, s21, v70
	v_cmp_gt_i32_e64 s21, 0, v82
	v_and_b32_e32 v68, v68, v69
	;; [unrolled: 5-line block ×3, first 2 shown]
	v_not_b32_e32 v70, v80
	v_ashrrev_i32_e32 v69, 31, v69
	v_xor_b32_e32 v81, s21, v81
	v_lshl_add_u32 v67, v67, 3, v134
	v_and_b32_e32 v68, v68, v71
	v_cmp_gt_i32_e64 s21, 0, v80
	v_ashrrev_i32_e32 v70, 31, v70
	v_xor_b32_e32 v69, s20, v69
	v_lshl_add_u32 v71, v67, 2, v12
	v_and_b32_e32 v68, v68, v81
	v_xor_b32_e32 v70, s21, v70
	ds_read_b32 v67, v71 offset:32
	v_and_b32_e32 v68, v68, v69
	v_add_nc_u32_e32 v69, 32, v71
	; wave barrier
	v_and_b32_e32 v70, v68, v70
	v_mbcnt_lo_u32_b32 v68, v70, 0
	v_cmp_ne_u32_e64 s21, 0, v70
	v_cmp_eq_u32_e64 s20, 0, v68
	s_and_b32 s21, s21, s20
	s_and_saveexec_b32 s20, s21
	s_cbranch_execz .LBB809_178
; %bb.177:                              ;   in Loop: Header=BB809_172 Depth=1
	s_waitcnt lgkmcnt(0)
	v_bcnt_u32_b32 v70, v70, v67
	ds_write_b32 v69, v70
.LBB809_178:                            ;   in Loop: Header=BB809_172 Depth=1
	s_or_b32 exec_lo, exec_lo, s20
	v_lshrrev_b64 v[70:71], v10, v[32:33]
	; wave barrier
	v_and_b32_e32 v70, v70, v65
	v_and_b32_e32 v71, 1, v70
	v_lshlrev_b32_e32 v80, 30, v70
	v_lshlrev_b32_e32 v81, 29, v70
	;; [unrolled: 1-line block ×4, first 2 shown]
	v_add_co_u32 v71, s20, v71, -1
	v_cndmask_b32_e64 v83, 0, 1, s20
	v_not_b32_e32 v87, v80
	v_cmp_gt_i32_e64 s21, 0, v80
	v_not_b32_e32 v80, v81
	v_lshlrev_b32_e32 v85, 26, v70
	v_cmp_ne_u32_e64 s20, 0, v83
	v_ashrrev_i32_e32 v87, 31, v87
	v_lshlrev_b32_e32 v86, 25, v70
	v_ashrrev_i32_e32 v80, 31, v80
	v_lshlrev_b32_e32 v83, 24, v70
	v_xor_b32_e32 v71, s20, v71
	v_cmp_gt_i32_e64 s20, 0, v81
	v_not_b32_e32 v81, v82
	v_xor_b32_e32 v87, s21, v87
	v_cmp_gt_i32_e64 s21, 0, v82
	v_and_b32_e32 v71, exec_lo, v71
	v_not_b32_e32 v82, v84
	v_ashrrev_i32_e32 v81, 31, v81
	v_xor_b32_e32 v80, s20, v80
	v_cmp_gt_i32_e64 s20, 0, v84
	v_and_b32_e32 v71, v71, v87
	v_not_b32_e32 v84, v85
	v_ashrrev_i32_e32 v82, 31, v82
	v_xor_b32_e32 v81, s21, v81
	v_cmp_gt_i32_e64 s21, 0, v85
	v_and_b32_e32 v71, v71, v80
	;; [unrolled: 5-line block ×3, first 2 shown]
	v_not_b32_e32 v81, v83
	v_ashrrev_i32_e32 v80, 31, v80
	v_xor_b32_e32 v84, s21, v84
	v_lshl_add_u32 v70, v70, 3, v134
	v_and_b32_e32 v71, v71, v82
	v_cmp_gt_i32_e64 s21, 0, v83
	v_ashrrev_i32_e32 v81, 31, v81
	v_xor_b32_e32 v80, s20, v80
	v_lshl_add_u32 v82, v70, 2, v12
	v_and_b32_e32 v71, v71, v84
	v_xor_b32_e32 v81, s21, v81
	ds_read_b32 v70, v82 offset:32
	v_and_b32_e32 v71, v71, v80
	v_add_nc_u32_e32 v80, 32, v82
	; wave barrier
	v_and_b32_e32 v81, v71, v81
	v_mbcnt_lo_u32_b32 v71, v81, 0
	v_cmp_ne_u32_e64 s21, 0, v81
	v_cmp_eq_u32_e64 s20, 0, v71
	s_and_b32 s21, s21, s20
	s_and_saveexec_b32 s20, s21
	s_cbranch_execz .LBB809_180
; %bb.179:                              ;   in Loop: Header=BB809_172 Depth=1
	s_waitcnt lgkmcnt(0)
	v_bcnt_u32_b32 v81, v81, v70
	ds_write_b32 v80, v81
.LBB809_180:                            ;   in Loop: Header=BB809_172 Depth=1
	s_or_b32 exec_lo, exec_lo, s20
	v_lshrrev_b64 v[81:82], v10, v[30:31]
	; wave barrier
	v_and_b32_e32 v81, v81, v65
	v_and_b32_e32 v82, 1, v81
	v_lshlrev_b32_e32 v83, 30, v81
	v_lshlrev_b32_e32 v84, 29, v81
	;; [unrolled: 1-line block ×4, first 2 shown]
	v_add_co_u32 v82, s20, v82, -1
	v_cndmask_b32_e64 v86, 0, 1, s20
	v_not_b32_e32 v98, v83
	v_cmp_gt_i32_e64 s21, 0, v83
	v_not_b32_e32 v83, v84
	v_lshlrev_b32_e32 v96, 26, v81
	v_cmp_ne_u32_e64 s20, 0, v86
	v_ashrrev_i32_e32 v98, 31, v98
	v_lshlrev_b32_e32 v97, 25, v81
	v_ashrrev_i32_e32 v83, 31, v83
	v_lshlrev_b32_e32 v86, 24, v81
	v_xor_b32_e32 v82, s20, v82
	v_cmp_gt_i32_e64 s20, 0, v84
	v_not_b32_e32 v84, v85
	v_xor_b32_e32 v98, s21, v98
	v_cmp_gt_i32_e64 s21, 0, v85
	v_and_b32_e32 v82, exec_lo, v82
	v_not_b32_e32 v85, v87
	v_ashrrev_i32_e32 v84, 31, v84
	v_xor_b32_e32 v83, s20, v83
	v_cmp_gt_i32_e64 s20, 0, v87
	v_and_b32_e32 v82, v82, v98
	v_not_b32_e32 v87, v96
	v_ashrrev_i32_e32 v85, 31, v85
	v_xor_b32_e32 v84, s21, v84
	v_cmp_gt_i32_e64 s21, 0, v96
	v_and_b32_e32 v82, v82, v83
	;; [unrolled: 5-line block ×3, first 2 shown]
	v_not_b32_e32 v84, v86
	v_ashrrev_i32_e32 v83, 31, v83
	v_xor_b32_e32 v87, s21, v87
	v_lshl_add_u32 v81, v81, 3, v134
	v_and_b32_e32 v82, v82, v85
	v_cmp_gt_i32_e64 s21, 0, v86
	v_ashrrev_i32_e32 v84, 31, v84
	v_xor_b32_e32 v83, s20, v83
	v_lshl_add_u32 v85, v81, 2, v12
	v_and_b32_e32 v82, v82, v87
	v_xor_b32_e32 v84, s21, v84
	ds_read_b32 v81, v85 offset:32
	v_and_b32_e32 v82, v82, v83
	v_add_nc_u32_e32 v83, 32, v85
	; wave barrier
	v_and_b32_e32 v84, v82, v84
	v_mbcnt_lo_u32_b32 v82, v84, 0
	v_cmp_ne_u32_e64 s21, 0, v84
	v_cmp_eq_u32_e64 s20, 0, v82
	s_and_b32 s21, s21, s20
	s_and_saveexec_b32 s20, s21
	s_cbranch_execz .LBB809_182
; %bb.181:                              ;   in Loop: Header=BB809_172 Depth=1
	s_waitcnt lgkmcnt(0)
	v_bcnt_u32_b32 v84, v84, v81
	ds_write_b32 v83, v84
.LBB809_182:                            ;   in Loop: Header=BB809_172 Depth=1
	s_or_b32 exec_lo, exec_lo, s20
	v_lshrrev_b64 v[84:85], v10, v[28:29]
	; wave barrier
	v_and_b32_e32 v84, v84, v65
	v_and_b32_e32 v85, 1, v84
	v_lshlrev_b32_e32 v86, 30, v84
	v_lshlrev_b32_e32 v87, 29, v84
	;; [unrolled: 1-line block ×4, first 2 shown]
	v_add_co_u32 v85, s20, v85, -1
	v_cndmask_b32_e64 v97, 0, 1, s20
	v_not_b32_e32 v101, v86
	v_cmp_gt_i32_e64 s21, 0, v86
	v_not_b32_e32 v86, v87
	v_lshlrev_b32_e32 v99, 26, v84
	v_cmp_ne_u32_e64 s20, 0, v97
	v_ashrrev_i32_e32 v101, 31, v101
	v_lshlrev_b32_e32 v100, 25, v84
	v_ashrrev_i32_e32 v86, 31, v86
	v_lshlrev_b32_e32 v97, 24, v84
	v_xor_b32_e32 v85, s20, v85
	v_cmp_gt_i32_e64 s20, 0, v87
	v_not_b32_e32 v87, v96
	v_xor_b32_e32 v101, s21, v101
	v_cmp_gt_i32_e64 s21, 0, v96
	v_and_b32_e32 v85, exec_lo, v85
	v_not_b32_e32 v96, v98
	v_ashrrev_i32_e32 v87, 31, v87
	v_xor_b32_e32 v86, s20, v86
	v_cmp_gt_i32_e64 s20, 0, v98
	v_and_b32_e32 v85, v85, v101
	v_not_b32_e32 v98, v99
	v_ashrrev_i32_e32 v96, 31, v96
	v_xor_b32_e32 v87, s21, v87
	v_cmp_gt_i32_e64 s21, 0, v99
	v_and_b32_e32 v85, v85, v86
	;; [unrolled: 5-line block ×3, first 2 shown]
	v_not_b32_e32 v87, v97
	v_ashrrev_i32_e32 v86, 31, v86
	v_xor_b32_e32 v98, s21, v98
	v_lshl_add_u32 v84, v84, 3, v134
	v_and_b32_e32 v85, v85, v96
	v_cmp_gt_i32_e64 s21, 0, v97
	v_ashrrev_i32_e32 v87, 31, v87
	v_xor_b32_e32 v86, s20, v86
	v_lshl_add_u32 v96, v84, 2, v12
	v_and_b32_e32 v85, v85, v98
	v_xor_b32_e32 v87, s21, v87
	ds_read_b32 v84, v96 offset:32
	v_and_b32_e32 v85, v85, v86
	v_add_nc_u32_e32 v86, 32, v96
	; wave barrier
	v_and_b32_e32 v87, v85, v87
	v_mbcnt_lo_u32_b32 v85, v87, 0
	v_cmp_ne_u32_e64 s21, 0, v87
	v_cmp_eq_u32_e64 s20, 0, v85
	s_and_b32 s21, s21, s20
	s_and_saveexec_b32 s20, s21
	s_cbranch_execz .LBB809_184
; %bb.183:                              ;   in Loop: Header=BB809_172 Depth=1
	s_waitcnt lgkmcnt(0)
	v_bcnt_u32_b32 v87, v87, v84
	ds_write_b32 v86, v87
.LBB809_184:                            ;   in Loop: Header=BB809_172 Depth=1
	s_or_b32 exec_lo, exec_lo, s20
	v_lshrrev_b64 v[96:97], v10, v[38:39]
	; wave barrier
	v_and_b32_e32 v87, v96, v65
	v_and_b32_e32 v96, 1, v87
	v_lshlrev_b32_e32 v97, 30, v87
	v_lshlrev_b32_e32 v98, 29, v87
	;; [unrolled: 1-line block ×4, first 2 shown]
	v_add_co_u32 v96, s20, v96, -1
	v_cndmask_b32_e64 v100, 0, 1, s20
	v_not_b32_e32 v112, v97
	v_cmp_gt_i32_e64 s21, 0, v97
	v_not_b32_e32 v97, v98
	v_lshlrev_b32_e32 v102, 26, v87
	v_cmp_ne_u32_e64 s20, 0, v100
	v_ashrrev_i32_e32 v112, 31, v112
	v_lshlrev_b32_e32 v103, 25, v87
	v_ashrrev_i32_e32 v97, 31, v97
	v_lshlrev_b32_e32 v100, 24, v87
	v_xor_b32_e32 v96, s20, v96
	v_cmp_gt_i32_e64 s20, 0, v98
	v_not_b32_e32 v98, v99
	v_xor_b32_e32 v112, s21, v112
	v_cmp_gt_i32_e64 s21, 0, v99
	v_and_b32_e32 v96, exec_lo, v96
	v_not_b32_e32 v99, v101
	v_ashrrev_i32_e32 v98, 31, v98
	v_xor_b32_e32 v97, s20, v97
	v_cmp_gt_i32_e64 s20, 0, v101
	v_and_b32_e32 v96, v96, v112
	v_not_b32_e32 v101, v102
	v_ashrrev_i32_e32 v99, 31, v99
	v_xor_b32_e32 v98, s21, v98
	v_cmp_gt_i32_e64 s21, 0, v102
	v_and_b32_e32 v96, v96, v97
	;; [unrolled: 5-line block ×3, first 2 shown]
	v_not_b32_e32 v98, v100
	v_ashrrev_i32_e32 v97, 31, v97
	v_xor_b32_e32 v101, s21, v101
	v_lshl_add_u32 v87, v87, 3, v134
	v_and_b32_e32 v96, v96, v99
	v_cmp_gt_i32_e64 s21, 0, v100
	v_ashrrev_i32_e32 v98, 31, v98
	v_xor_b32_e32 v97, s20, v97
	v_lshl_add_u32 v99, v87, 2, v12
	v_and_b32_e32 v96, v96, v101
	v_xor_b32_e32 v98, s21, v98
	ds_read_b32 v87, v99 offset:32
	v_and_b32_e32 v96, v96, v97
	v_add_nc_u32_e32 v97, 32, v99
	; wave barrier
	v_and_b32_e32 v98, v96, v98
	v_mbcnt_lo_u32_b32 v96, v98, 0
	v_cmp_ne_u32_e64 s21, 0, v98
	v_cmp_eq_u32_e64 s20, 0, v96
	s_and_b32 s21, s21, s20
	s_and_saveexec_b32 s20, s21
	s_cbranch_execz .LBB809_186
; %bb.185:                              ;   in Loop: Header=BB809_172 Depth=1
	s_waitcnt lgkmcnt(0)
	v_bcnt_u32_b32 v98, v98, v87
	ds_write_b32 v97, v98
.LBB809_186:                            ;   in Loop: Header=BB809_172 Depth=1
	s_or_b32 exec_lo, exec_lo, s20
	v_lshrrev_b64 v[98:99], v10, v[36:37]
	; wave barrier
	v_and_b32_e32 v65, v98, v65
	v_and_b32_e32 v98, 1, v65
	v_lshlrev_b32_e32 v99, 30, v65
	v_lshlrev_b32_e32 v100, 29, v65
	;; [unrolled: 1-line block ×4, first 2 shown]
	v_add_co_u32 v98, s20, v98, -1
	v_cndmask_b32_e64 v102, 0, 1, s20
	v_not_b32_e32 v114, v99
	v_cmp_gt_i32_e64 s21, 0, v99
	v_not_b32_e32 v99, v100
	v_lshlrev_b32_e32 v112, 26, v65
	v_cmp_ne_u32_e64 s20, 0, v102
	v_ashrrev_i32_e32 v114, 31, v114
	v_lshlrev_b32_e32 v113, 25, v65
	v_ashrrev_i32_e32 v99, 31, v99
	v_lshlrev_b32_e32 v102, 24, v65
	v_xor_b32_e32 v98, s20, v98
	v_cmp_gt_i32_e64 s20, 0, v100
	v_not_b32_e32 v100, v101
	v_xor_b32_e32 v114, s21, v114
	v_cmp_gt_i32_e64 s21, 0, v101
	v_and_b32_e32 v98, exec_lo, v98
	v_not_b32_e32 v101, v103
	v_ashrrev_i32_e32 v100, 31, v100
	v_xor_b32_e32 v99, s20, v99
	v_cmp_gt_i32_e64 s20, 0, v103
	v_and_b32_e32 v98, v98, v114
	v_not_b32_e32 v103, v112
	v_ashrrev_i32_e32 v101, 31, v101
	v_xor_b32_e32 v100, s21, v100
	v_cmp_gt_i32_e64 s21, 0, v112
	v_and_b32_e32 v98, v98, v99
	;; [unrolled: 5-line block ×3, first 2 shown]
	v_not_b32_e32 v100, v102
	v_ashrrev_i32_e32 v99, 31, v99
	v_xor_b32_e32 v103, s21, v103
	v_lshl_add_u32 v65, v65, 3, v134
	v_and_b32_e32 v98, v98, v101
	v_cmp_gt_i32_e64 s21, 0, v102
	v_ashrrev_i32_e32 v100, 31, v100
	v_xor_b32_e32 v99, s20, v99
	v_lshl_add_u32 v101, v65, 2, v12
	v_and_b32_e32 v98, v98, v103
	v_xor_b32_e32 v100, s21, v100
	ds_read_b32 v65, v101 offset:32
	v_and_b32_e32 v98, v98, v99
	v_add_nc_u32_e32 v99, 32, v101
	; wave barrier
	v_and_b32_e32 v100, v98, v100
	v_mbcnt_lo_u32_b32 v98, v100, 0
	v_cmp_ne_u32_e64 s21, 0, v100
	v_cmp_eq_u32_e64 s20, 0, v98
	s_and_b32 s21, s21, s20
	s_and_saveexec_b32 s20, s21
	s_cbranch_execz .LBB809_188
; %bb.187:                              ;   in Loop: Header=BB809_172 Depth=1
	s_waitcnt lgkmcnt(0)
	v_bcnt_u32_b32 v100, v100, v65
	ds_write_b32 v99, v100
.LBB809_188:                            ;   in Loop: Header=BB809_172 Depth=1
	s_or_b32 exec_lo, exec_lo, s20
	; wave barrier
	s_waitcnt lgkmcnt(0)
	s_barrier
	buffer_gl0_inv
	ds_read_b32 v101, v55
	ds_read_b32 v102, v118
	;; [unrolled: 1-line block ×8, first 2 shown]
	s_waitcnt lgkmcnt(6)
	v_add_nc_u32_e32 v116, v102, v101
	s_waitcnt lgkmcnt(4)
	v_add3_u32 v116, v116, v103, v112
	s_waitcnt lgkmcnt(2)
	v_add3_u32 v116, v116, v113, v114
	;; [unrolled: 2-line block ×3, first 2 shown]
	v_mov_b32_dpp v116, v115 row_shr:1 row_mask:0xf bank_mask:0xf
	v_cndmask_b32_e64 v116, v116, 0, vcc_lo
	v_add_nc_u32_e32 v115, v116, v115
	v_mov_b32_dpp v116, v115 row_shr:2 row_mask:0xf bank_mask:0xf
	v_cndmask_b32_e64 v116, 0, v116, s4
	v_add_nc_u32_e32 v115, v115, v116
	v_mov_b32_dpp v116, v115 row_shr:4 row_mask:0xf bank_mask:0xf
	v_cndmask_b32_e64 v116, 0, v116, s5
	;; [unrolled: 3-line block ×3, first 2 shown]
	v_add_nc_u32_e32 v115, v115, v116
	ds_swizzle_b32 v116, v115 offset:swizzle(BROADCAST,32,15)
	s_waitcnt lgkmcnt(0)
	v_cndmask_b32_e64 v116, v116, 0, s10
	v_add_nc_u32_e32 v115, v115, v116
	s_and_saveexec_b32 s20, s11
; %bb.189:                              ;   in Loop: Header=BB809_172 Depth=1
	ds_write_b32 v144, v115
; %bb.190:                              ;   in Loop: Header=BB809_172 Depth=1
	s_or_b32 exec_lo, exec_lo, s20
	s_waitcnt lgkmcnt(0)
	s_barrier
	buffer_gl0_inv
	s_and_saveexec_b32 s20, s14
	s_cbranch_execz .LBB809_192
; %bb.191:                              ;   in Loop: Header=BB809_172 Depth=1
	ds_read_b32 v116, v145
	s_waitcnt lgkmcnt(0)
	v_mov_b32_dpp v117, v116 row_shr:1 row_mask:0xf bank_mask:0xf
	v_cndmask_b32_e64 v117, v117, 0, s17
	v_add_nc_u32_e32 v116, v117, v116
	v_mov_b32_dpp v117, v116 row_shr:2 row_mask:0xf bank_mask:0xf
	v_cndmask_b32_e64 v117, 0, v117, s18
	v_add_nc_u32_e32 v116, v116, v117
	;; [unrolled: 3-line block ×3, first 2 shown]
	ds_write_b32 v145, v116
.LBB809_192:                            ;   in Loop: Header=BB809_172 Depth=1
	s_or_b32 exec_lo, exec_lo, s20
	v_mov_b32_e32 v116, 0
	s_waitcnt lgkmcnt(0)
	s_barrier
	buffer_gl0_inv
	s_and_saveexec_b32 s20, s15
; %bb.193:                              ;   in Loop: Header=BB809_172 Depth=1
	ds_read_b32 v116, v147
; %bb.194:                              ;   in Loop: Header=BB809_172 Depth=1
	s_or_b32 exec_lo, exec_lo, s20
	s_waitcnt lgkmcnt(0)
	v_add_nc_u32_e32 v115, v116, v115
	v_add_nc_u32_e32 v10, 8, v10
	s_mov_b32 s26, -1
	ds_bpermute_b32 v115, v135, v115
	v_cmp_lt_u32_e64 s20, v10, v11
	s_waitcnt lgkmcnt(0)
	v_cndmask_b32_e64 v115, v115, v116, s6
                                        ; implicit-def: $vgpr116_vgpr117
	v_cndmask_b32_e64 v115, v115, 0, s16
	v_add_nc_u32_e32 v101, v115, v101
	v_add_nc_u32_e32 v102, v101, v102
	ds_write_b32 v55, v115
	ds_write_b32 v118, v101
	;; [unrolled: 1-line block ×3, first 2 shown]
	v_add_nc_u32_e32 v103, v102, v103
	v_mov_b32_e32 v102, v1
	v_add_nc_u32_e32 v112, v103, v112
	v_add_nc_u32_e32 v113, v112, v113
	;; [unrolled: 1-line block ×4, first 2 shown]
	ds_write_b32 v129, v103
	ds_write_b32 v130, v112
	;; [unrolled: 1-line block ×5, first 2 shown]
	s_waitcnt lgkmcnt(0)
	s_barrier
	buffer_gl0_inv
	ds_read_b32 v53, v53
	ds_read_b32 v101, v66
	;; [unrolled: 1-line block ×8, first 2 shown]
	v_mov_b32_e32 v83, v1
	v_mov_b32_e32 v69, v1
	;; [unrolled: 1-line block ×6, first 2 shown]
	s_waitcnt lgkmcnt(0)
	v_add_nc_u32_e32 v0, v53, v0
	v_add3_u32 v99, v64, v54, v101
	v_add3_u32 v68, v68, v67, v103
	;; [unrolled: 1-line block ×7, first 2 shown]
	v_lshlrev_b64 v[67:68], 3, v[68:69]
	v_lshlrev_b64 v[80:81], 3, v[82:83]
	;; [unrolled: 1-line block ×8, first 2 shown]
	v_add_co_u32 v165, null, v12, v67
	v_add_co_u32 v0, null, v12, v53
	;; [unrolled: 1-line block ×8, first 2 shown]
                                        ; implicit-def: $vgpr86_vgpr87
                                        ; implicit-def: $vgpr98_vgpr99
                                        ; implicit-def: $vgpr96_vgpr97
                                        ; implicit-def: $vgpr100_vgpr101
                                        ; implicit-def: $vgpr102_vgpr103
                                        ; implicit-def: $vgpr112_vgpr113
                                        ; implicit-def: $vgpr114_vgpr115
                                        ; implicit-def: $vgpr64_vgpr65
                                        ; implicit-def: $vgpr53_vgpr54
                                        ; implicit-def: $vgpr80_vgpr81
                                        ; implicit-def: $vgpr70_vgpr71
                                        ; implicit-def: $vgpr84_vgpr85
                                        ; implicit-def: $vgpr82_vgpr83
                                        ; implicit-def: $vgpr68_vgpr69
                                        ; implicit-def: $vgpr66_vgpr67
	s_and_saveexec_b32 s21, s20
	s_cbranch_execz .LBB809_171
; %bb.195:                              ;   in Loop: Header=BB809_172 Depth=1
	s_barrier
	buffer_gl0_inv
	ds_write_b64 v0, v[24:25]
	ds_write_b64 v164, v[26:27]
	;; [unrolled: 1-line block ×8, first 2 shown]
	s_waitcnt lgkmcnt(0)
	s_barrier
	buffer_gl0_inv
	ds_read_b64 v[64:65], v146
	ds_read_b64 v[53:54], v148
	;; [unrolled: 1-line block ×8, first 2 shown]
	s_waitcnt lgkmcnt(0)
	s_barrier
	buffer_gl0_inv
	ds_write_b64 v0, v[8:9]
	ds_write_b64 v164, v[4:5]
	;; [unrolled: 1-line block ×8, first 2 shown]
	s_waitcnt lgkmcnt(0)
	s_barrier
	buffer_gl0_inv
	ds_read_b64 v[86:87], v146
	ds_read_b64 v[98:99], v148
	;; [unrolled: 1-line block ×8, first 2 shown]
	v_add_nc_u32_e32 v163, -8, v163
	s_xor_b32 s26, exec_lo, -1
	s_waitcnt lgkmcnt(0)
	s_barrier
	buffer_gl0_inv
	s_branch .LBB809_171
.LBB809_196:
	flat_load_dwordx2 v[194:195], v[0:1]
	s_or_b32 exec_lo, exec_lo, s23
                                        ; implicit-def: $vgpr182_vgpr183
	s_and_saveexec_b32 s23, s4
	s_cbranch_execz .LBB809_36
.LBB809_197:
	flat_load_dwordx2 v[182:183], v[0:1] offset:256
	s_or_b32 exec_lo, exec_lo, s23
                                        ; implicit-def: $vgpr192_vgpr193
	s_and_saveexec_b32 s4, s5
	s_cbranch_execz .LBB809_37
.LBB809_198:
	flat_load_dwordx2 v[192:193], v[0:1] offset:512
	s_or_b32 exec_lo, exec_lo, s4
                                        ; implicit-def: $vgpr198_vgpr199
	s_and_saveexec_b32 s4, s6
	s_cbranch_execz .LBB809_38
.LBB809_199:
	flat_load_dwordx2 v[198:199], v[0:1] offset:768
	s_or_b32 exec_lo, exec_lo, s4
                                        ; implicit-def: $vgpr196_vgpr197
	s_and_saveexec_b32 s4, s7
	s_cbranch_execz .LBB809_39
.LBB809_200:
	flat_load_dwordx2 v[196:197], v[0:1] offset:1024
	s_or_b32 exec_lo, exec_lo, s4
                                        ; implicit-def: $vgpr208_vgpr209
	s_and_saveexec_b32 s4, s10
	s_cbranch_execz .LBB809_40
.LBB809_201:
	flat_load_dwordx2 v[208:209], v[0:1] offset:1280
	s_or_b32 exec_lo, exec_lo, s4
                                        ; implicit-def: $vgpr210_vgpr211
	s_and_saveexec_b32 s4, s11
	s_cbranch_execz .LBB809_41
.LBB809_202:
	flat_load_dwordx2 v[210:211], v[0:1] offset:1536
	s_or_b32 exec_lo, exec_lo, s4
                                        ; implicit-def: $vgpr212_vgpr213
	s_and_saveexec_b32 s4, s14
	s_cbranch_execz .LBB809_42
.LBB809_203:
	flat_load_dwordx2 v[212:213], v[0:1] offset:1792
	s_or_b32 exec_lo, exec_lo, s4
                                        ; implicit-def: $vgpr214_vgpr215
	s_and_saveexec_b32 s4, s15
	s_cbranch_execz .LBB809_43
.LBB809_204:
	v_add_co_u32 v4, vcc_lo, 0x800, v0
	v_add_co_ci_u32_e64 v5, null, 0, v1, vcc_lo
	flat_load_dwordx2 v[214:215], v[4:5]
	s_or_b32 exec_lo, exec_lo, s4
                                        ; implicit-def: $vgpr224_vgpr225
	s_and_saveexec_b32 s4, s16
	s_cbranch_execz .LBB809_44
.LBB809_205:
	v_add_co_u32 v4, vcc_lo, 0x800, v0
	v_add_co_ci_u32_e64 v5, null, 0, v1, vcc_lo
	flat_load_dwordx2 v[224:225], v[4:5] offset:256
	s_or_b32 exec_lo, exec_lo, s4
                                        ; implicit-def: $vgpr226_vgpr227
	s_and_saveexec_b32 s4, s17
	s_cbranch_execz .LBB809_45
.LBB809_206:
	v_add_co_u32 v4, vcc_lo, 0x800, v0
	v_add_co_ci_u32_e64 v5, null, 0, v1, vcc_lo
	flat_load_dwordx2 v[226:227], v[4:5] offset:512
	s_or_b32 exec_lo, exec_lo, s4
                                        ; implicit-def: $vgpr228_vgpr229
	s_and_saveexec_b32 s4, s18
	s_cbranch_execz .LBB809_46
.LBB809_207:
	v_add_co_u32 v4, vcc_lo, 0x800, v0
	v_add_co_ci_u32_e64 v5, null, 0, v1, vcc_lo
	flat_load_dwordx2 v[228:229], v[4:5] offset:768
	s_or_b32 exec_lo, exec_lo, s4
                                        ; implicit-def: $vgpr230_vgpr231
	s_and_saveexec_b32 s4, s19
	s_cbranch_execz .LBB809_47
.LBB809_208:
	v_add_co_u32 v4, vcc_lo, 0x800, v0
	v_add_co_ci_u32_e64 v5, null, 0, v1, vcc_lo
	flat_load_dwordx2 v[230:231], v[4:5] offset:1024
	s_or_b32 exec_lo, exec_lo, s4
                                        ; implicit-def: $vgpr240_vgpr241
	s_and_saveexec_b32 s4, s20
	s_cbranch_execz .LBB809_48
.LBB809_209:
	v_add_co_u32 v4, vcc_lo, 0x800, v0
	v_add_co_ci_u32_e64 v5, null, 0, v1, vcc_lo
	flat_load_dwordx2 v[240:241], v[4:5] offset:1280
	s_or_b32 exec_lo, exec_lo, s4
                                        ; implicit-def: $vgpr242_vgpr243
	s_and_saveexec_b32 s4, s21
	s_cbranch_execz .LBB809_49
.LBB809_210:
	v_add_co_u32 v4, vcc_lo, 0x800, v0
	v_add_co_ci_u32_e64 v5, null, 0, v1, vcc_lo
	flat_load_dwordx2 v[242:243], v[4:5] offset:1536
	s_or_b32 exec_lo, exec_lo, s4
                                        ; implicit-def: $vgpr244_vgpr245
	s_and_saveexec_b32 s4, s22
	s_cbranch_execnz .LBB809_50
	s_branch .LBB809_51
.LBB809_211:
	flat_store_dwordx2 v[0:1], v[36:37]
	s_or_b32 exec_lo, exec_lo, s23
	s_and_saveexec_b32 s23, s4
	s_cbranch_execz .LBB809_127
.LBB809_212:
	v_add_co_u32 v2, vcc_lo, 0x800, v0
	v_add_co_ci_u32_e64 v3, null, 0, v1, vcc_lo
	flat_store_dwordx2 v[2:3], v[38:39]
	s_or_b32 exec_lo, exec_lo, s23
	s_and_saveexec_b32 s4, s5
	s_cbranch_execz .LBB809_128
.LBB809_213:
	v_add_co_u32 v2, vcc_lo, 0x1000, v0
	v_add_co_ci_u32_e64 v3, null, 0, v1, vcc_lo
	flat_store_dwordx2 v[2:3], v[32:33]
	s_or_b32 exec_lo, exec_lo, s4
	s_and_saveexec_b32 s4, s6
	s_cbranch_execz .LBB809_129
.LBB809_214:
	v_add_co_u32 v2, vcc_lo, 0x1800, v0
	v_add_co_ci_u32_e64 v3, null, 0, v1, vcc_lo
	flat_store_dwordx2 v[2:3], v[34:35]
	s_or_b32 exec_lo, exec_lo, s4
	s_and_saveexec_b32 s4, s7
	s_cbranch_execz .LBB809_130
.LBB809_215:
	v_add_co_u32 v2, vcc_lo, 0x2000, v0
	v_add_co_ci_u32_e64 v3, null, 0, v1, vcc_lo
	flat_store_dwordx2 v[2:3], v[28:29]
	s_or_b32 exec_lo, exec_lo, s4
	s_and_saveexec_b32 s4, s10
	s_cbranch_execz .LBB809_131
.LBB809_216:
	v_add_co_u32 v2, vcc_lo, 0x2800, v0
	v_add_co_ci_u32_e64 v3, null, 0, v1, vcc_lo
	flat_store_dwordx2 v[2:3], v[30:31]
	s_or_b32 exec_lo, exec_lo, s4
	s_and_saveexec_b32 s4, s11
	s_cbranch_execz .LBB809_132
.LBB809_217:
	v_add_co_u32 v2, vcc_lo, 0x3000, v0
	v_add_co_ci_u32_e64 v3, null, 0, v1, vcc_lo
	flat_store_dwordx2 v[2:3], v[24:25]
	s_or_b32 exec_lo, exec_lo, s4
	s_and_saveexec_b32 s4, s14
	s_cbranch_execz .LBB809_133
.LBB809_218:
	v_add_co_u32 v2, vcc_lo, 0x3800, v0
	v_add_co_ci_u32_e64 v3, null, 0, v1, vcc_lo
	flat_store_dwordx2 v[2:3], v[26:27]
	s_or_b32 exec_lo, exec_lo, s4
	s_and_saveexec_b32 s4, s15
	s_cbranch_execz .LBB809_134
.LBB809_219:
	v_add_co_u32 v2, vcc_lo, 0x4000, v0
	v_add_co_ci_u32_e64 v3, null, 0, v1, vcc_lo
	flat_store_dwordx2 v[2:3], v[20:21]
	s_or_b32 exec_lo, exec_lo, s4
	s_and_saveexec_b32 s4, s16
	s_cbranch_execz .LBB809_135
.LBB809_220:
	v_add_co_u32 v2, vcc_lo, 0x4800, v0
	v_add_co_ci_u32_e64 v3, null, 0, v1, vcc_lo
	flat_store_dwordx2 v[2:3], v[22:23]
	s_or_b32 exec_lo, exec_lo, s4
	s_and_saveexec_b32 s4, s17
	s_cbranch_execz .LBB809_136
.LBB809_221:
	v_add_co_u32 v2, vcc_lo, 0x5000, v0
	v_add_co_ci_u32_e64 v3, null, 0, v1, vcc_lo
	flat_store_dwordx2 v[2:3], v[16:17]
	s_or_b32 exec_lo, exec_lo, s4
	s_and_saveexec_b32 s4, s18
	s_cbranch_execz .LBB809_137
.LBB809_222:
	v_add_co_u32 v2, vcc_lo, 0x5800, v0
	v_add_co_ci_u32_e64 v3, null, 0, v1, vcc_lo
	flat_store_dwordx2 v[2:3], v[18:19]
	s_or_b32 exec_lo, exec_lo, s4
	s_and_saveexec_b32 s4, s19
	s_cbranch_execz .LBB809_138
.LBB809_223:
	v_add_co_u32 v2, vcc_lo, 0x6000, v0
	v_add_co_ci_u32_e64 v3, null, 0, v1, vcc_lo
	flat_store_dwordx2 v[2:3], v[12:13]
	s_or_b32 exec_lo, exec_lo, s4
	s_and_saveexec_b32 s4, s20
	s_cbranch_execz .LBB809_139
.LBB809_224:
	v_add_co_u32 v2, vcc_lo, 0x6800, v0
	v_add_co_ci_u32_e64 v3, null, 0, v1, vcc_lo
	flat_store_dwordx2 v[2:3], v[14:15]
	s_or_b32 exec_lo, exec_lo, s4
	s_and_saveexec_b32 s4, s21
	s_cbranch_execz .LBB809_140
.LBB809_225:
	v_add_co_u32 v2, vcc_lo, 0x7000, v0
	v_add_co_ci_u32_e64 v3, null, 0, v1, vcc_lo
	flat_store_dwordx2 v[2:3], v[8:9]
	s_or_b32 exec_lo, exec_lo, s4
	s_and_saveexec_b32 s4, s22
	s_cbranch_execnz .LBB809_141
	s_branch .LBB809_142
.LBB809_226:
	s_or_b32 exec_lo, exec_lo, s25
	v_lshl_add_u32 v1, v21, 3, v12
	s_barrier
	buffer_gl0_inv
	ds_write_b64 v0, v[24:25]
	ds_write_b64 v164, v[26:27]
	;; [unrolled: 1-line block ×8, first 2 shown]
	s_waitcnt lgkmcnt(0)
	s_barrier
	buffer_gl0_inv
	ds_read2st64_b64 v[36:39], v1 offset1:4
	ds_read2st64_b64 v[32:35], v1 offset0:8 offset1:12
	ds_read2st64_b64 v[28:31], v1 offset0:16 offset1:20
	;; [unrolled: 1-line block ×3, first 2 shown]
	s_waitcnt lgkmcnt(0)
	s_barrier
	buffer_gl0_inv
	ds_write_b64 v0, v[8:9]
	ds_write_b64 v164, v[4:5]
	;; [unrolled: 1-line block ×8, first 2 shown]
	s_waitcnt lgkmcnt(0)
	s_barrier
	buffer_gl0_inv
	ds_read2st64_b64 v[20:23], v1 offset1:4
	ds_read2st64_b64 v[16:19], v1 offset0:8 offset1:12
	ds_read2st64_b64 v[12:15], v1 offset0:16 offset1:20
	;; [unrolled: 1-line block ×3, first 2 shown]
	v_mov_b32_e32 v51, 0
	v_add_co_u32 v2, vcc_lo, v2, v48
	v_add_co_ci_u32_e64 v3, null, v3, v49, vcc_lo
	v_lshlrev_b64 v[0:1], 3, v[50:51]
	s_waitcnt lgkmcnt(0)
	s_barrier
	buffer_gl0_inv
	v_add_co_u32 v2, vcc_lo, v2, v0
	v_add_co_ci_u32_e64 v3, null, v3, v1, vcc_lo
	v_cmp_lt_u32_e32 vcc_lo, v50, v119
	s_and_saveexec_b32 s4, vcc_lo
	s_cbranch_execz .LBB809_228
; %bb.227:
	v_xor_b32_e32 v37, 0x80000000, v37
	flat_store_dwordx2 v[2:3], v[36:37]
.LBB809_228:
	s_or_b32 exec_lo, exec_lo, s4
	v_add_nc_u32_e32 v4, 0x100, v50
	v_cmp_lt_u32_e64 s4, v4, v119
	s_and_saveexec_b32 s6, s4
	s_cbranch_execz .LBB809_230
; %bb.229:
	v_add_co_u32 v4, s5, 0x800, v2
	v_xor_b32_e32 v39, 0x80000000, v39
	v_add_co_ci_u32_e64 v5, null, 0, v3, s5
	flat_store_dwordx2 v[4:5], v[38:39]
.LBB809_230:
	s_or_b32 exec_lo, exec_lo, s6
	v_add_nc_u32_e32 v4, 0x200, v50
	v_cmp_lt_u32_e64 s5, v4, v119
	s_and_saveexec_b32 s7, s5
	s_cbranch_execz .LBB809_232
; %bb.231:
	v_add_co_u32 v4, s6, 0x1000, v2
	v_xor_b32_e32 v33, 0x80000000, v33
	v_add_co_ci_u32_e64 v5, null, 0, v3, s6
	flat_store_dwordx2 v[4:5], v[32:33]
.LBB809_232:
	;; [unrolled: 11-line block ×7, first 2 shown]
	s_or_b32 exec_lo, exec_lo, s16
	v_add_co_u32 v2, s15, v6, v48
	v_add_co_ci_u32_e64 v3, null, v7, v49, s15
	v_add_co_u32 v0, s15, v2, v0
	v_add_co_ci_u32_e64 v1, null, v3, v1, s15
	s_and_saveexec_b32 s15, vcc_lo
	s_cbranch_execnz .LBB809_292
; %bb.243:
	s_or_b32 exec_lo, exec_lo, s15
	s_and_saveexec_b32 s15, s4
	s_cbranch_execnz .LBB809_293
.LBB809_244:
	s_or_b32 exec_lo, exec_lo, s15
	s_and_saveexec_b32 s4, s5
	s_cbranch_execnz .LBB809_294
.LBB809_245:
	s_or_b32 exec_lo, exec_lo, s4
	s_and_saveexec_b32 s4, s6
	s_cbranch_execnz .LBB809_295
.LBB809_246:
	s_or_b32 exec_lo, exec_lo, s4
	s_and_saveexec_b32 s4, s7
	s_cbranch_execnz .LBB809_296
.LBB809_247:
	s_or_b32 exec_lo, exec_lo, s4
	s_and_saveexec_b32 s4, s10
	s_cbranch_execnz .LBB809_297
.LBB809_248:
	s_or_b32 exec_lo, exec_lo, s4
	s_and_saveexec_b32 s4, s11
	s_cbranch_execnz .LBB809_298
.LBB809_249:
	s_or_b32 exec_lo, exec_lo, s4
	s_and_saveexec_b32 s4, s14
	s_cbranch_execz .LBB809_251
.LBB809_250:
	v_add_co_u32 v0, vcc_lo, 0x3800, v0
	v_add_co_ci_u32_e64 v1, null, 0, v1, vcc_lo
	flat_store_dwordx2 v[0:1], v[10:11]
.LBB809_251:
	s_or_b32 exec_lo, exec_lo, s4
                                        ; implicit-def: $vgpr119
                                        ; implicit-def: $vgpr0
                                        ; implicit-def: $vgpr1
                                        ; implicit-def: $vgpr2
                                        ; implicit-def: $vgpr3
                                        ; implicit-def: $vgpr4
                                        ; implicit-def: $vgpr5
                                        ; implicit-def: $vgpr6
                                        ; implicit-def: $vgpr7
                                        ; implicit-def: $vgpr8
                                        ; implicit-def: $vgpr10
                                        ; implicit-def: $vgpr11
                                        ; implicit-def: $vgpr12
                                        ; implicit-def: $vgpr13
                                        ; implicit-def: $vgpr14
                                        ; implicit-def: $vgpr21
                                        ; implicit-def: $vgpr22
.LBB809_252:
	s_andn2_saveexec_b32 s4, s22
	s_cbranch_execz .LBB809_372
; %bb.253:
	s_mov_b32 s4, exec_lo
	v_cmpx_lt_u32_e32 0x200, v119
	s_xor_b32 s22, exec_lo, s4
	s_cbranch_execz .LBB809_313
; %bb.254:
	s_load_dwordx2 s[4:5], s[8:9], 0x0
	v_mov_b32_e32 v9, 0
	v_lshlrev_b32_e32 v23, 3, v22
	v_lshlrev_b64 v[26:27], 3, v[8:9]
	v_add_co_u32 v20, vcc_lo, v0, v26
	v_add_co_ci_u32_e64 v28, null, v1, v27, vcc_lo
	s_waitcnt lgkmcnt(0)
	s_cmp_lt_u32 s13, s5
	s_cselect_b32 s5, 14, 20
	s_add_u32 s6, s8, s5
	s_addc_u32 s7, s9, 0
	s_cmp_lt_u32 s12, s4
	global_load_ushort v15, v9, s[6:7]
	s_cselect_b32 s4, 12, 18
	s_add_u32 s4, s8, s4
	s_addc_u32 s5, s9, 0
	global_load_ushort v16, v9, s[4:5]
	s_waitcnt vmcnt(1)
	v_mad_u32_u24 v13, v14, v15, v13
	v_bfrev_b32_e32 v14, -2
	v_mov_b32_e32 v18, v14
	s_waitcnt vmcnt(0)
	v_mad_u64_u32 v[24:25], null, v13, v16, v[21:22]
	v_mov_b32_e32 v13, -1
	v_mov_b32_e32 v16, v14
	v_mov_b32_e32 v15, v13
	v_lshlrev_b32_e32 v8, 2, v24
	v_mov_b32_e32 v17, v13
	v_mov_b32_e32 v19, v13
	v_and_b32_e32 v8, 0xffffff80, v8
	v_lshlrev_b64 v[0:1], 3, v[8:9]
	v_or_b32_e32 v25, v8, v22
	v_add_co_u32 v8, vcc_lo, v20, v23
	v_add_co_ci_u32_e64 v9, null, 0, v28, vcc_lo
	v_cmp_lt_u32_e32 vcc_lo, v25, v119
	v_add_co_u32 v8, s4, v8, v0
	v_add_co_ci_u32_e64 v9, null, v9, v1, s4
	v_mov_b32_e32 v20, v14
	s_and_saveexec_b32 s4, vcc_lo
	s_cbranch_execz .LBB809_256
; %bb.255:
	flat_load_dwordx2 v[28:29], v[8:9]
	v_mov_b32_e32 v30, v13
	v_mov_b32_e32 v31, v14
	;; [unrolled: 1-line block ×6, first 2 shown]
	s_waitcnt vmcnt(0) lgkmcnt(0)
	v_mov_b32_e32 v13, v28
	v_mov_b32_e32 v14, v29
	;; [unrolled: 1-line block ×8, first 2 shown]
.LBB809_256:
	s_or_b32 exec_lo, exec_lo, s4
	v_or_b32_e32 v28, 32, v25
	v_cmp_lt_u32_e64 s4, v28, v119
	s_and_saveexec_b32 s5, s4
	s_cbranch_execz .LBB809_258
; %bb.257:
	flat_load_dwordx2 v[15:16], v[8:9] offset:256
.LBB809_258:
	s_or_b32 exec_lo, exec_lo, s5
	v_or_b32_e32 v28, 64, v25
	v_cmp_lt_u32_e64 s5, v28, v119
	s_and_saveexec_b32 s6, s5
	s_cbranch_execz .LBB809_260
; %bb.259:
	flat_load_dwordx2 v[17:18], v[8:9] offset:512
.LBB809_260:
	;; [unrolled: 8-line block ×3, first 2 shown]
	s_or_b32 exec_lo, exec_lo, s7
	v_add_co_u32 v4, s7, v4, v26
	v_add_co_ci_u32_e64 v5, null, v5, v27, s7
                                        ; implicit-def: $vgpr50_vgpr51
	v_add_co_u32 v4, s7, v4, v23
	v_add_co_ci_u32_e64 v5, null, 0, v5, s7
	v_add_co_u32 v0, s7, v4, v0
	v_add_co_ci_u32_e64 v1, null, v5, v1, s7
	s_and_saveexec_b32 s7, vcc_lo
	s_cbranch_execnz .LBB809_337
; %bb.263:
	s_or_b32 exec_lo, exec_lo, s7
                                        ; implicit-def: $vgpr52_vgpr53
	s_and_saveexec_b32 s7, s4
	s_cbranch_execnz .LBB809_338
.LBB809_264:
	s_or_b32 exec_lo, exec_lo, s7
                                        ; implicit-def: $vgpr38_vgpr39
	s_and_saveexec_b32 s4, s5
	s_cbranch_execnz .LBB809_339
.LBB809_265:
	s_or_b32 exec_lo, exec_lo, s4
                                        ; implicit-def: $vgpr48_vgpr49
	s_and_saveexec_b32 s4, s6
	s_cbranch_execz .LBB809_267
.LBB809_266:
	flat_load_dwordx2 v[48:49], v[0:1] offset:768
.LBB809_267:
	s_or_b32 exec_lo, exec_lo, s4
	v_lshl_add_u32 v0, v21, 5, v12
	v_and_b32_e32 v1, 0x3e0, v21
	v_and_b32_e32 v4, 15, v22
	v_sub_co_u32 v5, s6, v22, 1
	v_add_nc_u32_e32 v25, 32, v0
	v_add_nc_u32_e32 v54, 36, v0
	;; [unrolled: 1-line block ×8, first 2 shown]
	v_min_u32_e32 v0, 0xe0, v1
	s_getpc_b64 s[4:5]
	s_add_u32 s4, s4, _ZN7rocprim17ROCPRIM_400000_NS16block_radix_sortIlLj256ELj4ElLj1ELj1ELj8ELNS0_26block_radix_rank_algorithmE2ELNS0_18block_padding_hintE2ELNS0_4arch9wavefront6targetE0EE19radix_bits_per_passE@rel32@lo+4
	s_addc_u32 s5, s5, _ZN7rocprim17ROCPRIM_400000_NS16block_radix_sortIlLj256ELj4ElLj1ELj1ELj8ELNS0_26block_radix_rank_algorithmE2ELNS0_18block_padding_hintE2ELNS0_4arch9wavefront6targetE0EE19radix_bits_per_passE@rel32@hi+12
	v_cmp_eq_u32_e32 vcc_lo, 0, v4
	s_load_dword s23, s[4:5], 0x0
	v_cmp_lt_u32_e64 s4, 1, v4
	v_or_b32_e32 v0, 31, v0
	v_cmp_lt_u32_e64 s5, 3, v4
	v_and_b32_e32 v1, 16, v22
	v_cmp_lt_u32_e64 s7, 7, v4
	v_cmp_gt_i32_e64 s14, 0, v5
	v_cmp_eq_u32_e64 s11, v21, v0
	v_lshrrev_b32_e32 v0, 3, v21
	v_lshlrev_b32_e32 v4, 2, v21
	v_cmp_eq_u32_e64 s10, 0, v1
	v_cndmask_b32_e64 v1, v5, v22, s14
	v_and_b32_e32 v8, 7, v22
	v_and_b32_e32 v0, 0x7c, v0
	v_and_or_b32 v5, 0xf80, v4, v22
	v_xor_b32_e32 v14, 0x80000000, v14
	s_waitcnt vmcnt(0) lgkmcnt(0)
	v_xor_b32_e32 v16, 0x80000000, v16
	v_xor_b32_e32 v18, 0x80000000, v18
	v_add_nc_u32_e32 v71, v12, v0
	v_lshl_add_u32 v81, v5, 3, v12
	v_xor_b32_e32 v20, 0x80000000, v20
	v_lshrrev_b32_e32 v69, 5, v24
	v_cmp_gt_u32_e64 s14, 8, v21
	v_cmp_lt_u32_e64 s15, 31, v21
	v_lshlrev_b32_e32 v70, 2, v1
	v_cmp_eq_u32_e64 s16, 0, v21
	v_mov_b32_e32 v1, 0
	v_add_nc_u32_e32 v80, v12, v4
	v_cmp_eq_u32_e64 s17, 0, v8
	v_cmp_lt_u32_e64 s18, 1, v8
	v_cmp_lt_u32_e64 s19, 3, v8
	v_add_nc_u32_e32 v82, -4, v71
	v_add_nc_u32_e32 v83, 0x100, v81
	v_add_nc_u32_e32 v84, 0x200, v81
	;; [unrolled: 1-line block ×3, first 2 shown]
	v_sub_nc_u32_e32 v86, v11, v10
	s_mov_b32 s25, 0
	s_waitcnt_vscnt null, 0x0
	s_barrier
	buffer_gl0_inv
	s_branch .LBB809_269
.LBB809_268:                            ;   in Loop: Header=BB809_269 Depth=1
	s_or_b32 exec_lo, exec_lo, s21
	s_and_b32 s20, exec_lo, s26
	s_or_b32 s25, s20, s25
	s_andn2_b32 exec_lo, exec_lo, s25
	s_cbranch_execz .LBB809_299
.LBB809_269:                            ; =>This Inner Loop Header: Depth=1
	v_min_u32_e32 v0, s23, v86
	v_mov_b32_e32 v23, v14
	v_mov_b32_e32 v22, v13
	;; [unrolled: 1-line block ×4, first 2 shown]
	v_lshlrev_b32_e64 v0, v0, -1
	v_mov_b32_e32 v33, v16
	v_lshrrev_b64 v[4:5], v10, v[22:23]
	v_mov_b32_e32 v32, v15
	v_mov_b32_e32 v29, v20
	v_not_b32_e32 v87, v0
	v_mov_b32_e32 v28, v19
	v_mov_b32_e32 v8, v50
	;; [unrolled: 1-line block ×4, first 2 shown]
	v_and_b32_e32 v0, v4, v87
	v_mov_b32_e32 v4, v52
	v_mov_b32_e32 v5, v53
	;; [unrolled: 1-line block ×3, first 2 shown]
	ds_write_b32 v25, v1
	ds_write_b32 v54, v1
	v_and_b32_e32 v13, 1, v0
	v_lshlrev_b32_e32 v14, 30, v0
	v_lshlrev_b32_e32 v15, 29, v0
	;; [unrolled: 1-line block ×4, first 2 shown]
	v_add_co_u32 v13, s20, v13, -1
	v_cndmask_b32_e64 v17, 0, 1, s20
	v_not_b32_e32 v34, v14
	v_cmp_gt_i32_e64 s21, 0, v14
	v_not_b32_e32 v14, v15
	v_lshlrev_b32_e32 v19, 26, v0
	v_cmp_ne_u32_e64 s20, 0, v17
	v_ashrrev_i32_e32 v34, 31, v34
	v_lshlrev_b32_e32 v20, 25, v0
	v_ashrrev_i32_e32 v14, 31, v14
	v_lshlrev_b32_e32 v17, 24, v0
	v_xor_b32_e32 v13, s20, v13
	v_cmp_gt_i32_e64 s20, 0, v15
	v_not_b32_e32 v15, v16
	v_xor_b32_e32 v34, s21, v34
	v_cmp_gt_i32_e64 s21, 0, v16
	v_and_b32_e32 v13, exec_lo, v13
	v_not_b32_e32 v16, v18
	v_ashrrev_i32_e32 v15, 31, v15
	v_xor_b32_e32 v14, s20, v14
	v_cmp_gt_i32_e64 s20, 0, v18
	v_and_b32_e32 v13, v13, v34
	v_not_b32_e32 v18, v19
	v_ashrrev_i32_e32 v16, 31, v16
	v_xor_b32_e32 v15, s21, v15
	v_cmp_gt_i32_e64 s21, 0, v19
	v_and_b32_e32 v13, v13, v14
	;; [unrolled: 5-line block ×4, first 2 shown]
	v_ashrrev_i32_e32 v15, 31, v15
	v_xor_b32_e32 v14, s20, v14
	v_lshl_add_u32 v0, v0, 3, v69
	v_mov_b32_e32 v34, v38
	v_and_b32_e32 v13, v13, v18
	v_xor_b32_e32 v15, s21, v15
	v_mov_b32_e32 v35, v39
	ds_write_b32 v55, v1
	ds_write_b32 v64, v1
	;; [unrolled: 1-line block ×3, first 2 shown]
	v_and_b32_e32 v13, v13, v14
	ds_write_b32 v66, v1
	ds_write_b32 v67, v1
	;; [unrolled: 1-line block ×3, first 2 shown]
	s_waitcnt lgkmcnt(0)
	s_barrier
	v_and_b32_e32 v14, v13, v15
	v_lshlrev_b64 v[15:16], 2, v[0:1]
	buffer_gl0_inv
	; wave barrier
	v_mbcnt_lo_u32_b32 v0, v14, 0
	v_cmp_ne_u32_e64 s21, 0, v14
	v_add_co_u32 v13, null, v12, v15
	v_cmp_eq_u32_e64 s20, 0, v0
	v_add_co_u32 v13, null, v13, 32
	s_and_b32 s21, s21, s20
	s_and_saveexec_b32 s20, s21
; %bb.270:                              ;   in Loop: Header=BB809_269 Depth=1
	v_bcnt_u32_b32 v14, v14, 0
	ds_write_b32 v13, v14
; %bb.271:                              ;   in Loop: Header=BB809_269 Depth=1
	s_or_b32 exec_lo, exec_lo, s20
	v_lshrrev_b64 v[14:15], v10, v[32:33]
	; wave barrier
	v_and_b32_e32 v14, v14, v87
	v_and_b32_e32 v15, 1, v14
	v_lshlrev_b32_e32 v16, 30, v14
	v_lshlrev_b32_e32 v17, 29, v14
	;; [unrolled: 1-line block ×4, first 2 shown]
	v_add_co_u32 v15, s20, v15, -1
	v_cndmask_b32_e64 v19, 0, 1, s20
	v_not_b32_e32 v48, v16
	v_cmp_gt_i32_e64 s21, 0, v16
	v_not_b32_e32 v16, v17
	v_lshlrev_b32_e32 v38, 26, v14
	v_cmp_ne_u32_e64 s20, 0, v19
	v_ashrrev_i32_e32 v48, 31, v48
	v_lshlrev_b32_e32 v39, 25, v14
	v_ashrrev_i32_e32 v16, 31, v16
	v_lshlrev_b32_e32 v19, 24, v14
	v_xor_b32_e32 v15, s20, v15
	v_cmp_gt_i32_e64 s20, 0, v17
	v_not_b32_e32 v17, v18
	v_xor_b32_e32 v48, s21, v48
	v_cmp_gt_i32_e64 s21, 0, v18
	v_and_b32_e32 v15, exec_lo, v15
	v_not_b32_e32 v18, v20
	v_ashrrev_i32_e32 v17, 31, v17
	v_xor_b32_e32 v16, s20, v16
	v_cmp_gt_i32_e64 s20, 0, v20
	v_and_b32_e32 v15, v15, v48
	v_not_b32_e32 v20, v38
	v_ashrrev_i32_e32 v18, 31, v18
	v_xor_b32_e32 v17, s21, v17
	v_cmp_gt_i32_e64 s21, 0, v38
	v_and_b32_e32 v15, v15, v16
	;; [unrolled: 5-line block ×3, first 2 shown]
	v_not_b32_e32 v17, v19
	v_ashrrev_i32_e32 v16, 31, v16
	v_xor_b32_e32 v20, s21, v20
	v_lshl_add_u32 v14, v14, 3, v69
	v_and_b32_e32 v15, v15, v18
	v_cmp_gt_i32_e64 s21, 0, v19
	v_ashrrev_i32_e32 v17, 31, v17
	v_xor_b32_e32 v16, s20, v16
	v_lshl_add_u32 v18, v14, 2, v12
	v_and_b32_e32 v15, v15, v20
	v_xor_b32_e32 v17, s21, v17
	ds_read_b32 v14, v18 offset:32
	v_and_b32_e32 v15, v15, v16
	v_add_nc_u32_e32 v16, 32, v18
	; wave barrier
	v_and_b32_e32 v17, v15, v17
	v_mbcnt_lo_u32_b32 v15, v17, 0
	v_cmp_ne_u32_e64 s21, 0, v17
	v_cmp_eq_u32_e64 s20, 0, v15
	s_and_b32 s21, s21, s20
	s_and_saveexec_b32 s20, s21
	s_cbranch_execz .LBB809_273
; %bb.272:                              ;   in Loop: Header=BB809_269 Depth=1
	s_waitcnt lgkmcnt(0)
	v_bcnt_u32_b32 v17, v17, v14
	ds_write_b32 v16, v17
.LBB809_273:                            ;   in Loop: Header=BB809_269 Depth=1
	s_or_b32 exec_lo, exec_lo, s20
	v_lshrrev_b64 v[17:18], v10, v[30:31]
	; wave barrier
	v_and_b32_e32 v17, v17, v87
	v_and_b32_e32 v18, 1, v17
	v_lshlrev_b32_e32 v19, 30, v17
	v_lshlrev_b32_e32 v20, 29, v17
	;; [unrolled: 1-line block ×4, first 2 shown]
	v_add_co_u32 v18, s20, v18, -1
	v_cndmask_b32_e64 v39, 0, 1, s20
	v_not_b32_e32 v51, v19
	v_cmp_gt_i32_e64 s21, 0, v19
	v_not_b32_e32 v19, v20
	v_lshlrev_b32_e32 v49, 26, v17
	v_cmp_ne_u32_e64 s20, 0, v39
	v_ashrrev_i32_e32 v51, 31, v51
	v_lshlrev_b32_e32 v50, 25, v17
	v_ashrrev_i32_e32 v19, 31, v19
	v_lshlrev_b32_e32 v39, 24, v17
	v_xor_b32_e32 v18, s20, v18
	v_cmp_gt_i32_e64 s20, 0, v20
	v_not_b32_e32 v20, v38
	v_xor_b32_e32 v51, s21, v51
	v_cmp_gt_i32_e64 s21, 0, v38
	v_and_b32_e32 v18, exec_lo, v18
	v_not_b32_e32 v38, v48
	v_ashrrev_i32_e32 v20, 31, v20
	v_xor_b32_e32 v19, s20, v19
	v_cmp_gt_i32_e64 s20, 0, v48
	v_and_b32_e32 v18, v18, v51
	v_not_b32_e32 v48, v49
	v_ashrrev_i32_e32 v38, 31, v38
	v_xor_b32_e32 v20, s21, v20
	v_cmp_gt_i32_e64 s21, 0, v49
	v_and_b32_e32 v18, v18, v19
	;; [unrolled: 5-line block ×3, first 2 shown]
	v_not_b32_e32 v20, v39
	v_ashrrev_i32_e32 v19, 31, v19
	v_xor_b32_e32 v48, s21, v48
	v_lshl_add_u32 v17, v17, 3, v69
	v_and_b32_e32 v18, v18, v38
	v_cmp_gt_i32_e64 s21, 0, v39
	v_ashrrev_i32_e32 v20, 31, v20
	v_xor_b32_e32 v19, s20, v19
	v_lshl_add_u32 v38, v17, 2, v12
	v_and_b32_e32 v18, v18, v48
	v_xor_b32_e32 v20, s21, v20
	ds_read_b32 v17, v38 offset:32
	v_and_b32_e32 v18, v18, v19
	v_add_nc_u32_e32 v19, 32, v38
	; wave barrier
	v_and_b32_e32 v20, v18, v20
	v_mbcnt_lo_u32_b32 v18, v20, 0
	v_cmp_ne_u32_e64 s21, 0, v20
	v_cmp_eq_u32_e64 s20, 0, v18
	s_and_b32 s21, s21, s20
	s_and_saveexec_b32 s20, s21
	s_cbranch_execz .LBB809_275
; %bb.274:                              ;   in Loop: Header=BB809_269 Depth=1
	s_waitcnt lgkmcnt(0)
	v_bcnt_u32_b32 v20, v20, v17
	ds_write_b32 v19, v20
.LBB809_275:                            ;   in Loop: Header=BB809_269 Depth=1
	s_or_b32 exec_lo, exec_lo, s20
	v_lshrrev_b64 v[38:39], v10, v[28:29]
	; wave barrier
	v_and_b32_e32 v20, v38, v87
	v_and_b32_e32 v38, 1, v20
	v_lshlrev_b32_e32 v39, 30, v20
	v_lshlrev_b32_e32 v48, 29, v20
	;; [unrolled: 1-line block ×4, first 2 shown]
	v_add_co_u32 v38, s20, v38, -1
	v_cndmask_b32_e64 v50, 0, 1, s20
	v_not_b32_e32 v87, v39
	v_cmp_gt_i32_e64 s21, 0, v39
	v_not_b32_e32 v39, v48
	v_lshlrev_b32_e32 v52, 26, v20
	v_cmp_ne_u32_e64 s20, 0, v50
	v_ashrrev_i32_e32 v87, 31, v87
	v_lshlrev_b32_e32 v53, 25, v20
	v_ashrrev_i32_e32 v39, 31, v39
	v_lshlrev_b32_e32 v50, 24, v20
	v_xor_b32_e32 v38, s20, v38
	v_cmp_gt_i32_e64 s20, 0, v48
	v_not_b32_e32 v48, v49
	v_xor_b32_e32 v87, s21, v87
	v_cmp_gt_i32_e64 s21, 0, v49
	v_and_b32_e32 v38, exec_lo, v38
	v_not_b32_e32 v49, v51
	v_ashrrev_i32_e32 v48, 31, v48
	v_xor_b32_e32 v39, s20, v39
	v_cmp_gt_i32_e64 s20, 0, v51
	v_and_b32_e32 v38, v38, v87
	v_not_b32_e32 v51, v52
	v_ashrrev_i32_e32 v49, 31, v49
	v_xor_b32_e32 v48, s21, v48
	v_cmp_gt_i32_e64 s21, 0, v52
	v_and_b32_e32 v38, v38, v39
	;; [unrolled: 5-line block ×3, first 2 shown]
	v_not_b32_e32 v48, v50
	v_ashrrev_i32_e32 v39, 31, v39
	v_xor_b32_e32 v51, s21, v51
	v_lshl_add_u32 v20, v20, 3, v69
	v_and_b32_e32 v38, v38, v49
	v_cmp_gt_i32_e64 s21, 0, v50
	v_ashrrev_i32_e32 v48, 31, v48
	v_xor_b32_e32 v39, s20, v39
	v_lshl_add_u32 v49, v20, 2, v12
	v_and_b32_e32 v38, v38, v51
	v_xor_b32_e32 v48, s21, v48
	ds_read_b32 v20, v49 offset:32
	v_and_b32_e32 v38, v38, v39
	v_add_nc_u32_e32 v39, 32, v49
	; wave barrier
	v_and_b32_e32 v48, v38, v48
	v_mbcnt_lo_u32_b32 v38, v48, 0
	v_cmp_ne_u32_e64 s21, 0, v48
	v_cmp_eq_u32_e64 s20, 0, v38
	s_and_b32 s21, s21, s20
	s_and_saveexec_b32 s20, s21
	s_cbranch_execz .LBB809_277
; %bb.276:                              ;   in Loop: Header=BB809_269 Depth=1
	s_waitcnt lgkmcnt(0)
	v_bcnt_u32_b32 v48, v48, v20
	ds_write_b32 v39, v48
.LBB809_277:                            ;   in Loop: Header=BB809_269 Depth=1
	s_or_b32 exec_lo, exec_lo, s20
	; wave barrier
	s_waitcnt lgkmcnt(0)
	s_barrier
	buffer_gl0_inv
	ds_read_b32 v49, v25
	ds_read_b32 v50, v54
	;; [unrolled: 1-line block ×8, first 2 shown]
	s_waitcnt lgkmcnt(6)
	v_add_nc_u32_e32 v97, v50, v49
	s_waitcnt lgkmcnt(4)
	v_add3_u32 v97, v97, v51, v52
	s_waitcnt lgkmcnt(2)
	v_add3_u32 v97, v97, v53, v87
	;; [unrolled: 2-line block ×3, first 2 shown]
	v_mov_b32_dpp v97, v96 row_shr:1 row_mask:0xf bank_mask:0xf
	v_cndmask_b32_e64 v97, v97, 0, vcc_lo
	v_add_nc_u32_e32 v96, v97, v96
	v_mov_b32_dpp v97, v96 row_shr:2 row_mask:0xf bank_mask:0xf
	v_cndmask_b32_e64 v97, 0, v97, s4
	v_add_nc_u32_e32 v96, v96, v97
	v_mov_b32_dpp v97, v96 row_shr:4 row_mask:0xf bank_mask:0xf
	v_cndmask_b32_e64 v97, 0, v97, s5
	;; [unrolled: 3-line block ×3, first 2 shown]
	v_add_nc_u32_e32 v96, v96, v97
	ds_swizzle_b32 v97, v96 offset:swizzle(BROADCAST,32,15)
	s_waitcnt lgkmcnt(0)
	v_cndmask_b32_e64 v97, v97, 0, s10
	v_add_nc_u32_e32 v96, v96, v97
	s_and_saveexec_b32 s20, s11
; %bb.278:                              ;   in Loop: Header=BB809_269 Depth=1
	ds_write_b32 v71, v96
; %bb.279:                              ;   in Loop: Header=BB809_269 Depth=1
	s_or_b32 exec_lo, exec_lo, s20
	s_waitcnt lgkmcnt(0)
	s_barrier
	buffer_gl0_inv
	s_and_saveexec_b32 s20, s14
	s_cbranch_execz .LBB809_281
; %bb.280:                              ;   in Loop: Header=BB809_269 Depth=1
	ds_read_b32 v97, v80
	s_waitcnt lgkmcnt(0)
	v_mov_b32_dpp v98, v97 row_shr:1 row_mask:0xf bank_mask:0xf
	v_cndmask_b32_e64 v98, v98, 0, s17
	v_add_nc_u32_e32 v97, v98, v97
	v_mov_b32_dpp v98, v97 row_shr:2 row_mask:0xf bank_mask:0xf
	v_cndmask_b32_e64 v98, 0, v98, s18
	v_add_nc_u32_e32 v97, v97, v98
	;; [unrolled: 3-line block ×3, first 2 shown]
	ds_write_b32 v80, v97
.LBB809_281:                            ;   in Loop: Header=BB809_269 Depth=1
	s_or_b32 exec_lo, exec_lo, s20
	v_mov_b32_e32 v97, 0
	s_waitcnt lgkmcnt(0)
	s_barrier
	buffer_gl0_inv
	s_and_saveexec_b32 s20, s15
; %bb.282:                              ;   in Loop: Header=BB809_269 Depth=1
	ds_read_b32 v97, v82
; %bb.283:                              ;   in Loop: Header=BB809_269 Depth=1
	s_or_b32 exec_lo, exec_lo, s20
	s_waitcnt lgkmcnt(0)
	v_add_nc_u32_e32 v96, v97, v96
	v_add_nc_u32_e32 v10, 8, v10
	s_mov_b32 s26, -1
	s_mov_b32 s21, exec_lo
	ds_bpermute_b32 v96, v70, v96
	s_waitcnt lgkmcnt(0)
	v_cndmask_b32_e64 v96, v96, v97, s6
	v_cndmask_b32_e64 v96, v96, 0, s16
	v_add_nc_u32_e32 v49, v96, v49
	v_add_nc_u32_e32 v50, v49, v50
	ds_write_b32 v25, v96
	ds_write_b32 v54, v49
	;; [unrolled: 1-line block ×3, first 2 shown]
	v_add_nc_u32_e32 v51, v50, v51
	v_add_nc_u32_e32 v52, v51, v52
	;; [unrolled: 1-line block ×5, first 2 shown]
	ds_write_b32 v64, v51
	ds_write_b32 v65, v52
	;; [unrolled: 1-line block ×5, first 2 shown]
	s_waitcnt lgkmcnt(0)
	s_barrier
	buffer_gl0_inv
	ds_read_b32 v13, v13
	ds_read_b32 v48, v16
	;; [unrolled: 1-line block ×4, first 2 shown]
	v_mov_b32_e32 v16, v1
	v_mov_b32_e32 v19, v1
	;; [unrolled: 1-line block ×3, first 2 shown]
	s_waitcnt lgkmcnt(0)
                                        ; implicit-def: $vgpr52_vgpr53
	v_add_nc_u32_e32 v0, v13, v0
	v_add3_u32 v15, v15, v14, v48
	v_add3_u32 v18, v18, v17, v49
	;; [unrolled: 1-line block ×3, first 2 shown]
                                        ; implicit-def: $vgpr50_vgpr51
                                        ; implicit-def: $vgpr48_vgpr49
	v_lshlrev_b64 v[13:14], 3, v[0:1]
	v_lshlrev_b64 v[14:15], 3, v[15:16]
	v_lshlrev_b64 v[15:16], 3, v[18:19]
	v_lshlrev_b64 v[16:17], 3, v[38:39]
                                        ; implicit-def: $vgpr38_vgpr39
	v_add_co_u32 v0, null, v12, v13
	v_add_co_u32 v87, null, v12, v14
	;; [unrolled: 1-line block ×4, first 2 shown]
                                        ; implicit-def: $vgpr19_vgpr20
	v_cmpx_lt_u32_e64 v10, v11
	s_cbranch_execz .LBB809_268
; %bb.284:                              ;   in Loop: Header=BB809_269 Depth=1
	s_barrier
	buffer_gl0_inv
	ds_write_b64 v0, v[22:23]
	ds_write_b64 v87, v[32:33]
	ds_write_b64 v96, v[30:31]
	ds_write_b64 v97, v[28:29]
	s_waitcnt lgkmcnt(0)
	s_barrier
	buffer_gl0_inv
	ds_read_b64 v[13:14], v81
	ds_read_b64 v[15:16], v83
	ds_read_b64 v[17:18], v84
	ds_read_b64 v[19:20], v85
	s_waitcnt lgkmcnt(0)
	s_barrier
	buffer_gl0_inv
	ds_write_b64 v0, v[8:9]
	ds_write_b64 v87, v[4:5]
	;; [unrolled: 1-line block ×4, first 2 shown]
	s_waitcnt lgkmcnt(0)
	s_barrier
	buffer_gl0_inv
	ds_read_b64 v[50:51], v81
	ds_read_b64 v[52:53], v83
	;; [unrolled: 1-line block ×4, first 2 shown]
	v_add_nc_u32_e32 v86, -8, v86
	s_xor_b32 s26, exec_lo, -1
	s_waitcnt lgkmcnt(0)
	s_barrier
	buffer_gl0_inv
	s_branch .LBB809_268
.LBB809_285:
	flat_load_dwordx2 v[86:87], v[0:1]
	s_or_b32 exec_lo, exec_lo, s15
                                        ; implicit-def: $vgpr98_vgpr99
	s_and_saveexec_b32 s15, s4
	s_cbranch_execz .LBB809_163
.LBB809_286:
	flat_load_dwordx2 v[98:99], v[0:1] offset:256
	s_or_b32 exec_lo, exec_lo, s15
                                        ; implicit-def: $vgpr96_vgpr97
	s_and_saveexec_b32 s4, s5
	s_cbranch_execz .LBB809_164
.LBB809_287:
	flat_load_dwordx2 v[96:97], v[0:1] offset:512
	s_or_b32 exec_lo, exec_lo, s4
                                        ; implicit-def: $vgpr100_vgpr101
	s_and_saveexec_b32 s4, s6
	s_cbranch_execz .LBB809_165
.LBB809_288:
	flat_load_dwordx2 v[100:101], v[0:1] offset:768
	s_or_b32 exec_lo, exec_lo, s4
                                        ; implicit-def: $vgpr102_vgpr103
	s_and_saveexec_b32 s4, s7
	s_cbranch_execz .LBB809_166
.LBB809_289:
	flat_load_dwordx2 v[102:103], v[0:1] offset:1024
	s_or_b32 exec_lo, exec_lo, s4
                                        ; implicit-def: $vgpr112_vgpr113
	s_and_saveexec_b32 s4, s10
	s_cbranch_execz .LBB809_167
.LBB809_290:
	flat_load_dwordx2 v[112:113], v[0:1] offset:1280
	s_or_b32 exec_lo, exec_lo, s4
                                        ; implicit-def: $vgpr114_vgpr115
	s_and_saveexec_b32 s4, s11
	s_cbranch_execz .LBB809_168
.LBB809_291:
	flat_load_dwordx2 v[114:115], v[0:1] offset:1536
	s_or_b32 exec_lo, exec_lo, s4
                                        ; implicit-def: $vgpr116_vgpr117
	s_and_saveexec_b32 s4, s14
	s_cbranch_execnz .LBB809_169
	s_branch .LBB809_170
.LBB809_292:
	flat_store_dwordx2 v[0:1], v[20:21]
	s_or_b32 exec_lo, exec_lo, s15
	s_and_saveexec_b32 s15, s4
	s_cbranch_execz .LBB809_244
.LBB809_293:
	v_add_co_u32 v2, vcc_lo, 0x800, v0
	v_add_co_ci_u32_e64 v3, null, 0, v1, vcc_lo
	flat_store_dwordx2 v[2:3], v[22:23]
	s_or_b32 exec_lo, exec_lo, s15
	s_and_saveexec_b32 s4, s5
	s_cbranch_execz .LBB809_245
.LBB809_294:
	v_add_co_u32 v2, vcc_lo, 0x1000, v0
	v_add_co_ci_u32_e64 v3, null, 0, v1, vcc_lo
	flat_store_dwordx2 v[2:3], v[16:17]
	s_or_b32 exec_lo, exec_lo, s4
	s_and_saveexec_b32 s4, s6
	s_cbranch_execz .LBB809_246
.LBB809_295:
	v_add_co_u32 v2, vcc_lo, 0x1800, v0
	v_add_co_ci_u32_e64 v3, null, 0, v1, vcc_lo
	flat_store_dwordx2 v[2:3], v[18:19]
	s_or_b32 exec_lo, exec_lo, s4
	s_and_saveexec_b32 s4, s7
	s_cbranch_execz .LBB809_247
.LBB809_296:
	v_add_co_u32 v2, vcc_lo, 0x2000, v0
	v_add_co_ci_u32_e64 v3, null, 0, v1, vcc_lo
	flat_store_dwordx2 v[2:3], v[12:13]
	s_or_b32 exec_lo, exec_lo, s4
	s_and_saveexec_b32 s4, s10
	s_cbranch_execz .LBB809_248
.LBB809_297:
	v_add_co_u32 v2, vcc_lo, 0x2800, v0
	v_add_co_ci_u32_e64 v3, null, 0, v1, vcc_lo
	flat_store_dwordx2 v[2:3], v[14:15]
	s_or_b32 exec_lo, exec_lo, s4
	s_and_saveexec_b32 s4, s11
	s_cbranch_execz .LBB809_249
.LBB809_298:
	v_add_co_u32 v2, vcc_lo, 0x3000, v0
	v_add_co_ci_u32_e64 v3, null, 0, v1, vcc_lo
	flat_store_dwordx2 v[2:3], v[8:9]
	s_or_b32 exec_lo, exec_lo, s4
	s_and_saveexec_b32 s4, s14
	s_cbranch_execnz .LBB809_250
	s_branch .LBB809_251
.LBB809_299:
	s_or_b32 exec_lo, exec_lo, s25
	v_lshl_add_u32 v1, v21, 3, v12
	s_barrier
	buffer_gl0_inv
	ds_write_b64 v0, v[22:23]
	ds_write_b64 v87, v[32:33]
	;; [unrolled: 1-line block ×4, first 2 shown]
	s_waitcnt lgkmcnt(0)
	s_barrier
	buffer_gl0_inv
	ds_read2st64_b64 v[20:23], v1 offset1:4
	ds_read2st64_b64 v[16:19], v1 offset0:8 offset1:12
	s_waitcnt lgkmcnt(0)
	s_barrier
	buffer_gl0_inv
	ds_write_b64 v0, v[8:9]
	ds_write_b64 v87, v[4:5]
	;; [unrolled: 1-line block ×4, first 2 shown]
	s_waitcnt lgkmcnt(0)
	s_barrier
	buffer_gl0_inv
	ds_read2st64_b64 v[12:15], v1 offset1:4
	ds_read2st64_b64 v[8:11], v1 offset0:8 offset1:12
	v_mov_b32_e32 v25, 0
	v_add_co_u32 v2, vcc_lo, v2, v26
	v_add_co_ci_u32_e64 v3, null, v3, v27, vcc_lo
	v_lshlrev_b64 v[0:1], 3, v[24:25]
	s_waitcnt lgkmcnt(0)
	s_barrier
	buffer_gl0_inv
	v_add_co_u32 v2, vcc_lo, v2, v0
	v_add_co_ci_u32_e64 v3, null, v3, v1, vcc_lo
	v_cmp_lt_u32_e32 vcc_lo, v24, v119
	s_and_saveexec_b32 s4, vcc_lo
	s_cbranch_execz .LBB809_301
; %bb.300:
	v_xor_b32_e32 v21, 0x80000000, v21
	flat_store_dwordx2 v[2:3], v[20:21]
.LBB809_301:
	s_or_b32 exec_lo, exec_lo, s4
	v_add_nc_u32_e32 v4, 0x100, v24
	v_cmp_lt_u32_e64 s4, v4, v119
	s_and_saveexec_b32 s6, s4
	s_cbranch_execz .LBB809_303
; %bb.302:
	v_add_co_u32 v4, s5, 0x800, v2
	v_xor_b32_e32 v23, 0x80000000, v23
	v_add_co_ci_u32_e64 v5, null, 0, v3, s5
	flat_store_dwordx2 v[4:5], v[22:23]
.LBB809_303:
	s_or_b32 exec_lo, exec_lo, s6
	v_add_nc_u32_e32 v4, 0x200, v24
	v_cmp_lt_u32_e64 s5, v4, v119
	s_and_saveexec_b32 s7, s5
	s_cbranch_execz .LBB809_305
; %bb.304:
	v_add_co_u32 v4, s6, 0x1000, v2
	v_xor_b32_e32 v17, 0x80000000, v17
	v_add_co_ci_u32_e64 v5, null, 0, v3, s6
	flat_store_dwordx2 v[4:5], v[16:17]
.LBB809_305:
	s_or_b32 exec_lo, exec_lo, s7
	v_add_nc_u32_e32 v4, 0x300, v24
	v_cmp_lt_u32_e64 s6, v4, v119
	s_and_saveexec_b32 s10, s6
	s_cbranch_execz .LBB809_307
; %bb.306:
	v_add_co_u32 v2, s7, 0x1800, v2
	v_xor_b32_e32 v19, 0x80000000, v19
	v_add_co_ci_u32_e64 v3, null, 0, v3, s7
	flat_store_dwordx2 v[2:3], v[18:19]
.LBB809_307:
	s_or_b32 exec_lo, exec_lo, s10
	v_add_co_u32 v2, s7, v6, v26
	v_add_co_ci_u32_e64 v3, null, v7, v27, s7
	v_add_co_u32 v0, s7, v2, v0
	v_add_co_ci_u32_e64 v1, null, v3, v1, s7
	s_and_saveexec_b32 s7, vcc_lo
	s_cbranch_execnz .LBB809_340
; %bb.308:
	s_or_b32 exec_lo, exec_lo, s7
	s_and_saveexec_b32 s7, s4
	s_cbranch_execnz .LBB809_341
.LBB809_309:
	s_or_b32 exec_lo, exec_lo, s7
	s_and_saveexec_b32 s4, s5
	s_cbranch_execnz .LBB809_342
.LBB809_310:
	s_or_b32 exec_lo, exec_lo, s4
	s_and_saveexec_b32 s4, s6
	s_cbranch_execz .LBB809_312
.LBB809_311:
	v_add_co_u32 v0, vcc_lo, 0x1800, v0
	v_add_co_ci_u32_e64 v1, null, 0, v1, vcc_lo
	flat_store_dwordx2 v[0:1], v[10:11]
.LBB809_312:
	s_or_b32 exec_lo, exec_lo, s4
                                        ; implicit-def: $vgpr119
                                        ; implicit-def: $vgpr0
                                        ; implicit-def: $vgpr1
                                        ; implicit-def: $vgpr2
                                        ; implicit-def: $vgpr3
                                        ; implicit-def: $vgpr4
                                        ; implicit-def: $vgpr5
                                        ; implicit-def: $vgpr6
                                        ; implicit-def: $vgpr7
                                        ; implicit-def: $vgpr8
                                        ; implicit-def: $vgpr10
                                        ; implicit-def: $vgpr11
                                        ; implicit-def: $vgpr12
                                        ; implicit-def: $vgpr13
                                        ; implicit-def: $vgpr14
                                        ; implicit-def: $vgpr21
                                        ; implicit-def: $vgpr22
.LBB809_313:
	s_andn2_saveexec_b32 s4, s22
	s_cbranch_execz .LBB809_372
; %bb.314:
	s_load_dwordx2 s[4:5], s[8:9], 0x0
	v_mov_b32_e32 v9, 0
	v_lshlrev_b64 v[17:18], 3, v[8:9]
	s_waitcnt lgkmcnt(0)
	s_cmp_lt_u32 s13, s5
	s_cselect_b32 s5, 14, 20
	s_add_u32 s6, s8, s5
	s_addc_u32 s7, s9, 0
	s_cmp_lt_u32 s12, s4
	global_load_ushort v15, v9, s[6:7]
	s_cselect_b32 s4, 12, 18
	s_add_u32 s4, s8, s4
	s_addc_u32 s5, s9, 0
	global_load_ushort v16, v9, s[4:5]
	s_mov_b32 s4, exec_lo
	s_waitcnt vmcnt(1)
	v_mad_u32_u24 v13, v14, v15, v13
	s_waitcnt vmcnt(0)
	v_mad_u64_u32 v[19:20], null, v13, v16, v[21:22]
	v_cmpx_lt_u32_e32 0x100, v119
	s_xor_b32 s18, exec_lo, s4
	s_cbranch_execz .LBB809_352
; %bb.315:
	v_lshlrev_b32_e32 v8, 1, v19
	v_add_co_u32 v15, vcc_lo, v0, v17
	v_lshlrev_b32_e32 v20, 3, v22
	v_add_co_ci_u32_e64 v16, null, v1, v18, vcc_lo
	v_and_b32_e32 v8, 0xffffffc0, v8
	v_mov_b32_e32 v13, -1
	v_bfrev_b32_e32 v14, -2
	v_lshlrev_b64 v[0:1], 3, v[8:9]
	v_add_co_u32 v9, vcc_lo, v15, v20
	v_add_co_ci_u32_e64 v15, null, 0, v16, vcc_lo
	v_or_b32_e32 v23, v22, v8
	v_add_co_u32 v8, vcc_lo, v9, v0
	v_add_co_ci_u32_e64 v9, null, v15, v1, vcc_lo
	v_cmp_lt_u32_e32 vcc_lo, v23, v119
	v_mov_b32_e32 v15, v13
	v_mov_b32_e32 v16, v14
	s_and_saveexec_b32 s4, vcc_lo
	s_cbranch_execz .LBB809_317
; %bb.316:
	flat_load_dwordx2 v[24:25], v[8:9]
	v_mov_b32_e32 v26, v13
	v_mov_b32_e32 v27, v14
	s_waitcnt vmcnt(0) lgkmcnt(0)
	v_mov_b32_e32 v13, v24
	v_mov_b32_e32 v14, v25
	v_mov_b32_e32 v15, v26
	v_mov_b32_e32 v16, v27
.LBB809_317:
	s_or_b32 exec_lo, exec_lo, s4
	v_or_b32_e32 v23, 32, v23
	v_cmp_lt_u32_e64 s4, v23, v119
	s_and_saveexec_b32 s5, s4
	s_cbranch_execz .LBB809_319
; %bb.318:
	flat_load_dwordx2 v[15:16], v[8:9] offset:256
.LBB809_319:
	s_or_b32 exec_lo, exec_lo, s5
	v_add_co_u32 v4, s5, v4, v17
	v_add_co_ci_u32_e64 v5, null, v5, v18, s5
	v_mov_b32_e32 v28, 0
	v_add_co_u32 v4, s5, v4, v20
	v_add_co_ci_u32_e64 v5, null, 0, v5, s5
	v_mov_b32_e32 v26, 0
	v_add_co_u32 v0, s5, v4, v0
	v_mov_b32_e32 v29, 0
	v_mov_b32_e32 v27, 0
	v_add_co_ci_u32_e64 v1, null, v5, v1, s5
	s_and_saveexec_b32 s5, vcc_lo
	s_cbranch_execz .LBB809_321
; %bb.320:
	flat_load_dwordx2 v[26:27], v[0:1]
.LBB809_321:
	s_or_b32 exec_lo, exec_lo, s5
	s_and_saveexec_b32 s5, s4
	s_cbranch_execz .LBB809_323
; %bb.322:
	flat_load_dwordx2 v[28:29], v[0:1] offset:256
.LBB809_323:
	s_or_b32 exec_lo, exec_lo, s5
	v_lshl_add_u32 v0, v21, 5, v12
	v_and_b32_e32 v1, 0x3e0, v21
	v_and_b32_e32 v4, 15, v22
	s_getpc_b64 s[4:5]
	s_add_u32 s4, s4, _ZN7rocprim17ROCPRIM_400000_NS16block_radix_sortIlLj256ELj2ElLj1ELj1ELj8ELNS0_26block_radix_rank_algorithmE2ELNS0_18block_padding_hintE2ELNS0_4arch9wavefront6targetE0EE19radix_bits_per_passE@rel32@lo+4
	s_addc_u32 s5, s5, _ZN7rocprim17ROCPRIM_400000_NS16block_radix_sortIlLj256ELj2ElLj1ELj1ELj8ELNS0_26block_radix_rank_algorithmE2ELNS0_18block_padding_hintE2ELNS0_4arch9wavefront6targetE0EE19radix_bits_per_passE@rel32@hi+12
	v_sub_co_u32 v5, s6, v22, 1
	v_add_nc_u32_e32 v20, 32, v0
	v_add_nc_u32_e32 v30, 36, v0
	;; [unrolled: 1-line block ×8, first 2 shown]
	v_min_u32_e32 v0, 0xe0, v1
	s_load_dword s19, s[4:5], 0x0
	v_cmp_eq_u32_e32 vcc_lo, 0, v4
	v_cmp_lt_u32_e64 s4, 1, v4
	v_cmp_lt_u32_e64 s5, 3, v4
	v_or_b32_e32 v0, 31, v0
	v_cmp_lt_u32_e64 s7, 7, v4
	v_lshlrev_b32_e32 v4, 1, v21
	v_and_b32_e32 v1, 16, v22
	v_cmp_gt_i32_e64 s10, 0, v5
	v_cmp_eq_u32_e64 s9, v21, v0
	v_lshrrev_b32_e32 v0, 3, v21
	v_and_or_b32 v4, 0x7c0, v4, v22
	v_cmp_eq_u32_e64 s8, 0, v1
	v_cndmask_b32_e64 v1, v5, v22, s10
	v_and_b32_e32 v5, 7, v22
	v_and_b32_e32 v0, 0x7c, v0
	v_lshl_add_u32 v49, v4, 3, v12
	v_xor_b32_e32 v14, 0x80000000, v14
	s_waitcnt vmcnt(0) lgkmcnt(0)
	v_xor_b32_e32 v16, 0x80000000, v16
	v_lshrrev_b32_e32 v37, 5, v19
	v_add_nc_u32_e32 v39, v12, v0
	v_cmp_gt_u32_e64 s10, 8, v21
	v_cmp_lt_u32_e64 s11, 31, v21
	v_lshlrev_b32_e32 v38, 2, v1
	v_cmp_eq_u32_e64 s12, 0, v21
	v_mov_b32_e32 v1, 0
	v_lshl_add_u32 v48, v21, 2, v12
	v_cmp_eq_u32_e64 s13, 0, v5
	v_cmp_lt_u32_e64 s14, 1, v5
	v_cmp_lt_u32_e64 s15, 3, v5
	v_add_nc_u32_e32 v50, -4, v39
	v_add_nc_u32_e32 v51, 0x100, v49
	v_sub_nc_u32_e32 v52, v11, v10
	s_mov_b32 s20, 0
	s_waitcnt_vscnt null, 0x0
	s_barrier
	buffer_gl0_inv
	s_branch .LBB809_325
.LBB809_324:                            ;   in Loop: Header=BB809_325 Depth=1
	s_or_b32 exec_lo, exec_lo, s17
	s_and_b32 s16, exec_lo, s21
	s_or_b32 s20, s16, s20
	s_andn2_b32 exec_lo, exec_lo, s20
	s_cbranch_execz .LBB809_343
.LBB809_325:                            ; =>This Inner Loop Header: Depth=1
	v_min_u32_e32 v0, s19, v52
	v_mov_b32_e32 v4, v13
	v_mov_b32_e32 v5, v14
	ds_write_b32 v20, v1
	ds_write_b32 v30, v1
	;; [unrolled: 1-line block ×3, first 2 shown]
	v_lshlrev_b32_e64 v0, v0, -1
	ds_write_b32 v32, v1
	ds_write_b32 v33, v1
	v_lshrrev_b64 v[8:9], v10, v[4:5]
	ds_write_b32 v34, v1
	ds_write_b32 v35, v1
	;; [unrolled: 1-line block ×3, first 2 shown]
	v_not_b32_e32 v14, v0
	s_waitcnt lgkmcnt(0)
	s_barrier
	buffer_gl0_inv
	v_and_b32_e32 v0, v8, v14
	v_mov_b32_e32 v8, v15
	v_mov_b32_e32 v9, v16
	; wave barrier
	v_and_b32_e32 v13, 1, v0
	v_lshlrev_b32_e32 v15, 30, v0
	v_lshlrev_b32_e32 v16, 29, v0
	;; [unrolled: 1-line block ×4, first 2 shown]
	v_add_co_u32 v13, s16, v13, -1
	v_cndmask_b32_e64 v23, 0, 1, s16
	v_not_b32_e32 v54, v15
	v_cmp_gt_i32_e64 s17, 0, v15
	v_not_b32_e32 v15, v16
	v_lshlrev_b32_e32 v25, 26, v0
	v_cmp_ne_u32_e64 s16, 0, v23
	v_ashrrev_i32_e32 v23, 31, v54
	v_lshlrev_b32_e32 v53, 25, v0
	v_ashrrev_i32_e32 v15, 31, v15
	v_lshlrev_b32_e32 v55, 24, v0
	v_xor_b32_e32 v13, s16, v13
	v_cmp_gt_i32_e64 s16, 0, v16
	v_not_b32_e32 v16, v22
	v_xor_b32_e32 v23, s17, v23
	v_cmp_gt_i32_e64 s17, 0, v22
	v_and_b32_e32 v13, exec_lo, v13
	v_not_b32_e32 v22, v24
	v_ashrrev_i32_e32 v16, 31, v16
	v_xor_b32_e32 v15, s16, v15
	v_cmp_gt_i32_e64 s16, 0, v24
	v_and_b32_e32 v13, v13, v23
	v_not_b32_e32 v23, v25
	v_ashrrev_i32_e32 v22, 31, v22
	v_xor_b32_e32 v16, s17, v16
	v_cmp_gt_i32_e64 s17, 0, v25
	v_and_b32_e32 v13, v13, v15
	;; [unrolled: 5-line block ×4, first 2 shown]
	v_ashrrev_i32_e32 v16, 31, v16
	v_xor_b32_e32 v15, s16, v15
	v_lshl_add_u32 v0, v0, 3, v37
	v_mov_b32_e32 v22, v28
	v_and_b32_e32 v13, v13, v24
	v_xor_b32_e32 v16, s17, v16
	v_mov_b32_e32 v24, v26
	v_mov_b32_e32 v25, v27
	v_lshlrev_b64 v[26:27], 2, v[0:1]
	v_and_b32_e32 v13, v13, v15
	v_mov_b32_e32 v23, v29
	v_and_b32_e32 v15, v13, v16
	v_add_co_u32 v13, null, v12, v26
	v_mbcnt_lo_u32_b32 v0, v15, 0
	v_cmp_ne_u32_e64 s17, 0, v15
	v_add_co_u32 v13, null, v13, 32
	v_cmp_eq_u32_e64 s16, 0, v0
	s_and_b32 s17, s17, s16
	s_and_saveexec_b32 s16, s17
; %bb.326:                              ;   in Loop: Header=BB809_325 Depth=1
	v_bcnt_u32_b32 v15, v15, 0
	ds_write_b32 v13, v15
; %bb.327:                              ;   in Loop: Header=BB809_325 Depth=1
	s_or_b32 exec_lo, exec_lo, s16
	v_lshrrev_b64 v[15:16], v10, v[8:9]
	; wave barrier
	v_and_b32_e32 v14, v15, v14
	v_and_b32_e32 v15, 1, v14
	v_lshlrev_b32_e32 v16, 30, v14
	v_lshlrev_b32_e32 v26, 29, v14
	v_lshlrev_b32_e32 v27, 28, v14
	v_lshlrev_b32_e32 v29, 27, v14
	v_add_co_u32 v15, s16, v15, -1
	v_cndmask_b32_e64 v28, 0, 1, s16
	v_not_b32_e32 v55, v16
	v_cmp_gt_i32_e64 s17, 0, v16
	v_not_b32_e32 v16, v26
	v_lshlrev_b32_e32 v53, 26, v14
	v_cmp_ne_u32_e64 s16, 0, v28
	v_ashrrev_i32_e32 v55, 31, v55
	v_lshlrev_b32_e32 v54, 25, v14
	v_ashrrev_i32_e32 v16, 31, v16
	v_lshlrev_b32_e32 v28, 24, v14
	v_xor_b32_e32 v15, s16, v15
	v_cmp_gt_i32_e64 s16, 0, v26
	v_not_b32_e32 v26, v27
	v_xor_b32_e32 v55, s17, v55
	v_cmp_gt_i32_e64 s17, 0, v27
	v_and_b32_e32 v15, exec_lo, v15
	v_not_b32_e32 v27, v29
	v_ashrrev_i32_e32 v26, 31, v26
	v_xor_b32_e32 v16, s16, v16
	v_cmp_gt_i32_e64 s16, 0, v29
	v_and_b32_e32 v15, v15, v55
	v_not_b32_e32 v29, v53
	v_ashrrev_i32_e32 v27, 31, v27
	v_xor_b32_e32 v26, s17, v26
	v_cmp_gt_i32_e64 s17, 0, v53
	v_and_b32_e32 v15, v15, v16
	;; [unrolled: 5-line block ×3, first 2 shown]
	v_not_b32_e32 v26, v28
	v_ashrrev_i32_e32 v16, 31, v16
	v_xor_b32_e32 v29, s17, v29
	v_lshl_add_u32 v14, v14, 3, v37
	v_and_b32_e32 v15, v15, v27
	v_cmp_gt_i32_e64 s17, 0, v28
	v_ashrrev_i32_e32 v26, 31, v26
	v_xor_b32_e32 v16, s16, v16
	v_lshl_add_u32 v27, v14, 2, v12
	v_and_b32_e32 v15, v15, v29
	v_xor_b32_e32 v26, s17, v26
	ds_read_b32 v14, v27 offset:32
	v_and_b32_e32 v15, v15, v16
	v_add_nc_u32_e32 v16, 32, v27
	; wave barrier
	v_and_b32_e32 v26, v15, v26
	v_mbcnt_lo_u32_b32 v15, v26, 0
	v_cmp_ne_u32_e64 s17, 0, v26
	v_cmp_eq_u32_e64 s16, 0, v15
	s_and_b32 s17, s17, s16
	s_and_saveexec_b32 s16, s17
	s_cbranch_execz .LBB809_329
; %bb.328:                              ;   in Loop: Header=BB809_325 Depth=1
	s_waitcnt lgkmcnt(0)
	v_bcnt_u32_b32 v26, v26, v14
	ds_write_b32 v16, v26
.LBB809_329:                            ;   in Loop: Header=BB809_325 Depth=1
	s_or_b32 exec_lo, exec_lo, s16
	; wave barrier
	s_waitcnt lgkmcnt(0)
	s_barrier
	buffer_gl0_inv
	ds_read_b32 v27, v20
	ds_read_b32 v28, v30
	;; [unrolled: 1-line block ×8, first 2 shown]
	s_waitcnt lgkmcnt(6)
	v_add_nc_u32_e32 v65, v28, v27
	s_waitcnt lgkmcnt(4)
	v_add3_u32 v65, v65, v29, v53
	s_waitcnt lgkmcnt(2)
	v_add3_u32 v65, v65, v54, v55
	;; [unrolled: 2-line block ×3, first 2 shown]
	v_mov_b32_dpp v65, v64 row_shr:1 row_mask:0xf bank_mask:0xf
	v_cndmask_b32_e64 v65, v65, 0, vcc_lo
	v_add_nc_u32_e32 v64, v65, v64
	v_mov_b32_dpp v65, v64 row_shr:2 row_mask:0xf bank_mask:0xf
	v_cndmask_b32_e64 v65, 0, v65, s4
	v_add_nc_u32_e32 v64, v64, v65
	v_mov_b32_dpp v65, v64 row_shr:4 row_mask:0xf bank_mask:0xf
	v_cndmask_b32_e64 v65, 0, v65, s5
	;; [unrolled: 3-line block ×3, first 2 shown]
	v_add_nc_u32_e32 v64, v64, v65
	ds_swizzle_b32 v65, v64 offset:swizzle(BROADCAST,32,15)
	s_waitcnt lgkmcnt(0)
	v_cndmask_b32_e64 v65, v65, 0, s8
	v_add_nc_u32_e32 v64, v64, v65
	s_and_saveexec_b32 s16, s9
; %bb.330:                              ;   in Loop: Header=BB809_325 Depth=1
	ds_write_b32 v39, v64
; %bb.331:                              ;   in Loop: Header=BB809_325 Depth=1
	s_or_b32 exec_lo, exec_lo, s16
	s_waitcnt lgkmcnt(0)
	s_barrier
	buffer_gl0_inv
	s_and_saveexec_b32 s16, s10
	s_cbranch_execz .LBB809_333
; %bb.332:                              ;   in Loop: Header=BB809_325 Depth=1
	ds_read_b32 v65, v48
	s_waitcnt lgkmcnt(0)
	v_mov_b32_dpp v66, v65 row_shr:1 row_mask:0xf bank_mask:0xf
	v_cndmask_b32_e64 v66, v66, 0, s13
	v_add_nc_u32_e32 v65, v66, v65
	v_mov_b32_dpp v66, v65 row_shr:2 row_mask:0xf bank_mask:0xf
	v_cndmask_b32_e64 v66, 0, v66, s14
	v_add_nc_u32_e32 v65, v65, v66
	;; [unrolled: 3-line block ×3, first 2 shown]
	ds_write_b32 v48, v65
.LBB809_333:                            ;   in Loop: Header=BB809_325 Depth=1
	s_or_b32 exec_lo, exec_lo, s16
	v_mov_b32_e32 v65, 0
	s_waitcnt lgkmcnt(0)
	s_barrier
	buffer_gl0_inv
	s_and_saveexec_b32 s16, s11
; %bb.334:                              ;   in Loop: Header=BB809_325 Depth=1
	ds_read_b32 v65, v50
; %bb.335:                              ;   in Loop: Header=BB809_325 Depth=1
	s_or_b32 exec_lo, exec_lo, s16
	s_waitcnt lgkmcnt(0)
	v_add_nc_u32_e32 v64, v65, v64
	v_add_nc_u32_e32 v10, 8, v10
	s_mov_b32 s21, -1
	s_mov_b32 s17, exec_lo
	ds_bpermute_b32 v64, v38, v64
	s_waitcnt lgkmcnt(0)
	v_cndmask_b32_e64 v64, v64, v65, s6
	v_cndmask_b32_e64 v64, v64, 0, s12
	v_add_nc_u32_e32 v27, v64, v27
	v_add_nc_u32_e32 v28, v27, v28
	ds_write_b32 v20, v64
	ds_write_b32 v30, v27
	;; [unrolled: 1-line block ×3, first 2 shown]
	v_add_nc_u32_e32 v29, v28, v29
	v_add_nc_u32_e32 v53, v29, v53
	;; [unrolled: 1-line block ×5, first 2 shown]
	ds_write_b32 v32, v29
	ds_write_b32 v33, v53
	;; [unrolled: 1-line block ×5, first 2 shown]
	s_waitcnt lgkmcnt(0)
	s_barrier
	buffer_gl0_inv
	ds_read_b32 v13, v13
	ds_read_b32 v26, v16
	v_mov_b32_e32 v16, v1
	s_waitcnt lgkmcnt(0)
                                        ; implicit-def: $vgpr28_vgpr29
	v_add_nc_u32_e32 v0, v13, v0
	v_add3_u32 v15, v15, v14, v26
                                        ; implicit-def: $vgpr26_vgpr27
	v_lshlrev_b64 v[13:14], 3, v[0:1]
	v_lshlrev_b64 v[14:15], 3, v[15:16]
	v_add_co_u32 v0, null, v12, v13
	v_add_co_u32 v53, null, v12, v14
                                        ; implicit-def: $vgpr15_vgpr16
	v_cmpx_lt_u32_e64 v10, v11
	s_cbranch_execz .LBB809_324
; %bb.336:                              ;   in Loop: Header=BB809_325 Depth=1
	s_barrier
	buffer_gl0_inv
	ds_write_b64 v0, v[4:5]
	ds_write_b64 v53, v[8:9]
	s_waitcnt lgkmcnt(0)
	s_barrier
	buffer_gl0_inv
	ds_read_b64 v[13:14], v49
	ds_read_b64 v[15:16], v51
	s_waitcnt lgkmcnt(0)
	s_barrier
	buffer_gl0_inv
	ds_write_b64 v0, v[24:25]
	ds_write_b64 v53, v[22:23]
	s_waitcnt lgkmcnt(0)
	s_barrier
	buffer_gl0_inv
	ds_read_b64 v[26:27], v49
	ds_read_b64 v[28:29], v51
	v_add_nc_u32_e32 v52, -8, v52
	s_xor_b32 s21, exec_lo, -1
	s_waitcnt lgkmcnt(0)
	s_barrier
	buffer_gl0_inv
	s_branch .LBB809_324
.LBB809_337:
	flat_load_dwordx2 v[50:51], v[0:1]
	s_or_b32 exec_lo, exec_lo, s7
                                        ; implicit-def: $vgpr52_vgpr53
	s_and_saveexec_b32 s7, s4
	s_cbranch_execz .LBB809_264
.LBB809_338:
	flat_load_dwordx2 v[52:53], v[0:1] offset:256
	s_or_b32 exec_lo, exec_lo, s7
                                        ; implicit-def: $vgpr38_vgpr39
	s_and_saveexec_b32 s4, s5
	s_cbranch_execz .LBB809_265
.LBB809_339:
	flat_load_dwordx2 v[38:39], v[0:1] offset:512
	s_or_b32 exec_lo, exec_lo, s4
                                        ; implicit-def: $vgpr48_vgpr49
	s_and_saveexec_b32 s4, s6
	s_cbranch_execnz .LBB809_266
	s_branch .LBB809_267
.LBB809_340:
	flat_store_dwordx2 v[0:1], v[12:13]
	s_or_b32 exec_lo, exec_lo, s7
	s_and_saveexec_b32 s7, s4
	s_cbranch_execz .LBB809_309
.LBB809_341:
	v_add_co_u32 v2, vcc_lo, 0x800, v0
	v_add_co_ci_u32_e64 v3, null, 0, v1, vcc_lo
	flat_store_dwordx2 v[2:3], v[14:15]
	s_or_b32 exec_lo, exec_lo, s7
	s_and_saveexec_b32 s4, s5
	s_cbranch_execz .LBB809_310
.LBB809_342:
	v_add_co_u32 v2, vcc_lo, 0x1000, v0
	v_add_co_ci_u32_e64 v3, null, 0, v1, vcc_lo
	flat_store_dwordx2 v[2:3], v[8:9]
	s_or_b32 exec_lo, exec_lo, s4
	s_and_saveexec_b32 s4, s6
	s_cbranch_execnz .LBB809_311
	s_branch .LBB809_312
.LBB809_343:
	s_or_b32 exec_lo, exec_lo, s20
	v_lshl_add_u32 v1, v21, 3, v12
	s_barrier
	buffer_gl0_inv
	ds_write_b64 v0, v[4:5]
	ds_write_b64 v53, v[8:9]
	s_waitcnt lgkmcnt(0)
	s_barrier
	buffer_gl0_inv
	ds_read2st64_b64 v[12:15], v1 offset1:4
	s_waitcnt lgkmcnt(0)
	s_barrier
	buffer_gl0_inv
	ds_write_b64 v0, v[24:25]
	ds_write_b64 v53, v[22:23]
	s_waitcnt lgkmcnt(0)
	s_barrier
	buffer_gl0_inv
	ds_read2st64_b64 v[8:11], v1 offset1:4
	v_mov_b32_e32 v20, 0
	v_add_co_u32 v2, vcc_lo, v2, v17
	v_add_co_ci_u32_e64 v3, null, v3, v18, vcc_lo
	v_lshlrev_b64 v[0:1], 3, v[19:20]
	s_waitcnt lgkmcnt(0)
	s_barrier
	buffer_gl0_inv
	v_add_co_u32 v2, vcc_lo, v2, v0
	v_add_co_ci_u32_e64 v3, null, v3, v1, vcc_lo
	v_cmp_lt_u32_e32 vcc_lo, v19, v119
	s_and_saveexec_b32 s4, vcc_lo
	s_cbranch_execz .LBB809_345
; %bb.344:
	v_xor_b32_e32 v13, 0x80000000, v13
	flat_store_dwordx2 v[2:3], v[12:13]
.LBB809_345:
	s_or_b32 exec_lo, exec_lo, s4
	v_add_nc_u32_e32 v4, 0x100, v19
	v_cmp_lt_u32_e64 s4, v4, v119
	s_and_saveexec_b32 s6, s4
	s_cbranch_execz .LBB809_347
; %bb.346:
	v_add_co_u32 v2, s5, 0x800, v2
	v_xor_b32_e32 v15, 0x80000000, v15
	v_add_co_ci_u32_e64 v3, null, 0, v3, s5
	flat_store_dwordx2 v[2:3], v[14:15]
.LBB809_347:
	s_or_b32 exec_lo, exec_lo, s6
	v_add_co_u32 v2, s5, v6, v17
	v_add_co_ci_u32_e64 v3, null, v7, v18, s5
	v_add_co_u32 v0, s5, v2, v0
	v_add_co_ci_u32_e64 v1, null, v3, v1, s5
	s_and_saveexec_b32 s5, vcc_lo
	s_cbranch_execz .LBB809_349
; %bb.348:
	flat_store_dwordx2 v[0:1], v[8:9]
.LBB809_349:
	s_or_b32 exec_lo, exec_lo, s5
	s_and_saveexec_b32 s5, s4
	s_cbranch_execz .LBB809_351
; %bb.350:
	v_add_co_u32 v0, vcc_lo, 0x800, v0
	v_add_co_ci_u32_e64 v1, null, 0, v1, vcc_lo
	flat_store_dwordx2 v[0:1], v[10:11]
.LBB809_351:
	s_or_b32 exec_lo, exec_lo, s5
                                        ; implicit-def: $vgpr19_vgpr20
                                        ; implicit-def: $vgpr17_vgpr18
                                        ; implicit-def: $vgpr119
                                        ; implicit-def: $vgpr0
                                        ; implicit-def: $vgpr1
                                        ; implicit-def: $vgpr2
                                        ; implicit-def: $vgpr3
                                        ; implicit-def: $vgpr4
                                        ; implicit-def: $vgpr5
                                        ; implicit-def: $vgpr6
                                        ; implicit-def: $vgpr7
                                        ; implicit-def: $vgpr10
                                        ; implicit-def: $vgpr11
                                        ; implicit-def: $vgpr12
                                        ; implicit-def: $vgpr21
                                        ; implicit-def: $vgpr22
.LBB809_352:
	s_andn2_saveexec_b32 s4, s18
	s_cbranch_execz .LBB809_372
; %bb.353:
	v_and_b32_e32 v13, 0xffffffe0, v19
	v_mov_b32_e32 v15, -1
	v_mov_b32_e32 v16, -1
	v_lshlrev_b32_e32 v20, 3, v22
	v_or_b32_e32 v8, v22, v13
	v_cmp_lt_u32_e32 vcc_lo, v8, v119
	s_and_saveexec_b32 s5, vcc_lo
	s_cbranch_execz .LBB809_355
; %bb.354:
	v_mov_b32_e32 v14, 0
	v_add_co_u32 v8, s4, v0, v17
	v_add_co_ci_u32_e64 v9, null, v1, v18, s4
	v_lshlrev_b64 v[0:1], 3, v[13:14]
	v_add_co_u32 v8, s4, v8, v20
	v_add_co_ci_u32_e64 v9, null, 0, v9, s4
	v_add_co_u32 v0, s4, v8, v0
	v_add_co_ci_u32_e64 v1, null, v9, v1, s4
	flat_load_dwordx2 v[15:16], v[0:1]
	s_waitcnt vmcnt(0) lgkmcnt(0)
	v_xor_b32_e32 v16, 0x80000000, v16
.LBB809_355:
	s_or_b32 exec_lo, exec_lo, s5
                                        ; implicit-def: $vgpr8_vgpr9
	s_and_saveexec_b32 s4, vcc_lo
	s_cbranch_execz .LBB809_357
; %bb.356:
	v_mov_b32_e32 v14, 0
	v_add_co_u32 v4, vcc_lo, v4, v17
	v_add_co_ci_u32_e64 v5, null, v5, v18, vcc_lo
	v_lshlrev_b64 v[0:1], 3, v[13:14]
	v_add_co_u32 v4, vcc_lo, v4, v20
	v_add_co_ci_u32_e64 v5, null, 0, v5, vcc_lo
	v_add_co_u32 v0, vcc_lo, v4, v0
	v_add_co_ci_u32_e64 v1, null, v5, v1, vcc_lo
	flat_load_dwordx2 v[8:9], v[0:1]
.LBB809_357:
	s_or_b32 exec_lo, exec_lo, s4
	v_lshl_add_u32 v0, v21, 5, v12
	v_and_b32_e32 v1, 15, v22
	v_sub_co_u32 v13, s6, v22, 1
	s_getpc_b64 s[4:5]
	s_add_u32 s4, s4, _ZN7rocprim17ROCPRIM_400000_NS16block_radix_sortIlLj256ELj1ElLj1ELj1ELj8ELNS0_26block_radix_rank_algorithmE2ELNS0_18block_padding_hintE2ELNS0_4arch9wavefront6targetE0EE19radix_bits_per_passE@rel32@lo+4
	s_addc_u32 s5, s5, _ZN7rocprim17ROCPRIM_400000_NS16block_radix_sortIlLj256ELj1ElLj1ELj1ELj8ELNS0_26block_radix_rank_algorithmE2ELNS0_18block_padding_hintE2ELNS0_4arch9wavefront6targetE0EE19radix_bits_per_passE@rel32@hi+12
	v_add_nc_u32_e32 v20, 32, v0
	v_add_nc_u32_e32 v23, 36, v0
	;; [unrolled: 1-line block ×8, first 2 shown]
	v_and_b32_e32 v0, 0x3e0, v21
	s_load_dword s18, s[4:5], 0x0
	v_cmp_eq_u32_e32 vcc_lo, 0, v1
	v_cmp_lt_u32_e64 s4, 1, v1
	v_cmp_lt_u32_e64 s5, 3, v1
	v_min_u32_e32 v4, 0xe0, v0
	v_and_b32_e32 v5, 16, v22
	v_cmp_lt_u32_e64 s7, 7, v1
	v_cmp_gt_i32_e64 s9, 0, v13
	v_or_b32_e32 v0, v22, v0
	v_or_b32_e32 v1, 31, v4
	v_lshrrev_b32_e32 v4, 3, v21
	v_cmp_eq_u32_e64 s8, 0, v5
	v_cndmask_b32_e64 v5, v13, v22, s9
	v_lshrrev_b32_e32 v30, 5, v19
	v_cmp_eq_u32_e64 s9, v21, v1
	v_and_b32_e32 v1, 0x7c, v4
	v_and_b32_e32 v4, 7, v22
	v_cmp_gt_u32_e64 s10, 8, v21
	v_cmp_lt_u32_e64 s11, 31, v21
	v_lshlrev_b32_e32 v31, 2, v5
	v_add_nc_u32_e32 v32, v12, v1
	v_cmp_eq_u32_e64 s12, 0, v21
	v_mov_b32_e32 v1, 0
	v_lshl_add_u32 v33, v21, 2, v12
	v_cmp_eq_u32_e64 s13, 0, v4
	v_cmp_lt_u32_e64 s14, 1, v4
	v_cmp_lt_u32_e64 s15, 3, v4
	v_add_nc_u32_e32 v22, -4, v32
	v_lshl_add_u32 v34, v0, 3, v12
	v_sub_nc_u32_e32 v35, v11, v10
	s_mov_b32 s19, 0
	s_waitcnt vmcnt(0) lgkmcnt(0)
	s_waitcnt_vscnt null, 0x0
	s_barrier
	buffer_gl0_inv
	s_branch .LBB809_359
.LBB809_358:                            ;   in Loop: Header=BB809_359 Depth=1
	s_or_b32 exec_lo, exec_lo, s17
	s_and_b32 s16, exec_lo, s20
	s_or_b32 s19, s16, s19
	s_andn2_b32 exec_lo, exec_lo, s19
	s_cbranch_execz .LBB809_369
.LBB809_359:                            ; =>This Inner Loop Header: Depth=1
	v_mov_b32_e32 v4, v15
	v_mov_b32_e32 v5, v16
	v_min_u32_e32 v0, s18, v35
	ds_write_b32 v20, v1
	ds_write_b32 v23, v1
	;; [unrolled: 1-line block ×5, first 2 shown]
	v_lshrrev_b64 v[13:14], v10, v[4:5]
	ds_write_b32 v27, v1
	ds_write_b32 v28, v1
	;; [unrolled: 1-line block ×3, first 2 shown]
	s_waitcnt lgkmcnt(0)
	s_barrier
	buffer_gl0_inv
	v_bfe_u32 v0, v13, 0, v0
	; wave barrier
	v_and_b32_e32 v13, 1, v0
	v_lshlrev_b32_e32 v14, 30, v0
	v_lshlrev_b32_e32 v15, 29, v0
	;; [unrolled: 1-line block ×4, first 2 shown]
	v_add_co_u32 v13, s16, v13, -1
	v_cndmask_b32_e64 v36, 0, 1, s16
	v_not_b32_e32 v48, v14
	v_cmp_gt_i32_e64 s17, 0, v14
	v_not_b32_e32 v14, v15
	v_lshlrev_b32_e32 v38, 26, v0
	v_cmp_ne_u32_e64 s16, 0, v36
	v_ashrrev_i32_e32 v48, 31, v48
	v_lshlrev_b32_e32 v39, 25, v0
	v_ashrrev_i32_e32 v14, 31, v14
	v_lshlrev_b32_e32 v36, 24, v0
	v_xor_b32_e32 v13, s16, v13
	v_cmp_gt_i32_e64 s16, 0, v15
	v_not_b32_e32 v15, v16
	v_xor_b32_e32 v48, s17, v48
	v_cmp_gt_i32_e64 s17, 0, v16
	v_and_b32_e32 v13, exec_lo, v13
	v_not_b32_e32 v16, v37
	v_ashrrev_i32_e32 v15, 31, v15
	v_xor_b32_e32 v14, s16, v14
	v_cmp_gt_i32_e64 s16, 0, v37
	v_and_b32_e32 v13, v13, v48
	v_not_b32_e32 v37, v38
	v_ashrrev_i32_e32 v16, 31, v16
	v_xor_b32_e32 v15, s17, v15
	v_cmp_gt_i32_e64 s17, 0, v38
	v_and_b32_e32 v13, v13, v14
	;; [unrolled: 5-line block ×4, first 2 shown]
	v_ashrrev_i32_e32 v15, 31, v15
	v_xor_b32_e32 v16, s16, v14
	v_lshl_add_u32 v0, v0, 3, v30
	v_and_b32_e32 v36, v13, v37
	v_mov_b32_e32 v14, v9
	v_mov_b32_e32 v13, v8
	v_xor_b32_e32 v8, s17, v15
	v_and_b32_e32 v9, v36, v16
	v_lshlrev_b64 v[15:16], 2, v[0:1]
	v_and_b32_e32 v9, v9, v8
	v_add_co_u32 v8, null, v12, v15
	v_mbcnt_lo_u32_b32 v0, v9, 0
	v_cmp_ne_u32_e64 s17, 0, v9
	v_add_co_u32 v8, null, v8, 32
	v_cmp_eq_u32_e64 s16, 0, v0
	s_and_b32 s17, s17, s16
	s_and_saveexec_b32 s16, s17
; %bb.360:                              ;   in Loop: Header=BB809_359 Depth=1
	v_bcnt_u32_b32 v9, v9, 0
	ds_write_b32 v8, v9
; %bb.361:                              ;   in Loop: Header=BB809_359 Depth=1
	s_or_b32 exec_lo, exec_lo, s16
	; wave barrier
	s_waitcnt lgkmcnt(0)
	s_barrier
	buffer_gl0_inv
	ds_read_b32 v15, v20
	ds_read_b32 v16, v23
	;; [unrolled: 1-line block ×8, first 2 shown]
	s_waitcnt lgkmcnt(6)
	v_add_nc_u32_e32 v49, v16, v15
	s_waitcnt lgkmcnt(4)
	v_add3_u32 v49, v49, v36, v37
	s_waitcnt lgkmcnt(2)
	v_add3_u32 v49, v49, v38, v39
	;; [unrolled: 2-line block ×3, first 2 shown]
	v_mov_b32_dpp v49, v48 row_shr:1 row_mask:0xf bank_mask:0xf
	v_cndmask_b32_e64 v49, v49, 0, vcc_lo
	v_add_nc_u32_e32 v48, v49, v48
	v_mov_b32_dpp v49, v48 row_shr:2 row_mask:0xf bank_mask:0xf
	v_cndmask_b32_e64 v49, 0, v49, s4
	v_add_nc_u32_e32 v48, v48, v49
	v_mov_b32_dpp v49, v48 row_shr:4 row_mask:0xf bank_mask:0xf
	v_cndmask_b32_e64 v49, 0, v49, s5
	v_add_nc_u32_e32 v48, v48, v49
	v_mov_b32_dpp v49, v48 row_shr:8 row_mask:0xf bank_mask:0xf
	v_cndmask_b32_e64 v49, 0, v49, s7
	v_add_nc_u32_e32 v48, v48, v49
	ds_swizzle_b32 v49, v48 offset:swizzle(BROADCAST,32,15)
	s_waitcnt lgkmcnt(0)
	v_cndmask_b32_e64 v49, v49, 0, s8
	v_add_nc_u32_e32 v48, v48, v49
	s_and_saveexec_b32 s16, s9
; %bb.362:                              ;   in Loop: Header=BB809_359 Depth=1
	ds_write_b32 v32, v48
; %bb.363:                              ;   in Loop: Header=BB809_359 Depth=1
	s_or_b32 exec_lo, exec_lo, s16
	s_waitcnt lgkmcnt(0)
	s_barrier
	buffer_gl0_inv
	s_and_saveexec_b32 s16, s10
	s_cbranch_execz .LBB809_365
; %bb.364:                              ;   in Loop: Header=BB809_359 Depth=1
	ds_read_b32 v49, v33
	s_waitcnt lgkmcnt(0)
	v_mov_b32_dpp v50, v49 row_shr:1 row_mask:0xf bank_mask:0xf
	v_cndmask_b32_e64 v50, v50, 0, s13
	v_add_nc_u32_e32 v49, v50, v49
	v_mov_b32_dpp v50, v49 row_shr:2 row_mask:0xf bank_mask:0xf
	v_cndmask_b32_e64 v50, 0, v50, s14
	v_add_nc_u32_e32 v49, v49, v50
	v_mov_b32_dpp v50, v49 row_shr:4 row_mask:0xf bank_mask:0xf
	v_cndmask_b32_e64 v50, 0, v50, s15
	v_add_nc_u32_e32 v49, v49, v50
	ds_write_b32 v33, v49
.LBB809_365:                            ;   in Loop: Header=BB809_359 Depth=1
	s_or_b32 exec_lo, exec_lo, s16
	v_mov_b32_e32 v49, 0
	s_waitcnt lgkmcnt(0)
	s_barrier
	buffer_gl0_inv
	s_and_saveexec_b32 s16, s11
; %bb.366:                              ;   in Loop: Header=BB809_359 Depth=1
	ds_read_b32 v49, v22
; %bb.367:                              ;   in Loop: Header=BB809_359 Depth=1
	s_or_b32 exec_lo, exec_lo, s16
	s_waitcnt lgkmcnt(0)
	v_add_nc_u32_e32 v48, v49, v48
	v_add_nc_u32_e32 v10, 8, v10
	s_mov_b32 s20, -1
	s_mov_b32 s17, exec_lo
	ds_bpermute_b32 v48, v31, v48
	s_waitcnt lgkmcnt(0)
	v_cndmask_b32_e64 v48, v48, v49, s6
	v_cndmask_b32_e64 v48, v48, 0, s12
	v_add_nc_u32_e32 v15, v48, v15
	v_add_nc_u32_e32 v16, v15, v16
	ds_write_b32 v20, v48
	ds_write_b32 v23, v15
	;; [unrolled: 1-line block ×3, first 2 shown]
	v_add_nc_u32_e32 v36, v16, v36
                                        ; implicit-def: $vgpr15_vgpr16
	v_add_nc_u32_e32 v37, v36, v37
	v_add_nc_u32_e32 v38, v37, v38
	;; [unrolled: 1-line block ×4, first 2 shown]
	ds_write_b32 v25, v36
	ds_write_b32 v26, v37
	;; [unrolled: 1-line block ×5, first 2 shown]
	s_waitcnt lgkmcnt(0)
	s_barrier
	buffer_gl0_inv
	ds_read_b32 v8, v8
	s_waitcnt lgkmcnt(0)
	v_add_nc_u32_e32 v0, v8, v0
	v_lshlrev_b64 v[8:9], 3, v[0:1]
	v_add_co_u32 v36, null, v12, v8
                                        ; implicit-def: $vgpr8_vgpr9
	v_cmpx_lt_u32_e64 v10, v11
	s_cbranch_execz .LBB809_358
; %bb.368:                              ;   in Loop: Header=BB809_359 Depth=1
	s_barrier
	buffer_gl0_inv
	ds_write_b64 v36, v[4:5]
	s_waitcnt lgkmcnt(0)
	s_barrier
	buffer_gl0_inv
	ds_read_b64 v[15:16], v34
	s_waitcnt lgkmcnt(0)
	s_barrier
	buffer_gl0_inv
	ds_write_b64 v36, v[13:14]
	s_waitcnt lgkmcnt(0)
	s_barrier
	buffer_gl0_inv
	ds_read_b64 v[8:9], v34
	v_add_nc_u32_e32 v35, -8, v35
	s_xor_b32 s20, exec_lo, -1
	s_waitcnt lgkmcnt(0)
	s_barrier
	buffer_gl0_inv
	s_branch .LBB809_358
.LBB809_369:
	s_or_b32 exec_lo, exec_lo, s19
	v_lshl_add_u32 v8, v21, 3, v12
	s_barrier
	buffer_gl0_inv
	ds_write_b64 v36, v[4:5]
	s_waitcnt lgkmcnt(0)
	s_barrier
	buffer_gl0_inv
	ds_read_b64 v[0:1], v8
	s_waitcnt lgkmcnt(0)
	s_barrier
	buffer_gl0_inv
	ds_write_b64 v36, v[13:14]
	s_waitcnt lgkmcnt(0)
	s_barrier
	buffer_gl0_inv
	ds_read_b64 v[4:5], v8
	s_mov_b32 s4, exec_lo
	s_waitcnt lgkmcnt(0)
	s_barrier
	buffer_gl0_inv
	v_cmpx_lt_u32_e64 v19, v119
	s_cbranch_execz .LBB809_371
; %bb.370:
	v_mov_b32_e32 v20, 0
	v_add_co_u32 v2, vcc_lo, v2, v17
	v_add_co_ci_u32_e64 v3, null, v3, v18, vcc_lo
	v_lshlrev_b64 v[8:9], 3, v[19:20]
	v_xor_b32_e32 v1, 0x80000000, v1
	v_add_co_u32 v2, vcc_lo, v2, v8
	v_add_co_ci_u32_e64 v3, null, v3, v9, vcc_lo
	v_add_co_u32 v6, vcc_lo, v6, v17
	v_add_co_ci_u32_e64 v7, null, v7, v18, vcc_lo
	;; [unrolled: 2-line block ×3, first 2 shown]
	flat_store_dwordx2 v[2:3], v[0:1]
	flat_store_dwordx2 v[6:7], v[4:5]
.LBB809_371:
	s_or_b32 exec_lo, exec_lo, s4
.LBB809_372:
	s_or_b32 exec_lo, exec_lo, s24
	s_clause 0x2a
	buffer_load_dword v122, off, s[0:3], s32
	buffer_load_dword v121, off, s[0:3], s32 offset:4
	buffer_load_dword v120, off, s[0:3], s32 offset:8
	;; [unrolled: 1-line block ×42, first 2 shown]
	s_waitcnt vmcnt(0) lgkmcnt(0)
	s_setpc_b64 s[30:31]
.Lfunc_end809:
	.size	_ZN7rocprim17ROCPRIM_400000_NS6detail40segmented_radix_sort_single_block_helperIllLj256ELj16ELb0EE4sortIPKlPlS6_S7_EEbT_T0_T1_T2_jjjjRNS3_12storage_typeE, .Lfunc_end809-_ZN7rocprim17ROCPRIM_400000_NS6detail40segmented_radix_sort_single_block_helperIllLj256ELj16ELb0EE4sortIPKlPlS6_S7_EEbT_T0_T1_T2_jjjjRNS3_12storage_typeE
                                        ; -- End function
	.set .L_ZN7rocprim17ROCPRIM_400000_NS6detail40segmented_radix_sort_single_block_helperIllLj256ELj16ELb0EE4sortIPKlPlS6_S7_EEbT_T0_T1_T2_jjjjRNS3_12storage_typeE.num_vgpr, 248
	.set .L_ZN7rocprim17ROCPRIM_400000_NS6detail40segmented_radix_sort_single_block_helperIllLj256ELj16ELb0EE4sortIPKlPlS6_S7_EEbT_T0_T1_T2_jjjjRNS3_12storage_typeE.num_agpr, 0
	.set .L_ZN7rocprim17ROCPRIM_400000_NS6detail40segmented_radix_sort_single_block_helperIllLj256ELj16ELb0EE4sortIPKlPlS6_S7_EEbT_T0_T1_T2_jjjjRNS3_12storage_typeE.numbered_sgpr, 33
	.set .L_ZN7rocprim17ROCPRIM_400000_NS6detail40segmented_radix_sort_single_block_helperIllLj256ELj16ELb0EE4sortIPKlPlS6_S7_EEbT_T0_T1_T2_jjjjRNS3_12storage_typeE.num_named_barrier, 0
	.set .L_ZN7rocprim17ROCPRIM_400000_NS6detail40segmented_radix_sort_single_block_helperIllLj256ELj16ELb0EE4sortIPKlPlS6_S7_EEbT_T0_T1_T2_jjjjRNS3_12storage_typeE.private_seg_size, 176
	.set .L_ZN7rocprim17ROCPRIM_400000_NS6detail40segmented_radix_sort_single_block_helperIllLj256ELj16ELb0EE4sortIPKlPlS6_S7_EEbT_T0_T1_T2_jjjjRNS3_12storage_typeE.uses_vcc, 1
	.set .L_ZN7rocprim17ROCPRIM_400000_NS6detail40segmented_radix_sort_single_block_helperIllLj256ELj16ELb0EE4sortIPKlPlS6_S7_EEbT_T0_T1_T2_jjjjRNS3_12storage_typeE.uses_flat_scratch, 0
	.set .L_ZN7rocprim17ROCPRIM_400000_NS6detail40segmented_radix_sort_single_block_helperIllLj256ELj16ELb0EE4sortIPKlPlS6_S7_EEbT_T0_T1_T2_jjjjRNS3_12storage_typeE.has_dyn_sized_stack, 0
	.set .L_ZN7rocprim17ROCPRIM_400000_NS6detail40segmented_radix_sort_single_block_helperIllLj256ELj16ELb0EE4sortIPKlPlS6_S7_EEbT_T0_T1_T2_jjjjRNS3_12storage_typeE.has_recursion, 0
	.set .L_ZN7rocprim17ROCPRIM_400000_NS6detail40segmented_radix_sort_single_block_helperIllLj256ELj16ELb0EE4sortIPKlPlS6_S7_EEbT_T0_T1_T2_jjjjRNS3_12storage_typeE.has_indirect_call, 0
	.section	.AMDGPU.csdata,"",@progbits
; Function info:
; codeLenInByte = 28108
; TotalNumSgprs: 35
; NumVgprs: 248
; ScratchSize: 176
; MemoryBound: 1
	.section	.text._ZN7rocprim17ROCPRIM_400000_NS6detail17trampoline_kernelINS0_14default_configENS1_36segmented_radix_sort_config_selectorIllEEZNS1_25segmented_radix_sort_implIS3_Lb0EPKlPlS8_S9_N2at6native12_GLOBAL__N_18offset_tEEE10hipError_tPvRmT1_PNSt15iterator_traitsISH_E10value_typeET2_T3_PNSI_ISN_E10value_typeET4_jRbjT5_ST_jjP12ihipStream_tbEUlT_E_NS1_11comp_targetILNS1_3genE8ELNS1_11target_archE1030ELNS1_3gpuE2ELNS1_3repE0EEENS1_30default_config_static_selectorELNS0_4arch9wavefront6targetE0EEEvSH_,"axG",@progbits,_ZN7rocprim17ROCPRIM_400000_NS6detail17trampoline_kernelINS0_14default_configENS1_36segmented_radix_sort_config_selectorIllEEZNS1_25segmented_radix_sort_implIS3_Lb0EPKlPlS8_S9_N2at6native12_GLOBAL__N_18offset_tEEE10hipError_tPvRmT1_PNSt15iterator_traitsISH_E10value_typeET2_T3_PNSI_ISN_E10value_typeET4_jRbjT5_ST_jjP12ihipStream_tbEUlT_E_NS1_11comp_targetILNS1_3genE8ELNS1_11target_archE1030ELNS1_3gpuE2ELNS1_3repE0EEENS1_30default_config_static_selectorELNS0_4arch9wavefront6targetE0EEEvSH_,comdat
	.globl	_ZN7rocprim17ROCPRIM_400000_NS6detail17trampoline_kernelINS0_14default_configENS1_36segmented_radix_sort_config_selectorIllEEZNS1_25segmented_radix_sort_implIS3_Lb0EPKlPlS8_S9_N2at6native12_GLOBAL__N_18offset_tEEE10hipError_tPvRmT1_PNSt15iterator_traitsISH_E10value_typeET2_T3_PNSI_ISN_E10value_typeET4_jRbjT5_ST_jjP12ihipStream_tbEUlT_E_NS1_11comp_targetILNS1_3genE8ELNS1_11target_archE1030ELNS1_3gpuE2ELNS1_3repE0EEENS1_30default_config_static_selectorELNS0_4arch9wavefront6targetE0EEEvSH_ ; -- Begin function _ZN7rocprim17ROCPRIM_400000_NS6detail17trampoline_kernelINS0_14default_configENS1_36segmented_radix_sort_config_selectorIllEEZNS1_25segmented_radix_sort_implIS3_Lb0EPKlPlS8_S9_N2at6native12_GLOBAL__N_18offset_tEEE10hipError_tPvRmT1_PNSt15iterator_traitsISH_E10value_typeET2_T3_PNSI_ISN_E10value_typeET4_jRbjT5_ST_jjP12ihipStream_tbEUlT_E_NS1_11comp_targetILNS1_3genE8ELNS1_11target_archE1030ELNS1_3gpuE2ELNS1_3repE0EEENS1_30default_config_static_selectorELNS0_4arch9wavefront6targetE0EEEvSH_
	.p2align	8
	.type	_ZN7rocprim17ROCPRIM_400000_NS6detail17trampoline_kernelINS0_14default_configENS1_36segmented_radix_sort_config_selectorIllEEZNS1_25segmented_radix_sort_implIS3_Lb0EPKlPlS8_S9_N2at6native12_GLOBAL__N_18offset_tEEE10hipError_tPvRmT1_PNSt15iterator_traitsISH_E10value_typeET2_T3_PNSI_ISN_E10value_typeET4_jRbjT5_ST_jjP12ihipStream_tbEUlT_E_NS1_11comp_targetILNS1_3genE8ELNS1_11target_archE1030ELNS1_3gpuE2ELNS1_3repE0EEENS1_30default_config_static_selectorELNS0_4arch9wavefront6targetE0EEEvSH_,@function
_ZN7rocprim17ROCPRIM_400000_NS6detail17trampoline_kernelINS0_14default_configENS1_36segmented_radix_sort_config_selectorIllEEZNS1_25segmented_radix_sort_implIS3_Lb0EPKlPlS8_S9_N2at6native12_GLOBAL__N_18offset_tEEE10hipError_tPvRmT1_PNSt15iterator_traitsISH_E10value_typeET2_T3_PNSI_ISN_E10value_typeET4_jRbjT5_ST_jjP12ihipStream_tbEUlT_E_NS1_11comp_targetILNS1_3genE8ELNS1_11target_archE1030ELNS1_3gpuE2ELNS1_3repE0EEENS1_30default_config_static_selectorELNS0_4arch9wavefront6targetE0EEEvSH_: ; @_ZN7rocprim17ROCPRIM_400000_NS6detail17trampoline_kernelINS0_14default_configENS1_36segmented_radix_sort_config_selectorIllEEZNS1_25segmented_radix_sort_implIS3_Lb0EPKlPlS8_S9_N2at6native12_GLOBAL__N_18offset_tEEE10hipError_tPvRmT1_PNSt15iterator_traitsISH_E10value_typeET2_T3_PNSI_ISN_E10value_typeET4_jRbjT5_ST_jjP12ihipStream_tbEUlT_E_NS1_11comp_targetILNS1_3genE8ELNS1_11target_archE1030ELNS1_3gpuE2ELNS1_3repE0EEENS1_30default_config_static_selectorELNS0_4arch9wavefront6targetE0EEEvSH_
; %bb.0:
	s_load_dwordx2 s[12:13], s[4:5], 0x38
	s_mov_b32 s27, s7
	s_mov_b32 s7, 0
	s_add_u32 s0, s0, s8
	s_addc_u32 s1, s1, 0
	s_lshl_b64 s[14:15], s[6:7], 2
	s_load_dwordx4 s[8:11], s[4:5], 0x40
	s_mov_b32 s32, 0
	s_waitcnt lgkmcnt(0)
	s_add_u32 s12, s12, s14
	s_addc_u32 s13, s13, s15
	s_load_dword s7, s[12:13], 0x0
	s_waitcnt lgkmcnt(0)
	s_add_i32 s60, s7, s9
	s_add_i32 s61, s7, s11
	s_mul_i32 s60, s60, s8
	s_mul_i32 s61, s61, s10
	s_cmp_le_u32 s61, s60
	s_cbranch_scc1 .LBB810_1190
; %bb.1:
	s_clause 0x3
	s_load_dword s7, s[4:5], 0x30
	s_load_dwordx4 s[48:51], s[4:5], 0x20
	s_load_dwordx4 s[52:55], s[4:5], 0x50
	s_load_dwordx8 s[40:47], s[4:5], 0x0
	s_waitcnt lgkmcnt(0)
	s_bitcmp1_b32 s7, 0
	s_mov_b32 s7, -1
	s_cselect_b32 s55, -1, 0
	s_sub_i32 s62, s61, s60
	s_cmpk_lt_u32 s62, 0x1001
	s_cbranch_scc0 .LBB810_7
; %bb.2:
	v_cndmask_b32_e64 v3, 0, 1, s55
	s_and_b32 s7, s52, 1
	v_lshlrev_b32_e32 v41, 20, v2
	v_lshlrev_b32_e32 v42, 10, v1
	v_cmp_ne_u32_e32 vcc_lo, s7, v3
	s_mov_b32 s7, -1
	s_cbranch_vccnz .LBB810_4
; %bb.3:
	s_mov_b64 s[10:11], src_shared_base
	v_or3_b32 v31, v0, v42, v41
	v_mov_b32_e32 v40, v0
	v_mov_b32_e32 v0, s40
	;; [unrolled: 1-line block ×17, first 2 shown]
	s_add_u32 s8, s4, 0x60
	s_addc_u32 s9, s5, 0
	s_getpc_b64 s[14:15]
	s_add_u32 s14, s14, _ZN7rocprim17ROCPRIM_400000_NS6detail40segmented_radix_sort_single_block_helperIllLj256ELj16ELb0EE4sortIPKlPlS6_S7_EEbT_T0_T1_T2_jjjjRNS3_12storage_typeE@rel32@lo+4
	s_addc_u32 s15, s15, _ZN7rocprim17ROCPRIM_400000_NS6detail40segmented_radix_sort_single_block_helperIllLj256ELj16ELb0EE4sortIPKlPlS6_S7_EEbT_T0_T1_T2_jjjjRNS3_12storage_typeE@rel32@hi+12
	s_mov_b32 s12, s6
	s_mov_b32 s13, s27
	;; [unrolled: 1-line block ×3, first 2 shown]
	s_mov_b64 s[34:35], s[4:5]
	s_swappc_b64 s[30:31], s[14:15]
	v_mov_b32_e32 v1, v43
	v_mov_b32_e32 v2, v44
	;; [unrolled: 1-line block ×3, first 2 shown]
	s_mov_b64 s[4:5], s[34:35]
	s_mov_b32 s6, s28
	s_mov_b32 s7, 0
.LBB810_4:
	s_andn2_b32 vcc_lo, exec_lo, s7
	s_cbranch_vccnz .LBB810_6
; %bb.5:
	s_mov_b64 s[10:11], src_shared_base
	v_or3_b32 v31, v0, v42, v41
	v_mov_b32_e32 v40, v0
	v_mov_b32_e32 v0, s40
	;; [unrolled: 1-line block ×17, first 2 shown]
	s_add_u32 s8, s4, 0x60
	s_addc_u32 s9, s5, 0
	s_getpc_b64 s[14:15]
	s_add_u32 s14, s14, _ZN7rocprim17ROCPRIM_400000_NS6detail40segmented_radix_sort_single_block_helperIllLj256ELj16ELb0EE4sortIPKlPlS6_S7_EEbT_T0_T1_T2_jjjjRNS3_12storage_typeE@rel32@lo+4
	s_addc_u32 s15, s15, _ZN7rocprim17ROCPRIM_400000_NS6detail40segmented_radix_sort_single_block_helperIllLj256ELj16ELb0EE4sortIPKlPlS6_S7_EEbT_T0_T1_T2_jjjjRNS3_12storage_typeE@rel32@hi+12
	s_mov_b32 s12, s6
	s_mov_b32 s13, s27
	s_mov_b32 s28, s6
	s_mov_b64 s[34:35], s[4:5]
	s_swappc_b64 s[30:31], s[14:15]
	v_mov_b32_e32 v1, v41
	v_mov_b32_e32 v2, v42
	;; [unrolled: 1-line block ×3, first 2 shown]
	s_mov_b64 s[4:5], s[34:35]
	s_mov_b32 s6, s28
.LBB810_6:
	s_mov_b32 s7, 0
.LBB810_7:
	s_andn2_b32 vcc_lo, exec_lo, s7
	s_cbranch_vccnz .LBB810_1190
; %bb.8:
	s_cmp_ge_u32 s53, s54
	s_cbranch_scc1 .LBB810_1190
; %bb.9:
	v_and_b32_e32 v6, 0xe0, v0
	v_and_b32_e32 v5, 3, v0
	v_lshlrev_b32_e32 v75, 2, v0
	v_lshlrev_b32_e32 v3, 3, v0
	v_lshrrev_b32_e32 v8, 3, v0
	v_min_u32_e32 v7, 0x60, v6
	v_lshlrev_b32_e32 v93, 2, v5
	v_mad_u32_u24 v95, v0, 12, v75
	v_or_b32_e32 v76, 0x100, v0
	v_or_b32_e32 v79, 0x200, v0
	;; [unrolled: 1-line block ×3, first 2 shown]
	v_lshlrev_b32_e32 v7, 4, v0
	v_add_nc_u32_e32 v100, v95, v75
	v_or_b32_e32 v80, 0x300, v0
	v_or_b32_e32 v81, 0x400, v0
	v_cmp_eq_u32_e64 s8, v0, v5
	v_and_b32_e32 v99, 0xe00, v7
	v_or_b32_e32 v5, 31, v6
	v_sub_nc_u32_e32 v101, v100, v7
	v_or_b32_e32 v82, 0x500, v0
	v_and_b32_e32 v94, 28, v8
	v_lshlrev_b32_e32 v6, 3, v99
	s_add_u32 s58, s4, 0x60
	v_cmp_eq_u32_e64 s4, v0, v5
	v_add_nc_u32_e32 v5, 1, v0
	v_lshl_add_u32 v103, v0, 5, v101
	v_add_co_u32 v104, s14, s50, v6
	v_add_co_ci_u32_e64 v105, null, s51, 0, s14
	v_add_co_u32 v106, s14, s44, v6
	v_add_co_ci_u32_e64 v107, null, s45, 0, s14
	;; [unrolled: 2-line block ×6, first 2 shown]
	v_add_co_u32 v117, s14, s46, v6
	v_add_co_u32 v77, s7, s44, v3
	v_add_co_ci_u32_e64 v118, null, s47, 0, s14
	v_add_co_u32 v119, s14, s40, v6
	v_mov_b32_e32 v4, 0
	v_add_co_ci_u32_e64 v78, null, s45, 0, s7
	v_or_b32_e32 v83, 0x600, v0
	v_or_b32_e32 v84, 0x700, v0
	;; [unrolled: 1-line block ×10, first 2 shown]
	v_cmp_gt_u32_e64 s7, 0x80, v0
	v_or_b32_e32 v96, 0x8200, v94
	v_cmp_gt_u32_e64 s9, 4, v0
	v_add_nc_u32_e32 v97, 0x8200, v75
	v_cmp_lt_u32_e64 s10, 31, v0
	v_add_nc_u32_e32 v98, 0x81fc, v94
	v_cmp_gt_u32_e64 s11, 8, v0
	v_cmp_eq_u32_e64 s12, 0, v0
	v_mul_u32_u24_e32 v102, 36, v5
	v_cmp_ne_u32_e64 s13, 0x80, v5
	v_mad_i32_i24 v108, 0xffffffe4, v0, v103
	v_add_co_ci_u32_e64 v120, null, s41, 0, s14
	v_mov_b32_e32 v121, 1
	v_lshlrev_b32_e32 v122, 3, v0
	v_lshlrev_b32_e32 v123, 3, v76
	;; [unrolled: 1-line block ×6, first 2 shown]
	v_mbcnt_lo_u32_b32 v128, -1, 0
	v_mov_b32_e32 v5, -1
	v_bfrev_b32_e32 v6, -2
	s_mov_b32 s57, 0
	s_addc_u32 s59, s5, 0
	s_mov_b32 s46, s53
	s_mov_b32 s47, s53
	s_branch .LBB810_12
.LBB810_10:                             ;   in Loop: Header=BB810_12 Depth=1
	s_waitcnt lgkmcnt(0)
	s_barrier
.LBB810_11:                             ;   in Loop: Header=BB810_12 Depth=1
	s_add_i32 s47, s47, 7
	buffer_gl0_inv
	s_cmp_ge_u32 s47, s54
	s_cbranch_scc1 .LBB810_1190
.LBB810_12:                             ; =>This Loop Header: Depth=1
                                        ;     Child Loop BB810_16 Depth 2
                                        ;     Child Loop BB810_96 Depth 2
	;; [unrolled: 1-line block ×8, first 2 shown]
	s_sub_i32 s5, s54, s47
	s_xor_b32 s55, s55, -1
	s_min_u32 s52, s5, 7
	s_cmp_lg_u32 s47, s53
	s_mov_b32 s5, -1
	ds_write2st64_b32 v75, v4, v4 offset1:4
	s_waitcnt lgkmcnt(0)
	s_waitcnt_vscnt null, 0x0
	s_cbranch_scc0 .LBB810_602
; %bb.13:                               ;   in Loop: Header=BB810_12 Depth=1
	s_lshl_b32 s5, -1, s52
	s_and_b32 vcc_lo, exec_lo, s55
	s_not_b32 s63, s5
	s_mov_b32 s5, -1
	s_cbranch_vccz .LBB810_307
; %bb.14:                               ;   in Loop: Header=BB810_12 Depth=1
	s_mov_b32 s5, s62
	s_mov_b32 s56, s60
	s_barrier
	buffer_gl0_inv
                                        ; implicit-def: $vgpr7_vgpr8
                                        ; implicit-def: $vgpr9_vgpr10
                                        ; implicit-def: $vgpr11_vgpr12
                                        ; implicit-def: $vgpr13_vgpr14
                                        ; implicit-def: $vgpr15_vgpr16
                                        ; implicit-def: $vgpr17_vgpr18
                                        ; implicit-def: $vgpr19_vgpr20
                                        ; implicit-def: $vgpr21_vgpr22
                                        ; implicit-def: $vgpr23_vgpr24
                                        ; implicit-def: $vgpr25_vgpr26
                                        ; implicit-def: $vgpr27_vgpr28
                                        ; implicit-def: $vgpr29_vgpr30
                                        ; implicit-def: $vgpr31_vgpr32
                                        ; implicit-def: $vgpr33_vgpr34
                                        ; implicit-def: $vgpr35_vgpr36
                                        ; implicit-def: $vgpr37_vgpr38
	s_branch .LBB810_16
.LBB810_15:                             ;   in Loop: Header=BB810_16 Depth=2
	s_or_b32 exec_lo, exec_lo, s14
	s_addk_i32 s5, 0xf000
	s_cmp_ge_u32 s16, s61
	s_mov_b32 s56, s16
	s_cbranch_scc1 .LBB810_84
.LBB810_16:                             ;   Parent Loop BB810_12 Depth=1
                                        ; =>  This Inner Loop Header: Depth=2
	s_add_i32 s16, s56, 0x1000
	s_mov_b32 s14, -1
	s_cmp_gt_u32 s16, s61
                                        ; implicit-def: $vgpr49_vgpr50
                                        ; implicit-def: $vgpr53_vgpr54
                                        ; implicit-def: $vgpr57_vgpr58
                                        ; implicit-def: $vgpr39_vgpr40
                                        ; implicit-def: $vgpr41_vgpr42
                                        ; implicit-def: $vgpr43_vgpr44
                                        ; implicit-def: $vgpr45_vgpr46
                                        ; implicit-def: $vgpr47_vgpr48
                                        ; implicit-def: $vgpr51_vgpr52
                                        ; implicit-def: $vgpr55_vgpr56
                                        ; implicit-def: $vgpr59_vgpr60
                                        ; implicit-def: $vgpr61_vgpr62
                                        ; implicit-def: $vgpr63_vgpr64
                                        ; implicit-def: $vgpr65_vgpr66
                                        ; implicit-def: $vgpr67_vgpr68
                                        ; implicit-def: $vgpr69_vgpr70
	s_cbranch_scc1 .LBB810_18
; %bb.17:                               ;   in Loop: Header=BB810_16 Depth=2
	s_lshl_b64 s[14:15], s[56:57], 3
	v_add_co_u32 v49, vcc_lo, v77, s14
	v_add_co_ci_u32_e64 v50, null, s15, v78, vcc_lo
	s_mov_b32 s14, 0
	v_add_co_u32 v57, vcc_lo, v49, 0x1000
	v_add_co_ci_u32_e64 v58, null, 0, v50, vcc_lo
	v_add_co_u32 v41, vcc_lo, v49, 0x2000
	v_add_co_ci_u32_e64 v42, null, 0, v50, vcc_lo
	;; [unrolled: 2-line block ×5, first 2 shown]
	s_clause 0x7
	global_load_dwordx2 v[39:40], v[41:42], off offset:-2048
	global_load_dwordx2 v[41:42], v[41:42], off
	global_load_dwordx2 v[43:44], v[45:46], off offset:-2048
	global_load_dwordx2 v[45:46], v[45:46], off
	;; [unrolled: 2-line block ×4, first 2 shown]
	v_add_co_u32 v53, vcc_lo, v49, 0x6000
	v_add_co_ci_u32_e64 v54, null, 0, v50, vcc_lo
	v_add_co_u32 v67, vcc_lo, v49, 0x7000
	v_add_co_ci_u32_e64 v68, null, 0, v50, vcc_lo
	;; [unrolled: 2-line block ×3, first 2 shown]
	s_clause 0x7
	global_load_dwordx2 v[61:62], v[53:54], off offset:-2048
	global_load_dwordx2 v[63:64], v[53:54], off
	global_load_dwordx2 v[65:66], v[67:68], off offset:-2048
	global_load_dwordx2 v[67:68], v[67:68], off
	global_load_dwordx2 v[49:50], v[49:50], off
	global_load_dwordx2 v[53:54], v[57:58], off offset:-2048
	global_load_dwordx2 v[57:58], v[57:58], off
	global_load_dwordx2 v[69:70], v[69:70], off
.LBB810_18:                             ;   in Loop: Header=BB810_16 Depth=2
	s_andn2_b32 vcc_lo, exec_lo, s14
	s_movk_i32 s14, 0x1000
	s_cbranch_vccnz .LBB810_37
; %bb.19:                               ;   in Loop: Header=BB810_16 Depth=2
	s_lshl_b64 s[14:15], s[56:57], 3
	s_mov_b32 s17, exec_lo
	s_add_u32 s14, s44, s14
	s_addc_u32 s15, s45, s15
	v_cmpx_gt_u32_e64 s5, v0
	s_cbranch_execnz .LBB810_69
; %bb.20:                               ;   in Loop: Header=BB810_16 Depth=2
	s_or_b32 exec_lo, exec_lo, s17
	s_mov_b32 s17, exec_lo
	v_cmpx_gt_u32_e64 s5, v76
	s_cbranch_execnz .LBB810_70
.LBB810_21:                             ;   in Loop: Header=BB810_16 Depth=2
	s_or_b32 exec_lo, exec_lo, s17
	s_mov_b32 s17, exec_lo
	v_cmpx_gt_u32_e64 s5, v79
	s_cbranch_execnz .LBB810_71
.LBB810_22:                             ;   in Loop: Header=BB810_16 Depth=2
	s_or_b32 exec_lo, exec_lo, s17
	s_mov_b32 s17, exec_lo
	v_cmpx_gt_u32_e64 s5, v80
	s_cbranch_execnz .LBB810_72
.LBB810_23:                             ;   in Loop: Header=BB810_16 Depth=2
	s_or_b32 exec_lo, exec_lo, s17
	s_mov_b32 s17, exec_lo
	v_cmpx_gt_u32_e64 s5, v81
	s_cbranch_execnz .LBB810_73
.LBB810_24:                             ;   in Loop: Header=BB810_16 Depth=2
	s_or_b32 exec_lo, exec_lo, s17
	s_mov_b32 s17, exec_lo
	v_cmpx_gt_u32_e64 s5, v82
	s_cbranch_execnz .LBB810_74
.LBB810_25:                             ;   in Loop: Header=BB810_16 Depth=2
	s_or_b32 exec_lo, exec_lo, s17
	s_mov_b32 s17, exec_lo
	v_cmpx_gt_u32_e64 s5, v83
	s_cbranch_execnz .LBB810_75
.LBB810_26:                             ;   in Loop: Header=BB810_16 Depth=2
	s_or_b32 exec_lo, exec_lo, s17
	s_mov_b32 s17, exec_lo
	v_cmpx_gt_u32_e64 s5, v84
	s_cbranch_execnz .LBB810_76
.LBB810_27:                             ;   in Loop: Header=BB810_16 Depth=2
	s_or_b32 exec_lo, exec_lo, s17
	s_mov_b32 s17, exec_lo
	v_cmpx_gt_u32_e64 s5, v85
	s_cbranch_execnz .LBB810_77
.LBB810_28:                             ;   in Loop: Header=BB810_16 Depth=2
	s_or_b32 exec_lo, exec_lo, s17
	s_mov_b32 s17, exec_lo
	v_cmpx_gt_u32_e64 s5, v86
	s_cbranch_execnz .LBB810_78
.LBB810_29:                             ;   in Loop: Header=BB810_16 Depth=2
	s_or_b32 exec_lo, exec_lo, s17
	s_mov_b32 s17, exec_lo
	v_cmpx_gt_u32_e64 s5, v87
	s_cbranch_execnz .LBB810_79
.LBB810_30:                             ;   in Loop: Header=BB810_16 Depth=2
	s_or_b32 exec_lo, exec_lo, s17
	s_mov_b32 s17, exec_lo
	v_cmpx_gt_u32_e64 s5, v88
	s_cbranch_execnz .LBB810_80
.LBB810_31:                             ;   in Loop: Header=BB810_16 Depth=2
	s_or_b32 exec_lo, exec_lo, s17
	s_mov_b32 s17, exec_lo
	v_cmpx_gt_u32_e64 s5, v89
	s_cbranch_execnz .LBB810_81
.LBB810_32:                             ;   in Loop: Header=BB810_16 Depth=2
	s_or_b32 exec_lo, exec_lo, s17
	s_mov_b32 s17, exec_lo
	v_cmpx_gt_u32_e64 s5, v90
	s_cbranch_execnz .LBB810_82
.LBB810_33:                             ;   in Loop: Header=BB810_16 Depth=2
	s_or_b32 exec_lo, exec_lo, s17
	s_mov_b32 s17, exec_lo
	v_cmpx_gt_u32_e64 s5, v91
	s_cbranch_execnz .LBB810_83
.LBB810_34:                             ;   in Loop: Header=BB810_16 Depth=2
	s_or_b32 exec_lo, exec_lo, s17
	s_mov_b32 s17, exec_lo
	v_cmpx_gt_u32_e64 s5, v92
	s_cbranch_execz .LBB810_36
.LBB810_35:                             ;   in Loop: Header=BB810_16 Depth=2
	v_lshlrev_b32_e32 v3, 3, v92
	global_load_dwordx2 v[7:8], v3, s[14:15]
.LBB810_36:                             ;   in Loop: Header=BB810_16 Depth=2
	s_or_b32 exec_lo, exec_lo, s17
	s_waitcnt vmcnt(0)
	v_mov_b32_e32 v50, v38
	v_mov_b32_e32 v54, v36
	;; [unrolled: 1-line block ×32, first 2 shown]
	s_mov_b32 s14, s5
.LBB810_37:                             ;   in Loop: Header=BB810_16 Depth=2
	s_waitcnt vmcnt(0)
	v_mov_b32_e32 v7, v69
	v_mov_b32_e32 v9, v67
	;; [unrolled: 1-line block ×32, first 2 shown]
	s_mov_b32 s15, exec_lo
	v_cmpx_gt_u32_e64 s14, v0
	s_cbranch_execnz .LBB810_53
; %bb.38:                               ;   in Loop: Header=BB810_16 Depth=2
	s_or_b32 exec_lo, exec_lo, s15
	s_mov_b32 s15, exec_lo
	v_cmpx_gt_u32_e64 s14, v76
	s_cbranch_execnz .LBB810_54
.LBB810_39:                             ;   in Loop: Header=BB810_16 Depth=2
	s_or_b32 exec_lo, exec_lo, s15
	s_mov_b32 s15, exec_lo
	v_cmpx_gt_u32_e64 s14, v79
	s_cbranch_execnz .LBB810_55
.LBB810_40:                             ;   in Loop: Header=BB810_16 Depth=2
	s_or_b32 exec_lo, exec_lo, s15
	s_mov_b32 s15, exec_lo
	v_cmpx_gt_u32_e64 s14, v80
	s_cbranch_execnz .LBB810_56
.LBB810_41:                             ;   in Loop: Header=BB810_16 Depth=2
	s_or_b32 exec_lo, exec_lo, s15
	s_mov_b32 s15, exec_lo
	v_cmpx_gt_u32_e64 s14, v81
	s_cbranch_execnz .LBB810_57
.LBB810_42:                             ;   in Loop: Header=BB810_16 Depth=2
	s_or_b32 exec_lo, exec_lo, s15
	s_mov_b32 s15, exec_lo
	v_cmpx_gt_u32_e64 s14, v82
	s_cbranch_execnz .LBB810_58
.LBB810_43:                             ;   in Loop: Header=BB810_16 Depth=2
	s_or_b32 exec_lo, exec_lo, s15
	s_mov_b32 s15, exec_lo
	v_cmpx_gt_u32_e64 s14, v83
	s_cbranch_execnz .LBB810_59
.LBB810_44:                             ;   in Loop: Header=BB810_16 Depth=2
	s_or_b32 exec_lo, exec_lo, s15
	s_mov_b32 s15, exec_lo
	v_cmpx_gt_u32_e64 s14, v84
	s_cbranch_execnz .LBB810_60
.LBB810_45:                             ;   in Loop: Header=BB810_16 Depth=2
	s_or_b32 exec_lo, exec_lo, s15
	s_mov_b32 s15, exec_lo
	v_cmpx_gt_u32_e64 s14, v85
	s_cbranch_execnz .LBB810_61
.LBB810_46:                             ;   in Loop: Header=BB810_16 Depth=2
	s_or_b32 exec_lo, exec_lo, s15
	s_mov_b32 s15, exec_lo
	v_cmpx_gt_u32_e64 s14, v86
	s_cbranch_execnz .LBB810_62
.LBB810_47:                             ;   in Loop: Header=BB810_16 Depth=2
	s_or_b32 exec_lo, exec_lo, s15
	s_mov_b32 s15, exec_lo
	v_cmpx_gt_u32_e64 s14, v87
	s_cbranch_execnz .LBB810_63
.LBB810_48:                             ;   in Loop: Header=BB810_16 Depth=2
	s_or_b32 exec_lo, exec_lo, s15
	s_mov_b32 s15, exec_lo
	v_cmpx_gt_u32_e64 s14, v88
	s_cbranch_execnz .LBB810_64
.LBB810_49:                             ;   in Loop: Header=BB810_16 Depth=2
	s_or_b32 exec_lo, exec_lo, s15
	s_mov_b32 s15, exec_lo
	v_cmpx_gt_u32_e64 s14, v89
	s_cbranch_execnz .LBB810_65
.LBB810_50:                             ;   in Loop: Header=BB810_16 Depth=2
	s_or_b32 exec_lo, exec_lo, s15
	s_mov_b32 s15, exec_lo
	v_cmpx_gt_u32_e64 s14, v90
	s_cbranch_execnz .LBB810_66
.LBB810_51:                             ;   in Loop: Header=BB810_16 Depth=2
	s_or_b32 exec_lo, exec_lo, s15
	s_mov_b32 s15, exec_lo
	v_cmpx_gt_u32_e64 s14, v91
	s_cbranch_execnz .LBB810_67
.LBB810_52:                             ;   in Loop: Header=BB810_16 Depth=2
	s_or_b32 exec_lo, exec_lo, s15
	v_cmp_gt_u32_e32 vcc_lo, s14, v92
	s_and_saveexec_b32 s14, vcc_lo
	s_cbranch_execz .LBB810_15
	s_branch .LBB810_68
.LBB810_53:                             ;   in Loop: Header=BB810_16 Depth=2
	v_xor_b32_e32 v40, 0x80000000, v38
	v_mov_b32_e32 v39, v37
	v_lshrrev_b64 v[39:40], s47, v[39:40]
	v_and_b32_e32 v3, s63, v39
	v_lshl_or_b32 v3, v3, 4, v93
	ds_add_u32 v3, v121
	s_or_b32 exec_lo, exec_lo, s15
	s_mov_b32 s15, exec_lo
	v_cmpx_gt_u32_e64 s14, v76
	s_cbranch_execz .LBB810_39
.LBB810_54:                             ;   in Loop: Header=BB810_16 Depth=2
	v_xor_b32_e32 v40, 0x80000000, v36
	v_mov_b32_e32 v39, v35
	v_lshrrev_b64 v[39:40], s47, v[39:40]
	v_and_b32_e32 v3, s63, v39
	v_lshl_or_b32 v3, v3, 4, v93
	ds_add_u32 v3, v121
	s_or_b32 exec_lo, exec_lo, s15
	s_mov_b32 s15, exec_lo
	v_cmpx_gt_u32_e64 s14, v79
	s_cbranch_execz .LBB810_40
.LBB810_55:                             ;   in Loop: Header=BB810_16 Depth=2
	v_xor_b32_e32 v40, 0x80000000, v34
	v_mov_b32_e32 v39, v33
	v_lshrrev_b64 v[39:40], s47, v[39:40]
	v_and_b32_e32 v3, s63, v39
	v_lshl_or_b32 v3, v3, 4, v93
	ds_add_u32 v3, v121
	s_or_b32 exec_lo, exec_lo, s15
	s_mov_b32 s15, exec_lo
	v_cmpx_gt_u32_e64 s14, v80
	s_cbranch_execz .LBB810_41
.LBB810_56:                             ;   in Loop: Header=BB810_16 Depth=2
	v_xor_b32_e32 v40, 0x80000000, v32
	v_mov_b32_e32 v39, v31
	v_lshrrev_b64 v[39:40], s47, v[39:40]
	v_and_b32_e32 v3, s63, v39
	v_lshl_or_b32 v3, v3, 4, v93
	ds_add_u32 v3, v121
	s_or_b32 exec_lo, exec_lo, s15
	s_mov_b32 s15, exec_lo
	v_cmpx_gt_u32_e64 s14, v81
	s_cbranch_execz .LBB810_42
.LBB810_57:                             ;   in Loop: Header=BB810_16 Depth=2
	v_xor_b32_e32 v40, 0x80000000, v30
	v_mov_b32_e32 v39, v29
	v_lshrrev_b64 v[39:40], s47, v[39:40]
	v_and_b32_e32 v3, s63, v39
	v_lshl_or_b32 v3, v3, 4, v93
	ds_add_u32 v3, v121
	s_or_b32 exec_lo, exec_lo, s15
	s_mov_b32 s15, exec_lo
	v_cmpx_gt_u32_e64 s14, v82
	s_cbranch_execz .LBB810_43
.LBB810_58:                             ;   in Loop: Header=BB810_16 Depth=2
	v_xor_b32_e32 v40, 0x80000000, v28
	v_mov_b32_e32 v39, v27
	v_lshrrev_b64 v[39:40], s47, v[39:40]
	v_and_b32_e32 v3, s63, v39
	v_lshl_or_b32 v3, v3, 4, v93
	ds_add_u32 v3, v121
	s_or_b32 exec_lo, exec_lo, s15
	s_mov_b32 s15, exec_lo
	v_cmpx_gt_u32_e64 s14, v83
	s_cbranch_execz .LBB810_44
.LBB810_59:                             ;   in Loop: Header=BB810_16 Depth=2
	v_xor_b32_e32 v40, 0x80000000, v26
	v_mov_b32_e32 v39, v25
	v_lshrrev_b64 v[39:40], s47, v[39:40]
	v_and_b32_e32 v3, s63, v39
	v_lshl_or_b32 v3, v3, 4, v93
	ds_add_u32 v3, v121
	s_or_b32 exec_lo, exec_lo, s15
	s_mov_b32 s15, exec_lo
	v_cmpx_gt_u32_e64 s14, v84
	s_cbranch_execz .LBB810_45
.LBB810_60:                             ;   in Loop: Header=BB810_16 Depth=2
	v_xor_b32_e32 v40, 0x80000000, v24
	v_mov_b32_e32 v39, v23
	v_lshrrev_b64 v[39:40], s47, v[39:40]
	v_and_b32_e32 v3, s63, v39
	v_lshl_or_b32 v3, v3, 4, v93
	ds_add_u32 v3, v121
	s_or_b32 exec_lo, exec_lo, s15
	s_mov_b32 s15, exec_lo
	v_cmpx_gt_u32_e64 s14, v85
	s_cbranch_execz .LBB810_46
.LBB810_61:                             ;   in Loop: Header=BB810_16 Depth=2
	v_xor_b32_e32 v40, 0x80000000, v22
	v_mov_b32_e32 v39, v21
	v_lshrrev_b64 v[39:40], s47, v[39:40]
	v_and_b32_e32 v3, s63, v39
	v_lshl_or_b32 v3, v3, 4, v93
	ds_add_u32 v3, v121
	s_or_b32 exec_lo, exec_lo, s15
	s_mov_b32 s15, exec_lo
	v_cmpx_gt_u32_e64 s14, v86
	s_cbranch_execz .LBB810_47
.LBB810_62:                             ;   in Loop: Header=BB810_16 Depth=2
	v_xor_b32_e32 v40, 0x80000000, v20
	v_mov_b32_e32 v39, v19
	v_lshrrev_b64 v[39:40], s47, v[39:40]
	v_and_b32_e32 v3, s63, v39
	v_lshl_or_b32 v3, v3, 4, v93
	ds_add_u32 v3, v121
	s_or_b32 exec_lo, exec_lo, s15
	s_mov_b32 s15, exec_lo
	v_cmpx_gt_u32_e64 s14, v87
	s_cbranch_execz .LBB810_48
.LBB810_63:                             ;   in Loop: Header=BB810_16 Depth=2
	v_xor_b32_e32 v40, 0x80000000, v18
	v_mov_b32_e32 v39, v17
	v_lshrrev_b64 v[39:40], s47, v[39:40]
	v_and_b32_e32 v3, s63, v39
	v_lshl_or_b32 v3, v3, 4, v93
	ds_add_u32 v3, v121
	s_or_b32 exec_lo, exec_lo, s15
	s_mov_b32 s15, exec_lo
	v_cmpx_gt_u32_e64 s14, v88
	s_cbranch_execz .LBB810_49
.LBB810_64:                             ;   in Loop: Header=BB810_16 Depth=2
	v_xor_b32_e32 v40, 0x80000000, v16
	v_mov_b32_e32 v39, v15
	v_lshrrev_b64 v[39:40], s47, v[39:40]
	v_and_b32_e32 v3, s63, v39
	v_lshl_or_b32 v3, v3, 4, v93
	ds_add_u32 v3, v121
	s_or_b32 exec_lo, exec_lo, s15
	s_mov_b32 s15, exec_lo
	v_cmpx_gt_u32_e64 s14, v89
	s_cbranch_execz .LBB810_50
.LBB810_65:                             ;   in Loop: Header=BB810_16 Depth=2
	v_xor_b32_e32 v40, 0x80000000, v14
	v_mov_b32_e32 v39, v13
	v_lshrrev_b64 v[39:40], s47, v[39:40]
	v_and_b32_e32 v3, s63, v39
	v_lshl_or_b32 v3, v3, 4, v93
	ds_add_u32 v3, v121
	s_or_b32 exec_lo, exec_lo, s15
	s_mov_b32 s15, exec_lo
	v_cmpx_gt_u32_e64 s14, v90
	s_cbranch_execz .LBB810_51
.LBB810_66:                             ;   in Loop: Header=BB810_16 Depth=2
	v_xor_b32_e32 v40, 0x80000000, v12
	v_mov_b32_e32 v39, v11
	v_lshrrev_b64 v[39:40], s47, v[39:40]
	v_and_b32_e32 v3, s63, v39
	v_lshl_or_b32 v3, v3, 4, v93
	ds_add_u32 v3, v121
	s_or_b32 exec_lo, exec_lo, s15
	s_mov_b32 s15, exec_lo
	v_cmpx_gt_u32_e64 s14, v91
	s_cbranch_execz .LBB810_52
.LBB810_67:                             ;   in Loop: Header=BB810_16 Depth=2
	v_xor_b32_e32 v40, 0x80000000, v10
	v_mov_b32_e32 v39, v9
	v_lshrrev_b64 v[39:40], s47, v[39:40]
	v_and_b32_e32 v3, s63, v39
	v_lshl_or_b32 v3, v3, 4, v93
	ds_add_u32 v3, v121
	s_or_b32 exec_lo, exec_lo, s15
	v_cmp_gt_u32_e32 vcc_lo, s14, v92
	s_and_saveexec_b32 s14, vcc_lo
	s_cbranch_execz .LBB810_15
.LBB810_68:                             ;   in Loop: Header=BB810_16 Depth=2
	v_xor_b32_e32 v40, 0x80000000, v8
	v_mov_b32_e32 v39, v7
	v_lshrrev_b64 v[39:40], s47, v[39:40]
	v_and_b32_e32 v3, s63, v39
	v_lshl_or_b32 v3, v3, 4, v93
	ds_add_u32 v3, v121
	s_branch .LBB810_15
.LBB810_69:                             ;   in Loop: Header=BB810_16 Depth=2
	global_load_dwordx2 v[37:38], v122, s[14:15]
	s_or_b32 exec_lo, exec_lo, s17
	s_mov_b32 s17, exec_lo
	v_cmpx_gt_u32_e64 s5, v76
	s_cbranch_execz .LBB810_21
.LBB810_70:                             ;   in Loop: Header=BB810_16 Depth=2
	global_load_dwordx2 v[35:36], v123, s[14:15]
	s_or_b32 exec_lo, exec_lo, s17
	s_mov_b32 s17, exec_lo
	v_cmpx_gt_u32_e64 s5, v79
	s_cbranch_execz .LBB810_22
.LBB810_71:                             ;   in Loop: Header=BB810_16 Depth=2
	global_load_dwordx2 v[33:34], v124, s[14:15]
	s_or_b32 exec_lo, exec_lo, s17
	s_mov_b32 s17, exec_lo
	v_cmpx_gt_u32_e64 s5, v80
	s_cbranch_execz .LBB810_23
.LBB810_72:                             ;   in Loop: Header=BB810_16 Depth=2
	global_load_dwordx2 v[31:32], v125, s[14:15]
	s_or_b32 exec_lo, exec_lo, s17
	s_mov_b32 s17, exec_lo
	v_cmpx_gt_u32_e64 s5, v81
	s_cbranch_execz .LBB810_24
.LBB810_73:                             ;   in Loop: Header=BB810_16 Depth=2
	global_load_dwordx2 v[29:30], v126, s[14:15]
	s_or_b32 exec_lo, exec_lo, s17
	s_mov_b32 s17, exec_lo
	v_cmpx_gt_u32_e64 s5, v82
	s_cbranch_execz .LBB810_25
.LBB810_74:                             ;   in Loop: Header=BB810_16 Depth=2
	global_load_dwordx2 v[27:28], v127, s[14:15]
	s_or_b32 exec_lo, exec_lo, s17
	s_mov_b32 s17, exec_lo
	v_cmpx_gt_u32_e64 s5, v83
	s_cbranch_execz .LBB810_26
.LBB810_75:                             ;   in Loop: Header=BB810_16 Depth=2
	v_lshlrev_b32_e32 v3, 3, v83
	global_load_dwordx2 v[25:26], v3, s[14:15]
	s_or_b32 exec_lo, exec_lo, s17
	s_mov_b32 s17, exec_lo
	v_cmpx_gt_u32_e64 s5, v84
	s_cbranch_execz .LBB810_27
.LBB810_76:                             ;   in Loop: Header=BB810_16 Depth=2
	v_lshlrev_b32_e32 v3, 3, v84
	global_load_dwordx2 v[23:24], v3, s[14:15]
	s_or_b32 exec_lo, exec_lo, s17
	s_mov_b32 s17, exec_lo
	v_cmpx_gt_u32_e64 s5, v85
	s_cbranch_execz .LBB810_28
.LBB810_77:                             ;   in Loop: Header=BB810_16 Depth=2
	v_lshlrev_b32_e32 v3, 3, v85
	global_load_dwordx2 v[21:22], v3, s[14:15]
	s_or_b32 exec_lo, exec_lo, s17
	s_mov_b32 s17, exec_lo
	v_cmpx_gt_u32_e64 s5, v86
	s_cbranch_execz .LBB810_29
.LBB810_78:                             ;   in Loop: Header=BB810_16 Depth=2
	v_lshlrev_b32_e32 v3, 3, v86
	global_load_dwordx2 v[19:20], v3, s[14:15]
	s_or_b32 exec_lo, exec_lo, s17
	s_mov_b32 s17, exec_lo
	v_cmpx_gt_u32_e64 s5, v87
	s_cbranch_execz .LBB810_30
.LBB810_79:                             ;   in Loop: Header=BB810_16 Depth=2
	v_lshlrev_b32_e32 v3, 3, v87
	global_load_dwordx2 v[17:18], v3, s[14:15]
	s_or_b32 exec_lo, exec_lo, s17
	s_mov_b32 s17, exec_lo
	v_cmpx_gt_u32_e64 s5, v88
	s_cbranch_execz .LBB810_31
.LBB810_80:                             ;   in Loop: Header=BB810_16 Depth=2
	v_lshlrev_b32_e32 v3, 3, v88
	global_load_dwordx2 v[15:16], v3, s[14:15]
	s_or_b32 exec_lo, exec_lo, s17
	s_mov_b32 s17, exec_lo
	v_cmpx_gt_u32_e64 s5, v89
	s_cbranch_execz .LBB810_32
.LBB810_81:                             ;   in Loop: Header=BB810_16 Depth=2
	v_lshlrev_b32_e32 v3, 3, v89
	global_load_dwordx2 v[13:14], v3, s[14:15]
	s_or_b32 exec_lo, exec_lo, s17
	s_mov_b32 s17, exec_lo
	v_cmpx_gt_u32_e64 s5, v90
	s_cbranch_execz .LBB810_33
.LBB810_82:                             ;   in Loop: Header=BB810_16 Depth=2
	v_lshlrev_b32_e32 v3, 3, v90
	global_load_dwordx2 v[11:12], v3, s[14:15]
	s_or_b32 exec_lo, exec_lo, s17
	s_mov_b32 s17, exec_lo
	v_cmpx_gt_u32_e64 s5, v91
	s_cbranch_execz .LBB810_34
.LBB810_83:                             ;   in Loop: Header=BB810_16 Depth=2
	v_lshlrev_b32_e32 v3, 3, v91
	global_load_dwordx2 v[9:10], v3, s[14:15]
	s_or_b32 exec_lo, exec_lo, s17
	s_mov_b32 s17, exec_lo
	v_cmpx_gt_u32_e64 s5, v92
	s_cbranch_execnz .LBB810_35
	s_branch .LBB810_36
.LBB810_84:                             ;   in Loop: Header=BB810_12 Depth=1
	v_mov_b32_e32 v3, 0
	s_waitcnt lgkmcnt(0)
	s_barrier
	buffer_gl0_inv
	s_and_saveexec_b32 s5, s7
	s_cbranch_execz .LBB810_86
; %bb.85:                               ;   in Loop: Header=BB810_12 Depth=1
	ds_read2_b64 v[7:10], v95 offset1:1
	s_waitcnt lgkmcnt(0)
	v_add_nc_u32_e32 v3, v8, v7
	v_add3_u32 v3, v3, v9, v10
.LBB810_86:                             ;   in Loop: Header=BB810_12 Depth=1
	s_or_b32 exec_lo, exec_lo, s5
	v_and_b32_e32 v7, 15, v128
	v_mov_b32_dpp v8, v3 row_shr:1 row_mask:0xf bank_mask:0xf
	v_and_b32_e32 v9, 16, v128
	v_cmp_eq_u32_e64 s5, 0, v7
	v_cmp_lt_u32_e64 s14, 1, v7
	v_cmp_lt_u32_e64 s15, 3, v7
	;; [unrolled: 1-line block ×3, first 2 shown]
	v_cmp_eq_u32_e64 s17, 0, v9
	v_cndmask_b32_e64 v8, v8, 0, s5
	v_add_nc_u32_e32 v3, v8, v3
	v_mov_b32_dpp v8, v3 row_shr:2 row_mask:0xf bank_mask:0xf
	v_cndmask_b32_e64 v8, 0, v8, s14
	v_add_nc_u32_e32 v3, v3, v8
	v_mov_b32_dpp v8, v3 row_shr:4 row_mask:0xf bank_mask:0xf
	;; [unrolled: 3-line block ×3, first 2 shown]
	v_cndmask_b32_e64 v7, 0, v8, s16
	v_bfe_i32 v8, v128, 4, 1
	v_add_nc_u32_e32 v3, v3, v7
	ds_swizzle_b32 v7, v3 offset:swizzle(BROADCAST,32,15)
	s_waitcnt lgkmcnt(0)
	v_and_b32_e32 v7, v8, v7
	v_add_nc_u32_e32 v3, v3, v7
	s_and_saveexec_b32 s18, s8
; %bb.87:                               ;   in Loop: Header=BB810_12 Depth=1
	ds_write_b32 v96, v3
; %bb.88:                               ;   in Loop: Header=BB810_12 Depth=1
	s_or_b32 exec_lo, exec_lo, s18
	s_waitcnt lgkmcnt(0)
	s_barrier
	buffer_gl0_inv
	s_and_saveexec_b32 s18, s9
	s_cbranch_execz .LBB810_90
; %bb.89:                               ;   in Loop: Header=BB810_12 Depth=1
	ds_read_b32 v7, v97
	v_and_b32_e32 v8, 3, v128
	v_cmp_ne_u32_e32 vcc_lo, 0, v8
	s_waitcnt lgkmcnt(0)
	v_mov_b32_dpp v9, v7 row_shr:1 row_mask:0xf bank_mask:0xf
	v_cndmask_b32_e32 v9, 0, v9, vcc_lo
	v_cmp_lt_u32_e32 vcc_lo, 1, v8
	v_add_nc_u32_e32 v7, v9, v7
	v_mov_b32_dpp v9, v7 row_shr:2 row_mask:0xf bank_mask:0xf
	v_cndmask_b32_e32 v8, 0, v9, vcc_lo
	v_add_nc_u32_e32 v7, v7, v8
	ds_write_b32 v97, v7
.LBB810_90:                             ;   in Loop: Header=BB810_12 Depth=1
	s_or_b32 exec_lo, exec_lo, s18
	v_mov_b32_e32 v7, 0
	s_waitcnt lgkmcnt(0)
	s_barrier
	buffer_gl0_inv
	s_and_saveexec_b32 s18, s10
; %bb.91:                               ;   in Loop: Header=BB810_12 Depth=1
	ds_read_b32 v7, v98
; %bb.92:                               ;   in Loop: Header=BB810_12 Depth=1
	s_or_b32 exec_lo, exec_lo, s18
	v_sub_co_u32 v8, s18, v128, 1
	s_waitcnt lgkmcnt(0)
	v_add_nc_u32_e32 v3, v7, v3
	s_barrier
	v_cmp_gt_i32_e32 vcc_lo, 0, v8
	buffer_gl0_inv
	v_cndmask_b32_e32 v8, v8, v128, vcc_lo
	v_lshlrev_b32_e32 v129, 2, v8
	ds_bpermute_b32 v3, v129, v3
	s_and_saveexec_b32 s19, s7
	s_cbranch_execz .LBB810_94
; %bb.93:                               ;   in Loop: Header=BB810_12 Depth=1
	s_waitcnt lgkmcnt(0)
	v_cndmask_b32_e64 v3, v3, v7, s18
	v_add_nc_u32_e32 v3, s60, v3
	ds_write_b32 v75, v3
.LBB810_94:                             ;   in Loop: Header=BB810_12 Depth=1
	s_or_b32 exec_lo, exec_lo, s19
	s_clause 0x1
	s_load_dword s19, s[58:59], 0x4
	s_load_dword s22, s[58:59], 0xc
	v_and_b32_e32 v7, 7, v128
	v_lshlrev_b32_e32 v9, 3, v128
	v_or_b32_e32 v130, v128, v99
	s_mov_b32 s64, s62
	s_mov_b32 s56, s60
                                        ; implicit-def: $vgpr11_vgpr12
                                        ; implicit-def: $vgpr13_vgpr14
                                        ; implicit-def: $vgpr15_vgpr16
                                        ; implicit-def: $vgpr19_vgpr20
                                        ; implicit-def: $vgpr23_vgpr24
                                        ; implicit-def: $vgpr27_vgpr28
                                        ; implicit-def: $vgpr17_vgpr18
                                        ; implicit-def: $vgpr21_vgpr22
                                        ; implicit-def: $vgpr25_vgpr26
                                        ; implicit-def: $vgpr29_vgpr30
                                        ; implicit-def: $vgpr31_vgpr32
                                        ; implicit-def: $vgpr33_vgpr34
                                        ; implicit-def: $vgpr35_vgpr36
                                        ; implicit-def: $vgpr37_vgpr38
                                        ; implicit-def: $vgpr151
                                        ; implicit-def: $vgpr152
                                        ; implicit-def: $vgpr153
                                        ; implicit-def: $vgpr154
                                        ; implicit-def: $vgpr155
                                        ; implicit-def: $vgpr156
                                        ; implicit-def: $vgpr157
                                        ; implicit-def: $vgpr158
                                        ; implicit-def: $vgpr159
                                        ; implicit-def: $vgpr160
                                        ; implicit-def: $vgpr161
                                        ; implicit-def: $vgpr162
                                        ; implicit-def: $vgpr163
                                        ; implicit-def: $vgpr164
                                        ; implicit-def: $vgpr166
                                        ; implicit-def: $vgpr167
                                        ; implicit-def: $vgpr165
                                        ; implicit-def: $vgpr168
	v_add_co_u32 v131, vcc_lo, v104, v9
	v_add_co_ci_u32_e64 v132, null, 0, v105, vcc_lo
	v_add_co_u32 v148, vcc_lo, v106, v9
	v_or_b32_e32 v133, 32, v130
	v_or_b32_e32 v134, 64, v130
	;; [unrolled: 1-line block ×6, first 2 shown]
	s_waitcnt lgkmcnt(0)
	s_cmp_lt_u32 s27, s19
	v_or_b32_e32 v139, 0xe0, v130
	s_cselect_b32 s19, 14, 20
	v_or_b32_e32 v140, 0x100, v130
	s_add_u32 s20, s58, s19
	s_addc_u32 s21, s59, 0
	s_and_b32 s22, s22, 0xffff
	global_load_ushort v3, v4, s[20:21]
	v_cmp_eq_u32_e64 s19, 0, v7
	v_cmp_lt_u32_e64 s20, 1, v7
	v_cmp_lt_u32_e64 s21, 3, v7
	v_or_b32_e32 v141, 0x120, v130
	v_or_b32_e32 v142, 0x140, v130
	;; [unrolled: 1-line block ×7, first 2 shown]
	v_add_co_ci_u32_e64 v149, null, 0, v107, vcc_lo
                                        ; implicit-def: $vgpr9_vgpr10
	s_waitcnt vmcnt(0)
	v_mad_u32_u24 v3, v2, v3, v1
	v_mad_u64_u32 v[7:8], null, v3, s22, v[0:1]
	v_lshrrev_b32_e32 v3, 3, v7
                                        ; implicit-def: $vgpr7_vgpr8
	v_and_b32_e32 v150, 0x1ffffffc, v3
	s_branch .LBB810_96
.LBB810_95:                             ;   in Loop: Header=BB810_96 Depth=2
	s_or_b32 exec_lo, exec_lo, s22
	s_addk_i32 s64, 0xf000
	s_cmp_lt_u32 s65, s61
	s_mov_b32 s56, s65
	s_cbranch_scc0 .LBB810_306
.LBB810_96:                             ;   Parent Loop BB810_12 Depth=1
                                        ; =>  This Inner Loop Header: Depth=2
	s_add_i32 s65, s56, 0x1000
	s_cmp_gt_u32 s65, s61
	s_cbranch_scc1 .LBB810_98
; %bb.97:                               ;   in Loop: Header=BB810_96 Depth=2
	s_lshl_b64 s[22:23], s[56:57], 3
	v_add_co_u32 v53, vcc_lo, v148, s22
	v_add_co_ci_u32_e64 v54, null, s23, v149, vcc_lo
	v_add_co_u32 v67, vcc_lo, 0x800, v53
	v_add_co_ci_u32_e64 v68, null, 0, v54, vcc_lo
	s_clause 0xe
	global_load_dwordx2 v[41:42], v[53:54], off
	global_load_dwordx2 v[39:40], v[53:54], off offset:256
	global_load_dwordx2 v[43:44], v[53:54], off offset:512
	;; [unrolled: 1-line block ×7, first 2 shown]
	global_load_dwordx2 v[55:56], v[67:68], off
	global_load_dwordx2 v[57:58], v[67:68], off offset:256
	global_load_dwordx2 v[61:62], v[67:68], off offset:512
	;; [unrolled: 1-line block ×6, first 2 shown]
	s_mov_b32 s22, -1
	s_movk_i32 s23, 0x1000
	s_cbranch_execz .LBB810_99
	s_branch .LBB810_130
.LBB810_98:                             ;   in Loop: Header=BB810_96 Depth=2
	s_mov_b32 s22, 0
                                        ; implicit-def: $vgpr41_vgpr42
                                        ; implicit-def: $vgpr39_vgpr40
                                        ; implicit-def: $vgpr43_vgpr44
                                        ; implicit-def: $vgpr45_vgpr46
                                        ; implicit-def: $vgpr47_vgpr48
                                        ; implicit-def: $vgpr51_vgpr52
                                        ; implicit-def: $vgpr49_vgpr50
                                        ; implicit-def: $vgpr53_vgpr54
                                        ; implicit-def: $vgpr55_vgpr56
                                        ; implicit-def: $vgpr57_vgpr58
                                        ; implicit-def: $vgpr61_vgpr62
                                        ; implicit-def: $vgpr59_vgpr60
                                        ; implicit-def: $vgpr63_vgpr64
                                        ; implicit-def: $vgpr65_vgpr66
                                        ; implicit-def: $vgpr67_vgpr68
	s_movk_i32 s23, 0x1000
.LBB810_99:                             ;   in Loop: Header=BB810_96 Depth=2
	s_waitcnt vmcnt(13)
	v_mov_b32_e32 v40, v6
	v_mov_b32_e32 v39, v5
	s_lshl_b64 s[22:23], s[56:57], 3
	v_add_co_u32 v69, vcc_lo, v148, s22
	v_mov_b32_e32 v42, v40
	v_add_co_ci_u32_e64 v70, null, s23, v149, vcc_lo
	v_mov_b32_e32 v41, v39
	s_mov_b32 s22, exec_lo
	v_cmpx_gt_u32_e64 s64, v130
	s_cbranch_execz .LBB810_101
; %bb.100:                              ;   in Loop: Header=BB810_96 Depth=2
	global_load_dwordx2 v[41:42], v[69:70], off
.LBB810_101:                            ;   in Loop: Header=BB810_96 Depth=2
	s_or_b32 exec_lo, exec_lo, s22
	s_mov_b32 s22, exec_lo
	v_cmpx_gt_u32_e64 s64, v133
	s_cbranch_execz .LBB810_103
; %bb.102:                              ;   in Loop: Header=BB810_96 Depth=2
	global_load_dwordx2 v[39:40], v[69:70], off offset:256
.LBB810_103:                            ;   in Loop: Header=BB810_96 Depth=2
	s_or_b32 exec_lo, exec_lo, s22
	s_waitcnt vmcnt(12)
	v_mov_b32_e32 v44, v6
	v_mov_b32_e32 v43, v5
	s_mov_b32 s22, exec_lo
	v_cmpx_gt_u32_e64 s64, v134
	s_cbranch_execz .LBB810_105
; %bb.104:                              ;   in Loop: Header=BB810_96 Depth=2
	global_load_dwordx2 v[43:44], v[69:70], off offset:512
.LBB810_105:                            ;   in Loop: Header=BB810_96 Depth=2
	s_or_b32 exec_lo, exec_lo, s22
	s_waitcnt vmcnt(11)
	v_mov_b32_e32 v46, v6
	v_mov_b32_e32 v45, v5
	;; [unrolled: 10-line block ×7, first 2 shown]
	s_mov_b32 s22, exec_lo
	v_cmpx_gt_u32_e64 s64, v140
	s_cbranch_execz .LBB810_117
; %bb.116:                              ;   in Loop: Header=BB810_96 Depth=2
	v_add_co_u32 v55, vcc_lo, 0x800, v69
	v_add_co_ci_u32_e64 v56, null, 0, v70, vcc_lo
	global_load_dwordx2 v[55:56], v[55:56], off
.LBB810_117:                            ;   in Loop: Header=BB810_96 Depth=2
	s_or_b32 exec_lo, exec_lo, s22
	s_waitcnt vmcnt(5)
	v_mov_b32_e32 v58, v6
	v_mov_b32_e32 v57, v5
	s_mov_b32 s22, exec_lo
	v_cmpx_gt_u32_e64 s64, v141
	s_cbranch_execz .LBB810_119
; %bb.118:                              ;   in Loop: Header=BB810_96 Depth=2
	v_add_co_u32 v57, vcc_lo, 0x800, v69
	v_add_co_ci_u32_e64 v58, null, 0, v70, vcc_lo
	global_load_dwordx2 v[57:58], v[57:58], off offset:256
.LBB810_119:                            ;   in Loop: Header=BB810_96 Depth=2
	s_or_b32 exec_lo, exec_lo, s22
	s_waitcnt vmcnt(4)
	v_mov_b32_e32 v62, v6
	v_mov_b32_e32 v61, v5
	s_mov_b32 s22, exec_lo
	v_cmpx_gt_u32_e64 s64, v142
	s_cbranch_execz .LBB810_121
; %bb.120:                              ;   in Loop: Header=BB810_96 Depth=2
	s_waitcnt vmcnt(3)
	v_add_co_u32 v59, vcc_lo, 0x800, v69
	v_add_co_ci_u32_e64 v60, null, 0, v70, vcc_lo
	global_load_dwordx2 v[61:62], v[59:60], off offset:512
.LBB810_121:                            ;   in Loop: Header=BB810_96 Depth=2
	s_or_b32 exec_lo, exec_lo, s22
	s_waitcnt vmcnt(3)
	v_mov_b32_e32 v60, v6
	v_mov_b32_e32 v59, v5
	s_mov_b32 s22, exec_lo
	v_cmpx_gt_u32_e64 s64, v143
	s_cbranch_execz .LBB810_123
; %bb.122:                              ;   in Loop: Header=BB810_96 Depth=2
	v_add_co_u32 v59, vcc_lo, 0x800, v69
	v_add_co_ci_u32_e64 v60, null, 0, v70, vcc_lo
	global_load_dwordx2 v[59:60], v[59:60], off offset:768
.LBB810_123:                            ;   in Loop: Header=BB810_96 Depth=2
	s_or_b32 exec_lo, exec_lo, s22
	s_waitcnt vmcnt(2)
	v_mov_b32_e32 v64, v6
	v_mov_b32_e32 v63, v5
	s_mov_b32 s22, exec_lo
	v_cmpx_gt_u32_e64 s64, v144
	s_cbranch_execz .LBB810_125
; %bb.124:                              ;   in Loop: Header=BB810_96 Depth=2
	v_add_co_u32 v63, vcc_lo, 0x800, v69
	v_add_co_ci_u32_e64 v64, null, 0, v70, vcc_lo
	global_load_dwordx2 v[63:64], v[63:64], off offset:1024
.LBB810_125:                            ;   in Loop: Header=BB810_96 Depth=2
	;; [unrolled: 12-line block ×4, first 2 shown]
	s_or_b32 exec_lo, exec_lo, s22
	v_cmp_gt_u32_e64 s22, s64, v147
	s_sub_i32 s23, s61, s56
.LBB810_130:                            ;   in Loop: Header=BB810_96 Depth=2
	v_mov_b32_e32 v69, -1
	v_mov_b32_e32 v70, -1
	v_mov_b32_e32 v169, s64
	s_and_saveexec_b32 s24, s22
	s_cbranch_execz .LBB810_132
; %bb.131:                              ;   in Loop: Header=BB810_96 Depth=2
	s_lshl_b64 s[28:29], s[56:57], 3
	v_mov_b32_e32 v169, s23
	v_add_co_u32 v3, vcc_lo, v148, s28
	v_add_co_ci_u32_e64 v70, null, s29, v149, vcc_lo
	v_add_co_u32 v69, vcc_lo, 0x800, v3
	v_add_co_ci_u32_e64 v70, null, 0, v70, vcc_lo
	global_load_dwordx2 v[69:70], v[69:70], off offset:1792
	s_waitcnt vmcnt(0)
	v_xor_b32_e32 v70, 0x80000000, v70
.LBB810_132:                            ;   in Loop: Header=BB810_96 Depth=2
	s_or_b32 exec_lo, exec_lo, s24
	s_waitcnt vmcnt(14)
	v_xor_b32_e32 v42, 0x80000000, v42
	ds_write2_b32 v100, v4, v4 offset0:136 offset1:137
	ds_write2_b32 v100, v4, v4 offset0:138 offset1:139
	ds_write_b32 v100, v4 offset:560
	s_waitcnt vmcnt(0) lgkmcnt(0)
	s_barrier
	v_lshrrev_b64 v[71:72], s47, v[41:42]
	buffer_gl0_inv
	; wave barrier
	v_and_b32_e32 v72, s63, v71
	v_and_b32_e32 v3, 1, v72
	v_lshlrev_b32_e32 v71, 30, v72
	v_lshlrev_b32_e32 v73, 29, v72
	;; [unrolled: 1-line block ×4, first 2 shown]
	v_add_co_u32 v3, s22, v3, -1
	v_cndmask_b32_e64 v74, 0, 1, s22
	v_not_b32_e32 v173, v71
	v_cmp_gt_i32_e64 s22, 0, v71
	v_not_b32_e32 v71, v73
	v_lshlrev_b32_e32 v172, 26, v72
	v_cmp_ne_u32_e32 vcc_lo, 0, v74
	v_ashrrev_i32_e32 v173, 31, v173
	v_lshlrev_b32_e32 v74, 25, v72
	v_ashrrev_i32_e32 v71, 31, v71
	v_mul_u32_u24_e32 v72, 36, v72
	v_xor_b32_e32 v3, vcc_lo, v3
	v_cmp_gt_i32_e32 vcc_lo, 0, v73
	v_not_b32_e32 v73, v170
	v_xor_b32_e32 v173, s22, v173
	v_cmp_gt_i32_e64 s22, 0, v170
	v_and_b32_e32 v3, exec_lo, v3
	v_not_b32_e32 v170, v171
	v_ashrrev_i32_e32 v73, 31, v73
	v_xor_b32_e32 v71, vcc_lo, v71
	v_cmp_gt_i32_e32 vcc_lo, 0, v171
	v_and_b32_e32 v3, v3, v173
	v_not_b32_e32 v171, v172
	v_ashrrev_i32_e32 v170, 31, v170
	v_xor_b32_e32 v73, s22, v73
	v_cmp_gt_i32_e64 s22, 0, v172
	v_and_b32_e32 v3, v3, v71
	v_not_b32_e32 v71, v74
	v_ashrrev_i32_e32 v171, 31, v171
	v_xor_b32_e32 v170, vcc_lo, v170
	v_cmp_gt_i32_e32 vcc_lo, 0, v74
	v_and_b32_e32 v3, v3, v73
	v_ashrrev_i32_e32 v71, 31, v71
	v_xor_b32_e32 v73, s22, v171
	v_and_b32_e32 v3, v3, v170
	v_xor_b32_e32 v71, vcc_lo, v71
	v_add_nc_u32_e32 v170, v150, v72
	v_and_b32_e32 v3, v3, v73
	v_and_b32_e32 v71, v3, v71
	v_mbcnt_lo_u32_b32 v3, v71, 0
	v_cmp_ne_u32_e64 s22, 0, v71
	v_cmp_eq_u32_e32 vcc_lo, 0, v3
	s_and_b32 s23, s22, vcc_lo
	s_and_saveexec_b32 s22, s23
; %bb.133:                              ;   in Loop: Header=BB810_96 Depth=2
	v_bcnt_u32_b32 v71, v71, 0
	ds_write_b32 v170, v71 offset:544
; %bb.134:                              ;   in Loop: Header=BB810_96 Depth=2
	s_or_b32 exec_lo, exec_lo, s22
	v_xor_b32_e32 v40, 0x80000000, v40
	; wave barrier
	v_lshrrev_b64 v[71:72], s47, v[39:40]
	v_and_b32_e32 v72, s63, v71
	v_and_b32_e32 v71, 1, v72
	v_lshlrev_b32_e32 v73, 30, v72
	v_lshlrev_b32_e32 v74, 29, v72
	v_lshlrev_b32_e32 v172, 28, v72
	v_lshlrev_b32_e32 v173, 27, v72
	v_add_co_u32 v71, s22, v71, -1
	v_cndmask_b32_e64 v171, 0, 1, s22
	v_not_b32_e32 v175, v73
	v_cmp_gt_i32_e64 s22, 0, v73
	v_not_b32_e32 v73, v74
	v_lshlrev_b32_e32 v174, 26, v72
	v_cmp_ne_u32_e32 vcc_lo, 0, v171
	v_ashrrev_i32_e32 v175, 31, v175
	v_lshlrev_b32_e32 v171, 25, v72
	v_ashrrev_i32_e32 v73, 31, v73
	v_xor_b32_e32 v71, vcc_lo, v71
	v_cmp_gt_i32_e32 vcc_lo, 0, v74
	v_not_b32_e32 v74, v172
	v_xor_b32_e32 v175, s22, v175
	v_cmp_gt_i32_e64 s22, 0, v172
	v_and_b32_e32 v71, exec_lo, v71
	v_not_b32_e32 v172, v173
	v_ashrrev_i32_e32 v74, 31, v74
	v_xor_b32_e32 v73, vcc_lo, v73
	v_cmp_gt_i32_e32 vcc_lo, 0, v173
	v_and_b32_e32 v71, v71, v175
	v_not_b32_e32 v173, v174
	v_ashrrev_i32_e32 v172, 31, v172
	v_xor_b32_e32 v74, s22, v74
	v_cmp_gt_i32_e64 s22, 0, v174
	v_and_b32_e32 v71, v71, v73
	v_not_b32_e32 v73, v171
	v_ashrrev_i32_e32 v173, 31, v173
	v_xor_b32_e32 v172, vcc_lo, v172
	v_cmp_gt_i32_e32 vcc_lo, 0, v171
	v_and_b32_e32 v71, v71, v74
	v_ashrrev_i32_e32 v73, 31, v73
	v_xor_b32_e32 v74, s22, v173
	v_mad_u32_u24 v171, v72, 36, v150
	v_mul_u32_u24_e32 v72, 36, v72
	v_and_b32_e32 v71, v71, v172
	v_xor_b32_e32 v73, vcc_lo, v73
	ds_read_b32 v171, v171 offset:544
	v_add_nc_u32_e32 v173, v150, v72
	v_and_b32_e32 v71, v71, v74
	; wave barrier
	v_and_b32_e32 v71, v71, v73
	v_mbcnt_lo_u32_b32 v172, v71, 0
	v_cmp_ne_u32_e64 s22, 0, v71
	v_cmp_eq_u32_e32 vcc_lo, 0, v172
	s_and_b32 s23, s22, vcc_lo
	s_and_saveexec_b32 s22, s23
	s_cbranch_execz .LBB810_136
; %bb.135:                              ;   in Loop: Header=BB810_96 Depth=2
	s_waitcnt lgkmcnt(0)
	v_bcnt_u32_b32 v71, v71, v171
	ds_write_b32 v173, v71 offset:544
.LBB810_136:                            ;   in Loop: Header=BB810_96 Depth=2
	s_or_b32 exec_lo, exec_lo, s22
	v_xor_b32_e32 v44, 0x80000000, v44
	; wave barrier
	v_lshrrev_b64 v[71:72], s47, v[43:44]
	v_and_b32_e32 v72, s63, v71
	v_and_b32_e32 v71, 1, v72
	v_lshlrev_b32_e32 v73, 30, v72
	v_lshlrev_b32_e32 v74, 29, v72
	v_lshlrev_b32_e32 v175, 28, v72
	v_lshlrev_b32_e32 v176, 27, v72
	v_add_co_u32 v71, s22, v71, -1
	v_cndmask_b32_e64 v174, 0, 1, s22
	v_not_b32_e32 v178, v73
	v_cmp_gt_i32_e64 s22, 0, v73
	v_not_b32_e32 v73, v74
	v_lshlrev_b32_e32 v177, 26, v72
	v_cmp_ne_u32_e32 vcc_lo, 0, v174
	v_ashrrev_i32_e32 v178, 31, v178
	v_lshlrev_b32_e32 v174, 25, v72
	v_ashrrev_i32_e32 v73, 31, v73
	v_xor_b32_e32 v71, vcc_lo, v71
	v_cmp_gt_i32_e32 vcc_lo, 0, v74
	v_not_b32_e32 v74, v175
	v_xor_b32_e32 v178, s22, v178
	v_cmp_gt_i32_e64 s22, 0, v175
	v_and_b32_e32 v71, exec_lo, v71
	v_not_b32_e32 v175, v176
	v_ashrrev_i32_e32 v74, 31, v74
	v_xor_b32_e32 v73, vcc_lo, v73
	v_cmp_gt_i32_e32 vcc_lo, 0, v176
	v_and_b32_e32 v71, v71, v178
	v_not_b32_e32 v176, v177
	v_ashrrev_i32_e32 v175, 31, v175
	v_xor_b32_e32 v74, s22, v74
	v_cmp_gt_i32_e64 s22, 0, v177
	v_and_b32_e32 v71, v71, v73
	v_not_b32_e32 v73, v174
	v_ashrrev_i32_e32 v176, 31, v176
	v_xor_b32_e32 v175, vcc_lo, v175
	v_cmp_gt_i32_e32 vcc_lo, 0, v174
	v_and_b32_e32 v71, v71, v74
	v_ashrrev_i32_e32 v73, 31, v73
	v_xor_b32_e32 v74, s22, v176
	v_mad_u32_u24 v174, v72, 36, v150
	v_mul_u32_u24_e32 v72, 36, v72
	v_and_b32_e32 v71, v71, v175
	v_xor_b32_e32 v73, vcc_lo, v73
	ds_read_b32 v174, v174 offset:544
	v_add_nc_u32_e32 v176, v150, v72
	v_and_b32_e32 v71, v71, v74
	; wave barrier
	v_and_b32_e32 v71, v71, v73
	v_mbcnt_lo_u32_b32 v175, v71, 0
	v_cmp_ne_u32_e64 s22, 0, v71
	v_cmp_eq_u32_e32 vcc_lo, 0, v175
	s_and_b32 s23, s22, vcc_lo
	s_and_saveexec_b32 s22, s23
	s_cbranch_execz .LBB810_138
; %bb.137:                              ;   in Loop: Header=BB810_96 Depth=2
	s_waitcnt lgkmcnt(0)
	v_bcnt_u32_b32 v71, v71, v174
	ds_write_b32 v176, v71 offset:544
.LBB810_138:                            ;   in Loop: Header=BB810_96 Depth=2
	;; [unrolled: 63-line block ×14, first 2 shown]
	s_or_b32 exec_lo, exec_lo, s22
	v_lshrrev_b64 v[71:72], s47, v[69:70]
	; wave barrier
	v_and_b32_e32 v72, s63, v71
	v_and_b32_e32 v71, 1, v72
	v_lshlrev_b32_e32 v73, 30, v72
	v_lshlrev_b32_e32 v74, 29, v72
	;; [unrolled: 1-line block ×4, first 2 shown]
	v_add_co_u32 v71, s22, v71, -1
	v_cndmask_b32_e64 v212, 0, 1, s22
	v_not_b32_e32 v217, v73
	v_cmp_gt_i32_e64 s22, 0, v73
	v_not_b32_e32 v73, v74
	v_lshlrev_b32_e32 v216, 26, v72
	v_cmp_ne_u32_e32 vcc_lo, 0, v212
	v_ashrrev_i32_e32 v217, 31, v217
	v_lshlrev_b32_e32 v212, 25, v72
	v_ashrrev_i32_e32 v73, 31, v73
	v_xor_b32_e32 v71, vcc_lo, v71
	v_cmp_gt_i32_e32 vcc_lo, 0, v74
	v_not_b32_e32 v74, v213
	v_xor_b32_e32 v217, s22, v217
	v_cmp_gt_i32_e64 s22, 0, v213
	v_and_b32_e32 v71, exec_lo, v71
	v_not_b32_e32 v213, v215
	v_ashrrev_i32_e32 v74, 31, v74
	v_xor_b32_e32 v73, vcc_lo, v73
	v_cmp_gt_i32_e32 vcc_lo, 0, v215
	v_and_b32_e32 v71, v71, v217
	v_not_b32_e32 v215, v216
	v_ashrrev_i32_e32 v213, 31, v213
	v_xor_b32_e32 v74, s22, v74
	v_cmp_gt_i32_e64 s22, 0, v216
	v_and_b32_e32 v71, v71, v73
	v_not_b32_e32 v73, v212
	v_ashrrev_i32_e32 v215, 31, v215
	v_xor_b32_e32 v213, vcc_lo, v213
	v_cmp_gt_i32_e32 vcc_lo, 0, v212
	v_and_b32_e32 v71, v71, v74
	v_ashrrev_i32_e32 v73, 31, v73
	v_xor_b32_e32 v74, s22, v215
	v_mad_u32_u24 v212, v72, 36, v150
	v_mul_u32_u24_e32 v72, 36, v72
	v_and_b32_e32 v71, v71, v213
	v_xor_b32_e32 v73, vcc_lo, v73
	ds_read_b32 v212, v212 offset:544
	v_add_nc_u32_e32 v215, v150, v72
	v_and_b32_e32 v71, v71, v74
	; wave barrier
	v_and_b32_e32 v71, v71, v73
	v_mbcnt_lo_u32_b32 v213, v71, 0
	v_cmp_ne_u32_e64 s22, 0, v71
	v_cmp_eq_u32_e32 vcc_lo, 0, v213
	s_and_b32 s23, s22, vcc_lo
	s_and_saveexec_b32 s22, s23
	s_cbranch_execz .LBB810_164
; %bb.163:                              ;   in Loop: Header=BB810_96 Depth=2
	s_waitcnt lgkmcnt(0)
	v_bcnt_u32_b32 v71, v71, v212
	ds_write_b32 v215, v71 offset:544
.LBB810_164:                            ;   in Loop: Header=BB810_96 Depth=2
	s_or_b32 exec_lo, exec_lo, s22
	; wave barrier
	s_waitcnt lgkmcnt(0)
	s_barrier
	buffer_gl0_inv
	ds_read2_b32 v[73:74], v100 offset0:136 offset1:137
	ds_read2_b32 v[71:72], v100 offset0:138 offset1:139
	ds_read_b32 v216, v100 offset:560
	s_waitcnt lgkmcnt(1)
	v_add3_u32 v217, v74, v73, v71
	s_waitcnt lgkmcnt(0)
	v_add3_u32 v216, v217, v72, v216
	v_mov_b32_dpp v217, v216 row_shr:1 row_mask:0xf bank_mask:0xf
	v_cndmask_b32_e64 v217, v217, 0, s5
	v_add_nc_u32_e32 v216, v217, v216
	v_mov_b32_dpp v217, v216 row_shr:2 row_mask:0xf bank_mask:0xf
	v_cndmask_b32_e64 v217, 0, v217, s14
	v_add_nc_u32_e32 v216, v216, v217
	;; [unrolled: 3-line block ×4, first 2 shown]
	ds_swizzle_b32 v217, v216 offset:swizzle(BROADCAST,32,15)
	s_waitcnt lgkmcnt(0)
	v_cndmask_b32_e64 v217, v217, 0, s17
	v_add_nc_u32_e32 v216, v216, v217
	s_and_saveexec_b32 s22, s4
; %bb.165:                              ;   in Loop: Header=BB810_96 Depth=2
	ds_write_b32 v94, v216 offset:512
; %bb.166:                              ;   in Loop: Header=BB810_96 Depth=2
	s_or_b32 exec_lo, exec_lo, s22
	s_waitcnt lgkmcnt(0)
	s_barrier
	buffer_gl0_inv
	s_and_saveexec_b32 s22, s11
	s_cbranch_execz .LBB810_168
; %bb.167:                              ;   in Loop: Header=BB810_96 Depth=2
	ds_read_b32 v217, v101 offset:512
	s_waitcnt lgkmcnt(0)
	v_mov_b32_dpp v218, v217 row_shr:1 row_mask:0xf bank_mask:0xf
	v_cndmask_b32_e64 v218, v218, 0, s19
	v_add_nc_u32_e32 v217, v218, v217
	v_mov_b32_dpp v218, v217 row_shr:2 row_mask:0xf bank_mask:0xf
	v_cndmask_b32_e64 v218, 0, v218, s20
	v_add_nc_u32_e32 v217, v217, v218
	;; [unrolled: 3-line block ×3, first 2 shown]
	ds_write_b32 v101, v217 offset:512
.LBB810_168:                            ;   in Loop: Header=BB810_96 Depth=2
	s_or_b32 exec_lo, exec_lo, s22
	v_mov_b32_e32 v217, 0
	s_waitcnt lgkmcnt(0)
	s_barrier
	buffer_gl0_inv
	s_and_saveexec_b32 s22, s10
; %bb.169:                              ;   in Loop: Header=BB810_96 Depth=2
	ds_read_b32 v217, v94 offset:508
; %bb.170:                              ;   in Loop: Header=BB810_96 Depth=2
	s_or_b32 exec_lo, exec_lo, s22
	s_waitcnt lgkmcnt(0)
	v_add_nc_u32_e32 v216, v217, v216
	ds_bpermute_b32 v216, v129, v216
	s_waitcnt lgkmcnt(0)
	v_cndmask_b32_e64 v216, v216, v217, s18
	v_cndmask_b32_e64 v216, v216, 0, s12
	v_add_nc_u32_e32 v73, v216, v73
	v_add_nc_u32_e32 v74, v73, v74
	;; [unrolled: 1-line block ×4, first 2 shown]
	ds_write2_b32 v100, v216, v73 offset0:136 offset1:137
	ds_write2_b32 v100, v74, v71 offset0:138 offset1:139
	ds_write_b32 v100, v72 offset:560
	s_waitcnt lgkmcnt(0)
	s_barrier
	buffer_gl0_inv
	ds_read_b32 v71, v170 offset:544
	ds_read_b32 v219, v173 offset:544
	;; [unrolled: 1-line block ×16, first 2 shown]
	s_and_saveexec_b32 s22, s7
	s_cbranch_execz .LBB810_174
; %bb.171:                              ;   in Loop: Header=BB810_96 Depth=2
	ds_read_b32 v165, v103 offset:544
	v_mov_b32_e32 v168, 0x1000
	s_and_saveexec_b32 s23, s13
; %bb.172:                              ;   in Loop: Header=BB810_96 Depth=2
	ds_read_b32 v168, v102 offset:544
; %bb.173:                              ;   in Loop: Header=BB810_96 Depth=2
	s_or_b32 exec_lo, exec_lo, s23
	s_waitcnt lgkmcnt(0)
	v_sub_nc_u32_e32 v168, v168, v165
.LBB810_174:                            ;   in Loop: Header=BB810_96 Depth=2
	s_or_b32 exec_lo, exec_lo, s22
	s_waitcnt lgkmcnt(0)
	s_barrier
	buffer_gl0_inv
	s_and_saveexec_b32 s22, s7
	s_cbranch_execz .LBB810_176
; %bb.175:                              ;   in Loop: Header=BB810_96 Depth=2
	ds_read_b32 v196, v75
	s_waitcnt lgkmcnt(0)
	v_sub_nc_u32_e32 v196, v196, v165
	ds_write_b32 v75, v196
.LBB810_176:                            ;   in Loop: Header=BB810_96 Depth=2
	s_or_b32 exec_lo, exec_lo, s22
	v_lshlrev_b32_e32 v3, 3, v3
	v_lshlrev_b32_e32 v172, 3, v172
	;; [unrolled: 1-line block ×5, first 2 shown]
	v_lshl_add_u32 v71, v71, 3, v3
	v_lshlrev_b32_e32 v3, 3, v174
	v_lshlrev_b32_e32 v174, 3, v72
	v_add3_u32 v72, v172, v171, v196
	v_lshlrev_b32_e32 v178, 3, v178
	ds_write_b64 v71, v[41:42] offset:512
	v_lshlrev_b32_e32 v42, 3, v177
	v_lshlrev_b32_e32 v171, 3, v218
	;; [unrolled: 1-line block ×8, first 2 shown]
	ds_write_b64 v72, v[39:40] offset:512
	v_add3_u32 v41, v175, v3, v174
	v_lshlrev_b32_e32 v3, 3, v187
	v_lshlrev_b32_e32 v39, 3, v186
	;; [unrolled: 1-line block ×3, first 2 shown]
	v_add3_u32 v42, v178, v42, v171
	v_add3_u32 v73, v172, v177, v74
	;; [unrolled: 1-line block ×3, first 2 shown]
	ds_write_b64 v41, v[43:44] offset:512
	ds_write_b64 v42, v[45:46] offset:512
	;; [unrolled: 1-line block ×4, first 2 shown]
	v_add3_u32 v43, v3, v39, v40
	v_lshlrev_b32_e32 v3, 3, v190
	v_lshlrev_b32_e32 v39, 3, v189
	;; [unrolled: 1-line block ×12, first 2 shown]
	v_add3_u32 v44, v3, v39, v40
	v_lshlrev_b32_e32 v3, 3, v201
	v_lshlrev_b32_e32 v39, 3, v200
	;; [unrolled: 1-line block ×3, first 2 shown]
	v_add3_u32 v45, v45, v46, v47
	v_add3_u32 v46, v48, v51, v52
	;; [unrolled: 1-line block ×3, first 2 shown]
	ds_write_b64 v43, v[49:50] offset:512
	ds_write_b64 v44, v[53:54] offset:512
	;; [unrolled: 1-line block ×5, first 2 shown]
	v_add3_u32 v48, v3, v39, v40
	v_lshlrev_b32_e32 v3, 3, v204
	v_lshlrev_b32_e32 v39, 3, v203
	;; [unrolled: 1-line block ×12, first 2 shown]
	v_add3_u32 v49, v3, v39, v40
	v_add3_u32 v50, v50, v51, v52
	;; [unrolled: 1-line block ×3, first 2 shown]
	v_cmp_lt_u32_e32 vcc_lo, v0, v169
	v_add3_u32 v52, v56, v57, v58
	ds_write_b64 v48, v[59:60] offset:512
	ds_write_b64 v49, v[63:64] offset:512
	;; [unrolled: 1-line block ×5, first 2 shown]
	s_waitcnt lgkmcnt(0)
	s_barrier
	buffer_gl0_inv
	s_and_saveexec_b32 s23, vcc_lo
	s_cbranch_execnz .LBB810_245
; %bb.177:                              ;   in Loop: Header=BB810_96 Depth=2
	s_or_b32 exec_lo, exec_lo, s23
	v_cmp_lt_u32_e64 s22, v76, v169
	s_and_saveexec_b32 s24, s22
	s_cbranch_execnz .LBB810_246
.LBB810_178:                            ;   in Loop: Header=BB810_96 Depth=2
	s_or_b32 exec_lo, exec_lo, s24
	v_cmp_lt_u32_e64 s23, v79, v169
	s_and_saveexec_b32 s25, s23
	s_cbranch_execnz .LBB810_247
.LBB810_179:                            ;   in Loop: Header=BB810_96 Depth=2
	s_or_b32 exec_lo, exec_lo, s25
	v_cmp_lt_u32_e64 s24, v80, v169
	s_and_saveexec_b32 s26, s24
	s_cbranch_execnz .LBB810_248
.LBB810_180:                            ;   in Loop: Header=BB810_96 Depth=2
	s_or_b32 exec_lo, exec_lo, s26
	v_cmp_lt_u32_e64 s25, v81, v169
	s_and_saveexec_b32 s28, s25
	s_cbranch_execnz .LBB810_249
.LBB810_181:                            ;   in Loop: Header=BB810_96 Depth=2
	s_or_b32 exec_lo, exec_lo, s28
	v_cmp_lt_u32_e64 s26, v82, v169
	s_and_saveexec_b32 s29, s26
	s_cbranch_execnz .LBB810_250
.LBB810_182:                            ;   in Loop: Header=BB810_96 Depth=2
	s_or_b32 exec_lo, exec_lo, s29
	v_cmp_lt_u32_e64 s28, v83, v169
	s_and_saveexec_b32 s30, s28
	s_cbranch_execnz .LBB810_251
.LBB810_183:                            ;   in Loop: Header=BB810_96 Depth=2
	s_or_b32 exec_lo, exec_lo, s30
	v_cmp_lt_u32_e64 s29, v84, v169
	s_and_saveexec_b32 s31, s29
	s_cbranch_execnz .LBB810_252
.LBB810_184:                            ;   in Loop: Header=BB810_96 Depth=2
	s_or_b32 exec_lo, exec_lo, s31
	v_cmp_lt_u32_e64 s30, v85, v169
	s_and_saveexec_b32 s33, s30
	s_cbranch_execnz .LBB810_253
.LBB810_185:                            ;   in Loop: Header=BB810_96 Depth=2
	s_or_b32 exec_lo, exec_lo, s33
	v_cmp_lt_u32_e64 s31, v86, v169
	s_and_saveexec_b32 s34, s31
	s_cbranch_execnz .LBB810_254
.LBB810_186:                            ;   in Loop: Header=BB810_96 Depth=2
	s_or_b32 exec_lo, exec_lo, s34
	v_cmp_lt_u32_e64 s33, v87, v169
	s_and_saveexec_b32 s35, s33
	s_cbranch_execnz .LBB810_255
.LBB810_187:                            ;   in Loop: Header=BB810_96 Depth=2
	s_or_b32 exec_lo, exec_lo, s35
	v_cmp_lt_u32_e64 s34, v88, v169
	s_and_saveexec_b32 s36, s34
	s_cbranch_execnz .LBB810_256
.LBB810_188:                            ;   in Loop: Header=BB810_96 Depth=2
	s_or_b32 exec_lo, exec_lo, s36
	v_cmp_lt_u32_e64 s35, v89, v169
	s_and_saveexec_b32 s37, s35
	s_cbranch_execnz .LBB810_257
.LBB810_189:                            ;   in Loop: Header=BB810_96 Depth=2
	s_or_b32 exec_lo, exec_lo, s37
	v_cmp_lt_u32_e64 s36, v90, v169
	s_and_saveexec_b32 s38, s36
	s_cbranch_execnz .LBB810_258
.LBB810_190:                            ;   in Loop: Header=BB810_96 Depth=2
	s_or_b32 exec_lo, exec_lo, s38
	v_cmp_lt_u32_e64 s37, v91, v169
	s_and_saveexec_b32 s39, s37
	s_cbranch_execnz .LBB810_259
.LBB810_191:                            ;   in Loop: Header=BB810_96 Depth=2
	s_or_b32 exec_lo, exec_lo, s39
	v_cmp_lt_u32_e64 s38, v92, v169
	s_and_saveexec_b32 s66, s38
	s_cbranch_execz .LBB810_193
.LBB810_192:                            ;   in Loop: Header=BB810_96 Depth=2
	ds_read_b64 v[39:40], v108 offset:31232
	s_waitcnt lgkmcnt(0)
	v_lshrrev_b64 v[53:54], s47, v[39:40]
	v_xor_b32_e32 v40, 0x80000000, v40
	v_and_b32_e32 v3, s63, v53
	v_lshlrev_b32_e32 v3, 2, v3
	ds_read_b32 v3, v3
	s_waitcnt lgkmcnt(0)
	v_add_nc_u32_e32 v3, v3, v92
	v_lshlrev_b64 v[53:54], 3, v[3:4]
	v_add_co_u32 v53, s39, s42, v53
	v_add_co_ci_u32_e64 v54, null, s43, v54, s39
	global_store_dwordx2 v[53:54], v[39:40], off
.LBB810_193:                            ;   in Loop: Header=BB810_96 Depth=2
	s_or_b32 exec_lo, exec_lo, s66
	s_lshl_b64 s[66:67], s[56:57], 3
	v_add_co_u32 v39, s39, v131, s66
	v_add_co_ci_u32_e64 v40, null, s67, v132, s39
	v_cmp_lt_u32_e64 s39, v130, v169
	s_and_saveexec_b32 s56, s39
	s_xor_b32 s39, exec_lo, s56
	s_cbranch_execnz .LBB810_260
; %bb.194:                              ;   in Loop: Header=BB810_96 Depth=2
	s_or_b32 exec_lo, exec_lo, s39
	s_mov_b32 s56, exec_lo
	v_cmpx_lt_u32_e64 v133, v169
	s_cbranch_execnz .LBB810_261
.LBB810_195:                            ;   in Loop: Header=BB810_96 Depth=2
	s_or_b32 exec_lo, exec_lo, s56
	s_mov_b32 s56, exec_lo
	v_cmpx_lt_u32_e64 v134, v169
	s_cbranch_execnz .LBB810_262
.LBB810_196:                            ;   in Loop: Header=BB810_96 Depth=2
	s_or_b32 exec_lo, exec_lo, s56
	s_mov_b32 s56, exec_lo
	v_cmpx_lt_u32_e64 v135, v169
	s_cbranch_execnz .LBB810_263
.LBB810_197:                            ;   in Loop: Header=BB810_96 Depth=2
	s_or_b32 exec_lo, exec_lo, s56
	s_mov_b32 s56, exec_lo
	v_cmpx_lt_u32_e64 v136, v169
	s_cbranch_execnz .LBB810_264
.LBB810_198:                            ;   in Loop: Header=BB810_96 Depth=2
	s_or_b32 exec_lo, exec_lo, s56
	s_mov_b32 s56, exec_lo
	v_cmpx_lt_u32_e64 v137, v169
	s_cbranch_execnz .LBB810_265
.LBB810_199:                            ;   in Loop: Header=BB810_96 Depth=2
	s_or_b32 exec_lo, exec_lo, s56
	s_mov_b32 s56, exec_lo
	v_cmpx_lt_u32_e64 v138, v169
	s_cbranch_execnz .LBB810_266
.LBB810_200:                            ;   in Loop: Header=BB810_96 Depth=2
	s_or_b32 exec_lo, exec_lo, s56
	s_mov_b32 s56, exec_lo
	v_cmpx_lt_u32_e64 v139, v169
	s_cbranch_execnz .LBB810_267
.LBB810_201:                            ;   in Loop: Header=BB810_96 Depth=2
	s_or_b32 exec_lo, exec_lo, s56
	s_mov_b32 s56, exec_lo
	v_cmpx_lt_u32_e64 v140, v169
	s_cbranch_execnz .LBB810_268
.LBB810_202:                            ;   in Loop: Header=BB810_96 Depth=2
	s_or_b32 exec_lo, exec_lo, s56
	s_mov_b32 s56, exec_lo
	v_cmpx_lt_u32_e64 v141, v169
	s_cbranch_execnz .LBB810_269
.LBB810_203:                            ;   in Loop: Header=BB810_96 Depth=2
	s_or_b32 exec_lo, exec_lo, s56
	s_mov_b32 s56, exec_lo
	v_cmpx_lt_u32_e64 v142, v169
	s_cbranch_execnz .LBB810_270
.LBB810_204:                            ;   in Loop: Header=BB810_96 Depth=2
	s_or_b32 exec_lo, exec_lo, s56
	s_mov_b32 s56, exec_lo
	v_cmpx_lt_u32_e64 v143, v169
	s_cbranch_execnz .LBB810_271
.LBB810_205:                            ;   in Loop: Header=BB810_96 Depth=2
	s_or_b32 exec_lo, exec_lo, s56
	s_mov_b32 s56, exec_lo
	v_cmpx_lt_u32_e64 v144, v169
	s_cbranch_execnz .LBB810_272
.LBB810_206:                            ;   in Loop: Header=BB810_96 Depth=2
	s_or_b32 exec_lo, exec_lo, s56
	s_mov_b32 s56, exec_lo
	v_cmpx_lt_u32_e64 v145, v169
	s_cbranch_execnz .LBB810_273
.LBB810_207:                            ;   in Loop: Header=BB810_96 Depth=2
	s_or_b32 exec_lo, exec_lo, s56
	s_mov_b32 s56, exec_lo
	v_cmpx_lt_u32_e64 v146, v169
	s_cbranch_execnz .LBB810_274
.LBB810_208:                            ;   in Loop: Header=BB810_96 Depth=2
	s_or_b32 exec_lo, exec_lo, s56
	s_mov_b32 s56, exec_lo
	v_cmpx_lt_u32_e64 v147, v169
	s_cbranch_execnz .LBB810_275
.LBB810_209:                            ;   in Loop: Header=BB810_96 Depth=2
	s_or_b32 exec_lo, exec_lo, s56
	s_and_saveexec_b32 s39, vcc_lo
	s_cbranch_execnz .LBB810_276
.LBB810_210:                            ;   in Loop: Header=BB810_96 Depth=2
	s_or_b32 exec_lo, exec_lo, s39
	s_and_saveexec_b32 s39, s22
	s_cbranch_execnz .LBB810_277
.LBB810_211:                            ;   in Loop: Header=BB810_96 Depth=2
	s_or_b32 exec_lo, exec_lo, s39
	s_and_saveexec_b32 s39, s23
	s_cbranch_execnz .LBB810_278
.LBB810_212:                            ;   in Loop: Header=BB810_96 Depth=2
	s_or_b32 exec_lo, exec_lo, s39
	s_and_saveexec_b32 s39, s24
	s_cbranch_execnz .LBB810_279
.LBB810_213:                            ;   in Loop: Header=BB810_96 Depth=2
	s_or_b32 exec_lo, exec_lo, s39
	s_and_saveexec_b32 s39, s25
	s_cbranch_execnz .LBB810_280
.LBB810_214:                            ;   in Loop: Header=BB810_96 Depth=2
	s_or_b32 exec_lo, exec_lo, s39
	s_and_saveexec_b32 s39, s26
	s_cbranch_execnz .LBB810_281
.LBB810_215:                            ;   in Loop: Header=BB810_96 Depth=2
	s_or_b32 exec_lo, exec_lo, s39
	s_and_saveexec_b32 s39, s28
	s_cbranch_execnz .LBB810_282
.LBB810_216:                            ;   in Loop: Header=BB810_96 Depth=2
	s_or_b32 exec_lo, exec_lo, s39
	s_and_saveexec_b32 s39, s29
	s_cbranch_execnz .LBB810_283
.LBB810_217:                            ;   in Loop: Header=BB810_96 Depth=2
	s_or_b32 exec_lo, exec_lo, s39
	s_and_saveexec_b32 s39, s30
	s_cbranch_execnz .LBB810_284
.LBB810_218:                            ;   in Loop: Header=BB810_96 Depth=2
	s_or_b32 exec_lo, exec_lo, s39
	s_and_saveexec_b32 s39, s31
	s_cbranch_execnz .LBB810_285
.LBB810_219:                            ;   in Loop: Header=BB810_96 Depth=2
	s_or_b32 exec_lo, exec_lo, s39
	s_and_saveexec_b32 s39, s33
	s_cbranch_execnz .LBB810_286
.LBB810_220:                            ;   in Loop: Header=BB810_96 Depth=2
	s_or_b32 exec_lo, exec_lo, s39
	s_and_saveexec_b32 s39, s34
	s_cbranch_execnz .LBB810_287
.LBB810_221:                            ;   in Loop: Header=BB810_96 Depth=2
	s_or_b32 exec_lo, exec_lo, s39
	s_and_saveexec_b32 s39, s35
	s_cbranch_execnz .LBB810_288
.LBB810_222:                            ;   in Loop: Header=BB810_96 Depth=2
	s_or_b32 exec_lo, exec_lo, s39
	s_and_saveexec_b32 s39, s36
	s_cbranch_execnz .LBB810_289
.LBB810_223:                            ;   in Loop: Header=BB810_96 Depth=2
	s_or_b32 exec_lo, exec_lo, s39
	s_and_saveexec_b32 s39, s37
	s_cbranch_execnz .LBB810_290
.LBB810_224:                            ;   in Loop: Header=BB810_96 Depth=2
	s_or_b32 exec_lo, exec_lo, s39
	s_and_saveexec_b32 s39, s38
	s_cbranch_execz .LBB810_226
.LBB810_225:                            ;   in Loop: Header=BB810_96 Depth=2
	ds_read_b64 v[39:40], v108 offset:31232
	s_waitcnt lgkmcnt(0)
	v_lshrrev_b64 v[39:40], s47, v[39:40]
	v_and_b32_e32 v151, s63, v39
.LBB810_226:                            ;   in Loop: Header=BB810_96 Depth=2
	s_or_b32 exec_lo, exec_lo, s39
	s_waitcnt vmcnt(0)
	s_waitcnt_vscnt null, 0x0
	s_barrier
	buffer_gl0_inv
	ds_write_b64 v71, v[37:38] offset:512
	ds_write_b64 v72, v[35:36] offset:512
	;; [unrolled: 1-line block ×16, first 2 shown]
	s_waitcnt lgkmcnt(0)
	s_barrier
	buffer_gl0_inv
	s_and_saveexec_b32 s39, vcc_lo
	s_cbranch_execnz .LBB810_291
; %bb.227:                              ;   in Loop: Header=BB810_96 Depth=2
	s_or_b32 exec_lo, exec_lo, s39
	s_and_saveexec_b32 s39, s22
	s_cbranch_execnz .LBB810_292
.LBB810_228:                            ;   in Loop: Header=BB810_96 Depth=2
	s_or_b32 exec_lo, exec_lo, s39
	s_and_saveexec_b32 s22, s23
	s_cbranch_execnz .LBB810_293
.LBB810_229:                            ;   in Loop: Header=BB810_96 Depth=2
	s_or_b32 exec_lo, exec_lo, s22
	s_and_saveexec_b32 s22, s24
	s_cbranch_execnz .LBB810_294
.LBB810_230:                            ;   in Loop: Header=BB810_96 Depth=2
	s_or_b32 exec_lo, exec_lo, s22
	s_and_saveexec_b32 s22, s25
	s_cbranch_execnz .LBB810_295
.LBB810_231:                            ;   in Loop: Header=BB810_96 Depth=2
	s_or_b32 exec_lo, exec_lo, s22
	s_and_saveexec_b32 s22, s26
	s_cbranch_execnz .LBB810_296
.LBB810_232:                            ;   in Loop: Header=BB810_96 Depth=2
	s_or_b32 exec_lo, exec_lo, s22
	s_and_saveexec_b32 s22, s28
	s_cbranch_execnz .LBB810_297
.LBB810_233:                            ;   in Loop: Header=BB810_96 Depth=2
	s_or_b32 exec_lo, exec_lo, s22
	s_and_saveexec_b32 s22, s29
	s_cbranch_execnz .LBB810_298
.LBB810_234:                            ;   in Loop: Header=BB810_96 Depth=2
	s_or_b32 exec_lo, exec_lo, s22
	s_and_saveexec_b32 s22, s30
	s_cbranch_execnz .LBB810_299
.LBB810_235:                            ;   in Loop: Header=BB810_96 Depth=2
	s_or_b32 exec_lo, exec_lo, s22
	s_and_saveexec_b32 s22, s31
	s_cbranch_execnz .LBB810_300
.LBB810_236:                            ;   in Loop: Header=BB810_96 Depth=2
	s_or_b32 exec_lo, exec_lo, s22
	s_and_saveexec_b32 s22, s33
	s_cbranch_execnz .LBB810_301
.LBB810_237:                            ;   in Loop: Header=BB810_96 Depth=2
	s_or_b32 exec_lo, exec_lo, s22
	s_and_saveexec_b32 s22, s34
	s_cbranch_execnz .LBB810_302
.LBB810_238:                            ;   in Loop: Header=BB810_96 Depth=2
	s_or_b32 exec_lo, exec_lo, s22
	s_and_saveexec_b32 s22, s35
	s_cbranch_execnz .LBB810_303
.LBB810_239:                            ;   in Loop: Header=BB810_96 Depth=2
	s_or_b32 exec_lo, exec_lo, s22
	s_and_saveexec_b32 s22, s36
	s_cbranch_execnz .LBB810_304
.LBB810_240:                            ;   in Loop: Header=BB810_96 Depth=2
	s_or_b32 exec_lo, exec_lo, s22
	s_and_saveexec_b32 s22, s37
	s_cbranch_execnz .LBB810_305
.LBB810_241:                            ;   in Loop: Header=BB810_96 Depth=2
	s_or_b32 exec_lo, exec_lo, s22
	s_and_saveexec_b32 s22, s38
	s_cbranch_execz .LBB810_243
.LBB810_242:                            ;   in Loop: Header=BB810_96 Depth=2
	v_lshlrev_b32_e32 v3, 2, v151
	ds_read_b32 v3, v3
	ds_read_b64 v[39:40], v108 offset:31232
	s_waitcnt lgkmcnt(1)
	v_add_nc_u32_e32 v3, v3, v92
	v_lshlrev_b64 v[41:42], 3, v[3:4]
	v_add_co_u32 v41, vcc_lo, s48, v41
	v_add_co_ci_u32_e64 v42, null, s49, v42, vcc_lo
	s_waitcnt lgkmcnt(0)
	global_store_dwordx2 v[41:42], v[39:40], off
.LBB810_243:                            ;   in Loop: Header=BB810_96 Depth=2
	s_or_b32 exec_lo, exec_lo, s22
	s_waitcnt_vscnt null, 0x0
	s_barrier
	buffer_gl0_inv
	s_and_saveexec_b32 s22, s7
	s_cbranch_execz .LBB810_95
; %bb.244:                              ;   in Loop: Header=BB810_96 Depth=2
	ds_read_b32 v3, v75
	s_waitcnt lgkmcnt(0)
	v_add3_u32 v3, v165, v168, v3
	ds_write_b32 v75, v3
	s_branch .LBB810_95
.LBB810_245:                            ;   in Loop: Header=BB810_96 Depth=2
	ds_read_b64 v[39:40], v108 offset:512
	s_waitcnt lgkmcnt(0)
	v_lshrrev_b64 v[53:54], s47, v[39:40]
	v_xor_b32_e32 v40, 0x80000000, v40
	v_and_b32_e32 v3, s63, v53
	v_lshlrev_b32_e32 v3, 2, v3
	ds_read_b32 v3, v3
	s_waitcnt lgkmcnt(0)
	v_add_nc_u32_e32 v3, v3, v0
	v_lshlrev_b64 v[53:54], 3, v[3:4]
	v_add_co_u32 v53, s22, s42, v53
	v_add_co_ci_u32_e64 v54, null, s43, v54, s22
	global_store_dwordx2 v[53:54], v[39:40], off
	s_or_b32 exec_lo, exec_lo, s23
	v_cmp_lt_u32_e64 s22, v76, v169
	s_and_saveexec_b32 s24, s22
	s_cbranch_execz .LBB810_178
.LBB810_246:                            ;   in Loop: Header=BB810_96 Depth=2
	ds_read_b64 v[39:40], v108 offset:2560
	s_waitcnt lgkmcnt(0)
	v_lshrrev_b64 v[53:54], s47, v[39:40]
	v_xor_b32_e32 v40, 0x80000000, v40
	v_and_b32_e32 v3, s63, v53
	v_lshlrev_b32_e32 v3, 2, v3
	ds_read_b32 v3, v3
	s_waitcnt lgkmcnt(0)
	v_add_nc_u32_e32 v3, v3, v76
	v_lshlrev_b64 v[53:54], 3, v[3:4]
	v_add_co_u32 v53, s23, s42, v53
	v_add_co_ci_u32_e64 v54, null, s43, v54, s23
	global_store_dwordx2 v[53:54], v[39:40], off
	s_or_b32 exec_lo, exec_lo, s24
	v_cmp_lt_u32_e64 s23, v79, v169
	s_and_saveexec_b32 s25, s23
	s_cbranch_execz .LBB810_179
.LBB810_247:                            ;   in Loop: Header=BB810_96 Depth=2
	ds_read_b64 v[39:40], v108 offset:4608
	s_waitcnt lgkmcnt(0)
	v_lshrrev_b64 v[53:54], s47, v[39:40]
	v_xor_b32_e32 v40, 0x80000000, v40
	v_and_b32_e32 v3, s63, v53
	v_lshlrev_b32_e32 v3, 2, v3
	ds_read_b32 v3, v3
	s_waitcnt lgkmcnt(0)
	v_add_nc_u32_e32 v3, v3, v79
	v_lshlrev_b64 v[53:54], 3, v[3:4]
	v_add_co_u32 v53, s24, s42, v53
	v_add_co_ci_u32_e64 v54, null, s43, v54, s24
	global_store_dwordx2 v[53:54], v[39:40], off
	s_or_b32 exec_lo, exec_lo, s25
	v_cmp_lt_u32_e64 s24, v80, v169
	s_and_saveexec_b32 s26, s24
	s_cbranch_execz .LBB810_180
.LBB810_248:                            ;   in Loop: Header=BB810_96 Depth=2
	ds_read_b64 v[39:40], v108 offset:6656
	s_waitcnt lgkmcnt(0)
	v_lshrrev_b64 v[53:54], s47, v[39:40]
	v_xor_b32_e32 v40, 0x80000000, v40
	v_and_b32_e32 v3, s63, v53
	v_lshlrev_b32_e32 v3, 2, v3
	ds_read_b32 v3, v3
	s_waitcnt lgkmcnt(0)
	v_add_nc_u32_e32 v3, v3, v80
	v_lshlrev_b64 v[53:54], 3, v[3:4]
	v_add_co_u32 v53, s25, s42, v53
	v_add_co_ci_u32_e64 v54, null, s43, v54, s25
	global_store_dwordx2 v[53:54], v[39:40], off
	s_or_b32 exec_lo, exec_lo, s26
	v_cmp_lt_u32_e64 s25, v81, v169
	s_and_saveexec_b32 s28, s25
	s_cbranch_execz .LBB810_181
.LBB810_249:                            ;   in Loop: Header=BB810_96 Depth=2
	ds_read_b64 v[39:40], v108 offset:8704
	s_waitcnt lgkmcnt(0)
	v_lshrrev_b64 v[53:54], s47, v[39:40]
	v_xor_b32_e32 v40, 0x80000000, v40
	v_and_b32_e32 v3, s63, v53
	v_lshlrev_b32_e32 v3, 2, v3
	ds_read_b32 v3, v3
	s_waitcnt lgkmcnt(0)
	v_add_nc_u32_e32 v3, v3, v81
	v_lshlrev_b64 v[53:54], 3, v[3:4]
	v_add_co_u32 v53, s26, s42, v53
	v_add_co_ci_u32_e64 v54, null, s43, v54, s26
	global_store_dwordx2 v[53:54], v[39:40], off
	s_or_b32 exec_lo, exec_lo, s28
	v_cmp_lt_u32_e64 s26, v82, v169
	s_and_saveexec_b32 s29, s26
	s_cbranch_execz .LBB810_182
.LBB810_250:                            ;   in Loop: Header=BB810_96 Depth=2
	ds_read_b64 v[39:40], v108 offset:10752
	s_waitcnt lgkmcnt(0)
	v_lshrrev_b64 v[53:54], s47, v[39:40]
	v_xor_b32_e32 v40, 0x80000000, v40
	v_and_b32_e32 v3, s63, v53
	v_lshlrev_b32_e32 v3, 2, v3
	ds_read_b32 v3, v3
	s_waitcnt lgkmcnt(0)
	v_add_nc_u32_e32 v3, v3, v82
	v_lshlrev_b64 v[53:54], 3, v[3:4]
	v_add_co_u32 v53, s28, s42, v53
	v_add_co_ci_u32_e64 v54, null, s43, v54, s28
	global_store_dwordx2 v[53:54], v[39:40], off
	s_or_b32 exec_lo, exec_lo, s29
	v_cmp_lt_u32_e64 s28, v83, v169
	s_and_saveexec_b32 s30, s28
	s_cbranch_execz .LBB810_183
.LBB810_251:                            ;   in Loop: Header=BB810_96 Depth=2
	ds_read_b64 v[39:40], v108 offset:12800
	s_waitcnt lgkmcnt(0)
	v_lshrrev_b64 v[53:54], s47, v[39:40]
	v_xor_b32_e32 v40, 0x80000000, v40
	v_and_b32_e32 v3, s63, v53
	v_lshlrev_b32_e32 v3, 2, v3
	ds_read_b32 v3, v3
	s_waitcnt lgkmcnt(0)
	v_add_nc_u32_e32 v3, v3, v83
	v_lshlrev_b64 v[53:54], 3, v[3:4]
	v_add_co_u32 v53, s29, s42, v53
	v_add_co_ci_u32_e64 v54, null, s43, v54, s29
	global_store_dwordx2 v[53:54], v[39:40], off
	s_or_b32 exec_lo, exec_lo, s30
	v_cmp_lt_u32_e64 s29, v84, v169
	s_and_saveexec_b32 s31, s29
	s_cbranch_execz .LBB810_184
.LBB810_252:                            ;   in Loop: Header=BB810_96 Depth=2
	ds_read_b64 v[39:40], v108 offset:14848
	s_waitcnt lgkmcnt(0)
	v_lshrrev_b64 v[53:54], s47, v[39:40]
	v_xor_b32_e32 v40, 0x80000000, v40
	v_and_b32_e32 v3, s63, v53
	v_lshlrev_b32_e32 v3, 2, v3
	ds_read_b32 v3, v3
	s_waitcnt lgkmcnt(0)
	v_add_nc_u32_e32 v3, v3, v84
	v_lshlrev_b64 v[53:54], 3, v[3:4]
	v_add_co_u32 v53, s30, s42, v53
	v_add_co_ci_u32_e64 v54, null, s43, v54, s30
	global_store_dwordx2 v[53:54], v[39:40], off
	s_or_b32 exec_lo, exec_lo, s31
	v_cmp_lt_u32_e64 s30, v85, v169
	s_and_saveexec_b32 s33, s30
	s_cbranch_execz .LBB810_185
.LBB810_253:                            ;   in Loop: Header=BB810_96 Depth=2
	ds_read_b64 v[39:40], v108 offset:16896
	s_waitcnt lgkmcnt(0)
	v_lshrrev_b64 v[53:54], s47, v[39:40]
	v_xor_b32_e32 v40, 0x80000000, v40
	v_and_b32_e32 v3, s63, v53
	v_lshlrev_b32_e32 v3, 2, v3
	ds_read_b32 v3, v3
	s_waitcnt lgkmcnt(0)
	v_add_nc_u32_e32 v3, v3, v85
	v_lshlrev_b64 v[53:54], 3, v[3:4]
	v_add_co_u32 v53, s31, s42, v53
	v_add_co_ci_u32_e64 v54, null, s43, v54, s31
	global_store_dwordx2 v[53:54], v[39:40], off
	s_or_b32 exec_lo, exec_lo, s33
	v_cmp_lt_u32_e64 s31, v86, v169
	s_and_saveexec_b32 s34, s31
	s_cbranch_execz .LBB810_186
.LBB810_254:                            ;   in Loop: Header=BB810_96 Depth=2
	ds_read_b64 v[39:40], v108 offset:18944
	s_waitcnt lgkmcnt(0)
	v_lshrrev_b64 v[53:54], s47, v[39:40]
	v_xor_b32_e32 v40, 0x80000000, v40
	v_and_b32_e32 v3, s63, v53
	v_lshlrev_b32_e32 v3, 2, v3
	ds_read_b32 v3, v3
	s_waitcnt lgkmcnt(0)
	v_add_nc_u32_e32 v3, v3, v86
	v_lshlrev_b64 v[53:54], 3, v[3:4]
	v_add_co_u32 v53, s33, s42, v53
	v_add_co_ci_u32_e64 v54, null, s43, v54, s33
	global_store_dwordx2 v[53:54], v[39:40], off
	s_or_b32 exec_lo, exec_lo, s34
	v_cmp_lt_u32_e64 s33, v87, v169
	s_and_saveexec_b32 s35, s33
	s_cbranch_execz .LBB810_187
.LBB810_255:                            ;   in Loop: Header=BB810_96 Depth=2
	ds_read_b64 v[39:40], v108 offset:20992
	s_waitcnt lgkmcnt(0)
	v_lshrrev_b64 v[53:54], s47, v[39:40]
	v_xor_b32_e32 v40, 0x80000000, v40
	v_and_b32_e32 v3, s63, v53
	v_lshlrev_b32_e32 v3, 2, v3
	ds_read_b32 v3, v3
	s_waitcnt lgkmcnt(0)
	v_add_nc_u32_e32 v3, v3, v87
	v_lshlrev_b64 v[53:54], 3, v[3:4]
	v_add_co_u32 v53, s34, s42, v53
	v_add_co_ci_u32_e64 v54, null, s43, v54, s34
	global_store_dwordx2 v[53:54], v[39:40], off
	s_or_b32 exec_lo, exec_lo, s35
	v_cmp_lt_u32_e64 s34, v88, v169
	s_and_saveexec_b32 s36, s34
	s_cbranch_execz .LBB810_188
.LBB810_256:                            ;   in Loop: Header=BB810_96 Depth=2
	ds_read_b64 v[39:40], v108 offset:23040
	s_waitcnt lgkmcnt(0)
	v_lshrrev_b64 v[53:54], s47, v[39:40]
	v_xor_b32_e32 v40, 0x80000000, v40
	v_and_b32_e32 v3, s63, v53
	v_lshlrev_b32_e32 v3, 2, v3
	ds_read_b32 v3, v3
	s_waitcnt lgkmcnt(0)
	v_add_nc_u32_e32 v3, v3, v88
	v_lshlrev_b64 v[53:54], 3, v[3:4]
	v_add_co_u32 v53, s35, s42, v53
	v_add_co_ci_u32_e64 v54, null, s43, v54, s35
	global_store_dwordx2 v[53:54], v[39:40], off
	s_or_b32 exec_lo, exec_lo, s36
	v_cmp_lt_u32_e64 s35, v89, v169
	s_and_saveexec_b32 s37, s35
	s_cbranch_execz .LBB810_189
.LBB810_257:                            ;   in Loop: Header=BB810_96 Depth=2
	ds_read_b64 v[39:40], v108 offset:25088
	s_waitcnt lgkmcnt(0)
	v_lshrrev_b64 v[53:54], s47, v[39:40]
	v_xor_b32_e32 v40, 0x80000000, v40
	v_and_b32_e32 v3, s63, v53
	v_lshlrev_b32_e32 v3, 2, v3
	ds_read_b32 v3, v3
	s_waitcnt lgkmcnt(0)
	v_add_nc_u32_e32 v3, v3, v89
	v_lshlrev_b64 v[53:54], 3, v[3:4]
	v_add_co_u32 v53, s36, s42, v53
	v_add_co_ci_u32_e64 v54, null, s43, v54, s36
	global_store_dwordx2 v[53:54], v[39:40], off
	s_or_b32 exec_lo, exec_lo, s37
	v_cmp_lt_u32_e64 s36, v90, v169
	s_and_saveexec_b32 s38, s36
	s_cbranch_execz .LBB810_190
.LBB810_258:                            ;   in Loop: Header=BB810_96 Depth=2
	ds_read_b64 v[39:40], v108 offset:27136
	s_waitcnt lgkmcnt(0)
	v_lshrrev_b64 v[53:54], s47, v[39:40]
	v_xor_b32_e32 v40, 0x80000000, v40
	v_and_b32_e32 v3, s63, v53
	v_lshlrev_b32_e32 v3, 2, v3
	ds_read_b32 v3, v3
	s_waitcnt lgkmcnt(0)
	v_add_nc_u32_e32 v3, v3, v90
	v_lshlrev_b64 v[53:54], 3, v[3:4]
	v_add_co_u32 v53, s37, s42, v53
	v_add_co_ci_u32_e64 v54, null, s43, v54, s37
	global_store_dwordx2 v[53:54], v[39:40], off
	s_or_b32 exec_lo, exec_lo, s38
	v_cmp_lt_u32_e64 s37, v91, v169
	s_and_saveexec_b32 s39, s37
	s_cbranch_execz .LBB810_191
.LBB810_259:                            ;   in Loop: Header=BB810_96 Depth=2
	ds_read_b64 v[39:40], v108 offset:29184
	s_waitcnt lgkmcnt(0)
	v_lshrrev_b64 v[53:54], s47, v[39:40]
	v_xor_b32_e32 v40, 0x80000000, v40
	v_and_b32_e32 v3, s63, v53
	v_lshlrev_b32_e32 v3, 2, v3
	ds_read_b32 v3, v3
	s_waitcnt lgkmcnt(0)
	v_add_nc_u32_e32 v3, v3, v91
	v_lshlrev_b64 v[53:54], 3, v[3:4]
	v_add_co_u32 v53, s38, s42, v53
	v_add_co_ci_u32_e64 v54, null, s43, v54, s38
	global_store_dwordx2 v[53:54], v[39:40], off
	s_or_b32 exec_lo, exec_lo, s39
	v_cmp_lt_u32_e64 s38, v92, v169
	s_and_saveexec_b32 s66, s38
	s_cbranch_execnz .LBB810_192
	s_branch .LBB810_193
.LBB810_260:                            ;   in Loop: Header=BB810_96 Depth=2
	global_load_dwordx2 v[37:38], v[39:40], off
	s_or_b32 exec_lo, exec_lo, s39
	s_mov_b32 s56, exec_lo
	v_cmpx_lt_u32_e64 v133, v169
	s_cbranch_execz .LBB810_195
.LBB810_261:                            ;   in Loop: Header=BB810_96 Depth=2
	global_load_dwordx2 v[35:36], v[39:40], off offset:256
	s_or_b32 exec_lo, exec_lo, s56
	s_mov_b32 s56, exec_lo
	v_cmpx_lt_u32_e64 v134, v169
	s_cbranch_execz .LBB810_196
.LBB810_262:                            ;   in Loop: Header=BB810_96 Depth=2
	global_load_dwordx2 v[33:34], v[39:40], off offset:512
	s_or_b32 exec_lo, exec_lo, s56
	s_mov_b32 s56, exec_lo
	v_cmpx_lt_u32_e64 v135, v169
	s_cbranch_execz .LBB810_197
.LBB810_263:                            ;   in Loop: Header=BB810_96 Depth=2
	global_load_dwordx2 v[31:32], v[39:40], off offset:768
	s_or_b32 exec_lo, exec_lo, s56
	s_mov_b32 s56, exec_lo
	v_cmpx_lt_u32_e64 v136, v169
	s_cbranch_execz .LBB810_198
.LBB810_264:                            ;   in Loop: Header=BB810_96 Depth=2
	global_load_dwordx2 v[29:30], v[39:40], off offset:1024
	s_or_b32 exec_lo, exec_lo, s56
	s_mov_b32 s56, exec_lo
	v_cmpx_lt_u32_e64 v137, v169
	s_cbranch_execz .LBB810_199
.LBB810_265:                            ;   in Loop: Header=BB810_96 Depth=2
	global_load_dwordx2 v[25:26], v[39:40], off offset:1280
	s_or_b32 exec_lo, exec_lo, s56
	s_mov_b32 s56, exec_lo
	v_cmpx_lt_u32_e64 v138, v169
	s_cbranch_execz .LBB810_200
.LBB810_266:                            ;   in Loop: Header=BB810_96 Depth=2
	global_load_dwordx2 v[21:22], v[39:40], off offset:1536
	s_or_b32 exec_lo, exec_lo, s56
	s_mov_b32 s56, exec_lo
	v_cmpx_lt_u32_e64 v139, v169
	s_cbranch_execz .LBB810_201
.LBB810_267:                            ;   in Loop: Header=BB810_96 Depth=2
	global_load_dwordx2 v[17:18], v[39:40], off offset:1792
	s_or_b32 exec_lo, exec_lo, s56
	s_mov_b32 s56, exec_lo
	v_cmpx_lt_u32_e64 v140, v169
	s_cbranch_execz .LBB810_202
.LBB810_268:                            ;   in Loop: Header=BB810_96 Depth=2
	v_add_co_u32 v27, s39, 0x800, v39
	v_add_co_ci_u32_e64 v28, null, 0, v40, s39
	global_load_dwordx2 v[27:28], v[27:28], off
	s_or_b32 exec_lo, exec_lo, s56
	s_mov_b32 s56, exec_lo
	v_cmpx_lt_u32_e64 v141, v169
	s_cbranch_execz .LBB810_203
.LBB810_269:                            ;   in Loop: Header=BB810_96 Depth=2
	v_add_co_u32 v23, s39, 0x800, v39
	v_add_co_ci_u32_e64 v24, null, 0, v40, s39
	global_load_dwordx2 v[23:24], v[23:24], off offset:256
	s_or_b32 exec_lo, exec_lo, s56
	s_mov_b32 s56, exec_lo
	v_cmpx_lt_u32_e64 v142, v169
	s_cbranch_execz .LBB810_204
.LBB810_270:                            ;   in Loop: Header=BB810_96 Depth=2
	v_add_co_u32 v19, s39, 0x800, v39
	v_add_co_ci_u32_e64 v20, null, 0, v40, s39
	global_load_dwordx2 v[19:20], v[19:20], off offset:512
	s_or_b32 exec_lo, exec_lo, s56
	s_mov_b32 s56, exec_lo
	v_cmpx_lt_u32_e64 v143, v169
	s_cbranch_execz .LBB810_205
.LBB810_271:                            ;   in Loop: Header=BB810_96 Depth=2
	v_add_co_u32 v15, s39, 0x800, v39
	v_add_co_ci_u32_e64 v16, null, 0, v40, s39
	global_load_dwordx2 v[15:16], v[15:16], off offset:768
	s_or_b32 exec_lo, exec_lo, s56
	s_mov_b32 s56, exec_lo
	v_cmpx_lt_u32_e64 v144, v169
	s_cbranch_execz .LBB810_206
.LBB810_272:                            ;   in Loop: Header=BB810_96 Depth=2
	v_add_co_u32 v13, s39, 0x800, v39
	v_add_co_ci_u32_e64 v14, null, 0, v40, s39
	global_load_dwordx2 v[13:14], v[13:14], off offset:1024
	s_or_b32 exec_lo, exec_lo, s56
	s_mov_b32 s56, exec_lo
	v_cmpx_lt_u32_e64 v145, v169
	s_cbranch_execz .LBB810_207
.LBB810_273:                            ;   in Loop: Header=BB810_96 Depth=2
	v_add_co_u32 v11, s39, 0x800, v39
	v_add_co_ci_u32_e64 v12, null, 0, v40, s39
	global_load_dwordx2 v[11:12], v[11:12], off offset:1280
	s_or_b32 exec_lo, exec_lo, s56
	s_mov_b32 s56, exec_lo
	v_cmpx_lt_u32_e64 v146, v169
	s_cbranch_execz .LBB810_208
.LBB810_274:                            ;   in Loop: Header=BB810_96 Depth=2
	v_add_co_u32 v9, s39, 0x800, v39
	v_add_co_ci_u32_e64 v10, null, 0, v40, s39
	global_load_dwordx2 v[9:10], v[9:10], off offset:1536
	s_or_b32 exec_lo, exec_lo, s56
	s_mov_b32 s56, exec_lo
	v_cmpx_lt_u32_e64 v147, v169
	s_cbranch_execz .LBB810_209
.LBB810_275:                            ;   in Loop: Header=BB810_96 Depth=2
	v_add_co_u32 v7, s39, 0x800, v39
	v_add_co_ci_u32_e64 v8, null, 0, v40, s39
	global_load_dwordx2 v[7:8], v[7:8], off offset:1792
	s_or_b32 exec_lo, exec_lo, s56
	s_and_saveexec_b32 s39, vcc_lo
	s_cbranch_execz .LBB810_210
.LBB810_276:                            ;   in Loop: Header=BB810_96 Depth=2
	ds_read_b64 v[39:40], v108 offset:512
	s_waitcnt lgkmcnt(0)
	v_lshrrev_b64 v[39:40], s47, v[39:40]
	v_and_b32_e32 v167, s63, v39
	s_or_b32 exec_lo, exec_lo, s39
	s_and_saveexec_b32 s39, s22
	s_cbranch_execz .LBB810_211
.LBB810_277:                            ;   in Loop: Header=BB810_96 Depth=2
	ds_read_b64 v[39:40], v108 offset:2560
	s_waitcnt lgkmcnt(0)
	v_lshrrev_b64 v[39:40], s47, v[39:40]
	v_and_b32_e32 v166, s63, v39
	s_or_b32 exec_lo, exec_lo, s39
	s_and_saveexec_b32 s39, s23
	s_cbranch_execz .LBB810_212
.LBB810_278:                            ;   in Loop: Header=BB810_96 Depth=2
	ds_read_b64 v[39:40], v108 offset:4608
	s_waitcnt lgkmcnt(0)
	v_lshrrev_b64 v[39:40], s47, v[39:40]
	v_and_b32_e32 v164, s63, v39
	s_or_b32 exec_lo, exec_lo, s39
	s_and_saveexec_b32 s39, s24
	s_cbranch_execz .LBB810_213
.LBB810_279:                            ;   in Loop: Header=BB810_96 Depth=2
	ds_read_b64 v[39:40], v108 offset:6656
	s_waitcnt lgkmcnt(0)
	v_lshrrev_b64 v[39:40], s47, v[39:40]
	v_and_b32_e32 v163, s63, v39
	s_or_b32 exec_lo, exec_lo, s39
	s_and_saveexec_b32 s39, s25
	s_cbranch_execz .LBB810_214
.LBB810_280:                            ;   in Loop: Header=BB810_96 Depth=2
	ds_read_b64 v[39:40], v108 offset:8704
	s_waitcnt lgkmcnt(0)
	v_lshrrev_b64 v[39:40], s47, v[39:40]
	v_and_b32_e32 v162, s63, v39
	s_or_b32 exec_lo, exec_lo, s39
	s_and_saveexec_b32 s39, s26
	s_cbranch_execz .LBB810_215
.LBB810_281:                            ;   in Loop: Header=BB810_96 Depth=2
	ds_read_b64 v[39:40], v108 offset:10752
	s_waitcnt lgkmcnt(0)
	v_lshrrev_b64 v[39:40], s47, v[39:40]
	v_and_b32_e32 v161, s63, v39
	s_or_b32 exec_lo, exec_lo, s39
	s_and_saveexec_b32 s39, s28
	s_cbranch_execz .LBB810_216
.LBB810_282:                            ;   in Loop: Header=BB810_96 Depth=2
	ds_read_b64 v[39:40], v108 offset:12800
	s_waitcnt lgkmcnt(0)
	v_lshrrev_b64 v[39:40], s47, v[39:40]
	v_and_b32_e32 v160, s63, v39
	s_or_b32 exec_lo, exec_lo, s39
	s_and_saveexec_b32 s39, s29
	s_cbranch_execz .LBB810_217
.LBB810_283:                            ;   in Loop: Header=BB810_96 Depth=2
	ds_read_b64 v[39:40], v108 offset:14848
	s_waitcnt lgkmcnt(0)
	v_lshrrev_b64 v[39:40], s47, v[39:40]
	v_and_b32_e32 v159, s63, v39
	s_or_b32 exec_lo, exec_lo, s39
	s_and_saveexec_b32 s39, s30
	s_cbranch_execz .LBB810_218
.LBB810_284:                            ;   in Loop: Header=BB810_96 Depth=2
	ds_read_b64 v[39:40], v108 offset:16896
	s_waitcnt lgkmcnt(0)
	v_lshrrev_b64 v[39:40], s47, v[39:40]
	v_and_b32_e32 v158, s63, v39
	s_or_b32 exec_lo, exec_lo, s39
	s_and_saveexec_b32 s39, s31
	s_cbranch_execz .LBB810_219
.LBB810_285:                            ;   in Loop: Header=BB810_96 Depth=2
	ds_read_b64 v[39:40], v108 offset:18944
	s_waitcnt lgkmcnt(0)
	v_lshrrev_b64 v[39:40], s47, v[39:40]
	v_and_b32_e32 v157, s63, v39
	s_or_b32 exec_lo, exec_lo, s39
	s_and_saveexec_b32 s39, s33
	s_cbranch_execz .LBB810_220
.LBB810_286:                            ;   in Loop: Header=BB810_96 Depth=2
	ds_read_b64 v[39:40], v108 offset:20992
	s_waitcnt lgkmcnt(0)
	v_lshrrev_b64 v[39:40], s47, v[39:40]
	v_and_b32_e32 v156, s63, v39
	s_or_b32 exec_lo, exec_lo, s39
	s_and_saveexec_b32 s39, s34
	s_cbranch_execz .LBB810_221
.LBB810_287:                            ;   in Loop: Header=BB810_96 Depth=2
	ds_read_b64 v[39:40], v108 offset:23040
	s_waitcnt lgkmcnt(0)
	v_lshrrev_b64 v[39:40], s47, v[39:40]
	v_and_b32_e32 v155, s63, v39
	s_or_b32 exec_lo, exec_lo, s39
	s_and_saveexec_b32 s39, s35
	s_cbranch_execz .LBB810_222
.LBB810_288:                            ;   in Loop: Header=BB810_96 Depth=2
	ds_read_b64 v[39:40], v108 offset:25088
	s_waitcnt lgkmcnt(0)
	v_lshrrev_b64 v[39:40], s47, v[39:40]
	v_and_b32_e32 v154, s63, v39
	s_or_b32 exec_lo, exec_lo, s39
	s_and_saveexec_b32 s39, s36
	s_cbranch_execz .LBB810_223
.LBB810_289:                            ;   in Loop: Header=BB810_96 Depth=2
	ds_read_b64 v[39:40], v108 offset:27136
	s_waitcnt lgkmcnt(0)
	v_lshrrev_b64 v[39:40], s47, v[39:40]
	v_and_b32_e32 v153, s63, v39
	s_or_b32 exec_lo, exec_lo, s39
	s_and_saveexec_b32 s39, s37
	s_cbranch_execz .LBB810_224
.LBB810_290:                            ;   in Loop: Header=BB810_96 Depth=2
	ds_read_b64 v[39:40], v108 offset:29184
	s_waitcnt lgkmcnt(0)
	v_lshrrev_b64 v[39:40], s47, v[39:40]
	v_and_b32_e32 v152, s63, v39
	s_or_b32 exec_lo, exec_lo, s39
	s_and_saveexec_b32 s39, s38
	s_cbranch_execnz .LBB810_225
	s_branch .LBB810_226
.LBB810_291:                            ;   in Loop: Header=BB810_96 Depth=2
	v_lshlrev_b32_e32 v3, 2, v167
	ds_read_b32 v3, v3
	ds_read_b64 v[39:40], v108 offset:512
	s_waitcnt lgkmcnt(1)
	v_add_nc_u32_e32 v3, v3, v0
	v_lshlrev_b64 v[41:42], 3, v[3:4]
	v_add_co_u32 v41, vcc_lo, s48, v41
	v_add_co_ci_u32_e64 v42, null, s49, v42, vcc_lo
	s_waitcnt lgkmcnt(0)
	global_store_dwordx2 v[41:42], v[39:40], off
	s_or_b32 exec_lo, exec_lo, s39
	s_and_saveexec_b32 s39, s22
	s_cbranch_execz .LBB810_228
.LBB810_292:                            ;   in Loop: Header=BB810_96 Depth=2
	v_lshlrev_b32_e32 v3, 2, v166
	ds_read_b32 v3, v3
	ds_read_b64 v[39:40], v108 offset:2560
	s_waitcnt lgkmcnt(1)
	v_add_nc_u32_e32 v3, v3, v76
	v_lshlrev_b64 v[41:42], 3, v[3:4]
	v_add_co_u32 v41, vcc_lo, s48, v41
	v_add_co_ci_u32_e64 v42, null, s49, v42, vcc_lo
	s_waitcnt lgkmcnt(0)
	global_store_dwordx2 v[41:42], v[39:40], off
	s_or_b32 exec_lo, exec_lo, s39
	s_and_saveexec_b32 s22, s23
	s_cbranch_execz .LBB810_229
.LBB810_293:                            ;   in Loop: Header=BB810_96 Depth=2
	v_lshlrev_b32_e32 v3, 2, v164
	ds_read_b32 v3, v3
	ds_read_b64 v[39:40], v108 offset:4608
	s_waitcnt lgkmcnt(1)
	v_add_nc_u32_e32 v3, v3, v79
	v_lshlrev_b64 v[41:42], 3, v[3:4]
	v_add_co_u32 v41, vcc_lo, s48, v41
	v_add_co_ci_u32_e64 v42, null, s49, v42, vcc_lo
	s_waitcnt lgkmcnt(0)
	global_store_dwordx2 v[41:42], v[39:40], off
	s_or_b32 exec_lo, exec_lo, s22
	s_and_saveexec_b32 s22, s24
	s_cbranch_execz .LBB810_230
.LBB810_294:                            ;   in Loop: Header=BB810_96 Depth=2
	v_lshlrev_b32_e32 v3, 2, v163
	ds_read_b32 v3, v3
	ds_read_b64 v[39:40], v108 offset:6656
	s_waitcnt lgkmcnt(1)
	v_add_nc_u32_e32 v3, v3, v80
	v_lshlrev_b64 v[41:42], 3, v[3:4]
	v_add_co_u32 v41, vcc_lo, s48, v41
	v_add_co_ci_u32_e64 v42, null, s49, v42, vcc_lo
	s_waitcnt lgkmcnt(0)
	global_store_dwordx2 v[41:42], v[39:40], off
	s_or_b32 exec_lo, exec_lo, s22
	s_and_saveexec_b32 s22, s25
	s_cbranch_execz .LBB810_231
.LBB810_295:                            ;   in Loop: Header=BB810_96 Depth=2
	v_lshlrev_b32_e32 v3, 2, v162
	ds_read_b32 v3, v3
	ds_read_b64 v[39:40], v108 offset:8704
	s_waitcnt lgkmcnt(1)
	v_add_nc_u32_e32 v3, v3, v81
	v_lshlrev_b64 v[41:42], 3, v[3:4]
	v_add_co_u32 v41, vcc_lo, s48, v41
	v_add_co_ci_u32_e64 v42, null, s49, v42, vcc_lo
	s_waitcnt lgkmcnt(0)
	global_store_dwordx2 v[41:42], v[39:40], off
	s_or_b32 exec_lo, exec_lo, s22
	s_and_saveexec_b32 s22, s26
	s_cbranch_execz .LBB810_232
.LBB810_296:                            ;   in Loop: Header=BB810_96 Depth=2
	v_lshlrev_b32_e32 v3, 2, v161
	ds_read_b32 v3, v3
	ds_read_b64 v[39:40], v108 offset:10752
	s_waitcnt lgkmcnt(1)
	v_add_nc_u32_e32 v3, v3, v82
	v_lshlrev_b64 v[41:42], 3, v[3:4]
	v_add_co_u32 v41, vcc_lo, s48, v41
	v_add_co_ci_u32_e64 v42, null, s49, v42, vcc_lo
	s_waitcnt lgkmcnt(0)
	global_store_dwordx2 v[41:42], v[39:40], off
	s_or_b32 exec_lo, exec_lo, s22
	s_and_saveexec_b32 s22, s28
	s_cbranch_execz .LBB810_233
.LBB810_297:                            ;   in Loop: Header=BB810_96 Depth=2
	v_lshlrev_b32_e32 v3, 2, v160
	ds_read_b32 v3, v3
	ds_read_b64 v[39:40], v108 offset:12800
	s_waitcnt lgkmcnt(1)
	v_add_nc_u32_e32 v3, v3, v83
	v_lshlrev_b64 v[41:42], 3, v[3:4]
	v_add_co_u32 v41, vcc_lo, s48, v41
	v_add_co_ci_u32_e64 v42, null, s49, v42, vcc_lo
	s_waitcnt lgkmcnt(0)
	global_store_dwordx2 v[41:42], v[39:40], off
	s_or_b32 exec_lo, exec_lo, s22
	s_and_saveexec_b32 s22, s29
	s_cbranch_execz .LBB810_234
.LBB810_298:                            ;   in Loop: Header=BB810_96 Depth=2
	v_lshlrev_b32_e32 v3, 2, v159
	ds_read_b32 v3, v3
	ds_read_b64 v[39:40], v108 offset:14848
	s_waitcnt lgkmcnt(1)
	v_add_nc_u32_e32 v3, v3, v84
	v_lshlrev_b64 v[41:42], 3, v[3:4]
	v_add_co_u32 v41, vcc_lo, s48, v41
	v_add_co_ci_u32_e64 v42, null, s49, v42, vcc_lo
	s_waitcnt lgkmcnt(0)
	global_store_dwordx2 v[41:42], v[39:40], off
	s_or_b32 exec_lo, exec_lo, s22
	s_and_saveexec_b32 s22, s30
	s_cbranch_execz .LBB810_235
.LBB810_299:                            ;   in Loop: Header=BB810_96 Depth=2
	v_lshlrev_b32_e32 v3, 2, v158
	ds_read_b32 v3, v3
	ds_read_b64 v[39:40], v108 offset:16896
	s_waitcnt lgkmcnt(1)
	v_add_nc_u32_e32 v3, v3, v85
	v_lshlrev_b64 v[41:42], 3, v[3:4]
	v_add_co_u32 v41, vcc_lo, s48, v41
	v_add_co_ci_u32_e64 v42, null, s49, v42, vcc_lo
	s_waitcnt lgkmcnt(0)
	global_store_dwordx2 v[41:42], v[39:40], off
	s_or_b32 exec_lo, exec_lo, s22
	s_and_saveexec_b32 s22, s31
	s_cbranch_execz .LBB810_236
.LBB810_300:                            ;   in Loop: Header=BB810_96 Depth=2
	v_lshlrev_b32_e32 v3, 2, v157
	ds_read_b32 v3, v3
	ds_read_b64 v[39:40], v108 offset:18944
	s_waitcnt lgkmcnt(1)
	v_add_nc_u32_e32 v3, v3, v86
	v_lshlrev_b64 v[41:42], 3, v[3:4]
	v_add_co_u32 v41, vcc_lo, s48, v41
	v_add_co_ci_u32_e64 v42, null, s49, v42, vcc_lo
	s_waitcnt lgkmcnt(0)
	global_store_dwordx2 v[41:42], v[39:40], off
	s_or_b32 exec_lo, exec_lo, s22
	s_and_saveexec_b32 s22, s33
	s_cbranch_execz .LBB810_237
.LBB810_301:                            ;   in Loop: Header=BB810_96 Depth=2
	v_lshlrev_b32_e32 v3, 2, v156
	ds_read_b32 v3, v3
	ds_read_b64 v[39:40], v108 offset:20992
	s_waitcnt lgkmcnt(1)
	v_add_nc_u32_e32 v3, v3, v87
	v_lshlrev_b64 v[41:42], 3, v[3:4]
	v_add_co_u32 v41, vcc_lo, s48, v41
	v_add_co_ci_u32_e64 v42, null, s49, v42, vcc_lo
	s_waitcnt lgkmcnt(0)
	global_store_dwordx2 v[41:42], v[39:40], off
	s_or_b32 exec_lo, exec_lo, s22
	s_and_saveexec_b32 s22, s34
	s_cbranch_execz .LBB810_238
.LBB810_302:                            ;   in Loop: Header=BB810_96 Depth=2
	v_lshlrev_b32_e32 v3, 2, v155
	ds_read_b32 v3, v3
	ds_read_b64 v[39:40], v108 offset:23040
	s_waitcnt lgkmcnt(1)
	v_add_nc_u32_e32 v3, v3, v88
	v_lshlrev_b64 v[41:42], 3, v[3:4]
	v_add_co_u32 v41, vcc_lo, s48, v41
	v_add_co_ci_u32_e64 v42, null, s49, v42, vcc_lo
	s_waitcnt lgkmcnt(0)
	global_store_dwordx2 v[41:42], v[39:40], off
	s_or_b32 exec_lo, exec_lo, s22
	s_and_saveexec_b32 s22, s35
	s_cbranch_execz .LBB810_239
.LBB810_303:                            ;   in Loop: Header=BB810_96 Depth=2
	v_lshlrev_b32_e32 v3, 2, v154
	ds_read_b32 v3, v3
	ds_read_b64 v[39:40], v108 offset:25088
	s_waitcnt lgkmcnt(1)
	v_add_nc_u32_e32 v3, v3, v89
	v_lshlrev_b64 v[41:42], 3, v[3:4]
	v_add_co_u32 v41, vcc_lo, s48, v41
	v_add_co_ci_u32_e64 v42, null, s49, v42, vcc_lo
	s_waitcnt lgkmcnt(0)
	global_store_dwordx2 v[41:42], v[39:40], off
	s_or_b32 exec_lo, exec_lo, s22
	s_and_saveexec_b32 s22, s36
	s_cbranch_execz .LBB810_240
.LBB810_304:                            ;   in Loop: Header=BB810_96 Depth=2
	v_lshlrev_b32_e32 v3, 2, v153
	ds_read_b32 v3, v3
	ds_read_b64 v[39:40], v108 offset:27136
	s_waitcnt lgkmcnt(1)
	v_add_nc_u32_e32 v3, v3, v90
	v_lshlrev_b64 v[41:42], 3, v[3:4]
	v_add_co_u32 v41, vcc_lo, s48, v41
	v_add_co_ci_u32_e64 v42, null, s49, v42, vcc_lo
	s_waitcnt lgkmcnt(0)
	global_store_dwordx2 v[41:42], v[39:40], off
	s_or_b32 exec_lo, exec_lo, s22
	s_and_saveexec_b32 s22, s37
	s_cbranch_execz .LBB810_241
.LBB810_305:                            ;   in Loop: Header=BB810_96 Depth=2
	v_lshlrev_b32_e32 v3, 2, v152
	ds_read_b32 v3, v3
	ds_read_b64 v[39:40], v108 offset:29184
	s_waitcnt lgkmcnt(1)
	v_add_nc_u32_e32 v3, v3, v91
	v_lshlrev_b64 v[41:42], 3, v[3:4]
	v_add_co_u32 v41, vcc_lo, s48, v41
	v_add_co_ci_u32_e64 v42, null, s49, v42, vcc_lo
	s_waitcnt lgkmcnt(0)
	global_store_dwordx2 v[41:42], v[39:40], off
	s_or_b32 exec_lo, exec_lo, s22
	s_and_saveexec_b32 s22, s38
	s_cbranch_execnz .LBB810_242
	s_branch .LBB810_243
.LBB810_306:                            ;   in Loop: Header=BB810_12 Depth=1
	s_waitcnt lgkmcnt(0)
	s_mov_b32 s5, 0
	s_barrier
.LBB810_307:                            ;   in Loop: Header=BB810_12 Depth=1
	s_and_b32 vcc_lo, exec_lo, s5
	s_cbranch_vccz .LBB810_601
; %bb.308:                              ;   in Loop: Header=BB810_12 Depth=1
	s_mov_b32 s5, s62
	s_mov_b32 s56, s60
	s_barrier
	buffer_gl0_inv
                                        ; implicit-def: $vgpr7_vgpr8
                                        ; implicit-def: $vgpr9_vgpr10
                                        ; implicit-def: $vgpr11_vgpr12
                                        ; implicit-def: $vgpr13_vgpr14
                                        ; implicit-def: $vgpr15_vgpr16
                                        ; implicit-def: $vgpr17_vgpr18
                                        ; implicit-def: $vgpr19_vgpr20
                                        ; implicit-def: $vgpr21_vgpr22
                                        ; implicit-def: $vgpr23_vgpr24
                                        ; implicit-def: $vgpr25_vgpr26
                                        ; implicit-def: $vgpr27_vgpr28
                                        ; implicit-def: $vgpr29_vgpr30
                                        ; implicit-def: $vgpr31_vgpr32
                                        ; implicit-def: $vgpr33_vgpr34
                                        ; implicit-def: $vgpr35_vgpr36
                                        ; implicit-def: $vgpr37_vgpr38
	s_branch .LBB810_310
.LBB810_309:                            ;   in Loop: Header=BB810_310 Depth=2
	s_or_b32 exec_lo, exec_lo, s14
	s_addk_i32 s5, 0xf000
	s_cmp_ge_u32 s16, s61
	s_mov_b32 s56, s16
	s_cbranch_scc1 .LBB810_378
.LBB810_310:                            ;   Parent Loop BB810_12 Depth=1
                                        ; =>  This Inner Loop Header: Depth=2
	s_add_i32 s16, s56, 0x1000
	s_mov_b32 s14, -1
	s_cmp_gt_u32 s16, s61
                                        ; implicit-def: $vgpr49_vgpr50
                                        ; implicit-def: $vgpr53_vgpr54
                                        ; implicit-def: $vgpr57_vgpr58
                                        ; implicit-def: $vgpr39_vgpr40
                                        ; implicit-def: $vgpr41_vgpr42
                                        ; implicit-def: $vgpr43_vgpr44
                                        ; implicit-def: $vgpr45_vgpr46
                                        ; implicit-def: $vgpr47_vgpr48
                                        ; implicit-def: $vgpr51_vgpr52
                                        ; implicit-def: $vgpr55_vgpr56
                                        ; implicit-def: $vgpr59_vgpr60
                                        ; implicit-def: $vgpr61_vgpr62
                                        ; implicit-def: $vgpr63_vgpr64
                                        ; implicit-def: $vgpr65_vgpr66
                                        ; implicit-def: $vgpr67_vgpr68
                                        ; implicit-def: $vgpr69_vgpr70
	s_cbranch_scc1 .LBB810_312
; %bb.311:                              ;   in Loop: Header=BB810_310 Depth=2
	s_lshl_b64 s[14:15], s[56:57], 3
	v_add_co_u32 v49, vcc_lo, v109, s14
	v_add_co_ci_u32_e64 v50, null, s15, v110, vcc_lo
	s_mov_b32 s14, 0
	v_add_co_u32 v57, vcc_lo, v49, 0x1000
	v_add_co_ci_u32_e64 v58, null, 0, v50, vcc_lo
	v_add_co_u32 v41, vcc_lo, v49, 0x2000
	v_add_co_ci_u32_e64 v42, null, 0, v50, vcc_lo
	;; [unrolled: 2-line block ×5, first 2 shown]
	s_clause 0x7
	global_load_dwordx2 v[39:40], v[41:42], off offset:-2048
	global_load_dwordx2 v[41:42], v[41:42], off
	global_load_dwordx2 v[43:44], v[45:46], off offset:-2048
	global_load_dwordx2 v[45:46], v[45:46], off
	;; [unrolled: 2-line block ×4, first 2 shown]
	v_add_co_u32 v53, vcc_lo, v49, 0x6000
	v_add_co_ci_u32_e64 v54, null, 0, v50, vcc_lo
	v_add_co_u32 v67, vcc_lo, v49, 0x7000
	v_add_co_ci_u32_e64 v68, null, 0, v50, vcc_lo
	;; [unrolled: 2-line block ×3, first 2 shown]
	s_clause 0x7
	global_load_dwordx2 v[61:62], v[53:54], off offset:-2048
	global_load_dwordx2 v[63:64], v[53:54], off
	global_load_dwordx2 v[65:66], v[67:68], off offset:-2048
	global_load_dwordx2 v[67:68], v[67:68], off
	global_load_dwordx2 v[49:50], v[49:50], off
	global_load_dwordx2 v[53:54], v[57:58], off offset:-2048
	global_load_dwordx2 v[57:58], v[57:58], off
	global_load_dwordx2 v[69:70], v[69:70], off
.LBB810_312:                            ;   in Loop: Header=BB810_310 Depth=2
	s_andn2_b32 vcc_lo, exec_lo, s14
	s_movk_i32 s14, 0x1000
	s_cbranch_vccnz .LBB810_331
; %bb.313:                              ;   in Loop: Header=BB810_310 Depth=2
	s_lshl_b64 s[14:15], s[56:57], 3
	s_mov_b32 s17, exec_lo
	s_add_u32 s14, s42, s14
	s_addc_u32 s15, s43, s15
	v_cmpx_gt_u32_e64 s5, v0
	s_cbranch_execnz .LBB810_363
; %bb.314:                              ;   in Loop: Header=BB810_310 Depth=2
	s_or_b32 exec_lo, exec_lo, s17
	s_mov_b32 s17, exec_lo
	v_cmpx_gt_u32_e64 s5, v76
	s_cbranch_execnz .LBB810_364
.LBB810_315:                            ;   in Loop: Header=BB810_310 Depth=2
	s_or_b32 exec_lo, exec_lo, s17
	s_mov_b32 s17, exec_lo
	v_cmpx_gt_u32_e64 s5, v79
	s_cbranch_execnz .LBB810_365
.LBB810_316:                            ;   in Loop: Header=BB810_310 Depth=2
	s_or_b32 exec_lo, exec_lo, s17
	s_mov_b32 s17, exec_lo
	v_cmpx_gt_u32_e64 s5, v80
	s_cbranch_execnz .LBB810_366
.LBB810_317:                            ;   in Loop: Header=BB810_310 Depth=2
	s_or_b32 exec_lo, exec_lo, s17
	s_mov_b32 s17, exec_lo
	v_cmpx_gt_u32_e64 s5, v81
	s_cbranch_execnz .LBB810_367
.LBB810_318:                            ;   in Loop: Header=BB810_310 Depth=2
	s_or_b32 exec_lo, exec_lo, s17
	s_mov_b32 s17, exec_lo
	v_cmpx_gt_u32_e64 s5, v82
	s_cbranch_execnz .LBB810_368
.LBB810_319:                            ;   in Loop: Header=BB810_310 Depth=2
	s_or_b32 exec_lo, exec_lo, s17
	s_mov_b32 s17, exec_lo
	v_cmpx_gt_u32_e64 s5, v83
	s_cbranch_execnz .LBB810_369
.LBB810_320:                            ;   in Loop: Header=BB810_310 Depth=2
	s_or_b32 exec_lo, exec_lo, s17
	s_mov_b32 s17, exec_lo
	v_cmpx_gt_u32_e64 s5, v84
	s_cbranch_execnz .LBB810_370
.LBB810_321:                            ;   in Loop: Header=BB810_310 Depth=2
	s_or_b32 exec_lo, exec_lo, s17
	s_mov_b32 s17, exec_lo
	v_cmpx_gt_u32_e64 s5, v85
	s_cbranch_execnz .LBB810_371
.LBB810_322:                            ;   in Loop: Header=BB810_310 Depth=2
	s_or_b32 exec_lo, exec_lo, s17
	s_mov_b32 s17, exec_lo
	v_cmpx_gt_u32_e64 s5, v86
	s_cbranch_execnz .LBB810_372
.LBB810_323:                            ;   in Loop: Header=BB810_310 Depth=2
	s_or_b32 exec_lo, exec_lo, s17
	s_mov_b32 s17, exec_lo
	v_cmpx_gt_u32_e64 s5, v87
	s_cbranch_execnz .LBB810_373
.LBB810_324:                            ;   in Loop: Header=BB810_310 Depth=2
	s_or_b32 exec_lo, exec_lo, s17
	s_mov_b32 s17, exec_lo
	v_cmpx_gt_u32_e64 s5, v88
	s_cbranch_execnz .LBB810_374
.LBB810_325:                            ;   in Loop: Header=BB810_310 Depth=2
	s_or_b32 exec_lo, exec_lo, s17
	s_mov_b32 s17, exec_lo
	v_cmpx_gt_u32_e64 s5, v89
	s_cbranch_execnz .LBB810_375
.LBB810_326:                            ;   in Loop: Header=BB810_310 Depth=2
	s_or_b32 exec_lo, exec_lo, s17
	s_mov_b32 s17, exec_lo
	v_cmpx_gt_u32_e64 s5, v90
	s_cbranch_execnz .LBB810_376
.LBB810_327:                            ;   in Loop: Header=BB810_310 Depth=2
	s_or_b32 exec_lo, exec_lo, s17
	s_mov_b32 s17, exec_lo
	v_cmpx_gt_u32_e64 s5, v91
	s_cbranch_execnz .LBB810_377
.LBB810_328:                            ;   in Loop: Header=BB810_310 Depth=2
	s_or_b32 exec_lo, exec_lo, s17
	s_mov_b32 s17, exec_lo
	v_cmpx_gt_u32_e64 s5, v92
	s_cbranch_execz .LBB810_330
.LBB810_329:                            ;   in Loop: Header=BB810_310 Depth=2
	v_lshlrev_b32_e32 v3, 3, v92
	global_load_dwordx2 v[7:8], v3, s[14:15]
.LBB810_330:                            ;   in Loop: Header=BB810_310 Depth=2
	s_or_b32 exec_lo, exec_lo, s17
	s_waitcnt vmcnt(0)
	v_mov_b32_e32 v50, v38
	v_mov_b32_e32 v54, v36
	;; [unrolled: 1-line block ×32, first 2 shown]
	s_mov_b32 s14, s5
.LBB810_331:                            ;   in Loop: Header=BB810_310 Depth=2
	s_waitcnt vmcnt(0)
	v_mov_b32_e32 v7, v69
	v_mov_b32_e32 v9, v67
	v_mov_b32_e32 v11, v65
	v_mov_b32_e32 v13, v63
	v_mov_b32_e32 v15, v61
	v_mov_b32_e32 v17, v59
	v_mov_b32_e32 v19, v55
	v_mov_b32_e32 v21, v51
	v_mov_b32_e32 v23, v47
	v_mov_b32_e32 v25, v45
	v_mov_b32_e32 v27, v43
	v_mov_b32_e32 v29, v41
	v_mov_b32_e32 v31, v39
	v_mov_b32_e32 v33, v57
	v_mov_b32_e32 v35, v53
	v_mov_b32_e32 v37, v49
	v_mov_b32_e32 v8, v70
	v_mov_b32_e32 v10, v68
	v_mov_b32_e32 v12, v66
	v_mov_b32_e32 v14, v64
	v_mov_b32_e32 v16, v62
	v_mov_b32_e32 v18, v60
	v_mov_b32_e32 v20, v56
	v_mov_b32_e32 v22, v52
	v_mov_b32_e32 v24, v48
	v_mov_b32_e32 v26, v46
	v_mov_b32_e32 v28, v44
	v_mov_b32_e32 v30, v42
	v_mov_b32_e32 v32, v40
	v_mov_b32_e32 v34, v58
	v_mov_b32_e32 v36, v54
	v_mov_b32_e32 v38, v50
	s_mov_b32 s15, exec_lo
	v_cmpx_gt_u32_e64 s14, v0
	s_cbranch_execnz .LBB810_347
; %bb.332:                              ;   in Loop: Header=BB810_310 Depth=2
	s_or_b32 exec_lo, exec_lo, s15
	s_mov_b32 s15, exec_lo
	v_cmpx_gt_u32_e64 s14, v76
	s_cbranch_execnz .LBB810_348
.LBB810_333:                            ;   in Loop: Header=BB810_310 Depth=2
	s_or_b32 exec_lo, exec_lo, s15
	s_mov_b32 s15, exec_lo
	v_cmpx_gt_u32_e64 s14, v79
	s_cbranch_execnz .LBB810_349
.LBB810_334:                            ;   in Loop: Header=BB810_310 Depth=2
	s_or_b32 exec_lo, exec_lo, s15
	s_mov_b32 s15, exec_lo
	v_cmpx_gt_u32_e64 s14, v80
	s_cbranch_execnz .LBB810_350
.LBB810_335:                            ;   in Loop: Header=BB810_310 Depth=2
	s_or_b32 exec_lo, exec_lo, s15
	s_mov_b32 s15, exec_lo
	v_cmpx_gt_u32_e64 s14, v81
	s_cbranch_execnz .LBB810_351
.LBB810_336:                            ;   in Loop: Header=BB810_310 Depth=2
	s_or_b32 exec_lo, exec_lo, s15
	s_mov_b32 s15, exec_lo
	v_cmpx_gt_u32_e64 s14, v82
	s_cbranch_execnz .LBB810_352
.LBB810_337:                            ;   in Loop: Header=BB810_310 Depth=2
	s_or_b32 exec_lo, exec_lo, s15
	s_mov_b32 s15, exec_lo
	v_cmpx_gt_u32_e64 s14, v83
	s_cbranch_execnz .LBB810_353
.LBB810_338:                            ;   in Loop: Header=BB810_310 Depth=2
	s_or_b32 exec_lo, exec_lo, s15
	s_mov_b32 s15, exec_lo
	v_cmpx_gt_u32_e64 s14, v84
	s_cbranch_execnz .LBB810_354
.LBB810_339:                            ;   in Loop: Header=BB810_310 Depth=2
	s_or_b32 exec_lo, exec_lo, s15
	s_mov_b32 s15, exec_lo
	v_cmpx_gt_u32_e64 s14, v85
	s_cbranch_execnz .LBB810_355
.LBB810_340:                            ;   in Loop: Header=BB810_310 Depth=2
	s_or_b32 exec_lo, exec_lo, s15
	s_mov_b32 s15, exec_lo
	v_cmpx_gt_u32_e64 s14, v86
	s_cbranch_execnz .LBB810_356
.LBB810_341:                            ;   in Loop: Header=BB810_310 Depth=2
	s_or_b32 exec_lo, exec_lo, s15
	s_mov_b32 s15, exec_lo
	v_cmpx_gt_u32_e64 s14, v87
	s_cbranch_execnz .LBB810_357
.LBB810_342:                            ;   in Loop: Header=BB810_310 Depth=2
	s_or_b32 exec_lo, exec_lo, s15
	s_mov_b32 s15, exec_lo
	v_cmpx_gt_u32_e64 s14, v88
	s_cbranch_execnz .LBB810_358
.LBB810_343:                            ;   in Loop: Header=BB810_310 Depth=2
	s_or_b32 exec_lo, exec_lo, s15
	s_mov_b32 s15, exec_lo
	v_cmpx_gt_u32_e64 s14, v89
	s_cbranch_execnz .LBB810_359
.LBB810_344:                            ;   in Loop: Header=BB810_310 Depth=2
	s_or_b32 exec_lo, exec_lo, s15
	s_mov_b32 s15, exec_lo
	v_cmpx_gt_u32_e64 s14, v90
	s_cbranch_execnz .LBB810_360
.LBB810_345:                            ;   in Loop: Header=BB810_310 Depth=2
	s_or_b32 exec_lo, exec_lo, s15
	s_mov_b32 s15, exec_lo
	v_cmpx_gt_u32_e64 s14, v91
	s_cbranch_execnz .LBB810_361
.LBB810_346:                            ;   in Loop: Header=BB810_310 Depth=2
	s_or_b32 exec_lo, exec_lo, s15
	v_cmp_gt_u32_e32 vcc_lo, s14, v92
	s_and_saveexec_b32 s14, vcc_lo
	s_cbranch_execz .LBB810_309
	s_branch .LBB810_362
.LBB810_347:                            ;   in Loop: Header=BB810_310 Depth=2
	v_xor_b32_e32 v40, 0x80000000, v38
	v_mov_b32_e32 v39, v37
	v_lshrrev_b64 v[39:40], s47, v[39:40]
	v_and_b32_e32 v3, s63, v39
	v_lshl_or_b32 v3, v3, 4, v93
	ds_add_u32 v3, v121
	s_or_b32 exec_lo, exec_lo, s15
	s_mov_b32 s15, exec_lo
	v_cmpx_gt_u32_e64 s14, v76
	s_cbranch_execz .LBB810_333
.LBB810_348:                            ;   in Loop: Header=BB810_310 Depth=2
	v_xor_b32_e32 v40, 0x80000000, v36
	v_mov_b32_e32 v39, v35
	v_lshrrev_b64 v[39:40], s47, v[39:40]
	v_and_b32_e32 v3, s63, v39
	v_lshl_or_b32 v3, v3, 4, v93
	ds_add_u32 v3, v121
	s_or_b32 exec_lo, exec_lo, s15
	s_mov_b32 s15, exec_lo
	v_cmpx_gt_u32_e64 s14, v79
	s_cbranch_execz .LBB810_334
.LBB810_349:                            ;   in Loop: Header=BB810_310 Depth=2
	v_xor_b32_e32 v40, 0x80000000, v34
	v_mov_b32_e32 v39, v33
	v_lshrrev_b64 v[39:40], s47, v[39:40]
	v_and_b32_e32 v3, s63, v39
	v_lshl_or_b32 v3, v3, 4, v93
	ds_add_u32 v3, v121
	s_or_b32 exec_lo, exec_lo, s15
	s_mov_b32 s15, exec_lo
	v_cmpx_gt_u32_e64 s14, v80
	s_cbranch_execz .LBB810_335
.LBB810_350:                            ;   in Loop: Header=BB810_310 Depth=2
	v_xor_b32_e32 v40, 0x80000000, v32
	v_mov_b32_e32 v39, v31
	v_lshrrev_b64 v[39:40], s47, v[39:40]
	v_and_b32_e32 v3, s63, v39
	v_lshl_or_b32 v3, v3, 4, v93
	ds_add_u32 v3, v121
	s_or_b32 exec_lo, exec_lo, s15
	s_mov_b32 s15, exec_lo
	v_cmpx_gt_u32_e64 s14, v81
	s_cbranch_execz .LBB810_336
.LBB810_351:                            ;   in Loop: Header=BB810_310 Depth=2
	v_xor_b32_e32 v40, 0x80000000, v30
	v_mov_b32_e32 v39, v29
	v_lshrrev_b64 v[39:40], s47, v[39:40]
	v_and_b32_e32 v3, s63, v39
	v_lshl_or_b32 v3, v3, 4, v93
	ds_add_u32 v3, v121
	s_or_b32 exec_lo, exec_lo, s15
	s_mov_b32 s15, exec_lo
	v_cmpx_gt_u32_e64 s14, v82
	s_cbranch_execz .LBB810_337
.LBB810_352:                            ;   in Loop: Header=BB810_310 Depth=2
	v_xor_b32_e32 v40, 0x80000000, v28
	v_mov_b32_e32 v39, v27
	v_lshrrev_b64 v[39:40], s47, v[39:40]
	v_and_b32_e32 v3, s63, v39
	v_lshl_or_b32 v3, v3, 4, v93
	ds_add_u32 v3, v121
	s_or_b32 exec_lo, exec_lo, s15
	s_mov_b32 s15, exec_lo
	v_cmpx_gt_u32_e64 s14, v83
	s_cbranch_execz .LBB810_338
.LBB810_353:                            ;   in Loop: Header=BB810_310 Depth=2
	v_xor_b32_e32 v40, 0x80000000, v26
	v_mov_b32_e32 v39, v25
	v_lshrrev_b64 v[39:40], s47, v[39:40]
	v_and_b32_e32 v3, s63, v39
	v_lshl_or_b32 v3, v3, 4, v93
	ds_add_u32 v3, v121
	s_or_b32 exec_lo, exec_lo, s15
	s_mov_b32 s15, exec_lo
	v_cmpx_gt_u32_e64 s14, v84
	s_cbranch_execz .LBB810_339
.LBB810_354:                            ;   in Loop: Header=BB810_310 Depth=2
	v_xor_b32_e32 v40, 0x80000000, v24
	v_mov_b32_e32 v39, v23
	v_lshrrev_b64 v[39:40], s47, v[39:40]
	v_and_b32_e32 v3, s63, v39
	v_lshl_or_b32 v3, v3, 4, v93
	ds_add_u32 v3, v121
	s_or_b32 exec_lo, exec_lo, s15
	s_mov_b32 s15, exec_lo
	v_cmpx_gt_u32_e64 s14, v85
	s_cbranch_execz .LBB810_340
.LBB810_355:                            ;   in Loop: Header=BB810_310 Depth=2
	v_xor_b32_e32 v40, 0x80000000, v22
	v_mov_b32_e32 v39, v21
	v_lshrrev_b64 v[39:40], s47, v[39:40]
	v_and_b32_e32 v3, s63, v39
	v_lshl_or_b32 v3, v3, 4, v93
	ds_add_u32 v3, v121
	s_or_b32 exec_lo, exec_lo, s15
	s_mov_b32 s15, exec_lo
	v_cmpx_gt_u32_e64 s14, v86
	s_cbranch_execz .LBB810_341
.LBB810_356:                            ;   in Loop: Header=BB810_310 Depth=2
	v_xor_b32_e32 v40, 0x80000000, v20
	v_mov_b32_e32 v39, v19
	v_lshrrev_b64 v[39:40], s47, v[39:40]
	v_and_b32_e32 v3, s63, v39
	v_lshl_or_b32 v3, v3, 4, v93
	ds_add_u32 v3, v121
	s_or_b32 exec_lo, exec_lo, s15
	s_mov_b32 s15, exec_lo
	v_cmpx_gt_u32_e64 s14, v87
	s_cbranch_execz .LBB810_342
.LBB810_357:                            ;   in Loop: Header=BB810_310 Depth=2
	v_xor_b32_e32 v40, 0x80000000, v18
	v_mov_b32_e32 v39, v17
	v_lshrrev_b64 v[39:40], s47, v[39:40]
	v_and_b32_e32 v3, s63, v39
	v_lshl_or_b32 v3, v3, 4, v93
	ds_add_u32 v3, v121
	s_or_b32 exec_lo, exec_lo, s15
	s_mov_b32 s15, exec_lo
	v_cmpx_gt_u32_e64 s14, v88
	s_cbranch_execz .LBB810_343
.LBB810_358:                            ;   in Loop: Header=BB810_310 Depth=2
	v_xor_b32_e32 v40, 0x80000000, v16
	v_mov_b32_e32 v39, v15
	v_lshrrev_b64 v[39:40], s47, v[39:40]
	v_and_b32_e32 v3, s63, v39
	v_lshl_or_b32 v3, v3, 4, v93
	ds_add_u32 v3, v121
	s_or_b32 exec_lo, exec_lo, s15
	s_mov_b32 s15, exec_lo
	v_cmpx_gt_u32_e64 s14, v89
	s_cbranch_execz .LBB810_344
.LBB810_359:                            ;   in Loop: Header=BB810_310 Depth=2
	v_xor_b32_e32 v40, 0x80000000, v14
	v_mov_b32_e32 v39, v13
	v_lshrrev_b64 v[39:40], s47, v[39:40]
	v_and_b32_e32 v3, s63, v39
	v_lshl_or_b32 v3, v3, 4, v93
	ds_add_u32 v3, v121
	s_or_b32 exec_lo, exec_lo, s15
	s_mov_b32 s15, exec_lo
	v_cmpx_gt_u32_e64 s14, v90
	s_cbranch_execz .LBB810_345
.LBB810_360:                            ;   in Loop: Header=BB810_310 Depth=2
	v_xor_b32_e32 v40, 0x80000000, v12
	v_mov_b32_e32 v39, v11
	v_lshrrev_b64 v[39:40], s47, v[39:40]
	v_and_b32_e32 v3, s63, v39
	v_lshl_or_b32 v3, v3, 4, v93
	ds_add_u32 v3, v121
	s_or_b32 exec_lo, exec_lo, s15
	s_mov_b32 s15, exec_lo
	v_cmpx_gt_u32_e64 s14, v91
	s_cbranch_execz .LBB810_346
.LBB810_361:                            ;   in Loop: Header=BB810_310 Depth=2
	v_xor_b32_e32 v40, 0x80000000, v10
	v_mov_b32_e32 v39, v9
	v_lshrrev_b64 v[39:40], s47, v[39:40]
	v_and_b32_e32 v3, s63, v39
	v_lshl_or_b32 v3, v3, 4, v93
	ds_add_u32 v3, v121
	s_or_b32 exec_lo, exec_lo, s15
	v_cmp_gt_u32_e32 vcc_lo, s14, v92
	s_and_saveexec_b32 s14, vcc_lo
	s_cbranch_execz .LBB810_309
.LBB810_362:                            ;   in Loop: Header=BB810_310 Depth=2
	v_xor_b32_e32 v40, 0x80000000, v8
	v_mov_b32_e32 v39, v7
	v_lshrrev_b64 v[39:40], s47, v[39:40]
	v_and_b32_e32 v3, s63, v39
	v_lshl_or_b32 v3, v3, 4, v93
	ds_add_u32 v3, v121
	s_branch .LBB810_309
.LBB810_363:                            ;   in Loop: Header=BB810_310 Depth=2
	global_load_dwordx2 v[37:38], v122, s[14:15]
	s_or_b32 exec_lo, exec_lo, s17
	s_mov_b32 s17, exec_lo
	v_cmpx_gt_u32_e64 s5, v76
	s_cbranch_execz .LBB810_315
.LBB810_364:                            ;   in Loop: Header=BB810_310 Depth=2
	global_load_dwordx2 v[35:36], v123, s[14:15]
	s_or_b32 exec_lo, exec_lo, s17
	s_mov_b32 s17, exec_lo
	v_cmpx_gt_u32_e64 s5, v79
	s_cbranch_execz .LBB810_316
.LBB810_365:                            ;   in Loop: Header=BB810_310 Depth=2
	global_load_dwordx2 v[33:34], v124, s[14:15]
	s_or_b32 exec_lo, exec_lo, s17
	s_mov_b32 s17, exec_lo
	v_cmpx_gt_u32_e64 s5, v80
	s_cbranch_execz .LBB810_317
.LBB810_366:                            ;   in Loop: Header=BB810_310 Depth=2
	global_load_dwordx2 v[31:32], v125, s[14:15]
	s_or_b32 exec_lo, exec_lo, s17
	s_mov_b32 s17, exec_lo
	v_cmpx_gt_u32_e64 s5, v81
	s_cbranch_execz .LBB810_318
.LBB810_367:                            ;   in Loop: Header=BB810_310 Depth=2
	global_load_dwordx2 v[29:30], v126, s[14:15]
	s_or_b32 exec_lo, exec_lo, s17
	s_mov_b32 s17, exec_lo
	v_cmpx_gt_u32_e64 s5, v82
	s_cbranch_execz .LBB810_319
.LBB810_368:                            ;   in Loop: Header=BB810_310 Depth=2
	global_load_dwordx2 v[27:28], v127, s[14:15]
	s_or_b32 exec_lo, exec_lo, s17
	s_mov_b32 s17, exec_lo
	v_cmpx_gt_u32_e64 s5, v83
	s_cbranch_execz .LBB810_320
.LBB810_369:                            ;   in Loop: Header=BB810_310 Depth=2
	v_lshlrev_b32_e32 v3, 3, v83
	global_load_dwordx2 v[25:26], v3, s[14:15]
	s_or_b32 exec_lo, exec_lo, s17
	s_mov_b32 s17, exec_lo
	v_cmpx_gt_u32_e64 s5, v84
	s_cbranch_execz .LBB810_321
.LBB810_370:                            ;   in Loop: Header=BB810_310 Depth=2
	v_lshlrev_b32_e32 v3, 3, v84
	global_load_dwordx2 v[23:24], v3, s[14:15]
	s_or_b32 exec_lo, exec_lo, s17
	s_mov_b32 s17, exec_lo
	v_cmpx_gt_u32_e64 s5, v85
	s_cbranch_execz .LBB810_322
.LBB810_371:                            ;   in Loop: Header=BB810_310 Depth=2
	v_lshlrev_b32_e32 v3, 3, v85
	global_load_dwordx2 v[21:22], v3, s[14:15]
	s_or_b32 exec_lo, exec_lo, s17
	s_mov_b32 s17, exec_lo
	v_cmpx_gt_u32_e64 s5, v86
	s_cbranch_execz .LBB810_323
.LBB810_372:                            ;   in Loop: Header=BB810_310 Depth=2
	v_lshlrev_b32_e32 v3, 3, v86
	global_load_dwordx2 v[19:20], v3, s[14:15]
	s_or_b32 exec_lo, exec_lo, s17
	s_mov_b32 s17, exec_lo
	v_cmpx_gt_u32_e64 s5, v87
	s_cbranch_execz .LBB810_324
.LBB810_373:                            ;   in Loop: Header=BB810_310 Depth=2
	v_lshlrev_b32_e32 v3, 3, v87
	global_load_dwordx2 v[17:18], v3, s[14:15]
	s_or_b32 exec_lo, exec_lo, s17
	s_mov_b32 s17, exec_lo
	v_cmpx_gt_u32_e64 s5, v88
	s_cbranch_execz .LBB810_325
.LBB810_374:                            ;   in Loop: Header=BB810_310 Depth=2
	v_lshlrev_b32_e32 v3, 3, v88
	global_load_dwordx2 v[15:16], v3, s[14:15]
	s_or_b32 exec_lo, exec_lo, s17
	s_mov_b32 s17, exec_lo
	v_cmpx_gt_u32_e64 s5, v89
	s_cbranch_execz .LBB810_326
.LBB810_375:                            ;   in Loop: Header=BB810_310 Depth=2
	v_lshlrev_b32_e32 v3, 3, v89
	global_load_dwordx2 v[13:14], v3, s[14:15]
	s_or_b32 exec_lo, exec_lo, s17
	s_mov_b32 s17, exec_lo
	v_cmpx_gt_u32_e64 s5, v90
	s_cbranch_execz .LBB810_327
.LBB810_376:                            ;   in Loop: Header=BB810_310 Depth=2
	v_lshlrev_b32_e32 v3, 3, v90
	global_load_dwordx2 v[11:12], v3, s[14:15]
	s_or_b32 exec_lo, exec_lo, s17
	s_mov_b32 s17, exec_lo
	v_cmpx_gt_u32_e64 s5, v91
	s_cbranch_execz .LBB810_328
.LBB810_377:                            ;   in Loop: Header=BB810_310 Depth=2
	v_lshlrev_b32_e32 v3, 3, v91
	global_load_dwordx2 v[9:10], v3, s[14:15]
	s_or_b32 exec_lo, exec_lo, s17
	s_mov_b32 s17, exec_lo
	v_cmpx_gt_u32_e64 s5, v92
	s_cbranch_execnz .LBB810_329
	s_branch .LBB810_330
.LBB810_378:                            ;   in Loop: Header=BB810_12 Depth=1
	v_mov_b32_e32 v3, 0
	s_waitcnt lgkmcnt(0)
	s_barrier
	buffer_gl0_inv
	s_and_saveexec_b32 s5, s7
	s_cbranch_execz .LBB810_380
; %bb.379:                              ;   in Loop: Header=BB810_12 Depth=1
	ds_read2_b64 v[7:10], v95 offset1:1
	s_waitcnt lgkmcnt(0)
	v_add_nc_u32_e32 v3, v8, v7
	v_add3_u32 v3, v3, v9, v10
.LBB810_380:                            ;   in Loop: Header=BB810_12 Depth=1
	s_or_b32 exec_lo, exec_lo, s5
	v_and_b32_e32 v7, 15, v128
	v_mov_b32_dpp v8, v3 row_shr:1 row_mask:0xf bank_mask:0xf
	v_and_b32_e32 v9, 16, v128
	v_cmp_eq_u32_e64 s5, 0, v7
	v_cmp_lt_u32_e64 s14, 1, v7
	v_cmp_lt_u32_e64 s15, 3, v7
	;; [unrolled: 1-line block ×3, first 2 shown]
	v_cmp_eq_u32_e64 s17, 0, v9
	v_cndmask_b32_e64 v8, v8, 0, s5
	v_add_nc_u32_e32 v3, v8, v3
	v_mov_b32_dpp v8, v3 row_shr:2 row_mask:0xf bank_mask:0xf
	v_cndmask_b32_e64 v8, 0, v8, s14
	v_add_nc_u32_e32 v3, v3, v8
	v_mov_b32_dpp v8, v3 row_shr:4 row_mask:0xf bank_mask:0xf
	;; [unrolled: 3-line block ×3, first 2 shown]
	v_cndmask_b32_e64 v7, 0, v8, s16
	v_bfe_i32 v8, v128, 4, 1
	v_add_nc_u32_e32 v3, v3, v7
	ds_swizzle_b32 v7, v3 offset:swizzle(BROADCAST,32,15)
	s_waitcnt lgkmcnt(0)
	v_and_b32_e32 v7, v8, v7
	v_add_nc_u32_e32 v3, v3, v7
	s_and_saveexec_b32 s18, s8
; %bb.381:                              ;   in Loop: Header=BB810_12 Depth=1
	ds_write_b32 v96, v3
; %bb.382:                              ;   in Loop: Header=BB810_12 Depth=1
	s_or_b32 exec_lo, exec_lo, s18
	s_waitcnt lgkmcnt(0)
	s_barrier
	buffer_gl0_inv
	s_and_saveexec_b32 s18, s9
	s_cbranch_execz .LBB810_384
; %bb.383:                              ;   in Loop: Header=BB810_12 Depth=1
	ds_read_b32 v7, v97
	v_and_b32_e32 v8, 3, v128
	v_cmp_ne_u32_e32 vcc_lo, 0, v8
	s_waitcnt lgkmcnt(0)
	v_mov_b32_dpp v9, v7 row_shr:1 row_mask:0xf bank_mask:0xf
	v_cndmask_b32_e32 v9, 0, v9, vcc_lo
	v_cmp_lt_u32_e32 vcc_lo, 1, v8
	v_add_nc_u32_e32 v7, v9, v7
	v_mov_b32_dpp v9, v7 row_shr:2 row_mask:0xf bank_mask:0xf
	v_cndmask_b32_e32 v8, 0, v9, vcc_lo
	v_add_nc_u32_e32 v7, v7, v8
	ds_write_b32 v97, v7
.LBB810_384:                            ;   in Loop: Header=BB810_12 Depth=1
	s_or_b32 exec_lo, exec_lo, s18
	v_mov_b32_e32 v7, 0
	s_waitcnt lgkmcnt(0)
	s_barrier
	buffer_gl0_inv
	s_and_saveexec_b32 s18, s10
; %bb.385:                              ;   in Loop: Header=BB810_12 Depth=1
	ds_read_b32 v7, v98
; %bb.386:                              ;   in Loop: Header=BB810_12 Depth=1
	s_or_b32 exec_lo, exec_lo, s18
	v_sub_co_u32 v8, s18, v128, 1
	s_waitcnt lgkmcnt(0)
	v_add_nc_u32_e32 v3, v7, v3
	s_barrier
	v_cmp_gt_i32_e32 vcc_lo, 0, v8
	buffer_gl0_inv
	v_cndmask_b32_e32 v8, v8, v128, vcc_lo
	v_lshlrev_b32_e32 v129, 2, v8
	ds_bpermute_b32 v3, v129, v3
	s_and_saveexec_b32 s19, s7
	s_cbranch_execz .LBB810_388
; %bb.387:                              ;   in Loop: Header=BB810_12 Depth=1
	s_waitcnt lgkmcnt(0)
	v_cndmask_b32_e64 v3, v3, v7, s18
	v_add_nc_u32_e32 v3, s60, v3
	ds_write_b32 v75, v3
.LBB810_388:                            ;   in Loop: Header=BB810_12 Depth=1
	s_or_b32 exec_lo, exec_lo, s19
	s_load_dwordx2 s[20:21], s[58:59], 0x0
	v_and_b32_e32 v8, 7, v128
	v_lshlrev_b32_e32 v9, 3, v128
	v_or_b32_e32 v130, v128, v99
	s_mov_b32 s64, s62
	s_mov_b32 s56, s60
                                        ; implicit-def: $vgpr11_vgpr12
                                        ; implicit-def: $vgpr13_vgpr14
                                        ; implicit-def: $vgpr15_vgpr16
                                        ; implicit-def: $vgpr19_vgpr20
                                        ; implicit-def: $vgpr23_vgpr24
                                        ; implicit-def: $vgpr27_vgpr28
                                        ; implicit-def: $vgpr17_vgpr18
                                        ; implicit-def: $vgpr21_vgpr22
                                        ; implicit-def: $vgpr25_vgpr26
                                        ; implicit-def: $vgpr29_vgpr30
                                        ; implicit-def: $vgpr31_vgpr32
                                        ; implicit-def: $vgpr33_vgpr34
                                        ; implicit-def: $vgpr35_vgpr36
                                        ; implicit-def: $vgpr37_vgpr38
                                        ; implicit-def: $vgpr151
                                        ; implicit-def: $vgpr152
                                        ; implicit-def: $vgpr153
                                        ; implicit-def: $vgpr154
                                        ; implicit-def: $vgpr155
                                        ; implicit-def: $vgpr156
                                        ; implicit-def: $vgpr157
                                        ; implicit-def: $vgpr158
                                        ; implicit-def: $vgpr159
                                        ; implicit-def: $vgpr160
                                        ; implicit-def: $vgpr161
                                        ; implicit-def: $vgpr162
                                        ; implicit-def: $vgpr163
                                        ; implicit-def: $vgpr164
                                        ; implicit-def: $vgpr166
                                        ; implicit-def: $vgpr167
                                        ; implicit-def: $vgpr165
                                        ; implicit-def: $vgpr168
	v_add_co_u32 v131, vcc_lo, v111, v9
	v_add_co_ci_u32_e64 v132, null, 0, v112, vcc_lo
	v_add_co_u32 v148, vcc_lo, v113, v9
	v_or_b32_e32 v133, 32, v130
	v_or_b32_e32 v134, 64, v130
	;; [unrolled: 1-line block ×7, first 2 shown]
	s_waitcnt lgkmcnt(0)
	s_cmp_lt_u32 s27, s21
	v_or_b32_e32 v140, 0x100, v130
	s_cselect_b32 s19, 14, 20
	v_or_b32_e32 v141, 0x120, v130
	s_add_u32 s22, s58, s19
	s_addc_u32 s23, s59, 0
	s_cmp_lt_u32 s6, s20
	global_load_ushort v3, v4, s[22:23]
	s_cselect_b32 s19, 12, 18
	v_or_b32_e32 v142, 0x140, v130
	s_add_u32 s20, s58, s19
	s_addc_u32 s21, s59, 0
	v_cmp_eq_u32_e64 s19, 0, v8
	global_load_ushort v7, v4, s[20:21]
	v_cmp_lt_u32_e64 s20, 1, v8
	v_cmp_lt_u32_e64 s21, 3, v8
	v_or_b32_e32 v143, 0x160, v130
	v_or_b32_e32 v144, 0x180, v130
	v_or_b32_e32 v145, 0x1a0, v130
	v_or_b32_e32 v146, 0x1c0, v130
	v_or_b32_e32 v147, 0x1e0, v130
	v_add_co_ci_u32_e64 v149, null, 0, v114, vcc_lo
                                        ; implicit-def: $vgpr9_vgpr10
	s_waitcnt vmcnt(1)
	v_mad_u32_u24 v3, v2, v3, v1
	s_waitcnt vmcnt(0)
	v_mad_u64_u32 v[7:8], null, v3, v7, v[0:1]
	v_lshrrev_b32_e32 v3, 3, v7
                                        ; implicit-def: $vgpr7_vgpr8
	v_and_b32_e32 v150, 0x1ffffffc, v3
	s_branch .LBB810_390
.LBB810_389:                            ;   in Loop: Header=BB810_390 Depth=2
	s_or_b32 exec_lo, exec_lo, s22
	s_addk_i32 s64, 0xf000
	s_cmp_lt_u32 s65, s61
	s_mov_b32 s56, s65
	s_cbranch_scc0 .LBB810_600
.LBB810_390:                            ;   Parent Loop BB810_12 Depth=1
                                        ; =>  This Inner Loop Header: Depth=2
	s_add_i32 s65, s56, 0x1000
	s_cmp_gt_u32 s65, s61
	s_cbranch_scc1 .LBB810_392
; %bb.391:                              ;   in Loop: Header=BB810_390 Depth=2
	s_lshl_b64 s[22:23], s[56:57], 3
	v_add_co_u32 v53, vcc_lo, v148, s22
	v_add_co_ci_u32_e64 v54, null, s23, v149, vcc_lo
	v_add_co_u32 v67, vcc_lo, 0x800, v53
	v_add_co_ci_u32_e64 v68, null, 0, v54, vcc_lo
	s_clause 0xe
	global_load_dwordx2 v[41:42], v[53:54], off
	global_load_dwordx2 v[39:40], v[53:54], off offset:256
	global_load_dwordx2 v[43:44], v[53:54], off offset:512
	;; [unrolled: 1-line block ×7, first 2 shown]
	global_load_dwordx2 v[55:56], v[67:68], off
	global_load_dwordx2 v[57:58], v[67:68], off offset:256
	global_load_dwordx2 v[61:62], v[67:68], off offset:512
	;; [unrolled: 1-line block ×6, first 2 shown]
	s_mov_b32 s22, -1
	s_movk_i32 s23, 0x1000
	s_cbranch_execz .LBB810_393
	s_branch .LBB810_424
.LBB810_392:                            ;   in Loop: Header=BB810_390 Depth=2
	s_mov_b32 s22, 0
                                        ; implicit-def: $vgpr41_vgpr42
                                        ; implicit-def: $vgpr39_vgpr40
                                        ; implicit-def: $vgpr43_vgpr44
                                        ; implicit-def: $vgpr45_vgpr46
                                        ; implicit-def: $vgpr47_vgpr48
                                        ; implicit-def: $vgpr51_vgpr52
                                        ; implicit-def: $vgpr49_vgpr50
                                        ; implicit-def: $vgpr53_vgpr54
                                        ; implicit-def: $vgpr55_vgpr56
                                        ; implicit-def: $vgpr57_vgpr58
                                        ; implicit-def: $vgpr61_vgpr62
                                        ; implicit-def: $vgpr59_vgpr60
                                        ; implicit-def: $vgpr63_vgpr64
                                        ; implicit-def: $vgpr65_vgpr66
                                        ; implicit-def: $vgpr67_vgpr68
	s_movk_i32 s23, 0x1000
.LBB810_393:                            ;   in Loop: Header=BB810_390 Depth=2
	s_waitcnt vmcnt(13)
	v_mov_b32_e32 v40, v6
	v_mov_b32_e32 v39, v5
	s_lshl_b64 s[22:23], s[56:57], 3
	v_add_co_u32 v69, vcc_lo, v148, s22
	v_mov_b32_e32 v42, v40
	v_add_co_ci_u32_e64 v70, null, s23, v149, vcc_lo
	v_mov_b32_e32 v41, v39
	s_mov_b32 s22, exec_lo
	v_cmpx_gt_u32_e64 s64, v130
	s_cbranch_execz .LBB810_395
; %bb.394:                              ;   in Loop: Header=BB810_390 Depth=2
	global_load_dwordx2 v[41:42], v[69:70], off
.LBB810_395:                            ;   in Loop: Header=BB810_390 Depth=2
	s_or_b32 exec_lo, exec_lo, s22
	s_mov_b32 s22, exec_lo
	v_cmpx_gt_u32_e64 s64, v133
	s_cbranch_execz .LBB810_397
; %bb.396:                              ;   in Loop: Header=BB810_390 Depth=2
	global_load_dwordx2 v[39:40], v[69:70], off offset:256
.LBB810_397:                            ;   in Loop: Header=BB810_390 Depth=2
	s_or_b32 exec_lo, exec_lo, s22
	s_waitcnt vmcnt(12)
	v_mov_b32_e32 v44, v6
	v_mov_b32_e32 v43, v5
	s_mov_b32 s22, exec_lo
	v_cmpx_gt_u32_e64 s64, v134
	s_cbranch_execz .LBB810_399
; %bb.398:                              ;   in Loop: Header=BB810_390 Depth=2
	global_load_dwordx2 v[43:44], v[69:70], off offset:512
.LBB810_399:                            ;   in Loop: Header=BB810_390 Depth=2
	s_or_b32 exec_lo, exec_lo, s22
	s_waitcnt vmcnt(11)
	v_mov_b32_e32 v46, v6
	v_mov_b32_e32 v45, v5
	;; [unrolled: 10-line block ×7, first 2 shown]
	s_mov_b32 s22, exec_lo
	v_cmpx_gt_u32_e64 s64, v140
	s_cbranch_execz .LBB810_411
; %bb.410:                              ;   in Loop: Header=BB810_390 Depth=2
	v_add_co_u32 v55, vcc_lo, 0x800, v69
	v_add_co_ci_u32_e64 v56, null, 0, v70, vcc_lo
	global_load_dwordx2 v[55:56], v[55:56], off
.LBB810_411:                            ;   in Loop: Header=BB810_390 Depth=2
	s_or_b32 exec_lo, exec_lo, s22
	s_waitcnt vmcnt(5)
	v_mov_b32_e32 v58, v6
	v_mov_b32_e32 v57, v5
	s_mov_b32 s22, exec_lo
	v_cmpx_gt_u32_e64 s64, v141
	s_cbranch_execz .LBB810_413
; %bb.412:                              ;   in Loop: Header=BB810_390 Depth=2
	v_add_co_u32 v57, vcc_lo, 0x800, v69
	v_add_co_ci_u32_e64 v58, null, 0, v70, vcc_lo
	global_load_dwordx2 v[57:58], v[57:58], off offset:256
.LBB810_413:                            ;   in Loop: Header=BB810_390 Depth=2
	s_or_b32 exec_lo, exec_lo, s22
	s_waitcnt vmcnt(4)
	v_mov_b32_e32 v62, v6
	v_mov_b32_e32 v61, v5
	s_mov_b32 s22, exec_lo
	v_cmpx_gt_u32_e64 s64, v142
	s_cbranch_execz .LBB810_415
; %bb.414:                              ;   in Loop: Header=BB810_390 Depth=2
	s_waitcnt vmcnt(3)
	v_add_co_u32 v59, vcc_lo, 0x800, v69
	v_add_co_ci_u32_e64 v60, null, 0, v70, vcc_lo
	global_load_dwordx2 v[61:62], v[59:60], off offset:512
.LBB810_415:                            ;   in Loop: Header=BB810_390 Depth=2
	s_or_b32 exec_lo, exec_lo, s22
	s_waitcnt vmcnt(3)
	v_mov_b32_e32 v60, v6
	v_mov_b32_e32 v59, v5
	s_mov_b32 s22, exec_lo
	v_cmpx_gt_u32_e64 s64, v143
	s_cbranch_execz .LBB810_417
; %bb.416:                              ;   in Loop: Header=BB810_390 Depth=2
	v_add_co_u32 v59, vcc_lo, 0x800, v69
	v_add_co_ci_u32_e64 v60, null, 0, v70, vcc_lo
	global_load_dwordx2 v[59:60], v[59:60], off offset:768
.LBB810_417:                            ;   in Loop: Header=BB810_390 Depth=2
	s_or_b32 exec_lo, exec_lo, s22
	s_waitcnt vmcnt(2)
	v_mov_b32_e32 v64, v6
	v_mov_b32_e32 v63, v5
	s_mov_b32 s22, exec_lo
	v_cmpx_gt_u32_e64 s64, v144
	s_cbranch_execz .LBB810_419
; %bb.418:                              ;   in Loop: Header=BB810_390 Depth=2
	v_add_co_u32 v63, vcc_lo, 0x800, v69
	v_add_co_ci_u32_e64 v64, null, 0, v70, vcc_lo
	global_load_dwordx2 v[63:64], v[63:64], off offset:1024
.LBB810_419:                            ;   in Loop: Header=BB810_390 Depth=2
	;; [unrolled: 12-line block ×4, first 2 shown]
	s_or_b32 exec_lo, exec_lo, s22
	v_cmp_gt_u32_e64 s22, s64, v147
	s_sub_i32 s23, s61, s56
.LBB810_424:                            ;   in Loop: Header=BB810_390 Depth=2
	v_mov_b32_e32 v69, -1
	v_mov_b32_e32 v70, -1
	v_mov_b32_e32 v169, s64
	s_and_saveexec_b32 s24, s22
	s_cbranch_execz .LBB810_426
; %bb.425:                              ;   in Loop: Header=BB810_390 Depth=2
	s_lshl_b64 s[28:29], s[56:57], 3
	v_mov_b32_e32 v169, s23
	v_add_co_u32 v3, vcc_lo, v148, s28
	v_add_co_ci_u32_e64 v70, null, s29, v149, vcc_lo
	v_add_co_u32 v69, vcc_lo, 0x800, v3
	v_add_co_ci_u32_e64 v70, null, 0, v70, vcc_lo
	global_load_dwordx2 v[69:70], v[69:70], off offset:1792
	s_waitcnt vmcnt(0)
	v_xor_b32_e32 v70, 0x80000000, v70
.LBB810_426:                            ;   in Loop: Header=BB810_390 Depth=2
	s_or_b32 exec_lo, exec_lo, s24
	s_waitcnt vmcnt(14)
	v_xor_b32_e32 v42, 0x80000000, v42
	ds_write2_b32 v100, v4, v4 offset0:136 offset1:137
	ds_write2_b32 v100, v4, v4 offset0:138 offset1:139
	ds_write_b32 v100, v4 offset:560
	s_waitcnt vmcnt(0) lgkmcnt(0)
	s_barrier
	v_lshrrev_b64 v[71:72], s47, v[41:42]
	buffer_gl0_inv
	; wave barrier
	v_and_b32_e32 v72, s63, v71
	v_and_b32_e32 v3, 1, v72
	v_lshlrev_b32_e32 v71, 30, v72
	v_lshlrev_b32_e32 v73, 29, v72
	;; [unrolled: 1-line block ×4, first 2 shown]
	v_add_co_u32 v3, s22, v3, -1
	v_cndmask_b32_e64 v74, 0, 1, s22
	v_not_b32_e32 v173, v71
	v_cmp_gt_i32_e64 s22, 0, v71
	v_not_b32_e32 v71, v73
	v_lshlrev_b32_e32 v172, 26, v72
	v_cmp_ne_u32_e32 vcc_lo, 0, v74
	v_ashrrev_i32_e32 v173, 31, v173
	v_lshlrev_b32_e32 v74, 25, v72
	v_ashrrev_i32_e32 v71, 31, v71
	v_mul_u32_u24_e32 v72, 36, v72
	v_xor_b32_e32 v3, vcc_lo, v3
	v_cmp_gt_i32_e32 vcc_lo, 0, v73
	v_not_b32_e32 v73, v170
	v_xor_b32_e32 v173, s22, v173
	v_cmp_gt_i32_e64 s22, 0, v170
	v_and_b32_e32 v3, exec_lo, v3
	v_not_b32_e32 v170, v171
	v_ashrrev_i32_e32 v73, 31, v73
	v_xor_b32_e32 v71, vcc_lo, v71
	v_cmp_gt_i32_e32 vcc_lo, 0, v171
	v_and_b32_e32 v3, v3, v173
	v_not_b32_e32 v171, v172
	v_ashrrev_i32_e32 v170, 31, v170
	v_xor_b32_e32 v73, s22, v73
	v_cmp_gt_i32_e64 s22, 0, v172
	v_and_b32_e32 v3, v3, v71
	v_not_b32_e32 v71, v74
	v_ashrrev_i32_e32 v171, 31, v171
	v_xor_b32_e32 v170, vcc_lo, v170
	v_cmp_gt_i32_e32 vcc_lo, 0, v74
	v_and_b32_e32 v3, v3, v73
	v_ashrrev_i32_e32 v71, 31, v71
	v_xor_b32_e32 v73, s22, v171
	v_and_b32_e32 v3, v3, v170
	v_xor_b32_e32 v71, vcc_lo, v71
	v_add_nc_u32_e32 v170, v150, v72
	v_and_b32_e32 v3, v3, v73
	v_and_b32_e32 v71, v3, v71
	v_mbcnt_lo_u32_b32 v3, v71, 0
	v_cmp_ne_u32_e64 s22, 0, v71
	v_cmp_eq_u32_e32 vcc_lo, 0, v3
	s_and_b32 s23, s22, vcc_lo
	s_and_saveexec_b32 s22, s23
; %bb.427:                              ;   in Loop: Header=BB810_390 Depth=2
	v_bcnt_u32_b32 v71, v71, 0
	ds_write_b32 v170, v71 offset:544
; %bb.428:                              ;   in Loop: Header=BB810_390 Depth=2
	s_or_b32 exec_lo, exec_lo, s22
	v_xor_b32_e32 v40, 0x80000000, v40
	; wave barrier
	v_lshrrev_b64 v[71:72], s47, v[39:40]
	v_and_b32_e32 v72, s63, v71
	v_and_b32_e32 v71, 1, v72
	v_lshlrev_b32_e32 v73, 30, v72
	v_lshlrev_b32_e32 v74, 29, v72
	v_lshlrev_b32_e32 v172, 28, v72
	v_lshlrev_b32_e32 v173, 27, v72
	v_add_co_u32 v71, s22, v71, -1
	v_cndmask_b32_e64 v171, 0, 1, s22
	v_not_b32_e32 v175, v73
	v_cmp_gt_i32_e64 s22, 0, v73
	v_not_b32_e32 v73, v74
	v_lshlrev_b32_e32 v174, 26, v72
	v_cmp_ne_u32_e32 vcc_lo, 0, v171
	v_ashrrev_i32_e32 v175, 31, v175
	v_lshlrev_b32_e32 v171, 25, v72
	v_ashrrev_i32_e32 v73, 31, v73
	v_xor_b32_e32 v71, vcc_lo, v71
	v_cmp_gt_i32_e32 vcc_lo, 0, v74
	v_not_b32_e32 v74, v172
	v_xor_b32_e32 v175, s22, v175
	v_cmp_gt_i32_e64 s22, 0, v172
	v_and_b32_e32 v71, exec_lo, v71
	v_not_b32_e32 v172, v173
	v_ashrrev_i32_e32 v74, 31, v74
	v_xor_b32_e32 v73, vcc_lo, v73
	v_cmp_gt_i32_e32 vcc_lo, 0, v173
	v_and_b32_e32 v71, v71, v175
	v_not_b32_e32 v173, v174
	v_ashrrev_i32_e32 v172, 31, v172
	v_xor_b32_e32 v74, s22, v74
	v_cmp_gt_i32_e64 s22, 0, v174
	v_and_b32_e32 v71, v71, v73
	v_not_b32_e32 v73, v171
	v_ashrrev_i32_e32 v173, 31, v173
	v_xor_b32_e32 v172, vcc_lo, v172
	v_cmp_gt_i32_e32 vcc_lo, 0, v171
	v_and_b32_e32 v71, v71, v74
	v_ashrrev_i32_e32 v73, 31, v73
	v_xor_b32_e32 v74, s22, v173
	v_mad_u32_u24 v171, v72, 36, v150
	v_mul_u32_u24_e32 v72, 36, v72
	v_and_b32_e32 v71, v71, v172
	v_xor_b32_e32 v73, vcc_lo, v73
	ds_read_b32 v171, v171 offset:544
	v_add_nc_u32_e32 v173, v150, v72
	v_and_b32_e32 v71, v71, v74
	; wave barrier
	v_and_b32_e32 v71, v71, v73
	v_mbcnt_lo_u32_b32 v172, v71, 0
	v_cmp_ne_u32_e64 s22, 0, v71
	v_cmp_eq_u32_e32 vcc_lo, 0, v172
	s_and_b32 s23, s22, vcc_lo
	s_and_saveexec_b32 s22, s23
	s_cbranch_execz .LBB810_430
; %bb.429:                              ;   in Loop: Header=BB810_390 Depth=2
	s_waitcnt lgkmcnt(0)
	v_bcnt_u32_b32 v71, v71, v171
	ds_write_b32 v173, v71 offset:544
.LBB810_430:                            ;   in Loop: Header=BB810_390 Depth=2
	s_or_b32 exec_lo, exec_lo, s22
	v_xor_b32_e32 v44, 0x80000000, v44
	; wave barrier
	v_lshrrev_b64 v[71:72], s47, v[43:44]
	v_and_b32_e32 v72, s63, v71
	v_and_b32_e32 v71, 1, v72
	v_lshlrev_b32_e32 v73, 30, v72
	v_lshlrev_b32_e32 v74, 29, v72
	v_lshlrev_b32_e32 v175, 28, v72
	v_lshlrev_b32_e32 v176, 27, v72
	v_add_co_u32 v71, s22, v71, -1
	v_cndmask_b32_e64 v174, 0, 1, s22
	v_not_b32_e32 v178, v73
	v_cmp_gt_i32_e64 s22, 0, v73
	v_not_b32_e32 v73, v74
	v_lshlrev_b32_e32 v177, 26, v72
	v_cmp_ne_u32_e32 vcc_lo, 0, v174
	v_ashrrev_i32_e32 v178, 31, v178
	v_lshlrev_b32_e32 v174, 25, v72
	v_ashrrev_i32_e32 v73, 31, v73
	v_xor_b32_e32 v71, vcc_lo, v71
	v_cmp_gt_i32_e32 vcc_lo, 0, v74
	v_not_b32_e32 v74, v175
	v_xor_b32_e32 v178, s22, v178
	v_cmp_gt_i32_e64 s22, 0, v175
	v_and_b32_e32 v71, exec_lo, v71
	v_not_b32_e32 v175, v176
	v_ashrrev_i32_e32 v74, 31, v74
	v_xor_b32_e32 v73, vcc_lo, v73
	v_cmp_gt_i32_e32 vcc_lo, 0, v176
	v_and_b32_e32 v71, v71, v178
	v_not_b32_e32 v176, v177
	v_ashrrev_i32_e32 v175, 31, v175
	v_xor_b32_e32 v74, s22, v74
	v_cmp_gt_i32_e64 s22, 0, v177
	v_and_b32_e32 v71, v71, v73
	v_not_b32_e32 v73, v174
	v_ashrrev_i32_e32 v176, 31, v176
	v_xor_b32_e32 v175, vcc_lo, v175
	v_cmp_gt_i32_e32 vcc_lo, 0, v174
	v_and_b32_e32 v71, v71, v74
	v_ashrrev_i32_e32 v73, 31, v73
	v_xor_b32_e32 v74, s22, v176
	v_mad_u32_u24 v174, v72, 36, v150
	v_mul_u32_u24_e32 v72, 36, v72
	v_and_b32_e32 v71, v71, v175
	v_xor_b32_e32 v73, vcc_lo, v73
	ds_read_b32 v174, v174 offset:544
	v_add_nc_u32_e32 v176, v150, v72
	v_and_b32_e32 v71, v71, v74
	; wave barrier
	v_and_b32_e32 v71, v71, v73
	v_mbcnt_lo_u32_b32 v175, v71, 0
	v_cmp_ne_u32_e64 s22, 0, v71
	v_cmp_eq_u32_e32 vcc_lo, 0, v175
	s_and_b32 s23, s22, vcc_lo
	s_and_saveexec_b32 s22, s23
	s_cbranch_execz .LBB810_432
; %bb.431:                              ;   in Loop: Header=BB810_390 Depth=2
	s_waitcnt lgkmcnt(0)
	v_bcnt_u32_b32 v71, v71, v174
	ds_write_b32 v176, v71 offset:544
.LBB810_432:                            ;   in Loop: Header=BB810_390 Depth=2
	;; [unrolled: 63-line block ×14, first 2 shown]
	s_or_b32 exec_lo, exec_lo, s22
	v_lshrrev_b64 v[71:72], s47, v[69:70]
	; wave barrier
	v_and_b32_e32 v72, s63, v71
	v_and_b32_e32 v71, 1, v72
	v_lshlrev_b32_e32 v73, 30, v72
	v_lshlrev_b32_e32 v74, 29, v72
	;; [unrolled: 1-line block ×4, first 2 shown]
	v_add_co_u32 v71, s22, v71, -1
	v_cndmask_b32_e64 v212, 0, 1, s22
	v_not_b32_e32 v217, v73
	v_cmp_gt_i32_e64 s22, 0, v73
	v_not_b32_e32 v73, v74
	v_lshlrev_b32_e32 v216, 26, v72
	v_cmp_ne_u32_e32 vcc_lo, 0, v212
	v_ashrrev_i32_e32 v217, 31, v217
	v_lshlrev_b32_e32 v212, 25, v72
	v_ashrrev_i32_e32 v73, 31, v73
	v_xor_b32_e32 v71, vcc_lo, v71
	v_cmp_gt_i32_e32 vcc_lo, 0, v74
	v_not_b32_e32 v74, v213
	v_xor_b32_e32 v217, s22, v217
	v_cmp_gt_i32_e64 s22, 0, v213
	v_and_b32_e32 v71, exec_lo, v71
	v_not_b32_e32 v213, v215
	v_ashrrev_i32_e32 v74, 31, v74
	v_xor_b32_e32 v73, vcc_lo, v73
	v_cmp_gt_i32_e32 vcc_lo, 0, v215
	v_and_b32_e32 v71, v71, v217
	v_not_b32_e32 v215, v216
	v_ashrrev_i32_e32 v213, 31, v213
	v_xor_b32_e32 v74, s22, v74
	v_cmp_gt_i32_e64 s22, 0, v216
	v_and_b32_e32 v71, v71, v73
	v_not_b32_e32 v73, v212
	v_ashrrev_i32_e32 v215, 31, v215
	v_xor_b32_e32 v213, vcc_lo, v213
	v_cmp_gt_i32_e32 vcc_lo, 0, v212
	v_and_b32_e32 v71, v71, v74
	v_ashrrev_i32_e32 v73, 31, v73
	v_xor_b32_e32 v74, s22, v215
	v_mad_u32_u24 v212, v72, 36, v150
	v_mul_u32_u24_e32 v72, 36, v72
	v_and_b32_e32 v71, v71, v213
	v_xor_b32_e32 v73, vcc_lo, v73
	ds_read_b32 v212, v212 offset:544
	v_add_nc_u32_e32 v215, v150, v72
	v_and_b32_e32 v71, v71, v74
	; wave barrier
	v_and_b32_e32 v71, v71, v73
	v_mbcnt_lo_u32_b32 v213, v71, 0
	v_cmp_ne_u32_e64 s22, 0, v71
	v_cmp_eq_u32_e32 vcc_lo, 0, v213
	s_and_b32 s23, s22, vcc_lo
	s_and_saveexec_b32 s22, s23
	s_cbranch_execz .LBB810_458
; %bb.457:                              ;   in Loop: Header=BB810_390 Depth=2
	s_waitcnt lgkmcnt(0)
	v_bcnt_u32_b32 v71, v71, v212
	ds_write_b32 v215, v71 offset:544
.LBB810_458:                            ;   in Loop: Header=BB810_390 Depth=2
	s_or_b32 exec_lo, exec_lo, s22
	; wave barrier
	s_waitcnt lgkmcnt(0)
	s_barrier
	buffer_gl0_inv
	ds_read2_b32 v[73:74], v100 offset0:136 offset1:137
	ds_read2_b32 v[71:72], v100 offset0:138 offset1:139
	ds_read_b32 v216, v100 offset:560
	s_waitcnt lgkmcnt(1)
	v_add3_u32 v217, v74, v73, v71
	s_waitcnt lgkmcnt(0)
	v_add3_u32 v216, v217, v72, v216
	v_mov_b32_dpp v217, v216 row_shr:1 row_mask:0xf bank_mask:0xf
	v_cndmask_b32_e64 v217, v217, 0, s5
	v_add_nc_u32_e32 v216, v217, v216
	v_mov_b32_dpp v217, v216 row_shr:2 row_mask:0xf bank_mask:0xf
	v_cndmask_b32_e64 v217, 0, v217, s14
	v_add_nc_u32_e32 v216, v216, v217
	;; [unrolled: 3-line block ×4, first 2 shown]
	ds_swizzle_b32 v217, v216 offset:swizzle(BROADCAST,32,15)
	s_waitcnt lgkmcnt(0)
	v_cndmask_b32_e64 v217, v217, 0, s17
	v_add_nc_u32_e32 v216, v216, v217
	s_and_saveexec_b32 s22, s4
; %bb.459:                              ;   in Loop: Header=BB810_390 Depth=2
	ds_write_b32 v94, v216 offset:512
; %bb.460:                              ;   in Loop: Header=BB810_390 Depth=2
	s_or_b32 exec_lo, exec_lo, s22
	s_waitcnt lgkmcnt(0)
	s_barrier
	buffer_gl0_inv
	s_and_saveexec_b32 s22, s11
	s_cbranch_execz .LBB810_462
; %bb.461:                              ;   in Loop: Header=BB810_390 Depth=2
	ds_read_b32 v217, v101 offset:512
	s_waitcnt lgkmcnt(0)
	v_mov_b32_dpp v218, v217 row_shr:1 row_mask:0xf bank_mask:0xf
	v_cndmask_b32_e64 v218, v218, 0, s19
	v_add_nc_u32_e32 v217, v218, v217
	v_mov_b32_dpp v218, v217 row_shr:2 row_mask:0xf bank_mask:0xf
	v_cndmask_b32_e64 v218, 0, v218, s20
	v_add_nc_u32_e32 v217, v217, v218
	;; [unrolled: 3-line block ×3, first 2 shown]
	ds_write_b32 v101, v217 offset:512
.LBB810_462:                            ;   in Loop: Header=BB810_390 Depth=2
	s_or_b32 exec_lo, exec_lo, s22
	v_mov_b32_e32 v217, 0
	s_waitcnt lgkmcnt(0)
	s_barrier
	buffer_gl0_inv
	s_and_saveexec_b32 s22, s10
; %bb.463:                              ;   in Loop: Header=BB810_390 Depth=2
	ds_read_b32 v217, v94 offset:508
; %bb.464:                              ;   in Loop: Header=BB810_390 Depth=2
	s_or_b32 exec_lo, exec_lo, s22
	s_waitcnt lgkmcnt(0)
	v_add_nc_u32_e32 v216, v217, v216
	ds_bpermute_b32 v216, v129, v216
	s_waitcnt lgkmcnt(0)
	v_cndmask_b32_e64 v216, v216, v217, s18
	v_cndmask_b32_e64 v216, v216, 0, s12
	v_add_nc_u32_e32 v73, v216, v73
	v_add_nc_u32_e32 v74, v73, v74
	;; [unrolled: 1-line block ×4, first 2 shown]
	ds_write2_b32 v100, v216, v73 offset0:136 offset1:137
	ds_write2_b32 v100, v74, v71 offset0:138 offset1:139
	ds_write_b32 v100, v72 offset:560
	s_waitcnt lgkmcnt(0)
	s_barrier
	buffer_gl0_inv
	ds_read_b32 v71, v170 offset:544
	ds_read_b32 v219, v173 offset:544
	;; [unrolled: 1-line block ×16, first 2 shown]
	s_and_saveexec_b32 s22, s7
	s_cbranch_execz .LBB810_468
; %bb.465:                              ;   in Loop: Header=BB810_390 Depth=2
	ds_read_b32 v165, v103 offset:544
	v_mov_b32_e32 v168, 0x1000
	s_and_saveexec_b32 s23, s13
; %bb.466:                              ;   in Loop: Header=BB810_390 Depth=2
	ds_read_b32 v168, v102 offset:544
; %bb.467:                              ;   in Loop: Header=BB810_390 Depth=2
	s_or_b32 exec_lo, exec_lo, s23
	s_waitcnt lgkmcnt(0)
	v_sub_nc_u32_e32 v168, v168, v165
.LBB810_468:                            ;   in Loop: Header=BB810_390 Depth=2
	s_or_b32 exec_lo, exec_lo, s22
	s_waitcnt lgkmcnt(0)
	s_barrier
	buffer_gl0_inv
	s_and_saveexec_b32 s22, s7
	s_cbranch_execz .LBB810_470
; %bb.469:                              ;   in Loop: Header=BB810_390 Depth=2
	ds_read_b32 v196, v75
	s_waitcnt lgkmcnt(0)
	v_sub_nc_u32_e32 v196, v196, v165
	ds_write_b32 v75, v196
.LBB810_470:                            ;   in Loop: Header=BB810_390 Depth=2
	s_or_b32 exec_lo, exec_lo, s22
	v_lshlrev_b32_e32 v3, 3, v3
	v_lshlrev_b32_e32 v172, 3, v172
	;; [unrolled: 1-line block ×5, first 2 shown]
	v_lshl_add_u32 v71, v71, 3, v3
	v_lshlrev_b32_e32 v3, 3, v174
	v_lshlrev_b32_e32 v174, 3, v72
	v_add3_u32 v72, v172, v171, v196
	v_lshlrev_b32_e32 v178, 3, v178
	ds_write_b64 v71, v[41:42] offset:512
	v_lshlrev_b32_e32 v42, 3, v177
	v_lshlrev_b32_e32 v171, 3, v218
	;; [unrolled: 1-line block ×8, first 2 shown]
	ds_write_b64 v72, v[39:40] offset:512
	v_add3_u32 v41, v175, v3, v174
	v_lshlrev_b32_e32 v3, 3, v187
	v_lshlrev_b32_e32 v39, 3, v186
	;; [unrolled: 1-line block ×3, first 2 shown]
	v_add3_u32 v42, v178, v42, v171
	v_add3_u32 v73, v172, v177, v74
	;; [unrolled: 1-line block ×3, first 2 shown]
	ds_write_b64 v41, v[43:44] offset:512
	ds_write_b64 v42, v[45:46] offset:512
	;; [unrolled: 1-line block ×4, first 2 shown]
	v_add3_u32 v43, v3, v39, v40
	v_lshlrev_b32_e32 v3, 3, v190
	v_lshlrev_b32_e32 v39, 3, v189
	v_lshlrev_b32_e32 v40, 3, v216
	v_lshlrev_b32_e32 v45, 3, v193
	v_lshlrev_b32_e32 v46, 3, v191
	v_lshlrev_b32_e32 v47, 3, v192
	v_lshlrev_b32_e32 v48, 3, v195
	v_lshlrev_b32_e32 v51, 3, v194
	v_lshlrev_b32_e32 v52, 3, v188
	v_lshlrev_b32_e32 v171, 3, v198
	v_lshlrev_b32_e32 v172, 3, v197
	v_lshlrev_b32_e32 v174, 3, v185
	v_add3_u32 v44, v3, v39, v40
	v_lshlrev_b32_e32 v3, 3, v201
	v_lshlrev_b32_e32 v39, 3, v200
	;; [unrolled: 1-line block ×3, first 2 shown]
	v_add3_u32 v45, v45, v46, v47
	v_add3_u32 v46, v48, v51, v52
	;; [unrolled: 1-line block ×3, first 2 shown]
	ds_write_b64 v43, v[49:50] offset:512
	ds_write_b64 v44, v[53:54] offset:512
	;; [unrolled: 1-line block ×5, first 2 shown]
	v_add3_u32 v48, v3, v39, v40
	v_lshlrev_b32_e32 v3, 3, v204
	v_lshlrev_b32_e32 v39, 3, v203
	;; [unrolled: 1-line block ×12, first 2 shown]
	v_add3_u32 v49, v3, v39, v40
	v_add3_u32 v50, v50, v51, v52
	;; [unrolled: 1-line block ×3, first 2 shown]
	v_cmp_lt_u32_e32 vcc_lo, v0, v169
	v_add3_u32 v52, v56, v57, v58
	ds_write_b64 v48, v[59:60] offset:512
	ds_write_b64 v49, v[63:64] offset:512
	;; [unrolled: 1-line block ×5, first 2 shown]
	s_waitcnt lgkmcnt(0)
	s_barrier
	buffer_gl0_inv
	s_and_saveexec_b32 s23, vcc_lo
	s_cbranch_execnz .LBB810_539
; %bb.471:                              ;   in Loop: Header=BB810_390 Depth=2
	s_or_b32 exec_lo, exec_lo, s23
	v_cmp_lt_u32_e64 s22, v76, v169
	s_and_saveexec_b32 s24, s22
	s_cbranch_execnz .LBB810_540
.LBB810_472:                            ;   in Loop: Header=BB810_390 Depth=2
	s_or_b32 exec_lo, exec_lo, s24
	v_cmp_lt_u32_e64 s23, v79, v169
	s_and_saveexec_b32 s25, s23
	s_cbranch_execnz .LBB810_541
.LBB810_473:                            ;   in Loop: Header=BB810_390 Depth=2
	s_or_b32 exec_lo, exec_lo, s25
	v_cmp_lt_u32_e64 s24, v80, v169
	s_and_saveexec_b32 s26, s24
	s_cbranch_execnz .LBB810_542
.LBB810_474:                            ;   in Loop: Header=BB810_390 Depth=2
	s_or_b32 exec_lo, exec_lo, s26
	v_cmp_lt_u32_e64 s25, v81, v169
	s_and_saveexec_b32 s28, s25
	s_cbranch_execnz .LBB810_543
.LBB810_475:                            ;   in Loop: Header=BB810_390 Depth=2
	s_or_b32 exec_lo, exec_lo, s28
	v_cmp_lt_u32_e64 s26, v82, v169
	s_and_saveexec_b32 s29, s26
	s_cbranch_execnz .LBB810_544
.LBB810_476:                            ;   in Loop: Header=BB810_390 Depth=2
	s_or_b32 exec_lo, exec_lo, s29
	v_cmp_lt_u32_e64 s28, v83, v169
	s_and_saveexec_b32 s30, s28
	s_cbranch_execnz .LBB810_545
.LBB810_477:                            ;   in Loop: Header=BB810_390 Depth=2
	s_or_b32 exec_lo, exec_lo, s30
	v_cmp_lt_u32_e64 s29, v84, v169
	s_and_saveexec_b32 s31, s29
	s_cbranch_execnz .LBB810_546
.LBB810_478:                            ;   in Loop: Header=BB810_390 Depth=2
	s_or_b32 exec_lo, exec_lo, s31
	v_cmp_lt_u32_e64 s30, v85, v169
	s_and_saveexec_b32 s33, s30
	s_cbranch_execnz .LBB810_547
.LBB810_479:                            ;   in Loop: Header=BB810_390 Depth=2
	s_or_b32 exec_lo, exec_lo, s33
	v_cmp_lt_u32_e64 s31, v86, v169
	s_and_saveexec_b32 s34, s31
	s_cbranch_execnz .LBB810_548
.LBB810_480:                            ;   in Loop: Header=BB810_390 Depth=2
	s_or_b32 exec_lo, exec_lo, s34
	v_cmp_lt_u32_e64 s33, v87, v169
	s_and_saveexec_b32 s35, s33
	s_cbranch_execnz .LBB810_549
.LBB810_481:                            ;   in Loop: Header=BB810_390 Depth=2
	s_or_b32 exec_lo, exec_lo, s35
	v_cmp_lt_u32_e64 s34, v88, v169
	s_and_saveexec_b32 s36, s34
	s_cbranch_execnz .LBB810_550
.LBB810_482:                            ;   in Loop: Header=BB810_390 Depth=2
	s_or_b32 exec_lo, exec_lo, s36
	v_cmp_lt_u32_e64 s35, v89, v169
	s_and_saveexec_b32 s37, s35
	s_cbranch_execnz .LBB810_551
.LBB810_483:                            ;   in Loop: Header=BB810_390 Depth=2
	s_or_b32 exec_lo, exec_lo, s37
	v_cmp_lt_u32_e64 s36, v90, v169
	s_and_saveexec_b32 s38, s36
	s_cbranch_execnz .LBB810_552
.LBB810_484:                            ;   in Loop: Header=BB810_390 Depth=2
	s_or_b32 exec_lo, exec_lo, s38
	v_cmp_lt_u32_e64 s37, v91, v169
	s_and_saveexec_b32 s39, s37
	s_cbranch_execnz .LBB810_553
.LBB810_485:                            ;   in Loop: Header=BB810_390 Depth=2
	s_or_b32 exec_lo, exec_lo, s39
	v_cmp_lt_u32_e64 s38, v92, v169
	s_and_saveexec_b32 s66, s38
	s_cbranch_execz .LBB810_487
.LBB810_486:                            ;   in Loop: Header=BB810_390 Depth=2
	ds_read_b64 v[39:40], v108 offset:31232
	s_waitcnt lgkmcnt(0)
	v_lshrrev_b64 v[53:54], s47, v[39:40]
	v_xor_b32_e32 v40, 0x80000000, v40
	v_and_b32_e32 v3, s63, v53
	v_lshlrev_b32_e32 v3, 2, v3
	ds_read_b32 v3, v3
	s_waitcnt lgkmcnt(0)
	v_add_nc_u32_e32 v3, v3, v92
	v_lshlrev_b64 v[53:54], 3, v[3:4]
	v_add_co_u32 v53, s39, s44, v53
	v_add_co_ci_u32_e64 v54, null, s45, v54, s39
	global_store_dwordx2 v[53:54], v[39:40], off
.LBB810_487:                            ;   in Loop: Header=BB810_390 Depth=2
	s_or_b32 exec_lo, exec_lo, s66
	s_lshl_b64 s[66:67], s[56:57], 3
	v_add_co_u32 v39, s39, v131, s66
	v_add_co_ci_u32_e64 v40, null, s67, v132, s39
	v_cmp_lt_u32_e64 s39, v130, v169
	s_and_saveexec_b32 s56, s39
	s_xor_b32 s39, exec_lo, s56
	s_cbranch_execnz .LBB810_554
; %bb.488:                              ;   in Loop: Header=BB810_390 Depth=2
	s_or_b32 exec_lo, exec_lo, s39
	s_mov_b32 s56, exec_lo
	v_cmpx_lt_u32_e64 v133, v169
	s_cbranch_execnz .LBB810_555
.LBB810_489:                            ;   in Loop: Header=BB810_390 Depth=2
	s_or_b32 exec_lo, exec_lo, s56
	s_mov_b32 s56, exec_lo
	v_cmpx_lt_u32_e64 v134, v169
	s_cbranch_execnz .LBB810_556
.LBB810_490:                            ;   in Loop: Header=BB810_390 Depth=2
	s_or_b32 exec_lo, exec_lo, s56
	s_mov_b32 s56, exec_lo
	v_cmpx_lt_u32_e64 v135, v169
	s_cbranch_execnz .LBB810_557
.LBB810_491:                            ;   in Loop: Header=BB810_390 Depth=2
	s_or_b32 exec_lo, exec_lo, s56
	s_mov_b32 s56, exec_lo
	v_cmpx_lt_u32_e64 v136, v169
	s_cbranch_execnz .LBB810_558
.LBB810_492:                            ;   in Loop: Header=BB810_390 Depth=2
	s_or_b32 exec_lo, exec_lo, s56
	s_mov_b32 s56, exec_lo
	v_cmpx_lt_u32_e64 v137, v169
	s_cbranch_execnz .LBB810_559
.LBB810_493:                            ;   in Loop: Header=BB810_390 Depth=2
	s_or_b32 exec_lo, exec_lo, s56
	s_mov_b32 s56, exec_lo
	v_cmpx_lt_u32_e64 v138, v169
	s_cbranch_execnz .LBB810_560
.LBB810_494:                            ;   in Loop: Header=BB810_390 Depth=2
	s_or_b32 exec_lo, exec_lo, s56
	s_mov_b32 s56, exec_lo
	v_cmpx_lt_u32_e64 v139, v169
	s_cbranch_execnz .LBB810_561
.LBB810_495:                            ;   in Loop: Header=BB810_390 Depth=2
	s_or_b32 exec_lo, exec_lo, s56
	s_mov_b32 s56, exec_lo
	v_cmpx_lt_u32_e64 v140, v169
	s_cbranch_execnz .LBB810_562
.LBB810_496:                            ;   in Loop: Header=BB810_390 Depth=2
	s_or_b32 exec_lo, exec_lo, s56
	s_mov_b32 s56, exec_lo
	v_cmpx_lt_u32_e64 v141, v169
	s_cbranch_execnz .LBB810_563
.LBB810_497:                            ;   in Loop: Header=BB810_390 Depth=2
	s_or_b32 exec_lo, exec_lo, s56
	s_mov_b32 s56, exec_lo
	v_cmpx_lt_u32_e64 v142, v169
	s_cbranch_execnz .LBB810_564
.LBB810_498:                            ;   in Loop: Header=BB810_390 Depth=2
	s_or_b32 exec_lo, exec_lo, s56
	s_mov_b32 s56, exec_lo
	v_cmpx_lt_u32_e64 v143, v169
	s_cbranch_execnz .LBB810_565
.LBB810_499:                            ;   in Loop: Header=BB810_390 Depth=2
	s_or_b32 exec_lo, exec_lo, s56
	s_mov_b32 s56, exec_lo
	v_cmpx_lt_u32_e64 v144, v169
	s_cbranch_execnz .LBB810_566
.LBB810_500:                            ;   in Loop: Header=BB810_390 Depth=2
	s_or_b32 exec_lo, exec_lo, s56
	s_mov_b32 s56, exec_lo
	v_cmpx_lt_u32_e64 v145, v169
	s_cbranch_execnz .LBB810_567
.LBB810_501:                            ;   in Loop: Header=BB810_390 Depth=2
	s_or_b32 exec_lo, exec_lo, s56
	s_mov_b32 s56, exec_lo
	v_cmpx_lt_u32_e64 v146, v169
	s_cbranch_execnz .LBB810_568
.LBB810_502:                            ;   in Loop: Header=BB810_390 Depth=2
	s_or_b32 exec_lo, exec_lo, s56
	s_mov_b32 s56, exec_lo
	v_cmpx_lt_u32_e64 v147, v169
	s_cbranch_execnz .LBB810_569
.LBB810_503:                            ;   in Loop: Header=BB810_390 Depth=2
	s_or_b32 exec_lo, exec_lo, s56
	s_and_saveexec_b32 s39, vcc_lo
	s_cbranch_execnz .LBB810_570
.LBB810_504:                            ;   in Loop: Header=BB810_390 Depth=2
	s_or_b32 exec_lo, exec_lo, s39
	s_and_saveexec_b32 s39, s22
	s_cbranch_execnz .LBB810_571
.LBB810_505:                            ;   in Loop: Header=BB810_390 Depth=2
	s_or_b32 exec_lo, exec_lo, s39
	s_and_saveexec_b32 s39, s23
	s_cbranch_execnz .LBB810_572
.LBB810_506:                            ;   in Loop: Header=BB810_390 Depth=2
	s_or_b32 exec_lo, exec_lo, s39
	s_and_saveexec_b32 s39, s24
	s_cbranch_execnz .LBB810_573
.LBB810_507:                            ;   in Loop: Header=BB810_390 Depth=2
	s_or_b32 exec_lo, exec_lo, s39
	s_and_saveexec_b32 s39, s25
	s_cbranch_execnz .LBB810_574
.LBB810_508:                            ;   in Loop: Header=BB810_390 Depth=2
	s_or_b32 exec_lo, exec_lo, s39
	s_and_saveexec_b32 s39, s26
	s_cbranch_execnz .LBB810_575
.LBB810_509:                            ;   in Loop: Header=BB810_390 Depth=2
	s_or_b32 exec_lo, exec_lo, s39
	s_and_saveexec_b32 s39, s28
	s_cbranch_execnz .LBB810_576
.LBB810_510:                            ;   in Loop: Header=BB810_390 Depth=2
	s_or_b32 exec_lo, exec_lo, s39
	s_and_saveexec_b32 s39, s29
	s_cbranch_execnz .LBB810_577
.LBB810_511:                            ;   in Loop: Header=BB810_390 Depth=2
	s_or_b32 exec_lo, exec_lo, s39
	s_and_saveexec_b32 s39, s30
	s_cbranch_execnz .LBB810_578
.LBB810_512:                            ;   in Loop: Header=BB810_390 Depth=2
	s_or_b32 exec_lo, exec_lo, s39
	s_and_saveexec_b32 s39, s31
	s_cbranch_execnz .LBB810_579
.LBB810_513:                            ;   in Loop: Header=BB810_390 Depth=2
	s_or_b32 exec_lo, exec_lo, s39
	s_and_saveexec_b32 s39, s33
	s_cbranch_execnz .LBB810_580
.LBB810_514:                            ;   in Loop: Header=BB810_390 Depth=2
	s_or_b32 exec_lo, exec_lo, s39
	s_and_saveexec_b32 s39, s34
	s_cbranch_execnz .LBB810_581
.LBB810_515:                            ;   in Loop: Header=BB810_390 Depth=2
	s_or_b32 exec_lo, exec_lo, s39
	s_and_saveexec_b32 s39, s35
	s_cbranch_execnz .LBB810_582
.LBB810_516:                            ;   in Loop: Header=BB810_390 Depth=2
	s_or_b32 exec_lo, exec_lo, s39
	s_and_saveexec_b32 s39, s36
	s_cbranch_execnz .LBB810_583
.LBB810_517:                            ;   in Loop: Header=BB810_390 Depth=2
	s_or_b32 exec_lo, exec_lo, s39
	s_and_saveexec_b32 s39, s37
	s_cbranch_execnz .LBB810_584
.LBB810_518:                            ;   in Loop: Header=BB810_390 Depth=2
	s_or_b32 exec_lo, exec_lo, s39
	s_and_saveexec_b32 s39, s38
	s_cbranch_execz .LBB810_520
.LBB810_519:                            ;   in Loop: Header=BB810_390 Depth=2
	ds_read_b64 v[39:40], v108 offset:31232
	s_waitcnt lgkmcnt(0)
	v_lshrrev_b64 v[39:40], s47, v[39:40]
	v_and_b32_e32 v151, s63, v39
.LBB810_520:                            ;   in Loop: Header=BB810_390 Depth=2
	s_or_b32 exec_lo, exec_lo, s39
	s_waitcnt vmcnt(0)
	s_waitcnt_vscnt null, 0x0
	s_barrier
	buffer_gl0_inv
	ds_write_b64 v71, v[37:38] offset:512
	ds_write_b64 v72, v[35:36] offset:512
	ds_write_b64 v41, v[33:34] offset:512
	ds_write_b64 v42, v[31:32] offset:512
	ds_write_b64 v73, v[29:30] offset:512
	ds_write_b64 v74, v[25:26] offset:512
	ds_write_b64 v43, v[21:22] offset:512
	ds_write_b64 v44, v[17:18] offset:512
	ds_write_b64 v45, v[27:28] offset:512
	ds_write_b64 v46, v[23:24] offset:512
	ds_write_b64 v47, v[19:20] offset:512
	ds_write_b64 v48, v[15:16] offset:512
	ds_write_b64 v49, v[13:14] offset:512
	ds_write_b64 v50, v[11:12] offset:512
	ds_write_b64 v51, v[9:10] offset:512
	ds_write_b64 v52, v[7:8] offset:512
	s_waitcnt lgkmcnt(0)
	s_barrier
	buffer_gl0_inv
	s_and_saveexec_b32 s39, vcc_lo
	s_cbranch_execnz .LBB810_585
; %bb.521:                              ;   in Loop: Header=BB810_390 Depth=2
	s_or_b32 exec_lo, exec_lo, s39
	s_and_saveexec_b32 s39, s22
	s_cbranch_execnz .LBB810_586
.LBB810_522:                            ;   in Loop: Header=BB810_390 Depth=2
	s_or_b32 exec_lo, exec_lo, s39
	s_and_saveexec_b32 s22, s23
	s_cbranch_execnz .LBB810_587
.LBB810_523:                            ;   in Loop: Header=BB810_390 Depth=2
	s_or_b32 exec_lo, exec_lo, s22
	s_and_saveexec_b32 s22, s24
	s_cbranch_execnz .LBB810_588
.LBB810_524:                            ;   in Loop: Header=BB810_390 Depth=2
	s_or_b32 exec_lo, exec_lo, s22
	s_and_saveexec_b32 s22, s25
	s_cbranch_execnz .LBB810_589
.LBB810_525:                            ;   in Loop: Header=BB810_390 Depth=2
	s_or_b32 exec_lo, exec_lo, s22
	s_and_saveexec_b32 s22, s26
	s_cbranch_execnz .LBB810_590
.LBB810_526:                            ;   in Loop: Header=BB810_390 Depth=2
	s_or_b32 exec_lo, exec_lo, s22
	s_and_saveexec_b32 s22, s28
	s_cbranch_execnz .LBB810_591
.LBB810_527:                            ;   in Loop: Header=BB810_390 Depth=2
	s_or_b32 exec_lo, exec_lo, s22
	s_and_saveexec_b32 s22, s29
	s_cbranch_execnz .LBB810_592
.LBB810_528:                            ;   in Loop: Header=BB810_390 Depth=2
	s_or_b32 exec_lo, exec_lo, s22
	s_and_saveexec_b32 s22, s30
	s_cbranch_execnz .LBB810_593
.LBB810_529:                            ;   in Loop: Header=BB810_390 Depth=2
	s_or_b32 exec_lo, exec_lo, s22
	s_and_saveexec_b32 s22, s31
	s_cbranch_execnz .LBB810_594
.LBB810_530:                            ;   in Loop: Header=BB810_390 Depth=2
	s_or_b32 exec_lo, exec_lo, s22
	s_and_saveexec_b32 s22, s33
	s_cbranch_execnz .LBB810_595
.LBB810_531:                            ;   in Loop: Header=BB810_390 Depth=2
	s_or_b32 exec_lo, exec_lo, s22
	s_and_saveexec_b32 s22, s34
	s_cbranch_execnz .LBB810_596
.LBB810_532:                            ;   in Loop: Header=BB810_390 Depth=2
	s_or_b32 exec_lo, exec_lo, s22
	s_and_saveexec_b32 s22, s35
	s_cbranch_execnz .LBB810_597
.LBB810_533:                            ;   in Loop: Header=BB810_390 Depth=2
	s_or_b32 exec_lo, exec_lo, s22
	s_and_saveexec_b32 s22, s36
	s_cbranch_execnz .LBB810_598
.LBB810_534:                            ;   in Loop: Header=BB810_390 Depth=2
	s_or_b32 exec_lo, exec_lo, s22
	s_and_saveexec_b32 s22, s37
	s_cbranch_execnz .LBB810_599
.LBB810_535:                            ;   in Loop: Header=BB810_390 Depth=2
	s_or_b32 exec_lo, exec_lo, s22
	s_and_saveexec_b32 s22, s38
	s_cbranch_execz .LBB810_537
.LBB810_536:                            ;   in Loop: Header=BB810_390 Depth=2
	v_lshlrev_b32_e32 v3, 2, v151
	ds_read_b32 v3, v3
	ds_read_b64 v[39:40], v108 offset:31232
	s_waitcnt lgkmcnt(1)
	v_add_nc_u32_e32 v3, v3, v92
	v_lshlrev_b64 v[41:42], 3, v[3:4]
	v_add_co_u32 v41, vcc_lo, s50, v41
	v_add_co_ci_u32_e64 v42, null, s51, v42, vcc_lo
	s_waitcnt lgkmcnt(0)
	global_store_dwordx2 v[41:42], v[39:40], off
.LBB810_537:                            ;   in Loop: Header=BB810_390 Depth=2
	s_or_b32 exec_lo, exec_lo, s22
	s_waitcnt_vscnt null, 0x0
	s_barrier
	buffer_gl0_inv
	s_and_saveexec_b32 s22, s7
	s_cbranch_execz .LBB810_389
; %bb.538:                              ;   in Loop: Header=BB810_390 Depth=2
	ds_read_b32 v3, v75
	s_waitcnt lgkmcnt(0)
	v_add3_u32 v3, v165, v168, v3
	ds_write_b32 v75, v3
	s_branch .LBB810_389
.LBB810_539:                            ;   in Loop: Header=BB810_390 Depth=2
	ds_read_b64 v[39:40], v108 offset:512
	s_waitcnt lgkmcnt(0)
	v_lshrrev_b64 v[53:54], s47, v[39:40]
	v_xor_b32_e32 v40, 0x80000000, v40
	v_and_b32_e32 v3, s63, v53
	v_lshlrev_b32_e32 v3, 2, v3
	ds_read_b32 v3, v3
	s_waitcnt lgkmcnt(0)
	v_add_nc_u32_e32 v3, v3, v0
	v_lshlrev_b64 v[53:54], 3, v[3:4]
	v_add_co_u32 v53, s22, s44, v53
	v_add_co_ci_u32_e64 v54, null, s45, v54, s22
	global_store_dwordx2 v[53:54], v[39:40], off
	s_or_b32 exec_lo, exec_lo, s23
	v_cmp_lt_u32_e64 s22, v76, v169
	s_and_saveexec_b32 s24, s22
	s_cbranch_execz .LBB810_472
.LBB810_540:                            ;   in Loop: Header=BB810_390 Depth=2
	ds_read_b64 v[39:40], v108 offset:2560
	s_waitcnt lgkmcnt(0)
	v_lshrrev_b64 v[53:54], s47, v[39:40]
	v_xor_b32_e32 v40, 0x80000000, v40
	v_and_b32_e32 v3, s63, v53
	v_lshlrev_b32_e32 v3, 2, v3
	ds_read_b32 v3, v3
	s_waitcnt lgkmcnt(0)
	v_add_nc_u32_e32 v3, v3, v76
	v_lshlrev_b64 v[53:54], 3, v[3:4]
	v_add_co_u32 v53, s23, s44, v53
	v_add_co_ci_u32_e64 v54, null, s45, v54, s23
	global_store_dwordx2 v[53:54], v[39:40], off
	s_or_b32 exec_lo, exec_lo, s24
	v_cmp_lt_u32_e64 s23, v79, v169
	s_and_saveexec_b32 s25, s23
	s_cbranch_execz .LBB810_473
.LBB810_541:                            ;   in Loop: Header=BB810_390 Depth=2
	ds_read_b64 v[39:40], v108 offset:4608
	s_waitcnt lgkmcnt(0)
	v_lshrrev_b64 v[53:54], s47, v[39:40]
	v_xor_b32_e32 v40, 0x80000000, v40
	v_and_b32_e32 v3, s63, v53
	v_lshlrev_b32_e32 v3, 2, v3
	ds_read_b32 v3, v3
	s_waitcnt lgkmcnt(0)
	v_add_nc_u32_e32 v3, v3, v79
	v_lshlrev_b64 v[53:54], 3, v[3:4]
	v_add_co_u32 v53, s24, s44, v53
	v_add_co_ci_u32_e64 v54, null, s45, v54, s24
	global_store_dwordx2 v[53:54], v[39:40], off
	s_or_b32 exec_lo, exec_lo, s25
	v_cmp_lt_u32_e64 s24, v80, v169
	s_and_saveexec_b32 s26, s24
	s_cbranch_execz .LBB810_474
.LBB810_542:                            ;   in Loop: Header=BB810_390 Depth=2
	ds_read_b64 v[39:40], v108 offset:6656
	s_waitcnt lgkmcnt(0)
	v_lshrrev_b64 v[53:54], s47, v[39:40]
	v_xor_b32_e32 v40, 0x80000000, v40
	v_and_b32_e32 v3, s63, v53
	v_lshlrev_b32_e32 v3, 2, v3
	ds_read_b32 v3, v3
	s_waitcnt lgkmcnt(0)
	v_add_nc_u32_e32 v3, v3, v80
	v_lshlrev_b64 v[53:54], 3, v[3:4]
	v_add_co_u32 v53, s25, s44, v53
	v_add_co_ci_u32_e64 v54, null, s45, v54, s25
	global_store_dwordx2 v[53:54], v[39:40], off
	s_or_b32 exec_lo, exec_lo, s26
	v_cmp_lt_u32_e64 s25, v81, v169
	s_and_saveexec_b32 s28, s25
	s_cbranch_execz .LBB810_475
.LBB810_543:                            ;   in Loop: Header=BB810_390 Depth=2
	ds_read_b64 v[39:40], v108 offset:8704
	s_waitcnt lgkmcnt(0)
	v_lshrrev_b64 v[53:54], s47, v[39:40]
	v_xor_b32_e32 v40, 0x80000000, v40
	v_and_b32_e32 v3, s63, v53
	v_lshlrev_b32_e32 v3, 2, v3
	ds_read_b32 v3, v3
	s_waitcnt lgkmcnt(0)
	v_add_nc_u32_e32 v3, v3, v81
	v_lshlrev_b64 v[53:54], 3, v[3:4]
	v_add_co_u32 v53, s26, s44, v53
	v_add_co_ci_u32_e64 v54, null, s45, v54, s26
	global_store_dwordx2 v[53:54], v[39:40], off
	s_or_b32 exec_lo, exec_lo, s28
	v_cmp_lt_u32_e64 s26, v82, v169
	s_and_saveexec_b32 s29, s26
	s_cbranch_execz .LBB810_476
.LBB810_544:                            ;   in Loop: Header=BB810_390 Depth=2
	ds_read_b64 v[39:40], v108 offset:10752
	s_waitcnt lgkmcnt(0)
	v_lshrrev_b64 v[53:54], s47, v[39:40]
	v_xor_b32_e32 v40, 0x80000000, v40
	v_and_b32_e32 v3, s63, v53
	v_lshlrev_b32_e32 v3, 2, v3
	ds_read_b32 v3, v3
	s_waitcnt lgkmcnt(0)
	v_add_nc_u32_e32 v3, v3, v82
	v_lshlrev_b64 v[53:54], 3, v[3:4]
	v_add_co_u32 v53, s28, s44, v53
	v_add_co_ci_u32_e64 v54, null, s45, v54, s28
	global_store_dwordx2 v[53:54], v[39:40], off
	s_or_b32 exec_lo, exec_lo, s29
	v_cmp_lt_u32_e64 s28, v83, v169
	s_and_saveexec_b32 s30, s28
	s_cbranch_execz .LBB810_477
.LBB810_545:                            ;   in Loop: Header=BB810_390 Depth=2
	ds_read_b64 v[39:40], v108 offset:12800
	s_waitcnt lgkmcnt(0)
	v_lshrrev_b64 v[53:54], s47, v[39:40]
	v_xor_b32_e32 v40, 0x80000000, v40
	v_and_b32_e32 v3, s63, v53
	v_lshlrev_b32_e32 v3, 2, v3
	ds_read_b32 v3, v3
	s_waitcnt lgkmcnt(0)
	v_add_nc_u32_e32 v3, v3, v83
	v_lshlrev_b64 v[53:54], 3, v[3:4]
	v_add_co_u32 v53, s29, s44, v53
	v_add_co_ci_u32_e64 v54, null, s45, v54, s29
	global_store_dwordx2 v[53:54], v[39:40], off
	s_or_b32 exec_lo, exec_lo, s30
	v_cmp_lt_u32_e64 s29, v84, v169
	s_and_saveexec_b32 s31, s29
	s_cbranch_execz .LBB810_478
.LBB810_546:                            ;   in Loop: Header=BB810_390 Depth=2
	ds_read_b64 v[39:40], v108 offset:14848
	s_waitcnt lgkmcnt(0)
	v_lshrrev_b64 v[53:54], s47, v[39:40]
	v_xor_b32_e32 v40, 0x80000000, v40
	v_and_b32_e32 v3, s63, v53
	v_lshlrev_b32_e32 v3, 2, v3
	ds_read_b32 v3, v3
	s_waitcnt lgkmcnt(0)
	v_add_nc_u32_e32 v3, v3, v84
	v_lshlrev_b64 v[53:54], 3, v[3:4]
	v_add_co_u32 v53, s30, s44, v53
	v_add_co_ci_u32_e64 v54, null, s45, v54, s30
	global_store_dwordx2 v[53:54], v[39:40], off
	s_or_b32 exec_lo, exec_lo, s31
	v_cmp_lt_u32_e64 s30, v85, v169
	s_and_saveexec_b32 s33, s30
	s_cbranch_execz .LBB810_479
.LBB810_547:                            ;   in Loop: Header=BB810_390 Depth=2
	ds_read_b64 v[39:40], v108 offset:16896
	s_waitcnt lgkmcnt(0)
	v_lshrrev_b64 v[53:54], s47, v[39:40]
	v_xor_b32_e32 v40, 0x80000000, v40
	v_and_b32_e32 v3, s63, v53
	v_lshlrev_b32_e32 v3, 2, v3
	ds_read_b32 v3, v3
	s_waitcnt lgkmcnt(0)
	v_add_nc_u32_e32 v3, v3, v85
	v_lshlrev_b64 v[53:54], 3, v[3:4]
	v_add_co_u32 v53, s31, s44, v53
	v_add_co_ci_u32_e64 v54, null, s45, v54, s31
	global_store_dwordx2 v[53:54], v[39:40], off
	s_or_b32 exec_lo, exec_lo, s33
	v_cmp_lt_u32_e64 s31, v86, v169
	s_and_saveexec_b32 s34, s31
	s_cbranch_execz .LBB810_480
.LBB810_548:                            ;   in Loop: Header=BB810_390 Depth=2
	ds_read_b64 v[39:40], v108 offset:18944
	s_waitcnt lgkmcnt(0)
	v_lshrrev_b64 v[53:54], s47, v[39:40]
	v_xor_b32_e32 v40, 0x80000000, v40
	v_and_b32_e32 v3, s63, v53
	v_lshlrev_b32_e32 v3, 2, v3
	ds_read_b32 v3, v3
	s_waitcnt lgkmcnt(0)
	v_add_nc_u32_e32 v3, v3, v86
	v_lshlrev_b64 v[53:54], 3, v[3:4]
	v_add_co_u32 v53, s33, s44, v53
	v_add_co_ci_u32_e64 v54, null, s45, v54, s33
	global_store_dwordx2 v[53:54], v[39:40], off
	s_or_b32 exec_lo, exec_lo, s34
	v_cmp_lt_u32_e64 s33, v87, v169
	s_and_saveexec_b32 s35, s33
	s_cbranch_execz .LBB810_481
.LBB810_549:                            ;   in Loop: Header=BB810_390 Depth=2
	ds_read_b64 v[39:40], v108 offset:20992
	s_waitcnt lgkmcnt(0)
	v_lshrrev_b64 v[53:54], s47, v[39:40]
	v_xor_b32_e32 v40, 0x80000000, v40
	v_and_b32_e32 v3, s63, v53
	v_lshlrev_b32_e32 v3, 2, v3
	ds_read_b32 v3, v3
	s_waitcnt lgkmcnt(0)
	v_add_nc_u32_e32 v3, v3, v87
	v_lshlrev_b64 v[53:54], 3, v[3:4]
	v_add_co_u32 v53, s34, s44, v53
	v_add_co_ci_u32_e64 v54, null, s45, v54, s34
	global_store_dwordx2 v[53:54], v[39:40], off
	s_or_b32 exec_lo, exec_lo, s35
	v_cmp_lt_u32_e64 s34, v88, v169
	s_and_saveexec_b32 s36, s34
	s_cbranch_execz .LBB810_482
.LBB810_550:                            ;   in Loop: Header=BB810_390 Depth=2
	ds_read_b64 v[39:40], v108 offset:23040
	s_waitcnt lgkmcnt(0)
	v_lshrrev_b64 v[53:54], s47, v[39:40]
	v_xor_b32_e32 v40, 0x80000000, v40
	v_and_b32_e32 v3, s63, v53
	v_lshlrev_b32_e32 v3, 2, v3
	ds_read_b32 v3, v3
	s_waitcnt lgkmcnt(0)
	v_add_nc_u32_e32 v3, v3, v88
	v_lshlrev_b64 v[53:54], 3, v[3:4]
	v_add_co_u32 v53, s35, s44, v53
	v_add_co_ci_u32_e64 v54, null, s45, v54, s35
	global_store_dwordx2 v[53:54], v[39:40], off
	s_or_b32 exec_lo, exec_lo, s36
	v_cmp_lt_u32_e64 s35, v89, v169
	s_and_saveexec_b32 s37, s35
	s_cbranch_execz .LBB810_483
.LBB810_551:                            ;   in Loop: Header=BB810_390 Depth=2
	ds_read_b64 v[39:40], v108 offset:25088
	s_waitcnt lgkmcnt(0)
	v_lshrrev_b64 v[53:54], s47, v[39:40]
	v_xor_b32_e32 v40, 0x80000000, v40
	v_and_b32_e32 v3, s63, v53
	v_lshlrev_b32_e32 v3, 2, v3
	ds_read_b32 v3, v3
	s_waitcnt lgkmcnt(0)
	v_add_nc_u32_e32 v3, v3, v89
	v_lshlrev_b64 v[53:54], 3, v[3:4]
	v_add_co_u32 v53, s36, s44, v53
	v_add_co_ci_u32_e64 v54, null, s45, v54, s36
	global_store_dwordx2 v[53:54], v[39:40], off
	s_or_b32 exec_lo, exec_lo, s37
	v_cmp_lt_u32_e64 s36, v90, v169
	s_and_saveexec_b32 s38, s36
	s_cbranch_execz .LBB810_484
.LBB810_552:                            ;   in Loop: Header=BB810_390 Depth=2
	ds_read_b64 v[39:40], v108 offset:27136
	s_waitcnt lgkmcnt(0)
	v_lshrrev_b64 v[53:54], s47, v[39:40]
	v_xor_b32_e32 v40, 0x80000000, v40
	v_and_b32_e32 v3, s63, v53
	v_lshlrev_b32_e32 v3, 2, v3
	ds_read_b32 v3, v3
	s_waitcnt lgkmcnt(0)
	v_add_nc_u32_e32 v3, v3, v90
	v_lshlrev_b64 v[53:54], 3, v[3:4]
	v_add_co_u32 v53, s37, s44, v53
	v_add_co_ci_u32_e64 v54, null, s45, v54, s37
	global_store_dwordx2 v[53:54], v[39:40], off
	s_or_b32 exec_lo, exec_lo, s38
	v_cmp_lt_u32_e64 s37, v91, v169
	s_and_saveexec_b32 s39, s37
	s_cbranch_execz .LBB810_485
.LBB810_553:                            ;   in Loop: Header=BB810_390 Depth=2
	ds_read_b64 v[39:40], v108 offset:29184
	s_waitcnt lgkmcnt(0)
	v_lshrrev_b64 v[53:54], s47, v[39:40]
	v_xor_b32_e32 v40, 0x80000000, v40
	v_and_b32_e32 v3, s63, v53
	v_lshlrev_b32_e32 v3, 2, v3
	ds_read_b32 v3, v3
	s_waitcnt lgkmcnt(0)
	v_add_nc_u32_e32 v3, v3, v91
	v_lshlrev_b64 v[53:54], 3, v[3:4]
	v_add_co_u32 v53, s38, s44, v53
	v_add_co_ci_u32_e64 v54, null, s45, v54, s38
	global_store_dwordx2 v[53:54], v[39:40], off
	s_or_b32 exec_lo, exec_lo, s39
	v_cmp_lt_u32_e64 s38, v92, v169
	s_and_saveexec_b32 s66, s38
	s_cbranch_execnz .LBB810_486
	s_branch .LBB810_487
.LBB810_554:                            ;   in Loop: Header=BB810_390 Depth=2
	global_load_dwordx2 v[37:38], v[39:40], off
	s_or_b32 exec_lo, exec_lo, s39
	s_mov_b32 s56, exec_lo
	v_cmpx_lt_u32_e64 v133, v169
	s_cbranch_execz .LBB810_489
.LBB810_555:                            ;   in Loop: Header=BB810_390 Depth=2
	global_load_dwordx2 v[35:36], v[39:40], off offset:256
	s_or_b32 exec_lo, exec_lo, s56
	s_mov_b32 s56, exec_lo
	v_cmpx_lt_u32_e64 v134, v169
	s_cbranch_execz .LBB810_490
.LBB810_556:                            ;   in Loop: Header=BB810_390 Depth=2
	global_load_dwordx2 v[33:34], v[39:40], off offset:512
	s_or_b32 exec_lo, exec_lo, s56
	s_mov_b32 s56, exec_lo
	v_cmpx_lt_u32_e64 v135, v169
	s_cbranch_execz .LBB810_491
.LBB810_557:                            ;   in Loop: Header=BB810_390 Depth=2
	global_load_dwordx2 v[31:32], v[39:40], off offset:768
	s_or_b32 exec_lo, exec_lo, s56
	s_mov_b32 s56, exec_lo
	v_cmpx_lt_u32_e64 v136, v169
	s_cbranch_execz .LBB810_492
.LBB810_558:                            ;   in Loop: Header=BB810_390 Depth=2
	global_load_dwordx2 v[29:30], v[39:40], off offset:1024
	s_or_b32 exec_lo, exec_lo, s56
	s_mov_b32 s56, exec_lo
	v_cmpx_lt_u32_e64 v137, v169
	s_cbranch_execz .LBB810_493
.LBB810_559:                            ;   in Loop: Header=BB810_390 Depth=2
	global_load_dwordx2 v[25:26], v[39:40], off offset:1280
	s_or_b32 exec_lo, exec_lo, s56
	s_mov_b32 s56, exec_lo
	v_cmpx_lt_u32_e64 v138, v169
	s_cbranch_execz .LBB810_494
.LBB810_560:                            ;   in Loop: Header=BB810_390 Depth=2
	global_load_dwordx2 v[21:22], v[39:40], off offset:1536
	s_or_b32 exec_lo, exec_lo, s56
	s_mov_b32 s56, exec_lo
	v_cmpx_lt_u32_e64 v139, v169
	s_cbranch_execz .LBB810_495
.LBB810_561:                            ;   in Loop: Header=BB810_390 Depth=2
	global_load_dwordx2 v[17:18], v[39:40], off offset:1792
	s_or_b32 exec_lo, exec_lo, s56
	s_mov_b32 s56, exec_lo
	v_cmpx_lt_u32_e64 v140, v169
	s_cbranch_execz .LBB810_496
.LBB810_562:                            ;   in Loop: Header=BB810_390 Depth=2
	v_add_co_u32 v27, s39, 0x800, v39
	v_add_co_ci_u32_e64 v28, null, 0, v40, s39
	global_load_dwordx2 v[27:28], v[27:28], off
	s_or_b32 exec_lo, exec_lo, s56
	s_mov_b32 s56, exec_lo
	v_cmpx_lt_u32_e64 v141, v169
	s_cbranch_execz .LBB810_497
.LBB810_563:                            ;   in Loop: Header=BB810_390 Depth=2
	v_add_co_u32 v23, s39, 0x800, v39
	v_add_co_ci_u32_e64 v24, null, 0, v40, s39
	global_load_dwordx2 v[23:24], v[23:24], off offset:256
	s_or_b32 exec_lo, exec_lo, s56
	s_mov_b32 s56, exec_lo
	v_cmpx_lt_u32_e64 v142, v169
	s_cbranch_execz .LBB810_498
.LBB810_564:                            ;   in Loop: Header=BB810_390 Depth=2
	v_add_co_u32 v19, s39, 0x800, v39
	v_add_co_ci_u32_e64 v20, null, 0, v40, s39
	global_load_dwordx2 v[19:20], v[19:20], off offset:512
	s_or_b32 exec_lo, exec_lo, s56
	s_mov_b32 s56, exec_lo
	v_cmpx_lt_u32_e64 v143, v169
	s_cbranch_execz .LBB810_499
.LBB810_565:                            ;   in Loop: Header=BB810_390 Depth=2
	v_add_co_u32 v15, s39, 0x800, v39
	v_add_co_ci_u32_e64 v16, null, 0, v40, s39
	global_load_dwordx2 v[15:16], v[15:16], off offset:768
	s_or_b32 exec_lo, exec_lo, s56
	s_mov_b32 s56, exec_lo
	v_cmpx_lt_u32_e64 v144, v169
	s_cbranch_execz .LBB810_500
.LBB810_566:                            ;   in Loop: Header=BB810_390 Depth=2
	v_add_co_u32 v13, s39, 0x800, v39
	v_add_co_ci_u32_e64 v14, null, 0, v40, s39
	global_load_dwordx2 v[13:14], v[13:14], off offset:1024
	s_or_b32 exec_lo, exec_lo, s56
	s_mov_b32 s56, exec_lo
	v_cmpx_lt_u32_e64 v145, v169
	s_cbranch_execz .LBB810_501
.LBB810_567:                            ;   in Loop: Header=BB810_390 Depth=2
	v_add_co_u32 v11, s39, 0x800, v39
	v_add_co_ci_u32_e64 v12, null, 0, v40, s39
	global_load_dwordx2 v[11:12], v[11:12], off offset:1280
	s_or_b32 exec_lo, exec_lo, s56
	s_mov_b32 s56, exec_lo
	v_cmpx_lt_u32_e64 v146, v169
	s_cbranch_execz .LBB810_502
.LBB810_568:                            ;   in Loop: Header=BB810_390 Depth=2
	v_add_co_u32 v9, s39, 0x800, v39
	v_add_co_ci_u32_e64 v10, null, 0, v40, s39
	global_load_dwordx2 v[9:10], v[9:10], off offset:1536
	s_or_b32 exec_lo, exec_lo, s56
	s_mov_b32 s56, exec_lo
	v_cmpx_lt_u32_e64 v147, v169
	s_cbranch_execz .LBB810_503
.LBB810_569:                            ;   in Loop: Header=BB810_390 Depth=2
	v_add_co_u32 v7, s39, 0x800, v39
	v_add_co_ci_u32_e64 v8, null, 0, v40, s39
	global_load_dwordx2 v[7:8], v[7:8], off offset:1792
	s_or_b32 exec_lo, exec_lo, s56
	s_and_saveexec_b32 s39, vcc_lo
	s_cbranch_execz .LBB810_504
.LBB810_570:                            ;   in Loop: Header=BB810_390 Depth=2
	ds_read_b64 v[39:40], v108 offset:512
	s_waitcnt lgkmcnt(0)
	v_lshrrev_b64 v[39:40], s47, v[39:40]
	v_and_b32_e32 v167, s63, v39
	s_or_b32 exec_lo, exec_lo, s39
	s_and_saveexec_b32 s39, s22
	s_cbranch_execz .LBB810_505
.LBB810_571:                            ;   in Loop: Header=BB810_390 Depth=2
	ds_read_b64 v[39:40], v108 offset:2560
	s_waitcnt lgkmcnt(0)
	v_lshrrev_b64 v[39:40], s47, v[39:40]
	v_and_b32_e32 v166, s63, v39
	s_or_b32 exec_lo, exec_lo, s39
	s_and_saveexec_b32 s39, s23
	s_cbranch_execz .LBB810_506
.LBB810_572:                            ;   in Loop: Header=BB810_390 Depth=2
	ds_read_b64 v[39:40], v108 offset:4608
	s_waitcnt lgkmcnt(0)
	v_lshrrev_b64 v[39:40], s47, v[39:40]
	v_and_b32_e32 v164, s63, v39
	s_or_b32 exec_lo, exec_lo, s39
	s_and_saveexec_b32 s39, s24
	s_cbranch_execz .LBB810_507
.LBB810_573:                            ;   in Loop: Header=BB810_390 Depth=2
	ds_read_b64 v[39:40], v108 offset:6656
	s_waitcnt lgkmcnt(0)
	v_lshrrev_b64 v[39:40], s47, v[39:40]
	v_and_b32_e32 v163, s63, v39
	s_or_b32 exec_lo, exec_lo, s39
	s_and_saveexec_b32 s39, s25
	s_cbranch_execz .LBB810_508
.LBB810_574:                            ;   in Loop: Header=BB810_390 Depth=2
	ds_read_b64 v[39:40], v108 offset:8704
	s_waitcnt lgkmcnt(0)
	v_lshrrev_b64 v[39:40], s47, v[39:40]
	v_and_b32_e32 v162, s63, v39
	s_or_b32 exec_lo, exec_lo, s39
	s_and_saveexec_b32 s39, s26
	s_cbranch_execz .LBB810_509
.LBB810_575:                            ;   in Loop: Header=BB810_390 Depth=2
	ds_read_b64 v[39:40], v108 offset:10752
	s_waitcnt lgkmcnt(0)
	v_lshrrev_b64 v[39:40], s47, v[39:40]
	v_and_b32_e32 v161, s63, v39
	s_or_b32 exec_lo, exec_lo, s39
	s_and_saveexec_b32 s39, s28
	s_cbranch_execz .LBB810_510
.LBB810_576:                            ;   in Loop: Header=BB810_390 Depth=2
	ds_read_b64 v[39:40], v108 offset:12800
	s_waitcnt lgkmcnt(0)
	v_lshrrev_b64 v[39:40], s47, v[39:40]
	v_and_b32_e32 v160, s63, v39
	s_or_b32 exec_lo, exec_lo, s39
	s_and_saveexec_b32 s39, s29
	s_cbranch_execz .LBB810_511
.LBB810_577:                            ;   in Loop: Header=BB810_390 Depth=2
	ds_read_b64 v[39:40], v108 offset:14848
	s_waitcnt lgkmcnt(0)
	v_lshrrev_b64 v[39:40], s47, v[39:40]
	v_and_b32_e32 v159, s63, v39
	s_or_b32 exec_lo, exec_lo, s39
	s_and_saveexec_b32 s39, s30
	s_cbranch_execz .LBB810_512
.LBB810_578:                            ;   in Loop: Header=BB810_390 Depth=2
	ds_read_b64 v[39:40], v108 offset:16896
	s_waitcnt lgkmcnt(0)
	v_lshrrev_b64 v[39:40], s47, v[39:40]
	v_and_b32_e32 v158, s63, v39
	s_or_b32 exec_lo, exec_lo, s39
	s_and_saveexec_b32 s39, s31
	s_cbranch_execz .LBB810_513
.LBB810_579:                            ;   in Loop: Header=BB810_390 Depth=2
	ds_read_b64 v[39:40], v108 offset:18944
	s_waitcnt lgkmcnt(0)
	v_lshrrev_b64 v[39:40], s47, v[39:40]
	v_and_b32_e32 v157, s63, v39
	s_or_b32 exec_lo, exec_lo, s39
	s_and_saveexec_b32 s39, s33
	s_cbranch_execz .LBB810_514
.LBB810_580:                            ;   in Loop: Header=BB810_390 Depth=2
	ds_read_b64 v[39:40], v108 offset:20992
	s_waitcnt lgkmcnt(0)
	v_lshrrev_b64 v[39:40], s47, v[39:40]
	v_and_b32_e32 v156, s63, v39
	s_or_b32 exec_lo, exec_lo, s39
	s_and_saveexec_b32 s39, s34
	s_cbranch_execz .LBB810_515
.LBB810_581:                            ;   in Loop: Header=BB810_390 Depth=2
	ds_read_b64 v[39:40], v108 offset:23040
	s_waitcnt lgkmcnt(0)
	v_lshrrev_b64 v[39:40], s47, v[39:40]
	v_and_b32_e32 v155, s63, v39
	s_or_b32 exec_lo, exec_lo, s39
	s_and_saveexec_b32 s39, s35
	s_cbranch_execz .LBB810_516
.LBB810_582:                            ;   in Loop: Header=BB810_390 Depth=2
	ds_read_b64 v[39:40], v108 offset:25088
	s_waitcnt lgkmcnt(0)
	v_lshrrev_b64 v[39:40], s47, v[39:40]
	v_and_b32_e32 v154, s63, v39
	s_or_b32 exec_lo, exec_lo, s39
	s_and_saveexec_b32 s39, s36
	s_cbranch_execz .LBB810_517
.LBB810_583:                            ;   in Loop: Header=BB810_390 Depth=2
	ds_read_b64 v[39:40], v108 offset:27136
	s_waitcnt lgkmcnt(0)
	v_lshrrev_b64 v[39:40], s47, v[39:40]
	v_and_b32_e32 v153, s63, v39
	s_or_b32 exec_lo, exec_lo, s39
	s_and_saveexec_b32 s39, s37
	s_cbranch_execz .LBB810_518
.LBB810_584:                            ;   in Loop: Header=BB810_390 Depth=2
	ds_read_b64 v[39:40], v108 offset:29184
	s_waitcnt lgkmcnt(0)
	v_lshrrev_b64 v[39:40], s47, v[39:40]
	v_and_b32_e32 v152, s63, v39
	s_or_b32 exec_lo, exec_lo, s39
	s_and_saveexec_b32 s39, s38
	s_cbranch_execnz .LBB810_519
	s_branch .LBB810_520
.LBB810_585:                            ;   in Loop: Header=BB810_390 Depth=2
	v_lshlrev_b32_e32 v3, 2, v167
	ds_read_b32 v3, v3
	ds_read_b64 v[39:40], v108 offset:512
	s_waitcnt lgkmcnt(1)
	v_add_nc_u32_e32 v3, v3, v0
	v_lshlrev_b64 v[41:42], 3, v[3:4]
	v_add_co_u32 v41, vcc_lo, s50, v41
	v_add_co_ci_u32_e64 v42, null, s51, v42, vcc_lo
	s_waitcnt lgkmcnt(0)
	global_store_dwordx2 v[41:42], v[39:40], off
	s_or_b32 exec_lo, exec_lo, s39
	s_and_saveexec_b32 s39, s22
	s_cbranch_execz .LBB810_522
.LBB810_586:                            ;   in Loop: Header=BB810_390 Depth=2
	v_lshlrev_b32_e32 v3, 2, v166
	ds_read_b32 v3, v3
	ds_read_b64 v[39:40], v108 offset:2560
	s_waitcnt lgkmcnt(1)
	v_add_nc_u32_e32 v3, v3, v76
	v_lshlrev_b64 v[41:42], 3, v[3:4]
	v_add_co_u32 v41, vcc_lo, s50, v41
	v_add_co_ci_u32_e64 v42, null, s51, v42, vcc_lo
	s_waitcnt lgkmcnt(0)
	global_store_dwordx2 v[41:42], v[39:40], off
	s_or_b32 exec_lo, exec_lo, s39
	s_and_saveexec_b32 s22, s23
	s_cbranch_execz .LBB810_523
.LBB810_587:                            ;   in Loop: Header=BB810_390 Depth=2
	v_lshlrev_b32_e32 v3, 2, v164
	ds_read_b32 v3, v3
	ds_read_b64 v[39:40], v108 offset:4608
	s_waitcnt lgkmcnt(1)
	v_add_nc_u32_e32 v3, v3, v79
	v_lshlrev_b64 v[41:42], 3, v[3:4]
	v_add_co_u32 v41, vcc_lo, s50, v41
	v_add_co_ci_u32_e64 v42, null, s51, v42, vcc_lo
	s_waitcnt lgkmcnt(0)
	global_store_dwordx2 v[41:42], v[39:40], off
	s_or_b32 exec_lo, exec_lo, s22
	s_and_saveexec_b32 s22, s24
	s_cbranch_execz .LBB810_524
.LBB810_588:                            ;   in Loop: Header=BB810_390 Depth=2
	v_lshlrev_b32_e32 v3, 2, v163
	ds_read_b32 v3, v3
	ds_read_b64 v[39:40], v108 offset:6656
	s_waitcnt lgkmcnt(1)
	v_add_nc_u32_e32 v3, v3, v80
	v_lshlrev_b64 v[41:42], 3, v[3:4]
	v_add_co_u32 v41, vcc_lo, s50, v41
	v_add_co_ci_u32_e64 v42, null, s51, v42, vcc_lo
	s_waitcnt lgkmcnt(0)
	global_store_dwordx2 v[41:42], v[39:40], off
	s_or_b32 exec_lo, exec_lo, s22
	s_and_saveexec_b32 s22, s25
	s_cbranch_execz .LBB810_525
.LBB810_589:                            ;   in Loop: Header=BB810_390 Depth=2
	v_lshlrev_b32_e32 v3, 2, v162
	ds_read_b32 v3, v3
	ds_read_b64 v[39:40], v108 offset:8704
	s_waitcnt lgkmcnt(1)
	v_add_nc_u32_e32 v3, v3, v81
	v_lshlrev_b64 v[41:42], 3, v[3:4]
	v_add_co_u32 v41, vcc_lo, s50, v41
	v_add_co_ci_u32_e64 v42, null, s51, v42, vcc_lo
	s_waitcnt lgkmcnt(0)
	global_store_dwordx2 v[41:42], v[39:40], off
	s_or_b32 exec_lo, exec_lo, s22
	s_and_saveexec_b32 s22, s26
	s_cbranch_execz .LBB810_526
.LBB810_590:                            ;   in Loop: Header=BB810_390 Depth=2
	v_lshlrev_b32_e32 v3, 2, v161
	ds_read_b32 v3, v3
	ds_read_b64 v[39:40], v108 offset:10752
	s_waitcnt lgkmcnt(1)
	v_add_nc_u32_e32 v3, v3, v82
	v_lshlrev_b64 v[41:42], 3, v[3:4]
	v_add_co_u32 v41, vcc_lo, s50, v41
	v_add_co_ci_u32_e64 v42, null, s51, v42, vcc_lo
	s_waitcnt lgkmcnt(0)
	global_store_dwordx2 v[41:42], v[39:40], off
	s_or_b32 exec_lo, exec_lo, s22
	s_and_saveexec_b32 s22, s28
	s_cbranch_execz .LBB810_527
.LBB810_591:                            ;   in Loop: Header=BB810_390 Depth=2
	v_lshlrev_b32_e32 v3, 2, v160
	ds_read_b32 v3, v3
	ds_read_b64 v[39:40], v108 offset:12800
	s_waitcnt lgkmcnt(1)
	v_add_nc_u32_e32 v3, v3, v83
	v_lshlrev_b64 v[41:42], 3, v[3:4]
	v_add_co_u32 v41, vcc_lo, s50, v41
	v_add_co_ci_u32_e64 v42, null, s51, v42, vcc_lo
	s_waitcnt lgkmcnt(0)
	global_store_dwordx2 v[41:42], v[39:40], off
	s_or_b32 exec_lo, exec_lo, s22
	s_and_saveexec_b32 s22, s29
	s_cbranch_execz .LBB810_528
.LBB810_592:                            ;   in Loop: Header=BB810_390 Depth=2
	v_lshlrev_b32_e32 v3, 2, v159
	ds_read_b32 v3, v3
	ds_read_b64 v[39:40], v108 offset:14848
	s_waitcnt lgkmcnt(1)
	v_add_nc_u32_e32 v3, v3, v84
	v_lshlrev_b64 v[41:42], 3, v[3:4]
	v_add_co_u32 v41, vcc_lo, s50, v41
	v_add_co_ci_u32_e64 v42, null, s51, v42, vcc_lo
	s_waitcnt lgkmcnt(0)
	global_store_dwordx2 v[41:42], v[39:40], off
	s_or_b32 exec_lo, exec_lo, s22
	s_and_saveexec_b32 s22, s30
	s_cbranch_execz .LBB810_529
.LBB810_593:                            ;   in Loop: Header=BB810_390 Depth=2
	v_lshlrev_b32_e32 v3, 2, v158
	ds_read_b32 v3, v3
	ds_read_b64 v[39:40], v108 offset:16896
	s_waitcnt lgkmcnt(1)
	v_add_nc_u32_e32 v3, v3, v85
	v_lshlrev_b64 v[41:42], 3, v[3:4]
	v_add_co_u32 v41, vcc_lo, s50, v41
	v_add_co_ci_u32_e64 v42, null, s51, v42, vcc_lo
	s_waitcnt lgkmcnt(0)
	global_store_dwordx2 v[41:42], v[39:40], off
	s_or_b32 exec_lo, exec_lo, s22
	s_and_saveexec_b32 s22, s31
	s_cbranch_execz .LBB810_530
.LBB810_594:                            ;   in Loop: Header=BB810_390 Depth=2
	v_lshlrev_b32_e32 v3, 2, v157
	ds_read_b32 v3, v3
	ds_read_b64 v[39:40], v108 offset:18944
	s_waitcnt lgkmcnt(1)
	v_add_nc_u32_e32 v3, v3, v86
	v_lshlrev_b64 v[41:42], 3, v[3:4]
	v_add_co_u32 v41, vcc_lo, s50, v41
	v_add_co_ci_u32_e64 v42, null, s51, v42, vcc_lo
	s_waitcnt lgkmcnt(0)
	global_store_dwordx2 v[41:42], v[39:40], off
	s_or_b32 exec_lo, exec_lo, s22
	s_and_saveexec_b32 s22, s33
	s_cbranch_execz .LBB810_531
.LBB810_595:                            ;   in Loop: Header=BB810_390 Depth=2
	v_lshlrev_b32_e32 v3, 2, v156
	ds_read_b32 v3, v3
	ds_read_b64 v[39:40], v108 offset:20992
	s_waitcnt lgkmcnt(1)
	v_add_nc_u32_e32 v3, v3, v87
	v_lshlrev_b64 v[41:42], 3, v[3:4]
	v_add_co_u32 v41, vcc_lo, s50, v41
	v_add_co_ci_u32_e64 v42, null, s51, v42, vcc_lo
	s_waitcnt lgkmcnt(0)
	global_store_dwordx2 v[41:42], v[39:40], off
	s_or_b32 exec_lo, exec_lo, s22
	s_and_saveexec_b32 s22, s34
	s_cbranch_execz .LBB810_532
.LBB810_596:                            ;   in Loop: Header=BB810_390 Depth=2
	v_lshlrev_b32_e32 v3, 2, v155
	ds_read_b32 v3, v3
	ds_read_b64 v[39:40], v108 offset:23040
	s_waitcnt lgkmcnt(1)
	v_add_nc_u32_e32 v3, v3, v88
	v_lshlrev_b64 v[41:42], 3, v[3:4]
	v_add_co_u32 v41, vcc_lo, s50, v41
	v_add_co_ci_u32_e64 v42, null, s51, v42, vcc_lo
	s_waitcnt lgkmcnt(0)
	global_store_dwordx2 v[41:42], v[39:40], off
	s_or_b32 exec_lo, exec_lo, s22
	s_and_saveexec_b32 s22, s35
	s_cbranch_execz .LBB810_533
.LBB810_597:                            ;   in Loop: Header=BB810_390 Depth=2
	v_lshlrev_b32_e32 v3, 2, v154
	ds_read_b32 v3, v3
	ds_read_b64 v[39:40], v108 offset:25088
	s_waitcnt lgkmcnt(1)
	v_add_nc_u32_e32 v3, v3, v89
	v_lshlrev_b64 v[41:42], 3, v[3:4]
	v_add_co_u32 v41, vcc_lo, s50, v41
	v_add_co_ci_u32_e64 v42, null, s51, v42, vcc_lo
	s_waitcnt lgkmcnt(0)
	global_store_dwordx2 v[41:42], v[39:40], off
	s_or_b32 exec_lo, exec_lo, s22
	s_and_saveexec_b32 s22, s36
	s_cbranch_execz .LBB810_534
.LBB810_598:                            ;   in Loop: Header=BB810_390 Depth=2
	v_lshlrev_b32_e32 v3, 2, v153
	ds_read_b32 v3, v3
	ds_read_b64 v[39:40], v108 offset:27136
	s_waitcnt lgkmcnt(1)
	v_add_nc_u32_e32 v3, v3, v90
	v_lshlrev_b64 v[41:42], 3, v[3:4]
	v_add_co_u32 v41, vcc_lo, s50, v41
	v_add_co_ci_u32_e64 v42, null, s51, v42, vcc_lo
	s_waitcnt lgkmcnt(0)
	global_store_dwordx2 v[41:42], v[39:40], off
	s_or_b32 exec_lo, exec_lo, s22
	s_and_saveexec_b32 s22, s37
	s_cbranch_execz .LBB810_535
.LBB810_599:                            ;   in Loop: Header=BB810_390 Depth=2
	v_lshlrev_b32_e32 v3, 2, v152
	ds_read_b32 v3, v3
	ds_read_b64 v[39:40], v108 offset:29184
	s_waitcnt lgkmcnt(1)
	v_add_nc_u32_e32 v3, v3, v91
	v_lshlrev_b64 v[41:42], 3, v[3:4]
	v_add_co_u32 v41, vcc_lo, s50, v41
	v_add_co_ci_u32_e64 v42, null, s51, v42, vcc_lo
	s_waitcnt lgkmcnt(0)
	global_store_dwordx2 v[41:42], v[39:40], off
	s_or_b32 exec_lo, exec_lo, s22
	s_and_saveexec_b32 s22, s38
	s_cbranch_execnz .LBB810_536
	s_branch .LBB810_537
.LBB810_600:                            ;   in Loop: Header=BB810_12 Depth=1
	s_waitcnt lgkmcnt(0)
	s_barrier
.LBB810_601:                            ;   in Loop: Header=BB810_12 Depth=1
	s_mov_b32 s5, 0
.LBB810_602:                            ;   in Loop: Header=BB810_12 Depth=1
	s_andn2_b32 vcc_lo, exec_lo, s5
	s_cbranch_vccnz .LBB810_11
; %bb.603:                              ;   in Loop: Header=BB810_12 Depth=1
	s_lshl_b32 s5, -1, s52
	s_and_b32 vcc_lo, exec_lo, s55
	s_not_b32 s52, s5
	s_mov_b32 s5, -1
	s_cbranch_vccz .LBB810_897
; %bb.604:                              ;   in Loop: Header=BB810_12 Depth=1
	s_mov_b32 s5, s62
	s_mov_b32 s56, s60
	s_barrier
	buffer_gl0_inv
                                        ; implicit-def: $vgpr7_vgpr8
                                        ; implicit-def: $vgpr9_vgpr10
                                        ; implicit-def: $vgpr11_vgpr12
                                        ; implicit-def: $vgpr13_vgpr14
                                        ; implicit-def: $vgpr15_vgpr16
                                        ; implicit-def: $vgpr17_vgpr18
                                        ; implicit-def: $vgpr19_vgpr20
                                        ; implicit-def: $vgpr21_vgpr22
                                        ; implicit-def: $vgpr23_vgpr24
                                        ; implicit-def: $vgpr25_vgpr26
                                        ; implicit-def: $vgpr27_vgpr28
                                        ; implicit-def: $vgpr29_vgpr30
                                        ; implicit-def: $vgpr31_vgpr32
                                        ; implicit-def: $vgpr33_vgpr34
                                        ; implicit-def: $vgpr35_vgpr36
                                        ; implicit-def: $vgpr37_vgpr38
	s_branch .LBB810_606
.LBB810_605:                            ;   in Loop: Header=BB810_606 Depth=2
	s_or_b32 exec_lo, exec_lo, s14
	s_addk_i32 s5, 0xf000
	s_cmp_ge_u32 s16, s61
	s_mov_b32 s56, s16
	s_cbranch_scc1 .LBB810_674
.LBB810_606:                            ;   Parent Loop BB810_12 Depth=1
                                        ; =>  This Inner Loop Header: Depth=2
	s_add_i32 s16, s56, 0x1000
	s_mov_b32 s14, -1
	s_cmp_gt_u32 s16, s61
                                        ; implicit-def: $vgpr49_vgpr50
                                        ; implicit-def: $vgpr53_vgpr54
                                        ; implicit-def: $vgpr57_vgpr58
                                        ; implicit-def: $vgpr39_vgpr40
                                        ; implicit-def: $vgpr41_vgpr42
                                        ; implicit-def: $vgpr43_vgpr44
                                        ; implicit-def: $vgpr45_vgpr46
                                        ; implicit-def: $vgpr47_vgpr48
                                        ; implicit-def: $vgpr51_vgpr52
                                        ; implicit-def: $vgpr55_vgpr56
                                        ; implicit-def: $vgpr59_vgpr60
                                        ; implicit-def: $vgpr61_vgpr62
                                        ; implicit-def: $vgpr63_vgpr64
                                        ; implicit-def: $vgpr65_vgpr66
                                        ; implicit-def: $vgpr67_vgpr68
                                        ; implicit-def: $vgpr69_vgpr70
	s_cbranch_scc1 .LBB810_608
; %bb.607:                              ;   in Loop: Header=BB810_606 Depth=2
	s_lshl_b64 s[14:15], s[56:57], 3
	v_add_co_u32 v49, vcc_lo, v115, s14
	v_add_co_ci_u32_e64 v50, null, s15, v116, vcc_lo
	s_mov_b32 s14, 0
	v_add_co_u32 v57, vcc_lo, v49, 0x1000
	v_add_co_ci_u32_e64 v58, null, 0, v50, vcc_lo
	v_add_co_u32 v41, vcc_lo, v49, 0x2000
	v_add_co_ci_u32_e64 v42, null, 0, v50, vcc_lo
	;; [unrolled: 2-line block ×5, first 2 shown]
	s_clause 0x7
	global_load_dwordx2 v[39:40], v[41:42], off offset:-2048
	global_load_dwordx2 v[41:42], v[41:42], off
	global_load_dwordx2 v[43:44], v[45:46], off offset:-2048
	global_load_dwordx2 v[45:46], v[45:46], off
	;; [unrolled: 2-line block ×4, first 2 shown]
	v_add_co_u32 v53, vcc_lo, v49, 0x6000
	v_add_co_ci_u32_e64 v54, null, 0, v50, vcc_lo
	v_add_co_u32 v67, vcc_lo, v49, 0x7000
	v_add_co_ci_u32_e64 v68, null, 0, v50, vcc_lo
	;; [unrolled: 2-line block ×3, first 2 shown]
	s_clause 0x7
	global_load_dwordx2 v[61:62], v[53:54], off offset:-2048
	global_load_dwordx2 v[63:64], v[53:54], off
	global_load_dwordx2 v[65:66], v[67:68], off offset:-2048
	global_load_dwordx2 v[67:68], v[67:68], off
	global_load_dwordx2 v[49:50], v[49:50], off
	global_load_dwordx2 v[53:54], v[57:58], off offset:-2048
	global_load_dwordx2 v[57:58], v[57:58], off
	global_load_dwordx2 v[69:70], v[69:70], off
.LBB810_608:                            ;   in Loop: Header=BB810_606 Depth=2
	s_andn2_b32 vcc_lo, exec_lo, s14
	s_movk_i32 s14, 0x1000
	s_cbranch_vccnz .LBB810_627
; %bb.609:                              ;   in Loop: Header=BB810_606 Depth=2
	s_lshl_b64 s[14:15], s[56:57], 3
	s_mov_b32 s17, exec_lo
	s_add_u32 s14, s40, s14
	s_addc_u32 s15, s41, s15
	v_cmpx_gt_u32_e64 s5, v0
	s_cbranch_execnz .LBB810_659
; %bb.610:                              ;   in Loop: Header=BB810_606 Depth=2
	s_or_b32 exec_lo, exec_lo, s17
	s_mov_b32 s17, exec_lo
	v_cmpx_gt_u32_e64 s5, v76
	s_cbranch_execnz .LBB810_660
.LBB810_611:                            ;   in Loop: Header=BB810_606 Depth=2
	s_or_b32 exec_lo, exec_lo, s17
	s_mov_b32 s17, exec_lo
	v_cmpx_gt_u32_e64 s5, v79
	s_cbranch_execnz .LBB810_661
.LBB810_612:                            ;   in Loop: Header=BB810_606 Depth=2
	s_or_b32 exec_lo, exec_lo, s17
	s_mov_b32 s17, exec_lo
	v_cmpx_gt_u32_e64 s5, v80
	s_cbranch_execnz .LBB810_662
.LBB810_613:                            ;   in Loop: Header=BB810_606 Depth=2
	s_or_b32 exec_lo, exec_lo, s17
	s_mov_b32 s17, exec_lo
	v_cmpx_gt_u32_e64 s5, v81
	s_cbranch_execnz .LBB810_663
.LBB810_614:                            ;   in Loop: Header=BB810_606 Depth=2
	s_or_b32 exec_lo, exec_lo, s17
	s_mov_b32 s17, exec_lo
	v_cmpx_gt_u32_e64 s5, v82
	s_cbranch_execnz .LBB810_664
.LBB810_615:                            ;   in Loop: Header=BB810_606 Depth=2
	s_or_b32 exec_lo, exec_lo, s17
	s_mov_b32 s17, exec_lo
	v_cmpx_gt_u32_e64 s5, v83
	s_cbranch_execnz .LBB810_665
.LBB810_616:                            ;   in Loop: Header=BB810_606 Depth=2
	s_or_b32 exec_lo, exec_lo, s17
	s_mov_b32 s17, exec_lo
	v_cmpx_gt_u32_e64 s5, v84
	s_cbranch_execnz .LBB810_666
.LBB810_617:                            ;   in Loop: Header=BB810_606 Depth=2
	s_or_b32 exec_lo, exec_lo, s17
	s_mov_b32 s17, exec_lo
	v_cmpx_gt_u32_e64 s5, v85
	s_cbranch_execnz .LBB810_667
.LBB810_618:                            ;   in Loop: Header=BB810_606 Depth=2
	s_or_b32 exec_lo, exec_lo, s17
	s_mov_b32 s17, exec_lo
	v_cmpx_gt_u32_e64 s5, v86
	s_cbranch_execnz .LBB810_668
.LBB810_619:                            ;   in Loop: Header=BB810_606 Depth=2
	s_or_b32 exec_lo, exec_lo, s17
	s_mov_b32 s17, exec_lo
	v_cmpx_gt_u32_e64 s5, v87
	s_cbranch_execnz .LBB810_669
.LBB810_620:                            ;   in Loop: Header=BB810_606 Depth=2
	s_or_b32 exec_lo, exec_lo, s17
	s_mov_b32 s17, exec_lo
	v_cmpx_gt_u32_e64 s5, v88
	s_cbranch_execnz .LBB810_670
.LBB810_621:                            ;   in Loop: Header=BB810_606 Depth=2
	s_or_b32 exec_lo, exec_lo, s17
	s_mov_b32 s17, exec_lo
	v_cmpx_gt_u32_e64 s5, v89
	s_cbranch_execnz .LBB810_671
.LBB810_622:                            ;   in Loop: Header=BB810_606 Depth=2
	s_or_b32 exec_lo, exec_lo, s17
	s_mov_b32 s17, exec_lo
	v_cmpx_gt_u32_e64 s5, v90
	s_cbranch_execnz .LBB810_672
.LBB810_623:                            ;   in Loop: Header=BB810_606 Depth=2
	s_or_b32 exec_lo, exec_lo, s17
	s_mov_b32 s17, exec_lo
	v_cmpx_gt_u32_e64 s5, v91
	s_cbranch_execnz .LBB810_673
.LBB810_624:                            ;   in Loop: Header=BB810_606 Depth=2
	s_or_b32 exec_lo, exec_lo, s17
	s_mov_b32 s17, exec_lo
	v_cmpx_gt_u32_e64 s5, v92
	s_cbranch_execz .LBB810_626
.LBB810_625:                            ;   in Loop: Header=BB810_606 Depth=2
	v_lshlrev_b32_e32 v3, 3, v92
	global_load_dwordx2 v[7:8], v3, s[14:15]
.LBB810_626:                            ;   in Loop: Header=BB810_606 Depth=2
	s_or_b32 exec_lo, exec_lo, s17
	s_waitcnt vmcnt(0)
	v_mov_b32_e32 v50, v38
	v_mov_b32_e32 v54, v36
	;; [unrolled: 1-line block ×32, first 2 shown]
	s_mov_b32 s14, s5
.LBB810_627:                            ;   in Loop: Header=BB810_606 Depth=2
	s_waitcnt vmcnt(0)
	v_mov_b32_e32 v7, v69
	v_mov_b32_e32 v9, v67
	;; [unrolled: 1-line block ×32, first 2 shown]
	s_mov_b32 s15, exec_lo
	v_cmpx_gt_u32_e64 s14, v0
	s_cbranch_execnz .LBB810_643
; %bb.628:                              ;   in Loop: Header=BB810_606 Depth=2
	s_or_b32 exec_lo, exec_lo, s15
	s_mov_b32 s15, exec_lo
	v_cmpx_gt_u32_e64 s14, v76
	s_cbranch_execnz .LBB810_644
.LBB810_629:                            ;   in Loop: Header=BB810_606 Depth=2
	s_or_b32 exec_lo, exec_lo, s15
	s_mov_b32 s15, exec_lo
	v_cmpx_gt_u32_e64 s14, v79
	s_cbranch_execnz .LBB810_645
.LBB810_630:                            ;   in Loop: Header=BB810_606 Depth=2
	s_or_b32 exec_lo, exec_lo, s15
	s_mov_b32 s15, exec_lo
	v_cmpx_gt_u32_e64 s14, v80
	s_cbranch_execnz .LBB810_646
.LBB810_631:                            ;   in Loop: Header=BB810_606 Depth=2
	s_or_b32 exec_lo, exec_lo, s15
	s_mov_b32 s15, exec_lo
	v_cmpx_gt_u32_e64 s14, v81
	s_cbranch_execnz .LBB810_647
.LBB810_632:                            ;   in Loop: Header=BB810_606 Depth=2
	s_or_b32 exec_lo, exec_lo, s15
	s_mov_b32 s15, exec_lo
	v_cmpx_gt_u32_e64 s14, v82
	s_cbranch_execnz .LBB810_648
.LBB810_633:                            ;   in Loop: Header=BB810_606 Depth=2
	s_or_b32 exec_lo, exec_lo, s15
	s_mov_b32 s15, exec_lo
	v_cmpx_gt_u32_e64 s14, v83
	s_cbranch_execnz .LBB810_649
.LBB810_634:                            ;   in Loop: Header=BB810_606 Depth=2
	s_or_b32 exec_lo, exec_lo, s15
	s_mov_b32 s15, exec_lo
	v_cmpx_gt_u32_e64 s14, v84
	s_cbranch_execnz .LBB810_650
.LBB810_635:                            ;   in Loop: Header=BB810_606 Depth=2
	s_or_b32 exec_lo, exec_lo, s15
	s_mov_b32 s15, exec_lo
	v_cmpx_gt_u32_e64 s14, v85
	s_cbranch_execnz .LBB810_651
.LBB810_636:                            ;   in Loop: Header=BB810_606 Depth=2
	s_or_b32 exec_lo, exec_lo, s15
	s_mov_b32 s15, exec_lo
	v_cmpx_gt_u32_e64 s14, v86
	s_cbranch_execnz .LBB810_652
.LBB810_637:                            ;   in Loop: Header=BB810_606 Depth=2
	s_or_b32 exec_lo, exec_lo, s15
	s_mov_b32 s15, exec_lo
	v_cmpx_gt_u32_e64 s14, v87
	s_cbranch_execnz .LBB810_653
.LBB810_638:                            ;   in Loop: Header=BB810_606 Depth=2
	s_or_b32 exec_lo, exec_lo, s15
	s_mov_b32 s15, exec_lo
	v_cmpx_gt_u32_e64 s14, v88
	s_cbranch_execnz .LBB810_654
.LBB810_639:                            ;   in Loop: Header=BB810_606 Depth=2
	s_or_b32 exec_lo, exec_lo, s15
	s_mov_b32 s15, exec_lo
	v_cmpx_gt_u32_e64 s14, v89
	s_cbranch_execnz .LBB810_655
.LBB810_640:                            ;   in Loop: Header=BB810_606 Depth=2
	s_or_b32 exec_lo, exec_lo, s15
	s_mov_b32 s15, exec_lo
	v_cmpx_gt_u32_e64 s14, v90
	s_cbranch_execnz .LBB810_656
.LBB810_641:                            ;   in Loop: Header=BB810_606 Depth=2
	s_or_b32 exec_lo, exec_lo, s15
	s_mov_b32 s15, exec_lo
	v_cmpx_gt_u32_e64 s14, v91
	s_cbranch_execnz .LBB810_657
.LBB810_642:                            ;   in Loop: Header=BB810_606 Depth=2
	s_or_b32 exec_lo, exec_lo, s15
	v_cmp_gt_u32_e32 vcc_lo, s14, v92
	s_and_saveexec_b32 s14, vcc_lo
	s_cbranch_execz .LBB810_605
	s_branch .LBB810_658
.LBB810_643:                            ;   in Loop: Header=BB810_606 Depth=2
	v_xor_b32_e32 v40, 0x80000000, v38
	v_mov_b32_e32 v39, v37
	v_lshrrev_b64 v[39:40], s46, v[39:40]
	v_and_b32_e32 v3, s52, v39
	v_lshl_or_b32 v3, v3, 4, v93
	ds_add_u32 v3, v121
	s_or_b32 exec_lo, exec_lo, s15
	s_mov_b32 s15, exec_lo
	v_cmpx_gt_u32_e64 s14, v76
	s_cbranch_execz .LBB810_629
.LBB810_644:                            ;   in Loop: Header=BB810_606 Depth=2
	v_xor_b32_e32 v40, 0x80000000, v36
	v_mov_b32_e32 v39, v35
	v_lshrrev_b64 v[39:40], s46, v[39:40]
	v_and_b32_e32 v3, s52, v39
	v_lshl_or_b32 v3, v3, 4, v93
	ds_add_u32 v3, v121
	s_or_b32 exec_lo, exec_lo, s15
	s_mov_b32 s15, exec_lo
	v_cmpx_gt_u32_e64 s14, v79
	s_cbranch_execz .LBB810_630
.LBB810_645:                            ;   in Loop: Header=BB810_606 Depth=2
	v_xor_b32_e32 v40, 0x80000000, v34
	v_mov_b32_e32 v39, v33
	v_lshrrev_b64 v[39:40], s46, v[39:40]
	v_and_b32_e32 v3, s52, v39
	v_lshl_or_b32 v3, v3, 4, v93
	ds_add_u32 v3, v121
	s_or_b32 exec_lo, exec_lo, s15
	s_mov_b32 s15, exec_lo
	v_cmpx_gt_u32_e64 s14, v80
	s_cbranch_execz .LBB810_631
.LBB810_646:                            ;   in Loop: Header=BB810_606 Depth=2
	v_xor_b32_e32 v40, 0x80000000, v32
	v_mov_b32_e32 v39, v31
	v_lshrrev_b64 v[39:40], s46, v[39:40]
	v_and_b32_e32 v3, s52, v39
	v_lshl_or_b32 v3, v3, 4, v93
	ds_add_u32 v3, v121
	s_or_b32 exec_lo, exec_lo, s15
	s_mov_b32 s15, exec_lo
	v_cmpx_gt_u32_e64 s14, v81
	s_cbranch_execz .LBB810_632
.LBB810_647:                            ;   in Loop: Header=BB810_606 Depth=2
	v_xor_b32_e32 v40, 0x80000000, v30
	v_mov_b32_e32 v39, v29
	v_lshrrev_b64 v[39:40], s46, v[39:40]
	v_and_b32_e32 v3, s52, v39
	v_lshl_or_b32 v3, v3, 4, v93
	ds_add_u32 v3, v121
	s_or_b32 exec_lo, exec_lo, s15
	s_mov_b32 s15, exec_lo
	v_cmpx_gt_u32_e64 s14, v82
	s_cbranch_execz .LBB810_633
.LBB810_648:                            ;   in Loop: Header=BB810_606 Depth=2
	v_xor_b32_e32 v40, 0x80000000, v28
	v_mov_b32_e32 v39, v27
	v_lshrrev_b64 v[39:40], s46, v[39:40]
	v_and_b32_e32 v3, s52, v39
	v_lshl_or_b32 v3, v3, 4, v93
	ds_add_u32 v3, v121
	s_or_b32 exec_lo, exec_lo, s15
	s_mov_b32 s15, exec_lo
	v_cmpx_gt_u32_e64 s14, v83
	s_cbranch_execz .LBB810_634
.LBB810_649:                            ;   in Loop: Header=BB810_606 Depth=2
	v_xor_b32_e32 v40, 0x80000000, v26
	v_mov_b32_e32 v39, v25
	v_lshrrev_b64 v[39:40], s46, v[39:40]
	v_and_b32_e32 v3, s52, v39
	v_lshl_or_b32 v3, v3, 4, v93
	ds_add_u32 v3, v121
	s_or_b32 exec_lo, exec_lo, s15
	s_mov_b32 s15, exec_lo
	v_cmpx_gt_u32_e64 s14, v84
	s_cbranch_execz .LBB810_635
.LBB810_650:                            ;   in Loop: Header=BB810_606 Depth=2
	v_xor_b32_e32 v40, 0x80000000, v24
	v_mov_b32_e32 v39, v23
	v_lshrrev_b64 v[39:40], s46, v[39:40]
	v_and_b32_e32 v3, s52, v39
	v_lshl_or_b32 v3, v3, 4, v93
	ds_add_u32 v3, v121
	s_or_b32 exec_lo, exec_lo, s15
	s_mov_b32 s15, exec_lo
	v_cmpx_gt_u32_e64 s14, v85
	s_cbranch_execz .LBB810_636
.LBB810_651:                            ;   in Loop: Header=BB810_606 Depth=2
	v_xor_b32_e32 v40, 0x80000000, v22
	v_mov_b32_e32 v39, v21
	v_lshrrev_b64 v[39:40], s46, v[39:40]
	v_and_b32_e32 v3, s52, v39
	v_lshl_or_b32 v3, v3, 4, v93
	ds_add_u32 v3, v121
	s_or_b32 exec_lo, exec_lo, s15
	s_mov_b32 s15, exec_lo
	v_cmpx_gt_u32_e64 s14, v86
	s_cbranch_execz .LBB810_637
.LBB810_652:                            ;   in Loop: Header=BB810_606 Depth=2
	v_xor_b32_e32 v40, 0x80000000, v20
	v_mov_b32_e32 v39, v19
	v_lshrrev_b64 v[39:40], s46, v[39:40]
	v_and_b32_e32 v3, s52, v39
	v_lshl_or_b32 v3, v3, 4, v93
	ds_add_u32 v3, v121
	s_or_b32 exec_lo, exec_lo, s15
	s_mov_b32 s15, exec_lo
	v_cmpx_gt_u32_e64 s14, v87
	s_cbranch_execz .LBB810_638
.LBB810_653:                            ;   in Loop: Header=BB810_606 Depth=2
	v_xor_b32_e32 v40, 0x80000000, v18
	v_mov_b32_e32 v39, v17
	v_lshrrev_b64 v[39:40], s46, v[39:40]
	v_and_b32_e32 v3, s52, v39
	v_lshl_or_b32 v3, v3, 4, v93
	ds_add_u32 v3, v121
	s_or_b32 exec_lo, exec_lo, s15
	s_mov_b32 s15, exec_lo
	v_cmpx_gt_u32_e64 s14, v88
	s_cbranch_execz .LBB810_639
.LBB810_654:                            ;   in Loop: Header=BB810_606 Depth=2
	v_xor_b32_e32 v40, 0x80000000, v16
	v_mov_b32_e32 v39, v15
	v_lshrrev_b64 v[39:40], s46, v[39:40]
	v_and_b32_e32 v3, s52, v39
	v_lshl_or_b32 v3, v3, 4, v93
	ds_add_u32 v3, v121
	s_or_b32 exec_lo, exec_lo, s15
	s_mov_b32 s15, exec_lo
	v_cmpx_gt_u32_e64 s14, v89
	s_cbranch_execz .LBB810_640
.LBB810_655:                            ;   in Loop: Header=BB810_606 Depth=2
	v_xor_b32_e32 v40, 0x80000000, v14
	v_mov_b32_e32 v39, v13
	v_lshrrev_b64 v[39:40], s46, v[39:40]
	v_and_b32_e32 v3, s52, v39
	v_lshl_or_b32 v3, v3, 4, v93
	ds_add_u32 v3, v121
	s_or_b32 exec_lo, exec_lo, s15
	s_mov_b32 s15, exec_lo
	v_cmpx_gt_u32_e64 s14, v90
	s_cbranch_execz .LBB810_641
.LBB810_656:                            ;   in Loop: Header=BB810_606 Depth=2
	v_xor_b32_e32 v40, 0x80000000, v12
	v_mov_b32_e32 v39, v11
	v_lshrrev_b64 v[39:40], s46, v[39:40]
	v_and_b32_e32 v3, s52, v39
	v_lshl_or_b32 v3, v3, 4, v93
	ds_add_u32 v3, v121
	s_or_b32 exec_lo, exec_lo, s15
	s_mov_b32 s15, exec_lo
	v_cmpx_gt_u32_e64 s14, v91
	s_cbranch_execz .LBB810_642
.LBB810_657:                            ;   in Loop: Header=BB810_606 Depth=2
	v_xor_b32_e32 v40, 0x80000000, v10
	v_mov_b32_e32 v39, v9
	v_lshrrev_b64 v[39:40], s46, v[39:40]
	v_and_b32_e32 v3, s52, v39
	v_lshl_or_b32 v3, v3, 4, v93
	ds_add_u32 v3, v121
	s_or_b32 exec_lo, exec_lo, s15
	v_cmp_gt_u32_e32 vcc_lo, s14, v92
	s_and_saveexec_b32 s14, vcc_lo
	s_cbranch_execz .LBB810_605
.LBB810_658:                            ;   in Loop: Header=BB810_606 Depth=2
	v_xor_b32_e32 v40, 0x80000000, v8
	v_mov_b32_e32 v39, v7
	v_lshrrev_b64 v[39:40], s46, v[39:40]
	v_and_b32_e32 v3, s52, v39
	v_lshl_or_b32 v3, v3, 4, v93
	ds_add_u32 v3, v121
	s_branch .LBB810_605
.LBB810_659:                            ;   in Loop: Header=BB810_606 Depth=2
	global_load_dwordx2 v[37:38], v122, s[14:15]
	s_or_b32 exec_lo, exec_lo, s17
	s_mov_b32 s17, exec_lo
	v_cmpx_gt_u32_e64 s5, v76
	s_cbranch_execz .LBB810_611
.LBB810_660:                            ;   in Loop: Header=BB810_606 Depth=2
	global_load_dwordx2 v[35:36], v123, s[14:15]
	s_or_b32 exec_lo, exec_lo, s17
	s_mov_b32 s17, exec_lo
	v_cmpx_gt_u32_e64 s5, v79
	s_cbranch_execz .LBB810_612
.LBB810_661:                            ;   in Loop: Header=BB810_606 Depth=2
	global_load_dwordx2 v[33:34], v124, s[14:15]
	s_or_b32 exec_lo, exec_lo, s17
	s_mov_b32 s17, exec_lo
	v_cmpx_gt_u32_e64 s5, v80
	s_cbranch_execz .LBB810_613
.LBB810_662:                            ;   in Loop: Header=BB810_606 Depth=2
	global_load_dwordx2 v[31:32], v125, s[14:15]
	s_or_b32 exec_lo, exec_lo, s17
	s_mov_b32 s17, exec_lo
	v_cmpx_gt_u32_e64 s5, v81
	s_cbranch_execz .LBB810_614
.LBB810_663:                            ;   in Loop: Header=BB810_606 Depth=2
	global_load_dwordx2 v[29:30], v126, s[14:15]
	s_or_b32 exec_lo, exec_lo, s17
	s_mov_b32 s17, exec_lo
	v_cmpx_gt_u32_e64 s5, v82
	s_cbranch_execz .LBB810_615
.LBB810_664:                            ;   in Loop: Header=BB810_606 Depth=2
	global_load_dwordx2 v[27:28], v127, s[14:15]
	s_or_b32 exec_lo, exec_lo, s17
	s_mov_b32 s17, exec_lo
	v_cmpx_gt_u32_e64 s5, v83
	s_cbranch_execz .LBB810_616
.LBB810_665:                            ;   in Loop: Header=BB810_606 Depth=2
	v_lshlrev_b32_e32 v3, 3, v83
	global_load_dwordx2 v[25:26], v3, s[14:15]
	s_or_b32 exec_lo, exec_lo, s17
	s_mov_b32 s17, exec_lo
	v_cmpx_gt_u32_e64 s5, v84
	s_cbranch_execz .LBB810_617
.LBB810_666:                            ;   in Loop: Header=BB810_606 Depth=2
	v_lshlrev_b32_e32 v3, 3, v84
	global_load_dwordx2 v[23:24], v3, s[14:15]
	s_or_b32 exec_lo, exec_lo, s17
	s_mov_b32 s17, exec_lo
	v_cmpx_gt_u32_e64 s5, v85
	s_cbranch_execz .LBB810_618
.LBB810_667:                            ;   in Loop: Header=BB810_606 Depth=2
	v_lshlrev_b32_e32 v3, 3, v85
	global_load_dwordx2 v[21:22], v3, s[14:15]
	s_or_b32 exec_lo, exec_lo, s17
	s_mov_b32 s17, exec_lo
	v_cmpx_gt_u32_e64 s5, v86
	s_cbranch_execz .LBB810_619
.LBB810_668:                            ;   in Loop: Header=BB810_606 Depth=2
	v_lshlrev_b32_e32 v3, 3, v86
	global_load_dwordx2 v[19:20], v3, s[14:15]
	s_or_b32 exec_lo, exec_lo, s17
	s_mov_b32 s17, exec_lo
	v_cmpx_gt_u32_e64 s5, v87
	s_cbranch_execz .LBB810_620
.LBB810_669:                            ;   in Loop: Header=BB810_606 Depth=2
	v_lshlrev_b32_e32 v3, 3, v87
	global_load_dwordx2 v[17:18], v3, s[14:15]
	s_or_b32 exec_lo, exec_lo, s17
	s_mov_b32 s17, exec_lo
	v_cmpx_gt_u32_e64 s5, v88
	s_cbranch_execz .LBB810_621
.LBB810_670:                            ;   in Loop: Header=BB810_606 Depth=2
	v_lshlrev_b32_e32 v3, 3, v88
	global_load_dwordx2 v[15:16], v3, s[14:15]
	s_or_b32 exec_lo, exec_lo, s17
	s_mov_b32 s17, exec_lo
	v_cmpx_gt_u32_e64 s5, v89
	s_cbranch_execz .LBB810_622
.LBB810_671:                            ;   in Loop: Header=BB810_606 Depth=2
	v_lshlrev_b32_e32 v3, 3, v89
	global_load_dwordx2 v[13:14], v3, s[14:15]
	s_or_b32 exec_lo, exec_lo, s17
	s_mov_b32 s17, exec_lo
	v_cmpx_gt_u32_e64 s5, v90
	s_cbranch_execz .LBB810_623
.LBB810_672:                            ;   in Loop: Header=BB810_606 Depth=2
	v_lshlrev_b32_e32 v3, 3, v90
	global_load_dwordx2 v[11:12], v3, s[14:15]
	s_or_b32 exec_lo, exec_lo, s17
	s_mov_b32 s17, exec_lo
	v_cmpx_gt_u32_e64 s5, v91
	s_cbranch_execz .LBB810_624
.LBB810_673:                            ;   in Loop: Header=BB810_606 Depth=2
	v_lshlrev_b32_e32 v3, 3, v91
	global_load_dwordx2 v[9:10], v3, s[14:15]
	s_or_b32 exec_lo, exec_lo, s17
	s_mov_b32 s17, exec_lo
	v_cmpx_gt_u32_e64 s5, v92
	s_cbranch_execnz .LBB810_625
	s_branch .LBB810_626
.LBB810_674:                            ;   in Loop: Header=BB810_12 Depth=1
	v_mov_b32_e32 v3, 0
	s_waitcnt lgkmcnt(0)
	s_barrier
	buffer_gl0_inv
	s_and_saveexec_b32 s5, s7
	s_cbranch_execz .LBB810_676
; %bb.675:                              ;   in Loop: Header=BB810_12 Depth=1
	ds_read2_b64 v[7:10], v95 offset1:1
	s_waitcnt lgkmcnt(0)
	v_add_nc_u32_e32 v3, v8, v7
	v_add3_u32 v3, v3, v9, v10
.LBB810_676:                            ;   in Loop: Header=BB810_12 Depth=1
	s_or_b32 exec_lo, exec_lo, s5
	v_and_b32_e32 v7, 15, v128
	v_mov_b32_dpp v8, v3 row_shr:1 row_mask:0xf bank_mask:0xf
	v_and_b32_e32 v9, 16, v128
	v_cmp_eq_u32_e64 s5, 0, v7
	v_cmp_lt_u32_e64 s14, 1, v7
	v_cmp_lt_u32_e64 s15, 3, v7
	;; [unrolled: 1-line block ×3, first 2 shown]
	v_cmp_eq_u32_e64 s17, 0, v9
	v_cndmask_b32_e64 v8, v8, 0, s5
	v_add_nc_u32_e32 v3, v8, v3
	v_mov_b32_dpp v8, v3 row_shr:2 row_mask:0xf bank_mask:0xf
	v_cndmask_b32_e64 v8, 0, v8, s14
	v_add_nc_u32_e32 v3, v3, v8
	v_mov_b32_dpp v8, v3 row_shr:4 row_mask:0xf bank_mask:0xf
	;; [unrolled: 3-line block ×3, first 2 shown]
	v_cndmask_b32_e64 v7, 0, v8, s16
	v_bfe_i32 v8, v128, 4, 1
	v_add_nc_u32_e32 v3, v3, v7
	ds_swizzle_b32 v7, v3 offset:swizzle(BROADCAST,32,15)
	s_waitcnt lgkmcnt(0)
	v_and_b32_e32 v7, v8, v7
	v_add_nc_u32_e32 v3, v3, v7
	s_and_saveexec_b32 s18, s8
; %bb.677:                              ;   in Loop: Header=BB810_12 Depth=1
	ds_write_b32 v96, v3
; %bb.678:                              ;   in Loop: Header=BB810_12 Depth=1
	s_or_b32 exec_lo, exec_lo, s18
	s_waitcnt lgkmcnt(0)
	s_barrier
	buffer_gl0_inv
	s_and_saveexec_b32 s18, s9
	s_cbranch_execz .LBB810_680
; %bb.679:                              ;   in Loop: Header=BB810_12 Depth=1
	ds_read_b32 v7, v97
	v_and_b32_e32 v8, 3, v128
	v_cmp_ne_u32_e32 vcc_lo, 0, v8
	s_waitcnt lgkmcnt(0)
	v_mov_b32_dpp v9, v7 row_shr:1 row_mask:0xf bank_mask:0xf
	v_cndmask_b32_e32 v9, 0, v9, vcc_lo
	v_cmp_lt_u32_e32 vcc_lo, 1, v8
	v_add_nc_u32_e32 v7, v9, v7
	v_mov_b32_dpp v9, v7 row_shr:2 row_mask:0xf bank_mask:0xf
	v_cndmask_b32_e32 v8, 0, v9, vcc_lo
	v_add_nc_u32_e32 v7, v7, v8
	ds_write_b32 v97, v7
.LBB810_680:                            ;   in Loop: Header=BB810_12 Depth=1
	s_or_b32 exec_lo, exec_lo, s18
	v_mov_b32_e32 v7, 0
	s_waitcnt lgkmcnt(0)
	s_barrier
	buffer_gl0_inv
	s_and_saveexec_b32 s18, s10
; %bb.681:                              ;   in Loop: Header=BB810_12 Depth=1
	ds_read_b32 v7, v98
; %bb.682:                              ;   in Loop: Header=BB810_12 Depth=1
	s_or_b32 exec_lo, exec_lo, s18
	v_sub_co_u32 v8, s18, v128, 1
	s_waitcnt lgkmcnt(0)
	v_add_nc_u32_e32 v3, v7, v3
	s_barrier
	v_cmp_gt_i32_e32 vcc_lo, 0, v8
	buffer_gl0_inv
	v_cndmask_b32_e32 v8, v8, v128, vcc_lo
	v_lshlrev_b32_e32 v129, 2, v8
	ds_bpermute_b32 v3, v129, v3
	s_and_saveexec_b32 s19, s7
	s_cbranch_execz .LBB810_684
; %bb.683:                              ;   in Loop: Header=BB810_12 Depth=1
	s_waitcnt lgkmcnt(0)
	v_cndmask_b32_e64 v3, v3, v7, s18
	v_add_nc_u32_e32 v3, s60, v3
	ds_write_b32 v75, v3
.LBB810_684:                            ;   in Loop: Header=BB810_12 Depth=1
	s_or_b32 exec_lo, exec_lo, s19
	s_load_dwordx2 s[20:21], s[58:59], 0x0
	v_and_b32_e32 v8, 7, v128
	v_lshlrev_b32_e32 v9, 3, v128
	v_or_b32_e32 v130, v128, v99
	s_mov_b32 s63, s62
	s_mov_b32 s56, s60
                                        ; implicit-def: $vgpr11_vgpr12
                                        ; implicit-def: $vgpr13_vgpr14
                                        ; implicit-def: $vgpr15_vgpr16
                                        ; implicit-def: $vgpr19_vgpr20
                                        ; implicit-def: $vgpr23_vgpr24
                                        ; implicit-def: $vgpr27_vgpr28
                                        ; implicit-def: $vgpr17_vgpr18
                                        ; implicit-def: $vgpr21_vgpr22
                                        ; implicit-def: $vgpr25_vgpr26
                                        ; implicit-def: $vgpr29_vgpr30
                                        ; implicit-def: $vgpr31_vgpr32
                                        ; implicit-def: $vgpr33_vgpr34
                                        ; implicit-def: $vgpr35_vgpr36
                                        ; implicit-def: $vgpr37_vgpr38
                                        ; implicit-def: $vgpr151
                                        ; implicit-def: $vgpr152
                                        ; implicit-def: $vgpr153
                                        ; implicit-def: $vgpr154
                                        ; implicit-def: $vgpr155
                                        ; implicit-def: $vgpr156
                                        ; implicit-def: $vgpr157
                                        ; implicit-def: $vgpr158
                                        ; implicit-def: $vgpr159
                                        ; implicit-def: $vgpr160
                                        ; implicit-def: $vgpr161
                                        ; implicit-def: $vgpr162
                                        ; implicit-def: $vgpr163
                                        ; implicit-def: $vgpr164
                                        ; implicit-def: $vgpr166
                                        ; implicit-def: $vgpr167
                                        ; implicit-def: $vgpr165
                                        ; implicit-def: $vgpr168
	v_add_co_u32 v131, vcc_lo, v117, v9
	v_add_co_ci_u32_e64 v132, null, 0, v118, vcc_lo
	v_add_co_u32 v148, vcc_lo, v119, v9
	v_or_b32_e32 v133, 32, v130
	v_or_b32_e32 v134, 64, v130
	;; [unrolled: 1-line block ×7, first 2 shown]
	s_waitcnt lgkmcnt(0)
	s_cmp_lt_u32 s27, s21
	v_or_b32_e32 v140, 0x100, v130
	s_cselect_b32 s19, 14, 20
	v_or_b32_e32 v141, 0x120, v130
	s_add_u32 s22, s58, s19
	s_addc_u32 s23, s59, 0
	s_cmp_lt_u32 s6, s20
	global_load_ushort v3, v4, s[22:23]
	s_cselect_b32 s19, 12, 18
	v_or_b32_e32 v142, 0x140, v130
	s_add_u32 s20, s58, s19
	s_addc_u32 s21, s59, 0
	v_cmp_eq_u32_e64 s19, 0, v8
	global_load_ushort v7, v4, s[20:21]
	v_cmp_lt_u32_e64 s20, 1, v8
	v_cmp_lt_u32_e64 s21, 3, v8
	v_or_b32_e32 v143, 0x160, v130
	v_or_b32_e32 v144, 0x180, v130
	v_or_b32_e32 v145, 0x1a0, v130
	v_or_b32_e32 v146, 0x1c0, v130
	v_or_b32_e32 v147, 0x1e0, v130
	v_add_co_ci_u32_e64 v149, null, 0, v120, vcc_lo
                                        ; implicit-def: $vgpr9_vgpr10
	s_waitcnt vmcnt(1)
	v_mad_u32_u24 v3, v2, v3, v1
	s_waitcnt vmcnt(0)
	v_mad_u64_u32 v[7:8], null, v3, v7, v[0:1]
	v_lshrrev_b32_e32 v3, 3, v7
                                        ; implicit-def: $vgpr7_vgpr8
	v_and_b32_e32 v150, 0x1ffffffc, v3
	s_branch .LBB810_686
.LBB810_685:                            ;   in Loop: Header=BB810_686 Depth=2
	s_or_b32 exec_lo, exec_lo, s22
	s_addk_i32 s63, 0xf000
	s_cmp_lt_u32 s64, s61
	s_mov_b32 s56, s64
	s_cbranch_scc0 .LBB810_896
.LBB810_686:                            ;   Parent Loop BB810_12 Depth=1
                                        ; =>  This Inner Loop Header: Depth=2
	s_add_i32 s64, s56, 0x1000
	s_cmp_gt_u32 s64, s61
	s_cbranch_scc1 .LBB810_688
; %bb.687:                              ;   in Loop: Header=BB810_686 Depth=2
	s_lshl_b64 s[22:23], s[56:57], 3
	v_add_co_u32 v53, vcc_lo, v148, s22
	v_add_co_ci_u32_e64 v54, null, s23, v149, vcc_lo
	v_add_co_u32 v67, vcc_lo, 0x800, v53
	v_add_co_ci_u32_e64 v68, null, 0, v54, vcc_lo
	s_clause 0xe
	global_load_dwordx2 v[41:42], v[53:54], off
	global_load_dwordx2 v[39:40], v[53:54], off offset:256
	global_load_dwordx2 v[43:44], v[53:54], off offset:512
	;; [unrolled: 1-line block ×7, first 2 shown]
	global_load_dwordx2 v[55:56], v[67:68], off
	global_load_dwordx2 v[57:58], v[67:68], off offset:256
	global_load_dwordx2 v[61:62], v[67:68], off offset:512
	;; [unrolled: 1-line block ×6, first 2 shown]
	s_mov_b32 s22, -1
	s_movk_i32 s23, 0x1000
	s_cbranch_execz .LBB810_689
	s_branch .LBB810_720
.LBB810_688:                            ;   in Loop: Header=BB810_686 Depth=2
	s_mov_b32 s22, 0
                                        ; implicit-def: $vgpr41_vgpr42
                                        ; implicit-def: $vgpr39_vgpr40
                                        ; implicit-def: $vgpr43_vgpr44
                                        ; implicit-def: $vgpr45_vgpr46
                                        ; implicit-def: $vgpr47_vgpr48
                                        ; implicit-def: $vgpr51_vgpr52
                                        ; implicit-def: $vgpr49_vgpr50
                                        ; implicit-def: $vgpr53_vgpr54
                                        ; implicit-def: $vgpr55_vgpr56
                                        ; implicit-def: $vgpr57_vgpr58
                                        ; implicit-def: $vgpr61_vgpr62
                                        ; implicit-def: $vgpr59_vgpr60
                                        ; implicit-def: $vgpr63_vgpr64
                                        ; implicit-def: $vgpr65_vgpr66
                                        ; implicit-def: $vgpr67_vgpr68
	s_movk_i32 s23, 0x1000
.LBB810_689:                            ;   in Loop: Header=BB810_686 Depth=2
	s_waitcnt vmcnt(13)
	v_mov_b32_e32 v40, v6
	v_mov_b32_e32 v39, v5
	s_lshl_b64 s[22:23], s[56:57], 3
	v_add_co_u32 v69, vcc_lo, v148, s22
	v_mov_b32_e32 v42, v40
	v_add_co_ci_u32_e64 v70, null, s23, v149, vcc_lo
	v_mov_b32_e32 v41, v39
	s_mov_b32 s22, exec_lo
	v_cmpx_gt_u32_e64 s63, v130
	s_cbranch_execz .LBB810_691
; %bb.690:                              ;   in Loop: Header=BB810_686 Depth=2
	global_load_dwordx2 v[41:42], v[69:70], off
.LBB810_691:                            ;   in Loop: Header=BB810_686 Depth=2
	s_or_b32 exec_lo, exec_lo, s22
	s_mov_b32 s22, exec_lo
	v_cmpx_gt_u32_e64 s63, v133
	s_cbranch_execz .LBB810_693
; %bb.692:                              ;   in Loop: Header=BB810_686 Depth=2
	global_load_dwordx2 v[39:40], v[69:70], off offset:256
.LBB810_693:                            ;   in Loop: Header=BB810_686 Depth=2
	s_or_b32 exec_lo, exec_lo, s22
	s_waitcnt vmcnt(12)
	v_mov_b32_e32 v44, v6
	v_mov_b32_e32 v43, v5
	s_mov_b32 s22, exec_lo
	v_cmpx_gt_u32_e64 s63, v134
	s_cbranch_execz .LBB810_695
; %bb.694:                              ;   in Loop: Header=BB810_686 Depth=2
	global_load_dwordx2 v[43:44], v[69:70], off offset:512
.LBB810_695:                            ;   in Loop: Header=BB810_686 Depth=2
	s_or_b32 exec_lo, exec_lo, s22
	s_waitcnt vmcnt(11)
	v_mov_b32_e32 v46, v6
	v_mov_b32_e32 v45, v5
	;; [unrolled: 10-line block ×7, first 2 shown]
	s_mov_b32 s22, exec_lo
	v_cmpx_gt_u32_e64 s63, v140
	s_cbranch_execz .LBB810_707
; %bb.706:                              ;   in Loop: Header=BB810_686 Depth=2
	v_add_co_u32 v55, vcc_lo, 0x800, v69
	v_add_co_ci_u32_e64 v56, null, 0, v70, vcc_lo
	global_load_dwordx2 v[55:56], v[55:56], off
.LBB810_707:                            ;   in Loop: Header=BB810_686 Depth=2
	s_or_b32 exec_lo, exec_lo, s22
	s_waitcnt vmcnt(5)
	v_mov_b32_e32 v58, v6
	v_mov_b32_e32 v57, v5
	s_mov_b32 s22, exec_lo
	v_cmpx_gt_u32_e64 s63, v141
	s_cbranch_execz .LBB810_709
; %bb.708:                              ;   in Loop: Header=BB810_686 Depth=2
	v_add_co_u32 v57, vcc_lo, 0x800, v69
	v_add_co_ci_u32_e64 v58, null, 0, v70, vcc_lo
	global_load_dwordx2 v[57:58], v[57:58], off offset:256
.LBB810_709:                            ;   in Loop: Header=BB810_686 Depth=2
	s_or_b32 exec_lo, exec_lo, s22
	s_waitcnt vmcnt(4)
	v_mov_b32_e32 v62, v6
	v_mov_b32_e32 v61, v5
	s_mov_b32 s22, exec_lo
	v_cmpx_gt_u32_e64 s63, v142
	s_cbranch_execz .LBB810_711
; %bb.710:                              ;   in Loop: Header=BB810_686 Depth=2
	s_waitcnt vmcnt(3)
	v_add_co_u32 v59, vcc_lo, 0x800, v69
	v_add_co_ci_u32_e64 v60, null, 0, v70, vcc_lo
	global_load_dwordx2 v[61:62], v[59:60], off offset:512
.LBB810_711:                            ;   in Loop: Header=BB810_686 Depth=2
	s_or_b32 exec_lo, exec_lo, s22
	s_waitcnt vmcnt(3)
	v_mov_b32_e32 v60, v6
	v_mov_b32_e32 v59, v5
	s_mov_b32 s22, exec_lo
	v_cmpx_gt_u32_e64 s63, v143
	s_cbranch_execz .LBB810_713
; %bb.712:                              ;   in Loop: Header=BB810_686 Depth=2
	v_add_co_u32 v59, vcc_lo, 0x800, v69
	v_add_co_ci_u32_e64 v60, null, 0, v70, vcc_lo
	global_load_dwordx2 v[59:60], v[59:60], off offset:768
.LBB810_713:                            ;   in Loop: Header=BB810_686 Depth=2
	s_or_b32 exec_lo, exec_lo, s22
	s_waitcnt vmcnt(2)
	v_mov_b32_e32 v64, v6
	v_mov_b32_e32 v63, v5
	s_mov_b32 s22, exec_lo
	v_cmpx_gt_u32_e64 s63, v144
	s_cbranch_execz .LBB810_715
; %bb.714:                              ;   in Loop: Header=BB810_686 Depth=2
	v_add_co_u32 v63, vcc_lo, 0x800, v69
	v_add_co_ci_u32_e64 v64, null, 0, v70, vcc_lo
	global_load_dwordx2 v[63:64], v[63:64], off offset:1024
.LBB810_715:                            ;   in Loop: Header=BB810_686 Depth=2
	;; [unrolled: 12-line block ×4, first 2 shown]
	s_or_b32 exec_lo, exec_lo, s22
	v_cmp_gt_u32_e64 s22, s63, v147
	s_sub_i32 s23, s61, s56
.LBB810_720:                            ;   in Loop: Header=BB810_686 Depth=2
	v_mov_b32_e32 v69, -1
	v_mov_b32_e32 v70, -1
	v_mov_b32_e32 v169, s63
	s_and_saveexec_b32 s24, s22
	s_cbranch_execz .LBB810_722
; %bb.721:                              ;   in Loop: Header=BB810_686 Depth=2
	s_lshl_b64 s[28:29], s[56:57], 3
	v_mov_b32_e32 v169, s23
	v_add_co_u32 v3, vcc_lo, v148, s28
	v_add_co_ci_u32_e64 v70, null, s29, v149, vcc_lo
	v_add_co_u32 v69, vcc_lo, 0x800, v3
	v_add_co_ci_u32_e64 v70, null, 0, v70, vcc_lo
	global_load_dwordx2 v[69:70], v[69:70], off offset:1792
	s_waitcnt vmcnt(0)
	v_xor_b32_e32 v70, 0x80000000, v70
.LBB810_722:                            ;   in Loop: Header=BB810_686 Depth=2
	s_or_b32 exec_lo, exec_lo, s24
	s_waitcnt vmcnt(14)
	v_xor_b32_e32 v42, 0x80000000, v42
	ds_write2_b32 v100, v4, v4 offset0:136 offset1:137
	ds_write2_b32 v100, v4, v4 offset0:138 offset1:139
	ds_write_b32 v100, v4 offset:560
	s_waitcnt vmcnt(0) lgkmcnt(0)
	s_barrier
	v_lshrrev_b64 v[71:72], s46, v[41:42]
	buffer_gl0_inv
	; wave barrier
	v_and_b32_e32 v72, s52, v71
	v_and_b32_e32 v3, 1, v72
	v_lshlrev_b32_e32 v71, 30, v72
	v_lshlrev_b32_e32 v73, 29, v72
	v_lshlrev_b32_e32 v170, 28, v72
	v_lshlrev_b32_e32 v171, 27, v72
	v_add_co_u32 v3, s22, v3, -1
	v_cndmask_b32_e64 v74, 0, 1, s22
	v_not_b32_e32 v173, v71
	v_cmp_gt_i32_e64 s22, 0, v71
	v_not_b32_e32 v71, v73
	v_lshlrev_b32_e32 v172, 26, v72
	v_cmp_ne_u32_e32 vcc_lo, 0, v74
	v_ashrrev_i32_e32 v173, 31, v173
	v_lshlrev_b32_e32 v74, 25, v72
	v_ashrrev_i32_e32 v71, 31, v71
	v_mul_u32_u24_e32 v72, 36, v72
	v_xor_b32_e32 v3, vcc_lo, v3
	v_cmp_gt_i32_e32 vcc_lo, 0, v73
	v_not_b32_e32 v73, v170
	v_xor_b32_e32 v173, s22, v173
	v_cmp_gt_i32_e64 s22, 0, v170
	v_and_b32_e32 v3, exec_lo, v3
	v_not_b32_e32 v170, v171
	v_ashrrev_i32_e32 v73, 31, v73
	v_xor_b32_e32 v71, vcc_lo, v71
	v_cmp_gt_i32_e32 vcc_lo, 0, v171
	v_and_b32_e32 v3, v3, v173
	v_not_b32_e32 v171, v172
	v_ashrrev_i32_e32 v170, 31, v170
	v_xor_b32_e32 v73, s22, v73
	v_cmp_gt_i32_e64 s22, 0, v172
	v_and_b32_e32 v3, v3, v71
	v_not_b32_e32 v71, v74
	v_ashrrev_i32_e32 v171, 31, v171
	v_xor_b32_e32 v170, vcc_lo, v170
	v_cmp_gt_i32_e32 vcc_lo, 0, v74
	v_and_b32_e32 v3, v3, v73
	v_ashrrev_i32_e32 v71, 31, v71
	v_xor_b32_e32 v73, s22, v171
	v_and_b32_e32 v3, v3, v170
	v_xor_b32_e32 v71, vcc_lo, v71
	v_add_nc_u32_e32 v170, v150, v72
	v_and_b32_e32 v3, v3, v73
	v_and_b32_e32 v71, v3, v71
	v_mbcnt_lo_u32_b32 v3, v71, 0
	v_cmp_ne_u32_e64 s22, 0, v71
	v_cmp_eq_u32_e32 vcc_lo, 0, v3
	s_and_b32 s23, s22, vcc_lo
	s_and_saveexec_b32 s22, s23
; %bb.723:                              ;   in Loop: Header=BB810_686 Depth=2
	v_bcnt_u32_b32 v71, v71, 0
	ds_write_b32 v170, v71 offset:544
; %bb.724:                              ;   in Loop: Header=BB810_686 Depth=2
	s_or_b32 exec_lo, exec_lo, s22
	v_xor_b32_e32 v40, 0x80000000, v40
	; wave barrier
	v_lshrrev_b64 v[71:72], s46, v[39:40]
	v_and_b32_e32 v72, s52, v71
	v_and_b32_e32 v71, 1, v72
	v_lshlrev_b32_e32 v73, 30, v72
	v_lshlrev_b32_e32 v74, 29, v72
	v_lshlrev_b32_e32 v172, 28, v72
	v_lshlrev_b32_e32 v173, 27, v72
	v_add_co_u32 v71, s22, v71, -1
	v_cndmask_b32_e64 v171, 0, 1, s22
	v_not_b32_e32 v175, v73
	v_cmp_gt_i32_e64 s22, 0, v73
	v_not_b32_e32 v73, v74
	v_lshlrev_b32_e32 v174, 26, v72
	v_cmp_ne_u32_e32 vcc_lo, 0, v171
	v_ashrrev_i32_e32 v175, 31, v175
	v_lshlrev_b32_e32 v171, 25, v72
	v_ashrrev_i32_e32 v73, 31, v73
	v_xor_b32_e32 v71, vcc_lo, v71
	v_cmp_gt_i32_e32 vcc_lo, 0, v74
	v_not_b32_e32 v74, v172
	v_xor_b32_e32 v175, s22, v175
	v_cmp_gt_i32_e64 s22, 0, v172
	v_and_b32_e32 v71, exec_lo, v71
	v_not_b32_e32 v172, v173
	v_ashrrev_i32_e32 v74, 31, v74
	v_xor_b32_e32 v73, vcc_lo, v73
	v_cmp_gt_i32_e32 vcc_lo, 0, v173
	v_and_b32_e32 v71, v71, v175
	v_not_b32_e32 v173, v174
	v_ashrrev_i32_e32 v172, 31, v172
	v_xor_b32_e32 v74, s22, v74
	v_cmp_gt_i32_e64 s22, 0, v174
	v_and_b32_e32 v71, v71, v73
	v_not_b32_e32 v73, v171
	v_ashrrev_i32_e32 v173, 31, v173
	v_xor_b32_e32 v172, vcc_lo, v172
	v_cmp_gt_i32_e32 vcc_lo, 0, v171
	v_and_b32_e32 v71, v71, v74
	v_ashrrev_i32_e32 v73, 31, v73
	v_xor_b32_e32 v74, s22, v173
	v_mad_u32_u24 v171, v72, 36, v150
	v_mul_u32_u24_e32 v72, 36, v72
	v_and_b32_e32 v71, v71, v172
	v_xor_b32_e32 v73, vcc_lo, v73
	ds_read_b32 v171, v171 offset:544
	v_add_nc_u32_e32 v173, v150, v72
	v_and_b32_e32 v71, v71, v74
	; wave barrier
	v_and_b32_e32 v71, v71, v73
	v_mbcnt_lo_u32_b32 v172, v71, 0
	v_cmp_ne_u32_e64 s22, 0, v71
	v_cmp_eq_u32_e32 vcc_lo, 0, v172
	s_and_b32 s23, s22, vcc_lo
	s_and_saveexec_b32 s22, s23
	s_cbranch_execz .LBB810_726
; %bb.725:                              ;   in Loop: Header=BB810_686 Depth=2
	s_waitcnt lgkmcnt(0)
	v_bcnt_u32_b32 v71, v71, v171
	ds_write_b32 v173, v71 offset:544
.LBB810_726:                            ;   in Loop: Header=BB810_686 Depth=2
	s_or_b32 exec_lo, exec_lo, s22
	v_xor_b32_e32 v44, 0x80000000, v44
	; wave barrier
	v_lshrrev_b64 v[71:72], s46, v[43:44]
	v_and_b32_e32 v72, s52, v71
	v_and_b32_e32 v71, 1, v72
	v_lshlrev_b32_e32 v73, 30, v72
	v_lshlrev_b32_e32 v74, 29, v72
	v_lshlrev_b32_e32 v175, 28, v72
	v_lshlrev_b32_e32 v176, 27, v72
	v_add_co_u32 v71, s22, v71, -1
	v_cndmask_b32_e64 v174, 0, 1, s22
	v_not_b32_e32 v178, v73
	v_cmp_gt_i32_e64 s22, 0, v73
	v_not_b32_e32 v73, v74
	v_lshlrev_b32_e32 v177, 26, v72
	v_cmp_ne_u32_e32 vcc_lo, 0, v174
	v_ashrrev_i32_e32 v178, 31, v178
	v_lshlrev_b32_e32 v174, 25, v72
	v_ashrrev_i32_e32 v73, 31, v73
	v_xor_b32_e32 v71, vcc_lo, v71
	v_cmp_gt_i32_e32 vcc_lo, 0, v74
	v_not_b32_e32 v74, v175
	v_xor_b32_e32 v178, s22, v178
	v_cmp_gt_i32_e64 s22, 0, v175
	v_and_b32_e32 v71, exec_lo, v71
	v_not_b32_e32 v175, v176
	v_ashrrev_i32_e32 v74, 31, v74
	v_xor_b32_e32 v73, vcc_lo, v73
	v_cmp_gt_i32_e32 vcc_lo, 0, v176
	v_and_b32_e32 v71, v71, v178
	v_not_b32_e32 v176, v177
	v_ashrrev_i32_e32 v175, 31, v175
	v_xor_b32_e32 v74, s22, v74
	v_cmp_gt_i32_e64 s22, 0, v177
	v_and_b32_e32 v71, v71, v73
	v_not_b32_e32 v73, v174
	v_ashrrev_i32_e32 v176, 31, v176
	v_xor_b32_e32 v175, vcc_lo, v175
	v_cmp_gt_i32_e32 vcc_lo, 0, v174
	v_and_b32_e32 v71, v71, v74
	v_ashrrev_i32_e32 v73, 31, v73
	v_xor_b32_e32 v74, s22, v176
	v_mad_u32_u24 v174, v72, 36, v150
	v_mul_u32_u24_e32 v72, 36, v72
	v_and_b32_e32 v71, v71, v175
	v_xor_b32_e32 v73, vcc_lo, v73
	ds_read_b32 v174, v174 offset:544
	v_add_nc_u32_e32 v176, v150, v72
	v_and_b32_e32 v71, v71, v74
	; wave barrier
	v_and_b32_e32 v71, v71, v73
	v_mbcnt_lo_u32_b32 v175, v71, 0
	v_cmp_ne_u32_e64 s22, 0, v71
	v_cmp_eq_u32_e32 vcc_lo, 0, v175
	s_and_b32 s23, s22, vcc_lo
	s_and_saveexec_b32 s22, s23
	s_cbranch_execz .LBB810_728
; %bb.727:                              ;   in Loop: Header=BB810_686 Depth=2
	s_waitcnt lgkmcnt(0)
	v_bcnt_u32_b32 v71, v71, v174
	ds_write_b32 v176, v71 offset:544
.LBB810_728:                            ;   in Loop: Header=BB810_686 Depth=2
	s_or_b32 exec_lo, exec_lo, s22
	v_xor_b32_e32 v46, 0x80000000, v46
	; wave barrier
	v_lshrrev_b64 v[71:72], s46, v[45:46]
	v_and_b32_e32 v72, s52, v71
	v_and_b32_e32 v71, 1, v72
	v_lshlrev_b32_e32 v73, 30, v72
	v_lshlrev_b32_e32 v74, 29, v72
	v_lshlrev_b32_e32 v178, 28, v72
	v_lshlrev_b32_e32 v179, 27, v72
	v_add_co_u32 v71, s22, v71, -1
	v_cndmask_b32_e64 v177, 0, 1, s22
	v_not_b32_e32 v181, v73
	v_cmp_gt_i32_e64 s22, 0, v73
	v_not_b32_e32 v73, v74
	v_lshlrev_b32_e32 v180, 26, v72
	v_cmp_ne_u32_e32 vcc_lo, 0, v177
	v_ashrrev_i32_e32 v181, 31, v181
	v_lshlrev_b32_e32 v177, 25, v72
	v_ashrrev_i32_e32 v73, 31, v73
	v_xor_b32_e32 v71, vcc_lo, v71
	v_cmp_gt_i32_e32 vcc_lo, 0, v74
	v_not_b32_e32 v74, v178
	v_xor_b32_e32 v181, s22, v181
	v_cmp_gt_i32_e64 s22, 0, v178
	v_and_b32_e32 v71, exec_lo, v71
	v_not_b32_e32 v178, v179
	v_ashrrev_i32_e32 v74, 31, v74
	v_xor_b32_e32 v73, vcc_lo, v73
	v_cmp_gt_i32_e32 vcc_lo, 0, v179
	v_and_b32_e32 v71, v71, v181
	v_not_b32_e32 v179, v180
	v_ashrrev_i32_e32 v178, 31, v178
	v_xor_b32_e32 v74, s22, v74
	v_cmp_gt_i32_e64 s22, 0, v180
	v_and_b32_e32 v71, v71, v73
	v_not_b32_e32 v73, v177
	v_ashrrev_i32_e32 v179, 31, v179
	v_xor_b32_e32 v178, vcc_lo, v178
	v_cmp_gt_i32_e32 vcc_lo, 0, v177
	v_and_b32_e32 v71, v71, v74
	v_ashrrev_i32_e32 v73, 31, v73
	v_xor_b32_e32 v74, s22, v179
	v_mad_u32_u24 v177, v72, 36, v150
	v_mul_u32_u24_e32 v72, 36, v72
	v_and_b32_e32 v71, v71, v178
	v_xor_b32_e32 v73, vcc_lo, v73
	ds_read_b32 v177, v177 offset:544
	v_add_nc_u32_e32 v179, v150, v72
	v_and_b32_e32 v71, v71, v74
	; wave barrier
	v_and_b32_e32 v71, v71, v73
	v_mbcnt_lo_u32_b32 v178, v71, 0
	v_cmp_ne_u32_e64 s22, 0, v71
	v_cmp_eq_u32_e32 vcc_lo, 0, v178
	s_and_b32 s23, s22, vcc_lo
	s_and_saveexec_b32 s22, s23
	s_cbranch_execz .LBB810_730
; %bb.729:                              ;   in Loop: Header=BB810_686 Depth=2
	s_waitcnt lgkmcnt(0)
	v_bcnt_u32_b32 v71, v71, v177
	ds_write_b32 v179, v71 offset:544
.LBB810_730:                            ;   in Loop: Header=BB810_686 Depth=2
	s_or_b32 exec_lo, exec_lo, s22
	v_xor_b32_e32 v48, 0x80000000, v48
	; wave barrier
	v_lshrrev_b64 v[71:72], s46, v[47:48]
	v_and_b32_e32 v72, s52, v71
	v_and_b32_e32 v71, 1, v72
	v_lshlrev_b32_e32 v73, 30, v72
	v_lshlrev_b32_e32 v74, 29, v72
	v_lshlrev_b32_e32 v181, 28, v72
	v_lshlrev_b32_e32 v182, 27, v72
	v_add_co_u32 v71, s22, v71, -1
	v_cndmask_b32_e64 v180, 0, 1, s22
	v_not_b32_e32 v184, v73
	v_cmp_gt_i32_e64 s22, 0, v73
	v_not_b32_e32 v73, v74
	v_lshlrev_b32_e32 v183, 26, v72
	v_cmp_ne_u32_e32 vcc_lo, 0, v180
	v_ashrrev_i32_e32 v184, 31, v184
	v_lshlrev_b32_e32 v180, 25, v72
	v_ashrrev_i32_e32 v73, 31, v73
	v_xor_b32_e32 v71, vcc_lo, v71
	v_cmp_gt_i32_e32 vcc_lo, 0, v74
	v_not_b32_e32 v74, v181
	v_xor_b32_e32 v184, s22, v184
	v_cmp_gt_i32_e64 s22, 0, v181
	v_and_b32_e32 v71, exec_lo, v71
	v_not_b32_e32 v181, v182
	v_ashrrev_i32_e32 v74, 31, v74
	v_xor_b32_e32 v73, vcc_lo, v73
	v_cmp_gt_i32_e32 vcc_lo, 0, v182
	v_and_b32_e32 v71, v71, v184
	v_not_b32_e32 v182, v183
	v_ashrrev_i32_e32 v181, 31, v181
	v_xor_b32_e32 v74, s22, v74
	v_cmp_gt_i32_e64 s22, 0, v183
	v_and_b32_e32 v71, v71, v73
	v_not_b32_e32 v73, v180
	v_ashrrev_i32_e32 v182, 31, v182
	v_xor_b32_e32 v181, vcc_lo, v181
	v_cmp_gt_i32_e32 vcc_lo, 0, v180
	v_and_b32_e32 v71, v71, v74
	v_ashrrev_i32_e32 v73, 31, v73
	v_xor_b32_e32 v74, s22, v182
	v_mad_u32_u24 v180, v72, 36, v150
	v_mul_u32_u24_e32 v72, 36, v72
	v_and_b32_e32 v71, v71, v181
	v_xor_b32_e32 v73, vcc_lo, v73
	ds_read_b32 v180, v180 offset:544
	v_add_nc_u32_e32 v182, v150, v72
	v_and_b32_e32 v71, v71, v74
	; wave barrier
	v_and_b32_e32 v71, v71, v73
	v_mbcnt_lo_u32_b32 v181, v71, 0
	v_cmp_ne_u32_e64 s22, 0, v71
	v_cmp_eq_u32_e32 vcc_lo, 0, v181
	s_and_b32 s23, s22, vcc_lo
	s_and_saveexec_b32 s22, s23
	s_cbranch_execz .LBB810_732
; %bb.731:                              ;   in Loop: Header=BB810_686 Depth=2
	s_waitcnt lgkmcnt(0)
	v_bcnt_u32_b32 v71, v71, v180
	ds_write_b32 v182, v71 offset:544
.LBB810_732:                            ;   in Loop: Header=BB810_686 Depth=2
	s_or_b32 exec_lo, exec_lo, s22
	v_xor_b32_e32 v52, 0x80000000, v52
	; wave barrier
	v_lshrrev_b64 v[71:72], s46, v[51:52]
	v_and_b32_e32 v72, s52, v71
	v_and_b32_e32 v71, 1, v72
	v_lshlrev_b32_e32 v73, 30, v72
	v_lshlrev_b32_e32 v74, 29, v72
	v_lshlrev_b32_e32 v184, 28, v72
	v_lshlrev_b32_e32 v185, 27, v72
	v_add_co_u32 v71, s22, v71, -1
	v_cndmask_b32_e64 v183, 0, 1, s22
	v_not_b32_e32 v187, v73
	v_cmp_gt_i32_e64 s22, 0, v73
	v_not_b32_e32 v73, v74
	v_lshlrev_b32_e32 v186, 26, v72
	v_cmp_ne_u32_e32 vcc_lo, 0, v183
	v_ashrrev_i32_e32 v187, 31, v187
	v_lshlrev_b32_e32 v183, 25, v72
	v_ashrrev_i32_e32 v73, 31, v73
	v_xor_b32_e32 v71, vcc_lo, v71
	v_cmp_gt_i32_e32 vcc_lo, 0, v74
	v_not_b32_e32 v74, v184
	v_xor_b32_e32 v187, s22, v187
	v_cmp_gt_i32_e64 s22, 0, v184
	v_and_b32_e32 v71, exec_lo, v71
	v_not_b32_e32 v184, v185
	v_ashrrev_i32_e32 v74, 31, v74
	v_xor_b32_e32 v73, vcc_lo, v73
	v_cmp_gt_i32_e32 vcc_lo, 0, v185
	v_and_b32_e32 v71, v71, v187
	v_not_b32_e32 v185, v186
	v_ashrrev_i32_e32 v184, 31, v184
	v_xor_b32_e32 v74, s22, v74
	v_cmp_gt_i32_e64 s22, 0, v186
	v_and_b32_e32 v71, v71, v73
	v_not_b32_e32 v73, v183
	v_ashrrev_i32_e32 v185, 31, v185
	v_xor_b32_e32 v184, vcc_lo, v184
	v_cmp_gt_i32_e32 vcc_lo, 0, v183
	v_and_b32_e32 v71, v71, v74
	v_ashrrev_i32_e32 v73, 31, v73
	v_xor_b32_e32 v74, s22, v185
	v_mad_u32_u24 v183, v72, 36, v150
	v_mul_u32_u24_e32 v72, 36, v72
	v_and_b32_e32 v71, v71, v184
	v_xor_b32_e32 v73, vcc_lo, v73
	ds_read_b32 v183, v183 offset:544
	v_add_nc_u32_e32 v185, v150, v72
	v_and_b32_e32 v71, v71, v74
	; wave barrier
	v_and_b32_e32 v71, v71, v73
	v_mbcnt_lo_u32_b32 v184, v71, 0
	v_cmp_ne_u32_e64 s22, 0, v71
	v_cmp_eq_u32_e32 vcc_lo, 0, v184
	s_and_b32 s23, s22, vcc_lo
	s_and_saveexec_b32 s22, s23
	s_cbranch_execz .LBB810_734
; %bb.733:                              ;   in Loop: Header=BB810_686 Depth=2
	s_waitcnt lgkmcnt(0)
	v_bcnt_u32_b32 v71, v71, v183
	ds_write_b32 v185, v71 offset:544
.LBB810_734:                            ;   in Loop: Header=BB810_686 Depth=2
	s_or_b32 exec_lo, exec_lo, s22
	v_xor_b32_e32 v50, 0x80000000, v50
	; wave barrier
	v_lshrrev_b64 v[71:72], s46, v[49:50]
	v_and_b32_e32 v72, s52, v71
	v_and_b32_e32 v71, 1, v72
	v_lshlrev_b32_e32 v73, 30, v72
	v_lshlrev_b32_e32 v74, 29, v72
	v_lshlrev_b32_e32 v187, 28, v72
	v_lshlrev_b32_e32 v188, 27, v72
	v_add_co_u32 v71, s22, v71, -1
	v_cndmask_b32_e64 v186, 0, 1, s22
	v_not_b32_e32 v190, v73
	v_cmp_gt_i32_e64 s22, 0, v73
	v_not_b32_e32 v73, v74
	v_lshlrev_b32_e32 v189, 26, v72
	v_cmp_ne_u32_e32 vcc_lo, 0, v186
	v_ashrrev_i32_e32 v190, 31, v190
	v_lshlrev_b32_e32 v186, 25, v72
	v_ashrrev_i32_e32 v73, 31, v73
	v_xor_b32_e32 v71, vcc_lo, v71
	v_cmp_gt_i32_e32 vcc_lo, 0, v74
	v_not_b32_e32 v74, v187
	v_xor_b32_e32 v190, s22, v190
	v_cmp_gt_i32_e64 s22, 0, v187
	v_and_b32_e32 v71, exec_lo, v71
	v_not_b32_e32 v187, v188
	v_ashrrev_i32_e32 v74, 31, v74
	v_xor_b32_e32 v73, vcc_lo, v73
	v_cmp_gt_i32_e32 vcc_lo, 0, v188
	v_and_b32_e32 v71, v71, v190
	v_not_b32_e32 v188, v189
	v_ashrrev_i32_e32 v187, 31, v187
	v_xor_b32_e32 v74, s22, v74
	v_cmp_gt_i32_e64 s22, 0, v189
	v_and_b32_e32 v71, v71, v73
	v_not_b32_e32 v73, v186
	v_ashrrev_i32_e32 v188, 31, v188
	v_xor_b32_e32 v187, vcc_lo, v187
	v_cmp_gt_i32_e32 vcc_lo, 0, v186
	v_and_b32_e32 v71, v71, v74
	v_ashrrev_i32_e32 v73, 31, v73
	v_xor_b32_e32 v74, s22, v188
	v_mad_u32_u24 v186, v72, 36, v150
	v_mul_u32_u24_e32 v72, 36, v72
	v_and_b32_e32 v71, v71, v187
	v_xor_b32_e32 v73, vcc_lo, v73
	ds_read_b32 v186, v186 offset:544
	v_add_nc_u32_e32 v188, v150, v72
	v_and_b32_e32 v71, v71, v74
	; wave barrier
	v_and_b32_e32 v71, v71, v73
	v_mbcnt_lo_u32_b32 v187, v71, 0
	v_cmp_ne_u32_e64 s22, 0, v71
	v_cmp_eq_u32_e32 vcc_lo, 0, v187
	s_and_b32 s23, s22, vcc_lo
	s_and_saveexec_b32 s22, s23
	s_cbranch_execz .LBB810_736
; %bb.735:                              ;   in Loop: Header=BB810_686 Depth=2
	s_waitcnt lgkmcnt(0)
	v_bcnt_u32_b32 v71, v71, v186
	ds_write_b32 v188, v71 offset:544
.LBB810_736:                            ;   in Loop: Header=BB810_686 Depth=2
	s_or_b32 exec_lo, exec_lo, s22
	v_xor_b32_e32 v54, 0x80000000, v54
	; wave barrier
	v_lshrrev_b64 v[71:72], s46, v[53:54]
	v_and_b32_e32 v72, s52, v71
	v_and_b32_e32 v71, 1, v72
	v_lshlrev_b32_e32 v73, 30, v72
	v_lshlrev_b32_e32 v74, 29, v72
	v_lshlrev_b32_e32 v190, 28, v72
	v_lshlrev_b32_e32 v191, 27, v72
	v_add_co_u32 v71, s22, v71, -1
	v_cndmask_b32_e64 v189, 0, 1, s22
	v_not_b32_e32 v193, v73
	v_cmp_gt_i32_e64 s22, 0, v73
	v_not_b32_e32 v73, v74
	v_lshlrev_b32_e32 v192, 26, v72
	v_cmp_ne_u32_e32 vcc_lo, 0, v189
	v_ashrrev_i32_e32 v193, 31, v193
	v_lshlrev_b32_e32 v189, 25, v72
	v_ashrrev_i32_e32 v73, 31, v73
	v_xor_b32_e32 v71, vcc_lo, v71
	v_cmp_gt_i32_e32 vcc_lo, 0, v74
	v_not_b32_e32 v74, v190
	v_xor_b32_e32 v193, s22, v193
	v_cmp_gt_i32_e64 s22, 0, v190
	v_and_b32_e32 v71, exec_lo, v71
	v_not_b32_e32 v190, v191
	v_ashrrev_i32_e32 v74, 31, v74
	v_xor_b32_e32 v73, vcc_lo, v73
	v_cmp_gt_i32_e32 vcc_lo, 0, v191
	v_and_b32_e32 v71, v71, v193
	v_not_b32_e32 v191, v192
	v_ashrrev_i32_e32 v190, 31, v190
	v_xor_b32_e32 v74, s22, v74
	v_cmp_gt_i32_e64 s22, 0, v192
	v_and_b32_e32 v71, v71, v73
	v_not_b32_e32 v73, v189
	v_ashrrev_i32_e32 v191, 31, v191
	v_xor_b32_e32 v190, vcc_lo, v190
	v_cmp_gt_i32_e32 vcc_lo, 0, v189
	v_and_b32_e32 v71, v71, v74
	v_ashrrev_i32_e32 v73, 31, v73
	v_xor_b32_e32 v74, s22, v191
	v_mad_u32_u24 v189, v72, 36, v150
	v_mul_u32_u24_e32 v72, 36, v72
	v_and_b32_e32 v71, v71, v190
	v_xor_b32_e32 v73, vcc_lo, v73
	ds_read_b32 v189, v189 offset:544
	v_add_nc_u32_e32 v192, v150, v72
	v_and_b32_e32 v71, v71, v74
	; wave barrier
	v_and_b32_e32 v71, v71, v73
	v_mbcnt_lo_u32_b32 v190, v71, 0
	v_cmp_ne_u32_e64 s22, 0, v71
	v_cmp_eq_u32_e32 vcc_lo, 0, v190
	s_and_b32 s23, s22, vcc_lo
	s_and_saveexec_b32 s22, s23
	s_cbranch_execz .LBB810_738
; %bb.737:                              ;   in Loop: Header=BB810_686 Depth=2
	s_waitcnt lgkmcnt(0)
	v_bcnt_u32_b32 v71, v71, v189
	ds_write_b32 v192, v71 offset:544
.LBB810_738:                            ;   in Loop: Header=BB810_686 Depth=2
	s_or_b32 exec_lo, exec_lo, s22
	v_xor_b32_e32 v56, 0x80000000, v56
	; wave barrier
	v_lshrrev_b64 v[71:72], s46, v[55:56]
	v_and_b32_e32 v72, s52, v71
	v_and_b32_e32 v71, 1, v72
	v_lshlrev_b32_e32 v73, 30, v72
	v_lshlrev_b32_e32 v74, 29, v72
	v_lshlrev_b32_e32 v193, 28, v72
	v_lshlrev_b32_e32 v194, 27, v72
	v_add_co_u32 v71, s22, v71, -1
	v_cndmask_b32_e64 v191, 0, 1, s22
	v_not_b32_e32 v196, v73
	v_cmp_gt_i32_e64 s22, 0, v73
	v_not_b32_e32 v73, v74
	v_lshlrev_b32_e32 v195, 26, v72
	v_cmp_ne_u32_e32 vcc_lo, 0, v191
	v_ashrrev_i32_e32 v196, 31, v196
	v_lshlrev_b32_e32 v191, 25, v72
	v_ashrrev_i32_e32 v73, 31, v73
	v_xor_b32_e32 v71, vcc_lo, v71
	v_cmp_gt_i32_e32 vcc_lo, 0, v74
	v_not_b32_e32 v74, v193
	v_xor_b32_e32 v196, s22, v196
	v_cmp_gt_i32_e64 s22, 0, v193
	v_and_b32_e32 v71, exec_lo, v71
	v_not_b32_e32 v193, v194
	v_ashrrev_i32_e32 v74, 31, v74
	v_xor_b32_e32 v73, vcc_lo, v73
	v_cmp_gt_i32_e32 vcc_lo, 0, v194
	v_and_b32_e32 v71, v71, v196
	v_not_b32_e32 v194, v195
	v_ashrrev_i32_e32 v193, 31, v193
	v_xor_b32_e32 v74, s22, v74
	v_cmp_gt_i32_e64 s22, 0, v195
	v_and_b32_e32 v71, v71, v73
	v_not_b32_e32 v73, v191
	v_ashrrev_i32_e32 v194, 31, v194
	v_xor_b32_e32 v193, vcc_lo, v193
	v_cmp_gt_i32_e32 vcc_lo, 0, v191
	v_and_b32_e32 v71, v71, v74
	v_ashrrev_i32_e32 v73, 31, v73
	v_xor_b32_e32 v74, s22, v194
	v_mad_u32_u24 v191, v72, 36, v150
	v_mul_u32_u24_e32 v72, 36, v72
	v_and_b32_e32 v71, v71, v193
	v_xor_b32_e32 v73, vcc_lo, v73
	ds_read_b32 v191, v191 offset:544
	v_add_nc_u32_e32 v196, v150, v72
	v_and_b32_e32 v71, v71, v74
	; wave barrier
	v_and_b32_e32 v71, v71, v73
	v_mbcnt_lo_u32_b32 v193, v71, 0
	v_cmp_ne_u32_e64 s22, 0, v71
	v_cmp_eq_u32_e32 vcc_lo, 0, v193
	s_and_b32 s23, s22, vcc_lo
	s_and_saveexec_b32 s22, s23
	s_cbranch_execz .LBB810_740
; %bb.739:                              ;   in Loop: Header=BB810_686 Depth=2
	s_waitcnt lgkmcnt(0)
	v_bcnt_u32_b32 v71, v71, v191
	ds_write_b32 v196, v71 offset:544
.LBB810_740:                            ;   in Loop: Header=BB810_686 Depth=2
	s_or_b32 exec_lo, exec_lo, s22
	v_xor_b32_e32 v58, 0x80000000, v58
	; wave barrier
	v_lshrrev_b64 v[71:72], s46, v[57:58]
	v_and_b32_e32 v72, s52, v71
	v_and_b32_e32 v71, 1, v72
	v_lshlrev_b32_e32 v73, 30, v72
	v_lshlrev_b32_e32 v74, 29, v72
	v_lshlrev_b32_e32 v195, 28, v72
	v_lshlrev_b32_e32 v197, 27, v72
	v_add_co_u32 v71, s22, v71, -1
	v_cndmask_b32_e64 v194, 0, 1, s22
	v_not_b32_e32 v199, v73
	v_cmp_gt_i32_e64 s22, 0, v73
	v_not_b32_e32 v73, v74
	v_lshlrev_b32_e32 v198, 26, v72
	v_cmp_ne_u32_e32 vcc_lo, 0, v194
	v_ashrrev_i32_e32 v199, 31, v199
	v_lshlrev_b32_e32 v194, 25, v72
	v_ashrrev_i32_e32 v73, 31, v73
	v_xor_b32_e32 v71, vcc_lo, v71
	v_cmp_gt_i32_e32 vcc_lo, 0, v74
	v_not_b32_e32 v74, v195
	v_xor_b32_e32 v199, s22, v199
	v_cmp_gt_i32_e64 s22, 0, v195
	v_and_b32_e32 v71, exec_lo, v71
	v_not_b32_e32 v195, v197
	v_ashrrev_i32_e32 v74, 31, v74
	v_xor_b32_e32 v73, vcc_lo, v73
	v_cmp_gt_i32_e32 vcc_lo, 0, v197
	v_and_b32_e32 v71, v71, v199
	v_not_b32_e32 v197, v198
	v_ashrrev_i32_e32 v195, 31, v195
	v_xor_b32_e32 v74, s22, v74
	v_cmp_gt_i32_e64 s22, 0, v198
	v_and_b32_e32 v71, v71, v73
	v_not_b32_e32 v73, v194
	v_ashrrev_i32_e32 v197, 31, v197
	v_xor_b32_e32 v195, vcc_lo, v195
	v_cmp_gt_i32_e32 vcc_lo, 0, v194
	v_and_b32_e32 v71, v71, v74
	v_ashrrev_i32_e32 v73, 31, v73
	v_xor_b32_e32 v74, s22, v197
	v_mad_u32_u24 v194, v72, 36, v150
	v_mul_u32_u24_e32 v72, 36, v72
	v_and_b32_e32 v71, v71, v195
	v_xor_b32_e32 v73, vcc_lo, v73
	ds_read_b32 v194, v194 offset:544
	v_add_nc_u32_e32 v199, v150, v72
	v_and_b32_e32 v71, v71, v74
	; wave barrier
	v_and_b32_e32 v71, v71, v73
	v_mbcnt_lo_u32_b32 v195, v71, 0
	v_cmp_ne_u32_e64 s22, 0, v71
	v_cmp_eq_u32_e32 vcc_lo, 0, v195
	s_and_b32 s23, s22, vcc_lo
	s_and_saveexec_b32 s22, s23
	s_cbranch_execz .LBB810_742
; %bb.741:                              ;   in Loop: Header=BB810_686 Depth=2
	s_waitcnt lgkmcnt(0)
	v_bcnt_u32_b32 v71, v71, v194
	ds_write_b32 v199, v71 offset:544
.LBB810_742:                            ;   in Loop: Header=BB810_686 Depth=2
	s_or_b32 exec_lo, exec_lo, s22
	v_xor_b32_e32 v62, 0x80000000, v62
	; wave barrier
	v_lshrrev_b64 v[71:72], s46, v[61:62]
	v_and_b32_e32 v72, s52, v71
	v_and_b32_e32 v71, 1, v72
	v_lshlrev_b32_e32 v73, 30, v72
	v_lshlrev_b32_e32 v74, 29, v72
	v_lshlrev_b32_e32 v198, 28, v72
	v_lshlrev_b32_e32 v200, 27, v72
	v_add_co_u32 v71, s22, v71, -1
	v_cndmask_b32_e64 v197, 0, 1, s22
	v_not_b32_e32 v202, v73
	v_cmp_gt_i32_e64 s22, 0, v73
	v_not_b32_e32 v73, v74
	v_lshlrev_b32_e32 v201, 26, v72
	v_cmp_ne_u32_e32 vcc_lo, 0, v197
	v_ashrrev_i32_e32 v202, 31, v202
	v_lshlrev_b32_e32 v197, 25, v72
	v_ashrrev_i32_e32 v73, 31, v73
	v_xor_b32_e32 v71, vcc_lo, v71
	v_cmp_gt_i32_e32 vcc_lo, 0, v74
	v_not_b32_e32 v74, v198
	v_xor_b32_e32 v202, s22, v202
	v_cmp_gt_i32_e64 s22, 0, v198
	v_and_b32_e32 v71, exec_lo, v71
	v_not_b32_e32 v198, v200
	v_ashrrev_i32_e32 v74, 31, v74
	v_xor_b32_e32 v73, vcc_lo, v73
	v_cmp_gt_i32_e32 vcc_lo, 0, v200
	v_and_b32_e32 v71, v71, v202
	v_not_b32_e32 v200, v201
	v_ashrrev_i32_e32 v198, 31, v198
	v_xor_b32_e32 v74, s22, v74
	v_cmp_gt_i32_e64 s22, 0, v201
	v_and_b32_e32 v71, v71, v73
	v_not_b32_e32 v73, v197
	v_ashrrev_i32_e32 v200, 31, v200
	v_xor_b32_e32 v198, vcc_lo, v198
	v_cmp_gt_i32_e32 vcc_lo, 0, v197
	v_and_b32_e32 v71, v71, v74
	v_ashrrev_i32_e32 v73, 31, v73
	v_xor_b32_e32 v74, s22, v200
	v_mad_u32_u24 v197, v72, 36, v150
	v_mul_u32_u24_e32 v72, 36, v72
	v_and_b32_e32 v71, v71, v198
	v_xor_b32_e32 v73, vcc_lo, v73
	ds_read_b32 v197, v197 offset:544
	v_add_nc_u32_e32 v202, v150, v72
	v_and_b32_e32 v71, v71, v74
	; wave barrier
	v_and_b32_e32 v71, v71, v73
	v_mbcnt_lo_u32_b32 v198, v71, 0
	v_cmp_ne_u32_e64 s22, 0, v71
	v_cmp_eq_u32_e32 vcc_lo, 0, v198
	s_and_b32 s23, s22, vcc_lo
	s_and_saveexec_b32 s22, s23
	s_cbranch_execz .LBB810_744
; %bb.743:                              ;   in Loop: Header=BB810_686 Depth=2
	s_waitcnt lgkmcnt(0)
	v_bcnt_u32_b32 v71, v71, v197
	ds_write_b32 v202, v71 offset:544
.LBB810_744:                            ;   in Loop: Header=BB810_686 Depth=2
	s_or_b32 exec_lo, exec_lo, s22
	v_xor_b32_e32 v60, 0x80000000, v60
	; wave barrier
	v_lshrrev_b64 v[71:72], s46, v[59:60]
	v_and_b32_e32 v72, s52, v71
	v_and_b32_e32 v71, 1, v72
	v_lshlrev_b32_e32 v73, 30, v72
	v_lshlrev_b32_e32 v74, 29, v72
	v_lshlrev_b32_e32 v201, 28, v72
	v_lshlrev_b32_e32 v203, 27, v72
	v_add_co_u32 v71, s22, v71, -1
	v_cndmask_b32_e64 v200, 0, 1, s22
	v_not_b32_e32 v205, v73
	v_cmp_gt_i32_e64 s22, 0, v73
	v_not_b32_e32 v73, v74
	v_lshlrev_b32_e32 v204, 26, v72
	v_cmp_ne_u32_e32 vcc_lo, 0, v200
	v_ashrrev_i32_e32 v205, 31, v205
	v_lshlrev_b32_e32 v200, 25, v72
	v_ashrrev_i32_e32 v73, 31, v73
	v_xor_b32_e32 v71, vcc_lo, v71
	v_cmp_gt_i32_e32 vcc_lo, 0, v74
	v_not_b32_e32 v74, v201
	v_xor_b32_e32 v205, s22, v205
	v_cmp_gt_i32_e64 s22, 0, v201
	v_and_b32_e32 v71, exec_lo, v71
	v_not_b32_e32 v201, v203
	v_ashrrev_i32_e32 v74, 31, v74
	v_xor_b32_e32 v73, vcc_lo, v73
	v_cmp_gt_i32_e32 vcc_lo, 0, v203
	v_and_b32_e32 v71, v71, v205
	v_not_b32_e32 v203, v204
	v_ashrrev_i32_e32 v201, 31, v201
	v_xor_b32_e32 v74, s22, v74
	v_cmp_gt_i32_e64 s22, 0, v204
	v_and_b32_e32 v71, v71, v73
	v_not_b32_e32 v73, v200
	v_ashrrev_i32_e32 v203, 31, v203
	v_xor_b32_e32 v201, vcc_lo, v201
	v_cmp_gt_i32_e32 vcc_lo, 0, v200
	v_and_b32_e32 v71, v71, v74
	v_ashrrev_i32_e32 v73, 31, v73
	v_xor_b32_e32 v74, s22, v203
	v_mad_u32_u24 v200, v72, 36, v150
	v_mul_u32_u24_e32 v72, 36, v72
	v_and_b32_e32 v71, v71, v201
	v_xor_b32_e32 v73, vcc_lo, v73
	ds_read_b32 v200, v200 offset:544
	v_add_nc_u32_e32 v205, v150, v72
	v_and_b32_e32 v71, v71, v74
	; wave barrier
	v_and_b32_e32 v71, v71, v73
	v_mbcnt_lo_u32_b32 v201, v71, 0
	v_cmp_ne_u32_e64 s22, 0, v71
	v_cmp_eq_u32_e32 vcc_lo, 0, v201
	s_and_b32 s23, s22, vcc_lo
	s_and_saveexec_b32 s22, s23
	s_cbranch_execz .LBB810_746
; %bb.745:                              ;   in Loop: Header=BB810_686 Depth=2
	s_waitcnt lgkmcnt(0)
	v_bcnt_u32_b32 v71, v71, v200
	ds_write_b32 v205, v71 offset:544
.LBB810_746:                            ;   in Loop: Header=BB810_686 Depth=2
	s_or_b32 exec_lo, exec_lo, s22
	v_xor_b32_e32 v64, 0x80000000, v64
	; wave barrier
	v_lshrrev_b64 v[71:72], s46, v[63:64]
	v_and_b32_e32 v72, s52, v71
	v_and_b32_e32 v71, 1, v72
	v_lshlrev_b32_e32 v73, 30, v72
	v_lshlrev_b32_e32 v74, 29, v72
	v_lshlrev_b32_e32 v204, 28, v72
	v_lshlrev_b32_e32 v206, 27, v72
	v_add_co_u32 v71, s22, v71, -1
	v_cndmask_b32_e64 v203, 0, 1, s22
	v_not_b32_e32 v208, v73
	v_cmp_gt_i32_e64 s22, 0, v73
	v_not_b32_e32 v73, v74
	v_lshlrev_b32_e32 v207, 26, v72
	v_cmp_ne_u32_e32 vcc_lo, 0, v203
	v_ashrrev_i32_e32 v208, 31, v208
	v_lshlrev_b32_e32 v203, 25, v72
	v_ashrrev_i32_e32 v73, 31, v73
	v_xor_b32_e32 v71, vcc_lo, v71
	v_cmp_gt_i32_e32 vcc_lo, 0, v74
	v_not_b32_e32 v74, v204
	v_xor_b32_e32 v208, s22, v208
	v_cmp_gt_i32_e64 s22, 0, v204
	v_and_b32_e32 v71, exec_lo, v71
	v_not_b32_e32 v204, v206
	v_ashrrev_i32_e32 v74, 31, v74
	v_xor_b32_e32 v73, vcc_lo, v73
	v_cmp_gt_i32_e32 vcc_lo, 0, v206
	v_and_b32_e32 v71, v71, v208
	v_not_b32_e32 v206, v207
	v_ashrrev_i32_e32 v204, 31, v204
	v_xor_b32_e32 v74, s22, v74
	v_cmp_gt_i32_e64 s22, 0, v207
	v_and_b32_e32 v71, v71, v73
	v_not_b32_e32 v73, v203
	v_ashrrev_i32_e32 v206, 31, v206
	v_xor_b32_e32 v204, vcc_lo, v204
	v_cmp_gt_i32_e32 vcc_lo, 0, v203
	v_and_b32_e32 v71, v71, v74
	v_ashrrev_i32_e32 v73, 31, v73
	v_xor_b32_e32 v74, s22, v206
	v_mad_u32_u24 v203, v72, 36, v150
	v_mul_u32_u24_e32 v72, 36, v72
	v_and_b32_e32 v71, v71, v204
	v_xor_b32_e32 v73, vcc_lo, v73
	ds_read_b32 v203, v203 offset:544
	v_add_nc_u32_e32 v208, v150, v72
	v_and_b32_e32 v71, v71, v74
	; wave barrier
	v_and_b32_e32 v71, v71, v73
	v_mbcnt_lo_u32_b32 v204, v71, 0
	v_cmp_ne_u32_e64 s22, 0, v71
	v_cmp_eq_u32_e32 vcc_lo, 0, v204
	s_and_b32 s23, s22, vcc_lo
	s_and_saveexec_b32 s22, s23
	s_cbranch_execz .LBB810_748
; %bb.747:                              ;   in Loop: Header=BB810_686 Depth=2
	s_waitcnt lgkmcnt(0)
	v_bcnt_u32_b32 v71, v71, v203
	ds_write_b32 v208, v71 offset:544
.LBB810_748:                            ;   in Loop: Header=BB810_686 Depth=2
	s_or_b32 exec_lo, exec_lo, s22
	v_xor_b32_e32 v66, 0x80000000, v66
	; wave barrier
	v_lshrrev_b64 v[71:72], s46, v[65:66]
	v_and_b32_e32 v72, s52, v71
	v_and_b32_e32 v71, 1, v72
	v_lshlrev_b32_e32 v73, 30, v72
	v_lshlrev_b32_e32 v74, 29, v72
	v_lshlrev_b32_e32 v207, 28, v72
	v_lshlrev_b32_e32 v209, 27, v72
	v_add_co_u32 v71, s22, v71, -1
	v_cndmask_b32_e64 v206, 0, 1, s22
	v_not_b32_e32 v211, v73
	v_cmp_gt_i32_e64 s22, 0, v73
	v_not_b32_e32 v73, v74
	v_lshlrev_b32_e32 v210, 26, v72
	v_cmp_ne_u32_e32 vcc_lo, 0, v206
	v_ashrrev_i32_e32 v211, 31, v211
	v_lshlrev_b32_e32 v206, 25, v72
	v_ashrrev_i32_e32 v73, 31, v73
	v_xor_b32_e32 v71, vcc_lo, v71
	v_cmp_gt_i32_e32 vcc_lo, 0, v74
	v_not_b32_e32 v74, v207
	v_xor_b32_e32 v211, s22, v211
	v_cmp_gt_i32_e64 s22, 0, v207
	v_and_b32_e32 v71, exec_lo, v71
	v_not_b32_e32 v207, v209
	v_ashrrev_i32_e32 v74, 31, v74
	v_xor_b32_e32 v73, vcc_lo, v73
	v_cmp_gt_i32_e32 vcc_lo, 0, v209
	v_and_b32_e32 v71, v71, v211
	v_not_b32_e32 v209, v210
	v_ashrrev_i32_e32 v207, 31, v207
	v_xor_b32_e32 v74, s22, v74
	v_cmp_gt_i32_e64 s22, 0, v210
	v_and_b32_e32 v71, v71, v73
	v_not_b32_e32 v73, v206
	v_ashrrev_i32_e32 v209, 31, v209
	v_xor_b32_e32 v207, vcc_lo, v207
	v_cmp_gt_i32_e32 vcc_lo, 0, v206
	v_and_b32_e32 v71, v71, v74
	v_ashrrev_i32_e32 v73, 31, v73
	v_xor_b32_e32 v74, s22, v209
	v_mad_u32_u24 v206, v72, 36, v150
	v_mul_u32_u24_e32 v72, 36, v72
	v_and_b32_e32 v71, v71, v207
	v_xor_b32_e32 v73, vcc_lo, v73
	ds_read_b32 v206, v206 offset:544
	v_add_nc_u32_e32 v211, v150, v72
	v_and_b32_e32 v71, v71, v74
	; wave barrier
	v_and_b32_e32 v71, v71, v73
	v_mbcnt_lo_u32_b32 v207, v71, 0
	v_cmp_ne_u32_e64 s22, 0, v71
	v_cmp_eq_u32_e32 vcc_lo, 0, v207
	s_and_b32 s23, s22, vcc_lo
	s_and_saveexec_b32 s22, s23
	s_cbranch_execz .LBB810_750
; %bb.749:                              ;   in Loop: Header=BB810_686 Depth=2
	s_waitcnt lgkmcnt(0)
	v_bcnt_u32_b32 v71, v71, v206
	ds_write_b32 v211, v71 offset:544
.LBB810_750:                            ;   in Loop: Header=BB810_686 Depth=2
	s_or_b32 exec_lo, exec_lo, s22
	v_xor_b32_e32 v68, 0x80000000, v68
	; wave barrier
	v_lshrrev_b64 v[71:72], s46, v[67:68]
	v_and_b32_e32 v72, s52, v71
	v_and_b32_e32 v71, 1, v72
	v_lshlrev_b32_e32 v73, 30, v72
	v_lshlrev_b32_e32 v74, 29, v72
	v_lshlrev_b32_e32 v210, 28, v72
	v_lshlrev_b32_e32 v212, 27, v72
	v_add_co_u32 v71, s22, v71, -1
	v_cndmask_b32_e64 v209, 0, 1, s22
	v_not_b32_e32 v214, v73
	v_cmp_gt_i32_e64 s22, 0, v73
	v_not_b32_e32 v73, v74
	v_lshlrev_b32_e32 v213, 26, v72
	v_cmp_ne_u32_e32 vcc_lo, 0, v209
	v_ashrrev_i32_e32 v214, 31, v214
	v_lshlrev_b32_e32 v209, 25, v72
	v_ashrrev_i32_e32 v73, 31, v73
	v_xor_b32_e32 v71, vcc_lo, v71
	v_cmp_gt_i32_e32 vcc_lo, 0, v74
	v_not_b32_e32 v74, v210
	v_xor_b32_e32 v214, s22, v214
	v_cmp_gt_i32_e64 s22, 0, v210
	v_and_b32_e32 v71, exec_lo, v71
	v_not_b32_e32 v210, v212
	v_ashrrev_i32_e32 v74, 31, v74
	v_xor_b32_e32 v73, vcc_lo, v73
	v_cmp_gt_i32_e32 vcc_lo, 0, v212
	v_and_b32_e32 v71, v71, v214
	v_not_b32_e32 v212, v213
	v_ashrrev_i32_e32 v210, 31, v210
	v_xor_b32_e32 v74, s22, v74
	v_cmp_gt_i32_e64 s22, 0, v213
	v_and_b32_e32 v71, v71, v73
	v_not_b32_e32 v73, v209
	v_ashrrev_i32_e32 v212, 31, v212
	v_xor_b32_e32 v210, vcc_lo, v210
	v_cmp_gt_i32_e32 vcc_lo, 0, v209
	v_and_b32_e32 v71, v71, v74
	v_ashrrev_i32_e32 v73, 31, v73
	v_xor_b32_e32 v74, s22, v212
	v_mad_u32_u24 v209, v72, 36, v150
	v_mul_u32_u24_e32 v72, 36, v72
	v_and_b32_e32 v71, v71, v210
	v_xor_b32_e32 v73, vcc_lo, v73
	ds_read_b32 v209, v209 offset:544
	v_add_nc_u32_e32 v214, v150, v72
	v_and_b32_e32 v71, v71, v74
	; wave barrier
	v_and_b32_e32 v71, v71, v73
	v_mbcnt_lo_u32_b32 v210, v71, 0
	v_cmp_ne_u32_e64 s22, 0, v71
	v_cmp_eq_u32_e32 vcc_lo, 0, v210
	s_and_b32 s23, s22, vcc_lo
	s_and_saveexec_b32 s22, s23
	s_cbranch_execz .LBB810_752
; %bb.751:                              ;   in Loop: Header=BB810_686 Depth=2
	s_waitcnt lgkmcnt(0)
	v_bcnt_u32_b32 v71, v71, v209
	ds_write_b32 v214, v71 offset:544
.LBB810_752:                            ;   in Loop: Header=BB810_686 Depth=2
	s_or_b32 exec_lo, exec_lo, s22
	v_lshrrev_b64 v[71:72], s46, v[69:70]
	; wave barrier
	v_and_b32_e32 v72, s52, v71
	v_and_b32_e32 v71, 1, v72
	v_lshlrev_b32_e32 v73, 30, v72
	v_lshlrev_b32_e32 v74, 29, v72
	;; [unrolled: 1-line block ×4, first 2 shown]
	v_add_co_u32 v71, s22, v71, -1
	v_cndmask_b32_e64 v212, 0, 1, s22
	v_not_b32_e32 v217, v73
	v_cmp_gt_i32_e64 s22, 0, v73
	v_not_b32_e32 v73, v74
	v_lshlrev_b32_e32 v216, 26, v72
	v_cmp_ne_u32_e32 vcc_lo, 0, v212
	v_ashrrev_i32_e32 v217, 31, v217
	v_lshlrev_b32_e32 v212, 25, v72
	v_ashrrev_i32_e32 v73, 31, v73
	v_xor_b32_e32 v71, vcc_lo, v71
	v_cmp_gt_i32_e32 vcc_lo, 0, v74
	v_not_b32_e32 v74, v213
	v_xor_b32_e32 v217, s22, v217
	v_cmp_gt_i32_e64 s22, 0, v213
	v_and_b32_e32 v71, exec_lo, v71
	v_not_b32_e32 v213, v215
	v_ashrrev_i32_e32 v74, 31, v74
	v_xor_b32_e32 v73, vcc_lo, v73
	v_cmp_gt_i32_e32 vcc_lo, 0, v215
	v_and_b32_e32 v71, v71, v217
	v_not_b32_e32 v215, v216
	v_ashrrev_i32_e32 v213, 31, v213
	v_xor_b32_e32 v74, s22, v74
	v_cmp_gt_i32_e64 s22, 0, v216
	v_and_b32_e32 v71, v71, v73
	v_not_b32_e32 v73, v212
	v_ashrrev_i32_e32 v215, 31, v215
	v_xor_b32_e32 v213, vcc_lo, v213
	v_cmp_gt_i32_e32 vcc_lo, 0, v212
	v_and_b32_e32 v71, v71, v74
	v_ashrrev_i32_e32 v73, 31, v73
	v_xor_b32_e32 v74, s22, v215
	v_mad_u32_u24 v212, v72, 36, v150
	v_mul_u32_u24_e32 v72, 36, v72
	v_and_b32_e32 v71, v71, v213
	v_xor_b32_e32 v73, vcc_lo, v73
	ds_read_b32 v212, v212 offset:544
	v_add_nc_u32_e32 v215, v150, v72
	v_and_b32_e32 v71, v71, v74
	; wave barrier
	v_and_b32_e32 v71, v71, v73
	v_mbcnt_lo_u32_b32 v213, v71, 0
	v_cmp_ne_u32_e64 s22, 0, v71
	v_cmp_eq_u32_e32 vcc_lo, 0, v213
	s_and_b32 s23, s22, vcc_lo
	s_and_saveexec_b32 s22, s23
	s_cbranch_execz .LBB810_754
; %bb.753:                              ;   in Loop: Header=BB810_686 Depth=2
	s_waitcnt lgkmcnt(0)
	v_bcnt_u32_b32 v71, v71, v212
	ds_write_b32 v215, v71 offset:544
.LBB810_754:                            ;   in Loop: Header=BB810_686 Depth=2
	s_or_b32 exec_lo, exec_lo, s22
	; wave barrier
	s_waitcnt lgkmcnt(0)
	s_barrier
	buffer_gl0_inv
	ds_read2_b32 v[73:74], v100 offset0:136 offset1:137
	ds_read2_b32 v[71:72], v100 offset0:138 offset1:139
	ds_read_b32 v216, v100 offset:560
	s_waitcnt lgkmcnt(1)
	v_add3_u32 v217, v74, v73, v71
	s_waitcnt lgkmcnt(0)
	v_add3_u32 v216, v217, v72, v216
	v_mov_b32_dpp v217, v216 row_shr:1 row_mask:0xf bank_mask:0xf
	v_cndmask_b32_e64 v217, v217, 0, s5
	v_add_nc_u32_e32 v216, v217, v216
	v_mov_b32_dpp v217, v216 row_shr:2 row_mask:0xf bank_mask:0xf
	v_cndmask_b32_e64 v217, 0, v217, s14
	v_add_nc_u32_e32 v216, v216, v217
	;; [unrolled: 3-line block ×4, first 2 shown]
	ds_swizzle_b32 v217, v216 offset:swizzle(BROADCAST,32,15)
	s_waitcnt lgkmcnt(0)
	v_cndmask_b32_e64 v217, v217, 0, s17
	v_add_nc_u32_e32 v216, v216, v217
	s_and_saveexec_b32 s22, s4
; %bb.755:                              ;   in Loop: Header=BB810_686 Depth=2
	ds_write_b32 v94, v216 offset:512
; %bb.756:                              ;   in Loop: Header=BB810_686 Depth=2
	s_or_b32 exec_lo, exec_lo, s22
	s_waitcnt lgkmcnt(0)
	s_barrier
	buffer_gl0_inv
	s_and_saveexec_b32 s22, s11
	s_cbranch_execz .LBB810_758
; %bb.757:                              ;   in Loop: Header=BB810_686 Depth=2
	ds_read_b32 v217, v101 offset:512
	s_waitcnt lgkmcnt(0)
	v_mov_b32_dpp v218, v217 row_shr:1 row_mask:0xf bank_mask:0xf
	v_cndmask_b32_e64 v218, v218, 0, s19
	v_add_nc_u32_e32 v217, v218, v217
	v_mov_b32_dpp v218, v217 row_shr:2 row_mask:0xf bank_mask:0xf
	v_cndmask_b32_e64 v218, 0, v218, s20
	v_add_nc_u32_e32 v217, v217, v218
	;; [unrolled: 3-line block ×3, first 2 shown]
	ds_write_b32 v101, v217 offset:512
.LBB810_758:                            ;   in Loop: Header=BB810_686 Depth=2
	s_or_b32 exec_lo, exec_lo, s22
	v_mov_b32_e32 v217, 0
	s_waitcnt lgkmcnt(0)
	s_barrier
	buffer_gl0_inv
	s_and_saveexec_b32 s22, s10
; %bb.759:                              ;   in Loop: Header=BB810_686 Depth=2
	ds_read_b32 v217, v94 offset:508
; %bb.760:                              ;   in Loop: Header=BB810_686 Depth=2
	s_or_b32 exec_lo, exec_lo, s22
	s_waitcnt lgkmcnt(0)
	v_add_nc_u32_e32 v216, v217, v216
	ds_bpermute_b32 v216, v129, v216
	s_waitcnt lgkmcnt(0)
	v_cndmask_b32_e64 v216, v216, v217, s18
	v_cndmask_b32_e64 v216, v216, 0, s12
	v_add_nc_u32_e32 v73, v216, v73
	v_add_nc_u32_e32 v74, v73, v74
	;; [unrolled: 1-line block ×4, first 2 shown]
	ds_write2_b32 v100, v216, v73 offset0:136 offset1:137
	ds_write2_b32 v100, v74, v71 offset0:138 offset1:139
	ds_write_b32 v100, v72 offset:560
	s_waitcnt lgkmcnt(0)
	s_barrier
	buffer_gl0_inv
	ds_read_b32 v71, v170 offset:544
	ds_read_b32 v219, v173 offset:544
	ds_read_b32 v72, v176 offset:544
	ds_read_b32 v218, v179 offset:544
	ds_read_b32 v74, v182 offset:544
	ds_read_b32 v73, v185 offset:544
	ds_read_b32 v217, v188 offset:544
	ds_read_b32 v216, v192 offset:544
	ds_read_b32 v192, v196 offset:544
	ds_read_b32 v188, v199 offset:544
	ds_read_b32 v185, v202 offset:544
	ds_read_b32 v182, v205 offset:544
	ds_read_b32 v179, v208 offset:544
	ds_read_b32 v176, v211 offset:544
	ds_read_b32 v173, v214 offset:544
	ds_read_b32 v170, v215 offset:544
	s_and_saveexec_b32 s22, s7
	s_cbranch_execz .LBB810_764
; %bb.761:                              ;   in Loop: Header=BB810_686 Depth=2
	ds_read_b32 v165, v103 offset:544
	v_mov_b32_e32 v168, 0x1000
	s_and_saveexec_b32 s23, s13
; %bb.762:                              ;   in Loop: Header=BB810_686 Depth=2
	ds_read_b32 v168, v102 offset:544
; %bb.763:                              ;   in Loop: Header=BB810_686 Depth=2
	s_or_b32 exec_lo, exec_lo, s23
	s_waitcnt lgkmcnt(0)
	v_sub_nc_u32_e32 v168, v168, v165
.LBB810_764:                            ;   in Loop: Header=BB810_686 Depth=2
	s_or_b32 exec_lo, exec_lo, s22
	s_waitcnt lgkmcnt(0)
	s_barrier
	buffer_gl0_inv
	s_and_saveexec_b32 s22, s7
	s_cbranch_execz .LBB810_766
; %bb.765:                              ;   in Loop: Header=BB810_686 Depth=2
	ds_read_b32 v196, v75
	s_waitcnt lgkmcnt(0)
	v_sub_nc_u32_e32 v196, v196, v165
	ds_write_b32 v75, v196
.LBB810_766:                            ;   in Loop: Header=BB810_686 Depth=2
	s_or_b32 exec_lo, exec_lo, s22
	v_lshlrev_b32_e32 v3, 3, v3
	v_lshlrev_b32_e32 v172, 3, v172
	v_lshlrev_b32_e32 v171, 3, v171
	v_lshlrev_b32_e32 v196, 3, v219
	v_lshlrev_b32_e32 v175, 3, v175
	v_lshl_add_u32 v71, v71, 3, v3
	v_lshlrev_b32_e32 v3, 3, v174
	v_lshlrev_b32_e32 v174, 3, v72
	v_add3_u32 v72, v172, v171, v196
	v_lshlrev_b32_e32 v178, 3, v178
	ds_write_b64 v71, v[41:42] offset:512
	v_lshlrev_b32_e32 v42, 3, v177
	v_lshlrev_b32_e32 v171, 3, v218
	v_lshlrev_b32_e32 v172, 3, v181
	v_lshlrev_b32_e32 v177, 3, v180
	v_lshlrev_b32_e32 v74, 3, v74
	v_lshlrev_b32_e32 v180, 3, v184
	v_lshlrev_b32_e32 v181, 3, v183
	v_lshlrev_b32_e32 v183, 3, v73
	ds_write_b64 v72, v[39:40] offset:512
	v_add3_u32 v41, v175, v3, v174
	v_lshlrev_b32_e32 v3, 3, v187
	v_lshlrev_b32_e32 v39, 3, v186
	;; [unrolled: 1-line block ×3, first 2 shown]
	v_add3_u32 v42, v178, v42, v171
	v_add3_u32 v73, v172, v177, v74
	;; [unrolled: 1-line block ×3, first 2 shown]
	ds_write_b64 v41, v[43:44] offset:512
	ds_write_b64 v42, v[45:46] offset:512
	;; [unrolled: 1-line block ×4, first 2 shown]
	v_add3_u32 v43, v3, v39, v40
	v_lshlrev_b32_e32 v3, 3, v190
	v_lshlrev_b32_e32 v39, 3, v189
	;; [unrolled: 1-line block ×12, first 2 shown]
	v_add3_u32 v44, v3, v39, v40
	v_lshlrev_b32_e32 v3, 3, v201
	v_lshlrev_b32_e32 v39, 3, v200
	v_lshlrev_b32_e32 v40, 3, v182
	v_add3_u32 v45, v45, v46, v47
	v_add3_u32 v46, v48, v51, v52
	;; [unrolled: 1-line block ×3, first 2 shown]
	ds_write_b64 v43, v[49:50] offset:512
	ds_write_b64 v44, v[53:54] offset:512
	;; [unrolled: 1-line block ×5, first 2 shown]
	v_add3_u32 v48, v3, v39, v40
	v_lshlrev_b32_e32 v3, 3, v204
	v_lshlrev_b32_e32 v39, 3, v203
	;; [unrolled: 1-line block ×12, first 2 shown]
	v_add3_u32 v49, v3, v39, v40
	v_add3_u32 v50, v50, v51, v52
	v_add3_u32 v51, v53, v54, v55
	v_cmp_lt_u32_e32 vcc_lo, v0, v169
	v_add3_u32 v52, v56, v57, v58
	ds_write_b64 v48, v[59:60] offset:512
	ds_write_b64 v49, v[63:64] offset:512
	;; [unrolled: 1-line block ×5, first 2 shown]
	s_waitcnt lgkmcnt(0)
	s_barrier
	buffer_gl0_inv
	s_and_saveexec_b32 s23, vcc_lo
	s_cbranch_execnz .LBB810_835
; %bb.767:                              ;   in Loop: Header=BB810_686 Depth=2
	s_or_b32 exec_lo, exec_lo, s23
	v_cmp_lt_u32_e64 s22, v76, v169
	s_and_saveexec_b32 s24, s22
	s_cbranch_execnz .LBB810_836
.LBB810_768:                            ;   in Loop: Header=BB810_686 Depth=2
	s_or_b32 exec_lo, exec_lo, s24
	v_cmp_lt_u32_e64 s23, v79, v169
	s_and_saveexec_b32 s25, s23
	s_cbranch_execnz .LBB810_837
.LBB810_769:                            ;   in Loop: Header=BB810_686 Depth=2
	s_or_b32 exec_lo, exec_lo, s25
	v_cmp_lt_u32_e64 s24, v80, v169
	s_and_saveexec_b32 s26, s24
	s_cbranch_execnz .LBB810_838
.LBB810_770:                            ;   in Loop: Header=BB810_686 Depth=2
	s_or_b32 exec_lo, exec_lo, s26
	v_cmp_lt_u32_e64 s25, v81, v169
	s_and_saveexec_b32 s28, s25
	s_cbranch_execnz .LBB810_839
.LBB810_771:                            ;   in Loop: Header=BB810_686 Depth=2
	s_or_b32 exec_lo, exec_lo, s28
	v_cmp_lt_u32_e64 s26, v82, v169
	s_and_saveexec_b32 s29, s26
	s_cbranch_execnz .LBB810_840
.LBB810_772:                            ;   in Loop: Header=BB810_686 Depth=2
	s_or_b32 exec_lo, exec_lo, s29
	v_cmp_lt_u32_e64 s28, v83, v169
	s_and_saveexec_b32 s30, s28
	s_cbranch_execnz .LBB810_841
.LBB810_773:                            ;   in Loop: Header=BB810_686 Depth=2
	s_or_b32 exec_lo, exec_lo, s30
	v_cmp_lt_u32_e64 s29, v84, v169
	s_and_saveexec_b32 s31, s29
	s_cbranch_execnz .LBB810_842
.LBB810_774:                            ;   in Loop: Header=BB810_686 Depth=2
	s_or_b32 exec_lo, exec_lo, s31
	v_cmp_lt_u32_e64 s30, v85, v169
	s_and_saveexec_b32 s33, s30
	s_cbranch_execnz .LBB810_843
.LBB810_775:                            ;   in Loop: Header=BB810_686 Depth=2
	s_or_b32 exec_lo, exec_lo, s33
	v_cmp_lt_u32_e64 s31, v86, v169
	s_and_saveexec_b32 s34, s31
	s_cbranch_execnz .LBB810_844
.LBB810_776:                            ;   in Loop: Header=BB810_686 Depth=2
	s_or_b32 exec_lo, exec_lo, s34
	v_cmp_lt_u32_e64 s33, v87, v169
	s_and_saveexec_b32 s35, s33
	s_cbranch_execnz .LBB810_845
.LBB810_777:                            ;   in Loop: Header=BB810_686 Depth=2
	s_or_b32 exec_lo, exec_lo, s35
	v_cmp_lt_u32_e64 s34, v88, v169
	s_and_saveexec_b32 s36, s34
	s_cbranch_execnz .LBB810_846
.LBB810_778:                            ;   in Loop: Header=BB810_686 Depth=2
	s_or_b32 exec_lo, exec_lo, s36
	v_cmp_lt_u32_e64 s35, v89, v169
	s_and_saveexec_b32 s37, s35
	s_cbranch_execnz .LBB810_847
.LBB810_779:                            ;   in Loop: Header=BB810_686 Depth=2
	s_or_b32 exec_lo, exec_lo, s37
	v_cmp_lt_u32_e64 s36, v90, v169
	s_and_saveexec_b32 s38, s36
	s_cbranch_execnz .LBB810_848
.LBB810_780:                            ;   in Loop: Header=BB810_686 Depth=2
	s_or_b32 exec_lo, exec_lo, s38
	v_cmp_lt_u32_e64 s37, v91, v169
	s_and_saveexec_b32 s39, s37
	s_cbranch_execnz .LBB810_849
.LBB810_781:                            ;   in Loop: Header=BB810_686 Depth=2
	s_or_b32 exec_lo, exec_lo, s39
	v_cmp_lt_u32_e64 s38, v92, v169
	s_and_saveexec_b32 s65, s38
	s_cbranch_execz .LBB810_783
.LBB810_782:                            ;   in Loop: Header=BB810_686 Depth=2
	ds_read_b64 v[39:40], v108 offset:31232
	s_waitcnt lgkmcnt(0)
	v_lshrrev_b64 v[53:54], s46, v[39:40]
	v_xor_b32_e32 v40, 0x80000000, v40
	v_and_b32_e32 v3, s52, v53
	v_lshlrev_b32_e32 v3, 2, v3
	ds_read_b32 v3, v3
	s_waitcnt lgkmcnt(0)
	v_add_nc_u32_e32 v3, v3, v92
	v_lshlrev_b64 v[53:54], 3, v[3:4]
	v_add_co_u32 v53, s39, s42, v53
	v_add_co_ci_u32_e64 v54, null, s43, v54, s39
	global_store_dwordx2 v[53:54], v[39:40], off
.LBB810_783:                            ;   in Loop: Header=BB810_686 Depth=2
	s_or_b32 exec_lo, exec_lo, s65
	s_lshl_b64 s[66:67], s[56:57], 3
	v_add_co_u32 v39, s39, v131, s66
	v_add_co_ci_u32_e64 v40, null, s67, v132, s39
	v_cmp_lt_u32_e64 s39, v130, v169
	s_and_saveexec_b32 s56, s39
	s_xor_b32 s39, exec_lo, s56
	s_cbranch_execnz .LBB810_850
; %bb.784:                              ;   in Loop: Header=BB810_686 Depth=2
	s_or_b32 exec_lo, exec_lo, s39
	s_mov_b32 s56, exec_lo
	v_cmpx_lt_u32_e64 v133, v169
	s_cbranch_execnz .LBB810_851
.LBB810_785:                            ;   in Loop: Header=BB810_686 Depth=2
	s_or_b32 exec_lo, exec_lo, s56
	s_mov_b32 s56, exec_lo
	v_cmpx_lt_u32_e64 v134, v169
	s_cbranch_execnz .LBB810_852
.LBB810_786:                            ;   in Loop: Header=BB810_686 Depth=2
	s_or_b32 exec_lo, exec_lo, s56
	s_mov_b32 s56, exec_lo
	v_cmpx_lt_u32_e64 v135, v169
	s_cbranch_execnz .LBB810_853
.LBB810_787:                            ;   in Loop: Header=BB810_686 Depth=2
	s_or_b32 exec_lo, exec_lo, s56
	s_mov_b32 s56, exec_lo
	v_cmpx_lt_u32_e64 v136, v169
	s_cbranch_execnz .LBB810_854
.LBB810_788:                            ;   in Loop: Header=BB810_686 Depth=2
	s_or_b32 exec_lo, exec_lo, s56
	s_mov_b32 s56, exec_lo
	v_cmpx_lt_u32_e64 v137, v169
	s_cbranch_execnz .LBB810_855
.LBB810_789:                            ;   in Loop: Header=BB810_686 Depth=2
	s_or_b32 exec_lo, exec_lo, s56
	s_mov_b32 s56, exec_lo
	v_cmpx_lt_u32_e64 v138, v169
	s_cbranch_execnz .LBB810_856
.LBB810_790:                            ;   in Loop: Header=BB810_686 Depth=2
	s_or_b32 exec_lo, exec_lo, s56
	s_mov_b32 s56, exec_lo
	v_cmpx_lt_u32_e64 v139, v169
	s_cbranch_execnz .LBB810_857
.LBB810_791:                            ;   in Loop: Header=BB810_686 Depth=2
	s_or_b32 exec_lo, exec_lo, s56
	s_mov_b32 s56, exec_lo
	v_cmpx_lt_u32_e64 v140, v169
	s_cbranch_execnz .LBB810_858
.LBB810_792:                            ;   in Loop: Header=BB810_686 Depth=2
	s_or_b32 exec_lo, exec_lo, s56
	s_mov_b32 s56, exec_lo
	v_cmpx_lt_u32_e64 v141, v169
	s_cbranch_execnz .LBB810_859
.LBB810_793:                            ;   in Loop: Header=BB810_686 Depth=2
	s_or_b32 exec_lo, exec_lo, s56
	s_mov_b32 s56, exec_lo
	v_cmpx_lt_u32_e64 v142, v169
	s_cbranch_execnz .LBB810_860
.LBB810_794:                            ;   in Loop: Header=BB810_686 Depth=2
	s_or_b32 exec_lo, exec_lo, s56
	s_mov_b32 s56, exec_lo
	v_cmpx_lt_u32_e64 v143, v169
	s_cbranch_execnz .LBB810_861
.LBB810_795:                            ;   in Loop: Header=BB810_686 Depth=2
	s_or_b32 exec_lo, exec_lo, s56
	s_mov_b32 s56, exec_lo
	v_cmpx_lt_u32_e64 v144, v169
	s_cbranch_execnz .LBB810_862
.LBB810_796:                            ;   in Loop: Header=BB810_686 Depth=2
	s_or_b32 exec_lo, exec_lo, s56
	s_mov_b32 s56, exec_lo
	v_cmpx_lt_u32_e64 v145, v169
	s_cbranch_execnz .LBB810_863
.LBB810_797:                            ;   in Loop: Header=BB810_686 Depth=2
	s_or_b32 exec_lo, exec_lo, s56
	s_mov_b32 s56, exec_lo
	v_cmpx_lt_u32_e64 v146, v169
	s_cbranch_execnz .LBB810_864
.LBB810_798:                            ;   in Loop: Header=BB810_686 Depth=2
	s_or_b32 exec_lo, exec_lo, s56
	s_mov_b32 s56, exec_lo
	v_cmpx_lt_u32_e64 v147, v169
	s_cbranch_execnz .LBB810_865
.LBB810_799:                            ;   in Loop: Header=BB810_686 Depth=2
	s_or_b32 exec_lo, exec_lo, s56
	s_and_saveexec_b32 s39, vcc_lo
	s_cbranch_execnz .LBB810_866
.LBB810_800:                            ;   in Loop: Header=BB810_686 Depth=2
	s_or_b32 exec_lo, exec_lo, s39
	s_and_saveexec_b32 s39, s22
	s_cbranch_execnz .LBB810_867
.LBB810_801:                            ;   in Loop: Header=BB810_686 Depth=2
	s_or_b32 exec_lo, exec_lo, s39
	s_and_saveexec_b32 s39, s23
	s_cbranch_execnz .LBB810_868
.LBB810_802:                            ;   in Loop: Header=BB810_686 Depth=2
	s_or_b32 exec_lo, exec_lo, s39
	s_and_saveexec_b32 s39, s24
	s_cbranch_execnz .LBB810_869
.LBB810_803:                            ;   in Loop: Header=BB810_686 Depth=2
	s_or_b32 exec_lo, exec_lo, s39
	s_and_saveexec_b32 s39, s25
	s_cbranch_execnz .LBB810_870
.LBB810_804:                            ;   in Loop: Header=BB810_686 Depth=2
	s_or_b32 exec_lo, exec_lo, s39
	s_and_saveexec_b32 s39, s26
	s_cbranch_execnz .LBB810_871
.LBB810_805:                            ;   in Loop: Header=BB810_686 Depth=2
	s_or_b32 exec_lo, exec_lo, s39
	s_and_saveexec_b32 s39, s28
	s_cbranch_execnz .LBB810_872
.LBB810_806:                            ;   in Loop: Header=BB810_686 Depth=2
	s_or_b32 exec_lo, exec_lo, s39
	s_and_saveexec_b32 s39, s29
	s_cbranch_execnz .LBB810_873
.LBB810_807:                            ;   in Loop: Header=BB810_686 Depth=2
	s_or_b32 exec_lo, exec_lo, s39
	s_and_saveexec_b32 s39, s30
	s_cbranch_execnz .LBB810_874
.LBB810_808:                            ;   in Loop: Header=BB810_686 Depth=2
	s_or_b32 exec_lo, exec_lo, s39
	s_and_saveexec_b32 s39, s31
	s_cbranch_execnz .LBB810_875
.LBB810_809:                            ;   in Loop: Header=BB810_686 Depth=2
	s_or_b32 exec_lo, exec_lo, s39
	s_and_saveexec_b32 s39, s33
	s_cbranch_execnz .LBB810_876
.LBB810_810:                            ;   in Loop: Header=BB810_686 Depth=2
	s_or_b32 exec_lo, exec_lo, s39
	s_and_saveexec_b32 s39, s34
	s_cbranch_execnz .LBB810_877
.LBB810_811:                            ;   in Loop: Header=BB810_686 Depth=2
	s_or_b32 exec_lo, exec_lo, s39
	s_and_saveexec_b32 s39, s35
	s_cbranch_execnz .LBB810_878
.LBB810_812:                            ;   in Loop: Header=BB810_686 Depth=2
	s_or_b32 exec_lo, exec_lo, s39
	s_and_saveexec_b32 s39, s36
	s_cbranch_execnz .LBB810_879
.LBB810_813:                            ;   in Loop: Header=BB810_686 Depth=2
	s_or_b32 exec_lo, exec_lo, s39
	s_and_saveexec_b32 s39, s37
	s_cbranch_execnz .LBB810_880
.LBB810_814:                            ;   in Loop: Header=BB810_686 Depth=2
	s_or_b32 exec_lo, exec_lo, s39
	s_and_saveexec_b32 s39, s38
	s_cbranch_execz .LBB810_816
.LBB810_815:                            ;   in Loop: Header=BB810_686 Depth=2
	ds_read_b64 v[39:40], v108 offset:31232
	s_waitcnt lgkmcnt(0)
	v_lshrrev_b64 v[39:40], s46, v[39:40]
	v_and_b32_e32 v151, s52, v39
.LBB810_816:                            ;   in Loop: Header=BB810_686 Depth=2
	s_or_b32 exec_lo, exec_lo, s39
	s_waitcnt vmcnt(0)
	s_waitcnt_vscnt null, 0x0
	s_barrier
	buffer_gl0_inv
	ds_write_b64 v71, v[37:38] offset:512
	ds_write_b64 v72, v[35:36] offset:512
	;; [unrolled: 1-line block ×16, first 2 shown]
	s_waitcnt lgkmcnt(0)
	s_barrier
	buffer_gl0_inv
	s_and_saveexec_b32 s39, vcc_lo
	s_cbranch_execnz .LBB810_881
; %bb.817:                              ;   in Loop: Header=BB810_686 Depth=2
	s_or_b32 exec_lo, exec_lo, s39
	s_and_saveexec_b32 s39, s22
	s_cbranch_execnz .LBB810_882
.LBB810_818:                            ;   in Loop: Header=BB810_686 Depth=2
	s_or_b32 exec_lo, exec_lo, s39
	s_and_saveexec_b32 s22, s23
	s_cbranch_execnz .LBB810_883
.LBB810_819:                            ;   in Loop: Header=BB810_686 Depth=2
	s_or_b32 exec_lo, exec_lo, s22
	s_and_saveexec_b32 s22, s24
	s_cbranch_execnz .LBB810_884
.LBB810_820:                            ;   in Loop: Header=BB810_686 Depth=2
	s_or_b32 exec_lo, exec_lo, s22
	s_and_saveexec_b32 s22, s25
	s_cbranch_execnz .LBB810_885
.LBB810_821:                            ;   in Loop: Header=BB810_686 Depth=2
	s_or_b32 exec_lo, exec_lo, s22
	s_and_saveexec_b32 s22, s26
	s_cbranch_execnz .LBB810_886
.LBB810_822:                            ;   in Loop: Header=BB810_686 Depth=2
	s_or_b32 exec_lo, exec_lo, s22
	s_and_saveexec_b32 s22, s28
	s_cbranch_execnz .LBB810_887
.LBB810_823:                            ;   in Loop: Header=BB810_686 Depth=2
	s_or_b32 exec_lo, exec_lo, s22
	s_and_saveexec_b32 s22, s29
	s_cbranch_execnz .LBB810_888
.LBB810_824:                            ;   in Loop: Header=BB810_686 Depth=2
	s_or_b32 exec_lo, exec_lo, s22
	s_and_saveexec_b32 s22, s30
	s_cbranch_execnz .LBB810_889
.LBB810_825:                            ;   in Loop: Header=BB810_686 Depth=2
	s_or_b32 exec_lo, exec_lo, s22
	s_and_saveexec_b32 s22, s31
	s_cbranch_execnz .LBB810_890
.LBB810_826:                            ;   in Loop: Header=BB810_686 Depth=2
	s_or_b32 exec_lo, exec_lo, s22
	s_and_saveexec_b32 s22, s33
	s_cbranch_execnz .LBB810_891
.LBB810_827:                            ;   in Loop: Header=BB810_686 Depth=2
	s_or_b32 exec_lo, exec_lo, s22
	s_and_saveexec_b32 s22, s34
	s_cbranch_execnz .LBB810_892
.LBB810_828:                            ;   in Loop: Header=BB810_686 Depth=2
	s_or_b32 exec_lo, exec_lo, s22
	s_and_saveexec_b32 s22, s35
	s_cbranch_execnz .LBB810_893
.LBB810_829:                            ;   in Loop: Header=BB810_686 Depth=2
	s_or_b32 exec_lo, exec_lo, s22
	s_and_saveexec_b32 s22, s36
	s_cbranch_execnz .LBB810_894
.LBB810_830:                            ;   in Loop: Header=BB810_686 Depth=2
	s_or_b32 exec_lo, exec_lo, s22
	s_and_saveexec_b32 s22, s37
	s_cbranch_execnz .LBB810_895
.LBB810_831:                            ;   in Loop: Header=BB810_686 Depth=2
	s_or_b32 exec_lo, exec_lo, s22
	s_and_saveexec_b32 s22, s38
	s_cbranch_execz .LBB810_833
.LBB810_832:                            ;   in Loop: Header=BB810_686 Depth=2
	v_lshlrev_b32_e32 v3, 2, v151
	ds_read_b32 v3, v3
	ds_read_b64 v[39:40], v108 offset:31232
	s_waitcnt lgkmcnt(1)
	v_add_nc_u32_e32 v3, v3, v92
	v_lshlrev_b64 v[41:42], 3, v[3:4]
	v_add_co_u32 v41, vcc_lo, s48, v41
	v_add_co_ci_u32_e64 v42, null, s49, v42, vcc_lo
	s_waitcnt lgkmcnt(0)
	global_store_dwordx2 v[41:42], v[39:40], off
.LBB810_833:                            ;   in Loop: Header=BB810_686 Depth=2
	s_or_b32 exec_lo, exec_lo, s22
	s_waitcnt_vscnt null, 0x0
	s_barrier
	buffer_gl0_inv
	s_and_saveexec_b32 s22, s7
	s_cbranch_execz .LBB810_685
; %bb.834:                              ;   in Loop: Header=BB810_686 Depth=2
	ds_read_b32 v3, v75
	s_waitcnt lgkmcnt(0)
	v_add3_u32 v3, v165, v168, v3
	ds_write_b32 v75, v3
	s_branch .LBB810_685
.LBB810_835:                            ;   in Loop: Header=BB810_686 Depth=2
	ds_read_b64 v[39:40], v108 offset:512
	s_waitcnt lgkmcnt(0)
	v_lshrrev_b64 v[53:54], s46, v[39:40]
	v_xor_b32_e32 v40, 0x80000000, v40
	v_and_b32_e32 v3, s52, v53
	v_lshlrev_b32_e32 v3, 2, v3
	ds_read_b32 v3, v3
	s_waitcnt lgkmcnt(0)
	v_add_nc_u32_e32 v3, v3, v0
	v_lshlrev_b64 v[53:54], 3, v[3:4]
	v_add_co_u32 v53, s22, s42, v53
	v_add_co_ci_u32_e64 v54, null, s43, v54, s22
	global_store_dwordx2 v[53:54], v[39:40], off
	s_or_b32 exec_lo, exec_lo, s23
	v_cmp_lt_u32_e64 s22, v76, v169
	s_and_saveexec_b32 s24, s22
	s_cbranch_execz .LBB810_768
.LBB810_836:                            ;   in Loop: Header=BB810_686 Depth=2
	ds_read_b64 v[39:40], v108 offset:2560
	s_waitcnt lgkmcnt(0)
	v_lshrrev_b64 v[53:54], s46, v[39:40]
	v_xor_b32_e32 v40, 0x80000000, v40
	v_and_b32_e32 v3, s52, v53
	v_lshlrev_b32_e32 v3, 2, v3
	ds_read_b32 v3, v3
	s_waitcnt lgkmcnt(0)
	v_add_nc_u32_e32 v3, v3, v76
	v_lshlrev_b64 v[53:54], 3, v[3:4]
	v_add_co_u32 v53, s23, s42, v53
	v_add_co_ci_u32_e64 v54, null, s43, v54, s23
	global_store_dwordx2 v[53:54], v[39:40], off
	s_or_b32 exec_lo, exec_lo, s24
	v_cmp_lt_u32_e64 s23, v79, v169
	s_and_saveexec_b32 s25, s23
	s_cbranch_execz .LBB810_769
.LBB810_837:                            ;   in Loop: Header=BB810_686 Depth=2
	ds_read_b64 v[39:40], v108 offset:4608
	s_waitcnt lgkmcnt(0)
	v_lshrrev_b64 v[53:54], s46, v[39:40]
	v_xor_b32_e32 v40, 0x80000000, v40
	v_and_b32_e32 v3, s52, v53
	v_lshlrev_b32_e32 v3, 2, v3
	ds_read_b32 v3, v3
	s_waitcnt lgkmcnt(0)
	v_add_nc_u32_e32 v3, v3, v79
	v_lshlrev_b64 v[53:54], 3, v[3:4]
	v_add_co_u32 v53, s24, s42, v53
	v_add_co_ci_u32_e64 v54, null, s43, v54, s24
	global_store_dwordx2 v[53:54], v[39:40], off
	s_or_b32 exec_lo, exec_lo, s25
	v_cmp_lt_u32_e64 s24, v80, v169
	s_and_saveexec_b32 s26, s24
	s_cbranch_execz .LBB810_770
.LBB810_838:                            ;   in Loop: Header=BB810_686 Depth=2
	ds_read_b64 v[39:40], v108 offset:6656
	s_waitcnt lgkmcnt(0)
	v_lshrrev_b64 v[53:54], s46, v[39:40]
	v_xor_b32_e32 v40, 0x80000000, v40
	v_and_b32_e32 v3, s52, v53
	v_lshlrev_b32_e32 v3, 2, v3
	ds_read_b32 v3, v3
	s_waitcnt lgkmcnt(0)
	v_add_nc_u32_e32 v3, v3, v80
	v_lshlrev_b64 v[53:54], 3, v[3:4]
	v_add_co_u32 v53, s25, s42, v53
	v_add_co_ci_u32_e64 v54, null, s43, v54, s25
	global_store_dwordx2 v[53:54], v[39:40], off
	s_or_b32 exec_lo, exec_lo, s26
	v_cmp_lt_u32_e64 s25, v81, v169
	s_and_saveexec_b32 s28, s25
	s_cbranch_execz .LBB810_771
.LBB810_839:                            ;   in Loop: Header=BB810_686 Depth=2
	ds_read_b64 v[39:40], v108 offset:8704
	s_waitcnt lgkmcnt(0)
	v_lshrrev_b64 v[53:54], s46, v[39:40]
	v_xor_b32_e32 v40, 0x80000000, v40
	v_and_b32_e32 v3, s52, v53
	v_lshlrev_b32_e32 v3, 2, v3
	ds_read_b32 v3, v3
	s_waitcnt lgkmcnt(0)
	v_add_nc_u32_e32 v3, v3, v81
	v_lshlrev_b64 v[53:54], 3, v[3:4]
	v_add_co_u32 v53, s26, s42, v53
	v_add_co_ci_u32_e64 v54, null, s43, v54, s26
	global_store_dwordx2 v[53:54], v[39:40], off
	s_or_b32 exec_lo, exec_lo, s28
	v_cmp_lt_u32_e64 s26, v82, v169
	s_and_saveexec_b32 s29, s26
	s_cbranch_execz .LBB810_772
.LBB810_840:                            ;   in Loop: Header=BB810_686 Depth=2
	ds_read_b64 v[39:40], v108 offset:10752
	s_waitcnt lgkmcnt(0)
	v_lshrrev_b64 v[53:54], s46, v[39:40]
	v_xor_b32_e32 v40, 0x80000000, v40
	v_and_b32_e32 v3, s52, v53
	v_lshlrev_b32_e32 v3, 2, v3
	ds_read_b32 v3, v3
	s_waitcnt lgkmcnt(0)
	v_add_nc_u32_e32 v3, v3, v82
	v_lshlrev_b64 v[53:54], 3, v[3:4]
	v_add_co_u32 v53, s28, s42, v53
	v_add_co_ci_u32_e64 v54, null, s43, v54, s28
	global_store_dwordx2 v[53:54], v[39:40], off
	s_or_b32 exec_lo, exec_lo, s29
	v_cmp_lt_u32_e64 s28, v83, v169
	s_and_saveexec_b32 s30, s28
	s_cbranch_execz .LBB810_773
.LBB810_841:                            ;   in Loop: Header=BB810_686 Depth=2
	ds_read_b64 v[39:40], v108 offset:12800
	s_waitcnt lgkmcnt(0)
	v_lshrrev_b64 v[53:54], s46, v[39:40]
	v_xor_b32_e32 v40, 0x80000000, v40
	v_and_b32_e32 v3, s52, v53
	v_lshlrev_b32_e32 v3, 2, v3
	ds_read_b32 v3, v3
	s_waitcnt lgkmcnt(0)
	v_add_nc_u32_e32 v3, v3, v83
	v_lshlrev_b64 v[53:54], 3, v[3:4]
	v_add_co_u32 v53, s29, s42, v53
	v_add_co_ci_u32_e64 v54, null, s43, v54, s29
	global_store_dwordx2 v[53:54], v[39:40], off
	s_or_b32 exec_lo, exec_lo, s30
	v_cmp_lt_u32_e64 s29, v84, v169
	s_and_saveexec_b32 s31, s29
	s_cbranch_execz .LBB810_774
.LBB810_842:                            ;   in Loop: Header=BB810_686 Depth=2
	ds_read_b64 v[39:40], v108 offset:14848
	s_waitcnt lgkmcnt(0)
	v_lshrrev_b64 v[53:54], s46, v[39:40]
	v_xor_b32_e32 v40, 0x80000000, v40
	v_and_b32_e32 v3, s52, v53
	v_lshlrev_b32_e32 v3, 2, v3
	ds_read_b32 v3, v3
	s_waitcnt lgkmcnt(0)
	v_add_nc_u32_e32 v3, v3, v84
	v_lshlrev_b64 v[53:54], 3, v[3:4]
	v_add_co_u32 v53, s30, s42, v53
	v_add_co_ci_u32_e64 v54, null, s43, v54, s30
	global_store_dwordx2 v[53:54], v[39:40], off
	s_or_b32 exec_lo, exec_lo, s31
	v_cmp_lt_u32_e64 s30, v85, v169
	s_and_saveexec_b32 s33, s30
	s_cbranch_execz .LBB810_775
.LBB810_843:                            ;   in Loop: Header=BB810_686 Depth=2
	ds_read_b64 v[39:40], v108 offset:16896
	s_waitcnt lgkmcnt(0)
	v_lshrrev_b64 v[53:54], s46, v[39:40]
	v_xor_b32_e32 v40, 0x80000000, v40
	v_and_b32_e32 v3, s52, v53
	v_lshlrev_b32_e32 v3, 2, v3
	ds_read_b32 v3, v3
	s_waitcnt lgkmcnt(0)
	v_add_nc_u32_e32 v3, v3, v85
	v_lshlrev_b64 v[53:54], 3, v[3:4]
	v_add_co_u32 v53, s31, s42, v53
	v_add_co_ci_u32_e64 v54, null, s43, v54, s31
	global_store_dwordx2 v[53:54], v[39:40], off
	s_or_b32 exec_lo, exec_lo, s33
	v_cmp_lt_u32_e64 s31, v86, v169
	s_and_saveexec_b32 s34, s31
	s_cbranch_execz .LBB810_776
.LBB810_844:                            ;   in Loop: Header=BB810_686 Depth=2
	ds_read_b64 v[39:40], v108 offset:18944
	s_waitcnt lgkmcnt(0)
	v_lshrrev_b64 v[53:54], s46, v[39:40]
	v_xor_b32_e32 v40, 0x80000000, v40
	v_and_b32_e32 v3, s52, v53
	v_lshlrev_b32_e32 v3, 2, v3
	ds_read_b32 v3, v3
	s_waitcnt lgkmcnt(0)
	v_add_nc_u32_e32 v3, v3, v86
	v_lshlrev_b64 v[53:54], 3, v[3:4]
	v_add_co_u32 v53, s33, s42, v53
	v_add_co_ci_u32_e64 v54, null, s43, v54, s33
	global_store_dwordx2 v[53:54], v[39:40], off
	s_or_b32 exec_lo, exec_lo, s34
	v_cmp_lt_u32_e64 s33, v87, v169
	s_and_saveexec_b32 s35, s33
	s_cbranch_execz .LBB810_777
.LBB810_845:                            ;   in Loop: Header=BB810_686 Depth=2
	ds_read_b64 v[39:40], v108 offset:20992
	s_waitcnt lgkmcnt(0)
	v_lshrrev_b64 v[53:54], s46, v[39:40]
	v_xor_b32_e32 v40, 0x80000000, v40
	v_and_b32_e32 v3, s52, v53
	v_lshlrev_b32_e32 v3, 2, v3
	ds_read_b32 v3, v3
	s_waitcnt lgkmcnt(0)
	v_add_nc_u32_e32 v3, v3, v87
	v_lshlrev_b64 v[53:54], 3, v[3:4]
	v_add_co_u32 v53, s34, s42, v53
	v_add_co_ci_u32_e64 v54, null, s43, v54, s34
	global_store_dwordx2 v[53:54], v[39:40], off
	s_or_b32 exec_lo, exec_lo, s35
	v_cmp_lt_u32_e64 s34, v88, v169
	s_and_saveexec_b32 s36, s34
	s_cbranch_execz .LBB810_778
.LBB810_846:                            ;   in Loop: Header=BB810_686 Depth=2
	ds_read_b64 v[39:40], v108 offset:23040
	s_waitcnt lgkmcnt(0)
	v_lshrrev_b64 v[53:54], s46, v[39:40]
	v_xor_b32_e32 v40, 0x80000000, v40
	v_and_b32_e32 v3, s52, v53
	v_lshlrev_b32_e32 v3, 2, v3
	ds_read_b32 v3, v3
	s_waitcnt lgkmcnt(0)
	v_add_nc_u32_e32 v3, v3, v88
	v_lshlrev_b64 v[53:54], 3, v[3:4]
	v_add_co_u32 v53, s35, s42, v53
	v_add_co_ci_u32_e64 v54, null, s43, v54, s35
	global_store_dwordx2 v[53:54], v[39:40], off
	s_or_b32 exec_lo, exec_lo, s36
	v_cmp_lt_u32_e64 s35, v89, v169
	s_and_saveexec_b32 s37, s35
	s_cbranch_execz .LBB810_779
.LBB810_847:                            ;   in Loop: Header=BB810_686 Depth=2
	ds_read_b64 v[39:40], v108 offset:25088
	s_waitcnt lgkmcnt(0)
	v_lshrrev_b64 v[53:54], s46, v[39:40]
	v_xor_b32_e32 v40, 0x80000000, v40
	v_and_b32_e32 v3, s52, v53
	v_lshlrev_b32_e32 v3, 2, v3
	ds_read_b32 v3, v3
	s_waitcnt lgkmcnt(0)
	v_add_nc_u32_e32 v3, v3, v89
	v_lshlrev_b64 v[53:54], 3, v[3:4]
	v_add_co_u32 v53, s36, s42, v53
	v_add_co_ci_u32_e64 v54, null, s43, v54, s36
	global_store_dwordx2 v[53:54], v[39:40], off
	s_or_b32 exec_lo, exec_lo, s37
	v_cmp_lt_u32_e64 s36, v90, v169
	s_and_saveexec_b32 s38, s36
	s_cbranch_execz .LBB810_780
.LBB810_848:                            ;   in Loop: Header=BB810_686 Depth=2
	ds_read_b64 v[39:40], v108 offset:27136
	s_waitcnt lgkmcnt(0)
	v_lshrrev_b64 v[53:54], s46, v[39:40]
	v_xor_b32_e32 v40, 0x80000000, v40
	v_and_b32_e32 v3, s52, v53
	v_lshlrev_b32_e32 v3, 2, v3
	ds_read_b32 v3, v3
	s_waitcnt lgkmcnt(0)
	v_add_nc_u32_e32 v3, v3, v90
	v_lshlrev_b64 v[53:54], 3, v[3:4]
	v_add_co_u32 v53, s37, s42, v53
	v_add_co_ci_u32_e64 v54, null, s43, v54, s37
	global_store_dwordx2 v[53:54], v[39:40], off
	s_or_b32 exec_lo, exec_lo, s38
	v_cmp_lt_u32_e64 s37, v91, v169
	s_and_saveexec_b32 s39, s37
	s_cbranch_execz .LBB810_781
.LBB810_849:                            ;   in Loop: Header=BB810_686 Depth=2
	ds_read_b64 v[39:40], v108 offset:29184
	s_waitcnt lgkmcnt(0)
	v_lshrrev_b64 v[53:54], s46, v[39:40]
	v_xor_b32_e32 v40, 0x80000000, v40
	v_and_b32_e32 v3, s52, v53
	v_lshlrev_b32_e32 v3, 2, v3
	ds_read_b32 v3, v3
	s_waitcnt lgkmcnt(0)
	v_add_nc_u32_e32 v3, v3, v91
	v_lshlrev_b64 v[53:54], 3, v[3:4]
	v_add_co_u32 v53, s38, s42, v53
	v_add_co_ci_u32_e64 v54, null, s43, v54, s38
	global_store_dwordx2 v[53:54], v[39:40], off
	s_or_b32 exec_lo, exec_lo, s39
	v_cmp_lt_u32_e64 s38, v92, v169
	s_and_saveexec_b32 s65, s38
	s_cbranch_execnz .LBB810_782
	s_branch .LBB810_783
.LBB810_850:                            ;   in Loop: Header=BB810_686 Depth=2
	global_load_dwordx2 v[37:38], v[39:40], off
	s_or_b32 exec_lo, exec_lo, s39
	s_mov_b32 s56, exec_lo
	v_cmpx_lt_u32_e64 v133, v169
	s_cbranch_execz .LBB810_785
.LBB810_851:                            ;   in Loop: Header=BB810_686 Depth=2
	global_load_dwordx2 v[35:36], v[39:40], off offset:256
	s_or_b32 exec_lo, exec_lo, s56
	s_mov_b32 s56, exec_lo
	v_cmpx_lt_u32_e64 v134, v169
	s_cbranch_execz .LBB810_786
.LBB810_852:                            ;   in Loop: Header=BB810_686 Depth=2
	global_load_dwordx2 v[33:34], v[39:40], off offset:512
	s_or_b32 exec_lo, exec_lo, s56
	s_mov_b32 s56, exec_lo
	v_cmpx_lt_u32_e64 v135, v169
	s_cbranch_execz .LBB810_787
.LBB810_853:                            ;   in Loop: Header=BB810_686 Depth=2
	global_load_dwordx2 v[31:32], v[39:40], off offset:768
	s_or_b32 exec_lo, exec_lo, s56
	s_mov_b32 s56, exec_lo
	v_cmpx_lt_u32_e64 v136, v169
	s_cbranch_execz .LBB810_788
.LBB810_854:                            ;   in Loop: Header=BB810_686 Depth=2
	global_load_dwordx2 v[29:30], v[39:40], off offset:1024
	s_or_b32 exec_lo, exec_lo, s56
	s_mov_b32 s56, exec_lo
	v_cmpx_lt_u32_e64 v137, v169
	s_cbranch_execz .LBB810_789
.LBB810_855:                            ;   in Loop: Header=BB810_686 Depth=2
	global_load_dwordx2 v[25:26], v[39:40], off offset:1280
	s_or_b32 exec_lo, exec_lo, s56
	s_mov_b32 s56, exec_lo
	v_cmpx_lt_u32_e64 v138, v169
	s_cbranch_execz .LBB810_790
.LBB810_856:                            ;   in Loop: Header=BB810_686 Depth=2
	global_load_dwordx2 v[21:22], v[39:40], off offset:1536
	s_or_b32 exec_lo, exec_lo, s56
	s_mov_b32 s56, exec_lo
	v_cmpx_lt_u32_e64 v139, v169
	s_cbranch_execz .LBB810_791
.LBB810_857:                            ;   in Loop: Header=BB810_686 Depth=2
	global_load_dwordx2 v[17:18], v[39:40], off offset:1792
	s_or_b32 exec_lo, exec_lo, s56
	s_mov_b32 s56, exec_lo
	v_cmpx_lt_u32_e64 v140, v169
	s_cbranch_execz .LBB810_792
.LBB810_858:                            ;   in Loop: Header=BB810_686 Depth=2
	v_add_co_u32 v27, s39, 0x800, v39
	v_add_co_ci_u32_e64 v28, null, 0, v40, s39
	global_load_dwordx2 v[27:28], v[27:28], off
	s_or_b32 exec_lo, exec_lo, s56
	s_mov_b32 s56, exec_lo
	v_cmpx_lt_u32_e64 v141, v169
	s_cbranch_execz .LBB810_793
.LBB810_859:                            ;   in Loop: Header=BB810_686 Depth=2
	v_add_co_u32 v23, s39, 0x800, v39
	v_add_co_ci_u32_e64 v24, null, 0, v40, s39
	global_load_dwordx2 v[23:24], v[23:24], off offset:256
	s_or_b32 exec_lo, exec_lo, s56
	s_mov_b32 s56, exec_lo
	v_cmpx_lt_u32_e64 v142, v169
	s_cbranch_execz .LBB810_794
.LBB810_860:                            ;   in Loop: Header=BB810_686 Depth=2
	v_add_co_u32 v19, s39, 0x800, v39
	v_add_co_ci_u32_e64 v20, null, 0, v40, s39
	global_load_dwordx2 v[19:20], v[19:20], off offset:512
	s_or_b32 exec_lo, exec_lo, s56
	s_mov_b32 s56, exec_lo
	v_cmpx_lt_u32_e64 v143, v169
	s_cbranch_execz .LBB810_795
.LBB810_861:                            ;   in Loop: Header=BB810_686 Depth=2
	v_add_co_u32 v15, s39, 0x800, v39
	v_add_co_ci_u32_e64 v16, null, 0, v40, s39
	global_load_dwordx2 v[15:16], v[15:16], off offset:768
	s_or_b32 exec_lo, exec_lo, s56
	s_mov_b32 s56, exec_lo
	v_cmpx_lt_u32_e64 v144, v169
	s_cbranch_execz .LBB810_796
.LBB810_862:                            ;   in Loop: Header=BB810_686 Depth=2
	v_add_co_u32 v13, s39, 0x800, v39
	v_add_co_ci_u32_e64 v14, null, 0, v40, s39
	global_load_dwordx2 v[13:14], v[13:14], off offset:1024
	s_or_b32 exec_lo, exec_lo, s56
	s_mov_b32 s56, exec_lo
	v_cmpx_lt_u32_e64 v145, v169
	s_cbranch_execz .LBB810_797
.LBB810_863:                            ;   in Loop: Header=BB810_686 Depth=2
	v_add_co_u32 v11, s39, 0x800, v39
	v_add_co_ci_u32_e64 v12, null, 0, v40, s39
	global_load_dwordx2 v[11:12], v[11:12], off offset:1280
	s_or_b32 exec_lo, exec_lo, s56
	s_mov_b32 s56, exec_lo
	v_cmpx_lt_u32_e64 v146, v169
	s_cbranch_execz .LBB810_798
.LBB810_864:                            ;   in Loop: Header=BB810_686 Depth=2
	v_add_co_u32 v9, s39, 0x800, v39
	v_add_co_ci_u32_e64 v10, null, 0, v40, s39
	global_load_dwordx2 v[9:10], v[9:10], off offset:1536
	s_or_b32 exec_lo, exec_lo, s56
	s_mov_b32 s56, exec_lo
	v_cmpx_lt_u32_e64 v147, v169
	s_cbranch_execz .LBB810_799
.LBB810_865:                            ;   in Loop: Header=BB810_686 Depth=2
	v_add_co_u32 v7, s39, 0x800, v39
	v_add_co_ci_u32_e64 v8, null, 0, v40, s39
	global_load_dwordx2 v[7:8], v[7:8], off offset:1792
	s_or_b32 exec_lo, exec_lo, s56
	s_and_saveexec_b32 s39, vcc_lo
	s_cbranch_execz .LBB810_800
.LBB810_866:                            ;   in Loop: Header=BB810_686 Depth=2
	ds_read_b64 v[39:40], v108 offset:512
	s_waitcnt lgkmcnt(0)
	v_lshrrev_b64 v[39:40], s46, v[39:40]
	v_and_b32_e32 v167, s52, v39
	s_or_b32 exec_lo, exec_lo, s39
	s_and_saveexec_b32 s39, s22
	s_cbranch_execz .LBB810_801
.LBB810_867:                            ;   in Loop: Header=BB810_686 Depth=2
	ds_read_b64 v[39:40], v108 offset:2560
	s_waitcnt lgkmcnt(0)
	v_lshrrev_b64 v[39:40], s46, v[39:40]
	v_and_b32_e32 v166, s52, v39
	s_or_b32 exec_lo, exec_lo, s39
	s_and_saveexec_b32 s39, s23
	s_cbranch_execz .LBB810_802
.LBB810_868:                            ;   in Loop: Header=BB810_686 Depth=2
	ds_read_b64 v[39:40], v108 offset:4608
	s_waitcnt lgkmcnt(0)
	v_lshrrev_b64 v[39:40], s46, v[39:40]
	v_and_b32_e32 v164, s52, v39
	s_or_b32 exec_lo, exec_lo, s39
	s_and_saveexec_b32 s39, s24
	s_cbranch_execz .LBB810_803
.LBB810_869:                            ;   in Loop: Header=BB810_686 Depth=2
	ds_read_b64 v[39:40], v108 offset:6656
	s_waitcnt lgkmcnt(0)
	v_lshrrev_b64 v[39:40], s46, v[39:40]
	v_and_b32_e32 v163, s52, v39
	s_or_b32 exec_lo, exec_lo, s39
	s_and_saveexec_b32 s39, s25
	s_cbranch_execz .LBB810_804
.LBB810_870:                            ;   in Loop: Header=BB810_686 Depth=2
	ds_read_b64 v[39:40], v108 offset:8704
	s_waitcnt lgkmcnt(0)
	v_lshrrev_b64 v[39:40], s46, v[39:40]
	v_and_b32_e32 v162, s52, v39
	s_or_b32 exec_lo, exec_lo, s39
	s_and_saveexec_b32 s39, s26
	s_cbranch_execz .LBB810_805
.LBB810_871:                            ;   in Loop: Header=BB810_686 Depth=2
	ds_read_b64 v[39:40], v108 offset:10752
	s_waitcnt lgkmcnt(0)
	v_lshrrev_b64 v[39:40], s46, v[39:40]
	v_and_b32_e32 v161, s52, v39
	s_or_b32 exec_lo, exec_lo, s39
	s_and_saveexec_b32 s39, s28
	s_cbranch_execz .LBB810_806
.LBB810_872:                            ;   in Loop: Header=BB810_686 Depth=2
	ds_read_b64 v[39:40], v108 offset:12800
	s_waitcnt lgkmcnt(0)
	v_lshrrev_b64 v[39:40], s46, v[39:40]
	v_and_b32_e32 v160, s52, v39
	s_or_b32 exec_lo, exec_lo, s39
	s_and_saveexec_b32 s39, s29
	s_cbranch_execz .LBB810_807
.LBB810_873:                            ;   in Loop: Header=BB810_686 Depth=2
	ds_read_b64 v[39:40], v108 offset:14848
	s_waitcnt lgkmcnt(0)
	v_lshrrev_b64 v[39:40], s46, v[39:40]
	v_and_b32_e32 v159, s52, v39
	s_or_b32 exec_lo, exec_lo, s39
	s_and_saveexec_b32 s39, s30
	s_cbranch_execz .LBB810_808
.LBB810_874:                            ;   in Loop: Header=BB810_686 Depth=2
	ds_read_b64 v[39:40], v108 offset:16896
	s_waitcnt lgkmcnt(0)
	v_lshrrev_b64 v[39:40], s46, v[39:40]
	v_and_b32_e32 v158, s52, v39
	s_or_b32 exec_lo, exec_lo, s39
	s_and_saveexec_b32 s39, s31
	s_cbranch_execz .LBB810_809
.LBB810_875:                            ;   in Loop: Header=BB810_686 Depth=2
	ds_read_b64 v[39:40], v108 offset:18944
	s_waitcnt lgkmcnt(0)
	v_lshrrev_b64 v[39:40], s46, v[39:40]
	v_and_b32_e32 v157, s52, v39
	s_or_b32 exec_lo, exec_lo, s39
	s_and_saveexec_b32 s39, s33
	s_cbranch_execz .LBB810_810
.LBB810_876:                            ;   in Loop: Header=BB810_686 Depth=2
	ds_read_b64 v[39:40], v108 offset:20992
	s_waitcnt lgkmcnt(0)
	v_lshrrev_b64 v[39:40], s46, v[39:40]
	v_and_b32_e32 v156, s52, v39
	s_or_b32 exec_lo, exec_lo, s39
	s_and_saveexec_b32 s39, s34
	s_cbranch_execz .LBB810_811
.LBB810_877:                            ;   in Loop: Header=BB810_686 Depth=2
	ds_read_b64 v[39:40], v108 offset:23040
	s_waitcnt lgkmcnt(0)
	v_lshrrev_b64 v[39:40], s46, v[39:40]
	v_and_b32_e32 v155, s52, v39
	s_or_b32 exec_lo, exec_lo, s39
	s_and_saveexec_b32 s39, s35
	s_cbranch_execz .LBB810_812
.LBB810_878:                            ;   in Loop: Header=BB810_686 Depth=2
	ds_read_b64 v[39:40], v108 offset:25088
	s_waitcnt lgkmcnt(0)
	v_lshrrev_b64 v[39:40], s46, v[39:40]
	v_and_b32_e32 v154, s52, v39
	s_or_b32 exec_lo, exec_lo, s39
	s_and_saveexec_b32 s39, s36
	s_cbranch_execz .LBB810_813
.LBB810_879:                            ;   in Loop: Header=BB810_686 Depth=2
	ds_read_b64 v[39:40], v108 offset:27136
	s_waitcnt lgkmcnt(0)
	v_lshrrev_b64 v[39:40], s46, v[39:40]
	v_and_b32_e32 v153, s52, v39
	s_or_b32 exec_lo, exec_lo, s39
	s_and_saveexec_b32 s39, s37
	s_cbranch_execz .LBB810_814
.LBB810_880:                            ;   in Loop: Header=BB810_686 Depth=2
	ds_read_b64 v[39:40], v108 offset:29184
	s_waitcnt lgkmcnt(0)
	v_lshrrev_b64 v[39:40], s46, v[39:40]
	v_and_b32_e32 v152, s52, v39
	s_or_b32 exec_lo, exec_lo, s39
	s_and_saveexec_b32 s39, s38
	s_cbranch_execnz .LBB810_815
	s_branch .LBB810_816
.LBB810_881:                            ;   in Loop: Header=BB810_686 Depth=2
	v_lshlrev_b32_e32 v3, 2, v167
	ds_read_b32 v3, v3
	ds_read_b64 v[39:40], v108 offset:512
	s_waitcnt lgkmcnt(1)
	v_add_nc_u32_e32 v3, v3, v0
	v_lshlrev_b64 v[41:42], 3, v[3:4]
	v_add_co_u32 v41, vcc_lo, s48, v41
	v_add_co_ci_u32_e64 v42, null, s49, v42, vcc_lo
	s_waitcnt lgkmcnt(0)
	global_store_dwordx2 v[41:42], v[39:40], off
	s_or_b32 exec_lo, exec_lo, s39
	s_and_saveexec_b32 s39, s22
	s_cbranch_execz .LBB810_818
.LBB810_882:                            ;   in Loop: Header=BB810_686 Depth=2
	v_lshlrev_b32_e32 v3, 2, v166
	ds_read_b32 v3, v3
	ds_read_b64 v[39:40], v108 offset:2560
	s_waitcnt lgkmcnt(1)
	v_add_nc_u32_e32 v3, v3, v76
	v_lshlrev_b64 v[41:42], 3, v[3:4]
	v_add_co_u32 v41, vcc_lo, s48, v41
	v_add_co_ci_u32_e64 v42, null, s49, v42, vcc_lo
	s_waitcnt lgkmcnt(0)
	global_store_dwordx2 v[41:42], v[39:40], off
	s_or_b32 exec_lo, exec_lo, s39
	s_and_saveexec_b32 s22, s23
	s_cbranch_execz .LBB810_819
.LBB810_883:                            ;   in Loop: Header=BB810_686 Depth=2
	v_lshlrev_b32_e32 v3, 2, v164
	ds_read_b32 v3, v3
	ds_read_b64 v[39:40], v108 offset:4608
	s_waitcnt lgkmcnt(1)
	v_add_nc_u32_e32 v3, v3, v79
	v_lshlrev_b64 v[41:42], 3, v[3:4]
	v_add_co_u32 v41, vcc_lo, s48, v41
	v_add_co_ci_u32_e64 v42, null, s49, v42, vcc_lo
	s_waitcnt lgkmcnt(0)
	global_store_dwordx2 v[41:42], v[39:40], off
	s_or_b32 exec_lo, exec_lo, s22
	s_and_saveexec_b32 s22, s24
	s_cbranch_execz .LBB810_820
.LBB810_884:                            ;   in Loop: Header=BB810_686 Depth=2
	v_lshlrev_b32_e32 v3, 2, v163
	ds_read_b32 v3, v3
	ds_read_b64 v[39:40], v108 offset:6656
	s_waitcnt lgkmcnt(1)
	v_add_nc_u32_e32 v3, v3, v80
	v_lshlrev_b64 v[41:42], 3, v[3:4]
	v_add_co_u32 v41, vcc_lo, s48, v41
	v_add_co_ci_u32_e64 v42, null, s49, v42, vcc_lo
	s_waitcnt lgkmcnt(0)
	global_store_dwordx2 v[41:42], v[39:40], off
	s_or_b32 exec_lo, exec_lo, s22
	s_and_saveexec_b32 s22, s25
	s_cbranch_execz .LBB810_821
.LBB810_885:                            ;   in Loop: Header=BB810_686 Depth=2
	v_lshlrev_b32_e32 v3, 2, v162
	ds_read_b32 v3, v3
	ds_read_b64 v[39:40], v108 offset:8704
	s_waitcnt lgkmcnt(1)
	v_add_nc_u32_e32 v3, v3, v81
	v_lshlrev_b64 v[41:42], 3, v[3:4]
	v_add_co_u32 v41, vcc_lo, s48, v41
	v_add_co_ci_u32_e64 v42, null, s49, v42, vcc_lo
	s_waitcnt lgkmcnt(0)
	global_store_dwordx2 v[41:42], v[39:40], off
	s_or_b32 exec_lo, exec_lo, s22
	s_and_saveexec_b32 s22, s26
	s_cbranch_execz .LBB810_822
.LBB810_886:                            ;   in Loop: Header=BB810_686 Depth=2
	v_lshlrev_b32_e32 v3, 2, v161
	ds_read_b32 v3, v3
	ds_read_b64 v[39:40], v108 offset:10752
	s_waitcnt lgkmcnt(1)
	v_add_nc_u32_e32 v3, v3, v82
	v_lshlrev_b64 v[41:42], 3, v[3:4]
	v_add_co_u32 v41, vcc_lo, s48, v41
	v_add_co_ci_u32_e64 v42, null, s49, v42, vcc_lo
	s_waitcnt lgkmcnt(0)
	global_store_dwordx2 v[41:42], v[39:40], off
	s_or_b32 exec_lo, exec_lo, s22
	s_and_saveexec_b32 s22, s28
	s_cbranch_execz .LBB810_823
.LBB810_887:                            ;   in Loop: Header=BB810_686 Depth=2
	v_lshlrev_b32_e32 v3, 2, v160
	ds_read_b32 v3, v3
	ds_read_b64 v[39:40], v108 offset:12800
	s_waitcnt lgkmcnt(1)
	v_add_nc_u32_e32 v3, v3, v83
	v_lshlrev_b64 v[41:42], 3, v[3:4]
	v_add_co_u32 v41, vcc_lo, s48, v41
	v_add_co_ci_u32_e64 v42, null, s49, v42, vcc_lo
	s_waitcnt lgkmcnt(0)
	global_store_dwordx2 v[41:42], v[39:40], off
	s_or_b32 exec_lo, exec_lo, s22
	s_and_saveexec_b32 s22, s29
	s_cbranch_execz .LBB810_824
.LBB810_888:                            ;   in Loop: Header=BB810_686 Depth=2
	v_lshlrev_b32_e32 v3, 2, v159
	ds_read_b32 v3, v3
	ds_read_b64 v[39:40], v108 offset:14848
	s_waitcnt lgkmcnt(1)
	v_add_nc_u32_e32 v3, v3, v84
	v_lshlrev_b64 v[41:42], 3, v[3:4]
	v_add_co_u32 v41, vcc_lo, s48, v41
	v_add_co_ci_u32_e64 v42, null, s49, v42, vcc_lo
	s_waitcnt lgkmcnt(0)
	global_store_dwordx2 v[41:42], v[39:40], off
	s_or_b32 exec_lo, exec_lo, s22
	s_and_saveexec_b32 s22, s30
	s_cbranch_execz .LBB810_825
.LBB810_889:                            ;   in Loop: Header=BB810_686 Depth=2
	v_lshlrev_b32_e32 v3, 2, v158
	ds_read_b32 v3, v3
	ds_read_b64 v[39:40], v108 offset:16896
	s_waitcnt lgkmcnt(1)
	v_add_nc_u32_e32 v3, v3, v85
	v_lshlrev_b64 v[41:42], 3, v[3:4]
	v_add_co_u32 v41, vcc_lo, s48, v41
	v_add_co_ci_u32_e64 v42, null, s49, v42, vcc_lo
	s_waitcnt lgkmcnt(0)
	global_store_dwordx2 v[41:42], v[39:40], off
	s_or_b32 exec_lo, exec_lo, s22
	s_and_saveexec_b32 s22, s31
	s_cbranch_execz .LBB810_826
.LBB810_890:                            ;   in Loop: Header=BB810_686 Depth=2
	v_lshlrev_b32_e32 v3, 2, v157
	ds_read_b32 v3, v3
	ds_read_b64 v[39:40], v108 offset:18944
	s_waitcnt lgkmcnt(1)
	v_add_nc_u32_e32 v3, v3, v86
	v_lshlrev_b64 v[41:42], 3, v[3:4]
	v_add_co_u32 v41, vcc_lo, s48, v41
	v_add_co_ci_u32_e64 v42, null, s49, v42, vcc_lo
	s_waitcnt lgkmcnt(0)
	global_store_dwordx2 v[41:42], v[39:40], off
	s_or_b32 exec_lo, exec_lo, s22
	s_and_saveexec_b32 s22, s33
	s_cbranch_execz .LBB810_827
.LBB810_891:                            ;   in Loop: Header=BB810_686 Depth=2
	v_lshlrev_b32_e32 v3, 2, v156
	ds_read_b32 v3, v3
	ds_read_b64 v[39:40], v108 offset:20992
	s_waitcnt lgkmcnt(1)
	v_add_nc_u32_e32 v3, v3, v87
	v_lshlrev_b64 v[41:42], 3, v[3:4]
	v_add_co_u32 v41, vcc_lo, s48, v41
	v_add_co_ci_u32_e64 v42, null, s49, v42, vcc_lo
	s_waitcnt lgkmcnt(0)
	global_store_dwordx2 v[41:42], v[39:40], off
	s_or_b32 exec_lo, exec_lo, s22
	s_and_saveexec_b32 s22, s34
	s_cbranch_execz .LBB810_828
.LBB810_892:                            ;   in Loop: Header=BB810_686 Depth=2
	v_lshlrev_b32_e32 v3, 2, v155
	ds_read_b32 v3, v3
	ds_read_b64 v[39:40], v108 offset:23040
	s_waitcnt lgkmcnt(1)
	v_add_nc_u32_e32 v3, v3, v88
	v_lshlrev_b64 v[41:42], 3, v[3:4]
	v_add_co_u32 v41, vcc_lo, s48, v41
	v_add_co_ci_u32_e64 v42, null, s49, v42, vcc_lo
	s_waitcnt lgkmcnt(0)
	global_store_dwordx2 v[41:42], v[39:40], off
	s_or_b32 exec_lo, exec_lo, s22
	s_and_saveexec_b32 s22, s35
	s_cbranch_execz .LBB810_829
.LBB810_893:                            ;   in Loop: Header=BB810_686 Depth=2
	v_lshlrev_b32_e32 v3, 2, v154
	ds_read_b32 v3, v3
	ds_read_b64 v[39:40], v108 offset:25088
	s_waitcnt lgkmcnt(1)
	v_add_nc_u32_e32 v3, v3, v89
	v_lshlrev_b64 v[41:42], 3, v[3:4]
	v_add_co_u32 v41, vcc_lo, s48, v41
	v_add_co_ci_u32_e64 v42, null, s49, v42, vcc_lo
	s_waitcnt lgkmcnt(0)
	global_store_dwordx2 v[41:42], v[39:40], off
	s_or_b32 exec_lo, exec_lo, s22
	s_and_saveexec_b32 s22, s36
	s_cbranch_execz .LBB810_830
.LBB810_894:                            ;   in Loop: Header=BB810_686 Depth=2
	v_lshlrev_b32_e32 v3, 2, v153
	ds_read_b32 v3, v3
	ds_read_b64 v[39:40], v108 offset:27136
	s_waitcnt lgkmcnt(1)
	v_add_nc_u32_e32 v3, v3, v90
	v_lshlrev_b64 v[41:42], 3, v[3:4]
	v_add_co_u32 v41, vcc_lo, s48, v41
	v_add_co_ci_u32_e64 v42, null, s49, v42, vcc_lo
	s_waitcnt lgkmcnt(0)
	global_store_dwordx2 v[41:42], v[39:40], off
	s_or_b32 exec_lo, exec_lo, s22
	s_and_saveexec_b32 s22, s37
	s_cbranch_execz .LBB810_831
.LBB810_895:                            ;   in Loop: Header=BB810_686 Depth=2
	v_lshlrev_b32_e32 v3, 2, v152
	ds_read_b32 v3, v3
	ds_read_b64 v[39:40], v108 offset:29184
	s_waitcnt lgkmcnt(1)
	v_add_nc_u32_e32 v3, v3, v91
	v_lshlrev_b64 v[41:42], 3, v[3:4]
	v_add_co_u32 v41, vcc_lo, s48, v41
	v_add_co_ci_u32_e64 v42, null, s49, v42, vcc_lo
	s_waitcnt lgkmcnt(0)
	global_store_dwordx2 v[41:42], v[39:40], off
	s_or_b32 exec_lo, exec_lo, s22
	s_and_saveexec_b32 s22, s38
	s_cbranch_execnz .LBB810_832
	s_branch .LBB810_833
.LBB810_896:                            ;   in Loop: Header=BB810_12 Depth=1
	s_waitcnt lgkmcnt(0)
	s_mov_b32 s5, 0
	s_barrier
.LBB810_897:                            ;   in Loop: Header=BB810_12 Depth=1
	s_and_b32 vcc_lo, exec_lo, s5
	s_cbranch_vccz .LBB810_11
; %bb.898:                              ;   in Loop: Header=BB810_12 Depth=1
	s_mov_b32 s5, s62
	s_mov_b32 s56, s60
	s_barrier
	buffer_gl0_inv
                                        ; implicit-def: $vgpr7_vgpr8
                                        ; implicit-def: $vgpr9_vgpr10
                                        ; implicit-def: $vgpr11_vgpr12
                                        ; implicit-def: $vgpr13_vgpr14
                                        ; implicit-def: $vgpr15_vgpr16
                                        ; implicit-def: $vgpr17_vgpr18
                                        ; implicit-def: $vgpr19_vgpr20
                                        ; implicit-def: $vgpr21_vgpr22
                                        ; implicit-def: $vgpr23_vgpr24
                                        ; implicit-def: $vgpr25_vgpr26
                                        ; implicit-def: $vgpr27_vgpr28
                                        ; implicit-def: $vgpr29_vgpr30
                                        ; implicit-def: $vgpr31_vgpr32
                                        ; implicit-def: $vgpr33_vgpr34
                                        ; implicit-def: $vgpr35_vgpr36
                                        ; implicit-def: $vgpr37_vgpr38
	s_branch .LBB810_900
.LBB810_899:                            ;   in Loop: Header=BB810_900 Depth=2
	s_or_b32 exec_lo, exec_lo, s14
	s_addk_i32 s5, 0xf000
	s_cmp_ge_u32 s16, s61
	s_mov_b32 s56, s16
	s_cbranch_scc1 .LBB810_968
.LBB810_900:                            ;   Parent Loop BB810_12 Depth=1
                                        ; =>  This Inner Loop Header: Depth=2
	s_add_i32 s16, s56, 0x1000
	s_mov_b32 s14, -1
	s_cmp_gt_u32 s16, s61
                                        ; implicit-def: $vgpr49_vgpr50
                                        ; implicit-def: $vgpr53_vgpr54
                                        ; implicit-def: $vgpr57_vgpr58
                                        ; implicit-def: $vgpr39_vgpr40
                                        ; implicit-def: $vgpr41_vgpr42
                                        ; implicit-def: $vgpr43_vgpr44
                                        ; implicit-def: $vgpr45_vgpr46
                                        ; implicit-def: $vgpr47_vgpr48
                                        ; implicit-def: $vgpr51_vgpr52
                                        ; implicit-def: $vgpr55_vgpr56
                                        ; implicit-def: $vgpr59_vgpr60
                                        ; implicit-def: $vgpr61_vgpr62
                                        ; implicit-def: $vgpr63_vgpr64
                                        ; implicit-def: $vgpr65_vgpr66
                                        ; implicit-def: $vgpr67_vgpr68
                                        ; implicit-def: $vgpr69_vgpr70
	s_cbranch_scc1 .LBB810_902
; %bb.901:                              ;   in Loop: Header=BB810_900 Depth=2
	s_lshl_b64 s[14:15], s[56:57], 3
	v_add_co_u32 v49, vcc_lo, v115, s14
	v_add_co_ci_u32_e64 v50, null, s15, v116, vcc_lo
	s_mov_b32 s14, 0
	v_add_co_u32 v57, vcc_lo, v49, 0x1000
	v_add_co_ci_u32_e64 v58, null, 0, v50, vcc_lo
	v_add_co_u32 v41, vcc_lo, v49, 0x2000
	v_add_co_ci_u32_e64 v42, null, 0, v50, vcc_lo
	;; [unrolled: 2-line block ×5, first 2 shown]
	s_clause 0x7
	global_load_dwordx2 v[39:40], v[41:42], off offset:-2048
	global_load_dwordx2 v[41:42], v[41:42], off
	global_load_dwordx2 v[43:44], v[45:46], off offset:-2048
	global_load_dwordx2 v[45:46], v[45:46], off
	;; [unrolled: 2-line block ×4, first 2 shown]
	v_add_co_u32 v53, vcc_lo, v49, 0x6000
	v_add_co_ci_u32_e64 v54, null, 0, v50, vcc_lo
	v_add_co_u32 v67, vcc_lo, v49, 0x7000
	v_add_co_ci_u32_e64 v68, null, 0, v50, vcc_lo
	v_add_co_u32 v69, vcc_lo, 0x7800, v49
	v_add_co_ci_u32_e64 v70, null, 0, v50, vcc_lo
	s_clause 0x7
	global_load_dwordx2 v[61:62], v[53:54], off offset:-2048
	global_load_dwordx2 v[63:64], v[53:54], off
	global_load_dwordx2 v[65:66], v[67:68], off offset:-2048
	global_load_dwordx2 v[67:68], v[67:68], off
	global_load_dwordx2 v[49:50], v[49:50], off
	global_load_dwordx2 v[53:54], v[57:58], off offset:-2048
	global_load_dwordx2 v[57:58], v[57:58], off
	global_load_dwordx2 v[69:70], v[69:70], off
.LBB810_902:                            ;   in Loop: Header=BB810_900 Depth=2
	s_andn2_b32 vcc_lo, exec_lo, s14
	s_movk_i32 s14, 0x1000
	s_cbranch_vccnz .LBB810_921
; %bb.903:                              ;   in Loop: Header=BB810_900 Depth=2
	s_lshl_b64 s[14:15], s[56:57], 3
	s_mov_b32 s17, exec_lo
	s_add_u32 s14, s40, s14
	s_addc_u32 s15, s41, s15
	v_cmpx_gt_u32_e64 s5, v0
	s_cbranch_execnz .LBB810_953
; %bb.904:                              ;   in Loop: Header=BB810_900 Depth=2
	s_or_b32 exec_lo, exec_lo, s17
	s_mov_b32 s17, exec_lo
	v_cmpx_gt_u32_e64 s5, v76
	s_cbranch_execnz .LBB810_954
.LBB810_905:                            ;   in Loop: Header=BB810_900 Depth=2
	s_or_b32 exec_lo, exec_lo, s17
	s_mov_b32 s17, exec_lo
	v_cmpx_gt_u32_e64 s5, v79
	s_cbranch_execnz .LBB810_955
.LBB810_906:                            ;   in Loop: Header=BB810_900 Depth=2
	s_or_b32 exec_lo, exec_lo, s17
	s_mov_b32 s17, exec_lo
	v_cmpx_gt_u32_e64 s5, v80
	s_cbranch_execnz .LBB810_956
.LBB810_907:                            ;   in Loop: Header=BB810_900 Depth=2
	s_or_b32 exec_lo, exec_lo, s17
	s_mov_b32 s17, exec_lo
	v_cmpx_gt_u32_e64 s5, v81
	s_cbranch_execnz .LBB810_957
.LBB810_908:                            ;   in Loop: Header=BB810_900 Depth=2
	s_or_b32 exec_lo, exec_lo, s17
	s_mov_b32 s17, exec_lo
	v_cmpx_gt_u32_e64 s5, v82
	s_cbranch_execnz .LBB810_958
.LBB810_909:                            ;   in Loop: Header=BB810_900 Depth=2
	s_or_b32 exec_lo, exec_lo, s17
	s_mov_b32 s17, exec_lo
	v_cmpx_gt_u32_e64 s5, v83
	s_cbranch_execnz .LBB810_959
.LBB810_910:                            ;   in Loop: Header=BB810_900 Depth=2
	s_or_b32 exec_lo, exec_lo, s17
	s_mov_b32 s17, exec_lo
	v_cmpx_gt_u32_e64 s5, v84
	s_cbranch_execnz .LBB810_960
.LBB810_911:                            ;   in Loop: Header=BB810_900 Depth=2
	s_or_b32 exec_lo, exec_lo, s17
	s_mov_b32 s17, exec_lo
	v_cmpx_gt_u32_e64 s5, v85
	s_cbranch_execnz .LBB810_961
.LBB810_912:                            ;   in Loop: Header=BB810_900 Depth=2
	s_or_b32 exec_lo, exec_lo, s17
	s_mov_b32 s17, exec_lo
	v_cmpx_gt_u32_e64 s5, v86
	s_cbranch_execnz .LBB810_962
.LBB810_913:                            ;   in Loop: Header=BB810_900 Depth=2
	s_or_b32 exec_lo, exec_lo, s17
	s_mov_b32 s17, exec_lo
	v_cmpx_gt_u32_e64 s5, v87
	s_cbranch_execnz .LBB810_963
.LBB810_914:                            ;   in Loop: Header=BB810_900 Depth=2
	s_or_b32 exec_lo, exec_lo, s17
	s_mov_b32 s17, exec_lo
	v_cmpx_gt_u32_e64 s5, v88
	s_cbranch_execnz .LBB810_964
.LBB810_915:                            ;   in Loop: Header=BB810_900 Depth=2
	s_or_b32 exec_lo, exec_lo, s17
	s_mov_b32 s17, exec_lo
	v_cmpx_gt_u32_e64 s5, v89
	s_cbranch_execnz .LBB810_965
.LBB810_916:                            ;   in Loop: Header=BB810_900 Depth=2
	s_or_b32 exec_lo, exec_lo, s17
	s_mov_b32 s17, exec_lo
	v_cmpx_gt_u32_e64 s5, v90
	s_cbranch_execnz .LBB810_966
.LBB810_917:                            ;   in Loop: Header=BB810_900 Depth=2
	s_or_b32 exec_lo, exec_lo, s17
	s_mov_b32 s17, exec_lo
	v_cmpx_gt_u32_e64 s5, v91
	s_cbranch_execnz .LBB810_967
.LBB810_918:                            ;   in Loop: Header=BB810_900 Depth=2
	s_or_b32 exec_lo, exec_lo, s17
	s_mov_b32 s17, exec_lo
	v_cmpx_gt_u32_e64 s5, v92
	s_cbranch_execz .LBB810_920
.LBB810_919:                            ;   in Loop: Header=BB810_900 Depth=2
	v_lshlrev_b32_e32 v3, 3, v92
	global_load_dwordx2 v[7:8], v3, s[14:15]
.LBB810_920:                            ;   in Loop: Header=BB810_900 Depth=2
	s_or_b32 exec_lo, exec_lo, s17
	s_waitcnt vmcnt(0)
	v_mov_b32_e32 v50, v38
	v_mov_b32_e32 v54, v36
	;; [unrolled: 1-line block ×32, first 2 shown]
	s_mov_b32 s14, s5
.LBB810_921:                            ;   in Loop: Header=BB810_900 Depth=2
	s_waitcnt vmcnt(0)
	v_mov_b32_e32 v7, v69
	v_mov_b32_e32 v9, v67
	;; [unrolled: 1-line block ×32, first 2 shown]
	s_mov_b32 s15, exec_lo
	v_cmpx_gt_u32_e64 s14, v0
	s_cbranch_execnz .LBB810_937
; %bb.922:                              ;   in Loop: Header=BB810_900 Depth=2
	s_or_b32 exec_lo, exec_lo, s15
	s_mov_b32 s15, exec_lo
	v_cmpx_gt_u32_e64 s14, v76
	s_cbranch_execnz .LBB810_938
.LBB810_923:                            ;   in Loop: Header=BB810_900 Depth=2
	s_or_b32 exec_lo, exec_lo, s15
	s_mov_b32 s15, exec_lo
	v_cmpx_gt_u32_e64 s14, v79
	s_cbranch_execnz .LBB810_939
.LBB810_924:                            ;   in Loop: Header=BB810_900 Depth=2
	s_or_b32 exec_lo, exec_lo, s15
	s_mov_b32 s15, exec_lo
	v_cmpx_gt_u32_e64 s14, v80
	s_cbranch_execnz .LBB810_940
.LBB810_925:                            ;   in Loop: Header=BB810_900 Depth=2
	s_or_b32 exec_lo, exec_lo, s15
	s_mov_b32 s15, exec_lo
	v_cmpx_gt_u32_e64 s14, v81
	s_cbranch_execnz .LBB810_941
.LBB810_926:                            ;   in Loop: Header=BB810_900 Depth=2
	s_or_b32 exec_lo, exec_lo, s15
	s_mov_b32 s15, exec_lo
	v_cmpx_gt_u32_e64 s14, v82
	s_cbranch_execnz .LBB810_942
.LBB810_927:                            ;   in Loop: Header=BB810_900 Depth=2
	s_or_b32 exec_lo, exec_lo, s15
	s_mov_b32 s15, exec_lo
	v_cmpx_gt_u32_e64 s14, v83
	s_cbranch_execnz .LBB810_943
.LBB810_928:                            ;   in Loop: Header=BB810_900 Depth=2
	s_or_b32 exec_lo, exec_lo, s15
	s_mov_b32 s15, exec_lo
	v_cmpx_gt_u32_e64 s14, v84
	s_cbranch_execnz .LBB810_944
.LBB810_929:                            ;   in Loop: Header=BB810_900 Depth=2
	s_or_b32 exec_lo, exec_lo, s15
	s_mov_b32 s15, exec_lo
	v_cmpx_gt_u32_e64 s14, v85
	s_cbranch_execnz .LBB810_945
.LBB810_930:                            ;   in Loop: Header=BB810_900 Depth=2
	s_or_b32 exec_lo, exec_lo, s15
	s_mov_b32 s15, exec_lo
	v_cmpx_gt_u32_e64 s14, v86
	s_cbranch_execnz .LBB810_946
.LBB810_931:                            ;   in Loop: Header=BB810_900 Depth=2
	s_or_b32 exec_lo, exec_lo, s15
	s_mov_b32 s15, exec_lo
	v_cmpx_gt_u32_e64 s14, v87
	s_cbranch_execnz .LBB810_947
.LBB810_932:                            ;   in Loop: Header=BB810_900 Depth=2
	s_or_b32 exec_lo, exec_lo, s15
	s_mov_b32 s15, exec_lo
	v_cmpx_gt_u32_e64 s14, v88
	s_cbranch_execnz .LBB810_948
.LBB810_933:                            ;   in Loop: Header=BB810_900 Depth=2
	s_or_b32 exec_lo, exec_lo, s15
	s_mov_b32 s15, exec_lo
	v_cmpx_gt_u32_e64 s14, v89
	s_cbranch_execnz .LBB810_949
.LBB810_934:                            ;   in Loop: Header=BB810_900 Depth=2
	s_or_b32 exec_lo, exec_lo, s15
	s_mov_b32 s15, exec_lo
	v_cmpx_gt_u32_e64 s14, v90
	s_cbranch_execnz .LBB810_950
.LBB810_935:                            ;   in Loop: Header=BB810_900 Depth=2
	s_or_b32 exec_lo, exec_lo, s15
	s_mov_b32 s15, exec_lo
	v_cmpx_gt_u32_e64 s14, v91
	s_cbranch_execnz .LBB810_951
.LBB810_936:                            ;   in Loop: Header=BB810_900 Depth=2
	s_or_b32 exec_lo, exec_lo, s15
	v_cmp_gt_u32_e32 vcc_lo, s14, v92
	s_and_saveexec_b32 s14, vcc_lo
	s_cbranch_execz .LBB810_899
	s_branch .LBB810_952
.LBB810_937:                            ;   in Loop: Header=BB810_900 Depth=2
	v_xor_b32_e32 v40, 0x80000000, v38
	v_mov_b32_e32 v39, v37
	v_lshrrev_b64 v[39:40], s46, v[39:40]
	v_and_b32_e32 v3, s52, v39
	v_lshl_or_b32 v3, v3, 4, v93
	ds_add_u32 v3, v121
	s_or_b32 exec_lo, exec_lo, s15
	s_mov_b32 s15, exec_lo
	v_cmpx_gt_u32_e64 s14, v76
	s_cbranch_execz .LBB810_923
.LBB810_938:                            ;   in Loop: Header=BB810_900 Depth=2
	v_xor_b32_e32 v40, 0x80000000, v36
	v_mov_b32_e32 v39, v35
	v_lshrrev_b64 v[39:40], s46, v[39:40]
	v_and_b32_e32 v3, s52, v39
	v_lshl_or_b32 v3, v3, 4, v93
	ds_add_u32 v3, v121
	s_or_b32 exec_lo, exec_lo, s15
	s_mov_b32 s15, exec_lo
	v_cmpx_gt_u32_e64 s14, v79
	s_cbranch_execz .LBB810_924
.LBB810_939:                            ;   in Loop: Header=BB810_900 Depth=2
	v_xor_b32_e32 v40, 0x80000000, v34
	v_mov_b32_e32 v39, v33
	v_lshrrev_b64 v[39:40], s46, v[39:40]
	v_and_b32_e32 v3, s52, v39
	v_lshl_or_b32 v3, v3, 4, v93
	ds_add_u32 v3, v121
	s_or_b32 exec_lo, exec_lo, s15
	s_mov_b32 s15, exec_lo
	v_cmpx_gt_u32_e64 s14, v80
	s_cbranch_execz .LBB810_925
.LBB810_940:                            ;   in Loop: Header=BB810_900 Depth=2
	v_xor_b32_e32 v40, 0x80000000, v32
	v_mov_b32_e32 v39, v31
	v_lshrrev_b64 v[39:40], s46, v[39:40]
	v_and_b32_e32 v3, s52, v39
	v_lshl_or_b32 v3, v3, 4, v93
	ds_add_u32 v3, v121
	s_or_b32 exec_lo, exec_lo, s15
	s_mov_b32 s15, exec_lo
	v_cmpx_gt_u32_e64 s14, v81
	s_cbranch_execz .LBB810_926
.LBB810_941:                            ;   in Loop: Header=BB810_900 Depth=2
	v_xor_b32_e32 v40, 0x80000000, v30
	v_mov_b32_e32 v39, v29
	v_lshrrev_b64 v[39:40], s46, v[39:40]
	v_and_b32_e32 v3, s52, v39
	v_lshl_or_b32 v3, v3, 4, v93
	ds_add_u32 v3, v121
	s_or_b32 exec_lo, exec_lo, s15
	s_mov_b32 s15, exec_lo
	v_cmpx_gt_u32_e64 s14, v82
	s_cbranch_execz .LBB810_927
.LBB810_942:                            ;   in Loop: Header=BB810_900 Depth=2
	v_xor_b32_e32 v40, 0x80000000, v28
	v_mov_b32_e32 v39, v27
	v_lshrrev_b64 v[39:40], s46, v[39:40]
	v_and_b32_e32 v3, s52, v39
	v_lshl_or_b32 v3, v3, 4, v93
	ds_add_u32 v3, v121
	s_or_b32 exec_lo, exec_lo, s15
	s_mov_b32 s15, exec_lo
	v_cmpx_gt_u32_e64 s14, v83
	s_cbranch_execz .LBB810_928
.LBB810_943:                            ;   in Loop: Header=BB810_900 Depth=2
	v_xor_b32_e32 v40, 0x80000000, v26
	v_mov_b32_e32 v39, v25
	v_lshrrev_b64 v[39:40], s46, v[39:40]
	v_and_b32_e32 v3, s52, v39
	v_lshl_or_b32 v3, v3, 4, v93
	ds_add_u32 v3, v121
	s_or_b32 exec_lo, exec_lo, s15
	s_mov_b32 s15, exec_lo
	v_cmpx_gt_u32_e64 s14, v84
	s_cbranch_execz .LBB810_929
.LBB810_944:                            ;   in Loop: Header=BB810_900 Depth=2
	v_xor_b32_e32 v40, 0x80000000, v24
	v_mov_b32_e32 v39, v23
	v_lshrrev_b64 v[39:40], s46, v[39:40]
	v_and_b32_e32 v3, s52, v39
	v_lshl_or_b32 v3, v3, 4, v93
	ds_add_u32 v3, v121
	s_or_b32 exec_lo, exec_lo, s15
	s_mov_b32 s15, exec_lo
	v_cmpx_gt_u32_e64 s14, v85
	s_cbranch_execz .LBB810_930
.LBB810_945:                            ;   in Loop: Header=BB810_900 Depth=2
	v_xor_b32_e32 v40, 0x80000000, v22
	v_mov_b32_e32 v39, v21
	v_lshrrev_b64 v[39:40], s46, v[39:40]
	v_and_b32_e32 v3, s52, v39
	v_lshl_or_b32 v3, v3, 4, v93
	ds_add_u32 v3, v121
	s_or_b32 exec_lo, exec_lo, s15
	s_mov_b32 s15, exec_lo
	v_cmpx_gt_u32_e64 s14, v86
	s_cbranch_execz .LBB810_931
.LBB810_946:                            ;   in Loop: Header=BB810_900 Depth=2
	v_xor_b32_e32 v40, 0x80000000, v20
	v_mov_b32_e32 v39, v19
	v_lshrrev_b64 v[39:40], s46, v[39:40]
	v_and_b32_e32 v3, s52, v39
	v_lshl_or_b32 v3, v3, 4, v93
	ds_add_u32 v3, v121
	s_or_b32 exec_lo, exec_lo, s15
	s_mov_b32 s15, exec_lo
	v_cmpx_gt_u32_e64 s14, v87
	s_cbranch_execz .LBB810_932
.LBB810_947:                            ;   in Loop: Header=BB810_900 Depth=2
	v_xor_b32_e32 v40, 0x80000000, v18
	v_mov_b32_e32 v39, v17
	v_lshrrev_b64 v[39:40], s46, v[39:40]
	v_and_b32_e32 v3, s52, v39
	v_lshl_or_b32 v3, v3, 4, v93
	ds_add_u32 v3, v121
	s_or_b32 exec_lo, exec_lo, s15
	s_mov_b32 s15, exec_lo
	v_cmpx_gt_u32_e64 s14, v88
	s_cbranch_execz .LBB810_933
.LBB810_948:                            ;   in Loop: Header=BB810_900 Depth=2
	v_xor_b32_e32 v40, 0x80000000, v16
	v_mov_b32_e32 v39, v15
	v_lshrrev_b64 v[39:40], s46, v[39:40]
	v_and_b32_e32 v3, s52, v39
	v_lshl_or_b32 v3, v3, 4, v93
	ds_add_u32 v3, v121
	s_or_b32 exec_lo, exec_lo, s15
	s_mov_b32 s15, exec_lo
	v_cmpx_gt_u32_e64 s14, v89
	s_cbranch_execz .LBB810_934
.LBB810_949:                            ;   in Loop: Header=BB810_900 Depth=2
	v_xor_b32_e32 v40, 0x80000000, v14
	v_mov_b32_e32 v39, v13
	v_lshrrev_b64 v[39:40], s46, v[39:40]
	v_and_b32_e32 v3, s52, v39
	v_lshl_or_b32 v3, v3, 4, v93
	ds_add_u32 v3, v121
	s_or_b32 exec_lo, exec_lo, s15
	s_mov_b32 s15, exec_lo
	v_cmpx_gt_u32_e64 s14, v90
	s_cbranch_execz .LBB810_935
.LBB810_950:                            ;   in Loop: Header=BB810_900 Depth=2
	v_xor_b32_e32 v40, 0x80000000, v12
	v_mov_b32_e32 v39, v11
	v_lshrrev_b64 v[39:40], s46, v[39:40]
	v_and_b32_e32 v3, s52, v39
	v_lshl_or_b32 v3, v3, 4, v93
	ds_add_u32 v3, v121
	s_or_b32 exec_lo, exec_lo, s15
	s_mov_b32 s15, exec_lo
	v_cmpx_gt_u32_e64 s14, v91
	s_cbranch_execz .LBB810_936
.LBB810_951:                            ;   in Loop: Header=BB810_900 Depth=2
	v_xor_b32_e32 v40, 0x80000000, v10
	v_mov_b32_e32 v39, v9
	v_lshrrev_b64 v[39:40], s46, v[39:40]
	v_and_b32_e32 v3, s52, v39
	v_lshl_or_b32 v3, v3, 4, v93
	ds_add_u32 v3, v121
	s_or_b32 exec_lo, exec_lo, s15
	v_cmp_gt_u32_e32 vcc_lo, s14, v92
	s_and_saveexec_b32 s14, vcc_lo
	s_cbranch_execz .LBB810_899
.LBB810_952:                            ;   in Loop: Header=BB810_900 Depth=2
	v_xor_b32_e32 v40, 0x80000000, v8
	v_mov_b32_e32 v39, v7
	v_lshrrev_b64 v[39:40], s46, v[39:40]
	v_and_b32_e32 v3, s52, v39
	v_lshl_or_b32 v3, v3, 4, v93
	ds_add_u32 v3, v121
	s_branch .LBB810_899
.LBB810_953:                            ;   in Loop: Header=BB810_900 Depth=2
	global_load_dwordx2 v[37:38], v122, s[14:15]
	s_or_b32 exec_lo, exec_lo, s17
	s_mov_b32 s17, exec_lo
	v_cmpx_gt_u32_e64 s5, v76
	s_cbranch_execz .LBB810_905
.LBB810_954:                            ;   in Loop: Header=BB810_900 Depth=2
	global_load_dwordx2 v[35:36], v123, s[14:15]
	s_or_b32 exec_lo, exec_lo, s17
	s_mov_b32 s17, exec_lo
	v_cmpx_gt_u32_e64 s5, v79
	s_cbranch_execz .LBB810_906
.LBB810_955:                            ;   in Loop: Header=BB810_900 Depth=2
	global_load_dwordx2 v[33:34], v124, s[14:15]
	s_or_b32 exec_lo, exec_lo, s17
	s_mov_b32 s17, exec_lo
	v_cmpx_gt_u32_e64 s5, v80
	s_cbranch_execz .LBB810_907
.LBB810_956:                            ;   in Loop: Header=BB810_900 Depth=2
	global_load_dwordx2 v[31:32], v125, s[14:15]
	s_or_b32 exec_lo, exec_lo, s17
	s_mov_b32 s17, exec_lo
	v_cmpx_gt_u32_e64 s5, v81
	s_cbranch_execz .LBB810_908
.LBB810_957:                            ;   in Loop: Header=BB810_900 Depth=2
	global_load_dwordx2 v[29:30], v126, s[14:15]
	s_or_b32 exec_lo, exec_lo, s17
	s_mov_b32 s17, exec_lo
	v_cmpx_gt_u32_e64 s5, v82
	s_cbranch_execz .LBB810_909
.LBB810_958:                            ;   in Loop: Header=BB810_900 Depth=2
	global_load_dwordx2 v[27:28], v127, s[14:15]
	s_or_b32 exec_lo, exec_lo, s17
	s_mov_b32 s17, exec_lo
	v_cmpx_gt_u32_e64 s5, v83
	s_cbranch_execz .LBB810_910
.LBB810_959:                            ;   in Loop: Header=BB810_900 Depth=2
	v_lshlrev_b32_e32 v3, 3, v83
	global_load_dwordx2 v[25:26], v3, s[14:15]
	s_or_b32 exec_lo, exec_lo, s17
	s_mov_b32 s17, exec_lo
	v_cmpx_gt_u32_e64 s5, v84
	s_cbranch_execz .LBB810_911
.LBB810_960:                            ;   in Loop: Header=BB810_900 Depth=2
	v_lshlrev_b32_e32 v3, 3, v84
	global_load_dwordx2 v[23:24], v3, s[14:15]
	s_or_b32 exec_lo, exec_lo, s17
	s_mov_b32 s17, exec_lo
	v_cmpx_gt_u32_e64 s5, v85
	s_cbranch_execz .LBB810_912
.LBB810_961:                            ;   in Loop: Header=BB810_900 Depth=2
	v_lshlrev_b32_e32 v3, 3, v85
	global_load_dwordx2 v[21:22], v3, s[14:15]
	s_or_b32 exec_lo, exec_lo, s17
	s_mov_b32 s17, exec_lo
	v_cmpx_gt_u32_e64 s5, v86
	s_cbranch_execz .LBB810_913
.LBB810_962:                            ;   in Loop: Header=BB810_900 Depth=2
	v_lshlrev_b32_e32 v3, 3, v86
	global_load_dwordx2 v[19:20], v3, s[14:15]
	s_or_b32 exec_lo, exec_lo, s17
	s_mov_b32 s17, exec_lo
	v_cmpx_gt_u32_e64 s5, v87
	s_cbranch_execz .LBB810_914
.LBB810_963:                            ;   in Loop: Header=BB810_900 Depth=2
	v_lshlrev_b32_e32 v3, 3, v87
	global_load_dwordx2 v[17:18], v3, s[14:15]
	s_or_b32 exec_lo, exec_lo, s17
	s_mov_b32 s17, exec_lo
	v_cmpx_gt_u32_e64 s5, v88
	s_cbranch_execz .LBB810_915
.LBB810_964:                            ;   in Loop: Header=BB810_900 Depth=2
	v_lshlrev_b32_e32 v3, 3, v88
	global_load_dwordx2 v[15:16], v3, s[14:15]
	s_or_b32 exec_lo, exec_lo, s17
	s_mov_b32 s17, exec_lo
	v_cmpx_gt_u32_e64 s5, v89
	s_cbranch_execz .LBB810_916
.LBB810_965:                            ;   in Loop: Header=BB810_900 Depth=2
	v_lshlrev_b32_e32 v3, 3, v89
	global_load_dwordx2 v[13:14], v3, s[14:15]
	s_or_b32 exec_lo, exec_lo, s17
	s_mov_b32 s17, exec_lo
	v_cmpx_gt_u32_e64 s5, v90
	s_cbranch_execz .LBB810_917
.LBB810_966:                            ;   in Loop: Header=BB810_900 Depth=2
	v_lshlrev_b32_e32 v3, 3, v90
	global_load_dwordx2 v[11:12], v3, s[14:15]
	s_or_b32 exec_lo, exec_lo, s17
	s_mov_b32 s17, exec_lo
	v_cmpx_gt_u32_e64 s5, v91
	s_cbranch_execz .LBB810_918
.LBB810_967:                            ;   in Loop: Header=BB810_900 Depth=2
	v_lshlrev_b32_e32 v3, 3, v91
	global_load_dwordx2 v[9:10], v3, s[14:15]
	s_or_b32 exec_lo, exec_lo, s17
	s_mov_b32 s17, exec_lo
	v_cmpx_gt_u32_e64 s5, v92
	s_cbranch_execnz .LBB810_919
	s_branch .LBB810_920
.LBB810_968:                            ;   in Loop: Header=BB810_12 Depth=1
	v_mov_b32_e32 v3, 0
	s_waitcnt lgkmcnt(0)
	s_barrier
	buffer_gl0_inv
	s_and_saveexec_b32 s5, s7
	s_cbranch_execz .LBB810_970
; %bb.969:                              ;   in Loop: Header=BB810_12 Depth=1
	ds_read2_b64 v[7:10], v95 offset1:1
	s_waitcnt lgkmcnt(0)
	v_add_nc_u32_e32 v3, v8, v7
	v_add3_u32 v3, v3, v9, v10
.LBB810_970:                            ;   in Loop: Header=BB810_12 Depth=1
	s_or_b32 exec_lo, exec_lo, s5
	v_and_b32_e32 v7, 15, v128
	v_mov_b32_dpp v8, v3 row_shr:1 row_mask:0xf bank_mask:0xf
	v_and_b32_e32 v9, 16, v128
	v_cmp_eq_u32_e64 s5, 0, v7
	v_cmp_lt_u32_e64 s14, 1, v7
	v_cmp_lt_u32_e64 s15, 3, v7
	v_cmp_lt_u32_e64 s16, 7, v7
	v_cmp_eq_u32_e64 s17, 0, v9
	v_cndmask_b32_e64 v8, v8, 0, s5
	v_add_nc_u32_e32 v3, v8, v3
	v_mov_b32_dpp v8, v3 row_shr:2 row_mask:0xf bank_mask:0xf
	v_cndmask_b32_e64 v8, 0, v8, s14
	v_add_nc_u32_e32 v3, v3, v8
	v_mov_b32_dpp v8, v3 row_shr:4 row_mask:0xf bank_mask:0xf
	;; [unrolled: 3-line block ×3, first 2 shown]
	v_cndmask_b32_e64 v7, 0, v8, s16
	v_bfe_i32 v8, v128, 4, 1
	v_add_nc_u32_e32 v3, v3, v7
	ds_swizzle_b32 v7, v3 offset:swizzle(BROADCAST,32,15)
	s_waitcnt lgkmcnt(0)
	v_and_b32_e32 v7, v8, v7
	v_add_nc_u32_e32 v3, v3, v7
	s_and_saveexec_b32 s18, s8
; %bb.971:                              ;   in Loop: Header=BB810_12 Depth=1
	ds_write_b32 v96, v3
; %bb.972:                              ;   in Loop: Header=BB810_12 Depth=1
	s_or_b32 exec_lo, exec_lo, s18
	s_waitcnt lgkmcnt(0)
	s_barrier
	buffer_gl0_inv
	s_and_saveexec_b32 s18, s9
	s_cbranch_execz .LBB810_974
; %bb.973:                              ;   in Loop: Header=BB810_12 Depth=1
	ds_read_b32 v7, v97
	v_and_b32_e32 v8, 3, v128
	v_cmp_ne_u32_e32 vcc_lo, 0, v8
	s_waitcnt lgkmcnt(0)
	v_mov_b32_dpp v9, v7 row_shr:1 row_mask:0xf bank_mask:0xf
	v_cndmask_b32_e32 v9, 0, v9, vcc_lo
	v_cmp_lt_u32_e32 vcc_lo, 1, v8
	v_add_nc_u32_e32 v7, v9, v7
	v_mov_b32_dpp v9, v7 row_shr:2 row_mask:0xf bank_mask:0xf
	v_cndmask_b32_e32 v8, 0, v9, vcc_lo
	v_add_nc_u32_e32 v7, v7, v8
	ds_write_b32 v97, v7
.LBB810_974:                            ;   in Loop: Header=BB810_12 Depth=1
	s_or_b32 exec_lo, exec_lo, s18
	v_mov_b32_e32 v7, 0
	s_waitcnt lgkmcnt(0)
	s_barrier
	buffer_gl0_inv
	s_and_saveexec_b32 s18, s10
; %bb.975:                              ;   in Loop: Header=BB810_12 Depth=1
	ds_read_b32 v7, v98
; %bb.976:                              ;   in Loop: Header=BB810_12 Depth=1
	s_or_b32 exec_lo, exec_lo, s18
	v_sub_co_u32 v8, s18, v128, 1
	s_waitcnt lgkmcnt(0)
	v_add_nc_u32_e32 v3, v7, v3
	s_barrier
	v_cmp_gt_i32_e32 vcc_lo, 0, v8
	buffer_gl0_inv
	v_cndmask_b32_e32 v8, v8, v128, vcc_lo
	v_lshlrev_b32_e32 v129, 2, v8
	ds_bpermute_b32 v3, v129, v3
	s_and_saveexec_b32 s19, s7
	s_cbranch_execz .LBB810_978
; %bb.977:                              ;   in Loop: Header=BB810_12 Depth=1
	s_waitcnt lgkmcnt(0)
	v_cndmask_b32_e64 v3, v3, v7, s18
	v_add_nc_u32_e32 v3, s60, v3
	ds_write_b32 v75, v3
.LBB810_978:                            ;   in Loop: Header=BB810_12 Depth=1
	s_or_b32 exec_lo, exec_lo, s19
	s_load_dwordx2 s[20:21], s[58:59], 0x0
	v_and_b32_e32 v8, 7, v128
	v_lshlrev_b32_e32 v9, 3, v128
	v_or_b32_e32 v130, v128, v99
	s_mov_b32 s63, s62
	s_mov_b32 s56, s60
                                        ; implicit-def: $vgpr11_vgpr12
                                        ; implicit-def: $vgpr13_vgpr14
                                        ; implicit-def: $vgpr15_vgpr16
                                        ; implicit-def: $vgpr19_vgpr20
                                        ; implicit-def: $vgpr23_vgpr24
                                        ; implicit-def: $vgpr27_vgpr28
                                        ; implicit-def: $vgpr17_vgpr18
                                        ; implicit-def: $vgpr21_vgpr22
                                        ; implicit-def: $vgpr25_vgpr26
                                        ; implicit-def: $vgpr29_vgpr30
                                        ; implicit-def: $vgpr31_vgpr32
                                        ; implicit-def: $vgpr33_vgpr34
                                        ; implicit-def: $vgpr35_vgpr36
                                        ; implicit-def: $vgpr37_vgpr38
                                        ; implicit-def: $vgpr151
                                        ; implicit-def: $vgpr152
                                        ; implicit-def: $vgpr153
                                        ; implicit-def: $vgpr154
                                        ; implicit-def: $vgpr155
                                        ; implicit-def: $vgpr156
                                        ; implicit-def: $vgpr157
                                        ; implicit-def: $vgpr158
                                        ; implicit-def: $vgpr159
                                        ; implicit-def: $vgpr160
                                        ; implicit-def: $vgpr161
                                        ; implicit-def: $vgpr162
                                        ; implicit-def: $vgpr163
                                        ; implicit-def: $vgpr164
                                        ; implicit-def: $vgpr166
                                        ; implicit-def: $vgpr167
                                        ; implicit-def: $vgpr165
                                        ; implicit-def: $vgpr168
	v_add_co_u32 v131, vcc_lo, v117, v9
	v_add_co_ci_u32_e64 v132, null, 0, v118, vcc_lo
	v_add_co_u32 v148, vcc_lo, v119, v9
	v_or_b32_e32 v133, 32, v130
	v_or_b32_e32 v134, 64, v130
	;; [unrolled: 1-line block ×7, first 2 shown]
	s_waitcnt lgkmcnt(0)
	s_cmp_lt_u32 s27, s21
	v_or_b32_e32 v140, 0x100, v130
	s_cselect_b32 s19, 14, 20
	v_or_b32_e32 v141, 0x120, v130
	s_add_u32 s22, s58, s19
	s_addc_u32 s23, s59, 0
	s_cmp_lt_u32 s6, s20
	global_load_ushort v3, v4, s[22:23]
	s_cselect_b32 s19, 12, 18
	v_or_b32_e32 v142, 0x140, v130
	s_add_u32 s20, s58, s19
	s_addc_u32 s21, s59, 0
	v_cmp_eq_u32_e64 s19, 0, v8
	global_load_ushort v7, v4, s[20:21]
	v_cmp_lt_u32_e64 s20, 1, v8
	v_cmp_lt_u32_e64 s21, 3, v8
	v_or_b32_e32 v143, 0x160, v130
	v_or_b32_e32 v144, 0x180, v130
	;; [unrolled: 1-line block ×5, first 2 shown]
	v_add_co_ci_u32_e64 v149, null, 0, v120, vcc_lo
                                        ; implicit-def: $vgpr9_vgpr10
	s_waitcnt vmcnt(1)
	v_mad_u32_u24 v3, v2, v3, v1
	s_waitcnt vmcnt(0)
	v_mad_u64_u32 v[7:8], null, v3, v7, v[0:1]
	v_lshrrev_b32_e32 v3, 3, v7
                                        ; implicit-def: $vgpr7_vgpr8
	v_and_b32_e32 v150, 0x1ffffffc, v3
	s_branch .LBB810_980
.LBB810_979:                            ;   in Loop: Header=BB810_980 Depth=2
	s_or_b32 exec_lo, exec_lo, s22
	s_addk_i32 s63, 0xf000
	s_cmp_lt_u32 s64, s61
	s_mov_b32 s56, s64
	s_cbranch_scc0 .LBB810_10
.LBB810_980:                            ;   Parent Loop BB810_12 Depth=1
                                        ; =>  This Inner Loop Header: Depth=2
	s_add_i32 s64, s56, 0x1000
	s_cmp_gt_u32 s64, s61
	s_cbranch_scc1 .LBB810_982
; %bb.981:                              ;   in Loop: Header=BB810_980 Depth=2
	s_lshl_b64 s[22:23], s[56:57], 3
	v_add_co_u32 v53, vcc_lo, v148, s22
	v_add_co_ci_u32_e64 v54, null, s23, v149, vcc_lo
	v_add_co_u32 v67, vcc_lo, 0x800, v53
	v_add_co_ci_u32_e64 v68, null, 0, v54, vcc_lo
	s_clause 0xe
	global_load_dwordx2 v[41:42], v[53:54], off
	global_load_dwordx2 v[39:40], v[53:54], off offset:256
	global_load_dwordx2 v[43:44], v[53:54], off offset:512
	;; [unrolled: 1-line block ×7, first 2 shown]
	global_load_dwordx2 v[55:56], v[67:68], off
	global_load_dwordx2 v[57:58], v[67:68], off offset:256
	global_load_dwordx2 v[61:62], v[67:68], off offset:512
	;; [unrolled: 1-line block ×6, first 2 shown]
	s_mov_b32 s22, -1
	s_movk_i32 s23, 0x1000
	s_cbranch_execz .LBB810_983
	s_branch .LBB810_1014
.LBB810_982:                            ;   in Loop: Header=BB810_980 Depth=2
	s_mov_b32 s22, 0
                                        ; implicit-def: $vgpr41_vgpr42
                                        ; implicit-def: $vgpr39_vgpr40
                                        ; implicit-def: $vgpr43_vgpr44
                                        ; implicit-def: $vgpr45_vgpr46
                                        ; implicit-def: $vgpr47_vgpr48
                                        ; implicit-def: $vgpr51_vgpr52
                                        ; implicit-def: $vgpr49_vgpr50
                                        ; implicit-def: $vgpr53_vgpr54
                                        ; implicit-def: $vgpr55_vgpr56
                                        ; implicit-def: $vgpr57_vgpr58
                                        ; implicit-def: $vgpr61_vgpr62
                                        ; implicit-def: $vgpr59_vgpr60
                                        ; implicit-def: $vgpr63_vgpr64
                                        ; implicit-def: $vgpr65_vgpr66
                                        ; implicit-def: $vgpr67_vgpr68
	s_movk_i32 s23, 0x1000
.LBB810_983:                            ;   in Loop: Header=BB810_980 Depth=2
	s_waitcnt vmcnt(13)
	v_mov_b32_e32 v40, v6
	v_mov_b32_e32 v39, v5
	s_lshl_b64 s[22:23], s[56:57], 3
	v_add_co_u32 v69, vcc_lo, v148, s22
	v_mov_b32_e32 v42, v40
	v_add_co_ci_u32_e64 v70, null, s23, v149, vcc_lo
	v_mov_b32_e32 v41, v39
	s_mov_b32 s22, exec_lo
	v_cmpx_gt_u32_e64 s63, v130
	s_cbranch_execz .LBB810_985
; %bb.984:                              ;   in Loop: Header=BB810_980 Depth=2
	global_load_dwordx2 v[41:42], v[69:70], off
.LBB810_985:                            ;   in Loop: Header=BB810_980 Depth=2
	s_or_b32 exec_lo, exec_lo, s22
	s_mov_b32 s22, exec_lo
	v_cmpx_gt_u32_e64 s63, v133
	s_cbranch_execz .LBB810_987
; %bb.986:                              ;   in Loop: Header=BB810_980 Depth=2
	global_load_dwordx2 v[39:40], v[69:70], off offset:256
.LBB810_987:                            ;   in Loop: Header=BB810_980 Depth=2
	s_or_b32 exec_lo, exec_lo, s22
	s_waitcnt vmcnt(12)
	v_mov_b32_e32 v44, v6
	v_mov_b32_e32 v43, v5
	s_mov_b32 s22, exec_lo
	v_cmpx_gt_u32_e64 s63, v134
	s_cbranch_execz .LBB810_989
; %bb.988:                              ;   in Loop: Header=BB810_980 Depth=2
	global_load_dwordx2 v[43:44], v[69:70], off offset:512
.LBB810_989:                            ;   in Loop: Header=BB810_980 Depth=2
	s_or_b32 exec_lo, exec_lo, s22
	s_waitcnt vmcnt(11)
	v_mov_b32_e32 v46, v6
	v_mov_b32_e32 v45, v5
	;; [unrolled: 10-line block ×7, first 2 shown]
	s_mov_b32 s22, exec_lo
	v_cmpx_gt_u32_e64 s63, v140
	s_cbranch_execz .LBB810_1001
; %bb.1000:                             ;   in Loop: Header=BB810_980 Depth=2
	v_add_co_u32 v55, vcc_lo, 0x800, v69
	v_add_co_ci_u32_e64 v56, null, 0, v70, vcc_lo
	global_load_dwordx2 v[55:56], v[55:56], off
.LBB810_1001:                           ;   in Loop: Header=BB810_980 Depth=2
	s_or_b32 exec_lo, exec_lo, s22
	s_waitcnt vmcnt(5)
	v_mov_b32_e32 v58, v6
	v_mov_b32_e32 v57, v5
	s_mov_b32 s22, exec_lo
	v_cmpx_gt_u32_e64 s63, v141
	s_cbranch_execz .LBB810_1003
; %bb.1002:                             ;   in Loop: Header=BB810_980 Depth=2
	v_add_co_u32 v57, vcc_lo, 0x800, v69
	v_add_co_ci_u32_e64 v58, null, 0, v70, vcc_lo
	global_load_dwordx2 v[57:58], v[57:58], off offset:256
.LBB810_1003:                           ;   in Loop: Header=BB810_980 Depth=2
	s_or_b32 exec_lo, exec_lo, s22
	s_waitcnt vmcnt(4)
	v_mov_b32_e32 v62, v6
	v_mov_b32_e32 v61, v5
	s_mov_b32 s22, exec_lo
	v_cmpx_gt_u32_e64 s63, v142
	s_cbranch_execz .LBB810_1005
; %bb.1004:                             ;   in Loop: Header=BB810_980 Depth=2
	s_waitcnt vmcnt(3)
	v_add_co_u32 v59, vcc_lo, 0x800, v69
	v_add_co_ci_u32_e64 v60, null, 0, v70, vcc_lo
	global_load_dwordx2 v[61:62], v[59:60], off offset:512
.LBB810_1005:                           ;   in Loop: Header=BB810_980 Depth=2
	s_or_b32 exec_lo, exec_lo, s22
	s_waitcnt vmcnt(3)
	v_mov_b32_e32 v60, v6
	v_mov_b32_e32 v59, v5
	s_mov_b32 s22, exec_lo
	v_cmpx_gt_u32_e64 s63, v143
	s_cbranch_execz .LBB810_1007
; %bb.1006:                             ;   in Loop: Header=BB810_980 Depth=2
	v_add_co_u32 v59, vcc_lo, 0x800, v69
	v_add_co_ci_u32_e64 v60, null, 0, v70, vcc_lo
	global_load_dwordx2 v[59:60], v[59:60], off offset:768
.LBB810_1007:                           ;   in Loop: Header=BB810_980 Depth=2
	s_or_b32 exec_lo, exec_lo, s22
	s_waitcnt vmcnt(2)
	v_mov_b32_e32 v64, v6
	v_mov_b32_e32 v63, v5
	s_mov_b32 s22, exec_lo
	v_cmpx_gt_u32_e64 s63, v144
	s_cbranch_execz .LBB810_1009
; %bb.1008:                             ;   in Loop: Header=BB810_980 Depth=2
	v_add_co_u32 v63, vcc_lo, 0x800, v69
	v_add_co_ci_u32_e64 v64, null, 0, v70, vcc_lo
	global_load_dwordx2 v[63:64], v[63:64], off offset:1024
.LBB810_1009:                           ;   in Loop: Header=BB810_980 Depth=2
	;; [unrolled: 12-line block ×4, first 2 shown]
	s_or_b32 exec_lo, exec_lo, s22
	v_cmp_gt_u32_e64 s22, s63, v147
	s_sub_i32 s23, s61, s56
.LBB810_1014:                           ;   in Loop: Header=BB810_980 Depth=2
	v_mov_b32_e32 v69, -1
	v_mov_b32_e32 v70, -1
	v_mov_b32_e32 v169, s63
	s_and_saveexec_b32 s24, s22
	s_cbranch_execz .LBB810_1016
; %bb.1015:                             ;   in Loop: Header=BB810_980 Depth=2
	s_lshl_b64 s[28:29], s[56:57], 3
	v_mov_b32_e32 v169, s23
	v_add_co_u32 v3, vcc_lo, v148, s28
	v_add_co_ci_u32_e64 v70, null, s29, v149, vcc_lo
	v_add_co_u32 v69, vcc_lo, 0x800, v3
	v_add_co_ci_u32_e64 v70, null, 0, v70, vcc_lo
	global_load_dwordx2 v[69:70], v[69:70], off offset:1792
	s_waitcnt vmcnt(0)
	v_xor_b32_e32 v70, 0x80000000, v70
.LBB810_1016:                           ;   in Loop: Header=BB810_980 Depth=2
	s_or_b32 exec_lo, exec_lo, s24
	s_waitcnt vmcnt(14)
	v_xor_b32_e32 v42, 0x80000000, v42
	ds_write2_b32 v100, v4, v4 offset0:136 offset1:137
	ds_write2_b32 v100, v4, v4 offset0:138 offset1:139
	ds_write_b32 v100, v4 offset:560
	s_waitcnt vmcnt(0) lgkmcnt(0)
	s_barrier
	v_lshrrev_b64 v[71:72], s46, v[41:42]
	buffer_gl0_inv
	; wave barrier
	v_and_b32_e32 v72, s52, v71
	v_and_b32_e32 v3, 1, v72
	v_lshlrev_b32_e32 v71, 30, v72
	v_lshlrev_b32_e32 v73, 29, v72
	;; [unrolled: 1-line block ×4, first 2 shown]
	v_add_co_u32 v3, s22, v3, -1
	v_cndmask_b32_e64 v74, 0, 1, s22
	v_not_b32_e32 v173, v71
	v_cmp_gt_i32_e64 s22, 0, v71
	v_not_b32_e32 v71, v73
	v_lshlrev_b32_e32 v172, 26, v72
	v_cmp_ne_u32_e32 vcc_lo, 0, v74
	v_ashrrev_i32_e32 v173, 31, v173
	v_lshlrev_b32_e32 v74, 25, v72
	v_ashrrev_i32_e32 v71, 31, v71
	v_mul_u32_u24_e32 v72, 36, v72
	v_xor_b32_e32 v3, vcc_lo, v3
	v_cmp_gt_i32_e32 vcc_lo, 0, v73
	v_not_b32_e32 v73, v170
	v_xor_b32_e32 v173, s22, v173
	v_cmp_gt_i32_e64 s22, 0, v170
	v_and_b32_e32 v3, exec_lo, v3
	v_not_b32_e32 v170, v171
	v_ashrrev_i32_e32 v73, 31, v73
	v_xor_b32_e32 v71, vcc_lo, v71
	v_cmp_gt_i32_e32 vcc_lo, 0, v171
	v_and_b32_e32 v3, v3, v173
	v_not_b32_e32 v171, v172
	v_ashrrev_i32_e32 v170, 31, v170
	v_xor_b32_e32 v73, s22, v73
	v_cmp_gt_i32_e64 s22, 0, v172
	v_and_b32_e32 v3, v3, v71
	v_not_b32_e32 v71, v74
	v_ashrrev_i32_e32 v171, 31, v171
	v_xor_b32_e32 v170, vcc_lo, v170
	v_cmp_gt_i32_e32 vcc_lo, 0, v74
	v_and_b32_e32 v3, v3, v73
	v_ashrrev_i32_e32 v71, 31, v71
	v_xor_b32_e32 v73, s22, v171
	v_and_b32_e32 v3, v3, v170
	v_xor_b32_e32 v71, vcc_lo, v71
	v_add_nc_u32_e32 v170, v150, v72
	v_and_b32_e32 v3, v3, v73
	v_and_b32_e32 v71, v3, v71
	v_mbcnt_lo_u32_b32 v3, v71, 0
	v_cmp_ne_u32_e64 s22, 0, v71
	v_cmp_eq_u32_e32 vcc_lo, 0, v3
	s_and_b32 s23, s22, vcc_lo
	s_and_saveexec_b32 s22, s23
; %bb.1017:                             ;   in Loop: Header=BB810_980 Depth=2
	v_bcnt_u32_b32 v71, v71, 0
	ds_write_b32 v170, v71 offset:544
; %bb.1018:                             ;   in Loop: Header=BB810_980 Depth=2
	s_or_b32 exec_lo, exec_lo, s22
	v_xor_b32_e32 v40, 0x80000000, v40
	; wave barrier
	v_lshrrev_b64 v[71:72], s46, v[39:40]
	v_and_b32_e32 v72, s52, v71
	v_and_b32_e32 v71, 1, v72
	v_lshlrev_b32_e32 v73, 30, v72
	v_lshlrev_b32_e32 v74, 29, v72
	v_lshlrev_b32_e32 v172, 28, v72
	v_lshlrev_b32_e32 v173, 27, v72
	v_add_co_u32 v71, s22, v71, -1
	v_cndmask_b32_e64 v171, 0, 1, s22
	v_not_b32_e32 v175, v73
	v_cmp_gt_i32_e64 s22, 0, v73
	v_not_b32_e32 v73, v74
	v_lshlrev_b32_e32 v174, 26, v72
	v_cmp_ne_u32_e32 vcc_lo, 0, v171
	v_ashrrev_i32_e32 v175, 31, v175
	v_lshlrev_b32_e32 v171, 25, v72
	v_ashrrev_i32_e32 v73, 31, v73
	v_xor_b32_e32 v71, vcc_lo, v71
	v_cmp_gt_i32_e32 vcc_lo, 0, v74
	v_not_b32_e32 v74, v172
	v_xor_b32_e32 v175, s22, v175
	v_cmp_gt_i32_e64 s22, 0, v172
	v_and_b32_e32 v71, exec_lo, v71
	v_not_b32_e32 v172, v173
	v_ashrrev_i32_e32 v74, 31, v74
	v_xor_b32_e32 v73, vcc_lo, v73
	v_cmp_gt_i32_e32 vcc_lo, 0, v173
	v_and_b32_e32 v71, v71, v175
	v_not_b32_e32 v173, v174
	v_ashrrev_i32_e32 v172, 31, v172
	v_xor_b32_e32 v74, s22, v74
	v_cmp_gt_i32_e64 s22, 0, v174
	v_and_b32_e32 v71, v71, v73
	v_not_b32_e32 v73, v171
	v_ashrrev_i32_e32 v173, 31, v173
	v_xor_b32_e32 v172, vcc_lo, v172
	v_cmp_gt_i32_e32 vcc_lo, 0, v171
	v_and_b32_e32 v71, v71, v74
	v_ashrrev_i32_e32 v73, 31, v73
	v_xor_b32_e32 v74, s22, v173
	v_mad_u32_u24 v171, v72, 36, v150
	v_mul_u32_u24_e32 v72, 36, v72
	v_and_b32_e32 v71, v71, v172
	v_xor_b32_e32 v73, vcc_lo, v73
	ds_read_b32 v171, v171 offset:544
	v_add_nc_u32_e32 v173, v150, v72
	v_and_b32_e32 v71, v71, v74
	; wave barrier
	v_and_b32_e32 v71, v71, v73
	v_mbcnt_lo_u32_b32 v172, v71, 0
	v_cmp_ne_u32_e64 s22, 0, v71
	v_cmp_eq_u32_e32 vcc_lo, 0, v172
	s_and_b32 s23, s22, vcc_lo
	s_and_saveexec_b32 s22, s23
	s_cbranch_execz .LBB810_1020
; %bb.1019:                             ;   in Loop: Header=BB810_980 Depth=2
	s_waitcnt lgkmcnt(0)
	v_bcnt_u32_b32 v71, v71, v171
	ds_write_b32 v173, v71 offset:544
.LBB810_1020:                           ;   in Loop: Header=BB810_980 Depth=2
	s_or_b32 exec_lo, exec_lo, s22
	v_xor_b32_e32 v44, 0x80000000, v44
	; wave barrier
	v_lshrrev_b64 v[71:72], s46, v[43:44]
	v_and_b32_e32 v72, s52, v71
	v_and_b32_e32 v71, 1, v72
	v_lshlrev_b32_e32 v73, 30, v72
	v_lshlrev_b32_e32 v74, 29, v72
	v_lshlrev_b32_e32 v175, 28, v72
	v_lshlrev_b32_e32 v176, 27, v72
	v_add_co_u32 v71, s22, v71, -1
	v_cndmask_b32_e64 v174, 0, 1, s22
	v_not_b32_e32 v178, v73
	v_cmp_gt_i32_e64 s22, 0, v73
	v_not_b32_e32 v73, v74
	v_lshlrev_b32_e32 v177, 26, v72
	v_cmp_ne_u32_e32 vcc_lo, 0, v174
	v_ashrrev_i32_e32 v178, 31, v178
	v_lshlrev_b32_e32 v174, 25, v72
	v_ashrrev_i32_e32 v73, 31, v73
	v_xor_b32_e32 v71, vcc_lo, v71
	v_cmp_gt_i32_e32 vcc_lo, 0, v74
	v_not_b32_e32 v74, v175
	v_xor_b32_e32 v178, s22, v178
	v_cmp_gt_i32_e64 s22, 0, v175
	v_and_b32_e32 v71, exec_lo, v71
	v_not_b32_e32 v175, v176
	v_ashrrev_i32_e32 v74, 31, v74
	v_xor_b32_e32 v73, vcc_lo, v73
	v_cmp_gt_i32_e32 vcc_lo, 0, v176
	v_and_b32_e32 v71, v71, v178
	v_not_b32_e32 v176, v177
	v_ashrrev_i32_e32 v175, 31, v175
	v_xor_b32_e32 v74, s22, v74
	v_cmp_gt_i32_e64 s22, 0, v177
	v_and_b32_e32 v71, v71, v73
	v_not_b32_e32 v73, v174
	v_ashrrev_i32_e32 v176, 31, v176
	v_xor_b32_e32 v175, vcc_lo, v175
	v_cmp_gt_i32_e32 vcc_lo, 0, v174
	v_and_b32_e32 v71, v71, v74
	v_ashrrev_i32_e32 v73, 31, v73
	v_xor_b32_e32 v74, s22, v176
	v_mad_u32_u24 v174, v72, 36, v150
	v_mul_u32_u24_e32 v72, 36, v72
	v_and_b32_e32 v71, v71, v175
	v_xor_b32_e32 v73, vcc_lo, v73
	ds_read_b32 v174, v174 offset:544
	v_add_nc_u32_e32 v176, v150, v72
	v_and_b32_e32 v71, v71, v74
	; wave barrier
	v_and_b32_e32 v71, v71, v73
	v_mbcnt_lo_u32_b32 v175, v71, 0
	v_cmp_ne_u32_e64 s22, 0, v71
	v_cmp_eq_u32_e32 vcc_lo, 0, v175
	s_and_b32 s23, s22, vcc_lo
	s_and_saveexec_b32 s22, s23
	s_cbranch_execz .LBB810_1022
; %bb.1021:                             ;   in Loop: Header=BB810_980 Depth=2
	s_waitcnt lgkmcnt(0)
	v_bcnt_u32_b32 v71, v71, v174
	ds_write_b32 v176, v71 offset:544
.LBB810_1022:                           ;   in Loop: Header=BB810_980 Depth=2
	;; [unrolled: 63-line block ×14, first 2 shown]
	s_or_b32 exec_lo, exec_lo, s22
	v_lshrrev_b64 v[71:72], s46, v[69:70]
	; wave barrier
	v_and_b32_e32 v72, s52, v71
	v_and_b32_e32 v71, 1, v72
	v_lshlrev_b32_e32 v73, 30, v72
	v_lshlrev_b32_e32 v74, 29, v72
	v_lshlrev_b32_e32 v213, 28, v72
	v_lshlrev_b32_e32 v215, 27, v72
	v_add_co_u32 v71, s22, v71, -1
	v_cndmask_b32_e64 v212, 0, 1, s22
	v_not_b32_e32 v217, v73
	v_cmp_gt_i32_e64 s22, 0, v73
	v_not_b32_e32 v73, v74
	v_lshlrev_b32_e32 v216, 26, v72
	v_cmp_ne_u32_e32 vcc_lo, 0, v212
	v_ashrrev_i32_e32 v217, 31, v217
	v_lshlrev_b32_e32 v212, 25, v72
	v_ashrrev_i32_e32 v73, 31, v73
	v_xor_b32_e32 v71, vcc_lo, v71
	v_cmp_gt_i32_e32 vcc_lo, 0, v74
	v_not_b32_e32 v74, v213
	v_xor_b32_e32 v217, s22, v217
	v_cmp_gt_i32_e64 s22, 0, v213
	v_and_b32_e32 v71, exec_lo, v71
	v_not_b32_e32 v213, v215
	v_ashrrev_i32_e32 v74, 31, v74
	v_xor_b32_e32 v73, vcc_lo, v73
	v_cmp_gt_i32_e32 vcc_lo, 0, v215
	v_and_b32_e32 v71, v71, v217
	v_not_b32_e32 v215, v216
	v_ashrrev_i32_e32 v213, 31, v213
	v_xor_b32_e32 v74, s22, v74
	v_cmp_gt_i32_e64 s22, 0, v216
	v_and_b32_e32 v71, v71, v73
	v_not_b32_e32 v73, v212
	v_ashrrev_i32_e32 v215, 31, v215
	v_xor_b32_e32 v213, vcc_lo, v213
	v_cmp_gt_i32_e32 vcc_lo, 0, v212
	v_and_b32_e32 v71, v71, v74
	v_ashrrev_i32_e32 v73, 31, v73
	v_xor_b32_e32 v74, s22, v215
	v_mad_u32_u24 v212, v72, 36, v150
	v_mul_u32_u24_e32 v72, 36, v72
	v_and_b32_e32 v71, v71, v213
	v_xor_b32_e32 v73, vcc_lo, v73
	ds_read_b32 v212, v212 offset:544
	v_add_nc_u32_e32 v215, v150, v72
	v_and_b32_e32 v71, v71, v74
	; wave barrier
	v_and_b32_e32 v71, v71, v73
	v_mbcnt_lo_u32_b32 v213, v71, 0
	v_cmp_ne_u32_e64 s22, 0, v71
	v_cmp_eq_u32_e32 vcc_lo, 0, v213
	s_and_b32 s23, s22, vcc_lo
	s_and_saveexec_b32 s22, s23
	s_cbranch_execz .LBB810_1048
; %bb.1047:                             ;   in Loop: Header=BB810_980 Depth=2
	s_waitcnt lgkmcnt(0)
	v_bcnt_u32_b32 v71, v71, v212
	ds_write_b32 v215, v71 offset:544
.LBB810_1048:                           ;   in Loop: Header=BB810_980 Depth=2
	s_or_b32 exec_lo, exec_lo, s22
	; wave barrier
	s_waitcnt lgkmcnt(0)
	s_barrier
	buffer_gl0_inv
	ds_read2_b32 v[73:74], v100 offset0:136 offset1:137
	ds_read2_b32 v[71:72], v100 offset0:138 offset1:139
	ds_read_b32 v216, v100 offset:560
	s_waitcnt lgkmcnt(1)
	v_add3_u32 v217, v74, v73, v71
	s_waitcnt lgkmcnt(0)
	v_add3_u32 v216, v217, v72, v216
	v_mov_b32_dpp v217, v216 row_shr:1 row_mask:0xf bank_mask:0xf
	v_cndmask_b32_e64 v217, v217, 0, s5
	v_add_nc_u32_e32 v216, v217, v216
	v_mov_b32_dpp v217, v216 row_shr:2 row_mask:0xf bank_mask:0xf
	v_cndmask_b32_e64 v217, 0, v217, s14
	v_add_nc_u32_e32 v216, v216, v217
	;; [unrolled: 3-line block ×4, first 2 shown]
	ds_swizzle_b32 v217, v216 offset:swizzle(BROADCAST,32,15)
	s_waitcnt lgkmcnt(0)
	v_cndmask_b32_e64 v217, v217, 0, s17
	v_add_nc_u32_e32 v216, v216, v217
	s_and_saveexec_b32 s22, s4
; %bb.1049:                             ;   in Loop: Header=BB810_980 Depth=2
	ds_write_b32 v94, v216 offset:512
; %bb.1050:                             ;   in Loop: Header=BB810_980 Depth=2
	s_or_b32 exec_lo, exec_lo, s22
	s_waitcnt lgkmcnt(0)
	s_barrier
	buffer_gl0_inv
	s_and_saveexec_b32 s22, s11
	s_cbranch_execz .LBB810_1052
; %bb.1051:                             ;   in Loop: Header=BB810_980 Depth=2
	ds_read_b32 v217, v101 offset:512
	s_waitcnt lgkmcnt(0)
	v_mov_b32_dpp v218, v217 row_shr:1 row_mask:0xf bank_mask:0xf
	v_cndmask_b32_e64 v218, v218, 0, s19
	v_add_nc_u32_e32 v217, v218, v217
	v_mov_b32_dpp v218, v217 row_shr:2 row_mask:0xf bank_mask:0xf
	v_cndmask_b32_e64 v218, 0, v218, s20
	v_add_nc_u32_e32 v217, v217, v218
	;; [unrolled: 3-line block ×3, first 2 shown]
	ds_write_b32 v101, v217 offset:512
.LBB810_1052:                           ;   in Loop: Header=BB810_980 Depth=2
	s_or_b32 exec_lo, exec_lo, s22
	v_mov_b32_e32 v217, 0
	s_waitcnt lgkmcnt(0)
	s_barrier
	buffer_gl0_inv
	s_and_saveexec_b32 s22, s10
; %bb.1053:                             ;   in Loop: Header=BB810_980 Depth=2
	ds_read_b32 v217, v94 offset:508
; %bb.1054:                             ;   in Loop: Header=BB810_980 Depth=2
	s_or_b32 exec_lo, exec_lo, s22
	s_waitcnt lgkmcnt(0)
	v_add_nc_u32_e32 v216, v217, v216
	ds_bpermute_b32 v216, v129, v216
	s_waitcnt lgkmcnt(0)
	v_cndmask_b32_e64 v216, v216, v217, s18
	v_cndmask_b32_e64 v216, v216, 0, s12
	v_add_nc_u32_e32 v73, v216, v73
	v_add_nc_u32_e32 v74, v73, v74
	;; [unrolled: 1-line block ×4, first 2 shown]
	ds_write2_b32 v100, v216, v73 offset0:136 offset1:137
	ds_write2_b32 v100, v74, v71 offset0:138 offset1:139
	ds_write_b32 v100, v72 offset:560
	s_waitcnt lgkmcnt(0)
	s_barrier
	buffer_gl0_inv
	ds_read_b32 v71, v170 offset:544
	ds_read_b32 v219, v173 offset:544
	;; [unrolled: 1-line block ×16, first 2 shown]
	s_and_saveexec_b32 s22, s7
	s_cbranch_execz .LBB810_1058
; %bb.1055:                             ;   in Loop: Header=BB810_980 Depth=2
	ds_read_b32 v165, v103 offset:544
	v_mov_b32_e32 v168, 0x1000
	s_and_saveexec_b32 s23, s13
; %bb.1056:                             ;   in Loop: Header=BB810_980 Depth=2
	ds_read_b32 v168, v102 offset:544
; %bb.1057:                             ;   in Loop: Header=BB810_980 Depth=2
	s_or_b32 exec_lo, exec_lo, s23
	s_waitcnt lgkmcnt(0)
	v_sub_nc_u32_e32 v168, v168, v165
.LBB810_1058:                           ;   in Loop: Header=BB810_980 Depth=2
	s_or_b32 exec_lo, exec_lo, s22
	s_waitcnt lgkmcnt(0)
	s_barrier
	buffer_gl0_inv
	s_and_saveexec_b32 s22, s7
	s_cbranch_execz .LBB810_1060
; %bb.1059:                             ;   in Loop: Header=BB810_980 Depth=2
	ds_read_b32 v196, v75
	s_waitcnt lgkmcnt(0)
	v_sub_nc_u32_e32 v196, v196, v165
	ds_write_b32 v75, v196
.LBB810_1060:                           ;   in Loop: Header=BB810_980 Depth=2
	s_or_b32 exec_lo, exec_lo, s22
	v_lshlrev_b32_e32 v3, 3, v3
	v_lshlrev_b32_e32 v172, 3, v172
	;; [unrolled: 1-line block ×5, first 2 shown]
	v_lshl_add_u32 v71, v71, 3, v3
	v_lshlrev_b32_e32 v3, 3, v174
	v_lshlrev_b32_e32 v174, 3, v72
	v_add3_u32 v72, v172, v171, v196
	v_lshlrev_b32_e32 v178, 3, v178
	ds_write_b64 v71, v[41:42] offset:512
	v_lshlrev_b32_e32 v42, 3, v177
	v_lshlrev_b32_e32 v171, 3, v218
	;; [unrolled: 1-line block ×8, first 2 shown]
	ds_write_b64 v72, v[39:40] offset:512
	v_add3_u32 v41, v175, v3, v174
	v_lshlrev_b32_e32 v3, 3, v187
	v_lshlrev_b32_e32 v39, 3, v186
	;; [unrolled: 1-line block ×3, first 2 shown]
	v_add3_u32 v42, v178, v42, v171
	v_add3_u32 v73, v172, v177, v74
	;; [unrolled: 1-line block ×3, first 2 shown]
	ds_write_b64 v41, v[43:44] offset:512
	ds_write_b64 v42, v[45:46] offset:512
	;; [unrolled: 1-line block ×4, first 2 shown]
	v_add3_u32 v43, v3, v39, v40
	v_lshlrev_b32_e32 v3, 3, v190
	v_lshlrev_b32_e32 v39, 3, v189
	v_lshlrev_b32_e32 v40, 3, v216
	v_lshlrev_b32_e32 v45, 3, v193
	v_lshlrev_b32_e32 v46, 3, v191
	v_lshlrev_b32_e32 v47, 3, v192
	v_lshlrev_b32_e32 v48, 3, v195
	v_lshlrev_b32_e32 v51, 3, v194
	v_lshlrev_b32_e32 v52, 3, v188
	v_lshlrev_b32_e32 v171, 3, v198
	v_lshlrev_b32_e32 v172, 3, v197
	v_lshlrev_b32_e32 v174, 3, v185
	v_add3_u32 v44, v3, v39, v40
	v_lshlrev_b32_e32 v3, 3, v201
	v_lshlrev_b32_e32 v39, 3, v200
	;; [unrolled: 1-line block ×3, first 2 shown]
	v_add3_u32 v45, v45, v46, v47
	v_add3_u32 v46, v48, v51, v52
	;; [unrolled: 1-line block ×3, first 2 shown]
	ds_write_b64 v43, v[49:50] offset:512
	ds_write_b64 v44, v[53:54] offset:512
	;; [unrolled: 1-line block ×5, first 2 shown]
	v_add3_u32 v48, v3, v39, v40
	v_lshlrev_b32_e32 v3, 3, v204
	v_lshlrev_b32_e32 v39, 3, v203
	;; [unrolled: 1-line block ×12, first 2 shown]
	v_add3_u32 v49, v3, v39, v40
	v_add3_u32 v50, v50, v51, v52
	;; [unrolled: 1-line block ×3, first 2 shown]
	v_cmp_lt_u32_e32 vcc_lo, v0, v169
	v_add3_u32 v52, v56, v57, v58
	ds_write_b64 v48, v[59:60] offset:512
	ds_write_b64 v49, v[63:64] offset:512
	;; [unrolled: 1-line block ×5, first 2 shown]
	s_waitcnt lgkmcnt(0)
	s_barrier
	buffer_gl0_inv
	s_and_saveexec_b32 s23, vcc_lo
	s_cbranch_execnz .LBB810_1129
; %bb.1061:                             ;   in Loop: Header=BB810_980 Depth=2
	s_or_b32 exec_lo, exec_lo, s23
	v_cmp_lt_u32_e64 s22, v76, v169
	s_and_saveexec_b32 s24, s22
	s_cbranch_execnz .LBB810_1130
.LBB810_1062:                           ;   in Loop: Header=BB810_980 Depth=2
	s_or_b32 exec_lo, exec_lo, s24
	v_cmp_lt_u32_e64 s23, v79, v169
	s_and_saveexec_b32 s25, s23
	s_cbranch_execnz .LBB810_1131
.LBB810_1063:                           ;   in Loop: Header=BB810_980 Depth=2
	s_or_b32 exec_lo, exec_lo, s25
	v_cmp_lt_u32_e64 s24, v80, v169
	s_and_saveexec_b32 s26, s24
	s_cbranch_execnz .LBB810_1132
.LBB810_1064:                           ;   in Loop: Header=BB810_980 Depth=2
	s_or_b32 exec_lo, exec_lo, s26
	v_cmp_lt_u32_e64 s25, v81, v169
	s_and_saveexec_b32 s28, s25
	s_cbranch_execnz .LBB810_1133
.LBB810_1065:                           ;   in Loop: Header=BB810_980 Depth=2
	s_or_b32 exec_lo, exec_lo, s28
	v_cmp_lt_u32_e64 s26, v82, v169
	s_and_saveexec_b32 s29, s26
	s_cbranch_execnz .LBB810_1134
.LBB810_1066:                           ;   in Loop: Header=BB810_980 Depth=2
	s_or_b32 exec_lo, exec_lo, s29
	v_cmp_lt_u32_e64 s28, v83, v169
	s_and_saveexec_b32 s30, s28
	s_cbranch_execnz .LBB810_1135
.LBB810_1067:                           ;   in Loop: Header=BB810_980 Depth=2
	s_or_b32 exec_lo, exec_lo, s30
	v_cmp_lt_u32_e64 s29, v84, v169
	s_and_saveexec_b32 s31, s29
	s_cbranch_execnz .LBB810_1136
.LBB810_1068:                           ;   in Loop: Header=BB810_980 Depth=2
	s_or_b32 exec_lo, exec_lo, s31
	v_cmp_lt_u32_e64 s30, v85, v169
	s_and_saveexec_b32 s33, s30
	s_cbranch_execnz .LBB810_1137
.LBB810_1069:                           ;   in Loop: Header=BB810_980 Depth=2
	s_or_b32 exec_lo, exec_lo, s33
	v_cmp_lt_u32_e64 s31, v86, v169
	s_and_saveexec_b32 s34, s31
	s_cbranch_execnz .LBB810_1138
.LBB810_1070:                           ;   in Loop: Header=BB810_980 Depth=2
	s_or_b32 exec_lo, exec_lo, s34
	v_cmp_lt_u32_e64 s33, v87, v169
	s_and_saveexec_b32 s35, s33
	s_cbranch_execnz .LBB810_1139
.LBB810_1071:                           ;   in Loop: Header=BB810_980 Depth=2
	s_or_b32 exec_lo, exec_lo, s35
	v_cmp_lt_u32_e64 s34, v88, v169
	s_and_saveexec_b32 s36, s34
	s_cbranch_execnz .LBB810_1140
.LBB810_1072:                           ;   in Loop: Header=BB810_980 Depth=2
	s_or_b32 exec_lo, exec_lo, s36
	v_cmp_lt_u32_e64 s35, v89, v169
	s_and_saveexec_b32 s37, s35
	s_cbranch_execnz .LBB810_1141
.LBB810_1073:                           ;   in Loop: Header=BB810_980 Depth=2
	s_or_b32 exec_lo, exec_lo, s37
	v_cmp_lt_u32_e64 s36, v90, v169
	s_and_saveexec_b32 s38, s36
	s_cbranch_execnz .LBB810_1142
.LBB810_1074:                           ;   in Loop: Header=BB810_980 Depth=2
	s_or_b32 exec_lo, exec_lo, s38
	v_cmp_lt_u32_e64 s37, v91, v169
	s_and_saveexec_b32 s39, s37
	s_cbranch_execnz .LBB810_1143
.LBB810_1075:                           ;   in Loop: Header=BB810_980 Depth=2
	s_or_b32 exec_lo, exec_lo, s39
	v_cmp_lt_u32_e64 s38, v92, v169
	s_and_saveexec_b32 s65, s38
	s_cbranch_execz .LBB810_1077
.LBB810_1076:                           ;   in Loop: Header=BB810_980 Depth=2
	ds_read_b64 v[39:40], v108 offset:31232
	s_waitcnt lgkmcnt(0)
	v_lshrrev_b64 v[53:54], s46, v[39:40]
	v_xor_b32_e32 v40, 0x80000000, v40
	v_and_b32_e32 v3, s52, v53
	v_lshlrev_b32_e32 v3, 2, v3
	ds_read_b32 v3, v3
	s_waitcnt lgkmcnt(0)
	v_add_nc_u32_e32 v3, v3, v92
	v_lshlrev_b64 v[53:54], 3, v[3:4]
	v_add_co_u32 v53, s39, s44, v53
	v_add_co_ci_u32_e64 v54, null, s45, v54, s39
	global_store_dwordx2 v[53:54], v[39:40], off
.LBB810_1077:                           ;   in Loop: Header=BB810_980 Depth=2
	s_or_b32 exec_lo, exec_lo, s65
	s_lshl_b64 s[66:67], s[56:57], 3
	v_add_co_u32 v39, s39, v131, s66
	v_add_co_ci_u32_e64 v40, null, s67, v132, s39
	v_cmp_lt_u32_e64 s39, v130, v169
	s_and_saveexec_b32 s56, s39
	s_xor_b32 s39, exec_lo, s56
	s_cbranch_execnz .LBB810_1144
; %bb.1078:                             ;   in Loop: Header=BB810_980 Depth=2
	s_or_b32 exec_lo, exec_lo, s39
	s_mov_b32 s56, exec_lo
	v_cmpx_lt_u32_e64 v133, v169
	s_cbranch_execnz .LBB810_1145
.LBB810_1079:                           ;   in Loop: Header=BB810_980 Depth=2
	s_or_b32 exec_lo, exec_lo, s56
	s_mov_b32 s56, exec_lo
	v_cmpx_lt_u32_e64 v134, v169
	s_cbranch_execnz .LBB810_1146
.LBB810_1080:                           ;   in Loop: Header=BB810_980 Depth=2
	s_or_b32 exec_lo, exec_lo, s56
	s_mov_b32 s56, exec_lo
	v_cmpx_lt_u32_e64 v135, v169
	s_cbranch_execnz .LBB810_1147
.LBB810_1081:                           ;   in Loop: Header=BB810_980 Depth=2
	s_or_b32 exec_lo, exec_lo, s56
	s_mov_b32 s56, exec_lo
	v_cmpx_lt_u32_e64 v136, v169
	s_cbranch_execnz .LBB810_1148
.LBB810_1082:                           ;   in Loop: Header=BB810_980 Depth=2
	s_or_b32 exec_lo, exec_lo, s56
	s_mov_b32 s56, exec_lo
	v_cmpx_lt_u32_e64 v137, v169
	s_cbranch_execnz .LBB810_1149
.LBB810_1083:                           ;   in Loop: Header=BB810_980 Depth=2
	s_or_b32 exec_lo, exec_lo, s56
	s_mov_b32 s56, exec_lo
	v_cmpx_lt_u32_e64 v138, v169
	s_cbranch_execnz .LBB810_1150
.LBB810_1084:                           ;   in Loop: Header=BB810_980 Depth=2
	s_or_b32 exec_lo, exec_lo, s56
	s_mov_b32 s56, exec_lo
	v_cmpx_lt_u32_e64 v139, v169
	s_cbranch_execnz .LBB810_1151
.LBB810_1085:                           ;   in Loop: Header=BB810_980 Depth=2
	s_or_b32 exec_lo, exec_lo, s56
	s_mov_b32 s56, exec_lo
	v_cmpx_lt_u32_e64 v140, v169
	s_cbranch_execnz .LBB810_1152
.LBB810_1086:                           ;   in Loop: Header=BB810_980 Depth=2
	s_or_b32 exec_lo, exec_lo, s56
	s_mov_b32 s56, exec_lo
	v_cmpx_lt_u32_e64 v141, v169
	s_cbranch_execnz .LBB810_1153
.LBB810_1087:                           ;   in Loop: Header=BB810_980 Depth=2
	s_or_b32 exec_lo, exec_lo, s56
	s_mov_b32 s56, exec_lo
	v_cmpx_lt_u32_e64 v142, v169
	s_cbranch_execnz .LBB810_1154
.LBB810_1088:                           ;   in Loop: Header=BB810_980 Depth=2
	s_or_b32 exec_lo, exec_lo, s56
	s_mov_b32 s56, exec_lo
	v_cmpx_lt_u32_e64 v143, v169
	s_cbranch_execnz .LBB810_1155
.LBB810_1089:                           ;   in Loop: Header=BB810_980 Depth=2
	s_or_b32 exec_lo, exec_lo, s56
	s_mov_b32 s56, exec_lo
	v_cmpx_lt_u32_e64 v144, v169
	s_cbranch_execnz .LBB810_1156
.LBB810_1090:                           ;   in Loop: Header=BB810_980 Depth=2
	s_or_b32 exec_lo, exec_lo, s56
	s_mov_b32 s56, exec_lo
	v_cmpx_lt_u32_e64 v145, v169
	s_cbranch_execnz .LBB810_1157
.LBB810_1091:                           ;   in Loop: Header=BB810_980 Depth=2
	s_or_b32 exec_lo, exec_lo, s56
	s_mov_b32 s56, exec_lo
	v_cmpx_lt_u32_e64 v146, v169
	s_cbranch_execnz .LBB810_1158
.LBB810_1092:                           ;   in Loop: Header=BB810_980 Depth=2
	s_or_b32 exec_lo, exec_lo, s56
	s_mov_b32 s56, exec_lo
	v_cmpx_lt_u32_e64 v147, v169
	s_cbranch_execnz .LBB810_1159
.LBB810_1093:                           ;   in Loop: Header=BB810_980 Depth=2
	s_or_b32 exec_lo, exec_lo, s56
	s_and_saveexec_b32 s39, vcc_lo
	s_cbranch_execnz .LBB810_1160
.LBB810_1094:                           ;   in Loop: Header=BB810_980 Depth=2
	s_or_b32 exec_lo, exec_lo, s39
	s_and_saveexec_b32 s39, s22
	s_cbranch_execnz .LBB810_1161
.LBB810_1095:                           ;   in Loop: Header=BB810_980 Depth=2
	s_or_b32 exec_lo, exec_lo, s39
	s_and_saveexec_b32 s39, s23
	s_cbranch_execnz .LBB810_1162
.LBB810_1096:                           ;   in Loop: Header=BB810_980 Depth=2
	s_or_b32 exec_lo, exec_lo, s39
	s_and_saveexec_b32 s39, s24
	s_cbranch_execnz .LBB810_1163
.LBB810_1097:                           ;   in Loop: Header=BB810_980 Depth=2
	s_or_b32 exec_lo, exec_lo, s39
	s_and_saveexec_b32 s39, s25
	s_cbranch_execnz .LBB810_1164
.LBB810_1098:                           ;   in Loop: Header=BB810_980 Depth=2
	s_or_b32 exec_lo, exec_lo, s39
	s_and_saveexec_b32 s39, s26
	s_cbranch_execnz .LBB810_1165
.LBB810_1099:                           ;   in Loop: Header=BB810_980 Depth=2
	s_or_b32 exec_lo, exec_lo, s39
	s_and_saveexec_b32 s39, s28
	s_cbranch_execnz .LBB810_1166
.LBB810_1100:                           ;   in Loop: Header=BB810_980 Depth=2
	s_or_b32 exec_lo, exec_lo, s39
	s_and_saveexec_b32 s39, s29
	s_cbranch_execnz .LBB810_1167
.LBB810_1101:                           ;   in Loop: Header=BB810_980 Depth=2
	s_or_b32 exec_lo, exec_lo, s39
	s_and_saveexec_b32 s39, s30
	s_cbranch_execnz .LBB810_1168
.LBB810_1102:                           ;   in Loop: Header=BB810_980 Depth=2
	s_or_b32 exec_lo, exec_lo, s39
	s_and_saveexec_b32 s39, s31
	s_cbranch_execnz .LBB810_1169
.LBB810_1103:                           ;   in Loop: Header=BB810_980 Depth=2
	s_or_b32 exec_lo, exec_lo, s39
	s_and_saveexec_b32 s39, s33
	s_cbranch_execnz .LBB810_1170
.LBB810_1104:                           ;   in Loop: Header=BB810_980 Depth=2
	s_or_b32 exec_lo, exec_lo, s39
	s_and_saveexec_b32 s39, s34
	s_cbranch_execnz .LBB810_1171
.LBB810_1105:                           ;   in Loop: Header=BB810_980 Depth=2
	s_or_b32 exec_lo, exec_lo, s39
	s_and_saveexec_b32 s39, s35
	s_cbranch_execnz .LBB810_1172
.LBB810_1106:                           ;   in Loop: Header=BB810_980 Depth=2
	s_or_b32 exec_lo, exec_lo, s39
	s_and_saveexec_b32 s39, s36
	s_cbranch_execnz .LBB810_1173
.LBB810_1107:                           ;   in Loop: Header=BB810_980 Depth=2
	s_or_b32 exec_lo, exec_lo, s39
	s_and_saveexec_b32 s39, s37
	s_cbranch_execnz .LBB810_1174
.LBB810_1108:                           ;   in Loop: Header=BB810_980 Depth=2
	s_or_b32 exec_lo, exec_lo, s39
	s_and_saveexec_b32 s39, s38
	s_cbranch_execz .LBB810_1110
.LBB810_1109:                           ;   in Loop: Header=BB810_980 Depth=2
	ds_read_b64 v[39:40], v108 offset:31232
	s_waitcnt lgkmcnt(0)
	v_lshrrev_b64 v[39:40], s46, v[39:40]
	v_and_b32_e32 v151, s52, v39
.LBB810_1110:                           ;   in Loop: Header=BB810_980 Depth=2
	s_or_b32 exec_lo, exec_lo, s39
	s_waitcnt vmcnt(0)
	s_waitcnt_vscnt null, 0x0
	s_barrier
	buffer_gl0_inv
	ds_write_b64 v71, v[37:38] offset:512
	ds_write_b64 v72, v[35:36] offset:512
	;; [unrolled: 1-line block ×16, first 2 shown]
	s_waitcnt lgkmcnt(0)
	s_barrier
	buffer_gl0_inv
	s_and_saveexec_b32 s39, vcc_lo
	s_cbranch_execnz .LBB810_1175
; %bb.1111:                             ;   in Loop: Header=BB810_980 Depth=2
	s_or_b32 exec_lo, exec_lo, s39
	s_and_saveexec_b32 s39, s22
	s_cbranch_execnz .LBB810_1176
.LBB810_1112:                           ;   in Loop: Header=BB810_980 Depth=2
	s_or_b32 exec_lo, exec_lo, s39
	s_and_saveexec_b32 s22, s23
	s_cbranch_execnz .LBB810_1177
.LBB810_1113:                           ;   in Loop: Header=BB810_980 Depth=2
	s_or_b32 exec_lo, exec_lo, s22
	s_and_saveexec_b32 s22, s24
	s_cbranch_execnz .LBB810_1178
.LBB810_1114:                           ;   in Loop: Header=BB810_980 Depth=2
	s_or_b32 exec_lo, exec_lo, s22
	s_and_saveexec_b32 s22, s25
	s_cbranch_execnz .LBB810_1179
.LBB810_1115:                           ;   in Loop: Header=BB810_980 Depth=2
	s_or_b32 exec_lo, exec_lo, s22
	s_and_saveexec_b32 s22, s26
	s_cbranch_execnz .LBB810_1180
.LBB810_1116:                           ;   in Loop: Header=BB810_980 Depth=2
	s_or_b32 exec_lo, exec_lo, s22
	s_and_saveexec_b32 s22, s28
	s_cbranch_execnz .LBB810_1181
.LBB810_1117:                           ;   in Loop: Header=BB810_980 Depth=2
	s_or_b32 exec_lo, exec_lo, s22
	s_and_saveexec_b32 s22, s29
	s_cbranch_execnz .LBB810_1182
.LBB810_1118:                           ;   in Loop: Header=BB810_980 Depth=2
	s_or_b32 exec_lo, exec_lo, s22
	s_and_saveexec_b32 s22, s30
	s_cbranch_execnz .LBB810_1183
.LBB810_1119:                           ;   in Loop: Header=BB810_980 Depth=2
	s_or_b32 exec_lo, exec_lo, s22
	s_and_saveexec_b32 s22, s31
	s_cbranch_execnz .LBB810_1184
.LBB810_1120:                           ;   in Loop: Header=BB810_980 Depth=2
	s_or_b32 exec_lo, exec_lo, s22
	s_and_saveexec_b32 s22, s33
	s_cbranch_execnz .LBB810_1185
.LBB810_1121:                           ;   in Loop: Header=BB810_980 Depth=2
	s_or_b32 exec_lo, exec_lo, s22
	s_and_saveexec_b32 s22, s34
	s_cbranch_execnz .LBB810_1186
.LBB810_1122:                           ;   in Loop: Header=BB810_980 Depth=2
	s_or_b32 exec_lo, exec_lo, s22
	s_and_saveexec_b32 s22, s35
	s_cbranch_execnz .LBB810_1187
.LBB810_1123:                           ;   in Loop: Header=BB810_980 Depth=2
	s_or_b32 exec_lo, exec_lo, s22
	s_and_saveexec_b32 s22, s36
	s_cbranch_execnz .LBB810_1188
.LBB810_1124:                           ;   in Loop: Header=BB810_980 Depth=2
	s_or_b32 exec_lo, exec_lo, s22
	s_and_saveexec_b32 s22, s37
	s_cbranch_execnz .LBB810_1189
.LBB810_1125:                           ;   in Loop: Header=BB810_980 Depth=2
	s_or_b32 exec_lo, exec_lo, s22
	s_and_saveexec_b32 s22, s38
	s_cbranch_execz .LBB810_1127
.LBB810_1126:                           ;   in Loop: Header=BB810_980 Depth=2
	v_lshlrev_b32_e32 v3, 2, v151
	ds_read_b32 v3, v3
	ds_read_b64 v[39:40], v108 offset:31232
	s_waitcnt lgkmcnt(1)
	v_add_nc_u32_e32 v3, v3, v92
	v_lshlrev_b64 v[41:42], 3, v[3:4]
	v_add_co_u32 v41, vcc_lo, s50, v41
	v_add_co_ci_u32_e64 v42, null, s51, v42, vcc_lo
	s_waitcnt lgkmcnt(0)
	global_store_dwordx2 v[41:42], v[39:40], off
.LBB810_1127:                           ;   in Loop: Header=BB810_980 Depth=2
	s_or_b32 exec_lo, exec_lo, s22
	s_waitcnt_vscnt null, 0x0
	s_barrier
	buffer_gl0_inv
	s_and_saveexec_b32 s22, s7
	s_cbranch_execz .LBB810_979
; %bb.1128:                             ;   in Loop: Header=BB810_980 Depth=2
	ds_read_b32 v3, v75
	s_waitcnt lgkmcnt(0)
	v_add3_u32 v3, v165, v168, v3
	ds_write_b32 v75, v3
	s_branch .LBB810_979
.LBB810_1129:                           ;   in Loop: Header=BB810_980 Depth=2
	ds_read_b64 v[39:40], v108 offset:512
	s_waitcnt lgkmcnt(0)
	v_lshrrev_b64 v[53:54], s46, v[39:40]
	v_xor_b32_e32 v40, 0x80000000, v40
	v_and_b32_e32 v3, s52, v53
	v_lshlrev_b32_e32 v3, 2, v3
	ds_read_b32 v3, v3
	s_waitcnt lgkmcnt(0)
	v_add_nc_u32_e32 v3, v3, v0
	v_lshlrev_b64 v[53:54], 3, v[3:4]
	v_add_co_u32 v53, s22, s44, v53
	v_add_co_ci_u32_e64 v54, null, s45, v54, s22
	global_store_dwordx2 v[53:54], v[39:40], off
	s_or_b32 exec_lo, exec_lo, s23
	v_cmp_lt_u32_e64 s22, v76, v169
	s_and_saveexec_b32 s24, s22
	s_cbranch_execz .LBB810_1062
.LBB810_1130:                           ;   in Loop: Header=BB810_980 Depth=2
	ds_read_b64 v[39:40], v108 offset:2560
	s_waitcnt lgkmcnt(0)
	v_lshrrev_b64 v[53:54], s46, v[39:40]
	v_xor_b32_e32 v40, 0x80000000, v40
	v_and_b32_e32 v3, s52, v53
	v_lshlrev_b32_e32 v3, 2, v3
	ds_read_b32 v3, v3
	s_waitcnt lgkmcnt(0)
	v_add_nc_u32_e32 v3, v3, v76
	v_lshlrev_b64 v[53:54], 3, v[3:4]
	v_add_co_u32 v53, s23, s44, v53
	v_add_co_ci_u32_e64 v54, null, s45, v54, s23
	global_store_dwordx2 v[53:54], v[39:40], off
	s_or_b32 exec_lo, exec_lo, s24
	v_cmp_lt_u32_e64 s23, v79, v169
	s_and_saveexec_b32 s25, s23
	s_cbranch_execz .LBB810_1063
.LBB810_1131:                           ;   in Loop: Header=BB810_980 Depth=2
	ds_read_b64 v[39:40], v108 offset:4608
	s_waitcnt lgkmcnt(0)
	v_lshrrev_b64 v[53:54], s46, v[39:40]
	v_xor_b32_e32 v40, 0x80000000, v40
	v_and_b32_e32 v3, s52, v53
	v_lshlrev_b32_e32 v3, 2, v3
	ds_read_b32 v3, v3
	s_waitcnt lgkmcnt(0)
	v_add_nc_u32_e32 v3, v3, v79
	v_lshlrev_b64 v[53:54], 3, v[3:4]
	v_add_co_u32 v53, s24, s44, v53
	v_add_co_ci_u32_e64 v54, null, s45, v54, s24
	global_store_dwordx2 v[53:54], v[39:40], off
	s_or_b32 exec_lo, exec_lo, s25
	v_cmp_lt_u32_e64 s24, v80, v169
	s_and_saveexec_b32 s26, s24
	s_cbranch_execz .LBB810_1064
.LBB810_1132:                           ;   in Loop: Header=BB810_980 Depth=2
	ds_read_b64 v[39:40], v108 offset:6656
	s_waitcnt lgkmcnt(0)
	v_lshrrev_b64 v[53:54], s46, v[39:40]
	v_xor_b32_e32 v40, 0x80000000, v40
	v_and_b32_e32 v3, s52, v53
	v_lshlrev_b32_e32 v3, 2, v3
	ds_read_b32 v3, v3
	s_waitcnt lgkmcnt(0)
	v_add_nc_u32_e32 v3, v3, v80
	v_lshlrev_b64 v[53:54], 3, v[3:4]
	v_add_co_u32 v53, s25, s44, v53
	v_add_co_ci_u32_e64 v54, null, s45, v54, s25
	global_store_dwordx2 v[53:54], v[39:40], off
	s_or_b32 exec_lo, exec_lo, s26
	v_cmp_lt_u32_e64 s25, v81, v169
	s_and_saveexec_b32 s28, s25
	s_cbranch_execz .LBB810_1065
.LBB810_1133:                           ;   in Loop: Header=BB810_980 Depth=2
	ds_read_b64 v[39:40], v108 offset:8704
	s_waitcnt lgkmcnt(0)
	v_lshrrev_b64 v[53:54], s46, v[39:40]
	v_xor_b32_e32 v40, 0x80000000, v40
	v_and_b32_e32 v3, s52, v53
	v_lshlrev_b32_e32 v3, 2, v3
	ds_read_b32 v3, v3
	s_waitcnt lgkmcnt(0)
	v_add_nc_u32_e32 v3, v3, v81
	v_lshlrev_b64 v[53:54], 3, v[3:4]
	v_add_co_u32 v53, s26, s44, v53
	v_add_co_ci_u32_e64 v54, null, s45, v54, s26
	global_store_dwordx2 v[53:54], v[39:40], off
	s_or_b32 exec_lo, exec_lo, s28
	v_cmp_lt_u32_e64 s26, v82, v169
	s_and_saveexec_b32 s29, s26
	s_cbranch_execz .LBB810_1066
.LBB810_1134:                           ;   in Loop: Header=BB810_980 Depth=2
	ds_read_b64 v[39:40], v108 offset:10752
	s_waitcnt lgkmcnt(0)
	v_lshrrev_b64 v[53:54], s46, v[39:40]
	v_xor_b32_e32 v40, 0x80000000, v40
	v_and_b32_e32 v3, s52, v53
	v_lshlrev_b32_e32 v3, 2, v3
	ds_read_b32 v3, v3
	s_waitcnt lgkmcnt(0)
	v_add_nc_u32_e32 v3, v3, v82
	v_lshlrev_b64 v[53:54], 3, v[3:4]
	v_add_co_u32 v53, s28, s44, v53
	v_add_co_ci_u32_e64 v54, null, s45, v54, s28
	global_store_dwordx2 v[53:54], v[39:40], off
	s_or_b32 exec_lo, exec_lo, s29
	v_cmp_lt_u32_e64 s28, v83, v169
	s_and_saveexec_b32 s30, s28
	s_cbranch_execz .LBB810_1067
.LBB810_1135:                           ;   in Loop: Header=BB810_980 Depth=2
	ds_read_b64 v[39:40], v108 offset:12800
	s_waitcnt lgkmcnt(0)
	v_lshrrev_b64 v[53:54], s46, v[39:40]
	v_xor_b32_e32 v40, 0x80000000, v40
	v_and_b32_e32 v3, s52, v53
	v_lshlrev_b32_e32 v3, 2, v3
	ds_read_b32 v3, v3
	s_waitcnt lgkmcnt(0)
	v_add_nc_u32_e32 v3, v3, v83
	v_lshlrev_b64 v[53:54], 3, v[3:4]
	v_add_co_u32 v53, s29, s44, v53
	v_add_co_ci_u32_e64 v54, null, s45, v54, s29
	global_store_dwordx2 v[53:54], v[39:40], off
	s_or_b32 exec_lo, exec_lo, s30
	v_cmp_lt_u32_e64 s29, v84, v169
	s_and_saveexec_b32 s31, s29
	s_cbranch_execz .LBB810_1068
.LBB810_1136:                           ;   in Loop: Header=BB810_980 Depth=2
	ds_read_b64 v[39:40], v108 offset:14848
	s_waitcnt lgkmcnt(0)
	v_lshrrev_b64 v[53:54], s46, v[39:40]
	v_xor_b32_e32 v40, 0x80000000, v40
	v_and_b32_e32 v3, s52, v53
	v_lshlrev_b32_e32 v3, 2, v3
	ds_read_b32 v3, v3
	s_waitcnt lgkmcnt(0)
	v_add_nc_u32_e32 v3, v3, v84
	v_lshlrev_b64 v[53:54], 3, v[3:4]
	v_add_co_u32 v53, s30, s44, v53
	v_add_co_ci_u32_e64 v54, null, s45, v54, s30
	global_store_dwordx2 v[53:54], v[39:40], off
	s_or_b32 exec_lo, exec_lo, s31
	v_cmp_lt_u32_e64 s30, v85, v169
	s_and_saveexec_b32 s33, s30
	s_cbranch_execz .LBB810_1069
.LBB810_1137:                           ;   in Loop: Header=BB810_980 Depth=2
	ds_read_b64 v[39:40], v108 offset:16896
	s_waitcnt lgkmcnt(0)
	v_lshrrev_b64 v[53:54], s46, v[39:40]
	v_xor_b32_e32 v40, 0x80000000, v40
	v_and_b32_e32 v3, s52, v53
	v_lshlrev_b32_e32 v3, 2, v3
	ds_read_b32 v3, v3
	s_waitcnt lgkmcnt(0)
	v_add_nc_u32_e32 v3, v3, v85
	v_lshlrev_b64 v[53:54], 3, v[3:4]
	v_add_co_u32 v53, s31, s44, v53
	v_add_co_ci_u32_e64 v54, null, s45, v54, s31
	global_store_dwordx2 v[53:54], v[39:40], off
	s_or_b32 exec_lo, exec_lo, s33
	v_cmp_lt_u32_e64 s31, v86, v169
	s_and_saveexec_b32 s34, s31
	s_cbranch_execz .LBB810_1070
.LBB810_1138:                           ;   in Loop: Header=BB810_980 Depth=2
	ds_read_b64 v[39:40], v108 offset:18944
	s_waitcnt lgkmcnt(0)
	v_lshrrev_b64 v[53:54], s46, v[39:40]
	v_xor_b32_e32 v40, 0x80000000, v40
	v_and_b32_e32 v3, s52, v53
	v_lshlrev_b32_e32 v3, 2, v3
	ds_read_b32 v3, v3
	s_waitcnt lgkmcnt(0)
	v_add_nc_u32_e32 v3, v3, v86
	v_lshlrev_b64 v[53:54], 3, v[3:4]
	v_add_co_u32 v53, s33, s44, v53
	v_add_co_ci_u32_e64 v54, null, s45, v54, s33
	global_store_dwordx2 v[53:54], v[39:40], off
	s_or_b32 exec_lo, exec_lo, s34
	v_cmp_lt_u32_e64 s33, v87, v169
	s_and_saveexec_b32 s35, s33
	s_cbranch_execz .LBB810_1071
.LBB810_1139:                           ;   in Loop: Header=BB810_980 Depth=2
	ds_read_b64 v[39:40], v108 offset:20992
	s_waitcnt lgkmcnt(0)
	v_lshrrev_b64 v[53:54], s46, v[39:40]
	v_xor_b32_e32 v40, 0x80000000, v40
	v_and_b32_e32 v3, s52, v53
	v_lshlrev_b32_e32 v3, 2, v3
	ds_read_b32 v3, v3
	s_waitcnt lgkmcnt(0)
	v_add_nc_u32_e32 v3, v3, v87
	v_lshlrev_b64 v[53:54], 3, v[3:4]
	v_add_co_u32 v53, s34, s44, v53
	v_add_co_ci_u32_e64 v54, null, s45, v54, s34
	global_store_dwordx2 v[53:54], v[39:40], off
	s_or_b32 exec_lo, exec_lo, s35
	v_cmp_lt_u32_e64 s34, v88, v169
	s_and_saveexec_b32 s36, s34
	s_cbranch_execz .LBB810_1072
.LBB810_1140:                           ;   in Loop: Header=BB810_980 Depth=2
	ds_read_b64 v[39:40], v108 offset:23040
	s_waitcnt lgkmcnt(0)
	v_lshrrev_b64 v[53:54], s46, v[39:40]
	v_xor_b32_e32 v40, 0x80000000, v40
	v_and_b32_e32 v3, s52, v53
	v_lshlrev_b32_e32 v3, 2, v3
	ds_read_b32 v3, v3
	s_waitcnt lgkmcnt(0)
	v_add_nc_u32_e32 v3, v3, v88
	v_lshlrev_b64 v[53:54], 3, v[3:4]
	v_add_co_u32 v53, s35, s44, v53
	v_add_co_ci_u32_e64 v54, null, s45, v54, s35
	global_store_dwordx2 v[53:54], v[39:40], off
	s_or_b32 exec_lo, exec_lo, s36
	v_cmp_lt_u32_e64 s35, v89, v169
	s_and_saveexec_b32 s37, s35
	s_cbranch_execz .LBB810_1073
.LBB810_1141:                           ;   in Loop: Header=BB810_980 Depth=2
	ds_read_b64 v[39:40], v108 offset:25088
	s_waitcnt lgkmcnt(0)
	v_lshrrev_b64 v[53:54], s46, v[39:40]
	v_xor_b32_e32 v40, 0x80000000, v40
	v_and_b32_e32 v3, s52, v53
	v_lshlrev_b32_e32 v3, 2, v3
	ds_read_b32 v3, v3
	s_waitcnt lgkmcnt(0)
	v_add_nc_u32_e32 v3, v3, v89
	v_lshlrev_b64 v[53:54], 3, v[3:4]
	v_add_co_u32 v53, s36, s44, v53
	v_add_co_ci_u32_e64 v54, null, s45, v54, s36
	global_store_dwordx2 v[53:54], v[39:40], off
	s_or_b32 exec_lo, exec_lo, s37
	v_cmp_lt_u32_e64 s36, v90, v169
	s_and_saveexec_b32 s38, s36
	s_cbranch_execz .LBB810_1074
.LBB810_1142:                           ;   in Loop: Header=BB810_980 Depth=2
	ds_read_b64 v[39:40], v108 offset:27136
	s_waitcnt lgkmcnt(0)
	v_lshrrev_b64 v[53:54], s46, v[39:40]
	v_xor_b32_e32 v40, 0x80000000, v40
	v_and_b32_e32 v3, s52, v53
	v_lshlrev_b32_e32 v3, 2, v3
	ds_read_b32 v3, v3
	s_waitcnt lgkmcnt(0)
	v_add_nc_u32_e32 v3, v3, v90
	v_lshlrev_b64 v[53:54], 3, v[3:4]
	v_add_co_u32 v53, s37, s44, v53
	v_add_co_ci_u32_e64 v54, null, s45, v54, s37
	global_store_dwordx2 v[53:54], v[39:40], off
	s_or_b32 exec_lo, exec_lo, s38
	v_cmp_lt_u32_e64 s37, v91, v169
	s_and_saveexec_b32 s39, s37
	s_cbranch_execz .LBB810_1075
.LBB810_1143:                           ;   in Loop: Header=BB810_980 Depth=2
	ds_read_b64 v[39:40], v108 offset:29184
	s_waitcnt lgkmcnt(0)
	v_lshrrev_b64 v[53:54], s46, v[39:40]
	v_xor_b32_e32 v40, 0x80000000, v40
	v_and_b32_e32 v3, s52, v53
	v_lshlrev_b32_e32 v3, 2, v3
	ds_read_b32 v3, v3
	s_waitcnt lgkmcnt(0)
	v_add_nc_u32_e32 v3, v3, v91
	v_lshlrev_b64 v[53:54], 3, v[3:4]
	v_add_co_u32 v53, s38, s44, v53
	v_add_co_ci_u32_e64 v54, null, s45, v54, s38
	global_store_dwordx2 v[53:54], v[39:40], off
	s_or_b32 exec_lo, exec_lo, s39
	v_cmp_lt_u32_e64 s38, v92, v169
	s_and_saveexec_b32 s65, s38
	s_cbranch_execnz .LBB810_1076
	s_branch .LBB810_1077
.LBB810_1144:                           ;   in Loop: Header=BB810_980 Depth=2
	global_load_dwordx2 v[37:38], v[39:40], off
	s_or_b32 exec_lo, exec_lo, s39
	s_mov_b32 s56, exec_lo
	v_cmpx_lt_u32_e64 v133, v169
	s_cbranch_execz .LBB810_1079
.LBB810_1145:                           ;   in Loop: Header=BB810_980 Depth=2
	global_load_dwordx2 v[35:36], v[39:40], off offset:256
	s_or_b32 exec_lo, exec_lo, s56
	s_mov_b32 s56, exec_lo
	v_cmpx_lt_u32_e64 v134, v169
	s_cbranch_execz .LBB810_1080
.LBB810_1146:                           ;   in Loop: Header=BB810_980 Depth=2
	global_load_dwordx2 v[33:34], v[39:40], off offset:512
	s_or_b32 exec_lo, exec_lo, s56
	s_mov_b32 s56, exec_lo
	v_cmpx_lt_u32_e64 v135, v169
	s_cbranch_execz .LBB810_1081
.LBB810_1147:                           ;   in Loop: Header=BB810_980 Depth=2
	global_load_dwordx2 v[31:32], v[39:40], off offset:768
	s_or_b32 exec_lo, exec_lo, s56
	s_mov_b32 s56, exec_lo
	v_cmpx_lt_u32_e64 v136, v169
	s_cbranch_execz .LBB810_1082
.LBB810_1148:                           ;   in Loop: Header=BB810_980 Depth=2
	global_load_dwordx2 v[29:30], v[39:40], off offset:1024
	s_or_b32 exec_lo, exec_lo, s56
	s_mov_b32 s56, exec_lo
	v_cmpx_lt_u32_e64 v137, v169
	s_cbranch_execz .LBB810_1083
.LBB810_1149:                           ;   in Loop: Header=BB810_980 Depth=2
	global_load_dwordx2 v[25:26], v[39:40], off offset:1280
	s_or_b32 exec_lo, exec_lo, s56
	s_mov_b32 s56, exec_lo
	v_cmpx_lt_u32_e64 v138, v169
	s_cbranch_execz .LBB810_1084
.LBB810_1150:                           ;   in Loop: Header=BB810_980 Depth=2
	global_load_dwordx2 v[21:22], v[39:40], off offset:1536
	s_or_b32 exec_lo, exec_lo, s56
	s_mov_b32 s56, exec_lo
	v_cmpx_lt_u32_e64 v139, v169
	s_cbranch_execz .LBB810_1085
.LBB810_1151:                           ;   in Loop: Header=BB810_980 Depth=2
	global_load_dwordx2 v[17:18], v[39:40], off offset:1792
	s_or_b32 exec_lo, exec_lo, s56
	s_mov_b32 s56, exec_lo
	v_cmpx_lt_u32_e64 v140, v169
	s_cbranch_execz .LBB810_1086
.LBB810_1152:                           ;   in Loop: Header=BB810_980 Depth=2
	v_add_co_u32 v27, s39, 0x800, v39
	v_add_co_ci_u32_e64 v28, null, 0, v40, s39
	global_load_dwordx2 v[27:28], v[27:28], off
	s_or_b32 exec_lo, exec_lo, s56
	s_mov_b32 s56, exec_lo
	v_cmpx_lt_u32_e64 v141, v169
	s_cbranch_execz .LBB810_1087
.LBB810_1153:                           ;   in Loop: Header=BB810_980 Depth=2
	v_add_co_u32 v23, s39, 0x800, v39
	v_add_co_ci_u32_e64 v24, null, 0, v40, s39
	global_load_dwordx2 v[23:24], v[23:24], off offset:256
	s_or_b32 exec_lo, exec_lo, s56
	s_mov_b32 s56, exec_lo
	v_cmpx_lt_u32_e64 v142, v169
	s_cbranch_execz .LBB810_1088
.LBB810_1154:                           ;   in Loop: Header=BB810_980 Depth=2
	v_add_co_u32 v19, s39, 0x800, v39
	v_add_co_ci_u32_e64 v20, null, 0, v40, s39
	global_load_dwordx2 v[19:20], v[19:20], off offset:512
	s_or_b32 exec_lo, exec_lo, s56
	s_mov_b32 s56, exec_lo
	v_cmpx_lt_u32_e64 v143, v169
	s_cbranch_execz .LBB810_1089
.LBB810_1155:                           ;   in Loop: Header=BB810_980 Depth=2
	v_add_co_u32 v15, s39, 0x800, v39
	v_add_co_ci_u32_e64 v16, null, 0, v40, s39
	global_load_dwordx2 v[15:16], v[15:16], off offset:768
	s_or_b32 exec_lo, exec_lo, s56
	s_mov_b32 s56, exec_lo
	v_cmpx_lt_u32_e64 v144, v169
	s_cbranch_execz .LBB810_1090
.LBB810_1156:                           ;   in Loop: Header=BB810_980 Depth=2
	v_add_co_u32 v13, s39, 0x800, v39
	v_add_co_ci_u32_e64 v14, null, 0, v40, s39
	global_load_dwordx2 v[13:14], v[13:14], off offset:1024
	s_or_b32 exec_lo, exec_lo, s56
	s_mov_b32 s56, exec_lo
	v_cmpx_lt_u32_e64 v145, v169
	s_cbranch_execz .LBB810_1091
.LBB810_1157:                           ;   in Loop: Header=BB810_980 Depth=2
	v_add_co_u32 v11, s39, 0x800, v39
	v_add_co_ci_u32_e64 v12, null, 0, v40, s39
	global_load_dwordx2 v[11:12], v[11:12], off offset:1280
	s_or_b32 exec_lo, exec_lo, s56
	s_mov_b32 s56, exec_lo
	v_cmpx_lt_u32_e64 v146, v169
	s_cbranch_execz .LBB810_1092
.LBB810_1158:                           ;   in Loop: Header=BB810_980 Depth=2
	v_add_co_u32 v9, s39, 0x800, v39
	v_add_co_ci_u32_e64 v10, null, 0, v40, s39
	global_load_dwordx2 v[9:10], v[9:10], off offset:1536
	s_or_b32 exec_lo, exec_lo, s56
	s_mov_b32 s56, exec_lo
	v_cmpx_lt_u32_e64 v147, v169
	s_cbranch_execz .LBB810_1093
.LBB810_1159:                           ;   in Loop: Header=BB810_980 Depth=2
	v_add_co_u32 v7, s39, 0x800, v39
	v_add_co_ci_u32_e64 v8, null, 0, v40, s39
	global_load_dwordx2 v[7:8], v[7:8], off offset:1792
	s_or_b32 exec_lo, exec_lo, s56
	s_and_saveexec_b32 s39, vcc_lo
	s_cbranch_execz .LBB810_1094
.LBB810_1160:                           ;   in Loop: Header=BB810_980 Depth=2
	ds_read_b64 v[39:40], v108 offset:512
	s_waitcnt lgkmcnt(0)
	v_lshrrev_b64 v[39:40], s46, v[39:40]
	v_and_b32_e32 v167, s52, v39
	s_or_b32 exec_lo, exec_lo, s39
	s_and_saveexec_b32 s39, s22
	s_cbranch_execz .LBB810_1095
.LBB810_1161:                           ;   in Loop: Header=BB810_980 Depth=2
	ds_read_b64 v[39:40], v108 offset:2560
	s_waitcnt lgkmcnt(0)
	v_lshrrev_b64 v[39:40], s46, v[39:40]
	v_and_b32_e32 v166, s52, v39
	s_or_b32 exec_lo, exec_lo, s39
	s_and_saveexec_b32 s39, s23
	s_cbranch_execz .LBB810_1096
.LBB810_1162:                           ;   in Loop: Header=BB810_980 Depth=2
	ds_read_b64 v[39:40], v108 offset:4608
	s_waitcnt lgkmcnt(0)
	v_lshrrev_b64 v[39:40], s46, v[39:40]
	v_and_b32_e32 v164, s52, v39
	s_or_b32 exec_lo, exec_lo, s39
	s_and_saveexec_b32 s39, s24
	s_cbranch_execz .LBB810_1097
.LBB810_1163:                           ;   in Loop: Header=BB810_980 Depth=2
	ds_read_b64 v[39:40], v108 offset:6656
	s_waitcnt lgkmcnt(0)
	v_lshrrev_b64 v[39:40], s46, v[39:40]
	v_and_b32_e32 v163, s52, v39
	s_or_b32 exec_lo, exec_lo, s39
	s_and_saveexec_b32 s39, s25
	s_cbranch_execz .LBB810_1098
.LBB810_1164:                           ;   in Loop: Header=BB810_980 Depth=2
	ds_read_b64 v[39:40], v108 offset:8704
	s_waitcnt lgkmcnt(0)
	v_lshrrev_b64 v[39:40], s46, v[39:40]
	v_and_b32_e32 v162, s52, v39
	s_or_b32 exec_lo, exec_lo, s39
	s_and_saveexec_b32 s39, s26
	s_cbranch_execz .LBB810_1099
.LBB810_1165:                           ;   in Loop: Header=BB810_980 Depth=2
	ds_read_b64 v[39:40], v108 offset:10752
	s_waitcnt lgkmcnt(0)
	v_lshrrev_b64 v[39:40], s46, v[39:40]
	v_and_b32_e32 v161, s52, v39
	s_or_b32 exec_lo, exec_lo, s39
	s_and_saveexec_b32 s39, s28
	s_cbranch_execz .LBB810_1100
.LBB810_1166:                           ;   in Loop: Header=BB810_980 Depth=2
	ds_read_b64 v[39:40], v108 offset:12800
	s_waitcnt lgkmcnt(0)
	v_lshrrev_b64 v[39:40], s46, v[39:40]
	v_and_b32_e32 v160, s52, v39
	s_or_b32 exec_lo, exec_lo, s39
	s_and_saveexec_b32 s39, s29
	s_cbranch_execz .LBB810_1101
.LBB810_1167:                           ;   in Loop: Header=BB810_980 Depth=2
	ds_read_b64 v[39:40], v108 offset:14848
	s_waitcnt lgkmcnt(0)
	v_lshrrev_b64 v[39:40], s46, v[39:40]
	v_and_b32_e32 v159, s52, v39
	s_or_b32 exec_lo, exec_lo, s39
	s_and_saveexec_b32 s39, s30
	s_cbranch_execz .LBB810_1102
.LBB810_1168:                           ;   in Loop: Header=BB810_980 Depth=2
	ds_read_b64 v[39:40], v108 offset:16896
	s_waitcnt lgkmcnt(0)
	v_lshrrev_b64 v[39:40], s46, v[39:40]
	v_and_b32_e32 v158, s52, v39
	s_or_b32 exec_lo, exec_lo, s39
	s_and_saveexec_b32 s39, s31
	s_cbranch_execz .LBB810_1103
.LBB810_1169:                           ;   in Loop: Header=BB810_980 Depth=2
	ds_read_b64 v[39:40], v108 offset:18944
	s_waitcnt lgkmcnt(0)
	v_lshrrev_b64 v[39:40], s46, v[39:40]
	v_and_b32_e32 v157, s52, v39
	s_or_b32 exec_lo, exec_lo, s39
	s_and_saveexec_b32 s39, s33
	s_cbranch_execz .LBB810_1104
.LBB810_1170:                           ;   in Loop: Header=BB810_980 Depth=2
	ds_read_b64 v[39:40], v108 offset:20992
	s_waitcnt lgkmcnt(0)
	v_lshrrev_b64 v[39:40], s46, v[39:40]
	v_and_b32_e32 v156, s52, v39
	s_or_b32 exec_lo, exec_lo, s39
	s_and_saveexec_b32 s39, s34
	s_cbranch_execz .LBB810_1105
.LBB810_1171:                           ;   in Loop: Header=BB810_980 Depth=2
	ds_read_b64 v[39:40], v108 offset:23040
	s_waitcnt lgkmcnt(0)
	v_lshrrev_b64 v[39:40], s46, v[39:40]
	v_and_b32_e32 v155, s52, v39
	s_or_b32 exec_lo, exec_lo, s39
	s_and_saveexec_b32 s39, s35
	s_cbranch_execz .LBB810_1106
.LBB810_1172:                           ;   in Loop: Header=BB810_980 Depth=2
	ds_read_b64 v[39:40], v108 offset:25088
	s_waitcnt lgkmcnt(0)
	v_lshrrev_b64 v[39:40], s46, v[39:40]
	v_and_b32_e32 v154, s52, v39
	s_or_b32 exec_lo, exec_lo, s39
	s_and_saveexec_b32 s39, s36
	s_cbranch_execz .LBB810_1107
.LBB810_1173:                           ;   in Loop: Header=BB810_980 Depth=2
	ds_read_b64 v[39:40], v108 offset:27136
	s_waitcnt lgkmcnt(0)
	v_lshrrev_b64 v[39:40], s46, v[39:40]
	v_and_b32_e32 v153, s52, v39
	s_or_b32 exec_lo, exec_lo, s39
	s_and_saveexec_b32 s39, s37
	s_cbranch_execz .LBB810_1108
.LBB810_1174:                           ;   in Loop: Header=BB810_980 Depth=2
	ds_read_b64 v[39:40], v108 offset:29184
	s_waitcnt lgkmcnt(0)
	v_lshrrev_b64 v[39:40], s46, v[39:40]
	v_and_b32_e32 v152, s52, v39
	s_or_b32 exec_lo, exec_lo, s39
	s_and_saveexec_b32 s39, s38
	s_cbranch_execnz .LBB810_1109
	s_branch .LBB810_1110
.LBB810_1175:                           ;   in Loop: Header=BB810_980 Depth=2
	v_lshlrev_b32_e32 v3, 2, v167
	ds_read_b32 v3, v3
	ds_read_b64 v[39:40], v108 offset:512
	s_waitcnt lgkmcnt(1)
	v_add_nc_u32_e32 v3, v3, v0
	v_lshlrev_b64 v[41:42], 3, v[3:4]
	v_add_co_u32 v41, vcc_lo, s50, v41
	v_add_co_ci_u32_e64 v42, null, s51, v42, vcc_lo
	s_waitcnt lgkmcnt(0)
	global_store_dwordx2 v[41:42], v[39:40], off
	s_or_b32 exec_lo, exec_lo, s39
	s_and_saveexec_b32 s39, s22
	s_cbranch_execz .LBB810_1112
.LBB810_1176:                           ;   in Loop: Header=BB810_980 Depth=2
	v_lshlrev_b32_e32 v3, 2, v166
	ds_read_b32 v3, v3
	ds_read_b64 v[39:40], v108 offset:2560
	s_waitcnt lgkmcnt(1)
	v_add_nc_u32_e32 v3, v3, v76
	v_lshlrev_b64 v[41:42], 3, v[3:4]
	v_add_co_u32 v41, vcc_lo, s50, v41
	v_add_co_ci_u32_e64 v42, null, s51, v42, vcc_lo
	s_waitcnt lgkmcnt(0)
	global_store_dwordx2 v[41:42], v[39:40], off
	s_or_b32 exec_lo, exec_lo, s39
	s_and_saveexec_b32 s22, s23
	s_cbranch_execz .LBB810_1113
.LBB810_1177:                           ;   in Loop: Header=BB810_980 Depth=2
	v_lshlrev_b32_e32 v3, 2, v164
	ds_read_b32 v3, v3
	ds_read_b64 v[39:40], v108 offset:4608
	s_waitcnt lgkmcnt(1)
	v_add_nc_u32_e32 v3, v3, v79
	v_lshlrev_b64 v[41:42], 3, v[3:4]
	v_add_co_u32 v41, vcc_lo, s50, v41
	v_add_co_ci_u32_e64 v42, null, s51, v42, vcc_lo
	s_waitcnt lgkmcnt(0)
	global_store_dwordx2 v[41:42], v[39:40], off
	s_or_b32 exec_lo, exec_lo, s22
	s_and_saveexec_b32 s22, s24
	s_cbranch_execz .LBB810_1114
.LBB810_1178:                           ;   in Loop: Header=BB810_980 Depth=2
	v_lshlrev_b32_e32 v3, 2, v163
	ds_read_b32 v3, v3
	ds_read_b64 v[39:40], v108 offset:6656
	s_waitcnt lgkmcnt(1)
	v_add_nc_u32_e32 v3, v3, v80
	v_lshlrev_b64 v[41:42], 3, v[3:4]
	v_add_co_u32 v41, vcc_lo, s50, v41
	v_add_co_ci_u32_e64 v42, null, s51, v42, vcc_lo
	s_waitcnt lgkmcnt(0)
	global_store_dwordx2 v[41:42], v[39:40], off
	s_or_b32 exec_lo, exec_lo, s22
	s_and_saveexec_b32 s22, s25
	s_cbranch_execz .LBB810_1115
.LBB810_1179:                           ;   in Loop: Header=BB810_980 Depth=2
	v_lshlrev_b32_e32 v3, 2, v162
	ds_read_b32 v3, v3
	ds_read_b64 v[39:40], v108 offset:8704
	s_waitcnt lgkmcnt(1)
	v_add_nc_u32_e32 v3, v3, v81
	v_lshlrev_b64 v[41:42], 3, v[3:4]
	v_add_co_u32 v41, vcc_lo, s50, v41
	v_add_co_ci_u32_e64 v42, null, s51, v42, vcc_lo
	s_waitcnt lgkmcnt(0)
	global_store_dwordx2 v[41:42], v[39:40], off
	s_or_b32 exec_lo, exec_lo, s22
	s_and_saveexec_b32 s22, s26
	s_cbranch_execz .LBB810_1116
.LBB810_1180:                           ;   in Loop: Header=BB810_980 Depth=2
	v_lshlrev_b32_e32 v3, 2, v161
	ds_read_b32 v3, v3
	ds_read_b64 v[39:40], v108 offset:10752
	s_waitcnt lgkmcnt(1)
	v_add_nc_u32_e32 v3, v3, v82
	v_lshlrev_b64 v[41:42], 3, v[3:4]
	v_add_co_u32 v41, vcc_lo, s50, v41
	v_add_co_ci_u32_e64 v42, null, s51, v42, vcc_lo
	s_waitcnt lgkmcnt(0)
	global_store_dwordx2 v[41:42], v[39:40], off
	s_or_b32 exec_lo, exec_lo, s22
	s_and_saveexec_b32 s22, s28
	s_cbranch_execz .LBB810_1117
.LBB810_1181:                           ;   in Loop: Header=BB810_980 Depth=2
	v_lshlrev_b32_e32 v3, 2, v160
	ds_read_b32 v3, v3
	ds_read_b64 v[39:40], v108 offset:12800
	s_waitcnt lgkmcnt(1)
	v_add_nc_u32_e32 v3, v3, v83
	v_lshlrev_b64 v[41:42], 3, v[3:4]
	v_add_co_u32 v41, vcc_lo, s50, v41
	v_add_co_ci_u32_e64 v42, null, s51, v42, vcc_lo
	s_waitcnt lgkmcnt(0)
	global_store_dwordx2 v[41:42], v[39:40], off
	s_or_b32 exec_lo, exec_lo, s22
	s_and_saveexec_b32 s22, s29
	s_cbranch_execz .LBB810_1118
.LBB810_1182:                           ;   in Loop: Header=BB810_980 Depth=2
	v_lshlrev_b32_e32 v3, 2, v159
	ds_read_b32 v3, v3
	ds_read_b64 v[39:40], v108 offset:14848
	s_waitcnt lgkmcnt(1)
	v_add_nc_u32_e32 v3, v3, v84
	v_lshlrev_b64 v[41:42], 3, v[3:4]
	v_add_co_u32 v41, vcc_lo, s50, v41
	v_add_co_ci_u32_e64 v42, null, s51, v42, vcc_lo
	s_waitcnt lgkmcnt(0)
	global_store_dwordx2 v[41:42], v[39:40], off
	s_or_b32 exec_lo, exec_lo, s22
	s_and_saveexec_b32 s22, s30
	s_cbranch_execz .LBB810_1119
.LBB810_1183:                           ;   in Loop: Header=BB810_980 Depth=2
	v_lshlrev_b32_e32 v3, 2, v158
	ds_read_b32 v3, v3
	ds_read_b64 v[39:40], v108 offset:16896
	s_waitcnt lgkmcnt(1)
	v_add_nc_u32_e32 v3, v3, v85
	v_lshlrev_b64 v[41:42], 3, v[3:4]
	v_add_co_u32 v41, vcc_lo, s50, v41
	v_add_co_ci_u32_e64 v42, null, s51, v42, vcc_lo
	s_waitcnt lgkmcnt(0)
	global_store_dwordx2 v[41:42], v[39:40], off
	s_or_b32 exec_lo, exec_lo, s22
	s_and_saveexec_b32 s22, s31
	s_cbranch_execz .LBB810_1120
.LBB810_1184:                           ;   in Loop: Header=BB810_980 Depth=2
	v_lshlrev_b32_e32 v3, 2, v157
	ds_read_b32 v3, v3
	ds_read_b64 v[39:40], v108 offset:18944
	s_waitcnt lgkmcnt(1)
	v_add_nc_u32_e32 v3, v3, v86
	v_lshlrev_b64 v[41:42], 3, v[3:4]
	v_add_co_u32 v41, vcc_lo, s50, v41
	v_add_co_ci_u32_e64 v42, null, s51, v42, vcc_lo
	s_waitcnt lgkmcnt(0)
	global_store_dwordx2 v[41:42], v[39:40], off
	s_or_b32 exec_lo, exec_lo, s22
	s_and_saveexec_b32 s22, s33
	s_cbranch_execz .LBB810_1121
.LBB810_1185:                           ;   in Loop: Header=BB810_980 Depth=2
	v_lshlrev_b32_e32 v3, 2, v156
	ds_read_b32 v3, v3
	ds_read_b64 v[39:40], v108 offset:20992
	s_waitcnt lgkmcnt(1)
	v_add_nc_u32_e32 v3, v3, v87
	v_lshlrev_b64 v[41:42], 3, v[3:4]
	v_add_co_u32 v41, vcc_lo, s50, v41
	v_add_co_ci_u32_e64 v42, null, s51, v42, vcc_lo
	s_waitcnt lgkmcnt(0)
	global_store_dwordx2 v[41:42], v[39:40], off
	s_or_b32 exec_lo, exec_lo, s22
	s_and_saveexec_b32 s22, s34
	s_cbranch_execz .LBB810_1122
.LBB810_1186:                           ;   in Loop: Header=BB810_980 Depth=2
	v_lshlrev_b32_e32 v3, 2, v155
	ds_read_b32 v3, v3
	ds_read_b64 v[39:40], v108 offset:23040
	s_waitcnt lgkmcnt(1)
	v_add_nc_u32_e32 v3, v3, v88
	v_lshlrev_b64 v[41:42], 3, v[3:4]
	v_add_co_u32 v41, vcc_lo, s50, v41
	v_add_co_ci_u32_e64 v42, null, s51, v42, vcc_lo
	s_waitcnt lgkmcnt(0)
	global_store_dwordx2 v[41:42], v[39:40], off
	s_or_b32 exec_lo, exec_lo, s22
	s_and_saveexec_b32 s22, s35
	s_cbranch_execz .LBB810_1123
.LBB810_1187:                           ;   in Loop: Header=BB810_980 Depth=2
	v_lshlrev_b32_e32 v3, 2, v154
	ds_read_b32 v3, v3
	ds_read_b64 v[39:40], v108 offset:25088
	s_waitcnt lgkmcnt(1)
	v_add_nc_u32_e32 v3, v3, v89
	v_lshlrev_b64 v[41:42], 3, v[3:4]
	v_add_co_u32 v41, vcc_lo, s50, v41
	v_add_co_ci_u32_e64 v42, null, s51, v42, vcc_lo
	s_waitcnt lgkmcnt(0)
	global_store_dwordx2 v[41:42], v[39:40], off
	s_or_b32 exec_lo, exec_lo, s22
	s_and_saveexec_b32 s22, s36
	s_cbranch_execz .LBB810_1124
.LBB810_1188:                           ;   in Loop: Header=BB810_980 Depth=2
	v_lshlrev_b32_e32 v3, 2, v153
	ds_read_b32 v3, v3
	ds_read_b64 v[39:40], v108 offset:27136
	s_waitcnt lgkmcnt(1)
	v_add_nc_u32_e32 v3, v3, v90
	v_lshlrev_b64 v[41:42], 3, v[3:4]
	v_add_co_u32 v41, vcc_lo, s50, v41
	v_add_co_ci_u32_e64 v42, null, s51, v42, vcc_lo
	s_waitcnt lgkmcnt(0)
	global_store_dwordx2 v[41:42], v[39:40], off
	s_or_b32 exec_lo, exec_lo, s22
	s_and_saveexec_b32 s22, s37
	s_cbranch_execz .LBB810_1125
.LBB810_1189:                           ;   in Loop: Header=BB810_980 Depth=2
	v_lshlrev_b32_e32 v3, 2, v152
	ds_read_b32 v3, v3
	ds_read_b64 v[39:40], v108 offset:29184
	s_waitcnt lgkmcnt(1)
	v_add_nc_u32_e32 v3, v3, v91
	v_lshlrev_b64 v[41:42], 3, v[3:4]
	v_add_co_u32 v41, vcc_lo, s50, v41
	v_add_co_ci_u32_e64 v42, null, s51, v42, vcc_lo
	s_waitcnt lgkmcnt(0)
	global_store_dwordx2 v[41:42], v[39:40], off
	s_or_b32 exec_lo, exec_lo, s22
	s_and_saveexec_b32 s22, s38
	s_cbranch_execnz .LBB810_1126
	s_branch .LBB810_1127
.LBB810_1190:
	s_endpgm
	.section	.rodata,"a",@progbits
	.p2align	6, 0x0
	.amdhsa_kernel _ZN7rocprim17ROCPRIM_400000_NS6detail17trampoline_kernelINS0_14default_configENS1_36segmented_radix_sort_config_selectorIllEEZNS1_25segmented_radix_sort_implIS3_Lb0EPKlPlS8_S9_N2at6native12_GLOBAL__N_18offset_tEEE10hipError_tPvRmT1_PNSt15iterator_traitsISH_E10value_typeET2_T3_PNSI_ISN_E10value_typeET4_jRbjT5_ST_jjP12ihipStream_tbEUlT_E_NS1_11comp_targetILNS1_3genE8ELNS1_11target_archE1030ELNS1_3gpuE2ELNS1_3repE0EEENS1_30default_config_static_selectorELNS0_4arch9wavefront6targetE0EEEvSH_
		.amdhsa_group_segment_fixed_size 33296
		.amdhsa_private_segment_fixed_size 176
		.amdhsa_kernarg_size 352
		.amdhsa_user_sgpr_count 6
		.amdhsa_user_sgpr_private_segment_buffer 1
		.amdhsa_user_sgpr_dispatch_ptr 0
		.amdhsa_user_sgpr_queue_ptr 0
		.amdhsa_user_sgpr_kernarg_segment_ptr 1
		.amdhsa_user_sgpr_dispatch_id 0
		.amdhsa_user_sgpr_flat_scratch_init 0
		.amdhsa_user_sgpr_private_segment_size 0
		.amdhsa_wavefront_size32 1
		.amdhsa_uses_dynamic_stack 0
		.amdhsa_system_sgpr_private_segment_wavefront_offset 1
		.amdhsa_system_sgpr_workgroup_id_x 1
		.amdhsa_system_sgpr_workgroup_id_y 1
		.amdhsa_system_sgpr_workgroup_id_z 0
		.amdhsa_system_sgpr_workgroup_info 0
		.amdhsa_system_vgpr_workitem_id 2
		.amdhsa_next_free_vgpr 248
		.amdhsa_next_free_sgpr 68
		.amdhsa_reserve_vcc 1
		.amdhsa_reserve_flat_scratch 0
		.amdhsa_float_round_mode_32 0
		.amdhsa_float_round_mode_16_64 0
		.amdhsa_float_denorm_mode_32 3
		.amdhsa_float_denorm_mode_16_64 3
		.amdhsa_dx10_clamp 1
		.amdhsa_ieee_mode 1
		.amdhsa_fp16_overflow 0
		.amdhsa_workgroup_processor_mode 1
		.amdhsa_memory_ordered 1
		.amdhsa_forward_progress 1
		.amdhsa_shared_vgpr_count 0
		.amdhsa_exception_fp_ieee_invalid_op 0
		.amdhsa_exception_fp_denorm_src 0
		.amdhsa_exception_fp_ieee_div_zero 0
		.amdhsa_exception_fp_ieee_overflow 0
		.amdhsa_exception_fp_ieee_underflow 0
		.amdhsa_exception_fp_ieee_inexact 0
		.amdhsa_exception_int_div_zero 0
	.end_amdhsa_kernel
	.section	.text._ZN7rocprim17ROCPRIM_400000_NS6detail17trampoline_kernelINS0_14default_configENS1_36segmented_radix_sort_config_selectorIllEEZNS1_25segmented_radix_sort_implIS3_Lb0EPKlPlS8_S9_N2at6native12_GLOBAL__N_18offset_tEEE10hipError_tPvRmT1_PNSt15iterator_traitsISH_E10value_typeET2_T3_PNSI_ISN_E10value_typeET4_jRbjT5_ST_jjP12ihipStream_tbEUlT_E_NS1_11comp_targetILNS1_3genE8ELNS1_11target_archE1030ELNS1_3gpuE2ELNS1_3repE0EEENS1_30default_config_static_selectorELNS0_4arch9wavefront6targetE0EEEvSH_,"axG",@progbits,_ZN7rocprim17ROCPRIM_400000_NS6detail17trampoline_kernelINS0_14default_configENS1_36segmented_radix_sort_config_selectorIllEEZNS1_25segmented_radix_sort_implIS3_Lb0EPKlPlS8_S9_N2at6native12_GLOBAL__N_18offset_tEEE10hipError_tPvRmT1_PNSt15iterator_traitsISH_E10value_typeET2_T3_PNSI_ISN_E10value_typeET4_jRbjT5_ST_jjP12ihipStream_tbEUlT_E_NS1_11comp_targetILNS1_3genE8ELNS1_11target_archE1030ELNS1_3gpuE2ELNS1_3repE0EEENS1_30default_config_static_selectorELNS0_4arch9wavefront6targetE0EEEvSH_,comdat
.Lfunc_end810:
	.size	_ZN7rocprim17ROCPRIM_400000_NS6detail17trampoline_kernelINS0_14default_configENS1_36segmented_radix_sort_config_selectorIllEEZNS1_25segmented_radix_sort_implIS3_Lb0EPKlPlS8_S9_N2at6native12_GLOBAL__N_18offset_tEEE10hipError_tPvRmT1_PNSt15iterator_traitsISH_E10value_typeET2_T3_PNSI_ISN_E10value_typeET4_jRbjT5_ST_jjP12ihipStream_tbEUlT_E_NS1_11comp_targetILNS1_3genE8ELNS1_11target_archE1030ELNS1_3gpuE2ELNS1_3repE0EEENS1_30default_config_static_selectorELNS0_4arch9wavefront6targetE0EEEvSH_, .Lfunc_end810-_ZN7rocprim17ROCPRIM_400000_NS6detail17trampoline_kernelINS0_14default_configENS1_36segmented_radix_sort_config_selectorIllEEZNS1_25segmented_radix_sort_implIS3_Lb0EPKlPlS8_S9_N2at6native12_GLOBAL__N_18offset_tEEE10hipError_tPvRmT1_PNSt15iterator_traitsISH_E10value_typeET2_T3_PNSI_ISN_E10value_typeET4_jRbjT5_ST_jjP12ihipStream_tbEUlT_E_NS1_11comp_targetILNS1_3genE8ELNS1_11target_archE1030ELNS1_3gpuE2ELNS1_3repE0EEENS1_30default_config_static_selectorELNS0_4arch9wavefront6targetE0EEEvSH_
                                        ; -- End function
	.set _ZN7rocprim17ROCPRIM_400000_NS6detail17trampoline_kernelINS0_14default_configENS1_36segmented_radix_sort_config_selectorIllEEZNS1_25segmented_radix_sort_implIS3_Lb0EPKlPlS8_S9_N2at6native12_GLOBAL__N_18offset_tEEE10hipError_tPvRmT1_PNSt15iterator_traitsISH_E10value_typeET2_T3_PNSI_ISN_E10value_typeET4_jRbjT5_ST_jjP12ihipStream_tbEUlT_E_NS1_11comp_targetILNS1_3genE8ELNS1_11target_archE1030ELNS1_3gpuE2ELNS1_3repE0EEENS1_30default_config_static_selectorELNS0_4arch9wavefront6targetE0EEEvSH_.num_vgpr, max(220, .L_ZN7rocprim17ROCPRIM_400000_NS6detail40segmented_radix_sort_single_block_helperIllLj256ELj16ELb0EE4sortIPKlPlS6_S7_EEbT_T0_T1_T2_jjjjRNS3_12storage_typeE.num_vgpr)
	.set _ZN7rocprim17ROCPRIM_400000_NS6detail17trampoline_kernelINS0_14default_configENS1_36segmented_radix_sort_config_selectorIllEEZNS1_25segmented_radix_sort_implIS3_Lb0EPKlPlS8_S9_N2at6native12_GLOBAL__N_18offset_tEEE10hipError_tPvRmT1_PNSt15iterator_traitsISH_E10value_typeET2_T3_PNSI_ISN_E10value_typeET4_jRbjT5_ST_jjP12ihipStream_tbEUlT_E_NS1_11comp_targetILNS1_3genE8ELNS1_11target_archE1030ELNS1_3gpuE2ELNS1_3repE0EEENS1_30default_config_static_selectorELNS0_4arch9wavefront6targetE0EEEvSH_.num_agpr, max(0, .L_ZN7rocprim17ROCPRIM_400000_NS6detail40segmented_radix_sort_single_block_helperIllLj256ELj16ELb0EE4sortIPKlPlS6_S7_EEbT_T0_T1_T2_jjjjRNS3_12storage_typeE.num_agpr)
	.set _ZN7rocprim17ROCPRIM_400000_NS6detail17trampoline_kernelINS0_14default_configENS1_36segmented_radix_sort_config_selectorIllEEZNS1_25segmented_radix_sort_implIS3_Lb0EPKlPlS8_S9_N2at6native12_GLOBAL__N_18offset_tEEE10hipError_tPvRmT1_PNSt15iterator_traitsISH_E10value_typeET2_T3_PNSI_ISN_E10value_typeET4_jRbjT5_ST_jjP12ihipStream_tbEUlT_E_NS1_11comp_targetILNS1_3genE8ELNS1_11target_archE1030ELNS1_3gpuE2ELNS1_3repE0EEENS1_30default_config_static_selectorELNS0_4arch9wavefront6targetE0EEEvSH_.numbered_sgpr, max(68, .L_ZN7rocprim17ROCPRIM_400000_NS6detail40segmented_radix_sort_single_block_helperIllLj256ELj16ELb0EE4sortIPKlPlS6_S7_EEbT_T0_T1_T2_jjjjRNS3_12storage_typeE.numbered_sgpr)
	.set _ZN7rocprim17ROCPRIM_400000_NS6detail17trampoline_kernelINS0_14default_configENS1_36segmented_radix_sort_config_selectorIllEEZNS1_25segmented_radix_sort_implIS3_Lb0EPKlPlS8_S9_N2at6native12_GLOBAL__N_18offset_tEEE10hipError_tPvRmT1_PNSt15iterator_traitsISH_E10value_typeET2_T3_PNSI_ISN_E10value_typeET4_jRbjT5_ST_jjP12ihipStream_tbEUlT_E_NS1_11comp_targetILNS1_3genE8ELNS1_11target_archE1030ELNS1_3gpuE2ELNS1_3repE0EEENS1_30default_config_static_selectorELNS0_4arch9wavefront6targetE0EEEvSH_.num_named_barrier, max(0, .L_ZN7rocprim17ROCPRIM_400000_NS6detail40segmented_radix_sort_single_block_helperIllLj256ELj16ELb0EE4sortIPKlPlS6_S7_EEbT_T0_T1_T2_jjjjRNS3_12storage_typeE.num_named_barrier)
	.set _ZN7rocprim17ROCPRIM_400000_NS6detail17trampoline_kernelINS0_14default_configENS1_36segmented_radix_sort_config_selectorIllEEZNS1_25segmented_radix_sort_implIS3_Lb0EPKlPlS8_S9_N2at6native12_GLOBAL__N_18offset_tEEE10hipError_tPvRmT1_PNSt15iterator_traitsISH_E10value_typeET2_T3_PNSI_ISN_E10value_typeET4_jRbjT5_ST_jjP12ihipStream_tbEUlT_E_NS1_11comp_targetILNS1_3genE8ELNS1_11target_archE1030ELNS1_3gpuE2ELNS1_3repE0EEENS1_30default_config_static_selectorELNS0_4arch9wavefront6targetE0EEEvSH_.private_seg_size, 0+max(.L_ZN7rocprim17ROCPRIM_400000_NS6detail40segmented_radix_sort_single_block_helperIllLj256ELj16ELb0EE4sortIPKlPlS6_S7_EEbT_T0_T1_T2_jjjjRNS3_12storage_typeE.private_seg_size)
	.set _ZN7rocprim17ROCPRIM_400000_NS6detail17trampoline_kernelINS0_14default_configENS1_36segmented_radix_sort_config_selectorIllEEZNS1_25segmented_radix_sort_implIS3_Lb0EPKlPlS8_S9_N2at6native12_GLOBAL__N_18offset_tEEE10hipError_tPvRmT1_PNSt15iterator_traitsISH_E10value_typeET2_T3_PNSI_ISN_E10value_typeET4_jRbjT5_ST_jjP12ihipStream_tbEUlT_E_NS1_11comp_targetILNS1_3genE8ELNS1_11target_archE1030ELNS1_3gpuE2ELNS1_3repE0EEENS1_30default_config_static_selectorELNS0_4arch9wavefront6targetE0EEEvSH_.uses_vcc, or(1, .L_ZN7rocprim17ROCPRIM_400000_NS6detail40segmented_radix_sort_single_block_helperIllLj256ELj16ELb0EE4sortIPKlPlS6_S7_EEbT_T0_T1_T2_jjjjRNS3_12storage_typeE.uses_vcc)
	.set _ZN7rocprim17ROCPRIM_400000_NS6detail17trampoline_kernelINS0_14default_configENS1_36segmented_radix_sort_config_selectorIllEEZNS1_25segmented_radix_sort_implIS3_Lb0EPKlPlS8_S9_N2at6native12_GLOBAL__N_18offset_tEEE10hipError_tPvRmT1_PNSt15iterator_traitsISH_E10value_typeET2_T3_PNSI_ISN_E10value_typeET4_jRbjT5_ST_jjP12ihipStream_tbEUlT_E_NS1_11comp_targetILNS1_3genE8ELNS1_11target_archE1030ELNS1_3gpuE2ELNS1_3repE0EEENS1_30default_config_static_selectorELNS0_4arch9wavefront6targetE0EEEvSH_.uses_flat_scratch, or(0, .L_ZN7rocprim17ROCPRIM_400000_NS6detail40segmented_radix_sort_single_block_helperIllLj256ELj16ELb0EE4sortIPKlPlS6_S7_EEbT_T0_T1_T2_jjjjRNS3_12storage_typeE.uses_flat_scratch)
	.set _ZN7rocprim17ROCPRIM_400000_NS6detail17trampoline_kernelINS0_14default_configENS1_36segmented_radix_sort_config_selectorIllEEZNS1_25segmented_radix_sort_implIS3_Lb0EPKlPlS8_S9_N2at6native12_GLOBAL__N_18offset_tEEE10hipError_tPvRmT1_PNSt15iterator_traitsISH_E10value_typeET2_T3_PNSI_ISN_E10value_typeET4_jRbjT5_ST_jjP12ihipStream_tbEUlT_E_NS1_11comp_targetILNS1_3genE8ELNS1_11target_archE1030ELNS1_3gpuE2ELNS1_3repE0EEENS1_30default_config_static_selectorELNS0_4arch9wavefront6targetE0EEEvSH_.has_dyn_sized_stack, or(0, .L_ZN7rocprim17ROCPRIM_400000_NS6detail40segmented_radix_sort_single_block_helperIllLj256ELj16ELb0EE4sortIPKlPlS6_S7_EEbT_T0_T1_T2_jjjjRNS3_12storage_typeE.has_dyn_sized_stack)
	.set _ZN7rocprim17ROCPRIM_400000_NS6detail17trampoline_kernelINS0_14default_configENS1_36segmented_radix_sort_config_selectorIllEEZNS1_25segmented_radix_sort_implIS3_Lb0EPKlPlS8_S9_N2at6native12_GLOBAL__N_18offset_tEEE10hipError_tPvRmT1_PNSt15iterator_traitsISH_E10value_typeET2_T3_PNSI_ISN_E10value_typeET4_jRbjT5_ST_jjP12ihipStream_tbEUlT_E_NS1_11comp_targetILNS1_3genE8ELNS1_11target_archE1030ELNS1_3gpuE2ELNS1_3repE0EEENS1_30default_config_static_selectorELNS0_4arch9wavefront6targetE0EEEvSH_.has_recursion, or(0, .L_ZN7rocprim17ROCPRIM_400000_NS6detail40segmented_radix_sort_single_block_helperIllLj256ELj16ELb0EE4sortIPKlPlS6_S7_EEbT_T0_T1_T2_jjjjRNS3_12storage_typeE.has_recursion)
	.set _ZN7rocprim17ROCPRIM_400000_NS6detail17trampoline_kernelINS0_14default_configENS1_36segmented_radix_sort_config_selectorIllEEZNS1_25segmented_radix_sort_implIS3_Lb0EPKlPlS8_S9_N2at6native12_GLOBAL__N_18offset_tEEE10hipError_tPvRmT1_PNSt15iterator_traitsISH_E10value_typeET2_T3_PNSI_ISN_E10value_typeET4_jRbjT5_ST_jjP12ihipStream_tbEUlT_E_NS1_11comp_targetILNS1_3genE8ELNS1_11target_archE1030ELNS1_3gpuE2ELNS1_3repE0EEENS1_30default_config_static_selectorELNS0_4arch9wavefront6targetE0EEEvSH_.has_indirect_call, or(0, .L_ZN7rocprim17ROCPRIM_400000_NS6detail40segmented_radix_sort_single_block_helperIllLj256ELj16ELb0EE4sortIPKlPlS6_S7_EEbT_T0_T1_T2_jjjjRNS3_12storage_typeE.has_indirect_call)
	.section	.AMDGPU.csdata,"",@progbits
; Kernel info:
; codeLenInByte = 63436
; TotalNumSgprs: 70
; NumVgprs: 248
; ScratchSize: 176
; MemoryBound: 0
; FloatMode: 240
; IeeeMode: 1
; LDSByteSize: 33296 bytes/workgroup (compile time only)
; SGPRBlocks: 0
; VGPRBlocks: 30
; NumSGPRsForWavesPerEU: 70
; NumVGPRsForWavesPerEU: 248
; Occupancy: 4
; WaveLimiterHint : 1
; COMPUTE_PGM_RSRC2:SCRATCH_EN: 1
; COMPUTE_PGM_RSRC2:USER_SGPR: 6
; COMPUTE_PGM_RSRC2:TRAP_HANDLER: 0
; COMPUTE_PGM_RSRC2:TGID_X_EN: 1
; COMPUTE_PGM_RSRC2:TGID_Y_EN: 1
; COMPUTE_PGM_RSRC2:TGID_Z_EN: 0
; COMPUTE_PGM_RSRC2:TIDIG_COMP_CNT: 2
	.section	.text._ZN7rocprim17ROCPRIM_400000_NS6detail17trampoline_kernelINS0_14default_configENS1_36segmented_radix_sort_config_selectorIllEEZNS1_25segmented_radix_sort_implIS3_Lb0EPKlPlS8_S9_N2at6native12_GLOBAL__N_18offset_tEEE10hipError_tPvRmT1_PNSt15iterator_traitsISH_E10value_typeET2_T3_PNSI_ISN_E10value_typeET4_jRbjT5_ST_jjP12ihipStream_tbEUlT_E0_NS1_11comp_targetILNS1_3genE0ELNS1_11target_archE4294967295ELNS1_3gpuE0ELNS1_3repE0EEENS1_60segmented_radix_sort_warp_sort_medium_config_static_selectorELNS0_4arch9wavefront6targetE0EEEvSH_,"axG",@progbits,_ZN7rocprim17ROCPRIM_400000_NS6detail17trampoline_kernelINS0_14default_configENS1_36segmented_radix_sort_config_selectorIllEEZNS1_25segmented_radix_sort_implIS3_Lb0EPKlPlS8_S9_N2at6native12_GLOBAL__N_18offset_tEEE10hipError_tPvRmT1_PNSt15iterator_traitsISH_E10value_typeET2_T3_PNSI_ISN_E10value_typeET4_jRbjT5_ST_jjP12ihipStream_tbEUlT_E0_NS1_11comp_targetILNS1_3genE0ELNS1_11target_archE4294967295ELNS1_3gpuE0ELNS1_3repE0EEENS1_60segmented_radix_sort_warp_sort_medium_config_static_selectorELNS0_4arch9wavefront6targetE0EEEvSH_,comdat
	.globl	_ZN7rocprim17ROCPRIM_400000_NS6detail17trampoline_kernelINS0_14default_configENS1_36segmented_radix_sort_config_selectorIllEEZNS1_25segmented_radix_sort_implIS3_Lb0EPKlPlS8_S9_N2at6native12_GLOBAL__N_18offset_tEEE10hipError_tPvRmT1_PNSt15iterator_traitsISH_E10value_typeET2_T3_PNSI_ISN_E10value_typeET4_jRbjT5_ST_jjP12ihipStream_tbEUlT_E0_NS1_11comp_targetILNS1_3genE0ELNS1_11target_archE4294967295ELNS1_3gpuE0ELNS1_3repE0EEENS1_60segmented_radix_sort_warp_sort_medium_config_static_selectorELNS0_4arch9wavefront6targetE0EEEvSH_ ; -- Begin function _ZN7rocprim17ROCPRIM_400000_NS6detail17trampoline_kernelINS0_14default_configENS1_36segmented_radix_sort_config_selectorIllEEZNS1_25segmented_radix_sort_implIS3_Lb0EPKlPlS8_S9_N2at6native12_GLOBAL__N_18offset_tEEE10hipError_tPvRmT1_PNSt15iterator_traitsISH_E10value_typeET2_T3_PNSI_ISN_E10value_typeET4_jRbjT5_ST_jjP12ihipStream_tbEUlT_E0_NS1_11comp_targetILNS1_3genE0ELNS1_11target_archE4294967295ELNS1_3gpuE0ELNS1_3repE0EEENS1_60segmented_radix_sort_warp_sort_medium_config_static_selectorELNS0_4arch9wavefront6targetE0EEEvSH_
	.p2align	8
	.type	_ZN7rocprim17ROCPRIM_400000_NS6detail17trampoline_kernelINS0_14default_configENS1_36segmented_radix_sort_config_selectorIllEEZNS1_25segmented_radix_sort_implIS3_Lb0EPKlPlS8_S9_N2at6native12_GLOBAL__N_18offset_tEEE10hipError_tPvRmT1_PNSt15iterator_traitsISH_E10value_typeET2_T3_PNSI_ISN_E10value_typeET4_jRbjT5_ST_jjP12ihipStream_tbEUlT_E0_NS1_11comp_targetILNS1_3genE0ELNS1_11target_archE4294967295ELNS1_3gpuE0ELNS1_3repE0EEENS1_60segmented_radix_sort_warp_sort_medium_config_static_selectorELNS0_4arch9wavefront6targetE0EEEvSH_,@function
_ZN7rocprim17ROCPRIM_400000_NS6detail17trampoline_kernelINS0_14default_configENS1_36segmented_radix_sort_config_selectorIllEEZNS1_25segmented_radix_sort_implIS3_Lb0EPKlPlS8_S9_N2at6native12_GLOBAL__N_18offset_tEEE10hipError_tPvRmT1_PNSt15iterator_traitsISH_E10value_typeET2_T3_PNSI_ISN_E10value_typeET4_jRbjT5_ST_jjP12ihipStream_tbEUlT_E0_NS1_11comp_targetILNS1_3genE0ELNS1_11target_archE4294967295ELNS1_3gpuE0ELNS1_3repE0EEENS1_60segmented_radix_sort_warp_sort_medium_config_static_selectorELNS0_4arch9wavefront6targetE0EEEvSH_: ; @_ZN7rocprim17ROCPRIM_400000_NS6detail17trampoline_kernelINS0_14default_configENS1_36segmented_radix_sort_config_selectorIllEEZNS1_25segmented_radix_sort_implIS3_Lb0EPKlPlS8_S9_N2at6native12_GLOBAL__N_18offset_tEEE10hipError_tPvRmT1_PNSt15iterator_traitsISH_E10value_typeET2_T3_PNSI_ISN_E10value_typeET4_jRbjT5_ST_jjP12ihipStream_tbEUlT_E0_NS1_11comp_targetILNS1_3genE0ELNS1_11target_archE4294967295ELNS1_3gpuE0ELNS1_3repE0EEENS1_60segmented_radix_sort_warp_sort_medium_config_static_selectorELNS0_4arch9wavefront6targetE0EEEvSH_
; %bb.0:
	.section	.rodata,"a",@progbits
	.p2align	6, 0x0
	.amdhsa_kernel _ZN7rocprim17ROCPRIM_400000_NS6detail17trampoline_kernelINS0_14default_configENS1_36segmented_radix_sort_config_selectorIllEEZNS1_25segmented_radix_sort_implIS3_Lb0EPKlPlS8_S9_N2at6native12_GLOBAL__N_18offset_tEEE10hipError_tPvRmT1_PNSt15iterator_traitsISH_E10value_typeET2_T3_PNSI_ISN_E10value_typeET4_jRbjT5_ST_jjP12ihipStream_tbEUlT_E0_NS1_11comp_targetILNS1_3genE0ELNS1_11target_archE4294967295ELNS1_3gpuE0ELNS1_3repE0EEENS1_60segmented_radix_sort_warp_sort_medium_config_static_selectorELNS0_4arch9wavefront6targetE0EEEvSH_
		.amdhsa_group_segment_fixed_size 0
		.amdhsa_private_segment_fixed_size 0
		.amdhsa_kernarg_size 88
		.amdhsa_user_sgpr_count 6
		.amdhsa_user_sgpr_private_segment_buffer 1
		.amdhsa_user_sgpr_dispatch_ptr 0
		.amdhsa_user_sgpr_queue_ptr 0
		.amdhsa_user_sgpr_kernarg_segment_ptr 1
		.amdhsa_user_sgpr_dispatch_id 0
		.amdhsa_user_sgpr_flat_scratch_init 0
		.amdhsa_user_sgpr_private_segment_size 0
		.amdhsa_wavefront_size32 1
		.amdhsa_uses_dynamic_stack 0
		.amdhsa_system_sgpr_private_segment_wavefront_offset 0
		.amdhsa_system_sgpr_workgroup_id_x 1
		.amdhsa_system_sgpr_workgroup_id_y 0
		.amdhsa_system_sgpr_workgroup_id_z 0
		.amdhsa_system_sgpr_workgroup_info 0
		.amdhsa_system_vgpr_workitem_id 0
		.amdhsa_next_free_vgpr 1
		.amdhsa_next_free_sgpr 1
		.amdhsa_reserve_vcc 0
		.amdhsa_reserve_flat_scratch 0
		.amdhsa_float_round_mode_32 0
		.amdhsa_float_round_mode_16_64 0
		.amdhsa_float_denorm_mode_32 3
		.amdhsa_float_denorm_mode_16_64 3
		.amdhsa_dx10_clamp 1
		.amdhsa_ieee_mode 1
		.amdhsa_fp16_overflow 0
		.amdhsa_workgroup_processor_mode 1
		.amdhsa_memory_ordered 1
		.amdhsa_forward_progress 1
		.amdhsa_shared_vgpr_count 0
		.amdhsa_exception_fp_ieee_invalid_op 0
		.amdhsa_exception_fp_denorm_src 0
		.amdhsa_exception_fp_ieee_div_zero 0
		.amdhsa_exception_fp_ieee_overflow 0
		.amdhsa_exception_fp_ieee_underflow 0
		.amdhsa_exception_fp_ieee_inexact 0
		.amdhsa_exception_int_div_zero 0
	.end_amdhsa_kernel
	.section	.text._ZN7rocprim17ROCPRIM_400000_NS6detail17trampoline_kernelINS0_14default_configENS1_36segmented_radix_sort_config_selectorIllEEZNS1_25segmented_radix_sort_implIS3_Lb0EPKlPlS8_S9_N2at6native12_GLOBAL__N_18offset_tEEE10hipError_tPvRmT1_PNSt15iterator_traitsISH_E10value_typeET2_T3_PNSI_ISN_E10value_typeET4_jRbjT5_ST_jjP12ihipStream_tbEUlT_E0_NS1_11comp_targetILNS1_3genE0ELNS1_11target_archE4294967295ELNS1_3gpuE0ELNS1_3repE0EEENS1_60segmented_radix_sort_warp_sort_medium_config_static_selectorELNS0_4arch9wavefront6targetE0EEEvSH_,"axG",@progbits,_ZN7rocprim17ROCPRIM_400000_NS6detail17trampoline_kernelINS0_14default_configENS1_36segmented_radix_sort_config_selectorIllEEZNS1_25segmented_radix_sort_implIS3_Lb0EPKlPlS8_S9_N2at6native12_GLOBAL__N_18offset_tEEE10hipError_tPvRmT1_PNSt15iterator_traitsISH_E10value_typeET2_T3_PNSI_ISN_E10value_typeET4_jRbjT5_ST_jjP12ihipStream_tbEUlT_E0_NS1_11comp_targetILNS1_3genE0ELNS1_11target_archE4294967295ELNS1_3gpuE0ELNS1_3repE0EEENS1_60segmented_radix_sort_warp_sort_medium_config_static_selectorELNS0_4arch9wavefront6targetE0EEEvSH_,comdat
.Lfunc_end811:
	.size	_ZN7rocprim17ROCPRIM_400000_NS6detail17trampoline_kernelINS0_14default_configENS1_36segmented_radix_sort_config_selectorIllEEZNS1_25segmented_radix_sort_implIS3_Lb0EPKlPlS8_S9_N2at6native12_GLOBAL__N_18offset_tEEE10hipError_tPvRmT1_PNSt15iterator_traitsISH_E10value_typeET2_T3_PNSI_ISN_E10value_typeET4_jRbjT5_ST_jjP12ihipStream_tbEUlT_E0_NS1_11comp_targetILNS1_3genE0ELNS1_11target_archE4294967295ELNS1_3gpuE0ELNS1_3repE0EEENS1_60segmented_radix_sort_warp_sort_medium_config_static_selectorELNS0_4arch9wavefront6targetE0EEEvSH_, .Lfunc_end811-_ZN7rocprim17ROCPRIM_400000_NS6detail17trampoline_kernelINS0_14default_configENS1_36segmented_radix_sort_config_selectorIllEEZNS1_25segmented_radix_sort_implIS3_Lb0EPKlPlS8_S9_N2at6native12_GLOBAL__N_18offset_tEEE10hipError_tPvRmT1_PNSt15iterator_traitsISH_E10value_typeET2_T3_PNSI_ISN_E10value_typeET4_jRbjT5_ST_jjP12ihipStream_tbEUlT_E0_NS1_11comp_targetILNS1_3genE0ELNS1_11target_archE4294967295ELNS1_3gpuE0ELNS1_3repE0EEENS1_60segmented_radix_sort_warp_sort_medium_config_static_selectorELNS0_4arch9wavefront6targetE0EEEvSH_
                                        ; -- End function
	.set _ZN7rocprim17ROCPRIM_400000_NS6detail17trampoline_kernelINS0_14default_configENS1_36segmented_radix_sort_config_selectorIllEEZNS1_25segmented_radix_sort_implIS3_Lb0EPKlPlS8_S9_N2at6native12_GLOBAL__N_18offset_tEEE10hipError_tPvRmT1_PNSt15iterator_traitsISH_E10value_typeET2_T3_PNSI_ISN_E10value_typeET4_jRbjT5_ST_jjP12ihipStream_tbEUlT_E0_NS1_11comp_targetILNS1_3genE0ELNS1_11target_archE4294967295ELNS1_3gpuE0ELNS1_3repE0EEENS1_60segmented_radix_sort_warp_sort_medium_config_static_selectorELNS0_4arch9wavefront6targetE0EEEvSH_.num_vgpr, 0
	.set _ZN7rocprim17ROCPRIM_400000_NS6detail17trampoline_kernelINS0_14default_configENS1_36segmented_radix_sort_config_selectorIllEEZNS1_25segmented_radix_sort_implIS3_Lb0EPKlPlS8_S9_N2at6native12_GLOBAL__N_18offset_tEEE10hipError_tPvRmT1_PNSt15iterator_traitsISH_E10value_typeET2_T3_PNSI_ISN_E10value_typeET4_jRbjT5_ST_jjP12ihipStream_tbEUlT_E0_NS1_11comp_targetILNS1_3genE0ELNS1_11target_archE4294967295ELNS1_3gpuE0ELNS1_3repE0EEENS1_60segmented_radix_sort_warp_sort_medium_config_static_selectorELNS0_4arch9wavefront6targetE0EEEvSH_.num_agpr, 0
	.set _ZN7rocprim17ROCPRIM_400000_NS6detail17trampoline_kernelINS0_14default_configENS1_36segmented_radix_sort_config_selectorIllEEZNS1_25segmented_radix_sort_implIS3_Lb0EPKlPlS8_S9_N2at6native12_GLOBAL__N_18offset_tEEE10hipError_tPvRmT1_PNSt15iterator_traitsISH_E10value_typeET2_T3_PNSI_ISN_E10value_typeET4_jRbjT5_ST_jjP12ihipStream_tbEUlT_E0_NS1_11comp_targetILNS1_3genE0ELNS1_11target_archE4294967295ELNS1_3gpuE0ELNS1_3repE0EEENS1_60segmented_radix_sort_warp_sort_medium_config_static_selectorELNS0_4arch9wavefront6targetE0EEEvSH_.numbered_sgpr, 0
	.set _ZN7rocprim17ROCPRIM_400000_NS6detail17trampoline_kernelINS0_14default_configENS1_36segmented_radix_sort_config_selectorIllEEZNS1_25segmented_radix_sort_implIS3_Lb0EPKlPlS8_S9_N2at6native12_GLOBAL__N_18offset_tEEE10hipError_tPvRmT1_PNSt15iterator_traitsISH_E10value_typeET2_T3_PNSI_ISN_E10value_typeET4_jRbjT5_ST_jjP12ihipStream_tbEUlT_E0_NS1_11comp_targetILNS1_3genE0ELNS1_11target_archE4294967295ELNS1_3gpuE0ELNS1_3repE0EEENS1_60segmented_radix_sort_warp_sort_medium_config_static_selectorELNS0_4arch9wavefront6targetE0EEEvSH_.num_named_barrier, 0
	.set _ZN7rocprim17ROCPRIM_400000_NS6detail17trampoline_kernelINS0_14default_configENS1_36segmented_radix_sort_config_selectorIllEEZNS1_25segmented_radix_sort_implIS3_Lb0EPKlPlS8_S9_N2at6native12_GLOBAL__N_18offset_tEEE10hipError_tPvRmT1_PNSt15iterator_traitsISH_E10value_typeET2_T3_PNSI_ISN_E10value_typeET4_jRbjT5_ST_jjP12ihipStream_tbEUlT_E0_NS1_11comp_targetILNS1_3genE0ELNS1_11target_archE4294967295ELNS1_3gpuE0ELNS1_3repE0EEENS1_60segmented_radix_sort_warp_sort_medium_config_static_selectorELNS0_4arch9wavefront6targetE0EEEvSH_.private_seg_size, 0
	.set _ZN7rocprim17ROCPRIM_400000_NS6detail17trampoline_kernelINS0_14default_configENS1_36segmented_radix_sort_config_selectorIllEEZNS1_25segmented_radix_sort_implIS3_Lb0EPKlPlS8_S9_N2at6native12_GLOBAL__N_18offset_tEEE10hipError_tPvRmT1_PNSt15iterator_traitsISH_E10value_typeET2_T3_PNSI_ISN_E10value_typeET4_jRbjT5_ST_jjP12ihipStream_tbEUlT_E0_NS1_11comp_targetILNS1_3genE0ELNS1_11target_archE4294967295ELNS1_3gpuE0ELNS1_3repE0EEENS1_60segmented_radix_sort_warp_sort_medium_config_static_selectorELNS0_4arch9wavefront6targetE0EEEvSH_.uses_vcc, 0
	.set _ZN7rocprim17ROCPRIM_400000_NS6detail17trampoline_kernelINS0_14default_configENS1_36segmented_radix_sort_config_selectorIllEEZNS1_25segmented_radix_sort_implIS3_Lb0EPKlPlS8_S9_N2at6native12_GLOBAL__N_18offset_tEEE10hipError_tPvRmT1_PNSt15iterator_traitsISH_E10value_typeET2_T3_PNSI_ISN_E10value_typeET4_jRbjT5_ST_jjP12ihipStream_tbEUlT_E0_NS1_11comp_targetILNS1_3genE0ELNS1_11target_archE4294967295ELNS1_3gpuE0ELNS1_3repE0EEENS1_60segmented_radix_sort_warp_sort_medium_config_static_selectorELNS0_4arch9wavefront6targetE0EEEvSH_.uses_flat_scratch, 0
	.set _ZN7rocprim17ROCPRIM_400000_NS6detail17trampoline_kernelINS0_14default_configENS1_36segmented_radix_sort_config_selectorIllEEZNS1_25segmented_radix_sort_implIS3_Lb0EPKlPlS8_S9_N2at6native12_GLOBAL__N_18offset_tEEE10hipError_tPvRmT1_PNSt15iterator_traitsISH_E10value_typeET2_T3_PNSI_ISN_E10value_typeET4_jRbjT5_ST_jjP12ihipStream_tbEUlT_E0_NS1_11comp_targetILNS1_3genE0ELNS1_11target_archE4294967295ELNS1_3gpuE0ELNS1_3repE0EEENS1_60segmented_radix_sort_warp_sort_medium_config_static_selectorELNS0_4arch9wavefront6targetE0EEEvSH_.has_dyn_sized_stack, 0
	.set _ZN7rocprim17ROCPRIM_400000_NS6detail17trampoline_kernelINS0_14default_configENS1_36segmented_radix_sort_config_selectorIllEEZNS1_25segmented_radix_sort_implIS3_Lb0EPKlPlS8_S9_N2at6native12_GLOBAL__N_18offset_tEEE10hipError_tPvRmT1_PNSt15iterator_traitsISH_E10value_typeET2_T3_PNSI_ISN_E10value_typeET4_jRbjT5_ST_jjP12ihipStream_tbEUlT_E0_NS1_11comp_targetILNS1_3genE0ELNS1_11target_archE4294967295ELNS1_3gpuE0ELNS1_3repE0EEENS1_60segmented_radix_sort_warp_sort_medium_config_static_selectorELNS0_4arch9wavefront6targetE0EEEvSH_.has_recursion, 0
	.set _ZN7rocprim17ROCPRIM_400000_NS6detail17trampoline_kernelINS0_14default_configENS1_36segmented_radix_sort_config_selectorIllEEZNS1_25segmented_radix_sort_implIS3_Lb0EPKlPlS8_S9_N2at6native12_GLOBAL__N_18offset_tEEE10hipError_tPvRmT1_PNSt15iterator_traitsISH_E10value_typeET2_T3_PNSI_ISN_E10value_typeET4_jRbjT5_ST_jjP12ihipStream_tbEUlT_E0_NS1_11comp_targetILNS1_3genE0ELNS1_11target_archE4294967295ELNS1_3gpuE0ELNS1_3repE0EEENS1_60segmented_radix_sort_warp_sort_medium_config_static_selectorELNS0_4arch9wavefront6targetE0EEEvSH_.has_indirect_call, 0
	.section	.AMDGPU.csdata,"",@progbits
; Kernel info:
; codeLenInByte = 0
; TotalNumSgprs: 0
; NumVgprs: 0
; ScratchSize: 0
; MemoryBound: 0
; FloatMode: 240
; IeeeMode: 1
; LDSByteSize: 0 bytes/workgroup (compile time only)
; SGPRBlocks: 0
; VGPRBlocks: 0
; NumSGPRsForWavesPerEU: 1
; NumVGPRsForWavesPerEU: 1
; Occupancy: 16
; WaveLimiterHint : 0
; COMPUTE_PGM_RSRC2:SCRATCH_EN: 0
; COMPUTE_PGM_RSRC2:USER_SGPR: 6
; COMPUTE_PGM_RSRC2:TRAP_HANDLER: 0
; COMPUTE_PGM_RSRC2:TGID_X_EN: 1
; COMPUTE_PGM_RSRC2:TGID_Y_EN: 0
; COMPUTE_PGM_RSRC2:TGID_Z_EN: 0
; COMPUTE_PGM_RSRC2:TIDIG_COMP_CNT: 0
	.section	.text._ZN7rocprim17ROCPRIM_400000_NS6detail17trampoline_kernelINS0_14default_configENS1_36segmented_radix_sort_config_selectorIllEEZNS1_25segmented_radix_sort_implIS3_Lb0EPKlPlS8_S9_N2at6native12_GLOBAL__N_18offset_tEEE10hipError_tPvRmT1_PNSt15iterator_traitsISH_E10value_typeET2_T3_PNSI_ISN_E10value_typeET4_jRbjT5_ST_jjP12ihipStream_tbEUlT_E0_NS1_11comp_targetILNS1_3genE5ELNS1_11target_archE942ELNS1_3gpuE9ELNS1_3repE0EEENS1_60segmented_radix_sort_warp_sort_medium_config_static_selectorELNS0_4arch9wavefront6targetE0EEEvSH_,"axG",@progbits,_ZN7rocprim17ROCPRIM_400000_NS6detail17trampoline_kernelINS0_14default_configENS1_36segmented_radix_sort_config_selectorIllEEZNS1_25segmented_radix_sort_implIS3_Lb0EPKlPlS8_S9_N2at6native12_GLOBAL__N_18offset_tEEE10hipError_tPvRmT1_PNSt15iterator_traitsISH_E10value_typeET2_T3_PNSI_ISN_E10value_typeET4_jRbjT5_ST_jjP12ihipStream_tbEUlT_E0_NS1_11comp_targetILNS1_3genE5ELNS1_11target_archE942ELNS1_3gpuE9ELNS1_3repE0EEENS1_60segmented_radix_sort_warp_sort_medium_config_static_selectorELNS0_4arch9wavefront6targetE0EEEvSH_,comdat
	.globl	_ZN7rocprim17ROCPRIM_400000_NS6detail17trampoline_kernelINS0_14default_configENS1_36segmented_radix_sort_config_selectorIllEEZNS1_25segmented_radix_sort_implIS3_Lb0EPKlPlS8_S9_N2at6native12_GLOBAL__N_18offset_tEEE10hipError_tPvRmT1_PNSt15iterator_traitsISH_E10value_typeET2_T3_PNSI_ISN_E10value_typeET4_jRbjT5_ST_jjP12ihipStream_tbEUlT_E0_NS1_11comp_targetILNS1_3genE5ELNS1_11target_archE942ELNS1_3gpuE9ELNS1_3repE0EEENS1_60segmented_radix_sort_warp_sort_medium_config_static_selectorELNS0_4arch9wavefront6targetE0EEEvSH_ ; -- Begin function _ZN7rocprim17ROCPRIM_400000_NS6detail17trampoline_kernelINS0_14default_configENS1_36segmented_radix_sort_config_selectorIllEEZNS1_25segmented_radix_sort_implIS3_Lb0EPKlPlS8_S9_N2at6native12_GLOBAL__N_18offset_tEEE10hipError_tPvRmT1_PNSt15iterator_traitsISH_E10value_typeET2_T3_PNSI_ISN_E10value_typeET4_jRbjT5_ST_jjP12ihipStream_tbEUlT_E0_NS1_11comp_targetILNS1_3genE5ELNS1_11target_archE942ELNS1_3gpuE9ELNS1_3repE0EEENS1_60segmented_radix_sort_warp_sort_medium_config_static_selectorELNS0_4arch9wavefront6targetE0EEEvSH_
	.p2align	8
	.type	_ZN7rocprim17ROCPRIM_400000_NS6detail17trampoline_kernelINS0_14default_configENS1_36segmented_radix_sort_config_selectorIllEEZNS1_25segmented_radix_sort_implIS3_Lb0EPKlPlS8_S9_N2at6native12_GLOBAL__N_18offset_tEEE10hipError_tPvRmT1_PNSt15iterator_traitsISH_E10value_typeET2_T3_PNSI_ISN_E10value_typeET4_jRbjT5_ST_jjP12ihipStream_tbEUlT_E0_NS1_11comp_targetILNS1_3genE5ELNS1_11target_archE942ELNS1_3gpuE9ELNS1_3repE0EEENS1_60segmented_radix_sort_warp_sort_medium_config_static_selectorELNS0_4arch9wavefront6targetE0EEEvSH_,@function
_ZN7rocprim17ROCPRIM_400000_NS6detail17trampoline_kernelINS0_14default_configENS1_36segmented_radix_sort_config_selectorIllEEZNS1_25segmented_radix_sort_implIS3_Lb0EPKlPlS8_S9_N2at6native12_GLOBAL__N_18offset_tEEE10hipError_tPvRmT1_PNSt15iterator_traitsISH_E10value_typeET2_T3_PNSI_ISN_E10value_typeET4_jRbjT5_ST_jjP12ihipStream_tbEUlT_E0_NS1_11comp_targetILNS1_3genE5ELNS1_11target_archE942ELNS1_3gpuE9ELNS1_3repE0EEENS1_60segmented_radix_sort_warp_sort_medium_config_static_selectorELNS0_4arch9wavefront6targetE0EEEvSH_: ; @_ZN7rocprim17ROCPRIM_400000_NS6detail17trampoline_kernelINS0_14default_configENS1_36segmented_radix_sort_config_selectorIllEEZNS1_25segmented_radix_sort_implIS3_Lb0EPKlPlS8_S9_N2at6native12_GLOBAL__N_18offset_tEEE10hipError_tPvRmT1_PNSt15iterator_traitsISH_E10value_typeET2_T3_PNSI_ISN_E10value_typeET4_jRbjT5_ST_jjP12ihipStream_tbEUlT_E0_NS1_11comp_targetILNS1_3genE5ELNS1_11target_archE942ELNS1_3gpuE9ELNS1_3repE0EEENS1_60segmented_radix_sort_warp_sort_medium_config_static_selectorELNS0_4arch9wavefront6targetE0EEEvSH_
; %bb.0:
	.section	.rodata,"a",@progbits
	.p2align	6, 0x0
	.amdhsa_kernel _ZN7rocprim17ROCPRIM_400000_NS6detail17trampoline_kernelINS0_14default_configENS1_36segmented_radix_sort_config_selectorIllEEZNS1_25segmented_radix_sort_implIS3_Lb0EPKlPlS8_S9_N2at6native12_GLOBAL__N_18offset_tEEE10hipError_tPvRmT1_PNSt15iterator_traitsISH_E10value_typeET2_T3_PNSI_ISN_E10value_typeET4_jRbjT5_ST_jjP12ihipStream_tbEUlT_E0_NS1_11comp_targetILNS1_3genE5ELNS1_11target_archE942ELNS1_3gpuE9ELNS1_3repE0EEENS1_60segmented_radix_sort_warp_sort_medium_config_static_selectorELNS0_4arch9wavefront6targetE0EEEvSH_
		.amdhsa_group_segment_fixed_size 0
		.amdhsa_private_segment_fixed_size 0
		.amdhsa_kernarg_size 88
		.amdhsa_user_sgpr_count 6
		.amdhsa_user_sgpr_private_segment_buffer 1
		.amdhsa_user_sgpr_dispatch_ptr 0
		.amdhsa_user_sgpr_queue_ptr 0
		.amdhsa_user_sgpr_kernarg_segment_ptr 1
		.amdhsa_user_sgpr_dispatch_id 0
		.amdhsa_user_sgpr_flat_scratch_init 0
		.amdhsa_user_sgpr_private_segment_size 0
		.amdhsa_wavefront_size32 1
		.amdhsa_uses_dynamic_stack 0
		.amdhsa_system_sgpr_private_segment_wavefront_offset 0
		.amdhsa_system_sgpr_workgroup_id_x 1
		.amdhsa_system_sgpr_workgroup_id_y 0
		.amdhsa_system_sgpr_workgroup_id_z 0
		.amdhsa_system_sgpr_workgroup_info 0
		.amdhsa_system_vgpr_workitem_id 0
		.amdhsa_next_free_vgpr 1
		.amdhsa_next_free_sgpr 1
		.amdhsa_reserve_vcc 0
		.amdhsa_reserve_flat_scratch 0
		.amdhsa_float_round_mode_32 0
		.amdhsa_float_round_mode_16_64 0
		.amdhsa_float_denorm_mode_32 3
		.amdhsa_float_denorm_mode_16_64 3
		.amdhsa_dx10_clamp 1
		.amdhsa_ieee_mode 1
		.amdhsa_fp16_overflow 0
		.amdhsa_workgroup_processor_mode 1
		.amdhsa_memory_ordered 1
		.amdhsa_forward_progress 1
		.amdhsa_shared_vgpr_count 0
		.amdhsa_exception_fp_ieee_invalid_op 0
		.amdhsa_exception_fp_denorm_src 0
		.amdhsa_exception_fp_ieee_div_zero 0
		.amdhsa_exception_fp_ieee_overflow 0
		.amdhsa_exception_fp_ieee_underflow 0
		.amdhsa_exception_fp_ieee_inexact 0
		.amdhsa_exception_int_div_zero 0
	.end_amdhsa_kernel
	.section	.text._ZN7rocprim17ROCPRIM_400000_NS6detail17trampoline_kernelINS0_14default_configENS1_36segmented_radix_sort_config_selectorIllEEZNS1_25segmented_radix_sort_implIS3_Lb0EPKlPlS8_S9_N2at6native12_GLOBAL__N_18offset_tEEE10hipError_tPvRmT1_PNSt15iterator_traitsISH_E10value_typeET2_T3_PNSI_ISN_E10value_typeET4_jRbjT5_ST_jjP12ihipStream_tbEUlT_E0_NS1_11comp_targetILNS1_3genE5ELNS1_11target_archE942ELNS1_3gpuE9ELNS1_3repE0EEENS1_60segmented_radix_sort_warp_sort_medium_config_static_selectorELNS0_4arch9wavefront6targetE0EEEvSH_,"axG",@progbits,_ZN7rocprim17ROCPRIM_400000_NS6detail17trampoline_kernelINS0_14default_configENS1_36segmented_radix_sort_config_selectorIllEEZNS1_25segmented_radix_sort_implIS3_Lb0EPKlPlS8_S9_N2at6native12_GLOBAL__N_18offset_tEEE10hipError_tPvRmT1_PNSt15iterator_traitsISH_E10value_typeET2_T3_PNSI_ISN_E10value_typeET4_jRbjT5_ST_jjP12ihipStream_tbEUlT_E0_NS1_11comp_targetILNS1_3genE5ELNS1_11target_archE942ELNS1_3gpuE9ELNS1_3repE0EEENS1_60segmented_radix_sort_warp_sort_medium_config_static_selectorELNS0_4arch9wavefront6targetE0EEEvSH_,comdat
.Lfunc_end812:
	.size	_ZN7rocprim17ROCPRIM_400000_NS6detail17trampoline_kernelINS0_14default_configENS1_36segmented_radix_sort_config_selectorIllEEZNS1_25segmented_radix_sort_implIS3_Lb0EPKlPlS8_S9_N2at6native12_GLOBAL__N_18offset_tEEE10hipError_tPvRmT1_PNSt15iterator_traitsISH_E10value_typeET2_T3_PNSI_ISN_E10value_typeET4_jRbjT5_ST_jjP12ihipStream_tbEUlT_E0_NS1_11comp_targetILNS1_3genE5ELNS1_11target_archE942ELNS1_3gpuE9ELNS1_3repE0EEENS1_60segmented_radix_sort_warp_sort_medium_config_static_selectorELNS0_4arch9wavefront6targetE0EEEvSH_, .Lfunc_end812-_ZN7rocprim17ROCPRIM_400000_NS6detail17trampoline_kernelINS0_14default_configENS1_36segmented_radix_sort_config_selectorIllEEZNS1_25segmented_radix_sort_implIS3_Lb0EPKlPlS8_S9_N2at6native12_GLOBAL__N_18offset_tEEE10hipError_tPvRmT1_PNSt15iterator_traitsISH_E10value_typeET2_T3_PNSI_ISN_E10value_typeET4_jRbjT5_ST_jjP12ihipStream_tbEUlT_E0_NS1_11comp_targetILNS1_3genE5ELNS1_11target_archE942ELNS1_3gpuE9ELNS1_3repE0EEENS1_60segmented_radix_sort_warp_sort_medium_config_static_selectorELNS0_4arch9wavefront6targetE0EEEvSH_
                                        ; -- End function
	.set _ZN7rocprim17ROCPRIM_400000_NS6detail17trampoline_kernelINS0_14default_configENS1_36segmented_radix_sort_config_selectorIllEEZNS1_25segmented_radix_sort_implIS3_Lb0EPKlPlS8_S9_N2at6native12_GLOBAL__N_18offset_tEEE10hipError_tPvRmT1_PNSt15iterator_traitsISH_E10value_typeET2_T3_PNSI_ISN_E10value_typeET4_jRbjT5_ST_jjP12ihipStream_tbEUlT_E0_NS1_11comp_targetILNS1_3genE5ELNS1_11target_archE942ELNS1_3gpuE9ELNS1_3repE0EEENS1_60segmented_radix_sort_warp_sort_medium_config_static_selectorELNS0_4arch9wavefront6targetE0EEEvSH_.num_vgpr, 0
	.set _ZN7rocprim17ROCPRIM_400000_NS6detail17trampoline_kernelINS0_14default_configENS1_36segmented_radix_sort_config_selectorIllEEZNS1_25segmented_radix_sort_implIS3_Lb0EPKlPlS8_S9_N2at6native12_GLOBAL__N_18offset_tEEE10hipError_tPvRmT1_PNSt15iterator_traitsISH_E10value_typeET2_T3_PNSI_ISN_E10value_typeET4_jRbjT5_ST_jjP12ihipStream_tbEUlT_E0_NS1_11comp_targetILNS1_3genE5ELNS1_11target_archE942ELNS1_3gpuE9ELNS1_3repE0EEENS1_60segmented_radix_sort_warp_sort_medium_config_static_selectorELNS0_4arch9wavefront6targetE0EEEvSH_.num_agpr, 0
	.set _ZN7rocprim17ROCPRIM_400000_NS6detail17trampoline_kernelINS0_14default_configENS1_36segmented_radix_sort_config_selectorIllEEZNS1_25segmented_radix_sort_implIS3_Lb0EPKlPlS8_S9_N2at6native12_GLOBAL__N_18offset_tEEE10hipError_tPvRmT1_PNSt15iterator_traitsISH_E10value_typeET2_T3_PNSI_ISN_E10value_typeET4_jRbjT5_ST_jjP12ihipStream_tbEUlT_E0_NS1_11comp_targetILNS1_3genE5ELNS1_11target_archE942ELNS1_3gpuE9ELNS1_3repE0EEENS1_60segmented_radix_sort_warp_sort_medium_config_static_selectorELNS0_4arch9wavefront6targetE0EEEvSH_.numbered_sgpr, 0
	.set _ZN7rocprim17ROCPRIM_400000_NS6detail17trampoline_kernelINS0_14default_configENS1_36segmented_radix_sort_config_selectorIllEEZNS1_25segmented_radix_sort_implIS3_Lb0EPKlPlS8_S9_N2at6native12_GLOBAL__N_18offset_tEEE10hipError_tPvRmT1_PNSt15iterator_traitsISH_E10value_typeET2_T3_PNSI_ISN_E10value_typeET4_jRbjT5_ST_jjP12ihipStream_tbEUlT_E0_NS1_11comp_targetILNS1_3genE5ELNS1_11target_archE942ELNS1_3gpuE9ELNS1_3repE0EEENS1_60segmented_radix_sort_warp_sort_medium_config_static_selectorELNS0_4arch9wavefront6targetE0EEEvSH_.num_named_barrier, 0
	.set _ZN7rocprim17ROCPRIM_400000_NS6detail17trampoline_kernelINS0_14default_configENS1_36segmented_radix_sort_config_selectorIllEEZNS1_25segmented_radix_sort_implIS3_Lb0EPKlPlS8_S9_N2at6native12_GLOBAL__N_18offset_tEEE10hipError_tPvRmT1_PNSt15iterator_traitsISH_E10value_typeET2_T3_PNSI_ISN_E10value_typeET4_jRbjT5_ST_jjP12ihipStream_tbEUlT_E0_NS1_11comp_targetILNS1_3genE5ELNS1_11target_archE942ELNS1_3gpuE9ELNS1_3repE0EEENS1_60segmented_radix_sort_warp_sort_medium_config_static_selectorELNS0_4arch9wavefront6targetE0EEEvSH_.private_seg_size, 0
	.set _ZN7rocprim17ROCPRIM_400000_NS6detail17trampoline_kernelINS0_14default_configENS1_36segmented_radix_sort_config_selectorIllEEZNS1_25segmented_radix_sort_implIS3_Lb0EPKlPlS8_S9_N2at6native12_GLOBAL__N_18offset_tEEE10hipError_tPvRmT1_PNSt15iterator_traitsISH_E10value_typeET2_T3_PNSI_ISN_E10value_typeET4_jRbjT5_ST_jjP12ihipStream_tbEUlT_E0_NS1_11comp_targetILNS1_3genE5ELNS1_11target_archE942ELNS1_3gpuE9ELNS1_3repE0EEENS1_60segmented_radix_sort_warp_sort_medium_config_static_selectorELNS0_4arch9wavefront6targetE0EEEvSH_.uses_vcc, 0
	.set _ZN7rocprim17ROCPRIM_400000_NS6detail17trampoline_kernelINS0_14default_configENS1_36segmented_radix_sort_config_selectorIllEEZNS1_25segmented_radix_sort_implIS3_Lb0EPKlPlS8_S9_N2at6native12_GLOBAL__N_18offset_tEEE10hipError_tPvRmT1_PNSt15iterator_traitsISH_E10value_typeET2_T3_PNSI_ISN_E10value_typeET4_jRbjT5_ST_jjP12ihipStream_tbEUlT_E0_NS1_11comp_targetILNS1_3genE5ELNS1_11target_archE942ELNS1_3gpuE9ELNS1_3repE0EEENS1_60segmented_radix_sort_warp_sort_medium_config_static_selectorELNS0_4arch9wavefront6targetE0EEEvSH_.uses_flat_scratch, 0
	.set _ZN7rocprim17ROCPRIM_400000_NS6detail17trampoline_kernelINS0_14default_configENS1_36segmented_radix_sort_config_selectorIllEEZNS1_25segmented_radix_sort_implIS3_Lb0EPKlPlS8_S9_N2at6native12_GLOBAL__N_18offset_tEEE10hipError_tPvRmT1_PNSt15iterator_traitsISH_E10value_typeET2_T3_PNSI_ISN_E10value_typeET4_jRbjT5_ST_jjP12ihipStream_tbEUlT_E0_NS1_11comp_targetILNS1_3genE5ELNS1_11target_archE942ELNS1_3gpuE9ELNS1_3repE0EEENS1_60segmented_radix_sort_warp_sort_medium_config_static_selectorELNS0_4arch9wavefront6targetE0EEEvSH_.has_dyn_sized_stack, 0
	.set _ZN7rocprim17ROCPRIM_400000_NS6detail17trampoline_kernelINS0_14default_configENS1_36segmented_radix_sort_config_selectorIllEEZNS1_25segmented_radix_sort_implIS3_Lb0EPKlPlS8_S9_N2at6native12_GLOBAL__N_18offset_tEEE10hipError_tPvRmT1_PNSt15iterator_traitsISH_E10value_typeET2_T3_PNSI_ISN_E10value_typeET4_jRbjT5_ST_jjP12ihipStream_tbEUlT_E0_NS1_11comp_targetILNS1_3genE5ELNS1_11target_archE942ELNS1_3gpuE9ELNS1_3repE0EEENS1_60segmented_radix_sort_warp_sort_medium_config_static_selectorELNS0_4arch9wavefront6targetE0EEEvSH_.has_recursion, 0
	.set _ZN7rocprim17ROCPRIM_400000_NS6detail17trampoline_kernelINS0_14default_configENS1_36segmented_radix_sort_config_selectorIllEEZNS1_25segmented_radix_sort_implIS3_Lb0EPKlPlS8_S9_N2at6native12_GLOBAL__N_18offset_tEEE10hipError_tPvRmT1_PNSt15iterator_traitsISH_E10value_typeET2_T3_PNSI_ISN_E10value_typeET4_jRbjT5_ST_jjP12ihipStream_tbEUlT_E0_NS1_11comp_targetILNS1_3genE5ELNS1_11target_archE942ELNS1_3gpuE9ELNS1_3repE0EEENS1_60segmented_radix_sort_warp_sort_medium_config_static_selectorELNS0_4arch9wavefront6targetE0EEEvSH_.has_indirect_call, 0
	.section	.AMDGPU.csdata,"",@progbits
; Kernel info:
; codeLenInByte = 0
; TotalNumSgprs: 0
; NumVgprs: 0
; ScratchSize: 0
; MemoryBound: 0
; FloatMode: 240
; IeeeMode: 1
; LDSByteSize: 0 bytes/workgroup (compile time only)
; SGPRBlocks: 0
; VGPRBlocks: 0
; NumSGPRsForWavesPerEU: 1
; NumVGPRsForWavesPerEU: 1
; Occupancy: 16
; WaveLimiterHint : 0
; COMPUTE_PGM_RSRC2:SCRATCH_EN: 0
; COMPUTE_PGM_RSRC2:USER_SGPR: 6
; COMPUTE_PGM_RSRC2:TRAP_HANDLER: 0
; COMPUTE_PGM_RSRC2:TGID_X_EN: 1
; COMPUTE_PGM_RSRC2:TGID_Y_EN: 0
; COMPUTE_PGM_RSRC2:TGID_Z_EN: 0
; COMPUTE_PGM_RSRC2:TIDIG_COMP_CNT: 0
	.section	.text._ZN7rocprim17ROCPRIM_400000_NS6detail17trampoline_kernelINS0_14default_configENS1_36segmented_radix_sort_config_selectorIllEEZNS1_25segmented_radix_sort_implIS3_Lb0EPKlPlS8_S9_N2at6native12_GLOBAL__N_18offset_tEEE10hipError_tPvRmT1_PNSt15iterator_traitsISH_E10value_typeET2_T3_PNSI_ISN_E10value_typeET4_jRbjT5_ST_jjP12ihipStream_tbEUlT_E0_NS1_11comp_targetILNS1_3genE4ELNS1_11target_archE910ELNS1_3gpuE8ELNS1_3repE0EEENS1_60segmented_radix_sort_warp_sort_medium_config_static_selectorELNS0_4arch9wavefront6targetE0EEEvSH_,"axG",@progbits,_ZN7rocprim17ROCPRIM_400000_NS6detail17trampoline_kernelINS0_14default_configENS1_36segmented_radix_sort_config_selectorIllEEZNS1_25segmented_radix_sort_implIS3_Lb0EPKlPlS8_S9_N2at6native12_GLOBAL__N_18offset_tEEE10hipError_tPvRmT1_PNSt15iterator_traitsISH_E10value_typeET2_T3_PNSI_ISN_E10value_typeET4_jRbjT5_ST_jjP12ihipStream_tbEUlT_E0_NS1_11comp_targetILNS1_3genE4ELNS1_11target_archE910ELNS1_3gpuE8ELNS1_3repE0EEENS1_60segmented_radix_sort_warp_sort_medium_config_static_selectorELNS0_4arch9wavefront6targetE0EEEvSH_,comdat
	.globl	_ZN7rocprim17ROCPRIM_400000_NS6detail17trampoline_kernelINS0_14default_configENS1_36segmented_radix_sort_config_selectorIllEEZNS1_25segmented_radix_sort_implIS3_Lb0EPKlPlS8_S9_N2at6native12_GLOBAL__N_18offset_tEEE10hipError_tPvRmT1_PNSt15iterator_traitsISH_E10value_typeET2_T3_PNSI_ISN_E10value_typeET4_jRbjT5_ST_jjP12ihipStream_tbEUlT_E0_NS1_11comp_targetILNS1_3genE4ELNS1_11target_archE910ELNS1_3gpuE8ELNS1_3repE0EEENS1_60segmented_radix_sort_warp_sort_medium_config_static_selectorELNS0_4arch9wavefront6targetE0EEEvSH_ ; -- Begin function _ZN7rocprim17ROCPRIM_400000_NS6detail17trampoline_kernelINS0_14default_configENS1_36segmented_radix_sort_config_selectorIllEEZNS1_25segmented_radix_sort_implIS3_Lb0EPKlPlS8_S9_N2at6native12_GLOBAL__N_18offset_tEEE10hipError_tPvRmT1_PNSt15iterator_traitsISH_E10value_typeET2_T3_PNSI_ISN_E10value_typeET4_jRbjT5_ST_jjP12ihipStream_tbEUlT_E0_NS1_11comp_targetILNS1_3genE4ELNS1_11target_archE910ELNS1_3gpuE8ELNS1_3repE0EEENS1_60segmented_radix_sort_warp_sort_medium_config_static_selectorELNS0_4arch9wavefront6targetE0EEEvSH_
	.p2align	8
	.type	_ZN7rocprim17ROCPRIM_400000_NS6detail17trampoline_kernelINS0_14default_configENS1_36segmented_radix_sort_config_selectorIllEEZNS1_25segmented_radix_sort_implIS3_Lb0EPKlPlS8_S9_N2at6native12_GLOBAL__N_18offset_tEEE10hipError_tPvRmT1_PNSt15iterator_traitsISH_E10value_typeET2_T3_PNSI_ISN_E10value_typeET4_jRbjT5_ST_jjP12ihipStream_tbEUlT_E0_NS1_11comp_targetILNS1_3genE4ELNS1_11target_archE910ELNS1_3gpuE8ELNS1_3repE0EEENS1_60segmented_radix_sort_warp_sort_medium_config_static_selectorELNS0_4arch9wavefront6targetE0EEEvSH_,@function
_ZN7rocprim17ROCPRIM_400000_NS6detail17trampoline_kernelINS0_14default_configENS1_36segmented_radix_sort_config_selectorIllEEZNS1_25segmented_radix_sort_implIS3_Lb0EPKlPlS8_S9_N2at6native12_GLOBAL__N_18offset_tEEE10hipError_tPvRmT1_PNSt15iterator_traitsISH_E10value_typeET2_T3_PNSI_ISN_E10value_typeET4_jRbjT5_ST_jjP12ihipStream_tbEUlT_E0_NS1_11comp_targetILNS1_3genE4ELNS1_11target_archE910ELNS1_3gpuE8ELNS1_3repE0EEENS1_60segmented_radix_sort_warp_sort_medium_config_static_selectorELNS0_4arch9wavefront6targetE0EEEvSH_: ; @_ZN7rocprim17ROCPRIM_400000_NS6detail17trampoline_kernelINS0_14default_configENS1_36segmented_radix_sort_config_selectorIllEEZNS1_25segmented_radix_sort_implIS3_Lb0EPKlPlS8_S9_N2at6native12_GLOBAL__N_18offset_tEEE10hipError_tPvRmT1_PNSt15iterator_traitsISH_E10value_typeET2_T3_PNSI_ISN_E10value_typeET4_jRbjT5_ST_jjP12ihipStream_tbEUlT_E0_NS1_11comp_targetILNS1_3genE4ELNS1_11target_archE910ELNS1_3gpuE8ELNS1_3repE0EEENS1_60segmented_radix_sort_warp_sort_medium_config_static_selectorELNS0_4arch9wavefront6targetE0EEEvSH_
; %bb.0:
	.section	.rodata,"a",@progbits
	.p2align	6, 0x0
	.amdhsa_kernel _ZN7rocprim17ROCPRIM_400000_NS6detail17trampoline_kernelINS0_14default_configENS1_36segmented_radix_sort_config_selectorIllEEZNS1_25segmented_radix_sort_implIS3_Lb0EPKlPlS8_S9_N2at6native12_GLOBAL__N_18offset_tEEE10hipError_tPvRmT1_PNSt15iterator_traitsISH_E10value_typeET2_T3_PNSI_ISN_E10value_typeET4_jRbjT5_ST_jjP12ihipStream_tbEUlT_E0_NS1_11comp_targetILNS1_3genE4ELNS1_11target_archE910ELNS1_3gpuE8ELNS1_3repE0EEENS1_60segmented_radix_sort_warp_sort_medium_config_static_selectorELNS0_4arch9wavefront6targetE0EEEvSH_
		.amdhsa_group_segment_fixed_size 0
		.amdhsa_private_segment_fixed_size 0
		.amdhsa_kernarg_size 88
		.amdhsa_user_sgpr_count 6
		.amdhsa_user_sgpr_private_segment_buffer 1
		.amdhsa_user_sgpr_dispatch_ptr 0
		.amdhsa_user_sgpr_queue_ptr 0
		.amdhsa_user_sgpr_kernarg_segment_ptr 1
		.amdhsa_user_sgpr_dispatch_id 0
		.amdhsa_user_sgpr_flat_scratch_init 0
		.amdhsa_user_sgpr_private_segment_size 0
		.amdhsa_wavefront_size32 1
		.amdhsa_uses_dynamic_stack 0
		.amdhsa_system_sgpr_private_segment_wavefront_offset 0
		.amdhsa_system_sgpr_workgroup_id_x 1
		.amdhsa_system_sgpr_workgroup_id_y 0
		.amdhsa_system_sgpr_workgroup_id_z 0
		.amdhsa_system_sgpr_workgroup_info 0
		.amdhsa_system_vgpr_workitem_id 0
		.amdhsa_next_free_vgpr 1
		.amdhsa_next_free_sgpr 1
		.amdhsa_reserve_vcc 0
		.amdhsa_reserve_flat_scratch 0
		.amdhsa_float_round_mode_32 0
		.amdhsa_float_round_mode_16_64 0
		.amdhsa_float_denorm_mode_32 3
		.amdhsa_float_denorm_mode_16_64 3
		.amdhsa_dx10_clamp 1
		.amdhsa_ieee_mode 1
		.amdhsa_fp16_overflow 0
		.amdhsa_workgroup_processor_mode 1
		.amdhsa_memory_ordered 1
		.amdhsa_forward_progress 1
		.amdhsa_shared_vgpr_count 0
		.amdhsa_exception_fp_ieee_invalid_op 0
		.amdhsa_exception_fp_denorm_src 0
		.amdhsa_exception_fp_ieee_div_zero 0
		.amdhsa_exception_fp_ieee_overflow 0
		.amdhsa_exception_fp_ieee_underflow 0
		.amdhsa_exception_fp_ieee_inexact 0
		.amdhsa_exception_int_div_zero 0
	.end_amdhsa_kernel
	.section	.text._ZN7rocprim17ROCPRIM_400000_NS6detail17trampoline_kernelINS0_14default_configENS1_36segmented_radix_sort_config_selectorIllEEZNS1_25segmented_radix_sort_implIS3_Lb0EPKlPlS8_S9_N2at6native12_GLOBAL__N_18offset_tEEE10hipError_tPvRmT1_PNSt15iterator_traitsISH_E10value_typeET2_T3_PNSI_ISN_E10value_typeET4_jRbjT5_ST_jjP12ihipStream_tbEUlT_E0_NS1_11comp_targetILNS1_3genE4ELNS1_11target_archE910ELNS1_3gpuE8ELNS1_3repE0EEENS1_60segmented_radix_sort_warp_sort_medium_config_static_selectorELNS0_4arch9wavefront6targetE0EEEvSH_,"axG",@progbits,_ZN7rocprim17ROCPRIM_400000_NS6detail17trampoline_kernelINS0_14default_configENS1_36segmented_radix_sort_config_selectorIllEEZNS1_25segmented_radix_sort_implIS3_Lb0EPKlPlS8_S9_N2at6native12_GLOBAL__N_18offset_tEEE10hipError_tPvRmT1_PNSt15iterator_traitsISH_E10value_typeET2_T3_PNSI_ISN_E10value_typeET4_jRbjT5_ST_jjP12ihipStream_tbEUlT_E0_NS1_11comp_targetILNS1_3genE4ELNS1_11target_archE910ELNS1_3gpuE8ELNS1_3repE0EEENS1_60segmented_radix_sort_warp_sort_medium_config_static_selectorELNS0_4arch9wavefront6targetE0EEEvSH_,comdat
.Lfunc_end813:
	.size	_ZN7rocprim17ROCPRIM_400000_NS6detail17trampoline_kernelINS0_14default_configENS1_36segmented_radix_sort_config_selectorIllEEZNS1_25segmented_radix_sort_implIS3_Lb0EPKlPlS8_S9_N2at6native12_GLOBAL__N_18offset_tEEE10hipError_tPvRmT1_PNSt15iterator_traitsISH_E10value_typeET2_T3_PNSI_ISN_E10value_typeET4_jRbjT5_ST_jjP12ihipStream_tbEUlT_E0_NS1_11comp_targetILNS1_3genE4ELNS1_11target_archE910ELNS1_3gpuE8ELNS1_3repE0EEENS1_60segmented_radix_sort_warp_sort_medium_config_static_selectorELNS0_4arch9wavefront6targetE0EEEvSH_, .Lfunc_end813-_ZN7rocprim17ROCPRIM_400000_NS6detail17trampoline_kernelINS0_14default_configENS1_36segmented_radix_sort_config_selectorIllEEZNS1_25segmented_radix_sort_implIS3_Lb0EPKlPlS8_S9_N2at6native12_GLOBAL__N_18offset_tEEE10hipError_tPvRmT1_PNSt15iterator_traitsISH_E10value_typeET2_T3_PNSI_ISN_E10value_typeET4_jRbjT5_ST_jjP12ihipStream_tbEUlT_E0_NS1_11comp_targetILNS1_3genE4ELNS1_11target_archE910ELNS1_3gpuE8ELNS1_3repE0EEENS1_60segmented_radix_sort_warp_sort_medium_config_static_selectorELNS0_4arch9wavefront6targetE0EEEvSH_
                                        ; -- End function
	.set _ZN7rocprim17ROCPRIM_400000_NS6detail17trampoline_kernelINS0_14default_configENS1_36segmented_radix_sort_config_selectorIllEEZNS1_25segmented_radix_sort_implIS3_Lb0EPKlPlS8_S9_N2at6native12_GLOBAL__N_18offset_tEEE10hipError_tPvRmT1_PNSt15iterator_traitsISH_E10value_typeET2_T3_PNSI_ISN_E10value_typeET4_jRbjT5_ST_jjP12ihipStream_tbEUlT_E0_NS1_11comp_targetILNS1_3genE4ELNS1_11target_archE910ELNS1_3gpuE8ELNS1_3repE0EEENS1_60segmented_radix_sort_warp_sort_medium_config_static_selectorELNS0_4arch9wavefront6targetE0EEEvSH_.num_vgpr, 0
	.set _ZN7rocprim17ROCPRIM_400000_NS6detail17trampoline_kernelINS0_14default_configENS1_36segmented_radix_sort_config_selectorIllEEZNS1_25segmented_radix_sort_implIS3_Lb0EPKlPlS8_S9_N2at6native12_GLOBAL__N_18offset_tEEE10hipError_tPvRmT1_PNSt15iterator_traitsISH_E10value_typeET2_T3_PNSI_ISN_E10value_typeET4_jRbjT5_ST_jjP12ihipStream_tbEUlT_E0_NS1_11comp_targetILNS1_3genE4ELNS1_11target_archE910ELNS1_3gpuE8ELNS1_3repE0EEENS1_60segmented_radix_sort_warp_sort_medium_config_static_selectorELNS0_4arch9wavefront6targetE0EEEvSH_.num_agpr, 0
	.set _ZN7rocprim17ROCPRIM_400000_NS6detail17trampoline_kernelINS0_14default_configENS1_36segmented_radix_sort_config_selectorIllEEZNS1_25segmented_radix_sort_implIS3_Lb0EPKlPlS8_S9_N2at6native12_GLOBAL__N_18offset_tEEE10hipError_tPvRmT1_PNSt15iterator_traitsISH_E10value_typeET2_T3_PNSI_ISN_E10value_typeET4_jRbjT5_ST_jjP12ihipStream_tbEUlT_E0_NS1_11comp_targetILNS1_3genE4ELNS1_11target_archE910ELNS1_3gpuE8ELNS1_3repE0EEENS1_60segmented_radix_sort_warp_sort_medium_config_static_selectorELNS0_4arch9wavefront6targetE0EEEvSH_.numbered_sgpr, 0
	.set _ZN7rocprim17ROCPRIM_400000_NS6detail17trampoline_kernelINS0_14default_configENS1_36segmented_radix_sort_config_selectorIllEEZNS1_25segmented_radix_sort_implIS3_Lb0EPKlPlS8_S9_N2at6native12_GLOBAL__N_18offset_tEEE10hipError_tPvRmT1_PNSt15iterator_traitsISH_E10value_typeET2_T3_PNSI_ISN_E10value_typeET4_jRbjT5_ST_jjP12ihipStream_tbEUlT_E0_NS1_11comp_targetILNS1_3genE4ELNS1_11target_archE910ELNS1_3gpuE8ELNS1_3repE0EEENS1_60segmented_radix_sort_warp_sort_medium_config_static_selectorELNS0_4arch9wavefront6targetE0EEEvSH_.num_named_barrier, 0
	.set _ZN7rocprim17ROCPRIM_400000_NS6detail17trampoline_kernelINS0_14default_configENS1_36segmented_radix_sort_config_selectorIllEEZNS1_25segmented_radix_sort_implIS3_Lb0EPKlPlS8_S9_N2at6native12_GLOBAL__N_18offset_tEEE10hipError_tPvRmT1_PNSt15iterator_traitsISH_E10value_typeET2_T3_PNSI_ISN_E10value_typeET4_jRbjT5_ST_jjP12ihipStream_tbEUlT_E0_NS1_11comp_targetILNS1_3genE4ELNS1_11target_archE910ELNS1_3gpuE8ELNS1_3repE0EEENS1_60segmented_radix_sort_warp_sort_medium_config_static_selectorELNS0_4arch9wavefront6targetE0EEEvSH_.private_seg_size, 0
	.set _ZN7rocprim17ROCPRIM_400000_NS6detail17trampoline_kernelINS0_14default_configENS1_36segmented_radix_sort_config_selectorIllEEZNS1_25segmented_radix_sort_implIS3_Lb0EPKlPlS8_S9_N2at6native12_GLOBAL__N_18offset_tEEE10hipError_tPvRmT1_PNSt15iterator_traitsISH_E10value_typeET2_T3_PNSI_ISN_E10value_typeET4_jRbjT5_ST_jjP12ihipStream_tbEUlT_E0_NS1_11comp_targetILNS1_3genE4ELNS1_11target_archE910ELNS1_3gpuE8ELNS1_3repE0EEENS1_60segmented_radix_sort_warp_sort_medium_config_static_selectorELNS0_4arch9wavefront6targetE0EEEvSH_.uses_vcc, 0
	.set _ZN7rocprim17ROCPRIM_400000_NS6detail17trampoline_kernelINS0_14default_configENS1_36segmented_radix_sort_config_selectorIllEEZNS1_25segmented_radix_sort_implIS3_Lb0EPKlPlS8_S9_N2at6native12_GLOBAL__N_18offset_tEEE10hipError_tPvRmT1_PNSt15iterator_traitsISH_E10value_typeET2_T3_PNSI_ISN_E10value_typeET4_jRbjT5_ST_jjP12ihipStream_tbEUlT_E0_NS1_11comp_targetILNS1_3genE4ELNS1_11target_archE910ELNS1_3gpuE8ELNS1_3repE0EEENS1_60segmented_radix_sort_warp_sort_medium_config_static_selectorELNS0_4arch9wavefront6targetE0EEEvSH_.uses_flat_scratch, 0
	.set _ZN7rocprim17ROCPRIM_400000_NS6detail17trampoline_kernelINS0_14default_configENS1_36segmented_radix_sort_config_selectorIllEEZNS1_25segmented_radix_sort_implIS3_Lb0EPKlPlS8_S9_N2at6native12_GLOBAL__N_18offset_tEEE10hipError_tPvRmT1_PNSt15iterator_traitsISH_E10value_typeET2_T3_PNSI_ISN_E10value_typeET4_jRbjT5_ST_jjP12ihipStream_tbEUlT_E0_NS1_11comp_targetILNS1_3genE4ELNS1_11target_archE910ELNS1_3gpuE8ELNS1_3repE0EEENS1_60segmented_radix_sort_warp_sort_medium_config_static_selectorELNS0_4arch9wavefront6targetE0EEEvSH_.has_dyn_sized_stack, 0
	.set _ZN7rocprim17ROCPRIM_400000_NS6detail17trampoline_kernelINS0_14default_configENS1_36segmented_radix_sort_config_selectorIllEEZNS1_25segmented_radix_sort_implIS3_Lb0EPKlPlS8_S9_N2at6native12_GLOBAL__N_18offset_tEEE10hipError_tPvRmT1_PNSt15iterator_traitsISH_E10value_typeET2_T3_PNSI_ISN_E10value_typeET4_jRbjT5_ST_jjP12ihipStream_tbEUlT_E0_NS1_11comp_targetILNS1_3genE4ELNS1_11target_archE910ELNS1_3gpuE8ELNS1_3repE0EEENS1_60segmented_radix_sort_warp_sort_medium_config_static_selectorELNS0_4arch9wavefront6targetE0EEEvSH_.has_recursion, 0
	.set _ZN7rocprim17ROCPRIM_400000_NS6detail17trampoline_kernelINS0_14default_configENS1_36segmented_radix_sort_config_selectorIllEEZNS1_25segmented_radix_sort_implIS3_Lb0EPKlPlS8_S9_N2at6native12_GLOBAL__N_18offset_tEEE10hipError_tPvRmT1_PNSt15iterator_traitsISH_E10value_typeET2_T3_PNSI_ISN_E10value_typeET4_jRbjT5_ST_jjP12ihipStream_tbEUlT_E0_NS1_11comp_targetILNS1_3genE4ELNS1_11target_archE910ELNS1_3gpuE8ELNS1_3repE0EEENS1_60segmented_radix_sort_warp_sort_medium_config_static_selectorELNS0_4arch9wavefront6targetE0EEEvSH_.has_indirect_call, 0
	.section	.AMDGPU.csdata,"",@progbits
; Kernel info:
; codeLenInByte = 0
; TotalNumSgprs: 0
; NumVgprs: 0
; ScratchSize: 0
; MemoryBound: 0
; FloatMode: 240
; IeeeMode: 1
; LDSByteSize: 0 bytes/workgroup (compile time only)
; SGPRBlocks: 0
; VGPRBlocks: 0
; NumSGPRsForWavesPerEU: 1
; NumVGPRsForWavesPerEU: 1
; Occupancy: 16
; WaveLimiterHint : 0
; COMPUTE_PGM_RSRC2:SCRATCH_EN: 0
; COMPUTE_PGM_RSRC2:USER_SGPR: 6
; COMPUTE_PGM_RSRC2:TRAP_HANDLER: 0
; COMPUTE_PGM_RSRC2:TGID_X_EN: 1
; COMPUTE_PGM_RSRC2:TGID_Y_EN: 0
; COMPUTE_PGM_RSRC2:TGID_Z_EN: 0
; COMPUTE_PGM_RSRC2:TIDIG_COMP_CNT: 0
	.section	.text._ZN7rocprim17ROCPRIM_400000_NS6detail17trampoline_kernelINS0_14default_configENS1_36segmented_radix_sort_config_selectorIllEEZNS1_25segmented_radix_sort_implIS3_Lb0EPKlPlS8_S9_N2at6native12_GLOBAL__N_18offset_tEEE10hipError_tPvRmT1_PNSt15iterator_traitsISH_E10value_typeET2_T3_PNSI_ISN_E10value_typeET4_jRbjT5_ST_jjP12ihipStream_tbEUlT_E0_NS1_11comp_targetILNS1_3genE3ELNS1_11target_archE908ELNS1_3gpuE7ELNS1_3repE0EEENS1_60segmented_radix_sort_warp_sort_medium_config_static_selectorELNS0_4arch9wavefront6targetE0EEEvSH_,"axG",@progbits,_ZN7rocprim17ROCPRIM_400000_NS6detail17trampoline_kernelINS0_14default_configENS1_36segmented_radix_sort_config_selectorIllEEZNS1_25segmented_radix_sort_implIS3_Lb0EPKlPlS8_S9_N2at6native12_GLOBAL__N_18offset_tEEE10hipError_tPvRmT1_PNSt15iterator_traitsISH_E10value_typeET2_T3_PNSI_ISN_E10value_typeET4_jRbjT5_ST_jjP12ihipStream_tbEUlT_E0_NS1_11comp_targetILNS1_3genE3ELNS1_11target_archE908ELNS1_3gpuE7ELNS1_3repE0EEENS1_60segmented_radix_sort_warp_sort_medium_config_static_selectorELNS0_4arch9wavefront6targetE0EEEvSH_,comdat
	.globl	_ZN7rocprim17ROCPRIM_400000_NS6detail17trampoline_kernelINS0_14default_configENS1_36segmented_radix_sort_config_selectorIllEEZNS1_25segmented_radix_sort_implIS3_Lb0EPKlPlS8_S9_N2at6native12_GLOBAL__N_18offset_tEEE10hipError_tPvRmT1_PNSt15iterator_traitsISH_E10value_typeET2_T3_PNSI_ISN_E10value_typeET4_jRbjT5_ST_jjP12ihipStream_tbEUlT_E0_NS1_11comp_targetILNS1_3genE3ELNS1_11target_archE908ELNS1_3gpuE7ELNS1_3repE0EEENS1_60segmented_radix_sort_warp_sort_medium_config_static_selectorELNS0_4arch9wavefront6targetE0EEEvSH_ ; -- Begin function _ZN7rocprim17ROCPRIM_400000_NS6detail17trampoline_kernelINS0_14default_configENS1_36segmented_radix_sort_config_selectorIllEEZNS1_25segmented_radix_sort_implIS3_Lb0EPKlPlS8_S9_N2at6native12_GLOBAL__N_18offset_tEEE10hipError_tPvRmT1_PNSt15iterator_traitsISH_E10value_typeET2_T3_PNSI_ISN_E10value_typeET4_jRbjT5_ST_jjP12ihipStream_tbEUlT_E0_NS1_11comp_targetILNS1_3genE3ELNS1_11target_archE908ELNS1_3gpuE7ELNS1_3repE0EEENS1_60segmented_radix_sort_warp_sort_medium_config_static_selectorELNS0_4arch9wavefront6targetE0EEEvSH_
	.p2align	8
	.type	_ZN7rocprim17ROCPRIM_400000_NS6detail17trampoline_kernelINS0_14default_configENS1_36segmented_radix_sort_config_selectorIllEEZNS1_25segmented_radix_sort_implIS3_Lb0EPKlPlS8_S9_N2at6native12_GLOBAL__N_18offset_tEEE10hipError_tPvRmT1_PNSt15iterator_traitsISH_E10value_typeET2_T3_PNSI_ISN_E10value_typeET4_jRbjT5_ST_jjP12ihipStream_tbEUlT_E0_NS1_11comp_targetILNS1_3genE3ELNS1_11target_archE908ELNS1_3gpuE7ELNS1_3repE0EEENS1_60segmented_radix_sort_warp_sort_medium_config_static_selectorELNS0_4arch9wavefront6targetE0EEEvSH_,@function
_ZN7rocprim17ROCPRIM_400000_NS6detail17trampoline_kernelINS0_14default_configENS1_36segmented_radix_sort_config_selectorIllEEZNS1_25segmented_radix_sort_implIS3_Lb0EPKlPlS8_S9_N2at6native12_GLOBAL__N_18offset_tEEE10hipError_tPvRmT1_PNSt15iterator_traitsISH_E10value_typeET2_T3_PNSI_ISN_E10value_typeET4_jRbjT5_ST_jjP12ihipStream_tbEUlT_E0_NS1_11comp_targetILNS1_3genE3ELNS1_11target_archE908ELNS1_3gpuE7ELNS1_3repE0EEENS1_60segmented_radix_sort_warp_sort_medium_config_static_selectorELNS0_4arch9wavefront6targetE0EEEvSH_: ; @_ZN7rocprim17ROCPRIM_400000_NS6detail17trampoline_kernelINS0_14default_configENS1_36segmented_radix_sort_config_selectorIllEEZNS1_25segmented_radix_sort_implIS3_Lb0EPKlPlS8_S9_N2at6native12_GLOBAL__N_18offset_tEEE10hipError_tPvRmT1_PNSt15iterator_traitsISH_E10value_typeET2_T3_PNSI_ISN_E10value_typeET4_jRbjT5_ST_jjP12ihipStream_tbEUlT_E0_NS1_11comp_targetILNS1_3genE3ELNS1_11target_archE908ELNS1_3gpuE7ELNS1_3repE0EEENS1_60segmented_radix_sort_warp_sort_medium_config_static_selectorELNS0_4arch9wavefront6targetE0EEEvSH_
; %bb.0:
	.section	.rodata,"a",@progbits
	.p2align	6, 0x0
	.amdhsa_kernel _ZN7rocprim17ROCPRIM_400000_NS6detail17trampoline_kernelINS0_14default_configENS1_36segmented_radix_sort_config_selectorIllEEZNS1_25segmented_radix_sort_implIS3_Lb0EPKlPlS8_S9_N2at6native12_GLOBAL__N_18offset_tEEE10hipError_tPvRmT1_PNSt15iterator_traitsISH_E10value_typeET2_T3_PNSI_ISN_E10value_typeET4_jRbjT5_ST_jjP12ihipStream_tbEUlT_E0_NS1_11comp_targetILNS1_3genE3ELNS1_11target_archE908ELNS1_3gpuE7ELNS1_3repE0EEENS1_60segmented_radix_sort_warp_sort_medium_config_static_selectorELNS0_4arch9wavefront6targetE0EEEvSH_
		.amdhsa_group_segment_fixed_size 0
		.amdhsa_private_segment_fixed_size 0
		.amdhsa_kernarg_size 88
		.amdhsa_user_sgpr_count 6
		.amdhsa_user_sgpr_private_segment_buffer 1
		.amdhsa_user_sgpr_dispatch_ptr 0
		.amdhsa_user_sgpr_queue_ptr 0
		.amdhsa_user_sgpr_kernarg_segment_ptr 1
		.amdhsa_user_sgpr_dispatch_id 0
		.amdhsa_user_sgpr_flat_scratch_init 0
		.amdhsa_user_sgpr_private_segment_size 0
		.amdhsa_wavefront_size32 1
		.amdhsa_uses_dynamic_stack 0
		.amdhsa_system_sgpr_private_segment_wavefront_offset 0
		.amdhsa_system_sgpr_workgroup_id_x 1
		.amdhsa_system_sgpr_workgroup_id_y 0
		.amdhsa_system_sgpr_workgroup_id_z 0
		.amdhsa_system_sgpr_workgroup_info 0
		.amdhsa_system_vgpr_workitem_id 0
		.amdhsa_next_free_vgpr 1
		.amdhsa_next_free_sgpr 1
		.amdhsa_reserve_vcc 0
		.amdhsa_reserve_flat_scratch 0
		.amdhsa_float_round_mode_32 0
		.amdhsa_float_round_mode_16_64 0
		.amdhsa_float_denorm_mode_32 3
		.amdhsa_float_denorm_mode_16_64 3
		.amdhsa_dx10_clamp 1
		.amdhsa_ieee_mode 1
		.amdhsa_fp16_overflow 0
		.amdhsa_workgroup_processor_mode 1
		.amdhsa_memory_ordered 1
		.amdhsa_forward_progress 1
		.amdhsa_shared_vgpr_count 0
		.amdhsa_exception_fp_ieee_invalid_op 0
		.amdhsa_exception_fp_denorm_src 0
		.amdhsa_exception_fp_ieee_div_zero 0
		.amdhsa_exception_fp_ieee_overflow 0
		.amdhsa_exception_fp_ieee_underflow 0
		.amdhsa_exception_fp_ieee_inexact 0
		.amdhsa_exception_int_div_zero 0
	.end_amdhsa_kernel
	.section	.text._ZN7rocprim17ROCPRIM_400000_NS6detail17trampoline_kernelINS0_14default_configENS1_36segmented_radix_sort_config_selectorIllEEZNS1_25segmented_radix_sort_implIS3_Lb0EPKlPlS8_S9_N2at6native12_GLOBAL__N_18offset_tEEE10hipError_tPvRmT1_PNSt15iterator_traitsISH_E10value_typeET2_T3_PNSI_ISN_E10value_typeET4_jRbjT5_ST_jjP12ihipStream_tbEUlT_E0_NS1_11comp_targetILNS1_3genE3ELNS1_11target_archE908ELNS1_3gpuE7ELNS1_3repE0EEENS1_60segmented_radix_sort_warp_sort_medium_config_static_selectorELNS0_4arch9wavefront6targetE0EEEvSH_,"axG",@progbits,_ZN7rocprim17ROCPRIM_400000_NS6detail17trampoline_kernelINS0_14default_configENS1_36segmented_radix_sort_config_selectorIllEEZNS1_25segmented_radix_sort_implIS3_Lb0EPKlPlS8_S9_N2at6native12_GLOBAL__N_18offset_tEEE10hipError_tPvRmT1_PNSt15iterator_traitsISH_E10value_typeET2_T3_PNSI_ISN_E10value_typeET4_jRbjT5_ST_jjP12ihipStream_tbEUlT_E0_NS1_11comp_targetILNS1_3genE3ELNS1_11target_archE908ELNS1_3gpuE7ELNS1_3repE0EEENS1_60segmented_radix_sort_warp_sort_medium_config_static_selectorELNS0_4arch9wavefront6targetE0EEEvSH_,comdat
.Lfunc_end814:
	.size	_ZN7rocprim17ROCPRIM_400000_NS6detail17trampoline_kernelINS0_14default_configENS1_36segmented_radix_sort_config_selectorIllEEZNS1_25segmented_radix_sort_implIS3_Lb0EPKlPlS8_S9_N2at6native12_GLOBAL__N_18offset_tEEE10hipError_tPvRmT1_PNSt15iterator_traitsISH_E10value_typeET2_T3_PNSI_ISN_E10value_typeET4_jRbjT5_ST_jjP12ihipStream_tbEUlT_E0_NS1_11comp_targetILNS1_3genE3ELNS1_11target_archE908ELNS1_3gpuE7ELNS1_3repE0EEENS1_60segmented_radix_sort_warp_sort_medium_config_static_selectorELNS0_4arch9wavefront6targetE0EEEvSH_, .Lfunc_end814-_ZN7rocprim17ROCPRIM_400000_NS6detail17trampoline_kernelINS0_14default_configENS1_36segmented_radix_sort_config_selectorIllEEZNS1_25segmented_radix_sort_implIS3_Lb0EPKlPlS8_S9_N2at6native12_GLOBAL__N_18offset_tEEE10hipError_tPvRmT1_PNSt15iterator_traitsISH_E10value_typeET2_T3_PNSI_ISN_E10value_typeET4_jRbjT5_ST_jjP12ihipStream_tbEUlT_E0_NS1_11comp_targetILNS1_3genE3ELNS1_11target_archE908ELNS1_3gpuE7ELNS1_3repE0EEENS1_60segmented_radix_sort_warp_sort_medium_config_static_selectorELNS0_4arch9wavefront6targetE0EEEvSH_
                                        ; -- End function
	.set _ZN7rocprim17ROCPRIM_400000_NS6detail17trampoline_kernelINS0_14default_configENS1_36segmented_radix_sort_config_selectorIllEEZNS1_25segmented_radix_sort_implIS3_Lb0EPKlPlS8_S9_N2at6native12_GLOBAL__N_18offset_tEEE10hipError_tPvRmT1_PNSt15iterator_traitsISH_E10value_typeET2_T3_PNSI_ISN_E10value_typeET4_jRbjT5_ST_jjP12ihipStream_tbEUlT_E0_NS1_11comp_targetILNS1_3genE3ELNS1_11target_archE908ELNS1_3gpuE7ELNS1_3repE0EEENS1_60segmented_radix_sort_warp_sort_medium_config_static_selectorELNS0_4arch9wavefront6targetE0EEEvSH_.num_vgpr, 0
	.set _ZN7rocprim17ROCPRIM_400000_NS6detail17trampoline_kernelINS0_14default_configENS1_36segmented_radix_sort_config_selectorIllEEZNS1_25segmented_radix_sort_implIS3_Lb0EPKlPlS8_S9_N2at6native12_GLOBAL__N_18offset_tEEE10hipError_tPvRmT1_PNSt15iterator_traitsISH_E10value_typeET2_T3_PNSI_ISN_E10value_typeET4_jRbjT5_ST_jjP12ihipStream_tbEUlT_E0_NS1_11comp_targetILNS1_3genE3ELNS1_11target_archE908ELNS1_3gpuE7ELNS1_3repE0EEENS1_60segmented_radix_sort_warp_sort_medium_config_static_selectorELNS0_4arch9wavefront6targetE0EEEvSH_.num_agpr, 0
	.set _ZN7rocprim17ROCPRIM_400000_NS6detail17trampoline_kernelINS0_14default_configENS1_36segmented_radix_sort_config_selectorIllEEZNS1_25segmented_radix_sort_implIS3_Lb0EPKlPlS8_S9_N2at6native12_GLOBAL__N_18offset_tEEE10hipError_tPvRmT1_PNSt15iterator_traitsISH_E10value_typeET2_T3_PNSI_ISN_E10value_typeET4_jRbjT5_ST_jjP12ihipStream_tbEUlT_E0_NS1_11comp_targetILNS1_3genE3ELNS1_11target_archE908ELNS1_3gpuE7ELNS1_3repE0EEENS1_60segmented_radix_sort_warp_sort_medium_config_static_selectorELNS0_4arch9wavefront6targetE0EEEvSH_.numbered_sgpr, 0
	.set _ZN7rocprim17ROCPRIM_400000_NS6detail17trampoline_kernelINS0_14default_configENS1_36segmented_radix_sort_config_selectorIllEEZNS1_25segmented_radix_sort_implIS3_Lb0EPKlPlS8_S9_N2at6native12_GLOBAL__N_18offset_tEEE10hipError_tPvRmT1_PNSt15iterator_traitsISH_E10value_typeET2_T3_PNSI_ISN_E10value_typeET4_jRbjT5_ST_jjP12ihipStream_tbEUlT_E0_NS1_11comp_targetILNS1_3genE3ELNS1_11target_archE908ELNS1_3gpuE7ELNS1_3repE0EEENS1_60segmented_radix_sort_warp_sort_medium_config_static_selectorELNS0_4arch9wavefront6targetE0EEEvSH_.num_named_barrier, 0
	.set _ZN7rocprim17ROCPRIM_400000_NS6detail17trampoline_kernelINS0_14default_configENS1_36segmented_radix_sort_config_selectorIllEEZNS1_25segmented_radix_sort_implIS3_Lb0EPKlPlS8_S9_N2at6native12_GLOBAL__N_18offset_tEEE10hipError_tPvRmT1_PNSt15iterator_traitsISH_E10value_typeET2_T3_PNSI_ISN_E10value_typeET4_jRbjT5_ST_jjP12ihipStream_tbEUlT_E0_NS1_11comp_targetILNS1_3genE3ELNS1_11target_archE908ELNS1_3gpuE7ELNS1_3repE0EEENS1_60segmented_radix_sort_warp_sort_medium_config_static_selectorELNS0_4arch9wavefront6targetE0EEEvSH_.private_seg_size, 0
	.set _ZN7rocprim17ROCPRIM_400000_NS6detail17trampoline_kernelINS0_14default_configENS1_36segmented_radix_sort_config_selectorIllEEZNS1_25segmented_radix_sort_implIS3_Lb0EPKlPlS8_S9_N2at6native12_GLOBAL__N_18offset_tEEE10hipError_tPvRmT1_PNSt15iterator_traitsISH_E10value_typeET2_T3_PNSI_ISN_E10value_typeET4_jRbjT5_ST_jjP12ihipStream_tbEUlT_E0_NS1_11comp_targetILNS1_3genE3ELNS1_11target_archE908ELNS1_3gpuE7ELNS1_3repE0EEENS1_60segmented_radix_sort_warp_sort_medium_config_static_selectorELNS0_4arch9wavefront6targetE0EEEvSH_.uses_vcc, 0
	.set _ZN7rocprim17ROCPRIM_400000_NS6detail17trampoline_kernelINS0_14default_configENS1_36segmented_radix_sort_config_selectorIllEEZNS1_25segmented_radix_sort_implIS3_Lb0EPKlPlS8_S9_N2at6native12_GLOBAL__N_18offset_tEEE10hipError_tPvRmT1_PNSt15iterator_traitsISH_E10value_typeET2_T3_PNSI_ISN_E10value_typeET4_jRbjT5_ST_jjP12ihipStream_tbEUlT_E0_NS1_11comp_targetILNS1_3genE3ELNS1_11target_archE908ELNS1_3gpuE7ELNS1_3repE0EEENS1_60segmented_radix_sort_warp_sort_medium_config_static_selectorELNS0_4arch9wavefront6targetE0EEEvSH_.uses_flat_scratch, 0
	.set _ZN7rocprim17ROCPRIM_400000_NS6detail17trampoline_kernelINS0_14default_configENS1_36segmented_radix_sort_config_selectorIllEEZNS1_25segmented_radix_sort_implIS3_Lb0EPKlPlS8_S9_N2at6native12_GLOBAL__N_18offset_tEEE10hipError_tPvRmT1_PNSt15iterator_traitsISH_E10value_typeET2_T3_PNSI_ISN_E10value_typeET4_jRbjT5_ST_jjP12ihipStream_tbEUlT_E0_NS1_11comp_targetILNS1_3genE3ELNS1_11target_archE908ELNS1_3gpuE7ELNS1_3repE0EEENS1_60segmented_radix_sort_warp_sort_medium_config_static_selectorELNS0_4arch9wavefront6targetE0EEEvSH_.has_dyn_sized_stack, 0
	.set _ZN7rocprim17ROCPRIM_400000_NS6detail17trampoline_kernelINS0_14default_configENS1_36segmented_radix_sort_config_selectorIllEEZNS1_25segmented_radix_sort_implIS3_Lb0EPKlPlS8_S9_N2at6native12_GLOBAL__N_18offset_tEEE10hipError_tPvRmT1_PNSt15iterator_traitsISH_E10value_typeET2_T3_PNSI_ISN_E10value_typeET4_jRbjT5_ST_jjP12ihipStream_tbEUlT_E0_NS1_11comp_targetILNS1_3genE3ELNS1_11target_archE908ELNS1_3gpuE7ELNS1_3repE0EEENS1_60segmented_radix_sort_warp_sort_medium_config_static_selectorELNS0_4arch9wavefront6targetE0EEEvSH_.has_recursion, 0
	.set _ZN7rocprim17ROCPRIM_400000_NS6detail17trampoline_kernelINS0_14default_configENS1_36segmented_radix_sort_config_selectorIllEEZNS1_25segmented_radix_sort_implIS3_Lb0EPKlPlS8_S9_N2at6native12_GLOBAL__N_18offset_tEEE10hipError_tPvRmT1_PNSt15iterator_traitsISH_E10value_typeET2_T3_PNSI_ISN_E10value_typeET4_jRbjT5_ST_jjP12ihipStream_tbEUlT_E0_NS1_11comp_targetILNS1_3genE3ELNS1_11target_archE908ELNS1_3gpuE7ELNS1_3repE0EEENS1_60segmented_radix_sort_warp_sort_medium_config_static_selectorELNS0_4arch9wavefront6targetE0EEEvSH_.has_indirect_call, 0
	.section	.AMDGPU.csdata,"",@progbits
; Kernel info:
; codeLenInByte = 0
; TotalNumSgprs: 0
; NumVgprs: 0
; ScratchSize: 0
; MemoryBound: 0
; FloatMode: 240
; IeeeMode: 1
; LDSByteSize: 0 bytes/workgroup (compile time only)
; SGPRBlocks: 0
; VGPRBlocks: 0
; NumSGPRsForWavesPerEU: 1
; NumVGPRsForWavesPerEU: 1
; Occupancy: 16
; WaveLimiterHint : 0
; COMPUTE_PGM_RSRC2:SCRATCH_EN: 0
; COMPUTE_PGM_RSRC2:USER_SGPR: 6
; COMPUTE_PGM_RSRC2:TRAP_HANDLER: 0
; COMPUTE_PGM_RSRC2:TGID_X_EN: 1
; COMPUTE_PGM_RSRC2:TGID_Y_EN: 0
; COMPUTE_PGM_RSRC2:TGID_Z_EN: 0
; COMPUTE_PGM_RSRC2:TIDIG_COMP_CNT: 0
	.section	.text._ZN7rocprim17ROCPRIM_400000_NS6detail17trampoline_kernelINS0_14default_configENS1_36segmented_radix_sort_config_selectorIllEEZNS1_25segmented_radix_sort_implIS3_Lb0EPKlPlS8_S9_N2at6native12_GLOBAL__N_18offset_tEEE10hipError_tPvRmT1_PNSt15iterator_traitsISH_E10value_typeET2_T3_PNSI_ISN_E10value_typeET4_jRbjT5_ST_jjP12ihipStream_tbEUlT_E0_NS1_11comp_targetILNS1_3genE2ELNS1_11target_archE906ELNS1_3gpuE6ELNS1_3repE0EEENS1_60segmented_radix_sort_warp_sort_medium_config_static_selectorELNS0_4arch9wavefront6targetE0EEEvSH_,"axG",@progbits,_ZN7rocprim17ROCPRIM_400000_NS6detail17trampoline_kernelINS0_14default_configENS1_36segmented_radix_sort_config_selectorIllEEZNS1_25segmented_radix_sort_implIS3_Lb0EPKlPlS8_S9_N2at6native12_GLOBAL__N_18offset_tEEE10hipError_tPvRmT1_PNSt15iterator_traitsISH_E10value_typeET2_T3_PNSI_ISN_E10value_typeET4_jRbjT5_ST_jjP12ihipStream_tbEUlT_E0_NS1_11comp_targetILNS1_3genE2ELNS1_11target_archE906ELNS1_3gpuE6ELNS1_3repE0EEENS1_60segmented_radix_sort_warp_sort_medium_config_static_selectorELNS0_4arch9wavefront6targetE0EEEvSH_,comdat
	.globl	_ZN7rocprim17ROCPRIM_400000_NS6detail17trampoline_kernelINS0_14default_configENS1_36segmented_radix_sort_config_selectorIllEEZNS1_25segmented_radix_sort_implIS3_Lb0EPKlPlS8_S9_N2at6native12_GLOBAL__N_18offset_tEEE10hipError_tPvRmT1_PNSt15iterator_traitsISH_E10value_typeET2_T3_PNSI_ISN_E10value_typeET4_jRbjT5_ST_jjP12ihipStream_tbEUlT_E0_NS1_11comp_targetILNS1_3genE2ELNS1_11target_archE906ELNS1_3gpuE6ELNS1_3repE0EEENS1_60segmented_radix_sort_warp_sort_medium_config_static_selectorELNS0_4arch9wavefront6targetE0EEEvSH_ ; -- Begin function _ZN7rocprim17ROCPRIM_400000_NS6detail17trampoline_kernelINS0_14default_configENS1_36segmented_radix_sort_config_selectorIllEEZNS1_25segmented_radix_sort_implIS3_Lb0EPKlPlS8_S9_N2at6native12_GLOBAL__N_18offset_tEEE10hipError_tPvRmT1_PNSt15iterator_traitsISH_E10value_typeET2_T3_PNSI_ISN_E10value_typeET4_jRbjT5_ST_jjP12ihipStream_tbEUlT_E0_NS1_11comp_targetILNS1_3genE2ELNS1_11target_archE906ELNS1_3gpuE6ELNS1_3repE0EEENS1_60segmented_radix_sort_warp_sort_medium_config_static_selectorELNS0_4arch9wavefront6targetE0EEEvSH_
	.p2align	8
	.type	_ZN7rocprim17ROCPRIM_400000_NS6detail17trampoline_kernelINS0_14default_configENS1_36segmented_radix_sort_config_selectorIllEEZNS1_25segmented_radix_sort_implIS3_Lb0EPKlPlS8_S9_N2at6native12_GLOBAL__N_18offset_tEEE10hipError_tPvRmT1_PNSt15iterator_traitsISH_E10value_typeET2_T3_PNSI_ISN_E10value_typeET4_jRbjT5_ST_jjP12ihipStream_tbEUlT_E0_NS1_11comp_targetILNS1_3genE2ELNS1_11target_archE906ELNS1_3gpuE6ELNS1_3repE0EEENS1_60segmented_radix_sort_warp_sort_medium_config_static_selectorELNS0_4arch9wavefront6targetE0EEEvSH_,@function
_ZN7rocprim17ROCPRIM_400000_NS6detail17trampoline_kernelINS0_14default_configENS1_36segmented_radix_sort_config_selectorIllEEZNS1_25segmented_radix_sort_implIS3_Lb0EPKlPlS8_S9_N2at6native12_GLOBAL__N_18offset_tEEE10hipError_tPvRmT1_PNSt15iterator_traitsISH_E10value_typeET2_T3_PNSI_ISN_E10value_typeET4_jRbjT5_ST_jjP12ihipStream_tbEUlT_E0_NS1_11comp_targetILNS1_3genE2ELNS1_11target_archE906ELNS1_3gpuE6ELNS1_3repE0EEENS1_60segmented_radix_sort_warp_sort_medium_config_static_selectorELNS0_4arch9wavefront6targetE0EEEvSH_: ; @_ZN7rocprim17ROCPRIM_400000_NS6detail17trampoline_kernelINS0_14default_configENS1_36segmented_radix_sort_config_selectorIllEEZNS1_25segmented_radix_sort_implIS3_Lb0EPKlPlS8_S9_N2at6native12_GLOBAL__N_18offset_tEEE10hipError_tPvRmT1_PNSt15iterator_traitsISH_E10value_typeET2_T3_PNSI_ISN_E10value_typeET4_jRbjT5_ST_jjP12ihipStream_tbEUlT_E0_NS1_11comp_targetILNS1_3genE2ELNS1_11target_archE906ELNS1_3gpuE6ELNS1_3repE0EEENS1_60segmented_radix_sort_warp_sort_medium_config_static_selectorELNS0_4arch9wavefront6targetE0EEEvSH_
; %bb.0:
	.section	.rodata,"a",@progbits
	.p2align	6, 0x0
	.amdhsa_kernel _ZN7rocprim17ROCPRIM_400000_NS6detail17trampoline_kernelINS0_14default_configENS1_36segmented_radix_sort_config_selectorIllEEZNS1_25segmented_radix_sort_implIS3_Lb0EPKlPlS8_S9_N2at6native12_GLOBAL__N_18offset_tEEE10hipError_tPvRmT1_PNSt15iterator_traitsISH_E10value_typeET2_T3_PNSI_ISN_E10value_typeET4_jRbjT5_ST_jjP12ihipStream_tbEUlT_E0_NS1_11comp_targetILNS1_3genE2ELNS1_11target_archE906ELNS1_3gpuE6ELNS1_3repE0EEENS1_60segmented_radix_sort_warp_sort_medium_config_static_selectorELNS0_4arch9wavefront6targetE0EEEvSH_
		.amdhsa_group_segment_fixed_size 0
		.amdhsa_private_segment_fixed_size 0
		.amdhsa_kernarg_size 88
		.amdhsa_user_sgpr_count 6
		.amdhsa_user_sgpr_private_segment_buffer 1
		.amdhsa_user_sgpr_dispatch_ptr 0
		.amdhsa_user_sgpr_queue_ptr 0
		.amdhsa_user_sgpr_kernarg_segment_ptr 1
		.amdhsa_user_sgpr_dispatch_id 0
		.amdhsa_user_sgpr_flat_scratch_init 0
		.amdhsa_user_sgpr_private_segment_size 0
		.amdhsa_wavefront_size32 1
		.amdhsa_uses_dynamic_stack 0
		.amdhsa_system_sgpr_private_segment_wavefront_offset 0
		.amdhsa_system_sgpr_workgroup_id_x 1
		.amdhsa_system_sgpr_workgroup_id_y 0
		.amdhsa_system_sgpr_workgroup_id_z 0
		.amdhsa_system_sgpr_workgroup_info 0
		.amdhsa_system_vgpr_workitem_id 0
		.amdhsa_next_free_vgpr 1
		.amdhsa_next_free_sgpr 1
		.amdhsa_reserve_vcc 0
		.amdhsa_reserve_flat_scratch 0
		.amdhsa_float_round_mode_32 0
		.amdhsa_float_round_mode_16_64 0
		.amdhsa_float_denorm_mode_32 3
		.amdhsa_float_denorm_mode_16_64 3
		.amdhsa_dx10_clamp 1
		.amdhsa_ieee_mode 1
		.amdhsa_fp16_overflow 0
		.amdhsa_workgroup_processor_mode 1
		.amdhsa_memory_ordered 1
		.amdhsa_forward_progress 1
		.amdhsa_shared_vgpr_count 0
		.amdhsa_exception_fp_ieee_invalid_op 0
		.amdhsa_exception_fp_denorm_src 0
		.amdhsa_exception_fp_ieee_div_zero 0
		.amdhsa_exception_fp_ieee_overflow 0
		.amdhsa_exception_fp_ieee_underflow 0
		.amdhsa_exception_fp_ieee_inexact 0
		.amdhsa_exception_int_div_zero 0
	.end_amdhsa_kernel
	.section	.text._ZN7rocprim17ROCPRIM_400000_NS6detail17trampoline_kernelINS0_14default_configENS1_36segmented_radix_sort_config_selectorIllEEZNS1_25segmented_radix_sort_implIS3_Lb0EPKlPlS8_S9_N2at6native12_GLOBAL__N_18offset_tEEE10hipError_tPvRmT1_PNSt15iterator_traitsISH_E10value_typeET2_T3_PNSI_ISN_E10value_typeET4_jRbjT5_ST_jjP12ihipStream_tbEUlT_E0_NS1_11comp_targetILNS1_3genE2ELNS1_11target_archE906ELNS1_3gpuE6ELNS1_3repE0EEENS1_60segmented_radix_sort_warp_sort_medium_config_static_selectorELNS0_4arch9wavefront6targetE0EEEvSH_,"axG",@progbits,_ZN7rocprim17ROCPRIM_400000_NS6detail17trampoline_kernelINS0_14default_configENS1_36segmented_radix_sort_config_selectorIllEEZNS1_25segmented_radix_sort_implIS3_Lb0EPKlPlS8_S9_N2at6native12_GLOBAL__N_18offset_tEEE10hipError_tPvRmT1_PNSt15iterator_traitsISH_E10value_typeET2_T3_PNSI_ISN_E10value_typeET4_jRbjT5_ST_jjP12ihipStream_tbEUlT_E0_NS1_11comp_targetILNS1_3genE2ELNS1_11target_archE906ELNS1_3gpuE6ELNS1_3repE0EEENS1_60segmented_radix_sort_warp_sort_medium_config_static_selectorELNS0_4arch9wavefront6targetE0EEEvSH_,comdat
.Lfunc_end815:
	.size	_ZN7rocprim17ROCPRIM_400000_NS6detail17trampoline_kernelINS0_14default_configENS1_36segmented_radix_sort_config_selectorIllEEZNS1_25segmented_radix_sort_implIS3_Lb0EPKlPlS8_S9_N2at6native12_GLOBAL__N_18offset_tEEE10hipError_tPvRmT1_PNSt15iterator_traitsISH_E10value_typeET2_T3_PNSI_ISN_E10value_typeET4_jRbjT5_ST_jjP12ihipStream_tbEUlT_E0_NS1_11comp_targetILNS1_3genE2ELNS1_11target_archE906ELNS1_3gpuE6ELNS1_3repE0EEENS1_60segmented_radix_sort_warp_sort_medium_config_static_selectorELNS0_4arch9wavefront6targetE0EEEvSH_, .Lfunc_end815-_ZN7rocprim17ROCPRIM_400000_NS6detail17trampoline_kernelINS0_14default_configENS1_36segmented_radix_sort_config_selectorIllEEZNS1_25segmented_radix_sort_implIS3_Lb0EPKlPlS8_S9_N2at6native12_GLOBAL__N_18offset_tEEE10hipError_tPvRmT1_PNSt15iterator_traitsISH_E10value_typeET2_T3_PNSI_ISN_E10value_typeET4_jRbjT5_ST_jjP12ihipStream_tbEUlT_E0_NS1_11comp_targetILNS1_3genE2ELNS1_11target_archE906ELNS1_3gpuE6ELNS1_3repE0EEENS1_60segmented_radix_sort_warp_sort_medium_config_static_selectorELNS0_4arch9wavefront6targetE0EEEvSH_
                                        ; -- End function
	.set _ZN7rocprim17ROCPRIM_400000_NS6detail17trampoline_kernelINS0_14default_configENS1_36segmented_radix_sort_config_selectorIllEEZNS1_25segmented_radix_sort_implIS3_Lb0EPKlPlS8_S9_N2at6native12_GLOBAL__N_18offset_tEEE10hipError_tPvRmT1_PNSt15iterator_traitsISH_E10value_typeET2_T3_PNSI_ISN_E10value_typeET4_jRbjT5_ST_jjP12ihipStream_tbEUlT_E0_NS1_11comp_targetILNS1_3genE2ELNS1_11target_archE906ELNS1_3gpuE6ELNS1_3repE0EEENS1_60segmented_radix_sort_warp_sort_medium_config_static_selectorELNS0_4arch9wavefront6targetE0EEEvSH_.num_vgpr, 0
	.set _ZN7rocprim17ROCPRIM_400000_NS6detail17trampoline_kernelINS0_14default_configENS1_36segmented_radix_sort_config_selectorIllEEZNS1_25segmented_radix_sort_implIS3_Lb0EPKlPlS8_S9_N2at6native12_GLOBAL__N_18offset_tEEE10hipError_tPvRmT1_PNSt15iterator_traitsISH_E10value_typeET2_T3_PNSI_ISN_E10value_typeET4_jRbjT5_ST_jjP12ihipStream_tbEUlT_E0_NS1_11comp_targetILNS1_3genE2ELNS1_11target_archE906ELNS1_3gpuE6ELNS1_3repE0EEENS1_60segmented_radix_sort_warp_sort_medium_config_static_selectorELNS0_4arch9wavefront6targetE0EEEvSH_.num_agpr, 0
	.set _ZN7rocprim17ROCPRIM_400000_NS6detail17trampoline_kernelINS0_14default_configENS1_36segmented_radix_sort_config_selectorIllEEZNS1_25segmented_radix_sort_implIS3_Lb0EPKlPlS8_S9_N2at6native12_GLOBAL__N_18offset_tEEE10hipError_tPvRmT1_PNSt15iterator_traitsISH_E10value_typeET2_T3_PNSI_ISN_E10value_typeET4_jRbjT5_ST_jjP12ihipStream_tbEUlT_E0_NS1_11comp_targetILNS1_3genE2ELNS1_11target_archE906ELNS1_3gpuE6ELNS1_3repE0EEENS1_60segmented_radix_sort_warp_sort_medium_config_static_selectorELNS0_4arch9wavefront6targetE0EEEvSH_.numbered_sgpr, 0
	.set _ZN7rocprim17ROCPRIM_400000_NS6detail17trampoline_kernelINS0_14default_configENS1_36segmented_radix_sort_config_selectorIllEEZNS1_25segmented_radix_sort_implIS3_Lb0EPKlPlS8_S9_N2at6native12_GLOBAL__N_18offset_tEEE10hipError_tPvRmT1_PNSt15iterator_traitsISH_E10value_typeET2_T3_PNSI_ISN_E10value_typeET4_jRbjT5_ST_jjP12ihipStream_tbEUlT_E0_NS1_11comp_targetILNS1_3genE2ELNS1_11target_archE906ELNS1_3gpuE6ELNS1_3repE0EEENS1_60segmented_radix_sort_warp_sort_medium_config_static_selectorELNS0_4arch9wavefront6targetE0EEEvSH_.num_named_barrier, 0
	.set _ZN7rocprim17ROCPRIM_400000_NS6detail17trampoline_kernelINS0_14default_configENS1_36segmented_radix_sort_config_selectorIllEEZNS1_25segmented_radix_sort_implIS3_Lb0EPKlPlS8_S9_N2at6native12_GLOBAL__N_18offset_tEEE10hipError_tPvRmT1_PNSt15iterator_traitsISH_E10value_typeET2_T3_PNSI_ISN_E10value_typeET4_jRbjT5_ST_jjP12ihipStream_tbEUlT_E0_NS1_11comp_targetILNS1_3genE2ELNS1_11target_archE906ELNS1_3gpuE6ELNS1_3repE0EEENS1_60segmented_radix_sort_warp_sort_medium_config_static_selectorELNS0_4arch9wavefront6targetE0EEEvSH_.private_seg_size, 0
	.set _ZN7rocprim17ROCPRIM_400000_NS6detail17trampoline_kernelINS0_14default_configENS1_36segmented_radix_sort_config_selectorIllEEZNS1_25segmented_radix_sort_implIS3_Lb0EPKlPlS8_S9_N2at6native12_GLOBAL__N_18offset_tEEE10hipError_tPvRmT1_PNSt15iterator_traitsISH_E10value_typeET2_T3_PNSI_ISN_E10value_typeET4_jRbjT5_ST_jjP12ihipStream_tbEUlT_E0_NS1_11comp_targetILNS1_3genE2ELNS1_11target_archE906ELNS1_3gpuE6ELNS1_3repE0EEENS1_60segmented_radix_sort_warp_sort_medium_config_static_selectorELNS0_4arch9wavefront6targetE0EEEvSH_.uses_vcc, 0
	.set _ZN7rocprim17ROCPRIM_400000_NS6detail17trampoline_kernelINS0_14default_configENS1_36segmented_radix_sort_config_selectorIllEEZNS1_25segmented_radix_sort_implIS3_Lb0EPKlPlS8_S9_N2at6native12_GLOBAL__N_18offset_tEEE10hipError_tPvRmT1_PNSt15iterator_traitsISH_E10value_typeET2_T3_PNSI_ISN_E10value_typeET4_jRbjT5_ST_jjP12ihipStream_tbEUlT_E0_NS1_11comp_targetILNS1_3genE2ELNS1_11target_archE906ELNS1_3gpuE6ELNS1_3repE0EEENS1_60segmented_radix_sort_warp_sort_medium_config_static_selectorELNS0_4arch9wavefront6targetE0EEEvSH_.uses_flat_scratch, 0
	.set _ZN7rocprim17ROCPRIM_400000_NS6detail17trampoline_kernelINS0_14default_configENS1_36segmented_radix_sort_config_selectorIllEEZNS1_25segmented_radix_sort_implIS3_Lb0EPKlPlS8_S9_N2at6native12_GLOBAL__N_18offset_tEEE10hipError_tPvRmT1_PNSt15iterator_traitsISH_E10value_typeET2_T3_PNSI_ISN_E10value_typeET4_jRbjT5_ST_jjP12ihipStream_tbEUlT_E0_NS1_11comp_targetILNS1_3genE2ELNS1_11target_archE906ELNS1_3gpuE6ELNS1_3repE0EEENS1_60segmented_radix_sort_warp_sort_medium_config_static_selectorELNS0_4arch9wavefront6targetE0EEEvSH_.has_dyn_sized_stack, 0
	.set _ZN7rocprim17ROCPRIM_400000_NS6detail17trampoline_kernelINS0_14default_configENS1_36segmented_radix_sort_config_selectorIllEEZNS1_25segmented_radix_sort_implIS3_Lb0EPKlPlS8_S9_N2at6native12_GLOBAL__N_18offset_tEEE10hipError_tPvRmT1_PNSt15iterator_traitsISH_E10value_typeET2_T3_PNSI_ISN_E10value_typeET4_jRbjT5_ST_jjP12ihipStream_tbEUlT_E0_NS1_11comp_targetILNS1_3genE2ELNS1_11target_archE906ELNS1_3gpuE6ELNS1_3repE0EEENS1_60segmented_radix_sort_warp_sort_medium_config_static_selectorELNS0_4arch9wavefront6targetE0EEEvSH_.has_recursion, 0
	.set _ZN7rocprim17ROCPRIM_400000_NS6detail17trampoline_kernelINS0_14default_configENS1_36segmented_radix_sort_config_selectorIllEEZNS1_25segmented_radix_sort_implIS3_Lb0EPKlPlS8_S9_N2at6native12_GLOBAL__N_18offset_tEEE10hipError_tPvRmT1_PNSt15iterator_traitsISH_E10value_typeET2_T3_PNSI_ISN_E10value_typeET4_jRbjT5_ST_jjP12ihipStream_tbEUlT_E0_NS1_11comp_targetILNS1_3genE2ELNS1_11target_archE906ELNS1_3gpuE6ELNS1_3repE0EEENS1_60segmented_radix_sort_warp_sort_medium_config_static_selectorELNS0_4arch9wavefront6targetE0EEEvSH_.has_indirect_call, 0
	.section	.AMDGPU.csdata,"",@progbits
; Kernel info:
; codeLenInByte = 0
; TotalNumSgprs: 0
; NumVgprs: 0
; ScratchSize: 0
; MemoryBound: 0
; FloatMode: 240
; IeeeMode: 1
; LDSByteSize: 0 bytes/workgroup (compile time only)
; SGPRBlocks: 0
; VGPRBlocks: 0
; NumSGPRsForWavesPerEU: 1
; NumVGPRsForWavesPerEU: 1
; Occupancy: 16
; WaveLimiterHint : 0
; COMPUTE_PGM_RSRC2:SCRATCH_EN: 0
; COMPUTE_PGM_RSRC2:USER_SGPR: 6
; COMPUTE_PGM_RSRC2:TRAP_HANDLER: 0
; COMPUTE_PGM_RSRC2:TGID_X_EN: 1
; COMPUTE_PGM_RSRC2:TGID_Y_EN: 0
; COMPUTE_PGM_RSRC2:TGID_Z_EN: 0
; COMPUTE_PGM_RSRC2:TIDIG_COMP_CNT: 0
	.section	.text._ZN7rocprim17ROCPRIM_400000_NS6detail17trampoline_kernelINS0_14default_configENS1_36segmented_radix_sort_config_selectorIllEEZNS1_25segmented_radix_sort_implIS3_Lb0EPKlPlS8_S9_N2at6native12_GLOBAL__N_18offset_tEEE10hipError_tPvRmT1_PNSt15iterator_traitsISH_E10value_typeET2_T3_PNSI_ISN_E10value_typeET4_jRbjT5_ST_jjP12ihipStream_tbEUlT_E0_NS1_11comp_targetILNS1_3genE10ELNS1_11target_archE1201ELNS1_3gpuE5ELNS1_3repE0EEENS1_60segmented_radix_sort_warp_sort_medium_config_static_selectorELNS0_4arch9wavefront6targetE0EEEvSH_,"axG",@progbits,_ZN7rocprim17ROCPRIM_400000_NS6detail17trampoline_kernelINS0_14default_configENS1_36segmented_radix_sort_config_selectorIllEEZNS1_25segmented_radix_sort_implIS3_Lb0EPKlPlS8_S9_N2at6native12_GLOBAL__N_18offset_tEEE10hipError_tPvRmT1_PNSt15iterator_traitsISH_E10value_typeET2_T3_PNSI_ISN_E10value_typeET4_jRbjT5_ST_jjP12ihipStream_tbEUlT_E0_NS1_11comp_targetILNS1_3genE10ELNS1_11target_archE1201ELNS1_3gpuE5ELNS1_3repE0EEENS1_60segmented_radix_sort_warp_sort_medium_config_static_selectorELNS0_4arch9wavefront6targetE0EEEvSH_,comdat
	.globl	_ZN7rocprim17ROCPRIM_400000_NS6detail17trampoline_kernelINS0_14default_configENS1_36segmented_radix_sort_config_selectorIllEEZNS1_25segmented_radix_sort_implIS3_Lb0EPKlPlS8_S9_N2at6native12_GLOBAL__N_18offset_tEEE10hipError_tPvRmT1_PNSt15iterator_traitsISH_E10value_typeET2_T3_PNSI_ISN_E10value_typeET4_jRbjT5_ST_jjP12ihipStream_tbEUlT_E0_NS1_11comp_targetILNS1_3genE10ELNS1_11target_archE1201ELNS1_3gpuE5ELNS1_3repE0EEENS1_60segmented_radix_sort_warp_sort_medium_config_static_selectorELNS0_4arch9wavefront6targetE0EEEvSH_ ; -- Begin function _ZN7rocprim17ROCPRIM_400000_NS6detail17trampoline_kernelINS0_14default_configENS1_36segmented_radix_sort_config_selectorIllEEZNS1_25segmented_radix_sort_implIS3_Lb0EPKlPlS8_S9_N2at6native12_GLOBAL__N_18offset_tEEE10hipError_tPvRmT1_PNSt15iterator_traitsISH_E10value_typeET2_T3_PNSI_ISN_E10value_typeET4_jRbjT5_ST_jjP12ihipStream_tbEUlT_E0_NS1_11comp_targetILNS1_3genE10ELNS1_11target_archE1201ELNS1_3gpuE5ELNS1_3repE0EEENS1_60segmented_radix_sort_warp_sort_medium_config_static_selectorELNS0_4arch9wavefront6targetE0EEEvSH_
	.p2align	8
	.type	_ZN7rocprim17ROCPRIM_400000_NS6detail17trampoline_kernelINS0_14default_configENS1_36segmented_radix_sort_config_selectorIllEEZNS1_25segmented_radix_sort_implIS3_Lb0EPKlPlS8_S9_N2at6native12_GLOBAL__N_18offset_tEEE10hipError_tPvRmT1_PNSt15iterator_traitsISH_E10value_typeET2_T3_PNSI_ISN_E10value_typeET4_jRbjT5_ST_jjP12ihipStream_tbEUlT_E0_NS1_11comp_targetILNS1_3genE10ELNS1_11target_archE1201ELNS1_3gpuE5ELNS1_3repE0EEENS1_60segmented_radix_sort_warp_sort_medium_config_static_selectorELNS0_4arch9wavefront6targetE0EEEvSH_,@function
_ZN7rocprim17ROCPRIM_400000_NS6detail17trampoline_kernelINS0_14default_configENS1_36segmented_radix_sort_config_selectorIllEEZNS1_25segmented_radix_sort_implIS3_Lb0EPKlPlS8_S9_N2at6native12_GLOBAL__N_18offset_tEEE10hipError_tPvRmT1_PNSt15iterator_traitsISH_E10value_typeET2_T3_PNSI_ISN_E10value_typeET4_jRbjT5_ST_jjP12ihipStream_tbEUlT_E0_NS1_11comp_targetILNS1_3genE10ELNS1_11target_archE1201ELNS1_3gpuE5ELNS1_3repE0EEENS1_60segmented_radix_sort_warp_sort_medium_config_static_selectorELNS0_4arch9wavefront6targetE0EEEvSH_: ; @_ZN7rocprim17ROCPRIM_400000_NS6detail17trampoline_kernelINS0_14default_configENS1_36segmented_radix_sort_config_selectorIllEEZNS1_25segmented_radix_sort_implIS3_Lb0EPKlPlS8_S9_N2at6native12_GLOBAL__N_18offset_tEEE10hipError_tPvRmT1_PNSt15iterator_traitsISH_E10value_typeET2_T3_PNSI_ISN_E10value_typeET4_jRbjT5_ST_jjP12ihipStream_tbEUlT_E0_NS1_11comp_targetILNS1_3genE10ELNS1_11target_archE1201ELNS1_3gpuE5ELNS1_3repE0EEENS1_60segmented_radix_sort_warp_sort_medium_config_static_selectorELNS0_4arch9wavefront6targetE0EEEvSH_
; %bb.0:
	.section	.rodata,"a",@progbits
	.p2align	6, 0x0
	.amdhsa_kernel _ZN7rocprim17ROCPRIM_400000_NS6detail17trampoline_kernelINS0_14default_configENS1_36segmented_radix_sort_config_selectorIllEEZNS1_25segmented_radix_sort_implIS3_Lb0EPKlPlS8_S9_N2at6native12_GLOBAL__N_18offset_tEEE10hipError_tPvRmT1_PNSt15iterator_traitsISH_E10value_typeET2_T3_PNSI_ISN_E10value_typeET4_jRbjT5_ST_jjP12ihipStream_tbEUlT_E0_NS1_11comp_targetILNS1_3genE10ELNS1_11target_archE1201ELNS1_3gpuE5ELNS1_3repE0EEENS1_60segmented_radix_sort_warp_sort_medium_config_static_selectorELNS0_4arch9wavefront6targetE0EEEvSH_
		.amdhsa_group_segment_fixed_size 0
		.amdhsa_private_segment_fixed_size 0
		.amdhsa_kernarg_size 88
		.amdhsa_user_sgpr_count 6
		.amdhsa_user_sgpr_private_segment_buffer 1
		.amdhsa_user_sgpr_dispatch_ptr 0
		.amdhsa_user_sgpr_queue_ptr 0
		.amdhsa_user_sgpr_kernarg_segment_ptr 1
		.amdhsa_user_sgpr_dispatch_id 0
		.amdhsa_user_sgpr_flat_scratch_init 0
		.amdhsa_user_sgpr_private_segment_size 0
		.amdhsa_wavefront_size32 1
		.amdhsa_uses_dynamic_stack 0
		.amdhsa_system_sgpr_private_segment_wavefront_offset 0
		.amdhsa_system_sgpr_workgroup_id_x 1
		.amdhsa_system_sgpr_workgroup_id_y 0
		.amdhsa_system_sgpr_workgroup_id_z 0
		.amdhsa_system_sgpr_workgroup_info 0
		.amdhsa_system_vgpr_workitem_id 0
		.amdhsa_next_free_vgpr 1
		.amdhsa_next_free_sgpr 1
		.amdhsa_reserve_vcc 0
		.amdhsa_reserve_flat_scratch 0
		.amdhsa_float_round_mode_32 0
		.amdhsa_float_round_mode_16_64 0
		.amdhsa_float_denorm_mode_32 3
		.amdhsa_float_denorm_mode_16_64 3
		.amdhsa_dx10_clamp 1
		.amdhsa_ieee_mode 1
		.amdhsa_fp16_overflow 0
		.amdhsa_workgroup_processor_mode 1
		.amdhsa_memory_ordered 1
		.amdhsa_forward_progress 1
		.amdhsa_shared_vgpr_count 0
		.amdhsa_exception_fp_ieee_invalid_op 0
		.amdhsa_exception_fp_denorm_src 0
		.amdhsa_exception_fp_ieee_div_zero 0
		.amdhsa_exception_fp_ieee_overflow 0
		.amdhsa_exception_fp_ieee_underflow 0
		.amdhsa_exception_fp_ieee_inexact 0
		.amdhsa_exception_int_div_zero 0
	.end_amdhsa_kernel
	.section	.text._ZN7rocprim17ROCPRIM_400000_NS6detail17trampoline_kernelINS0_14default_configENS1_36segmented_radix_sort_config_selectorIllEEZNS1_25segmented_radix_sort_implIS3_Lb0EPKlPlS8_S9_N2at6native12_GLOBAL__N_18offset_tEEE10hipError_tPvRmT1_PNSt15iterator_traitsISH_E10value_typeET2_T3_PNSI_ISN_E10value_typeET4_jRbjT5_ST_jjP12ihipStream_tbEUlT_E0_NS1_11comp_targetILNS1_3genE10ELNS1_11target_archE1201ELNS1_3gpuE5ELNS1_3repE0EEENS1_60segmented_radix_sort_warp_sort_medium_config_static_selectorELNS0_4arch9wavefront6targetE0EEEvSH_,"axG",@progbits,_ZN7rocprim17ROCPRIM_400000_NS6detail17trampoline_kernelINS0_14default_configENS1_36segmented_radix_sort_config_selectorIllEEZNS1_25segmented_radix_sort_implIS3_Lb0EPKlPlS8_S9_N2at6native12_GLOBAL__N_18offset_tEEE10hipError_tPvRmT1_PNSt15iterator_traitsISH_E10value_typeET2_T3_PNSI_ISN_E10value_typeET4_jRbjT5_ST_jjP12ihipStream_tbEUlT_E0_NS1_11comp_targetILNS1_3genE10ELNS1_11target_archE1201ELNS1_3gpuE5ELNS1_3repE0EEENS1_60segmented_radix_sort_warp_sort_medium_config_static_selectorELNS0_4arch9wavefront6targetE0EEEvSH_,comdat
.Lfunc_end816:
	.size	_ZN7rocprim17ROCPRIM_400000_NS6detail17trampoline_kernelINS0_14default_configENS1_36segmented_radix_sort_config_selectorIllEEZNS1_25segmented_radix_sort_implIS3_Lb0EPKlPlS8_S9_N2at6native12_GLOBAL__N_18offset_tEEE10hipError_tPvRmT1_PNSt15iterator_traitsISH_E10value_typeET2_T3_PNSI_ISN_E10value_typeET4_jRbjT5_ST_jjP12ihipStream_tbEUlT_E0_NS1_11comp_targetILNS1_3genE10ELNS1_11target_archE1201ELNS1_3gpuE5ELNS1_3repE0EEENS1_60segmented_radix_sort_warp_sort_medium_config_static_selectorELNS0_4arch9wavefront6targetE0EEEvSH_, .Lfunc_end816-_ZN7rocprim17ROCPRIM_400000_NS6detail17trampoline_kernelINS0_14default_configENS1_36segmented_radix_sort_config_selectorIllEEZNS1_25segmented_radix_sort_implIS3_Lb0EPKlPlS8_S9_N2at6native12_GLOBAL__N_18offset_tEEE10hipError_tPvRmT1_PNSt15iterator_traitsISH_E10value_typeET2_T3_PNSI_ISN_E10value_typeET4_jRbjT5_ST_jjP12ihipStream_tbEUlT_E0_NS1_11comp_targetILNS1_3genE10ELNS1_11target_archE1201ELNS1_3gpuE5ELNS1_3repE0EEENS1_60segmented_radix_sort_warp_sort_medium_config_static_selectorELNS0_4arch9wavefront6targetE0EEEvSH_
                                        ; -- End function
	.set _ZN7rocprim17ROCPRIM_400000_NS6detail17trampoline_kernelINS0_14default_configENS1_36segmented_radix_sort_config_selectorIllEEZNS1_25segmented_radix_sort_implIS3_Lb0EPKlPlS8_S9_N2at6native12_GLOBAL__N_18offset_tEEE10hipError_tPvRmT1_PNSt15iterator_traitsISH_E10value_typeET2_T3_PNSI_ISN_E10value_typeET4_jRbjT5_ST_jjP12ihipStream_tbEUlT_E0_NS1_11comp_targetILNS1_3genE10ELNS1_11target_archE1201ELNS1_3gpuE5ELNS1_3repE0EEENS1_60segmented_radix_sort_warp_sort_medium_config_static_selectorELNS0_4arch9wavefront6targetE0EEEvSH_.num_vgpr, 0
	.set _ZN7rocprim17ROCPRIM_400000_NS6detail17trampoline_kernelINS0_14default_configENS1_36segmented_radix_sort_config_selectorIllEEZNS1_25segmented_radix_sort_implIS3_Lb0EPKlPlS8_S9_N2at6native12_GLOBAL__N_18offset_tEEE10hipError_tPvRmT1_PNSt15iterator_traitsISH_E10value_typeET2_T3_PNSI_ISN_E10value_typeET4_jRbjT5_ST_jjP12ihipStream_tbEUlT_E0_NS1_11comp_targetILNS1_3genE10ELNS1_11target_archE1201ELNS1_3gpuE5ELNS1_3repE0EEENS1_60segmented_radix_sort_warp_sort_medium_config_static_selectorELNS0_4arch9wavefront6targetE0EEEvSH_.num_agpr, 0
	.set _ZN7rocprim17ROCPRIM_400000_NS6detail17trampoline_kernelINS0_14default_configENS1_36segmented_radix_sort_config_selectorIllEEZNS1_25segmented_radix_sort_implIS3_Lb0EPKlPlS8_S9_N2at6native12_GLOBAL__N_18offset_tEEE10hipError_tPvRmT1_PNSt15iterator_traitsISH_E10value_typeET2_T3_PNSI_ISN_E10value_typeET4_jRbjT5_ST_jjP12ihipStream_tbEUlT_E0_NS1_11comp_targetILNS1_3genE10ELNS1_11target_archE1201ELNS1_3gpuE5ELNS1_3repE0EEENS1_60segmented_radix_sort_warp_sort_medium_config_static_selectorELNS0_4arch9wavefront6targetE0EEEvSH_.numbered_sgpr, 0
	.set _ZN7rocprim17ROCPRIM_400000_NS6detail17trampoline_kernelINS0_14default_configENS1_36segmented_radix_sort_config_selectorIllEEZNS1_25segmented_radix_sort_implIS3_Lb0EPKlPlS8_S9_N2at6native12_GLOBAL__N_18offset_tEEE10hipError_tPvRmT1_PNSt15iterator_traitsISH_E10value_typeET2_T3_PNSI_ISN_E10value_typeET4_jRbjT5_ST_jjP12ihipStream_tbEUlT_E0_NS1_11comp_targetILNS1_3genE10ELNS1_11target_archE1201ELNS1_3gpuE5ELNS1_3repE0EEENS1_60segmented_radix_sort_warp_sort_medium_config_static_selectorELNS0_4arch9wavefront6targetE0EEEvSH_.num_named_barrier, 0
	.set _ZN7rocprim17ROCPRIM_400000_NS6detail17trampoline_kernelINS0_14default_configENS1_36segmented_radix_sort_config_selectorIllEEZNS1_25segmented_radix_sort_implIS3_Lb0EPKlPlS8_S9_N2at6native12_GLOBAL__N_18offset_tEEE10hipError_tPvRmT1_PNSt15iterator_traitsISH_E10value_typeET2_T3_PNSI_ISN_E10value_typeET4_jRbjT5_ST_jjP12ihipStream_tbEUlT_E0_NS1_11comp_targetILNS1_3genE10ELNS1_11target_archE1201ELNS1_3gpuE5ELNS1_3repE0EEENS1_60segmented_radix_sort_warp_sort_medium_config_static_selectorELNS0_4arch9wavefront6targetE0EEEvSH_.private_seg_size, 0
	.set _ZN7rocprim17ROCPRIM_400000_NS6detail17trampoline_kernelINS0_14default_configENS1_36segmented_radix_sort_config_selectorIllEEZNS1_25segmented_radix_sort_implIS3_Lb0EPKlPlS8_S9_N2at6native12_GLOBAL__N_18offset_tEEE10hipError_tPvRmT1_PNSt15iterator_traitsISH_E10value_typeET2_T3_PNSI_ISN_E10value_typeET4_jRbjT5_ST_jjP12ihipStream_tbEUlT_E0_NS1_11comp_targetILNS1_3genE10ELNS1_11target_archE1201ELNS1_3gpuE5ELNS1_3repE0EEENS1_60segmented_radix_sort_warp_sort_medium_config_static_selectorELNS0_4arch9wavefront6targetE0EEEvSH_.uses_vcc, 0
	.set _ZN7rocprim17ROCPRIM_400000_NS6detail17trampoline_kernelINS0_14default_configENS1_36segmented_radix_sort_config_selectorIllEEZNS1_25segmented_radix_sort_implIS3_Lb0EPKlPlS8_S9_N2at6native12_GLOBAL__N_18offset_tEEE10hipError_tPvRmT1_PNSt15iterator_traitsISH_E10value_typeET2_T3_PNSI_ISN_E10value_typeET4_jRbjT5_ST_jjP12ihipStream_tbEUlT_E0_NS1_11comp_targetILNS1_3genE10ELNS1_11target_archE1201ELNS1_3gpuE5ELNS1_3repE0EEENS1_60segmented_radix_sort_warp_sort_medium_config_static_selectorELNS0_4arch9wavefront6targetE0EEEvSH_.uses_flat_scratch, 0
	.set _ZN7rocprim17ROCPRIM_400000_NS6detail17trampoline_kernelINS0_14default_configENS1_36segmented_radix_sort_config_selectorIllEEZNS1_25segmented_radix_sort_implIS3_Lb0EPKlPlS8_S9_N2at6native12_GLOBAL__N_18offset_tEEE10hipError_tPvRmT1_PNSt15iterator_traitsISH_E10value_typeET2_T3_PNSI_ISN_E10value_typeET4_jRbjT5_ST_jjP12ihipStream_tbEUlT_E0_NS1_11comp_targetILNS1_3genE10ELNS1_11target_archE1201ELNS1_3gpuE5ELNS1_3repE0EEENS1_60segmented_radix_sort_warp_sort_medium_config_static_selectorELNS0_4arch9wavefront6targetE0EEEvSH_.has_dyn_sized_stack, 0
	.set _ZN7rocprim17ROCPRIM_400000_NS6detail17trampoline_kernelINS0_14default_configENS1_36segmented_radix_sort_config_selectorIllEEZNS1_25segmented_radix_sort_implIS3_Lb0EPKlPlS8_S9_N2at6native12_GLOBAL__N_18offset_tEEE10hipError_tPvRmT1_PNSt15iterator_traitsISH_E10value_typeET2_T3_PNSI_ISN_E10value_typeET4_jRbjT5_ST_jjP12ihipStream_tbEUlT_E0_NS1_11comp_targetILNS1_3genE10ELNS1_11target_archE1201ELNS1_3gpuE5ELNS1_3repE0EEENS1_60segmented_radix_sort_warp_sort_medium_config_static_selectorELNS0_4arch9wavefront6targetE0EEEvSH_.has_recursion, 0
	.set _ZN7rocprim17ROCPRIM_400000_NS6detail17trampoline_kernelINS0_14default_configENS1_36segmented_radix_sort_config_selectorIllEEZNS1_25segmented_radix_sort_implIS3_Lb0EPKlPlS8_S9_N2at6native12_GLOBAL__N_18offset_tEEE10hipError_tPvRmT1_PNSt15iterator_traitsISH_E10value_typeET2_T3_PNSI_ISN_E10value_typeET4_jRbjT5_ST_jjP12ihipStream_tbEUlT_E0_NS1_11comp_targetILNS1_3genE10ELNS1_11target_archE1201ELNS1_3gpuE5ELNS1_3repE0EEENS1_60segmented_radix_sort_warp_sort_medium_config_static_selectorELNS0_4arch9wavefront6targetE0EEEvSH_.has_indirect_call, 0
	.section	.AMDGPU.csdata,"",@progbits
; Kernel info:
; codeLenInByte = 0
; TotalNumSgprs: 0
; NumVgprs: 0
; ScratchSize: 0
; MemoryBound: 0
; FloatMode: 240
; IeeeMode: 1
; LDSByteSize: 0 bytes/workgroup (compile time only)
; SGPRBlocks: 0
; VGPRBlocks: 0
; NumSGPRsForWavesPerEU: 1
; NumVGPRsForWavesPerEU: 1
; Occupancy: 16
; WaveLimiterHint : 0
; COMPUTE_PGM_RSRC2:SCRATCH_EN: 0
; COMPUTE_PGM_RSRC2:USER_SGPR: 6
; COMPUTE_PGM_RSRC2:TRAP_HANDLER: 0
; COMPUTE_PGM_RSRC2:TGID_X_EN: 1
; COMPUTE_PGM_RSRC2:TGID_Y_EN: 0
; COMPUTE_PGM_RSRC2:TGID_Z_EN: 0
; COMPUTE_PGM_RSRC2:TIDIG_COMP_CNT: 0
	.section	.text._ZN7rocprim17ROCPRIM_400000_NS6detail17trampoline_kernelINS0_14default_configENS1_36segmented_radix_sort_config_selectorIllEEZNS1_25segmented_radix_sort_implIS3_Lb0EPKlPlS8_S9_N2at6native12_GLOBAL__N_18offset_tEEE10hipError_tPvRmT1_PNSt15iterator_traitsISH_E10value_typeET2_T3_PNSI_ISN_E10value_typeET4_jRbjT5_ST_jjP12ihipStream_tbEUlT_E0_NS1_11comp_targetILNS1_3genE10ELNS1_11target_archE1200ELNS1_3gpuE4ELNS1_3repE0EEENS1_60segmented_radix_sort_warp_sort_medium_config_static_selectorELNS0_4arch9wavefront6targetE0EEEvSH_,"axG",@progbits,_ZN7rocprim17ROCPRIM_400000_NS6detail17trampoline_kernelINS0_14default_configENS1_36segmented_radix_sort_config_selectorIllEEZNS1_25segmented_radix_sort_implIS3_Lb0EPKlPlS8_S9_N2at6native12_GLOBAL__N_18offset_tEEE10hipError_tPvRmT1_PNSt15iterator_traitsISH_E10value_typeET2_T3_PNSI_ISN_E10value_typeET4_jRbjT5_ST_jjP12ihipStream_tbEUlT_E0_NS1_11comp_targetILNS1_3genE10ELNS1_11target_archE1200ELNS1_3gpuE4ELNS1_3repE0EEENS1_60segmented_radix_sort_warp_sort_medium_config_static_selectorELNS0_4arch9wavefront6targetE0EEEvSH_,comdat
	.globl	_ZN7rocprim17ROCPRIM_400000_NS6detail17trampoline_kernelINS0_14default_configENS1_36segmented_radix_sort_config_selectorIllEEZNS1_25segmented_radix_sort_implIS3_Lb0EPKlPlS8_S9_N2at6native12_GLOBAL__N_18offset_tEEE10hipError_tPvRmT1_PNSt15iterator_traitsISH_E10value_typeET2_T3_PNSI_ISN_E10value_typeET4_jRbjT5_ST_jjP12ihipStream_tbEUlT_E0_NS1_11comp_targetILNS1_3genE10ELNS1_11target_archE1200ELNS1_3gpuE4ELNS1_3repE0EEENS1_60segmented_radix_sort_warp_sort_medium_config_static_selectorELNS0_4arch9wavefront6targetE0EEEvSH_ ; -- Begin function _ZN7rocprim17ROCPRIM_400000_NS6detail17trampoline_kernelINS0_14default_configENS1_36segmented_radix_sort_config_selectorIllEEZNS1_25segmented_radix_sort_implIS3_Lb0EPKlPlS8_S9_N2at6native12_GLOBAL__N_18offset_tEEE10hipError_tPvRmT1_PNSt15iterator_traitsISH_E10value_typeET2_T3_PNSI_ISN_E10value_typeET4_jRbjT5_ST_jjP12ihipStream_tbEUlT_E0_NS1_11comp_targetILNS1_3genE10ELNS1_11target_archE1200ELNS1_3gpuE4ELNS1_3repE0EEENS1_60segmented_radix_sort_warp_sort_medium_config_static_selectorELNS0_4arch9wavefront6targetE0EEEvSH_
	.p2align	8
	.type	_ZN7rocprim17ROCPRIM_400000_NS6detail17trampoline_kernelINS0_14default_configENS1_36segmented_radix_sort_config_selectorIllEEZNS1_25segmented_radix_sort_implIS3_Lb0EPKlPlS8_S9_N2at6native12_GLOBAL__N_18offset_tEEE10hipError_tPvRmT1_PNSt15iterator_traitsISH_E10value_typeET2_T3_PNSI_ISN_E10value_typeET4_jRbjT5_ST_jjP12ihipStream_tbEUlT_E0_NS1_11comp_targetILNS1_3genE10ELNS1_11target_archE1200ELNS1_3gpuE4ELNS1_3repE0EEENS1_60segmented_radix_sort_warp_sort_medium_config_static_selectorELNS0_4arch9wavefront6targetE0EEEvSH_,@function
_ZN7rocprim17ROCPRIM_400000_NS6detail17trampoline_kernelINS0_14default_configENS1_36segmented_radix_sort_config_selectorIllEEZNS1_25segmented_radix_sort_implIS3_Lb0EPKlPlS8_S9_N2at6native12_GLOBAL__N_18offset_tEEE10hipError_tPvRmT1_PNSt15iterator_traitsISH_E10value_typeET2_T3_PNSI_ISN_E10value_typeET4_jRbjT5_ST_jjP12ihipStream_tbEUlT_E0_NS1_11comp_targetILNS1_3genE10ELNS1_11target_archE1200ELNS1_3gpuE4ELNS1_3repE0EEENS1_60segmented_radix_sort_warp_sort_medium_config_static_selectorELNS0_4arch9wavefront6targetE0EEEvSH_: ; @_ZN7rocprim17ROCPRIM_400000_NS6detail17trampoline_kernelINS0_14default_configENS1_36segmented_radix_sort_config_selectorIllEEZNS1_25segmented_radix_sort_implIS3_Lb0EPKlPlS8_S9_N2at6native12_GLOBAL__N_18offset_tEEE10hipError_tPvRmT1_PNSt15iterator_traitsISH_E10value_typeET2_T3_PNSI_ISN_E10value_typeET4_jRbjT5_ST_jjP12ihipStream_tbEUlT_E0_NS1_11comp_targetILNS1_3genE10ELNS1_11target_archE1200ELNS1_3gpuE4ELNS1_3repE0EEENS1_60segmented_radix_sort_warp_sort_medium_config_static_selectorELNS0_4arch9wavefront6targetE0EEEvSH_
; %bb.0:
	.section	.rodata,"a",@progbits
	.p2align	6, 0x0
	.amdhsa_kernel _ZN7rocprim17ROCPRIM_400000_NS6detail17trampoline_kernelINS0_14default_configENS1_36segmented_radix_sort_config_selectorIllEEZNS1_25segmented_radix_sort_implIS3_Lb0EPKlPlS8_S9_N2at6native12_GLOBAL__N_18offset_tEEE10hipError_tPvRmT1_PNSt15iterator_traitsISH_E10value_typeET2_T3_PNSI_ISN_E10value_typeET4_jRbjT5_ST_jjP12ihipStream_tbEUlT_E0_NS1_11comp_targetILNS1_3genE10ELNS1_11target_archE1200ELNS1_3gpuE4ELNS1_3repE0EEENS1_60segmented_radix_sort_warp_sort_medium_config_static_selectorELNS0_4arch9wavefront6targetE0EEEvSH_
		.amdhsa_group_segment_fixed_size 0
		.amdhsa_private_segment_fixed_size 0
		.amdhsa_kernarg_size 88
		.amdhsa_user_sgpr_count 6
		.amdhsa_user_sgpr_private_segment_buffer 1
		.amdhsa_user_sgpr_dispatch_ptr 0
		.amdhsa_user_sgpr_queue_ptr 0
		.amdhsa_user_sgpr_kernarg_segment_ptr 1
		.amdhsa_user_sgpr_dispatch_id 0
		.amdhsa_user_sgpr_flat_scratch_init 0
		.amdhsa_user_sgpr_private_segment_size 0
		.amdhsa_wavefront_size32 1
		.amdhsa_uses_dynamic_stack 0
		.amdhsa_system_sgpr_private_segment_wavefront_offset 0
		.amdhsa_system_sgpr_workgroup_id_x 1
		.amdhsa_system_sgpr_workgroup_id_y 0
		.amdhsa_system_sgpr_workgroup_id_z 0
		.amdhsa_system_sgpr_workgroup_info 0
		.amdhsa_system_vgpr_workitem_id 0
		.amdhsa_next_free_vgpr 1
		.amdhsa_next_free_sgpr 1
		.amdhsa_reserve_vcc 0
		.amdhsa_reserve_flat_scratch 0
		.amdhsa_float_round_mode_32 0
		.amdhsa_float_round_mode_16_64 0
		.amdhsa_float_denorm_mode_32 3
		.amdhsa_float_denorm_mode_16_64 3
		.amdhsa_dx10_clamp 1
		.amdhsa_ieee_mode 1
		.amdhsa_fp16_overflow 0
		.amdhsa_workgroup_processor_mode 1
		.amdhsa_memory_ordered 1
		.amdhsa_forward_progress 1
		.amdhsa_shared_vgpr_count 0
		.amdhsa_exception_fp_ieee_invalid_op 0
		.amdhsa_exception_fp_denorm_src 0
		.amdhsa_exception_fp_ieee_div_zero 0
		.amdhsa_exception_fp_ieee_overflow 0
		.amdhsa_exception_fp_ieee_underflow 0
		.amdhsa_exception_fp_ieee_inexact 0
		.amdhsa_exception_int_div_zero 0
	.end_amdhsa_kernel
	.section	.text._ZN7rocprim17ROCPRIM_400000_NS6detail17trampoline_kernelINS0_14default_configENS1_36segmented_radix_sort_config_selectorIllEEZNS1_25segmented_radix_sort_implIS3_Lb0EPKlPlS8_S9_N2at6native12_GLOBAL__N_18offset_tEEE10hipError_tPvRmT1_PNSt15iterator_traitsISH_E10value_typeET2_T3_PNSI_ISN_E10value_typeET4_jRbjT5_ST_jjP12ihipStream_tbEUlT_E0_NS1_11comp_targetILNS1_3genE10ELNS1_11target_archE1200ELNS1_3gpuE4ELNS1_3repE0EEENS1_60segmented_radix_sort_warp_sort_medium_config_static_selectorELNS0_4arch9wavefront6targetE0EEEvSH_,"axG",@progbits,_ZN7rocprim17ROCPRIM_400000_NS6detail17trampoline_kernelINS0_14default_configENS1_36segmented_radix_sort_config_selectorIllEEZNS1_25segmented_radix_sort_implIS3_Lb0EPKlPlS8_S9_N2at6native12_GLOBAL__N_18offset_tEEE10hipError_tPvRmT1_PNSt15iterator_traitsISH_E10value_typeET2_T3_PNSI_ISN_E10value_typeET4_jRbjT5_ST_jjP12ihipStream_tbEUlT_E0_NS1_11comp_targetILNS1_3genE10ELNS1_11target_archE1200ELNS1_3gpuE4ELNS1_3repE0EEENS1_60segmented_radix_sort_warp_sort_medium_config_static_selectorELNS0_4arch9wavefront6targetE0EEEvSH_,comdat
.Lfunc_end817:
	.size	_ZN7rocprim17ROCPRIM_400000_NS6detail17trampoline_kernelINS0_14default_configENS1_36segmented_radix_sort_config_selectorIllEEZNS1_25segmented_radix_sort_implIS3_Lb0EPKlPlS8_S9_N2at6native12_GLOBAL__N_18offset_tEEE10hipError_tPvRmT1_PNSt15iterator_traitsISH_E10value_typeET2_T3_PNSI_ISN_E10value_typeET4_jRbjT5_ST_jjP12ihipStream_tbEUlT_E0_NS1_11comp_targetILNS1_3genE10ELNS1_11target_archE1200ELNS1_3gpuE4ELNS1_3repE0EEENS1_60segmented_radix_sort_warp_sort_medium_config_static_selectorELNS0_4arch9wavefront6targetE0EEEvSH_, .Lfunc_end817-_ZN7rocprim17ROCPRIM_400000_NS6detail17trampoline_kernelINS0_14default_configENS1_36segmented_radix_sort_config_selectorIllEEZNS1_25segmented_radix_sort_implIS3_Lb0EPKlPlS8_S9_N2at6native12_GLOBAL__N_18offset_tEEE10hipError_tPvRmT1_PNSt15iterator_traitsISH_E10value_typeET2_T3_PNSI_ISN_E10value_typeET4_jRbjT5_ST_jjP12ihipStream_tbEUlT_E0_NS1_11comp_targetILNS1_3genE10ELNS1_11target_archE1200ELNS1_3gpuE4ELNS1_3repE0EEENS1_60segmented_radix_sort_warp_sort_medium_config_static_selectorELNS0_4arch9wavefront6targetE0EEEvSH_
                                        ; -- End function
	.set _ZN7rocprim17ROCPRIM_400000_NS6detail17trampoline_kernelINS0_14default_configENS1_36segmented_radix_sort_config_selectorIllEEZNS1_25segmented_radix_sort_implIS3_Lb0EPKlPlS8_S9_N2at6native12_GLOBAL__N_18offset_tEEE10hipError_tPvRmT1_PNSt15iterator_traitsISH_E10value_typeET2_T3_PNSI_ISN_E10value_typeET4_jRbjT5_ST_jjP12ihipStream_tbEUlT_E0_NS1_11comp_targetILNS1_3genE10ELNS1_11target_archE1200ELNS1_3gpuE4ELNS1_3repE0EEENS1_60segmented_radix_sort_warp_sort_medium_config_static_selectorELNS0_4arch9wavefront6targetE0EEEvSH_.num_vgpr, 0
	.set _ZN7rocprim17ROCPRIM_400000_NS6detail17trampoline_kernelINS0_14default_configENS1_36segmented_radix_sort_config_selectorIllEEZNS1_25segmented_radix_sort_implIS3_Lb0EPKlPlS8_S9_N2at6native12_GLOBAL__N_18offset_tEEE10hipError_tPvRmT1_PNSt15iterator_traitsISH_E10value_typeET2_T3_PNSI_ISN_E10value_typeET4_jRbjT5_ST_jjP12ihipStream_tbEUlT_E0_NS1_11comp_targetILNS1_3genE10ELNS1_11target_archE1200ELNS1_3gpuE4ELNS1_3repE0EEENS1_60segmented_radix_sort_warp_sort_medium_config_static_selectorELNS0_4arch9wavefront6targetE0EEEvSH_.num_agpr, 0
	.set _ZN7rocprim17ROCPRIM_400000_NS6detail17trampoline_kernelINS0_14default_configENS1_36segmented_radix_sort_config_selectorIllEEZNS1_25segmented_radix_sort_implIS3_Lb0EPKlPlS8_S9_N2at6native12_GLOBAL__N_18offset_tEEE10hipError_tPvRmT1_PNSt15iterator_traitsISH_E10value_typeET2_T3_PNSI_ISN_E10value_typeET4_jRbjT5_ST_jjP12ihipStream_tbEUlT_E0_NS1_11comp_targetILNS1_3genE10ELNS1_11target_archE1200ELNS1_3gpuE4ELNS1_3repE0EEENS1_60segmented_radix_sort_warp_sort_medium_config_static_selectorELNS0_4arch9wavefront6targetE0EEEvSH_.numbered_sgpr, 0
	.set _ZN7rocprim17ROCPRIM_400000_NS6detail17trampoline_kernelINS0_14default_configENS1_36segmented_radix_sort_config_selectorIllEEZNS1_25segmented_radix_sort_implIS3_Lb0EPKlPlS8_S9_N2at6native12_GLOBAL__N_18offset_tEEE10hipError_tPvRmT1_PNSt15iterator_traitsISH_E10value_typeET2_T3_PNSI_ISN_E10value_typeET4_jRbjT5_ST_jjP12ihipStream_tbEUlT_E0_NS1_11comp_targetILNS1_3genE10ELNS1_11target_archE1200ELNS1_3gpuE4ELNS1_3repE0EEENS1_60segmented_radix_sort_warp_sort_medium_config_static_selectorELNS0_4arch9wavefront6targetE0EEEvSH_.num_named_barrier, 0
	.set _ZN7rocprim17ROCPRIM_400000_NS6detail17trampoline_kernelINS0_14default_configENS1_36segmented_radix_sort_config_selectorIllEEZNS1_25segmented_radix_sort_implIS3_Lb0EPKlPlS8_S9_N2at6native12_GLOBAL__N_18offset_tEEE10hipError_tPvRmT1_PNSt15iterator_traitsISH_E10value_typeET2_T3_PNSI_ISN_E10value_typeET4_jRbjT5_ST_jjP12ihipStream_tbEUlT_E0_NS1_11comp_targetILNS1_3genE10ELNS1_11target_archE1200ELNS1_3gpuE4ELNS1_3repE0EEENS1_60segmented_radix_sort_warp_sort_medium_config_static_selectorELNS0_4arch9wavefront6targetE0EEEvSH_.private_seg_size, 0
	.set _ZN7rocprim17ROCPRIM_400000_NS6detail17trampoline_kernelINS0_14default_configENS1_36segmented_radix_sort_config_selectorIllEEZNS1_25segmented_radix_sort_implIS3_Lb0EPKlPlS8_S9_N2at6native12_GLOBAL__N_18offset_tEEE10hipError_tPvRmT1_PNSt15iterator_traitsISH_E10value_typeET2_T3_PNSI_ISN_E10value_typeET4_jRbjT5_ST_jjP12ihipStream_tbEUlT_E0_NS1_11comp_targetILNS1_3genE10ELNS1_11target_archE1200ELNS1_3gpuE4ELNS1_3repE0EEENS1_60segmented_radix_sort_warp_sort_medium_config_static_selectorELNS0_4arch9wavefront6targetE0EEEvSH_.uses_vcc, 0
	.set _ZN7rocprim17ROCPRIM_400000_NS6detail17trampoline_kernelINS0_14default_configENS1_36segmented_radix_sort_config_selectorIllEEZNS1_25segmented_radix_sort_implIS3_Lb0EPKlPlS8_S9_N2at6native12_GLOBAL__N_18offset_tEEE10hipError_tPvRmT1_PNSt15iterator_traitsISH_E10value_typeET2_T3_PNSI_ISN_E10value_typeET4_jRbjT5_ST_jjP12ihipStream_tbEUlT_E0_NS1_11comp_targetILNS1_3genE10ELNS1_11target_archE1200ELNS1_3gpuE4ELNS1_3repE0EEENS1_60segmented_radix_sort_warp_sort_medium_config_static_selectorELNS0_4arch9wavefront6targetE0EEEvSH_.uses_flat_scratch, 0
	.set _ZN7rocprim17ROCPRIM_400000_NS6detail17trampoline_kernelINS0_14default_configENS1_36segmented_radix_sort_config_selectorIllEEZNS1_25segmented_radix_sort_implIS3_Lb0EPKlPlS8_S9_N2at6native12_GLOBAL__N_18offset_tEEE10hipError_tPvRmT1_PNSt15iterator_traitsISH_E10value_typeET2_T3_PNSI_ISN_E10value_typeET4_jRbjT5_ST_jjP12ihipStream_tbEUlT_E0_NS1_11comp_targetILNS1_3genE10ELNS1_11target_archE1200ELNS1_3gpuE4ELNS1_3repE0EEENS1_60segmented_radix_sort_warp_sort_medium_config_static_selectorELNS0_4arch9wavefront6targetE0EEEvSH_.has_dyn_sized_stack, 0
	.set _ZN7rocprim17ROCPRIM_400000_NS6detail17trampoline_kernelINS0_14default_configENS1_36segmented_radix_sort_config_selectorIllEEZNS1_25segmented_radix_sort_implIS3_Lb0EPKlPlS8_S9_N2at6native12_GLOBAL__N_18offset_tEEE10hipError_tPvRmT1_PNSt15iterator_traitsISH_E10value_typeET2_T3_PNSI_ISN_E10value_typeET4_jRbjT5_ST_jjP12ihipStream_tbEUlT_E0_NS1_11comp_targetILNS1_3genE10ELNS1_11target_archE1200ELNS1_3gpuE4ELNS1_3repE0EEENS1_60segmented_radix_sort_warp_sort_medium_config_static_selectorELNS0_4arch9wavefront6targetE0EEEvSH_.has_recursion, 0
	.set _ZN7rocprim17ROCPRIM_400000_NS6detail17trampoline_kernelINS0_14default_configENS1_36segmented_radix_sort_config_selectorIllEEZNS1_25segmented_radix_sort_implIS3_Lb0EPKlPlS8_S9_N2at6native12_GLOBAL__N_18offset_tEEE10hipError_tPvRmT1_PNSt15iterator_traitsISH_E10value_typeET2_T3_PNSI_ISN_E10value_typeET4_jRbjT5_ST_jjP12ihipStream_tbEUlT_E0_NS1_11comp_targetILNS1_3genE10ELNS1_11target_archE1200ELNS1_3gpuE4ELNS1_3repE0EEENS1_60segmented_radix_sort_warp_sort_medium_config_static_selectorELNS0_4arch9wavefront6targetE0EEEvSH_.has_indirect_call, 0
	.section	.AMDGPU.csdata,"",@progbits
; Kernel info:
; codeLenInByte = 0
; TotalNumSgprs: 0
; NumVgprs: 0
; ScratchSize: 0
; MemoryBound: 0
; FloatMode: 240
; IeeeMode: 1
; LDSByteSize: 0 bytes/workgroup (compile time only)
; SGPRBlocks: 0
; VGPRBlocks: 0
; NumSGPRsForWavesPerEU: 1
; NumVGPRsForWavesPerEU: 1
; Occupancy: 16
; WaveLimiterHint : 0
; COMPUTE_PGM_RSRC2:SCRATCH_EN: 0
; COMPUTE_PGM_RSRC2:USER_SGPR: 6
; COMPUTE_PGM_RSRC2:TRAP_HANDLER: 0
; COMPUTE_PGM_RSRC2:TGID_X_EN: 1
; COMPUTE_PGM_RSRC2:TGID_Y_EN: 0
; COMPUTE_PGM_RSRC2:TGID_Z_EN: 0
; COMPUTE_PGM_RSRC2:TIDIG_COMP_CNT: 0
	.section	.text._ZN7rocprim17ROCPRIM_400000_NS6detail17trampoline_kernelINS0_14default_configENS1_36segmented_radix_sort_config_selectorIllEEZNS1_25segmented_radix_sort_implIS3_Lb0EPKlPlS8_S9_N2at6native12_GLOBAL__N_18offset_tEEE10hipError_tPvRmT1_PNSt15iterator_traitsISH_E10value_typeET2_T3_PNSI_ISN_E10value_typeET4_jRbjT5_ST_jjP12ihipStream_tbEUlT_E0_NS1_11comp_targetILNS1_3genE9ELNS1_11target_archE1100ELNS1_3gpuE3ELNS1_3repE0EEENS1_60segmented_radix_sort_warp_sort_medium_config_static_selectorELNS0_4arch9wavefront6targetE0EEEvSH_,"axG",@progbits,_ZN7rocprim17ROCPRIM_400000_NS6detail17trampoline_kernelINS0_14default_configENS1_36segmented_radix_sort_config_selectorIllEEZNS1_25segmented_radix_sort_implIS3_Lb0EPKlPlS8_S9_N2at6native12_GLOBAL__N_18offset_tEEE10hipError_tPvRmT1_PNSt15iterator_traitsISH_E10value_typeET2_T3_PNSI_ISN_E10value_typeET4_jRbjT5_ST_jjP12ihipStream_tbEUlT_E0_NS1_11comp_targetILNS1_3genE9ELNS1_11target_archE1100ELNS1_3gpuE3ELNS1_3repE0EEENS1_60segmented_radix_sort_warp_sort_medium_config_static_selectorELNS0_4arch9wavefront6targetE0EEEvSH_,comdat
	.globl	_ZN7rocprim17ROCPRIM_400000_NS6detail17trampoline_kernelINS0_14default_configENS1_36segmented_radix_sort_config_selectorIllEEZNS1_25segmented_radix_sort_implIS3_Lb0EPKlPlS8_S9_N2at6native12_GLOBAL__N_18offset_tEEE10hipError_tPvRmT1_PNSt15iterator_traitsISH_E10value_typeET2_T3_PNSI_ISN_E10value_typeET4_jRbjT5_ST_jjP12ihipStream_tbEUlT_E0_NS1_11comp_targetILNS1_3genE9ELNS1_11target_archE1100ELNS1_3gpuE3ELNS1_3repE0EEENS1_60segmented_radix_sort_warp_sort_medium_config_static_selectorELNS0_4arch9wavefront6targetE0EEEvSH_ ; -- Begin function _ZN7rocprim17ROCPRIM_400000_NS6detail17trampoline_kernelINS0_14default_configENS1_36segmented_radix_sort_config_selectorIllEEZNS1_25segmented_radix_sort_implIS3_Lb0EPKlPlS8_S9_N2at6native12_GLOBAL__N_18offset_tEEE10hipError_tPvRmT1_PNSt15iterator_traitsISH_E10value_typeET2_T3_PNSI_ISN_E10value_typeET4_jRbjT5_ST_jjP12ihipStream_tbEUlT_E0_NS1_11comp_targetILNS1_3genE9ELNS1_11target_archE1100ELNS1_3gpuE3ELNS1_3repE0EEENS1_60segmented_radix_sort_warp_sort_medium_config_static_selectorELNS0_4arch9wavefront6targetE0EEEvSH_
	.p2align	8
	.type	_ZN7rocprim17ROCPRIM_400000_NS6detail17trampoline_kernelINS0_14default_configENS1_36segmented_radix_sort_config_selectorIllEEZNS1_25segmented_radix_sort_implIS3_Lb0EPKlPlS8_S9_N2at6native12_GLOBAL__N_18offset_tEEE10hipError_tPvRmT1_PNSt15iterator_traitsISH_E10value_typeET2_T3_PNSI_ISN_E10value_typeET4_jRbjT5_ST_jjP12ihipStream_tbEUlT_E0_NS1_11comp_targetILNS1_3genE9ELNS1_11target_archE1100ELNS1_3gpuE3ELNS1_3repE0EEENS1_60segmented_radix_sort_warp_sort_medium_config_static_selectorELNS0_4arch9wavefront6targetE0EEEvSH_,@function
_ZN7rocprim17ROCPRIM_400000_NS6detail17trampoline_kernelINS0_14default_configENS1_36segmented_radix_sort_config_selectorIllEEZNS1_25segmented_radix_sort_implIS3_Lb0EPKlPlS8_S9_N2at6native12_GLOBAL__N_18offset_tEEE10hipError_tPvRmT1_PNSt15iterator_traitsISH_E10value_typeET2_T3_PNSI_ISN_E10value_typeET4_jRbjT5_ST_jjP12ihipStream_tbEUlT_E0_NS1_11comp_targetILNS1_3genE9ELNS1_11target_archE1100ELNS1_3gpuE3ELNS1_3repE0EEENS1_60segmented_radix_sort_warp_sort_medium_config_static_selectorELNS0_4arch9wavefront6targetE0EEEvSH_: ; @_ZN7rocprim17ROCPRIM_400000_NS6detail17trampoline_kernelINS0_14default_configENS1_36segmented_radix_sort_config_selectorIllEEZNS1_25segmented_radix_sort_implIS3_Lb0EPKlPlS8_S9_N2at6native12_GLOBAL__N_18offset_tEEE10hipError_tPvRmT1_PNSt15iterator_traitsISH_E10value_typeET2_T3_PNSI_ISN_E10value_typeET4_jRbjT5_ST_jjP12ihipStream_tbEUlT_E0_NS1_11comp_targetILNS1_3genE9ELNS1_11target_archE1100ELNS1_3gpuE3ELNS1_3repE0EEENS1_60segmented_radix_sort_warp_sort_medium_config_static_selectorELNS0_4arch9wavefront6targetE0EEEvSH_
; %bb.0:
	.section	.rodata,"a",@progbits
	.p2align	6, 0x0
	.amdhsa_kernel _ZN7rocprim17ROCPRIM_400000_NS6detail17trampoline_kernelINS0_14default_configENS1_36segmented_radix_sort_config_selectorIllEEZNS1_25segmented_radix_sort_implIS3_Lb0EPKlPlS8_S9_N2at6native12_GLOBAL__N_18offset_tEEE10hipError_tPvRmT1_PNSt15iterator_traitsISH_E10value_typeET2_T3_PNSI_ISN_E10value_typeET4_jRbjT5_ST_jjP12ihipStream_tbEUlT_E0_NS1_11comp_targetILNS1_3genE9ELNS1_11target_archE1100ELNS1_3gpuE3ELNS1_3repE0EEENS1_60segmented_radix_sort_warp_sort_medium_config_static_selectorELNS0_4arch9wavefront6targetE0EEEvSH_
		.amdhsa_group_segment_fixed_size 0
		.amdhsa_private_segment_fixed_size 0
		.amdhsa_kernarg_size 88
		.amdhsa_user_sgpr_count 6
		.amdhsa_user_sgpr_private_segment_buffer 1
		.amdhsa_user_sgpr_dispatch_ptr 0
		.amdhsa_user_sgpr_queue_ptr 0
		.amdhsa_user_sgpr_kernarg_segment_ptr 1
		.amdhsa_user_sgpr_dispatch_id 0
		.amdhsa_user_sgpr_flat_scratch_init 0
		.amdhsa_user_sgpr_private_segment_size 0
		.amdhsa_wavefront_size32 1
		.amdhsa_uses_dynamic_stack 0
		.amdhsa_system_sgpr_private_segment_wavefront_offset 0
		.amdhsa_system_sgpr_workgroup_id_x 1
		.amdhsa_system_sgpr_workgroup_id_y 0
		.amdhsa_system_sgpr_workgroup_id_z 0
		.amdhsa_system_sgpr_workgroup_info 0
		.amdhsa_system_vgpr_workitem_id 0
		.amdhsa_next_free_vgpr 1
		.amdhsa_next_free_sgpr 1
		.amdhsa_reserve_vcc 0
		.amdhsa_reserve_flat_scratch 0
		.amdhsa_float_round_mode_32 0
		.amdhsa_float_round_mode_16_64 0
		.amdhsa_float_denorm_mode_32 3
		.amdhsa_float_denorm_mode_16_64 3
		.amdhsa_dx10_clamp 1
		.amdhsa_ieee_mode 1
		.amdhsa_fp16_overflow 0
		.amdhsa_workgroup_processor_mode 1
		.amdhsa_memory_ordered 1
		.amdhsa_forward_progress 1
		.amdhsa_shared_vgpr_count 0
		.amdhsa_exception_fp_ieee_invalid_op 0
		.amdhsa_exception_fp_denorm_src 0
		.amdhsa_exception_fp_ieee_div_zero 0
		.amdhsa_exception_fp_ieee_overflow 0
		.amdhsa_exception_fp_ieee_underflow 0
		.amdhsa_exception_fp_ieee_inexact 0
		.amdhsa_exception_int_div_zero 0
	.end_amdhsa_kernel
	.section	.text._ZN7rocprim17ROCPRIM_400000_NS6detail17trampoline_kernelINS0_14default_configENS1_36segmented_radix_sort_config_selectorIllEEZNS1_25segmented_radix_sort_implIS3_Lb0EPKlPlS8_S9_N2at6native12_GLOBAL__N_18offset_tEEE10hipError_tPvRmT1_PNSt15iterator_traitsISH_E10value_typeET2_T3_PNSI_ISN_E10value_typeET4_jRbjT5_ST_jjP12ihipStream_tbEUlT_E0_NS1_11comp_targetILNS1_3genE9ELNS1_11target_archE1100ELNS1_3gpuE3ELNS1_3repE0EEENS1_60segmented_radix_sort_warp_sort_medium_config_static_selectorELNS0_4arch9wavefront6targetE0EEEvSH_,"axG",@progbits,_ZN7rocprim17ROCPRIM_400000_NS6detail17trampoline_kernelINS0_14default_configENS1_36segmented_radix_sort_config_selectorIllEEZNS1_25segmented_radix_sort_implIS3_Lb0EPKlPlS8_S9_N2at6native12_GLOBAL__N_18offset_tEEE10hipError_tPvRmT1_PNSt15iterator_traitsISH_E10value_typeET2_T3_PNSI_ISN_E10value_typeET4_jRbjT5_ST_jjP12ihipStream_tbEUlT_E0_NS1_11comp_targetILNS1_3genE9ELNS1_11target_archE1100ELNS1_3gpuE3ELNS1_3repE0EEENS1_60segmented_radix_sort_warp_sort_medium_config_static_selectorELNS0_4arch9wavefront6targetE0EEEvSH_,comdat
.Lfunc_end818:
	.size	_ZN7rocprim17ROCPRIM_400000_NS6detail17trampoline_kernelINS0_14default_configENS1_36segmented_radix_sort_config_selectorIllEEZNS1_25segmented_radix_sort_implIS3_Lb0EPKlPlS8_S9_N2at6native12_GLOBAL__N_18offset_tEEE10hipError_tPvRmT1_PNSt15iterator_traitsISH_E10value_typeET2_T3_PNSI_ISN_E10value_typeET4_jRbjT5_ST_jjP12ihipStream_tbEUlT_E0_NS1_11comp_targetILNS1_3genE9ELNS1_11target_archE1100ELNS1_3gpuE3ELNS1_3repE0EEENS1_60segmented_radix_sort_warp_sort_medium_config_static_selectorELNS0_4arch9wavefront6targetE0EEEvSH_, .Lfunc_end818-_ZN7rocprim17ROCPRIM_400000_NS6detail17trampoline_kernelINS0_14default_configENS1_36segmented_radix_sort_config_selectorIllEEZNS1_25segmented_radix_sort_implIS3_Lb0EPKlPlS8_S9_N2at6native12_GLOBAL__N_18offset_tEEE10hipError_tPvRmT1_PNSt15iterator_traitsISH_E10value_typeET2_T3_PNSI_ISN_E10value_typeET4_jRbjT5_ST_jjP12ihipStream_tbEUlT_E0_NS1_11comp_targetILNS1_3genE9ELNS1_11target_archE1100ELNS1_3gpuE3ELNS1_3repE0EEENS1_60segmented_radix_sort_warp_sort_medium_config_static_selectorELNS0_4arch9wavefront6targetE0EEEvSH_
                                        ; -- End function
	.set _ZN7rocprim17ROCPRIM_400000_NS6detail17trampoline_kernelINS0_14default_configENS1_36segmented_radix_sort_config_selectorIllEEZNS1_25segmented_radix_sort_implIS3_Lb0EPKlPlS8_S9_N2at6native12_GLOBAL__N_18offset_tEEE10hipError_tPvRmT1_PNSt15iterator_traitsISH_E10value_typeET2_T3_PNSI_ISN_E10value_typeET4_jRbjT5_ST_jjP12ihipStream_tbEUlT_E0_NS1_11comp_targetILNS1_3genE9ELNS1_11target_archE1100ELNS1_3gpuE3ELNS1_3repE0EEENS1_60segmented_radix_sort_warp_sort_medium_config_static_selectorELNS0_4arch9wavefront6targetE0EEEvSH_.num_vgpr, 0
	.set _ZN7rocprim17ROCPRIM_400000_NS6detail17trampoline_kernelINS0_14default_configENS1_36segmented_radix_sort_config_selectorIllEEZNS1_25segmented_radix_sort_implIS3_Lb0EPKlPlS8_S9_N2at6native12_GLOBAL__N_18offset_tEEE10hipError_tPvRmT1_PNSt15iterator_traitsISH_E10value_typeET2_T3_PNSI_ISN_E10value_typeET4_jRbjT5_ST_jjP12ihipStream_tbEUlT_E0_NS1_11comp_targetILNS1_3genE9ELNS1_11target_archE1100ELNS1_3gpuE3ELNS1_3repE0EEENS1_60segmented_radix_sort_warp_sort_medium_config_static_selectorELNS0_4arch9wavefront6targetE0EEEvSH_.num_agpr, 0
	.set _ZN7rocprim17ROCPRIM_400000_NS6detail17trampoline_kernelINS0_14default_configENS1_36segmented_radix_sort_config_selectorIllEEZNS1_25segmented_radix_sort_implIS3_Lb0EPKlPlS8_S9_N2at6native12_GLOBAL__N_18offset_tEEE10hipError_tPvRmT1_PNSt15iterator_traitsISH_E10value_typeET2_T3_PNSI_ISN_E10value_typeET4_jRbjT5_ST_jjP12ihipStream_tbEUlT_E0_NS1_11comp_targetILNS1_3genE9ELNS1_11target_archE1100ELNS1_3gpuE3ELNS1_3repE0EEENS1_60segmented_radix_sort_warp_sort_medium_config_static_selectorELNS0_4arch9wavefront6targetE0EEEvSH_.numbered_sgpr, 0
	.set _ZN7rocprim17ROCPRIM_400000_NS6detail17trampoline_kernelINS0_14default_configENS1_36segmented_radix_sort_config_selectorIllEEZNS1_25segmented_radix_sort_implIS3_Lb0EPKlPlS8_S9_N2at6native12_GLOBAL__N_18offset_tEEE10hipError_tPvRmT1_PNSt15iterator_traitsISH_E10value_typeET2_T3_PNSI_ISN_E10value_typeET4_jRbjT5_ST_jjP12ihipStream_tbEUlT_E0_NS1_11comp_targetILNS1_3genE9ELNS1_11target_archE1100ELNS1_3gpuE3ELNS1_3repE0EEENS1_60segmented_radix_sort_warp_sort_medium_config_static_selectorELNS0_4arch9wavefront6targetE0EEEvSH_.num_named_barrier, 0
	.set _ZN7rocprim17ROCPRIM_400000_NS6detail17trampoline_kernelINS0_14default_configENS1_36segmented_radix_sort_config_selectorIllEEZNS1_25segmented_radix_sort_implIS3_Lb0EPKlPlS8_S9_N2at6native12_GLOBAL__N_18offset_tEEE10hipError_tPvRmT1_PNSt15iterator_traitsISH_E10value_typeET2_T3_PNSI_ISN_E10value_typeET4_jRbjT5_ST_jjP12ihipStream_tbEUlT_E0_NS1_11comp_targetILNS1_3genE9ELNS1_11target_archE1100ELNS1_3gpuE3ELNS1_3repE0EEENS1_60segmented_radix_sort_warp_sort_medium_config_static_selectorELNS0_4arch9wavefront6targetE0EEEvSH_.private_seg_size, 0
	.set _ZN7rocprim17ROCPRIM_400000_NS6detail17trampoline_kernelINS0_14default_configENS1_36segmented_radix_sort_config_selectorIllEEZNS1_25segmented_radix_sort_implIS3_Lb0EPKlPlS8_S9_N2at6native12_GLOBAL__N_18offset_tEEE10hipError_tPvRmT1_PNSt15iterator_traitsISH_E10value_typeET2_T3_PNSI_ISN_E10value_typeET4_jRbjT5_ST_jjP12ihipStream_tbEUlT_E0_NS1_11comp_targetILNS1_3genE9ELNS1_11target_archE1100ELNS1_3gpuE3ELNS1_3repE0EEENS1_60segmented_radix_sort_warp_sort_medium_config_static_selectorELNS0_4arch9wavefront6targetE0EEEvSH_.uses_vcc, 0
	.set _ZN7rocprim17ROCPRIM_400000_NS6detail17trampoline_kernelINS0_14default_configENS1_36segmented_radix_sort_config_selectorIllEEZNS1_25segmented_radix_sort_implIS3_Lb0EPKlPlS8_S9_N2at6native12_GLOBAL__N_18offset_tEEE10hipError_tPvRmT1_PNSt15iterator_traitsISH_E10value_typeET2_T3_PNSI_ISN_E10value_typeET4_jRbjT5_ST_jjP12ihipStream_tbEUlT_E0_NS1_11comp_targetILNS1_3genE9ELNS1_11target_archE1100ELNS1_3gpuE3ELNS1_3repE0EEENS1_60segmented_radix_sort_warp_sort_medium_config_static_selectorELNS0_4arch9wavefront6targetE0EEEvSH_.uses_flat_scratch, 0
	.set _ZN7rocprim17ROCPRIM_400000_NS6detail17trampoline_kernelINS0_14default_configENS1_36segmented_radix_sort_config_selectorIllEEZNS1_25segmented_radix_sort_implIS3_Lb0EPKlPlS8_S9_N2at6native12_GLOBAL__N_18offset_tEEE10hipError_tPvRmT1_PNSt15iterator_traitsISH_E10value_typeET2_T3_PNSI_ISN_E10value_typeET4_jRbjT5_ST_jjP12ihipStream_tbEUlT_E0_NS1_11comp_targetILNS1_3genE9ELNS1_11target_archE1100ELNS1_3gpuE3ELNS1_3repE0EEENS1_60segmented_radix_sort_warp_sort_medium_config_static_selectorELNS0_4arch9wavefront6targetE0EEEvSH_.has_dyn_sized_stack, 0
	.set _ZN7rocprim17ROCPRIM_400000_NS6detail17trampoline_kernelINS0_14default_configENS1_36segmented_radix_sort_config_selectorIllEEZNS1_25segmented_radix_sort_implIS3_Lb0EPKlPlS8_S9_N2at6native12_GLOBAL__N_18offset_tEEE10hipError_tPvRmT1_PNSt15iterator_traitsISH_E10value_typeET2_T3_PNSI_ISN_E10value_typeET4_jRbjT5_ST_jjP12ihipStream_tbEUlT_E0_NS1_11comp_targetILNS1_3genE9ELNS1_11target_archE1100ELNS1_3gpuE3ELNS1_3repE0EEENS1_60segmented_radix_sort_warp_sort_medium_config_static_selectorELNS0_4arch9wavefront6targetE0EEEvSH_.has_recursion, 0
	.set _ZN7rocprim17ROCPRIM_400000_NS6detail17trampoline_kernelINS0_14default_configENS1_36segmented_radix_sort_config_selectorIllEEZNS1_25segmented_radix_sort_implIS3_Lb0EPKlPlS8_S9_N2at6native12_GLOBAL__N_18offset_tEEE10hipError_tPvRmT1_PNSt15iterator_traitsISH_E10value_typeET2_T3_PNSI_ISN_E10value_typeET4_jRbjT5_ST_jjP12ihipStream_tbEUlT_E0_NS1_11comp_targetILNS1_3genE9ELNS1_11target_archE1100ELNS1_3gpuE3ELNS1_3repE0EEENS1_60segmented_radix_sort_warp_sort_medium_config_static_selectorELNS0_4arch9wavefront6targetE0EEEvSH_.has_indirect_call, 0
	.section	.AMDGPU.csdata,"",@progbits
; Kernel info:
; codeLenInByte = 0
; TotalNumSgprs: 0
; NumVgprs: 0
; ScratchSize: 0
; MemoryBound: 0
; FloatMode: 240
; IeeeMode: 1
; LDSByteSize: 0 bytes/workgroup (compile time only)
; SGPRBlocks: 0
; VGPRBlocks: 0
; NumSGPRsForWavesPerEU: 1
; NumVGPRsForWavesPerEU: 1
; Occupancy: 16
; WaveLimiterHint : 0
; COMPUTE_PGM_RSRC2:SCRATCH_EN: 0
; COMPUTE_PGM_RSRC2:USER_SGPR: 6
; COMPUTE_PGM_RSRC2:TRAP_HANDLER: 0
; COMPUTE_PGM_RSRC2:TGID_X_EN: 1
; COMPUTE_PGM_RSRC2:TGID_Y_EN: 0
; COMPUTE_PGM_RSRC2:TGID_Z_EN: 0
; COMPUTE_PGM_RSRC2:TIDIG_COMP_CNT: 0
	.text
	.p2align	2                               ; -- Begin function _ZN7rocprim17ROCPRIM_400000_NS6detail26segmented_warp_sort_helperINS1_20WarpSortHelperConfigILj32ELj16ELj256EEEllLi256ELb0EvE4sortIPKlPlS8_S9_EEvT_T0_T1_T2_jjjjRNS5_12storage_typeE
	.type	_ZN7rocprim17ROCPRIM_400000_NS6detail26segmented_warp_sort_helperINS1_20WarpSortHelperConfigILj32ELj16ELj256EEEllLi256ELb0EvE4sortIPKlPlS8_S9_EEvT_T0_T1_T2_jjjjRNS5_12storage_typeE,@function
_ZN7rocprim17ROCPRIM_400000_NS6detail26segmented_warp_sort_helperINS1_20WarpSortHelperConfigILj32ELj16ELj256EEEllLi256ELb0EvE4sortIPKlPlS8_S9_EEvT_T0_T1_T2_jjjjRNS5_12storage_typeE: ; @_ZN7rocprim17ROCPRIM_400000_NS6detail26segmented_warp_sort_helperINS1_20WarpSortHelperConfigILj32ELj16ELj256EEEllLi256ELb0EvE4sortIPKlPlS8_S9_EEvT_T0_T1_T2_jjjjRNS5_12storage_typeE
; %bb.0:
	s_waitcnt vmcnt(0) expcnt(0) lgkmcnt(0)
	v_mov_b32_e32 v12, v9
	v_mov_b32_e32 v9, 0
	v_sub_nc_u32_e32 v12, v12, v8
	v_lshlrev_b64 v[13:14], 3, v[8:9]
	v_mbcnt_lo_u32_b32 v8, -1, 0
	v_bfrev_b32_e32 v9, -2
	v_lshlrev_b32_e32 v15, 7, v8
	v_add_co_u32 v0, vcc_lo, v0, v13
	v_add_co_ci_u32_e64 v1, null, v1, v14, vcc_lo
	v_lshlrev_b32_e32 v150, 4, v8
	v_mov_b32_e32 v8, -1
	v_add_co_u32 v17, vcc_lo, v0, v15
	v_add_co_ci_u32_e64 v18, null, 0, v1, vcc_lo
	v_mov_b32_e32 v0, v8
	v_cmp_lt_u32_e32 vcc_lo, v150, v12
	v_mov_b32_e32 v1, v9
	s_and_saveexec_b32 s4, vcc_lo
	s_cbranch_execz .LBB819_2
; %bb.1:
	flat_load_dwordx2 v[0:1], v[17:18]
.LBB819_2:
	s_or_b32 exec_lo, exec_lo, s4
	v_or_b32_e32 v15, 1, v150
	v_cmp_lt_u32_e64 s4, v15, v12
	s_and_saveexec_b32 s5, s4
	s_cbranch_execz .LBB819_4
; %bb.3:
	flat_load_dwordx2 v[8:9], v[17:18] offset:8
.LBB819_4:
	s_or_b32 exec_lo, exec_lo, s5
	v_mov_b32_e32 v23, -1
	v_or_b32_e32 v15, 2, v150
	v_bfrev_b32_e32 v24, -2
	v_mov_b32_e32 v19, v23
	v_cmp_lt_u32_e64 s5, v15, v12
	v_mov_b32_e32 v20, v24
	s_and_saveexec_b32 s6, s5
	s_cbranch_execz .LBB819_6
; %bb.5:
	flat_load_dwordx2 v[19:20], v[17:18] offset:16
.LBB819_6:
	s_or_b32 exec_lo, exec_lo, s6
	v_or_b32_e32 v15, 3, v150
	v_cmp_lt_u32_e64 s6, v15, v12
	s_and_saveexec_b32 s7, s6
	s_cbranch_execz .LBB819_8
; %bb.7:
	flat_load_dwordx2 v[23:24], v[17:18] offset:24
.LBB819_8:
	s_or_b32 exec_lo, exec_lo, s7
	v_mov_b32_e32 v32, -1
	v_or_b32_e32 v15, 4, v150
	v_bfrev_b32_e32 v33, -2
	v_mov_b32_e32 v27, v32
	v_cmp_lt_u32_e64 s7, v15, v12
	v_mov_b32_e32 v28, v33
	s_and_saveexec_b32 s10, s7
	s_cbranch_execz .LBB819_10
; %bb.9:
	flat_load_dwordx2 v[27:28], v[17:18] offset:32
.LBB819_10:
	;; [unrolled: 20-line block ×5, first 2 shown]
	s_or_b32 exec_lo, exec_lo, s16
	v_or_b32_e32 v15, 11, v150
	v_cmp_lt_u32_e64 s16, v15, v12
	s_and_saveexec_b32 s17, s16
	s_cbranch_execz .LBB819_24
; %bb.23:
	flat_load_dwordx2 v[98:99], v[17:18] offset:88
.LBB819_24:
	s_or_b32 exec_lo, exec_lo, s17
	v_bfrev_b32_e32 v81, -2
	v_or_b32_e32 v15, 12, v150
	v_mov_b32_e32 v80, -1
	v_mov_b32_e32 v97, v81
	v_cmp_lt_u32_e64 s17, v15, v12
	v_mov_b32_e32 v96, v80
	s_and_saveexec_b32 s18, s17
	s_cbranch_execz .LBB819_26
; %bb.25:
	flat_load_dwordx2 v[96:97], v[17:18] offset:96
.LBB819_26:
	s_or_b32 exec_lo, exec_lo, s18
	v_or_b32_e32 v15, 13, v150
	v_cmp_lt_u32_e64 s18, v15, v12
	s_and_saveexec_b32 s19, s18
	s_cbranch_execz .LBB819_28
; %bb.27:
	flat_load_dwordx2 v[80:81], v[17:18] offset:104
.LBB819_28:
	s_or_b32 exec_lo, exec_lo, s19
	v_bfrev_b32_e32 v16, -2
	v_or_b32_e32 v21, 14, v150
	v_mov_b32_e32 v15, -1
	v_mov_b32_e32 v103, v16
	v_cmp_lt_u32_e64 s19, v21, v12
	v_mov_b32_e32 v102, v15
	s_and_saveexec_b32 s20, s19
	s_cbranch_execz .LBB819_30
; %bb.29:
	flat_load_dwordx2 v[102:103], v[17:18] offset:112
.LBB819_30:
	s_or_b32 exec_lo, exec_lo, s20
	v_or_b32_e32 v21, 15, v150
	v_cmp_lt_u32_e64 s20, v21, v12
	s_and_saveexec_b32 s23, s20
	s_cbranch_execz .LBB819_32
; %bb.31:
	flat_load_dwordx2 v[15:16], v[17:18] offset:120
.LBB819_32:
	s_or_b32 exec_lo, exec_lo, s23
	v_lshlrev_b32_e32 v12, 3, v150
	v_add_co_u32 v4, s23, v4, v13
	v_add_co_ci_u32_e64 v5, null, v5, v14, s23
	v_add_co_u32 v114, s23, v4, v12
	v_add_co_ci_u32_e64 v115, null, 0, v5, s23
	; wave barrier
                                        ; implicit-def: $vgpr4_vgpr5
	s_and_saveexec_b32 s23, vcc_lo
	s_cbranch_execnz .LBB819_671
; %bb.33:
	s_or_b32 exec_lo, exec_lo, s23
	s_and_saveexec_b32 s23, s4
                                        ; implicit-def: $vgpr17_vgpr18
	s_cbranch_execnz .LBB819_672
.LBB819_34:
	s_or_b32 exec_lo, exec_lo, s23
                                        ; implicit-def: $vgpr21_vgpr22
	s_and_saveexec_b32 s23, s5
	s_cbranch_execnz .LBB819_673
.LBB819_35:
	s_or_b32 exec_lo, exec_lo, s23
	s_and_saveexec_b32 s23, s6
                                        ; implicit-def: $vgpr25_vgpr26
	s_cbranch_execnz .LBB819_674
.LBB819_36:
	s_or_b32 exec_lo, exec_lo, s23
                                        ; implicit-def: $vgpr29_vgpr30
	s_and_saveexec_b32 s23, s7
	s_cbranch_execnz .LBB819_675
.LBB819_37:
	s_or_b32 exec_lo, exec_lo, s23
	s_and_saveexec_b32 s23, s10
                                        ; implicit-def: $vgpr34_vgpr35
	s_cbranch_execnz .LBB819_676
.LBB819_38:
	s_or_b32 exec_lo, exec_lo, s23
                                        ; implicit-def: $vgpr38_vgpr39
	s_and_saveexec_b32 s23, s11
	s_cbranch_execnz .LBB819_677
.LBB819_39:
	s_or_b32 exec_lo, exec_lo, s23
	s_and_saveexec_b32 s23, s21
                                        ; implicit-def: $vgpr50_vgpr51
	s_cbranch_execnz .LBB819_678
.LBB819_40:
	s_or_b32 exec_lo, exec_lo, s23
                                        ; implicit-def: $vgpr54_vgpr55
	s_and_saveexec_b32 s23, s22
	s_cbranch_execnz .LBB819_679
.LBB819_41:
	s_or_b32 exec_lo, exec_lo, s23
	s_and_saveexec_b32 s23, s14
                                        ; implicit-def: $vgpr66_vgpr67
	s_cbranch_execnz .LBB819_680
.LBB819_42:
	s_or_b32 exec_lo, exec_lo, s23
                                        ; implicit-def: $vgpr68_vgpr69
	s_and_saveexec_b32 s23, s15
	s_cbranch_execnz .LBB819_681
.LBB819_43:
	s_or_b32 exec_lo, exec_lo, s23
	s_and_saveexec_b32 s23, s16
                                        ; implicit-def: $vgpr82_vgpr83
	s_cbranch_execnz .LBB819_682
.LBB819_44:
	s_or_b32 exec_lo, exec_lo, s23
                                        ; implicit-def: $vgpr86_vgpr87
	s_and_saveexec_b32 s23, s17
	s_cbranch_execnz .LBB819_683
.LBB819_45:
	s_or_b32 exec_lo, exec_lo, s23
	s_and_saveexec_b32 s23, s18
                                        ; implicit-def: $vgpr100_vgpr101
	s_cbranch_execnz .LBB819_684
.LBB819_46:
	s_or_b32 exec_lo, exec_lo, s23
                                        ; implicit-def: $vgpr84_vgpr85
	s_and_saveexec_b32 s23, s19
	s_cbranch_execnz .LBB819_685
.LBB819_47:
	s_or_b32 exec_lo, exec_lo, s23
	s_and_saveexec_b32 s23, s20
                                        ; implicit-def: $vgpr112_vgpr113
	s_cbranch_execz .LBB819_49
.LBB819_48:
	flat_load_dwordx2 v[112:113], v[114:115] offset:120
.LBB819_49:
	s_or_b32 exec_lo, exec_lo, s23
	v_cmp_ne_u32_e64 s23, 0, v10
	v_cmp_ne_u32_e64 s24, 64, v11
	v_bfe_u32 v114, v31, 10, 10
	v_bfe_u32 v115, v31, 20, 10
	v_and_b32_e32 v31, 0x3ff, v31
	s_or_b32 s23, s23, s24
	; wave barrier
	s_and_saveexec_b32 s24, s23
	s_xor_b32 s58, exec_lo, s24
	s_cbranch_execz .LBB819_343
; %bb.50:
	s_load_dwordx2 s[24:25], s[8:9], 0x0
	v_mov_b32_e32 v116, 0
	s_waitcnt lgkmcnt(0)
	s_cmp_lt_u32 s13, s25
	s_cselect_b32 s23, 14, 20
	s_add_u32 s26, s8, s23
	s_addc_u32 s27, s9, 0
	s_cmp_lt_u32 s12, s24
	global_load_ushort v117, v116, s[26:27]
	s_cselect_b32 s23, 12, 18
	s_add_u32 s24, s8, s23
	s_addc_u32 s25, s9, 0
	global_load_ushort v116, v116, s[24:25]
	s_mov_b32 s24, exec_lo
	s_waitcnt vmcnt(1)
	v_mad_u32_u24 v114, v115, v117, v114
	s_waitcnt vmcnt(0)
	v_mul_lo_u32 v116, v114, v116
	v_lshlrev_b64 v[114:115], v11, -1
	v_lshlrev_b64 v[10:11], v10, -1
	v_xor_b32_e32 v160, v115, v11
	v_add_lshl_u32 v161, v116, v31, 4
	v_xor_b32_e32 v151, v114, v10
	v_cmpx_gt_u32_e32 0x1000, v161
	s_cbranch_execz .LBB819_292
; %bb.51:
	v_and_b32_e32 v11, v9, v160
	v_and_b32_e32 v10, v8, v151
	;; [unrolled: 1-line block ×4, first 2 shown]
	v_cmp_gt_u64_e64 s23, v[114:115], v[10:11]
	v_mov_b32_e32 v11, v9
	v_mov_b32_e32 v115, v18
	;; [unrolled: 1-line block ×4, first 2 shown]
	s_and_saveexec_b32 s25, s23
	s_cbranch_execz .LBB819_53
; %bb.52:
	v_mov_b32_e32 v11, v1
	v_mov_b32_e32 v115, v5
	v_mov_b32_e32 v10, v0
	v_mov_b32_e32 v0, v8
	v_mov_b32_e32 v114, v4
	v_mov_b32_e32 v4, v17
	v_mov_b32_e32 v1, v9
	v_mov_b32_e32 v5, v18
.LBB819_53:
	s_or_b32 exec_lo, exec_lo, s25
	v_and_b32_e32 v9, v24, v160
	v_and_b32_e32 v8, v23, v151
	v_and_b32_e32 v18, v20, v160
	v_and_b32_e32 v17, v19, v151
	v_mov_b32_e32 v117, v26
	v_mov_b32_e32 v116, v25
	v_cmp_gt_u64_e64 s23, v[17:18], v[8:9]
	v_mov_b32_e32 v17, v23
	v_mov_b32_e32 v18, v24
	s_and_saveexec_b32 s25, s23
	s_cbranch_execz .LBB819_55
; %bb.54:
	v_mov_b32_e32 v17, v19
	v_mov_b32_e32 v117, v22
	v_mov_b32_e32 v18, v20
	v_mov_b32_e32 v19, v23
	v_mov_b32_e32 v116, v21
	v_mov_b32_e32 v21, v25
	v_mov_b32_e32 v20, v24
	v_mov_b32_e32 v22, v26
.LBB819_55:
	s_or_b32 exec_lo, exec_lo, s25
	v_and_b32_e32 v9, v33, v160
	v_and_b32_e32 v8, v32, v151
	v_and_b32_e32 v24, v28, v160
	v_and_b32_e32 v23, v27, v151
	v_mov_b32_e32 v119, v35
	v_mov_b32_e32 v118, v34
	v_cmp_gt_u64_e64 s23, v[23:24], v[8:9]
	v_mov_b32_e32 v23, v32
	v_mov_b32_e32 v24, v33
	;; [unrolled: 22-line block ×4, first 2 shown]
	s_and_saveexec_b32 s25, s23
	s_cbranch_execz .LBB819_61
; %bb.60:
	v_mov_b32_e32 v31, v52
	v_mov_b32_e32 v131, v55
	;; [unrolled: 1-line block ×8, first 2 shown]
.LBB819_61:
	s_or_b32 exec_lo, exec_lo, s25
	v_mov_b32_e32 v50, v98
	v_mov_b32_e32 v64, v82
	v_and_b32_e32 v9, v99, v160
	v_and_b32_e32 v8, v98, v151
	;; [unrolled: 1-line block ×4, first 2 shown]
	v_mov_b32_e32 v51, v99
	v_mov_b32_e32 v65, v83
	s_mov_b32 s25, exec_lo
	v_cmpx_gt_u64_e64 v[33:34], v[8:9]
	s_cbranch_execz .LBB819_63
; %bb.62:
	v_mov_b32_e32 v50, v70
	v_mov_b32_e32 v64, v68
	;; [unrolled: 1-line block ×8, first 2 shown]
.LBB819_63:
	s_or_b32 exec_lo, exec_lo, s25
	v_and_b32_e32 v9, v81, v160
	v_and_b32_e32 v8, v80, v151
	;; [unrolled: 1-line block ×4, first 2 shown]
	v_mov_b32_e32 v133, v97
	v_mov_b32_e32 v132, v96
	v_cmp_gt_u64_e64 s23, v[33:34], v[8:9]
	v_mov_b32_e32 v33, v100
	v_mov_b32_e32 v34, v101
	s_and_saveexec_b32 s25, s23
	s_cbranch_execz .LBB819_65
; %bb.64:
	v_mov_b32_e32 v33, v86
	v_mov_b32_e32 v133, v81
	;; [unrolled: 1-line block ×8, first 2 shown]
.LBB819_65:
	s_or_b32 exec_lo, exec_lo, s25
	v_and_b32_e32 v9, v16, v160
	v_and_b32_e32 v8, v15, v151
	;; [unrolled: 1-line block ×4, first 2 shown]
	v_mov_b32_e32 v66, v102
	v_mov_b32_e32 v67, v103
	v_cmp_gt_u64_e64 s23, v[48:49], v[8:9]
	v_mov_b32_e32 v8, v112
	v_mov_b32_e32 v9, v113
	s_and_saveexec_b32 s25, s23
	s_cbranch_execz .LBB819_67
; %bb.66:
	v_mov_b32_e32 v8, v84
	v_mov_b32_e32 v67, v16
	;; [unrolled: 1-line block ×8, first 2 shown]
.LBB819_67:
	s_or_b32 exec_lo, exec_lo, s25
	v_and_b32_e32 v49, v20, v160
	v_and_b32_e32 v48, v19, v151
	;; [unrolled: 1-line block ×4, first 2 shown]
	v_cmp_gt_u64_e64 s23, v[82:83], v[48:49]
	v_mov_b32_e32 v49, v20
	v_mov_b32_e32 v83, v22
	;; [unrolled: 1-line block ×4, first 2 shown]
	s_and_saveexec_b32 s25, s23
	s_xor_b32 s23, exec_lo, s25
	s_cbranch_execz .LBB819_69
; %bb.68:
	v_mov_b32_e32 v49, v11
	v_mov_b32_e32 v82, v114
	v_mov_b32_e32 v48, v10
	v_mov_b32_e32 v10, v19
	v_mov_b32_e32 v83, v115
	v_mov_b32_e32 v115, v22
	v_mov_b32_e32 v11, v20
	v_mov_b32_e32 v114, v21
.LBB819_69:
	s_or_b32 exec_lo, exec_lo, s23
	v_and_b32_e32 v20, v28, v160
	v_and_b32_e32 v19, v27, v151
	v_and_b32_e32 v22, v18, v160
	v_and_b32_e32 v21, v17, v151
	v_mov_b32_e32 v97, v30
	v_mov_b32_e32 v96, v29
	v_cmp_gt_u64_e64 s23, v[21:22], v[19:20]
	v_mov_b32_e32 v19, v27
	v_mov_b32_e32 v20, v28
	s_and_saveexec_b32 s25, s23
	s_cbranch_execz .LBB819_71
; %bb.70:
	v_mov_b32_e32 v20, v18
	v_mov_b32_e32 v96, v116
	v_mov_b32_e32 v19, v17
	v_mov_b32_e32 v17, v27
	v_mov_b32_e32 v97, v117
	v_mov_b32_e32 v117, v30
	v_mov_b32_e32 v18, v28
	v_mov_b32_e32 v116, v29
.LBB819_71:
	s_or_b32 exec_lo, exec_lo, s25
	v_and_b32_e32 v22, v37, v160
	v_and_b32_e32 v21, v36, v151
	v_and_b32_e32 v28, v24, v160
	v_and_b32_e32 v27, v23, v151
	v_mov_b32_e32 v99, v39
	v_mov_b32_e32 v98, v38
	v_cmp_gt_u64_e64 s23, v[27:28], v[21:22]
	v_mov_b32_e32 v21, v36
	v_mov_b32_e32 v22, v37
	s_and_saveexec_b32 s25, s23
	;; [unrolled: 22-line block ×4, first 2 shown]
	s_cbranch_execz .LBB819_77
; %bb.76:
	v_mov_b32_e32 v29, v31
	v_mov_b32_e32 v54, v130
	;; [unrolled: 1-line block ×8, first 2 shown]
.LBB819_77:
	s_or_b32 exec_lo, exec_lo, s25
	v_mov_b32_e32 v135, v51
	v_mov_b32_e32 v52, v86
	v_and_b32_e32 v36, v133, v160
	v_and_b32_e32 v35, v132, v151
	v_and_b32_e32 v38, v51, v160
	v_and_b32_e32 v37, v50, v151
	v_mov_b32_e32 v134, v50
	v_mov_b32_e32 v53, v87
	s_mov_b32 s25, exec_lo
	v_cmpx_gt_u64_e64 v[37:38], v[35:36]
	s_cbranch_execz .LBB819_79
; %bb.78:
	v_mov_b32_e32 v135, v133
	v_mov_b32_e32 v52, v64
	v_mov_b32_e32 v134, v132
	v_mov_b32_e32 v53, v65
	v_mov_b32_e32 v64, v86
	v_mov_b32_e32 v133, v51
	v_mov_b32_e32 v65, v87
	v_mov_b32_e32 v132, v50
.LBB819_79:
	s_or_b32 exec_lo, exec_lo, s25
	v_and_b32_e32 v36, v67, v160
	v_and_b32_e32 v35, v66, v151
	v_and_b32_e32 v38, v81, v160
	v_and_b32_e32 v37, v80, v151
	v_mov_b32_e32 v68, v80
	v_mov_b32_e32 v69, v81
	v_cmp_gt_u64_e64 s23, v[37:38], v[35:36]
	v_mov_b32_e32 v35, v84
	v_mov_b32_e32 v36, v85
	s_and_saveexec_b32 s25, s23
	s_cbranch_execz .LBB819_81
; %bb.80:
	v_mov_b32_e32 v36, v34
	v_mov_b32_e32 v69, v67
	v_mov_b32_e32 v35, v33
	v_mov_b32_e32 v33, v84
	v_mov_b32_e32 v68, v66
	v_mov_b32_e32 v66, v80
	v_mov_b32_e32 v34, v85
	v_mov_b32_e32 v67, v81
.LBB819_81:
	s_or_b32 exec_lo, exec_lo, s25
	v_and_b32_e32 v38, v11, v160
	v_and_b32_e32 v37, v10, v151
	v_and_b32_e32 v51, v1, v160
	v_and_b32_e32 v50, v0, v151
	v_mov_b32_e32 v70, v114
	v_mov_b32_e32 v71, v115
	v_cmp_gt_u64_e64 s23, v[50:51], v[37:38]
	v_mov_b32_e32 v38, v11
	v_mov_b32_e32 v37, v10
	s_and_saveexec_b32 s25, s23
	;; [unrolled: 22-line block ×6, first 2 shown]
	s_cbranch_execz .LBB819_91
; %bb.90:
	v_mov_b32_e32 v25, v27
	v_mov_b32_e32 v103, v101
	;; [unrolled: 1-line block ×8, first 2 shown]
.LBB819_91:
	s_or_b32 exec_lo, exec_lo, s25
	v_mov_b32_e32 v114, v134
	v_mov_b32_e32 v113, v65
	v_and_b32_e32 v11, v135, v160
	v_and_b32_e32 v10, v134, v151
	;; [unrolled: 1-line block ×4, first 2 shown]
	v_mov_b32_e32 v115, v135
	v_mov_b32_e32 v112, v64
	s_mov_b32 s25, exec_lo
	v_cmpx_gt_u64_e64 v[31:32], v[10:11]
	s_cbranch_execz .LBB819_93
; %bb.92:
	v_mov_b32_e32 v115, v30
	v_mov_b32_e32 v113, v55
	v_mov_b32_e32 v114, v29
	v_mov_b32_e32 v29, v134
	v_mov_b32_e32 v112, v54
	v_mov_b32_e32 v54, v64
	v_mov_b32_e32 v30, v135
	v_mov_b32_e32 v55, v65
.LBB819_93:
	s_or_b32 exec_lo, exec_lo, s25
	v_and_b32_e32 v11, v69, v160
	v_and_b32_e32 v10, v68, v151
	v_and_b32_e32 v32, v133, v160
	v_and_b32_e32 v31, v132, v151
	v_mov_b32_e32 v116, v132
	v_mov_b32_e32 v117, v133
	v_cmp_gt_u64_e64 s23, v[31:32], v[10:11]
	v_mov_b32_e32 v31, v33
	v_mov_b32_e32 v32, v34
	s_and_saveexec_b32 s25, s23
	s_cbranch_execz .LBB819_95
; %bb.94:
	v_mov_b32_e32 v31, v52
	v_mov_b32_e32 v117, v69
	v_mov_b32_e32 v32, v53
	v_mov_b32_e32 v53, v34
	v_mov_b32_e32 v116, v68
	v_mov_b32_e32 v68, v132
	v_mov_b32_e32 v52, v33
	v_mov_b32_e32 v69, v133
.LBB819_95:
	s_or_b32 exec_lo, exec_lo, s25
	v_and_b32_e32 v11, v16, v160
	v_and_b32_e32 v10, v15, v151
	v_and_b32_e32 v34, v67, v160
	v_and_b32_e32 v33, v66, v151
	v_mov_b32_e32 v64, v66
	v_mov_b32_e32 v65, v67
	v_cmp_gt_u64_e64 s23, v[33:34], v[10:11]
	v_mov_b32_e32 v11, v9
	v_mov_b32_e32 v10, v8
	s_and_saveexec_b32 s25, s23
	;; [unrolled: 22-line block ×14, first 2 shown]
	s_cbranch_execz .LBB819_121
; %bb.120:
	v_mov_b32_e32 v24, v22
	v_mov_b32_e32 v86, v98
	;; [unrolled: 1-line block ×8, first 2 shown]
.LBB819_121:
	s_or_b32 exec_lo, exec_lo, s25
	v_mov_b32_e32 v129, v9
	v_mov_b32_e32 v102, v112
	v_and_b32_e32 v26, v9, v160
	v_and_b32_e32 v25, v8, v151
	;; [unrolled: 1-line block ×4, first 2 shown]
	v_mov_b32_e32 v128, v8
	v_mov_b32_e32 v103, v113
	s_mov_b32 s25, exec_lo
	v_cmpx_gt_u64_e64 v[52:53], v[25:26]
	s_cbranch_execz .LBB819_123
; %bb.122:
	v_mov_b32_e32 v129, v28
	v_mov_b32_e32 v103, v101
	v_mov_b32_e32 v128, v27
	v_mov_b32_e32 v28, v9
	v_mov_b32_e32 v102, v100
	v_mov_b32_e32 v100, v112
	v_mov_b32_e32 v27, v8
	v_mov_b32_e32 v101, v113
.LBB819_123:
	s_or_b32 exec_lo, exec_lo, s25
	v_and_b32_e32 v9, v115, v160
	v_and_b32_e32 v8, v114, v151
	v_and_b32_e32 v26, v117, v160
	v_and_b32_e32 v25, v116, v151
	v_mov_b32_e32 v119, v117
	v_mov_b32_e32 v118, v116
	v_cmp_gt_u64_e64 s23, v[25:26], v[8:9]
	v_mov_b32_e32 v25, v31
	v_mov_b32_e32 v26, v32
	s_and_saveexec_b32 s25, s23
	s_cbranch_execz .LBB819_125
; %bb.124:
	v_mov_b32_e32 v25, v54
	v_mov_b32_e32 v119, v115
	v_mov_b32_e32 v26, v55
	v_mov_b32_e32 v55, v32
	v_mov_b32_e32 v118, v114
	v_mov_b32_e32 v114, v116
	v_mov_b32_e32 v54, v31
	v_mov_b32_e32 v115, v117
.LBB819_125:
	s_or_b32 exec_lo, exec_lo, s25
	v_and_b32_e32 v9, v16, v160
	v_and_b32_e32 v8, v15, v151
	v_and_b32_e32 v32, v65, v160
	v_and_b32_e32 v31, v64, v151
	v_mov_b32_e32 v113, v65
	v_mov_b32_e32 v112, v64
	v_cmp_gt_u64_e64 s23, v[31:32], v[8:9]
	v_mov_b32_e32 v8, v10
	v_mov_b32_e32 v9, v11
	s_and_saveexec_b32 s25, s23
	s_cbranch_execz .LBB819_127
; %bb.126:
	v_mov_b32_e32 v8, v29
	v_mov_b32_e32 v113, v16
	v_mov_b32_e32 v9, v30
	v_mov_b32_e32 v30, v11
	v_mov_b32_e32 v112, v15
	v_mov_b32_e32 v15, v64
	v_mov_b32_e32 v29, v10
	v_mov_b32_e32 v16, v65
.LBB819_127:
	s_or_b32 exec_lo, exec_lo, s25
	v_and_b32_e32 v11, v34, v160
	v_and_b32_e32 v10, v33, v151
	v_and_b32_e32 v32, v36, v160
	v_and_b32_e32 v31, v35, v151
	v_mov_b32_e32 v64, v66
	v_mov_b32_e32 v65, v67
	v_cmp_gt_u64_e64 s23, v[31:32], v[10:11]
	v_mov_b32_e32 v31, v33
	v_mov_b32_e32 v32, v34
	s_and_saveexec_b32 s25, s23
	s_cbranch_execz .LBB819_129
; %bb.128:
	v_mov_b32_e32 v31, v35
	v_mov_b32_e32 v64, v68
	v_mov_b32_e32 v32, v36
	v_mov_b32_e32 v36, v34
	v_mov_b32_e32 v65, v69
	v_mov_b32_e32 v69, v67
	v_mov_b32_e32 v35, v33
	v_mov_b32_e32 v68, v66
.LBB819_129:
	s_or_b32 exec_lo, exec_lo, s25
	v_and_b32_e32 v11, v49, v160
	v_and_b32_e32 v10, v48, v151
	v_and_b32_e32 v34, v38, v160
	v_and_b32_e32 v33, v37, v151
	v_mov_b32_e32 v66, v82
	v_mov_b32_e32 v67, v83
	v_cmp_gt_u64_e64 s23, v[33:34], v[10:11]
	v_mov_b32_e32 v33, v48
	v_mov_b32_e32 v34, v49
	s_and_saveexec_b32 s25, s23
	s_cbranch_execz .LBB819_131
; %bb.130:
	v_mov_b32_e32 v33, v37
	v_mov_b32_e32 v66, v70
	v_mov_b32_e32 v34, v38
	v_mov_b32_e32 v37, v48
	v_mov_b32_e32 v67, v71
	v_mov_b32_e32 v70, v82
	v_mov_b32_e32 v38, v49
	v_mov_b32_e32 v71, v83
.LBB819_131:
	s_or_b32 exec_lo, exec_lo, s25
	v_and_b32_e32 v11, v20, v160
	v_and_b32_e32 v10, v19, v151
	v_and_b32_e32 v49, v51, v160
	v_and_b32_e32 v48, v50, v151
	v_mov_b32_e32 v82, v96
	v_mov_b32_e32 v83, v97
	v_cmp_gt_u64_e64 s23, v[48:49], v[10:11]
	v_mov_b32_e32 v49, v20
	v_mov_b32_e32 v48, v19
	s_and_saveexec_b32 s25, s23
	s_cbranch_execz .LBB819_133
; %bb.132:
	v_mov_b32_e32 v48, v50
	v_mov_b32_e32 v83, v81
	v_mov_b32_e32 v49, v51
	v_mov_b32_e32 v51, v20
	v_mov_b32_e32 v82, v80
	v_mov_b32_e32 v80, v96
	v_mov_b32_e32 v50, v19
	v_mov_b32_e32 v81, v97
.LBB819_133:
	s_or_b32 exec_lo, exec_lo, s25
	v_and_b32_e32 v11, v22, v160
	v_and_b32_e32 v10, v21, v151
	v_and_b32_e32 v20, v18, v160
	v_and_b32_e32 v19, v17, v151
	v_mov_b32_e32 v96, v98
	v_mov_b32_e32 v97, v99
	v_cmp_gt_u64_e64 s23, v[19:20], v[10:11]
	v_mov_b32_e32 v19, v21
	v_mov_b32_e32 v20, v22
	s_and_saveexec_b32 s25, s23
	s_cbranch_execz .LBB819_135
; %bb.134:
	v_mov_b32_e32 v20, v18
	v_mov_b32_e32 v97, v85
	v_mov_b32_e32 v19, v17
	v_mov_b32_e32 v17, v21
	v_mov_b32_e32 v96, v84
	v_mov_b32_e32 v84, v98
	v_mov_b32_e32 v18, v22
	v_mov_b32_e32 v85, v99
.LBB819_135:
	s_or_b32 exec_lo, exec_lo, s25
	v_and_b32_e32 v11, v28, v160
	v_and_b32_e32 v10, v27, v151
	v_and_b32_e32 v22, v24, v160
	v_and_b32_e32 v21, v23, v151
	v_mov_b32_e32 v98, v100
	v_mov_b32_e32 v99, v101
	v_cmp_gt_u64_e64 s23, v[21:22], v[10:11]
	v_mov_b32_e32 v21, v27
	v_mov_b32_e32 v22, v28
	s_and_saveexec_b32 s25, s23
	s_cbranch_execz .LBB819_137
; %bb.136:
	v_mov_b32_e32 v21, v23
	v_mov_b32_e32 v99, v87
	v_mov_b32_e32 v22, v24
	v_mov_b32_e32 v23, v27
	v_mov_b32_e32 v98, v86
	v_mov_b32_e32 v86, v100
	v_mov_b32_e32 v24, v28
	v_mov_b32_e32 v87, v101
.LBB819_137:
	s_or_b32 exec_lo, exec_lo, s25
	v_and_b32_e32 v11, v119, v160
	v_and_b32_e32 v10, v118, v151
	v_and_b32_e32 v28, v129, v160
	v_and_b32_e32 v27, v128, v151
	v_mov_b32_e32 v52, v54
	v_mov_b32_e32 v53, v55
	v_cmp_gt_u64_e64 s23, v[27:28], v[10:11]
	v_mov_b32_e32 v10, v128
	v_mov_b32_e32 v11, v129
	s_and_saveexec_b32 s25, s23
	s_cbranch_execz .LBB819_139
; %bb.138:
	v_mov_b32_e32 v10, v118
	v_mov_b32_e32 v52, v102
	v_mov_b32_e32 v11, v119
	v_mov_b32_e32 v53, v103
	v_mov_b32_e32 v103, v55
	v_mov_b32_e32 v118, v128
	v_mov_b32_e32 v102, v54
	v_mov_b32_e32 v119, v129
.LBB819_139:
	s_or_b32 exec_lo, exec_lo, s25
	v_and_b32_e32 v28, v113, v160
	v_and_b32_e32 v27, v112, v151
	v_and_b32_e32 v55, v115, v160
	v_and_b32_e32 v54, v114, v151
	v_mov_b32_e32 v100, v114
	v_mov_b32_e32 v101, v115
	v_cmp_gt_u64_e64 s23, v[54:55], v[27:28]
	v_mov_b32_e32 v27, v29
	v_mov_b32_e32 v28, v30
	s_and_saveexec_b32 s25, s23
	s_cbranch_execz .LBB819_141
; %bb.140:
	v_mov_b32_e32 v28, v26
	v_mov_b32_e32 v100, v112
	v_mov_b32_e32 v27, v25
	v_mov_b32_e32 v25, v29
	v_mov_b32_e32 v101, v113
	v_mov_b32_e32 v112, v114
	v_mov_b32_e32 v26, v30
	v_mov_b32_e32 v113, v115
.LBB819_141:
	s_or_b32 exec_lo, exec_lo, s25
	v_and_b32_e32 v30, v36, v160
	v_and_b32_e32 v29, v35, v151
	v_and_b32_e32 v55, v1, v160
	v_and_b32_e32 v54, v0, v151
	v_mov_b32_e32 v115, v69
	v_mov_b32_e32 v114, v68
	v_cmp_gt_u64_e64 s23, v[54:55], v[29:30]
	v_mov_b32_e32 v29, v35
	v_mov_b32_e32 v30, v36
	s_and_saveexec_b32 s25, s23
	s_cbranch_execz .LBB819_143
; %bb.142:
	v_mov_b32_e32 v30, v1
	v_mov_b32_e32 v115, v5
	v_mov_b32_e32 v29, v0
	v_mov_b32_e32 v0, v35
	v_mov_b32_e32 v114, v4
	v_mov_b32_e32 v4, v68
	v_mov_b32_e32 v1, v36
	v_mov_b32_e32 v5, v69
.LBB819_143:
	s_or_b32 exec_lo, exec_lo, s25
	v_and_b32_e32 v36, v38, v160
	v_and_b32_e32 v35, v37, v151
	v_and_b32_e32 v55, v32, v160
	v_and_b32_e32 v54, v31, v151
	v_mov_b32_e32 v68, v70
	v_mov_b32_e32 v69, v71
	v_cmp_gt_u64_e64 s23, v[54:55], v[35:36]
	v_mov_b32_e32 v35, v37
	v_mov_b32_e32 v36, v38
	s_and_saveexec_b32 s25, s23
	s_cbranch_execz .LBB819_145
; %bb.144:
	v_mov_b32_e32 v36, v32
	v_mov_b32_e32 v69, v65
	v_mov_b32_e32 v35, v31
	v_mov_b32_e32 v31, v37
	v_mov_b32_e32 v68, v64
	v_mov_b32_e32 v64, v70
	v_mov_b32_e32 v32, v38
	v_mov_b32_e32 v65, v71
.LBB819_145:
	s_or_b32 exec_lo, exec_lo, s25
	v_and_b32_e32 v38, v51, v160
	v_and_b32_e32 v37, v50, v151
	v_and_b32_e32 v55, v34, v160
	v_and_b32_e32 v54, v33, v151
	v_mov_b32_e32 v70, v80
	v_mov_b32_e32 v71, v81
	v_cmp_gt_u64_e64 s23, v[54:55], v[37:38]
	v_mov_b32_e32 v37, v50
	v_mov_b32_e32 v38, v51
	s_and_saveexec_b32 s25, s23
	s_cbranch_execz .LBB819_147
; %bb.146:
	v_mov_b32_e32 v38, v34
	v_mov_b32_e32 v71, v67
	v_mov_b32_e32 v37, v33
	v_mov_b32_e32 v33, v50
	v_mov_b32_e32 v70, v66
	v_mov_b32_e32 v66, v80
	v_mov_b32_e32 v34, v51
	v_mov_b32_e32 v67, v81
.LBB819_147:
	s_or_b32 exec_lo, exec_lo, s25
	v_and_b32_e32 v51, v18, v160
	v_and_b32_e32 v50, v17, v151
	v_and_b32_e32 v55, v49, v160
	v_and_b32_e32 v54, v48, v151
	v_mov_b32_e32 v80, v84
	v_mov_b32_e32 v81, v85
	v_cmp_gt_u64_e64 s23, v[54:55], v[50:51]
	v_mov_b32_e32 v51, v18
	v_mov_b32_e32 v50, v17
	s_and_saveexec_b32 s25, s23
	s_cbranch_execz .LBB819_149
; %bb.148:
	v_mov_b32_e32 v51, v49
	v_mov_b32_e32 v80, v82
	v_mov_b32_e32 v50, v48
	v_mov_b32_e32 v49, v18
	v_mov_b32_e32 v81, v83
	v_mov_b32_e32 v82, v84
	v_mov_b32_e32 v48, v17
	v_mov_b32_e32 v83, v85
.LBB819_149:
	s_or_b32 exec_lo, exec_lo, s25
	v_and_b32_e32 v18, v24, v160
	v_and_b32_e32 v17, v23, v151
	v_and_b32_e32 v55, v20, v160
	v_and_b32_e32 v54, v19, v151
	v_mov_b32_e32 v84, v86
	v_mov_b32_e32 v85, v87
	v_cmp_gt_u64_e64 s23, v[54:55], v[17:18]
	v_mov_b32_e32 v17, v23
	v_mov_b32_e32 v18, v24
	s_and_saveexec_b32 s25, s23
	s_cbranch_execz .LBB819_151
; %bb.150:
	v_mov_b32_e32 v17, v19
	v_mov_b32_e32 v84, v96
	;; [unrolled: 1-line block ×8, first 2 shown]
.LBB819_151:
	s_or_b32 exec_lo, exec_lo, s25
	v_mov_b32_e32 v129, v11
	v_mov_b32_e32 v86, v102
	v_and_b32_e32 v24, v11, v160
	v_and_b32_e32 v23, v10, v151
	;; [unrolled: 1-line block ×4, first 2 shown]
	v_mov_b32_e32 v128, v10
	v_mov_b32_e32 v87, v103
	s_mov_b32 s25, exec_lo
	v_cmpx_gt_u64_e64 v[54:55], v[23:24]
	s_cbranch_execz .LBB819_153
; %bb.152:
	v_mov_b32_e32 v129, v22
	v_mov_b32_e32 v86, v98
	v_mov_b32_e32 v128, v21
	v_mov_b32_e32 v22, v11
	v_mov_b32_e32 v87, v99
	v_mov_b32_e32 v98, v102
	v_mov_b32_e32 v21, v10
	v_mov_b32_e32 v99, v103
.LBB819_153:
	s_or_b32 exec_lo, exec_lo, s25
	v_and_b32_e32 v11, v101, v160
	v_and_b32_e32 v10, v100, v151
	v_and_b32_e32 v24, v119, v160
	v_and_b32_e32 v23, v118, v151
	v_mov_b32_e32 v116, v118
	v_mov_b32_e32 v117, v119
	v_cmp_gt_u64_e64 s23, v[23:24], v[10:11]
	v_mov_b32_e32 v23, v25
	v_mov_b32_e32 v24, v26
	s_and_saveexec_b32 s25, s23
	s_cbranch_execz .LBB819_155
; %bb.154:
	v_mov_b32_e32 v23, v52
	v_mov_b32_e32 v117, v101
	v_mov_b32_e32 v24, v53
	v_mov_b32_e32 v53, v26
	v_mov_b32_e32 v116, v100
	v_mov_b32_e32 v100, v118
	v_mov_b32_e32 v52, v25
	v_mov_b32_e32 v101, v119
.LBB819_155:
	s_or_b32 exec_lo, exec_lo, s25
	v_and_b32_e32 v11, v16, v160
	v_and_b32_e32 v10, v15, v151
	v_and_b32_e32 v26, v113, v160
	v_and_b32_e32 v25, v112, v151
	v_mov_b32_e32 v102, v112
	v_mov_b32_e32 v103, v113
	v_cmp_gt_u64_e64 s23, v[25:26], v[10:11]
	v_mov_b32_e32 v11, v9
	v_mov_b32_e32 v10, v8
	s_and_saveexec_b32 s25, s23
	;; [unrolled: 22-line block ×14, first 2 shown]
	s_cbranch_execz .LBB819_181
; %bb.180:
	v_mov_b32_e32 v51, v49
	v_mov_b32_e32 v80, v82
	;; [unrolled: 1-line block ×8, first 2 shown]
.LBB819_181:
	s_or_b32 exec_lo, exec_lo, s25
	v_mov_b32_e32 v129, v9
	v_mov_b32_e32 v84, v86
	v_and_b32_e32 v18, v9, v160
	v_and_b32_e32 v17, v8, v151
	;; [unrolled: 1-line block ×4, first 2 shown]
	v_mov_b32_e32 v128, v8
	v_mov_b32_e32 v85, v87
	s_mov_b32 s25, exec_lo
	v_cmpx_gt_u64_e64 v[52:53], v[17:18]
	s_cbranch_execz .LBB819_183
; %bb.182:
	v_mov_b32_e32 v129, v20
	v_mov_b32_e32 v84, v96
	v_mov_b32_e32 v128, v19
	v_mov_b32_e32 v20, v9
	v_mov_b32_e32 v85, v97
	v_mov_b32_e32 v97, v87
	v_mov_b32_e32 v19, v8
	v_mov_b32_e32 v96, v86
.LBB819_183:
	s_or_b32 exec_lo, exec_lo, s25
	v_and_b32_e32 v9, v99, v160
	v_and_b32_e32 v8, v98, v151
	v_and_b32_e32 v18, v117, v160
	v_and_b32_e32 v17, v116, v151
	v_mov_b32_e32 v119, v117
	v_mov_b32_e32 v118, v116
	v_cmp_gt_u64_e64 s23, v[17:18], v[8:9]
	v_mov_b32_e32 v17, v23
	v_mov_b32_e32 v18, v24
	s_and_saveexec_b32 s25, s23
	s_cbranch_execz .LBB819_185
; %bb.184:
	v_mov_b32_e32 v17, v54
	v_mov_b32_e32 v119, v99
	v_mov_b32_e32 v18, v55
	v_mov_b32_e32 v55, v24
	v_mov_b32_e32 v118, v98
	v_mov_b32_e32 v98, v116
	v_mov_b32_e32 v54, v23
	v_mov_b32_e32 v99, v117
.LBB819_185:
	s_or_b32 exec_lo, exec_lo, s25
	v_and_b32_e32 v9, v16, v160
	v_and_b32_e32 v8, v15, v151
	v_and_b32_e32 v24, v103, v160
	v_and_b32_e32 v23, v102, v151
	v_mov_b32_e32 v86, v102
	v_mov_b32_e32 v87, v103
	v_cmp_gt_u64_e64 s23, v[23:24], v[8:9]
	v_mov_b32_e32 v8, v10
	v_mov_b32_e32 v9, v11
	s_and_saveexec_b32 s25, s23
	;; [unrolled: 22-line block ×8, first 2 shown]
	s_cbranch_execz .LBB819_199
; %bb.198:
	v_mov_b32_e32 v10, v118
	v_mov_b32_e32 v52, v84
	v_mov_b32_e32 v11, v119
	v_mov_b32_e32 v53, v85
	v_mov_b32_e32 v85, v55
	v_mov_b32_e32 v118, v128
	v_mov_b32_e32 v84, v54
	v_mov_b32_e32 v119, v129
.LBB819_199:
	s_or_b32 exec_lo, exec_lo, s25
	v_and_b32_e32 v20, v87, v160
	v_and_b32_e32 v19, v86, v151
	v_and_b32_e32 v55, v99, v160
	v_and_b32_e32 v54, v98, v151
	v_cmp_gt_u64_e64 s23, v[54:55], v[19:20]
	v_mov_b32_e32 v19, v21
	v_mov_b32_e32 v54, v98
	v_mov_b32_e32 v20, v22
	v_mov_b32_e32 v55, v99
	s_and_saveexec_b32 s25, s23
	s_cbranch_execz .LBB819_201
; %bb.200:
	v_mov_b32_e32 v20, v18
	v_mov_b32_e32 v54, v86
	v_mov_b32_e32 v19, v17
	v_mov_b32_e32 v17, v21
	v_mov_b32_e32 v55, v87
	v_mov_b32_e32 v86, v98
	v_mov_b32_e32 v18, v22
	v_mov_b32_e32 v87, v99
.LBB819_201:
	s_or_b32 exec_lo, exec_lo, s25
	v_and_b32_e32 v22, v28, v160
	v_and_b32_e32 v21, v27, v151
	v_and_b32_e32 v97, v1, v160
	v_and_b32_e32 v96, v0, v151
	v_cmp_gt_u64_e64 s23, v[96:97], v[21:22]
	v_mov_b32_e32 v21, v27
	v_mov_b32_e32 v96, v100
	v_mov_b32_e32 v22, v28
	v_mov_b32_e32 v97, v101
	s_and_saveexec_b32 s25, s23
	;; [unrolled: 22-line block ×6, first 2 shown]
	s_cbranch_execz .LBB819_211
; %bb.210:
	v_mov_b32_e32 v38, v34
	v_mov_b32_e32 v71, v67
	v_mov_b32_e32 v37, v33
	v_mov_b32_e32 v33, v50
	v_mov_b32_e32 v70, v66
	v_mov_b32_e32 v66, v80
	v_mov_b32_e32 v34, v51
	v_mov_b32_e32 v67, v81
.LBB819_211:
	s_or_b32 exec_lo, exec_lo, s25
	v_and_b32_e32 v51, v11, v160
	v_and_b32_e32 v50, v10, v151
	v_and_b32_e32 v81, v49, v160
	v_and_b32_e32 v80, v48, v151
	v_mov_b32_e32 v117, v11
	v_mov_b32_e32 v116, v10
	v_cmp_gt_u64_e64 s23, v[80:81], v[50:51]
	v_mov_b32_e32 v80, v84
	v_mov_b32_e32 v81, v85
	s_and_saveexec_b32 s25, s23
	s_cbranch_execz .LBB819_213
; %bb.212:
	v_mov_b32_e32 v117, v49
	v_mov_b32_e32 v80, v82
	v_mov_b32_e32 v116, v48
	v_mov_b32_e32 v49, v11
	v_mov_b32_e32 v81, v83
	v_mov_b32_e32 v82, v84
	v_mov_b32_e32 v48, v10
	v_mov_b32_e32 v83, v85
.LBB819_213:
	s_or_b32 exec_lo, exec_lo, s25
	v_and_b32_e32 v11, v55, v160
	v_and_b32_e32 v10, v54, v151
	v_and_b32_e32 v51, v119, v160
	v_and_b32_e32 v50, v118, v151
	v_mov_b32_e32 v131, v119
	v_mov_b32_e32 v130, v118
	v_cmp_gt_u64_e64 s23, v[50:51], v[10:11]
	v_mov_b32_e32 v51, v18
	v_mov_b32_e32 v50, v17
	s_and_saveexec_b32 s25, s23
	;; [unrolled: 22-line block ×8, first 2 shown]
	s_cbranch_execz .LBB819_227
; %bb.226:
	v_mov_b32_e32 v31, v37
	v_mov_b32_e32 v66, v70
	;; [unrolled: 1-line block ×8, first 2 shown]
.LBB819_227:
	s_or_b32 exec_lo, exec_lo, s25
	v_mov_b32_e32 v133, v117
	v_mov_b32_e32 v65, v53
	v_and_b32_e32 v34, v131, v160
	v_and_b32_e32 v33, v130, v151
	;; [unrolled: 1-line block ×4, first 2 shown]
	v_mov_b32_e32 v132, v116
	v_mov_b32_e32 v64, v52
	s_mov_b32 s25, exec_lo
	v_cmpx_gt_u64_e64 v[48:49], v[33:34]
	s_cbranch_execz .LBB819_229
; %bb.228:
	v_mov_b32_e32 v133, v131
	v_mov_b32_e32 v64, v80
	v_mov_b32_e32 v132, v130
	v_mov_b32_e32 v65, v81
	v_mov_b32_e32 v81, v53
	v_mov_b32_e32 v131, v117
	v_mov_b32_e32 v80, v52
	v_mov_b32_e32 v130, v116
.LBB819_229:
	s_or_b32 exec_lo, exec_lo, s25
	v_and_b32_e32 v34, v85, v160
	v_and_b32_e32 v33, v84, v151
	v_and_b32_e32 v49, v55, v160
	v_and_b32_e32 v48, v54, v151
	v_mov_b32_e32 v83, v55
	v_mov_b32_e32 v82, v54
	v_cmp_gt_u64_e64 s23, v[48:49], v[33:34]
	v_mov_b32_e32 v34, v20
	v_mov_b32_e32 v33, v19
	s_and_saveexec_b32 s25, s23
	s_cbranch_execz .LBB819_231
; %bb.230:
	v_mov_b32_e32 v33, v50
	v_mov_b32_e32 v82, v84
	v_mov_b32_e32 v34, v51
	v_mov_b32_e32 v51, v20
	v_mov_b32_e32 v83, v85
	v_mov_b32_e32 v85, v55
	v_mov_b32_e32 v50, v19
	v_mov_b32_e32 v84, v54
.LBB819_231:
	s_or_b32 exec_lo, exec_lo, s25
	v_and_b32_e32 v20, v22, v160
	v_and_b32_e32 v19, v21, v151
	v_and_b32_e32 v49, v1, v160
	v_and_b32_e32 v48, v0, v151
	v_mov_b32_e32 v117, v97
	v_mov_b32_e32 v116, v96
	v_cmp_gt_u64_e64 s23, v[48:49], v[19:20]
	v_mov_b32_e32 v49, v22
	v_mov_b32_e32 v48, v21
	s_and_saveexec_b32 s25, s23
	;; [unrolled: 22-line block ×5, first 2 shown]
	s_cbranch_execz .LBB819_239
; %bb.238:
	v_mov_b32_e32 v30, v24
	v_mov_b32_e32 v119, v113
	;; [unrolled: 1-line block ×8, first 2 shown]
.LBB819_239:
	s_or_b32 exec_lo, exec_lo, s25
	v_mov_b32_e32 v53, v38
	v_mov_b32_e32 v129, v71
	v_and_b32_e32 v20, v38, v160
	v_and_b32_e32 v19, v37, v151
	;; [unrolled: 1-line block ×4, first 2 shown]
	v_mov_b32_e32 v52, v37
	v_mov_b32_e32 v128, v70
	s_mov_b32 s25, exec_lo
	v_cmpx_gt_u64_e64 v[35:36], v[19:20]
	s_cbranch_execz .LBB819_241
; %bb.240:
	v_mov_b32_e32 v53, v26
	v_mov_b32_e32 v129, v115
	;; [unrolled: 1-line block ×8, first 2 shown]
.LBB819_241:
	s_or_b32 exec_lo, exec_lo, s25
	v_mov_b32_e32 v149, v133
	v_mov_b32_e32 v70, v80
	v_and_b32_e32 v20, v133, v160
	v_and_b32_e32 v19, v132, v151
	;; [unrolled: 1-line block ×4, first 2 shown]
	v_mov_b32_e32 v148, v132
	v_mov_b32_e32 v71, v81
	s_mov_b32 s25, exec_lo
	v_cmpx_gt_u64_e64 v[35:36], v[19:20]
	s_cbranch_execz .LBB819_243
; %bb.242:
	v_mov_b32_e32 v149, v32
	v_mov_b32_e32 v71, v67
	v_mov_b32_e32 v148, v31
	v_mov_b32_e32 v31, v132
	v_mov_b32_e32 v70, v66
	v_mov_b32_e32 v66, v80
	v_mov_b32_e32 v32, v133
	v_mov_b32_e32 v67, v81
.LBB819_243:
	s_or_b32 exec_lo, exec_lo, s25
	v_and_b32_e32 v20, v83, v160
	v_and_b32_e32 v19, v82, v151
	v_and_b32_e32 v36, v131, v160
	v_and_b32_e32 v35, v130, v151
	v_mov_b32_e32 v147, v131
	v_mov_b32_e32 v146, v130
	v_cmp_gt_u64_e64 s23, v[35:36], v[19:20]
	v_mov_b32_e32 v36, v50
	v_mov_b32_e32 v37, v51
	s_and_saveexec_b32 s25, s23
	s_cbranch_execz .LBB819_245
; %bb.244:
	v_mov_b32_e32 v36, v64
	v_mov_b32_e32 v147, v83
	v_mov_b32_e32 v37, v65
	v_mov_b32_e32 v65, v51
	v_mov_b32_e32 v146, v82
	v_mov_b32_e32 v82, v130
	v_mov_b32_e32 v64, v50
	v_mov_b32_e32 v83, v131
.LBB819_245:
	s_or_b32 exec_lo, exec_lo, s25
	v_and_b32_e32 v20, v16, v160
	v_and_b32_e32 v19, v15, v151
	v_and_b32_e32 v39, v85, v160
	v_and_b32_e32 v38, v84, v151
	v_mov_b32_e32 v131, v85
	v_mov_b32_e32 v130, v84
	v_cmp_gt_u64_e64 s23, v[38:39], v[19:20]
	v_mov_b32_e32 v20, v11
	v_mov_b32_e32 v19, v10
	s_and_saveexec_b32 s25, s23
	;; [unrolled: 22-line block ×4, first 2 shown]
	s_cbranch_execz .LBB819_251
; %bb.250:
	v_mov_b32_e32 v39, v22
	v_mov_b32_e32 v135, v97
	v_mov_b32_e32 v38, v21
	v_mov_b32_e32 v22, v18
	v_mov_b32_e32 v134, v96
	v_mov_b32_e32 v96, v102
	v_mov_b32_e32 v21, v17
	v_mov_b32_e32 v97, v103
.LBB819_251:
	s_or_b32 exec_lo, exec_lo, s25
	v_mov_b32_e32 v55, v24
	v_mov_b32_e32 v102, v112
	v_and_b32_e32 v9, v24, v160
	v_and_b32_e32 v8, v23, v151
	v_and_b32_e32 v18, v28, v160
	v_and_b32_e32 v17, v27, v151
	v_mov_b32_e32 v54, v23
	v_mov_b32_e32 v103, v113
	s_mov_b32 s25, exec_lo
	v_cmpx_gt_u64_e64 v[17:18], v[8:9]
	s_cbranch_execz .LBB819_253
; %bb.252:
	v_mov_b32_e32 v55, v28
	v_mov_b32_e32 v103, v99
	v_mov_b32_e32 v54, v27
	v_mov_b32_e32 v28, v24
	v_mov_b32_e32 v102, v98
	v_mov_b32_e32 v98, v112
	v_mov_b32_e32 v27, v23
	v_mov_b32_e32 v99, v113
.LBB819_253:
	s_or_b32 exec_lo, exec_lo, s25
	v_mov_b32_e32 v69, v26
	v_mov_b32_e32 v145, v115
	v_and_b32_e32 v9, v26, v160
	v_and_b32_e32 v8, v25, v151
	v_and_b32_e32 v18, v30, v160
	v_and_b32_e32 v17, v29, v151
	v_mov_b32_e32 v68, v25
	v_mov_b32_e32 v144, v114
	s_mov_b32 s25, exec_lo
	v_cmpx_gt_u64_e64 v[17:18], v[8:9]
	;; [unrolled: 22-line block ×5, first 2 shown]
	s_cbranch_execz .LBB819_261
; %bb.260:
	v_mov_b32_e32 v85, v37
	v_mov_b32_e32 v80, v130
	;; [unrolled: 1-line block ×8, first 2 shown]
.LBB819_261:
	s_or_b32 exec_lo, exec_lo, s25
	v_and_b32_e32 v9, v49, v160
	v_and_b32_e32 v8, v48, v151
	v_and_b32_e32 v18, v1, v160
	v_and_b32_e32 v17, v0, v151
	v_cmp_gt_u64_e64 s23, v[17:18], v[8:9]
	v_mov_b32_e32 v8, v48
	v_mov_b32_e32 v17, v116
	;; [unrolled: 1-line block ×4, first 2 shown]
	s_and_saveexec_b32 s25, s23
	s_cbranch_execz .LBB819_263
; %bb.262:
	v_mov_b32_e32 v9, v1
	v_mov_b32_e32 v18, v5
	;; [unrolled: 1-line block ×8, first 2 shown]
.LBB819_263:
	s_or_b32 exec_lo, exec_lo, s25
	v_and_b32_e32 v24, v22, v160
	v_and_b32_e32 v23, v21, v151
	;; [unrolled: 1-line block ×4, first 2 shown]
	v_cmp_gt_u64_e64 s23, v[25:26], v[23:24]
	v_mov_b32_e32 v24, v22
	v_mov_b32_e32 v25, v96
	;; [unrolled: 1-line block ×4, first 2 shown]
	s_and_saveexec_b32 s25, s23
	s_cbranch_execz .LBB819_265
; %bb.264:
	v_mov_b32_e32 v24, v11
	v_mov_b32_e32 v25, v132
	;; [unrolled: 1-line block ×8, first 2 shown]
.LBB819_265:
	s_or_b32 exec_lo, exec_lo, s25
	v_and_b32_e32 v22, v28, v160
	v_and_b32_e32 v21, v27, v151
	;; [unrolled: 1-line block ×4, first 2 shown]
	v_mov_b32_e32 v34, v98
	v_mov_b32_e32 v35, v99
	v_cmp_gt_u64_e64 s23, v[31:32], v[21:22]
	v_mov_b32_e32 v33, v28
	v_mov_b32_e32 v32, v27
	s_and_saveexec_b32 s25, s23
	s_cbranch_execz .LBB819_267
; %bb.266:
	v_mov_b32_e32 v32, v38
	v_mov_b32_e32 v34, v134
	v_mov_b32_e32 v33, v39
	v_mov_b32_e32 v39, v28
	v_mov_b32_e32 v35, v135
	v_mov_b32_e32 v135, v99
	v_mov_b32_e32 v38, v27
	v_mov_b32_e32 v134, v98
.LBB819_267:
	s_or_b32 exec_lo, exec_lo, s25
	v_mov_b32_e32 v49, v30
	v_mov_b32_e32 v50, v118
	v_and_b32_e32 v22, v30, v160
	v_and_b32_e32 v21, v29, v151
	v_and_b32_e32 v28, v55, v160
	v_and_b32_e32 v27, v54, v151
	v_mov_b32_e32 v48, v29
	v_mov_b32_e32 v51, v119
	s_mov_b32 s25, exec_lo
	v_cmpx_gt_u64_e64 v[27:28], v[21:22]
	s_cbranch_execz .LBB819_269
; %bb.268:
	v_mov_b32_e32 v48, v54
	v_mov_b32_e32 v50, v102
	v_mov_b32_e32 v49, v55
	v_mov_b32_e32 v55, v30
	v_mov_b32_e32 v51, v103
	v_mov_b32_e32 v102, v118
	v_mov_b32_e32 v54, v29
	v_mov_b32_e32 v103, v119
.LBB819_269:
	s_or_b32 exec_lo, exec_lo, s25
	v_mov_b32_e32 v65, v53
	v_mov_b32_e32 v66, v128
	v_and_b32_e32 v22, v53, v160
	v_and_b32_e32 v21, v52, v151
	v_and_b32_e32 v28, v69, v160
	v_and_b32_e32 v27, v68, v151
	v_mov_b32_e32 v64, v52
	v_mov_b32_e32 v67, v129
	s_mov_b32 s25, exec_lo
	v_cmpx_gt_u64_e64 v[27:28], v[21:22]
	;; [unrolled: 22-line block ×5, first 2 shown]
	s_cbranch_execz .LBB819_277
; %bb.276:
	v_mov_b32_e32 v113, v85
	v_mov_b32_e32 v129, v16
	v_mov_b32_e32 v112, v84
	v_mov_b32_e32 v85, v20
	v_mov_b32_e32 v128, v15
	v_mov_b32_e32 v15, v130
	v_mov_b32_e32 v84, v19
	v_mov_b32_e32 v16, v131
.LBB819_277:
	s_or_b32 exec_lo, exec_lo, s25
	v_and_b32_e32 v20, v11, v160
	v_and_b32_e32 v19, v10, v151
	;; [unrolled: 1-line block ×4, first 2 shown]
	v_cmp_gt_u64_e64 s23, v[21:22], v[19:20]
	v_mov_b32_e32 v20, v11
	v_mov_b32_e32 v21, v132
	;; [unrolled: 1-line block ×4, first 2 shown]
	s_and_saveexec_b32 s25, s23
	s_cbranch_execz .LBB819_279
; %bb.278:
	v_mov_b32_e32 v20, v9
	v_mov_b32_e32 v22, v18
	v_mov_b32_e32 v19, v8
	v_mov_b32_e32 v8, v10
	v_mov_b32_e32 v21, v17
	v_mov_b32_e32 v17, v132
	v_mov_b32_e32 v9, v11
	v_mov_b32_e32 v18, v133
.LBB819_279:
	s_or_b32 exec_lo, exec_lo, s25
	v_and_b32_e32 v11, v39, v160
	v_and_b32_e32 v10, v38, v151
	v_and_b32_e32 v28, v24, v160
	v_and_b32_e32 v27, v23, v151
	v_mov_b32_e32 v29, v134
	v_mov_b32_e32 v30, v135
	v_cmp_gt_u64_e64 s23, v[27:28], v[10:11]
	v_mov_b32_e32 v27, v38
	v_mov_b32_e32 v28, v39
	s_and_saveexec_b32 s25, s23
	s_cbranch_execz .LBB819_281
; %bb.280:
	v_mov_b32_e32 v28, v24
	v_mov_b32_e32 v30, v26
	v_mov_b32_e32 v27, v23
	v_mov_b32_e32 v23, v38
	v_mov_b32_e32 v29, v25
	v_mov_b32_e32 v25, v134
	v_mov_b32_e32 v24, v39
	v_mov_b32_e32 v26, v135
.LBB819_281:
	s_or_b32 exec_lo, exec_lo, s25
	v_and_b32_e32 v11, v55, v160
	v_and_b32_e32 v10, v54, v151
	v_and_b32_e32 v37, v33, v160
	v_and_b32_e32 v36, v32, v151
	v_mov_b32_e32 v38, v102
	v_mov_b32_e32 v39, v103
	v_cmp_gt_u64_e64 s23, v[36:37], v[10:11]
	v_mov_b32_e32 v36, v54
	v_mov_b32_e32 v37, v55
	;; [unrolled: 22-line block ×6, first 2 shown]
	s_and_saveexec_b32 s25, s23
	s_cbranch_execz .LBB819_291
; %bb.290:
	v_mov_b32_e32 v103, v81
	v_mov_b32_e32 v101, v85
	;; [unrolled: 1-line block ×8, first 2 shown]
.LBB819_291:
	s_or_b32 exec_lo, exec_lo, s25
.LBB819_292:
	s_or_b32 exec_lo, exec_lo, s24
	v_and_b32_e32 v10, 0xfffffe00, v161
	v_or_b32_e32 v11, 16, v150
	v_and_b32_e32 v134, 0x1e0, v150
	s_mov_b32 s24, exec_lo
	v_sub_nc_u32_e64 v115, 0x1000, v10 clamp
	v_lshlrev_b32_e32 v31, 3, v10
	v_min_u32_e32 v132, v115, v11
	v_and_b32_e32 v11, 16, v150
	v_lshl_or_b32 v114, v150, 3, v31
	v_add_nc_u32_e32 v10, 16, v132
	v_min_u32_e32 v135, v115, v11
	v_sub_nc_u32_e32 v11, v132, v134
	v_add_nc_u32_e32 v128, 0x8000, v114
	v_add_nc_u32_e32 v118, 0x8010, v114
	v_min_u32_e32 v133, v115, v10
	v_add_nc_u32_e32 v119, 0x8020, v114
	v_add_nc_u32_e32 v116, 0x8030, v114
	;; [unrolled: 1-line block ×4, first 2 shown]
	v_sub_nc_u32_e32 v10, v133, v132
	v_add_nc_u32_e32 v130, 0x8060, v114
	v_min_u32_e32 v144, v135, v11
	v_add_nc_u32_e32 v131, 0x8070, v114
	v_lshl_or_b32 v11, v134, 3, v31
	v_sub_nc_u32_e64 v10, v135, v10 clamp
	ds_write2_b64 v114, v[0:1], v[8:9] offset1:1
	ds_write2_b64 v114, v[19:20], v[23:24] offset0:2 offset1:3
	ds_write2_b64 v114, v[27:28], v[32:33] offset0:4 offset1:5
	ds_write2_b64 v114, v[36:37], v[48:49] offset0:6 offset1:7
	ds_write2_b64 v114, v[52:53], v[64:65] offset0:8 offset1:9
	ds_write2_b64 v128, v[4:5], v[17:18] offset1:1
	ds_write2_b64 v118, v[21:22], v[25:26] offset1:1
	;; [unrolled: 1-line block ×5, first 2 shown]
	ds_write2_b64 v114, v[70:71], v[98:99] offset0:10 offset1:11
	ds_write2_b64 v129, v[68:69], v[82:83] offset1:1
	ds_write2_b64 v114, v[96:97], v[80:81] offset0:12 offset1:13
	ds_write2_b64 v130, v[86:87], v[100:101] offset1:1
	;; [unrolled: 2-line block ×3, first 2 shown]
	; wave barrier
	v_cmpx_lt_u32_e64 v10, v144
	s_cbranch_execz .LBB819_296
; %bb.293:
	v_lshlrev_b32_e32 v145, 3, v132
	v_lshlrev_b32_e32 v146, 3, v135
	s_mov_b32 s25, 0
	v_add3_u32 v145, v31, v145, v146
	.p2align	6
.LBB819_294:                            ; =>This Inner Loop Header: Depth=1
	v_add_nc_u32_e32 v146, v144, v10
	v_lshrrev_b32_e32 v161, 1, v146
	v_not_b32_e32 v146, v161
	v_lshl_add_u32 v147, v161, 3, v11
	v_lshl_add_u32 v148, v146, 3, v145
	ds_read_b64 v[146:147], v147
	ds_read_b64 v[148:149], v148
	s_waitcnt lgkmcnt(1)
	v_and_b32_e32 v147, v147, v160
	v_and_b32_e32 v146, v146, v151
	s_waitcnt lgkmcnt(0)
	v_and_b32_e32 v149, v149, v160
	v_and_b32_e32 v148, v148, v151
	v_cmp_gt_u64_e64 s23, v[146:147], v[148:149]
	v_add_nc_u32_e32 v146, 1, v161
	v_cndmask_b32_e64 v144, v144, v161, s23
	v_cndmask_b32_e64 v10, v146, v10, s23
	v_cmp_ge_u32_e64 s23, v10, v144
	s_or_b32 s25, s23, s25
	s_andn2_b32 exec_lo, exec_lo, s25
	s_cbranch_execnz .LBB819_294
; %bb.295:
	s_or_b32 exec_lo, exec_lo, s25
.LBB819_296:
	s_or_b32 exec_lo, exec_lo, s24
	v_add_nc_u32_e32 v135, v132, v135
	v_add_nc_u32_e32 v134, v10, v134
	v_sub_nc_u32_e32 v135, v135, v10
	v_cmp_le_u32_e64 s23, v134, v132
	v_cmp_le_u32_e64 s24, v135, v133
	s_or_b32 s23, s23, s24
	s_and_saveexec_b32 s26, s23
	s_cbranch_execz .LBB819_302
; %bb.297:
	v_cmp_lt_u32_e64 s23, v134, v132
                                        ; implicit-def: $vgpr8_vgpr9
	s_and_saveexec_b32 s24, s23
; %bb.298:
	v_lshl_add_u32 v0, v10, 3, v11
	ds_read_b64 v[8:9], v0
; %bb.299:
	s_or_b32 exec_lo, exec_lo, s24
	v_cmp_ge_u32_e64 s24, v135, v133
	s_mov_b32 s27, exec_lo
                                        ; implicit-def: $vgpr10_vgpr11
	v_cmpx_lt_u32_e64 v135, v133
; %bb.300:
	v_lshl_add_u32 v0, v135, 3, v31
	ds_read_b64 v[10:11], v0
; %bb.301:
	s_or_b32 exec_lo, exec_lo, s27
	s_waitcnt lgkmcnt(0)
	v_and_b32_e32 v1, v11, v160
	v_and_b32_e32 v0, v10, v151
	;; [unrolled: 1-line block ×4, first 2 shown]
	v_cmp_le_u64_e64 s25, v[4:5], v[0:1]
	s_and_b32 s23, s23, s25
	s_or_b32 s23, s24, s23
	v_cndmask_b32_e64 v15, v135, v134, s23
	v_cndmask_b32_e64 v16, v133, v132, s23
	;; [unrolled: 1-line block ×4, first 2 shown]
	v_lshl_add_u32 v4, v15, 3, v31
	v_add_nc_u32_e32 v17, 1, v15
	v_add_nc_u32_e32 v15, -1, v16
	ds_read_b64 v[4:5], v4 offset:32768
	v_cndmask_b32_e64 v22, v134, v17, s23
	v_min_u32_e32 v15, v17, v15
	v_cndmask_b32_e64 v21, v17, v135, s23
	v_cmp_lt_u32_e64 s24, v22, v132
	v_lshl_add_u32 v15, v15, 3, v31
	ds_read_b64 v[15:16], v15
	s_waitcnt lgkmcnt(0)
	v_cndmask_b32_e64 v19, v16, v11, s23
	v_cndmask_b32_e64 v20, v15, v10, s23
	;; [unrolled: 1-line block ×4, first 2 shown]
	v_cmp_ge_u32_e64 s23, v21, v133
	v_and_b32_e32 v9, v19, v160
	v_and_b32_e32 v8, v20, v151
	;; [unrolled: 1-line block ×4, first 2 shown]
	v_cmp_le_u64_e64 s25, v[10:11], v[8:9]
	s_and_b32 s24, s24, s25
	s_or_b32 s23, s23, s24
	v_cndmask_b32_e64 v10, v21, v22, s23
	v_cndmask_b32_e64 v11, v133, v132, s23
	;; [unrolled: 1-line block ×4, first 2 shown]
	v_lshl_add_u32 v17, v10, 3, v31
	v_add_nc_u32_e32 v23, 1, v10
	v_add_nc_u32_e32 v10, -1, v11
	ds_read_b64 v[17:18], v17 offset:32768
	v_cndmask_b32_e64 v28, v23, v21, s23
	v_min_u32_e32 v10, v23, v10
	v_cndmask_b32_e64 v23, v22, v23, s23
	v_lshl_add_u32 v10, v10, 3, v31
	v_cmp_lt_u32_e64 s24, v23, v132
	ds_read_b64 v[10:11], v10
	s_waitcnt lgkmcnt(0)
	v_cndmask_b32_e64 v24, v11, v19, s23
	v_cndmask_b32_e64 v25, v10, v20, s23
	v_cndmask_b32_e64 v26, v16, v11, s23
	v_cndmask_b32_e64 v27, v15, v10, s23
	v_cmp_ge_u32_e64 s23, v28, v133
	v_and_b32_e32 v11, v24, v160
	v_and_b32_e32 v10, v25, v151
	v_and_b32_e32 v16, v26, v160
	v_and_b32_e32 v15, v27, v151
	v_cmp_le_u64_e64 s25, v[15:16], v[10:11]
	s_and_b32 s24, s24, s25
	s_or_b32 s23, s23, s24
	v_cndmask_b32_e64 v10, v28, v23, s23
	v_cndmask_b32_e64 v11, v133, v132, s23
	v_cndmask_b32_e64 v19, v25, v27, s23
	v_cndmask_b32_e64 v20, v24, v26, s23
	v_lshl_add_u32 v15, v10, 3, v31
	ds_read_b64 v[21:22], v15 offset:32768
	v_add_nc_u32_e32 v15, 1, v10
	v_add_nc_u32_e32 v10, -1, v11
	v_cndmask_b32_e64 v28, v15, v28, s23
	v_min_u32_e32 v10, v15, v10
	v_cndmask_b32_e64 v33, v23, v15, s23
	v_lshl_add_u32 v10, v10, 3, v31
	v_cmp_lt_u32_e64 s24, v33, v132
	ds_read_b64 v[10:11], v10
	s_waitcnt lgkmcnt(0)
	v_cndmask_b32_e64 v29, v11, v24, s23
	v_cndmask_b32_e64 v30, v10, v25, s23
	v_cndmask_b32_e64 v32, v26, v11, s23
	v_cndmask_b32_e64 v27, v27, v10, s23
	v_cmp_ge_u32_e64 s23, v28, v133
	v_and_b32_e32 v11, v29, v160
	v_and_b32_e32 v10, v30, v151
	v_and_b32_e32 v16, v32, v160
	v_and_b32_e32 v15, v27, v151
	v_cmp_le_u64_e64 s25, v[15:16], v[10:11]
	s_and_b32 s24, s24, s25
	s_or_b32 s23, s23, s24
	v_cndmask_b32_e64 v10, v28, v33, s23
	v_cndmask_b32_e64 v11, v133, v132, s23
	v_cndmask_b32_e64 v24, v29, v32, s23
	v_cndmask_b32_e64 v23, v30, v27, s23
	v_lshl_add_u32 v15, v10, 3, v31
	ds_read_b64 v[25:26], v15 offset:32768
	v_add_nc_u32_e32 v15, 1, v10
	v_add_nc_u32_e32 v10, -1, v11
	;; [unrolled: 27-line block ×13, first 2 shown]
	v_cndmask_b32_e64 v145, v15, v145, s23
	v_min_u32_e32 v10, v15, v10
	v_cndmask_b32_e64 v113, v113, v15, s23
	v_lshl_add_u32 v10, v10, 3, v31
	v_cmp_lt_u32_e64 s24, v113, v132
	ds_read_b64 v[10:11], v10
	s_waitcnt lgkmcnt(0)
	v_cndmask_b32_e64 v134, v11, v134, s23
	v_cndmask_b32_e64 v135, v10, v135, s23
	;; [unrolled: 1-line block ×4, first 2 shown]
	v_cmp_ge_u32_e64 s23, v145, v133
	v_and_b32_e32 v11, v134, v160
	v_and_b32_e32 v10, v135, v151
	;; [unrolled: 1-line block ×4, first 2 shown]
	v_cmp_le_u64_e64 s25, v[15:16], v[10:11]
	s_and_b32 s24, s24, s25
	s_or_b32 s23, s23, s24
	v_cndmask_b32_e64 v10, v145, v113, s23
	v_cndmask_b32_e64 v16, v134, v112, s23
	;; [unrolled: 1-line block ×3, first 2 shown]
	v_lshl_add_u32 v10, v10, 3, v31
	ds_read_b64 v[112:113], v10 offset:32768
.LBB819_302:
	s_or_b32 exec_lo, exec_lo, s26
	v_and_b32_e32 v134, 0x1c0, v150
	v_and_b32_e32 v11, 48, v150
	s_mov_b32 s24, exec_lo
	; wave barrier
	v_or_b32_e32 v10, 32, v134
	v_min_u32_e32 v135, v115, v11
	ds_write2_b64 v114, v[0:1], v[8:9] offset1:1
	ds_write2_b64 v128, v[4:5], v[17:18] offset1:1
	ds_write2_b64 v114, v[19:20], v[23:24] offset0:2 offset1:3
	ds_write2_b64 v118, v[21:22], v[25:26] offset1:1
	ds_write2_b64 v114, v[27:28], v[32:33] offset0:4 offset1:5
	ds_write2_b64 v119, v[29:30], v[34:35] offset1:1
	ds_write2_b64 v114, v[36:37], v[48:49] offset0:6 offset1:7
	ds_write2_b64 v116, v[38:39], v[50:51] offset1:1
	v_min_u32_e32 v132, v115, v10
	ds_write2_b64 v114, v[52:53], v[64:65] offset0:8 offset1:9
	ds_write2_b64 v117, v[54:55], v[66:67] offset1:1
	ds_write2_b64 v114, v[70:71], v[98:99] offset0:10 offset1:11
	ds_write2_b64 v129, v[68:69], v[82:83] offset1:1
	;; [unrolled: 2-line block ×3, first 2 shown]
	ds_write2_b64 v114, v[102:103], v[15:16] offset0:14 offset1:15
	s_waitcnt lgkmcnt(15)
	ds_write2_b64 v131, v[84:85], v[112:113] offset1:1
	v_add_nc_u32_e32 v10, 32, v132
	v_sub_nc_u32_e32 v11, v132, v134
	; wave barrier
	v_min_u32_e32 v133, v115, v10
	v_min_u32_e32 v144, v135, v11
	v_lshl_add_u32 v11, v134, 3, v31
	v_sub_nc_u32_e32 v10, v133, v132
	v_sub_nc_u32_e64 v10, v135, v10 clamp
	v_cmpx_lt_u32_e64 v10, v144
	s_cbranch_execz .LBB819_306
; %bb.303:
	v_lshlrev_b32_e32 v145, 3, v132
	v_lshlrev_b32_e32 v146, 3, v135
	s_mov_b32 s25, 0
	v_add3_u32 v145, v31, v145, v146
	.p2align	6
.LBB819_304:                            ; =>This Inner Loop Header: Depth=1
	v_add_nc_u32_e32 v146, v144, v10
	v_lshrrev_b32_e32 v161, 1, v146
	v_not_b32_e32 v146, v161
	v_lshl_add_u32 v147, v161, 3, v11
	v_lshl_add_u32 v148, v146, 3, v145
	ds_read_b64 v[146:147], v147
	ds_read_b64 v[148:149], v148
	s_waitcnt lgkmcnt(1)
	v_and_b32_e32 v147, v147, v160
	v_and_b32_e32 v146, v146, v151
	s_waitcnt lgkmcnt(0)
	v_and_b32_e32 v149, v149, v160
	v_and_b32_e32 v148, v148, v151
	v_cmp_gt_u64_e64 s23, v[146:147], v[148:149]
	v_add_nc_u32_e32 v146, 1, v161
	v_cndmask_b32_e64 v144, v144, v161, s23
	v_cndmask_b32_e64 v10, v146, v10, s23
	v_cmp_ge_u32_e64 s23, v10, v144
	s_or_b32 s25, s23, s25
	s_andn2_b32 exec_lo, exec_lo, s25
	s_cbranch_execnz .LBB819_304
; %bb.305:
	s_or_b32 exec_lo, exec_lo, s25
.LBB819_306:
	s_or_b32 exec_lo, exec_lo, s24
	v_add_nc_u32_e32 v135, v132, v135
	v_add_nc_u32_e32 v134, v10, v134
	v_sub_nc_u32_e32 v135, v135, v10
	v_cmp_le_u32_e64 s23, v134, v132
	v_cmp_le_u32_e64 s24, v135, v133
	s_or_b32 s23, s23, s24
	s_and_saveexec_b32 s26, s23
	s_cbranch_execz .LBB819_312
; %bb.307:
	v_cmp_lt_u32_e64 s23, v134, v132
                                        ; implicit-def: $vgpr8_vgpr9
	s_and_saveexec_b32 s24, s23
; %bb.308:
	v_lshl_add_u32 v0, v10, 3, v11
	ds_read_b64 v[8:9], v0
; %bb.309:
	s_or_b32 exec_lo, exec_lo, s24
	v_cmp_ge_u32_e64 s24, v135, v133
	s_mov_b32 s27, exec_lo
                                        ; implicit-def: $vgpr10_vgpr11
	v_cmpx_lt_u32_e64 v135, v133
; %bb.310:
	v_lshl_add_u32 v0, v135, 3, v31
	ds_read_b64 v[10:11], v0
; %bb.311:
	s_or_b32 exec_lo, exec_lo, s27
	s_waitcnt lgkmcnt(0)
	v_and_b32_e32 v1, v11, v160
	v_and_b32_e32 v0, v10, v151
	;; [unrolled: 1-line block ×4, first 2 shown]
	v_cmp_le_u64_e64 s25, v[4:5], v[0:1]
	s_and_b32 s23, s23, s25
	s_or_b32 s23, s24, s23
	v_cndmask_b32_e64 v15, v135, v134, s23
	v_cndmask_b32_e64 v16, v133, v132, s23
	;; [unrolled: 1-line block ×4, first 2 shown]
	v_lshl_add_u32 v4, v15, 3, v31
	v_add_nc_u32_e32 v17, 1, v15
	v_add_nc_u32_e32 v15, -1, v16
	ds_read_b64 v[4:5], v4 offset:32768
	v_cndmask_b32_e64 v22, v134, v17, s23
	v_min_u32_e32 v15, v17, v15
	v_cndmask_b32_e64 v21, v17, v135, s23
	v_cmp_lt_u32_e64 s24, v22, v132
	v_lshl_add_u32 v15, v15, 3, v31
	ds_read_b64 v[15:16], v15
	s_waitcnt lgkmcnt(0)
	v_cndmask_b32_e64 v19, v16, v11, s23
	v_cndmask_b32_e64 v20, v15, v10, s23
	v_cndmask_b32_e64 v16, v9, v16, s23
	v_cndmask_b32_e64 v15, v8, v15, s23
	v_cmp_ge_u32_e64 s23, v21, v133
	v_and_b32_e32 v9, v19, v160
	v_and_b32_e32 v8, v20, v151
	v_and_b32_e32 v11, v16, v160
	v_and_b32_e32 v10, v15, v151
	v_cmp_le_u64_e64 s25, v[10:11], v[8:9]
	s_and_b32 s24, s24, s25
	s_or_b32 s23, s23, s24
	v_cndmask_b32_e64 v10, v21, v22, s23
	v_cndmask_b32_e64 v11, v133, v132, s23
	v_cndmask_b32_e64 v9, v19, v16, s23
	v_cndmask_b32_e64 v8, v20, v15, s23
	v_lshl_add_u32 v17, v10, 3, v31
	v_add_nc_u32_e32 v23, 1, v10
	v_add_nc_u32_e32 v10, -1, v11
	ds_read_b64 v[17:18], v17 offset:32768
	v_cndmask_b32_e64 v28, v23, v21, s23
	v_min_u32_e32 v10, v23, v10
	v_cndmask_b32_e64 v23, v22, v23, s23
	v_lshl_add_u32 v10, v10, 3, v31
	v_cmp_lt_u32_e64 s24, v23, v132
	ds_read_b64 v[10:11], v10
	s_waitcnt lgkmcnt(0)
	v_cndmask_b32_e64 v24, v11, v19, s23
	v_cndmask_b32_e64 v25, v10, v20, s23
	v_cndmask_b32_e64 v26, v16, v11, s23
	v_cndmask_b32_e64 v27, v15, v10, s23
	v_cmp_ge_u32_e64 s23, v28, v133
	v_and_b32_e32 v11, v24, v160
	v_and_b32_e32 v10, v25, v151
	v_and_b32_e32 v16, v26, v160
	v_and_b32_e32 v15, v27, v151
	v_cmp_le_u64_e64 s25, v[15:16], v[10:11]
	s_and_b32 s24, s24, s25
	s_or_b32 s23, s23, s24
	v_cndmask_b32_e64 v10, v28, v23, s23
	v_cndmask_b32_e64 v11, v133, v132, s23
	v_cndmask_b32_e64 v19, v25, v27, s23
	v_cndmask_b32_e64 v20, v24, v26, s23
	v_lshl_add_u32 v15, v10, 3, v31
	ds_read_b64 v[21:22], v15 offset:32768
	v_add_nc_u32_e32 v15, 1, v10
	v_add_nc_u32_e32 v10, -1, v11
	v_cndmask_b32_e64 v28, v15, v28, s23
	v_min_u32_e32 v10, v15, v10
	v_cndmask_b32_e64 v33, v23, v15, s23
	v_lshl_add_u32 v10, v10, 3, v31
	v_cmp_lt_u32_e64 s24, v33, v132
	ds_read_b64 v[10:11], v10
	s_waitcnt lgkmcnt(0)
	v_cndmask_b32_e64 v29, v11, v24, s23
	v_cndmask_b32_e64 v30, v10, v25, s23
	v_cndmask_b32_e64 v32, v26, v11, s23
	v_cndmask_b32_e64 v27, v27, v10, s23
	v_cmp_ge_u32_e64 s23, v28, v133
	v_and_b32_e32 v11, v29, v160
	v_and_b32_e32 v10, v30, v151
	v_and_b32_e32 v16, v32, v160
	v_and_b32_e32 v15, v27, v151
	v_cmp_le_u64_e64 s25, v[15:16], v[10:11]
	s_and_b32 s24, s24, s25
	s_or_b32 s23, s23, s24
	v_cndmask_b32_e64 v10, v28, v33, s23
	v_cndmask_b32_e64 v11, v133, v132, s23
	v_cndmask_b32_e64 v24, v29, v32, s23
	v_cndmask_b32_e64 v23, v30, v27, s23
	v_lshl_add_u32 v15, v10, 3, v31
	ds_read_b64 v[25:26], v15 offset:32768
	v_add_nc_u32_e32 v15, 1, v10
	v_add_nc_u32_e32 v10, -1, v11
	;; [unrolled: 27-line block ×13, first 2 shown]
	v_cndmask_b32_e64 v145, v15, v145, s23
	v_min_u32_e32 v10, v15, v10
	v_cndmask_b32_e64 v113, v113, v15, s23
	v_lshl_add_u32 v10, v10, 3, v31
	v_cmp_lt_u32_e64 s24, v113, v132
	ds_read_b64 v[10:11], v10
	s_waitcnt lgkmcnt(0)
	v_cndmask_b32_e64 v134, v11, v134, s23
	v_cndmask_b32_e64 v135, v10, v135, s23
	;; [unrolled: 1-line block ×4, first 2 shown]
	v_cmp_ge_u32_e64 s23, v145, v133
	v_and_b32_e32 v11, v134, v160
	v_and_b32_e32 v10, v135, v151
	;; [unrolled: 1-line block ×4, first 2 shown]
	v_cmp_le_u64_e64 s25, v[15:16], v[10:11]
	s_and_b32 s24, s24, s25
	s_or_b32 s23, s23, s24
	v_cndmask_b32_e64 v10, v145, v113, s23
	v_cndmask_b32_e64 v16, v134, v112, s23
	;; [unrolled: 1-line block ×3, first 2 shown]
	v_lshl_add_u32 v10, v10, 3, v31
	ds_read_b64 v[112:113], v10 offset:32768
.LBB819_312:
	s_or_b32 exec_lo, exec_lo, s26
	v_and_b32_e32 v134, 0x180, v150
	v_and_b32_e32 v11, 0x70, v150
	s_mov_b32 s24, exec_lo
	; wave barrier
	v_or_b32_e32 v10, 64, v134
	v_min_u32_e32 v135, v115, v11
	ds_write2_b64 v114, v[0:1], v[8:9] offset1:1
	ds_write2_b64 v128, v[4:5], v[17:18] offset1:1
	ds_write2_b64 v114, v[19:20], v[23:24] offset0:2 offset1:3
	ds_write2_b64 v118, v[21:22], v[25:26] offset1:1
	ds_write2_b64 v114, v[27:28], v[32:33] offset0:4 offset1:5
	;; [unrolled: 2-line block ×3, first 2 shown]
	ds_write2_b64 v116, v[38:39], v[50:51] offset1:1
	v_min_u32_e32 v132, v115, v10
	ds_write2_b64 v114, v[52:53], v[64:65] offset0:8 offset1:9
	ds_write2_b64 v117, v[54:55], v[66:67] offset1:1
	ds_write2_b64 v114, v[70:71], v[98:99] offset0:10 offset1:11
	ds_write2_b64 v129, v[68:69], v[82:83] offset1:1
	;; [unrolled: 2-line block ×3, first 2 shown]
	ds_write2_b64 v114, v[102:103], v[15:16] offset0:14 offset1:15
	s_waitcnt lgkmcnt(15)
	ds_write2_b64 v131, v[84:85], v[112:113] offset1:1
	v_add_nc_u32_e32 v10, 64, v132
	v_sub_nc_u32_e32 v11, v132, v134
	; wave barrier
	v_min_u32_e32 v133, v115, v10
	v_min_u32_e32 v144, v135, v11
	v_lshl_add_u32 v11, v134, 3, v31
	v_sub_nc_u32_e32 v10, v133, v132
	v_sub_nc_u32_e64 v10, v135, v10 clamp
	v_cmpx_lt_u32_e64 v10, v144
	s_cbranch_execz .LBB819_316
; %bb.313:
	v_lshlrev_b32_e32 v145, 3, v132
	v_lshlrev_b32_e32 v146, 3, v135
	s_mov_b32 s25, 0
	v_add3_u32 v145, v31, v145, v146
	.p2align	6
.LBB819_314:                            ; =>This Inner Loop Header: Depth=1
	v_add_nc_u32_e32 v146, v144, v10
	v_lshrrev_b32_e32 v161, 1, v146
	v_not_b32_e32 v146, v161
	v_lshl_add_u32 v147, v161, 3, v11
	v_lshl_add_u32 v148, v146, 3, v145
	ds_read_b64 v[146:147], v147
	ds_read_b64 v[148:149], v148
	s_waitcnt lgkmcnt(1)
	v_and_b32_e32 v147, v147, v160
	v_and_b32_e32 v146, v146, v151
	s_waitcnt lgkmcnt(0)
	v_and_b32_e32 v149, v149, v160
	v_and_b32_e32 v148, v148, v151
	v_cmp_gt_u64_e64 s23, v[146:147], v[148:149]
	v_add_nc_u32_e32 v146, 1, v161
	v_cndmask_b32_e64 v144, v144, v161, s23
	v_cndmask_b32_e64 v10, v146, v10, s23
	v_cmp_ge_u32_e64 s23, v10, v144
	s_or_b32 s25, s23, s25
	s_andn2_b32 exec_lo, exec_lo, s25
	s_cbranch_execnz .LBB819_314
; %bb.315:
	s_or_b32 exec_lo, exec_lo, s25
.LBB819_316:
	s_or_b32 exec_lo, exec_lo, s24
	v_add_nc_u32_e32 v135, v132, v135
	v_add_nc_u32_e32 v134, v10, v134
	v_sub_nc_u32_e32 v135, v135, v10
	v_cmp_le_u32_e64 s23, v134, v132
	v_cmp_le_u32_e64 s24, v135, v133
	s_or_b32 s23, s23, s24
	s_and_saveexec_b32 s26, s23
	s_cbranch_execz .LBB819_322
; %bb.317:
	v_cmp_lt_u32_e64 s23, v134, v132
                                        ; implicit-def: $vgpr8_vgpr9
	s_and_saveexec_b32 s24, s23
; %bb.318:
	v_lshl_add_u32 v0, v10, 3, v11
	ds_read_b64 v[8:9], v0
; %bb.319:
	s_or_b32 exec_lo, exec_lo, s24
	v_cmp_ge_u32_e64 s24, v135, v133
	s_mov_b32 s27, exec_lo
                                        ; implicit-def: $vgpr10_vgpr11
	v_cmpx_lt_u32_e64 v135, v133
; %bb.320:
	v_lshl_add_u32 v0, v135, 3, v31
	ds_read_b64 v[10:11], v0
; %bb.321:
	s_or_b32 exec_lo, exec_lo, s27
	s_waitcnt lgkmcnt(0)
	v_and_b32_e32 v1, v11, v160
	v_and_b32_e32 v0, v10, v151
	;; [unrolled: 1-line block ×4, first 2 shown]
	v_cmp_le_u64_e64 s25, v[4:5], v[0:1]
	s_and_b32 s23, s23, s25
	s_or_b32 s23, s24, s23
	v_cndmask_b32_e64 v15, v135, v134, s23
	v_cndmask_b32_e64 v16, v133, v132, s23
	;; [unrolled: 1-line block ×4, first 2 shown]
	v_lshl_add_u32 v4, v15, 3, v31
	v_add_nc_u32_e32 v17, 1, v15
	v_add_nc_u32_e32 v15, -1, v16
	ds_read_b64 v[4:5], v4 offset:32768
	v_cndmask_b32_e64 v22, v134, v17, s23
	v_min_u32_e32 v15, v17, v15
	v_cndmask_b32_e64 v21, v17, v135, s23
	v_cmp_lt_u32_e64 s24, v22, v132
	v_lshl_add_u32 v15, v15, 3, v31
	ds_read_b64 v[15:16], v15
	s_waitcnt lgkmcnt(0)
	v_cndmask_b32_e64 v19, v16, v11, s23
	v_cndmask_b32_e64 v20, v15, v10, s23
	;; [unrolled: 1-line block ×4, first 2 shown]
	v_cmp_ge_u32_e64 s23, v21, v133
	v_and_b32_e32 v9, v19, v160
	v_and_b32_e32 v8, v20, v151
	;; [unrolled: 1-line block ×4, first 2 shown]
	v_cmp_le_u64_e64 s25, v[10:11], v[8:9]
	s_and_b32 s24, s24, s25
	s_or_b32 s23, s23, s24
	v_cndmask_b32_e64 v10, v21, v22, s23
	v_cndmask_b32_e64 v11, v133, v132, s23
	;; [unrolled: 1-line block ×4, first 2 shown]
	v_lshl_add_u32 v17, v10, 3, v31
	v_add_nc_u32_e32 v23, 1, v10
	v_add_nc_u32_e32 v10, -1, v11
	ds_read_b64 v[17:18], v17 offset:32768
	v_cndmask_b32_e64 v28, v23, v21, s23
	v_min_u32_e32 v10, v23, v10
	v_cndmask_b32_e64 v23, v22, v23, s23
	v_lshl_add_u32 v10, v10, 3, v31
	v_cmp_lt_u32_e64 s24, v23, v132
	ds_read_b64 v[10:11], v10
	s_waitcnt lgkmcnt(0)
	v_cndmask_b32_e64 v24, v11, v19, s23
	v_cndmask_b32_e64 v25, v10, v20, s23
	v_cndmask_b32_e64 v26, v16, v11, s23
	v_cndmask_b32_e64 v27, v15, v10, s23
	v_cmp_ge_u32_e64 s23, v28, v133
	v_and_b32_e32 v11, v24, v160
	v_and_b32_e32 v10, v25, v151
	v_and_b32_e32 v16, v26, v160
	v_and_b32_e32 v15, v27, v151
	v_cmp_le_u64_e64 s25, v[15:16], v[10:11]
	s_and_b32 s24, s24, s25
	s_or_b32 s23, s23, s24
	v_cndmask_b32_e64 v10, v28, v23, s23
	v_cndmask_b32_e64 v11, v133, v132, s23
	v_cndmask_b32_e64 v19, v25, v27, s23
	v_cndmask_b32_e64 v20, v24, v26, s23
	v_lshl_add_u32 v15, v10, 3, v31
	ds_read_b64 v[21:22], v15 offset:32768
	v_add_nc_u32_e32 v15, 1, v10
	v_add_nc_u32_e32 v10, -1, v11
	v_cndmask_b32_e64 v28, v15, v28, s23
	v_min_u32_e32 v10, v15, v10
	v_cndmask_b32_e64 v33, v23, v15, s23
	v_lshl_add_u32 v10, v10, 3, v31
	v_cmp_lt_u32_e64 s24, v33, v132
	ds_read_b64 v[10:11], v10
	s_waitcnt lgkmcnt(0)
	v_cndmask_b32_e64 v29, v11, v24, s23
	v_cndmask_b32_e64 v30, v10, v25, s23
	v_cndmask_b32_e64 v32, v26, v11, s23
	v_cndmask_b32_e64 v27, v27, v10, s23
	v_cmp_ge_u32_e64 s23, v28, v133
	v_and_b32_e32 v11, v29, v160
	v_and_b32_e32 v10, v30, v151
	v_and_b32_e32 v16, v32, v160
	v_and_b32_e32 v15, v27, v151
	v_cmp_le_u64_e64 s25, v[15:16], v[10:11]
	s_and_b32 s24, s24, s25
	s_or_b32 s23, s23, s24
	v_cndmask_b32_e64 v10, v28, v33, s23
	v_cndmask_b32_e64 v11, v133, v132, s23
	v_cndmask_b32_e64 v24, v29, v32, s23
	v_cndmask_b32_e64 v23, v30, v27, s23
	v_lshl_add_u32 v15, v10, 3, v31
	ds_read_b64 v[25:26], v15 offset:32768
	v_add_nc_u32_e32 v15, 1, v10
	v_add_nc_u32_e32 v10, -1, v11
	;; [unrolled: 27-line block ×13, first 2 shown]
	v_cndmask_b32_e64 v145, v15, v145, s23
	v_min_u32_e32 v10, v15, v10
	v_cndmask_b32_e64 v113, v113, v15, s23
	v_lshl_add_u32 v10, v10, 3, v31
	v_cmp_lt_u32_e64 s24, v113, v132
	ds_read_b64 v[10:11], v10
	s_waitcnt lgkmcnt(0)
	v_cndmask_b32_e64 v134, v11, v134, s23
	v_cndmask_b32_e64 v135, v10, v135, s23
	v_cndmask_b32_e64 v112, v112, v11, s23
	v_cndmask_b32_e64 v144, v144, v10, s23
	v_cmp_ge_u32_e64 s23, v145, v133
	v_and_b32_e32 v11, v134, v160
	v_and_b32_e32 v10, v135, v151
	;; [unrolled: 1-line block ×4, first 2 shown]
	v_cmp_le_u64_e64 s25, v[15:16], v[10:11]
	s_and_b32 s24, s24, s25
	s_or_b32 s23, s23, s24
	v_cndmask_b32_e64 v10, v145, v113, s23
	v_cndmask_b32_e64 v16, v134, v112, s23
	;; [unrolled: 1-line block ×3, first 2 shown]
	v_lshl_add_u32 v10, v10, 3, v31
	ds_read_b64 v[112:113], v10 offset:32768
.LBB819_322:
	s_or_b32 exec_lo, exec_lo, s26
	v_and_b32_e32 v134, 0x100, v150
	v_and_b32_e32 v11, 0xf0, v150
	s_mov_b32 s24, exec_lo
	; wave barrier
	v_or_b32_e32 v10, 0x80, v134
	v_min_u32_e32 v135, v115, v11
	ds_write2_b64 v114, v[0:1], v[8:9] offset1:1
	ds_write2_b64 v128, v[4:5], v[17:18] offset1:1
	ds_write2_b64 v114, v[19:20], v[23:24] offset0:2 offset1:3
	ds_write2_b64 v118, v[21:22], v[25:26] offset1:1
	ds_write2_b64 v114, v[27:28], v[32:33] offset0:4 offset1:5
	;; [unrolled: 2-line block ×3, first 2 shown]
	ds_write2_b64 v116, v[38:39], v[50:51] offset1:1
	v_min_u32_e32 v132, v115, v10
	ds_write2_b64 v114, v[52:53], v[64:65] offset0:8 offset1:9
	ds_write2_b64 v117, v[54:55], v[66:67] offset1:1
	ds_write2_b64 v114, v[70:71], v[98:99] offset0:10 offset1:11
	ds_write2_b64 v129, v[68:69], v[82:83] offset1:1
	;; [unrolled: 2-line block ×3, first 2 shown]
	ds_write2_b64 v114, v[102:103], v[15:16] offset0:14 offset1:15
	s_waitcnt lgkmcnt(15)
	ds_write2_b64 v131, v[84:85], v[112:113] offset1:1
	v_add_nc_u32_e32 v10, 0x80, v132
	v_sub_nc_u32_e32 v11, v132, v134
	; wave barrier
	v_min_u32_e32 v133, v115, v10
	v_min_u32_e32 v144, v135, v11
	v_lshl_add_u32 v11, v134, 3, v31
	v_sub_nc_u32_e32 v10, v133, v132
	v_sub_nc_u32_e64 v10, v135, v10 clamp
	v_cmpx_lt_u32_e64 v10, v144
	s_cbranch_execz .LBB819_326
; %bb.323:
	v_lshlrev_b32_e32 v145, 3, v132
	v_lshlrev_b32_e32 v146, 3, v135
	s_mov_b32 s25, 0
	v_add3_u32 v145, v31, v145, v146
	.p2align	6
.LBB819_324:                            ; =>This Inner Loop Header: Depth=1
	v_add_nc_u32_e32 v146, v144, v10
	v_lshrrev_b32_e32 v161, 1, v146
	v_not_b32_e32 v146, v161
	v_lshl_add_u32 v147, v161, 3, v11
	v_lshl_add_u32 v148, v146, 3, v145
	ds_read_b64 v[146:147], v147
	ds_read_b64 v[148:149], v148
	s_waitcnt lgkmcnt(1)
	v_and_b32_e32 v147, v147, v160
	v_and_b32_e32 v146, v146, v151
	s_waitcnt lgkmcnt(0)
	v_and_b32_e32 v149, v149, v160
	v_and_b32_e32 v148, v148, v151
	v_cmp_gt_u64_e64 s23, v[146:147], v[148:149]
	v_add_nc_u32_e32 v146, 1, v161
	v_cndmask_b32_e64 v144, v144, v161, s23
	v_cndmask_b32_e64 v10, v146, v10, s23
	v_cmp_ge_u32_e64 s23, v10, v144
	s_or_b32 s25, s23, s25
	s_andn2_b32 exec_lo, exec_lo, s25
	s_cbranch_execnz .LBB819_324
; %bb.325:
	s_or_b32 exec_lo, exec_lo, s25
.LBB819_326:
	s_or_b32 exec_lo, exec_lo, s24
	v_add_nc_u32_e32 v135, v132, v135
	v_add_nc_u32_e32 v134, v10, v134
	v_sub_nc_u32_e32 v135, v135, v10
	v_cmp_le_u32_e64 s23, v134, v132
	v_cmp_le_u32_e64 s24, v135, v133
	s_or_b32 s23, s23, s24
	s_and_saveexec_b32 s26, s23
	s_cbranch_execz .LBB819_332
; %bb.327:
	v_cmp_lt_u32_e64 s23, v134, v132
                                        ; implicit-def: $vgpr8_vgpr9
	s_and_saveexec_b32 s24, s23
; %bb.328:
	v_lshl_add_u32 v0, v10, 3, v11
	ds_read_b64 v[8:9], v0
; %bb.329:
	s_or_b32 exec_lo, exec_lo, s24
	v_cmp_ge_u32_e64 s24, v135, v133
	s_mov_b32 s27, exec_lo
                                        ; implicit-def: $vgpr10_vgpr11
	v_cmpx_lt_u32_e64 v135, v133
; %bb.330:
	v_lshl_add_u32 v0, v135, 3, v31
	ds_read_b64 v[10:11], v0
; %bb.331:
	s_or_b32 exec_lo, exec_lo, s27
	s_waitcnt lgkmcnt(0)
	v_and_b32_e32 v1, v11, v160
	v_and_b32_e32 v0, v10, v151
	;; [unrolled: 1-line block ×4, first 2 shown]
	v_cmp_le_u64_e64 s25, v[4:5], v[0:1]
	s_and_b32 s23, s23, s25
	s_or_b32 s23, s24, s23
	v_cndmask_b32_e64 v15, v135, v134, s23
	v_cndmask_b32_e64 v16, v133, v132, s23
	v_cndmask_b32_e64 v1, v11, v9, s23
	v_cndmask_b32_e64 v0, v10, v8, s23
	v_lshl_add_u32 v4, v15, 3, v31
	v_add_nc_u32_e32 v17, 1, v15
	v_add_nc_u32_e32 v15, -1, v16
	ds_read_b64 v[4:5], v4 offset:32768
	v_cndmask_b32_e64 v22, v134, v17, s23
	v_min_u32_e32 v15, v17, v15
	v_cndmask_b32_e64 v21, v17, v135, s23
	v_cmp_lt_u32_e64 s24, v22, v132
	v_lshl_add_u32 v15, v15, 3, v31
	ds_read_b64 v[15:16], v15
	s_waitcnt lgkmcnt(0)
	v_cndmask_b32_e64 v19, v16, v11, s23
	v_cndmask_b32_e64 v20, v15, v10, s23
	;; [unrolled: 1-line block ×4, first 2 shown]
	v_cmp_ge_u32_e64 s23, v21, v133
	v_and_b32_e32 v9, v19, v160
	v_and_b32_e32 v8, v20, v151
	;; [unrolled: 1-line block ×4, first 2 shown]
	v_cmp_le_u64_e64 s25, v[10:11], v[8:9]
	s_and_b32 s24, s24, s25
	s_or_b32 s23, s23, s24
	v_cndmask_b32_e64 v10, v21, v22, s23
	v_cndmask_b32_e64 v11, v133, v132, s23
	;; [unrolled: 1-line block ×4, first 2 shown]
	v_lshl_add_u32 v17, v10, 3, v31
	v_add_nc_u32_e32 v23, 1, v10
	v_add_nc_u32_e32 v10, -1, v11
	ds_read_b64 v[17:18], v17 offset:32768
	v_cndmask_b32_e64 v28, v23, v21, s23
	v_min_u32_e32 v10, v23, v10
	v_cndmask_b32_e64 v23, v22, v23, s23
	v_lshl_add_u32 v10, v10, 3, v31
	v_cmp_lt_u32_e64 s24, v23, v132
	ds_read_b64 v[10:11], v10
	s_waitcnt lgkmcnt(0)
	v_cndmask_b32_e64 v24, v11, v19, s23
	v_cndmask_b32_e64 v25, v10, v20, s23
	v_cndmask_b32_e64 v26, v16, v11, s23
	v_cndmask_b32_e64 v27, v15, v10, s23
	v_cmp_ge_u32_e64 s23, v28, v133
	v_and_b32_e32 v11, v24, v160
	v_and_b32_e32 v10, v25, v151
	v_and_b32_e32 v16, v26, v160
	v_and_b32_e32 v15, v27, v151
	v_cmp_le_u64_e64 s25, v[15:16], v[10:11]
	s_and_b32 s24, s24, s25
	s_or_b32 s23, s23, s24
	v_cndmask_b32_e64 v10, v28, v23, s23
	v_cndmask_b32_e64 v11, v133, v132, s23
	v_cndmask_b32_e64 v19, v25, v27, s23
	v_cndmask_b32_e64 v20, v24, v26, s23
	v_lshl_add_u32 v15, v10, 3, v31
	ds_read_b64 v[21:22], v15 offset:32768
	v_add_nc_u32_e32 v15, 1, v10
	v_add_nc_u32_e32 v10, -1, v11
	v_cndmask_b32_e64 v28, v15, v28, s23
	v_min_u32_e32 v10, v15, v10
	v_cndmask_b32_e64 v33, v23, v15, s23
	v_lshl_add_u32 v10, v10, 3, v31
	v_cmp_lt_u32_e64 s24, v33, v132
	ds_read_b64 v[10:11], v10
	s_waitcnt lgkmcnt(0)
	v_cndmask_b32_e64 v29, v11, v24, s23
	v_cndmask_b32_e64 v30, v10, v25, s23
	v_cndmask_b32_e64 v32, v26, v11, s23
	v_cndmask_b32_e64 v27, v27, v10, s23
	v_cmp_ge_u32_e64 s23, v28, v133
	v_and_b32_e32 v11, v29, v160
	v_and_b32_e32 v10, v30, v151
	v_and_b32_e32 v16, v32, v160
	v_and_b32_e32 v15, v27, v151
	v_cmp_le_u64_e64 s25, v[15:16], v[10:11]
	s_and_b32 s24, s24, s25
	s_or_b32 s23, s23, s24
	v_cndmask_b32_e64 v10, v28, v33, s23
	v_cndmask_b32_e64 v11, v133, v132, s23
	v_cndmask_b32_e64 v24, v29, v32, s23
	v_cndmask_b32_e64 v23, v30, v27, s23
	v_lshl_add_u32 v15, v10, 3, v31
	ds_read_b64 v[25:26], v15 offset:32768
	v_add_nc_u32_e32 v15, 1, v10
	v_add_nc_u32_e32 v10, -1, v11
	;; [unrolled: 27-line block ×13, first 2 shown]
	v_cndmask_b32_e64 v145, v15, v145, s23
	v_min_u32_e32 v10, v15, v10
	v_cndmask_b32_e64 v113, v113, v15, s23
	v_lshl_add_u32 v10, v10, 3, v31
	v_cmp_lt_u32_e64 s24, v113, v132
	ds_read_b64 v[10:11], v10
	s_waitcnt lgkmcnt(0)
	v_cndmask_b32_e64 v134, v11, v134, s23
	v_cndmask_b32_e64 v135, v10, v135, s23
	;; [unrolled: 1-line block ×4, first 2 shown]
	v_cmp_ge_u32_e64 s23, v145, v133
	v_and_b32_e32 v11, v134, v160
	v_and_b32_e32 v10, v135, v151
	;; [unrolled: 1-line block ×4, first 2 shown]
	v_cmp_le_u64_e64 s25, v[15:16], v[10:11]
	s_and_b32 s24, s24, s25
	s_or_b32 s23, s23, s24
	v_cndmask_b32_e64 v10, v145, v113, s23
	v_cndmask_b32_e64 v16, v134, v112, s23
	;; [unrolled: 1-line block ×3, first 2 shown]
	v_lshl_add_u32 v10, v10, 3, v31
	ds_read_b64 v[112:113], v10 offset:32768
.LBB819_332:
	s_or_b32 exec_lo, exec_lo, s26
	v_min_u32_e32 v10, 0x100, v115
	; wave barrier
	ds_write2_b64 v114, v[0:1], v[8:9] offset1:1
	ds_write2_b64 v128, v[4:5], v[17:18] offset1:1
	ds_write2_b64 v114, v[19:20], v[23:24] offset0:2 offset1:3
	ds_write2_b64 v118, v[21:22], v[25:26] offset1:1
	ds_write2_b64 v114, v[27:28], v[32:33] offset0:4 offset1:5
	ds_write2_b64 v119, v[29:30], v[34:35] offset1:1
	v_add_nc_u32_e32 v11, 0x100, v10
	v_min_u32_e32 v118, v115, v150
	ds_write2_b64 v114, v[36:37], v[48:49] offset0:6 offset1:7
	ds_write2_b64 v116, v[38:39], v[50:51] offset1:1
	ds_write2_b64 v114, v[52:53], v[64:65] offset0:8 offset1:9
	ds_write2_b64 v117, v[54:55], v[66:67] offset1:1
	s_mov_b32 s24, exec_lo
	ds_write2_b64 v114, v[70:71], v[98:99] offset0:10 offset1:11
	ds_write2_b64 v129, v[68:69], v[82:83] offset1:1
	ds_write2_b64 v114, v[96:97], v[80:81] offset0:12 offset1:13
	ds_write2_b64 v130, v[86:87], v[100:101] offset1:1
	ds_write2_b64 v114, v[102:103], v[15:16] offset0:14 offset1:15
	s_waitcnt lgkmcnt(15)
	ds_write2_b64 v131, v[84:85], v[112:113] offset1:1
	v_min_u32_e32 v11, v115, v11
	v_min_u32_e32 v116, v118, v10
	; wave barrier
	v_sub_nc_u32_e32 v115, v11, v10
	v_sub_nc_u32_e64 v115, v118, v115 clamp
	v_cmpx_lt_u32_e64 v115, v116
	s_cbranch_execz .LBB819_336
; %bb.333:
	v_lshlrev_b32_e32 v114, 3, v10
	v_lshlrev_b32_e32 v117, 3, v118
	s_mov_b32 s25, 0
	v_add3_u32 v114, v31, v114, v117
	.p2align	6
.LBB819_334:                            ; =>This Inner Loop Header: Depth=1
	v_add_nc_u32_e32 v117, v116, v115
	v_lshrrev_b32_e32 v117, 1, v117
	v_not_b32_e32 v119, v117
	v_lshl_add_u32 v128, v117, 3, v31
	v_lshl_add_u32 v119, v119, 3, v114
	ds_read_b64 v[128:129], v128
	ds_read_b64 v[130:131], v119
	v_add_nc_u32_e32 v119, 1, v117
	s_waitcnt lgkmcnt(1)
	v_and_b32_e32 v129, v129, v160
	v_and_b32_e32 v128, v128, v151
	s_waitcnt lgkmcnt(0)
	v_and_b32_e32 v131, v131, v160
	v_and_b32_e32 v130, v130, v151
	v_cmp_gt_u64_e64 s23, v[128:129], v[130:131]
	v_cndmask_b32_e64 v116, v116, v117, s23
	v_cndmask_b32_e64 v115, v119, v115, s23
	v_cmp_ge_u32_e64 s23, v115, v116
	s_or_b32 s25, s23, s25
	s_andn2_b32 exec_lo, exec_lo, s25
	s_cbranch_execnz .LBB819_334
; %bb.335:
	s_or_b32 exec_lo, exec_lo, s25
.LBB819_336:
	s_or_b32 exec_lo, exec_lo, s24
	v_add_nc_u32_e32 v114, v10, v118
	v_cmp_le_u32_e64 s23, v115, v10
	v_sub_nc_u32_e32 v114, v114, v115
	v_cmp_le_u32_e64 s24, v114, v11
	s_or_b32 s23, s23, s24
	s_and_saveexec_b32 s59, s23
	s_cbranch_execz .LBB819_342
; %bb.337:
	v_cmp_lt_u32_e64 s23, v115, v10
                                        ; implicit-def: $vgpr0_vgpr1
	s_and_saveexec_b32 s24, s23
; %bb.338:
	v_lshl_add_u32 v0, v115, 3, v31
	ds_read_b64 v[0:1], v0
; %bb.339:
	s_or_b32 exec_lo, exec_lo, s24
	v_cmp_ge_u32_e64 s24, v114, v11
	s_mov_b32 s26, exec_lo
                                        ; implicit-def: $vgpr8_vgpr9
	v_cmpx_lt_u32_e64 v114, v11
; %bb.340:
	v_lshl_add_u32 v4, v114, 3, v31
	ds_read_b64 v[8:9], v4
; %bb.341:
	s_or_b32 exec_lo, exec_lo, s26
	s_waitcnt lgkmcnt(0)
	v_and_b32_e32 v5, v9, v160
	v_and_b32_e32 v4, v8, v151
	;; [unrolled: 1-line block ×4, first 2 shown]
	v_cmp_le_u64_e64 s25, v[15:16], v[4:5]
	s_and_b32 s23, s23, s25
	s_or_b32 s23, s24, s23
	v_cndmask_b32_e64 v4, v114, v115, s23
	v_cndmask_b32_e64 v5, v11, v10, s23
	v_add_nc_u32_e32 v23, 1, v4
	v_add_nc_u32_e32 v5, -1, v5
	v_lshl_add_u32 v4, v4, 3, v31
	v_cndmask_b32_e64 v25, v23, v114, s23
	v_min_u32_e32 v5, v23, v5
	v_cmp_ge_u32_e64 s26, v25, v11
	v_lshl_add_u32 v5, v5, 3, v31
	ds_read_b64 v[16:17], v5
	v_cndmask_b32_e64 v5, v115, v23, s23
	v_cmp_lt_u32_e64 s25, v5, v10
	s_waitcnt lgkmcnt(0)
	v_cndmask_b32_e64 v19, v17, v9, s23
	v_cndmask_b32_e64 v15, v16, v8, s23
	;; [unrolled: 1-line block ×5, first 2 shown]
	v_and_b32_e32 v18, v19, v160
	v_and_b32_e32 v17, v15, v151
	;; [unrolled: 1-line block ×4, first 2 shown]
	v_cndmask_b32_e64 v1, v9, v1, s23
	v_cmp_le_u64_e64 s24, v[21:22], v[17:18]
	s_and_b32 s24, s25, s24
	s_or_b32 s24, s26, s24
	v_cndmask_b32_e64 v26, v25, v5, s24
	v_cndmask_b32_e64 v17, v11, v10, s24
	v_cndmask_b32_e64 v8, v15, v16, s24
	v_cndmask_b32_e64 v9, v19, v20, s24
	v_add_nc_u32_e32 v29, 1, v26
	v_add_nc_u32_e32 v17, -1, v17
	v_cndmask_b32_e64 v5, v5, v29, s24
	v_min_u32_e32 v17, v29, v17
	v_cndmask_b32_e64 v25, v29, v25, s24
	v_cmp_lt_u32_e64 s26, v5, v10
	v_lshl_add_u32 v17, v17, 3, v31
	v_cmp_ge_u32_e64 s27, v25, v11
	ds_read_b64 v[17:18], v17
	s_waitcnt lgkmcnt(0)
	v_cndmask_b32_e64 v27, v18, v19, s24
	v_cndmask_b32_e64 v23, v17, v15, s24
	v_cndmask_b32_e64 v28, v20, v18, s24
	v_cndmask_b32_e64 v24, v16, v17, s24
	v_and_b32_e32 v18, v27, v160
	v_and_b32_e32 v17, v23, v151
	v_and_b32_e32 v22, v28, v160
	v_and_b32_e32 v21, v24, v151
	v_cmp_le_u64_e64 s25, v[21:22], v[17:18]
	s_and_b32 s25, s26, s25
	s_or_b32 s25, s27, s25
	v_cndmask_b32_e64 v29, v25, v5, s25
	v_cndmask_b32_e64 v17, v11, v10, s25
	v_cndmask_b32_e64 v20, v27, v28, s25
	v_cndmask_b32_e64 v19, v23, v24, s25
	v_add_nc_u32_e32 v30, 1, v29
	v_add_nc_u32_e32 v17, -1, v17
	v_cndmask_b32_e64 v5, v5, v30, s25
	v_min_u32_e32 v17, v30, v17
	v_cndmask_b32_e64 v25, v30, v25, s25
	v_cmp_lt_u32_e64 s27, v5, v10
	v_lshl_add_u32 v17, v17, 3, v31
	v_cmp_ge_u32_e64 s28, v25, v11
	ds_read_b64 v[17:18], v17
	s_waitcnt lgkmcnt(0)
	v_cndmask_b32_e64 v48, v18, v27, s25
	v_cndmask_b32_e64 v49, v17, v23, s25
	v_cndmask_b32_e64 v52, v28, v18, s25
	v_cndmask_b32_e64 v53, v24, v17, s25
	v_and_b32_e32 v18, v48, v160
	v_and_b32_e32 v17, v49, v151
	v_and_b32_e32 v22, v52, v160
	v_and_b32_e32 v21, v53, v151
	;; [unrolled: 25-line block ×4, first 2 shown]
	v_cmp_le_u64_e64 s28, v[21:22], v[17:18]
	s_and_b32 s28, s29, s28
	s_or_b32 s28, s40, s28
	v_cndmask_b32_e64 v33, v25, v5, s28
	v_cndmask_b32_e64 v17, v11, v10, s28
	v_add_nc_u32_e32 v34, 1, v33
	v_add_nc_u32_e32 v17, -1, v17
	v_cndmask_b32_e64 v5, v5, v34, s28
	v_min_u32_e32 v17, v34, v17
	v_cndmask_b32_e64 v25, v34, v25, s28
	v_cmp_lt_u32_e64 s40, v5, v10
	v_lshl_add_u32 v17, v17, 3, v31
	v_cmp_ge_u32_e64 s41, v25, v11
	ds_read_b64 v[17:18], v17
	s_waitcnt lgkmcnt(0)
	v_cndmask_b32_e64 v98, v18, v80, s28
	v_cndmask_b32_e64 v99, v17, v81, s28
	;; [unrolled: 1-line block ×4, first 2 shown]
	v_and_b32_e32 v18, v98, v160
	v_and_b32_e32 v17, v99, v151
	;; [unrolled: 1-line block ×4, first 2 shown]
	v_cmp_le_u64_e64 s29, v[21:22], v[17:18]
	s_and_b32 s29, s40, s29
	s_or_b32 s29, s41, s29
	v_cndmask_b32_e64 v34, v25, v5, s29
	v_cndmask_b32_e64 v17, v11, v10, s29
	v_add_nc_u32_e32 v35, 1, v34
	v_add_nc_u32_e32 v17, -1, v17
	v_lshl_add_u32 v39, v34, 3, v31
	v_cndmask_b32_e64 v5, v5, v35, s29
	v_min_u32_e32 v17, v35, v17
	v_cndmask_b32_e64 v25, v35, v25, s29
	v_cmp_lt_u32_e64 s41, v5, v10
	v_lshl_add_u32 v17, v17, 3, v31
	v_cmp_ge_u32_e64 s42, v25, v11
	ds_read_b64 v[17:18], v17
	s_waitcnt lgkmcnt(0)
	v_cndmask_b32_e64 v112, v18, v98, s29
	v_cndmask_b32_e64 v113, v17, v99, s29
	v_cndmask_b32_e64 v114, v102, v18, s29
	v_cndmask_b32_e64 v115, v103, v17, s29
	v_and_b32_e32 v18, v112, v160
	v_and_b32_e32 v17, v113, v151
	v_and_b32_e32 v22, v114, v160
	v_and_b32_e32 v21, v115, v151
	v_cmp_le_u64_e64 s40, v[21:22], v[17:18]
	s_and_b32 s40, s41, s40
	s_or_b32 s40, s42, s40
	v_cndmask_b32_e64 v35, v25, v5, s40
	v_cndmask_b32_e64 v17, v11, v10, s40
	v_cndmask_b32_e64 v49, v112, v114, s40
	v_cndmask_b32_e64 v48, v113, v115, s40
	v_add_nc_u32_e32 v36, 1, v35
	v_add_nc_u32_e32 v17, -1, v17
	v_lshl_add_u32 v50, v35, 3, v31
	v_cndmask_b32_e64 v5, v5, v36, s40
	v_min_u32_e32 v17, v36, v17
	v_cndmask_b32_e64 v25, v36, v25, s40
	v_cmp_lt_u32_e64 s42, v5, v10
	v_lshl_add_u32 v17, v17, 3, v31
	v_cmp_ge_u32_e64 s43, v25, v11
	ds_read_b64 v[17:18], v17
	s_waitcnt lgkmcnt(0)
	v_cndmask_b32_e64 v116, v18, v112, s40
	v_cndmask_b32_e64 v117, v17, v113, s40
	v_cndmask_b32_e64 v118, v114, v18, s40
	v_cndmask_b32_e64 v119, v115, v17, s40
	v_and_b32_e32 v18, v116, v160
	v_and_b32_e32 v17, v117, v151
	v_and_b32_e32 v22, v118, v160
	v_and_b32_e32 v21, v119, v151
	v_cmp_le_u64_e64 s41, v[21:22], v[17:18]
	s_and_b32 s41, s42, s41
	s_or_b32 s41, s43, s41
	v_cndmask_b32_e64 v36, v25, v5, s41
	v_cndmask_b32_e64 v17, v11, v10, s41
	;; [unrolled: 26-line block ×4, first 2 shown]
	v_cndmask_b32_e64 v71, v132, v134, s43
	v_cndmask_b32_e64 v70, v133, v135, s43
	v_add_nc_u32_e32 v38, 1, v68
	v_add_nc_u32_e32 v17, -1, v17
	v_cndmask_b32_e64 v5, v5, v38, s43
	v_min_u32_e32 v17, v38, v17
	v_cndmask_b32_e64 v25, v38, v25, s43
	v_cmp_lt_u32_e64 s45, v5, v10
	v_lshl_add_u32 v17, v17, 3, v31
	v_cmp_ge_u32_e64 s46, v25, v11
	ds_read_b64 v[17:18], v17
	s_waitcnt lgkmcnt(0)
	v_cndmask_b32_e64 v144, v18, v132, s43
	v_cndmask_b32_e64 v145, v17, v133, s43
	;; [unrolled: 1-line block ×4, first 2 shown]
	v_and_b32_e32 v18, v144, v160
	v_and_b32_e32 v17, v145, v151
	;; [unrolled: 1-line block ×4, first 2 shown]
	v_cmp_le_u64_e64 s44, v[21:22], v[17:18]
	s_and_b32 s44, s45, s44
	s_or_b32 s44, s46, s44
	v_cndmask_b32_e64 v69, v25, v5, s44
	v_cndmask_b32_e64 v17, v11, v10, s44
	v_add_nc_u32_e32 v38, 1, v69
	v_add_nc_u32_e32 v17, -1, v17
	v_cndmask_b32_e64 v5, v5, v38, s44
	v_min_u32_e32 v17, v38, v17
	v_cndmask_b32_e64 v25, v38, v25, s44
	v_cmp_lt_u32_e64 s46, v5, v10
	v_lshl_add_u32 v17, v17, 3, v31
	v_cmp_ge_u32_e64 s47, v25, v11
	ds_read_b64 v[17:18], v17
	s_waitcnt lgkmcnt(0)
	v_cndmask_b32_e64 v148, v18, v144, s44
	v_cndmask_b32_e64 v149, v17, v145, s44
	;; [unrolled: 1-line block ×4, first 2 shown]
	v_and_b32_e32 v18, v148, v160
	v_and_b32_e32 v17, v149, v151
	;; [unrolled: 1-line block ×4, first 2 shown]
	v_cmp_le_u64_e64 s45, v[21:22], v[17:18]
	s_and_b32 s45, s46, s45
	s_or_b32 s45, s47, s45
	v_cndmask_b32_e64 v82, v25, v5, s45
	v_cndmask_b32_e64 v17, v11, v10, s45
	v_add_nc_u32_e32 v38, 1, v82
	v_add_nc_u32_e32 v17, -1, v17
	v_lshl_add_u32 v85, v82, 3, v31
	v_cndmask_b32_e64 v5, v5, v38, s45
	v_min_u32_e32 v17, v38, v17
	v_cndmask_b32_e64 v25, v38, v25, s45
	v_cmp_lt_u32_e64 s47, v5, v10
	v_lshl_add_u32 v17, v17, 3, v31
	v_cmp_ge_u32_e64 s56, v25, v11
	ds_read_b64 v[17:18], v17
	s_waitcnt lgkmcnt(0)
	v_cndmask_b32_e64 v162, v18, v148, s45
	v_cndmask_b32_e64 v163, v17, v149, s45
	;; [unrolled: 1-line block ×4, first 2 shown]
	v_and_b32_e32 v18, v162, v160
	v_and_b32_e32 v17, v163, v151
	;; [unrolled: 1-line block ×4, first 2 shown]
	v_cmp_le_u64_e64 s46, v[21:22], v[17:18]
	s_and_b32 s46, s47, s46
	s_or_b32 s46, s56, s46
	v_cndmask_b32_e64 v83, v25, v5, s46
	v_cndmask_b32_e64 v17, v11, v10, s46
	v_add_nc_u32_e32 v38, 1, v83
	v_add_nc_u32_e32 v17, -1, v17
	v_lshl_add_u32 v100, v83, 3, v31
	v_cndmask_b32_e64 v178, v5, v38, s46
	v_min_u32_e32 v17, v38, v17
	v_cndmask_b32_e64 v179, v38, v25, s46
	v_lshl_add_u32 v25, v30, 3, v31
	v_lshl_add_u32 v30, v32, 3, v31
	v_cmp_lt_u32_e64 s56, v178, v10
	v_lshl_add_u32 v17, v17, 3, v31
	v_cmp_ge_u32_e64 s57, v179, v11
	v_lshl_add_u32 v38, v33, 3, v31
	ds_read_b64 v[17:18], v17
	s_waitcnt lgkmcnt(0)
	v_cndmask_b32_e64 v166, v18, v162, s46
	v_cndmask_b32_e64 v167, v17, v163, s46
	;; [unrolled: 1-line block ×4, first 2 shown]
	v_and_b32_e32 v18, v166, v160
	v_and_b32_e32 v17, v167, v151
	;; [unrolled: 1-line block ×4, first 2 shown]
	v_cmp_le_u64_e64 s47, v[21:22], v[17:18]
	v_lshl_add_u32 v21, v29, 3, v31
	v_lshl_add_u32 v18, v26, 3, v31
	s_and_b32 s47, s56, s47
	s_or_b32 s47, s57, s47
	v_cndmask_b32_e64 v84, v179, v178, s47
	v_cndmask_b32_e64 v5, v11, v10, s47
	v_add_nc_u32_e32 v180, 1, v84
	v_add_nc_u32_e32 v17, -1, v5
	ds_read_b64 v[4:5], v4 offset:32768
	v_lshl_add_u32 v84, v84, 3, v31
	v_cndmask_b32_e64 v15, v180, v179, s47
	v_min_u32_e32 v29, v180, v17
	ds_read_b64 v[17:18], v18 offset:32768
	ds_read_b64 v[21:22], v21 offset:32768
	;; [unrolled: 1-line block ×3, first 2 shown]
	v_cmp_ge_u32_e64 s25, v15, v11
	v_lshl_add_u32 v32, v29, 3, v31
	ds_read_b64 v[29:30], v30 offset:32768
	ds_read_b64 v[32:33], v32
	ds_read_b64 v[34:35], v38 offset:32768
	ds_read_b64 v[38:39], v39 offset:32768
	;; [unrolled: 1-line block ×5, first 2 shown]
	v_lshl_add_u32 v36, v68, 3, v31
	v_lshl_add_u32 v37, v69, 3, v31
	ds_read_b64 v[68:69], v36 offset:32768
	ds_read_b64 v[82:83], v37 offset:32768
	;; [unrolled: 1-line block ×5, first 2 shown]
	s_waitcnt lgkmcnt(10)
	v_cndmask_b32_e64 v181, v33, v166, s47
	v_cndmask_b32_e64 v182, v32, v167, s47
	;; [unrolled: 1-line block ×4, first 2 shown]
	v_and_b32_e32 v33, v181, v160
	v_and_b32_e32 v32, v182, v151
	;; [unrolled: 1-line block ×4, first 2 shown]
	v_cndmask_b32_e64 v151, v178, v180, s47
	v_cmp_le_u64_e64 s23, v[36:37], v[32:33]
	v_cmp_lt_u32_e64 s24, v151, v10
	v_cndmask_b32_e64 v33, v80, v96, s28
	v_cndmask_b32_e64 v32, v81, v97, s28
	;; [unrolled: 1-line block ×4, first 2 shown]
	s_and_b32 s23, s24, s23
	v_cndmask_b32_e64 v99, v144, v146, s44
	s_or_b32 s23, s25, s23
	v_cndmask_b32_e64 v98, v145, v147, s44
	v_cndmask_b32_e64 v10, v15, v151, s23
	;; [unrolled: 1-line block ×6, first 2 shown]
	v_lshl_add_u32 v10, v10, 3, v31
	v_cndmask_b32_e64 v103, v166, v176, s47
	v_cndmask_b32_e64 v102, v167, v177, s47
	;; [unrolled: 1-line block ×4, first 2 shown]
	ds_read_b64 v[112:113], v10 offset:32768
.LBB819_342:
	s_or_b32 exec_lo, exec_lo, s59
	; wave barrier
	s_waitcnt lgkmcnt(0)
	s_waitcnt_vscnt null, 0x0
	s_barrier
                                        ; implicit-def: $vgpr150
                                        ; implicit-def: $vgpr114
                                        ; implicit-def: $vgpr115
                                        ; implicit-def: $vgpr31
.LBB819_343:
	s_andn2_saveexec_b32 s46, s58
	s_cbranch_execz .LBB819_637
; %bb.344:
	s_load_dwordx2 s[24:25], s[8:9], 0x0
	v_mov_b32_e32 v10, 0
	s_waitcnt lgkmcnt(0)
	s_cmp_lt_u32 s13, s25
	s_cselect_b32 s13, 14, 20
	s_add_u32 s26, s8, s13
	s_addc_u32 s27, s9, 0
	s_cmp_lt_u32 s12, s24
	global_load_ushort v11, v10, s[26:27]
	s_cselect_b32 s12, 12, 18
	s_add_u32 s8, s8, s12
	s_addc_u32 s9, s9, 0
	global_load_ushort v10, v10, s[8:9]
	s_mov_b32 s9, exec_lo
	s_waitcnt vmcnt(1)
	v_mad_u32_u24 v11, v115, v11, v114
	s_waitcnt vmcnt(0)
	v_mul_lo_u32 v10, v11, v10
	v_add_lshl_u32 v151, v10, v31, 4
	v_cmpx_gt_u32_e32 0x1000, v151
	s_cbranch_execz .LBB819_586
; %bb.345:
	v_mov_b32_e32 v11, v9
	v_mov_b32_e32 v115, v18
	v_mov_b32_e32 v10, v8
	v_mov_b32_e32 v114, v17
	s_mov_b32 s12, exec_lo
	v_cmpx_gt_i64_e64 v[0:1], v[8:9]
	s_cbranch_execz .LBB819_347
; %bb.346:
	v_mov_b32_e32 v11, v1
	v_mov_b32_e32 v115, v5
	v_mov_b32_e32 v10, v0
	v_mov_b32_e32 v0, v8
	v_mov_b32_e32 v114, v4
	v_mov_b32_e32 v4, v17
	v_mov_b32_e32 v1, v9
	v_mov_b32_e32 v5, v18
.LBB819_347:
	s_or_b32 exec_lo, exec_lo, s12
	v_mov_b32_e32 v17, v23
	v_mov_b32_e32 v117, v26
	v_mov_b32_e32 v18, v24
	v_mov_b32_e32 v116, v25
	s_mov_b32 s12, exec_lo
	v_cmpx_gt_i64_e64 v[19:20], v[23:24]
	s_cbranch_execz .LBB819_349
; %bb.348:
	v_mov_b32_e32 v17, v19
	v_mov_b32_e32 v117, v22
	v_mov_b32_e32 v18, v20
	v_mov_b32_e32 v19, v23
	v_mov_b32_e32 v116, v21
	v_mov_b32_e32 v21, v25
	v_mov_b32_e32 v20, v24
	v_mov_b32_e32 v22, v26
.LBB819_349:
	s_or_b32 exec_lo, exec_lo, s12
	;; [unrolled: 18-line block ×8, first 2 shown]
	v_cmp_gt_i64_e64 s8, v[10:11], v[19:20]
	v_mov_b32_e32 v49, v20
	v_mov_b32_e32 v83, v22
	v_mov_b32_e32 v48, v19
	v_mov_b32_e32 v82, v21
	s_and_saveexec_b32 s12, s8
	s_xor_b32 s8, exec_lo, s12
	s_cbranch_execz .LBB819_363
; %bb.362:
	v_mov_b32_e32 v49, v11
	v_mov_b32_e32 v82, v114
	v_mov_b32_e32 v48, v10
	v_mov_b32_e32 v10, v19
	v_mov_b32_e32 v83, v115
	v_mov_b32_e32 v115, v22
	v_mov_b32_e32 v11, v20
	v_mov_b32_e32 v114, v21
.LBB819_363:
	s_or_b32 exec_lo, exec_lo, s8
	v_mov_b32_e32 v19, v27
	v_mov_b32_e32 v97, v30
	v_mov_b32_e32 v20, v28
	v_mov_b32_e32 v96, v29
	s_mov_b32 s12, exec_lo
	v_cmpx_gt_i64_e64 v[17:18], v[27:28]
	s_cbranch_execz .LBB819_365
; %bb.364:
	v_mov_b32_e32 v20, v18
	v_mov_b32_e32 v96, v116
	v_mov_b32_e32 v19, v17
	v_mov_b32_e32 v17, v27
	v_mov_b32_e32 v97, v117
	v_mov_b32_e32 v117, v30
	v_mov_b32_e32 v18, v28
	v_mov_b32_e32 v116, v29
.LBB819_365:
	s_or_b32 exec_lo, exec_lo, s12
	v_mov_b32_e32 v21, v36
	v_mov_b32_e32 v99, v39
	v_mov_b32_e32 v22, v37
	v_mov_b32_e32 v98, v38
	s_mov_b32 s12, exec_lo
	v_cmpx_gt_i64_e64 v[23:24], v[36:37]
	s_cbranch_execz .LBB819_367
; %bb.366:
	v_mov_b32_e32 v21, v23
	v_mov_b32_e32 v98, v118
	v_mov_b32_e32 v22, v24
	v_mov_b32_e32 v23, v36
	v_mov_b32_e32 v99, v119
	v_mov_b32_e32 v119, v39
	v_mov_b32_e32 v24, v37
	v_mov_b32_e32 v118, v38
.LBB819_367:
	s_or_b32 exec_lo, exec_lo, s12
	v_mov_b32_e32 v27, v52
	v_mov_b32_e32 v101, v55
	v_mov_b32_e32 v28, v53
	v_mov_b32_e32 v100, v54
	s_mov_b32 s12, exec_lo
	v_cmpx_gt_i64_e64 v[25:26], v[52:53]
	s_cbranch_execz .LBB819_369
; %bb.368:
	v_mov_b32_e32 v28, v26
	v_mov_b32_e32 v100, v128
	v_mov_b32_e32 v27, v25
	v_mov_b32_e32 v25, v52
	v_mov_b32_e32 v101, v129
	v_mov_b32_e32 v129, v55
	v_mov_b32_e32 v26, v53
	v_mov_b32_e32 v128, v54
.LBB819_369:
	s_or_b32 exec_lo, exec_lo, s12
	v_mov_b32_e32 v29, v70
	v_mov_b32_e32 v54, v68
	v_mov_b32_e32 v30, v71
	v_mov_b32_e32 v55, v69
	s_mov_b32 s12, exec_lo
	v_cmpx_gt_i64_e64 v[31:32], v[70:71]
	s_cbranch_execz .LBB819_371
; %bb.370:
	v_mov_b32_e32 v29, v31
	v_mov_b32_e32 v54, v130
	v_mov_b32_e32 v30, v32
	v_mov_b32_e32 v31, v70
	v_mov_b32_e32 v55, v131
	v_mov_b32_e32 v131, v69
	v_mov_b32_e32 v32, v71
	v_mov_b32_e32 v130, v68
.LBB819_371:
	s_or_b32 exec_lo, exec_lo, s12
	v_mov_b32_e32 v135, v51
	v_mov_b32_e32 v52, v86
	v_mov_b32_e32 v134, v50
	v_mov_b32_e32 v53, v87
	s_mov_b32 s12, exec_lo
	v_cmpx_gt_i64_e64 v[50:51], v[132:133]
	s_cbranch_execz .LBB819_373
; %bb.372:
	v_mov_b32_e32 v135, v133
	v_mov_b32_e32 v52, v64
	v_mov_b32_e32 v134, v132
	v_mov_b32_e32 v53, v65
	v_mov_b32_e32 v64, v86
	v_mov_b32_e32 v133, v51
	v_mov_b32_e32 v65, v87
	v_mov_b32_e32 v132, v50
.LBB819_373:
	s_or_b32 exec_lo, exec_lo, s12
	v_mov_b32_e32 v35, v84
	v_mov_b32_e32 v68, v80
	v_mov_b32_e32 v36, v85
	v_mov_b32_e32 v69, v81
	s_mov_b32 s12, exec_lo
	v_cmpx_gt_i64_e64 v[80:81], v[66:67]
	s_cbranch_execz .LBB819_375
; %bb.374:
	v_mov_b32_e32 v36, v34
	v_mov_b32_e32 v69, v67
	v_mov_b32_e32 v35, v33
	v_mov_b32_e32 v33, v84
	v_mov_b32_e32 v68, v66
	v_mov_b32_e32 v66, v80
	v_mov_b32_e32 v34, v85
	v_mov_b32_e32 v67, v81
.LBB819_375:
	s_or_b32 exec_lo, exec_lo, s12
	v_mov_b32_e32 v38, v11
	v_mov_b32_e32 v70, v114
	v_mov_b32_e32 v37, v10
	v_mov_b32_e32 v71, v115
	s_mov_b32 s12, exec_lo
	v_cmpx_gt_i64_e64 v[0:1], v[10:11]
	s_cbranch_execz .LBB819_377
; %bb.376:
	v_mov_b32_e32 v38, v1
	v_mov_b32_e32 v71, v5
	v_mov_b32_e32 v37, v0
	v_mov_b32_e32 v0, v10
	v_mov_b32_e32 v70, v4
	v_mov_b32_e32 v4, v114
	v_mov_b32_e32 v1, v11
	v_mov_b32_e32 v5, v115
.LBB819_377:
	s_or_b32 exec_lo, exec_lo, s12
	v_mov_b32_e32 v51, v18
	v_mov_b32_e32 v80, v116
	v_mov_b32_e32 v50, v17
	v_mov_b32_e32 v81, v117
	s_mov_b32 s12, exec_lo
	v_cmpx_gt_i64_e64 v[48:49], v[17:18]
	s_cbranch_execz .LBB819_379
; %bb.378:
	v_mov_b32_e32 v51, v49
	v_mov_b32_e32 v80, v82
	v_mov_b32_e32 v50, v48
	v_mov_b32_e32 v49, v18
	v_mov_b32_e32 v81, v83
	v_mov_b32_e32 v82, v116
	v_mov_b32_e32 v48, v17
	v_mov_b32_e32 v83, v117
.LBB819_379:
	s_or_b32 exec_lo, exec_lo, s12
	v_mov_b32_e32 v17, v23
	v_mov_b32_e32 v84, v118
	v_mov_b32_e32 v18, v24
	v_mov_b32_e32 v85, v119
	s_mov_b32 s12, exec_lo
	v_cmpx_gt_i64_e64 v[19:20], v[23:24]
	s_cbranch_execz .LBB819_381
; %bb.380:
	v_mov_b32_e32 v17, v19
	v_mov_b32_e32 v84, v96
	v_mov_b32_e32 v18, v20
	v_mov_b32_e32 v19, v23
	v_mov_b32_e32 v85, v97
	v_mov_b32_e32 v96, v118
	v_mov_b32_e32 v20, v24
	v_mov_b32_e32 v97, v119
.LBB819_381:
	s_or_b32 exec_lo, exec_lo, s12
	v_mov_b32_e32 v23, v25
	v_mov_b32_e32 v86, v128
	v_mov_b32_e32 v24, v26
	v_mov_b32_e32 v87, v129
	s_mov_b32 s12, exec_lo
	v_cmpx_gt_i64_e64 v[21:22], v[25:26]
	s_cbranch_execz .LBB819_383
; %bb.382:
	v_mov_b32_e32 v24, v22
	v_mov_b32_e32 v86, v98
	v_mov_b32_e32 v23, v21
	v_mov_b32_e32 v21, v25
	v_mov_b32_e32 v87, v99
	v_mov_b32_e32 v98, v128
	v_mov_b32_e32 v22, v26
	v_mov_b32_e32 v99, v129
.LBB819_383:
	s_or_b32 exec_lo, exec_lo, s12
	v_mov_b32_e32 v25, v31
	v_mov_b32_e32 v102, v130
	v_mov_b32_e32 v26, v32
	v_mov_b32_e32 v103, v131
	s_mov_b32 s12, exec_lo
	v_cmpx_gt_i64_e64 v[27:28], v[31:32]
	s_cbranch_execz .LBB819_385
; %bb.384:
	v_mov_b32_e32 v25, v27
	v_mov_b32_e32 v103, v101
	v_mov_b32_e32 v26, v28
	v_mov_b32_e32 v27, v31
	v_mov_b32_e32 v102, v100
	v_mov_b32_e32 v100, v130
	v_mov_b32_e32 v28, v32
	v_mov_b32_e32 v101, v131
.LBB819_385:
	s_or_b32 exec_lo, exec_lo, s12
	v_mov_b32_e32 v114, v134
	v_mov_b32_e32 v113, v65
	v_mov_b32_e32 v115, v135
	v_mov_b32_e32 v112, v64
	s_mov_b32 s12, exec_lo
	v_cmpx_gt_i64_e64 v[29:30], v[134:135]
	s_cbranch_execz .LBB819_387
; %bb.386:
	v_mov_b32_e32 v115, v30
	v_mov_b32_e32 v113, v55
	v_mov_b32_e32 v114, v29
	v_mov_b32_e32 v29, v134
	v_mov_b32_e32 v112, v54
	v_mov_b32_e32 v54, v64
	v_mov_b32_e32 v30, v135
	v_mov_b32_e32 v55, v65
.LBB819_387:
	s_or_b32 exec_lo, exec_lo, s12
	v_mov_b32_e32 v31, v33
	v_mov_b32_e32 v116, v132
	v_mov_b32_e32 v32, v34
	v_mov_b32_e32 v117, v133
	s_mov_b32 s12, exec_lo
	v_cmpx_gt_i64_e64 v[132:133], v[68:69]
	s_cbranch_execz .LBB819_389
; %bb.388:
	v_mov_b32_e32 v31, v52
	v_mov_b32_e32 v117, v69
	v_mov_b32_e32 v32, v53
	v_mov_b32_e32 v53, v34
	v_mov_b32_e32 v116, v68
	v_mov_b32_e32 v68, v132
	v_mov_b32_e32 v52, v33
	v_mov_b32_e32 v69, v133
.LBB819_389:
	s_or_b32 exec_lo, exec_lo, s12
	v_mov_b32_e32 v11, v9
	v_mov_b32_e32 v64, v66
	v_mov_b32_e32 v10, v8
	v_mov_b32_e32 v65, v67
	s_mov_b32 s12, exec_lo
	v_cmpx_gt_i64_e64 v[66:67], v[15:16]
	s_cbranch_execz .LBB819_391
; %bb.390:
	v_mov_b32_e32 v10, v35
	v_mov_b32_e32 v65, v16
	v_mov_b32_e32 v11, v36
	v_mov_b32_e32 v36, v9
	v_mov_b32_e32 v64, v15
	v_mov_b32_e32 v15, v66
	v_mov_b32_e32 v35, v8
	v_mov_b32_e32 v16, v67
.LBB819_391:
	s_or_b32 exec_lo, exec_lo, s12
	v_mov_b32_e32 v33, v48
	v_mov_b32_e32 v66, v82
	v_mov_b32_e32 v34, v49
	v_mov_b32_e32 v67, v83
	s_mov_b32 s12, exec_lo
	v_cmpx_gt_i64_e64 v[37:38], v[48:49]
	s_cbranch_execz .LBB819_393
; %bb.392:
	v_mov_b32_e32 v33, v37
	v_mov_b32_e32 v66, v70
	v_mov_b32_e32 v34, v38
	v_mov_b32_e32 v37, v48
	v_mov_b32_e32 v67, v71
	v_mov_b32_e32 v70, v82
	v_mov_b32_e32 v38, v49
	v_mov_b32_e32 v71, v83
.LBB819_393:
	s_or_b32 exec_lo, exec_lo, s12
	v_mov_b32_e32 v49, v20
	v_mov_b32_e32 v82, v96
	v_mov_b32_e32 v48, v19
	v_mov_b32_e32 v83, v97
	s_mov_b32 s12, exec_lo
	v_cmpx_gt_i64_e64 v[50:51], v[19:20]
	s_cbranch_execz .LBB819_395
; %bb.394:
	v_mov_b32_e32 v48, v50
	v_mov_b32_e32 v83, v81
	v_mov_b32_e32 v49, v51
	v_mov_b32_e32 v51, v20
	v_mov_b32_e32 v82, v80
	v_mov_b32_e32 v80, v96
	v_mov_b32_e32 v50, v19
	v_mov_b32_e32 v81, v97
.LBB819_395:
	s_or_b32 exec_lo, exec_lo, s12
	v_mov_b32_e32 v19, v21
	v_mov_b32_e32 v96, v98
	v_mov_b32_e32 v20, v22
	v_mov_b32_e32 v97, v99
	s_mov_b32 s12, exec_lo
	v_cmpx_gt_i64_e64 v[17:18], v[21:22]
	s_cbranch_execz .LBB819_397
; %bb.396:
	v_mov_b32_e32 v20, v18
	v_mov_b32_e32 v97, v85
	v_mov_b32_e32 v19, v17
	v_mov_b32_e32 v17, v21
	v_mov_b32_e32 v96, v84
	v_mov_b32_e32 v84, v98
	v_mov_b32_e32 v18, v22
	v_mov_b32_e32 v85, v99
.LBB819_397:
	s_or_b32 exec_lo, exec_lo, s12
	v_mov_b32_e32 v21, v27
	v_mov_b32_e32 v98, v100
	v_mov_b32_e32 v22, v28
	v_mov_b32_e32 v99, v101
	s_mov_b32 s12, exec_lo
	v_cmpx_gt_i64_e64 v[23:24], v[27:28]
	s_cbranch_execz .LBB819_399
; %bb.398:
	v_mov_b32_e32 v21, v23
	v_mov_b32_e32 v99, v87
	v_mov_b32_e32 v22, v24
	v_mov_b32_e32 v23, v27
	v_mov_b32_e32 v98, v86
	v_mov_b32_e32 v86, v100
	v_mov_b32_e32 v24, v28
	v_mov_b32_e32 v87, v101
.LBB819_399:
	s_or_b32 exec_lo, exec_lo, s12
	v_mov_b32_e32 v27, v29
	v_mov_b32_e32 v101, v55
	v_mov_b32_e32 v28, v30
	v_mov_b32_e32 v100, v54
	s_mov_b32 s12, exec_lo
	v_cmpx_gt_i64_e64 v[25:26], v[29:30]
	s_cbranch_execz .LBB819_401
; %bb.400:
	v_mov_b32_e32 v28, v26
	v_mov_b32_e32 v100, v102
	v_mov_b32_e32 v27, v25
	v_mov_b32_e32 v25, v29
	v_mov_b32_e32 v101, v103
	v_mov_b32_e32 v103, v55
	v_mov_b32_e32 v26, v30
	v_mov_b32_e32 v102, v54
.LBB819_401:
	s_or_b32 exec_lo, exec_lo, s12
	v_mov_b32_e32 v8, v114
	v_mov_b32_e32 v55, v53
	v_mov_b32_e32 v9, v115
	v_mov_b32_e32 v54, v52
	s_mov_b32 s12, exec_lo
	v_cmpx_gt_i64_e64 v[114:115], v[116:117]
	s_cbranch_execz .LBB819_403
; %bb.402:
	v_mov_b32_e32 v8, v116
	v_mov_b32_e32 v54, v112
	v_mov_b32_e32 v9, v117
	v_mov_b32_e32 v55, v113
	v_mov_b32_e32 v113, v53
	v_mov_b32_e32 v117, v115
	v_mov_b32_e32 v112, v52
	v_mov_b32_e32 v116, v114
.LBB819_403:
	s_or_b32 exec_lo, exec_lo, s12
	v_mov_b32_e32 v29, v35
	v_mov_b32_e32 v115, v69
	v_mov_b32_e32 v30, v36
	v_mov_b32_e32 v114, v68
	s_mov_b32 s12, exec_lo
	v_cmpx_gt_i64_e64 v[68:69], v[64:65]
	s_cbranch_execz .LBB819_405
; %bb.404:
	v_mov_b32_e32 v29, v31
	v_mov_b32_e32 v115, v65
	v_mov_b32_e32 v30, v32
	v_mov_b32_e32 v31, v35
	v_mov_b32_e32 v114, v64
	v_mov_b32_e32 v64, v68
	v_mov_b32_e32 v32, v36
	v_mov_b32_e32 v65, v69
.LBB819_405:
	s_or_b32 exec_lo, exec_lo, s12
	v_mov_b32_e32 v35, v37
	v_mov_b32_e32 v68, v70
	v_mov_b32_e32 v36, v38
	v_mov_b32_e32 v69, v71
	s_mov_b32 s12, exec_lo
	v_cmpx_gt_i64_e64 v[0:1], v[37:38]
	s_cbranch_execz .LBB819_407
; %bb.406:
	v_mov_b32_e32 v36, v1
	v_mov_b32_e32 v69, v5
	v_mov_b32_e32 v35, v0
	v_mov_b32_e32 v0, v37
	v_mov_b32_e32 v68, v4
	v_mov_b32_e32 v4, v70
	v_mov_b32_e32 v1, v38
	v_mov_b32_e32 v5, v71
.LBB819_407:
	s_or_b32 exec_lo, exec_lo, s12
	v_mov_b32_e32 v37, v50
	v_mov_b32_e32 v70, v80
	v_mov_b32_e32 v38, v51
	v_mov_b32_e32 v71, v81
	s_mov_b32 s12, exec_lo
	v_cmpx_gt_i64_e64 v[33:34], v[50:51]
	s_cbranch_execz .LBB819_409
; %bb.408:
	v_mov_b32_e32 v38, v34
	v_mov_b32_e32 v71, v67
	v_mov_b32_e32 v37, v33
	v_mov_b32_e32 v33, v50
	v_mov_b32_e32 v70, v66
	v_mov_b32_e32 v66, v80
	v_mov_b32_e32 v34, v51
	v_mov_b32_e32 v67, v81
.LBB819_409:
	s_or_b32 exec_lo, exec_lo, s12
	v_mov_b32_e32 v51, v18
	v_mov_b32_e32 v80, v84
	v_mov_b32_e32 v50, v17
	v_mov_b32_e32 v81, v85
	s_mov_b32 s12, exec_lo
	v_cmpx_gt_i64_e64 v[48:49], v[17:18]
	s_cbranch_execz .LBB819_411
; %bb.410:
	v_mov_b32_e32 v51, v49
	v_mov_b32_e32 v80, v82
	v_mov_b32_e32 v50, v48
	v_mov_b32_e32 v49, v18
	v_mov_b32_e32 v81, v83
	v_mov_b32_e32 v82, v84
	v_mov_b32_e32 v48, v17
	v_mov_b32_e32 v83, v85
.LBB819_411:
	s_or_b32 exec_lo, exec_lo, s12
	v_mov_b32_e32 v17, v23
	v_mov_b32_e32 v84, v86
	v_mov_b32_e32 v18, v24
	v_mov_b32_e32 v85, v87
	s_mov_b32 s12, exec_lo
	v_cmpx_gt_i64_e64 v[19:20], v[23:24]
	s_cbranch_execz .LBB819_413
; %bb.412:
	v_mov_b32_e32 v17, v19
	v_mov_b32_e32 v84, v96
	v_mov_b32_e32 v18, v20
	v_mov_b32_e32 v19, v23
	v_mov_b32_e32 v85, v97
	v_mov_b32_e32 v97, v87
	v_mov_b32_e32 v20, v24
	v_mov_b32_e32 v96, v86
.LBB819_413:
	s_or_b32 exec_lo, exec_lo, s12
	v_mov_b32_e32 v23, v25
	v_mov_b32_e32 v86, v102
	v_mov_b32_e32 v24, v26
	v_mov_b32_e32 v87, v103
	s_mov_b32 s12, exec_lo
	v_cmpx_gt_i64_e64 v[21:22], v[25:26]
	s_cbranch_execz .LBB819_415
; %bb.414:
	v_mov_b32_e32 v24, v22
	v_mov_b32_e32 v86, v98
	v_mov_b32_e32 v23, v21
	v_mov_b32_e32 v21, v25
	v_mov_b32_e32 v87, v99
	v_mov_b32_e32 v98, v102
	v_mov_b32_e32 v22, v26
	v_mov_b32_e32 v99, v103
.LBB819_415:
	s_or_b32 exec_lo, exec_lo, s12
	v_mov_b32_e32 v129, v9
	v_mov_b32_e32 v102, v112
	v_mov_b32_e32 v128, v8
	v_mov_b32_e32 v103, v113
	s_mov_b32 s12, exec_lo
	v_cmpx_gt_i64_e64 v[27:28], v[8:9]
	s_cbranch_execz .LBB819_417
; %bb.416:
	v_mov_b32_e32 v129, v28
	v_mov_b32_e32 v103, v101
	v_mov_b32_e32 v128, v27
	v_mov_b32_e32 v28, v9
	v_mov_b32_e32 v102, v100
	v_mov_b32_e32 v100, v112
	v_mov_b32_e32 v27, v8
	v_mov_b32_e32 v101, v113
.LBB819_417:
	s_or_b32 exec_lo, exec_lo, s12
	v_mov_b32_e32 v25, v31
	v_mov_b32_e32 v119, v117
	v_mov_b32_e32 v26, v32
	v_mov_b32_e32 v118, v116
	s_mov_b32 s12, exec_lo
	v_cmpx_gt_i64_e64 v[116:117], v[114:115]
	s_cbranch_execz .LBB819_419
; %bb.418:
	v_mov_b32_e32 v25, v54
	v_mov_b32_e32 v119, v115
	v_mov_b32_e32 v26, v55
	v_mov_b32_e32 v55, v32
	v_mov_b32_e32 v118, v114
	v_mov_b32_e32 v114, v116
	v_mov_b32_e32 v54, v31
	v_mov_b32_e32 v115, v117
.LBB819_419:
	s_or_b32 exec_lo, exec_lo, s12
	v_mov_b32_e32 v8, v10
	v_mov_b32_e32 v113, v65
	v_mov_b32_e32 v9, v11
	v_mov_b32_e32 v112, v64
	s_mov_b32 s12, exec_lo
	v_cmpx_gt_i64_e64 v[64:65], v[15:16]
	s_cbranch_execz .LBB819_421
; %bb.420:
	v_mov_b32_e32 v8, v29
	v_mov_b32_e32 v113, v16
	v_mov_b32_e32 v9, v30
	v_mov_b32_e32 v30, v11
	v_mov_b32_e32 v112, v15
	v_mov_b32_e32 v15, v64
	v_mov_b32_e32 v29, v10
	v_mov_b32_e32 v16, v65
.LBB819_421:
	s_or_b32 exec_lo, exec_lo, s12
	v_mov_b32_e32 v31, v33
	v_mov_b32_e32 v64, v66
	v_mov_b32_e32 v32, v34
	v_mov_b32_e32 v65, v67
	s_mov_b32 s12, exec_lo
	v_cmpx_gt_i64_e64 v[35:36], v[33:34]
	s_cbranch_execz .LBB819_423
; %bb.422:
	v_mov_b32_e32 v31, v35
	v_mov_b32_e32 v64, v68
	v_mov_b32_e32 v32, v36
	v_mov_b32_e32 v36, v34
	v_mov_b32_e32 v65, v69
	v_mov_b32_e32 v69, v67
	v_mov_b32_e32 v35, v33
	v_mov_b32_e32 v68, v66
.LBB819_423:
	s_or_b32 exec_lo, exec_lo, s12
	v_mov_b32_e32 v33, v48
	v_mov_b32_e32 v66, v82
	v_mov_b32_e32 v34, v49
	v_mov_b32_e32 v67, v83
	s_mov_b32 s12, exec_lo
	v_cmpx_gt_i64_e64 v[37:38], v[48:49]
	s_cbranch_execz .LBB819_425
; %bb.424:
	v_mov_b32_e32 v33, v37
	v_mov_b32_e32 v66, v70
	v_mov_b32_e32 v34, v38
	v_mov_b32_e32 v37, v48
	v_mov_b32_e32 v67, v71
	v_mov_b32_e32 v70, v82
	v_mov_b32_e32 v38, v49
	v_mov_b32_e32 v71, v83
.LBB819_425:
	s_or_b32 exec_lo, exec_lo, s12
	v_mov_b32_e32 v49, v20
	v_mov_b32_e32 v82, v96
	v_mov_b32_e32 v48, v19
	v_mov_b32_e32 v83, v97
	s_mov_b32 s12, exec_lo
	v_cmpx_gt_i64_e64 v[50:51], v[19:20]
	s_cbranch_execz .LBB819_427
; %bb.426:
	v_mov_b32_e32 v48, v50
	v_mov_b32_e32 v83, v81
	v_mov_b32_e32 v49, v51
	v_mov_b32_e32 v51, v20
	v_mov_b32_e32 v82, v80
	v_mov_b32_e32 v80, v96
	v_mov_b32_e32 v50, v19
	v_mov_b32_e32 v81, v97
.LBB819_427:
	s_or_b32 exec_lo, exec_lo, s12
	v_mov_b32_e32 v19, v21
	v_mov_b32_e32 v96, v98
	v_mov_b32_e32 v20, v22
	v_mov_b32_e32 v97, v99
	s_mov_b32 s12, exec_lo
	v_cmpx_gt_i64_e64 v[17:18], v[21:22]
	s_cbranch_execz .LBB819_429
; %bb.428:
	v_mov_b32_e32 v20, v18
	v_mov_b32_e32 v97, v85
	v_mov_b32_e32 v19, v17
	v_mov_b32_e32 v17, v21
	v_mov_b32_e32 v96, v84
	v_mov_b32_e32 v84, v98
	v_mov_b32_e32 v18, v22
	v_mov_b32_e32 v85, v99
.LBB819_429:
	s_or_b32 exec_lo, exec_lo, s12
	v_mov_b32_e32 v21, v27
	v_mov_b32_e32 v98, v100
	v_mov_b32_e32 v22, v28
	v_mov_b32_e32 v99, v101
	s_mov_b32 s12, exec_lo
	v_cmpx_gt_i64_e64 v[23:24], v[27:28]
	s_cbranch_execz .LBB819_431
; %bb.430:
	v_mov_b32_e32 v21, v23
	v_mov_b32_e32 v99, v87
	v_mov_b32_e32 v22, v24
	v_mov_b32_e32 v23, v27
	v_mov_b32_e32 v98, v86
	v_mov_b32_e32 v86, v100
	v_mov_b32_e32 v24, v28
	v_mov_b32_e32 v87, v101
.LBB819_431:
	s_or_b32 exec_lo, exec_lo, s12
	v_mov_b32_e32 v10, v128
	v_mov_b32_e32 v52, v54
	v_mov_b32_e32 v11, v129
	v_mov_b32_e32 v53, v55
	s_mov_b32 s12, exec_lo
	v_cmpx_gt_i64_e64 v[128:129], v[118:119]
	s_cbranch_execz .LBB819_433
; %bb.432:
	v_mov_b32_e32 v10, v118
	v_mov_b32_e32 v52, v102
	v_mov_b32_e32 v11, v119
	v_mov_b32_e32 v53, v103
	v_mov_b32_e32 v103, v55
	v_mov_b32_e32 v118, v128
	v_mov_b32_e32 v102, v54
	v_mov_b32_e32 v119, v129
.LBB819_433:
	s_or_b32 exec_lo, exec_lo, s12
	v_mov_b32_e32 v27, v29
	v_mov_b32_e32 v100, v114
	v_mov_b32_e32 v28, v30
	v_mov_b32_e32 v101, v115
	s_mov_b32 s12, exec_lo
	v_cmpx_gt_i64_e64 v[114:115], v[112:113]
	s_cbranch_execz .LBB819_435
; %bb.434:
	v_mov_b32_e32 v28, v26
	v_mov_b32_e32 v100, v112
	v_mov_b32_e32 v27, v25
	v_mov_b32_e32 v25, v29
	v_mov_b32_e32 v101, v113
	v_mov_b32_e32 v112, v114
	v_mov_b32_e32 v26, v30
	v_mov_b32_e32 v113, v115
.LBB819_435:
	s_or_b32 exec_lo, exec_lo, s12
	v_mov_b32_e32 v29, v35
	v_mov_b32_e32 v115, v69
	v_mov_b32_e32 v30, v36
	v_mov_b32_e32 v114, v68
	s_mov_b32 s12, exec_lo
	v_cmpx_gt_i64_e64 v[0:1], v[35:36]
	s_cbranch_execz .LBB819_437
; %bb.436:
	v_mov_b32_e32 v30, v1
	v_mov_b32_e32 v115, v5
	v_mov_b32_e32 v29, v0
	v_mov_b32_e32 v0, v35
	v_mov_b32_e32 v114, v4
	v_mov_b32_e32 v4, v68
	v_mov_b32_e32 v1, v36
	v_mov_b32_e32 v5, v69
.LBB819_437:
	s_or_b32 exec_lo, exec_lo, s12
	v_mov_b32_e32 v35, v37
	v_mov_b32_e32 v68, v70
	v_mov_b32_e32 v36, v38
	v_mov_b32_e32 v69, v71
	s_mov_b32 s12, exec_lo
	v_cmpx_gt_i64_e64 v[31:32], v[37:38]
	s_cbranch_execz .LBB819_439
; %bb.438:
	v_mov_b32_e32 v36, v32
	v_mov_b32_e32 v69, v65
	v_mov_b32_e32 v35, v31
	v_mov_b32_e32 v31, v37
	v_mov_b32_e32 v68, v64
	v_mov_b32_e32 v64, v70
	v_mov_b32_e32 v32, v38
	v_mov_b32_e32 v65, v71
.LBB819_439:
	s_or_b32 exec_lo, exec_lo, s12
	v_mov_b32_e32 v37, v50
	v_mov_b32_e32 v70, v80
	v_mov_b32_e32 v38, v51
	v_mov_b32_e32 v71, v81
	s_mov_b32 s12, exec_lo
	v_cmpx_gt_i64_e64 v[33:34], v[50:51]
	s_cbranch_execz .LBB819_441
; %bb.440:
	v_mov_b32_e32 v38, v34
	v_mov_b32_e32 v71, v67
	v_mov_b32_e32 v37, v33
	v_mov_b32_e32 v33, v50
	v_mov_b32_e32 v70, v66
	v_mov_b32_e32 v66, v80
	v_mov_b32_e32 v34, v51
	v_mov_b32_e32 v67, v81
.LBB819_441:
	s_or_b32 exec_lo, exec_lo, s12
	v_mov_b32_e32 v51, v18
	v_mov_b32_e32 v80, v84
	v_mov_b32_e32 v50, v17
	v_mov_b32_e32 v81, v85
	s_mov_b32 s12, exec_lo
	v_cmpx_gt_i64_e64 v[48:49], v[17:18]
	s_cbranch_execz .LBB819_443
; %bb.442:
	v_mov_b32_e32 v51, v49
	v_mov_b32_e32 v80, v82
	v_mov_b32_e32 v50, v48
	v_mov_b32_e32 v49, v18
	v_mov_b32_e32 v81, v83
	v_mov_b32_e32 v82, v84
	v_mov_b32_e32 v48, v17
	v_mov_b32_e32 v83, v85
.LBB819_443:
	s_or_b32 exec_lo, exec_lo, s12
	v_mov_b32_e32 v17, v23
	v_mov_b32_e32 v84, v86
	v_mov_b32_e32 v18, v24
	v_mov_b32_e32 v85, v87
	s_mov_b32 s12, exec_lo
	v_cmpx_gt_i64_e64 v[19:20], v[23:24]
	s_cbranch_execz .LBB819_445
; %bb.444:
	v_mov_b32_e32 v17, v19
	v_mov_b32_e32 v84, v96
	v_mov_b32_e32 v18, v20
	v_mov_b32_e32 v19, v23
	v_mov_b32_e32 v85, v97
	v_mov_b32_e32 v97, v87
	v_mov_b32_e32 v20, v24
	v_mov_b32_e32 v96, v86
.LBB819_445:
	s_or_b32 exec_lo, exec_lo, s12
	v_mov_b32_e32 v129, v11
	v_mov_b32_e32 v86, v102
	v_mov_b32_e32 v128, v10
	v_mov_b32_e32 v87, v103
	s_mov_b32 s12, exec_lo
	v_cmpx_gt_i64_e64 v[21:22], v[10:11]
	s_cbranch_execz .LBB819_447
; %bb.446:
	v_mov_b32_e32 v129, v22
	v_mov_b32_e32 v86, v98
	v_mov_b32_e32 v128, v21
	v_mov_b32_e32 v22, v11
	v_mov_b32_e32 v87, v99
	v_mov_b32_e32 v98, v102
	v_mov_b32_e32 v21, v10
	v_mov_b32_e32 v99, v103
.LBB819_447:
	s_or_b32 exec_lo, exec_lo, s12
	v_mov_b32_e32 v23, v25
	v_mov_b32_e32 v116, v118
	v_mov_b32_e32 v24, v26
	v_mov_b32_e32 v117, v119
	s_mov_b32 s12, exec_lo
	v_cmpx_gt_i64_e64 v[118:119], v[100:101]
	s_cbranch_execz .LBB819_449
; %bb.448:
	v_mov_b32_e32 v23, v52
	v_mov_b32_e32 v117, v101
	v_mov_b32_e32 v24, v53
	v_mov_b32_e32 v53, v26
	v_mov_b32_e32 v116, v100
	v_mov_b32_e32 v100, v118
	v_mov_b32_e32 v52, v25
	v_mov_b32_e32 v101, v119
.LBB819_449:
	s_or_b32 exec_lo, exec_lo, s12
	v_mov_b32_e32 v11, v9
	v_mov_b32_e32 v102, v112
	v_mov_b32_e32 v10, v8
	v_mov_b32_e32 v103, v113
	s_mov_b32 s12, exec_lo
	v_cmpx_gt_i64_e64 v[112:113], v[15:16]
	s_cbranch_execz .LBB819_451
; %bb.450:
	v_mov_b32_e32 v10, v27
	v_mov_b32_e32 v103, v16
	v_mov_b32_e32 v11, v28
	v_mov_b32_e32 v28, v9
	v_mov_b32_e32 v102, v15
	v_mov_b32_e32 v15, v112
	v_mov_b32_e32 v27, v8
	v_mov_b32_e32 v16, v113
.LBB819_451:
	s_or_b32 exec_lo, exec_lo, s12
	v_mov_b32_e32 v25, v31
	v_mov_b32_e32 v113, v65
	v_mov_b32_e32 v26, v32
	v_mov_b32_e32 v112, v64
	s_mov_b32 s12, exec_lo
	v_cmpx_gt_i64_e64 v[29:30], v[31:32]
	s_cbranch_execz .LBB819_453
; %bb.452:
	v_mov_b32_e32 v25, v29
	v_mov_b32_e32 v112, v114
	v_mov_b32_e32 v26, v30
	v_mov_b32_e32 v29, v31
	v_mov_b32_e32 v113, v115
	v_mov_b32_e32 v115, v65
	v_mov_b32_e32 v30, v32
	v_mov_b32_e32 v114, v64
.LBB819_453:
	s_or_b32 exec_lo, exec_lo, s12
	v_mov_b32_e32 v31, v33
	v_mov_b32_e32 v64, v66
	v_mov_b32_e32 v32, v34
	v_mov_b32_e32 v65, v67
	s_mov_b32 s12, exec_lo
	v_cmpx_gt_i64_e64 v[35:36], v[33:34]
	s_cbranch_execz .LBB819_455
; %bb.454:
	v_mov_b32_e32 v31, v35
	v_mov_b32_e32 v64, v68
	v_mov_b32_e32 v32, v36
	v_mov_b32_e32 v36, v34
	v_mov_b32_e32 v65, v69
	v_mov_b32_e32 v69, v67
	v_mov_b32_e32 v35, v33
	v_mov_b32_e32 v68, v66
.LBB819_455:
	s_or_b32 exec_lo, exec_lo, s12
	v_mov_b32_e32 v33, v48
	v_mov_b32_e32 v66, v82
	v_mov_b32_e32 v34, v49
	v_mov_b32_e32 v67, v83
	s_mov_b32 s12, exec_lo
	v_cmpx_gt_i64_e64 v[37:38], v[48:49]
	s_cbranch_execz .LBB819_457
; %bb.456:
	v_mov_b32_e32 v33, v37
	v_mov_b32_e32 v66, v70
	v_mov_b32_e32 v34, v38
	v_mov_b32_e32 v37, v48
	v_mov_b32_e32 v67, v71
	v_mov_b32_e32 v70, v82
	v_mov_b32_e32 v38, v49
	v_mov_b32_e32 v71, v83
.LBB819_457:
	s_or_b32 exec_lo, exec_lo, s12
	v_mov_b32_e32 v49, v20
	v_mov_b32_e32 v82, v96
	v_mov_b32_e32 v48, v19
	v_mov_b32_e32 v83, v97
	s_mov_b32 s12, exec_lo
	v_cmpx_gt_i64_e64 v[50:51], v[19:20]
	s_cbranch_execz .LBB819_459
; %bb.458:
	v_mov_b32_e32 v48, v50
	v_mov_b32_e32 v83, v81
	v_mov_b32_e32 v49, v51
	v_mov_b32_e32 v51, v20
	v_mov_b32_e32 v82, v80
	v_mov_b32_e32 v80, v96
	v_mov_b32_e32 v50, v19
	v_mov_b32_e32 v81, v97
.LBB819_459:
	s_or_b32 exec_lo, exec_lo, s12
	v_mov_b32_e32 v19, v21
	v_mov_b32_e32 v96, v98
	v_mov_b32_e32 v20, v22
	v_mov_b32_e32 v97, v99
	s_mov_b32 s12, exec_lo
	v_cmpx_gt_i64_e64 v[17:18], v[21:22]
	s_cbranch_execz .LBB819_461
; %bb.460:
	v_mov_b32_e32 v20, v18
	v_mov_b32_e32 v97, v85
	v_mov_b32_e32 v19, v17
	v_mov_b32_e32 v17, v21
	v_mov_b32_e32 v96, v84
	v_mov_b32_e32 v84, v98
	v_mov_b32_e32 v18, v22
	v_mov_b32_e32 v85, v99
.LBB819_461:
	s_or_b32 exec_lo, exec_lo, s12
	v_mov_b32_e32 v8, v128
	v_mov_b32_e32 v55, v53
	v_mov_b32_e32 v9, v129
	v_mov_b32_e32 v54, v52
	s_mov_b32 s12, exec_lo
	v_cmpx_gt_i64_e64 v[128:129], v[116:117]
	s_cbranch_execz .LBB819_463
; %bb.462:
	v_mov_b32_e32 v8, v116
	v_mov_b32_e32 v54, v86
	v_mov_b32_e32 v9, v117
	v_mov_b32_e32 v55, v87
	v_mov_b32_e32 v87, v53
	v_mov_b32_e32 v116, v128
	v_mov_b32_e32 v86, v52
	v_mov_b32_e32 v117, v129
.LBB819_463:
	s_or_b32 exec_lo, exec_lo, s12
	v_mov_b32_e32 v21, v27
	v_mov_b32_e32 v98, v100
	v_mov_b32_e32 v22, v28
	v_mov_b32_e32 v99, v101
	s_mov_b32 s12, exec_lo
	v_cmpx_gt_i64_e64 v[100:101], v[102:103]
	s_cbranch_execz .LBB819_465
; %bb.464:
	v_mov_b32_e32 v21, v23
	v_mov_b32_e32 v98, v102
	v_mov_b32_e32 v22, v24
	v_mov_b32_e32 v23, v27
	v_mov_b32_e32 v99, v103
	v_mov_b32_e32 v103, v101
	v_mov_b32_e32 v24, v28
	v_mov_b32_e32 v102, v100
.LBB819_465:
	s_or_b32 exec_lo, exec_lo, s12
	v_mov_b32_e32 v27, v29
	v_mov_b32_e32 v100, v114
	v_mov_b32_e32 v28, v30
	v_mov_b32_e32 v101, v115
	s_mov_b32 s12, exec_lo
	v_cmpx_gt_i64_e64 v[0:1], v[29:30]
	s_cbranch_execz .LBB819_467
; %bb.466:
	v_mov_b32_e32 v28, v1
	v_mov_b32_e32 v101, v5
	v_mov_b32_e32 v27, v0
	v_mov_b32_e32 v0, v29
	v_mov_b32_e32 v100, v4
	v_mov_b32_e32 v4, v114
	v_mov_b32_e32 v1, v30
	v_mov_b32_e32 v5, v115
.LBB819_467:
	s_or_b32 exec_lo, exec_lo, s12
	v_mov_b32_e32 v29, v35
	v_mov_b32_e32 v115, v69
	v_mov_b32_e32 v30, v36
	v_mov_b32_e32 v114, v68
	s_mov_b32 s12, exec_lo
	v_cmpx_gt_i64_e64 v[25:26], v[35:36]
	s_cbranch_execz .LBB819_469
; %bb.468:
	v_mov_b32_e32 v30, v26
	v_mov_b32_e32 v115, v113
	v_mov_b32_e32 v29, v25
	v_mov_b32_e32 v25, v35
	v_mov_b32_e32 v114, v112
	v_mov_b32_e32 v113, v69
	v_mov_b32_e32 v26, v36
	v_mov_b32_e32 v112, v68
.LBB819_469:
	s_or_b32 exec_lo, exec_lo, s12
	v_mov_b32_e32 v35, v37
	v_mov_b32_e32 v68, v70
	v_mov_b32_e32 v36, v38
	v_mov_b32_e32 v69, v71
	s_mov_b32 s12, exec_lo
	v_cmpx_gt_i64_e64 v[31:32], v[37:38]
	s_cbranch_execz .LBB819_471
; %bb.470:
	v_mov_b32_e32 v36, v32
	v_mov_b32_e32 v69, v65
	v_mov_b32_e32 v35, v31
	v_mov_b32_e32 v31, v37
	v_mov_b32_e32 v68, v64
	v_mov_b32_e32 v64, v70
	v_mov_b32_e32 v32, v38
	v_mov_b32_e32 v65, v71
.LBB819_471:
	s_or_b32 exec_lo, exec_lo, s12
	v_mov_b32_e32 v37, v50
	v_mov_b32_e32 v70, v80
	v_mov_b32_e32 v38, v51
	v_mov_b32_e32 v71, v81
	s_mov_b32 s12, exec_lo
	v_cmpx_gt_i64_e64 v[33:34], v[50:51]
	s_cbranch_execz .LBB819_473
; %bb.472:
	v_mov_b32_e32 v38, v34
	v_mov_b32_e32 v71, v67
	v_mov_b32_e32 v37, v33
	v_mov_b32_e32 v33, v50
	v_mov_b32_e32 v70, v66
	v_mov_b32_e32 v66, v80
	v_mov_b32_e32 v34, v51
	v_mov_b32_e32 v67, v81
.LBB819_473:
	s_or_b32 exec_lo, exec_lo, s12
	v_mov_b32_e32 v51, v18
	v_mov_b32_e32 v80, v84
	v_mov_b32_e32 v50, v17
	v_mov_b32_e32 v81, v85
	s_mov_b32 s12, exec_lo
	v_cmpx_gt_i64_e64 v[48:49], v[17:18]
	s_cbranch_execz .LBB819_475
; %bb.474:
	v_mov_b32_e32 v51, v49
	v_mov_b32_e32 v80, v82
	v_mov_b32_e32 v50, v48
	v_mov_b32_e32 v49, v18
	v_mov_b32_e32 v81, v83
	v_mov_b32_e32 v82, v84
	v_mov_b32_e32 v48, v17
	v_mov_b32_e32 v83, v85
.LBB819_475:
	s_or_b32 exec_lo, exec_lo, s12
	v_mov_b32_e32 v129, v9
	v_mov_b32_e32 v84, v86
	v_mov_b32_e32 v128, v8
	v_mov_b32_e32 v85, v87
	s_mov_b32 s12, exec_lo
	v_cmpx_gt_i64_e64 v[19:20], v[8:9]
	s_cbranch_execz .LBB819_477
; %bb.476:
	v_mov_b32_e32 v129, v20
	v_mov_b32_e32 v84, v96
	v_mov_b32_e32 v128, v19
	v_mov_b32_e32 v20, v9
	v_mov_b32_e32 v85, v97
	v_mov_b32_e32 v97, v87
	v_mov_b32_e32 v19, v8
	v_mov_b32_e32 v96, v86
.LBB819_477:
	s_or_b32 exec_lo, exec_lo, s12
	v_mov_b32_e32 v17, v23
	v_mov_b32_e32 v119, v117
	v_mov_b32_e32 v18, v24
	v_mov_b32_e32 v118, v116
	s_mov_b32 s12, exec_lo
	v_cmpx_gt_i64_e64 v[116:117], v[98:99]
	s_cbranch_execz .LBB819_479
; %bb.478:
	v_mov_b32_e32 v17, v54
	v_mov_b32_e32 v119, v99
	v_mov_b32_e32 v18, v55
	v_mov_b32_e32 v55, v24
	v_mov_b32_e32 v118, v98
	v_mov_b32_e32 v98, v116
	v_mov_b32_e32 v54, v23
	v_mov_b32_e32 v99, v117
.LBB819_479:
	s_or_b32 exec_lo, exec_lo, s12
	v_mov_b32_e32 v8, v10
	v_mov_b32_e32 v86, v102
	v_mov_b32_e32 v9, v11
	v_mov_b32_e32 v87, v103
	s_mov_b32 s12, exec_lo
	v_cmpx_gt_i64_e64 v[102:103], v[15:16]
	s_cbranch_execz .LBB819_481
; %bb.480:
	v_mov_b32_e32 v8, v21
	v_mov_b32_e32 v87, v16
	v_mov_b32_e32 v9, v22
	v_mov_b32_e32 v22, v11
	v_mov_b32_e32 v86, v15
	v_mov_b32_e32 v15, v102
	v_mov_b32_e32 v21, v10
	v_mov_b32_e32 v16, v103
.LBB819_481:
	s_or_b32 exec_lo, exec_lo, s12
	v_mov_b32_e32 v23, v25
	v_mov_b32_e32 v102, v112
	v_mov_b32_e32 v24, v26
	v_mov_b32_e32 v103, v113
	s_mov_b32 s12, exec_lo
	v_cmpx_gt_i64_e64 v[27:28], v[25:26]
	s_cbranch_execz .LBB819_483
; %bb.482:
	v_mov_b32_e32 v23, v27
	v_mov_b32_e32 v103, v101
	v_mov_b32_e32 v24, v28
	v_mov_b32_e32 v28, v26
	v_mov_b32_e32 v102, v100
	v_mov_b32_e32 v100, v112
	v_mov_b32_e32 v27, v25
	v_mov_b32_e32 v101, v113
.LBB819_483:
	s_or_b32 exec_lo, exec_lo, s12
	v_mov_b32_e32 v25, v31
	v_mov_b32_e32 v113, v65
	v_mov_b32_e32 v26, v32
	v_mov_b32_e32 v112, v64
	s_mov_b32 s12, exec_lo
	v_cmpx_gt_i64_e64 v[29:30], v[31:32]
	s_cbranch_execz .LBB819_485
; %bb.484:
	v_mov_b32_e32 v25, v29
	v_mov_b32_e32 v112, v114
	v_mov_b32_e32 v26, v30
	v_mov_b32_e32 v29, v31
	v_mov_b32_e32 v113, v115
	v_mov_b32_e32 v115, v65
	v_mov_b32_e32 v30, v32
	v_mov_b32_e32 v114, v64
.LBB819_485:
	s_or_b32 exec_lo, exec_lo, s12
	v_mov_b32_e32 v31, v33
	v_mov_b32_e32 v64, v66
	v_mov_b32_e32 v32, v34
	v_mov_b32_e32 v65, v67
	s_mov_b32 s12, exec_lo
	v_cmpx_gt_i64_e64 v[35:36], v[33:34]
	s_cbranch_execz .LBB819_487
; %bb.486:
	v_mov_b32_e32 v31, v35
	v_mov_b32_e32 v64, v68
	v_mov_b32_e32 v32, v36
	v_mov_b32_e32 v36, v34
	v_mov_b32_e32 v65, v69
	v_mov_b32_e32 v69, v67
	v_mov_b32_e32 v35, v33
	v_mov_b32_e32 v68, v66
.LBB819_487:
	s_or_b32 exec_lo, exec_lo, s12
	v_mov_b32_e32 v33, v48
	v_mov_b32_e32 v66, v82
	v_mov_b32_e32 v34, v49
	v_mov_b32_e32 v67, v83
	s_mov_b32 s12, exec_lo
	v_cmpx_gt_i64_e64 v[37:38], v[48:49]
	s_cbranch_execz .LBB819_489
; %bb.488:
	v_mov_b32_e32 v33, v37
	v_mov_b32_e32 v66, v70
	v_mov_b32_e32 v34, v38
	v_mov_b32_e32 v37, v48
	v_mov_b32_e32 v67, v71
	v_mov_b32_e32 v70, v82
	v_mov_b32_e32 v38, v49
	v_mov_b32_e32 v71, v83
.LBB819_489:
	s_or_b32 exec_lo, exec_lo, s12
	v_mov_b32_e32 v49, v20
	v_mov_b32_e32 v82, v96
	v_mov_b32_e32 v48, v19
	v_mov_b32_e32 v83, v97
	s_mov_b32 s12, exec_lo
	v_cmpx_gt_i64_e64 v[50:51], v[19:20]
	s_cbranch_execz .LBB819_491
; %bb.490:
	v_mov_b32_e32 v48, v50
	v_mov_b32_e32 v83, v81
	v_mov_b32_e32 v49, v51
	v_mov_b32_e32 v51, v20
	v_mov_b32_e32 v82, v80
	v_mov_b32_e32 v80, v96
	v_mov_b32_e32 v50, v19
	v_mov_b32_e32 v81, v97
.LBB819_491:
	s_or_b32 exec_lo, exec_lo, s12
	v_mov_b32_e32 v10, v128
	v_mov_b32_e32 v52, v54
	v_mov_b32_e32 v11, v129
	v_mov_b32_e32 v53, v55
	s_mov_b32 s12, exec_lo
	v_cmpx_gt_i64_e64 v[128:129], v[118:119]
	s_cbranch_execz .LBB819_493
; %bb.492:
	v_mov_b32_e32 v10, v118
	v_mov_b32_e32 v52, v84
	v_mov_b32_e32 v11, v119
	v_mov_b32_e32 v53, v85
	v_mov_b32_e32 v85, v55
	v_mov_b32_e32 v118, v128
	v_mov_b32_e32 v84, v54
	v_mov_b32_e32 v119, v129
.LBB819_493:
	s_or_b32 exec_lo, exec_lo, s12
	v_mov_b32_e32 v19, v21
	v_mov_b32_e32 v54, v98
	v_mov_b32_e32 v20, v22
	v_mov_b32_e32 v55, v99
	s_mov_b32 s12, exec_lo
	v_cmpx_gt_i64_e64 v[98:99], v[86:87]
	s_cbranch_execz .LBB819_495
; %bb.494:
	v_mov_b32_e32 v20, v18
	v_mov_b32_e32 v54, v86
	v_mov_b32_e32 v19, v17
	v_mov_b32_e32 v17, v21
	v_mov_b32_e32 v55, v87
	v_mov_b32_e32 v86, v98
	v_mov_b32_e32 v18, v22
	v_mov_b32_e32 v87, v99
.LBB819_495:
	s_or_b32 exec_lo, exec_lo, s12
	v_mov_b32_e32 v21, v27
	v_mov_b32_e32 v96, v100
	v_mov_b32_e32 v22, v28
	v_mov_b32_e32 v97, v101
	s_mov_b32 s12, exec_lo
	v_cmpx_gt_i64_e64 v[0:1], v[27:28]
	s_cbranch_execz .LBB819_497
; %bb.496:
	v_mov_b32_e32 v22, v1
	v_mov_b32_e32 v97, v5
	v_mov_b32_e32 v21, v0
	v_mov_b32_e32 v0, v27
	v_mov_b32_e32 v96, v4
	v_mov_b32_e32 v4, v100
	v_mov_b32_e32 v1, v28
	v_mov_b32_e32 v5, v101
.LBB819_497:
	s_or_b32 exec_lo, exec_lo, s12
	v_mov_b32_e32 v27, v29
	v_mov_b32_e32 v98, v114
	v_mov_b32_e32 v28, v30
	v_mov_b32_e32 v99, v115
	s_mov_b32 s12, exec_lo
	v_cmpx_gt_i64_e64 v[23:24], v[29:30]
	s_cbranch_execz .LBB819_499
; %bb.498:
	v_mov_b32_e32 v28, v24
	v_mov_b32_e32 v98, v102
	v_mov_b32_e32 v27, v23
	v_mov_b32_e32 v23, v29
	v_mov_b32_e32 v99, v103
	v_mov_b32_e32 v102, v114
	v_mov_b32_e32 v24, v30
	v_mov_b32_e32 v103, v115
.LBB819_499:
	s_or_b32 exec_lo, exec_lo, s12
	v_mov_b32_e32 v29, v35
	v_mov_b32_e32 v101, v69
	v_mov_b32_e32 v30, v36
	v_mov_b32_e32 v100, v68
	s_mov_b32 s12, exec_lo
	v_cmpx_gt_i64_e64 v[25:26], v[35:36]
	s_cbranch_execz .LBB819_501
; %bb.500:
	v_mov_b32_e32 v30, v26
	v_mov_b32_e32 v100, v112
	v_mov_b32_e32 v29, v25
	v_mov_b32_e32 v25, v35
	v_mov_b32_e32 v101, v113
	v_mov_b32_e32 v113, v69
	v_mov_b32_e32 v26, v36
	v_mov_b32_e32 v112, v68
.LBB819_501:
	s_or_b32 exec_lo, exec_lo, s12
	v_mov_b32_e32 v35, v37
	v_mov_b32_e32 v68, v70
	v_mov_b32_e32 v36, v38
	v_mov_b32_e32 v69, v71
	s_mov_b32 s12, exec_lo
	v_cmpx_gt_i64_e64 v[31:32], v[37:38]
	s_cbranch_execz .LBB819_503
; %bb.502:
	v_mov_b32_e32 v36, v32
	v_mov_b32_e32 v69, v65
	v_mov_b32_e32 v35, v31
	v_mov_b32_e32 v31, v37
	v_mov_b32_e32 v68, v64
	v_mov_b32_e32 v64, v70
	v_mov_b32_e32 v32, v38
	v_mov_b32_e32 v65, v71
.LBB819_503:
	s_or_b32 exec_lo, exec_lo, s12
	v_mov_b32_e32 v37, v50
	v_mov_b32_e32 v70, v80
	v_mov_b32_e32 v38, v51
	v_mov_b32_e32 v71, v81
	s_mov_b32 s12, exec_lo
	v_cmpx_gt_i64_e64 v[33:34], v[50:51]
	s_cbranch_execz .LBB819_505
; %bb.504:
	v_mov_b32_e32 v38, v34
	v_mov_b32_e32 v71, v67
	v_mov_b32_e32 v37, v33
	v_mov_b32_e32 v33, v50
	v_mov_b32_e32 v70, v66
	v_mov_b32_e32 v66, v80
	v_mov_b32_e32 v34, v51
	v_mov_b32_e32 v67, v81
.LBB819_505:
	s_or_b32 exec_lo, exec_lo, s12
	v_mov_b32_e32 v117, v11
	v_mov_b32_e32 v80, v84
	v_mov_b32_e32 v116, v10
	v_mov_b32_e32 v81, v85
	s_mov_b32 s12, exec_lo
	v_cmpx_gt_i64_e64 v[48:49], v[10:11]
	s_cbranch_execz .LBB819_507
; %bb.506:
	v_mov_b32_e32 v117, v49
	v_mov_b32_e32 v80, v82
	v_mov_b32_e32 v116, v48
	v_mov_b32_e32 v49, v11
	v_mov_b32_e32 v81, v83
	v_mov_b32_e32 v82, v84
	v_mov_b32_e32 v48, v10
	v_mov_b32_e32 v83, v85
.LBB819_507:
	s_or_b32 exec_lo, exec_lo, s12
	v_mov_b32_e32 v51, v18
	v_mov_b32_e32 v131, v119
	v_mov_b32_e32 v50, v17
	v_mov_b32_e32 v130, v118
	s_mov_b32 s12, exec_lo
	v_cmpx_gt_i64_e64 v[118:119], v[54:55]
	s_cbranch_execz .LBB819_509
; %bb.508:
	v_mov_b32_e32 v50, v52
	v_mov_b32_e32 v131, v55
	v_mov_b32_e32 v51, v53
	v_mov_b32_e32 v53, v18
	v_mov_b32_e32 v130, v54
	v_mov_b32_e32 v54, v118
	v_mov_b32_e32 v52, v17
	v_mov_b32_e32 v55, v119
.LBB819_509:
	s_or_b32 exec_lo, exec_lo, s12
	v_mov_b32_e32 v11, v9
	v_mov_b32_e32 v84, v86
	v_mov_b32_e32 v10, v8
	v_mov_b32_e32 v85, v87
	s_mov_b32 s12, exec_lo
	v_cmpx_gt_i64_e64 v[86:87], v[15:16]
	s_cbranch_execz .LBB819_511
; %bb.510:
	v_mov_b32_e32 v10, v19
	v_mov_b32_e32 v85, v16
	v_mov_b32_e32 v11, v20
	v_mov_b32_e32 v20, v9
	v_mov_b32_e32 v84, v15
	v_mov_b32_e32 v15, v86
	v_mov_b32_e32 v19, v8
	v_mov_b32_e32 v16, v87
.LBB819_511:
	s_or_b32 exec_lo, exec_lo, s12
	v_mov_b32_e32 v8, v23
	v_mov_b32_e32 v86, v102
	v_mov_b32_e32 v9, v24
	v_mov_b32_e32 v87, v103
	s_mov_b32 s12, exec_lo
	v_cmpx_gt_i64_e64 v[21:22], v[23:24]
	s_cbranch_execz .LBB819_513
; %bb.512:
	v_mov_b32_e32 v8, v21
	v_mov_b32_e32 v86, v96
	v_mov_b32_e32 v9, v22
	v_mov_b32_e32 v21, v23
	v_mov_b32_e32 v87, v97
	v_mov_b32_e32 v96, v102
	v_mov_b32_e32 v22, v24
	v_mov_b32_e32 v97, v103
.LBB819_513:
	s_or_b32 exec_lo, exec_lo, s12
	v_mov_b32_e32 v17, v25
	v_mov_b32_e32 v102, v112
	v_mov_b32_e32 v18, v26
	v_mov_b32_e32 v103, v113
	s_mov_b32 s12, exec_lo
	v_cmpx_gt_i64_e64 v[27:28], v[25:26]
	s_cbranch_execz .LBB819_515
; %bb.514:
	v_mov_b32_e32 v17, v27
	v_mov_b32_e32 v103, v99
	v_mov_b32_e32 v18, v28
	v_mov_b32_e32 v28, v26
	v_mov_b32_e32 v102, v98
	v_mov_b32_e32 v98, v112
	v_mov_b32_e32 v27, v25
	v_mov_b32_e32 v99, v113
.LBB819_515:
	s_or_b32 exec_lo, exec_lo, s12
	v_mov_b32_e32 v23, v31
	v_mov_b32_e32 v113, v65
	v_mov_b32_e32 v24, v32
	v_mov_b32_e32 v112, v64
	s_mov_b32 s12, exec_lo
	v_cmpx_gt_i64_e64 v[29:30], v[31:32]
	s_cbranch_execz .LBB819_517
; %bb.516:
	v_mov_b32_e32 v23, v29
	v_mov_b32_e32 v113, v101
	v_mov_b32_e32 v24, v30
	v_mov_b32_e32 v29, v31
	v_mov_b32_e32 v112, v100
	v_mov_b32_e32 v101, v65
	v_mov_b32_e32 v30, v32
	v_mov_b32_e32 v100, v64
.LBB819_517:
	s_or_b32 exec_lo, exec_lo, s12
	v_mov_b32_e32 v25, v33
	v_mov_b32_e32 v115, v67
	v_mov_b32_e32 v26, v34
	v_mov_b32_e32 v114, v66
	s_mov_b32 s12, exec_lo
	v_cmpx_gt_i64_e64 v[35:36], v[33:34]
	s_cbranch_execz .LBB819_519
; %bb.518:
	v_mov_b32_e32 v25, v35
	v_mov_b32_e32 v115, v69
	v_mov_b32_e32 v26, v36
	v_mov_b32_e32 v36, v34
	v_mov_b32_e32 v114, v68
	v_mov_b32_e32 v69, v67
	v_mov_b32_e32 v35, v33
	v_mov_b32_e32 v68, v66
.LBB819_519:
	s_or_b32 exec_lo, exec_lo, s12
	v_mov_b32_e32 v31, v48
	v_mov_b32_e32 v66, v82
	v_mov_b32_e32 v32, v49
	v_mov_b32_e32 v67, v83
	s_mov_b32 s12, exec_lo
	v_cmpx_gt_i64_e64 v[37:38], v[48:49]
	s_cbranch_execz .LBB819_521
; %bb.520:
	v_mov_b32_e32 v31, v37
	v_mov_b32_e32 v66, v70
	v_mov_b32_e32 v32, v38
	v_mov_b32_e32 v37, v48
	v_mov_b32_e32 v67, v71
	v_mov_b32_e32 v70, v82
	v_mov_b32_e32 v38, v49
	v_mov_b32_e32 v71, v83
.LBB819_521:
	s_or_b32 exec_lo, exec_lo, s12
	v_mov_b32_e32 v133, v117
	v_mov_b32_e32 v65, v53
	v_mov_b32_e32 v132, v116
	v_mov_b32_e32 v64, v52
	s_mov_b32 s12, exec_lo
	v_cmpx_gt_i64_e64 v[116:117], v[130:131]
	s_cbranch_execz .LBB819_523
; %bb.522:
	v_mov_b32_e32 v133, v131
	v_mov_b32_e32 v64, v80
	v_mov_b32_e32 v132, v130
	v_mov_b32_e32 v65, v81
	v_mov_b32_e32 v81, v53
	v_mov_b32_e32 v131, v117
	v_mov_b32_e32 v80, v52
	v_mov_b32_e32 v130, v116
.LBB819_523:
	s_or_b32 exec_lo, exec_lo, s12
	v_mov_b32_e32 v34, v20
	v_mov_b32_e32 v83, v55
	v_mov_b32_e32 v33, v19
	v_mov_b32_e32 v82, v54
	s_mov_b32 s12, exec_lo
	v_cmpx_gt_i64_e64 v[54:55], v[84:85]
	s_cbranch_execz .LBB819_525
; %bb.524:
	v_mov_b32_e32 v33, v50
	v_mov_b32_e32 v82, v84
	v_mov_b32_e32 v34, v51
	v_mov_b32_e32 v51, v20
	v_mov_b32_e32 v83, v85
	v_mov_b32_e32 v85, v55
	v_mov_b32_e32 v50, v19
	v_mov_b32_e32 v84, v54
.LBB819_525:
	s_or_b32 exec_lo, exec_lo, s12
	v_mov_b32_e32 v49, v22
	v_mov_b32_e32 v117, v97
	v_mov_b32_e32 v48, v21
	v_mov_b32_e32 v116, v96
	s_mov_b32 s12, exec_lo
	v_cmpx_gt_i64_e64 v[0:1], v[21:22]
	s_cbranch_execz .LBB819_527
; %bb.526:
	v_mov_b32_e32 v49, v1
	v_mov_b32_e32 v117, v5
	v_mov_b32_e32 v48, v0
	v_mov_b32_e32 v0, v21
	v_mov_b32_e32 v116, v4
	v_mov_b32_e32 v4, v96
	v_mov_b32_e32 v1, v22
	v_mov_b32_e32 v5, v97
.LBB819_527:
	s_or_b32 exec_lo, exec_lo, s12
	v_mov_b32_e32 v21, v27
	v_mov_b32_e32 v96, v98
	v_mov_b32_e32 v22, v28
	v_mov_b32_e32 v97, v99
	s_mov_b32 s12, exec_lo
	v_cmpx_gt_i64_e64 v[8:9], v[27:28]
	s_cbranch_execz .LBB819_529
; %bb.528:
	v_mov_b32_e32 v22, v9
	v_mov_b32_e32 v97, v87
	v_mov_b32_e32 v21, v8
	v_mov_b32_e32 v8, v27
	v_mov_b32_e32 v96, v86
	v_mov_b32_e32 v86, v98
	v_mov_b32_e32 v9, v28
	v_mov_b32_e32 v87, v99
.LBB819_529:
	s_or_b32 exec_lo, exec_lo, s12
	v_mov_b32_e32 v27, v29
	v_mov_b32_e32 v98, v100
	v_mov_b32_e32 v28, v30
	v_mov_b32_e32 v99, v101
	s_mov_b32 s12, exec_lo
	v_cmpx_gt_i64_e64 v[17:18], v[29:30]
	s_cbranch_execz .LBB819_531
; %bb.530:
	v_mov_b32_e32 v28, v18
	v_mov_b32_e32 v98, v102
	v_mov_b32_e32 v27, v17
	v_mov_b32_e32 v17, v29
	v_mov_b32_e32 v99, v103
	v_mov_b32_e32 v103, v101
	v_mov_b32_e32 v18, v30
	v_mov_b32_e32 v102, v100
.LBB819_531:
	s_or_b32 exec_lo, exec_lo, s12
	v_mov_b32_e32 v29, v35
	v_mov_b32_e32 v119, v69
	v_mov_b32_e32 v30, v36
	v_mov_b32_e32 v118, v68
	s_mov_b32 s12, exec_lo
	v_cmpx_gt_i64_e64 v[23:24], v[35:36]
	s_cbranch_execz .LBB819_533
; %bb.532:
	v_mov_b32_e32 v30, v24
	v_mov_b32_e32 v119, v113
	v_mov_b32_e32 v29, v23
	v_mov_b32_e32 v23, v35
	v_mov_b32_e32 v118, v112
	v_mov_b32_e32 v113, v69
	v_mov_b32_e32 v24, v36
	v_mov_b32_e32 v112, v68
.LBB819_533:
	s_or_b32 exec_lo, exec_lo, s12
	v_mov_b32_e32 v53, v38
	v_mov_b32_e32 v129, v71
	v_mov_b32_e32 v52, v37
	v_mov_b32_e32 v128, v70
	s_mov_b32 s12, exec_lo
	v_cmpx_gt_i64_e64 v[25:26], v[37:38]
	s_cbranch_execz .LBB819_535
; %bb.534:
	v_mov_b32_e32 v53, v26
	v_mov_b32_e32 v129, v115
	v_mov_b32_e32 v52, v25
	v_mov_b32_e32 v25, v37
	v_mov_b32_e32 v128, v114
	v_mov_b32_e32 v115, v71
	v_mov_b32_e32 v26, v38
	v_mov_b32_e32 v114, v70
.LBB819_535:
	s_or_b32 exec_lo, exec_lo, s12
	v_mov_b32_e32 v149, v133
	v_mov_b32_e32 v70, v80
	v_mov_b32_e32 v148, v132
	v_mov_b32_e32 v71, v81
	s_mov_b32 s12, exec_lo
	v_cmpx_gt_i64_e64 v[31:32], v[132:133]
	s_cbranch_execz .LBB819_537
; %bb.536:
	v_mov_b32_e32 v149, v32
	v_mov_b32_e32 v71, v67
	v_mov_b32_e32 v148, v31
	v_mov_b32_e32 v31, v132
	v_mov_b32_e32 v70, v66
	v_mov_b32_e32 v66, v80
	v_mov_b32_e32 v32, v133
	v_mov_b32_e32 v67, v81
.LBB819_537:
	s_or_b32 exec_lo, exec_lo, s12
	v_mov_b32_e32 v36, v50
	v_mov_b32_e32 v147, v131
	v_mov_b32_e32 v37, v51
	v_mov_b32_e32 v146, v130
	s_mov_b32 s12, exec_lo
	v_cmpx_gt_i64_e64 v[130:131], v[82:83]
	s_cbranch_execz .LBB819_539
; %bb.538:
	v_mov_b32_e32 v36, v64
	v_mov_b32_e32 v147, v83
	v_mov_b32_e32 v37, v65
	v_mov_b32_e32 v65, v51
	v_mov_b32_e32 v146, v82
	v_mov_b32_e32 v82, v130
	v_mov_b32_e32 v64, v50
	v_mov_b32_e32 v83, v131
.LBB819_539:
	s_or_b32 exec_lo, exec_lo, s12
	v_mov_b32_e32 v20, v11
	v_mov_b32_e32 v131, v85
	v_mov_b32_e32 v19, v10
	v_mov_b32_e32 v130, v84
	s_mov_b32 s12, exec_lo
	v_cmpx_gt_i64_e64 v[84:85], v[15:16]
	s_cbranch_execz .LBB819_541
; %bb.540:
	v_mov_b32_e32 v19, v33
	v_mov_b32_e32 v131, v16
	v_mov_b32_e32 v20, v34
	v_mov_b32_e32 v34, v11
	v_mov_b32_e32 v130, v15
	v_mov_b32_e32 v15, v84
	v_mov_b32_e32 v33, v10
	v_mov_b32_e32 v16, v85
.LBB819_541:
	s_or_b32 exec_lo, exec_lo, s12
	v_mov_b32_e32 v11, v9
	v_mov_b32_e32 v133, v87
	v_mov_b32_e32 v10, v8
	v_mov_b32_e32 v132, v86
	s_mov_b32 s12, exec_lo
	v_cmpx_gt_i64_e64 v[48:49], v[8:9]
	s_cbranch_execz .LBB819_543
; %bb.542:
	v_mov_b32_e32 v10, v48
	v_mov_b32_e32 v133, v117
	v_mov_b32_e32 v11, v49
	v_mov_b32_e32 v49, v9
	v_mov_b32_e32 v132, v116
	v_mov_b32_e32 v117, v87
	v_mov_b32_e32 v48, v8
	v_mov_b32_e32 v116, v86
.LBB819_543:
	s_or_b32 exec_lo, exec_lo, s12
	v_mov_b32_e32 v39, v18
	v_mov_b32_e32 v135, v103
	v_mov_b32_e32 v38, v17
	v_mov_b32_e32 v134, v102
	s_mov_b32 s12, exec_lo
	v_cmpx_gt_i64_e64 v[21:22], v[17:18]
	s_cbranch_execz .LBB819_545
; %bb.544:
	v_mov_b32_e32 v39, v22
	v_mov_b32_e32 v135, v97
	v_mov_b32_e32 v38, v21
	v_mov_b32_e32 v22, v18
	v_mov_b32_e32 v134, v96
	v_mov_b32_e32 v96, v102
	v_mov_b32_e32 v21, v17
	v_mov_b32_e32 v97, v103
.LBB819_545:
	s_or_b32 exec_lo, exec_lo, s12
	v_mov_b32_e32 v55, v24
	v_mov_b32_e32 v102, v112
	v_mov_b32_e32 v54, v23
	v_mov_b32_e32 v103, v113
	s_mov_b32 s12, exec_lo
	v_cmpx_gt_i64_e64 v[27:28], v[23:24]
	s_cbranch_execz .LBB819_547
; %bb.546:
	v_mov_b32_e32 v55, v28
	v_mov_b32_e32 v103, v99
	v_mov_b32_e32 v54, v27
	v_mov_b32_e32 v28, v24
	v_mov_b32_e32 v102, v98
	v_mov_b32_e32 v98, v112
	v_mov_b32_e32 v27, v23
	v_mov_b32_e32 v99, v113
.LBB819_547:
	s_or_b32 exec_lo, exec_lo, s12
	v_mov_b32_e32 v69, v26
	v_mov_b32_e32 v145, v115
	v_mov_b32_e32 v68, v25
	v_mov_b32_e32 v144, v114
	s_mov_b32 s12, exec_lo
	v_cmpx_gt_i64_e64 v[29:30], v[25:26]
	s_cbranch_execz .LBB819_549
; %bb.548:
	v_mov_b32_e32 v69, v30
	v_mov_b32_e32 v145, v119
	v_mov_b32_e32 v68, v29
	v_mov_b32_e32 v30, v26
	v_mov_b32_e32 v144, v118
	v_mov_b32_e32 v119, v115
	v_mov_b32_e32 v29, v25
	v_mov_b32_e32 v118, v114
.LBB819_549:
	s_or_b32 exec_lo, exec_lo, s12
	v_mov_b32_e32 v87, v32
	v_mov_b32_e32 v115, v67
	v_mov_b32_e32 v86, v31
	v_mov_b32_e32 v114, v66
	s_mov_b32 s12, exec_lo
	v_cmpx_gt_i64_e64 v[52:53], v[31:32]
	s_cbranch_execz .LBB819_551
; %bb.550:
	v_mov_b32_e32 v87, v53
	v_mov_b32_e32 v114, v128
	v_mov_b32_e32 v86, v52
	v_mov_b32_e32 v53, v32
	v_mov_b32_e32 v115, v129
	v_mov_b32_e32 v129, v67
	v_mov_b32_e32 v52, v31
	v_mov_b32_e32 v128, v66
.LBB819_551:
	s_or_b32 exec_lo, exec_lo, s12
	v_mov_b32_e32 v112, v148
	v_mov_b32_e32 v101, v65
	v_mov_b32_e32 v113, v149
	v_mov_b32_e32 v100, v64
	s_mov_b32 s12, exec_lo
	v_cmpx_gt_i64_e64 v[148:149], v[146:147]
	s_cbranch_execz .LBB819_553
; %bb.552:
	v_mov_b32_e32 v112, v146
	v_mov_b32_e32 v101, v71
	v_mov_b32_e32 v113, v147
	v_mov_b32_e32 v100, v70
	v_mov_b32_e32 v71, v65
	v_mov_b32_e32 v146, v148
	v_mov_b32_e32 v70, v64
	v_mov_b32_e32 v147, v149
.LBB819_553:
	s_or_b32 exec_lo, exec_lo, s12
	v_mov_b32_e32 v85, v34
	v_mov_b32_e32 v80, v82
	v_mov_b32_e32 v84, v33
	v_mov_b32_e32 v81, v83
	s_mov_b32 s12, exec_lo
	v_cmpx_gt_i64_e64 v[82:83], v[130:131]
	s_cbranch_execz .LBB819_555
; %bb.554:
	v_mov_b32_e32 v85, v37
	v_mov_b32_e32 v80, v130
	v_mov_b32_e32 v84, v36
	v_mov_b32_e32 v37, v34
	v_mov_b32_e32 v81, v131
	v_mov_b32_e32 v131, v83
	v_mov_b32_e32 v36, v33
	v_mov_b32_e32 v130, v82
.LBB819_555:
	s_or_b32 exec_lo, exec_lo, s12
	v_mov_b32_e32 v8, v48
	v_mov_b32_e32 v17, v116
	v_mov_b32_e32 v9, v49
	v_mov_b32_e32 v18, v117
	s_mov_b32 s12, exec_lo
	v_cmpx_gt_i64_e64 v[0:1], v[48:49]
	s_cbranch_execz .LBB819_557
; %bb.556:
	v_mov_b32_e32 v9, v1
	v_mov_b32_e32 v18, v5
	v_mov_b32_e32 v8, v0
	v_mov_b32_e32 v0, v48
	v_mov_b32_e32 v17, v4
	v_mov_b32_e32 v4, v116
	v_mov_b32_e32 v1, v49
	v_mov_b32_e32 v5, v117
.LBB819_557:
	s_or_b32 exec_lo, exec_lo, s12
	v_mov_b32_e32 v24, v22
	v_mov_b32_e32 v25, v96
	v_mov_b32_e32 v23, v21
	v_mov_b32_e32 v26, v97
	s_mov_b32 s12, exec_lo
	v_cmpx_gt_i64_e64 v[10:11], v[21:22]
	s_cbranch_execz .LBB819_559
; %bb.558:
	v_mov_b32_e32 v24, v11
	v_mov_b32_e32 v25, v132
	v_mov_b32_e32 v23, v10
	v_mov_b32_e32 v10, v21
	v_mov_b32_e32 v26, v133
	v_mov_b32_e32 v133, v97
	v_mov_b32_e32 v11, v22
	v_mov_b32_e32 v132, v96
.LBB819_559:
	s_or_b32 exec_lo, exec_lo, s12
	v_mov_b32_e32 v33, v28
	v_mov_b32_e32 v34, v98
	v_mov_b32_e32 v32, v27
	v_mov_b32_e32 v35, v99
	s_mov_b32 s12, exec_lo
	v_cmpx_gt_i64_e64 v[38:39], v[27:28]
	s_cbranch_execz .LBB819_561
; %bb.560:
	v_mov_b32_e32 v32, v38
	v_mov_b32_e32 v34, v134
	v_mov_b32_e32 v33, v39
	v_mov_b32_e32 v39, v28
	v_mov_b32_e32 v35, v135
	v_mov_b32_e32 v135, v99
	v_mov_b32_e32 v38, v27
	v_mov_b32_e32 v134, v98
.LBB819_561:
	s_or_b32 exec_lo, exec_lo, s12
	v_mov_b32_e32 v49, v30
	v_mov_b32_e32 v50, v118
	v_mov_b32_e32 v48, v29
	v_mov_b32_e32 v51, v119
	s_mov_b32 s12, exec_lo
	v_cmpx_gt_i64_e64 v[54:55], v[29:30]
	s_cbranch_execz .LBB819_563
; %bb.562:
	v_mov_b32_e32 v48, v54
	v_mov_b32_e32 v50, v102
	v_mov_b32_e32 v49, v55
	v_mov_b32_e32 v55, v30
	v_mov_b32_e32 v51, v103
	v_mov_b32_e32 v102, v118
	v_mov_b32_e32 v54, v29
	v_mov_b32_e32 v103, v119
.LBB819_563:
	s_or_b32 exec_lo, exec_lo, s12
	v_mov_b32_e32 v65, v53
	v_mov_b32_e32 v66, v128
	v_mov_b32_e32 v64, v52
	v_mov_b32_e32 v67, v129
	s_mov_b32 s12, exec_lo
	v_cmpx_gt_i64_e64 v[68:69], v[52:53]
	s_cbranch_execz .LBB819_565
; %bb.564:
	v_mov_b32_e32 v64, v68
	v_mov_b32_e32 v66, v144
	v_mov_b32_e32 v65, v69
	v_mov_b32_e32 v69, v53
	v_mov_b32_e32 v67, v145
	v_mov_b32_e32 v145, v129
	v_mov_b32_e32 v68, v52
	v_mov_b32_e32 v144, v128
.LBB819_565:
	s_or_b32 exec_lo, exec_lo, s12
	v_mov_b32_e32 v117, v113
	v_mov_b32_e32 v83, v71
	v_mov_b32_e32 v116, v112
	v_mov_b32_e32 v82, v70
	s_mov_b32 s12, exec_lo
	v_cmpx_gt_i64_e64 v[86:87], v[112:113]
	s_cbranch_execz .LBB819_567
; %bb.566:
	v_mov_b32_e32 v117, v87
	v_mov_b32_e32 v82, v114
	v_mov_b32_e32 v116, v86
	v_mov_b32_e32 v86, v112
	v_mov_b32_e32 v83, v115
	v_mov_b32_e32 v115, v71
	v_mov_b32_e32 v87, v113
	v_mov_b32_e32 v114, v70
.LBB819_567:
	s_or_b32 exec_lo, exec_lo, s12
	v_mov_b32_e32 v119, v37
	v_mov_b32_e32 v96, v146
	v_mov_b32_e32 v118, v36
	v_mov_b32_e32 v97, v147
	s_mov_b32 s12, exec_lo
	v_cmpx_gt_i64_e64 v[146:147], v[80:81]
	s_cbranch_execz .LBB819_569
; %bb.568:
	v_mov_b32_e32 v119, v101
	v_mov_b32_e32 v97, v81
	v_mov_b32_e32 v118, v100
	v_mov_b32_e32 v101, v37
	v_mov_b32_e32 v96, v80
	v_mov_b32_e32 v80, v146
	v_mov_b32_e32 v100, v36
	v_mov_b32_e32 v81, v147
.LBB819_569:
	s_or_b32 exec_lo, exec_lo, s12
	v_mov_b32_e32 v113, v20
	v_mov_b32_e32 v128, v130
	v_mov_b32_e32 v112, v19
	v_mov_b32_e32 v129, v131
	s_mov_b32 s12, exec_lo
	v_cmpx_gt_i64_e64 v[130:131], v[15:16]
	s_cbranch_execz .LBB819_571
; %bb.570:
	v_mov_b32_e32 v113, v85
	v_mov_b32_e32 v129, v16
	v_mov_b32_e32 v112, v84
	v_mov_b32_e32 v85, v20
	v_mov_b32_e32 v128, v15
	v_mov_b32_e32 v15, v130
	v_mov_b32_e32 v84, v19
	v_mov_b32_e32 v16, v131
.LBB819_571:
	s_or_b32 exec_lo, exec_lo, s12
	v_mov_b32_e32 v20, v11
	v_mov_b32_e32 v21, v132
	v_mov_b32_e32 v19, v10
	v_mov_b32_e32 v22, v133
	s_mov_b32 s12, exec_lo
	v_cmpx_gt_i64_e64 v[8:9], v[10:11]
	s_cbranch_execz .LBB819_573
; %bb.572:
	v_mov_b32_e32 v20, v9
	v_mov_b32_e32 v22, v18
	v_mov_b32_e32 v19, v8
	v_mov_b32_e32 v8, v10
	v_mov_b32_e32 v21, v17
	v_mov_b32_e32 v17, v132
	v_mov_b32_e32 v9, v11
	v_mov_b32_e32 v18, v133
.LBB819_573:
	s_or_b32 exec_lo, exec_lo, s12
	v_mov_b32_e32 v27, v38
	v_mov_b32_e32 v29, v134
	v_mov_b32_e32 v28, v39
	v_mov_b32_e32 v30, v135
	s_mov_b32 s12, exec_lo
	v_cmpx_gt_i64_e64 v[23:24], v[38:39]
	s_cbranch_execz .LBB819_575
; %bb.574:
	v_mov_b32_e32 v28, v24
	v_mov_b32_e32 v30, v26
	v_mov_b32_e32 v27, v23
	v_mov_b32_e32 v23, v38
	v_mov_b32_e32 v29, v25
	v_mov_b32_e32 v25, v134
	v_mov_b32_e32 v24, v39
	v_mov_b32_e32 v26, v135
.LBB819_575:
	s_or_b32 exec_lo, exec_lo, s12
	v_mov_b32_e32 v36, v54
	v_mov_b32_e32 v38, v102
	v_mov_b32_e32 v37, v55
	v_mov_b32_e32 v39, v103
	s_mov_b32 s12, exec_lo
	v_cmpx_gt_i64_e64 v[32:33], v[54:55]
	s_cbranch_execz .LBB819_577
; %bb.576:
	v_mov_b32_e32 v37, v33
	v_mov_b32_e32 v39, v35
	v_mov_b32_e32 v36, v32
	v_mov_b32_e32 v32, v54
	v_mov_b32_e32 v38, v34
	v_mov_b32_e32 v34, v102
	v_mov_b32_e32 v33, v55
	v_mov_b32_e32 v35, v103
.LBB819_577:
	s_or_b32 exec_lo, exec_lo, s12
	v_mov_b32_e32 v52, v68
	v_mov_b32_e32 v54, v144
	v_mov_b32_e32 v53, v69
	v_mov_b32_e32 v55, v145
	s_mov_b32 s12, exec_lo
	v_cmpx_gt_i64_e64 v[48:49], v[68:69]
	s_cbranch_execz .LBB819_579
; %bb.578:
	v_mov_b32_e32 v53, v49
	v_mov_b32_e32 v55, v51
	v_mov_b32_e32 v52, v48
	v_mov_b32_e32 v48, v68
	v_mov_b32_e32 v54, v50
	v_mov_b32_e32 v50, v144
	v_mov_b32_e32 v49, v69
	v_mov_b32_e32 v51, v145
.LBB819_579:
	s_or_b32 exec_lo, exec_lo, s12
	v_mov_b32_e32 v70, v86
	v_mov_b32_e32 v68, v114
	v_mov_b32_e32 v71, v87
	v_mov_b32_e32 v69, v115
	s_mov_b32 s12, exec_lo
	v_cmpx_gt_i64_e64 v[64:65], v[86:87]
	s_cbranch_execz .LBB819_581
; %bb.580:
	v_mov_b32_e32 v71, v65
	v_mov_b32_e32 v69, v67
	v_mov_b32_e32 v70, v64
	v_mov_b32_e32 v64, v86
	v_mov_b32_e32 v68, v66
	v_mov_b32_e32 v66, v114
	v_mov_b32_e32 v65, v87
	v_mov_b32_e32 v67, v115
.LBB819_581:
	s_or_b32 exec_lo, exec_lo, s12
	v_mov_b32_e32 v98, v116
	v_mov_b32_e32 v86, v100
	v_mov_b32_e32 v99, v117
	v_mov_b32_e32 v87, v101
	s_mov_b32 s12, exec_lo
	v_cmpx_gt_i64_e64 v[116:117], v[96:97]
	s_cbranch_execz .LBB819_583
; %bb.582:
	v_mov_b32_e32 v99, v97
	v_mov_b32_e32 v87, v83
	v_mov_b32_e32 v98, v96
	v_mov_b32_e32 v86, v82
	v_mov_b32_e32 v82, v100
	v_mov_b32_e32 v96, v116
	v_mov_b32_e32 v83, v101
	v_mov_b32_e32 v97, v117
.LBB819_583:
	s_or_b32 exec_lo, exec_lo, s12
	v_mov_b32_e32 v102, v128
	v_mov_b32_e32 v100, v118
	v_mov_b32_e32 v103, v129
	v_mov_b32_e32 v101, v119
	s_mov_b32 s12, exec_lo
	v_cmpx_gt_i64_e64 v[80:81], v[128:129]
	s_cbranch_execz .LBB819_585
; %bb.584:
	v_mov_b32_e32 v103, v81
	v_mov_b32_e32 v101, v85
	;; [unrolled: 1-line block ×8, first 2 shown]
.LBB819_585:
	s_or_b32 exec_lo, exec_lo, s12
.LBB819_586:
	s_or_b32 exec_lo, exec_lo, s9
	v_and_b32_e32 v10, 0xfffffe00, v151
	v_or_b32_e32 v11, 16, v150
	v_and_b32_e32 v134, 0x1e0, v150
	s_mov_b32 s9, exec_lo
	v_sub_nc_u32_e64 v115, 0x1000, v10 clamp
	v_lshlrev_b32_e32 v31, 3, v10
	v_and_b32_e32 v10, 16, v150
	v_min_u32_e32 v132, v115, v11
	v_lshl_or_b32 v114, v150, 3, v31
	v_min_u32_e32 v135, v115, v10
	v_add_nc_u32_e32 v11, 16, v132
	v_add_nc_u32_e32 v129, 0x8000, v114
	v_add_nc_u32_e32 v119, 0x8010, v114
	v_add_nc_u32_e32 v128, 0x8020, v114
	v_add_nc_u32_e32 v117, 0x8030, v114
	v_min_u32_e32 v133, v115, v11
	v_sub_nc_u32_e32 v11, v132, v134
	v_add_nc_u32_e32 v118, 0x8040, v114
	v_add_nc_u32_e32 v116, 0x8050, v114
	;; [unrolled: 1-line block ×3, first 2 shown]
	v_sub_nc_u32_e32 v10, v133, v132
	v_min_u32_e32 v144, v135, v11
	v_add_nc_u32_e32 v131, 0x8070, v114
	v_lshl_or_b32 v11, v134, 3, v31
	ds_write2_b64 v114, v[0:1], v[8:9] offset1:1
	v_sub_nc_u32_e64 v10, v135, v10 clamp
	ds_write2_b64 v114, v[19:20], v[23:24] offset0:2 offset1:3
	ds_write2_b64 v114, v[27:28], v[32:33] offset0:4 offset1:5
	;; [unrolled: 1-line block ×4, first 2 shown]
	ds_write2_b64 v129, v[4:5], v[17:18] offset1:1
	ds_write2_b64 v119, v[21:22], v[25:26] offset1:1
	;; [unrolled: 1-line block ×5, first 2 shown]
	ds_write2_b64 v114, v[70:71], v[98:99] offset0:10 offset1:11
	ds_write2_b64 v116, v[68:69], v[82:83] offset1:1
	ds_write2_b64 v114, v[96:97], v[80:81] offset0:12 offset1:13
	ds_write2_b64 v130, v[86:87], v[100:101] offset1:1
	;; [unrolled: 2-line block ×3, first 2 shown]
	; wave barrier
	v_cmpx_lt_u32_e64 v10, v144
	s_cbranch_execz .LBB819_590
; %bb.587:
	v_lshlrev_b32_e32 v145, 3, v132
	v_lshlrev_b32_e32 v146, 3, v135
	s_mov_b32 s12, 0
	v_add3_u32 v145, v31, v145, v146
	.p2align	6
.LBB819_588:                            ; =>This Inner Loop Header: Depth=1
	v_add_nc_u32_e32 v146, v144, v10
	v_lshrrev_b32_e32 v151, 1, v146
	v_not_b32_e32 v146, v151
	v_lshl_add_u32 v147, v151, 3, v11
	v_lshl_add_u32 v148, v146, 3, v145
	ds_read_b64 v[146:147], v147
	ds_read_b64 v[148:149], v148
	s_waitcnt lgkmcnt(0)
	v_cmp_gt_i64_e64 s8, v[146:147], v[148:149]
	v_add_nc_u32_e32 v146, 1, v151
	v_cndmask_b32_e64 v144, v144, v151, s8
	v_cndmask_b32_e64 v10, v146, v10, s8
	v_cmp_ge_u32_e64 s8, v10, v144
	s_or_b32 s12, s8, s12
	s_andn2_b32 exec_lo, exec_lo, s12
	s_cbranch_execnz .LBB819_588
; %bb.589:
	s_or_b32 exec_lo, exec_lo, s12
.LBB819_590:
	s_or_b32 exec_lo, exec_lo, s9
	v_add_nc_u32_e32 v135, v132, v135
	v_add_nc_u32_e32 v134, v10, v134
	v_sub_nc_u32_e32 v135, v135, v10
	v_cmp_le_u32_e64 s8, v134, v132
	v_cmp_le_u32_e64 s9, v135, v133
	s_or_b32 s8, s8, s9
	s_and_saveexec_b32 s13, s8
	s_cbranch_execz .LBB819_596
; %bb.591:
	v_cmp_lt_u32_e64 s8, v134, v132
                                        ; implicit-def: $vgpr8_vgpr9
	s_and_saveexec_b32 s9, s8
; %bb.592:
	v_lshl_add_u32 v0, v10, 3, v11
	ds_read_b64 v[8:9], v0
; %bb.593:
	s_or_b32 exec_lo, exec_lo, s9
	v_cmp_ge_u32_e64 s9, v135, v133
	s_mov_b32 s23, exec_lo
                                        ; implicit-def: $vgpr10_vgpr11
	v_cmpx_lt_u32_e64 v135, v133
; %bb.594:
	v_lshl_add_u32 v0, v135, 3, v31
	ds_read_b64 v[10:11], v0
; %bb.595:
	s_or_b32 exec_lo, exec_lo, s23
	s_waitcnt lgkmcnt(0)
	v_cmp_le_i64_e64 s12, v[8:9], v[10:11]
	s_and_b32 s8, s8, s12
	s_or_b32 s8, s9, s8
	v_cndmask_b32_e64 v15, v135, v134, s8
	v_cndmask_b32_e64 v16, v133, v132, s8
	v_cndmask_b32_e64 v1, v11, v9, s8
	v_cndmask_b32_e64 v0, v10, v8, s8
	v_lshl_add_u32 v4, v15, 3, v31
	v_add_nc_u32_e32 v17, 1, v15
	v_add_nc_u32_e32 v15, -1, v16
	ds_read_b64 v[4:5], v4 offset:32768
	v_cndmask_b32_e64 v22, v134, v17, s8
	v_min_u32_e32 v15, v17, v15
	v_cndmask_b32_e64 v21, v17, v135, s8
	v_cmp_lt_u32_e64 s9, v22, v132
	v_lshl_add_u32 v15, v15, 3, v31
	ds_read_b64 v[15:16], v15
	s_waitcnt lgkmcnt(0)
	v_cndmask_b32_e64 v11, v16, v11, s8
	v_cndmask_b32_e64 v10, v15, v10, s8
	v_cndmask_b32_e64 v16, v9, v16, s8
	v_cndmask_b32_e64 v15, v8, v15, s8
	v_cmp_ge_u32_e64 s8, v21, v133
	v_cmp_le_i64_e64 s12, v[15:16], v[10:11]
	s_and_b32 s9, s9, s12
	s_or_b32 s8, s8, s9
	v_cndmask_b32_e64 v19, v21, v22, s8
	v_cndmask_b32_e64 v20, v133, v132, s8
	v_cndmask_b32_e64 v9, v11, v16, s8
	v_cndmask_b32_e64 v8, v10, v15, s8
	v_lshl_add_u32 v17, v19, 3, v31
	v_add_nc_u32_e32 v23, 1, v19
	v_add_nc_u32_e32 v19, -1, v20
	ds_read_b64 v[17:18], v17 offset:32768
	v_cndmask_b32_e64 v26, v22, v23, s8
	v_min_u32_e32 v19, v23, v19
	v_cndmask_b32_e64 v25, v23, v21, s8
	v_cmp_lt_u32_e64 s9, v26, v132
	v_lshl_add_u32 v19, v19, 3, v31
	ds_read_b64 v[19:20], v19
	s_waitcnt lgkmcnt(0)
	v_cndmask_b32_e64 v11, v20, v11, s8
	v_cndmask_b32_e64 v10, v19, v10, s8
	v_cndmask_b32_e64 v16, v16, v20, s8
	v_cndmask_b32_e64 v15, v15, v19, s8
	v_cmp_ge_u32_e64 s8, v25, v133
	v_cmp_le_i64_e64 s12, v[15:16], v[10:11]
	s_and_b32 s9, s9, s12
	s_or_b32 s8, s8, s9
	v_cndmask_b32_e64 v23, v25, v26, s8
	v_cndmask_b32_e64 v24, v133, v132, s8
	v_cndmask_b32_e64 v20, v11, v16, s8
	v_cndmask_b32_e64 v19, v10, v15, s8
	v_lshl_add_u32 v21, v23, 3, v31
	v_add_nc_u32_e32 v27, 1, v23
	v_add_nc_u32_e32 v23, -1, v24
	ds_read_b64 v[21:22], v21 offset:32768
	v_cndmask_b32_e64 v30, v26, v27, s8
	v_min_u32_e32 v23, v27, v23
	v_cndmask_b32_e64 v29, v27, v25, s8
	v_cmp_lt_u32_e64 s9, v30, v132
	v_lshl_add_u32 v23, v23, 3, v31
	ds_read_b64 v[23:24], v23
	s_waitcnt lgkmcnt(0)
	v_cndmask_b32_e64 v11, v24, v11, s8
	v_cndmask_b32_e64 v10, v23, v10, s8
	v_cndmask_b32_e64 v16, v16, v24, s8
	v_cndmask_b32_e64 v15, v15, v23, s8
	v_cmp_ge_u32_e64 s8, v29, v133
	v_cmp_le_i64_e64 s12, v[15:16], v[10:11]
	s_and_b32 s9, s9, s12
	s_or_b32 s8, s8, s9
	v_cndmask_b32_e64 v27, v29, v30, s8
	v_cndmask_b32_e64 v28, v133, v132, s8
	v_cndmask_b32_e64 v24, v11, v16, s8
	v_cndmask_b32_e64 v23, v10, v15, s8
	v_lshl_add_u32 v25, v27, 3, v31
	v_add_nc_u32_e32 v32, 1, v27
	v_add_nc_u32_e32 v27, -1, v28
	ds_read_b64 v[25:26], v25 offset:32768
	v_cndmask_b32_e64 v35, v30, v32, s8
	v_min_u32_e32 v27, v32, v27
	v_cndmask_b32_e64 v34, v32, v29, s8
	v_cmp_lt_u32_e64 s9, v35, v132
	v_lshl_add_u32 v27, v27, 3, v31
	ds_read_b64 v[27:28], v27
	s_waitcnt lgkmcnt(0)
	v_cndmask_b32_e64 v11, v28, v11, s8
	v_cndmask_b32_e64 v10, v27, v10, s8
	v_cndmask_b32_e64 v16, v16, v28, s8
	v_cndmask_b32_e64 v15, v15, v27, s8
	v_cmp_ge_u32_e64 s8, v34, v133
	v_cmp_le_i64_e64 s12, v[15:16], v[10:11]
	s_and_b32 s9, s9, s12
	s_or_b32 s8, s8, s9
	v_cndmask_b32_e64 v32, v34, v35, s8
	v_cndmask_b32_e64 v33, v133, v132, s8
	v_cndmask_b32_e64 v28, v11, v16, s8
	v_cndmask_b32_e64 v27, v10, v15, s8
	v_lshl_add_u32 v29, v32, 3, v31
	v_add_nc_u32_e32 v36, 1, v32
	v_add_nc_u32_e32 v32, -1, v33
	ds_read_b64 v[29:30], v29 offset:32768
	v_cndmask_b32_e64 v39, v35, v36, s8
	v_min_u32_e32 v32, v36, v32
	v_cndmask_b32_e64 v38, v36, v34, s8
	v_cmp_lt_u32_e64 s9, v39, v132
	v_lshl_add_u32 v32, v32, 3, v31
	ds_read_b64 v[32:33], v32
	s_waitcnt lgkmcnt(0)
	v_cndmask_b32_e64 v11, v33, v11, s8
	v_cndmask_b32_e64 v10, v32, v10, s8
	v_cndmask_b32_e64 v16, v16, v33, s8
	v_cndmask_b32_e64 v15, v15, v32, s8
	v_cmp_ge_u32_e64 s8, v38, v133
	v_cmp_le_i64_e64 s12, v[15:16], v[10:11]
	s_and_b32 s9, s9, s12
	s_or_b32 s8, s8, s9
	v_cndmask_b32_e64 v36, v38, v39, s8
	v_cndmask_b32_e64 v37, v133, v132, s8
	v_cndmask_b32_e64 v33, v11, v16, s8
	v_cndmask_b32_e64 v32, v10, v15, s8
	v_lshl_add_u32 v34, v36, 3, v31
	v_add_nc_u32_e32 v48, 1, v36
	v_add_nc_u32_e32 v36, -1, v37
	ds_read_b64 v[34:35], v34 offset:32768
	v_cndmask_b32_e64 v51, v39, v48, s8
	v_min_u32_e32 v36, v48, v36
	v_cndmask_b32_e64 v50, v48, v38, s8
	v_cmp_lt_u32_e64 s9, v51, v132
	v_lshl_add_u32 v36, v36, 3, v31
	ds_read_b64 v[36:37], v36
	s_waitcnt lgkmcnt(0)
	v_cndmask_b32_e64 v11, v37, v11, s8
	v_cndmask_b32_e64 v10, v36, v10, s8
	v_cndmask_b32_e64 v16, v16, v37, s8
	v_cndmask_b32_e64 v15, v15, v36, s8
	v_cmp_ge_u32_e64 s8, v50, v133
	v_cmp_le_i64_e64 s12, v[15:16], v[10:11]
	s_and_b32 s9, s9, s12
	s_or_b32 s8, s8, s9
	v_cndmask_b32_e64 v48, v50, v51, s8
	v_cndmask_b32_e64 v49, v133, v132, s8
	v_cndmask_b32_e64 v37, v11, v16, s8
	v_cndmask_b32_e64 v36, v10, v15, s8
	v_lshl_add_u32 v38, v48, 3, v31
	v_add_nc_u32_e32 v52, 1, v48
	v_add_nc_u32_e32 v48, -1, v49
	ds_read_b64 v[38:39], v38 offset:32768
	v_cndmask_b32_e64 v55, v51, v52, s8
	v_min_u32_e32 v48, v52, v48
	v_cndmask_b32_e64 v54, v52, v50, s8
	v_cmp_lt_u32_e64 s9, v55, v132
	v_lshl_add_u32 v48, v48, 3, v31
	ds_read_b64 v[48:49], v48
	s_waitcnt lgkmcnt(0)
	v_cndmask_b32_e64 v11, v49, v11, s8
	v_cndmask_b32_e64 v10, v48, v10, s8
	v_cndmask_b32_e64 v16, v16, v49, s8
	v_cndmask_b32_e64 v15, v15, v48, s8
	v_cmp_ge_u32_e64 s8, v54, v133
	v_cmp_le_i64_e64 s12, v[15:16], v[10:11]
	s_and_b32 s9, s9, s12
	s_or_b32 s8, s8, s9
	v_cndmask_b32_e64 v52, v54, v55, s8
	v_cndmask_b32_e64 v53, v133, v132, s8
	v_cndmask_b32_e64 v49, v11, v16, s8
	v_cndmask_b32_e64 v48, v10, v15, s8
	v_lshl_add_u32 v50, v52, 3, v31
	v_add_nc_u32_e32 v64, 1, v52
	v_add_nc_u32_e32 v52, -1, v53
	ds_read_b64 v[50:51], v50 offset:32768
	v_cndmask_b32_e64 v67, v55, v64, s8
	v_min_u32_e32 v52, v64, v52
	v_cndmask_b32_e64 v66, v64, v54, s8
	v_cmp_lt_u32_e64 s9, v67, v132
	v_lshl_add_u32 v52, v52, 3, v31
	ds_read_b64 v[52:53], v52
	s_waitcnt lgkmcnt(0)
	v_cndmask_b32_e64 v11, v53, v11, s8
	v_cndmask_b32_e64 v10, v52, v10, s8
	v_cndmask_b32_e64 v16, v16, v53, s8
	v_cndmask_b32_e64 v15, v15, v52, s8
	v_cmp_ge_u32_e64 s8, v66, v133
	v_cmp_le_i64_e64 s12, v[15:16], v[10:11]
	s_and_b32 s9, s9, s12
	s_or_b32 s8, s8, s9
	v_cndmask_b32_e64 v64, v66, v67, s8
	v_cndmask_b32_e64 v65, v133, v132, s8
	v_cndmask_b32_e64 v53, v11, v16, s8
	v_cndmask_b32_e64 v52, v10, v15, s8
	v_lshl_add_u32 v54, v64, 3, v31
	v_add_nc_u32_e32 v68, 1, v64
	v_add_nc_u32_e32 v64, -1, v65
	ds_read_b64 v[54:55], v54 offset:32768
	v_cndmask_b32_e64 v71, v67, v68, s8
	v_min_u32_e32 v64, v68, v64
	v_cndmask_b32_e64 v70, v68, v66, s8
	v_cmp_lt_u32_e64 s9, v71, v132
	v_lshl_add_u32 v64, v64, 3, v31
	ds_read_b64 v[64:65], v64
	s_waitcnt lgkmcnt(0)
	v_cndmask_b32_e64 v11, v65, v11, s8
	v_cndmask_b32_e64 v10, v64, v10, s8
	v_cndmask_b32_e64 v16, v16, v65, s8
	v_cndmask_b32_e64 v15, v15, v64, s8
	v_cmp_ge_u32_e64 s8, v70, v133
	v_cmp_le_i64_e64 s12, v[15:16], v[10:11]
	s_and_b32 s9, s9, s12
	s_or_b32 s8, s8, s9
	v_cndmask_b32_e64 v68, v70, v71, s8
	v_cndmask_b32_e64 v69, v133, v132, s8
	v_cndmask_b32_e64 v65, v11, v16, s8
	v_cndmask_b32_e64 v64, v10, v15, s8
	v_lshl_add_u32 v66, v68, 3, v31
	v_add_nc_u32_e32 v80, 1, v68
	v_add_nc_u32_e32 v68, -1, v69
	ds_read_b64 v[66:67], v66 offset:32768
	v_cndmask_b32_e64 v83, v71, v80, s8
	v_min_u32_e32 v68, v80, v68
	v_cndmask_b32_e64 v82, v80, v70, s8
	v_cmp_lt_u32_e64 s9, v83, v132
	v_lshl_add_u32 v68, v68, 3, v31
	ds_read_b64 v[68:69], v68
	s_waitcnt lgkmcnt(0)
	v_cndmask_b32_e64 v11, v69, v11, s8
	v_cndmask_b32_e64 v10, v68, v10, s8
	v_cndmask_b32_e64 v16, v16, v69, s8
	v_cndmask_b32_e64 v15, v15, v68, s8
	v_cmp_ge_u32_e64 s8, v82, v133
	v_cmp_le_i64_e64 s12, v[15:16], v[10:11]
	s_and_b32 s9, s9, s12
	s_or_b32 s8, s8, s9
	v_cndmask_b32_e64 v80, v82, v83, s8
	v_cndmask_b32_e64 v81, v133, v132, s8
	;; [unrolled: 1-line block ×4, first 2 shown]
	v_lshl_add_u32 v68, v80, 3, v31
	v_add_nc_u32_e32 v84, 1, v80
	v_add_nc_u32_e32 v80, -1, v81
	ds_read_b64 v[68:69], v68 offset:32768
	v_cndmask_b32_e64 v85, v84, v82, s8
	v_min_u32_e32 v80, v84, v80
	v_cndmask_b32_e64 v84, v83, v84, s8
	v_lshl_add_u32 v80, v80, 3, v31
	v_cmp_lt_u32_e64 s9, v84, v132
	ds_read_b64 v[80:81], v80
	s_waitcnt lgkmcnt(0)
	v_cndmask_b32_e64 v11, v81, v11, s8
	v_cndmask_b32_e64 v10, v80, v10, s8
	v_cndmask_b32_e64 v16, v16, v81, s8
	v_cndmask_b32_e64 v15, v15, v80, s8
	v_cmp_ge_u32_e64 s8, v85, v133
	v_cmp_le_i64_e64 s12, v[15:16], v[10:11]
	s_and_b32 s9, s9, s12
	s_or_b32 s8, s8, s9
	v_cndmask_b32_e64 v80, v85, v84, s8
	v_cndmask_b32_e64 v81, v133, v132, s8
	v_cndmask_b32_e64 v99, v11, v16, s8
	v_cndmask_b32_e64 v98, v10, v15, s8
	v_lshl_add_u32 v82, v80, 3, v31
	v_add_nc_u32_e32 v86, 1, v80
	v_add_nc_u32_e32 v80, -1, v81
	ds_read_b64 v[82:83], v82 offset:32768
	v_cndmask_b32_e64 v84, v84, v86, s8
	v_min_u32_e32 v80, v86, v80
	v_cndmask_b32_e64 v85, v86, v85, s8
	v_cmp_lt_u32_e64 s9, v84, v132
	v_lshl_add_u32 v80, v80, 3, v31
	ds_read_b64 v[80:81], v80
	s_waitcnt lgkmcnt(0)
	v_cndmask_b32_e64 v11, v81, v11, s8
	v_cndmask_b32_e64 v10, v80, v10, s8
	v_cndmask_b32_e64 v16, v16, v81, s8
	v_cndmask_b32_e64 v15, v15, v80, s8
	v_cmp_ge_u32_e64 s8, v85, v133
	v_cmp_le_i64_e64 s12, v[15:16], v[10:11]
	s_and_b32 s9, s9, s12
	s_or_b32 s8, s8, s9
	v_cndmask_b32_e64 v80, v85, v84, s8
	v_cndmask_b32_e64 v81, v133, v132, s8
	v_cndmask_b32_e64 v97, v11, v16, s8
	v_cndmask_b32_e64 v96, v10, v15, s8
	v_lshl_add_u32 v86, v80, 3, v31
	v_add_nc_u32_e32 v100, 1, v80
	v_add_nc_u32_e32 v80, -1, v81
	ds_read_b64 v[86:87], v86 offset:32768
	v_cndmask_b32_e64 v103, v84, v100, s8
	v_min_u32_e32 v80, v100, v80
	v_cndmask_b32_e64 v102, v100, v85, s8
	v_cmp_lt_u32_e64 s9, v103, v132
	v_lshl_add_u32 v80, v80, 3, v31
	;; [unrolled: 23-line block ×3, first 2 shown]
	ds_read_b64 v[84:85], v84
	s_waitcnt lgkmcnt(0)
	v_cndmask_b32_e64 v11, v85, v11, s8
	v_cndmask_b32_e64 v10, v84, v10, s8
	;; [unrolled: 1-line block ×4, first 2 shown]
	v_cmp_ge_u32_e64 s8, v134, v133
	v_cmp_le_i64_e64 s12, v[15:16], v[10:11]
	s_and_b32 s9, s9, s12
	s_or_b32 s8, s8, s9
	v_cndmask_b32_e64 v112, v134, v135, s8
	v_cndmask_b32_e64 v113, v133, v132, s8
	;; [unrolled: 1-line block ×4, first 2 shown]
	v_lshl_add_u32 v84, v112, 3, v31
	v_add_nc_u32_e32 v144, 1, v112
	v_add_nc_u32_e32 v112, -1, v113
	v_min_u32_e32 v112, v144, v112
	v_lshl_add_u32 v112, v112, 3, v31
	ds_read_b64 v[112:113], v112
	ds_read_b64 v[84:85], v84 offset:32768
	s_waitcnt lgkmcnt(1)
	v_cndmask_b32_e64 v11, v113, v11, s8
	v_cndmask_b32_e64 v10, v112, v10, s8
	v_cndmask_b32_e64 v16, v16, v113, s8
	v_cndmask_b32_e64 v15, v15, v112, s8
	v_cndmask_b32_e64 v113, v135, v144, s8
	v_cndmask_b32_e64 v112, v144, v134, s8
	v_cmp_le_i64_e64 s12, v[15:16], v[10:11]
	v_cmp_lt_u32_e64 s9, v113, v132
	v_cmp_ge_u32_e64 s8, v112, v133
	s_and_b32 s9, s9, s12
	s_or_b32 s8, s8, s9
	v_cndmask_b32_e64 v112, v112, v113, s8
	v_cndmask_b32_e64 v15, v10, v15, s8
	;; [unrolled: 1-line block ×3, first 2 shown]
	v_lshl_add_u32 v10, v112, 3, v31
	ds_read_b64 v[112:113], v10 offset:32768
.LBB819_596:
	s_or_b32 exec_lo, exec_lo, s13
	v_and_b32_e32 v134, 0x1c0, v150
	v_and_b32_e32 v11, 48, v150
	s_mov_b32 s9, exec_lo
	; wave barrier
	v_or_b32_e32 v10, 32, v134
	v_min_u32_e32 v135, v115, v11
	ds_write2_b64 v114, v[0:1], v[8:9] offset1:1
	ds_write2_b64 v129, v[4:5], v[17:18] offset1:1
	ds_write2_b64 v114, v[19:20], v[23:24] offset0:2 offset1:3
	ds_write2_b64 v119, v[21:22], v[25:26] offset1:1
	ds_write2_b64 v114, v[27:28], v[32:33] offset0:4 offset1:5
	;; [unrolled: 2-line block ×3, first 2 shown]
	ds_write2_b64 v117, v[38:39], v[50:51] offset1:1
	v_min_u32_e32 v132, v115, v10
	ds_write2_b64 v114, v[52:53], v[64:65] offset0:8 offset1:9
	ds_write2_b64 v118, v[54:55], v[66:67] offset1:1
	ds_write2_b64 v114, v[70:71], v[98:99] offset0:10 offset1:11
	ds_write2_b64 v116, v[68:69], v[82:83] offset1:1
	;; [unrolled: 2-line block ×3, first 2 shown]
	ds_write2_b64 v114, v[102:103], v[15:16] offset0:14 offset1:15
	s_waitcnt lgkmcnt(15)
	ds_write2_b64 v131, v[84:85], v[112:113] offset1:1
	v_add_nc_u32_e32 v10, 32, v132
	v_sub_nc_u32_e32 v11, v132, v134
	; wave barrier
	v_min_u32_e32 v133, v115, v10
	v_min_u32_e32 v144, v135, v11
	v_lshl_add_u32 v11, v134, 3, v31
	v_sub_nc_u32_e32 v10, v133, v132
	v_sub_nc_u32_e64 v10, v135, v10 clamp
	v_cmpx_lt_u32_e64 v10, v144
	s_cbranch_execz .LBB819_600
; %bb.597:
	v_lshlrev_b32_e32 v145, 3, v132
	v_lshlrev_b32_e32 v146, 3, v135
	s_mov_b32 s12, 0
	v_add3_u32 v145, v31, v145, v146
	.p2align	6
.LBB819_598:                            ; =>This Inner Loop Header: Depth=1
	v_add_nc_u32_e32 v146, v144, v10
	v_lshrrev_b32_e32 v151, 1, v146
	v_not_b32_e32 v146, v151
	v_lshl_add_u32 v147, v151, 3, v11
	v_lshl_add_u32 v148, v146, 3, v145
	ds_read_b64 v[146:147], v147
	ds_read_b64 v[148:149], v148
	s_waitcnt lgkmcnt(0)
	v_cmp_gt_i64_e64 s8, v[146:147], v[148:149]
	v_add_nc_u32_e32 v146, 1, v151
	v_cndmask_b32_e64 v144, v144, v151, s8
	v_cndmask_b32_e64 v10, v146, v10, s8
	v_cmp_ge_u32_e64 s8, v10, v144
	s_or_b32 s12, s8, s12
	s_andn2_b32 exec_lo, exec_lo, s12
	s_cbranch_execnz .LBB819_598
; %bb.599:
	s_or_b32 exec_lo, exec_lo, s12
.LBB819_600:
	s_or_b32 exec_lo, exec_lo, s9
	v_add_nc_u32_e32 v135, v132, v135
	v_add_nc_u32_e32 v134, v10, v134
	v_sub_nc_u32_e32 v135, v135, v10
	v_cmp_le_u32_e64 s8, v134, v132
	v_cmp_le_u32_e64 s9, v135, v133
	s_or_b32 s8, s8, s9
	s_and_saveexec_b32 s13, s8
	s_cbranch_execz .LBB819_606
; %bb.601:
	v_cmp_lt_u32_e64 s8, v134, v132
                                        ; implicit-def: $vgpr8_vgpr9
	s_and_saveexec_b32 s9, s8
; %bb.602:
	v_lshl_add_u32 v0, v10, 3, v11
	ds_read_b64 v[8:9], v0
; %bb.603:
	s_or_b32 exec_lo, exec_lo, s9
	v_cmp_ge_u32_e64 s9, v135, v133
	s_mov_b32 s23, exec_lo
                                        ; implicit-def: $vgpr10_vgpr11
	v_cmpx_lt_u32_e64 v135, v133
; %bb.604:
	v_lshl_add_u32 v0, v135, 3, v31
	ds_read_b64 v[10:11], v0
; %bb.605:
	s_or_b32 exec_lo, exec_lo, s23
	s_waitcnt lgkmcnt(0)
	v_cmp_le_i64_e64 s12, v[8:9], v[10:11]
	s_and_b32 s8, s8, s12
	s_or_b32 s8, s9, s8
	v_cndmask_b32_e64 v15, v135, v134, s8
	v_cndmask_b32_e64 v16, v133, v132, s8
	v_cndmask_b32_e64 v1, v11, v9, s8
	v_cndmask_b32_e64 v0, v10, v8, s8
	v_lshl_add_u32 v4, v15, 3, v31
	v_add_nc_u32_e32 v17, 1, v15
	v_add_nc_u32_e32 v15, -1, v16
	ds_read_b64 v[4:5], v4 offset:32768
	v_cndmask_b32_e64 v22, v134, v17, s8
	v_min_u32_e32 v15, v17, v15
	v_cndmask_b32_e64 v21, v17, v135, s8
	v_cmp_lt_u32_e64 s9, v22, v132
	v_lshl_add_u32 v15, v15, 3, v31
	ds_read_b64 v[15:16], v15
	s_waitcnt lgkmcnt(0)
	v_cndmask_b32_e64 v11, v16, v11, s8
	v_cndmask_b32_e64 v10, v15, v10, s8
	v_cndmask_b32_e64 v16, v9, v16, s8
	v_cndmask_b32_e64 v15, v8, v15, s8
	v_cmp_ge_u32_e64 s8, v21, v133
	v_cmp_le_i64_e64 s12, v[15:16], v[10:11]
	s_and_b32 s9, s9, s12
	s_or_b32 s8, s8, s9
	v_cndmask_b32_e64 v19, v21, v22, s8
	v_cndmask_b32_e64 v20, v133, v132, s8
	v_cndmask_b32_e64 v9, v11, v16, s8
	v_cndmask_b32_e64 v8, v10, v15, s8
	v_lshl_add_u32 v17, v19, 3, v31
	v_add_nc_u32_e32 v23, 1, v19
	v_add_nc_u32_e32 v19, -1, v20
	ds_read_b64 v[17:18], v17 offset:32768
	v_cndmask_b32_e64 v26, v22, v23, s8
	v_min_u32_e32 v19, v23, v19
	v_cndmask_b32_e64 v25, v23, v21, s8
	v_cmp_lt_u32_e64 s9, v26, v132
	v_lshl_add_u32 v19, v19, 3, v31
	ds_read_b64 v[19:20], v19
	s_waitcnt lgkmcnt(0)
	v_cndmask_b32_e64 v11, v20, v11, s8
	v_cndmask_b32_e64 v10, v19, v10, s8
	v_cndmask_b32_e64 v16, v16, v20, s8
	v_cndmask_b32_e64 v15, v15, v19, s8
	v_cmp_ge_u32_e64 s8, v25, v133
	;; [unrolled: 23-line block ×10, first 2 shown]
	v_cmp_le_i64_e64 s12, v[15:16], v[10:11]
	s_and_b32 s9, s9, s12
	s_or_b32 s8, s8, s9
	v_cndmask_b32_e64 v80, v82, v83, s8
	v_cndmask_b32_e64 v81, v133, v132, s8
	v_cndmask_b32_e64 v71, v11, v16, s8
	v_cndmask_b32_e64 v70, v10, v15, s8
	v_lshl_add_u32 v68, v80, 3, v31
	v_add_nc_u32_e32 v84, 1, v80
	v_add_nc_u32_e32 v80, -1, v81
	ds_read_b64 v[68:69], v68 offset:32768
	v_cndmask_b32_e64 v85, v84, v82, s8
	v_min_u32_e32 v80, v84, v80
	v_cndmask_b32_e64 v84, v83, v84, s8
	v_lshl_add_u32 v80, v80, 3, v31
	v_cmp_lt_u32_e64 s9, v84, v132
	ds_read_b64 v[80:81], v80
	s_waitcnt lgkmcnt(0)
	v_cndmask_b32_e64 v11, v81, v11, s8
	v_cndmask_b32_e64 v10, v80, v10, s8
	v_cndmask_b32_e64 v16, v16, v81, s8
	v_cndmask_b32_e64 v15, v15, v80, s8
	v_cmp_ge_u32_e64 s8, v85, v133
	v_cmp_le_i64_e64 s12, v[15:16], v[10:11]
	s_and_b32 s9, s9, s12
	s_or_b32 s8, s8, s9
	v_cndmask_b32_e64 v80, v85, v84, s8
	v_cndmask_b32_e64 v81, v133, v132, s8
	v_cndmask_b32_e64 v99, v11, v16, s8
	v_cndmask_b32_e64 v98, v10, v15, s8
	v_lshl_add_u32 v82, v80, 3, v31
	v_add_nc_u32_e32 v86, 1, v80
	v_add_nc_u32_e32 v80, -1, v81
	ds_read_b64 v[82:83], v82 offset:32768
	v_cndmask_b32_e64 v84, v84, v86, s8
	v_min_u32_e32 v80, v86, v80
	v_cndmask_b32_e64 v85, v86, v85, s8
	v_cmp_lt_u32_e64 s9, v84, v132
	v_lshl_add_u32 v80, v80, 3, v31
	ds_read_b64 v[80:81], v80
	s_waitcnt lgkmcnt(0)
	v_cndmask_b32_e64 v11, v81, v11, s8
	v_cndmask_b32_e64 v10, v80, v10, s8
	v_cndmask_b32_e64 v16, v16, v81, s8
	v_cndmask_b32_e64 v15, v15, v80, s8
	v_cmp_ge_u32_e64 s8, v85, v133
	v_cmp_le_i64_e64 s12, v[15:16], v[10:11]
	s_and_b32 s9, s9, s12
	s_or_b32 s8, s8, s9
	v_cndmask_b32_e64 v80, v85, v84, s8
	v_cndmask_b32_e64 v81, v133, v132, s8
	v_cndmask_b32_e64 v97, v11, v16, s8
	v_cndmask_b32_e64 v96, v10, v15, s8
	v_lshl_add_u32 v86, v80, 3, v31
	v_add_nc_u32_e32 v100, 1, v80
	v_add_nc_u32_e32 v80, -1, v81
	ds_read_b64 v[86:87], v86 offset:32768
	v_cndmask_b32_e64 v103, v84, v100, s8
	v_min_u32_e32 v80, v100, v80
	v_cndmask_b32_e64 v102, v100, v85, s8
	v_cmp_lt_u32_e64 s9, v103, v132
	v_lshl_add_u32 v80, v80, 3, v31
	;; [unrolled: 23-line block ×3, first 2 shown]
	ds_read_b64 v[84:85], v84
	s_waitcnt lgkmcnt(0)
	v_cndmask_b32_e64 v11, v85, v11, s8
	v_cndmask_b32_e64 v10, v84, v10, s8
	;; [unrolled: 1-line block ×4, first 2 shown]
	v_cmp_ge_u32_e64 s8, v134, v133
	v_cmp_le_i64_e64 s12, v[15:16], v[10:11]
	s_and_b32 s9, s9, s12
	s_or_b32 s8, s8, s9
	v_cndmask_b32_e64 v112, v134, v135, s8
	v_cndmask_b32_e64 v113, v133, v132, s8
	;; [unrolled: 1-line block ×4, first 2 shown]
	v_lshl_add_u32 v84, v112, 3, v31
	v_add_nc_u32_e32 v144, 1, v112
	v_add_nc_u32_e32 v112, -1, v113
	v_min_u32_e32 v112, v144, v112
	v_lshl_add_u32 v112, v112, 3, v31
	ds_read_b64 v[112:113], v112
	ds_read_b64 v[84:85], v84 offset:32768
	s_waitcnt lgkmcnt(1)
	v_cndmask_b32_e64 v11, v113, v11, s8
	v_cndmask_b32_e64 v10, v112, v10, s8
	;; [unrolled: 1-line block ×6, first 2 shown]
	v_cmp_le_i64_e64 s12, v[15:16], v[10:11]
	v_cmp_lt_u32_e64 s9, v113, v132
	v_cmp_ge_u32_e64 s8, v112, v133
	s_and_b32 s9, s9, s12
	s_or_b32 s8, s8, s9
	v_cndmask_b32_e64 v112, v112, v113, s8
	v_cndmask_b32_e64 v15, v10, v15, s8
	v_cndmask_b32_e64 v16, v11, v16, s8
	v_lshl_add_u32 v10, v112, 3, v31
	ds_read_b64 v[112:113], v10 offset:32768
.LBB819_606:
	s_or_b32 exec_lo, exec_lo, s13
	v_and_b32_e32 v134, 0x180, v150
	v_and_b32_e32 v11, 0x70, v150
	s_mov_b32 s9, exec_lo
	; wave barrier
	v_or_b32_e32 v10, 64, v134
	v_min_u32_e32 v135, v115, v11
	ds_write2_b64 v114, v[0:1], v[8:9] offset1:1
	ds_write2_b64 v129, v[4:5], v[17:18] offset1:1
	ds_write2_b64 v114, v[19:20], v[23:24] offset0:2 offset1:3
	ds_write2_b64 v119, v[21:22], v[25:26] offset1:1
	ds_write2_b64 v114, v[27:28], v[32:33] offset0:4 offset1:5
	;; [unrolled: 2-line block ×3, first 2 shown]
	ds_write2_b64 v117, v[38:39], v[50:51] offset1:1
	v_min_u32_e32 v132, v115, v10
	ds_write2_b64 v114, v[52:53], v[64:65] offset0:8 offset1:9
	ds_write2_b64 v118, v[54:55], v[66:67] offset1:1
	ds_write2_b64 v114, v[70:71], v[98:99] offset0:10 offset1:11
	ds_write2_b64 v116, v[68:69], v[82:83] offset1:1
	ds_write2_b64 v114, v[96:97], v[80:81] offset0:12 offset1:13
	ds_write2_b64 v130, v[86:87], v[100:101] offset1:1
	ds_write2_b64 v114, v[102:103], v[15:16] offset0:14 offset1:15
	s_waitcnt lgkmcnt(15)
	ds_write2_b64 v131, v[84:85], v[112:113] offset1:1
	v_add_nc_u32_e32 v10, 64, v132
	v_sub_nc_u32_e32 v11, v132, v134
	; wave barrier
	v_min_u32_e32 v133, v115, v10
	v_min_u32_e32 v144, v135, v11
	v_lshl_add_u32 v11, v134, 3, v31
	v_sub_nc_u32_e32 v10, v133, v132
	v_sub_nc_u32_e64 v10, v135, v10 clamp
	v_cmpx_lt_u32_e64 v10, v144
	s_cbranch_execz .LBB819_610
; %bb.607:
	v_lshlrev_b32_e32 v145, 3, v132
	v_lshlrev_b32_e32 v146, 3, v135
	s_mov_b32 s12, 0
	v_add3_u32 v145, v31, v145, v146
	.p2align	6
.LBB819_608:                            ; =>This Inner Loop Header: Depth=1
	v_add_nc_u32_e32 v146, v144, v10
	v_lshrrev_b32_e32 v151, 1, v146
	v_not_b32_e32 v146, v151
	v_lshl_add_u32 v147, v151, 3, v11
	v_lshl_add_u32 v148, v146, 3, v145
	ds_read_b64 v[146:147], v147
	ds_read_b64 v[148:149], v148
	s_waitcnt lgkmcnt(0)
	v_cmp_gt_i64_e64 s8, v[146:147], v[148:149]
	v_add_nc_u32_e32 v146, 1, v151
	v_cndmask_b32_e64 v144, v144, v151, s8
	v_cndmask_b32_e64 v10, v146, v10, s8
	v_cmp_ge_u32_e64 s8, v10, v144
	s_or_b32 s12, s8, s12
	s_andn2_b32 exec_lo, exec_lo, s12
	s_cbranch_execnz .LBB819_608
; %bb.609:
	s_or_b32 exec_lo, exec_lo, s12
.LBB819_610:
	s_or_b32 exec_lo, exec_lo, s9
	v_add_nc_u32_e32 v135, v132, v135
	v_add_nc_u32_e32 v134, v10, v134
	v_sub_nc_u32_e32 v135, v135, v10
	v_cmp_le_u32_e64 s8, v134, v132
	v_cmp_le_u32_e64 s9, v135, v133
	s_or_b32 s8, s8, s9
	s_and_saveexec_b32 s13, s8
	s_cbranch_execz .LBB819_616
; %bb.611:
	v_cmp_lt_u32_e64 s8, v134, v132
                                        ; implicit-def: $vgpr8_vgpr9
	s_and_saveexec_b32 s9, s8
; %bb.612:
	v_lshl_add_u32 v0, v10, 3, v11
	ds_read_b64 v[8:9], v0
; %bb.613:
	s_or_b32 exec_lo, exec_lo, s9
	v_cmp_ge_u32_e64 s9, v135, v133
	s_mov_b32 s23, exec_lo
                                        ; implicit-def: $vgpr10_vgpr11
	v_cmpx_lt_u32_e64 v135, v133
; %bb.614:
	v_lshl_add_u32 v0, v135, 3, v31
	ds_read_b64 v[10:11], v0
; %bb.615:
	s_or_b32 exec_lo, exec_lo, s23
	s_waitcnt lgkmcnt(0)
	v_cmp_le_i64_e64 s12, v[8:9], v[10:11]
	s_and_b32 s8, s8, s12
	s_or_b32 s8, s9, s8
	v_cndmask_b32_e64 v15, v135, v134, s8
	v_cndmask_b32_e64 v16, v133, v132, s8
	v_cndmask_b32_e64 v1, v11, v9, s8
	v_cndmask_b32_e64 v0, v10, v8, s8
	v_lshl_add_u32 v4, v15, 3, v31
	v_add_nc_u32_e32 v17, 1, v15
	v_add_nc_u32_e32 v15, -1, v16
	ds_read_b64 v[4:5], v4 offset:32768
	v_cndmask_b32_e64 v22, v134, v17, s8
	v_min_u32_e32 v15, v17, v15
	v_cndmask_b32_e64 v21, v17, v135, s8
	v_cmp_lt_u32_e64 s9, v22, v132
	v_lshl_add_u32 v15, v15, 3, v31
	ds_read_b64 v[15:16], v15
	s_waitcnt lgkmcnt(0)
	v_cndmask_b32_e64 v11, v16, v11, s8
	v_cndmask_b32_e64 v10, v15, v10, s8
	v_cndmask_b32_e64 v16, v9, v16, s8
	v_cndmask_b32_e64 v15, v8, v15, s8
	v_cmp_ge_u32_e64 s8, v21, v133
	v_cmp_le_i64_e64 s12, v[15:16], v[10:11]
	s_and_b32 s9, s9, s12
	s_or_b32 s8, s8, s9
	v_cndmask_b32_e64 v19, v21, v22, s8
	v_cndmask_b32_e64 v20, v133, v132, s8
	v_cndmask_b32_e64 v9, v11, v16, s8
	v_cndmask_b32_e64 v8, v10, v15, s8
	v_lshl_add_u32 v17, v19, 3, v31
	v_add_nc_u32_e32 v23, 1, v19
	v_add_nc_u32_e32 v19, -1, v20
	ds_read_b64 v[17:18], v17 offset:32768
	v_cndmask_b32_e64 v26, v22, v23, s8
	v_min_u32_e32 v19, v23, v19
	v_cndmask_b32_e64 v25, v23, v21, s8
	v_cmp_lt_u32_e64 s9, v26, v132
	v_lshl_add_u32 v19, v19, 3, v31
	ds_read_b64 v[19:20], v19
	s_waitcnt lgkmcnt(0)
	v_cndmask_b32_e64 v11, v20, v11, s8
	v_cndmask_b32_e64 v10, v19, v10, s8
	v_cndmask_b32_e64 v16, v16, v20, s8
	v_cndmask_b32_e64 v15, v15, v19, s8
	v_cmp_ge_u32_e64 s8, v25, v133
	;; [unrolled: 23-line block ×10, first 2 shown]
	v_cmp_le_i64_e64 s12, v[15:16], v[10:11]
	s_and_b32 s9, s9, s12
	s_or_b32 s8, s8, s9
	v_cndmask_b32_e64 v80, v82, v83, s8
	v_cndmask_b32_e64 v81, v133, v132, s8
	;; [unrolled: 1-line block ×4, first 2 shown]
	v_lshl_add_u32 v68, v80, 3, v31
	v_add_nc_u32_e32 v84, 1, v80
	v_add_nc_u32_e32 v80, -1, v81
	ds_read_b64 v[68:69], v68 offset:32768
	v_cndmask_b32_e64 v85, v84, v82, s8
	v_min_u32_e32 v80, v84, v80
	v_cndmask_b32_e64 v84, v83, v84, s8
	v_lshl_add_u32 v80, v80, 3, v31
	v_cmp_lt_u32_e64 s9, v84, v132
	ds_read_b64 v[80:81], v80
	s_waitcnt lgkmcnt(0)
	v_cndmask_b32_e64 v11, v81, v11, s8
	v_cndmask_b32_e64 v10, v80, v10, s8
	v_cndmask_b32_e64 v16, v16, v81, s8
	v_cndmask_b32_e64 v15, v15, v80, s8
	v_cmp_ge_u32_e64 s8, v85, v133
	v_cmp_le_i64_e64 s12, v[15:16], v[10:11]
	s_and_b32 s9, s9, s12
	s_or_b32 s8, s8, s9
	v_cndmask_b32_e64 v80, v85, v84, s8
	v_cndmask_b32_e64 v81, v133, v132, s8
	v_cndmask_b32_e64 v99, v11, v16, s8
	v_cndmask_b32_e64 v98, v10, v15, s8
	v_lshl_add_u32 v82, v80, 3, v31
	v_add_nc_u32_e32 v86, 1, v80
	v_add_nc_u32_e32 v80, -1, v81
	ds_read_b64 v[82:83], v82 offset:32768
	v_cndmask_b32_e64 v84, v84, v86, s8
	v_min_u32_e32 v80, v86, v80
	v_cndmask_b32_e64 v85, v86, v85, s8
	v_cmp_lt_u32_e64 s9, v84, v132
	v_lshl_add_u32 v80, v80, 3, v31
	ds_read_b64 v[80:81], v80
	s_waitcnt lgkmcnt(0)
	v_cndmask_b32_e64 v11, v81, v11, s8
	v_cndmask_b32_e64 v10, v80, v10, s8
	v_cndmask_b32_e64 v16, v16, v81, s8
	v_cndmask_b32_e64 v15, v15, v80, s8
	v_cmp_ge_u32_e64 s8, v85, v133
	v_cmp_le_i64_e64 s12, v[15:16], v[10:11]
	s_and_b32 s9, s9, s12
	s_or_b32 s8, s8, s9
	v_cndmask_b32_e64 v80, v85, v84, s8
	v_cndmask_b32_e64 v81, v133, v132, s8
	v_cndmask_b32_e64 v97, v11, v16, s8
	v_cndmask_b32_e64 v96, v10, v15, s8
	v_lshl_add_u32 v86, v80, 3, v31
	v_add_nc_u32_e32 v100, 1, v80
	v_add_nc_u32_e32 v80, -1, v81
	ds_read_b64 v[86:87], v86 offset:32768
	v_cndmask_b32_e64 v103, v84, v100, s8
	v_min_u32_e32 v80, v100, v80
	v_cndmask_b32_e64 v102, v100, v85, s8
	v_cmp_lt_u32_e64 s9, v103, v132
	v_lshl_add_u32 v80, v80, 3, v31
	;; [unrolled: 23-line block ×3, first 2 shown]
	ds_read_b64 v[84:85], v84
	s_waitcnt lgkmcnt(0)
	v_cndmask_b32_e64 v11, v85, v11, s8
	v_cndmask_b32_e64 v10, v84, v10, s8
	;; [unrolled: 1-line block ×4, first 2 shown]
	v_cmp_ge_u32_e64 s8, v134, v133
	v_cmp_le_i64_e64 s12, v[15:16], v[10:11]
	s_and_b32 s9, s9, s12
	s_or_b32 s8, s8, s9
	v_cndmask_b32_e64 v112, v134, v135, s8
	v_cndmask_b32_e64 v113, v133, v132, s8
	;; [unrolled: 1-line block ×4, first 2 shown]
	v_lshl_add_u32 v84, v112, 3, v31
	v_add_nc_u32_e32 v144, 1, v112
	v_add_nc_u32_e32 v112, -1, v113
	v_min_u32_e32 v112, v144, v112
	v_lshl_add_u32 v112, v112, 3, v31
	ds_read_b64 v[112:113], v112
	ds_read_b64 v[84:85], v84 offset:32768
	s_waitcnt lgkmcnt(1)
	v_cndmask_b32_e64 v11, v113, v11, s8
	v_cndmask_b32_e64 v10, v112, v10, s8
	;; [unrolled: 1-line block ×6, first 2 shown]
	v_cmp_le_i64_e64 s12, v[15:16], v[10:11]
	v_cmp_lt_u32_e64 s9, v113, v132
	v_cmp_ge_u32_e64 s8, v112, v133
	s_and_b32 s9, s9, s12
	s_or_b32 s8, s8, s9
	v_cndmask_b32_e64 v112, v112, v113, s8
	v_cndmask_b32_e64 v15, v10, v15, s8
	;; [unrolled: 1-line block ×3, first 2 shown]
	v_lshl_add_u32 v10, v112, 3, v31
	ds_read_b64 v[112:113], v10 offset:32768
.LBB819_616:
	s_or_b32 exec_lo, exec_lo, s13
	v_and_b32_e32 v134, 0x100, v150
	v_and_b32_e32 v11, 0xf0, v150
	s_mov_b32 s9, exec_lo
	; wave barrier
	v_or_b32_e32 v10, 0x80, v134
	v_min_u32_e32 v135, v115, v11
	ds_write2_b64 v114, v[0:1], v[8:9] offset1:1
	ds_write2_b64 v129, v[4:5], v[17:18] offset1:1
	ds_write2_b64 v114, v[19:20], v[23:24] offset0:2 offset1:3
	ds_write2_b64 v119, v[21:22], v[25:26] offset1:1
	ds_write2_b64 v114, v[27:28], v[32:33] offset0:4 offset1:5
	;; [unrolled: 2-line block ×3, first 2 shown]
	ds_write2_b64 v117, v[38:39], v[50:51] offset1:1
	v_min_u32_e32 v132, v115, v10
	ds_write2_b64 v114, v[52:53], v[64:65] offset0:8 offset1:9
	ds_write2_b64 v118, v[54:55], v[66:67] offset1:1
	ds_write2_b64 v114, v[70:71], v[98:99] offset0:10 offset1:11
	ds_write2_b64 v116, v[68:69], v[82:83] offset1:1
	;; [unrolled: 2-line block ×3, first 2 shown]
	ds_write2_b64 v114, v[102:103], v[15:16] offset0:14 offset1:15
	s_waitcnt lgkmcnt(15)
	ds_write2_b64 v131, v[84:85], v[112:113] offset1:1
	v_add_nc_u32_e32 v10, 0x80, v132
	v_sub_nc_u32_e32 v11, v132, v134
	; wave barrier
	v_min_u32_e32 v133, v115, v10
	v_min_u32_e32 v144, v135, v11
	v_lshl_add_u32 v11, v134, 3, v31
	v_sub_nc_u32_e32 v10, v133, v132
	v_sub_nc_u32_e64 v10, v135, v10 clamp
	v_cmpx_lt_u32_e64 v10, v144
	s_cbranch_execz .LBB819_620
; %bb.617:
	v_lshlrev_b32_e32 v145, 3, v132
	v_lshlrev_b32_e32 v146, 3, v135
	s_mov_b32 s12, 0
	v_add3_u32 v145, v31, v145, v146
	.p2align	6
.LBB819_618:                            ; =>This Inner Loop Header: Depth=1
	v_add_nc_u32_e32 v146, v144, v10
	v_lshrrev_b32_e32 v151, 1, v146
	v_not_b32_e32 v146, v151
	v_lshl_add_u32 v147, v151, 3, v11
	v_lshl_add_u32 v148, v146, 3, v145
	ds_read_b64 v[146:147], v147
	ds_read_b64 v[148:149], v148
	s_waitcnt lgkmcnt(0)
	v_cmp_gt_i64_e64 s8, v[146:147], v[148:149]
	v_add_nc_u32_e32 v146, 1, v151
	v_cndmask_b32_e64 v144, v144, v151, s8
	v_cndmask_b32_e64 v10, v146, v10, s8
	v_cmp_ge_u32_e64 s8, v10, v144
	s_or_b32 s12, s8, s12
	s_andn2_b32 exec_lo, exec_lo, s12
	s_cbranch_execnz .LBB819_618
; %bb.619:
	s_or_b32 exec_lo, exec_lo, s12
.LBB819_620:
	s_or_b32 exec_lo, exec_lo, s9
	v_add_nc_u32_e32 v135, v132, v135
	v_add_nc_u32_e32 v134, v10, v134
	v_sub_nc_u32_e32 v135, v135, v10
	v_cmp_le_u32_e64 s8, v134, v132
	v_cmp_le_u32_e64 s9, v135, v133
	s_or_b32 s8, s8, s9
	s_and_saveexec_b32 s13, s8
	s_cbranch_execz .LBB819_626
; %bb.621:
	v_cmp_lt_u32_e64 s8, v134, v132
                                        ; implicit-def: $vgpr8_vgpr9
	s_and_saveexec_b32 s9, s8
; %bb.622:
	v_lshl_add_u32 v0, v10, 3, v11
	ds_read_b64 v[8:9], v0
; %bb.623:
	s_or_b32 exec_lo, exec_lo, s9
	v_cmp_ge_u32_e64 s9, v135, v133
	s_mov_b32 s23, exec_lo
                                        ; implicit-def: $vgpr10_vgpr11
	v_cmpx_lt_u32_e64 v135, v133
; %bb.624:
	v_lshl_add_u32 v0, v135, 3, v31
	ds_read_b64 v[10:11], v0
; %bb.625:
	s_or_b32 exec_lo, exec_lo, s23
	s_waitcnt lgkmcnt(0)
	v_cmp_le_i64_e64 s12, v[8:9], v[10:11]
	s_and_b32 s8, s8, s12
	s_or_b32 s8, s9, s8
	v_cndmask_b32_e64 v15, v135, v134, s8
	v_cndmask_b32_e64 v16, v133, v132, s8
	v_cndmask_b32_e64 v1, v11, v9, s8
	v_cndmask_b32_e64 v0, v10, v8, s8
	v_lshl_add_u32 v4, v15, 3, v31
	v_add_nc_u32_e32 v17, 1, v15
	v_add_nc_u32_e32 v15, -1, v16
	ds_read_b64 v[4:5], v4 offset:32768
	v_cndmask_b32_e64 v22, v134, v17, s8
	v_min_u32_e32 v15, v17, v15
	v_cndmask_b32_e64 v21, v17, v135, s8
	v_cmp_lt_u32_e64 s9, v22, v132
	v_lshl_add_u32 v15, v15, 3, v31
	ds_read_b64 v[15:16], v15
	s_waitcnt lgkmcnt(0)
	v_cndmask_b32_e64 v11, v16, v11, s8
	v_cndmask_b32_e64 v10, v15, v10, s8
	v_cndmask_b32_e64 v16, v9, v16, s8
	v_cndmask_b32_e64 v15, v8, v15, s8
	v_cmp_ge_u32_e64 s8, v21, v133
	v_cmp_le_i64_e64 s12, v[15:16], v[10:11]
	s_and_b32 s9, s9, s12
	s_or_b32 s8, s8, s9
	v_cndmask_b32_e64 v19, v21, v22, s8
	v_cndmask_b32_e64 v20, v133, v132, s8
	v_cndmask_b32_e64 v9, v11, v16, s8
	v_cndmask_b32_e64 v8, v10, v15, s8
	v_lshl_add_u32 v17, v19, 3, v31
	v_add_nc_u32_e32 v23, 1, v19
	v_add_nc_u32_e32 v19, -1, v20
	ds_read_b64 v[17:18], v17 offset:32768
	v_cndmask_b32_e64 v26, v22, v23, s8
	v_min_u32_e32 v19, v23, v19
	v_cndmask_b32_e64 v25, v23, v21, s8
	v_cmp_lt_u32_e64 s9, v26, v132
	v_lshl_add_u32 v19, v19, 3, v31
	ds_read_b64 v[19:20], v19
	s_waitcnt lgkmcnt(0)
	v_cndmask_b32_e64 v11, v20, v11, s8
	v_cndmask_b32_e64 v10, v19, v10, s8
	v_cndmask_b32_e64 v16, v16, v20, s8
	v_cndmask_b32_e64 v15, v15, v19, s8
	v_cmp_ge_u32_e64 s8, v25, v133
	;; [unrolled: 23-line block ×10, first 2 shown]
	v_cmp_le_i64_e64 s12, v[15:16], v[10:11]
	s_and_b32 s9, s9, s12
	s_or_b32 s8, s8, s9
	v_cndmask_b32_e64 v80, v82, v83, s8
	v_cndmask_b32_e64 v81, v133, v132, s8
	;; [unrolled: 1-line block ×4, first 2 shown]
	v_lshl_add_u32 v68, v80, 3, v31
	v_add_nc_u32_e32 v84, 1, v80
	v_add_nc_u32_e32 v80, -1, v81
	ds_read_b64 v[68:69], v68 offset:32768
	v_cndmask_b32_e64 v85, v84, v82, s8
	v_min_u32_e32 v80, v84, v80
	v_cndmask_b32_e64 v84, v83, v84, s8
	v_lshl_add_u32 v80, v80, 3, v31
	v_cmp_lt_u32_e64 s9, v84, v132
	ds_read_b64 v[80:81], v80
	s_waitcnt lgkmcnt(0)
	v_cndmask_b32_e64 v11, v81, v11, s8
	v_cndmask_b32_e64 v10, v80, v10, s8
	v_cndmask_b32_e64 v16, v16, v81, s8
	v_cndmask_b32_e64 v15, v15, v80, s8
	v_cmp_ge_u32_e64 s8, v85, v133
	v_cmp_le_i64_e64 s12, v[15:16], v[10:11]
	s_and_b32 s9, s9, s12
	s_or_b32 s8, s8, s9
	v_cndmask_b32_e64 v80, v85, v84, s8
	v_cndmask_b32_e64 v81, v133, v132, s8
	v_cndmask_b32_e64 v99, v11, v16, s8
	v_cndmask_b32_e64 v98, v10, v15, s8
	v_lshl_add_u32 v82, v80, 3, v31
	v_add_nc_u32_e32 v86, 1, v80
	v_add_nc_u32_e32 v80, -1, v81
	ds_read_b64 v[82:83], v82 offset:32768
	v_cndmask_b32_e64 v84, v84, v86, s8
	v_min_u32_e32 v80, v86, v80
	v_cndmask_b32_e64 v85, v86, v85, s8
	v_cmp_lt_u32_e64 s9, v84, v132
	v_lshl_add_u32 v80, v80, 3, v31
	ds_read_b64 v[80:81], v80
	s_waitcnt lgkmcnt(0)
	v_cndmask_b32_e64 v11, v81, v11, s8
	v_cndmask_b32_e64 v10, v80, v10, s8
	v_cndmask_b32_e64 v16, v16, v81, s8
	v_cndmask_b32_e64 v15, v15, v80, s8
	v_cmp_ge_u32_e64 s8, v85, v133
	v_cmp_le_i64_e64 s12, v[15:16], v[10:11]
	s_and_b32 s9, s9, s12
	s_or_b32 s8, s8, s9
	v_cndmask_b32_e64 v80, v85, v84, s8
	v_cndmask_b32_e64 v81, v133, v132, s8
	v_cndmask_b32_e64 v97, v11, v16, s8
	v_cndmask_b32_e64 v96, v10, v15, s8
	v_lshl_add_u32 v86, v80, 3, v31
	v_add_nc_u32_e32 v100, 1, v80
	v_add_nc_u32_e32 v80, -1, v81
	ds_read_b64 v[86:87], v86 offset:32768
	v_cndmask_b32_e64 v103, v84, v100, s8
	v_min_u32_e32 v80, v100, v80
	v_cndmask_b32_e64 v102, v100, v85, s8
	v_cmp_lt_u32_e64 s9, v103, v132
	v_lshl_add_u32 v80, v80, 3, v31
	;; [unrolled: 23-line block ×3, first 2 shown]
	ds_read_b64 v[84:85], v84
	s_waitcnt lgkmcnt(0)
	v_cndmask_b32_e64 v11, v85, v11, s8
	v_cndmask_b32_e64 v10, v84, v10, s8
	;; [unrolled: 1-line block ×4, first 2 shown]
	v_cmp_ge_u32_e64 s8, v134, v133
	v_cmp_le_i64_e64 s12, v[15:16], v[10:11]
	s_and_b32 s9, s9, s12
	s_or_b32 s8, s8, s9
	v_cndmask_b32_e64 v112, v134, v135, s8
	v_cndmask_b32_e64 v113, v133, v132, s8
	;; [unrolled: 1-line block ×4, first 2 shown]
	v_lshl_add_u32 v84, v112, 3, v31
	v_add_nc_u32_e32 v144, 1, v112
	v_add_nc_u32_e32 v112, -1, v113
	v_min_u32_e32 v112, v144, v112
	v_lshl_add_u32 v112, v112, 3, v31
	ds_read_b64 v[112:113], v112
	ds_read_b64 v[84:85], v84 offset:32768
	s_waitcnt lgkmcnt(1)
	v_cndmask_b32_e64 v11, v113, v11, s8
	v_cndmask_b32_e64 v10, v112, v10, s8
	;; [unrolled: 1-line block ×6, first 2 shown]
	v_cmp_le_i64_e64 s12, v[15:16], v[10:11]
	v_cmp_lt_u32_e64 s9, v113, v132
	v_cmp_ge_u32_e64 s8, v112, v133
	s_and_b32 s9, s9, s12
	s_or_b32 s8, s8, s9
	v_cndmask_b32_e64 v112, v112, v113, s8
	v_cndmask_b32_e64 v15, v10, v15, s8
	;; [unrolled: 1-line block ×3, first 2 shown]
	v_lshl_add_u32 v10, v112, 3, v31
	ds_read_b64 v[112:113], v10 offset:32768
.LBB819_626:
	s_or_b32 exec_lo, exec_lo, s13
	v_min_u32_e32 v10, 0x100, v115
	; wave barrier
	ds_write2_b64 v114, v[0:1], v[8:9] offset1:1
	ds_write2_b64 v129, v[4:5], v[17:18] offset1:1
	ds_write2_b64 v114, v[19:20], v[23:24] offset0:2 offset1:3
	ds_write2_b64 v119, v[21:22], v[25:26] offset1:1
	ds_write2_b64 v114, v[27:28], v[32:33] offset0:4 offset1:5
	ds_write2_b64 v128, v[29:30], v[34:35] offset1:1
	v_add_nc_u32_e32 v11, 0x100, v10
	v_min_u32_e32 v119, v115, v150
	ds_write2_b64 v114, v[36:37], v[48:49] offset0:6 offset1:7
	ds_write2_b64 v117, v[38:39], v[50:51] offset1:1
	ds_write2_b64 v114, v[52:53], v[64:65] offset0:8 offset1:9
	ds_write2_b64 v118, v[54:55], v[66:67] offset1:1
	s_mov_b32 s9, exec_lo
	ds_write2_b64 v114, v[70:71], v[98:99] offset0:10 offset1:11
	ds_write2_b64 v116, v[68:69], v[82:83] offset1:1
	ds_write2_b64 v114, v[96:97], v[80:81] offset0:12 offset1:13
	ds_write2_b64 v130, v[86:87], v[100:101] offset1:1
	ds_write2_b64 v114, v[102:103], v[15:16] offset0:14 offset1:15
	s_waitcnt lgkmcnt(15)
	ds_write2_b64 v131, v[84:85], v[112:113] offset1:1
	v_min_u32_e32 v11, v115, v11
	v_min_u32_e32 v117, v119, v10
	; wave barrier
	v_sub_nc_u32_e32 v115, v11, v10
	v_sub_nc_u32_e64 v115, v119, v115 clamp
	v_cmpx_lt_u32_e64 v115, v117
	s_cbranch_execz .LBB819_630
; %bb.627:
	v_lshlrev_b32_e32 v114, 3, v10
	v_lshlrev_b32_e32 v116, 3, v119
	s_mov_b32 s12, 0
	v_add3_u32 v114, v31, v114, v116
	.p2align	6
.LBB819_628:                            ; =>This Inner Loop Header: Depth=1
	v_add_nc_u32_e32 v116, v117, v115
	v_lshrrev_b32_e32 v116, 1, v116
	v_not_b32_e32 v118, v116
	v_lshl_add_u32 v128, v116, 3, v31
	v_lshl_add_u32 v118, v118, 3, v114
	ds_read_b64 v[128:129], v128
	ds_read_b64 v[130:131], v118
	v_add_nc_u32_e32 v118, 1, v116
	s_waitcnt lgkmcnt(0)
	v_cmp_gt_i64_e64 s8, v[128:129], v[130:131]
	v_cndmask_b32_e64 v117, v117, v116, s8
	v_cndmask_b32_e64 v115, v118, v115, s8
	v_cmp_ge_u32_e64 s8, v115, v117
	s_or_b32 s12, s8, s12
	s_andn2_b32 exec_lo, exec_lo, s12
	s_cbranch_execnz .LBB819_628
; %bb.629:
	s_or_b32 exec_lo, exec_lo, s12
.LBB819_630:
	s_or_b32 exec_lo, exec_lo, s9
	v_add_nc_u32_e32 v114, v10, v119
	v_cmp_le_u32_e64 s8, v115, v10
	v_sub_nc_u32_e32 v114, v114, v115
	v_cmp_le_u32_e64 s9, v114, v11
	s_or_b32 s8, s8, s9
	s_and_saveexec_b32 s47, s8
	s_cbranch_execz .LBB819_636
; %bb.631:
	v_cmp_lt_u32_e64 s8, v115, v10
                                        ; implicit-def: $vgpr0_vgpr1
	s_and_saveexec_b32 s9, s8
; %bb.632:
	v_lshl_add_u32 v0, v115, 3, v31
	ds_read_b64 v[0:1], v0
; %bb.633:
	s_or_b32 exec_lo, exec_lo, s9
	v_cmp_ge_u32_e64 s9, v114, v11
	s_mov_b32 s13, exec_lo
                                        ; implicit-def: $vgpr8_vgpr9
	v_cmpx_lt_u32_e64 v114, v11
; %bb.634:
	v_lshl_add_u32 v4, v114, 3, v31
	ds_read_b64 v[8:9], v4
; %bb.635:
	s_or_b32 exec_lo, exec_lo, s13
	s_waitcnt lgkmcnt(0)
	v_cmp_le_i64_e64 s12, v[0:1], v[8:9]
	s_and_b32 s8, s8, s12
	s_or_b32 s8, s9, s8
	v_cndmask_b32_e64 v17, v114, v115, s8
	v_cndmask_b32_e64 v4, v11, v10, s8
	v_add_nc_u32_e32 v18, 1, v17
	v_add_nc_u32_e32 v4, -1, v4
	v_cndmask_b32_e64 v21, v115, v18, s8
	v_min_u32_e32 v4, v18, v4
	v_cndmask_b32_e64 v18, v18, v114, s8
	v_cmp_lt_u32_e64 s12, v21, v10
	v_lshl_add_u32 v4, v4, 3, v31
	v_cmp_ge_u32_e64 s13, v18, v11
	ds_read_b64 v[4:5], v4
	s_waitcnt lgkmcnt(0)
	v_cndmask_b32_e64 v16, v5, v9, s8
	v_cndmask_b32_e64 v15, v4, v8, s8
	;; [unrolled: 1-line block ×6, first 2 shown]
	v_cmp_le_i64_e64 s9, v[19:20], v[15:16]
	s_and_b32 s9, s12, s9
	s_or_b32 s9, s13, s9
	v_cndmask_b32_e64 v22, v18, v21, s9
	v_cndmask_b32_e64 v4, v11, v10, s9
	v_cndmask_b32_e64 v9, v16, v20, s9
	v_cndmask_b32_e64 v8, v15, v19, s9
	v_add_nc_u32_e32 v25, 1, v22
	v_add_nc_u32_e32 v4, -1, v4
	v_cndmask_b32_e64 v21, v21, v25, s9
	v_min_u32_e32 v4, v25, v4
	v_cndmask_b32_e64 v18, v25, v18, s9
	v_cmp_lt_u32_e64 s13, v21, v10
	v_lshl_add_u32 v4, v4, 3, v31
	v_cmp_ge_u32_e64 s23, v18, v11
	ds_read_b64 v[4:5], v4
	s_waitcnt lgkmcnt(0)
	v_cndmask_b32_e64 v24, v5, v16, s9
	v_cndmask_b32_e64 v23, v4, v15, s9
	v_cndmask_b32_e64 v28, v20, v5, s9
	v_cndmask_b32_e64 v27, v19, v4, s9
	v_cmp_le_i64_e64 s12, v[27:28], v[23:24]
	s_and_b32 s12, s13, s12
	s_or_b32 s12, s23, s12
	v_cndmask_b32_e64 v25, v18, v21, s12
	v_cndmask_b32_e64 v4, v11, v10, s12
	v_cndmask_b32_e64 v20, v24, v28, s12
	v_cndmask_b32_e64 v19, v23, v27, s12
	v_add_nc_u32_e32 v26, 1, v25
	v_add_nc_u32_e32 v4, -1, v4
	v_cndmask_b32_e64 v21, v21, v26, s12
	v_min_u32_e32 v4, v26, v4
	v_cndmask_b32_e64 v18, v26, v18, s12
	v_cmp_lt_u32_e64 s23, v21, v10
	v_lshl_add_u32 v4, v4, 3, v31
	v_cmp_ge_u32_e64 s24, v18, v11
	ds_read_b64 v[4:5], v4
	s_waitcnt lgkmcnt(0)
	v_cndmask_b32_e64 v33, v5, v24, s12
	v_cndmask_b32_e64 v32, v4, v23, s12
	v_cndmask_b32_e64 v37, v28, v5, s12
	v_cndmask_b32_e64 v36, v27, v4, s12
	v_cmp_le_i64_e64 s13, v[36:37], v[32:33]
	s_and_b32 s13, s23, s13
	s_or_b32 s13, s24, s13
	v_cndmask_b32_e64 v26, v18, v21, s13
	v_cndmask_b32_e64 v4, v11, v10, s13
	v_cndmask_b32_e64 v24, v33, v37, s13
	v_cndmask_b32_e64 v23, v32, v36, s13
	v_add_nc_u32_e32 v29, 1, v26
	v_add_nc_u32_e32 v4, -1, v4
	v_cndmask_b32_e64 v21, v21, v29, s13
	v_min_u32_e32 v4, v29, v4
	v_cndmask_b32_e64 v18, v29, v18, s13
	v_cmp_lt_u32_e64 s24, v21, v10
	v_lshl_add_u32 v4, v4, 3, v31
	v_cmp_ge_u32_e64 s25, v18, v11
	ds_read_b64 v[4:5], v4
	s_waitcnt lgkmcnt(0)
	v_cndmask_b32_e64 v49, v5, v33, s13
	v_cndmask_b32_e64 v48, v4, v32, s13
	v_cndmask_b32_e64 v53, v37, v5, s13
	v_cndmask_b32_e64 v52, v36, v4, s13
	v_cmp_le_i64_e64 s23, v[52:53], v[48:49]
	s_and_b32 s23, s24, s23
	s_or_b32 s23, s25, s23
	v_cndmask_b32_e64 v29, v18, v21, s23
	v_cndmask_b32_e64 v4, v11, v10, s23
	v_cndmask_b32_e64 v28, v49, v53, s23
	v_cndmask_b32_e64 v27, v48, v52, s23
	v_add_nc_u32_e32 v30, 1, v29
	v_add_nc_u32_e32 v4, -1, v4
	v_lshl_add_u32 v29, v29, 3, v31
	v_cndmask_b32_e64 v21, v21, v30, s23
	v_min_u32_e32 v4, v30, v4
	v_cndmask_b32_e64 v18, v30, v18, s23
	v_cmp_lt_u32_e64 s25, v21, v10
	v_lshl_add_u32 v4, v4, 3, v31
	v_cmp_ge_u32_e64 s26, v18, v11
	ds_read_b64 v[4:5], v4
	s_waitcnt lgkmcnt(0)
	v_cndmask_b32_e64 v65, v5, v49, s23
	v_cndmask_b32_e64 v64, v4, v48, s23
	v_cndmask_b32_e64 v71, v53, v5, s23
	v_cndmask_b32_e64 v70, v52, v4, s23
	v_cmp_le_i64_e64 s24, v[70:71], v[64:65]
	s_and_b32 s24, s25, s24
	s_or_b32 s24, s26, s24
	v_cndmask_b32_e64 v34, v18, v21, s24
	v_cndmask_b32_e64 v4, v11, v10, s24
	v_cndmask_b32_e64 v33, v65, v71, s24
	v_cndmask_b32_e64 v32, v64, v70, s24
	v_add_nc_u32_e32 v30, 1, v34
	v_add_nc_u32_e32 v4, -1, v4
	v_lshl_add_u32 v34, v34, 3, v31
	v_cndmask_b32_e64 v21, v21, v30, s24
	v_min_u32_e32 v4, v30, v4
	v_cndmask_b32_e64 v18, v30, v18, s24
	v_cmp_lt_u32_e64 s26, v21, v10
	v_lshl_add_u32 v4, v4, 3, v31
	v_cmp_ge_u32_e64 s27, v18, v11
	ds_read_b64 v[4:5], v4
	s_waitcnt lgkmcnt(0)
	v_cndmask_b32_e64 v81, v5, v65, s24
	v_cndmask_b32_e64 v80, v4, v64, s24
	v_cndmask_b32_e64 v97, v71, v5, s24
	v_cndmask_b32_e64 v96, v70, v4, s24
	;; [unrolled: 22-line block ×9, first 2 shown]
	v_cmp_le_i64_e64 s42, v[160:161], v[150:151]
	s_and_b32 s42, s43, s42
	s_or_b32 s42, s44, s42
	v_cndmask_b32_e64 v83, v18, v21, s42
	v_cndmask_b32_e64 v4, v11, v10, s42
	;; [unrolled: 1-line block ×4, first 2 shown]
	v_add_nc_u32_e32 v30, 1, v83
	v_add_nc_u32_e32 v4, -1, v4
	v_lshl_add_u32 v100, v83, 3, v31
	v_cndmask_b32_e64 v178, v21, v30, s42
	v_min_u32_e32 v4, v30, v4
	v_cndmask_b32_e64 v179, v30, v18, s42
	v_lshl_add_u32 v18, v22, 3, v31
	v_lshl_add_u32 v21, v25, 3, v31
	v_cmp_lt_u32_e64 s44, v178, v10
	v_lshl_add_u32 v4, v4, 3, v31
	v_cmp_ge_u32_e64 s45, v179, v11
	v_lshl_add_u32 v25, v26, 3, v31
	ds_read_b64 v[4:5], v4
	s_waitcnt lgkmcnt(0)
	v_cndmask_b32_e64 v163, v5, v151, s42
	v_cndmask_b32_e64 v162, v4, v150, s42
	;; [unrolled: 1-line block ×4, first 2 shown]
	v_lshl_add_u32 v4, v17, 3, v31
	v_cmp_le_i64_e64 s43, v[164:165], v[162:163]
	ds_read_b64 v[4:5], v4 offset:32768
	s_and_b32 s43, s44, s43
	s_or_b32 s43, s45, s43
	v_cndmask_b32_e64 v84, v179, v178, s43
	v_cndmask_b32_e64 v17, v11, v10, s43
	;; [unrolled: 1-line block ×4, first 2 shown]
	v_add_nc_u32_e32 v180, 1, v84
	v_add_nc_u32_e32 v17, -1, v17
	v_lshl_add_u32 v84, v84, 3, v31
	v_cndmask_b32_e64 v16, v178, v180, s43
	v_min_u32_e32 v51, v180, v17
	ds_read_b64 v[17:18], v18 offset:32768
	ds_read_b64 v[21:22], v21 offset:32768
	;; [unrolled: 1-line block ×4, first 2 shown]
	v_cndmask_b32_e64 v15, v180, v179, s43
	v_cmp_lt_u32_e64 s9, v16, v10
	v_lshl_add_u32 v51, v51, 3, v31
	v_cmp_ge_u32_e64 s12, v15, v11
	ds_read_b64 v[112:113], v51
	ds_read_b64 v[34:35], v34 offset:32768
	ds_read_b64 v[38:39], v54 offset:32768
	;; [unrolled: 1-line block ×10, first 2 shown]
	s_waitcnt lgkmcnt(10)
	v_cndmask_b32_e64 v167, v113, v163, s43
	v_cndmask_b32_e64 v166, v112, v162, s43
	;; [unrolled: 1-line block ×4, first 2 shown]
	v_cmp_le_i64_e64 s8, v[176:177], v[166:167]
	s_and_b32 s8, s9, s8
	s_or_b32 s8, s12, s8
	v_cndmask_b32_e64 v10, v15, v16, s8
	v_cndmask_b32_e64 v16, v167, v177, s8
	;; [unrolled: 1-line block ×3, first 2 shown]
	v_lshl_add_u32 v10, v10, 3, v31
	ds_read_b64 v[112:113], v10 offset:32768
.LBB819_636:
	s_or_b32 exec_lo, exec_lo, s47
	; wave barrier
	s_waitcnt lgkmcnt(0)
	s_waitcnt_vscnt null, 0x0
	s_barrier
.LBB819_637:
	s_or_b32 exec_lo, exec_lo, s46
	v_add_co_u32 v2, s8, v2, v13
	v_add_co_ci_u32_e64 v3, null, v3, v14, s8
	s_waitcnt vmcnt(0) lgkmcnt(0)
	s_waitcnt_vscnt null, 0x0
	buffer_gl0_inv
	v_add_co_u32 v2, s8, v2, v12
	v_add_co_ci_u32_e64 v3, null, 0, v3, s8
	; wave barrier
	s_and_saveexec_b32 s8, vcc_lo
	s_cbranch_execnz .LBB819_686
; %bb.638:
	s_or_b32 exec_lo, exec_lo, s8
	s_and_saveexec_b32 s8, s4
	s_cbranch_execnz .LBB819_687
.LBB819_639:
	s_or_b32 exec_lo, exec_lo, s8
	s_and_saveexec_b32 s8, s5
	s_cbranch_execnz .LBB819_688
.LBB819_640:
	s_or_b32 exec_lo, exec_lo, s8
	s_and_saveexec_b32 s8, s6
	s_cbranch_execnz .LBB819_689
.LBB819_641:
	s_or_b32 exec_lo, exec_lo, s8
	s_and_saveexec_b32 s8, s7
	s_cbranch_execnz .LBB819_690
.LBB819_642:
	s_or_b32 exec_lo, exec_lo, s8
	s_and_saveexec_b32 s8, s10
	s_cbranch_execnz .LBB819_691
.LBB819_643:
	s_or_b32 exec_lo, exec_lo, s8
	s_and_saveexec_b32 s8, s11
	s_cbranch_execnz .LBB819_692
.LBB819_644:
	s_or_b32 exec_lo, exec_lo, s8
	s_and_saveexec_b32 s8, s21
	s_cbranch_execnz .LBB819_693
.LBB819_645:
	s_or_b32 exec_lo, exec_lo, s8
	s_and_saveexec_b32 s8, s22
	s_cbranch_execnz .LBB819_694
.LBB819_646:
	s_or_b32 exec_lo, exec_lo, s8
	s_and_saveexec_b32 s8, s14
	s_cbranch_execnz .LBB819_695
.LBB819_647:
	s_or_b32 exec_lo, exec_lo, s8
	s_and_saveexec_b32 s8, s15
	s_cbranch_execnz .LBB819_696
.LBB819_648:
	s_or_b32 exec_lo, exec_lo, s8
	s_and_saveexec_b32 s8, s16
	s_cbranch_execnz .LBB819_697
.LBB819_649:
	s_or_b32 exec_lo, exec_lo, s8
	s_and_saveexec_b32 s8, s17
	s_cbranch_execnz .LBB819_698
.LBB819_650:
	s_or_b32 exec_lo, exec_lo, s8
	s_and_saveexec_b32 s8, s18
	s_cbranch_execnz .LBB819_699
.LBB819_651:
	s_or_b32 exec_lo, exec_lo, s8
	s_and_saveexec_b32 s8, s19
	s_cbranch_execnz .LBB819_700
.LBB819_652:
	s_or_b32 exec_lo, exec_lo, s8
	s_and_saveexec_b32 s8, s20
	s_cbranch_execz .LBB819_654
.LBB819_653:
	flat_store_dwordx2 v[2:3], v[15:16] offset:120
.LBB819_654:
	s_or_b32 exec_lo, exec_lo, s8
	v_add_co_u32 v0, s8, v6, v13
	v_add_co_ci_u32_e64 v1, null, v7, v14, s8
	v_add_co_u32 v0, s8, v0, v12
	v_add_co_ci_u32_e64 v1, null, 0, v1, s8
	; wave barrier
	s_and_saveexec_b32 s8, vcc_lo
	s_cbranch_execnz .LBB819_701
; %bb.655:
	s_or_b32 exec_lo, exec_lo, s8
	s_and_saveexec_b32 s8, s4
	s_cbranch_execnz .LBB819_702
.LBB819_656:
	s_or_b32 exec_lo, exec_lo, s8
	s_and_saveexec_b32 s4, s5
	s_cbranch_execnz .LBB819_703
.LBB819_657:
	s_or_b32 exec_lo, exec_lo, s4
	s_and_saveexec_b32 s4, s6
	s_cbranch_execnz .LBB819_704
.LBB819_658:
	s_or_b32 exec_lo, exec_lo, s4
	s_and_saveexec_b32 s4, s7
	s_cbranch_execnz .LBB819_705
.LBB819_659:
	s_or_b32 exec_lo, exec_lo, s4
	s_and_saveexec_b32 s4, s10
	s_cbranch_execnz .LBB819_706
.LBB819_660:
	s_or_b32 exec_lo, exec_lo, s4
	s_and_saveexec_b32 s4, s11
	s_cbranch_execnz .LBB819_707
.LBB819_661:
	s_or_b32 exec_lo, exec_lo, s4
	s_and_saveexec_b32 s4, s21
	s_cbranch_execnz .LBB819_708
.LBB819_662:
	s_or_b32 exec_lo, exec_lo, s4
	s_and_saveexec_b32 s4, s22
	s_cbranch_execnz .LBB819_709
.LBB819_663:
	s_or_b32 exec_lo, exec_lo, s4
	s_and_saveexec_b32 s4, s14
	s_cbranch_execnz .LBB819_710
.LBB819_664:
	s_or_b32 exec_lo, exec_lo, s4
	s_and_saveexec_b32 s4, s15
	s_cbranch_execnz .LBB819_711
.LBB819_665:
	s_or_b32 exec_lo, exec_lo, s4
	s_and_saveexec_b32 s4, s16
	s_cbranch_execnz .LBB819_712
.LBB819_666:
	s_or_b32 exec_lo, exec_lo, s4
	s_and_saveexec_b32 s4, s17
	s_cbranch_execnz .LBB819_713
.LBB819_667:
	s_or_b32 exec_lo, exec_lo, s4
	s_and_saveexec_b32 s4, s18
	s_cbranch_execnz .LBB819_714
.LBB819_668:
	s_or_b32 exec_lo, exec_lo, s4
	s_and_saveexec_b32 s4, s19
	s_cbranch_execnz .LBB819_715
.LBB819_669:
	s_or_b32 exec_lo, exec_lo, s4
	s_and_saveexec_b32 s4, s20
	s_cbranch_execnz .LBB819_716
.LBB819_670:
	s_or_b32 exec_lo, exec_lo, s4
	s_waitcnt lgkmcnt(0)
	s_setpc_b64 s[30:31]
.LBB819_671:
	flat_load_dwordx2 v[4:5], v[114:115]
	s_or_b32 exec_lo, exec_lo, s23
	s_and_saveexec_b32 s23, s4
                                        ; implicit-def: $vgpr17_vgpr18
	s_cbranch_execz .LBB819_34
.LBB819_672:
	flat_load_dwordx2 v[17:18], v[114:115] offset:8
	s_or_b32 exec_lo, exec_lo, s23
                                        ; implicit-def: $vgpr21_vgpr22
	s_and_saveexec_b32 s23, s5
	s_cbranch_execz .LBB819_35
.LBB819_673:
	flat_load_dwordx2 v[21:22], v[114:115] offset:16
	s_or_b32 exec_lo, exec_lo, s23
	s_and_saveexec_b32 s23, s6
                                        ; implicit-def: $vgpr25_vgpr26
	s_cbranch_execz .LBB819_36
.LBB819_674:
	flat_load_dwordx2 v[25:26], v[114:115] offset:24
	s_or_b32 exec_lo, exec_lo, s23
                                        ; implicit-def: $vgpr29_vgpr30
	s_and_saveexec_b32 s23, s7
	s_cbranch_execz .LBB819_37
.LBB819_675:
	flat_load_dwordx2 v[29:30], v[114:115] offset:32
	s_or_b32 exec_lo, exec_lo, s23
	s_and_saveexec_b32 s23, s10
                                        ; implicit-def: $vgpr34_vgpr35
	s_cbranch_execz .LBB819_38
.LBB819_676:
	flat_load_dwordx2 v[34:35], v[114:115] offset:40
	s_or_b32 exec_lo, exec_lo, s23
                                        ; implicit-def: $vgpr38_vgpr39
	s_and_saveexec_b32 s23, s11
	s_cbranch_execz .LBB819_39
.LBB819_677:
	flat_load_dwordx2 v[38:39], v[114:115] offset:48
	s_or_b32 exec_lo, exec_lo, s23
	s_and_saveexec_b32 s23, s21
                                        ; implicit-def: $vgpr50_vgpr51
	s_cbranch_execz .LBB819_40
.LBB819_678:
	flat_load_dwordx2 v[50:51], v[114:115] offset:56
	s_or_b32 exec_lo, exec_lo, s23
                                        ; implicit-def: $vgpr54_vgpr55
	s_and_saveexec_b32 s23, s22
	s_cbranch_execz .LBB819_41
.LBB819_679:
	flat_load_dwordx2 v[54:55], v[114:115] offset:64
	s_or_b32 exec_lo, exec_lo, s23
	s_and_saveexec_b32 s23, s14
                                        ; implicit-def: $vgpr66_vgpr67
	s_cbranch_execz .LBB819_42
.LBB819_680:
	flat_load_dwordx2 v[66:67], v[114:115] offset:72
	s_or_b32 exec_lo, exec_lo, s23
                                        ; implicit-def: $vgpr68_vgpr69
	s_and_saveexec_b32 s23, s15
	s_cbranch_execz .LBB819_43
.LBB819_681:
	flat_load_dwordx2 v[68:69], v[114:115] offset:80
	s_or_b32 exec_lo, exec_lo, s23
	s_and_saveexec_b32 s23, s16
                                        ; implicit-def: $vgpr82_vgpr83
	s_cbranch_execz .LBB819_44
.LBB819_682:
	flat_load_dwordx2 v[82:83], v[114:115] offset:88
	s_or_b32 exec_lo, exec_lo, s23
                                        ; implicit-def: $vgpr86_vgpr87
	s_and_saveexec_b32 s23, s17
	s_cbranch_execz .LBB819_45
.LBB819_683:
	flat_load_dwordx2 v[86:87], v[114:115] offset:96
	s_or_b32 exec_lo, exec_lo, s23
	s_and_saveexec_b32 s23, s18
                                        ; implicit-def: $vgpr100_vgpr101
	s_cbranch_execz .LBB819_46
.LBB819_684:
	flat_load_dwordx2 v[100:101], v[114:115] offset:104
	s_or_b32 exec_lo, exec_lo, s23
                                        ; implicit-def: $vgpr84_vgpr85
	s_and_saveexec_b32 s23, s19
	s_cbranch_execz .LBB819_47
.LBB819_685:
	flat_load_dwordx2 v[84:85], v[114:115] offset:112
	s_or_b32 exec_lo, exec_lo, s23
	s_and_saveexec_b32 s23, s20
                                        ; implicit-def: $vgpr112_vgpr113
	s_cbranch_execnz .LBB819_48
	s_branch .LBB819_49
.LBB819_686:
	flat_store_dwordx2 v[2:3], v[0:1]
	s_or_b32 exec_lo, exec_lo, s8
	s_and_saveexec_b32 s8, s4
	s_cbranch_execz .LBB819_639
.LBB819_687:
	flat_store_dwordx2 v[2:3], v[8:9] offset:8
	s_or_b32 exec_lo, exec_lo, s8
	s_and_saveexec_b32 s8, s5
	s_cbranch_execz .LBB819_640
.LBB819_688:
	flat_store_dwordx2 v[2:3], v[19:20] offset:16
	s_or_b32 exec_lo, exec_lo, s8
	s_and_saveexec_b32 s8, s6
	s_cbranch_execz .LBB819_641
.LBB819_689:
	flat_store_dwordx2 v[2:3], v[23:24] offset:24
	s_or_b32 exec_lo, exec_lo, s8
	s_and_saveexec_b32 s8, s7
	s_cbranch_execz .LBB819_642
.LBB819_690:
	flat_store_dwordx2 v[2:3], v[27:28] offset:32
	s_or_b32 exec_lo, exec_lo, s8
	s_and_saveexec_b32 s8, s10
	s_cbranch_execz .LBB819_643
.LBB819_691:
	flat_store_dwordx2 v[2:3], v[32:33] offset:40
	s_or_b32 exec_lo, exec_lo, s8
	s_and_saveexec_b32 s8, s11
	s_cbranch_execz .LBB819_644
.LBB819_692:
	flat_store_dwordx2 v[2:3], v[36:37] offset:48
	s_or_b32 exec_lo, exec_lo, s8
	s_and_saveexec_b32 s8, s21
	s_cbranch_execz .LBB819_645
.LBB819_693:
	flat_store_dwordx2 v[2:3], v[48:49] offset:56
	s_or_b32 exec_lo, exec_lo, s8
	s_and_saveexec_b32 s8, s22
	s_cbranch_execz .LBB819_646
.LBB819_694:
	flat_store_dwordx2 v[2:3], v[52:53] offset:64
	s_or_b32 exec_lo, exec_lo, s8
	s_and_saveexec_b32 s8, s14
	s_cbranch_execz .LBB819_647
.LBB819_695:
	flat_store_dwordx2 v[2:3], v[64:65] offset:72
	s_or_b32 exec_lo, exec_lo, s8
	s_and_saveexec_b32 s8, s15
	s_cbranch_execz .LBB819_648
.LBB819_696:
	flat_store_dwordx2 v[2:3], v[70:71] offset:80
	s_or_b32 exec_lo, exec_lo, s8
	s_and_saveexec_b32 s8, s16
	s_cbranch_execz .LBB819_649
.LBB819_697:
	flat_store_dwordx2 v[2:3], v[98:99] offset:88
	s_or_b32 exec_lo, exec_lo, s8
	s_and_saveexec_b32 s8, s17
	s_cbranch_execz .LBB819_650
.LBB819_698:
	flat_store_dwordx2 v[2:3], v[96:97] offset:96
	s_or_b32 exec_lo, exec_lo, s8
	s_and_saveexec_b32 s8, s18
	s_cbranch_execz .LBB819_651
.LBB819_699:
	flat_store_dwordx2 v[2:3], v[80:81] offset:104
	s_or_b32 exec_lo, exec_lo, s8
	s_and_saveexec_b32 s8, s19
	s_cbranch_execz .LBB819_652
.LBB819_700:
	flat_store_dwordx2 v[2:3], v[102:103] offset:112
	s_or_b32 exec_lo, exec_lo, s8
	s_and_saveexec_b32 s8, s20
	s_cbranch_execnz .LBB819_653
	s_branch .LBB819_654
.LBB819_701:
	flat_store_dwordx2 v[0:1], v[4:5]
	s_or_b32 exec_lo, exec_lo, s8
	s_and_saveexec_b32 s8, s4
	s_cbranch_execz .LBB819_656
.LBB819_702:
	flat_store_dwordx2 v[0:1], v[17:18] offset:8
	s_or_b32 exec_lo, exec_lo, s8
	s_and_saveexec_b32 s4, s5
	s_cbranch_execz .LBB819_657
.LBB819_703:
	flat_store_dwordx2 v[0:1], v[21:22] offset:16
	s_or_b32 exec_lo, exec_lo, s4
	s_and_saveexec_b32 s4, s6
	s_cbranch_execz .LBB819_658
.LBB819_704:
	flat_store_dwordx2 v[0:1], v[25:26] offset:24
	s_or_b32 exec_lo, exec_lo, s4
	s_and_saveexec_b32 s4, s7
	s_cbranch_execz .LBB819_659
.LBB819_705:
	flat_store_dwordx2 v[0:1], v[29:30] offset:32
	s_or_b32 exec_lo, exec_lo, s4
	s_and_saveexec_b32 s4, s10
	s_cbranch_execz .LBB819_660
.LBB819_706:
	flat_store_dwordx2 v[0:1], v[34:35] offset:40
	s_or_b32 exec_lo, exec_lo, s4
	s_and_saveexec_b32 s4, s11
	s_cbranch_execz .LBB819_661
.LBB819_707:
	flat_store_dwordx2 v[0:1], v[38:39] offset:48
	s_or_b32 exec_lo, exec_lo, s4
	s_and_saveexec_b32 s4, s21
	s_cbranch_execz .LBB819_662
.LBB819_708:
	flat_store_dwordx2 v[0:1], v[50:51] offset:56
	s_or_b32 exec_lo, exec_lo, s4
	s_and_saveexec_b32 s4, s22
	s_cbranch_execz .LBB819_663
.LBB819_709:
	flat_store_dwordx2 v[0:1], v[54:55] offset:64
	s_or_b32 exec_lo, exec_lo, s4
	s_and_saveexec_b32 s4, s14
	s_cbranch_execz .LBB819_664
.LBB819_710:
	flat_store_dwordx2 v[0:1], v[66:67] offset:72
	s_or_b32 exec_lo, exec_lo, s4
	s_and_saveexec_b32 s4, s15
	s_cbranch_execz .LBB819_665
.LBB819_711:
	flat_store_dwordx2 v[0:1], v[68:69] offset:80
	s_or_b32 exec_lo, exec_lo, s4
	s_and_saveexec_b32 s4, s16
	s_cbranch_execz .LBB819_666
.LBB819_712:
	flat_store_dwordx2 v[0:1], v[82:83] offset:88
	s_or_b32 exec_lo, exec_lo, s4
	s_and_saveexec_b32 s4, s17
	s_cbranch_execz .LBB819_667
.LBB819_713:
	flat_store_dwordx2 v[0:1], v[86:87] offset:96
	s_or_b32 exec_lo, exec_lo, s4
	s_and_saveexec_b32 s4, s18
	s_cbranch_execz .LBB819_668
.LBB819_714:
	flat_store_dwordx2 v[0:1], v[100:101] offset:104
	s_or_b32 exec_lo, exec_lo, s4
	s_and_saveexec_b32 s4, s19
	s_cbranch_execz .LBB819_669
.LBB819_715:
	flat_store_dwordx2 v[0:1], v[84:85] offset:112
	s_or_b32 exec_lo, exec_lo, s4
	s_and_saveexec_b32 s4, s20
	s_cbranch_execz .LBB819_670
.LBB819_716:
	flat_store_dwordx2 v[0:1], v[112:113] offset:120
	s_or_b32 exec_lo, exec_lo, s4
	s_waitcnt lgkmcnt(0)
	s_setpc_b64 s[30:31]
.Lfunc_end819:
	.size	_ZN7rocprim17ROCPRIM_400000_NS6detail26segmented_warp_sort_helperINS1_20WarpSortHelperConfigILj32ELj16ELj256EEEllLi256ELb0EvE4sortIPKlPlS8_S9_EEvT_T0_T1_T2_jjjjRNS5_12storage_typeE, .Lfunc_end819-_ZN7rocprim17ROCPRIM_400000_NS6detail26segmented_warp_sort_helperINS1_20WarpSortHelperConfigILj32ELj16ELj256EEEllLi256ELb0EvE4sortIPKlPlS8_S9_EEvT_T0_T1_T2_jjjjRNS5_12storage_typeE
                                        ; -- End function
	.set .L_ZN7rocprim17ROCPRIM_400000_NS6detail26segmented_warp_sort_helperINS1_20WarpSortHelperConfigILj32ELj16ELj256EEEllLi256ELb0EvE4sortIPKlPlS8_S9_EEvT_T0_T1_T2_jjjjRNS5_12storage_typeE.num_vgpr, 193
	.set .L_ZN7rocprim17ROCPRIM_400000_NS6detail26segmented_warp_sort_helperINS1_20WarpSortHelperConfigILj32ELj16ELj256EEEllLi256ELb0EvE4sortIPKlPlS8_S9_EEvT_T0_T1_T2_jjjjRNS5_12storage_typeE.num_agpr, 0
	.set .L_ZN7rocprim17ROCPRIM_400000_NS6detail26segmented_warp_sort_helperINS1_20WarpSortHelperConfigILj32ELj16ELj256EEEllLi256ELb0EvE4sortIPKlPlS8_S9_EEvT_T0_T1_T2_jjjjRNS5_12storage_typeE.numbered_sgpr, 60
	.set .L_ZN7rocprim17ROCPRIM_400000_NS6detail26segmented_warp_sort_helperINS1_20WarpSortHelperConfigILj32ELj16ELj256EEEllLi256ELb0EvE4sortIPKlPlS8_S9_EEvT_T0_T1_T2_jjjjRNS5_12storage_typeE.num_named_barrier, 0
	.set .L_ZN7rocprim17ROCPRIM_400000_NS6detail26segmented_warp_sort_helperINS1_20WarpSortHelperConfigILj32ELj16ELj256EEEllLi256ELb0EvE4sortIPKlPlS8_S9_EEvT_T0_T1_T2_jjjjRNS5_12storage_typeE.private_seg_size, 0
	.set .L_ZN7rocprim17ROCPRIM_400000_NS6detail26segmented_warp_sort_helperINS1_20WarpSortHelperConfigILj32ELj16ELj256EEEllLi256ELb0EvE4sortIPKlPlS8_S9_EEvT_T0_T1_T2_jjjjRNS5_12storage_typeE.uses_vcc, 1
	.set .L_ZN7rocprim17ROCPRIM_400000_NS6detail26segmented_warp_sort_helperINS1_20WarpSortHelperConfigILj32ELj16ELj256EEEllLi256ELb0EvE4sortIPKlPlS8_S9_EEvT_T0_T1_T2_jjjjRNS5_12storage_typeE.uses_flat_scratch, 0
	.set .L_ZN7rocprim17ROCPRIM_400000_NS6detail26segmented_warp_sort_helperINS1_20WarpSortHelperConfigILj32ELj16ELj256EEEllLi256ELb0EvE4sortIPKlPlS8_S9_EEvT_T0_T1_T2_jjjjRNS5_12storage_typeE.has_dyn_sized_stack, 0
	.set .L_ZN7rocprim17ROCPRIM_400000_NS6detail26segmented_warp_sort_helperINS1_20WarpSortHelperConfigILj32ELj16ELj256EEEllLi256ELb0EvE4sortIPKlPlS8_S9_EEvT_T0_T1_T2_jjjjRNS5_12storage_typeE.has_recursion, 0
	.set .L_ZN7rocprim17ROCPRIM_400000_NS6detail26segmented_warp_sort_helperINS1_20WarpSortHelperConfigILj32ELj16ELj256EEEllLi256ELb0EvE4sortIPKlPlS8_S9_EEvT_T0_T1_T2_jjjjRNS5_12storage_typeE.has_indirect_call, 0
	.section	.AMDGPU.csdata,"",@progbits
; Function info:
; codeLenInByte = 51844
; TotalNumSgprs: 62
; NumVgprs: 193
; ScratchSize: 0
; MemoryBound: 0
	.section	.text._ZN7rocprim17ROCPRIM_400000_NS6detail17trampoline_kernelINS0_14default_configENS1_36segmented_radix_sort_config_selectorIllEEZNS1_25segmented_radix_sort_implIS3_Lb0EPKlPlS8_S9_N2at6native12_GLOBAL__N_18offset_tEEE10hipError_tPvRmT1_PNSt15iterator_traitsISH_E10value_typeET2_T3_PNSI_ISN_E10value_typeET4_jRbjT5_ST_jjP12ihipStream_tbEUlT_E0_NS1_11comp_targetILNS1_3genE8ELNS1_11target_archE1030ELNS1_3gpuE2ELNS1_3repE0EEENS1_60segmented_radix_sort_warp_sort_medium_config_static_selectorELNS0_4arch9wavefront6targetE0EEEvSH_,"axG",@progbits,_ZN7rocprim17ROCPRIM_400000_NS6detail17trampoline_kernelINS0_14default_configENS1_36segmented_radix_sort_config_selectorIllEEZNS1_25segmented_radix_sort_implIS3_Lb0EPKlPlS8_S9_N2at6native12_GLOBAL__N_18offset_tEEE10hipError_tPvRmT1_PNSt15iterator_traitsISH_E10value_typeET2_T3_PNSI_ISN_E10value_typeET4_jRbjT5_ST_jjP12ihipStream_tbEUlT_E0_NS1_11comp_targetILNS1_3genE8ELNS1_11target_archE1030ELNS1_3gpuE2ELNS1_3repE0EEENS1_60segmented_radix_sort_warp_sort_medium_config_static_selectorELNS0_4arch9wavefront6targetE0EEEvSH_,comdat
	.globl	_ZN7rocprim17ROCPRIM_400000_NS6detail17trampoline_kernelINS0_14default_configENS1_36segmented_radix_sort_config_selectorIllEEZNS1_25segmented_radix_sort_implIS3_Lb0EPKlPlS8_S9_N2at6native12_GLOBAL__N_18offset_tEEE10hipError_tPvRmT1_PNSt15iterator_traitsISH_E10value_typeET2_T3_PNSI_ISN_E10value_typeET4_jRbjT5_ST_jjP12ihipStream_tbEUlT_E0_NS1_11comp_targetILNS1_3genE8ELNS1_11target_archE1030ELNS1_3gpuE2ELNS1_3repE0EEENS1_60segmented_radix_sort_warp_sort_medium_config_static_selectorELNS0_4arch9wavefront6targetE0EEEvSH_ ; -- Begin function _ZN7rocprim17ROCPRIM_400000_NS6detail17trampoline_kernelINS0_14default_configENS1_36segmented_radix_sort_config_selectorIllEEZNS1_25segmented_radix_sort_implIS3_Lb0EPKlPlS8_S9_N2at6native12_GLOBAL__N_18offset_tEEE10hipError_tPvRmT1_PNSt15iterator_traitsISH_E10value_typeET2_T3_PNSI_ISN_E10value_typeET4_jRbjT5_ST_jjP12ihipStream_tbEUlT_E0_NS1_11comp_targetILNS1_3genE8ELNS1_11target_archE1030ELNS1_3gpuE2ELNS1_3repE0EEENS1_60segmented_radix_sort_warp_sort_medium_config_static_selectorELNS0_4arch9wavefront6targetE0EEEvSH_
	.p2align	8
	.type	_ZN7rocprim17ROCPRIM_400000_NS6detail17trampoline_kernelINS0_14default_configENS1_36segmented_radix_sort_config_selectorIllEEZNS1_25segmented_radix_sort_implIS3_Lb0EPKlPlS8_S9_N2at6native12_GLOBAL__N_18offset_tEEE10hipError_tPvRmT1_PNSt15iterator_traitsISH_E10value_typeET2_T3_PNSI_ISN_E10value_typeET4_jRbjT5_ST_jjP12ihipStream_tbEUlT_E0_NS1_11comp_targetILNS1_3genE8ELNS1_11target_archE1030ELNS1_3gpuE2ELNS1_3repE0EEENS1_60segmented_radix_sort_warp_sort_medium_config_static_selectorELNS0_4arch9wavefront6targetE0EEEvSH_,@function
_ZN7rocprim17ROCPRIM_400000_NS6detail17trampoline_kernelINS0_14default_configENS1_36segmented_radix_sort_config_selectorIllEEZNS1_25segmented_radix_sort_implIS3_Lb0EPKlPlS8_S9_N2at6native12_GLOBAL__N_18offset_tEEE10hipError_tPvRmT1_PNSt15iterator_traitsISH_E10value_typeET2_T3_PNSI_ISN_E10value_typeET4_jRbjT5_ST_jjP12ihipStream_tbEUlT_E0_NS1_11comp_targetILNS1_3genE8ELNS1_11target_archE1030ELNS1_3gpuE2ELNS1_3repE0EEENS1_60segmented_radix_sort_warp_sort_medium_config_static_selectorELNS0_4arch9wavefront6targetE0EEEvSH_: ; @_ZN7rocprim17ROCPRIM_400000_NS6detail17trampoline_kernelINS0_14default_configENS1_36segmented_radix_sort_config_selectorIllEEZNS1_25segmented_radix_sort_implIS3_Lb0EPKlPlS8_S9_N2at6native12_GLOBAL__N_18offset_tEEE10hipError_tPvRmT1_PNSt15iterator_traitsISH_E10value_typeET2_T3_PNSI_ISN_E10value_typeET4_jRbjT5_ST_jjP12ihipStream_tbEUlT_E0_NS1_11comp_targetILNS1_3genE8ELNS1_11target_archE1030ELNS1_3gpuE2ELNS1_3repE0EEENS1_60segmented_radix_sort_warp_sort_medium_config_static_selectorELNS0_4arch9wavefront6targetE0EEEvSH_
; %bb.0:
	s_add_u32 s0, s0, s8
	s_load_dword s8, s[4:5], 0x64
	s_addc_u32 s1, s1, 0
	s_mov_b32 s32, 0
	s_waitcnt lgkmcnt(0)
	s_lshr_b32 s9, s8, 16
	s_and_b32 s8, s8, 0xffff
	v_mad_u32_u24 v3, v2, s9, v1
	s_load_dword s9, s[4:5], 0x34
	v_mad_u64_u32 v[3:4], null, v3, s8, v[0:1]
	s_mov_b32 s8, exec_lo
	v_lshrrev_b32_e32 v3, 5, v3
	v_lshl_add_u32 v3, s6, 3, v3
	s_waitcnt lgkmcnt(0)
	v_cmpx_gt_u32_e64 s9, v3
	s_cbranch_execz .LBB820_6
; %bb.1:
	s_clause 0x1
	s_load_dwordx2 s[12:13], s[4:5], 0x38
	s_load_dwordx4 s[8:11], s[4:5], 0x40
	v_mov_b32_e32 v4, 0
	v_lshlrev_b64 v[3:4], 2, v[3:4]
	s_waitcnt lgkmcnt(0)
	v_add_co_u32 v3, vcc_lo, s12, v3
	v_add_co_ci_u32_e64 v4, null, s13, v4, vcc_lo
	global_load_dword v3, v[3:4], off
	s_waitcnt vmcnt(0)
	v_add_nc_u32_e32 v4, s9, v3
	v_add_nc_u32_e32 v3, s11, v3
	v_mul_lo_u32 v40, v4, s8
	v_mul_lo_u32 v41, v3, s10
	v_cmp_gt_u32_e32 vcc_lo, v41, v40
	s_and_b32 exec_lo, exec_lo, vcc_lo
	s_cbranch_execz .LBB820_6
; %bb.2:
	s_clause 0x3
	s_load_dword s8, s[4:5], 0x30
	s_load_dwordx4 s[36:39], s[4:5], 0x20
	s_load_dwordx8 s[48:55], s[4:5], 0x0
	s_load_dwordx2 s[34:35], s[4:5], 0x50
	v_lshlrev_b32_e32 v43, 20, v2
	v_lshlrev_b32_e32 v44, 10, v1
	s_waitcnt lgkmcnt(0)
	s_bitcmp0_b32 s8, 0
	s_mov_b32 s8, -1
	s_cbranch_scc0 .LBB820_4
; %bb.3:
	v_or3_b32 v31, v0, v44, v43
	v_mov_b32_e32 v42, v0
	v_mov_b32_e32 v0, s48
	;; [unrolled: 1-line block ×13, first 2 shown]
	s_add_u32 s8, s4, 0x58
	s_addc_u32 s9, s5, 0
	s_getpc_b64 s[10:11]
	s_add_u32 s10, s10, _ZN7rocprim17ROCPRIM_400000_NS6detail26segmented_warp_sort_helperINS1_20WarpSortHelperConfigILj32ELj16ELj256EEEllLi256ELb0EvE4sortIPKlPlS8_S9_EEvT_T0_T1_T2_jjjjRNS5_12storage_typeE@rel32@lo+4
	s_addc_u32 s11, s11, _ZN7rocprim17ROCPRIM_400000_NS6detail26segmented_warp_sort_helperINS1_20WarpSortHelperConfigILj32ELj16ELj256EEEllLi256ELb0EvE4sortIPKlPlS8_S9_EEvT_T0_T1_T2_jjjjRNS5_12storage_typeE@rel32@hi+12
	s_mov_b32 s12, s6
	s_mov_b32 s13, s7
	s_mov_b64 s[36:37], s[4:5]
	s_mov_b32 s33, s7
	s_mov_b32 s50, s6
	s_swappc_b64 s[30:31], s[10:11]
	v_mov_b32_e32 v0, v42
	s_mov_b32 s6, s50
	s_mov_b32 s7, s33
	s_mov_b64 s[4:5], s[36:37]
	s_mov_b32 s8, 0
.LBB820_4:
	s_andn2_b32 vcc_lo, exec_lo, s8
	s_cbranch_vccnz .LBB820_6
; %bb.5:
	v_or3_b32 v31, v0, v44, v43
	v_mov_b32_e32 v0, s48
	v_mov_b32_e32 v1, s49
	;; [unrolled: 1-line block ×12, first 2 shown]
	s_add_u32 s8, s4, 0x58
	s_addc_u32 s9, s5, 0
	s_getpc_b64 s[4:5]
	s_add_u32 s4, s4, _ZN7rocprim17ROCPRIM_400000_NS6detail26segmented_warp_sort_helperINS1_20WarpSortHelperConfigILj32ELj16ELj256EEEllLi256ELb0EvE4sortIPKlPlS8_S9_EEvT_T0_T1_T2_jjjjRNS5_12storage_typeE@rel32@lo+4
	s_addc_u32 s5, s5, _ZN7rocprim17ROCPRIM_400000_NS6detail26segmented_warp_sort_helperINS1_20WarpSortHelperConfigILj32ELj16ELj256EEEllLi256ELb0EvE4sortIPKlPlS8_S9_EEvT_T0_T1_T2_jjjjRNS5_12storage_typeE@rel32@hi+12
	s_mov_b32 s12, s6
	s_mov_b32 s13, s7
	s_swappc_b64 s[30:31], s[4:5]
.LBB820_6:
	s_endpgm
	.section	.rodata,"a",@progbits
	.p2align	6, 0x0
	.amdhsa_kernel _ZN7rocprim17ROCPRIM_400000_NS6detail17trampoline_kernelINS0_14default_configENS1_36segmented_radix_sort_config_selectorIllEEZNS1_25segmented_radix_sort_implIS3_Lb0EPKlPlS8_S9_N2at6native12_GLOBAL__N_18offset_tEEE10hipError_tPvRmT1_PNSt15iterator_traitsISH_E10value_typeET2_T3_PNSI_ISN_E10value_typeET4_jRbjT5_ST_jjP12ihipStream_tbEUlT_E0_NS1_11comp_targetILNS1_3genE8ELNS1_11target_archE1030ELNS1_3gpuE2ELNS1_3repE0EEENS1_60segmented_radix_sort_warp_sort_medium_config_static_selectorELNS0_4arch9wavefront6targetE0EEEvSH_
		.amdhsa_group_segment_fixed_size 65536
		.amdhsa_private_segment_fixed_size 0
		.amdhsa_kernarg_size 344
		.amdhsa_user_sgpr_count 6
		.amdhsa_user_sgpr_private_segment_buffer 1
		.amdhsa_user_sgpr_dispatch_ptr 0
		.amdhsa_user_sgpr_queue_ptr 0
		.amdhsa_user_sgpr_kernarg_segment_ptr 1
		.amdhsa_user_sgpr_dispatch_id 0
		.amdhsa_user_sgpr_flat_scratch_init 0
		.amdhsa_user_sgpr_private_segment_size 0
		.amdhsa_wavefront_size32 1
		.amdhsa_uses_dynamic_stack 0
		.amdhsa_system_sgpr_private_segment_wavefront_offset 0
		.amdhsa_system_sgpr_workgroup_id_x 1
		.amdhsa_system_sgpr_workgroup_id_y 1
		.amdhsa_system_sgpr_workgroup_id_z 0
		.amdhsa_system_sgpr_workgroup_info 0
		.amdhsa_system_vgpr_workitem_id 2
		.amdhsa_next_free_vgpr 193
		.amdhsa_next_free_sgpr 60
		.amdhsa_reserve_vcc 1
		.amdhsa_reserve_flat_scratch 0
		.amdhsa_float_round_mode_32 0
		.amdhsa_float_round_mode_16_64 0
		.amdhsa_float_denorm_mode_32 3
		.amdhsa_float_denorm_mode_16_64 3
		.amdhsa_dx10_clamp 1
		.amdhsa_ieee_mode 1
		.amdhsa_fp16_overflow 0
		.amdhsa_workgroup_processor_mode 1
		.amdhsa_memory_ordered 1
		.amdhsa_forward_progress 1
		.amdhsa_shared_vgpr_count 0
		.amdhsa_exception_fp_ieee_invalid_op 0
		.amdhsa_exception_fp_denorm_src 0
		.amdhsa_exception_fp_ieee_div_zero 0
		.amdhsa_exception_fp_ieee_overflow 0
		.amdhsa_exception_fp_ieee_underflow 0
		.amdhsa_exception_fp_ieee_inexact 0
		.amdhsa_exception_int_div_zero 0
	.end_amdhsa_kernel
	.section	.text._ZN7rocprim17ROCPRIM_400000_NS6detail17trampoline_kernelINS0_14default_configENS1_36segmented_radix_sort_config_selectorIllEEZNS1_25segmented_radix_sort_implIS3_Lb0EPKlPlS8_S9_N2at6native12_GLOBAL__N_18offset_tEEE10hipError_tPvRmT1_PNSt15iterator_traitsISH_E10value_typeET2_T3_PNSI_ISN_E10value_typeET4_jRbjT5_ST_jjP12ihipStream_tbEUlT_E0_NS1_11comp_targetILNS1_3genE8ELNS1_11target_archE1030ELNS1_3gpuE2ELNS1_3repE0EEENS1_60segmented_radix_sort_warp_sort_medium_config_static_selectorELNS0_4arch9wavefront6targetE0EEEvSH_,"axG",@progbits,_ZN7rocprim17ROCPRIM_400000_NS6detail17trampoline_kernelINS0_14default_configENS1_36segmented_radix_sort_config_selectorIllEEZNS1_25segmented_radix_sort_implIS3_Lb0EPKlPlS8_S9_N2at6native12_GLOBAL__N_18offset_tEEE10hipError_tPvRmT1_PNSt15iterator_traitsISH_E10value_typeET2_T3_PNSI_ISN_E10value_typeET4_jRbjT5_ST_jjP12ihipStream_tbEUlT_E0_NS1_11comp_targetILNS1_3genE8ELNS1_11target_archE1030ELNS1_3gpuE2ELNS1_3repE0EEENS1_60segmented_radix_sort_warp_sort_medium_config_static_selectorELNS0_4arch9wavefront6targetE0EEEvSH_,comdat
.Lfunc_end820:
	.size	_ZN7rocprim17ROCPRIM_400000_NS6detail17trampoline_kernelINS0_14default_configENS1_36segmented_radix_sort_config_selectorIllEEZNS1_25segmented_radix_sort_implIS3_Lb0EPKlPlS8_S9_N2at6native12_GLOBAL__N_18offset_tEEE10hipError_tPvRmT1_PNSt15iterator_traitsISH_E10value_typeET2_T3_PNSI_ISN_E10value_typeET4_jRbjT5_ST_jjP12ihipStream_tbEUlT_E0_NS1_11comp_targetILNS1_3genE8ELNS1_11target_archE1030ELNS1_3gpuE2ELNS1_3repE0EEENS1_60segmented_radix_sort_warp_sort_medium_config_static_selectorELNS0_4arch9wavefront6targetE0EEEvSH_, .Lfunc_end820-_ZN7rocprim17ROCPRIM_400000_NS6detail17trampoline_kernelINS0_14default_configENS1_36segmented_radix_sort_config_selectorIllEEZNS1_25segmented_radix_sort_implIS3_Lb0EPKlPlS8_S9_N2at6native12_GLOBAL__N_18offset_tEEE10hipError_tPvRmT1_PNSt15iterator_traitsISH_E10value_typeET2_T3_PNSI_ISN_E10value_typeET4_jRbjT5_ST_jjP12ihipStream_tbEUlT_E0_NS1_11comp_targetILNS1_3genE8ELNS1_11target_archE1030ELNS1_3gpuE2ELNS1_3repE0EEENS1_60segmented_radix_sort_warp_sort_medium_config_static_selectorELNS0_4arch9wavefront6targetE0EEEvSH_
                                        ; -- End function
	.set _ZN7rocprim17ROCPRIM_400000_NS6detail17trampoline_kernelINS0_14default_configENS1_36segmented_radix_sort_config_selectorIllEEZNS1_25segmented_radix_sort_implIS3_Lb0EPKlPlS8_S9_N2at6native12_GLOBAL__N_18offset_tEEE10hipError_tPvRmT1_PNSt15iterator_traitsISH_E10value_typeET2_T3_PNSI_ISN_E10value_typeET4_jRbjT5_ST_jjP12ihipStream_tbEUlT_E0_NS1_11comp_targetILNS1_3genE8ELNS1_11target_archE1030ELNS1_3gpuE2ELNS1_3repE0EEENS1_60segmented_radix_sort_warp_sort_medium_config_static_selectorELNS0_4arch9wavefront6targetE0EEEvSH_.num_vgpr, max(45, .L_ZN7rocprim17ROCPRIM_400000_NS6detail26segmented_warp_sort_helperINS1_20WarpSortHelperConfigILj32ELj16ELj256EEEllLi256ELb0EvE4sortIPKlPlS8_S9_EEvT_T0_T1_T2_jjjjRNS5_12storage_typeE.num_vgpr)
	.set _ZN7rocprim17ROCPRIM_400000_NS6detail17trampoline_kernelINS0_14default_configENS1_36segmented_radix_sort_config_selectorIllEEZNS1_25segmented_radix_sort_implIS3_Lb0EPKlPlS8_S9_N2at6native12_GLOBAL__N_18offset_tEEE10hipError_tPvRmT1_PNSt15iterator_traitsISH_E10value_typeET2_T3_PNSI_ISN_E10value_typeET4_jRbjT5_ST_jjP12ihipStream_tbEUlT_E0_NS1_11comp_targetILNS1_3genE8ELNS1_11target_archE1030ELNS1_3gpuE2ELNS1_3repE0EEENS1_60segmented_radix_sort_warp_sort_medium_config_static_selectorELNS0_4arch9wavefront6targetE0EEEvSH_.num_agpr, max(0, .L_ZN7rocprim17ROCPRIM_400000_NS6detail26segmented_warp_sort_helperINS1_20WarpSortHelperConfigILj32ELj16ELj256EEEllLi256ELb0EvE4sortIPKlPlS8_S9_EEvT_T0_T1_T2_jjjjRNS5_12storage_typeE.num_agpr)
	.set _ZN7rocprim17ROCPRIM_400000_NS6detail17trampoline_kernelINS0_14default_configENS1_36segmented_radix_sort_config_selectorIllEEZNS1_25segmented_radix_sort_implIS3_Lb0EPKlPlS8_S9_N2at6native12_GLOBAL__N_18offset_tEEE10hipError_tPvRmT1_PNSt15iterator_traitsISH_E10value_typeET2_T3_PNSI_ISN_E10value_typeET4_jRbjT5_ST_jjP12ihipStream_tbEUlT_E0_NS1_11comp_targetILNS1_3genE8ELNS1_11target_archE1030ELNS1_3gpuE2ELNS1_3repE0EEENS1_60segmented_radix_sort_warp_sort_medium_config_static_selectorELNS0_4arch9wavefront6targetE0EEEvSH_.numbered_sgpr, max(56, .L_ZN7rocprim17ROCPRIM_400000_NS6detail26segmented_warp_sort_helperINS1_20WarpSortHelperConfigILj32ELj16ELj256EEEllLi256ELb0EvE4sortIPKlPlS8_S9_EEvT_T0_T1_T2_jjjjRNS5_12storage_typeE.numbered_sgpr)
	.set _ZN7rocprim17ROCPRIM_400000_NS6detail17trampoline_kernelINS0_14default_configENS1_36segmented_radix_sort_config_selectorIllEEZNS1_25segmented_radix_sort_implIS3_Lb0EPKlPlS8_S9_N2at6native12_GLOBAL__N_18offset_tEEE10hipError_tPvRmT1_PNSt15iterator_traitsISH_E10value_typeET2_T3_PNSI_ISN_E10value_typeET4_jRbjT5_ST_jjP12ihipStream_tbEUlT_E0_NS1_11comp_targetILNS1_3genE8ELNS1_11target_archE1030ELNS1_3gpuE2ELNS1_3repE0EEENS1_60segmented_radix_sort_warp_sort_medium_config_static_selectorELNS0_4arch9wavefront6targetE0EEEvSH_.num_named_barrier, max(0, .L_ZN7rocprim17ROCPRIM_400000_NS6detail26segmented_warp_sort_helperINS1_20WarpSortHelperConfigILj32ELj16ELj256EEEllLi256ELb0EvE4sortIPKlPlS8_S9_EEvT_T0_T1_T2_jjjjRNS5_12storage_typeE.num_named_barrier)
	.set _ZN7rocprim17ROCPRIM_400000_NS6detail17trampoline_kernelINS0_14default_configENS1_36segmented_radix_sort_config_selectorIllEEZNS1_25segmented_radix_sort_implIS3_Lb0EPKlPlS8_S9_N2at6native12_GLOBAL__N_18offset_tEEE10hipError_tPvRmT1_PNSt15iterator_traitsISH_E10value_typeET2_T3_PNSI_ISN_E10value_typeET4_jRbjT5_ST_jjP12ihipStream_tbEUlT_E0_NS1_11comp_targetILNS1_3genE8ELNS1_11target_archE1030ELNS1_3gpuE2ELNS1_3repE0EEENS1_60segmented_radix_sort_warp_sort_medium_config_static_selectorELNS0_4arch9wavefront6targetE0EEEvSH_.private_seg_size, 0+max(.L_ZN7rocprim17ROCPRIM_400000_NS6detail26segmented_warp_sort_helperINS1_20WarpSortHelperConfigILj32ELj16ELj256EEEllLi256ELb0EvE4sortIPKlPlS8_S9_EEvT_T0_T1_T2_jjjjRNS5_12storage_typeE.private_seg_size)
	.set _ZN7rocprim17ROCPRIM_400000_NS6detail17trampoline_kernelINS0_14default_configENS1_36segmented_radix_sort_config_selectorIllEEZNS1_25segmented_radix_sort_implIS3_Lb0EPKlPlS8_S9_N2at6native12_GLOBAL__N_18offset_tEEE10hipError_tPvRmT1_PNSt15iterator_traitsISH_E10value_typeET2_T3_PNSI_ISN_E10value_typeET4_jRbjT5_ST_jjP12ihipStream_tbEUlT_E0_NS1_11comp_targetILNS1_3genE8ELNS1_11target_archE1030ELNS1_3gpuE2ELNS1_3repE0EEENS1_60segmented_radix_sort_warp_sort_medium_config_static_selectorELNS0_4arch9wavefront6targetE0EEEvSH_.uses_vcc, or(1, .L_ZN7rocprim17ROCPRIM_400000_NS6detail26segmented_warp_sort_helperINS1_20WarpSortHelperConfigILj32ELj16ELj256EEEllLi256ELb0EvE4sortIPKlPlS8_S9_EEvT_T0_T1_T2_jjjjRNS5_12storage_typeE.uses_vcc)
	.set _ZN7rocprim17ROCPRIM_400000_NS6detail17trampoline_kernelINS0_14default_configENS1_36segmented_radix_sort_config_selectorIllEEZNS1_25segmented_radix_sort_implIS3_Lb0EPKlPlS8_S9_N2at6native12_GLOBAL__N_18offset_tEEE10hipError_tPvRmT1_PNSt15iterator_traitsISH_E10value_typeET2_T3_PNSI_ISN_E10value_typeET4_jRbjT5_ST_jjP12ihipStream_tbEUlT_E0_NS1_11comp_targetILNS1_3genE8ELNS1_11target_archE1030ELNS1_3gpuE2ELNS1_3repE0EEENS1_60segmented_radix_sort_warp_sort_medium_config_static_selectorELNS0_4arch9wavefront6targetE0EEEvSH_.uses_flat_scratch, or(0, .L_ZN7rocprim17ROCPRIM_400000_NS6detail26segmented_warp_sort_helperINS1_20WarpSortHelperConfigILj32ELj16ELj256EEEllLi256ELb0EvE4sortIPKlPlS8_S9_EEvT_T0_T1_T2_jjjjRNS5_12storage_typeE.uses_flat_scratch)
	.set _ZN7rocprim17ROCPRIM_400000_NS6detail17trampoline_kernelINS0_14default_configENS1_36segmented_radix_sort_config_selectorIllEEZNS1_25segmented_radix_sort_implIS3_Lb0EPKlPlS8_S9_N2at6native12_GLOBAL__N_18offset_tEEE10hipError_tPvRmT1_PNSt15iterator_traitsISH_E10value_typeET2_T3_PNSI_ISN_E10value_typeET4_jRbjT5_ST_jjP12ihipStream_tbEUlT_E0_NS1_11comp_targetILNS1_3genE8ELNS1_11target_archE1030ELNS1_3gpuE2ELNS1_3repE0EEENS1_60segmented_radix_sort_warp_sort_medium_config_static_selectorELNS0_4arch9wavefront6targetE0EEEvSH_.has_dyn_sized_stack, or(0, .L_ZN7rocprim17ROCPRIM_400000_NS6detail26segmented_warp_sort_helperINS1_20WarpSortHelperConfigILj32ELj16ELj256EEEllLi256ELb0EvE4sortIPKlPlS8_S9_EEvT_T0_T1_T2_jjjjRNS5_12storage_typeE.has_dyn_sized_stack)
	.set _ZN7rocprim17ROCPRIM_400000_NS6detail17trampoline_kernelINS0_14default_configENS1_36segmented_radix_sort_config_selectorIllEEZNS1_25segmented_radix_sort_implIS3_Lb0EPKlPlS8_S9_N2at6native12_GLOBAL__N_18offset_tEEE10hipError_tPvRmT1_PNSt15iterator_traitsISH_E10value_typeET2_T3_PNSI_ISN_E10value_typeET4_jRbjT5_ST_jjP12ihipStream_tbEUlT_E0_NS1_11comp_targetILNS1_3genE8ELNS1_11target_archE1030ELNS1_3gpuE2ELNS1_3repE0EEENS1_60segmented_radix_sort_warp_sort_medium_config_static_selectorELNS0_4arch9wavefront6targetE0EEEvSH_.has_recursion, or(0, .L_ZN7rocprim17ROCPRIM_400000_NS6detail26segmented_warp_sort_helperINS1_20WarpSortHelperConfigILj32ELj16ELj256EEEllLi256ELb0EvE4sortIPKlPlS8_S9_EEvT_T0_T1_T2_jjjjRNS5_12storage_typeE.has_recursion)
	.set _ZN7rocprim17ROCPRIM_400000_NS6detail17trampoline_kernelINS0_14default_configENS1_36segmented_radix_sort_config_selectorIllEEZNS1_25segmented_radix_sort_implIS3_Lb0EPKlPlS8_S9_N2at6native12_GLOBAL__N_18offset_tEEE10hipError_tPvRmT1_PNSt15iterator_traitsISH_E10value_typeET2_T3_PNSI_ISN_E10value_typeET4_jRbjT5_ST_jjP12ihipStream_tbEUlT_E0_NS1_11comp_targetILNS1_3genE8ELNS1_11target_archE1030ELNS1_3gpuE2ELNS1_3repE0EEENS1_60segmented_radix_sort_warp_sort_medium_config_static_selectorELNS0_4arch9wavefront6targetE0EEEvSH_.has_indirect_call, or(0, .L_ZN7rocprim17ROCPRIM_400000_NS6detail26segmented_warp_sort_helperINS1_20WarpSortHelperConfigILj32ELj16ELj256EEEllLi256ELb0EvE4sortIPKlPlS8_S9_EEvT_T0_T1_T2_jjjjRNS5_12storage_typeE.has_indirect_call)
	.section	.AMDGPU.csdata,"",@progbits
; Kernel info:
; codeLenInByte = 500
; TotalNumSgprs: 62
; NumVgprs: 193
; ScratchSize: 0
; MemoryBound: 0
; FloatMode: 240
; IeeeMode: 1
; LDSByteSize: 65536 bytes/workgroup (compile time only)
; SGPRBlocks: 0
; VGPRBlocks: 24
; NumSGPRsForWavesPerEU: 62
; NumVGPRsForWavesPerEU: 193
; Occupancy: 4
; WaveLimiterHint : 0
; COMPUTE_PGM_RSRC2:SCRATCH_EN: 0
; COMPUTE_PGM_RSRC2:USER_SGPR: 6
; COMPUTE_PGM_RSRC2:TRAP_HANDLER: 0
; COMPUTE_PGM_RSRC2:TGID_X_EN: 1
; COMPUTE_PGM_RSRC2:TGID_Y_EN: 1
; COMPUTE_PGM_RSRC2:TGID_Z_EN: 0
; COMPUTE_PGM_RSRC2:TIDIG_COMP_CNT: 2
	.section	.text._ZN7rocprim17ROCPRIM_400000_NS6detail17trampoline_kernelINS0_14default_configENS1_36segmented_radix_sort_config_selectorIllEEZNS1_25segmented_radix_sort_implIS3_Lb0EPKlPlS8_S9_N2at6native12_GLOBAL__N_18offset_tEEE10hipError_tPvRmT1_PNSt15iterator_traitsISH_E10value_typeET2_T3_PNSI_ISN_E10value_typeET4_jRbjT5_ST_jjP12ihipStream_tbEUlT_E1_NS1_11comp_targetILNS1_3genE0ELNS1_11target_archE4294967295ELNS1_3gpuE0ELNS1_3repE0EEENS1_59segmented_radix_sort_warp_sort_small_config_static_selectorELNS0_4arch9wavefront6targetE0EEEvSH_,"axG",@progbits,_ZN7rocprim17ROCPRIM_400000_NS6detail17trampoline_kernelINS0_14default_configENS1_36segmented_radix_sort_config_selectorIllEEZNS1_25segmented_radix_sort_implIS3_Lb0EPKlPlS8_S9_N2at6native12_GLOBAL__N_18offset_tEEE10hipError_tPvRmT1_PNSt15iterator_traitsISH_E10value_typeET2_T3_PNSI_ISN_E10value_typeET4_jRbjT5_ST_jjP12ihipStream_tbEUlT_E1_NS1_11comp_targetILNS1_3genE0ELNS1_11target_archE4294967295ELNS1_3gpuE0ELNS1_3repE0EEENS1_59segmented_radix_sort_warp_sort_small_config_static_selectorELNS0_4arch9wavefront6targetE0EEEvSH_,comdat
	.globl	_ZN7rocprim17ROCPRIM_400000_NS6detail17trampoline_kernelINS0_14default_configENS1_36segmented_radix_sort_config_selectorIllEEZNS1_25segmented_radix_sort_implIS3_Lb0EPKlPlS8_S9_N2at6native12_GLOBAL__N_18offset_tEEE10hipError_tPvRmT1_PNSt15iterator_traitsISH_E10value_typeET2_T3_PNSI_ISN_E10value_typeET4_jRbjT5_ST_jjP12ihipStream_tbEUlT_E1_NS1_11comp_targetILNS1_3genE0ELNS1_11target_archE4294967295ELNS1_3gpuE0ELNS1_3repE0EEENS1_59segmented_radix_sort_warp_sort_small_config_static_selectorELNS0_4arch9wavefront6targetE0EEEvSH_ ; -- Begin function _ZN7rocprim17ROCPRIM_400000_NS6detail17trampoline_kernelINS0_14default_configENS1_36segmented_radix_sort_config_selectorIllEEZNS1_25segmented_radix_sort_implIS3_Lb0EPKlPlS8_S9_N2at6native12_GLOBAL__N_18offset_tEEE10hipError_tPvRmT1_PNSt15iterator_traitsISH_E10value_typeET2_T3_PNSI_ISN_E10value_typeET4_jRbjT5_ST_jjP12ihipStream_tbEUlT_E1_NS1_11comp_targetILNS1_3genE0ELNS1_11target_archE4294967295ELNS1_3gpuE0ELNS1_3repE0EEENS1_59segmented_radix_sort_warp_sort_small_config_static_selectorELNS0_4arch9wavefront6targetE0EEEvSH_
	.p2align	8
	.type	_ZN7rocprim17ROCPRIM_400000_NS6detail17trampoline_kernelINS0_14default_configENS1_36segmented_radix_sort_config_selectorIllEEZNS1_25segmented_radix_sort_implIS3_Lb0EPKlPlS8_S9_N2at6native12_GLOBAL__N_18offset_tEEE10hipError_tPvRmT1_PNSt15iterator_traitsISH_E10value_typeET2_T3_PNSI_ISN_E10value_typeET4_jRbjT5_ST_jjP12ihipStream_tbEUlT_E1_NS1_11comp_targetILNS1_3genE0ELNS1_11target_archE4294967295ELNS1_3gpuE0ELNS1_3repE0EEENS1_59segmented_radix_sort_warp_sort_small_config_static_selectorELNS0_4arch9wavefront6targetE0EEEvSH_,@function
_ZN7rocprim17ROCPRIM_400000_NS6detail17trampoline_kernelINS0_14default_configENS1_36segmented_radix_sort_config_selectorIllEEZNS1_25segmented_radix_sort_implIS3_Lb0EPKlPlS8_S9_N2at6native12_GLOBAL__N_18offset_tEEE10hipError_tPvRmT1_PNSt15iterator_traitsISH_E10value_typeET2_T3_PNSI_ISN_E10value_typeET4_jRbjT5_ST_jjP12ihipStream_tbEUlT_E1_NS1_11comp_targetILNS1_3genE0ELNS1_11target_archE4294967295ELNS1_3gpuE0ELNS1_3repE0EEENS1_59segmented_radix_sort_warp_sort_small_config_static_selectorELNS0_4arch9wavefront6targetE0EEEvSH_: ; @_ZN7rocprim17ROCPRIM_400000_NS6detail17trampoline_kernelINS0_14default_configENS1_36segmented_radix_sort_config_selectorIllEEZNS1_25segmented_radix_sort_implIS3_Lb0EPKlPlS8_S9_N2at6native12_GLOBAL__N_18offset_tEEE10hipError_tPvRmT1_PNSt15iterator_traitsISH_E10value_typeET2_T3_PNSI_ISN_E10value_typeET4_jRbjT5_ST_jjP12ihipStream_tbEUlT_E1_NS1_11comp_targetILNS1_3genE0ELNS1_11target_archE4294967295ELNS1_3gpuE0ELNS1_3repE0EEENS1_59segmented_radix_sort_warp_sort_small_config_static_selectorELNS0_4arch9wavefront6targetE0EEEvSH_
; %bb.0:
	.section	.rodata,"a",@progbits
	.p2align	6, 0x0
	.amdhsa_kernel _ZN7rocprim17ROCPRIM_400000_NS6detail17trampoline_kernelINS0_14default_configENS1_36segmented_radix_sort_config_selectorIllEEZNS1_25segmented_radix_sort_implIS3_Lb0EPKlPlS8_S9_N2at6native12_GLOBAL__N_18offset_tEEE10hipError_tPvRmT1_PNSt15iterator_traitsISH_E10value_typeET2_T3_PNSI_ISN_E10value_typeET4_jRbjT5_ST_jjP12ihipStream_tbEUlT_E1_NS1_11comp_targetILNS1_3genE0ELNS1_11target_archE4294967295ELNS1_3gpuE0ELNS1_3repE0EEENS1_59segmented_radix_sort_warp_sort_small_config_static_selectorELNS0_4arch9wavefront6targetE0EEEvSH_
		.amdhsa_group_segment_fixed_size 0
		.amdhsa_private_segment_fixed_size 0
		.amdhsa_kernarg_size 88
		.amdhsa_user_sgpr_count 6
		.amdhsa_user_sgpr_private_segment_buffer 1
		.amdhsa_user_sgpr_dispatch_ptr 0
		.amdhsa_user_sgpr_queue_ptr 0
		.amdhsa_user_sgpr_kernarg_segment_ptr 1
		.amdhsa_user_sgpr_dispatch_id 0
		.amdhsa_user_sgpr_flat_scratch_init 0
		.amdhsa_user_sgpr_private_segment_size 0
		.amdhsa_wavefront_size32 1
		.amdhsa_uses_dynamic_stack 0
		.amdhsa_system_sgpr_private_segment_wavefront_offset 0
		.amdhsa_system_sgpr_workgroup_id_x 1
		.amdhsa_system_sgpr_workgroup_id_y 0
		.amdhsa_system_sgpr_workgroup_id_z 0
		.amdhsa_system_sgpr_workgroup_info 0
		.amdhsa_system_vgpr_workitem_id 0
		.amdhsa_next_free_vgpr 1
		.amdhsa_next_free_sgpr 1
		.amdhsa_reserve_vcc 0
		.amdhsa_reserve_flat_scratch 0
		.amdhsa_float_round_mode_32 0
		.amdhsa_float_round_mode_16_64 0
		.amdhsa_float_denorm_mode_32 3
		.amdhsa_float_denorm_mode_16_64 3
		.amdhsa_dx10_clamp 1
		.amdhsa_ieee_mode 1
		.amdhsa_fp16_overflow 0
		.amdhsa_workgroup_processor_mode 1
		.amdhsa_memory_ordered 1
		.amdhsa_forward_progress 1
		.amdhsa_shared_vgpr_count 0
		.amdhsa_exception_fp_ieee_invalid_op 0
		.amdhsa_exception_fp_denorm_src 0
		.amdhsa_exception_fp_ieee_div_zero 0
		.amdhsa_exception_fp_ieee_overflow 0
		.amdhsa_exception_fp_ieee_underflow 0
		.amdhsa_exception_fp_ieee_inexact 0
		.amdhsa_exception_int_div_zero 0
	.end_amdhsa_kernel
	.section	.text._ZN7rocprim17ROCPRIM_400000_NS6detail17trampoline_kernelINS0_14default_configENS1_36segmented_radix_sort_config_selectorIllEEZNS1_25segmented_radix_sort_implIS3_Lb0EPKlPlS8_S9_N2at6native12_GLOBAL__N_18offset_tEEE10hipError_tPvRmT1_PNSt15iterator_traitsISH_E10value_typeET2_T3_PNSI_ISN_E10value_typeET4_jRbjT5_ST_jjP12ihipStream_tbEUlT_E1_NS1_11comp_targetILNS1_3genE0ELNS1_11target_archE4294967295ELNS1_3gpuE0ELNS1_3repE0EEENS1_59segmented_radix_sort_warp_sort_small_config_static_selectorELNS0_4arch9wavefront6targetE0EEEvSH_,"axG",@progbits,_ZN7rocprim17ROCPRIM_400000_NS6detail17trampoline_kernelINS0_14default_configENS1_36segmented_radix_sort_config_selectorIllEEZNS1_25segmented_radix_sort_implIS3_Lb0EPKlPlS8_S9_N2at6native12_GLOBAL__N_18offset_tEEE10hipError_tPvRmT1_PNSt15iterator_traitsISH_E10value_typeET2_T3_PNSI_ISN_E10value_typeET4_jRbjT5_ST_jjP12ihipStream_tbEUlT_E1_NS1_11comp_targetILNS1_3genE0ELNS1_11target_archE4294967295ELNS1_3gpuE0ELNS1_3repE0EEENS1_59segmented_radix_sort_warp_sort_small_config_static_selectorELNS0_4arch9wavefront6targetE0EEEvSH_,comdat
.Lfunc_end821:
	.size	_ZN7rocprim17ROCPRIM_400000_NS6detail17trampoline_kernelINS0_14default_configENS1_36segmented_radix_sort_config_selectorIllEEZNS1_25segmented_radix_sort_implIS3_Lb0EPKlPlS8_S9_N2at6native12_GLOBAL__N_18offset_tEEE10hipError_tPvRmT1_PNSt15iterator_traitsISH_E10value_typeET2_T3_PNSI_ISN_E10value_typeET4_jRbjT5_ST_jjP12ihipStream_tbEUlT_E1_NS1_11comp_targetILNS1_3genE0ELNS1_11target_archE4294967295ELNS1_3gpuE0ELNS1_3repE0EEENS1_59segmented_radix_sort_warp_sort_small_config_static_selectorELNS0_4arch9wavefront6targetE0EEEvSH_, .Lfunc_end821-_ZN7rocprim17ROCPRIM_400000_NS6detail17trampoline_kernelINS0_14default_configENS1_36segmented_radix_sort_config_selectorIllEEZNS1_25segmented_radix_sort_implIS3_Lb0EPKlPlS8_S9_N2at6native12_GLOBAL__N_18offset_tEEE10hipError_tPvRmT1_PNSt15iterator_traitsISH_E10value_typeET2_T3_PNSI_ISN_E10value_typeET4_jRbjT5_ST_jjP12ihipStream_tbEUlT_E1_NS1_11comp_targetILNS1_3genE0ELNS1_11target_archE4294967295ELNS1_3gpuE0ELNS1_3repE0EEENS1_59segmented_radix_sort_warp_sort_small_config_static_selectorELNS0_4arch9wavefront6targetE0EEEvSH_
                                        ; -- End function
	.set _ZN7rocprim17ROCPRIM_400000_NS6detail17trampoline_kernelINS0_14default_configENS1_36segmented_radix_sort_config_selectorIllEEZNS1_25segmented_radix_sort_implIS3_Lb0EPKlPlS8_S9_N2at6native12_GLOBAL__N_18offset_tEEE10hipError_tPvRmT1_PNSt15iterator_traitsISH_E10value_typeET2_T3_PNSI_ISN_E10value_typeET4_jRbjT5_ST_jjP12ihipStream_tbEUlT_E1_NS1_11comp_targetILNS1_3genE0ELNS1_11target_archE4294967295ELNS1_3gpuE0ELNS1_3repE0EEENS1_59segmented_radix_sort_warp_sort_small_config_static_selectorELNS0_4arch9wavefront6targetE0EEEvSH_.num_vgpr, 0
	.set _ZN7rocprim17ROCPRIM_400000_NS6detail17trampoline_kernelINS0_14default_configENS1_36segmented_radix_sort_config_selectorIllEEZNS1_25segmented_radix_sort_implIS3_Lb0EPKlPlS8_S9_N2at6native12_GLOBAL__N_18offset_tEEE10hipError_tPvRmT1_PNSt15iterator_traitsISH_E10value_typeET2_T3_PNSI_ISN_E10value_typeET4_jRbjT5_ST_jjP12ihipStream_tbEUlT_E1_NS1_11comp_targetILNS1_3genE0ELNS1_11target_archE4294967295ELNS1_3gpuE0ELNS1_3repE0EEENS1_59segmented_radix_sort_warp_sort_small_config_static_selectorELNS0_4arch9wavefront6targetE0EEEvSH_.num_agpr, 0
	.set _ZN7rocprim17ROCPRIM_400000_NS6detail17trampoline_kernelINS0_14default_configENS1_36segmented_radix_sort_config_selectorIllEEZNS1_25segmented_radix_sort_implIS3_Lb0EPKlPlS8_S9_N2at6native12_GLOBAL__N_18offset_tEEE10hipError_tPvRmT1_PNSt15iterator_traitsISH_E10value_typeET2_T3_PNSI_ISN_E10value_typeET4_jRbjT5_ST_jjP12ihipStream_tbEUlT_E1_NS1_11comp_targetILNS1_3genE0ELNS1_11target_archE4294967295ELNS1_3gpuE0ELNS1_3repE0EEENS1_59segmented_radix_sort_warp_sort_small_config_static_selectorELNS0_4arch9wavefront6targetE0EEEvSH_.numbered_sgpr, 0
	.set _ZN7rocprim17ROCPRIM_400000_NS6detail17trampoline_kernelINS0_14default_configENS1_36segmented_radix_sort_config_selectorIllEEZNS1_25segmented_radix_sort_implIS3_Lb0EPKlPlS8_S9_N2at6native12_GLOBAL__N_18offset_tEEE10hipError_tPvRmT1_PNSt15iterator_traitsISH_E10value_typeET2_T3_PNSI_ISN_E10value_typeET4_jRbjT5_ST_jjP12ihipStream_tbEUlT_E1_NS1_11comp_targetILNS1_3genE0ELNS1_11target_archE4294967295ELNS1_3gpuE0ELNS1_3repE0EEENS1_59segmented_radix_sort_warp_sort_small_config_static_selectorELNS0_4arch9wavefront6targetE0EEEvSH_.num_named_barrier, 0
	.set _ZN7rocprim17ROCPRIM_400000_NS6detail17trampoline_kernelINS0_14default_configENS1_36segmented_radix_sort_config_selectorIllEEZNS1_25segmented_radix_sort_implIS3_Lb0EPKlPlS8_S9_N2at6native12_GLOBAL__N_18offset_tEEE10hipError_tPvRmT1_PNSt15iterator_traitsISH_E10value_typeET2_T3_PNSI_ISN_E10value_typeET4_jRbjT5_ST_jjP12ihipStream_tbEUlT_E1_NS1_11comp_targetILNS1_3genE0ELNS1_11target_archE4294967295ELNS1_3gpuE0ELNS1_3repE0EEENS1_59segmented_radix_sort_warp_sort_small_config_static_selectorELNS0_4arch9wavefront6targetE0EEEvSH_.private_seg_size, 0
	.set _ZN7rocprim17ROCPRIM_400000_NS6detail17trampoline_kernelINS0_14default_configENS1_36segmented_radix_sort_config_selectorIllEEZNS1_25segmented_radix_sort_implIS3_Lb0EPKlPlS8_S9_N2at6native12_GLOBAL__N_18offset_tEEE10hipError_tPvRmT1_PNSt15iterator_traitsISH_E10value_typeET2_T3_PNSI_ISN_E10value_typeET4_jRbjT5_ST_jjP12ihipStream_tbEUlT_E1_NS1_11comp_targetILNS1_3genE0ELNS1_11target_archE4294967295ELNS1_3gpuE0ELNS1_3repE0EEENS1_59segmented_radix_sort_warp_sort_small_config_static_selectorELNS0_4arch9wavefront6targetE0EEEvSH_.uses_vcc, 0
	.set _ZN7rocprim17ROCPRIM_400000_NS6detail17trampoline_kernelINS0_14default_configENS1_36segmented_radix_sort_config_selectorIllEEZNS1_25segmented_radix_sort_implIS3_Lb0EPKlPlS8_S9_N2at6native12_GLOBAL__N_18offset_tEEE10hipError_tPvRmT1_PNSt15iterator_traitsISH_E10value_typeET2_T3_PNSI_ISN_E10value_typeET4_jRbjT5_ST_jjP12ihipStream_tbEUlT_E1_NS1_11comp_targetILNS1_3genE0ELNS1_11target_archE4294967295ELNS1_3gpuE0ELNS1_3repE0EEENS1_59segmented_radix_sort_warp_sort_small_config_static_selectorELNS0_4arch9wavefront6targetE0EEEvSH_.uses_flat_scratch, 0
	.set _ZN7rocprim17ROCPRIM_400000_NS6detail17trampoline_kernelINS0_14default_configENS1_36segmented_radix_sort_config_selectorIllEEZNS1_25segmented_radix_sort_implIS3_Lb0EPKlPlS8_S9_N2at6native12_GLOBAL__N_18offset_tEEE10hipError_tPvRmT1_PNSt15iterator_traitsISH_E10value_typeET2_T3_PNSI_ISN_E10value_typeET4_jRbjT5_ST_jjP12ihipStream_tbEUlT_E1_NS1_11comp_targetILNS1_3genE0ELNS1_11target_archE4294967295ELNS1_3gpuE0ELNS1_3repE0EEENS1_59segmented_radix_sort_warp_sort_small_config_static_selectorELNS0_4arch9wavefront6targetE0EEEvSH_.has_dyn_sized_stack, 0
	.set _ZN7rocprim17ROCPRIM_400000_NS6detail17trampoline_kernelINS0_14default_configENS1_36segmented_radix_sort_config_selectorIllEEZNS1_25segmented_radix_sort_implIS3_Lb0EPKlPlS8_S9_N2at6native12_GLOBAL__N_18offset_tEEE10hipError_tPvRmT1_PNSt15iterator_traitsISH_E10value_typeET2_T3_PNSI_ISN_E10value_typeET4_jRbjT5_ST_jjP12ihipStream_tbEUlT_E1_NS1_11comp_targetILNS1_3genE0ELNS1_11target_archE4294967295ELNS1_3gpuE0ELNS1_3repE0EEENS1_59segmented_radix_sort_warp_sort_small_config_static_selectorELNS0_4arch9wavefront6targetE0EEEvSH_.has_recursion, 0
	.set _ZN7rocprim17ROCPRIM_400000_NS6detail17trampoline_kernelINS0_14default_configENS1_36segmented_radix_sort_config_selectorIllEEZNS1_25segmented_radix_sort_implIS3_Lb0EPKlPlS8_S9_N2at6native12_GLOBAL__N_18offset_tEEE10hipError_tPvRmT1_PNSt15iterator_traitsISH_E10value_typeET2_T3_PNSI_ISN_E10value_typeET4_jRbjT5_ST_jjP12ihipStream_tbEUlT_E1_NS1_11comp_targetILNS1_3genE0ELNS1_11target_archE4294967295ELNS1_3gpuE0ELNS1_3repE0EEENS1_59segmented_radix_sort_warp_sort_small_config_static_selectorELNS0_4arch9wavefront6targetE0EEEvSH_.has_indirect_call, 0
	.section	.AMDGPU.csdata,"",@progbits
; Kernel info:
; codeLenInByte = 0
; TotalNumSgprs: 0
; NumVgprs: 0
; ScratchSize: 0
; MemoryBound: 0
; FloatMode: 240
; IeeeMode: 1
; LDSByteSize: 0 bytes/workgroup (compile time only)
; SGPRBlocks: 0
; VGPRBlocks: 0
; NumSGPRsForWavesPerEU: 1
; NumVGPRsForWavesPerEU: 1
; Occupancy: 16
; WaveLimiterHint : 0
; COMPUTE_PGM_RSRC2:SCRATCH_EN: 0
; COMPUTE_PGM_RSRC2:USER_SGPR: 6
; COMPUTE_PGM_RSRC2:TRAP_HANDLER: 0
; COMPUTE_PGM_RSRC2:TGID_X_EN: 1
; COMPUTE_PGM_RSRC2:TGID_Y_EN: 0
; COMPUTE_PGM_RSRC2:TGID_Z_EN: 0
; COMPUTE_PGM_RSRC2:TIDIG_COMP_CNT: 0
	.section	.text._ZN7rocprim17ROCPRIM_400000_NS6detail17trampoline_kernelINS0_14default_configENS1_36segmented_radix_sort_config_selectorIllEEZNS1_25segmented_radix_sort_implIS3_Lb0EPKlPlS8_S9_N2at6native12_GLOBAL__N_18offset_tEEE10hipError_tPvRmT1_PNSt15iterator_traitsISH_E10value_typeET2_T3_PNSI_ISN_E10value_typeET4_jRbjT5_ST_jjP12ihipStream_tbEUlT_E1_NS1_11comp_targetILNS1_3genE5ELNS1_11target_archE942ELNS1_3gpuE9ELNS1_3repE0EEENS1_59segmented_radix_sort_warp_sort_small_config_static_selectorELNS0_4arch9wavefront6targetE0EEEvSH_,"axG",@progbits,_ZN7rocprim17ROCPRIM_400000_NS6detail17trampoline_kernelINS0_14default_configENS1_36segmented_radix_sort_config_selectorIllEEZNS1_25segmented_radix_sort_implIS3_Lb0EPKlPlS8_S9_N2at6native12_GLOBAL__N_18offset_tEEE10hipError_tPvRmT1_PNSt15iterator_traitsISH_E10value_typeET2_T3_PNSI_ISN_E10value_typeET4_jRbjT5_ST_jjP12ihipStream_tbEUlT_E1_NS1_11comp_targetILNS1_3genE5ELNS1_11target_archE942ELNS1_3gpuE9ELNS1_3repE0EEENS1_59segmented_radix_sort_warp_sort_small_config_static_selectorELNS0_4arch9wavefront6targetE0EEEvSH_,comdat
	.globl	_ZN7rocprim17ROCPRIM_400000_NS6detail17trampoline_kernelINS0_14default_configENS1_36segmented_radix_sort_config_selectorIllEEZNS1_25segmented_radix_sort_implIS3_Lb0EPKlPlS8_S9_N2at6native12_GLOBAL__N_18offset_tEEE10hipError_tPvRmT1_PNSt15iterator_traitsISH_E10value_typeET2_T3_PNSI_ISN_E10value_typeET4_jRbjT5_ST_jjP12ihipStream_tbEUlT_E1_NS1_11comp_targetILNS1_3genE5ELNS1_11target_archE942ELNS1_3gpuE9ELNS1_3repE0EEENS1_59segmented_radix_sort_warp_sort_small_config_static_selectorELNS0_4arch9wavefront6targetE0EEEvSH_ ; -- Begin function _ZN7rocprim17ROCPRIM_400000_NS6detail17trampoline_kernelINS0_14default_configENS1_36segmented_radix_sort_config_selectorIllEEZNS1_25segmented_radix_sort_implIS3_Lb0EPKlPlS8_S9_N2at6native12_GLOBAL__N_18offset_tEEE10hipError_tPvRmT1_PNSt15iterator_traitsISH_E10value_typeET2_T3_PNSI_ISN_E10value_typeET4_jRbjT5_ST_jjP12ihipStream_tbEUlT_E1_NS1_11comp_targetILNS1_3genE5ELNS1_11target_archE942ELNS1_3gpuE9ELNS1_3repE0EEENS1_59segmented_radix_sort_warp_sort_small_config_static_selectorELNS0_4arch9wavefront6targetE0EEEvSH_
	.p2align	8
	.type	_ZN7rocprim17ROCPRIM_400000_NS6detail17trampoline_kernelINS0_14default_configENS1_36segmented_radix_sort_config_selectorIllEEZNS1_25segmented_radix_sort_implIS3_Lb0EPKlPlS8_S9_N2at6native12_GLOBAL__N_18offset_tEEE10hipError_tPvRmT1_PNSt15iterator_traitsISH_E10value_typeET2_T3_PNSI_ISN_E10value_typeET4_jRbjT5_ST_jjP12ihipStream_tbEUlT_E1_NS1_11comp_targetILNS1_3genE5ELNS1_11target_archE942ELNS1_3gpuE9ELNS1_3repE0EEENS1_59segmented_radix_sort_warp_sort_small_config_static_selectorELNS0_4arch9wavefront6targetE0EEEvSH_,@function
_ZN7rocprim17ROCPRIM_400000_NS6detail17trampoline_kernelINS0_14default_configENS1_36segmented_radix_sort_config_selectorIllEEZNS1_25segmented_radix_sort_implIS3_Lb0EPKlPlS8_S9_N2at6native12_GLOBAL__N_18offset_tEEE10hipError_tPvRmT1_PNSt15iterator_traitsISH_E10value_typeET2_T3_PNSI_ISN_E10value_typeET4_jRbjT5_ST_jjP12ihipStream_tbEUlT_E1_NS1_11comp_targetILNS1_3genE5ELNS1_11target_archE942ELNS1_3gpuE9ELNS1_3repE0EEENS1_59segmented_radix_sort_warp_sort_small_config_static_selectorELNS0_4arch9wavefront6targetE0EEEvSH_: ; @_ZN7rocprim17ROCPRIM_400000_NS6detail17trampoline_kernelINS0_14default_configENS1_36segmented_radix_sort_config_selectorIllEEZNS1_25segmented_radix_sort_implIS3_Lb0EPKlPlS8_S9_N2at6native12_GLOBAL__N_18offset_tEEE10hipError_tPvRmT1_PNSt15iterator_traitsISH_E10value_typeET2_T3_PNSI_ISN_E10value_typeET4_jRbjT5_ST_jjP12ihipStream_tbEUlT_E1_NS1_11comp_targetILNS1_3genE5ELNS1_11target_archE942ELNS1_3gpuE9ELNS1_3repE0EEENS1_59segmented_radix_sort_warp_sort_small_config_static_selectorELNS0_4arch9wavefront6targetE0EEEvSH_
; %bb.0:
	.section	.rodata,"a",@progbits
	.p2align	6, 0x0
	.amdhsa_kernel _ZN7rocprim17ROCPRIM_400000_NS6detail17trampoline_kernelINS0_14default_configENS1_36segmented_radix_sort_config_selectorIllEEZNS1_25segmented_radix_sort_implIS3_Lb0EPKlPlS8_S9_N2at6native12_GLOBAL__N_18offset_tEEE10hipError_tPvRmT1_PNSt15iterator_traitsISH_E10value_typeET2_T3_PNSI_ISN_E10value_typeET4_jRbjT5_ST_jjP12ihipStream_tbEUlT_E1_NS1_11comp_targetILNS1_3genE5ELNS1_11target_archE942ELNS1_3gpuE9ELNS1_3repE0EEENS1_59segmented_radix_sort_warp_sort_small_config_static_selectorELNS0_4arch9wavefront6targetE0EEEvSH_
		.amdhsa_group_segment_fixed_size 0
		.amdhsa_private_segment_fixed_size 0
		.amdhsa_kernarg_size 88
		.amdhsa_user_sgpr_count 6
		.amdhsa_user_sgpr_private_segment_buffer 1
		.amdhsa_user_sgpr_dispatch_ptr 0
		.amdhsa_user_sgpr_queue_ptr 0
		.amdhsa_user_sgpr_kernarg_segment_ptr 1
		.amdhsa_user_sgpr_dispatch_id 0
		.amdhsa_user_sgpr_flat_scratch_init 0
		.amdhsa_user_sgpr_private_segment_size 0
		.amdhsa_wavefront_size32 1
		.amdhsa_uses_dynamic_stack 0
		.amdhsa_system_sgpr_private_segment_wavefront_offset 0
		.amdhsa_system_sgpr_workgroup_id_x 1
		.amdhsa_system_sgpr_workgroup_id_y 0
		.amdhsa_system_sgpr_workgroup_id_z 0
		.amdhsa_system_sgpr_workgroup_info 0
		.amdhsa_system_vgpr_workitem_id 0
		.amdhsa_next_free_vgpr 1
		.amdhsa_next_free_sgpr 1
		.amdhsa_reserve_vcc 0
		.amdhsa_reserve_flat_scratch 0
		.amdhsa_float_round_mode_32 0
		.amdhsa_float_round_mode_16_64 0
		.amdhsa_float_denorm_mode_32 3
		.amdhsa_float_denorm_mode_16_64 3
		.amdhsa_dx10_clamp 1
		.amdhsa_ieee_mode 1
		.amdhsa_fp16_overflow 0
		.amdhsa_workgroup_processor_mode 1
		.amdhsa_memory_ordered 1
		.amdhsa_forward_progress 1
		.amdhsa_shared_vgpr_count 0
		.amdhsa_exception_fp_ieee_invalid_op 0
		.amdhsa_exception_fp_denorm_src 0
		.amdhsa_exception_fp_ieee_div_zero 0
		.amdhsa_exception_fp_ieee_overflow 0
		.amdhsa_exception_fp_ieee_underflow 0
		.amdhsa_exception_fp_ieee_inexact 0
		.amdhsa_exception_int_div_zero 0
	.end_amdhsa_kernel
	.section	.text._ZN7rocprim17ROCPRIM_400000_NS6detail17trampoline_kernelINS0_14default_configENS1_36segmented_radix_sort_config_selectorIllEEZNS1_25segmented_radix_sort_implIS3_Lb0EPKlPlS8_S9_N2at6native12_GLOBAL__N_18offset_tEEE10hipError_tPvRmT1_PNSt15iterator_traitsISH_E10value_typeET2_T3_PNSI_ISN_E10value_typeET4_jRbjT5_ST_jjP12ihipStream_tbEUlT_E1_NS1_11comp_targetILNS1_3genE5ELNS1_11target_archE942ELNS1_3gpuE9ELNS1_3repE0EEENS1_59segmented_radix_sort_warp_sort_small_config_static_selectorELNS0_4arch9wavefront6targetE0EEEvSH_,"axG",@progbits,_ZN7rocprim17ROCPRIM_400000_NS6detail17trampoline_kernelINS0_14default_configENS1_36segmented_radix_sort_config_selectorIllEEZNS1_25segmented_radix_sort_implIS3_Lb0EPKlPlS8_S9_N2at6native12_GLOBAL__N_18offset_tEEE10hipError_tPvRmT1_PNSt15iterator_traitsISH_E10value_typeET2_T3_PNSI_ISN_E10value_typeET4_jRbjT5_ST_jjP12ihipStream_tbEUlT_E1_NS1_11comp_targetILNS1_3genE5ELNS1_11target_archE942ELNS1_3gpuE9ELNS1_3repE0EEENS1_59segmented_radix_sort_warp_sort_small_config_static_selectorELNS0_4arch9wavefront6targetE0EEEvSH_,comdat
.Lfunc_end822:
	.size	_ZN7rocprim17ROCPRIM_400000_NS6detail17trampoline_kernelINS0_14default_configENS1_36segmented_radix_sort_config_selectorIllEEZNS1_25segmented_radix_sort_implIS3_Lb0EPKlPlS8_S9_N2at6native12_GLOBAL__N_18offset_tEEE10hipError_tPvRmT1_PNSt15iterator_traitsISH_E10value_typeET2_T3_PNSI_ISN_E10value_typeET4_jRbjT5_ST_jjP12ihipStream_tbEUlT_E1_NS1_11comp_targetILNS1_3genE5ELNS1_11target_archE942ELNS1_3gpuE9ELNS1_3repE0EEENS1_59segmented_radix_sort_warp_sort_small_config_static_selectorELNS0_4arch9wavefront6targetE0EEEvSH_, .Lfunc_end822-_ZN7rocprim17ROCPRIM_400000_NS6detail17trampoline_kernelINS0_14default_configENS1_36segmented_radix_sort_config_selectorIllEEZNS1_25segmented_radix_sort_implIS3_Lb0EPKlPlS8_S9_N2at6native12_GLOBAL__N_18offset_tEEE10hipError_tPvRmT1_PNSt15iterator_traitsISH_E10value_typeET2_T3_PNSI_ISN_E10value_typeET4_jRbjT5_ST_jjP12ihipStream_tbEUlT_E1_NS1_11comp_targetILNS1_3genE5ELNS1_11target_archE942ELNS1_3gpuE9ELNS1_3repE0EEENS1_59segmented_radix_sort_warp_sort_small_config_static_selectorELNS0_4arch9wavefront6targetE0EEEvSH_
                                        ; -- End function
	.set _ZN7rocprim17ROCPRIM_400000_NS6detail17trampoline_kernelINS0_14default_configENS1_36segmented_radix_sort_config_selectorIllEEZNS1_25segmented_radix_sort_implIS3_Lb0EPKlPlS8_S9_N2at6native12_GLOBAL__N_18offset_tEEE10hipError_tPvRmT1_PNSt15iterator_traitsISH_E10value_typeET2_T3_PNSI_ISN_E10value_typeET4_jRbjT5_ST_jjP12ihipStream_tbEUlT_E1_NS1_11comp_targetILNS1_3genE5ELNS1_11target_archE942ELNS1_3gpuE9ELNS1_3repE0EEENS1_59segmented_radix_sort_warp_sort_small_config_static_selectorELNS0_4arch9wavefront6targetE0EEEvSH_.num_vgpr, 0
	.set _ZN7rocprim17ROCPRIM_400000_NS6detail17trampoline_kernelINS0_14default_configENS1_36segmented_radix_sort_config_selectorIllEEZNS1_25segmented_radix_sort_implIS3_Lb0EPKlPlS8_S9_N2at6native12_GLOBAL__N_18offset_tEEE10hipError_tPvRmT1_PNSt15iterator_traitsISH_E10value_typeET2_T3_PNSI_ISN_E10value_typeET4_jRbjT5_ST_jjP12ihipStream_tbEUlT_E1_NS1_11comp_targetILNS1_3genE5ELNS1_11target_archE942ELNS1_3gpuE9ELNS1_3repE0EEENS1_59segmented_radix_sort_warp_sort_small_config_static_selectorELNS0_4arch9wavefront6targetE0EEEvSH_.num_agpr, 0
	.set _ZN7rocprim17ROCPRIM_400000_NS6detail17trampoline_kernelINS0_14default_configENS1_36segmented_radix_sort_config_selectorIllEEZNS1_25segmented_radix_sort_implIS3_Lb0EPKlPlS8_S9_N2at6native12_GLOBAL__N_18offset_tEEE10hipError_tPvRmT1_PNSt15iterator_traitsISH_E10value_typeET2_T3_PNSI_ISN_E10value_typeET4_jRbjT5_ST_jjP12ihipStream_tbEUlT_E1_NS1_11comp_targetILNS1_3genE5ELNS1_11target_archE942ELNS1_3gpuE9ELNS1_3repE0EEENS1_59segmented_radix_sort_warp_sort_small_config_static_selectorELNS0_4arch9wavefront6targetE0EEEvSH_.numbered_sgpr, 0
	.set _ZN7rocprim17ROCPRIM_400000_NS6detail17trampoline_kernelINS0_14default_configENS1_36segmented_radix_sort_config_selectorIllEEZNS1_25segmented_radix_sort_implIS3_Lb0EPKlPlS8_S9_N2at6native12_GLOBAL__N_18offset_tEEE10hipError_tPvRmT1_PNSt15iterator_traitsISH_E10value_typeET2_T3_PNSI_ISN_E10value_typeET4_jRbjT5_ST_jjP12ihipStream_tbEUlT_E1_NS1_11comp_targetILNS1_3genE5ELNS1_11target_archE942ELNS1_3gpuE9ELNS1_3repE0EEENS1_59segmented_radix_sort_warp_sort_small_config_static_selectorELNS0_4arch9wavefront6targetE0EEEvSH_.num_named_barrier, 0
	.set _ZN7rocprim17ROCPRIM_400000_NS6detail17trampoline_kernelINS0_14default_configENS1_36segmented_radix_sort_config_selectorIllEEZNS1_25segmented_radix_sort_implIS3_Lb0EPKlPlS8_S9_N2at6native12_GLOBAL__N_18offset_tEEE10hipError_tPvRmT1_PNSt15iterator_traitsISH_E10value_typeET2_T3_PNSI_ISN_E10value_typeET4_jRbjT5_ST_jjP12ihipStream_tbEUlT_E1_NS1_11comp_targetILNS1_3genE5ELNS1_11target_archE942ELNS1_3gpuE9ELNS1_3repE0EEENS1_59segmented_radix_sort_warp_sort_small_config_static_selectorELNS0_4arch9wavefront6targetE0EEEvSH_.private_seg_size, 0
	.set _ZN7rocprim17ROCPRIM_400000_NS6detail17trampoline_kernelINS0_14default_configENS1_36segmented_radix_sort_config_selectorIllEEZNS1_25segmented_radix_sort_implIS3_Lb0EPKlPlS8_S9_N2at6native12_GLOBAL__N_18offset_tEEE10hipError_tPvRmT1_PNSt15iterator_traitsISH_E10value_typeET2_T3_PNSI_ISN_E10value_typeET4_jRbjT5_ST_jjP12ihipStream_tbEUlT_E1_NS1_11comp_targetILNS1_3genE5ELNS1_11target_archE942ELNS1_3gpuE9ELNS1_3repE0EEENS1_59segmented_radix_sort_warp_sort_small_config_static_selectorELNS0_4arch9wavefront6targetE0EEEvSH_.uses_vcc, 0
	.set _ZN7rocprim17ROCPRIM_400000_NS6detail17trampoline_kernelINS0_14default_configENS1_36segmented_radix_sort_config_selectorIllEEZNS1_25segmented_radix_sort_implIS3_Lb0EPKlPlS8_S9_N2at6native12_GLOBAL__N_18offset_tEEE10hipError_tPvRmT1_PNSt15iterator_traitsISH_E10value_typeET2_T3_PNSI_ISN_E10value_typeET4_jRbjT5_ST_jjP12ihipStream_tbEUlT_E1_NS1_11comp_targetILNS1_3genE5ELNS1_11target_archE942ELNS1_3gpuE9ELNS1_3repE0EEENS1_59segmented_radix_sort_warp_sort_small_config_static_selectorELNS0_4arch9wavefront6targetE0EEEvSH_.uses_flat_scratch, 0
	.set _ZN7rocprim17ROCPRIM_400000_NS6detail17trampoline_kernelINS0_14default_configENS1_36segmented_radix_sort_config_selectorIllEEZNS1_25segmented_radix_sort_implIS3_Lb0EPKlPlS8_S9_N2at6native12_GLOBAL__N_18offset_tEEE10hipError_tPvRmT1_PNSt15iterator_traitsISH_E10value_typeET2_T3_PNSI_ISN_E10value_typeET4_jRbjT5_ST_jjP12ihipStream_tbEUlT_E1_NS1_11comp_targetILNS1_3genE5ELNS1_11target_archE942ELNS1_3gpuE9ELNS1_3repE0EEENS1_59segmented_radix_sort_warp_sort_small_config_static_selectorELNS0_4arch9wavefront6targetE0EEEvSH_.has_dyn_sized_stack, 0
	.set _ZN7rocprim17ROCPRIM_400000_NS6detail17trampoline_kernelINS0_14default_configENS1_36segmented_radix_sort_config_selectorIllEEZNS1_25segmented_radix_sort_implIS3_Lb0EPKlPlS8_S9_N2at6native12_GLOBAL__N_18offset_tEEE10hipError_tPvRmT1_PNSt15iterator_traitsISH_E10value_typeET2_T3_PNSI_ISN_E10value_typeET4_jRbjT5_ST_jjP12ihipStream_tbEUlT_E1_NS1_11comp_targetILNS1_3genE5ELNS1_11target_archE942ELNS1_3gpuE9ELNS1_3repE0EEENS1_59segmented_radix_sort_warp_sort_small_config_static_selectorELNS0_4arch9wavefront6targetE0EEEvSH_.has_recursion, 0
	.set _ZN7rocprim17ROCPRIM_400000_NS6detail17trampoline_kernelINS0_14default_configENS1_36segmented_radix_sort_config_selectorIllEEZNS1_25segmented_radix_sort_implIS3_Lb0EPKlPlS8_S9_N2at6native12_GLOBAL__N_18offset_tEEE10hipError_tPvRmT1_PNSt15iterator_traitsISH_E10value_typeET2_T3_PNSI_ISN_E10value_typeET4_jRbjT5_ST_jjP12ihipStream_tbEUlT_E1_NS1_11comp_targetILNS1_3genE5ELNS1_11target_archE942ELNS1_3gpuE9ELNS1_3repE0EEENS1_59segmented_radix_sort_warp_sort_small_config_static_selectorELNS0_4arch9wavefront6targetE0EEEvSH_.has_indirect_call, 0
	.section	.AMDGPU.csdata,"",@progbits
; Kernel info:
; codeLenInByte = 0
; TotalNumSgprs: 0
; NumVgprs: 0
; ScratchSize: 0
; MemoryBound: 0
; FloatMode: 240
; IeeeMode: 1
; LDSByteSize: 0 bytes/workgroup (compile time only)
; SGPRBlocks: 0
; VGPRBlocks: 0
; NumSGPRsForWavesPerEU: 1
; NumVGPRsForWavesPerEU: 1
; Occupancy: 16
; WaveLimiterHint : 0
; COMPUTE_PGM_RSRC2:SCRATCH_EN: 0
; COMPUTE_PGM_RSRC2:USER_SGPR: 6
; COMPUTE_PGM_RSRC2:TRAP_HANDLER: 0
; COMPUTE_PGM_RSRC2:TGID_X_EN: 1
; COMPUTE_PGM_RSRC2:TGID_Y_EN: 0
; COMPUTE_PGM_RSRC2:TGID_Z_EN: 0
; COMPUTE_PGM_RSRC2:TIDIG_COMP_CNT: 0
	.section	.text._ZN7rocprim17ROCPRIM_400000_NS6detail17trampoline_kernelINS0_14default_configENS1_36segmented_radix_sort_config_selectorIllEEZNS1_25segmented_radix_sort_implIS3_Lb0EPKlPlS8_S9_N2at6native12_GLOBAL__N_18offset_tEEE10hipError_tPvRmT1_PNSt15iterator_traitsISH_E10value_typeET2_T3_PNSI_ISN_E10value_typeET4_jRbjT5_ST_jjP12ihipStream_tbEUlT_E1_NS1_11comp_targetILNS1_3genE4ELNS1_11target_archE910ELNS1_3gpuE8ELNS1_3repE0EEENS1_59segmented_radix_sort_warp_sort_small_config_static_selectorELNS0_4arch9wavefront6targetE0EEEvSH_,"axG",@progbits,_ZN7rocprim17ROCPRIM_400000_NS6detail17trampoline_kernelINS0_14default_configENS1_36segmented_radix_sort_config_selectorIllEEZNS1_25segmented_radix_sort_implIS3_Lb0EPKlPlS8_S9_N2at6native12_GLOBAL__N_18offset_tEEE10hipError_tPvRmT1_PNSt15iterator_traitsISH_E10value_typeET2_T3_PNSI_ISN_E10value_typeET4_jRbjT5_ST_jjP12ihipStream_tbEUlT_E1_NS1_11comp_targetILNS1_3genE4ELNS1_11target_archE910ELNS1_3gpuE8ELNS1_3repE0EEENS1_59segmented_radix_sort_warp_sort_small_config_static_selectorELNS0_4arch9wavefront6targetE0EEEvSH_,comdat
	.globl	_ZN7rocprim17ROCPRIM_400000_NS6detail17trampoline_kernelINS0_14default_configENS1_36segmented_radix_sort_config_selectorIllEEZNS1_25segmented_radix_sort_implIS3_Lb0EPKlPlS8_S9_N2at6native12_GLOBAL__N_18offset_tEEE10hipError_tPvRmT1_PNSt15iterator_traitsISH_E10value_typeET2_T3_PNSI_ISN_E10value_typeET4_jRbjT5_ST_jjP12ihipStream_tbEUlT_E1_NS1_11comp_targetILNS1_3genE4ELNS1_11target_archE910ELNS1_3gpuE8ELNS1_3repE0EEENS1_59segmented_radix_sort_warp_sort_small_config_static_selectorELNS0_4arch9wavefront6targetE0EEEvSH_ ; -- Begin function _ZN7rocprim17ROCPRIM_400000_NS6detail17trampoline_kernelINS0_14default_configENS1_36segmented_radix_sort_config_selectorIllEEZNS1_25segmented_radix_sort_implIS3_Lb0EPKlPlS8_S9_N2at6native12_GLOBAL__N_18offset_tEEE10hipError_tPvRmT1_PNSt15iterator_traitsISH_E10value_typeET2_T3_PNSI_ISN_E10value_typeET4_jRbjT5_ST_jjP12ihipStream_tbEUlT_E1_NS1_11comp_targetILNS1_3genE4ELNS1_11target_archE910ELNS1_3gpuE8ELNS1_3repE0EEENS1_59segmented_radix_sort_warp_sort_small_config_static_selectorELNS0_4arch9wavefront6targetE0EEEvSH_
	.p2align	8
	.type	_ZN7rocprim17ROCPRIM_400000_NS6detail17trampoline_kernelINS0_14default_configENS1_36segmented_radix_sort_config_selectorIllEEZNS1_25segmented_radix_sort_implIS3_Lb0EPKlPlS8_S9_N2at6native12_GLOBAL__N_18offset_tEEE10hipError_tPvRmT1_PNSt15iterator_traitsISH_E10value_typeET2_T3_PNSI_ISN_E10value_typeET4_jRbjT5_ST_jjP12ihipStream_tbEUlT_E1_NS1_11comp_targetILNS1_3genE4ELNS1_11target_archE910ELNS1_3gpuE8ELNS1_3repE0EEENS1_59segmented_radix_sort_warp_sort_small_config_static_selectorELNS0_4arch9wavefront6targetE0EEEvSH_,@function
_ZN7rocprim17ROCPRIM_400000_NS6detail17trampoline_kernelINS0_14default_configENS1_36segmented_radix_sort_config_selectorIllEEZNS1_25segmented_radix_sort_implIS3_Lb0EPKlPlS8_S9_N2at6native12_GLOBAL__N_18offset_tEEE10hipError_tPvRmT1_PNSt15iterator_traitsISH_E10value_typeET2_T3_PNSI_ISN_E10value_typeET4_jRbjT5_ST_jjP12ihipStream_tbEUlT_E1_NS1_11comp_targetILNS1_3genE4ELNS1_11target_archE910ELNS1_3gpuE8ELNS1_3repE0EEENS1_59segmented_radix_sort_warp_sort_small_config_static_selectorELNS0_4arch9wavefront6targetE0EEEvSH_: ; @_ZN7rocprim17ROCPRIM_400000_NS6detail17trampoline_kernelINS0_14default_configENS1_36segmented_radix_sort_config_selectorIllEEZNS1_25segmented_radix_sort_implIS3_Lb0EPKlPlS8_S9_N2at6native12_GLOBAL__N_18offset_tEEE10hipError_tPvRmT1_PNSt15iterator_traitsISH_E10value_typeET2_T3_PNSI_ISN_E10value_typeET4_jRbjT5_ST_jjP12ihipStream_tbEUlT_E1_NS1_11comp_targetILNS1_3genE4ELNS1_11target_archE910ELNS1_3gpuE8ELNS1_3repE0EEENS1_59segmented_radix_sort_warp_sort_small_config_static_selectorELNS0_4arch9wavefront6targetE0EEEvSH_
; %bb.0:
	.section	.rodata,"a",@progbits
	.p2align	6, 0x0
	.amdhsa_kernel _ZN7rocprim17ROCPRIM_400000_NS6detail17trampoline_kernelINS0_14default_configENS1_36segmented_radix_sort_config_selectorIllEEZNS1_25segmented_radix_sort_implIS3_Lb0EPKlPlS8_S9_N2at6native12_GLOBAL__N_18offset_tEEE10hipError_tPvRmT1_PNSt15iterator_traitsISH_E10value_typeET2_T3_PNSI_ISN_E10value_typeET4_jRbjT5_ST_jjP12ihipStream_tbEUlT_E1_NS1_11comp_targetILNS1_3genE4ELNS1_11target_archE910ELNS1_3gpuE8ELNS1_3repE0EEENS1_59segmented_radix_sort_warp_sort_small_config_static_selectorELNS0_4arch9wavefront6targetE0EEEvSH_
		.amdhsa_group_segment_fixed_size 0
		.amdhsa_private_segment_fixed_size 0
		.amdhsa_kernarg_size 88
		.amdhsa_user_sgpr_count 6
		.amdhsa_user_sgpr_private_segment_buffer 1
		.amdhsa_user_sgpr_dispatch_ptr 0
		.amdhsa_user_sgpr_queue_ptr 0
		.amdhsa_user_sgpr_kernarg_segment_ptr 1
		.amdhsa_user_sgpr_dispatch_id 0
		.amdhsa_user_sgpr_flat_scratch_init 0
		.amdhsa_user_sgpr_private_segment_size 0
		.amdhsa_wavefront_size32 1
		.amdhsa_uses_dynamic_stack 0
		.amdhsa_system_sgpr_private_segment_wavefront_offset 0
		.amdhsa_system_sgpr_workgroup_id_x 1
		.amdhsa_system_sgpr_workgroup_id_y 0
		.amdhsa_system_sgpr_workgroup_id_z 0
		.amdhsa_system_sgpr_workgroup_info 0
		.amdhsa_system_vgpr_workitem_id 0
		.amdhsa_next_free_vgpr 1
		.amdhsa_next_free_sgpr 1
		.amdhsa_reserve_vcc 0
		.amdhsa_reserve_flat_scratch 0
		.amdhsa_float_round_mode_32 0
		.amdhsa_float_round_mode_16_64 0
		.amdhsa_float_denorm_mode_32 3
		.amdhsa_float_denorm_mode_16_64 3
		.amdhsa_dx10_clamp 1
		.amdhsa_ieee_mode 1
		.amdhsa_fp16_overflow 0
		.amdhsa_workgroup_processor_mode 1
		.amdhsa_memory_ordered 1
		.amdhsa_forward_progress 1
		.amdhsa_shared_vgpr_count 0
		.amdhsa_exception_fp_ieee_invalid_op 0
		.amdhsa_exception_fp_denorm_src 0
		.amdhsa_exception_fp_ieee_div_zero 0
		.amdhsa_exception_fp_ieee_overflow 0
		.amdhsa_exception_fp_ieee_underflow 0
		.amdhsa_exception_fp_ieee_inexact 0
		.amdhsa_exception_int_div_zero 0
	.end_amdhsa_kernel
	.section	.text._ZN7rocprim17ROCPRIM_400000_NS6detail17trampoline_kernelINS0_14default_configENS1_36segmented_radix_sort_config_selectorIllEEZNS1_25segmented_radix_sort_implIS3_Lb0EPKlPlS8_S9_N2at6native12_GLOBAL__N_18offset_tEEE10hipError_tPvRmT1_PNSt15iterator_traitsISH_E10value_typeET2_T3_PNSI_ISN_E10value_typeET4_jRbjT5_ST_jjP12ihipStream_tbEUlT_E1_NS1_11comp_targetILNS1_3genE4ELNS1_11target_archE910ELNS1_3gpuE8ELNS1_3repE0EEENS1_59segmented_radix_sort_warp_sort_small_config_static_selectorELNS0_4arch9wavefront6targetE0EEEvSH_,"axG",@progbits,_ZN7rocprim17ROCPRIM_400000_NS6detail17trampoline_kernelINS0_14default_configENS1_36segmented_radix_sort_config_selectorIllEEZNS1_25segmented_radix_sort_implIS3_Lb0EPKlPlS8_S9_N2at6native12_GLOBAL__N_18offset_tEEE10hipError_tPvRmT1_PNSt15iterator_traitsISH_E10value_typeET2_T3_PNSI_ISN_E10value_typeET4_jRbjT5_ST_jjP12ihipStream_tbEUlT_E1_NS1_11comp_targetILNS1_3genE4ELNS1_11target_archE910ELNS1_3gpuE8ELNS1_3repE0EEENS1_59segmented_radix_sort_warp_sort_small_config_static_selectorELNS0_4arch9wavefront6targetE0EEEvSH_,comdat
.Lfunc_end823:
	.size	_ZN7rocprim17ROCPRIM_400000_NS6detail17trampoline_kernelINS0_14default_configENS1_36segmented_radix_sort_config_selectorIllEEZNS1_25segmented_radix_sort_implIS3_Lb0EPKlPlS8_S9_N2at6native12_GLOBAL__N_18offset_tEEE10hipError_tPvRmT1_PNSt15iterator_traitsISH_E10value_typeET2_T3_PNSI_ISN_E10value_typeET4_jRbjT5_ST_jjP12ihipStream_tbEUlT_E1_NS1_11comp_targetILNS1_3genE4ELNS1_11target_archE910ELNS1_3gpuE8ELNS1_3repE0EEENS1_59segmented_radix_sort_warp_sort_small_config_static_selectorELNS0_4arch9wavefront6targetE0EEEvSH_, .Lfunc_end823-_ZN7rocprim17ROCPRIM_400000_NS6detail17trampoline_kernelINS0_14default_configENS1_36segmented_radix_sort_config_selectorIllEEZNS1_25segmented_radix_sort_implIS3_Lb0EPKlPlS8_S9_N2at6native12_GLOBAL__N_18offset_tEEE10hipError_tPvRmT1_PNSt15iterator_traitsISH_E10value_typeET2_T3_PNSI_ISN_E10value_typeET4_jRbjT5_ST_jjP12ihipStream_tbEUlT_E1_NS1_11comp_targetILNS1_3genE4ELNS1_11target_archE910ELNS1_3gpuE8ELNS1_3repE0EEENS1_59segmented_radix_sort_warp_sort_small_config_static_selectorELNS0_4arch9wavefront6targetE0EEEvSH_
                                        ; -- End function
	.set _ZN7rocprim17ROCPRIM_400000_NS6detail17trampoline_kernelINS0_14default_configENS1_36segmented_radix_sort_config_selectorIllEEZNS1_25segmented_radix_sort_implIS3_Lb0EPKlPlS8_S9_N2at6native12_GLOBAL__N_18offset_tEEE10hipError_tPvRmT1_PNSt15iterator_traitsISH_E10value_typeET2_T3_PNSI_ISN_E10value_typeET4_jRbjT5_ST_jjP12ihipStream_tbEUlT_E1_NS1_11comp_targetILNS1_3genE4ELNS1_11target_archE910ELNS1_3gpuE8ELNS1_3repE0EEENS1_59segmented_radix_sort_warp_sort_small_config_static_selectorELNS0_4arch9wavefront6targetE0EEEvSH_.num_vgpr, 0
	.set _ZN7rocprim17ROCPRIM_400000_NS6detail17trampoline_kernelINS0_14default_configENS1_36segmented_radix_sort_config_selectorIllEEZNS1_25segmented_radix_sort_implIS3_Lb0EPKlPlS8_S9_N2at6native12_GLOBAL__N_18offset_tEEE10hipError_tPvRmT1_PNSt15iterator_traitsISH_E10value_typeET2_T3_PNSI_ISN_E10value_typeET4_jRbjT5_ST_jjP12ihipStream_tbEUlT_E1_NS1_11comp_targetILNS1_3genE4ELNS1_11target_archE910ELNS1_3gpuE8ELNS1_3repE0EEENS1_59segmented_radix_sort_warp_sort_small_config_static_selectorELNS0_4arch9wavefront6targetE0EEEvSH_.num_agpr, 0
	.set _ZN7rocprim17ROCPRIM_400000_NS6detail17trampoline_kernelINS0_14default_configENS1_36segmented_radix_sort_config_selectorIllEEZNS1_25segmented_radix_sort_implIS3_Lb0EPKlPlS8_S9_N2at6native12_GLOBAL__N_18offset_tEEE10hipError_tPvRmT1_PNSt15iterator_traitsISH_E10value_typeET2_T3_PNSI_ISN_E10value_typeET4_jRbjT5_ST_jjP12ihipStream_tbEUlT_E1_NS1_11comp_targetILNS1_3genE4ELNS1_11target_archE910ELNS1_3gpuE8ELNS1_3repE0EEENS1_59segmented_radix_sort_warp_sort_small_config_static_selectorELNS0_4arch9wavefront6targetE0EEEvSH_.numbered_sgpr, 0
	.set _ZN7rocprim17ROCPRIM_400000_NS6detail17trampoline_kernelINS0_14default_configENS1_36segmented_radix_sort_config_selectorIllEEZNS1_25segmented_radix_sort_implIS3_Lb0EPKlPlS8_S9_N2at6native12_GLOBAL__N_18offset_tEEE10hipError_tPvRmT1_PNSt15iterator_traitsISH_E10value_typeET2_T3_PNSI_ISN_E10value_typeET4_jRbjT5_ST_jjP12ihipStream_tbEUlT_E1_NS1_11comp_targetILNS1_3genE4ELNS1_11target_archE910ELNS1_3gpuE8ELNS1_3repE0EEENS1_59segmented_radix_sort_warp_sort_small_config_static_selectorELNS0_4arch9wavefront6targetE0EEEvSH_.num_named_barrier, 0
	.set _ZN7rocprim17ROCPRIM_400000_NS6detail17trampoline_kernelINS0_14default_configENS1_36segmented_radix_sort_config_selectorIllEEZNS1_25segmented_radix_sort_implIS3_Lb0EPKlPlS8_S9_N2at6native12_GLOBAL__N_18offset_tEEE10hipError_tPvRmT1_PNSt15iterator_traitsISH_E10value_typeET2_T3_PNSI_ISN_E10value_typeET4_jRbjT5_ST_jjP12ihipStream_tbEUlT_E1_NS1_11comp_targetILNS1_3genE4ELNS1_11target_archE910ELNS1_3gpuE8ELNS1_3repE0EEENS1_59segmented_radix_sort_warp_sort_small_config_static_selectorELNS0_4arch9wavefront6targetE0EEEvSH_.private_seg_size, 0
	.set _ZN7rocprim17ROCPRIM_400000_NS6detail17trampoline_kernelINS0_14default_configENS1_36segmented_radix_sort_config_selectorIllEEZNS1_25segmented_radix_sort_implIS3_Lb0EPKlPlS8_S9_N2at6native12_GLOBAL__N_18offset_tEEE10hipError_tPvRmT1_PNSt15iterator_traitsISH_E10value_typeET2_T3_PNSI_ISN_E10value_typeET4_jRbjT5_ST_jjP12ihipStream_tbEUlT_E1_NS1_11comp_targetILNS1_3genE4ELNS1_11target_archE910ELNS1_3gpuE8ELNS1_3repE0EEENS1_59segmented_radix_sort_warp_sort_small_config_static_selectorELNS0_4arch9wavefront6targetE0EEEvSH_.uses_vcc, 0
	.set _ZN7rocprim17ROCPRIM_400000_NS6detail17trampoline_kernelINS0_14default_configENS1_36segmented_radix_sort_config_selectorIllEEZNS1_25segmented_radix_sort_implIS3_Lb0EPKlPlS8_S9_N2at6native12_GLOBAL__N_18offset_tEEE10hipError_tPvRmT1_PNSt15iterator_traitsISH_E10value_typeET2_T3_PNSI_ISN_E10value_typeET4_jRbjT5_ST_jjP12ihipStream_tbEUlT_E1_NS1_11comp_targetILNS1_3genE4ELNS1_11target_archE910ELNS1_3gpuE8ELNS1_3repE0EEENS1_59segmented_radix_sort_warp_sort_small_config_static_selectorELNS0_4arch9wavefront6targetE0EEEvSH_.uses_flat_scratch, 0
	.set _ZN7rocprim17ROCPRIM_400000_NS6detail17trampoline_kernelINS0_14default_configENS1_36segmented_radix_sort_config_selectorIllEEZNS1_25segmented_radix_sort_implIS3_Lb0EPKlPlS8_S9_N2at6native12_GLOBAL__N_18offset_tEEE10hipError_tPvRmT1_PNSt15iterator_traitsISH_E10value_typeET2_T3_PNSI_ISN_E10value_typeET4_jRbjT5_ST_jjP12ihipStream_tbEUlT_E1_NS1_11comp_targetILNS1_3genE4ELNS1_11target_archE910ELNS1_3gpuE8ELNS1_3repE0EEENS1_59segmented_radix_sort_warp_sort_small_config_static_selectorELNS0_4arch9wavefront6targetE0EEEvSH_.has_dyn_sized_stack, 0
	.set _ZN7rocprim17ROCPRIM_400000_NS6detail17trampoline_kernelINS0_14default_configENS1_36segmented_radix_sort_config_selectorIllEEZNS1_25segmented_radix_sort_implIS3_Lb0EPKlPlS8_S9_N2at6native12_GLOBAL__N_18offset_tEEE10hipError_tPvRmT1_PNSt15iterator_traitsISH_E10value_typeET2_T3_PNSI_ISN_E10value_typeET4_jRbjT5_ST_jjP12ihipStream_tbEUlT_E1_NS1_11comp_targetILNS1_3genE4ELNS1_11target_archE910ELNS1_3gpuE8ELNS1_3repE0EEENS1_59segmented_radix_sort_warp_sort_small_config_static_selectorELNS0_4arch9wavefront6targetE0EEEvSH_.has_recursion, 0
	.set _ZN7rocprim17ROCPRIM_400000_NS6detail17trampoline_kernelINS0_14default_configENS1_36segmented_radix_sort_config_selectorIllEEZNS1_25segmented_radix_sort_implIS3_Lb0EPKlPlS8_S9_N2at6native12_GLOBAL__N_18offset_tEEE10hipError_tPvRmT1_PNSt15iterator_traitsISH_E10value_typeET2_T3_PNSI_ISN_E10value_typeET4_jRbjT5_ST_jjP12ihipStream_tbEUlT_E1_NS1_11comp_targetILNS1_3genE4ELNS1_11target_archE910ELNS1_3gpuE8ELNS1_3repE0EEENS1_59segmented_radix_sort_warp_sort_small_config_static_selectorELNS0_4arch9wavefront6targetE0EEEvSH_.has_indirect_call, 0
	.section	.AMDGPU.csdata,"",@progbits
; Kernel info:
; codeLenInByte = 0
; TotalNumSgprs: 0
; NumVgprs: 0
; ScratchSize: 0
; MemoryBound: 0
; FloatMode: 240
; IeeeMode: 1
; LDSByteSize: 0 bytes/workgroup (compile time only)
; SGPRBlocks: 0
; VGPRBlocks: 0
; NumSGPRsForWavesPerEU: 1
; NumVGPRsForWavesPerEU: 1
; Occupancy: 16
; WaveLimiterHint : 0
; COMPUTE_PGM_RSRC2:SCRATCH_EN: 0
; COMPUTE_PGM_RSRC2:USER_SGPR: 6
; COMPUTE_PGM_RSRC2:TRAP_HANDLER: 0
; COMPUTE_PGM_RSRC2:TGID_X_EN: 1
; COMPUTE_PGM_RSRC2:TGID_Y_EN: 0
; COMPUTE_PGM_RSRC2:TGID_Z_EN: 0
; COMPUTE_PGM_RSRC2:TIDIG_COMP_CNT: 0
	.section	.text._ZN7rocprim17ROCPRIM_400000_NS6detail17trampoline_kernelINS0_14default_configENS1_36segmented_radix_sort_config_selectorIllEEZNS1_25segmented_radix_sort_implIS3_Lb0EPKlPlS8_S9_N2at6native12_GLOBAL__N_18offset_tEEE10hipError_tPvRmT1_PNSt15iterator_traitsISH_E10value_typeET2_T3_PNSI_ISN_E10value_typeET4_jRbjT5_ST_jjP12ihipStream_tbEUlT_E1_NS1_11comp_targetILNS1_3genE3ELNS1_11target_archE908ELNS1_3gpuE7ELNS1_3repE0EEENS1_59segmented_radix_sort_warp_sort_small_config_static_selectorELNS0_4arch9wavefront6targetE0EEEvSH_,"axG",@progbits,_ZN7rocprim17ROCPRIM_400000_NS6detail17trampoline_kernelINS0_14default_configENS1_36segmented_radix_sort_config_selectorIllEEZNS1_25segmented_radix_sort_implIS3_Lb0EPKlPlS8_S9_N2at6native12_GLOBAL__N_18offset_tEEE10hipError_tPvRmT1_PNSt15iterator_traitsISH_E10value_typeET2_T3_PNSI_ISN_E10value_typeET4_jRbjT5_ST_jjP12ihipStream_tbEUlT_E1_NS1_11comp_targetILNS1_3genE3ELNS1_11target_archE908ELNS1_3gpuE7ELNS1_3repE0EEENS1_59segmented_radix_sort_warp_sort_small_config_static_selectorELNS0_4arch9wavefront6targetE0EEEvSH_,comdat
	.globl	_ZN7rocprim17ROCPRIM_400000_NS6detail17trampoline_kernelINS0_14default_configENS1_36segmented_radix_sort_config_selectorIllEEZNS1_25segmented_radix_sort_implIS3_Lb0EPKlPlS8_S9_N2at6native12_GLOBAL__N_18offset_tEEE10hipError_tPvRmT1_PNSt15iterator_traitsISH_E10value_typeET2_T3_PNSI_ISN_E10value_typeET4_jRbjT5_ST_jjP12ihipStream_tbEUlT_E1_NS1_11comp_targetILNS1_3genE3ELNS1_11target_archE908ELNS1_3gpuE7ELNS1_3repE0EEENS1_59segmented_radix_sort_warp_sort_small_config_static_selectorELNS0_4arch9wavefront6targetE0EEEvSH_ ; -- Begin function _ZN7rocprim17ROCPRIM_400000_NS6detail17trampoline_kernelINS0_14default_configENS1_36segmented_radix_sort_config_selectorIllEEZNS1_25segmented_radix_sort_implIS3_Lb0EPKlPlS8_S9_N2at6native12_GLOBAL__N_18offset_tEEE10hipError_tPvRmT1_PNSt15iterator_traitsISH_E10value_typeET2_T3_PNSI_ISN_E10value_typeET4_jRbjT5_ST_jjP12ihipStream_tbEUlT_E1_NS1_11comp_targetILNS1_3genE3ELNS1_11target_archE908ELNS1_3gpuE7ELNS1_3repE0EEENS1_59segmented_radix_sort_warp_sort_small_config_static_selectorELNS0_4arch9wavefront6targetE0EEEvSH_
	.p2align	8
	.type	_ZN7rocprim17ROCPRIM_400000_NS6detail17trampoline_kernelINS0_14default_configENS1_36segmented_radix_sort_config_selectorIllEEZNS1_25segmented_radix_sort_implIS3_Lb0EPKlPlS8_S9_N2at6native12_GLOBAL__N_18offset_tEEE10hipError_tPvRmT1_PNSt15iterator_traitsISH_E10value_typeET2_T3_PNSI_ISN_E10value_typeET4_jRbjT5_ST_jjP12ihipStream_tbEUlT_E1_NS1_11comp_targetILNS1_3genE3ELNS1_11target_archE908ELNS1_3gpuE7ELNS1_3repE0EEENS1_59segmented_radix_sort_warp_sort_small_config_static_selectorELNS0_4arch9wavefront6targetE0EEEvSH_,@function
_ZN7rocprim17ROCPRIM_400000_NS6detail17trampoline_kernelINS0_14default_configENS1_36segmented_radix_sort_config_selectorIllEEZNS1_25segmented_radix_sort_implIS3_Lb0EPKlPlS8_S9_N2at6native12_GLOBAL__N_18offset_tEEE10hipError_tPvRmT1_PNSt15iterator_traitsISH_E10value_typeET2_T3_PNSI_ISN_E10value_typeET4_jRbjT5_ST_jjP12ihipStream_tbEUlT_E1_NS1_11comp_targetILNS1_3genE3ELNS1_11target_archE908ELNS1_3gpuE7ELNS1_3repE0EEENS1_59segmented_radix_sort_warp_sort_small_config_static_selectorELNS0_4arch9wavefront6targetE0EEEvSH_: ; @_ZN7rocprim17ROCPRIM_400000_NS6detail17trampoline_kernelINS0_14default_configENS1_36segmented_radix_sort_config_selectorIllEEZNS1_25segmented_radix_sort_implIS3_Lb0EPKlPlS8_S9_N2at6native12_GLOBAL__N_18offset_tEEE10hipError_tPvRmT1_PNSt15iterator_traitsISH_E10value_typeET2_T3_PNSI_ISN_E10value_typeET4_jRbjT5_ST_jjP12ihipStream_tbEUlT_E1_NS1_11comp_targetILNS1_3genE3ELNS1_11target_archE908ELNS1_3gpuE7ELNS1_3repE0EEENS1_59segmented_radix_sort_warp_sort_small_config_static_selectorELNS0_4arch9wavefront6targetE0EEEvSH_
; %bb.0:
	.section	.rodata,"a",@progbits
	.p2align	6, 0x0
	.amdhsa_kernel _ZN7rocprim17ROCPRIM_400000_NS6detail17trampoline_kernelINS0_14default_configENS1_36segmented_radix_sort_config_selectorIllEEZNS1_25segmented_radix_sort_implIS3_Lb0EPKlPlS8_S9_N2at6native12_GLOBAL__N_18offset_tEEE10hipError_tPvRmT1_PNSt15iterator_traitsISH_E10value_typeET2_T3_PNSI_ISN_E10value_typeET4_jRbjT5_ST_jjP12ihipStream_tbEUlT_E1_NS1_11comp_targetILNS1_3genE3ELNS1_11target_archE908ELNS1_3gpuE7ELNS1_3repE0EEENS1_59segmented_radix_sort_warp_sort_small_config_static_selectorELNS0_4arch9wavefront6targetE0EEEvSH_
		.amdhsa_group_segment_fixed_size 0
		.amdhsa_private_segment_fixed_size 0
		.amdhsa_kernarg_size 88
		.amdhsa_user_sgpr_count 6
		.amdhsa_user_sgpr_private_segment_buffer 1
		.amdhsa_user_sgpr_dispatch_ptr 0
		.amdhsa_user_sgpr_queue_ptr 0
		.amdhsa_user_sgpr_kernarg_segment_ptr 1
		.amdhsa_user_sgpr_dispatch_id 0
		.amdhsa_user_sgpr_flat_scratch_init 0
		.amdhsa_user_sgpr_private_segment_size 0
		.amdhsa_wavefront_size32 1
		.amdhsa_uses_dynamic_stack 0
		.amdhsa_system_sgpr_private_segment_wavefront_offset 0
		.amdhsa_system_sgpr_workgroup_id_x 1
		.amdhsa_system_sgpr_workgroup_id_y 0
		.amdhsa_system_sgpr_workgroup_id_z 0
		.amdhsa_system_sgpr_workgroup_info 0
		.amdhsa_system_vgpr_workitem_id 0
		.amdhsa_next_free_vgpr 1
		.amdhsa_next_free_sgpr 1
		.amdhsa_reserve_vcc 0
		.amdhsa_reserve_flat_scratch 0
		.amdhsa_float_round_mode_32 0
		.amdhsa_float_round_mode_16_64 0
		.amdhsa_float_denorm_mode_32 3
		.amdhsa_float_denorm_mode_16_64 3
		.amdhsa_dx10_clamp 1
		.amdhsa_ieee_mode 1
		.amdhsa_fp16_overflow 0
		.amdhsa_workgroup_processor_mode 1
		.amdhsa_memory_ordered 1
		.amdhsa_forward_progress 1
		.amdhsa_shared_vgpr_count 0
		.amdhsa_exception_fp_ieee_invalid_op 0
		.amdhsa_exception_fp_denorm_src 0
		.amdhsa_exception_fp_ieee_div_zero 0
		.amdhsa_exception_fp_ieee_overflow 0
		.amdhsa_exception_fp_ieee_underflow 0
		.amdhsa_exception_fp_ieee_inexact 0
		.amdhsa_exception_int_div_zero 0
	.end_amdhsa_kernel
	.section	.text._ZN7rocprim17ROCPRIM_400000_NS6detail17trampoline_kernelINS0_14default_configENS1_36segmented_radix_sort_config_selectorIllEEZNS1_25segmented_radix_sort_implIS3_Lb0EPKlPlS8_S9_N2at6native12_GLOBAL__N_18offset_tEEE10hipError_tPvRmT1_PNSt15iterator_traitsISH_E10value_typeET2_T3_PNSI_ISN_E10value_typeET4_jRbjT5_ST_jjP12ihipStream_tbEUlT_E1_NS1_11comp_targetILNS1_3genE3ELNS1_11target_archE908ELNS1_3gpuE7ELNS1_3repE0EEENS1_59segmented_radix_sort_warp_sort_small_config_static_selectorELNS0_4arch9wavefront6targetE0EEEvSH_,"axG",@progbits,_ZN7rocprim17ROCPRIM_400000_NS6detail17trampoline_kernelINS0_14default_configENS1_36segmented_radix_sort_config_selectorIllEEZNS1_25segmented_radix_sort_implIS3_Lb0EPKlPlS8_S9_N2at6native12_GLOBAL__N_18offset_tEEE10hipError_tPvRmT1_PNSt15iterator_traitsISH_E10value_typeET2_T3_PNSI_ISN_E10value_typeET4_jRbjT5_ST_jjP12ihipStream_tbEUlT_E1_NS1_11comp_targetILNS1_3genE3ELNS1_11target_archE908ELNS1_3gpuE7ELNS1_3repE0EEENS1_59segmented_radix_sort_warp_sort_small_config_static_selectorELNS0_4arch9wavefront6targetE0EEEvSH_,comdat
.Lfunc_end824:
	.size	_ZN7rocprim17ROCPRIM_400000_NS6detail17trampoline_kernelINS0_14default_configENS1_36segmented_radix_sort_config_selectorIllEEZNS1_25segmented_radix_sort_implIS3_Lb0EPKlPlS8_S9_N2at6native12_GLOBAL__N_18offset_tEEE10hipError_tPvRmT1_PNSt15iterator_traitsISH_E10value_typeET2_T3_PNSI_ISN_E10value_typeET4_jRbjT5_ST_jjP12ihipStream_tbEUlT_E1_NS1_11comp_targetILNS1_3genE3ELNS1_11target_archE908ELNS1_3gpuE7ELNS1_3repE0EEENS1_59segmented_radix_sort_warp_sort_small_config_static_selectorELNS0_4arch9wavefront6targetE0EEEvSH_, .Lfunc_end824-_ZN7rocprim17ROCPRIM_400000_NS6detail17trampoline_kernelINS0_14default_configENS1_36segmented_radix_sort_config_selectorIllEEZNS1_25segmented_radix_sort_implIS3_Lb0EPKlPlS8_S9_N2at6native12_GLOBAL__N_18offset_tEEE10hipError_tPvRmT1_PNSt15iterator_traitsISH_E10value_typeET2_T3_PNSI_ISN_E10value_typeET4_jRbjT5_ST_jjP12ihipStream_tbEUlT_E1_NS1_11comp_targetILNS1_3genE3ELNS1_11target_archE908ELNS1_3gpuE7ELNS1_3repE0EEENS1_59segmented_radix_sort_warp_sort_small_config_static_selectorELNS0_4arch9wavefront6targetE0EEEvSH_
                                        ; -- End function
	.set _ZN7rocprim17ROCPRIM_400000_NS6detail17trampoline_kernelINS0_14default_configENS1_36segmented_radix_sort_config_selectorIllEEZNS1_25segmented_radix_sort_implIS3_Lb0EPKlPlS8_S9_N2at6native12_GLOBAL__N_18offset_tEEE10hipError_tPvRmT1_PNSt15iterator_traitsISH_E10value_typeET2_T3_PNSI_ISN_E10value_typeET4_jRbjT5_ST_jjP12ihipStream_tbEUlT_E1_NS1_11comp_targetILNS1_3genE3ELNS1_11target_archE908ELNS1_3gpuE7ELNS1_3repE0EEENS1_59segmented_radix_sort_warp_sort_small_config_static_selectorELNS0_4arch9wavefront6targetE0EEEvSH_.num_vgpr, 0
	.set _ZN7rocprim17ROCPRIM_400000_NS6detail17trampoline_kernelINS0_14default_configENS1_36segmented_radix_sort_config_selectorIllEEZNS1_25segmented_radix_sort_implIS3_Lb0EPKlPlS8_S9_N2at6native12_GLOBAL__N_18offset_tEEE10hipError_tPvRmT1_PNSt15iterator_traitsISH_E10value_typeET2_T3_PNSI_ISN_E10value_typeET4_jRbjT5_ST_jjP12ihipStream_tbEUlT_E1_NS1_11comp_targetILNS1_3genE3ELNS1_11target_archE908ELNS1_3gpuE7ELNS1_3repE0EEENS1_59segmented_radix_sort_warp_sort_small_config_static_selectorELNS0_4arch9wavefront6targetE0EEEvSH_.num_agpr, 0
	.set _ZN7rocprim17ROCPRIM_400000_NS6detail17trampoline_kernelINS0_14default_configENS1_36segmented_radix_sort_config_selectorIllEEZNS1_25segmented_radix_sort_implIS3_Lb0EPKlPlS8_S9_N2at6native12_GLOBAL__N_18offset_tEEE10hipError_tPvRmT1_PNSt15iterator_traitsISH_E10value_typeET2_T3_PNSI_ISN_E10value_typeET4_jRbjT5_ST_jjP12ihipStream_tbEUlT_E1_NS1_11comp_targetILNS1_3genE3ELNS1_11target_archE908ELNS1_3gpuE7ELNS1_3repE0EEENS1_59segmented_radix_sort_warp_sort_small_config_static_selectorELNS0_4arch9wavefront6targetE0EEEvSH_.numbered_sgpr, 0
	.set _ZN7rocprim17ROCPRIM_400000_NS6detail17trampoline_kernelINS0_14default_configENS1_36segmented_radix_sort_config_selectorIllEEZNS1_25segmented_radix_sort_implIS3_Lb0EPKlPlS8_S9_N2at6native12_GLOBAL__N_18offset_tEEE10hipError_tPvRmT1_PNSt15iterator_traitsISH_E10value_typeET2_T3_PNSI_ISN_E10value_typeET4_jRbjT5_ST_jjP12ihipStream_tbEUlT_E1_NS1_11comp_targetILNS1_3genE3ELNS1_11target_archE908ELNS1_3gpuE7ELNS1_3repE0EEENS1_59segmented_radix_sort_warp_sort_small_config_static_selectorELNS0_4arch9wavefront6targetE0EEEvSH_.num_named_barrier, 0
	.set _ZN7rocprim17ROCPRIM_400000_NS6detail17trampoline_kernelINS0_14default_configENS1_36segmented_radix_sort_config_selectorIllEEZNS1_25segmented_radix_sort_implIS3_Lb0EPKlPlS8_S9_N2at6native12_GLOBAL__N_18offset_tEEE10hipError_tPvRmT1_PNSt15iterator_traitsISH_E10value_typeET2_T3_PNSI_ISN_E10value_typeET4_jRbjT5_ST_jjP12ihipStream_tbEUlT_E1_NS1_11comp_targetILNS1_3genE3ELNS1_11target_archE908ELNS1_3gpuE7ELNS1_3repE0EEENS1_59segmented_radix_sort_warp_sort_small_config_static_selectorELNS0_4arch9wavefront6targetE0EEEvSH_.private_seg_size, 0
	.set _ZN7rocprim17ROCPRIM_400000_NS6detail17trampoline_kernelINS0_14default_configENS1_36segmented_radix_sort_config_selectorIllEEZNS1_25segmented_radix_sort_implIS3_Lb0EPKlPlS8_S9_N2at6native12_GLOBAL__N_18offset_tEEE10hipError_tPvRmT1_PNSt15iterator_traitsISH_E10value_typeET2_T3_PNSI_ISN_E10value_typeET4_jRbjT5_ST_jjP12ihipStream_tbEUlT_E1_NS1_11comp_targetILNS1_3genE3ELNS1_11target_archE908ELNS1_3gpuE7ELNS1_3repE0EEENS1_59segmented_radix_sort_warp_sort_small_config_static_selectorELNS0_4arch9wavefront6targetE0EEEvSH_.uses_vcc, 0
	.set _ZN7rocprim17ROCPRIM_400000_NS6detail17trampoline_kernelINS0_14default_configENS1_36segmented_radix_sort_config_selectorIllEEZNS1_25segmented_radix_sort_implIS3_Lb0EPKlPlS8_S9_N2at6native12_GLOBAL__N_18offset_tEEE10hipError_tPvRmT1_PNSt15iterator_traitsISH_E10value_typeET2_T3_PNSI_ISN_E10value_typeET4_jRbjT5_ST_jjP12ihipStream_tbEUlT_E1_NS1_11comp_targetILNS1_3genE3ELNS1_11target_archE908ELNS1_3gpuE7ELNS1_3repE0EEENS1_59segmented_radix_sort_warp_sort_small_config_static_selectorELNS0_4arch9wavefront6targetE0EEEvSH_.uses_flat_scratch, 0
	.set _ZN7rocprim17ROCPRIM_400000_NS6detail17trampoline_kernelINS0_14default_configENS1_36segmented_radix_sort_config_selectorIllEEZNS1_25segmented_radix_sort_implIS3_Lb0EPKlPlS8_S9_N2at6native12_GLOBAL__N_18offset_tEEE10hipError_tPvRmT1_PNSt15iterator_traitsISH_E10value_typeET2_T3_PNSI_ISN_E10value_typeET4_jRbjT5_ST_jjP12ihipStream_tbEUlT_E1_NS1_11comp_targetILNS1_3genE3ELNS1_11target_archE908ELNS1_3gpuE7ELNS1_3repE0EEENS1_59segmented_radix_sort_warp_sort_small_config_static_selectorELNS0_4arch9wavefront6targetE0EEEvSH_.has_dyn_sized_stack, 0
	.set _ZN7rocprim17ROCPRIM_400000_NS6detail17trampoline_kernelINS0_14default_configENS1_36segmented_radix_sort_config_selectorIllEEZNS1_25segmented_radix_sort_implIS3_Lb0EPKlPlS8_S9_N2at6native12_GLOBAL__N_18offset_tEEE10hipError_tPvRmT1_PNSt15iterator_traitsISH_E10value_typeET2_T3_PNSI_ISN_E10value_typeET4_jRbjT5_ST_jjP12ihipStream_tbEUlT_E1_NS1_11comp_targetILNS1_3genE3ELNS1_11target_archE908ELNS1_3gpuE7ELNS1_3repE0EEENS1_59segmented_radix_sort_warp_sort_small_config_static_selectorELNS0_4arch9wavefront6targetE0EEEvSH_.has_recursion, 0
	.set _ZN7rocprim17ROCPRIM_400000_NS6detail17trampoline_kernelINS0_14default_configENS1_36segmented_radix_sort_config_selectorIllEEZNS1_25segmented_radix_sort_implIS3_Lb0EPKlPlS8_S9_N2at6native12_GLOBAL__N_18offset_tEEE10hipError_tPvRmT1_PNSt15iterator_traitsISH_E10value_typeET2_T3_PNSI_ISN_E10value_typeET4_jRbjT5_ST_jjP12ihipStream_tbEUlT_E1_NS1_11comp_targetILNS1_3genE3ELNS1_11target_archE908ELNS1_3gpuE7ELNS1_3repE0EEENS1_59segmented_radix_sort_warp_sort_small_config_static_selectorELNS0_4arch9wavefront6targetE0EEEvSH_.has_indirect_call, 0
	.section	.AMDGPU.csdata,"",@progbits
; Kernel info:
; codeLenInByte = 0
; TotalNumSgprs: 0
; NumVgprs: 0
; ScratchSize: 0
; MemoryBound: 0
; FloatMode: 240
; IeeeMode: 1
; LDSByteSize: 0 bytes/workgroup (compile time only)
; SGPRBlocks: 0
; VGPRBlocks: 0
; NumSGPRsForWavesPerEU: 1
; NumVGPRsForWavesPerEU: 1
; Occupancy: 16
; WaveLimiterHint : 0
; COMPUTE_PGM_RSRC2:SCRATCH_EN: 0
; COMPUTE_PGM_RSRC2:USER_SGPR: 6
; COMPUTE_PGM_RSRC2:TRAP_HANDLER: 0
; COMPUTE_PGM_RSRC2:TGID_X_EN: 1
; COMPUTE_PGM_RSRC2:TGID_Y_EN: 0
; COMPUTE_PGM_RSRC2:TGID_Z_EN: 0
; COMPUTE_PGM_RSRC2:TIDIG_COMP_CNT: 0
	.section	.text._ZN7rocprim17ROCPRIM_400000_NS6detail17trampoline_kernelINS0_14default_configENS1_36segmented_radix_sort_config_selectorIllEEZNS1_25segmented_radix_sort_implIS3_Lb0EPKlPlS8_S9_N2at6native12_GLOBAL__N_18offset_tEEE10hipError_tPvRmT1_PNSt15iterator_traitsISH_E10value_typeET2_T3_PNSI_ISN_E10value_typeET4_jRbjT5_ST_jjP12ihipStream_tbEUlT_E1_NS1_11comp_targetILNS1_3genE2ELNS1_11target_archE906ELNS1_3gpuE6ELNS1_3repE0EEENS1_59segmented_radix_sort_warp_sort_small_config_static_selectorELNS0_4arch9wavefront6targetE0EEEvSH_,"axG",@progbits,_ZN7rocprim17ROCPRIM_400000_NS6detail17trampoline_kernelINS0_14default_configENS1_36segmented_radix_sort_config_selectorIllEEZNS1_25segmented_radix_sort_implIS3_Lb0EPKlPlS8_S9_N2at6native12_GLOBAL__N_18offset_tEEE10hipError_tPvRmT1_PNSt15iterator_traitsISH_E10value_typeET2_T3_PNSI_ISN_E10value_typeET4_jRbjT5_ST_jjP12ihipStream_tbEUlT_E1_NS1_11comp_targetILNS1_3genE2ELNS1_11target_archE906ELNS1_3gpuE6ELNS1_3repE0EEENS1_59segmented_radix_sort_warp_sort_small_config_static_selectorELNS0_4arch9wavefront6targetE0EEEvSH_,comdat
	.globl	_ZN7rocprim17ROCPRIM_400000_NS6detail17trampoline_kernelINS0_14default_configENS1_36segmented_radix_sort_config_selectorIllEEZNS1_25segmented_radix_sort_implIS3_Lb0EPKlPlS8_S9_N2at6native12_GLOBAL__N_18offset_tEEE10hipError_tPvRmT1_PNSt15iterator_traitsISH_E10value_typeET2_T3_PNSI_ISN_E10value_typeET4_jRbjT5_ST_jjP12ihipStream_tbEUlT_E1_NS1_11comp_targetILNS1_3genE2ELNS1_11target_archE906ELNS1_3gpuE6ELNS1_3repE0EEENS1_59segmented_radix_sort_warp_sort_small_config_static_selectorELNS0_4arch9wavefront6targetE0EEEvSH_ ; -- Begin function _ZN7rocprim17ROCPRIM_400000_NS6detail17trampoline_kernelINS0_14default_configENS1_36segmented_radix_sort_config_selectorIllEEZNS1_25segmented_radix_sort_implIS3_Lb0EPKlPlS8_S9_N2at6native12_GLOBAL__N_18offset_tEEE10hipError_tPvRmT1_PNSt15iterator_traitsISH_E10value_typeET2_T3_PNSI_ISN_E10value_typeET4_jRbjT5_ST_jjP12ihipStream_tbEUlT_E1_NS1_11comp_targetILNS1_3genE2ELNS1_11target_archE906ELNS1_3gpuE6ELNS1_3repE0EEENS1_59segmented_radix_sort_warp_sort_small_config_static_selectorELNS0_4arch9wavefront6targetE0EEEvSH_
	.p2align	8
	.type	_ZN7rocprim17ROCPRIM_400000_NS6detail17trampoline_kernelINS0_14default_configENS1_36segmented_radix_sort_config_selectorIllEEZNS1_25segmented_radix_sort_implIS3_Lb0EPKlPlS8_S9_N2at6native12_GLOBAL__N_18offset_tEEE10hipError_tPvRmT1_PNSt15iterator_traitsISH_E10value_typeET2_T3_PNSI_ISN_E10value_typeET4_jRbjT5_ST_jjP12ihipStream_tbEUlT_E1_NS1_11comp_targetILNS1_3genE2ELNS1_11target_archE906ELNS1_3gpuE6ELNS1_3repE0EEENS1_59segmented_radix_sort_warp_sort_small_config_static_selectorELNS0_4arch9wavefront6targetE0EEEvSH_,@function
_ZN7rocprim17ROCPRIM_400000_NS6detail17trampoline_kernelINS0_14default_configENS1_36segmented_radix_sort_config_selectorIllEEZNS1_25segmented_radix_sort_implIS3_Lb0EPKlPlS8_S9_N2at6native12_GLOBAL__N_18offset_tEEE10hipError_tPvRmT1_PNSt15iterator_traitsISH_E10value_typeET2_T3_PNSI_ISN_E10value_typeET4_jRbjT5_ST_jjP12ihipStream_tbEUlT_E1_NS1_11comp_targetILNS1_3genE2ELNS1_11target_archE906ELNS1_3gpuE6ELNS1_3repE0EEENS1_59segmented_radix_sort_warp_sort_small_config_static_selectorELNS0_4arch9wavefront6targetE0EEEvSH_: ; @_ZN7rocprim17ROCPRIM_400000_NS6detail17trampoline_kernelINS0_14default_configENS1_36segmented_radix_sort_config_selectorIllEEZNS1_25segmented_radix_sort_implIS3_Lb0EPKlPlS8_S9_N2at6native12_GLOBAL__N_18offset_tEEE10hipError_tPvRmT1_PNSt15iterator_traitsISH_E10value_typeET2_T3_PNSI_ISN_E10value_typeET4_jRbjT5_ST_jjP12ihipStream_tbEUlT_E1_NS1_11comp_targetILNS1_3genE2ELNS1_11target_archE906ELNS1_3gpuE6ELNS1_3repE0EEENS1_59segmented_radix_sort_warp_sort_small_config_static_selectorELNS0_4arch9wavefront6targetE0EEEvSH_
; %bb.0:
	.section	.rodata,"a",@progbits
	.p2align	6, 0x0
	.amdhsa_kernel _ZN7rocprim17ROCPRIM_400000_NS6detail17trampoline_kernelINS0_14default_configENS1_36segmented_radix_sort_config_selectorIllEEZNS1_25segmented_radix_sort_implIS3_Lb0EPKlPlS8_S9_N2at6native12_GLOBAL__N_18offset_tEEE10hipError_tPvRmT1_PNSt15iterator_traitsISH_E10value_typeET2_T3_PNSI_ISN_E10value_typeET4_jRbjT5_ST_jjP12ihipStream_tbEUlT_E1_NS1_11comp_targetILNS1_3genE2ELNS1_11target_archE906ELNS1_3gpuE6ELNS1_3repE0EEENS1_59segmented_radix_sort_warp_sort_small_config_static_selectorELNS0_4arch9wavefront6targetE0EEEvSH_
		.amdhsa_group_segment_fixed_size 0
		.amdhsa_private_segment_fixed_size 0
		.amdhsa_kernarg_size 88
		.amdhsa_user_sgpr_count 6
		.amdhsa_user_sgpr_private_segment_buffer 1
		.amdhsa_user_sgpr_dispatch_ptr 0
		.amdhsa_user_sgpr_queue_ptr 0
		.amdhsa_user_sgpr_kernarg_segment_ptr 1
		.amdhsa_user_sgpr_dispatch_id 0
		.amdhsa_user_sgpr_flat_scratch_init 0
		.amdhsa_user_sgpr_private_segment_size 0
		.amdhsa_wavefront_size32 1
		.amdhsa_uses_dynamic_stack 0
		.amdhsa_system_sgpr_private_segment_wavefront_offset 0
		.amdhsa_system_sgpr_workgroup_id_x 1
		.amdhsa_system_sgpr_workgroup_id_y 0
		.amdhsa_system_sgpr_workgroup_id_z 0
		.amdhsa_system_sgpr_workgroup_info 0
		.amdhsa_system_vgpr_workitem_id 0
		.amdhsa_next_free_vgpr 1
		.amdhsa_next_free_sgpr 1
		.amdhsa_reserve_vcc 0
		.amdhsa_reserve_flat_scratch 0
		.amdhsa_float_round_mode_32 0
		.amdhsa_float_round_mode_16_64 0
		.amdhsa_float_denorm_mode_32 3
		.amdhsa_float_denorm_mode_16_64 3
		.amdhsa_dx10_clamp 1
		.amdhsa_ieee_mode 1
		.amdhsa_fp16_overflow 0
		.amdhsa_workgroup_processor_mode 1
		.amdhsa_memory_ordered 1
		.amdhsa_forward_progress 1
		.amdhsa_shared_vgpr_count 0
		.amdhsa_exception_fp_ieee_invalid_op 0
		.amdhsa_exception_fp_denorm_src 0
		.amdhsa_exception_fp_ieee_div_zero 0
		.amdhsa_exception_fp_ieee_overflow 0
		.amdhsa_exception_fp_ieee_underflow 0
		.amdhsa_exception_fp_ieee_inexact 0
		.amdhsa_exception_int_div_zero 0
	.end_amdhsa_kernel
	.section	.text._ZN7rocprim17ROCPRIM_400000_NS6detail17trampoline_kernelINS0_14default_configENS1_36segmented_radix_sort_config_selectorIllEEZNS1_25segmented_radix_sort_implIS3_Lb0EPKlPlS8_S9_N2at6native12_GLOBAL__N_18offset_tEEE10hipError_tPvRmT1_PNSt15iterator_traitsISH_E10value_typeET2_T3_PNSI_ISN_E10value_typeET4_jRbjT5_ST_jjP12ihipStream_tbEUlT_E1_NS1_11comp_targetILNS1_3genE2ELNS1_11target_archE906ELNS1_3gpuE6ELNS1_3repE0EEENS1_59segmented_radix_sort_warp_sort_small_config_static_selectorELNS0_4arch9wavefront6targetE0EEEvSH_,"axG",@progbits,_ZN7rocprim17ROCPRIM_400000_NS6detail17trampoline_kernelINS0_14default_configENS1_36segmented_radix_sort_config_selectorIllEEZNS1_25segmented_radix_sort_implIS3_Lb0EPKlPlS8_S9_N2at6native12_GLOBAL__N_18offset_tEEE10hipError_tPvRmT1_PNSt15iterator_traitsISH_E10value_typeET2_T3_PNSI_ISN_E10value_typeET4_jRbjT5_ST_jjP12ihipStream_tbEUlT_E1_NS1_11comp_targetILNS1_3genE2ELNS1_11target_archE906ELNS1_3gpuE6ELNS1_3repE0EEENS1_59segmented_radix_sort_warp_sort_small_config_static_selectorELNS0_4arch9wavefront6targetE0EEEvSH_,comdat
.Lfunc_end825:
	.size	_ZN7rocprim17ROCPRIM_400000_NS6detail17trampoline_kernelINS0_14default_configENS1_36segmented_radix_sort_config_selectorIllEEZNS1_25segmented_radix_sort_implIS3_Lb0EPKlPlS8_S9_N2at6native12_GLOBAL__N_18offset_tEEE10hipError_tPvRmT1_PNSt15iterator_traitsISH_E10value_typeET2_T3_PNSI_ISN_E10value_typeET4_jRbjT5_ST_jjP12ihipStream_tbEUlT_E1_NS1_11comp_targetILNS1_3genE2ELNS1_11target_archE906ELNS1_3gpuE6ELNS1_3repE0EEENS1_59segmented_radix_sort_warp_sort_small_config_static_selectorELNS0_4arch9wavefront6targetE0EEEvSH_, .Lfunc_end825-_ZN7rocprim17ROCPRIM_400000_NS6detail17trampoline_kernelINS0_14default_configENS1_36segmented_radix_sort_config_selectorIllEEZNS1_25segmented_radix_sort_implIS3_Lb0EPKlPlS8_S9_N2at6native12_GLOBAL__N_18offset_tEEE10hipError_tPvRmT1_PNSt15iterator_traitsISH_E10value_typeET2_T3_PNSI_ISN_E10value_typeET4_jRbjT5_ST_jjP12ihipStream_tbEUlT_E1_NS1_11comp_targetILNS1_3genE2ELNS1_11target_archE906ELNS1_3gpuE6ELNS1_3repE0EEENS1_59segmented_radix_sort_warp_sort_small_config_static_selectorELNS0_4arch9wavefront6targetE0EEEvSH_
                                        ; -- End function
	.set _ZN7rocprim17ROCPRIM_400000_NS6detail17trampoline_kernelINS0_14default_configENS1_36segmented_radix_sort_config_selectorIllEEZNS1_25segmented_radix_sort_implIS3_Lb0EPKlPlS8_S9_N2at6native12_GLOBAL__N_18offset_tEEE10hipError_tPvRmT1_PNSt15iterator_traitsISH_E10value_typeET2_T3_PNSI_ISN_E10value_typeET4_jRbjT5_ST_jjP12ihipStream_tbEUlT_E1_NS1_11comp_targetILNS1_3genE2ELNS1_11target_archE906ELNS1_3gpuE6ELNS1_3repE0EEENS1_59segmented_radix_sort_warp_sort_small_config_static_selectorELNS0_4arch9wavefront6targetE0EEEvSH_.num_vgpr, 0
	.set _ZN7rocprim17ROCPRIM_400000_NS6detail17trampoline_kernelINS0_14default_configENS1_36segmented_radix_sort_config_selectorIllEEZNS1_25segmented_radix_sort_implIS3_Lb0EPKlPlS8_S9_N2at6native12_GLOBAL__N_18offset_tEEE10hipError_tPvRmT1_PNSt15iterator_traitsISH_E10value_typeET2_T3_PNSI_ISN_E10value_typeET4_jRbjT5_ST_jjP12ihipStream_tbEUlT_E1_NS1_11comp_targetILNS1_3genE2ELNS1_11target_archE906ELNS1_3gpuE6ELNS1_3repE0EEENS1_59segmented_radix_sort_warp_sort_small_config_static_selectorELNS0_4arch9wavefront6targetE0EEEvSH_.num_agpr, 0
	.set _ZN7rocprim17ROCPRIM_400000_NS6detail17trampoline_kernelINS0_14default_configENS1_36segmented_radix_sort_config_selectorIllEEZNS1_25segmented_radix_sort_implIS3_Lb0EPKlPlS8_S9_N2at6native12_GLOBAL__N_18offset_tEEE10hipError_tPvRmT1_PNSt15iterator_traitsISH_E10value_typeET2_T3_PNSI_ISN_E10value_typeET4_jRbjT5_ST_jjP12ihipStream_tbEUlT_E1_NS1_11comp_targetILNS1_3genE2ELNS1_11target_archE906ELNS1_3gpuE6ELNS1_3repE0EEENS1_59segmented_radix_sort_warp_sort_small_config_static_selectorELNS0_4arch9wavefront6targetE0EEEvSH_.numbered_sgpr, 0
	.set _ZN7rocprim17ROCPRIM_400000_NS6detail17trampoline_kernelINS0_14default_configENS1_36segmented_radix_sort_config_selectorIllEEZNS1_25segmented_radix_sort_implIS3_Lb0EPKlPlS8_S9_N2at6native12_GLOBAL__N_18offset_tEEE10hipError_tPvRmT1_PNSt15iterator_traitsISH_E10value_typeET2_T3_PNSI_ISN_E10value_typeET4_jRbjT5_ST_jjP12ihipStream_tbEUlT_E1_NS1_11comp_targetILNS1_3genE2ELNS1_11target_archE906ELNS1_3gpuE6ELNS1_3repE0EEENS1_59segmented_radix_sort_warp_sort_small_config_static_selectorELNS0_4arch9wavefront6targetE0EEEvSH_.num_named_barrier, 0
	.set _ZN7rocprim17ROCPRIM_400000_NS6detail17trampoline_kernelINS0_14default_configENS1_36segmented_radix_sort_config_selectorIllEEZNS1_25segmented_radix_sort_implIS3_Lb0EPKlPlS8_S9_N2at6native12_GLOBAL__N_18offset_tEEE10hipError_tPvRmT1_PNSt15iterator_traitsISH_E10value_typeET2_T3_PNSI_ISN_E10value_typeET4_jRbjT5_ST_jjP12ihipStream_tbEUlT_E1_NS1_11comp_targetILNS1_3genE2ELNS1_11target_archE906ELNS1_3gpuE6ELNS1_3repE0EEENS1_59segmented_radix_sort_warp_sort_small_config_static_selectorELNS0_4arch9wavefront6targetE0EEEvSH_.private_seg_size, 0
	.set _ZN7rocprim17ROCPRIM_400000_NS6detail17trampoline_kernelINS0_14default_configENS1_36segmented_radix_sort_config_selectorIllEEZNS1_25segmented_radix_sort_implIS3_Lb0EPKlPlS8_S9_N2at6native12_GLOBAL__N_18offset_tEEE10hipError_tPvRmT1_PNSt15iterator_traitsISH_E10value_typeET2_T3_PNSI_ISN_E10value_typeET4_jRbjT5_ST_jjP12ihipStream_tbEUlT_E1_NS1_11comp_targetILNS1_3genE2ELNS1_11target_archE906ELNS1_3gpuE6ELNS1_3repE0EEENS1_59segmented_radix_sort_warp_sort_small_config_static_selectorELNS0_4arch9wavefront6targetE0EEEvSH_.uses_vcc, 0
	.set _ZN7rocprim17ROCPRIM_400000_NS6detail17trampoline_kernelINS0_14default_configENS1_36segmented_radix_sort_config_selectorIllEEZNS1_25segmented_radix_sort_implIS3_Lb0EPKlPlS8_S9_N2at6native12_GLOBAL__N_18offset_tEEE10hipError_tPvRmT1_PNSt15iterator_traitsISH_E10value_typeET2_T3_PNSI_ISN_E10value_typeET4_jRbjT5_ST_jjP12ihipStream_tbEUlT_E1_NS1_11comp_targetILNS1_3genE2ELNS1_11target_archE906ELNS1_3gpuE6ELNS1_3repE0EEENS1_59segmented_radix_sort_warp_sort_small_config_static_selectorELNS0_4arch9wavefront6targetE0EEEvSH_.uses_flat_scratch, 0
	.set _ZN7rocprim17ROCPRIM_400000_NS6detail17trampoline_kernelINS0_14default_configENS1_36segmented_radix_sort_config_selectorIllEEZNS1_25segmented_radix_sort_implIS3_Lb0EPKlPlS8_S9_N2at6native12_GLOBAL__N_18offset_tEEE10hipError_tPvRmT1_PNSt15iterator_traitsISH_E10value_typeET2_T3_PNSI_ISN_E10value_typeET4_jRbjT5_ST_jjP12ihipStream_tbEUlT_E1_NS1_11comp_targetILNS1_3genE2ELNS1_11target_archE906ELNS1_3gpuE6ELNS1_3repE0EEENS1_59segmented_radix_sort_warp_sort_small_config_static_selectorELNS0_4arch9wavefront6targetE0EEEvSH_.has_dyn_sized_stack, 0
	.set _ZN7rocprim17ROCPRIM_400000_NS6detail17trampoline_kernelINS0_14default_configENS1_36segmented_radix_sort_config_selectorIllEEZNS1_25segmented_radix_sort_implIS3_Lb0EPKlPlS8_S9_N2at6native12_GLOBAL__N_18offset_tEEE10hipError_tPvRmT1_PNSt15iterator_traitsISH_E10value_typeET2_T3_PNSI_ISN_E10value_typeET4_jRbjT5_ST_jjP12ihipStream_tbEUlT_E1_NS1_11comp_targetILNS1_3genE2ELNS1_11target_archE906ELNS1_3gpuE6ELNS1_3repE0EEENS1_59segmented_radix_sort_warp_sort_small_config_static_selectorELNS0_4arch9wavefront6targetE0EEEvSH_.has_recursion, 0
	.set _ZN7rocprim17ROCPRIM_400000_NS6detail17trampoline_kernelINS0_14default_configENS1_36segmented_radix_sort_config_selectorIllEEZNS1_25segmented_radix_sort_implIS3_Lb0EPKlPlS8_S9_N2at6native12_GLOBAL__N_18offset_tEEE10hipError_tPvRmT1_PNSt15iterator_traitsISH_E10value_typeET2_T3_PNSI_ISN_E10value_typeET4_jRbjT5_ST_jjP12ihipStream_tbEUlT_E1_NS1_11comp_targetILNS1_3genE2ELNS1_11target_archE906ELNS1_3gpuE6ELNS1_3repE0EEENS1_59segmented_radix_sort_warp_sort_small_config_static_selectorELNS0_4arch9wavefront6targetE0EEEvSH_.has_indirect_call, 0
	.section	.AMDGPU.csdata,"",@progbits
; Kernel info:
; codeLenInByte = 0
; TotalNumSgprs: 0
; NumVgprs: 0
; ScratchSize: 0
; MemoryBound: 0
; FloatMode: 240
; IeeeMode: 1
; LDSByteSize: 0 bytes/workgroup (compile time only)
; SGPRBlocks: 0
; VGPRBlocks: 0
; NumSGPRsForWavesPerEU: 1
; NumVGPRsForWavesPerEU: 1
; Occupancy: 16
; WaveLimiterHint : 0
; COMPUTE_PGM_RSRC2:SCRATCH_EN: 0
; COMPUTE_PGM_RSRC2:USER_SGPR: 6
; COMPUTE_PGM_RSRC2:TRAP_HANDLER: 0
; COMPUTE_PGM_RSRC2:TGID_X_EN: 1
; COMPUTE_PGM_RSRC2:TGID_Y_EN: 0
; COMPUTE_PGM_RSRC2:TGID_Z_EN: 0
; COMPUTE_PGM_RSRC2:TIDIG_COMP_CNT: 0
	.section	.text._ZN7rocprim17ROCPRIM_400000_NS6detail17trampoline_kernelINS0_14default_configENS1_36segmented_radix_sort_config_selectorIllEEZNS1_25segmented_radix_sort_implIS3_Lb0EPKlPlS8_S9_N2at6native12_GLOBAL__N_18offset_tEEE10hipError_tPvRmT1_PNSt15iterator_traitsISH_E10value_typeET2_T3_PNSI_ISN_E10value_typeET4_jRbjT5_ST_jjP12ihipStream_tbEUlT_E1_NS1_11comp_targetILNS1_3genE10ELNS1_11target_archE1201ELNS1_3gpuE5ELNS1_3repE0EEENS1_59segmented_radix_sort_warp_sort_small_config_static_selectorELNS0_4arch9wavefront6targetE0EEEvSH_,"axG",@progbits,_ZN7rocprim17ROCPRIM_400000_NS6detail17trampoline_kernelINS0_14default_configENS1_36segmented_radix_sort_config_selectorIllEEZNS1_25segmented_radix_sort_implIS3_Lb0EPKlPlS8_S9_N2at6native12_GLOBAL__N_18offset_tEEE10hipError_tPvRmT1_PNSt15iterator_traitsISH_E10value_typeET2_T3_PNSI_ISN_E10value_typeET4_jRbjT5_ST_jjP12ihipStream_tbEUlT_E1_NS1_11comp_targetILNS1_3genE10ELNS1_11target_archE1201ELNS1_3gpuE5ELNS1_3repE0EEENS1_59segmented_radix_sort_warp_sort_small_config_static_selectorELNS0_4arch9wavefront6targetE0EEEvSH_,comdat
	.globl	_ZN7rocprim17ROCPRIM_400000_NS6detail17trampoline_kernelINS0_14default_configENS1_36segmented_radix_sort_config_selectorIllEEZNS1_25segmented_radix_sort_implIS3_Lb0EPKlPlS8_S9_N2at6native12_GLOBAL__N_18offset_tEEE10hipError_tPvRmT1_PNSt15iterator_traitsISH_E10value_typeET2_T3_PNSI_ISN_E10value_typeET4_jRbjT5_ST_jjP12ihipStream_tbEUlT_E1_NS1_11comp_targetILNS1_3genE10ELNS1_11target_archE1201ELNS1_3gpuE5ELNS1_3repE0EEENS1_59segmented_radix_sort_warp_sort_small_config_static_selectorELNS0_4arch9wavefront6targetE0EEEvSH_ ; -- Begin function _ZN7rocprim17ROCPRIM_400000_NS6detail17trampoline_kernelINS0_14default_configENS1_36segmented_radix_sort_config_selectorIllEEZNS1_25segmented_radix_sort_implIS3_Lb0EPKlPlS8_S9_N2at6native12_GLOBAL__N_18offset_tEEE10hipError_tPvRmT1_PNSt15iterator_traitsISH_E10value_typeET2_T3_PNSI_ISN_E10value_typeET4_jRbjT5_ST_jjP12ihipStream_tbEUlT_E1_NS1_11comp_targetILNS1_3genE10ELNS1_11target_archE1201ELNS1_3gpuE5ELNS1_3repE0EEENS1_59segmented_radix_sort_warp_sort_small_config_static_selectorELNS0_4arch9wavefront6targetE0EEEvSH_
	.p2align	8
	.type	_ZN7rocprim17ROCPRIM_400000_NS6detail17trampoline_kernelINS0_14default_configENS1_36segmented_radix_sort_config_selectorIllEEZNS1_25segmented_radix_sort_implIS3_Lb0EPKlPlS8_S9_N2at6native12_GLOBAL__N_18offset_tEEE10hipError_tPvRmT1_PNSt15iterator_traitsISH_E10value_typeET2_T3_PNSI_ISN_E10value_typeET4_jRbjT5_ST_jjP12ihipStream_tbEUlT_E1_NS1_11comp_targetILNS1_3genE10ELNS1_11target_archE1201ELNS1_3gpuE5ELNS1_3repE0EEENS1_59segmented_radix_sort_warp_sort_small_config_static_selectorELNS0_4arch9wavefront6targetE0EEEvSH_,@function
_ZN7rocprim17ROCPRIM_400000_NS6detail17trampoline_kernelINS0_14default_configENS1_36segmented_radix_sort_config_selectorIllEEZNS1_25segmented_radix_sort_implIS3_Lb0EPKlPlS8_S9_N2at6native12_GLOBAL__N_18offset_tEEE10hipError_tPvRmT1_PNSt15iterator_traitsISH_E10value_typeET2_T3_PNSI_ISN_E10value_typeET4_jRbjT5_ST_jjP12ihipStream_tbEUlT_E1_NS1_11comp_targetILNS1_3genE10ELNS1_11target_archE1201ELNS1_3gpuE5ELNS1_3repE0EEENS1_59segmented_radix_sort_warp_sort_small_config_static_selectorELNS0_4arch9wavefront6targetE0EEEvSH_: ; @_ZN7rocprim17ROCPRIM_400000_NS6detail17trampoline_kernelINS0_14default_configENS1_36segmented_radix_sort_config_selectorIllEEZNS1_25segmented_radix_sort_implIS3_Lb0EPKlPlS8_S9_N2at6native12_GLOBAL__N_18offset_tEEE10hipError_tPvRmT1_PNSt15iterator_traitsISH_E10value_typeET2_T3_PNSI_ISN_E10value_typeET4_jRbjT5_ST_jjP12ihipStream_tbEUlT_E1_NS1_11comp_targetILNS1_3genE10ELNS1_11target_archE1201ELNS1_3gpuE5ELNS1_3repE0EEENS1_59segmented_radix_sort_warp_sort_small_config_static_selectorELNS0_4arch9wavefront6targetE0EEEvSH_
; %bb.0:
	.section	.rodata,"a",@progbits
	.p2align	6, 0x0
	.amdhsa_kernel _ZN7rocprim17ROCPRIM_400000_NS6detail17trampoline_kernelINS0_14default_configENS1_36segmented_radix_sort_config_selectorIllEEZNS1_25segmented_radix_sort_implIS3_Lb0EPKlPlS8_S9_N2at6native12_GLOBAL__N_18offset_tEEE10hipError_tPvRmT1_PNSt15iterator_traitsISH_E10value_typeET2_T3_PNSI_ISN_E10value_typeET4_jRbjT5_ST_jjP12ihipStream_tbEUlT_E1_NS1_11comp_targetILNS1_3genE10ELNS1_11target_archE1201ELNS1_3gpuE5ELNS1_3repE0EEENS1_59segmented_radix_sort_warp_sort_small_config_static_selectorELNS0_4arch9wavefront6targetE0EEEvSH_
		.amdhsa_group_segment_fixed_size 0
		.amdhsa_private_segment_fixed_size 0
		.amdhsa_kernarg_size 88
		.amdhsa_user_sgpr_count 6
		.amdhsa_user_sgpr_private_segment_buffer 1
		.amdhsa_user_sgpr_dispatch_ptr 0
		.amdhsa_user_sgpr_queue_ptr 0
		.amdhsa_user_sgpr_kernarg_segment_ptr 1
		.amdhsa_user_sgpr_dispatch_id 0
		.amdhsa_user_sgpr_flat_scratch_init 0
		.amdhsa_user_sgpr_private_segment_size 0
		.amdhsa_wavefront_size32 1
		.amdhsa_uses_dynamic_stack 0
		.amdhsa_system_sgpr_private_segment_wavefront_offset 0
		.amdhsa_system_sgpr_workgroup_id_x 1
		.amdhsa_system_sgpr_workgroup_id_y 0
		.amdhsa_system_sgpr_workgroup_id_z 0
		.amdhsa_system_sgpr_workgroup_info 0
		.amdhsa_system_vgpr_workitem_id 0
		.amdhsa_next_free_vgpr 1
		.amdhsa_next_free_sgpr 1
		.amdhsa_reserve_vcc 0
		.amdhsa_reserve_flat_scratch 0
		.amdhsa_float_round_mode_32 0
		.amdhsa_float_round_mode_16_64 0
		.amdhsa_float_denorm_mode_32 3
		.amdhsa_float_denorm_mode_16_64 3
		.amdhsa_dx10_clamp 1
		.amdhsa_ieee_mode 1
		.amdhsa_fp16_overflow 0
		.amdhsa_workgroup_processor_mode 1
		.amdhsa_memory_ordered 1
		.amdhsa_forward_progress 1
		.amdhsa_shared_vgpr_count 0
		.amdhsa_exception_fp_ieee_invalid_op 0
		.amdhsa_exception_fp_denorm_src 0
		.amdhsa_exception_fp_ieee_div_zero 0
		.amdhsa_exception_fp_ieee_overflow 0
		.amdhsa_exception_fp_ieee_underflow 0
		.amdhsa_exception_fp_ieee_inexact 0
		.amdhsa_exception_int_div_zero 0
	.end_amdhsa_kernel
	.section	.text._ZN7rocprim17ROCPRIM_400000_NS6detail17trampoline_kernelINS0_14default_configENS1_36segmented_radix_sort_config_selectorIllEEZNS1_25segmented_radix_sort_implIS3_Lb0EPKlPlS8_S9_N2at6native12_GLOBAL__N_18offset_tEEE10hipError_tPvRmT1_PNSt15iterator_traitsISH_E10value_typeET2_T3_PNSI_ISN_E10value_typeET4_jRbjT5_ST_jjP12ihipStream_tbEUlT_E1_NS1_11comp_targetILNS1_3genE10ELNS1_11target_archE1201ELNS1_3gpuE5ELNS1_3repE0EEENS1_59segmented_radix_sort_warp_sort_small_config_static_selectorELNS0_4arch9wavefront6targetE0EEEvSH_,"axG",@progbits,_ZN7rocprim17ROCPRIM_400000_NS6detail17trampoline_kernelINS0_14default_configENS1_36segmented_radix_sort_config_selectorIllEEZNS1_25segmented_radix_sort_implIS3_Lb0EPKlPlS8_S9_N2at6native12_GLOBAL__N_18offset_tEEE10hipError_tPvRmT1_PNSt15iterator_traitsISH_E10value_typeET2_T3_PNSI_ISN_E10value_typeET4_jRbjT5_ST_jjP12ihipStream_tbEUlT_E1_NS1_11comp_targetILNS1_3genE10ELNS1_11target_archE1201ELNS1_3gpuE5ELNS1_3repE0EEENS1_59segmented_radix_sort_warp_sort_small_config_static_selectorELNS0_4arch9wavefront6targetE0EEEvSH_,comdat
.Lfunc_end826:
	.size	_ZN7rocprim17ROCPRIM_400000_NS6detail17trampoline_kernelINS0_14default_configENS1_36segmented_radix_sort_config_selectorIllEEZNS1_25segmented_radix_sort_implIS3_Lb0EPKlPlS8_S9_N2at6native12_GLOBAL__N_18offset_tEEE10hipError_tPvRmT1_PNSt15iterator_traitsISH_E10value_typeET2_T3_PNSI_ISN_E10value_typeET4_jRbjT5_ST_jjP12ihipStream_tbEUlT_E1_NS1_11comp_targetILNS1_3genE10ELNS1_11target_archE1201ELNS1_3gpuE5ELNS1_3repE0EEENS1_59segmented_radix_sort_warp_sort_small_config_static_selectorELNS0_4arch9wavefront6targetE0EEEvSH_, .Lfunc_end826-_ZN7rocprim17ROCPRIM_400000_NS6detail17trampoline_kernelINS0_14default_configENS1_36segmented_radix_sort_config_selectorIllEEZNS1_25segmented_radix_sort_implIS3_Lb0EPKlPlS8_S9_N2at6native12_GLOBAL__N_18offset_tEEE10hipError_tPvRmT1_PNSt15iterator_traitsISH_E10value_typeET2_T3_PNSI_ISN_E10value_typeET4_jRbjT5_ST_jjP12ihipStream_tbEUlT_E1_NS1_11comp_targetILNS1_3genE10ELNS1_11target_archE1201ELNS1_3gpuE5ELNS1_3repE0EEENS1_59segmented_radix_sort_warp_sort_small_config_static_selectorELNS0_4arch9wavefront6targetE0EEEvSH_
                                        ; -- End function
	.set _ZN7rocprim17ROCPRIM_400000_NS6detail17trampoline_kernelINS0_14default_configENS1_36segmented_radix_sort_config_selectorIllEEZNS1_25segmented_radix_sort_implIS3_Lb0EPKlPlS8_S9_N2at6native12_GLOBAL__N_18offset_tEEE10hipError_tPvRmT1_PNSt15iterator_traitsISH_E10value_typeET2_T3_PNSI_ISN_E10value_typeET4_jRbjT5_ST_jjP12ihipStream_tbEUlT_E1_NS1_11comp_targetILNS1_3genE10ELNS1_11target_archE1201ELNS1_3gpuE5ELNS1_3repE0EEENS1_59segmented_radix_sort_warp_sort_small_config_static_selectorELNS0_4arch9wavefront6targetE0EEEvSH_.num_vgpr, 0
	.set _ZN7rocprim17ROCPRIM_400000_NS6detail17trampoline_kernelINS0_14default_configENS1_36segmented_radix_sort_config_selectorIllEEZNS1_25segmented_radix_sort_implIS3_Lb0EPKlPlS8_S9_N2at6native12_GLOBAL__N_18offset_tEEE10hipError_tPvRmT1_PNSt15iterator_traitsISH_E10value_typeET2_T3_PNSI_ISN_E10value_typeET4_jRbjT5_ST_jjP12ihipStream_tbEUlT_E1_NS1_11comp_targetILNS1_3genE10ELNS1_11target_archE1201ELNS1_3gpuE5ELNS1_3repE0EEENS1_59segmented_radix_sort_warp_sort_small_config_static_selectorELNS0_4arch9wavefront6targetE0EEEvSH_.num_agpr, 0
	.set _ZN7rocprim17ROCPRIM_400000_NS6detail17trampoline_kernelINS0_14default_configENS1_36segmented_radix_sort_config_selectorIllEEZNS1_25segmented_radix_sort_implIS3_Lb0EPKlPlS8_S9_N2at6native12_GLOBAL__N_18offset_tEEE10hipError_tPvRmT1_PNSt15iterator_traitsISH_E10value_typeET2_T3_PNSI_ISN_E10value_typeET4_jRbjT5_ST_jjP12ihipStream_tbEUlT_E1_NS1_11comp_targetILNS1_3genE10ELNS1_11target_archE1201ELNS1_3gpuE5ELNS1_3repE0EEENS1_59segmented_radix_sort_warp_sort_small_config_static_selectorELNS0_4arch9wavefront6targetE0EEEvSH_.numbered_sgpr, 0
	.set _ZN7rocprim17ROCPRIM_400000_NS6detail17trampoline_kernelINS0_14default_configENS1_36segmented_radix_sort_config_selectorIllEEZNS1_25segmented_radix_sort_implIS3_Lb0EPKlPlS8_S9_N2at6native12_GLOBAL__N_18offset_tEEE10hipError_tPvRmT1_PNSt15iterator_traitsISH_E10value_typeET2_T3_PNSI_ISN_E10value_typeET4_jRbjT5_ST_jjP12ihipStream_tbEUlT_E1_NS1_11comp_targetILNS1_3genE10ELNS1_11target_archE1201ELNS1_3gpuE5ELNS1_3repE0EEENS1_59segmented_radix_sort_warp_sort_small_config_static_selectorELNS0_4arch9wavefront6targetE0EEEvSH_.num_named_barrier, 0
	.set _ZN7rocprim17ROCPRIM_400000_NS6detail17trampoline_kernelINS0_14default_configENS1_36segmented_radix_sort_config_selectorIllEEZNS1_25segmented_radix_sort_implIS3_Lb0EPKlPlS8_S9_N2at6native12_GLOBAL__N_18offset_tEEE10hipError_tPvRmT1_PNSt15iterator_traitsISH_E10value_typeET2_T3_PNSI_ISN_E10value_typeET4_jRbjT5_ST_jjP12ihipStream_tbEUlT_E1_NS1_11comp_targetILNS1_3genE10ELNS1_11target_archE1201ELNS1_3gpuE5ELNS1_3repE0EEENS1_59segmented_radix_sort_warp_sort_small_config_static_selectorELNS0_4arch9wavefront6targetE0EEEvSH_.private_seg_size, 0
	.set _ZN7rocprim17ROCPRIM_400000_NS6detail17trampoline_kernelINS0_14default_configENS1_36segmented_radix_sort_config_selectorIllEEZNS1_25segmented_radix_sort_implIS3_Lb0EPKlPlS8_S9_N2at6native12_GLOBAL__N_18offset_tEEE10hipError_tPvRmT1_PNSt15iterator_traitsISH_E10value_typeET2_T3_PNSI_ISN_E10value_typeET4_jRbjT5_ST_jjP12ihipStream_tbEUlT_E1_NS1_11comp_targetILNS1_3genE10ELNS1_11target_archE1201ELNS1_3gpuE5ELNS1_3repE0EEENS1_59segmented_radix_sort_warp_sort_small_config_static_selectorELNS0_4arch9wavefront6targetE0EEEvSH_.uses_vcc, 0
	.set _ZN7rocprim17ROCPRIM_400000_NS6detail17trampoline_kernelINS0_14default_configENS1_36segmented_radix_sort_config_selectorIllEEZNS1_25segmented_radix_sort_implIS3_Lb0EPKlPlS8_S9_N2at6native12_GLOBAL__N_18offset_tEEE10hipError_tPvRmT1_PNSt15iterator_traitsISH_E10value_typeET2_T3_PNSI_ISN_E10value_typeET4_jRbjT5_ST_jjP12ihipStream_tbEUlT_E1_NS1_11comp_targetILNS1_3genE10ELNS1_11target_archE1201ELNS1_3gpuE5ELNS1_3repE0EEENS1_59segmented_radix_sort_warp_sort_small_config_static_selectorELNS0_4arch9wavefront6targetE0EEEvSH_.uses_flat_scratch, 0
	.set _ZN7rocprim17ROCPRIM_400000_NS6detail17trampoline_kernelINS0_14default_configENS1_36segmented_radix_sort_config_selectorIllEEZNS1_25segmented_radix_sort_implIS3_Lb0EPKlPlS8_S9_N2at6native12_GLOBAL__N_18offset_tEEE10hipError_tPvRmT1_PNSt15iterator_traitsISH_E10value_typeET2_T3_PNSI_ISN_E10value_typeET4_jRbjT5_ST_jjP12ihipStream_tbEUlT_E1_NS1_11comp_targetILNS1_3genE10ELNS1_11target_archE1201ELNS1_3gpuE5ELNS1_3repE0EEENS1_59segmented_radix_sort_warp_sort_small_config_static_selectorELNS0_4arch9wavefront6targetE0EEEvSH_.has_dyn_sized_stack, 0
	.set _ZN7rocprim17ROCPRIM_400000_NS6detail17trampoline_kernelINS0_14default_configENS1_36segmented_radix_sort_config_selectorIllEEZNS1_25segmented_radix_sort_implIS3_Lb0EPKlPlS8_S9_N2at6native12_GLOBAL__N_18offset_tEEE10hipError_tPvRmT1_PNSt15iterator_traitsISH_E10value_typeET2_T3_PNSI_ISN_E10value_typeET4_jRbjT5_ST_jjP12ihipStream_tbEUlT_E1_NS1_11comp_targetILNS1_3genE10ELNS1_11target_archE1201ELNS1_3gpuE5ELNS1_3repE0EEENS1_59segmented_radix_sort_warp_sort_small_config_static_selectorELNS0_4arch9wavefront6targetE0EEEvSH_.has_recursion, 0
	.set _ZN7rocprim17ROCPRIM_400000_NS6detail17trampoline_kernelINS0_14default_configENS1_36segmented_radix_sort_config_selectorIllEEZNS1_25segmented_radix_sort_implIS3_Lb0EPKlPlS8_S9_N2at6native12_GLOBAL__N_18offset_tEEE10hipError_tPvRmT1_PNSt15iterator_traitsISH_E10value_typeET2_T3_PNSI_ISN_E10value_typeET4_jRbjT5_ST_jjP12ihipStream_tbEUlT_E1_NS1_11comp_targetILNS1_3genE10ELNS1_11target_archE1201ELNS1_3gpuE5ELNS1_3repE0EEENS1_59segmented_radix_sort_warp_sort_small_config_static_selectorELNS0_4arch9wavefront6targetE0EEEvSH_.has_indirect_call, 0
	.section	.AMDGPU.csdata,"",@progbits
; Kernel info:
; codeLenInByte = 0
; TotalNumSgprs: 0
; NumVgprs: 0
; ScratchSize: 0
; MemoryBound: 0
; FloatMode: 240
; IeeeMode: 1
; LDSByteSize: 0 bytes/workgroup (compile time only)
; SGPRBlocks: 0
; VGPRBlocks: 0
; NumSGPRsForWavesPerEU: 1
; NumVGPRsForWavesPerEU: 1
; Occupancy: 16
; WaveLimiterHint : 0
; COMPUTE_PGM_RSRC2:SCRATCH_EN: 0
; COMPUTE_PGM_RSRC2:USER_SGPR: 6
; COMPUTE_PGM_RSRC2:TRAP_HANDLER: 0
; COMPUTE_PGM_RSRC2:TGID_X_EN: 1
; COMPUTE_PGM_RSRC2:TGID_Y_EN: 0
; COMPUTE_PGM_RSRC2:TGID_Z_EN: 0
; COMPUTE_PGM_RSRC2:TIDIG_COMP_CNT: 0
	.section	.text._ZN7rocprim17ROCPRIM_400000_NS6detail17trampoline_kernelINS0_14default_configENS1_36segmented_radix_sort_config_selectorIllEEZNS1_25segmented_radix_sort_implIS3_Lb0EPKlPlS8_S9_N2at6native12_GLOBAL__N_18offset_tEEE10hipError_tPvRmT1_PNSt15iterator_traitsISH_E10value_typeET2_T3_PNSI_ISN_E10value_typeET4_jRbjT5_ST_jjP12ihipStream_tbEUlT_E1_NS1_11comp_targetILNS1_3genE10ELNS1_11target_archE1200ELNS1_3gpuE4ELNS1_3repE0EEENS1_59segmented_radix_sort_warp_sort_small_config_static_selectorELNS0_4arch9wavefront6targetE0EEEvSH_,"axG",@progbits,_ZN7rocprim17ROCPRIM_400000_NS6detail17trampoline_kernelINS0_14default_configENS1_36segmented_radix_sort_config_selectorIllEEZNS1_25segmented_radix_sort_implIS3_Lb0EPKlPlS8_S9_N2at6native12_GLOBAL__N_18offset_tEEE10hipError_tPvRmT1_PNSt15iterator_traitsISH_E10value_typeET2_T3_PNSI_ISN_E10value_typeET4_jRbjT5_ST_jjP12ihipStream_tbEUlT_E1_NS1_11comp_targetILNS1_3genE10ELNS1_11target_archE1200ELNS1_3gpuE4ELNS1_3repE0EEENS1_59segmented_radix_sort_warp_sort_small_config_static_selectorELNS0_4arch9wavefront6targetE0EEEvSH_,comdat
	.globl	_ZN7rocprim17ROCPRIM_400000_NS6detail17trampoline_kernelINS0_14default_configENS1_36segmented_radix_sort_config_selectorIllEEZNS1_25segmented_radix_sort_implIS3_Lb0EPKlPlS8_S9_N2at6native12_GLOBAL__N_18offset_tEEE10hipError_tPvRmT1_PNSt15iterator_traitsISH_E10value_typeET2_T3_PNSI_ISN_E10value_typeET4_jRbjT5_ST_jjP12ihipStream_tbEUlT_E1_NS1_11comp_targetILNS1_3genE10ELNS1_11target_archE1200ELNS1_3gpuE4ELNS1_3repE0EEENS1_59segmented_radix_sort_warp_sort_small_config_static_selectorELNS0_4arch9wavefront6targetE0EEEvSH_ ; -- Begin function _ZN7rocprim17ROCPRIM_400000_NS6detail17trampoline_kernelINS0_14default_configENS1_36segmented_radix_sort_config_selectorIllEEZNS1_25segmented_radix_sort_implIS3_Lb0EPKlPlS8_S9_N2at6native12_GLOBAL__N_18offset_tEEE10hipError_tPvRmT1_PNSt15iterator_traitsISH_E10value_typeET2_T3_PNSI_ISN_E10value_typeET4_jRbjT5_ST_jjP12ihipStream_tbEUlT_E1_NS1_11comp_targetILNS1_3genE10ELNS1_11target_archE1200ELNS1_3gpuE4ELNS1_3repE0EEENS1_59segmented_radix_sort_warp_sort_small_config_static_selectorELNS0_4arch9wavefront6targetE0EEEvSH_
	.p2align	8
	.type	_ZN7rocprim17ROCPRIM_400000_NS6detail17trampoline_kernelINS0_14default_configENS1_36segmented_radix_sort_config_selectorIllEEZNS1_25segmented_radix_sort_implIS3_Lb0EPKlPlS8_S9_N2at6native12_GLOBAL__N_18offset_tEEE10hipError_tPvRmT1_PNSt15iterator_traitsISH_E10value_typeET2_T3_PNSI_ISN_E10value_typeET4_jRbjT5_ST_jjP12ihipStream_tbEUlT_E1_NS1_11comp_targetILNS1_3genE10ELNS1_11target_archE1200ELNS1_3gpuE4ELNS1_3repE0EEENS1_59segmented_radix_sort_warp_sort_small_config_static_selectorELNS0_4arch9wavefront6targetE0EEEvSH_,@function
_ZN7rocprim17ROCPRIM_400000_NS6detail17trampoline_kernelINS0_14default_configENS1_36segmented_radix_sort_config_selectorIllEEZNS1_25segmented_radix_sort_implIS3_Lb0EPKlPlS8_S9_N2at6native12_GLOBAL__N_18offset_tEEE10hipError_tPvRmT1_PNSt15iterator_traitsISH_E10value_typeET2_T3_PNSI_ISN_E10value_typeET4_jRbjT5_ST_jjP12ihipStream_tbEUlT_E1_NS1_11comp_targetILNS1_3genE10ELNS1_11target_archE1200ELNS1_3gpuE4ELNS1_3repE0EEENS1_59segmented_radix_sort_warp_sort_small_config_static_selectorELNS0_4arch9wavefront6targetE0EEEvSH_: ; @_ZN7rocprim17ROCPRIM_400000_NS6detail17trampoline_kernelINS0_14default_configENS1_36segmented_radix_sort_config_selectorIllEEZNS1_25segmented_radix_sort_implIS3_Lb0EPKlPlS8_S9_N2at6native12_GLOBAL__N_18offset_tEEE10hipError_tPvRmT1_PNSt15iterator_traitsISH_E10value_typeET2_T3_PNSI_ISN_E10value_typeET4_jRbjT5_ST_jjP12ihipStream_tbEUlT_E1_NS1_11comp_targetILNS1_3genE10ELNS1_11target_archE1200ELNS1_3gpuE4ELNS1_3repE0EEENS1_59segmented_radix_sort_warp_sort_small_config_static_selectorELNS0_4arch9wavefront6targetE0EEEvSH_
; %bb.0:
	.section	.rodata,"a",@progbits
	.p2align	6, 0x0
	.amdhsa_kernel _ZN7rocprim17ROCPRIM_400000_NS6detail17trampoline_kernelINS0_14default_configENS1_36segmented_radix_sort_config_selectorIllEEZNS1_25segmented_radix_sort_implIS3_Lb0EPKlPlS8_S9_N2at6native12_GLOBAL__N_18offset_tEEE10hipError_tPvRmT1_PNSt15iterator_traitsISH_E10value_typeET2_T3_PNSI_ISN_E10value_typeET4_jRbjT5_ST_jjP12ihipStream_tbEUlT_E1_NS1_11comp_targetILNS1_3genE10ELNS1_11target_archE1200ELNS1_3gpuE4ELNS1_3repE0EEENS1_59segmented_radix_sort_warp_sort_small_config_static_selectorELNS0_4arch9wavefront6targetE0EEEvSH_
		.amdhsa_group_segment_fixed_size 0
		.amdhsa_private_segment_fixed_size 0
		.amdhsa_kernarg_size 88
		.amdhsa_user_sgpr_count 6
		.amdhsa_user_sgpr_private_segment_buffer 1
		.amdhsa_user_sgpr_dispatch_ptr 0
		.amdhsa_user_sgpr_queue_ptr 0
		.amdhsa_user_sgpr_kernarg_segment_ptr 1
		.amdhsa_user_sgpr_dispatch_id 0
		.amdhsa_user_sgpr_flat_scratch_init 0
		.amdhsa_user_sgpr_private_segment_size 0
		.amdhsa_wavefront_size32 1
		.amdhsa_uses_dynamic_stack 0
		.amdhsa_system_sgpr_private_segment_wavefront_offset 0
		.amdhsa_system_sgpr_workgroup_id_x 1
		.amdhsa_system_sgpr_workgroup_id_y 0
		.amdhsa_system_sgpr_workgroup_id_z 0
		.amdhsa_system_sgpr_workgroup_info 0
		.amdhsa_system_vgpr_workitem_id 0
		.amdhsa_next_free_vgpr 1
		.amdhsa_next_free_sgpr 1
		.amdhsa_reserve_vcc 0
		.amdhsa_reserve_flat_scratch 0
		.amdhsa_float_round_mode_32 0
		.amdhsa_float_round_mode_16_64 0
		.amdhsa_float_denorm_mode_32 3
		.amdhsa_float_denorm_mode_16_64 3
		.amdhsa_dx10_clamp 1
		.amdhsa_ieee_mode 1
		.amdhsa_fp16_overflow 0
		.amdhsa_workgroup_processor_mode 1
		.amdhsa_memory_ordered 1
		.amdhsa_forward_progress 1
		.amdhsa_shared_vgpr_count 0
		.amdhsa_exception_fp_ieee_invalid_op 0
		.amdhsa_exception_fp_denorm_src 0
		.amdhsa_exception_fp_ieee_div_zero 0
		.amdhsa_exception_fp_ieee_overflow 0
		.amdhsa_exception_fp_ieee_underflow 0
		.amdhsa_exception_fp_ieee_inexact 0
		.amdhsa_exception_int_div_zero 0
	.end_amdhsa_kernel
	.section	.text._ZN7rocprim17ROCPRIM_400000_NS6detail17trampoline_kernelINS0_14default_configENS1_36segmented_radix_sort_config_selectorIllEEZNS1_25segmented_radix_sort_implIS3_Lb0EPKlPlS8_S9_N2at6native12_GLOBAL__N_18offset_tEEE10hipError_tPvRmT1_PNSt15iterator_traitsISH_E10value_typeET2_T3_PNSI_ISN_E10value_typeET4_jRbjT5_ST_jjP12ihipStream_tbEUlT_E1_NS1_11comp_targetILNS1_3genE10ELNS1_11target_archE1200ELNS1_3gpuE4ELNS1_3repE0EEENS1_59segmented_radix_sort_warp_sort_small_config_static_selectorELNS0_4arch9wavefront6targetE0EEEvSH_,"axG",@progbits,_ZN7rocprim17ROCPRIM_400000_NS6detail17trampoline_kernelINS0_14default_configENS1_36segmented_radix_sort_config_selectorIllEEZNS1_25segmented_radix_sort_implIS3_Lb0EPKlPlS8_S9_N2at6native12_GLOBAL__N_18offset_tEEE10hipError_tPvRmT1_PNSt15iterator_traitsISH_E10value_typeET2_T3_PNSI_ISN_E10value_typeET4_jRbjT5_ST_jjP12ihipStream_tbEUlT_E1_NS1_11comp_targetILNS1_3genE10ELNS1_11target_archE1200ELNS1_3gpuE4ELNS1_3repE0EEENS1_59segmented_radix_sort_warp_sort_small_config_static_selectorELNS0_4arch9wavefront6targetE0EEEvSH_,comdat
.Lfunc_end827:
	.size	_ZN7rocprim17ROCPRIM_400000_NS6detail17trampoline_kernelINS0_14default_configENS1_36segmented_radix_sort_config_selectorIllEEZNS1_25segmented_radix_sort_implIS3_Lb0EPKlPlS8_S9_N2at6native12_GLOBAL__N_18offset_tEEE10hipError_tPvRmT1_PNSt15iterator_traitsISH_E10value_typeET2_T3_PNSI_ISN_E10value_typeET4_jRbjT5_ST_jjP12ihipStream_tbEUlT_E1_NS1_11comp_targetILNS1_3genE10ELNS1_11target_archE1200ELNS1_3gpuE4ELNS1_3repE0EEENS1_59segmented_radix_sort_warp_sort_small_config_static_selectorELNS0_4arch9wavefront6targetE0EEEvSH_, .Lfunc_end827-_ZN7rocprim17ROCPRIM_400000_NS6detail17trampoline_kernelINS0_14default_configENS1_36segmented_radix_sort_config_selectorIllEEZNS1_25segmented_radix_sort_implIS3_Lb0EPKlPlS8_S9_N2at6native12_GLOBAL__N_18offset_tEEE10hipError_tPvRmT1_PNSt15iterator_traitsISH_E10value_typeET2_T3_PNSI_ISN_E10value_typeET4_jRbjT5_ST_jjP12ihipStream_tbEUlT_E1_NS1_11comp_targetILNS1_3genE10ELNS1_11target_archE1200ELNS1_3gpuE4ELNS1_3repE0EEENS1_59segmented_radix_sort_warp_sort_small_config_static_selectorELNS0_4arch9wavefront6targetE0EEEvSH_
                                        ; -- End function
	.set _ZN7rocprim17ROCPRIM_400000_NS6detail17trampoline_kernelINS0_14default_configENS1_36segmented_radix_sort_config_selectorIllEEZNS1_25segmented_radix_sort_implIS3_Lb0EPKlPlS8_S9_N2at6native12_GLOBAL__N_18offset_tEEE10hipError_tPvRmT1_PNSt15iterator_traitsISH_E10value_typeET2_T3_PNSI_ISN_E10value_typeET4_jRbjT5_ST_jjP12ihipStream_tbEUlT_E1_NS1_11comp_targetILNS1_3genE10ELNS1_11target_archE1200ELNS1_3gpuE4ELNS1_3repE0EEENS1_59segmented_radix_sort_warp_sort_small_config_static_selectorELNS0_4arch9wavefront6targetE0EEEvSH_.num_vgpr, 0
	.set _ZN7rocprim17ROCPRIM_400000_NS6detail17trampoline_kernelINS0_14default_configENS1_36segmented_radix_sort_config_selectorIllEEZNS1_25segmented_radix_sort_implIS3_Lb0EPKlPlS8_S9_N2at6native12_GLOBAL__N_18offset_tEEE10hipError_tPvRmT1_PNSt15iterator_traitsISH_E10value_typeET2_T3_PNSI_ISN_E10value_typeET4_jRbjT5_ST_jjP12ihipStream_tbEUlT_E1_NS1_11comp_targetILNS1_3genE10ELNS1_11target_archE1200ELNS1_3gpuE4ELNS1_3repE0EEENS1_59segmented_radix_sort_warp_sort_small_config_static_selectorELNS0_4arch9wavefront6targetE0EEEvSH_.num_agpr, 0
	.set _ZN7rocprim17ROCPRIM_400000_NS6detail17trampoline_kernelINS0_14default_configENS1_36segmented_radix_sort_config_selectorIllEEZNS1_25segmented_radix_sort_implIS3_Lb0EPKlPlS8_S9_N2at6native12_GLOBAL__N_18offset_tEEE10hipError_tPvRmT1_PNSt15iterator_traitsISH_E10value_typeET2_T3_PNSI_ISN_E10value_typeET4_jRbjT5_ST_jjP12ihipStream_tbEUlT_E1_NS1_11comp_targetILNS1_3genE10ELNS1_11target_archE1200ELNS1_3gpuE4ELNS1_3repE0EEENS1_59segmented_radix_sort_warp_sort_small_config_static_selectorELNS0_4arch9wavefront6targetE0EEEvSH_.numbered_sgpr, 0
	.set _ZN7rocprim17ROCPRIM_400000_NS6detail17trampoline_kernelINS0_14default_configENS1_36segmented_radix_sort_config_selectorIllEEZNS1_25segmented_radix_sort_implIS3_Lb0EPKlPlS8_S9_N2at6native12_GLOBAL__N_18offset_tEEE10hipError_tPvRmT1_PNSt15iterator_traitsISH_E10value_typeET2_T3_PNSI_ISN_E10value_typeET4_jRbjT5_ST_jjP12ihipStream_tbEUlT_E1_NS1_11comp_targetILNS1_3genE10ELNS1_11target_archE1200ELNS1_3gpuE4ELNS1_3repE0EEENS1_59segmented_radix_sort_warp_sort_small_config_static_selectorELNS0_4arch9wavefront6targetE0EEEvSH_.num_named_barrier, 0
	.set _ZN7rocprim17ROCPRIM_400000_NS6detail17trampoline_kernelINS0_14default_configENS1_36segmented_radix_sort_config_selectorIllEEZNS1_25segmented_radix_sort_implIS3_Lb0EPKlPlS8_S9_N2at6native12_GLOBAL__N_18offset_tEEE10hipError_tPvRmT1_PNSt15iterator_traitsISH_E10value_typeET2_T3_PNSI_ISN_E10value_typeET4_jRbjT5_ST_jjP12ihipStream_tbEUlT_E1_NS1_11comp_targetILNS1_3genE10ELNS1_11target_archE1200ELNS1_3gpuE4ELNS1_3repE0EEENS1_59segmented_radix_sort_warp_sort_small_config_static_selectorELNS0_4arch9wavefront6targetE0EEEvSH_.private_seg_size, 0
	.set _ZN7rocprim17ROCPRIM_400000_NS6detail17trampoline_kernelINS0_14default_configENS1_36segmented_radix_sort_config_selectorIllEEZNS1_25segmented_radix_sort_implIS3_Lb0EPKlPlS8_S9_N2at6native12_GLOBAL__N_18offset_tEEE10hipError_tPvRmT1_PNSt15iterator_traitsISH_E10value_typeET2_T3_PNSI_ISN_E10value_typeET4_jRbjT5_ST_jjP12ihipStream_tbEUlT_E1_NS1_11comp_targetILNS1_3genE10ELNS1_11target_archE1200ELNS1_3gpuE4ELNS1_3repE0EEENS1_59segmented_radix_sort_warp_sort_small_config_static_selectorELNS0_4arch9wavefront6targetE0EEEvSH_.uses_vcc, 0
	.set _ZN7rocprim17ROCPRIM_400000_NS6detail17trampoline_kernelINS0_14default_configENS1_36segmented_radix_sort_config_selectorIllEEZNS1_25segmented_radix_sort_implIS3_Lb0EPKlPlS8_S9_N2at6native12_GLOBAL__N_18offset_tEEE10hipError_tPvRmT1_PNSt15iterator_traitsISH_E10value_typeET2_T3_PNSI_ISN_E10value_typeET4_jRbjT5_ST_jjP12ihipStream_tbEUlT_E1_NS1_11comp_targetILNS1_3genE10ELNS1_11target_archE1200ELNS1_3gpuE4ELNS1_3repE0EEENS1_59segmented_radix_sort_warp_sort_small_config_static_selectorELNS0_4arch9wavefront6targetE0EEEvSH_.uses_flat_scratch, 0
	.set _ZN7rocprim17ROCPRIM_400000_NS6detail17trampoline_kernelINS0_14default_configENS1_36segmented_radix_sort_config_selectorIllEEZNS1_25segmented_radix_sort_implIS3_Lb0EPKlPlS8_S9_N2at6native12_GLOBAL__N_18offset_tEEE10hipError_tPvRmT1_PNSt15iterator_traitsISH_E10value_typeET2_T3_PNSI_ISN_E10value_typeET4_jRbjT5_ST_jjP12ihipStream_tbEUlT_E1_NS1_11comp_targetILNS1_3genE10ELNS1_11target_archE1200ELNS1_3gpuE4ELNS1_3repE0EEENS1_59segmented_radix_sort_warp_sort_small_config_static_selectorELNS0_4arch9wavefront6targetE0EEEvSH_.has_dyn_sized_stack, 0
	.set _ZN7rocprim17ROCPRIM_400000_NS6detail17trampoline_kernelINS0_14default_configENS1_36segmented_radix_sort_config_selectorIllEEZNS1_25segmented_radix_sort_implIS3_Lb0EPKlPlS8_S9_N2at6native12_GLOBAL__N_18offset_tEEE10hipError_tPvRmT1_PNSt15iterator_traitsISH_E10value_typeET2_T3_PNSI_ISN_E10value_typeET4_jRbjT5_ST_jjP12ihipStream_tbEUlT_E1_NS1_11comp_targetILNS1_3genE10ELNS1_11target_archE1200ELNS1_3gpuE4ELNS1_3repE0EEENS1_59segmented_radix_sort_warp_sort_small_config_static_selectorELNS0_4arch9wavefront6targetE0EEEvSH_.has_recursion, 0
	.set _ZN7rocprim17ROCPRIM_400000_NS6detail17trampoline_kernelINS0_14default_configENS1_36segmented_radix_sort_config_selectorIllEEZNS1_25segmented_radix_sort_implIS3_Lb0EPKlPlS8_S9_N2at6native12_GLOBAL__N_18offset_tEEE10hipError_tPvRmT1_PNSt15iterator_traitsISH_E10value_typeET2_T3_PNSI_ISN_E10value_typeET4_jRbjT5_ST_jjP12ihipStream_tbEUlT_E1_NS1_11comp_targetILNS1_3genE10ELNS1_11target_archE1200ELNS1_3gpuE4ELNS1_3repE0EEENS1_59segmented_radix_sort_warp_sort_small_config_static_selectorELNS0_4arch9wavefront6targetE0EEEvSH_.has_indirect_call, 0
	.section	.AMDGPU.csdata,"",@progbits
; Kernel info:
; codeLenInByte = 0
; TotalNumSgprs: 0
; NumVgprs: 0
; ScratchSize: 0
; MemoryBound: 0
; FloatMode: 240
; IeeeMode: 1
; LDSByteSize: 0 bytes/workgroup (compile time only)
; SGPRBlocks: 0
; VGPRBlocks: 0
; NumSGPRsForWavesPerEU: 1
; NumVGPRsForWavesPerEU: 1
; Occupancy: 16
; WaveLimiterHint : 0
; COMPUTE_PGM_RSRC2:SCRATCH_EN: 0
; COMPUTE_PGM_RSRC2:USER_SGPR: 6
; COMPUTE_PGM_RSRC2:TRAP_HANDLER: 0
; COMPUTE_PGM_RSRC2:TGID_X_EN: 1
; COMPUTE_PGM_RSRC2:TGID_Y_EN: 0
; COMPUTE_PGM_RSRC2:TGID_Z_EN: 0
; COMPUTE_PGM_RSRC2:TIDIG_COMP_CNT: 0
	.section	.text._ZN7rocprim17ROCPRIM_400000_NS6detail17trampoline_kernelINS0_14default_configENS1_36segmented_radix_sort_config_selectorIllEEZNS1_25segmented_radix_sort_implIS3_Lb0EPKlPlS8_S9_N2at6native12_GLOBAL__N_18offset_tEEE10hipError_tPvRmT1_PNSt15iterator_traitsISH_E10value_typeET2_T3_PNSI_ISN_E10value_typeET4_jRbjT5_ST_jjP12ihipStream_tbEUlT_E1_NS1_11comp_targetILNS1_3genE9ELNS1_11target_archE1100ELNS1_3gpuE3ELNS1_3repE0EEENS1_59segmented_radix_sort_warp_sort_small_config_static_selectorELNS0_4arch9wavefront6targetE0EEEvSH_,"axG",@progbits,_ZN7rocprim17ROCPRIM_400000_NS6detail17trampoline_kernelINS0_14default_configENS1_36segmented_radix_sort_config_selectorIllEEZNS1_25segmented_radix_sort_implIS3_Lb0EPKlPlS8_S9_N2at6native12_GLOBAL__N_18offset_tEEE10hipError_tPvRmT1_PNSt15iterator_traitsISH_E10value_typeET2_T3_PNSI_ISN_E10value_typeET4_jRbjT5_ST_jjP12ihipStream_tbEUlT_E1_NS1_11comp_targetILNS1_3genE9ELNS1_11target_archE1100ELNS1_3gpuE3ELNS1_3repE0EEENS1_59segmented_radix_sort_warp_sort_small_config_static_selectorELNS0_4arch9wavefront6targetE0EEEvSH_,comdat
	.globl	_ZN7rocprim17ROCPRIM_400000_NS6detail17trampoline_kernelINS0_14default_configENS1_36segmented_radix_sort_config_selectorIllEEZNS1_25segmented_radix_sort_implIS3_Lb0EPKlPlS8_S9_N2at6native12_GLOBAL__N_18offset_tEEE10hipError_tPvRmT1_PNSt15iterator_traitsISH_E10value_typeET2_T3_PNSI_ISN_E10value_typeET4_jRbjT5_ST_jjP12ihipStream_tbEUlT_E1_NS1_11comp_targetILNS1_3genE9ELNS1_11target_archE1100ELNS1_3gpuE3ELNS1_3repE0EEENS1_59segmented_radix_sort_warp_sort_small_config_static_selectorELNS0_4arch9wavefront6targetE0EEEvSH_ ; -- Begin function _ZN7rocprim17ROCPRIM_400000_NS6detail17trampoline_kernelINS0_14default_configENS1_36segmented_radix_sort_config_selectorIllEEZNS1_25segmented_radix_sort_implIS3_Lb0EPKlPlS8_S9_N2at6native12_GLOBAL__N_18offset_tEEE10hipError_tPvRmT1_PNSt15iterator_traitsISH_E10value_typeET2_T3_PNSI_ISN_E10value_typeET4_jRbjT5_ST_jjP12ihipStream_tbEUlT_E1_NS1_11comp_targetILNS1_3genE9ELNS1_11target_archE1100ELNS1_3gpuE3ELNS1_3repE0EEENS1_59segmented_radix_sort_warp_sort_small_config_static_selectorELNS0_4arch9wavefront6targetE0EEEvSH_
	.p2align	8
	.type	_ZN7rocprim17ROCPRIM_400000_NS6detail17trampoline_kernelINS0_14default_configENS1_36segmented_radix_sort_config_selectorIllEEZNS1_25segmented_radix_sort_implIS3_Lb0EPKlPlS8_S9_N2at6native12_GLOBAL__N_18offset_tEEE10hipError_tPvRmT1_PNSt15iterator_traitsISH_E10value_typeET2_T3_PNSI_ISN_E10value_typeET4_jRbjT5_ST_jjP12ihipStream_tbEUlT_E1_NS1_11comp_targetILNS1_3genE9ELNS1_11target_archE1100ELNS1_3gpuE3ELNS1_3repE0EEENS1_59segmented_radix_sort_warp_sort_small_config_static_selectorELNS0_4arch9wavefront6targetE0EEEvSH_,@function
_ZN7rocprim17ROCPRIM_400000_NS6detail17trampoline_kernelINS0_14default_configENS1_36segmented_radix_sort_config_selectorIllEEZNS1_25segmented_radix_sort_implIS3_Lb0EPKlPlS8_S9_N2at6native12_GLOBAL__N_18offset_tEEE10hipError_tPvRmT1_PNSt15iterator_traitsISH_E10value_typeET2_T3_PNSI_ISN_E10value_typeET4_jRbjT5_ST_jjP12ihipStream_tbEUlT_E1_NS1_11comp_targetILNS1_3genE9ELNS1_11target_archE1100ELNS1_3gpuE3ELNS1_3repE0EEENS1_59segmented_radix_sort_warp_sort_small_config_static_selectorELNS0_4arch9wavefront6targetE0EEEvSH_: ; @_ZN7rocprim17ROCPRIM_400000_NS6detail17trampoline_kernelINS0_14default_configENS1_36segmented_radix_sort_config_selectorIllEEZNS1_25segmented_radix_sort_implIS3_Lb0EPKlPlS8_S9_N2at6native12_GLOBAL__N_18offset_tEEE10hipError_tPvRmT1_PNSt15iterator_traitsISH_E10value_typeET2_T3_PNSI_ISN_E10value_typeET4_jRbjT5_ST_jjP12ihipStream_tbEUlT_E1_NS1_11comp_targetILNS1_3genE9ELNS1_11target_archE1100ELNS1_3gpuE3ELNS1_3repE0EEENS1_59segmented_radix_sort_warp_sort_small_config_static_selectorELNS0_4arch9wavefront6targetE0EEEvSH_
; %bb.0:
	.section	.rodata,"a",@progbits
	.p2align	6, 0x0
	.amdhsa_kernel _ZN7rocprim17ROCPRIM_400000_NS6detail17trampoline_kernelINS0_14default_configENS1_36segmented_radix_sort_config_selectorIllEEZNS1_25segmented_radix_sort_implIS3_Lb0EPKlPlS8_S9_N2at6native12_GLOBAL__N_18offset_tEEE10hipError_tPvRmT1_PNSt15iterator_traitsISH_E10value_typeET2_T3_PNSI_ISN_E10value_typeET4_jRbjT5_ST_jjP12ihipStream_tbEUlT_E1_NS1_11comp_targetILNS1_3genE9ELNS1_11target_archE1100ELNS1_3gpuE3ELNS1_3repE0EEENS1_59segmented_radix_sort_warp_sort_small_config_static_selectorELNS0_4arch9wavefront6targetE0EEEvSH_
		.amdhsa_group_segment_fixed_size 0
		.amdhsa_private_segment_fixed_size 0
		.amdhsa_kernarg_size 88
		.amdhsa_user_sgpr_count 6
		.amdhsa_user_sgpr_private_segment_buffer 1
		.amdhsa_user_sgpr_dispatch_ptr 0
		.amdhsa_user_sgpr_queue_ptr 0
		.amdhsa_user_sgpr_kernarg_segment_ptr 1
		.amdhsa_user_sgpr_dispatch_id 0
		.amdhsa_user_sgpr_flat_scratch_init 0
		.amdhsa_user_sgpr_private_segment_size 0
		.amdhsa_wavefront_size32 1
		.amdhsa_uses_dynamic_stack 0
		.amdhsa_system_sgpr_private_segment_wavefront_offset 0
		.amdhsa_system_sgpr_workgroup_id_x 1
		.amdhsa_system_sgpr_workgroup_id_y 0
		.amdhsa_system_sgpr_workgroup_id_z 0
		.amdhsa_system_sgpr_workgroup_info 0
		.amdhsa_system_vgpr_workitem_id 0
		.amdhsa_next_free_vgpr 1
		.amdhsa_next_free_sgpr 1
		.amdhsa_reserve_vcc 0
		.amdhsa_reserve_flat_scratch 0
		.amdhsa_float_round_mode_32 0
		.amdhsa_float_round_mode_16_64 0
		.amdhsa_float_denorm_mode_32 3
		.amdhsa_float_denorm_mode_16_64 3
		.amdhsa_dx10_clamp 1
		.amdhsa_ieee_mode 1
		.amdhsa_fp16_overflow 0
		.amdhsa_workgroup_processor_mode 1
		.amdhsa_memory_ordered 1
		.amdhsa_forward_progress 1
		.amdhsa_shared_vgpr_count 0
		.amdhsa_exception_fp_ieee_invalid_op 0
		.amdhsa_exception_fp_denorm_src 0
		.amdhsa_exception_fp_ieee_div_zero 0
		.amdhsa_exception_fp_ieee_overflow 0
		.amdhsa_exception_fp_ieee_underflow 0
		.amdhsa_exception_fp_ieee_inexact 0
		.amdhsa_exception_int_div_zero 0
	.end_amdhsa_kernel
	.section	.text._ZN7rocprim17ROCPRIM_400000_NS6detail17trampoline_kernelINS0_14default_configENS1_36segmented_radix_sort_config_selectorIllEEZNS1_25segmented_radix_sort_implIS3_Lb0EPKlPlS8_S9_N2at6native12_GLOBAL__N_18offset_tEEE10hipError_tPvRmT1_PNSt15iterator_traitsISH_E10value_typeET2_T3_PNSI_ISN_E10value_typeET4_jRbjT5_ST_jjP12ihipStream_tbEUlT_E1_NS1_11comp_targetILNS1_3genE9ELNS1_11target_archE1100ELNS1_3gpuE3ELNS1_3repE0EEENS1_59segmented_radix_sort_warp_sort_small_config_static_selectorELNS0_4arch9wavefront6targetE0EEEvSH_,"axG",@progbits,_ZN7rocprim17ROCPRIM_400000_NS6detail17trampoline_kernelINS0_14default_configENS1_36segmented_radix_sort_config_selectorIllEEZNS1_25segmented_radix_sort_implIS3_Lb0EPKlPlS8_S9_N2at6native12_GLOBAL__N_18offset_tEEE10hipError_tPvRmT1_PNSt15iterator_traitsISH_E10value_typeET2_T3_PNSI_ISN_E10value_typeET4_jRbjT5_ST_jjP12ihipStream_tbEUlT_E1_NS1_11comp_targetILNS1_3genE9ELNS1_11target_archE1100ELNS1_3gpuE3ELNS1_3repE0EEENS1_59segmented_radix_sort_warp_sort_small_config_static_selectorELNS0_4arch9wavefront6targetE0EEEvSH_,comdat
.Lfunc_end828:
	.size	_ZN7rocprim17ROCPRIM_400000_NS6detail17trampoline_kernelINS0_14default_configENS1_36segmented_radix_sort_config_selectorIllEEZNS1_25segmented_radix_sort_implIS3_Lb0EPKlPlS8_S9_N2at6native12_GLOBAL__N_18offset_tEEE10hipError_tPvRmT1_PNSt15iterator_traitsISH_E10value_typeET2_T3_PNSI_ISN_E10value_typeET4_jRbjT5_ST_jjP12ihipStream_tbEUlT_E1_NS1_11comp_targetILNS1_3genE9ELNS1_11target_archE1100ELNS1_3gpuE3ELNS1_3repE0EEENS1_59segmented_radix_sort_warp_sort_small_config_static_selectorELNS0_4arch9wavefront6targetE0EEEvSH_, .Lfunc_end828-_ZN7rocprim17ROCPRIM_400000_NS6detail17trampoline_kernelINS0_14default_configENS1_36segmented_radix_sort_config_selectorIllEEZNS1_25segmented_radix_sort_implIS3_Lb0EPKlPlS8_S9_N2at6native12_GLOBAL__N_18offset_tEEE10hipError_tPvRmT1_PNSt15iterator_traitsISH_E10value_typeET2_T3_PNSI_ISN_E10value_typeET4_jRbjT5_ST_jjP12ihipStream_tbEUlT_E1_NS1_11comp_targetILNS1_3genE9ELNS1_11target_archE1100ELNS1_3gpuE3ELNS1_3repE0EEENS1_59segmented_radix_sort_warp_sort_small_config_static_selectorELNS0_4arch9wavefront6targetE0EEEvSH_
                                        ; -- End function
	.set _ZN7rocprim17ROCPRIM_400000_NS6detail17trampoline_kernelINS0_14default_configENS1_36segmented_radix_sort_config_selectorIllEEZNS1_25segmented_radix_sort_implIS3_Lb0EPKlPlS8_S9_N2at6native12_GLOBAL__N_18offset_tEEE10hipError_tPvRmT1_PNSt15iterator_traitsISH_E10value_typeET2_T3_PNSI_ISN_E10value_typeET4_jRbjT5_ST_jjP12ihipStream_tbEUlT_E1_NS1_11comp_targetILNS1_3genE9ELNS1_11target_archE1100ELNS1_3gpuE3ELNS1_3repE0EEENS1_59segmented_radix_sort_warp_sort_small_config_static_selectorELNS0_4arch9wavefront6targetE0EEEvSH_.num_vgpr, 0
	.set _ZN7rocprim17ROCPRIM_400000_NS6detail17trampoline_kernelINS0_14default_configENS1_36segmented_radix_sort_config_selectorIllEEZNS1_25segmented_radix_sort_implIS3_Lb0EPKlPlS8_S9_N2at6native12_GLOBAL__N_18offset_tEEE10hipError_tPvRmT1_PNSt15iterator_traitsISH_E10value_typeET2_T3_PNSI_ISN_E10value_typeET4_jRbjT5_ST_jjP12ihipStream_tbEUlT_E1_NS1_11comp_targetILNS1_3genE9ELNS1_11target_archE1100ELNS1_3gpuE3ELNS1_3repE0EEENS1_59segmented_radix_sort_warp_sort_small_config_static_selectorELNS0_4arch9wavefront6targetE0EEEvSH_.num_agpr, 0
	.set _ZN7rocprim17ROCPRIM_400000_NS6detail17trampoline_kernelINS0_14default_configENS1_36segmented_radix_sort_config_selectorIllEEZNS1_25segmented_radix_sort_implIS3_Lb0EPKlPlS8_S9_N2at6native12_GLOBAL__N_18offset_tEEE10hipError_tPvRmT1_PNSt15iterator_traitsISH_E10value_typeET2_T3_PNSI_ISN_E10value_typeET4_jRbjT5_ST_jjP12ihipStream_tbEUlT_E1_NS1_11comp_targetILNS1_3genE9ELNS1_11target_archE1100ELNS1_3gpuE3ELNS1_3repE0EEENS1_59segmented_radix_sort_warp_sort_small_config_static_selectorELNS0_4arch9wavefront6targetE0EEEvSH_.numbered_sgpr, 0
	.set _ZN7rocprim17ROCPRIM_400000_NS6detail17trampoline_kernelINS0_14default_configENS1_36segmented_radix_sort_config_selectorIllEEZNS1_25segmented_radix_sort_implIS3_Lb0EPKlPlS8_S9_N2at6native12_GLOBAL__N_18offset_tEEE10hipError_tPvRmT1_PNSt15iterator_traitsISH_E10value_typeET2_T3_PNSI_ISN_E10value_typeET4_jRbjT5_ST_jjP12ihipStream_tbEUlT_E1_NS1_11comp_targetILNS1_3genE9ELNS1_11target_archE1100ELNS1_3gpuE3ELNS1_3repE0EEENS1_59segmented_radix_sort_warp_sort_small_config_static_selectorELNS0_4arch9wavefront6targetE0EEEvSH_.num_named_barrier, 0
	.set _ZN7rocprim17ROCPRIM_400000_NS6detail17trampoline_kernelINS0_14default_configENS1_36segmented_radix_sort_config_selectorIllEEZNS1_25segmented_radix_sort_implIS3_Lb0EPKlPlS8_S9_N2at6native12_GLOBAL__N_18offset_tEEE10hipError_tPvRmT1_PNSt15iterator_traitsISH_E10value_typeET2_T3_PNSI_ISN_E10value_typeET4_jRbjT5_ST_jjP12ihipStream_tbEUlT_E1_NS1_11comp_targetILNS1_3genE9ELNS1_11target_archE1100ELNS1_3gpuE3ELNS1_3repE0EEENS1_59segmented_radix_sort_warp_sort_small_config_static_selectorELNS0_4arch9wavefront6targetE0EEEvSH_.private_seg_size, 0
	.set _ZN7rocprim17ROCPRIM_400000_NS6detail17trampoline_kernelINS0_14default_configENS1_36segmented_radix_sort_config_selectorIllEEZNS1_25segmented_radix_sort_implIS3_Lb0EPKlPlS8_S9_N2at6native12_GLOBAL__N_18offset_tEEE10hipError_tPvRmT1_PNSt15iterator_traitsISH_E10value_typeET2_T3_PNSI_ISN_E10value_typeET4_jRbjT5_ST_jjP12ihipStream_tbEUlT_E1_NS1_11comp_targetILNS1_3genE9ELNS1_11target_archE1100ELNS1_3gpuE3ELNS1_3repE0EEENS1_59segmented_radix_sort_warp_sort_small_config_static_selectorELNS0_4arch9wavefront6targetE0EEEvSH_.uses_vcc, 0
	.set _ZN7rocprim17ROCPRIM_400000_NS6detail17trampoline_kernelINS0_14default_configENS1_36segmented_radix_sort_config_selectorIllEEZNS1_25segmented_radix_sort_implIS3_Lb0EPKlPlS8_S9_N2at6native12_GLOBAL__N_18offset_tEEE10hipError_tPvRmT1_PNSt15iterator_traitsISH_E10value_typeET2_T3_PNSI_ISN_E10value_typeET4_jRbjT5_ST_jjP12ihipStream_tbEUlT_E1_NS1_11comp_targetILNS1_3genE9ELNS1_11target_archE1100ELNS1_3gpuE3ELNS1_3repE0EEENS1_59segmented_radix_sort_warp_sort_small_config_static_selectorELNS0_4arch9wavefront6targetE0EEEvSH_.uses_flat_scratch, 0
	.set _ZN7rocprim17ROCPRIM_400000_NS6detail17trampoline_kernelINS0_14default_configENS1_36segmented_radix_sort_config_selectorIllEEZNS1_25segmented_radix_sort_implIS3_Lb0EPKlPlS8_S9_N2at6native12_GLOBAL__N_18offset_tEEE10hipError_tPvRmT1_PNSt15iterator_traitsISH_E10value_typeET2_T3_PNSI_ISN_E10value_typeET4_jRbjT5_ST_jjP12ihipStream_tbEUlT_E1_NS1_11comp_targetILNS1_3genE9ELNS1_11target_archE1100ELNS1_3gpuE3ELNS1_3repE0EEENS1_59segmented_radix_sort_warp_sort_small_config_static_selectorELNS0_4arch9wavefront6targetE0EEEvSH_.has_dyn_sized_stack, 0
	.set _ZN7rocprim17ROCPRIM_400000_NS6detail17trampoline_kernelINS0_14default_configENS1_36segmented_radix_sort_config_selectorIllEEZNS1_25segmented_radix_sort_implIS3_Lb0EPKlPlS8_S9_N2at6native12_GLOBAL__N_18offset_tEEE10hipError_tPvRmT1_PNSt15iterator_traitsISH_E10value_typeET2_T3_PNSI_ISN_E10value_typeET4_jRbjT5_ST_jjP12ihipStream_tbEUlT_E1_NS1_11comp_targetILNS1_3genE9ELNS1_11target_archE1100ELNS1_3gpuE3ELNS1_3repE0EEENS1_59segmented_radix_sort_warp_sort_small_config_static_selectorELNS0_4arch9wavefront6targetE0EEEvSH_.has_recursion, 0
	.set _ZN7rocprim17ROCPRIM_400000_NS6detail17trampoline_kernelINS0_14default_configENS1_36segmented_radix_sort_config_selectorIllEEZNS1_25segmented_radix_sort_implIS3_Lb0EPKlPlS8_S9_N2at6native12_GLOBAL__N_18offset_tEEE10hipError_tPvRmT1_PNSt15iterator_traitsISH_E10value_typeET2_T3_PNSI_ISN_E10value_typeET4_jRbjT5_ST_jjP12ihipStream_tbEUlT_E1_NS1_11comp_targetILNS1_3genE9ELNS1_11target_archE1100ELNS1_3gpuE3ELNS1_3repE0EEENS1_59segmented_radix_sort_warp_sort_small_config_static_selectorELNS0_4arch9wavefront6targetE0EEEvSH_.has_indirect_call, 0
	.section	.AMDGPU.csdata,"",@progbits
; Kernel info:
; codeLenInByte = 0
; TotalNumSgprs: 0
; NumVgprs: 0
; ScratchSize: 0
; MemoryBound: 0
; FloatMode: 240
; IeeeMode: 1
; LDSByteSize: 0 bytes/workgroup (compile time only)
; SGPRBlocks: 0
; VGPRBlocks: 0
; NumSGPRsForWavesPerEU: 1
; NumVGPRsForWavesPerEU: 1
; Occupancy: 16
; WaveLimiterHint : 0
; COMPUTE_PGM_RSRC2:SCRATCH_EN: 0
; COMPUTE_PGM_RSRC2:USER_SGPR: 6
; COMPUTE_PGM_RSRC2:TRAP_HANDLER: 0
; COMPUTE_PGM_RSRC2:TGID_X_EN: 1
; COMPUTE_PGM_RSRC2:TGID_Y_EN: 0
; COMPUTE_PGM_RSRC2:TGID_Z_EN: 0
; COMPUTE_PGM_RSRC2:TIDIG_COMP_CNT: 0
	.text
	.p2align	2                               ; -- Begin function _ZN7rocprim17ROCPRIM_400000_NS6detail26segmented_warp_sort_helperINS1_20WarpSortHelperConfigILj16ELj8ELj256EEEllLi256ELb0EvE4sortIPKlPlS8_S9_EEvT_T0_T1_T2_jjjjRNS5_12storage_typeE
	.type	_ZN7rocprim17ROCPRIM_400000_NS6detail26segmented_warp_sort_helperINS1_20WarpSortHelperConfigILj16ELj8ELj256EEEllLi256ELb0EvE4sortIPKlPlS8_S9_EEvT_T0_T1_T2_jjjjRNS5_12storage_typeE,@function
_ZN7rocprim17ROCPRIM_400000_NS6detail26segmented_warp_sort_helperINS1_20WarpSortHelperConfigILj16ELj8ELj256EEEllLi256ELb0EvE4sortIPKlPlS8_S9_EEvT_T0_T1_T2_jjjjRNS5_12storage_typeE: ; @_ZN7rocprim17ROCPRIM_400000_NS6detail26segmented_warp_sort_helperINS1_20WarpSortHelperConfigILj16ELj8ELj256EEEllLi256ELb0EvE4sortIPKlPlS8_S9_EEvT_T0_T1_T2_jjjjRNS5_12storage_typeE
; %bb.0:
	s_waitcnt vmcnt(0) expcnt(0) lgkmcnt(0)
	v_mov_b32_e32 v13, v9
	v_mbcnt_lo_u32_b32 v9, -1, 0
	v_mov_b32_e32 v24, -1
	v_bfrev_b32_e32 v25, -2
	v_sub_nc_u32_e32 v20, v13, v8
	v_lshlrev_b32_e32 v67, 3, v9
	v_mov_b32_e32 v9, 0
	v_and_b32_e32 v66, 0x78, v67
	v_lshlrev_b64 v[14:15], 3, v[8:9]
	v_lshlrev_b32_e32 v13, 3, v66
	v_add_co_u32 v0, vcc_lo, v0, v14
	v_add_co_ci_u32_e64 v1, null, v1, v15, vcc_lo
	v_add_co_u32 v16, vcc_lo, v0, v13
	v_add_co_ci_u32_e64 v17, null, 0, v1, vcc_lo
	v_mov_b32_e32 v0, v24
	v_cmp_lt_u32_e32 vcc_lo, v66, v20
	v_mov_b32_e32 v1, v25
	s_and_saveexec_b32 s4, vcc_lo
	s_cbranch_execz .LBB829_2
; %bb.1:
	flat_load_dwordx2 v[0:1], v[16:17]
.LBB829_2:
	s_or_b32 exec_lo, exec_lo, s4
	v_or_b32_e32 v8, 1, v66
	v_cmp_lt_u32_e64 s4, v8, v20
	s_and_saveexec_b32 s5, s4
	s_cbranch_execz .LBB829_4
; %bb.3:
	flat_load_dwordx2 v[24:25], v[16:17] offset:8
.LBB829_4:
	s_or_b32 exec_lo, exec_lo, s5
	v_mov_b32_e32 v38, -1
	v_or_b32_e32 v8, 2, v66
	v_bfrev_b32_e32 v39, -2
	v_mov_b32_e32 v32, v38
	v_cmp_lt_u32_e64 s5, v8, v20
	v_mov_b32_e32 v33, v39
	s_and_saveexec_b32 s6, s5
	s_cbranch_execz .LBB829_6
; %bb.5:
	flat_load_dwordx2 v[32:33], v[16:17] offset:16
.LBB829_6:
	s_or_b32 exec_lo, exec_lo, s6
	v_or_b32_e32 v8, 3, v66
	v_cmp_lt_u32_e64 s6, v8, v20
	s_and_saveexec_b32 s7, s6
	s_cbranch_execz .LBB829_8
; %bb.7:
	flat_load_dwordx2 v[38:39], v[16:17] offset:24
.LBB829_8:
	s_or_b32 exec_lo, exec_lo, s7
	v_bfrev_b32_e32 v19, -2
	v_or_b32_e32 v8, 4, v66
	v_mov_b32_e32 v18, -1
	v_mov_b32_e32 v37, v19
	v_cmp_lt_u32_e64 s7, v8, v20
	v_mov_b32_e32 v36, v18
	s_and_saveexec_b32 s10, s7
	s_cbranch_execz .LBB829_10
; %bb.9:
	flat_load_dwordx2 v[36:37], v[16:17] offset:32
.LBB829_10:
	s_or_b32 exec_lo, exec_lo, s10
	v_or_b32_e32 v8, 5, v66
	v_cmp_lt_u32_e64 s10, v8, v20
	s_and_saveexec_b32 s11, s10
	s_cbranch_execz .LBB829_12
; %bb.11:
	flat_load_dwordx2 v[18:19], v[16:17] offset:40
.LBB829_12:
	s_or_b32 exec_lo, exec_lo, s11
	v_bfrev_b32_e32 v9, -2
	v_or_b32_e32 v21, 6, v66
	v_mov_b32_e32 v8, -1
	v_mov_b32_e32 v51, v9
	v_cmp_lt_u32_e64 s11, v21, v20
	v_mov_b32_e32 v50, v8
	s_and_saveexec_b32 s14, s11
	s_cbranch_execz .LBB829_14
; %bb.13:
	flat_load_dwordx2 v[50:51], v[16:17] offset:48
.LBB829_14:
	s_or_b32 exec_lo, exec_lo, s14
	v_or_b32_e32 v21, 7, v66
	v_cmp_lt_u32_e64 s14, v21, v20
	s_and_saveexec_b32 s15, s14
	s_cbranch_execz .LBB829_16
; %bb.15:
	flat_load_dwordx2 v[8:9], v[16:17] offset:56
.LBB829_16:
	s_or_b32 exec_lo, exec_lo, s15
	v_add_co_u32 v4, s15, v4, v14
	v_add_co_ci_u32_e64 v5, null, v5, v15, s15
	v_add_co_u32 v52, s15, v4, v13
	v_add_co_ci_u32_e64 v53, null, 0, v5, s15
	; wave barrier
                                        ; implicit-def: $vgpr4_vgpr5
	s_and_saveexec_b32 s15, vcc_lo
	s_cbranch_execnz .LBB829_243
; %bb.17:
	s_or_b32 exec_lo, exec_lo, s15
                                        ; implicit-def: $vgpr20_vgpr21
	s_and_saveexec_b32 s15, s4
	s_cbranch_execnz .LBB829_244
.LBB829_18:
	s_or_b32 exec_lo, exec_lo, s15
                                        ; implicit-def: $vgpr22_vgpr23
	s_and_saveexec_b32 s15, s5
	s_cbranch_execnz .LBB829_245
.LBB829_19:
	s_or_b32 exec_lo, exec_lo, s15
                                        ; implicit-def: $vgpr26_vgpr27
	s_and_saveexec_b32 s15, s6
	s_cbranch_execnz .LBB829_246
.LBB829_20:
	s_or_b32 exec_lo, exec_lo, s15
                                        ; implicit-def: $vgpr28_vgpr29
	s_and_saveexec_b32 s15, s7
	s_cbranch_execnz .LBB829_247
.LBB829_21:
	s_or_b32 exec_lo, exec_lo, s15
                                        ; implicit-def: $vgpr48_vgpr49
	s_and_saveexec_b32 s15, s10
	s_cbranch_execnz .LBB829_248
.LBB829_22:
	s_or_b32 exec_lo, exec_lo, s15
                                        ; implicit-def: $vgpr16_vgpr17
	s_and_saveexec_b32 s15, s11
	s_cbranch_execnz .LBB829_249
.LBB829_23:
	s_or_b32 exec_lo, exec_lo, s15
                                        ; implicit-def: $vgpr34_vgpr35
	s_and_saveexec_b32 s15, s14
	s_cbranch_execz .LBB829_25
.LBB829_24:
	flat_load_dwordx2 v[34:35], v[52:53] offset:56
.LBB829_25:
	s_or_b32 exec_lo, exec_lo, s15
	v_cmp_ne_u32_e64 s15, 0, v10
	v_cmp_ne_u32_e64 s16, 64, v11
	v_bfe_u32 v52, v31, 10, 10
	v_bfe_u32 v53, v31, 20, 10
	v_and_b32_e32 v30, 0x3ff, v31
	s_or_b32 s15, s15, s16
	; wave barrier
	s_and_saveexec_b32 s16, s15
	s_xor_b32 s25, exec_lo, s16
	s_cbranch_execz .LBB829_125
; %bb.26:
	s_load_dwordx2 s[16:17], s[8:9], 0x0
	v_mov_b32_e32 v31, 0
	s_waitcnt lgkmcnt(0)
	s_cmp_lt_u32 s13, s17
	s_cselect_b32 s15, 14, 20
	s_add_u32 s18, s8, s15
	s_addc_u32 s19, s9, 0
	s_cmp_lt_u32 s12, s16
	global_load_ushort v54, v31, s[18:19]
	s_cselect_b32 s15, 12, 18
	s_add_u32 s16, s8, s15
	s_addc_u32 s17, s9, 0
	global_load_ushort v31, v31, s[16:17]
	s_mov_b32 s16, exec_lo
	s_waitcnt vmcnt(1)
	v_mad_u32_u24 v52, v53, v54, v52
	s_waitcnt vmcnt(0)
	v_mul_lo_u32 v31, v52, v31
	v_lshlrev_b64 v[52:53], v11, -1
	v_lshlrev_b64 v[10:11], v10, -1
	v_xor_b32_e32 v69, v53, v11
	v_add_lshl_u32 v70, v31, v30, 3
	v_xor_b32_e32 v68, v52, v10
	v_cmpx_gt_u32_e32 0x800, v70
	s_cbranch_execz .LBB829_84
; %bb.27:
	v_and_b32_e32 v11, v25, v69
	v_and_b32_e32 v10, v24, v68
	;; [unrolled: 1-line block ×4, first 2 shown]
	v_cmp_gt_u64_e64 s15, v[30:31], v[10:11]
	v_mov_b32_e32 v10, v24
	v_mov_b32_e32 v31, v21
	;; [unrolled: 1-line block ×4, first 2 shown]
	s_and_saveexec_b32 s17, s15
	s_cbranch_execz .LBB829_29
; %bb.28:
	v_mov_b32_e32 v11, v1
	v_mov_b32_e32 v31, v5
	;; [unrolled: 1-line block ×8, first 2 shown]
.LBB829_29:
	s_or_b32 exec_lo, exec_lo, s17
	v_mov_b32_e32 v65, v39
	v_mov_b32_e32 v53, v27
	v_and_b32_e32 v21, v39, v69
	v_and_b32_e32 v20, v38, v68
	;; [unrolled: 1-line block ×4, first 2 shown]
	v_mov_b32_e32 v64, v38
	v_mov_b32_e32 v52, v26
	s_mov_b32 s17, exec_lo
	v_cmpx_gt_u64_e64 v[24:25], v[20:21]
	s_cbranch_execz .LBB829_31
; %bb.30:
	v_mov_b32_e32 v65, v33
	v_mov_b32_e32 v53, v23
	;; [unrolled: 1-line block ×8, first 2 shown]
.LBB829_31:
	s_or_b32 exec_lo, exec_lo, s17
	v_and_b32_e32 v21, v19, v69
	v_and_b32_e32 v20, v18, v68
	;; [unrolled: 1-line block ×4, first 2 shown]
	v_mov_b32_e32 v55, v37
	v_mov_b32_e32 v54, v36
	v_cmp_gt_u64_e64 s15, v[24:25], v[20:21]
	v_mov_b32_e32 v24, v48
	v_mov_b32_e32 v25, v49
	s_and_saveexec_b32 s17, s15
	s_cbranch_execz .LBB829_33
; %bb.32:
	v_mov_b32_e32 v24, v28
	v_mov_b32_e32 v55, v19
	;; [unrolled: 1-line block ×8, first 2 shown]
.LBB829_33:
	s_or_b32 exec_lo, exec_lo, s17
	v_and_b32_e32 v21, v9, v69
	v_and_b32_e32 v20, v8, v68
	;; [unrolled: 1-line block ×4, first 2 shown]
	v_mov_b32_e32 v36, v50
	v_mov_b32_e32 v37, v51
	v_cmp_gt_u64_e64 s15, v[26:27], v[20:21]
	v_mov_b32_e32 v20, v34
	v_mov_b32_e32 v21, v35
	s_and_saveexec_b32 s17, s15
	s_cbranch_execz .LBB829_35
; %bb.34:
	v_mov_b32_e32 v21, v17
	v_mov_b32_e32 v37, v9
	;; [unrolled: 1-line block ×8, first 2 shown]
.LBB829_35:
	s_or_b32 exec_lo, exec_lo, s17
	v_and_b32_e32 v27, v33, v69
	v_and_b32_e32 v26, v32, v68
	;; [unrolled: 1-line block ×4, first 2 shown]
	v_cmp_gt_u64_e64 s15, v[34:35], v[26:27]
	v_mov_b32_e32 v26, v32
	v_mov_b32_e32 v35, v23
	v_mov_b32_e32 v27, v33
	v_mov_b32_e32 v34, v22
	s_and_saveexec_b32 s17, s15
	s_xor_b32 s15, exec_lo, s17
	s_cbranch_execz .LBB829_37
; %bb.36:
	v_mov_b32_e32 v27, v11
	v_mov_b32_e32 v35, v31
	;; [unrolled: 1-line block ×8, first 2 shown]
.LBB829_37:
	s_or_b32 exec_lo, exec_lo, s15
	v_and_b32_e32 v23, v55, v69
	v_and_b32_e32 v22, v54, v68
	;; [unrolled: 1-line block ×4, first 2 shown]
	v_mov_b32_e32 v50, v64
	v_mov_b32_e32 v51, v65
	v_cmp_gt_u64_e64 s15, v[32:33], v[22:23]
	v_mov_b32_e32 v33, v29
	v_mov_b32_e32 v32, v28
	s_and_saveexec_b32 s17, s15
	s_cbranch_execz .LBB829_39
; %bb.38:
	v_mov_b32_e32 v50, v54
	v_mov_b32_e32 v32, v52
	;; [unrolled: 1-line block ×8, first 2 shown]
.LBB829_39:
	s_or_b32 exec_lo, exec_lo, s17
	v_and_b32_e32 v23, v37, v69
	v_and_b32_e32 v22, v36, v68
	;; [unrolled: 1-line block ×4, first 2 shown]
	v_cmp_gt_u64_e64 s15, v[28:29], v[22:23]
	v_mov_b32_e32 v23, v17
	v_mov_b32_e32 v29, v19
	;; [unrolled: 1-line block ×4, first 2 shown]
	s_and_saveexec_b32 s17, s15
	s_cbranch_execz .LBB829_41
; %bb.40:
	v_mov_b32_e32 v22, v24
	v_mov_b32_e32 v28, v36
	;; [unrolled: 1-line block ×8, first 2 shown]
.LBB829_41:
	s_or_b32 exec_lo, exec_lo, s17
	v_and_b32_e32 v17, v11, v69
	v_and_b32_e32 v16, v10, v68
	;; [unrolled: 1-line block ×4, first 2 shown]
	v_mov_b32_e32 v39, v31
	v_mov_b32_e32 v38, v30
	v_cmp_gt_u64_e64 s15, v[18:19], v[16:17]
	v_mov_b32_e32 v17, v11
	v_mov_b32_e32 v16, v10
	s_and_saveexec_b32 s17, s15
	s_cbranch_execz .LBB829_43
; %bb.42:
	v_mov_b32_e32 v17, v1
	v_mov_b32_e32 v39, v5
	;; [unrolled: 1-line block ×8, first 2 shown]
.LBB829_43:
	s_or_b32 exec_lo, exec_lo, s17
	v_mov_b32_e32 v65, v51
	v_mov_b32_e32 v48, v52
	v_and_b32_e32 v11, v51, v69
	v_and_b32_e32 v10, v50, v68
	;; [unrolled: 1-line block ×4, first 2 shown]
	v_mov_b32_e32 v64, v50
	v_mov_b32_e32 v49, v53
	s_mov_b32 s17, exec_lo
	v_cmpx_gt_u64_e64 v[18:19], v[10:11]
	s_cbranch_execz .LBB829_45
; %bb.44:
	v_mov_b32_e32 v65, v27
	v_mov_b32_e32 v49, v35
	v_mov_b32_e32 v64, v26
	v_mov_b32_e32 v26, v50
	v_mov_b32_e32 v48, v34
	v_mov_b32_e32 v34, v52
	v_mov_b32_e32 v27, v51
	v_mov_b32_e32 v35, v53
.LBB829_45:
	s_or_b32 exec_lo, exec_lo, s17
	v_and_b32_e32 v11, v29, v69
	v_and_b32_e32 v10, v28, v68
	v_and_b32_e32 v19, v55, v69
	v_and_b32_e32 v18, v54, v68
	v_mov_b32_e32 v52, v54
	v_mov_b32_e32 v53, v55
	v_cmp_gt_u64_e64 s15, v[18:19], v[10:11]
	v_mov_b32_e32 v18, v24
	v_mov_b32_e32 v19, v25
	s_and_saveexec_b32 s17, s15
	s_cbranch_execz .LBB829_47
; %bb.46:
	v_mov_b32_e32 v18, v32
	v_mov_b32_e32 v53, v29
	v_mov_b32_e32 v19, v33
	v_mov_b32_e32 v33, v25
	v_mov_b32_e32 v52, v28
	v_mov_b32_e32 v28, v54
	v_mov_b32_e32 v32, v24
	v_mov_b32_e32 v29, v55
.LBB829_47:
	s_or_b32 exec_lo, exec_lo, s17
	v_and_b32_e32 v11, v9, v69
	v_and_b32_e32 v10, v8, v68
	v_and_b32_e32 v25, v37, v69
	v_and_b32_e32 v24, v36, v68
	v_mov_b32_e32 v51, v37
	v_mov_b32_e32 v50, v36
	v_cmp_gt_u64_e64 s15, v[24:25], v[10:11]
	v_mov_b32_e32 v10, v20
	v_mov_b32_e32 v11, v21
	s_and_saveexec_b32 s17, s15
	s_cbranch_execz .LBB829_49
; %bb.48:
	v_mov_b32_e32 v10, v22
	v_mov_b32_e32 v51, v9
	v_mov_b32_e32 v11, v23
	v_mov_b32_e32 v23, v21
	v_mov_b32_e32 v50, v8
	v_mov_b32_e32 v8, v36
	v_mov_b32_e32 v22, v20
	v_mov_b32_e32 v9, v37
.LBB829_49:
	s_or_b32 exec_lo, exec_lo, s17
	v_and_b32_e32 v21, v27, v69
	v_and_b32_e32 v20, v26, v68
	v_and_b32_e32 v25, v17, v69
	v_and_b32_e32 v24, v16, v68
	v_mov_b32_e32 v37, v35
	v_mov_b32_e32 v36, v34
	v_cmp_gt_u64_e64 s15, v[24:25], v[20:21]
	v_mov_b32_e32 v20, v26
	v_mov_b32_e32 v21, v27
	s_and_saveexec_b32 s17, s15
	s_cbranch_execz .LBB829_51
; %bb.50:
	v_mov_b32_e32 v21, v17
	v_mov_b32_e32 v36, v38
	;; [unrolled: 1-line block ×8, first 2 shown]
.LBB829_51:
	s_or_b32 exec_lo, exec_lo, s17
	v_mov_b32_e32 v54, v64
	v_mov_b32_e32 v30, v32
	v_and_b32_e32 v25, v53, v69
	v_and_b32_e32 v24, v52, v68
	;; [unrolled: 1-line block ×4, first 2 shown]
	v_mov_b32_e32 v55, v65
	v_mov_b32_e32 v31, v33
	s_mov_b32 s17, exec_lo
	v_cmpx_gt_u64_e64 v[26:27], v[24:25]
	s_cbranch_execz .LBB829_53
; %bb.52:
	v_mov_b32_e32 v55, v53
	v_mov_b32_e32 v30, v48
	v_mov_b32_e32 v54, v52
	v_mov_b32_e32 v31, v49
	v_mov_b32_e32 v49, v33
	v_mov_b32_e32 v52, v64
	v_mov_b32_e32 v48, v32
	v_mov_b32_e32 v53, v65
.LBB829_53:
	s_or_b32 exec_lo, exec_lo, s17
	v_and_b32_e32 v25, v51, v69
	v_and_b32_e32 v24, v50, v68
	v_and_b32_e32 v27, v29, v69
	v_and_b32_e32 v26, v28, v68
	v_mov_b32_e32 v33, v29
	v_mov_b32_e32 v32, v28
	v_cmp_gt_u64_e64 s15, v[26:27], v[24:25]
	v_mov_b32_e32 v25, v23
	v_mov_b32_e32 v24, v22
	s_and_saveexec_b32 s17, s15
	s_cbranch_execz .LBB829_55
; %bb.54:
	v_mov_b32_e32 v25, v19
	v_mov_b32_e32 v32, v50
	v_mov_b32_e32 v24, v18
	v_mov_b32_e32 v18, v22
	v_mov_b32_e32 v33, v51
	v_mov_b32_e32 v51, v29
	v_mov_b32_e32 v19, v23
	v_mov_b32_e32 v50, v28
.LBB829_55:
	s_or_b32 exec_lo, exec_lo, s17
	v_and_b32_e32 v23, v17, v69
	v_and_b32_e32 v22, v16, v68
	v_and_b32_e32 v27, v1, v69
	v_and_b32_e32 v26, v0, v68
	v_mov_b32_e32 v34, v38
	v_mov_b32_e32 v35, v39
	v_cmp_gt_u64_e64 s15, v[26:27], v[22:23]
	v_mov_b32_e32 v27, v17
	v_mov_b32_e32 v26, v16
	s_and_saveexec_b32 s17, s15
	s_cbranch_execz .LBB829_57
; %bb.56:
	v_mov_b32_e32 v27, v1
	v_mov_b32_e32 v35, v5
	v_mov_b32_e32 v26, v0
	v_mov_b32_e32 v0, v16
	v_mov_b32_e32 v34, v4
	v_mov_b32_e32 v4, v38
	v_mov_b32_e32 v1, v17
	v_mov_b32_e32 v5, v39
.LBB829_57:
	s_or_b32 exec_lo, exec_lo, s17
	v_and_b32_e32 v17, v55, v69
	v_and_b32_e32 v16, v54, v68
	v_and_b32_e32 v23, v21, v69
	v_and_b32_e32 v22, v20, v68
	v_mov_b32_e32 v38, v48
	v_mov_b32_e32 v39, v49
	v_cmp_gt_u64_e64 s15, v[22:23], v[16:17]
	v_mov_b32_e32 v16, v54
	v_mov_b32_e32 v17, v55
	s_and_saveexec_b32 s17, s15
	s_cbranch_execz .LBB829_59
; %bb.58:
	v_mov_b32_e32 v16, v20
	v_mov_b32_e32 v39, v37
	v_mov_b32_e32 v17, v21
	v_mov_b32_e32 v20, v54
	v_mov_b32_e32 v38, v36
	v_mov_b32_e32 v36, v48
	v_mov_b32_e32 v21, v55
	v_mov_b32_e32 v37, v49
.LBB829_59:
	s_or_b32 exec_lo, exec_lo, s17
	v_and_b32_e32 v23, v33, v69
	v_and_b32_e32 v22, v32, v68
	v_and_b32_e32 v29, v53, v69
	v_and_b32_e32 v28, v52, v68
	v_mov_b32_e32 v55, v53
	v_mov_b32_e32 v54, v52
	v_cmp_gt_u64_e64 s15, v[28:29], v[22:23]
	v_mov_b32_e32 v29, v19
	v_mov_b32_e32 v28, v18
	s_and_saveexec_b32 s17, s15
	s_cbranch_execz .LBB829_61
; %bb.60:
	v_mov_b32_e32 v28, v30
	v_mov_b32_e32 v55, v33
	v_mov_b32_e32 v29, v31
	v_mov_b32_e32 v31, v19
	v_mov_b32_e32 v54, v32
	v_mov_b32_e32 v32, v52
	v_mov_b32_e32 v30, v18
	v_mov_b32_e32 v33, v53
.LBB829_61:
	s_or_b32 exec_lo, exec_lo, s17
	v_and_b32_e32 v19, v9, v69
	v_and_b32_e32 v18, v8, v68
	v_and_b32_e32 v23, v51, v69
	v_and_b32_e32 v22, v50, v68
	v_mov_b32_e32 v53, v51
	v_mov_b32_e32 v52, v50
	v_cmp_gt_u64_e64 s15, v[22:23], v[18:19]
	v_mov_b32_e32 v23, v11
	v_mov_b32_e32 v22, v10
	s_and_saveexec_b32 s17, s15
	s_cbranch_execz .LBB829_63
; %bb.62:
	v_mov_b32_e32 v22, v24
	v_mov_b32_e32 v53, v9
	v_mov_b32_e32 v23, v25
	v_mov_b32_e32 v25, v11
	v_mov_b32_e32 v52, v8
	v_mov_b32_e32 v8, v50
	v_mov_b32_e32 v24, v10
	v_mov_b32_e32 v9, v51
.LBB829_63:
	s_or_b32 exec_lo, exec_lo, s17
	v_and_b32_e32 v11, v21, v69
	v_and_b32_e32 v10, v20, v68
	v_and_b32_e32 v19, v27, v69
	v_and_b32_e32 v18, v26, v68
	v_mov_b32_e32 v51, v37
	v_mov_b32_e32 v50, v36
	v_cmp_gt_u64_e64 s15, v[18:19], v[10:11]
	v_mov_b32_e32 v10, v20
	v_mov_b32_e32 v11, v21
	s_and_saveexec_b32 s17, s15
	s_cbranch_execz .LBB829_65
; %bb.64:
	v_mov_b32_e32 v10, v26
	v_mov_b32_e32 v51, v35
	;; [unrolled: 1-line block ×8, first 2 shown]
.LBB829_65:
	s_or_b32 exec_lo, exec_lo, s17
	v_mov_b32_e32 v37, v17
	v_mov_b32_e32 v49, v31
	v_and_b32_e32 v19, v55, v69
	v_and_b32_e32 v18, v54, v68
	;; [unrolled: 1-line block ×4, first 2 shown]
	v_mov_b32_e32 v36, v16
	v_mov_b32_e32 v48, v30
	s_mov_b32 s17, exec_lo
	v_cmpx_gt_u64_e64 v[20:21], v[18:19]
	s_cbranch_execz .LBB829_67
; %bb.66:
	v_mov_b32_e32 v36, v54
	v_mov_b32_e32 v49, v39
	v_mov_b32_e32 v37, v55
	v_mov_b32_e32 v48, v38
	v_mov_b32_e32 v39, v31
	v_mov_b32_e32 v55, v17
	v_mov_b32_e32 v38, v30
	v_mov_b32_e32 v54, v16
.LBB829_67:
	s_or_b32 exec_lo, exec_lo, s17
	v_and_b32_e32 v17, v53, v69
	v_and_b32_e32 v16, v52, v68
	v_and_b32_e32 v19, v33, v69
	v_and_b32_e32 v18, v32, v68
	v_cmp_gt_u64_e64 s15, v[18:19], v[16:17]
	v_mov_b32_e32 v16, v24
	v_mov_b32_e32 v18, v32
	v_mov_b32_e32 v17, v25
	v_mov_b32_e32 v19, v33
	s_and_saveexec_b32 s17, s15
	s_cbranch_execz .LBB829_69
; %bb.68:
	v_mov_b32_e32 v16, v28
	v_mov_b32_e32 v18, v52
	v_mov_b32_e32 v17, v29
	v_mov_b32_e32 v29, v25
	v_mov_b32_e32 v19, v53
	v_mov_b32_e32 v53, v33
	v_mov_b32_e32 v28, v24
	v_mov_b32_e32 v52, v32
.LBB829_69:
	s_or_b32 exec_lo, exec_lo, s17
	v_and_b32_e32 v21, v27, v69
	v_and_b32_e32 v20, v26, v68
	v_and_b32_e32 v25, v1, v69
	v_and_b32_e32 v24, v0, v68
	v_cmp_gt_u64_e64 s15, v[24:25], v[20:21]
	v_mov_b32_e32 v24, v26
	v_mov_b32_e32 v20, v34
	v_mov_b32_e32 v25, v27
	v_mov_b32_e32 v21, v35
	s_and_saveexec_b32 s17, s15
	;; [unrolled: 22-line block ×3, first 2 shown]
	s_cbranch_execz .LBB829_73
; %bb.72:
	v_mov_b32_e32 v31, v11
	v_mov_b32_e32 v26, v50
	;; [unrolled: 1-line block ×8, first 2 shown]
.LBB829_73:
	s_or_b32 exec_lo, exec_lo, s17
	v_mov_b32_e32 v65, v29
	v_mov_b32_e32 v36, v54
	v_and_b32_e32 v33, v19, v69
	v_and_b32_e32 v32, v18, v68
	;; [unrolled: 1-line block ×4, first 2 shown]
	v_mov_b32_e32 v64, v28
	v_mov_b32_e32 v37, v55
	s_mov_b32 s17, exec_lo
	v_cmpx_gt_u64_e64 v[34:35], v[32:33]
	s_cbranch_execz .LBB829_75
; %bb.74:
	v_mov_b32_e32 v65, v49
	v_mov_b32_e32 v37, v19
	;; [unrolled: 1-line block ×8, first 2 shown]
.LBB829_75:
	s_or_b32 exec_lo, exec_lo, s17
	v_mov_b32_e32 v35, v23
	v_mov_b32_e32 v55, v53
	v_and_b32_e32 v29, v9, v69
	v_and_b32_e32 v28, v8, v68
	;; [unrolled: 1-line block ×4, first 2 shown]
	v_mov_b32_e32 v34, v22
	v_mov_b32_e32 v54, v52
	s_mov_b32 s17, exec_lo
	v_cmpx_gt_u64_e64 v[32:33], v[28:29]
	s_cbranch_execz .LBB829_77
; %bb.76:
	v_mov_b32_e32 v35, v17
	v_mov_b32_e32 v55, v9
	;; [unrolled: 1-line block ×8, first 2 shown]
.LBB829_77:
	s_or_b32 exec_lo, exec_lo, s17
	v_and_b32_e32 v23, v11, v69
	v_and_b32_e32 v22, v10, v68
	;; [unrolled: 1-line block ×4, first 2 shown]
	v_mov_b32_e32 v33, v11
	v_mov_b32_e32 v32, v10
	v_cmp_gt_u64_e64 s15, v[28:29], v[22:23]
	v_mov_b32_e32 v22, v50
	v_mov_b32_e32 v23, v51
	s_and_saveexec_b32 s17, s15
	s_cbranch_execz .LBB829_79
; %bb.78:
	v_mov_b32_e32 v33, v25
	v_mov_b32_e32 v23, v21
	;; [unrolled: 1-line block ×8, first 2 shown]
.LBB829_79:
	s_or_b32 exec_lo, exec_lo, s17
	v_and_b32_e32 v11, v37, v69
	v_and_b32_e32 v10, v36, v68
	;; [unrolled: 1-line block ×4, first 2 shown]
	v_mov_b32_e32 v39, v31
	v_mov_b32_e32 v38, v30
	v_cmp_gt_u64_e64 s15, v[28:29], v[10:11]
	v_mov_b32_e32 v28, v48
	v_mov_b32_e32 v29, v49
	s_and_saveexec_b32 s17, s15
	s_cbranch_execz .LBB829_81
; %bb.80:
	v_mov_b32_e32 v39, v37
	v_mov_b32_e32 v29, v27
	;; [unrolled: 1-line block ×8, first 2 shown]
.LBB829_81:
	s_or_b32 exec_lo, exec_lo, s17
	v_mov_b32_e32 v50, v54
	v_mov_b32_e32 v48, v64
	v_and_b32_e32 v11, v55, v69
	v_and_b32_e32 v10, v54, v68
	;; [unrolled: 1-line block ×4, first 2 shown]
	v_mov_b32_e32 v51, v55
	v_mov_b32_e32 v49, v65
	s_mov_b32 s17, exec_lo
	v_cmpx_gt_u64_e64 v[30:31], v[10:11]
	s_cbranch_execz .LBB829_83
; %bb.82:
	v_mov_b32_e32 v51, v19
	v_mov_b32_e32 v49, v17
	;; [unrolled: 1-line block ×8, first 2 shown]
.LBB829_83:
	s_or_b32 exec_lo, exec_lo, s17
.LBB829_84:
	s_or_b32 exec_lo, exec_lo, s16
	v_and_b32_e32 v10, 0xffffff00, v70
	v_or_b32_e32 v31, 8, v67
	v_mov_b32_e32 v11, 0
	v_and_b32_e32 v53, 8, v67
	v_and_b32_e32 v96, 0xf0, v67
	v_sub_nc_u32_e64 v30, 0x800, v10 clamp
	s_mov_b32 s16, exec_lo
	v_lshlrev_b64 v[10:11], 3, v[10:11]
	v_min_u32_e32 v86, v30, v31
	v_lshlrev_b32_e32 v31, 3, v67
	v_min_u32_e32 v97, v30, v53
	v_add_co_u32 v11, null, v12, v10
	v_add_nc_u32_e32 v52, 8, v86
	v_add_co_u32 v10, null, 0x4000, v11
	v_min_u32_e32 v87, v30, v52
	v_sub_nc_u32_e32 v52, v86, v96
	v_add_nc_u32_e32 v12, v11, v31
	v_add_nc_u32_e32 v31, v10, v31
	v_sub_nc_u32_e32 v53, v87, v86
	v_min_u32_e32 v52, v97, v52
	ds_write_b64 v12, v[0:1]
	ds_write_b64 v31, v[4:5]
	ds_write_b64 v12, v[24:25] offset:8
	ds_write_b64 v31, v[20:21] offset:8
	;; [unrolled: 1-line block ×14, first 2 shown]
	v_sub_nc_u32_e64 v98, v97, v53 clamp
	; wave barrier
	v_cmpx_lt_u32_e64 v98, v52
	s_cbranch_execz .LBB829_88
; %bb.85:
	v_lshlrev_b32_e32 v53, 3, v96
	v_lshlrev_b32_e32 v54, 3, v86
	s_mov_b32 s17, 0
	v_add_co_u32 v53, null, v11, v53
	v_add_co_u32 v54, null, v11, v54
	.p2align	6
.LBB829_86:                             ; =>This Inner Loop Header: Depth=1
	v_add_nc_u32_e32 v55, v52, v98
	v_lshrrev_b32_e32 v55, 1, v55
	v_xad_u32 v64, v55, -1, v97
	v_lshl_add_u32 v65, v55, 3, v53
	v_lshl_add_u32 v70, v64, 3, v54
	ds_read_b64 v[64:65], v65
	ds_read_b64 v[70:71], v70
	s_waitcnt lgkmcnt(1)
	v_and_b32_e32 v65, v65, v69
	v_and_b32_e32 v64, v64, v68
	s_waitcnt lgkmcnt(0)
	v_and_b32_e32 v71, v71, v69
	v_and_b32_e32 v70, v70, v68
	v_cmp_gt_u64_e64 s15, v[64:65], v[70:71]
	v_add_nc_u32_e32 v64, 1, v55
	v_cndmask_b32_e64 v52, v52, v55, s15
	v_cndmask_b32_e64 v98, v64, v98, s15
	v_cmp_ge_u32_e64 s15, v98, v52
	s_or_b32 s17, s15, s17
	s_andn2_b32 exec_lo, exec_lo, s17
	s_cbranch_execnz .LBB829_86
; %bb.87:
	s_or_b32 exec_lo, exec_lo, s17
.LBB829_88:
	s_or_b32 exec_lo, exec_lo, s16
	v_add_nc_u32_e32 v97, v86, v97
	v_add_nc_u32_e32 v96, v98, v96
	v_add_nc_u32_e32 v84, 8, v12
	v_add_nc_u32_e32 v85, 8, v31
	v_add_nc_u32_e32 v81, 16, v12
	v_sub_nc_u32_e32 v97, v97, v98
	v_cmp_le_u32_e64 s15, v96, v86
	v_add_nc_u32_e32 v82, 16, v31
	v_add_nc_u32_e32 v83, 24, v12
	;; [unrolled: 1-line block ×3, first 2 shown]
	v_cmp_le_u32_e64 s16, v97, v87
	v_add_nc_u32_e32 v71, 32, v12
	v_add_nc_u32_e32 v80, 32, v31
	;; [unrolled: 1-line block ×8, first 2 shown]
	s_or_b32 s15, s15, s16
	s_and_saveexec_b32 s26, s15
	s_cbranch_execz .LBB829_94
; %bb.89:
	v_cmp_lt_u32_e64 s15, v96, v86
                                        ; implicit-def: $vgpr0_vgpr1
	s_and_saveexec_b32 s16, s15
; %bb.90:
	v_lshl_add_u32 v0, v96, 3, v11
	ds_read_b64 v[0:1], v0
; %bb.91:
	s_or_b32 exec_lo, exec_lo, s16
	v_cmp_ge_u32_e64 s16, v97, v87
	s_mov_b32 s18, exec_lo
                                        ; implicit-def: $vgpr8_vgpr9
	v_cmpx_lt_u32_e64 v97, v87
; %bb.92:
	v_lshl_add_u32 v4, v97, 3, v11
	ds_read_b64 v[8:9], v4
; %bb.93:
	s_or_b32 exec_lo, exec_lo, s18
	s_waitcnt lgkmcnt(0)
	v_and_b32_e32 v5, v9, v69
	v_and_b32_e32 v4, v8, v68
	;; [unrolled: 1-line block ×4, first 2 shown]
	v_cmp_le_u64_e64 s17, v[16:17], v[4:5]
	s_and_b32 s15, s15, s17
	s_or_b32 s15, s16, s15
	v_cndmask_b32_e64 v18, v97, v96, s15
	v_cndmask_b32_e64 v4, v87, v86, s15
	v_add_nc_u32_e32 v19, 1, v18
	v_add_nc_u32_e32 v4, -1, v4
	v_lshl_add_u32 v18, v18, 3, v10
	v_cndmask_b32_e64 v20, v96, v19, s15
	v_min_u32_e32 v4, v19, v4
	v_cndmask_b32_e64 v19, v19, v97, s15
	v_cmp_lt_u32_e64 s17, v20, v86
	v_lshl_add_u32 v4, v4, 3, v11
	v_cmp_ge_u32_e64 s18, v19, v87
	ds_read_b64 v[4:5], v4
	s_waitcnt lgkmcnt(0)
	v_cndmask_b32_e64 v24, v5, v9, s15
	v_cndmask_b32_e64 v32, v4, v8, s15
	;; [unrolled: 1-line block ×5, first 2 shown]
	v_and_b32_e32 v5, v24, v69
	v_and_b32_e32 v4, v32, v68
	;; [unrolled: 1-line block ×4, first 2 shown]
	v_cndmask_b32_e64 v0, v8, v0, s15
	v_cmp_le_u64_e64 s16, v[16:17], v[4:5]
	s_and_b32 s16, s17, s16
	s_or_b32 s16, s18, s16
	v_cndmask_b32_e64 v21, v19, v20, s16
	v_cndmask_b32_e64 v4, v87, v86, s16
	v_add_nc_u32_e32 v22, 1, v21
	v_add_nc_u32_e32 v4, -1, v4
	v_cndmask_b32_e64 v20, v20, v22, s16
	v_min_u32_e32 v4, v22, v4
	v_cndmask_b32_e64 v19, v22, v19, s16
	v_cmp_lt_u32_e64 s18, v20, v86
	v_lshl_add_u32 v4, v4, 3, v11
	v_cmp_ge_u32_e64 s19, v19, v87
	ds_read_b64 v[4:5], v4
	s_waitcnt lgkmcnt(0)
	v_cndmask_b32_e64 v36, v5, v24, s16
	v_cndmask_b32_e64 v37, v4, v32, s16
	;; [unrolled: 1-line block ×5, first 2 shown]
	v_and_b32_e32 v5, v36, v69
	v_and_b32_e32 v4, v37, v68
	;; [unrolled: 1-line block ×4, first 2 shown]
	v_cndmask_b32_e64 v24, v32, v33, s16
	v_cmp_le_u64_e64 s17, v[16:17], v[4:5]
	s_and_b32 s17, s18, s17
	s_or_b32 s17, s19, s17
	v_cndmask_b32_e64 v22, v19, v20, s17
	v_cndmask_b32_e64 v4, v87, v86, s17
	v_cndmask_b32_e64 v33, v36, v38, s17
	v_cndmask_b32_e64 v32, v37, v39, s17
	v_add_nc_u32_e32 v23, 1, v22
	v_add_nc_u32_e32 v4, -1, v4
	v_cndmask_b32_e64 v20, v20, v23, s17
	v_min_u32_e32 v4, v23, v4
	v_cndmask_b32_e64 v19, v23, v19, s17
	v_cmp_lt_u32_e64 s19, v20, v86
	v_lshl_add_u32 v4, v4, 3, v11
	v_cmp_ge_u32_e64 s20, v19, v87
	ds_read_b64 v[4:5], v4
	s_waitcnt lgkmcnt(0)
	v_cndmask_b32_e64 v50, v5, v36, s17
	v_cndmask_b32_e64 v51, v4, v37, s17
	v_cndmask_b32_e64 v96, v38, v5, s17
	v_cndmask_b32_e64 v97, v39, v4, s17
	v_and_b32_e32 v5, v50, v69
	v_and_b32_e32 v4, v51, v68
	v_and_b32_e32 v17, v96, v69
	v_and_b32_e32 v16, v97, v68
	v_cmp_le_u64_e64 s18, v[16:17], v[4:5]
	s_and_b32 s18, s19, s18
	s_or_b32 s18, s20, s18
	v_cndmask_b32_e64 v26, v19, v20, s18
	v_cndmask_b32_e64 v4, v87, v86, s18
	v_cndmask_b32_e64 v39, v50, v96, s18
	v_cndmask_b32_e64 v38, v51, v97, s18
	v_add_nc_u32_e32 v23, 1, v26
	v_add_nc_u32_e32 v4, -1, v4
	v_cndmask_b32_e64 v20, v20, v23, s18
	v_min_u32_e32 v4, v23, v4
	v_cndmask_b32_e64 v19, v23, v19, s18
	v_cmp_lt_u32_e64 s20, v20, v86
	v_lshl_add_u32 v4, v4, 3, v11
	v_cmp_ge_u32_e64 s21, v19, v87
	ds_read_b64 v[4:5], v4
	s_waitcnt lgkmcnt(0)
	v_cndmask_b32_e64 v98, v5, v50, s18
	v_cndmask_b32_e64 v99, v4, v51, s18
	v_cndmask_b32_e64 v100, v96, v5, s18
	v_cndmask_b32_e64 v101, v97, v4, s18
	v_and_b32_e32 v5, v98, v69
	v_and_b32_e32 v4, v99, v68
	v_and_b32_e32 v17, v100, v69
	v_and_b32_e32 v16, v101, v68
	v_cmp_le_u64_e64 s19, v[16:17], v[4:5]
	s_and_b32 s19, s20, s19
	s_or_b32 s19, s21, s19
	v_cndmask_b32_e64 v27, v19, v20, s19
	v_cndmask_b32_e64 v4, v87, v86, s19
	v_cndmask_b32_e64 v37, v98, v100, s19
	v_cndmask_b32_e64 v36, v99, v101, s19
	v_add_nc_u32_e32 v23, 1, v27
	v_add_nc_u32_e32 v4, -1, v4
	v_cndmask_b32_e64 v20, v20, v23, s19
	v_min_u32_e32 v4, v23, v4
	v_cndmask_b32_e64 v19, v23, v19, s19
	v_cmp_lt_u32_e64 s21, v20, v86
	v_lshl_add_u32 v4, v4, 3, v11
	v_cmp_ge_u32_e64 s22, v19, v87
	ds_read_b64 v[4:5], v4
	s_waitcnt lgkmcnt(0)
	v_cndmask_b32_e64 v102, v5, v98, s19
	v_cndmask_b32_e64 v103, v4, v99, s19
	v_cndmask_b32_e64 v112, v100, v5, s19
	v_cndmask_b32_e64 v113, v101, v4, s19
	v_and_b32_e32 v5, v102, v69
	v_and_b32_e32 v4, v103, v68
	v_and_b32_e32 v17, v112, v69
	v_and_b32_e32 v16, v113, v68
	v_cmp_le_u64_e64 s20, v[16:17], v[4:5]
	s_and_b32 s20, s21, s20
	s_or_b32 s20, s22, s20
	v_cndmask_b32_e64 v28, v19, v20, s20
	v_cndmask_b32_e64 v4, v87, v86, s20
	v_add_nc_u32_e32 v23, 1, v28
	v_add_nc_u32_e32 v4, -1, v4
	v_cndmask_b32_e64 v20, v20, v23, s20
	v_min_u32_e32 v4, v23, v4
	v_cndmask_b32_e64 v19, v23, v19, s20
	v_cmp_lt_u32_e64 s22, v20, v86
	v_lshl_add_u32 v4, v4, 3, v11
	v_cmp_ge_u32_e64 s23, v19, v87
	ds_read_b64 v[4:5], v4
	s_waitcnt lgkmcnt(0)
	v_cndmask_b32_e64 v114, v5, v102, s20
	v_cndmask_b32_e64 v115, v4, v103, s20
	;; [unrolled: 1-line block ×4, first 2 shown]
	v_and_b32_e32 v5, v114, v69
	v_and_b32_e32 v4, v115, v68
	;; [unrolled: 1-line block ×4, first 2 shown]
	v_cmp_le_u64_e64 s21, v[16:17], v[4:5]
	s_and_b32 s21, s22, s21
	s_or_b32 s21, s23, s21
	v_cndmask_b32_e64 v29, v19, v20, s21
	v_cndmask_b32_e64 v4, v87, v86, s21
	;; [unrolled: 1-line block ×4, first 2 shown]
	v_add_nc_u32_e32 v23, 1, v29
	v_add_nc_u32_e32 v4, -1, v4
	v_cndmask_b32_e64 v9, v20, v23, s21
	v_min_u32_e32 v4, v23, v4
	v_cndmask_b32_e64 v19, v23, v19, s21
	v_lshl_add_u32 v20, v21, 3, v10
	v_cmp_lt_u32_e64 s23, v9, v86
	v_lshl_add_u32 v4, v4, 3, v11
	v_cmp_ge_u32_e64 s24, v19, v87
	ds_read_b64 v[4:5], v4
	s_waitcnt lgkmcnt(0)
	v_cndmask_b32_e64 v118, v5, v114, s21
	v_cndmask_b32_e64 v119, v4, v115, s21
	;; [unrolled: 1-line block ×4, first 2 shown]
	v_and_b32_e32 v5, v118, v69
	v_and_b32_e32 v4, v119, v68
	;; [unrolled: 1-line block ×4, first 2 shown]
	v_cmp_le_u64_e64 s22, v[16:17], v[4:5]
	v_lshl_add_u32 v16, v22, 3, v10
	ds_read_b64 v[4:5], v18
	ds_read_b64 v[20:21], v20
	v_lshl_add_u32 v17, v27, 3, v10
	v_lshl_add_u32 v18, v28, 3, v10
	s_and_b32 s22, s23, s22
	ds_read_b64 v[22:23], v16
	s_or_b32 s22, s24, s22
	v_lshl_add_u32 v16, v26, 3, v10
	v_cndmask_b32_e64 v9, v19, v9, s22
	v_lshl_add_u32 v19, v29, 3, v10
	v_cndmask_b32_e64 v8, v119, v129, s22
	v_lshl_add_u32 v9, v9, 3, v10
	ds_read_b64 v[26:27], v16
	ds_read_b64 v[28:29], v17
	;; [unrolled: 1-line block ×5, first 2 shown]
	v_cndmask_b32_e64 v19, v102, v112, s20
	v_cndmask_b32_e64 v18, v103, v113, s20
	;; [unrolled: 1-line block ×3, first 2 shown]
.LBB829_94:
	s_or_b32 exec_lo, exec_lo, s26
	v_and_b32_e32 v96, 0xe0, v67
	v_and_b32_e32 v97, 24, v67
	s_mov_b32 s16, exec_lo
	; wave barrier
	v_or_b32_e32 v86, 16, v96
	v_min_u32_e32 v97, v30, v97
	ds_write_b64 v12, v[0:1]
	s_waitcnt lgkmcnt(8)
	ds_write_b64 v31, v[4:5]
	ds_write_b64 v84, v[24:25]
	s_waitcnt lgkmcnt(9)
	ds_write_b64 v85, v[20:21]
	;; [unrolled: 3-line block ×3, first 2 shown]
	ds_write_b64 v83, v[38:39]
	v_min_u32_e32 v86, v30, v86
	s_waitcnt lgkmcnt(11)
	ds_write_b64 v70, v[26:27]
	ds_write_b64 v71, v[36:37]
	s_waitcnt lgkmcnt(12)
	ds_write_b64 v80, v[28:29]
	ds_write_b64 v54, v[18:19]
	;; [unrolled: 3-line block ×4, first 2 shown]
	s_waitcnt lgkmcnt(15)
	ds_write_b64 v53, v[34:35]
	; wave barrier
	v_add_nc_u32_e32 v87, 16, v86
	v_sub_nc_u32_e32 v99, v86, v96
	v_min_u32_e32 v87, v30, v87
	v_min_u32_e32 v99, v97, v99
	v_sub_nc_u32_e32 v98, v87, v86
	v_sub_nc_u32_e64 v98, v97, v98 clamp
	v_cmpx_lt_u32_e64 v98, v99
	s_cbranch_execz .LBB829_98
; %bb.95:
	v_lshlrev_b32_e32 v100, 3, v96
	v_lshlrev_b32_e32 v101, 3, v86
	s_mov_b32 s17, 0
	v_add_co_u32 v100, null, v11, v100
	v_add_co_u32 v101, null, v11, v101
	.p2align	6
.LBB829_96:                             ; =>This Inner Loop Header: Depth=1
	v_add_nc_u32_e32 v102, v99, v98
	v_lshrrev_b32_e32 v114, 1, v102
	v_xad_u32 v102, v114, -1, v97
	v_lshl_add_u32 v103, v114, 3, v100
	v_lshl_add_u32 v112, v102, 3, v101
	ds_read_b64 v[102:103], v103
	ds_read_b64 v[112:113], v112
	s_waitcnt lgkmcnt(1)
	v_and_b32_e32 v103, v103, v69
	v_and_b32_e32 v102, v102, v68
	s_waitcnt lgkmcnt(0)
	v_and_b32_e32 v113, v113, v69
	v_and_b32_e32 v112, v112, v68
	v_cmp_gt_u64_e64 s15, v[102:103], v[112:113]
	v_add_nc_u32_e32 v102, 1, v114
	v_cndmask_b32_e64 v99, v99, v114, s15
	v_cndmask_b32_e64 v98, v102, v98, s15
	v_cmp_ge_u32_e64 s15, v98, v99
	s_or_b32 s17, s15, s17
	s_andn2_b32 exec_lo, exec_lo, s17
	s_cbranch_execnz .LBB829_96
; %bb.97:
	s_or_b32 exec_lo, exec_lo, s17
.LBB829_98:
	s_or_b32 exec_lo, exec_lo, s16
	v_add_nc_u32_e32 v97, v86, v97
	v_add_nc_u32_e32 v96, v98, v96
	v_sub_nc_u32_e32 v97, v97, v98
	v_cmp_le_u32_e64 s15, v96, v86
	v_cmp_le_u32_e64 s16, v97, v87
	s_or_b32 s15, s15, s16
	s_and_saveexec_b32 s26, s15
	s_cbranch_execz .LBB829_104
; %bb.99:
	v_cmp_lt_u32_e64 s15, v96, v86
                                        ; implicit-def: $vgpr0_vgpr1
	s_and_saveexec_b32 s16, s15
; %bb.100:
	v_lshl_add_u32 v0, v96, 3, v11
	ds_read_b64 v[0:1], v0
; %bb.101:
	s_or_b32 exec_lo, exec_lo, s16
	v_cmp_ge_u32_e64 s16, v97, v87
	s_mov_b32 s18, exec_lo
                                        ; implicit-def: $vgpr8_vgpr9
	v_cmpx_lt_u32_e64 v97, v87
; %bb.102:
	v_lshl_add_u32 v4, v97, 3, v11
	ds_read_b64 v[8:9], v4
; %bb.103:
	s_or_b32 exec_lo, exec_lo, s18
	s_waitcnt lgkmcnt(0)
	v_and_b32_e32 v5, v9, v69
	v_and_b32_e32 v4, v8, v68
	;; [unrolled: 1-line block ×4, first 2 shown]
	v_cmp_le_u64_e64 s17, v[16:17], v[4:5]
	s_and_b32 s15, s15, s17
	s_or_b32 s15, s16, s15
	v_cndmask_b32_e64 v18, v97, v96, s15
	v_cndmask_b32_e64 v4, v87, v86, s15
	v_add_nc_u32_e32 v19, 1, v18
	v_add_nc_u32_e32 v4, -1, v4
	v_lshl_add_u32 v18, v18, 3, v10
	v_cndmask_b32_e64 v20, v96, v19, s15
	v_min_u32_e32 v4, v19, v4
	v_cndmask_b32_e64 v19, v19, v97, s15
	v_cmp_lt_u32_e64 s17, v20, v86
	v_lshl_add_u32 v4, v4, 3, v11
	v_cmp_ge_u32_e64 s18, v19, v87
	ds_read_b64 v[4:5], v4
	s_waitcnt lgkmcnt(0)
	v_cndmask_b32_e64 v24, v5, v9, s15
	v_cndmask_b32_e64 v32, v4, v8, s15
	;; [unrolled: 1-line block ×5, first 2 shown]
	v_and_b32_e32 v5, v24, v69
	v_and_b32_e32 v4, v32, v68
	;; [unrolled: 1-line block ×4, first 2 shown]
	v_cndmask_b32_e64 v0, v8, v0, s15
	v_cmp_le_u64_e64 s16, v[16:17], v[4:5]
	s_and_b32 s16, s17, s16
	s_or_b32 s16, s18, s16
	v_cndmask_b32_e64 v21, v19, v20, s16
	v_cndmask_b32_e64 v4, v87, v86, s16
	v_add_nc_u32_e32 v22, 1, v21
	v_add_nc_u32_e32 v4, -1, v4
	v_cndmask_b32_e64 v20, v20, v22, s16
	v_min_u32_e32 v4, v22, v4
	v_cndmask_b32_e64 v19, v22, v19, s16
	v_cmp_lt_u32_e64 s18, v20, v86
	v_lshl_add_u32 v4, v4, 3, v11
	v_cmp_ge_u32_e64 s19, v19, v87
	ds_read_b64 v[4:5], v4
	s_waitcnt lgkmcnt(0)
	v_cndmask_b32_e64 v36, v5, v24, s16
	v_cndmask_b32_e64 v37, v4, v32, s16
	;; [unrolled: 1-line block ×5, first 2 shown]
	v_and_b32_e32 v5, v36, v69
	v_and_b32_e32 v4, v37, v68
	;; [unrolled: 1-line block ×4, first 2 shown]
	v_cndmask_b32_e64 v24, v32, v33, s16
	v_cmp_le_u64_e64 s17, v[16:17], v[4:5]
	s_and_b32 s17, s18, s17
	s_or_b32 s17, s19, s17
	v_cndmask_b32_e64 v22, v19, v20, s17
	v_cndmask_b32_e64 v4, v87, v86, s17
	v_cndmask_b32_e64 v33, v36, v38, s17
	v_cndmask_b32_e64 v32, v37, v39, s17
	v_add_nc_u32_e32 v23, 1, v22
	v_add_nc_u32_e32 v4, -1, v4
	v_cndmask_b32_e64 v20, v20, v23, s17
	v_min_u32_e32 v4, v23, v4
	v_cndmask_b32_e64 v19, v23, v19, s17
	v_cmp_lt_u32_e64 s19, v20, v86
	v_lshl_add_u32 v4, v4, 3, v11
	v_cmp_ge_u32_e64 s20, v19, v87
	ds_read_b64 v[4:5], v4
	s_waitcnt lgkmcnt(0)
	v_cndmask_b32_e64 v50, v5, v36, s17
	v_cndmask_b32_e64 v51, v4, v37, s17
	v_cndmask_b32_e64 v96, v38, v5, s17
	v_cndmask_b32_e64 v97, v39, v4, s17
	v_and_b32_e32 v5, v50, v69
	v_and_b32_e32 v4, v51, v68
	v_and_b32_e32 v17, v96, v69
	v_and_b32_e32 v16, v97, v68
	v_cmp_le_u64_e64 s18, v[16:17], v[4:5]
	s_and_b32 s18, s19, s18
	s_or_b32 s18, s20, s18
	v_cndmask_b32_e64 v26, v19, v20, s18
	v_cndmask_b32_e64 v4, v87, v86, s18
	v_cndmask_b32_e64 v39, v50, v96, s18
	v_cndmask_b32_e64 v38, v51, v97, s18
	v_add_nc_u32_e32 v23, 1, v26
	v_add_nc_u32_e32 v4, -1, v4
	v_cndmask_b32_e64 v20, v20, v23, s18
	v_min_u32_e32 v4, v23, v4
	v_cndmask_b32_e64 v19, v23, v19, s18
	v_cmp_lt_u32_e64 s20, v20, v86
	v_lshl_add_u32 v4, v4, 3, v11
	v_cmp_ge_u32_e64 s21, v19, v87
	ds_read_b64 v[4:5], v4
	s_waitcnt lgkmcnt(0)
	v_cndmask_b32_e64 v98, v5, v50, s18
	v_cndmask_b32_e64 v99, v4, v51, s18
	v_cndmask_b32_e64 v100, v96, v5, s18
	v_cndmask_b32_e64 v101, v97, v4, s18
	v_and_b32_e32 v5, v98, v69
	v_and_b32_e32 v4, v99, v68
	v_and_b32_e32 v17, v100, v69
	v_and_b32_e32 v16, v101, v68
	;; [unrolled: 25-line block ×3, first 2 shown]
	v_cmp_le_u64_e64 s20, v[16:17], v[4:5]
	s_and_b32 s20, s21, s20
	s_or_b32 s20, s22, s20
	v_cndmask_b32_e64 v28, v19, v20, s20
	v_cndmask_b32_e64 v4, v87, v86, s20
	v_add_nc_u32_e32 v23, 1, v28
	v_add_nc_u32_e32 v4, -1, v4
	v_cndmask_b32_e64 v20, v20, v23, s20
	v_min_u32_e32 v4, v23, v4
	v_cndmask_b32_e64 v19, v23, v19, s20
	v_cmp_lt_u32_e64 s22, v20, v86
	v_lshl_add_u32 v4, v4, 3, v11
	v_cmp_ge_u32_e64 s23, v19, v87
	ds_read_b64 v[4:5], v4
	s_waitcnt lgkmcnt(0)
	v_cndmask_b32_e64 v114, v5, v102, s20
	v_cndmask_b32_e64 v115, v4, v103, s20
	;; [unrolled: 1-line block ×4, first 2 shown]
	v_and_b32_e32 v5, v114, v69
	v_and_b32_e32 v4, v115, v68
	v_and_b32_e32 v17, v116, v69
	v_and_b32_e32 v16, v117, v68
	v_cmp_le_u64_e64 s21, v[16:17], v[4:5]
	s_and_b32 s21, s22, s21
	s_or_b32 s21, s23, s21
	v_cndmask_b32_e64 v29, v19, v20, s21
	v_cndmask_b32_e64 v4, v87, v86, s21
	;; [unrolled: 1-line block ×4, first 2 shown]
	v_add_nc_u32_e32 v23, 1, v29
	v_add_nc_u32_e32 v4, -1, v4
	v_cndmask_b32_e64 v9, v20, v23, s21
	v_min_u32_e32 v4, v23, v4
	v_cndmask_b32_e64 v19, v23, v19, s21
	v_lshl_add_u32 v20, v21, 3, v10
	v_cmp_lt_u32_e64 s23, v9, v86
	v_lshl_add_u32 v4, v4, 3, v11
	v_cmp_ge_u32_e64 s24, v19, v87
	ds_read_b64 v[4:5], v4
	s_waitcnt lgkmcnt(0)
	v_cndmask_b32_e64 v118, v5, v114, s21
	v_cndmask_b32_e64 v119, v4, v115, s21
	;; [unrolled: 1-line block ×4, first 2 shown]
	v_and_b32_e32 v5, v118, v69
	v_and_b32_e32 v4, v119, v68
	;; [unrolled: 1-line block ×4, first 2 shown]
	v_cmp_le_u64_e64 s22, v[16:17], v[4:5]
	v_lshl_add_u32 v16, v22, 3, v10
	ds_read_b64 v[4:5], v18
	ds_read_b64 v[20:21], v20
	v_lshl_add_u32 v17, v27, 3, v10
	v_lshl_add_u32 v18, v28, 3, v10
	s_and_b32 s22, s23, s22
	ds_read_b64 v[22:23], v16
	s_or_b32 s22, s24, s22
	v_lshl_add_u32 v16, v26, 3, v10
	v_cndmask_b32_e64 v9, v19, v9, s22
	v_lshl_add_u32 v19, v29, 3, v10
	v_cndmask_b32_e64 v8, v119, v129, s22
	v_lshl_add_u32 v9, v9, 3, v10
	ds_read_b64 v[26:27], v16
	ds_read_b64 v[28:29], v17
	;; [unrolled: 1-line block ×5, first 2 shown]
	v_cndmask_b32_e64 v19, v102, v112, s20
	v_cndmask_b32_e64 v18, v103, v113, s20
	;; [unrolled: 1-line block ×3, first 2 shown]
.LBB829_104:
	s_or_b32 exec_lo, exec_lo, s26
	v_and_b32_e32 v96, 0xc0, v67
	v_and_b32_e32 v97, 56, v67
	s_mov_b32 s16, exec_lo
	; wave barrier
	v_or_b32_e32 v86, 32, v96
	v_min_u32_e32 v97, v30, v97
	ds_write_b64 v12, v[0:1]
	s_waitcnt lgkmcnt(8)
	ds_write_b64 v31, v[4:5]
	ds_write_b64 v84, v[24:25]
	s_waitcnt lgkmcnt(9)
	ds_write_b64 v85, v[20:21]
	;; [unrolled: 3-line block ×3, first 2 shown]
	ds_write_b64 v83, v[38:39]
	v_min_u32_e32 v86, v30, v86
	s_waitcnt lgkmcnt(11)
	ds_write_b64 v70, v[26:27]
	ds_write_b64 v71, v[36:37]
	s_waitcnt lgkmcnt(12)
	ds_write_b64 v80, v[28:29]
	ds_write_b64 v54, v[18:19]
	;; [unrolled: 3-line block ×4, first 2 shown]
	s_waitcnt lgkmcnt(15)
	ds_write_b64 v53, v[34:35]
	; wave barrier
	v_add_nc_u32_e32 v87, 32, v86
	v_sub_nc_u32_e32 v99, v86, v96
	v_min_u32_e32 v87, v30, v87
	v_min_u32_e32 v99, v97, v99
	v_sub_nc_u32_e32 v98, v87, v86
	v_sub_nc_u32_e64 v98, v97, v98 clamp
	v_cmpx_lt_u32_e64 v98, v99
	s_cbranch_execz .LBB829_108
; %bb.105:
	v_lshlrev_b32_e32 v100, 3, v96
	v_lshlrev_b32_e32 v101, 3, v86
	s_mov_b32 s17, 0
	v_add_co_u32 v100, null, v11, v100
	v_add_co_u32 v101, null, v11, v101
	.p2align	6
.LBB829_106:                            ; =>This Inner Loop Header: Depth=1
	v_add_nc_u32_e32 v102, v99, v98
	v_lshrrev_b32_e32 v114, 1, v102
	v_xad_u32 v102, v114, -1, v97
	v_lshl_add_u32 v103, v114, 3, v100
	v_lshl_add_u32 v112, v102, 3, v101
	ds_read_b64 v[102:103], v103
	ds_read_b64 v[112:113], v112
	s_waitcnt lgkmcnt(1)
	v_and_b32_e32 v103, v103, v69
	v_and_b32_e32 v102, v102, v68
	s_waitcnt lgkmcnt(0)
	v_and_b32_e32 v113, v113, v69
	v_and_b32_e32 v112, v112, v68
	v_cmp_gt_u64_e64 s15, v[102:103], v[112:113]
	v_add_nc_u32_e32 v102, 1, v114
	v_cndmask_b32_e64 v99, v99, v114, s15
	v_cndmask_b32_e64 v98, v102, v98, s15
	v_cmp_ge_u32_e64 s15, v98, v99
	s_or_b32 s17, s15, s17
	s_andn2_b32 exec_lo, exec_lo, s17
	s_cbranch_execnz .LBB829_106
; %bb.107:
	s_or_b32 exec_lo, exec_lo, s17
.LBB829_108:
	s_or_b32 exec_lo, exec_lo, s16
	v_add_nc_u32_e32 v97, v86, v97
	v_add_nc_u32_e32 v96, v98, v96
	v_sub_nc_u32_e32 v97, v97, v98
	v_cmp_le_u32_e64 s15, v96, v86
	v_cmp_le_u32_e64 s16, v97, v87
	s_or_b32 s15, s15, s16
	s_and_saveexec_b32 s26, s15
	s_cbranch_execz .LBB829_114
; %bb.109:
	v_cmp_lt_u32_e64 s15, v96, v86
                                        ; implicit-def: $vgpr0_vgpr1
	s_and_saveexec_b32 s16, s15
; %bb.110:
	v_lshl_add_u32 v0, v96, 3, v11
	ds_read_b64 v[0:1], v0
; %bb.111:
	s_or_b32 exec_lo, exec_lo, s16
	v_cmp_ge_u32_e64 s16, v97, v87
	s_mov_b32 s18, exec_lo
                                        ; implicit-def: $vgpr8_vgpr9
	v_cmpx_lt_u32_e64 v97, v87
; %bb.112:
	v_lshl_add_u32 v4, v97, 3, v11
	ds_read_b64 v[8:9], v4
; %bb.113:
	s_or_b32 exec_lo, exec_lo, s18
	s_waitcnt lgkmcnt(0)
	v_and_b32_e32 v5, v9, v69
	v_and_b32_e32 v4, v8, v68
	;; [unrolled: 1-line block ×4, first 2 shown]
	v_cmp_le_u64_e64 s17, v[16:17], v[4:5]
	s_and_b32 s15, s15, s17
	s_or_b32 s15, s16, s15
	v_cndmask_b32_e64 v18, v97, v96, s15
	v_cndmask_b32_e64 v4, v87, v86, s15
	v_add_nc_u32_e32 v19, 1, v18
	v_add_nc_u32_e32 v4, -1, v4
	v_lshl_add_u32 v18, v18, 3, v10
	v_cndmask_b32_e64 v20, v96, v19, s15
	v_min_u32_e32 v4, v19, v4
	v_cndmask_b32_e64 v19, v19, v97, s15
	v_cmp_lt_u32_e64 s17, v20, v86
	v_lshl_add_u32 v4, v4, 3, v11
	v_cmp_ge_u32_e64 s18, v19, v87
	ds_read_b64 v[4:5], v4
	s_waitcnt lgkmcnt(0)
	v_cndmask_b32_e64 v24, v5, v9, s15
	v_cndmask_b32_e64 v32, v4, v8, s15
	;; [unrolled: 1-line block ×5, first 2 shown]
	v_and_b32_e32 v5, v24, v69
	v_and_b32_e32 v4, v32, v68
	;; [unrolled: 1-line block ×4, first 2 shown]
	v_cndmask_b32_e64 v0, v8, v0, s15
	v_cmp_le_u64_e64 s16, v[16:17], v[4:5]
	s_and_b32 s16, s17, s16
	s_or_b32 s16, s18, s16
	v_cndmask_b32_e64 v21, v19, v20, s16
	v_cndmask_b32_e64 v4, v87, v86, s16
	v_add_nc_u32_e32 v22, 1, v21
	v_add_nc_u32_e32 v4, -1, v4
	v_cndmask_b32_e64 v20, v20, v22, s16
	v_min_u32_e32 v4, v22, v4
	v_cndmask_b32_e64 v19, v22, v19, s16
	v_cmp_lt_u32_e64 s18, v20, v86
	v_lshl_add_u32 v4, v4, 3, v11
	v_cmp_ge_u32_e64 s19, v19, v87
	ds_read_b64 v[4:5], v4
	s_waitcnt lgkmcnt(0)
	v_cndmask_b32_e64 v36, v5, v24, s16
	v_cndmask_b32_e64 v37, v4, v32, s16
	;; [unrolled: 1-line block ×5, first 2 shown]
	v_and_b32_e32 v5, v36, v69
	v_and_b32_e32 v4, v37, v68
	;; [unrolled: 1-line block ×4, first 2 shown]
	v_cndmask_b32_e64 v24, v32, v33, s16
	v_cmp_le_u64_e64 s17, v[16:17], v[4:5]
	s_and_b32 s17, s18, s17
	s_or_b32 s17, s19, s17
	v_cndmask_b32_e64 v22, v19, v20, s17
	v_cndmask_b32_e64 v4, v87, v86, s17
	v_cndmask_b32_e64 v33, v36, v38, s17
	v_cndmask_b32_e64 v32, v37, v39, s17
	v_add_nc_u32_e32 v23, 1, v22
	v_add_nc_u32_e32 v4, -1, v4
	v_cndmask_b32_e64 v20, v20, v23, s17
	v_min_u32_e32 v4, v23, v4
	v_cndmask_b32_e64 v19, v23, v19, s17
	v_cmp_lt_u32_e64 s19, v20, v86
	v_lshl_add_u32 v4, v4, 3, v11
	v_cmp_ge_u32_e64 s20, v19, v87
	ds_read_b64 v[4:5], v4
	s_waitcnt lgkmcnt(0)
	v_cndmask_b32_e64 v50, v5, v36, s17
	v_cndmask_b32_e64 v51, v4, v37, s17
	v_cndmask_b32_e64 v96, v38, v5, s17
	v_cndmask_b32_e64 v97, v39, v4, s17
	v_and_b32_e32 v5, v50, v69
	v_and_b32_e32 v4, v51, v68
	v_and_b32_e32 v17, v96, v69
	v_and_b32_e32 v16, v97, v68
	v_cmp_le_u64_e64 s18, v[16:17], v[4:5]
	s_and_b32 s18, s19, s18
	s_or_b32 s18, s20, s18
	v_cndmask_b32_e64 v26, v19, v20, s18
	v_cndmask_b32_e64 v4, v87, v86, s18
	v_cndmask_b32_e64 v39, v50, v96, s18
	v_cndmask_b32_e64 v38, v51, v97, s18
	v_add_nc_u32_e32 v23, 1, v26
	v_add_nc_u32_e32 v4, -1, v4
	v_cndmask_b32_e64 v20, v20, v23, s18
	v_min_u32_e32 v4, v23, v4
	v_cndmask_b32_e64 v19, v23, v19, s18
	v_cmp_lt_u32_e64 s20, v20, v86
	v_lshl_add_u32 v4, v4, 3, v11
	v_cmp_ge_u32_e64 s21, v19, v87
	ds_read_b64 v[4:5], v4
	s_waitcnt lgkmcnt(0)
	v_cndmask_b32_e64 v98, v5, v50, s18
	v_cndmask_b32_e64 v99, v4, v51, s18
	v_cndmask_b32_e64 v100, v96, v5, s18
	v_cndmask_b32_e64 v101, v97, v4, s18
	v_and_b32_e32 v5, v98, v69
	v_and_b32_e32 v4, v99, v68
	v_and_b32_e32 v17, v100, v69
	v_and_b32_e32 v16, v101, v68
	;; [unrolled: 25-line block ×3, first 2 shown]
	v_cmp_le_u64_e64 s20, v[16:17], v[4:5]
	s_and_b32 s20, s21, s20
	s_or_b32 s20, s22, s20
	v_cndmask_b32_e64 v28, v19, v20, s20
	v_cndmask_b32_e64 v4, v87, v86, s20
	v_add_nc_u32_e32 v23, 1, v28
	v_add_nc_u32_e32 v4, -1, v4
	v_cndmask_b32_e64 v20, v20, v23, s20
	v_min_u32_e32 v4, v23, v4
	v_cndmask_b32_e64 v19, v23, v19, s20
	v_cmp_lt_u32_e64 s22, v20, v86
	v_lshl_add_u32 v4, v4, 3, v11
	v_cmp_ge_u32_e64 s23, v19, v87
	ds_read_b64 v[4:5], v4
	s_waitcnt lgkmcnt(0)
	v_cndmask_b32_e64 v114, v5, v102, s20
	v_cndmask_b32_e64 v115, v4, v103, s20
	;; [unrolled: 1-line block ×4, first 2 shown]
	v_and_b32_e32 v5, v114, v69
	v_and_b32_e32 v4, v115, v68
	;; [unrolled: 1-line block ×4, first 2 shown]
	v_cmp_le_u64_e64 s21, v[16:17], v[4:5]
	s_and_b32 s21, s22, s21
	s_or_b32 s21, s23, s21
	v_cndmask_b32_e64 v29, v19, v20, s21
	v_cndmask_b32_e64 v4, v87, v86, s21
	;; [unrolled: 1-line block ×4, first 2 shown]
	v_add_nc_u32_e32 v23, 1, v29
	v_add_nc_u32_e32 v4, -1, v4
	v_cndmask_b32_e64 v9, v20, v23, s21
	v_min_u32_e32 v4, v23, v4
	v_cndmask_b32_e64 v19, v23, v19, s21
	v_lshl_add_u32 v20, v21, 3, v10
	v_cmp_lt_u32_e64 s23, v9, v86
	v_lshl_add_u32 v4, v4, 3, v11
	v_cmp_ge_u32_e64 s24, v19, v87
	ds_read_b64 v[4:5], v4
	s_waitcnt lgkmcnt(0)
	v_cndmask_b32_e64 v118, v5, v114, s21
	v_cndmask_b32_e64 v119, v4, v115, s21
	;; [unrolled: 1-line block ×4, first 2 shown]
	v_and_b32_e32 v5, v118, v69
	v_and_b32_e32 v4, v119, v68
	v_and_b32_e32 v17, v128, v69
	v_and_b32_e32 v16, v129, v68
	v_cmp_le_u64_e64 s22, v[16:17], v[4:5]
	v_lshl_add_u32 v16, v22, 3, v10
	ds_read_b64 v[4:5], v18
	ds_read_b64 v[20:21], v20
	v_lshl_add_u32 v17, v27, 3, v10
	v_lshl_add_u32 v18, v28, 3, v10
	s_and_b32 s22, s23, s22
	ds_read_b64 v[22:23], v16
	s_or_b32 s22, s24, s22
	v_lshl_add_u32 v16, v26, 3, v10
	v_cndmask_b32_e64 v9, v19, v9, s22
	v_lshl_add_u32 v19, v29, 3, v10
	v_cndmask_b32_e64 v8, v119, v129, s22
	v_lshl_add_u32 v9, v9, 3, v10
	ds_read_b64 v[26:27], v16
	ds_read_b64 v[28:29], v17
	;; [unrolled: 1-line block ×5, first 2 shown]
	v_cndmask_b32_e64 v19, v102, v112, s20
	v_cndmask_b32_e64 v18, v103, v113, s20
	;; [unrolled: 1-line block ×3, first 2 shown]
.LBB829_114:
	s_or_b32 exec_lo, exec_lo, s26
	v_and_b32_e32 v86, 0x80, v67
	; wave barrier
	ds_write_b64 v12, v[0:1]
	s_waitcnt lgkmcnt(8)
	ds_write_b64 v31, v[4:5]
	ds_write_b64 v84, v[24:25]
	s_waitcnt lgkmcnt(9)
	ds_write_b64 v85, v[20:21]
	s_mov_b32 s16, exec_lo
	v_or_b32_e32 v67, 64, v86
	ds_write_b64 v81, v[32:33]
	s_waitcnt lgkmcnt(10)
	ds_write_b64 v82, v[22:23]
	ds_write_b64 v83, v[38:39]
	s_waitcnt lgkmcnt(11)
	ds_write_b64 v70, v[26:27]
	;; [unrolled: 3-line block ×6, first 2 shown]
	v_min_u32_e32 v67, v30, v67
	; wave barrier
	v_add_nc_u32_e32 v87, 64, v67
	v_min_u32_e32 v12, v30, v87
	v_min_u32_e32 v30, v30, v66
	v_sub_nc_u32_e32 v66, v67, v86
	v_sub_nc_u32_e32 v31, v12, v67
	v_min_u32_e32 v66, v30, v66
	v_sub_nc_u32_e64 v31, v30, v31 clamp
	v_cmpx_lt_u32_e64 v31, v66
	s_cbranch_execz .LBB829_118
; %bb.115:
	v_lshlrev_b32_e32 v52, 3, v86
	v_lshlrev_b32_e32 v53, 3, v67
	s_mov_b32 s17, 0
	v_add_co_u32 v52, null, v11, v52
	v_add_co_u32 v53, null, v11, v53
	.p2align	6
.LBB829_116:                            ; =>This Inner Loop Header: Depth=1
	v_add_nc_u32_e32 v54, v66, v31
	v_lshrrev_b32_e32 v70, 1, v54
	v_xad_u32 v54, v70, -1, v30
	v_lshl_add_u32 v55, v70, 3, v52
	v_lshl_add_u32 v64, v54, 3, v53
	ds_read_b64 v[54:55], v55
	ds_read_b64 v[64:65], v64
	s_waitcnt lgkmcnt(1)
	v_and_b32_e32 v55, v55, v69
	v_and_b32_e32 v54, v54, v68
	s_waitcnt lgkmcnt(0)
	v_and_b32_e32 v65, v65, v69
	v_and_b32_e32 v64, v64, v68
	v_cmp_gt_u64_e64 s15, v[54:55], v[64:65]
	v_add_nc_u32_e32 v54, 1, v70
	v_cndmask_b32_e64 v66, v66, v70, s15
	v_cndmask_b32_e64 v31, v54, v31, s15
	v_cmp_ge_u32_e64 s15, v31, v66
	s_or_b32 s17, s15, s17
	s_andn2_b32 exec_lo, exec_lo, s17
	s_cbranch_execnz .LBB829_116
; %bb.117:
	s_or_b32 exec_lo, exec_lo, s17
.LBB829_118:
	s_or_b32 exec_lo, exec_lo, s16
	v_add_nc_u32_e32 v52, v67, v30
	v_add_nc_u32_e32 v30, v31, v86
	v_sub_nc_u32_e32 v31, v52, v31
	v_cmp_le_u32_e64 s15, v30, v67
	v_cmp_le_u32_e64 s16, v31, v12
	s_or_b32 s15, s15, s16
	s_and_saveexec_b32 s26, s15
	s_cbranch_execz .LBB829_124
; %bb.119:
	v_cmp_lt_u32_e64 s15, v30, v67
                                        ; implicit-def: $vgpr0_vgpr1
	s_and_saveexec_b32 s16, s15
; %bb.120:
	v_lshl_add_u32 v0, v30, 3, v11
	ds_read_b64 v[0:1], v0
; %bb.121:
	s_or_b32 exec_lo, exec_lo, s16
	v_cmp_ge_u32_e64 s16, v31, v12
	s_mov_b32 s18, exec_lo
                                        ; implicit-def: $vgpr8_vgpr9
	v_cmpx_lt_u32_e64 v31, v12
; %bb.122:
	v_lshl_add_u32 v4, v31, 3, v11
	ds_read_b64 v[8:9], v4
; %bb.123:
	s_or_b32 exec_lo, exec_lo, s18
	s_waitcnt lgkmcnt(0)
	v_and_b32_e32 v5, v9, v69
	v_and_b32_e32 v4, v8, v68
	;; [unrolled: 1-line block ×4, first 2 shown]
	v_cmp_le_u64_e64 s17, v[16:17], v[4:5]
	s_and_b32 s15, s15, s17
	s_or_b32 s15, s16, s15
	v_cndmask_b32_e64 v18, v31, v30, s15
	v_cndmask_b32_e64 v4, v12, v67, s15
	v_add_nc_u32_e32 v19, 1, v18
	v_add_nc_u32_e32 v4, -1, v4
	v_lshl_add_u32 v18, v18, 3, v10
	v_cndmask_b32_e64 v20, v30, v19, s15
	v_min_u32_e32 v4, v19, v4
	v_cndmask_b32_e64 v19, v19, v31, s15
	v_cmp_lt_u32_e64 s17, v20, v67
	v_lshl_add_u32 v4, v4, 3, v11
	v_cmp_ge_u32_e64 s18, v19, v12
	ds_read_b64 v[4:5], v4
	s_waitcnt lgkmcnt(0)
	v_cndmask_b32_e64 v24, v5, v9, s15
	v_cndmask_b32_e64 v32, v4, v8, s15
	;; [unrolled: 1-line block ×5, first 2 shown]
	v_and_b32_e32 v5, v24, v69
	v_and_b32_e32 v4, v32, v68
	v_and_b32_e32 v17, v25, v69
	v_and_b32_e32 v16, v33, v68
	v_cndmask_b32_e64 v0, v8, v0, s15
	v_cmp_le_u64_e64 s16, v[16:17], v[4:5]
	s_and_b32 s16, s17, s16
	s_or_b32 s16, s18, s16
	v_cndmask_b32_e64 v21, v19, v20, s16
	v_cndmask_b32_e64 v4, v12, v67, s16
	v_add_nc_u32_e32 v22, 1, v21
	v_add_nc_u32_e32 v4, -1, v4
	v_cndmask_b32_e64 v20, v20, v22, s16
	v_min_u32_e32 v4, v22, v4
	v_cndmask_b32_e64 v19, v22, v19, s16
	v_cmp_lt_u32_e64 s18, v20, v67
	v_lshl_add_u32 v4, v4, 3, v11
	v_cmp_ge_u32_e64 s19, v19, v12
	ds_read_b64 v[4:5], v4
	s_waitcnt lgkmcnt(0)
	v_cndmask_b32_e64 v30, v5, v24, s16
	v_cndmask_b32_e64 v31, v4, v32, s16
	;; [unrolled: 1-line block ×5, first 2 shown]
	v_and_b32_e32 v5, v30, v69
	v_and_b32_e32 v4, v31, v68
	;; [unrolled: 1-line block ×4, first 2 shown]
	v_cndmask_b32_e64 v24, v32, v33, s16
	v_cmp_le_u64_e64 s17, v[16:17], v[4:5]
	s_and_b32 s17, s18, s17
	s_or_b32 s17, s19, s17
	v_cndmask_b32_e64 v22, v19, v20, s17
	v_cndmask_b32_e64 v4, v12, v67, s17
	;; [unrolled: 1-line block ×4, first 2 shown]
	v_add_nc_u32_e32 v23, 1, v22
	v_add_nc_u32_e32 v4, -1, v4
	v_cndmask_b32_e64 v20, v20, v23, s17
	v_min_u32_e32 v4, v23, v4
	v_cndmask_b32_e64 v19, v23, v19, s17
	v_cmp_lt_u32_e64 s19, v20, v67
	v_lshl_add_u32 v4, v4, 3, v11
	v_cmp_ge_u32_e64 s20, v19, v12
	ds_read_b64 v[4:5], v4
	s_waitcnt lgkmcnt(0)
	v_cndmask_b32_e64 v38, v5, v30, s17
	v_cndmask_b32_e64 v50, v4, v31, s17
	;; [unrolled: 1-line block ×4, first 2 shown]
	v_and_b32_e32 v5, v38, v69
	v_and_b32_e32 v4, v50, v68
	;; [unrolled: 1-line block ×4, first 2 shown]
	v_cmp_le_u64_e64 s18, v[16:17], v[4:5]
	s_and_b32 s18, s19, s18
	s_or_b32 s18, s20, s18
	v_cndmask_b32_e64 v26, v19, v20, s18
	v_cndmask_b32_e64 v4, v12, v67, s18
	v_add_nc_u32_e32 v23, 1, v26
	v_add_nc_u32_e32 v4, -1, v4
	v_cndmask_b32_e64 v20, v20, v23, s18
	v_min_u32_e32 v4, v23, v4
	v_cndmask_b32_e64 v19, v23, v19, s18
	v_cmp_lt_u32_e64 s20, v20, v67
	v_lshl_add_u32 v4, v4, 3, v11
	v_cmp_ge_u32_e64 s21, v19, v12
	ds_read_b64 v[4:5], v4
	s_waitcnt lgkmcnt(0)
	v_cndmask_b32_e64 v52, v5, v38, s18
	v_cndmask_b32_e64 v53, v4, v50, s18
	;; [unrolled: 1-line block ×5, first 2 shown]
	v_and_b32_e32 v5, v52, v69
	v_and_b32_e32 v4, v53, v68
	;; [unrolled: 1-line block ×4, first 2 shown]
	v_cndmask_b32_e64 v38, v50, v51, s18
	v_cmp_le_u64_e64 s19, v[16:17], v[4:5]
	s_and_b32 s19, s20, s19
	s_or_b32 s19, s21, s19
	v_cndmask_b32_e64 v27, v19, v20, s19
	v_cndmask_b32_e64 v4, v12, v67, s19
	;; [unrolled: 1-line block ×4, first 2 shown]
	v_add_nc_u32_e32 v23, 1, v27
	v_add_nc_u32_e32 v4, -1, v4
	v_cndmask_b32_e64 v20, v20, v23, s19
	v_min_u32_e32 v4, v23, v4
	v_cndmask_b32_e64 v19, v23, v19, s19
	v_cmp_lt_u32_e64 s21, v20, v67
	v_lshl_add_u32 v4, v4, 3, v11
	v_cmp_ge_u32_e64 s22, v19, v12
	ds_read_b64 v[4:5], v4
	s_waitcnt lgkmcnt(0)
	v_cndmask_b32_e64 v64, v5, v52, s19
	v_cndmask_b32_e64 v65, v4, v53, s19
	v_cndmask_b32_e64 v66, v54, v5, s19
	v_cndmask_b32_e64 v70, v55, v4, s19
	v_and_b32_e32 v5, v64, v69
	v_and_b32_e32 v4, v65, v68
	;; [unrolled: 1-line block ×4, first 2 shown]
	v_cmp_le_u64_e64 s20, v[16:17], v[4:5]
	s_and_b32 s20, s21, s20
	s_or_b32 s20, s22, s20
	v_cndmask_b32_e64 v28, v19, v20, s20
	v_cndmask_b32_e64 v4, v12, v67, s20
	v_add_nc_u32_e32 v23, 1, v28
	v_add_nc_u32_e32 v4, -1, v4
	v_cndmask_b32_e64 v20, v20, v23, s20
	v_min_u32_e32 v4, v23, v4
	v_cndmask_b32_e64 v19, v23, v19, s20
	v_cmp_lt_u32_e64 s22, v20, v67
	v_lshl_add_u32 v4, v4, 3, v11
	v_cmp_ge_u32_e64 s23, v19, v12
	ds_read_b64 v[4:5], v4
	s_waitcnt lgkmcnt(0)
	v_cndmask_b32_e64 v71, v5, v64, s20
	v_cndmask_b32_e64 v80, v4, v65, s20
	v_cndmask_b32_e64 v81, v66, v5, s20
	v_cndmask_b32_e64 v82, v70, v4, s20
	v_and_b32_e32 v5, v71, v69
	v_and_b32_e32 v4, v80, v68
	;; [unrolled: 1-line block ×4, first 2 shown]
	v_cmp_le_u64_e64 s21, v[16:17], v[4:5]
	s_and_b32 s21, s22, s21
	s_or_b32 s21, s23, s21
	v_cndmask_b32_e64 v29, v19, v20, s21
	v_cndmask_b32_e64 v4, v12, v67, s21
	;; [unrolled: 1-line block ×4, first 2 shown]
	v_add_nc_u32_e32 v23, 1, v29
	v_add_nc_u32_e32 v4, -1, v4
	v_cndmask_b32_e64 v9, v20, v23, s21
	v_min_u32_e32 v4, v23, v4
	v_cndmask_b32_e64 v19, v23, v19, s21
	v_lshl_add_u32 v20, v21, 3, v10
	v_cmp_lt_u32_e64 s23, v9, v67
	v_lshl_add_u32 v4, v4, 3, v11
	v_cmp_ge_u32_e64 s24, v19, v12
	v_lshl_add_u32 v12, v26, 3, v10
	ds_read_b64 v[4:5], v4
	s_waitcnt lgkmcnt(0)
	v_cndmask_b32_e64 v11, v5, v71, s21
	v_cndmask_b32_e64 v83, v4, v80, s21
	;; [unrolled: 1-line block ×4, first 2 shown]
	v_and_b32_e32 v5, v11, v69
	v_and_b32_e32 v4, v83, v68
	v_and_b32_e32 v17, v84, v69
	v_and_b32_e32 v16, v85, v68
	v_cmp_le_u64_e64 s22, v[16:17], v[4:5]
	v_lshl_add_u32 v16, v22, 3, v10
	ds_read_b64 v[4:5], v18
	ds_read_b64 v[20:21], v20
	v_lshl_add_u32 v17, v28, 3, v10
	v_lshl_add_u32 v18, v29, 3, v10
	s_and_b32 s22, s23, s22
	ds_read_b64 v[22:23], v16
	s_or_b32 s22, s24, s22
	v_lshl_add_u32 v16, v27, 3, v10
	v_cndmask_b32_e64 v9, v19, v9, s22
	v_cndmask_b32_e64 v19, v64, v66, s20
	;; [unrolled: 1-line block ×3, first 2 shown]
	v_lshl_add_u32 v9, v9, 3, v10
	ds_read_b64 v[26:27], v12
	ds_read_b64 v[28:29], v16
	;; [unrolled: 1-line block ×5, first 2 shown]
	v_cndmask_b32_e64 v18, v65, v70, s20
	v_cndmask_b32_e64 v9, v11, v84, s22
.LBB829_124:
	s_or_b32 exec_lo, exec_lo, s26
	; wave barrier
	s_waitcnt lgkmcnt(0)
	s_waitcnt_vscnt null, 0x0
	s_barrier
                                        ; implicit-def: $vgpr67
                                        ; implicit-def: $vgpr12
                                        ; implicit-def: $vgpr66
                                        ; implicit-def: $vgpr52
                                        ; implicit-def: $vgpr53
                                        ; implicit-def: $vgpr30
.LBB829_125:
	s_andn2_saveexec_b32 s21, s25
	s_cbranch_execz .LBB829_225
; %bb.126:
	s_load_dwordx2 s[16:17], s[8:9], 0x0
	v_mov_b32_e32 v10, 0
	s_waitcnt lgkmcnt(0)
	s_cmp_lt_u32 s13, s17
	s_cselect_b32 s13, 14, 20
	s_add_u32 s18, s8, s13
	s_addc_u32 s19, s9, 0
	s_cmp_lt_u32 s12, s16
	global_load_ushort v11, v10, s[18:19]
	s_cselect_b32 s12, 12, 18
	s_add_u32 s8, s8, s12
	s_addc_u32 s9, s9, 0
	global_load_ushort v10, v10, s[8:9]
	s_mov_b32 s9, exec_lo
	s_waitcnt vmcnt(1)
	v_mad_u32_u24 v11, v53, v11, v52
	s_waitcnt vmcnt(0)
	v_mul_lo_u32 v10, v11, v10
	v_add_lshl_u32 v68, v10, v30, 3
	v_cmpx_gt_u32_e32 0x800, v68
	s_cbranch_execz .LBB829_184
; %bb.127:
	v_mov_b32_e32 v10, v24
	v_mov_b32_e32 v31, v21
	v_mov_b32_e32 v11, v25
	v_mov_b32_e32 v30, v20
	s_mov_b32 s12, exec_lo
	v_cmpx_gt_i64_e64 v[0:1], v[24:25]
	s_cbranch_execz .LBB829_129
; %bb.128:
	v_mov_b32_e32 v11, v1
	v_mov_b32_e32 v31, v5
	v_mov_b32_e32 v10, v0
	v_mov_b32_e32 v0, v24
	v_mov_b32_e32 v30, v4
	v_mov_b32_e32 v4, v20
	v_mov_b32_e32 v1, v25
	v_mov_b32_e32 v5, v21
.LBB829_129:
	s_or_b32 exec_lo, exec_lo, s12
	v_mov_b32_e32 v65, v39
	v_mov_b32_e32 v53, v27
	v_mov_b32_e32 v64, v38
	v_mov_b32_e32 v52, v26
	s_mov_b32 s12, exec_lo
	v_cmpx_gt_i64_e64 v[32:33], v[38:39]
	s_cbranch_execz .LBB829_131
; %bb.130:
	v_mov_b32_e32 v65, v33
	v_mov_b32_e32 v53, v23
	v_mov_b32_e32 v64, v32
	v_mov_b32_e32 v32, v38
	v_mov_b32_e32 v52, v22
	v_mov_b32_e32 v22, v26
	v_mov_b32_e32 v33, v39
	v_mov_b32_e32 v23, v27
.LBB829_131:
	s_or_b32 exec_lo, exec_lo, s12
	;; [unrolled: 18-line block ×4, first 2 shown]
	v_cmp_gt_i64_e64 s8, v[10:11], v[32:33]
	v_mov_b32_e32 v26, v32
	v_mov_b32_e32 v35, v23
	;; [unrolled: 1-line block ×4, first 2 shown]
	s_and_saveexec_b32 s12, s8
	s_xor_b32 s8, exec_lo, s12
	s_cbranch_execz .LBB829_137
; %bb.136:
	v_mov_b32_e32 v27, v11
	v_mov_b32_e32 v35, v31
	v_mov_b32_e32 v26, v10
	v_mov_b32_e32 v10, v32
	v_mov_b32_e32 v34, v30
	v_mov_b32_e32 v31, v23
	v_mov_b32_e32 v11, v33
	v_mov_b32_e32 v30, v22
.LBB829_137:
	s_or_b32 exec_lo, exec_lo, s8
	v_mov_b32_e32 v50, v64
	v_mov_b32_e32 v33, v29
	v_mov_b32_e32 v51, v65
	v_mov_b32_e32 v32, v28
	s_mov_b32 s12, exec_lo
	v_cmpx_gt_i64_e64 v[64:65], v[54:55]
	s_cbranch_execz .LBB829_139
; %bb.138:
	v_mov_b32_e32 v50, v54
	v_mov_b32_e32 v32, v52
	v_mov_b32_e32 v51, v55
	v_mov_b32_e32 v33, v53
	v_mov_b32_e32 v53, v29
	v_mov_b32_e32 v54, v64
	v_mov_b32_e32 v52, v28
	v_mov_b32_e32 v55, v65
.LBB829_139:
	s_or_b32 exec_lo, exec_lo, s12
	v_mov_b32_e32 v23, v17
	v_mov_b32_e32 v29, v19
	v_mov_b32_e32 v22, v16
	v_mov_b32_e32 v28, v18
	s_mov_b32 s12, exec_lo
	v_cmpx_gt_i64_e64 v[18:19], v[36:37]
	;; [unrolled: 18-line block ×23, first 2 shown]
	s_cbranch_execz .LBB829_183
; %bb.182:
	v_mov_b32_e32 v51, v19
	v_mov_b32_e32 v49, v17
	;; [unrolled: 1-line block ×8, first 2 shown]
.LBB829_183:
	s_or_b32 exec_lo, exec_lo, s12
.LBB829_184:
	s_or_b32 exec_lo, exec_lo, s9
	v_and_b32_e32 v10, 0xffffff00, v68
	v_or_b32_e32 v31, 8, v67
	v_mov_b32_e32 v11, 0
	v_and_b32_e32 v53, 8, v67
	v_and_b32_e32 v86, 0xf0, v67
	v_sub_nc_u32_e64 v30, 0x800, v10 clamp
	s_mov_b32 s9, exec_lo
	v_lshlrev_b64 v[10:11], 3, v[10:11]
	v_min_u32_e32 v84, v30, v31
	v_lshlrev_b32_e32 v31, 3, v67
	v_min_u32_e32 v87, v30, v53
	v_add_co_u32 v11, null, v12, v10
	v_add_nc_u32_e32 v52, 8, v84
	v_add_co_u32 v10, null, 0x4000, v11
	v_min_u32_e32 v85, v30, v52
	v_sub_nc_u32_e32 v52, v84, v86
	v_add_nc_u32_e32 v12, v11, v31
	v_add_nc_u32_e32 v31, v10, v31
	v_sub_nc_u32_e32 v53, v85, v84
	v_min_u32_e32 v52, v87, v52
	ds_write_b64 v12, v[0:1]
	ds_write_b64 v31, v[4:5]
	ds_write_b64 v12, v[24:25] offset:8
	ds_write_b64 v31, v[20:21] offset:8
	;; [unrolled: 1-line block ×14, first 2 shown]
	v_sub_nc_u32_e64 v96, v87, v53 clamp
	; wave barrier
	v_cmpx_lt_u32_e64 v96, v52
	s_cbranch_execz .LBB829_188
; %bb.185:
	v_lshlrev_b32_e32 v53, 3, v86
	v_lshlrev_b32_e32 v54, 3, v84
	s_mov_b32 s12, 0
	v_add_co_u32 v53, null, v11, v53
	v_add_co_u32 v54, null, v11, v54
	.p2align	6
.LBB829_186:                            ; =>This Inner Loop Header: Depth=1
	v_add_nc_u32_e32 v55, v52, v96
	v_lshrrev_b32_e32 v55, 1, v55
	v_xad_u32 v64, v55, -1, v87
	v_lshl_add_u32 v65, v55, 3, v53
	v_lshl_add_u32 v68, v64, 3, v54
	ds_read_b64 v[64:65], v65
	ds_read_b64 v[68:69], v68
	s_waitcnt lgkmcnt(0)
	v_cmp_gt_i64_e64 s8, v[64:65], v[68:69]
	v_add_nc_u32_e32 v64, 1, v55
	v_cndmask_b32_e64 v52, v52, v55, s8
	v_cndmask_b32_e64 v96, v64, v96, s8
	v_cmp_ge_u32_e64 s8, v96, v52
	s_or_b32 s12, s8, s12
	s_andn2_b32 exec_lo, exec_lo, s12
	s_cbranch_execnz .LBB829_186
; %bb.187:
	s_or_b32 exec_lo, exec_lo, s12
.LBB829_188:
	s_or_b32 exec_lo, exec_lo, s9
	v_add_nc_u32_e32 v87, v84, v87
	v_add_nc_u32_e32 v86, v96, v86
	;; [unrolled: 1-line block ×5, first 2 shown]
	v_sub_nc_u32_e32 v87, v87, v96
	v_cmp_le_u32_e64 s8, v86, v84
	v_add_nc_u32_e32 v80, 16, v31
	v_add_nc_u32_e32 v81, 24, v12
	;; [unrolled: 1-line block ×3, first 2 shown]
	v_cmp_le_u32_e64 s9, v87, v85
	v_add_nc_u32_e32 v69, 32, v12
	v_add_nc_u32_e32 v70, 32, v31
	v_add_nc_u32_e32 v54, 40, v12
	v_add_nc_u32_e32 v55, 40, v31
	v_add_nc_u32_e32 v64, 48, v12
	v_add_nc_u32_e32 v65, 48, v31
	v_add_nc_u32_e32 v52, 56, v12
	v_add_nc_u32_e32 v53, 56, v31
	s_or_b32 s8, s8, s9
	s_and_saveexec_b32 s22, s8
	s_cbranch_execz .LBB829_194
; %bb.189:
	v_cmp_lt_u32_e64 s8, v86, v84
                                        ; implicit-def: $vgpr0_vgpr1
	s_and_saveexec_b32 s9, s8
; %bb.190:
	v_lshl_add_u32 v0, v86, 3, v11
	ds_read_b64 v[0:1], v0
; %bb.191:
	s_or_b32 exec_lo, exec_lo, s9
	v_cmp_ge_u32_e64 s9, v87, v85
	s_mov_b32 s13, exec_lo
                                        ; implicit-def: $vgpr8_vgpr9
	v_cmpx_lt_u32_e64 v87, v85
; %bb.192:
	v_lshl_add_u32 v4, v87, 3, v11
	ds_read_b64 v[8:9], v4
; %bb.193:
	s_or_b32 exec_lo, exec_lo, s13
	s_waitcnt lgkmcnt(0)
	v_cmp_le_i64_e64 s12, v[0:1], v[8:9]
	s_and_b32 s8, s8, s12
	s_or_b32 s8, s9, s8
	v_cndmask_b32_e64 v16, v87, v86, s8
	v_cndmask_b32_e64 v4, v85, v84, s8
	v_add_nc_u32_e32 v17, 1, v16
	v_add_nc_u32_e32 v4, -1, v4
	v_cndmask_b32_e64 v20, v86, v17, s8
	v_min_u32_e32 v4, v17, v4
	v_cndmask_b32_e64 v17, v17, v87, s8
	v_cmp_lt_u32_e64 s12, v20, v84
	v_lshl_add_u32 v4, v4, 3, v11
	v_cmp_ge_u32_e64 s13, v17, v85
	ds_read_b64 v[4:5], v4
	s_waitcnt lgkmcnt(0)
	v_cndmask_b32_e64 v19, v5, v9, s8
	v_cndmask_b32_e64 v18, v4, v8, s8
	;; [unrolled: 1-line block ×6, first 2 shown]
	v_cmp_le_i64_e64 s9, v[24:25], v[18:19]
	s_and_b32 s9, s12, s9
	s_or_b32 s9, s13, s9
	v_cndmask_b32_e64 v21, v17, v20, s9
	v_cndmask_b32_e64 v4, v85, v84, s9
	v_add_nc_u32_e32 v22, 1, v21
	v_add_nc_u32_e32 v4, -1, v4
	v_cndmask_b32_e64 v20, v20, v22, s9
	v_min_u32_e32 v4, v22, v4
	v_cndmask_b32_e64 v17, v22, v17, s9
	v_cmp_lt_u32_e64 s13, v20, v84
	v_lshl_add_u32 v4, v4, 3, v11
	v_cmp_ge_u32_e64 s15, v17, v85
	ds_read_b64 v[4:5], v4
	s_waitcnt lgkmcnt(0)
	v_cndmask_b32_e64 v33, v5, v19, s9
	v_cndmask_b32_e64 v32, v4, v18, s9
	;; [unrolled: 1-line block ×6, first 2 shown]
	v_cmp_le_i64_e64 s12, v[36:37], v[32:33]
	s_and_b32 s12, s13, s12
	s_or_b32 s12, s15, s12
	v_cndmask_b32_e64 v22, v17, v20, s12
	v_cndmask_b32_e64 v4, v85, v84, s12
	v_add_nc_u32_e32 v23, 1, v22
	v_add_nc_u32_e32 v4, -1, v4
	v_lshl_add_u32 v22, v22, 3, v10
	v_cndmask_b32_e64 v20, v20, v23, s12
	v_min_u32_e32 v4, v23, v4
	v_cndmask_b32_e64 v17, v23, v17, s12
	v_cmp_lt_u32_e64 s15, v20, v84
	v_lshl_add_u32 v4, v4, 3, v11
	v_cmp_ge_u32_e64 s16, v17, v85
	ds_read_b64 v[4:5], v4
	s_waitcnt lgkmcnt(0)
	v_cndmask_b32_e64 v39, v5, v33, s12
	v_cndmask_b32_e64 v38, v4, v32, s12
	;; [unrolled: 1-line block ×6, first 2 shown]
	v_cmp_le_i64_e64 s13, v[50:51], v[38:39]
	s_and_b32 s13, s15, s13
	s_or_b32 s13, s16, s13
	v_cndmask_b32_e64 v26, v17, v20, s13
	v_cndmask_b32_e64 v4, v85, v84, s13
	v_add_nc_u32_e32 v23, 1, v26
	v_add_nc_u32_e32 v4, -1, v4
	v_cndmask_b32_e64 v20, v20, v23, s13
	v_min_u32_e32 v4, v23, v4
	v_cndmask_b32_e64 v17, v23, v17, s13
	v_cmp_lt_u32_e64 s16, v20, v84
	v_lshl_add_u32 v4, v4, 3, v11
	v_cmp_ge_u32_e64 s17, v17, v85
	ds_read_b64 v[4:5], v4
	s_waitcnt lgkmcnt(0)
	v_cndmask_b32_e64 v87, v5, v39, s13
	v_cndmask_b32_e64 v86, v4, v38, s13
	;; [unrolled: 1-line block ×6, first 2 shown]
	v_cmp_le_i64_e64 s15, v[96:97], v[86:87]
	s_and_b32 s15, s16, s15
	s_or_b32 s15, s17, s15
	v_cndmask_b32_e64 v27, v17, v20, s15
	v_cndmask_b32_e64 v4, v85, v84, s15
	;; [unrolled: 1-line block ×4, first 2 shown]
	v_add_nc_u32_e32 v23, 1, v27
	v_add_nc_u32_e32 v4, -1, v4
	v_cndmask_b32_e64 v20, v20, v23, s15
	v_min_u32_e32 v4, v23, v4
	v_cndmask_b32_e64 v17, v23, v17, s15
	v_cmp_lt_u32_e64 s17, v20, v84
	v_lshl_add_u32 v4, v4, 3, v11
	v_cmp_ge_u32_e64 s18, v17, v85
	ds_read_b64 v[4:5], v4
	s_waitcnt lgkmcnt(0)
	v_cndmask_b32_e64 v99, v5, v87, s15
	v_cndmask_b32_e64 v98, v4, v86, s15
	;; [unrolled: 1-line block ×4, first 2 shown]
	v_cmp_le_i64_e64 s16, v[100:101], v[98:99]
	s_and_b32 s16, s17, s16
	s_or_b32 s16, s18, s16
	v_cndmask_b32_e64 v28, v17, v20, s16
	v_cndmask_b32_e64 v4, v85, v84, s16
	;; [unrolled: 1-line block ×4, first 2 shown]
	v_add_nc_u32_e32 v23, 1, v28
	v_add_nc_u32_e32 v4, -1, v4
	v_lshl_add_u32 v34, v28, 3, v10
	v_cndmask_b32_e64 v20, v20, v23, s16
	v_min_u32_e32 v4, v23, v4
	v_cndmask_b32_e64 v17, v23, v17, s16
	v_cmp_lt_u32_e64 s18, v20, v84
	v_lshl_add_u32 v4, v4, 3, v11
	v_cmp_ge_u32_e64 s19, v17, v85
	ds_read_b64 v[4:5], v4
	s_waitcnt lgkmcnt(0)
	v_cndmask_b32_e64 v103, v5, v99, s16
	v_cndmask_b32_e64 v102, v4, v98, s16
	;; [unrolled: 1-line block ×4, first 2 shown]
	v_cmp_le_i64_e64 s17, v[112:113], v[102:103]
	s_and_b32 s17, s18, s17
	s_or_b32 s17, s19, s17
	v_cndmask_b32_e64 v29, v17, v20, s17
	v_cndmask_b32_e64 v4, v85, v84, s17
	;; [unrolled: 1-line block ×4, first 2 shown]
	v_add_nc_u32_e32 v23, 1, v29
	v_add_nc_u32_e32 v4, -1, v4
	v_lshl_add_u32 v35, v29, 3, v10
	v_cndmask_b32_e64 v9, v20, v23, s17
	v_min_u32_e32 v4, v23, v4
	v_cmp_lt_u32_e64 s19, v9, v84
	v_lshl_add_u32 v4, v4, 3, v11
	ds_read_b64 v[4:5], v4
	s_waitcnt lgkmcnt(0)
	v_cndmask_b32_e64 v115, v5, v103, s17
	v_cndmask_b32_e64 v114, v4, v102, s17
	;; [unrolled: 1-line block ×4, first 2 shown]
	v_lshl_add_u32 v4, v16, 3, v10
	v_cndmask_b32_e64 v16, v23, v17, s17
	v_lshl_add_u32 v17, v21, 3, v10
	ds_read_b64 v[4:5], v4
	ds_read_b64 v[20:21], v17
	v_cmp_le_i64_e64 s18, v[116:117], v[114:115]
	v_cmp_ge_u32_e64 s20, v16, v85
	v_lshl_add_u32 v17, v27, 3, v10
	ds_read_b64 v[22:23], v22
	s_and_b32 s18, s19, s18
	s_or_b32 s18, s20, s18
	v_cndmask_b32_e64 v9, v16, v9, s18
	v_lshl_add_u32 v16, v26, 3, v10
	v_cndmask_b32_e64 v8, v114, v116, s18
	v_lshl_add_u32 v9, v9, 3, v10
	ds_read_b64 v[26:27], v16
	ds_read_b64 v[28:29], v17
	;; [unrolled: 1-line block ×5, first 2 shown]
	v_cndmask_b32_e64 v9, v115, v117, s18
.LBB829_194:
	s_or_b32 exec_lo, exec_lo, s22
	v_and_b32_e32 v86, 0xe0, v67
	v_and_b32_e32 v87, 24, v67
	s_mov_b32 s9, exec_lo
	; wave barrier
	v_or_b32_e32 v84, 16, v86
	v_min_u32_e32 v87, v30, v87
	ds_write_b64 v12, v[0:1]
	s_waitcnt lgkmcnt(8)
	ds_write_b64 v31, v[4:5]
	ds_write_b64 v82, v[24:25]
	s_waitcnt lgkmcnt(9)
	ds_write_b64 v83, v[20:21]
	;; [unrolled: 3-line block ×3, first 2 shown]
	ds_write_b64 v81, v[38:39]
	v_min_u32_e32 v84, v30, v84
	s_waitcnt lgkmcnt(11)
	ds_write_b64 v68, v[26:27]
	ds_write_b64 v69, v[36:37]
	s_waitcnt lgkmcnt(12)
	ds_write_b64 v70, v[28:29]
	ds_write_b64 v54, v[18:19]
	;; [unrolled: 3-line block ×4, first 2 shown]
	s_waitcnt lgkmcnt(15)
	ds_write_b64 v53, v[34:35]
	; wave barrier
	v_add_nc_u32_e32 v85, 16, v84
	v_sub_nc_u32_e32 v97, v84, v86
	v_min_u32_e32 v85, v30, v85
	v_min_u32_e32 v97, v87, v97
	v_sub_nc_u32_e32 v96, v85, v84
	v_sub_nc_u32_e64 v96, v87, v96 clamp
	v_cmpx_lt_u32_e64 v96, v97
	s_cbranch_execz .LBB829_198
; %bb.195:
	v_lshlrev_b32_e32 v98, 3, v86
	v_lshlrev_b32_e32 v99, 3, v84
	s_mov_b32 s12, 0
	v_add_co_u32 v98, null, v11, v98
	v_add_co_u32 v99, null, v11, v99
	.p2align	6
.LBB829_196:                            ; =>This Inner Loop Header: Depth=1
	v_add_nc_u32_e32 v100, v97, v96
	v_lshrrev_b32_e32 v112, 1, v100
	v_xad_u32 v100, v112, -1, v87
	v_lshl_add_u32 v101, v112, 3, v98
	v_lshl_add_u32 v102, v100, 3, v99
	ds_read_b64 v[100:101], v101
	ds_read_b64 v[102:103], v102
	s_waitcnt lgkmcnt(0)
	v_cmp_gt_i64_e64 s8, v[100:101], v[102:103]
	v_add_nc_u32_e32 v100, 1, v112
	v_cndmask_b32_e64 v97, v97, v112, s8
	v_cndmask_b32_e64 v96, v100, v96, s8
	v_cmp_ge_u32_e64 s8, v96, v97
	s_or_b32 s12, s8, s12
	s_andn2_b32 exec_lo, exec_lo, s12
	s_cbranch_execnz .LBB829_196
; %bb.197:
	s_or_b32 exec_lo, exec_lo, s12
.LBB829_198:
	s_or_b32 exec_lo, exec_lo, s9
	v_add_nc_u32_e32 v87, v84, v87
	v_add_nc_u32_e32 v86, v96, v86
	v_sub_nc_u32_e32 v87, v87, v96
	v_cmp_le_u32_e64 s8, v86, v84
	v_cmp_le_u32_e64 s9, v87, v85
	s_or_b32 s8, s8, s9
	s_and_saveexec_b32 s22, s8
	s_cbranch_execz .LBB829_204
; %bb.199:
	v_cmp_lt_u32_e64 s8, v86, v84
                                        ; implicit-def: $vgpr0_vgpr1
	s_and_saveexec_b32 s9, s8
; %bb.200:
	v_lshl_add_u32 v0, v86, 3, v11
	ds_read_b64 v[0:1], v0
; %bb.201:
	s_or_b32 exec_lo, exec_lo, s9
	v_cmp_ge_u32_e64 s9, v87, v85
	s_mov_b32 s13, exec_lo
                                        ; implicit-def: $vgpr8_vgpr9
	v_cmpx_lt_u32_e64 v87, v85
; %bb.202:
	v_lshl_add_u32 v4, v87, 3, v11
	ds_read_b64 v[8:9], v4
; %bb.203:
	s_or_b32 exec_lo, exec_lo, s13
	s_waitcnt lgkmcnt(0)
	v_cmp_le_i64_e64 s12, v[0:1], v[8:9]
	s_and_b32 s8, s8, s12
	s_or_b32 s8, s9, s8
	v_cndmask_b32_e64 v16, v87, v86, s8
	v_cndmask_b32_e64 v4, v85, v84, s8
	v_add_nc_u32_e32 v17, 1, v16
	v_add_nc_u32_e32 v4, -1, v4
	v_cndmask_b32_e64 v20, v86, v17, s8
	v_min_u32_e32 v4, v17, v4
	v_cndmask_b32_e64 v17, v17, v87, s8
	v_cmp_lt_u32_e64 s12, v20, v84
	v_lshl_add_u32 v4, v4, 3, v11
	v_cmp_ge_u32_e64 s13, v17, v85
	ds_read_b64 v[4:5], v4
	s_waitcnt lgkmcnt(0)
	v_cndmask_b32_e64 v19, v5, v9, s8
	v_cndmask_b32_e64 v18, v4, v8, s8
	;; [unrolled: 1-line block ×6, first 2 shown]
	v_cmp_le_i64_e64 s9, v[24:25], v[18:19]
	s_and_b32 s9, s12, s9
	s_or_b32 s9, s13, s9
	v_cndmask_b32_e64 v21, v17, v20, s9
	v_cndmask_b32_e64 v4, v85, v84, s9
	v_add_nc_u32_e32 v22, 1, v21
	v_add_nc_u32_e32 v4, -1, v4
	v_cndmask_b32_e64 v20, v20, v22, s9
	v_min_u32_e32 v4, v22, v4
	v_cndmask_b32_e64 v17, v22, v17, s9
	v_cmp_lt_u32_e64 s13, v20, v84
	v_lshl_add_u32 v4, v4, 3, v11
	v_cmp_ge_u32_e64 s15, v17, v85
	ds_read_b64 v[4:5], v4
	s_waitcnt lgkmcnt(0)
	v_cndmask_b32_e64 v33, v5, v19, s9
	v_cndmask_b32_e64 v32, v4, v18, s9
	;; [unrolled: 1-line block ×6, first 2 shown]
	v_cmp_le_i64_e64 s12, v[36:37], v[32:33]
	s_and_b32 s12, s13, s12
	s_or_b32 s12, s15, s12
	v_cndmask_b32_e64 v22, v17, v20, s12
	v_cndmask_b32_e64 v4, v85, v84, s12
	v_add_nc_u32_e32 v23, 1, v22
	v_add_nc_u32_e32 v4, -1, v4
	v_lshl_add_u32 v22, v22, 3, v10
	v_cndmask_b32_e64 v20, v20, v23, s12
	v_min_u32_e32 v4, v23, v4
	v_cndmask_b32_e64 v17, v23, v17, s12
	v_cmp_lt_u32_e64 s15, v20, v84
	v_lshl_add_u32 v4, v4, 3, v11
	v_cmp_ge_u32_e64 s16, v17, v85
	ds_read_b64 v[4:5], v4
	s_waitcnt lgkmcnt(0)
	v_cndmask_b32_e64 v39, v5, v33, s12
	v_cndmask_b32_e64 v38, v4, v32, s12
	;; [unrolled: 1-line block ×6, first 2 shown]
	v_cmp_le_i64_e64 s13, v[50:51], v[38:39]
	s_and_b32 s13, s15, s13
	s_or_b32 s13, s16, s13
	v_cndmask_b32_e64 v26, v17, v20, s13
	v_cndmask_b32_e64 v4, v85, v84, s13
	v_add_nc_u32_e32 v23, 1, v26
	v_add_nc_u32_e32 v4, -1, v4
	v_cndmask_b32_e64 v20, v20, v23, s13
	v_min_u32_e32 v4, v23, v4
	v_cndmask_b32_e64 v17, v23, v17, s13
	v_cmp_lt_u32_e64 s16, v20, v84
	v_lshl_add_u32 v4, v4, 3, v11
	v_cmp_ge_u32_e64 s17, v17, v85
	ds_read_b64 v[4:5], v4
	s_waitcnt lgkmcnt(0)
	v_cndmask_b32_e64 v87, v5, v39, s13
	v_cndmask_b32_e64 v86, v4, v38, s13
	;; [unrolled: 1-line block ×6, first 2 shown]
	v_cmp_le_i64_e64 s15, v[96:97], v[86:87]
	s_and_b32 s15, s16, s15
	s_or_b32 s15, s17, s15
	v_cndmask_b32_e64 v27, v17, v20, s15
	v_cndmask_b32_e64 v4, v85, v84, s15
	v_cndmask_b32_e64 v37, v87, v97, s15
	v_cndmask_b32_e64 v36, v86, v96, s15
	v_add_nc_u32_e32 v23, 1, v27
	v_add_nc_u32_e32 v4, -1, v4
	v_cndmask_b32_e64 v20, v20, v23, s15
	v_min_u32_e32 v4, v23, v4
	v_cndmask_b32_e64 v17, v23, v17, s15
	v_cmp_lt_u32_e64 s17, v20, v84
	v_lshl_add_u32 v4, v4, 3, v11
	v_cmp_ge_u32_e64 s18, v17, v85
	ds_read_b64 v[4:5], v4
	s_waitcnt lgkmcnt(0)
	v_cndmask_b32_e64 v99, v5, v87, s15
	v_cndmask_b32_e64 v98, v4, v86, s15
	;; [unrolled: 1-line block ×4, first 2 shown]
	v_cmp_le_i64_e64 s16, v[100:101], v[98:99]
	s_and_b32 s16, s17, s16
	s_or_b32 s16, s18, s16
	v_cndmask_b32_e64 v28, v17, v20, s16
	v_cndmask_b32_e64 v4, v85, v84, s16
	;; [unrolled: 1-line block ×4, first 2 shown]
	v_add_nc_u32_e32 v23, 1, v28
	v_add_nc_u32_e32 v4, -1, v4
	v_lshl_add_u32 v34, v28, 3, v10
	v_cndmask_b32_e64 v20, v20, v23, s16
	v_min_u32_e32 v4, v23, v4
	v_cndmask_b32_e64 v17, v23, v17, s16
	v_cmp_lt_u32_e64 s18, v20, v84
	v_lshl_add_u32 v4, v4, 3, v11
	v_cmp_ge_u32_e64 s19, v17, v85
	ds_read_b64 v[4:5], v4
	s_waitcnt lgkmcnt(0)
	v_cndmask_b32_e64 v103, v5, v99, s16
	v_cndmask_b32_e64 v102, v4, v98, s16
	;; [unrolled: 1-line block ×4, first 2 shown]
	v_cmp_le_i64_e64 s17, v[112:113], v[102:103]
	s_and_b32 s17, s18, s17
	s_or_b32 s17, s19, s17
	v_cndmask_b32_e64 v29, v17, v20, s17
	v_cndmask_b32_e64 v4, v85, v84, s17
	;; [unrolled: 1-line block ×4, first 2 shown]
	v_add_nc_u32_e32 v23, 1, v29
	v_add_nc_u32_e32 v4, -1, v4
	v_lshl_add_u32 v35, v29, 3, v10
	v_cndmask_b32_e64 v9, v20, v23, s17
	v_min_u32_e32 v4, v23, v4
	v_cmp_lt_u32_e64 s19, v9, v84
	v_lshl_add_u32 v4, v4, 3, v11
	ds_read_b64 v[4:5], v4
	s_waitcnt lgkmcnt(0)
	v_cndmask_b32_e64 v115, v5, v103, s17
	v_cndmask_b32_e64 v114, v4, v102, s17
	;; [unrolled: 1-line block ×4, first 2 shown]
	v_lshl_add_u32 v4, v16, 3, v10
	v_cndmask_b32_e64 v16, v23, v17, s17
	v_lshl_add_u32 v17, v21, 3, v10
	ds_read_b64 v[4:5], v4
	ds_read_b64 v[20:21], v17
	v_cmp_le_i64_e64 s18, v[116:117], v[114:115]
	v_cmp_ge_u32_e64 s20, v16, v85
	v_lshl_add_u32 v17, v27, 3, v10
	ds_read_b64 v[22:23], v22
	s_and_b32 s18, s19, s18
	s_or_b32 s18, s20, s18
	v_cndmask_b32_e64 v9, v16, v9, s18
	v_lshl_add_u32 v16, v26, 3, v10
	v_cndmask_b32_e64 v8, v114, v116, s18
	v_lshl_add_u32 v9, v9, 3, v10
	ds_read_b64 v[26:27], v16
	ds_read_b64 v[28:29], v17
	;; [unrolled: 1-line block ×5, first 2 shown]
	v_cndmask_b32_e64 v9, v115, v117, s18
.LBB829_204:
	s_or_b32 exec_lo, exec_lo, s22
	v_and_b32_e32 v86, 0xc0, v67
	v_and_b32_e32 v87, 56, v67
	s_mov_b32 s9, exec_lo
	; wave barrier
	v_or_b32_e32 v84, 32, v86
	v_min_u32_e32 v87, v30, v87
	ds_write_b64 v12, v[0:1]
	s_waitcnt lgkmcnt(8)
	ds_write_b64 v31, v[4:5]
	ds_write_b64 v82, v[24:25]
	s_waitcnt lgkmcnt(9)
	ds_write_b64 v83, v[20:21]
	;; [unrolled: 3-line block ×3, first 2 shown]
	ds_write_b64 v81, v[38:39]
	v_min_u32_e32 v84, v30, v84
	s_waitcnt lgkmcnt(11)
	ds_write_b64 v68, v[26:27]
	ds_write_b64 v69, v[36:37]
	s_waitcnt lgkmcnt(12)
	ds_write_b64 v70, v[28:29]
	ds_write_b64 v54, v[18:19]
	;; [unrolled: 3-line block ×4, first 2 shown]
	s_waitcnt lgkmcnt(15)
	ds_write_b64 v53, v[34:35]
	; wave barrier
	v_add_nc_u32_e32 v85, 32, v84
	v_sub_nc_u32_e32 v97, v84, v86
	v_min_u32_e32 v85, v30, v85
	v_min_u32_e32 v97, v87, v97
	v_sub_nc_u32_e32 v96, v85, v84
	v_sub_nc_u32_e64 v96, v87, v96 clamp
	v_cmpx_lt_u32_e64 v96, v97
	s_cbranch_execz .LBB829_208
; %bb.205:
	v_lshlrev_b32_e32 v98, 3, v86
	v_lshlrev_b32_e32 v99, 3, v84
	s_mov_b32 s12, 0
	v_add_co_u32 v98, null, v11, v98
	v_add_co_u32 v99, null, v11, v99
	.p2align	6
.LBB829_206:                            ; =>This Inner Loop Header: Depth=1
	v_add_nc_u32_e32 v100, v97, v96
	v_lshrrev_b32_e32 v112, 1, v100
	v_xad_u32 v100, v112, -1, v87
	v_lshl_add_u32 v101, v112, 3, v98
	v_lshl_add_u32 v102, v100, 3, v99
	ds_read_b64 v[100:101], v101
	ds_read_b64 v[102:103], v102
	s_waitcnt lgkmcnt(0)
	v_cmp_gt_i64_e64 s8, v[100:101], v[102:103]
	v_add_nc_u32_e32 v100, 1, v112
	v_cndmask_b32_e64 v97, v97, v112, s8
	v_cndmask_b32_e64 v96, v100, v96, s8
	v_cmp_ge_u32_e64 s8, v96, v97
	s_or_b32 s12, s8, s12
	s_andn2_b32 exec_lo, exec_lo, s12
	s_cbranch_execnz .LBB829_206
; %bb.207:
	s_or_b32 exec_lo, exec_lo, s12
.LBB829_208:
	s_or_b32 exec_lo, exec_lo, s9
	v_add_nc_u32_e32 v87, v84, v87
	v_add_nc_u32_e32 v86, v96, v86
	v_sub_nc_u32_e32 v87, v87, v96
	v_cmp_le_u32_e64 s8, v86, v84
	v_cmp_le_u32_e64 s9, v87, v85
	s_or_b32 s8, s8, s9
	s_and_saveexec_b32 s22, s8
	s_cbranch_execz .LBB829_214
; %bb.209:
	v_cmp_lt_u32_e64 s8, v86, v84
                                        ; implicit-def: $vgpr0_vgpr1
	s_and_saveexec_b32 s9, s8
; %bb.210:
	v_lshl_add_u32 v0, v86, 3, v11
	ds_read_b64 v[0:1], v0
; %bb.211:
	s_or_b32 exec_lo, exec_lo, s9
	v_cmp_ge_u32_e64 s9, v87, v85
	s_mov_b32 s13, exec_lo
                                        ; implicit-def: $vgpr8_vgpr9
	v_cmpx_lt_u32_e64 v87, v85
; %bb.212:
	v_lshl_add_u32 v4, v87, 3, v11
	ds_read_b64 v[8:9], v4
; %bb.213:
	s_or_b32 exec_lo, exec_lo, s13
	s_waitcnt lgkmcnt(0)
	v_cmp_le_i64_e64 s12, v[0:1], v[8:9]
	s_and_b32 s8, s8, s12
	s_or_b32 s8, s9, s8
	v_cndmask_b32_e64 v16, v87, v86, s8
	v_cndmask_b32_e64 v4, v85, v84, s8
	v_add_nc_u32_e32 v17, 1, v16
	v_add_nc_u32_e32 v4, -1, v4
	v_cndmask_b32_e64 v20, v86, v17, s8
	v_min_u32_e32 v4, v17, v4
	v_cndmask_b32_e64 v17, v17, v87, s8
	v_cmp_lt_u32_e64 s12, v20, v84
	v_lshl_add_u32 v4, v4, 3, v11
	v_cmp_ge_u32_e64 s13, v17, v85
	ds_read_b64 v[4:5], v4
	s_waitcnt lgkmcnt(0)
	v_cndmask_b32_e64 v19, v5, v9, s8
	v_cndmask_b32_e64 v18, v4, v8, s8
	v_cndmask_b32_e64 v25, v1, v5, s8
	v_cndmask_b32_e64 v24, v0, v4, s8
	v_cndmask_b32_e64 v1, v9, v1, s8
	v_cndmask_b32_e64 v0, v8, v0, s8
	v_cmp_le_i64_e64 s9, v[24:25], v[18:19]
	s_and_b32 s9, s12, s9
	s_or_b32 s9, s13, s9
	v_cndmask_b32_e64 v21, v17, v20, s9
	v_cndmask_b32_e64 v4, v85, v84, s9
	v_add_nc_u32_e32 v22, 1, v21
	v_add_nc_u32_e32 v4, -1, v4
	v_cndmask_b32_e64 v20, v20, v22, s9
	v_min_u32_e32 v4, v22, v4
	v_cndmask_b32_e64 v17, v22, v17, s9
	v_cmp_lt_u32_e64 s13, v20, v84
	v_lshl_add_u32 v4, v4, 3, v11
	v_cmp_ge_u32_e64 s15, v17, v85
	ds_read_b64 v[4:5], v4
	s_waitcnt lgkmcnt(0)
	v_cndmask_b32_e64 v33, v5, v19, s9
	v_cndmask_b32_e64 v32, v4, v18, s9
	;; [unrolled: 1-line block ×6, first 2 shown]
	v_cmp_le_i64_e64 s12, v[36:37], v[32:33]
	s_and_b32 s12, s13, s12
	s_or_b32 s12, s15, s12
	v_cndmask_b32_e64 v22, v17, v20, s12
	v_cndmask_b32_e64 v4, v85, v84, s12
	v_add_nc_u32_e32 v23, 1, v22
	v_add_nc_u32_e32 v4, -1, v4
	v_lshl_add_u32 v22, v22, 3, v10
	v_cndmask_b32_e64 v20, v20, v23, s12
	v_min_u32_e32 v4, v23, v4
	v_cndmask_b32_e64 v17, v23, v17, s12
	v_cmp_lt_u32_e64 s15, v20, v84
	v_lshl_add_u32 v4, v4, 3, v11
	v_cmp_ge_u32_e64 s16, v17, v85
	ds_read_b64 v[4:5], v4
	s_waitcnt lgkmcnt(0)
	v_cndmask_b32_e64 v39, v5, v33, s12
	v_cndmask_b32_e64 v38, v4, v32, s12
	;; [unrolled: 1-line block ×6, first 2 shown]
	v_cmp_le_i64_e64 s13, v[50:51], v[38:39]
	s_and_b32 s13, s15, s13
	s_or_b32 s13, s16, s13
	v_cndmask_b32_e64 v26, v17, v20, s13
	v_cndmask_b32_e64 v4, v85, v84, s13
	v_add_nc_u32_e32 v23, 1, v26
	v_add_nc_u32_e32 v4, -1, v4
	v_cndmask_b32_e64 v20, v20, v23, s13
	v_min_u32_e32 v4, v23, v4
	v_cndmask_b32_e64 v17, v23, v17, s13
	v_cmp_lt_u32_e64 s16, v20, v84
	v_lshl_add_u32 v4, v4, 3, v11
	v_cmp_ge_u32_e64 s17, v17, v85
	ds_read_b64 v[4:5], v4
	s_waitcnt lgkmcnt(0)
	v_cndmask_b32_e64 v87, v5, v39, s13
	v_cndmask_b32_e64 v86, v4, v38, s13
	v_cndmask_b32_e64 v97, v51, v5, s13
	v_cndmask_b32_e64 v96, v50, v4, s13
	v_cndmask_b32_e64 v39, v39, v51, s13
	v_cndmask_b32_e64 v38, v38, v50, s13
	v_cmp_le_i64_e64 s15, v[96:97], v[86:87]
	s_and_b32 s15, s16, s15
	s_or_b32 s15, s17, s15
	v_cndmask_b32_e64 v27, v17, v20, s15
	v_cndmask_b32_e64 v4, v85, v84, s15
	;; [unrolled: 1-line block ×4, first 2 shown]
	v_add_nc_u32_e32 v23, 1, v27
	v_add_nc_u32_e32 v4, -1, v4
	v_cndmask_b32_e64 v20, v20, v23, s15
	v_min_u32_e32 v4, v23, v4
	v_cndmask_b32_e64 v17, v23, v17, s15
	v_cmp_lt_u32_e64 s17, v20, v84
	v_lshl_add_u32 v4, v4, 3, v11
	v_cmp_ge_u32_e64 s18, v17, v85
	ds_read_b64 v[4:5], v4
	s_waitcnt lgkmcnt(0)
	v_cndmask_b32_e64 v99, v5, v87, s15
	v_cndmask_b32_e64 v98, v4, v86, s15
	v_cndmask_b32_e64 v101, v97, v5, s15
	v_cndmask_b32_e64 v100, v96, v4, s15
	v_cmp_le_i64_e64 s16, v[100:101], v[98:99]
	s_and_b32 s16, s17, s16
	s_or_b32 s16, s18, s16
	v_cndmask_b32_e64 v28, v17, v20, s16
	v_cndmask_b32_e64 v4, v85, v84, s16
	;; [unrolled: 1-line block ×4, first 2 shown]
	v_add_nc_u32_e32 v23, 1, v28
	v_add_nc_u32_e32 v4, -1, v4
	v_lshl_add_u32 v34, v28, 3, v10
	v_cndmask_b32_e64 v20, v20, v23, s16
	v_min_u32_e32 v4, v23, v4
	v_cndmask_b32_e64 v17, v23, v17, s16
	v_cmp_lt_u32_e64 s18, v20, v84
	v_lshl_add_u32 v4, v4, 3, v11
	v_cmp_ge_u32_e64 s19, v17, v85
	ds_read_b64 v[4:5], v4
	s_waitcnt lgkmcnt(0)
	v_cndmask_b32_e64 v103, v5, v99, s16
	v_cndmask_b32_e64 v102, v4, v98, s16
	;; [unrolled: 1-line block ×4, first 2 shown]
	v_cmp_le_i64_e64 s17, v[112:113], v[102:103]
	s_and_b32 s17, s18, s17
	s_or_b32 s17, s19, s17
	v_cndmask_b32_e64 v29, v17, v20, s17
	v_cndmask_b32_e64 v4, v85, v84, s17
	;; [unrolled: 1-line block ×4, first 2 shown]
	v_add_nc_u32_e32 v23, 1, v29
	v_add_nc_u32_e32 v4, -1, v4
	v_lshl_add_u32 v35, v29, 3, v10
	v_cndmask_b32_e64 v9, v20, v23, s17
	v_min_u32_e32 v4, v23, v4
	v_cmp_lt_u32_e64 s19, v9, v84
	v_lshl_add_u32 v4, v4, 3, v11
	ds_read_b64 v[4:5], v4
	s_waitcnt lgkmcnt(0)
	v_cndmask_b32_e64 v115, v5, v103, s17
	v_cndmask_b32_e64 v114, v4, v102, s17
	;; [unrolled: 1-line block ×4, first 2 shown]
	v_lshl_add_u32 v4, v16, 3, v10
	v_cndmask_b32_e64 v16, v23, v17, s17
	v_lshl_add_u32 v17, v21, 3, v10
	ds_read_b64 v[4:5], v4
	ds_read_b64 v[20:21], v17
	v_cmp_le_i64_e64 s18, v[116:117], v[114:115]
	v_cmp_ge_u32_e64 s20, v16, v85
	v_lshl_add_u32 v17, v27, 3, v10
	ds_read_b64 v[22:23], v22
	s_and_b32 s18, s19, s18
	s_or_b32 s18, s20, s18
	v_cndmask_b32_e64 v9, v16, v9, s18
	v_lshl_add_u32 v16, v26, 3, v10
	v_cndmask_b32_e64 v8, v114, v116, s18
	v_lshl_add_u32 v9, v9, 3, v10
	ds_read_b64 v[26:27], v16
	ds_read_b64 v[28:29], v17
	;; [unrolled: 1-line block ×5, first 2 shown]
	v_cndmask_b32_e64 v9, v115, v117, s18
.LBB829_214:
	s_or_b32 exec_lo, exec_lo, s22
	v_and_b32_e32 v84, 0x80, v67
	; wave barrier
	ds_write_b64 v12, v[0:1]
	s_waitcnt lgkmcnt(8)
	ds_write_b64 v31, v[4:5]
	ds_write_b64 v82, v[24:25]
	s_waitcnt lgkmcnt(9)
	ds_write_b64 v83, v[20:21]
	s_mov_b32 s9, exec_lo
	v_or_b32_e32 v67, 64, v84
	ds_write_b64 v71, v[32:33]
	s_waitcnt lgkmcnt(10)
	ds_write_b64 v80, v[22:23]
	ds_write_b64 v81, v[38:39]
	s_waitcnt lgkmcnt(11)
	ds_write_b64 v68, v[26:27]
	;; [unrolled: 3-line block ×6, first 2 shown]
	v_min_u32_e32 v67, v30, v67
	; wave barrier
	v_add_nc_u32_e32 v85, 64, v67
	v_min_u32_e32 v12, v30, v85
	v_min_u32_e32 v30, v30, v66
	v_sub_nc_u32_e32 v66, v67, v84
	v_sub_nc_u32_e32 v31, v12, v67
	v_min_u32_e32 v66, v30, v66
	v_sub_nc_u32_e64 v31, v30, v31 clamp
	v_cmpx_lt_u32_e64 v31, v66
	s_cbranch_execz .LBB829_218
; %bb.215:
	v_lshlrev_b32_e32 v52, 3, v84
	v_lshlrev_b32_e32 v53, 3, v67
	s_mov_b32 s12, 0
	v_add_co_u32 v52, null, v11, v52
	v_add_co_u32 v53, null, v11, v53
	.p2align	6
.LBB829_216:                            ; =>This Inner Loop Header: Depth=1
	v_add_nc_u32_e32 v54, v66, v31
	v_lshrrev_b32_e32 v68, 1, v54
	v_xad_u32 v54, v68, -1, v30
	v_lshl_add_u32 v55, v68, 3, v52
	v_lshl_add_u32 v64, v54, 3, v53
	ds_read_b64 v[54:55], v55
	ds_read_b64 v[64:65], v64
	s_waitcnt lgkmcnt(0)
	v_cmp_gt_i64_e64 s8, v[54:55], v[64:65]
	v_add_nc_u32_e32 v54, 1, v68
	v_cndmask_b32_e64 v66, v66, v68, s8
	v_cndmask_b32_e64 v31, v54, v31, s8
	v_cmp_ge_u32_e64 s8, v31, v66
	s_or_b32 s12, s8, s12
	s_andn2_b32 exec_lo, exec_lo, s12
	s_cbranch_execnz .LBB829_216
; %bb.217:
	s_or_b32 exec_lo, exec_lo, s12
.LBB829_218:
	s_or_b32 exec_lo, exec_lo, s9
	v_add_nc_u32_e32 v52, v67, v30
	v_add_nc_u32_e32 v30, v31, v84
	v_sub_nc_u32_e32 v31, v52, v31
	v_cmp_le_u32_e64 s8, v30, v67
	v_cmp_le_u32_e64 s9, v31, v12
	s_or_b32 s8, s8, s9
	s_and_saveexec_b32 s22, s8
	s_cbranch_execz .LBB829_224
; %bb.219:
	v_cmp_lt_u32_e64 s8, v30, v67
                                        ; implicit-def: $vgpr0_vgpr1
	s_and_saveexec_b32 s9, s8
; %bb.220:
	v_lshl_add_u32 v0, v30, 3, v11
	ds_read_b64 v[0:1], v0
; %bb.221:
	s_or_b32 exec_lo, exec_lo, s9
	v_cmp_ge_u32_e64 s9, v31, v12
	s_mov_b32 s13, exec_lo
                                        ; implicit-def: $vgpr8_vgpr9
	v_cmpx_lt_u32_e64 v31, v12
; %bb.222:
	v_lshl_add_u32 v4, v31, 3, v11
	ds_read_b64 v[8:9], v4
; %bb.223:
	s_or_b32 exec_lo, exec_lo, s13
	s_waitcnt lgkmcnt(0)
	v_cmp_le_i64_e64 s12, v[0:1], v[8:9]
	s_and_b32 s8, s8, s12
	s_or_b32 s8, s9, s8
	v_cndmask_b32_e64 v16, v31, v30, s8
	v_cndmask_b32_e64 v4, v12, v67, s8
	v_add_nc_u32_e32 v17, 1, v16
	v_add_nc_u32_e32 v4, -1, v4
	v_cndmask_b32_e64 v20, v30, v17, s8
	v_min_u32_e32 v4, v17, v4
	v_cndmask_b32_e64 v17, v17, v31, s8
	v_cmp_lt_u32_e64 s12, v20, v67
	v_lshl_add_u32 v4, v4, 3, v11
	v_cmp_ge_u32_e64 s13, v17, v12
	ds_read_b64 v[4:5], v4
	s_waitcnt lgkmcnt(0)
	v_cndmask_b32_e64 v19, v5, v9, s8
	v_cndmask_b32_e64 v18, v4, v8, s8
	v_cndmask_b32_e64 v25, v1, v5, s8
	v_cndmask_b32_e64 v24, v0, v4, s8
	v_cndmask_b32_e64 v1, v9, v1, s8
	v_cndmask_b32_e64 v0, v8, v0, s8
	v_cmp_le_i64_e64 s9, v[24:25], v[18:19]
	s_and_b32 s9, s12, s9
	s_or_b32 s9, s13, s9
	v_cndmask_b32_e64 v21, v17, v20, s9
	v_cndmask_b32_e64 v4, v12, v67, s9
	v_add_nc_u32_e32 v22, 1, v21
	v_add_nc_u32_e32 v4, -1, v4
	v_cndmask_b32_e64 v20, v20, v22, s9
	v_min_u32_e32 v4, v22, v4
	v_cndmask_b32_e64 v17, v22, v17, s9
	v_cmp_lt_u32_e64 s13, v20, v67
	v_lshl_add_u32 v4, v4, 3, v11
	v_cmp_ge_u32_e64 s15, v17, v12
	ds_read_b64 v[4:5], v4
	s_waitcnt lgkmcnt(0)
	v_cndmask_b32_e64 v31, v5, v19, s9
	v_cndmask_b32_e64 v30, v4, v18, s9
	v_cndmask_b32_e64 v33, v25, v5, s9
	v_cndmask_b32_e64 v32, v24, v4, s9
	v_cndmask_b32_e64 v25, v19, v25, s9
	v_cndmask_b32_e64 v24, v18, v24, s9
	;; [unrolled: 21-line block ×4, first 2 shown]
	v_cmp_le_i64_e64 s15, v[52:53], v[50:51]
	s_and_b32 s15, s16, s15
	s_or_b32 s15, s17, s15
	v_cndmask_b32_e64 v27, v17, v20, s15
	v_cndmask_b32_e64 v4, v12, v67, s15
	;; [unrolled: 1-line block ×4, first 2 shown]
	v_add_nc_u32_e32 v23, 1, v27
	v_add_nc_u32_e32 v4, -1, v4
	v_cndmask_b32_e64 v20, v20, v23, s15
	v_min_u32_e32 v4, v23, v4
	v_cndmask_b32_e64 v17, v23, v17, s15
	v_cmp_lt_u32_e64 s17, v20, v67
	v_lshl_add_u32 v4, v4, 3, v11
	v_cmp_ge_u32_e64 s18, v17, v12
	ds_read_b64 v[4:5], v4
	s_waitcnt lgkmcnt(0)
	v_cndmask_b32_e64 v55, v5, v51, s15
	v_cndmask_b32_e64 v54, v4, v50, s15
	v_cndmask_b32_e64 v65, v53, v5, s15
	v_cndmask_b32_e64 v64, v52, v4, s15
	v_cmp_le_i64_e64 s16, v[64:65], v[54:55]
	s_and_b32 s16, s17, s16
	s_or_b32 s16, s18, s16
	v_cndmask_b32_e64 v28, v17, v20, s16
	v_cndmask_b32_e64 v4, v12, v67, s16
	v_cndmask_b32_e64 v19, v55, v65, s16
	v_cndmask_b32_e64 v18, v54, v64, s16
	v_add_nc_u32_e32 v23, 1, v28
	v_add_nc_u32_e32 v4, -1, v4
	v_cndmask_b32_e64 v20, v20, v23, s16
	v_min_u32_e32 v4, v23, v4
	v_cndmask_b32_e64 v17, v23, v17, s16
	v_cmp_lt_u32_e64 s18, v20, v67
	v_lshl_add_u32 v4, v4, 3, v11
	v_cmp_ge_u32_e64 s19, v17, v12
	ds_read_b64 v[4:5], v4
	s_waitcnt lgkmcnt(0)
	v_cndmask_b32_e64 v69, v5, v55, s16
	v_cndmask_b32_e64 v68, v4, v54, s16
	;; [unrolled: 1-line block ×4, first 2 shown]
	v_cmp_le_i64_e64 s17, v[70:71], v[68:69]
	s_and_b32 s17, s18, s17
	s_or_b32 s17, s19, s17
	v_cndmask_b32_e64 v29, v17, v20, s17
	v_cndmask_b32_e64 v4, v12, v67, s17
	;; [unrolled: 1-line block ×4, first 2 shown]
	v_add_nc_u32_e32 v23, 1, v29
	v_add_nc_u32_e32 v4, -1, v4
	v_cndmask_b32_e64 v9, v20, v23, s17
	v_min_u32_e32 v4, v23, v4
	v_cmp_lt_u32_e64 s19, v9, v67
	v_lshl_add_u32 v4, v4, 3, v11
	v_cndmask_b32_e64 v11, v23, v17, s17
	v_lshl_add_u32 v17, v22, 3, v10
	ds_read_b64 v[4:5], v4
	v_cmp_ge_u32_e64 s20, v11, v12
	v_lshl_add_u32 v12, v27, 3, v10
	s_waitcnt lgkmcnt(0)
	v_cndmask_b32_e64 v81, v5, v69, s17
	v_cndmask_b32_e64 v80, v4, v68, s17
	;; [unrolled: 1-line block ×4, first 2 shown]
	v_lshl_add_u32 v4, v16, 3, v10
	v_lshl_add_u32 v16, v21, 3, v10
	ds_read_b64 v[4:5], v4
	ds_read_b64 v[20:21], v16
	v_cmp_le_i64_e64 s18, v[82:83], v[80:81]
	v_lshl_add_u32 v16, v28, 3, v10
	ds_read_b64 v[22:23], v17
	v_lshl_add_u32 v17, v29, 3, v10
	s_and_b32 s18, s19, s18
	s_or_b32 s18, s20, s18
	v_cndmask_b32_e64 v9, v11, v9, s18
	v_lshl_add_u32 v11, v26, 3, v10
	v_cndmask_b32_e64 v8, v80, v82, s18
	v_lshl_add_u32 v9, v9, 3, v10
	ds_read_b64 v[26:27], v11
	ds_read_b64 v[28:29], v12
	ds_read_b64 v[48:49], v16
	ds_read_b64 v[16:17], v17
	ds_read_b64 v[34:35], v9
	v_cndmask_b32_e64 v9, v81, v83, s18
.LBB829_224:
	s_or_b32 exec_lo, exec_lo, s22
	; wave barrier
	s_waitcnt lgkmcnt(0)
	s_waitcnt_vscnt null, 0x0
	s_barrier
.LBB829_225:
	s_or_b32 exec_lo, exec_lo, s21
	v_add_co_u32 v2, s8, v2, v14
	v_add_co_ci_u32_e64 v3, null, v3, v15, s8
	s_waitcnt vmcnt(0) lgkmcnt(0)
	s_waitcnt_vscnt null, 0x0
	buffer_gl0_inv
	v_add_co_u32 v2, s8, v2, v13
	v_add_co_ci_u32_e64 v3, null, 0, v3, s8
	; wave barrier
	s_and_saveexec_b32 s8, vcc_lo
	s_cbranch_execnz .LBB829_250
; %bb.226:
	s_or_b32 exec_lo, exec_lo, s8
	s_and_saveexec_b32 s8, s4
	s_cbranch_execnz .LBB829_251
.LBB829_227:
	s_or_b32 exec_lo, exec_lo, s8
	s_and_saveexec_b32 s8, s5
	s_cbranch_execnz .LBB829_252
.LBB829_228:
	s_or_b32 exec_lo, exec_lo, s8
	s_and_saveexec_b32 s8, s6
	s_cbranch_execnz .LBB829_253
.LBB829_229:
	s_or_b32 exec_lo, exec_lo, s8
	s_and_saveexec_b32 s8, s7
	s_cbranch_execnz .LBB829_254
.LBB829_230:
	s_or_b32 exec_lo, exec_lo, s8
	s_and_saveexec_b32 s8, s10
	s_cbranch_execnz .LBB829_255
.LBB829_231:
	s_or_b32 exec_lo, exec_lo, s8
	s_and_saveexec_b32 s8, s11
	s_cbranch_execnz .LBB829_256
.LBB829_232:
	s_or_b32 exec_lo, exec_lo, s8
	s_and_saveexec_b32 s8, s14
	s_cbranch_execz .LBB829_234
.LBB829_233:
	flat_store_dwordx2 v[2:3], v[8:9] offset:56
.LBB829_234:
	s_or_b32 exec_lo, exec_lo, s8
	v_add_co_u32 v0, s8, v6, v14
	v_add_co_ci_u32_e64 v1, null, v7, v15, s8
	v_add_co_u32 v0, s8, v0, v13
	v_add_co_ci_u32_e64 v1, null, 0, v1, s8
	; wave barrier
	s_and_saveexec_b32 s8, vcc_lo
	s_cbranch_execnz .LBB829_257
; %bb.235:
	s_or_b32 exec_lo, exec_lo, s8
	s_and_saveexec_b32 s8, s4
	s_cbranch_execnz .LBB829_258
.LBB829_236:
	s_or_b32 exec_lo, exec_lo, s8
	s_and_saveexec_b32 s4, s5
	s_cbranch_execnz .LBB829_259
.LBB829_237:
	s_or_b32 exec_lo, exec_lo, s4
	s_and_saveexec_b32 s4, s6
	s_cbranch_execnz .LBB829_260
.LBB829_238:
	s_or_b32 exec_lo, exec_lo, s4
	s_and_saveexec_b32 s4, s7
	s_cbranch_execnz .LBB829_261
.LBB829_239:
	s_or_b32 exec_lo, exec_lo, s4
	s_and_saveexec_b32 s4, s10
	s_cbranch_execnz .LBB829_262
.LBB829_240:
	s_or_b32 exec_lo, exec_lo, s4
	s_and_saveexec_b32 s4, s11
	s_cbranch_execnz .LBB829_263
.LBB829_241:
	s_or_b32 exec_lo, exec_lo, s4
	s_and_saveexec_b32 s4, s14
	s_cbranch_execnz .LBB829_264
.LBB829_242:
	s_or_b32 exec_lo, exec_lo, s4
	s_waitcnt lgkmcnt(0)
	s_setpc_b64 s[30:31]
.LBB829_243:
	flat_load_dwordx2 v[4:5], v[52:53]
	s_or_b32 exec_lo, exec_lo, s15
                                        ; implicit-def: $vgpr20_vgpr21
	s_and_saveexec_b32 s15, s4
	s_cbranch_execz .LBB829_18
.LBB829_244:
	flat_load_dwordx2 v[20:21], v[52:53] offset:8
	s_or_b32 exec_lo, exec_lo, s15
                                        ; implicit-def: $vgpr22_vgpr23
	s_and_saveexec_b32 s15, s5
	s_cbranch_execz .LBB829_19
.LBB829_245:
	flat_load_dwordx2 v[22:23], v[52:53] offset:16
	s_or_b32 exec_lo, exec_lo, s15
                                        ; implicit-def: $vgpr26_vgpr27
	s_and_saveexec_b32 s15, s6
	s_cbranch_execz .LBB829_20
.LBB829_246:
	flat_load_dwordx2 v[26:27], v[52:53] offset:24
	s_or_b32 exec_lo, exec_lo, s15
                                        ; implicit-def: $vgpr28_vgpr29
	s_and_saveexec_b32 s15, s7
	s_cbranch_execz .LBB829_21
.LBB829_247:
	flat_load_dwordx2 v[28:29], v[52:53] offset:32
	s_or_b32 exec_lo, exec_lo, s15
                                        ; implicit-def: $vgpr48_vgpr49
	s_and_saveexec_b32 s15, s10
	s_cbranch_execz .LBB829_22
.LBB829_248:
	flat_load_dwordx2 v[48:49], v[52:53] offset:40
	s_or_b32 exec_lo, exec_lo, s15
                                        ; implicit-def: $vgpr16_vgpr17
	s_and_saveexec_b32 s15, s11
	s_cbranch_execz .LBB829_23
.LBB829_249:
	flat_load_dwordx2 v[16:17], v[52:53] offset:48
	s_or_b32 exec_lo, exec_lo, s15
                                        ; implicit-def: $vgpr34_vgpr35
	s_and_saveexec_b32 s15, s14
	s_cbranch_execnz .LBB829_24
	s_branch .LBB829_25
.LBB829_250:
	flat_store_dwordx2 v[2:3], v[0:1]
	s_or_b32 exec_lo, exec_lo, s8
	s_and_saveexec_b32 s8, s4
	s_cbranch_execz .LBB829_227
.LBB829_251:
	flat_store_dwordx2 v[2:3], v[24:25] offset:8
	s_or_b32 exec_lo, exec_lo, s8
	s_and_saveexec_b32 s8, s5
	s_cbranch_execz .LBB829_228
.LBB829_252:
	flat_store_dwordx2 v[2:3], v[32:33] offset:16
	s_or_b32 exec_lo, exec_lo, s8
	s_and_saveexec_b32 s8, s6
	s_cbranch_execz .LBB829_229
.LBB829_253:
	flat_store_dwordx2 v[2:3], v[38:39] offset:24
	s_or_b32 exec_lo, exec_lo, s8
	s_and_saveexec_b32 s8, s7
	s_cbranch_execz .LBB829_230
.LBB829_254:
	flat_store_dwordx2 v[2:3], v[36:37] offset:32
	s_or_b32 exec_lo, exec_lo, s8
	s_and_saveexec_b32 s8, s10
	s_cbranch_execz .LBB829_231
.LBB829_255:
	flat_store_dwordx2 v[2:3], v[18:19] offset:40
	s_or_b32 exec_lo, exec_lo, s8
	s_and_saveexec_b32 s8, s11
	s_cbranch_execz .LBB829_232
.LBB829_256:
	flat_store_dwordx2 v[2:3], v[50:51] offset:48
	s_or_b32 exec_lo, exec_lo, s8
	s_and_saveexec_b32 s8, s14
	s_cbranch_execnz .LBB829_233
	s_branch .LBB829_234
.LBB829_257:
	flat_store_dwordx2 v[0:1], v[4:5]
	s_or_b32 exec_lo, exec_lo, s8
	s_and_saveexec_b32 s8, s4
	s_cbranch_execz .LBB829_236
.LBB829_258:
	flat_store_dwordx2 v[0:1], v[20:21] offset:8
	s_or_b32 exec_lo, exec_lo, s8
	s_and_saveexec_b32 s4, s5
	s_cbranch_execz .LBB829_237
.LBB829_259:
	flat_store_dwordx2 v[0:1], v[22:23] offset:16
	s_or_b32 exec_lo, exec_lo, s4
	s_and_saveexec_b32 s4, s6
	s_cbranch_execz .LBB829_238
.LBB829_260:
	flat_store_dwordx2 v[0:1], v[26:27] offset:24
	s_or_b32 exec_lo, exec_lo, s4
	s_and_saveexec_b32 s4, s7
	s_cbranch_execz .LBB829_239
.LBB829_261:
	flat_store_dwordx2 v[0:1], v[28:29] offset:32
	s_or_b32 exec_lo, exec_lo, s4
	s_and_saveexec_b32 s4, s10
	s_cbranch_execz .LBB829_240
.LBB829_262:
	flat_store_dwordx2 v[0:1], v[48:49] offset:40
	s_or_b32 exec_lo, exec_lo, s4
	s_and_saveexec_b32 s4, s11
	s_cbranch_execz .LBB829_241
.LBB829_263:
	flat_store_dwordx2 v[0:1], v[16:17] offset:48
	s_or_b32 exec_lo, exec_lo, s4
	s_and_saveexec_b32 s4, s14
	s_cbranch_execz .LBB829_242
.LBB829_264:
	flat_store_dwordx2 v[0:1], v[34:35] offset:56
	s_or_b32 exec_lo, exec_lo, s4
	s_waitcnt lgkmcnt(0)
	s_setpc_b64 s[30:31]
.Lfunc_end829:
	.size	_ZN7rocprim17ROCPRIM_400000_NS6detail26segmented_warp_sort_helperINS1_20WarpSortHelperConfigILj16ELj8ELj256EEEllLi256ELb0EvE4sortIPKlPlS8_S9_EEvT_T0_T1_T2_jjjjRNS5_12storage_typeE, .Lfunc_end829-_ZN7rocprim17ROCPRIM_400000_NS6detail26segmented_warp_sort_helperINS1_20WarpSortHelperConfigILj16ELj8ELj256EEEllLi256ELb0EvE4sortIPKlPlS8_S9_EEvT_T0_T1_T2_jjjjRNS5_12storage_typeE
                                        ; -- End function
	.set .L_ZN7rocprim17ROCPRIM_400000_NS6detail26segmented_warp_sort_helperINS1_20WarpSortHelperConfigILj16ELj8ELj256EEEllLi256ELb0EvE4sortIPKlPlS8_S9_EEvT_T0_T1_T2_jjjjRNS5_12storage_typeE.num_vgpr, 130
	.set .L_ZN7rocprim17ROCPRIM_400000_NS6detail26segmented_warp_sort_helperINS1_20WarpSortHelperConfigILj16ELj8ELj256EEEllLi256ELb0EvE4sortIPKlPlS8_S9_EEvT_T0_T1_T2_jjjjRNS5_12storage_typeE.num_agpr, 0
	.set .L_ZN7rocprim17ROCPRIM_400000_NS6detail26segmented_warp_sort_helperINS1_20WarpSortHelperConfigILj16ELj8ELj256EEEllLi256ELb0EvE4sortIPKlPlS8_S9_EEvT_T0_T1_T2_jjjjRNS5_12storage_typeE.numbered_sgpr, 32
	.set .L_ZN7rocprim17ROCPRIM_400000_NS6detail26segmented_warp_sort_helperINS1_20WarpSortHelperConfigILj16ELj8ELj256EEEllLi256ELb0EvE4sortIPKlPlS8_S9_EEvT_T0_T1_T2_jjjjRNS5_12storage_typeE.num_named_barrier, 0
	.set .L_ZN7rocprim17ROCPRIM_400000_NS6detail26segmented_warp_sort_helperINS1_20WarpSortHelperConfigILj16ELj8ELj256EEEllLi256ELb0EvE4sortIPKlPlS8_S9_EEvT_T0_T1_T2_jjjjRNS5_12storage_typeE.private_seg_size, 0
	.set .L_ZN7rocprim17ROCPRIM_400000_NS6detail26segmented_warp_sort_helperINS1_20WarpSortHelperConfigILj16ELj8ELj256EEEllLi256ELb0EvE4sortIPKlPlS8_S9_EEvT_T0_T1_T2_jjjjRNS5_12storage_typeE.uses_vcc, 1
	.set .L_ZN7rocprim17ROCPRIM_400000_NS6detail26segmented_warp_sort_helperINS1_20WarpSortHelperConfigILj16ELj8ELj256EEEllLi256ELb0EvE4sortIPKlPlS8_S9_EEvT_T0_T1_T2_jjjjRNS5_12storage_typeE.uses_flat_scratch, 0
	.set .L_ZN7rocprim17ROCPRIM_400000_NS6detail26segmented_warp_sort_helperINS1_20WarpSortHelperConfigILj16ELj8ELj256EEEllLi256ELb0EvE4sortIPKlPlS8_S9_EEvT_T0_T1_T2_jjjjRNS5_12storage_typeE.has_dyn_sized_stack, 0
	.set .L_ZN7rocprim17ROCPRIM_400000_NS6detail26segmented_warp_sort_helperINS1_20WarpSortHelperConfigILj16ELj8ELj256EEEllLi256ELb0EvE4sortIPKlPlS8_S9_EEvT_T0_T1_T2_jjjjRNS5_12storage_typeE.has_recursion, 0
	.set .L_ZN7rocprim17ROCPRIM_400000_NS6detail26segmented_warp_sort_helperINS1_20WarpSortHelperConfigILj16ELj8ELj256EEEllLi256ELb0EvE4sortIPKlPlS8_S9_EEvT_T0_T1_T2_jjjjRNS5_12storage_typeE.has_indirect_call, 0
	.section	.AMDGPU.csdata,"",@progbits
; Function info:
; codeLenInByte = 20140
; TotalNumSgprs: 34
; NumVgprs: 130
; ScratchSize: 0
; MemoryBound: 0
	.section	.text._ZN7rocprim17ROCPRIM_400000_NS6detail17trampoline_kernelINS0_14default_configENS1_36segmented_radix_sort_config_selectorIllEEZNS1_25segmented_radix_sort_implIS3_Lb0EPKlPlS8_S9_N2at6native12_GLOBAL__N_18offset_tEEE10hipError_tPvRmT1_PNSt15iterator_traitsISH_E10value_typeET2_T3_PNSI_ISN_E10value_typeET4_jRbjT5_ST_jjP12ihipStream_tbEUlT_E1_NS1_11comp_targetILNS1_3genE8ELNS1_11target_archE1030ELNS1_3gpuE2ELNS1_3repE0EEENS1_59segmented_radix_sort_warp_sort_small_config_static_selectorELNS0_4arch9wavefront6targetE0EEEvSH_,"axG",@progbits,_ZN7rocprim17ROCPRIM_400000_NS6detail17trampoline_kernelINS0_14default_configENS1_36segmented_radix_sort_config_selectorIllEEZNS1_25segmented_radix_sort_implIS3_Lb0EPKlPlS8_S9_N2at6native12_GLOBAL__N_18offset_tEEE10hipError_tPvRmT1_PNSt15iterator_traitsISH_E10value_typeET2_T3_PNSI_ISN_E10value_typeET4_jRbjT5_ST_jjP12ihipStream_tbEUlT_E1_NS1_11comp_targetILNS1_3genE8ELNS1_11target_archE1030ELNS1_3gpuE2ELNS1_3repE0EEENS1_59segmented_radix_sort_warp_sort_small_config_static_selectorELNS0_4arch9wavefront6targetE0EEEvSH_,comdat
	.globl	_ZN7rocprim17ROCPRIM_400000_NS6detail17trampoline_kernelINS0_14default_configENS1_36segmented_radix_sort_config_selectorIllEEZNS1_25segmented_radix_sort_implIS3_Lb0EPKlPlS8_S9_N2at6native12_GLOBAL__N_18offset_tEEE10hipError_tPvRmT1_PNSt15iterator_traitsISH_E10value_typeET2_T3_PNSI_ISN_E10value_typeET4_jRbjT5_ST_jjP12ihipStream_tbEUlT_E1_NS1_11comp_targetILNS1_3genE8ELNS1_11target_archE1030ELNS1_3gpuE2ELNS1_3repE0EEENS1_59segmented_radix_sort_warp_sort_small_config_static_selectorELNS0_4arch9wavefront6targetE0EEEvSH_ ; -- Begin function _ZN7rocprim17ROCPRIM_400000_NS6detail17trampoline_kernelINS0_14default_configENS1_36segmented_radix_sort_config_selectorIllEEZNS1_25segmented_radix_sort_implIS3_Lb0EPKlPlS8_S9_N2at6native12_GLOBAL__N_18offset_tEEE10hipError_tPvRmT1_PNSt15iterator_traitsISH_E10value_typeET2_T3_PNSI_ISN_E10value_typeET4_jRbjT5_ST_jjP12ihipStream_tbEUlT_E1_NS1_11comp_targetILNS1_3genE8ELNS1_11target_archE1030ELNS1_3gpuE2ELNS1_3repE0EEENS1_59segmented_radix_sort_warp_sort_small_config_static_selectorELNS0_4arch9wavefront6targetE0EEEvSH_
	.p2align	8
	.type	_ZN7rocprim17ROCPRIM_400000_NS6detail17trampoline_kernelINS0_14default_configENS1_36segmented_radix_sort_config_selectorIllEEZNS1_25segmented_radix_sort_implIS3_Lb0EPKlPlS8_S9_N2at6native12_GLOBAL__N_18offset_tEEE10hipError_tPvRmT1_PNSt15iterator_traitsISH_E10value_typeET2_T3_PNSI_ISN_E10value_typeET4_jRbjT5_ST_jjP12ihipStream_tbEUlT_E1_NS1_11comp_targetILNS1_3genE8ELNS1_11target_archE1030ELNS1_3gpuE2ELNS1_3repE0EEENS1_59segmented_radix_sort_warp_sort_small_config_static_selectorELNS0_4arch9wavefront6targetE0EEEvSH_,@function
_ZN7rocprim17ROCPRIM_400000_NS6detail17trampoline_kernelINS0_14default_configENS1_36segmented_radix_sort_config_selectorIllEEZNS1_25segmented_radix_sort_implIS3_Lb0EPKlPlS8_S9_N2at6native12_GLOBAL__N_18offset_tEEE10hipError_tPvRmT1_PNSt15iterator_traitsISH_E10value_typeET2_T3_PNSI_ISN_E10value_typeET4_jRbjT5_ST_jjP12ihipStream_tbEUlT_E1_NS1_11comp_targetILNS1_3genE8ELNS1_11target_archE1030ELNS1_3gpuE2ELNS1_3repE0EEENS1_59segmented_radix_sort_warp_sort_small_config_static_selectorELNS0_4arch9wavefront6targetE0EEEvSH_: ; @_ZN7rocprim17ROCPRIM_400000_NS6detail17trampoline_kernelINS0_14default_configENS1_36segmented_radix_sort_config_selectorIllEEZNS1_25segmented_radix_sort_implIS3_Lb0EPKlPlS8_S9_N2at6native12_GLOBAL__N_18offset_tEEE10hipError_tPvRmT1_PNSt15iterator_traitsISH_E10value_typeET2_T3_PNSI_ISN_E10value_typeET4_jRbjT5_ST_jjP12ihipStream_tbEUlT_E1_NS1_11comp_targetILNS1_3genE8ELNS1_11target_archE1030ELNS1_3gpuE2ELNS1_3repE0EEENS1_59segmented_radix_sort_warp_sort_small_config_static_selectorELNS0_4arch9wavefront6targetE0EEEvSH_
; %bb.0:
	s_add_u32 s0, s0, s8
	s_load_dword s8, s[4:5], 0x64
	s_addc_u32 s1, s1, 0
	s_mov_b32 s32, 0
	s_waitcnt lgkmcnt(0)
	s_lshr_b32 s9, s8, 16
	s_and_b32 s8, s8, 0xffff
	v_mad_u32_u24 v3, v2, s9, v1
	s_load_dword s9, s[4:5], 0x34
	v_mad_u64_u32 v[3:4], null, v3, s8, v[0:1]
	s_mov_b32 s8, exec_lo
	v_lshrrev_b32_e32 v3, 4, v3
	v_lshl_add_u32 v3, s6, 4, v3
	s_waitcnt lgkmcnt(0)
	v_cmpx_gt_u32_e64 s9, v3
	s_cbranch_execz .LBB830_6
; %bb.1:
	s_clause 0x1
	s_load_dwordx2 s[12:13], s[4:5], 0x38
	s_load_dwordx4 s[8:11], s[4:5], 0x40
	v_mov_b32_e32 v4, 0
	v_lshlrev_b64 v[3:4], 2, v[3:4]
	s_waitcnt lgkmcnt(0)
	v_sub_co_u32 v3, vcc_lo, s12, v3
	v_sub_co_ci_u32_e64 v4, null, s13, v4, vcc_lo
	global_load_dword v3, v[3:4], off offset:-4
	s_waitcnt vmcnt(0)
	v_add_nc_u32_e32 v4, s9, v3
	v_add_nc_u32_e32 v3, s11, v3
	v_mul_lo_u32 v40, v4, s8
	v_mul_lo_u32 v41, v3, s10
	v_cmp_gt_u32_e32 vcc_lo, v41, v40
	s_and_b32 exec_lo, exec_lo, vcc_lo
	s_cbranch_execz .LBB830_6
; %bb.2:
	s_clause 0x3
	s_load_dword s8, s[4:5], 0x30
	s_load_dwordx4 s[44:47], s[4:5], 0x20
	s_load_dwordx8 s[36:43], s[4:5], 0x0
	s_load_dwordx2 s[28:29], s[4:5], 0x50
	v_lshlrev_b32_e32 v43, 20, v2
	v_lshlrev_b32_e32 v44, 10, v1
	s_waitcnt lgkmcnt(0)
	s_bitcmp0_b32 s8, 0
	s_mov_b32 s8, -1
	s_cbranch_scc0 .LBB830_4
; %bb.3:
	s_mov_b64 s[10:11], src_shared_base
	v_or3_b32 v31, v0, v44, v43
	v_mov_b32_e32 v42, v0
	v_mov_b32_e32 v0, s36
	v_mov_b32_e32 v1, s37
	v_mov_b32_e32 v2, s38
	v_mov_b32_e32 v3, s39
	v_mov_b32_e32 v4, s42
	v_mov_b32_e32 v5, s43
	v_mov_b32_e32 v6, s44
	v_mov_b32_e32 v7, s45
	v_mov_b32_e32 v8, v40
	v_mov_b32_e32 v9, v41
	v_mov_b32_e32 v10, s28
	v_mov_b32_e32 v11, s29
	v_mov_b32_e32 v12, 0
	v_mov_b32_e32 v13, s11
	s_add_u32 s8, s4, 0x58
	s_addc_u32 s9, s5, 0
	s_getpc_b64 s[14:15]
	s_add_u32 s14, s14, _ZN7rocprim17ROCPRIM_400000_NS6detail26segmented_warp_sort_helperINS1_20WarpSortHelperConfigILj16ELj8ELj256EEEllLi256ELb0EvE4sortIPKlPlS8_S9_EEvT_T0_T1_T2_jjjjRNS5_12storage_typeE@rel32@lo+4
	s_addc_u32 s15, s15, _ZN7rocprim17ROCPRIM_400000_NS6detail26segmented_warp_sort_helperINS1_20WarpSortHelperConfigILj16ELj8ELj256EEEllLi256ELb0EvE4sortIPKlPlS8_S9_EEvT_T0_T1_T2_jjjjRNS5_12storage_typeE@rel32@hi+12
	s_mov_b32 s12, s6
	s_mov_b32 s13, s7
	s_mov_b64 s[34:35], s[4:5]
	s_mov_b32 s27, s7
	s_mov_b32 s33, s6
	s_swappc_b64 s[30:31], s[14:15]
	v_mov_b32_e32 v0, v42
	s_mov_b32 s6, s33
	s_mov_b32 s7, s27
	s_mov_b64 s[4:5], s[34:35]
	s_mov_b32 s8, 0
.LBB830_4:
	s_andn2_b32 vcc_lo, exec_lo, s8
	s_cbranch_vccnz .LBB830_6
; %bb.5:
	s_mov_b64 s[10:11], src_shared_base
	v_or3_b32 v31, v0, v44, v43
	v_mov_b32_e32 v0, s36
	v_mov_b32_e32 v1, s37
	;; [unrolled: 1-line block ×14, first 2 shown]
	s_add_u32 s8, s4, 0x58
	s_addc_u32 s9, s5, 0
	s_getpc_b64 s[4:5]
	s_add_u32 s4, s4, _ZN7rocprim17ROCPRIM_400000_NS6detail26segmented_warp_sort_helperINS1_20WarpSortHelperConfigILj16ELj8ELj256EEEllLi256ELb0EvE4sortIPKlPlS8_S9_EEvT_T0_T1_T2_jjjjRNS5_12storage_typeE@rel32@lo+4
	s_addc_u32 s5, s5, _ZN7rocprim17ROCPRIM_400000_NS6detail26segmented_warp_sort_helperINS1_20WarpSortHelperConfigILj16ELj8ELj256EEEllLi256ELb0EvE4sortIPKlPlS8_S9_EEvT_T0_T1_T2_jjjjRNS5_12storage_typeE@rel32@hi+12
	s_mov_b32 s12, s6
	s_mov_b32 s13, s7
	s_swappc_b64 s[30:31], s[4:5]
.LBB830_6:
	s_endpgm
	.section	.rodata,"a",@progbits
	.p2align	6, 0x0
	.amdhsa_kernel _ZN7rocprim17ROCPRIM_400000_NS6detail17trampoline_kernelINS0_14default_configENS1_36segmented_radix_sort_config_selectorIllEEZNS1_25segmented_radix_sort_implIS3_Lb0EPKlPlS8_S9_N2at6native12_GLOBAL__N_18offset_tEEE10hipError_tPvRmT1_PNSt15iterator_traitsISH_E10value_typeET2_T3_PNSI_ISN_E10value_typeET4_jRbjT5_ST_jjP12ihipStream_tbEUlT_E1_NS1_11comp_targetILNS1_3genE8ELNS1_11target_archE1030ELNS1_3gpuE2ELNS1_3repE0EEENS1_59segmented_radix_sort_warp_sort_small_config_static_selectorELNS0_4arch9wavefront6targetE0EEEvSH_
		.amdhsa_group_segment_fixed_size 32768
		.amdhsa_private_segment_fixed_size 0
		.amdhsa_kernarg_size 344
		.amdhsa_user_sgpr_count 6
		.amdhsa_user_sgpr_private_segment_buffer 1
		.amdhsa_user_sgpr_dispatch_ptr 0
		.amdhsa_user_sgpr_queue_ptr 0
		.amdhsa_user_sgpr_kernarg_segment_ptr 1
		.amdhsa_user_sgpr_dispatch_id 0
		.amdhsa_user_sgpr_flat_scratch_init 0
		.amdhsa_user_sgpr_private_segment_size 0
		.amdhsa_wavefront_size32 1
		.amdhsa_uses_dynamic_stack 0
		.amdhsa_system_sgpr_private_segment_wavefront_offset 0
		.amdhsa_system_sgpr_workgroup_id_x 1
		.amdhsa_system_sgpr_workgroup_id_y 1
		.amdhsa_system_sgpr_workgroup_id_z 0
		.amdhsa_system_sgpr_workgroup_info 0
		.amdhsa_system_vgpr_workitem_id 2
		.amdhsa_next_free_vgpr 130
		.amdhsa_next_free_sgpr 48
		.amdhsa_reserve_vcc 1
		.amdhsa_reserve_flat_scratch 0
		.amdhsa_float_round_mode_32 0
		.amdhsa_float_round_mode_16_64 0
		.amdhsa_float_denorm_mode_32 3
		.amdhsa_float_denorm_mode_16_64 3
		.amdhsa_dx10_clamp 1
		.amdhsa_ieee_mode 1
		.amdhsa_fp16_overflow 0
		.amdhsa_workgroup_processor_mode 1
		.amdhsa_memory_ordered 1
		.amdhsa_forward_progress 1
		.amdhsa_shared_vgpr_count 0
		.amdhsa_exception_fp_ieee_invalid_op 0
		.amdhsa_exception_fp_denorm_src 0
		.amdhsa_exception_fp_ieee_div_zero 0
		.amdhsa_exception_fp_ieee_overflow 0
		.amdhsa_exception_fp_ieee_underflow 0
		.amdhsa_exception_fp_ieee_inexact 0
		.amdhsa_exception_int_div_zero 0
	.end_amdhsa_kernel
	.section	.text._ZN7rocprim17ROCPRIM_400000_NS6detail17trampoline_kernelINS0_14default_configENS1_36segmented_radix_sort_config_selectorIllEEZNS1_25segmented_radix_sort_implIS3_Lb0EPKlPlS8_S9_N2at6native12_GLOBAL__N_18offset_tEEE10hipError_tPvRmT1_PNSt15iterator_traitsISH_E10value_typeET2_T3_PNSI_ISN_E10value_typeET4_jRbjT5_ST_jjP12ihipStream_tbEUlT_E1_NS1_11comp_targetILNS1_3genE8ELNS1_11target_archE1030ELNS1_3gpuE2ELNS1_3repE0EEENS1_59segmented_radix_sort_warp_sort_small_config_static_selectorELNS0_4arch9wavefront6targetE0EEEvSH_,"axG",@progbits,_ZN7rocprim17ROCPRIM_400000_NS6detail17trampoline_kernelINS0_14default_configENS1_36segmented_radix_sort_config_selectorIllEEZNS1_25segmented_radix_sort_implIS3_Lb0EPKlPlS8_S9_N2at6native12_GLOBAL__N_18offset_tEEE10hipError_tPvRmT1_PNSt15iterator_traitsISH_E10value_typeET2_T3_PNSI_ISN_E10value_typeET4_jRbjT5_ST_jjP12ihipStream_tbEUlT_E1_NS1_11comp_targetILNS1_3genE8ELNS1_11target_archE1030ELNS1_3gpuE2ELNS1_3repE0EEENS1_59segmented_radix_sort_warp_sort_small_config_static_selectorELNS0_4arch9wavefront6targetE0EEEvSH_,comdat
.Lfunc_end830:
	.size	_ZN7rocprim17ROCPRIM_400000_NS6detail17trampoline_kernelINS0_14default_configENS1_36segmented_radix_sort_config_selectorIllEEZNS1_25segmented_radix_sort_implIS3_Lb0EPKlPlS8_S9_N2at6native12_GLOBAL__N_18offset_tEEE10hipError_tPvRmT1_PNSt15iterator_traitsISH_E10value_typeET2_T3_PNSI_ISN_E10value_typeET4_jRbjT5_ST_jjP12ihipStream_tbEUlT_E1_NS1_11comp_targetILNS1_3genE8ELNS1_11target_archE1030ELNS1_3gpuE2ELNS1_3repE0EEENS1_59segmented_radix_sort_warp_sort_small_config_static_selectorELNS0_4arch9wavefront6targetE0EEEvSH_, .Lfunc_end830-_ZN7rocprim17ROCPRIM_400000_NS6detail17trampoline_kernelINS0_14default_configENS1_36segmented_radix_sort_config_selectorIllEEZNS1_25segmented_radix_sort_implIS3_Lb0EPKlPlS8_S9_N2at6native12_GLOBAL__N_18offset_tEEE10hipError_tPvRmT1_PNSt15iterator_traitsISH_E10value_typeET2_T3_PNSI_ISN_E10value_typeET4_jRbjT5_ST_jjP12ihipStream_tbEUlT_E1_NS1_11comp_targetILNS1_3genE8ELNS1_11target_archE1030ELNS1_3gpuE2ELNS1_3repE0EEENS1_59segmented_radix_sort_warp_sort_small_config_static_selectorELNS0_4arch9wavefront6targetE0EEEvSH_
                                        ; -- End function
	.set _ZN7rocprim17ROCPRIM_400000_NS6detail17trampoline_kernelINS0_14default_configENS1_36segmented_radix_sort_config_selectorIllEEZNS1_25segmented_radix_sort_implIS3_Lb0EPKlPlS8_S9_N2at6native12_GLOBAL__N_18offset_tEEE10hipError_tPvRmT1_PNSt15iterator_traitsISH_E10value_typeET2_T3_PNSI_ISN_E10value_typeET4_jRbjT5_ST_jjP12ihipStream_tbEUlT_E1_NS1_11comp_targetILNS1_3genE8ELNS1_11target_archE1030ELNS1_3gpuE2ELNS1_3repE0EEENS1_59segmented_radix_sort_warp_sort_small_config_static_selectorELNS0_4arch9wavefront6targetE0EEEvSH_.num_vgpr, max(45, .L_ZN7rocprim17ROCPRIM_400000_NS6detail26segmented_warp_sort_helperINS1_20WarpSortHelperConfigILj16ELj8ELj256EEEllLi256ELb0EvE4sortIPKlPlS8_S9_EEvT_T0_T1_T2_jjjjRNS5_12storage_typeE.num_vgpr)
	.set _ZN7rocprim17ROCPRIM_400000_NS6detail17trampoline_kernelINS0_14default_configENS1_36segmented_radix_sort_config_selectorIllEEZNS1_25segmented_radix_sort_implIS3_Lb0EPKlPlS8_S9_N2at6native12_GLOBAL__N_18offset_tEEE10hipError_tPvRmT1_PNSt15iterator_traitsISH_E10value_typeET2_T3_PNSI_ISN_E10value_typeET4_jRbjT5_ST_jjP12ihipStream_tbEUlT_E1_NS1_11comp_targetILNS1_3genE8ELNS1_11target_archE1030ELNS1_3gpuE2ELNS1_3repE0EEENS1_59segmented_radix_sort_warp_sort_small_config_static_selectorELNS0_4arch9wavefront6targetE0EEEvSH_.num_agpr, max(0, .L_ZN7rocprim17ROCPRIM_400000_NS6detail26segmented_warp_sort_helperINS1_20WarpSortHelperConfigILj16ELj8ELj256EEEllLi256ELb0EvE4sortIPKlPlS8_S9_EEvT_T0_T1_T2_jjjjRNS5_12storage_typeE.num_agpr)
	.set _ZN7rocprim17ROCPRIM_400000_NS6detail17trampoline_kernelINS0_14default_configENS1_36segmented_radix_sort_config_selectorIllEEZNS1_25segmented_radix_sort_implIS3_Lb0EPKlPlS8_S9_N2at6native12_GLOBAL__N_18offset_tEEE10hipError_tPvRmT1_PNSt15iterator_traitsISH_E10value_typeET2_T3_PNSI_ISN_E10value_typeET4_jRbjT5_ST_jjP12ihipStream_tbEUlT_E1_NS1_11comp_targetILNS1_3genE8ELNS1_11target_archE1030ELNS1_3gpuE2ELNS1_3repE0EEENS1_59segmented_radix_sort_warp_sort_small_config_static_selectorELNS0_4arch9wavefront6targetE0EEEvSH_.numbered_sgpr, max(48, .L_ZN7rocprim17ROCPRIM_400000_NS6detail26segmented_warp_sort_helperINS1_20WarpSortHelperConfigILj16ELj8ELj256EEEllLi256ELb0EvE4sortIPKlPlS8_S9_EEvT_T0_T1_T2_jjjjRNS5_12storage_typeE.numbered_sgpr)
	.set _ZN7rocprim17ROCPRIM_400000_NS6detail17trampoline_kernelINS0_14default_configENS1_36segmented_radix_sort_config_selectorIllEEZNS1_25segmented_radix_sort_implIS3_Lb0EPKlPlS8_S9_N2at6native12_GLOBAL__N_18offset_tEEE10hipError_tPvRmT1_PNSt15iterator_traitsISH_E10value_typeET2_T3_PNSI_ISN_E10value_typeET4_jRbjT5_ST_jjP12ihipStream_tbEUlT_E1_NS1_11comp_targetILNS1_3genE8ELNS1_11target_archE1030ELNS1_3gpuE2ELNS1_3repE0EEENS1_59segmented_radix_sort_warp_sort_small_config_static_selectorELNS0_4arch9wavefront6targetE0EEEvSH_.num_named_barrier, max(0, .L_ZN7rocprim17ROCPRIM_400000_NS6detail26segmented_warp_sort_helperINS1_20WarpSortHelperConfigILj16ELj8ELj256EEEllLi256ELb0EvE4sortIPKlPlS8_S9_EEvT_T0_T1_T2_jjjjRNS5_12storage_typeE.num_named_barrier)
	.set _ZN7rocprim17ROCPRIM_400000_NS6detail17trampoline_kernelINS0_14default_configENS1_36segmented_radix_sort_config_selectorIllEEZNS1_25segmented_radix_sort_implIS3_Lb0EPKlPlS8_S9_N2at6native12_GLOBAL__N_18offset_tEEE10hipError_tPvRmT1_PNSt15iterator_traitsISH_E10value_typeET2_T3_PNSI_ISN_E10value_typeET4_jRbjT5_ST_jjP12ihipStream_tbEUlT_E1_NS1_11comp_targetILNS1_3genE8ELNS1_11target_archE1030ELNS1_3gpuE2ELNS1_3repE0EEENS1_59segmented_radix_sort_warp_sort_small_config_static_selectorELNS0_4arch9wavefront6targetE0EEEvSH_.private_seg_size, 0+max(.L_ZN7rocprim17ROCPRIM_400000_NS6detail26segmented_warp_sort_helperINS1_20WarpSortHelperConfigILj16ELj8ELj256EEEllLi256ELb0EvE4sortIPKlPlS8_S9_EEvT_T0_T1_T2_jjjjRNS5_12storage_typeE.private_seg_size)
	.set _ZN7rocprim17ROCPRIM_400000_NS6detail17trampoline_kernelINS0_14default_configENS1_36segmented_radix_sort_config_selectorIllEEZNS1_25segmented_radix_sort_implIS3_Lb0EPKlPlS8_S9_N2at6native12_GLOBAL__N_18offset_tEEE10hipError_tPvRmT1_PNSt15iterator_traitsISH_E10value_typeET2_T3_PNSI_ISN_E10value_typeET4_jRbjT5_ST_jjP12ihipStream_tbEUlT_E1_NS1_11comp_targetILNS1_3genE8ELNS1_11target_archE1030ELNS1_3gpuE2ELNS1_3repE0EEENS1_59segmented_radix_sort_warp_sort_small_config_static_selectorELNS0_4arch9wavefront6targetE0EEEvSH_.uses_vcc, or(1, .L_ZN7rocprim17ROCPRIM_400000_NS6detail26segmented_warp_sort_helperINS1_20WarpSortHelperConfigILj16ELj8ELj256EEEllLi256ELb0EvE4sortIPKlPlS8_S9_EEvT_T0_T1_T2_jjjjRNS5_12storage_typeE.uses_vcc)
	.set _ZN7rocprim17ROCPRIM_400000_NS6detail17trampoline_kernelINS0_14default_configENS1_36segmented_radix_sort_config_selectorIllEEZNS1_25segmented_radix_sort_implIS3_Lb0EPKlPlS8_S9_N2at6native12_GLOBAL__N_18offset_tEEE10hipError_tPvRmT1_PNSt15iterator_traitsISH_E10value_typeET2_T3_PNSI_ISN_E10value_typeET4_jRbjT5_ST_jjP12ihipStream_tbEUlT_E1_NS1_11comp_targetILNS1_3genE8ELNS1_11target_archE1030ELNS1_3gpuE2ELNS1_3repE0EEENS1_59segmented_radix_sort_warp_sort_small_config_static_selectorELNS0_4arch9wavefront6targetE0EEEvSH_.uses_flat_scratch, or(0, .L_ZN7rocprim17ROCPRIM_400000_NS6detail26segmented_warp_sort_helperINS1_20WarpSortHelperConfigILj16ELj8ELj256EEEllLi256ELb0EvE4sortIPKlPlS8_S9_EEvT_T0_T1_T2_jjjjRNS5_12storage_typeE.uses_flat_scratch)
	.set _ZN7rocprim17ROCPRIM_400000_NS6detail17trampoline_kernelINS0_14default_configENS1_36segmented_radix_sort_config_selectorIllEEZNS1_25segmented_radix_sort_implIS3_Lb0EPKlPlS8_S9_N2at6native12_GLOBAL__N_18offset_tEEE10hipError_tPvRmT1_PNSt15iterator_traitsISH_E10value_typeET2_T3_PNSI_ISN_E10value_typeET4_jRbjT5_ST_jjP12ihipStream_tbEUlT_E1_NS1_11comp_targetILNS1_3genE8ELNS1_11target_archE1030ELNS1_3gpuE2ELNS1_3repE0EEENS1_59segmented_radix_sort_warp_sort_small_config_static_selectorELNS0_4arch9wavefront6targetE0EEEvSH_.has_dyn_sized_stack, or(0, .L_ZN7rocprim17ROCPRIM_400000_NS6detail26segmented_warp_sort_helperINS1_20WarpSortHelperConfigILj16ELj8ELj256EEEllLi256ELb0EvE4sortIPKlPlS8_S9_EEvT_T0_T1_T2_jjjjRNS5_12storage_typeE.has_dyn_sized_stack)
	.set _ZN7rocprim17ROCPRIM_400000_NS6detail17trampoline_kernelINS0_14default_configENS1_36segmented_radix_sort_config_selectorIllEEZNS1_25segmented_radix_sort_implIS3_Lb0EPKlPlS8_S9_N2at6native12_GLOBAL__N_18offset_tEEE10hipError_tPvRmT1_PNSt15iterator_traitsISH_E10value_typeET2_T3_PNSI_ISN_E10value_typeET4_jRbjT5_ST_jjP12ihipStream_tbEUlT_E1_NS1_11comp_targetILNS1_3genE8ELNS1_11target_archE1030ELNS1_3gpuE2ELNS1_3repE0EEENS1_59segmented_radix_sort_warp_sort_small_config_static_selectorELNS0_4arch9wavefront6targetE0EEEvSH_.has_recursion, or(0, .L_ZN7rocprim17ROCPRIM_400000_NS6detail26segmented_warp_sort_helperINS1_20WarpSortHelperConfigILj16ELj8ELj256EEEllLi256ELb0EvE4sortIPKlPlS8_S9_EEvT_T0_T1_T2_jjjjRNS5_12storage_typeE.has_recursion)
	.set _ZN7rocprim17ROCPRIM_400000_NS6detail17trampoline_kernelINS0_14default_configENS1_36segmented_radix_sort_config_selectorIllEEZNS1_25segmented_radix_sort_implIS3_Lb0EPKlPlS8_S9_N2at6native12_GLOBAL__N_18offset_tEEE10hipError_tPvRmT1_PNSt15iterator_traitsISH_E10value_typeET2_T3_PNSI_ISN_E10value_typeET4_jRbjT5_ST_jjP12ihipStream_tbEUlT_E1_NS1_11comp_targetILNS1_3genE8ELNS1_11target_archE1030ELNS1_3gpuE2ELNS1_3repE0EEENS1_59segmented_radix_sort_warp_sort_small_config_static_selectorELNS0_4arch9wavefront6targetE0EEEvSH_.has_indirect_call, or(0, .L_ZN7rocprim17ROCPRIM_400000_NS6detail26segmented_warp_sort_helperINS1_20WarpSortHelperConfigILj16ELj8ELj256EEEllLi256ELb0EvE4sortIPKlPlS8_S9_EEvT_T0_T1_T2_jjjjRNS5_12storage_typeE.has_indirect_call)
	.section	.AMDGPU.csdata,"",@progbits
; Kernel info:
; codeLenInByte = 524
; TotalNumSgprs: 50
; NumVgprs: 130
; ScratchSize: 0
; MemoryBound: 0
; FloatMode: 240
; IeeeMode: 1
; LDSByteSize: 32768 bytes/workgroup (compile time only)
; SGPRBlocks: 0
; VGPRBlocks: 16
; NumSGPRsForWavesPerEU: 50
; NumVGPRsForWavesPerEU: 130
; Occupancy: 7
; WaveLimiterHint : 0
; COMPUTE_PGM_RSRC2:SCRATCH_EN: 0
; COMPUTE_PGM_RSRC2:USER_SGPR: 6
; COMPUTE_PGM_RSRC2:TRAP_HANDLER: 0
; COMPUTE_PGM_RSRC2:TGID_X_EN: 1
; COMPUTE_PGM_RSRC2:TGID_Y_EN: 1
; COMPUTE_PGM_RSRC2:TGID_Z_EN: 0
; COMPUTE_PGM_RSRC2:TIDIG_COMP_CNT: 2
	.section	.text._ZN7rocprim17ROCPRIM_400000_NS6detail17trampoline_kernelINS0_14default_configENS1_36segmented_radix_sort_config_selectorIllEEZNS1_25segmented_radix_sort_implIS3_Lb0EPKlPlS8_S9_N2at6native12_GLOBAL__N_18offset_tEEE10hipError_tPvRmT1_PNSt15iterator_traitsISH_E10value_typeET2_T3_PNSI_ISN_E10value_typeET4_jRbjT5_ST_jjP12ihipStream_tbEUlT_E2_NS1_11comp_targetILNS1_3genE0ELNS1_11target_archE4294967295ELNS1_3gpuE0ELNS1_3repE0EEENS1_30default_config_static_selectorELNS0_4arch9wavefront6targetE0EEEvSH_,"axG",@progbits,_ZN7rocprim17ROCPRIM_400000_NS6detail17trampoline_kernelINS0_14default_configENS1_36segmented_radix_sort_config_selectorIllEEZNS1_25segmented_radix_sort_implIS3_Lb0EPKlPlS8_S9_N2at6native12_GLOBAL__N_18offset_tEEE10hipError_tPvRmT1_PNSt15iterator_traitsISH_E10value_typeET2_T3_PNSI_ISN_E10value_typeET4_jRbjT5_ST_jjP12ihipStream_tbEUlT_E2_NS1_11comp_targetILNS1_3genE0ELNS1_11target_archE4294967295ELNS1_3gpuE0ELNS1_3repE0EEENS1_30default_config_static_selectorELNS0_4arch9wavefront6targetE0EEEvSH_,comdat
	.globl	_ZN7rocprim17ROCPRIM_400000_NS6detail17trampoline_kernelINS0_14default_configENS1_36segmented_radix_sort_config_selectorIllEEZNS1_25segmented_radix_sort_implIS3_Lb0EPKlPlS8_S9_N2at6native12_GLOBAL__N_18offset_tEEE10hipError_tPvRmT1_PNSt15iterator_traitsISH_E10value_typeET2_T3_PNSI_ISN_E10value_typeET4_jRbjT5_ST_jjP12ihipStream_tbEUlT_E2_NS1_11comp_targetILNS1_3genE0ELNS1_11target_archE4294967295ELNS1_3gpuE0ELNS1_3repE0EEENS1_30default_config_static_selectorELNS0_4arch9wavefront6targetE0EEEvSH_ ; -- Begin function _ZN7rocprim17ROCPRIM_400000_NS6detail17trampoline_kernelINS0_14default_configENS1_36segmented_radix_sort_config_selectorIllEEZNS1_25segmented_radix_sort_implIS3_Lb0EPKlPlS8_S9_N2at6native12_GLOBAL__N_18offset_tEEE10hipError_tPvRmT1_PNSt15iterator_traitsISH_E10value_typeET2_T3_PNSI_ISN_E10value_typeET4_jRbjT5_ST_jjP12ihipStream_tbEUlT_E2_NS1_11comp_targetILNS1_3genE0ELNS1_11target_archE4294967295ELNS1_3gpuE0ELNS1_3repE0EEENS1_30default_config_static_selectorELNS0_4arch9wavefront6targetE0EEEvSH_
	.p2align	8
	.type	_ZN7rocprim17ROCPRIM_400000_NS6detail17trampoline_kernelINS0_14default_configENS1_36segmented_radix_sort_config_selectorIllEEZNS1_25segmented_radix_sort_implIS3_Lb0EPKlPlS8_S9_N2at6native12_GLOBAL__N_18offset_tEEE10hipError_tPvRmT1_PNSt15iterator_traitsISH_E10value_typeET2_T3_PNSI_ISN_E10value_typeET4_jRbjT5_ST_jjP12ihipStream_tbEUlT_E2_NS1_11comp_targetILNS1_3genE0ELNS1_11target_archE4294967295ELNS1_3gpuE0ELNS1_3repE0EEENS1_30default_config_static_selectorELNS0_4arch9wavefront6targetE0EEEvSH_,@function
_ZN7rocprim17ROCPRIM_400000_NS6detail17trampoline_kernelINS0_14default_configENS1_36segmented_radix_sort_config_selectorIllEEZNS1_25segmented_radix_sort_implIS3_Lb0EPKlPlS8_S9_N2at6native12_GLOBAL__N_18offset_tEEE10hipError_tPvRmT1_PNSt15iterator_traitsISH_E10value_typeET2_T3_PNSI_ISN_E10value_typeET4_jRbjT5_ST_jjP12ihipStream_tbEUlT_E2_NS1_11comp_targetILNS1_3genE0ELNS1_11target_archE4294967295ELNS1_3gpuE0ELNS1_3repE0EEENS1_30default_config_static_selectorELNS0_4arch9wavefront6targetE0EEEvSH_: ; @_ZN7rocprim17ROCPRIM_400000_NS6detail17trampoline_kernelINS0_14default_configENS1_36segmented_radix_sort_config_selectorIllEEZNS1_25segmented_radix_sort_implIS3_Lb0EPKlPlS8_S9_N2at6native12_GLOBAL__N_18offset_tEEE10hipError_tPvRmT1_PNSt15iterator_traitsISH_E10value_typeET2_T3_PNSI_ISN_E10value_typeET4_jRbjT5_ST_jjP12ihipStream_tbEUlT_E2_NS1_11comp_targetILNS1_3genE0ELNS1_11target_archE4294967295ELNS1_3gpuE0ELNS1_3repE0EEENS1_30default_config_static_selectorELNS0_4arch9wavefront6targetE0EEEvSH_
; %bb.0:
	.section	.rodata,"a",@progbits
	.p2align	6, 0x0
	.amdhsa_kernel _ZN7rocprim17ROCPRIM_400000_NS6detail17trampoline_kernelINS0_14default_configENS1_36segmented_radix_sort_config_selectorIllEEZNS1_25segmented_radix_sort_implIS3_Lb0EPKlPlS8_S9_N2at6native12_GLOBAL__N_18offset_tEEE10hipError_tPvRmT1_PNSt15iterator_traitsISH_E10value_typeET2_T3_PNSI_ISN_E10value_typeET4_jRbjT5_ST_jjP12ihipStream_tbEUlT_E2_NS1_11comp_targetILNS1_3genE0ELNS1_11target_archE4294967295ELNS1_3gpuE0ELNS1_3repE0EEENS1_30default_config_static_selectorELNS0_4arch9wavefront6targetE0EEEvSH_
		.amdhsa_group_segment_fixed_size 0
		.amdhsa_private_segment_fixed_size 0
		.amdhsa_kernarg_size 80
		.amdhsa_user_sgpr_count 6
		.amdhsa_user_sgpr_private_segment_buffer 1
		.amdhsa_user_sgpr_dispatch_ptr 0
		.amdhsa_user_sgpr_queue_ptr 0
		.amdhsa_user_sgpr_kernarg_segment_ptr 1
		.amdhsa_user_sgpr_dispatch_id 0
		.amdhsa_user_sgpr_flat_scratch_init 0
		.amdhsa_user_sgpr_private_segment_size 0
		.amdhsa_wavefront_size32 1
		.amdhsa_uses_dynamic_stack 0
		.amdhsa_system_sgpr_private_segment_wavefront_offset 0
		.amdhsa_system_sgpr_workgroup_id_x 1
		.amdhsa_system_sgpr_workgroup_id_y 0
		.amdhsa_system_sgpr_workgroup_id_z 0
		.amdhsa_system_sgpr_workgroup_info 0
		.amdhsa_system_vgpr_workitem_id 0
		.amdhsa_next_free_vgpr 1
		.amdhsa_next_free_sgpr 1
		.amdhsa_reserve_vcc 0
		.amdhsa_reserve_flat_scratch 0
		.amdhsa_float_round_mode_32 0
		.amdhsa_float_round_mode_16_64 0
		.amdhsa_float_denorm_mode_32 3
		.amdhsa_float_denorm_mode_16_64 3
		.amdhsa_dx10_clamp 1
		.amdhsa_ieee_mode 1
		.amdhsa_fp16_overflow 0
		.amdhsa_workgroup_processor_mode 1
		.amdhsa_memory_ordered 1
		.amdhsa_forward_progress 1
		.amdhsa_shared_vgpr_count 0
		.amdhsa_exception_fp_ieee_invalid_op 0
		.amdhsa_exception_fp_denorm_src 0
		.amdhsa_exception_fp_ieee_div_zero 0
		.amdhsa_exception_fp_ieee_overflow 0
		.amdhsa_exception_fp_ieee_underflow 0
		.amdhsa_exception_fp_ieee_inexact 0
		.amdhsa_exception_int_div_zero 0
	.end_amdhsa_kernel
	.section	.text._ZN7rocprim17ROCPRIM_400000_NS6detail17trampoline_kernelINS0_14default_configENS1_36segmented_radix_sort_config_selectorIllEEZNS1_25segmented_radix_sort_implIS3_Lb0EPKlPlS8_S9_N2at6native12_GLOBAL__N_18offset_tEEE10hipError_tPvRmT1_PNSt15iterator_traitsISH_E10value_typeET2_T3_PNSI_ISN_E10value_typeET4_jRbjT5_ST_jjP12ihipStream_tbEUlT_E2_NS1_11comp_targetILNS1_3genE0ELNS1_11target_archE4294967295ELNS1_3gpuE0ELNS1_3repE0EEENS1_30default_config_static_selectorELNS0_4arch9wavefront6targetE0EEEvSH_,"axG",@progbits,_ZN7rocprim17ROCPRIM_400000_NS6detail17trampoline_kernelINS0_14default_configENS1_36segmented_radix_sort_config_selectorIllEEZNS1_25segmented_radix_sort_implIS3_Lb0EPKlPlS8_S9_N2at6native12_GLOBAL__N_18offset_tEEE10hipError_tPvRmT1_PNSt15iterator_traitsISH_E10value_typeET2_T3_PNSI_ISN_E10value_typeET4_jRbjT5_ST_jjP12ihipStream_tbEUlT_E2_NS1_11comp_targetILNS1_3genE0ELNS1_11target_archE4294967295ELNS1_3gpuE0ELNS1_3repE0EEENS1_30default_config_static_selectorELNS0_4arch9wavefront6targetE0EEEvSH_,comdat
.Lfunc_end831:
	.size	_ZN7rocprim17ROCPRIM_400000_NS6detail17trampoline_kernelINS0_14default_configENS1_36segmented_radix_sort_config_selectorIllEEZNS1_25segmented_radix_sort_implIS3_Lb0EPKlPlS8_S9_N2at6native12_GLOBAL__N_18offset_tEEE10hipError_tPvRmT1_PNSt15iterator_traitsISH_E10value_typeET2_T3_PNSI_ISN_E10value_typeET4_jRbjT5_ST_jjP12ihipStream_tbEUlT_E2_NS1_11comp_targetILNS1_3genE0ELNS1_11target_archE4294967295ELNS1_3gpuE0ELNS1_3repE0EEENS1_30default_config_static_selectorELNS0_4arch9wavefront6targetE0EEEvSH_, .Lfunc_end831-_ZN7rocprim17ROCPRIM_400000_NS6detail17trampoline_kernelINS0_14default_configENS1_36segmented_radix_sort_config_selectorIllEEZNS1_25segmented_radix_sort_implIS3_Lb0EPKlPlS8_S9_N2at6native12_GLOBAL__N_18offset_tEEE10hipError_tPvRmT1_PNSt15iterator_traitsISH_E10value_typeET2_T3_PNSI_ISN_E10value_typeET4_jRbjT5_ST_jjP12ihipStream_tbEUlT_E2_NS1_11comp_targetILNS1_3genE0ELNS1_11target_archE4294967295ELNS1_3gpuE0ELNS1_3repE0EEENS1_30default_config_static_selectorELNS0_4arch9wavefront6targetE0EEEvSH_
                                        ; -- End function
	.set _ZN7rocprim17ROCPRIM_400000_NS6detail17trampoline_kernelINS0_14default_configENS1_36segmented_radix_sort_config_selectorIllEEZNS1_25segmented_radix_sort_implIS3_Lb0EPKlPlS8_S9_N2at6native12_GLOBAL__N_18offset_tEEE10hipError_tPvRmT1_PNSt15iterator_traitsISH_E10value_typeET2_T3_PNSI_ISN_E10value_typeET4_jRbjT5_ST_jjP12ihipStream_tbEUlT_E2_NS1_11comp_targetILNS1_3genE0ELNS1_11target_archE4294967295ELNS1_3gpuE0ELNS1_3repE0EEENS1_30default_config_static_selectorELNS0_4arch9wavefront6targetE0EEEvSH_.num_vgpr, 0
	.set _ZN7rocprim17ROCPRIM_400000_NS6detail17trampoline_kernelINS0_14default_configENS1_36segmented_radix_sort_config_selectorIllEEZNS1_25segmented_radix_sort_implIS3_Lb0EPKlPlS8_S9_N2at6native12_GLOBAL__N_18offset_tEEE10hipError_tPvRmT1_PNSt15iterator_traitsISH_E10value_typeET2_T3_PNSI_ISN_E10value_typeET4_jRbjT5_ST_jjP12ihipStream_tbEUlT_E2_NS1_11comp_targetILNS1_3genE0ELNS1_11target_archE4294967295ELNS1_3gpuE0ELNS1_3repE0EEENS1_30default_config_static_selectorELNS0_4arch9wavefront6targetE0EEEvSH_.num_agpr, 0
	.set _ZN7rocprim17ROCPRIM_400000_NS6detail17trampoline_kernelINS0_14default_configENS1_36segmented_radix_sort_config_selectorIllEEZNS1_25segmented_radix_sort_implIS3_Lb0EPKlPlS8_S9_N2at6native12_GLOBAL__N_18offset_tEEE10hipError_tPvRmT1_PNSt15iterator_traitsISH_E10value_typeET2_T3_PNSI_ISN_E10value_typeET4_jRbjT5_ST_jjP12ihipStream_tbEUlT_E2_NS1_11comp_targetILNS1_3genE0ELNS1_11target_archE4294967295ELNS1_3gpuE0ELNS1_3repE0EEENS1_30default_config_static_selectorELNS0_4arch9wavefront6targetE0EEEvSH_.numbered_sgpr, 0
	.set _ZN7rocprim17ROCPRIM_400000_NS6detail17trampoline_kernelINS0_14default_configENS1_36segmented_radix_sort_config_selectorIllEEZNS1_25segmented_radix_sort_implIS3_Lb0EPKlPlS8_S9_N2at6native12_GLOBAL__N_18offset_tEEE10hipError_tPvRmT1_PNSt15iterator_traitsISH_E10value_typeET2_T3_PNSI_ISN_E10value_typeET4_jRbjT5_ST_jjP12ihipStream_tbEUlT_E2_NS1_11comp_targetILNS1_3genE0ELNS1_11target_archE4294967295ELNS1_3gpuE0ELNS1_3repE0EEENS1_30default_config_static_selectorELNS0_4arch9wavefront6targetE0EEEvSH_.num_named_barrier, 0
	.set _ZN7rocprim17ROCPRIM_400000_NS6detail17trampoline_kernelINS0_14default_configENS1_36segmented_radix_sort_config_selectorIllEEZNS1_25segmented_radix_sort_implIS3_Lb0EPKlPlS8_S9_N2at6native12_GLOBAL__N_18offset_tEEE10hipError_tPvRmT1_PNSt15iterator_traitsISH_E10value_typeET2_T3_PNSI_ISN_E10value_typeET4_jRbjT5_ST_jjP12ihipStream_tbEUlT_E2_NS1_11comp_targetILNS1_3genE0ELNS1_11target_archE4294967295ELNS1_3gpuE0ELNS1_3repE0EEENS1_30default_config_static_selectorELNS0_4arch9wavefront6targetE0EEEvSH_.private_seg_size, 0
	.set _ZN7rocprim17ROCPRIM_400000_NS6detail17trampoline_kernelINS0_14default_configENS1_36segmented_radix_sort_config_selectorIllEEZNS1_25segmented_radix_sort_implIS3_Lb0EPKlPlS8_S9_N2at6native12_GLOBAL__N_18offset_tEEE10hipError_tPvRmT1_PNSt15iterator_traitsISH_E10value_typeET2_T3_PNSI_ISN_E10value_typeET4_jRbjT5_ST_jjP12ihipStream_tbEUlT_E2_NS1_11comp_targetILNS1_3genE0ELNS1_11target_archE4294967295ELNS1_3gpuE0ELNS1_3repE0EEENS1_30default_config_static_selectorELNS0_4arch9wavefront6targetE0EEEvSH_.uses_vcc, 0
	.set _ZN7rocprim17ROCPRIM_400000_NS6detail17trampoline_kernelINS0_14default_configENS1_36segmented_radix_sort_config_selectorIllEEZNS1_25segmented_radix_sort_implIS3_Lb0EPKlPlS8_S9_N2at6native12_GLOBAL__N_18offset_tEEE10hipError_tPvRmT1_PNSt15iterator_traitsISH_E10value_typeET2_T3_PNSI_ISN_E10value_typeET4_jRbjT5_ST_jjP12ihipStream_tbEUlT_E2_NS1_11comp_targetILNS1_3genE0ELNS1_11target_archE4294967295ELNS1_3gpuE0ELNS1_3repE0EEENS1_30default_config_static_selectorELNS0_4arch9wavefront6targetE0EEEvSH_.uses_flat_scratch, 0
	.set _ZN7rocprim17ROCPRIM_400000_NS6detail17trampoline_kernelINS0_14default_configENS1_36segmented_radix_sort_config_selectorIllEEZNS1_25segmented_radix_sort_implIS3_Lb0EPKlPlS8_S9_N2at6native12_GLOBAL__N_18offset_tEEE10hipError_tPvRmT1_PNSt15iterator_traitsISH_E10value_typeET2_T3_PNSI_ISN_E10value_typeET4_jRbjT5_ST_jjP12ihipStream_tbEUlT_E2_NS1_11comp_targetILNS1_3genE0ELNS1_11target_archE4294967295ELNS1_3gpuE0ELNS1_3repE0EEENS1_30default_config_static_selectorELNS0_4arch9wavefront6targetE0EEEvSH_.has_dyn_sized_stack, 0
	.set _ZN7rocprim17ROCPRIM_400000_NS6detail17trampoline_kernelINS0_14default_configENS1_36segmented_radix_sort_config_selectorIllEEZNS1_25segmented_radix_sort_implIS3_Lb0EPKlPlS8_S9_N2at6native12_GLOBAL__N_18offset_tEEE10hipError_tPvRmT1_PNSt15iterator_traitsISH_E10value_typeET2_T3_PNSI_ISN_E10value_typeET4_jRbjT5_ST_jjP12ihipStream_tbEUlT_E2_NS1_11comp_targetILNS1_3genE0ELNS1_11target_archE4294967295ELNS1_3gpuE0ELNS1_3repE0EEENS1_30default_config_static_selectorELNS0_4arch9wavefront6targetE0EEEvSH_.has_recursion, 0
	.set _ZN7rocprim17ROCPRIM_400000_NS6detail17trampoline_kernelINS0_14default_configENS1_36segmented_radix_sort_config_selectorIllEEZNS1_25segmented_radix_sort_implIS3_Lb0EPKlPlS8_S9_N2at6native12_GLOBAL__N_18offset_tEEE10hipError_tPvRmT1_PNSt15iterator_traitsISH_E10value_typeET2_T3_PNSI_ISN_E10value_typeET4_jRbjT5_ST_jjP12ihipStream_tbEUlT_E2_NS1_11comp_targetILNS1_3genE0ELNS1_11target_archE4294967295ELNS1_3gpuE0ELNS1_3repE0EEENS1_30default_config_static_selectorELNS0_4arch9wavefront6targetE0EEEvSH_.has_indirect_call, 0
	.section	.AMDGPU.csdata,"",@progbits
; Kernel info:
; codeLenInByte = 0
; TotalNumSgprs: 0
; NumVgprs: 0
; ScratchSize: 0
; MemoryBound: 0
; FloatMode: 240
; IeeeMode: 1
; LDSByteSize: 0 bytes/workgroup (compile time only)
; SGPRBlocks: 0
; VGPRBlocks: 0
; NumSGPRsForWavesPerEU: 1
; NumVGPRsForWavesPerEU: 1
; Occupancy: 16
; WaveLimiterHint : 0
; COMPUTE_PGM_RSRC2:SCRATCH_EN: 0
; COMPUTE_PGM_RSRC2:USER_SGPR: 6
; COMPUTE_PGM_RSRC2:TRAP_HANDLER: 0
; COMPUTE_PGM_RSRC2:TGID_X_EN: 1
; COMPUTE_PGM_RSRC2:TGID_Y_EN: 0
; COMPUTE_PGM_RSRC2:TGID_Z_EN: 0
; COMPUTE_PGM_RSRC2:TIDIG_COMP_CNT: 0
	.section	.text._ZN7rocprim17ROCPRIM_400000_NS6detail17trampoline_kernelINS0_14default_configENS1_36segmented_radix_sort_config_selectorIllEEZNS1_25segmented_radix_sort_implIS3_Lb0EPKlPlS8_S9_N2at6native12_GLOBAL__N_18offset_tEEE10hipError_tPvRmT1_PNSt15iterator_traitsISH_E10value_typeET2_T3_PNSI_ISN_E10value_typeET4_jRbjT5_ST_jjP12ihipStream_tbEUlT_E2_NS1_11comp_targetILNS1_3genE5ELNS1_11target_archE942ELNS1_3gpuE9ELNS1_3repE0EEENS1_30default_config_static_selectorELNS0_4arch9wavefront6targetE0EEEvSH_,"axG",@progbits,_ZN7rocprim17ROCPRIM_400000_NS6detail17trampoline_kernelINS0_14default_configENS1_36segmented_radix_sort_config_selectorIllEEZNS1_25segmented_radix_sort_implIS3_Lb0EPKlPlS8_S9_N2at6native12_GLOBAL__N_18offset_tEEE10hipError_tPvRmT1_PNSt15iterator_traitsISH_E10value_typeET2_T3_PNSI_ISN_E10value_typeET4_jRbjT5_ST_jjP12ihipStream_tbEUlT_E2_NS1_11comp_targetILNS1_3genE5ELNS1_11target_archE942ELNS1_3gpuE9ELNS1_3repE0EEENS1_30default_config_static_selectorELNS0_4arch9wavefront6targetE0EEEvSH_,comdat
	.globl	_ZN7rocprim17ROCPRIM_400000_NS6detail17trampoline_kernelINS0_14default_configENS1_36segmented_radix_sort_config_selectorIllEEZNS1_25segmented_radix_sort_implIS3_Lb0EPKlPlS8_S9_N2at6native12_GLOBAL__N_18offset_tEEE10hipError_tPvRmT1_PNSt15iterator_traitsISH_E10value_typeET2_T3_PNSI_ISN_E10value_typeET4_jRbjT5_ST_jjP12ihipStream_tbEUlT_E2_NS1_11comp_targetILNS1_3genE5ELNS1_11target_archE942ELNS1_3gpuE9ELNS1_3repE0EEENS1_30default_config_static_selectorELNS0_4arch9wavefront6targetE0EEEvSH_ ; -- Begin function _ZN7rocprim17ROCPRIM_400000_NS6detail17trampoline_kernelINS0_14default_configENS1_36segmented_radix_sort_config_selectorIllEEZNS1_25segmented_radix_sort_implIS3_Lb0EPKlPlS8_S9_N2at6native12_GLOBAL__N_18offset_tEEE10hipError_tPvRmT1_PNSt15iterator_traitsISH_E10value_typeET2_T3_PNSI_ISN_E10value_typeET4_jRbjT5_ST_jjP12ihipStream_tbEUlT_E2_NS1_11comp_targetILNS1_3genE5ELNS1_11target_archE942ELNS1_3gpuE9ELNS1_3repE0EEENS1_30default_config_static_selectorELNS0_4arch9wavefront6targetE0EEEvSH_
	.p2align	8
	.type	_ZN7rocprim17ROCPRIM_400000_NS6detail17trampoline_kernelINS0_14default_configENS1_36segmented_radix_sort_config_selectorIllEEZNS1_25segmented_radix_sort_implIS3_Lb0EPKlPlS8_S9_N2at6native12_GLOBAL__N_18offset_tEEE10hipError_tPvRmT1_PNSt15iterator_traitsISH_E10value_typeET2_T3_PNSI_ISN_E10value_typeET4_jRbjT5_ST_jjP12ihipStream_tbEUlT_E2_NS1_11comp_targetILNS1_3genE5ELNS1_11target_archE942ELNS1_3gpuE9ELNS1_3repE0EEENS1_30default_config_static_selectorELNS0_4arch9wavefront6targetE0EEEvSH_,@function
_ZN7rocprim17ROCPRIM_400000_NS6detail17trampoline_kernelINS0_14default_configENS1_36segmented_radix_sort_config_selectorIllEEZNS1_25segmented_radix_sort_implIS3_Lb0EPKlPlS8_S9_N2at6native12_GLOBAL__N_18offset_tEEE10hipError_tPvRmT1_PNSt15iterator_traitsISH_E10value_typeET2_T3_PNSI_ISN_E10value_typeET4_jRbjT5_ST_jjP12ihipStream_tbEUlT_E2_NS1_11comp_targetILNS1_3genE5ELNS1_11target_archE942ELNS1_3gpuE9ELNS1_3repE0EEENS1_30default_config_static_selectorELNS0_4arch9wavefront6targetE0EEEvSH_: ; @_ZN7rocprim17ROCPRIM_400000_NS6detail17trampoline_kernelINS0_14default_configENS1_36segmented_radix_sort_config_selectorIllEEZNS1_25segmented_radix_sort_implIS3_Lb0EPKlPlS8_S9_N2at6native12_GLOBAL__N_18offset_tEEE10hipError_tPvRmT1_PNSt15iterator_traitsISH_E10value_typeET2_T3_PNSI_ISN_E10value_typeET4_jRbjT5_ST_jjP12ihipStream_tbEUlT_E2_NS1_11comp_targetILNS1_3genE5ELNS1_11target_archE942ELNS1_3gpuE9ELNS1_3repE0EEENS1_30default_config_static_selectorELNS0_4arch9wavefront6targetE0EEEvSH_
; %bb.0:
	.section	.rodata,"a",@progbits
	.p2align	6, 0x0
	.amdhsa_kernel _ZN7rocprim17ROCPRIM_400000_NS6detail17trampoline_kernelINS0_14default_configENS1_36segmented_radix_sort_config_selectorIllEEZNS1_25segmented_radix_sort_implIS3_Lb0EPKlPlS8_S9_N2at6native12_GLOBAL__N_18offset_tEEE10hipError_tPvRmT1_PNSt15iterator_traitsISH_E10value_typeET2_T3_PNSI_ISN_E10value_typeET4_jRbjT5_ST_jjP12ihipStream_tbEUlT_E2_NS1_11comp_targetILNS1_3genE5ELNS1_11target_archE942ELNS1_3gpuE9ELNS1_3repE0EEENS1_30default_config_static_selectorELNS0_4arch9wavefront6targetE0EEEvSH_
		.amdhsa_group_segment_fixed_size 0
		.amdhsa_private_segment_fixed_size 0
		.amdhsa_kernarg_size 80
		.amdhsa_user_sgpr_count 6
		.amdhsa_user_sgpr_private_segment_buffer 1
		.amdhsa_user_sgpr_dispatch_ptr 0
		.amdhsa_user_sgpr_queue_ptr 0
		.amdhsa_user_sgpr_kernarg_segment_ptr 1
		.amdhsa_user_sgpr_dispatch_id 0
		.amdhsa_user_sgpr_flat_scratch_init 0
		.amdhsa_user_sgpr_private_segment_size 0
		.amdhsa_wavefront_size32 1
		.amdhsa_uses_dynamic_stack 0
		.amdhsa_system_sgpr_private_segment_wavefront_offset 0
		.amdhsa_system_sgpr_workgroup_id_x 1
		.amdhsa_system_sgpr_workgroup_id_y 0
		.amdhsa_system_sgpr_workgroup_id_z 0
		.amdhsa_system_sgpr_workgroup_info 0
		.amdhsa_system_vgpr_workitem_id 0
		.amdhsa_next_free_vgpr 1
		.amdhsa_next_free_sgpr 1
		.amdhsa_reserve_vcc 0
		.amdhsa_reserve_flat_scratch 0
		.amdhsa_float_round_mode_32 0
		.amdhsa_float_round_mode_16_64 0
		.amdhsa_float_denorm_mode_32 3
		.amdhsa_float_denorm_mode_16_64 3
		.amdhsa_dx10_clamp 1
		.amdhsa_ieee_mode 1
		.amdhsa_fp16_overflow 0
		.amdhsa_workgroup_processor_mode 1
		.amdhsa_memory_ordered 1
		.amdhsa_forward_progress 1
		.amdhsa_shared_vgpr_count 0
		.amdhsa_exception_fp_ieee_invalid_op 0
		.amdhsa_exception_fp_denorm_src 0
		.amdhsa_exception_fp_ieee_div_zero 0
		.amdhsa_exception_fp_ieee_overflow 0
		.amdhsa_exception_fp_ieee_underflow 0
		.amdhsa_exception_fp_ieee_inexact 0
		.amdhsa_exception_int_div_zero 0
	.end_amdhsa_kernel
	.section	.text._ZN7rocprim17ROCPRIM_400000_NS6detail17trampoline_kernelINS0_14default_configENS1_36segmented_radix_sort_config_selectorIllEEZNS1_25segmented_radix_sort_implIS3_Lb0EPKlPlS8_S9_N2at6native12_GLOBAL__N_18offset_tEEE10hipError_tPvRmT1_PNSt15iterator_traitsISH_E10value_typeET2_T3_PNSI_ISN_E10value_typeET4_jRbjT5_ST_jjP12ihipStream_tbEUlT_E2_NS1_11comp_targetILNS1_3genE5ELNS1_11target_archE942ELNS1_3gpuE9ELNS1_3repE0EEENS1_30default_config_static_selectorELNS0_4arch9wavefront6targetE0EEEvSH_,"axG",@progbits,_ZN7rocprim17ROCPRIM_400000_NS6detail17trampoline_kernelINS0_14default_configENS1_36segmented_radix_sort_config_selectorIllEEZNS1_25segmented_radix_sort_implIS3_Lb0EPKlPlS8_S9_N2at6native12_GLOBAL__N_18offset_tEEE10hipError_tPvRmT1_PNSt15iterator_traitsISH_E10value_typeET2_T3_PNSI_ISN_E10value_typeET4_jRbjT5_ST_jjP12ihipStream_tbEUlT_E2_NS1_11comp_targetILNS1_3genE5ELNS1_11target_archE942ELNS1_3gpuE9ELNS1_3repE0EEENS1_30default_config_static_selectorELNS0_4arch9wavefront6targetE0EEEvSH_,comdat
.Lfunc_end832:
	.size	_ZN7rocprim17ROCPRIM_400000_NS6detail17trampoline_kernelINS0_14default_configENS1_36segmented_radix_sort_config_selectorIllEEZNS1_25segmented_radix_sort_implIS3_Lb0EPKlPlS8_S9_N2at6native12_GLOBAL__N_18offset_tEEE10hipError_tPvRmT1_PNSt15iterator_traitsISH_E10value_typeET2_T3_PNSI_ISN_E10value_typeET4_jRbjT5_ST_jjP12ihipStream_tbEUlT_E2_NS1_11comp_targetILNS1_3genE5ELNS1_11target_archE942ELNS1_3gpuE9ELNS1_3repE0EEENS1_30default_config_static_selectorELNS0_4arch9wavefront6targetE0EEEvSH_, .Lfunc_end832-_ZN7rocprim17ROCPRIM_400000_NS6detail17trampoline_kernelINS0_14default_configENS1_36segmented_radix_sort_config_selectorIllEEZNS1_25segmented_radix_sort_implIS3_Lb0EPKlPlS8_S9_N2at6native12_GLOBAL__N_18offset_tEEE10hipError_tPvRmT1_PNSt15iterator_traitsISH_E10value_typeET2_T3_PNSI_ISN_E10value_typeET4_jRbjT5_ST_jjP12ihipStream_tbEUlT_E2_NS1_11comp_targetILNS1_3genE5ELNS1_11target_archE942ELNS1_3gpuE9ELNS1_3repE0EEENS1_30default_config_static_selectorELNS0_4arch9wavefront6targetE0EEEvSH_
                                        ; -- End function
	.set _ZN7rocprim17ROCPRIM_400000_NS6detail17trampoline_kernelINS0_14default_configENS1_36segmented_radix_sort_config_selectorIllEEZNS1_25segmented_radix_sort_implIS3_Lb0EPKlPlS8_S9_N2at6native12_GLOBAL__N_18offset_tEEE10hipError_tPvRmT1_PNSt15iterator_traitsISH_E10value_typeET2_T3_PNSI_ISN_E10value_typeET4_jRbjT5_ST_jjP12ihipStream_tbEUlT_E2_NS1_11comp_targetILNS1_3genE5ELNS1_11target_archE942ELNS1_3gpuE9ELNS1_3repE0EEENS1_30default_config_static_selectorELNS0_4arch9wavefront6targetE0EEEvSH_.num_vgpr, 0
	.set _ZN7rocprim17ROCPRIM_400000_NS6detail17trampoline_kernelINS0_14default_configENS1_36segmented_radix_sort_config_selectorIllEEZNS1_25segmented_radix_sort_implIS3_Lb0EPKlPlS8_S9_N2at6native12_GLOBAL__N_18offset_tEEE10hipError_tPvRmT1_PNSt15iterator_traitsISH_E10value_typeET2_T3_PNSI_ISN_E10value_typeET4_jRbjT5_ST_jjP12ihipStream_tbEUlT_E2_NS1_11comp_targetILNS1_3genE5ELNS1_11target_archE942ELNS1_3gpuE9ELNS1_3repE0EEENS1_30default_config_static_selectorELNS0_4arch9wavefront6targetE0EEEvSH_.num_agpr, 0
	.set _ZN7rocprim17ROCPRIM_400000_NS6detail17trampoline_kernelINS0_14default_configENS1_36segmented_radix_sort_config_selectorIllEEZNS1_25segmented_radix_sort_implIS3_Lb0EPKlPlS8_S9_N2at6native12_GLOBAL__N_18offset_tEEE10hipError_tPvRmT1_PNSt15iterator_traitsISH_E10value_typeET2_T3_PNSI_ISN_E10value_typeET4_jRbjT5_ST_jjP12ihipStream_tbEUlT_E2_NS1_11comp_targetILNS1_3genE5ELNS1_11target_archE942ELNS1_3gpuE9ELNS1_3repE0EEENS1_30default_config_static_selectorELNS0_4arch9wavefront6targetE0EEEvSH_.numbered_sgpr, 0
	.set _ZN7rocprim17ROCPRIM_400000_NS6detail17trampoline_kernelINS0_14default_configENS1_36segmented_radix_sort_config_selectorIllEEZNS1_25segmented_radix_sort_implIS3_Lb0EPKlPlS8_S9_N2at6native12_GLOBAL__N_18offset_tEEE10hipError_tPvRmT1_PNSt15iterator_traitsISH_E10value_typeET2_T3_PNSI_ISN_E10value_typeET4_jRbjT5_ST_jjP12ihipStream_tbEUlT_E2_NS1_11comp_targetILNS1_3genE5ELNS1_11target_archE942ELNS1_3gpuE9ELNS1_3repE0EEENS1_30default_config_static_selectorELNS0_4arch9wavefront6targetE0EEEvSH_.num_named_barrier, 0
	.set _ZN7rocprim17ROCPRIM_400000_NS6detail17trampoline_kernelINS0_14default_configENS1_36segmented_radix_sort_config_selectorIllEEZNS1_25segmented_radix_sort_implIS3_Lb0EPKlPlS8_S9_N2at6native12_GLOBAL__N_18offset_tEEE10hipError_tPvRmT1_PNSt15iterator_traitsISH_E10value_typeET2_T3_PNSI_ISN_E10value_typeET4_jRbjT5_ST_jjP12ihipStream_tbEUlT_E2_NS1_11comp_targetILNS1_3genE5ELNS1_11target_archE942ELNS1_3gpuE9ELNS1_3repE0EEENS1_30default_config_static_selectorELNS0_4arch9wavefront6targetE0EEEvSH_.private_seg_size, 0
	.set _ZN7rocprim17ROCPRIM_400000_NS6detail17trampoline_kernelINS0_14default_configENS1_36segmented_radix_sort_config_selectorIllEEZNS1_25segmented_radix_sort_implIS3_Lb0EPKlPlS8_S9_N2at6native12_GLOBAL__N_18offset_tEEE10hipError_tPvRmT1_PNSt15iterator_traitsISH_E10value_typeET2_T3_PNSI_ISN_E10value_typeET4_jRbjT5_ST_jjP12ihipStream_tbEUlT_E2_NS1_11comp_targetILNS1_3genE5ELNS1_11target_archE942ELNS1_3gpuE9ELNS1_3repE0EEENS1_30default_config_static_selectorELNS0_4arch9wavefront6targetE0EEEvSH_.uses_vcc, 0
	.set _ZN7rocprim17ROCPRIM_400000_NS6detail17trampoline_kernelINS0_14default_configENS1_36segmented_radix_sort_config_selectorIllEEZNS1_25segmented_radix_sort_implIS3_Lb0EPKlPlS8_S9_N2at6native12_GLOBAL__N_18offset_tEEE10hipError_tPvRmT1_PNSt15iterator_traitsISH_E10value_typeET2_T3_PNSI_ISN_E10value_typeET4_jRbjT5_ST_jjP12ihipStream_tbEUlT_E2_NS1_11comp_targetILNS1_3genE5ELNS1_11target_archE942ELNS1_3gpuE9ELNS1_3repE0EEENS1_30default_config_static_selectorELNS0_4arch9wavefront6targetE0EEEvSH_.uses_flat_scratch, 0
	.set _ZN7rocprim17ROCPRIM_400000_NS6detail17trampoline_kernelINS0_14default_configENS1_36segmented_radix_sort_config_selectorIllEEZNS1_25segmented_radix_sort_implIS3_Lb0EPKlPlS8_S9_N2at6native12_GLOBAL__N_18offset_tEEE10hipError_tPvRmT1_PNSt15iterator_traitsISH_E10value_typeET2_T3_PNSI_ISN_E10value_typeET4_jRbjT5_ST_jjP12ihipStream_tbEUlT_E2_NS1_11comp_targetILNS1_3genE5ELNS1_11target_archE942ELNS1_3gpuE9ELNS1_3repE0EEENS1_30default_config_static_selectorELNS0_4arch9wavefront6targetE0EEEvSH_.has_dyn_sized_stack, 0
	.set _ZN7rocprim17ROCPRIM_400000_NS6detail17trampoline_kernelINS0_14default_configENS1_36segmented_radix_sort_config_selectorIllEEZNS1_25segmented_radix_sort_implIS3_Lb0EPKlPlS8_S9_N2at6native12_GLOBAL__N_18offset_tEEE10hipError_tPvRmT1_PNSt15iterator_traitsISH_E10value_typeET2_T3_PNSI_ISN_E10value_typeET4_jRbjT5_ST_jjP12ihipStream_tbEUlT_E2_NS1_11comp_targetILNS1_3genE5ELNS1_11target_archE942ELNS1_3gpuE9ELNS1_3repE0EEENS1_30default_config_static_selectorELNS0_4arch9wavefront6targetE0EEEvSH_.has_recursion, 0
	.set _ZN7rocprim17ROCPRIM_400000_NS6detail17trampoline_kernelINS0_14default_configENS1_36segmented_radix_sort_config_selectorIllEEZNS1_25segmented_radix_sort_implIS3_Lb0EPKlPlS8_S9_N2at6native12_GLOBAL__N_18offset_tEEE10hipError_tPvRmT1_PNSt15iterator_traitsISH_E10value_typeET2_T3_PNSI_ISN_E10value_typeET4_jRbjT5_ST_jjP12ihipStream_tbEUlT_E2_NS1_11comp_targetILNS1_3genE5ELNS1_11target_archE942ELNS1_3gpuE9ELNS1_3repE0EEENS1_30default_config_static_selectorELNS0_4arch9wavefront6targetE0EEEvSH_.has_indirect_call, 0
	.section	.AMDGPU.csdata,"",@progbits
; Kernel info:
; codeLenInByte = 0
; TotalNumSgprs: 0
; NumVgprs: 0
; ScratchSize: 0
; MemoryBound: 0
; FloatMode: 240
; IeeeMode: 1
; LDSByteSize: 0 bytes/workgroup (compile time only)
; SGPRBlocks: 0
; VGPRBlocks: 0
; NumSGPRsForWavesPerEU: 1
; NumVGPRsForWavesPerEU: 1
; Occupancy: 16
; WaveLimiterHint : 0
; COMPUTE_PGM_RSRC2:SCRATCH_EN: 0
; COMPUTE_PGM_RSRC2:USER_SGPR: 6
; COMPUTE_PGM_RSRC2:TRAP_HANDLER: 0
; COMPUTE_PGM_RSRC2:TGID_X_EN: 1
; COMPUTE_PGM_RSRC2:TGID_Y_EN: 0
; COMPUTE_PGM_RSRC2:TGID_Z_EN: 0
; COMPUTE_PGM_RSRC2:TIDIG_COMP_CNT: 0
	.section	.text._ZN7rocprim17ROCPRIM_400000_NS6detail17trampoline_kernelINS0_14default_configENS1_36segmented_radix_sort_config_selectorIllEEZNS1_25segmented_radix_sort_implIS3_Lb0EPKlPlS8_S9_N2at6native12_GLOBAL__N_18offset_tEEE10hipError_tPvRmT1_PNSt15iterator_traitsISH_E10value_typeET2_T3_PNSI_ISN_E10value_typeET4_jRbjT5_ST_jjP12ihipStream_tbEUlT_E2_NS1_11comp_targetILNS1_3genE4ELNS1_11target_archE910ELNS1_3gpuE8ELNS1_3repE0EEENS1_30default_config_static_selectorELNS0_4arch9wavefront6targetE0EEEvSH_,"axG",@progbits,_ZN7rocprim17ROCPRIM_400000_NS6detail17trampoline_kernelINS0_14default_configENS1_36segmented_radix_sort_config_selectorIllEEZNS1_25segmented_radix_sort_implIS3_Lb0EPKlPlS8_S9_N2at6native12_GLOBAL__N_18offset_tEEE10hipError_tPvRmT1_PNSt15iterator_traitsISH_E10value_typeET2_T3_PNSI_ISN_E10value_typeET4_jRbjT5_ST_jjP12ihipStream_tbEUlT_E2_NS1_11comp_targetILNS1_3genE4ELNS1_11target_archE910ELNS1_3gpuE8ELNS1_3repE0EEENS1_30default_config_static_selectorELNS0_4arch9wavefront6targetE0EEEvSH_,comdat
	.globl	_ZN7rocprim17ROCPRIM_400000_NS6detail17trampoline_kernelINS0_14default_configENS1_36segmented_radix_sort_config_selectorIllEEZNS1_25segmented_radix_sort_implIS3_Lb0EPKlPlS8_S9_N2at6native12_GLOBAL__N_18offset_tEEE10hipError_tPvRmT1_PNSt15iterator_traitsISH_E10value_typeET2_T3_PNSI_ISN_E10value_typeET4_jRbjT5_ST_jjP12ihipStream_tbEUlT_E2_NS1_11comp_targetILNS1_3genE4ELNS1_11target_archE910ELNS1_3gpuE8ELNS1_3repE0EEENS1_30default_config_static_selectorELNS0_4arch9wavefront6targetE0EEEvSH_ ; -- Begin function _ZN7rocprim17ROCPRIM_400000_NS6detail17trampoline_kernelINS0_14default_configENS1_36segmented_radix_sort_config_selectorIllEEZNS1_25segmented_radix_sort_implIS3_Lb0EPKlPlS8_S9_N2at6native12_GLOBAL__N_18offset_tEEE10hipError_tPvRmT1_PNSt15iterator_traitsISH_E10value_typeET2_T3_PNSI_ISN_E10value_typeET4_jRbjT5_ST_jjP12ihipStream_tbEUlT_E2_NS1_11comp_targetILNS1_3genE4ELNS1_11target_archE910ELNS1_3gpuE8ELNS1_3repE0EEENS1_30default_config_static_selectorELNS0_4arch9wavefront6targetE0EEEvSH_
	.p2align	8
	.type	_ZN7rocprim17ROCPRIM_400000_NS6detail17trampoline_kernelINS0_14default_configENS1_36segmented_radix_sort_config_selectorIllEEZNS1_25segmented_radix_sort_implIS3_Lb0EPKlPlS8_S9_N2at6native12_GLOBAL__N_18offset_tEEE10hipError_tPvRmT1_PNSt15iterator_traitsISH_E10value_typeET2_T3_PNSI_ISN_E10value_typeET4_jRbjT5_ST_jjP12ihipStream_tbEUlT_E2_NS1_11comp_targetILNS1_3genE4ELNS1_11target_archE910ELNS1_3gpuE8ELNS1_3repE0EEENS1_30default_config_static_selectorELNS0_4arch9wavefront6targetE0EEEvSH_,@function
_ZN7rocprim17ROCPRIM_400000_NS6detail17trampoline_kernelINS0_14default_configENS1_36segmented_radix_sort_config_selectorIllEEZNS1_25segmented_radix_sort_implIS3_Lb0EPKlPlS8_S9_N2at6native12_GLOBAL__N_18offset_tEEE10hipError_tPvRmT1_PNSt15iterator_traitsISH_E10value_typeET2_T3_PNSI_ISN_E10value_typeET4_jRbjT5_ST_jjP12ihipStream_tbEUlT_E2_NS1_11comp_targetILNS1_3genE4ELNS1_11target_archE910ELNS1_3gpuE8ELNS1_3repE0EEENS1_30default_config_static_selectorELNS0_4arch9wavefront6targetE0EEEvSH_: ; @_ZN7rocprim17ROCPRIM_400000_NS6detail17trampoline_kernelINS0_14default_configENS1_36segmented_radix_sort_config_selectorIllEEZNS1_25segmented_radix_sort_implIS3_Lb0EPKlPlS8_S9_N2at6native12_GLOBAL__N_18offset_tEEE10hipError_tPvRmT1_PNSt15iterator_traitsISH_E10value_typeET2_T3_PNSI_ISN_E10value_typeET4_jRbjT5_ST_jjP12ihipStream_tbEUlT_E2_NS1_11comp_targetILNS1_3genE4ELNS1_11target_archE910ELNS1_3gpuE8ELNS1_3repE0EEENS1_30default_config_static_selectorELNS0_4arch9wavefront6targetE0EEEvSH_
; %bb.0:
	.section	.rodata,"a",@progbits
	.p2align	6, 0x0
	.amdhsa_kernel _ZN7rocprim17ROCPRIM_400000_NS6detail17trampoline_kernelINS0_14default_configENS1_36segmented_radix_sort_config_selectorIllEEZNS1_25segmented_radix_sort_implIS3_Lb0EPKlPlS8_S9_N2at6native12_GLOBAL__N_18offset_tEEE10hipError_tPvRmT1_PNSt15iterator_traitsISH_E10value_typeET2_T3_PNSI_ISN_E10value_typeET4_jRbjT5_ST_jjP12ihipStream_tbEUlT_E2_NS1_11comp_targetILNS1_3genE4ELNS1_11target_archE910ELNS1_3gpuE8ELNS1_3repE0EEENS1_30default_config_static_selectorELNS0_4arch9wavefront6targetE0EEEvSH_
		.amdhsa_group_segment_fixed_size 0
		.amdhsa_private_segment_fixed_size 0
		.amdhsa_kernarg_size 80
		.amdhsa_user_sgpr_count 6
		.amdhsa_user_sgpr_private_segment_buffer 1
		.amdhsa_user_sgpr_dispatch_ptr 0
		.amdhsa_user_sgpr_queue_ptr 0
		.amdhsa_user_sgpr_kernarg_segment_ptr 1
		.amdhsa_user_sgpr_dispatch_id 0
		.amdhsa_user_sgpr_flat_scratch_init 0
		.amdhsa_user_sgpr_private_segment_size 0
		.amdhsa_wavefront_size32 1
		.amdhsa_uses_dynamic_stack 0
		.amdhsa_system_sgpr_private_segment_wavefront_offset 0
		.amdhsa_system_sgpr_workgroup_id_x 1
		.amdhsa_system_sgpr_workgroup_id_y 0
		.amdhsa_system_sgpr_workgroup_id_z 0
		.amdhsa_system_sgpr_workgroup_info 0
		.amdhsa_system_vgpr_workitem_id 0
		.amdhsa_next_free_vgpr 1
		.amdhsa_next_free_sgpr 1
		.amdhsa_reserve_vcc 0
		.amdhsa_reserve_flat_scratch 0
		.amdhsa_float_round_mode_32 0
		.amdhsa_float_round_mode_16_64 0
		.amdhsa_float_denorm_mode_32 3
		.amdhsa_float_denorm_mode_16_64 3
		.amdhsa_dx10_clamp 1
		.amdhsa_ieee_mode 1
		.amdhsa_fp16_overflow 0
		.amdhsa_workgroup_processor_mode 1
		.amdhsa_memory_ordered 1
		.amdhsa_forward_progress 1
		.amdhsa_shared_vgpr_count 0
		.amdhsa_exception_fp_ieee_invalid_op 0
		.amdhsa_exception_fp_denorm_src 0
		.amdhsa_exception_fp_ieee_div_zero 0
		.amdhsa_exception_fp_ieee_overflow 0
		.amdhsa_exception_fp_ieee_underflow 0
		.amdhsa_exception_fp_ieee_inexact 0
		.amdhsa_exception_int_div_zero 0
	.end_amdhsa_kernel
	.section	.text._ZN7rocprim17ROCPRIM_400000_NS6detail17trampoline_kernelINS0_14default_configENS1_36segmented_radix_sort_config_selectorIllEEZNS1_25segmented_radix_sort_implIS3_Lb0EPKlPlS8_S9_N2at6native12_GLOBAL__N_18offset_tEEE10hipError_tPvRmT1_PNSt15iterator_traitsISH_E10value_typeET2_T3_PNSI_ISN_E10value_typeET4_jRbjT5_ST_jjP12ihipStream_tbEUlT_E2_NS1_11comp_targetILNS1_3genE4ELNS1_11target_archE910ELNS1_3gpuE8ELNS1_3repE0EEENS1_30default_config_static_selectorELNS0_4arch9wavefront6targetE0EEEvSH_,"axG",@progbits,_ZN7rocprim17ROCPRIM_400000_NS6detail17trampoline_kernelINS0_14default_configENS1_36segmented_radix_sort_config_selectorIllEEZNS1_25segmented_radix_sort_implIS3_Lb0EPKlPlS8_S9_N2at6native12_GLOBAL__N_18offset_tEEE10hipError_tPvRmT1_PNSt15iterator_traitsISH_E10value_typeET2_T3_PNSI_ISN_E10value_typeET4_jRbjT5_ST_jjP12ihipStream_tbEUlT_E2_NS1_11comp_targetILNS1_3genE4ELNS1_11target_archE910ELNS1_3gpuE8ELNS1_3repE0EEENS1_30default_config_static_selectorELNS0_4arch9wavefront6targetE0EEEvSH_,comdat
.Lfunc_end833:
	.size	_ZN7rocprim17ROCPRIM_400000_NS6detail17trampoline_kernelINS0_14default_configENS1_36segmented_radix_sort_config_selectorIllEEZNS1_25segmented_radix_sort_implIS3_Lb0EPKlPlS8_S9_N2at6native12_GLOBAL__N_18offset_tEEE10hipError_tPvRmT1_PNSt15iterator_traitsISH_E10value_typeET2_T3_PNSI_ISN_E10value_typeET4_jRbjT5_ST_jjP12ihipStream_tbEUlT_E2_NS1_11comp_targetILNS1_3genE4ELNS1_11target_archE910ELNS1_3gpuE8ELNS1_3repE0EEENS1_30default_config_static_selectorELNS0_4arch9wavefront6targetE0EEEvSH_, .Lfunc_end833-_ZN7rocprim17ROCPRIM_400000_NS6detail17trampoline_kernelINS0_14default_configENS1_36segmented_radix_sort_config_selectorIllEEZNS1_25segmented_radix_sort_implIS3_Lb0EPKlPlS8_S9_N2at6native12_GLOBAL__N_18offset_tEEE10hipError_tPvRmT1_PNSt15iterator_traitsISH_E10value_typeET2_T3_PNSI_ISN_E10value_typeET4_jRbjT5_ST_jjP12ihipStream_tbEUlT_E2_NS1_11comp_targetILNS1_3genE4ELNS1_11target_archE910ELNS1_3gpuE8ELNS1_3repE0EEENS1_30default_config_static_selectorELNS0_4arch9wavefront6targetE0EEEvSH_
                                        ; -- End function
	.set _ZN7rocprim17ROCPRIM_400000_NS6detail17trampoline_kernelINS0_14default_configENS1_36segmented_radix_sort_config_selectorIllEEZNS1_25segmented_radix_sort_implIS3_Lb0EPKlPlS8_S9_N2at6native12_GLOBAL__N_18offset_tEEE10hipError_tPvRmT1_PNSt15iterator_traitsISH_E10value_typeET2_T3_PNSI_ISN_E10value_typeET4_jRbjT5_ST_jjP12ihipStream_tbEUlT_E2_NS1_11comp_targetILNS1_3genE4ELNS1_11target_archE910ELNS1_3gpuE8ELNS1_3repE0EEENS1_30default_config_static_selectorELNS0_4arch9wavefront6targetE0EEEvSH_.num_vgpr, 0
	.set _ZN7rocprim17ROCPRIM_400000_NS6detail17trampoline_kernelINS0_14default_configENS1_36segmented_radix_sort_config_selectorIllEEZNS1_25segmented_radix_sort_implIS3_Lb0EPKlPlS8_S9_N2at6native12_GLOBAL__N_18offset_tEEE10hipError_tPvRmT1_PNSt15iterator_traitsISH_E10value_typeET2_T3_PNSI_ISN_E10value_typeET4_jRbjT5_ST_jjP12ihipStream_tbEUlT_E2_NS1_11comp_targetILNS1_3genE4ELNS1_11target_archE910ELNS1_3gpuE8ELNS1_3repE0EEENS1_30default_config_static_selectorELNS0_4arch9wavefront6targetE0EEEvSH_.num_agpr, 0
	.set _ZN7rocprim17ROCPRIM_400000_NS6detail17trampoline_kernelINS0_14default_configENS1_36segmented_radix_sort_config_selectorIllEEZNS1_25segmented_radix_sort_implIS3_Lb0EPKlPlS8_S9_N2at6native12_GLOBAL__N_18offset_tEEE10hipError_tPvRmT1_PNSt15iterator_traitsISH_E10value_typeET2_T3_PNSI_ISN_E10value_typeET4_jRbjT5_ST_jjP12ihipStream_tbEUlT_E2_NS1_11comp_targetILNS1_3genE4ELNS1_11target_archE910ELNS1_3gpuE8ELNS1_3repE0EEENS1_30default_config_static_selectorELNS0_4arch9wavefront6targetE0EEEvSH_.numbered_sgpr, 0
	.set _ZN7rocprim17ROCPRIM_400000_NS6detail17trampoline_kernelINS0_14default_configENS1_36segmented_radix_sort_config_selectorIllEEZNS1_25segmented_radix_sort_implIS3_Lb0EPKlPlS8_S9_N2at6native12_GLOBAL__N_18offset_tEEE10hipError_tPvRmT1_PNSt15iterator_traitsISH_E10value_typeET2_T3_PNSI_ISN_E10value_typeET4_jRbjT5_ST_jjP12ihipStream_tbEUlT_E2_NS1_11comp_targetILNS1_3genE4ELNS1_11target_archE910ELNS1_3gpuE8ELNS1_3repE0EEENS1_30default_config_static_selectorELNS0_4arch9wavefront6targetE0EEEvSH_.num_named_barrier, 0
	.set _ZN7rocprim17ROCPRIM_400000_NS6detail17trampoline_kernelINS0_14default_configENS1_36segmented_radix_sort_config_selectorIllEEZNS1_25segmented_radix_sort_implIS3_Lb0EPKlPlS8_S9_N2at6native12_GLOBAL__N_18offset_tEEE10hipError_tPvRmT1_PNSt15iterator_traitsISH_E10value_typeET2_T3_PNSI_ISN_E10value_typeET4_jRbjT5_ST_jjP12ihipStream_tbEUlT_E2_NS1_11comp_targetILNS1_3genE4ELNS1_11target_archE910ELNS1_3gpuE8ELNS1_3repE0EEENS1_30default_config_static_selectorELNS0_4arch9wavefront6targetE0EEEvSH_.private_seg_size, 0
	.set _ZN7rocprim17ROCPRIM_400000_NS6detail17trampoline_kernelINS0_14default_configENS1_36segmented_radix_sort_config_selectorIllEEZNS1_25segmented_radix_sort_implIS3_Lb0EPKlPlS8_S9_N2at6native12_GLOBAL__N_18offset_tEEE10hipError_tPvRmT1_PNSt15iterator_traitsISH_E10value_typeET2_T3_PNSI_ISN_E10value_typeET4_jRbjT5_ST_jjP12ihipStream_tbEUlT_E2_NS1_11comp_targetILNS1_3genE4ELNS1_11target_archE910ELNS1_3gpuE8ELNS1_3repE0EEENS1_30default_config_static_selectorELNS0_4arch9wavefront6targetE0EEEvSH_.uses_vcc, 0
	.set _ZN7rocprim17ROCPRIM_400000_NS6detail17trampoline_kernelINS0_14default_configENS1_36segmented_radix_sort_config_selectorIllEEZNS1_25segmented_radix_sort_implIS3_Lb0EPKlPlS8_S9_N2at6native12_GLOBAL__N_18offset_tEEE10hipError_tPvRmT1_PNSt15iterator_traitsISH_E10value_typeET2_T3_PNSI_ISN_E10value_typeET4_jRbjT5_ST_jjP12ihipStream_tbEUlT_E2_NS1_11comp_targetILNS1_3genE4ELNS1_11target_archE910ELNS1_3gpuE8ELNS1_3repE0EEENS1_30default_config_static_selectorELNS0_4arch9wavefront6targetE0EEEvSH_.uses_flat_scratch, 0
	.set _ZN7rocprim17ROCPRIM_400000_NS6detail17trampoline_kernelINS0_14default_configENS1_36segmented_radix_sort_config_selectorIllEEZNS1_25segmented_radix_sort_implIS3_Lb0EPKlPlS8_S9_N2at6native12_GLOBAL__N_18offset_tEEE10hipError_tPvRmT1_PNSt15iterator_traitsISH_E10value_typeET2_T3_PNSI_ISN_E10value_typeET4_jRbjT5_ST_jjP12ihipStream_tbEUlT_E2_NS1_11comp_targetILNS1_3genE4ELNS1_11target_archE910ELNS1_3gpuE8ELNS1_3repE0EEENS1_30default_config_static_selectorELNS0_4arch9wavefront6targetE0EEEvSH_.has_dyn_sized_stack, 0
	.set _ZN7rocprim17ROCPRIM_400000_NS6detail17trampoline_kernelINS0_14default_configENS1_36segmented_radix_sort_config_selectorIllEEZNS1_25segmented_radix_sort_implIS3_Lb0EPKlPlS8_S9_N2at6native12_GLOBAL__N_18offset_tEEE10hipError_tPvRmT1_PNSt15iterator_traitsISH_E10value_typeET2_T3_PNSI_ISN_E10value_typeET4_jRbjT5_ST_jjP12ihipStream_tbEUlT_E2_NS1_11comp_targetILNS1_3genE4ELNS1_11target_archE910ELNS1_3gpuE8ELNS1_3repE0EEENS1_30default_config_static_selectorELNS0_4arch9wavefront6targetE0EEEvSH_.has_recursion, 0
	.set _ZN7rocprim17ROCPRIM_400000_NS6detail17trampoline_kernelINS0_14default_configENS1_36segmented_radix_sort_config_selectorIllEEZNS1_25segmented_radix_sort_implIS3_Lb0EPKlPlS8_S9_N2at6native12_GLOBAL__N_18offset_tEEE10hipError_tPvRmT1_PNSt15iterator_traitsISH_E10value_typeET2_T3_PNSI_ISN_E10value_typeET4_jRbjT5_ST_jjP12ihipStream_tbEUlT_E2_NS1_11comp_targetILNS1_3genE4ELNS1_11target_archE910ELNS1_3gpuE8ELNS1_3repE0EEENS1_30default_config_static_selectorELNS0_4arch9wavefront6targetE0EEEvSH_.has_indirect_call, 0
	.section	.AMDGPU.csdata,"",@progbits
; Kernel info:
; codeLenInByte = 0
; TotalNumSgprs: 0
; NumVgprs: 0
; ScratchSize: 0
; MemoryBound: 0
; FloatMode: 240
; IeeeMode: 1
; LDSByteSize: 0 bytes/workgroup (compile time only)
; SGPRBlocks: 0
; VGPRBlocks: 0
; NumSGPRsForWavesPerEU: 1
; NumVGPRsForWavesPerEU: 1
; Occupancy: 16
; WaveLimiterHint : 0
; COMPUTE_PGM_RSRC2:SCRATCH_EN: 0
; COMPUTE_PGM_RSRC2:USER_SGPR: 6
; COMPUTE_PGM_RSRC2:TRAP_HANDLER: 0
; COMPUTE_PGM_RSRC2:TGID_X_EN: 1
; COMPUTE_PGM_RSRC2:TGID_Y_EN: 0
; COMPUTE_PGM_RSRC2:TGID_Z_EN: 0
; COMPUTE_PGM_RSRC2:TIDIG_COMP_CNT: 0
	.section	.text._ZN7rocprim17ROCPRIM_400000_NS6detail17trampoline_kernelINS0_14default_configENS1_36segmented_radix_sort_config_selectorIllEEZNS1_25segmented_radix_sort_implIS3_Lb0EPKlPlS8_S9_N2at6native12_GLOBAL__N_18offset_tEEE10hipError_tPvRmT1_PNSt15iterator_traitsISH_E10value_typeET2_T3_PNSI_ISN_E10value_typeET4_jRbjT5_ST_jjP12ihipStream_tbEUlT_E2_NS1_11comp_targetILNS1_3genE3ELNS1_11target_archE908ELNS1_3gpuE7ELNS1_3repE0EEENS1_30default_config_static_selectorELNS0_4arch9wavefront6targetE0EEEvSH_,"axG",@progbits,_ZN7rocprim17ROCPRIM_400000_NS6detail17trampoline_kernelINS0_14default_configENS1_36segmented_radix_sort_config_selectorIllEEZNS1_25segmented_radix_sort_implIS3_Lb0EPKlPlS8_S9_N2at6native12_GLOBAL__N_18offset_tEEE10hipError_tPvRmT1_PNSt15iterator_traitsISH_E10value_typeET2_T3_PNSI_ISN_E10value_typeET4_jRbjT5_ST_jjP12ihipStream_tbEUlT_E2_NS1_11comp_targetILNS1_3genE3ELNS1_11target_archE908ELNS1_3gpuE7ELNS1_3repE0EEENS1_30default_config_static_selectorELNS0_4arch9wavefront6targetE0EEEvSH_,comdat
	.globl	_ZN7rocprim17ROCPRIM_400000_NS6detail17trampoline_kernelINS0_14default_configENS1_36segmented_radix_sort_config_selectorIllEEZNS1_25segmented_radix_sort_implIS3_Lb0EPKlPlS8_S9_N2at6native12_GLOBAL__N_18offset_tEEE10hipError_tPvRmT1_PNSt15iterator_traitsISH_E10value_typeET2_T3_PNSI_ISN_E10value_typeET4_jRbjT5_ST_jjP12ihipStream_tbEUlT_E2_NS1_11comp_targetILNS1_3genE3ELNS1_11target_archE908ELNS1_3gpuE7ELNS1_3repE0EEENS1_30default_config_static_selectorELNS0_4arch9wavefront6targetE0EEEvSH_ ; -- Begin function _ZN7rocprim17ROCPRIM_400000_NS6detail17trampoline_kernelINS0_14default_configENS1_36segmented_radix_sort_config_selectorIllEEZNS1_25segmented_radix_sort_implIS3_Lb0EPKlPlS8_S9_N2at6native12_GLOBAL__N_18offset_tEEE10hipError_tPvRmT1_PNSt15iterator_traitsISH_E10value_typeET2_T3_PNSI_ISN_E10value_typeET4_jRbjT5_ST_jjP12ihipStream_tbEUlT_E2_NS1_11comp_targetILNS1_3genE3ELNS1_11target_archE908ELNS1_3gpuE7ELNS1_3repE0EEENS1_30default_config_static_selectorELNS0_4arch9wavefront6targetE0EEEvSH_
	.p2align	8
	.type	_ZN7rocprim17ROCPRIM_400000_NS6detail17trampoline_kernelINS0_14default_configENS1_36segmented_radix_sort_config_selectorIllEEZNS1_25segmented_radix_sort_implIS3_Lb0EPKlPlS8_S9_N2at6native12_GLOBAL__N_18offset_tEEE10hipError_tPvRmT1_PNSt15iterator_traitsISH_E10value_typeET2_T3_PNSI_ISN_E10value_typeET4_jRbjT5_ST_jjP12ihipStream_tbEUlT_E2_NS1_11comp_targetILNS1_3genE3ELNS1_11target_archE908ELNS1_3gpuE7ELNS1_3repE0EEENS1_30default_config_static_selectorELNS0_4arch9wavefront6targetE0EEEvSH_,@function
_ZN7rocprim17ROCPRIM_400000_NS6detail17trampoline_kernelINS0_14default_configENS1_36segmented_radix_sort_config_selectorIllEEZNS1_25segmented_radix_sort_implIS3_Lb0EPKlPlS8_S9_N2at6native12_GLOBAL__N_18offset_tEEE10hipError_tPvRmT1_PNSt15iterator_traitsISH_E10value_typeET2_T3_PNSI_ISN_E10value_typeET4_jRbjT5_ST_jjP12ihipStream_tbEUlT_E2_NS1_11comp_targetILNS1_3genE3ELNS1_11target_archE908ELNS1_3gpuE7ELNS1_3repE0EEENS1_30default_config_static_selectorELNS0_4arch9wavefront6targetE0EEEvSH_: ; @_ZN7rocprim17ROCPRIM_400000_NS6detail17trampoline_kernelINS0_14default_configENS1_36segmented_radix_sort_config_selectorIllEEZNS1_25segmented_radix_sort_implIS3_Lb0EPKlPlS8_S9_N2at6native12_GLOBAL__N_18offset_tEEE10hipError_tPvRmT1_PNSt15iterator_traitsISH_E10value_typeET2_T3_PNSI_ISN_E10value_typeET4_jRbjT5_ST_jjP12ihipStream_tbEUlT_E2_NS1_11comp_targetILNS1_3genE3ELNS1_11target_archE908ELNS1_3gpuE7ELNS1_3repE0EEENS1_30default_config_static_selectorELNS0_4arch9wavefront6targetE0EEEvSH_
; %bb.0:
	.section	.rodata,"a",@progbits
	.p2align	6, 0x0
	.amdhsa_kernel _ZN7rocprim17ROCPRIM_400000_NS6detail17trampoline_kernelINS0_14default_configENS1_36segmented_radix_sort_config_selectorIllEEZNS1_25segmented_radix_sort_implIS3_Lb0EPKlPlS8_S9_N2at6native12_GLOBAL__N_18offset_tEEE10hipError_tPvRmT1_PNSt15iterator_traitsISH_E10value_typeET2_T3_PNSI_ISN_E10value_typeET4_jRbjT5_ST_jjP12ihipStream_tbEUlT_E2_NS1_11comp_targetILNS1_3genE3ELNS1_11target_archE908ELNS1_3gpuE7ELNS1_3repE0EEENS1_30default_config_static_selectorELNS0_4arch9wavefront6targetE0EEEvSH_
		.amdhsa_group_segment_fixed_size 0
		.amdhsa_private_segment_fixed_size 0
		.amdhsa_kernarg_size 80
		.amdhsa_user_sgpr_count 6
		.amdhsa_user_sgpr_private_segment_buffer 1
		.amdhsa_user_sgpr_dispatch_ptr 0
		.amdhsa_user_sgpr_queue_ptr 0
		.amdhsa_user_sgpr_kernarg_segment_ptr 1
		.amdhsa_user_sgpr_dispatch_id 0
		.amdhsa_user_sgpr_flat_scratch_init 0
		.amdhsa_user_sgpr_private_segment_size 0
		.amdhsa_wavefront_size32 1
		.amdhsa_uses_dynamic_stack 0
		.amdhsa_system_sgpr_private_segment_wavefront_offset 0
		.amdhsa_system_sgpr_workgroup_id_x 1
		.amdhsa_system_sgpr_workgroup_id_y 0
		.amdhsa_system_sgpr_workgroup_id_z 0
		.amdhsa_system_sgpr_workgroup_info 0
		.amdhsa_system_vgpr_workitem_id 0
		.amdhsa_next_free_vgpr 1
		.amdhsa_next_free_sgpr 1
		.amdhsa_reserve_vcc 0
		.amdhsa_reserve_flat_scratch 0
		.amdhsa_float_round_mode_32 0
		.amdhsa_float_round_mode_16_64 0
		.amdhsa_float_denorm_mode_32 3
		.amdhsa_float_denorm_mode_16_64 3
		.amdhsa_dx10_clamp 1
		.amdhsa_ieee_mode 1
		.amdhsa_fp16_overflow 0
		.amdhsa_workgroup_processor_mode 1
		.amdhsa_memory_ordered 1
		.amdhsa_forward_progress 1
		.amdhsa_shared_vgpr_count 0
		.amdhsa_exception_fp_ieee_invalid_op 0
		.amdhsa_exception_fp_denorm_src 0
		.amdhsa_exception_fp_ieee_div_zero 0
		.amdhsa_exception_fp_ieee_overflow 0
		.amdhsa_exception_fp_ieee_underflow 0
		.amdhsa_exception_fp_ieee_inexact 0
		.amdhsa_exception_int_div_zero 0
	.end_amdhsa_kernel
	.section	.text._ZN7rocprim17ROCPRIM_400000_NS6detail17trampoline_kernelINS0_14default_configENS1_36segmented_radix_sort_config_selectorIllEEZNS1_25segmented_radix_sort_implIS3_Lb0EPKlPlS8_S9_N2at6native12_GLOBAL__N_18offset_tEEE10hipError_tPvRmT1_PNSt15iterator_traitsISH_E10value_typeET2_T3_PNSI_ISN_E10value_typeET4_jRbjT5_ST_jjP12ihipStream_tbEUlT_E2_NS1_11comp_targetILNS1_3genE3ELNS1_11target_archE908ELNS1_3gpuE7ELNS1_3repE0EEENS1_30default_config_static_selectorELNS0_4arch9wavefront6targetE0EEEvSH_,"axG",@progbits,_ZN7rocprim17ROCPRIM_400000_NS6detail17trampoline_kernelINS0_14default_configENS1_36segmented_radix_sort_config_selectorIllEEZNS1_25segmented_radix_sort_implIS3_Lb0EPKlPlS8_S9_N2at6native12_GLOBAL__N_18offset_tEEE10hipError_tPvRmT1_PNSt15iterator_traitsISH_E10value_typeET2_T3_PNSI_ISN_E10value_typeET4_jRbjT5_ST_jjP12ihipStream_tbEUlT_E2_NS1_11comp_targetILNS1_3genE3ELNS1_11target_archE908ELNS1_3gpuE7ELNS1_3repE0EEENS1_30default_config_static_selectorELNS0_4arch9wavefront6targetE0EEEvSH_,comdat
.Lfunc_end834:
	.size	_ZN7rocprim17ROCPRIM_400000_NS6detail17trampoline_kernelINS0_14default_configENS1_36segmented_radix_sort_config_selectorIllEEZNS1_25segmented_radix_sort_implIS3_Lb0EPKlPlS8_S9_N2at6native12_GLOBAL__N_18offset_tEEE10hipError_tPvRmT1_PNSt15iterator_traitsISH_E10value_typeET2_T3_PNSI_ISN_E10value_typeET4_jRbjT5_ST_jjP12ihipStream_tbEUlT_E2_NS1_11comp_targetILNS1_3genE3ELNS1_11target_archE908ELNS1_3gpuE7ELNS1_3repE0EEENS1_30default_config_static_selectorELNS0_4arch9wavefront6targetE0EEEvSH_, .Lfunc_end834-_ZN7rocprim17ROCPRIM_400000_NS6detail17trampoline_kernelINS0_14default_configENS1_36segmented_radix_sort_config_selectorIllEEZNS1_25segmented_radix_sort_implIS3_Lb0EPKlPlS8_S9_N2at6native12_GLOBAL__N_18offset_tEEE10hipError_tPvRmT1_PNSt15iterator_traitsISH_E10value_typeET2_T3_PNSI_ISN_E10value_typeET4_jRbjT5_ST_jjP12ihipStream_tbEUlT_E2_NS1_11comp_targetILNS1_3genE3ELNS1_11target_archE908ELNS1_3gpuE7ELNS1_3repE0EEENS1_30default_config_static_selectorELNS0_4arch9wavefront6targetE0EEEvSH_
                                        ; -- End function
	.set _ZN7rocprim17ROCPRIM_400000_NS6detail17trampoline_kernelINS0_14default_configENS1_36segmented_radix_sort_config_selectorIllEEZNS1_25segmented_radix_sort_implIS3_Lb0EPKlPlS8_S9_N2at6native12_GLOBAL__N_18offset_tEEE10hipError_tPvRmT1_PNSt15iterator_traitsISH_E10value_typeET2_T3_PNSI_ISN_E10value_typeET4_jRbjT5_ST_jjP12ihipStream_tbEUlT_E2_NS1_11comp_targetILNS1_3genE3ELNS1_11target_archE908ELNS1_3gpuE7ELNS1_3repE0EEENS1_30default_config_static_selectorELNS0_4arch9wavefront6targetE0EEEvSH_.num_vgpr, 0
	.set _ZN7rocprim17ROCPRIM_400000_NS6detail17trampoline_kernelINS0_14default_configENS1_36segmented_radix_sort_config_selectorIllEEZNS1_25segmented_radix_sort_implIS3_Lb0EPKlPlS8_S9_N2at6native12_GLOBAL__N_18offset_tEEE10hipError_tPvRmT1_PNSt15iterator_traitsISH_E10value_typeET2_T3_PNSI_ISN_E10value_typeET4_jRbjT5_ST_jjP12ihipStream_tbEUlT_E2_NS1_11comp_targetILNS1_3genE3ELNS1_11target_archE908ELNS1_3gpuE7ELNS1_3repE0EEENS1_30default_config_static_selectorELNS0_4arch9wavefront6targetE0EEEvSH_.num_agpr, 0
	.set _ZN7rocprim17ROCPRIM_400000_NS6detail17trampoline_kernelINS0_14default_configENS1_36segmented_radix_sort_config_selectorIllEEZNS1_25segmented_radix_sort_implIS3_Lb0EPKlPlS8_S9_N2at6native12_GLOBAL__N_18offset_tEEE10hipError_tPvRmT1_PNSt15iterator_traitsISH_E10value_typeET2_T3_PNSI_ISN_E10value_typeET4_jRbjT5_ST_jjP12ihipStream_tbEUlT_E2_NS1_11comp_targetILNS1_3genE3ELNS1_11target_archE908ELNS1_3gpuE7ELNS1_3repE0EEENS1_30default_config_static_selectorELNS0_4arch9wavefront6targetE0EEEvSH_.numbered_sgpr, 0
	.set _ZN7rocprim17ROCPRIM_400000_NS6detail17trampoline_kernelINS0_14default_configENS1_36segmented_radix_sort_config_selectorIllEEZNS1_25segmented_radix_sort_implIS3_Lb0EPKlPlS8_S9_N2at6native12_GLOBAL__N_18offset_tEEE10hipError_tPvRmT1_PNSt15iterator_traitsISH_E10value_typeET2_T3_PNSI_ISN_E10value_typeET4_jRbjT5_ST_jjP12ihipStream_tbEUlT_E2_NS1_11comp_targetILNS1_3genE3ELNS1_11target_archE908ELNS1_3gpuE7ELNS1_3repE0EEENS1_30default_config_static_selectorELNS0_4arch9wavefront6targetE0EEEvSH_.num_named_barrier, 0
	.set _ZN7rocprim17ROCPRIM_400000_NS6detail17trampoline_kernelINS0_14default_configENS1_36segmented_radix_sort_config_selectorIllEEZNS1_25segmented_radix_sort_implIS3_Lb0EPKlPlS8_S9_N2at6native12_GLOBAL__N_18offset_tEEE10hipError_tPvRmT1_PNSt15iterator_traitsISH_E10value_typeET2_T3_PNSI_ISN_E10value_typeET4_jRbjT5_ST_jjP12ihipStream_tbEUlT_E2_NS1_11comp_targetILNS1_3genE3ELNS1_11target_archE908ELNS1_3gpuE7ELNS1_3repE0EEENS1_30default_config_static_selectorELNS0_4arch9wavefront6targetE0EEEvSH_.private_seg_size, 0
	.set _ZN7rocprim17ROCPRIM_400000_NS6detail17trampoline_kernelINS0_14default_configENS1_36segmented_radix_sort_config_selectorIllEEZNS1_25segmented_radix_sort_implIS3_Lb0EPKlPlS8_S9_N2at6native12_GLOBAL__N_18offset_tEEE10hipError_tPvRmT1_PNSt15iterator_traitsISH_E10value_typeET2_T3_PNSI_ISN_E10value_typeET4_jRbjT5_ST_jjP12ihipStream_tbEUlT_E2_NS1_11comp_targetILNS1_3genE3ELNS1_11target_archE908ELNS1_3gpuE7ELNS1_3repE0EEENS1_30default_config_static_selectorELNS0_4arch9wavefront6targetE0EEEvSH_.uses_vcc, 0
	.set _ZN7rocprim17ROCPRIM_400000_NS6detail17trampoline_kernelINS0_14default_configENS1_36segmented_radix_sort_config_selectorIllEEZNS1_25segmented_radix_sort_implIS3_Lb0EPKlPlS8_S9_N2at6native12_GLOBAL__N_18offset_tEEE10hipError_tPvRmT1_PNSt15iterator_traitsISH_E10value_typeET2_T3_PNSI_ISN_E10value_typeET4_jRbjT5_ST_jjP12ihipStream_tbEUlT_E2_NS1_11comp_targetILNS1_3genE3ELNS1_11target_archE908ELNS1_3gpuE7ELNS1_3repE0EEENS1_30default_config_static_selectorELNS0_4arch9wavefront6targetE0EEEvSH_.uses_flat_scratch, 0
	.set _ZN7rocprim17ROCPRIM_400000_NS6detail17trampoline_kernelINS0_14default_configENS1_36segmented_radix_sort_config_selectorIllEEZNS1_25segmented_radix_sort_implIS3_Lb0EPKlPlS8_S9_N2at6native12_GLOBAL__N_18offset_tEEE10hipError_tPvRmT1_PNSt15iterator_traitsISH_E10value_typeET2_T3_PNSI_ISN_E10value_typeET4_jRbjT5_ST_jjP12ihipStream_tbEUlT_E2_NS1_11comp_targetILNS1_3genE3ELNS1_11target_archE908ELNS1_3gpuE7ELNS1_3repE0EEENS1_30default_config_static_selectorELNS0_4arch9wavefront6targetE0EEEvSH_.has_dyn_sized_stack, 0
	.set _ZN7rocprim17ROCPRIM_400000_NS6detail17trampoline_kernelINS0_14default_configENS1_36segmented_radix_sort_config_selectorIllEEZNS1_25segmented_radix_sort_implIS3_Lb0EPKlPlS8_S9_N2at6native12_GLOBAL__N_18offset_tEEE10hipError_tPvRmT1_PNSt15iterator_traitsISH_E10value_typeET2_T3_PNSI_ISN_E10value_typeET4_jRbjT5_ST_jjP12ihipStream_tbEUlT_E2_NS1_11comp_targetILNS1_3genE3ELNS1_11target_archE908ELNS1_3gpuE7ELNS1_3repE0EEENS1_30default_config_static_selectorELNS0_4arch9wavefront6targetE0EEEvSH_.has_recursion, 0
	.set _ZN7rocprim17ROCPRIM_400000_NS6detail17trampoline_kernelINS0_14default_configENS1_36segmented_radix_sort_config_selectorIllEEZNS1_25segmented_radix_sort_implIS3_Lb0EPKlPlS8_S9_N2at6native12_GLOBAL__N_18offset_tEEE10hipError_tPvRmT1_PNSt15iterator_traitsISH_E10value_typeET2_T3_PNSI_ISN_E10value_typeET4_jRbjT5_ST_jjP12ihipStream_tbEUlT_E2_NS1_11comp_targetILNS1_3genE3ELNS1_11target_archE908ELNS1_3gpuE7ELNS1_3repE0EEENS1_30default_config_static_selectorELNS0_4arch9wavefront6targetE0EEEvSH_.has_indirect_call, 0
	.section	.AMDGPU.csdata,"",@progbits
; Kernel info:
; codeLenInByte = 0
; TotalNumSgprs: 0
; NumVgprs: 0
; ScratchSize: 0
; MemoryBound: 0
; FloatMode: 240
; IeeeMode: 1
; LDSByteSize: 0 bytes/workgroup (compile time only)
; SGPRBlocks: 0
; VGPRBlocks: 0
; NumSGPRsForWavesPerEU: 1
; NumVGPRsForWavesPerEU: 1
; Occupancy: 16
; WaveLimiterHint : 0
; COMPUTE_PGM_RSRC2:SCRATCH_EN: 0
; COMPUTE_PGM_RSRC2:USER_SGPR: 6
; COMPUTE_PGM_RSRC2:TRAP_HANDLER: 0
; COMPUTE_PGM_RSRC2:TGID_X_EN: 1
; COMPUTE_PGM_RSRC2:TGID_Y_EN: 0
; COMPUTE_PGM_RSRC2:TGID_Z_EN: 0
; COMPUTE_PGM_RSRC2:TIDIG_COMP_CNT: 0
	.section	.text._ZN7rocprim17ROCPRIM_400000_NS6detail17trampoline_kernelINS0_14default_configENS1_36segmented_radix_sort_config_selectorIllEEZNS1_25segmented_radix_sort_implIS3_Lb0EPKlPlS8_S9_N2at6native12_GLOBAL__N_18offset_tEEE10hipError_tPvRmT1_PNSt15iterator_traitsISH_E10value_typeET2_T3_PNSI_ISN_E10value_typeET4_jRbjT5_ST_jjP12ihipStream_tbEUlT_E2_NS1_11comp_targetILNS1_3genE2ELNS1_11target_archE906ELNS1_3gpuE6ELNS1_3repE0EEENS1_30default_config_static_selectorELNS0_4arch9wavefront6targetE0EEEvSH_,"axG",@progbits,_ZN7rocprim17ROCPRIM_400000_NS6detail17trampoline_kernelINS0_14default_configENS1_36segmented_radix_sort_config_selectorIllEEZNS1_25segmented_radix_sort_implIS3_Lb0EPKlPlS8_S9_N2at6native12_GLOBAL__N_18offset_tEEE10hipError_tPvRmT1_PNSt15iterator_traitsISH_E10value_typeET2_T3_PNSI_ISN_E10value_typeET4_jRbjT5_ST_jjP12ihipStream_tbEUlT_E2_NS1_11comp_targetILNS1_3genE2ELNS1_11target_archE906ELNS1_3gpuE6ELNS1_3repE0EEENS1_30default_config_static_selectorELNS0_4arch9wavefront6targetE0EEEvSH_,comdat
	.globl	_ZN7rocprim17ROCPRIM_400000_NS6detail17trampoline_kernelINS0_14default_configENS1_36segmented_radix_sort_config_selectorIllEEZNS1_25segmented_radix_sort_implIS3_Lb0EPKlPlS8_S9_N2at6native12_GLOBAL__N_18offset_tEEE10hipError_tPvRmT1_PNSt15iterator_traitsISH_E10value_typeET2_T3_PNSI_ISN_E10value_typeET4_jRbjT5_ST_jjP12ihipStream_tbEUlT_E2_NS1_11comp_targetILNS1_3genE2ELNS1_11target_archE906ELNS1_3gpuE6ELNS1_3repE0EEENS1_30default_config_static_selectorELNS0_4arch9wavefront6targetE0EEEvSH_ ; -- Begin function _ZN7rocprim17ROCPRIM_400000_NS6detail17trampoline_kernelINS0_14default_configENS1_36segmented_radix_sort_config_selectorIllEEZNS1_25segmented_radix_sort_implIS3_Lb0EPKlPlS8_S9_N2at6native12_GLOBAL__N_18offset_tEEE10hipError_tPvRmT1_PNSt15iterator_traitsISH_E10value_typeET2_T3_PNSI_ISN_E10value_typeET4_jRbjT5_ST_jjP12ihipStream_tbEUlT_E2_NS1_11comp_targetILNS1_3genE2ELNS1_11target_archE906ELNS1_3gpuE6ELNS1_3repE0EEENS1_30default_config_static_selectorELNS0_4arch9wavefront6targetE0EEEvSH_
	.p2align	8
	.type	_ZN7rocprim17ROCPRIM_400000_NS6detail17trampoline_kernelINS0_14default_configENS1_36segmented_radix_sort_config_selectorIllEEZNS1_25segmented_radix_sort_implIS3_Lb0EPKlPlS8_S9_N2at6native12_GLOBAL__N_18offset_tEEE10hipError_tPvRmT1_PNSt15iterator_traitsISH_E10value_typeET2_T3_PNSI_ISN_E10value_typeET4_jRbjT5_ST_jjP12ihipStream_tbEUlT_E2_NS1_11comp_targetILNS1_3genE2ELNS1_11target_archE906ELNS1_3gpuE6ELNS1_3repE0EEENS1_30default_config_static_selectorELNS0_4arch9wavefront6targetE0EEEvSH_,@function
_ZN7rocprim17ROCPRIM_400000_NS6detail17trampoline_kernelINS0_14default_configENS1_36segmented_radix_sort_config_selectorIllEEZNS1_25segmented_radix_sort_implIS3_Lb0EPKlPlS8_S9_N2at6native12_GLOBAL__N_18offset_tEEE10hipError_tPvRmT1_PNSt15iterator_traitsISH_E10value_typeET2_T3_PNSI_ISN_E10value_typeET4_jRbjT5_ST_jjP12ihipStream_tbEUlT_E2_NS1_11comp_targetILNS1_3genE2ELNS1_11target_archE906ELNS1_3gpuE6ELNS1_3repE0EEENS1_30default_config_static_selectorELNS0_4arch9wavefront6targetE0EEEvSH_: ; @_ZN7rocprim17ROCPRIM_400000_NS6detail17trampoline_kernelINS0_14default_configENS1_36segmented_radix_sort_config_selectorIllEEZNS1_25segmented_radix_sort_implIS3_Lb0EPKlPlS8_S9_N2at6native12_GLOBAL__N_18offset_tEEE10hipError_tPvRmT1_PNSt15iterator_traitsISH_E10value_typeET2_T3_PNSI_ISN_E10value_typeET4_jRbjT5_ST_jjP12ihipStream_tbEUlT_E2_NS1_11comp_targetILNS1_3genE2ELNS1_11target_archE906ELNS1_3gpuE6ELNS1_3repE0EEENS1_30default_config_static_selectorELNS0_4arch9wavefront6targetE0EEEvSH_
; %bb.0:
	.section	.rodata,"a",@progbits
	.p2align	6, 0x0
	.amdhsa_kernel _ZN7rocprim17ROCPRIM_400000_NS6detail17trampoline_kernelINS0_14default_configENS1_36segmented_radix_sort_config_selectorIllEEZNS1_25segmented_radix_sort_implIS3_Lb0EPKlPlS8_S9_N2at6native12_GLOBAL__N_18offset_tEEE10hipError_tPvRmT1_PNSt15iterator_traitsISH_E10value_typeET2_T3_PNSI_ISN_E10value_typeET4_jRbjT5_ST_jjP12ihipStream_tbEUlT_E2_NS1_11comp_targetILNS1_3genE2ELNS1_11target_archE906ELNS1_3gpuE6ELNS1_3repE0EEENS1_30default_config_static_selectorELNS0_4arch9wavefront6targetE0EEEvSH_
		.amdhsa_group_segment_fixed_size 0
		.amdhsa_private_segment_fixed_size 0
		.amdhsa_kernarg_size 80
		.amdhsa_user_sgpr_count 6
		.amdhsa_user_sgpr_private_segment_buffer 1
		.amdhsa_user_sgpr_dispatch_ptr 0
		.amdhsa_user_sgpr_queue_ptr 0
		.amdhsa_user_sgpr_kernarg_segment_ptr 1
		.amdhsa_user_sgpr_dispatch_id 0
		.amdhsa_user_sgpr_flat_scratch_init 0
		.amdhsa_user_sgpr_private_segment_size 0
		.amdhsa_wavefront_size32 1
		.amdhsa_uses_dynamic_stack 0
		.amdhsa_system_sgpr_private_segment_wavefront_offset 0
		.amdhsa_system_sgpr_workgroup_id_x 1
		.amdhsa_system_sgpr_workgroup_id_y 0
		.amdhsa_system_sgpr_workgroup_id_z 0
		.amdhsa_system_sgpr_workgroup_info 0
		.amdhsa_system_vgpr_workitem_id 0
		.amdhsa_next_free_vgpr 1
		.amdhsa_next_free_sgpr 1
		.amdhsa_reserve_vcc 0
		.amdhsa_reserve_flat_scratch 0
		.amdhsa_float_round_mode_32 0
		.amdhsa_float_round_mode_16_64 0
		.amdhsa_float_denorm_mode_32 3
		.amdhsa_float_denorm_mode_16_64 3
		.amdhsa_dx10_clamp 1
		.amdhsa_ieee_mode 1
		.amdhsa_fp16_overflow 0
		.amdhsa_workgroup_processor_mode 1
		.amdhsa_memory_ordered 1
		.amdhsa_forward_progress 1
		.amdhsa_shared_vgpr_count 0
		.amdhsa_exception_fp_ieee_invalid_op 0
		.amdhsa_exception_fp_denorm_src 0
		.amdhsa_exception_fp_ieee_div_zero 0
		.amdhsa_exception_fp_ieee_overflow 0
		.amdhsa_exception_fp_ieee_underflow 0
		.amdhsa_exception_fp_ieee_inexact 0
		.amdhsa_exception_int_div_zero 0
	.end_amdhsa_kernel
	.section	.text._ZN7rocprim17ROCPRIM_400000_NS6detail17trampoline_kernelINS0_14default_configENS1_36segmented_radix_sort_config_selectorIllEEZNS1_25segmented_radix_sort_implIS3_Lb0EPKlPlS8_S9_N2at6native12_GLOBAL__N_18offset_tEEE10hipError_tPvRmT1_PNSt15iterator_traitsISH_E10value_typeET2_T3_PNSI_ISN_E10value_typeET4_jRbjT5_ST_jjP12ihipStream_tbEUlT_E2_NS1_11comp_targetILNS1_3genE2ELNS1_11target_archE906ELNS1_3gpuE6ELNS1_3repE0EEENS1_30default_config_static_selectorELNS0_4arch9wavefront6targetE0EEEvSH_,"axG",@progbits,_ZN7rocprim17ROCPRIM_400000_NS6detail17trampoline_kernelINS0_14default_configENS1_36segmented_radix_sort_config_selectorIllEEZNS1_25segmented_radix_sort_implIS3_Lb0EPKlPlS8_S9_N2at6native12_GLOBAL__N_18offset_tEEE10hipError_tPvRmT1_PNSt15iterator_traitsISH_E10value_typeET2_T3_PNSI_ISN_E10value_typeET4_jRbjT5_ST_jjP12ihipStream_tbEUlT_E2_NS1_11comp_targetILNS1_3genE2ELNS1_11target_archE906ELNS1_3gpuE6ELNS1_3repE0EEENS1_30default_config_static_selectorELNS0_4arch9wavefront6targetE0EEEvSH_,comdat
.Lfunc_end835:
	.size	_ZN7rocprim17ROCPRIM_400000_NS6detail17trampoline_kernelINS0_14default_configENS1_36segmented_radix_sort_config_selectorIllEEZNS1_25segmented_radix_sort_implIS3_Lb0EPKlPlS8_S9_N2at6native12_GLOBAL__N_18offset_tEEE10hipError_tPvRmT1_PNSt15iterator_traitsISH_E10value_typeET2_T3_PNSI_ISN_E10value_typeET4_jRbjT5_ST_jjP12ihipStream_tbEUlT_E2_NS1_11comp_targetILNS1_3genE2ELNS1_11target_archE906ELNS1_3gpuE6ELNS1_3repE0EEENS1_30default_config_static_selectorELNS0_4arch9wavefront6targetE0EEEvSH_, .Lfunc_end835-_ZN7rocprim17ROCPRIM_400000_NS6detail17trampoline_kernelINS0_14default_configENS1_36segmented_radix_sort_config_selectorIllEEZNS1_25segmented_radix_sort_implIS3_Lb0EPKlPlS8_S9_N2at6native12_GLOBAL__N_18offset_tEEE10hipError_tPvRmT1_PNSt15iterator_traitsISH_E10value_typeET2_T3_PNSI_ISN_E10value_typeET4_jRbjT5_ST_jjP12ihipStream_tbEUlT_E2_NS1_11comp_targetILNS1_3genE2ELNS1_11target_archE906ELNS1_3gpuE6ELNS1_3repE0EEENS1_30default_config_static_selectorELNS0_4arch9wavefront6targetE0EEEvSH_
                                        ; -- End function
	.set _ZN7rocprim17ROCPRIM_400000_NS6detail17trampoline_kernelINS0_14default_configENS1_36segmented_radix_sort_config_selectorIllEEZNS1_25segmented_radix_sort_implIS3_Lb0EPKlPlS8_S9_N2at6native12_GLOBAL__N_18offset_tEEE10hipError_tPvRmT1_PNSt15iterator_traitsISH_E10value_typeET2_T3_PNSI_ISN_E10value_typeET4_jRbjT5_ST_jjP12ihipStream_tbEUlT_E2_NS1_11comp_targetILNS1_3genE2ELNS1_11target_archE906ELNS1_3gpuE6ELNS1_3repE0EEENS1_30default_config_static_selectorELNS0_4arch9wavefront6targetE0EEEvSH_.num_vgpr, 0
	.set _ZN7rocprim17ROCPRIM_400000_NS6detail17trampoline_kernelINS0_14default_configENS1_36segmented_radix_sort_config_selectorIllEEZNS1_25segmented_radix_sort_implIS3_Lb0EPKlPlS8_S9_N2at6native12_GLOBAL__N_18offset_tEEE10hipError_tPvRmT1_PNSt15iterator_traitsISH_E10value_typeET2_T3_PNSI_ISN_E10value_typeET4_jRbjT5_ST_jjP12ihipStream_tbEUlT_E2_NS1_11comp_targetILNS1_3genE2ELNS1_11target_archE906ELNS1_3gpuE6ELNS1_3repE0EEENS1_30default_config_static_selectorELNS0_4arch9wavefront6targetE0EEEvSH_.num_agpr, 0
	.set _ZN7rocprim17ROCPRIM_400000_NS6detail17trampoline_kernelINS0_14default_configENS1_36segmented_radix_sort_config_selectorIllEEZNS1_25segmented_radix_sort_implIS3_Lb0EPKlPlS8_S9_N2at6native12_GLOBAL__N_18offset_tEEE10hipError_tPvRmT1_PNSt15iterator_traitsISH_E10value_typeET2_T3_PNSI_ISN_E10value_typeET4_jRbjT5_ST_jjP12ihipStream_tbEUlT_E2_NS1_11comp_targetILNS1_3genE2ELNS1_11target_archE906ELNS1_3gpuE6ELNS1_3repE0EEENS1_30default_config_static_selectorELNS0_4arch9wavefront6targetE0EEEvSH_.numbered_sgpr, 0
	.set _ZN7rocprim17ROCPRIM_400000_NS6detail17trampoline_kernelINS0_14default_configENS1_36segmented_radix_sort_config_selectorIllEEZNS1_25segmented_radix_sort_implIS3_Lb0EPKlPlS8_S9_N2at6native12_GLOBAL__N_18offset_tEEE10hipError_tPvRmT1_PNSt15iterator_traitsISH_E10value_typeET2_T3_PNSI_ISN_E10value_typeET4_jRbjT5_ST_jjP12ihipStream_tbEUlT_E2_NS1_11comp_targetILNS1_3genE2ELNS1_11target_archE906ELNS1_3gpuE6ELNS1_3repE0EEENS1_30default_config_static_selectorELNS0_4arch9wavefront6targetE0EEEvSH_.num_named_barrier, 0
	.set _ZN7rocprim17ROCPRIM_400000_NS6detail17trampoline_kernelINS0_14default_configENS1_36segmented_radix_sort_config_selectorIllEEZNS1_25segmented_radix_sort_implIS3_Lb0EPKlPlS8_S9_N2at6native12_GLOBAL__N_18offset_tEEE10hipError_tPvRmT1_PNSt15iterator_traitsISH_E10value_typeET2_T3_PNSI_ISN_E10value_typeET4_jRbjT5_ST_jjP12ihipStream_tbEUlT_E2_NS1_11comp_targetILNS1_3genE2ELNS1_11target_archE906ELNS1_3gpuE6ELNS1_3repE0EEENS1_30default_config_static_selectorELNS0_4arch9wavefront6targetE0EEEvSH_.private_seg_size, 0
	.set _ZN7rocprim17ROCPRIM_400000_NS6detail17trampoline_kernelINS0_14default_configENS1_36segmented_radix_sort_config_selectorIllEEZNS1_25segmented_radix_sort_implIS3_Lb0EPKlPlS8_S9_N2at6native12_GLOBAL__N_18offset_tEEE10hipError_tPvRmT1_PNSt15iterator_traitsISH_E10value_typeET2_T3_PNSI_ISN_E10value_typeET4_jRbjT5_ST_jjP12ihipStream_tbEUlT_E2_NS1_11comp_targetILNS1_3genE2ELNS1_11target_archE906ELNS1_3gpuE6ELNS1_3repE0EEENS1_30default_config_static_selectorELNS0_4arch9wavefront6targetE0EEEvSH_.uses_vcc, 0
	.set _ZN7rocprim17ROCPRIM_400000_NS6detail17trampoline_kernelINS0_14default_configENS1_36segmented_radix_sort_config_selectorIllEEZNS1_25segmented_radix_sort_implIS3_Lb0EPKlPlS8_S9_N2at6native12_GLOBAL__N_18offset_tEEE10hipError_tPvRmT1_PNSt15iterator_traitsISH_E10value_typeET2_T3_PNSI_ISN_E10value_typeET4_jRbjT5_ST_jjP12ihipStream_tbEUlT_E2_NS1_11comp_targetILNS1_3genE2ELNS1_11target_archE906ELNS1_3gpuE6ELNS1_3repE0EEENS1_30default_config_static_selectorELNS0_4arch9wavefront6targetE0EEEvSH_.uses_flat_scratch, 0
	.set _ZN7rocprim17ROCPRIM_400000_NS6detail17trampoline_kernelINS0_14default_configENS1_36segmented_radix_sort_config_selectorIllEEZNS1_25segmented_radix_sort_implIS3_Lb0EPKlPlS8_S9_N2at6native12_GLOBAL__N_18offset_tEEE10hipError_tPvRmT1_PNSt15iterator_traitsISH_E10value_typeET2_T3_PNSI_ISN_E10value_typeET4_jRbjT5_ST_jjP12ihipStream_tbEUlT_E2_NS1_11comp_targetILNS1_3genE2ELNS1_11target_archE906ELNS1_3gpuE6ELNS1_3repE0EEENS1_30default_config_static_selectorELNS0_4arch9wavefront6targetE0EEEvSH_.has_dyn_sized_stack, 0
	.set _ZN7rocprim17ROCPRIM_400000_NS6detail17trampoline_kernelINS0_14default_configENS1_36segmented_radix_sort_config_selectorIllEEZNS1_25segmented_radix_sort_implIS3_Lb0EPKlPlS8_S9_N2at6native12_GLOBAL__N_18offset_tEEE10hipError_tPvRmT1_PNSt15iterator_traitsISH_E10value_typeET2_T3_PNSI_ISN_E10value_typeET4_jRbjT5_ST_jjP12ihipStream_tbEUlT_E2_NS1_11comp_targetILNS1_3genE2ELNS1_11target_archE906ELNS1_3gpuE6ELNS1_3repE0EEENS1_30default_config_static_selectorELNS0_4arch9wavefront6targetE0EEEvSH_.has_recursion, 0
	.set _ZN7rocprim17ROCPRIM_400000_NS6detail17trampoline_kernelINS0_14default_configENS1_36segmented_radix_sort_config_selectorIllEEZNS1_25segmented_radix_sort_implIS3_Lb0EPKlPlS8_S9_N2at6native12_GLOBAL__N_18offset_tEEE10hipError_tPvRmT1_PNSt15iterator_traitsISH_E10value_typeET2_T3_PNSI_ISN_E10value_typeET4_jRbjT5_ST_jjP12ihipStream_tbEUlT_E2_NS1_11comp_targetILNS1_3genE2ELNS1_11target_archE906ELNS1_3gpuE6ELNS1_3repE0EEENS1_30default_config_static_selectorELNS0_4arch9wavefront6targetE0EEEvSH_.has_indirect_call, 0
	.section	.AMDGPU.csdata,"",@progbits
; Kernel info:
; codeLenInByte = 0
; TotalNumSgprs: 0
; NumVgprs: 0
; ScratchSize: 0
; MemoryBound: 0
; FloatMode: 240
; IeeeMode: 1
; LDSByteSize: 0 bytes/workgroup (compile time only)
; SGPRBlocks: 0
; VGPRBlocks: 0
; NumSGPRsForWavesPerEU: 1
; NumVGPRsForWavesPerEU: 1
; Occupancy: 16
; WaveLimiterHint : 0
; COMPUTE_PGM_RSRC2:SCRATCH_EN: 0
; COMPUTE_PGM_RSRC2:USER_SGPR: 6
; COMPUTE_PGM_RSRC2:TRAP_HANDLER: 0
; COMPUTE_PGM_RSRC2:TGID_X_EN: 1
; COMPUTE_PGM_RSRC2:TGID_Y_EN: 0
; COMPUTE_PGM_RSRC2:TGID_Z_EN: 0
; COMPUTE_PGM_RSRC2:TIDIG_COMP_CNT: 0
	.section	.text._ZN7rocprim17ROCPRIM_400000_NS6detail17trampoline_kernelINS0_14default_configENS1_36segmented_radix_sort_config_selectorIllEEZNS1_25segmented_radix_sort_implIS3_Lb0EPKlPlS8_S9_N2at6native12_GLOBAL__N_18offset_tEEE10hipError_tPvRmT1_PNSt15iterator_traitsISH_E10value_typeET2_T3_PNSI_ISN_E10value_typeET4_jRbjT5_ST_jjP12ihipStream_tbEUlT_E2_NS1_11comp_targetILNS1_3genE10ELNS1_11target_archE1201ELNS1_3gpuE5ELNS1_3repE0EEENS1_30default_config_static_selectorELNS0_4arch9wavefront6targetE0EEEvSH_,"axG",@progbits,_ZN7rocprim17ROCPRIM_400000_NS6detail17trampoline_kernelINS0_14default_configENS1_36segmented_radix_sort_config_selectorIllEEZNS1_25segmented_radix_sort_implIS3_Lb0EPKlPlS8_S9_N2at6native12_GLOBAL__N_18offset_tEEE10hipError_tPvRmT1_PNSt15iterator_traitsISH_E10value_typeET2_T3_PNSI_ISN_E10value_typeET4_jRbjT5_ST_jjP12ihipStream_tbEUlT_E2_NS1_11comp_targetILNS1_3genE10ELNS1_11target_archE1201ELNS1_3gpuE5ELNS1_3repE0EEENS1_30default_config_static_selectorELNS0_4arch9wavefront6targetE0EEEvSH_,comdat
	.globl	_ZN7rocprim17ROCPRIM_400000_NS6detail17trampoline_kernelINS0_14default_configENS1_36segmented_radix_sort_config_selectorIllEEZNS1_25segmented_radix_sort_implIS3_Lb0EPKlPlS8_S9_N2at6native12_GLOBAL__N_18offset_tEEE10hipError_tPvRmT1_PNSt15iterator_traitsISH_E10value_typeET2_T3_PNSI_ISN_E10value_typeET4_jRbjT5_ST_jjP12ihipStream_tbEUlT_E2_NS1_11comp_targetILNS1_3genE10ELNS1_11target_archE1201ELNS1_3gpuE5ELNS1_3repE0EEENS1_30default_config_static_selectorELNS0_4arch9wavefront6targetE0EEEvSH_ ; -- Begin function _ZN7rocprim17ROCPRIM_400000_NS6detail17trampoline_kernelINS0_14default_configENS1_36segmented_radix_sort_config_selectorIllEEZNS1_25segmented_radix_sort_implIS3_Lb0EPKlPlS8_S9_N2at6native12_GLOBAL__N_18offset_tEEE10hipError_tPvRmT1_PNSt15iterator_traitsISH_E10value_typeET2_T3_PNSI_ISN_E10value_typeET4_jRbjT5_ST_jjP12ihipStream_tbEUlT_E2_NS1_11comp_targetILNS1_3genE10ELNS1_11target_archE1201ELNS1_3gpuE5ELNS1_3repE0EEENS1_30default_config_static_selectorELNS0_4arch9wavefront6targetE0EEEvSH_
	.p2align	8
	.type	_ZN7rocprim17ROCPRIM_400000_NS6detail17trampoline_kernelINS0_14default_configENS1_36segmented_radix_sort_config_selectorIllEEZNS1_25segmented_radix_sort_implIS3_Lb0EPKlPlS8_S9_N2at6native12_GLOBAL__N_18offset_tEEE10hipError_tPvRmT1_PNSt15iterator_traitsISH_E10value_typeET2_T3_PNSI_ISN_E10value_typeET4_jRbjT5_ST_jjP12ihipStream_tbEUlT_E2_NS1_11comp_targetILNS1_3genE10ELNS1_11target_archE1201ELNS1_3gpuE5ELNS1_3repE0EEENS1_30default_config_static_selectorELNS0_4arch9wavefront6targetE0EEEvSH_,@function
_ZN7rocprim17ROCPRIM_400000_NS6detail17trampoline_kernelINS0_14default_configENS1_36segmented_radix_sort_config_selectorIllEEZNS1_25segmented_radix_sort_implIS3_Lb0EPKlPlS8_S9_N2at6native12_GLOBAL__N_18offset_tEEE10hipError_tPvRmT1_PNSt15iterator_traitsISH_E10value_typeET2_T3_PNSI_ISN_E10value_typeET4_jRbjT5_ST_jjP12ihipStream_tbEUlT_E2_NS1_11comp_targetILNS1_3genE10ELNS1_11target_archE1201ELNS1_3gpuE5ELNS1_3repE0EEENS1_30default_config_static_selectorELNS0_4arch9wavefront6targetE0EEEvSH_: ; @_ZN7rocprim17ROCPRIM_400000_NS6detail17trampoline_kernelINS0_14default_configENS1_36segmented_radix_sort_config_selectorIllEEZNS1_25segmented_radix_sort_implIS3_Lb0EPKlPlS8_S9_N2at6native12_GLOBAL__N_18offset_tEEE10hipError_tPvRmT1_PNSt15iterator_traitsISH_E10value_typeET2_T3_PNSI_ISN_E10value_typeET4_jRbjT5_ST_jjP12ihipStream_tbEUlT_E2_NS1_11comp_targetILNS1_3genE10ELNS1_11target_archE1201ELNS1_3gpuE5ELNS1_3repE0EEENS1_30default_config_static_selectorELNS0_4arch9wavefront6targetE0EEEvSH_
; %bb.0:
	.section	.rodata,"a",@progbits
	.p2align	6, 0x0
	.amdhsa_kernel _ZN7rocprim17ROCPRIM_400000_NS6detail17trampoline_kernelINS0_14default_configENS1_36segmented_radix_sort_config_selectorIllEEZNS1_25segmented_radix_sort_implIS3_Lb0EPKlPlS8_S9_N2at6native12_GLOBAL__N_18offset_tEEE10hipError_tPvRmT1_PNSt15iterator_traitsISH_E10value_typeET2_T3_PNSI_ISN_E10value_typeET4_jRbjT5_ST_jjP12ihipStream_tbEUlT_E2_NS1_11comp_targetILNS1_3genE10ELNS1_11target_archE1201ELNS1_3gpuE5ELNS1_3repE0EEENS1_30default_config_static_selectorELNS0_4arch9wavefront6targetE0EEEvSH_
		.amdhsa_group_segment_fixed_size 0
		.amdhsa_private_segment_fixed_size 0
		.amdhsa_kernarg_size 80
		.amdhsa_user_sgpr_count 6
		.amdhsa_user_sgpr_private_segment_buffer 1
		.amdhsa_user_sgpr_dispatch_ptr 0
		.amdhsa_user_sgpr_queue_ptr 0
		.amdhsa_user_sgpr_kernarg_segment_ptr 1
		.amdhsa_user_sgpr_dispatch_id 0
		.amdhsa_user_sgpr_flat_scratch_init 0
		.amdhsa_user_sgpr_private_segment_size 0
		.amdhsa_wavefront_size32 1
		.amdhsa_uses_dynamic_stack 0
		.amdhsa_system_sgpr_private_segment_wavefront_offset 0
		.amdhsa_system_sgpr_workgroup_id_x 1
		.amdhsa_system_sgpr_workgroup_id_y 0
		.amdhsa_system_sgpr_workgroup_id_z 0
		.amdhsa_system_sgpr_workgroup_info 0
		.amdhsa_system_vgpr_workitem_id 0
		.amdhsa_next_free_vgpr 1
		.amdhsa_next_free_sgpr 1
		.amdhsa_reserve_vcc 0
		.amdhsa_reserve_flat_scratch 0
		.amdhsa_float_round_mode_32 0
		.amdhsa_float_round_mode_16_64 0
		.amdhsa_float_denorm_mode_32 3
		.amdhsa_float_denorm_mode_16_64 3
		.amdhsa_dx10_clamp 1
		.amdhsa_ieee_mode 1
		.amdhsa_fp16_overflow 0
		.amdhsa_workgroup_processor_mode 1
		.amdhsa_memory_ordered 1
		.amdhsa_forward_progress 1
		.amdhsa_shared_vgpr_count 0
		.amdhsa_exception_fp_ieee_invalid_op 0
		.amdhsa_exception_fp_denorm_src 0
		.amdhsa_exception_fp_ieee_div_zero 0
		.amdhsa_exception_fp_ieee_overflow 0
		.amdhsa_exception_fp_ieee_underflow 0
		.amdhsa_exception_fp_ieee_inexact 0
		.amdhsa_exception_int_div_zero 0
	.end_amdhsa_kernel
	.section	.text._ZN7rocprim17ROCPRIM_400000_NS6detail17trampoline_kernelINS0_14default_configENS1_36segmented_radix_sort_config_selectorIllEEZNS1_25segmented_radix_sort_implIS3_Lb0EPKlPlS8_S9_N2at6native12_GLOBAL__N_18offset_tEEE10hipError_tPvRmT1_PNSt15iterator_traitsISH_E10value_typeET2_T3_PNSI_ISN_E10value_typeET4_jRbjT5_ST_jjP12ihipStream_tbEUlT_E2_NS1_11comp_targetILNS1_3genE10ELNS1_11target_archE1201ELNS1_3gpuE5ELNS1_3repE0EEENS1_30default_config_static_selectorELNS0_4arch9wavefront6targetE0EEEvSH_,"axG",@progbits,_ZN7rocprim17ROCPRIM_400000_NS6detail17trampoline_kernelINS0_14default_configENS1_36segmented_radix_sort_config_selectorIllEEZNS1_25segmented_radix_sort_implIS3_Lb0EPKlPlS8_S9_N2at6native12_GLOBAL__N_18offset_tEEE10hipError_tPvRmT1_PNSt15iterator_traitsISH_E10value_typeET2_T3_PNSI_ISN_E10value_typeET4_jRbjT5_ST_jjP12ihipStream_tbEUlT_E2_NS1_11comp_targetILNS1_3genE10ELNS1_11target_archE1201ELNS1_3gpuE5ELNS1_3repE0EEENS1_30default_config_static_selectorELNS0_4arch9wavefront6targetE0EEEvSH_,comdat
.Lfunc_end836:
	.size	_ZN7rocprim17ROCPRIM_400000_NS6detail17trampoline_kernelINS0_14default_configENS1_36segmented_radix_sort_config_selectorIllEEZNS1_25segmented_radix_sort_implIS3_Lb0EPKlPlS8_S9_N2at6native12_GLOBAL__N_18offset_tEEE10hipError_tPvRmT1_PNSt15iterator_traitsISH_E10value_typeET2_T3_PNSI_ISN_E10value_typeET4_jRbjT5_ST_jjP12ihipStream_tbEUlT_E2_NS1_11comp_targetILNS1_3genE10ELNS1_11target_archE1201ELNS1_3gpuE5ELNS1_3repE0EEENS1_30default_config_static_selectorELNS0_4arch9wavefront6targetE0EEEvSH_, .Lfunc_end836-_ZN7rocprim17ROCPRIM_400000_NS6detail17trampoline_kernelINS0_14default_configENS1_36segmented_radix_sort_config_selectorIllEEZNS1_25segmented_radix_sort_implIS3_Lb0EPKlPlS8_S9_N2at6native12_GLOBAL__N_18offset_tEEE10hipError_tPvRmT1_PNSt15iterator_traitsISH_E10value_typeET2_T3_PNSI_ISN_E10value_typeET4_jRbjT5_ST_jjP12ihipStream_tbEUlT_E2_NS1_11comp_targetILNS1_3genE10ELNS1_11target_archE1201ELNS1_3gpuE5ELNS1_3repE0EEENS1_30default_config_static_selectorELNS0_4arch9wavefront6targetE0EEEvSH_
                                        ; -- End function
	.set _ZN7rocprim17ROCPRIM_400000_NS6detail17trampoline_kernelINS0_14default_configENS1_36segmented_radix_sort_config_selectorIllEEZNS1_25segmented_radix_sort_implIS3_Lb0EPKlPlS8_S9_N2at6native12_GLOBAL__N_18offset_tEEE10hipError_tPvRmT1_PNSt15iterator_traitsISH_E10value_typeET2_T3_PNSI_ISN_E10value_typeET4_jRbjT5_ST_jjP12ihipStream_tbEUlT_E2_NS1_11comp_targetILNS1_3genE10ELNS1_11target_archE1201ELNS1_3gpuE5ELNS1_3repE0EEENS1_30default_config_static_selectorELNS0_4arch9wavefront6targetE0EEEvSH_.num_vgpr, 0
	.set _ZN7rocprim17ROCPRIM_400000_NS6detail17trampoline_kernelINS0_14default_configENS1_36segmented_radix_sort_config_selectorIllEEZNS1_25segmented_radix_sort_implIS3_Lb0EPKlPlS8_S9_N2at6native12_GLOBAL__N_18offset_tEEE10hipError_tPvRmT1_PNSt15iterator_traitsISH_E10value_typeET2_T3_PNSI_ISN_E10value_typeET4_jRbjT5_ST_jjP12ihipStream_tbEUlT_E2_NS1_11comp_targetILNS1_3genE10ELNS1_11target_archE1201ELNS1_3gpuE5ELNS1_3repE0EEENS1_30default_config_static_selectorELNS0_4arch9wavefront6targetE0EEEvSH_.num_agpr, 0
	.set _ZN7rocprim17ROCPRIM_400000_NS6detail17trampoline_kernelINS0_14default_configENS1_36segmented_radix_sort_config_selectorIllEEZNS1_25segmented_radix_sort_implIS3_Lb0EPKlPlS8_S9_N2at6native12_GLOBAL__N_18offset_tEEE10hipError_tPvRmT1_PNSt15iterator_traitsISH_E10value_typeET2_T3_PNSI_ISN_E10value_typeET4_jRbjT5_ST_jjP12ihipStream_tbEUlT_E2_NS1_11comp_targetILNS1_3genE10ELNS1_11target_archE1201ELNS1_3gpuE5ELNS1_3repE0EEENS1_30default_config_static_selectorELNS0_4arch9wavefront6targetE0EEEvSH_.numbered_sgpr, 0
	.set _ZN7rocprim17ROCPRIM_400000_NS6detail17trampoline_kernelINS0_14default_configENS1_36segmented_radix_sort_config_selectorIllEEZNS1_25segmented_radix_sort_implIS3_Lb0EPKlPlS8_S9_N2at6native12_GLOBAL__N_18offset_tEEE10hipError_tPvRmT1_PNSt15iterator_traitsISH_E10value_typeET2_T3_PNSI_ISN_E10value_typeET4_jRbjT5_ST_jjP12ihipStream_tbEUlT_E2_NS1_11comp_targetILNS1_3genE10ELNS1_11target_archE1201ELNS1_3gpuE5ELNS1_3repE0EEENS1_30default_config_static_selectorELNS0_4arch9wavefront6targetE0EEEvSH_.num_named_barrier, 0
	.set _ZN7rocprim17ROCPRIM_400000_NS6detail17trampoline_kernelINS0_14default_configENS1_36segmented_radix_sort_config_selectorIllEEZNS1_25segmented_radix_sort_implIS3_Lb0EPKlPlS8_S9_N2at6native12_GLOBAL__N_18offset_tEEE10hipError_tPvRmT1_PNSt15iterator_traitsISH_E10value_typeET2_T3_PNSI_ISN_E10value_typeET4_jRbjT5_ST_jjP12ihipStream_tbEUlT_E2_NS1_11comp_targetILNS1_3genE10ELNS1_11target_archE1201ELNS1_3gpuE5ELNS1_3repE0EEENS1_30default_config_static_selectorELNS0_4arch9wavefront6targetE0EEEvSH_.private_seg_size, 0
	.set _ZN7rocprim17ROCPRIM_400000_NS6detail17trampoline_kernelINS0_14default_configENS1_36segmented_radix_sort_config_selectorIllEEZNS1_25segmented_radix_sort_implIS3_Lb0EPKlPlS8_S9_N2at6native12_GLOBAL__N_18offset_tEEE10hipError_tPvRmT1_PNSt15iterator_traitsISH_E10value_typeET2_T3_PNSI_ISN_E10value_typeET4_jRbjT5_ST_jjP12ihipStream_tbEUlT_E2_NS1_11comp_targetILNS1_3genE10ELNS1_11target_archE1201ELNS1_3gpuE5ELNS1_3repE0EEENS1_30default_config_static_selectorELNS0_4arch9wavefront6targetE0EEEvSH_.uses_vcc, 0
	.set _ZN7rocprim17ROCPRIM_400000_NS6detail17trampoline_kernelINS0_14default_configENS1_36segmented_radix_sort_config_selectorIllEEZNS1_25segmented_radix_sort_implIS3_Lb0EPKlPlS8_S9_N2at6native12_GLOBAL__N_18offset_tEEE10hipError_tPvRmT1_PNSt15iterator_traitsISH_E10value_typeET2_T3_PNSI_ISN_E10value_typeET4_jRbjT5_ST_jjP12ihipStream_tbEUlT_E2_NS1_11comp_targetILNS1_3genE10ELNS1_11target_archE1201ELNS1_3gpuE5ELNS1_3repE0EEENS1_30default_config_static_selectorELNS0_4arch9wavefront6targetE0EEEvSH_.uses_flat_scratch, 0
	.set _ZN7rocprim17ROCPRIM_400000_NS6detail17trampoline_kernelINS0_14default_configENS1_36segmented_radix_sort_config_selectorIllEEZNS1_25segmented_radix_sort_implIS3_Lb0EPKlPlS8_S9_N2at6native12_GLOBAL__N_18offset_tEEE10hipError_tPvRmT1_PNSt15iterator_traitsISH_E10value_typeET2_T3_PNSI_ISN_E10value_typeET4_jRbjT5_ST_jjP12ihipStream_tbEUlT_E2_NS1_11comp_targetILNS1_3genE10ELNS1_11target_archE1201ELNS1_3gpuE5ELNS1_3repE0EEENS1_30default_config_static_selectorELNS0_4arch9wavefront6targetE0EEEvSH_.has_dyn_sized_stack, 0
	.set _ZN7rocprim17ROCPRIM_400000_NS6detail17trampoline_kernelINS0_14default_configENS1_36segmented_radix_sort_config_selectorIllEEZNS1_25segmented_radix_sort_implIS3_Lb0EPKlPlS8_S9_N2at6native12_GLOBAL__N_18offset_tEEE10hipError_tPvRmT1_PNSt15iterator_traitsISH_E10value_typeET2_T3_PNSI_ISN_E10value_typeET4_jRbjT5_ST_jjP12ihipStream_tbEUlT_E2_NS1_11comp_targetILNS1_3genE10ELNS1_11target_archE1201ELNS1_3gpuE5ELNS1_3repE0EEENS1_30default_config_static_selectorELNS0_4arch9wavefront6targetE0EEEvSH_.has_recursion, 0
	.set _ZN7rocprim17ROCPRIM_400000_NS6detail17trampoline_kernelINS0_14default_configENS1_36segmented_radix_sort_config_selectorIllEEZNS1_25segmented_radix_sort_implIS3_Lb0EPKlPlS8_S9_N2at6native12_GLOBAL__N_18offset_tEEE10hipError_tPvRmT1_PNSt15iterator_traitsISH_E10value_typeET2_T3_PNSI_ISN_E10value_typeET4_jRbjT5_ST_jjP12ihipStream_tbEUlT_E2_NS1_11comp_targetILNS1_3genE10ELNS1_11target_archE1201ELNS1_3gpuE5ELNS1_3repE0EEENS1_30default_config_static_selectorELNS0_4arch9wavefront6targetE0EEEvSH_.has_indirect_call, 0
	.section	.AMDGPU.csdata,"",@progbits
; Kernel info:
; codeLenInByte = 0
; TotalNumSgprs: 0
; NumVgprs: 0
; ScratchSize: 0
; MemoryBound: 0
; FloatMode: 240
; IeeeMode: 1
; LDSByteSize: 0 bytes/workgroup (compile time only)
; SGPRBlocks: 0
; VGPRBlocks: 0
; NumSGPRsForWavesPerEU: 1
; NumVGPRsForWavesPerEU: 1
; Occupancy: 16
; WaveLimiterHint : 0
; COMPUTE_PGM_RSRC2:SCRATCH_EN: 0
; COMPUTE_PGM_RSRC2:USER_SGPR: 6
; COMPUTE_PGM_RSRC2:TRAP_HANDLER: 0
; COMPUTE_PGM_RSRC2:TGID_X_EN: 1
; COMPUTE_PGM_RSRC2:TGID_Y_EN: 0
; COMPUTE_PGM_RSRC2:TGID_Z_EN: 0
; COMPUTE_PGM_RSRC2:TIDIG_COMP_CNT: 0
	.section	.text._ZN7rocprim17ROCPRIM_400000_NS6detail17trampoline_kernelINS0_14default_configENS1_36segmented_radix_sort_config_selectorIllEEZNS1_25segmented_radix_sort_implIS3_Lb0EPKlPlS8_S9_N2at6native12_GLOBAL__N_18offset_tEEE10hipError_tPvRmT1_PNSt15iterator_traitsISH_E10value_typeET2_T3_PNSI_ISN_E10value_typeET4_jRbjT5_ST_jjP12ihipStream_tbEUlT_E2_NS1_11comp_targetILNS1_3genE10ELNS1_11target_archE1200ELNS1_3gpuE4ELNS1_3repE0EEENS1_30default_config_static_selectorELNS0_4arch9wavefront6targetE0EEEvSH_,"axG",@progbits,_ZN7rocprim17ROCPRIM_400000_NS6detail17trampoline_kernelINS0_14default_configENS1_36segmented_radix_sort_config_selectorIllEEZNS1_25segmented_radix_sort_implIS3_Lb0EPKlPlS8_S9_N2at6native12_GLOBAL__N_18offset_tEEE10hipError_tPvRmT1_PNSt15iterator_traitsISH_E10value_typeET2_T3_PNSI_ISN_E10value_typeET4_jRbjT5_ST_jjP12ihipStream_tbEUlT_E2_NS1_11comp_targetILNS1_3genE10ELNS1_11target_archE1200ELNS1_3gpuE4ELNS1_3repE0EEENS1_30default_config_static_selectorELNS0_4arch9wavefront6targetE0EEEvSH_,comdat
	.globl	_ZN7rocprim17ROCPRIM_400000_NS6detail17trampoline_kernelINS0_14default_configENS1_36segmented_radix_sort_config_selectorIllEEZNS1_25segmented_radix_sort_implIS3_Lb0EPKlPlS8_S9_N2at6native12_GLOBAL__N_18offset_tEEE10hipError_tPvRmT1_PNSt15iterator_traitsISH_E10value_typeET2_T3_PNSI_ISN_E10value_typeET4_jRbjT5_ST_jjP12ihipStream_tbEUlT_E2_NS1_11comp_targetILNS1_3genE10ELNS1_11target_archE1200ELNS1_3gpuE4ELNS1_3repE0EEENS1_30default_config_static_selectorELNS0_4arch9wavefront6targetE0EEEvSH_ ; -- Begin function _ZN7rocprim17ROCPRIM_400000_NS6detail17trampoline_kernelINS0_14default_configENS1_36segmented_radix_sort_config_selectorIllEEZNS1_25segmented_radix_sort_implIS3_Lb0EPKlPlS8_S9_N2at6native12_GLOBAL__N_18offset_tEEE10hipError_tPvRmT1_PNSt15iterator_traitsISH_E10value_typeET2_T3_PNSI_ISN_E10value_typeET4_jRbjT5_ST_jjP12ihipStream_tbEUlT_E2_NS1_11comp_targetILNS1_3genE10ELNS1_11target_archE1200ELNS1_3gpuE4ELNS1_3repE0EEENS1_30default_config_static_selectorELNS0_4arch9wavefront6targetE0EEEvSH_
	.p2align	8
	.type	_ZN7rocprim17ROCPRIM_400000_NS6detail17trampoline_kernelINS0_14default_configENS1_36segmented_radix_sort_config_selectorIllEEZNS1_25segmented_radix_sort_implIS3_Lb0EPKlPlS8_S9_N2at6native12_GLOBAL__N_18offset_tEEE10hipError_tPvRmT1_PNSt15iterator_traitsISH_E10value_typeET2_T3_PNSI_ISN_E10value_typeET4_jRbjT5_ST_jjP12ihipStream_tbEUlT_E2_NS1_11comp_targetILNS1_3genE10ELNS1_11target_archE1200ELNS1_3gpuE4ELNS1_3repE0EEENS1_30default_config_static_selectorELNS0_4arch9wavefront6targetE0EEEvSH_,@function
_ZN7rocprim17ROCPRIM_400000_NS6detail17trampoline_kernelINS0_14default_configENS1_36segmented_radix_sort_config_selectorIllEEZNS1_25segmented_radix_sort_implIS3_Lb0EPKlPlS8_S9_N2at6native12_GLOBAL__N_18offset_tEEE10hipError_tPvRmT1_PNSt15iterator_traitsISH_E10value_typeET2_T3_PNSI_ISN_E10value_typeET4_jRbjT5_ST_jjP12ihipStream_tbEUlT_E2_NS1_11comp_targetILNS1_3genE10ELNS1_11target_archE1200ELNS1_3gpuE4ELNS1_3repE0EEENS1_30default_config_static_selectorELNS0_4arch9wavefront6targetE0EEEvSH_: ; @_ZN7rocprim17ROCPRIM_400000_NS6detail17trampoline_kernelINS0_14default_configENS1_36segmented_radix_sort_config_selectorIllEEZNS1_25segmented_radix_sort_implIS3_Lb0EPKlPlS8_S9_N2at6native12_GLOBAL__N_18offset_tEEE10hipError_tPvRmT1_PNSt15iterator_traitsISH_E10value_typeET2_T3_PNSI_ISN_E10value_typeET4_jRbjT5_ST_jjP12ihipStream_tbEUlT_E2_NS1_11comp_targetILNS1_3genE10ELNS1_11target_archE1200ELNS1_3gpuE4ELNS1_3repE0EEENS1_30default_config_static_selectorELNS0_4arch9wavefront6targetE0EEEvSH_
; %bb.0:
	.section	.rodata,"a",@progbits
	.p2align	6, 0x0
	.amdhsa_kernel _ZN7rocprim17ROCPRIM_400000_NS6detail17trampoline_kernelINS0_14default_configENS1_36segmented_radix_sort_config_selectorIllEEZNS1_25segmented_radix_sort_implIS3_Lb0EPKlPlS8_S9_N2at6native12_GLOBAL__N_18offset_tEEE10hipError_tPvRmT1_PNSt15iterator_traitsISH_E10value_typeET2_T3_PNSI_ISN_E10value_typeET4_jRbjT5_ST_jjP12ihipStream_tbEUlT_E2_NS1_11comp_targetILNS1_3genE10ELNS1_11target_archE1200ELNS1_3gpuE4ELNS1_3repE0EEENS1_30default_config_static_selectorELNS0_4arch9wavefront6targetE0EEEvSH_
		.amdhsa_group_segment_fixed_size 0
		.amdhsa_private_segment_fixed_size 0
		.amdhsa_kernarg_size 80
		.amdhsa_user_sgpr_count 6
		.amdhsa_user_sgpr_private_segment_buffer 1
		.amdhsa_user_sgpr_dispatch_ptr 0
		.amdhsa_user_sgpr_queue_ptr 0
		.amdhsa_user_sgpr_kernarg_segment_ptr 1
		.amdhsa_user_sgpr_dispatch_id 0
		.amdhsa_user_sgpr_flat_scratch_init 0
		.amdhsa_user_sgpr_private_segment_size 0
		.amdhsa_wavefront_size32 1
		.amdhsa_uses_dynamic_stack 0
		.amdhsa_system_sgpr_private_segment_wavefront_offset 0
		.amdhsa_system_sgpr_workgroup_id_x 1
		.amdhsa_system_sgpr_workgroup_id_y 0
		.amdhsa_system_sgpr_workgroup_id_z 0
		.amdhsa_system_sgpr_workgroup_info 0
		.amdhsa_system_vgpr_workitem_id 0
		.amdhsa_next_free_vgpr 1
		.amdhsa_next_free_sgpr 1
		.amdhsa_reserve_vcc 0
		.amdhsa_reserve_flat_scratch 0
		.amdhsa_float_round_mode_32 0
		.amdhsa_float_round_mode_16_64 0
		.amdhsa_float_denorm_mode_32 3
		.amdhsa_float_denorm_mode_16_64 3
		.amdhsa_dx10_clamp 1
		.amdhsa_ieee_mode 1
		.amdhsa_fp16_overflow 0
		.amdhsa_workgroup_processor_mode 1
		.amdhsa_memory_ordered 1
		.amdhsa_forward_progress 1
		.amdhsa_shared_vgpr_count 0
		.amdhsa_exception_fp_ieee_invalid_op 0
		.amdhsa_exception_fp_denorm_src 0
		.amdhsa_exception_fp_ieee_div_zero 0
		.amdhsa_exception_fp_ieee_overflow 0
		.amdhsa_exception_fp_ieee_underflow 0
		.amdhsa_exception_fp_ieee_inexact 0
		.amdhsa_exception_int_div_zero 0
	.end_amdhsa_kernel
	.section	.text._ZN7rocprim17ROCPRIM_400000_NS6detail17trampoline_kernelINS0_14default_configENS1_36segmented_radix_sort_config_selectorIllEEZNS1_25segmented_radix_sort_implIS3_Lb0EPKlPlS8_S9_N2at6native12_GLOBAL__N_18offset_tEEE10hipError_tPvRmT1_PNSt15iterator_traitsISH_E10value_typeET2_T3_PNSI_ISN_E10value_typeET4_jRbjT5_ST_jjP12ihipStream_tbEUlT_E2_NS1_11comp_targetILNS1_3genE10ELNS1_11target_archE1200ELNS1_3gpuE4ELNS1_3repE0EEENS1_30default_config_static_selectorELNS0_4arch9wavefront6targetE0EEEvSH_,"axG",@progbits,_ZN7rocprim17ROCPRIM_400000_NS6detail17trampoline_kernelINS0_14default_configENS1_36segmented_radix_sort_config_selectorIllEEZNS1_25segmented_radix_sort_implIS3_Lb0EPKlPlS8_S9_N2at6native12_GLOBAL__N_18offset_tEEE10hipError_tPvRmT1_PNSt15iterator_traitsISH_E10value_typeET2_T3_PNSI_ISN_E10value_typeET4_jRbjT5_ST_jjP12ihipStream_tbEUlT_E2_NS1_11comp_targetILNS1_3genE10ELNS1_11target_archE1200ELNS1_3gpuE4ELNS1_3repE0EEENS1_30default_config_static_selectorELNS0_4arch9wavefront6targetE0EEEvSH_,comdat
.Lfunc_end837:
	.size	_ZN7rocprim17ROCPRIM_400000_NS6detail17trampoline_kernelINS0_14default_configENS1_36segmented_radix_sort_config_selectorIllEEZNS1_25segmented_radix_sort_implIS3_Lb0EPKlPlS8_S9_N2at6native12_GLOBAL__N_18offset_tEEE10hipError_tPvRmT1_PNSt15iterator_traitsISH_E10value_typeET2_T3_PNSI_ISN_E10value_typeET4_jRbjT5_ST_jjP12ihipStream_tbEUlT_E2_NS1_11comp_targetILNS1_3genE10ELNS1_11target_archE1200ELNS1_3gpuE4ELNS1_3repE0EEENS1_30default_config_static_selectorELNS0_4arch9wavefront6targetE0EEEvSH_, .Lfunc_end837-_ZN7rocprim17ROCPRIM_400000_NS6detail17trampoline_kernelINS0_14default_configENS1_36segmented_radix_sort_config_selectorIllEEZNS1_25segmented_radix_sort_implIS3_Lb0EPKlPlS8_S9_N2at6native12_GLOBAL__N_18offset_tEEE10hipError_tPvRmT1_PNSt15iterator_traitsISH_E10value_typeET2_T3_PNSI_ISN_E10value_typeET4_jRbjT5_ST_jjP12ihipStream_tbEUlT_E2_NS1_11comp_targetILNS1_3genE10ELNS1_11target_archE1200ELNS1_3gpuE4ELNS1_3repE0EEENS1_30default_config_static_selectorELNS0_4arch9wavefront6targetE0EEEvSH_
                                        ; -- End function
	.set _ZN7rocprim17ROCPRIM_400000_NS6detail17trampoline_kernelINS0_14default_configENS1_36segmented_radix_sort_config_selectorIllEEZNS1_25segmented_radix_sort_implIS3_Lb0EPKlPlS8_S9_N2at6native12_GLOBAL__N_18offset_tEEE10hipError_tPvRmT1_PNSt15iterator_traitsISH_E10value_typeET2_T3_PNSI_ISN_E10value_typeET4_jRbjT5_ST_jjP12ihipStream_tbEUlT_E2_NS1_11comp_targetILNS1_3genE10ELNS1_11target_archE1200ELNS1_3gpuE4ELNS1_3repE0EEENS1_30default_config_static_selectorELNS0_4arch9wavefront6targetE0EEEvSH_.num_vgpr, 0
	.set _ZN7rocprim17ROCPRIM_400000_NS6detail17trampoline_kernelINS0_14default_configENS1_36segmented_radix_sort_config_selectorIllEEZNS1_25segmented_radix_sort_implIS3_Lb0EPKlPlS8_S9_N2at6native12_GLOBAL__N_18offset_tEEE10hipError_tPvRmT1_PNSt15iterator_traitsISH_E10value_typeET2_T3_PNSI_ISN_E10value_typeET4_jRbjT5_ST_jjP12ihipStream_tbEUlT_E2_NS1_11comp_targetILNS1_3genE10ELNS1_11target_archE1200ELNS1_3gpuE4ELNS1_3repE0EEENS1_30default_config_static_selectorELNS0_4arch9wavefront6targetE0EEEvSH_.num_agpr, 0
	.set _ZN7rocprim17ROCPRIM_400000_NS6detail17trampoline_kernelINS0_14default_configENS1_36segmented_radix_sort_config_selectorIllEEZNS1_25segmented_radix_sort_implIS3_Lb0EPKlPlS8_S9_N2at6native12_GLOBAL__N_18offset_tEEE10hipError_tPvRmT1_PNSt15iterator_traitsISH_E10value_typeET2_T3_PNSI_ISN_E10value_typeET4_jRbjT5_ST_jjP12ihipStream_tbEUlT_E2_NS1_11comp_targetILNS1_3genE10ELNS1_11target_archE1200ELNS1_3gpuE4ELNS1_3repE0EEENS1_30default_config_static_selectorELNS0_4arch9wavefront6targetE0EEEvSH_.numbered_sgpr, 0
	.set _ZN7rocprim17ROCPRIM_400000_NS6detail17trampoline_kernelINS0_14default_configENS1_36segmented_radix_sort_config_selectorIllEEZNS1_25segmented_radix_sort_implIS3_Lb0EPKlPlS8_S9_N2at6native12_GLOBAL__N_18offset_tEEE10hipError_tPvRmT1_PNSt15iterator_traitsISH_E10value_typeET2_T3_PNSI_ISN_E10value_typeET4_jRbjT5_ST_jjP12ihipStream_tbEUlT_E2_NS1_11comp_targetILNS1_3genE10ELNS1_11target_archE1200ELNS1_3gpuE4ELNS1_3repE0EEENS1_30default_config_static_selectorELNS0_4arch9wavefront6targetE0EEEvSH_.num_named_barrier, 0
	.set _ZN7rocprim17ROCPRIM_400000_NS6detail17trampoline_kernelINS0_14default_configENS1_36segmented_radix_sort_config_selectorIllEEZNS1_25segmented_radix_sort_implIS3_Lb0EPKlPlS8_S9_N2at6native12_GLOBAL__N_18offset_tEEE10hipError_tPvRmT1_PNSt15iterator_traitsISH_E10value_typeET2_T3_PNSI_ISN_E10value_typeET4_jRbjT5_ST_jjP12ihipStream_tbEUlT_E2_NS1_11comp_targetILNS1_3genE10ELNS1_11target_archE1200ELNS1_3gpuE4ELNS1_3repE0EEENS1_30default_config_static_selectorELNS0_4arch9wavefront6targetE0EEEvSH_.private_seg_size, 0
	.set _ZN7rocprim17ROCPRIM_400000_NS6detail17trampoline_kernelINS0_14default_configENS1_36segmented_radix_sort_config_selectorIllEEZNS1_25segmented_radix_sort_implIS3_Lb0EPKlPlS8_S9_N2at6native12_GLOBAL__N_18offset_tEEE10hipError_tPvRmT1_PNSt15iterator_traitsISH_E10value_typeET2_T3_PNSI_ISN_E10value_typeET4_jRbjT5_ST_jjP12ihipStream_tbEUlT_E2_NS1_11comp_targetILNS1_3genE10ELNS1_11target_archE1200ELNS1_3gpuE4ELNS1_3repE0EEENS1_30default_config_static_selectorELNS0_4arch9wavefront6targetE0EEEvSH_.uses_vcc, 0
	.set _ZN7rocprim17ROCPRIM_400000_NS6detail17trampoline_kernelINS0_14default_configENS1_36segmented_radix_sort_config_selectorIllEEZNS1_25segmented_radix_sort_implIS3_Lb0EPKlPlS8_S9_N2at6native12_GLOBAL__N_18offset_tEEE10hipError_tPvRmT1_PNSt15iterator_traitsISH_E10value_typeET2_T3_PNSI_ISN_E10value_typeET4_jRbjT5_ST_jjP12ihipStream_tbEUlT_E2_NS1_11comp_targetILNS1_3genE10ELNS1_11target_archE1200ELNS1_3gpuE4ELNS1_3repE0EEENS1_30default_config_static_selectorELNS0_4arch9wavefront6targetE0EEEvSH_.uses_flat_scratch, 0
	.set _ZN7rocprim17ROCPRIM_400000_NS6detail17trampoline_kernelINS0_14default_configENS1_36segmented_radix_sort_config_selectorIllEEZNS1_25segmented_radix_sort_implIS3_Lb0EPKlPlS8_S9_N2at6native12_GLOBAL__N_18offset_tEEE10hipError_tPvRmT1_PNSt15iterator_traitsISH_E10value_typeET2_T3_PNSI_ISN_E10value_typeET4_jRbjT5_ST_jjP12ihipStream_tbEUlT_E2_NS1_11comp_targetILNS1_3genE10ELNS1_11target_archE1200ELNS1_3gpuE4ELNS1_3repE0EEENS1_30default_config_static_selectorELNS0_4arch9wavefront6targetE0EEEvSH_.has_dyn_sized_stack, 0
	.set _ZN7rocprim17ROCPRIM_400000_NS6detail17trampoline_kernelINS0_14default_configENS1_36segmented_radix_sort_config_selectorIllEEZNS1_25segmented_radix_sort_implIS3_Lb0EPKlPlS8_S9_N2at6native12_GLOBAL__N_18offset_tEEE10hipError_tPvRmT1_PNSt15iterator_traitsISH_E10value_typeET2_T3_PNSI_ISN_E10value_typeET4_jRbjT5_ST_jjP12ihipStream_tbEUlT_E2_NS1_11comp_targetILNS1_3genE10ELNS1_11target_archE1200ELNS1_3gpuE4ELNS1_3repE0EEENS1_30default_config_static_selectorELNS0_4arch9wavefront6targetE0EEEvSH_.has_recursion, 0
	.set _ZN7rocprim17ROCPRIM_400000_NS6detail17trampoline_kernelINS0_14default_configENS1_36segmented_radix_sort_config_selectorIllEEZNS1_25segmented_radix_sort_implIS3_Lb0EPKlPlS8_S9_N2at6native12_GLOBAL__N_18offset_tEEE10hipError_tPvRmT1_PNSt15iterator_traitsISH_E10value_typeET2_T3_PNSI_ISN_E10value_typeET4_jRbjT5_ST_jjP12ihipStream_tbEUlT_E2_NS1_11comp_targetILNS1_3genE10ELNS1_11target_archE1200ELNS1_3gpuE4ELNS1_3repE0EEENS1_30default_config_static_selectorELNS0_4arch9wavefront6targetE0EEEvSH_.has_indirect_call, 0
	.section	.AMDGPU.csdata,"",@progbits
; Kernel info:
; codeLenInByte = 0
; TotalNumSgprs: 0
; NumVgprs: 0
; ScratchSize: 0
; MemoryBound: 0
; FloatMode: 240
; IeeeMode: 1
; LDSByteSize: 0 bytes/workgroup (compile time only)
; SGPRBlocks: 0
; VGPRBlocks: 0
; NumSGPRsForWavesPerEU: 1
; NumVGPRsForWavesPerEU: 1
; Occupancy: 16
; WaveLimiterHint : 0
; COMPUTE_PGM_RSRC2:SCRATCH_EN: 0
; COMPUTE_PGM_RSRC2:USER_SGPR: 6
; COMPUTE_PGM_RSRC2:TRAP_HANDLER: 0
; COMPUTE_PGM_RSRC2:TGID_X_EN: 1
; COMPUTE_PGM_RSRC2:TGID_Y_EN: 0
; COMPUTE_PGM_RSRC2:TGID_Z_EN: 0
; COMPUTE_PGM_RSRC2:TIDIG_COMP_CNT: 0
	.section	.text._ZN7rocprim17ROCPRIM_400000_NS6detail17trampoline_kernelINS0_14default_configENS1_36segmented_radix_sort_config_selectorIllEEZNS1_25segmented_radix_sort_implIS3_Lb0EPKlPlS8_S9_N2at6native12_GLOBAL__N_18offset_tEEE10hipError_tPvRmT1_PNSt15iterator_traitsISH_E10value_typeET2_T3_PNSI_ISN_E10value_typeET4_jRbjT5_ST_jjP12ihipStream_tbEUlT_E2_NS1_11comp_targetILNS1_3genE9ELNS1_11target_archE1100ELNS1_3gpuE3ELNS1_3repE0EEENS1_30default_config_static_selectorELNS0_4arch9wavefront6targetE0EEEvSH_,"axG",@progbits,_ZN7rocprim17ROCPRIM_400000_NS6detail17trampoline_kernelINS0_14default_configENS1_36segmented_radix_sort_config_selectorIllEEZNS1_25segmented_radix_sort_implIS3_Lb0EPKlPlS8_S9_N2at6native12_GLOBAL__N_18offset_tEEE10hipError_tPvRmT1_PNSt15iterator_traitsISH_E10value_typeET2_T3_PNSI_ISN_E10value_typeET4_jRbjT5_ST_jjP12ihipStream_tbEUlT_E2_NS1_11comp_targetILNS1_3genE9ELNS1_11target_archE1100ELNS1_3gpuE3ELNS1_3repE0EEENS1_30default_config_static_selectorELNS0_4arch9wavefront6targetE0EEEvSH_,comdat
	.globl	_ZN7rocprim17ROCPRIM_400000_NS6detail17trampoline_kernelINS0_14default_configENS1_36segmented_radix_sort_config_selectorIllEEZNS1_25segmented_radix_sort_implIS3_Lb0EPKlPlS8_S9_N2at6native12_GLOBAL__N_18offset_tEEE10hipError_tPvRmT1_PNSt15iterator_traitsISH_E10value_typeET2_T3_PNSI_ISN_E10value_typeET4_jRbjT5_ST_jjP12ihipStream_tbEUlT_E2_NS1_11comp_targetILNS1_3genE9ELNS1_11target_archE1100ELNS1_3gpuE3ELNS1_3repE0EEENS1_30default_config_static_selectorELNS0_4arch9wavefront6targetE0EEEvSH_ ; -- Begin function _ZN7rocprim17ROCPRIM_400000_NS6detail17trampoline_kernelINS0_14default_configENS1_36segmented_radix_sort_config_selectorIllEEZNS1_25segmented_radix_sort_implIS3_Lb0EPKlPlS8_S9_N2at6native12_GLOBAL__N_18offset_tEEE10hipError_tPvRmT1_PNSt15iterator_traitsISH_E10value_typeET2_T3_PNSI_ISN_E10value_typeET4_jRbjT5_ST_jjP12ihipStream_tbEUlT_E2_NS1_11comp_targetILNS1_3genE9ELNS1_11target_archE1100ELNS1_3gpuE3ELNS1_3repE0EEENS1_30default_config_static_selectorELNS0_4arch9wavefront6targetE0EEEvSH_
	.p2align	8
	.type	_ZN7rocprim17ROCPRIM_400000_NS6detail17trampoline_kernelINS0_14default_configENS1_36segmented_radix_sort_config_selectorIllEEZNS1_25segmented_radix_sort_implIS3_Lb0EPKlPlS8_S9_N2at6native12_GLOBAL__N_18offset_tEEE10hipError_tPvRmT1_PNSt15iterator_traitsISH_E10value_typeET2_T3_PNSI_ISN_E10value_typeET4_jRbjT5_ST_jjP12ihipStream_tbEUlT_E2_NS1_11comp_targetILNS1_3genE9ELNS1_11target_archE1100ELNS1_3gpuE3ELNS1_3repE0EEENS1_30default_config_static_selectorELNS0_4arch9wavefront6targetE0EEEvSH_,@function
_ZN7rocprim17ROCPRIM_400000_NS6detail17trampoline_kernelINS0_14default_configENS1_36segmented_radix_sort_config_selectorIllEEZNS1_25segmented_radix_sort_implIS3_Lb0EPKlPlS8_S9_N2at6native12_GLOBAL__N_18offset_tEEE10hipError_tPvRmT1_PNSt15iterator_traitsISH_E10value_typeET2_T3_PNSI_ISN_E10value_typeET4_jRbjT5_ST_jjP12ihipStream_tbEUlT_E2_NS1_11comp_targetILNS1_3genE9ELNS1_11target_archE1100ELNS1_3gpuE3ELNS1_3repE0EEENS1_30default_config_static_selectorELNS0_4arch9wavefront6targetE0EEEvSH_: ; @_ZN7rocprim17ROCPRIM_400000_NS6detail17trampoline_kernelINS0_14default_configENS1_36segmented_radix_sort_config_selectorIllEEZNS1_25segmented_radix_sort_implIS3_Lb0EPKlPlS8_S9_N2at6native12_GLOBAL__N_18offset_tEEE10hipError_tPvRmT1_PNSt15iterator_traitsISH_E10value_typeET2_T3_PNSI_ISN_E10value_typeET4_jRbjT5_ST_jjP12ihipStream_tbEUlT_E2_NS1_11comp_targetILNS1_3genE9ELNS1_11target_archE1100ELNS1_3gpuE3ELNS1_3repE0EEENS1_30default_config_static_selectorELNS0_4arch9wavefront6targetE0EEEvSH_
; %bb.0:
	.section	.rodata,"a",@progbits
	.p2align	6, 0x0
	.amdhsa_kernel _ZN7rocprim17ROCPRIM_400000_NS6detail17trampoline_kernelINS0_14default_configENS1_36segmented_radix_sort_config_selectorIllEEZNS1_25segmented_radix_sort_implIS3_Lb0EPKlPlS8_S9_N2at6native12_GLOBAL__N_18offset_tEEE10hipError_tPvRmT1_PNSt15iterator_traitsISH_E10value_typeET2_T3_PNSI_ISN_E10value_typeET4_jRbjT5_ST_jjP12ihipStream_tbEUlT_E2_NS1_11comp_targetILNS1_3genE9ELNS1_11target_archE1100ELNS1_3gpuE3ELNS1_3repE0EEENS1_30default_config_static_selectorELNS0_4arch9wavefront6targetE0EEEvSH_
		.amdhsa_group_segment_fixed_size 0
		.amdhsa_private_segment_fixed_size 0
		.amdhsa_kernarg_size 80
		.amdhsa_user_sgpr_count 6
		.amdhsa_user_sgpr_private_segment_buffer 1
		.amdhsa_user_sgpr_dispatch_ptr 0
		.amdhsa_user_sgpr_queue_ptr 0
		.amdhsa_user_sgpr_kernarg_segment_ptr 1
		.amdhsa_user_sgpr_dispatch_id 0
		.amdhsa_user_sgpr_flat_scratch_init 0
		.amdhsa_user_sgpr_private_segment_size 0
		.amdhsa_wavefront_size32 1
		.amdhsa_uses_dynamic_stack 0
		.amdhsa_system_sgpr_private_segment_wavefront_offset 0
		.amdhsa_system_sgpr_workgroup_id_x 1
		.amdhsa_system_sgpr_workgroup_id_y 0
		.amdhsa_system_sgpr_workgroup_id_z 0
		.amdhsa_system_sgpr_workgroup_info 0
		.amdhsa_system_vgpr_workitem_id 0
		.amdhsa_next_free_vgpr 1
		.amdhsa_next_free_sgpr 1
		.amdhsa_reserve_vcc 0
		.amdhsa_reserve_flat_scratch 0
		.amdhsa_float_round_mode_32 0
		.amdhsa_float_round_mode_16_64 0
		.amdhsa_float_denorm_mode_32 3
		.amdhsa_float_denorm_mode_16_64 3
		.amdhsa_dx10_clamp 1
		.amdhsa_ieee_mode 1
		.amdhsa_fp16_overflow 0
		.amdhsa_workgroup_processor_mode 1
		.amdhsa_memory_ordered 1
		.amdhsa_forward_progress 1
		.amdhsa_shared_vgpr_count 0
		.amdhsa_exception_fp_ieee_invalid_op 0
		.amdhsa_exception_fp_denorm_src 0
		.amdhsa_exception_fp_ieee_div_zero 0
		.amdhsa_exception_fp_ieee_overflow 0
		.amdhsa_exception_fp_ieee_underflow 0
		.amdhsa_exception_fp_ieee_inexact 0
		.amdhsa_exception_int_div_zero 0
	.end_amdhsa_kernel
	.section	.text._ZN7rocprim17ROCPRIM_400000_NS6detail17trampoline_kernelINS0_14default_configENS1_36segmented_radix_sort_config_selectorIllEEZNS1_25segmented_radix_sort_implIS3_Lb0EPKlPlS8_S9_N2at6native12_GLOBAL__N_18offset_tEEE10hipError_tPvRmT1_PNSt15iterator_traitsISH_E10value_typeET2_T3_PNSI_ISN_E10value_typeET4_jRbjT5_ST_jjP12ihipStream_tbEUlT_E2_NS1_11comp_targetILNS1_3genE9ELNS1_11target_archE1100ELNS1_3gpuE3ELNS1_3repE0EEENS1_30default_config_static_selectorELNS0_4arch9wavefront6targetE0EEEvSH_,"axG",@progbits,_ZN7rocprim17ROCPRIM_400000_NS6detail17trampoline_kernelINS0_14default_configENS1_36segmented_radix_sort_config_selectorIllEEZNS1_25segmented_radix_sort_implIS3_Lb0EPKlPlS8_S9_N2at6native12_GLOBAL__N_18offset_tEEE10hipError_tPvRmT1_PNSt15iterator_traitsISH_E10value_typeET2_T3_PNSI_ISN_E10value_typeET4_jRbjT5_ST_jjP12ihipStream_tbEUlT_E2_NS1_11comp_targetILNS1_3genE9ELNS1_11target_archE1100ELNS1_3gpuE3ELNS1_3repE0EEENS1_30default_config_static_selectorELNS0_4arch9wavefront6targetE0EEEvSH_,comdat
.Lfunc_end838:
	.size	_ZN7rocprim17ROCPRIM_400000_NS6detail17trampoline_kernelINS0_14default_configENS1_36segmented_radix_sort_config_selectorIllEEZNS1_25segmented_radix_sort_implIS3_Lb0EPKlPlS8_S9_N2at6native12_GLOBAL__N_18offset_tEEE10hipError_tPvRmT1_PNSt15iterator_traitsISH_E10value_typeET2_T3_PNSI_ISN_E10value_typeET4_jRbjT5_ST_jjP12ihipStream_tbEUlT_E2_NS1_11comp_targetILNS1_3genE9ELNS1_11target_archE1100ELNS1_3gpuE3ELNS1_3repE0EEENS1_30default_config_static_selectorELNS0_4arch9wavefront6targetE0EEEvSH_, .Lfunc_end838-_ZN7rocprim17ROCPRIM_400000_NS6detail17trampoline_kernelINS0_14default_configENS1_36segmented_radix_sort_config_selectorIllEEZNS1_25segmented_radix_sort_implIS3_Lb0EPKlPlS8_S9_N2at6native12_GLOBAL__N_18offset_tEEE10hipError_tPvRmT1_PNSt15iterator_traitsISH_E10value_typeET2_T3_PNSI_ISN_E10value_typeET4_jRbjT5_ST_jjP12ihipStream_tbEUlT_E2_NS1_11comp_targetILNS1_3genE9ELNS1_11target_archE1100ELNS1_3gpuE3ELNS1_3repE0EEENS1_30default_config_static_selectorELNS0_4arch9wavefront6targetE0EEEvSH_
                                        ; -- End function
	.set _ZN7rocprim17ROCPRIM_400000_NS6detail17trampoline_kernelINS0_14default_configENS1_36segmented_radix_sort_config_selectorIllEEZNS1_25segmented_radix_sort_implIS3_Lb0EPKlPlS8_S9_N2at6native12_GLOBAL__N_18offset_tEEE10hipError_tPvRmT1_PNSt15iterator_traitsISH_E10value_typeET2_T3_PNSI_ISN_E10value_typeET4_jRbjT5_ST_jjP12ihipStream_tbEUlT_E2_NS1_11comp_targetILNS1_3genE9ELNS1_11target_archE1100ELNS1_3gpuE3ELNS1_3repE0EEENS1_30default_config_static_selectorELNS0_4arch9wavefront6targetE0EEEvSH_.num_vgpr, 0
	.set _ZN7rocprim17ROCPRIM_400000_NS6detail17trampoline_kernelINS0_14default_configENS1_36segmented_radix_sort_config_selectorIllEEZNS1_25segmented_radix_sort_implIS3_Lb0EPKlPlS8_S9_N2at6native12_GLOBAL__N_18offset_tEEE10hipError_tPvRmT1_PNSt15iterator_traitsISH_E10value_typeET2_T3_PNSI_ISN_E10value_typeET4_jRbjT5_ST_jjP12ihipStream_tbEUlT_E2_NS1_11comp_targetILNS1_3genE9ELNS1_11target_archE1100ELNS1_3gpuE3ELNS1_3repE0EEENS1_30default_config_static_selectorELNS0_4arch9wavefront6targetE0EEEvSH_.num_agpr, 0
	.set _ZN7rocprim17ROCPRIM_400000_NS6detail17trampoline_kernelINS0_14default_configENS1_36segmented_radix_sort_config_selectorIllEEZNS1_25segmented_radix_sort_implIS3_Lb0EPKlPlS8_S9_N2at6native12_GLOBAL__N_18offset_tEEE10hipError_tPvRmT1_PNSt15iterator_traitsISH_E10value_typeET2_T3_PNSI_ISN_E10value_typeET4_jRbjT5_ST_jjP12ihipStream_tbEUlT_E2_NS1_11comp_targetILNS1_3genE9ELNS1_11target_archE1100ELNS1_3gpuE3ELNS1_3repE0EEENS1_30default_config_static_selectorELNS0_4arch9wavefront6targetE0EEEvSH_.numbered_sgpr, 0
	.set _ZN7rocprim17ROCPRIM_400000_NS6detail17trampoline_kernelINS0_14default_configENS1_36segmented_radix_sort_config_selectorIllEEZNS1_25segmented_radix_sort_implIS3_Lb0EPKlPlS8_S9_N2at6native12_GLOBAL__N_18offset_tEEE10hipError_tPvRmT1_PNSt15iterator_traitsISH_E10value_typeET2_T3_PNSI_ISN_E10value_typeET4_jRbjT5_ST_jjP12ihipStream_tbEUlT_E2_NS1_11comp_targetILNS1_3genE9ELNS1_11target_archE1100ELNS1_3gpuE3ELNS1_3repE0EEENS1_30default_config_static_selectorELNS0_4arch9wavefront6targetE0EEEvSH_.num_named_barrier, 0
	.set _ZN7rocprim17ROCPRIM_400000_NS6detail17trampoline_kernelINS0_14default_configENS1_36segmented_radix_sort_config_selectorIllEEZNS1_25segmented_radix_sort_implIS3_Lb0EPKlPlS8_S9_N2at6native12_GLOBAL__N_18offset_tEEE10hipError_tPvRmT1_PNSt15iterator_traitsISH_E10value_typeET2_T3_PNSI_ISN_E10value_typeET4_jRbjT5_ST_jjP12ihipStream_tbEUlT_E2_NS1_11comp_targetILNS1_3genE9ELNS1_11target_archE1100ELNS1_3gpuE3ELNS1_3repE0EEENS1_30default_config_static_selectorELNS0_4arch9wavefront6targetE0EEEvSH_.private_seg_size, 0
	.set _ZN7rocprim17ROCPRIM_400000_NS6detail17trampoline_kernelINS0_14default_configENS1_36segmented_radix_sort_config_selectorIllEEZNS1_25segmented_radix_sort_implIS3_Lb0EPKlPlS8_S9_N2at6native12_GLOBAL__N_18offset_tEEE10hipError_tPvRmT1_PNSt15iterator_traitsISH_E10value_typeET2_T3_PNSI_ISN_E10value_typeET4_jRbjT5_ST_jjP12ihipStream_tbEUlT_E2_NS1_11comp_targetILNS1_3genE9ELNS1_11target_archE1100ELNS1_3gpuE3ELNS1_3repE0EEENS1_30default_config_static_selectorELNS0_4arch9wavefront6targetE0EEEvSH_.uses_vcc, 0
	.set _ZN7rocprim17ROCPRIM_400000_NS6detail17trampoline_kernelINS0_14default_configENS1_36segmented_radix_sort_config_selectorIllEEZNS1_25segmented_radix_sort_implIS3_Lb0EPKlPlS8_S9_N2at6native12_GLOBAL__N_18offset_tEEE10hipError_tPvRmT1_PNSt15iterator_traitsISH_E10value_typeET2_T3_PNSI_ISN_E10value_typeET4_jRbjT5_ST_jjP12ihipStream_tbEUlT_E2_NS1_11comp_targetILNS1_3genE9ELNS1_11target_archE1100ELNS1_3gpuE3ELNS1_3repE0EEENS1_30default_config_static_selectorELNS0_4arch9wavefront6targetE0EEEvSH_.uses_flat_scratch, 0
	.set _ZN7rocprim17ROCPRIM_400000_NS6detail17trampoline_kernelINS0_14default_configENS1_36segmented_radix_sort_config_selectorIllEEZNS1_25segmented_radix_sort_implIS3_Lb0EPKlPlS8_S9_N2at6native12_GLOBAL__N_18offset_tEEE10hipError_tPvRmT1_PNSt15iterator_traitsISH_E10value_typeET2_T3_PNSI_ISN_E10value_typeET4_jRbjT5_ST_jjP12ihipStream_tbEUlT_E2_NS1_11comp_targetILNS1_3genE9ELNS1_11target_archE1100ELNS1_3gpuE3ELNS1_3repE0EEENS1_30default_config_static_selectorELNS0_4arch9wavefront6targetE0EEEvSH_.has_dyn_sized_stack, 0
	.set _ZN7rocprim17ROCPRIM_400000_NS6detail17trampoline_kernelINS0_14default_configENS1_36segmented_radix_sort_config_selectorIllEEZNS1_25segmented_radix_sort_implIS3_Lb0EPKlPlS8_S9_N2at6native12_GLOBAL__N_18offset_tEEE10hipError_tPvRmT1_PNSt15iterator_traitsISH_E10value_typeET2_T3_PNSI_ISN_E10value_typeET4_jRbjT5_ST_jjP12ihipStream_tbEUlT_E2_NS1_11comp_targetILNS1_3genE9ELNS1_11target_archE1100ELNS1_3gpuE3ELNS1_3repE0EEENS1_30default_config_static_selectorELNS0_4arch9wavefront6targetE0EEEvSH_.has_recursion, 0
	.set _ZN7rocprim17ROCPRIM_400000_NS6detail17trampoline_kernelINS0_14default_configENS1_36segmented_radix_sort_config_selectorIllEEZNS1_25segmented_radix_sort_implIS3_Lb0EPKlPlS8_S9_N2at6native12_GLOBAL__N_18offset_tEEE10hipError_tPvRmT1_PNSt15iterator_traitsISH_E10value_typeET2_T3_PNSI_ISN_E10value_typeET4_jRbjT5_ST_jjP12ihipStream_tbEUlT_E2_NS1_11comp_targetILNS1_3genE9ELNS1_11target_archE1100ELNS1_3gpuE3ELNS1_3repE0EEENS1_30default_config_static_selectorELNS0_4arch9wavefront6targetE0EEEvSH_.has_indirect_call, 0
	.section	.AMDGPU.csdata,"",@progbits
; Kernel info:
; codeLenInByte = 0
; TotalNumSgprs: 0
; NumVgprs: 0
; ScratchSize: 0
; MemoryBound: 0
; FloatMode: 240
; IeeeMode: 1
; LDSByteSize: 0 bytes/workgroup (compile time only)
; SGPRBlocks: 0
; VGPRBlocks: 0
; NumSGPRsForWavesPerEU: 1
; NumVGPRsForWavesPerEU: 1
; Occupancy: 16
; WaveLimiterHint : 0
; COMPUTE_PGM_RSRC2:SCRATCH_EN: 0
; COMPUTE_PGM_RSRC2:USER_SGPR: 6
; COMPUTE_PGM_RSRC2:TRAP_HANDLER: 0
; COMPUTE_PGM_RSRC2:TGID_X_EN: 1
; COMPUTE_PGM_RSRC2:TGID_Y_EN: 0
; COMPUTE_PGM_RSRC2:TGID_Z_EN: 0
; COMPUTE_PGM_RSRC2:TIDIG_COMP_CNT: 0
	.section	.text._ZN7rocprim17ROCPRIM_400000_NS6detail17trampoline_kernelINS0_14default_configENS1_36segmented_radix_sort_config_selectorIllEEZNS1_25segmented_radix_sort_implIS3_Lb0EPKlPlS8_S9_N2at6native12_GLOBAL__N_18offset_tEEE10hipError_tPvRmT1_PNSt15iterator_traitsISH_E10value_typeET2_T3_PNSI_ISN_E10value_typeET4_jRbjT5_ST_jjP12ihipStream_tbEUlT_E2_NS1_11comp_targetILNS1_3genE8ELNS1_11target_archE1030ELNS1_3gpuE2ELNS1_3repE0EEENS1_30default_config_static_selectorELNS0_4arch9wavefront6targetE0EEEvSH_,"axG",@progbits,_ZN7rocprim17ROCPRIM_400000_NS6detail17trampoline_kernelINS0_14default_configENS1_36segmented_radix_sort_config_selectorIllEEZNS1_25segmented_radix_sort_implIS3_Lb0EPKlPlS8_S9_N2at6native12_GLOBAL__N_18offset_tEEE10hipError_tPvRmT1_PNSt15iterator_traitsISH_E10value_typeET2_T3_PNSI_ISN_E10value_typeET4_jRbjT5_ST_jjP12ihipStream_tbEUlT_E2_NS1_11comp_targetILNS1_3genE8ELNS1_11target_archE1030ELNS1_3gpuE2ELNS1_3repE0EEENS1_30default_config_static_selectorELNS0_4arch9wavefront6targetE0EEEvSH_,comdat
	.globl	_ZN7rocprim17ROCPRIM_400000_NS6detail17trampoline_kernelINS0_14default_configENS1_36segmented_radix_sort_config_selectorIllEEZNS1_25segmented_radix_sort_implIS3_Lb0EPKlPlS8_S9_N2at6native12_GLOBAL__N_18offset_tEEE10hipError_tPvRmT1_PNSt15iterator_traitsISH_E10value_typeET2_T3_PNSI_ISN_E10value_typeET4_jRbjT5_ST_jjP12ihipStream_tbEUlT_E2_NS1_11comp_targetILNS1_3genE8ELNS1_11target_archE1030ELNS1_3gpuE2ELNS1_3repE0EEENS1_30default_config_static_selectorELNS0_4arch9wavefront6targetE0EEEvSH_ ; -- Begin function _ZN7rocprim17ROCPRIM_400000_NS6detail17trampoline_kernelINS0_14default_configENS1_36segmented_radix_sort_config_selectorIllEEZNS1_25segmented_radix_sort_implIS3_Lb0EPKlPlS8_S9_N2at6native12_GLOBAL__N_18offset_tEEE10hipError_tPvRmT1_PNSt15iterator_traitsISH_E10value_typeET2_T3_PNSI_ISN_E10value_typeET4_jRbjT5_ST_jjP12ihipStream_tbEUlT_E2_NS1_11comp_targetILNS1_3genE8ELNS1_11target_archE1030ELNS1_3gpuE2ELNS1_3repE0EEENS1_30default_config_static_selectorELNS0_4arch9wavefront6targetE0EEEvSH_
	.p2align	8
	.type	_ZN7rocprim17ROCPRIM_400000_NS6detail17trampoline_kernelINS0_14default_configENS1_36segmented_radix_sort_config_selectorIllEEZNS1_25segmented_radix_sort_implIS3_Lb0EPKlPlS8_S9_N2at6native12_GLOBAL__N_18offset_tEEE10hipError_tPvRmT1_PNSt15iterator_traitsISH_E10value_typeET2_T3_PNSI_ISN_E10value_typeET4_jRbjT5_ST_jjP12ihipStream_tbEUlT_E2_NS1_11comp_targetILNS1_3genE8ELNS1_11target_archE1030ELNS1_3gpuE2ELNS1_3repE0EEENS1_30default_config_static_selectorELNS0_4arch9wavefront6targetE0EEEvSH_,@function
_ZN7rocprim17ROCPRIM_400000_NS6detail17trampoline_kernelINS0_14default_configENS1_36segmented_radix_sort_config_selectorIllEEZNS1_25segmented_radix_sort_implIS3_Lb0EPKlPlS8_S9_N2at6native12_GLOBAL__N_18offset_tEEE10hipError_tPvRmT1_PNSt15iterator_traitsISH_E10value_typeET2_T3_PNSI_ISN_E10value_typeET4_jRbjT5_ST_jjP12ihipStream_tbEUlT_E2_NS1_11comp_targetILNS1_3genE8ELNS1_11target_archE1030ELNS1_3gpuE2ELNS1_3repE0EEENS1_30default_config_static_selectorELNS0_4arch9wavefront6targetE0EEEvSH_: ; @_ZN7rocprim17ROCPRIM_400000_NS6detail17trampoline_kernelINS0_14default_configENS1_36segmented_radix_sort_config_selectorIllEEZNS1_25segmented_radix_sort_implIS3_Lb0EPKlPlS8_S9_N2at6native12_GLOBAL__N_18offset_tEEE10hipError_tPvRmT1_PNSt15iterator_traitsISH_E10value_typeET2_T3_PNSI_ISN_E10value_typeET4_jRbjT5_ST_jjP12ihipStream_tbEUlT_E2_NS1_11comp_targetILNS1_3genE8ELNS1_11target_archE1030ELNS1_3gpuE2ELNS1_3repE0EEENS1_30default_config_static_selectorELNS0_4arch9wavefront6targetE0EEEvSH_
; %bb.0:
	s_add_u32 s0, s0, s8
	s_load_dwordx4 s[8:11], s[4:5], 0x34
	s_addc_u32 s1, s1, 0
	s_mov_b32 s32, 0
	s_waitcnt lgkmcnt(0)
	s_add_i32 s60, s9, s6
	s_add_i32 s61, s11, s6
	s_mul_i32 s60, s60, s8
	s_mul_i32 s61, s61, s10
	s_cmp_le_u32 s61, s60
	s_cbranch_scc1 .LBB839_1198
; %bb.1:
	s_clause 0x3
	s_load_dword s8, s[4:5], 0x30
	s_load_dwordx4 s[48:51], s[4:5], 0x20
	s_load_dwordx4 s[52:55], s[4:5], 0x44
	s_load_dwordx8 s[40:47], s[4:5], 0x0
	s_waitcnt lgkmcnt(0)
	s_bitcmp1_b32 s8, 0
	s_mov_b32 s8, -1
	s_cselect_b32 s55, -1, 0
	s_sub_i32 s62, s61, s60
	s_cmpk_lt_u32 s62, 0x1001
	s_cbranch_scc0 .LBB839_15
; %bb.2:
	s_cmpk_lt_u32 s62, 0x81
	s_cbranch_scc0 .LBB839_9
; %bb.3:
	s_load_dword s8, s[4:5], 0x5c
	s_mov_b32 s27, exec_lo
	s_waitcnt lgkmcnt(0)
	s_lshr_b32 s9, s8, 16
	s_and_b32 s8, s8, 0xffff
	v_mad_u32_u24 v3, v2, s9, v1
	v_mad_u64_u32 v[3:4], null, v3, s8, v[0:1]
	v_cmpx_gt_u32_e32 16, v3
	s_cbranch_execz .LBB839_8
; %bb.4:
	v_cndmask_b32_e64 v3, 0, 1, s55
	s_and_b32 s8, s52, 1
	v_cmp_ne_u32_e32 vcc_lo, s8, v3
	s_mov_b32 s8, -1
	s_cbranch_vccnz .LBB839_6
; %bb.5:
	v_lshlrev_b32_e32 v3, 20, v2
	v_lshlrev_b32_e32 v4, 10, v1
	s_mov_b64 s[10:11], src_shared_base
	v_mov_b32_e32 v40, v0
	v_mov_b32_e32 v41, v1
	v_mov_b32_e32 v1, s41
	v_or3_b32 v31, v0, v4, v3
	v_mov_b32_e32 v0, s40
	v_mov_b32_e32 v42, v2
	;; [unrolled: 1-line block ×14, first 2 shown]
	s_add_u32 s8, s4, 0x50
	s_addc_u32 s9, s5, 0
	s_getpc_b64 s[14:15]
	s_add_u32 s14, s14, _ZN7rocprim17ROCPRIM_400000_NS6detail26segmented_warp_sort_helperINS1_20WarpSortHelperConfigILj16ELj8ELj256EEEllLi256ELb0EvE4sortIPKlPlS8_S9_EEvT_T0_T1_T2_jjjjRNS5_12storage_typeE@rel32@lo+4
	s_addc_u32 s15, s15, _ZN7rocprim17ROCPRIM_400000_NS6detail26segmented_warp_sort_helperINS1_20WarpSortHelperConfigILj16ELj8ELj256EEEllLi256ELb0EvE4sortIPKlPlS8_S9_EEvT_T0_T1_T2_jjjjRNS5_12storage_typeE@rel32@hi+12
	s_mov_b32 s12, s6
	s_mov_b32 s13, s7
	s_mov_b64 s[28:29], s[4:5]
	s_mov_b32 s33, s7
	s_mov_b32 s34, s6
	s_swappc_b64 s[30:31], s[14:15]
	v_mov_b32_e32 v1, v41
	v_mov_b32_e32 v2, v42
	;; [unrolled: 1-line block ×3, first 2 shown]
	s_mov_b32 s6, s34
	s_mov_b32 s7, s33
	s_mov_b64 s[4:5], s[28:29]
	s_mov_b32 s8, 0
.LBB839_6:
	s_andn2_b32 vcc_lo, exec_lo, s8
	s_cbranch_vccnz .LBB839_8
; %bb.7:
	v_lshlrev_b32_e32 v3, 20, v2
	v_lshlrev_b32_e32 v4, 10, v1
	s_mov_b64 s[10:11], src_shared_base
	v_mov_b32_e32 v40, v0
	v_mov_b32_e32 v41, v1
	;; [unrolled: 1-line block ×3, first 2 shown]
	v_or3_b32 v31, v0, v4, v3
	v_mov_b32_e32 v0, s40
	v_mov_b32_e32 v42, v2
	;; [unrolled: 1-line block ×14, first 2 shown]
	s_add_u32 s8, s4, 0x50
	s_addc_u32 s9, s5, 0
	s_getpc_b64 s[14:15]
	s_add_u32 s14, s14, _ZN7rocprim17ROCPRIM_400000_NS6detail26segmented_warp_sort_helperINS1_20WarpSortHelperConfigILj16ELj8ELj256EEEllLi256ELb0EvE4sortIPKlPlS8_S9_EEvT_T0_T1_T2_jjjjRNS5_12storage_typeE@rel32@lo+4
	s_addc_u32 s15, s15, _ZN7rocprim17ROCPRIM_400000_NS6detail26segmented_warp_sort_helperINS1_20WarpSortHelperConfigILj16ELj8ELj256EEEllLi256ELb0EvE4sortIPKlPlS8_S9_EEvT_T0_T1_T2_jjjjRNS5_12storage_typeE@rel32@hi+12
	s_mov_b32 s12, s6
	s_mov_b32 s13, s7
	s_mov_b64 s[28:29], s[4:5]
	s_mov_b32 s34, s7
	s_mov_b32 s33, s6
	s_swappc_b64 s[30:31], s[14:15]
	v_mov_b32_e32 v1, v41
	v_mov_b32_e32 v2, v42
	;; [unrolled: 1-line block ×3, first 2 shown]
	s_mov_b32 s6, s33
	s_mov_b32 s7, s34
	s_mov_b64 s[4:5], s[28:29]
.LBB839_8:
	s_or_b32 exec_lo, exec_lo, s27
	s_mov_b32 s8, 0
.LBB839_9:
	s_andn2_b32 vcc_lo, exec_lo, s8
	s_cbranch_vccnz .LBB839_14
; %bb.10:
	v_cndmask_b32_e64 v3, 0, 1, s55
	s_and_b32 s8, s52, 1
	v_lshlrev_b32_e32 v41, 20, v2
	v_lshlrev_b32_e32 v42, 10, v1
	v_cmp_ne_u32_e32 vcc_lo, s8, v3
	s_mov_b32 s8, -1
	s_cbranch_vccnz .LBB839_12
; %bb.11:
	s_mov_b64 s[10:11], src_shared_base
	v_or3_b32 v31, v0, v42, v41
	v_mov_b32_e32 v40, v0
	v_mov_b32_e32 v0, s40
	;; [unrolled: 1-line block ×17, first 2 shown]
	s_add_u32 s8, s4, 0x50
	s_addc_u32 s9, s5, 0
	s_getpc_b64 s[14:15]
	s_add_u32 s14, s14, _ZN7rocprim17ROCPRIM_400000_NS6detail40segmented_radix_sort_single_block_helperIllLj256ELj16ELb0EE4sortIPKlPlS6_S7_EEbT_T0_T1_T2_jjjjRNS3_12storage_typeE@rel32@lo+4
	s_addc_u32 s15, s15, _ZN7rocprim17ROCPRIM_400000_NS6detail40segmented_radix_sort_single_block_helperIllLj256ELj16ELb0EE4sortIPKlPlS6_S7_EEbT_T0_T1_T2_jjjjRNS3_12storage_typeE@rel32@hi+12
	s_mov_b32 s12, s6
	s_mov_b32 s13, s7
	s_mov_b64 s[28:29], s[4:5]
	s_mov_b32 s27, s7
	s_mov_b32 s33, s6
	s_swappc_b64 s[30:31], s[14:15]
	v_mov_b32_e32 v1, v43
	v_mov_b32_e32 v2, v44
	;; [unrolled: 1-line block ×3, first 2 shown]
	s_mov_b32 s6, s33
	s_mov_b32 s7, s27
	s_mov_b64 s[4:5], s[28:29]
	s_mov_b32 s8, 0
.LBB839_12:
	s_andn2_b32 vcc_lo, exec_lo, s8
	s_cbranch_vccnz .LBB839_14
; %bb.13:
	s_mov_b64 s[10:11], src_shared_base
	v_or3_b32 v31, v0, v42, v41
	v_mov_b32_e32 v40, v0
	v_mov_b32_e32 v0, s40
	v_mov_b32_e32 v41, v1
	v_mov_b32_e32 v1, s41
	v_mov_b32_e32 v42, v2
	v_mov_b32_e32 v2, s42
	v_mov_b32_e32 v3, s43
	v_mov_b32_e32 v4, s46
	v_mov_b32_e32 v5, s47
	v_mov_b32_e32 v6, s48
	v_mov_b32_e32 v7, s49
	v_mov_b32_e32 v8, s60
	v_mov_b32_e32 v9, s61
	v_mov_b32_e32 v10, s53
	v_mov_b32_e32 v11, s54
	v_mov_b32_e32 v12, 0
	v_mov_b32_e32 v13, s11
	s_add_u32 s8, s4, 0x50
	s_addc_u32 s9, s5, 0
	s_getpc_b64 s[14:15]
	s_add_u32 s14, s14, _ZN7rocprim17ROCPRIM_400000_NS6detail40segmented_radix_sort_single_block_helperIllLj256ELj16ELb0EE4sortIPKlPlS6_S7_EEbT_T0_T1_T2_jjjjRNS3_12storage_typeE@rel32@lo+4
	s_addc_u32 s15, s15, _ZN7rocprim17ROCPRIM_400000_NS6detail40segmented_radix_sort_single_block_helperIllLj256ELj16ELb0EE4sortIPKlPlS6_S7_EEbT_T0_T1_T2_jjjjRNS3_12storage_typeE@rel32@hi+12
	s_mov_b32 s12, s6
	s_mov_b32 s13, s7
	s_mov_b64 s[28:29], s[4:5]
	s_mov_b32 s33, s7
	s_mov_b32 s27, s6
	s_swappc_b64 s[30:31], s[14:15]
	v_mov_b32_e32 v1, v41
	v_mov_b32_e32 v2, v42
	;; [unrolled: 1-line block ×3, first 2 shown]
	s_mov_b32 s6, s27
	s_mov_b32 s7, s33
	s_mov_b64 s[4:5], s[28:29]
.LBB839_14:
	s_mov_b32 s8, 0
.LBB839_15:
	s_andn2_b32 vcc_lo, exec_lo, s8
	s_cbranch_vccnz .LBB839_1198
; %bb.16:
	s_cmp_ge_u32 s53, s54
	s_cbranch_scc1 .LBB839_1198
; %bb.17:
	v_and_b32_e32 v6, 0xe0, v0
	v_and_b32_e32 v5, 3, v0
	v_lshlrev_b32_e32 v75, 2, v0
	v_lshlrev_b32_e32 v3, 3, v0
	v_lshrrev_b32_e32 v8, 3, v0
	v_min_u32_e32 v7, 0x60, v6
	v_lshlrev_b32_e32 v93, 2, v5
	v_mad_u32_u24 v95, v0, 12, v75
	v_or_b32_e32 v76, 0x100, v0
	v_or_b32_e32 v79, 0x200, v0
	;; [unrolled: 1-line block ×3, first 2 shown]
	v_lshlrev_b32_e32 v7, 4, v0
	v_add_nc_u32_e32 v100, v95, v75
	v_or_b32_e32 v80, 0x300, v0
	v_or_b32_e32 v81, 0x400, v0
	v_cmp_eq_u32_e64 s9, v0, v5
	v_and_b32_e32 v99, 0xe00, v7
	v_or_b32_e32 v5, 31, v6
	v_sub_nc_u32_e32 v101, v100, v7
	v_or_b32_e32 v82, 0x500, v0
	v_and_b32_e32 v94, 28, v8
	v_lshlrev_b32_e32 v6, 3, v99
	s_add_u32 s58, s4, 0x50
	v_cmp_eq_u32_e64 s4, v0, v5
	v_add_nc_u32_e32 v5, 1, v0
	v_lshl_add_u32 v103, v0, 5, v101
	v_add_co_u32 v104, s15, s50, v6
	v_add_co_ci_u32_e64 v105, null, s51, 0, s15
	v_add_co_u32 v106, s15, s44, v6
	v_add_co_ci_u32_e64 v107, null, s45, 0, s15
	;; [unrolled: 2-line block ×6, first 2 shown]
	v_add_co_u32 v117, s15, s46, v6
	v_add_co_u32 v77, s8, s44, v3
	v_add_co_ci_u32_e64 v118, null, s47, 0, s15
	v_add_co_u32 v119, s15, s40, v6
	v_mov_b32_e32 v4, 0
	v_add_co_ci_u32_e64 v78, null, s45, 0, s8
	v_or_b32_e32 v83, 0x600, v0
	v_or_b32_e32 v84, 0x700, v0
	;; [unrolled: 1-line block ×10, first 2 shown]
	v_cmp_gt_u32_e64 s8, 0x80, v0
	v_or_b32_e32 v96, 0x8200, v94
	v_cmp_gt_u32_e64 s10, 4, v0
	v_add_nc_u32_e32 v97, 0x8200, v75
	v_cmp_lt_u32_e64 s11, 31, v0
	v_add_nc_u32_e32 v98, 0x81fc, v94
	v_cmp_gt_u32_e64 s12, 8, v0
	v_cmp_eq_u32_e64 s13, 0, v0
	v_mul_u32_u24_e32 v102, 36, v5
	v_cmp_ne_u32_e64 s14, 0x80, v5
	v_mad_i32_i24 v108, 0xffffffe4, v0, v103
	v_add_co_ci_u32_e64 v120, null, s41, 0, s15
	v_mov_b32_e32 v121, 1
	v_lshlrev_b32_e32 v122, 3, v0
	v_lshlrev_b32_e32 v123, 3, v76
	;; [unrolled: 1-line block ×6, first 2 shown]
	v_mbcnt_lo_u32_b32 v128, -1, 0
	v_mov_b32_e32 v5, -1
	v_bfrev_b32_e32 v6, -2
	s_mov_b32 s57, 0
	s_addc_u32 s59, s5, 0
	s_mov_b32 s46, s53
	s_mov_b32 s47, s53
	s_branch .LBB839_20
.LBB839_18:                             ;   in Loop: Header=BB839_20 Depth=1
	s_waitcnt lgkmcnt(0)
	s_barrier
.LBB839_19:                             ;   in Loop: Header=BB839_20 Depth=1
	s_add_i32 s47, s47, 7
	buffer_gl0_inv
	s_cmp_ge_u32 s47, s54
	s_cbranch_scc1 .LBB839_1198
.LBB839_20:                             ; =>This Loop Header: Depth=1
                                        ;     Child Loop BB839_24 Depth 2
                                        ;     Child Loop BB839_104 Depth 2
	;; [unrolled: 1-line block ×8, first 2 shown]
	s_sub_i32 s5, s54, s47
	s_xor_b32 s55, s55, -1
	s_min_u32 s52, s5, 7
	s_cmp_lg_u32 s47, s53
	s_mov_b32 s5, -1
	ds_write2st64_b32 v75, v4, v4 offset1:4
	s_waitcnt lgkmcnt(0)
	s_waitcnt_vscnt null, 0x0
	s_cbranch_scc0 .LBB839_610
; %bb.21:                               ;   in Loop: Header=BB839_20 Depth=1
	s_lshl_b32 s5, -1, s52
	s_and_b32 vcc_lo, exec_lo, s55
	s_not_b32 s63, s5
	s_mov_b32 s5, -1
	s_cbranch_vccz .LBB839_315
; %bb.22:                               ;   in Loop: Header=BB839_20 Depth=1
	s_mov_b32 s5, s62
	s_mov_b32 s56, s60
	s_barrier
	buffer_gl0_inv
                                        ; implicit-def: $vgpr7_vgpr8
                                        ; implicit-def: $vgpr9_vgpr10
                                        ; implicit-def: $vgpr11_vgpr12
                                        ; implicit-def: $vgpr13_vgpr14
                                        ; implicit-def: $vgpr15_vgpr16
                                        ; implicit-def: $vgpr17_vgpr18
                                        ; implicit-def: $vgpr19_vgpr20
                                        ; implicit-def: $vgpr21_vgpr22
                                        ; implicit-def: $vgpr23_vgpr24
                                        ; implicit-def: $vgpr25_vgpr26
                                        ; implicit-def: $vgpr27_vgpr28
                                        ; implicit-def: $vgpr29_vgpr30
                                        ; implicit-def: $vgpr31_vgpr32
                                        ; implicit-def: $vgpr33_vgpr34
                                        ; implicit-def: $vgpr35_vgpr36
                                        ; implicit-def: $vgpr37_vgpr38
	s_branch .LBB839_24
.LBB839_23:                             ;   in Loop: Header=BB839_24 Depth=2
	s_or_b32 exec_lo, exec_lo, s16
	s_addk_i32 s5, 0xf000
	s_cmp_ge_u32 s15, s61
	s_mov_b32 s56, s15
	s_cbranch_scc1 .LBB839_92
.LBB839_24:                             ;   Parent Loop BB839_20 Depth=1
                                        ; =>  This Inner Loop Header: Depth=2
	s_add_i32 s15, s56, 0x1000
	s_mov_b32 s16, -1
	s_cmp_gt_u32 s15, s61
                                        ; implicit-def: $vgpr49_vgpr50
                                        ; implicit-def: $vgpr53_vgpr54
                                        ; implicit-def: $vgpr57_vgpr58
                                        ; implicit-def: $vgpr39_vgpr40
                                        ; implicit-def: $vgpr41_vgpr42
                                        ; implicit-def: $vgpr43_vgpr44
                                        ; implicit-def: $vgpr45_vgpr46
                                        ; implicit-def: $vgpr47_vgpr48
                                        ; implicit-def: $vgpr51_vgpr52
                                        ; implicit-def: $vgpr55_vgpr56
                                        ; implicit-def: $vgpr59_vgpr60
                                        ; implicit-def: $vgpr61_vgpr62
                                        ; implicit-def: $vgpr63_vgpr64
                                        ; implicit-def: $vgpr65_vgpr66
                                        ; implicit-def: $vgpr67_vgpr68
                                        ; implicit-def: $vgpr69_vgpr70
	s_cbranch_scc1 .LBB839_26
; %bb.25:                               ;   in Loop: Header=BB839_24 Depth=2
	s_lshl_b64 s[16:17], s[56:57], 3
	v_add_co_u32 v49, vcc_lo, v77, s16
	v_add_co_ci_u32_e64 v50, null, s17, v78, vcc_lo
	s_mov_b32 s16, 0
	v_add_co_u32 v57, vcc_lo, v49, 0x1000
	v_add_co_ci_u32_e64 v58, null, 0, v50, vcc_lo
	v_add_co_u32 v41, vcc_lo, v49, 0x2000
	v_add_co_ci_u32_e64 v42, null, 0, v50, vcc_lo
	;; [unrolled: 2-line block ×5, first 2 shown]
	s_clause 0x7
	global_load_dwordx2 v[39:40], v[41:42], off offset:-2048
	global_load_dwordx2 v[41:42], v[41:42], off
	global_load_dwordx2 v[43:44], v[45:46], off offset:-2048
	global_load_dwordx2 v[45:46], v[45:46], off
	;; [unrolled: 2-line block ×4, first 2 shown]
	v_add_co_u32 v53, vcc_lo, v49, 0x6000
	v_add_co_ci_u32_e64 v54, null, 0, v50, vcc_lo
	v_add_co_u32 v67, vcc_lo, v49, 0x7000
	v_add_co_ci_u32_e64 v68, null, 0, v50, vcc_lo
	;; [unrolled: 2-line block ×3, first 2 shown]
	s_clause 0x7
	global_load_dwordx2 v[61:62], v[53:54], off offset:-2048
	global_load_dwordx2 v[63:64], v[53:54], off
	global_load_dwordx2 v[65:66], v[67:68], off offset:-2048
	global_load_dwordx2 v[67:68], v[67:68], off
	global_load_dwordx2 v[49:50], v[49:50], off
	global_load_dwordx2 v[53:54], v[57:58], off offset:-2048
	global_load_dwordx2 v[57:58], v[57:58], off
	global_load_dwordx2 v[69:70], v[69:70], off
.LBB839_26:                             ;   in Loop: Header=BB839_24 Depth=2
	s_andn2_b32 vcc_lo, exec_lo, s16
	s_movk_i32 s16, 0x1000
	s_cbranch_vccnz .LBB839_45
; %bb.27:                               ;   in Loop: Header=BB839_24 Depth=2
	s_lshl_b64 s[16:17], s[56:57], 3
	s_mov_b32 s18, exec_lo
	s_add_u32 s16, s44, s16
	s_addc_u32 s17, s45, s17
	v_cmpx_gt_u32_e64 s5, v0
	s_cbranch_execnz .LBB839_77
; %bb.28:                               ;   in Loop: Header=BB839_24 Depth=2
	s_or_b32 exec_lo, exec_lo, s18
	s_mov_b32 s18, exec_lo
	v_cmpx_gt_u32_e64 s5, v76
	s_cbranch_execnz .LBB839_78
.LBB839_29:                             ;   in Loop: Header=BB839_24 Depth=2
	s_or_b32 exec_lo, exec_lo, s18
	s_mov_b32 s18, exec_lo
	v_cmpx_gt_u32_e64 s5, v79
	s_cbranch_execnz .LBB839_79
.LBB839_30:                             ;   in Loop: Header=BB839_24 Depth=2
	s_or_b32 exec_lo, exec_lo, s18
	s_mov_b32 s18, exec_lo
	v_cmpx_gt_u32_e64 s5, v80
	s_cbranch_execnz .LBB839_80
.LBB839_31:                             ;   in Loop: Header=BB839_24 Depth=2
	s_or_b32 exec_lo, exec_lo, s18
	s_mov_b32 s18, exec_lo
	v_cmpx_gt_u32_e64 s5, v81
	s_cbranch_execnz .LBB839_81
.LBB839_32:                             ;   in Loop: Header=BB839_24 Depth=2
	s_or_b32 exec_lo, exec_lo, s18
	s_mov_b32 s18, exec_lo
	v_cmpx_gt_u32_e64 s5, v82
	s_cbranch_execnz .LBB839_82
.LBB839_33:                             ;   in Loop: Header=BB839_24 Depth=2
	s_or_b32 exec_lo, exec_lo, s18
	s_mov_b32 s18, exec_lo
	v_cmpx_gt_u32_e64 s5, v83
	s_cbranch_execnz .LBB839_83
.LBB839_34:                             ;   in Loop: Header=BB839_24 Depth=2
	s_or_b32 exec_lo, exec_lo, s18
	s_mov_b32 s18, exec_lo
	v_cmpx_gt_u32_e64 s5, v84
	s_cbranch_execnz .LBB839_84
.LBB839_35:                             ;   in Loop: Header=BB839_24 Depth=2
	s_or_b32 exec_lo, exec_lo, s18
	s_mov_b32 s18, exec_lo
	v_cmpx_gt_u32_e64 s5, v85
	s_cbranch_execnz .LBB839_85
.LBB839_36:                             ;   in Loop: Header=BB839_24 Depth=2
	s_or_b32 exec_lo, exec_lo, s18
	s_mov_b32 s18, exec_lo
	v_cmpx_gt_u32_e64 s5, v86
	s_cbranch_execnz .LBB839_86
.LBB839_37:                             ;   in Loop: Header=BB839_24 Depth=2
	s_or_b32 exec_lo, exec_lo, s18
	s_mov_b32 s18, exec_lo
	v_cmpx_gt_u32_e64 s5, v87
	s_cbranch_execnz .LBB839_87
.LBB839_38:                             ;   in Loop: Header=BB839_24 Depth=2
	s_or_b32 exec_lo, exec_lo, s18
	s_mov_b32 s18, exec_lo
	v_cmpx_gt_u32_e64 s5, v88
	s_cbranch_execnz .LBB839_88
.LBB839_39:                             ;   in Loop: Header=BB839_24 Depth=2
	s_or_b32 exec_lo, exec_lo, s18
	s_mov_b32 s18, exec_lo
	v_cmpx_gt_u32_e64 s5, v89
	s_cbranch_execnz .LBB839_89
.LBB839_40:                             ;   in Loop: Header=BB839_24 Depth=2
	s_or_b32 exec_lo, exec_lo, s18
	s_mov_b32 s18, exec_lo
	v_cmpx_gt_u32_e64 s5, v90
	s_cbranch_execnz .LBB839_90
.LBB839_41:                             ;   in Loop: Header=BB839_24 Depth=2
	s_or_b32 exec_lo, exec_lo, s18
	s_mov_b32 s18, exec_lo
	v_cmpx_gt_u32_e64 s5, v91
	s_cbranch_execnz .LBB839_91
.LBB839_42:                             ;   in Loop: Header=BB839_24 Depth=2
	s_or_b32 exec_lo, exec_lo, s18
	s_mov_b32 s18, exec_lo
	v_cmpx_gt_u32_e64 s5, v92
	s_cbranch_execz .LBB839_44
.LBB839_43:                             ;   in Loop: Header=BB839_24 Depth=2
	v_lshlrev_b32_e32 v3, 3, v92
	global_load_dwordx2 v[7:8], v3, s[16:17]
.LBB839_44:                             ;   in Loop: Header=BB839_24 Depth=2
	s_or_b32 exec_lo, exec_lo, s18
	s_waitcnt vmcnt(0)
	v_mov_b32_e32 v50, v38
	v_mov_b32_e32 v54, v36
	;; [unrolled: 1-line block ×32, first 2 shown]
	s_mov_b32 s16, s5
.LBB839_45:                             ;   in Loop: Header=BB839_24 Depth=2
	s_waitcnt vmcnt(0)
	v_mov_b32_e32 v7, v69
	v_mov_b32_e32 v9, v67
	;; [unrolled: 1-line block ×32, first 2 shown]
	s_mov_b32 s17, exec_lo
	v_cmpx_gt_u32_e64 s16, v0
	s_cbranch_execnz .LBB839_61
; %bb.46:                               ;   in Loop: Header=BB839_24 Depth=2
	s_or_b32 exec_lo, exec_lo, s17
	s_mov_b32 s17, exec_lo
	v_cmpx_gt_u32_e64 s16, v76
	s_cbranch_execnz .LBB839_62
.LBB839_47:                             ;   in Loop: Header=BB839_24 Depth=2
	s_or_b32 exec_lo, exec_lo, s17
	s_mov_b32 s17, exec_lo
	v_cmpx_gt_u32_e64 s16, v79
	s_cbranch_execnz .LBB839_63
.LBB839_48:                             ;   in Loop: Header=BB839_24 Depth=2
	s_or_b32 exec_lo, exec_lo, s17
	s_mov_b32 s17, exec_lo
	v_cmpx_gt_u32_e64 s16, v80
	s_cbranch_execnz .LBB839_64
.LBB839_49:                             ;   in Loop: Header=BB839_24 Depth=2
	s_or_b32 exec_lo, exec_lo, s17
	s_mov_b32 s17, exec_lo
	v_cmpx_gt_u32_e64 s16, v81
	s_cbranch_execnz .LBB839_65
.LBB839_50:                             ;   in Loop: Header=BB839_24 Depth=2
	s_or_b32 exec_lo, exec_lo, s17
	s_mov_b32 s17, exec_lo
	v_cmpx_gt_u32_e64 s16, v82
	s_cbranch_execnz .LBB839_66
.LBB839_51:                             ;   in Loop: Header=BB839_24 Depth=2
	s_or_b32 exec_lo, exec_lo, s17
	s_mov_b32 s17, exec_lo
	v_cmpx_gt_u32_e64 s16, v83
	s_cbranch_execnz .LBB839_67
.LBB839_52:                             ;   in Loop: Header=BB839_24 Depth=2
	s_or_b32 exec_lo, exec_lo, s17
	s_mov_b32 s17, exec_lo
	v_cmpx_gt_u32_e64 s16, v84
	s_cbranch_execnz .LBB839_68
.LBB839_53:                             ;   in Loop: Header=BB839_24 Depth=2
	s_or_b32 exec_lo, exec_lo, s17
	s_mov_b32 s17, exec_lo
	v_cmpx_gt_u32_e64 s16, v85
	s_cbranch_execnz .LBB839_69
.LBB839_54:                             ;   in Loop: Header=BB839_24 Depth=2
	s_or_b32 exec_lo, exec_lo, s17
	s_mov_b32 s17, exec_lo
	v_cmpx_gt_u32_e64 s16, v86
	s_cbranch_execnz .LBB839_70
.LBB839_55:                             ;   in Loop: Header=BB839_24 Depth=2
	s_or_b32 exec_lo, exec_lo, s17
	s_mov_b32 s17, exec_lo
	v_cmpx_gt_u32_e64 s16, v87
	s_cbranch_execnz .LBB839_71
.LBB839_56:                             ;   in Loop: Header=BB839_24 Depth=2
	s_or_b32 exec_lo, exec_lo, s17
	s_mov_b32 s17, exec_lo
	v_cmpx_gt_u32_e64 s16, v88
	s_cbranch_execnz .LBB839_72
.LBB839_57:                             ;   in Loop: Header=BB839_24 Depth=2
	s_or_b32 exec_lo, exec_lo, s17
	s_mov_b32 s17, exec_lo
	v_cmpx_gt_u32_e64 s16, v89
	s_cbranch_execnz .LBB839_73
.LBB839_58:                             ;   in Loop: Header=BB839_24 Depth=2
	s_or_b32 exec_lo, exec_lo, s17
	s_mov_b32 s17, exec_lo
	v_cmpx_gt_u32_e64 s16, v90
	s_cbranch_execnz .LBB839_74
.LBB839_59:                             ;   in Loop: Header=BB839_24 Depth=2
	s_or_b32 exec_lo, exec_lo, s17
	s_mov_b32 s17, exec_lo
	v_cmpx_gt_u32_e64 s16, v91
	s_cbranch_execnz .LBB839_75
.LBB839_60:                             ;   in Loop: Header=BB839_24 Depth=2
	s_or_b32 exec_lo, exec_lo, s17
	v_cmp_gt_u32_e32 vcc_lo, s16, v92
	s_and_saveexec_b32 s16, vcc_lo
	s_cbranch_execz .LBB839_23
	s_branch .LBB839_76
.LBB839_61:                             ;   in Loop: Header=BB839_24 Depth=2
	v_xor_b32_e32 v40, 0x80000000, v38
	v_mov_b32_e32 v39, v37
	v_lshrrev_b64 v[39:40], s47, v[39:40]
	v_and_b32_e32 v3, s63, v39
	v_lshl_or_b32 v3, v3, 4, v93
	ds_add_u32 v3, v121
	s_or_b32 exec_lo, exec_lo, s17
	s_mov_b32 s17, exec_lo
	v_cmpx_gt_u32_e64 s16, v76
	s_cbranch_execz .LBB839_47
.LBB839_62:                             ;   in Loop: Header=BB839_24 Depth=2
	v_xor_b32_e32 v40, 0x80000000, v36
	v_mov_b32_e32 v39, v35
	v_lshrrev_b64 v[39:40], s47, v[39:40]
	v_and_b32_e32 v3, s63, v39
	v_lshl_or_b32 v3, v3, 4, v93
	ds_add_u32 v3, v121
	s_or_b32 exec_lo, exec_lo, s17
	s_mov_b32 s17, exec_lo
	v_cmpx_gt_u32_e64 s16, v79
	s_cbranch_execz .LBB839_48
.LBB839_63:                             ;   in Loop: Header=BB839_24 Depth=2
	v_xor_b32_e32 v40, 0x80000000, v34
	v_mov_b32_e32 v39, v33
	v_lshrrev_b64 v[39:40], s47, v[39:40]
	v_and_b32_e32 v3, s63, v39
	v_lshl_or_b32 v3, v3, 4, v93
	ds_add_u32 v3, v121
	s_or_b32 exec_lo, exec_lo, s17
	s_mov_b32 s17, exec_lo
	v_cmpx_gt_u32_e64 s16, v80
	s_cbranch_execz .LBB839_49
.LBB839_64:                             ;   in Loop: Header=BB839_24 Depth=2
	v_xor_b32_e32 v40, 0x80000000, v32
	v_mov_b32_e32 v39, v31
	v_lshrrev_b64 v[39:40], s47, v[39:40]
	v_and_b32_e32 v3, s63, v39
	v_lshl_or_b32 v3, v3, 4, v93
	ds_add_u32 v3, v121
	s_or_b32 exec_lo, exec_lo, s17
	s_mov_b32 s17, exec_lo
	v_cmpx_gt_u32_e64 s16, v81
	s_cbranch_execz .LBB839_50
.LBB839_65:                             ;   in Loop: Header=BB839_24 Depth=2
	v_xor_b32_e32 v40, 0x80000000, v30
	v_mov_b32_e32 v39, v29
	v_lshrrev_b64 v[39:40], s47, v[39:40]
	v_and_b32_e32 v3, s63, v39
	v_lshl_or_b32 v3, v3, 4, v93
	ds_add_u32 v3, v121
	s_or_b32 exec_lo, exec_lo, s17
	s_mov_b32 s17, exec_lo
	v_cmpx_gt_u32_e64 s16, v82
	s_cbranch_execz .LBB839_51
.LBB839_66:                             ;   in Loop: Header=BB839_24 Depth=2
	v_xor_b32_e32 v40, 0x80000000, v28
	v_mov_b32_e32 v39, v27
	v_lshrrev_b64 v[39:40], s47, v[39:40]
	v_and_b32_e32 v3, s63, v39
	v_lshl_or_b32 v3, v3, 4, v93
	ds_add_u32 v3, v121
	s_or_b32 exec_lo, exec_lo, s17
	s_mov_b32 s17, exec_lo
	v_cmpx_gt_u32_e64 s16, v83
	s_cbranch_execz .LBB839_52
.LBB839_67:                             ;   in Loop: Header=BB839_24 Depth=2
	v_xor_b32_e32 v40, 0x80000000, v26
	v_mov_b32_e32 v39, v25
	v_lshrrev_b64 v[39:40], s47, v[39:40]
	v_and_b32_e32 v3, s63, v39
	v_lshl_or_b32 v3, v3, 4, v93
	ds_add_u32 v3, v121
	s_or_b32 exec_lo, exec_lo, s17
	s_mov_b32 s17, exec_lo
	v_cmpx_gt_u32_e64 s16, v84
	s_cbranch_execz .LBB839_53
.LBB839_68:                             ;   in Loop: Header=BB839_24 Depth=2
	v_xor_b32_e32 v40, 0x80000000, v24
	v_mov_b32_e32 v39, v23
	v_lshrrev_b64 v[39:40], s47, v[39:40]
	v_and_b32_e32 v3, s63, v39
	v_lshl_or_b32 v3, v3, 4, v93
	ds_add_u32 v3, v121
	s_or_b32 exec_lo, exec_lo, s17
	s_mov_b32 s17, exec_lo
	v_cmpx_gt_u32_e64 s16, v85
	s_cbranch_execz .LBB839_54
.LBB839_69:                             ;   in Loop: Header=BB839_24 Depth=2
	v_xor_b32_e32 v40, 0x80000000, v22
	v_mov_b32_e32 v39, v21
	v_lshrrev_b64 v[39:40], s47, v[39:40]
	v_and_b32_e32 v3, s63, v39
	v_lshl_or_b32 v3, v3, 4, v93
	ds_add_u32 v3, v121
	s_or_b32 exec_lo, exec_lo, s17
	s_mov_b32 s17, exec_lo
	v_cmpx_gt_u32_e64 s16, v86
	s_cbranch_execz .LBB839_55
.LBB839_70:                             ;   in Loop: Header=BB839_24 Depth=2
	v_xor_b32_e32 v40, 0x80000000, v20
	v_mov_b32_e32 v39, v19
	v_lshrrev_b64 v[39:40], s47, v[39:40]
	v_and_b32_e32 v3, s63, v39
	v_lshl_or_b32 v3, v3, 4, v93
	ds_add_u32 v3, v121
	s_or_b32 exec_lo, exec_lo, s17
	s_mov_b32 s17, exec_lo
	v_cmpx_gt_u32_e64 s16, v87
	s_cbranch_execz .LBB839_56
.LBB839_71:                             ;   in Loop: Header=BB839_24 Depth=2
	v_xor_b32_e32 v40, 0x80000000, v18
	v_mov_b32_e32 v39, v17
	v_lshrrev_b64 v[39:40], s47, v[39:40]
	v_and_b32_e32 v3, s63, v39
	v_lshl_or_b32 v3, v3, 4, v93
	ds_add_u32 v3, v121
	s_or_b32 exec_lo, exec_lo, s17
	s_mov_b32 s17, exec_lo
	v_cmpx_gt_u32_e64 s16, v88
	s_cbranch_execz .LBB839_57
.LBB839_72:                             ;   in Loop: Header=BB839_24 Depth=2
	v_xor_b32_e32 v40, 0x80000000, v16
	v_mov_b32_e32 v39, v15
	v_lshrrev_b64 v[39:40], s47, v[39:40]
	v_and_b32_e32 v3, s63, v39
	v_lshl_or_b32 v3, v3, 4, v93
	ds_add_u32 v3, v121
	s_or_b32 exec_lo, exec_lo, s17
	s_mov_b32 s17, exec_lo
	v_cmpx_gt_u32_e64 s16, v89
	s_cbranch_execz .LBB839_58
.LBB839_73:                             ;   in Loop: Header=BB839_24 Depth=2
	v_xor_b32_e32 v40, 0x80000000, v14
	v_mov_b32_e32 v39, v13
	v_lshrrev_b64 v[39:40], s47, v[39:40]
	v_and_b32_e32 v3, s63, v39
	v_lshl_or_b32 v3, v3, 4, v93
	ds_add_u32 v3, v121
	s_or_b32 exec_lo, exec_lo, s17
	s_mov_b32 s17, exec_lo
	v_cmpx_gt_u32_e64 s16, v90
	s_cbranch_execz .LBB839_59
.LBB839_74:                             ;   in Loop: Header=BB839_24 Depth=2
	v_xor_b32_e32 v40, 0x80000000, v12
	v_mov_b32_e32 v39, v11
	v_lshrrev_b64 v[39:40], s47, v[39:40]
	v_and_b32_e32 v3, s63, v39
	v_lshl_or_b32 v3, v3, 4, v93
	ds_add_u32 v3, v121
	s_or_b32 exec_lo, exec_lo, s17
	s_mov_b32 s17, exec_lo
	v_cmpx_gt_u32_e64 s16, v91
	s_cbranch_execz .LBB839_60
.LBB839_75:                             ;   in Loop: Header=BB839_24 Depth=2
	v_xor_b32_e32 v40, 0x80000000, v10
	v_mov_b32_e32 v39, v9
	v_lshrrev_b64 v[39:40], s47, v[39:40]
	v_and_b32_e32 v3, s63, v39
	v_lshl_or_b32 v3, v3, 4, v93
	ds_add_u32 v3, v121
	s_or_b32 exec_lo, exec_lo, s17
	v_cmp_gt_u32_e32 vcc_lo, s16, v92
	s_and_saveexec_b32 s16, vcc_lo
	s_cbranch_execz .LBB839_23
.LBB839_76:                             ;   in Loop: Header=BB839_24 Depth=2
	v_xor_b32_e32 v40, 0x80000000, v8
	v_mov_b32_e32 v39, v7
	v_lshrrev_b64 v[39:40], s47, v[39:40]
	v_and_b32_e32 v3, s63, v39
	v_lshl_or_b32 v3, v3, 4, v93
	ds_add_u32 v3, v121
	s_branch .LBB839_23
.LBB839_77:                             ;   in Loop: Header=BB839_24 Depth=2
	global_load_dwordx2 v[37:38], v122, s[16:17]
	s_or_b32 exec_lo, exec_lo, s18
	s_mov_b32 s18, exec_lo
	v_cmpx_gt_u32_e64 s5, v76
	s_cbranch_execz .LBB839_29
.LBB839_78:                             ;   in Loop: Header=BB839_24 Depth=2
	global_load_dwordx2 v[35:36], v123, s[16:17]
	s_or_b32 exec_lo, exec_lo, s18
	s_mov_b32 s18, exec_lo
	v_cmpx_gt_u32_e64 s5, v79
	s_cbranch_execz .LBB839_30
.LBB839_79:                             ;   in Loop: Header=BB839_24 Depth=2
	global_load_dwordx2 v[33:34], v124, s[16:17]
	s_or_b32 exec_lo, exec_lo, s18
	s_mov_b32 s18, exec_lo
	v_cmpx_gt_u32_e64 s5, v80
	s_cbranch_execz .LBB839_31
.LBB839_80:                             ;   in Loop: Header=BB839_24 Depth=2
	global_load_dwordx2 v[31:32], v125, s[16:17]
	s_or_b32 exec_lo, exec_lo, s18
	s_mov_b32 s18, exec_lo
	v_cmpx_gt_u32_e64 s5, v81
	s_cbranch_execz .LBB839_32
.LBB839_81:                             ;   in Loop: Header=BB839_24 Depth=2
	global_load_dwordx2 v[29:30], v126, s[16:17]
	s_or_b32 exec_lo, exec_lo, s18
	s_mov_b32 s18, exec_lo
	v_cmpx_gt_u32_e64 s5, v82
	s_cbranch_execz .LBB839_33
.LBB839_82:                             ;   in Loop: Header=BB839_24 Depth=2
	global_load_dwordx2 v[27:28], v127, s[16:17]
	s_or_b32 exec_lo, exec_lo, s18
	s_mov_b32 s18, exec_lo
	v_cmpx_gt_u32_e64 s5, v83
	s_cbranch_execz .LBB839_34
.LBB839_83:                             ;   in Loop: Header=BB839_24 Depth=2
	v_lshlrev_b32_e32 v3, 3, v83
	global_load_dwordx2 v[25:26], v3, s[16:17]
	s_or_b32 exec_lo, exec_lo, s18
	s_mov_b32 s18, exec_lo
	v_cmpx_gt_u32_e64 s5, v84
	s_cbranch_execz .LBB839_35
.LBB839_84:                             ;   in Loop: Header=BB839_24 Depth=2
	v_lshlrev_b32_e32 v3, 3, v84
	global_load_dwordx2 v[23:24], v3, s[16:17]
	s_or_b32 exec_lo, exec_lo, s18
	s_mov_b32 s18, exec_lo
	v_cmpx_gt_u32_e64 s5, v85
	s_cbranch_execz .LBB839_36
.LBB839_85:                             ;   in Loop: Header=BB839_24 Depth=2
	v_lshlrev_b32_e32 v3, 3, v85
	global_load_dwordx2 v[21:22], v3, s[16:17]
	s_or_b32 exec_lo, exec_lo, s18
	s_mov_b32 s18, exec_lo
	v_cmpx_gt_u32_e64 s5, v86
	s_cbranch_execz .LBB839_37
.LBB839_86:                             ;   in Loop: Header=BB839_24 Depth=2
	v_lshlrev_b32_e32 v3, 3, v86
	global_load_dwordx2 v[19:20], v3, s[16:17]
	s_or_b32 exec_lo, exec_lo, s18
	s_mov_b32 s18, exec_lo
	v_cmpx_gt_u32_e64 s5, v87
	s_cbranch_execz .LBB839_38
.LBB839_87:                             ;   in Loop: Header=BB839_24 Depth=2
	v_lshlrev_b32_e32 v3, 3, v87
	global_load_dwordx2 v[17:18], v3, s[16:17]
	s_or_b32 exec_lo, exec_lo, s18
	s_mov_b32 s18, exec_lo
	v_cmpx_gt_u32_e64 s5, v88
	s_cbranch_execz .LBB839_39
.LBB839_88:                             ;   in Loop: Header=BB839_24 Depth=2
	v_lshlrev_b32_e32 v3, 3, v88
	global_load_dwordx2 v[15:16], v3, s[16:17]
	s_or_b32 exec_lo, exec_lo, s18
	s_mov_b32 s18, exec_lo
	v_cmpx_gt_u32_e64 s5, v89
	s_cbranch_execz .LBB839_40
.LBB839_89:                             ;   in Loop: Header=BB839_24 Depth=2
	v_lshlrev_b32_e32 v3, 3, v89
	global_load_dwordx2 v[13:14], v3, s[16:17]
	s_or_b32 exec_lo, exec_lo, s18
	s_mov_b32 s18, exec_lo
	v_cmpx_gt_u32_e64 s5, v90
	s_cbranch_execz .LBB839_41
.LBB839_90:                             ;   in Loop: Header=BB839_24 Depth=2
	v_lshlrev_b32_e32 v3, 3, v90
	global_load_dwordx2 v[11:12], v3, s[16:17]
	s_or_b32 exec_lo, exec_lo, s18
	s_mov_b32 s18, exec_lo
	v_cmpx_gt_u32_e64 s5, v91
	s_cbranch_execz .LBB839_42
.LBB839_91:                             ;   in Loop: Header=BB839_24 Depth=2
	v_lshlrev_b32_e32 v3, 3, v91
	global_load_dwordx2 v[9:10], v3, s[16:17]
	s_or_b32 exec_lo, exec_lo, s18
	s_mov_b32 s18, exec_lo
	v_cmpx_gt_u32_e64 s5, v92
	s_cbranch_execnz .LBB839_43
	s_branch .LBB839_44
.LBB839_92:                             ;   in Loop: Header=BB839_20 Depth=1
	v_mov_b32_e32 v3, 0
	s_waitcnt lgkmcnt(0)
	s_barrier
	buffer_gl0_inv
	s_and_saveexec_b32 s5, s8
	s_cbranch_execz .LBB839_94
; %bb.93:                               ;   in Loop: Header=BB839_20 Depth=1
	ds_read2_b64 v[7:10], v95 offset1:1
	s_waitcnt lgkmcnt(0)
	v_add_nc_u32_e32 v3, v8, v7
	v_add3_u32 v3, v3, v9, v10
.LBB839_94:                             ;   in Loop: Header=BB839_20 Depth=1
	s_or_b32 exec_lo, exec_lo, s5
	v_and_b32_e32 v7, 15, v128
	v_mov_b32_dpp v8, v3 row_shr:1 row_mask:0xf bank_mask:0xf
	v_and_b32_e32 v9, 16, v128
	v_cmp_eq_u32_e64 s5, 0, v7
	v_cmp_lt_u32_e64 s15, 1, v7
	v_cmp_lt_u32_e64 s16, 3, v7
	;; [unrolled: 1-line block ×3, first 2 shown]
	v_cmp_eq_u32_e64 s18, 0, v9
	v_cndmask_b32_e64 v8, v8, 0, s5
	v_add_nc_u32_e32 v3, v8, v3
	v_mov_b32_dpp v8, v3 row_shr:2 row_mask:0xf bank_mask:0xf
	v_cndmask_b32_e64 v8, 0, v8, s15
	v_add_nc_u32_e32 v3, v3, v8
	v_mov_b32_dpp v8, v3 row_shr:4 row_mask:0xf bank_mask:0xf
	v_cndmask_b32_e64 v8, 0, v8, s16
	v_add_nc_u32_e32 v3, v3, v8
	v_mov_b32_dpp v8, v3 row_shr:8 row_mask:0xf bank_mask:0xf
	v_cndmask_b32_e64 v7, 0, v8, s17
	v_bfe_i32 v8, v128, 4, 1
	v_add_nc_u32_e32 v3, v3, v7
	ds_swizzle_b32 v7, v3 offset:swizzle(BROADCAST,32,15)
	s_waitcnt lgkmcnt(0)
	v_and_b32_e32 v7, v8, v7
	v_add_nc_u32_e32 v3, v3, v7
	s_and_saveexec_b32 s19, s9
; %bb.95:                               ;   in Loop: Header=BB839_20 Depth=1
	ds_write_b32 v96, v3
; %bb.96:                               ;   in Loop: Header=BB839_20 Depth=1
	s_or_b32 exec_lo, exec_lo, s19
	s_waitcnt lgkmcnt(0)
	s_barrier
	buffer_gl0_inv
	s_and_saveexec_b32 s19, s10
	s_cbranch_execz .LBB839_98
; %bb.97:                               ;   in Loop: Header=BB839_20 Depth=1
	ds_read_b32 v7, v97
	v_and_b32_e32 v8, 3, v128
	v_cmp_ne_u32_e32 vcc_lo, 0, v8
	s_waitcnt lgkmcnt(0)
	v_mov_b32_dpp v9, v7 row_shr:1 row_mask:0xf bank_mask:0xf
	v_cndmask_b32_e32 v9, 0, v9, vcc_lo
	v_cmp_lt_u32_e32 vcc_lo, 1, v8
	v_add_nc_u32_e32 v7, v9, v7
	v_mov_b32_dpp v9, v7 row_shr:2 row_mask:0xf bank_mask:0xf
	v_cndmask_b32_e32 v8, 0, v9, vcc_lo
	v_add_nc_u32_e32 v7, v7, v8
	ds_write_b32 v97, v7
.LBB839_98:                             ;   in Loop: Header=BB839_20 Depth=1
	s_or_b32 exec_lo, exec_lo, s19
	v_mov_b32_e32 v7, 0
	s_waitcnt lgkmcnt(0)
	s_barrier
	buffer_gl0_inv
	s_and_saveexec_b32 s19, s11
; %bb.99:                               ;   in Loop: Header=BB839_20 Depth=1
	ds_read_b32 v7, v98
; %bb.100:                              ;   in Loop: Header=BB839_20 Depth=1
	s_or_b32 exec_lo, exec_lo, s19
	v_sub_co_u32 v8, s19, v128, 1
	s_waitcnt lgkmcnt(0)
	v_add_nc_u32_e32 v3, v7, v3
	s_barrier
	v_cmp_gt_i32_e32 vcc_lo, 0, v8
	buffer_gl0_inv
	v_cndmask_b32_e32 v8, v8, v128, vcc_lo
	v_lshlrev_b32_e32 v129, 2, v8
	ds_bpermute_b32 v3, v129, v3
	s_and_saveexec_b32 s20, s8
	s_cbranch_execz .LBB839_102
; %bb.101:                              ;   in Loop: Header=BB839_20 Depth=1
	s_waitcnt lgkmcnt(0)
	v_cndmask_b32_e64 v3, v3, v7, s19
	v_add_nc_u32_e32 v3, s60, v3
	ds_write_b32 v75, v3
.LBB839_102:                            ;   in Loop: Header=BB839_20 Depth=1
	s_or_b32 exec_lo, exec_lo, s20
	s_clause 0x1
	s_load_dword s20, s[58:59], 0x4
	s_load_dword s23, s[58:59], 0xc
	v_and_b32_e32 v7, 7, v128
	v_lshlrev_b32_e32 v9, 3, v128
	v_or_b32_e32 v130, v128, v99
	s_mov_b32 s64, s62
	s_mov_b32 s56, s60
	v_cmp_lt_u32_e64 s22, 3, v7
	v_add_co_u32 v131, vcc_lo, v104, v9
	v_add_co_ci_u32_e64 v132, null, 0, v105, vcc_lo
	v_add_co_u32 v148, vcc_lo, v106, v9
	v_or_b32_e32 v133, 32, v130
	v_or_b32_e32 v134, 64, v130
	;; [unrolled: 1-line block ×6, first 2 shown]
	s_waitcnt lgkmcnt(0)
	s_cmp_lt_u32 s7, s20
	v_or_b32_e32 v139, 0xe0, v130
	s_cselect_b32 s20, 14, 20
	v_or_b32_e32 v140, 0x100, v130
	s_add_u32 s20, s58, s20
	s_addc_u32 s21, s59, 0
	s_and_b32 s23, s23, 0xffff
	global_load_ushort v3, v4, s[20:21]
	v_cmp_eq_u32_e64 s20, 0, v7
	v_cmp_lt_u32_e64 s21, 1, v7
	v_or_b32_e32 v141, 0x120, v130
	v_or_b32_e32 v142, 0x140, v130
	;; [unrolled: 1-line block ×7, first 2 shown]
	v_add_co_ci_u32_e64 v149, null, 0, v107, vcc_lo
                                        ; implicit-def: $vgpr9_vgpr10
                                        ; implicit-def: $vgpr11_vgpr12
                                        ; implicit-def: $vgpr13_vgpr14
                                        ; implicit-def: $vgpr15_vgpr16
                                        ; implicit-def: $vgpr19_vgpr20
                                        ; implicit-def: $vgpr23_vgpr24
                                        ; implicit-def: $vgpr27_vgpr28
                                        ; implicit-def: $vgpr17_vgpr18
                                        ; implicit-def: $vgpr21_vgpr22
                                        ; implicit-def: $vgpr25_vgpr26
                                        ; implicit-def: $vgpr29_vgpr30
                                        ; implicit-def: $vgpr31_vgpr32
                                        ; implicit-def: $vgpr33_vgpr34
                                        ; implicit-def: $vgpr35_vgpr36
                                        ; implicit-def: $vgpr37_vgpr38
                                        ; implicit-def: $vgpr151
                                        ; implicit-def: $vgpr152
                                        ; implicit-def: $vgpr153
                                        ; implicit-def: $vgpr154
                                        ; implicit-def: $vgpr155
                                        ; implicit-def: $vgpr156
                                        ; implicit-def: $vgpr157
                                        ; implicit-def: $vgpr158
                                        ; implicit-def: $vgpr159
                                        ; implicit-def: $vgpr160
                                        ; implicit-def: $vgpr161
                                        ; implicit-def: $vgpr162
                                        ; implicit-def: $vgpr163
                                        ; implicit-def: $vgpr164
                                        ; implicit-def: $vgpr166
                                        ; implicit-def: $vgpr167
                                        ; implicit-def: $vgpr165
                                        ; implicit-def: $vgpr168
	s_waitcnt vmcnt(0)
	v_mad_u32_u24 v3, v2, v3, v1
	v_mad_u64_u32 v[7:8], null, v3, s23, v[0:1]
	v_lshrrev_b32_e32 v3, 3, v7
                                        ; implicit-def: $vgpr7_vgpr8
	v_and_b32_e32 v150, 0x1ffffffc, v3
	s_branch .LBB839_104
.LBB839_103:                            ;   in Loop: Header=BB839_104 Depth=2
	s_or_b32 exec_lo, exec_lo, s23
	s_addk_i32 s64, 0xf000
	s_cmp_lt_u32 s65, s61
	s_mov_b32 s56, s65
	s_cbranch_scc0 .LBB839_314
.LBB839_104:                            ;   Parent Loop BB839_20 Depth=1
                                        ; =>  This Inner Loop Header: Depth=2
	s_add_i32 s65, s56, 0x1000
	s_cmp_gt_u32 s65, s61
	s_cbranch_scc1 .LBB839_106
; %bb.105:                              ;   in Loop: Header=BB839_104 Depth=2
	s_lshl_b64 s[24:25], s[56:57], 3
	s_mov_b32 s23, -1
	v_add_co_u32 v53, vcc_lo, v148, s24
	v_add_co_ci_u32_e64 v54, null, s25, v149, vcc_lo
	v_add_co_u32 v67, vcc_lo, 0x800, v53
	v_add_co_ci_u32_e64 v68, null, 0, v54, vcc_lo
	s_clause 0xe
	global_load_dwordx2 v[41:42], v[53:54], off
	global_load_dwordx2 v[39:40], v[53:54], off offset:256
	global_load_dwordx2 v[43:44], v[53:54], off offset:512
	;; [unrolled: 1-line block ×7, first 2 shown]
	global_load_dwordx2 v[55:56], v[67:68], off
	global_load_dwordx2 v[57:58], v[67:68], off offset:256
	global_load_dwordx2 v[61:62], v[67:68], off offset:512
	;; [unrolled: 1-line block ×6, first 2 shown]
	s_movk_i32 s24, 0x1000
	s_cbranch_execz .LBB839_107
	s_branch .LBB839_138
.LBB839_106:                            ;   in Loop: Header=BB839_104 Depth=2
	s_mov_b32 s23, 0
                                        ; implicit-def: $vgpr41_vgpr42
                                        ; implicit-def: $vgpr39_vgpr40
                                        ; implicit-def: $vgpr43_vgpr44
                                        ; implicit-def: $vgpr45_vgpr46
                                        ; implicit-def: $vgpr47_vgpr48
                                        ; implicit-def: $vgpr51_vgpr52
                                        ; implicit-def: $vgpr49_vgpr50
                                        ; implicit-def: $vgpr53_vgpr54
                                        ; implicit-def: $vgpr55_vgpr56
                                        ; implicit-def: $vgpr57_vgpr58
                                        ; implicit-def: $vgpr61_vgpr62
                                        ; implicit-def: $vgpr59_vgpr60
                                        ; implicit-def: $vgpr63_vgpr64
                                        ; implicit-def: $vgpr65_vgpr66
                                        ; implicit-def: $vgpr67_vgpr68
	s_movk_i32 s24, 0x1000
.LBB839_107:                            ;   in Loop: Header=BB839_104 Depth=2
	s_waitcnt vmcnt(13)
	v_mov_b32_e32 v40, v6
	v_mov_b32_e32 v39, v5
	s_lshl_b64 s[24:25], s[56:57], 3
	s_mov_b32 s23, exec_lo
	v_add_co_u32 v69, vcc_lo, v148, s24
	v_mov_b32_e32 v42, v40
	v_add_co_ci_u32_e64 v70, null, s25, v149, vcc_lo
	v_mov_b32_e32 v41, v39
	v_cmpx_gt_u32_e64 s64, v130
	s_cbranch_execz .LBB839_109
; %bb.108:                              ;   in Loop: Header=BB839_104 Depth=2
	global_load_dwordx2 v[41:42], v[69:70], off
.LBB839_109:                            ;   in Loop: Header=BB839_104 Depth=2
	s_or_b32 exec_lo, exec_lo, s23
	s_mov_b32 s23, exec_lo
	v_cmpx_gt_u32_e64 s64, v133
	s_cbranch_execz .LBB839_111
; %bb.110:                              ;   in Loop: Header=BB839_104 Depth=2
	global_load_dwordx2 v[39:40], v[69:70], off offset:256
.LBB839_111:                            ;   in Loop: Header=BB839_104 Depth=2
	s_or_b32 exec_lo, exec_lo, s23
	s_waitcnt vmcnt(12)
	v_mov_b32_e32 v44, v6
	v_mov_b32_e32 v43, v5
	s_mov_b32 s23, exec_lo
	v_cmpx_gt_u32_e64 s64, v134
	s_cbranch_execz .LBB839_113
; %bb.112:                              ;   in Loop: Header=BB839_104 Depth=2
	global_load_dwordx2 v[43:44], v[69:70], off offset:512
.LBB839_113:                            ;   in Loop: Header=BB839_104 Depth=2
	s_or_b32 exec_lo, exec_lo, s23
	s_waitcnt vmcnt(11)
	v_mov_b32_e32 v46, v6
	v_mov_b32_e32 v45, v5
	;; [unrolled: 10-line block ×7, first 2 shown]
	s_mov_b32 s23, exec_lo
	v_cmpx_gt_u32_e64 s64, v140
	s_cbranch_execz .LBB839_125
; %bb.124:                              ;   in Loop: Header=BB839_104 Depth=2
	v_add_co_u32 v55, vcc_lo, 0x800, v69
	v_add_co_ci_u32_e64 v56, null, 0, v70, vcc_lo
	global_load_dwordx2 v[55:56], v[55:56], off
.LBB839_125:                            ;   in Loop: Header=BB839_104 Depth=2
	s_or_b32 exec_lo, exec_lo, s23
	s_waitcnt vmcnt(5)
	v_mov_b32_e32 v58, v6
	v_mov_b32_e32 v57, v5
	s_mov_b32 s23, exec_lo
	v_cmpx_gt_u32_e64 s64, v141
	s_cbranch_execz .LBB839_127
; %bb.126:                              ;   in Loop: Header=BB839_104 Depth=2
	v_add_co_u32 v57, vcc_lo, 0x800, v69
	v_add_co_ci_u32_e64 v58, null, 0, v70, vcc_lo
	global_load_dwordx2 v[57:58], v[57:58], off offset:256
.LBB839_127:                            ;   in Loop: Header=BB839_104 Depth=2
	s_or_b32 exec_lo, exec_lo, s23
	s_waitcnt vmcnt(4)
	v_mov_b32_e32 v62, v6
	v_mov_b32_e32 v61, v5
	s_mov_b32 s23, exec_lo
	v_cmpx_gt_u32_e64 s64, v142
	s_cbranch_execz .LBB839_129
; %bb.128:                              ;   in Loop: Header=BB839_104 Depth=2
	s_waitcnt vmcnt(3)
	v_add_co_u32 v59, vcc_lo, 0x800, v69
	v_add_co_ci_u32_e64 v60, null, 0, v70, vcc_lo
	global_load_dwordx2 v[61:62], v[59:60], off offset:512
.LBB839_129:                            ;   in Loop: Header=BB839_104 Depth=2
	s_or_b32 exec_lo, exec_lo, s23
	s_waitcnt vmcnt(3)
	v_mov_b32_e32 v60, v6
	v_mov_b32_e32 v59, v5
	s_mov_b32 s23, exec_lo
	v_cmpx_gt_u32_e64 s64, v143
	s_cbranch_execz .LBB839_131
; %bb.130:                              ;   in Loop: Header=BB839_104 Depth=2
	v_add_co_u32 v59, vcc_lo, 0x800, v69
	v_add_co_ci_u32_e64 v60, null, 0, v70, vcc_lo
	global_load_dwordx2 v[59:60], v[59:60], off offset:768
.LBB839_131:                            ;   in Loop: Header=BB839_104 Depth=2
	s_or_b32 exec_lo, exec_lo, s23
	s_waitcnt vmcnt(2)
	v_mov_b32_e32 v64, v6
	v_mov_b32_e32 v63, v5
	s_mov_b32 s23, exec_lo
	v_cmpx_gt_u32_e64 s64, v144
	s_cbranch_execz .LBB839_133
; %bb.132:                              ;   in Loop: Header=BB839_104 Depth=2
	v_add_co_u32 v63, vcc_lo, 0x800, v69
	v_add_co_ci_u32_e64 v64, null, 0, v70, vcc_lo
	global_load_dwordx2 v[63:64], v[63:64], off offset:1024
.LBB839_133:                            ;   in Loop: Header=BB839_104 Depth=2
	;; [unrolled: 12-line block ×4, first 2 shown]
	s_or_b32 exec_lo, exec_lo, s23
	v_cmp_gt_u32_e64 s23, s64, v147
	s_sub_i32 s24, s61, s56
.LBB839_138:                            ;   in Loop: Header=BB839_104 Depth=2
	v_mov_b32_e32 v69, -1
	v_mov_b32_e32 v70, -1
	v_mov_b32_e32 v169, s64
	s_and_saveexec_b32 s25, s23
	s_cbranch_execz .LBB839_140
; %bb.139:                              ;   in Loop: Header=BB839_104 Depth=2
	s_lshl_b64 s[26:27], s[56:57], 3
	v_mov_b32_e32 v169, s24
	v_add_co_u32 v3, vcc_lo, v148, s26
	v_add_co_ci_u32_e64 v70, null, s27, v149, vcc_lo
	v_add_co_u32 v69, vcc_lo, 0x800, v3
	v_add_co_ci_u32_e64 v70, null, 0, v70, vcc_lo
	global_load_dwordx2 v[69:70], v[69:70], off offset:1792
	s_waitcnt vmcnt(0)
	v_xor_b32_e32 v70, 0x80000000, v70
.LBB839_140:                            ;   in Loop: Header=BB839_104 Depth=2
	s_or_b32 exec_lo, exec_lo, s25
	s_waitcnt vmcnt(14)
	v_xor_b32_e32 v42, 0x80000000, v42
	ds_write2_b32 v100, v4, v4 offset0:136 offset1:137
	ds_write2_b32 v100, v4, v4 offset0:138 offset1:139
	ds_write_b32 v100, v4 offset:560
	s_waitcnt vmcnt(0) lgkmcnt(0)
	s_barrier
	v_lshrrev_b64 v[71:72], s47, v[41:42]
	buffer_gl0_inv
	; wave barrier
	v_and_b32_e32 v72, s63, v71
	v_and_b32_e32 v3, 1, v72
	v_lshlrev_b32_e32 v71, 30, v72
	v_lshlrev_b32_e32 v73, 29, v72
	;; [unrolled: 1-line block ×4, first 2 shown]
	v_add_co_u32 v3, s23, v3, -1
	v_cndmask_b32_e64 v74, 0, 1, s23
	v_not_b32_e32 v173, v71
	v_cmp_gt_i32_e64 s23, 0, v71
	v_not_b32_e32 v71, v73
	v_lshlrev_b32_e32 v172, 26, v72
	v_cmp_ne_u32_e32 vcc_lo, 0, v74
	v_ashrrev_i32_e32 v173, 31, v173
	v_lshlrev_b32_e32 v74, 25, v72
	v_ashrrev_i32_e32 v71, 31, v71
	v_mul_u32_u24_e32 v72, 36, v72
	v_xor_b32_e32 v3, vcc_lo, v3
	v_cmp_gt_i32_e32 vcc_lo, 0, v73
	v_not_b32_e32 v73, v170
	v_xor_b32_e32 v173, s23, v173
	v_cmp_gt_i32_e64 s23, 0, v170
	v_and_b32_e32 v3, exec_lo, v3
	v_not_b32_e32 v170, v171
	v_ashrrev_i32_e32 v73, 31, v73
	v_xor_b32_e32 v71, vcc_lo, v71
	v_cmp_gt_i32_e32 vcc_lo, 0, v171
	v_and_b32_e32 v3, v3, v173
	v_not_b32_e32 v171, v172
	v_ashrrev_i32_e32 v170, 31, v170
	v_xor_b32_e32 v73, s23, v73
	v_cmp_gt_i32_e64 s23, 0, v172
	v_and_b32_e32 v3, v3, v71
	v_not_b32_e32 v71, v74
	v_ashrrev_i32_e32 v171, 31, v171
	v_xor_b32_e32 v170, vcc_lo, v170
	v_cmp_gt_i32_e32 vcc_lo, 0, v74
	v_and_b32_e32 v3, v3, v73
	v_ashrrev_i32_e32 v71, 31, v71
	v_xor_b32_e32 v73, s23, v171
	v_and_b32_e32 v3, v3, v170
	v_xor_b32_e32 v71, vcc_lo, v71
	v_add_nc_u32_e32 v170, v150, v72
	v_and_b32_e32 v3, v3, v73
	v_and_b32_e32 v71, v3, v71
	v_mbcnt_lo_u32_b32 v3, v71, 0
	v_cmp_ne_u32_e64 s23, 0, v71
	v_cmp_eq_u32_e32 vcc_lo, 0, v3
	s_and_b32 s24, s23, vcc_lo
	s_and_saveexec_b32 s23, s24
; %bb.141:                              ;   in Loop: Header=BB839_104 Depth=2
	v_bcnt_u32_b32 v71, v71, 0
	ds_write_b32 v170, v71 offset:544
; %bb.142:                              ;   in Loop: Header=BB839_104 Depth=2
	s_or_b32 exec_lo, exec_lo, s23
	v_xor_b32_e32 v40, 0x80000000, v40
	; wave barrier
	v_lshrrev_b64 v[71:72], s47, v[39:40]
	v_and_b32_e32 v72, s63, v71
	v_and_b32_e32 v71, 1, v72
	v_lshlrev_b32_e32 v73, 30, v72
	v_lshlrev_b32_e32 v74, 29, v72
	v_lshlrev_b32_e32 v172, 28, v72
	v_lshlrev_b32_e32 v173, 27, v72
	v_add_co_u32 v71, s23, v71, -1
	v_cndmask_b32_e64 v171, 0, 1, s23
	v_not_b32_e32 v175, v73
	v_cmp_gt_i32_e64 s23, 0, v73
	v_not_b32_e32 v73, v74
	v_lshlrev_b32_e32 v174, 26, v72
	v_cmp_ne_u32_e32 vcc_lo, 0, v171
	v_ashrrev_i32_e32 v175, 31, v175
	v_lshlrev_b32_e32 v171, 25, v72
	v_ashrrev_i32_e32 v73, 31, v73
	v_xor_b32_e32 v71, vcc_lo, v71
	v_cmp_gt_i32_e32 vcc_lo, 0, v74
	v_not_b32_e32 v74, v172
	v_xor_b32_e32 v175, s23, v175
	v_cmp_gt_i32_e64 s23, 0, v172
	v_and_b32_e32 v71, exec_lo, v71
	v_not_b32_e32 v172, v173
	v_ashrrev_i32_e32 v74, 31, v74
	v_xor_b32_e32 v73, vcc_lo, v73
	v_cmp_gt_i32_e32 vcc_lo, 0, v173
	v_and_b32_e32 v71, v71, v175
	v_not_b32_e32 v173, v174
	v_ashrrev_i32_e32 v172, 31, v172
	v_xor_b32_e32 v74, s23, v74
	v_cmp_gt_i32_e64 s23, 0, v174
	v_and_b32_e32 v71, v71, v73
	v_not_b32_e32 v73, v171
	v_ashrrev_i32_e32 v173, 31, v173
	v_xor_b32_e32 v172, vcc_lo, v172
	v_cmp_gt_i32_e32 vcc_lo, 0, v171
	v_and_b32_e32 v71, v71, v74
	v_ashrrev_i32_e32 v73, 31, v73
	v_xor_b32_e32 v74, s23, v173
	v_mad_u32_u24 v171, v72, 36, v150
	v_mul_u32_u24_e32 v72, 36, v72
	v_and_b32_e32 v71, v71, v172
	v_xor_b32_e32 v73, vcc_lo, v73
	ds_read_b32 v171, v171 offset:544
	v_add_nc_u32_e32 v173, v150, v72
	v_and_b32_e32 v71, v71, v74
	; wave barrier
	v_and_b32_e32 v71, v71, v73
	v_mbcnt_lo_u32_b32 v172, v71, 0
	v_cmp_ne_u32_e64 s23, 0, v71
	v_cmp_eq_u32_e32 vcc_lo, 0, v172
	s_and_b32 s24, s23, vcc_lo
	s_and_saveexec_b32 s23, s24
	s_cbranch_execz .LBB839_144
; %bb.143:                              ;   in Loop: Header=BB839_104 Depth=2
	s_waitcnt lgkmcnt(0)
	v_bcnt_u32_b32 v71, v71, v171
	ds_write_b32 v173, v71 offset:544
.LBB839_144:                            ;   in Loop: Header=BB839_104 Depth=2
	s_or_b32 exec_lo, exec_lo, s23
	v_xor_b32_e32 v44, 0x80000000, v44
	; wave barrier
	v_lshrrev_b64 v[71:72], s47, v[43:44]
	v_and_b32_e32 v72, s63, v71
	v_and_b32_e32 v71, 1, v72
	v_lshlrev_b32_e32 v73, 30, v72
	v_lshlrev_b32_e32 v74, 29, v72
	v_lshlrev_b32_e32 v175, 28, v72
	v_lshlrev_b32_e32 v176, 27, v72
	v_add_co_u32 v71, s23, v71, -1
	v_cndmask_b32_e64 v174, 0, 1, s23
	v_not_b32_e32 v178, v73
	v_cmp_gt_i32_e64 s23, 0, v73
	v_not_b32_e32 v73, v74
	v_lshlrev_b32_e32 v177, 26, v72
	v_cmp_ne_u32_e32 vcc_lo, 0, v174
	v_ashrrev_i32_e32 v178, 31, v178
	v_lshlrev_b32_e32 v174, 25, v72
	v_ashrrev_i32_e32 v73, 31, v73
	v_xor_b32_e32 v71, vcc_lo, v71
	v_cmp_gt_i32_e32 vcc_lo, 0, v74
	v_not_b32_e32 v74, v175
	v_xor_b32_e32 v178, s23, v178
	v_cmp_gt_i32_e64 s23, 0, v175
	v_and_b32_e32 v71, exec_lo, v71
	v_not_b32_e32 v175, v176
	v_ashrrev_i32_e32 v74, 31, v74
	v_xor_b32_e32 v73, vcc_lo, v73
	v_cmp_gt_i32_e32 vcc_lo, 0, v176
	v_and_b32_e32 v71, v71, v178
	v_not_b32_e32 v176, v177
	v_ashrrev_i32_e32 v175, 31, v175
	v_xor_b32_e32 v74, s23, v74
	v_cmp_gt_i32_e64 s23, 0, v177
	v_and_b32_e32 v71, v71, v73
	v_not_b32_e32 v73, v174
	v_ashrrev_i32_e32 v176, 31, v176
	v_xor_b32_e32 v175, vcc_lo, v175
	v_cmp_gt_i32_e32 vcc_lo, 0, v174
	v_and_b32_e32 v71, v71, v74
	v_ashrrev_i32_e32 v73, 31, v73
	v_xor_b32_e32 v74, s23, v176
	v_mad_u32_u24 v174, v72, 36, v150
	v_mul_u32_u24_e32 v72, 36, v72
	v_and_b32_e32 v71, v71, v175
	v_xor_b32_e32 v73, vcc_lo, v73
	ds_read_b32 v174, v174 offset:544
	v_add_nc_u32_e32 v176, v150, v72
	v_and_b32_e32 v71, v71, v74
	; wave barrier
	v_and_b32_e32 v71, v71, v73
	v_mbcnt_lo_u32_b32 v175, v71, 0
	v_cmp_ne_u32_e64 s23, 0, v71
	v_cmp_eq_u32_e32 vcc_lo, 0, v175
	s_and_b32 s24, s23, vcc_lo
	s_and_saveexec_b32 s23, s24
	s_cbranch_execz .LBB839_146
; %bb.145:                              ;   in Loop: Header=BB839_104 Depth=2
	s_waitcnt lgkmcnt(0)
	v_bcnt_u32_b32 v71, v71, v174
	ds_write_b32 v176, v71 offset:544
.LBB839_146:                            ;   in Loop: Header=BB839_104 Depth=2
	;; [unrolled: 63-line block ×14, first 2 shown]
	s_or_b32 exec_lo, exec_lo, s23
	v_lshrrev_b64 v[71:72], s47, v[69:70]
	; wave barrier
	v_and_b32_e32 v72, s63, v71
	v_and_b32_e32 v71, 1, v72
	v_lshlrev_b32_e32 v73, 30, v72
	v_lshlrev_b32_e32 v74, 29, v72
	;; [unrolled: 1-line block ×4, first 2 shown]
	v_add_co_u32 v71, s23, v71, -1
	v_cndmask_b32_e64 v212, 0, 1, s23
	v_not_b32_e32 v217, v73
	v_cmp_gt_i32_e64 s23, 0, v73
	v_not_b32_e32 v73, v74
	v_lshlrev_b32_e32 v216, 26, v72
	v_cmp_ne_u32_e32 vcc_lo, 0, v212
	v_ashrrev_i32_e32 v217, 31, v217
	v_lshlrev_b32_e32 v212, 25, v72
	v_ashrrev_i32_e32 v73, 31, v73
	v_xor_b32_e32 v71, vcc_lo, v71
	v_cmp_gt_i32_e32 vcc_lo, 0, v74
	v_not_b32_e32 v74, v213
	v_xor_b32_e32 v217, s23, v217
	v_cmp_gt_i32_e64 s23, 0, v213
	v_and_b32_e32 v71, exec_lo, v71
	v_not_b32_e32 v213, v215
	v_ashrrev_i32_e32 v74, 31, v74
	v_xor_b32_e32 v73, vcc_lo, v73
	v_cmp_gt_i32_e32 vcc_lo, 0, v215
	v_and_b32_e32 v71, v71, v217
	v_not_b32_e32 v215, v216
	v_ashrrev_i32_e32 v213, 31, v213
	v_xor_b32_e32 v74, s23, v74
	v_cmp_gt_i32_e64 s23, 0, v216
	v_and_b32_e32 v71, v71, v73
	v_not_b32_e32 v73, v212
	v_ashrrev_i32_e32 v215, 31, v215
	v_xor_b32_e32 v213, vcc_lo, v213
	v_cmp_gt_i32_e32 vcc_lo, 0, v212
	v_and_b32_e32 v71, v71, v74
	v_ashrrev_i32_e32 v73, 31, v73
	v_xor_b32_e32 v74, s23, v215
	v_mad_u32_u24 v212, v72, 36, v150
	v_mul_u32_u24_e32 v72, 36, v72
	v_and_b32_e32 v71, v71, v213
	v_xor_b32_e32 v73, vcc_lo, v73
	ds_read_b32 v212, v212 offset:544
	v_add_nc_u32_e32 v215, v150, v72
	v_and_b32_e32 v71, v71, v74
	; wave barrier
	v_and_b32_e32 v71, v71, v73
	v_mbcnt_lo_u32_b32 v213, v71, 0
	v_cmp_ne_u32_e64 s23, 0, v71
	v_cmp_eq_u32_e32 vcc_lo, 0, v213
	s_and_b32 s24, s23, vcc_lo
	s_and_saveexec_b32 s23, s24
	s_cbranch_execz .LBB839_172
; %bb.171:                              ;   in Loop: Header=BB839_104 Depth=2
	s_waitcnt lgkmcnt(0)
	v_bcnt_u32_b32 v71, v71, v212
	ds_write_b32 v215, v71 offset:544
.LBB839_172:                            ;   in Loop: Header=BB839_104 Depth=2
	s_or_b32 exec_lo, exec_lo, s23
	; wave barrier
	s_waitcnt lgkmcnt(0)
	s_barrier
	buffer_gl0_inv
	ds_read2_b32 v[73:74], v100 offset0:136 offset1:137
	ds_read2_b32 v[71:72], v100 offset0:138 offset1:139
	ds_read_b32 v216, v100 offset:560
	s_waitcnt lgkmcnt(1)
	v_add3_u32 v217, v74, v73, v71
	s_waitcnt lgkmcnt(0)
	v_add3_u32 v216, v217, v72, v216
	v_mov_b32_dpp v217, v216 row_shr:1 row_mask:0xf bank_mask:0xf
	v_cndmask_b32_e64 v217, v217, 0, s5
	v_add_nc_u32_e32 v216, v217, v216
	v_mov_b32_dpp v217, v216 row_shr:2 row_mask:0xf bank_mask:0xf
	v_cndmask_b32_e64 v217, 0, v217, s15
	v_add_nc_u32_e32 v216, v216, v217
	;; [unrolled: 3-line block ×4, first 2 shown]
	ds_swizzle_b32 v217, v216 offset:swizzle(BROADCAST,32,15)
	s_waitcnt lgkmcnt(0)
	v_cndmask_b32_e64 v217, v217, 0, s18
	v_add_nc_u32_e32 v216, v216, v217
	s_and_saveexec_b32 s23, s4
; %bb.173:                              ;   in Loop: Header=BB839_104 Depth=2
	ds_write_b32 v94, v216 offset:512
; %bb.174:                              ;   in Loop: Header=BB839_104 Depth=2
	s_or_b32 exec_lo, exec_lo, s23
	s_waitcnt lgkmcnt(0)
	s_barrier
	buffer_gl0_inv
	s_and_saveexec_b32 s23, s12
	s_cbranch_execz .LBB839_176
; %bb.175:                              ;   in Loop: Header=BB839_104 Depth=2
	ds_read_b32 v217, v101 offset:512
	s_waitcnt lgkmcnt(0)
	v_mov_b32_dpp v218, v217 row_shr:1 row_mask:0xf bank_mask:0xf
	v_cndmask_b32_e64 v218, v218, 0, s20
	v_add_nc_u32_e32 v217, v218, v217
	v_mov_b32_dpp v218, v217 row_shr:2 row_mask:0xf bank_mask:0xf
	v_cndmask_b32_e64 v218, 0, v218, s21
	v_add_nc_u32_e32 v217, v217, v218
	;; [unrolled: 3-line block ×3, first 2 shown]
	ds_write_b32 v101, v217 offset:512
.LBB839_176:                            ;   in Loop: Header=BB839_104 Depth=2
	s_or_b32 exec_lo, exec_lo, s23
	v_mov_b32_e32 v217, 0
	s_waitcnt lgkmcnt(0)
	s_barrier
	buffer_gl0_inv
	s_and_saveexec_b32 s23, s11
; %bb.177:                              ;   in Loop: Header=BB839_104 Depth=2
	ds_read_b32 v217, v94 offset:508
; %bb.178:                              ;   in Loop: Header=BB839_104 Depth=2
	s_or_b32 exec_lo, exec_lo, s23
	s_waitcnt lgkmcnt(0)
	v_add_nc_u32_e32 v216, v217, v216
	ds_bpermute_b32 v216, v129, v216
	s_waitcnt lgkmcnt(0)
	v_cndmask_b32_e64 v216, v216, v217, s19
	v_cndmask_b32_e64 v216, v216, 0, s13
	v_add_nc_u32_e32 v73, v216, v73
	v_add_nc_u32_e32 v74, v73, v74
	;; [unrolled: 1-line block ×4, first 2 shown]
	ds_write2_b32 v100, v216, v73 offset0:136 offset1:137
	ds_write2_b32 v100, v74, v71 offset0:138 offset1:139
	ds_write_b32 v100, v72 offset:560
	s_waitcnt lgkmcnt(0)
	s_barrier
	buffer_gl0_inv
	ds_read_b32 v71, v170 offset:544
	ds_read_b32 v219, v173 offset:544
	;; [unrolled: 1-line block ×16, first 2 shown]
	s_and_saveexec_b32 s23, s8
	s_cbranch_execz .LBB839_182
; %bb.179:                              ;   in Loop: Header=BB839_104 Depth=2
	ds_read_b32 v165, v103 offset:544
	v_mov_b32_e32 v168, 0x1000
	s_and_saveexec_b32 s24, s14
; %bb.180:                              ;   in Loop: Header=BB839_104 Depth=2
	ds_read_b32 v168, v102 offset:544
; %bb.181:                              ;   in Loop: Header=BB839_104 Depth=2
	s_or_b32 exec_lo, exec_lo, s24
	s_waitcnt lgkmcnt(0)
	v_sub_nc_u32_e32 v168, v168, v165
.LBB839_182:                            ;   in Loop: Header=BB839_104 Depth=2
	s_or_b32 exec_lo, exec_lo, s23
	s_waitcnt lgkmcnt(0)
	s_barrier
	buffer_gl0_inv
	s_and_saveexec_b32 s23, s8
	s_cbranch_execz .LBB839_184
; %bb.183:                              ;   in Loop: Header=BB839_104 Depth=2
	ds_read_b32 v196, v75
	s_waitcnt lgkmcnt(0)
	v_sub_nc_u32_e32 v196, v196, v165
	ds_write_b32 v75, v196
.LBB839_184:                            ;   in Loop: Header=BB839_104 Depth=2
	s_or_b32 exec_lo, exec_lo, s23
	v_lshlrev_b32_e32 v3, 3, v3
	v_lshlrev_b32_e32 v172, 3, v172
	;; [unrolled: 1-line block ×5, first 2 shown]
	v_lshl_add_u32 v71, v71, 3, v3
	v_lshlrev_b32_e32 v3, 3, v174
	v_lshlrev_b32_e32 v174, 3, v72
	v_add3_u32 v72, v172, v171, v196
	v_lshlrev_b32_e32 v178, 3, v178
	ds_write_b64 v71, v[41:42] offset:512
	v_lshlrev_b32_e32 v42, 3, v177
	v_lshlrev_b32_e32 v171, 3, v218
	;; [unrolled: 1-line block ×8, first 2 shown]
	ds_write_b64 v72, v[39:40] offset:512
	v_add3_u32 v41, v175, v3, v174
	v_lshlrev_b32_e32 v3, 3, v187
	v_lshlrev_b32_e32 v39, 3, v186
	;; [unrolled: 1-line block ×3, first 2 shown]
	v_add3_u32 v42, v178, v42, v171
	v_add3_u32 v73, v172, v177, v74
	;; [unrolled: 1-line block ×3, first 2 shown]
	ds_write_b64 v41, v[43:44] offset:512
	ds_write_b64 v42, v[45:46] offset:512
	;; [unrolled: 1-line block ×4, first 2 shown]
	v_add3_u32 v43, v3, v39, v40
	v_lshlrev_b32_e32 v3, 3, v190
	v_lshlrev_b32_e32 v39, 3, v189
	;; [unrolled: 1-line block ×12, first 2 shown]
	v_add3_u32 v44, v3, v39, v40
	v_lshlrev_b32_e32 v3, 3, v201
	v_lshlrev_b32_e32 v39, 3, v200
	;; [unrolled: 1-line block ×3, first 2 shown]
	v_add3_u32 v45, v45, v46, v47
	v_add3_u32 v46, v48, v51, v52
	;; [unrolled: 1-line block ×3, first 2 shown]
	ds_write_b64 v43, v[49:50] offset:512
	ds_write_b64 v44, v[53:54] offset:512
	ds_write_b64 v45, v[55:56] offset:512
	ds_write_b64 v46, v[57:58] offset:512
	ds_write_b64 v47, v[61:62] offset:512
	v_add3_u32 v48, v3, v39, v40
	v_lshlrev_b32_e32 v3, 3, v204
	v_lshlrev_b32_e32 v39, 3, v203
	;; [unrolled: 1-line block ×12, first 2 shown]
	v_add3_u32 v49, v3, v39, v40
	v_add3_u32 v50, v50, v51, v52
	;; [unrolled: 1-line block ×3, first 2 shown]
	v_cmp_lt_u32_e32 vcc_lo, v0, v169
	v_add3_u32 v52, v56, v57, v58
	ds_write_b64 v48, v[59:60] offset:512
	ds_write_b64 v49, v[63:64] offset:512
	;; [unrolled: 1-line block ×5, first 2 shown]
	s_waitcnt lgkmcnt(0)
	s_barrier
	buffer_gl0_inv
	s_and_saveexec_b32 s24, vcc_lo
	s_cbranch_execnz .LBB839_253
; %bb.185:                              ;   in Loop: Header=BB839_104 Depth=2
	s_or_b32 exec_lo, exec_lo, s24
	v_cmp_lt_u32_e64 s23, v76, v169
	s_and_saveexec_b32 s25, s23
	s_cbranch_execnz .LBB839_254
.LBB839_186:                            ;   in Loop: Header=BB839_104 Depth=2
	s_or_b32 exec_lo, exec_lo, s25
	v_cmp_lt_u32_e64 s24, v79, v169
	s_and_saveexec_b32 s26, s24
	s_cbranch_execnz .LBB839_255
.LBB839_187:                            ;   in Loop: Header=BB839_104 Depth=2
	s_or_b32 exec_lo, exec_lo, s26
	v_cmp_lt_u32_e64 s25, v80, v169
	s_and_saveexec_b32 s27, s25
	s_cbranch_execnz .LBB839_256
.LBB839_188:                            ;   in Loop: Header=BB839_104 Depth=2
	s_or_b32 exec_lo, exec_lo, s27
	v_cmp_lt_u32_e64 s26, v81, v169
	s_and_saveexec_b32 s28, s26
	s_cbranch_execnz .LBB839_257
.LBB839_189:                            ;   in Loop: Header=BB839_104 Depth=2
	s_or_b32 exec_lo, exec_lo, s28
	v_cmp_lt_u32_e64 s27, v82, v169
	s_and_saveexec_b32 s29, s27
	s_cbranch_execnz .LBB839_258
.LBB839_190:                            ;   in Loop: Header=BB839_104 Depth=2
	s_or_b32 exec_lo, exec_lo, s29
	v_cmp_lt_u32_e64 s28, v83, v169
	s_and_saveexec_b32 s30, s28
	s_cbranch_execnz .LBB839_259
.LBB839_191:                            ;   in Loop: Header=BB839_104 Depth=2
	s_or_b32 exec_lo, exec_lo, s30
	v_cmp_lt_u32_e64 s29, v84, v169
	s_and_saveexec_b32 s31, s29
	s_cbranch_execnz .LBB839_260
.LBB839_192:                            ;   in Loop: Header=BB839_104 Depth=2
	s_or_b32 exec_lo, exec_lo, s31
	v_cmp_lt_u32_e64 s30, v85, v169
	s_and_saveexec_b32 s33, s30
	s_cbranch_execnz .LBB839_261
.LBB839_193:                            ;   in Loop: Header=BB839_104 Depth=2
	s_or_b32 exec_lo, exec_lo, s33
	v_cmp_lt_u32_e64 s31, v86, v169
	s_and_saveexec_b32 s34, s31
	s_cbranch_execnz .LBB839_262
.LBB839_194:                            ;   in Loop: Header=BB839_104 Depth=2
	s_or_b32 exec_lo, exec_lo, s34
	v_cmp_lt_u32_e64 s33, v87, v169
	s_and_saveexec_b32 s35, s33
	s_cbranch_execnz .LBB839_263
.LBB839_195:                            ;   in Loop: Header=BB839_104 Depth=2
	s_or_b32 exec_lo, exec_lo, s35
	v_cmp_lt_u32_e64 s34, v88, v169
	s_and_saveexec_b32 s36, s34
	s_cbranch_execnz .LBB839_264
.LBB839_196:                            ;   in Loop: Header=BB839_104 Depth=2
	s_or_b32 exec_lo, exec_lo, s36
	v_cmp_lt_u32_e64 s35, v89, v169
	s_and_saveexec_b32 s37, s35
	s_cbranch_execnz .LBB839_265
.LBB839_197:                            ;   in Loop: Header=BB839_104 Depth=2
	s_or_b32 exec_lo, exec_lo, s37
	v_cmp_lt_u32_e64 s36, v90, v169
	s_and_saveexec_b32 s38, s36
	s_cbranch_execnz .LBB839_266
.LBB839_198:                            ;   in Loop: Header=BB839_104 Depth=2
	s_or_b32 exec_lo, exec_lo, s38
	v_cmp_lt_u32_e64 s37, v91, v169
	s_and_saveexec_b32 s39, s37
	s_cbranch_execnz .LBB839_267
.LBB839_199:                            ;   in Loop: Header=BB839_104 Depth=2
	s_or_b32 exec_lo, exec_lo, s39
	v_cmp_lt_u32_e64 s38, v92, v169
	s_and_saveexec_b32 s66, s38
	s_cbranch_execz .LBB839_201
.LBB839_200:                            ;   in Loop: Header=BB839_104 Depth=2
	ds_read_b64 v[39:40], v108 offset:31232
	s_waitcnt lgkmcnt(0)
	v_lshrrev_b64 v[53:54], s47, v[39:40]
	v_xor_b32_e32 v40, 0x80000000, v40
	v_and_b32_e32 v3, s63, v53
	v_lshlrev_b32_e32 v3, 2, v3
	ds_read_b32 v3, v3
	s_waitcnt lgkmcnt(0)
	v_add_nc_u32_e32 v3, v3, v92
	v_lshlrev_b64 v[53:54], 3, v[3:4]
	v_add_co_u32 v53, s39, s42, v53
	v_add_co_ci_u32_e64 v54, null, s43, v54, s39
	global_store_dwordx2 v[53:54], v[39:40], off
.LBB839_201:                            ;   in Loop: Header=BB839_104 Depth=2
	s_or_b32 exec_lo, exec_lo, s66
	s_lshl_b64 s[66:67], s[56:57], 3
	v_add_co_u32 v39, s39, v131, s66
	v_add_co_ci_u32_e64 v40, null, s67, v132, s39
	v_cmp_lt_u32_e64 s39, v130, v169
	s_and_saveexec_b32 s56, s39
	s_xor_b32 s39, exec_lo, s56
	s_cbranch_execnz .LBB839_268
; %bb.202:                              ;   in Loop: Header=BB839_104 Depth=2
	s_or_b32 exec_lo, exec_lo, s39
	s_mov_b32 s56, exec_lo
	v_cmpx_lt_u32_e64 v133, v169
	s_cbranch_execnz .LBB839_269
.LBB839_203:                            ;   in Loop: Header=BB839_104 Depth=2
	s_or_b32 exec_lo, exec_lo, s56
	s_mov_b32 s56, exec_lo
	v_cmpx_lt_u32_e64 v134, v169
	s_cbranch_execnz .LBB839_270
.LBB839_204:                            ;   in Loop: Header=BB839_104 Depth=2
	s_or_b32 exec_lo, exec_lo, s56
	s_mov_b32 s56, exec_lo
	v_cmpx_lt_u32_e64 v135, v169
	s_cbranch_execnz .LBB839_271
.LBB839_205:                            ;   in Loop: Header=BB839_104 Depth=2
	s_or_b32 exec_lo, exec_lo, s56
	s_mov_b32 s56, exec_lo
	v_cmpx_lt_u32_e64 v136, v169
	s_cbranch_execnz .LBB839_272
.LBB839_206:                            ;   in Loop: Header=BB839_104 Depth=2
	s_or_b32 exec_lo, exec_lo, s56
	s_mov_b32 s56, exec_lo
	v_cmpx_lt_u32_e64 v137, v169
	s_cbranch_execnz .LBB839_273
.LBB839_207:                            ;   in Loop: Header=BB839_104 Depth=2
	s_or_b32 exec_lo, exec_lo, s56
	s_mov_b32 s56, exec_lo
	v_cmpx_lt_u32_e64 v138, v169
	s_cbranch_execnz .LBB839_274
.LBB839_208:                            ;   in Loop: Header=BB839_104 Depth=2
	s_or_b32 exec_lo, exec_lo, s56
	s_mov_b32 s56, exec_lo
	v_cmpx_lt_u32_e64 v139, v169
	s_cbranch_execnz .LBB839_275
.LBB839_209:                            ;   in Loop: Header=BB839_104 Depth=2
	s_or_b32 exec_lo, exec_lo, s56
	s_mov_b32 s56, exec_lo
	v_cmpx_lt_u32_e64 v140, v169
	s_cbranch_execnz .LBB839_276
.LBB839_210:                            ;   in Loop: Header=BB839_104 Depth=2
	s_or_b32 exec_lo, exec_lo, s56
	s_mov_b32 s56, exec_lo
	v_cmpx_lt_u32_e64 v141, v169
	s_cbranch_execnz .LBB839_277
.LBB839_211:                            ;   in Loop: Header=BB839_104 Depth=2
	s_or_b32 exec_lo, exec_lo, s56
	s_mov_b32 s56, exec_lo
	v_cmpx_lt_u32_e64 v142, v169
	s_cbranch_execnz .LBB839_278
.LBB839_212:                            ;   in Loop: Header=BB839_104 Depth=2
	s_or_b32 exec_lo, exec_lo, s56
	s_mov_b32 s56, exec_lo
	v_cmpx_lt_u32_e64 v143, v169
	s_cbranch_execnz .LBB839_279
.LBB839_213:                            ;   in Loop: Header=BB839_104 Depth=2
	s_or_b32 exec_lo, exec_lo, s56
	s_mov_b32 s56, exec_lo
	v_cmpx_lt_u32_e64 v144, v169
	s_cbranch_execnz .LBB839_280
.LBB839_214:                            ;   in Loop: Header=BB839_104 Depth=2
	s_or_b32 exec_lo, exec_lo, s56
	s_mov_b32 s56, exec_lo
	v_cmpx_lt_u32_e64 v145, v169
	s_cbranch_execnz .LBB839_281
.LBB839_215:                            ;   in Loop: Header=BB839_104 Depth=2
	s_or_b32 exec_lo, exec_lo, s56
	s_mov_b32 s56, exec_lo
	v_cmpx_lt_u32_e64 v146, v169
	s_cbranch_execnz .LBB839_282
.LBB839_216:                            ;   in Loop: Header=BB839_104 Depth=2
	s_or_b32 exec_lo, exec_lo, s56
	s_mov_b32 s56, exec_lo
	v_cmpx_lt_u32_e64 v147, v169
	s_cbranch_execnz .LBB839_283
.LBB839_217:                            ;   in Loop: Header=BB839_104 Depth=2
	s_or_b32 exec_lo, exec_lo, s56
	s_and_saveexec_b32 s39, vcc_lo
	s_cbranch_execnz .LBB839_284
.LBB839_218:                            ;   in Loop: Header=BB839_104 Depth=2
	s_or_b32 exec_lo, exec_lo, s39
	s_and_saveexec_b32 s39, s23
	s_cbranch_execnz .LBB839_285
.LBB839_219:                            ;   in Loop: Header=BB839_104 Depth=2
	s_or_b32 exec_lo, exec_lo, s39
	s_and_saveexec_b32 s39, s24
	s_cbranch_execnz .LBB839_286
.LBB839_220:                            ;   in Loop: Header=BB839_104 Depth=2
	s_or_b32 exec_lo, exec_lo, s39
	s_and_saveexec_b32 s39, s25
	s_cbranch_execnz .LBB839_287
.LBB839_221:                            ;   in Loop: Header=BB839_104 Depth=2
	s_or_b32 exec_lo, exec_lo, s39
	s_and_saveexec_b32 s39, s26
	s_cbranch_execnz .LBB839_288
.LBB839_222:                            ;   in Loop: Header=BB839_104 Depth=2
	s_or_b32 exec_lo, exec_lo, s39
	s_and_saveexec_b32 s39, s27
	s_cbranch_execnz .LBB839_289
.LBB839_223:                            ;   in Loop: Header=BB839_104 Depth=2
	s_or_b32 exec_lo, exec_lo, s39
	s_and_saveexec_b32 s39, s28
	s_cbranch_execnz .LBB839_290
.LBB839_224:                            ;   in Loop: Header=BB839_104 Depth=2
	s_or_b32 exec_lo, exec_lo, s39
	s_and_saveexec_b32 s39, s29
	s_cbranch_execnz .LBB839_291
.LBB839_225:                            ;   in Loop: Header=BB839_104 Depth=2
	s_or_b32 exec_lo, exec_lo, s39
	s_and_saveexec_b32 s39, s30
	s_cbranch_execnz .LBB839_292
.LBB839_226:                            ;   in Loop: Header=BB839_104 Depth=2
	s_or_b32 exec_lo, exec_lo, s39
	s_and_saveexec_b32 s39, s31
	s_cbranch_execnz .LBB839_293
.LBB839_227:                            ;   in Loop: Header=BB839_104 Depth=2
	s_or_b32 exec_lo, exec_lo, s39
	s_and_saveexec_b32 s39, s33
	s_cbranch_execnz .LBB839_294
.LBB839_228:                            ;   in Loop: Header=BB839_104 Depth=2
	s_or_b32 exec_lo, exec_lo, s39
	s_and_saveexec_b32 s39, s34
	s_cbranch_execnz .LBB839_295
.LBB839_229:                            ;   in Loop: Header=BB839_104 Depth=2
	s_or_b32 exec_lo, exec_lo, s39
	s_and_saveexec_b32 s39, s35
	s_cbranch_execnz .LBB839_296
.LBB839_230:                            ;   in Loop: Header=BB839_104 Depth=2
	s_or_b32 exec_lo, exec_lo, s39
	s_and_saveexec_b32 s39, s36
	s_cbranch_execnz .LBB839_297
.LBB839_231:                            ;   in Loop: Header=BB839_104 Depth=2
	s_or_b32 exec_lo, exec_lo, s39
	s_and_saveexec_b32 s39, s37
	s_cbranch_execnz .LBB839_298
.LBB839_232:                            ;   in Loop: Header=BB839_104 Depth=2
	s_or_b32 exec_lo, exec_lo, s39
	s_and_saveexec_b32 s39, s38
	s_cbranch_execz .LBB839_234
.LBB839_233:                            ;   in Loop: Header=BB839_104 Depth=2
	ds_read_b64 v[39:40], v108 offset:31232
	s_waitcnt lgkmcnt(0)
	v_lshrrev_b64 v[39:40], s47, v[39:40]
	v_and_b32_e32 v151, s63, v39
.LBB839_234:                            ;   in Loop: Header=BB839_104 Depth=2
	s_or_b32 exec_lo, exec_lo, s39
	s_waitcnt vmcnt(0)
	s_waitcnt_vscnt null, 0x0
	s_barrier
	buffer_gl0_inv
	ds_write_b64 v71, v[37:38] offset:512
	ds_write_b64 v72, v[35:36] offset:512
	;; [unrolled: 1-line block ×16, first 2 shown]
	s_waitcnt lgkmcnt(0)
	s_barrier
	buffer_gl0_inv
	s_and_saveexec_b32 s39, vcc_lo
	s_cbranch_execnz .LBB839_299
; %bb.235:                              ;   in Loop: Header=BB839_104 Depth=2
	s_or_b32 exec_lo, exec_lo, s39
	s_and_saveexec_b32 s39, s23
	s_cbranch_execnz .LBB839_300
.LBB839_236:                            ;   in Loop: Header=BB839_104 Depth=2
	s_or_b32 exec_lo, exec_lo, s39
	s_and_saveexec_b32 s23, s24
	s_cbranch_execnz .LBB839_301
.LBB839_237:                            ;   in Loop: Header=BB839_104 Depth=2
	s_or_b32 exec_lo, exec_lo, s23
	s_and_saveexec_b32 s23, s25
	s_cbranch_execnz .LBB839_302
.LBB839_238:                            ;   in Loop: Header=BB839_104 Depth=2
	s_or_b32 exec_lo, exec_lo, s23
	s_and_saveexec_b32 s23, s26
	s_cbranch_execnz .LBB839_303
.LBB839_239:                            ;   in Loop: Header=BB839_104 Depth=2
	s_or_b32 exec_lo, exec_lo, s23
	s_and_saveexec_b32 s23, s27
	s_cbranch_execnz .LBB839_304
.LBB839_240:                            ;   in Loop: Header=BB839_104 Depth=2
	s_or_b32 exec_lo, exec_lo, s23
	s_and_saveexec_b32 s23, s28
	s_cbranch_execnz .LBB839_305
.LBB839_241:                            ;   in Loop: Header=BB839_104 Depth=2
	s_or_b32 exec_lo, exec_lo, s23
	s_and_saveexec_b32 s23, s29
	s_cbranch_execnz .LBB839_306
.LBB839_242:                            ;   in Loop: Header=BB839_104 Depth=2
	s_or_b32 exec_lo, exec_lo, s23
	s_and_saveexec_b32 s23, s30
	s_cbranch_execnz .LBB839_307
.LBB839_243:                            ;   in Loop: Header=BB839_104 Depth=2
	s_or_b32 exec_lo, exec_lo, s23
	s_and_saveexec_b32 s23, s31
	s_cbranch_execnz .LBB839_308
.LBB839_244:                            ;   in Loop: Header=BB839_104 Depth=2
	s_or_b32 exec_lo, exec_lo, s23
	s_and_saveexec_b32 s23, s33
	s_cbranch_execnz .LBB839_309
.LBB839_245:                            ;   in Loop: Header=BB839_104 Depth=2
	s_or_b32 exec_lo, exec_lo, s23
	s_and_saveexec_b32 s23, s34
	s_cbranch_execnz .LBB839_310
.LBB839_246:                            ;   in Loop: Header=BB839_104 Depth=2
	s_or_b32 exec_lo, exec_lo, s23
	s_and_saveexec_b32 s23, s35
	s_cbranch_execnz .LBB839_311
.LBB839_247:                            ;   in Loop: Header=BB839_104 Depth=2
	s_or_b32 exec_lo, exec_lo, s23
	s_and_saveexec_b32 s23, s36
	s_cbranch_execnz .LBB839_312
.LBB839_248:                            ;   in Loop: Header=BB839_104 Depth=2
	s_or_b32 exec_lo, exec_lo, s23
	s_and_saveexec_b32 s23, s37
	s_cbranch_execnz .LBB839_313
.LBB839_249:                            ;   in Loop: Header=BB839_104 Depth=2
	s_or_b32 exec_lo, exec_lo, s23
	s_and_saveexec_b32 s23, s38
	s_cbranch_execz .LBB839_251
.LBB839_250:                            ;   in Loop: Header=BB839_104 Depth=2
	v_lshlrev_b32_e32 v3, 2, v151
	ds_read_b32 v3, v3
	ds_read_b64 v[39:40], v108 offset:31232
	s_waitcnt lgkmcnt(1)
	v_add_nc_u32_e32 v3, v3, v92
	v_lshlrev_b64 v[41:42], 3, v[3:4]
	v_add_co_u32 v41, vcc_lo, s48, v41
	v_add_co_ci_u32_e64 v42, null, s49, v42, vcc_lo
	s_waitcnt lgkmcnt(0)
	global_store_dwordx2 v[41:42], v[39:40], off
.LBB839_251:                            ;   in Loop: Header=BB839_104 Depth=2
	s_or_b32 exec_lo, exec_lo, s23
	s_waitcnt_vscnt null, 0x0
	s_barrier
	buffer_gl0_inv
	s_and_saveexec_b32 s23, s8
	s_cbranch_execz .LBB839_103
; %bb.252:                              ;   in Loop: Header=BB839_104 Depth=2
	ds_read_b32 v3, v75
	s_waitcnt lgkmcnt(0)
	v_add3_u32 v3, v165, v168, v3
	ds_write_b32 v75, v3
	s_branch .LBB839_103
.LBB839_253:                            ;   in Loop: Header=BB839_104 Depth=2
	ds_read_b64 v[39:40], v108 offset:512
	s_waitcnt lgkmcnt(0)
	v_lshrrev_b64 v[53:54], s47, v[39:40]
	v_xor_b32_e32 v40, 0x80000000, v40
	v_and_b32_e32 v3, s63, v53
	v_lshlrev_b32_e32 v3, 2, v3
	ds_read_b32 v3, v3
	s_waitcnt lgkmcnt(0)
	v_add_nc_u32_e32 v3, v3, v0
	v_lshlrev_b64 v[53:54], 3, v[3:4]
	v_add_co_u32 v53, s23, s42, v53
	v_add_co_ci_u32_e64 v54, null, s43, v54, s23
	global_store_dwordx2 v[53:54], v[39:40], off
	s_or_b32 exec_lo, exec_lo, s24
	v_cmp_lt_u32_e64 s23, v76, v169
	s_and_saveexec_b32 s25, s23
	s_cbranch_execz .LBB839_186
.LBB839_254:                            ;   in Loop: Header=BB839_104 Depth=2
	ds_read_b64 v[39:40], v108 offset:2560
	s_waitcnt lgkmcnt(0)
	v_lshrrev_b64 v[53:54], s47, v[39:40]
	v_xor_b32_e32 v40, 0x80000000, v40
	v_and_b32_e32 v3, s63, v53
	v_lshlrev_b32_e32 v3, 2, v3
	ds_read_b32 v3, v3
	s_waitcnt lgkmcnt(0)
	v_add_nc_u32_e32 v3, v3, v76
	v_lshlrev_b64 v[53:54], 3, v[3:4]
	v_add_co_u32 v53, s24, s42, v53
	v_add_co_ci_u32_e64 v54, null, s43, v54, s24
	global_store_dwordx2 v[53:54], v[39:40], off
	s_or_b32 exec_lo, exec_lo, s25
	v_cmp_lt_u32_e64 s24, v79, v169
	s_and_saveexec_b32 s26, s24
	s_cbranch_execz .LBB839_187
.LBB839_255:                            ;   in Loop: Header=BB839_104 Depth=2
	ds_read_b64 v[39:40], v108 offset:4608
	s_waitcnt lgkmcnt(0)
	v_lshrrev_b64 v[53:54], s47, v[39:40]
	v_xor_b32_e32 v40, 0x80000000, v40
	v_and_b32_e32 v3, s63, v53
	v_lshlrev_b32_e32 v3, 2, v3
	ds_read_b32 v3, v3
	s_waitcnt lgkmcnt(0)
	v_add_nc_u32_e32 v3, v3, v79
	v_lshlrev_b64 v[53:54], 3, v[3:4]
	v_add_co_u32 v53, s25, s42, v53
	v_add_co_ci_u32_e64 v54, null, s43, v54, s25
	global_store_dwordx2 v[53:54], v[39:40], off
	s_or_b32 exec_lo, exec_lo, s26
	v_cmp_lt_u32_e64 s25, v80, v169
	s_and_saveexec_b32 s27, s25
	s_cbranch_execz .LBB839_188
.LBB839_256:                            ;   in Loop: Header=BB839_104 Depth=2
	ds_read_b64 v[39:40], v108 offset:6656
	s_waitcnt lgkmcnt(0)
	v_lshrrev_b64 v[53:54], s47, v[39:40]
	v_xor_b32_e32 v40, 0x80000000, v40
	v_and_b32_e32 v3, s63, v53
	v_lshlrev_b32_e32 v3, 2, v3
	ds_read_b32 v3, v3
	s_waitcnt lgkmcnt(0)
	v_add_nc_u32_e32 v3, v3, v80
	v_lshlrev_b64 v[53:54], 3, v[3:4]
	v_add_co_u32 v53, s26, s42, v53
	v_add_co_ci_u32_e64 v54, null, s43, v54, s26
	global_store_dwordx2 v[53:54], v[39:40], off
	s_or_b32 exec_lo, exec_lo, s27
	v_cmp_lt_u32_e64 s26, v81, v169
	s_and_saveexec_b32 s28, s26
	s_cbranch_execz .LBB839_189
.LBB839_257:                            ;   in Loop: Header=BB839_104 Depth=2
	ds_read_b64 v[39:40], v108 offset:8704
	s_waitcnt lgkmcnt(0)
	v_lshrrev_b64 v[53:54], s47, v[39:40]
	v_xor_b32_e32 v40, 0x80000000, v40
	v_and_b32_e32 v3, s63, v53
	v_lshlrev_b32_e32 v3, 2, v3
	ds_read_b32 v3, v3
	s_waitcnt lgkmcnt(0)
	v_add_nc_u32_e32 v3, v3, v81
	v_lshlrev_b64 v[53:54], 3, v[3:4]
	v_add_co_u32 v53, s27, s42, v53
	v_add_co_ci_u32_e64 v54, null, s43, v54, s27
	global_store_dwordx2 v[53:54], v[39:40], off
	s_or_b32 exec_lo, exec_lo, s28
	v_cmp_lt_u32_e64 s27, v82, v169
	s_and_saveexec_b32 s29, s27
	s_cbranch_execz .LBB839_190
.LBB839_258:                            ;   in Loop: Header=BB839_104 Depth=2
	ds_read_b64 v[39:40], v108 offset:10752
	s_waitcnt lgkmcnt(0)
	v_lshrrev_b64 v[53:54], s47, v[39:40]
	v_xor_b32_e32 v40, 0x80000000, v40
	v_and_b32_e32 v3, s63, v53
	v_lshlrev_b32_e32 v3, 2, v3
	ds_read_b32 v3, v3
	s_waitcnt lgkmcnt(0)
	v_add_nc_u32_e32 v3, v3, v82
	v_lshlrev_b64 v[53:54], 3, v[3:4]
	v_add_co_u32 v53, s28, s42, v53
	v_add_co_ci_u32_e64 v54, null, s43, v54, s28
	global_store_dwordx2 v[53:54], v[39:40], off
	s_or_b32 exec_lo, exec_lo, s29
	v_cmp_lt_u32_e64 s28, v83, v169
	s_and_saveexec_b32 s30, s28
	s_cbranch_execz .LBB839_191
.LBB839_259:                            ;   in Loop: Header=BB839_104 Depth=2
	ds_read_b64 v[39:40], v108 offset:12800
	s_waitcnt lgkmcnt(0)
	v_lshrrev_b64 v[53:54], s47, v[39:40]
	v_xor_b32_e32 v40, 0x80000000, v40
	v_and_b32_e32 v3, s63, v53
	v_lshlrev_b32_e32 v3, 2, v3
	ds_read_b32 v3, v3
	s_waitcnt lgkmcnt(0)
	v_add_nc_u32_e32 v3, v3, v83
	v_lshlrev_b64 v[53:54], 3, v[3:4]
	v_add_co_u32 v53, s29, s42, v53
	v_add_co_ci_u32_e64 v54, null, s43, v54, s29
	global_store_dwordx2 v[53:54], v[39:40], off
	s_or_b32 exec_lo, exec_lo, s30
	v_cmp_lt_u32_e64 s29, v84, v169
	s_and_saveexec_b32 s31, s29
	s_cbranch_execz .LBB839_192
.LBB839_260:                            ;   in Loop: Header=BB839_104 Depth=2
	ds_read_b64 v[39:40], v108 offset:14848
	s_waitcnt lgkmcnt(0)
	v_lshrrev_b64 v[53:54], s47, v[39:40]
	v_xor_b32_e32 v40, 0x80000000, v40
	v_and_b32_e32 v3, s63, v53
	v_lshlrev_b32_e32 v3, 2, v3
	ds_read_b32 v3, v3
	s_waitcnt lgkmcnt(0)
	v_add_nc_u32_e32 v3, v3, v84
	v_lshlrev_b64 v[53:54], 3, v[3:4]
	v_add_co_u32 v53, s30, s42, v53
	v_add_co_ci_u32_e64 v54, null, s43, v54, s30
	global_store_dwordx2 v[53:54], v[39:40], off
	s_or_b32 exec_lo, exec_lo, s31
	v_cmp_lt_u32_e64 s30, v85, v169
	s_and_saveexec_b32 s33, s30
	s_cbranch_execz .LBB839_193
.LBB839_261:                            ;   in Loop: Header=BB839_104 Depth=2
	ds_read_b64 v[39:40], v108 offset:16896
	s_waitcnt lgkmcnt(0)
	v_lshrrev_b64 v[53:54], s47, v[39:40]
	v_xor_b32_e32 v40, 0x80000000, v40
	v_and_b32_e32 v3, s63, v53
	v_lshlrev_b32_e32 v3, 2, v3
	ds_read_b32 v3, v3
	s_waitcnt lgkmcnt(0)
	v_add_nc_u32_e32 v3, v3, v85
	v_lshlrev_b64 v[53:54], 3, v[3:4]
	v_add_co_u32 v53, s31, s42, v53
	v_add_co_ci_u32_e64 v54, null, s43, v54, s31
	global_store_dwordx2 v[53:54], v[39:40], off
	s_or_b32 exec_lo, exec_lo, s33
	v_cmp_lt_u32_e64 s31, v86, v169
	s_and_saveexec_b32 s34, s31
	s_cbranch_execz .LBB839_194
.LBB839_262:                            ;   in Loop: Header=BB839_104 Depth=2
	ds_read_b64 v[39:40], v108 offset:18944
	s_waitcnt lgkmcnt(0)
	v_lshrrev_b64 v[53:54], s47, v[39:40]
	v_xor_b32_e32 v40, 0x80000000, v40
	v_and_b32_e32 v3, s63, v53
	v_lshlrev_b32_e32 v3, 2, v3
	ds_read_b32 v3, v3
	s_waitcnt lgkmcnt(0)
	v_add_nc_u32_e32 v3, v3, v86
	v_lshlrev_b64 v[53:54], 3, v[3:4]
	v_add_co_u32 v53, s33, s42, v53
	v_add_co_ci_u32_e64 v54, null, s43, v54, s33
	global_store_dwordx2 v[53:54], v[39:40], off
	s_or_b32 exec_lo, exec_lo, s34
	v_cmp_lt_u32_e64 s33, v87, v169
	s_and_saveexec_b32 s35, s33
	s_cbranch_execz .LBB839_195
.LBB839_263:                            ;   in Loop: Header=BB839_104 Depth=2
	ds_read_b64 v[39:40], v108 offset:20992
	s_waitcnt lgkmcnt(0)
	v_lshrrev_b64 v[53:54], s47, v[39:40]
	v_xor_b32_e32 v40, 0x80000000, v40
	v_and_b32_e32 v3, s63, v53
	v_lshlrev_b32_e32 v3, 2, v3
	ds_read_b32 v3, v3
	s_waitcnt lgkmcnt(0)
	v_add_nc_u32_e32 v3, v3, v87
	v_lshlrev_b64 v[53:54], 3, v[3:4]
	v_add_co_u32 v53, s34, s42, v53
	v_add_co_ci_u32_e64 v54, null, s43, v54, s34
	global_store_dwordx2 v[53:54], v[39:40], off
	s_or_b32 exec_lo, exec_lo, s35
	v_cmp_lt_u32_e64 s34, v88, v169
	s_and_saveexec_b32 s36, s34
	s_cbranch_execz .LBB839_196
.LBB839_264:                            ;   in Loop: Header=BB839_104 Depth=2
	ds_read_b64 v[39:40], v108 offset:23040
	s_waitcnt lgkmcnt(0)
	v_lshrrev_b64 v[53:54], s47, v[39:40]
	v_xor_b32_e32 v40, 0x80000000, v40
	v_and_b32_e32 v3, s63, v53
	v_lshlrev_b32_e32 v3, 2, v3
	ds_read_b32 v3, v3
	s_waitcnt lgkmcnt(0)
	v_add_nc_u32_e32 v3, v3, v88
	v_lshlrev_b64 v[53:54], 3, v[3:4]
	v_add_co_u32 v53, s35, s42, v53
	v_add_co_ci_u32_e64 v54, null, s43, v54, s35
	global_store_dwordx2 v[53:54], v[39:40], off
	s_or_b32 exec_lo, exec_lo, s36
	v_cmp_lt_u32_e64 s35, v89, v169
	s_and_saveexec_b32 s37, s35
	s_cbranch_execz .LBB839_197
.LBB839_265:                            ;   in Loop: Header=BB839_104 Depth=2
	ds_read_b64 v[39:40], v108 offset:25088
	s_waitcnt lgkmcnt(0)
	v_lshrrev_b64 v[53:54], s47, v[39:40]
	v_xor_b32_e32 v40, 0x80000000, v40
	v_and_b32_e32 v3, s63, v53
	v_lshlrev_b32_e32 v3, 2, v3
	ds_read_b32 v3, v3
	s_waitcnt lgkmcnt(0)
	v_add_nc_u32_e32 v3, v3, v89
	v_lshlrev_b64 v[53:54], 3, v[3:4]
	v_add_co_u32 v53, s36, s42, v53
	v_add_co_ci_u32_e64 v54, null, s43, v54, s36
	global_store_dwordx2 v[53:54], v[39:40], off
	s_or_b32 exec_lo, exec_lo, s37
	v_cmp_lt_u32_e64 s36, v90, v169
	s_and_saveexec_b32 s38, s36
	s_cbranch_execz .LBB839_198
.LBB839_266:                            ;   in Loop: Header=BB839_104 Depth=2
	ds_read_b64 v[39:40], v108 offset:27136
	s_waitcnt lgkmcnt(0)
	v_lshrrev_b64 v[53:54], s47, v[39:40]
	v_xor_b32_e32 v40, 0x80000000, v40
	v_and_b32_e32 v3, s63, v53
	v_lshlrev_b32_e32 v3, 2, v3
	ds_read_b32 v3, v3
	s_waitcnt lgkmcnt(0)
	v_add_nc_u32_e32 v3, v3, v90
	v_lshlrev_b64 v[53:54], 3, v[3:4]
	v_add_co_u32 v53, s37, s42, v53
	v_add_co_ci_u32_e64 v54, null, s43, v54, s37
	global_store_dwordx2 v[53:54], v[39:40], off
	s_or_b32 exec_lo, exec_lo, s38
	v_cmp_lt_u32_e64 s37, v91, v169
	s_and_saveexec_b32 s39, s37
	s_cbranch_execz .LBB839_199
.LBB839_267:                            ;   in Loop: Header=BB839_104 Depth=2
	ds_read_b64 v[39:40], v108 offset:29184
	s_waitcnt lgkmcnt(0)
	v_lshrrev_b64 v[53:54], s47, v[39:40]
	v_xor_b32_e32 v40, 0x80000000, v40
	v_and_b32_e32 v3, s63, v53
	v_lshlrev_b32_e32 v3, 2, v3
	ds_read_b32 v3, v3
	s_waitcnt lgkmcnt(0)
	v_add_nc_u32_e32 v3, v3, v91
	v_lshlrev_b64 v[53:54], 3, v[3:4]
	v_add_co_u32 v53, s38, s42, v53
	v_add_co_ci_u32_e64 v54, null, s43, v54, s38
	global_store_dwordx2 v[53:54], v[39:40], off
	s_or_b32 exec_lo, exec_lo, s39
	v_cmp_lt_u32_e64 s38, v92, v169
	s_and_saveexec_b32 s66, s38
	s_cbranch_execnz .LBB839_200
	s_branch .LBB839_201
.LBB839_268:                            ;   in Loop: Header=BB839_104 Depth=2
	global_load_dwordx2 v[37:38], v[39:40], off
	s_or_b32 exec_lo, exec_lo, s39
	s_mov_b32 s56, exec_lo
	v_cmpx_lt_u32_e64 v133, v169
	s_cbranch_execz .LBB839_203
.LBB839_269:                            ;   in Loop: Header=BB839_104 Depth=2
	global_load_dwordx2 v[35:36], v[39:40], off offset:256
	s_or_b32 exec_lo, exec_lo, s56
	s_mov_b32 s56, exec_lo
	v_cmpx_lt_u32_e64 v134, v169
	s_cbranch_execz .LBB839_204
.LBB839_270:                            ;   in Loop: Header=BB839_104 Depth=2
	global_load_dwordx2 v[33:34], v[39:40], off offset:512
	s_or_b32 exec_lo, exec_lo, s56
	s_mov_b32 s56, exec_lo
	v_cmpx_lt_u32_e64 v135, v169
	s_cbranch_execz .LBB839_205
.LBB839_271:                            ;   in Loop: Header=BB839_104 Depth=2
	global_load_dwordx2 v[31:32], v[39:40], off offset:768
	s_or_b32 exec_lo, exec_lo, s56
	s_mov_b32 s56, exec_lo
	v_cmpx_lt_u32_e64 v136, v169
	s_cbranch_execz .LBB839_206
.LBB839_272:                            ;   in Loop: Header=BB839_104 Depth=2
	global_load_dwordx2 v[29:30], v[39:40], off offset:1024
	s_or_b32 exec_lo, exec_lo, s56
	s_mov_b32 s56, exec_lo
	v_cmpx_lt_u32_e64 v137, v169
	s_cbranch_execz .LBB839_207
.LBB839_273:                            ;   in Loop: Header=BB839_104 Depth=2
	global_load_dwordx2 v[25:26], v[39:40], off offset:1280
	s_or_b32 exec_lo, exec_lo, s56
	s_mov_b32 s56, exec_lo
	v_cmpx_lt_u32_e64 v138, v169
	s_cbranch_execz .LBB839_208
.LBB839_274:                            ;   in Loop: Header=BB839_104 Depth=2
	global_load_dwordx2 v[21:22], v[39:40], off offset:1536
	s_or_b32 exec_lo, exec_lo, s56
	s_mov_b32 s56, exec_lo
	v_cmpx_lt_u32_e64 v139, v169
	s_cbranch_execz .LBB839_209
.LBB839_275:                            ;   in Loop: Header=BB839_104 Depth=2
	global_load_dwordx2 v[17:18], v[39:40], off offset:1792
	s_or_b32 exec_lo, exec_lo, s56
	s_mov_b32 s56, exec_lo
	v_cmpx_lt_u32_e64 v140, v169
	s_cbranch_execz .LBB839_210
.LBB839_276:                            ;   in Loop: Header=BB839_104 Depth=2
	v_add_co_u32 v27, s39, 0x800, v39
	v_add_co_ci_u32_e64 v28, null, 0, v40, s39
	global_load_dwordx2 v[27:28], v[27:28], off
	s_or_b32 exec_lo, exec_lo, s56
	s_mov_b32 s56, exec_lo
	v_cmpx_lt_u32_e64 v141, v169
	s_cbranch_execz .LBB839_211
.LBB839_277:                            ;   in Loop: Header=BB839_104 Depth=2
	v_add_co_u32 v23, s39, 0x800, v39
	v_add_co_ci_u32_e64 v24, null, 0, v40, s39
	global_load_dwordx2 v[23:24], v[23:24], off offset:256
	s_or_b32 exec_lo, exec_lo, s56
	s_mov_b32 s56, exec_lo
	v_cmpx_lt_u32_e64 v142, v169
	s_cbranch_execz .LBB839_212
.LBB839_278:                            ;   in Loop: Header=BB839_104 Depth=2
	v_add_co_u32 v19, s39, 0x800, v39
	v_add_co_ci_u32_e64 v20, null, 0, v40, s39
	global_load_dwordx2 v[19:20], v[19:20], off offset:512
	s_or_b32 exec_lo, exec_lo, s56
	s_mov_b32 s56, exec_lo
	v_cmpx_lt_u32_e64 v143, v169
	s_cbranch_execz .LBB839_213
.LBB839_279:                            ;   in Loop: Header=BB839_104 Depth=2
	v_add_co_u32 v15, s39, 0x800, v39
	v_add_co_ci_u32_e64 v16, null, 0, v40, s39
	global_load_dwordx2 v[15:16], v[15:16], off offset:768
	s_or_b32 exec_lo, exec_lo, s56
	s_mov_b32 s56, exec_lo
	v_cmpx_lt_u32_e64 v144, v169
	s_cbranch_execz .LBB839_214
.LBB839_280:                            ;   in Loop: Header=BB839_104 Depth=2
	v_add_co_u32 v13, s39, 0x800, v39
	v_add_co_ci_u32_e64 v14, null, 0, v40, s39
	global_load_dwordx2 v[13:14], v[13:14], off offset:1024
	s_or_b32 exec_lo, exec_lo, s56
	s_mov_b32 s56, exec_lo
	v_cmpx_lt_u32_e64 v145, v169
	s_cbranch_execz .LBB839_215
.LBB839_281:                            ;   in Loop: Header=BB839_104 Depth=2
	v_add_co_u32 v11, s39, 0x800, v39
	v_add_co_ci_u32_e64 v12, null, 0, v40, s39
	global_load_dwordx2 v[11:12], v[11:12], off offset:1280
	s_or_b32 exec_lo, exec_lo, s56
	s_mov_b32 s56, exec_lo
	v_cmpx_lt_u32_e64 v146, v169
	s_cbranch_execz .LBB839_216
.LBB839_282:                            ;   in Loop: Header=BB839_104 Depth=2
	v_add_co_u32 v9, s39, 0x800, v39
	v_add_co_ci_u32_e64 v10, null, 0, v40, s39
	global_load_dwordx2 v[9:10], v[9:10], off offset:1536
	s_or_b32 exec_lo, exec_lo, s56
	s_mov_b32 s56, exec_lo
	v_cmpx_lt_u32_e64 v147, v169
	s_cbranch_execz .LBB839_217
.LBB839_283:                            ;   in Loop: Header=BB839_104 Depth=2
	v_add_co_u32 v7, s39, 0x800, v39
	v_add_co_ci_u32_e64 v8, null, 0, v40, s39
	global_load_dwordx2 v[7:8], v[7:8], off offset:1792
	s_or_b32 exec_lo, exec_lo, s56
	s_and_saveexec_b32 s39, vcc_lo
	s_cbranch_execz .LBB839_218
.LBB839_284:                            ;   in Loop: Header=BB839_104 Depth=2
	ds_read_b64 v[39:40], v108 offset:512
	s_waitcnt lgkmcnt(0)
	v_lshrrev_b64 v[39:40], s47, v[39:40]
	v_and_b32_e32 v167, s63, v39
	s_or_b32 exec_lo, exec_lo, s39
	s_and_saveexec_b32 s39, s23
	s_cbranch_execz .LBB839_219
.LBB839_285:                            ;   in Loop: Header=BB839_104 Depth=2
	ds_read_b64 v[39:40], v108 offset:2560
	s_waitcnt lgkmcnt(0)
	v_lshrrev_b64 v[39:40], s47, v[39:40]
	v_and_b32_e32 v166, s63, v39
	s_or_b32 exec_lo, exec_lo, s39
	s_and_saveexec_b32 s39, s24
	s_cbranch_execz .LBB839_220
.LBB839_286:                            ;   in Loop: Header=BB839_104 Depth=2
	ds_read_b64 v[39:40], v108 offset:4608
	s_waitcnt lgkmcnt(0)
	v_lshrrev_b64 v[39:40], s47, v[39:40]
	v_and_b32_e32 v164, s63, v39
	s_or_b32 exec_lo, exec_lo, s39
	s_and_saveexec_b32 s39, s25
	s_cbranch_execz .LBB839_221
.LBB839_287:                            ;   in Loop: Header=BB839_104 Depth=2
	ds_read_b64 v[39:40], v108 offset:6656
	s_waitcnt lgkmcnt(0)
	v_lshrrev_b64 v[39:40], s47, v[39:40]
	v_and_b32_e32 v163, s63, v39
	s_or_b32 exec_lo, exec_lo, s39
	s_and_saveexec_b32 s39, s26
	s_cbranch_execz .LBB839_222
.LBB839_288:                            ;   in Loop: Header=BB839_104 Depth=2
	ds_read_b64 v[39:40], v108 offset:8704
	s_waitcnt lgkmcnt(0)
	v_lshrrev_b64 v[39:40], s47, v[39:40]
	v_and_b32_e32 v162, s63, v39
	s_or_b32 exec_lo, exec_lo, s39
	s_and_saveexec_b32 s39, s27
	s_cbranch_execz .LBB839_223
.LBB839_289:                            ;   in Loop: Header=BB839_104 Depth=2
	ds_read_b64 v[39:40], v108 offset:10752
	s_waitcnt lgkmcnt(0)
	v_lshrrev_b64 v[39:40], s47, v[39:40]
	v_and_b32_e32 v161, s63, v39
	s_or_b32 exec_lo, exec_lo, s39
	s_and_saveexec_b32 s39, s28
	s_cbranch_execz .LBB839_224
.LBB839_290:                            ;   in Loop: Header=BB839_104 Depth=2
	ds_read_b64 v[39:40], v108 offset:12800
	s_waitcnt lgkmcnt(0)
	v_lshrrev_b64 v[39:40], s47, v[39:40]
	v_and_b32_e32 v160, s63, v39
	s_or_b32 exec_lo, exec_lo, s39
	s_and_saveexec_b32 s39, s29
	s_cbranch_execz .LBB839_225
.LBB839_291:                            ;   in Loop: Header=BB839_104 Depth=2
	ds_read_b64 v[39:40], v108 offset:14848
	s_waitcnt lgkmcnt(0)
	v_lshrrev_b64 v[39:40], s47, v[39:40]
	v_and_b32_e32 v159, s63, v39
	s_or_b32 exec_lo, exec_lo, s39
	s_and_saveexec_b32 s39, s30
	s_cbranch_execz .LBB839_226
.LBB839_292:                            ;   in Loop: Header=BB839_104 Depth=2
	ds_read_b64 v[39:40], v108 offset:16896
	s_waitcnt lgkmcnt(0)
	v_lshrrev_b64 v[39:40], s47, v[39:40]
	v_and_b32_e32 v158, s63, v39
	s_or_b32 exec_lo, exec_lo, s39
	s_and_saveexec_b32 s39, s31
	s_cbranch_execz .LBB839_227
.LBB839_293:                            ;   in Loop: Header=BB839_104 Depth=2
	ds_read_b64 v[39:40], v108 offset:18944
	s_waitcnt lgkmcnt(0)
	v_lshrrev_b64 v[39:40], s47, v[39:40]
	v_and_b32_e32 v157, s63, v39
	s_or_b32 exec_lo, exec_lo, s39
	s_and_saveexec_b32 s39, s33
	s_cbranch_execz .LBB839_228
.LBB839_294:                            ;   in Loop: Header=BB839_104 Depth=2
	ds_read_b64 v[39:40], v108 offset:20992
	s_waitcnt lgkmcnt(0)
	v_lshrrev_b64 v[39:40], s47, v[39:40]
	v_and_b32_e32 v156, s63, v39
	s_or_b32 exec_lo, exec_lo, s39
	s_and_saveexec_b32 s39, s34
	s_cbranch_execz .LBB839_229
.LBB839_295:                            ;   in Loop: Header=BB839_104 Depth=2
	ds_read_b64 v[39:40], v108 offset:23040
	s_waitcnt lgkmcnt(0)
	v_lshrrev_b64 v[39:40], s47, v[39:40]
	v_and_b32_e32 v155, s63, v39
	s_or_b32 exec_lo, exec_lo, s39
	s_and_saveexec_b32 s39, s35
	s_cbranch_execz .LBB839_230
.LBB839_296:                            ;   in Loop: Header=BB839_104 Depth=2
	ds_read_b64 v[39:40], v108 offset:25088
	s_waitcnt lgkmcnt(0)
	v_lshrrev_b64 v[39:40], s47, v[39:40]
	v_and_b32_e32 v154, s63, v39
	s_or_b32 exec_lo, exec_lo, s39
	s_and_saveexec_b32 s39, s36
	s_cbranch_execz .LBB839_231
.LBB839_297:                            ;   in Loop: Header=BB839_104 Depth=2
	ds_read_b64 v[39:40], v108 offset:27136
	s_waitcnt lgkmcnt(0)
	v_lshrrev_b64 v[39:40], s47, v[39:40]
	v_and_b32_e32 v153, s63, v39
	s_or_b32 exec_lo, exec_lo, s39
	s_and_saveexec_b32 s39, s37
	s_cbranch_execz .LBB839_232
.LBB839_298:                            ;   in Loop: Header=BB839_104 Depth=2
	ds_read_b64 v[39:40], v108 offset:29184
	s_waitcnt lgkmcnt(0)
	v_lshrrev_b64 v[39:40], s47, v[39:40]
	v_and_b32_e32 v152, s63, v39
	s_or_b32 exec_lo, exec_lo, s39
	s_and_saveexec_b32 s39, s38
	s_cbranch_execnz .LBB839_233
	s_branch .LBB839_234
.LBB839_299:                            ;   in Loop: Header=BB839_104 Depth=2
	v_lshlrev_b32_e32 v3, 2, v167
	ds_read_b32 v3, v3
	ds_read_b64 v[39:40], v108 offset:512
	s_waitcnt lgkmcnt(1)
	v_add_nc_u32_e32 v3, v3, v0
	v_lshlrev_b64 v[41:42], 3, v[3:4]
	v_add_co_u32 v41, vcc_lo, s48, v41
	v_add_co_ci_u32_e64 v42, null, s49, v42, vcc_lo
	s_waitcnt lgkmcnt(0)
	global_store_dwordx2 v[41:42], v[39:40], off
	s_or_b32 exec_lo, exec_lo, s39
	s_and_saveexec_b32 s39, s23
	s_cbranch_execz .LBB839_236
.LBB839_300:                            ;   in Loop: Header=BB839_104 Depth=2
	v_lshlrev_b32_e32 v3, 2, v166
	ds_read_b32 v3, v3
	ds_read_b64 v[39:40], v108 offset:2560
	s_waitcnt lgkmcnt(1)
	v_add_nc_u32_e32 v3, v3, v76
	v_lshlrev_b64 v[41:42], 3, v[3:4]
	v_add_co_u32 v41, vcc_lo, s48, v41
	v_add_co_ci_u32_e64 v42, null, s49, v42, vcc_lo
	s_waitcnt lgkmcnt(0)
	global_store_dwordx2 v[41:42], v[39:40], off
	s_or_b32 exec_lo, exec_lo, s39
	s_and_saveexec_b32 s23, s24
	s_cbranch_execz .LBB839_237
.LBB839_301:                            ;   in Loop: Header=BB839_104 Depth=2
	v_lshlrev_b32_e32 v3, 2, v164
	ds_read_b32 v3, v3
	ds_read_b64 v[39:40], v108 offset:4608
	s_waitcnt lgkmcnt(1)
	v_add_nc_u32_e32 v3, v3, v79
	v_lshlrev_b64 v[41:42], 3, v[3:4]
	v_add_co_u32 v41, vcc_lo, s48, v41
	v_add_co_ci_u32_e64 v42, null, s49, v42, vcc_lo
	s_waitcnt lgkmcnt(0)
	global_store_dwordx2 v[41:42], v[39:40], off
	s_or_b32 exec_lo, exec_lo, s23
	s_and_saveexec_b32 s23, s25
	s_cbranch_execz .LBB839_238
.LBB839_302:                            ;   in Loop: Header=BB839_104 Depth=2
	v_lshlrev_b32_e32 v3, 2, v163
	ds_read_b32 v3, v3
	ds_read_b64 v[39:40], v108 offset:6656
	s_waitcnt lgkmcnt(1)
	v_add_nc_u32_e32 v3, v3, v80
	v_lshlrev_b64 v[41:42], 3, v[3:4]
	v_add_co_u32 v41, vcc_lo, s48, v41
	v_add_co_ci_u32_e64 v42, null, s49, v42, vcc_lo
	s_waitcnt lgkmcnt(0)
	global_store_dwordx2 v[41:42], v[39:40], off
	s_or_b32 exec_lo, exec_lo, s23
	s_and_saveexec_b32 s23, s26
	s_cbranch_execz .LBB839_239
.LBB839_303:                            ;   in Loop: Header=BB839_104 Depth=2
	v_lshlrev_b32_e32 v3, 2, v162
	ds_read_b32 v3, v3
	ds_read_b64 v[39:40], v108 offset:8704
	s_waitcnt lgkmcnt(1)
	v_add_nc_u32_e32 v3, v3, v81
	v_lshlrev_b64 v[41:42], 3, v[3:4]
	v_add_co_u32 v41, vcc_lo, s48, v41
	v_add_co_ci_u32_e64 v42, null, s49, v42, vcc_lo
	s_waitcnt lgkmcnt(0)
	global_store_dwordx2 v[41:42], v[39:40], off
	s_or_b32 exec_lo, exec_lo, s23
	s_and_saveexec_b32 s23, s27
	s_cbranch_execz .LBB839_240
.LBB839_304:                            ;   in Loop: Header=BB839_104 Depth=2
	v_lshlrev_b32_e32 v3, 2, v161
	ds_read_b32 v3, v3
	ds_read_b64 v[39:40], v108 offset:10752
	s_waitcnt lgkmcnt(1)
	v_add_nc_u32_e32 v3, v3, v82
	v_lshlrev_b64 v[41:42], 3, v[3:4]
	v_add_co_u32 v41, vcc_lo, s48, v41
	v_add_co_ci_u32_e64 v42, null, s49, v42, vcc_lo
	s_waitcnt lgkmcnt(0)
	global_store_dwordx2 v[41:42], v[39:40], off
	s_or_b32 exec_lo, exec_lo, s23
	s_and_saveexec_b32 s23, s28
	s_cbranch_execz .LBB839_241
.LBB839_305:                            ;   in Loop: Header=BB839_104 Depth=2
	v_lshlrev_b32_e32 v3, 2, v160
	ds_read_b32 v3, v3
	ds_read_b64 v[39:40], v108 offset:12800
	s_waitcnt lgkmcnt(1)
	v_add_nc_u32_e32 v3, v3, v83
	v_lshlrev_b64 v[41:42], 3, v[3:4]
	v_add_co_u32 v41, vcc_lo, s48, v41
	v_add_co_ci_u32_e64 v42, null, s49, v42, vcc_lo
	s_waitcnt lgkmcnt(0)
	global_store_dwordx2 v[41:42], v[39:40], off
	s_or_b32 exec_lo, exec_lo, s23
	s_and_saveexec_b32 s23, s29
	s_cbranch_execz .LBB839_242
.LBB839_306:                            ;   in Loop: Header=BB839_104 Depth=2
	v_lshlrev_b32_e32 v3, 2, v159
	ds_read_b32 v3, v3
	ds_read_b64 v[39:40], v108 offset:14848
	s_waitcnt lgkmcnt(1)
	v_add_nc_u32_e32 v3, v3, v84
	v_lshlrev_b64 v[41:42], 3, v[3:4]
	v_add_co_u32 v41, vcc_lo, s48, v41
	v_add_co_ci_u32_e64 v42, null, s49, v42, vcc_lo
	s_waitcnt lgkmcnt(0)
	global_store_dwordx2 v[41:42], v[39:40], off
	s_or_b32 exec_lo, exec_lo, s23
	s_and_saveexec_b32 s23, s30
	s_cbranch_execz .LBB839_243
.LBB839_307:                            ;   in Loop: Header=BB839_104 Depth=2
	v_lshlrev_b32_e32 v3, 2, v158
	ds_read_b32 v3, v3
	ds_read_b64 v[39:40], v108 offset:16896
	s_waitcnt lgkmcnt(1)
	v_add_nc_u32_e32 v3, v3, v85
	v_lshlrev_b64 v[41:42], 3, v[3:4]
	v_add_co_u32 v41, vcc_lo, s48, v41
	v_add_co_ci_u32_e64 v42, null, s49, v42, vcc_lo
	s_waitcnt lgkmcnt(0)
	global_store_dwordx2 v[41:42], v[39:40], off
	s_or_b32 exec_lo, exec_lo, s23
	s_and_saveexec_b32 s23, s31
	s_cbranch_execz .LBB839_244
.LBB839_308:                            ;   in Loop: Header=BB839_104 Depth=2
	v_lshlrev_b32_e32 v3, 2, v157
	ds_read_b32 v3, v3
	ds_read_b64 v[39:40], v108 offset:18944
	s_waitcnt lgkmcnt(1)
	v_add_nc_u32_e32 v3, v3, v86
	v_lshlrev_b64 v[41:42], 3, v[3:4]
	v_add_co_u32 v41, vcc_lo, s48, v41
	v_add_co_ci_u32_e64 v42, null, s49, v42, vcc_lo
	s_waitcnt lgkmcnt(0)
	global_store_dwordx2 v[41:42], v[39:40], off
	s_or_b32 exec_lo, exec_lo, s23
	s_and_saveexec_b32 s23, s33
	s_cbranch_execz .LBB839_245
.LBB839_309:                            ;   in Loop: Header=BB839_104 Depth=2
	v_lshlrev_b32_e32 v3, 2, v156
	ds_read_b32 v3, v3
	ds_read_b64 v[39:40], v108 offset:20992
	s_waitcnt lgkmcnt(1)
	v_add_nc_u32_e32 v3, v3, v87
	v_lshlrev_b64 v[41:42], 3, v[3:4]
	v_add_co_u32 v41, vcc_lo, s48, v41
	v_add_co_ci_u32_e64 v42, null, s49, v42, vcc_lo
	s_waitcnt lgkmcnt(0)
	global_store_dwordx2 v[41:42], v[39:40], off
	s_or_b32 exec_lo, exec_lo, s23
	s_and_saveexec_b32 s23, s34
	s_cbranch_execz .LBB839_246
.LBB839_310:                            ;   in Loop: Header=BB839_104 Depth=2
	v_lshlrev_b32_e32 v3, 2, v155
	ds_read_b32 v3, v3
	ds_read_b64 v[39:40], v108 offset:23040
	s_waitcnt lgkmcnt(1)
	v_add_nc_u32_e32 v3, v3, v88
	v_lshlrev_b64 v[41:42], 3, v[3:4]
	v_add_co_u32 v41, vcc_lo, s48, v41
	v_add_co_ci_u32_e64 v42, null, s49, v42, vcc_lo
	s_waitcnt lgkmcnt(0)
	global_store_dwordx2 v[41:42], v[39:40], off
	s_or_b32 exec_lo, exec_lo, s23
	s_and_saveexec_b32 s23, s35
	s_cbranch_execz .LBB839_247
.LBB839_311:                            ;   in Loop: Header=BB839_104 Depth=2
	v_lshlrev_b32_e32 v3, 2, v154
	ds_read_b32 v3, v3
	ds_read_b64 v[39:40], v108 offset:25088
	s_waitcnt lgkmcnt(1)
	v_add_nc_u32_e32 v3, v3, v89
	v_lshlrev_b64 v[41:42], 3, v[3:4]
	v_add_co_u32 v41, vcc_lo, s48, v41
	v_add_co_ci_u32_e64 v42, null, s49, v42, vcc_lo
	s_waitcnt lgkmcnt(0)
	global_store_dwordx2 v[41:42], v[39:40], off
	s_or_b32 exec_lo, exec_lo, s23
	s_and_saveexec_b32 s23, s36
	s_cbranch_execz .LBB839_248
.LBB839_312:                            ;   in Loop: Header=BB839_104 Depth=2
	v_lshlrev_b32_e32 v3, 2, v153
	ds_read_b32 v3, v3
	ds_read_b64 v[39:40], v108 offset:27136
	s_waitcnt lgkmcnt(1)
	v_add_nc_u32_e32 v3, v3, v90
	v_lshlrev_b64 v[41:42], 3, v[3:4]
	v_add_co_u32 v41, vcc_lo, s48, v41
	v_add_co_ci_u32_e64 v42, null, s49, v42, vcc_lo
	s_waitcnt lgkmcnt(0)
	global_store_dwordx2 v[41:42], v[39:40], off
	s_or_b32 exec_lo, exec_lo, s23
	s_and_saveexec_b32 s23, s37
	s_cbranch_execz .LBB839_249
.LBB839_313:                            ;   in Loop: Header=BB839_104 Depth=2
	v_lshlrev_b32_e32 v3, 2, v152
	ds_read_b32 v3, v3
	ds_read_b64 v[39:40], v108 offset:29184
	s_waitcnt lgkmcnt(1)
	v_add_nc_u32_e32 v3, v3, v91
	v_lshlrev_b64 v[41:42], 3, v[3:4]
	v_add_co_u32 v41, vcc_lo, s48, v41
	v_add_co_ci_u32_e64 v42, null, s49, v42, vcc_lo
	s_waitcnt lgkmcnt(0)
	global_store_dwordx2 v[41:42], v[39:40], off
	s_or_b32 exec_lo, exec_lo, s23
	s_and_saveexec_b32 s23, s38
	s_cbranch_execnz .LBB839_250
	s_branch .LBB839_251
.LBB839_314:                            ;   in Loop: Header=BB839_20 Depth=1
	s_waitcnt lgkmcnt(0)
	s_mov_b32 s5, 0
	s_barrier
.LBB839_315:                            ;   in Loop: Header=BB839_20 Depth=1
	s_and_b32 vcc_lo, exec_lo, s5
	s_cbranch_vccz .LBB839_609
; %bb.316:                              ;   in Loop: Header=BB839_20 Depth=1
	s_mov_b32 s5, s62
	s_mov_b32 s56, s60
	s_barrier
	buffer_gl0_inv
                                        ; implicit-def: $vgpr7_vgpr8
                                        ; implicit-def: $vgpr9_vgpr10
                                        ; implicit-def: $vgpr11_vgpr12
                                        ; implicit-def: $vgpr13_vgpr14
                                        ; implicit-def: $vgpr15_vgpr16
                                        ; implicit-def: $vgpr17_vgpr18
                                        ; implicit-def: $vgpr19_vgpr20
                                        ; implicit-def: $vgpr21_vgpr22
                                        ; implicit-def: $vgpr23_vgpr24
                                        ; implicit-def: $vgpr25_vgpr26
                                        ; implicit-def: $vgpr27_vgpr28
                                        ; implicit-def: $vgpr29_vgpr30
                                        ; implicit-def: $vgpr31_vgpr32
                                        ; implicit-def: $vgpr33_vgpr34
                                        ; implicit-def: $vgpr35_vgpr36
                                        ; implicit-def: $vgpr37_vgpr38
	s_branch .LBB839_318
.LBB839_317:                            ;   in Loop: Header=BB839_318 Depth=2
	s_or_b32 exec_lo, exec_lo, s16
	s_addk_i32 s5, 0xf000
	s_cmp_ge_u32 s15, s61
	s_mov_b32 s56, s15
	s_cbranch_scc1 .LBB839_386
.LBB839_318:                            ;   Parent Loop BB839_20 Depth=1
                                        ; =>  This Inner Loop Header: Depth=2
	s_add_i32 s15, s56, 0x1000
	s_mov_b32 s16, -1
	s_cmp_gt_u32 s15, s61
                                        ; implicit-def: $vgpr49_vgpr50
                                        ; implicit-def: $vgpr53_vgpr54
                                        ; implicit-def: $vgpr57_vgpr58
                                        ; implicit-def: $vgpr39_vgpr40
                                        ; implicit-def: $vgpr41_vgpr42
                                        ; implicit-def: $vgpr43_vgpr44
                                        ; implicit-def: $vgpr45_vgpr46
                                        ; implicit-def: $vgpr47_vgpr48
                                        ; implicit-def: $vgpr51_vgpr52
                                        ; implicit-def: $vgpr55_vgpr56
                                        ; implicit-def: $vgpr59_vgpr60
                                        ; implicit-def: $vgpr61_vgpr62
                                        ; implicit-def: $vgpr63_vgpr64
                                        ; implicit-def: $vgpr65_vgpr66
                                        ; implicit-def: $vgpr67_vgpr68
                                        ; implicit-def: $vgpr69_vgpr70
	s_cbranch_scc1 .LBB839_320
; %bb.319:                              ;   in Loop: Header=BB839_318 Depth=2
	s_lshl_b64 s[16:17], s[56:57], 3
	v_add_co_u32 v49, vcc_lo, v109, s16
	v_add_co_ci_u32_e64 v50, null, s17, v110, vcc_lo
	s_mov_b32 s16, 0
	v_add_co_u32 v57, vcc_lo, v49, 0x1000
	v_add_co_ci_u32_e64 v58, null, 0, v50, vcc_lo
	v_add_co_u32 v41, vcc_lo, v49, 0x2000
	v_add_co_ci_u32_e64 v42, null, 0, v50, vcc_lo
	;; [unrolled: 2-line block ×5, first 2 shown]
	s_clause 0x7
	global_load_dwordx2 v[39:40], v[41:42], off offset:-2048
	global_load_dwordx2 v[41:42], v[41:42], off
	global_load_dwordx2 v[43:44], v[45:46], off offset:-2048
	global_load_dwordx2 v[45:46], v[45:46], off
	;; [unrolled: 2-line block ×4, first 2 shown]
	v_add_co_u32 v53, vcc_lo, v49, 0x6000
	v_add_co_ci_u32_e64 v54, null, 0, v50, vcc_lo
	v_add_co_u32 v67, vcc_lo, v49, 0x7000
	v_add_co_ci_u32_e64 v68, null, 0, v50, vcc_lo
	;; [unrolled: 2-line block ×3, first 2 shown]
	s_clause 0x7
	global_load_dwordx2 v[61:62], v[53:54], off offset:-2048
	global_load_dwordx2 v[63:64], v[53:54], off
	global_load_dwordx2 v[65:66], v[67:68], off offset:-2048
	global_load_dwordx2 v[67:68], v[67:68], off
	global_load_dwordx2 v[49:50], v[49:50], off
	global_load_dwordx2 v[53:54], v[57:58], off offset:-2048
	global_load_dwordx2 v[57:58], v[57:58], off
	global_load_dwordx2 v[69:70], v[69:70], off
.LBB839_320:                            ;   in Loop: Header=BB839_318 Depth=2
	s_andn2_b32 vcc_lo, exec_lo, s16
	s_movk_i32 s16, 0x1000
	s_cbranch_vccnz .LBB839_339
; %bb.321:                              ;   in Loop: Header=BB839_318 Depth=2
	s_lshl_b64 s[16:17], s[56:57], 3
	s_mov_b32 s18, exec_lo
	s_add_u32 s16, s42, s16
	s_addc_u32 s17, s43, s17
	v_cmpx_gt_u32_e64 s5, v0
	s_cbranch_execnz .LBB839_371
; %bb.322:                              ;   in Loop: Header=BB839_318 Depth=2
	s_or_b32 exec_lo, exec_lo, s18
	s_mov_b32 s18, exec_lo
	v_cmpx_gt_u32_e64 s5, v76
	s_cbranch_execnz .LBB839_372
.LBB839_323:                            ;   in Loop: Header=BB839_318 Depth=2
	s_or_b32 exec_lo, exec_lo, s18
	s_mov_b32 s18, exec_lo
	v_cmpx_gt_u32_e64 s5, v79
	s_cbranch_execnz .LBB839_373
.LBB839_324:                            ;   in Loop: Header=BB839_318 Depth=2
	s_or_b32 exec_lo, exec_lo, s18
	s_mov_b32 s18, exec_lo
	v_cmpx_gt_u32_e64 s5, v80
	s_cbranch_execnz .LBB839_374
.LBB839_325:                            ;   in Loop: Header=BB839_318 Depth=2
	s_or_b32 exec_lo, exec_lo, s18
	s_mov_b32 s18, exec_lo
	v_cmpx_gt_u32_e64 s5, v81
	s_cbranch_execnz .LBB839_375
.LBB839_326:                            ;   in Loop: Header=BB839_318 Depth=2
	s_or_b32 exec_lo, exec_lo, s18
	s_mov_b32 s18, exec_lo
	v_cmpx_gt_u32_e64 s5, v82
	s_cbranch_execnz .LBB839_376
.LBB839_327:                            ;   in Loop: Header=BB839_318 Depth=2
	s_or_b32 exec_lo, exec_lo, s18
	s_mov_b32 s18, exec_lo
	v_cmpx_gt_u32_e64 s5, v83
	s_cbranch_execnz .LBB839_377
.LBB839_328:                            ;   in Loop: Header=BB839_318 Depth=2
	s_or_b32 exec_lo, exec_lo, s18
	s_mov_b32 s18, exec_lo
	v_cmpx_gt_u32_e64 s5, v84
	s_cbranch_execnz .LBB839_378
.LBB839_329:                            ;   in Loop: Header=BB839_318 Depth=2
	s_or_b32 exec_lo, exec_lo, s18
	s_mov_b32 s18, exec_lo
	v_cmpx_gt_u32_e64 s5, v85
	s_cbranch_execnz .LBB839_379
.LBB839_330:                            ;   in Loop: Header=BB839_318 Depth=2
	s_or_b32 exec_lo, exec_lo, s18
	s_mov_b32 s18, exec_lo
	v_cmpx_gt_u32_e64 s5, v86
	s_cbranch_execnz .LBB839_380
.LBB839_331:                            ;   in Loop: Header=BB839_318 Depth=2
	s_or_b32 exec_lo, exec_lo, s18
	s_mov_b32 s18, exec_lo
	v_cmpx_gt_u32_e64 s5, v87
	s_cbranch_execnz .LBB839_381
.LBB839_332:                            ;   in Loop: Header=BB839_318 Depth=2
	s_or_b32 exec_lo, exec_lo, s18
	s_mov_b32 s18, exec_lo
	v_cmpx_gt_u32_e64 s5, v88
	s_cbranch_execnz .LBB839_382
.LBB839_333:                            ;   in Loop: Header=BB839_318 Depth=2
	s_or_b32 exec_lo, exec_lo, s18
	s_mov_b32 s18, exec_lo
	v_cmpx_gt_u32_e64 s5, v89
	s_cbranch_execnz .LBB839_383
.LBB839_334:                            ;   in Loop: Header=BB839_318 Depth=2
	s_or_b32 exec_lo, exec_lo, s18
	s_mov_b32 s18, exec_lo
	v_cmpx_gt_u32_e64 s5, v90
	s_cbranch_execnz .LBB839_384
.LBB839_335:                            ;   in Loop: Header=BB839_318 Depth=2
	s_or_b32 exec_lo, exec_lo, s18
	s_mov_b32 s18, exec_lo
	v_cmpx_gt_u32_e64 s5, v91
	s_cbranch_execnz .LBB839_385
.LBB839_336:                            ;   in Loop: Header=BB839_318 Depth=2
	s_or_b32 exec_lo, exec_lo, s18
	s_mov_b32 s18, exec_lo
	v_cmpx_gt_u32_e64 s5, v92
	s_cbranch_execz .LBB839_338
.LBB839_337:                            ;   in Loop: Header=BB839_318 Depth=2
	v_lshlrev_b32_e32 v3, 3, v92
	global_load_dwordx2 v[7:8], v3, s[16:17]
.LBB839_338:                            ;   in Loop: Header=BB839_318 Depth=2
	s_or_b32 exec_lo, exec_lo, s18
	s_waitcnt vmcnt(0)
	v_mov_b32_e32 v50, v38
	v_mov_b32_e32 v54, v36
	;; [unrolled: 1-line block ×32, first 2 shown]
	s_mov_b32 s16, s5
.LBB839_339:                            ;   in Loop: Header=BB839_318 Depth=2
	s_waitcnt vmcnt(0)
	v_mov_b32_e32 v7, v69
	v_mov_b32_e32 v9, v67
	;; [unrolled: 1-line block ×32, first 2 shown]
	s_mov_b32 s17, exec_lo
	v_cmpx_gt_u32_e64 s16, v0
	s_cbranch_execnz .LBB839_355
; %bb.340:                              ;   in Loop: Header=BB839_318 Depth=2
	s_or_b32 exec_lo, exec_lo, s17
	s_mov_b32 s17, exec_lo
	v_cmpx_gt_u32_e64 s16, v76
	s_cbranch_execnz .LBB839_356
.LBB839_341:                            ;   in Loop: Header=BB839_318 Depth=2
	s_or_b32 exec_lo, exec_lo, s17
	s_mov_b32 s17, exec_lo
	v_cmpx_gt_u32_e64 s16, v79
	s_cbranch_execnz .LBB839_357
.LBB839_342:                            ;   in Loop: Header=BB839_318 Depth=2
	s_or_b32 exec_lo, exec_lo, s17
	s_mov_b32 s17, exec_lo
	v_cmpx_gt_u32_e64 s16, v80
	s_cbranch_execnz .LBB839_358
.LBB839_343:                            ;   in Loop: Header=BB839_318 Depth=2
	s_or_b32 exec_lo, exec_lo, s17
	s_mov_b32 s17, exec_lo
	v_cmpx_gt_u32_e64 s16, v81
	s_cbranch_execnz .LBB839_359
.LBB839_344:                            ;   in Loop: Header=BB839_318 Depth=2
	s_or_b32 exec_lo, exec_lo, s17
	s_mov_b32 s17, exec_lo
	v_cmpx_gt_u32_e64 s16, v82
	s_cbranch_execnz .LBB839_360
.LBB839_345:                            ;   in Loop: Header=BB839_318 Depth=2
	s_or_b32 exec_lo, exec_lo, s17
	s_mov_b32 s17, exec_lo
	v_cmpx_gt_u32_e64 s16, v83
	s_cbranch_execnz .LBB839_361
.LBB839_346:                            ;   in Loop: Header=BB839_318 Depth=2
	s_or_b32 exec_lo, exec_lo, s17
	s_mov_b32 s17, exec_lo
	v_cmpx_gt_u32_e64 s16, v84
	s_cbranch_execnz .LBB839_362
.LBB839_347:                            ;   in Loop: Header=BB839_318 Depth=2
	s_or_b32 exec_lo, exec_lo, s17
	s_mov_b32 s17, exec_lo
	v_cmpx_gt_u32_e64 s16, v85
	s_cbranch_execnz .LBB839_363
.LBB839_348:                            ;   in Loop: Header=BB839_318 Depth=2
	s_or_b32 exec_lo, exec_lo, s17
	s_mov_b32 s17, exec_lo
	v_cmpx_gt_u32_e64 s16, v86
	s_cbranch_execnz .LBB839_364
.LBB839_349:                            ;   in Loop: Header=BB839_318 Depth=2
	s_or_b32 exec_lo, exec_lo, s17
	s_mov_b32 s17, exec_lo
	v_cmpx_gt_u32_e64 s16, v87
	s_cbranch_execnz .LBB839_365
.LBB839_350:                            ;   in Loop: Header=BB839_318 Depth=2
	s_or_b32 exec_lo, exec_lo, s17
	s_mov_b32 s17, exec_lo
	v_cmpx_gt_u32_e64 s16, v88
	s_cbranch_execnz .LBB839_366
.LBB839_351:                            ;   in Loop: Header=BB839_318 Depth=2
	s_or_b32 exec_lo, exec_lo, s17
	s_mov_b32 s17, exec_lo
	v_cmpx_gt_u32_e64 s16, v89
	s_cbranch_execnz .LBB839_367
.LBB839_352:                            ;   in Loop: Header=BB839_318 Depth=2
	s_or_b32 exec_lo, exec_lo, s17
	s_mov_b32 s17, exec_lo
	v_cmpx_gt_u32_e64 s16, v90
	s_cbranch_execnz .LBB839_368
.LBB839_353:                            ;   in Loop: Header=BB839_318 Depth=2
	s_or_b32 exec_lo, exec_lo, s17
	s_mov_b32 s17, exec_lo
	v_cmpx_gt_u32_e64 s16, v91
	s_cbranch_execnz .LBB839_369
.LBB839_354:                            ;   in Loop: Header=BB839_318 Depth=2
	s_or_b32 exec_lo, exec_lo, s17
	v_cmp_gt_u32_e32 vcc_lo, s16, v92
	s_and_saveexec_b32 s16, vcc_lo
	s_cbranch_execz .LBB839_317
	s_branch .LBB839_370
.LBB839_355:                            ;   in Loop: Header=BB839_318 Depth=2
	v_xor_b32_e32 v40, 0x80000000, v38
	v_mov_b32_e32 v39, v37
	v_lshrrev_b64 v[39:40], s47, v[39:40]
	v_and_b32_e32 v3, s63, v39
	v_lshl_or_b32 v3, v3, 4, v93
	ds_add_u32 v3, v121
	s_or_b32 exec_lo, exec_lo, s17
	s_mov_b32 s17, exec_lo
	v_cmpx_gt_u32_e64 s16, v76
	s_cbranch_execz .LBB839_341
.LBB839_356:                            ;   in Loop: Header=BB839_318 Depth=2
	v_xor_b32_e32 v40, 0x80000000, v36
	v_mov_b32_e32 v39, v35
	v_lshrrev_b64 v[39:40], s47, v[39:40]
	v_and_b32_e32 v3, s63, v39
	v_lshl_or_b32 v3, v3, 4, v93
	ds_add_u32 v3, v121
	s_or_b32 exec_lo, exec_lo, s17
	s_mov_b32 s17, exec_lo
	v_cmpx_gt_u32_e64 s16, v79
	s_cbranch_execz .LBB839_342
.LBB839_357:                            ;   in Loop: Header=BB839_318 Depth=2
	v_xor_b32_e32 v40, 0x80000000, v34
	v_mov_b32_e32 v39, v33
	v_lshrrev_b64 v[39:40], s47, v[39:40]
	v_and_b32_e32 v3, s63, v39
	v_lshl_or_b32 v3, v3, 4, v93
	ds_add_u32 v3, v121
	s_or_b32 exec_lo, exec_lo, s17
	s_mov_b32 s17, exec_lo
	v_cmpx_gt_u32_e64 s16, v80
	s_cbranch_execz .LBB839_343
.LBB839_358:                            ;   in Loop: Header=BB839_318 Depth=2
	v_xor_b32_e32 v40, 0x80000000, v32
	v_mov_b32_e32 v39, v31
	v_lshrrev_b64 v[39:40], s47, v[39:40]
	v_and_b32_e32 v3, s63, v39
	v_lshl_or_b32 v3, v3, 4, v93
	ds_add_u32 v3, v121
	s_or_b32 exec_lo, exec_lo, s17
	s_mov_b32 s17, exec_lo
	v_cmpx_gt_u32_e64 s16, v81
	s_cbranch_execz .LBB839_344
.LBB839_359:                            ;   in Loop: Header=BB839_318 Depth=2
	v_xor_b32_e32 v40, 0x80000000, v30
	v_mov_b32_e32 v39, v29
	v_lshrrev_b64 v[39:40], s47, v[39:40]
	v_and_b32_e32 v3, s63, v39
	v_lshl_or_b32 v3, v3, 4, v93
	ds_add_u32 v3, v121
	s_or_b32 exec_lo, exec_lo, s17
	s_mov_b32 s17, exec_lo
	v_cmpx_gt_u32_e64 s16, v82
	s_cbranch_execz .LBB839_345
.LBB839_360:                            ;   in Loop: Header=BB839_318 Depth=2
	v_xor_b32_e32 v40, 0x80000000, v28
	v_mov_b32_e32 v39, v27
	v_lshrrev_b64 v[39:40], s47, v[39:40]
	v_and_b32_e32 v3, s63, v39
	v_lshl_or_b32 v3, v3, 4, v93
	ds_add_u32 v3, v121
	s_or_b32 exec_lo, exec_lo, s17
	s_mov_b32 s17, exec_lo
	v_cmpx_gt_u32_e64 s16, v83
	s_cbranch_execz .LBB839_346
.LBB839_361:                            ;   in Loop: Header=BB839_318 Depth=2
	v_xor_b32_e32 v40, 0x80000000, v26
	v_mov_b32_e32 v39, v25
	v_lshrrev_b64 v[39:40], s47, v[39:40]
	v_and_b32_e32 v3, s63, v39
	v_lshl_or_b32 v3, v3, 4, v93
	ds_add_u32 v3, v121
	s_or_b32 exec_lo, exec_lo, s17
	s_mov_b32 s17, exec_lo
	v_cmpx_gt_u32_e64 s16, v84
	s_cbranch_execz .LBB839_347
.LBB839_362:                            ;   in Loop: Header=BB839_318 Depth=2
	v_xor_b32_e32 v40, 0x80000000, v24
	v_mov_b32_e32 v39, v23
	v_lshrrev_b64 v[39:40], s47, v[39:40]
	v_and_b32_e32 v3, s63, v39
	v_lshl_or_b32 v3, v3, 4, v93
	ds_add_u32 v3, v121
	s_or_b32 exec_lo, exec_lo, s17
	s_mov_b32 s17, exec_lo
	v_cmpx_gt_u32_e64 s16, v85
	s_cbranch_execz .LBB839_348
.LBB839_363:                            ;   in Loop: Header=BB839_318 Depth=2
	v_xor_b32_e32 v40, 0x80000000, v22
	v_mov_b32_e32 v39, v21
	v_lshrrev_b64 v[39:40], s47, v[39:40]
	v_and_b32_e32 v3, s63, v39
	v_lshl_or_b32 v3, v3, 4, v93
	ds_add_u32 v3, v121
	s_or_b32 exec_lo, exec_lo, s17
	s_mov_b32 s17, exec_lo
	v_cmpx_gt_u32_e64 s16, v86
	s_cbranch_execz .LBB839_349
.LBB839_364:                            ;   in Loop: Header=BB839_318 Depth=2
	v_xor_b32_e32 v40, 0x80000000, v20
	v_mov_b32_e32 v39, v19
	v_lshrrev_b64 v[39:40], s47, v[39:40]
	v_and_b32_e32 v3, s63, v39
	v_lshl_or_b32 v3, v3, 4, v93
	ds_add_u32 v3, v121
	s_or_b32 exec_lo, exec_lo, s17
	s_mov_b32 s17, exec_lo
	v_cmpx_gt_u32_e64 s16, v87
	s_cbranch_execz .LBB839_350
.LBB839_365:                            ;   in Loop: Header=BB839_318 Depth=2
	v_xor_b32_e32 v40, 0x80000000, v18
	v_mov_b32_e32 v39, v17
	v_lshrrev_b64 v[39:40], s47, v[39:40]
	v_and_b32_e32 v3, s63, v39
	v_lshl_or_b32 v3, v3, 4, v93
	ds_add_u32 v3, v121
	s_or_b32 exec_lo, exec_lo, s17
	s_mov_b32 s17, exec_lo
	v_cmpx_gt_u32_e64 s16, v88
	s_cbranch_execz .LBB839_351
.LBB839_366:                            ;   in Loop: Header=BB839_318 Depth=2
	v_xor_b32_e32 v40, 0x80000000, v16
	v_mov_b32_e32 v39, v15
	v_lshrrev_b64 v[39:40], s47, v[39:40]
	v_and_b32_e32 v3, s63, v39
	v_lshl_or_b32 v3, v3, 4, v93
	ds_add_u32 v3, v121
	s_or_b32 exec_lo, exec_lo, s17
	s_mov_b32 s17, exec_lo
	v_cmpx_gt_u32_e64 s16, v89
	s_cbranch_execz .LBB839_352
.LBB839_367:                            ;   in Loop: Header=BB839_318 Depth=2
	v_xor_b32_e32 v40, 0x80000000, v14
	v_mov_b32_e32 v39, v13
	v_lshrrev_b64 v[39:40], s47, v[39:40]
	v_and_b32_e32 v3, s63, v39
	v_lshl_or_b32 v3, v3, 4, v93
	ds_add_u32 v3, v121
	s_or_b32 exec_lo, exec_lo, s17
	s_mov_b32 s17, exec_lo
	v_cmpx_gt_u32_e64 s16, v90
	s_cbranch_execz .LBB839_353
.LBB839_368:                            ;   in Loop: Header=BB839_318 Depth=2
	v_xor_b32_e32 v40, 0x80000000, v12
	v_mov_b32_e32 v39, v11
	v_lshrrev_b64 v[39:40], s47, v[39:40]
	v_and_b32_e32 v3, s63, v39
	v_lshl_or_b32 v3, v3, 4, v93
	ds_add_u32 v3, v121
	s_or_b32 exec_lo, exec_lo, s17
	s_mov_b32 s17, exec_lo
	v_cmpx_gt_u32_e64 s16, v91
	s_cbranch_execz .LBB839_354
.LBB839_369:                            ;   in Loop: Header=BB839_318 Depth=2
	v_xor_b32_e32 v40, 0x80000000, v10
	v_mov_b32_e32 v39, v9
	v_lshrrev_b64 v[39:40], s47, v[39:40]
	v_and_b32_e32 v3, s63, v39
	v_lshl_or_b32 v3, v3, 4, v93
	ds_add_u32 v3, v121
	s_or_b32 exec_lo, exec_lo, s17
	v_cmp_gt_u32_e32 vcc_lo, s16, v92
	s_and_saveexec_b32 s16, vcc_lo
	s_cbranch_execz .LBB839_317
.LBB839_370:                            ;   in Loop: Header=BB839_318 Depth=2
	v_xor_b32_e32 v40, 0x80000000, v8
	v_mov_b32_e32 v39, v7
	v_lshrrev_b64 v[39:40], s47, v[39:40]
	v_and_b32_e32 v3, s63, v39
	v_lshl_or_b32 v3, v3, 4, v93
	ds_add_u32 v3, v121
	s_branch .LBB839_317
.LBB839_371:                            ;   in Loop: Header=BB839_318 Depth=2
	global_load_dwordx2 v[37:38], v122, s[16:17]
	s_or_b32 exec_lo, exec_lo, s18
	s_mov_b32 s18, exec_lo
	v_cmpx_gt_u32_e64 s5, v76
	s_cbranch_execz .LBB839_323
.LBB839_372:                            ;   in Loop: Header=BB839_318 Depth=2
	global_load_dwordx2 v[35:36], v123, s[16:17]
	s_or_b32 exec_lo, exec_lo, s18
	s_mov_b32 s18, exec_lo
	v_cmpx_gt_u32_e64 s5, v79
	s_cbranch_execz .LBB839_324
.LBB839_373:                            ;   in Loop: Header=BB839_318 Depth=2
	global_load_dwordx2 v[33:34], v124, s[16:17]
	s_or_b32 exec_lo, exec_lo, s18
	s_mov_b32 s18, exec_lo
	v_cmpx_gt_u32_e64 s5, v80
	s_cbranch_execz .LBB839_325
.LBB839_374:                            ;   in Loop: Header=BB839_318 Depth=2
	global_load_dwordx2 v[31:32], v125, s[16:17]
	s_or_b32 exec_lo, exec_lo, s18
	s_mov_b32 s18, exec_lo
	v_cmpx_gt_u32_e64 s5, v81
	s_cbranch_execz .LBB839_326
.LBB839_375:                            ;   in Loop: Header=BB839_318 Depth=2
	global_load_dwordx2 v[29:30], v126, s[16:17]
	s_or_b32 exec_lo, exec_lo, s18
	s_mov_b32 s18, exec_lo
	v_cmpx_gt_u32_e64 s5, v82
	s_cbranch_execz .LBB839_327
.LBB839_376:                            ;   in Loop: Header=BB839_318 Depth=2
	global_load_dwordx2 v[27:28], v127, s[16:17]
	s_or_b32 exec_lo, exec_lo, s18
	s_mov_b32 s18, exec_lo
	v_cmpx_gt_u32_e64 s5, v83
	s_cbranch_execz .LBB839_328
.LBB839_377:                            ;   in Loop: Header=BB839_318 Depth=2
	v_lshlrev_b32_e32 v3, 3, v83
	global_load_dwordx2 v[25:26], v3, s[16:17]
	s_or_b32 exec_lo, exec_lo, s18
	s_mov_b32 s18, exec_lo
	v_cmpx_gt_u32_e64 s5, v84
	s_cbranch_execz .LBB839_329
.LBB839_378:                            ;   in Loop: Header=BB839_318 Depth=2
	v_lshlrev_b32_e32 v3, 3, v84
	global_load_dwordx2 v[23:24], v3, s[16:17]
	s_or_b32 exec_lo, exec_lo, s18
	s_mov_b32 s18, exec_lo
	v_cmpx_gt_u32_e64 s5, v85
	s_cbranch_execz .LBB839_330
.LBB839_379:                            ;   in Loop: Header=BB839_318 Depth=2
	v_lshlrev_b32_e32 v3, 3, v85
	global_load_dwordx2 v[21:22], v3, s[16:17]
	s_or_b32 exec_lo, exec_lo, s18
	s_mov_b32 s18, exec_lo
	v_cmpx_gt_u32_e64 s5, v86
	s_cbranch_execz .LBB839_331
.LBB839_380:                            ;   in Loop: Header=BB839_318 Depth=2
	v_lshlrev_b32_e32 v3, 3, v86
	global_load_dwordx2 v[19:20], v3, s[16:17]
	s_or_b32 exec_lo, exec_lo, s18
	s_mov_b32 s18, exec_lo
	v_cmpx_gt_u32_e64 s5, v87
	s_cbranch_execz .LBB839_332
.LBB839_381:                            ;   in Loop: Header=BB839_318 Depth=2
	v_lshlrev_b32_e32 v3, 3, v87
	global_load_dwordx2 v[17:18], v3, s[16:17]
	s_or_b32 exec_lo, exec_lo, s18
	s_mov_b32 s18, exec_lo
	v_cmpx_gt_u32_e64 s5, v88
	s_cbranch_execz .LBB839_333
.LBB839_382:                            ;   in Loop: Header=BB839_318 Depth=2
	v_lshlrev_b32_e32 v3, 3, v88
	global_load_dwordx2 v[15:16], v3, s[16:17]
	s_or_b32 exec_lo, exec_lo, s18
	s_mov_b32 s18, exec_lo
	v_cmpx_gt_u32_e64 s5, v89
	s_cbranch_execz .LBB839_334
.LBB839_383:                            ;   in Loop: Header=BB839_318 Depth=2
	v_lshlrev_b32_e32 v3, 3, v89
	global_load_dwordx2 v[13:14], v3, s[16:17]
	s_or_b32 exec_lo, exec_lo, s18
	s_mov_b32 s18, exec_lo
	v_cmpx_gt_u32_e64 s5, v90
	s_cbranch_execz .LBB839_335
.LBB839_384:                            ;   in Loop: Header=BB839_318 Depth=2
	v_lshlrev_b32_e32 v3, 3, v90
	global_load_dwordx2 v[11:12], v3, s[16:17]
	s_or_b32 exec_lo, exec_lo, s18
	s_mov_b32 s18, exec_lo
	v_cmpx_gt_u32_e64 s5, v91
	s_cbranch_execz .LBB839_336
.LBB839_385:                            ;   in Loop: Header=BB839_318 Depth=2
	v_lshlrev_b32_e32 v3, 3, v91
	global_load_dwordx2 v[9:10], v3, s[16:17]
	s_or_b32 exec_lo, exec_lo, s18
	s_mov_b32 s18, exec_lo
	v_cmpx_gt_u32_e64 s5, v92
	s_cbranch_execnz .LBB839_337
	s_branch .LBB839_338
.LBB839_386:                            ;   in Loop: Header=BB839_20 Depth=1
	v_mov_b32_e32 v3, 0
	s_waitcnt lgkmcnt(0)
	s_barrier
	buffer_gl0_inv
	s_and_saveexec_b32 s5, s8
	s_cbranch_execz .LBB839_388
; %bb.387:                              ;   in Loop: Header=BB839_20 Depth=1
	ds_read2_b64 v[7:10], v95 offset1:1
	s_waitcnt lgkmcnt(0)
	v_add_nc_u32_e32 v3, v8, v7
	v_add3_u32 v3, v3, v9, v10
.LBB839_388:                            ;   in Loop: Header=BB839_20 Depth=1
	s_or_b32 exec_lo, exec_lo, s5
	v_and_b32_e32 v7, 15, v128
	v_mov_b32_dpp v8, v3 row_shr:1 row_mask:0xf bank_mask:0xf
	v_and_b32_e32 v9, 16, v128
	v_cmp_eq_u32_e64 s5, 0, v7
	v_cmp_lt_u32_e64 s15, 1, v7
	v_cmp_lt_u32_e64 s16, 3, v7
	;; [unrolled: 1-line block ×3, first 2 shown]
	v_cmp_eq_u32_e64 s18, 0, v9
	v_cndmask_b32_e64 v8, v8, 0, s5
	v_add_nc_u32_e32 v3, v8, v3
	v_mov_b32_dpp v8, v3 row_shr:2 row_mask:0xf bank_mask:0xf
	v_cndmask_b32_e64 v8, 0, v8, s15
	v_add_nc_u32_e32 v3, v3, v8
	v_mov_b32_dpp v8, v3 row_shr:4 row_mask:0xf bank_mask:0xf
	;; [unrolled: 3-line block ×3, first 2 shown]
	v_cndmask_b32_e64 v7, 0, v8, s17
	v_bfe_i32 v8, v128, 4, 1
	v_add_nc_u32_e32 v3, v3, v7
	ds_swizzle_b32 v7, v3 offset:swizzle(BROADCAST,32,15)
	s_waitcnt lgkmcnt(0)
	v_and_b32_e32 v7, v8, v7
	v_add_nc_u32_e32 v3, v3, v7
	s_and_saveexec_b32 s19, s9
; %bb.389:                              ;   in Loop: Header=BB839_20 Depth=1
	ds_write_b32 v96, v3
; %bb.390:                              ;   in Loop: Header=BB839_20 Depth=1
	s_or_b32 exec_lo, exec_lo, s19
	s_waitcnt lgkmcnt(0)
	s_barrier
	buffer_gl0_inv
	s_and_saveexec_b32 s19, s10
	s_cbranch_execz .LBB839_392
; %bb.391:                              ;   in Loop: Header=BB839_20 Depth=1
	ds_read_b32 v7, v97
	v_and_b32_e32 v8, 3, v128
	v_cmp_ne_u32_e32 vcc_lo, 0, v8
	s_waitcnt lgkmcnt(0)
	v_mov_b32_dpp v9, v7 row_shr:1 row_mask:0xf bank_mask:0xf
	v_cndmask_b32_e32 v9, 0, v9, vcc_lo
	v_cmp_lt_u32_e32 vcc_lo, 1, v8
	v_add_nc_u32_e32 v7, v9, v7
	v_mov_b32_dpp v9, v7 row_shr:2 row_mask:0xf bank_mask:0xf
	v_cndmask_b32_e32 v8, 0, v9, vcc_lo
	v_add_nc_u32_e32 v7, v7, v8
	ds_write_b32 v97, v7
.LBB839_392:                            ;   in Loop: Header=BB839_20 Depth=1
	s_or_b32 exec_lo, exec_lo, s19
	v_mov_b32_e32 v7, 0
	s_waitcnt lgkmcnt(0)
	s_barrier
	buffer_gl0_inv
	s_and_saveexec_b32 s19, s11
; %bb.393:                              ;   in Loop: Header=BB839_20 Depth=1
	ds_read_b32 v7, v98
; %bb.394:                              ;   in Loop: Header=BB839_20 Depth=1
	s_or_b32 exec_lo, exec_lo, s19
	v_sub_co_u32 v8, s19, v128, 1
	s_waitcnt lgkmcnt(0)
	v_add_nc_u32_e32 v3, v7, v3
	s_barrier
	v_cmp_gt_i32_e32 vcc_lo, 0, v8
	buffer_gl0_inv
	v_cndmask_b32_e32 v8, v8, v128, vcc_lo
	v_lshlrev_b32_e32 v129, 2, v8
	ds_bpermute_b32 v3, v129, v3
	s_and_saveexec_b32 s20, s8
	s_cbranch_execz .LBB839_396
; %bb.395:                              ;   in Loop: Header=BB839_20 Depth=1
	s_waitcnt lgkmcnt(0)
	v_cndmask_b32_e64 v3, v3, v7, s19
	v_add_nc_u32_e32 v3, s60, v3
	ds_write_b32 v75, v3
.LBB839_396:                            ;   in Loop: Header=BB839_20 Depth=1
	s_or_b32 exec_lo, exec_lo, s20
	s_load_dwordx2 s[20:21], s[58:59], 0x0
	v_and_b32_e32 v8, 7, v128
	v_lshlrev_b32_e32 v9, 3, v128
	v_or_b32_e32 v130, v128, v99
	s_mov_b32 s64, s62
	s_mov_b32 s56, s60
                                        ; implicit-def: $vgpr11_vgpr12
                                        ; implicit-def: $vgpr13_vgpr14
                                        ; implicit-def: $vgpr15_vgpr16
                                        ; implicit-def: $vgpr19_vgpr20
                                        ; implicit-def: $vgpr23_vgpr24
                                        ; implicit-def: $vgpr27_vgpr28
                                        ; implicit-def: $vgpr17_vgpr18
                                        ; implicit-def: $vgpr21_vgpr22
                                        ; implicit-def: $vgpr25_vgpr26
                                        ; implicit-def: $vgpr29_vgpr30
                                        ; implicit-def: $vgpr31_vgpr32
                                        ; implicit-def: $vgpr33_vgpr34
                                        ; implicit-def: $vgpr35_vgpr36
                                        ; implicit-def: $vgpr37_vgpr38
                                        ; implicit-def: $vgpr151
                                        ; implicit-def: $vgpr152
                                        ; implicit-def: $vgpr153
                                        ; implicit-def: $vgpr154
                                        ; implicit-def: $vgpr155
                                        ; implicit-def: $vgpr156
                                        ; implicit-def: $vgpr157
                                        ; implicit-def: $vgpr158
                                        ; implicit-def: $vgpr159
                                        ; implicit-def: $vgpr160
                                        ; implicit-def: $vgpr161
                                        ; implicit-def: $vgpr162
                                        ; implicit-def: $vgpr163
                                        ; implicit-def: $vgpr164
                                        ; implicit-def: $vgpr166
                                        ; implicit-def: $vgpr167
                                        ; implicit-def: $vgpr165
                                        ; implicit-def: $vgpr168
	v_add_co_u32 v131, vcc_lo, v111, v9
	v_add_co_ci_u32_e64 v132, null, 0, v112, vcc_lo
	v_add_co_u32 v148, vcc_lo, v113, v9
	v_or_b32_e32 v133, 32, v130
	v_or_b32_e32 v134, 64, v130
	;; [unrolled: 1-line block ×7, first 2 shown]
	s_waitcnt lgkmcnt(0)
	s_cmp_lt_u32 s7, s21
	v_or_b32_e32 v140, 0x100, v130
	s_cselect_b32 s21, 14, 20
	v_or_b32_e32 v141, 0x120, v130
	s_add_u32 s22, s58, s21
	s_addc_u32 s23, s59, 0
	s_cmp_lt_u32 s6, s20
	global_load_ushort v3, v4, s[22:23]
	s_cselect_b32 s20, 12, 18
	v_or_b32_e32 v142, 0x140, v130
	s_add_u32 s20, s58, s20
	s_addc_u32 s21, s59, 0
	v_or_b32_e32 v143, 0x160, v130
	global_load_ushort v7, v4, s[20:21]
	v_cmp_eq_u32_e64 s20, 0, v8
	v_cmp_lt_u32_e64 s21, 1, v8
	v_cmp_lt_u32_e64 s22, 3, v8
	v_or_b32_e32 v144, 0x180, v130
	v_or_b32_e32 v145, 0x1a0, v130
	v_or_b32_e32 v146, 0x1c0, v130
	v_or_b32_e32 v147, 0x1e0, v130
	v_add_co_ci_u32_e64 v149, null, 0, v114, vcc_lo
                                        ; implicit-def: $vgpr9_vgpr10
	s_waitcnt vmcnt(1)
	v_mad_u32_u24 v3, v2, v3, v1
	s_waitcnt vmcnt(0)
	v_mad_u64_u32 v[7:8], null, v3, v7, v[0:1]
	v_lshrrev_b32_e32 v3, 3, v7
                                        ; implicit-def: $vgpr7_vgpr8
	v_and_b32_e32 v150, 0x1ffffffc, v3
	s_branch .LBB839_398
.LBB839_397:                            ;   in Loop: Header=BB839_398 Depth=2
	s_or_b32 exec_lo, exec_lo, s23
	s_addk_i32 s64, 0xf000
	s_cmp_lt_u32 s65, s61
	s_mov_b32 s56, s65
	s_cbranch_scc0 .LBB839_608
.LBB839_398:                            ;   Parent Loop BB839_20 Depth=1
                                        ; =>  This Inner Loop Header: Depth=2
	s_add_i32 s65, s56, 0x1000
	s_cmp_gt_u32 s65, s61
	s_cbranch_scc1 .LBB839_400
; %bb.399:                              ;   in Loop: Header=BB839_398 Depth=2
	s_lshl_b64 s[24:25], s[56:57], 3
	s_mov_b32 s23, -1
	v_add_co_u32 v53, vcc_lo, v148, s24
	v_add_co_ci_u32_e64 v54, null, s25, v149, vcc_lo
	v_add_co_u32 v67, vcc_lo, 0x800, v53
	v_add_co_ci_u32_e64 v68, null, 0, v54, vcc_lo
	s_clause 0xe
	global_load_dwordx2 v[41:42], v[53:54], off
	global_load_dwordx2 v[39:40], v[53:54], off offset:256
	global_load_dwordx2 v[43:44], v[53:54], off offset:512
	;; [unrolled: 1-line block ×7, first 2 shown]
	global_load_dwordx2 v[55:56], v[67:68], off
	global_load_dwordx2 v[57:58], v[67:68], off offset:256
	global_load_dwordx2 v[61:62], v[67:68], off offset:512
	;; [unrolled: 1-line block ×6, first 2 shown]
	s_movk_i32 s24, 0x1000
	s_cbranch_execz .LBB839_401
	s_branch .LBB839_432
.LBB839_400:                            ;   in Loop: Header=BB839_398 Depth=2
	s_mov_b32 s23, 0
                                        ; implicit-def: $vgpr41_vgpr42
                                        ; implicit-def: $vgpr39_vgpr40
                                        ; implicit-def: $vgpr43_vgpr44
                                        ; implicit-def: $vgpr45_vgpr46
                                        ; implicit-def: $vgpr47_vgpr48
                                        ; implicit-def: $vgpr51_vgpr52
                                        ; implicit-def: $vgpr49_vgpr50
                                        ; implicit-def: $vgpr53_vgpr54
                                        ; implicit-def: $vgpr55_vgpr56
                                        ; implicit-def: $vgpr57_vgpr58
                                        ; implicit-def: $vgpr61_vgpr62
                                        ; implicit-def: $vgpr59_vgpr60
                                        ; implicit-def: $vgpr63_vgpr64
                                        ; implicit-def: $vgpr65_vgpr66
                                        ; implicit-def: $vgpr67_vgpr68
	s_movk_i32 s24, 0x1000
.LBB839_401:                            ;   in Loop: Header=BB839_398 Depth=2
	s_waitcnt vmcnt(13)
	v_mov_b32_e32 v40, v6
	v_mov_b32_e32 v39, v5
	s_lshl_b64 s[24:25], s[56:57], 3
	s_mov_b32 s23, exec_lo
	v_add_co_u32 v69, vcc_lo, v148, s24
	v_mov_b32_e32 v42, v40
	v_add_co_ci_u32_e64 v70, null, s25, v149, vcc_lo
	v_mov_b32_e32 v41, v39
	v_cmpx_gt_u32_e64 s64, v130
	s_cbranch_execz .LBB839_403
; %bb.402:                              ;   in Loop: Header=BB839_398 Depth=2
	global_load_dwordx2 v[41:42], v[69:70], off
.LBB839_403:                            ;   in Loop: Header=BB839_398 Depth=2
	s_or_b32 exec_lo, exec_lo, s23
	s_mov_b32 s23, exec_lo
	v_cmpx_gt_u32_e64 s64, v133
	s_cbranch_execz .LBB839_405
; %bb.404:                              ;   in Loop: Header=BB839_398 Depth=2
	global_load_dwordx2 v[39:40], v[69:70], off offset:256
.LBB839_405:                            ;   in Loop: Header=BB839_398 Depth=2
	s_or_b32 exec_lo, exec_lo, s23
	s_waitcnt vmcnt(12)
	v_mov_b32_e32 v44, v6
	v_mov_b32_e32 v43, v5
	s_mov_b32 s23, exec_lo
	v_cmpx_gt_u32_e64 s64, v134
	s_cbranch_execz .LBB839_407
; %bb.406:                              ;   in Loop: Header=BB839_398 Depth=2
	global_load_dwordx2 v[43:44], v[69:70], off offset:512
.LBB839_407:                            ;   in Loop: Header=BB839_398 Depth=2
	s_or_b32 exec_lo, exec_lo, s23
	s_waitcnt vmcnt(11)
	v_mov_b32_e32 v46, v6
	v_mov_b32_e32 v45, v5
	;; [unrolled: 10-line block ×7, first 2 shown]
	s_mov_b32 s23, exec_lo
	v_cmpx_gt_u32_e64 s64, v140
	s_cbranch_execz .LBB839_419
; %bb.418:                              ;   in Loop: Header=BB839_398 Depth=2
	v_add_co_u32 v55, vcc_lo, 0x800, v69
	v_add_co_ci_u32_e64 v56, null, 0, v70, vcc_lo
	global_load_dwordx2 v[55:56], v[55:56], off
.LBB839_419:                            ;   in Loop: Header=BB839_398 Depth=2
	s_or_b32 exec_lo, exec_lo, s23
	s_waitcnt vmcnt(5)
	v_mov_b32_e32 v58, v6
	v_mov_b32_e32 v57, v5
	s_mov_b32 s23, exec_lo
	v_cmpx_gt_u32_e64 s64, v141
	s_cbranch_execz .LBB839_421
; %bb.420:                              ;   in Loop: Header=BB839_398 Depth=2
	v_add_co_u32 v57, vcc_lo, 0x800, v69
	v_add_co_ci_u32_e64 v58, null, 0, v70, vcc_lo
	global_load_dwordx2 v[57:58], v[57:58], off offset:256
.LBB839_421:                            ;   in Loop: Header=BB839_398 Depth=2
	s_or_b32 exec_lo, exec_lo, s23
	s_waitcnt vmcnt(4)
	v_mov_b32_e32 v62, v6
	v_mov_b32_e32 v61, v5
	s_mov_b32 s23, exec_lo
	v_cmpx_gt_u32_e64 s64, v142
	s_cbranch_execz .LBB839_423
; %bb.422:                              ;   in Loop: Header=BB839_398 Depth=2
	s_waitcnt vmcnt(3)
	v_add_co_u32 v59, vcc_lo, 0x800, v69
	v_add_co_ci_u32_e64 v60, null, 0, v70, vcc_lo
	global_load_dwordx2 v[61:62], v[59:60], off offset:512
.LBB839_423:                            ;   in Loop: Header=BB839_398 Depth=2
	s_or_b32 exec_lo, exec_lo, s23
	s_waitcnt vmcnt(3)
	v_mov_b32_e32 v60, v6
	v_mov_b32_e32 v59, v5
	s_mov_b32 s23, exec_lo
	v_cmpx_gt_u32_e64 s64, v143
	s_cbranch_execz .LBB839_425
; %bb.424:                              ;   in Loop: Header=BB839_398 Depth=2
	v_add_co_u32 v59, vcc_lo, 0x800, v69
	v_add_co_ci_u32_e64 v60, null, 0, v70, vcc_lo
	global_load_dwordx2 v[59:60], v[59:60], off offset:768
.LBB839_425:                            ;   in Loop: Header=BB839_398 Depth=2
	s_or_b32 exec_lo, exec_lo, s23
	s_waitcnt vmcnt(2)
	v_mov_b32_e32 v64, v6
	v_mov_b32_e32 v63, v5
	s_mov_b32 s23, exec_lo
	v_cmpx_gt_u32_e64 s64, v144
	s_cbranch_execz .LBB839_427
; %bb.426:                              ;   in Loop: Header=BB839_398 Depth=2
	v_add_co_u32 v63, vcc_lo, 0x800, v69
	v_add_co_ci_u32_e64 v64, null, 0, v70, vcc_lo
	global_load_dwordx2 v[63:64], v[63:64], off offset:1024
.LBB839_427:                            ;   in Loop: Header=BB839_398 Depth=2
	;; [unrolled: 12-line block ×4, first 2 shown]
	s_or_b32 exec_lo, exec_lo, s23
	v_cmp_gt_u32_e64 s23, s64, v147
	s_sub_i32 s24, s61, s56
.LBB839_432:                            ;   in Loop: Header=BB839_398 Depth=2
	v_mov_b32_e32 v69, -1
	v_mov_b32_e32 v70, -1
	v_mov_b32_e32 v169, s64
	s_and_saveexec_b32 s25, s23
	s_cbranch_execz .LBB839_434
; %bb.433:                              ;   in Loop: Header=BB839_398 Depth=2
	s_lshl_b64 s[26:27], s[56:57], 3
	v_mov_b32_e32 v169, s24
	v_add_co_u32 v3, vcc_lo, v148, s26
	v_add_co_ci_u32_e64 v70, null, s27, v149, vcc_lo
	v_add_co_u32 v69, vcc_lo, 0x800, v3
	v_add_co_ci_u32_e64 v70, null, 0, v70, vcc_lo
	global_load_dwordx2 v[69:70], v[69:70], off offset:1792
	s_waitcnt vmcnt(0)
	v_xor_b32_e32 v70, 0x80000000, v70
.LBB839_434:                            ;   in Loop: Header=BB839_398 Depth=2
	s_or_b32 exec_lo, exec_lo, s25
	s_waitcnt vmcnt(14)
	v_xor_b32_e32 v42, 0x80000000, v42
	ds_write2_b32 v100, v4, v4 offset0:136 offset1:137
	ds_write2_b32 v100, v4, v4 offset0:138 offset1:139
	ds_write_b32 v100, v4 offset:560
	s_waitcnt vmcnt(0) lgkmcnt(0)
	s_barrier
	v_lshrrev_b64 v[71:72], s47, v[41:42]
	buffer_gl0_inv
	; wave barrier
	v_and_b32_e32 v72, s63, v71
	v_and_b32_e32 v3, 1, v72
	v_lshlrev_b32_e32 v71, 30, v72
	v_lshlrev_b32_e32 v73, 29, v72
	;; [unrolled: 1-line block ×4, first 2 shown]
	v_add_co_u32 v3, s23, v3, -1
	v_cndmask_b32_e64 v74, 0, 1, s23
	v_not_b32_e32 v173, v71
	v_cmp_gt_i32_e64 s23, 0, v71
	v_not_b32_e32 v71, v73
	v_lshlrev_b32_e32 v172, 26, v72
	v_cmp_ne_u32_e32 vcc_lo, 0, v74
	v_ashrrev_i32_e32 v173, 31, v173
	v_lshlrev_b32_e32 v74, 25, v72
	v_ashrrev_i32_e32 v71, 31, v71
	v_mul_u32_u24_e32 v72, 36, v72
	v_xor_b32_e32 v3, vcc_lo, v3
	v_cmp_gt_i32_e32 vcc_lo, 0, v73
	v_not_b32_e32 v73, v170
	v_xor_b32_e32 v173, s23, v173
	v_cmp_gt_i32_e64 s23, 0, v170
	v_and_b32_e32 v3, exec_lo, v3
	v_not_b32_e32 v170, v171
	v_ashrrev_i32_e32 v73, 31, v73
	v_xor_b32_e32 v71, vcc_lo, v71
	v_cmp_gt_i32_e32 vcc_lo, 0, v171
	v_and_b32_e32 v3, v3, v173
	v_not_b32_e32 v171, v172
	v_ashrrev_i32_e32 v170, 31, v170
	v_xor_b32_e32 v73, s23, v73
	v_cmp_gt_i32_e64 s23, 0, v172
	v_and_b32_e32 v3, v3, v71
	v_not_b32_e32 v71, v74
	v_ashrrev_i32_e32 v171, 31, v171
	v_xor_b32_e32 v170, vcc_lo, v170
	v_cmp_gt_i32_e32 vcc_lo, 0, v74
	v_and_b32_e32 v3, v3, v73
	v_ashrrev_i32_e32 v71, 31, v71
	v_xor_b32_e32 v73, s23, v171
	v_and_b32_e32 v3, v3, v170
	v_xor_b32_e32 v71, vcc_lo, v71
	v_add_nc_u32_e32 v170, v150, v72
	v_and_b32_e32 v3, v3, v73
	v_and_b32_e32 v71, v3, v71
	v_mbcnt_lo_u32_b32 v3, v71, 0
	v_cmp_ne_u32_e64 s23, 0, v71
	v_cmp_eq_u32_e32 vcc_lo, 0, v3
	s_and_b32 s24, s23, vcc_lo
	s_and_saveexec_b32 s23, s24
; %bb.435:                              ;   in Loop: Header=BB839_398 Depth=2
	v_bcnt_u32_b32 v71, v71, 0
	ds_write_b32 v170, v71 offset:544
; %bb.436:                              ;   in Loop: Header=BB839_398 Depth=2
	s_or_b32 exec_lo, exec_lo, s23
	v_xor_b32_e32 v40, 0x80000000, v40
	; wave barrier
	v_lshrrev_b64 v[71:72], s47, v[39:40]
	v_and_b32_e32 v72, s63, v71
	v_and_b32_e32 v71, 1, v72
	v_lshlrev_b32_e32 v73, 30, v72
	v_lshlrev_b32_e32 v74, 29, v72
	v_lshlrev_b32_e32 v172, 28, v72
	v_lshlrev_b32_e32 v173, 27, v72
	v_add_co_u32 v71, s23, v71, -1
	v_cndmask_b32_e64 v171, 0, 1, s23
	v_not_b32_e32 v175, v73
	v_cmp_gt_i32_e64 s23, 0, v73
	v_not_b32_e32 v73, v74
	v_lshlrev_b32_e32 v174, 26, v72
	v_cmp_ne_u32_e32 vcc_lo, 0, v171
	v_ashrrev_i32_e32 v175, 31, v175
	v_lshlrev_b32_e32 v171, 25, v72
	v_ashrrev_i32_e32 v73, 31, v73
	v_xor_b32_e32 v71, vcc_lo, v71
	v_cmp_gt_i32_e32 vcc_lo, 0, v74
	v_not_b32_e32 v74, v172
	v_xor_b32_e32 v175, s23, v175
	v_cmp_gt_i32_e64 s23, 0, v172
	v_and_b32_e32 v71, exec_lo, v71
	v_not_b32_e32 v172, v173
	v_ashrrev_i32_e32 v74, 31, v74
	v_xor_b32_e32 v73, vcc_lo, v73
	v_cmp_gt_i32_e32 vcc_lo, 0, v173
	v_and_b32_e32 v71, v71, v175
	v_not_b32_e32 v173, v174
	v_ashrrev_i32_e32 v172, 31, v172
	v_xor_b32_e32 v74, s23, v74
	v_cmp_gt_i32_e64 s23, 0, v174
	v_and_b32_e32 v71, v71, v73
	v_not_b32_e32 v73, v171
	v_ashrrev_i32_e32 v173, 31, v173
	v_xor_b32_e32 v172, vcc_lo, v172
	v_cmp_gt_i32_e32 vcc_lo, 0, v171
	v_and_b32_e32 v71, v71, v74
	v_ashrrev_i32_e32 v73, 31, v73
	v_xor_b32_e32 v74, s23, v173
	v_mad_u32_u24 v171, v72, 36, v150
	v_mul_u32_u24_e32 v72, 36, v72
	v_and_b32_e32 v71, v71, v172
	v_xor_b32_e32 v73, vcc_lo, v73
	ds_read_b32 v171, v171 offset:544
	v_add_nc_u32_e32 v173, v150, v72
	v_and_b32_e32 v71, v71, v74
	; wave barrier
	v_and_b32_e32 v71, v71, v73
	v_mbcnt_lo_u32_b32 v172, v71, 0
	v_cmp_ne_u32_e64 s23, 0, v71
	v_cmp_eq_u32_e32 vcc_lo, 0, v172
	s_and_b32 s24, s23, vcc_lo
	s_and_saveexec_b32 s23, s24
	s_cbranch_execz .LBB839_438
; %bb.437:                              ;   in Loop: Header=BB839_398 Depth=2
	s_waitcnt lgkmcnt(0)
	v_bcnt_u32_b32 v71, v71, v171
	ds_write_b32 v173, v71 offset:544
.LBB839_438:                            ;   in Loop: Header=BB839_398 Depth=2
	s_or_b32 exec_lo, exec_lo, s23
	v_xor_b32_e32 v44, 0x80000000, v44
	; wave barrier
	v_lshrrev_b64 v[71:72], s47, v[43:44]
	v_and_b32_e32 v72, s63, v71
	v_and_b32_e32 v71, 1, v72
	v_lshlrev_b32_e32 v73, 30, v72
	v_lshlrev_b32_e32 v74, 29, v72
	v_lshlrev_b32_e32 v175, 28, v72
	v_lshlrev_b32_e32 v176, 27, v72
	v_add_co_u32 v71, s23, v71, -1
	v_cndmask_b32_e64 v174, 0, 1, s23
	v_not_b32_e32 v178, v73
	v_cmp_gt_i32_e64 s23, 0, v73
	v_not_b32_e32 v73, v74
	v_lshlrev_b32_e32 v177, 26, v72
	v_cmp_ne_u32_e32 vcc_lo, 0, v174
	v_ashrrev_i32_e32 v178, 31, v178
	v_lshlrev_b32_e32 v174, 25, v72
	v_ashrrev_i32_e32 v73, 31, v73
	v_xor_b32_e32 v71, vcc_lo, v71
	v_cmp_gt_i32_e32 vcc_lo, 0, v74
	v_not_b32_e32 v74, v175
	v_xor_b32_e32 v178, s23, v178
	v_cmp_gt_i32_e64 s23, 0, v175
	v_and_b32_e32 v71, exec_lo, v71
	v_not_b32_e32 v175, v176
	v_ashrrev_i32_e32 v74, 31, v74
	v_xor_b32_e32 v73, vcc_lo, v73
	v_cmp_gt_i32_e32 vcc_lo, 0, v176
	v_and_b32_e32 v71, v71, v178
	v_not_b32_e32 v176, v177
	v_ashrrev_i32_e32 v175, 31, v175
	v_xor_b32_e32 v74, s23, v74
	v_cmp_gt_i32_e64 s23, 0, v177
	v_and_b32_e32 v71, v71, v73
	v_not_b32_e32 v73, v174
	v_ashrrev_i32_e32 v176, 31, v176
	v_xor_b32_e32 v175, vcc_lo, v175
	v_cmp_gt_i32_e32 vcc_lo, 0, v174
	v_and_b32_e32 v71, v71, v74
	v_ashrrev_i32_e32 v73, 31, v73
	v_xor_b32_e32 v74, s23, v176
	v_mad_u32_u24 v174, v72, 36, v150
	v_mul_u32_u24_e32 v72, 36, v72
	v_and_b32_e32 v71, v71, v175
	v_xor_b32_e32 v73, vcc_lo, v73
	ds_read_b32 v174, v174 offset:544
	v_add_nc_u32_e32 v176, v150, v72
	v_and_b32_e32 v71, v71, v74
	; wave barrier
	v_and_b32_e32 v71, v71, v73
	v_mbcnt_lo_u32_b32 v175, v71, 0
	v_cmp_ne_u32_e64 s23, 0, v71
	v_cmp_eq_u32_e32 vcc_lo, 0, v175
	s_and_b32 s24, s23, vcc_lo
	s_and_saveexec_b32 s23, s24
	s_cbranch_execz .LBB839_440
; %bb.439:                              ;   in Loop: Header=BB839_398 Depth=2
	s_waitcnt lgkmcnt(0)
	v_bcnt_u32_b32 v71, v71, v174
	ds_write_b32 v176, v71 offset:544
.LBB839_440:                            ;   in Loop: Header=BB839_398 Depth=2
	;; [unrolled: 63-line block ×14, first 2 shown]
	s_or_b32 exec_lo, exec_lo, s23
	v_lshrrev_b64 v[71:72], s47, v[69:70]
	; wave barrier
	v_and_b32_e32 v72, s63, v71
	v_and_b32_e32 v71, 1, v72
	v_lshlrev_b32_e32 v73, 30, v72
	v_lshlrev_b32_e32 v74, 29, v72
	;; [unrolled: 1-line block ×4, first 2 shown]
	v_add_co_u32 v71, s23, v71, -1
	v_cndmask_b32_e64 v212, 0, 1, s23
	v_not_b32_e32 v217, v73
	v_cmp_gt_i32_e64 s23, 0, v73
	v_not_b32_e32 v73, v74
	v_lshlrev_b32_e32 v216, 26, v72
	v_cmp_ne_u32_e32 vcc_lo, 0, v212
	v_ashrrev_i32_e32 v217, 31, v217
	v_lshlrev_b32_e32 v212, 25, v72
	v_ashrrev_i32_e32 v73, 31, v73
	v_xor_b32_e32 v71, vcc_lo, v71
	v_cmp_gt_i32_e32 vcc_lo, 0, v74
	v_not_b32_e32 v74, v213
	v_xor_b32_e32 v217, s23, v217
	v_cmp_gt_i32_e64 s23, 0, v213
	v_and_b32_e32 v71, exec_lo, v71
	v_not_b32_e32 v213, v215
	v_ashrrev_i32_e32 v74, 31, v74
	v_xor_b32_e32 v73, vcc_lo, v73
	v_cmp_gt_i32_e32 vcc_lo, 0, v215
	v_and_b32_e32 v71, v71, v217
	v_not_b32_e32 v215, v216
	v_ashrrev_i32_e32 v213, 31, v213
	v_xor_b32_e32 v74, s23, v74
	v_cmp_gt_i32_e64 s23, 0, v216
	v_and_b32_e32 v71, v71, v73
	v_not_b32_e32 v73, v212
	v_ashrrev_i32_e32 v215, 31, v215
	v_xor_b32_e32 v213, vcc_lo, v213
	v_cmp_gt_i32_e32 vcc_lo, 0, v212
	v_and_b32_e32 v71, v71, v74
	v_ashrrev_i32_e32 v73, 31, v73
	v_xor_b32_e32 v74, s23, v215
	v_mad_u32_u24 v212, v72, 36, v150
	v_mul_u32_u24_e32 v72, 36, v72
	v_and_b32_e32 v71, v71, v213
	v_xor_b32_e32 v73, vcc_lo, v73
	ds_read_b32 v212, v212 offset:544
	v_add_nc_u32_e32 v215, v150, v72
	v_and_b32_e32 v71, v71, v74
	; wave barrier
	v_and_b32_e32 v71, v71, v73
	v_mbcnt_lo_u32_b32 v213, v71, 0
	v_cmp_ne_u32_e64 s23, 0, v71
	v_cmp_eq_u32_e32 vcc_lo, 0, v213
	s_and_b32 s24, s23, vcc_lo
	s_and_saveexec_b32 s23, s24
	s_cbranch_execz .LBB839_466
; %bb.465:                              ;   in Loop: Header=BB839_398 Depth=2
	s_waitcnt lgkmcnt(0)
	v_bcnt_u32_b32 v71, v71, v212
	ds_write_b32 v215, v71 offset:544
.LBB839_466:                            ;   in Loop: Header=BB839_398 Depth=2
	s_or_b32 exec_lo, exec_lo, s23
	; wave barrier
	s_waitcnt lgkmcnt(0)
	s_barrier
	buffer_gl0_inv
	ds_read2_b32 v[73:74], v100 offset0:136 offset1:137
	ds_read2_b32 v[71:72], v100 offset0:138 offset1:139
	ds_read_b32 v216, v100 offset:560
	s_waitcnt lgkmcnt(1)
	v_add3_u32 v217, v74, v73, v71
	s_waitcnt lgkmcnt(0)
	v_add3_u32 v216, v217, v72, v216
	v_mov_b32_dpp v217, v216 row_shr:1 row_mask:0xf bank_mask:0xf
	v_cndmask_b32_e64 v217, v217, 0, s5
	v_add_nc_u32_e32 v216, v217, v216
	v_mov_b32_dpp v217, v216 row_shr:2 row_mask:0xf bank_mask:0xf
	v_cndmask_b32_e64 v217, 0, v217, s15
	v_add_nc_u32_e32 v216, v216, v217
	;; [unrolled: 3-line block ×4, first 2 shown]
	ds_swizzle_b32 v217, v216 offset:swizzle(BROADCAST,32,15)
	s_waitcnt lgkmcnt(0)
	v_cndmask_b32_e64 v217, v217, 0, s18
	v_add_nc_u32_e32 v216, v216, v217
	s_and_saveexec_b32 s23, s4
; %bb.467:                              ;   in Loop: Header=BB839_398 Depth=2
	ds_write_b32 v94, v216 offset:512
; %bb.468:                              ;   in Loop: Header=BB839_398 Depth=2
	s_or_b32 exec_lo, exec_lo, s23
	s_waitcnt lgkmcnt(0)
	s_barrier
	buffer_gl0_inv
	s_and_saveexec_b32 s23, s12
	s_cbranch_execz .LBB839_470
; %bb.469:                              ;   in Loop: Header=BB839_398 Depth=2
	ds_read_b32 v217, v101 offset:512
	s_waitcnt lgkmcnt(0)
	v_mov_b32_dpp v218, v217 row_shr:1 row_mask:0xf bank_mask:0xf
	v_cndmask_b32_e64 v218, v218, 0, s20
	v_add_nc_u32_e32 v217, v218, v217
	v_mov_b32_dpp v218, v217 row_shr:2 row_mask:0xf bank_mask:0xf
	v_cndmask_b32_e64 v218, 0, v218, s21
	v_add_nc_u32_e32 v217, v217, v218
	;; [unrolled: 3-line block ×3, first 2 shown]
	ds_write_b32 v101, v217 offset:512
.LBB839_470:                            ;   in Loop: Header=BB839_398 Depth=2
	s_or_b32 exec_lo, exec_lo, s23
	v_mov_b32_e32 v217, 0
	s_waitcnt lgkmcnt(0)
	s_barrier
	buffer_gl0_inv
	s_and_saveexec_b32 s23, s11
; %bb.471:                              ;   in Loop: Header=BB839_398 Depth=2
	ds_read_b32 v217, v94 offset:508
; %bb.472:                              ;   in Loop: Header=BB839_398 Depth=2
	s_or_b32 exec_lo, exec_lo, s23
	s_waitcnt lgkmcnt(0)
	v_add_nc_u32_e32 v216, v217, v216
	ds_bpermute_b32 v216, v129, v216
	s_waitcnt lgkmcnt(0)
	v_cndmask_b32_e64 v216, v216, v217, s19
	v_cndmask_b32_e64 v216, v216, 0, s13
	v_add_nc_u32_e32 v73, v216, v73
	v_add_nc_u32_e32 v74, v73, v74
	;; [unrolled: 1-line block ×4, first 2 shown]
	ds_write2_b32 v100, v216, v73 offset0:136 offset1:137
	ds_write2_b32 v100, v74, v71 offset0:138 offset1:139
	ds_write_b32 v100, v72 offset:560
	s_waitcnt lgkmcnt(0)
	s_barrier
	buffer_gl0_inv
	ds_read_b32 v71, v170 offset:544
	ds_read_b32 v219, v173 offset:544
	;; [unrolled: 1-line block ×16, first 2 shown]
	s_and_saveexec_b32 s23, s8
	s_cbranch_execz .LBB839_476
; %bb.473:                              ;   in Loop: Header=BB839_398 Depth=2
	ds_read_b32 v165, v103 offset:544
	v_mov_b32_e32 v168, 0x1000
	s_and_saveexec_b32 s24, s14
; %bb.474:                              ;   in Loop: Header=BB839_398 Depth=2
	ds_read_b32 v168, v102 offset:544
; %bb.475:                              ;   in Loop: Header=BB839_398 Depth=2
	s_or_b32 exec_lo, exec_lo, s24
	s_waitcnt lgkmcnt(0)
	v_sub_nc_u32_e32 v168, v168, v165
.LBB839_476:                            ;   in Loop: Header=BB839_398 Depth=2
	s_or_b32 exec_lo, exec_lo, s23
	s_waitcnt lgkmcnt(0)
	s_barrier
	buffer_gl0_inv
	s_and_saveexec_b32 s23, s8
	s_cbranch_execz .LBB839_478
; %bb.477:                              ;   in Loop: Header=BB839_398 Depth=2
	ds_read_b32 v196, v75
	s_waitcnt lgkmcnt(0)
	v_sub_nc_u32_e32 v196, v196, v165
	ds_write_b32 v75, v196
.LBB839_478:                            ;   in Loop: Header=BB839_398 Depth=2
	s_or_b32 exec_lo, exec_lo, s23
	v_lshlrev_b32_e32 v3, 3, v3
	v_lshlrev_b32_e32 v172, 3, v172
	;; [unrolled: 1-line block ×5, first 2 shown]
	v_lshl_add_u32 v71, v71, 3, v3
	v_lshlrev_b32_e32 v3, 3, v174
	v_lshlrev_b32_e32 v174, 3, v72
	v_add3_u32 v72, v172, v171, v196
	v_lshlrev_b32_e32 v178, 3, v178
	ds_write_b64 v71, v[41:42] offset:512
	v_lshlrev_b32_e32 v42, 3, v177
	v_lshlrev_b32_e32 v171, 3, v218
	;; [unrolled: 1-line block ×8, first 2 shown]
	ds_write_b64 v72, v[39:40] offset:512
	v_add3_u32 v41, v175, v3, v174
	v_lshlrev_b32_e32 v3, 3, v187
	v_lshlrev_b32_e32 v39, 3, v186
	;; [unrolled: 1-line block ×3, first 2 shown]
	v_add3_u32 v42, v178, v42, v171
	v_add3_u32 v73, v172, v177, v74
	;; [unrolled: 1-line block ×3, first 2 shown]
	ds_write_b64 v41, v[43:44] offset:512
	ds_write_b64 v42, v[45:46] offset:512
	;; [unrolled: 1-line block ×4, first 2 shown]
	v_add3_u32 v43, v3, v39, v40
	v_lshlrev_b32_e32 v3, 3, v190
	v_lshlrev_b32_e32 v39, 3, v189
	;; [unrolled: 1-line block ×12, first 2 shown]
	v_add3_u32 v44, v3, v39, v40
	v_lshlrev_b32_e32 v3, 3, v201
	v_lshlrev_b32_e32 v39, 3, v200
	;; [unrolled: 1-line block ×3, first 2 shown]
	v_add3_u32 v45, v45, v46, v47
	v_add3_u32 v46, v48, v51, v52
	;; [unrolled: 1-line block ×3, first 2 shown]
	ds_write_b64 v43, v[49:50] offset:512
	ds_write_b64 v44, v[53:54] offset:512
	;; [unrolled: 1-line block ×5, first 2 shown]
	v_add3_u32 v48, v3, v39, v40
	v_lshlrev_b32_e32 v3, 3, v204
	v_lshlrev_b32_e32 v39, 3, v203
	;; [unrolled: 1-line block ×12, first 2 shown]
	v_add3_u32 v49, v3, v39, v40
	v_add3_u32 v50, v50, v51, v52
	;; [unrolled: 1-line block ×3, first 2 shown]
	v_cmp_lt_u32_e32 vcc_lo, v0, v169
	v_add3_u32 v52, v56, v57, v58
	ds_write_b64 v48, v[59:60] offset:512
	ds_write_b64 v49, v[63:64] offset:512
	;; [unrolled: 1-line block ×5, first 2 shown]
	s_waitcnt lgkmcnt(0)
	s_barrier
	buffer_gl0_inv
	s_and_saveexec_b32 s24, vcc_lo
	s_cbranch_execnz .LBB839_547
; %bb.479:                              ;   in Loop: Header=BB839_398 Depth=2
	s_or_b32 exec_lo, exec_lo, s24
	v_cmp_lt_u32_e64 s23, v76, v169
	s_and_saveexec_b32 s25, s23
	s_cbranch_execnz .LBB839_548
.LBB839_480:                            ;   in Loop: Header=BB839_398 Depth=2
	s_or_b32 exec_lo, exec_lo, s25
	v_cmp_lt_u32_e64 s24, v79, v169
	s_and_saveexec_b32 s26, s24
	s_cbranch_execnz .LBB839_549
.LBB839_481:                            ;   in Loop: Header=BB839_398 Depth=2
	s_or_b32 exec_lo, exec_lo, s26
	v_cmp_lt_u32_e64 s25, v80, v169
	s_and_saveexec_b32 s27, s25
	s_cbranch_execnz .LBB839_550
.LBB839_482:                            ;   in Loop: Header=BB839_398 Depth=2
	s_or_b32 exec_lo, exec_lo, s27
	v_cmp_lt_u32_e64 s26, v81, v169
	s_and_saveexec_b32 s28, s26
	s_cbranch_execnz .LBB839_551
.LBB839_483:                            ;   in Loop: Header=BB839_398 Depth=2
	s_or_b32 exec_lo, exec_lo, s28
	v_cmp_lt_u32_e64 s27, v82, v169
	s_and_saveexec_b32 s29, s27
	s_cbranch_execnz .LBB839_552
.LBB839_484:                            ;   in Loop: Header=BB839_398 Depth=2
	s_or_b32 exec_lo, exec_lo, s29
	v_cmp_lt_u32_e64 s28, v83, v169
	s_and_saveexec_b32 s30, s28
	s_cbranch_execnz .LBB839_553
.LBB839_485:                            ;   in Loop: Header=BB839_398 Depth=2
	s_or_b32 exec_lo, exec_lo, s30
	v_cmp_lt_u32_e64 s29, v84, v169
	s_and_saveexec_b32 s31, s29
	s_cbranch_execnz .LBB839_554
.LBB839_486:                            ;   in Loop: Header=BB839_398 Depth=2
	s_or_b32 exec_lo, exec_lo, s31
	v_cmp_lt_u32_e64 s30, v85, v169
	s_and_saveexec_b32 s33, s30
	s_cbranch_execnz .LBB839_555
.LBB839_487:                            ;   in Loop: Header=BB839_398 Depth=2
	s_or_b32 exec_lo, exec_lo, s33
	v_cmp_lt_u32_e64 s31, v86, v169
	s_and_saveexec_b32 s34, s31
	s_cbranch_execnz .LBB839_556
.LBB839_488:                            ;   in Loop: Header=BB839_398 Depth=2
	s_or_b32 exec_lo, exec_lo, s34
	v_cmp_lt_u32_e64 s33, v87, v169
	s_and_saveexec_b32 s35, s33
	s_cbranch_execnz .LBB839_557
.LBB839_489:                            ;   in Loop: Header=BB839_398 Depth=2
	s_or_b32 exec_lo, exec_lo, s35
	v_cmp_lt_u32_e64 s34, v88, v169
	s_and_saveexec_b32 s36, s34
	s_cbranch_execnz .LBB839_558
.LBB839_490:                            ;   in Loop: Header=BB839_398 Depth=2
	s_or_b32 exec_lo, exec_lo, s36
	v_cmp_lt_u32_e64 s35, v89, v169
	s_and_saveexec_b32 s37, s35
	s_cbranch_execnz .LBB839_559
.LBB839_491:                            ;   in Loop: Header=BB839_398 Depth=2
	s_or_b32 exec_lo, exec_lo, s37
	v_cmp_lt_u32_e64 s36, v90, v169
	s_and_saveexec_b32 s38, s36
	s_cbranch_execnz .LBB839_560
.LBB839_492:                            ;   in Loop: Header=BB839_398 Depth=2
	s_or_b32 exec_lo, exec_lo, s38
	v_cmp_lt_u32_e64 s37, v91, v169
	s_and_saveexec_b32 s39, s37
	s_cbranch_execnz .LBB839_561
.LBB839_493:                            ;   in Loop: Header=BB839_398 Depth=2
	s_or_b32 exec_lo, exec_lo, s39
	v_cmp_lt_u32_e64 s38, v92, v169
	s_and_saveexec_b32 s66, s38
	s_cbranch_execz .LBB839_495
.LBB839_494:                            ;   in Loop: Header=BB839_398 Depth=2
	ds_read_b64 v[39:40], v108 offset:31232
	s_waitcnt lgkmcnt(0)
	v_lshrrev_b64 v[53:54], s47, v[39:40]
	v_xor_b32_e32 v40, 0x80000000, v40
	v_and_b32_e32 v3, s63, v53
	v_lshlrev_b32_e32 v3, 2, v3
	ds_read_b32 v3, v3
	s_waitcnt lgkmcnt(0)
	v_add_nc_u32_e32 v3, v3, v92
	v_lshlrev_b64 v[53:54], 3, v[3:4]
	v_add_co_u32 v53, s39, s44, v53
	v_add_co_ci_u32_e64 v54, null, s45, v54, s39
	global_store_dwordx2 v[53:54], v[39:40], off
.LBB839_495:                            ;   in Loop: Header=BB839_398 Depth=2
	s_or_b32 exec_lo, exec_lo, s66
	s_lshl_b64 s[66:67], s[56:57], 3
	v_add_co_u32 v39, s39, v131, s66
	v_add_co_ci_u32_e64 v40, null, s67, v132, s39
	v_cmp_lt_u32_e64 s39, v130, v169
	s_and_saveexec_b32 s56, s39
	s_xor_b32 s39, exec_lo, s56
	s_cbranch_execnz .LBB839_562
; %bb.496:                              ;   in Loop: Header=BB839_398 Depth=2
	s_or_b32 exec_lo, exec_lo, s39
	s_mov_b32 s56, exec_lo
	v_cmpx_lt_u32_e64 v133, v169
	s_cbranch_execnz .LBB839_563
.LBB839_497:                            ;   in Loop: Header=BB839_398 Depth=2
	s_or_b32 exec_lo, exec_lo, s56
	s_mov_b32 s56, exec_lo
	v_cmpx_lt_u32_e64 v134, v169
	s_cbranch_execnz .LBB839_564
.LBB839_498:                            ;   in Loop: Header=BB839_398 Depth=2
	s_or_b32 exec_lo, exec_lo, s56
	s_mov_b32 s56, exec_lo
	v_cmpx_lt_u32_e64 v135, v169
	s_cbranch_execnz .LBB839_565
.LBB839_499:                            ;   in Loop: Header=BB839_398 Depth=2
	s_or_b32 exec_lo, exec_lo, s56
	s_mov_b32 s56, exec_lo
	v_cmpx_lt_u32_e64 v136, v169
	s_cbranch_execnz .LBB839_566
.LBB839_500:                            ;   in Loop: Header=BB839_398 Depth=2
	s_or_b32 exec_lo, exec_lo, s56
	s_mov_b32 s56, exec_lo
	v_cmpx_lt_u32_e64 v137, v169
	s_cbranch_execnz .LBB839_567
.LBB839_501:                            ;   in Loop: Header=BB839_398 Depth=2
	s_or_b32 exec_lo, exec_lo, s56
	s_mov_b32 s56, exec_lo
	v_cmpx_lt_u32_e64 v138, v169
	s_cbranch_execnz .LBB839_568
.LBB839_502:                            ;   in Loop: Header=BB839_398 Depth=2
	s_or_b32 exec_lo, exec_lo, s56
	s_mov_b32 s56, exec_lo
	v_cmpx_lt_u32_e64 v139, v169
	s_cbranch_execnz .LBB839_569
.LBB839_503:                            ;   in Loop: Header=BB839_398 Depth=2
	s_or_b32 exec_lo, exec_lo, s56
	s_mov_b32 s56, exec_lo
	v_cmpx_lt_u32_e64 v140, v169
	s_cbranch_execnz .LBB839_570
.LBB839_504:                            ;   in Loop: Header=BB839_398 Depth=2
	s_or_b32 exec_lo, exec_lo, s56
	s_mov_b32 s56, exec_lo
	v_cmpx_lt_u32_e64 v141, v169
	s_cbranch_execnz .LBB839_571
.LBB839_505:                            ;   in Loop: Header=BB839_398 Depth=2
	s_or_b32 exec_lo, exec_lo, s56
	s_mov_b32 s56, exec_lo
	v_cmpx_lt_u32_e64 v142, v169
	s_cbranch_execnz .LBB839_572
.LBB839_506:                            ;   in Loop: Header=BB839_398 Depth=2
	s_or_b32 exec_lo, exec_lo, s56
	s_mov_b32 s56, exec_lo
	v_cmpx_lt_u32_e64 v143, v169
	s_cbranch_execnz .LBB839_573
.LBB839_507:                            ;   in Loop: Header=BB839_398 Depth=2
	s_or_b32 exec_lo, exec_lo, s56
	s_mov_b32 s56, exec_lo
	v_cmpx_lt_u32_e64 v144, v169
	s_cbranch_execnz .LBB839_574
.LBB839_508:                            ;   in Loop: Header=BB839_398 Depth=2
	s_or_b32 exec_lo, exec_lo, s56
	s_mov_b32 s56, exec_lo
	v_cmpx_lt_u32_e64 v145, v169
	s_cbranch_execnz .LBB839_575
.LBB839_509:                            ;   in Loop: Header=BB839_398 Depth=2
	s_or_b32 exec_lo, exec_lo, s56
	s_mov_b32 s56, exec_lo
	v_cmpx_lt_u32_e64 v146, v169
	s_cbranch_execnz .LBB839_576
.LBB839_510:                            ;   in Loop: Header=BB839_398 Depth=2
	s_or_b32 exec_lo, exec_lo, s56
	s_mov_b32 s56, exec_lo
	v_cmpx_lt_u32_e64 v147, v169
	s_cbranch_execnz .LBB839_577
.LBB839_511:                            ;   in Loop: Header=BB839_398 Depth=2
	s_or_b32 exec_lo, exec_lo, s56
	s_and_saveexec_b32 s39, vcc_lo
	s_cbranch_execnz .LBB839_578
.LBB839_512:                            ;   in Loop: Header=BB839_398 Depth=2
	s_or_b32 exec_lo, exec_lo, s39
	s_and_saveexec_b32 s39, s23
	s_cbranch_execnz .LBB839_579
.LBB839_513:                            ;   in Loop: Header=BB839_398 Depth=2
	s_or_b32 exec_lo, exec_lo, s39
	s_and_saveexec_b32 s39, s24
	s_cbranch_execnz .LBB839_580
.LBB839_514:                            ;   in Loop: Header=BB839_398 Depth=2
	s_or_b32 exec_lo, exec_lo, s39
	s_and_saveexec_b32 s39, s25
	s_cbranch_execnz .LBB839_581
.LBB839_515:                            ;   in Loop: Header=BB839_398 Depth=2
	s_or_b32 exec_lo, exec_lo, s39
	s_and_saveexec_b32 s39, s26
	s_cbranch_execnz .LBB839_582
.LBB839_516:                            ;   in Loop: Header=BB839_398 Depth=2
	s_or_b32 exec_lo, exec_lo, s39
	s_and_saveexec_b32 s39, s27
	s_cbranch_execnz .LBB839_583
.LBB839_517:                            ;   in Loop: Header=BB839_398 Depth=2
	s_or_b32 exec_lo, exec_lo, s39
	s_and_saveexec_b32 s39, s28
	s_cbranch_execnz .LBB839_584
.LBB839_518:                            ;   in Loop: Header=BB839_398 Depth=2
	s_or_b32 exec_lo, exec_lo, s39
	s_and_saveexec_b32 s39, s29
	s_cbranch_execnz .LBB839_585
.LBB839_519:                            ;   in Loop: Header=BB839_398 Depth=2
	s_or_b32 exec_lo, exec_lo, s39
	s_and_saveexec_b32 s39, s30
	s_cbranch_execnz .LBB839_586
.LBB839_520:                            ;   in Loop: Header=BB839_398 Depth=2
	s_or_b32 exec_lo, exec_lo, s39
	s_and_saveexec_b32 s39, s31
	s_cbranch_execnz .LBB839_587
.LBB839_521:                            ;   in Loop: Header=BB839_398 Depth=2
	s_or_b32 exec_lo, exec_lo, s39
	s_and_saveexec_b32 s39, s33
	s_cbranch_execnz .LBB839_588
.LBB839_522:                            ;   in Loop: Header=BB839_398 Depth=2
	s_or_b32 exec_lo, exec_lo, s39
	s_and_saveexec_b32 s39, s34
	s_cbranch_execnz .LBB839_589
.LBB839_523:                            ;   in Loop: Header=BB839_398 Depth=2
	s_or_b32 exec_lo, exec_lo, s39
	s_and_saveexec_b32 s39, s35
	s_cbranch_execnz .LBB839_590
.LBB839_524:                            ;   in Loop: Header=BB839_398 Depth=2
	s_or_b32 exec_lo, exec_lo, s39
	s_and_saveexec_b32 s39, s36
	s_cbranch_execnz .LBB839_591
.LBB839_525:                            ;   in Loop: Header=BB839_398 Depth=2
	s_or_b32 exec_lo, exec_lo, s39
	s_and_saveexec_b32 s39, s37
	s_cbranch_execnz .LBB839_592
.LBB839_526:                            ;   in Loop: Header=BB839_398 Depth=2
	s_or_b32 exec_lo, exec_lo, s39
	s_and_saveexec_b32 s39, s38
	s_cbranch_execz .LBB839_528
.LBB839_527:                            ;   in Loop: Header=BB839_398 Depth=2
	ds_read_b64 v[39:40], v108 offset:31232
	s_waitcnt lgkmcnt(0)
	v_lshrrev_b64 v[39:40], s47, v[39:40]
	v_and_b32_e32 v151, s63, v39
.LBB839_528:                            ;   in Loop: Header=BB839_398 Depth=2
	s_or_b32 exec_lo, exec_lo, s39
	s_waitcnt vmcnt(0)
	s_waitcnt_vscnt null, 0x0
	s_barrier
	buffer_gl0_inv
	ds_write_b64 v71, v[37:38] offset:512
	ds_write_b64 v72, v[35:36] offset:512
	;; [unrolled: 1-line block ×16, first 2 shown]
	s_waitcnt lgkmcnt(0)
	s_barrier
	buffer_gl0_inv
	s_and_saveexec_b32 s39, vcc_lo
	s_cbranch_execnz .LBB839_593
; %bb.529:                              ;   in Loop: Header=BB839_398 Depth=2
	s_or_b32 exec_lo, exec_lo, s39
	s_and_saveexec_b32 s39, s23
	s_cbranch_execnz .LBB839_594
.LBB839_530:                            ;   in Loop: Header=BB839_398 Depth=2
	s_or_b32 exec_lo, exec_lo, s39
	s_and_saveexec_b32 s23, s24
	s_cbranch_execnz .LBB839_595
.LBB839_531:                            ;   in Loop: Header=BB839_398 Depth=2
	s_or_b32 exec_lo, exec_lo, s23
	s_and_saveexec_b32 s23, s25
	s_cbranch_execnz .LBB839_596
.LBB839_532:                            ;   in Loop: Header=BB839_398 Depth=2
	s_or_b32 exec_lo, exec_lo, s23
	s_and_saveexec_b32 s23, s26
	s_cbranch_execnz .LBB839_597
.LBB839_533:                            ;   in Loop: Header=BB839_398 Depth=2
	s_or_b32 exec_lo, exec_lo, s23
	s_and_saveexec_b32 s23, s27
	s_cbranch_execnz .LBB839_598
.LBB839_534:                            ;   in Loop: Header=BB839_398 Depth=2
	s_or_b32 exec_lo, exec_lo, s23
	s_and_saveexec_b32 s23, s28
	s_cbranch_execnz .LBB839_599
.LBB839_535:                            ;   in Loop: Header=BB839_398 Depth=2
	s_or_b32 exec_lo, exec_lo, s23
	s_and_saveexec_b32 s23, s29
	s_cbranch_execnz .LBB839_600
.LBB839_536:                            ;   in Loop: Header=BB839_398 Depth=2
	s_or_b32 exec_lo, exec_lo, s23
	s_and_saveexec_b32 s23, s30
	s_cbranch_execnz .LBB839_601
.LBB839_537:                            ;   in Loop: Header=BB839_398 Depth=2
	s_or_b32 exec_lo, exec_lo, s23
	s_and_saveexec_b32 s23, s31
	s_cbranch_execnz .LBB839_602
.LBB839_538:                            ;   in Loop: Header=BB839_398 Depth=2
	s_or_b32 exec_lo, exec_lo, s23
	s_and_saveexec_b32 s23, s33
	s_cbranch_execnz .LBB839_603
.LBB839_539:                            ;   in Loop: Header=BB839_398 Depth=2
	s_or_b32 exec_lo, exec_lo, s23
	s_and_saveexec_b32 s23, s34
	s_cbranch_execnz .LBB839_604
.LBB839_540:                            ;   in Loop: Header=BB839_398 Depth=2
	s_or_b32 exec_lo, exec_lo, s23
	s_and_saveexec_b32 s23, s35
	s_cbranch_execnz .LBB839_605
.LBB839_541:                            ;   in Loop: Header=BB839_398 Depth=2
	s_or_b32 exec_lo, exec_lo, s23
	s_and_saveexec_b32 s23, s36
	s_cbranch_execnz .LBB839_606
.LBB839_542:                            ;   in Loop: Header=BB839_398 Depth=2
	s_or_b32 exec_lo, exec_lo, s23
	s_and_saveexec_b32 s23, s37
	s_cbranch_execnz .LBB839_607
.LBB839_543:                            ;   in Loop: Header=BB839_398 Depth=2
	s_or_b32 exec_lo, exec_lo, s23
	s_and_saveexec_b32 s23, s38
	s_cbranch_execz .LBB839_545
.LBB839_544:                            ;   in Loop: Header=BB839_398 Depth=2
	v_lshlrev_b32_e32 v3, 2, v151
	ds_read_b32 v3, v3
	ds_read_b64 v[39:40], v108 offset:31232
	s_waitcnt lgkmcnt(1)
	v_add_nc_u32_e32 v3, v3, v92
	v_lshlrev_b64 v[41:42], 3, v[3:4]
	v_add_co_u32 v41, vcc_lo, s50, v41
	v_add_co_ci_u32_e64 v42, null, s51, v42, vcc_lo
	s_waitcnt lgkmcnt(0)
	global_store_dwordx2 v[41:42], v[39:40], off
.LBB839_545:                            ;   in Loop: Header=BB839_398 Depth=2
	s_or_b32 exec_lo, exec_lo, s23
	s_waitcnt_vscnt null, 0x0
	s_barrier
	buffer_gl0_inv
	s_and_saveexec_b32 s23, s8
	s_cbranch_execz .LBB839_397
; %bb.546:                              ;   in Loop: Header=BB839_398 Depth=2
	ds_read_b32 v3, v75
	s_waitcnt lgkmcnt(0)
	v_add3_u32 v3, v165, v168, v3
	ds_write_b32 v75, v3
	s_branch .LBB839_397
.LBB839_547:                            ;   in Loop: Header=BB839_398 Depth=2
	ds_read_b64 v[39:40], v108 offset:512
	s_waitcnt lgkmcnt(0)
	v_lshrrev_b64 v[53:54], s47, v[39:40]
	v_xor_b32_e32 v40, 0x80000000, v40
	v_and_b32_e32 v3, s63, v53
	v_lshlrev_b32_e32 v3, 2, v3
	ds_read_b32 v3, v3
	s_waitcnt lgkmcnt(0)
	v_add_nc_u32_e32 v3, v3, v0
	v_lshlrev_b64 v[53:54], 3, v[3:4]
	v_add_co_u32 v53, s23, s44, v53
	v_add_co_ci_u32_e64 v54, null, s45, v54, s23
	global_store_dwordx2 v[53:54], v[39:40], off
	s_or_b32 exec_lo, exec_lo, s24
	v_cmp_lt_u32_e64 s23, v76, v169
	s_and_saveexec_b32 s25, s23
	s_cbranch_execz .LBB839_480
.LBB839_548:                            ;   in Loop: Header=BB839_398 Depth=2
	ds_read_b64 v[39:40], v108 offset:2560
	s_waitcnt lgkmcnt(0)
	v_lshrrev_b64 v[53:54], s47, v[39:40]
	v_xor_b32_e32 v40, 0x80000000, v40
	v_and_b32_e32 v3, s63, v53
	v_lshlrev_b32_e32 v3, 2, v3
	ds_read_b32 v3, v3
	s_waitcnt lgkmcnt(0)
	v_add_nc_u32_e32 v3, v3, v76
	v_lshlrev_b64 v[53:54], 3, v[3:4]
	v_add_co_u32 v53, s24, s44, v53
	v_add_co_ci_u32_e64 v54, null, s45, v54, s24
	global_store_dwordx2 v[53:54], v[39:40], off
	s_or_b32 exec_lo, exec_lo, s25
	v_cmp_lt_u32_e64 s24, v79, v169
	s_and_saveexec_b32 s26, s24
	s_cbranch_execz .LBB839_481
.LBB839_549:                            ;   in Loop: Header=BB839_398 Depth=2
	ds_read_b64 v[39:40], v108 offset:4608
	s_waitcnt lgkmcnt(0)
	v_lshrrev_b64 v[53:54], s47, v[39:40]
	v_xor_b32_e32 v40, 0x80000000, v40
	v_and_b32_e32 v3, s63, v53
	v_lshlrev_b32_e32 v3, 2, v3
	ds_read_b32 v3, v3
	s_waitcnt lgkmcnt(0)
	v_add_nc_u32_e32 v3, v3, v79
	v_lshlrev_b64 v[53:54], 3, v[3:4]
	v_add_co_u32 v53, s25, s44, v53
	v_add_co_ci_u32_e64 v54, null, s45, v54, s25
	global_store_dwordx2 v[53:54], v[39:40], off
	s_or_b32 exec_lo, exec_lo, s26
	v_cmp_lt_u32_e64 s25, v80, v169
	s_and_saveexec_b32 s27, s25
	s_cbranch_execz .LBB839_482
.LBB839_550:                            ;   in Loop: Header=BB839_398 Depth=2
	ds_read_b64 v[39:40], v108 offset:6656
	s_waitcnt lgkmcnt(0)
	v_lshrrev_b64 v[53:54], s47, v[39:40]
	v_xor_b32_e32 v40, 0x80000000, v40
	v_and_b32_e32 v3, s63, v53
	v_lshlrev_b32_e32 v3, 2, v3
	ds_read_b32 v3, v3
	s_waitcnt lgkmcnt(0)
	v_add_nc_u32_e32 v3, v3, v80
	v_lshlrev_b64 v[53:54], 3, v[3:4]
	v_add_co_u32 v53, s26, s44, v53
	v_add_co_ci_u32_e64 v54, null, s45, v54, s26
	global_store_dwordx2 v[53:54], v[39:40], off
	s_or_b32 exec_lo, exec_lo, s27
	v_cmp_lt_u32_e64 s26, v81, v169
	s_and_saveexec_b32 s28, s26
	s_cbranch_execz .LBB839_483
.LBB839_551:                            ;   in Loop: Header=BB839_398 Depth=2
	ds_read_b64 v[39:40], v108 offset:8704
	s_waitcnt lgkmcnt(0)
	v_lshrrev_b64 v[53:54], s47, v[39:40]
	v_xor_b32_e32 v40, 0x80000000, v40
	v_and_b32_e32 v3, s63, v53
	v_lshlrev_b32_e32 v3, 2, v3
	ds_read_b32 v3, v3
	s_waitcnt lgkmcnt(0)
	v_add_nc_u32_e32 v3, v3, v81
	v_lshlrev_b64 v[53:54], 3, v[3:4]
	v_add_co_u32 v53, s27, s44, v53
	v_add_co_ci_u32_e64 v54, null, s45, v54, s27
	global_store_dwordx2 v[53:54], v[39:40], off
	s_or_b32 exec_lo, exec_lo, s28
	v_cmp_lt_u32_e64 s27, v82, v169
	s_and_saveexec_b32 s29, s27
	s_cbranch_execz .LBB839_484
.LBB839_552:                            ;   in Loop: Header=BB839_398 Depth=2
	ds_read_b64 v[39:40], v108 offset:10752
	s_waitcnt lgkmcnt(0)
	v_lshrrev_b64 v[53:54], s47, v[39:40]
	v_xor_b32_e32 v40, 0x80000000, v40
	v_and_b32_e32 v3, s63, v53
	v_lshlrev_b32_e32 v3, 2, v3
	ds_read_b32 v3, v3
	s_waitcnt lgkmcnt(0)
	v_add_nc_u32_e32 v3, v3, v82
	v_lshlrev_b64 v[53:54], 3, v[3:4]
	v_add_co_u32 v53, s28, s44, v53
	v_add_co_ci_u32_e64 v54, null, s45, v54, s28
	global_store_dwordx2 v[53:54], v[39:40], off
	s_or_b32 exec_lo, exec_lo, s29
	v_cmp_lt_u32_e64 s28, v83, v169
	s_and_saveexec_b32 s30, s28
	s_cbranch_execz .LBB839_485
.LBB839_553:                            ;   in Loop: Header=BB839_398 Depth=2
	ds_read_b64 v[39:40], v108 offset:12800
	s_waitcnt lgkmcnt(0)
	v_lshrrev_b64 v[53:54], s47, v[39:40]
	v_xor_b32_e32 v40, 0x80000000, v40
	v_and_b32_e32 v3, s63, v53
	v_lshlrev_b32_e32 v3, 2, v3
	ds_read_b32 v3, v3
	s_waitcnt lgkmcnt(0)
	v_add_nc_u32_e32 v3, v3, v83
	v_lshlrev_b64 v[53:54], 3, v[3:4]
	v_add_co_u32 v53, s29, s44, v53
	v_add_co_ci_u32_e64 v54, null, s45, v54, s29
	global_store_dwordx2 v[53:54], v[39:40], off
	s_or_b32 exec_lo, exec_lo, s30
	v_cmp_lt_u32_e64 s29, v84, v169
	s_and_saveexec_b32 s31, s29
	s_cbranch_execz .LBB839_486
.LBB839_554:                            ;   in Loop: Header=BB839_398 Depth=2
	ds_read_b64 v[39:40], v108 offset:14848
	s_waitcnt lgkmcnt(0)
	v_lshrrev_b64 v[53:54], s47, v[39:40]
	v_xor_b32_e32 v40, 0x80000000, v40
	v_and_b32_e32 v3, s63, v53
	v_lshlrev_b32_e32 v3, 2, v3
	ds_read_b32 v3, v3
	s_waitcnt lgkmcnt(0)
	v_add_nc_u32_e32 v3, v3, v84
	v_lshlrev_b64 v[53:54], 3, v[3:4]
	v_add_co_u32 v53, s30, s44, v53
	v_add_co_ci_u32_e64 v54, null, s45, v54, s30
	global_store_dwordx2 v[53:54], v[39:40], off
	s_or_b32 exec_lo, exec_lo, s31
	v_cmp_lt_u32_e64 s30, v85, v169
	s_and_saveexec_b32 s33, s30
	s_cbranch_execz .LBB839_487
.LBB839_555:                            ;   in Loop: Header=BB839_398 Depth=2
	ds_read_b64 v[39:40], v108 offset:16896
	s_waitcnt lgkmcnt(0)
	v_lshrrev_b64 v[53:54], s47, v[39:40]
	v_xor_b32_e32 v40, 0x80000000, v40
	v_and_b32_e32 v3, s63, v53
	v_lshlrev_b32_e32 v3, 2, v3
	ds_read_b32 v3, v3
	s_waitcnt lgkmcnt(0)
	v_add_nc_u32_e32 v3, v3, v85
	v_lshlrev_b64 v[53:54], 3, v[3:4]
	v_add_co_u32 v53, s31, s44, v53
	v_add_co_ci_u32_e64 v54, null, s45, v54, s31
	global_store_dwordx2 v[53:54], v[39:40], off
	s_or_b32 exec_lo, exec_lo, s33
	v_cmp_lt_u32_e64 s31, v86, v169
	s_and_saveexec_b32 s34, s31
	s_cbranch_execz .LBB839_488
.LBB839_556:                            ;   in Loop: Header=BB839_398 Depth=2
	ds_read_b64 v[39:40], v108 offset:18944
	s_waitcnt lgkmcnt(0)
	v_lshrrev_b64 v[53:54], s47, v[39:40]
	v_xor_b32_e32 v40, 0x80000000, v40
	v_and_b32_e32 v3, s63, v53
	v_lshlrev_b32_e32 v3, 2, v3
	ds_read_b32 v3, v3
	s_waitcnt lgkmcnt(0)
	v_add_nc_u32_e32 v3, v3, v86
	v_lshlrev_b64 v[53:54], 3, v[3:4]
	v_add_co_u32 v53, s33, s44, v53
	v_add_co_ci_u32_e64 v54, null, s45, v54, s33
	global_store_dwordx2 v[53:54], v[39:40], off
	s_or_b32 exec_lo, exec_lo, s34
	v_cmp_lt_u32_e64 s33, v87, v169
	s_and_saveexec_b32 s35, s33
	s_cbranch_execz .LBB839_489
.LBB839_557:                            ;   in Loop: Header=BB839_398 Depth=2
	ds_read_b64 v[39:40], v108 offset:20992
	s_waitcnt lgkmcnt(0)
	v_lshrrev_b64 v[53:54], s47, v[39:40]
	v_xor_b32_e32 v40, 0x80000000, v40
	v_and_b32_e32 v3, s63, v53
	v_lshlrev_b32_e32 v3, 2, v3
	ds_read_b32 v3, v3
	s_waitcnt lgkmcnt(0)
	v_add_nc_u32_e32 v3, v3, v87
	v_lshlrev_b64 v[53:54], 3, v[3:4]
	v_add_co_u32 v53, s34, s44, v53
	v_add_co_ci_u32_e64 v54, null, s45, v54, s34
	global_store_dwordx2 v[53:54], v[39:40], off
	s_or_b32 exec_lo, exec_lo, s35
	v_cmp_lt_u32_e64 s34, v88, v169
	s_and_saveexec_b32 s36, s34
	s_cbranch_execz .LBB839_490
.LBB839_558:                            ;   in Loop: Header=BB839_398 Depth=2
	ds_read_b64 v[39:40], v108 offset:23040
	s_waitcnt lgkmcnt(0)
	v_lshrrev_b64 v[53:54], s47, v[39:40]
	v_xor_b32_e32 v40, 0x80000000, v40
	v_and_b32_e32 v3, s63, v53
	v_lshlrev_b32_e32 v3, 2, v3
	ds_read_b32 v3, v3
	s_waitcnt lgkmcnt(0)
	v_add_nc_u32_e32 v3, v3, v88
	v_lshlrev_b64 v[53:54], 3, v[3:4]
	v_add_co_u32 v53, s35, s44, v53
	v_add_co_ci_u32_e64 v54, null, s45, v54, s35
	global_store_dwordx2 v[53:54], v[39:40], off
	s_or_b32 exec_lo, exec_lo, s36
	v_cmp_lt_u32_e64 s35, v89, v169
	s_and_saveexec_b32 s37, s35
	s_cbranch_execz .LBB839_491
.LBB839_559:                            ;   in Loop: Header=BB839_398 Depth=2
	ds_read_b64 v[39:40], v108 offset:25088
	s_waitcnt lgkmcnt(0)
	v_lshrrev_b64 v[53:54], s47, v[39:40]
	v_xor_b32_e32 v40, 0x80000000, v40
	v_and_b32_e32 v3, s63, v53
	v_lshlrev_b32_e32 v3, 2, v3
	ds_read_b32 v3, v3
	s_waitcnt lgkmcnt(0)
	v_add_nc_u32_e32 v3, v3, v89
	v_lshlrev_b64 v[53:54], 3, v[3:4]
	v_add_co_u32 v53, s36, s44, v53
	v_add_co_ci_u32_e64 v54, null, s45, v54, s36
	global_store_dwordx2 v[53:54], v[39:40], off
	s_or_b32 exec_lo, exec_lo, s37
	v_cmp_lt_u32_e64 s36, v90, v169
	s_and_saveexec_b32 s38, s36
	s_cbranch_execz .LBB839_492
.LBB839_560:                            ;   in Loop: Header=BB839_398 Depth=2
	ds_read_b64 v[39:40], v108 offset:27136
	s_waitcnt lgkmcnt(0)
	v_lshrrev_b64 v[53:54], s47, v[39:40]
	v_xor_b32_e32 v40, 0x80000000, v40
	v_and_b32_e32 v3, s63, v53
	v_lshlrev_b32_e32 v3, 2, v3
	ds_read_b32 v3, v3
	s_waitcnt lgkmcnt(0)
	v_add_nc_u32_e32 v3, v3, v90
	v_lshlrev_b64 v[53:54], 3, v[3:4]
	v_add_co_u32 v53, s37, s44, v53
	v_add_co_ci_u32_e64 v54, null, s45, v54, s37
	global_store_dwordx2 v[53:54], v[39:40], off
	s_or_b32 exec_lo, exec_lo, s38
	v_cmp_lt_u32_e64 s37, v91, v169
	s_and_saveexec_b32 s39, s37
	s_cbranch_execz .LBB839_493
.LBB839_561:                            ;   in Loop: Header=BB839_398 Depth=2
	ds_read_b64 v[39:40], v108 offset:29184
	s_waitcnt lgkmcnt(0)
	v_lshrrev_b64 v[53:54], s47, v[39:40]
	v_xor_b32_e32 v40, 0x80000000, v40
	v_and_b32_e32 v3, s63, v53
	v_lshlrev_b32_e32 v3, 2, v3
	ds_read_b32 v3, v3
	s_waitcnt lgkmcnt(0)
	v_add_nc_u32_e32 v3, v3, v91
	v_lshlrev_b64 v[53:54], 3, v[3:4]
	v_add_co_u32 v53, s38, s44, v53
	v_add_co_ci_u32_e64 v54, null, s45, v54, s38
	global_store_dwordx2 v[53:54], v[39:40], off
	s_or_b32 exec_lo, exec_lo, s39
	v_cmp_lt_u32_e64 s38, v92, v169
	s_and_saveexec_b32 s66, s38
	s_cbranch_execnz .LBB839_494
	s_branch .LBB839_495
.LBB839_562:                            ;   in Loop: Header=BB839_398 Depth=2
	global_load_dwordx2 v[37:38], v[39:40], off
	s_or_b32 exec_lo, exec_lo, s39
	s_mov_b32 s56, exec_lo
	v_cmpx_lt_u32_e64 v133, v169
	s_cbranch_execz .LBB839_497
.LBB839_563:                            ;   in Loop: Header=BB839_398 Depth=2
	global_load_dwordx2 v[35:36], v[39:40], off offset:256
	s_or_b32 exec_lo, exec_lo, s56
	s_mov_b32 s56, exec_lo
	v_cmpx_lt_u32_e64 v134, v169
	s_cbranch_execz .LBB839_498
.LBB839_564:                            ;   in Loop: Header=BB839_398 Depth=2
	global_load_dwordx2 v[33:34], v[39:40], off offset:512
	s_or_b32 exec_lo, exec_lo, s56
	s_mov_b32 s56, exec_lo
	v_cmpx_lt_u32_e64 v135, v169
	s_cbranch_execz .LBB839_499
.LBB839_565:                            ;   in Loop: Header=BB839_398 Depth=2
	global_load_dwordx2 v[31:32], v[39:40], off offset:768
	s_or_b32 exec_lo, exec_lo, s56
	s_mov_b32 s56, exec_lo
	v_cmpx_lt_u32_e64 v136, v169
	s_cbranch_execz .LBB839_500
.LBB839_566:                            ;   in Loop: Header=BB839_398 Depth=2
	global_load_dwordx2 v[29:30], v[39:40], off offset:1024
	s_or_b32 exec_lo, exec_lo, s56
	s_mov_b32 s56, exec_lo
	v_cmpx_lt_u32_e64 v137, v169
	s_cbranch_execz .LBB839_501
.LBB839_567:                            ;   in Loop: Header=BB839_398 Depth=2
	global_load_dwordx2 v[25:26], v[39:40], off offset:1280
	s_or_b32 exec_lo, exec_lo, s56
	s_mov_b32 s56, exec_lo
	v_cmpx_lt_u32_e64 v138, v169
	s_cbranch_execz .LBB839_502
.LBB839_568:                            ;   in Loop: Header=BB839_398 Depth=2
	global_load_dwordx2 v[21:22], v[39:40], off offset:1536
	s_or_b32 exec_lo, exec_lo, s56
	s_mov_b32 s56, exec_lo
	v_cmpx_lt_u32_e64 v139, v169
	s_cbranch_execz .LBB839_503
.LBB839_569:                            ;   in Loop: Header=BB839_398 Depth=2
	global_load_dwordx2 v[17:18], v[39:40], off offset:1792
	s_or_b32 exec_lo, exec_lo, s56
	s_mov_b32 s56, exec_lo
	v_cmpx_lt_u32_e64 v140, v169
	s_cbranch_execz .LBB839_504
.LBB839_570:                            ;   in Loop: Header=BB839_398 Depth=2
	v_add_co_u32 v27, s39, 0x800, v39
	v_add_co_ci_u32_e64 v28, null, 0, v40, s39
	global_load_dwordx2 v[27:28], v[27:28], off
	s_or_b32 exec_lo, exec_lo, s56
	s_mov_b32 s56, exec_lo
	v_cmpx_lt_u32_e64 v141, v169
	s_cbranch_execz .LBB839_505
.LBB839_571:                            ;   in Loop: Header=BB839_398 Depth=2
	v_add_co_u32 v23, s39, 0x800, v39
	v_add_co_ci_u32_e64 v24, null, 0, v40, s39
	global_load_dwordx2 v[23:24], v[23:24], off offset:256
	s_or_b32 exec_lo, exec_lo, s56
	s_mov_b32 s56, exec_lo
	v_cmpx_lt_u32_e64 v142, v169
	s_cbranch_execz .LBB839_506
.LBB839_572:                            ;   in Loop: Header=BB839_398 Depth=2
	v_add_co_u32 v19, s39, 0x800, v39
	v_add_co_ci_u32_e64 v20, null, 0, v40, s39
	global_load_dwordx2 v[19:20], v[19:20], off offset:512
	s_or_b32 exec_lo, exec_lo, s56
	s_mov_b32 s56, exec_lo
	v_cmpx_lt_u32_e64 v143, v169
	s_cbranch_execz .LBB839_507
.LBB839_573:                            ;   in Loop: Header=BB839_398 Depth=2
	v_add_co_u32 v15, s39, 0x800, v39
	v_add_co_ci_u32_e64 v16, null, 0, v40, s39
	global_load_dwordx2 v[15:16], v[15:16], off offset:768
	s_or_b32 exec_lo, exec_lo, s56
	s_mov_b32 s56, exec_lo
	v_cmpx_lt_u32_e64 v144, v169
	s_cbranch_execz .LBB839_508
.LBB839_574:                            ;   in Loop: Header=BB839_398 Depth=2
	v_add_co_u32 v13, s39, 0x800, v39
	v_add_co_ci_u32_e64 v14, null, 0, v40, s39
	global_load_dwordx2 v[13:14], v[13:14], off offset:1024
	s_or_b32 exec_lo, exec_lo, s56
	s_mov_b32 s56, exec_lo
	v_cmpx_lt_u32_e64 v145, v169
	s_cbranch_execz .LBB839_509
.LBB839_575:                            ;   in Loop: Header=BB839_398 Depth=2
	v_add_co_u32 v11, s39, 0x800, v39
	v_add_co_ci_u32_e64 v12, null, 0, v40, s39
	global_load_dwordx2 v[11:12], v[11:12], off offset:1280
	s_or_b32 exec_lo, exec_lo, s56
	s_mov_b32 s56, exec_lo
	v_cmpx_lt_u32_e64 v146, v169
	s_cbranch_execz .LBB839_510
.LBB839_576:                            ;   in Loop: Header=BB839_398 Depth=2
	v_add_co_u32 v9, s39, 0x800, v39
	v_add_co_ci_u32_e64 v10, null, 0, v40, s39
	global_load_dwordx2 v[9:10], v[9:10], off offset:1536
	s_or_b32 exec_lo, exec_lo, s56
	s_mov_b32 s56, exec_lo
	v_cmpx_lt_u32_e64 v147, v169
	s_cbranch_execz .LBB839_511
.LBB839_577:                            ;   in Loop: Header=BB839_398 Depth=2
	v_add_co_u32 v7, s39, 0x800, v39
	v_add_co_ci_u32_e64 v8, null, 0, v40, s39
	global_load_dwordx2 v[7:8], v[7:8], off offset:1792
	s_or_b32 exec_lo, exec_lo, s56
	s_and_saveexec_b32 s39, vcc_lo
	s_cbranch_execz .LBB839_512
.LBB839_578:                            ;   in Loop: Header=BB839_398 Depth=2
	ds_read_b64 v[39:40], v108 offset:512
	s_waitcnt lgkmcnt(0)
	v_lshrrev_b64 v[39:40], s47, v[39:40]
	v_and_b32_e32 v167, s63, v39
	s_or_b32 exec_lo, exec_lo, s39
	s_and_saveexec_b32 s39, s23
	s_cbranch_execz .LBB839_513
.LBB839_579:                            ;   in Loop: Header=BB839_398 Depth=2
	ds_read_b64 v[39:40], v108 offset:2560
	s_waitcnt lgkmcnt(0)
	v_lshrrev_b64 v[39:40], s47, v[39:40]
	v_and_b32_e32 v166, s63, v39
	s_or_b32 exec_lo, exec_lo, s39
	s_and_saveexec_b32 s39, s24
	s_cbranch_execz .LBB839_514
.LBB839_580:                            ;   in Loop: Header=BB839_398 Depth=2
	ds_read_b64 v[39:40], v108 offset:4608
	s_waitcnt lgkmcnt(0)
	v_lshrrev_b64 v[39:40], s47, v[39:40]
	v_and_b32_e32 v164, s63, v39
	s_or_b32 exec_lo, exec_lo, s39
	s_and_saveexec_b32 s39, s25
	s_cbranch_execz .LBB839_515
.LBB839_581:                            ;   in Loop: Header=BB839_398 Depth=2
	ds_read_b64 v[39:40], v108 offset:6656
	s_waitcnt lgkmcnt(0)
	v_lshrrev_b64 v[39:40], s47, v[39:40]
	v_and_b32_e32 v163, s63, v39
	s_or_b32 exec_lo, exec_lo, s39
	s_and_saveexec_b32 s39, s26
	s_cbranch_execz .LBB839_516
.LBB839_582:                            ;   in Loop: Header=BB839_398 Depth=2
	ds_read_b64 v[39:40], v108 offset:8704
	s_waitcnt lgkmcnt(0)
	v_lshrrev_b64 v[39:40], s47, v[39:40]
	v_and_b32_e32 v162, s63, v39
	s_or_b32 exec_lo, exec_lo, s39
	s_and_saveexec_b32 s39, s27
	s_cbranch_execz .LBB839_517
.LBB839_583:                            ;   in Loop: Header=BB839_398 Depth=2
	ds_read_b64 v[39:40], v108 offset:10752
	s_waitcnt lgkmcnt(0)
	v_lshrrev_b64 v[39:40], s47, v[39:40]
	v_and_b32_e32 v161, s63, v39
	s_or_b32 exec_lo, exec_lo, s39
	s_and_saveexec_b32 s39, s28
	s_cbranch_execz .LBB839_518
.LBB839_584:                            ;   in Loop: Header=BB839_398 Depth=2
	ds_read_b64 v[39:40], v108 offset:12800
	s_waitcnt lgkmcnt(0)
	v_lshrrev_b64 v[39:40], s47, v[39:40]
	v_and_b32_e32 v160, s63, v39
	s_or_b32 exec_lo, exec_lo, s39
	s_and_saveexec_b32 s39, s29
	s_cbranch_execz .LBB839_519
.LBB839_585:                            ;   in Loop: Header=BB839_398 Depth=2
	ds_read_b64 v[39:40], v108 offset:14848
	s_waitcnt lgkmcnt(0)
	v_lshrrev_b64 v[39:40], s47, v[39:40]
	v_and_b32_e32 v159, s63, v39
	s_or_b32 exec_lo, exec_lo, s39
	s_and_saveexec_b32 s39, s30
	s_cbranch_execz .LBB839_520
.LBB839_586:                            ;   in Loop: Header=BB839_398 Depth=2
	ds_read_b64 v[39:40], v108 offset:16896
	s_waitcnt lgkmcnt(0)
	v_lshrrev_b64 v[39:40], s47, v[39:40]
	v_and_b32_e32 v158, s63, v39
	s_or_b32 exec_lo, exec_lo, s39
	s_and_saveexec_b32 s39, s31
	s_cbranch_execz .LBB839_521
.LBB839_587:                            ;   in Loop: Header=BB839_398 Depth=2
	ds_read_b64 v[39:40], v108 offset:18944
	s_waitcnt lgkmcnt(0)
	v_lshrrev_b64 v[39:40], s47, v[39:40]
	v_and_b32_e32 v157, s63, v39
	s_or_b32 exec_lo, exec_lo, s39
	s_and_saveexec_b32 s39, s33
	s_cbranch_execz .LBB839_522
.LBB839_588:                            ;   in Loop: Header=BB839_398 Depth=2
	ds_read_b64 v[39:40], v108 offset:20992
	s_waitcnt lgkmcnt(0)
	v_lshrrev_b64 v[39:40], s47, v[39:40]
	v_and_b32_e32 v156, s63, v39
	s_or_b32 exec_lo, exec_lo, s39
	s_and_saveexec_b32 s39, s34
	s_cbranch_execz .LBB839_523
.LBB839_589:                            ;   in Loop: Header=BB839_398 Depth=2
	ds_read_b64 v[39:40], v108 offset:23040
	s_waitcnt lgkmcnt(0)
	v_lshrrev_b64 v[39:40], s47, v[39:40]
	v_and_b32_e32 v155, s63, v39
	s_or_b32 exec_lo, exec_lo, s39
	s_and_saveexec_b32 s39, s35
	s_cbranch_execz .LBB839_524
.LBB839_590:                            ;   in Loop: Header=BB839_398 Depth=2
	ds_read_b64 v[39:40], v108 offset:25088
	s_waitcnt lgkmcnt(0)
	v_lshrrev_b64 v[39:40], s47, v[39:40]
	v_and_b32_e32 v154, s63, v39
	s_or_b32 exec_lo, exec_lo, s39
	s_and_saveexec_b32 s39, s36
	s_cbranch_execz .LBB839_525
.LBB839_591:                            ;   in Loop: Header=BB839_398 Depth=2
	ds_read_b64 v[39:40], v108 offset:27136
	s_waitcnt lgkmcnt(0)
	v_lshrrev_b64 v[39:40], s47, v[39:40]
	v_and_b32_e32 v153, s63, v39
	s_or_b32 exec_lo, exec_lo, s39
	s_and_saveexec_b32 s39, s37
	s_cbranch_execz .LBB839_526
.LBB839_592:                            ;   in Loop: Header=BB839_398 Depth=2
	ds_read_b64 v[39:40], v108 offset:29184
	s_waitcnt lgkmcnt(0)
	v_lshrrev_b64 v[39:40], s47, v[39:40]
	v_and_b32_e32 v152, s63, v39
	s_or_b32 exec_lo, exec_lo, s39
	s_and_saveexec_b32 s39, s38
	s_cbranch_execnz .LBB839_527
	s_branch .LBB839_528
.LBB839_593:                            ;   in Loop: Header=BB839_398 Depth=2
	v_lshlrev_b32_e32 v3, 2, v167
	ds_read_b32 v3, v3
	ds_read_b64 v[39:40], v108 offset:512
	s_waitcnt lgkmcnt(1)
	v_add_nc_u32_e32 v3, v3, v0
	v_lshlrev_b64 v[41:42], 3, v[3:4]
	v_add_co_u32 v41, vcc_lo, s50, v41
	v_add_co_ci_u32_e64 v42, null, s51, v42, vcc_lo
	s_waitcnt lgkmcnt(0)
	global_store_dwordx2 v[41:42], v[39:40], off
	s_or_b32 exec_lo, exec_lo, s39
	s_and_saveexec_b32 s39, s23
	s_cbranch_execz .LBB839_530
.LBB839_594:                            ;   in Loop: Header=BB839_398 Depth=2
	v_lshlrev_b32_e32 v3, 2, v166
	ds_read_b32 v3, v3
	ds_read_b64 v[39:40], v108 offset:2560
	s_waitcnt lgkmcnt(1)
	v_add_nc_u32_e32 v3, v3, v76
	v_lshlrev_b64 v[41:42], 3, v[3:4]
	v_add_co_u32 v41, vcc_lo, s50, v41
	v_add_co_ci_u32_e64 v42, null, s51, v42, vcc_lo
	s_waitcnt lgkmcnt(0)
	global_store_dwordx2 v[41:42], v[39:40], off
	s_or_b32 exec_lo, exec_lo, s39
	s_and_saveexec_b32 s23, s24
	s_cbranch_execz .LBB839_531
.LBB839_595:                            ;   in Loop: Header=BB839_398 Depth=2
	v_lshlrev_b32_e32 v3, 2, v164
	ds_read_b32 v3, v3
	ds_read_b64 v[39:40], v108 offset:4608
	s_waitcnt lgkmcnt(1)
	v_add_nc_u32_e32 v3, v3, v79
	v_lshlrev_b64 v[41:42], 3, v[3:4]
	v_add_co_u32 v41, vcc_lo, s50, v41
	v_add_co_ci_u32_e64 v42, null, s51, v42, vcc_lo
	s_waitcnt lgkmcnt(0)
	global_store_dwordx2 v[41:42], v[39:40], off
	s_or_b32 exec_lo, exec_lo, s23
	s_and_saveexec_b32 s23, s25
	s_cbranch_execz .LBB839_532
.LBB839_596:                            ;   in Loop: Header=BB839_398 Depth=2
	v_lshlrev_b32_e32 v3, 2, v163
	ds_read_b32 v3, v3
	ds_read_b64 v[39:40], v108 offset:6656
	s_waitcnt lgkmcnt(1)
	v_add_nc_u32_e32 v3, v3, v80
	v_lshlrev_b64 v[41:42], 3, v[3:4]
	v_add_co_u32 v41, vcc_lo, s50, v41
	v_add_co_ci_u32_e64 v42, null, s51, v42, vcc_lo
	s_waitcnt lgkmcnt(0)
	global_store_dwordx2 v[41:42], v[39:40], off
	s_or_b32 exec_lo, exec_lo, s23
	s_and_saveexec_b32 s23, s26
	s_cbranch_execz .LBB839_533
.LBB839_597:                            ;   in Loop: Header=BB839_398 Depth=2
	v_lshlrev_b32_e32 v3, 2, v162
	ds_read_b32 v3, v3
	ds_read_b64 v[39:40], v108 offset:8704
	s_waitcnt lgkmcnt(1)
	v_add_nc_u32_e32 v3, v3, v81
	v_lshlrev_b64 v[41:42], 3, v[3:4]
	v_add_co_u32 v41, vcc_lo, s50, v41
	v_add_co_ci_u32_e64 v42, null, s51, v42, vcc_lo
	s_waitcnt lgkmcnt(0)
	global_store_dwordx2 v[41:42], v[39:40], off
	s_or_b32 exec_lo, exec_lo, s23
	s_and_saveexec_b32 s23, s27
	s_cbranch_execz .LBB839_534
.LBB839_598:                            ;   in Loop: Header=BB839_398 Depth=2
	v_lshlrev_b32_e32 v3, 2, v161
	ds_read_b32 v3, v3
	ds_read_b64 v[39:40], v108 offset:10752
	s_waitcnt lgkmcnt(1)
	v_add_nc_u32_e32 v3, v3, v82
	v_lshlrev_b64 v[41:42], 3, v[3:4]
	v_add_co_u32 v41, vcc_lo, s50, v41
	v_add_co_ci_u32_e64 v42, null, s51, v42, vcc_lo
	s_waitcnt lgkmcnt(0)
	global_store_dwordx2 v[41:42], v[39:40], off
	s_or_b32 exec_lo, exec_lo, s23
	s_and_saveexec_b32 s23, s28
	s_cbranch_execz .LBB839_535
.LBB839_599:                            ;   in Loop: Header=BB839_398 Depth=2
	v_lshlrev_b32_e32 v3, 2, v160
	ds_read_b32 v3, v3
	ds_read_b64 v[39:40], v108 offset:12800
	s_waitcnt lgkmcnt(1)
	v_add_nc_u32_e32 v3, v3, v83
	v_lshlrev_b64 v[41:42], 3, v[3:4]
	v_add_co_u32 v41, vcc_lo, s50, v41
	v_add_co_ci_u32_e64 v42, null, s51, v42, vcc_lo
	s_waitcnt lgkmcnt(0)
	global_store_dwordx2 v[41:42], v[39:40], off
	s_or_b32 exec_lo, exec_lo, s23
	s_and_saveexec_b32 s23, s29
	s_cbranch_execz .LBB839_536
.LBB839_600:                            ;   in Loop: Header=BB839_398 Depth=2
	v_lshlrev_b32_e32 v3, 2, v159
	ds_read_b32 v3, v3
	ds_read_b64 v[39:40], v108 offset:14848
	s_waitcnt lgkmcnt(1)
	v_add_nc_u32_e32 v3, v3, v84
	v_lshlrev_b64 v[41:42], 3, v[3:4]
	v_add_co_u32 v41, vcc_lo, s50, v41
	v_add_co_ci_u32_e64 v42, null, s51, v42, vcc_lo
	s_waitcnt lgkmcnt(0)
	global_store_dwordx2 v[41:42], v[39:40], off
	s_or_b32 exec_lo, exec_lo, s23
	s_and_saveexec_b32 s23, s30
	s_cbranch_execz .LBB839_537
.LBB839_601:                            ;   in Loop: Header=BB839_398 Depth=2
	v_lshlrev_b32_e32 v3, 2, v158
	ds_read_b32 v3, v3
	ds_read_b64 v[39:40], v108 offset:16896
	s_waitcnt lgkmcnt(1)
	v_add_nc_u32_e32 v3, v3, v85
	v_lshlrev_b64 v[41:42], 3, v[3:4]
	v_add_co_u32 v41, vcc_lo, s50, v41
	v_add_co_ci_u32_e64 v42, null, s51, v42, vcc_lo
	s_waitcnt lgkmcnt(0)
	global_store_dwordx2 v[41:42], v[39:40], off
	s_or_b32 exec_lo, exec_lo, s23
	s_and_saveexec_b32 s23, s31
	s_cbranch_execz .LBB839_538
.LBB839_602:                            ;   in Loop: Header=BB839_398 Depth=2
	v_lshlrev_b32_e32 v3, 2, v157
	ds_read_b32 v3, v3
	ds_read_b64 v[39:40], v108 offset:18944
	s_waitcnt lgkmcnt(1)
	v_add_nc_u32_e32 v3, v3, v86
	v_lshlrev_b64 v[41:42], 3, v[3:4]
	v_add_co_u32 v41, vcc_lo, s50, v41
	v_add_co_ci_u32_e64 v42, null, s51, v42, vcc_lo
	s_waitcnt lgkmcnt(0)
	global_store_dwordx2 v[41:42], v[39:40], off
	s_or_b32 exec_lo, exec_lo, s23
	s_and_saveexec_b32 s23, s33
	s_cbranch_execz .LBB839_539
.LBB839_603:                            ;   in Loop: Header=BB839_398 Depth=2
	v_lshlrev_b32_e32 v3, 2, v156
	ds_read_b32 v3, v3
	ds_read_b64 v[39:40], v108 offset:20992
	s_waitcnt lgkmcnt(1)
	v_add_nc_u32_e32 v3, v3, v87
	v_lshlrev_b64 v[41:42], 3, v[3:4]
	v_add_co_u32 v41, vcc_lo, s50, v41
	v_add_co_ci_u32_e64 v42, null, s51, v42, vcc_lo
	s_waitcnt lgkmcnt(0)
	global_store_dwordx2 v[41:42], v[39:40], off
	s_or_b32 exec_lo, exec_lo, s23
	s_and_saveexec_b32 s23, s34
	s_cbranch_execz .LBB839_540
.LBB839_604:                            ;   in Loop: Header=BB839_398 Depth=2
	v_lshlrev_b32_e32 v3, 2, v155
	ds_read_b32 v3, v3
	ds_read_b64 v[39:40], v108 offset:23040
	s_waitcnt lgkmcnt(1)
	v_add_nc_u32_e32 v3, v3, v88
	v_lshlrev_b64 v[41:42], 3, v[3:4]
	v_add_co_u32 v41, vcc_lo, s50, v41
	v_add_co_ci_u32_e64 v42, null, s51, v42, vcc_lo
	s_waitcnt lgkmcnt(0)
	global_store_dwordx2 v[41:42], v[39:40], off
	s_or_b32 exec_lo, exec_lo, s23
	s_and_saveexec_b32 s23, s35
	s_cbranch_execz .LBB839_541
.LBB839_605:                            ;   in Loop: Header=BB839_398 Depth=2
	v_lshlrev_b32_e32 v3, 2, v154
	ds_read_b32 v3, v3
	ds_read_b64 v[39:40], v108 offset:25088
	s_waitcnt lgkmcnt(1)
	v_add_nc_u32_e32 v3, v3, v89
	v_lshlrev_b64 v[41:42], 3, v[3:4]
	v_add_co_u32 v41, vcc_lo, s50, v41
	v_add_co_ci_u32_e64 v42, null, s51, v42, vcc_lo
	s_waitcnt lgkmcnt(0)
	global_store_dwordx2 v[41:42], v[39:40], off
	s_or_b32 exec_lo, exec_lo, s23
	s_and_saveexec_b32 s23, s36
	s_cbranch_execz .LBB839_542
.LBB839_606:                            ;   in Loop: Header=BB839_398 Depth=2
	v_lshlrev_b32_e32 v3, 2, v153
	ds_read_b32 v3, v3
	ds_read_b64 v[39:40], v108 offset:27136
	s_waitcnt lgkmcnt(1)
	v_add_nc_u32_e32 v3, v3, v90
	v_lshlrev_b64 v[41:42], 3, v[3:4]
	v_add_co_u32 v41, vcc_lo, s50, v41
	v_add_co_ci_u32_e64 v42, null, s51, v42, vcc_lo
	s_waitcnt lgkmcnt(0)
	global_store_dwordx2 v[41:42], v[39:40], off
	s_or_b32 exec_lo, exec_lo, s23
	s_and_saveexec_b32 s23, s37
	s_cbranch_execz .LBB839_543
.LBB839_607:                            ;   in Loop: Header=BB839_398 Depth=2
	v_lshlrev_b32_e32 v3, 2, v152
	ds_read_b32 v3, v3
	ds_read_b64 v[39:40], v108 offset:29184
	s_waitcnt lgkmcnt(1)
	v_add_nc_u32_e32 v3, v3, v91
	v_lshlrev_b64 v[41:42], 3, v[3:4]
	v_add_co_u32 v41, vcc_lo, s50, v41
	v_add_co_ci_u32_e64 v42, null, s51, v42, vcc_lo
	s_waitcnt lgkmcnt(0)
	global_store_dwordx2 v[41:42], v[39:40], off
	s_or_b32 exec_lo, exec_lo, s23
	s_and_saveexec_b32 s23, s38
	s_cbranch_execnz .LBB839_544
	s_branch .LBB839_545
.LBB839_608:                            ;   in Loop: Header=BB839_20 Depth=1
	s_waitcnt lgkmcnt(0)
	s_barrier
.LBB839_609:                            ;   in Loop: Header=BB839_20 Depth=1
	s_mov_b32 s5, 0
.LBB839_610:                            ;   in Loop: Header=BB839_20 Depth=1
	s_andn2_b32 vcc_lo, exec_lo, s5
	s_cbranch_vccnz .LBB839_19
; %bb.611:                              ;   in Loop: Header=BB839_20 Depth=1
	s_lshl_b32 s5, -1, s52
	s_and_b32 vcc_lo, exec_lo, s55
	s_not_b32 s52, s5
	s_mov_b32 s5, -1
	s_cbranch_vccz .LBB839_905
; %bb.612:                              ;   in Loop: Header=BB839_20 Depth=1
	s_mov_b32 s5, s62
	s_mov_b32 s56, s60
	s_barrier
	buffer_gl0_inv
                                        ; implicit-def: $vgpr7_vgpr8
                                        ; implicit-def: $vgpr9_vgpr10
                                        ; implicit-def: $vgpr11_vgpr12
                                        ; implicit-def: $vgpr13_vgpr14
                                        ; implicit-def: $vgpr15_vgpr16
                                        ; implicit-def: $vgpr17_vgpr18
                                        ; implicit-def: $vgpr19_vgpr20
                                        ; implicit-def: $vgpr21_vgpr22
                                        ; implicit-def: $vgpr23_vgpr24
                                        ; implicit-def: $vgpr25_vgpr26
                                        ; implicit-def: $vgpr27_vgpr28
                                        ; implicit-def: $vgpr29_vgpr30
                                        ; implicit-def: $vgpr31_vgpr32
                                        ; implicit-def: $vgpr33_vgpr34
                                        ; implicit-def: $vgpr35_vgpr36
                                        ; implicit-def: $vgpr37_vgpr38
	s_branch .LBB839_614
.LBB839_613:                            ;   in Loop: Header=BB839_614 Depth=2
	s_or_b32 exec_lo, exec_lo, s16
	s_addk_i32 s5, 0xf000
	s_cmp_ge_u32 s15, s61
	s_mov_b32 s56, s15
	s_cbranch_scc1 .LBB839_682
.LBB839_614:                            ;   Parent Loop BB839_20 Depth=1
                                        ; =>  This Inner Loop Header: Depth=2
	s_add_i32 s15, s56, 0x1000
	s_mov_b32 s16, -1
	s_cmp_gt_u32 s15, s61
                                        ; implicit-def: $vgpr49_vgpr50
                                        ; implicit-def: $vgpr53_vgpr54
                                        ; implicit-def: $vgpr57_vgpr58
                                        ; implicit-def: $vgpr39_vgpr40
                                        ; implicit-def: $vgpr41_vgpr42
                                        ; implicit-def: $vgpr43_vgpr44
                                        ; implicit-def: $vgpr45_vgpr46
                                        ; implicit-def: $vgpr47_vgpr48
                                        ; implicit-def: $vgpr51_vgpr52
                                        ; implicit-def: $vgpr55_vgpr56
                                        ; implicit-def: $vgpr59_vgpr60
                                        ; implicit-def: $vgpr61_vgpr62
                                        ; implicit-def: $vgpr63_vgpr64
                                        ; implicit-def: $vgpr65_vgpr66
                                        ; implicit-def: $vgpr67_vgpr68
                                        ; implicit-def: $vgpr69_vgpr70
	s_cbranch_scc1 .LBB839_616
; %bb.615:                              ;   in Loop: Header=BB839_614 Depth=2
	s_lshl_b64 s[16:17], s[56:57], 3
	v_add_co_u32 v49, vcc_lo, v115, s16
	v_add_co_ci_u32_e64 v50, null, s17, v116, vcc_lo
	s_mov_b32 s16, 0
	v_add_co_u32 v57, vcc_lo, v49, 0x1000
	v_add_co_ci_u32_e64 v58, null, 0, v50, vcc_lo
	v_add_co_u32 v41, vcc_lo, v49, 0x2000
	v_add_co_ci_u32_e64 v42, null, 0, v50, vcc_lo
	v_add_co_u32 v45, vcc_lo, v49, 0x3000
	v_add_co_ci_u32_e64 v46, null, 0, v50, vcc_lo
	v_add_co_u32 v51, vcc_lo, v49, 0x4000
	v_add_co_ci_u32_e64 v52, null, 0, v50, vcc_lo
	v_add_co_u32 v53, vcc_lo, v49, 0x5000
	v_add_co_ci_u32_e64 v54, null, 0, v50, vcc_lo
	s_clause 0x7
	global_load_dwordx2 v[39:40], v[41:42], off offset:-2048
	global_load_dwordx2 v[41:42], v[41:42], off
	global_load_dwordx2 v[43:44], v[45:46], off offset:-2048
	global_load_dwordx2 v[45:46], v[45:46], off
	;; [unrolled: 2-line block ×4, first 2 shown]
	v_add_co_u32 v53, vcc_lo, v49, 0x6000
	v_add_co_ci_u32_e64 v54, null, 0, v50, vcc_lo
	v_add_co_u32 v67, vcc_lo, v49, 0x7000
	v_add_co_ci_u32_e64 v68, null, 0, v50, vcc_lo
	;; [unrolled: 2-line block ×3, first 2 shown]
	s_clause 0x7
	global_load_dwordx2 v[61:62], v[53:54], off offset:-2048
	global_load_dwordx2 v[63:64], v[53:54], off
	global_load_dwordx2 v[65:66], v[67:68], off offset:-2048
	global_load_dwordx2 v[67:68], v[67:68], off
	global_load_dwordx2 v[49:50], v[49:50], off
	global_load_dwordx2 v[53:54], v[57:58], off offset:-2048
	global_load_dwordx2 v[57:58], v[57:58], off
	global_load_dwordx2 v[69:70], v[69:70], off
.LBB839_616:                            ;   in Loop: Header=BB839_614 Depth=2
	s_andn2_b32 vcc_lo, exec_lo, s16
	s_movk_i32 s16, 0x1000
	s_cbranch_vccnz .LBB839_635
; %bb.617:                              ;   in Loop: Header=BB839_614 Depth=2
	s_lshl_b64 s[16:17], s[56:57], 3
	s_mov_b32 s18, exec_lo
	s_add_u32 s16, s40, s16
	s_addc_u32 s17, s41, s17
	v_cmpx_gt_u32_e64 s5, v0
	s_cbranch_execnz .LBB839_667
; %bb.618:                              ;   in Loop: Header=BB839_614 Depth=2
	s_or_b32 exec_lo, exec_lo, s18
	s_mov_b32 s18, exec_lo
	v_cmpx_gt_u32_e64 s5, v76
	s_cbranch_execnz .LBB839_668
.LBB839_619:                            ;   in Loop: Header=BB839_614 Depth=2
	s_or_b32 exec_lo, exec_lo, s18
	s_mov_b32 s18, exec_lo
	v_cmpx_gt_u32_e64 s5, v79
	s_cbranch_execnz .LBB839_669
.LBB839_620:                            ;   in Loop: Header=BB839_614 Depth=2
	s_or_b32 exec_lo, exec_lo, s18
	s_mov_b32 s18, exec_lo
	v_cmpx_gt_u32_e64 s5, v80
	s_cbranch_execnz .LBB839_670
.LBB839_621:                            ;   in Loop: Header=BB839_614 Depth=2
	s_or_b32 exec_lo, exec_lo, s18
	s_mov_b32 s18, exec_lo
	v_cmpx_gt_u32_e64 s5, v81
	s_cbranch_execnz .LBB839_671
.LBB839_622:                            ;   in Loop: Header=BB839_614 Depth=2
	s_or_b32 exec_lo, exec_lo, s18
	s_mov_b32 s18, exec_lo
	v_cmpx_gt_u32_e64 s5, v82
	s_cbranch_execnz .LBB839_672
.LBB839_623:                            ;   in Loop: Header=BB839_614 Depth=2
	s_or_b32 exec_lo, exec_lo, s18
	s_mov_b32 s18, exec_lo
	v_cmpx_gt_u32_e64 s5, v83
	s_cbranch_execnz .LBB839_673
.LBB839_624:                            ;   in Loop: Header=BB839_614 Depth=2
	s_or_b32 exec_lo, exec_lo, s18
	s_mov_b32 s18, exec_lo
	v_cmpx_gt_u32_e64 s5, v84
	s_cbranch_execnz .LBB839_674
.LBB839_625:                            ;   in Loop: Header=BB839_614 Depth=2
	s_or_b32 exec_lo, exec_lo, s18
	s_mov_b32 s18, exec_lo
	v_cmpx_gt_u32_e64 s5, v85
	s_cbranch_execnz .LBB839_675
.LBB839_626:                            ;   in Loop: Header=BB839_614 Depth=2
	s_or_b32 exec_lo, exec_lo, s18
	s_mov_b32 s18, exec_lo
	v_cmpx_gt_u32_e64 s5, v86
	s_cbranch_execnz .LBB839_676
.LBB839_627:                            ;   in Loop: Header=BB839_614 Depth=2
	s_or_b32 exec_lo, exec_lo, s18
	s_mov_b32 s18, exec_lo
	v_cmpx_gt_u32_e64 s5, v87
	s_cbranch_execnz .LBB839_677
.LBB839_628:                            ;   in Loop: Header=BB839_614 Depth=2
	s_or_b32 exec_lo, exec_lo, s18
	s_mov_b32 s18, exec_lo
	v_cmpx_gt_u32_e64 s5, v88
	s_cbranch_execnz .LBB839_678
.LBB839_629:                            ;   in Loop: Header=BB839_614 Depth=2
	s_or_b32 exec_lo, exec_lo, s18
	s_mov_b32 s18, exec_lo
	v_cmpx_gt_u32_e64 s5, v89
	s_cbranch_execnz .LBB839_679
.LBB839_630:                            ;   in Loop: Header=BB839_614 Depth=2
	s_or_b32 exec_lo, exec_lo, s18
	s_mov_b32 s18, exec_lo
	v_cmpx_gt_u32_e64 s5, v90
	s_cbranch_execnz .LBB839_680
.LBB839_631:                            ;   in Loop: Header=BB839_614 Depth=2
	s_or_b32 exec_lo, exec_lo, s18
	s_mov_b32 s18, exec_lo
	v_cmpx_gt_u32_e64 s5, v91
	s_cbranch_execnz .LBB839_681
.LBB839_632:                            ;   in Loop: Header=BB839_614 Depth=2
	s_or_b32 exec_lo, exec_lo, s18
	s_mov_b32 s18, exec_lo
	v_cmpx_gt_u32_e64 s5, v92
	s_cbranch_execz .LBB839_634
.LBB839_633:                            ;   in Loop: Header=BB839_614 Depth=2
	v_lshlrev_b32_e32 v3, 3, v92
	global_load_dwordx2 v[7:8], v3, s[16:17]
.LBB839_634:                            ;   in Loop: Header=BB839_614 Depth=2
	s_or_b32 exec_lo, exec_lo, s18
	s_waitcnt vmcnt(0)
	v_mov_b32_e32 v50, v38
	v_mov_b32_e32 v54, v36
	v_mov_b32_e32 v58, v34
	v_mov_b32_e32 v40, v32
	v_mov_b32_e32 v42, v30
	v_mov_b32_e32 v44, v28
	v_mov_b32_e32 v46, v26
	v_mov_b32_e32 v48, v24
	v_mov_b32_e32 v52, v22
	v_mov_b32_e32 v56, v20
	v_mov_b32_e32 v60, v18
	v_mov_b32_e32 v62, v16
	v_mov_b32_e32 v64, v14
	v_mov_b32_e32 v66, v12
	v_mov_b32_e32 v68, v10
	v_mov_b32_e32 v70, v8
	v_mov_b32_e32 v49, v37
	v_mov_b32_e32 v53, v35
	v_mov_b32_e32 v57, v33
	v_mov_b32_e32 v39, v31
	v_mov_b32_e32 v41, v29
	v_mov_b32_e32 v43, v27
	v_mov_b32_e32 v45, v25
	v_mov_b32_e32 v47, v23
	v_mov_b32_e32 v51, v21
	v_mov_b32_e32 v55, v19
	v_mov_b32_e32 v59, v17
	v_mov_b32_e32 v61, v15
	v_mov_b32_e32 v63, v13
	v_mov_b32_e32 v65, v11
	v_mov_b32_e32 v67, v9
	v_mov_b32_e32 v69, v7
	s_mov_b32 s16, s5
.LBB839_635:                            ;   in Loop: Header=BB839_614 Depth=2
	s_waitcnt vmcnt(0)
	v_mov_b32_e32 v7, v69
	v_mov_b32_e32 v9, v67
	;; [unrolled: 1-line block ×32, first 2 shown]
	s_mov_b32 s17, exec_lo
	v_cmpx_gt_u32_e64 s16, v0
	s_cbranch_execnz .LBB839_651
; %bb.636:                              ;   in Loop: Header=BB839_614 Depth=2
	s_or_b32 exec_lo, exec_lo, s17
	s_mov_b32 s17, exec_lo
	v_cmpx_gt_u32_e64 s16, v76
	s_cbranch_execnz .LBB839_652
.LBB839_637:                            ;   in Loop: Header=BB839_614 Depth=2
	s_or_b32 exec_lo, exec_lo, s17
	s_mov_b32 s17, exec_lo
	v_cmpx_gt_u32_e64 s16, v79
	s_cbranch_execnz .LBB839_653
.LBB839_638:                            ;   in Loop: Header=BB839_614 Depth=2
	s_or_b32 exec_lo, exec_lo, s17
	s_mov_b32 s17, exec_lo
	v_cmpx_gt_u32_e64 s16, v80
	s_cbranch_execnz .LBB839_654
.LBB839_639:                            ;   in Loop: Header=BB839_614 Depth=2
	s_or_b32 exec_lo, exec_lo, s17
	s_mov_b32 s17, exec_lo
	v_cmpx_gt_u32_e64 s16, v81
	s_cbranch_execnz .LBB839_655
.LBB839_640:                            ;   in Loop: Header=BB839_614 Depth=2
	s_or_b32 exec_lo, exec_lo, s17
	s_mov_b32 s17, exec_lo
	v_cmpx_gt_u32_e64 s16, v82
	s_cbranch_execnz .LBB839_656
.LBB839_641:                            ;   in Loop: Header=BB839_614 Depth=2
	s_or_b32 exec_lo, exec_lo, s17
	s_mov_b32 s17, exec_lo
	v_cmpx_gt_u32_e64 s16, v83
	s_cbranch_execnz .LBB839_657
.LBB839_642:                            ;   in Loop: Header=BB839_614 Depth=2
	s_or_b32 exec_lo, exec_lo, s17
	s_mov_b32 s17, exec_lo
	v_cmpx_gt_u32_e64 s16, v84
	s_cbranch_execnz .LBB839_658
.LBB839_643:                            ;   in Loop: Header=BB839_614 Depth=2
	s_or_b32 exec_lo, exec_lo, s17
	s_mov_b32 s17, exec_lo
	v_cmpx_gt_u32_e64 s16, v85
	s_cbranch_execnz .LBB839_659
.LBB839_644:                            ;   in Loop: Header=BB839_614 Depth=2
	s_or_b32 exec_lo, exec_lo, s17
	s_mov_b32 s17, exec_lo
	v_cmpx_gt_u32_e64 s16, v86
	s_cbranch_execnz .LBB839_660
.LBB839_645:                            ;   in Loop: Header=BB839_614 Depth=2
	s_or_b32 exec_lo, exec_lo, s17
	s_mov_b32 s17, exec_lo
	v_cmpx_gt_u32_e64 s16, v87
	s_cbranch_execnz .LBB839_661
.LBB839_646:                            ;   in Loop: Header=BB839_614 Depth=2
	s_or_b32 exec_lo, exec_lo, s17
	s_mov_b32 s17, exec_lo
	v_cmpx_gt_u32_e64 s16, v88
	s_cbranch_execnz .LBB839_662
.LBB839_647:                            ;   in Loop: Header=BB839_614 Depth=2
	s_or_b32 exec_lo, exec_lo, s17
	s_mov_b32 s17, exec_lo
	v_cmpx_gt_u32_e64 s16, v89
	s_cbranch_execnz .LBB839_663
.LBB839_648:                            ;   in Loop: Header=BB839_614 Depth=2
	s_or_b32 exec_lo, exec_lo, s17
	s_mov_b32 s17, exec_lo
	v_cmpx_gt_u32_e64 s16, v90
	s_cbranch_execnz .LBB839_664
.LBB839_649:                            ;   in Loop: Header=BB839_614 Depth=2
	s_or_b32 exec_lo, exec_lo, s17
	s_mov_b32 s17, exec_lo
	v_cmpx_gt_u32_e64 s16, v91
	s_cbranch_execnz .LBB839_665
.LBB839_650:                            ;   in Loop: Header=BB839_614 Depth=2
	s_or_b32 exec_lo, exec_lo, s17
	v_cmp_gt_u32_e32 vcc_lo, s16, v92
	s_and_saveexec_b32 s16, vcc_lo
	s_cbranch_execz .LBB839_613
	s_branch .LBB839_666
.LBB839_651:                            ;   in Loop: Header=BB839_614 Depth=2
	v_xor_b32_e32 v40, 0x80000000, v38
	v_mov_b32_e32 v39, v37
	v_lshrrev_b64 v[39:40], s46, v[39:40]
	v_and_b32_e32 v3, s52, v39
	v_lshl_or_b32 v3, v3, 4, v93
	ds_add_u32 v3, v121
	s_or_b32 exec_lo, exec_lo, s17
	s_mov_b32 s17, exec_lo
	v_cmpx_gt_u32_e64 s16, v76
	s_cbranch_execz .LBB839_637
.LBB839_652:                            ;   in Loop: Header=BB839_614 Depth=2
	v_xor_b32_e32 v40, 0x80000000, v36
	v_mov_b32_e32 v39, v35
	v_lshrrev_b64 v[39:40], s46, v[39:40]
	v_and_b32_e32 v3, s52, v39
	v_lshl_or_b32 v3, v3, 4, v93
	ds_add_u32 v3, v121
	s_or_b32 exec_lo, exec_lo, s17
	s_mov_b32 s17, exec_lo
	v_cmpx_gt_u32_e64 s16, v79
	s_cbranch_execz .LBB839_638
.LBB839_653:                            ;   in Loop: Header=BB839_614 Depth=2
	v_xor_b32_e32 v40, 0x80000000, v34
	v_mov_b32_e32 v39, v33
	v_lshrrev_b64 v[39:40], s46, v[39:40]
	v_and_b32_e32 v3, s52, v39
	v_lshl_or_b32 v3, v3, 4, v93
	ds_add_u32 v3, v121
	s_or_b32 exec_lo, exec_lo, s17
	s_mov_b32 s17, exec_lo
	v_cmpx_gt_u32_e64 s16, v80
	s_cbranch_execz .LBB839_639
.LBB839_654:                            ;   in Loop: Header=BB839_614 Depth=2
	v_xor_b32_e32 v40, 0x80000000, v32
	v_mov_b32_e32 v39, v31
	v_lshrrev_b64 v[39:40], s46, v[39:40]
	v_and_b32_e32 v3, s52, v39
	v_lshl_or_b32 v3, v3, 4, v93
	ds_add_u32 v3, v121
	s_or_b32 exec_lo, exec_lo, s17
	s_mov_b32 s17, exec_lo
	v_cmpx_gt_u32_e64 s16, v81
	s_cbranch_execz .LBB839_640
.LBB839_655:                            ;   in Loop: Header=BB839_614 Depth=2
	v_xor_b32_e32 v40, 0x80000000, v30
	v_mov_b32_e32 v39, v29
	v_lshrrev_b64 v[39:40], s46, v[39:40]
	v_and_b32_e32 v3, s52, v39
	v_lshl_or_b32 v3, v3, 4, v93
	ds_add_u32 v3, v121
	s_or_b32 exec_lo, exec_lo, s17
	s_mov_b32 s17, exec_lo
	v_cmpx_gt_u32_e64 s16, v82
	s_cbranch_execz .LBB839_641
.LBB839_656:                            ;   in Loop: Header=BB839_614 Depth=2
	v_xor_b32_e32 v40, 0x80000000, v28
	v_mov_b32_e32 v39, v27
	v_lshrrev_b64 v[39:40], s46, v[39:40]
	v_and_b32_e32 v3, s52, v39
	v_lshl_or_b32 v3, v3, 4, v93
	ds_add_u32 v3, v121
	s_or_b32 exec_lo, exec_lo, s17
	s_mov_b32 s17, exec_lo
	v_cmpx_gt_u32_e64 s16, v83
	s_cbranch_execz .LBB839_642
.LBB839_657:                            ;   in Loop: Header=BB839_614 Depth=2
	v_xor_b32_e32 v40, 0x80000000, v26
	v_mov_b32_e32 v39, v25
	v_lshrrev_b64 v[39:40], s46, v[39:40]
	v_and_b32_e32 v3, s52, v39
	v_lshl_or_b32 v3, v3, 4, v93
	ds_add_u32 v3, v121
	s_or_b32 exec_lo, exec_lo, s17
	s_mov_b32 s17, exec_lo
	v_cmpx_gt_u32_e64 s16, v84
	s_cbranch_execz .LBB839_643
.LBB839_658:                            ;   in Loop: Header=BB839_614 Depth=2
	v_xor_b32_e32 v40, 0x80000000, v24
	v_mov_b32_e32 v39, v23
	v_lshrrev_b64 v[39:40], s46, v[39:40]
	v_and_b32_e32 v3, s52, v39
	v_lshl_or_b32 v3, v3, 4, v93
	ds_add_u32 v3, v121
	s_or_b32 exec_lo, exec_lo, s17
	s_mov_b32 s17, exec_lo
	v_cmpx_gt_u32_e64 s16, v85
	s_cbranch_execz .LBB839_644
.LBB839_659:                            ;   in Loop: Header=BB839_614 Depth=2
	v_xor_b32_e32 v40, 0x80000000, v22
	v_mov_b32_e32 v39, v21
	v_lshrrev_b64 v[39:40], s46, v[39:40]
	v_and_b32_e32 v3, s52, v39
	v_lshl_or_b32 v3, v3, 4, v93
	ds_add_u32 v3, v121
	s_or_b32 exec_lo, exec_lo, s17
	s_mov_b32 s17, exec_lo
	v_cmpx_gt_u32_e64 s16, v86
	s_cbranch_execz .LBB839_645
.LBB839_660:                            ;   in Loop: Header=BB839_614 Depth=2
	v_xor_b32_e32 v40, 0x80000000, v20
	v_mov_b32_e32 v39, v19
	v_lshrrev_b64 v[39:40], s46, v[39:40]
	v_and_b32_e32 v3, s52, v39
	v_lshl_or_b32 v3, v3, 4, v93
	ds_add_u32 v3, v121
	s_or_b32 exec_lo, exec_lo, s17
	s_mov_b32 s17, exec_lo
	v_cmpx_gt_u32_e64 s16, v87
	s_cbranch_execz .LBB839_646
.LBB839_661:                            ;   in Loop: Header=BB839_614 Depth=2
	v_xor_b32_e32 v40, 0x80000000, v18
	v_mov_b32_e32 v39, v17
	v_lshrrev_b64 v[39:40], s46, v[39:40]
	v_and_b32_e32 v3, s52, v39
	v_lshl_or_b32 v3, v3, 4, v93
	ds_add_u32 v3, v121
	s_or_b32 exec_lo, exec_lo, s17
	s_mov_b32 s17, exec_lo
	v_cmpx_gt_u32_e64 s16, v88
	s_cbranch_execz .LBB839_647
.LBB839_662:                            ;   in Loop: Header=BB839_614 Depth=2
	v_xor_b32_e32 v40, 0x80000000, v16
	v_mov_b32_e32 v39, v15
	v_lshrrev_b64 v[39:40], s46, v[39:40]
	v_and_b32_e32 v3, s52, v39
	v_lshl_or_b32 v3, v3, 4, v93
	ds_add_u32 v3, v121
	s_or_b32 exec_lo, exec_lo, s17
	s_mov_b32 s17, exec_lo
	v_cmpx_gt_u32_e64 s16, v89
	s_cbranch_execz .LBB839_648
.LBB839_663:                            ;   in Loop: Header=BB839_614 Depth=2
	v_xor_b32_e32 v40, 0x80000000, v14
	v_mov_b32_e32 v39, v13
	v_lshrrev_b64 v[39:40], s46, v[39:40]
	v_and_b32_e32 v3, s52, v39
	v_lshl_or_b32 v3, v3, 4, v93
	ds_add_u32 v3, v121
	s_or_b32 exec_lo, exec_lo, s17
	s_mov_b32 s17, exec_lo
	v_cmpx_gt_u32_e64 s16, v90
	s_cbranch_execz .LBB839_649
.LBB839_664:                            ;   in Loop: Header=BB839_614 Depth=2
	v_xor_b32_e32 v40, 0x80000000, v12
	v_mov_b32_e32 v39, v11
	v_lshrrev_b64 v[39:40], s46, v[39:40]
	v_and_b32_e32 v3, s52, v39
	v_lshl_or_b32 v3, v3, 4, v93
	ds_add_u32 v3, v121
	s_or_b32 exec_lo, exec_lo, s17
	s_mov_b32 s17, exec_lo
	v_cmpx_gt_u32_e64 s16, v91
	s_cbranch_execz .LBB839_650
.LBB839_665:                            ;   in Loop: Header=BB839_614 Depth=2
	v_xor_b32_e32 v40, 0x80000000, v10
	v_mov_b32_e32 v39, v9
	v_lshrrev_b64 v[39:40], s46, v[39:40]
	v_and_b32_e32 v3, s52, v39
	v_lshl_or_b32 v3, v3, 4, v93
	ds_add_u32 v3, v121
	s_or_b32 exec_lo, exec_lo, s17
	v_cmp_gt_u32_e32 vcc_lo, s16, v92
	s_and_saveexec_b32 s16, vcc_lo
	s_cbranch_execz .LBB839_613
.LBB839_666:                            ;   in Loop: Header=BB839_614 Depth=2
	v_xor_b32_e32 v40, 0x80000000, v8
	v_mov_b32_e32 v39, v7
	v_lshrrev_b64 v[39:40], s46, v[39:40]
	v_and_b32_e32 v3, s52, v39
	v_lshl_or_b32 v3, v3, 4, v93
	ds_add_u32 v3, v121
	s_branch .LBB839_613
.LBB839_667:                            ;   in Loop: Header=BB839_614 Depth=2
	global_load_dwordx2 v[37:38], v122, s[16:17]
	s_or_b32 exec_lo, exec_lo, s18
	s_mov_b32 s18, exec_lo
	v_cmpx_gt_u32_e64 s5, v76
	s_cbranch_execz .LBB839_619
.LBB839_668:                            ;   in Loop: Header=BB839_614 Depth=2
	global_load_dwordx2 v[35:36], v123, s[16:17]
	s_or_b32 exec_lo, exec_lo, s18
	s_mov_b32 s18, exec_lo
	v_cmpx_gt_u32_e64 s5, v79
	s_cbranch_execz .LBB839_620
.LBB839_669:                            ;   in Loop: Header=BB839_614 Depth=2
	global_load_dwordx2 v[33:34], v124, s[16:17]
	s_or_b32 exec_lo, exec_lo, s18
	s_mov_b32 s18, exec_lo
	v_cmpx_gt_u32_e64 s5, v80
	s_cbranch_execz .LBB839_621
.LBB839_670:                            ;   in Loop: Header=BB839_614 Depth=2
	global_load_dwordx2 v[31:32], v125, s[16:17]
	s_or_b32 exec_lo, exec_lo, s18
	s_mov_b32 s18, exec_lo
	v_cmpx_gt_u32_e64 s5, v81
	s_cbranch_execz .LBB839_622
.LBB839_671:                            ;   in Loop: Header=BB839_614 Depth=2
	global_load_dwordx2 v[29:30], v126, s[16:17]
	s_or_b32 exec_lo, exec_lo, s18
	s_mov_b32 s18, exec_lo
	v_cmpx_gt_u32_e64 s5, v82
	s_cbranch_execz .LBB839_623
.LBB839_672:                            ;   in Loop: Header=BB839_614 Depth=2
	global_load_dwordx2 v[27:28], v127, s[16:17]
	s_or_b32 exec_lo, exec_lo, s18
	s_mov_b32 s18, exec_lo
	v_cmpx_gt_u32_e64 s5, v83
	s_cbranch_execz .LBB839_624
.LBB839_673:                            ;   in Loop: Header=BB839_614 Depth=2
	v_lshlrev_b32_e32 v3, 3, v83
	global_load_dwordx2 v[25:26], v3, s[16:17]
	s_or_b32 exec_lo, exec_lo, s18
	s_mov_b32 s18, exec_lo
	v_cmpx_gt_u32_e64 s5, v84
	s_cbranch_execz .LBB839_625
.LBB839_674:                            ;   in Loop: Header=BB839_614 Depth=2
	v_lshlrev_b32_e32 v3, 3, v84
	global_load_dwordx2 v[23:24], v3, s[16:17]
	s_or_b32 exec_lo, exec_lo, s18
	s_mov_b32 s18, exec_lo
	v_cmpx_gt_u32_e64 s5, v85
	s_cbranch_execz .LBB839_626
.LBB839_675:                            ;   in Loop: Header=BB839_614 Depth=2
	v_lshlrev_b32_e32 v3, 3, v85
	global_load_dwordx2 v[21:22], v3, s[16:17]
	s_or_b32 exec_lo, exec_lo, s18
	s_mov_b32 s18, exec_lo
	v_cmpx_gt_u32_e64 s5, v86
	s_cbranch_execz .LBB839_627
.LBB839_676:                            ;   in Loop: Header=BB839_614 Depth=2
	v_lshlrev_b32_e32 v3, 3, v86
	global_load_dwordx2 v[19:20], v3, s[16:17]
	s_or_b32 exec_lo, exec_lo, s18
	s_mov_b32 s18, exec_lo
	v_cmpx_gt_u32_e64 s5, v87
	s_cbranch_execz .LBB839_628
.LBB839_677:                            ;   in Loop: Header=BB839_614 Depth=2
	v_lshlrev_b32_e32 v3, 3, v87
	global_load_dwordx2 v[17:18], v3, s[16:17]
	s_or_b32 exec_lo, exec_lo, s18
	s_mov_b32 s18, exec_lo
	v_cmpx_gt_u32_e64 s5, v88
	s_cbranch_execz .LBB839_629
.LBB839_678:                            ;   in Loop: Header=BB839_614 Depth=2
	v_lshlrev_b32_e32 v3, 3, v88
	global_load_dwordx2 v[15:16], v3, s[16:17]
	s_or_b32 exec_lo, exec_lo, s18
	s_mov_b32 s18, exec_lo
	v_cmpx_gt_u32_e64 s5, v89
	s_cbranch_execz .LBB839_630
.LBB839_679:                            ;   in Loop: Header=BB839_614 Depth=2
	v_lshlrev_b32_e32 v3, 3, v89
	global_load_dwordx2 v[13:14], v3, s[16:17]
	s_or_b32 exec_lo, exec_lo, s18
	s_mov_b32 s18, exec_lo
	v_cmpx_gt_u32_e64 s5, v90
	s_cbranch_execz .LBB839_631
.LBB839_680:                            ;   in Loop: Header=BB839_614 Depth=2
	v_lshlrev_b32_e32 v3, 3, v90
	global_load_dwordx2 v[11:12], v3, s[16:17]
	s_or_b32 exec_lo, exec_lo, s18
	s_mov_b32 s18, exec_lo
	v_cmpx_gt_u32_e64 s5, v91
	s_cbranch_execz .LBB839_632
.LBB839_681:                            ;   in Loop: Header=BB839_614 Depth=2
	v_lshlrev_b32_e32 v3, 3, v91
	global_load_dwordx2 v[9:10], v3, s[16:17]
	s_or_b32 exec_lo, exec_lo, s18
	s_mov_b32 s18, exec_lo
	v_cmpx_gt_u32_e64 s5, v92
	s_cbranch_execnz .LBB839_633
	s_branch .LBB839_634
.LBB839_682:                            ;   in Loop: Header=BB839_20 Depth=1
	v_mov_b32_e32 v3, 0
	s_waitcnt lgkmcnt(0)
	s_barrier
	buffer_gl0_inv
	s_and_saveexec_b32 s5, s8
	s_cbranch_execz .LBB839_684
; %bb.683:                              ;   in Loop: Header=BB839_20 Depth=1
	ds_read2_b64 v[7:10], v95 offset1:1
	s_waitcnt lgkmcnt(0)
	v_add_nc_u32_e32 v3, v8, v7
	v_add3_u32 v3, v3, v9, v10
.LBB839_684:                            ;   in Loop: Header=BB839_20 Depth=1
	s_or_b32 exec_lo, exec_lo, s5
	v_and_b32_e32 v7, 15, v128
	v_mov_b32_dpp v8, v3 row_shr:1 row_mask:0xf bank_mask:0xf
	v_and_b32_e32 v9, 16, v128
	v_cmp_eq_u32_e64 s5, 0, v7
	v_cmp_lt_u32_e64 s15, 1, v7
	v_cmp_lt_u32_e64 s16, 3, v7
	v_cmp_lt_u32_e64 s17, 7, v7
	v_cmp_eq_u32_e64 s18, 0, v9
	v_cndmask_b32_e64 v8, v8, 0, s5
	v_add_nc_u32_e32 v3, v8, v3
	v_mov_b32_dpp v8, v3 row_shr:2 row_mask:0xf bank_mask:0xf
	v_cndmask_b32_e64 v8, 0, v8, s15
	v_add_nc_u32_e32 v3, v3, v8
	v_mov_b32_dpp v8, v3 row_shr:4 row_mask:0xf bank_mask:0xf
	;; [unrolled: 3-line block ×3, first 2 shown]
	v_cndmask_b32_e64 v7, 0, v8, s17
	v_bfe_i32 v8, v128, 4, 1
	v_add_nc_u32_e32 v3, v3, v7
	ds_swizzle_b32 v7, v3 offset:swizzle(BROADCAST,32,15)
	s_waitcnt lgkmcnt(0)
	v_and_b32_e32 v7, v8, v7
	v_add_nc_u32_e32 v3, v3, v7
	s_and_saveexec_b32 s19, s9
; %bb.685:                              ;   in Loop: Header=BB839_20 Depth=1
	ds_write_b32 v96, v3
; %bb.686:                              ;   in Loop: Header=BB839_20 Depth=1
	s_or_b32 exec_lo, exec_lo, s19
	s_waitcnt lgkmcnt(0)
	s_barrier
	buffer_gl0_inv
	s_and_saveexec_b32 s19, s10
	s_cbranch_execz .LBB839_688
; %bb.687:                              ;   in Loop: Header=BB839_20 Depth=1
	ds_read_b32 v7, v97
	v_and_b32_e32 v8, 3, v128
	v_cmp_ne_u32_e32 vcc_lo, 0, v8
	s_waitcnt lgkmcnt(0)
	v_mov_b32_dpp v9, v7 row_shr:1 row_mask:0xf bank_mask:0xf
	v_cndmask_b32_e32 v9, 0, v9, vcc_lo
	v_cmp_lt_u32_e32 vcc_lo, 1, v8
	v_add_nc_u32_e32 v7, v9, v7
	v_mov_b32_dpp v9, v7 row_shr:2 row_mask:0xf bank_mask:0xf
	v_cndmask_b32_e32 v8, 0, v9, vcc_lo
	v_add_nc_u32_e32 v7, v7, v8
	ds_write_b32 v97, v7
.LBB839_688:                            ;   in Loop: Header=BB839_20 Depth=1
	s_or_b32 exec_lo, exec_lo, s19
	v_mov_b32_e32 v7, 0
	s_waitcnt lgkmcnt(0)
	s_barrier
	buffer_gl0_inv
	s_and_saveexec_b32 s19, s11
; %bb.689:                              ;   in Loop: Header=BB839_20 Depth=1
	ds_read_b32 v7, v98
; %bb.690:                              ;   in Loop: Header=BB839_20 Depth=1
	s_or_b32 exec_lo, exec_lo, s19
	v_sub_co_u32 v8, s19, v128, 1
	s_waitcnt lgkmcnt(0)
	v_add_nc_u32_e32 v3, v7, v3
	s_barrier
	v_cmp_gt_i32_e32 vcc_lo, 0, v8
	buffer_gl0_inv
	v_cndmask_b32_e32 v8, v8, v128, vcc_lo
	v_lshlrev_b32_e32 v129, 2, v8
	ds_bpermute_b32 v3, v129, v3
	s_and_saveexec_b32 s20, s8
	s_cbranch_execz .LBB839_692
; %bb.691:                              ;   in Loop: Header=BB839_20 Depth=1
	s_waitcnt lgkmcnt(0)
	v_cndmask_b32_e64 v3, v3, v7, s19
	v_add_nc_u32_e32 v3, s60, v3
	ds_write_b32 v75, v3
.LBB839_692:                            ;   in Loop: Header=BB839_20 Depth=1
	s_or_b32 exec_lo, exec_lo, s20
	s_load_dwordx2 s[20:21], s[58:59], 0x0
	v_and_b32_e32 v8, 7, v128
	v_lshlrev_b32_e32 v9, 3, v128
	v_or_b32_e32 v130, v128, v99
	s_mov_b32 s63, s62
	s_mov_b32 s56, s60
                                        ; implicit-def: $vgpr11_vgpr12
                                        ; implicit-def: $vgpr13_vgpr14
                                        ; implicit-def: $vgpr15_vgpr16
                                        ; implicit-def: $vgpr19_vgpr20
                                        ; implicit-def: $vgpr23_vgpr24
                                        ; implicit-def: $vgpr27_vgpr28
                                        ; implicit-def: $vgpr17_vgpr18
                                        ; implicit-def: $vgpr21_vgpr22
                                        ; implicit-def: $vgpr25_vgpr26
                                        ; implicit-def: $vgpr29_vgpr30
                                        ; implicit-def: $vgpr31_vgpr32
                                        ; implicit-def: $vgpr33_vgpr34
                                        ; implicit-def: $vgpr35_vgpr36
                                        ; implicit-def: $vgpr37_vgpr38
                                        ; implicit-def: $vgpr151
                                        ; implicit-def: $vgpr152
                                        ; implicit-def: $vgpr153
                                        ; implicit-def: $vgpr154
                                        ; implicit-def: $vgpr155
                                        ; implicit-def: $vgpr156
                                        ; implicit-def: $vgpr157
                                        ; implicit-def: $vgpr158
                                        ; implicit-def: $vgpr159
                                        ; implicit-def: $vgpr160
                                        ; implicit-def: $vgpr161
                                        ; implicit-def: $vgpr162
                                        ; implicit-def: $vgpr163
                                        ; implicit-def: $vgpr164
                                        ; implicit-def: $vgpr166
                                        ; implicit-def: $vgpr167
                                        ; implicit-def: $vgpr165
                                        ; implicit-def: $vgpr168
	v_add_co_u32 v131, vcc_lo, v117, v9
	v_add_co_ci_u32_e64 v132, null, 0, v118, vcc_lo
	v_add_co_u32 v148, vcc_lo, v119, v9
	v_or_b32_e32 v133, 32, v130
	v_or_b32_e32 v134, 64, v130
	;; [unrolled: 1-line block ×7, first 2 shown]
	s_waitcnt lgkmcnt(0)
	s_cmp_lt_u32 s7, s21
	v_or_b32_e32 v140, 0x100, v130
	s_cselect_b32 s21, 14, 20
	v_or_b32_e32 v141, 0x120, v130
	s_add_u32 s22, s58, s21
	s_addc_u32 s23, s59, 0
	s_cmp_lt_u32 s6, s20
	global_load_ushort v3, v4, s[22:23]
	s_cselect_b32 s20, 12, 18
	v_or_b32_e32 v142, 0x140, v130
	s_add_u32 s20, s58, s20
	s_addc_u32 s21, s59, 0
	v_or_b32_e32 v143, 0x160, v130
	global_load_ushort v7, v4, s[20:21]
	v_cmp_eq_u32_e64 s20, 0, v8
	v_cmp_lt_u32_e64 s21, 1, v8
	v_cmp_lt_u32_e64 s22, 3, v8
	v_or_b32_e32 v144, 0x180, v130
	v_or_b32_e32 v145, 0x1a0, v130
	;; [unrolled: 1-line block ×4, first 2 shown]
	v_add_co_ci_u32_e64 v149, null, 0, v120, vcc_lo
                                        ; implicit-def: $vgpr9_vgpr10
	s_waitcnt vmcnt(1)
	v_mad_u32_u24 v3, v2, v3, v1
	s_waitcnt vmcnt(0)
	v_mad_u64_u32 v[7:8], null, v3, v7, v[0:1]
	v_lshrrev_b32_e32 v3, 3, v7
                                        ; implicit-def: $vgpr7_vgpr8
	v_and_b32_e32 v150, 0x1ffffffc, v3
	s_branch .LBB839_694
.LBB839_693:                            ;   in Loop: Header=BB839_694 Depth=2
	s_or_b32 exec_lo, exec_lo, s23
	s_addk_i32 s63, 0xf000
	s_cmp_lt_u32 s64, s61
	s_mov_b32 s56, s64
	s_cbranch_scc0 .LBB839_904
.LBB839_694:                            ;   Parent Loop BB839_20 Depth=1
                                        ; =>  This Inner Loop Header: Depth=2
	s_add_i32 s64, s56, 0x1000
	s_cmp_gt_u32 s64, s61
	s_cbranch_scc1 .LBB839_696
; %bb.695:                              ;   in Loop: Header=BB839_694 Depth=2
	s_lshl_b64 s[24:25], s[56:57], 3
	s_mov_b32 s23, -1
	v_add_co_u32 v53, vcc_lo, v148, s24
	v_add_co_ci_u32_e64 v54, null, s25, v149, vcc_lo
	v_add_co_u32 v67, vcc_lo, 0x800, v53
	v_add_co_ci_u32_e64 v68, null, 0, v54, vcc_lo
	s_clause 0xe
	global_load_dwordx2 v[41:42], v[53:54], off
	global_load_dwordx2 v[39:40], v[53:54], off offset:256
	global_load_dwordx2 v[43:44], v[53:54], off offset:512
	;; [unrolled: 1-line block ×7, first 2 shown]
	global_load_dwordx2 v[55:56], v[67:68], off
	global_load_dwordx2 v[57:58], v[67:68], off offset:256
	global_load_dwordx2 v[61:62], v[67:68], off offset:512
	;; [unrolled: 1-line block ×6, first 2 shown]
	s_movk_i32 s24, 0x1000
	s_cbranch_execz .LBB839_697
	s_branch .LBB839_728
.LBB839_696:                            ;   in Loop: Header=BB839_694 Depth=2
	s_mov_b32 s23, 0
                                        ; implicit-def: $vgpr41_vgpr42
                                        ; implicit-def: $vgpr39_vgpr40
                                        ; implicit-def: $vgpr43_vgpr44
                                        ; implicit-def: $vgpr45_vgpr46
                                        ; implicit-def: $vgpr47_vgpr48
                                        ; implicit-def: $vgpr51_vgpr52
                                        ; implicit-def: $vgpr49_vgpr50
                                        ; implicit-def: $vgpr53_vgpr54
                                        ; implicit-def: $vgpr55_vgpr56
                                        ; implicit-def: $vgpr57_vgpr58
                                        ; implicit-def: $vgpr61_vgpr62
                                        ; implicit-def: $vgpr59_vgpr60
                                        ; implicit-def: $vgpr63_vgpr64
                                        ; implicit-def: $vgpr65_vgpr66
                                        ; implicit-def: $vgpr67_vgpr68
	s_movk_i32 s24, 0x1000
.LBB839_697:                            ;   in Loop: Header=BB839_694 Depth=2
	s_waitcnt vmcnt(13)
	v_mov_b32_e32 v40, v6
	v_mov_b32_e32 v39, v5
	s_lshl_b64 s[24:25], s[56:57], 3
	s_mov_b32 s23, exec_lo
	v_add_co_u32 v69, vcc_lo, v148, s24
	v_mov_b32_e32 v42, v40
	v_add_co_ci_u32_e64 v70, null, s25, v149, vcc_lo
	v_mov_b32_e32 v41, v39
	v_cmpx_gt_u32_e64 s63, v130
	s_cbranch_execz .LBB839_699
; %bb.698:                              ;   in Loop: Header=BB839_694 Depth=2
	global_load_dwordx2 v[41:42], v[69:70], off
.LBB839_699:                            ;   in Loop: Header=BB839_694 Depth=2
	s_or_b32 exec_lo, exec_lo, s23
	s_mov_b32 s23, exec_lo
	v_cmpx_gt_u32_e64 s63, v133
	s_cbranch_execz .LBB839_701
; %bb.700:                              ;   in Loop: Header=BB839_694 Depth=2
	global_load_dwordx2 v[39:40], v[69:70], off offset:256
.LBB839_701:                            ;   in Loop: Header=BB839_694 Depth=2
	s_or_b32 exec_lo, exec_lo, s23
	s_waitcnt vmcnt(12)
	v_mov_b32_e32 v44, v6
	v_mov_b32_e32 v43, v5
	s_mov_b32 s23, exec_lo
	v_cmpx_gt_u32_e64 s63, v134
	s_cbranch_execz .LBB839_703
; %bb.702:                              ;   in Loop: Header=BB839_694 Depth=2
	global_load_dwordx2 v[43:44], v[69:70], off offset:512
.LBB839_703:                            ;   in Loop: Header=BB839_694 Depth=2
	s_or_b32 exec_lo, exec_lo, s23
	s_waitcnt vmcnt(11)
	v_mov_b32_e32 v46, v6
	v_mov_b32_e32 v45, v5
	;; [unrolled: 10-line block ×7, first 2 shown]
	s_mov_b32 s23, exec_lo
	v_cmpx_gt_u32_e64 s63, v140
	s_cbranch_execz .LBB839_715
; %bb.714:                              ;   in Loop: Header=BB839_694 Depth=2
	v_add_co_u32 v55, vcc_lo, 0x800, v69
	v_add_co_ci_u32_e64 v56, null, 0, v70, vcc_lo
	global_load_dwordx2 v[55:56], v[55:56], off
.LBB839_715:                            ;   in Loop: Header=BB839_694 Depth=2
	s_or_b32 exec_lo, exec_lo, s23
	s_waitcnt vmcnt(5)
	v_mov_b32_e32 v58, v6
	v_mov_b32_e32 v57, v5
	s_mov_b32 s23, exec_lo
	v_cmpx_gt_u32_e64 s63, v141
	s_cbranch_execz .LBB839_717
; %bb.716:                              ;   in Loop: Header=BB839_694 Depth=2
	v_add_co_u32 v57, vcc_lo, 0x800, v69
	v_add_co_ci_u32_e64 v58, null, 0, v70, vcc_lo
	global_load_dwordx2 v[57:58], v[57:58], off offset:256
.LBB839_717:                            ;   in Loop: Header=BB839_694 Depth=2
	s_or_b32 exec_lo, exec_lo, s23
	s_waitcnt vmcnt(4)
	v_mov_b32_e32 v62, v6
	v_mov_b32_e32 v61, v5
	s_mov_b32 s23, exec_lo
	v_cmpx_gt_u32_e64 s63, v142
	s_cbranch_execz .LBB839_719
; %bb.718:                              ;   in Loop: Header=BB839_694 Depth=2
	s_waitcnt vmcnt(3)
	v_add_co_u32 v59, vcc_lo, 0x800, v69
	v_add_co_ci_u32_e64 v60, null, 0, v70, vcc_lo
	global_load_dwordx2 v[61:62], v[59:60], off offset:512
.LBB839_719:                            ;   in Loop: Header=BB839_694 Depth=2
	s_or_b32 exec_lo, exec_lo, s23
	s_waitcnt vmcnt(3)
	v_mov_b32_e32 v60, v6
	v_mov_b32_e32 v59, v5
	s_mov_b32 s23, exec_lo
	v_cmpx_gt_u32_e64 s63, v143
	s_cbranch_execz .LBB839_721
; %bb.720:                              ;   in Loop: Header=BB839_694 Depth=2
	v_add_co_u32 v59, vcc_lo, 0x800, v69
	v_add_co_ci_u32_e64 v60, null, 0, v70, vcc_lo
	global_load_dwordx2 v[59:60], v[59:60], off offset:768
.LBB839_721:                            ;   in Loop: Header=BB839_694 Depth=2
	s_or_b32 exec_lo, exec_lo, s23
	s_waitcnt vmcnt(2)
	v_mov_b32_e32 v64, v6
	v_mov_b32_e32 v63, v5
	s_mov_b32 s23, exec_lo
	v_cmpx_gt_u32_e64 s63, v144
	s_cbranch_execz .LBB839_723
; %bb.722:                              ;   in Loop: Header=BB839_694 Depth=2
	v_add_co_u32 v63, vcc_lo, 0x800, v69
	v_add_co_ci_u32_e64 v64, null, 0, v70, vcc_lo
	global_load_dwordx2 v[63:64], v[63:64], off offset:1024
.LBB839_723:                            ;   in Loop: Header=BB839_694 Depth=2
	;; [unrolled: 12-line block ×4, first 2 shown]
	s_or_b32 exec_lo, exec_lo, s23
	v_cmp_gt_u32_e64 s23, s63, v147
	s_sub_i32 s24, s61, s56
.LBB839_728:                            ;   in Loop: Header=BB839_694 Depth=2
	v_mov_b32_e32 v69, -1
	v_mov_b32_e32 v70, -1
	v_mov_b32_e32 v169, s63
	s_and_saveexec_b32 s25, s23
	s_cbranch_execz .LBB839_730
; %bb.729:                              ;   in Loop: Header=BB839_694 Depth=2
	s_lshl_b64 s[26:27], s[56:57], 3
	v_mov_b32_e32 v169, s24
	v_add_co_u32 v3, vcc_lo, v148, s26
	v_add_co_ci_u32_e64 v70, null, s27, v149, vcc_lo
	v_add_co_u32 v69, vcc_lo, 0x800, v3
	v_add_co_ci_u32_e64 v70, null, 0, v70, vcc_lo
	global_load_dwordx2 v[69:70], v[69:70], off offset:1792
	s_waitcnt vmcnt(0)
	v_xor_b32_e32 v70, 0x80000000, v70
.LBB839_730:                            ;   in Loop: Header=BB839_694 Depth=2
	s_or_b32 exec_lo, exec_lo, s25
	s_waitcnt vmcnt(14)
	v_xor_b32_e32 v42, 0x80000000, v42
	ds_write2_b32 v100, v4, v4 offset0:136 offset1:137
	ds_write2_b32 v100, v4, v4 offset0:138 offset1:139
	ds_write_b32 v100, v4 offset:560
	s_waitcnt vmcnt(0) lgkmcnt(0)
	s_barrier
	v_lshrrev_b64 v[71:72], s46, v[41:42]
	buffer_gl0_inv
	; wave barrier
	v_and_b32_e32 v72, s52, v71
	v_and_b32_e32 v3, 1, v72
	v_lshlrev_b32_e32 v71, 30, v72
	v_lshlrev_b32_e32 v73, 29, v72
	v_lshlrev_b32_e32 v170, 28, v72
	v_lshlrev_b32_e32 v171, 27, v72
	v_add_co_u32 v3, s23, v3, -1
	v_cndmask_b32_e64 v74, 0, 1, s23
	v_not_b32_e32 v173, v71
	v_cmp_gt_i32_e64 s23, 0, v71
	v_not_b32_e32 v71, v73
	v_lshlrev_b32_e32 v172, 26, v72
	v_cmp_ne_u32_e32 vcc_lo, 0, v74
	v_ashrrev_i32_e32 v173, 31, v173
	v_lshlrev_b32_e32 v74, 25, v72
	v_ashrrev_i32_e32 v71, 31, v71
	v_mul_u32_u24_e32 v72, 36, v72
	v_xor_b32_e32 v3, vcc_lo, v3
	v_cmp_gt_i32_e32 vcc_lo, 0, v73
	v_not_b32_e32 v73, v170
	v_xor_b32_e32 v173, s23, v173
	v_cmp_gt_i32_e64 s23, 0, v170
	v_and_b32_e32 v3, exec_lo, v3
	v_not_b32_e32 v170, v171
	v_ashrrev_i32_e32 v73, 31, v73
	v_xor_b32_e32 v71, vcc_lo, v71
	v_cmp_gt_i32_e32 vcc_lo, 0, v171
	v_and_b32_e32 v3, v3, v173
	v_not_b32_e32 v171, v172
	v_ashrrev_i32_e32 v170, 31, v170
	v_xor_b32_e32 v73, s23, v73
	v_cmp_gt_i32_e64 s23, 0, v172
	v_and_b32_e32 v3, v3, v71
	v_not_b32_e32 v71, v74
	v_ashrrev_i32_e32 v171, 31, v171
	v_xor_b32_e32 v170, vcc_lo, v170
	v_cmp_gt_i32_e32 vcc_lo, 0, v74
	v_and_b32_e32 v3, v3, v73
	v_ashrrev_i32_e32 v71, 31, v71
	v_xor_b32_e32 v73, s23, v171
	v_and_b32_e32 v3, v3, v170
	v_xor_b32_e32 v71, vcc_lo, v71
	v_add_nc_u32_e32 v170, v150, v72
	v_and_b32_e32 v3, v3, v73
	v_and_b32_e32 v71, v3, v71
	v_mbcnt_lo_u32_b32 v3, v71, 0
	v_cmp_ne_u32_e64 s23, 0, v71
	v_cmp_eq_u32_e32 vcc_lo, 0, v3
	s_and_b32 s24, s23, vcc_lo
	s_and_saveexec_b32 s23, s24
; %bb.731:                              ;   in Loop: Header=BB839_694 Depth=2
	v_bcnt_u32_b32 v71, v71, 0
	ds_write_b32 v170, v71 offset:544
; %bb.732:                              ;   in Loop: Header=BB839_694 Depth=2
	s_or_b32 exec_lo, exec_lo, s23
	v_xor_b32_e32 v40, 0x80000000, v40
	; wave barrier
	v_lshrrev_b64 v[71:72], s46, v[39:40]
	v_and_b32_e32 v72, s52, v71
	v_and_b32_e32 v71, 1, v72
	v_lshlrev_b32_e32 v73, 30, v72
	v_lshlrev_b32_e32 v74, 29, v72
	v_lshlrev_b32_e32 v172, 28, v72
	v_lshlrev_b32_e32 v173, 27, v72
	v_add_co_u32 v71, s23, v71, -1
	v_cndmask_b32_e64 v171, 0, 1, s23
	v_not_b32_e32 v175, v73
	v_cmp_gt_i32_e64 s23, 0, v73
	v_not_b32_e32 v73, v74
	v_lshlrev_b32_e32 v174, 26, v72
	v_cmp_ne_u32_e32 vcc_lo, 0, v171
	v_ashrrev_i32_e32 v175, 31, v175
	v_lshlrev_b32_e32 v171, 25, v72
	v_ashrrev_i32_e32 v73, 31, v73
	v_xor_b32_e32 v71, vcc_lo, v71
	v_cmp_gt_i32_e32 vcc_lo, 0, v74
	v_not_b32_e32 v74, v172
	v_xor_b32_e32 v175, s23, v175
	v_cmp_gt_i32_e64 s23, 0, v172
	v_and_b32_e32 v71, exec_lo, v71
	v_not_b32_e32 v172, v173
	v_ashrrev_i32_e32 v74, 31, v74
	v_xor_b32_e32 v73, vcc_lo, v73
	v_cmp_gt_i32_e32 vcc_lo, 0, v173
	v_and_b32_e32 v71, v71, v175
	v_not_b32_e32 v173, v174
	v_ashrrev_i32_e32 v172, 31, v172
	v_xor_b32_e32 v74, s23, v74
	v_cmp_gt_i32_e64 s23, 0, v174
	v_and_b32_e32 v71, v71, v73
	v_not_b32_e32 v73, v171
	v_ashrrev_i32_e32 v173, 31, v173
	v_xor_b32_e32 v172, vcc_lo, v172
	v_cmp_gt_i32_e32 vcc_lo, 0, v171
	v_and_b32_e32 v71, v71, v74
	v_ashrrev_i32_e32 v73, 31, v73
	v_xor_b32_e32 v74, s23, v173
	v_mad_u32_u24 v171, v72, 36, v150
	v_mul_u32_u24_e32 v72, 36, v72
	v_and_b32_e32 v71, v71, v172
	v_xor_b32_e32 v73, vcc_lo, v73
	ds_read_b32 v171, v171 offset:544
	v_add_nc_u32_e32 v173, v150, v72
	v_and_b32_e32 v71, v71, v74
	; wave barrier
	v_and_b32_e32 v71, v71, v73
	v_mbcnt_lo_u32_b32 v172, v71, 0
	v_cmp_ne_u32_e64 s23, 0, v71
	v_cmp_eq_u32_e32 vcc_lo, 0, v172
	s_and_b32 s24, s23, vcc_lo
	s_and_saveexec_b32 s23, s24
	s_cbranch_execz .LBB839_734
; %bb.733:                              ;   in Loop: Header=BB839_694 Depth=2
	s_waitcnt lgkmcnt(0)
	v_bcnt_u32_b32 v71, v71, v171
	ds_write_b32 v173, v71 offset:544
.LBB839_734:                            ;   in Loop: Header=BB839_694 Depth=2
	s_or_b32 exec_lo, exec_lo, s23
	v_xor_b32_e32 v44, 0x80000000, v44
	; wave barrier
	v_lshrrev_b64 v[71:72], s46, v[43:44]
	v_and_b32_e32 v72, s52, v71
	v_and_b32_e32 v71, 1, v72
	v_lshlrev_b32_e32 v73, 30, v72
	v_lshlrev_b32_e32 v74, 29, v72
	v_lshlrev_b32_e32 v175, 28, v72
	v_lshlrev_b32_e32 v176, 27, v72
	v_add_co_u32 v71, s23, v71, -1
	v_cndmask_b32_e64 v174, 0, 1, s23
	v_not_b32_e32 v178, v73
	v_cmp_gt_i32_e64 s23, 0, v73
	v_not_b32_e32 v73, v74
	v_lshlrev_b32_e32 v177, 26, v72
	v_cmp_ne_u32_e32 vcc_lo, 0, v174
	v_ashrrev_i32_e32 v178, 31, v178
	v_lshlrev_b32_e32 v174, 25, v72
	v_ashrrev_i32_e32 v73, 31, v73
	v_xor_b32_e32 v71, vcc_lo, v71
	v_cmp_gt_i32_e32 vcc_lo, 0, v74
	v_not_b32_e32 v74, v175
	v_xor_b32_e32 v178, s23, v178
	v_cmp_gt_i32_e64 s23, 0, v175
	v_and_b32_e32 v71, exec_lo, v71
	v_not_b32_e32 v175, v176
	v_ashrrev_i32_e32 v74, 31, v74
	v_xor_b32_e32 v73, vcc_lo, v73
	v_cmp_gt_i32_e32 vcc_lo, 0, v176
	v_and_b32_e32 v71, v71, v178
	v_not_b32_e32 v176, v177
	v_ashrrev_i32_e32 v175, 31, v175
	v_xor_b32_e32 v74, s23, v74
	v_cmp_gt_i32_e64 s23, 0, v177
	v_and_b32_e32 v71, v71, v73
	v_not_b32_e32 v73, v174
	v_ashrrev_i32_e32 v176, 31, v176
	v_xor_b32_e32 v175, vcc_lo, v175
	v_cmp_gt_i32_e32 vcc_lo, 0, v174
	v_and_b32_e32 v71, v71, v74
	v_ashrrev_i32_e32 v73, 31, v73
	v_xor_b32_e32 v74, s23, v176
	v_mad_u32_u24 v174, v72, 36, v150
	v_mul_u32_u24_e32 v72, 36, v72
	v_and_b32_e32 v71, v71, v175
	v_xor_b32_e32 v73, vcc_lo, v73
	ds_read_b32 v174, v174 offset:544
	v_add_nc_u32_e32 v176, v150, v72
	v_and_b32_e32 v71, v71, v74
	; wave barrier
	v_and_b32_e32 v71, v71, v73
	v_mbcnt_lo_u32_b32 v175, v71, 0
	v_cmp_ne_u32_e64 s23, 0, v71
	v_cmp_eq_u32_e32 vcc_lo, 0, v175
	s_and_b32 s24, s23, vcc_lo
	s_and_saveexec_b32 s23, s24
	s_cbranch_execz .LBB839_736
; %bb.735:                              ;   in Loop: Header=BB839_694 Depth=2
	s_waitcnt lgkmcnt(0)
	v_bcnt_u32_b32 v71, v71, v174
	ds_write_b32 v176, v71 offset:544
.LBB839_736:                            ;   in Loop: Header=BB839_694 Depth=2
	;; [unrolled: 63-line block ×14, first 2 shown]
	s_or_b32 exec_lo, exec_lo, s23
	v_lshrrev_b64 v[71:72], s46, v[69:70]
	; wave barrier
	v_and_b32_e32 v72, s52, v71
	v_and_b32_e32 v71, 1, v72
	v_lshlrev_b32_e32 v73, 30, v72
	v_lshlrev_b32_e32 v74, 29, v72
	;; [unrolled: 1-line block ×4, first 2 shown]
	v_add_co_u32 v71, s23, v71, -1
	v_cndmask_b32_e64 v212, 0, 1, s23
	v_not_b32_e32 v217, v73
	v_cmp_gt_i32_e64 s23, 0, v73
	v_not_b32_e32 v73, v74
	v_lshlrev_b32_e32 v216, 26, v72
	v_cmp_ne_u32_e32 vcc_lo, 0, v212
	v_ashrrev_i32_e32 v217, 31, v217
	v_lshlrev_b32_e32 v212, 25, v72
	v_ashrrev_i32_e32 v73, 31, v73
	v_xor_b32_e32 v71, vcc_lo, v71
	v_cmp_gt_i32_e32 vcc_lo, 0, v74
	v_not_b32_e32 v74, v213
	v_xor_b32_e32 v217, s23, v217
	v_cmp_gt_i32_e64 s23, 0, v213
	v_and_b32_e32 v71, exec_lo, v71
	v_not_b32_e32 v213, v215
	v_ashrrev_i32_e32 v74, 31, v74
	v_xor_b32_e32 v73, vcc_lo, v73
	v_cmp_gt_i32_e32 vcc_lo, 0, v215
	v_and_b32_e32 v71, v71, v217
	v_not_b32_e32 v215, v216
	v_ashrrev_i32_e32 v213, 31, v213
	v_xor_b32_e32 v74, s23, v74
	v_cmp_gt_i32_e64 s23, 0, v216
	v_and_b32_e32 v71, v71, v73
	v_not_b32_e32 v73, v212
	v_ashrrev_i32_e32 v215, 31, v215
	v_xor_b32_e32 v213, vcc_lo, v213
	v_cmp_gt_i32_e32 vcc_lo, 0, v212
	v_and_b32_e32 v71, v71, v74
	v_ashrrev_i32_e32 v73, 31, v73
	v_xor_b32_e32 v74, s23, v215
	v_mad_u32_u24 v212, v72, 36, v150
	v_mul_u32_u24_e32 v72, 36, v72
	v_and_b32_e32 v71, v71, v213
	v_xor_b32_e32 v73, vcc_lo, v73
	ds_read_b32 v212, v212 offset:544
	v_add_nc_u32_e32 v215, v150, v72
	v_and_b32_e32 v71, v71, v74
	; wave barrier
	v_and_b32_e32 v71, v71, v73
	v_mbcnt_lo_u32_b32 v213, v71, 0
	v_cmp_ne_u32_e64 s23, 0, v71
	v_cmp_eq_u32_e32 vcc_lo, 0, v213
	s_and_b32 s24, s23, vcc_lo
	s_and_saveexec_b32 s23, s24
	s_cbranch_execz .LBB839_762
; %bb.761:                              ;   in Loop: Header=BB839_694 Depth=2
	s_waitcnt lgkmcnt(0)
	v_bcnt_u32_b32 v71, v71, v212
	ds_write_b32 v215, v71 offset:544
.LBB839_762:                            ;   in Loop: Header=BB839_694 Depth=2
	s_or_b32 exec_lo, exec_lo, s23
	; wave barrier
	s_waitcnt lgkmcnt(0)
	s_barrier
	buffer_gl0_inv
	ds_read2_b32 v[73:74], v100 offset0:136 offset1:137
	ds_read2_b32 v[71:72], v100 offset0:138 offset1:139
	ds_read_b32 v216, v100 offset:560
	s_waitcnt lgkmcnt(1)
	v_add3_u32 v217, v74, v73, v71
	s_waitcnt lgkmcnt(0)
	v_add3_u32 v216, v217, v72, v216
	v_mov_b32_dpp v217, v216 row_shr:1 row_mask:0xf bank_mask:0xf
	v_cndmask_b32_e64 v217, v217, 0, s5
	v_add_nc_u32_e32 v216, v217, v216
	v_mov_b32_dpp v217, v216 row_shr:2 row_mask:0xf bank_mask:0xf
	v_cndmask_b32_e64 v217, 0, v217, s15
	v_add_nc_u32_e32 v216, v216, v217
	v_mov_b32_dpp v217, v216 row_shr:4 row_mask:0xf bank_mask:0xf
	v_cndmask_b32_e64 v217, 0, v217, s16
	v_add_nc_u32_e32 v216, v216, v217
	v_mov_b32_dpp v217, v216 row_shr:8 row_mask:0xf bank_mask:0xf
	v_cndmask_b32_e64 v217, 0, v217, s17
	v_add_nc_u32_e32 v216, v216, v217
	ds_swizzle_b32 v217, v216 offset:swizzle(BROADCAST,32,15)
	s_waitcnt lgkmcnt(0)
	v_cndmask_b32_e64 v217, v217, 0, s18
	v_add_nc_u32_e32 v216, v216, v217
	s_and_saveexec_b32 s23, s4
; %bb.763:                              ;   in Loop: Header=BB839_694 Depth=2
	ds_write_b32 v94, v216 offset:512
; %bb.764:                              ;   in Loop: Header=BB839_694 Depth=2
	s_or_b32 exec_lo, exec_lo, s23
	s_waitcnt lgkmcnt(0)
	s_barrier
	buffer_gl0_inv
	s_and_saveexec_b32 s23, s12
	s_cbranch_execz .LBB839_766
; %bb.765:                              ;   in Loop: Header=BB839_694 Depth=2
	ds_read_b32 v217, v101 offset:512
	s_waitcnt lgkmcnt(0)
	v_mov_b32_dpp v218, v217 row_shr:1 row_mask:0xf bank_mask:0xf
	v_cndmask_b32_e64 v218, v218, 0, s20
	v_add_nc_u32_e32 v217, v218, v217
	v_mov_b32_dpp v218, v217 row_shr:2 row_mask:0xf bank_mask:0xf
	v_cndmask_b32_e64 v218, 0, v218, s21
	v_add_nc_u32_e32 v217, v217, v218
	v_mov_b32_dpp v218, v217 row_shr:4 row_mask:0xf bank_mask:0xf
	v_cndmask_b32_e64 v218, 0, v218, s22
	v_add_nc_u32_e32 v217, v217, v218
	ds_write_b32 v101, v217 offset:512
.LBB839_766:                            ;   in Loop: Header=BB839_694 Depth=2
	s_or_b32 exec_lo, exec_lo, s23
	v_mov_b32_e32 v217, 0
	s_waitcnt lgkmcnt(0)
	s_barrier
	buffer_gl0_inv
	s_and_saveexec_b32 s23, s11
; %bb.767:                              ;   in Loop: Header=BB839_694 Depth=2
	ds_read_b32 v217, v94 offset:508
; %bb.768:                              ;   in Loop: Header=BB839_694 Depth=2
	s_or_b32 exec_lo, exec_lo, s23
	s_waitcnt lgkmcnt(0)
	v_add_nc_u32_e32 v216, v217, v216
	ds_bpermute_b32 v216, v129, v216
	s_waitcnt lgkmcnt(0)
	v_cndmask_b32_e64 v216, v216, v217, s19
	v_cndmask_b32_e64 v216, v216, 0, s13
	v_add_nc_u32_e32 v73, v216, v73
	v_add_nc_u32_e32 v74, v73, v74
	;; [unrolled: 1-line block ×4, first 2 shown]
	ds_write2_b32 v100, v216, v73 offset0:136 offset1:137
	ds_write2_b32 v100, v74, v71 offset0:138 offset1:139
	ds_write_b32 v100, v72 offset:560
	s_waitcnt lgkmcnt(0)
	s_barrier
	buffer_gl0_inv
	ds_read_b32 v71, v170 offset:544
	ds_read_b32 v219, v173 offset:544
	;; [unrolled: 1-line block ×16, first 2 shown]
	s_and_saveexec_b32 s23, s8
	s_cbranch_execz .LBB839_772
; %bb.769:                              ;   in Loop: Header=BB839_694 Depth=2
	ds_read_b32 v165, v103 offset:544
	v_mov_b32_e32 v168, 0x1000
	s_and_saveexec_b32 s24, s14
; %bb.770:                              ;   in Loop: Header=BB839_694 Depth=2
	ds_read_b32 v168, v102 offset:544
; %bb.771:                              ;   in Loop: Header=BB839_694 Depth=2
	s_or_b32 exec_lo, exec_lo, s24
	s_waitcnt lgkmcnt(0)
	v_sub_nc_u32_e32 v168, v168, v165
.LBB839_772:                            ;   in Loop: Header=BB839_694 Depth=2
	s_or_b32 exec_lo, exec_lo, s23
	s_waitcnt lgkmcnt(0)
	s_barrier
	buffer_gl0_inv
	s_and_saveexec_b32 s23, s8
	s_cbranch_execz .LBB839_774
; %bb.773:                              ;   in Loop: Header=BB839_694 Depth=2
	ds_read_b32 v196, v75
	s_waitcnt lgkmcnt(0)
	v_sub_nc_u32_e32 v196, v196, v165
	ds_write_b32 v75, v196
.LBB839_774:                            ;   in Loop: Header=BB839_694 Depth=2
	s_or_b32 exec_lo, exec_lo, s23
	v_lshlrev_b32_e32 v3, 3, v3
	v_lshlrev_b32_e32 v172, 3, v172
	;; [unrolled: 1-line block ×5, first 2 shown]
	v_lshl_add_u32 v71, v71, 3, v3
	v_lshlrev_b32_e32 v3, 3, v174
	v_lshlrev_b32_e32 v174, 3, v72
	v_add3_u32 v72, v172, v171, v196
	v_lshlrev_b32_e32 v178, 3, v178
	ds_write_b64 v71, v[41:42] offset:512
	v_lshlrev_b32_e32 v42, 3, v177
	v_lshlrev_b32_e32 v171, 3, v218
	;; [unrolled: 1-line block ×8, first 2 shown]
	ds_write_b64 v72, v[39:40] offset:512
	v_add3_u32 v41, v175, v3, v174
	v_lshlrev_b32_e32 v3, 3, v187
	v_lshlrev_b32_e32 v39, 3, v186
	;; [unrolled: 1-line block ×3, first 2 shown]
	v_add3_u32 v42, v178, v42, v171
	v_add3_u32 v73, v172, v177, v74
	;; [unrolled: 1-line block ×3, first 2 shown]
	ds_write_b64 v41, v[43:44] offset:512
	ds_write_b64 v42, v[45:46] offset:512
	;; [unrolled: 1-line block ×4, first 2 shown]
	v_add3_u32 v43, v3, v39, v40
	v_lshlrev_b32_e32 v3, 3, v190
	v_lshlrev_b32_e32 v39, 3, v189
	;; [unrolled: 1-line block ×12, first 2 shown]
	v_add3_u32 v44, v3, v39, v40
	v_lshlrev_b32_e32 v3, 3, v201
	v_lshlrev_b32_e32 v39, 3, v200
	;; [unrolled: 1-line block ×3, first 2 shown]
	v_add3_u32 v45, v45, v46, v47
	v_add3_u32 v46, v48, v51, v52
	;; [unrolled: 1-line block ×3, first 2 shown]
	ds_write_b64 v43, v[49:50] offset:512
	ds_write_b64 v44, v[53:54] offset:512
	;; [unrolled: 1-line block ×5, first 2 shown]
	v_add3_u32 v48, v3, v39, v40
	v_lshlrev_b32_e32 v3, 3, v204
	v_lshlrev_b32_e32 v39, 3, v203
	;; [unrolled: 1-line block ×12, first 2 shown]
	v_add3_u32 v49, v3, v39, v40
	v_add3_u32 v50, v50, v51, v52
	;; [unrolled: 1-line block ×3, first 2 shown]
	v_cmp_lt_u32_e32 vcc_lo, v0, v169
	v_add3_u32 v52, v56, v57, v58
	ds_write_b64 v48, v[59:60] offset:512
	ds_write_b64 v49, v[63:64] offset:512
	;; [unrolled: 1-line block ×5, first 2 shown]
	s_waitcnt lgkmcnt(0)
	s_barrier
	buffer_gl0_inv
	s_and_saveexec_b32 s24, vcc_lo
	s_cbranch_execnz .LBB839_843
; %bb.775:                              ;   in Loop: Header=BB839_694 Depth=2
	s_or_b32 exec_lo, exec_lo, s24
	v_cmp_lt_u32_e64 s23, v76, v169
	s_and_saveexec_b32 s25, s23
	s_cbranch_execnz .LBB839_844
.LBB839_776:                            ;   in Loop: Header=BB839_694 Depth=2
	s_or_b32 exec_lo, exec_lo, s25
	v_cmp_lt_u32_e64 s24, v79, v169
	s_and_saveexec_b32 s26, s24
	s_cbranch_execnz .LBB839_845
.LBB839_777:                            ;   in Loop: Header=BB839_694 Depth=2
	s_or_b32 exec_lo, exec_lo, s26
	v_cmp_lt_u32_e64 s25, v80, v169
	s_and_saveexec_b32 s27, s25
	s_cbranch_execnz .LBB839_846
.LBB839_778:                            ;   in Loop: Header=BB839_694 Depth=2
	s_or_b32 exec_lo, exec_lo, s27
	v_cmp_lt_u32_e64 s26, v81, v169
	s_and_saveexec_b32 s28, s26
	s_cbranch_execnz .LBB839_847
.LBB839_779:                            ;   in Loop: Header=BB839_694 Depth=2
	s_or_b32 exec_lo, exec_lo, s28
	v_cmp_lt_u32_e64 s27, v82, v169
	s_and_saveexec_b32 s29, s27
	s_cbranch_execnz .LBB839_848
.LBB839_780:                            ;   in Loop: Header=BB839_694 Depth=2
	s_or_b32 exec_lo, exec_lo, s29
	v_cmp_lt_u32_e64 s28, v83, v169
	s_and_saveexec_b32 s30, s28
	s_cbranch_execnz .LBB839_849
.LBB839_781:                            ;   in Loop: Header=BB839_694 Depth=2
	s_or_b32 exec_lo, exec_lo, s30
	v_cmp_lt_u32_e64 s29, v84, v169
	s_and_saveexec_b32 s31, s29
	s_cbranch_execnz .LBB839_850
.LBB839_782:                            ;   in Loop: Header=BB839_694 Depth=2
	s_or_b32 exec_lo, exec_lo, s31
	v_cmp_lt_u32_e64 s30, v85, v169
	s_and_saveexec_b32 s33, s30
	s_cbranch_execnz .LBB839_851
.LBB839_783:                            ;   in Loop: Header=BB839_694 Depth=2
	s_or_b32 exec_lo, exec_lo, s33
	v_cmp_lt_u32_e64 s31, v86, v169
	s_and_saveexec_b32 s34, s31
	s_cbranch_execnz .LBB839_852
.LBB839_784:                            ;   in Loop: Header=BB839_694 Depth=2
	s_or_b32 exec_lo, exec_lo, s34
	v_cmp_lt_u32_e64 s33, v87, v169
	s_and_saveexec_b32 s35, s33
	s_cbranch_execnz .LBB839_853
.LBB839_785:                            ;   in Loop: Header=BB839_694 Depth=2
	s_or_b32 exec_lo, exec_lo, s35
	v_cmp_lt_u32_e64 s34, v88, v169
	s_and_saveexec_b32 s36, s34
	s_cbranch_execnz .LBB839_854
.LBB839_786:                            ;   in Loop: Header=BB839_694 Depth=2
	s_or_b32 exec_lo, exec_lo, s36
	v_cmp_lt_u32_e64 s35, v89, v169
	s_and_saveexec_b32 s37, s35
	s_cbranch_execnz .LBB839_855
.LBB839_787:                            ;   in Loop: Header=BB839_694 Depth=2
	s_or_b32 exec_lo, exec_lo, s37
	v_cmp_lt_u32_e64 s36, v90, v169
	s_and_saveexec_b32 s38, s36
	s_cbranch_execnz .LBB839_856
.LBB839_788:                            ;   in Loop: Header=BB839_694 Depth=2
	s_or_b32 exec_lo, exec_lo, s38
	v_cmp_lt_u32_e64 s37, v91, v169
	s_and_saveexec_b32 s39, s37
	s_cbranch_execnz .LBB839_857
.LBB839_789:                            ;   in Loop: Header=BB839_694 Depth=2
	s_or_b32 exec_lo, exec_lo, s39
	v_cmp_lt_u32_e64 s38, v92, v169
	s_and_saveexec_b32 s65, s38
	s_cbranch_execz .LBB839_791
.LBB839_790:                            ;   in Loop: Header=BB839_694 Depth=2
	ds_read_b64 v[39:40], v108 offset:31232
	s_waitcnt lgkmcnt(0)
	v_lshrrev_b64 v[53:54], s46, v[39:40]
	v_xor_b32_e32 v40, 0x80000000, v40
	v_and_b32_e32 v3, s52, v53
	v_lshlrev_b32_e32 v3, 2, v3
	ds_read_b32 v3, v3
	s_waitcnt lgkmcnt(0)
	v_add_nc_u32_e32 v3, v3, v92
	v_lshlrev_b64 v[53:54], 3, v[3:4]
	v_add_co_u32 v53, s39, s42, v53
	v_add_co_ci_u32_e64 v54, null, s43, v54, s39
	global_store_dwordx2 v[53:54], v[39:40], off
.LBB839_791:                            ;   in Loop: Header=BB839_694 Depth=2
	s_or_b32 exec_lo, exec_lo, s65
	s_lshl_b64 s[66:67], s[56:57], 3
	v_add_co_u32 v39, s39, v131, s66
	v_add_co_ci_u32_e64 v40, null, s67, v132, s39
	v_cmp_lt_u32_e64 s39, v130, v169
	s_and_saveexec_b32 s56, s39
	s_xor_b32 s39, exec_lo, s56
	s_cbranch_execnz .LBB839_858
; %bb.792:                              ;   in Loop: Header=BB839_694 Depth=2
	s_or_b32 exec_lo, exec_lo, s39
	s_mov_b32 s56, exec_lo
	v_cmpx_lt_u32_e64 v133, v169
	s_cbranch_execnz .LBB839_859
.LBB839_793:                            ;   in Loop: Header=BB839_694 Depth=2
	s_or_b32 exec_lo, exec_lo, s56
	s_mov_b32 s56, exec_lo
	v_cmpx_lt_u32_e64 v134, v169
	s_cbranch_execnz .LBB839_860
.LBB839_794:                            ;   in Loop: Header=BB839_694 Depth=2
	s_or_b32 exec_lo, exec_lo, s56
	s_mov_b32 s56, exec_lo
	v_cmpx_lt_u32_e64 v135, v169
	s_cbranch_execnz .LBB839_861
.LBB839_795:                            ;   in Loop: Header=BB839_694 Depth=2
	s_or_b32 exec_lo, exec_lo, s56
	s_mov_b32 s56, exec_lo
	v_cmpx_lt_u32_e64 v136, v169
	s_cbranch_execnz .LBB839_862
.LBB839_796:                            ;   in Loop: Header=BB839_694 Depth=2
	s_or_b32 exec_lo, exec_lo, s56
	s_mov_b32 s56, exec_lo
	v_cmpx_lt_u32_e64 v137, v169
	s_cbranch_execnz .LBB839_863
.LBB839_797:                            ;   in Loop: Header=BB839_694 Depth=2
	s_or_b32 exec_lo, exec_lo, s56
	s_mov_b32 s56, exec_lo
	v_cmpx_lt_u32_e64 v138, v169
	s_cbranch_execnz .LBB839_864
.LBB839_798:                            ;   in Loop: Header=BB839_694 Depth=2
	s_or_b32 exec_lo, exec_lo, s56
	s_mov_b32 s56, exec_lo
	v_cmpx_lt_u32_e64 v139, v169
	s_cbranch_execnz .LBB839_865
.LBB839_799:                            ;   in Loop: Header=BB839_694 Depth=2
	s_or_b32 exec_lo, exec_lo, s56
	s_mov_b32 s56, exec_lo
	v_cmpx_lt_u32_e64 v140, v169
	s_cbranch_execnz .LBB839_866
.LBB839_800:                            ;   in Loop: Header=BB839_694 Depth=2
	s_or_b32 exec_lo, exec_lo, s56
	s_mov_b32 s56, exec_lo
	v_cmpx_lt_u32_e64 v141, v169
	s_cbranch_execnz .LBB839_867
.LBB839_801:                            ;   in Loop: Header=BB839_694 Depth=2
	s_or_b32 exec_lo, exec_lo, s56
	s_mov_b32 s56, exec_lo
	v_cmpx_lt_u32_e64 v142, v169
	s_cbranch_execnz .LBB839_868
.LBB839_802:                            ;   in Loop: Header=BB839_694 Depth=2
	s_or_b32 exec_lo, exec_lo, s56
	s_mov_b32 s56, exec_lo
	v_cmpx_lt_u32_e64 v143, v169
	s_cbranch_execnz .LBB839_869
.LBB839_803:                            ;   in Loop: Header=BB839_694 Depth=2
	s_or_b32 exec_lo, exec_lo, s56
	s_mov_b32 s56, exec_lo
	v_cmpx_lt_u32_e64 v144, v169
	s_cbranch_execnz .LBB839_870
.LBB839_804:                            ;   in Loop: Header=BB839_694 Depth=2
	s_or_b32 exec_lo, exec_lo, s56
	s_mov_b32 s56, exec_lo
	v_cmpx_lt_u32_e64 v145, v169
	s_cbranch_execnz .LBB839_871
.LBB839_805:                            ;   in Loop: Header=BB839_694 Depth=2
	s_or_b32 exec_lo, exec_lo, s56
	s_mov_b32 s56, exec_lo
	v_cmpx_lt_u32_e64 v146, v169
	s_cbranch_execnz .LBB839_872
.LBB839_806:                            ;   in Loop: Header=BB839_694 Depth=2
	s_or_b32 exec_lo, exec_lo, s56
	s_mov_b32 s56, exec_lo
	v_cmpx_lt_u32_e64 v147, v169
	s_cbranch_execnz .LBB839_873
.LBB839_807:                            ;   in Loop: Header=BB839_694 Depth=2
	s_or_b32 exec_lo, exec_lo, s56
	s_and_saveexec_b32 s39, vcc_lo
	s_cbranch_execnz .LBB839_874
.LBB839_808:                            ;   in Loop: Header=BB839_694 Depth=2
	s_or_b32 exec_lo, exec_lo, s39
	s_and_saveexec_b32 s39, s23
	s_cbranch_execnz .LBB839_875
.LBB839_809:                            ;   in Loop: Header=BB839_694 Depth=2
	s_or_b32 exec_lo, exec_lo, s39
	s_and_saveexec_b32 s39, s24
	s_cbranch_execnz .LBB839_876
.LBB839_810:                            ;   in Loop: Header=BB839_694 Depth=2
	s_or_b32 exec_lo, exec_lo, s39
	s_and_saveexec_b32 s39, s25
	s_cbranch_execnz .LBB839_877
.LBB839_811:                            ;   in Loop: Header=BB839_694 Depth=2
	s_or_b32 exec_lo, exec_lo, s39
	s_and_saveexec_b32 s39, s26
	s_cbranch_execnz .LBB839_878
.LBB839_812:                            ;   in Loop: Header=BB839_694 Depth=2
	s_or_b32 exec_lo, exec_lo, s39
	s_and_saveexec_b32 s39, s27
	s_cbranch_execnz .LBB839_879
.LBB839_813:                            ;   in Loop: Header=BB839_694 Depth=2
	s_or_b32 exec_lo, exec_lo, s39
	s_and_saveexec_b32 s39, s28
	s_cbranch_execnz .LBB839_880
.LBB839_814:                            ;   in Loop: Header=BB839_694 Depth=2
	s_or_b32 exec_lo, exec_lo, s39
	s_and_saveexec_b32 s39, s29
	s_cbranch_execnz .LBB839_881
.LBB839_815:                            ;   in Loop: Header=BB839_694 Depth=2
	s_or_b32 exec_lo, exec_lo, s39
	s_and_saveexec_b32 s39, s30
	s_cbranch_execnz .LBB839_882
.LBB839_816:                            ;   in Loop: Header=BB839_694 Depth=2
	s_or_b32 exec_lo, exec_lo, s39
	s_and_saveexec_b32 s39, s31
	s_cbranch_execnz .LBB839_883
.LBB839_817:                            ;   in Loop: Header=BB839_694 Depth=2
	s_or_b32 exec_lo, exec_lo, s39
	s_and_saveexec_b32 s39, s33
	s_cbranch_execnz .LBB839_884
.LBB839_818:                            ;   in Loop: Header=BB839_694 Depth=2
	s_or_b32 exec_lo, exec_lo, s39
	s_and_saveexec_b32 s39, s34
	s_cbranch_execnz .LBB839_885
.LBB839_819:                            ;   in Loop: Header=BB839_694 Depth=2
	s_or_b32 exec_lo, exec_lo, s39
	s_and_saveexec_b32 s39, s35
	s_cbranch_execnz .LBB839_886
.LBB839_820:                            ;   in Loop: Header=BB839_694 Depth=2
	s_or_b32 exec_lo, exec_lo, s39
	s_and_saveexec_b32 s39, s36
	s_cbranch_execnz .LBB839_887
.LBB839_821:                            ;   in Loop: Header=BB839_694 Depth=2
	s_or_b32 exec_lo, exec_lo, s39
	s_and_saveexec_b32 s39, s37
	s_cbranch_execnz .LBB839_888
.LBB839_822:                            ;   in Loop: Header=BB839_694 Depth=2
	s_or_b32 exec_lo, exec_lo, s39
	s_and_saveexec_b32 s39, s38
	s_cbranch_execz .LBB839_824
.LBB839_823:                            ;   in Loop: Header=BB839_694 Depth=2
	ds_read_b64 v[39:40], v108 offset:31232
	s_waitcnt lgkmcnt(0)
	v_lshrrev_b64 v[39:40], s46, v[39:40]
	v_and_b32_e32 v151, s52, v39
.LBB839_824:                            ;   in Loop: Header=BB839_694 Depth=2
	s_or_b32 exec_lo, exec_lo, s39
	s_waitcnt vmcnt(0)
	s_waitcnt_vscnt null, 0x0
	s_barrier
	buffer_gl0_inv
	ds_write_b64 v71, v[37:38] offset:512
	ds_write_b64 v72, v[35:36] offset:512
	ds_write_b64 v41, v[33:34] offset:512
	ds_write_b64 v42, v[31:32] offset:512
	ds_write_b64 v73, v[29:30] offset:512
	ds_write_b64 v74, v[25:26] offset:512
	ds_write_b64 v43, v[21:22] offset:512
	ds_write_b64 v44, v[17:18] offset:512
	ds_write_b64 v45, v[27:28] offset:512
	ds_write_b64 v46, v[23:24] offset:512
	ds_write_b64 v47, v[19:20] offset:512
	ds_write_b64 v48, v[15:16] offset:512
	ds_write_b64 v49, v[13:14] offset:512
	ds_write_b64 v50, v[11:12] offset:512
	ds_write_b64 v51, v[9:10] offset:512
	ds_write_b64 v52, v[7:8] offset:512
	s_waitcnt lgkmcnt(0)
	s_barrier
	buffer_gl0_inv
	s_and_saveexec_b32 s39, vcc_lo
	s_cbranch_execnz .LBB839_889
; %bb.825:                              ;   in Loop: Header=BB839_694 Depth=2
	s_or_b32 exec_lo, exec_lo, s39
	s_and_saveexec_b32 s39, s23
	s_cbranch_execnz .LBB839_890
.LBB839_826:                            ;   in Loop: Header=BB839_694 Depth=2
	s_or_b32 exec_lo, exec_lo, s39
	s_and_saveexec_b32 s23, s24
	s_cbranch_execnz .LBB839_891
.LBB839_827:                            ;   in Loop: Header=BB839_694 Depth=2
	s_or_b32 exec_lo, exec_lo, s23
	s_and_saveexec_b32 s23, s25
	s_cbranch_execnz .LBB839_892
.LBB839_828:                            ;   in Loop: Header=BB839_694 Depth=2
	s_or_b32 exec_lo, exec_lo, s23
	s_and_saveexec_b32 s23, s26
	s_cbranch_execnz .LBB839_893
.LBB839_829:                            ;   in Loop: Header=BB839_694 Depth=2
	s_or_b32 exec_lo, exec_lo, s23
	s_and_saveexec_b32 s23, s27
	s_cbranch_execnz .LBB839_894
.LBB839_830:                            ;   in Loop: Header=BB839_694 Depth=2
	s_or_b32 exec_lo, exec_lo, s23
	s_and_saveexec_b32 s23, s28
	s_cbranch_execnz .LBB839_895
.LBB839_831:                            ;   in Loop: Header=BB839_694 Depth=2
	s_or_b32 exec_lo, exec_lo, s23
	s_and_saveexec_b32 s23, s29
	s_cbranch_execnz .LBB839_896
.LBB839_832:                            ;   in Loop: Header=BB839_694 Depth=2
	s_or_b32 exec_lo, exec_lo, s23
	s_and_saveexec_b32 s23, s30
	s_cbranch_execnz .LBB839_897
.LBB839_833:                            ;   in Loop: Header=BB839_694 Depth=2
	s_or_b32 exec_lo, exec_lo, s23
	s_and_saveexec_b32 s23, s31
	s_cbranch_execnz .LBB839_898
.LBB839_834:                            ;   in Loop: Header=BB839_694 Depth=2
	s_or_b32 exec_lo, exec_lo, s23
	s_and_saveexec_b32 s23, s33
	s_cbranch_execnz .LBB839_899
.LBB839_835:                            ;   in Loop: Header=BB839_694 Depth=2
	s_or_b32 exec_lo, exec_lo, s23
	s_and_saveexec_b32 s23, s34
	s_cbranch_execnz .LBB839_900
.LBB839_836:                            ;   in Loop: Header=BB839_694 Depth=2
	s_or_b32 exec_lo, exec_lo, s23
	s_and_saveexec_b32 s23, s35
	s_cbranch_execnz .LBB839_901
.LBB839_837:                            ;   in Loop: Header=BB839_694 Depth=2
	s_or_b32 exec_lo, exec_lo, s23
	s_and_saveexec_b32 s23, s36
	s_cbranch_execnz .LBB839_902
.LBB839_838:                            ;   in Loop: Header=BB839_694 Depth=2
	s_or_b32 exec_lo, exec_lo, s23
	s_and_saveexec_b32 s23, s37
	s_cbranch_execnz .LBB839_903
.LBB839_839:                            ;   in Loop: Header=BB839_694 Depth=2
	s_or_b32 exec_lo, exec_lo, s23
	s_and_saveexec_b32 s23, s38
	s_cbranch_execz .LBB839_841
.LBB839_840:                            ;   in Loop: Header=BB839_694 Depth=2
	v_lshlrev_b32_e32 v3, 2, v151
	ds_read_b32 v3, v3
	ds_read_b64 v[39:40], v108 offset:31232
	s_waitcnt lgkmcnt(1)
	v_add_nc_u32_e32 v3, v3, v92
	v_lshlrev_b64 v[41:42], 3, v[3:4]
	v_add_co_u32 v41, vcc_lo, s48, v41
	v_add_co_ci_u32_e64 v42, null, s49, v42, vcc_lo
	s_waitcnt lgkmcnt(0)
	global_store_dwordx2 v[41:42], v[39:40], off
.LBB839_841:                            ;   in Loop: Header=BB839_694 Depth=2
	s_or_b32 exec_lo, exec_lo, s23
	s_waitcnt_vscnt null, 0x0
	s_barrier
	buffer_gl0_inv
	s_and_saveexec_b32 s23, s8
	s_cbranch_execz .LBB839_693
; %bb.842:                              ;   in Loop: Header=BB839_694 Depth=2
	ds_read_b32 v3, v75
	s_waitcnt lgkmcnt(0)
	v_add3_u32 v3, v165, v168, v3
	ds_write_b32 v75, v3
	s_branch .LBB839_693
.LBB839_843:                            ;   in Loop: Header=BB839_694 Depth=2
	ds_read_b64 v[39:40], v108 offset:512
	s_waitcnt lgkmcnt(0)
	v_lshrrev_b64 v[53:54], s46, v[39:40]
	v_xor_b32_e32 v40, 0x80000000, v40
	v_and_b32_e32 v3, s52, v53
	v_lshlrev_b32_e32 v3, 2, v3
	ds_read_b32 v3, v3
	s_waitcnt lgkmcnt(0)
	v_add_nc_u32_e32 v3, v3, v0
	v_lshlrev_b64 v[53:54], 3, v[3:4]
	v_add_co_u32 v53, s23, s42, v53
	v_add_co_ci_u32_e64 v54, null, s43, v54, s23
	global_store_dwordx2 v[53:54], v[39:40], off
	s_or_b32 exec_lo, exec_lo, s24
	v_cmp_lt_u32_e64 s23, v76, v169
	s_and_saveexec_b32 s25, s23
	s_cbranch_execz .LBB839_776
.LBB839_844:                            ;   in Loop: Header=BB839_694 Depth=2
	ds_read_b64 v[39:40], v108 offset:2560
	s_waitcnt lgkmcnt(0)
	v_lshrrev_b64 v[53:54], s46, v[39:40]
	v_xor_b32_e32 v40, 0x80000000, v40
	v_and_b32_e32 v3, s52, v53
	v_lshlrev_b32_e32 v3, 2, v3
	ds_read_b32 v3, v3
	s_waitcnt lgkmcnt(0)
	v_add_nc_u32_e32 v3, v3, v76
	v_lshlrev_b64 v[53:54], 3, v[3:4]
	v_add_co_u32 v53, s24, s42, v53
	v_add_co_ci_u32_e64 v54, null, s43, v54, s24
	global_store_dwordx2 v[53:54], v[39:40], off
	s_or_b32 exec_lo, exec_lo, s25
	v_cmp_lt_u32_e64 s24, v79, v169
	s_and_saveexec_b32 s26, s24
	s_cbranch_execz .LBB839_777
.LBB839_845:                            ;   in Loop: Header=BB839_694 Depth=2
	ds_read_b64 v[39:40], v108 offset:4608
	s_waitcnt lgkmcnt(0)
	v_lshrrev_b64 v[53:54], s46, v[39:40]
	v_xor_b32_e32 v40, 0x80000000, v40
	v_and_b32_e32 v3, s52, v53
	v_lshlrev_b32_e32 v3, 2, v3
	ds_read_b32 v3, v3
	s_waitcnt lgkmcnt(0)
	v_add_nc_u32_e32 v3, v3, v79
	v_lshlrev_b64 v[53:54], 3, v[3:4]
	v_add_co_u32 v53, s25, s42, v53
	v_add_co_ci_u32_e64 v54, null, s43, v54, s25
	global_store_dwordx2 v[53:54], v[39:40], off
	s_or_b32 exec_lo, exec_lo, s26
	v_cmp_lt_u32_e64 s25, v80, v169
	s_and_saveexec_b32 s27, s25
	s_cbranch_execz .LBB839_778
.LBB839_846:                            ;   in Loop: Header=BB839_694 Depth=2
	ds_read_b64 v[39:40], v108 offset:6656
	s_waitcnt lgkmcnt(0)
	v_lshrrev_b64 v[53:54], s46, v[39:40]
	v_xor_b32_e32 v40, 0x80000000, v40
	v_and_b32_e32 v3, s52, v53
	v_lshlrev_b32_e32 v3, 2, v3
	ds_read_b32 v3, v3
	s_waitcnt lgkmcnt(0)
	v_add_nc_u32_e32 v3, v3, v80
	v_lshlrev_b64 v[53:54], 3, v[3:4]
	v_add_co_u32 v53, s26, s42, v53
	v_add_co_ci_u32_e64 v54, null, s43, v54, s26
	global_store_dwordx2 v[53:54], v[39:40], off
	s_or_b32 exec_lo, exec_lo, s27
	v_cmp_lt_u32_e64 s26, v81, v169
	s_and_saveexec_b32 s28, s26
	s_cbranch_execz .LBB839_779
.LBB839_847:                            ;   in Loop: Header=BB839_694 Depth=2
	ds_read_b64 v[39:40], v108 offset:8704
	s_waitcnt lgkmcnt(0)
	v_lshrrev_b64 v[53:54], s46, v[39:40]
	v_xor_b32_e32 v40, 0x80000000, v40
	v_and_b32_e32 v3, s52, v53
	v_lshlrev_b32_e32 v3, 2, v3
	ds_read_b32 v3, v3
	s_waitcnt lgkmcnt(0)
	v_add_nc_u32_e32 v3, v3, v81
	v_lshlrev_b64 v[53:54], 3, v[3:4]
	v_add_co_u32 v53, s27, s42, v53
	v_add_co_ci_u32_e64 v54, null, s43, v54, s27
	global_store_dwordx2 v[53:54], v[39:40], off
	s_or_b32 exec_lo, exec_lo, s28
	v_cmp_lt_u32_e64 s27, v82, v169
	s_and_saveexec_b32 s29, s27
	s_cbranch_execz .LBB839_780
.LBB839_848:                            ;   in Loop: Header=BB839_694 Depth=2
	ds_read_b64 v[39:40], v108 offset:10752
	s_waitcnt lgkmcnt(0)
	v_lshrrev_b64 v[53:54], s46, v[39:40]
	v_xor_b32_e32 v40, 0x80000000, v40
	v_and_b32_e32 v3, s52, v53
	v_lshlrev_b32_e32 v3, 2, v3
	ds_read_b32 v3, v3
	s_waitcnt lgkmcnt(0)
	v_add_nc_u32_e32 v3, v3, v82
	v_lshlrev_b64 v[53:54], 3, v[3:4]
	v_add_co_u32 v53, s28, s42, v53
	v_add_co_ci_u32_e64 v54, null, s43, v54, s28
	global_store_dwordx2 v[53:54], v[39:40], off
	s_or_b32 exec_lo, exec_lo, s29
	v_cmp_lt_u32_e64 s28, v83, v169
	s_and_saveexec_b32 s30, s28
	s_cbranch_execz .LBB839_781
.LBB839_849:                            ;   in Loop: Header=BB839_694 Depth=2
	ds_read_b64 v[39:40], v108 offset:12800
	s_waitcnt lgkmcnt(0)
	v_lshrrev_b64 v[53:54], s46, v[39:40]
	v_xor_b32_e32 v40, 0x80000000, v40
	v_and_b32_e32 v3, s52, v53
	v_lshlrev_b32_e32 v3, 2, v3
	ds_read_b32 v3, v3
	s_waitcnt lgkmcnt(0)
	v_add_nc_u32_e32 v3, v3, v83
	v_lshlrev_b64 v[53:54], 3, v[3:4]
	v_add_co_u32 v53, s29, s42, v53
	v_add_co_ci_u32_e64 v54, null, s43, v54, s29
	global_store_dwordx2 v[53:54], v[39:40], off
	s_or_b32 exec_lo, exec_lo, s30
	v_cmp_lt_u32_e64 s29, v84, v169
	s_and_saveexec_b32 s31, s29
	s_cbranch_execz .LBB839_782
.LBB839_850:                            ;   in Loop: Header=BB839_694 Depth=2
	ds_read_b64 v[39:40], v108 offset:14848
	s_waitcnt lgkmcnt(0)
	v_lshrrev_b64 v[53:54], s46, v[39:40]
	v_xor_b32_e32 v40, 0x80000000, v40
	v_and_b32_e32 v3, s52, v53
	v_lshlrev_b32_e32 v3, 2, v3
	ds_read_b32 v3, v3
	s_waitcnt lgkmcnt(0)
	v_add_nc_u32_e32 v3, v3, v84
	v_lshlrev_b64 v[53:54], 3, v[3:4]
	v_add_co_u32 v53, s30, s42, v53
	v_add_co_ci_u32_e64 v54, null, s43, v54, s30
	global_store_dwordx2 v[53:54], v[39:40], off
	s_or_b32 exec_lo, exec_lo, s31
	v_cmp_lt_u32_e64 s30, v85, v169
	s_and_saveexec_b32 s33, s30
	s_cbranch_execz .LBB839_783
.LBB839_851:                            ;   in Loop: Header=BB839_694 Depth=2
	ds_read_b64 v[39:40], v108 offset:16896
	s_waitcnt lgkmcnt(0)
	v_lshrrev_b64 v[53:54], s46, v[39:40]
	v_xor_b32_e32 v40, 0x80000000, v40
	v_and_b32_e32 v3, s52, v53
	v_lshlrev_b32_e32 v3, 2, v3
	ds_read_b32 v3, v3
	s_waitcnt lgkmcnt(0)
	v_add_nc_u32_e32 v3, v3, v85
	v_lshlrev_b64 v[53:54], 3, v[3:4]
	v_add_co_u32 v53, s31, s42, v53
	v_add_co_ci_u32_e64 v54, null, s43, v54, s31
	global_store_dwordx2 v[53:54], v[39:40], off
	s_or_b32 exec_lo, exec_lo, s33
	v_cmp_lt_u32_e64 s31, v86, v169
	s_and_saveexec_b32 s34, s31
	s_cbranch_execz .LBB839_784
.LBB839_852:                            ;   in Loop: Header=BB839_694 Depth=2
	ds_read_b64 v[39:40], v108 offset:18944
	s_waitcnt lgkmcnt(0)
	v_lshrrev_b64 v[53:54], s46, v[39:40]
	v_xor_b32_e32 v40, 0x80000000, v40
	v_and_b32_e32 v3, s52, v53
	v_lshlrev_b32_e32 v3, 2, v3
	ds_read_b32 v3, v3
	s_waitcnt lgkmcnt(0)
	v_add_nc_u32_e32 v3, v3, v86
	v_lshlrev_b64 v[53:54], 3, v[3:4]
	v_add_co_u32 v53, s33, s42, v53
	v_add_co_ci_u32_e64 v54, null, s43, v54, s33
	global_store_dwordx2 v[53:54], v[39:40], off
	s_or_b32 exec_lo, exec_lo, s34
	v_cmp_lt_u32_e64 s33, v87, v169
	s_and_saveexec_b32 s35, s33
	s_cbranch_execz .LBB839_785
.LBB839_853:                            ;   in Loop: Header=BB839_694 Depth=2
	ds_read_b64 v[39:40], v108 offset:20992
	s_waitcnt lgkmcnt(0)
	v_lshrrev_b64 v[53:54], s46, v[39:40]
	v_xor_b32_e32 v40, 0x80000000, v40
	v_and_b32_e32 v3, s52, v53
	v_lshlrev_b32_e32 v3, 2, v3
	ds_read_b32 v3, v3
	s_waitcnt lgkmcnt(0)
	v_add_nc_u32_e32 v3, v3, v87
	v_lshlrev_b64 v[53:54], 3, v[3:4]
	v_add_co_u32 v53, s34, s42, v53
	v_add_co_ci_u32_e64 v54, null, s43, v54, s34
	global_store_dwordx2 v[53:54], v[39:40], off
	s_or_b32 exec_lo, exec_lo, s35
	v_cmp_lt_u32_e64 s34, v88, v169
	s_and_saveexec_b32 s36, s34
	s_cbranch_execz .LBB839_786
.LBB839_854:                            ;   in Loop: Header=BB839_694 Depth=2
	ds_read_b64 v[39:40], v108 offset:23040
	s_waitcnt lgkmcnt(0)
	v_lshrrev_b64 v[53:54], s46, v[39:40]
	v_xor_b32_e32 v40, 0x80000000, v40
	v_and_b32_e32 v3, s52, v53
	v_lshlrev_b32_e32 v3, 2, v3
	ds_read_b32 v3, v3
	s_waitcnt lgkmcnt(0)
	v_add_nc_u32_e32 v3, v3, v88
	v_lshlrev_b64 v[53:54], 3, v[3:4]
	v_add_co_u32 v53, s35, s42, v53
	v_add_co_ci_u32_e64 v54, null, s43, v54, s35
	global_store_dwordx2 v[53:54], v[39:40], off
	s_or_b32 exec_lo, exec_lo, s36
	v_cmp_lt_u32_e64 s35, v89, v169
	s_and_saveexec_b32 s37, s35
	s_cbranch_execz .LBB839_787
.LBB839_855:                            ;   in Loop: Header=BB839_694 Depth=2
	ds_read_b64 v[39:40], v108 offset:25088
	s_waitcnt lgkmcnt(0)
	v_lshrrev_b64 v[53:54], s46, v[39:40]
	v_xor_b32_e32 v40, 0x80000000, v40
	v_and_b32_e32 v3, s52, v53
	v_lshlrev_b32_e32 v3, 2, v3
	ds_read_b32 v3, v3
	s_waitcnt lgkmcnt(0)
	v_add_nc_u32_e32 v3, v3, v89
	v_lshlrev_b64 v[53:54], 3, v[3:4]
	v_add_co_u32 v53, s36, s42, v53
	v_add_co_ci_u32_e64 v54, null, s43, v54, s36
	global_store_dwordx2 v[53:54], v[39:40], off
	s_or_b32 exec_lo, exec_lo, s37
	v_cmp_lt_u32_e64 s36, v90, v169
	s_and_saveexec_b32 s38, s36
	s_cbranch_execz .LBB839_788
.LBB839_856:                            ;   in Loop: Header=BB839_694 Depth=2
	ds_read_b64 v[39:40], v108 offset:27136
	s_waitcnt lgkmcnt(0)
	v_lshrrev_b64 v[53:54], s46, v[39:40]
	v_xor_b32_e32 v40, 0x80000000, v40
	v_and_b32_e32 v3, s52, v53
	v_lshlrev_b32_e32 v3, 2, v3
	ds_read_b32 v3, v3
	s_waitcnt lgkmcnt(0)
	v_add_nc_u32_e32 v3, v3, v90
	v_lshlrev_b64 v[53:54], 3, v[3:4]
	v_add_co_u32 v53, s37, s42, v53
	v_add_co_ci_u32_e64 v54, null, s43, v54, s37
	global_store_dwordx2 v[53:54], v[39:40], off
	s_or_b32 exec_lo, exec_lo, s38
	v_cmp_lt_u32_e64 s37, v91, v169
	s_and_saveexec_b32 s39, s37
	s_cbranch_execz .LBB839_789
.LBB839_857:                            ;   in Loop: Header=BB839_694 Depth=2
	ds_read_b64 v[39:40], v108 offset:29184
	s_waitcnt lgkmcnt(0)
	v_lshrrev_b64 v[53:54], s46, v[39:40]
	v_xor_b32_e32 v40, 0x80000000, v40
	v_and_b32_e32 v3, s52, v53
	v_lshlrev_b32_e32 v3, 2, v3
	ds_read_b32 v3, v3
	s_waitcnt lgkmcnt(0)
	v_add_nc_u32_e32 v3, v3, v91
	v_lshlrev_b64 v[53:54], 3, v[3:4]
	v_add_co_u32 v53, s38, s42, v53
	v_add_co_ci_u32_e64 v54, null, s43, v54, s38
	global_store_dwordx2 v[53:54], v[39:40], off
	s_or_b32 exec_lo, exec_lo, s39
	v_cmp_lt_u32_e64 s38, v92, v169
	s_and_saveexec_b32 s65, s38
	s_cbranch_execnz .LBB839_790
	s_branch .LBB839_791
.LBB839_858:                            ;   in Loop: Header=BB839_694 Depth=2
	global_load_dwordx2 v[37:38], v[39:40], off
	s_or_b32 exec_lo, exec_lo, s39
	s_mov_b32 s56, exec_lo
	v_cmpx_lt_u32_e64 v133, v169
	s_cbranch_execz .LBB839_793
.LBB839_859:                            ;   in Loop: Header=BB839_694 Depth=2
	global_load_dwordx2 v[35:36], v[39:40], off offset:256
	s_or_b32 exec_lo, exec_lo, s56
	s_mov_b32 s56, exec_lo
	v_cmpx_lt_u32_e64 v134, v169
	s_cbranch_execz .LBB839_794
.LBB839_860:                            ;   in Loop: Header=BB839_694 Depth=2
	global_load_dwordx2 v[33:34], v[39:40], off offset:512
	s_or_b32 exec_lo, exec_lo, s56
	s_mov_b32 s56, exec_lo
	v_cmpx_lt_u32_e64 v135, v169
	s_cbranch_execz .LBB839_795
.LBB839_861:                            ;   in Loop: Header=BB839_694 Depth=2
	global_load_dwordx2 v[31:32], v[39:40], off offset:768
	s_or_b32 exec_lo, exec_lo, s56
	s_mov_b32 s56, exec_lo
	v_cmpx_lt_u32_e64 v136, v169
	s_cbranch_execz .LBB839_796
.LBB839_862:                            ;   in Loop: Header=BB839_694 Depth=2
	global_load_dwordx2 v[29:30], v[39:40], off offset:1024
	s_or_b32 exec_lo, exec_lo, s56
	s_mov_b32 s56, exec_lo
	v_cmpx_lt_u32_e64 v137, v169
	s_cbranch_execz .LBB839_797
.LBB839_863:                            ;   in Loop: Header=BB839_694 Depth=2
	global_load_dwordx2 v[25:26], v[39:40], off offset:1280
	s_or_b32 exec_lo, exec_lo, s56
	s_mov_b32 s56, exec_lo
	v_cmpx_lt_u32_e64 v138, v169
	s_cbranch_execz .LBB839_798
.LBB839_864:                            ;   in Loop: Header=BB839_694 Depth=2
	global_load_dwordx2 v[21:22], v[39:40], off offset:1536
	s_or_b32 exec_lo, exec_lo, s56
	s_mov_b32 s56, exec_lo
	v_cmpx_lt_u32_e64 v139, v169
	s_cbranch_execz .LBB839_799
.LBB839_865:                            ;   in Loop: Header=BB839_694 Depth=2
	global_load_dwordx2 v[17:18], v[39:40], off offset:1792
	s_or_b32 exec_lo, exec_lo, s56
	s_mov_b32 s56, exec_lo
	v_cmpx_lt_u32_e64 v140, v169
	s_cbranch_execz .LBB839_800
.LBB839_866:                            ;   in Loop: Header=BB839_694 Depth=2
	v_add_co_u32 v27, s39, 0x800, v39
	v_add_co_ci_u32_e64 v28, null, 0, v40, s39
	global_load_dwordx2 v[27:28], v[27:28], off
	s_or_b32 exec_lo, exec_lo, s56
	s_mov_b32 s56, exec_lo
	v_cmpx_lt_u32_e64 v141, v169
	s_cbranch_execz .LBB839_801
.LBB839_867:                            ;   in Loop: Header=BB839_694 Depth=2
	v_add_co_u32 v23, s39, 0x800, v39
	v_add_co_ci_u32_e64 v24, null, 0, v40, s39
	global_load_dwordx2 v[23:24], v[23:24], off offset:256
	s_or_b32 exec_lo, exec_lo, s56
	s_mov_b32 s56, exec_lo
	v_cmpx_lt_u32_e64 v142, v169
	s_cbranch_execz .LBB839_802
.LBB839_868:                            ;   in Loop: Header=BB839_694 Depth=2
	v_add_co_u32 v19, s39, 0x800, v39
	v_add_co_ci_u32_e64 v20, null, 0, v40, s39
	global_load_dwordx2 v[19:20], v[19:20], off offset:512
	s_or_b32 exec_lo, exec_lo, s56
	s_mov_b32 s56, exec_lo
	v_cmpx_lt_u32_e64 v143, v169
	s_cbranch_execz .LBB839_803
.LBB839_869:                            ;   in Loop: Header=BB839_694 Depth=2
	v_add_co_u32 v15, s39, 0x800, v39
	v_add_co_ci_u32_e64 v16, null, 0, v40, s39
	global_load_dwordx2 v[15:16], v[15:16], off offset:768
	s_or_b32 exec_lo, exec_lo, s56
	s_mov_b32 s56, exec_lo
	v_cmpx_lt_u32_e64 v144, v169
	s_cbranch_execz .LBB839_804
.LBB839_870:                            ;   in Loop: Header=BB839_694 Depth=2
	v_add_co_u32 v13, s39, 0x800, v39
	v_add_co_ci_u32_e64 v14, null, 0, v40, s39
	global_load_dwordx2 v[13:14], v[13:14], off offset:1024
	s_or_b32 exec_lo, exec_lo, s56
	s_mov_b32 s56, exec_lo
	v_cmpx_lt_u32_e64 v145, v169
	s_cbranch_execz .LBB839_805
.LBB839_871:                            ;   in Loop: Header=BB839_694 Depth=2
	v_add_co_u32 v11, s39, 0x800, v39
	v_add_co_ci_u32_e64 v12, null, 0, v40, s39
	global_load_dwordx2 v[11:12], v[11:12], off offset:1280
	s_or_b32 exec_lo, exec_lo, s56
	s_mov_b32 s56, exec_lo
	v_cmpx_lt_u32_e64 v146, v169
	s_cbranch_execz .LBB839_806
.LBB839_872:                            ;   in Loop: Header=BB839_694 Depth=2
	v_add_co_u32 v9, s39, 0x800, v39
	v_add_co_ci_u32_e64 v10, null, 0, v40, s39
	global_load_dwordx2 v[9:10], v[9:10], off offset:1536
	s_or_b32 exec_lo, exec_lo, s56
	s_mov_b32 s56, exec_lo
	v_cmpx_lt_u32_e64 v147, v169
	s_cbranch_execz .LBB839_807
.LBB839_873:                            ;   in Loop: Header=BB839_694 Depth=2
	v_add_co_u32 v7, s39, 0x800, v39
	v_add_co_ci_u32_e64 v8, null, 0, v40, s39
	global_load_dwordx2 v[7:8], v[7:8], off offset:1792
	s_or_b32 exec_lo, exec_lo, s56
	s_and_saveexec_b32 s39, vcc_lo
	s_cbranch_execz .LBB839_808
.LBB839_874:                            ;   in Loop: Header=BB839_694 Depth=2
	ds_read_b64 v[39:40], v108 offset:512
	s_waitcnt lgkmcnt(0)
	v_lshrrev_b64 v[39:40], s46, v[39:40]
	v_and_b32_e32 v167, s52, v39
	s_or_b32 exec_lo, exec_lo, s39
	s_and_saveexec_b32 s39, s23
	s_cbranch_execz .LBB839_809
.LBB839_875:                            ;   in Loop: Header=BB839_694 Depth=2
	ds_read_b64 v[39:40], v108 offset:2560
	s_waitcnt lgkmcnt(0)
	v_lshrrev_b64 v[39:40], s46, v[39:40]
	v_and_b32_e32 v166, s52, v39
	s_or_b32 exec_lo, exec_lo, s39
	s_and_saveexec_b32 s39, s24
	s_cbranch_execz .LBB839_810
.LBB839_876:                            ;   in Loop: Header=BB839_694 Depth=2
	ds_read_b64 v[39:40], v108 offset:4608
	s_waitcnt lgkmcnt(0)
	v_lshrrev_b64 v[39:40], s46, v[39:40]
	v_and_b32_e32 v164, s52, v39
	s_or_b32 exec_lo, exec_lo, s39
	s_and_saveexec_b32 s39, s25
	s_cbranch_execz .LBB839_811
.LBB839_877:                            ;   in Loop: Header=BB839_694 Depth=2
	ds_read_b64 v[39:40], v108 offset:6656
	s_waitcnt lgkmcnt(0)
	v_lshrrev_b64 v[39:40], s46, v[39:40]
	v_and_b32_e32 v163, s52, v39
	s_or_b32 exec_lo, exec_lo, s39
	s_and_saveexec_b32 s39, s26
	s_cbranch_execz .LBB839_812
.LBB839_878:                            ;   in Loop: Header=BB839_694 Depth=2
	ds_read_b64 v[39:40], v108 offset:8704
	s_waitcnt lgkmcnt(0)
	v_lshrrev_b64 v[39:40], s46, v[39:40]
	v_and_b32_e32 v162, s52, v39
	s_or_b32 exec_lo, exec_lo, s39
	s_and_saveexec_b32 s39, s27
	s_cbranch_execz .LBB839_813
.LBB839_879:                            ;   in Loop: Header=BB839_694 Depth=2
	ds_read_b64 v[39:40], v108 offset:10752
	s_waitcnt lgkmcnt(0)
	v_lshrrev_b64 v[39:40], s46, v[39:40]
	v_and_b32_e32 v161, s52, v39
	s_or_b32 exec_lo, exec_lo, s39
	s_and_saveexec_b32 s39, s28
	s_cbranch_execz .LBB839_814
.LBB839_880:                            ;   in Loop: Header=BB839_694 Depth=2
	ds_read_b64 v[39:40], v108 offset:12800
	s_waitcnt lgkmcnt(0)
	v_lshrrev_b64 v[39:40], s46, v[39:40]
	v_and_b32_e32 v160, s52, v39
	s_or_b32 exec_lo, exec_lo, s39
	s_and_saveexec_b32 s39, s29
	s_cbranch_execz .LBB839_815
.LBB839_881:                            ;   in Loop: Header=BB839_694 Depth=2
	ds_read_b64 v[39:40], v108 offset:14848
	s_waitcnt lgkmcnt(0)
	v_lshrrev_b64 v[39:40], s46, v[39:40]
	v_and_b32_e32 v159, s52, v39
	s_or_b32 exec_lo, exec_lo, s39
	s_and_saveexec_b32 s39, s30
	s_cbranch_execz .LBB839_816
.LBB839_882:                            ;   in Loop: Header=BB839_694 Depth=2
	ds_read_b64 v[39:40], v108 offset:16896
	s_waitcnt lgkmcnt(0)
	v_lshrrev_b64 v[39:40], s46, v[39:40]
	v_and_b32_e32 v158, s52, v39
	s_or_b32 exec_lo, exec_lo, s39
	s_and_saveexec_b32 s39, s31
	s_cbranch_execz .LBB839_817
.LBB839_883:                            ;   in Loop: Header=BB839_694 Depth=2
	ds_read_b64 v[39:40], v108 offset:18944
	s_waitcnt lgkmcnt(0)
	v_lshrrev_b64 v[39:40], s46, v[39:40]
	v_and_b32_e32 v157, s52, v39
	s_or_b32 exec_lo, exec_lo, s39
	s_and_saveexec_b32 s39, s33
	s_cbranch_execz .LBB839_818
.LBB839_884:                            ;   in Loop: Header=BB839_694 Depth=2
	ds_read_b64 v[39:40], v108 offset:20992
	s_waitcnt lgkmcnt(0)
	v_lshrrev_b64 v[39:40], s46, v[39:40]
	v_and_b32_e32 v156, s52, v39
	s_or_b32 exec_lo, exec_lo, s39
	s_and_saveexec_b32 s39, s34
	s_cbranch_execz .LBB839_819
.LBB839_885:                            ;   in Loop: Header=BB839_694 Depth=2
	ds_read_b64 v[39:40], v108 offset:23040
	s_waitcnt lgkmcnt(0)
	v_lshrrev_b64 v[39:40], s46, v[39:40]
	v_and_b32_e32 v155, s52, v39
	s_or_b32 exec_lo, exec_lo, s39
	s_and_saveexec_b32 s39, s35
	s_cbranch_execz .LBB839_820
.LBB839_886:                            ;   in Loop: Header=BB839_694 Depth=2
	ds_read_b64 v[39:40], v108 offset:25088
	s_waitcnt lgkmcnt(0)
	v_lshrrev_b64 v[39:40], s46, v[39:40]
	v_and_b32_e32 v154, s52, v39
	s_or_b32 exec_lo, exec_lo, s39
	s_and_saveexec_b32 s39, s36
	s_cbranch_execz .LBB839_821
.LBB839_887:                            ;   in Loop: Header=BB839_694 Depth=2
	ds_read_b64 v[39:40], v108 offset:27136
	s_waitcnt lgkmcnt(0)
	v_lshrrev_b64 v[39:40], s46, v[39:40]
	v_and_b32_e32 v153, s52, v39
	s_or_b32 exec_lo, exec_lo, s39
	s_and_saveexec_b32 s39, s37
	s_cbranch_execz .LBB839_822
.LBB839_888:                            ;   in Loop: Header=BB839_694 Depth=2
	ds_read_b64 v[39:40], v108 offset:29184
	s_waitcnt lgkmcnt(0)
	v_lshrrev_b64 v[39:40], s46, v[39:40]
	v_and_b32_e32 v152, s52, v39
	s_or_b32 exec_lo, exec_lo, s39
	s_and_saveexec_b32 s39, s38
	s_cbranch_execnz .LBB839_823
	s_branch .LBB839_824
.LBB839_889:                            ;   in Loop: Header=BB839_694 Depth=2
	v_lshlrev_b32_e32 v3, 2, v167
	ds_read_b32 v3, v3
	ds_read_b64 v[39:40], v108 offset:512
	s_waitcnt lgkmcnt(1)
	v_add_nc_u32_e32 v3, v3, v0
	v_lshlrev_b64 v[41:42], 3, v[3:4]
	v_add_co_u32 v41, vcc_lo, s48, v41
	v_add_co_ci_u32_e64 v42, null, s49, v42, vcc_lo
	s_waitcnt lgkmcnt(0)
	global_store_dwordx2 v[41:42], v[39:40], off
	s_or_b32 exec_lo, exec_lo, s39
	s_and_saveexec_b32 s39, s23
	s_cbranch_execz .LBB839_826
.LBB839_890:                            ;   in Loop: Header=BB839_694 Depth=2
	v_lshlrev_b32_e32 v3, 2, v166
	ds_read_b32 v3, v3
	ds_read_b64 v[39:40], v108 offset:2560
	s_waitcnt lgkmcnt(1)
	v_add_nc_u32_e32 v3, v3, v76
	v_lshlrev_b64 v[41:42], 3, v[3:4]
	v_add_co_u32 v41, vcc_lo, s48, v41
	v_add_co_ci_u32_e64 v42, null, s49, v42, vcc_lo
	s_waitcnt lgkmcnt(0)
	global_store_dwordx2 v[41:42], v[39:40], off
	s_or_b32 exec_lo, exec_lo, s39
	s_and_saveexec_b32 s23, s24
	s_cbranch_execz .LBB839_827
.LBB839_891:                            ;   in Loop: Header=BB839_694 Depth=2
	v_lshlrev_b32_e32 v3, 2, v164
	ds_read_b32 v3, v3
	ds_read_b64 v[39:40], v108 offset:4608
	s_waitcnt lgkmcnt(1)
	v_add_nc_u32_e32 v3, v3, v79
	v_lshlrev_b64 v[41:42], 3, v[3:4]
	v_add_co_u32 v41, vcc_lo, s48, v41
	v_add_co_ci_u32_e64 v42, null, s49, v42, vcc_lo
	s_waitcnt lgkmcnt(0)
	global_store_dwordx2 v[41:42], v[39:40], off
	s_or_b32 exec_lo, exec_lo, s23
	s_and_saveexec_b32 s23, s25
	s_cbranch_execz .LBB839_828
.LBB839_892:                            ;   in Loop: Header=BB839_694 Depth=2
	v_lshlrev_b32_e32 v3, 2, v163
	ds_read_b32 v3, v3
	ds_read_b64 v[39:40], v108 offset:6656
	s_waitcnt lgkmcnt(1)
	v_add_nc_u32_e32 v3, v3, v80
	v_lshlrev_b64 v[41:42], 3, v[3:4]
	v_add_co_u32 v41, vcc_lo, s48, v41
	v_add_co_ci_u32_e64 v42, null, s49, v42, vcc_lo
	s_waitcnt lgkmcnt(0)
	global_store_dwordx2 v[41:42], v[39:40], off
	s_or_b32 exec_lo, exec_lo, s23
	s_and_saveexec_b32 s23, s26
	s_cbranch_execz .LBB839_829
.LBB839_893:                            ;   in Loop: Header=BB839_694 Depth=2
	v_lshlrev_b32_e32 v3, 2, v162
	ds_read_b32 v3, v3
	ds_read_b64 v[39:40], v108 offset:8704
	s_waitcnt lgkmcnt(1)
	v_add_nc_u32_e32 v3, v3, v81
	v_lshlrev_b64 v[41:42], 3, v[3:4]
	v_add_co_u32 v41, vcc_lo, s48, v41
	v_add_co_ci_u32_e64 v42, null, s49, v42, vcc_lo
	s_waitcnt lgkmcnt(0)
	global_store_dwordx2 v[41:42], v[39:40], off
	s_or_b32 exec_lo, exec_lo, s23
	s_and_saveexec_b32 s23, s27
	s_cbranch_execz .LBB839_830
.LBB839_894:                            ;   in Loop: Header=BB839_694 Depth=2
	v_lshlrev_b32_e32 v3, 2, v161
	ds_read_b32 v3, v3
	ds_read_b64 v[39:40], v108 offset:10752
	s_waitcnt lgkmcnt(1)
	v_add_nc_u32_e32 v3, v3, v82
	v_lshlrev_b64 v[41:42], 3, v[3:4]
	v_add_co_u32 v41, vcc_lo, s48, v41
	v_add_co_ci_u32_e64 v42, null, s49, v42, vcc_lo
	s_waitcnt lgkmcnt(0)
	global_store_dwordx2 v[41:42], v[39:40], off
	s_or_b32 exec_lo, exec_lo, s23
	s_and_saveexec_b32 s23, s28
	s_cbranch_execz .LBB839_831
.LBB839_895:                            ;   in Loop: Header=BB839_694 Depth=2
	v_lshlrev_b32_e32 v3, 2, v160
	ds_read_b32 v3, v3
	ds_read_b64 v[39:40], v108 offset:12800
	s_waitcnt lgkmcnt(1)
	v_add_nc_u32_e32 v3, v3, v83
	v_lshlrev_b64 v[41:42], 3, v[3:4]
	v_add_co_u32 v41, vcc_lo, s48, v41
	v_add_co_ci_u32_e64 v42, null, s49, v42, vcc_lo
	s_waitcnt lgkmcnt(0)
	global_store_dwordx2 v[41:42], v[39:40], off
	s_or_b32 exec_lo, exec_lo, s23
	s_and_saveexec_b32 s23, s29
	s_cbranch_execz .LBB839_832
.LBB839_896:                            ;   in Loop: Header=BB839_694 Depth=2
	v_lshlrev_b32_e32 v3, 2, v159
	ds_read_b32 v3, v3
	ds_read_b64 v[39:40], v108 offset:14848
	s_waitcnt lgkmcnt(1)
	v_add_nc_u32_e32 v3, v3, v84
	v_lshlrev_b64 v[41:42], 3, v[3:4]
	v_add_co_u32 v41, vcc_lo, s48, v41
	v_add_co_ci_u32_e64 v42, null, s49, v42, vcc_lo
	s_waitcnt lgkmcnt(0)
	global_store_dwordx2 v[41:42], v[39:40], off
	s_or_b32 exec_lo, exec_lo, s23
	s_and_saveexec_b32 s23, s30
	s_cbranch_execz .LBB839_833
.LBB839_897:                            ;   in Loop: Header=BB839_694 Depth=2
	v_lshlrev_b32_e32 v3, 2, v158
	ds_read_b32 v3, v3
	ds_read_b64 v[39:40], v108 offset:16896
	s_waitcnt lgkmcnt(1)
	v_add_nc_u32_e32 v3, v3, v85
	v_lshlrev_b64 v[41:42], 3, v[3:4]
	v_add_co_u32 v41, vcc_lo, s48, v41
	v_add_co_ci_u32_e64 v42, null, s49, v42, vcc_lo
	s_waitcnt lgkmcnt(0)
	global_store_dwordx2 v[41:42], v[39:40], off
	s_or_b32 exec_lo, exec_lo, s23
	s_and_saveexec_b32 s23, s31
	s_cbranch_execz .LBB839_834
.LBB839_898:                            ;   in Loop: Header=BB839_694 Depth=2
	v_lshlrev_b32_e32 v3, 2, v157
	ds_read_b32 v3, v3
	ds_read_b64 v[39:40], v108 offset:18944
	s_waitcnt lgkmcnt(1)
	v_add_nc_u32_e32 v3, v3, v86
	v_lshlrev_b64 v[41:42], 3, v[3:4]
	v_add_co_u32 v41, vcc_lo, s48, v41
	v_add_co_ci_u32_e64 v42, null, s49, v42, vcc_lo
	s_waitcnt lgkmcnt(0)
	global_store_dwordx2 v[41:42], v[39:40], off
	s_or_b32 exec_lo, exec_lo, s23
	s_and_saveexec_b32 s23, s33
	s_cbranch_execz .LBB839_835
.LBB839_899:                            ;   in Loop: Header=BB839_694 Depth=2
	v_lshlrev_b32_e32 v3, 2, v156
	ds_read_b32 v3, v3
	ds_read_b64 v[39:40], v108 offset:20992
	s_waitcnt lgkmcnt(1)
	v_add_nc_u32_e32 v3, v3, v87
	v_lshlrev_b64 v[41:42], 3, v[3:4]
	v_add_co_u32 v41, vcc_lo, s48, v41
	v_add_co_ci_u32_e64 v42, null, s49, v42, vcc_lo
	s_waitcnt lgkmcnt(0)
	global_store_dwordx2 v[41:42], v[39:40], off
	s_or_b32 exec_lo, exec_lo, s23
	s_and_saveexec_b32 s23, s34
	s_cbranch_execz .LBB839_836
.LBB839_900:                            ;   in Loop: Header=BB839_694 Depth=2
	v_lshlrev_b32_e32 v3, 2, v155
	ds_read_b32 v3, v3
	ds_read_b64 v[39:40], v108 offset:23040
	s_waitcnt lgkmcnt(1)
	v_add_nc_u32_e32 v3, v3, v88
	v_lshlrev_b64 v[41:42], 3, v[3:4]
	v_add_co_u32 v41, vcc_lo, s48, v41
	v_add_co_ci_u32_e64 v42, null, s49, v42, vcc_lo
	s_waitcnt lgkmcnt(0)
	global_store_dwordx2 v[41:42], v[39:40], off
	s_or_b32 exec_lo, exec_lo, s23
	s_and_saveexec_b32 s23, s35
	s_cbranch_execz .LBB839_837
.LBB839_901:                            ;   in Loop: Header=BB839_694 Depth=2
	v_lshlrev_b32_e32 v3, 2, v154
	ds_read_b32 v3, v3
	ds_read_b64 v[39:40], v108 offset:25088
	s_waitcnt lgkmcnt(1)
	v_add_nc_u32_e32 v3, v3, v89
	v_lshlrev_b64 v[41:42], 3, v[3:4]
	v_add_co_u32 v41, vcc_lo, s48, v41
	v_add_co_ci_u32_e64 v42, null, s49, v42, vcc_lo
	s_waitcnt lgkmcnt(0)
	global_store_dwordx2 v[41:42], v[39:40], off
	s_or_b32 exec_lo, exec_lo, s23
	s_and_saveexec_b32 s23, s36
	s_cbranch_execz .LBB839_838
.LBB839_902:                            ;   in Loop: Header=BB839_694 Depth=2
	v_lshlrev_b32_e32 v3, 2, v153
	ds_read_b32 v3, v3
	ds_read_b64 v[39:40], v108 offset:27136
	s_waitcnt lgkmcnt(1)
	v_add_nc_u32_e32 v3, v3, v90
	v_lshlrev_b64 v[41:42], 3, v[3:4]
	v_add_co_u32 v41, vcc_lo, s48, v41
	v_add_co_ci_u32_e64 v42, null, s49, v42, vcc_lo
	s_waitcnt lgkmcnt(0)
	global_store_dwordx2 v[41:42], v[39:40], off
	s_or_b32 exec_lo, exec_lo, s23
	s_and_saveexec_b32 s23, s37
	s_cbranch_execz .LBB839_839
.LBB839_903:                            ;   in Loop: Header=BB839_694 Depth=2
	v_lshlrev_b32_e32 v3, 2, v152
	ds_read_b32 v3, v3
	ds_read_b64 v[39:40], v108 offset:29184
	s_waitcnt lgkmcnt(1)
	v_add_nc_u32_e32 v3, v3, v91
	v_lshlrev_b64 v[41:42], 3, v[3:4]
	v_add_co_u32 v41, vcc_lo, s48, v41
	v_add_co_ci_u32_e64 v42, null, s49, v42, vcc_lo
	s_waitcnt lgkmcnt(0)
	global_store_dwordx2 v[41:42], v[39:40], off
	s_or_b32 exec_lo, exec_lo, s23
	s_and_saveexec_b32 s23, s38
	s_cbranch_execnz .LBB839_840
	s_branch .LBB839_841
.LBB839_904:                            ;   in Loop: Header=BB839_20 Depth=1
	s_waitcnt lgkmcnt(0)
	s_mov_b32 s5, 0
	s_barrier
.LBB839_905:                            ;   in Loop: Header=BB839_20 Depth=1
	s_and_b32 vcc_lo, exec_lo, s5
	s_cbranch_vccz .LBB839_19
; %bb.906:                              ;   in Loop: Header=BB839_20 Depth=1
	s_mov_b32 s5, s62
	s_mov_b32 s56, s60
	s_barrier
	buffer_gl0_inv
                                        ; implicit-def: $vgpr7_vgpr8
                                        ; implicit-def: $vgpr9_vgpr10
                                        ; implicit-def: $vgpr11_vgpr12
                                        ; implicit-def: $vgpr13_vgpr14
                                        ; implicit-def: $vgpr15_vgpr16
                                        ; implicit-def: $vgpr17_vgpr18
                                        ; implicit-def: $vgpr19_vgpr20
                                        ; implicit-def: $vgpr21_vgpr22
                                        ; implicit-def: $vgpr23_vgpr24
                                        ; implicit-def: $vgpr25_vgpr26
                                        ; implicit-def: $vgpr27_vgpr28
                                        ; implicit-def: $vgpr29_vgpr30
                                        ; implicit-def: $vgpr31_vgpr32
                                        ; implicit-def: $vgpr33_vgpr34
                                        ; implicit-def: $vgpr35_vgpr36
                                        ; implicit-def: $vgpr37_vgpr38
	s_branch .LBB839_908
.LBB839_907:                            ;   in Loop: Header=BB839_908 Depth=2
	s_or_b32 exec_lo, exec_lo, s16
	s_addk_i32 s5, 0xf000
	s_cmp_ge_u32 s15, s61
	s_mov_b32 s56, s15
	s_cbranch_scc1 .LBB839_976
.LBB839_908:                            ;   Parent Loop BB839_20 Depth=1
                                        ; =>  This Inner Loop Header: Depth=2
	s_add_i32 s15, s56, 0x1000
	s_mov_b32 s16, -1
	s_cmp_gt_u32 s15, s61
                                        ; implicit-def: $vgpr49_vgpr50
                                        ; implicit-def: $vgpr53_vgpr54
                                        ; implicit-def: $vgpr57_vgpr58
                                        ; implicit-def: $vgpr39_vgpr40
                                        ; implicit-def: $vgpr41_vgpr42
                                        ; implicit-def: $vgpr43_vgpr44
                                        ; implicit-def: $vgpr45_vgpr46
                                        ; implicit-def: $vgpr47_vgpr48
                                        ; implicit-def: $vgpr51_vgpr52
                                        ; implicit-def: $vgpr55_vgpr56
                                        ; implicit-def: $vgpr59_vgpr60
                                        ; implicit-def: $vgpr61_vgpr62
                                        ; implicit-def: $vgpr63_vgpr64
                                        ; implicit-def: $vgpr65_vgpr66
                                        ; implicit-def: $vgpr67_vgpr68
                                        ; implicit-def: $vgpr69_vgpr70
	s_cbranch_scc1 .LBB839_910
; %bb.909:                              ;   in Loop: Header=BB839_908 Depth=2
	s_lshl_b64 s[16:17], s[56:57], 3
	v_add_co_u32 v49, vcc_lo, v115, s16
	v_add_co_ci_u32_e64 v50, null, s17, v116, vcc_lo
	s_mov_b32 s16, 0
	v_add_co_u32 v57, vcc_lo, v49, 0x1000
	v_add_co_ci_u32_e64 v58, null, 0, v50, vcc_lo
	v_add_co_u32 v41, vcc_lo, v49, 0x2000
	v_add_co_ci_u32_e64 v42, null, 0, v50, vcc_lo
	;; [unrolled: 2-line block ×5, first 2 shown]
	s_clause 0x7
	global_load_dwordx2 v[39:40], v[41:42], off offset:-2048
	global_load_dwordx2 v[41:42], v[41:42], off
	global_load_dwordx2 v[43:44], v[45:46], off offset:-2048
	global_load_dwordx2 v[45:46], v[45:46], off
	;; [unrolled: 2-line block ×4, first 2 shown]
	v_add_co_u32 v53, vcc_lo, v49, 0x6000
	v_add_co_ci_u32_e64 v54, null, 0, v50, vcc_lo
	v_add_co_u32 v67, vcc_lo, v49, 0x7000
	v_add_co_ci_u32_e64 v68, null, 0, v50, vcc_lo
	;; [unrolled: 2-line block ×3, first 2 shown]
	s_clause 0x7
	global_load_dwordx2 v[61:62], v[53:54], off offset:-2048
	global_load_dwordx2 v[63:64], v[53:54], off
	global_load_dwordx2 v[65:66], v[67:68], off offset:-2048
	global_load_dwordx2 v[67:68], v[67:68], off
	global_load_dwordx2 v[49:50], v[49:50], off
	global_load_dwordx2 v[53:54], v[57:58], off offset:-2048
	global_load_dwordx2 v[57:58], v[57:58], off
	global_load_dwordx2 v[69:70], v[69:70], off
.LBB839_910:                            ;   in Loop: Header=BB839_908 Depth=2
	s_andn2_b32 vcc_lo, exec_lo, s16
	s_movk_i32 s16, 0x1000
	s_cbranch_vccnz .LBB839_929
; %bb.911:                              ;   in Loop: Header=BB839_908 Depth=2
	s_lshl_b64 s[16:17], s[56:57], 3
	s_mov_b32 s18, exec_lo
	s_add_u32 s16, s40, s16
	s_addc_u32 s17, s41, s17
	v_cmpx_gt_u32_e64 s5, v0
	s_cbranch_execnz .LBB839_961
; %bb.912:                              ;   in Loop: Header=BB839_908 Depth=2
	s_or_b32 exec_lo, exec_lo, s18
	s_mov_b32 s18, exec_lo
	v_cmpx_gt_u32_e64 s5, v76
	s_cbranch_execnz .LBB839_962
.LBB839_913:                            ;   in Loop: Header=BB839_908 Depth=2
	s_or_b32 exec_lo, exec_lo, s18
	s_mov_b32 s18, exec_lo
	v_cmpx_gt_u32_e64 s5, v79
	s_cbranch_execnz .LBB839_963
.LBB839_914:                            ;   in Loop: Header=BB839_908 Depth=2
	s_or_b32 exec_lo, exec_lo, s18
	s_mov_b32 s18, exec_lo
	v_cmpx_gt_u32_e64 s5, v80
	s_cbranch_execnz .LBB839_964
.LBB839_915:                            ;   in Loop: Header=BB839_908 Depth=2
	s_or_b32 exec_lo, exec_lo, s18
	s_mov_b32 s18, exec_lo
	v_cmpx_gt_u32_e64 s5, v81
	s_cbranch_execnz .LBB839_965
.LBB839_916:                            ;   in Loop: Header=BB839_908 Depth=2
	s_or_b32 exec_lo, exec_lo, s18
	s_mov_b32 s18, exec_lo
	v_cmpx_gt_u32_e64 s5, v82
	s_cbranch_execnz .LBB839_966
.LBB839_917:                            ;   in Loop: Header=BB839_908 Depth=2
	s_or_b32 exec_lo, exec_lo, s18
	s_mov_b32 s18, exec_lo
	v_cmpx_gt_u32_e64 s5, v83
	s_cbranch_execnz .LBB839_967
.LBB839_918:                            ;   in Loop: Header=BB839_908 Depth=2
	s_or_b32 exec_lo, exec_lo, s18
	s_mov_b32 s18, exec_lo
	v_cmpx_gt_u32_e64 s5, v84
	s_cbranch_execnz .LBB839_968
.LBB839_919:                            ;   in Loop: Header=BB839_908 Depth=2
	s_or_b32 exec_lo, exec_lo, s18
	s_mov_b32 s18, exec_lo
	v_cmpx_gt_u32_e64 s5, v85
	s_cbranch_execnz .LBB839_969
.LBB839_920:                            ;   in Loop: Header=BB839_908 Depth=2
	s_or_b32 exec_lo, exec_lo, s18
	s_mov_b32 s18, exec_lo
	v_cmpx_gt_u32_e64 s5, v86
	s_cbranch_execnz .LBB839_970
.LBB839_921:                            ;   in Loop: Header=BB839_908 Depth=2
	s_or_b32 exec_lo, exec_lo, s18
	s_mov_b32 s18, exec_lo
	v_cmpx_gt_u32_e64 s5, v87
	s_cbranch_execnz .LBB839_971
.LBB839_922:                            ;   in Loop: Header=BB839_908 Depth=2
	s_or_b32 exec_lo, exec_lo, s18
	s_mov_b32 s18, exec_lo
	v_cmpx_gt_u32_e64 s5, v88
	s_cbranch_execnz .LBB839_972
.LBB839_923:                            ;   in Loop: Header=BB839_908 Depth=2
	s_or_b32 exec_lo, exec_lo, s18
	s_mov_b32 s18, exec_lo
	v_cmpx_gt_u32_e64 s5, v89
	s_cbranch_execnz .LBB839_973
.LBB839_924:                            ;   in Loop: Header=BB839_908 Depth=2
	s_or_b32 exec_lo, exec_lo, s18
	s_mov_b32 s18, exec_lo
	v_cmpx_gt_u32_e64 s5, v90
	s_cbranch_execnz .LBB839_974
.LBB839_925:                            ;   in Loop: Header=BB839_908 Depth=2
	s_or_b32 exec_lo, exec_lo, s18
	s_mov_b32 s18, exec_lo
	v_cmpx_gt_u32_e64 s5, v91
	s_cbranch_execnz .LBB839_975
.LBB839_926:                            ;   in Loop: Header=BB839_908 Depth=2
	s_or_b32 exec_lo, exec_lo, s18
	s_mov_b32 s18, exec_lo
	v_cmpx_gt_u32_e64 s5, v92
	s_cbranch_execz .LBB839_928
.LBB839_927:                            ;   in Loop: Header=BB839_908 Depth=2
	v_lshlrev_b32_e32 v3, 3, v92
	global_load_dwordx2 v[7:8], v3, s[16:17]
.LBB839_928:                            ;   in Loop: Header=BB839_908 Depth=2
	s_or_b32 exec_lo, exec_lo, s18
	s_waitcnt vmcnt(0)
	v_mov_b32_e32 v50, v38
	v_mov_b32_e32 v54, v36
	;; [unrolled: 1-line block ×32, first 2 shown]
	s_mov_b32 s16, s5
.LBB839_929:                            ;   in Loop: Header=BB839_908 Depth=2
	s_waitcnt vmcnt(0)
	v_mov_b32_e32 v7, v69
	v_mov_b32_e32 v9, v67
	;; [unrolled: 1-line block ×32, first 2 shown]
	s_mov_b32 s17, exec_lo
	v_cmpx_gt_u32_e64 s16, v0
	s_cbranch_execnz .LBB839_945
; %bb.930:                              ;   in Loop: Header=BB839_908 Depth=2
	s_or_b32 exec_lo, exec_lo, s17
	s_mov_b32 s17, exec_lo
	v_cmpx_gt_u32_e64 s16, v76
	s_cbranch_execnz .LBB839_946
.LBB839_931:                            ;   in Loop: Header=BB839_908 Depth=2
	s_or_b32 exec_lo, exec_lo, s17
	s_mov_b32 s17, exec_lo
	v_cmpx_gt_u32_e64 s16, v79
	s_cbranch_execnz .LBB839_947
.LBB839_932:                            ;   in Loop: Header=BB839_908 Depth=2
	s_or_b32 exec_lo, exec_lo, s17
	s_mov_b32 s17, exec_lo
	v_cmpx_gt_u32_e64 s16, v80
	s_cbranch_execnz .LBB839_948
.LBB839_933:                            ;   in Loop: Header=BB839_908 Depth=2
	s_or_b32 exec_lo, exec_lo, s17
	s_mov_b32 s17, exec_lo
	v_cmpx_gt_u32_e64 s16, v81
	s_cbranch_execnz .LBB839_949
.LBB839_934:                            ;   in Loop: Header=BB839_908 Depth=2
	s_or_b32 exec_lo, exec_lo, s17
	s_mov_b32 s17, exec_lo
	v_cmpx_gt_u32_e64 s16, v82
	s_cbranch_execnz .LBB839_950
.LBB839_935:                            ;   in Loop: Header=BB839_908 Depth=2
	s_or_b32 exec_lo, exec_lo, s17
	s_mov_b32 s17, exec_lo
	v_cmpx_gt_u32_e64 s16, v83
	s_cbranch_execnz .LBB839_951
.LBB839_936:                            ;   in Loop: Header=BB839_908 Depth=2
	s_or_b32 exec_lo, exec_lo, s17
	s_mov_b32 s17, exec_lo
	v_cmpx_gt_u32_e64 s16, v84
	s_cbranch_execnz .LBB839_952
.LBB839_937:                            ;   in Loop: Header=BB839_908 Depth=2
	s_or_b32 exec_lo, exec_lo, s17
	s_mov_b32 s17, exec_lo
	v_cmpx_gt_u32_e64 s16, v85
	s_cbranch_execnz .LBB839_953
.LBB839_938:                            ;   in Loop: Header=BB839_908 Depth=2
	s_or_b32 exec_lo, exec_lo, s17
	s_mov_b32 s17, exec_lo
	v_cmpx_gt_u32_e64 s16, v86
	s_cbranch_execnz .LBB839_954
.LBB839_939:                            ;   in Loop: Header=BB839_908 Depth=2
	s_or_b32 exec_lo, exec_lo, s17
	s_mov_b32 s17, exec_lo
	v_cmpx_gt_u32_e64 s16, v87
	s_cbranch_execnz .LBB839_955
.LBB839_940:                            ;   in Loop: Header=BB839_908 Depth=2
	s_or_b32 exec_lo, exec_lo, s17
	s_mov_b32 s17, exec_lo
	v_cmpx_gt_u32_e64 s16, v88
	s_cbranch_execnz .LBB839_956
.LBB839_941:                            ;   in Loop: Header=BB839_908 Depth=2
	s_or_b32 exec_lo, exec_lo, s17
	s_mov_b32 s17, exec_lo
	v_cmpx_gt_u32_e64 s16, v89
	s_cbranch_execnz .LBB839_957
.LBB839_942:                            ;   in Loop: Header=BB839_908 Depth=2
	s_or_b32 exec_lo, exec_lo, s17
	s_mov_b32 s17, exec_lo
	v_cmpx_gt_u32_e64 s16, v90
	s_cbranch_execnz .LBB839_958
.LBB839_943:                            ;   in Loop: Header=BB839_908 Depth=2
	s_or_b32 exec_lo, exec_lo, s17
	s_mov_b32 s17, exec_lo
	v_cmpx_gt_u32_e64 s16, v91
	s_cbranch_execnz .LBB839_959
.LBB839_944:                            ;   in Loop: Header=BB839_908 Depth=2
	s_or_b32 exec_lo, exec_lo, s17
	v_cmp_gt_u32_e32 vcc_lo, s16, v92
	s_and_saveexec_b32 s16, vcc_lo
	s_cbranch_execz .LBB839_907
	s_branch .LBB839_960
.LBB839_945:                            ;   in Loop: Header=BB839_908 Depth=2
	v_xor_b32_e32 v40, 0x80000000, v38
	v_mov_b32_e32 v39, v37
	v_lshrrev_b64 v[39:40], s46, v[39:40]
	v_and_b32_e32 v3, s52, v39
	v_lshl_or_b32 v3, v3, 4, v93
	ds_add_u32 v3, v121
	s_or_b32 exec_lo, exec_lo, s17
	s_mov_b32 s17, exec_lo
	v_cmpx_gt_u32_e64 s16, v76
	s_cbranch_execz .LBB839_931
.LBB839_946:                            ;   in Loop: Header=BB839_908 Depth=2
	v_xor_b32_e32 v40, 0x80000000, v36
	v_mov_b32_e32 v39, v35
	v_lshrrev_b64 v[39:40], s46, v[39:40]
	v_and_b32_e32 v3, s52, v39
	v_lshl_or_b32 v3, v3, 4, v93
	ds_add_u32 v3, v121
	s_or_b32 exec_lo, exec_lo, s17
	s_mov_b32 s17, exec_lo
	v_cmpx_gt_u32_e64 s16, v79
	s_cbranch_execz .LBB839_932
.LBB839_947:                            ;   in Loop: Header=BB839_908 Depth=2
	v_xor_b32_e32 v40, 0x80000000, v34
	v_mov_b32_e32 v39, v33
	v_lshrrev_b64 v[39:40], s46, v[39:40]
	v_and_b32_e32 v3, s52, v39
	v_lshl_or_b32 v3, v3, 4, v93
	ds_add_u32 v3, v121
	s_or_b32 exec_lo, exec_lo, s17
	s_mov_b32 s17, exec_lo
	v_cmpx_gt_u32_e64 s16, v80
	s_cbranch_execz .LBB839_933
.LBB839_948:                            ;   in Loop: Header=BB839_908 Depth=2
	v_xor_b32_e32 v40, 0x80000000, v32
	v_mov_b32_e32 v39, v31
	v_lshrrev_b64 v[39:40], s46, v[39:40]
	v_and_b32_e32 v3, s52, v39
	v_lshl_or_b32 v3, v3, 4, v93
	ds_add_u32 v3, v121
	s_or_b32 exec_lo, exec_lo, s17
	s_mov_b32 s17, exec_lo
	v_cmpx_gt_u32_e64 s16, v81
	s_cbranch_execz .LBB839_934
.LBB839_949:                            ;   in Loop: Header=BB839_908 Depth=2
	v_xor_b32_e32 v40, 0x80000000, v30
	v_mov_b32_e32 v39, v29
	v_lshrrev_b64 v[39:40], s46, v[39:40]
	v_and_b32_e32 v3, s52, v39
	v_lshl_or_b32 v3, v3, 4, v93
	ds_add_u32 v3, v121
	s_or_b32 exec_lo, exec_lo, s17
	s_mov_b32 s17, exec_lo
	v_cmpx_gt_u32_e64 s16, v82
	s_cbranch_execz .LBB839_935
.LBB839_950:                            ;   in Loop: Header=BB839_908 Depth=2
	v_xor_b32_e32 v40, 0x80000000, v28
	v_mov_b32_e32 v39, v27
	v_lshrrev_b64 v[39:40], s46, v[39:40]
	v_and_b32_e32 v3, s52, v39
	v_lshl_or_b32 v3, v3, 4, v93
	ds_add_u32 v3, v121
	s_or_b32 exec_lo, exec_lo, s17
	s_mov_b32 s17, exec_lo
	v_cmpx_gt_u32_e64 s16, v83
	s_cbranch_execz .LBB839_936
.LBB839_951:                            ;   in Loop: Header=BB839_908 Depth=2
	v_xor_b32_e32 v40, 0x80000000, v26
	v_mov_b32_e32 v39, v25
	v_lshrrev_b64 v[39:40], s46, v[39:40]
	v_and_b32_e32 v3, s52, v39
	v_lshl_or_b32 v3, v3, 4, v93
	ds_add_u32 v3, v121
	s_or_b32 exec_lo, exec_lo, s17
	s_mov_b32 s17, exec_lo
	v_cmpx_gt_u32_e64 s16, v84
	s_cbranch_execz .LBB839_937
.LBB839_952:                            ;   in Loop: Header=BB839_908 Depth=2
	v_xor_b32_e32 v40, 0x80000000, v24
	v_mov_b32_e32 v39, v23
	v_lshrrev_b64 v[39:40], s46, v[39:40]
	v_and_b32_e32 v3, s52, v39
	v_lshl_or_b32 v3, v3, 4, v93
	ds_add_u32 v3, v121
	s_or_b32 exec_lo, exec_lo, s17
	s_mov_b32 s17, exec_lo
	v_cmpx_gt_u32_e64 s16, v85
	s_cbranch_execz .LBB839_938
.LBB839_953:                            ;   in Loop: Header=BB839_908 Depth=2
	v_xor_b32_e32 v40, 0x80000000, v22
	v_mov_b32_e32 v39, v21
	v_lshrrev_b64 v[39:40], s46, v[39:40]
	v_and_b32_e32 v3, s52, v39
	v_lshl_or_b32 v3, v3, 4, v93
	ds_add_u32 v3, v121
	s_or_b32 exec_lo, exec_lo, s17
	s_mov_b32 s17, exec_lo
	v_cmpx_gt_u32_e64 s16, v86
	s_cbranch_execz .LBB839_939
.LBB839_954:                            ;   in Loop: Header=BB839_908 Depth=2
	v_xor_b32_e32 v40, 0x80000000, v20
	v_mov_b32_e32 v39, v19
	v_lshrrev_b64 v[39:40], s46, v[39:40]
	v_and_b32_e32 v3, s52, v39
	v_lshl_or_b32 v3, v3, 4, v93
	ds_add_u32 v3, v121
	s_or_b32 exec_lo, exec_lo, s17
	s_mov_b32 s17, exec_lo
	v_cmpx_gt_u32_e64 s16, v87
	s_cbranch_execz .LBB839_940
.LBB839_955:                            ;   in Loop: Header=BB839_908 Depth=2
	v_xor_b32_e32 v40, 0x80000000, v18
	v_mov_b32_e32 v39, v17
	v_lshrrev_b64 v[39:40], s46, v[39:40]
	v_and_b32_e32 v3, s52, v39
	v_lshl_or_b32 v3, v3, 4, v93
	ds_add_u32 v3, v121
	s_or_b32 exec_lo, exec_lo, s17
	s_mov_b32 s17, exec_lo
	v_cmpx_gt_u32_e64 s16, v88
	s_cbranch_execz .LBB839_941
.LBB839_956:                            ;   in Loop: Header=BB839_908 Depth=2
	v_xor_b32_e32 v40, 0x80000000, v16
	v_mov_b32_e32 v39, v15
	v_lshrrev_b64 v[39:40], s46, v[39:40]
	v_and_b32_e32 v3, s52, v39
	v_lshl_or_b32 v3, v3, 4, v93
	ds_add_u32 v3, v121
	s_or_b32 exec_lo, exec_lo, s17
	s_mov_b32 s17, exec_lo
	v_cmpx_gt_u32_e64 s16, v89
	s_cbranch_execz .LBB839_942
.LBB839_957:                            ;   in Loop: Header=BB839_908 Depth=2
	v_xor_b32_e32 v40, 0x80000000, v14
	v_mov_b32_e32 v39, v13
	v_lshrrev_b64 v[39:40], s46, v[39:40]
	v_and_b32_e32 v3, s52, v39
	v_lshl_or_b32 v3, v3, 4, v93
	ds_add_u32 v3, v121
	s_or_b32 exec_lo, exec_lo, s17
	s_mov_b32 s17, exec_lo
	v_cmpx_gt_u32_e64 s16, v90
	s_cbranch_execz .LBB839_943
.LBB839_958:                            ;   in Loop: Header=BB839_908 Depth=2
	v_xor_b32_e32 v40, 0x80000000, v12
	v_mov_b32_e32 v39, v11
	v_lshrrev_b64 v[39:40], s46, v[39:40]
	v_and_b32_e32 v3, s52, v39
	v_lshl_or_b32 v3, v3, 4, v93
	ds_add_u32 v3, v121
	s_or_b32 exec_lo, exec_lo, s17
	s_mov_b32 s17, exec_lo
	v_cmpx_gt_u32_e64 s16, v91
	s_cbranch_execz .LBB839_944
.LBB839_959:                            ;   in Loop: Header=BB839_908 Depth=2
	v_xor_b32_e32 v40, 0x80000000, v10
	v_mov_b32_e32 v39, v9
	v_lshrrev_b64 v[39:40], s46, v[39:40]
	v_and_b32_e32 v3, s52, v39
	v_lshl_or_b32 v3, v3, 4, v93
	ds_add_u32 v3, v121
	s_or_b32 exec_lo, exec_lo, s17
	v_cmp_gt_u32_e32 vcc_lo, s16, v92
	s_and_saveexec_b32 s16, vcc_lo
	s_cbranch_execz .LBB839_907
.LBB839_960:                            ;   in Loop: Header=BB839_908 Depth=2
	v_xor_b32_e32 v40, 0x80000000, v8
	v_mov_b32_e32 v39, v7
	v_lshrrev_b64 v[39:40], s46, v[39:40]
	v_and_b32_e32 v3, s52, v39
	v_lshl_or_b32 v3, v3, 4, v93
	ds_add_u32 v3, v121
	s_branch .LBB839_907
.LBB839_961:                            ;   in Loop: Header=BB839_908 Depth=2
	global_load_dwordx2 v[37:38], v122, s[16:17]
	s_or_b32 exec_lo, exec_lo, s18
	s_mov_b32 s18, exec_lo
	v_cmpx_gt_u32_e64 s5, v76
	s_cbranch_execz .LBB839_913
.LBB839_962:                            ;   in Loop: Header=BB839_908 Depth=2
	global_load_dwordx2 v[35:36], v123, s[16:17]
	s_or_b32 exec_lo, exec_lo, s18
	s_mov_b32 s18, exec_lo
	v_cmpx_gt_u32_e64 s5, v79
	s_cbranch_execz .LBB839_914
.LBB839_963:                            ;   in Loop: Header=BB839_908 Depth=2
	global_load_dwordx2 v[33:34], v124, s[16:17]
	s_or_b32 exec_lo, exec_lo, s18
	s_mov_b32 s18, exec_lo
	v_cmpx_gt_u32_e64 s5, v80
	s_cbranch_execz .LBB839_915
.LBB839_964:                            ;   in Loop: Header=BB839_908 Depth=2
	global_load_dwordx2 v[31:32], v125, s[16:17]
	s_or_b32 exec_lo, exec_lo, s18
	s_mov_b32 s18, exec_lo
	v_cmpx_gt_u32_e64 s5, v81
	s_cbranch_execz .LBB839_916
.LBB839_965:                            ;   in Loop: Header=BB839_908 Depth=2
	global_load_dwordx2 v[29:30], v126, s[16:17]
	s_or_b32 exec_lo, exec_lo, s18
	s_mov_b32 s18, exec_lo
	v_cmpx_gt_u32_e64 s5, v82
	s_cbranch_execz .LBB839_917
.LBB839_966:                            ;   in Loop: Header=BB839_908 Depth=2
	global_load_dwordx2 v[27:28], v127, s[16:17]
	s_or_b32 exec_lo, exec_lo, s18
	s_mov_b32 s18, exec_lo
	v_cmpx_gt_u32_e64 s5, v83
	s_cbranch_execz .LBB839_918
.LBB839_967:                            ;   in Loop: Header=BB839_908 Depth=2
	v_lshlrev_b32_e32 v3, 3, v83
	global_load_dwordx2 v[25:26], v3, s[16:17]
	s_or_b32 exec_lo, exec_lo, s18
	s_mov_b32 s18, exec_lo
	v_cmpx_gt_u32_e64 s5, v84
	s_cbranch_execz .LBB839_919
.LBB839_968:                            ;   in Loop: Header=BB839_908 Depth=2
	v_lshlrev_b32_e32 v3, 3, v84
	global_load_dwordx2 v[23:24], v3, s[16:17]
	s_or_b32 exec_lo, exec_lo, s18
	s_mov_b32 s18, exec_lo
	v_cmpx_gt_u32_e64 s5, v85
	s_cbranch_execz .LBB839_920
.LBB839_969:                            ;   in Loop: Header=BB839_908 Depth=2
	v_lshlrev_b32_e32 v3, 3, v85
	global_load_dwordx2 v[21:22], v3, s[16:17]
	s_or_b32 exec_lo, exec_lo, s18
	s_mov_b32 s18, exec_lo
	v_cmpx_gt_u32_e64 s5, v86
	s_cbranch_execz .LBB839_921
.LBB839_970:                            ;   in Loop: Header=BB839_908 Depth=2
	v_lshlrev_b32_e32 v3, 3, v86
	global_load_dwordx2 v[19:20], v3, s[16:17]
	s_or_b32 exec_lo, exec_lo, s18
	s_mov_b32 s18, exec_lo
	v_cmpx_gt_u32_e64 s5, v87
	s_cbranch_execz .LBB839_922
.LBB839_971:                            ;   in Loop: Header=BB839_908 Depth=2
	v_lshlrev_b32_e32 v3, 3, v87
	global_load_dwordx2 v[17:18], v3, s[16:17]
	s_or_b32 exec_lo, exec_lo, s18
	s_mov_b32 s18, exec_lo
	v_cmpx_gt_u32_e64 s5, v88
	s_cbranch_execz .LBB839_923
.LBB839_972:                            ;   in Loop: Header=BB839_908 Depth=2
	v_lshlrev_b32_e32 v3, 3, v88
	global_load_dwordx2 v[15:16], v3, s[16:17]
	s_or_b32 exec_lo, exec_lo, s18
	s_mov_b32 s18, exec_lo
	v_cmpx_gt_u32_e64 s5, v89
	s_cbranch_execz .LBB839_924
.LBB839_973:                            ;   in Loop: Header=BB839_908 Depth=2
	v_lshlrev_b32_e32 v3, 3, v89
	global_load_dwordx2 v[13:14], v3, s[16:17]
	s_or_b32 exec_lo, exec_lo, s18
	s_mov_b32 s18, exec_lo
	v_cmpx_gt_u32_e64 s5, v90
	s_cbranch_execz .LBB839_925
.LBB839_974:                            ;   in Loop: Header=BB839_908 Depth=2
	v_lshlrev_b32_e32 v3, 3, v90
	global_load_dwordx2 v[11:12], v3, s[16:17]
	s_or_b32 exec_lo, exec_lo, s18
	s_mov_b32 s18, exec_lo
	v_cmpx_gt_u32_e64 s5, v91
	s_cbranch_execz .LBB839_926
.LBB839_975:                            ;   in Loop: Header=BB839_908 Depth=2
	v_lshlrev_b32_e32 v3, 3, v91
	global_load_dwordx2 v[9:10], v3, s[16:17]
	s_or_b32 exec_lo, exec_lo, s18
	s_mov_b32 s18, exec_lo
	v_cmpx_gt_u32_e64 s5, v92
	s_cbranch_execnz .LBB839_927
	s_branch .LBB839_928
.LBB839_976:                            ;   in Loop: Header=BB839_20 Depth=1
	v_mov_b32_e32 v3, 0
	s_waitcnt lgkmcnt(0)
	s_barrier
	buffer_gl0_inv
	s_and_saveexec_b32 s5, s8
	s_cbranch_execz .LBB839_978
; %bb.977:                              ;   in Loop: Header=BB839_20 Depth=1
	ds_read2_b64 v[7:10], v95 offset1:1
	s_waitcnt lgkmcnt(0)
	v_add_nc_u32_e32 v3, v8, v7
	v_add3_u32 v3, v3, v9, v10
.LBB839_978:                            ;   in Loop: Header=BB839_20 Depth=1
	s_or_b32 exec_lo, exec_lo, s5
	v_and_b32_e32 v7, 15, v128
	v_mov_b32_dpp v8, v3 row_shr:1 row_mask:0xf bank_mask:0xf
	v_and_b32_e32 v9, 16, v128
	v_cmp_eq_u32_e64 s5, 0, v7
	v_cmp_lt_u32_e64 s15, 1, v7
	v_cmp_lt_u32_e64 s16, 3, v7
	;; [unrolled: 1-line block ×3, first 2 shown]
	v_cmp_eq_u32_e64 s18, 0, v9
	v_cndmask_b32_e64 v8, v8, 0, s5
	v_add_nc_u32_e32 v3, v8, v3
	v_mov_b32_dpp v8, v3 row_shr:2 row_mask:0xf bank_mask:0xf
	v_cndmask_b32_e64 v8, 0, v8, s15
	v_add_nc_u32_e32 v3, v3, v8
	v_mov_b32_dpp v8, v3 row_shr:4 row_mask:0xf bank_mask:0xf
	;; [unrolled: 3-line block ×3, first 2 shown]
	v_cndmask_b32_e64 v7, 0, v8, s17
	v_bfe_i32 v8, v128, 4, 1
	v_add_nc_u32_e32 v3, v3, v7
	ds_swizzle_b32 v7, v3 offset:swizzle(BROADCAST,32,15)
	s_waitcnt lgkmcnt(0)
	v_and_b32_e32 v7, v8, v7
	v_add_nc_u32_e32 v3, v3, v7
	s_and_saveexec_b32 s19, s9
; %bb.979:                              ;   in Loop: Header=BB839_20 Depth=1
	ds_write_b32 v96, v3
; %bb.980:                              ;   in Loop: Header=BB839_20 Depth=1
	s_or_b32 exec_lo, exec_lo, s19
	s_waitcnt lgkmcnt(0)
	s_barrier
	buffer_gl0_inv
	s_and_saveexec_b32 s19, s10
	s_cbranch_execz .LBB839_982
; %bb.981:                              ;   in Loop: Header=BB839_20 Depth=1
	ds_read_b32 v7, v97
	v_and_b32_e32 v8, 3, v128
	v_cmp_ne_u32_e32 vcc_lo, 0, v8
	s_waitcnt lgkmcnt(0)
	v_mov_b32_dpp v9, v7 row_shr:1 row_mask:0xf bank_mask:0xf
	v_cndmask_b32_e32 v9, 0, v9, vcc_lo
	v_cmp_lt_u32_e32 vcc_lo, 1, v8
	v_add_nc_u32_e32 v7, v9, v7
	v_mov_b32_dpp v9, v7 row_shr:2 row_mask:0xf bank_mask:0xf
	v_cndmask_b32_e32 v8, 0, v9, vcc_lo
	v_add_nc_u32_e32 v7, v7, v8
	ds_write_b32 v97, v7
.LBB839_982:                            ;   in Loop: Header=BB839_20 Depth=1
	s_or_b32 exec_lo, exec_lo, s19
	v_mov_b32_e32 v7, 0
	s_waitcnt lgkmcnt(0)
	s_barrier
	buffer_gl0_inv
	s_and_saveexec_b32 s19, s11
; %bb.983:                              ;   in Loop: Header=BB839_20 Depth=1
	ds_read_b32 v7, v98
; %bb.984:                              ;   in Loop: Header=BB839_20 Depth=1
	s_or_b32 exec_lo, exec_lo, s19
	v_sub_co_u32 v8, s19, v128, 1
	s_waitcnt lgkmcnt(0)
	v_add_nc_u32_e32 v3, v7, v3
	s_barrier
	v_cmp_gt_i32_e32 vcc_lo, 0, v8
	buffer_gl0_inv
	v_cndmask_b32_e32 v8, v8, v128, vcc_lo
	v_lshlrev_b32_e32 v129, 2, v8
	ds_bpermute_b32 v3, v129, v3
	s_and_saveexec_b32 s20, s8
	s_cbranch_execz .LBB839_986
; %bb.985:                              ;   in Loop: Header=BB839_20 Depth=1
	s_waitcnt lgkmcnt(0)
	v_cndmask_b32_e64 v3, v3, v7, s19
	v_add_nc_u32_e32 v3, s60, v3
	ds_write_b32 v75, v3
.LBB839_986:                            ;   in Loop: Header=BB839_20 Depth=1
	s_or_b32 exec_lo, exec_lo, s20
	s_load_dwordx2 s[20:21], s[58:59], 0x0
	v_and_b32_e32 v8, 7, v128
	v_lshlrev_b32_e32 v9, 3, v128
	v_or_b32_e32 v130, v128, v99
	s_mov_b32 s63, s62
	s_mov_b32 s56, s60
                                        ; implicit-def: $vgpr11_vgpr12
                                        ; implicit-def: $vgpr13_vgpr14
                                        ; implicit-def: $vgpr15_vgpr16
                                        ; implicit-def: $vgpr19_vgpr20
                                        ; implicit-def: $vgpr23_vgpr24
                                        ; implicit-def: $vgpr27_vgpr28
                                        ; implicit-def: $vgpr17_vgpr18
                                        ; implicit-def: $vgpr21_vgpr22
                                        ; implicit-def: $vgpr25_vgpr26
                                        ; implicit-def: $vgpr29_vgpr30
                                        ; implicit-def: $vgpr31_vgpr32
                                        ; implicit-def: $vgpr33_vgpr34
                                        ; implicit-def: $vgpr35_vgpr36
                                        ; implicit-def: $vgpr37_vgpr38
                                        ; implicit-def: $vgpr151
                                        ; implicit-def: $vgpr152
                                        ; implicit-def: $vgpr153
                                        ; implicit-def: $vgpr154
                                        ; implicit-def: $vgpr155
                                        ; implicit-def: $vgpr156
                                        ; implicit-def: $vgpr157
                                        ; implicit-def: $vgpr158
                                        ; implicit-def: $vgpr159
                                        ; implicit-def: $vgpr160
                                        ; implicit-def: $vgpr161
                                        ; implicit-def: $vgpr162
                                        ; implicit-def: $vgpr163
                                        ; implicit-def: $vgpr164
                                        ; implicit-def: $vgpr166
                                        ; implicit-def: $vgpr167
                                        ; implicit-def: $vgpr165
                                        ; implicit-def: $vgpr168
	v_add_co_u32 v131, vcc_lo, v117, v9
	v_add_co_ci_u32_e64 v132, null, 0, v118, vcc_lo
	v_add_co_u32 v148, vcc_lo, v119, v9
	v_or_b32_e32 v133, 32, v130
	v_or_b32_e32 v134, 64, v130
	;; [unrolled: 1-line block ×7, first 2 shown]
	s_waitcnt lgkmcnt(0)
	s_cmp_lt_u32 s7, s21
	v_or_b32_e32 v140, 0x100, v130
	s_cselect_b32 s21, 14, 20
	v_or_b32_e32 v141, 0x120, v130
	s_add_u32 s22, s58, s21
	s_addc_u32 s23, s59, 0
	s_cmp_lt_u32 s6, s20
	global_load_ushort v3, v4, s[22:23]
	s_cselect_b32 s20, 12, 18
	v_or_b32_e32 v142, 0x140, v130
	s_add_u32 s20, s58, s20
	s_addc_u32 s21, s59, 0
	v_or_b32_e32 v143, 0x160, v130
	global_load_ushort v7, v4, s[20:21]
	v_cmp_eq_u32_e64 s20, 0, v8
	v_cmp_lt_u32_e64 s21, 1, v8
	v_cmp_lt_u32_e64 s22, 3, v8
	v_or_b32_e32 v144, 0x180, v130
	v_or_b32_e32 v145, 0x1a0, v130
	;; [unrolled: 1-line block ×4, first 2 shown]
	v_add_co_ci_u32_e64 v149, null, 0, v120, vcc_lo
                                        ; implicit-def: $vgpr9_vgpr10
	s_waitcnt vmcnt(1)
	v_mad_u32_u24 v3, v2, v3, v1
	s_waitcnt vmcnt(0)
	v_mad_u64_u32 v[7:8], null, v3, v7, v[0:1]
	v_lshrrev_b32_e32 v3, 3, v7
                                        ; implicit-def: $vgpr7_vgpr8
	v_and_b32_e32 v150, 0x1ffffffc, v3
	s_branch .LBB839_988
.LBB839_987:                            ;   in Loop: Header=BB839_988 Depth=2
	s_or_b32 exec_lo, exec_lo, s23
	s_addk_i32 s63, 0xf000
	s_cmp_lt_u32 s64, s61
	s_mov_b32 s56, s64
	s_cbranch_scc0 .LBB839_18
.LBB839_988:                            ;   Parent Loop BB839_20 Depth=1
                                        ; =>  This Inner Loop Header: Depth=2
	s_add_i32 s64, s56, 0x1000
	s_cmp_gt_u32 s64, s61
	s_cbranch_scc1 .LBB839_990
; %bb.989:                              ;   in Loop: Header=BB839_988 Depth=2
	s_lshl_b64 s[24:25], s[56:57], 3
	s_mov_b32 s23, -1
	v_add_co_u32 v53, vcc_lo, v148, s24
	v_add_co_ci_u32_e64 v54, null, s25, v149, vcc_lo
	v_add_co_u32 v67, vcc_lo, 0x800, v53
	v_add_co_ci_u32_e64 v68, null, 0, v54, vcc_lo
	s_clause 0xe
	global_load_dwordx2 v[41:42], v[53:54], off
	global_load_dwordx2 v[39:40], v[53:54], off offset:256
	global_load_dwordx2 v[43:44], v[53:54], off offset:512
	;; [unrolled: 1-line block ×7, first 2 shown]
	global_load_dwordx2 v[55:56], v[67:68], off
	global_load_dwordx2 v[57:58], v[67:68], off offset:256
	global_load_dwordx2 v[61:62], v[67:68], off offset:512
	;; [unrolled: 1-line block ×6, first 2 shown]
	s_movk_i32 s24, 0x1000
	s_cbranch_execz .LBB839_991
	s_branch .LBB839_1022
.LBB839_990:                            ;   in Loop: Header=BB839_988 Depth=2
	s_mov_b32 s23, 0
                                        ; implicit-def: $vgpr41_vgpr42
                                        ; implicit-def: $vgpr39_vgpr40
                                        ; implicit-def: $vgpr43_vgpr44
                                        ; implicit-def: $vgpr45_vgpr46
                                        ; implicit-def: $vgpr47_vgpr48
                                        ; implicit-def: $vgpr51_vgpr52
                                        ; implicit-def: $vgpr49_vgpr50
                                        ; implicit-def: $vgpr53_vgpr54
                                        ; implicit-def: $vgpr55_vgpr56
                                        ; implicit-def: $vgpr57_vgpr58
                                        ; implicit-def: $vgpr61_vgpr62
                                        ; implicit-def: $vgpr59_vgpr60
                                        ; implicit-def: $vgpr63_vgpr64
                                        ; implicit-def: $vgpr65_vgpr66
                                        ; implicit-def: $vgpr67_vgpr68
	s_movk_i32 s24, 0x1000
.LBB839_991:                            ;   in Loop: Header=BB839_988 Depth=2
	s_waitcnt vmcnt(13)
	v_mov_b32_e32 v40, v6
	v_mov_b32_e32 v39, v5
	s_lshl_b64 s[24:25], s[56:57], 3
	s_mov_b32 s23, exec_lo
	v_add_co_u32 v69, vcc_lo, v148, s24
	v_mov_b32_e32 v42, v40
	v_add_co_ci_u32_e64 v70, null, s25, v149, vcc_lo
	v_mov_b32_e32 v41, v39
	v_cmpx_gt_u32_e64 s63, v130
	s_cbranch_execz .LBB839_993
; %bb.992:                              ;   in Loop: Header=BB839_988 Depth=2
	global_load_dwordx2 v[41:42], v[69:70], off
.LBB839_993:                            ;   in Loop: Header=BB839_988 Depth=2
	s_or_b32 exec_lo, exec_lo, s23
	s_mov_b32 s23, exec_lo
	v_cmpx_gt_u32_e64 s63, v133
	s_cbranch_execz .LBB839_995
; %bb.994:                              ;   in Loop: Header=BB839_988 Depth=2
	global_load_dwordx2 v[39:40], v[69:70], off offset:256
.LBB839_995:                            ;   in Loop: Header=BB839_988 Depth=2
	s_or_b32 exec_lo, exec_lo, s23
	s_waitcnt vmcnt(12)
	v_mov_b32_e32 v44, v6
	v_mov_b32_e32 v43, v5
	s_mov_b32 s23, exec_lo
	v_cmpx_gt_u32_e64 s63, v134
	s_cbranch_execz .LBB839_997
; %bb.996:                              ;   in Loop: Header=BB839_988 Depth=2
	global_load_dwordx2 v[43:44], v[69:70], off offset:512
.LBB839_997:                            ;   in Loop: Header=BB839_988 Depth=2
	s_or_b32 exec_lo, exec_lo, s23
	s_waitcnt vmcnt(11)
	v_mov_b32_e32 v46, v6
	v_mov_b32_e32 v45, v5
	;; [unrolled: 10-line block ×3, first 2 shown]
	s_mov_b32 s23, exec_lo
	v_cmpx_gt_u32_e64 s63, v136
	s_cbranch_execz .LBB839_1001
; %bb.1000:                             ;   in Loop: Header=BB839_988 Depth=2
	global_load_dwordx2 v[47:48], v[69:70], off offset:1024
.LBB839_1001:                           ;   in Loop: Header=BB839_988 Depth=2
	s_or_b32 exec_lo, exec_lo, s23
	s_waitcnt vmcnt(9)
	v_mov_b32_e32 v52, v6
	v_mov_b32_e32 v51, v5
	s_mov_b32 s23, exec_lo
	v_cmpx_gt_u32_e64 s63, v137
	s_cbranch_execz .LBB839_1003
; %bb.1002:                             ;   in Loop: Header=BB839_988 Depth=2
	global_load_dwordx2 v[51:52], v[69:70], off offset:1280
.LBB839_1003:                           ;   in Loop: Header=BB839_988 Depth=2
	s_or_b32 exec_lo, exec_lo, s23
	s_waitcnt vmcnt(8)
	v_mov_b32_e32 v50, v6
	v_mov_b32_e32 v49, v5
	;; [unrolled: 10-line block ×4, first 2 shown]
	s_mov_b32 s23, exec_lo
	v_cmpx_gt_u32_e64 s63, v140
	s_cbranch_execz .LBB839_1009
; %bb.1008:                             ;   in Loop: Header=BB839_988 Depth=2
	v_add_co_u32 v55, vcc_lo, 0x800, v69
	v_add_co_ci_u32_e64 v56, null, 0, v70, vcc_lo
	global_load_dwordx2 v[55:56], v[55:56], off
.LBB839_1009:                           ;   in Loop: Header=BB839_988 Depth=2
	s_or_b32 exec_lo, exec_lo, s23
	s_waitcnt vmcnt(5)
	v_mov_b32_e32 v58, v6
	v_mov_b32_e32 v57, v5
	s_mov_b32 s23, exec_lo
	v_cmpx_gt_u32_e64 s63, v141
	s_cbranch_execz .LBB839_1011
; %bb.1010:                             ;   in Loop: Header=BB839_988 Depth=2
	v_add_co_u32 v57, vcc_lo, 0x800, v69
	v_add_co_ci_u32_e64 v58, null, 0, v70, vcc_lo
	global_load_dwordx2 v[57:58], v[57:58], off offset:256
.LBB839_1011:                           ;   in Loop: Header=BB839_988 Depth=2
	s_or_b32 exec_lo, exec_lo, s23
	s_waitcnt vmcnt(4)
	v_mov_b32_e32 v62, v6
	v_mov_b32_e32 v61, v5
	s_mov_b32 s23, exec_lo
	v_cmpx_gt_u32_e64 s63, v142
	s_cbranch_execz .LBB839_1013
; %bb.1012:                             ;   in Loop: Header=BB839_988 Depth=2
	s_waitcnt vmcnt(3)
	v_add_co_u32 v59, vcc_lo, 0x800, v69
	v_add_co_ci_u32_e64 v60, null, 0, v70, vcc_lo
	global_load_dwordx2 v[61:62], v[59:60], off offset:512
.LBB839_1013:                           ;   in Loop: Header=BB839_988 Depth=2
	s_or_b32 exec_lo, exec_lo, s23
	s_waitcnt vmcnt(3)
	v_mov_b32_e32 v60, v6
	v_mov_b32_e32 v59, v5
	s_mov_b32 s23, exec_lo
	v_cmpx_gt_u32_e64 s63, v143
	s_cbranch_execz .LBB839_1015
; %bb.1014:                             ;   in Loop: Header=BB839_988 Depth=2
	v_add_co_u32 v59, vcc_lo, 0x800, v69
	v_add_co_ci_u32_e64 v60, null, 0, v70, vcc_lo
	global_load_dwordx2 v[59:60], v[59:60], off offset:768
.LBB839_1015:                           ;   in Loop: Header=BB839_988 Depth=2
	s_or_b32 exec_lo, exec_lo, s23
	s_waitcnt vmcnt(2)
	v_mov_b32_e32 v64, v6
	v_mov_b32_e32 v63, v5
	s_mov_b32 s23, exec_lo
	v_cmpx_gt_u32_e64 s63, v144
	s_cbranch_execz .LBB839_1017
; %bb.1016:                             ;   in Loop: Header=BB839_988 Depth=2
	v_add_co_u32 v63, vcc_lo, 0x800, v69
	v_add_co_ci_u32_e64 v64, null, 0, v70, vcc_lo
	global_load_dwordx2 v[63:64], v[63:64], off offset:1024
.LBB839_1017:                           ;   in Loop: Header=BB839_988 Depth=2
	;; [unrolled: 12-line block ×4, first 2 shown]
	s_or_b32 exec_lo, exec_lo, s23
	v_cmp_gt_u32_e64 s23, s63, v147
	s_sub_i32 s24, s61, s56
.LBB839_1022:                           ;   in Loop: Header=BB839_988 Depth=2
	v_mov_b32_e32 v69, -1
	v_mov_b32_e32 v70, -1
	v_mov_b32_e32 v169, s63
	s_and_saveexec_b32 s25, s23
	s_cbranch_execz .LBB839_1024
; %bb.1023:                             ;   in Loop: Header=BB839_988 Depth=2
	s_lshl_b64 s[26:27], s[56:57], 3
	v_mov_b32_e32 v169, s24
	v_add_co_u32 v3, vcc_lo, v148, s26
	v_add_co_ci_u32_e64 v70, null, s27, v149, vcc_lo
	v_add_co_u32 v69, vcc_lo, 0x800, v3
	v_add_co_ci_u32_e64 v70, null, 0, v70, vcc_lo
	global_load_dwordx2 v[69:70], v[69:70], off offset:1792
	s_waitcnt vmcnt(0)
	v_xor_b32_e32 v70, 0x80000000, v70
.LBB839_1024:                           ;   in Loop: Header=BB839_988 Depth=2
	s_or_b32 exec_lo, exec_lo, s25
	s_waitcnt vmcnt(14)
	v_xor_b32_e32 v42, 0x80000000, v42
	ds_write2_b32 v100, v4, v4 offset0:136 offset1:137
	ds_write2_b32 v100, v4, v4 offset0:138 offset1:139
	ds_write_b32 v100, v4 offset:560
	s_waitcnt vmcnt(0) lgkmcnt(0)
	s_barrier
	v_lshrrev_b64 v[71:72], s46, v[41:42]
	buffer_gl0_inv
	; wave barrier
	v_and_b32_e32 v72, s52, v71
	v_and_b32_e32 v3, 1, v72
	v_lshlrev_b32_e32 v71, 30, v72
	v_lshlrev_b32_e32 v73, 29, v72
	;; [unrolled: 1-line block ×4, first 2 shown]
	v_add_co_u32 v3, s23, v3, -1
	v_cndmask_b32_e64 v74, 0, 1, s23
	v_not_b32_e32 v173, v71
	v_cmp_gt_i32_e64 s23, 0, v71
	v_not_b32_e32 v71, v73
	v_lshlrev_b32_e32 v172, 26, v72
	v_cmp_ne_u32_e32 vcc_lo, 0, v74
	v_ashrrev_i32_e32 v173, 31, v173
	v_lshlrev_b32_e32 v74, 25, v72
	v_ashrrev_i32_e32 v71, 31, v71
	v_mul_u32_u24_e32 v72, 36, v72
	v_xor_b32_e32 v3, vcc_lo, v3
	v_cmp_gt_i32_e32 vcc_lo, 0, v73
	v_not_b32_e32 v73, v170
	v_xor_b32_e32 v173, s23, v173
	v_cmp_gt_i32_e64 s23, 0, v170
	v_and_b32_e32 v3, exec_lo, v3
	v_not_b32_e32 v170, v171
	v_ashrrev_i32_e32 v73, 31, v73
	v_xor_b32_e32 v71, vcc_lo, v71
	v_cmp_gt_i32_e32 vcc_lo, 0, v171
	v_and_b32_e32 v3, v3, v173
	v_not_b32_e32 v171, v172
	v_ashrrev_i32_e32 v170, 31, v170
	v_xor_b32_e32 v73, s23, v73
	v_cmp_gt_i32_e64 s23, 0, v172
	v_and_b32_e32 v3, v3, v71
	v_not_b32_e32 v71, v74
	v_ashrrev_i32_e32 v171, 31, v171
	v_xor_b32_e32 v170, vcc_lo, v170
	v_cmp_gt_i32_e32 vcc_lo, 0, v74
	v_and_b32_e32 v3, v3, v73
	v_ashrrev_i32_e32 v71, 31, v71
	v_xor_b32_e32 v73, s23, v171
	v_and_b32_e32 v3, v3, v170
	v_xor_b32_e32 v71, vcc_lo, v71
	v_add_nc_u32_e32 v170, v150, v72
	v_and_b32_e32 v3, v3, v73
	v_and_b32_e32 v71, v3, v71
	v_mbcnt_lo_u32_b32 v3, v71, 0
	v_cmp_ne_u32_e64 s23, 0, v71
	v_cmp_eq_u32_e32 vcc_lo, 0, v3
	s_and_b32 s24, s23, vcc_lo
	s_and_saveexec_b32 s23, s24
; %bb.1025:                             ;   in Loop: Header=BB839_988 Depth=2
	v_bcnt_u32_b32 v71, v71, 0
	ds_write_b32 v170, v71 offset:544
; %bb.1026:                             ;   in Loop: Header=BB839_988 Depth=2
	s_or_b32 exec_lo, exec_lo, s23
	v_xor_b32_e32 v40, 0x80000000, v40
	; wave barrier
	v_lshrrev_b64 v[71:72], s46, v[39:40]
	v_and_b32_e32 v72, s52, v71
	v_and_b32_e32 v71, 1, v72
	v_lshlrev_b32_e32 v73, 30, v72
	v_lshlrev_b32_e32 v74, 29, v72
	v_lshlrev_b32_e32 v172, 28, v72
	v_lshlrev_b32_e32 v173, 27, v72
	v_add_co_u32 v71, s23, v71, -1
	v_cndmask_b32_e64 v171, 0, 1, s23
	v_not_b32_e32 v175, v73
	v_cmp_gt_i32_e64 s23, 0, v73
	v_not_b32_e32 v73, v74
	v_lshlrev_b32_e32 v174, 26, v72
	v_cmp_ne_u32_e32 vcc_lo, 0, v171
	v_ashrrev_i32_e32 v175, 31, v175
	v_lshlrev_b32_e32 v171, 25, v72
	v_ashrrev_i32_e32 v73, 31, v73
	v_xor_b32_e32 v71, vcc_lo, v71
	v_cmp_gt_i32_e32 vcc_lo, 0, v74
	v_not_b32_e32 v74, v172
	v_xor_b32_e32 v175, s23, v175
	v_cmp_gt_i32_e64 s23, 0, v172
	v_and_b32_e32 v71, exec_lo, v71
	v_not_b32_e32 v172, v173
	v_ashrrev_i32_e32 v74, 31, v74
	v_xor_b32_e32 v73, vcc_lo, v73
	v_cmp_gt_i32_e32 vcc_lo, 0, v173
	v_and_b32_e32 v71, v71, v175
	v_not_b32_e32 v173, v174
	v_ashrrev_i32_e32 v172, 31, v172
	v_xor_b32_e32 v74, s23, v74
	v_cmp_gt_i32_e64 s23, 0, v174
	v_and_b32_e32 v71, v71, v73
	v_not_b32_e32 v73, v171
	v_ashrrev_i32_e32 v173, 31, v173
	v_xor_b32_e32 v172, vcc_lo, v172
	v_cmp_gt_i32_e32 vcc_lo, 0, v171
	v_and_b32_e32 v71, v71, v74
	v_ashrrev_i32_e32 v73, 31, v73
	v_xor_b32_e32 v74, s23, v173
	v_mad_u32_u24 v171, v72, 36, v150
	v_mul_u32_u24_e32 v72, 36, v72
	v_and_b32_e32 v71, v71, v172
	v_xor_b32_e32 v73, vcc_lo, v73
	ds_read_b32 v171, v171 offset:544
	v_add_nc_u32_e32 v173, v150, v72
	v_and_b32_e32 v71, v71, v74
	; wave barrier
	v_and_b32_e32 v71, v71, v73
	v_mbcnt_lo_u32_b32 v172, v71, 0
	v_cmp_ne_u32_e64 s23, 0, v71
	v_cmp_eq_u32_e32 vcc_lo, 0, v172
	s_and_b32 s24, s23, vcc_lo
	s_and_saveexec_b32 s23, s24
	s_cbranch_execz .LBB839_1028
; %bb.1027:                             ;   in Loop: Header=BB839_988 Depth=2
	s_waitcnt lgkmcnt(0)
	v_bcnt_u32_b32 v71, v71, v171
	ds_write_b32 v173, v71 offset:544
.LBB839_1028:                           ;   in Loop: Header=BB839_988 Depth=2
	s_or_b32 exec_lo, exec_lo, s23
	v_xor_b32_e32 v44, 0x80000000, v44
	; wave barrier
	v_lshrrev_b64 v[71:72], s46, v[43:44]
	v_and_b32_e32 v72, s52, v71
	v_and_b32_e32 v71, 1, v72
	v_lshlrev_b32_e32 v73, 30, v72
	v_lshlrev_b32_e32 v74, 29, v72
	v_lshlrev_b32_e32 v175, 28, v72
	v_lshlrev_b32_e32 v176, 27, v72
	v_add_co_u32 v71, s23, v71, -1
	v_cndmask_b32_e64 v174, 0, 1, s23
	v_not_b32_e32 v178, v73
	v_cmp_gt_i32_e64 s23, 0, v73
	v_not_b32_e32 v73, v74
	v_lshlrev_b32_e32 v177, 26, v72
	v_cmp_ne_u32_e32 vcc_lo, 0, v174
	v_ashrrev_i32_e32 v178, 31, v178
	v_lshlrev_b32_e32 v174, 25, v72
	v_ashrrev_i32_e32 v73, 31, v73
	v_xor_b32_e32 v71, vcc_lo, v71
	v_cmp_gt_i32_e32 vcc_lo, 0, v74
	v_not_b32_e32 v74, v175
	v_xor_b32_e32 v178, s23, v178
	v_cmp_gt_i32_e64 s23, 0, v175
	v_and_b32_e32 v71, exec_lo, v71
	v_not_b32_e32 v175, v176
	v_ashrrev_i32_e32 v74, 31, v74
	v_xor_b32_e32 v73, vcc_lo, v73
	v_cmp_gt_i32_e32 vcc_lo, 0, v176
	v_and_b32_e32 v71, v71, v178
	v_not_b32_e32 v176, v177
	v_ashrrev_i32_e32 v175, 31, v175
	v_xor_b32_e32 v74, s23, v74
	v_cmp_gt_i32_e64 s23, 0, v177
	v_and_b32_e32 v71, v71, v73
	v_not_b32_e32 v73, v174
	v_ashrrev_i32_e32 v176, 31, v176
	v_xor_b32_e32 v175, vcc_lo, v175
	v_cmp_gt_i32_e32 vcc_lo, 0, v174
	v_and_b32_e32 v71, v71, v74
	v_ashrrev_i32_e32 v73, 31, v73
	v_xor_b32_e32 v74, s23, v176
	v_mad_u32_u24 v174, v72, 36, v150
	v_mul_u32_u24_e32 v72, 36, v72
	v_and_b32_e32 v71, v71, v175
	v_xor_b32_e32 v73, vcc_lo, v73
	ds_read_b32 v174, v174 offset:544
	v_add_nc_u32_e32 v176, v150, v72
	v_and_b32_e32 v71, v71, v74
	; wave barrier
	v_and_b32_e32 v71, v71, v73
	v_mbcnt_lo_u32_b32 v175, v71, 0
	v_cmp_ne_u32_e64 s23, 0, v71
	v_cmp_eq_u32_e32 vcc_lo, 0, v175
	s_and_b32 s24, s23, vcc_lo
	s_and_saveexec_b32 s23, s24
	s_cbranch_execz .LBB839_1030
; %bb.1029:                             ;   in Loop: Header=BB839_988 Depth=2
	s_waitcnt lgkmcnt(0)
	v_bcnt_u32_b32 v71, v71, v174
	ds_write_b32 v176, v71 offset:544
.LBB839_1030:                           ;   in Loop: Header=BB839_988 Depth=2
	;; [unrolled: 63-line block ×14, first 2 shown]
	s_or_b32 exec_lo, exec_lo, s23
	v_lshrrev_b64 v[71:72], s46, v[69:70]
	; wave barrier
	v_and_b32_e32 v72, s52, v71
	v_and_b32_e32 v71, 1, v72
	v_lshlrev_b32_e32 v73, 30, v72
	v_lshlrev_b32_e32 v74, 29, v72
	;; [unrolled: 1-line block ×4, first 2 shown]
	v_add_co_u32 v71, s23, v71, -1
	v_cndmask_b32_e64 v212, 0, 1, s23
	v_not_b32_e32 v217, v73
	v_cmp_gt_i32_e64 s23, 0, v73
	v_not_b32_e32 v73, v74
	v_lshlrev_b32_e32 v216, 26, v72
	v_cmp_ne_u32_e32 vcc_lo, 0, v212
	v_ashrrev_i32_e32 v217, 31, v217
	v_lshlrev_b32_e32 v212, 25, v72
	v_ashrrev_i32_e32 v73, 31, v73
	v_xor_b32_e32 v71, vcc_lo, v71
	v_cmp_gt_i32_e32 vcc_lo, 0, v74
	v_not_b32_e32 v74, v213
	v_xor_b32_e32 v217, s23, v217
	v_cmp_gt_i32_e64 s23, 0, v213
	v_and_b32_e32 v71, exec_lo, v71
	v_not_b32_e32 v213, v215
	v_ashrrev_i32_e32 v74, 31, v74
	v_xor_b32_e32 v73, vcc_lo, v73
	v_cmp_gt_i32_e32 vcc_lo, 0, v215
	v_and_b32_e32 v71, v71, v217
	v_not_b32_e32 v215, v216
	v_ashrrev_i32_e32 v213, 31, v213
	v_xor_b32_e32 v74, s23, v74
	v_cmp_gt_i32_e64 s23, 0, v216
	v_and_b32_e32 v71, v71, v73
	v_not_b32_e32 v73, v212
	v_ashrrev_i32_e32 v215, 31, v215
	v_xor_b32_e32 v213, vcc_lo, v213
	v_cmp_gt_i32_e32 vcc_lo, 0, v212
	v_and_b32_e32 v71, v71, v74
	v_ashrrev_i32_e32 v73, 31, v73
	v_xor_b32_e32 v74, s23, v215
	v_mad_u32_u24 v212, v72, 36, v150
	v_mul_u32_u24_e32 v72, 36, v72
	v_and_b32_e32 v71, v71, v213
	v_xor_b32_e32 v73, vcc_lo, v73
	ds_read_b32 v212, v212 offset:544
	v_add_nc_u32_e32 v215, v150, v72
	v_and_b32_e32 v71, v71, v74
	; wave barrier
	v_and_b32_e32 v71, v71, v73
	v_mbcnt_lo_u32_b32 v213, v71, 0
	v_cmp_ne_u32_e64 s23, 0, v71
	v_cmp_eq_u32_e32 vcc_lo, 0, v213
	s_and_b32 s24, s23, vcc_lo
	s_and_saveexec_b32 s23, s24
	s_cbranch_execz .LBB839_1056
; %bb.1055:                             ;   in Loop: Header=BB839_988 Depth=2
	s_waitcnt lgkmcnt(0)
	v_bcnt_u32_b32 v71, v71, v212
	ds_write_b32 v215, v71 offset:544
.LBB839_1056:                           ;   in Loop: Header=BB839_988 Depth=2
	s_or_b32 exec_lo, exec_lo, s23
	; wave barrier
	s_waitcnt lgkmcnt(0)
	s_barrier
	buffer_gl0_inv
	ds_read2_b32 v[73:74], v100 offset0:136 offset1:137
	ds_read2_b32 v[71:72], v100 offset0:138 offset1:139
	ds_read_b32 v216, v100 offset:560
	s_waitcnt lgkmcnt(1)
	v_add3_u32 v217, v74, v73, v71
	s_waitcnt lgkmcnt(0)
	v_add3_u32 v216, v217, v72, v216
	v_mov_b32_dpp v217, v216 row_shr:1 row_mask:0xf bank_mask:0xf
	v_cndmask_b32_e64 v217, v217, 0, s5
	v_add_nc_u32_e32 v216, v217, v216
	v_mov_b32_dpp v217, v216 row_shr:2 row_mask:0xf bank_mask:0xf
	v_cndmask_b32_e64 v217, 0, v217, s15
	v_add_nc_u32_e32 v216, v216, v217
	;; [unrolled: 3-line block ×4, first 2 shown]
	ds_swizzle_b32 v217, v216 offset:swizzle(BROADCAST,32,15)
	s_waitcnt lgkmcnt(0)
	v_cndmask_b32_e64 v217, v217, 0, s18
	v_add_nc_u32_e32 v216, v216, v217
	s_and_saveexec_b32 s23, s4
; %bb.1057:                             ;   in Loop: Header=BB839_988 Depth=2
	ds_write_b32 v94, v216 offset:512
; %bb.1058:                             ;   in Loop: Header=BB839_988 Depth=2
	s_or_b32 exec_lo, exec_lo, s23
	s_waitcnt lgkmcnt(0)
	s_barrier
	buffer_gl0_inv
	s_and_saveexec_b32 s23, s12
	s_cbranch_execz .LBB839_1060
; %bb.1059:                             ;   in Loop: Header=BB839_988 Depth=2
	ds_read_b32 v217, v101 offset:512
	s_waitcnt lgkmcnt(0)
	v_mov_b32_dpp v218, v217 row_shr:1 row_mask:0xf bank_mask:0xf
	v_cndmask_b32_e64 v218, v218, 0, s20
	v_add_nc_u32_e32 v217, v218, v217
	v_mov_b32_dpp v218, v217 row_shr:2 row_mask:0xf bank_mask:0xf
	v_cndmask_b32_e64 v218, 0, v218, s21
	v_add_nc_u32_e32 v217, v217, v218
	;; [unrolled: 3-line block ×3, first 2 shown]
	ds_write_b32 v101, v217 offset:512
.LBB839_1060:                           ;   in Loop: Header=BB839_988 Depth=2
	s_or_b32 exec_lo, exec_lo, s23
	v_mov_b32_e32 v217, 0
	s_waitcnt lgkmcnt(0)
	s_barrier
	buffer_gl0_inv
	s_and_saveexec_b32 s23, s11
; %bb.1061:                             ;   in Loop: Header=BB839_988 Depth=2
	ds_read_b32 v217, v94 offset:508
; %bb.1062:                             ;   in Loop: Header=BB839_988 Depth=2
	s_or_b32 exec_lo, exec_lo, s23
	s_waitcnt lgkmcnt(0)
	v_add_nc_u32_e32 v216, v217, v216
	ds_bpermute_b32 v216, v129, v216
	s_waitcnt lgkmcnt(0)
	v_cndmask_b32_e64 v216, v216, v217, s19
	v_cndmask_b32_e64 v216, v216, 0, s13
	v_add_nc_u32_e32 v73, v216, v73
	v_add_nc_u32_e32 v74, v73, v74
	;; [unrolled: 1-line block ×4, first 2 shown]
	ds_write2_b32 v100, v216, v73 offset0:136 offset1:137
	ds_write2_b32 v100, v74, v71 offset0:138 offset1:139
	ds_write_b32 v100, v72 offset:560
	s_waitcnt lgkmcnt(0)
	s_barrier
	buffer_gl0_inv
	ds_read_b32 v71, v170 offset:544
	ds_read_b32 v219, v173 offset:544
	;; [unrolled: 1-line block ×16, first 2 shown]
	s_and_saveexec_b32 s23, s8
	s_cbranch_execz .LBB839_1066
; %bb.1063:                             ;   in Loop: Header=BB839_988 Depth=2
	ds_read_b32 v165, v103 offset:544
	v_mov_b32_e32 v168, 0x1000
	s_and_saveexec_b32 s24, s14
; %bb.1064:                             ;   in Loop: Header=BB839_988 Depth=2
	ds_read_b32 v168, v102 offset:544
; %bb.1065:                             ;   in Loop: Header=BB839_988 Depth=2
	s_or_b32 exec_lo, exec_lo, s24
	s_waitcnt lgkmcnt(0)
	v_sub_nc_u32_e32 v168, v168, v165
.LBB839_1066:                           ;   in Loop: Header=BB839_988 Depth=2
	s_or_b32 exec_lo, exec_lo, s23
	s_waitcnt lgkmcnt(0)
	s_barrier
	buffer_gl0_inv
	s_and_saveexec_b32 s23, s8
	s_cbranch_execz .LBB839_1068
; %bb.1067:                             ;   in Loop: Header=BB839_988 Depth=2
	ds_read_b32 v196, v75
	s_waitcnt lgkmcnt(0)
	v_sub_nc_u32_e32 v196, v196, v165
	ds_write_b32 v75, v196
.LBB839_1068:                           ;   in Loop: Header=BB839_988 Depth=2
	s_or_b32 exec_lo, exec_lo, s23
	v_lshlrev_b32_e32 v3, 3, v3
	v_lshlrev_b32_e32 v172, 3, v172
	;; [unrolled: 1-line block ×5, first 2 shown]
	v_lshl_add_u32 v71, v71, 3, v3
	v_lshlrev_b32_e32 v3, 3, v174
	v_lshlrev_b32_e32 v174, 3, v72
	v_add3_u32 v72, v172, v171, v196
	v_lshlrev_b32_e32 v178, 3, v178
	ds_write_b64 v71, v[41:42] offset:512
	v_lshlrev_b32_e32 v42, 3, v177
	v_lshlrev_b32_e32 v171, 3, v218
	;; [unrolled: 1-line block ×8, first 2 shown]
	ds_write_b64 v72, v[39:40] offset:512
	v_add3_u32 v41, v175, v3, v174
	v_lshlrev_b32_e32 v3, 3, v187
	v_lshlrev_b32_e32 v39, 3, v186
	;; [unrolled: 1-line block ×3, first 2 shown]
	v_add3_u32 v42, v178, v42, v171
	v_add3_u32 v73, v172, v177, v74
	;; [unrolled: 1-line block ×3, first 2 shown]
	ds_write_b64 v41, v[43:44] offset:512
	ds_write_b64 v42, v[45:46] offset:512
	;; [unrolled: 1-line block ×4, first 2 shown]
	v_add3_u32 v43, v3, v39, v40
	v_lshlrev_b32_e32 v3, 3, v190
	v_lshlrev_b32_e32 v39, 3, v189
	;; [unrolled: 1-line block ×12, first 2 shown]
	v_add3_u32 v44, v3, v39, v40
	v_lshlrev_b32_e32 v3, 3, v201
	v_lshlrev_b32_e32 v39, 3, v200
	;; [unrolled: 1-line block ×3, first 2 shown]
	v_add3_u32 v45, v45, v46, v47
	v_add3_u32 v46, v48, v51, v52
	;; [unrolled: 1-line block ×3, first 2 shown]
	ds_write_b64 v43, v[49:50] offset:512
	ds_write_b64 v44, v[53:54] offset:512
	;; [unrolled: 1-line block ×5, first 2 shown]
	v_add3_u32 v48, v3, v39, v40
	v_lshlrev_b32_e32 v3, 3, v204
	v_lshlrev_b32_e32 v39, 3, v203
	;; [unrolled: 1-line block ×12, first 2 shown]
	v_add3_u32 v49, v3, v39, v40
	v_add3_u32 v50, v50, v51, v52
	;; [unrolled: 1-line block ×3, first 2 shown]
	v_cmp_lt_u32_e32 vcc_lo, v0, v169
	v_add3_u32 v52, v56, v57, v58
	ds_write_b64 v48, v[59:60] offset:512
	ds_write_b64 v49, v[63:64] offset:512
	;; [unrolled: 1-line block ×5, first 2 shown]
	s_waitcnt lgkmcnt(0)
	s_barrier
	buffer_gl0_inv
	s_and_saveexec_b32 s24, vcc_lo
	s_cbranch_execnz .LBB839_1137
; %bb.1069:                             ;   in Loop: Header=BB839_988 Depth=2
	s_or_b32 exec_lo, exec_lo, s24
	v_cmp_lt_u32_e64 s23, v76, v169
	s_and_saveexec_b32 s25, s23
	s_cbranch_execnz .LBB839_1138
.LBB839_1070:                           ;   in Loop: Header=BB839_988 Depth=2
	s_or_b32 exec_lo, exec_lo, s25
	v_cmp_lt_u32_e64 s24, v79, v169
	s_and_saveexec_b32 s26, s24
	s_cbranch_execnz .LBB839_1139
.LBB839_1071:                           ;   in Loop: Header=BB839_988 Depth=2
	s_or_b32 exec_lo, exec_lo, s26
	v_cmp_lt_u32_e64 s25, v80, v169
	s_and_saveexec_b32 s27, s25
	s_cbranch_execnz .LBB839_1140
.LBB839_1072:                           ;   in Loop: Header=BB839_988 Depth=2
	s_or_b32 exec_lo, exec_lo, s27
	v_cmp_lt_u32_e64 s26, v81, v169
	s_and_saveexec_b32 s28, s26
	s_cbranch_execnz .LBB839_1141
.LBB839_1073:                           ;   in Loop: Header=BB839_988 Depth=2
	s_or_b32 exec_lo, exec_lo, s28
	v_cmp_lt_u32_e64 s27, v82, v169
	s_and_saveexec_b32 s29, s27
	s_cbranch_execnz .LBB839_1142
.LBB839_1074:                           ;   in Loop: Header=BB839_988 Depth=2
	s_or_b32 exec_lo, exec_lo, s29
	v_cmp_lt_u32_e64 s28, v83, v169
	s_and_saveexec_b32 s30, s28
	s_cbranch_execnz .LBB839_1143
.LBB839_1075:                           ;   in Loop: Header=BB839_988 Depth=2
	s_or_b32 exec_lo, exec_lo, s30
	v_cmp_lt_u32_e64 s29, v84, v169
	s_and_saveexec_b32 s31, s29
	s_cbranch_execnz .LBB839_1144
.LBB839_1076:                           ;   in Loop: Header=BB839_988 Depth=2
	s_or_b32 exec_lo, exec_lo, s31
	v_cmp_lt_u32_e64 s30, v85, v169
	s_and_saveexec_b32 s33, s30
	s_cbranch_execnz .LBB839_1145
.LBB839_1077:                           ;   in Loop: Header=BB839_988 Depth=2
	s_or_b32 exec_lo, exec_lo, s33
	v_cmp_lt_u32_e64 s31, v86, v169
	s_and_saveexec_b32 s34, s31
	s_cbranch_execnz .LBB839_1146
.LBB839_1078:                           ;   in Loop: Header=BB839_988 Depth=2
	s_or_b32 exec_lo, exec_lo, s34
	v_cmp_lt_u32_e64 s33, v87, v169
	s_and_saveexec_b32 s35, s33
	s_cbranch_execnz .LBB839_1147
.LBB839_1079:                           ;   in Loop: Header=BB839_988 Depth=2
	s_or_b32 exec_lo, exec_lo, s35
	v_cmp_lt_u32_e64 s34, v88, v169
	s_and_saveexec_b32 s36, s34
	s_cbranch_execnz .LBB839_1148
.LBB839_1080:                           ;   in Loop: Header=BB839_988 Depth=2
	s_or_b32 exec_lo, exec_lo, s36
	v_cmp_lt_u32_e64 s35, v89, v169
	s_and_saveexec_b32 s37, s35
	s_cbranch_execnz .LBB839_1149
.LBB839_1081:                           ;   in Loop: Header=BB839_988 Depth=2
	s_or_b32 exec_lo, exec_lo, s37
	v_cmp_lt_u32_e64 s36, v90, v169
	s_and_saveexec_b32 s38, s36
	s_cbranch_execnz .LBB839_1150
.LBB839_1082:                           ;   in Loop: Header=BB839_988 Depth=2
	s_or_b32 exec_lo, exec_lo, s38
	v_cmp_lt_u32_e64 s37, v91, v169
	s_and_saveexec_b32 s39, s37
	s_cbranch_execnz .LBB839_1151
.LBB839_1083:                           ;   in Loop: Header=BB839_988 Depth=2
	s_or_b32 exec_lo, exec_lo, s39
	v_cmp_lt_u32_e64 s38, v92, v169
	s_and_saveexec_b32 s65, s38
	s_cbranch_execz .LBB839_1085
.LBB839_1084:                           ;   in Loop: Header=BB839_988 Depth=2
	ds_read_b64 v[39:40], v108 offset:31232
	s_waitcnt lgkmcnt(0)
	v_lshrrev_b64 v[53:54], s46, v[39:40]
	v_xor_b32_e32 v40, 0x80000000, v40
	v_and_b32_e32 v3, s52, v53
	v_lshlrev_b32_e32 v3, 2, v3
	ds_read_b32 v3, v3
	s_waitcnt lgkmcnt(0)
	v_add_nc_u32_e32 v3, v3, v92
	v_lshlrev_b64 v[53:54], 3, v[3:4]
	v_add_co_u32 v53, s39, s44, v53
	v_add_co_ci_u32_e64 v54, null, s45, v54, s39
	global_store_dwordx2 v[53:54], v[39:40], off
.LBB839_1085:                           ;   in Loop: Header=BB839_988 Depth=2
	s_or_b32 exec_lo, exec_lo, s65
	s_lshl_b64 s[66:67], s[56:57], 3
	v_add_co_u32 v39, s39, v131, s66
	v_add_co_ci_u32_e64 v40, null, s67, v132, s39
	v_cmp_lt_u32_e64 s39, v130, v169
	s_and_saveexec_b32 s56, s39
	s_xor_b32 s39, exec_lo, s56
	s_cbranch_execnz .LBB839_1152
; %bb.1086:                             ;   in Loop: Header=BB839_988 Depth=2
	s_or_b32 exec_lo, exec_lo, s39
	s_mov_b32 s56, exec_lo
	v_cmpx_lt_u32_e64 v133, v169
	s_cbranch_execnz .LBB839_1153
.LBB839_1087:                           ;   in Loop: Header=BB839_988 Depth=2
	s_or_b32 exec_lo, exec_lo, s56
	s_mov_b32 s56, exec_lo
	v_cmpx_lt_u32_e64 v134, v169
	s_cbranch_execnz .LBB839_1154
.LBB839_1088:                           ;   in Loop: Header=BB839_988 Depth=2
	s_or_b32 exec_lo, exec_lo, s56
	s_mov_b32 s56, exec_lo
	v_cmpx_lt_u32_e64 v135, v169
	s_cbranch_execnz .LBB839_1155
.LBB839_1089:                           ;   in Loop: Header=BB839_988 Depth=2
	s_or_b32 exec_lo, exec_lo, s56
	s_mov_b32 s56, exec_lo
	v_cmpx_lt_u32_e64 v136, v169
	s_cbranch_execnz .LBB839_1156
.LBB839_1090:                           ;   in Loop: Header=BB839_988 Depth=2
	s_or_b32 exec_lo, exec_lo, s56
	s_mov_b32 s56, exec_lo
	v_cmpx_lt_u32_e64 v137, v169
	s_cbranch_execnz .LBB839_1157
.LBB839_1091:                           ;   in Loop: Header=BB839_988 Depth=2
	s_or_b32 exec_lo, exec_lo, s56
	s_mov_b32 s56, exec_lo
	v_cmpx_lt_u32_e64 v138, v169
	s_cbranch_execnz .LBB839_1158
.LBB839_1092:                           ;   in Loop: Header=BB839_988 Depth=2
	s_or_b32 exec_lo, exec_lo, s56
	s_mov_b32 s56, exec_lo
	v_cmpx_lt_u32_e64 v139, v169
	s_cbranch_execnz .LBB839_1159
.LBB839_1093:                           ;   in Loop: Header=BB839_988 Depth=2
	s_or_b32 exec_lo, exec_lo, s56
	s_mov_b32 s56, exec_lo
	v_cmpx_lt_u32_e64 v140, v169
	s_cbranch_execnz .LBB839_1160
.LBB839_1094:                           ;   in Loop: Header=BB839_988 Depth=2
	s_or_b32 exec_lo, exec_lo, s56
	s_mov_b32 s56, exec_lo
	v_cmpx_lt_u32_e64 v141, v169
	s_cbranch_execnz .LBB839_1161
.LBB839_1095:                           ;   in Loop: Header=BB839_988 Depth=2
	s_or_b32 exec_lo, exec_lo, s56
	s_mov_b32 s56, exec_lo
	v_cmpx_lt_u32_e64 v142, v169
	s_cbranch_execnz .LBB839_1162
.LBB839_1096:                           ;   in Loop: Header=BB839_988 Depth=2
	s_or_b32 exec_lo, exec_lo, s56
	s_mov_b32 s56, exec_lo
	v_cmpx_lt_u32_e64 v143, v169
	s_cbranch_execnz .LBB839_1163
.LBB839_1097:                           ;   in Loop: Header=BB839_988 Depth=2
	s_or_b32 exec_lo, exec_lo, s56
	s_mov_b32 s56, exec_lo
	v_cmpx_lt_u32_e64 v144, v169
	s_cbranch_execnz .LBB839_1164
.LBB839_1098:                           ;   in Loop: Header=BB839_988 Depth=2
	s_or_b32 exec_lo, exec_lo, s56
	s_mov_b32 s56, exec_lo
	v_cmpx_lt_u32_e64 v145, v169
	s_cbranch_execnz .LBB839_1165
.LBB839_1099:                           ;   in Loop: Header=BB839_988 Depth=2
	s_or_b32 exec_lo, exec_lo, s56
	s_mov_b32 s56, exec_lo
	v_cmpx_lt_u32_e64 v146, v169
	s_cbranch_execnz .LBB839_1166
.LBB839_1100:                           ;   in Loop: Header=BB839_988 Depth=2
	s_or_b32 exec_lo, exec_lo, s56
	s_mov_b32 s56, exec_lo
	v_cmpx_lt_u32_e64 v147, v169
	s_cbranch_execnz .LBB839_1167
.LBB839_1101:                           ;   in Loop: Header=BB839_988 Depth=2
	s_or_b32 exec_lo, exec_lo, s56
	s_and_saveexec_b32 s39, vcc_lo
	s_cbranch_execnz .LBB839_1168
.LBB839_1102:                           ;   in Loop: Header=BB839_988 Depth=2
	s_or_b32 exec_lo, exec_lo, s39
	s_and_saveexec_b32 s39, s23
	s_cbranch_execnz .LBB839_1169
.LBB839_1103:                           ;   in Loop: Header=BB839_988 Depth=2
	s_or_b32 exec_lo, exec_lo, s39
	s_and_saveexec_b32 s39, s24
	s_cbranch_execnz .LBB839_1170
.LBB839_1104:                           ;   in Loop: Header=BB839_988 Depth=2
	s_or_b32 exec_lo, exec_lo, s39
	s_and_saveexec_b32 s39, s25
	s_cbranch_execnz .LBB839_1171
.LBB839_1105:                           ;   in Loop: Header=BB839_988 Depth=2
	s_or_b32 exec_lo, exec_lo, s39
	s_and_saveexec_b32 s39, s26
	s_cbranch_execnz .LBB839_1172
.LBB839_1106:                           ;   in Loop: Header=BB839_988 Depth=2
	s_or_b32 exec_lo, exec_lo, s39
	s_and_saveexec_b32 s39, s27
	s_cbranch_execnz .LBB839_1173
.LBB839_1107:                           ;   in Loop: Header=BB839_988 Depth=2
	s_or_b32 exec_lo, exec_lo, s39
	s_and_saveexec_b32 s39, s28
	s_cbranch_execnz .LBB839_1174
.LBB839_1108:                           ;   in Loop: Header=BB839_988 Depth=2
	s_or_b32 exec_lo, exec_lo, s39
	s_and_saveexec_b32 s39, s29
	s_cbranch_execnz .LBB839_1175
.LBB839_1109:                           ;   in Loop: Header=BB839_988 Depth=2
	s_or_b32 exec_lo, exec_lo, s39
	s_and_saveexec_b32 s39, s30
	s_cbranch_execnz .LBB839_1176
.LBB839_1110:                           ;   in Loop: Header=BB839_988 Depth=2
	s_or_b32 exec_lo, exec_lo, s39
	s_and_saveexec_b32 s39, s31
	s_cbranch_execnz .LBB839_1177
.LBB839_1111:                           ;   in Loop: Header=BB839_988 Depth=2
	s_or_b32 exec_lo, exec_lo, s39
	s_and_saveexec_b32 s39, s33
	s_cbranch_execnz .LBB839_1178
.LBB839_1112:                           ;   in Loop: Header=BB839_988 Depth=2
	s_or_b32 exec_lo, exec_lo, s39
	s_and_saveexec_b32 s39, s34
	s_cbranch_execnz .LBB839_1179
.LBB839_1113:                           ;   in Loop: Header=BB839_988 Depth=2
	s_or_b32 exec_lo, exec_lo, s39
	s_and_saveexec_b32 s39, s35
	s_cbranch_execnz .LBB839_1180
.LBB839_1114:                           ;   in Loop: Header=BB839_988 Depth=2
	s_or_b32 exec_lo, exec_lo, s39
	s_and_saveexec_b32 s39, s36
	s_cbranch_execnz .LBB839_1181
.LBB839_1115:                           ;   in Loop: Header=BB839_988 Depth=2
	s_or_b32 exec_lo, exec_lo, s39
	s_and_saveexec_b32 s39, s37
	s_cbranch_execnz .LBB839_1182
.LBB839_1116:                           ;   in Loop: Header=BB839_988 Depth=2
	s_or_b32 exec_lo, exec_lo, s39
	s_and_saveexec_b32 s39, s38
	s_cbranch_execz .LBB839_1118
.LBB839_1117:                           ;   in Loop: Header=BB839_988 Depth=2
	ds_read_b64 v[39:40], v108 offset:31232
	s_waitcnt lgkmcnt(0)
	v_lshrrev_b64 v[39:40], s46, v[39:40]
	v_and_b32_e32 v151, s52, v39
.LBB839_1118:                           ;   in Loop: Header=BB839_988 Depth=2
	s_or_b32 exec_lo, exec_lo, s39
	s_waitcnt vmcnt(0)
	s_waitcnt_vscnt null, 0x0
	s_barrier
	buffer_gl0_inv
	ds_write_b64 v71, v[37:38] offset:512
	ds_write_b64 v72, v[35:36] offset:512
	;; [unrolled: 1-line block ×16, first 2 shown]
	s_waitcnt lgkmcnt(0)
	s_barrier
	buffer_gl0_inv
	s_and_saveexec_b32 s39, vcc_lo
	s_cbranch_execnz .LBB839_1183
; %bb.1119:                             ;   in Loop: Header=BB839_988 Depth=2
	s_or_b32 exec_lo, exec_lo, s39
	s_and_saveexec_b32 s39, s23
	s_cbranch_execnz .LBB839_1184
.LBB839_1120:                           ;   in Loop: Header=BB839_988 Depth=2
	s_or_b32 exec_lo, exec_lo, s39
	s_and_saveexec_b32 s23, s24
	s_cbranch_execnz .LBB839_1185
.LBB839_1121:                           ;   in Loop: Header=BB839_988 Depth=2
	s_or_b32 exec_lo, exec_lo, s23
	s_and_saveexec_b32 s23, s25
	s_cbranch_execnz .LBB839_1186
.LBB839_1122:                           ;   in Loop: Header=BB839_988 Depth=2
	s_or_b32 exec_lo, exec_lo, s23
	s_and_saveexec_b32 s23, s26
	s_cbranch_execnz .LBB839_1187
.LBB839_1123:                           ;   in Loop: Header=BB839_988 Depth=2
	s_or_b32 exec_lo, exec_lo, s23
	s_and_saveexec_b32 s23, s27
	s_cbranch_execnz .LBB839_1188
.LBB839_1124:                           ;   in Loop: Header=BB839_988 Depth=2
	s_or_b32 exec_lo, exec_lo, s23
	s_and_saveexec_b32 s23, s28
	s_cbranch_execnz .LBB839_1189
.LBB839_1125:                           ;   in Loop: Header=BB839_988 Depth=2
	s_or_b32 exec_lo, exec_lo, s23
	s_and_saveexec_b32 s23, s29
	s_cbranch_execnz .LBB839_1190
.LBB839_1126:                           ;   in Loop: Header=BB839_988 Depth=2
	s_or_b32 exec_lo, exec_lo, s23
	s_and_saveexec_b32 s23, s30
	s_cbranch_execnz .LBB839_1191
.LBB839_1127:                           ;   in Loop: Header=BB839_988 Depth=2
	s_or_b32 exec_lo, exec_lo, s23
	s_and_saveexec_b32 s23, s31
	s_cbranch_execnz .LBB839_1192
.LBB839_1128:                           ;   in Loop: Header=BB839_988 Depth=2
	s_or_b32 exec_lo, exec_lo, s23
	s_and_saveexec_b32 s23, s33
	s_cbranch_execnz .LBB839_1193
.LBB839_1129:                           ;   in Loop: Header=BB839_988 Depth=2
	s_or_b32 exec_lo, exec_lo, s23
	s_and_saveexec_b32 s23, s34
	s_cbranch_execnz .LBB839_1194
.LBB839_1130:                           ;   in Loop: Header=BB839_988 Depth=2
	s_or_b32 exec_lo, exec_lo, s23
	s_and_saveexec_b32 s23, s35
	s_cbranch_execnz .LBB839_1195
.LBB839_1131:                           ;   in Loop: Header=BB839_988 Depth=2
	s_or_b32 exec_lo, exec_lo, s23
	s_and_saveexec_b32 s23, s36
	s_cbranch_execnz .LBB839_1196
.LBB839_1132:                           ;   in Loop: Header=BB839_988 Depth=2
	s_or_b32 exec_lo, exec_lo, s23
	s_and_saveexec_b32 s23, s37
	s_cbranch_execnz .LBB839_1197
.LBB839_1133:                           ;   in Loop: Header=BB839_988 Depth=2
	s_or_b32 exec_lo, exec_lo, s23
	s_and_saveexec_b32 s23, s38
	s_cbranch_execz .LBB839_1135
.LBB839_1134:                           ;   in Loop: Header=BB839_988 Depth=2
	v_lshlrev_b32_e32 v3, 2, v151
	ds_read_b32 v3, v3
	ds_read_b64 v[39:40], v108 offset:31232
	s_waitcnt lgkmcnt(1)
	v_add_nc_u32_e32 v3, v3, v92
	v_lshlrev_b64 v[41:42], 3, v[3:4]
	v_add_co_u32 v41, vcc_lo, s50, v41
	v_add_co_ci_u32_e64 v42, null, s51, v42, vcc_lo
	s_waitcnt lgkmcnt(0)
	global_store_dwordx2 v[41:42], v[39:40], off
.LBB839_1135:                           ;   in Loop: Header=BB839_988 Depth=2
	s_or_b32 exec_lo, exec_lo, s23
	s_waitcnt_vscnt null, 0x0
	s_barrier
	buffer_gl0_inv
	s_and_saveexec_b32 s23, s8
	s_cbranch_execz .LBB839_987
; %bb.1136:                             ;   in Loop: Header=BB839_988 Depth=2
	ds_read_b32 v3, v75
	s_waitcnt lgkmcnt(0)
	v_add3_u32 v3, v165, v168, v3
	ds_write_b32 v75, v3
	s_branch .LBB839_987
.LBB839_1137:                           ;   in Loop: Header=BB839_988 Depth=2
	ds_read_b64 v[39:40], v108 offset:512
	s_waitcnt lgkmcnt(0)
	v_lshrrev_b64 v[53:54], s46, v[39:40]
	v_xor_b32_e32 v40, 0x80000000, v40
	v_and_b32_e32 v3, s52, v53
	v_lshlrev_b32_e32 v3, 2, v3
	ds_read_b32 v3, v3
	s_waitcnt lgkmcnt(0)
	v_add_nc_u32_e32 v3, v3, v0
	v_lshlrev_b64 v[53:54], 3, v[3:4]
	v_add_co_u32 v53, s23, s44, v53
	v_add_co_ci_u32_e64 v54, null, s45, v54, s23
	global_store_dwordx2 v[53:54], v[39:40], off
	s_or_b32 exec_lo, exec_lo, s24
	v_cmp_lt_u32_e64 s23, v76, v169
	s_and_saveexec_b32 s25, s23
	s_cbranch_execz .LBB839_1070
.LBB839_1138:                           ;   in Loop: Header=BB839_988 Depth=2
	ds_read_b64 v[39:40], v108 offset:2560
	s_waitcnt lgkmcnt(0)
	v_lshrrev_b64 v[53:54], s46, v[39:40]
	v_xor_b32_e32 v40, 0x80000000, v40
	v_and_b32_e32 v3, s52, v53
	v_lshlrev_b32_e32 v3, 2, v3
	ds_read_b32 v3, v3
	s_waitcnt lgkmcnt(0)
	v_add_nc_u32_e32 v3, v3, v76
	v_lshlrev_b64 v[53:54], 3, v[3:4]
	v_add_co_u32 v53, s24, s44, v53
	v_add_co_ci_u32_e64 v54, null, s45, v54, s24
	global_store_dwordx2 v[53:54], v[39:40], off
	s_or_b32 exec_lo, exec_lo, s25
	v_cmp_lt_u32_e64 s24, v79, v169
	s_and_saveexec_b32 s26, s24
	s_cbranch_execz .LBB839_1071
.LBB839_1139:                           ;   in Loop: Header=BB839_988 Depth=2
	ds_read_b64 v[39:40], v108 offset:4608
	s_waitcnt lgkmcnt(0)
	v_lshrrev_b64 v[53:54], s46, v[39:40]
	v_xor_b32_e32 v40, 0x80000000, v40
	v_and_b32_e32 v3, s52, v53
	v_lshlrev_b32_e32 v3, 2, v3
	ds_read_b32 v3, v3
	s_waitcnt lgkmcnt(0)
	v_add_nc_u32_e32 v3, v3, v79
	v_lshlrev_b64 v[53:54], 3, v[3:4]
	v_add_co_u32 v53, s25, s44, v53
	v_add_co_ci_u32_e64 v54, null, s45, v54, s25
	global_store_dwordx2 v[53:54], v[39:40], off
	s_or_b32 exec_lo, exec_lo, s26
	v_cmp_lt_u32_e64 s25, v80, v169
	s_and_saveexec_b32 s27, s25
	s_cbranch_execz .LBB839_1072
.LBB839_1140:                           ;   in Loop: Header=BB839_988 Depth=2
	ds_read_b64 v[39:40], v108 offset:6656
	s_waitcnt lgkmcnt(0)
	v_lshrrev_b64 v[53:54], s46, v[39:40]
	v_xor_b32_e32 v40, 0x80000000, v40
	v_and_b32_e32 v3, s52, v53
	v_lshlrev_b32_e32 v3, 2, v3
	ds_read_b32 v3, v3
	s_waitcnt lgkmcnt(0)
	v_add_nc_u32_e32 v3, v3, v80
	v_lshlrev_b64 v[53:54], 3, v[3:4]
	v_add_co_u32 v53, s26, s44, v53
	v_add_co_ci_u32_e64 v54, null, s45, v54, s26
	global_store_dwordx2 v[53:54], v[39:40], off
	s_or_b32 exec_lo, exec_lo, s27
	v_cmp_lt_u32_e64 s26, v81, v169
	s_and_saveexec_b32 s28, s26
	s_cbranch_execz .LBB839_1073
.LBB839_1141:                           ;   in Loop: Header=BB839_988 Depth=2
	ds_read_b64 v[39:40], v108 offset:8704
	s_waitcnt lgkmcnt(0)
	v_lshrrev_b64 v[53:54], s46, v[39:40]
	v_xor_b32_e32 v40, 0x80000000, v40
	v_and_b32_e32 v3, s52, v53
	v_lshlrev_b32_e32 v3, 2, v3
	ds_read_b32 v3, v3
	s_waitcnt lgkmcnt(0)
	v_add_nc_u32_e32 v3, v3, v81
	v_lshlrev_b64 v[53:54], 3, v[3:4]
	v_add_co_u32 v53, s27, s44, v53
	v_add_co_ci_u32_e64 v54, null, s45, v54, s27
	global_store_dwordx2 v[53:54], v[39:40], off
	s_or_b32 exec_lo, exec_lo, s28
	v_cmp_lt_u32_e64 s27, v82, v169
	s_and_saveexec_b32 s29, s27
	s_cbranch_execz .LBB839_1074
.LBB839_1142:                           ;   in Loop: Header=BB839_988 Depth=2
	ds_read_b64 v[39:40], v108 offset:10752
	s_waitcnt lgkmcnt(0)
	v_lshrrev_b64 v[53:54], s46, v[39:40]
	v_xor_b32_e32 v40, 0x80000000, v40
	v_and_b32_e32 v3, s52, v53
	v_lshlrev_b32_e32 v3, 2, v3
	ds_read_b32 v3, v3
	s_waitcnt lgkmcnt(0)
	v_add_nc_u32_e32 v3, v3, v82
	v_lshlrev_b64 v[53:54], 3, v[3:4]
	v_add_co_u32 v53, s28, s44, v53
	v_add_co_ci_u32_e64 v54, null, s45, v54, s28
	global_store_dwordx2 v[53:54], v[39:40], off
	s_or_b32 exec_lo, exec_lo, s29
	v_cmp_lt_u32_e64 s28, v83, v169
	s_and_saveexec_b32 s30, s28
	s_cbranch_execz .LBB839_1075
.LBB839_1143:                           ;   in Loop: Header=BB839_988 Depth=2
	ds_read_b64 v[39:40], v108 offset:12800
	s_waitcnt lgkmcnt(0)
	v_lshrrev_b64 v[53:54], s46, v[39:40]
	v_xor_b32_e32 v40, 0x80000000, v40
	v_and_b32_e32 v3, s52, v53
	v_lshlrev_b32_e32 v3, 2, v3
	ds_read_b32 v3, v3
	s_waitcnt lgkmcnt(0)
	v_add_nc_u32_e32 v3, v3, v83
	v_lshlrev_b64 v[53:54], 3, v[3:4]
	v_add_co_u32 v53, s29, s44, v53
	v_add_co_ci_u32_e64 v54, null, s45, v54, s29
	global_store_dwordx2 v[53:54], v[39:40], off
	s_or_b32 exec_lo, exec_lo, s30
	v_cmp_lt_u32_e64 s29, v84, v169
	s_and_saveexec_b32 s31, s29
	s_cbranch_execz .LBB839_1076
.LBB839_1144:                           ;   in Loop: Header=BB839_988 Depth=2
	ds_read_b64 v[39:40], v108 offset:14848
	s_waitcnt lgkmcnt(0)
	v_lshrrev_b64 v[53:54], s46, v[39:40]
	v_xor_b32_e32 v40, 0x80000000, v40
	v_and_b32_e32 v3, s52, v53
	v_lshlrev_b32_e32 v3, 2, v3
	ds_read_b32 v3, v3
	s_waitcnt lgkmcnt(0)
	v_add_nc_u32_e32 v3, v3, v84
	v_lshlrev_b64 v[53:54], 3, v[3:4]
	v_add_co_u32 v53, s30, s44, v53
	v_add_co_ci_u32_e64 v54, null, s45, v54, s30
	global_store_dwordx2 v[53:54], v[39:40], off
	s_or_b32 exec_lo, exec_lo, s31
	v_cmp_lt_u32_e64 s30, v85, v169
	s_and_saveexec_b32 s33, s30
	s_cbranch_execz .LBB839_1077
.LBB839_1145:                           ;   in Loop: Header=BB839_988 Depth=2
	ds_read_b64 v[39:40], v108 offset:16896
	s_waitcnt lgkmcnt(0)
	v_lshrrev_b64 v[53:54], s46, v[39:40]
	v_xor_b32_e32 v40, 0x80000000, v40
	v_and_b32_e32 v3, s52, v53
	v_lshlrev_b32_e32 v3, 2, v3
	ds_read_b32 v3, v3
	s_waitcnt lgkmcnt(0)
	v_add_nc_u32_e32 v3, v3, v85
	v_lshlrev_b64 v[53:54], 3, v[3:4]
	v_add_co_u32 v53, s31, s44, v53
	v_add_co_ci_u32_e64 v54, null, s45, v54, s31
	global_store_dwordx2 v[53:54], v[39:40], off
	s_or_b32 exec_lo, exec_lo, s33
	v_cmp_lt_u32_e64 s31, v86, v169
	s_and_saveexec_b32 s34, s31
	s_cbranch_execz .LBB839_1078
.LBB839_1146:                           ;   in Loop: Header=BB839_988 Depth=2
	ds_read_b64 v[39:40], v108 offset:18944
	s_waitcnt lgkmcnt(0)
	v_lshrrev_b64 v[53:54], s46, v[39:40]
	v_xor_b32_e32 v40, 0x80000000, v40
	v_and_b32_e32 v3, s52, v53
	v_lshlrev_b32_e32 v3, 2, v3
	ds_read_b32 v3, v3
	s_waitcnt lgkmcnt(0)
	v_add_nc_u32_e32 v3, v3, v86
	v_lshlrev_b64 v[53:54], 3, v[3:4]
	v_add_co_u32 v53, s33, s44, v53
	v_add_co_ci_u32_e64 v54, null, s45, v54, s33
	global_store_dwordx2 v[53:54], v[39:40], off
	s_or_b32 exec_lo, exec_lo, s34
	v_cmp_lt_u32_e64 s33, v87, v169
	s_and_saveexec_b32 s35, s33
	s_cbranch_execz .LBB839_1079
.LBB839_1147:                           ;   in Loop: Header=BB839_988 Depth=2
	ds_read_b64 v[39:40], v108 offset:20992
	s_waitcnt lgkmcnt(0)
	v_lshrrev_b64 v[53:54], s46, v[39:40]
	v_xor_b32_e32 v40, 0x80000000, v40
	v_and_b32_e32 v3, s52, v53
	v_lshlrev_b32_e32 v3, 2, v3
	ds_read_b32 v3, v3
	s_waitcnt lgkmcnt(0)
	v_add_nc_u32_e32 v3, v3, v87
	v_lshlrev_b64 v[53:54], 3, v[3:4]
	v_add_co_u32 v53, s34, s44, v53
	v_add_co_ci_u32_e64 v54, null, s45, v54, s34
	global_store_dwordx2 v[53:54], v[39:40], off
	s_or_b32 exec_lo, exec_lo, s35
	v_cmp_lt_u32_e64 s34, v88, v169
	s_and_saveexec_b32 s36, s34
	s_cbranch_execz .LBB839_1080
.LBB839_1148:                           ;   in Loop: Header=BB839_988 Depth=2
	ds_read_b64 v[39:40], v108 offset:23040
	s_waitcnt lgkmcnt(0)
	v_lshrrev_b64 v[53:54], s46, v[39:40]
	v_xor_b32_e32 v40, 0x80000000, v40
	v_and_b32_e32 v3, s52, v53
	v_lshlrev_b32_e32 v3, 2, v3
	ds_read_b32 v3, v3
	s_waitcnt lgkmcnt(0)
	v_add_nc_u32_e32 v3, v3, v88
	v_lshlrev_b64 v[53:54], 3, v[3:4]
	v_add_co_u32 v53, s35, s44, v53
	v_add_co_ci_u32_e64 v54, null, s45, v54, s35
	global_store_dwordx2 v[53:54], v[39:40], off
	s_or_b32 exec_lo, exec_lo, s36
	v_cmp_lt_u32_e64 s35, v89, v169
	s_and_saveexec_b32 s37, s35
	s_cbranch_execz .LBB839_1081
.LBB839_1149:                           ;   in Loop: Header=BB839_988 Depth=2
	ds_read_b64 v[39:40], v108 offset:25088
	s_waitcnt lgkmcnt(0)
	v_lshrrev_b64 v[53:54], s46, v[39:40]
	v_xor_b32_e32 v40, 0x80000000, v40
	v_and_b32_e32 v3, s52, v53
	v_lshlrev_b32_e32 v3, 2, v3
	ds_read_b32 v3, v3
	s_waitcnt lgkmcnt(0)
	v_add_nc_u32_e32 v3, v3, v89
	v_lshlrev_b64 v[53:54], 3, v[3:4]
	v_add_co_u32 v53, s36, s44, v53
	v_add_co_ci_u32_e64 v54, null, s45, v54, s36
	global_store_dwordx2 v[53:54], v[39:40], off
	s_or_b32 exec_lo, exec_lo, s37
	v_cmp_lt_u32_e64 s36, v90, v169
	s_and_saveexec_b32 s38, s36
	s_cbranch_execz .LBB839_1082
.LBB839_1150:                           ;   in Loop: Header=BB839_988 Depth=2
	ds_read_b64 v[39:40], v108 offset:27136
	s_waitcnt lgkmcnt(0)
	v_lshrrev_b64 v[53:54], s46, v[39:40]
	v_xor_b32_e32 v40, 0x80000000, v40
	v_and_b32_e32 v3, s52, v53
	v_lshlrev_b32_e32 v3, 2, v3
	ds_read_b32 v3, v3
	s_waitcnt lgkmcnt(0)
	v_add_nc_u32_e32 v3, v3, v90
	v_lshlrev_b64 v[53:54], 3, v[3:4]
	v_add_co_u32 v53, s37, s44, v53
	v_add_co_ci_u32_e64 v54, null, s45, v54, s37
	global_store_dwordx2 v[53:54], v[39:40], off
	s_or_b32 exec_lo, exec_lo, s38
	v_cmp_lt_u32_e64 s37, v91, v169
	s_and_saveexec_b32 s39, s37
	s_cbranch_execz .LBB839_1083
.LBB839_1151:                           ;   in Loop: Header=BB839_988 Depth=2
	ds_read_b64 v[39:40], v108 offset:29184
	s_waitcnt lgkmcnt(0)
	v_lshrrev_b64 v[53:54], s46, v[39:40]
	v_xor_b32_e32 v40, 0x80000000, v40
	v_and_b32_e32 v3, s52, v53
	v_lshlrev_b32_e32 v3, 2, v3
	ds_read_b32 v3, v3
	s_waitcnt lgkmcnt(0)
	v_add_nc_u32_e32 v3, v3, v91
	v_lshlrev_b64 v[53:54], 3, v[3:4]
	v_add_co_u32 v53, s38, s44, v53
	v_add_co_ci_u32_e64 v54, null, s45, v54, s38
	global_store_dwordx2 v[53:54], v[39:40], off
	s_or_b32 exec_lo, exec_lo, s39
	v_cmp_lt_u32_e64 s38, v92, v169
	s_and_saveexec_b32 s65, s38
	s_cbranch_execnz .LBB839_1084
	s_branch .LBB839_1085
.LBB839_1152:                           ;   in Loop: Header=BB839_988 Depth=2
	global_load_dwordx2 v[37:38], v[39:40], off
	s_or_b32 exec_lo, exec_lo, s39
	s_mov_b32 s56, exec_lo
	v_cmpx_lt_u32_e64 v133, v169
	s_cbranch_execz .LBB839_1087
.LBB839_1153:                           ;   in Loop: Header=BB839_988 Depth=2
	global_load_dwordx2 v[35:36], v[39:40], off offset:256
	s_or_b32 exec_lo, exec_lo, s56
	s_mov_b32 s56, exec_lo
	v_cmpx_lt_u32_e64 v134, v169
	s_cbranch_execz .LBB839_1088
.LBB839_1154:                           ;   in Loop: Header=BB839_988 Depth=2
	global_load_dwordx2 v[33:34], v[39:40], off offset:512
	s_or_b32 exec_lo, exec_lo, s56
	s_mov_b32 s56, exec_lo
	v_cmpx_lt_u32_e64 v135, v169
	s_cbranch_execz .LBB839_1089
.LBB839_1155:                           ;   in Loop: Header=BB839_988 Depth=2
	global_load_dwordx2 v[31:32], v[39:40], off offset:768
	s_or_b32 exec_lo, exec_lo, s56
	s_mov_b32 s56, exec_lo
	v_cmpx_lt_u32_e64 v136, v169
	s_cbranch_execz .LBB839_1090
.LBB839_1156:                           ;   in Loop: Header=BB839_988 Depth=2
	global_load_dwordx2 v[29:30], v[39:40], off offset:1024
	s_or_b32 exec_lo, exec_lo, s56
	s_mov_b32 s56, exec_lo
	v_cmpx_lt_u32_e64 v137, v169
	s_cbranch_execz .LBB839_1091
.LBB839_1157:                           ;   in Loop: Header=BB839_988 Depth=2
	global_load_dwordx2 v[25:26], v[39:40], off offset:1280
	s_or_b32 exec_lo, exec_lo, s56
	s_mov_b32 s56, exec_lo
	v_cmpx_lt_u32_e64 v138, v169
	s_cbranch_execz .LBB839_1092
.LBB839_1158:                           ;   in Loop: Header=BB839_988 Depth=2
	global_load_dwordx2 v[21:22], v[39:40], off offset:1536
	s_or_b32 exec_lo, exec_lo, s56
	s_mov_b32 s56, exec_lo
	v_cmpx_lt_u32_e64 v139, v169
	s_cbranch_execz .LBB839_1093
.LBB839_1159:                           ;   in Loop: Header=BB839_988 Depth=2
	global_load_dwordx2 v[17:18], v[39:40], off offset:1792
	s_or_b32 exec_lo, exec_lo, s56
	s_mov_b32 s56, exec_lo
	v_cmpx_lt_u32_e64 v140, v169
	s_cbranch_execz .LBB839_1094
.LBB839_1160:                           ;   in Loop: Header=BB839_988 Depth=2
	v_add_co_u32 v27, s39, 0x800, v39
	v_add_co_ci_u32_e64 v28, null, 0, v40, s39
	global_load_dwordx2 v[27:28], v[27:28], off
	s_or_b32 exec_lo, exec_lo, s56
	s_mov_b32 s56, exec_lo
	v_cmpx_lt_u32_e64 v141, v169
	s_cbranch_execz .LBB839_1095
.LBB839_1161:                           ;   in Loop: Header=BB839_988 Depth=2
	v_add_co_u32 v23, s39, 0x800, v39
	v_add_co_ci_u32_e64 v24, null, 0, v40, s39
	global_load_dwordx2 v[23:24], v[23:24], off offset:256
	s_or_b32 exec_lo, exec_lo, s56
	s_mov_b32 s56, exec_lo
	v_cmpx_lt_u32_e64 v142, v169
	s_cbranch_execz .LBB839_1096
.LBB839_1162:                           ;   in Loop: Header=BB839_988 Depth=2
	v_add_co_u32 v19, s39, 0x800, v39
	v_add_co_ci_u32_e64 v20, null, 0, v40, s39
	global_load_dwordx2 v[19:20], v[19:20], off offset:512
	s_or_b32 exec_lo, exec_lo, s56
	s_mov_b32 s56, exec_lo
	v_cmpx_lt_u32_e64 v143, v169
	s_cbranch_execz .LBB839_1097
.LBB839_1163:                           ;   in Loop: Header=BB839_988 Depth=2
	v_add_co_u32 v15, s39, 0x800, v39
	v_add_co_ci_u32_e64 v16, null, 0, v40, s39
	global_load_dwordx2 v[15:16], v[15:16], off offset:768
	s_or_b32 exec_lo, exec_lo, s56
	s_mov_b32 s56, exec_lo
	v_cmpx_lt_u32_e64 v144, v169
	s_cbranch_execz .LBB839_1098
.LBB839_1164:                           ;   in Loop: Header=BB839_988 Depth=2
	v_add_co_u32 v13, s39, 0x800, v39
	v_add_co_ci_u32_e64 v14, null, 0, v40, s39
	global_load_dwordx2 v[13:14], v[13:14], off offset:1024
	s_or_b32 exec_lo, exec_lo, s56
	s_mov_b32 s56, exec_lo
	v_cmpx_lt_u32_e64 v145, v169
	s_cbranch_execz .LBB839_1099
.LBB839_1165:                           ;   in Loop: Header=BB839_988 Depth=2
	v_add_co_u32 v11, s39, 0x800, v39
	v_add_co_ci_u32_e64 v12, null, 0, v40, s39
	global_load_dwordx2 v[11:12], v[11:12], off offset:1280
	s_or_b32 exec_lo, exec_lo, s56
	s_mov_b32 s56, exec_lo
	v_cmpx_lt_u32_e64 v146, v169
	s_cbranch_execz .LBB839_1100
.LBB839_1166:                           ;   in Loop: Header=BB839_988 Depth=2
	v_add_co_u32 v9, s39, 0x800, v39
	v_add_co_ci_u32_e64 v10, null, 0, v40, s39
	global_load_dwordx2 v[9:10], v[9:10], off offset:1536
	s_or_b32 exec_lo, exec_lo, s56
	s_mov_b32 s56, exec_lo
	v_cmpx_lt_u32_e64 v147, v169
	s_cbranch_execz .LBB839_1101
.LBB839_1167:                           ;   in Loop: Header=BB839_988 Depth=2
	v_add_co_u32 v7, s39, 0x800, v39
	v_add_co_ci_u32_e64 v8, null, 0, v40, s39
	global_load_dwordx2 v[7:8], v[7:8], off offset:1792
	s_or_b32 exec_lo, exec_lo, s56
	s_and_saveexec_b32 s39, vcc_lo
	s_cbranch_execz .LBB839_1102
.LBB839_1168:                           ;   in Loop: Header=BB839_988 Depth=2
	ds_read_b64 v[39:40], v108 offset:512
	s_waitcnt lgkmcnt(0)
	v_lshrrev_b64 v[39:40], s46, v[39:40]
	v_and_b32_e32 v167, s52, v39
	s_or_b32 exec_lo, exec_lo, s39
	s_and_saveexec_b32 s39, s23
	s_cbranch_execz .LBB839_1103
.LBB839_1169:                           ;   in Loop: Header=BB839_988 Depth=2
	ds_read_b64 v[39:40], v108 offset:2560
	s_waitcnt lgkmcnt(0)
	v_lshrrev_b64 v[39:40], s46, v[39:40]
	v_and_b32_e32 v166, s52, v39
	s_or_b32 exec_lo, exec_lo, s39
	s_and_saveexec_b32 s39, s24
	s_cbranch_execz .LBB839_1104
.LBB839_1170:                           ;   in Loop: Header=BB839_988 Depth=2
	ds_read_b64 v[39:40], v108 offset:4608
	s_waitcnt lgkmcnt(0)
	v_lshrrev_b64 v[39:40], s46, v[39:40]
	v_and_b32_e32 v164, s52, v39
	s_or_b32 exec_lo, exec_lo, s39
	s_and_saveexec_b32 s39, s25
	s_cbranch_execz .LBB839_1105
.LBB839_1171:                           ;   in Loop: Header=BB839_988 Depth=2
	ds_read_b64 v[39:40], v108 offset:6656
	s_waitcnt lgkmcnt(0)
	v_lshrrev_b64 v[39:40], s46, v[39:40]
	v_and_b32_e32 v163, s52, v39
	s_or_b32 exec_lo, exec_lo, s39
	s_and_saveexec_b32 s39, s26
	s_cbranch_execz .LBB839_1106
.LBB839_1172:                           ;   in Loop: Header=BB839_988 Depth=2
	ds_read_b64 v[39:40], v108 offset:8704
	s_waitcnt lgkmcnt(0)
	v_lshrrev_b64 v[39:40], s46, v[39:40]
	v_and_b32_e32 v162, s52, v39
	s_or_b32 exec_lo, exec_lo, s39
	s_and_saveexec_b32 s39, s27
	s_cbranch_execz .LBB839_1107
.LBB839_1173:                           ;   in Loop: Header=BB839_988 Depth=2
	ds_read_b64 v[39:40], v108 offset:10752
	s_waitcnt lgkmcnt(0)
	v_lshrrev_b64 v[39:40], s46, v[39:40]
	v_and_b32_e32 v161, s52, v39
	s_or_b32 exec_lo, exec_lo, s39
	s_and_saveexec_b32 s39, s28
	s_cbranch_execz .LBB839_1108
.LBB839_1174:                           ;   in Loop: Header=BB839_988 Depth=2
	ds_read_b64 v[39:40], v108 offset:12800
	s_waitcnt lgkmcnt(0)
	v_lshrrev_b64 v[39:40], s46, v[39:40]
	v_and_b32_e32 v160, s52, v39
	s_or_b32 exec_lo, exec_lo, s39
	s_and_saveexec_b32 s39, s29
	s_cbranch_execz .LBB839_1109
.LBB839_1175:                           ;   in Loop: Header=BB839_988 Depth=2
	ds_read_b64 v[39:40], v108 offset:14848
	s_waitcnt lgkmcnt(0)
	v_lshrrev_b64 v[39:40], s46, v[39:40]
	v_and_b32_e32 v159, s52, v39
	s_or_b32 exec_lo, exec_lo, s39
	s_and_saveexec_b32 s39, s30
	s_cbranch_execz .LBB839_1110
.LBB839_1176:                           ;   in Loop: Header=BB839_988 Depth=2
	ds_read_b64 v[39:40], v108 offset:16896
	s_waitcnt lgkmcnt(0)
	v_lshrrev_b64 v[39:40], s46, v[39:40]
	v_and_b32_e32 v158, s52, v39
	s_or_b32 exec_lo, exec_lo, s39
	s_and_saveexec_b32 s39, s31
	s_cbranch_execz .LBB839_1111
.LBB839_1177:                           ;   in Loop: Header=BB839_988 Depth=2
	ds_read_b64 v[39:40], v108 offset:18944
	s_waitcnt lgkmcnt(0)
	v_lshrrev_b64 v[39:40], s46, v[39:40]
	v_and_b32_e32 v157, s52, v39
	s_or_b32 exec_lo, exec_lo, s39
	s_and_saveexec_b32 s39, s33
	s_cbranch_execz .LBB839_1112
.LBB839_1178:                           ;   in Loop: Header=BB839_988 Depth=2
	ds_read_b64 v[39:40], v108 offset:20992
	s_waitcnt lgkmcnt(0)
	v_lshrrev_b64 v[39:40], s46, v[39:40]
	v_and_b32_e32 v156, s52, v39
	s_or_b32 exec_lo, exec_lo, s39
	s_and_saveexec_b32 s39, s34
	s_cbranch_execz .LBB839_1113
.LBB839_1179:                           ;   in Loop: Header=BB839_988 Depth=2
	ds_read_b64 v[39:40], v108 offset:23040
	s_waitcnt lgkmcnt(0)
	v_lshrrev_b64 v[39:40], s46, v[39:40]
	v_and_b32_e32 v155, s52, v39
	s_or_b32 exec_lo, exec_lo, s39
	s_and_saveexec_b32 s39, s35
	s_cbranch_execz .LBB839_1114
.LBB839_1180:                           ;   in Loop: Header=BB839_988 Depth=2
	ds_read_b64 v[39:40], v108 offset:25088
	s_waitcnt lgkmcnt(0)
	v_lshrrev_b64 v[39:40], s46, v[39:40]
	v_and_b32_e32 v154, s52, v39
	s_or_b32 exec_lo, exec_lo, s39
	s_and_saveexec_b32 s39, s36
	s_cbranch_execz .LBB839_1115
.LBB839_1181:                           ;   in Loop: Header=BB839_988 Depth=2
	ds_read_b64 v[39:40], v108 offset:27136
	s_waitcnt lgkmcnt(0)
	v_lshrrev_b64 v[39:40], s46, v[39:40]
	v_and_b32_e32 v153, s52, v39
	s_or_b32 exec_lo, exec_lo, s39
	s_and_saveexec_b32 s39, s37
	s_cbranch_execz .LBB839_1116
.LBB839_1182:                           ;   in Loop: Header=BB839_988 Depth=2
	ds_read_b64 v[39:40], v108 offset:29184
	s_waitcnt lgkmcnt(0)
	v_lshrrev_b64 v[39:40], s46, v[39:40]
	v_and_b32_e32 v152, s52, v39
	s_or_b32 exec_lo, exec_lo, s39
	s_and_saveexec_b32 s39, s38
	s_cbranch_execnz .LBB839_1117
	s_branch .LBB839_1118
.LBB839_1183:                           ;   in Loop: Header=BB839_988 Depth=2
	v_lshlrev_b32_e32 v3, 2, v167
	ds_read_b32 v3, v3
	ds_read_b64 v[39:40], v108 offset:512
	s_waitcnt lgkmcnt(1)
	v_add_nc_u32_e32 v3, v3, v0
	v_lshlrev_b64 v[41:42], 3, v[3:4]
	v_add_co_u32 v41, vcc_lo, s50, v41
	v_add_co_ci_u32_e64 v42, null, s51, v42, vcc_lo
	s_waitcnt lgkmcnt(0)
	global_store_dwordx2 v[41:42], v[39:40], off
	s_or_b32 exec_lo, exec_lo, s39
	s_and_saveexec_b32 s39, s23
	s_cbranch_execz .LBB839_1120
.LBB839_1184:                           ;   in Loop: Header=BB839_988 Depth=2
	v_lshlrev_b32_e32 v3, 2, v166
	ds_read_b32 v3, v3
	ds_read_b64 v[39:40], v108 offset:2560
	s_waitcnt lgkmcnt(1)
	v_add_nc_u32_e32 v3, v3, v76
	v_lshlrev_b64 v[41:42], 3, v[3:4]
	v_add_co_u32 v41, vcc_lo, s50, v41
	v_add_co_ci_u32_e64 v42, null, s51, v42, vcc_lo
	s_waitcnt lgkmcnt(0)
	global_store_dwordx2 v[41:42], v[39:40], off
	s_or_b32 exec_lo, exec_lo, s39
	s_and_saveexec_b32 s23, s24
	s_cbranch_execz .LBB839_1121
.LBB839_1185:                           ;   in Loop: Header=BB839_988 Depth=2
	v_lshlrev_b32_e32 v3, 2, v164
	ds_read_b32 v3, v3
	ds_read_b64 v[39:40], v108 offset:4608
	s_waitcnt lgkmcnt(1)
	v_add_nc_u32_e32 v3, v3, v79
	v_lshlrev_b64 v[41:42], 3, v[3:4]
	v_add_co_u32 v41, vcc_lo, s50, v41
	v_add_co_ci_u32_e64 v42, null, s51, v42, vcc_lo
	s_waitcnt lgkmcnt(0)
	global_store_dwordx2 v[41:42], v[39:40], off
	s_or_b32 exec_lo, exec_lo, s23
	s_and_saveexec_b32 s23, s25
	s_cbranch_execz .LBB839_1122
.LBB839_1186:                           ;   in Loop: Header=BB839_988 Depth=2
	v_lshlrev_b32_e32 v3, 2, v163
	ds_read_b32 v3, v3
	ds_read_b64 v[39:40], v108 offset:6656
	s_waitcnt lgkmcnt(1)
	v_add_nc_u32_e32 v3, v3, v80
	v_lshlrev_b64 v[41:42], 3, v[3:4]
	v_add_co_u32 v41, vcc_lo, s50, v41
	v_add_co_ci_u32_e64 v42, null, s51, v42, vcc_lo
	s_waitcnt lgkmcnt(0)
	global_store_dwordx2 v[41:42], v[39:40], off
	s_or_b32 exec_lo, exec_lo, s23
	s_and_saveexec_b32 s23, s26
	s_cbranch_execz .LBB839_1123
.LBB839_1187:                           ;   in Loop: Header=BB839_988 Depth=2
	v_lshlrev_b32_e32 v3, 2, v162
	ds_read_b32 v3, v3
	ds_read_b64 v[39:40], v108 offset:8704
	s_waitcnt lgkmcnt(1)
	v_add_nc_u32_e32 v3, v3, v81
	v_lshlrev_b64 v[41:42], 3, v[3:4]
	v_add_co_u32 v41, vcc_lo, s50, v41
	v_add_co_ci_u32_e64 v42, null, s51, v42, vcc_lo
	s_waitcnt lgkmcnt(0)
	global_store_dwordx2 v[41:42], v[39:40], off
	s_or_b32 exec_lo, exec_lo, s23
	s_and_saveexec_b32 s23, s27
	s_cbranch_execz .LBB839_1124
.LBB839_1188:                           ;   in Loop: Header=BB839_988 Depth=2
	v_lshlrev_b32_e32 v3, 2, v161
	ds_read_b32 v3, v3
	ds_read_b64 v[39:40], v108 offset:10752
	s_waitcnt lgkmcnt(1)
	v_add_nc_u32_e32 v3, v3, v82
	v_lshlrev_b64 v[41:42], 3, v[3:4]
	v_add_co_u32 v41, vcc_lo, s50, v41
	v_add_co_ci_u32_e64 v42, null, s51, v42, vcc_lo
	s_waitcnt lgkmcnt(0)
	global_store_dwordx2 v[41:42], v[39:40], off
	s_or_b32 exec_lo, exec_lo, s23
	s_and_saveexec_b32 s23, s28
	s_cbranch_execz .LBB839_1125
.LBB839_1189:                           ;   in Loop: Header=BB839_988 Depth=2
	v_lshlrev_b32_e32 v3, 2, v160
	ds_read_b32 v3, v3
	ds_read_b64 v[39:40], v108 offset:12800
	s_waitcnt lgkmcnt(1)
	v_add_nc_u32_e32 v3, v3, v83
	v_lshlrev_b64 v[41:42], 3, v[3:4]
	v_add_co_u32 v41, vcc_lo, s50, v41
	v_add_co_ci_u32_e64 v42, null, s51, v42, vcc_lo
	s_waitcnt lgkmcnt(0)
	global_store_dwordx2 v[41:42], v[39:40], off
	s_or_b32 exec_lo, exec_lo, s23
	s_and_saveexec_b32 s23, s29
	s_cbranch_execz .LBB839_1126
.LBB839_1190:                           ;   in Loop: Header=BB839_988 Depth=2
	v_lshlrev_b32_e32 v3, 2, v159
	ds_read_b32 v3, v3
	ds_read_b64 v[39:40], v108 offset:14848
	s_waitcnt lgkmcnt(1)
	v_add_nc_u32_e32 v3, v3, v84
	v_lshlrev_b64 v[41:42], 3, v[3:4]
	v_add_co_u32 v41, vcc_lo, s50, v41
	v_add_co_ci_u32_e64 v42, null, s51, v42, vcc_lo
	s_waitcnt lgkmcnt(0)
	global_store_dwordx2 v[41:42], v[39:40], off
	s_or_b32 exec_lo, exec_lo, s23
	s_and_saveexec_b32 s23, s30
	s_cbranch_execz .LBB839_1127
.LBB839_1191:                           ;   in Loop: Header=BB839_988 Depth=2
	v_lshlrev_b32_e32 v3, 2, v158
	ds_read_b32 v3, v3
	ds_read_b64 v[39:40], v108 offset:16896
	s_waitcnt lgkmcnt(1)
	v_add_nc_u32_e32 v3, v3, v85
	v_lshlrev_b64 v[41:42], 3, v[3:4]
	v_add_co_u32 v41, vcc_lo, s50, v41
	v_add_co_ci_u32_e64 v42, null, s51, v42, vcc_lo
	s_waitcnt lgkmcnt(0)
	global_store_dwordx2 v[41:42], v[39:40], off
	s_or_b32 exec_lo, exec_lo, s23
	s_and_saveexec_b32 s23, s31
	s_cbranch_execz .LBB839_1128
.LBB839_1192:                           ;   in Loop: Header=BB839_988 Depth=2
	v_lshlrev_b32_e32 v3, 2, v157
	ds_read_b32 v3, v3
	ds_read_b64 v[39:40], v108 offset:18944
	s_waitcnt lgkmcnt(1)
	v_add_nc_u32_e32 v3, v3, v86
	v_lshlrev_b64 v[41:42], 3, v[3:4]
	v_add_co_u32 v41, vcc_lo, s50, v41
	v_add_co_ci_u32_e64 v42, null, s51, v42, vcc_lo
	s_waitcnt lgkmcnt(0)
	global_store_dwordx2 v[41:42], v[39:40], off
	s_or_b32 exec_lo, exec_lo, s23
	s_and_saveexec_b32 s23, s33
	s_cbranch_execz .LBB839_1129
.LBB839_1193:                           ;   in Loop: Header=BB839_988 Depth=2
	v_lshlrev_b32_e32 v3, 2, v156
	ds_read_b32 v3, v3
	ds_read_b64 v[39:40], v108 offset:20992
	s_waitcnt lgkmcnt(1)
	v_add_nc_u32_e32 v3, v3, v87
	v_lshlrev_b64 v[41:42], 3, v[3:4]
	v_add_co_u32 v41, vcc_lo, s50, v41
	v_add_co_ci_u32_e64 v42, null, s51, v42, vcc_lo
	s_waitcnt lgkmcnt(0)
	global_store_dwordx2 v[41:42], v[39:40], off
	s_or_b32 exec_lo, exec_lo, s23
	s_and_saveexec_b32 s23, s34
	s_cbranch_execz .LBB839_1130
.LBB839_1194:                           ;   in Loop: Header=BB839_988 Depth=2
	v_lshlrev_b32_e32 v3, 2, v155
	ds_read_b32 v3, v3
	ds_read_b64 v[39:40], v108 offset:23040
	s_waitcnt lgkmcnt(1)
	v_add_nc_u32_e32 v3, v3, v88
	v_lshlrev_b64 v[41:42], 3, v[3:4]
	v_add_co_u32 v41, vcc_lo, s50, v41
	v_add_co_ci_u32_e64 v42, null, s51, v42, vcc_lo
	s_waitcnt lgkmcnt(0)
	global_store_dwordx2 v[41:42], v[39:40], off
	s_or_b32 exec_lo, exec_lo, s23
	s_and_saveexec_b32 s23, s35
	s_cbranch_execz .LBB839_1131
.LBB839_1195:                           ;   in Loop: Header=BB839_988 Depth=2
	v_lshlrev_b32_e32 v3, 2, v154
	ds_read_b32 v3, v3
	ds_read_b64 v[39:40], v108 offset:25088
	s_waitcnt lgkmcnt(1)
	v_add_nc_u32_e32 v3, v3, v89
	v_lshlrev_b64 v[41:42], 3, v[3:4]
	v_add_co_u32 v41, vcc_lo, s50, v41
	v_add_co_ci_u32_e64 v42, null, s51, v42, vcc_lo
	s_waitcnt lgkmcnt(0)
	global_store_dwordx2 v[41:42], v[39:40], off
	s_or_b32 exec_lo, exec_lo, s23
	s_and_saveexec_b32 s23, s36
	s_cbranch_execz .LBB839_1132
.LBB839_1196:                           ;   in Loop: Header=BB839_988 Depth=2
	v_lshlrev_b32_e32 v3, 2, v153
	ds_read_b32 v3, v3
	ds_read_b64 v[39:40], v108 offset:27136
	s_waitcnt lgkmcnt(1)
	v_add_nc_u32_e32 v3, v3, v90
	v_lshlrev_b64 v[41:42], 3, v[3:4]
	v_add_co_u32 v41, vcc_lo, s50, v41
	v_add_co_ci_u32_e64 v42, null, s51, v42, vcc_lo
	s_waitcnt lgkmcnt(0)
	global_store_dwordx2 v[41:42], v[39:40], off
	s_or_b32 exec_lo, exec_lo, s23
	s_and_saveexec_b32 s23, s37
	s_cbranch_execz .LBB839_1133
.LBB839_1197:                           ;   in Loop: Header=BB839_988 Depth=2
	v_lshlrev_b32_e32 v3, 2, v152
	ds_read_b32 v3, v3
	ds_read_b64 v[39:40], v108 offset:29184
	s_waitcnt lgkmcnt(1)
	v_add_nc_u32_e32 v3, v3, v91
	v_lshlrev_b64 v[41:42], 3, v[3:4]
	v_add_co_u32 v41, vcc_lo, s50, v41
	v_add_co_ci_u32_e64 v42, null, s51, v42, vcc_lo
	s_waitcnt lgkmcnt(0)
	global_store_dwordx2 v[41:42], v[39:40], off
	s_or_b32 exec_lo, exec_lo, s23
	s_and_saveexec_b32 s23, s38
	s_cbranch_execnz .LBB839_1134
	s_branch .LBB839_1135
.LBB839_1198:
	s_endpgm
	.section	.rodata,"a",@progbits
	.p2align	6, 0x0
	.amdhsa_kernel _ZN7rocprim17ROCPRIM_400000_NS6detail17trampoline_kernelINS0_14default_configENS1_36segmented_radix_sort_config_selectorIllEEZNS1_25segmented_radix_sort_implIS3_Lb0EPKlPlS8_S9_N2at6native12_GLOBAL__N_18offset_tEEE10hipError_tPvRmT1_PNSt15iterator_traitsISH_E10value_typeET2_T3_PNSI_ISN_E10value_typeET4_jRbjT5_ST_jjP12ihipStream_tbEUlT_E2_NS1_11comp_targetILNS1_3genE8ELNS1_11target_archE1030ELNS1_3gpuE2ELNS1_3repE0EEENS1_30default_config_static_selectorELNS0_4arch9wavefront6targetE0EEEvSH_
		.amdhsa_group_segment_fixed_size 33296
		.amdhsa_private_segment_fixed_size 176
		.amdhsa_kernarg_size 336
		.amdhsa_user_sgpr_count 6
		.amdhsa_user_sgpr_private_segment_buffer 1
		.amdhsa_user_sgpr_dispatch_ptr 0
		.amdhsa_user_sgpr_queue_ptr 0
		.amdhsa_user_sgpr_kernarg_segment_ptr 1
		.amdhsa_user_sgpr_dispatch_id 0
		.amdhsa_user_sgpr_flat_scratch_init 0
		.amdhsa_user_sgpr_private_segment_size 0
		.amdhsa_wavefront_size32 1
		.amdhsa_uses_dynamic_stack 0
		.amdhsa_system_sgpr_private_segment_wavefront_offset 1
		.amdhsa_system_sgpr_workgroup_id_x 1
		.amdhsa_system_sgpr_workgroup_id_y 1
		.amdhsa_system_sgpr_workgroup_id_z 0
		.amdhsa_system_sgpr_workgroup_info 0
		.amdhsa_system_vgpr_workitem_id 2
		.amdhsa_next_free_vgpr 248
		.amdhsa_next_free_sgpr 68
		.amdhsa_reserve_vcc 1
		.amdhsa_reserve_flat_scratch 0
		.amdhsa_float_round_mode_32 0
		.amdhsa_float_round_mode_16_64 0
		.amdhsa_float_denorm_mode_32 3
		.amdhsa_float_denorm_mode_16_64 3
		.amdhsa_dx10_clamp 1
		.amdhsa_ieee_mode 1
		.amdhsa_fp16_overflow 0
		.amdhsa_workgroup_processor_mode 1
		.amdhsa_memory_ordered 1
		.amdhsa_forward_progress 1
		.amdhsa_shared_vgpr_count 0
		.amdhsa_exception_fp_ieee_invalid_op 0
		.amdhsa_exception_fp_denorm_src 0
		.amdhsa_exception_fp_ieee_div_zero 0
		.amdhsa_exception_fp_ieee_overflow 0
		.amdhsa_exception_fp_ieee_underflow 0
		.amdhsa_exception_fp_ieee_inexact 0
		.amdhsa_exception_int_div_zero 0
	.end_amdhsa_kernel
	.section	.text._ZN7rocprim17ROCPRIM_400000_NS6detail17trampoline_kernelINS0_14default_configENS1_36segmented_radix_sort_config_selectorIllEEZNS1_25segmented_radix_sort_implIS3_Lb0EPKlPlS8_S9_N2at6native12_GLOBAL__N_18offset_tEEE10hipError_tPvRmT1_PNSt15iterator_traitsISH_E10value_typeET2_T3_PNSI_ISN_E10value_typeET4_jRbjT5_ST_jjP12ihipStream_tbEUlT_E2_NS1_11comp_targetILNS1_3genE8ELNS1_11target_archE1030ELNS1_3gpuE2ELNS1_3repE0EEENS1_30default_config_static_selectorELNS0_4arch9wavefront6targetE0EEEvSH_,"axG",@progbits,_ZN7rocprim17ROCPRIM_400000_NS6detail17trampoline_kernelINS0_14default_configENS1_36segmented_radix_sort_config_selectorIllEEZNS1_25segmented_radix_sort_implIS3_Lb0EPKlPlS8_S9_N2at6native12_GLOBAL__N_18offset_tEEE10hipError_tPvRmT1_PNSt15iterator_traitsISH_E10value_typeET2_T3_PNSI_ISN_E10value_typeET4_jRbjT5_ST_jjP12ihipStream_tbEUlT_E2_NS1_11comp_targetILNS1_3genE8ELNS1_11target_archE1030ELNS1_3gpuE2ELNS1_3repE0EEENS1_30default_config_static_selectorELNS0_4arch9wavefront6targetE0EEEvSH_,comdat
.Lfunc_end839:
	.size	_ZN7rocprim17ROCPRIM_400000_NS6detail17trampoline_kernelINS0_14default_configENS1_36segmented_radix_sort_config_selectorIllEEZNS1_25segmented_radix_sort_implIS3_Lb0EPKlPlS8_S9_N2at6native12_GLOBAL__N_18offset_tEEE10hipError_tPvRmT1_PNSt15iterator_traitsISH_E10value_typeET2_T3_PNSI_ISN_E10value_typeET4_jRbjT5_ST_jjP12ihipStream_tbEUlT_E2_NS1_11comp_targetILNS1_3genE8ELNS1_11target_archE1030ELNS1_3gpuE2ELNS1_3repE0EEENS1_30default_config_static_selectorELNS0_4arch9wavefront6targetE0EEEvSH_, .Lfunc_end839-_ZN7rocprim17ROCPRIM_400000_NS6detail17trampoline_kernelINS0_14default_configENS1_36segmented_radix_sort_config_selectorIllEEZNS1_25segmented_radix_sort_implIS3_Lb0EPKlPlS8_S9_N2at6native12_GLOBAL__N_18offset_tEEE10hipError_tPvRmT1_PNSt15iterator_traitsISH_E10value_typeET2_T3_PNSI_ISN_E10value_typeET4_jRbjT5_ST_jjP12ihipStream_tbEUlT_E2_NS1_11comp_targetILNS1_3genE8ELNS1_11target_archE1030ELNS1_3gpuE2ELNS1_3repE0EEENS1_30default_config_static_selectorELNS0_4arch9wavefront6targetE0EEEvSH_
                                        ; -- End function
	.set _ZN7rocprim17ROCPRIM_400000_NS6detail17trampoline_kernelINS0_14default_configENS1_36segmented_radix_sort_config_selectorIllEEZNS1_25segmented_radix_sort_implIS3_Lb0EPKlPlS8_S9_N2at6native12_GLOBAL__N_18offset_tEEE10hipError_tPvRmT1_PNSt15iterator_traitsISH_E10value_typeET2_T3_PNSI_ISN_E10value_typeET4_jRbjT5_ST_jjP12ihipStream_tbEUlT_E2_NS1_11comp_targetILNS1_3genE8ELNS1_11target_archE1030ELNS1_3gpuE2ELNS1_3repE0EEENS1_30default_config_static_selectorELNS0_4arch9wavefront6targetE0EEEvSH_.num_vgpr, max(220, .L_ZN7rocprim17ROCPRIM_400000_NS6detail26segmented_warp_sort_helperINS1_20WarpSortHelperConfigILj16ELj8ELj256EEEllLi256ELb0EvE4sortIPKlPlS8_S9_EEvT_T0_T1_T2_jjjjRNS5_12storage_typeE.num_vgpr, .L_ZN7rocprim17ROCPRIM_400000_NS6detail40segmented_radix_sort_single_block_helperIllLj256ELj16ELb0EE4sortIPKlPlS6_S7_EEbT_T0_T1_T2_jjjjRNS3_12storage_typeE.num_vgpr)
	.set _ZN7rocprim17ROCPRIM_400000_NS6detail17trampoline_kernelINS0_14default_configENS1_36segmented_radix_sort_config_selectorIllEEZNS1_25segmented_radix_sort_implIS3_Lb0EPKlPlS8_S9_N2at6native12_GLOBAL__N_18offset_tEEE10hipError_tPvRmT1_PNSt15iterator_traitsISH_E10value_typeET2_T3_PNSI_ISN_E10value_typeET4_jRbjT5_ST_jjP12ihipStream_tbEUlT_E2_NS1_11comp_targetILNS1_3genE8ELNS1_11target_archE1030ELNS1_3gpuE2ELNS1_3repE0EEENS1_30default_config_static_selectorELNS0_4arch9wavefront6targetE0EEEvSH_.num_agpr, max(0, .L_ZN7rocprim17ROCPRIM_400000_NS6detail26segmented_warp_sort_helperINS1_20WarpSortHelperConfigILj16ELj8ELj256EEEllLi256ELb0EvE4sortIPKlPlS8_S9_EEvT_T0_T1_T2_jjjjRNS5_12storage_typeE.num_agpr, .L_ZN7rocprim17ROCPRIM_400000_NS6detail40segmented_radix_sort_single_block_helperIllLj256ELj16ELb0EE4sortIPKlPlS6_S7_EEbT_T0_T1_T2_jjjjRNS3_12storage_typeE.num_agpr)
	.set _ZN7rocprim17ROCPRIM_400000_NS6detail17trampoline_kernelINS0_14default_configENS1_36segmented_radix_sort_config_selectorIllEEZNS1_25segmented_radix_sort_implIS3_Lb0EPKlPlS8_S9_N2at6native12_GLOBAL__N_18offset_tEEE10hipError_tPvRmT1_PNSt15iterator_traitsISH_E10value_typeET2_T3_PNSI_ISN_E10value_typeET4_jRbjT5_ST_jjP12ihipStream_tbEUlT_E2_NS1_11comp_targetILNS1_3genE8ELNS1_11target_archE1030ELNS1_3gpuE2ELNS1_3repE0EEENS1_30default_config_static_selectorELNS0_4arch9wavefront6targetE0EEEvSH_.numbered_sgpr, max(68, .L_ZN7rocprim17ROCPRIM_400000_NS6detail26segmented_warp_sort_helperINS1_20WarpSortHelperConfigILj16ELj8ELj256EEEllLi256ELb0EvE4sortIPKlPlS8_S9_EEvT_T0_T1_T2_jjjjRNS5_12storage_typeE.numbered_sgpr, .L_ZN7rocprim17ROCPRIM_400000_NS6detail40segmented_radix_sort_single_block_helperIllLj256ELj16ELb0EE4sortIPKlPlS6_S7_EEbT_T0_T1_T2_jjjjRNS3_12storage_typeE.numbered_sgpr)
	.set _ZN7rocprim17ROCPRIM_400000_NS6detail17trampoline_kernelINS0_14default_configENS1_36segmented_radix_sort_config_selectorIllEEZNS1_25segmented_radix_sort_implIS3_Lb0EPKlPlS8_S9_N2at6native12_GLOBAL__N_18offset_tEEE10hipError_tPvRmT1_PNSt15iterator_traitsISH_E10value_typeET2_T3_PNSI_ISN_E10value_typeET4_jRbjT5_ST_jjP12ihipStream_tbEUlT_E2_NS1_11comp_targetILNS1_3genE8ELNS1_11target_archE1030ELNS1_3gpuE2ELNS1_3repE0EEENS1_30default_config_static_selectorELNS0_4arch9wavefront6targetE0EEEvSH_.num_named_barrier, max(0, .L_ZN7rocprim17ROCPRIM_400000_NS6detail26segmented_warp_sort_helperINS1_20WarpSortHelperConfigILj16ELj8ELj256EEEllLi256ELb0EvE4sortIPKlPlS8_S9_EEvT_T0_T1_T2_jjjjRNS5_12storage_typeE.num_named_barrier, .L_ZN7rocprim17ROCPRIM_400000_NS6detail40segmented_radix_sort_single_block_helperIllLj256ELj16ELb0EE4sortIPKlPlS6_S7_EEbT_T0_T1_T2_jjjjRNS3_12storage_typeE.num_named_barrier)
	.set _ZN7rocprim17ROCPRIM_400000_NS6detail17trampoline_kernelINS0_14default_configENS1_36segmented_radix_sort_config_selectorIllEEZNS1_25segmented_radix_sort_implIS3_Lb0EPKlPlS8_S9_N2at6native12_GLOBAL__N_18offset_tEEE10hipError_tPvRmT1_PNSt15iterator_traitsISH_E10value_typeET2_T3_PNSI_ISN_E10value_typeET4_jRbjT5_ST_jjP12ihipStream_tbEUlT_E2_NS1_11comp_targetILNS1_3genE8ELNS1_11target_archE1030ELNS1_3gpuE2ELNS1_3repE0EEENS1_30default_config_static_selectorELNS0_4arch9wavefront6targetE0EEEvSH_.private_seg_size, 0+max(.L_ZN7rocprim17ROCPRIM_400000_NS6detail26segmented_warp_sort_helperINS1_20WarpSortHelperConfigILj16ELj8ELj256EEEllLi256ELb0EvE4sortIPKlPlS8_S9_EEvT_T0_T1_T2_jjjjRNS5_12storage_typeE.private_seg_size, .L_ZN7rocprim17ROCPRIM_400000_NS6detail40segmented_radix_sort_single_block_helperIllLj256ELj16ELb0EE4sortIPKlPlS6_S7_EEbT_T0_T1_T2_jjjjRNS3_12storage_typeE.private_seg_size)
	.set _ZN7rocprim17ROCPRIM_400000_NS6detail17trampoline_kernelINS0_14default_configENS1_36segmented_radix_sort_config_selectorIllEEZNS1_25segmented_radix_sort_implIS3_Lb0EPKlPlS8_S9_N2at6native12_GLOBAL__N_18offset_tEEE10hipError_tPvRmT1_PNSt15iterator_traitsISH_E10value_typeET2_T3_PNSI_ISN_E10value_typeET4_jRbjT5_ST_jjP12ihipStream_tbEUlT_E2_NS1_11comp_targetILNS1_3genE8ELNS1_11target_archE1030ELNS1_3gpuE2ELNS1_3repE0EEENS1_30default_config_static_selectorELNS0_4arch9wavefront6targetE0EEEvSH_.uses_vcc, or(1, .L_ZN7rocprim17ROCPRIM_400000_NS6detail26segmented_warp_sort_helperINS1_20WarpSortHelperConfigILj16ELj8ELj256EEEllLi256ELb0EvE4sortIPKlPlS8_S9_EEvT_T0_T1_T2_jjjjRNS5_12storage_typeE.uses_vcc, .L_ZN7rocprim17ROCPRIM_400000_NS6detail40segmented_radix_sort_single_block_helperIllLj256ELj16ELb0EE4sortIPKlPlS6_S7_EEbT_T0_T1_T2_jjjjRNS3_12storage_typeE.uses_vcc)
	.set _ZN7rocprim17ROCPRIM_400000_NS6detail17trampoline_kernelINS0_14default_configENS1_36segmented_radix_sort_config_selectorIllEEZNS1_25segmented_radix_sort_implIS3_Lb0EPKlPlS8_S9_N2at6native12_GLOBAL__N_18offset_tEEE10hipError_tPvRmT1_PNSt15iterator_traitsISH_E10value_typeET2_T3_PNSI_ISN_E10value_typeET4_jRbjT5_ST_jjP12ihipStream_tbEUlT_E2_NS1_11comp_targetILNS1_3genE8ELNS1_11target_archE1030ELNS1_3gpuE2ELNS1_3repE0EEENS1_30default_config_static_selectorELNS0_4arch9wavefront6targetE0EEEvSH_.uses_flat_scratch, or(0, .L_ZN7rocprim17ROCPRIM_400000_NS6detail26segmented_warp_sort_helperINS1_20WarpSortHelperConfigILj16ELj8ELj256EEEllLi256ELb0EvE4sortIPKlPlS8_S9_EEvT_T0_T1_T2_jjjjRNS5_12storage_typeE.uses_flat_scratch, .L_ZN7rocprim17ROCPRIM_400000_NS6detail40segmented_radix_sort_single_block_helperIllLj256ELj16ELb0EE4sortIPKlPlS6_S7_EEbT_T0_T1_T2_jjjjRNS3_12storage_typeE.uses_flat_scratch)
	.set _ZN7rocprim17ROCPRIM_400000_NS6detail17trampoline_kernelINS0_14default_configENS1_36segmented_radix_sort_config_selectorIllEEZNS1_25segmented_radix_sort_implIS3_Lb0EPKlPlS8_S9_N2at6native12_GLOBAL__N_18offset_tEEE10hipError_tPvRmT1_PNSt15iterator_traitsISH_E10value_typeET2_T3_PNSI_ISN_E10value_typeET4_jRbjT5_ST_jjP12ihipStream_tbEUlT_E2_NS1_11comp_targetILNS1_3genE8ELNS1_11target_archE1030ELNS1_3gpuE2ELNS1_3repE0EEENS1_30default_config_static_selectorELNS0_4arch9wavefront6targetE0EEEvSH_.has_dyn_sized_stack, or(0, .L_ZN7rocprim17ROCPRIM_400000_NS6detail26segmented_warp_sort_helperINS1_20WarpSortHelperConfigILj16ELj8ELj256EEEllLi256ELb0EvE4sortIPKlPlS8_S9_EEvT_T0_T1_T2_jjjjRNS5_12storage_typeE.has_dyn_sized_stack, .L_ZN7rocprim17ROCPRIM_400000_NS6detail40segmented_radix_sort_single_block_helperIllLj256ELj16ELb0EE4sortIPKlPlS6_S7_EEbT_T0_T1_T2_jjjjRNS3_12storage_typeE.has_dyn_sized_stack)
	.set _ZN7rocprim17ROCPRIM_400000_NS6detail17trampoline_kernelINS0_14default_configENS1_36segmented_radix_sort_config_selectorIllEEZNS1_25segmented_radix_sort_implIS3_Lb0EPKlPlS8_S9_N2at6native12_GLOBAL__N_18offset_tEEE10hipError_tPvRmT1_PNSt15iterator_traitsISH_E10value_typeET2_T3_PNSI_ISN_E10value_typeET4_jRbjT5_ST_jjP12ihipStream_tbEUlT_E2_NS1_11comp_targetILNS1_3genE8ELNS1_11target_archE1030ELNS1_3gpuE2ELNS1_3repE0EEENS1_30default_config_static_selectorELNS0_4arch9wavefront6targetE0EEEvSH_.has_recursion, or(0, .L_ZN7rocprim17ROCPRIM_400000_NS6detail26segmented_warp_sort_helperINS1_20WarpSortHelperConfigILj16ELj8ELj256EEEllLi256ELb0EvE4sortIPKlPlS8_S9_EEvT_T0_T1_T2_jjjjRNS5_12storage_typeE.has_recursion, .L_ZN7rocprim17ROCPRIM_400000_NS6detail40segmented_radix_sort_single_block_helperIllLj256ELj16ELb0EE4sortIPKlPlS6_S7_EEbT_T0_T1_T2_jjjjRNS3_12storage_typeE.has_recursion)
	.set _ZN7rocprim17ROCPRIM_400000_NS6detail17trampoline_kernelINS0_14default_configENS1_36segmented_radix_sort_config_selectorIllEEZNS1_25segmented_radix_sort_implIS3_Lb0EPKlPlS8_S9_N2at6native12_GLOBAL__N_18offset_tEEE10hipError_tPvRmT1_PNSt15iterator_traitsISH_E10value_typeET2_T3_PNSI_ISN_E10value_typeET4_jRbjT5_ST_jjP12ihipStream_tbEUlT_E2_NS1_11comp_targetILNS1_3genE8ELNS1_11target_archE1030ELNS1_3gpuE2ELNS1_3repE0EEENS1_30default_config_static_selectorELNS0_4arch9wavefront6targetE0EEEvSH_.has_indirect_call, or(0, .L_ZN7rocprim17ROCPRIM_400000_NS6detail26segmented_warp_sort_helperINS1_20WarpSortHelperConfigILj16ELj8ELj256EEEllLi256ELb0EvE4sortIPKlPlS8_S9_EEvT_T0_T1_T2_jjjjRNS5_12storage_typeE.has_indirect_call, .L_ZN7rocprim17ROCPRIM_400000_NS6detail40segmented_radix_sort_single_block_helperIllLj256ELj16ELb0EE4sortIPKlPlS6_S7_EEbT_T0_T1_T2_jjjjRNS3_12storage_typeE.has_indirect_call)
	.section	.AMDGPU.csdata,"",@progbits
; Kernel info:
; codeLenInByte = 63860
; TotalNumSgprs: 70
; NumVgprs: 248
; ScratchSize: 176
; MemoryBound: 0
; FloatMode: 240
; IeeeMode: 1
; LDSByteSize: 33296 bytes/workgroup (compile time only)
; SGPRBlocks: 0
; VGPRBlocks: 30
; NumSGPRsForWavesPerEU: 70
; NumVGPRsForWavesPerEU: 248
; Occupancy: 4
; WaveLimiterHint : 1
; COMPUTE_PGM_RSRC2:SCRATCH_EN: 1
; COMPUTE_PGM_RSRC2:USER_SGPR: 6
; COMPUTE_PGM_RSRC2:TRAP_HANDLER: 0
; COMPUTE_PGM_RSRC2:TGID_X_EN: 1
; COMPUTE_PGM_RSRC2:TGID_Y_EN: 1
; COMPUTE_PGM_RSRC2:TGID_Z_EN: 0
; COMPUTE_PGM_RSRC2:TIDIG_COMP_CNT: 2
	.section	.text._ZN2at6native12_GLOBAL__N_123sort_postprocess_kernelIsEEvPKT_PS3_PlPK15HIP_vector_typeIiLj2EEii,"axG",@progbits,_ZN2at6native12_GLOBAL__N_123sort_postprocess_kernelIsEEvPKT_PS3_PlPK15HIP_vector_typeIiLj2EEii,comdat
	.globl	_ZN2at6native12_GLOBAL__N_123sort_postprocess_kernelIsEEvPKT_PS3_PlPK15HIP_vector_typeIiLj2EEii ; -- Begin function _ZN2at6native12_GLOBAL__N_123sort_postprocess_kernelIsEEvPKT_PS3_PlPK15HIP_vector_typeIiLj2EEii
	.p2align	8
	.type	_ZN2at6native12_GLOBAL__N_123sort_postprocess_kernelIsEEvPKT_PS3_PlPK15HIP_vector_typeIiLj2EEii,@function
_ZN2at6native12_GLOBAL__N_123sort_postprocess_kernelIsEEvPKT_PS3_PlPK15HIP_vector_typeIiLj2EEii: ; @_ZN2at6native12_GLOBAL__N_123sort_postprocess_kernelIsEEvPKT_PS3_PlPK15HIP_vector_typeIiLj2EEii
; %bb.0:
	s_clause 0x1
	s_load_dword s2, s[4:5], 0x34
	s_load_dwordx2 s[8:9], s[4:5], 0x20
	s_add_u32 s0, s4, 40
	s_addc_u32 s1, s5, 0
	s_waitcnt lgkmcnt(0)
	s_and_b32 s15, s2, 0xffff
	s_mul_i32 s13, s15, s6
	s_mul_hi_u32 s12, s15, s6
	v_add_co_u32 v1, s2, s13, v0
	v_add_co_ci_u32_e64 v2, null, s12, 0, s2
	s_mul_i32 s2, s9, s8
	s_ashr_i32 s3, s2, 31
	v_cmp_gt_i64_e32 vcc_lo, s[2:3], v[1:2]
	v_mov_b32_e32 v1, 0
	s_and_saveexec_b32 s6, vcc_lo
	s_cbranch_execz .LBB840_3
; %bb.1:
	s_abs_i32 s14, s9
	s_load_dword s0, s[0:1], 0x0
	v_cvt_f32_u32_e32 v2, s14
	s_sub_i32 s1, 0, s14
	s_load_dwordx8 s[4:11], s[4:5], 0x0
	v_rcp_iflag_f32_e32 v2, v2
	v_mul_f32_e32 v2, 0x4f7ffffe, v2
	v_cvt_u32_f32_e32 v2, v2
	v_mul_lo_u32 v3, s1, v2
	s_waitcnt lgkmcnt(0)
	s_mul_i32 s1, s0, s15
	s_mov_b32 s15, 0
	v_mul_hi_u32 v3, v2, v3
	v_add_nc_u32_e32 v2, v2, v3
.LBB840_2:                              ; =>This Inner Loop Header: Depth=1
	v_add_nc_u32_e32 v3, s13, v0
	v_sub_nc_u32_e32 v4, 0, v3
	v_ashrrev_i32_e32 v6, 31, v3
	v_max_i32_e32 v4, v3, v4
	v_add_nc_u32_e32 v3, v3, v6
	v_mul_hi_u32 v5, v4, v2
	v_mul_lo_u32 v5, v5, s14
	v_sub_nc_u32_e32 v4, v4, v5
	v_subrev_nc_u32_e32 v5, s14, v4
	v_cmp_le_u32_e32 vcc_lo, s14, v4
	v_cndmask_b32_e32 v4, v4, v5, vcc_lo
	v_subrev_nc_u32_e32 v5, s14, v4
	v_cmp_le_u32_e32 vcc_lo, s14, v4
	v_cndmask_b32_e32 v4, v4, v5, vcc_lo
	v_xor_b32_e32 v4, v4, v6
	v_sub_nc_u32_e32 v3, v3, v4
	v_sub_nc_u32_e32 v5, v4, v6
	v_ashrrev_i32_e32 v4, 31, v3
	v_ashrrev_i32_e32 v6, 31, v5
	v_lshlrev_b64 v[7:8], 3, v[3:4]
	v_lshlrev_b64 v[9:10], 3, v[5:6]
	;; [unrolled: 1-line block ×4, first 2 shown]
	v_add_co_u32 v11, vcc_lo, s10, v7
	v_add_co_ci_u32_e64 v12, null, s11, v8, vcc_lo
	v_add_co_u32 v7, s0, s8, v7
	v_add_co_u32 v11, vcc_lo, v11, v9
	v_add_co_ci_u32_e64 v12, null, v12, v10, vcc_lo
	v_add_co_u32 v15, vcc_lo, s4, v3
	v_add_co_ci_u32_e64 v16, null, s5, v4, vcc_lo
	global_load_dword v11, v[11:12], off offset:4
	v_add_co_ci_u32_e64 v8, null, s9, v8, s0
	s_waitcnt vmcnt(0)
	v_ashrrev_i32_e32 v12, 31, v11
	v_lshlrev_b64 v[13:14], 1, v[11:12]
	v_add_co_u32 v13, vcc_lo, v15, v13
	v_add_co_ci_u32_e64 v14, null, v16, v14, vcc_lo
	v_add_co_u32 v0, vcc_lo, v0, s1
	v_add_co_ci_u32_e64 v1, null, 0, v1, vcc_lo
	global_load_ushort v15, v[13:14], off
	v_add_co_u32 v13, vcc_lo, s13, v0
	v_add_co_ci_u32_e64 v14, null, s12, v1, vcc_lo
	v_cmp_le_i64_e32 vcc_lo, s[2:3], v[13:14]
	v_add_co_u32 v13, s0, s6, v3
	v_add_co_ci_u32_e64 v14, null, s7, v4, s0
	v_add_co_u32 v3, s0, v7, v9
	v_add_co_ci_u32_e64 v4, null, v8, v10, s0
	;; [unrolled: 2-line block ×3, first 2 shown]
	s_or_b32 s15, vcc_lo, s15
	global_store_dwordx2 v[3:4], v[11:12], off
	s_waitcnt vmcnt(0)
	global_store_short v[5:6], v15, off
	s_andn2_b32 exec_lo, exec_lo, s15
	s_cbranch_execnz .LBB840_2
.LBB840_3:
	s_endpgm
	.section	.rodata,"a",@progbits
	.p2align	6, 0x0
	.amdhsa_kernel _ZN2at6native12_GLOBAL__N_123sort_postprocess_kernelIsEEvPKT_PS3_PlPK15HIP_vector_typeIiLj2EEii
		.amdhsa_group_segment_fixed_size 0
		.amdhsa_private_segment_fixed_size 0
		.amdhsa_kernarg_size 296
		.amdhsa_user_sgpr_count 6
		.amdhsa_user_sgpr_private_segment_buffer 1
		.amdhsa_user_sgpr_dispatch_ptr 0
		.amdhsa_user_sgpr_queue_ptr 0
		.amdhsa_user_sgpr_kernarg_segment_ptr 1
		.amdhsa_user_sgpr_dispatch_id 0
		.amdhsa_user_sgpr_flat_scratch_init 0
		.amdhsa_user_sgpr_private_segment_size 0
		.amdhsa_wavefront_size32 1
		.amdhsa_uses_dynamic_stack 0
		.amdhsa_system_sgpr_private_segment_wavefront_offset 0
		.amdhsa_system_sgpr_workgroup_id_x 1
		.amdhsa_system_sgpr_workgroup_id_y 0
		.amdhsa_system_sgpr_workgroup_id_z 0
		.amdhsa_system_sgpr_workgroup_info 0
		.amdhsa_system_vgpr_workitem_id 0
		.amdhsa_next_free_vgpr 17
		.amdhsa_next_free_sgpr 16
		.amdhsa_reserve_vcc 1
		.amdhsa_reserve_flat_scratch 0
		.amdhsa_float_round_mode_32 0
		.amdhsa_float_round_mode_16_64 0
		.amdhsa_float_denorm_mode_32 3
		.amdhsa_float_denorm_mode_16_64 3
		.amdhsa_dx10_clamp 1
		.amdhsa_ieee_mode 1
		.amdhsa_fp16_overflow 0
		.amdhsa_workgroup_processor_mode 1
		.amdhsa_memory_ordered 1
		.amdhsa_forward_progress 1
		.amdhsa_shared_vgpr_count 0
		.amdhsa_exception_fp_ieee_invalid_op 0
		.amdhsa_exception_fp_denorm_src 0
		.amdhsa_exception_fp_ieee_div_zero 0
		.amdhsa_exception_fp_ieee_overflow 0
		.amdhsa_exception_fp_ieee_underflow 0
		.amdhsa_exception_fp_ieee_inexact 0
		.amdhsa_exception_int_div_zero 0
	.end_amdhsa_kernel
	.section	.text._ZN2at6native12_GLOBAL__N_123sort_postprocess_kernelIsEEvPKT_PS3_PlPK15HIP_vector_typeIiLj2EEii,"axG",@progbits,_ZN2at6native12_GLOBAL__N_123sort_postprocess_kernelIsEEvPKT_PS3_PlPK15HIP_vector_typeIiLj2EEii,comdat
.Lfunc_end840:
	.size	_ZN2at6native12_GLOBAL__N_123sort_postprocess_kernelIsEEvPKT_PS3_PlPK15HIP_vector_typeIiLj2EEii, .Lfunc_end840-_ZN2at6native12_GLOBAL__N_123sort_postprocess_kernelIsEEvPKT_PS3_PlPK15HIP_vector_typeIiLj2EEii
                                        ; -- End function
	.set _ZN2at6native12_GLOBAL__N_123sort_postprocess_kernelIsEEvPKT_PS3_PlPK15HIP_vector_typeIiLj2EEii.num_vgpr, 17
	.set _ZN2at6native12_GLOBAL__N_123sort_postprocess_kernelIsEEvPKT_PS3_PlPK15HIP_vector_typeIiLj2EEii.num_agpr, 0
	.set _ZN2at6native12_GLOBAL__N_123sort_postprocess_kernelIsEEvPKT_PS3_PlPK15HIP_vector_typeIiLj2EEii.numbered_sgpr, 16
	.set _ZN2at6native12_GLOBAL__N_123sort_postprocess_kernelIsEEvPKT_PS3_PlPK15HIP_vector_typeIiLj2EEii.num_named_barrier, 0
	.set _ZN2at6native12_GLOBAL__N_123sort_postprocess_kernelIsEEvPKT_PS3_PlPK15HIP_vector_typeIiLj2EEii.private_seg_size, 0
	.set _ZN2at6native12_GLOBAL__N_123sort_postprocess_kernelIsEEvPKT_PS3_PlPK15HIP_vector_typeIiLj2EEii.uses_vcc, 1
	.set _ZN2at6native12_GLOBAL__N_123sort_postprocess_kernelIsEEvPKT_PS3_PlPK15HIP_vector_typeIiLj2EEii.uses_flat_scratch, 0
	.set _ZN2at6native12_GLOBAL__N_123sort_postprocess_kernelIsEEvPKT_PS3_PlPK15HIP_vector_typeIiLj2EEii.has_dyn_sized_stack, 0
	.set _ZN2at6native12_GLOBAL__N_123sort_postprocess_kernelIsEEvPKT_PS3_PlPK15HIP_vector_typeIiLj2EEii.has_recursion, 0
	.set _ZN2at6native12_GLOBAL__N_123sort_postprocess_kernelIsEEvPKT_PS3_PlPK15HIP_vector_typeIiLj2EEii.has_indirect_call, 0
	.section	.AMDGPU.csdata,"",@progbits
; Kernel info:
; codeLenInByte = 512
; TotalNumSgprs: 18
; NumVgprs: 17
; ScratchSize: 0
; MemoryBound: 0
; FloatMode: 240
; IeeeMode: 1
; LDSByteSize: 0 bytes/workgroup (compile time only)
; SGPRBlocks: 0
; VGPRBlocks: 2
; NumSGPRsForWavesPerEU: 18
; NumVGPRsForWavesPerEU: 17
; Occupancy: 16
; WaveLimiterHint : 1
; COMPUTE_PGM_RSRC2:SCRATCH_EN: 0
; COMPUTE_PGM_RSRC2:USER_SGPR: 6
; COMPUTE_PGM_RSRC2:TRAP_HANDLER: 0
; COMPUTE_PGM_RSRC2:TGID_X_EN: 1
; COMPUTE_PGM_RSRC2:TGID_Y_EN: 0
; COMPUTE_PGM_RSRC2:TGID_Z_EN: 0
; COMPUTE_PGM_RSRC2:TIDIG_COMP_CNT: 0
	.section	.text._ZN7rocprim17ROCPRIM_400000_NS6detail17trampoline_kernelINS0_13select_configILj256ELj13ELNS0_17block_load_methodE3ELS4_3ELS4_3ELNS0_20block_scan_algorithmE0ELj4294967295EEENS1_25partition_config_selectorILNS1_17partition_subalgoE4EjNS0_10empty_typeEbEEZZNS1_14partition_implILS8_4ELb0ES6_15HIP_vector_typeIjLj2EENS0_17counting_iteratorIjlEEPS9_SG_NS0_5tupleIJPjSI_NS0_16reverse_iteratorISI_EEEEENSH_IJSG_SG_SG_EEES9_SI_JZNS1_25segmented_radix_sort_implINS0_14default_configELb1EPKsPsPKlPlN2at6native12_GLOBAL__N_18offset_tEEE10hipError_tPvRmT1_PNSt15iterator_traitsIS12_E10value_typeET2_T3_PNS13_IS18_E10value_typeET4_jRbjT5_S1E_jjP12ihipStream_tbEUljE_ZNSN_ISO_Lb1ESQ_SR_ST_SU_SY_EESZ_S10_S11_S12_S16_S17_S18_S1B_S1C_jS1D_jS1E_S1E_jjS1G_bEUljE0_EEESZ_S10_S11_S18_S1C_S1E_T6_T7_T9_mT8_S1G_bDpT10_ENKUlT_T0_E_clISt17integral_constantIbLb0EES1U_EEDaS1P_S1Q_EUlS1P_E_NS1_11comp_targetILNS1_3genE0ELNS1_11target_archE4294967295ELNS1_3gpuE0ELNS1_3repE0EEENS1_30default_config_static_selectorELNS0_4arch9wavefront6targetE0EEEvS12_,"axG",@progbits,_ZN7rocprim17ROCPRIM_400000_NS6detail17trampoline_kernelINS0_13select_configILj256ELj13ELNS0_17block_load_methodE3ELS4_3ELS4_3ELNS0_20block_scan_algorithmE0ELj4294967295EEENS1_25partition_config_selectorILNS1_17partition_subalgoE4EjNS0_10empty_typeEbEEZZNS1_14partition_implILS8_4ELb0ES6_15HIP_vector_typeIjLj2EENS0_17counting_iteratorIjlEEPS9_SG_NS0_5tupleIJPjSI_NS0_16reverse_iteratorISI_EEEEENSH_IJSG_SG_SG_EEES9_SI_JZNS1_25segmented_radix_sort_implINS0_14default_configELb1EPKsPsPKlPlN2at6native12_GLOBAL__N_18offset_tEEE10hipError_tPvRmT1_PNSt15iterator_traitsIS12_E10value_typeET2_T3_PNS13_IS18_E10value_typeET4_jRbjT5_S1E_jjP12ihipStream_tbEUljE_ZNSN_ISO_Lb1ESQ_SR_ST_SU_SY_EESZ_S10_S11_S12_S16_S17_S18_S1B_S1C_jS1D_jS1E_S1E_jjS1G_bEUljE0_EEESZ_S10_S11_S18_S1C_S1E_T6_T7_T9_mT8_S1G_bDpT10_ENKUlT_T0_E_clISt17integral_constantIbLb0EES1U_EEDaS1P_S1Q_EUlS1P_E_NS1_11comp_targetILNS1_3genE0ELNS1_11target_archE4294967295ELNS1_3gpuE0ELNS1_3repE0EEENS1_30default_config_static_selectorELNS0_4arch9wavefront6targetE0EEEvS12_,comdat
	.globl	_ZN7rocprim17ROCPRIM_400000_NS6detail17trampoline_kernelINS0_13select_configILj256ELj13ELNS0_17block_load_methodE3ELS4_3ELS4_3ELNS0_20block_scan_algorithmE0ELj4294967295EEENS1_25partition_config_selectorILNS1_17partition_subalgoE4EjNS0_10empty_typeEbEEZZNS1_14partition_implILS8_4ELb0ES6_15HIP_vector_typeIjLj2EENS0_17counting_iteratorIjlEEPS9_SG_NS0_5tupleIJPjSI_NS0_16reverse_iteratorISI_EEEEENSH_IJSG_SG_SG_EEES9_SI_JZNS1_25segmented_radix_sort_implINS0_14default_configELb1EPKsPsPKlPlN2at6native12_GLOBAL__N_18offset_tEEE10hipError_tPvRmT1_PNSt15iterator_traitsIS12_E10value_typeET2_T3_PNS13_IS18_E10value_typeET4_jRbjT5_S1E_jjP12ihipStream_tbEUljE_ZNSN_ISO_Lb1ESQ_SR_ST_SU_SY_EESZ_S10_S11_S12_S16_S17_S18_S1B_S1C_jS1D_jS1E_S1E_jjS1G_bEUljE0_EEESZ_S10_S11_S18_S1C_S1E_T6_T7_T9_mT8_S1G_bDpT10_ENKUlT_T0_E_clISt17integral_constantIbLb0EES1U_EEDaS1P_S1Q_EUlS1P_E_NS1_11comp_targetILNS1_3genE0ELNS1_11target_archE4294967295ELNS1_3gpuE0ELNS1_3repE0EEENS1_30default_config_static_selectorELNS0_4arch9wavefront6targetE0EEEvS12_ ; -- Begin function _ZN7rocprim17ROCPRIM_400000_NS6detail17trampoline_kernelINS0_13select_configILj256ELj13ELNS0_17block_load_methodE3ELS4_3ELS4_3ELNS0_20block_scan_algorithmE0ELj4294967295EEENS1_25partition_config_selectorILNS1_17partition_subalgoE4EjNS0_10empty_typeEbEEZZNS1_14partition_implILS8_4ELb0ES6_15HIP_vector_typeIjLj2EENS0_17counting_iteratorIjlEEPS9_SG_NS0_5tupleIJPjSI_NS0_16reverse_iteratorISI_EEEEENSH_IJSG_SG_SG_EEES9_SI_JZNS1_25segmented_radix_sort_implINS0_14default_configELb1EPKsPsPKlPlN2at6native12_GLOBAL__N_18offset_tEEE10hipError_tPvRmT1_PNSt15iterator_traitsIS12_E10value_typeET2_T3_PNS13_IS18_E10value_typeET4_jRbjT5_S1E_jjP12ihipStream_tbEUljE_ZNSN_ISO_Lb1ESQ_SR_ST_SU_SY_EESZ_S10_S11_S12_S16_S17_S18_S1B_S1C_jS1D_jS1E_S1E_jjS1G_bEUljE0_EEESZ_S10_S11_S18_S1C_S1E_T6_T7_T9_mT8_S1G_bDpT10_ENKUlT_T0_E_clISt17integral_constantIbLb0EES1U_EEDaS1P_S1Q_EUlS1P_E_NS1_11comp_targetILNS1_3genE0ELNS1_11target_archE4294967295ELNS1_3gpuE0ELNS1_3repE0EEENS1_30default_config_static_selectorELNS0_4arch9wavefront6targetE0EEEvS12_
	.p2align	8
	.type	_ZN7rocprim17ROCPRIM_400000_NS6detail17trampoline_kernelINS0_13select_configILj256ELj13ELNS0_17block_load_methodE3ELS4_3ELS4_3ELNS0_20block_scan_algorithmE0ELj4294967295EEENS1_25partition_config_selectorILNS1_17partition_subalgoE4EjNS0_10empty_typeEbEEZZNS1_14partition_implILS8_4ELb0ES6_15HIP_vector_typeIjLj2EENS0_17counting_iteratorIjlEEPS9_SG_NS0_5tupleIJPjSI_NS0_16reverse_iteratorISI_EEEEENSH_IJSG_SG_SG_EEES9_SI_JZNS1_25segmented_radix_sort_implINS0_14default_configELb1EPKsPsPKlPlN2at6native12_GLOBAL__N_18offset_tEEE10hipError_tPvRmT1_PNSt15iterator_traitsIS12_E10value_typeET2_T3_PNS13_IS18_E10value_typeET4_jRbjT5_S1E_jjP12ihipStream_tbEUljE_ZNSN_ISO_Lb1ESQ_SR_ST_SU_SY_EESZ_S10_S11_S12_S16_S17_S18_S1B_S1C_jS1D_jS1E_S1E_jjS1G_bEUljE0_EEESZ_S10_S11_S18_S1C_S1E_T6_T7_T9_mT8_S1G_bDpT10_ENKUlT_T0_E_clISt17integral_constantIbLb0EES1U_EEDaS1P_S1Q_EUlS1P_E_NS1_11comp_targetILNS1_3genE0ELNS1_11target_archE4294967295ELNS1_3gpuE0ELNS1_3repE0EEENS1_30default_config_static_selectorELNS0_4arch9wavefront6targetE0EEEvS12_,@function
_ZN7rocprim17ROCPRIM_400000_NS6detail17trampoline_kernelINS0_13select_configILj256ELj13ELNS0_17block_load_methodE3ELS4_3ELS4_3ELNS0_20block_scan_algorithmE0ELj4294967295EEENS1_25partition_config_selectorILNS1_17partition_subalgoE4EjNS0_10empty_typeEbEEZZNS1_14partition_implILS8_4ELb0ES6_15HIP_vector_typeIjLj2EENS0_17counting_iteratorIjlEEPS9_SG_NS0_5tupleIJPjSI_NS0_16reverse_iteratorISI_EEEEENSH_IJSG_SG_SG_EEES9_SI_JZNS1_25segmented_radix_sort_implINS0_14default_configELb1EPKsPsPKlPlN2at6native12_GLOBAL__N_18offset_tEEE10hipError_tPvRmT1_PNSt15iterator_traitsIS12_E10value_typeET2_T3_PNS13_IS18_E10value_typeET4_jRbjT5_S1E_jjP12ihipStream_tbEUljE_ZNSN_ISO_Lb1ESQ_SR_ST_SU_SY_EESZ_S10_S11_S12_S16_S17_S18_S1B_S1C_jS1D_jS1E_S1E_jjS1G_bEUljE0_EEESZ_S10_S11_S18_S1C_S1E_T6_T7_T9_mT8_S1G_bDpT10_ENKUlT_T0_E_clISt17integral_constantIbLb0EES1U_EEDaS1P_S1Q_EUlS1P_E_NS1_11comp_targetILNS1_3genE0ELNS1_11target_archE4294967295ELNS1_3gpuE0ELNS1_3repE0EEENS1_30default_config_static_selectorELNS0_4arch9wavefront6targetE0EEEvS12_: ; @_ZN7rocprim17ROCPRIM_400000_NS6detail17trampoline_kernelINS0_13select_configILj256ELj13ELNS0_17block_load_methodE3ELS4_3ELS4_3ELNS0_20block_scan_algorithmE0ELj4294967295EEENS1_25partition_config_selectorILNS1_17partition_subalgoE4EjNS0_10empty_typeEbEEZZNS1_14partition_implILS8_4ELb0ES6_15HIP_vector_typeIjLj2EENS0_17counting_iteratorIjlEEPS9_SG_NS0_5tupleIJPjSI_NS0_16reverse_iteratorISI_EEEEENSH_IJSG_SG_SG_EEES9_SI_JZNS1_25segmented_radix_sort_implINS0_14default_configELb1EPKsPsPKlPlN2at6native12_GLOBAL__N_18offset_tEEE10hipError_tPvRmT1_PNSt15iterator_traitsIS12_E10value_typeET2_T3_PNS13_IS18_E10value_typeET4_jRbjT5_S1E_jjP12ihipStream_tbEUljE_ZNSN_ISO_Lb1ESQ_SR_ST_SU_SY_EESZ_S10_S11_S12_S16_S17_S18_S1B_S1C_jS1D_jS1E_S1E_jjS1G_bEUljE0_EEESZ_S10_S11_S18_S1C_S1E_T6_T7_T9_mT8_S1G_bDpT10_ENKUlT_T0_E_clISt17integral_constantIbLb0EES1U_EEDaS1P_S1Q_EUlS1P_E_NS1_11comp_targetILNS1_3genE0ELNS1_11target_archE4294967295ELNS1_3gpuE0ELNS1_3repE0EEENS1_30default_config_static_selectorELNS0_4arch9wavefront6targetE0EEEvS12_
; %bb.0:
	.section	.rodata,"a",@progbits
	.p2align	6, 0x0
	.amdhsa_kernel _ZN7rocprim17ROCPRIM_400000_NS6detail17trampoline_kernelINS0_13select_configILj256ELj13ELNS0_17block_load_methodE3ELS4_3ELS4_3ELNS0_20block_scan_algorithmE0ELj4294967295EEENS1_25partition_config_selectorILNS1_17partition_subalgoE4EjNS0_10empty_typeEbEEZZNS1_14partition_implILS8_4ELb0ES6_15HIP_vector_typeIjLj2EENS0_17counting_iteratorIjlEEPS9_SG_NS0_5tupleIJPjSI_NS0_16reverse_iteratorISI_EEEEENSH_IJSG_SG_SG_EEES9_SI_JZNS1_25segmented_radix_sort_implINS0_14default_configELb1EPKsPsPKlPlN2at6native12_GLOBAL__N_18offset_tEEE10hipError_tPvRmT1_PNSt15iterator_traitsIS12_E10value_typeET2_T3_PNS13_IS18_E10value_typeET4_jRbjT5_S1E_jjP12ihipStream_tbEUljE_ZNSN_ISO_Lb1ESQ_SR_ST_SU_SY_EESZ_S10_S11_S12_S16_S17_S18_S1B_S1C_jS1D_jS1E_S1E_jjS1G_bEUljE0_EEESZ_S10_S11_S18_S1C_S1E_T6_T7_T9_mT8_S1G_bDpT10_ENKUlT_T0_E_clISt17integral_constantIbLb0EES1U_EEDaS1P_S1Q_EUlS1P_E_NS1_11comp_targetILNS1_3genE0ELNS1_11target_archE4294967295ELNS1_3gpuE0ELNS1_3repE0EEENS1_30default_config_static_selectorELNS0_4arch9wavefront6targetE0EEEvS12_
		.amdhsa_group_segment_fixed_size 0
		.amdhsa_private_segment_fixed_size 0
		.amdhsa_kernarg_size 176
		.amdhsa_user_sgpr_count 6
		.amdhsa_user_sgpr_private_segment_buffer 1
		.amdhsa_user_sgpr_dispatch_ptr 0
		.amdhsa_user_sgpr_queue_ptr 0
		.amdhsa_user_sgpr_kernarg_segment_ptr 1
		.amdhsa_user_sgpr_dispatch_id 0
		.amdhsa_user_sgpr_flat_scratch_init 0
		.amdhsa_user_sgpr_private_segment_size 0
		.amdhsa_wavefront_size32 1
		.amdhsa_uses_dynamic_stack 0
		.amdhsa_system_sgpr_private_segment_wavefront_offset 0
		.amdhsa_system_sgpr_workgroup_id_x 1
		.amdhsa_system_sgpr_workgroup_id_y 0
		.amdhsa_system_sgpr_workgroup_id_z 0
		.amdhsa_system_sgpr_workgroup_info 0
		.amdhsa_system_vgpr_workitem_id 0
		.amdhsa_next_free_vgpr 1
		.amdhsa_next_free_sgpr 1
		.amdhsa_reserve_vcc 0
		.amdhsa_reserve_flat_scratch 0
		.amdhsa_float_round_mode_32 0
		.amdhsa_float_round_mode_16_64 0
		.amdhsa_float_denorm_mode_32 3
		.amdhsa_float_denorm_mode_16_64 3
		.amdhsa_dx10_clamp 1
		.amdhsa_ieee_mode 1
		.amdhsa_fp16_overflow 0
		.amdhsa_workgroup_processor_mode 1
		.amdhsa_memory_ordered 1
		.amdhsa_forward_progress 1
		.amdhsa_shared_vgpr_count 0
		.amdhsa_exception_fp_ieee_invalid_op 0
		.amdhsa_exception_fp_denorm_src 0
		.amdhsa_exception_fp_ieee_div_zero 0
		.amdhsa_exception_fp_ieee_overflow 0
		.amdhsa_exception_fp_ieee_underflow 0
		.amdhsa_exception_fp_ieee_inexact 0
		.amdhsa_exception_int_div_zero 0
	.end_amdhsa_kernel
	.section	.text._ZN7rocprim17ROCPRIM_400000_NS6detail17trampoline_kernelINS0_13select_configILj256ELj13ELNS0_17block_load_methodE3ELS4_3ELS4_3ELNS0_20block_scan_algorithmE0ELj4294967295EEENS1_25partition_config_selectorILNS1_17partition_subalgoE4EjNS0_10empty_typeEbEEZZNS1_14partition_implILS8_4ELb0ES6_15HIP_vector_typeIjLj2EENS0_17counting_iteratorIjlEEPS9_SG_NS0_5tupleIJPjSI_NS0_16reverse_iteratorISI_EEEEENSH_IJSG_SG_SG_EEES9_SI_JZNS1_25segmented_radix_sort_implINS0_14default_configELb1EPKsPsPKlPlN2at6native12_GLOBAL__N_18offset_tEEE10hipError_tPvRmT1_PNSt15iterator_traitsIS12_E10value_typeET2_T3_PNS13_IS18_E10value_typeET4_jRbjT5_S1E_jjP12ihipStream_tbEUljE_ZNSN_ISO_Lb1ESQ_SR_ST_SU_SY_EESZ_S10_S11_S12_S16_S17_S18_S1B_S1C_jS1D_jS1E_S1E_jjS1G_bEUljE0_EEESZ_S10_S11_S18_S1C_S1E_T6_T7_T9_mT8_S1G_bDpT10_ENKUlT_T0_E_clISt17integral_constantIbLb0EES1U_EEDaS1P_S1Q_EUlS1P_E_NS1_11comp_targetILNS1_3genE0ELNS1_11target_archE4294967295ELNS1_3gpuE0ELNS1_3repE0EEENS1_30default_config_static_selectorELNS0_4arch9wavefront6targetE0EEEvS12_,"axG",@progbits,_ZN7rocprim17ROCPRIM_400000_NS6detail17trampoline_kernelINS0_13select_configILj256ELj13ELNS0_17block_load_methodE3ELS4_3ELS4_3ELNS0_20block_scan_algorithmE0ELj4294967295EEENS1_25partition_config_selectorILNS1_17partition_subalgoE4EjNS0_10empty_typeEbEEZZNS1_14partition_implILS8_4ELb0ES6_15HIP_vector_typeIjLj2EENS0_17counting_iteratorIjlEEPS9_SG_NS0_5tupleIJPjSI_NS0_16reverse_iteratorISI_EEEEENSH_IJSG_SG_SG_EEES9_SI_JZNS1_25segmented_radix_sort_implINS0_14default_configELb1EPKsPsPKlPlN2at6native12_GLOBAL__N_18offset_tEEE10hipError_tPvRmT1_PNSt15iterator_traitsIS12_E10value_typeET2_T3_PNS13_IS18_E10value_typeET4_jRbjT5_S1E_jjP12ihipStream_tbEUljE_ZNSN_ISO_Lb1ESQ_SR_ST_SU_SY_EESZ_S10_S11_S12_S16_S17_S18_S1B_S1C_jS1D_jS1E_S1E_jjS1G_bEUljE0_EEESZ_S10_S11_S18_S1C_S1E_T6_T7_T9_mT8_S1G_bDpT10_ENKUlT_T0_E_clISt17integral_constantIbLb0EES1U_EEDaS1P_S1Q_EUlS1P_E_NS1_11comp_targetILNS1_3genE0ELNS1_11target_archE4294967295ELNS1_3gpuE0ELNS1_3repE0EEENS1_30default_config_static_selectorELNS0_4arch9wavefront6targetE0EEEvS12_,comdat
.Lfunc_end841:
	.size	_ZN7rocprim17ROCPRIM_400000_NS6detail17trampoline_kernelINS0_13select_configILj256ELj13ELNS0_17block_load_methodE3ELS4_3ELS4_3ELNS0_20block_scan_algorithmE0ELj4294967295EEENS1_25partition_config_selectorILNS1_17partition_subalgoE4EjNS0_10empty_typeEbEEZZNS1_14partition_implILS8_4ELb0ES6_15HIP_vector_typeIjLj2EENS0_17counting_iteratorIjlEEPS9_SG_NS0_5tupleIJPjSI_NS0_16reverse_iteratorISI_EEEEENSH_IJSG_SG_SG_EEES9_SI_JZNS1_25segmented_radix_sort_implINS0_14default_configELb1EPKsPsPKlPlN2at6native12_GLOBAL__N_18offset_tEEE10hipError_tPvRmT1_PNSt15iterator_traitsIS12_E10value_typeET2_T3_PNS13_IS18_E10value_typeET4_jRbjT5_S1E_jjP12ihipStream_tbEUljE_ZNSN_ISO_Lb1ESQ_SR_ST_SU_SY_EESZ_S10_S11_S12_S16_S17_S18_S1B_S1C_jS1D_jS1E_S1E_jjS1G_bEUljE0_EEESZ_S10_S11_S18_S1C_S1E_T6_T7_T9_mT8_S1G_bDpT10_ENKUlT_T0_E_clISt17integral_constantIbLb0EES1U_EEDaS1P_S1Q_EUlS1P_E_NS1_11comp_targetILNS1_3genE0ELNS1_11target_archE4294967295ELNS1_3gpuE0ELNS1_3repE0EEENS1_30default_config_static_selectorELNS0_4arch9wavefront6targetE0EEEvS12_, .Lfunc_end841-_ZN7rocprim17ROCPRIM_400000_NS6detail17trampoline_kernelINS0_13select_configILj256ELj13ELNS0_17block_load_methodE3ELS4_3ELS4_3ELNS0_20block_scan_algorithmE0ELj4294967295EEENS1_25partition_config_selectorILNS1_17partition_subalgoE4EjNS0_10empty_typeEbEEZZNS1_14partition_implILS8_4ELb0ES6_15HIP_vector_typeIjLj2EENS0_17counting_iteratorIjlEEPS9_SG_NS0_5tupleIJPjSI_NS0_16reverse_iteratorISI_EEEEENSH_IJSG_SG_SG_EEES9_SI_JZNS1_25segmented_radix_sort_implINS0_14default_configELb1EPKsPsPKlPlN2at6native12_GLOBAL__N_18offset_tEEE10hipError_tPvRmT1_PNSt15iterator_traitsIS12_E10value_typeET2_T3_PNS13_IS18_E10value_typeET4_jRbjT5_S1E_jjP12ihipStream_tbEUljE_ZNSN_ISO_Lb1ESQ_SR_ST_SU_SY_EESZ_S10_S11_S12_S16_S17_S18_S1B_S1C_jS1D_jS1E_S1E_jjS1G_bEUljE0_EEESZ_S10_S11_S18_S1C_S1E_T6_T7_T9_mT8_S1G_bDpT10_ENKUlT_T0_E_clISt17integral_constantIbLb0EES1U_EEDaS1P_S1Q_EUlS1P_E_NS1_11comp_targetILNS1_3genE0ELNS1_11target_archE4294967295ELNS1_3gpuE0ELNS1_3repE0EEENS1_30default_config_static_selectorELNS0_4arch9wavefront6targetE0EEEvS12_
                                        ; -- End function
	.set _ZN7rocprim17ROCPRIM_400000_NS6detail17trampoline_kernelINS0_13select_configILj256ELj13ELNS0_17block_load_methodE3ELS4_3ELS4_3ELNS0_20block_scan_algorithmE0ELj4294967295EEENS1_25partition_config_selectorILNS1_17partition_subalgoE4EjNS0_10empty_typeEbEEZZNS1_14partition_implILS8_4ELb0ES6_15HIP_vector_typeIjLj2EENS0_17counting_iteratorIjlEEPS9_SG_NS0_5tupleIJPjSI_NS0_16reverse_iteratorISI_EEEEENSH_IJSG_SG_SG_EEES9_SI_JZNS1_25segmented_radix_sort_implINS0_14default_configELb1EPKsPsPKlPlN2at6native12_GLOBAL__N_18offset_tEEE10hipError_tPvRmT1_PNSt15iterator_traitsIS12_E10value_typeET2_T3_PNS13_IS18_E10value_typeET4_jRbjT5_S1E_jjP12ihipStream_tbEUljE_ZNSN_ISO_Lb1ESQ_SR_ST_SU_SY_EESZ_S10_S11_S12_S16_S17_S18_S1B_S1C_jS1D_jS1E_S1E_jjS1G_bEUljE0_EEESZ_S10_S11_S18_S1C_S1E_T6_T7_T9_mT8_S1G_bDpT10_ENKUlT_T0_E_clISt17integral_constantIbLb0EES1U_EEDaS1P_S1Q_EUlS1P_E_NS1_11comp_targetILNS1_3genE0ELNS1_11target_archE4294967295ELNS1_3gpuE0ELNS1_3repE0EEENS1_30default_config_static_selectorELNS0_4arch9wavefront6targetE0EEEvS12_.num_vgpr, 0
	.set _ZN7rocprim17ROCPRIM_400000_NS6detail17trampoline_kernelINS0_13select_configILj256ELj13ELNS0_17block_load_methodE3ELS4_3ELS4_3ELNS0_20block_scan_algorithmE0ELj4294967295EEENS1_25partition_config_selectorILNS1_17partition_subalgoE4EjNS0_10empty_typeEbEEZZNS1_14partition_implILS8_4ELb0ES6_15HIP_vector_typeIjLj2EENS0_17counting_iteratorIjlEEPS9_SG_NS0_5tupleIJPjSI_NS0_16reverse_iteratorISI_EEEEENSH_IJSG_SG_SG_EEES9_SI_JZNS1_25segmented_radix_sort_implINS0_14default_configELb1EPKsPsPKlPlN2at6native12_GLOBAL__N_18offset_tEEE10hipError_tPvRmT1_PNSt15iterator_traitsIS12_E10value_typeET2_T3_PNS13_IS18_E10value_typeET4_jRbjT5_S1E_jjP12ihipStream_tbEUljE_ZNSN_ISO_Lb1ESQ_SR_ST_SU_SY_EESZ_S10_S11_S12_S16_S17_S18_S1B_S1C_jS1D_jS1E_S1E_jjS1G_bEUljE0_EEESZ_S10_S11_S18_S1C_S1E_T6_T7_T9_mT8_S1G_bDpT10_ENKUlT_T0_E_clISt17integral_constantIbLb0EES1U_EEDaS1P_S1Q_EUlS1P_E_NS1_11comp_targetILNS1_3genE0ELNS1_11target_archE4294967295ELNS1_3gpuE0ELNS1_3repE0EEENS1_30default_config_static_selectorELNS0_4arch9wavefront6targetE0EEEvS12_.num_agpr, 0
	.set _ZN7rocprim17ROCPRIM_400000_NS6detail17trampoline_kernelINS0_13select_configILj256ELj13ELNS0_17block_load_methodE3ELS4_3ELS4_3ELNS0_20block_scan_algorithmE0ELj4294967295EEENS1_25partition_config_selectorILNS1_17partition_subalgoE4EjNS0_10empty_typeEbEEZZNS1_14partition_implILS8_4ELb0ES6_15HIP_vector_typeIjLj2EENS0_17counting_iteratorIjlEEPS9_SG_NS0_5tupleIJPjSI_NS0_16reverse_iteratorISI_EEEEENSH_IJSG_SG_SG_EEES9_SI_JZNS1_25segmented_radix_sort_implINS0_14default_configELb1EPKsPsPKlPlN2at6native12_GLOBAL__N_18offset_tEEE10hipError_tPvRmT1_PNSt15iterator_traitsIS12_E10value_typeET2_T3_PNS13_IS18_E10value_typeET4_jRbjT5_S1E_jjP12ihipStream_tbEUljE_ZNSN_ISO_Lb1ESQ_SR_ST_SU_SY_EESZ_S10_S11_S12_S16_S17_S18_S1B_S1C_jS1D_jS1E_S1E_jjS1G_bEUljE0_EEESZ_S10_S11_S18_S1C_S1E_T6_T7_T9_mT8_S1G_bDpT10_ENKUlT_T0_E_clISt17integral_constantIbLb0EES1U_EEDaS1P_S1Q_EUlS1P_E_NS1_11comp_targetILNS1_3genE0ELNS1_11target_archE4294967295ELNS1_3gpuE0ELNS1_3repE0EEENS1_30default_config_static_selectorELNS0_4arch9wavefront6targetE0EEEvS12_.numbered_sgpr, 0
	.set _ZN7rocprim17ROCPRIM_400000_NS6detail17trampoline_kernelINS0_13select_configILj256ELj13ELNS0_17block_load_methodE3ELS4_3ELS4_3ELNS0_20block_scan_algorithmE0ELj4294967295EEENS1_25partition_config_selectorILNS1_17partition_subalgoE4EjNS0_10empty_typeEbEEZZNS1_14partition_implILS8_4ELb0ES6_15HIP_vector_typeIjLj2EENS0_17counting_iteratorIjlEEPS9_SG_NS0_5tupleIJPjSI_NS0_16reverse_iteratorISI_EEEEENSH_IJSG_SG_SG_EEES9_SI_JZNS1_25segmented_radix_sort_implINS0_14default_configELb1EPKsPsPKlPlN2at6native12_GLOBAL__N_18offset_tEEE10hipError_tPvRmT1_PNSt15iterator_traitsIS12_E10value_typeET2_T3_PNS13_IS18_E10value_typeET4_jRbjT5_S1E_jjP12ihipStream_tbEUljE_ZNSN_ISO_Lb1ESQ_SR_ST_SU_SY_EESZ_S10_S11_S12_S16_S17_S18_S1B_S1C_jS1D_jS1E_S1E_jjS1G_bEUljE0_EEESZ_S10_S11_S18_S1C_S1E_T6_T7_T9_mT8_S1G_bDpT10_ENKUlT_T0_E_clISt17integral_constantIbLb0EES1U_EEDaS1P_S1Q_EUlS1P_E_NS1_11comp_targetILNS1_3genE0ELNS1_11target_archE4294967295ELNS1_3gpuE0ELNS1_3repE0EEENS1_30default_config_static_selectorELNS0_4arch9wavefront6targetE0EEEvS12_.num_named_barrier, 0
	.set _ZN7rocprim17ROCPRIM_400000_NS6detail17trampoline_kernelINS0_13select_configILj256ELj13ELNS0_17block_load_methodE3ELS4_3ELS4_3ELNS0_20block_scan_algorithmE0ELj4294967295EEENS1_25partition_config_selectorILNS1_17partition_subalgoE4EjNS0_10empty_typeEbEEZZNS1_14partition_implILS8_4ELb0ES6_15HIP_vector_typeIjLj2EENS0_17counting_iteratorIjlEEPS9_SG_NS0_5tupleIJPjSI_NS0_16reverse_iteratorISI_EEEEENSH_IJSG_SG_SG_EEES9_SI_JZNS1_25segmented_radix_sort_implINS0_14default_configELb1EPKsPsPKlPlN2at6native12_GLOBAL__N_18offset_tEEE10hipError_tPvRmT1_PNSt15iterator_traitsIS12_E10value_typeET2_T3_PNS13_IS18_E10value_typeET4_jRbjT5_S1E_jjP12ihipStream_tbEUljE_ZNSN_ISO_Lb1ESQ_SR_ST_SU_SY_EESZ_S10_S11_S12_S16_S17_S18_S1B_S1C_jS1D_jS1E_S1E_jjS1G_bEUljE0_EEESZ_S10_S11_S18_S1C_S1E_T6_T7_T9_mT8_S1G_bDpT10_ENKUlT_T0_E_clISt17integral_constantIbLb0EES1U_EEDaS1P_S1Q_EUlS1P_E_NS1_11comp_targetILNS1_3genE0ELNS1_11target_archE4294967295ELNS1_3gpuE0ELNS1_3repE0EEENS1_30default_config_static_selectorELNS0_4arch9wavefront6targetE0EEEvS12_.private_seg_size, 0
	.set _ZN7rocprim17ROCPRIM_400000_NS6detail17trampoline_kernelINS0_13select_configILj256ELj13ELNS0_17block_load_methodE3ELS4_3ELS4_3ELNS0_20block_scan_algorithmE0ELj4294967295EEENS1_25partition_config_selectorILNS1_17partition_subalgoE4EjNS0_10empty_typeEbEEZZNS1_14partition_implILS8_4ELb0ES6_15HIP_vector_typeIjLj2EENS0_17counting_iteratorIjlEEPS9_SG_NS0_5tupleIJPjSI_NS0_16reverse_iteratorISI_EEEEENSH_IJSG_SG_SG_EEES9_SI_JZNS1_25segmented_radix_sort_implINS0_14default_configELb1EPKsPsPKlPlN2at6native12_GLOBAL__N_18offset_tEEE10hipError_tPvRmT1_PNSt15iterator_traitsIS12_E10value_typeET2_T3_PNS13_IS18_E10value_typeET4_jRbjT5_S1E_jjP12ihipStream_tbEUljE_ZNSN_ISO_Lb1ESQ_SR_ST_SU_SY_EESZ_S10_S11_S12_S16_S17_S18_S1B_S1C_jS1D_jS1E_S1E_jjS1G_bEUljE0_EEESZ_S10_S11_S18_S1C_S1E_T6_T7_T9_mT8_S1G_bDpT10_ENKUlT_T0_E_clISt17integral_constantIbLb0EES1U_EEDaS1P_S1Q_EUlS1P_E_NS1_11comp_targetILNS1_3genE0ELNS1_11target_archE4294967295ELNS1_3gpuE0ELNS1_3repE0EEENS1_30default_config_static_selectorELNS0_4arch9wavefront6targetE0EEEvS12_.uses_vcc, 0
	.set _ZN7rocprim17ROCPRIM_400000_NS6detail17trampoline_kernelINS0_13select_configILj256ELj13ELNS0_17block_load_methodE3ELS4_3ELS4_3ELNS0_20block_scan_algorithmE0ELj4294967295EEENS1_25partition_config_selectorILNS1_17partition_subalgoE4EjNS0_10empty_typeEbEEZZNS1_14partition_implILS8_4ELb0ES6_15HIP_vector_typeIjLj2EENS0_17counting_iteratorIjlEEPS9_SG_NS0_5tupleIJPjSI_NS0_16reverse_iteratorISI_EEEEENSH_IJSG_SG_SG_EEES9_SI_JZNS1_25segmented_radix_sort_implINS0_14default_configELb1EPKsPsPKlPlN2at6native12_GLOBAL__N_18offset_tEEE10hipError_tPvRmT1_PNSt15iterator_traitsIS12_E10value_typeET2_T3_PNS13_IS18_E10value_typeET4_jRbjT5_S1E_jjP12ihipStream_tbEUljE_ZNSN_ISO_Lb1ESQ_SR_ST_SU_SY_EESZ_S10_S11_S12_S16_S17_S18_S1B_S1C_jS1D_jS1E_S1E_jjS1G_bEUljE0_EEESZ_S10_S11_S18_S1C_S1E_T6_T7_T9_mT8_S1G_bDpT10_ENKUlT_T0_E_clISt17integral_constantIbLb0EES1U_EEDaS1P_S1Q_EUlS1P_E_NS1_11comp_targetILNS1_3genE0ELNS1_11target_archE4294967295ELNS1_3gpuE0ELNS1_3repE0EEENS1_30default_config_static_selectorELNS0_4arch9wavefront6targetE0EEEvS12_.uses_flat_scratch, 0
	.set _ZN7rocprim17ROCPRIM_400000_NS6detail17trampoline_kernelINS0_13select_configILj256ELj13ELNS0_17block_load_methodE3ELS4_3ELS4_3ELNS0_20block_scan_algorithmE0ELj4294967295EEENS1_25partition_config_selectorILNS1_17partition_subalgoE4EjNS0_10empty_typeEbEEZZNS1_14partition_implILS8_4ELb0ES6_15HIP_vector_typeIjLj2EENS0_17counting_iteratorIjlEEPS9_SG_NS0_5tupleIJPjSI_NS0_16reverse_iteratorISI_EEEEENSH_IJSG_SG_SG_EEES9_SI_JZNS1_25segmented_radix_sort_implINS0_14default_configELb1EPKsPsPKlPlN2at6native12_GLOBAL__N_18offset_tEEE10hipError_tPvRmT1_PNSt15iterator_traitsIS12_E10value_typeET2_T3_PNS13_IS18_E10value_typeET4_jRbjT5_S1E_jjP12ihipStream_tbEUljE_ZNSN_ISO_Lb1ESQ_SR_ST_SU_SY_EESZ_S10_S11_S12_S16_S17_S18_S1B_S1C_jS1D_jS1E_S1E_jjS1G_bEUljE0_EEESZ_S10_S11_S18_S1C_S1E_T6_T7_T9_mT8_S1G_bDpT10_ENKUlT_T0_E_clISt17integral_constantIbLb0EES1U_EEDaS1P_S1Q_EUlS1P_E_NS1_11comp_targetILNS1_3genE0ELNS1_11target_archE4294967295ELNS1_3gpuE0ELNS1_3repE0EEENS1_30default_config_static_selectorELNS0_4arch9wavefront6targetE0EEEvS12_.has_dyn_sized_stack, 0
	.set _ZN7rocprim17ROCPRIM_400000_NS6detail17trampoline_kernelINS0_13select_configILj256ELj13ELNS0_17block_load_methodE3ELS4_3ELS4_3ELNS0_20block_scan_algorithmE0ELj4294967295EEENS1_25partition_config_selectorILNS1_17partition_subalgoE4EjNS0_10empty_typeEbEEZZNS1_14partition_implILS8_4ELb0ES6_15HIP_vector_typeIjLj2EENS0_17counting_iteratorIjlEEPS9_SG_NS0_5tupleIJPjSI_NS0_16reverse_iteratorISI_EEEEENSH_IJSG_SG_SG_EEES9_SI_JZNS1_25segmented_radix_sort_implINS0_14default_configELb1EPKsPsPKlPlN2at6native12_GLOBAL__N_18offset_tEEE10hipError_tPvRmT1_PNSt15iterator_traitsIS12_E10value_typeET2_T3_PNS13_IS18_E10value_typeET4_jRbjT5_S1E_jjP12ihipStream_tbEUljE_ZNSN_ISO_Lb1ESQ_SR_ST_SU_SY_EESZ_S10_S11_S12_S16_S17_S18_S1B_S1C_jS1D_jS1E_S1E_jjS1G_bEUljE0_EEESZ_S10_S11_S18_S1C_S1E_T6_T7_T9_mT8_S1G_bDpT10_ENKUlT_T0_E_clISt17integral_constantIbLb0EES1U_EEDaS1P_S1Q_EUlS1P_E_NS1_11comp_targetILNS1_3genE0ELNS1_11target_archE4294967295ELNS1_3gpuE0ELNS1_3repE0EEENS1_30default_config_static_selectorELNS0_4arch9wavefront6targetE0EEEvS12_.has_recursion, 0
	.set _ZN7rocprim17ROCPRIM_400000_NS6detail17trampoline_kernelINS0_13select_configILj256ELj13ELNS0_17block_load_methodE3ELS4_3ELS4_3ELNS0_20block_scan_algorithmE0ELj4294967295EEENS1_25partition_config_selectorILNS1_17partition_subalgoE4EjNS0_10empty_typeEbEEZZNS1_14partition_implILS8_4ELb0ES6_15HIP_vector_typeIjLj2EENS0_17counting_iteratorIjlEEPS9_SG_NS0_5tupleIJPjSI_NS0_16reverse_iteratorISI_EEEEENSH_IJSG_SG_SG_EEES9_SI_JZNS1_25segmented_radix_sort_implINS0_14default_configELb1EPKsPsPKlPlN2at6native12_GLOBAL__N_18offset_tEEE10hipError_tPvRmT1_PNSt15iterator_traitsIS12_E10value_typeET2_T3_PNS13_IS18_E10value_typeET4_jRbjT5_S1E_jjP12ihipStream_tbEUljE_ZNSN_ISO_Lb1ESQ_SR_ST_SU_SY_EESZ_S10_S11_S12_S16_S17_S18_S1B_S1C_jS1D_jS1E_S1E_jjS1G_bEUljE0_EEESZ_S10_S11_S18_S1C_S1E_T6_T7_T9_mT8_S1G_bDpT10_ENKUlT_T0_E_clISt17integral_constantIbLb0EES1U_EEDaS1P_S1Q_EUlS1P_E_NS1_11comp_targetILNS1_3genE0ELNS1_11target_archE4294967295ELNS1_3gpuE0ELNS1_3repE0EEENS1_30default_config_static_selectorELNS0_4arch9wavefront6targetE0EEEvS12_.has_indirect_call, 0
	.section	.AMDGPU.csdata,"",@progbits
; Kernel info:
; codeLenInByte = 0
; TotalNumSgprs: 0
; NumVgprs: 0
; ScratchSize: 0
; MemoryBound: 0
; FloatMode: 240
; IeeeMode: 1
; LDSByteSize: 0 bytes/workgroup (compile time only)
; SGPRBlocks: 0
; VGPRBlocks: 0
; NumSGPRsForWavesPerEU: 1
; NumVGPRsForWavesPerEU: 1
; Occupancy: 16
; WaveLimiterHint : 0
; COMPUTE_PGM_RSRC2:SCRATCH_EN: 0
; COMPUTE_PGM_RSRC2:USER_SGPR: 6
; COMPUTE_PGM_RSRC2:TRAP_HANDLER: 0
; COMPUTE_PGM_RSRC2:TGID_X_EN: 1
; COMPUTE_PGM_RSRC2:TGID_Y_EN: 0
; COMPUTE_PGM_RSRC2:TGID_Z_EN: 0
; COMPUTE_PGM_RSRC2:TIDIG_COMP_CNT: 0
	.section	.text._ZN7rocprim17ROCPRIM_400000_NS6detail17trampoline_kernelINS0_13select_configILj256ELj13ELNS0_17block_load_methodE3ELS4_3ELS4_3ELNS0_20block_scan_algorithmE0ELj4294967295EEENS1_25partition_config_selectorILNS1_17partition_subalgoE4EjNS0_10empty_typeEbEEZZNS1_14partition_implILS8_4ELb0ES6_15HIP_vector_typeIjLj2EENS0_17counting_iteratorIjlEEPS9_SG_NS0_5tupleIJPjSI_NS0_16reverse_iteratorISI_EEEEENSH_IJSG_SG_SG_EEES9_SI_JZNS1_25segmented_radix_sort_implINS0_14default_configELb1EPKsPsPKlPlN2at6native12_GLOBAL__N_18offset_tEEE10hipError_tPvRmT1_PNSt15iterator_traitsIS12_E10value_typeET2_T3_PNS13_IS18_E10value_typeET4_jRbjT5_S1E_jjP12ihipStream_tbEUljE_ZNSN_ISO_Lb1ESQ_SR_ST_SU_SY_EESZ_S10_S11_S12_S16_S17_S18_S1B_S1C_jS1D_jS1E_S1E_jjS1G_bEUljE0_EEESZ_S10_S11_S18_S1C_S1E_T6_T7_T9_mT8_S1G_bDpT10_ENKUlT_T0_E_clISt17integral_constantIbLb0EES1U_EEDaS1P_S1Q_EUlS1P_E_NS1_11comp_targetILNS1_3genE5ELNS1_11target_archE942ELNS1_3gpuE9ELNS1_3repE0EEENS1_30default_config_static_selectorELNS0_4arch9wavefront6targetE0EEEvS12_,"axG",@progbits,_ZN7rocprim17ROCPRIM_400000_NS6detail17trampoline_kernelINS0_13select_configILj256ELj13ELNS0_17block_load_methodE3ELS4_3ELS4_3ELNS0_20block_scan_algorithmE0ELj4294967295EEENS1_25partition_config_selectorILNS1_17partition_subalgoE4EjNS0_10empty_typeEbEEZZNS1_14partition_implILS8_4ELb0ES6_15HIP_vector_typeIjLj2EENS0_17counting_iteratorIjlEEPS9_SG_NS0_5tupleIJPjSI_NS0_16reverse_iteratorISI_EEEEENSH_IJSG_SG_SG_EEES9_SI_JZNS1_25segmented_radix_sort_implINS0_14default_configELb1EPKsPsPKlPlN2at6native12_GLOBAL__N_18offset_tEEE10hipError_tPvRmT1_PNSt15iterator_traitsIS12_E10value_typeET2_T3_PNS13_IS18_E10value_typeET4_jRbjT5_S1E_jjP12ihipStream_tbEUljE_ZNSN_ISO_Lb1ESQ_SR_ST_SU_SY_EESZ_S10_S11_S12_S16_S17_S18_S1B_S1C_jS1D_jS1E_S1E_jjS1G_bEUljE0_EEESZ_S10_S11_S18_S1C_S1E_T6_T7_T9_mT8_S1G_bDpT10_ENKUlT_T0_E_clISt17integral_constantIbLb0EES1U_EEDaS1P_S1Q_EUlS1P_E_NS1_11comp_targetILNS1_3genE5ELNS1_11target_archE942ELNS1_3gpuE9ELNS1_3repE0EEENS1_30default_config_static_selectorELNS0_4arch9wavefront6targetE0EEEvS12_,comdat
	.globl	_ZN7rocprim17ROCPRIM_400000_NS6detail17trampoline_kernelINS0_13select_configILj256ELj13ELNS0_17block_load_methodE3ELS4_3ELS4_3ELNS0_20block_scan_algorithmE0ELj4294967295EEENS1_25partition_config_selectorILNS1_17partition_subalgoE4EjNS0_10empty_typeEbEEZZNS1_14partition_implILS8_4ELb0ES6_15HIP_vector_typeIjLj2EENS0_17counting_iteratorIjlEEPS9_SG_NS0_5tupleIJPjSI_NS0_16reverse_iteratorISI_EEEEENSH_IJSG_SG_SG_EEES9_SI_JZNS1_25segmented_radix_sort_implINS0_14default_configELb1EPKsPsPKlPlN2at6native12_GLOBAL__N_18offset_tEEE10hipError_tPvRmT1_PNSt15iterator_traitsIS12_E10value_typeET2_T3_PNS13_IS18_E10value_typeET4_jRbjT5_S1E_jjP12ihipStream_tbEUljE_ZNSN_ISO_Lb1ESQ_SR_ST_SU_SY_EESZ_S10_S11_S12_S16_S17_S18_S1B_S1C_jS1D_jS1E_S1E_jjS1G_bEUljE0_EEESZ_S10_S11_S18_S1C_S1E_T6_T7_T9_mT8_S1G_bDpT10_ENKUlT_T0_E_clISt17integral_constantIbLb0EES1U_EEDaS1P_S1Q_EUlS1P_E_NS1_11comp_targetILNS1_3genE5ELNS1_11target_archE942ELNS1_3gpuE9ELNS1_3repE0EEENS1_30default_config_static_selectorELNS0_4arch9wavefront6targetE0EEEvS12_ ; -- Begin function _ZN7rocprim17ROCPRIM_400000_NS6detail17trampoline_kernelINS0_13select_configILj256ELj13ELNS0_17block_load_methodE3ELS4_3ELS4_3ELNS0_20block_scan_algorithmE0ELj4294967295EEENS1_25partition_config_selectorILNS1_17partition_subalgoE4EjNS0_10empty_typeEbEEZZNS1_14partition_implILS8_4ELb0ES6_15HIP_vector_typeIjLj2EENS0_17counting_iteratorIjlEEPS9_SG_NS0_5tupleIJPjSI_NS0_16reverse_iteratorISI_EEEEENSH_IJSG_SG_SG_EEES9_SI_JZNS1_25segmented_radix_sort_implINS0_14default_configELb1EPKsPsPKlPlN2at6native12_GLOBAL__N_18offset_tEEE10hipError_tPvRmT1_PNSt15iterator_traitsIS12_E10value_typeET2_T3_PNS13_IS18_E10value_typeET4_jRbjT5_S1E_jjP12ihipStream_tbEUljE_ZNSN_ISO_Lb1ESQ_SR_ST_SU_SY_EESZ_S10_S11_S12_S16_S17_S18_S1B_S1C_jS1D_jS1E_S1E_jjS1G_bEUljE0_EEESZ_S10_S11_S18_S1C_S1E_T6_T7_T9_mT8_S1G_bDpT10_ENKUlT_T0_E_clISt17integral_constantIbLb0EES1U_EEDaS1P_S1Q_EUlS1P_E_NS1_11comp_targetILNS1_3genE5ELNS1_11target_archE942ELNS1_3gpuE9ELNS1_3repE0EEENS1_30default_config_static_selectorELNS0_4arch9wavefront6targetE0EEEvS12_
	.p2align	8
	.type	_ZN7rocprim17ROCPRIM_400000_NS6detail17trampoline_kernelINS0_13select_configILj256ELj13ELNS0_17block_load_methodE3ELS4_3ELS4_3ELNS0_20block_scan_algorithmE0ELj4294967295EEENS1_25partition_config_selectorILNS1_17partition_subalgoE4EjNS0_10empty_typeEbEEZZNS1_14partition_implILS8_4ELb0ES6_15HIP_vector_typeIjLj2EENS0_17counting_iteratorIjlEEPS9_SG_NS0_5tupleIJPjSI_NS0_16reverse_iteratorISI_EEEEENSH_IJSG_SG_SG_EEES9_SI_JZNS1_25segmented_radix_sort_implINS0_14default_configELb1EPKsPsPKlPlN2at6native12_GLOBAL__N_18offset_tEEE10hipError_tPvRmT1_PNSt15iterator_traitsIS12_E10value_typeET2_T3_PNS13_IS18_E10value_typeET4_jRbjT5_S1E_jjP12ihipStream_tbEUljE_ZNSN_ISO_Lb1ESQ_SR_ST_SU_SY_EESZ_S10_S11_S12_S16_S17_S18_S1B_S1C_jS1D_jS1E_S1E_jjS1G_bEUljE0_EEESZ_S10_S11_S18_S1C_S1E_T6_T7_T9_mT8_S1G_bDpT10_ENKUlT_T0_E_clISt17integral_constantIbLb0EES1U_EEDaS1P_S1Q_EUlS1P_E_NS1_11comp_targetILNS1_3genE5ELNS1_11target_archE942ELNS1_3gpuE9ELNS1_3repE0EEENS1_30default_config_static_selectorELNS0_4arch9wavefront6targetE0EEEvS12_,@function
_ZN7rocprim17ROCPRIM_400000_NS6detail17trampoline_kernelINS0_13select_configILj256ELj13ELNS0_17block_load_methodE3ELS4_3ELS4_3ELNS0_20block_scan_algorithmE0ELj4294967295EEENS1_25partition_config_selectorILNS1_17partition_subalgoE4EjNS0_10empty_typeEbEEZZNS1_14partition_implILS8_4ELb0ES6_15HIP_vector_typeIjLj2EENS0_17counting_iteratorIjlEEPS9_SG_NS0_5tupleIJPjSI_NS0_16reverse_iteratorISI_EEEEENSH_IJSG_SG_SG_EEES9_SI_JZNS1_25segmented_radix_sort_implINS0_14default_configELb1EPKsPsPKlPlN2at6native12_GLOBAL__N_18offset_tEEE10hipError_tPvRmT1_PNSt15iterator_traitsIS12_E10value_typeET2_T3_PNS13_IS18_E10value_typeET4_jRbjT5_S1E_jjP12ihipStream_tbEUljE_ZNSN_ISO_Lb1ESQ_SR_ST_SU_SY_EESZ_S10_S11_S12_S16_S17_S18_S1B_S1C_jS1D_jS1E_S1E_jjS1G_bEUljE0_EEESZ_S10_S11_S18_S1C_S1E_T6_T7_T9_mT8_S1G_bDpT10_ENKUlT_T0_E_clISt17integral_constantIbLb0EES1U_EEDaS1P_S1Q_EUlS1P_E_NS1_11comp_targetILNS1_3genE5ELNS1_11target_archE942ELNS1_3gpuE9ELNS1_3repE0EEENS1_30default_config_static_selectorELNS0_4arch9wavefront6targetE0EEEvS12_: ; @_ZN7rocprim17ROCPRIM_400000_NS6detail17trampoline_kernelINS0_13select_configILj256ELj13ELNS0_17block_load_methodE3ELS4_3ELS4_3ELNS0_20block_scan_algorithmE0ELj4294967295EEENS1_25partition_config_selectorILNS1_17partition_subalgoE4EjNS0_10empty_typeEbEEZZNS1_14partition_implILS8_4ELb0ES6_15HIP_vector_typeIjLj2EENS0_17counting_iteratorIjlEEPS9_SG_NS0_5tupleIJPjSI_NS0_16reverse_iteratorISI_EEEEENSH_IJSG_SG_SG_EEES9_SI_JZNS1_25segmented_radix_sort_implINS0_14default_configELb1EPKsPsPKlPlN2at6native12_GLOBAL__N_18offset_tEEE10hipError_tPvRmT1_PNSt15iterator_traitsIS12_E10value_typeET2_T3_PNS13_IS18_E10value_typeET4_jRbjT5_S1E_jjP12ihipStream_tbEUljE_ZNSN_ISO_Lb1ESQ_SR_ST_SU_SY_EESZ_S10_S11_S12_S16_S17_S18_S1B_S1C_jS1D_jS1E_S1E_jjS1G_bEUljE0_EEESZ_S10_S11_S18_S1C_S1E_T6_T7_T9_mT8_S1G_bDpT10_ENKUlT_T0_E_clISt17integral_constantIbLb0EES1U_EEDaS1P_S1Q_EUlS1P_E_NS1_11comp_targetILNS1_3genE5ELNS1_11target_archE942ELNS1_3gpuE9ELNS1_3repE0EEENS1_30default_config_static_selectorELNS0_4arch9wavefront6targetE0EEEvS12_
; %bb.0:
	.section	.rodata,"a",@progbits
	.p2align	6, 0x0
	.amdhsa_kernel _ZN7rocprim17ROCPRIM_400000_NS6detail17trampoline_kernelINS0_13select_configILj256ELj13ELNS0_17block_load_methodE3ELS4_3ELS4_3ELNS0_20block_scan_algorithmE0ELj4294967295EEENS1_25partition_config_selectorILNS1_17partition_subalgoE4EjNS0_10empty_typeEbEEZZNS1_14partition_implILS8_4ELb0ES6_15HIP_vector_typeIjLj2EENS0_17counting_iteratorIjlEEPS9_SG_NS0_5tupleIJPjSI_NS0_16reverse_iteratorISI_EEEEENSH_IJSG_SG_SG_EEES9_SI_JZNS1_25segmented_radix_sort_implINS0_14default_configELb1EPKsPsPKlPlN2at6native12_GLOBAL__N_18offset_tEEE10hipError_tPvRmT1_PNSt15iterator_traitsIS12_E10value_typeET2_T3_PNS13_IS18_E10value_typeET4_jRbjT5_S1E_jjP12ihipStream_tbEUljE_ZNSN_ISO_Lb1ESQ_SR_ST_SU_SY_EESZ_S10_S11_S12_S16_S17_S18_S1B_S1C_jS1D_jS1E_S1E_jjS1G_bEUljE0_EEESZ_S10_S11_S18_S1C_S1E_T6_T7_T9_mT8_S1G_bDpT10_ENKUlT_T0_E_clISt17integral_constantIbLb0EES1U_EEDaS1P_S1Q_EUlS1P_E_NS1_11comp_targetILNS1_3genE5ELNS1_11target_archE942ELNS1_3gpuE9ELNS1_3repE0EEENS1_30default_config_static_selectorELNS0_4arch9wavefront6targetE0EEEvS12_
		.amdhsa_group_segment_fixed_size 0
		.amdhsa_private_segment_fixed_size 0
		.amdhsa_kernarg_size 176
		.amdhsa_user_sgpr_count 6
		.amdhsa_user_sgpr_private_segment_buffer 1
		.amdhsa_user_sgpr_dispatch_ptr 0
		.amdhsa_user_sgpr_queue_ptr 0
		.amdhsa_user_sgpr_kernarg_segment_ptr 1
		.amdhsa_user_sgpr_dispatch_id 0
		.amdhsa_user_sgpr_flat_scratch_init 0
		.amdhsa_user_sgpr_private_segment_size 0
		.amdhsa_wavefront_size32 1
		.amdhsa_uses_dynamic_stack 0
		.amdhsa_system_sgpr_private_segment_wavefront_offset 0
		.amdhsa_system_sgpr_workgroup_id_x 1
		.amdhsa_system_sgpr_workgroup_id_y 0
		.amdhsa_system_sgpr_workgroup_id_z 0
		.amdhsa_system_sgpr_workgroup_info 0
		.amdhsa_system_vgpr_workitem_id 0
		.amdhsa_next_free_vgpr 1
		.amdhsa_next_free_sgpr 1
		.amdhsa_reserve_vcc 0
		.amdhsa_reserve_flat_scratch 0
		.amdhsa_float_round_mode_32 0
		.amdhsa_float_round_mode_16_64 0
		.amdhsa_float_denorm_mode_32 3
		.amdhsa_float_denorm_mode_16_64 3
		.amdhsa_dx10_clamp 1
		.amdhsa_ieee_mode 1
		.amdhsa_fp16_overflow 0
		.amdhsa_workgroup_processor_mode 1
		.amdhsa_memory_ordered 1
		.amdhsa_forward_progress 1
		.amdhsa_shared_vgpr_count 0
		.amdhsa_exception_fp_ieee_invalid_op 0
		.amdhsa_exception_fp_denorm_src 0
		.amdhsa_exception_fp_ieee_div_zero 0
		.amdhsa_exception_fp_ieee_overflow 0
		.amdhsa_exception_fp_ieee_underflow 0
		.amdhsa_exception_fp_ieee_inexact 0
		.amdhsa_exception_int_div_zero 0
	.end_amdhsa_kernel
	.section	.text._ZN7rocprim17ROCPRIM_400000_NS6detail17trampoline_kernelINS0_13select_configILj256ELj13ELNS0_17block_load_methodE3ELS4_3ELS4_3ELNS0_20block_scan_algorithmE0ELj4294967295EEENS1_25partition_config_selectorILNS1_17partition_subalgoE4EjNS0_10empty_typeEbEEZZNS1_14partition_implILS8_4ELb0ES6_15HIP_vector_typeIjLj2EENS0_17counting_iteratorIjlEEPS9_SG_NS0_5tupleIJPjSI_NS0_16reverse_iteratorISI_EEEEENSH_IJSG_SG_SG_EEES9_SI_JZNS1_25segmented_radix_sort_implINS0_14default_configELb1EPKsPsPKlPlN2at6native12_GLOBAL__N_18offset_tEEE10hipError_tPvRmT1_PNSt15iterator_traitsIS12_E10value_typeET2_T3_PNS13_IS18_E10value_typeET4_jRbjT5_S1E_jjP12ihipStream_tbEUljE_ZNSN_ISO_Lb1ESQ_SR_ST_SU_SY_EESZ_S10_S11_S12_S16_S17_S18_S1B_S1C_jS1D_jS1E_S1E_jjS1G_bEUljE0_EEESZ_S10_S11_S18_S1C_S1E_T6_T7_T9_mT8_S1G_bDpT10_ENKUlT_T0_E_clISt17integral_constantIbLb0EES1U_EEDaS1P_S1Q_EUlS1P_E_NS1_11comp_targetILNS1_3genE5ELNS1_11target_archE942ELNS1_3gpuE9ELNS1_3repE0EEENS1_30default_config_static_selectorELNS0_4arch9wavefront6targetE0EEEvS12_,"axG",@progbits,_ZN7rocprim17ROCPRIM_400000_NS6detail17trampoline_kernelINS0_13select_configILj256ELj13ELNS0_17block_load_methodE3ELS4_3ELS4_3ELNS0_20block_scan_algorithmE0ELj4294967295EEENS1_25partition_config_selectorILNS1_17partition_subalgoE4EjNS0_10empty_typeEbEEZZNS1_14partition_implILS8_4ELb0ES6_15HIP_vector_typeIjLj2EENS0_17counting_iteratorIjlEEPS9_SG_NS0_5tupleIJPjSI_NS0_16reverse_iteratorISI_EEEEENSH_IJSG_SG_SG_EEES9_SI_JZNS1_25segmented_radix_sort_implINS0_14default_configELb1EPKsPsPKlPlN2at6native12_GLOBAL__N_18offset_tEEE10hipError_tPvRmT1_PNSt15iterator_traitsIS12_E10value_typeET2_T3_PNS13_IS18_E10value_typeET4_jRbjT5_S1E_jjP12ihipStream_tbEUljE_ZNSN_ISO_Lb1ESQ_SR_ST_SU_SY_EESZ_S10_S11_S12_S16_S17_S18_S1B_S1C_jS1D_jS1E_S1E_jjS1G_bEUljE0_EEESZ_S10_S11_S18_S1C_S1E_T6_T7_T9_mT8_S1G_bDpT10_ENKUlT_T0_E_clISt17integral_constantIbLb0EES1U_EEDaS1P_S1Q_EUlS1P_E_NS1_11comp_targetILNS1_3genE5ELNS1_11target_archE942ELNS1_3gpuE9ELNS1_3repE0EEENS1_30default_config_static_selectorELNS0_4arch9wavefront6targetE0EEEvS12_,comdat
.Lfunc_end842:
	.size	_ZN7rocprim17ROCPRIM_400000_NS6detail17trampoline_kernelINS0_13select_configILj256ELj13ELNS0_17block_load_methodE3ELS4_3ELS4_3ELNS0_20block_scan_algorithmE0ELj4294967295EEENS1_25partition_config_selectorILNS1_17partition_subalgoE4EjNS0_10empty_typeEbEEZZNS1_14partition_implILS8_4ELb0ES6_15HIP_vector_typeIjLj2EENS0_17counting_iteratorIjlEEPS9_SG_NS0_5tupleIJPjSI_NS0_16reverse_iteratorISI_EEEEENSH_IJSG_SG_SG_EEES9_SI_JZNS1_25segmented_radix_sort_implINS0_14default_configELb1EPKsPsPKlPlN2at6native12_GLOBAL__N_18offset_tEEE10hipError_tPvRmT1_PNSt15iterator_traitsIS12_E10value_typeET2_T3_PNS13_IS18_E10value_typeET4_jRbjT5_S1E_jjP12ihipStream_tbEUljE_ZNSN_ISO_Lb1ESQ_SR_ST_SU_SY_EESZ_S10_S11_S12_S16_S17_S18_S1B_S1C_jS1D_jS1E_S1E_jjS1G_bEUljE0_EEESZ_S10_S11_S18_S1C_S1E_T6_T7_T9_mT8_S1G_bDpT10_ENKUlT_T0_E_clISt17integral_constantIbLb0EES1U_EEDaS1P_S1Q_EUlS1P_E_NS1_11comp_targetILNS1_3genE5ELNS1_11target_archE942ELNS1_3gpuE9ELNS1_3repE0EEENS1_30default_config_static_selectorELNS0_4arch9wavefront6targetE0EEEvS12_, .Lfunc_end842-_ZN7rocprim17ROCPRIM_400000_NS6detail17trampoline_kernelINS0_13select_configILj256ELj13ELNS0_17block_load_methodE3ELS4_3ELS4_3ELNS0_20block_scan_algorithmE0ELj4294967295EEENS1_25partition_config_selectorILNS1_17partition_subalgoE4EjNS0_10empty_typeEbEEZZNS1_14partition_implILS8_4ELb0ES6_15HIP_vector_typeIjLj2EENS0_17counting_iteratorIjlEEPS9_SG_NS0_5tupleIJPjSI_NS0_16reverse_iteratorISI_EEEEENSH_IJSG_SG_SG_EEES9_SI_JZNS1_25segmented_radix_sort_implINS0_14default_configELb1EPKsPsPKlPlN2at6native12_GLOBAL__N_18offset_tEEE10hipError_tPvRmT1_PNSt15iterator_traitsIS12_E10value_typeET2_T3_PNS13_IS18_E10value_typeET4_jRbjT5_S1E_jjP12ihipStream_tbEUljE_ZNSN_ISO_Lb1ESQ_SR_ST_SU_SY_EESZ_S10_S11_S12_S16_S17_S18_S1B_S1C_jS1D_jS1E_S1E_jjS1G_bEUljE0_EEESZ_S10_S11_S18_S1C_S1E_T6_T7_T9_mT8_S1G_bDpT10_ENKUlT_T0_E_clISt17integral_constantIbLb0EES1U_EEDaS1P_S1Q_EUlS1P_E_NS1_11comp_targetILNS1_3genE5ELNS1_11target_archE942ELNS1_3gpuE9ELNS1_3repE0EEENS1_30default_config_static_selectorELNS0_4arch9wavefront6targetE0EEEvS12_
                                        ; -- End function
	.set _ZN7rocprim17ROCPRIM_400000_NS6detail17trampoline_kernelINS0_13select_configILj256ELj13ELNS0_17block_load_methodE3ELS4_3ELS4_3ELNS0_20block_scan_algorithmE0ELj4294967295EEENS1_25partition_config_selectorILNS1_17partition_subalgoE4EjNS0_10empty_typeEbEEZZNS1_14partition_implILS8_4ELb0ES6_15HIP_vector_typeIjLj2EENS0_17counting_iteratorIjlEEPS9_SG_NS0_5tupleIJPjSI_NS0_16reverse_iteratorISI_EEEEENSH_IJSG_SG_SG_EEES9_SI_JZNS1_25segmented_radix_sort_implINS0_14default_configELb1EPKsPsPKlPlN2at6native12_GLOBAL__N_18offset_tEEE10hipError_tPvRmT1_PNSt15iterator_traitsIS12_E10value_typeET2_T3_PNS13_IS18_E10value_typeET4_jRbjT5_S1E_jjP12ihipStream_tbEUljE_ZNSN_ISO_Lb1ESQ_SR_ST_SU_SY_EESZ_S10_S11_S12_S16_S17_S18_S1B_S1C_jS1D_jS1E_S1E_jjS1G_bEUljE0_EEESZ_S10_S11_S18_S1C_S1E_T6_T7_T9_mT8_S1G_bDpT10_ENKUlT_T0_E_clISt17integral_constantIbLb0EES1U_EEDaS1P_S1Q_EUlS1P_E_NS1_11comp_targetILNS1_3genE5ELNS1_11target_archE942ELNS1_3gpuE9ELNS1_3repE0EEENS1_30default_config_static_selectorELNS0_4arch9wavefront6targetE0EEEvS12_.num_vgpr, 0
	.set _ZN7rocprim17ROCPRIM_400000_NS6detail17trampoline_kernelINS0_13select_configILj256ELj13ELNS0_17block_load_methodE3ELS4_3ELS4_3ELNS0_20block_scan_algorithmE0ELj4294967295EEENS1_25partition_config_selectorILNS1_17partition_subalgoE4EjNS0_10empty_typeEbEEZZNS1_14partition_implILS8_4ELb0ES6_15HIP_vector_typeIjLj2EENS0_17counting_iteratorIjlEEPS9_SG_NS0_5tupleIJPjSI_NS0_16reverse_iteratorISI_EEEEENSH_IJSG_SG_SG_EEES9_SI_JZNS1_25segmented_radix_sort_implINS0_14default_configELb1EPKsPsPKlPlN2at6native12_GLOBAL__N_18offset_tEEE10hipError_tPvRmT1_PNSt15iterator_traitsIS12_E10value_typeET2_T3_PNS13_IS18_E10value_typeET4_jRbjT5_S1E_jjP12ihipStream_tbEUljE_ZNSN_ISO_Lb1ESQ_SR_ST_SU_SY_EESZ_S10_S11_S12_S16_S17_S18_S1B_S1C_jS1D_jS1E_S1E_jjS1G_bEUljE0_EEESZ_S10_S11_S18_S1C_S1E_T6_T7_T9_mT8_S1G_bDpT10_ENKUlT_T0_E_clISt17integral_constantIbLb0EES1U_EEDaS1P_S1Q_EUlS1P_E_NS1_11comp_targetILNS1_3genE5ELNS1_11target_archE942ELNS1_3gpuE9ELNS1_3repE0EEENS1_30default_config_static_selectorELNS0_4arch9wavefront6targetE0EEEvS12_.num_agpr, 0
	.set _ZN7rocprim17ROCPRIM_400000_NS6detail17trampoline_kernelINS0_13select_configILj256ELj13ELNS0_17block_load_methodE3ELS4_3ELS4_3ELNS0_20block_scan_algorithmE0ELj4294967295EEENS1_25partition_config_selectorILNS1_17partition_subalgoE4EjNS0_10empty_typeEbEEZZNS1_14partition_implILS8_4ELb0ES6_15HIP_vector_typeIjLj2EENS0_17counting_iteratorIjlEEPS9_SG_NS0_5tupleIJPjSI_NS0_16reverse_iteratorISI_EEEEENSH_IJSG_SG_SG_EEES9_SI_JZNS1_25segmented_radix_sort_implINS0_14default_configELb1EPKsPsPKlPlN2at6native12_GLOBAL__N_18offset_tEEE10hipError_tPvRmT1_PNSt15iterator_traitsIS12_E10value_typeET2_T3_PNS13_IS18_E10value_typeET4_jRbjT5_S1E_jjP12ihipStream_tbEUljE_ZNSN_ISO_Lb1ESQ_SR_ST_SU_SY_EESZ_S10_S11_S12_S16_S17_S18_S1B_S1C_jS1D_jS1E_S1E_jjS1G_bEUljE0_EEESZ_S10_S11_S18_S1C_S1E_T6_T7_T9_mT8_S1G_bDpT10_ENKUlT_T0_E_clISt17integral_constantIbLb0EES1U_EEDaS1P_S1Q_EUlS1P_E_NS1_11comp_targetILNS1_3genE5ELNS1_11target_archE942ELNS1_3gpuE9ELNS1_3repE0EEENS1_30default_config_static_selectorELNS0_4arch9wavefront6targetE0EEEvS12_.numbered_sgpr, 0
	.set _ZN7rocprim17ROCPRIM_400000_NS6detail17trampoline_kernelINS0_13select_configILj256ELj13ELNS0_17block_load_methodE3ELS4_3ELS4_3ELNS0_20block_scan_algorithmE0ELj4294967295EEENS1_25partition_config_selectorILNS1_17partition_subalgoE4EjNS0_10empty_typeEbEEZZNS1_14partition_implILS8_4ELb0ES6_15HIP_vector_typeIjLj2EENS0_17counting_iteratorIjlEEPS9_SG_NS0_5tupleIJPjSI_NS0_16reverse_iteratorISI_EEEEENSH_IJSG_SG_SG_EEES9_SI_JZNS1_25segmented_radix_sort_implINS0_14default_configELb1EPKsPsPKlPlN2at6native12_GLOBAL__N_18offset_tEEE10hipError_tPvRmT1_PNSt15iterator_traitsIS12_E10value_typeET2_T3_PNS13_IS18_E10value_typeET4_jRbjT5_S1E_jjP12ihipStream_tbEUljE_ZNSN_ISO_Lb1ESQ_SR_ST_SU_SY_EESZ_S10_S11_S12_S16_S17_S18_S1B_S1C_jS1D_jS1E_S1E_jjS1G_bEUljE0_EEESZ_S10_S11_S18_S1C_S1E_T6_T7_T9_mT8_S1G_bDpT10_ENKUlT_T0_E_clISt17integral_constantIbLb0EES1U_EEDaS1P_S1Q_EUlS1P_E_NS1_11comp_targetILNS1_3genE5ELNS1_11target_archE942ELNS1_3gpuE9ELNS1_3repE0EEENS1_30default_config_static_selectorELNS0_4arch9wavefront6targetE0EEEvS12_.num_named_barrier, 0
	.set _ZN7rocprim17ROCPRIM_400000_NS6detail17trampoline_kernelINS0_13select_configILj256ELj13ELNS0_17block_load_methodE3ELS4_3ELS4_3ELNS0_20block_scan_algorithmE0ELj4294967295EEENS1_25partition_config_selectorILNS1_17partition_subalgoE4EjNS0_10empty_typeEbEEZZNS1_14partition_implILS8_4ELb0ES6_15HIP_vector_typeIjLj2EENS0_17counting_iteratorIjlEEPS9_SG_NS0_5tupleIJPjSI_NS0_16reverse_iteratorISI_EEEEENSH_IJSG_SG_SG_EEES9_SI_JZNS1_25segmented_radix_sort_implINS0_14default_configELb1EPKsPsPKlPlN2at6native12_GLOBAL__N_18offset_tEEE10hipError_tPvRmT1_PNSt15iterator_traitsIS12_E10value_typeET2_T3_PNS13_IS18_E10value_typeET4_jRbjT5_S1E_jjP12ihipStream_tbEUljE_ZNSN_ISO_Lb1ESQ_SR_ST_SU_SY_EESZ_S10_S11_S12_S16_S17_S18_S1B_S1C_jS1D_jS1E_S1E_jjS1G_bEUljE0_EEESZ_S10_S11_S18_S1C_S1E_T6_T7_T9_mT8_S1G_bDpT10_ENKUlT_T0_E_clISt17integral_constantIbLb0EES1U_EEDaS1P_S1Q_EUlS1P_E_NS1_11comp_targetILNS1_3genE5ELNS1_11target_archE942ELNS1_3gpuE9ELNS1_3repE0EEENS1_30default_config_static_selectorELNS0_4arch9wavefront6targetE0EEEvS12_.private_seg_size, 0
	.set _ZN7rocprim17ROCPRIM_400000_NS6detail17trampoline_kernelINS0_13select_configILj256ELj13ELNS0_17block_load_methodE3ELS4_3ELS4_3ELNS0_20block_scan_algorithmE0ELj4294967295EEENS1_25partition_config_selectorILNS1_17partition_subalgoE4EjNS0_10empty_typeEbEEZZNS1_14partition_implILS8_4ELb0ES6_15HIP_vector_typeIjLj2EENS0_17counting_iteratorIjlEEPS9_SG_NS0_5tupleIJPjSI_NS0_16reverse_iteratorISI_EEEEENSH_IJSG_SG_SG_EEES9_SI_JZNS1_25segmented_radix_sort_implINS0_14default_configELb1EPKsPsPKlPlN2at6native12_GLOBAL__N_18offset_tEEE10hipError_tPvRmT1_PNSt15iterator_traitsIS12_E10value_typeET2_T3_PNS13_IS18_E10value_typeET4_jRbjT5_S1E_jjP12ihipStream_tbEUljE_ZNSN_ISO_Lb1ESQ_SR_ST_SU_SY_EESZ_S10_S11_S12_S16_S17_S18_S1B_S1C_jS1D_jS1E_S1E_jjS1G_bEUljE0_EEESZ_S10_S11_S18_S1C_S1E_T6_T7_T9_mT8_S1G_bDpT10_ENKUlT_T0_E_clISt17integral_constantIbLb0EES1U_EEDaS1P_S1Q_EUlS1P_E_NS1_11comp_targetILNS1_3genE5ELNS1_11target_archE942ELNS1_3gpuE9ELNS1_3repE0EEENS1_30default_config_static_selectorELNS0_4arch9wavefront6targetE0EEEvS12_.uses_vcc, 0
	.set _ZN7rocprim17ROCPRIM_400000_NS6detail17trampoline_kernelINS0_13select_configILj256ELj13ELNS0_17block_load_methodE3ELS4_3ELS4_3ELNS0_20block_scan_algorithmE0ELj4294967295EEENS1_25partition_config_selectorILNS1_17partition_subalgoE4EjNS0_10empty_typeEbEEZZNS1_14partition_implILS8_4ELb0ES6_15HIP_vector_typeIjLj2EENS0_17counting_iteratorIjlEEPS9_SG_NS0_5tupleIJPjSI_NS0_16reverse_iteratorISI_EEEEENSH_IJSG_SG_SG_EEES9_SI_JZNS1_25segmented_radix_sort_implINS0_14default_configELb1EPKsPsPKlPlN2at6native12_GLOBAL__N_18offset_tEEE10hipError_tPvRmT1_PNSt15iterator_traitsIS12_E10value_typeET2_T3_PNS13_IS18_E10value_typeET4_jRbjT5_S1E_jjP12ihipStream_tbEUljE_ZNSN_ISO_Lb1ESQ_SR_ST_SU_SY_EESZ_S10_S11_S12_S16_S17_S18_S1B_S1C_jS1D_jS1E_S1E_jjS1G_bEUljE0_EEESZ_S10_S11_S18_S1C_S1E_T6_T7_T9_mT8_S1G_bDpT10_ENKUlT_T0_E_clISt17integral_constantIbLb0EES1U_EEDaS1P_S1Q_EUlS1P_E_NS1_11comp_targetILNS1_3genE5ELNS1_11target_archE942ELNS1_3gpuE9ELNS1_3repE0EEENS1_30default_config_static_selectorELNS0_4arch9wavefront6targetE0EEEvS12_.uses_flat_scratch, 0
	.set _ZN7rocprim17ROCPRIM_400000_NS6detail17trampoline_kernelINS0_13select_configILj256ELj13ELNS0_17block_load_methodE3ELS4_3ELS4_3ELNS0_20block_scan_algorithmE0ELj4294967295EEENS1_25partition_config_selectorILNS1_17partition_subalgoE4EjNS0_10empty_typeEbEEZZNS1_14partition_implILS8_4ELb0ES6_15HIP_vector_typeIjLj2EENS0_17counting_iteratorIjlEEPS9_SG_NS0_5tupleIJPjSI_NS0_16reverse_iteratorISI_EEEEENSH_IJSG_SG_SG_EEES9_SI_JZNS1_25segmented_radix_sort_implINS0_14default_configELb1EPKsPsPKlPlN2at6native12_GLOBAL__N_18offset_tEEE10hipError_tPvRmT1_PNSt15iterator_traitsIS12_E10value_typeET2_T3_PNS13_IS18_E10value_typeET4_jRbjT5_S1E_jjP12ihipStream_tbEUljE_ZNSN_ISO_Lb1ESQ_SR_ST_SU_SY_EESZ_S10_S11_S12_S16_S17_S18_S1B_S1C_jS1D_jS1E_S1E_jjS1G_bEUljE0_EEESZ_S10_S11_S18_S1C_S1E_T6_T7_T9_mT8_S1G_bDpT10_ENKUlT_T0_E_clISt17integral_constantIbLb0EES1U_EEDaS1P_S1Q_EUlS1P_E_NS1_11comp_targetILNS1_3genE5ELNS1_11target_archE942ELNS1_3gpuE9ELNS1_3repE0EEENS1_30default_config_static_selectorELNS0_4arch9wavefront6targetE0EEEvS12_.has_dyn_sized_stack, 0
	.set _ZN7rocprim17ROCPRIM_400000_NS6detail17trampoline_kernelINS0_13select_configILj256ELj13ELNS0_17block_load_methodE3ELS4_3ELS4_3ELNS0_20block_scan_algorithmE0ELj4294967295EEENS1_25partition_config_selectorILNS1_17partition_subalgoE4EjNS0_10empty_typeEbEEZZNS1_14partition_implILS8_4ELb0ES6_15HIP_vector_typeIjLj2EENS0_17counting_iteratorIjlEEPS9_SG_NS0_5tupleIJPjSI_NS0_16reverse_iteratorISI_EEEEENSH_IJSG_SG_SG_EEES9_SI_JZNS1_25segmented_radix_sort_implINS0_14default_configELb1EPKsPsPKlPlN2at6native12_GLOBAL__N_18offset_tEEE10hipError_tPvRmT1_PNSt15iterator_traitsIS12_E10value_typeET2_T3_PNS13_IS18_E10value_typeET4_jRbjT5_S1E_jjP12ihipStream_tbEUljE_ZNSN_ISO_Lb1ESQ_SR_ST_SU_SY_EESZ_S10_S11_S12_S16_S17_S18_S1B_S1C_jS1D_jS1E_S1E_jjS1G_bEUljE0_EEESZ_S10_S11_S18_S1C_S1E_T6_T7_T9_mT8_S1G_bDpT10_ENKUlT_T0_E_clISt17integral_constantIbLb0EES1U_EEDaS1P_S1Q_EUlS1P_E_NS1_11comp_targetILNS1_3genE5ELNS1_11target_archE942ELNS1_3gpuE9ELNS1_3repE0EEENS1_30default_config_static_selectorELNS0_4arch9wavefront6targetE0EEEvS12_.has_recursion, 0
	.set _ZN7rocprim17ROCPRIM_400000_NS6detail17trampoline_kernelINS0_13select_configILj256ELj13ELNS0_17block_load_methodE3ELS4_3ELS4_3ELNS0_20block_scan_algorithmE0ELj4294967295EEENS1_25partition_config_selectorILNS1_17partition_subalgoE4EjNS0_10empty_typeEbEEZZNS1_14partition_implILS8_4ELb0ES6_15HIP_vector_typeIjLj2EENS0_17counting_iteratorIjlEEPS9_SG_NS0_5tupleIJPjSI_NS0_16reverse_iteratorISI_EEEEENSH_IJSG_SG_SG_EEES9_SI_JZNS1_25segmented_radix_sort_implINS0_14default_configELb1EPKsPsPKlPlN2at6native12_GLOBAL__N_18offset_tEEE10hipError_tPvRmT1_PNSt15iterator_traitsIS12_E10value_typeET2_T3_PNS13_IS18_E10value_typeET4_jRbjT5_S1E_jjP12ihipStream_tbEUljE_ZNSN_ISO_Lb1ESQ_SR_ST_SU_SY_EESZ_S10_S11_S12_S16_S17_S18_S1B_S1C_jS1D_jS1E_S1E_jjS1G_bEUljE0_EEESZ_S10_S11_S18_S1C_S1E_T6_T7_T9_mT8_S1G_bDpT10_ENKUlT_T0_E_clISt17integral_constantIbLb0EES1U_EEDaS1P_S1Q_EUlS1P_E_NS1_11comp_targetILNS1_3genE5ELNS1_11target_archE942ELNS1_3gpuE9ELNS1_3repE0EEENS1_30default_config_static_selectorELNS0_4arch9wavefront6targetE0EEEvS12_.has_indirect_call, 0
	.section	.AMDGPU.csdata,"",@progbits
; Kernel info:
; codeLenInByte = 0
; TotalNumSgprs: 0
; NumVgprs: 0
; ScratchSize: 0
; MemoryBound: 0
; FloatMode: 240
; IeeeMode: 1
; LDSByteSize: 0 bytes/workgroup (compile time only)
; SGPRBlocks: 0
; VGPRBlocks: 0
; NumSGPRsForWavesPerEU: 1
; NumVGPRsForWavesPerEU: 1
; Occupancy: 16
; WaveLimiterHint : 0
; COMPUTE_PGM_RSRC2:SCRATCH_EN: 0
; COMPUTE_PGM_RSRC2:USER_SGPR: 6
; COMPUTE_PGM_RSRC2:TRAP_HANDLER: 0
; COMPUTE_PGM_RSRC2:TGID_X_EN: 1
; COMPUTE_PGM_RSRC2:TGID_Y_EN: 0
; COMPUTE_PGM_RSRC2:TGID_Z_EN: 0
; COMPUTE_PGM_RSRC2:TIDIG_COMP_CNT: 0
	.section	.text._ZN7rocprim17ROCPRIM_400000_NS6detail17trampoline_kernelINS0_13select_configILj256ELj13ELNS0_17block_load_methodE3ELS4_3ELS4_3ELNS0_20block_scan_algorithmE0ELj4294967295EEENS1_25partition_config_selectorILNS1_17partition_subalgoE4EjNS0_10empty_typeEbEEZZNS1_14partition_implILS8_4ELb0ES6_15HIP_vector_typeIjLj2EENS0_17counting_iteratorIjlEEPS9_SG_NS0_5tupleIJPjSI_NS0_16reverse_iteratorISI_EEEEENSH_IJSG_SG_SG_EEES9_SI_JZNS1_25segmented_radix_sort_implINS0_14default_configELb1EPKsPsPKlPlN2at6native12_GLOBAL__N_18offset_tEEE10hipError_tPvRmT1_PNSt15iterator_traitsIS12_E10value_typeET2_T3_PNS13_IS18_E10value_typeET4_jRbjT5_S1E_jjP12ihipStream_tbEUljE_ZNSN_ISO_Lb1ESQ_SR_ST_SU_SY_EESZ_S10_S11_S12_S16_S17_S18_S1B_S1C_jS1D_jS1E_S1E_jjS1G_bEUljE0_EEESZ_S10_S11_S18_S1C_S1E_T6_T7_T9_mT8_S1G_bDpT10_ENKUlT_T0_E_clISt17integral_constantIbLb0EES1U_EEDaS1P_S1Q_EUlS1P_E_NS1_11comp_targetILNS1_3genE4ELNS1_11target_archE910ELNS1_3gpuE8ELNS1_3repE0EEENS1_30default_config_static_selectorELNS0_4arch9wavefront6targetE0EEEvS12_,"axG",@progbits,_ZN7rocprim17ROCPRIM_400000_NS6detail17trampoline_kernelINS0_13select_configILj256ELj13ELNS0_17block_load_methodE3ELS4_3ELS4_3ELNS0_20block_scan_algorithmE0ELj4294967295EEENS1_25partition_config_selectorILNS1_17partition_subalgoE4EjNS0_10empty_typeEbEEZZNS1_14partition_implILS8_4ELb0ES6_15HIP_vector_typeIjLj2EENS0_17counting_iteratorIjlEEPS9_SG_NS0_5tupleIJPjSI_NS0_16reverse_iteratorISI_EEEEENSH_IJSG_SG_SG_EEES9_SI_JZNS1_25segmented_radix_sort_implINS0_14default_configELb1EPKsPsPKlPlN2at6native12_GLOBAL__N_18offset_tEEE10hipError_tPvRmT1_PNSt15iterator_traitsIS12_E10value_typeET2_T3_PNS13_IS18_E10value_typeET4_jRbjT5_S1E_jjP12ihipStream_tbEUljE_ZNSN_ISO_Lb1ESQ_SR_ST_SU_SY_EESZ_S10_S11_S12_S16_S17_S18_S1B_S1C_jS1D_jS1E_S1E_jjS1G_bEUljE0_EEESZ_S10_S11_S18_S1C_S1E_T6_T7_T9_mT8_S1G_bDpT10_ENKUlT_T0_E_clISt17integral_constantIbLb0EES1U_EEDaS1P_S1Q_EUlS1P_E_NS1_11comp_targetILNS1_3genE4ELNS1_11target_archE910ELNS1_3gpuE8ELNS1_3repE0EEENS1_30default_config_static_selectorELNS0_4arch9wavefront6targetE0EEEvS12_,comdat
	.globl	_ZN7rocprim17ROCPRIM_400000_NS6detail17trampoline_kernelINS0_13select_configILj256ELj13ELNS0_17block_load_methodE3ELS4_3ELS4_3ELNS0_20block_scan_algorithmE0ELj4294967295EEENS1_25partition_config_selectorILNS1_17partition_subalgoE4EjNS0_10empty_typeEbEEZZNS1_14partition_implILS8_4ELb0ES6_15HIP_vector_typeIjLj2EENS0_17counting_iteratorIjlEEPS9_SG_NS0_5tupleIJPjSI_NS0_16reverse_iteratorISI_EEEEENSH_IJSG_SG_SG_EEES9_SI_JZNS1_25segmented_radix_sort_implINS0_14default_configELb1EPKsPsPKlPlN2at6native12_GLOBAL__N_18offset_tEEE10hipError_tPvRmT1_PNSt15iterator_traitsIS12_E10value_typeET2_T3_PNS13_IS18_E10value_typeET4_jRbjT5_S1E_jjP12ihipStream_tbEUljE_ZNSN_ISO_Lb1ESQ_SR_ST_SU_SY_EESZ_S10_S11_S12_S16_S17_S18_S1B_S1C_jS1D_jS1E_S1E_jjS1G_bEUljE0_EEESZ_S10_S11_S18_S1C_S1E_T6_T7_T9_mT8_S1G_bDpT10_ENKUlT_T0_E_clISt17integral_constantIbLb0EES1U_EEDaS1P_S1Q_EUlS1P_E_NS1_11comp_targetILNS1_3genE4ELNS1_11target_archE910ELNS1_3gpuE8ELNS1_3repE0EEENS1_30default_config_static_selectorELNS0_4arch9wavefront6targetE0EEEvS12_ ; -- Begin function _ZN7rocprim17ROCPRIM_400000_NS6detail17trampoline_kernelINS0_13select_configILj256ELj13ELNS0_17block_load_methodE3ELS4_3ELS4_3ELNS0_20block_scan_algorithmE0ELj4294967295EEENS1_25partition_config_selectorILNS1_17partition_subalgoE4EjNS0_10empty_typeEbEEZZNS1_14partition_implILS8_4ELb0ES6_15HIP_vector_typeIjLj2EENS0_17counting_iteratorIjlEEPS9_SG_NS0_5tupleIJPjSI_NS0_16reverse_iteratorISI_EEEEENSH_IJSG_SG_SG_EEES9_SI_JZNS1_25segmented_radix_sort_implINS0_14default_configELb1EPKsPsPKlPlN2at6native12_GLOBAL__N_18offset_tEEE10hipError_tPvRmT1_PNSt15iterator_traitsIS12_E10value_typeET2_T3_PNS13_IS18_E10value_typeET4_jRbjT5_S1E_jjP12ihipStream_tbEUljE_ZNSN_ISO_Lb1ESQ_SR_ST_SU_SY_EESZ_S10_S11_S12_S16_S17_S18_S1B_S1C_jS1D_jS1E_S1E_jjS1G_bEUljE0_EEESZ_S10_S11_S18_S1C_S1E_T6_T7_T9_mT8_S1G_bDpT10_ENKUlT_T0_E_clISt17integral_constantIbLb0EES1U_EEDaS1P_S1Q_EUlS1P_E_NS1_11comp_targetILNS1_3genE4ELNS1_11target_archE910ELNS1_3gpuE8ELNS1_3repE0EEENS1_30default_config_static_selectorELNS0_4arch9wavefront6targetE0EEEvS12_
	.p2align	8
	.type	_ZN7rocprim17ROCPRIM_400000_NS6detail17trampoline_kernelINS0_13select_configILj256ELj13ELNS0_17block_load_methodE3ELS4_3ELS4_3ELNS0_20block_scan_algorithmE0ELj4294967295EEENS1_25partition_config_selectorILNS1_17partition_subalgoE4EjNS0_10empty_typeEbEEZZNS1_14partition_implILS8_4ELb0ES6_15HIP_vector_typeIjLj2EENS0_17counting_iteratorIjlEEPS9_SG_NS0_5tupleIJPjSI_NS0_16reverse_iteratorISI_EEEEENSH_IJSG_SG_SG_EEES9_SI_JZNS1_25segmented_radix_sort_implINS0_14default_configELb1EPKsPsPKlPlN2at6native12_GLOBAL__N_18offset_tEEE10hipError_tPvRmT1_PNSt15iterator_traitsIS12_E10value_typeET2_T3_PNS13_IS18_E10value_typeET4_jRbjT5_S1E_jjP12ihipStream_tbEUljE_ZNSN_ISO_Lb1ESQ_SR_ST_SU_SY_EESZ_S10_S11_S12_S16_S17_S18_S1B_S1C_jS1D_jS1E_S1E_jjS1G_bEUljE0_EEESZ_S10_S11_S18_S1C_S1E_T6_T7_T9_mT8_S1G_bDpT10_ENKUlT_T0_E_clISt17integral_constantIbLb0EES1U_EEDaS1P_S1Q_EUlS1P_E_NS1_11comp_targetILNS1_3genE4ELNS1_11target_archE910ELNS1_3gpuE8ELNS1_3repE0EEENS1_30default_config_static_selectorELNS0_4arch9wavefront6targetE0EEEvS12_,@function
_ZN7rocprim17ROCPRIM_400000_NS6detail17trampoline_kernelINS0_13select_configILj256ELj13ELNS0_17block_load_methodE3ELS4_3ELS4_3ELNS0_20block_scan_algorithmE0ELj4294967295EEENS1_25partition_config_selectorILNS1_17partition_subalgoE4EjNS0_10empty_typeEbEEZZNS1_14partition_implILS8_4ELb0ES6_15HIP_vector_typeIjLj2EENS0_17counting_iteratorIjlEEPS9_SG_NS0_5tupleIJPjSI_NS0_16reverse_iteratorISI_EEEEENSH_IJSG_SG_SG_EEES9_SI_JZNS1_25segmented_radix_sort_implINS0_14default_configELb1EPKsPsPKlPlN2at6native12_GLOBAL__N_18offset_tEEE10hipError_tPvRmT1_PNSt15iterator_traitsIS12_E10value_typeET2_T3_PNS13_IS18_E10value_typeET4_jRbjT5_S1E_jjP12ihipStream_tbEUljE_ZNSN_ISO_Lb1ESQ_SR_ST_SU_SY_EESZ_S10_S11_S12_S16_S17_S18_S1B_S1C_jS1D_jS1E_S1E_jjS1G_bEUljE0_EEESZ_S10_S11_S18_S1C_S1E_T6_T7_T9_mT8_S1G_bDpT10_ENKUlT_T0_E_clISt17integral_constantIbLb0EES1U_EEDaS1P_S1Q_EUlS1P_E_NS1_11comp_targetILNS1_3genE4ELNS1_11target_archE910ELNS1_3gpuE8ELNS1_3repE0EEENS1_30default_config_static_selectorELNS0_4arch9wavefront6targetE0EEEvS12_: ; @_ZN7rocprim17ROCPRIM_400000_NS6detail17trampoline_kernelINS0_13select_configILj256ELj13ELNS0_17block_load_methodE3ELS4_3ELS4_3ELNS0_20block_scan_algorithmE0ELj4294967295EEENS1_25partition_config_selectorILNS1_17partition_subalgoE4EjNS0_10empty_typeEbEEZZNS1_14partition_implILS8_4ELb0ES6_15HIP_vector_typeIjLj2EENS0_17counting_iteratorIjlEEPS9_SG_NS0_5tupleIJPjSI_NS0_16reverse_iteratorISI_EEEEENSH_IJSG_SG_SG_EEES9_SI_JZNS1_25segmented_radix_sort_implINS0_14default_configELb1EPKsPsPKlPlN2at6native12_GLOBAL__N_18offset_tEEE10hipError_tPvRmT1_PNSt15iterator_traitsIS12_E10value_typeET2_T3_PNS13_IS18_E10value_typeET4_jRbjT5_S1E_jjP12ihipStream_tbEUljE_ZNSN_ISO_Lb1ESQ_SR_ST_SU_SY_EESZ_S10_S11_S12_S16_S17_S18_S1B_S1C_jS1D_jS1E_S1E_jjS1G_bEUljE0_EEESZ_S10_S11_S18_S1C_S1E_T6_T7_T9_mT8_S1G_bDpT10_ENKUlT_T0_E_clISt17integral_constantIbLb0EES1U_EEDaS1P_S1Q_EUlS1P_E_NS1_11comp_targetILNS1_3genE4ELNS1_11target_archE910ELNS1_3gpuE8ELNS1_3repE0EEENS1_30default_config_static_selectorELNS0_4arch9wavefront6targetE0EEEvS12_
; %bb.0:
	.section	.rodata,"a",@progbits
	.p2align	6, 0x0
	.amdhsa_kernel _ZN7rocprim17ROCPRIM_400000_NS6detail17trampoline_kernelINS0_13select_configILj256ELj13ELNS0_17block_load_methodE3ELS4_3ELS4_3ELNS0_20block_scan_algorithmE0ELj4294967295EEENS1_25partition_config_selectorILNS1_17partition_subalgoE4EjNS0_10empty_typeEbEEZZNS1_14partition_implILS8_4ELb0ES6_15HIP_vector_typeIjLj2EENS0_17counting_iteratorIjlEEPS9_SG_NS0_5tupleIJPjSI_NS0_16reverse_iteratorISI_EEEEENSH_IJSG_SG_SG_EEES9_SI_JZNS1_25segmented_radix_sort_implINS0_14default_configELb1EPKsPsPKlPlN2at6native12_GLOBAL__N_18offset_tEEE10hipError_tPvRmT1_PNSt15iterator_traitsIS12_E10value_typeET2_T3_PNS13_IS18_E10value_typeET4_jRbjT5_S1E_jjP12ihipStream_tbEUljE_ZNSN_ISO_Lb1ESQ_SR_ST_SU_SY_EESZ_S10_S11_S12_S16_S17_S18_S1B_S1C_jS1D_jS1E_S1E_jjS1G_bEUljE0_EEESZ_S10_S11_S18_S1C_S1E_T6_T7_T9_mT8_S1G_bDpT10_ENKUlT_T0_E_clISt17integral_constantIbLb0EES1U_EEDaS1P_S1Q_EUlS1P_E_NS1_11comp_targetILNS1_3genE4ELNS1_11target_archE910ELNS1_3gpuE8ELNS1_3repE0EEENS1_30default_config_static_selectorELNS0_4arch9wavefront6targetE0EEEvS12_
		.amdhsa_group_segment_fixed_size 0
		.amdhsa_private_segment_fixed_size 0
		.amdhsa_kernarg_size 176
		.amdhsa_user_sgpr_count 6
		.amdhsa_user_sgpr_private_segment_buffer 1
		.amdhsa_user_sgpr_dispatch_ptr 0
		.amdhsa_user_sgpr_queue_ptr 0
		.amdhsa_user_sgpr_kernarg_segment_ptr 1
		.amdhsa_user_sgpr_dispatch_id 0
		.amdhsa_user_sgpr_flat_scratch_init 0
		.amdhsa_user_sgpr_private_segment_size 0
		.amdhsa_wavefront_size32 1
		.amdhsa_uses_dynamic_stack 0
		.amdhsa_system_sgpr_private_segment_wavefront_offset 0
		.amdhsa_system_sgpr_workgroup_id_x 1
		.amdhsa_system_sgpr_workgroup_id_y 0
		.amdhsa_system_sgpr_workgroup_id_z 0
		.amdhsa_system_sgpr_workgroup_info 0
		.amdhsa_system_vgpr_workitem_id 0
		.amdhsa_next_free_vgpr 1
		.amdhsa_next_free_sgpr 1
		.amdhsa_reserve_vcc 0
		.amdhsa_reserve_flat_scratch 0
		.amdhsa_float_round_mode_32 0
		.amdhsa_float_round_mode_16_64 0
		.amdhsa_float_denorm_mode_32 3
		.amdhsa_float_denorm_mode_16_64 3
		.amdhsa_dx10_clamp 1
		.amdhsa_ieee_mode 1
		.amdhsa_fp16_overflow 0
		.amdhsa_workgroup_processor_mode 1
		.amdhsa_memory_ordered 1
		.amdhsa_forward_progress 1
		.amdhsa_shared_vgpr_count 0
		.amdhsa_exception_fp_ieee_invalid_op 0
		.amdhsa_exception_fp_denorm_src 0
		.amdhsa_exception_fp_ieee_div_zero 0
		.amdhsa_exception_fp_ieee_overflow 0
		.amdhsa_exception_fp_ieee_underflow 0
		.amdhsa_exception_fp_ieee_inexact 0
		.amdhsa_exception_int_div_zero 0
	.end_amdhsa_kernel
	.section	.text._ZN7rocprim17ROCPRIM_400000_NS6detail17trampoline_kernelINS0_13select_configILj256ELj13ELNS0_17block_load_methodE3ELS4_3ELS4_3ELNS0_20block_scan_algorithmE0ELj4294967295EEENS1_25partition_config_selectorILNS1_17partition_subalgoE4EjNS0_10empty_typeEbEEZZNS1_14partition_implILS8_4ELb0ES6_15HIP_vector_typeIjLj2EENS0_17counting_iteratorIjlEEPS9_SG_NS0_5tupleIJPjSI_NS0_16reverse_iteratorISI_EEEEENSH_IJSG_SG_SG_EEES9_SI_JZNS1_25segmented_radix_sort_implINS0_14default_configELb1EPKsPsPKlPlN2at6native12_GLOBAL__N_18offset_tEEE10hipError_tPvRmT1_PNSt15iterator_traitsIS12_E10value_typeET2_T3_PNS13_IS18_E10value_typeET4_jRbjT5_S1E_jjP12ihipStream_tbEUljE_ZNSN_ISO_Lb1ESQ_SR_ST_SU_SY_EESZ_S10_S11_S12_S16_S17_S18_S1B_S1C_jS1D_jS1E_S1E_jjS1G_bEUljE0_EEESZ_S10_S11_S18_S1C_S1E_T6_T7_T9_mT8_S1G_bDpT10_ENKUlT_T0_E_clISt17integral_constantIbLb0EES1U_EEDaS1P_S1Q_EUlS1P_E_NS1_11comp_targetILNS1_3genE4ELNS1_11target_archE910ELNS1_3gpuE8ELNS1_3repE0EEENS1_30default_config_static_selectorELNS0_4arch9wavefront6targetE0EEEvS12_,"axG",@progbits,_ZN7rocprim17ROCPRIM_400000_NS6detail17trampoline_kernelINS0_13select_configILj256ELj13ELNS0_17block_load_methodE3ELS4_3ELS4_3ELNS0_20block_scan_algorithmE0ELj4294967295EEENS1_25partition_config_selectorILNS1_17partition_subalgoE4EjNS0_10empty_typeEbEEZZNS1_14partition_implILS8_4ELb0ES6_15HIP_vector_typeIjLj2EENS0_17counting_iteratorIjlEEPS9_SG_NS0_5tupleIJPjSI_NS0_16reverse_iteratorISI_EEEEENSH_IJSG_SG_SG_EEES9_SI_JZNS1_25segmented_radix_sort_implINS0_14default_configELb1EPKsPsPKlPlN2at6native12_GLOBAL__N_18offset_tEEE10hipError_tPvRmT1_PNSt15iterator_traitsIS12_E10value_typeET2_T3_PNS13_IS18_E10value_typeET4_jRbjT5_S1E_jjP12ihipStream_tbEUljE_ZNSN_ISO_Lb1ESQ_SR_ST_SU_SY_EESZ_S10_S11_S12_S16_S17_S18_S1B_S1C_jS1D_jS1E_S1E_jjS1G_bEUljE0_EEESZ_S10_S11_S18_S1C_S1E_T6_T7_T9_mT8_S1G_bDpT10_ENKUlT_T0_E_clISt17integral_constantIbLb0EES1U_EEDaS1P_S1Q_EUlS1P_E_NS1_11comp_targetILNS1_3genE4ELNS1_11target_archE910ELNS1_3gpuE8ELNS1_3repE0EEENS1_30default_config_static_selectorELNS0_4arch9wavefront6targetE0EEEvS12_,comdat
.Lfunc_end843:
	.size	_ZN7rocprim17ROCPRIM_400000_NS6detail17trampoline_kernelINS0_13select_configILj256ELj13ELNS0_17block_load_methodE3ELS4_3ELS4_3ELNS0_20block_scan_algorithmE0ELj4294967295EEENS1_25partition_config_selectorILNS1_17partition_subalgoE4EjNS0_10empty_typeEbEEZZNS1_14partition_implILS8_4ELb0ES6_15HIP_vector_typeIjLj2EENS0_17counting_iteratorIjlEEPS9_SG_NS0_5tupleIJPjSI_NS0_16reverse_iteratorISI_EEEEENSH_IJSG_SG_SG_EEES9_SI_JZNS1_25segmented_radix_sort_implINS0_14default_configELb1EPKsPsPKlPlN2at6native12_GLOBAL__N_18offset_tEEE10hipError_tPvRmT1_PNSt15iterator_traitsIS12_E10value_typeET2_T3_PNS13_IS18_E10value_typeET4_jRbjT5_S1E_jjP12ihipStream_tbEUljE_ZNSN_ISO_Lb1ESQ_SR_ST_SU_SY_EESZ_S10_S11_S12_S16_S17_S18_S1B_S1C_jS1D_jS1E_S1E_jjS1G_bEUljE0_EEESZ_S10_S11_S18_S1C_S1E_T6_T7_T9_mT8_S1G_bDpT10_ENKUlT_T0_E_clISt17integral_constantIbLb0EES1U_EEDaS1P_S1Q_EUlS1P_E_NS1_11comp_targetILNS1_3genE4ELNS1_11target_archE910ELNS1_3gpuE8ELNS1_3repE0EEENS1_30default_config_static_selectorELNS0_4arch9wavefront6targetE0EEEvS12_, .Lfunc_end843-_ZN7rocprim17ROCPRIM_400000_NS6detail17trampoline_kernelINS0_13select_configILj256ELj13ELNS0_17block_load_methodE3ELS4_3ELS4_3ELNS0_20block_scan_algorithmE0ELj4294967295EEENS1_25partition_config_selectorILNS1_17partition_subalgoE4EjNS0_10empty_typeEbEEZZNS1_14partition_implILS8_4ELb0ES6_15HIP_vector_typeIjLj2EENS0_17counting_iteratorIjlEEPS9_SG_NS0_5tupleIJPjSI_NS0_16reverse_iteratorISI_EEEEENSH_IJSG_SG_SG_EEES9_SI_JZNS1_25segmented_radix_sort_implINS0_14default_configELb1EPKsPsPKlPlN2at6native12_GLOBAL__N_18offset_tEEE10hipError_tPvRmT1_PNSt15iterator_traitsIS12_E10value_typeET2_T3_PNS13_IS18_E10value_typeET4_jRbjT5_S1E_jjP12ihipStream_tbEUljE_ZNSN_ISO_Lb1ESQ_SR_ST_SU_SY_EESZ_S10_S11_S12_S16_S17_S18_S1B_S1C_jS1D_jS1E_S1E_jjS1G_bEUljE0_EEESZ_S10_S11_S18_S1C_S1E_T6_T7_T9_mT8_S1G_bDpT10_ENKUlT_T0_E_clISt17integral_constantIbLb0EES1U_EEDaS1P_S1Q_EUlS1P_E_NS1_11comp_targetILNS1_3genE4ELNS1_11target_archE910ELNS1_3gpuE8ELNS1_3repE0EEENS1_30default_config_static_selectorELNS0_4arch9wavefront6targetE0EEEvS12_
                                        ; -- End function
	.set _ZN7rocprim17ROCPRIM_400000_NS6detail17trampoline_kernelINS0_13select_configILj256ELj13ELNS0_17block_load_methodE3ELS4_3ELS4_3ELNS0_20block_scan_algorithmE0ELj4294967295EEENS1_25partition_config_selectorILNS1_17partition_subalgoE4EjNS0_10empty_typeEbEEZZNS1_14partition_implILS8_4ELb0ES6_15HIP_vector_typeIjLj2EENS0_17counting_iteratorIjlEEPS9_SG_NS0_5tupleIJPjSI_NS0_16reverse_iteratorISI_EEEEENSH_IJSG_SG_SG_EEES9_SI_JZNS1_25segmented_radix_sort_implINS0_14default_configELb1EPKsPsPKlPlN2at6native12_GLOBAL__N_18offset_tEEE10hipError_tPvRmT1_PNSt15iterator_traitsIS12_E10value_typeET2_T3_PNS13_IS18_E10value_typeET4_jRbjT5_S1E_jjP12ihipStream_tbEUljE_ZNSN_ISO_Lb1ESQ_SR_ST_SU_SY_EESZ_S10_S11_S12_S16_S17_S18_S1B_S1C_jS1D_jS1E_S1E_jjS1G_bEUljE0_EEESZ_S10_S11_S18_S1C_S1E_T6_T7_T9_mT8_S1G_bDpT10_ENKUlT_T0_E_clISt17integral_constantIbLb0EES1U_EEDaS1P_S1Q_EUlS1P_E_NS1_11comp_targetILNS1_3genE4ELNS1_11target_archE910ELNS1_3gpuE8ELNS1_3repE0EEENS1_30default_config_static_selectorELNS0_4arch9wavefront6targetE0EEEvS12_.num_vgpr, 0
	.set _ZN7rocprim17ROCPRIM_400000_NS6detail17trampoline_kernelINS0_13select_configILj256ELj13ELNS0_17block_load_methodE3ELS4_3ELS4_3ELNS0_20block_scan_algorithmE0ELj4294967295EEENS1_25partition_config_selectorILNS1_17partition_subalgoE4EjNS0_10empty_typeEbEEZZNS1_14partition_implILS8_4ELb0ES6_15HIP_vector_typeIjLj2EENS0_17counting_iteratorIjlEEPS9_SG_NS0_5tupleIJPjSI_NS0_16reverse_iteratorISI_EEEEENSH_IJSG_SG_SG_EEES9_SI_JZNS1_25segmented_radix_sort_implINS0_14default_configELb1EPKsPsPKlPlN2at6native12_GLOBAL__N_18offset_tEEE10hipError_tPvRmT1_PNSt15iterator_traitsIS12_E10value_typeET2_T3_PNS13_IS18_E10value_typeET4_jRbjT5_S1E_jjP12ihipStream_tbEUljE_ZNSN_ISO_Lb1ESQ_SR_ST_SU_SY_EESZ_S10_S11_S12_S16_S17_S18_S1B_S1C_jS1D_jS1E_S1E_jjS1G_bEUljE0_EEESZ_S10_S11_S18_S1C_S1E_T6_T7_T9_mT8_S1G_bDpT10_ENKUlT_T0_E_clISt17integral_constantIbLb0EES1U_EEDaS1P_S1Q_EUlS1P_E_NS1_11comp_targetILNS1_3genE4ELNS1_11target_archE910ELNS1_3gpuE8ELNS1_3repE0EEENS1_30default_config_static_selectorELNS0_4arch9wavefront6targetE0EEEvS12_.num_agpr, 0
	.set _ZN7rocprim17ROCPRIM_400000_NS6detail17trampoline_kernelINS0_13select_configILj256ELj13ELNS0_17block_load_methodE3ELS4_3ELS4_3ELNS0_20block_scan_algorithmE0ELj4294967295EEENS1_25partition_config_selectorILNS1_17partition_subalgoE4EjNS0_10empty_typeEbEEZZNS1_14partition_implILS8_4ELb0ES6_15HIP_vector_typeIjLj2EENS0_17counting_iteratorIjlEEPS9_SG_NS0_5tupleIJPjSI_NS0_16reverse_iteratorISI_EEEEENSH_IJSG_SG_SG_EEES9_SI_JZNS1_25segmented_radix_sort_implINS0_14default_configELb1EPKsPsPKlPlN2at6native12_GLOBAL__N_18offset_tEEE10hipError_tPvRmT1_PNSt15iterator_traitsIS12_E10value_typeET2_T3_PNS13_IS18_E10value_typeET4_jRbjT5_S1E_jjP12ihipStream_tbEUljE_ZNSN_ISO_Lb1ESQ_SR_ST_SU_SY_EESZ_S10_S11_S12_S16_S17_S18_S1B_S1C_jS1D_jS1E_S1E_jjS1G_bEUljE0_EEESZ_S10_S11_S18_S1C_S1E_T6_T7_T9_mT8_S1G_bDpT10_ENKUlT_T0_E_clISt17integral_constantIbLb0EES1U_EEDaS1P_S1Q_EUlS1P_E_NS1_11comp_targetILNS1_3genE4ELNS1_11target_archE910ELNS1_3gpuE8ELNS1_3repE0EEENS1_30default_config_static_selectorELNS0_4arch9wavefront6targetE0EEEvS12_.numbered_sgpr, 0
	.set _ZN7rocprim17ROCPRIM_400000_NS6detail17trampoline_kernelINS0_13select_configILj256ELj13ELNS0_17block_load_methodE3ELS4_3ELS4_3ELNS0_20block_scan_algorithmE0ELj4294967295EEENS1_25partition_config_selectorILNS1_17partition_subalgoE4EjNS0_10empty_typeEbEEZZNS1_14partition_implILS8_4ELb0ES6_15HIP_vector_typeIjLj2EENS0_17counting_iteratorIjlEEPS9_SG_NS0_5tupleIJPjSI_NS0_16reverse_iteratorISI_EEEEENSH_IJSG_SG_SG_EEES9_SI_JZNS1_25segmented_radix_sort_implINS0_14default_configELb1EPKsPsPKlPlN2at6native12_GLOBAL__N_18offset_tEEE10hipError_tPvRmT1_PNSt15iterator_traitsIS12_E10value_typeET2_T3_PNS13_IS18_E10value_typeET4_jRbjT5_S1E_jjP12ihipStream_tbEUljE_ZNSN_ISO_Lb1ESQ_SR_ST_SU_SY_EESZ_S10_S11_S12_S16_S17_S18_S1B_S1C_jS1D_jS1E_S1E_jjS1G_bEUljE0_EEESZ_S10_S11_S18_S1C_S1E_T6_T7_T9_mT8_S1G_bDpT10_ENKUlT_T0_E_clISt17integral_constantIbLb0EES1U_EEDaS1P_S1Q_EUlS1P_E_NS1_11comp_targetILNS1_3genE4ELNS1_11target_archE910ELNS1_3gpuE8ELNS1_3repE0EEENS1_30default_config_static_selectorELNS0_4arch9wavefront6targetE0EEEvS12_.num_named_barrier, 0
	.set _ZN7rocprim17ROCPRIM_400000_NS6detail17trampoline_kernelINS0_13select_configILj256ELj13ELNS0_17block_load_methodE3ELS4_3ELS4_3ELNS0_20block_scan_algorithmE0ELj4294967295EEENS1_25partition_config_selectorILNS1_17partition_subalgoE4EjNS0_10empty_typeEbEEZZNS1_14partition_implILS8_4ELb0ES6_15HIP_vector_typeIjLj2EENS0_17counting_iteratorIjlEEPS9_SG_NS0_5tupleIJPjSI_NS0_16reverse_iteratorISI_EEEEENSH_IJSG_SG_SG_EEES9_SI_JZNS1_25segmented_radix_sort_implINS0_14default_configELb1EPKsPsPKlPlN2at6native12_GLOBAL__N_18offset_tEEE10hipError_tPvRmT1_PNSt15iterator_traitsIS12_E10value_typeET2_T3_PNS13_IS18_E10value_typeET4_jRbjT5_S1E_jjP12ihipStream_tbEUljE_ZNSN_ISO_Lb1ESQ_SR_ST_SU_SY_EESZ_S10_S11_S12_S16_S17_S18_S1B_S1C_jS1D_jS1E_S1E_jjS1G_bEUljE0_EEESZ_S10_S11_S18_S1C_S1E_T6_T7_T9_mT8_S1G_bDpT10_ENKUlT_T0_E_clISt17integral_constantIbLb0EES1U_EEDaS1P_S1Q_EUlS1P_E_NS1_11comp_targetILNS1_3genE4ELNS1_11target_archE910ELNS1_3gpuE8ELNS1_3repE0EEENS1_30default_config_static_selectorELNS0_4arch9wavefront6targetE0EEEvS12_.private_seg_size, 0
	.set _ZN7rocprim17ROCPRIM_400000_NS6detail17trampoline_kernelINS0_13select_configILj256ELj13ELNS0_17block_load_methodE3ELS4_3ELS4_3ELNS0_20block_scan_algorithmE0ELj4294967295EEENS1_25partition_config_selectorILNS1_17partition_subalgoE4EjNS0_10empty_typeEbEEZZNS1_14partition_implILS8_4ELb0ES6_15HIP_vector_typeIjLj2EENS0_17counting_iteratorIjlEEPS9_SG_NS0_5tupleIJPjSI_NS0_16reverse_iteratorISI_EEEEENSH_IJSG_SG_SG_EEES9_SI_JZNS1_25segmented_radix_sort_implINS0_14default_configELb1EPKsPsPKlPlN2at6native12_GLOBAL__N_18offset_tEEE10hipError_tPvRmT1_PNSt15iterator_traitsIS12_E10value_typeET2_T3_PNS13_IS18_E10value_typeET4_jRbjT5_S1E_jjP12ihipStream_tbEUljE_ZNSN_ISO_Lb1ESQ_SR_ST_SU_SY_EESZ_S10_S11_S12_S16_S17_S18_S1B_S1C_jS1D_jS1E_S1E_jjS1G_bEUljE0_EEESZ_S10_S11_S18_S1C_S1E_T6_T7_T9_mT8_S1G_bDpT10_ENKUlT_T0_E_clISt17integral_constantIbLb0EES1U_EEDaS1P_S1Q_EUlS1P_E_NS1_11comp_targetILNS1_3genE4ELNS1_11target_archE910ELNS1_3gpuE8ELNS1_3repE0EEENS1_30default_config_static_selectorELNS0_4arch9wavefront6targetE0EEEvS12_.uses_vcc, 0
	.set _ZN7rocprim17ROCPRIM_400000_NS6detail17trampoline_kernelINS0_13select_configILj256ELj13ELNS0_17block_load_methodE3ELS4_3ELS4_3ELNS0_20block_scan_algorithmE0ELj4294967295EEENS1_25partition_config_selectorILNS1_17partition_subalgoE4EjNS0_10empty_typeEbEEZZNS1_14partition_implILS8_4ELb0ES6_15HIP_vector_typeIjLj2EENS0_17counting_iteratorIjlEEPS9_SG_NS0_5tupleIJPjSI_NS0_16reverse_iteratorISI_EEEEENSH_IJSG_SG_SG_EEES9_SI_JZNS1_25segmented_radix_sort_implINS0_14default_configELb1EPKsPsPKlPlN2at6native12_GLOBAL__N_18offset_tEEE10hipError_tPvRmT1_PNSt15iterator_traitsIS12_E10value_typeET2_T3_PNS13_IS18_E10value_typeET4_jRbjT5_S1E_jjP12ihipStream_tbEUljE_ZNSN_ISO_Lb1ESQ_SR_ST_SU_SY_EESZ_S10_S11_S12_S16_S17_S18_S1B_S1C_jS1D_jS1E_S1E_jjS1G_bEUljE0_EEESZ_S10_S11_S18_S1C_S1E_T6_T7_T9_mT8_S1G_bDpT10_ENKUlT_T0_E_clISt17integral_constantIbLb0EES1U_EEDaS1P_S1Q_EUlS1P_E_NS1_11comp_targetILNS1_3genE4ELNS1_11target_archE910ELNS1_3gpuE8ELNS1_3repE0EEENS1_30default_config_static_selectorELNS0_4arch9wavefront6targetE0EEEvS12_.uses_flat_scratch, 0
	.set _ZN7rocprim17ROCPRIM_400000_NS6detail17trampoline_kernelINS0_13select_configILj256ELj13ELNS0_17block_load_methodE3ELS4_3ELS4_3ELNS0_20block_scan_algorithmE0ELj4294967295EEENS1_25partition_config_selectorILNS1_17partition_subalgoE4EjNS0_10empty_typeEbEEZZNS1_14partition_implILS8_4ELb0ES6_15HIP_vector_typeIjLj2EENS0_17counting_iteratorIjlEEPS9_SG_NS0_5tupleIJPjSI_NS0_16reverse_iteratorISI_EEEEENSH_IJSG_SG_SG_EEES9_SI_JZNS1_25segmented_radix_sort_implINS0_14default_configELb1EPKsPsPKlPlN2at6native12_GLOBAL__N_18offset_tEEE10hipError_tPvRmT1_PNSt15iterator_traitsIS12_E10value_typeET2_T3_PNS13_IS18_E10value_typeET4_jRbjT5_S1E_jjP12ihipStream_tbEUljE_ZNSN_ISO_Lb1ESQ_SR_ST_SU_SY_EESZ_S10_S11_S12_S16_S17_S18_S1B_S1C_jS1D_jS1E_S1E_jjS1G_bEUljE0_EEESZ_S10_S11_S18_S1C_S1E_T6_T7_T9_mT8_S1G_bDpT10_ENKUlT_T0_E_clISt17integral_constantIbLb0EES1U_EEDaS1P_S1Q_EUlS1P_E_NS1_11comp_targetILNS1_3genE4ELNS1_11target_archE910ELNS1_3gpuE8ELNS1_3repE0EEENS1_30default_config_static_selectorELNS0_4arch9wavefront6targetE0EEEvS12_.has_dyn_sized_stack, 0
	.set _ZN7rocprim17ROCPRIM_400000_NS6detail17trampoline_kernelINS0_13select_configILj256ELj13ELNS0_17block_load_methodE3ELS4_3ELS4_3ELNS0_20block_scan_algorithmE0ELj4294967295EEENS1_25partition_config_selectorILNS1_17partition_subalgoE4EjNS0_10empty_typeEbEEZZNS1_14partition_implILS8_4ELb0ES6_15HIP_vector_typeIjLj2EENS0_17counting_iteratorIjlEEPS9_SG_NS0_5tupleIJPjSI_NS0_16reverse_iteratorISI_EEEEENSH_IJSG_SG_SG_EEES9_SI_JZNS1_25segmented_radix_sort_implINS0_14default_configELb1EPKsPsPKlPlN2at6native12_GLOBAL__N_18offset_tEEE10hipError_tPvRmT1_PNSt15iterator_traitsIS12_E10value_typeET2_T3_PNS13_IS18_E10value_typeET4_jRbjT5_S1E_jjP12ihipStream_tbEUljE_ZNSN_ISO_Lb1ESQ_SR_ST_SU_SY_EESZ_S10_S11_S12_S16_S17_S18_S1B_S1C_jS1D_jS1E_S1E_jjS1G_bEUljE0_EEESZ_S10_S11_S18_S1C_S1E_T6_T7_T9_mT8_S1G_bDpT10_ENKUlT_T0_E_clISt17integral_constantIbLb0EES1U_EEDaS1P_S1Q_EUlS1P_E_NS1_11comp_targetILNS1_3genE4ELNS1_11target_archE910ELNS1_3gpuE8ELNS1_3repE0EEENS1_30default_config_static_selectorELNS0_4arch9wavefront6targetE0EEEvS12_.has_recursion, 0
	.set _ZN7rocprim17ROCPRIM_400000_NS6detail17trampoline_kernelINS0_13select_configILj256ELj13ELNS0_17block_load_methodE3ELS4_3ELS4_3ELNS0_20block_scan_algorithmE0ELj4294967295EEENS1_25partition_config_selectorILNS1_17partition_subalgoE4EjNS0_10empty_typeEbEEZZNS1_14partition_implILS8_4ELb0ES6_15HIP_vector_typeIjLj2EENS0_17counting_iteratorIjlEEPS9_SG_NS0_5tupleIJPjSI_NS0_16reverse_iteratorISI_EEEEENSH_IJSG_SG_SG_EEES9_SI_JZNS1_25segmented_radix_sort_implINS0_14default_configELb1EPKsPsPKlPlN2at6native12_GLOBAL__N_18offset_tEEE10hipError_tPvRmT1_PNSt15iterator_traitsIS12_E10value_typeET2_T3_PNS13_IS18_E10value_typeET4_jRbjT5_S1E_jjP12ihipStream_tbEUljE_ZNSN_ISO_Lb1ESQ_SR_ST_SU_SY_EESZ_S10_S11_S12_S16_S17_S18_S1B_S1C_jS1D_jS1E_S1E_jjS1G_bEUljE0_EEESZ_S10_S11_S18_S1C_S1E_T6_T7_T9_mT8_S1G_bDpT10_ENKUlT_T0_E_clISt17integral_constantIbLb0EES1U_EEDaS1P_S1Q_EUlS1P_E_NS1_11comp_targetILNS1_3genE4ELNS1_11target_archE910ELNS1_3gpuE8ELNS1_3repE0EEENS1_30default_config_static_selectorELNS0_4arch9wavefront6targetE0EEEvS12_.has_indirect_call, 0
	.section	.AMDGPU.csdata,"",@progbits
; Kernel info:
; codeLenInByte = 0
; TotalNumSgprs: 0
; NumVgprs: 0
; ScratchSize: 0
; MemoryBound: 0
; FloatMode: 240
; IeeeMode: 1
; LDSByteSize: 0 bytes/workgroup (compile time only)
; SGPRBlocks: 0
; VGPRBlocks: 0
; NumSGPRsForWavesPerEU: 1
; NumVGPRsForWavesPerEU: 1
; Occupancy: 16
; WaveLimiterHint : 0
; COMPUTE_PGM_RSRC2:SCRATCH_EN: 0
; COMPUTE_PGM_RSRC2:USER_SGPR: 6
; COMPUTE_PGM_RSRC2:TRAP_HANDLER: 0
; COMPUTE_PGM_RSRC2:TGID_X_EN: 1
; COMPUTE_PGM_RSRC2:TGID_Y_EN: 0
; COMPUTE_PGM_RSRC2:TGID_Z_EN: 0
; COMPUTE_PGM_RSRC2:TIDIG_COMP_CNT: 0
	.section	.text._ZN7rocprim17ROCPRIM_400000_NS6detail17trampoline_kernelINS0_13select_configILj256ELj13ELNS0_17block_load_methodE3ELS4_3ELS4_3ELNS0_20block_scan_algorithmE0ELj4294967295EEENS1_25partition_config_selectorILNS1_17partition_subalgoE4EjNS0_10empty_typeEbEEZZNS1_14partition_implILS8_4ELb0ES6_15HIP_vector_typeIjLj2EENS0_17counting_iteratorIjlEEPS9_SG_NS0_5tupleIJPjSI_NS0_16reverse_iteratorISI_EEEEENSH_IJSG_SG_SG_EEES9_SI_JZNS1_25segmented_radix_sort_implINS0_14default_configELb1EPKsPsPKlPlN2at6native12_GLOBAL__N_18offset_tEEE10hipError_tPvRmT1_PNSt15iterator_traitsIS12_E10value_typeET2_T3_PNS13_IS18_E10value_typeET4_jRbjT5_S1E_jjP12ihipStream_tbEUljE_ZNSN_ISO_Lb1ESQ_SR_ST_SU_SY_EESZ_S10_S11_S12_S16_S17_S18_S1B_S1C_jS1D_jS1E_S1E_jjS1G_bEUljE0_EEESZ_S10_S11_S18_S1C_S1E_T6_T7_T9_mT8_S1G_bDpT10_ENKUlT_T0_E_clISt17integral_constantIbLb0EES1U_EEDaS1P_S1Q_EUlS1P_E_NS1_11comp_targetILNS1_3genE3ELNS1_11target_archE908ELNS1_3gpuE7ELNS1_3repE0EEENS1_30default_config_static_selectorELNS0_4arch9wavefront6targetE0EEEvS12_,"axG",@progbits,_ZN7rocprim17ROCPRIM_400000_NS6detail17trampoline_kernelINS0_13select_configILj256ELj13ELNS0_17block_load_methodE3ELS4_3ELS4_3ELNS0_20block_scan_algorithmE0ELj4294967295EEENS1_25partition_config_selectorILNS1_17partition_subalgoE4EjNS0_10empty_typeEbEEZZNS1_14partition_implILS8_4ELb0ES6_15HIP_vector_typeIjLj2EENS0_17counting_iteratorIjlEEPS9_SG_NS0_5tupleIJPjSI_NS0_16reverse_iteratorISI_EEEEENSH_IJSG_SG_SG_EEES9_SI_JZNS1_25segmented_radix_sort_implINS0_14default_configELb1EPKsPsPKlPlN2at6native12_GLOBAL__N_18offset_tEEE10hipError_tPvRmT1_PNSt15iterator_traitsIS12_E10value_typeET2_T3_PNS13_IS18_E10value_typeET4_jRbjT5_S1E_jjP12ihipStream_tbEUljE_ZNSN_ISO_Lb1ESQ_SR_ST_SU_SY_EESZ_S10_S11_S12_S16_S17_S18_S1B_S1C_jS1D_jS1E_S1E_jjS1G_bEUljE0_EEESZ_S10_S11_S18_S1C_S1E_T6_T7_T9_mT8_S1G_bDpT10_ENKUlT_T0_E_clISt17integral_constantIbLb0EES1U_EEDaS1P_S1Q_EUlS1P_E_NS1_11comp_targetILNS1_3genE3ELNS1_11target_archE908ELNS1_3gpuE7ELNS1_3repE0EEENS1_30default_config_static_selectorELNS0_4arch9wavefront6targetE0EEEvS12_,comdat
	.globl	_ZN7rocprim17ROCPRIM_400000_NS6detail17trampoline_kernelINS0_13select_configILj256ELj13ELNS0_17block_load_methodE3ELS4_3ELS4_3ELNS0_20block_scan_algorithmE0ELj4294967295EEENS1_25partition_config_selectorILNS1_17partition_subalgoE4EjNS0_10empty_typeEbEEZZNS1_14partition_implILS8_4ELb0ES6_15HIP_vector_typeIjLj2EENS0_17counting_iteratorIjlEEPS9_SG_NS0_5tupleIJPjSI_NS0_16reverse_iteratorISI_EEEEENSH_IJSG_SG_SG_EEES9_SI_JZNS1_25segmented_radix_sort_implINS0_14default_configELb1EPKsPsPKlPlN2at6native12_GLOBAL__N_18offset_tEEE10hipError_tPvRmT1_PNSt15iterator_traitsIS12_E10value_typeET2_T3_PNS13_IS18_E10value_typeET4_jRbjT5_S1E_jjP12ihipStream_tbEUljE_ZNSN_ISO_Lb1ESQ_SR_ST_SU_SY_EESZ_S10_S11_S12_S16_S17_S18_S1B_S1C_jS1D_jS1E_S1E_jjS1G_bEUljE0_EEESZ_S10_S11_S18_S1C_S1E_T6_T7_T9_mT8_S1G_bDpT10_ENKUlT_T0_E_clISt17integral_constantIbLb0EES1U_EEDaS1P_S1Q_EUlS1P_E_NS1_11comp_targetILNS1_3genE3ELNS1_11target_archE908ELNS1_3gpuE7ELNS1_3repE0EEENS1_30default_config_static_selectorELNS0_4arch9wavefront6targetE0EEEvS12_ ; -- Begin function _ZN7rocprim17ROCPRIM_400000_NS6detail17trampoline_kernelINS0_13select_configILj256ELj13ELNS0_17block_load_methodE3ELS4_3ELS4_3ELNS0_20block_scan_algorithmE0ELj4294967295EEENS1_25partition_config_selectorILNS1_17partition_subalgoE4EjNS0_10empty_typeEbEEZZNS1_14partition_implILS8_4ELb0ES6_15HIP_vector_typeIjLj2EENS0_17counting_iteratorIjlEEPS9_SG_NS0_5tupleIJPjSI_NS0_16reverse_iteratorISI_EEEEENSH_IJSG_SG_SG_EEES9_SI_JZNS1_25segmented_radix_sort_implINS0_14default_configELb1EPKsPsPKlPlN2at6native12_GLOBAL__N_18offset_tEEE10hipError_tPvRmT1_PNSt15iterator_traitsIS12_E10value_typeET2_T3_PNS13_IS18_E10value_typeET4_jRbjT5_S1E_jjP12ihipStream_tbEUljE_ZNSN_ISO_Lb1ESQ_SR_ST_SU_SY_EESZ_S10_S11_S12_S16_S17_S18_S1B_S1C_jS1D_jS1E_S1E_jjS1G_bEUljE0_EEESZ_S10_S11_S18_S1C_S1E_T6_T7_T9_mT8_S1G_bDpT10_ENKUlT_T0_E_clISt17integral_constantIbLb0EES1U_EEDaS1P_S1Q_EUlS1P_E_NS1_11comp_targetILNS1_3genE3ELNS1_11target_archE908ELNS1_3gpuE7ELNS1_3repE0EEENS1_30default_config_static_selectorELNS0_4arch9wavefront6targetE0EEEvS12_
	.p2align	8
	.type	_ZN7rocprim17ROCPRIM_400000_NS6detail17trampoline_kernelINS0_13select_configILj256ELj13ELNS0_17block_load_methodE3ELS4_3ELS4_3ELNS0_20block_scan_algorithmE0ELj4294967295EEENS1_25partition_config_selectorILNS1_17partition_subalgoE4EjNS0_10empty_typeEbEEZZNS1_14partition_implILS8_4ELb0ES6_15HIP_vector_typeIjLj2EENS0_17counting_iteratorIjlEEPS9_SG_NS0_5tupleIJPjSI_NS0_16reverse_iteratorISI_EEEEENSH_IJSG_SG_SG_EEES9_SI_JZNS1_25segmented_radix_sort_implINS0_14default_configELb1EPKsPsPKlPlN2at6native12_GLOBAL__N_18offset_tEEE10hipError_tPvRmT1_PNSt15iterator_traitsIS12_E10value_typeET2_T3_PNS13_IS18_E10value_typeET4_jRbjT5_S1E_jjP12ihipStream_tbEUljE_ZNSN_ISO_Lb1ESQ_SR_ST_SU_SY_EESZ_S10_S11_S12_S16_S17_S18_S1B_S1C_jS1D_jS1E_S1E_jjS1G_bEUljE0_EEESZ_S10_S11_S18_S1C_S1E_T6_T7_T9_mT8_S1G_bDpT10_ENKUlT_T0_E_clISt17integral_constantIbLb0EES1U_EEDaS1P_S1Q_EUlS1P_E_NS1_11comp_targetILNS1_3genE3ELNS1_11target_archE908ELNS1_3gpuE7ELNS1_3repE0EEENS1_30default_config_static_selectorELNS0_4arch9wavefront6targetE0EEEvS12_,@function
_ZN7rocprim17ROCPRIM_400000_NS6detail17trampoline_kernelINS0_13select_configILj256ELj13ELNS0_17block_load_methodE3ELS4_3ELS4_3ELNS0_20block_scan_algorithmE0ELj4294967295EEENS1_25partition_config_selectorILNS1_17partition_subalgoE4EjNS0_10empty_typeEbEEZZNS1_14partition_implILS8_4ELb0ES6_15HIP_vector_typeIjLj2EENS0_17counting_iteratorIjlEEPS9_SG_NS0_5tupleIJPjSI_NS0_16reverse_iteratorISI_EEEEENSH_IJSG_SG_SG_EEES9_SI_JZNS1_25segmented_radix_sort_implINS0_14default_configELb1EPKsPsPKlPlN2at6native12_GLOBAL__N_18offset_tEEE10hipError_tPvRmT1_PNSt15iterator_traitsIS12_E10value_typeET2_T3_PNS13_IS18_E10value_typeET4_jRbjT5_S1E_jjP12ihipStream_tbEUljE_ZNSN_ISO_Lb1ESQ_SR_ST_SU_SY_EESZ_S10_S11_S12_S16_S17_S18_S1B_S1C_jS1D_jS1E_S1E_jjS1G_bEUljE0_EEESZ_S10_S11_S18_S1C_S1E_T6_T7_T9_mT8_S1G_bDpT10_ENKUlT_T0_E_clISt17integral_constantIbLb0EES1U_EEDaS1P_S1Q_EUlS1P_E_NS1_11comp_targetILNS1_3genE3ELNS1_11target_archE908ELNS1_3gpuE7ELNS1_3repE0EEENS1_30default_config_static_selectorELNS0_4arch9wavefront6targetE0EEEvS12_: ; @_ZN7rocprim17ROCPRIM_400000_NS6detail17trampoline_kernelINS0_13select_configILj256ELj13ELNS0_17block_load_methodE3ELS4_3ELS4_3ELNS0_20block_scan_algorithmE0ELj4294967295EEENS1_25partition_config_selectorILNS1_17partition_subalgoE4EjNS0_10empty_typeEbEEZZNS1_14partition_implILS8_4ELb0ES6_15HIP_vector_typeIjLj2EENS0_17counting_iteratorIjlEEPS9_SG_NS0_5tupleIJPjSI_NS0_16reverse_iteratorISI_EEEEENSH_IJSG_SG_SG_EEES9_SI_JZNS1_25segmented_radix_sort_implINS0_14default_configELb1EPKsPsPKlPlN2at6native12_GLOBAL__N_18offset_tEEE10hipError_tPvRmT1_PNSt15iterator_traitsIS12_E10value_typeET2_T3_PNS13_IS18_E10value_typeET4_jRbjT5_S1E_jjP12ihipStream_tbEUljE_ZNSN_ISO_Lb1ESQ_SR_ST_SU_SY_EESZ_S10_S11_S12_S16_S17_S18_S1B_S1C_jS1D_jS1E_S1E_jjS1G_bEUljE0_EEESZ_S10_S11_S18_S1C_S1E_T6_T7_T9_mT8_S1G_bDpT10_ENKUlT_T0_E_clISt17integral_constantIbLb0EES1U_EEDaS1P_S1Q_EUlS1P_E_NS1_11comp_targetILNS1_3genE3ELNS1_11target_archE908ELNS1_3gpuE7ELNS1_3repE0EEENS1_30default_config_static_selectorELNS0_4arch9wavefront6targetE0EEEvS12_
; %bb.0:
	.section	.rodata,"a",@progbits
	.p2align	6, 0x0
	.amdhsa_kernel _ZN7rocprim17ROCPRIM_400000_NS6detail17trampoline_kernelINS0_13select_configILj256ELj13ELNS0_17block_load_methodE3ELS4_3ELS4_3ELNS0_20block_scan_algorithmE0ELj4294967295EEENS1_25partition_config_selectorILNS1_17partition_subalgoE4EjNS0_10empty_typeEbEEZZNS1_14partition_implILS8_4ELb0ES6_15HIP_vector_typeIjLj2EENS0_17counting_iteratorIjlEEPS9_SG_NS0_5tupleIJPjSI_NS0_16reverse_iteratorISI_EEEEENSH_IJSG_SG_SG_EEES9_SI_JZNS1_25segmented_radix_sort_implINS0_14default_configELb1EPKsPsPKlPlN2at6native12_GLOBAL__N_18offset_tEEE10hipError_tPvRmT1_PNSt15iterator_traitsIS12_E10value_typeET2_T3_PNS13_IS18_E10value_typeET4_jRbjT5_S1E_jjP12ihipStream_tbEUljE_ZNSN_ISO_Lb1ESQ_SR_ST_SU_SY_EESZ_S10_S11_S12_S16_S17_S18_S1B_S1C_jS1D_jS1E_S1E_jjS1G_bEUljE0_EEESZ_S10_S11_S18_S1C_S1E_T6_T7_T9_mT8_S1G_bDpT10_ENKUlT_T0_E_clISt17integral_constantIbLb0EES1U_EEDaS1P_S1Q_EUlS1P_E_NS1_11comp_targetILNS1_3genE3ELNS1_11target_archE908ELNS1_3gpuE7ELNS1_3repE0EEENS1_30default_config_static_selectorELNS0_4arch9wavefront6targetE0EEEvS12_
		.amdhsa_group_segment_fixed_size 0
		.amdhsa_private_segment_fixed_size 0
		.amdhsa_kernarg_size 176
		.amdhsa_user_sgpr_count 6
		.amdhsa_user_sgpr_private_segment_buffer 1
		.amdhsa_user_sgpr_dispatch_ptr 0
		.amdhsa_user_sgpr_queue_ptr 0
		.amdhsa_user_sgpr_kernarg_segment_ptr 1
		.amdhsa_user_sgpr_dispatch_id 0
		.amdhsa_user_sgpr_flat_scratch_init 0
		.amdhsa_user_sgpr_private_segment_size 0
		.amdhsa_wavefront_size32 1
		.amdhsa_uses_dynamic_stack 0
		.amdhsa_system_sgpr_private_segment_wavefront_offset 0
		.amdhsa_system_sgpr_workgroup_id_x 1
		.amdhsa_system_sgpr_workgroup_id_y 0
		.amdhsa_system_sgpr_workgroup_id_z 0
		.amdhsa_system_sgpr_workgroup_info 0
		.amdhsa_system_vgpr_workitem_id 0
		.amdhsa_next_free_vgpr 1
		.amdhsa_next_free_sgpr 1
		.amdhsa_reserve_vcc 0
		.amdhsa_reserve_flat_scratch 0
		.amdhsa_float_round_mode_32 0
		.amdhsa_float_round_mode_16_64 0
		.amdhsa_float_denorm_mode_32 3
		.amdhsa_float_denorm_mode_16_64 3
		.amdhsa_dx10_clamp 1
		.amdhsa_ieee_mode 1
		.amdhsa_fp16_overflow 0
		.amdhsa_workgroup_processor_mode 1
		.amdhsa_memory_ordered 1
		.amdhsa_forward_progress 1
		.amdhsa_shared_vgpr_count 0
		.amdhsa_exception_fp_ieee_invalid_op 0
		.amdhsa_exception_fp_denorm_src 0
		.amdhsa_exception_fp_ieee_div_zero 0
		.amdhsa_exception_fp_ieee_overflow 0
		.amdhsa_exception_fp_ieee_underflow 0
		.amdhsa_exception_fp_ieee_inexact 0
		.amdhsa_exception_int_div_zero 0
	.end_amdhsa_kernel
	.section	.text._ZN7rocprim17ROCPRIM_400000_NS6detail17trampoline_kernelINS0_13select_configILj256ELj13ELNS0_17block_load_methodE3ELS4_3ELS4_3ELNS0_20block_scan_algorithmE0ELj4294967295EEENS1_25partition_config_selectorILNS1_17partition_subalgoE4EjNS0_10empty_typeEbEEZZNS1_14partition_implILS8_4ELb0ES6_15HIP_vector_typeIjLj2EENS0_17counting_iteratorIjlEEPS9_SG_NS0_5tupleIJPjSI_NS0_16reverse_iteratorISI_EEEEENSH_IJSG_SG_SG_EEES9_SI_JZNS1_25segmented_radix_sort_implINS0_14default_configELb1EPKsPsPKlPlN2at6native12_GLOBAL__N_18offset_tEEE10hipError_tPvRmT1_PNSt15iterator_traitsIS12_E10value_typeET2_T3_PNS13_IS18_E10value_typeET4_jRbjT5_S1E_jjP12ihipStream_tbEUljE_ZNSN_ISO_Lb1ESQ_SR_ST_SU_SY_EESZ_S10_S11_S12_S16_S17_S18_S1B_S1C_jS1D_jS1E_S1E_jjS1G_bEUljE0_EEESZ_S10_S11_S18_S1C_S1E_T6_T7_T9_mT8_S1G_bDpT10_ENKUlT_T0_E_clISt17integral_constantIbLb0EES1U_EEDaS1P_S1Q_EUlS1P_E_NS1_11comp_targetILNS1_3genE3ELNS1_11target_archE908ELNS1_3gpuE7ELNS1_3repE0EEENS1_30default_config_static_selectorELNS0_4arch9wavefront6targetE0EEEvS12_,"axG",@progbits,_ZN7rocprim17ROCPRIM_400000_NS6detail17trampoline_kernelINS0_13select_configILj256ELj13ELNS0_17block_load_methodE3ELS4_3ELS4_3ELNS0_20block_scan_algorithmE0ELj4294967295EEENS1_25partition_config_selectorILNS1_17partition_subalgoE4EjNS0_10empty_typeEbEEZZNS1_14partition_implILS8_4ELb0ES6_15HIP_vector_typeIjLj2EENS0_17counting_iteratorIjlEEPS9_SG_NS0_5tupleIJPjSI_NS0_16reverse_iteratorISI_EEEEENSH_IJSG_SG_SG_EEES9_SI_JZNS1_25segmented_radix_sort_implINS0_14default_configELb1EPKsPsPKlPlN2at6native12_GLOBAL__N_18offset_tEEE10hipError_tPvRmT1_PNSt15iterator_traitsIS12_E10value_typeET2_T3_PNS13_IS18_E10value_typeET4_jRbjT5_S1E_jjP12ihipStream_tbEUljE_ZNSN_ISO_Lb1ESQ_SR_ST_SU_SY_EESZ_S10_S11_S12_S16_S17_S18_S1B_S1C_jS1D_jS1E_S1E_jjS1G_bEUljE0_EEESZ_S10_S11_S18_S1C_S1E_T6_T7_T9_mT8_S1G_bDpT10_ENKUlT_T0_E_clISt17integral_constantIbLb0EES1U_EEDaS1P_S1Q_EUlS1P_E_NS1_11comp_targetILNS1_3genE3ELNS1_11target_archE908ELNS1_3gpuE7ELNS1_3repE0EEENS1_30default_config_static_selectorELNS0_4arch9wavefront6targetE0EEEvS12_,comdat
.Lfunc_end844:
	.size	_ZN7rocprim17ROCPRIM_400000_NS6detail17trampoline_kernelINS0_13select_configILj256ELj13ELNS0_17block_load_methodE3ELS4_3ELS4_3ELNS0_20block_scan_algorithmE0ELj4294967295EEENS1_25partition_config_selectorILNS1_17partition_subalgoE4EjNS0_10empty_typeEbEEZZNS1_14partition_implILS8_4ELb0ES6_15HIP_vector_typeIjLj2EENS0_17counting_iteratorIjlEEPS9_SG_NS0_5tupleIJPjSI_NS0_16reverse_iteratorISI_EEEEENSH_IJSG_SG_SG_EEES9_SI_JZNS1_25segmented_radix_sort_implINS0_14default_configELb1EPKsPsPKlPlN2at6native12_GLOBAL__N_18offset_tEEE10hipError_tPvRmT1_PNSt15iterator_traitsIS12_E10value_typeET2_T3_PNS13_IS18_E10value_typeET4_jRbjT5_S1E_jjP12ihipStream_tbEUljE_ZNSN_ISO_Lb1ESQ_SR_ST_SU_SY_EESZ_S10_S11_S12_S16_S17_S18_S1B_S1C_jS1D_jS1E_S1E_jjS1G_bEUljE0_EEESZ_S10_S11_S18_S1C_S1E_T6_T7_T9_mT8_S1G_bDpT10_ENKUlT_T0_E_clISt17integral_constantIbLb0EES1U_EEDaS1P_S1Q_EUlS1P_E_NS1_11comp_targetILNS1_3genE3ELNS1_11target_archE908ELNS1_3gpuE7ELNS1_3repE0EEENS1_30default_config_static_selectorELNS0_4arch9wavefront6targetE0EEEvS12_, .Lfunc_end844-_ZN7rocprim17ROCPRIM_400000_NS6detail17trampoline_kernelINS0_13select_configILj256ELj13ELNS0_17block_load_methodE3ELS4_3ELS4_3ELNS0_20block_scan_algorithmE0ELj4294967295EEENS1_25partition_config_selectorILNS1_17partition_subalgoE4EjNS0_10empty_typeEbEEZZNS1_14partition_implILS8_4ELb0ES6_15HIP_vector_typeIjLj2EENS0_17counting_iteratorIjlEEPS9_SG_NS0_5tupleIJPjSI_NS0_16reverse_iteratorISI_EEEEENSH_IJSG_SG_SG_EEES9_SI_JZNS1_25segmented_radix_sort_implINS0_14default_configELb1EPKsPsPKlPlN2at6native12_GLOBAL__N_18offset_tEEE10hipError_tPvRmT1_PNSt15iterator_traitsIS12_E10value_typeET2_T3_PNS13_IS18_E10value_typeET4_jRbjT5_S1E_jjP12ihipStream_tbEUljE_ZNSN_ISO_Lb1ESQ_SR_ST_SU_SY_EESZ_S10_S11_S12_S16_S17_S18_S1B_S1C_jS1D_jS1E_S1E_jjS1G_bEUljE0_EEESZ_S10_S11_S18_S1C_S1E_T6_T7_T9_mT8_S1G_bDpT10_ENKUlT_T0_E_clISt17integral_constantIbLb0EES1U_EEDaS1P_S1Q_EUlS1P_E_NS1_11comp_targetILNS1_3genE3ELNS1_11target_archE908ELNS1_3gpuE7ELNS1_3repE0EEENS1_30default_config_static_selectorELNS0_4arch9wavefront6targetE0EEEvS12_
                                        ; -- End function
	.set _ZN7rocprim17ROCPRIM_400000_NS6detail17trampoline_kernelINS0_13select_configILj256ELj13ELNS0_17block_load_methodE3ELS4_3ELS4_3ELNS0_20block_scan_algorithmE0ELj4294967295EEENS1_25partition_config_selectorILNS1_17partition_subalgoE4EjNS0_10empty_typeEbEEZZNS1_14partition_implILS8_4ELb0ES6_15HIP_vector_typeIjLj2EENS0_17counting_iteratorIjlEEPS9_SG_NS0_5tupleIJPjSI_NS0_16reverse_iteratorISI_EEEEENSH_IJSG_SG_SG_EEES9_SI_JZNS1_25segmented_radix_sort_implINS0_14default_configELb1EPKsPsPKlPlN2at6native12_GLOBAL__N_18offset_tEEE10hipError_tPvRmT1_PNSt15iterator_traitsIS12_E10value_typeET2_T3_PNS13_IS18_E10value_typeET4_jRbjT5_S1E_jjP12ihipStream_tbEUljE_ZNSN_ISO_Lb1ESQ_SR_ST_SU_SY_EESZ_S10_S11_S12_S16_S17_S18_S1B_S1C_jS1D_jS1E_S1E_jjS1G_bEUljE0_EEESZ_S10_S11_S18_S1C_S1E_T6_T7_T9_mT8_S1G_bDpT10_ENKUlT_T0_E_clISt17integral_constantIbLb0EES1U_EEDaS1P_S1Q_EUlS1P_E_NS1_11comp_targetILNS1_3genE3ELNS1_11target_archE908ELNS1_3gpuE7ELNS1_3repE0EEENS1_30default_config_static_selectorELNS0_4arch9wavefront6targetE0EEEvS12_.num_vgpr, 0
	.set _ZN7rocprim17ROCPRIM_400000_NS6detail17trampoline_kernelINS0_13select_configILj256ELj13ELNS0_17block_load_methodE3ELS4_3ELS4_3ELNS0_20block_scan_algorithmE0ELj4294967295EEENS1_25partition_config_selectorILNS1_17partition_subalgoE4EjNS0_10empty_typeEbEEZZNS1_14partition_implILS8_4ELb0ES6_15HIP_vector_typeIjLj2EENS0_17counting_iteratorIjlEEPS9_SG_NS0_5tupleIJPjSI_NS0_16reverse_iteratorISI_EEEEENSH_IJSG_SG_SG_EEES9_SI_JZNS1_25segmented_radix_sort_implINS0_14default_configELb1EPKsPsPKlPlN2at6native12_GLOBAL__N_18offset_tEEE10hipError_tPvRmT1_PNSt15iterator_traitsIS12_E10value_typeET2_T3_PNS13_IS18_E10value_typeET4_jRbjT5_S1E_jjP12ihipStream_tbEUljE_ZNSN_ISO_Lb1ESQ_SR_ST_SU_SY_EESZ_S10_S11_S12_S16_S17_S18_S1B_S1C_jS1D_jS1E_S1E_jjS1G_bEUljE0_EEESZ_S10_S11_S18_S1C_S1E_T6_T7_T9_mT8_S1G_bDpT10_ENKUlT_T0_E_clISt17integral_constantIbLb0EES1U_EEDaS1P_S1Q_EUlS1P_E_NS1_11comp_targetILNS1_3genE3ELNS1_11target_archE908ELNS1_3gpuE7ELNS1_3repE0EEENS1_30default_config_static_selectorELNS0_4arch9wavefront6targetE0EEEvS12_.num_agpr, 0
	.set _ZN7rocprim17ROCPRIM_400000_NS6detail17trampoline_kernelINS0_13select_configILj256ELj13ELNS0_17block_load_methodE3ELS4_3ELS4_3ELNS0_20block_scan_algorithmE0ELj4294967295EEENS1_25partition_config_selectorILNS1_17partition_subalgoE4EjNS0_10empty_typeEbEEZZNS1_14partition_implILS8_4ELb0ES6_15HIP_vector_typeIjLj2EENS0_17counting_iteratorIjlEEPS9_SG_NS0_5tupleIJPjSI_NS0_16reverse_iteratorISI_EEEEENSH_IJSG_SG_SG_EEES9_SI_JZNS1_25segmented_radix_sort_implINS0_14default_configELb1EPKsPsPKlPlN2at6native12_GLOBAL__N_18offset_tEEE10hipError_tPvRmT1_PNSt15iterator_traitsIS12_E10value_typeET2_T3_PNS13_IS18_E10value_typeET4_jRbjT5_S1E_jjP12ihipStream_tbEUljE_ZNSN_ISO_Lb1ESQ_SR_ST_SU_SY_EESZ_S10_S11_S12_S16_S17_S18_S1B_S1C_jS1D_jS1E_S1E_jjS1G_bEUljE0_EEESZ_S10_S11_S18_S1C_S1E_T6_T7_T9_mT8_S1G_bDpT10_ENKUlT_T0_E_clISt17integral_constantIbLb0EES1U_EEDaS1P_S1Q_EUlS1P_E_NS1_11comp_targetILNS1_3genE3ELNS1_11target_archE908ELNS1_3gpuE7ELNS1_3repE0EEENS1_30default_config_static_selectorELNS0_4arch9wavefront6targetE0EEEvS12_.numbered_sgpr, 0
	.set _ZN7rocprim17ROCPRIM_400000_NS6detail17trampoline_kernelINS0_13select_configILj256ELj13ELNS0_17block_load_methodE3ELS4_3ELS4_3ELNS0_20block_scan_algorithmE0ELj4294967295EEENS1_25partition_config_selectorILNS1_17partition_subalgoE4EjNS0_10empty_typeEbEEZZNS1_14partition_implILS8_4ELb0ES6_15HIP_vector_typeIjLj2EENS0_17counting_iteratorIjlEEPS9_SG_NS0_5tupleIJPjSI_NS0_16reverse_iteratorISI_EEEEENSH_IJSG_SG_SG_EEES9_SI_JZNS1_25segmented_radix_sort_implINS0_14default_configELb1EPKsPsPKlPlN2at6native12_GLOBAL__N_18offset_tEEE10hipError_tPvRmT1_PNSt15iterator_traitsIS12_E10value_typeET2_T3_PNS13_IS18_E10value_typeET4_jRbjT5_S1E_jjP12ihipStream_tbEUljE_ZNSN_ISO_Lb1ESQ_SR_ST_SU_SY_EESZ_S10_S11_S12_S16_S17_S18_S1B_S1C_jS1D_jS1E_S1E_jjS1G_bEUljE0_EEESZ_S10_S11_S18_S1C_S1E_T6_T7_T9_mT8_S1G_bDpT10_ENKUlT_T0_E_clISt17integral_constantIbLb0EES1U_EEDaS1P_S1Q_EUlS1P_E_NS1_11comp_targetILNS1_3genE3ELNS1_11target_archE908ELNS1_3gpuE7ELNS1_3repE0EEENS1_30default_config_static_selectorELNS0_4arch9wavefront6targetE0EEEvS12_.num_named_barrier, 0
	.set _ZN7rocprim17ROCPRIM_400000_NS6detail17trampoline_kernelINS0_13select_configILj256ELj13ELNS0_17block_load_methodE3ELS4_3ELS4_3ELNS0_20block_scan_algorithmE0ELj4294967295EEENS1_25partition_config_selectorILNS1_17partition_subalgoE4EjNS0_10empty_typeEbEEZZNS1_14partition_implILS8_4ELb0ES6_15HIP_vector_typeIjLj2EENS0_17counting_iteratorIjlEEPS9_SG_NS0_5tupleIJPjSI_NS0_16reverse_iteratorISI_EEEEENSH_IJSG_SG_SG_EEES9_SI_JZNS1_25segmented_radix_sort_implINS0_14default_configELb1EPKsPsPKlPlN2at6native12_GLOBAL__N_18offset_tEEE10hipError_tPvRmT1_PNSt15iterator_traitsIS12_E10value_typeET2_T3_PNS13_IS18_E10value_typeET4_jRbjT5_S1E_jjP12ihipStream_tbEUljE_ZNSN_ISO_Lb1ESQ_SR_ST_SU_SY_EESZ_S10_S11_S12_S16_S17_S18_S1B_S1C_jS1D_jS1E_S1E_jjS1G_bEUljE0_EEESZ_S10_S11_S18_S1C_S1E_T6_T7_T9_mT8_S1G_bDpT10_ENKUlT_T0_E_clISt17integral_constantIbLb0EES1U_EEDaS1P_S1Q_EUlS1P_E_NS1_11comp_targetILNS1_3genE3ELNS1_11target_archE908ELNS1_3gpuE7ELNS1_3repE0EEENS1_30default_config_static_selectorELNS0_4arch9wavefront6targetE0EEEvS12_.private_seg_size, 0
	.set _ZN7rocprim17ROCPRIM_400000_NS6detail17trampoline_kernelINS0_13select_configILj256ELj13ELNS0_17block_load_methodE3ELS4_3ELS4_3ELNS0_20block_scan_algorithmE0ELj4294967295EEENS1_25partition_config_selectorILNS1_17partition_subalgoE4EjNS0_10empty_typeEbEEZZNS1_14partition_implILS8_4ELb0ES6_15HIP_vector_typeIjLj2EENS0_17counting_iteratorIjlEEPS9_SG_NS0_5tupleIJPjSI_NS0_16reverse_iteratorISI_EEEEENSH_IJSG_SG_SG_EEES9_SI_JZNS1_25segmented_radix_sort_implINS0_14default_configELb1EPKsPsPKlPlN2at6native12_GLOBAL__N_18offset_tEEE10hipError_tPvRmT1_PNSt15iterator_traitsIS12_E10value_typeET2_T3_PNS13_IS18_E10value_typeET4_jRbjT5_S1E_jjP12ihipStream_tbEUljE_ZNSN_ISO_Lb1ESQ_SR_ST_SU_SY_EESZ_S10_S11_S12_S16_S17_S18_S1B_S1C_jS1D_jS1E_S1E_jjS1G_bEUljE0_EEESZ_S10_S11_S18_S1C_S1E_T6_T7_T9_mT8_S1G_bDpT10_ENKUlT_T0_E_clISt17integral_constantIbLb0EES1U_EEDaS1P_S1Q_EUlS1P_E_NS1_11comp_targetILNS1_3genE3ELNS1_11target_archE908ELNS1_3gpuE7ELNS1_3repE0EEENS1_30default_config_static_selectorELNS0_4arch9wavefront6targetE0EEEvS12_.uses_vcc, 0
	.set _ZN7rocprim17ROCPRIM_400000_NS6detail17trampoline_kernelINS0_13select_configILj256ELj13ELNS0_17block_load_methodE3ELS4_3ELS4_3ELNS0_20block_scan_algorithmE0ELj4294967295EEENS1_25partition_config_selectorILNS1_17partition_subalgoE4EjNS0_10empty_typeEbEEZZNS1_14partition_implILS8_4ELb0ES6_15HIP_vector_typeIjLj2EENS0_17counting_iteratorIjlEEPS9_SG_NS0_5tupleIJPjSI_NS0_16reverse_iteratorISI_EEEEENSH_IJSG_SG_SG_EEES9_SI_JZNS1_25segmented_radix_sort_implINS0_14default_configELb1EPKsPsPKlPlN2at6native12_GLOBAL__N_18offset_tEEE10hipError_tPvRmT1_PNSt15iterator_traitsIS12_E10value_typeET2_T3_PNS13_IS18_E10value_typeET4_jRbjT5_S1E_jjP12ihipStream_tbEUljE_ZNSN_ISO_Lb1ESQ_SR_ST_SU_SY_EESZ_S10_S11_S12_S16_S17_S18_S1B_S1C_jS1D_jS1E_S1E_jjS1G_bEUljE0_EEESZ_S10_S11_S18_S1C_S1E_T6_T7_T9_mT8_S1G_bDpT10_ENKUlT_T0_E_clISt17integral_constantIbLb0EES1U_EEDaS1P_S1Q_EUlS1P_E_NS1_11comp_targetILNS1_3genE3ELNS1_11target_archE908ELNS1_3gpuE7ELNS1_3repE0EEENS1_30default_config_static_selectorELNS0_4arch9wavefront6targetE0EEEvS12_.uses_flat_scratch, 0
	.set _ZN7rocprim17ROCPRIM_400000_NS6detail17trampoline_kernelINS0_13select_configILj256ELj13ELNS0_17block_load_methodE3ELS4_3ELS4_3ELNS0_20block_scan_algorithmE0ELj4294967295EEENS1_25partition_config_selectorILNS1_17partition_subalgoE4EjNS0_10empty_typeEbEEZZNS1_14partition_implILS8_4ELb0ES6_15HIP_vector_typeIjLj2EENS0_17counting_iteratorIjlEEPS9_SG_NS0_5tupleIJPjSI_NS0_16reverse_iteratorISI_EEEEENSH_IJSG_SG_SG_EEES9_SI_JZNS1_25segmented_radix_sort_implINS0_14default_configELb1EPKsPsPKlPlN2at6native12_GLOBAL__N_18offset_tEEE10hipError_tPvRmT1_PNSt15iterator_traitsIS12_E10value_typeET2_T3_PNS13_IS18_E10value_typeET4_jRbjT5_S1E_jjP12ihipStream_tbEUljE_ZNSN_ISO_Lb1ESQ_SR_ST_SU_SY_EESZ_S10_S11_S12_S16_S17_S18_S1B_S1C_jS1D_jS1E_S1E_jjS1G_bEUljE0_EEESZ_S10_S11_S18_S1C_S1E_T6_T7_T9_mT8_S1G_bDpT10_ENKUlT_T0_E_clISt17integral_constantIbLb0EES1U_EEDaS1P_S1Q_EUlS1P_E_NS1_11comp_targetILNS1_3genE3ELNS1_11target_archE908ELNS1_3gpuE7ELNS1_3repE0EEENS1_30default_config_static_selectorELNS0_4arch9wavefront6targetE0EEEvS12_.has_dyn_sized_stack, 0
	.set _ZN7rocprim17ROCPRIM_400000_NS6detail17trampoline_kernelINS0_13select_configILj256ELj13ELNS0_17block_load_methodE3ELS4_3ELS4_3ELNS0_20block_scan_algorithmE0ELj4294967295EEENS1_25partition_config_selectorILNS1_17partition_subalgoE4EjNS0_10empty_typeEbEEZZNS1_14partition_implILS8_4ELb0ES6_15HIP_vector_typeIjLj2EENS0_17counting_iteratorIjlEEPS9_SG_NS0_5tupleIJPjSI_NS0_16reverse_iteratorISI_EEEEENSH_IJSG_SG_SG_EEES9_SI_JZNS1_25segmented_radix_sort_implINS0_14default_configELb1EPKsPsPKlPlN2at6native12_GLOBAL__N_18offset_tEEE10hipError_tPvRmT1_PNSt15iterator_traitsIS12_E10value_typeET2_T3_PNS13_IS18_E10value_typeET4_jRbjT5_S1E_jjP12ihipStream_tbEUljE_ZNSN_ISO_Lb1ESQ_SR_ST_SU_SY_EESZ_S10_S11_S12_S16_S17_S18_S1B_S1C_jS1D_jS1E_S1E_jjS1G_bEUljE0_EEESZ_S10_S11_S18_S1C_S1E_T6_T7_T9_mT8_S1G_bDpT10_ENKUlT_T0_E_clISt17integral_constantIbLb0EES1U_EEDaS1P_S1Q_EUlS1P_E_NS1_11comp_targetILNS1_3genE3ELNS1_11target_archE908ELNS1_3gpuE7ELNS1_3repE0EEENS1_30default_config_static_selectorELNS0_4arch9wavefront6targetE0EEEvS12_.has_recursion, 0
	.set _ZN7rocprim17ROCPRIM_400000_NS6detail17trampoline_kernelINS0_13select_configILj256ELj13ELNS0_17block_load_methodE3ELS4_3ELS4_3ELNS0_20block_scan_algorithmE0ELj4294967295EEENS1_25partition_config_selectorILNS1_17partition_subalgoE4EjNS0_10empty_typeEbEEZZNS1_14partition_implILS8_4ELb0ES6_15HIP_vector_typeIjLj2EENS0_17counting_iteratorIjlEEPS9_SG_NS0_5tupleIJPjSI_NS0_16reverse_iteratorISI_EEEEENSH_IJSG_SG_SG_EEES9_SI_JZNS1_25segmented_radix_sort_implINS0_14default_configELb1EPKsPsPKlPlN2at6native12_GLOBAL__N_18offset_tEEE10hipError_tPvRmT1_PNSt15iterator_traitsIS12_E10value_typeET2_T3_PNS13_IS18_E10value_typeET4_jRbjT5_S1E_jjP12ihipStream_tbEUljE_ZNSN_ISO_Lb1ESQ_SR_ST_SU_SY_EESZ_S10_S11_S12_S16_S17_S18_S1B_S1C_jS1D_jS1E_S1E_jjS1G_bEUljE0_EEESZ_S10_S11_S18_S1C_S1E_T6_T7_T9_mT8_S1G_bDpT10_ENKUlT_T0_E_clISt17integral_constantIbLb0EES1U_EEDaS1P_S1Q_EUlS1P_E_NS1_11comp_targetILNS1_3genE3ELNS1_11target_archE908ELNS1_3gpuE7ELNS1_3repE0EEENS1_30default_config_static_selectorELNS0_4arch9wavefront6targetE0EEEvS12_.has_indirect_call, 0
	.section	.AMDGPU.csdata,"",@progbits
; Kernel info:
; codeLenInByte = 0
; TotalNumSgprs: 0
; NumVgprs: 0
; ScratchSize: 0
; MemoryBound: 0
; FloatMode: 240
; IeeeMode: 1
; LDSByteSize: 0 bytes/workgroup (compile time only)
; SGPRBlocks: 0
; VGPRBlocks: 0
; NumSGPRsForWavesPerEU: 1
; NumVGPRsForWavesPerEU: 1
; Occupancy: 16
; WaveLimiterHint : 0
; COMPUTE_PGM_RSRC2:SCRATCH_EN: 0
; COMPUTE_PGM_RSRC2:USER_SGPR: 6
; COMPUTE_PGM_RSRC2:TRAP_HANDLER: 0
; COMPUTE_PGM_RSRC2:TGID_X_EN: 1
; COMPUTE_PGM_RSRC2:TGID_Y_EN: 0
; COMPUTE_PGM_RSRC2:TGID_Z_EN: 0
; COMPUTE_PGM_RSRC2:TIDIG_COMP_CNT: 0
	.section	.text._ZN7rocprim17ROCPRIM_400000_NS6detail17trampoline_kernelINS0_13select_configILj256ELj13ELNS0_17block_load_methodE3ELS4_3ELS4_3ELNS0_20block_scan_algorithmE0ELj4294967295EEENS1_25partition_config_selectorILNS1_17partition_subalgoE4EjNS0_10empty_typeEbEEZZNS1_14partition_implILS8_4ELb0ES6_15HIP_vector_typeIjLj2EENS0_17counting_iteratorIjlEEPS9_SG_NS0_5tupleIJPjSI_NS0_16reverse_iteratorISI_EEEEENSH_IJSG_SG_SG_EEES9_SI_JZNS1_25segmented_radix_sort_implINS0_14default_configELb1EPKsPsPKlPlN2at6native12_GLOBAL__N_18offset_tEEE10hipError_tPvRmT1_PNSt15iterator_traitsIS12_E10value_typeET2_T3_PNS13_IS18_E10value_typeET4_jRbjT5_S1E_jjP12ihipStream_tbEUljE_ZNSN_ISO_Lb1ESQ_SR_ST_SU_SY_EESZ_S10_S11_S12_S16_S17_S18_S1B_S1C_jS1D_jS1E_S1E_jjS1G_bEUljE0_EEESZ_S10_S11_S18_S1C_S1E_T6_T7_T9_mT8_S1G_bDpT10_ENKUlT_T0_E_clISt17integral_constantIbLb0EES1U_EEDaS1P_S1Q_EUlS1P_E_NS1_11comp_targetILNS1_3genE2ELNS1_11target_archE906ELNS1_3gpuE6ELNS1_3repE0EEENS1_30default_config_static_selectorELNS0_4arch9wavefront6targetE0EEEvS12_,"axG",@progbits,_ZN7rocprim17ROCPRIM_400000_NS6detail17trampoline_kernelINS0_13select_configILj256ELj13ELNS0_17block_load_methodE3ELS4_3ELS4_3ELNS0_20block_scan_algorithmE0ELj4294967295EEENS1_25partition_config_selectorILNS1_17partition_subalgoE4EjNS0_10empty_typeEbEEZZNS1_14partition_implILS8_4ELb0ES6_15HIP_vector_typeIjLj2EENS0_17counting_iteratorIjlEEPS9_SG_NS0_5tupleIJPjSI_NS0_16reverse_iteratorISI_EEEEENSH_IJSG_SG_SG_EEES9_SI_JZNS1_25segmented_radix_sort_implINS0_14default_configELb1EPKsPsPKlPlN2at6native12_GLOBAL__N_18offset_tEEE10hipError_tPvRmT1_PNSt15iterator_traitsIS12_E10value_typeET2_T3_PNS13_IS18_E10value_typeET4_jRbjT5_S1E_jjP12ihipStream_tbEUljE_ZNSN_ISO_Lb1ESQ_SR_ST_SU_SY_EESZ_S10_S11_S12_S16_S17_S18_S1B_S1C_jS1D_jS1E_S1E_jjS1G_bEUljE0_EEESZ_S10_S11_S18_S1C_S1E_T6_T7_T9_mT8_S1G_bDpT10_ENKUlT_T0_E_clISt17integral_constantIbLb0EES1U_EEDaS1P_S1Q_EUlS1P_E_NS1_11comp_targetILNS1_3genE2ELNS1_11target_archE906ELNS1_3gpuE6ELNS1_3repE0EEENS1_30default_config_static_selectorELNS0_4arch9wavefront6targetE0EEEvS12_,comdat
	.globl	_ZN7rocprim17ROCPRIM_400000_NS6detail17trampoline_kernelINS0_13select_configILj256ELj13ELNS0_17block_load_methodE3ELS4_3ELS4_3ELNS0_20block_scan_algorithmE0ELj4294967295EEENS1_25partition_config_selectorILNS1_17partition_subalgoE4EjNS0_10empty_typeEbEEZZNS1_14partition_implILS8_4ELb0ES6_15HIP_vector_typeIjLj2EENS0_17counting_iteratorIjlEEPS9_SG_NS0_5tupleIJPjSI_NS0_16reverse_iteratorISI_EEEEENSH_IJSG_SG_SG_EEES9_SI_JZNS1_25segmented_radix_sort_implINS0_14default_configELb1EPKsPsPKlPlN2at6native12_GLOBAL__N_18offset_tEEE10hipError_tPvRmT1_PNSt15iterator_traitsIS12_E10value_typeET2_T3_PNS13_IS18_E10value_typeET4_jRbjT5_S1E_jjP12ihipStream_tbEUljE_ZNSN_ISO_Lb1ESQ_SR_ST_SU_SY_EESZ_S10_S11_S12_S16_S17_S18_S1B_S1C_jS1D_jS1E_S1E_jjS1G_bEUljE0_EEESZ_S10_S11_S18_S1C_S1E_T6_T7_T9_mT8_S1G_bDpT10_ENKUlT_T0_E_clISt17integral_constantIbLb0EES1U_EEDaS1P_S1Q_EUlS1P_E_NS1_11comp_targetILNS1_3genE2ELNS1_11target_archE906ELNS1_3gpuE6ELNS1_3repE0EEENS1_30default_config_static_selectorELNS0_4arch9wavefront6targetE0EEEvS12_ ; -- Begin function _ZN7rocprim17ROCPRIM_400000_NS6detail17trampoline_kernelINS0_13select_configILj256ELj13ELNS0_17block_load_methodE3ELS4_3ELS4_3ELNS0_20block_scan_algorithmE0ELj4294967295EEENS1_25partition_config_selectorILNS1_17partition_subalgoE4EjNS0_10empty_typeEbEEZZNS1_14partition_implILS8_4ELb0ES6_15HIP_vector_typeIjLj2EENS0_17counting_iteratorIjlEEPS9_SG_NS0_5tupleIJPjSI_NS0_16reverse_iteratorISI_EEEEENSH_IJSG_SG_SG_EEES9_SI_JZNS1_25segmented_radix_sort_implINS0_14default_configELb1EPKsPsPKlPlN2at6native12_GLOBAL__N_18offset_tEEE10hipError_tPvRmT1_PNSt15iterator_traitsIS12_E10value_typeET2_T3_PNS13_IS18_E10value_typeET4_jRbjT5_S1E_jjP12ihipStream_tbEUljE_ZNSN_ISO_Lb1ESQ_SR_ST_SU_SY_EESZ_S10_S11_S12_S16_S17_S18_S1B_S1C_jS1D_jS1E_S1E_jjS1G_bEUljE0_EEESZ_S10_S11_S18_S1C_S1E_T6_T7_T9_mT8_S1G_bDpT10_ENKUlT_T0_E_clISt17integral_constantIbLb0EES1U_EEDaS1P_S1Q_EUlS1P_E_NS1_11comp_targetILNS1_3genE2ELNS1_11target_archE906ELNS1_3gpuE6ELNS1_3repE0EEENS1_30default_config_static_selectorELNS0_4arch9wavefront6targetE0EEEvS12_
	.p2align	8
	.type	_ZN7rocprim17ROCPRIM_400000_NS6detail17trampoline_kernelINS0_13select_configILj256ELj13ELNS0_17block_load_methodE3ELS4_3ELS4_3ELNS0_20block_scan_algorithmE0ELj4294967295EEENS1_25partition_config_selectorILNS1_17partition_subalgoE4EjNS0_10empty_typeEbEEZZNS1_14partition_implILS8_4ELb0ES6_15HIP_vector_typeIjLj2EENS0_17counting_iteratorIjlEEPS9_SG_NS0_5tupleIJPjSI_NS0_16reverse_iteratorISI_EEEEENSH_IJSG_SG_SG_EEES9_SI_JZNS1_25segmented_radix_sort_implINS0_14default_configELb1EPKsPsPKlPlN2at6native12_GLOBAL__N_18offset_tEEE10hipError_tPvRmT1_PNSt15iterator_traitsIS12_E10value_typeET2_T3_PNS13_IS18_E10value_typeET4_jRbjT5_S1E_jjP12ihipStream_tbEUljE_ZNSN_ISO_Lb1ESQ_SR_ST_SU_SY_EESZ_S10_S11_S12_S16_S17_S18_S1B_S1C_jS1D_jS1E_S1E_jjS1G_bEUljE0_EEESZ_S10_S11_S18_S1C_S1E_T6_T7_T9_mT8_S1G_bDpT10_ENKUlT_T0_E_clISt17integral_constantIbLb0EES1U_EEDaS1P_S1Q_EUlS1P_E_NS1_11comp_targetILNS1_3genE2ELNS1_11target_archE906ELNS1_3gpuE6ELNS1_3repE0EEENS1_30default_config_static_selectorELNS0_4arch9wavefront6targetE0EEEvS12_,@function
_ZN7rocprim17ROCPRIM_400000_NS6detail17trampoline_kernelINS0_13select_configILj256ELj13ELNS0_17block_load_methodE3ELS4_3ELS4_3ELNS0_20block_scan_algorithmE0ELj4294967295EEENS1_25partition_config_selectorILNS1_17partition_subalgoE4EjNS0_10empty_typeEbEEZZNS1_14partition_implILS8_4ELb0ES6_15HIP_vector_typeIjLj2EENS0_17counting_iteratorIjlEEPS9_SG_NS0_5tupleIJPjSI_NS0_16reverse_iteratorISI_EEEEENSH_IJSG_SG_SG_EEES9_SI_JZNS1_25segmented_radix_sort_implINS0_14default_configELb1EPKsPsPKlPlN2at6native12_GLOBAL__N_18offset_tEEE10hipError_tPvRmT1_PNSt15iterator_traitsIS12_E10value_typeET2_T3_PNS13_IS18_E10value_typeET4_jRbjT5_S1E_jjP12ihipStream_tbEUljE_ZNSN_ISO_Lb1ESQ_SR_ST_SU_SY_EESZ_S10_S11_S12_S16_S17_S18_S1B_S1C_jS1D_jS1E_S1E_jjS1G_bEUljE0_EEESZ_S10_S11_S18_S1C_S1E_T6_T7_T9_mT8_S1G_bDpT10_ENKUlT_T0_E_clISt17integral_constantIbLb0EES1U_EEDaS1P_S1Q_EUlS1P_E_NS1_11comp_targetILNS1_3genE2ELNS1_11target_archE906ELNS1_3gpuE6ELNS1_3repE0EEENS1_30default_config_static_selectorELNS0_4arch9wavefront6targetE0EEEvS12_: ; @_ZN7rocprim17ROCPRIM_400000_NS6detail17trampoline_kernelINS0_13select_configILj256ELj13ELNS0_17block_load_methodE3ELS4_3ELS4_3ELNS0_20block_scan_algorithmE0ELj4294967295EEENS1_25partition_config_selectorILNS1_17partition_subalgoE4EjNS0_10empty_typeEbEEZZNS1_14partition_implILS8_4ELb0ES6_15HIP_vector_typeIjLj2EENS0_17counting_iteratorIjlEEPS9_SG_NS0_5tupleIJPjSI_NS0_16reverse_iteratorISI_EEEEENSH_IJSG_SG_SG_EEES9_SI_JZNS1_25segmented_radix_sort_implINS0_14default_configELb1EPKsPsPKlPlN2at6native12_GLOBAL__N_18offset_tEEE10hipError_tPvRmT1_PNSt15iterator_traitsIS12_E10value_typeET2_T3_PNS13_IS18_E10value_typeET4_jRbjT5_S1E_jjP12ihipStream_tbEUljE_ZNSN_ISO_Lb1ESQ_SR_ST_SU_SY_EESZ_S10_S11_S12_S16_S17_S18_S1B_S1C_jS1D_jS1E_S1E_jjS1G_bEUljE0_EEESZ_S10_S11_S18_S1C_S1E_T6_T7_T9_mT8_S1G_bDpT10_ENKUlT_T0_E_clISt17integral_constantIbLb0EES1U_EEDaS1P_S1Q_EUlS1P_E_NS1_11comp_targetILNS1_3genE2ELNS1_11target_archE906ELNS1_3gpuE6ELNS1_3repE0EEENS1_30default_config_static_selectorELNS0_4arch9wavefront6targetE0EEEvS12_
; %bb.0:
	.section	.rodata,"a",@progbits
	.p2align	6, 0x0
	.amdhsa_kernel _ZN7rocprim17ROCPRIM_400000_NS6detail17trampoline_kernelINS0_13select_configILj256ELj13ELNS0_17block_load_methodE3ELS4_3ELS4_3ELNS0_20block_scan_algorithmE0ELj4294967295EEENS1_25partition_config_selectorILNS1_17partition_subalgoE4EjNS0_10empty_typeEbEEZZNS1_14partition_implILS8_4ELb0ES6_15HIP_vector_typeIjLj2EENS0_17counting_iteratorIjlEEPS9_SG_NS0_5tupleIJPjSI_NS0_16reverse_iteratorISI_EEEEENSH_IJSG_SG_SG_EEES9_SI_JZNS1_25segmented_radix_sort_implINS0_14default_configELb1EPKsPsPKlPlN2at6native12_GLOBAL__N_18offset_tEEE10hipError_tPvRmT1_PNSt15iterator_traitsIS12_E10value_typeET2_T3_PNS13_IS18_E10value_typeET4_jRbjT5_S1E_jjP12ihipStream_tbEUljE_ZNSN_ISO_Lb1ESQ_SR_ST_SU_SY_EESZ_S10_S11_S12_S16_S17_S18_S1B_S1C_jS1D_jS1E_S1E_jjS1G_bEUljE0_EEESZ_S10_S11_S18_S1C_S1E_T6_T7_T9_mT8_S1G_bDpT10_ENKUlT_T0_E_clISt17integral_constantIbLb0EES1U_EEDaS1P_S1Q_EUlS1P_E_NS1_11comp_targetILNS1_3genE2ELNS1_11target_archE906ELNS1_3gpuE6ELNS1_3repE0EEENS1_30default_config_static_selectorELNS0_4arch9wavefront6targetE0EEEvS12_
		.amdhsa_group_segment_fixed_size 0
		.amdhsa_private_segment_fixed_size 0
		.amdhsa_kernarg_size 176
		.amdhsa_user_sgpr_count 6
		.amdhsa_user_sgpr_private_segment_buffer 1
		.amdhsa_user_sgpr_dispatch_ptr 0
		.amdhsa_user_sgpr_queue_ptr 0
		.amdhsa_user_sgpr_kernarg_segment_ptr 1
		.amdhsa_user_sgpr_dispatch_id 0
		.amdhsa_user_sgpr_flat_scratch_init 0
		.amdhsa_user_sgpr_private_segment_size 0
		.amdhsa_wavefront_size32 1
		.amdhsa_uses_dynamic_stack 0
		.amdhsa_system_sgpr_private_segment_wavefront_offset 0
		.amdhsa_system_sgpr_workgroup_id_x 1
		.amdhsa_system_sgpr_workgroup_id_y 0
		.amdhsa_system_sgpr_workgroup_id_z 0
		.amdhsa_system_sgpr_workgroup_info 0
		.amdhsa_system_vgpr_workitem_id 0
		.amdhsa_next_free_vgpr 1
		.amdhsa_next_free_sgpr 1
		.amdhsa_reserve_vcc 0
		.amdhsa_reserve_flat_scratch 0
		.amdhsa_float_round_mode_32 0
		.amdhsa_float_round_mode_16_64 0
		.amdhsa_float_denorm_mode_32 3
		.amdhsa_float_denorm_mode_16_64 3
		.amdhsa_dx10_clamp 1
		.amdhsa_ieee_mode 1
		.amdhsa_fp16_overflow 0
		.amdhsa_workgroup_processor_mode 1
		.amdhsa_memory_ordered 1
		.amdhsa_forward_progress 1
		.amdhsa_shared_vgpr_count 0
		.amdhsa_exception_fp_ieee_invalid_op 0
		.amdhsa_exception_fp_denorm_src 0
		.amdhsa_exception_fp_ieee_div_zero 0
		.amdhsa_exception_fp_ieee_overflow 0
		.amdhsa_exception_fp_ieee_underflow 0
		.amdhsa_exception_fp_ieee_inexact 0
		.amdhsa_exception_int_div_zero 0
	.end_amdhsa_kernel
	.section	.text._ZN7rocprim17ROCPRIM_400000_NS6detail17trampoline_kernelINS0_13select_configILj256ELj13ELNS0_17block_load_methodE3ELS4_3ELS4_3ELNS0_20block_scan_algorithmE0ELj4294967295EEENS1_25partition_config_selectorILNS1_17partition_subalgoE4EjNS0_10empty_typeEbEEZZNS1_14partition_implILS8_4ELb0ES6_15HIP_vector_typeIjLj2EENS0_17counting_iteratorIjlEEPS9_SG_NS0_5tupleIJPjSI_NS0_16reverse_iteratorISI_EEEEENSH_IJSG_SG_SG_EEES9_SI_JZNS1_25segmented_radix_sort_implINS0_14default_configELb1EPKsPsPKlPlN2at6native12_GLOBAL__N_18offset_tEEE10hipError_tPvRmT1_PNSt15iterator_traitsIS12_E10value_typeET2_T3_PNS13_IS18_E10value_typeET4_jRbjT5_S1E_jjP12ihipStream_tbEUljE_ZNSN_ISO_Lb1ESQ_SR_ST_SU_SY_EESZ_S10_S11_S12_S16_S17_S18_S1B_S1C_jS1D_jS1E_S1E_jjS1G_bEUljE0_EEESZ_S10_S11_S18_S1C_S1E_T6_T7_T9_mT8_S1G_bDpT10_ENKUlT_T0_E_clISt17integral_constantIbLb0EES1U_EEDaS1P_S1Q_EUlS1P_E_NS1_11comp_targetILNS1_3genE2ELNS1_11target_archE906ELNS1_3gpuE6ELNS1_3repE0EEENS1_30default_config_static_selectorELNS0_4arch9wavefront6targetE0EEEvS12_,"axG",@progbits,_ZN7rocprim17ROCPRIM_400000_NS6detail17trampoline_kernelINS0_13select_configILj256ELj13ELNS0_17block_load_methodE3ELS4_3ELS4_3ELNS0_20block_scan_algorithmE0ELj4294967295EEENS1_25partition_config_selectorILNS1_17partition_subalgoE4EjNS0_10empty_typeEbEEZZNS1_14partition_implILS8_4ELb0ES6_15HIP_vector_typeIjLj2EENS0_17counting_iteratorIjlEEPS9_SG_NS0_5tupleIJPjSI_NS0_16reverse_iteratorISI_EEEEENSH_IJSG_SG_SG_EEES9_SI_JZNS1_25segmented_radix_sort_implINS0_14default_configELb1EPKsPsPKlPlN2at6native12_GLOBAL__N_18offset_tEEE10hipError_tPvRmT1_PNSt15iterator_traitsIS12_E10value_typeET2_T3_PNS13_IS18_E10value_typeET4_jRbjT5_S1E_jjP12ihipStream_tbEUljE_ZNSN_ISO_Lb1ESQ_SR_ST_SU_SY_EESZ_S10_S11_S12_S16_S17_S18_S1B_S1C_jS1D_jS1E_S1E_jjS1G_bEUljE0_EEESZ_S10_S11_S18_S1C_S1E_T6_T7_T9_mT8_S1G_bDpT10_ENKUlT_T0_E_clISt17integral_constantIbLb0EES1U_EEDaS1P_S1Q_EUlS1P_E_NS1_11comp_targetILNS1_3genE2ELNS1_11target_archE906ELNS1_3gpuE6ELNS1_3repE0EEENS1_30default_config_static_selectorELNS0_4arch9wavefront6targetE0EEEvS12_,comdat
.Lfunc_end845:
	.size	_ZN7rocprim17ROCPRIM_400000_NS6detail17trampoline_kernelINS0_13select_configILj256ELj13ELNS0_17block_load_methodE3ELS4_3ELS4_3ELNS0_20block_scan_algorithmE0ELj4294967295EEENS1_25partition_config_selectorILNS1_17partition_subalgoE4EjNS0_10empty_typeEbEEZZNS1_14partition_implILS8_4ELb0ES6_15HIP_vector_typeIjLj2EENS0_17counting_iteratorIjlEEPS9_SG_NS0_5tupleIJPjSI_NS0_16reverse_iteratorISI_EEEEENSH_IJSG_SG_SG_EEES9_SI_JZNS1_25segmented_radix_sort_implINS0_14default_configELb1EPKsPsPKlPlN2at6native12_GLOBAL__N_18offset_tEEE10hipError_tPvRmT1_PNSt15iterator_traitsIS12_E10value_typeET2_T3_PNS13_IS18_E10value_typeET4_jRbjT5_S1E_jjP12ihipStream_tbEUljE_ZNSN_ISO_Lb1ESQ_SR_ST_SU_SY_EESZ_S10_S11_S12_S16_S17_S18_S1B_S1C_jS1D_jS1E_S1E_jjS1G_bEUljE0_EEESZ_S10_S11_S18_S1C_S1E_T6_T7_T9_mT8_S1G_bDpT10_ENKUlT_T0_E_clISt17integral_constantIbLb0EES1U_EEDaS1P_S1Q_EUlS1P_E_NS1_11comp_targetILNS1_3genE2ELNS1_11target_archE906ELNS1_3gpuE6ELNS1_3repE0EEENS1_30default_config_static_selectorELNS0_4arch9wavefront6targetE0EEEvS12_, .Lfunc_end845-_ZN7rocprim17ROCPRIM_400000_NS6detail17trampoline_kernelINS0_13select_configILj256ELj13ELNS0_17block_load_methodE3ELS4_3ELS4_3ELNS0_20block_scan_algorithmE0ELj4294967295EEENS1_25partition_config_selectorILNS1_17partition_subalgoE4EjNS0_10empty_typeEbEEZZNS1_14partition_implILS8_4ELb0ES6_15HIP_vector_typeIjLj2EENS0_17counting_iteratorIjlEEPS9_SG_NS0_5tupleIJPjSI_NS0_16reverse_iteratorISI_EEEEENSH_IJSG_SG_SG_EEES9_SI_JZNS1_25segmented_radix_sort_implINS0_14default_configELb1EPKsPsPKlPlN2at6native12_GLOBAL__N_18offset_tEEE10hipError_tPvRmT1_PNSt15iterator_traitsIS12_E10value_typeET2_T3_PNS13_IS18_E10value_typeET4_jRbjT5_S1E_jjP12ihipStream_tbEUljE_ZNSN_ISO_Lb1ESQ_SR_ST_SU_SY_EESZ_S10_S11_S12_S16_S17_S18_S1B_S1C_jS1D_jS1E_S1E_jjS1G_bEUljE0_EEESZ_S10_S11_S18_S1C_S1E_T6_T7_T9_mT8_S1G_bDpT10_ENKUlT_T0_E_clISt17integral_constantIbLb0EES1U_EEDaS1P_S1Q_EUlS1P_E_NS1_11comp_targetILNS1_3genE2ELNS1_11target_archE906ELNS1_3gpuE6ELNS1_3repE0EEENS1_30default_config_static_selectorELNS0_4arch9wavefront6targetE0EEEvS12_
                                        ; -- End function
	.set _ZN7rocprim17ROCPRIM_400000_NS6detail17trampoline_kernelINS0_13select_configILj256ELj13ELNS0_17block_load_methodE3ELS4_3ELS4_3ELNS0_20block_scan_algorithmE0ELj4294967295EEENS1_25partition_config_selectorILNS1_17partition_subalgoE4EjNS0_10empty_typeEbEEZZNS1_14partition_implILS8_4ELb0ES6_15HIP_vector_typeIjLj2EENS0_17counting_iteratorIjlEEPS9_SG_NS0_5tupleIJPjSI_NS0_16reverse_iteratorISI_EEEEENSH_IJSG_SG_SG_EEES9_SI_JZNS1_25segmented_radix_sort_implINS0_14default_configELb1EPKsPsPKlPlN2at6native12_GLOBAL__N_18offset_tEEE10hipError_tPvRmT1_PNSt15iterator_traitsIS12_E10value_typeET2_T3_PNS13_IS18_E10value_typeET4_jRbjT5_S1E_jjP12ihipStream_tbEUljE_ZNSN_ISO_Lb1ESQ_SR_ST_SU_SY_EESZ_S10_S11_S12_S16_S17_S18_S1B_S1C_jS1D_jS1E_S1E_jjS1G_bEUljE0_EEESZ_S10_S11_S18_S1C_S1E_T6_T7_T9_mT8_S1G_bDpT10_ENKUlT_T0_E_clISt17integral_constantIbLb0EES1U_EEDaS1P_S1Q_EUlS1P_E_NS1_11comp_targetILNS1_3genE2ELNS1_11target_archE906ELNS1_3gpuE6ELNS1_3repE0EEENS1_30default_config_static_selectorELNS0_4arch9wavefront6targetE0EEEvS12_.num_vgpr, 0
	.set _ZN7rocprim17ROCPRIM_400000_NS6detail17trampoline_kernelINS0_13select_configILj256ELj13ELNS0_17block_load_methodE3ELS4_3ELS4_3ELNS0_20block_scan_algorithmE0ELj4294967295EEENS1_25partition_config_selectorILNS1_17partition_subalgoE4EjNS0_10empty_typeEbEEZZNS1_14partition_implILS8_4ELb0ES6_15HIP_vector_typeIjLj2EENS0_17counting_iteratorIjlEEPS9_SG_NS0_5tupleIJPjSI_NS0_16reverse_iteratorISI_EEEEENSH_IJSG_SG_SG_EEES9_SI_JZNS1_25segmented_radix_sort_implINS0_14default_configELb1EPKsPsPKlPlN2at6native12_GLOBAL__N_18offset_tEEE10hipError_tPvRmT1_PNSt15iterator_traitsIS12_E10value_typeET2_T3_PNS13_IS18_E10value_typeET4_jRbjT5_S1E_jjP12ihipStream_tbEUljE_ZNSN_ISO_Lb1ESQ_SR_ST_SU_SY_EESZ_S10_S11_S12_S16_S17_S18_S1B_S1C_jS1D_jS1E_S1E_jjS1G_bEUljE0_EEESZ_S10_S11_S18_S1C_S1E_T6_T7_T9_mT8_S1G_bDpT10_ENKUlT_T0_E_clISt17integral_constantIbLb0EES1U_EEDaS1P_S1Q_EUlS1P_E_NS1_11comp_targetILNS1_3genE2ELNS1_11target_archE906ELNS1_3gpuE6ELNS1_3repE0EEENS1_30default_config_static_selectorELNS0_4arch9wavefront6targetE0EEEvS12_.num_agpr, 0
	.set _ZN7rocprim17ROCPRIM_400000_NS6detail17trampoline_kernelINS0_13select_configILj256ELj13ELNS0_17block_load_methodE3ELS4_3ELS4_3ELNS0_20block_scan_algorithmE0ELj4294967295EEENS1_25partition_config_selectorILNS1_17partition_subalgoE4EjNS0_10empty_typeEbEEZZNS1_14partition_implILS8_4ELb0ES6_15HIP_vector_typeIjLj2EENS0_17counting_iteratorIjlEEPS9_SG_NS0_5tupleIJPjSI_NS0_16reverse_iteratorISI_EEEEENSH_IJSG_SG_SG_EEES9_SI_JZNS1_25segmented_radix_sort_implINS0_14default_configELb1EPKsPsPKlPlN2at6native12_GLOBAL__N_18offset_tEEE10hipError_tPvRmT1_PNSt15iterator_traitsIS12_E10value_typeET2_T3_PNS13_IS18_E10value_typeET4_jRbjT5_S1E_jjP12ihipStream_tbEUljE_ZNSN_ISO_Lb1ESQ_SR_ST_SU_SY_EESZ_S10_S11_S12_S16_S17_S18_S1B_S1C_jS1D_jS1E_S1E_jjS1G_bEUljE0_EEESZ_S10_S11_S18_S1C_S1E_T6_T7_T9_mT8_S1G_bDpT10_ENKUlT_T0_E_clISt17integral_constantIbLb0EES1U_EEDaS1P_S1Q_EUlS1P_E_NS1_11comp_targetILNS1_3genE2ELNS1_11target_archE906ELNS1_3gpuE6ELNS1_3repE0EEENS1_30default_config_static_selectorELNS0_4arch9wavefront6targetE0EEEvS12_.numbered_sgpr, 0
	.set _ZN7rocprim17ROCPRIM_400000_NS6detail17trampoline_kernelINS0_13select_configILj256ELj13ELNS0_17block_load_methodE3ELS4_3ELS4_3ELNS0_20block_scan_algorithmE0ELj4294967295EEENS1_25partition_config_selectorILNS1_17partition_subalgoE4EjNS0_10empty_typeEbEEZZNS1_14partition_implILS8_4ELb0ES6_15HIP_vector_typeIjLj2EENS0_17counting_iteratorIjlEEPS9_SG_NS0_5tupleIJPjSI_NS0_16reverse_iteratorISI_EEEEENSH_IJSG_SG_SG_EEES9_SI_JZNS1_25segmented_radix_sort_implINS0_14default_configELb1EPKsPsPKlPlN2at6native12_GLOBAL__N_18offset_tEEE10hipError_tPvRmT1_PNSt15iterator_traitsIS12_E10value_typeET2_T3_PNS13_IS18_E10value_typeET4_jRbjT5_S1E_jjP12ihipStream_tbEUljE_ZNSN_ISO_Lb1ESQ_SR_ST_SU_SY_EESZ_S10_S11_S12_S16_S17_S18_S1B_S1C_jS1D_jS1E_S1E_jjS1G_bEUljE0_EEESZ_S10_S11_S18_S1C_S1E_T6_T7_T9_mT8_S1G_bDpT10_ENKUlT_T0_E_clISt17integral_constantIbLb0EES1U_EEDaS1P_S1Q_EUlS1P_E_NS1_11comp_targetILNS1_3genE2ELNS1_11target_archE906ELNS1_3gpuE6ELNS1_3repE0EEENS1_30default_config_static_selectorELNS0_4arch9wavefront6targetE0EEEvS12_.num_named_barrier, 0
	.set _ZN7rocprim17ROCPRIM_400000_NS6detail17trampoline_kernelINS0_13select_configILj256ELj13ELNS0_17block_load_methodE3ELS4_3ELS4_3ELNS0_20block_scan_algorithmE0ELj4294967295EEENS1_25partition_config_selectorILNS1_17partition_subalgoE4EjNS0_10empty_typeEbEEZZNS1_14partition_implILS8_4ELb0ES6_15HIP_vector_typeIjLj2EENS0_17counting_iteratorIjlEEPS9_SG_NS0_5tupleIJPjSI_NS0_16reverse_iteratorISI_EEEEENSH_IJSG_SG_SG_EEES9_SI_JZNS1_25segmented_radix_sort_implINS0_14default_configELb1EPKsPsPKlPlN2at6native12_GLOBAL__N_18offset_tEEE10hipError_tPvRmT1_PNSt15iterator_traitsIS12_E10value_typeET2_T3_PNS13_IS18_E10value_typeET4_jRbjT5_S1E_jjP12ihipStream_tbEUljE_ZNSN_ISO_Lb1ESQ_SR_ST_SU_SY_EESZ_S10_S11_S12_S16_S17_S18_S1B_S1C_jS1D_jS1E_S1E_jjS1G_bEUljE0_EEESZ_S10_S11_S18_S1C_S1E_T6_T7_T9_mT8_S1G_bDpT10_ENKUlT_T0_E_clISt17integral_constantIbLb0EES1U_EEDaS1P_S1Q_EUlS1P_E_NS1_11comp_targetILNS1_3genE2ELNS1_11target_archE906ELNS1_3gpuE6ELNS1_3repE0EEENS1_30default_config_static_selectorELNS0_4arch9wavefront6targetE0EEEvS12_.private_seg_size, 0
	.set _ZN7rocprim17ROCPRIM_400000_NS6detail17trampoline_kernelINS0_13select_configILj256ELj13ELNS0_17block_load_methodE3ELS4_3ELS4_3ELNS0_20block_scan_algorithmE0ELj4294967295EEENS1_25partition_config_selectorILNS1_17partition_subalgoE4EjNS0_10empty_typeEbEEZZNS1_14partition_implILS8_4ELb0ES6_15HIP_vector_typeIjLj2EENS0_17counting_iteratorIjlEEPS9_SG_NS0_5tupleIJPjSI_NS0_16reverse_iteratorISI_EEEEENSH_IJSG_SG_SG_EEES9_SI_JZNS1_25segmented_radix_sort_implINS0_14default_configELb1EPKsPsPKlPlN2at6native12_GLOBAL__N_18offset_tEEE10hipError_tPvRmT1_PNSt15iterator_traitsIS12_E10value_typeET2_T3_PNS13_IS18_E10value_typeET4_jRbjT5_S1E_jjP12ihipStream_tbEUljE_ZNSN_ISO_Lb1ESQ_SR_ST_SU_SY_EESZ_S10_S11_S12_S16_S17_S18_S1B_S1C_jS1D_jS1E_S1E_jjS1G_bEUljE0_EEESZ_S10_S11_S18_S1C_S1E_T6_T7_T9_mT8_S1G_bDpT10_ENKUlT_T0_E_clISt17integral_constantIbLb0EES1U_EEDaS1P_S1Q_EUlS1P_E_NS1_11comp_targetILNS1_3genE2ELNS1_11target_archE906ELNS1_3gpuE6ELNS1_3repE0EEENS1_30default_config_static_selectorELNS0_4arch9wavefront6targetE0EEEvS12_.uses_vcc, 0
	.set _ZN7rocprim17ROCPRIM_400000_NS6detail17trampoline_kernelINS0_13select_configILj256ELj13ELNS0_17block_load_methodE3ELS4_3ELS4_3ELNS0_20block_scan_algorithmE0ELj4294967295EEENS1_25partition_config_selectorILNS1_17partition_subalgoE4EjNS0_10empty_typeEbEEZZNS1_14partition_implILS8_4ELb0ES6_15HIP_vector_typeIjLj2EENS0_17counting_iteratorIjlEEPS9_SG_NS0_5tupleIJPjSI_NS0_16reverse_iteratorISI_EEEEENSH_IJSG_SG_SG_EEES9_SI_JZNS1_25segmented_radix_sort_implINS0_14default_configELb1EPKsPsPKlPlN2at6native12_GLOBAL__N_18offset_tEEE10hipError_tPvRmT1_PNSt15iterator_traitsIS12_E10value_typeET2_T3_PNS13_IS18_E10value_typeET4_jRbjT5_S1E_jjP12ihipStream_tbEUljE_ZNSN_ISO_Lb1ESQ_SR_ST_SU_SY_EESZ_S10_S11_S12_S16_S17_S18_S1B_S1C_jS1D_jS1E_S1E_jjS1G_bEUljE0_EEESZ_S10_S11_S18_S1C_S1E_T6_T7_T9_mT8_S1G_bDpT10_ENKUlT_T0_E_clISt17integral_constantIbLb0EES1U_EEDaS1P_S1Q_EUlS1P_E_NS1_11comp_targetILNS1_3genE2ELNS1_11target_archE906ELNS1_3gpuE6ELNS1_3repE0EEENS1_30default_config_static_selectorELNS0_4arch9wavefront6targetE0EEEvS12_.uses_flat_scratch, 0
	.set _ZN7rocprim17ROCPRIM_400000_NS6detail17trampoline_kernelINS0_13select_configILj256ELj13ELNS0_17block_load_methodE3ELS4_3ELS4_3ELNS0_20block_scan_algorithmE0ELj4294967295EEENS1_25partition_config_selectorILNS1_17partition_subalgoE4EjNS0_10empty_typeEbEEZZNS1_14partition_implILS8_4ELb0ES6_15HIP_vector_typeIjLj2EENS0_17counting_iteratorIjlEEPS9_SG_NS0_5tupleIJPjSI_NS0_16reverse_iteratorISI_EEEEENSH_IJSG_SG_SG_EEES9_SI_JZNS1_25segmented_radix_sort_implINS0_14default_configELb1EPKsPsPKlPlN2at6native12_GLOBAL__N_18offset_tEEE10hipError_tPvRmT1_PNSt15iterator_traitsIS12_E10value_typeET2_T3_PNS13_IS18_E10value_typeET4_jRbjT5_S1E_jjP12ihipStream_tbEUljE_ZNSN_ISO_Lb1ESQ_SR_ST_SU_SY_EESZ_S10_S11_S12_S16_S17_S18_S1B_S1C_jS1D_jS1E_S1E_jjS1G_bEUljE0_EEESZ_S10_S11_S18_S1C_S1E_T6_T7_T9_mT8_S1G_bDpT10_ENKUlT_T0_E_clISt17integral_constantIbLb0EES1U_EEDaS1P_S1Q_EUlS1P_E_NS1_11comp_targetILNS1_3genE2ELNS1_11target_archE906ELNS1_3gpuE6ELNS1_3repE0EEENS1_30default_config_static_selectorELNS0_4arch9wavefront6targetE0EEEvS12_.has_dyn_sized_stack, 0
	.set _ZN7rocprim17ROCPRIM_400000_NS6detail17trampoline_kernelINS0_13select_configILj256ELj13ELNS0_17block_load_methodE3ELS4_3ELS4_3ELNS0_20block_scan_algorithmE0ELj4294967295EEENS1_25partition_config_selectorILNS1_17partition_subalgoE4EjNS0_10empty_typeEbEEZZNS1_14partition_implILS8_4ELb0ES6_15HIP_vector_typeIjLj2EENS0_17counting_iteratorIjlEEPS9_SG_NS0_5tupleIJPjSI_NS0_16reverse_iteratorISI_EEEEENSH_IJSG_SG_SG_EEES9_SI_JZNS1_25segmented_radix_sort_implINS0_14default_configELb1EPKsPsPKlPlN2at6native12_GLOBAL__N_18offset_tEEE10hipError_tPvRmT1_PNSt15iterator_traitsIS12_E10value_typeET2_T3_PNS13_IS18_E10value_typeET4_jRbjT5_S1E_jjP12ihipStream_tbEUljE_ZNSN_ISO_Lb1ESQ_SR_ST_SU_SY_EESZ_S10_S11_S12_S16_S17_S18_S1B_S1C_jS1D_jS1E_S1E_jjS1G_bEUljE0_EEESZ_S10_S11_S18_S1C_S1E_T6_T7_T9_mT8_S1G_bDpT10_ENKUlT_T0_E_clISt17integral_constantIbLb0EES1U_EEDaS1P_S1Q_EUlS1P_E_NS1_11comp_targetILNS1_3genE2ELNS1_11target_archE906ELNS1_3gpuE6ELNS1_3repE0EEENS1_30default_config_static_selectorELNS0_4arch9wavefront6targetE0EEEvS12_.has_recursion, 0
	.set _ZN7rocprim17ROCPRIM_400000_NS6detail17trampoline_kernelINS0_13select_configILj256ELj13ELNS0_17block_load_methodE3ELS4_3ELS4_3ELNS0_20block_scan_algorithmE0ELj4294967295EEENS1_25partition_config_selectorILNS1_17partition_subalgoE4EjNS0_10empty_typeEbEEZZNS1_14partition_implILS8_4ELb0ES6_15HIP_vector_typeIjLj2EENS0_17counting_iteratorIjlEEPS9_SG_NS0_5tupleIJPjSI_NS0_16reverse_iteratorISI_EEEEENSH_IJSG_SG_SG_EEES9_SI_JZNS1_25segmented_radix_sort_implINS0_14default_configELb1EPKsPsPKlPlN2at6native12_GLOBAL__N_18offset_tEEE10hipError_tPvRmT1_PNSt15iterator_traitsIS12_E10value_typeET2_T3_PNS13_IS18_E10value_typeET4_jRbjT5_S1E_jjP12ihipStream_tbEUljE_ZNSN_ISO_Lb1ESQ_SR_ST_SU_SY_EESZ_S10_S11_S12_S16_S17_S18_S1B_S1C_jS1D_jS1E_S1E_jjS1G_bEUljE0_EEESZ_S10_S11_S18_S1C_S1E_T6_T7_T9_mT8_S1G_bDpT10_ENKUlT_T0_E_clISt17integral_constantIbLb0EES1U_EEDaS1P_S1Q_EUlS1P_E_NS1_11comp_targetILNS1_3genE2ELNS1_11target_archE906ELNS1_3gpuE6ELNS1_3repE0EEENS1_30default_config_static_selectorELNS0_4arch9wavefront6targetE0EEEvS12_.has_indirect_call, 0
	.section	.AMDGPU.csdata,"",@progbits
; Kernel info:
; codeLenInByte = 0
; TotalNumSgprs: 0
; NumVgprs: 0
; ScratchSize: 0
; MemoryBound: 0
; FloatMode: 240
; IeeeMode: 1
; LDSByteSize: 0 bytes/workgroup (compile time only)
; SGPRBlocks: 0
; VGPRBlocks: 0
; NumSGPRsForWavesPerEU: 1
; NumVGPRsForWavesPerEU: 1
; Occupancy: 16
; WaveLimiterHint : 0
; COMPUTE_PGM_RSRC2:SCRATCH_EN: 0
; COMPUTE_PGM_RSRC2:USER_SGPR: 6
; COMPUTE_PGM_RSRC2:TRAP_HANDLER: 0
; COMPUTE_PGM_RSRC2:TGID_X_EN: 1
; COMPUTE_PGM_RSRC2:TGID_Y_EN: 0
; COMPUTE_PGM_RSRC2:TGID_Z_EN: 0
; COMPUTE_PGM_RSRC2:TIDIG_COMP_CNT: 0
	.section	.text._ZN7rocprim17ROCPRIM_400000_NS6detail17trampoline_kernelINS0_13select_configILj256ELj13ELNS0_17block_load_methodE3ELS4_3ELS4_3ELNS0_20block_scan_algorithmE0ELj4294967295EEENS1_25partition_config_selectorILNS1_17partition_subalgoE4EjNS0_10empty_typeEbEEZZNS1_14partition_implILS8_4ELb0ES6_15HIP_vector_typeIjLj2EENS0_17counting_iteratorIjlEEPS9_SG_NS0_5tupleIJPjSI_NS0_16reverse_iteratorISI_EEEEENSH_IJSG_SG_SG_EEES9_SI_JZNS1_25segmented_radix_sort_implINS0_14default_configELb1EPKsPsPKlPlN2at6native12_GLOBAL__N_18offset_tEEE10hipError_tPvRmT1_PNSt15iterator_traitsIS12_E10value_typeET2_T3_PNS13_IS18_E10value_typeET4_jRbjT5_S1E_jjP12ihipStream_tbEUljE_ZNSN_ISO_Lb1ESQ_SR_ST_SU_SY_EESZ_S10_S11_S12_S16_S17_S18_S1B_S1C_jS1D_jS1E_S1E_jjS1G_bEUljE0_EEESZ_S10_S11_S18_S1C_S1E_T6_T7_T9_mT8_S1G_bDpT10_ENKUlT_T0_E_clISt17integral_constantIbLb0EES1U_EEDaS1P_S1Q_EUlS1P_E_NS1_11comp_targetILNS1_3genE10ELNS1_11target_archE1200ELNS1_3gpuE4ELNS1_3repE0EEENS1_30default_config_static_selectorELNS0_4arch9wavefront6targetE0EEEvS12_,"axG",@progbits,_ZN7rocprim17ROCPRIM_400000_NS6detail17trampoline_kernelINS0_13select_configILj256ELj13ELNS0_17block_load_methodE3ELS4_3ELS4_3ELNS0_20block_scan_algorithmE0ELj4294967295EEENS1_25partition_config_selectorILNS1_17partition_subalgoE4EjNS0_10empty_typeEbEEZZNS1_14partition_implILS8_4ELb0ES6_15HIP_vector_typeIjLj2EENS0_17counting_iteratorIjlEEPS9_SG_NS0_5tupleIJPjSI_NS0_16reverse_iteratorISI_EEEEENSH_IJSG_SG_SG_EEES9_SI_JZNS1_25segmented_radix_sort_implINS0_14default_configELb1EPKsPsPKlPlN2at6native12_GLOBAL__N_18offset_tEEE10hipError_tPvRmT1_PNSt15iterator_traitsIS12_E10value_typeET2_T3_PNS13_IS18_E10value_typeET4_jRbjT5_S1E_jjP12ihipStream_tbEUljE_ZNSN_ISO_Lb1ESQ_SR_ST_SU_SY_EESZ_S10_S11_S12_S16_S17_S18_S1B_S1C_jS1D_jS1E_S1E_jjS1G_bEUljE0_EEESZ_S10_S11_S18_S1C_S1E_T6_T7_T9_mT8_S1G_bDpT10_ENKUlT_T0_E_clISt17integral_constantIbLb0EES1U_EEDaS1P_S1Q_EUlS1P_E_NS1_11comp_targetILNS1_3genE10ELNS1_11target_archE1200ELNS1_3gpuE4ELNS1_3repE0EEENS1_30default_config_static_selectorELNS0_4arch9wavefront6targetE0EEEvS12_,comdat
	.globl	_ZN7rocprim17ROCPRIM_400000_NS6detail17trampoline_kernelINS0_13select_configILj256ELj13ELNS0_17block_load_methodE3ELS4_3ELS4_3ELNS0_20block_scan_algorithmE0ELj4294967295EEENS1_25partition_config_selectorILNS1_17partition_subalgoE4EjNS0_10empty_typeEbEEZZNS1_14partition_implILS8_4ELb0ES6_15HIP_vector_typeIjLj2EENS0_17counting_iteratorIjlEEPS9_SG_NS0_5tupleIJPjSI_NS0_16reverse_iteratorISI_EEEEENSH_IJSG_SG_SG_EEES9_SI_JZNS1_25segmented_radix_sort_implINS0_14default_configELb1EPKsPsPKlPlN2at6native12_GLOBAL__N_18offset_tEEE10hipError_tPvRmT1_PNSt15iterator_traitsIS12_E10value_typeET2_T3_PNS13_IS18_E10value_typeET4_jRbjT5_S1E_jjP12ihipStream_tbEUljE_ZNSN_ISO_Lb1ESQ_SR_ST_SU_SY_EESZ_S10_S11_S12_S16_S17_S18_S1B_S1C_jS1D_jS1E_S1E_jjS1G_bEUljE0_EEESZ_S10_S11_S18_S1C_S1E_T6_T7_T9_mT8_S1G_bDpT10_ENKUlT_T0_E_clISt17integral_constantIbLb0EES1U_EEDaS1P_S1Q_EUlS1P_E_NS1_11comp_targetILNS1_3genE10ELNS1_11target_archE1200ELNS1_3gpuE4ELNS1_3repE0EEENS1_30default_config_static_selectorELNS0_4arch9wavefront6targetE0EEEvS12_ ; -- Begin function _ZN7rocprim17ROCPRIM_400000_NS6detail17trampoline_kernelINS0_13select_configILj256ELj13ELNS0_17block_load_methodE3ELS4_3ELS4_3ELNS0_20block_scan_algorithmE0ELj4294967295EEENS1_25partition_config_selectorILNS1_17partition_subalgoE4EjNS0_10empty_typeEbEEZZNS1_14partition_implILS8_4ELb0ES6_15HIP_vector_typeIjLj2EENS0_17counting_iteratorIjlEEPS9_SG_NS0_5tupleIJPjSI_NS0_16reverse_iteratorISI_EEEEENSH_IJSG_SG_SG_EEES9_SI_JZNS1_25segmented_radix_sort_implINS0_14default_configELb1EPKsPsPKlPlN2at6native12_GLOBAL__N_18offset_tEEE10hipError_tPvRmT1_PNSt15iterator_traitsIS12_E10value_typeET2_T3_PNS13_IS18_E10value_typeET4_jRbjT5_S1E_jjP12ihipStream_tbEUljE_ZNSN_ISO_Lb1ESQ_SR_ST_SU_SY_EESZ_S10_S11_S12_S16_S17_S18_S1B_S1C_jS1D_jS1E_S1E_jjS1G_bEUljE0_EEESZ_S10_S11_S18_S1C_S1E_T6_T7_T9_mT8_S1G_bDpT10_ENKUlT_T0_E_clISt17integral_constantIbLb0EES1U_EEDaS1P_S1Q_EUlS1P_E_NS1_11comp_targetILNS1_3genE10ELNS1_11target_archE1200ELNS1_3gpuE4ELNS1_3repE0EEENS1_30default_config_static_selectorELNS0_4arch9wavefront6targetE0EEEvS12_
	.p2align	8
	.type	_ZN7rocprim17ROCPRIM_400000_NS6detail17trampoline_kernelINS0_13select_configILj256ELj13ELNS0_17block_load_methodE3ELS4_3ELS4_3ELNS0_20block_scan_algorithmE0ELj4294967295EEENS1_25partition_config_selectorILNS1_17partition_subalgoE4EjNS0_10empty_typeEbEEZZNS1_14partition_implILS8_4ELb0ES6_15HIP_vector_typeIjLj2EENS0_17counting_iteratorIjlEEPS9_SG_NS0_5tupleIJPjSI_NS0_16reverse_iteratorISI_EEEEENSH_IJSG_SG_SG_EEES9_SI_JZNS1_25segmented_radix_sort_implINS0_14default_configELb1EPKsPsPKlPlN2at6native12_GLOBAL__N_18offset_tEEE10hipError_tPvRmT1_PNSt15iterator_traitsIS12_E10value_typeET2_T3_PNS13_IS18_E10value_typeET4_jRbjT5_S1E_jjP12ihipStream_tbEUljE_ZNSN_ISO_Lb1ESQ_SR_ST_SU_SY_EESZ_S10_S11_S12_S16_S17_S18_S1B_S1C_jS1D_jS1E_S1E_jjS1G_bEUljE0_EEESZ_S10_S11_S18_S1C_S1E_T6_T7_T9_mT8_S1G_bDpT10_ENKUlT_T0_E_clISt17integral_constantIbLb0EES1U_EEDaS1P_S1Q_EUlS1P_E_NS1_11comp_targetILNS1_3genE10ELNS1_11target_archE1200ELNS1_3gpuE4ELNS1_3repE0EEENS1_30default_config_static_selectorELNS0_4arch9wavefront6targetE0EEEvS12_,@function
_ZN7rocprim17ROCPRIM_400000_NS6detail17trampoline_kernelINS0_13select_configILj256ELj13ELNS0_17block_load_methodE3ELS4_3ELS4_3ELNS0_20block_scan_algorithmE0ELj4294967295EEENS1_25partition_config_selectorILNS1_17partition_subalgoE4EjNS0_10empty_typeEbEEZZNS1_14partition_implILS8_4ELb0ES6_15HIP_vector_typeIjLj2EENS0_17counting_iteratorIjlEEPS9_SG_NS0_5tupleIJPjSI_NS0_16reverse_iteratorISI_EEEEENSH_IJSG_SG_SG_EEES9_SI_JZNS1_25segmented_radix_sort_implINS0_14default_configELb1EPKsPsPKlPlN2at6native12_GLOBAL__N_18offset_tEEE10hipError_tPvRmT1_PNSt15iterator_traitsIS12_E10value_typeET2_T3_PNS13_IS18_E10value_typeET4_jRbjT5_S1E_jjP12ihipStream_tbEUljE_ZNSN_ISO_Lb1ESQ_SR_ST_SU_SY_EESZ_S10_S11_S12_S16_S17_S18_S1B_S1C_jS1D_jS1E_S1E_jjS1G_bEUljE0_EEESZ_S10_S11_S18_S1C_S1E_T6_T7_T9_mT8_S1G_bDpT10_ENKUlT_T0_E_clISt17integral_constantIbLb0EES1U_EEDaS1P_S1Q_EUlS1P_E_NS1_11comp_targetILNS1_3genE10ELNS1_11target_archE1200ELNS1_3gpuE4ELNS1_3repE0EEENS1_30default_config_static_selectorELNS0_4arch9wavefront6targetE0EEEvS12_: ; @_ZN7rocprim17ROCPRIM_400000_NS6detail17trampoline_kernelINS0_13select_configILj256ELj13ELNS0_17block_load_methodE3ELS4_3ELS4_3ELNS0_20block_scan_algorithmE0ELj4294967295EEENS1_25partition_config_selectorILNS1_17partition_subalgoE4EjNS0_10empty_typeEbEEZZNS1_14partition_implILS8_4ELb0ES6_15HIP_vector_typeIjLj2EENS0_17counting_iteratorIjlEEPS9_SG_NS0_5tupleIJPjSI_NS0_16reverse_iteratorISI_EEEEENSH_IJSG_SG_SG_EEES9_SI_JZNS1_25segmented_radix_sort_implINS0_14default_configELb1EPKsPsPKlPlN2at6native12_GLOBAL__N_18offset_tEEE10hipError_tPvRmT1_PNSt15iterator_traitsIS12_E10value_typeET2_T3_PNS13_IS18_E10value_typeET4_jRbjT5_S1E_jjP12ihipStream_tbEUljE_ZNSN_ISO_Lb1ESQ_SR_ST_SU_SY_EESZ_S10_S11_S12_S16_S17_S18_S1B_S1C_jS1D_jS1E_S1E_jjS1G_bEUljE0_EEESZ_S10_S11_S18_S1C_S1E_T6_T7_T9_mT8_S1G_bDpT10_ENKUlT_T0_E_clISt17integral_constantIbLb0EES1U_EEDaS1P_S1Q_EUlS1P_E_NS1_11comp_targetILNS1_3genE10ELNS1_11target_archE1200ELNS1_3gpuE4ELNS1_3repE0EEENS1_30default_config_static_selectorELNS0_4arch9wavefront6targetE0EEEvS12_
; %bb.0:
	.section	.rodata,"a",@progbits
	.p2align	6, 0x0
	.amdhsa_kernel _ZN7rocprim17ROCPRIM_400000_NS6detail17trampoline_kernelINS0_13select_configILj256ELj13ELNS0_17block_load_methodE3ELS4_3ELS4_3ELNS0_20block_scan_algorithmE0ELj4294967295EEENS1_25partition_config_selectorILNS1_17partition_subalgoE4EjNS0_10empty_typeEbEEZZNS1_14partition_implILS8_4ELb0ES6_15HIP_vector_typeIjLj2EENS0_17counting_iteratorIjlEEPS9_SG_NS0_5tupleIJPjSI_NS0_16reverse_iteratorISI_EEEEENSH_IJSG_SG_SG_EEES9_SI_JZNS1_25segmented_radix_sort_implINS0_14default_configELb1EPKsPsPKlPlN2at6native12_GLOBAL__N_18offset_tEEE10hipError_tPvRmT1_PNSt15iterator_traitsIS12_E10value_typeET2_T3_PNS13_IS18_E10value_typeET4_jRbjT5_S1E_jjP12ihipStream_tbEUljE_ZNSN_ISO_Lb1ESQ_SR_ST_SU_SY_EESZ_S10_S11_S12_S16_S17_S18_S1B_S1C_jS1D_jS1E_S1E_jjS1G_bEUljE0_EEESZ_S10_S11_S18_S1C_S1E_T6_T7_T9_mT8_S1G_bDpT10_ENKUlT_T0_E_clISt17integral_constantIbLb0EES1U_EEDaS1P_S1Q_EUlS1P_E_NS1_11comp_targetILNS1_3genE10ELNS1_11target_archE1200ELNS1_3gpuE4ELNS1_3repE0EEENS1_30default_config_static_selectorELNS0_4arch9wavefront6targetE0EEEvS12_
		.amdhsa_group_segment_fixed_size 0
		.amdhsa_private_segment_fixed_size 0
		.amdhsa_kernarg_size 176
		.amdhsa_user_sgpr_count 6
		.amdhsa_user_sgpr_private_segment_buffer 1
		.amdhsa_user_sgpr_dispatch_ptr 0
		.amdhsa_user_sgpr_queue_ptr 0
		.amdhsa_user_sgpr_kernarg_segment_ptr 1
		.amdhsa_user_sgpr_dispatch_id 0
		.amdhsa_user_sgpr_flat_scratch_init 0
		.amdhsa_user_sgpr_private_segment_size 0
		.amdhsa_wavefront_size32 1
		.amdhsa_uses_dynamic_stack 0
		.amdhsa_system_sgpr_private_segment_wavefront_offset 0
		.amdhsa_system_sgpr_workgroup_id_x 1
		.amdhsa_system_sgpr_workgroup_id_y 0
		.amdhsa_system_sgpr_workgroup_id_z 0
		.amdhsa_system_sgpr_workgroup_info 0
		.amdhsa_system_vgpr_workitem_id 0
		.amdhsa_next_free_vgpr 1
		.amdhsa_next_free_sgpr 1
		.amdhsa_reserve_vcc 0
		.amdhsa_reserve_flat_scratch 0
		.amdhsa_float_round_mode_32 0
		.amdhsa_float_round_mode_16_64 0
		.amdhsa_float_denorm_mode_32 3
		.amdhsa_float_denorm_mode_16_64 3
		.amdhsa_dx10_clamp 1
		.amdhsa_ieee_mode 1
		.amdhsa_fp16_overflow 0
		.amdhsa_workgroup_processor_mode 1
		.amdhsa_memory_ordered 1
		.amdhsa_forward_progress 1
		.amdhsa_shared_vgpr_count 0
		.amdhsa_exception_fp_ieee_invalid_op 0
		.amdhsa_exception_fp_denorm_src 0
		.amdhsa_exception_fp_ieee_div_zero 0
		.amdhsa_exception_fp_ieee_overflow 0
		.amdhsa_exception_fp_ieee_underflow 0
		.amdhsa_exception_fp_ieee_inexact 0
		.amdhsa_exception_int_div_zero 0
	.end_amdhsa_kernel
	.section	.text._ZN7rocprim17ROCPRIM_400000_NS6detail17trampoline_kernelINS0_13select_configILj256ELj13ELNS0_17block_load_methodE3ELS4_3ELS4_3ELNS0_20block_scan_algorithmE0ELj4294967295EEENS1_25partition_config_selectorILNS1_17partition_subalgoE4EjNS0_10empty_typeEbEEZZNS1_14partition_implILS8_4ELb0ES6_15HIP_vector_typeIjLj2EENS0_17counting_iteratorIjlEEPS9_SG_NS0_5tupleIJPjSI_NS0_16reverse_iteratorISI_EEEEENSH_IJSG_SG_SG_EEES9_SI_JZNS1_25segmented_radix_sort_implINS0_14default_configELb1EPKsPsPKlPlN2at6native12_GLOBAL__N_18offset_tEEE10hipError_tPvRmT1_PNSt15iterator_traitsIS12_E10value_typeET2_T3_PNS13_IS18_E10value_typeET4_jRbjT5_S1E_jjP12ihipStream_tbEUljE_ZNSN_ISO_Lb1ESQ_SR_ST_SU_SY_EESZ_S10_S11_S12_S16_S17_S18_S1B_S1C_jS1D_jS1E_S1E_jjS1G_bEUljE0_EEESZ_S10_S11_S18_S1C_S1E_T6_T7_T9_mT8_S1G_bDpT10_ENKUlT_T0_E_clISt17integral_constantIbLb0EES1U_EEDaS1P_S1Q_EUlS1P_E_NS1_11comp_targetILNS1_3genE10ELNS1_11target_archE1200ELNS1_3gpuE4ELNS1_3repE0EEENS1_30default_config_static_selectorELNS0_4arch9wavefront6targetE0EEEvS12_,"axG",@progbits,_ZN7rocprim17ROCPRIM_400000_NS6detail17trampoline_kernelINS0_13select_configILj256ELj13ELNS0_17block_load_methodE3ELS4_3ELS4_3ELNS0_20block_scan_algorithmE0ELj4294967295EEENS1_25partition_config_selectorILNS1_17partition_subalgoE4EjNS0_10empty_typeEbEEZZNS1_14partition_implILS8_4ELb0ES6_15HIP_vector_typeIjLj2EENS0_17counting_iteratorIjlEEPS9_SG_NS0_5tupleIJPjSI_NS0_16reverse_iteratorISI_EEEEENSH_IJSG_SG_SG_EEES9_SI_JZNS1_25segmented_radix_sort_implINS0_14default_configELb1EPKsPsPKlPlN2at6native12_GLOBAL__N_18offset_tEEE10hipError_tPvRmT1_PNSt15iterator_traitsIS12_E10value_typeET2_T3_PNS13_IS18_E10value_typeET4_jRbjT5_S1E_jjP12ihipStream_tbEUljE_ZNSN_ISO_Lb1ESQ_SR_ST_SU_SY_EESZ_S10_S11_S12_S16_S17_S18_S1B_S1C_jS1D_jS1E_S1E_jjS1G_bEUljE0_EEESZ_S10_S11_S18_S1C_S1E_T6_T7_T9_mT8_S1G_bDpT10_ENKUlT_T0_E_clISt17integral_constantIbLb0EES1U_EEDaS1P_S1Q_EUlS1P_E_NS1_11comp_targetILNS1_3genE10ELNS1_11target_archE1200ELNS1_3gpuE4ELNS1_3repE0EEENS1_30default_config_static_selectorELNS0_4arch9wavefront6targetE0EEEvS12_,comdat
.Lfunc_end846:
	.size	_ZN7rocprim17ROCPRIM_400000_NS6detail17trampoline_kernelINS0_13select_configILj256ELj13ELNS0_17block_load_methodE3ELS4_3ELS4_3ELNS0_20block_scan_algorithmE0ELj4294967295EEENS1_25partition_config_selectorILNS1_17partition_subalgoE4EjNS0_10empty_typeEbEEZZNS1_14partition_implILS8_4ELb0ES6_15HIP_vector_typeIjLj2EENS0_17counting_iteratorIjlEEPS9_SG_NS0_5tupleIJPjSI_NS0_16reverse_iteratorISI_EEEEENSH_IJSG_SG_SG_EEES9_SI_JZNS1_25segmented_radix_sort_implINS0_14default_configELb1EPKsPsPKlPlN2at6native12_GLOBAL__N_18offset_tEEE10hipError_tPvRmT1_PNSt15iterator_traitsIS12_E10value_typeET2_T3_PNS13_IS18_E10value_typeET4_jRbjT5_S1E_jjP12ihipStream_tbEUljE_ZNSN_ISO_Lb1ESQ_SR_ST_SU_SY_EESZ_S10_S11_S12_S16_S17_S18_S1B_S1C_jS1D_jS1E_S1E_jjS1G_bEUljE0_EEESZ_S10_S11_S18_S1C_S1E_T6_T7_T9_mT8_S1G_bDpT10_ENKUlT_T0_E_clISt17integral_constantIbLb0EES1U_EEDaS1P_S1Q_EUlS1P_E_NS1_11comp_targetILNS1_3genE10ELNS1_11target_archE1200ELNS1_3gpuE4ELNS1_3repE0EEENS1_30default_config_static_selectorELNS0_4arch9wavefront6targetE0EEEvS12_, .Lfunc_end846-_ZN7rocprim17ROCPRIM_400000_NS6detail17trampoline_kernelINS0_13select_configILj256ELj13ELNS0_17block_load_methodE3ELS4_3ELS4_3ELNS0_20block_scan_algorithmE0ELj4294967295EEENS1_25partition_config_selectorILNS1_17partition_subalgoE4EjNS0_10empty_typeEbEEZZNS1_14partition_implILS8_4ELb0ES6_15HIP_vector_typeIjLj2EENS0_17counting_iteratorIjlEEPS9_SG_NS0_5tupleIJPjSI_NS0_16reverse_iteratorISI_EEEEENSH_IJSG_SG_SG_EEES9_SI_JZNS1_25segmented_radix_sort_implINS0_14default_configELb1EPKsPsPKlPlN2at6native12_GLOBAL__N_18offset_tEEE10hipError_tPvRmT1_PNSt15iterator_traitsIS12_E10value_typeET2_T3_PNS13_IS18_E10value_typeET4_jRbjT5_S1E_jjP12ihipStream_tbEUljE_ZNSN_ISO_Lb1ESQ_SR_ST_SU_SY_EESZ_S10_S11_S12_S16_S17_S18_S1B_S1C_jS1D_jS1E_S1E_jjS1G_bEUljE0_EEESZ_S10_S11_S18_S1C_S1E_T6_T7_T9_mT8_S1G_bDpT10_ENKUlT_T0_E_clISt17integral_constantIbLb0EES1U_EEDaS1P_S1Q_EUlS1P_E_NS1_11comp_targetILNS1_3genE10ELNS1_11target_archE1200ELNS1_3gpuE4ELNS1_3repE0EEENS1_30default_config_static_selectorELNS0_4arch9wavefront6targetE0EEEvS12_
                                        ; -- End function
	.set _ZN7rocprim17ROCPRIM_400000_NS6detail17trampoline_kernelINS0_13select_configILj256ELj13ELNS0_17block_load_methodE3ELS4_3ELS4_3ELNS0_20block_scan_algorithmE0ELj4294967295EEENS1_25partition_config_selectorILNS1_17partition_subalgoE4EjNS0_10empty_typeEbEEZZNS1_14partition_implILS8_4ELb0ES6_15HIP_vector_typeIjLj2EENS0_17counting_iteratorIjlEEPS9_SG_NS0_5tupleIJPjSI_NS0_16reverse_iteratorISI_EEEEENSH_IJSG_SG_SG_EEES9_SI_JZNS1_25segmented_radix_sort_implINS0_14default_configELb1EPKsPsPKlPlN2at6native12_GLOBAL__N_18offset_tEEE10hipError_tPvRmT1_PNSt15iterator_traitsIS12_E10value_typeET2_T3_PNS13_IS18_E10value_typeET4_jRbjT5_S1E_jjP12ihipStream_tbEUljE_ZNSN_ISO_Lb1ESQ_SR_ST_SU_SY_EESZ_S10_S11_S12_S16_S17_S18_S1B_S1C_jS1D_jS1E_S1E_jjS1G_bEUljE0_EEESZ_S10_S11_S18_S1C_S1E_T6_T7_T9_mT8_S1G_bDpT10_ENKUlT_T0_E_clISt17integral_constantIbLb0EES1U_EEDaS1P_S1Q_EUlS1P_E_NS1_11comp_targetILNS1_3genE10ELNS1_11target_archE1200ELNS1_3gpuE4ELNS1_3repE0EEENS1_30default_config_static_selectorELNS0_4arch9wavefront6targetE0EEEvS12_.num_vgpr, 0
	.set _ZN7rocprim17ROCPRIM_400000_NS6detail17trampoline_kernelINS0_13select_configILj256ELj13ELNS0_17block_load_methodE3ELS4_3ELS4_3ELNS0_20block_scan_algorithmE0ELj4294967295EEENS1_25partition_config_selectorILNS1_17partition_subalgoE4EjNS0_10empty_typeEbEEZZNS1_14partition_implILS8_4ELb0ES6_15HIP_vector_typeIjLj2EENS0_17counting_iteratorIjlEEPS9_SG_NS0_5tupleIJPjSI_NS0_16reverse_iteratorISI_EEEEENSH_IJSG_SG_SG_EEES9_SI_JZNS1_25segmented_radix_sort_implINS0_14default_configELb1EPKsPsPKlPlN2at6native12_GLOBAL__N_18offset_tEEE10hipError_tPvRmT1_PNSt15iterator_traitsIS12_E10value_typeET2_T3_PNS13_IS18_E10value_typeET4_jRbjT5_S1E_jjP12ihipStream_tbEUljE_ZNSN_ISO_Lb1ESQ_SR_ST_SU_SY_EESZ_S10_S11_S12_S16_S17_S18_S1B_S1C_jS1D_jS1E_S1E_jjS1G_bEUljE0_EEESZ_S10_S11_S18_S1C_S1E_T6_T7_T9_mT8_S1G_bDpT10_ENKUlT_T0_E_clISt17integral_constantIbLb0EES1U_EEDaS1P_S1Q_EUlS1P_E_NS1_11comp_targetILNS1_3genE10ELNS1_11target_archE1200ELNS1_3gpuE4ELNS1_3repE0EEENS1_30default_config_static_selectorELNS0_4arch9wavefront6targetE0EEEvS12_.num_agpr, 0
	.set _ZN7rocprim17ROCPRIM_400000_NS6detail17trampoline_kernelINS0_13select_configILj256ELj13ELNS0_17block_load_methodE3ELS4_3ELS4_3ELNS0_20block_scan_algorithmE0ELj4294967295EEENS1_25partition_config_selectorILNS1_17partition_subalgoE4EjNS0_10empty_typeEbEEZZNS1_14partition_implILS8_4ELb0ES6_15HIP_vector_typeIjLj2EENS0_17counting_iteratorIjlEEPS9_SG_NS0_5tupleIJPjSI_NS0_16reverse_iteratorISI_EEEEENSH_IJSG_SG_SG_EEES9_SI_JZNS1_25segmented_radix_sort_implINS0_14default_configELb1EPKsPsPKlPlN2at6native12_GLOBAL__N_18offset_tEEE10hipError_tPvRmT1_PNSt15iterator_traitsIS12_E10value_typeET2_T3_PNS13_IS18_E10value_typeET4_jRbjT5_S1E_jjP12ihipStream_tbEUljE_ZNSN_ISO_Lb1ESQ_SR_ST_SU_SY_EESZ_S10_S11_S12_S16_S17_S18_S1B_S1C_jS1D_jS1E_S1E_jjS1G_bEUljE0_EEESZ_S10_S11_S18_S1C_S1E_T6_T7_T9_mT8_S1G_bDpT10_ENKUlT_T0_E_clISt17integral_constantIbLb0EES1U_EEDaS1P_S1Q_EUlS1P_E_NS1_11comp_targetILNS1_3genE10ELNS1_11target_archE1200ELNS1_3gpuE4ELNS1_3repE0EEENS1_30default_config_static_selectorELNS0_4arch9wavefront6targetE0EEEvS12_.numbered_sgpr, 0
	.set _ZN7rocprim17ROCPRIM_400000_NS6detail17trampoline_kernelINS0_13select_configILj256ELj13ELNS0_17block_load_methodE3ELS4_3ELS4_3ELNS0_20block_scan_algorithmE0ELj4294967295EEENS1_25partition_config_selectorILNS1_17partition_subalgoE4EjNS0_10empty_typeEbEEZZNS1_14partition_implILS8_4ELb0ES6_15HIP_vector_typeIjLj2EENS0_17counting_iteratorIjlEEPS9_SG_NS0_5tupleIJPjSI_NS0_16reverse_iteratorISI_EEEEENSH_IJSG_SG_SG_EEES9_SI_JZNS1_25segmented_radix_sort_implINS0_14default_configELb1EPKsPsPKlPlN2at6native12_GLOBAL__N_18offset_tEEE10hipError_tPvRmT1_PNSt15iterator_traitsIS12_E10value_typeET2_T3_PNS13_IS18_E10value_typeET4_jRbjT5_S1E_jjP12ihipStream_tbEUljE_ZNSN_ISO_Lb1ESQ_SR_ST_SU_SY_EESZ_S10_S11_S12_S16_S17_S18_S1B_S1C_jS1D_jS1E_S1E_jjS1G_bEUljE0_EEESZ_S10_S11_S18_S1C_S1E_T6_T7_T9_mT8_S1G_bDpT10_ENKUlT_T0_E_clISt17integral_constantIbLb0EES1U_EEDaS1P_S1Q_EUlS1P_E_NS1_11comp_targetILNS1_3genE10ELNS1_11target_archE1200ELNS1_3gpuE4ELNS1_3repE0EEENS1_30default_config_static_selectorELNS0_4arch9wavefront6targetE0EEEvS12_.num_named_barrier, 0
	.set _ZN7rocprim17ROCPRIM_400000_NS6detail17trampoline_kernelINS0_13select_configILj256ELj13ELNS0_17block_load_methodE3ELS4_3ELS4_3ELNS0_20block_scan_algorithmE0ELj4294967295EEENS1_25partition_config_selectorILNS1_17partition_subalgoE4EjNS0_10empty_typeEbEEZZNS1_14partition_implILS8_4ELb0ES6_15HIP_vector_typeIjLj2EENS0_17counting_iteratorIjlEEPS9_SG_NS0_5tupleIJPjSI_NS0_16reverse_iteratorISI_EEEEENSH_IJSG_SG_SG_EEES9_SI_JZNS1_25segmented_radix_sort_implINS0_14default_configELb1EPKsPsPKlPlN2at6native12_GLOBAL__N_18offset_tEEE10hipError_tPvRmT1_PNSt15iterator_traitsIS12_E10value_typeET2_T3_PNS13_IS18_E10value_typeET4_jRbjT5_S1E_jjP12ihipStream_tbEUljE_ZNSN_ISO_Lb1ESQ_SR_ST_SU_SY_EESZ_S10_S11_S12_S16_S17_S18_S1B_S1C_jS1D_jS1E_S1E_jjS1G_bEUljE0_EEESZ_S10_S11_S18_S1C_S1E_T6_T7_T9_mT8_S1G_bDpT10_ENKUlT_T0_E_clISt17integral_constantIbLb0EES1U_EEDaS1P_S1Q_EUlS1P_E_NS1_11comp_targetILNS1_3genE10ELNS1_11target_archE1200ELNS1_3gpuE4ELNS1_3repE0EEENS1_30default_config_static_selectorELNS0_4arch9wavefront6targetE0EEEvS12_.private_seg_size, 0
	.set _ZN7rocprim17ROCPRIM_400000_NS6detail17trampoline_kernelINS0_13select_configILj256ELj13ELNS0_17block_load_methodE3ELS4_3ELS4_3ELNS0_20block_scan_algorithmE0ELj4294967295EEENS1_25partition_config_selectorILNS1_17partition_subalgoE4EjNS0_10empty_typeEbEEZZNS1_14partition_implILS8_4ELb0ES6_15HIP_vector_typeIjLj2EENS0_17counting_iteratorIjlEEPS9_SG_NS0_5tupleIJPjSI_NS0_16reverse_iteratorISI_EEEEENSH_IJSG_SG_SG_EEES9_SI_JZNS1_25segmented_radix_sort_implINS0_14default_configELb1EPKsPsPKlPlN2at6native12_GLOBAL__N_18offset_tEEE10hipError_tPvRmT1_PNSt15iterator_traitsIS12_E10value_typeET2_T3_PNS13_IS18_E10value_typeET4_jRbjT5_S1E_jjP12ihipStream_tbEUljE_ZNSN_ISO_Lb1ESQ_SR_ST_SU_SY_EESZ_S10_S11_S12_S16_S17_S18_S1B_S1C_jS1D_jS1E_S1E_jjS1G_bEUljE0_EEESZ_S10_S11_S18_S1C_S1E_T6_T7_T9_mT8_S1G_bDpT10_ENKUlT_T0_E_clISt17integral_constantIbLb0EES1U_EEDaS1P_S1Q_EUlS1P_E_NS1_11comp_targetILNS1_3genE10ELNS1_11target_archE1200ELNS1_3gpuE4ELNS1_3repE0EEENS1_30default_config_static_selectorELNS0_4arch9wavefront6targetE0EEEvS12_.uses_vcc, 0
	.set _ZN7rocprim17ROCPRIM_400000_NS6detail17trampoline_kernelINS0_13select_configILj256ELj13ELNS0_17block_load_methodE3ELS4_3ELS4_3ELNS0_20block_scan_algorithmE0ELj4294967295EEENS1_25partition_config_selectorILNS1_17partition_subalgoE4EjNS0_10empty_typeEbEEZZNS1_14partition_implILS8_4ELb0ES6_15HIP_vector_typeIjLj2EENS0_17counting_iteratorIjlEEPS9_SG_NS0_5tupleIJPjSI_NS0_16reverse_iteratorISI_EEEEENSH_IJSG_SG_SG_EEES9_SI_JZNS1_25segmented_radix_sort_implINS0_14default_configELb1EPKsPsPKlPlN2at6native12_GLOBAL__N_18offset_tEEE10hipError_tPvRmT1_PNSt15iterator_traitsIS12_E10value_typeET2_T3_PNS13_IS18_E10value_typeET4_jRbjT5_S1E_jjP12ihipStream_tbEUljE_ZNSN_ISO_Lb1ESQ_SR_ST_SU_SY_EESZ_S10_S11_S12_S16_S17_S18_S1B_S1C_jS1D_jS1E_S1E_jjS1G_bEUljE0_EEESZ_S10_S11_S18_S1C_S1E_T6_T7_T9_mT8_S1G_bDpT10_ENKUlT_T0_E_clISt17integral_constantIbLb0EES1U_EEDaS1P_S1Q_EUlS1P_E_NS1_11comp_targetILNS1_3genE10ELNS1_11target_archE1200ELNS1_3gpuE4ELNS1_3repE0EEENS1_30default_config_static_selectorELNS0_4arch9wavefront6targetE0EEEvS12_.uses_flat_scratch, 0
	.set _ZN7rocprim17ROCPRIM_400000_NS6detail17trampoline_kernelINS0_13select_configILj256ELj13ELNS0_17block_load_methodE3ELS4_3ELS4_3ELNS0_20block_scan_algorithmE0ELj4294967295EEENS1_25partition_config_selectorILNS1_17partition_subalgoE4EjNS0_10empty_typeEbEEZZNS1_14partition_implILS8_4ELb0ES6_15HIP_vector_typeIjLj2EENS0_17counting_iteratorIjlEEPS9_SG_NS0_5tupleIJPjSI_NS0_16reverse_iteratorISI_EEEEENSH_IJSG_SG_SG_EEES9_SI_JZNS1_25segmented_radix_sort_implINS0_14default_configELb1EPKsPsPKlPlN2at6native12_GLOBAL__N_18offset_tEEE10hipError_tPvRmT1_PNSt15iterator_traitsIS12_E10value_typeET2_T3_PNS13_IS18_E10value_typeET4_jRbjT5_S1E_jjP12ihipStream_tbEUljE_ZNSN_ISO_Lb1ESQ_SR_ST_SU_SY_EESZ_S10_S11_S12_S16_S17_S18_S1B_S1C_jS1D_jS1E_S1E_jjS1G_bEUljE0_EEESZ_S10_S11_S18_S1C_S1E_T6_T7_T9_mT8_S1G_bDpT10_ENKUlT_T0_E_clISt17integral_constantIbLb0EES1U_EEDaS1P_S1Q_EUlS1P_E_NS1_11comp_targetILNS1_3genE10ELNS1_11target_archE1200ELNS1_3gpuE4ELNS1_3repE0EEENS1_30default_config_static_selectorELNS0_4arch9wavefront6targetE0EEEvS12_.has_dyn_sized_stack, 0
	.set _ZN7rocprim17ROCPRIM_400000_NS6detail17trampoline_kernelINS0_13select_configILj256ELj13ELNS0_17block_load_methodE3ELS4_3ELS4_3ELNS0_20block_scan_algorithmE0ELj4294967295EEENS1_25partition_config_selectorILNS1_17partition_subalgoE4EjNS0_10empty_typeEbEEZZNS1_14partition_implILS8_4ELb0ES6_15HIP_vector_typeIjLj2EENS0_17counting_iteratorIjlEEPS9_SG_NS0_5tupleIJPjSI_NS0_16reverse_iteratorISI_EEEEENSH_IJSG_SG_SG_EEES9_SI_JZNS1_25segmented_radix_sort_implINS0_14default_configELb1EPKsPsPKlPlN2at6native12_GLOBAL__N_18offset_tEEE10hipError_tPvRmT1_PNSt15iterator_traitsIS12_E10value_typeET2_T3_PNS13_IS18_E10value_typeET4_jRbjT5_S1E_jjP12ihipStream_tbEUljE_ZNSN_ISO_Lb1ESQ_SR_ST_SU_SY_EESZ_S10_S11_S12_S16_S17_S18_S1B_S1C_jS1D_jS1E_S1E_jjS1G_bEUljE0_EEESZ_S10_S11_S18_S1C_S1E_T6_T7_T9_mT8_S1G_bDpT10_ENKUlT_T0_E_clISt17integral_constantIbLb0EES1U_EEDaS1P_S1Q_EUlS1P_E_NS1_11comp_targetILNS1_3genE10ELNS1_11target_archE1200ELNS1_3gpuE4ELNS1_3repE0EEENS1_30default_config_static_selectorELNS0_4arch9wavefront6targetE0EEEvS12_.has_recursion, 0
	.set _ZN7rocprim17ROCPRIM_400000_NS6detail17trampoline_kernelINS0_13select_configILj256ELj13ELNS0_17block_load_methodE3ELS4_3ELS4_3ELNS0_20block_scan_algorithmE0ELj4294967295EEENS1_25partition_config_selectorILNS1_17partition_subalgoE4EjNS0_10empty_typeEbEEZZNS1_14partition_implILS8_4ELb0ES6_15HIP_vector_typeIjLj2EENS0_17counting_iteratorIjlEEPS9_SG_NS0_5tupleIJPjSI_NS0_16reverse_iteratorISI_EEEEENSH_IJSG_SG_SG_EEES9_SI_JZNS1_25segmented_radix_sort_implINS0_14default_configELb1EPKsPsPKlPlN2at6native12_GLOBAL__N_18offset_tEEE10hipError_tPvRmT1_PNSt15iterator_traitsIS12_E10value_typeET2_T3_PNS13_IS18_E10value_typeET4_jRbjT5_S1E_jjP12ihipStream_tbEUljE_ZNSN_ISO_Lb1ESQ_SR_ST_SU_SY_EESZ_S10_S11_S12_S16_S17_S18_S1B_S1C_jS1D_jS1E_S1E_jjS1G_bEUljE0_EEESZ_S10_S11_S18_S1C_S1E_T6_T7_T9_mT8_S1G_bDpT10_ENKUlT_T0_E_clISt17integral_constantIbLb0EES1U_EEDaS1P_S1Q_EUlS1P_E_NS1_11comp_targetILNS1_3genE10ELNS1_11target_archE1200ELNS1_3gpuE4ELNS1_3repE0EEENS1_30default_config_static_selectorELNS0_4arch9wavefront6targetE0EEEvS12_.has_indirect_call, 0
	.section	.AMDGPU.csdata,"",@progbits
; Kernel info:
; codeLenInByte = 0
; TotalNumSgprs: 0
; NumVgprs: 0
; ScratchSize: 0
; MemoryBound: 0
; FloatMode: 240
; IeeeMode: 1
; LDSByteSize: 0 bytes/workgroup (compile time only)
; SGPRBlocks: 0
; VGPRBlocks: 0
; NumSGPRsForWavesPerEU: 1
; NumVGPRsForWavesPerEU: 1
; Occupancy: 16
; WaveLimiterHint : 0
; COMPUTE_PGM_RSRC2:SCRATCH_EN: 0
; COMPUTE_PGM_RSRC2:USER_SGPR: 6
; COMPUTE_PGM_RSRC2:TRAP_HANDLER: 0
; COMPUTE_PGM_RSRC2:TGID_X_EN: 1
; COMPUTE_PGM_RSRC2:TGID_Y_EN: 0
; COMPUTE_PGM_RSRC2:TGID_Z_EN: 0
; COMPUTE_PGM_RSRC2:TIDIG_COMP_CNT: 0
	.section	.text._ZN7rocprim17ROCPRIM_400000_NS6detail17trampoline_kernelINS0_13select_configILj256ELj13ELNS0_17block_load_methodE3ELS4_3ELS4_3ELNS0_20block_scan_algorithmE0ELj4294967295EEENS1_25partition_config_selectorILNS1_17partition_subalgoE4EjNS0_10empty_typeEbEEZZNS1_14partition_implILS8_4ELb0ES6_15HIP_vector_typeIjLj2EENS0_17counting_iteratorIjlEEPS9_SG_NS0_5tupleIJPjSI_NS0_16reverse_iteratorISI_EEEEENSH_IJSG_SG_SG_EEES9_SI_JZNS1_25segmented_radix_sort_implINS0_14default_configELb1EPKsPsPKlPlN2at6native12_GLOBAL__N_18offset_tEEE10hipError_tPvRmT1_PNSt15iterator_traitsIS12_E10value_typeET2_T3_PNS13_IS18_E10value_typeET4_jRbjT5_S1E_jjP12ihipStream_tbEUljE_ZNSN_ISO_Lb1ESQ_SR_ST_SU_SY_EESZ_S10_S11_S12_S16_S17_S18_S1B_S1C_jS1D_jS1E_S1E_jjS1G_bEUljE0_EEESZ_S10_S11_S18_S1C_S1E_T6_T7_T9_mT8_S1G_bDpT10_ENKUlT_T0_E_clISt17integral_constantIbLb0EES1U_EEDaS1P_S1Q_EUlS1P_E_NS1_11comp_targetILNS1_3genE9ELNS1_11target_archE1100ELNS1_3gpuE3ELNS1_3repE0EEENS1_30default_config_static_selectorELNS0_4arch9wavefront6targetE0EEEvS12_,"axG",@progbits,_ZN7rocprim17ROCPRIM_400000_NS6detail17trampoline_kernelINS0_13select_configILj256ELj13ELNS0_17block_load_methodE3ELS4_3ELS4_3ELNS0_20block_scan_algorithmE0ELj4294967295EEENS1_25partition_config_selectorILNS1_17partition_subalgoE4EjNS0_10empty_typeEbEEZZNS1_14partition_implILS8_4ELb0ES6_15HIP_vector_typeIjLj2EENS0_17counting_iteratorIjlEEPS9_SG_NS0_5tupleIJPjSI_NS0_16reverse_iteratorISI_EEEEENSH_IJSG_SG_SG_EEES9_SI_JZNS1_25segmented_radix_sort_implINS0_14default_configELb1EPKsPsPKlPlN2at6native12_GLOBAL__N_18offset_tEEE10hipError_tPvRmT1_PNSt15iterator_traitsIS12_E10value_typeET2_T3_PNS13_IS18_E10value_typeET4_jRbjT5_S1E_jjP12ihipStream_tbEUljE_ZNSN_ISO_Lb1ESQ_SR_ST_SU_SY_EESZ_S10_S11_S12_S16_S17_S18_S1B_S1C_jS1D_jS1E_S1E_jjS1G_bEUljE0_EEESZ_S10_S11_S18_S1C_S1E_T6_T7_T9_mT8_S1G_bDpT10_ENKUlT_T0_E_clISt17integral_constantIbLb0EES1U_EEDaS1P_S1Q_EUlS1P_E_NS1_11comp_targetILNS1_3genE9ELNS1_11target_archE1100ELNS1_3gpuE3ELNS1_3repE0EEENS1_30default_config_static_selectorELNS0_4arch9wavefront6targetE0EEEvS12_,comdat
	.globl	_ZN7rocprim17ROCPRIM_400000_NS6detail17trampoline_kernelINS0_13select_configILj256ELj13ELNS0_17block_load_methodE3ELS4_3ELS4_3ELNS0_20block_scan_algorithmE0ELj4294967295EEENS1_25partition_config_selectorILNS1_17partition_subalgoE4EjNS0_10empty_typeEbEEZZNS1_14partition_implILS8_4ELb0ES6_15HIP_vector_typeIjLj2EENS0_17counting_iteratorIjlEEPS9_SG_NS0_5tupleIJPjSI_NS0_16reverse_iteratorISI_EEEEENSH_IJSG_SG_SG_EEES9_SI_JZNS1_25segmented_radix_sort_implINS0_14default_configELb1EPKsPsPKlPlN2at6native12_GLOBAL__N_18offset_tEEE10hipError_tPvRmT1_PNSt15iterator_traitsIS12_E10value_typeET2_T3_PNS13_IS18_E10value_typeET4_jRbjT5_S1E_jjP12ihipStream_tbEUljE_ZNSN_ISO_Lb1ESQ_SR_ST_SU_SY_EESZ_S10_S11_S12_S16_S17_S18_S1B_S1C_jS1D_jS1E_S1E_jjS1G_bEUljE0_EEESZ_S10_S11_S18_S1C_S1E_T6_T7_T9_mT8_S1G_bDpT10_ENKUlT_T0_E_clISt17integral_constantIbLb0EES1U_EEDaS1P_S1Q_EUlS1P_E_NS1_11comp_targetILNS1_3genE9ELNS1_11target_archE1100ELNS1_3gpuE3ELNS1_3repE0EEENS1_30default_config_static_selectorELNS0_4arch9wavefront6targetE0EEEvS12_ ; -- Begin function _ZN7rocprim17ROCPRIM_400000_NS6detail17trampoline_kernelINS0_13select_configILj256ELj13ELNS0_17block_load_methodE3ELS4_3ELS4_3ELNS0_20block_scan_algorithmE0ELj4294967295EEENS1_25partition_config_selectorILNS1_17partition_subalgoE4EjNS0_10empty_typeEbEEZZNS1_14partition_implILS8_4ELb0ES6_15HIP_vector_typeIjLj2EENS0_17counting_iteratorIjlEEPS9_SG_NS0_5tupleIJPjSI_NS0_16reverse_iteratorISI_EEEEENSH_IJSG_SG_SG_EEES9_SI_JZNS1_25segmented_radix_sort_implINS0_14default_configELb1EPKsPsPKlPlN2at6native12_GLOBAL__N_18offset_tEEE10hipError_tPvRmT1_PNSt15iterator_traitsIS12_E10value_typeET2_T3_PNS13_IS18_E10value_typeET4_jRbjT5_S1E_jjP12ihipStream_tbEUljE_ZNSN_ISO_Lb1ESQ_SR_ST_SU_SY_EESZ_S10_S11_S12_S16_S17_S18_S1B_S1C_jS1D_jS1E_S1E_jjS1G_bEUljE0_EEESZ_S10_S11_S18_S1C_S1E_T6_T7_T9_mT8_S1G_bDpT10_ENKUlT_T0_E_clISt17integral_constantIbLb0EES1U_EEDaS1P_S1Q_EUlS1P_E_NS1_11comp_targetILNS1_3genE9ELNS1_11target_archE1100ELNS1_3gpuE3ELNS1_3repE0EEENS1_30default_config_static_selectorELNS0_4arch9wavefront6targetE0EEEvS12_
	.p2align	8
	.type	_ZN7rocprim17ROCPRIM_400000_NS6detail17trampoline_kernelINS0_13select_configILj256ELj13ELNS0_17block_load_methodE3ELS4_3ELS4_3ELNS0_20block_scan_algorithmE0ELj4294967295EEENS1_25partition_config_selectorILNS1_17partition_subalgoE4EjNS0_10empty_typeEbEEZZNS1_14partition_implILS8_4ELb0ES6_15HIP_vector_typeIjLj2EENS0_17counting_iteratorIjlEEPS9_SG_NS0_5tupleIJPjSI_NS0_16reverse_iteratorISI_EEEEENSH_IJSG_SG_SG_EEES9_SI_JZNS1_25segmented_radix_sort_implINS0_14default_configELb1EPKsPsPKlPlN2at6native12_GLOBAL__N_18offset_tEEE10hipError_tPvRmT1_PNSt15iterator_traitsIS12_E10value_typeET2_T3_PNS13_IS18_E10value_typeET4_jRbjT5_S1E_jjP12ihipStream_tbEUljE_ZNSN_ISO_Lb1ESQ_SR_ST_SU_SY_EESZ_S10_S11_S12_S16_S17_S18_S1B_S1C_jS1D_jS1E_S1E_jjS1G_bEUljE0_EEESZ_S10_S11_S18_S1C_S1E_T6_T7_T9_mT8_S1G_bDpT10_ENKUlT_T0_E_clISt17integral_constantIbLb0EES1U_EEDaS1P_S1Q_EUlS1P_E_NS1_11comp_targetILNS1_3genE9ELNS1_11target_archE1100ELNS1_3gpuE3ELNS1_3repE0EEENS1_30default_config_static_selectorELNS0_4arch9wavefront6targetE0EEEvS12_,@function
_ZN7rocprim17ROCPRIM_400000_NS6detail17trampoline_kernelINS0_13select_configILj256ELj13ELNS0_17block_load_methodE3ELS4_3ELS4_3ELNS0_20block_scan_algorithmE0ELj4294967295EEENS1_25partition_config_selectorILNS1_17partition_subalgoE4EjNS0_10empty_typeEbEEZZNS1_14partition_implILS8_4ELb0ES6_15HIP_vector_typeIjLj2EENS0_17counting_iteratorIjlEEPS9_SG_NS0_5tupleIJPjSI_NS0_16reverse_iteratorISI_EEEEENSH_IJSG_SG_SG_EEES9_SI_JZNS1_25segmented_radix_sort_implINS0_14default_configELb1EPKsPsPKlPlN2at6native12_GLOBAL__N_18offset_tEEE10hipError_tPvRmT1_PNSt15iterator_traitsIS12_E10value_typeET2_T3_PNS13_IS18_E10value_typeET4_jRbjT5_S1E_jjP12ihipStream_tbEUljE_ZNSN_ISO_Lb1ESQ_SR_ST_SU_SY_EESZ_S10_S11_S12_S16_S17_S18_S1B_S1C_jS1D_jS1E_S1E_jjS1G_bEUljE0_EEESZ_S10_S11_S18_S1C_S1E_T6_T7_T9_mT8_S1G_bDpT10_ENKUlT_T0_E_clISt17integral_constantIbLb0EES1U_EEDaS1P_S1Q_EUlS1P_E_NS1_11comp_targetILNS1_3genE9ELNS1_11target_archE1100ELNS1_3gpuE3ELNS1_3repE0EEENS1_30default_config_static_selectorELNS0_4arch9wavefront6targetE0EEEvS12_: ; @_ZN7rocprim17ROCPRIM_400000_NS6detail17trampoline_kernelINS0_13select_configILj256ELj13ELNS0_17block_load_methodE3ELS4_3ELS4_3ELNS0_20block_scan_algorithmE0ELj4294967295EEENS1_25partition_config_selectorILNS1_17partition_subalgoE4EjNS0_10empty_typeEbEEZZNS1_14partition_implILS8_4ELb0ES6_15HIP_vector_typeIjLj2EENS0_17counting_iteratorIjlEEPS9_SG_NS0_5tupleIJPjSI_NS0_16reverse_iteratorISI_EEEEENSH_IJSG_SG_SG_EEES9_SI_JZNS1_25segmented_radix_sort_implINS0_14default_configELb1EPKsPsPKlPlN2at6native12_GLOBAL__N_18offset_tEEE10hipError_tPvRmT1_PNSt15iterator_traitsIS12_E10value_typeET2_T3_PNS13_IS18_E10value_typeET4_jRbjT5_S1E_jjP12ihipStream_tbEUljE_ZNSN_ISO_Lb1ESQ_SR_ST_SU_SY_EESZ_S10_S11_S12_S16_S17_S18_S1B_S1C_jS1D_jS1E_S1E_jjS1G_bEUljE0_EEESZ_S10_S11_S18_S1C_S1E_T6_T7_T9_mT8_S1G_bDpT10_ENKUlT_T0_E_clISt17integral_constantIbLb0EES1U_EEDaS1P_S1Q_EUlS1P_E_NS1_11comp_targetILNS1_3genE9ELNS1_11target_archE1100ELNS1_3gpuE3ELNS1_3repE0EEENS1_30default_config_static_selectorELNS0_4arch9wavefront6targetE0EEEvS12_
; %bb.0:
	.section	.rodata,"a",@progbits
	.p2align	6, 0x0
	.amdhsa_kernel _ZN7rocprim17ROCPRIM_400000_NS6detail17trampoline_kernelINS0_13select_configILj256ELj13ELNS0_17block_load_methodE3ELS4_3ELS4_3ELNS0_20block_scan_algorithmE0ELj4294967295EEENS1_25partition_config_selectorILNS1_17partition_subalgoE4EjNS0_10empty_typeEbEEZZNS1_14partition_implILS8_4ELb0ES6_15HIP_vector_typeIjLj2EENS0_17counting_iteratorIjlEEPS9_SG_NS0_5tupleIJPjSI_NS0_16reverse_iteratorISI_EEEEENSH_IJSG_SG_SG_EEES9_SI_JZNS1_25segmented_radix_sort_implINS0_14default_configELb1EPKsPsPKlPlN2at6native12_GLOBAL__N_18offset_tEEE10hipError_tPvRmT1_PNSt15iterator_traitsIS12_E10value_typeET2_T3_PNS13_IS18_E10value_typeET4_jRbjT5_S1E_jjP12ihipStream_tbEUljE_ZNSN_ISO_Lb1ESQ_SR_ST_SU_SY_EESZ_S10_S11_S12_S16_S17_S18_S1B_S1C_jS1D_jS1E_S1E_jjS1G_bEUljE0_EEESZ_S10_S11_S18_S1C_S1E_T6_T7_T9_mT8_S1G_bDpT10_ENKUlT_T0_E_clISt17integral_constantIbLb0EES1U_EEDaS1P_S1Q_EUlS1P_E_NS1_11comp_targetILNS1_3genE9ELNS1_11target_archE1100ELNS1_3gpuE3ELNS1_3repE0EEENS1_30default_config_static_selectorELNS0_4arch9wavefront6targetE0EEEvS12_
		.amdhsa_group_segment_fixed_size 0
		.amdhsa_private_segment_fixed_size 0
		.amdhsa_kernarg_size 176
		.amdhsa_user_sgpr_count 6
		.amdhsa_user_sgpr_private_segment_buffer 1
		.amdhsa_user_sgpr_dispatch_ptr 0
		.amdhsa_user_sgpr_queue_ptr 0
		.amdhsa_user_sgpr_kernarg_segment_ptr 1
		.amdhsa_user_sgpr_dispatch_id 0
		.amdhsa_user_sgpr_flat_scratch_init 0
		.amdhsa_user_sgpr_private_segment_size 0
		.amdhsa_wavefront_size32 1
		.amdhsa_uses_dynamic_stack 0
		.amdhsa_system_sgpr_private_segment_wavefront_offset 0
		.amdhsa_system_sgpr_workgroup_id_x 1
		.amdhsa_system_sgpr_workgroup_id_y 0
		.amdhsa_system_sgpr_workgroup_id_z 0
		.amdhsa_system_sgpr_workgroup_info 0
		.amdhsa_system_vgpr_workitem_id 0
		.amdhsa_next_free_vgpr 1
		.amdhsa_next_free_sgpr 1
		.amdhsa_reserve_vcc 0
		.amdhsa_reserve_flat_scratch 0
		.amdhsa_float_round_mode_32 0
		.amdhsa_float_round_mode_16_64 0
		.amdhsa_float_denorm_mode_32 3
		.amdhsa_float_denorm_mode_16_64 3
		.amdhsa_dx10_clamp 1
		.amdhsa_ieee_mode 1
		.amdhsa_fp16_overflow 0
		.amdhsa_workgroup_processor_mode 1
		.amdhsa_memory_ordered 1
		.amdhsa_forward_progress 1
		.amdhsa_shared_vgpr_count 0
		.amdhsa_exception_fp_ieee_invalid_op 0
		.amdhsa_exception_fp_denorm_src 0
		.amdhsa_exception_fp_ieee_div_zero 0
		.amdhsa_exception_fp_ieee_overflow 0
		.amdhsa_exception_fp_ieee_underflow 0
		.amdhsa_exception_fp_ieee_inexact 0
		.amdhsa_exception_int_div_zero 0
	.end_amdhsa_kernel
	.section	.text._ZN7rocprim17ROCPRIM_400000_NS6detail17trampoline_kernelINS0_13select_configILj256ELj13ELNS0_17block_load_methodE3ELS4_3ELS4_3ELNS0_20block_scan_algorithmE0ELj4294967295EEENS1_25partition_config_selectorILNS1_17partition_subalgoE4EjNS0_10empty_typeEbEEZZNS1_14partition_implILS8_4ELb0ES6_15HIP_vector_typeIjLj2EENS0_17counting_iteratorIjlEEPS9_SG_NS0_5tupleIJPjSI_NS0_16reverse_iteratorISI_EEEEENSH_IJSG_SG_SG_EEES9_SI_JZNS1_25segmented_radix_sort_implINS0_14default_configELb1EPKsPsPKlPlN2at6native12_GLOBAL__N_18offset_tEEE10hipError_tPvRmT1_PNSt15iterator_traitsIS12_E10value_typeET2_T3_PNS13_IS18_E10value_typeET4_jRbjT5_S1E_jjP12ihipStream_tbEUljE_ZNSN_ISO_Lb1ESQ_SR_ST_SU_SY_EESZ_S10_S11_S12_S16_S17_S18_S1B_S1C_jS1D_jS1E_S1E_jjS1G_bEUljE0_EEESZ_S10_S11_S18_S1C_S1E_T6_T7_T9_mT8_S1G_bDpT10_ENKUlT_T0_E_clISt17integral_constantIbLb0EES1U_EEDaS1P_S1Q_EUlS1P_E_NS1_11comp_targetILNS1_3genE9ELNS1_11target_archE1100ELNS1_3gpuE3ELNS1_3repE0EEENS1_30default_config_static_selectorELNS0_4arch9wavefront6targetE0EEEvS12_,"axG",@progbits,_ZN7rocprim17ROCPRIM_400000_NS6detail17trampoline_kernelINS0_13select_configILj256ELj13ELNS0_17block_load_methodE3ELS4_3ELS4_3ELNS0_20block_scan_algorithmE0ELj4294967295EEENS1_25partition_config_selectorILNS1_17partition_subalgoE4EjNS0_10empty_typeEbEEZZNS1_14partition_implILS8_4ELb0ES6_15HIP_vector_typeIjLj2EENS0_17counting_iteratorIjlEEPS9_SG_NS0_5tupleIJPjSI_NS0_16reverse_iteratorISI_EEEEENSH_IJSG_SG_SG_EEES9_SI_JZNS1_25segmented_radix_sort_implINS0_14default_configELb1EPKsPsPKlPlN2at6native12_GLOBAL__N_18offset_tEEE10hipError_tPvRmT1_PNSt15iterator_traitsIS12_E10value_typeET2_T3_PNS13_IS18_E10value_typeET4_jRbjT5_S1E_jjP12ihipStream_tbEUljE_ZNSN_ISO_Lb1ESQ_SR_ST_SU_SY_EESZ_S10_S11_S12_S16_S17_S18_S1B_S1C_jS1D_jS1E_S1E_jjS1G_bEUljE0_EEESZ_S10_S11_S18_S1C_S1E_T6_T7_T9_mT8_S1G_bDpT10_ENKUlT_T0_E_clISt17integral_constantIbLb0EES1U_EEDaS1P_S1Q_EUlS1P_E_NS1_11comp_targetILNS1_3genE9ELNS1_11target_archE1100ELNS1_3gpuE3ELNS1_3repE0EEENS1_30default_config_static_selectorELNS0_4arch9wavefront6targetE0EEEvS12_,comdat
.Lfunc_end847:
	.size	_ZN7rocprim17ROCPRIM_400000_NS6detail17trampoline_kernelINS0_13select_configILj256ELj13ELNS0_17block_load_methodE3ELS4_3ELS4_3ELNS0_20block_scan_algorithmE0ELj4294967295EEENS1_25partition_config_selectorILNS1_17partition_subalgoE4EjNS0_10empty_typeEbEEZZNS1_14partition_implILS8_4ELb0ES6_15HIP_vector_typeIjLj2EENS0_17counting_iteratorIjlEEPS9_SG_NS0_5tupleIJPjSI_NS0_16reverse_iteratorISI_EEEEENSH_IJSG_SG_SG_EEES9_SI_JZNS1_25segmented_radix_sort_implINS0_14default_configELb1EPKsPsPKlPlN2at6native12_GLOBAL__N_18offset_tEEE10hipError_tPvRmT1_PNSt15iterator_traitsIS12_E10value_typeET2_T3_PNS13_IS18_E10value_typeET4_jRbjT5_S1E_jjP12ihipStream_tbEUljE_ZNSN_ISO_Lb1ESQ_SR_ST_SU_SY_EESZ_S10_S11_S12_S16_S17_S18_S1B_S1C_jS1D_jS1E_S1E_jjS1G_bEUljE0_EEESZ_S10_S11_S18_S1C_S1E_T6_T7_T9_mT8_S1G_bDpT10_ENKUlT_T0_E_clISt17integral_constantIbLb0EES1U_EEDaS1P_S1Q_EUlS1P_E_NS1_11comp_targetILNS1_3genE9ELNS1_11target_archE1100ELNS1_3gpuE3ELNS1_3repE0EEENS1_30default_config_static_selectorELNS0_4arch9wavefront6targetE0EEEvS12_, .Lfunc_end847-_ZN7rocprim17ROCPRIM_400000_NS6detail17trampoline_kernelINS0_13select_configILj256ELj13ELNS0_17block_load_methodE3ELS4_3ELS4_3ELNS0_20block_scan_algorithmE0ELj4294967295EEENS1_25partition_config_selectorILNS1_17partition_subalgoE4EjNS0_10empty_typeEbEEZZNS1_14partition_implILS8_4ELb0ES6_15HIP_vector_typeIjLj2EENS0_17counting_iteratorIjlEEPS9_SG_NS0_5tupleIJPjSI_NS0_16reverse_iteratorISI_EEEEENSH_IJSG_SG_SG_EEES9_SI_JZNS1_25segmented_radix_sort_implINS0_14default_configELb1EPKsPsPKlPlN2at6native12_GLOBAL__N_18offset_tEEE10hipError_tPvRmT1_PNSt15iterator_traitsIS12_E10value_typeET2_T3_PNS13_IS18_E10value_typeET4_jRbjT5_S1E_jjP12ihipStream_tbEUljE_ZNSN_ISO_Lb1ESQ_SR_ST_SU_SY_EESZ_S10_S11_S12_S16_S17_S18_S1B_S1C_jS1D_jS1E_S1E_jjS1G_bEUljE0_EEESZ_S10_S11_S18_S1C_S1E_T6_T7_T9_mT8_S1G_bDpT10_ENKUlT_T0_E_clISt17integral_constantIbLb0EES1U_EEDaS1P_S1Q_EUlS1P_E_NS1_11comp_targetILNS1_3genE9ELNS1_11target_archE1100ELNS1_3gpuE3ELNS1_3repE0EEENS1_30default_config_static_selectorELNS0_4arch9wavefront6targetE0EEEvS12_
                                        ; -- End function
	.set _ZN7rocprim17ROCPRIM_400000_NS6detail17trampoline_kernelINS0_13select_configILj256ELj13ELNS0_17block_load_methodE3ELS4_3ELS4_3ELNS0_20block_scan_algorithmE0ELj4294967295EEENS1_25partition_config_selectorILNS1_17partition_subalgoE4EjNS0_10empty_typeEbEEZZNS1_14partition_implILS8_4ELb0ES6_15HIP_vector_typeIjLj2EENS0_17counting_iteratorIjlEEPS9_SG_NS0_5tupleIJPjSI_NS0_16reverse_iteratorISI_EEEEENSH_IJSG_SG_SG_EEES9_SI_JZNS1_25segmented_radix_sort_implINS0_14default_configELb1EPKsPsPKlPlN2at6native12_GLOBAL__N_18offset_tEEE10hipError_tPvRmT1_PNSt15iterator_traitsIS12_E10value_typeET2_T3_PNS13_IS18_E10value_typeET4_jRbjT5_S1E_jjP12ihipStream_tbEUljE_ZNSN_ISO_Lb1ESQ_SR_ST_SU_SY_EESZ_S10_S11_S12_S16_S17_S18_S1B_S1C_jS1D_jS1E_S1E_jjS1G_bEUljE0_EEESZ_S10_S11_S18_S1C_S1E_T6_T7_T9_mT8_S1G_bDpT10_ENKUlT_T0_E_clISt17integral_constantIbLb0EES1U_EEDaS1P_S1Q_EUlS1P_E_NS1_11comp_targetILNS1_3genE9ELNS1_11target_archE1100ELNS1_3gpuE3ELNS1_3repE0EEENS1_30default_config_static_selectorELNS0_4arch9wavefront6targetE0EEEvS12_.num_vgpr, 0
	.set _ZN7rocprim17ROCPRIM_400000_NS6detail17trampoline_kernelINS0_13select_configILj256ELj13ELNS0_17block_load_methodE3ELS4_3ELS4_3ELNS0_20block_scan_algorithmE0ELj4294967295EEENS1_25partition_config_selectorILNS1_17partition_subalgoE4EjNS0_10empty_typeEbEEZZNS1_14partition_implILS8_4ELb0ES6_15HIP_vector_typeIjLj2EENS0_17counting_iteratorIjlEEPS9_SG_NS0_5tupleIJPjSI_NS0_16reverse_iteratorISI_EEEEENSH_IJSG_SG_SG_EEES9_SI_JZNS1_25segmented_radix_sort_implINS0_14default_configELb1EPKsPsPKlPlN2at6native12_GLOBAL__N_18offset_tEEE10hipError_tPvRmT1_PNSt15iterator_traitsIS12_E10value_typeET2_T3_PNS13_IS18_E10value_typeET4_jRbjT5_S1E_jjP12ihipStream_tbEUljE_ZNSN_ISO_Lb1ESQ_SR_ST_SU_SY_EESZ_S10_S11_S12_S16_S17_S18_S1B_S1C_jS1D_jS1E_S1E_jjS1G_bEUljE0_EEESZ_S10_S11_S18_S1C_S1E_T6_T7_T9_mT8_S1G_bDpT10_ENKUlT_T0_E_clISt17integral_constantIbLb0EES1U_EEDaS1P_S1Q_EUlS1P_E_NS1_11comp_targetILNS1_3genE9ELNS1_11target_archE1100ELNS1_3gpuE3ELNS1_3repE0EEENS1_30default_config_static_selectorELNS0_4arch9wavefront6targetE0EEEvS12_.num_agpr, 0
	.set _ZN7rocprim17ROCPRIM_400000_NS6detail17trampoline_kernelINS0_13select_configILj256ELj13ELNS0_17block_load_methodE3ELS4_3ELS4_3ELNS0_20block_scan_algorithmE0ELj4294967295EEENS1_25partition_config_selectorILNS1_17partition_subalgoE4EjNS0_10empty_typeEbEEZZNS1_14partition_implILS8_4ELb0ES6_15HIP_vector_typeIjLj2EENS0_17counting_iteratorIjlEEPS9_SG_NS0_5tupleIJPjSI_NS0_16reverse_iteratorISI_EEEEENSH_IJSG_SG_SG_EEES9_SI_JZNS1_25segmented_radix_sort_implINS0_14default_configELb1EPKsPsPKlPlN2at6native12_GLOBAL__N_18offset_tEEE10hipError_tPvRmT1_PNSt15iterator_traitsIS12_E10value_typeET2_T3_PNS13_IS18_E10value_typeET4_jRbjT5_S1E_jjP12ihipStream_tbEUljE_ZNSN_ISO_Lb1ESQ_SR_ST_SU_SY_EESZ_S10_S11_S12_S16_S17_S18_S1B_S1C_jS1D_jS1E_S1E_jjS1G_bEUljE0_EEESZ_S10_S11_S18_S1C_S1E_T6_T7_T9_mT8_S1G_bDpT10_ENKUlT_T0_E_clISt17integral_constantIbLb0EES1U_EEDaS1P_S1Q_EUlS1P_E_NS1_11comp_targetILNS1_3genE9ELNS1_11target_archE1100ELNS1_3gpuE3ELNS1_3repE0EEENS1_30default_config_static_selectorELNS0_4arch9wavefront6targetE0EEEvS12_.numbered_sgpr, 0
	.set _ZN7rocprim17ROCPRIM_400000_NS6detail17trampoline_kernelINS0_13select_configILj256ELj13ELNS0_17block_load_methodE3ELS4_3ELS4_3ELNS0_20block_scan_algorithmE0ELj4294967295EEENS1_25partition_config_selectorILNS1_17partition_subalgoE4EjNS0_10empty_typeEbEEZZNS1_14partition_implILS8_4ELb0ES6_15HIP_vector_typeIjLj2EENS0_17counting_iteratorIjlEEPS9_SG_NS0_5tupleIJPjSI_NS0_16reverse_iteratorISI_EEEEENSH_IJSG_SG_SG_EEES9_SI_JZNS1_25segmented_radix_sort_implINS0_14default_configELb1EPKsPsPKlPlN2at6native12_GLOBAL__N_18offset_tEEE10hipError_tPvRmT1_PNSt15iterator_traitsIS12_E10value_typeET2_T3_PNS13_IS18_E10value_typeET4_jRbjT5_S1E_jjP12ihipStream_tbEUljE_ZNSN_ISO_Lb1ESQ_SR_ST_SU_SY_EESZ_S10_S11_S12_S16_S17_S18_S1B_S1C_jS1D_jS1E_S1E_jjS1G_bEUljE0_EEESZ_S10_S11_S18_S1C_S1E_T6_T7_T9_mT8_S1G_bDpT10_ENKUlT_T0_E_clISt17integral_constantIbLb0EES1U_EEDaS1P_S1Q_EUlS1P_E_NS1_11comp_targetILNS1_3genE9ELNS1_11target_archE1100ELNS1_3gpuE3ELNS1_3repE0EEENS1_30default_config_static_selectorELNS0_4arch9wavefront6targetE0EEEvS12_.num_named_barrier, 0
	.set _ZN7rocprim17ROCPRIM_400000_NS6detail17trampoline_kernelINS0_13select_configILj256ELj13ELNS0_17block_load_methodE3ELS4_3ELS4_3ELNS0_20block_scan_algorithmE0ELj4294967295EEENS1_25partition_config_selectorILNS1_17partition_subalgoE4EjNS0_10empty_typeEbEEZZNS1_14partition_implILS8_4ELb0ES6_15HIP_vector_typeIjLj2EENS0_17counting_iteratorIjlEEPS9_SG_NS0_5tupleIJPjSI_NS0_16reverse_iteratorISI_EEEEENSH_IJSG_SG_SG_EEES9_SI_JZNS1_25segmented_radix_sort_implINS0_14default_configELb1EPKsPsPKlPlN2at6native12_GLOBAL__N_18offset_tEEE10hipError_tPvRmT1_PNSt15iterator_traitsIS12_E10value_typeET2_T3_PNS13_IS18_E10value_typeET4_jRbjT5_S1E_jjP12ihipStream_tbEUljE_ZNSN_ISO_Lb1ESQ_SR_ST_SU_SY_EESZ_S10_S11_S12_S16_S17_S18_S1B_S1C_jS1D_jS1E_S1E_jjS1G_bEUljE0_EEESZ_S10_S11_S18_S1C_S1E_T6_T7_T9_mT8_S1G_bDpT10_ENKUlT_T0_E_clISt17integral_constantIbLb0EES1U_EEDaS1P_S1Q_EUlS1P_E_NS1_11comp_targetILNS1_3genE9ELNS1_11target_archE1100ELNS1_3gpuE3ELNS1_3repE0EEENS1_30default_config_static_selectorELNS0_4arch9wavefront6targetE0EEEvS12_.private_seg_size, 0
	.set _ZN7rocprim17ROCPRIM_400000_NS6detail17trampoline_kernelINS0_13select_configILj256ELj13ELNS0_17block_load_methodE3ELS4_3ELS4_3ELNS0_20block_scan_algorithmE0ELj4294967295EEENS1_25partition_config_selectorILNS1_17partition_subalgoE4EjNS0_10empty_typeEbEEZZNS1_14partition_implILS8_4ELb0ES6_15HIP_vector_typeIjLj2EENS0_17counting_iteratorIjlEEPS9_SG_NS0_5tupleIJPjSI_NS0_16reverse_iteratorISI_EEEEENSH_IJSG_SG_SG_EEES9_SI_JZNS1_25segmented_radix_sort_implINS0_14default_configELb1EPKsPsPKlPlN2at6native12_GLOBAL__N_18offset_tEEE10hipError_tPvRmT1_PNSt15iterator_traitsIS12_E10value_typeET2_T3_PNS13_IS18_E10value_typeET4_jRbjT5_S1E_jjP12ihipStream_tbEUljE_ZNSN_ISO_Lb1ESQ_SR_ST_SU_SY_EESZ_S10_S11_S12_S16_S17_S18_S1B_S1C_jS1D_jS1E_S1E_jjS1G_bEUljE0_EEESZ_S10_S11_S18_S1C_S1E_T6_T7_T9_mT8_S1G_bDpT10_ENKUlT_T0_E_clISt17integral_constantIbLb0EES1U_EEDaS1P_S1Q_EUlS1P_E_NS1_11comp_targetILNS1_3genE9ELNS1_11target_archE1100ELNS1_3gpuE3ELNS1_3repE0EEENS1_30default_config_static_selectorELNS0_4arch9wavefront6targetE0EEEvS12_.uses_vcc, 0
	.set _ZN7rocprim17ROCPRIM_400000_NS6detail17trampoline_kernelINS0_13select_configILj256ELj13ELNS0_17block_load_methodE3ELS4_3ELS4_3ELNS0_20block_scan_algorithmE0ELj4294967295EEENS1_25partition_config_selectorILNS1_17partition_subalgoE4EjNS0_10empty_typeEbEEZZNS1_14partition_implILS8_4ELb0ES6_15HIP_vector_typeIjLj2EENS0_17counting_iteratorIjlEEPS9_SG_NS0_5tupleIJPjSI_NS0_16reverse_iteratorISI_EEEEENSH_IJSG_SG_SG_EEES9_SI_JZNS1_25segmented_radix_sort_implINS0_14default_configELb1EPKsPsPKlPlN2at6native12_GLOBAL__N_18offset_tEEE10hipError_tPvRmT1_PNSt15iterator_traitsIS12_E10value_typeET2_T3_PNS13_IS18_E10value_typeET4_jRbjT5_S1E_jjP12ihipStream_tbEUljE_ZNSN_ISO_Lb1ESQ_SR_ST_SU_SY_EESZ_S10_S11_S12_S16_S17_S18_S1B_S1C_jS1D_jS1E_S1E_jjS1G_bEUljE0_EEESZ_S10_S11_S18_S1C_S1E_T6_T7_T9_mT8_S1G_bDpT10_ENKUlT_T0_E_clISt17integral_constantIbLb0EES1U_EEDaS1P_S1Q_EUlS1P_E_NS1_11comp_targetILNS1_3genE9ELNS1_11target_archE1100ELNS1_3gpuE3ELNS1_3repE0EEENS1_30default_config_static_selectorELNS0_4arch9wavefront6targetE0EEEvS12_.uses_flat_scratch, 0
	.set _ZN7rocprim17ROCPRIM_400000_NS6detail17trampoline_kernelINS0_13select_configILj256ELj13ELNS0_17block_load_methodE3ELS4_3ELS4_3ELNS0_20block_scan_algorithmE0ELj4294967295EEENS1_25partition_config_selectorILNS1_17partition_subalgoE4EjNS0_10empty_typeEbEEZZNS1_14partition_implILS8_4ELb0ES6_15HIP_vector_typeIjLj2EENS0_17counting_iteratorIjlEEPS9_SG_NS0_5tupleIJPjSI_NS0_16reverse_iteratorISI_EEEEENSH_IJSG_SG_SG_EEES9_SI_JZNS1_25segmented_radix_sort_implINS0_14default_configELb1EPKsPsPKlPlN2at6native12_GLOBAL__N_18offset_tEEE10hipError_tPvRmT1_PNSt15iterator_traitsIS12_E10value_typeET2_T3_PNS13_IS18_E10value_typeET4_jRbjT5_S1E_jjP12ihipStream_tbEUljE_ZNSN_ISO_Lb1ESQ_SR_ST_SU_SY_EESZ_S10_S11_S12_S16_S17_S18_S1B_S1C_jS1D_jS1E_S1E_jjS1G_bEUljE0_EEESZ_S10_S11_S18_S1C_S1E_T6_T7_T9_mT8_S1G_bDpT10_ENKUlT_T0_E_clISt17integral_constantIbLb0EES1U_EEDaS1P_S1Q_EUlS1P_E_NS1_11comp_targetILNS1_3genE9ELNS1_11target_archE1100ELNS1_3gpuE3ELNS1_3repE0EEENS1_30default_config_static_selectorELNS0_4arch9wavefront6targetE0EEEvS12_.has_dyn_sized_stack, 0
	.set _ZN7rocprim17ROCPRIM_400000_NS6detail17trampoline_kernelINS0_13select_configILj256ELj13ELNS0_17block_load_methodE3ELS4_3ELS4_3ELNS0_20block_scan_algorithmE0ELj4294967295EEENS1_25partition_config_selectorILNS1_17partition_subalgoE4EjNS0_10empty_typeEbEEZZNS1_14partition_implILS8_4ELb0ES6_15HIP_vector_typeIjLj2EENS0_17counting_iteratorIjlEEPS9_SG_NS0_5tupleIJPjSI_NS0_16reverse_iteratorISI_EEEEENSH_IJSG_SG_SG_EEES9_SI_JZNS1_25segmented_radix_sort_implINS0_14default_configELb1EPKsPsPKlPlN2at6native12_GLOBAL__N_18offset_tEEE10hipError_tPvRmT1_PNSt15iterator_traitsIS12_E10value_typeET2_T3_PNS13_IS18_E10value_typeET4_jRbjT5_S1E_jjP12ihipStream_tbEUljE_ZNSN_ISO_Lb1ESQ_SR_ST_SU_SY_EESZ_S10_S11_S12_S16_S17_S18_S1B_S1C_jS1D_jS1E_S1E_jjS1G_bEUljE0_EEESZ_S10_S11_S18_S1C_S1E_T6_T7_T9_mT8_S1G_bDpT10_ENKUlT_T0_E_clISt17integral_constantIbLb0EES1U_EEDaS1P_S1Q_EUlS1P_E_NS1_11comp_targetILNS1_3genE9ELNS1_11target_archE1100ELNS1_3gpuE3ELNS1_3repE0EEENS1_30default_config_static_selectorELNS0_4arch9wavefront6targetE0EEEvS12_.has_recursion, 0
	.set _ZN7rocprim17ROCPRIM_400000_NS6detail17trampoline_kernelINS0_13select_configILj256ELj13ELNS0_17block_load_methodE3ELS4_3ELS4_3ELNS0_20block_scan_algorithmE0ELj4294967295EEENS1_25partition_config_selectorILNS1_17partition_subalgoE4EjNS0_10empty_typeEbEEZZNS1_14partition_implILS8_4ELb0ES6_15HIP_vector_typeIjLj2EENS0_17counting_iteratorIjlEEPS9_SG_NS0_5tupleIJPjSI_NS0_16reverse_iteratorISI_EEEEENSH_IJSG_SG_SG_EEES9_SI_JZNS1_25segmented_radix_sort_implINS0_14default_configELb1EPKsPsPKlPlN2at6native12_GLOBAL__N_18offset_tEEE10hipError_tPvRmT1_PNSt15iterator_traitsIS12_E10value_typeET2_T3_PNS13_IS18_E10value_typeET4_jRbjT5_S1E_jjP12ihipStream_tbEUljE_ZNSN_ISO_Lb1ESQ_SR_ST_SU_SY_EESZ_S10_S11_S12_S16_S17_S18_S1B_S1C_jS1D_jS1E_S1E_jjS1G_bEUljE0_EEESZ_S10_S11_S18_S1C_S1E_T6_T7_T9_mT8_S1G_bDpT10_ENKUlT_T0_E_clISt17integral_constantIbLb0EES1U_EEDaS1P_S1Q_EUlS1P_E_NS1_11comp_targetILNS1_3genE9ELNS1_11target_archE1100ELNS1_3gpuE3ELNS1_3repE0EEENS1_30default_config_static_selectorELNS0_4arch9wavefront6targetE0EEEvS12_.has_indirect_call, 0
	.section	.AMDGPU.csdata,"",@progbits
; Kernel info:
; codeLenInByte = 0
; TotalNumSgprs: 0
; NumVgprs: 0
; ScratchSize: 0
; MemoryBound: 0
; FloatMode: 240
; IeeeMode: 1
; LDSByteSize: 0 bytes/workgroup (compile time only)
; SGPRBlocks: 0
; VGPRBlocks: 0
; NumSGPRsForWavesPerEU: 1
; NumVGPRsForWavesPerEU: 1
; Occupancy: 16
; WaveLimiterHint : 0
; COMPUTE_PGM_RSRC2:SCRATCH_EN: 0
; COMPUTE_PGM_RSRC2:USER_SGPR: 6
; COMPUTE_PGM_RSRC2:TRAP_HANDLER: 0
; COMPUTE_PGM_RSRC2:TGID_X_EN: 1
; COMPUTE_PGM_RSRC2:TGID_Y_EN: 0
; COMPUTE_PGM_RSRC2:TGID_Z_EN: 0
; COMPUTE_PGM_RSRC2:TIDIG_COMP_CNT: 0
	.section	.text._ZN7rocprim17ROCPRIM_400000_NS6detail17trampoline_kernelINS0_13select_configILj256ELj13ELNS0_17block_load_methodE3ELS4_3ELS4_3ELNS0_20block_scan_algorithmE0ELj4294967295EEENS1_25partition_config_selectorILNS1_17partition_subalgoE4EjNS0_10empty_typeEbEEZZNS1_14partition_implILS8_4ELb0ES6_15HIP_vector_typeIjLj2EENS0_17counting_iteratorIjlEEPS9_SG_NS0_5tupleIJPjSI_NS0_16reverse_iteratorISI_EEEEENSH_IJSG_SG_SG_EEES9_SI_JZNS1_25segmented_radix_sort_implINS0_14default_configELb1EPKsPsPKlPlN2at6native12_GLOBAL__N_18offset_tEEE10hipError_tPvRmT1_PNSt15iterator_traitsIS12_E10value_typeET2_T3_PNS13_IS18_E10value_typeET4_jRbjT5_S1E_jjP12ihipStream_tbEUljE_ZNSN_ISO_Lb1ESQ_SR_ST_SU_SY_EESZ_S10_S11_S12_S16_S17_S18_S1B_S1C_jS1D_jS1E_S1E_jjS1G_bEUljE0_EEESZ_S10_S11_S18_S1C_S1E_T6_T7_T9_mT8_S1G_bDpT10_ENKUlT_T0_E_clISt17integral_constantIbLb0EES1U_EEDaS1P_S1Q_EUlS1P_E_NS1_11comp_targetILNS1_3genE8ELNS1_11target_archE1030ELNS1_3gpuE2ELNS1_3repE0EEENS1_30default_config_static_selectorELNS0_4arch9wavefront6targetE0EEEvS12_,"axG",@progbits,_ZN7rocprim17ROCPRIM_400000_NS6detail17trampoline_kernelINS0_13select_configILj256ELj13ELNS0_17block_load_methodE3ELS4_3ELS4_3ELNS0_20block_scan_algorithmE0ELj4294967295EEENS1_25partition_config_selectorILNS1_17partition_subalgoE4EjNS0_10empty_typeEbEEZZNS1_14partition_implILS8_4ELb0ES6_15HIP_vector_typeIjLj2EENS0_17counting_iteratorIjlEEPS9_SG_NS0_5tupleIJPjSI_NS0_16reverse_iteratorISI_EEEEENSH_IJSG_SG_SG_EEES9_SI_JZNS1_25segmented_radix_sort_implINS0_14default_configELb1EPKsPsPKlPlN2at6native12_GLOBAL__N_18offset_tEEE10hipError_tPvRmT1_PNSt15iterator_traitsIS12_E10value_typeET2_T3_PNS13_IS18_E10value_typeET4_jRbjT5_S1E_jjP12ihipStream_tbEUljE_ZNSN_ISO_Lb1ESQ_SR_ST_SU_SY_EESZ_S10_S11_S12_S16_S17_S18_S1B_S1C_jS1D_jS1E_S1E_jjS1G_bEUljE0_EEESZ_S10_S11_S18_S1C_S1E_T6_T7_T9_mT8_S1G_bDpT10_ENKUlT_T0_E_clISt17integral_constantIbLb0EES1U_EEDaS1P_S1Q_EUlS1P_E_NS1_11comp_targetILNS1_3genE8ELNS1_11target_archE1030ELNS1_3gpuE2ELNS1_3repE0EEENS1_30default_config_static_selectorELNS0_4arch9wavefront6targetE0EEEvS12_,comdat
	.globl	_ZN7rocprim17ROCPRIM_400000_NS6detail17trampoline_kernelINS0_13select_configILj256ELj13ELNS0_17block_load_methodE3ELS4_3ELS4_3ELNS0_20block_scan_algorithmE0ELj4294967295EEENS1_25partition_config_selectorILNS1_17partition_subalgoE4EjNS0_10empty_typeEbEEZZNS1_14partition_implILS8_4ELb0ES6_15HIP_vector_typeIjLj2EENS0_17counting_iteratorIjlEEPS9_SG_NS0_5tupleIJPjSI_NS0_16reverse_iteratorISI_EEEEENSH_IJSG_SG_SG_EEES9_SI_JZNS1_25segmented_radix_sort_implINS0_14default_configELb1EPKsPsPKlPlN2at6native12_GLOBAL__N_18offset_tEEE10hipError_tPvRmT1_PNSt15iterator_traitsIS12_E10value_typeET2_T3_PNS13_IS18_E10value_typeET4_jRbjT5_S1E_jjP12ihipStream_tbEUljE_ZNSN_ISO_Lb1ESQ_SR_ST_SU_SY_EESZ_S10_S11_S12_S16_S17_S18_S1B_S1C_jS1D_jS1E_S1E_jjS1G_bEUljE0_EEESZ_S10_S11_S18_S1C_S1E_T6_T7_T9_mT8_S1G_bDpT10_ENKUlT_T0_E_clISt17integral_constantIbLb0EES1U_EEDaS1P_S1Q_EUlS1P_E_NS1_11comp_targetILNS1_3genE8ELNS1_11target_archE1030ELNS1_3gpuE2ELNS1_3repE0EEENS1_30default_config_static_selectorELNS0_4arch9wavefront6targetE0EEEvS12_ ; -- Begin function _ZN7rocprim17ROCPRIM_400000_NS6detail17trampoline_kernelINS0_13select_configILj256ELj13ELNS0_17block_load_methodE3ELS4_3ELS4_3ELNS0_20block_scan_algorithmE0ELj4294967295EEENS1_25partition_config_selectorILNS1_17partition_subalgoE4EjNS0_10empty_typeEbEEZZNS1_14partition_implILS8_4ELb0ES6_15HIP_vector_typeIjLj2EENS0_17counting_iteratorIjlEEPS9_SG_NS0_5tupleIJPjSI_NS0_16reverse_iteratorISI_EEEEENSH_IJSG_SG_SG_EEES9_SI_JZNS1_25segmented_radix_sort_implINS0_14default_configELb1EPKsPsPKlPlN2at6native12_GLOBAL__N_18offset_tEEE10hipError_tPvRmT1_PNSt15iterator_traitsIS12_E10value_typeET2_T3_PNS13_IS18_E10value_typeET4_jRbjT5_S1E_jjP12ihipStream_tbEUljE_ZNSN_ISO_Lb1ESQ_SR_ST_SU_SY_EESZ_S10_S11_S12_S16_S17_S18_S1B_S1C_jS1D_jS1E_S1E_jjS1G_bEUljE0_EEESZ_S10_S11_S18_S1C_S1E_T6_T7_T9_mT8_S1G_bDpT10_ENKUlT_T0_E_clISt17integral_constantIbLb0EES1U_EEDaS1P_S1Q_EUlS1P_E_NS1_11comp_targetILNS1_3genE8ELNS1_11target_archE1030ELNS1_3gpuE2ELNS1_3repE0EEENS1_30default_config_static_selectorELNS0_4arch9wavefront6targetE0EEEvS12_
	.p2align	8
	.type	_ZN7rocprim17ROCPRIM_400000_NS6detail17trampoline_kernelINS0_13select_configILj256ELj13ELNS0_17block_load_methodE3ELS4_3ELS4_3ELNS0_20block_scan_algorithmE0ELj4294967295EEENS1_25partition_config_selectorILNS1_17partition_subalgoE4EjNS0_10empty_typeEbEEZZNS1_14partition_implILS8_4ELb0ES6_15HIP_vector_typeIjLj2EENS0_17counting_iteratorIjlEEPS9_SG_NS0_5tupleIJPjSI_NS0_16reverse_iteratorISI_EEEEENSH_IJSG_SG_SG_EEES9_SI_JZNS1_25segmented_radix_sort_implINS0_14default_configELb1EPKsPsPKlPlN2at6native12_GLOBAL__N_18offset_tEEE10hipError_tPvRmT1_PNSt15iterator_traitsIS12_E10value_typeET2_T3_PNS13_IS18_E10value_typeET4_jRbjT5_S1E_jjP12ihipStream_tbEUljE_ZNSN_ISO_Lb1ESQ_SR_ST_SU_SY_EESZ_S10_S11_S12_S16_S17_S18_S1B_S1C_jS1D_jS1E_S1E_jjS1G_bEUljE0_EEESZ_S10_S11_S18_S1C_S1E_T6_T7_T9_mT8_S1G_bDpT10_ENKUlT_T0_E_clISt17integral_constantIbLb0EES1U_EEDaS1P_S1Q_EUlS1P_E_NS1_11comp_targetILNS1_3genE8ELNS1_11target_archE1030ELNS1_3gpuE2ELNS1_3repE0EEENS1_30default_config_static_selectorELNS0_4arch9wavefront6targetE0EEEvS12_,@function
_ZN7rocprim17ROCPRIM_400000_NS6detail17trampoline_kernelINS0_13select_configILj256ELj13ELNS0_17block_load_methodE3ELS4_3ELS4_3ELNS0_20block_scan_algorithmE0ELj4294967295EEENS1_25partition_config_selectorILNS1_17partition_subalgoE4EjNS0_10empty_typeEbEEZZNS1_14partition_implILS8_4ELb0ES6_15HIP_vector_typeIjLj2EENS0_17counting_iteratorIjlEEPS9_SG_NS0_5tupleIJPjSI_NS0_16reverse_iteratorISI_EEEEENSH_IJSG_SG_SG_EEES9_SI_JZNS1_25segmented_radix_sort_implINS0_14default_configELb1EPKsPsPKlPlN2at6native12_GLOBAL__N_18offset_tEEE10hipError_tPvRmT1_PNSt15iterator_traitsIS12_E10value_typeET2_T3_PNS13_IS18_E10value_typeET4_jRbjT5_S1E_jjP12ihipStream_tbEUljE_ZNSN_ISO_Lb1ESQ_SR_ST_SU_SY_EESZ_S10_S11_S12_S16_S17_S18_S1B_S1C_jS1D_jS1E_S1E_jjS1G_bEUljE0_EEESZ_S10_S11_S18_S1C_S1E_T6_T7_T9_mT8_S1G_bDpT10_ENKUlT_T0_E_clISt17integral_constantIbLb0EES1U_EEDaS1P_S1Q_EUlS1P_E_NS1_11comp_targetILNS1_3genE8ELNS1_11target_archE1030ELNS1_3gpuE2ELNS1_3repE0EEENS1_30default_config_static_selectorELNS0_4arch9wavefront6targetE0EEEvS12_: ; @_ZN7rocprim17ROCPRIM_400000_NS6detail17trampoline_kernelINS0_13select_configILj256ELj13ELNS0_17block_load_methodE3ELS4_3ELS4_3ELNS0_20block_scan_algorithmE0ELj4294967295EEENS1_25partition_config_selectorILNS1_17partition_subalgoE4EjNS0_10empty_typeEbEEZZNS1_14partition_implILS8_4ELb0ES6_15HIP_vector_typeIjLj2EENS0_17counting_iteratorIjlEEPS9_SG_NS0_5tupleIJPjSI_NS0_16reverse_iteratorISI_EEEEENSH_IJSG_SG_SG_EEES9_SI_JZNS1_25segmented_radix_sort_implINS0_14default_configELb1EPKsPsPKlPlN2at6native12_GLOBAL__N_18offset_tEEE10hipError_tPvRmT1_PNSt15iterator_traitsIS12_E10value_typeET2_T3_PNS13_IS18_E10value_typeET4_jRbjT5_S1E_jjP12ihipStream_tbEUljE_ZNSN_ISO_Lb1ESQ_SR_ST_SU_SY_EESZ_S10_S11_S12_S16_S17_S18_S1B_S1C_jS1D_jS1E_S1E_jjS1G_bEUljE0_EEESZ_S10_S11_S18_S1C_S1E_T6_T7_T9_mT8_S1G_bDpT10_ENKUlT_T0_E_clISt17integral_constantIbLb0EES1U_EEDaS1P_S1Q_EUlS1P_E_NS1_11comp_targetILNS1_3genE8ELNS1_11target_archE1030ELNS1_3gpuE2ELNS1_3repE0EEENS1_30default_config_static_selectorELNS0_4arch9wavefront6targetE0EEEvS12_
; %bb.0:
	s_clause 0x6
	s_load_dword s3, s[4:5], 0x80
	s_load_dwordx2 s[34:35], s[4:5], 0x10
	s_load_dwordx2 s[0:1], s[4:5], 0x68
	s_load_dword s7, s[4:5], 0x8
	s_load_dwordx4 s[24:27], s[4:5], 0x58
	s_load_dwordx2 s[40:41], s[4:5], 0xa8
	s_load_dwordx8 s[16:23], s[4:5], 0x88
	s_mul_i32 s42, s6, 0xd00
	s_waitcnt lgkmcnt(0)
	s_mul_i32 s2, s3, 0xd00
	s_add_i32 s3, s3, -1
	s_add_u32 s8, s34, s2
	s_addc_u32 s9, s35, 0
	s_load_dwordx4 s[28:31], s[26:27], 0x0
	s_cmp_eq_u32 s6, s3
	v_cmp_gt_u64_e64 s1, s[0:1], s[8:9]
	s_cselect_b32 s33, -1, 0
	s_cmp_lg_u32 s6, s3
	s_cselect_b32 s3, -1, 0
	s_add_i32 s7, s7, s42
	s_or_b32 s1, s3, s1
	s_add_i32 s7, s7, s34
	s_and_b32 vcc_lo, exec_lo, s1
	v_add_nc_u32_e32 v1, s7, v0
	s_mov_b32 s3, -1
	v_add_nc_u32_e32 v2, 0x100, v1
	v_add_nc_u32_e32 v3, 0x200, v1
	;; [unrolled: 1-line block ×12, first 2 shown]
	s_cbranch_vccz .LBB848_2
; %bb.1:
	v_lshlrev_b32_e32 v14, 2, v0
	s_mov_b32 s3, 0
	ds_write2st64_b32 v14, v1, v2 offset1:4
	ds_write2st64_b32 v14, v3, v4 offset0:8 offset1:12
	ds_write2st64_b32 v14, v5, v6 offset0:16 offset1:20
	ds_write2st64_b32 v14, v7, v8 offset0:24 offset1:28
	ds_write2st64_b32 v14, v9, v10 offset0:32 offset1:36
	ds_write2st64_b32 v14, v11, v12 offset0:40 offset1:44
	ds_write_b32 v14, v13 offset:12288
	s_waitcnt lgkmcnt(0)
	s_barrier
.LBB848_2:
	s_andn2_b32 vcc_lo, exec_lo, s3
	s_add_i32 s2, s2, s34
	s_cbranch_vccnz .LBB848_4
; %bb.3:
	v_lshlrev_b32_e32 v14, 2, v0
	ds_write2st64_b32 v14, v1, v2 offset1:4
	ds_write2st64_b32 v14, v3, v4 offset0:8 offset1:12
	ds_write2st64_b32 v14, v5, v6 offset0:16 offset1:20
	;; [unrolled: 1-line block ×5, first 2 shown]
	ds_write_b32 v14, v13 offset:12288
	s_waitcnt lgkmcnt(0)
	s_barrier
.LBB848_4:
	v_mul_u32_u24_e32 v29, 13, v0
	s_clause 0x1
	s_load_dwordx4 s[36:39], s[4:5], 0x28
	s_load_dwordx2 s[26:27], s[4:5], 0x38
	s_waitcnt lgkmcnt(0)
	buffer_gl0_inv
	v_cndmask_b32_e64 v27, 0, 1, s1
	s_sub_i32 s43, s0, s2
	v_lshlrev_b32_e32 v1, 2, v29
	s_andn2_b32 vcc_lo, exec_lo, s1
	ds_read_b32 v28, v1 offset:48
	ds_read2_b32 v[9:10], v1 offset0:10 offset1:11
	ds_read2_b32 v[11:12], v1 offset0:8 offset1:9
	;; [unrolled: 1-line block ×4, first 2 shown]
	ds_read2_b32 v[19:20], v1 offset1:1
	ds_read2_b32 v[17:18], v1 offset0:2 offset1:3
	s_waitcnt lgkmcnt(0)
	s_barrier
	buffer_gl0_inv
	s_cbranch_vccnz .LBB848_32
; %bb.5:
	v_add_nc_u32_e32 v1, s17, v19
	v_add_nc_u32_e32 v2, s19, v19
	s_mov_b32 s45, 0
	s_mov_b32 s44, 0
	s_mov_b32 s1, exec_lo
	v_mul_lo_u32 v1, v1, s16
	v_mul_lo_u32 v2, v2, s18
	v_sub_nc_u32_e32 v1, v1, v2
	v_cmp_lt_u32_e32 vcc_lo, s20, v1
	v_cmpx_ge_u32_e64 s20, v1
	s_cbranch_execz .LBB848_7
; %bb.6:
	v_add_nc_u32_e32 v1, s22, v19
	v_add_nc_u32_e32 v2, s40, v19
	v_mul_lo_u32 v1, v1, s21
	v_mul_lo_u32 v2, v2, s23
	v_sub_nc_u32_e32 v1, v1, v2
	v_cmp_lt_u32_e64 s0, s41, v1
	s_and_b32 s44, s0, exec_lo
.LBB848_7:
	s_or_b32 exec_lo, exec_lo, s1
	v_add_nc_u32_e32 v1, s17, v20
	v_add_nc_u32_e32 v2, s19, v20
	s_mov_b32 s2, exec_lo
	v_mul_lo_u32 v1, v1, s16
	v_mul_lo_u32 v2, v2, s18
	v_sub_nc_u32_e32 v1, v1, v2
	v_cmp_lt_u32_e64 s0, s20, v1
	v_cmpx_ge_u32_e64 s20, v1
	s_cbranch_execz .LBB848_9
; %bb.8:
	v_add_nc_u32_e32 v1, s22, v20
	v_add_nc_u32_e32 v2, s40, v20
	v_mul_lo_u32 v1, v1, s21
	v_mul_lo_u32 v2, v2, s23
	v_sub_nc_u32_e32 v1, v1, v2
	v_cmp_lt_u32_e64 s1, s41, v1
	s_and_b32 s45, s1, exec_lo
.LBB848_9:
	s_or_b32 exec_lo, exec_lo, s2
	v_add_nc_u32_e32 v1, s17, v17
	v_add_nc_u32_e32 v2, s19, v17
	s_mov_b32 s47, 0
	s_mov_b32 s46, 0
	s_mov_b32 s3, exec_lo
	v_mul_lo_u32 v1, v1, s16
	v_mul_lo_u32 v2, v2, s18
	v_sub_nc_u32_e32 v1, v1, v2
	v_cmp_lt_u32_e64 s1, s20, v1
	v_cmpx_ge_u32_e64 s20, v1
	s_cbranch_execz .LBB848_11
; %bb.10:
	v_add_nc_u32_e32 v1, s22, v17
	v_add_nc_u32_e32 v2, s40, v17
	v_mul_lo_u32 v1, v1, s21
	v_mul_lo_u32 v2, v2, s23
	v_sub_nc_u32_e32 v1, v1, v2
	v_cmp_lt_u32_e64 s2, s41, v1
	s_and_b32 s46, s2, exec_lo
.LBB848_11:
	s_or_b32 exec_lo, exec_lo, s3
	v_add_nc_u32_e32 v1, s17, v18
	v_add_nc_u32_e32 v2, s19, v18
	s_mov_b32 s7, exec_lo
	v_mul_lo_u32 v1, v1, s16
	v_mul_lo_u32 v2, v2, s18
	v_sub_nc_u32_e32 v1, v1, v2
	v_cmp_lt_u32_e64 s2, s20, v1
	v_cmpx_ge_u32_e64 s20, v1
	s_cbranch_execz .LBB848_13
; %bb.12:
	v_add_nc_u32_e32 v1, s22, v18
	v_add_nc_u32_e32 v2, s40, v18
	v_mul_lo_u32 v1, v1, s21
	v_mul_lo_u32 v2, v2, s23
	v_sub_nc_u32_e32 v1, v1, v2
	v_cmp_lt_u32_e64 s3, s41, v1
	s_and_b32 s47, s3, exec_lo
.LBB848_13:
	s_or_b32 exec_lo, exec_lo, s7
	v_add_nc_u32_e32 v1, s17, v15
	v_add_nc_u32_e32 v2, s19, v15
	s_mov_b32 s49, 0
	s_mov_b32 s48, 0
	s_mov_b32 s8, exec_lo
	v_mul_lo_u32 v1, v1, s16
	v_mul_lo_u32 v2, v2, s18
	v_sub_nc_u32_e32 v1, v1, v2
	v_cmp_lt_u32_e64 s3, s20, v1
	;; [unrolled: 40-line block ×6, first 2 shown]
	v_cmpx_ge_u32_e64 s20, v1
	s_cbranch_execz .LBB848_31
; %bb.30:
	v_add_nc_u32_e32 v1, s22, v28
	v_add_nc_u32_e32 v2, s40, v28
	v_mul_lo_u32 v1, v1, s21
	v_mul_lo_u32 v2, v2, s23
	v_sub_nc_u32_e32 v1, v1, v2
	v_cmp_lt_u32_e64 s15, s41, v1
	s_and_b32 s57, s15, exec_lo
.LBB848_31:
	s_or_b32 exec_lo, exec_lo, s58
	v_cndmask_b32_e64 v2, 0, 1, s0
	v_cndmask_b32_e64 v4, 0, 1, s2
	v_cndmask_b32_e64 v1, 0, 1, vcc_lo
	v_cndmask_b32_e64 v3, 0, 1, s1
	v_cndmask_b32_e64 v6, 0, 1, s7
	v_lshlrev_b16 v2, 8, v2
	v_lshlrev_b16 v4, 8, v4
	v_cndmask_b32_e64 v8, 0, 1, s9
	v_cndmask_b32_e64 v22, 0, 1, s11
	;; [unrolled: 1-line block ×3, first 2 shown]
	v_or_b32_e32 v1, v1, v2
	v_or_b32_sdwa v2, v3, v4 dst_sel:WORD_1 dst_unused:UNUSED_PAD src0_sel:DWORD src1_sel:DWORD
	v_cndmask_b32_e64 v3, 0, 1, s44
	v_cndmask_b32_e64 v5, 0, 1, s3
	;; [unrolled: 1-line block ×11, first 2 shown]
	v_or_b32_sdwa v30, v1, v2 dst_sel:DWORD dst_unused:UNUSED_PAD src0_sel:WORD_0 src1_sel:DWORD
	v_lshlrev_b16 v1, 8, v6
	v_lshlrev_b16 v2, 8, v8
	;; [unrolled: 1-line block ×5, first 2 shown]
	v_cndmask_b32_e64 v26, 0, 1, s53
	v_cndmask_b32_e64 v32, 0, 1, s51
	v_cndmask_b32_e64 v35, 0, 1, s49
	v_cndmask_b32_e64 v38, 0, 1, s47
	v_cndmask_b32_e64 v40, 0, 1, s45
	v_or_b32_e32 v1, v5, v1
	v_or_b32_sdwa v2, v7, v2 dst_sel:WORD_1 dst_unused:UNUSED_PAD src0_sel:DWORD src1_sel:DWORD
	v_or_b32_e32 v5, v21, v6
	v_or_b32_sdwa v6, v23, v8 dst_sel:WORD_1 dst_unused:UNUSED_PAD src0_sel:DWORD src1_sel:DWORD
	v_or_b32_e32 v3, v4, v3
	v_lshlrev_b16 v4, 8, v39
	v_lshlrev_b16 v7, 8, v36
	;; [unrolled: 1-line block ×5, first 2 shown]
	v_or_b32_sdwa v4, v40, v4 dst_sel:WORD_1 dst_unused:UNUSED_PAD src0_sel:DWORD src1_sel:DWORD
	v_or_b32_e32 v7, v38, v7
	v_or_b32_sdwa v8, v35, v8 dst_sel:WORD_1 dst_unused:UNUSED_PAD src0_sel:DWORD src1_sel:DWORD
	v_or_b32_e32 v21, v32, v21
	v_or_b32_sdwa v22, v26, v22 dst_sel:WORD_1 dst_unused:UNUSED_PAD src0_sel:DWORD src1_sel:DWORD
	v_cndmask_b32_e64 v34, 0, 1, s55
	v_cndmask_b32_e64 v37, 0, 1, s57
	v_or_b32_sdwa v32, v1, v2 dst_sel:DWORD dst_unused:UNUSED_PAD src0_sel:WORD_0 src1_sel:DWORD
	v_or_b32_sdwa v35, v5, v6 dst_sel:DWORD dst_unused:UNUSED_PAD src0_sel:WORD_0 src1_sel:DWORD
	;; [unrolled: 1-line block ×5, first 2 shown]
	s_load_dwordx2 s[4:5], s[4:5], 0x78
	s_and_b32 vcc_lo, exec_lo, s54
	s_add_i32 s7, s43, 0xd00
	s_cbranch_vccnz .LBB848_33
	s_branch .LBB848_110
.LBB848_32:
                                        ; implicit-def: $vgpr37
                                        ; implicit-def: $vgpr34
                                        ; implicit-def: $vgpr33
                                        ; implicit-def: $vgpr31
                                        ; implicit-def: $vgpr36
                                        ; implicit-def: $vgpr35
                                        ; implicit-def: $vgpr32
                                        ; implicit-def: $vgpr30
	s_load_dwordx2 s[4:5], s[4:5], 0x78
	s_add_i32 s7, s43, 0xd00
	s_cbranch_execz .LBB848_110
.LBB848_33:
	v_mov_b32_e32 v2, 0
	v_mov_b32_e32 v1, 0
	s_mov_b32 s1, exec_lo
	v_cmpx_gt_u32_e64 s7, v29
	s_cbranch_execz .LBB848_37
; %bb.34:
	v_add_nc_u32_e32 v1, s17, v19
	v_add_nc_u32_e32 v2, s19, v19
	s_mov_b32 s3, 0
	s_mov_b32 s2, exec_lo
	v_mul_lo_u32 v1, v1, s16
	v_mul_lo_u32 v2, v2, s18
	v_sub_nc_u32_e32 v1, v1, v2
	v_cmp_lt_u32_e32 vcc_lo, s20, v1
	v_cmpx_ge_u32_e64 s20, v1
	s_cbranch_execz .LBB848_36
; %bb.35:
	v_add_nc_u32_e32 v1, s22, v19
	v_add_nc_u32_e32 v2, s40, v19
	v_mul_lo_u32 v1, v1, s21
	v_mul_lo_u32 v2, v2, s23
	v_sub_nc_u32_e32 v1, v1, v2
	v_cmp_lt_u32_e64 s0, s41, v1
	s_and_b32 s3, s0, exec_lo
.LBB848_36:
	s_or_b32 exec_lo, exec_lo, s2
	v_cndmask_b32_e64 v2, 0, 1, s3
	v_cndmask_b32_e64 v1, 0, 1, vcc_lo
.LBB848_37:
	s_or_b32 exec_lo, exec_lo, s1
	v_add_nc_u32_e32 v3, 1, v29
	v_lshlrev_b16 v21, 8, v2
	v_and_b32_e32 v6, 0xff, v1
	v_lshlrev_b16 v7, 8, 0
                                        ; implicit-def: $vgpr5
                                        ; implicit-def: $vgpr8
                                        ; implicit-def: $vgpr2
                                        ; implicit-def: $vgpr4
	v_cmp_le_u32_e32 vcc_lo, s7, v3
                                        ; implicit-def: $vgpr3
	s_and_saveexec_b32 s0, vcc_lo
	s_xor_b32 s0, exec_lo, s0
	s_cbranch_execz .LBB848_39
; %bb.38:
	v_mov_b32_e32 v1, 8
	v_mov_b32_e32 v2, 0xff
	;; [unrolled: 1-line block ×3, first 2 shown]
	v_and_b32_e32 v4, 0xffff, v7
	v_and_b32_e32 v3, 0xffff, v7
	v_lshrrev_b32_sdwa v1, v1, v21 dst_sel:BYTE_1 dst_unused:UNUSED_PAD src0_sel:DWORD src1_sel:WORD_0
	v_and_b32_sdwa v2, v21, v2 dst_sel:DWORD dst_unused:UNUSED_PAD src0_sel:WORD_0 src1_sel:DWORD
                                        ; implicit-def: $vgpr21
	v_or_b32_e32 v1, v2, v1
	v_and_b32_e32 v2, 0xffff, v7
                                        ; implicit-def: $vgpr7
	v_and_b32_e32 v8, 0xffff, v1
                                        ; implicit-def: $vgpr1
.LBB848_39:
	s_andn2_saveexec_b32 s1, s0
	s_cbranch_execz .LBB848_43
; %bb.40:
	v_add_nc_u32_e32 v2, s17, v20
	v_add_nc_u32_e32 v3, s19, v20
	s_mov_b32 s2, 0
	s_mov_b32 s3, exec_lo
	v_mul_lo_u32 v2, v2, s16
	v_mul_lo_u32 v3, v3, s18
	v_sub_nc_u32_e32 v2, v2, v3
	v_cmp_lt_u32_e32 vcc_lo, s20, v2
	v_cmpx_ge_u32_e64 s20, v2
	s_cbranch_execz .LBB848_42
; %bb.41:
	v_add_nc_u32_e32 v2, s22, v20
	v_add_nc_u32_e32 v3, s40, v20
	v_mul_lo_u32 v2, v2, s21
	v_mul_lo_u32 v3, v3, s23
	v_sub_nc_u32_e32 v2, v2, v3
	v_cmp_lt_u32_e64 s0, s41, v2
	s_and_b32 s2, s0, exec_lo
.LBB848_42:
	s_or_b32 exec_lo, exec_lo, s3
	v_mov_b32_e32 v2, 0xff
	v_mov_b32_e32 v3, 8
	v_cndmask_b32_e64 v4, 0, 1, vcc_lo
	v_mov_b32_e32 v5, 0
	v_and_b32_sdwa v2, v21, v2 dst_sel:DWORD dst_unused:UNUSED_PAD src0_sel:WORD_0 src1_sel:DWORD
	v_lshrrev_b32_sdwa v3, v3, v21 dst_sel:BYTE_1 dst_unused:UNUSED_PAD src0_sel:DWORD src1_sel:WORD_0
	v_lshlrev_b16 v4, 8, v4
	v_or_b32_e32 v2, v2, v3
	v_cndmask_b32_e64 v3, 0, 1, s2
	v_or_b32_sdwa v1, v1, v4 dst_sel:DWORD dst_unused:UNUSED_PAD src0_sel:BYTE_0 src1_sel:DWORD
	v_and_b32_e32 v4, 0xffff, v7
	v_and_b32_e32 v8, 0xffff, v2
	v_mov_b32_e32 v2, 0
	v_and_b32_e32 v6, 0xffff, v1
	v_lshl_or_b32 v8, v3, 16, v8
	v_and_b32_e32 v3, 0xffff, v7
.LBB848_43:
	s_or_b32 exec_lo, exec_lo, s1
	v_add_nc_u32_e32 v1, 2, v29
                                        ; implicit-def: $vgpr7
	v_cmp_le_u32_e32 vcc_lo, s7, v1
                                        ; implicit-def: $vgpr1
	s_and_saveexec_b32 s0, vcc_lo
	s_xor_b32 s0, exec_lo, s0
	s_cbranch_execz .LBB848_45
; %bb.44:
	v_lshrrev_b32_e32 v1, 24, v6
	v_mov_b32_e32 v7, 8
	v_and_b32_e32 v21, 0xff0000, v8
	v_perm_b32 v4, v4, v4, 0x3060504
	v_perm_b32 v1, v1, v6, 0x40c0100
	v_lshrrev_b32_sdwa v6, v7, v1 dst_sel:BYTE_1 dst_unused:UNUSED_PAD src0_sel:DWORD src1_sel:DWORD
	v_or_b32_sdwa v6, v1, v6 dst_sel:DWORD dst_unused:UNUSED_PAD src0_sel:BYTE_0 src1_sel:DWORD
	v_and_b32_e32 v6, 0xffff, v6
	v_and_or_b32 v7, 0xff000000, v1, v6
	v_perm_b32 v1, v8, v21, 0x3020504
                                        ; implicit-def: $vgpr6
                                        ; implicit-def: $vgpr8
.LBB848_45:
	s_andn2_saveexec_b32 s1, s0
	s_cbranch_execz .LBB848_49
; %bb.46:
	v_add_nc_u32_e32 v1, s17, v17
	v_add_nc_u32_e32 v7, s19, v17
	s_mov_b32 s2, 0
	s_mov_b32 s3, exec_lo
	v_mul_lo_u32 v1, v1, s16
	v_mul_lo_u32 v7, v7, s18
	v_sub_nc_u32_e32 v1, v1, v7
	v_cmp_lt_u32_e32 vcc_lo, s20, v1
	v_cmpx_ge_u32_e64 s20, v1
	s_cbranch_execz .LBB848_48
; %bb.47:
	v_add_nc_u32_e32 v1, s22, v17
	v_add_nc_u32_e32 v7, s40, v17
	v_mul_lo_u32 v1, v1, s21
	v_mul_lo_u32 v7, v7, s23
	v_sub_nc_u32_e32 v1, v1, v7
	v_cmp_lt_u32_e64 s0, s41, v1
	s_and_b32 s2, s0, exec_lo
.LBB848_48:
	s_or_b32 exec_lo, exec_lo, s3
	v_mov_b32_e32 v1, 8
	v_mov_b32_e32 v7, 24
	v_cndmask_b32_e64 v22, 0, 1, s2
	v_mov_b32_e32 v23, 0xff
	v_cndmask_b32_e64 v21, 0, 1, vcc_lo
	v_lshrrev_b32_sdwa v24, v1, v6 dst_sel:BYTE_1 dst_unused:UNUSED_PAD src0_sel:DWORD src1_sel:DWORD
	v_lshrrev_b32_sdwa v7, v7, v6 dst_sel:BYTE_1 dst_unused:UNUSED_PAD src0_sel:DWORD src1_sel:DWORD
	;; [unrolled: 1-line block ×3, first 2 shown]
	v_lshlrev_b16 v22, 8, v22
	v_and_b32_sdwa v23, v8, v23 dst_sel:DWORD dst_unused:UNUSED_PAD src0_sel:WORD_1 src1_sel:DWORD
	v_or_b32_sdwa v6, v6, v24 dst_sel:DWORD dst_unused:UNUSED_PAD src0_sel:BYTE_0 src1_sel:DWORD
	v_or_b32_sdwa v7, v21, v7 dst_sel:WORD_1 dst_unused:UNUSED_PAD src0_sel:DWORD src1_sel:DWORD
	v_or_b32_sdwa v1, v8, v1 dst_sel:DWORD dst_unused:UNUSED_PAD src0_sel:BYTE_0 src1_sel:DWORD
	v_or_b32_sdwa v8, v23, v22 dst_sel:WORD_1 dst_unused:UNUSED_PAD src0_sel:DWORD src1_sel:DWORD
	v_or_b32_sdwa v7, v6, v7 dst_sel:DWORD dst_unused:UNUSED_PAD src0_sel:WORD_0 src1_sel:DWORD
	v_or_b32_sdwa v1, v1, v8 dst_sel:DWORD dst_unused:UNUSED_PAD src0_sel:WORD_0 src1_sel:DWORD
.LBB848_49:
	s_or_b32 exec_lo, exec_lo, s1
	v_add_nc_u32_e32 v6, 3, v29
                                        ; implicit-def: $vgpr30
	v_cmp_le_u32_e32 vcc_lo, s7, v6
                                        ; implicit-def: $vgpr6
	s_and_saveexec_b32 s0, vcc_lo
	s_xor_b32 s0, exec_lo, s0
	s_cbranch_execz .LBB848_51
; %bb.50:
	v_mov_b32_e32 v6, 24
	v_mov_b32_e32 v8, 0xff
	;; [unrolled: 1-line block ×3, first 2 shown]
	v_and_b32_e32 v22, 0xff0000, v7
	v_perm_b32 v4, v4, v4, 0x3060504
	v_lshrrev_b32_sdwa v6, v6, v5 dst_sel:BYTE_1 dst_unused:UNUSED_PAD src0_sel:DWORD src1_sel:DWORD
	v_and_b32_sdwa v8, v5, v8 dst_sel:DWORD dst_unused:UNUSED_PAD src0_sel:WORD_1 src1_sel:DWORD
	v_lshrrev_b32_sdwa v5, v21, v5 dst_sel:BYTE_1 dst_unused:UNUSED_PAD src0_sel:DWORD src1_sel:DWORD
	v_perm_b32 v30, v7, v22, 0x3020504
	v_perm_b32 v3, v3, v3, 0x3060504
                                        ; implicit-def: $vgpr7
	v_or_b32_sdwa v6, v8, v6 dst_sel:WORD_1 dst_unused:UNUSED_PAD src0_sel:DWORD src1_sel:DWORD
	v_or_b32_sdwa v6, v5, v6 dst_sel:DWORD dst_unused:UNUSED_PAD src0_sel:WORD_0 src1_sel:DWORD
                                        ; implicit-def: $vgpr5
.LBB848_51:
	s_andn2_saveexec_b32 s1, s0
	s_cbranch_execz .LBB848_55
; %bb.52:
	v_add_nc_u32_e32 v6, s17, v18
	v_add_nc_u32_e32 v8, s19, v18
	s_mov_b32 s2, 0
	s_mov_b32 s3, exec_lo
	v_mul_lo_u32 v6, v6, s16
	v_mul_lo_u32 v8, v8, s18
	v_sub_nc_u32_e32 v6, v6, v8
	v_cmp_lt_u32_e32 vcc_lo, s20, v6
	v_cmpx_ge_u32_e64 s20, v6
	s_cbranch_execz .LBB848_54
; %bb.53:
	v_add_nc_u32_e32 v6, s22, v18
	v_add_nc_u32_e32 v8, s40, v18
	v_mul_lo_u32 v6, v6, s21
	v_mul_lo_u32 v8, v8, s23
	v_sub_nc_u32_e32 v6, v6, v8
	v_cmp_lt_u32_e64 s0, s41, v6
	s_and_b32 s2, s0, exec_lo
.LBB848_54:
	s_or_b32 exec_lo, exec_lo, s3
	v_mov_b32_e32 v6, 8
	v_cndmask_b32_e64 v8, 0, 1, vcc_lo
	v_mov_b32_e32 v21, 0xff
	v_mov_b32_e32 v22, 24
	v_cndmask_b32_e64 v23, 0, 1, s2
	v_lshrrev_b32_sdwa v24, v6, v7 dst_sel:BYTE_1 dst_unused:UNUSED_PAD src0_sel:DWORD src1_sel:DWORD
	v_lshlrev_b16 v8, 8, v8
	v_and_b32_sdwa v25, v7, v21 dst_sel:DWORD dst_unused:UNUSED_PAD src0_sel:WORD_1 src1_sel:DWORD
	v_lshrrev_b32_sdwa v22, v22, v5 dst_sel:BYTE_1 dst_unused:UNUSED_PAD src0_sel:DWORD src1_sel:DWORD
	v_and_b32_sdwa v21, v5, v21 dst_sel:DWORD dst_unused:UNUSED_PAD src0_sel:WORD_1 src1_sel:DWORD
	v_lshrrev_b32_sdwa v5, v6, v5 dst_sel:BYTE_1 dst_unused:UNUSED_PAD src0_sel:DWORD src1_sel:DWORD
	v_or_b32_sdwa v6, v7, v24 dst_sel:DWORD dst_unused:UNUSED_PAD src0_sel:BYTE_0 src1_sel:DWORD
	v_or_b32_sdwa v7, v25, v8 dst_sel:WORD_1 dst_unused:UNUSED_PAD src0_sel:DWORD src1_sel:DWORD
	v_or_b32_sdwa v8, v21, v22 dst_sel:WORD_1 dst_unused:UNUSED_PAD src0_sel:DWORD src1_sel:DWORD
	v_or_b32_e32 v5, v23, v5
	v_or_b32_sdwa v30, v6, v7 dst_sel:DWORD dst_unused:UNUSED_PAD src0_sel:WORD_0 src1_sel:DWORD
	v_or_b32_sdwa v6, v5, v8 dst_sel:DWORD dst_unused:UNUSED_PAD src0_sel:WORD_0 src1_sel:DWORD
.LBB848_55:
	s_or_b32 exec_lo, exec_lo, s1
	v_add_nc_u32_e32 v5, 4, v29
                                        ; implicit-def: $vgpr7
	v_cmp_le_u32_e32 vcc_lo, s7, v5
                                        ; implicit-def: $vgpr5
	s_and_saveexec_b32 s0, vcc_lo
	s_xor_b32 s0, exec_lo, s0
	s_cbranch_execz .LBB848_57
; %bb.56:
	v_mov_b32_e32 v5, 24
	v_mov_b32_e32 v7, 0xff
	;; [unrolled: 1-line block ×3, first 2 shown]
	v_perm_b32 v3, v3, v3, 0x3060504
	v_lshrrev_b32_sdwa v21, v5, v4 dst_sel:BYTE_1 dst_unused:UNUSED_PAD src0_sel:DWORD src1_sel:DWORD
	v_and_b32_sdwa v22, v4, v7 dst_sel:DWORD dst_unused:UNUSED_PAD src0_sel:WORD_1 src1_sel:DWORD
	v_lshrrev_b32_sdwa v5, v5, v6 dst_sel:BYTE_1 dst_unused:UNUSED_PAD src0_sel:DWORD src1_sel:DWORD
	v_and_b32_sdwa v7, v6, v7 dst_sel:DWORD dst_unused:UNUSED_PAD src0_sel:WORD_1 src1_sel:DWORD
	v_lshrrev_b32_sdwa v4, v8, v4 dst_sel:BYTE_1 dst_unused:UNUSED_PAD src0_sel:DWORD src1_sel:DWORD
	v_or_b32_sdwa v8, v22, v21 dst_sel:WORD_1 dst_unused:UNUSED_PAD src0_sel:DWORD src1_sel:DWORD
	v_or_b32_e32 v7, v7, v5
	v_or_b32_sdwa v5, v4, v8 dst_sel:DWORD dst_unused:UNUSED_PAD src0_sel:WORD_0 src1_sel:DWORD
                                        ; implicit-def: $vgpr4
	v_perm_b32 v7, v7, v6, 0x5040c00
                                        ; implicit-def: $vgpr6
.LBB848_57:
	s_andn2_saveexec_b32 s1, s0
	s_cbranch_execz .LBB848_61
; %bb.58:
	v_add_nc_u32_e32 v5, s17, v15
	v_add_nc_u32_e32 v7, s19, v15
	s_mov_b32 s2, 0
	s_mov_b32 s3, exec_lo
	v_mul_lo_u32 v5, v5, s16
	v_mul_lo_u32 v7, v7, s18
	v_sub_nc_u32_e32 v5, v5, v7
	v_cmp_lt_u32_e32 vcc_lo, s20, v5
	v_cmpx_ge_u32_e64 s20, v5
	s_cbranch_execz .LBB848_60
; %bb.59:
	v_add_nc_u32_e32 v5, s22, v15
	v_add_nc_u32_e32 v7, s40, v15
	v_mul_lo_u32 v5, v5, s21
	v_mul_lo_u32 v7, v7, s23
	v_sub_nc_u32_e32 v5, v5, v7
	v_cmp_lt_u32_e64 s0, s41, v5
	s_and_b32 s2, s0, exec_lo
.LBB848_60:
	s_or_b32 exec_lo, exec_lo, s3
	v_mov_b32_e32 v5, 24
	v_mov_b32_e32 v7, 0xff
	;; [unrolled: 1-line block ×3, first 2 shown]
	v_cndmask_b32_e64 v21, 0, 1, s2
	v_cndmask_b32_e64 v22, 0, 1, vcc_lo
	v_lshrrev_b32_sdwa v23, v5, v4 dst_sel:BYTE_1 dst_unused:UNUSED_PAD src0_sel:DWORD src1_sel:DWORD
	v_and_b32_sdwa v24, v4, v7 dst_sel:DWORD dst_unused:UNUSED_PAD src0_sel:WORD_1 src1_sel:DWORD
	v_lshrrev_b32_sdwa v4, v8, v4 dst_sel:BYTE_1 dst_unused:UNUSED_PAD src0_sel:DWORD src1_sel:DWORD
	v_lshlrev_b16 v8, 8, v21
	v_lshrrev_b32_sdwa v5, v5, v6 dst_sel:BYTE_1 dst_unused:UNUSED_PAD src0_sel:DWORD src1_sel:DWORD
	v_and_b32_sdwa v7, v6, v7 dst_sel:DWORD dst_unused:UNUSED_PAD src0_sel:WORD_1 src1_sel:DWORD
	v_or_b32_sdwa v21, v24, v23 dst_sel:WORD_1 dst_unused:UNUSED_PAD src0_sel:DWORD src1_sel:DWORD
	v_or_b32_e32 v4, v22, v4
	v_or_b32_sdwa v6, v6, v8 dst_sel:DWORD dst_unused:UNUSED_PAD src0_sel:BYTE_0 src1_sel:DWORD
	v_or_b32_sdwa v7, v7, v5 dst_sel:WORD_1 dst_unused:UNUSED_PAD src0_sel:DWORD src1_sel:DWORD
	v_or_b32_sdwa v5, v4, v21 dst_sel:DWORD dst_unused:UNUSED_PAD src0_sel:WORD_0 src1_sel:DWORD
	v_or_b32_sdwa v7, v6, v7 dst_sel:DWORD dst_unused:UNUSED_PAD src0_sel:WORD_0 src1_sel:DWORD
.LBB848_61:
	s_or_b32 exec_lo, exec_lo, s1
	v_add_nc_u32_e32 v4, 5, v29
                                        ; implicit-def: $vgpr6
	v_cmp_le_u32_e32 vcc_lo, s7, v4
                                        ; implicit-def: $vgpr4
	s_and_saveexec_b32 s0, vcc_lo
	s_xor_b32 s0, exec_lo, s0
	s_cbranch_execz .LBB848_63
; %bb.62:
	v_lshrrev_b32_e32 v4, 24, v7
	v_mov_b32_e32 v6, 8
	v_mov_b32_e32 v8, 0xff
	v_perm_b32 v3, v3, v3, 0x3060504
	v_perm_b32 v4, v4, v7, 0x40c0100
	v_mov_b32_e32 v7, 24
	v_and_b32_sdwa v8, v5, v8 dst_sel:DWORD dst_unused:UNUSED_PAD src0_sel:WORD_1 src1_sel:DWORD
	v_lshrrev_b32_sdwa v6, v6, v4 dst_sel:BYTE_1 dst_unused:UNUSED_PAD src0_sel:DWORD src1_sel:DWORD
	v_lshrrev_b32_sdwa v7, v7, v5 dst_sel:BYTE_1 dst_unused:UNUSED_PAD src0_sel:DWORD src1_sel:DWORD
	v_or_b32_sdwa v6, v4, v6 dst_sel:DWORD dst_unused:UNUSED_PAD src0_sel:BYTE_0 src1_sel:DWORD
	v_or_b32_e32 v7, v8, v7
	v_and_b32_e32 v8, 0xffff, v6
	v_perm_b32 v6, v7, v5, 0x5040c00
                                        ; implicit-def: $vgpr5
                                        ; implicit-def: $vgpr7
	v_and_or_b32 v4, 0xff000000, v4, v8
.LBB848_63:
	s_andn2_saveexec_b32 s1, s0
	s_cbranch_execz .LBB848_67
; %bb.64:
	v_add_nc_u32_e32 v4, s17, v16
	v_add_nc_u32_e32 v6, s19, v16
	s_mov_b32 s2, 0
	s_mov_b32 s3, exec_lo
	v_mul_lo_u32 v4, v4, s16
	v_mul_lo_u32 v6, v6, s18
	v_sub_nc_u32_e32 v4, v4, v6
	v_cmp_lt_u32_e32 vcc_lo, s20, v4
	v_cmpx_ge_u32_e64 s20, v4
	s_cbranch_execz .LBB848_66
; %bb.65:
	v_add_nc_u32_e32 v4, s22, v16
	v_add_nc_u32_e32 v6, s40, v16
	v_mul_lo_u32 v4, v4, s21
	v_mul_lo_u32 v6, v6, s23
	v_sub_nc_u32_e32 v4, v4, v6
	v_cmp_lt_u32_e64 s0, s41, v4
	s_and_b32 s2, s0, exec_lo
.LBB848_66:
	s_or_b32 exec_lo, exec_lo, s3
	v_cndmask_b32_e64 v4, 0, 1, vcc_lo
	v_mov_b32_e32 v6, 24
	v_mov_b32_e32 v8, 0xff
	;; [unrolled: 1-line block ×3, first 2 shown]
	v_cndmask_b32_e64 v22, 0, 1, s2
	v_lshlrev_b16 v4, 8, v4
	v_lshrrev_b32_sdwa v23, v6, v5 dst_sel:BYTE_1 dst_unused:UNUSED_PAD src0_sel:DWORD src1_sel:DWORD
	v_and_b32_sdwa v8, v5, v8 dst_sel:DWORD dst_unused:UNUSED_PAD src0_sel:WORD_1 src1_sel:DWORD
	v_lshrrev_b32_sdwa v21, v21, v7 dst_sel:BYTE_1 dst_unused:UNUSED_PAD src0_sel:DWORD src1_sel:DWORD
	v_lshrrev_b32_sdwa v6, v6, v7 dst_sel:BYTE_1 dst_unused:UNUSED_PAD src0_sel:DWORD src1_sel:DWORD
	v_or_b32_sdwa v4, v5, v4 dst_sel:DWORD dst_unused:UNUSED_PAD src0_sel:BYTE_0 src1_sel:DWORD
	v_or_b32_sdwa v5, v8, v23 dst_sel:WORD_1 dst_unused:UNUSED_PAD src0_sel:DWORD src1_sel:DWORD
	v_or_b32_sdwa v7, v7, v21 dst_sel:DWORD dst_unused:UNUSED_PAD src0_sel:BYTE_0 src1_sel:DWORD
	v_or_b32_sdwa v8, v22, v6 dst_sel:WORD_1 dst_unused:UNUSED_PAD src0_sel:DWORD src1_sel:DWORD
	v_or_b32_sdwa v6, v4, v5 dst_sel:DWORD dst_unused:UNUSED_PAD src0_sel:WORD_0 src1_sel:DWORD
	v_or_b32_sdwa v4, v7, v8 dst_sel:DWORD dst_unused:UNUSED_PAD src0_sel:WORD_0 src1_sel:DWORD
.LBB848_67:
	s_or_b32 exec_lo, exec_lo, s1
	v_add_nc_u32_e32 v5, 6, v29
                                        ; implicit-def: $vgpr31
	v_cmp_le_u32_e32 vcc_lo, s7, v5
                                        ; implicit-def: $vgpr5
	s_and_saveexec_b32 s0, vcc_lo
	s_xor_b32 s0, exec_lo, s0
	s_cbranch_execz .LBB848_69
; %bb.68:
	v_lshrrev_b32_e32 v5, 24, v6
	v_mov_b32_e32 v7, 8
	v_perm_b32 v3, v3, v3, 0x3060504
	v_perm_b32 v5, v5, v6, 0x40c0100
	v_lshrrev_b32_sdwa v6, v7, v5 dst_sel:BYTE_1 dst_unused:UNUSED_PAD src0_sel:DWORD src1_sel:DWORD
	v_and_b32_e32 v7, 0xff0000, v4
	v_or_b32_sdwa v6, v5, v6 dst_sel:DWORD dst_unused:UNUSED_PAD src0_sel:BYTE_0 src1_sel:DWORD
	v_perm_b32 v31, v4, v7, 0x3020504
                                        ; implicit-def: $vgpr4
	v_and_b32_e32 v6, 0xffff, v6
	v_and_or_b32 v5, 0xff000000, v5, v6
                                        ; implicit-def: $vgpr6
.LBB848_69:
	s_andn2_saveexec_b32 s1, s0
	s_cbranch_execz .LBB848_73
; %bb.70:
	v_add_nc_u32_e32 v5, s17, v13
	v_add_nc_u32_e32 v7, s19, v13
	s_mov_b32 s2, 0
	s_mov_b32 s3, exec_lo
	v_mul_lo_u32 v5, v5, s16
	v_mul_lo_u32 v7, v7, s18
	v_sub_nc_u32_e32 v5, v5, v7
	v_cmp_lt_u32_e32 vcc_lo, s20, v5
	v_cmpx_ge_u32_e64 s20, v5
	s_cbranch_execz .LBB848_72
; %bb.71:
	v_add_nc_u32_e32 v5, s22, v13
	v_add_nc_u32_e32 v7, s40, v13
	v_mul_lo_u32 v5, v5, s21
	v_mul_lo_u32 v7, v7, s23
	v_sub_nc_u32_e32 v5, v5, v7
	v_cmp_lt_u32_e64 s0, s41, v5
	s_and_b32 s2, s0, exec_lo
.LBB848_72:
	s_or_b32 exec_lo, exec_lo, s3
	v_mov_b32_e32 v5, 8
	v_mov_b32_e32 v7, 24
	v_cndmask_b32_e64 v21, 0, 1, s2
	v_mov_b32_e32 v22, 0xff
	v_cndmask_b32_e64 v8, 0, 1, vcc_lo
	v_lshrrev_b32_sdwa v23, v5, v6 dst_sel:BYTE_1 dst_unused:UNUSED_PAD src0_sel:DWORD src1_sel:DWORD
	v_lshrrev_b32_sdwa v7, v7, v6 dst_sel:BYTE_1 dst_unused:UNUSED_PAD src0_sel:DWORD src1_sel:DWORD
	;; [unrolled: 1-line block ×3, first 2 shown]
	v_lshlrev_b16 v21, 8, v21
	v_and_b32_sdwa v22, v4, v22 dst_sel:DWORD dst_unused:UNUSED_PAD src0_sel:WORD_1 src1_sel:DWORD
	v_or_b32_sdwa v6, v6, v23 dst_sel:DWORD dst_unused:UNUSED_PAD src0_sel:BYTE_0 src1_sel:DWORD
	v_or_b32_sdwa v7, v8, v7 dst_sel:WORD_1 dst_unused:UNUSED_PAD src0_sel:DWORD src1_sel:DWORD
	v_or_b32_sdwa v4, v4, v5 dst_sel:DWORD dst_unused:UNUSED_PAD src0_sel:BYTE_0 src1_sel:DWORD
	v_or_b32_sdwa v8, v22, v21 dst_sel:WORD_1 dst_unused:UNUSED_PAD src0_sel:DWORD src1_sel:DWORD
	v_or_b32_sdwa v5, v6, v7 dst_sel:DWORD dst_unused:UNUSED_PAD src0_sel:WORD_0 src1_sel:DWORD
	v_or_b32_sdwa v31, v4, v8 dst_sel:DWORD dst_unused:UNUSED_PAD src0_sel:WORD_0 src1_sel:DWORD
.LBB848_73:
	s_or_b32 exec_lo, exec_lo, s1
	v_add_nc_u32_e32 v4, 7, v29
                                        ; implicit-def: $vgpr32
	v_cmp_le_u32_e32 vcc_lo, s7, v4
                                        ; implicit-def: $vgpr4
	s_and_saveexec_b32 s0, vcc_lo
	s_xor_b32 s0, exec_lo, s0
	s_cbranch_execz .LBB848_75
; %bb.74:
	v_mov_b32_e32 v4, 24
	v_mov_b32_e32 v6, 0xff
	;; [unrolled: 1-line block ×3, first 2 shown]
	v_lshrrev_b32_sdwa v4, v4, v3 dst_sel:BYTE_1 dst_unused:UNUSED_PAD src0_sel:DWORD src1_sel:DWORD
	v_and_b32_sdwa v6, v3, v6 dst_sel:DWORD dst_unused:UNUSED_PAD src0_sel:WORD_1 src1_sel:DWORD
	v_lshrrev_b32_sdwa v3, v7, v3 dst_sel:BYTE_1 dst_unused:UNUSED_PAD src0_sel:DWORD src1_sel:DWORD
	v_and_b32_e32 v7, 0xff0000, v5
	v_or_b32_sdwa v4, v6, v4 dst_sel:WORD_1 dst_unused:UNUSED_PAD src0_sel:DWORD src1_sel:DWORD
	v_perm_b32 v32, v5, v7, 0x3020504
                                        ; implicit-def: $vgpr5
	v_or_b32_sdwa v4, v3, v4 dst_sel:DWORD dst_unused:UNUSED_PAD src0_sel:WORD_0 src1_sel:DWORD
                                        ; implicit-def: $vgpr3
.LBB848_75:
	s_andn2_saveexec_b32 s1, s0
	s_cbranch_execz .LBB848_79
; %bb.76:
	v_add_nc_u32_e32 v4, s17, v14
	v_add_nc_u32_e32 v6, s19, v14
	s_mov_b32 s2, 0
	s_mov_b32 s3, exec_lo
	v_mul_lo_u32 v4, v4, s16
	v_mul_lo_u32 v6, v6, s18
	v_sub_nc_u32_e32 v4, v4, v6
	v_cmp_lt_u32_e32 vcc_lo, s20, v4
	v_cmpx_ge_u32_e64 s20, v4
	s_cbranch_execz .LBB848_78
; %bb.77:
	v_add_nc_u32_e32 v4, s22, v14
	v_add_nc_u32_e32 v6, s40, v14
	v_mul_lo_u32 v4, v4, s21
	v_mul_lo_u32 v6, v6, s23
	v_sub_nc_u32_e32 v4, v4, v6
	v_cmp_lt_u32_e64 s0, s41, v4
	s_and_b32 s2, s0, exec_lo
.LBB848_78:
	s_or_b32 exec_lo, exec_lo, s3
	v_mov_b32_e32 v4, 8
	v_cndmask_b32_e64 v6, 0, 1, vcc_lo
	v_mov_b32_e32 v7, 0xff
	v_mov_b32_e32 v8, 24
	v_cndmask_b32_e64 v21, 0, 1, s2
	v_lshrrev_b32_sdwa v22, v4, v5 dst_sel:BYTE_1 dst_unused:UNUSED_PAD src0_sel:DWORD src1_sel:DWORD
	v_lshlrev_b16 v6, 8, v6
	v_and_b32_sdwa v23, v5, v7 dst_sel:DWORD dst_unused:UNUSED_PAD src0_sel:WORD_1 src1_sel:DWORD
	v_lshrrev_b32_sdwa v8, v8, v3 dst_sel:BYTE_1 dst_unused:UNUSED_PAD src0_sel:DWORD src1_sel:DWORD
	v_and_b32_sdwa v7, v3, v7 dst_sel:DWORD dst_unused:UNUSED_PAD src0_sel:WORD_1 src1_sel:DWORD
	v_lshrrev_b32_sdwa v3, v4, v3 dst_sel:BYTE_1 dst_unused:UNUSED_PAD src0_sel:DWORD src1_sel:DWORD
	v_or_b32_sdwa v4, v5, v22 dst_sel:DWORD dst_unused:UNUSED_PAD src0_sel:BYTE_0 src1_sel:DWORD
	v_or_b32_sdwa v5, v23, v6 dst_sel:WORD_1 dst_unused:UNUSED_PAD src0_sel:DWORD src1_sel:DWORD
	v_or_b32_sdwa v6, v7, v8 dst_sel:WORD_1 dst_unused:UNUSED_PAD src0_sel:DWORD src1_sel:DWORD
	v_or_b32_e32 v3, v21, v3
	v_or_b32_sdwa v32, v4, v5 dst_sel:DWORD dst_unused:UNUSED_PAD src0_sel:WORD_0 src1_sel:DWORD
	v_or_b32_sdwa v4, v3, v6 dst_sel:DWORD dst_unused:UNUSED_PAD src0_sel:WORD_0 src1_sel:DWORD
.LBB848_79:
	s_or_b32 exec_lo, exec_lo, s1
	v_add_nc_u32_e32 v3, 8, v29
                                        ; implicit-def: $vgpr5
	v_cmp_le_u32_e32 vcc_lo, s7, v3
                                        ; implicit-def: $vgpr3
	s_and_saveexec_b32 s0, vcc_lo
	s_xor_b32 s0, exec_lo, s0
	s_cbranch_execz .LBB848_81
; %bb.80:
	v_mov_b32_e32 v3, 24
	v_mov_b32_e32 v5, 0xff
	;; [unrolled: 1-line block ×3, first 2 shown]
	v_perm_b32 v1, v1, v1, 0x3060504
	v_lshrrev_b32_sdwa v7, v3, v4 dst_sel:BYTE_1 dst_unused:UNUSED_PAD src0_sel:DWORD src1_sel:DWORD
	v_lshrrev_b32_sdwa v3, v3, v2 dst_sel:BYTE_1 dst_unused:UNUSED_PAD src0_sel:DWORD src1_sel:DWORD
	v_and_b32_sdwa v8, v2, v5 dst_sel:DWORD dst_unused:UNUSED_PAD src0_sel:WORD_1 src1_sel:DWORD
	v_and_b32_sdwa v5, v4, v5 dst_sel:DWORD dst_unused:UNUSED_PAD src0_sel:WORD_1 src1_sel:DWORD
	v_lshrrev_b32_sdwa v2, v6, v2 dst_sel:BYTE_1 dst_unused:UNUSED_PAD src0_sel:DWORD src1_sel:DWORD
	v_or_b32_sdwa v3, v8, v3 dst_sel:WORD_1 dst_unused:UNUSED_PAD src0_sel:DWORD src1_sel:DWORD
	v_or_b32_e32 v5, v5, v7
	v_or_b32_sdwa v3, v2, v3 dst_sel:DWORD dst_unused:UNUSED_PAD src0_sel:WORD_0 src1_sel:DWORD
	v_perm_b32 v5, v5, v4, 0x5040c00
                                        ; implicit-def: $vgpr2
                                        ; implicit-def: $vgpr4
.LBB848_81:
	s_andn2_saveexec_b32 s1, s0
	s_cbranch_execz .LBB848_85
; %bb.82:
	v_add_nc_u32_e32 v3, s17, v11
	v_add_nc_u32_e32 v5, s19, v11
	s_mov_b32 s2, 0
	s_mov_b32 s3, exec_lo
	v_mul_lo_u32 v3, v3, s16
	v_mul_lo_u32 v5, v5, s18
	v_sub_nc_u32_e32 v3, v3, v5
	v_cmp_lt_u32_e32 vcc_lo, s20, v3
	v_cmpx_ge_u32_e64 s20, v3
	s_cbranch_execz .LBB848_84
; %bb.83:
	v_add_nc_u32_e32 v3, s22, v11
	v_add_nc_u32_e32 v5, s40, v11
	v_mul_lo_u32 v3, v3, s21
	v_mul_lo_u32 v5, v5, s23
	v_sub_nc_u32_e32 v3, v3, v5
	v_cmp_lt_u32_e64 s0, s41, v3
	s_and_b32 s2, s0, exec_lo
.LBB848_84:
	s_or_b32 exec_lo, exec_lo, s3
	v_mov_b32_e32 v3, 24
	v_mov_b32_e32 v5, 0xff
	;; [unrolled: 1-line block ×3, first 2 shown]
	v_cndmask_b32_e64 v7, 0, 1, s2
	v_cndmask_b32_e64 v8, 0, 1, vcc_lo
	v_lshrrev_b32_sdwa v21, v3, v2 dst_sel:BYTE_1 dst_unused:UNUSED_PAD src0_sel:DWORD src1_sel:DWORD
	v_and_b32_sdwa v22, v2, v5 dst_sel:DWORD dst_unused:UNUSED_PAD src0_sel:WORD_1 src1_sel:DWORD
	v_lshrrev_b32_sdwa v2, v6, v2 dst_sel:BYTE_1 dst_unused:UNUSED_PAD src0_sel:DWORD src1_sel:DWORD
	v_lshlrev_b16 v6, 8, v7
	v_lshrrev_b32_sdwa v3, v3, v4 dst_sel:BYTE_1 dst_unused:UNUSED_PAD src0_sel:DWORD src1_sel:DWORD
	v_and_b32_sdwa v5, v4, v5 dst_sel:DWORD dst_unused:UNUSED_PAD src0_sel:WORD_1 src1_sel:DWORD
	v_or_b32_sdwa v7, v22, v21 dst_sel:WORD_1 dst_unused:UNUSED_PAD src0_sel:DWORD src1_sel:DWORD
	v_or_b32_e32 v2, v8, v2
	v_or_b32_sdwa v4, v4, v6 dst_sel:DWORD dst_unused:UNUSED_PAD src0_sel:BYTE_0 src1_sel:DWORD
	v_or_b32_sdwa v5, v5, v3 dst_sel:WORD_1 dst_unused:UNUSED_PAD src0_sel:DWORD src1_sel:DWORD
	v_or_b32_sdwa v3, v2, v7 dst_sel:DWORD dst_unused:UNUSED_PAD src0_sel:WORD_0 src1_sel:DWORD
	v_or_b32_sdwa v5, v4, v5 dst_sel:DWORD dst_unused:UNUSED_PAD src0_sel:WORD_0 src1_sel:DWORD
.LBB848_85:
	s_or_b32 exec_lo, exec_lo, s1
	v_add_nc_u32_e32 v2, 9, v29
                                        ; implicit-def: $vgpr4
	v_cmp_le_u32_e32 vcc_lo, s7, v2
                                        ; implicit-def: $vgpr2
	s_and_saveexec_b32 s0, vcc_lo
	s_xor_b32 s0, exec_lo, s0
	s_cbranch_execz .LBB848_87
; %bb.86:
	v_lshrrev_b32_e32 v2, 24, v5
	v_mov_b32_e32 v4, 8
	v_mov_b32_e32 v6, 0xff
	v_perm_b32 v1, v1, v1, 0x3060504
	v_perm_b32 v2, v2, v5, 0x40c0100
	v_mov_b32_e32 v5, 24
	v_and_b32_sdwa v6, v3, v6 dst_sel:DWORD dst_unused:UNUSED_PAD src0_sel:WORD_1 src1_sel:DWORD
	v_lshrrev_b32_sdwa v4, v4, v2 dst_sel:BYTE_1 dst_unused:UNUSED_PAD src0_sel:DWORD src1_sel:DWORD
	v_lshrrev_b32_sdwa v5, v5, v3 dst_sel:BYTE_1 dst_unused:UNUSED_PAD src0_sel:DWORD src1_sel:DWORD
	v_or_b32_sdwa v4, v2, v4 dst_sel:DWORD dst_unused:UNUSED_PAD src0_sel:BYTE_0 src1_sel:DWORD
	v_or_b32_e32 v5, v6, v5
	v_and_b32_e32 v6, 0xffff, v4
	v_perm_b32 v4, v5, v3, 0x5040c00
                                        ; implicit-def: $vgpr3
                                        ; implicit-def: $vgpr5
	v_and_or_b32 v2, 0xff000000, v2, v6
.LBB848_87:
	s_andn2_saveexec_b32 s1, s0
	s_cbranch_execz .LBB848_91
; %bb.88:
	v_add_nc_u32_e32 v2, s17, v12
	v_add_nc_u32_e32 v4, s19, v12
	s_mov_b32 s2, 0
	s_mov_b32 s3, exec_lo
	v_mul_lo_u32 v2, v2, s16
	v_mul_lo_u32 v4, v4, s18
	v_sub_nc_u32_e32 v2, v2, v4
	v_cmp_lt_u32_e32 vcc_lo, s20, v2
	v_cmpx_ge_u32_e64 s20, v2
	s_cbranch_execz .LBB848_90
; %bb.89:
	v_add_nc_u32_e32 v2, s22, v12
	v_add_nc_u32_e32 v4, s40, v12
	v_mul_lo_u32 v2, v2, s21
	v_mul_lo_u32 v4, v4, s23
	v_sub_nc_u32_e32 v2, v2, v4
	v_cmp_lt_u32_e64 s0, s41, v2
	s_and_b32 s2, s0, exec_lo
.LBB848_90:
	s_or_b32 exec_lo, exec_lo, s3
	v_cndmask_b32_e64 v2, 0, 1, vcc_lo
	v_mov_b32_e32 v4, 24
	v_mov_b32_e32 v6, 0xff
	;; [unrolled: 1-line block ×3, first 2 shown]
	v_cndmask_b32_e64 v8, 0, 1, s2
	v_lshlrev_b16 v2, 8, v2
	v_lshrrev_b32_sdwa v21, v4, v3 dst_sel:BYTE_1 dst_unused:UNUSED_PAD src0_sel:DWORD src1_sel:DWORD
	v_and_b32_sdwa v6, v3, v6 dst_sel:DWORD dst_unused:UNUSED_PAD src0_sel:WORD_1 src1_sel:DWORD
	v_lshrrev_b32_sdwa v7, v7, v5 dst_sel:BYTE_1 dst_unused:UNUSED_PAD src0_sel:DWORD src1_sel:DWORD
	v_lshrrev_b32_sdwa v4, v4, v5 dst_sel:BYTE_1 dst_unused:UNUSED_PAD src0_sel:DWORD src1_sel:DWORD
	v_or_b32_sdwa v2, v3, v2 dst_sel:DWORD dst_unused:UNUSED_PAD src0_sel:BYTE_0 src1_sel:DWORD
	v_or_b32_sdwa v3, v6, v21 dst_sel:WORD_1 dst_unused:UNUSED_PAD src0_sel:DWORD src1_sel:DWORD
	v_or_b32_sdwa v5, v5, v7 dst_sel:DWORD dst_unused:UNUSED_PAD src0_sel:BYTE_0 src1_sel:DWORD
	v_or_b32_sdwa v6, v8, v4 dst_sel:WORD_1 dst_unused:UNUSED_PAD src0_sel:DWORD src1_sel:DWORD
	v_or_b32_sdwa v4, v2, v3 dst_sel:DWORD dst_unused:UNUSED_PAD src0_sel:WORD_0 src1_sel:DWORD
	v_or_b32_sdwa v2, v5, v6 dst_sel:DWORD dst_unused:UNUSED_PAD src0_sel:WORD_0 src1_sel:DWORD
.LBB848_91:
	s_or_b32 exec_lo, exec_lo, s1
	v_add_nc_u32_e32 v3, 10, v29
                                        ; implicit-def: $vgpr33
	v_cmp_le_u32_e32 vcc_lo, s7, v3
                                        ; implicit-def: $vgpr3
	s_and_saveexec_b32 s0, vcc_lo
	s_xor_b32 s0, exec_lo, s0
	s_cbranch_execz .LBB848_93
; %bb.92:
	v_lshrrev_b32_e32 v3, 24, v4
	v_mov_b32_e32 v5, 8
	v_perm_b32 v1, v1, v1, 0x3060504
	v_perm_b32 v3, v3, v4, 0x40c0100
	v_lshrrev_b32_sdwa v4, v5, v3 dst_sel:BYTE_1 dst_unused:UNUSED_PAD src0_sel:DWORD src1_sel:DWORD
	v_and_b32_e32 v5, 0xff0000, v2
	v_or_b32_sdwa v4, v3, v4 dst_sel:DWORD dst_unused:UNUSED_PAD src0_sel:BYTE_0 src1_sel:DWORD
	v_perm_b32 v33, v2, v5, 0x3020504
                                        ; implicit-def: $vgpr2
	v_and_b32_e32 v4, 0xffff, v4
	v_and_or_b32 v3, 0xff000000, v3, v4
                                        ; implicit-def: $vgpr4
.LBB848_93:
	s_andn2_saveexec_b32 s1, s0
	s_cbranch_execz .LBB848_97
; %bb.94:
	v_add_nc_u32_e32 v3, s17, v9
	v_add_nc_u32_e32 v5, s19, v9
	s_mov_b32 s2, 0
	s_mov_b32 s3, exec_lo
	v_mul_lo_u32 v3, v3, s16
	v_mul_lo_u32 v5, v5, s18
	v_sub_nc_u32_e32 v3, v3, v5
	v_cmp_lt_u32_e32 vcc_lo, s20, v3
	v_cmpx_ge_u32_e64 s20, v3
	s_cbranch_execz .LBB848_96
; %bb.95:
	v_add_nc_u32_e32 v3, s22, v9
	v_add_nc_u32_e32 v5, s40, v9
	v_mul_lo_u32 v3, v3, s21
	v_mul_lo_u32 v5, v5, s23
	v_sub_nc_u32_e32 v3, v3, v5
	v_cmp_lt_u32_e64 s0, s41, v3
	s_and_b32 s2, s0, exec_lo
.LBB848_96:
	s_or_b32 exec_lo, exec_lo, s3
	v_mov_b32_e32 v3, 8
	v_mov_b32_e32 v5, 24
	v_cndmask_b32_e64 v7, 0, 1, s2
	v_mov_b32_e32 v8, 0xff
	v_cndmask_b32_e64 v6, 0, 1, vcc_lo
	v_lshrrev_b32_sdwa v21, v3, v4 dst_sel:BYTE_1 dst_unused:UNUSED_PAD src0_sel:DWORD src1_sel:DWORD
	v_lshrrev_b32_sdwa v5, v5, v4 dst_sel:BYTE_1 dst_unused:UNUSED_PAD src0_sel:DWORD src1_sel:DWORD
	;; [unrolled: 1-line block ×3, first 2 shown]
	v_lshlrev_b16 v7, 8, v7
	v_and_b32_sdwa v8, v2, v8 dst_sel:DWORD dst_unused:UNUSED_PAD src0_sel:WORD_1 src1_sel:DWORD
	v_or_b32_sdwa v4, v4, v21 dst_sel:DWORD dst_unused:UNUSED_PAD src0_sel:BYTE_0 src1_sel:DWORD
	v_or_b32_sdwa v5, v6, v5 dst_sel:WORD_1 dst_unused:UNUSED_PAD src0_sel:DWORD src1_sel:DWORD
	v_or_b32_sdwa v2, v2, v3 dst_sel:DWORD dst_unused:UNUSED_PAD src0_sel:BYTE_0 src1_sel:DWORD
	v_or_b32_sdwa v6, v8, v7 dst_sel:WORD_1 dst_unused:UNUSED_PAD src0_sel:DWORD src1_sel:DWORD
	v_or_b32_sdwa v3, v4, v5 dst_sel:DWORD dst_unused:UNUSED_PAD src0_sel:WORD_0 src1_sel:DWORD
	v_or_b32_sdwa v33, v2, v6 dst_sel:DWORD dst_unused:UNUSED_PAD src0_sel:WORD_0 src1_sel:DWORD
.LBB848_97:
	s_or_b32 exec_lo, exec_lo, s1
	v_add_nc_u32_e32 v2, 11, v29
	v_mov_b32_e32 v34, 0
	s_mov_b32 s0, exec_lo
                                        ; implicit-def: $vgpr35
	v_cmpx_le_u32_e64 s7, v2
	s_xor_b32 s0, exec_lo, s0
; %bb.98:
	v_and_b32_e32 v2, 0xff0000, v3
	v_perm_b32 v1, v1, v1, 0x3060504
	v_perm_b32 v35, v3, v2, 0x3020504
                                        ; implicit-def: $vgpr3
; %bb.99:
	s_andn2_saveexec_b32 s1, s0
	s_cbranch_execz .LBB848_103
; %bb.100:
	v_add_nc_u32_e32 v2, s17, v10
	v_add_nc_u32_e32 v4, s19, v10
	s_mov_b32 s2, 0
	s_mov_b32 s3, exec_lo
	v_mul_lo_u32 v2, v2, s16
	v_mul_lo_u32 v4, v4, s18
	v_sub_nc_u32_e32 v2, v2, v4
	v_cmp_lt_u32_e32 vcc_lo, s20, v2
	v_cmpx_ge_u32_e64 s20, v2
	s_cbranch_execz .LBB848_102
; %bb.101:
	v_add_nc_u32_e32 v2, s22, v10
	v_add_nc_u32_e32 v4, s40, v10
	v_mul_lo_u32 v2, v2, s21
	v_mul_lo_u32 v4, v4, s23
	v_sub_nc_u32_e32 v2, v2, v4
	v_cmp_lt_u32_e64 s0, s41, v2
	s_and_b32 s2, s0, exec_lo
.LBB848_102:
	s_or_b32 exec_lo, exec_lo, s3
	v_mov_b32_e32 v2, 8
	v_cndmask_b32_e64 v4, 0, 1, vcc_lo
	v_mov_b32_e32 v5, 0xff
	v_cndmask_b32_e64 v34, 0, 1, s2
	v_lshrrev_b32_sdwa v2, v2, v3 dst_sel:BYTE_1 dst_unused:UNUSED_PAD src0_sel:DWORD src1_sel:DWORD
	v_lshlrev_b16 v4, 8, v4
	v_and_b32_sdwa v5, v3, v5 dst_sel:DWORD dst_unused:UNUSED_PAD src0_sel:WORD_1 src1_sel:DWORD
	v_or_b32_sdwa v2, v3, v2 dst_sel:DWORD dst_unused:UNUSED_PAD src0_sel:BYTE_0 src1_sel:DWORD
	v_or_b32_sdwa v3, v5, v4 dst_sel:WORD_1 dst_unused:UNUSED_PAD src0_sel:DWORD src1_sel:DWORD
	v_or_b32_sdwa v35, v2, v3 dst_sel:DWORD dst_unused:UNUSED_PAD src0_sel:WORD_0 src1_sel:DWORD
.LBB848_103:
	s_or_b32 exec_lo, exec_lo, s1
	v_add_nc_u32_e32 v2, 12, v29
	s_mov_b32 s0, exec_lo
                                        ; implicit-def: $vgpr36
	v_cmpx_le_u32_e64 s7, v2
	s_xor_b32 s0, exec_lo, s0
	s_cbranch_execz .LBB848_105
; %bb.104:
	v_mov_b32_e32 v2, 24
	v_mov_b32_e32 v3, 0xff
	;; [unrolled: 1-line block ×3, first 2 shown]
	v_lshrrev_b32_sdwa v2, v2, v1 dst_sel:BYTE_1 dst_unused:UNUSED_PAD src0_sel:DWORD src1_sel:DWORD
	v_and_b32_sdwa v3, v1, v3 dst_sel:DWORD dst_unused:UNUSED_PAD src0_sel:WORD_1 src1_sel:DWORD
	v_lshrrev_b32_sdwa v1, v4, v1 dst_sel:BYTE_1 dst_unused:UNUSED_PAD src0_sel:DWORD src1_sel:DWORD
	v_or_b32_sdwa v2, v3, v2 dst_sel:WORD_1 dst_unused:UNUSED_PAD src0_sel:DWORD src1_sel:DWORD
	v_or_b32_sdwa v36, v1, v2 dst_sel:DWORD dst_unused:UNUSED_PAD src0_sel:WORD_0 src1_sel:DWORD
                                        ; implicit-def: $vgpr1
.LBB848_105:
	s_or_saveexec_b32 s1, s0
	v_mov_b32_e32 v37, 0
	s_xor_b32 exec_lo, exec_lo, s1
	s_cbranch_execz .LBB848_109
; %bb.106:
	v_add_nc_u32_e32 v2, s17, v28
	v_add_nc_u32_e32 v3, s19, v28
	s_mov_b32 s2, 0
	s_mov_b32 s3, exec_lo
	v_mul_lo_u32 v2, v2, s16
	v_mul_lo_u32 v3, v3, s18
	v_sub_nc_u32_e32 v2, v2, v3
	v_cmp_lt_u32_e32 vcc_lo, s20, v2
	v_cmpx_ge_u32_e64 s20, v2
	s_cbranch_execz .LBB848_108
; %bb.107:
	v_add_nc_u32_e32 v2, s22, v28
	v_add_nc_u32_e32 v3, s40, v28
	v_mul_lo_u32 v2, v2, s21
	v_mul_lo_u32 v3, v3, s23
	v_sub_nc_u32_e32 v2, v2, v3
	v_cmp_lt_u32_e64 s0, s41, v2
	s_and_b32 s2, s0, exec_lo
.LBB848_108:
	s_or_b32 exec_lo, exec_lo, s3
	v_mov_b32_e32 v2, 24
	v_mov_b32_e32 v3, 0xff
	;; [unrolled: 1-line block ×3, first 2 shown]
	v_cndmask_b32_e64 v5, 0, 1, vcc_lo
	v_cndmask_b32_e64 v37, 0, 1, s2
	v_lshrrev_b32_sdwa v2, v2, v1 dst_sel:BYTE_1 dst_unused:UNUSED_PAD src0_sel:DWORD src1_sel:DWORD
	v_and_b32_sdwa v3, v1, v3 dst_sel:DWORD dst_unused:UNUSED_PAD src0_sel:WORD_1 src1_sel:DWORD
	v_lshrrev_b32_sdwa v1, v4, v1 dst_sel:BYTE_1 dst_unused:UNUSED_PAD src0_sel:DWORD src1_sel:DWORD
	v_or_b32_sdwa v2, v3, v2 dst_sel:WORD_1 dst_unused:UNUSED_PAD src0_sel:DWORD src1_sel:DWORD
	v_or_b32_e32 v1, v5, v1
	v_or_b32_sdwa v36, v1, v2 dst_sel:DWORD dst_unused:UNUSED_PAD src0_sel:WORD_0 src1_sel:DWORD
.LBB848_109:
	s_or_b32 exec_lo, exec_lo, s1
.LBB848_110:
	v_and_b32_e32 v60, 0xff, v30
	v_bfe_u32 v61, v36, 8, 8
	v_bfe_u32 v57, v30, 8, 8
	v_bfe_u32 v58, v36, 16, 8
	v_bfe_u32 v59, v30, 16, 8
	v_lshrrev_b32_e32 v43, 24, v36
	v_lshrrev_b32_e32 v42, 24, v30
	v_and_b32_e32 v56, 0xff, v31
	v_and_b32_e32 v54, 0xff, v32
	v_bfe_u32 v55, v31, 8, 8
	v_add3_u32 v1, v57, v60, v59
	v_add3_u32 v2, v58, v61, v43
	v_bfe_u32 v52, v32, 8, 8
	v_bfe_u32 v53, v31, 16, 8
	;; [unrolled: 1-line block ×3, first 2 shown]
	v_lshrrev_b32_e32 v41, 24, v31
	v_add3_u32 v1, v1, v42, v54
	v_add3_u32 v2, v2, v56, v55
	v_lshrrev_b32_e32 v40, 24, v32
	v_and_b32_e32 v51, 0xff, v33
	v_and_b32_e32 v49, 0xff, v35
	v_bfe_u32 v50, v33, 8, 8
	v_add3_u32 v1, v1, v52, v46
	v_add3_u32 v2, v2, v53, v41
	v_bfe_u32 v47, v35, 8, 8
	v_bfe_u32 v48, v33, 16, 8
	;; [unrolled: 1-line block ×3, first 2 shown]
	v_lshrrev_b32_e32 v39, 24, v33
	v_add3_u32 v1, v1, v40, v49
	v_add3_u32 v2, v2, v51, v50
	v_mbcnt_lo_u32_b32 v62, -1, 0
	v_lshrrev_b32_e32 v38, 24, v35
	v_and_b32_e32 v44, 0xff, v34
	v_and_b32_e32 v3, 0xff, v36
	;; [unrolled: 1-line block ×3, first 2 shown]
	v_add3_u32 v1, v1, v47, v45
	v_add3_u32 v2, v2, v48, v39
	v_and_b32_e32 v64, 15, v62
	v_and_b32_e32 v66, 16, v62
	v_lshrrev_b32_e32 v63, 5, v0
	v_add3_u32 v67, v1, v38, v3
	v_add3_u32 v68, v2, v44, v4
	v_cmp_eq_u32_e64 s1, 0, v64
	v_cmp_lt_u32_e64 s0, 1, v64
	v_cmp_lt_u32_e64 s2, 3, v64
	v_or_b32_e32 v65, 31, v0
	s_cmp_lg_u32 s6, 0
	s_mov_b32 s3, -1
	v_cmp_lt_u32_e32 vcc_lo, 7, v64
	s_cbranch_scc0 .LBB848_132
; %bb.111:
	v_mov_b32_dpp v1, v68 row_shr:1 row_mask:0xf bank_mask:0xf
	v_mov_b32_dpp v2, v67 row_shr:1 row_mask:0xf bank_mask:0xf
	s_mov_b32 s3, exec_lo
	v_add_nc_u32_e32 v1, v1, v68
	v_add_nc_u32_e32 v2, v2, v67
	v_cndmask_b32_e64 v1, v1, v68, s1
	v_cndmask_b32_e64 v2, v2, v67, s1
	v_mov_b32_dpp v3, v1 row_shr:2 row_mask:0xf bank_mask:0xf
	v_mov_b32_dpp v4, v2 row_shr:2 row_mask:0xf bank_mask:0xf
	v_add_nc_u32_e32 v3, v1, v3
	v_add_nc_u32_e32 v4, v2, v4
	v_cndmask_b32_e64 v1, v1, v3, s0
	v_cndmask_b32_e64 v2, v2, v4, s0
	v_mov_b32_dpp v3, v1 row_shr:4 row_mask:0xf bank_mask:0xf
	v_mov_b32_dpp v4, v2 row_shr:4 row_mask:0xf bank_mask:0xf
	;; [unrolled: 6-line block ×3, first 2 shown]
	v_add_nc_u32_e32 v3, v1, v3
	v_add_nc_u32_e32 v4, v2, v4
	v_cndmask_b32_e32 v1, v1, v3, vcc_lo
	v_cndmask_b32_e32 v2, v2, v4, vcc_lo
	v_cmp_eq_u32_e32 vcc_lo, 0, v66
	ds_swizzle_b32 v3, v1 offset:swizzle(BROADCAST,32,15)
	ds_swizzle_b32 v4, v2 offset:swizzle(BROADCAST,32,15)
	s_waitcnt lgkmcnt(0)
	v_add_nc_u32_e32 v3, v1, v3
	v_add_nc_u32_e32 v4, v2, v4
	v_cmpx_eq_u32_e64 v0, v65
	s_cbranch_execz .LBB848_113
; %bb.112:
	v_lshlrev_b32_e32 v7, 3, v63
	v_cndmask_b32_e32 v6, v3, v1, vcc_lo
	v_cndmask_b32_e32 v5, v4, v2, vcc_lo
	ds_write_b64 v7, v[5:6]
.LBB848_113:
	s_or_b32 exec_lo, exec_lo, s3
	s_mov_b32 s3, exec_lo
	s_waitcnt lgkmcnt(0)
	s_barrier
	buffer_gl0_inv
	v_cmpx_gt_u32_e32 8, v0
	s_cbranch_execz .LBB848_115
; %bb.114:
	v_lshlrev_b32_e32 v7, 3, v0
	v_and_b32_e32 v22, 7, v62
	ds_read_b64 v[5:6], v7
	v_cmp_eq_u32_e64 s2, 0, v22
	s_waitcnt lgkmcnt(0)
	v_mov_b32_dpp v8, v5 row_shr:1 row_mask:0xf bank_mask:0xf
	v_mov_b32_dpp v21, v6 row_shr:1 row_mask:0xf bank_mask:0xf
	v_add_nc_u32_e32 v8, v8, v5
	v_add_nc_u32_e32 v21, v21, v6
	v_cndmask_b32_e64 v5, v8, v5, s2
	v_cndmask_b32_e64 v6, v21, v6, s2
	v_cmp_lt_u32_e64 s2, 1, v22
	v_mov_b32_dpp v8, v5 row_shr:2 row_mask:0xf bank_mask:0xf
	v_mov_b32_dpp v21, v6 row_shr:2 row_mask:0xf bank_mask:0xf
	v_add_nc_u32_e32 v8, v5, v8
	v_add_nc_u32_e32 v21, v6, v21
	v_cndmask_b32_e64 v5, v5, v8, s2
	v_cndmask_b32_e64 v6, v6, v21, s2
	v_cmp_lt_u32_e64 s2, 3, v22
	v_mov_b32_dpp v8, v5 row_shr:4 row_mask:0xf bank_mask:0xf
	v_mov_b32_dpp v21, v6 row_shr:4 row_mask:0xf bank_mask:0xf
	v_cndmask_b32_e64 v8, 0, v8, s2
	v_cndmask_b32_e64 v21, 0, v21, s2
	v_add_nc_u32_e32 v5, v8, v5
	v_add_nc_u32_e32 v6, v21, v6
	ds_write_b64 v7, v[5:6]
.LBB848_115:
	s_or_b32 exec_lo, exec_lo, s3
	v_cndmask_b32_e32 v1, v3, v1, vcc_lo
	v_cndmask_b32_e32 v2, v4, v2, vcc_lo
	s_mov_b32 s3, exec_lo
	v_cmp_gt_u32_e32 vcc_lo, 32, v0
	s_waitcnt lgkmcnt(0)
	s_barrier
	buffer_gl0_inv
                                        ; implicit-def: $vgpr21
	v_cmpx_lt_u32_e32 31, v0
	s_cbranch_execz .LBB848_117
; %bb.116:
	v_lshl_add_u32 v3, v63, 3, -8
	ds_read_b64 v[21:22], v3
	s_waitcnt lgkmcnt(0)
	v_add_nc_u32_e32 v1, v22, v1
	v_add_nc_u32_e32 v2, v21, v2
.LBB848_117:
	s_or_b32 exec_lo, exec_lo, s3
	v_sub_co_u32 v3, s2, v62, 1
	v_cmp_gt_i32_e64 s3, 0, v3
	v_cndmask_b32_e64 v3, v3, v62, s3
	v_lshlrev_b32_e32 v3, 2, v3
	ds_bpermute_b32 v69, v3, v2
	ds_bpermute_b32 v70, v3, v1
	s_and_saveexec_b32 s3, vcc_lo
	s_cbranch_execz .LBB848_137
; %bb.118:
	v_mov_b32_e32 v4, 0
	ds_read_b64 v[1:2], v4 offset:56
	s_and_saveexec_b32 s8, s2
	s_cbranch_execz .LBB848_120
; %bb.119:
	s_add_i32 s10, s6, 32
	s_mov_b32 s11, 0
	v_mov_b32_e32 v3, 1
	s_lshl_b64 s[10:11], s[10:11], 4
	s_add_u32 s10, s4, s10
	s_addc_u32 s11, s5, s11
	v_mov_b32_e32 v5, s10
	v_mov_b32_e32 v6, s11
	s_waitcnt lgkmcnt(0)
	;;#ASMSTART
	global_store_dwordx4 v[5:6], v[1:4] off	
s_waitcnt vmcnt(0)
	;;#ASMEND
.LBB848_120:
	s_or_b32 exec_lo, exec_lo, s8
	v_xad_u32 v23, v62, -1, s6
	s_mov_b32 s9, 0
	v_add_nc_u32_e32 v3, 32, v23
	v_lshlrev_b64 v[5:6], 4, v[3:4]
	v_add_co_u32 v24, vcc_lo, s4, v5
	v_add_co_ci_u32_e64 v25, null, s5, v6, vcc_lo
	;;#ASMSTART
	global_load_dwordx4 v[5:8], v[24:25] off glc dlc	
s_waitcnt vmcnt(0)
	;;#ASMEND
	v_cmp_eq_u16_sdwa s10, v7, v4 src0_sel:BYTE_0 src1_sel:DWORD
	s_and_saveexec_b32 s8, s10
	s_cbranch_execz .LBB848_124
; %bb.121:
	v_mov_b32_e32 v3, 0
.LBB848_122:                            ; =>This Inner Loop Header: Depth=1
	;;#ASMSTART
	global_load_dwordx4 v[5:8], v[24:25] off glc dlc	
s_waitcnt vmcnt(0)
	;;#ASMEND
	v_cmp_ne_u16_sdwa s10, v7, v3 src0_sel:BYTE_0 src1_sel:DWORD
	s_or_b32 s9, s10, s9
	s_andn2_b32 exec_lo, exec_lo, s9
	s_cbranch_execnz .LBB848_122
; %bb.123:
	s_or_b32 exec_lo, exec_lo, s9
.LBB848_124:
	s_or_b32 exec_lo, exec_lo, s8
	v_cmp_ne_u32_e32 vcc_lo, 31, v62
	v_mov_b32_e32 v72, 2
	v_lshlrev_b32_e64 v73, v62, -1
	v_add_nc_u32_e32 v75, 2, v62
	v_add_nc_u32_e32 v77, 4, v62
	v_add_co_ci_u32_e64 v3, null, 0, v62, vcc_lo
	v_cmp_eq_u16_sdwa s8, v7, v72 src0_sel:BYTE_0 src1_sel:DWORD
	v_cmp_gt_u32_e32 vcc_lo, 30, v62
	v_add_nc_u32_e32 v79, 8, v62
	v_lshlrev_b32_e32 v71, 2, v3
	v_lshl_or_b32 v80, v62, 2, 64
	v_and_b32_e32 v8, s8, v73
	v_cndmask_b32_e64 v24, 0, 2, vcc_lo
	v_add_nc_u32_e32 v81, 16, v62
	ds_bpermute_b32 v3, v71, v6
	ds_bpermute_b32 v4, v71, v5
	v_or_b32_e32 v8, 0x80000000, v8
	v_add_lshl_u32 v74, v24, v62, 2
	v_ffbl_b32_e32 v8, v8
	v_cmp_lt_u32_e32 vcc_lo, v62, v8
	s_waitcnt lgkmcnt(1)
	v_add_nc_u32_e32 v3, v3, v6
	s_waitcnt lgkmcnt(0)
	v_add_nc_u32_e32 v4, v4, v5
	v_cndmask_b32_e32 v3, v6, v3, vcc_lo
	v_cndmask_b32_e32 v4, v5, v4, vcc_lo
	v_cmp_gt_u32_e32 vcc_lo, 28, v62
	ds_bpermute_b32 v5, v74, v3
	ds_bpermute_b32 v6, v74, v4
	v_cndmask_b32_e64 v24, 0, 4, vcc_lo
	v_cmp_gt_u32_e32 vcc_lo, v75, v8
	v_add_lshl_u32 v76, v24, v62, 2
	s_waitcnt lgkmcnt(1)
	v_add_nc_u32_e32 v5, v3, v5
	s_waitcnt lgkmcnt(0)
	v_add_nc_u32_e32 v6, v4, v6
	v_cndmask_b32_e32 v3, v5, v3, vcc_lo
	v_cndmask_b32_e32 v4, v6, v4, vcc_lo
	v_cmp_gt_u32_e32 vcc_lo, 24, v62
	ds_bpermute_b32 v5, v76, v3
	ds_bpermute_b32 v6, v76, v4
	v_cndmask_b32_e64 v24, 0, 8, vcc_lo
	v_cmp_gt_u32_e32 vcc_lo, v77, v8
	v_add_lshl_u32 v78, v24, v62, 2
	v_mov_b32_e32 v24, 0
	s_waitcnt lgkmcnt(1)
	v_add_nc_u32_e32 v5, v3, v5
	s_waitcnt lgkmcnt(0)
	v_add_nc_u32_e32 v6, v4, v6
	v_cndmask_b32_e32 v3, v5, v3, vcc_lo
	v_cndmask_b32_e32 v4, v6, v4, vcc_lo
	v_cmp_gt_u32_e32 vcc_lo, v79, v8
	ds_bpermute_b32 v5, v78, v3
	ds_bpermute_b32 v6, v78, v4
	s_waitcnt lgkmcnt(1)
	v_add_nc_u32_e32 v5, v3, v5
	s_waitcnt lgkmcnt(0)
	v_add_nc_u32_e32 v6, v4, v6
	v_cndmask_b32_e32 v3, v5, v3, vcc_lo
	v_cndmask_b32_e32 v4, v6, v4, vcc_lo
	v_cmp_le_u32_e32 vcc_lo, v81, v8
	ds_bpermute_b32 v6, v80, v3
	ds_bpermute_b32 v5, v80, v4
	s_waitcnt lgkmcnt(1)
	v_cndmask_b32_e32 v6, 0, v6, vcc_lo
	s_waitcnt lgkmcnt(0)
	v_cndmask_b32_e32 v5, 0, v5, vcc_lo
	v_add_nc_u32_e32 v6, v6, v3
	v_add_nc_u32_e32 v5, v5, v4
	s_branch .LBB848_128
.LBB848_125:                            ;   in Loop: Header=BB848_128 Depth=1
	s_or_b32 exec_lo, exec_lo, s9
.LBB848_126:                            ;   in Loop: Header=BB848_128 Depth=1
	s_or_b32 exec_lo, exec_lo, s8
	ds_bpermute_b32 v8, v71, v5
	ds_bpermute_b32 v25, v71, v6
	v_cmp_eq_u16_sdwa s8, v7, v72 src0_sel:BYTE_0 src1_sel:DWORD
	v_subrev_nc_u32_e32 v23, 32, v23
	v_and_or_b32 v26, s8, v73, 0x80000000
	s_mov_b32 s8, 0
	v_ffbl_b32_e32 v26, v26
	v_cmp_lt_u32_e32 vcc_lo, v62, v26
	s_waitcnt lgkmcnt(1)
	v_add_nc_u32_e32 v8, v8, v5
	s_waitcnt lgkmcnt(0)
	v_add_nc_u32_e32 v25, v25, v6
	v_cndmask_b32_e32 v5, v5, v8, vcc_lo
	v_cndmask_b32_e32 v6, v6, v25, vcc_lo
	v_cmp_gt_u32_e32 vcc_lo, v75, v26
	ds_bpermute_b32 v8, v74, v5
	ds_bpermute_b32 v25, v74, v6
	s_waitcnt lgkmcnt(1)
	v_add_nc_u32_e32 v8, v5, v8
	s_waitcnt lgkmcnt(0)
	v_add_nc_u32_e32 v25, v6, v25
	v_cndmask_b32_e32 v5, v8, v5, vcc_lo
	v_cndmask_b32_e32 v6, v25, v6, vcc_lo
	v_cmp_gt_u32_e32 vcc_lo, v77, v26
	ds_bpermute_b32 v8, v76, v5
	ds_bpermute_b32 v25, v76, v6
	;; [unrolled: 9-line block ×3, first 2 shown]
	s_waitcnt lgkmcnt(1)
	v_add_nc_u32_e32 v8, v5, v8
	s_waitcnt lgkmcnt(0)
	v_add_nc_u32_e32 v25, v6, v25
	v_cndmask_b32_e32 v5, v8, v5, vcc_lo
	v_cndmask_b32_e32 v6, v25, v6, vcc_lo
	v_cmp_le_u32_e32 vcc_lo, v81, v26
	ds_bpermute_b32 v8, v80, v5
	ds_bpermute_b32 v25, v80, v6
	s_waitcnt lgkmcnt(1)
	v_cndmask_b32_e32 v8, 0, v8, vcc_lo
	s_waitcnt lgkmcnt(0)
	v_cndmask_b32_e32 v25, 0, v25, vcc_lo
	v_add3_u32 v5, v5, v3, v8
	v_add3_u32 v6, v6, v4, v25
.LBB848_127:                            ;   in Loop: Header=BB848_128 Depth=1
	s_and_b32 vcc_lo, exec_lo, s8
	s_cbranch_vccnz .LBB848_133
.LBB848_128:                            ; =>This Loop Header: Depth=1
                                        ;     Child Loop BB848_131 Depth 2
	v_cmp_ne_u16_sdwa s8, v7, v72 src0_sel:BYTE_0 src1_sel:DWORD
	v_mov_b32_e32 v3, v5
	v_mov_b32_e32 v4, v6
                                        ; implicit-def: $vgpr7
                                        ; implicit-def: $vgpr5_vgpr6
	s_cmp_lg_u32 s8, exec_lo
	s_mov_b32 s8, -1
	s_cbranch_scc1 .LBB848_127
; %bb.129:                              ;   in Loop: Header=BB848_128 Depth=1
	v_lshlrev_b64 v[5:6], 4, v[23:24]
	v_add_co_u32 v25, vcc_lo, s4, v5
	v_add_co_ci_u32_e64 v26, null, s5, v6, vcc_lo
	;;#ASMSTART
	global_load_dwordx4 v[5:8], v[25:26] off glc dlc	
s_waitcnt vmcnt(0)
	;;#ASMEND
	v_cmp_eq_u16_sdwa s9, v7, v24 src0_sel:BYTE_0 src1_sel:DWORD
	s_and_saveexec_b32 s8, s9
	s_cbranch_execz .LBB848_126
; %bb.130:                              ;   in Loop: Header=BB848_128 Depth=1
	s_mov_b32 s9, 0
.LBB848_131:                            ;   Parent Loop BB848_128 Depth=1
                                        ; =>  This Inner Loop Header: Depth=2
	;;#ASMSTART
	global_load_dwordx4 v[5:8], v[25:26] off glc dlc	
s_waitcnt vmcnt(0)
	;;#ASMEND
	v_cmp_ne_u16_sdwa s10, v7, v24 src0_sel:BYTE_0 src1_sel:DWORD
	s_or_b32 s9, s10, s9
	s_andn2_b32 exec_lo, exec_lo, s9
	s_cbranch_execnz .LBB848_131
	s_branch .LBB848_125
.LBB848_132:
                                        ; implicit-def: $vgpr23
                                        ; implicit-def: $vgpr3
                                        ; implicit-def: $vgpr24
	s_and_b32 vcc_lo, exec_lo, s3
	s_cbranch_vccnz .LBB848_138
	s_branch .LBB848_147
.LBB848_133:
	s_and_saveexec_b32 s8, s2
	s_cbranch_execnz .LBB848_375
; %bb.134:
	s_or_b32 exec_lo, exec_lo, s8
	s_and_saveexec_b32 s6, s2
	s_cbranch_execnz .LBB848_376
.LBB848_135:
	s_or_b32 exec_lo, exec_lo, s6
	v_cmp_eq_u32_e32 vcc_lo, 0, v0
	s_and_b32 exec_lo, exec_lo, vcc_lo
.LBB848_136:
	v_mov_b32_e32 v1, 0
	ds_write_b64 v1, v[3:4] offset:56
.LBB848_137:
	s_or_b32 exec_lo, exec_lo, s3
	v_mov_b32_e32 v1, 0
	s_waitcnt lgkmcnt(0)
	s_barrier
	buffer_gl0_inv
	v_cndmask_b32_e64 v7, v69, v21, s2
	ds_read_b64 v[5:6], v1 offset:56
	s_waitcnt lgkmcnt(0)
	s_barrier
	buffer_gl0_inv
	ds_read_b128 v[1:4], v1 offset:13312
	v_cndmask_b32_e64 v8, v70, v22, s2
	v_cmp_eq_u32_e32 vcc_lo, 0, v0
	v_add_nc_u32_e32 v7, v5, v7
	v_add_nc_u32_e32 v8, v6, v8
	v_cndmask_b32_e32 v24, v7, v5, vcc_lo
	v_cndmask_b32_e32 v23, v8, v6, vcc_lo
	s_branch .LBB848_147
.LBB848_138:
	s_waitcnt lgkmcnt(0)
	v_mov_b32_dpp v1, v67 row_shr:1 row_mask:0xf bank_mask:0xf
	v_mov_b32_dpp v2, v68 row_shr:1 row_mask:0xf bank_mask:0xf
	v_cmp_lt_u32_e32 vcc_lo, 3, v64
	v_add_nc_u32_e32 v1, v1, v67
	v_add_nc_u32_e32 v2, v2, v68
	v_cndmask_b32_e64 v1, v1, v67, s1
	v_cndmask_b32_e64 v2, v2, v68, s1
	s_mov_b32 s1, exec_lo
	v_mov_b32_dpp v3, v1 row_shr:2 row_mask:0xf bank_mask:0xf
	v_mov_b32_dpp v4, v2 row_shr:2 row_mask:0xf bank_mask:0xf
	v_add_nc_u32_e32 v3, v1, v3
	v_add_nc_u32_e32 v4, v2, v4
	v_cndmask_b32_e64 v1, v1, v3, s0
	v_cndmask_b32_e64 v2, v2, v4, s0
	v_mov_b32_dpp v3, v1 row_shr:4 row_mask:0xf bank_mask:0xf
	v_mov_b32_dpp v4, v2 row_shr:4 row_mask:0xf bank_mask:0xf
	v_add_nc_u32_e32 v3, v1, v3
	v_add_nc_u32_e32 v4, v2, v4
	v_cndmask_b32_e32 v3, v1, v3, vcc_lo
	v_cndmask_b32_e32 v2, v2, v4, vcc_lo
	v_cmp_lt_u32_e32 vcc_lo, 7, v64
	v_mov_b32_dpp v1, v3 row_shr:8 row_mask:0xf bank_mask:0xf
	v_mov_b32_dpp v4, v2 row_shr:8 row_mask:0xf bank_mask:0xf
	v_add_nc_u32_e32 v5, v3, v1
	v_add_nc_u32_e32 v1, v2, v4
	v_cndmask_b32_e32 v1, v2, v1, vcc_lo
	v_cndmask_b32_e32 v2, v3, v5, vcc_lo
	v_cmp_eq_u32_e32 vcc_lo, 0, v66
	ds_swizzle_b32 v3, v1 offset:swizzle(BROADCAST,32,15)
	ds_swizzle_b32 v4, v2 offset:swizzle(BROADCAST,32,15)
	s_waitcnt lgkmcnt(1)
	v_add_nc_u32_e32 v3, v1, v3
	s_waitcnt lgkmcnt(0)
	v_add_nc_u32_e32 v4, v2, v4
	v_cmpx_eq_u32_e64 v0, v65
	s_cbranch_execz .LBB848_140
; %bb.139:
	v_cndmask_b32_e32 v5, v4, v2, vcc_lo
	v_cndmask_b32_e32 v6, v3, v1, vcc_lo
	v_lshlrev_b32_e32 v7, 3, v63
	ds_write_b64 v7, v[5:6]
.LBB848_140:
	s_or_b32 exec_lo, exec_lo, s1
	s_mov_b32 s1, exec_lo
	s_waitcnt lgkmcnt(0)
	s_barrier
	buffer_gl0_inv
	v_cmpx_gt_u32_e32 8, v0
	s_cbranch_execz .LBB848_142
; %bb.141:
	v_lshlrev_b32_e32 v7, 3, v0
	v_and_b32_e32 v22, 7, v62
	ds_read_b64 v[5:6], v7
	v_cmp_eq_u32_e64 s0, 0, v22
	s_waitcnt lgkmcnt(0)
	v_mov_b32_dpp v8, v5 row_shr:1 row_mask:0xf bank_mask:0xf
	v_mov_b32_dpp v21, v6 row_shr:1 row_mask:0xf bank_mask:0xf
	v_add_nc_u32_e32 v8, v8, v5
	v_add_nc_u32_e32 v21, v21, v6
	v_cndmask_b32_e64 v5, v8, v5, s0
	v_cndmask_b32_e64 v6, v21, v6, s0
	v_cmp_lt_u32_e64 s0, 1, v22
	v_mov_b32_dpp v8, v5 row_shr:2 row_mask:0xf bank_mask:0xf
	v_mov_b32_dpp v21, v6 row_shr:2 row_mask:0xf bank_mask:0xf
	v_add_nc_u32_e32 v8, v5, v8
	v_add_nc_u32_e32 v21, v6, v21
	v_cndmask_b32_e64 v5, v5, v8, s0
	v_cndmask_b32_e64 v6, v6, v21, s0
	v_cmp_lt_u32_e64 s0, 3, v22
	v_mov_b32_dpp v8, v5 row_shr:4 row_mask:0xf bank_mask:0xf
	v_mov_b32_dpp v21, v6 row_shr:4 row_mask:0xf bank_mask:0xf
	v_cndmask_b32_e64 v8, 0, v8, s0
	v_cndmask_b32_e64 v21, 0, v21, s0
	v_add_nc_u32_e32 v5, v8, v5
	v_add_nc_u32_e32 v6, v21, v6
	ds_write_b64 v7, v[5:6]
.LBB848_142:
	s_or_b32 exec_lo, exec_lo, s1
	v_mov_b32_e32 v7, 0
	v_mov_b32_e32 v5, 0
	;; [unrolled: 1-line block ×3, first 2 shown]
	s_mov_b32 s1, exec_lo
	s_waitcnt lgkmcnt(0)
	s_barrier
	buffer_gl0_inv
	v_cmpx_lt_u32_e32 31, v0
; %bb.143:
	v_lshl_add_u32 v5, v63, 3, -8
	ds_read_b64 v[5:6], v5
; %bb.144:
	s_or_b32 exec_lo, exec_lo, s1
	v_sub_co_u32 v8, s0, v62, 1
	v_cndmask_b32_e32 v2, v4, v2, vcc_lo
	v_cndmask_b32_e32 v1, v3, v1, vcc_lo
	v_cmp_eq_u32_e32 vcc_lo, 0, v0
	v_cmp_gt_i32_e64 s1, 0, v8
	s_waitcnt lgkmcnt(0)
	v_add_nc_u32_e32 v2, v5, v2
	v_add_nc_u32_e32 v1, v6, v1
	v_cndmask_b32_e64 v4, v8, v62, s1
	v_lshlrev_b32_e32 v3, 2, v4
	ds_bpermute_b32 v8, v3, v2
	ds_bpermute_b32 v21, v3, v1
	ds_read_b64 v[1:2], v7 offset:56
	s_and_saveexec_b32 s1, vcc_lo
	s_cbranch_execz .LBB848_146
; %bb.145:
	s_add_u32 s2, s4, 0x200
	s_addc_u32 s3, s5, 0
	v_mov_b32_e32 v3, 2
	v_mov_b32_e32 v23, s3
	;; [unrolled: 1-line block ×4, first 2 shown]
	s_waitcnt lgkmcnt(0)
	;;#ASMSTART
	global_store_dwordx4 v[22:23], v[1:4] off	
s_waitcnt vmcnt(0)
	;;#ASMEND
.LBB848_146:
	s_or_b32 exec_lo, exec_lo, s1
	s_waitcnt lgkmcnt(1)
	v_cndmask_b32_e64 v3, v21, v6, s0
	v_cndmask_b32_e64 v5, v8, v5, s0
	v_mov_b32_e32 v4, 0
	s_waitcnt lgkmcnt(0)
	s_barrier
	v_cndmask_b32_e64 v23, v3, 0, vcc_lo
	v_cndmask_b32_e64 v24, v5, 0, vcc_lo
	v_mov_b32_e32 v3, 0
	buffer_gl0_inv
.LBB848_147:
	v_add_nc_u32_e32 v61, v23, v61
	v_add_nc_u32_e32 v60, v24, v60
	s_waitcnt lgkmcnt(0)
	v_sub_nc_u32_e32 v23, v23, v4
	v_lshrrev_b32_e32 v26, 8, v36
	v_lshlrev_b32_e32 v66, 1, v1
	v_add_nc_u32_e32 v58, v61, v58
	v_sub_nc_u32_e32 v61, v61, v4
	v_add_nc_u32_e32 v57, v60, v57
	v_sub_nc_u32_e32 v24, v24, v3
	v_sub_nc_u32_e32 v60, v60, v3
	v_add_nc_u32_e32 v23, v23, v1
	v_add_nc_u32_e32 v61, v61, v1
	v_and_b32_e32 v26, 1, v26
	v_mov_b32_e32 v68, 1
	v_add3_u32 v29, v66, v2, v29
	v_add_nc_u32_e32 v73, v24, v23
	v_add_nc_u32_e32 v72, v61, v60
	v_cmp_eq_u32_e32 vcc_lo, 1, v26
	v_and_b32_sdwa v71, v68, v36 dst_sel:DWORD dst_unused:UNUSED_PAD src0_sel:DWORD src1_sel:WORD_1
	v_lshrrev_b32_e32 v25, 8, v30
	v_sub_nc_u32_e32 v73, v29, v73
	v_sub_nc_u32_e32 v72, v29, v72
	v_and_b32_e32 v67, 1, v30
	v_add_nc_u32_e32 v62, v58, v43
	v_and_b32_e32 v25, 1, v25
	v_cndmask_b32_e32 v23, v73, v23, vcc_lo
	v_add_nc_u32_e32 v72, 1, v72
	v_cmp_eq_u32_e32 vcc_lo, 1, v71
	v_sub_nc_u32_e32 v58, v58, v4
	v_add_nc_u32_e32 v59, v57, v59
	v_sub_nc_u32_e32 v57, v57, v3
	v_add_co_u32 v5, s0, s28, v3
	v_cndmask_b32_e32 v26, v72, v61, vcc_lo
	v_cmp_eq_u32_e32 vcc_lo, 1, v67
	v_add_nc_u32_e32 v58, v58, v1
	v_add_co_ci_u32_e64 v6, null, s29, 0, s0
	v_sub_co_u32 v64, s0, s30, v1
	v_cndmask_b32_e32 v67, v23, v24, vcc_lo
	v_cmp_eq_u32_e32 vcc_lo, 1, v25
	v_sub_co_ci_u32_e64 v65, null, s31, 0, s0
	v_and_b32_e32 v43, 1, v43
	v_add_nc_u32_e32 v56, v62, v56
	v_cndmask_b32_e32 v25, v26, v60, vcc_lo
	v_add_nc_u32_e32 v26, v58, v57
	v_add_co_u32 v23, vcc_lo, v64, v4
	v_add_co_ci_u32_e64 v24, null, 0, v65, vcc_lo
	v_sub_nc_u32_e32 v26, v29, v26
	v_sub_nc_u32_e32 v62, v62, v4
	v_and_b32_sdwa v30, v68, v30 dst_sel:DWORD dst_unused:UNUSED_PAD src0_sel:DWORD src1_sel:WORD_1
	v_cmp_eq_u32_e32 vcc_lo, 1, v43
	v_add_nc_u32_e32 v63, v59, v42
	v_add_nc_u32_e32 v26, 2, v26
	v_sub_nc_u32_e32 v59, v59, v3
	v_add_nc_u32_e32 v62, v62, v1
	v_add_nc_u32_e32 v55, v56, v55
	v_lshlrev_b32_e32 v60, 2, v67
	v_cndmask_b32_e32 v26, v26, v58, vcc_lo
	v_cmp_eq_u32_e32 vcc_lo, 1, v30
	v_lshlrev_b32_e32 v25, 2, v25
	v_sub_nc_u32_e32 v56, v56, v4
	v_add_nc_u32_e32 v43, v59, v62
	v_sub_nc_u32_e32 v58, v63, v3
	v_cndmask_b32_e32 v26, v26, v57, vcc_lo
	ds_write_b32 v60, v19
	v_add_nc_u32_e32 v56, v56, v1
	v_sub_nc_u32_e32 v19, v29, v43
	ds_write_b32 v25, v20
	v_lshlrev_b32_e32 v25, 2, v26
	v_and_b32_e32 v26, 1, v31
	v_lshrrev_b32_e32 v22, 8, v31
	v_add_nc_u32_e32 v54, v63, v54
	v_add_nc_u32_e32 v20, v58, v56
	;; [unrolled: 1-line block ×3, first 2 shown]
	v_and_b32_e32 v30, 1, v42
	v_sub_nc_u32_e32 v42, v55, v4
	v_cmp_eq_u32_e32 vcc_lo, 1, v26
	v_sub_nc_u32_e32 v20, v29, v20
	v_and_b32_e32 v22, 1, v22
	v_sub_nc_u32_e32 v26, v54, v3
	v_add_nc_u32_e32 v42, v42, v1
	v_cndmask_b32_e32 v19, v19, v62, vcc_lo
	v_cmp_eq_u32_e32 vcc_lo, 1, v30
	v_add_nc_u32_e32 v20, 4, v20
	v_and_b32_e32 v30, 1, v32
	v_add_nc_u32_e32 v43, v26, v42
	v_lshrrev_b32_e32 v21, 8, v32
	v_cndmask_b32_e32 v19, v19, v59, vcc_lo
	v_cmp_eq_u32_e32 vcc_lo, 1, v22
	v_add_nc_u32_e32 v53, v55, v53
	ds_write_b32 v25, v17
	v_and_b32_sdwa v25, v68, v31 dst_sel:DWORD dst_unused:UNUSED_PAD src0_sel:DWORD src1_sel:WORD_1
	v_lshlrev_b32_e32 v17, 2, v19
	v_cndmask_b32_e32 v20, v20, v56, vcc_lo
	v_sub_nc_u32_e32 v19, v29, v43
	v_cmp_eq_u32_e32 vcc_lo, 1, v30
	v_add_nc_u32_e32 v52, v54, v52
	v_add_nc_u32_e32 v69, v53, v41
	v_and_b32_e32 v21, 1, v21
	v_sub_nc_u32_e32 v22, v53, v4
	v_cndmask_b32_e32 v20, v20, v58, vcc_lo
	v_add_nc_u32_e32 v19, 5, v19
	v_cmp_eq_u32_e32 vcc_lo, 1, v25
	v_add_nc_u32_e32 v46, v52, v46
	v_sub_nc_u32_e32 v30, v52, v3
	v_sub_nc_u32_e32 v31, v69, v4
	v_add_nc_u32_e32 v22, v22, v1
	v_cndmask_b32_e32 v19, v19, v42, vcc_lo
	v_cmp_eq_u32_e32 vcc_lo, 1, v21
	v_sub_nc_u32_e32 v25, v46, v3
	v_add_nc_u32_e32 v31, v31, v1
	v_lshlrev_b32_e32 v20, 2, v20
	v_add_nc_u32_e32 v42, v30, v22
	v_cndmask_b32_e32 v19, v19, v26, vcc_lo
	ds_write_b32 v17, v18
	v_add_nc_u32_e32 v21, v25, v31
	ds_write_b32 v20, v15
	v_sub_nc_u32_e32 v17, v29, v42
	v_lshlrev_b32_e32 v15, 2, v19
	v_and_b32_e32 v19, 1, v41
	v_sub_nc_u32_e32 v18, v29, v21
	v_and_b32_e32 v21, 1, v33
	v_add_nc_u32_e32 v17, 6, v17
	v_add_nc_u32_e32 v51, v69, v51
	v_cmp_eq_u32_e32 vcc_lo, 1, v19
	v_and_b32_sdwa v20, v68, v32 dst_sel:DWORD dst_unused:UNUSED_PAD src0_sel:DWORD src1_sel:WORD_1
	v_add_nc_u32_e32 v18, 7, v18
	v_add_nc_u32_e32 v70, v46, v40
	v_sub_nc_u32_e32 v19, v51, v4
	v_cndmask_b32_e32 v17, v17, v22, vcc_lo
	v_cmp_eq_u32_e32 vcc_lo, 1, v21
	v_and_b32_e32 v22, 1, v40
	v_add_nc_u32_e32 v50, v51, v50
	v_sub_nc_u32_e32 v21, v70, v3
	v_add_nc_u32_e32 v19, v19, v1
	v_cndmask_b32_e32 v18, v18, v31, vcc_lo
	v_cmp_eq_u32_e32 vcc_lo, 1, v20
	v_lshrrev_b32_e32 v8, 8, v33
	v_add_nc_u32_e32 v49, v70, v49
	v_add_nc_u32_e32 v20, v21, v19
	ds_write_b32 v15, v16
	v_cndmask_b32_e32 v17, v17, v30, vcc_lo
	v_cmp_eq_u32_e32 vcc_lo, 1, v22
	v_sub_nc_u32_e32 v15, v50, v4
	v_add_nc_u32_e32 v48, v50, v48
	v_and_b32_e32 v8, 1, v8
	v_lshlrev_b32_e32 v16, 2, v17
	v_cndmask_b32_e32 v18, v18, v25, vcc_lo
	v_add_nc_u32_e32 v15, v15, v1
	v_add_nc_u32_e32 v47, v49, v47
	v_cmp_eq_u32_e32 vcc_lo, 1, v8
	v_lshrrev_b32_e32 v7, 8, v35
	v_lshlrev_b32_e32 v17, 2, v18
	v_sub_nc_u32_e32 v18, v29, v20
	v_sub_nc_u32_e32 v20, v49, v3
	ds_write_b32 v16, v13
	ds_write_b32 v17, v14
	v_and_b32_e32 v16, 1, v35
	v_add_nc_u32_e32 v13, 8, v18
	v_add_nc_u32_e32 v14, v20, v15
	v_sub_nc_u32_e32 v17, v48, v4
	v_add_nc_u32_e32 v74, v48, v39
	v_add_nc_u32_e32 v45, v47, v45
	v_cndmask_b32_e32 v8, v13, v19, vcc_lo
	v_sub_nc_u32_e32 v13, v29, v14
	v_sub_nc_u32_e32 v14, v47, v3
	v_add_nc_u32_e32 v17, v17, v1
	v_cmp_eq_u32_e32 vcc_lo, 1, v16
	v_and_b32_sdwa v16, v68, v33 dst_sel:DWORD dst_unused:UNUSED_PAD src0_sel:DWORD src1_sel:WORD_1
	v_add_nc_u32_e32 v44, v74, v44
	v_add_nc_u32_e32 v13, 9, v13
	v_and_b32_e32 v7, 1, v7
	v_cndmask_b32_e32 v8, v8, v21, vcc_lo
	v_add_nc_u32_e32 v18, v14, v17
	v_sub_nc_u32_e32 v19, v74, v4
	v_cmp_eq_u32_e32 vcc_lo, 1, v16
	v_add_nc_u32_e32 v61, v45, v38
	v_and_b32_e32 v25, 1, v37
	v_sub_nc_u32_e32 v16, v29, v18
	v_sub_nc_u32_e32 v18, v45, v3
	v_cndmask_b32_e32 v13, v13, v15, vcc_lo
	v_sub_nc_u32_e32 v15, v44, v4
	v_add_nc_u32_e32 v19, v19, v1
	v_cmp_eq_u32_e32 vcc_lo, 1, v7
	v_sub_nc_u32_e32 v3, v61, v3
	v_add_nc_u32_e32 v16, 10, v16
	v_add_nc_u32_e32 v15, v15, v1
	v_and_b32_sdwa v22, v68, v35 dst_sel:DWORD dst_unused:UNUSED_PAD src0_sel:DWORD src1_sel:WORD_1
	v_cndmask_b32_e32 v7, v13, v20, vcc_lo
	v_add_nc_u32_e32 v13, v18, v19
	v_and_b32_e32 v20, 1, v39
	v_add_nc_u32_e32 v21, v3, v15
	v_lshlrev_b32_e32 v8, 2, v8
	v_lshlrev_b32_e32 v7, 2, v7
	v_sub_nc_u32_e32 v13, v29, v13
	v_cmp_eq_u32_e32 vcc_lo, 1, v20
	v_and_b32_e32 v20, 1, v34
	v_add_nc_u32_e32 v13, 11, v13
	v_cndmask_b32_e32 v16, v16, v17, vcc_lo
	v_sub_nc_u32_e32 v17, v29, v21
	v_cmp_eq_u32_e32 vcc_lo, 1, v20
	v_and_b32_e32 v21, 1, v38
	v_add_nc_u32_e32 v17, 12, v17
	v_cndmask_b32_e32 v13, v13, v19, vcc_lo
	v_cmp_eq_u32_e32 vcc_lo, 1, v25
	v_and_b32_e32 v19, 1, v36
	v_cndmask_b32_e32 v15, v17, v15, vcc_lo
	v_cmp_eq_u32_e32 vcc_lo, 1, v22
	v_cndmask_b32_e32 v14, v16, v14, vcc_lo
	v_cmp_eq_u32_e32 vcc_lo, 1, v21
	v_lshlrev_b32_e32 v14, 2, v14
	v_cndmask_b32_e32 v13, v13, v18, vcc_lo
	v_cmp_eq_u32_e32 vcc_lo, 1, v19
	v_lshlrev_b32_e32 v13, 2, v13
	v_cndmask_b32_e32 v3, v15, v3, vcc_lo
	v_lshlrev_b32_e32 v3, 2, v3
	ds_write_b32 v8, v11
	ds_write_b32 v7, v12
	;; [unrolled: 1-line block ×5, first 2 shown]
	v_add_co_u32 v3, s0, v2, v66
	v_add_co_ci_u32_e64 v7, null, 0, 0, s0
	s_add_u32 s0, s34, s42
	v_add_co_u32 v3, vcc_lo, v3, v23
	v_add_co_ci_u32_e64 v7, null, v7, v24, vcc_lo
	s_addc_u32 s1, s35, 0
	v_add_co_u32 v3, vcc_lo, v3, v5
	v_add_co_ci_u32_e64 v9, null, v7, v6, vcc_lo
	v_lshlrev_b64 v[7:8], 2, v[23:24]
	v_sub_co_u32 v3, vcc_lo, s0, v3
	v_sub_co_ci_u32_e64 v11, null, s1, v9, vcc_lo
	v_lshlrev_b64 v[9:10], 2, v[5:6]
	v_add_co_u32 v7, vcc_lo, s38, v7
	v_add_co_ci_u32_e64 v8, null, s39, v8, vcc_lo
	v_cmp_ne_u32_e32 vcc_lo, 1, v27
	v_add_co_u32 v9, s0, s36, v9
	v_add_nc_u32_e32 v12, v1, v2
	v_add_co_ci_u32_e64 v10, null, s37, v10, s0
	s_and_b32 vcc_lo, exec_lo, vcc_lo
	s_mov_b32 s0, -1
	s_waitcnt lgkmcnt(0)
	s_barrier
	buffer_gl0_inv
	s_cbranch_vccz .LBB848_151
; %bb.148:
	s_and_b32 vcc_lo, exec_lo, s0
	s_cbranch_vccnz .LBB848_256
.LBB848_149:
	v_cmp_eq_u32_e32 vcc_lo, 0, v0
	s_and_b32 s0, vcc_lo, s33
	s_and_saveexec_b32 s1, s0
	s_cbranch_execnz .LBB848_374
.LBB848_150:
	s_endpgm
.LBB848_151:
	s_mov_b32 s0, exec_lo
	v_cmpx_ge_u32_e64 v0, v1
	s_xor_b32 s0, exec_lo, s0
	s_cbranch_execz .LBB848_157
; %bb.152:
	s_mov_b32 s1, exec_lo
	v_cmpx_ge_u32_e64 v0, v12
	s_xor_b32 s1, exec_lo, s1
	s_cbranch_execz .LBB848_154
; %bb.153:
	v_lshlrev_b32_e32 v13, 2, v0
	ds_read_b32 v15, v13
	v_add_co_u32 v13, vcc_lo, v3, v0
	v_add_co_ci_u32_e64 v14, null, 0, v11, vcc_lo
	v_lshlrev_b64 v[13:14], 2, v[13:14]
	v_sub_co_u32 v13, vcc_lo, s26, v13
	v_sub_co_ci_u32_e64 v14, null, s27, v14, vcc_lo
	s_waitcnt lgkmcnt(0)
	global_store_dword v[13:14], v15, off offset:-4
.LBB848_154:
	s_andn2_saveexec_b32 s1, s1
	s_cbranch_execz .LBB848_156
; %bb.155:
	v_lshlrev_b32_e32 v13, 2, v0
	v_readfirstlane_b32 s2, v7
	v_readfirstlane_b32 s3, v8
	ds_read_b32 v14, v13
	s_waitcnt lgkmcnt(0)
	global_store_dword v13, v14, s[2:3]
.LBB848_156:
	s_or_b32 exec_lo, exec_lo, s1
.LBB848_157:
	s_andn2_saveexec_b32 s0, s0
	s_cbranch_execz .LBB848_159
; %bb.158:
	v_lshlrev_b32_e32 v13, 2, v0
	v_readfirstlane_b32 s2, v9
	v_readfirstlane_b32 s3, v10
	ds_read_b32 v14, v13
	s_waitcnt lgkmcnt(0)
	global_store_dword v13, v14, s[2:3]
.LBB848_159:
	s_or_b32 exec_lo, exec_lo, s0
	v_or_b32_e32 v13, 0x100, v0
	s_mov_b32 s0, exec_lo
	v_cmpx_ge_u32_e64 v13, v1
	s_xor_b32 s0, exec_lo, s0
	s_cbranch_execz .LBB848_165
; %bb.160:
	s_mov_b32 s1, exec_lo
	v_cmpx_ge_u32_e64 v13, v12
	s_xor_b32 s1, exec_lo, s1
	s_cbranch_execz .LBB848_162
; %bb.161:
	v_lshlrev_b32_e32 v13, 2, v0
	ds_read_b32 v15, v13 offset:1024
	v_add_co_u32 v13, vcc_lo, v3, v0
	v_add_co_ci_u32_e64 v14, null, 0, v11, vcc_lo
	v_lshlrev_b64 v[13:14], 2, v[13:14]
	v_sub_co_u32 v13, vcc_lo, s26, v13
	v_sub_co_ci_u32_e64 v14, null, s27, v14, vcc_lo
	s_waitcnt lgkmcnt(0)
	global_store_dword v[13:14], v15, off offset:-1028
.LBB848_162:
	s_andn2_saveexec_b32 s1, s1
	s_cbranch_execz .LBB848_164
; %bb.163:
	v_lshlrev_b32_e32 v13, 2, v0
	v_readfirstlane_b32 s2, v7
	v_readfirstlane_b32 s3, v8
	ds_read_b32 v14, v13 offset:1024
	s_waitcnt lgkmcnt(0)
	global_store_dword v13, v14, s[2:3] offset:1024
.LBB848_164:
	s_or_b32 exec_lo, exec_lo, s1
.LBB848_165:
	s_andn2_saveexec_b32 s0, s0
	s_cbranch_execz .LBB848_167
; %bb.166:
	v_lshlrev_b32_e32 v13, 2, v0
	v_readfirstlane_b32 s2, v9
	v_readfirstlane_b32 s3, v10
	ds_read_b32 v14, v13 offset:1024
	s_waitcnt lgkmcnt(0)
	global_store_dword v13, v14, s[2:3] offset:1024
.LBB848_167:
	s_or_b32 exec_lo, exec_lo, s0
	v_or_b32_e32 v13, 0x200, v0
	s_mov_b32 s0, exec_lo
	v_cmpx_ge_u32_e64 v13, v1
	s_xor_b32 s0, exec_lo, s0
	s_cbranch_execz .LBB848_173
; %bb.168:
	s_mov_b32 s1, exec_lo
	v_cmpx_ge_u32_e64 v13, v12
	s_xor_b32 s1, exec_lo, s1
	s_cbranch_execz .LBB848_170
; %bb.169:
	v_lshlrev_b32_e32 v15, 2, v0
	v_add_co_u32 v13, vcc_lo, v3, v0
	v_add_co_ci_u32_e64 v14, null, 0, v11, vcc_lo
	ds_read_b32 v15, v15 offset:2048
	v_lshlrev_b64 v[13:14], 2, v[13:14]
	v_sub_co_u32 v13, vcc_lo, s26, v13
	v_sub_co_ci_u32_e64 v14, null, s27, v14, vcc_lo
	v_add_co_u32 v13, vcc_lo, 0xfffff800, v13
	v_add_co_ci_u32_e64 v14, null, -1, v14, vcc_lo
	s_waitcnt lgkmcnt(0)
	global_store_dword v[13:14], v15, off offset:-4
                                        ; implicit-def: $vgpr13
.LBB848_170:
	s_andn2_saveexec_b32 s1, s1
	s_cbranch_execz .LBB848_172
; %bb.171:
	v_lshlrev_b32_e32 v14, 2, v0
	v_lshlrev_b32_e32 v13, 2, v13
	v_readfirstlane_b32 s2, v7
	v_readfirstlane_b32 s3, v8
	ds_read_b32 v14, v14 offset:2048
	s_waitcnt lgkmcnt(0)
	global_store_dword v13, v14, s[2:3]
.LBB848_172:
	s_or_b32 exec_lo, exec_lo, s1
                                        ; implicit-def: $vgpr13
.LBB848_173:
	s_andn2_saveexec_b32 s0, s0
	s_cbranch_execz .LBB848_175
; %bb.174:
	v_lshlrev_b32_e32 v14, 2, v0
	v_lshlrev_b32_e32 v13, 2, v13
	v_readfirstlane_b32 s2, v9
	v_readfirstlane_b32 s3, v10
	ds_read_b32 v14, v14 offset:2048
	s_waitcnt lgkmcnt(0)
	global_store_dword v13, v14, s[2:3]
.LBB848_175:
	s_or_b32 exec_lo, exec_lo, s0
	v_or_b32_e32 v13, 0x300, v0
	s_mov_b32 s0, exec_lo
	v_cmpx_ge_u32_e64 v13, v1
	s_xor_b32 s0, exec_lo, s0
	s_cbranch_execz .LBB848_181
; %bb.176:
	s_mov_b32 s1, exec_lo
	v_cmpx_ge_u32_e64 v13, v12
	s_xor_b32 s1, exec_lo, s1
	s_cbranch_execz .LBB848_178
; %bb.177:
	v_lshlrev_b32_e32 v14, 2, v0
	v_add_co_u32 v13, vcc_lo, v3, v13
	ds_read_b32 v15, v14 offset:3072
	v_add_co_ci_u32_e64 v14, null, 0, v11, vcc_lo
	v_lshlrev_b64 v[13:14], 2, v[13:14]
	v_sub_co_u32 v13, vcc_lo, s26, v13
	v_sub_co_ci_u32_e64 v14, null, s27, v14, vcc_lo
	s_waitcnt lgkmcnt(0)
	global_store_dword v[13:14], v15, off offset:-4
                                        ; implicit-def: $vgpr13
.LBB848_178:
	s_andn2_saveexec_b32 s1, s1
	s_cbranch_execz .LBB848_180
; %bb.179:
	v_lshlrev_b32_e32 v14, 2, v0
	v_lshlrev_b32_e32 v13, 2, v13
	v_readfirstlane_b32 s2, v7
	v_readfirstlane_b32 s3, v8
	ds_read_b32 v14, v14 offset:3072
	s_waitcnt lgkmcnt(0)
	global_store_dword v13, v14, s[2:3]
.LBB848_180:
	s_or_b32 exec_lo, exec_lo, s1
                                        ; implicit-def: $vgpr13
.LBB848_181:
	s_andn2_saveexec_b32 s0, s0
	s_cbranch_execz .LBB848_183
; %bb.182:
	v_lshlrev_b32_e32 v14, 2, v0
	v_lshlrev_b32_e32 v13, 2, v13
	v_readfirstlane_b32 s2, v9
	v_readfirstlane_b32 s3, v10
	ds_read_b32 v14, v14 offset:3072
	s_waitcnt lgkmcnt(0)
	global_store_dword v13, v14, s[2:3]
.LBB848_183:
	s_or_b32 exec_lo, exec_lo, s0
	v_or_b32_e32 v13, 0x400, v0
	s_mov_b32 s0, exec_lo
	v_cmpx_ge_u32_e64 v13, v1
	s_xor_b32 s0, exec_lo, s0
	s_cbranch_execz .LBB848_189
; %bb.184:
	s_mov_b32 s1, exec_lo
	v_cmpx_ge_u32_e64 v13, v12
	s_xor_b32 s1, exec_lo, s1
	s_cbranch_execz .LBB848_186
; %bb.185:
	v_lshlrev_b32_e32 v14, 2, v0
	v_add_co_u32 v13, vcc_lo, v3, v13
	ds_read_b32 v15, v14 offset:4096
	v_add_co_ci_u32_e64 v14, null, 0, v11, vcc_lo
	v_lshlrev_b64 v[13:14], 2, v[13:14]
	v_sub_co_u32 v13, vcc_lo, s26, v13
	v_sub_co_ci_u32_e64 v14, null, s27, v14, vcc_lo
	s_waitcnt lgkmcnt(0)
	global_store_dword v[13:14], v15, off offset:-4
                                        ; implicit-def: $vgpr13
.LBB848_186:
	s_andn2_saveexec_b32 s1, s1
	s_cbranch_execz .LBB848_188
; %bb.187:
	v_lshlrev_b32_e32 v14, 2, v0
	v_lshlrev_b32_e32 v13, 2, v13
	v_readfirstlane_b32 s2, v7
	v_readfirstlane_b32 s3, v8
	ds_read_b32 v14, v14 offset:4096
	s_waitcnt lgkmcnt(0)
	global_store_dword v13, v14, s[2:3]
.LBB848_188:
	s_or_b32 exec_lo, exec_lo, s1
                                        ; implicit-def: $vgpr13
.LBB848_189:
	;; [unrolled: 48-line block ×10, first 2 shown]
	s_andn2_saveexec_b32 s0, s0
	s_cbranch_execz .LBB848_255
; %bb.254:
	v_lshlrev_b32_e32 v14, 2, v0
	v_lshlrev_b32_e32 v13, 2, v13
	v_readfirstlane_b32 s2, v9
	v_readfirstlane_b32 s3, v10
	ds_read_b32 v14, v14 offset:12288
	s_waitcnt lgkmcnt(0)
	global_store_dword v13, v14, s[2:3]
.LBB848_255:
	s_or_b32 exec_lo, exec_lo, s0
	s_branch .LBB848_149
.LBB848_256:
	s_mov_b32 s0, exec_lo
	v_cmpx_gt_u32_e64 s7, v0
	s_cbranch_execz .LBB848_265
; %bb.257:
	s_mov_b32 s1, exec_lo
	v_cmpx_ge_u32_e64 v0, v1
	s_xor_b32 s1, exec_lo, s1
	s_cbranch_execz .LBB848_263
; %bb.258:
	s_mov_b32 s2, exec_lo
	v_cmpx_ge_u32_e64 v0, v12
	s_xor_b32 s2, exec_lo, s2
	s_cbranch_execz .LBB848_260
; %bb.259:
	v_lshlrev_b32_e32 v13, 2, v0
	ds_read_b32 v15, v13
	v_add_co_u32 v13, vcc_lo, v3, v0
	v_add_co_ci_u32_e64 v14, null, 0, v11, vcc_lo
	v_lshlrev_b64 v[13:14], 2, v[13:14]
	v_sub_co_u32 v13, vcc_lo, s26, v13
	v_sub_co_ci_u32_e64 v14, null, s27, v14, vcc_lo
	s_waitcnt lgkmcnt(0)
	global_store_dword v[13:14], v15, off offset:-4
.LBB848_260:
	s_andn2_saveexec_b32 s2, s2
	s_cbranch_execz .LBB848_262
; %bb.261:
	v_lshlrev_b32_e32 v13, 2, v0
	v_readfirstlane_b32 s4, v7
	v_readfirstlane_b32 s5, v8
	ds_read_b32 v14, v13
	s_waitcnt lgkmcnt(0)
	global_store_dword v13, v14, s[4:5]
.LBB848_262:
	s_or_b32 exec_lo, exec_lo, s2
.LBB848_263:
	s_andn2_saveexec_b32 s1, s1
	s_cbranch_execz .LBB848_265
; %bb.264:
	v_lshlrev_b32_e32 v13, 2, v0
	v_readfirstlane_b32 s2, v9
	v_readfirstlane_b32 s3, v10
	ds_read_b32 v14, v13
	s_waitcnt lgkmcnt(0)
	global_store_dword v13, v14, s[2:3]
.LBB848_265:
	s_or_b32 exec_lo, exec_lo, s0
	v_or_b32_e32 v13, 0x100, v0
	s_mov_b32 s0, exec_lo
	v_cmpx_gt_u32_e64 s7, v13
	s_cbranch_execz .LBB848_274
; %bb.266:
	s_mov_b32 s1, exec_lo
	v_cmpx_ge_u32_e64 v13, v1
	s_xor_b32 s1, exec_lo, s1
	s_cbranch_execz .LBB848_272
; %bb.267:
	s_mov_b32 s2, exec_lo
	v_cmpx_ge_u32_e64 v13, v12
	s_xor_b32 s2, exec_lo, s2
	s_cbranch_execz .LBB848_269
; %bb.268:
	v_lshlrev_b32_e32 v13, 2, v0
	ds_read_b32 v15, v13 offset:1024
	v_add_co_u32 v13, vcc_lo, v3, v0
	v_add_co_ci_u32_e64 v14, null, 0, v11, vcc_lo
	v_lshlrev_b64 v[13:14], 2, v[13:14]
	v_sub_co_u32 v13, vcc_lo, s26, v13
	v_sub_co_ci_u32_e64 v14, null, s27, v14, vcc_lo
	s_waitcnt lgkmcnt(0)
	global_store_dword v[13:14], v15, off offset:-1028
.LBB848_269:
	s_andn2_saveexec_b32 s2, s2
	s_cbranch_execz .LBB848_271
; %bb.270:
	v_lshlrev_b32_e32 v13, 2, v0
	v_readfirstlane_b32 s4, v7
	v_readfirstlane_b32 s5, v8
	ds_read_b32 v14, v13 offset:1024
	s_waitcnt lgkmcnt(0)
	global_store_dword v13, v14, s[4:5] offset:1024
.LBB848_271:
	s_or_b32 exec_lo, exec_lo, s2
.LBB848_272:
	s_andn2_saveexec_b32 s1, s1
	s_cbranch_execz .LBB848_274
; %bb.273:
	v_lshlrev_b32_e32 v13, 2, v0
	v_readfirstlane_b32 s2, v9
	v_readfirstlane_b32 s3, v10
	ds_read_b32 v14, v13 offset:1024
	s_waitcnt lgkmcnt(0)
	global_store_dword v13, v14, s[2:3] offset:1024
.LBB848_274:
	s_or_b32 exec_lo, exec_lo, s0
	v_or_b32_e32 v13, 0x200, v0
	s_mov_b32 s0, exec_lo
	v_cmpx_gt_u32_e64 s7, v13
	s_cbranch_execz .LBB848_283
; %bb.275:
	s_mov_b32 s1, exec_lo
	v_cmpx_ge_u32_e64 v13, v1
	s_xor_b32 s1, exec_lo, s1
	s_cbranch_execz .LBB848_281
; %bb.276:
	s_mov_b32 s2, exec_lo
	v_cmpx_ge_u32_e64 v13, v12
	s_xor_b32 s2, exec_lo, s2
	s_cbranch_execz .LBB848_278
; %bb.277:
	v_lshlrev_b32_e32 v15, 2, v0
	v_add_co_u32 v13, vcc_lo, v3, v0
	v_add_co_ci_u32_e64 v14, null, 0, v11, vcc_lo
	ds_read_b32 v15, v15 offset:2048
	v_lshlrev_b64 v[13:14], 2, v[13:14]
	v_sub_co_u32 v13, vcc_lo, s26, v13
	v_sub_co_ci_u32_e64 v14, null, s27, v14, vcc_lo
	v_add_co_u32 v13, vcc_lo, 0xfffff800, v13
	v_add_co_ci_u32_e64 v14, null, -1, v14, vcc_lo
	s_waitcnt lgkmcnt(0)
	global_store_dword v[13:14], v15, off offset:-4
                                        ; implicit-def: $vgpr13
.LBB848_278:
	s_andn2_saveexec_b32 s2, s2
	s_cbranch_execz .LBB848_280
; %bb.279:
	v_lshlrev_b32_e32 v14, 2, v0
	v_lshlrev_b32_e32 v13, 2, v13
	v_readfirstlane_b32 s4, v7
	v_readfirstlane_b32 s5, v8
	ds_read_b32 v14, v14 offset:2048
	s_waitcnt lgkmcnt(0)
	global_store_dword v13, v14, s[4:5]
.LBB848_280:
	s_or_b32 exec_lo, exec_lo, s2
                                        ; implicit-def: $vgpr13
.LBB848_281:
	s_andn2_saveexec_b32 s1, s1
	s_cbranch_execz .LBB848_283
; %bb.282:
	v_lshlrev_b32_e32 v14, 2, v0
	v_lshlrev_b32_e32 v13, 2, v13
	v_readfirstlane_b32 s2, v9
	v_readfirstlane_b32 s3, v10
	ds_read_b32 v14, v14 offset:2048
	s_waitcnt lgkmcnt(0)
	global_store_dword v13, v14, s[2:3]
.LBB848_283:
	s_or_b32 exec_lo, exec_lo, s0
	v_or_b32_e32 v13, 0x300, v0
	s_mov_b32 s0, exec_lo
	v_cmpx_gt_u32_e64 s7, v13
	s_cbranch_execz .LBB848_292
; %bb.284:
	s_mov_b32 s1, exec_lo
	v_cmpx_ge_u32_e64 v13, v1
	s_xor_b32 s1, exec_lo, s1
	s_cbranch_execz .LBB848_290
; %bb.285:
	s_mov_b32 s2, exec_lo
	v_cmpx_ge_u32_e64 v13, v12
	s_xor_b32 s2, exec_lo, s2
	s_cbranch_execz .LBB848_287
; %bb.286:
	v_lshlrev_b32_e32 v14, 2, v0
	v_add_co_u32 v13, vcc_lo, v3, v13
	ds_read_b32 v15, v14 offset:3072
	v_add_co_ci_u32_e64 v14, null, 0, v11, vcc_lo
	v_lshlrev_b64 v[13:14], 2, v[13:14]
	v_sub_co_u32 v13, vcc_lo, s26, v13
	v_sub_co_ci_u32_e64 v14, null, s27, v14, vcc_lo
	s_waitcnt lgkmcnt(0)
	global_store_dword v[13:14], v15, off offset:-4
                                        ; implicit-def: $vgpr13
.LBB848_287:
	s_andn2_saveexec_b32 s2, s2
	s_cbranch_execz .LBB848_289
; %bb.288:
	v_lshlrev_b32_e32 v14, 2, v0
	v_lshlrev_b32_e32 v13, 2, v13
	v_readfirstlane_b32 s4, v7
	v_readfirstlane_b32 s5, v8
	ds_read_b32 v14, v14 offset:3072
	s_waitcnt lgkmcnt(0)
	global_store_dword v13, v14, s[4:5]
.LBB848_289:
	s_or_b32 exec_lo, exec_lo, s2
                                        ; implicit-def: $vgpr13
.LBB848_290:
	s_andn2_saveexec_b32 s1, s1
	s_cbranch_execz .LBB848_292
; %bb.291:
	v_lshlrev_b32_e32 v14, 2, v0
	v_lshlrev_b32_e32 v13, 2, v13
	v_readfirstlane_b32 s2, v9
	v_readfirstlane_b32 s3, v10
	ds_read_b32 v14, v14 offset:3072
	s_waitcnt lgkmcnt(0)
	global_store_dword v13, v14, s[2:3]
.LBB848_292:
	s_or_b32 exec_lo, exec_lo, s0
	v_or_b32_e32 v13, 0x400, v0
	s_mov_b32 s0, exec_lo
	v_cmpx_gt_u32_e64 s7, v13
	s_cbranch_execz .LBB848_301
; %bb.293:
	s_mov_b32 s1, exec_lo
	v_cmpx_ge_u32_e64 v13, v1
	s_xor_b32 s1, exec_lo, s1
	s_cbranch_execz .LBB848_299
; %bb.294:
	s_mov_b32 s2, exec_lo
	v_cmpx_ge_u32_e64 v13, v12
	s_xor_b32 s2, exec_lo, s2
	s_cbranch_execz .LBB848_296
; %bb.295:
	v_lshlrev_b32_e32 v14, 2, v0
	v_add_co_u32 v13, vcc_lo, v3, v13
	ds_read_b32 v15, v14 offset:4096
	v_add_co_ci_u32_e64 v14, null, 0, v11, vcc_lo
	v_lshlrev_b64 v[13:14], 2, v[13:14]
	v_sub_co_u32 v13, vcc_lo, s26, v13
	v_sub_co_ci_u32_e64 v14, null, s27, v14, vcc_lo
	s_waitcnt lgkmcnt(0)
	global_store_dword v[13:14], v15, off offset:-4
                                        ; implicit-def: $vgpr13
.LBB848_296:
	s_andn2_saveexec_b32 s2, s2
	s_cbranch_execz .LBB848_298
; %bb.297:
	v_lshlrev_b32_e32 v14, 2, v0
	v_lshlrev_b32_e32 v13, 2, v13
	v_readfirstlane_b32 s4, v7
	v_readfirstlane_b32 s5, v8
	ds_read_b32 v14, v14 offset:4096
	s_waitcnt lgkmcnt(0)
	global_store_dword v13, v14, s[4:5]
.LBB848_298:
	s_or_b32 exec_lo, exec_lo, s2
                                        ; implicit-def: $vgpr13
.LBB848_299:
	s_andn2_saveexec_b32 s1, s1
	s_cbranch_execz .LBB848_301
; %bb.300:
	v_lshlrev_b32_e32 v14, 2, v0
	v_lshlrev_b32_e32 v13, 2, v13
	v_readfirstlane_b32 s2, v9
	v_readfirstlane_b32 s3, v10
	ds_read_b32 v14, v14 offset:4096
	s_waitcnt lgkmcnt(0)
	global_store_dword v13, v14, s[2:3]
.LBB848_301:
	;; [unrolled: 52-line block ×9, first 2 shown]
	s_or_b32 exec_lo, exec_lo, s0
	v_or_b32_e32 v13, 0xc00, v0
	s_mov_b32 s0, exec_lo
	v_cmpx_gt_u32_e64 s7, v13
	s_cbranch_execz .LBB848_373
; %bb.365:
	s_mov_b32 s1, exec_lo
	v_cmpx_ge_u32_e64 v13, v1
	s_xor_b32 s1, exec_lo, s1
	s_cbranch_execz .LBB848_371
; %bb.366:
	s_mov_b32 s2, exec_lo
	v_cmpx_ge_u32_e64 v13, v12
	s_xor_b32 s2, exec_lo, s2
	s_cbranch_execz .LBB848_368
; %bb.367:
	v_lshlrev_b32_e32 v7, 2, v0
	ds_read_b32 v9, v7 offset:12288
	v_add_co_u32 v7, vcc_lo, v3, v13
	v_add_co_ci_u32_e64 v8, null, 0, v11, vcc_lo
                                        ; implicit-def: $vgpr13
	v_lshlrev_b64 v[7:8], 2, v[7:8]
	v_sub_co_u32 v7, vcc_lo, s26, v7
	v_sub_co_ci_u32_e64 v8, null, s27, v8, vcc_lo
	s_waitcnt lgkmcnt(0)
	global_store_dword v[7:8], v9, off offset:-4
                                        ; implicit-def: $vgpr7_vgpr8
.LBB848_368:
	s_andn2_saveexec_b32 s2, s2
	s_cbranch_execz .LBB848_370
; %bb.369:
	v_lshlrev_b32_e32 v3, 2, v0
	v_lshlrev_b32_e32 v9, 2, v13
	v_readfirstlane_b32 s4, v7
	v_readfirstlane_b32 s5, v8
	ds_read_b32 v3, v3 offset:12288
	s_waitcnt lgkmcnt(0)
	global_store_dword v9, v3, s[4:5]
.LBB848_370:
	s_or_b32 exec_lo, exec_lo, s2
                                        ; implicit-def: $vgpr13
                                        ; implicit-def: $vgpr9_vgpr10
.LBB848_371:
	s_andn2_saveexec_b32 s1, s1
	s_cbranch_execz .LBB848_373
; %bb.372:
	v_lshlrev_b32_e32 v3, 2, v0
	v_lshlrev_b32_e32 v7, 2, v13
	v_readfirstlane_b32 s2, v9
	v_readfirstlane_b32 s3, v10
	ds_read_b32 v3, v3 offset:12288
	s_waitcnt lgkmcnt(0)
	global_store_dword v7, v3, s[2:3]
.LBB848_373:
	s_or_b32 exec_lo, exec_lo, s0
	v_cmp_eq_u32_e32 vcc_lo, 0, v0
	s_and_b32 s0, vcc_lo, s33
	s_and_saveexec_b32 s1, s0
	s_cbranch_execz .LBB848_150
.LBB848_374:
	v_add_co_u32 v0, s0, s30, v2
	v_add_co_ci_u32_e64 v3, null, s31, 0, s0
	v_mov_b32_e32 v7, 0
	v_add_co_u32 v2, vcc_lo, v0, v4
	v_add_co_ci_u32_e64 v3, null, 0, v3, vcc_lo
	v_add_co_u32 v0, vcc_lo, v5, v1
	v_add_co_ci_u32_e64 v1, null, 0, v6, vcc_lo
	global_store_dwordx4 v7, v[0:3], s[24:25]
	s_endpgm
.LBB848_375:
	s_add_i32 s10, s6, 32
	s_mov_b32 s11, 0
	v_add_nc_u32_e32 v6, v4, v2
	s_lshl_b64 s[10:11], s[10:11], 4
	v_add_nc_u32_e32 v5, v3, v1
	s_add_u32 s10, s4, s10
	s_addc_u32 s11, s5, s11
	v_mov_b32_e32 v7, 2
	v_mov_b32_e32 v24, s11
	;; [unrolled: 1-line block ×4, first 2 shown]
	;;#ASMSTART
	global_store_dwordx4 v[23:24], v[5:8] off	
s_waitcnt vmcnt(0)
	;;#ASMEND
	s_or_b32 exec_lo, exec_lo, s8
	s_and_saveexec_b32 s6, s2
	s_cbranch_execz .LBB848_135
.LBB848_376:
	v_mov_b32_e32 v5, 0
	ds_write_b128 v5, v[1:4] offset:13312
	s_or_b32 exec_lo, exec_lo, s6
	v_cmp_eq_u32_e32 vcc_lo, 0, v0
	s_and_b32 exec_lo, exec_lo, vcc_lo
	s_cbranch_execnz .LBB848_136
	s_branch .LBB848_137
	.section	.rodata,"a",@progbits
	.p2align	6, 0x0
	.amdhsa_kernel _ZN7rocprim17ROCPRIM_400000_NS6detail17trampoline_kernelINS0_13select_configILj256ELj13ELNS0_17block_load_methodE3ELS4_3ELS4_3ELNS0_20block_scan_algorithmE0ELj4294967295EEENS1_25partition_config_selectorILNS1_17partition_subalgoE4EjNS0_10empty_typeEbEEZZNS1_14partition_implILS8_4ELb0ES6_15HIP_vector_typeIjLj2EENS0_17counting_iteratorIjlEEPS9_SG_NS0_5tupleIJPjSI_NS0_16reverse_iteratorISI_EEEEENSH_IJSG_SG_SG_EEES9_SI_JZNS1_25segmented_radix_sort_implINS0_14default_configELb1EPKsPsPKlPlN2at6native12_GLOBAL__N_18offset_tEEE10hipError_tPvRmT1_PNSt15iterator_traitsIS12_E10value_typeET2_T3_PNS13_IS18_E10value_typeET4_jRbjT5_S1E_jjP12ihipStream_tbEUljE_ZNSN_ISO_Lb1ESQ_SR_ST_SU_SY_EESZ_S10_S11_S12_S16_S17_S18_S1B_S1C_jS1D_jS1E_S1E_jjS1G_bEUljE0_EEESZ_S10_S11_S18_S1C_S1E_T6_T7_T9_mT8_S1G_bDpT10_ENKUlT_T0_E_clISt17integral_constantIbLb0EES1U_EEDaS1P_S1Q_EUlS1P_E_NS1_11comp_targetILNS1_3genE8ELNS1_11target_archE1030ELNS1_3gpuE2ELNS1_3repE0EEENS1_30default_config_static_selectorELNS0_4arch9wavefront6targetE0EEEvS12_
		.amdhsa_group_segment_fixed_size 13328
		.amdhsa_private_segment_fixed_size 0
		.amdhsa_kernarg_size 176
		.amdhsa_user_sgpr_count 6
		.amdhsa_user_sgpr_private_segment_buffer 1
		.amdhsa_user_sgpr_dispatch_ptr 0
		.amdhsa_user_sgpr_queue_ptr 0
		.amdhsa_user_sgpr_kernarg_segment_ptr 1
		.amdhsa_user_sgpr_dispatch_id 0
		.amdhsa_user_sgpr_flat_scratch_init 0
		.amdhsa_user_sgpr_private_segment_size 0
		.amdhsa_wavefront_size32 1
		.amdhsa_uses_dynamic_stack 0
		.amdhsa_system_sgpr_private_segment_wavefront_offset 0
		.amdhsa_system_sgpr_workgroup_id_x 1
		.amdhsa_system_sgpr_workgroup_id_y 0
		.amdhsa_system_sgpr_workgroup_id_z 0
		.amdhsa_system_sgpr_workgroup_info 0
		.amdhsa_system_vgpr_workitem_id 0
		.amdhsa_next_free_vgpr 82
		.amdhsa_next_free_sgpr 59
		.amdhsa_reserve_vcc 1
		.amdhsa_reserve_flat_scratch 0
		.amdhsa_float_round_mode_32 0
		.amdhsa_float_round_mode_16_64 0
		.amdhsa_float_denorm_mode_32 3
		.amdhsa_float_denorm_mode_16_64 3
		.amdhsa_dx10_clamp 1
		.amdhsa_ieee_mode 1
		.amdhsa_fp16_overflow 0
		.amdhsa_workgroup_processor_mode 1
		.amdhsa_memory_ordered 1
		.amdhsa_forward_progress 1
		.amdhsa_shared_vgpr_count 0
		.amdhsa_exception_fp_ieee_invalid_op 0
		.amdhsa_exception_fp_denorm_src 0
		.amdhsa_exception_fp_ieee_div_zero 0
		.amdhsa_exception_fp_ieee_overflow 0
		.amdhsa_exception_fp_ieee_underflow 0
		.amdhsa_exception_fp_ieee_inexact 0
		.amdhsa_exception_int_div_zero 0
	.end_amdhsa_kernel
	.section	.text._ZN7rocprim17ROCPRIM_400000_NS6detail17trampoline_kernelINS0_13select_configILj256ELj13ELNS0_17block_load_methodE3ELS4_3ELS4_3ELNS0_20block_scan_algorithmE0ELj4294967295EEENS1_25partition_config_selectorILNS1_17partition_subalgoE4EjNS0_10empty_typeEbEEZZNS1_14partition_implILS8_4ELb0ES6_15HIP_vector_typeIjLj2EENS0_17counting_iteratorIjlEEPS9_SG_NS0_5tupleIJPjSI_NS0_16reverse_iteratorISI_EEEEENSH_IJSG_SG_SG_EEES9_SI_JZNS1_25segmented_radix_sort_implINS0_14default_configELb1EPKsPsPKlPlN2at6native12_GLOBAL__N_18offset_tEEE10hipError_tPvRmT1_PNSt15iterator_traitsIS12_E10value_typeET2_T3_PNS13_IS18_E10value_typeET4_jRbjT5_S1E_jjP12ihipStream_tbEUljE_ZNSN_ISO_Lb1ESQ_SR_ST_SU_SY_EESZ_S10_S11_S12_S16_S17_S18_S1B_S1C_jS1D_jS1E_S1E_jjS1G_bEUljE0_EEESZ_S10_S11_S18_S1C_S1E_T6_T7_T9_mT8_S1G_bDpT10_ENKUlT_T0_E_clISt17integral_constantIbLb0EES1U_EEDaS1P_S1Q_EUlS1P_E_NS1_11comp_targetILNS1_3genE8ELNS1_11target_archE1030ELNS1_3gpuE2ELNS1_3repE0EEENS1_30default_config_static_selectorELNS0_4arch9wavefront6targetE0EEEvS12_,"axG",@progbits,_ZN7rocprim17ROCPRIM_400000_NS6detail17trampoline_kernelINS0_13select_configILj256ELj13ELNS0_17block_load_methodE3ELS4_3ELS4_3ELNS0_20block_scan_algorithmE0ELj4294967295EEENS1_25partition_config_selectorILNS1_17partition_subalgoE4EjNS0_10empty_typeEbEEZZNS1_14partition_implILS8_4ELb0ES6_15HIP_vector_typeIjLj2EENS0_17counting_iteratorIjlEEPS9_SG_NS0_5tupleIJPjSI_NS0_16reverse_iteratorISI_EEEEENSH_IJSG_SG_SG_EEES9_SI_JZNS1_25segmented_radix_sort_implINS0_14default_configELb1EPKsPsPKlPlN2at6native12_GLOBAL__N_18offset_tEEE10hipError_tPvRmT1_PNSt15iterator_traitsIS12_E10value_typeET2_T3_PNS13_IS18_E10value_typeET4_jRbjT5_S1E_jjP12ihipStream_tbEUljE_ZNSN_ISO_Lb1ESQ_SR_ST_SU_SY_EESZ_S10_S11_S12_S16_S17_S18_S1B_S1C_jS1D_jS1E_S1E_jjS1G_bEUljE0_EEESZ_S10_S11_S18_S1C_S1E_T6_T7_T9_mT8_S1G_bDpT10_ENKUlT_T0_E_clISt17integral_constantIbLb0EES1U_EEDaS1P_S1Q_EUlS1P_E_NS1_11comp_targetILNS1_3genE8ELNS1_11target_archE1030ELNS1_3gpuE2ELNS1_3repE0EEENS1_30default_config_static_selectorELNS0_4arch9wavefront6targetE0EEEvS12_,comdat
.Lfunc_end848:
	.size	_ZN7rocprim17ROCPRIM_400000_NS6detail17trampoline_kernelINS0_13select_configILj256ELj13ELNS0_17block_load_methodE3ELS4_3ELS4_3ELNS0_20block_scan_algorithmE0ELj4294967295EEENS1_25partition_config_selectorILNS1_17partition_subalgoE4EjNS0_10empty_typeEbEEZZNS1_14partition_implILS8_4ELb0ES6_15HIP_vector_typeIjLj2EENS0_17counting_iteratorIjlEEPS9_SG_NS0_5tupleIJPjSI_NS0_16reverse_iteratorISI_EEEEENSH_IJSG_SG_SG_EEES9_SI_JZNS1_25segmented_radix_sort_implINS0_14default_configELb1EPKsPsPKlPlN2at6native12_GLOBAL__N_18offset_tEEE10hipError_tPvRmT1_PNSt15iterator_traitsIS12_E10value_typeET2_T3_PNS13_IS18_E10value_typeET4_jRbjT5_S1E_jjP12ihipStream_tbEUljE_ZNSN_ISO_Lb1ESQ_SR_ST_SU_SY_EESZ_S10_S11_S12_S16_S17_S18_S1B_S1C_jS1D_jS1E_S1E_jjS1G_bEUljE0_EEESZ_S10_S11_S18_S1C_S1E_T6_T7_T9_mT8_S1G_bDpT10_ENKUlT_T0_E_clISt17integral_constantIbLb0EES1U_EEDaS1P_S1Q_EUlS1P_E_NS1_11comp_targetILNS1_3genE8ELNS1_11target_archE1030ELNS1_3gpuE2ELNS1_3repE0EEENS1_30default_config_static_selectorELNS0_4arch9wavefront6targetE0EEEvS12_, .Lfunc_end848-_ZN7rocprim17ROCPRIM_400000_NS6detail17trampoline_kernelINS0_13select_configILj256ELj13ELNS0_17block_load_methodE3ELS4_3ELS4_3ELNS0_20block_scan_algorithmE0ELj4294967295EEENS1_25partition_config_selectorILNS1_17partition_subalgoE4EjNS0_10empty_typeEbEEZZNS1_14partition_implILS8_4ELb0ES6_15HIP_vector_typeIjLj2EENS0_17counting_iteratorIjlEEPS9_SG_NS0_5tupleIJPjSI_NS0_16reverse_iteratorISI_EEEEENSH_IJSG_SG_SG_EEES9_SI_JZNS1_25segmented_radix_sort_implINS0_14default_configELb1EPKsPsPKlPlN2at6native12_GLOBAL__N_18offset_tEEE10hipError_tPvRmT1_PNSt15iterator_traitsIS12_E10value_typeET2_T3_PNS13_IS18_E10value_typeET4_jRbjT5_S1E_jjP12ihipStream_tbEUljE_ZNSN_ISO_Lb1ESQ_SR_ST_SU_SY_EESZ_S10_S11_S12_S16_S17_S18_S1B_S1C_jS1D_jS1E_S1E_jjS1G_bEUljE0_EEESZ_S10_S11_S18_S1C_S1E_T6_T7_T9_mT8_S1G_bDpT10_ENKUlT_T0_E_clISt17integral_constantIbLb0EES1U_EEDaS1P_S1Q_EUlS1P_E_NS1_11comp_targetILNS1_3genE8ELNS1_11target_archE1030ELNS1_3gpuE2ELNS1_3repE0EEENS1_30default_config_static_selectorELNS0_4arch9wavefront6targetE0EEEvS12_
                                        ; -- End function
	.set _ZN7rocprim17ROCPRIM_400000_NS6detail17trampoline_kernelINS0_13select_configILj256ELj13ELNS0_17block_load_methodE3ELS4_3ELS4_3ELNS0_20block_scan_algorithmE0ELj4294967295EEENS1_25partition_config_selectorILNS1_17partition_subalgoE4EjNS0_10empty_typeEbEEZZNS1_14partition_implILS8_4ELb0ES6_15HIP_vector_typeIjLj2EENS0_17counting_iteratorIjlEEPS9_SG_NS0_5tupleIJPjSI_NS0_16reverse_iteratorISI_EEEEENSH_IJSG_SG_SG_EEES9_SI_JZNS1_25segmented_radix_sort_implINS0_14default_configELb1EPKsPsPKlPlN2at6native12_GLOBAL__N_18offset_tEEE10hipError_tPvRmT1_PNSt15iterator_traitsIS12_E10value_typeET2_T3_PNS13_IS18_E10value_typeET4_jRbjT5_S1E_jjP12ihipStream_tbEUljE_ZNSN_ISO_Lb1ESQ_SR_ST_SU_SY_EESZ_S10_S11_S12_S16_S17_S18_S1B_S1C_jS1D_jS1E_S1E_jjS1G_bEUljE0_EEESZ_S10_S11_S18_S1C_S1E_T6_T7_T9_mT8_S1G_bDpT10_ENKUlT_T0_E_clISt17integral_constantIbLb0EES1U_EEDaS1P_S1Q_EUlS1P_E_NS1_11comp_targetILNS1_3genE8ELNS1_11target_archE1030ELNS1_3gpuE2ELNS1_3repE0EEENS1_30default_config_static_selectorELNS0_4arch9wavefront6targetE0EEEvS12_.num_vgpr, 82
	.set _ZN7rocprim17ROCPRIM_400000_NS6detail17trampoline_kernelINS0_13select_configILj256ELj13ELNS0_17block_load_methodE3ELS4_3ELS4_3ELNS0_20block_scan_algorithmE0ELj4294967295EEENS1_25partition_config_selectorILNS1_17partition_subalgoE4EjNS0_10empty_typeEbEEZZNS1_14partition_implILS8_4ELb0ES6_15HIP_vector_typeIjLj2EENS0_17counting_iteratorIjlEEPS9_SG_NS0_5tupleIJPjSI_NS0_16reverse_iteratorISI_EEEEENSH_IJSG_SG_SG_EEES9_SI_JZNS1_25segmented_radix_sort_implINS0_14default_configELb1EPKsPsPKlPlN2at6native12_GLOBAL__N_18offset_tEEE10hipError_tPvRmT1_PNSt15iterator_traitsIS12_E10value_typeET2_T3_PNS13_IS18_E10value_typeET4_jRbjT5_S1E_jjP12ihipStream_tbEUljE_ZNSN_ISO_Lb1ESQ_SR_ST_SU_SY_EESZ_S10_S11_S12_S16_S17_S18_S1B_S1C_jS1D_jS1E_S1E_jjS1G_bEUljE0_EEESZ_S10_S11_S18_S1C_S1E_T6_T7_T9_mT8_S1G_bDpT10_ENKUlT_T0_E_clISt17integral_constantIbLb0EES1U_EEDaS1P_S1Q_EUlS1P_E_NS1_11comp_targetILNS1_3genE8ELNS1_11target_archE1030ELNS1_3gpuE2ELNS1_3repE0EEENS1_30default_config_static_selectorELNS0_4arch9wavefront6targetE0EEEvS12_.num_agpr, 0
	.set _ZN7rocprim17ROCPRIM_400000_NS6detail17trampoline_kernelINS0_13select_configILj256ELj13ELNS0_17block_load_methodE3ELS4_3ELS4_3ELNS0_20block_scan_algorithmE0ELj4294967295EEENS1_25partition_config_selectorILNS1_17partition_subalgoE4EjNS0_10empty_typeEbEEZZNS1_14partition_implILS8_4ELb0ES6_15HIP_vector_typeIjLj2EENS0_17counting_iteratorIjlEEPS9_SG_NS0_5tupleIJPjSI_NS0_16reverse_iteratorISI_EEEEENSH_IJSG_SG_SG_EEES9_SI_JZNS1_25segmented_radix_sort_implINS0_14default_configELb1EPKsPsPKlPlN2at6native12_GLOBAL__N_18offset_tEEE10hipError_tPvRmT1_PNSt15iterator_traitsIS12_E10value_typeET2_T3_PNS13_IS18_E10value_typeET4_jRbjT5_S1E_jjP12ihipStream_tbEUljE_ZNSN_ISO_Lb1ESQ_SR_ST_SU_SY_EESZ_S10_S11_S12_S16_S17_S18_S1B_S1C_jS1D_jS1E_S1E_jjS1G_bEUljE0_EEESZ_S10_S11_S18_S1C_S1E_T6_T7_T9_mT8_S1G_bDpT10_ENKUlT_T0_E_clISt17integral_constantIbLb0EES1U_EEDaS1P_S1Q_EUlS1P_E_NS1_11comp_targetILNS1_3genE8ELNS1_11target_archE1030ELNS1_3gpuE2ELNS1_3repE0EEENS1_30default_config_static_selectorELNS0_4arch9wavefront6targetE0EEEvS12_.numbered_sgpr, 59
	.set _ZN7rocprim17ROCPRIM_400000_NS6detail17trampoline_kernelINS0_13select_configILj256ELj13ELNS0_17block_load_methodE3ELS4_3ELS4_3ELNS0_20block_scan_algorithmE0ELj4294967295EEENS1_25partition_config_selectorILNS1_17partition_subalgoE4EjNS0_10empty_typeEbEEZZNS1_14partition_implILS8_4ELb0ES6_15HIP_vector_typeIjLj2EENS0_17counting_iteratorIjlEEPS9_SG_NS0_5tupleIJPjSI_NS0_16reverse_iteratorISI_EEEEENSH_IJSG_SG_SG_EEES9_SI_JZNS1_25segmented_radix_sort_implINS0_14default_configELb1EPKsPsPKlPlN2at6native12_GLOBAL__N_18offset_tEEE10hipError_tPvRmT1_PNSt15iterator_traitsIS12_E10value_typeET2_T3_PNS13_IS18_E10value_typeET4_jRbjT5_S1E_jjP12ihipStream_tbEUljE_ZNSN_ISO_Lb1ESQ_SR_ST_SU_SY_EESZ_S10_S11_S12_S16_S17_S18_S1B_S1C_jS1D_jS1E_S1E_jjS1G_bEUljE0_EEESZ_S10_S11_S18_S1C_S1E_T6_T7_T9_mT8_S1G_bDpT10_ENKUlT_T0_E_clISt17integral_constantIbLb0EES1U_EEDaS1P_S1Q_EUlS1P_E_NS1_11comp_targetILNS1_3genE8ELNS1_11target_archE1030ELNS1_3gpuE2ELNS1_3repE0EEENS1_30default_config_static_selectorELNS0_4arch9wavefront6targetE0EEEvS12_.num_named_barrier, 0
	.set _ZN7rocprim17ROCPRIM_400000_NS6detail17trampoline_kernelINS0_13select_configILj256ELj13ELNS0_17block_load_methodE3ELS4_3ELS4_3ELNS0_20block_scan_algorithmE0ELj4294967295EEENS1_25partition_config_selectorILNS1_17partition_subalgoE4EjNS0_10empty_typeEbEEZZNS1_14partition_implILS8_4ELb0ES6_15HIP_vector_typeIjLj2EENS0_17counting_iteratorIjlEEPS9_SG_NS0_5tupleIJPjSI_NS0_16reverse_iteratorISI_EEEEENSH_IJSG_SG_SG_EEES9_SI_JZNS1_25segmented_radix_sort_implINS0_14default_configELb1EPKsPsPKlPlN2at6native12_GLOBAL__N_18offset_tEEE10hipError_tPvRmT1_PNSt15iterator_traitsIS12_E10value_typeET2_T3_PNS13_IS18_E10value_typeET4_jRbjT5_S1E_jjP12ihipStream_tbEUljE_ZNSN_ISO_Lb1ESQ_SR_ST_SU_SY_EESZ_S10_S11_S12_S16_S17_S18_S1B_S1C_jS1D_jS1E_S1E_jjS1G_bEUljE0_EEESZ_S10_S11_S18_S1C_S1E_T6_T7_T9_mT8_S1G_bDpT10_ENKUlT_T0_E_clISt17integral_constantIbLb0EES1U_EEDaS1P_S1Q_EUlS1P_E_NS1_11comp_targetILNS1_3genE8ELNS1_11target_archE1030ELNS1_3gpuE2ELNS1_3repE0EEENS1_30default_config_static_selectorELNS0_4arch9wavefront6targetE0EEEvS12_.private_seg_size, 0
	.set _ZN7rocprim17ROCPRIM_400000_NS6detail17trampoline_kernelINS0_13select_configILj256ELj13ELNS0_17block_load_methodE3ELS4_3ELS4_3ELNS0_20block_scan_algorithmE0ELj4294967295EEENS1_25partition_config_selectorILNS1_17partition_subalgoE4EjNS0_10empty_typeEbEEZZNS1_14partition_implILS8_4ELb0ES6_15HIP_vector_typeIjLj2EENS0_17counting_iteratorIjlEEPS9_SG_NS0_5tupleIJPjSI_NS0_16reverse_iteratorISI_EEEEENSH_IJSG_SG_SG_EEES9_SI_JZNS1_25segmented_radix_sort_implINS0_14default_configELb1EPKsPsPKlPlN2at6native12_GLOBAL__N_18offset_tEEE10hipError_tPvRmT1_PNSt15iterator_traitsIS12_E10value_typeET2_T3_PNS13_IS18_E10value_typeET4_jRbjT5_S1E_jjP12ihipStream_tbEUljE_ZNSN_ISO_Lb1ESQ_SR_ST_SU_SY_EESZ_S10_S11_S12_S16_S17_S18_S1B_S1C_jS1D_jS1E_S1E_jjS1G_bEUljE0_EEESZ_S10_S11_S18_S1C_S1E_T6_T7_T9_mT8_S1G_bDpT10_ENKUlT_T0_E_clISt17integral_constantIbLb0EES1U_EEDaS1P_S1Q_EUlS1P_E_NS1_11comp_targetILNS1_3genE8ELNS1_11target_archE1030ELNS1_3gpuE2ELNS1_3repE0EEENS1_30default_config_static_selectorELNS0_4arch9wavefront6targetE0EEEvS12_.uses_vcc, 1
	.set _ZN7rocprim17ROCPRIM_400000_NS6detail17trampoline_kernelINS0_13select_configILj256ELj13ELNS0_17block_load_methodE3ELS4_3ELS4_3ELNS0_20block_scan_algorithmE0ELj4294967295EEENS1_25partition_config_selectorILNS1_17partition_subalgoE4EjNS0_10empty_typeEbEEZZNS1_14partition_implILS8_4ELb0ES6_15HIP_vector_typeIjLj2EENS0_17counting_iteratorIjlEEPS9_SG_NS0_5tupleIJPjSI_NS0_16reverse_iteratorISI_EEEEENSH_IJSG_SG_SG_EEES9_SI_JZNS1_25segmented_radix_sort_implINS0_14default_configELb1EPKsPsPKlPlN2at6native12_GLOBAL__N_18offset_tEEE10hipError_tPvRmT1_PNSt15iterator_traitsIS12_E10value_typeET2_T3_PNS13_IS18_E10value_typeET4_jRbjT5_S1E_jjP12ihipStream_tbEUljE_ZNSN_ISO_Lb1ESQ_SR_ST_SU_SY_EESZ_S10_S11_S12_S16_S17_S18_S1B_S1C_jS1D_jS1E_S1E_jjS1G_bEUljE0_EEESZ_S10_S11_S18_S1C_S1E_T6_T7_T9_mT8_S1G_bDpT10_ENKUlT_T0_E_clISt17integral_constantIbLb0EES1U_EEDaS1P_S1Q_EUlS1P_E_NS1_11comp_targetILNS1_3genE8ELNS1_11target_archE1030ELNS1_3gpuE2ELNS1_3repE0EEENS1_30default_config_static_selectorELNS0_4arch9wavefront6targetE0EEEvS12_.uses_flat_scratch, 0
	.set _ZN7rocprim17ROCPRIM_400000_NS6detail17trampoline_kernelINS0_13select_configILj256ELj13ELNS0_17block_load_methodE3ELS4_3ELS4_3ELNS0_20block_scan_algorithmE0ELj4294967295EEENS1_25partition_config_selectorILNS1_17partition_subalgoE4EjNS0_10empty_typeEbEEZZNS1_14partition_implILS8_4ELb0ES6_15HIP_vector_typeIjLj2EENS0_17counting_iteratorIjlEEPS9_SG_NS0_5tupleIJPjSI_NS0_16reverse_iteratorISI_EEEEENSH_IJSG_SG_SG_EEES9_SI_JZNS1_25segmented_radix_sort_implINS0_14default_configELb1EPKsPsPKlPlN2at6native12_GLOBAL__N_18offset_tEEE10hipError_tPvRmT1_PNSt15iterator_traitsIS12_E10value_typeET2_T3_PNS13_IS18_E10value_typeET4_jRbjT5_S1E_jjP12ihipStream_tbEUljE_ZNSN_ISO_Lb1ESQ_SR_ST_SU_SY_EESZ_S10_S11_S12_S16_S17_S18_S1B_S1C_jS1D_jS1E_S1E_jjS1G_bEUljE0_EEESZ_S10_S11_S18_S1C_S1E_T6_T7_T9_mT8_S1G_bDpT10_ENKUlT_T0_E_clISt17integral_constantIbLb0EES1U_EEDaS1P_S1Q_EUlS1P_E_NS1_11comp_targetILNS1_3genE8ELNS1_11target_archE1030ELNS1_3gpuE2ELNS1_3repE0EEENS1_30default_config_static_selectorELNS0_4arch9wavefront6targetE0EEEvS12_.has_dyn_sized_stack, 0
	.set _ZN7rocprim17ROCPRIM_400000_NS6detail17trampoline_kernelINS0_13select_configILj256ELj13ELNS0_17block_load_methodE3ELS4_3ELS4_3ELNS0_20block_scan_algorithmE0ELj4294967295EEENS1_25partition_config_selectorILNS1_17partition_subalgoE4EjNS0_10empty_typeEbEEZZNS1_14partition_implILS8_4ELb0ES6_15HIP_vector_typeIjLj2EENS0_17counting_iteratorIjlEEPS9_SG_NS0_5tupleIJPjSI_NS0_16reverse_iteratorISI_EEEEENSH_IJSG_SG_SG_EEES9_SI_JZNS1_25segmented_radix_sort_implINS0_14default_configELb1EPKsPsPKlPlN2at6native12_GLOBAL__N_18offset_tEEE10hipError_tPvRmT1_PNSt15iterator_traitsIS12_E10value_typeET2_T3_PNS13_IS18_E10value_typeET4_jRbjT5_S1E_jjP12ihipStream_tbEUljE_ZNSN_ISO_Lb1ESQ_SR_ST_SU_SY_EESZ_S10_S11_S12_S16_S17_S18_S1B_S1C_jS1D_jS1E_S1E_jjS1G_bEUljE0_EEESZ_S10_S11_S18_S1C_S1E_T6_T7_T9_mT8_S1G_bDpT10_ENKUlT_T0_E_clISt17integral_constantIbLb0EES1U_EEDaS1P_S1Q_EUlS1P_E_NS1_11comp_targetILNS1_3genE8ELNS1_11target_archE1030ELNS1_3gpuE2ELNS1_3repE0EEENS1_30default_config_static_selectorELNS0_4arch9wavefront6targetE0EEEvS12_.has_recursion, 0
	.set _ZN7rocprim17ROCPRIM_400000_NS6detail17trampoline_kernelINS0_13select_configILj256ELj13ELNS0_17block_load_methodE3ELS4_3ELS4_3ELNS0_20block_scan_algorithmE0ELj4294967295EEENS1_25partition_config_selectorILNS1_17partition_subalgoE4EjNS0_10empty_typeEbEEZZNS1_14partition_implILS8_4ELb0ES6_15HIP_vector_typeIjLj2EENS0_17counting_iteratorIjlEEPS9_SG_NS0_5tupleIJPjSI_NS0_16reverse_iteratorISI_EEEEENSH_IJSG_SG_SG_EEES9_SI_JZNS1_25segmented_radix_sort_implINS0_14default_configELb1EPKsPsPKlPlN2at6native12_GLOBAL__N_18offset_tEEE10hipError_tPvRmT1_PNSt15iterator_traitsIS12_E10value_typeET2_T3_PNS13_IS18_E10value_typeET4_jRbjT5_S1E_jjP12ihipStream_tbEUljE_ZNSN_ISO_Lb1ESQ_SR_ST_SU_SY_EESZ_S10_S11_S12_S16_S17_S18_S1B_S1C_jS1D_jS1E_S1E_jjS1G_bEUljE0_EEESZ_S10_S11_S18_S1C_S1E_T6_T7_T9_mT8_S1G_bDpT10_ENKUlT_T0_E_clISt17integral_constantIbLb0EES1U_EEDaS1P_S1Q_EUlS1P_E_NS1_11comp_targetILNS1_3genE8ELNS1_11target_archE1030ELNS1_3gpuE2ELNS1_3repE0EEENS1_30default_config_static_selectorELNS0_4arch9wavefront6targetE0EEEvS12_.has_indirect_call, 0
	.section	.AMDGPU.csdata,"",@progbits
; Kernel info:
; codeLenInByte = 16236
; TotalNumSgprs: 61
; NumVgprs: 82
; ScratchSize: 0
; MemoryBound: 0
; FloatMode: 240
; IeeeMode: 1
; LDSByteSize: 13328 bytes/workgroup (compile time only)
; SGPRBlocks: 0
; VGPRBlocks: 10
; NumSGPRsForWavesPerEU: 61
; NumVGPRsForWavesPerEU: 82
; Occupancy: 10
; WaveLimiterHint : 1
; COMPUTE_PGM_RSRC2:SCRATCH_EN: 0
; COMPUTE_PGM_RSRC2:USER_SGPR: 6
; COMPUTE_PGM_RSRC2:TRAP_HANDLER: 0
; COMPUTE_PGM_RSRC2:TGID_X_EN: 1
; COMPUTE_PGM_RSRC2:TGID_Y_EN: 0
; COMPUTE_PGM_RSRC2:TGID_Z_EN: 0
; COMPUTE_PGM_RSRC2:TIDIG_COMP_CNT: 0
	.section	.text._ZN7rocprim17ROCPRIM_400000_NS6detail17trampoline_kernelINS0_13select_configILj256ELj13ELNS0_17block_load_methodE3ELS4_3ELS4_3ELNS0_20block_scan_algorithmE0ELj4294967295EEENS1_25partition_config_selectorILNS1_17partition_subalgoE4EjNS0_10empty_typeEbEEZZNS1_14partition_implILS8_4ELb0ES6_15HIP_vector_typeIjLj2EENS0_17counting_iteratorIjlEEPS9_SG_NS0_5tupleIJPjSI_NS0_16reverse_iteratorISI_EEEEENSH_IJSG_SG_SG_EEES9_SI_JZNS1_25segmented_radix_sort_implINS0_14default_configELb1EPKsPsPKlPlN2at6native12_GLOBAL__N_18offset_tEEE10hipError_tPvRmT1_PNSt15iterator_traitsIS12_E10value_typeET2_T3_PNS13_IS18_E10value_typeET4_jRbjT5_S1E_jjP12ihipStream_tbEUljE_ZNSN_ISO_Lb1ESQ_SR_ST_SU_SY_EESZ_S10_S11_S12_S16_S17_S18_S1B_S1C_jS1D_jS1E_S1E_jjS1G_bEUljE0_EEESZ_S10_S11_S18_S1C_S1E_T6_T7_T9_mT8_S1G_bDpT10_ENKUlT_T0_E_clISt17integral_constantIbLb1EES1U_EEDaS1P_S1Q_EUlS1P_E_NS1_11comp_targetILNS1_3genE0ELNS1_11target_archE4294967295ELNS1_3gpuE0ELNS1_3repE0EEENS1_30default_config_static_selectorELNS0_4arch9wavefront6targetE0EEEvS12_,"axG",@progbits,_ZN7rocprim17ROCPRIM_400000_NS6detail17trampoline_kernelINS0_13select_configILj256ELj13ELNS0_17block_load_methodE3ELS4_3ELS4_3ELNS0_20block_scan_algorithmE0ELj4294967295EEENS1_25partition_config_selectorILNS1_17partition_subalgoE4EjNS0_10empty_typeEbEEZZNS1_14partition_implILS8_4ELb0ES6_15HIP_vector_typeIjLj2EENS0_17counting_iteratorIjlEEPS9_SG_NS0_5tupleIJPjSI_NS0_16reverse_iteratorISI_EEEEENSH_IJSG_SG_SG_EEES9_SI_JZNS1_25segmented_radix_sort_implINS0_14default_configELb1EPKsPsPKlPlN2at6native12_GLOBAL__N_18offset_tEEE10hipError_tPvRmT1_PNSt15iterator_traitsIS12_E10value_typeET2_T3_PNS13_IS18_E10value_typeET4_jRbjT5_S1E_jjP12ihipStream_tbEUljE_ZNSN_ISO_Lb1ESQ_SR_ST_SU_SY_EESZ_S10_S11_S12_S16_S17_S18_S1B_S1C_jS1D_jS1E_S1E_jjS1G_bEUljE0_EEESZ_S10_S11_S18_S1C_S1E_T6_T7_T9_mT8_S1G_bDpT10_ENKUlT_T0_E_clISt17integral_constantIbLb1EES1U_EEDaS1P_S1Q_EUlS1P_E_NS1_11comp_targetILNS1_3genE0ELNS1_11target_archE4294967295ELNS1_3gpuE0ELNS1_3repE0EEENS1_30default_config_static_selectorELNS0_4arch9wavefront6targetE0EEEvS12_,comdat
	.globl	_ZN7rocprim17ROCPRIM_400000_NS6detail17trampoline_kernelINS0_13select_configILj256ELj13ELNS0_17block_load_methodE3ELS4_3ELS4_3ELNS0_20block_scan_algorithmE0ELj4294967295EEENS1_25partition_config_selectorILNS1_17partition_subalgoE4EjNS0_10empty_typeEbEEZZNS1_14partition_implILS8_4ELb0ES6_15HIP_vector_typeIjLj2EENS0_17counting_iteratorIjlEEPS9_SG_NS0_5tupleIJPjSI_NS0_16reverse_iteratorISI_EEEEENSH_IJSG_SG_SG_EEES9_SI_JZNS1_25segmented_radix_sort_implINS0_14default_configELb1EPKsPsPKlPlN2at6native12_GLOBAL__N_18offset_tEEE10hipError_tPvRmT1_PNSt15iterator_traitsIS12_E10value_typeET2_T3_PNS13_IS18_E10value_typeET4_jRbjT5_S1E_jjP12ihipStream_tbEUljE_ZNSN_ISO_Lb1ESQ_SR_ST_SU_SY_EESZ_S10_S11_S12_S16_S17_S18_S1B_S1C_jS1D_jS1E_S1E_jjS1G_bEUljE0_EEESZ_S10_S11_S18_S1C_S1E_T6_T7_T9_mT8_S1G_bDpT10_ENKUlT_T0_E_clISt17integral_constantIbLb1EES1U_EEDaS1P_S1Q_EUlS1P_E_NS1_11comp_targetILNS1_3genE0ELNS1_11target_archE4294967295ELNS1_3gpuE0ELNS1_3repE0EEENS1_30default_config_static_selectorELNS0_4arch9wavefront6targetE0EEEvS12_ ; -- Begin function _ZN7rocprim17ROCPRIM_400000_NS6detail17trampoline_kernelINS0_13select_configILj256ELj13ELNS0_17block_load_methodE3ELS4_3ELS4_3ELNS0_20block_scan_algorithmE0ELj4294967295EEENS1_25partition_config_selectorILNS1_17partition_subalgoE4EjNS0_10empty_typeEbEEZZNS1_14partition_implILS8_4ELb0ES6_15HIP_vector_typeIjLj2EENS0_17counting_iteratorIjlEEPS9_SG_NS0_5tupleIJPjSI_NS0_16reverse_iteratorISI_EEEEENSH_IJSG_SG_SG_EEES9_SI_JZNS1_25segmented_radix_sort_implINS0_14default_configELb1EPKsPsPKlPlN2at6native12_GLOBAL__N_18offset_tEEE10hipError_tPvRmT1_PNSt15iterator_traitsIS12_E10value_typeET2_T3_PNS13_IS18_E10value_typeET4_jRbjT5_S1E_jjP12ihipStream_tbEUljE_ZNSN_ISO_Lb1ESQ_SR_ST_SU_SY_EESZ_S10_S11_S12_S16_S17_S18_S1B_S1C_jS1D_jS1E_S1E_jjS1G_bEUljE0_EEESZ_S10_S11_S18_S1C_S1E_T6_T7_T9_mT8_S1G_bDpT10_ENKUlT_T0_E_clISt17integral_constantIbLb1EES1U_EEDaS1P_S1Q_EUlS1P_E_NS1_11comp_targetILNS1_3genE0ELNS1_11target_archE4294967295ELNS1_3gpuE0ELNS1_3repE0EEENS1_30default_config_static_selectorELNS0_4arch9wavefront6targetE0EEEvS12_
	.p2align	8
	.type	_ZN7rocprim17ROCPRIM_400000_NS6detail17trampoline_kernelINS0_13select_configILj256ELj13ELNS0_17block_load_methodE3ELS4_3ELS4_3ELNS0_20block_scan_algorithmE0ELj4294967295EEENS1_25partition_config_selectorILNS1_17partition_subalgoE4EjNS0_10empty_typeEbEEZZNS1_14partition_implILS8_4ELb0ES6_15HIP_vector_typeIjLj2EENS0_17counting_iteratorIjlEEPS9_SG_NS0_5tupleIJPjSI_NS0_16reverse_iteratorISI_EEEEENSH_IJSG_SG_SG_EEES9_SI_JZNS1_25segmented_radix_sort_implINS0_14default_configELb1EPKsPsPKlPlN2at6native12_GLOBAL__N_18offset_tEEE10hipError_tPvRmT1_PNSt15iterator_traitsIS12_E10value_typeET2_T3_PNS13_IS18_E10value_typeET4_jRbjT5_S1E_jjP12ihipStream_tbEUljE_ZNSN_ISO_Lb1ESQ_SR_ST_SU_SY_EESZ_S10_S11_S12_S16_S17_S18_S1B_S1C_jS1D_jS1E_S1E_jjS1G_bEUljE0_EEESZ_S10_S11_S18_S1C_S1E_T6_T7_T9_mT8_S1G_bDpT10_ENKUlT_T0_E_clISt17integral_constantIbLb1EES1U_EEDaS1P_S1Q_EUlS1P_E_NS1_11comp_targetILNS1_3genE0ELNS1_11target_archE4294967295ELNS1_3gpuE0ELNS1_3repE0EEENS1_30default_config_static_selectorELNS0_4arch9wavefront6targetE0EEEvS12_,@function
_ZN7rocprim17ROCPRIM_400000_NS6detail17trampoline_kernelINS0_13select_configILj256ELj13ELNS0_17block_load_methodE3ELS4_3ELS4_3ELNS0_20block_scan_algorithmE0ELj4294967295EEENS1_25partition_config_selectorILNS1_17partition_subalgoE4EjNS0_10empty_typeEbEEZZNS1_14partition_implILS8_4ELb0ES6_15HIP_vector_typeIjLj2EENS0_17counting_iteratorIjlEEPS9_SG_NS0_5tupleIJPjSI_NS0_16reverse_iteratorISI_EEEEENSH_IJSG_SG_SG_EEES9_SI_JZNS1_25segmented_radix_sort_implINS0_14default_configELb1EPKsPsPKlPlN2at6native12_GLOBAL__N_18offset_tEEE10hipError_tPvRmT1_PNSt15iterator_traitsIS12_E10value_typeET2_T3_PNS13_IS18_E10value_typeET4_jRbjT5_S1E_jjP12ihipStream_tbEUljE_ZNSN_ISO_Lb1ESQ_SR_ST_SU_SY_EESZ_S10_S11_S12_S16_S17_S18_S1B_S1C_jS1D_jS1E_S1E_jjS1G_bEUljE0_EEESZ_S10_S11_S18_S1C_S1E_T6_T7_T9_mT8_S1G_bDpT10_ENKUlT_T0_E_clISt17integral_constantIbLb1EES1U_EEDaS1P_S1Q_EUlS1P_E_NS1_11comp_targetILNS1_3genE0ELNS1_11target_archE4294967295ELNS1_3gpuE0ELNS1_3repE0EEENS1_30default_config_static_selectorELNS0_4arch9wavefront6targetE0EEEvS12_: ; @_ZN7rocprim17ROCPRIM_400000_NS6detail17trampoline_kernelINS0_13select_configILj256ELj13ELNS0_17block_load_methodE3ELS4_3ELS4_3ELNS0_20block_scan_algorithmE0ELj4294967295EEENS1_25partition_config_selectorILNS1_17partition_subalgoE4EjNS0_10empty_typeEbEEZZNS1_14partition_implILS8_4ELb0ES6_15HIP_vector_typeIjLj2EENS0_17counting_iteratorIjlEEPS9_SG_NS0_5tupleIJPjSI_NS0_16reverse_iteratorISI_EEEEENSH_IJSG_SG_SG_EEES9_SI_JZNS1_25segmented_radix_sort_implINS0_14default_configELb1EPKsPsPKlPlN2at6native12_GLOBAL__N_18offset_tEEE10hipError_tPvRmT1_PNSt15iterator_traitsIS12_E10value_typeET2_T3_PNS13_IS18_E10value_typeET4_jRbjT5_S1E_jjP12ihipStream_tbEUljE_ZNSN_ISO_Lb1ESQ_SR_ST_SU_SY_EESZ_S10_S11_S12_S16_S17_S18_S1B_S1C_jS1D_jS1E_S1E_jjS1G_bEUljE0_EEESZ_S10_S11_S18_S1C_S1E_T6_T7_T9_mT8_S1G_bDpT10_ENKUlT_T0_E_clISt17integral_constantIbLb1EES1U_EEDaS1P_S1Q_EUlS1P_E_NS1_11comp_targetILNS1_3genE0ELNS1_11target_archE4294967295ELNS1_3gpuE0ELNS1_3repE0EEENS1_30default_config_static_selectorELNS0_4arch9wavefront6targetE0EEEvS12_
; %bb.0:
	.section	.rodata,"a",@progbits
	.p2align	6, 0x0
	.amdhsa_kernel _ZN7rocprim17ROCPRIM_400000_NS6detail17trampoline_kernelINS0_13select_configILj256ELj13ELNS0_17block_load_methodE3ELS4_3ELS4_3ELNS0_20block_scan_algorithmE0ELj4294967295EEENS1_25partition_config_selectorILNS1_17partition_subalgoE4EjNS0_10empty_typeEbEEZZNS1_14partition_implILS8_4ELb0ES6_15HIP_vector_typeIjLj2EENS0_17counting_iteratorIjlEEPS9_SG_NS0_5tupleIJPjSI_NS0_16reverse_iteratorISI_EEEEENSH_IJSG_SG_SG_EEES9_SI_JZNS1_25segmented_radix_sort_implINS0_14default_configELb1EPKsPsPKlPlN2at6native12_GLOBAL__N_18offset_tEEE10hipError_tPvRmT1_PNSt15iterator_traitsIS12_E10value_typeET2_T3_PNS13_IS18_E10value_typeET4_jRbjT5_S1E_jjP12ihipStream_tbEUljE_ZNSN_ISO_Lb1ESQ_SR_ST_SU_SY_EESZ_S10_S11_S12_S16_S17_S18_S1B_S1C_jS1D_jS1E_S1E_jjS1G_bEUljE0_EEESZ_S10_S11_S18_S1C_S1E_T6_T7_T9_mT8_S1G_bDpT10_ENKUlT_T0_E_clISt17integral_constantIbLb1EES1U_EEDaS1P_S1Q_EUlS1P_E_NS1_11comp_targetILNS1_3genE0ELNS1_11target_archE4294967295ELNS1_3gpuE0ELNS1_3repE0EEENS1_30default_config_static_selectorELNS0_4arch9wavefront6targetE0EEEvS12_
		.amdhsa_group_segment_fixed_size 0
		.amdhsa_private_segment_fixed_size 0
		.amdhsa_kernarg_size 184
		.amdhsa_user_sgpr_count 6
		.amdhsa_user_sgpr_private_segment_buffer 1
		.amdhsa_user_sgpr_dispatch_ptr 0
		.amdhsa_user_sgpr_queue_ptr 0
		.amdhsa_user_sgpr_kernarg_segment_ptr 1
		.amdhsa_user_sgpr_dispatch_id 0
		.amdhsa_user_sgpr_flat_scratch_init 0
		.amdhsa_user_sgpr_private_segment_size 0
		.amdhsa_wavefront_size32 1
		.amdhsa_uses_dynamic_stack 0
		.amdhsa_system_sgpr_private_segment_wavefront_offset 0
		.amdhsa_system_sgpr_workgroup_id_x 1
		.amdhsa_system_sgpr_workgroup_id_y 0
		.amdhsa_system_sgpr_workgroup_id_z 0
		.amdhsa_system_sgpr_workgroup_info 0
		.amdhsa_system_vgpr_workitem_id 0
		.amdhsa_next_free_vgpr 1
		.amdhsa_next_free_sgpr 1
		.amdhsa_reserve_vcc 0
		.amdhsa_reserve_flat_scratch 0
		.amdhsa_float_round_mode_32 0
		.amdhsa_float_round_mode_16_64 0
		.amdhsa_float_denorm_mode_32 3
		.amdhsa_float_denorm_mode_16_64 3
		.amdhsa_dx10_clamp 1
		.amdhsa_ieee_mode 1
		.amdhsa_fp16_overflow 0
		.amdhsa_workgroup_processor_mode 1
		.amdhsa_memory_ordered 1
		.amdhsa_forward_progress 1
		.amdhsa_shared_vgpr_count 0
		.amdhsa_exception_fp_ieee_invalid_op 0
		.amdhsa_exception_fp_denorm_src 0
		.amdhsa_exception_fp_ieee_div_zero 0
		.amdhsa_exception_fp_ieee_overflow 0
		.amdhsa_exception_fp_ieee_underflow 0
		.amdhsa_exception_fp_ieee_inexact 0
		.amdhsa_exception_int_div_zero 0
	.end_amdhsa_kernel
	.section	.text._ZN7rocprim17ROCPRIM_400000_NS6detail17trampoline_kernelINS0_13select_configILj256ELj13ELNS0_17block_load_methodE3ELS4_3ELS4_3ELNS0_20block_scan_algorithmE0ELj4294967295EEENS1_25partition_config_selectorILNS1_17partition_subalgoE4EjNS0_10empty_typeEbEEZZNS1_14partition_implILS8_4ELb0ES6_15HIP_vector_typeIjLj2EENS0_17counting_iteratorIjlEEPS9_SG_NS0_5tupleIJPjSI_NS0_16reverse_iteratorISI_EEEEENSH_IJSG_SG_SG_EEES9_SI_JZNS1_25segmented_radix_sort_implINS0_14default_configELb1EPKsPsPKlPlN2at6native12_GLOBAL__N_18offset_tEEE10hipError_tPvRmT1_PNSt15iterator_traitsIS12_E10value_typeET2_T3_PNS13_IS18_E10value_typeET4_jRbjT5_S1E_jjP12ihipStream_tbEUljE_ZNSN_ISO_Lb1ESQ_SR_ST_SU_SY_EESZ_S10_S11_S12_S16_S17_S18_S1B_S1C_jS1D_jS1E_S1E_jjS1G_bEUljE0_EEESZ_S10_S11_S18_S1C_S1E_T6_T7_T9_mT8_S1G_bDpT10_ENKUlT_T0_E_clISt17integral_constantIbLb1EES1U_EEDaS1P_S1Q_EUlS1P_E_NS1_11comp_targetILNS1_3genE0ELNS1_11target_archE4294967295ELNS1_3gpuE0ELNS1_3repE0EEENS1_30default_config_static_selectorELNS0_4arch9wavefront6targetE0EEEvS12_,"axG",@progbits,_ZN7rocprim17ROCPRIM_400000_NS6detail17trampoline_kernelINS0_13select_configILj256ELj13ELNS0_17block_load_methodE3ELS4_3ELS4_3ELNS0_20block_scan_algorithmE0ELj4294967295EEENS1_25partition_config_selectorILNS1_17partition_subalgoE4EjNS0_10empty_typeEbEEZZNS1_14partition_implILS8_4ELb0ES6_15HIP_vector_typeIjLj2EENS0_17counting_iteratorIjlEEPS9_SG_NS0_5tupleIJPjSI_NS0_16reverse_iteratorISI_EEEEENSH_IJSG_SG_SG_EEES9_SI_JZNS1_25segmented_radix_sort_implINS0_14default_configELb1EPKsPsPKlPlN2at6native12_GLOBAL__N_18offset_tEEE10hipError_tPvRmT1_PNSt15iterator_traitsIS12_E10value_typeET2_T3_PNS13_IS18_E10value_typeET4_jRbjT5_S1E_jjP12ihipStream_tbEUljE_ZNSN_ISO_Lb1ESQ_SR_ST_SU_SY_EESZ_S10_S11_S12_S16_S17_S18_S1B_S1C_jS1D_jS1E_S1E_jjS1G_bEUljE0_EEESZ_S10_S11_S18_S1C_S1E_T6_T7_T9_mT8_S1G_bDpT10_ENKUlT_T0_E_clISt17integral_constantIbLb1EES1U_EEDaS1P_S1Q_EUlS1P_E_NS1_11comp_targetILNS1_3genE0ELNS1_11target_archE4294967295ELNS1_3gpuE0ELNS1_3repE0EEENS1_30default_config_static_selectorELNS0_4arch9wavefront6targetE0EEEvS12_,comdat
.Lfunc_end849:
	.size	_ZN7rocprim17ROCPRIM_400000_NS6detail17trampoline_kernelINS0_13select_configILj256ELj13ELNS0_17block_load_methodE3ELS4_3ELS4_3ELNS0_20block_scan_algorithmE0ELj4294967295EEENS1_25partition_config_selectorILNS1_17partition_subalgoE4EjNS0_10empty_typeEbEEZZNS1_14partition_implILS8_4ELb0ES6_15HIP_vector_typeIjLj2EENS0_17counting_iteratorIjlEEPS9_SG_NS0_5tupleIJPjSI_NS0_16reverse_iteratorISI_EEEEENSH_IJSG_SG_SG_EEES9_SI_JZNS1_25segmented_radix_sort_implINS0_14default_configELb1EPKsPsPKlPlN2at6native12_GLOBAL__N_18offset_tEEE10hipError_tPvRmT1_PNSt15iterator_traitsIS12_E10value_typeET2_T3_PNS13_IS18_E10value_typeET4_jRbjT5_S1E_jjP12ihipStream_tbEUljE_ZNSN_ISO_Lb1ESQ_SR_ST_SU_SY_EESZ_S10_S11_S12_S16_S17_S18_S1B_S1C_jS1D_jS1E_S1E_jjS1G_bEUljE0_EEESZ_S10_S11_S18_S1C_S1E_T6_T7_T9_mT8_S1G_bDpT10_ENKUlT_T0_E_clISt17integral_constantIbLb1EES1U_EEDaS1P_S1Q_EUlS1P_E_NS1_11comp_targetILNS1_3genE0ELNS1_11target_archE4294967295ELNS1_3gpuE0ELNS1_3repE0EEENS1_30default_config_static_selectorELNS0_4arch9wavefront6targetE0EEEvS12_, .Lfunc_end849-_ZN7rocprim17ROCPRIM_400000_NS6detail17trampoline_kernelINS0_13select_configILj256ELj13ELNS0_17block_load_methodE3ELS4_3ELS4_3ELNS0_20block_scan_algorithmE0ELj4294967295EEENS1_25partition_config_selectorILNS1_17partition_subalgoE4EjNS0_10empty_typeEbEEZZNS1_14partition_implILS8_4ELb0ES6_15HIP_vector_typeIjLj2EENS0_17counting_iteratorIjlEEPS9_SG_NS0_5tupleIJPjSI_NS0_16reverse_iteratorISI_EEEEENSH_IJSG_SG_SG_EEES9_SI_JZNS1_25segmented_radix_sort_implINS0_14default_configELb1EPKsPsPKlPlN2at6native12_GLOBAL__N_18offset_tEEE10hipError_tPvRmT1_PNSt15iterator_traitsIS12_E10value_typeET2_T3_PNS13_IS18_E10value_typeET4_jRbjT5_S1E_jjP12ihipStream_tbEUljE_ZNSN_ISO_Lb1ESQ_SR_ST_SU_SY_EESZ_S10_S11_S12_S16_S17_S18_S1B_S1C_jS1D_jS1E_S1E_jjS1G_bEUljE0_EEESZ_S10_S11_S18_S1C_S1E_T6_T7_T9_mT8_S1G_bDpT10_ENKUlT_T0_E_clISt17integral_constantIbLb1EES1U_EEDaS1P_S1Q_EUlS1P_E_NS1_11comp_targetILNS1_3genE0ELNS1_11target_archE4294967295ELNS1_3gpuE0ELNS1_3repE0EEENS1_30default_config_static_selectorELNS0_4arch9wavefront6targetE0EEEvS12_
                                        ; -- End function
	.set _ZN7rocprim17ROCPRIM_400000_NS6detail17trampoline_kernelINS0_13select_configILj256ELj13ELNS0_17block_load_methodE3ELS4_3ELS4_3ELNS0_20block_scan_algorithmE0ELj4294967295EEENS1_25partition_config_selectorILNS1_17partition_subalgoE4EjNS0_10empty_typeEbEEZZNS1_14partition_implILS8_4ELb0ES6_15HIP_vector_typeIjLj2EENS0_17counting_iteratorIjlEEPS9_SG_NS0_5tupleIJPjSI_NS0_16reverse_iteratorISI_EEEEENSH_IJSG_SG_SG_EEES9_SI_JZNS1_25segmented_radix_sort_implINS0_14default_configELb1EPKsPsPKlPlN2at6native12_GLOBAL__N_18offset_tEEE10hipError_tPvRmT1_PNSt15iterator_traitsIS12_E10value_typeET2_T3_PNS13_IS18_E10value_typeET4_jRbjT5_S1E_jjP12ihipStream_tbEUljE_ZNSN_ISO_Lb1ESQ_SR_ST_SU_SY_EESZ_S10_S11_S12_S16_S17_S18_S1B_S1C_jS1D_jS1E_S1E_jjS1G_bEUljE0_EEESZ_S10_S11_S18_S1C_S1E_T6_T7_T9_mT8_S1G_bDpT10_ENKUlT_T0_E_clISt17integral_constantIbLb1EES1U_EEDaS1P_S1Q_EUlS1P_E_NS1_11comp_targetILNS1_3genE0ELNS1_11target_archE4294967295ELNS1_3gpuE0ELNS1_3repE0EEENS1_30default_config_static_selectorELNS0_4arch9wavefront6targetE0EEEvS12_.num_vgpr, 0
	.set _ZN7rocprim17ROCPRIM_400000_NS6detail17trampoline_kernelINS0_13select_configILj256ELj13ELNS0_17block_load_methodE3ELS4_3ELS4_3ELNS0_20block_scan_algorithmE0ELj4294967295EEENS1_25partition_config_selectorILNS1_17partition_subalgoE4EjNS0_10empty_typeEbEEZZNS1_14partition_implILS8_4ELb0ES6_15HIP_vector_typeIjLj2EENS0_17counting_iteratorIjlEEPS9_SG_NS0_5tupleIJPjSI_NS0_16reverse_iteratorISI_EEEEENSH_IJSG_SG_SG_EEES9_SI_JZNS1_25segmented_radix_sort_implINS0_14default_configELb1EPKsPsPKlPlN2at6native12_GLOBAL__N_18offset_tEEE10hipError_tPvRmT1_PNSt15iterator_traitsIS12_E10value_typeET2_T3_PNS13_IS18_E10value_typeET4_jRbjT5_S1E_jjP12ihipStream_tbEUljE_ZNSN_ISO_Lb1ESQ_SR_ST_SU_SY_EESZ_S10_S11_S12_S16_S17_S18_S1B_S1C_jS1D_jS1E_S1E_jjS1G_bEUljE0_EEESZ_S10_S11_S18_S1C_S1E_T6_T7_T9_mT8_S1G_bDpT10_ENKUlT_T0_E_clISt17integral_constantIbLb1EES1U_EEDaS1P_S1Q_EUlS1P_E_NS1_11comp_targetILNS1_3genE0ELNS1_11target_archE4294967295ELNS1_3gpuE0ELNS1_3repE0EEENS1_30default_config_static_selectorELNS0_4arch9wavefront6targetE0EEEvS12_.num_agpr, 0
	.set _ZN7rocprim17ROCPRIM_400000_NS6detail17trampoline_kernelINS0_13select_configILj256ELj13ELNS0_17block_load_methodE3ELS4_3ELS4_3ELNS0_20block_scan_algorithmE0ELj4294967295EEENS1_25partition_config_selectorILNS1_17partition_subalgoE4EjNS0_10empty_typeEbEEZZNS1_14partition_implILS8_4ELb0ES6_15HIP_vector_typeIjLj2EENS0_17counting_iteratorIjlEEPS9_SG_NS0_5tupleIJPjSI_NS0_16reverse_iteratorISI_EEEEENSH_IJSG_SG_SG_EEES9_SI_JZNS1_25segmented_radix_sort_implINS0_14default_configELb1EPKsPsPKlPlN2at6native12_GLOBAL__N_18offset_tEEE10hipError_tPvRmT1_PNSt15iterator_traitsIS12_E10value_typeET2_T3_PNS13_IS18_E10value_typeET4_jRbjT5_S1E_jjP12ihipStream_tbEUljE_ZNSN_ISO_Lb1ESQ_SR_ST_SU_SY_EESZ_S10_S11_S12_S16_S17_S18_S1B_S1C_jS1D_jS1E_S1E_jjS1G_bEUljE0_EEESZ_S10_S11_S18_S1C_S1E_T6_T7_T9_mT8_S1G_bDpT10_ENKUlT_T0_E_clISt17integral_constantIbLb1EES1U_EEDaS1P_S1Q_EUlS1P_E_NS1_11comp_targetILNS1_3genE0ELNS1_11target_archE4294967295ELNS1_3gpuE0ELNS1_3repE0EEENS1_30default_config_static_selectorELNS0_4arch9wavefront6targetE0EEEvS12_.numbered_sgpr, 0
	.set _ZN7rocprim17ROCPRIM_400000_NS6detail17trampoline_kernelINS0_13select_configILj256ELj13ELNS0_17block_load_methodE3ELS4_3ELS4_3ELNS0_20block_scan_algorithmE0ELj4294967295EEENS1_25partition_config_selectorILNS1_17partition_subalgoE4EjNS0_10empty_typeEbEEZZNS1_14partition_implILS8_4ELb0ES6_15HIP_vector_typeIjLj2EENS0_17counting_iteratorIjlEEPS9_SG_NS0_5tupleIJPjSI_NS0_16reverse_iteratorISI_EEEEENSH_IJSG_SG_SG_EEES9_SI_JZNS1_25segmented_radix_sort_implINS0_14default_configELb1EPKsPsPKlPlN2at6native12_GLOBAL__N_18offset_tEEE10hipError_tPvRmT1_PNSt15iterator_traitsIS12_E10value_typeET2_T3_PNS13_IS18_E10value_typeET4_jRbjT5_S1E_jjP12ihipStream_tbEUljE_ZNSN_ISO_Lb1ESQ_SR_ST_SU_SY_EESZ_S10_S11_S12_S16_S17_S18_S1B_S1C_jS1D_jS1E_S1E_jjS1G_bEUljE0_EEESZ_S10_S11_S18_S1C_S1E_T6_T7_T9_mT8_S1G_bDpT10_ENKUlT_T0_E_clISt17integral_constantIbLb1EES1U_EEDaS1P_S1Q_EUlS1P_E_NS1_11comp_targetILNS1_3genE0ELNS1_11target_archE4294967295ELNS1_3gpuE0ELNS1_3repE0EEENS1_30default_config_static_selectorELNS0_4arch9wavefront6targetE0EEEvS12_.num_named_barrier, 0
	.set _ZN7rocprim17ROCPRIM_400000_NS6detail17trampoline_kernelINS0_13select_configILj256ELj13ELNS0_17block_load_methodE3ELS4_3ELS4_3ELNS0_20block_scan_algorithmE0ELj4294967295EEENS1_25partition_config_selectorILNS1_17partition_subalgoE4EjNS0_10empty_typeEbEEZZNS1_14partition_implILS8_4ELb0ES6_15HIP_vector_typeIjLj2EENS0_17counting_iteratorIjlEEPS9_SG_NS0_5tupleIJPjSI_NS0_16reverse_iteratorISI_EEEEENSH_IJSG_SG_SG_EEES9_SI_JZNS1_25segmented_radix_sort_implINS0_14default_configELb1EPKsPsPKlPlN2at6native12_GLOBAL__N_18offset_tEEE10hipError_tPvRmT1_PNSt15iterator_traitsIS12_E10value_typeET2_T3_PNS13_IS18_E10value_typeET4_jRbjT5_S1E_jjP12ihipStream_tbEUljE_ZNSN_ISO_Lb1ESQ_SR_ST_SU_SY_EESZ_S10_S11_S12_S16_S17_S18_S1B_S1C_jS1D_jS1E_S1E_jjS1G_bEUljE0_EEESZ_S10_S11_S18_S1C_S1E_T6_T7_T9_mT8_S1G_bDpT10_ENKUlT_T0_E_clISt17integral_constantIbLb1EES1U_EEDaS1P_S1Q_EUlS1P_E_NS1_11comp_targetILNS1_3genE0ELNS1_11target_archE4294967295ELNS1_3gpuE0ELNS1_3repE0EEENS1_30default_config_static_selectorELNS0_4arch9wavefront6targetE0EEEvS12_.private_seg_size, 0
	.set _ZN7rocprim17ROCPRIM_400000_NS6detail17trampoline_kernelINS0_13select_configILj256ELj13ELNS0_17block_load_methodE3ELS4_3ELS4_3ELNS0_20block_scan_algorithmE0ELj4294967295EEENS1_25partition_config_selectorILNS1_17partition_subalgoE4EjNS0_10empty_typeEbEEZZNS1_14partition_implILS8_4ELb0ES6_15HIP_vector_typeIjLj2EENS0_17counting_iteratorIjlEEPS9_SG_NS0_5tupleIJPjSI_NS0_16reverse_iteratorISI_EEEEENSH_IJSG_SG_SG_EEES9_SI_JZNS1_25segmented_radix_sort_implINS0_14default_configELb1EPKsPsPKlPlN2at6native12_GLOBAL__N_18offset_tEEE10hipError_tPvRmT1_PNSt15iterator_traitsIS12_E10value_typeET2_T3_PNS13_IS18_E10value_typeET4_jRbjT5_S1E_jjP12ihipStream_tbEUljE_ZNSN_ISO_Lb1ESQ_SR_ST_SU_SY_EESZ_S10_S11_S12_S16_S17_S18_S1B_S1C_jS1D_jS1E_S1E_jjS1G_bEUljE0_EEESZ_S10_S11_S18_S1C_S1E_T6_T7_T9_mT8_S1G_bDpT10_ENKUlT_T0_E_clISt17integral_constantIbLb1EES1U_EEDaS1P_S1Q_EUlS1P_E_NS1_11comp_targetILNS1_3genE0ELNS1_11target_archE4294967295ELNS1_3gpuE0ELNS1_3repE0EEENS1_30default_config_static_selectorELNS0_4arch9wavefront6targetE0EEEvS12_.uses_vcc, 0
	.set _ZN7rocprim17ROCPRIM_400000_NS6detail17trampoline_kernelINS0_13select_configILj256ELj13ELNS0_17block_load_methodE3ELS4_3ELS4_3ELNS0_20block_scan_algorithmE0ELj4294967295EEENS1_25partition_config_selectorILNS1_17partition_subalgoE4EjNS0_10empty_typeEbEEZZNS1_14partition_implILS8_4ELb0ES6_15HIP_vector_typeIjLj2EENS0_17counting_iteratorIjlEEPS9_SG_NS0_5tupleIJPjSI_NS0_16reverse_iteratorISI_EEEEENSH_IJSG_SG_SG_EEES9_SI_JZNS1_25segmented_radix_sort_implINS0_14default_configELb1EPKsPsPKlPlN2at6native12_GLOBAL__N_18offset_tEEE10hipError_tPvRmT1_PNSt15iterator_traitsIS12_E10value_typeET2_T3_PNS13_IS18_E10value_typeET4_jRbjT5_S1E_jjP12ihipStream_tbEUljE_ZNSN_ISO_Lb1ESQ_SR_ST_SU_SY_EESZ_S10_S11_S12_S16_S17_S18_S1B_S1C_jS1D_jS1E_S1E_jjS1G_bEUljE0_EEESZ_S10_S11_S18_S1C_S1E_T6_T7_T9_mT8_S1G_bDpT10_ENKUlT_T0_E_clISt17integral_constantIbLb1EES1U_EEDaS1P_S1Q_EUlS1P_E_NS1_11comp_targetILNS1_3genE0ELNS1_11target_archE4294967295ELNS1_3gpuE0ELNS1_3repE0EEENS1_30default_config_static_selectorELNS0_4arch9wavefront6targetE0EEEvS12_.uses_flat_scratch, 0
	.set _ZN7rocprim17ROCPRIM_400000_NS6detail17trampoline_kernelINS0_13select_configILj256ELj13ELNS0_17block_load_methodE3ELS4_3ELS4_3ELNS0_20block_scan_algorithmE0ELj4294967295EEENS1_25partition_config_selectorILNS1_17partition_subalgoE4EjNS0_10empty_typeEbEEZZNS1_14partition_implILS8_4ELb0ES6_15HIP_vector_typeIjLj2EENS0_17counting_iteratorIjlEEPS9_SG_NS0_5tupleIJPjSI_NS0_16reverse_iteratorISI_EEEEENSH_IJSG_SG_SG_EEES9_SI_JZNS1_25segmented_radix_sort_implINS0_14default_configELb1EPKsPsPKlPlN2at6native12_GLOBAL__N_18offset_tEEE10hipError_tPvRmT1_PNSt15iterator_traitsIS12_E10value_typeET2_T3_PNS13_IS18_E10value_typeET4_jRbjT5_S1E_jjP12ihipStream_tbEUljE_ZNSN_ISO_Lb1ESQ_SR_ST_SU_SY_EESZ_S10_S11_S12_S16_S17_S18_S1B_S1C_jS1D_jS1E_S1E_jjS1G_bEUljE0_EEESZ_S10_S11_S18_S1C_S1E_T6_T7_T9_mT8_S1G_bDpT10_ENKUlT_T0_E_clISt17integral_constantIbLb1EES1U_EEDaS1P_S1Q_EUlS1P_E_NS1_11comp_targetILNS1_3genE0ELNS1_11target_archE4294967295ELNS1_3gpuE0ELNS1_3repE0EEENS1_30default_config_static_selectorELNS0_4arch9wavefront6targetE0EEEvS12_.has_dyn_sized_stack, 0
	.set _ZN7rocprim17ROCPRIM_400000_NS6detail17trampoline_kernelINS0_13select_configILj256ELj13ELNS0_17block_load_methodE3ELS4_3ELS4_3ELNS0_20block_scan_algorithmE0ELj4294967295EEENS1_25partition_config_selectorILNS1_17partition_subalgoE4EjNS0_10empty_typeEbEEZZNS1_14partition_implILS8_4ELb0ES6_15HIP_vector_typeIjLj2EENS0_17counting_iteratorIjlEEPS9_SG_NS0_5tupleIJPjSI_NS0_16reverse_iteratorISI_EEEEENSH_IJSG_SG_SG_EEES9_SI_JZNS1_25segmented_radix_sort_implINS0_14default_configELb1EPKsPsPKlPlN2at6native12_GLOBAL__N_18offset_tEEE10hipError_tPvRmT1_PNSt15iterator_traitsIS12_E10value_typeET2_T3_PNS13_IS18_E10value_typeET4_jRbjT5_S1E_jjP12ihipStream_tbEUljE_ZNSN_ISO_Lb1ESQ_SR_ST_SU_SY_EESZ_S10_S11_S12_S16_S17_S18_S1B_S1C_jS1D_jS1E_S1E_jjS1G_bEUljE0_EEESZ_S10_S11_S18_S1C_S1E_T6_T7_T9_mT8_S1G_bDpT10_ENKUlT_T0_E_clISt17integral_constantIbLb1EES1U_EEDaS1P_S1Q_EUlS1P_E_NS1_11comp_targetILNS1_3genE0ELNS1_11target_archE4294967295ELNS1_3gpuE0ELNS1_3repE0EEENS1_30default_config_static_selectorELNS0_4arch9wavefront6targetE0EEEvS12_.has_recursion, 0
	.set _ZN7rocprim17ROCPRIM_400000_NS6detail17trampoline_kernelINS0_13select_configILj256ELj13ELNS0_17block_load_methodE3ELS4_3ELS4_3ELNS0_20block_scan_algorithmE0ELj4294967295EEENS1_25partition_config_selectorILNS1_17partition_subalgoE4EjNS0_10empty_typeEbEEZZNS1_14partition_implILS8_4ELb0ES6_15HIP_vector_typeIjLj2EENS0_17counting_iteratorIjlEEPS9_SG_NS0_5tupleIJPjSI_NS0_16reverse_iteratorISI_EEEEENSH_IJSG_SG_SG_EEES9_SI_JZNS1_25segmented_radix_sort_implINS0_14default_configELb1EPKsPsPKlPlN2at6native12_GLOBAL__N_18offset_tEEE10hipError_tPvRmT1_PNSt15iterator_traitsIS12_E10value_typeET2_T3_PNS13_IS18_E10value_typeET4_jRbjT5_S1E_jjP12ihipStream_tbEUljE_ZNSN_ISO_Lb1ESQ_SR_ST_SU_SY_EESZ_S10_S11_S12_S16_S17_S18_S1B_S1C_jS1D_jS1E_S1E_jjS1G_bEUljE0_EEESZ_S10_S11_S18_S1C_S1E_T6_T7_T9_mT8_S1G_bDpT10_ENKUlT_T0_E_clISt17integral_constantIbLb1EES1U_EEDaS1P_S1Q_EUlS1P_E_NS1_11comp_targetILNS1_3genE0ELNS1_11target_archE4294967295ELNS1_3gpuE0ELNS1_3repE0EEENS1_30default_config_static_selectorELNS0_4arch9wavefront6targetE0EEEvS12_.has_indirect_call, 0
	.section	.AMDGPU.csdata,"",@progbits
; Kernel info:
; codeLenInByte = 0
; TotalNumSgprs: 0
; NumVgprs: 0
; ScratchSize: 0
; MemoryBound: 0
; FloatMode: 240
; IeeeMode: 1
; LDSByteSize: 0 bytes/workgroup (compile time only)
; SGPRBlocks: 0
; VGPRBlocks: 0
; NumSGPRsForWavesPerEU: 1
; NumVGPRsForWavesPerEU: 1
; Occupancy: 16
; WaveLimiterHint : 0
; COMPUTE_PGM_RSRC2:SCRATCH_EN: 0
; COMPUTE_PGM_RSRC2:USER_SGPR: 6
; COMPUTE_PGM_RSRC2:TRAP_HANDLER: 0
; COMPUTE_PGM_RSRC2:TGID_X_EN: 1
; COMPUTE_PGM_RSRC2:TGID_Y_EN: 0
; COMPUTE_PGM_RSRC2:TGID_Z_EN: 0
; COMPUTE_PGM_RSRC2:TIDIG_COMP_CNT: 0
	.section	.text._ZN7rocprim17ROCPRIM_400000_NS6detail17trampoline_kernelINS0_13select_configILj256ELj13ELNS0_17block_load_methodE3ELS4_3ELS4_3ELNS0_20block_scan_algorithmE0ELj4294967295EEENS1_25partition_config_selectorILNS1_17partition_subalgoE4EjNS0_10empty_typeEbEEZZNS1_14partition_implILS8_4ELb0ES6_15HIP_vector_typeIjLj2EENS0_17counting_iteratorIjlEEPS9_SG_NS0_5tupleIJPjSI_NS0_16reverse_iteratorISI_EEEEENSH_IJSG_SG_SG_EEES9_SI_JZNS1_25segmented_radix_sort_implINS0_14default_configELb1EPKsPsPKlPlN2at6native12_GLOBAL__N_18offset_tEEE10hipError_tPvRmT1_PNSt15iterator_traitsIS12_E10value_typeET2_T3_PNS13_IS18_E10value_typeET4_jRbjT5_S1E_jjP12ihipStream_tbEUljE_ZNSN_ISO_Lb1ESQ_SR_ST_SU_SY_EESZ_S10_S11_S12_S16_S17_S18_S1B_S1C_jS1D_jS1E_S1E_jjS1G_bEUljE0_EEESZ_S10_S11_S18_S1C_S1E_T6_T7_T9_mT8_S1G_bDpT10_ENKUlT_T0_E_clISt17integral_constantIbLb1EES1U_EEDaS1P_S1Q_EUlS1P_E_NS1_11comp_targetILNS1_3genE5ELNS1_11target_archE942ELNS1_3gpuE9ELNS1_3repE0EEENS1_30default_config_static_selectorELNS0_4arch9wavefront6targetE0EEEvS12_,"axG",@progbits,_ZN7rocprim17ROCPRIM_400000_NS6detail17trampoline_kernelINS0_13select_configILj256ELj13ELNS0_17block_load_methodE3ELS4_3ELS4_3ELNS0_20block_scan_algorithmE0ELj4294967295EEENS1_25partition_config_selectorILNS1_17partition_subalgoE4EjNS0_10empty_typeEbEEZZNS1_14partition_implILS8_4ELb0ES6_15HIP_vector_typeIjLj2EENS0_17counting_iteratorIjlEEPS9_SG_NS0_5tupleIJPjSI_NS0_16reverse_iteratorISI_EEEEENSH_IJSG_SG_SG_EEES9_SI_JZNS1_25segmented_radix_sort_implINS0_14default_configELb1EPKsPsPKlPlN2at6native12_GLOBAL__N_18offset_tEEE10hipError_tPvRmT1_PNSt15iterator_traitsIS12_E10value_typeET2_T3_PNS13_IS18_E10value_typeET4_jRbjT5_S1E_jjP12ihipStream_tbEUljE_ZNSN_ISO_Lb1ESQ_SR_ST_SU_SY_EESZ_S10_S11_S12_S16_S17_S18_S1B_S1C_jS1D_jS1E_S1E_jjS1G_bEUljE0_EEESZ_S10_S11_S18_S1C_S1E_T6_T7_T9_mT8_S1G_bDpT10_ENKUlT_T0_E_clISt17integral_constantIbLb1EES1U_EEDaS1P_S1Q_EUlS1P_E_NS1_11comp_targetILNS1_3genE5ELNS1_11target_archE942ELNS1_3gpuE9ELNS1_3repE0EEENS1_30default_config_static_selectorELNS0_4arch9wavefront6targetE0EEEvS12_,comdat
	.globl	_ZN7rocprim17ROCPRIM_400000_NS6detail17trampoline_kernelINS0_13select_configILj256ELj13ELNS0_17block_load_methodE3ELS4_3ELS4_3ELNS0_20block_scan_algorithmE0ELj4294967295EEENS1_25partition_config_selectorILNS1_17partition_subalgoE4EjNS0_10empty_typeEbEEZZNS1_14partition_implILS8_4ELb0ES6_15HIP_vector_typeIjLj2EENS0_17counting_iteratorIjlEEPS9_SG_NS0_5tupleIJPjSI_NS0_16reverse_iteratorISI_EEEEENSH_IJSG_SG_SG_EEES9_SI_JZNS1_25segmented_radix_sort_implINS0_14default_configELb1EPKsPsPKlPlN2at6native12_GLOBAL__N_18offset_tEEE10hipError_tPvRmT1_PNSt15iterator_traitsIS12_E10value_typeET2_T3_PNS13_IS18_E10value_typeET4_jRbjT5_S1E_jjP12ihipStream_tbEUljE_ZNSN_ISO_Lb1ESQ_SR_ST_SU_SY_EESZ_S10_S11_S12_S16_S17_S18_S1B_S1C_jS1D_jS1E_S1E_jjS1G_bEUljE0_EEESZ_S10_S11_S18_S1C_S1E_T6_T7_T9_mT8_S1G_bDpT10_ENKUlT_T0_E_clISt17integral_constantIbLb1EES1U_EEDaS1P_S1Q_EUlS1P_E_NS1_11comp_targetILNS1_3genE5ELNS1_11target_archE942ELNS1_3gpuE9ELNS1_3repE0EEENS1_30default_config_static_selectorELNS0_4arch9wavefront6targetE0EEEvS12_ ; -- Begin function _ZN7rocprim17ROCPRIM_400000_NS6detail17trampoline_kernelINS0_13select_configILj256ELj13ELNS0_17block_load_methodE3ELS4_3ELS4_3ELNS0_20block_scan_algorithmE0ELj4294967295EEENS1_25partition_config_selectorILNS1_17partition_subalgoE4EjNS0_10empty_typeEbEEZZNS1_14partition_implILS8_4ELb0ES6_15HIP_vector_typeIjLj2EENS0_17counting_iteratorIjlEEPS9_SG_NS0_5tupleIJPjSI_NS0_16reverse_iteratorISI_EEEEENSH_IJSG_SG_SG_EEES9_SI_JZNS1_25segmented_radix_sort_implINS0_14default_configELb1EPKsPsPKlPlN2at6native12_GLOBAL__N_18offset_tEEE10hipError_tPvRmT1_PNSt15iterator_traitsIS12_E10value_typeET2_T3_PNS13_IS18_E10value_typeET4_jRbjT5_S1E_jjP12ihipStream_tbEUljE_ZNSN_ISO_Lb1ESQ_SR_ST_SU_SY_EESZ_S10_S11_S12_S16_S17_S18_S1B_S1C_jS1D_jS1E_S1E_jjS1G_bEUljE0_EEESZ_S10_S11_S18_S1C_S1E_T6_T7_T9_mT8_S1G_bDpT10_ENKUlT_T0_E_clISt17integral_constantIbLb1EES1U_EEDaS1P_S1Q_EUlS1P_E_NS1_11comp_targetILNS1_3genE5ELNS1_11target_archE942ELNS1_3gpuE9ELNS1_3repE0EEENS1_30default_config_static_selectorELNS0_4arch9wavefront6targetE0EEEvS12_
	.p2align	8
	.type	_ZN7rocprim17ROCPRIM_400000_NS6detail17trampoline_kernelINS0_13select_configILj256ELj13ELNS0_17block_load_methodE3ELS4_3ELS4_3ELNS0_20block_scan_algorithmE0ELj4294967295EEENS1_25partition_config_selectorILNS1_17partition_subalgoE4EjNS0_10empty_typeEbEEZZNS1_14partition_implILS8_4ELb0ES6_15HIP_vector_typeIjLj2EENS0_17counting_iteratorIjlEEPS9_SG_NS0_5tupleIJPjSI_NS0_16reverse_iteratorISI_EEEEENSH_IJSG_SG_SG_EEES9_SI_JZNS1_25segmented_radix_sort_implINS0_14default_configELb1EPKsPsPKlPlN2at6native12_GLOBAL__N_18offset_tEEE10hipError_tPvRmT1_PNSt15iterator_traitsIS12_E10value_typeET2_T3_PNS13_IS18_E10value_typeET4_jRbjT5_S1E_jjP12ihipStream_tbEUljE_ZNSN_ISO_Lb1ESQ_SR_ST_SU_SY_EESZ_S10_S11_S12_S16_S17_S18_S1B_S1C_jS1D_jS1E_S1E_jjS1G_bEUljE0_EEESZ_S10_S11_S18_S1C_S1E_T6_T7_T9_mT8_S1G_bDpT10_ENKUlT_T0_E_clISt17integral_constantIbLb1EES1U_EEDaS1P_S1Q_EUlS1P_E_NS1_11comp_targetILNS1_3genE5ELNS1_11target_archE942ELNS1_3gpuE9ELNS1_3repE0EEENS1_30default_config_static_selectorELNS0_4arch9wavefront6targetE0EEEvS12_,@function
_ZN7rocprim17ROCPRIM_400000_NS6detail17trampoline_kernelINS0_13select_configILj256ELj13ELNS0_17block_load_methodE3ELS4_3ELS4_3ELNS0_20block_scan_algorithmE0ELj4294967295EEENS1_25partition_config_selectorILNS1_17partition_subalgoE4EjNS0_10empty_typeEbEEZZNS1_14partition_implILS8_4ELb0ES6_15HIP_vector_typeIjLj2EENS0_17counting_iteratorIjlEEPS9_SG_NS0_5tupleIJPjSI_NS0_16reverse_iteratorISI_EEEEENSH_IJSG_SG_SG_EEES9_SI_JZNS1_25segmented_radix_sort_implINS0_14default_configELb1EPKsPsPKlPlN2at6native12_GLOBAL__N_18offset_tEEE10hipError_tPvRmT1_PNSt15iterator_traitsIS12_E10value_typeET2_T3_PNS13_IS18_E10value_typeET4_jRbjT5_S1E_jjP12ihipStream_tbEUljE_ZNSN_ISO_Lb1ESQ_SR_ST_SU_SY_EESZ_S10_S11_S12_S16_S17_S18_S1B_S1C_jS1D_jS1E_S1E_jjS1G_bEUljE0_EEESZ_S10_S11_S18_S1C_S1E_T6_T7_T9_mT8_S1G_bDpT10_ENKUlT_T0_E_clISt17integral_constantIbLb1EES1U_EEDaS1P_S1Q_EUlS1P_E_NS1_11comp_targetILNS1_3genE5ELNS1_11target_archE942ELNS1_3gpuE9ELNS1_3repE0EEENS1_30default_config_static_selectorELNS0_4arch9wavefront6targetE0EEEvS12_: ; @_ZN7rocprim17ROCPRIM_400000_NS6detail17trampoline_kernelINS0_13select_configILj256ELj13ELNS0_17block_load_methodE3ELS4_3ELS4_3ELNS0_20block_scan_algorithmE0ELj4294967295EEENS1_25partition_config_selectorILNS1_17partition_subalgoE4EjNS0_10empty_typeEbEEZZNS1_14partition_implILS8_4ELb0ES6_15HIP_vector_typeIjLj2EENS0_17counting_iteratorIjlEEPS9_SG_NS0_5tupleIJPjSI_NS0_16reverse_iteratorISI_EEEEENSH_IJSG_SG_SG_EEES9_SI_JZNS1_25segmented_radix_sort_implINS0_14default_configELb1EPKsPsPKlPlN2at6native12_GLOBAL__N_18offset_tEEE10hipError_tPvRmT1_PNSt15iterator_traitsIS12_E10value_typeET2_T3_PNS13_IS18_E10value_typeET4_jRbjT5_S1E_jjP12ihipStream_tbEUljE_ZNSN_ISO_Lb1ESQ_SR_ST_SU_SY_EESZ_S10_S11_S12_S16_S17_S18_S1B_S1C_jS1D_jS1E_S1E_jjS1G_bEUljE0_EEESZ_S10_S11_S18_S1C_S1E_T6_T7_T9_mT8_S1G_bDpT10_ENKUlT_T0_E_clISt17integral_constantIbLb1EES1U_EEDaS1P_S1Q_EUlS1P_E_NS1_11comp_targetILNS1_3genE5ELNS1_11target_archE942ELNS1_3gpuE9ELNS1_3repE0EEENS1_30default_config_static_selectorELNS0_4arch9wavefront6targetE0EEEvS12_
; %bb.0:
	.section	.rodata,"a",@progbits
	.p2align	6, 0x0
	.amdhsa_kernel _ZN7rocprim17ROCPRIM_400000_NS6detail17trampoline_kernelINS0_13select_configILj256ELj13ELNS0_17block_load_methodE3ELS4_3ELS4_3ELNS0_20block_scan_algorithmE0ELj4294967295EEENS1_25partition_config_selectorILNS1_17partition_subalgoE4EjNS0_10empty_typeEbEEZZNS1_14partition_implILS8_4ELb0ES6_15HIP_vector_typeIjLj2EENS0_17counting_iteratorIjlEEPS9_SG_NS0_5tupleIJPjSI_NS0_16reverse_iteratorISI_EEEEENSH_IJSG_SG_SG_EEES9_SI_JZNS1_25segmented_radix_sort_implINS0_14default_configELb1EPKsPsPKlPlN2at6native12_GLOBAL__N_18offset_tEEE10hipError_tPvRmT1_PNSt15iterator_traitsIS12_E10value_typeET2_T3_PNS13_IS18_E10value_typeET4_jRbjT5_S1E_jjP12ihipStream_tbEUljE_ZNSN_ISO_Lb1ESQ_SR_ST_SU_SY_EESZ_S10_S11_S12_S16_S17_S18_S1B_S1C_jS1D_jS1E_S1E_jjS1G_bEUljE0_EEESZ_S10_S11_S18_S1C_S1E_T6_T7_T9_mT8_S1G_bDpT10_ENKUlT_T0_E_clISt17integral_constantIbLb1EES1U_EEDaS1P_S1Q_EUlS1P_E_NS1_11comp_targetILNS1_3genE5ELNS1_11target_archE942ELNS1_3gpuE9ELNS1_3repE0EEENS1_30default_config_static_selectorELNS0_4arch9wavefront6targetE0EEEvS12_
		.amdhsa_group_segment_fixed_size 0
		.amdhsa_private_segment_fixed_size 0
		.amdhsa_kernarg_size 184
		.amdhsa_user_sgpr_count 6
		.amdhsa_user_sgpr_private_segment_buffer 1
		.amdhsa_user_sgpr_dispatch_ptr 0
		.amdhsa_user_sgpr_queue_ptr 0
		.amdhsa_user_sgpr_kernarg_segment_ptr 1
		.amdhsa_user_sgpr_dispatch_id 0
		.amdhsa_user_sgpr_flat_scratch_init 0
		.amdhsa_user_sgpr_private_segment_size 0
		.amdhsa_wavefront_size32 1
		.amdhsa_uses_dynamic_stack 0
		.amdhsa_system_sgpr_private_segment_wavefront_offset 0
		.amdhsa_system_sgpr_workgroup_id_x 1
		.amdhsa_system_sgpr_workgroup_id_y 0
		.amdhsa_system_sgpr_workgroup_id_z 0
		.amdhsa_system_sgpr_workgroup_info 0
		.amdhsa_system_vgpr_workitem_id 0
		.amdhsa_next_free_vgpr 1
		.amdhsa_next_free_sgpr 1
		.amdhsa_reserve_vcc 0
		.amdhsa_reserve_flat_scratch 0
		.amdhsa_float_round_mode_32 0
		.amdhsa_float_round_mode_16_64 0
		.amdhsa_float_denorm_mode_32 3
		.amdhsa_float_denorm_mode_16_64 3
		.amdhsa_dx10_clamp 1
		.amdhsa_ieee_mode 1
		.amdhsa_fp16_overflow 0
		.amdhsa_workgroup_processor_mode 1
		.amdhsa_memory_ordered 1
		.amdhsa_forward_progress 1
		.amdhsa_shared_vgpr_count 0
		.amdhsa_exception_fp_ieee_invalid_op 0
		.amdhsa_exception_fp_denorm_src 0
		.amdhsa_exception_fp_ieee_div_zero 0
		.amdhsa_exception_fp_ieee_overflow 0
		.amdhsa_exception_fp_ieee_underflow 0
		.amdhsa_exception_fp_ieee_inexact 0
		.amdhsa_exception_int_div_zero 0
	.end_amdhsa_kernel
	.section	.text._ZN7rocprim17ROCPRIM_400000_NS6detail17trampoline_kernelINS0_13select_configILj256ELj13ELNS0_17block_load_methodE3ELS4_3ELS4_3ELNS0_20block_scan_algorithmE0ELj4294967295EEENS1_25partition_config_selectorILNS1_17partition_subalgoE4EjNS0_10empty_typeEbEEZZNS1_14partition_implILS8_4ELb0ES6_15HIP_vector_typeIjLj2EENS0_17counting_iteratorIjlEEPS9_SG_NS0_5tupleIJPjSI_NS0_16reverse_iteratorISI_EEEEENSH_IJSG_SG_SG_EEES9_SI_JZNS1_25segmented_radix_sort_implINS0_14default_configELb1EPKsPsPKlPlN2at6native12_GLOBAL__N_18offset_tEEE10hipError_tPvRmT1_PNSt15iterator_traitsIS12_E10value_typeET2_T3_PNS13_IS18_E10value_typeET4_jRbjT5_S1E_jjP12ihipStream_tbEUljE_ZNSN_ISO_Lb1ESQ_SR_ST_SU_SY_EESZ_S10_S11_S12_S16_S17_S18_S1B_S1C_jS1D_jS1E_S1E_jjS1G_bEUljE0_EEESZ_S10_S11_S18_S1C_S1E_T6_T7_T9_mT8_S1G_bDpT10_ENKUlT_T0_E_clISt17integral_constantIbLb1EES1U_EEDaS1P_S1Q_EUlS1P_E_NS1_11comp_targetILNS1_3genE5ELNS1_11target_archE942ELNS1_3gpuE9ELNS1_3repE0EEENS1_30default_config_static_selectorELNS0_4arch9wavefront6targetE0EEEvS12_,"axG",@progbits,_ZN7rocprim17ROCPRIM_400000_NS6detail17trampoline_kernelINS0_13select_configILj256ELj13ELNS0_17block_load_methodE3ELS4_3ELS4_3ELNS0_20block_scan_algorithmE0ELj4294967295EEENS1_25partition_config_selectorILNS1_17partition_subalgoE4EjNS0_10empty_typeEbEEZZNS1_14partition_implILS8_4ELb0ES6_15HIP_vector_typeIjLj2EENS0_17counting_iteratorIjlEEPS9_SG_NS0_5tupleIJPjSI_NS0_16reverse_iteratorISI_EEEEENSH_IJSG_SG_SG_EEES9_SI_JZNS1_25segmented_radix_sort_implINS0_14default_configELb1EPKsPsPKlPlN2at6native12_GLOBAL__N_18offset_tEEE10hipError_tPvRmT1_PNSt15iterator_traitsIS12_E10value_typeET2_T3_PNS13_IS18_E10value_typeET4_jRbjT5_S1E_jjP12ihipStream_tbEUljE_ZNSN_ISO_Lb1ESQ_SR_ST_SU_SY_EESZ_S10_S11_S12_S16_S17_S18_S1B_S1C_jS1D_jS1E_S1E_jjS1G_bEUljE0_EEESZ_S10_S11_S18_S1C_S1E_T6_T7_T9_mT8_S1G_bDpT10_ENKUlT_T0_E_clISt17integral_constantIbLb1EES1U_EEDaS1P_S1Q_EUlS1P_E_NS1_11comp_targetILNS1_3genE5ELNS1_11target_archE942ELNS1_3gpuE9ELNS1_3repE0EEENS1_30default_config_static_selectorELNS0_4arch9wavefront6targetE0EEEvS12_,comdat
.Lfunc_end850:
	.size	_ZN7rocprim17ROCPRIM_400000_NS6detail17trampoline_kernelINS0_13select_configILj256ELj13ELNS0_17block_load_methodE3ELS4_3ELS4_3ELNS0_20block_scan_algorithmE0ELj4294967295EEENS1_25partition_config_selectorILNS1_17partition_subalgoE4EjNS0_10empty_typeEbEEZZNS1_14partition_implILS8_4ELb0ES6_15HIP_vector_typeIjLj2EENS0_17counting_iteratorIjlEEPS9_SG_NS0_5tupleIJPjSI_NS0_16reverse_iteratorISI_EEEEENSH_IJSG_SG_SG_EEES9_SI_JZNS1_25segmented_radix_sort_implINS0_14default_configELb1EPKsPsPKlPlN2at6native12_GLOBAL__N_18offset_tEEE10hipError_tPvRmT1_PNSt15iterator_traitsIS12_E10value_typeET2_T3_PNS13_IS18_E10value_typeET4_jRbjT5_S1E_jjP12ihipStream_tbEUljE_ZNSN_ISO_Lb1ESQ_SR_ST_SU_SY_EESZ_S10_S11_S12_S16_S17_S18_S1B_S1C_jS1D_jS1E_S1E_jjS1G_bEUljE0_EEESZ_S10_S11_S18_S1C_S1E_T6_T7_T9_mT8_S1G_bDpT10_ENKUlT_T0_E_clISt17integral_constantIbLb1EES1U_EEDaS1P_S1Q_EUlS1P_E_NS1_11comp_targetILNS1_3genE5ELNS1_11target_archE942ELNS1_3gpuE9ELNS1_3repE0EEENS1_30default_config_static_selectorELNS0_4arch9wavefront6targetE0EEEvS12_, .Lfunc_end850-_ZN7rocprim17ROCPRIM_400000_NS6detail17trampoline_kernelINS0_13select_configILj256ELj13ELNS0_17block_load_methodE3ELS4_3ELS4_3ELNS0_20block_scan_algorithmE0ELj4294967295EEENS1_25partition_config_selectorILNS1_17partition_subalgoE4EjNS0_10empty_typeEbEEZZNS1_14partition_implILS8_4ELb0ES6_15HIP_vector_typeIjLj2EENS0_17counting_iteratorIjlEEPS9_SG_NS0_5tupleIJPjSI_NS0_16reverse_iteratorISI_EEEEENSH_IJSG_SG_SG_EEES9_SI_JZNS1_25segmented_radix_sort_implINS0_14default_configELb1EPKsPsPKlPlN2at6native12_GLOBAL__N_18offset_tEEE10hipError_tPvRmT1_PNSt15iterator_traitsIS12_E10value_typeET2_T3_PNS13_IS18_E10value_typeET4_jRbjT5_S1E_jjP12ihipStream_tbEUljE_ZNSN_ISO_Lb1ESQ_SR_ST_SU_SY_EESZ_S10_S11_S12_S16_S17_S18_S1B_S1C_jS1D_jS1E_S1E_jjS1G_bEUljE0_EEESZ_S10_S11_S18_S1C_S1E_T6_T7_T9_mT8_S1G_bDpT10_ENKUlT_T0_E_clISt17integral_constantIbLb1EES1U_EEDaS1P_S1Q_EUlS1P_E_NS1_11comp_targetILNS1_3genE5ELNS1_11target_archE942ELNS1_3gpuE9ELNS1_3repE0EEENS1_30default_config_static_selectorELNS0_4arch9wavefront6targetE0EEEvS12_
                                        ; -- End function
	.set _ZN7rocprim17ROCPRIM_400000_NS6detail17trampoline_kernelINS0_13select_configILj256ELj13ELNS0_17block_load_methodE3ELS4_3ELS4_3ELNS0_20block_scan_algorithmE0ELj4294967295EEENS1_25partition_config_selectorILNS1_17partition_subalgoE4EjNS0_10empty_typeEbEEZZNS1_14partition_implILS8_4ELb0ES6_15HIP_vector_typeIjLj2EENS0_17counting_iteratorIjlEEPS9_SG_NS0_5tupleIJPjSI_NS0_16reverse_iteratorISI_EEEEENSH_IJSG_SG_SG_EEES9_SI_JZNS1_25segmented_radix_sort_implINS0_14default_configELb1EPKsPsPKlPlN2at6native12_GLOBAL__N_18offset_tEEE10hipError_tPvRmT1_PNSt15iterator_traitsIS12_E10value_typeET2_T3_PNS13_IS18_E10value_typeET4_jRbjT5_S1E_jjP12ihipStream_tbEUljE_ZNSN_ISO_Lb1ESQ_SR_ST_SU_SY_EESZ_S10_S11_S12_S16_S17_S18_S1B_S1C_jS1D_jS1E_S1E_jjS1G_bEUljE0_EEESZ_S10_S11_S18_S1C_S1E_T6_T7_T9_mT8_S1G_bDpT10_ENKUlT_T0_E_clISt17integral_constantIbLb1EES1U_EEDaS1P_S1Q_EUlS1P_E_NS1_11comp_targetILNS1_3genE5ELNS1_11target_archE942ELNS1_3gpuE9ELNS1_3repE0EEENS1_30default_config_static_selectorELNS0_4arch9wavefront6targetE0EEEvS12_.num_vgpr, 0
	.set _ZN7rocprim17ROCPRIM_400000_NS6detail17trampoline_kernelINS0_13select_configILj256ELj13ELNS0_17block_load_methodE3ELS4_3ELS4_3ELNS0_20block_scan_algorithmE0ELj4294967295EEENS1_25partition_config_selectorILNS1_17partition_subalgoE4EjNS0_10empty_typeEbEEZZNS1_14partition_implILS8_4ELb0ES6_15HIP_vector_typeIjLj2EENS0_17counting_iteratorIjlEEPS9_SG_NS0_5tupleIJPjSI_NS0_16reverse_iteratorISI_EEEEENSH_IJSG_SG_SG_EEES9_SI_JZNS1_25segmented_radix_sort_implINS0_14default_configELb1EPKsPsPKlPlN2at6native12_GLOBAL__N_18offset_tEEE10hipError_tPvRmT1_PNSt15iterator_traitsIS12_E10value_typeET2_T3_PNS13_IS18_E10value_typeET4_jRbjT5_S1E_jjP12ihipStream_tbEUljE_ZNSN_ISO_Lb1ESQ_SR_ST_SU_SY_EESZ_S10_S11_S12_S16_S17_S18_S1B_S1C_jS1D_jS1E_S1E_jjS1G_bEUljE0_EEESZ_S10_S11_S18_S1C_S1E_T6_T7_T9_mT8_S1G_bDpT10_ENKUlT_T0_E_clISt17integral_constantIbLb1EES1U_EEDaS1P_S1Q_EUlS1P_E_NS1_11comp_targetILNS1_3genE5ELNS1_11target_archE942ELNS1_3gpuE9ELNS1_3repE0EEENS1_30default_config_static_selectorELNS0_4arch9wavefront6targetE0EEEvS12_.num_agpr, 0
	.set _ZN7rocprim17ROCPRIM_400000_NS6detail17trampoline_kernelINS0_13select_configILj256ELj13ELNS0_17block_load_methodE3ELS4_3ELS4_3ELNS0_20block_scan_algorithmE0ELj4294967295EEENS1_25partition_config_selectorILNS1_17partition_subalgoE4EjNS0_10empty_typeEbEEZZNS1_14partition_implILS8_4ELb0ES6_15HIP_vector_typeIjLj2EENS0_17counting_iteratorIjlEEPS9_SG_NS0_5tupleIJPjSI_NS0_16reverse_iteratorISI_EEEEENSH_IJSG_SG_SG_EEES9_SI_JZNS1_25segmented_radix_sort_implINS0_14default_configELb1EPKsPsPKlPlN2at6native12_GLOBAL__N_18offset_tEEE10hipError_tPvRmT1_PNSt15iterator_traitsIS12_E10value_typeET2_T3_PNS13_IS18_E10value_typeET4_jRbjT5_S1E_jjP12ihipStream_tbEUljE_ZNSN_ISO_Lb1ESQ_SR_ST_SU_SY_EESZ_S10_S11_S12_S16_S17_S18_S1B_S1C_jS1D_jS1E_S1E_jjS1G_bEUljE0_EEESZ_S10_S11_S18_S1C_S1E_T6_T7_T9_mT8_S1G_bDpT10_ENKUlT_T0_E_clISt17integral_constantIbLb1EES1U_EEDaS1P_S1Q_EUlS1P_E_NS1_11comp_targetILNS1_3genE5ELNS1_11target_archE942ELNS1_3gpuE9ELNS1_3repE0EEENS1_30default_config_static_selectorELNS0_4arch9wavefront6targetE0EEEvS12_.numbered_sgpr, 0
	.set _ZN7rocprim17ROCPRIM_400000_NS6detail17trampoline_kernelINS0_13select_configILj256ELj13ELNS0_17block_load_methodE3ELS4_3ELS4_3ELNS0_20block_scan_algorithmE0ELj4294967295EEENS1_25partition_config_selectorILNS1_17partition_subalgoE4EjNS0_10empty_typeEbEEZZNS1_14partition_implILS8_4ELb0ES6_15HIP_vector_typeIjLj2EENS0_17counting_iteratorIjlEEPS9_SG_NS0_5tupleIJPjSI_NS0_16reverse_iteratorISI_EEEEENSH_IJSG_SG_SG_EEES9_SI_JZNS1_25segmented_radix_sort_implINS0_14default_configELb1EPKsPsPKlPlN2at6native12_GLOBAL__N_18offset_tEEE10hipError_tPvRmT1_PNSt15iterator_traitsIS12_E10value_typeET2_T3_PNS13_IS18_E10value_typeET4_jRbjT5_S1E_jjP12ihipStream_tbEUljE_ZNSN_ISO_Lb1ESQ_SR_ST_SU_SY_EESZ_S10_S11_S12_S16_S17_S18_S1B_S1C_jS1D_jS1E_S1E_jjS1G_bEUljE0_EEESZ_S10_S11_S18_S1C_S1E_T6_T7_T9_mT8_S1G_bDpT10_ENKUlT_T0_E_clISt17integral_constantIbLb1EES1U_EEDaS1P_S1Q_EUlS1P_E_NS1_11comp_targetILNS1_3genE5ELNS1_11target_archE942ELNS1_3gpuE9ELNS1_3repE0EEENS1_30default_config_static_selectorELNS0_4arch9wavefront6targetE0EEEvS12_.num_named_barrier, 0
	.set _ZN7rocprim17ROCPRIM_400000_NS6detail17trampoline_kernelINS0_13select_configILj256ELj13ELNS0_17block_load_methodE3ELS4_3ELS4_3ELNS0_20block_scan_algorithmE0ELj4294967295EEENS1_25partition_config_selectorILNS1_17partition_subalgoE4EjNS0_10empty_typeEbEEZZNS1_14partition_implILS8_4ELb0ES6_15HIP_vector_typeIjLj2EENS0_17counting_iteratorIjlEEPS9_SG_NS0_5tupleIJPjSI_NS0_16reverse_iteratorISI_EEEEENSH_IJSG_SG_SG_EEES9_SI_JZNS1_25segmented_radix_sort_implINS0_14default_configELb1EPKsPsPKlPlN2at6native12_GLOBAL__N_18offset_tEEE10hipError_tPvRmT1_PNSt15iterator_traitsIS12_E10value_typeET2_T3_PNS13_IS18_E10value_typeET4_jRbjT5_S1E_jjP12ihipStream_tbEUljE_ZNSN_ISO_Lb1ESQ_SR_ST_SU_SY_EESZ_S10_S11_S12_S16_S17_S18_S1B_S1C_jS1D_jS1E_S1E_jjS1G_bEUljE0_EEESZ_S10_S11_S18_S1C_S1E_T6_T7_T9_mT8_S1G_bDpT10_ENKUlT_T0_E_clISt17integral_constantIbLb1EES1U_EEDaS1P_S1Q_EUlS1P_E_NS1_11comp_targetILNS1_3genE5ELNS1_11target_archE942ELNS1_3gpuE9ELNS1_3repE0EEENS1_30default_config_static_selectorELNS0_4arch9wavefront6targetE0EEEvS12_.private_seg_size, 0
	.set _ZN7rocprim17ROCPRIM_400000_NS6detail17trampoline_kernelINS0_13select_configILj256ELj13ELNS0_17block_load_methodE3ELS4_3ELS4_3ELNS0_20block_scan_algorithmE0ELj4294967295EEENS1_25partition_config_selectorILNS1_17partition_subalgoE4EjNS0_10empty_typeEbEEZZNS1_14partition_implILS8_4ELb0ES6_15HIP_vector_typeIjLj2EENS0_17counting_iteratorIjlEEPS9_SG_NS0_5tupleIJPjSI_NS0_16reverse_iteratorISI_EEEEENSH_IJSG_SG_SG_EEES9_SI_JZNS1_25segmented_radix_sort_implINS0_14default_configELb1EPKsPsPKlPlN2at6native12_GLOBAL__N_18offset_tEEE10hipError_tPvRmT1_PNSt15iterator_traitsIS12_E10value_typeET2_T3_PNS13_IS18_E10value_typeET4_jRbjT5_S1E_jjP12ihipStream_tbEUljE_ZNSN_ISO_Lb1ESQ_SR_ST_SU_SY_EESZ_S10_S11_S12_S16_S17_S18_S1B_S1C_jS1D_jS1E_S1E_jjS1G_bEUljE0_EEESZ_S10_S11_S18_S1C_S1E_T6_T7_T9_mT8_S1G_bDpT10_ENKUlT_T0_E_clISt17integral_constantIbLb1EES1U_EEDaS1P_S1Q_EUlS1P_E_NS1_11comp_targetILNS1_3genE5ELNS1_11target_archE942ELNS1_3gpuE9ELNS1_3repE0EEENS1_30default_config_static_selectorELNS0_4arch9wavefront6targetE0EEEvS12_.uses_vcc, 0
	.set _ZN7rocprim17ROCPRIM_400000_NS6detail17trampoline_kernelINS0_13select_configILj256ELj13ELNS0_17block_load_methodE3ELS4_3ELS4_3ELNS0_20block_scan_algorithmE0ELj4294967295EEENS1_25partition_config_selectorILNS1_17partition_subalgoE4EjNS0_10empty_typeEbEEZZNS1_14partition_implILS8_4ELb0ES6_15HIP_vector_typeIjLj2EENS0_17counting_iteratorIjlEEPS9_SG_NS0_5tupleIJPjSI_NS0_16reverse_iteratorISI_EEEEENSH_IJSG_SG_SG_EEES9_SI_JZNS1_25segmented_radix_sort_implINS0_14default_configELb1EPKsPsPKlPlN2at6native12_GLOBAL__N_18offset_tEEE10hipError_tPvRmT1_PNSt15iterator_traitsIS12_E10value_typeET2_T3_PNS13_IS18_E10value_typeET4_jRbjT5_S1E_jjP12ihipStream_tbEUljE_ZNSN_ISO_Lb1ESQ_SR_ST_SU_SY_EESZ_S10_S11_S12_S16_S17_S18_S1B_S1C_jS1D_jS1E_S1E_jjS1G_bEUljE0_EEESZ_S10_S11_S18_S1C_S1E_T6_T7_T9_mT8_S1G_bDpT10_ENKUlT_T0_E_clISt17integral_constantIbLb1EES1U_EEDaS1P_S1Q_EUlS1P_E_NS1_11comp_targetILNS1_3genE5ELNS1_11target_archE942ELNS1_3gpuE9ELNS1_3repE0EEENS1_30default_config_static_selectorELNS0_4arch9wavefront6targetE0EEEvS12_.uses_flat_scratch, 0
	.set _ZN7rocprim17ROCPRIM_400000_NS6detail17trampoline_kernelINS0_13select_configILj256ELj13ELNS0_17block_load_methodE3ELS4_3ELS4_3ELNS0_20block_scan_algorithmE0ELj4294967295EEENS1_25partition_config_selectorILNS1_17partition_subalgoE4EjNS0_10empty_typeEbEEZZNS1_14partition_implILS8_4ELb0ES6_15HIP_vector_typeIjLj2EENS0_17counting_iteratorIjlEEPS9_SG_NS0_5tupleIJPjSI_NS0_16reverse_iteratorISI_EEEEENSH_IJSG_SG_SG_EEES9_SI_JZNS1_25segmented_radix_sort_implINS0_14default_configELb1EPKsPsPKlPlN2at6native12_GLOBAL__N_18offset_tEEE10hipError_tPvRmT1_PNSt15iterator_traitsIS12_E10value_typeET2_T3_PNS13_IS18_E10value_typeET4_jRbjT5_S1E_jjP12ihipStream_tbEUljE_ZNSN_ISO_Lb1ESQ_SR_ST_SU_SY_EESZ_S10_S11_S12_S16_S17_S18_S1B_S1C_jS1D_jS1E_S1E_jjS1G_bEUljE0_EEESZ_S10_S11_S18_S1C_S1E_T6_T7_T9_mT8_S1G_bDpT10_ENKUlT_T0_E_clISt17integral_constantIbLb1EES1U_EEDaS1P_S1Q_EUlS1P_E_NS1_11comp_targetILNS1_3genE5ELNS1_11target_archE942ELNS1_3gpuE9ELNS1_3repE0EEENS1_30default_config_static_selectorELNS0_4arch9wavefront6targetE0EEEvS12_.has_dyn_sized_stack, 0
	.set _ZN7rocprim17ROCPRIM_400000_NS6detail17trampoline_kernelINS0_13select_configILj256ELj13ELNS0_17block_load_methodE3ELS4_3ELS4_3ELNS0_20block_scan_algorithmE0ELj4294967295EEENS1_25partition_config_selectorILNS1_17partition_subalgoE4EjNS0_10empty_typeEbEEZZNS1_14partition_implILS8_4ELb0ES6_15HIP_vector_typeIjLj2EENS0_17counting_iteratorIjlEEPS9_SG_NS0_5tupleIJPjSI_NS0_16reverse_iteratorISI_EEEEENSH_IJSG_SG_SG_EEES9_SI_JZNS1_25segmented_radix_sort_implINS0_14default_configELb1EPKsPsPKlPlN2at6native12_GLOBAL__N_18offset_tEEE10hipError_tPvRmT1_PNSt15iterator_traitsIS12_E10value_typeET2_T3_PNS13_IS18_E10value_typeET4_jRbjT5_S1E_jjP12ihipStream_tbEUljE_ZNSN_ISO_Lb1ESQ_SR_ST_SU_SY_EESZ_S10_S11_S12_S16_S17_S18_S1B_S1C_jS1D_jS1E_S1E_jjS1G_bEUljE0_EEESZ_S10_S11_S18_S1C_S1E_T6_T7_T9_mT8_S1G_bDpT10_ENKUlT_T0_E_clISt17integral_constantIbLb1EES1U_EEDaS1P_S1Q_EUlS1P_E_NS1_11comp_targetILNS1_3genE5ELNS1_11target_archE942ELNS1_3gpuE9ELNS1_3repE0EEENS1_30default_config_static_selectorELNS0_4arch9wavefront6targetE0EEEvS12_.has_recursion, 0
	.set _ZN7rocprim17ROCPRIM_400000_NS6detail17trampoline_kernelINS0_13select_configILj256ELj13ELNS0_17block_load_methodE3ELS4_3ELS4_3ELNS0_20block_scan_algorithmE0ELj4294967295EEENS1_25partition_config_selectorILNS1_17partition_subalgoE4EjNS0_10empty_typeEbEEZZNS1_14partition_implILS8_4ELb0ES6_15HIP_vector_typeIjLj2EENS0_17counting_iteratorIjlEEPS9_SG_NS0_5tupleIJPjSI_NS0_16reverse_iteratorISI_EEEEENSH_IJSG_SG_SG_EEES9_SI_JZNS1_25segmented_radix_sort_implINS0_14default_configELb1EPKsPsPKlPlN2at6native12_GLOBAL__N_18offset_tEEE10hipError_tPvRmT1_PNSt15iterator_traitsIS12_E10value_typeET2_T3_PNS13_IS18_E10value_typeET4_jRbjT5_S1E_jjP12ihipStream_tbEUljE_ZNSN_ISO_Lb1ESQ_SR_ST_SU_SY_EESZ_S10_S11_S12_S16_S17_S18_S1B_S1C_jS1D_jS1E_S1E_jjS1G_bEUljE0_EEESZ_S10_S11_S18_S1C_S1E_T6_T7_T9_mT8_S1G_bDpT10_ENKUlT_T0_E_clISt17integral_constantIbLb1EES1U_EEDaS1P_S1Q_EUlS1P_E_NS1_11comp_targetILNS1_3genE5ELNS1_11target_archE942ELNS1_3gpuE9ELNS1_3repE0EEENS1_30default_config_static_selectorELNS0_4arch9wavefront6targetE0EEEvS12_.has_indirect_call, 0
	.section	.AMDGPU.csdata,"",@progbits
; Kernel info:
; codeLenInByte = 0
; TotalNumSgprs: 0
; NumVgprs: 0
; ScratchSize: 0
; MemoryBound: 0
; FloatMode: 240
; IeeeMode: 1
; LDSByteSize: 0 bytes/workgroup (compile time only)
; SGPRBlocks: 0
; VGPRBlocks: 0
; NumSGPRsForWavesPerEU: 1
; NumVGPRsForWavesPerEU: 1
; Occupancy: 16
; WaveLimiterHint : 0
; COMPUTE_PGM_RSRC2:SCRATCH_EN: 0
; COMPUTE_PGM_RSRC2:USER_SGPR: 6
; COMPUTE_PGM_RSRC2:TRAP_HANDLER: 0
; COMPUTE_PGM_RSRC2:TGID_X_EN: 1
; COMPUTE_PGM_RSRC2:TGID_Y_EN: 0
; COMPUTE_PGM_RSRC2:TGID_Z_EN: 0
; COMPUTE_PGM_RSRC2:TIDIG_COMP_CNT: 0
	.section	.text._ZN7rocprim17ROCPRIM_400000_NS6detail17trampoline_kernelINS0_13select_configILj256ELj13ELNS0_17block_load_methodE3ELS4_3ELS4_3ELNS0_20block_scan_algorithmE0ELj4294967295EEENS1_25partition_config_selectorILNS1_17partition_subalgoE4EjNS0_10empty_typeEbEEZZNS1_14partition_implILS8_4ELb0ES6_15HIP_vector_typeIjLj2EENS0_17counting_iteratorIjlEEPS9_SG_NS0_5tupleIJPjSI_NS0_16reverse_iteratorISI_EEEEENSH_IJSG_SG_SG_EEES9_SI_JZNS1_25segmented_radix_sort_implINS0_14default_configELb1EPKsPsPKlPlN2at6native12_GLOBAL__N_18offset_tEEE10hipError_tPvRmT1_PNSt15iterator_traitsIS12_E10value_typeET2_T3_PNS13_IS18_E10value_typeET4_jRbjT5_S1E_jjP12ihipStream_tbEUljE_ZNSN_ISO_Lb1ESQ_SR_ST_SU_SY_EESZ_S10_S11_S12_S16_S17_S18_S1B_S1C_jS1D_jS1E_S1E_jjS1G_bEUljE0_EEESZ_S10_S11_S18_S1C_S1E_T6_T7_T9_mT8_S1G_bDpT10_ENKUlT_T0_E_clISt17integral_constantIbLb1EES1U_EEDaS1P_S1Q_EUlS1P_E_NS1_11comp_targetILNS1_3genE4ELNS1_11target_archE910ELNS1_3gpuE8ELNS1_3repE0EEENS1_30default_config_static_selectorELNS0_4arch9wavefront6targetE0EEEvS12_,"axG",@progbits,_ZN7rocprim17ROCPRIM_400000_NS6detail17trampoline_kernelINS0_13select_configILj256ELj13ELNS0_17block_load_methodE3ELS4_3ELS4_3ELNS0_20block_scan_algorithmE0ELj4294967295EEENS1_25partition_config_selectorILNS1_17partition_subalgoE4EjNS0_10empty_typeEbEEZZNS1_14partition_implILS8_4ELb0ES6_15HIP_vector_typeIjLj2EENS0_17counting_iteratorIjlEEPS9_SG_NS0_5tupleIJPjSI_NS0_16reverse_iteratorISI_EEEEENSH_IJSG_SG_SG_EEES9_SI_JZNS1_25segmented_radix_sort_implINS0_14default_configELb1EPKsPsPKlPlN2at6native12_GLOBAL__N_18offset_tEEE10hipError_tPvRmT1_PNSt15iterator_traitsIS12_E10value_typeET2_T3_PNS13_IS18_E10value_typeET4_jRbjT5_S1E_jjP12ihipStream_tbEUljE_ZNSN_ISO_Lb1ESQ_SR_ST_SU_SY_EESZ_S10_S11_S12_S16_S17_S18_S1B_S1C_jS1D_jS1E_S1E_jjS1G_bEUljE0_EEESZ_S10_S11_S18_S1C_S1E_T6_T7_T9_mT8_S1G_bDpT10_ENKUlT_T0_E_clISt17integral_constantIbLb1EES1U_EEDaS1P_S1Q_EUlS1P_E_NS1_11comp_targetILNS1_3genE4ELNS1_11target_archE910ELNS1_3gpuE8ELNS1_3repE0EEENS1_30default_config_static_selectorELNS0_4arch9wavefront6targetE0EEEvS12_,comdat
	.globl	_ZN7rocprim17ROCPRIM_400000_NS6detail17trampoline_kernelINS0_13select_configILj256ELj13ELNS0_17block_load_methodE3ELS4_3ELS4_3ELNS0_20block_scan_algorithmE0ELj4294967295EEENS1_25partition_config_selectorILNS1_17partition_subalgoE4EjNS0_10empty_typeEbEEZZNS1_14partition_implILS8_4ELb0ES6_15HIP_vector_typeIjLj2EENS0_17counting_iteratorIjlEEPS9_SG_NS0_5tupleIJPjSI_NS0_16reverse_iteratorISI_EEEEENSH_IJSG_SG_SG_EEES9_SI_JZNS1_25segmented_radix_sort_implINS0_14default_configELb1EPKsPsPKlPlN2at6native12_GLOBAL__N_18offset_tEEE10hipError_tPvRmT1_PNSt15iterator_traitsIS12_E10value_typeET2_T3_PNS13_IS18_E10value_typeET4_jRbjT5_S1E_jjP12ihipStream_tbEUljE_ZNSN_ISO_Lb1ESQ_SR_ST_SU_SY_EESZ_S10_S11_S12_S16_S17_S18_S1B_S1C_jS1D_jS1E_S1E_jjS1G_bEUljE0_EEESZ_S10_S11_S18_S1C_S1E_T6_T7_T9_mT8_S1G_bDpT10_ENKUlT_T0_E_clISt17integral_constantIbLb1EES1U_EEDaS1P_S1Q_EUlS1P_E_NS1_11comp_targetILNS1_3genE4ELNS1_11target_archE910ELNS1_3gpuE8ELNS1_3repE0EEENS1_30default_config_static_selectorELNS0_4arch9wavefront6targetE0EEEvS12_ ; -- Begin function _ZN7rocprim17ROCPRIM_400000_NS6detail17trampoline_kernelINS0_13select_configILj256ELj13ELNS0_17block_load_methodE3ELS4_3ELS4_3ELNS0_20block_scan_algorithmE0ELj4294967295EEENS1_25partition_config_selectorILNS1_17partition_subalgoE4EjNS0_10empty_typeEbEEZZNS1_14partition_implILS8_4ELb0ES6_15HIP_vector_typeIjLj2EENS0_17counting_iteratorIjlEEPS9_SG_NS0_5tupleIJPjSI_NS0_16reverse_iteratorISI_EEEEENSH_IJSG_SG_SG_EEES9_SI_JZNS1_25segmented_radix_sort_implINS0_14default_configELb1EPKsPsPKlPlN2at6native12_GLOBAL__N_18offset_tEEE10hipError_tPvRmT1_PNSt15iterator_traitsIS12_E10value_typeET2_T3_PNS13_IS18_E10value_typeET4_jRbjT5_S1E_jjP12ihipStream_tbEUljE_ZNSN_ISO_Lb1ESQ_SR_ST_SU_SY_EESZ_S10_S11_S12_S16_S17_S18_S1B_S1C_jS1D_jS1E_S1E_jjS1G_bEUljE0_EEESZ_S10_S11_S18_S1C_S1E_T6_T7_T9_mT8_S1G_bDpT10_ENKUlT_T0_E_clISt17integral_constantIbLb1EES1U_EEDaS1P_S1Q_EUlS1P_E_NS1_11comp_targetILNS1_3genE4ELNS1_11target_archE910ELNS1_3gpuE8ELNS1_3repE0EEENS1_30default_config_static_selectorELNS0_4arch9wavefront6targetE0EEEvS12_
	.p2align	8
	.type	_ZN7rocprim17ROCPRIM_400000_NS6detail17trampoline_kernelINS0_13select_configILj256ELj13ELNS0_17block_load_methodE3ELS4_3ELS4_3ELNS0_20block_scan_algorithmE0ELj4294967295EEENS1_25partition_config_selectorILNS1_17partition_subalgoE4EjNS0_10empty_typeEbEEZZNS1_14partition_implILS8_4ELb0ES6_15HIP_vector_typeIjLj2EENS0_17counting_iteratorIjlEEPS9_SG_NS0_5tupleIJPjSI_NS0_16reverse_iteratorISI_EEEEENSH_IJSG_SG_SG_EEES9_SI_JZNS1_25segmented_radix_sort_implINS0_14default_configELb1EPKsPsPKlPlN2at6native12_GLOBAL__N_18offset_tEEE10hipError_tPvRmT1_PNSt15iterator_traitsIS12_E10value_typeET2_T3_PNS13_IS18_E10value_typeET4_jRbjT5_S1E_jjP12ihipStream_tbEUljE_ZNSN_ISO_Lb1ESQ_SR_ST_SU_SY_EESZ_S10_S11_S12_S16_S17_S18_S1B_S1C_jS1D_jS1E_S1E_jjS1G_bEUljE0_EEESZ_S10_S11_S18_S1C_S1E_T6_T7_T9_mT8_S1G_bDpT10_ENKUlT_T0_E_clISt17integral_constantIbLb1EES1U_EEDaS1P_S1Q_EUlS1P_E_NS1_11comp_targetILNS1_3genE4ELNS1_11target_archE910ELNS1_3gpuE8ELNS1_3repE0EEENS1_30default_config_static_selectorELNS0_4arch9wavefront6targetE0EEEvS12_,@function
_ZN7rocprim17ROCPRIM_400000_NS6detail17trampoline_kernelINS0_13select_configILj256ELj13ELNS0_17block_load_methodE3ELS4_3ELS4_3ELNS0_20block_scan_algorithmE0ELj4294967295EEENS1_25partition_config_selectorILNS1_17partition_subalgoE4EjNS0_10empty_typeEbEEZZNS1_14partition_implILS8_4ELb0ES6_15HIP_vector_typeIjLj2EENS0_17counting_iteratorIjlEEPS9_SG_NS0_5tupleIJPjSI_NS0_16reverse_iteratorISI_EEEEENSH_IJSG_SG_SG_EEES9_SI_JZNS1_25segmented_radix_sort_implINS0_14default_configELb1EPKsPsPKlPlN2at6native12_GLOBAL__N_18offset_tEEE10hipError_tPvRmT1_PNSt15iterator_traitsIS12_E10value_typeET2_T3_PNS13_IS18_E10value_typeET4_jRbjT5_S1E_jjP12ihipStream_tbEUljE_ZNSN_ISO_Lb1ESQ_SR_ST_SU_SY_EESZ_S10_S11_S12_S16_S17_S18_S1B_S1C_jS1D_jS1E_S1E_jjS1G_bEUljE0_EEESZ_S10_S11_S18_S1C_S1E_T6_T7_T9_mT8_S1G_bDpT10_ENKUlT_T0_E_clISt17integral_constantIbLb1EES1U_EEDaS1P_S1Q_EUlS1P_E_NS1_11comp_targetILNS1_3genE4ELNS1_11target_archE910ELNS1_3gpuE8ELNS1_3repE0EEENS1_30default_config_static_selectorELNS0_4arch9wavefront6targetE0EEEvS12_: ; @_ZN7rocprim17ROCPRIM_400000_NS6detail17trampoline_kernelINS0_13select_configILj256ELj13ELNS0_17block_load_methodE3ELS4_3ELS4_3ELNS0_20block_scan_algorithmE0ELj4294967295EEENS1_25partition_config_selectorILNS1_17partition_subalgoE4EjNS0_10empty_typeEbEEZZNS1_14partition_implILS8_4ELb0ES6_15HIP_vector_typeIjLj2EENS0_17counting_iteratorIjlEEPS9_SG_NS0_5tupleIJPjSI_NS0_16reverse_iteratorISI_EEEEENSH_IJSG_SG_SG_EEES9_SI_JZNS1_25segmented_radix_sort_implINS0_14default_configELb1EPKsPsPKlPlN2at6native12_GLOBAL__N_18offset_tEEE10hipError_tPvRmT1_PNSt15iterator_traitsIS12_E10value_typeET2_T3_PNS13_IS18_E10value_typeET4_jRbjT5_S1E_jjP12ihipStream_tbEUljE_ZNSN_ISO_Lb1ESQ_SR_ST_SU_SY_EESZ_S10_S11_S12_S16_S17_S18_S1B_S1C_jS1D_jS1E_S1E_jjS1G_bEUljE0_EEESZ_S10_S11_S18_S1C_S1E_T6_T7_T9_mT8_S1G_bDpT10_ENKUlT_T0_E_clISt17integral_constantIbLb1EES1U_EEDaS1P_S1Q_EUlS1P_E_NS1_11comp_targetILNS1_3genE4ELNS1_11target_archE910ELNS1_3gpuE8ELNS1_3repE0EEENS1_30default_config_static_selectorELNS0_4arch9wavefront6targetE0EEEvS12_
; %bb.0:
	.section	.rodata,"a",@progbits
	.p2align	6, 0x0
	.amdhsa_kernel _ZN7rocprim17ROCPRIM_400000_NS6detail17trampoline_kernelINS0_13select_configILj256ELj13ELNS0_17block_load_methodE3ELS4_3ELS4_3ELNS0_20block_scan_algorithmE0ELj4294967295EEENS1_25partition_config_selectorILNS1_17partition_subalgoE4EjNS0_10empty_typeEbEEZZNS1_14partition_implILS8_4ELb0ES6_15HIP_vector_typeIjLj2EENS0_17counting_iteratorIjlEEPS9_SG_NS0_5tupleIJPjSI_NS0_16reverse_iteratorISI_EEEEENSH_IJSG_SG_SG_EEES9_SI_JZNS1_25segmented_radix_sort_implINS0_14default_configELb1EPKsPsPKlPlN2at6native12_GLOBAL__N_18offset_tEEE10hipError_tPvRmT1_PNSt15iterator_traitsIS12_E10value_typeET2_T3_PNS13_IS18_E10value_typeET4_jRbjT5_S1E_jjP12ihipStream_tbEUljE_ZNSN_ISO_Lb1ESQ_SR_ST_SU_SY_EESZ_S10_S11_S12_S16_S17_S18_S1B_S1C_jS1D_jS1E_S1E_jjS1G_bEUljE0_EEESZ_S10_S11_S18_S1C_S1E_T6_T7_T9_mT8_S1G_bDpT10_ENKUlT_T0_E_clISt17integral_constantIbLb1EES1U_EEDaS1P_S1Q_EUlS1P_E_NS1_11comp_targetILNS1_3genE4ELNS1_11target_archE910ELNS1_3gpuE8ELNS1_3repE0EEENS1_30default_config_static_selectorELNS0_4arch9wavefront6targetE0EEEvS12_
		.amdhsa_group_segment_fixed_size 0
		.amdhsa_private_segment_fixed_size 0
		.amdhsa_kernarg_size 184
		.amdhsa_user_sgpr_count 6
		.amdhsa_user_sgpr_private_segment_buffer 1
		.amdhsa_user_sgpr_dispatch_ptr 0
		.amdhsa_user_sgpr_queue_ptr 0
		.amdhsa_user_sgpr_kernarg_segment_ptr 1
		.amdhsa_user_sgpr_dispatch_id 0
		.amdhsa_user_sgpr_flat_scratch_init 0
		.amdhsa_user_sgpr_private_segment_size 0
		.amdhsa_wavefront_size32 1
		.amdhsa_uses_dynamic_stack 0
		.amdhsa_system_sgpr_private_segment_wavefront_offset 0
		.amdhsa_system_sgpr_workgroup_id_x 1
		.amdhsa_system_sgpr_workgroup_id_y 0
		.amdhsa_system_sgpr_workgroup_id_z 0
		.amdhsa_system_sgpr_workgroup_info 0
		.amdhsa_system_vgpr_workitem_id 0
		.amdhsa_next_free_vgpr 1
		.amdhsa_next_free_sgpr 1
		.amdhsa_reserve_vcc 0
		.amdhsa_reserve_flat_scratch 0
		.amdhsa_float_round_mode_32 0
		.amdhsa_float_round_mode_16_64 0
		.amdhsa_float_denorm_mode_32 3
		.amdhsa_float_denorm_mode_16_64 3
		.amdhsa_dx10_clamp 1
		.amdhsa_ieee_mode 1
		.amdhsa_fp16_overflow 0
		.amdhsa_workgroup_processor_mode 1
		.amdhsa_memory_ordered 1
		.amdhsa_forward_progress 1
		.amdhsa_shared_vgpr_count 0
		.amdhsa_exception_fp_ieee_invalid_op 0
		.amdhsa_exception_fp_denorm_src 0
		.amdhsa_exception_fp_ieee_div_zero 0
		.amdhsa_exception_fp_ieee_overflow 0
		.amdhsa_exception_fp_ieee_underflow 0
		.amdhsa_exception_fp_ieee_inexact 0
		.amdhsa_exception_int_div_zero 0
	.end_amdhsa_kernel
	.section	.text._ZN7rocprim17ROCPRIM_400000_NS6detail17trampoline_kernelINS0_13select_configILj256ELj13ELNS0_17block_load_methodE3ELS4_3ELS4_3ELNS0_20block_scan_algorithmE0ELj4294967295EEENS1_25partition_config_selectorILNS1_17partition_subalgoE4EjNS0_10empty_typeEbEEZZNS1_14partition_implILS8_4ELb0ES6_15HIP_vector_typeIjLj2EENS0_17counting_iteratorIjlEEPS9_SG_NS0_5tupleIJPjSI_NS0_16reverse_iteratorISI_EEEEENSH_IJSG_SG_SG_EEES9_SI_JZNS1_25segmented_radix_sort_implINS0_14default_configELb1EPKsPsPKlPlN2at6native12_GLOBAL__N_18offset_tEEE10hipError_tPvRmT1_PNSt15iterator_traitsIS12_E10value_typeET2_T3_PNS13_IS18_E10value_typeET4_jRbjT5_S1E_jjP12ihipStream_tbEUljE_ZNSN_ISO_Lb1ESQ_SR_ST_SU_SY_EESZ_S10_S11_S12_S16_S17_S18_S1B_S1C_jS1D_jS1E_S1E_jjS1G_bEUljE0_EEESZ_S10_S11_S18_S1C_S1E_T6_T7_T9_mT8_S1G_bDpT10_ENKUlT_T0_E_clISt17integral_constantIbLb1EES1U_EEDaS1P_S1Q_EUlS1P_E_NS1_11comp_targetILNS1_3genE4ELNS1_11target_archE910ELNS1_3gpuE8ELNS1_3repE0EEENS1_30default_config_static_selectorELNS0_4arch9wavefront6targetE0EEEvS12_,"axG",@progbits,_ZN7rocprim17ROCPRIM_400000_NS6detail17trampoline_kernelINS0_13select_configILj256ELj13ELNS0_17block_load_methodE3ELS4_3ELS4_3ELNS0_20block_scan_algorithmE0ELj4294967295EEENS1_25partition_config_selectorILNS1_17partition_subalgoE4EjNS0_10empty_typeEbEEZZNS1_14partition_implILS8_4ELb0ES6_15HIP_vector_typeIjLj2EENS0_17counting_iteratorIjlEEPS9_SG_NS0_5tupleIJPjSI_NS0_16reverse_iteratorISI_EEEEENSH_IJSG_SG_SG_EEES9_SI_JZNS1_25segmented_radix_sort_implINS0_14default_configELb1EPKsPsPKlPlN2at6native12_GLOBAL__N_18offset_tEEE10hipError_tPvRmT1_PNSt15iterator_traitsIS12_E10value_typeET2_T3_PNS13_IS18_E10value_typeET4_jRbjT5_S1E_jjP12ihipStream_tbEUljE_ZNSN_ISO_Lb1ESQ_SR_ST_SU_SY_EESZ_S10_S11_S12_S16_S17_S18_S1B_S1C_jS1D_jS1E_S1E_jjS1G_bEUljE0_EEESZ_S10_S11_S18_S1C_S1E_T6_T7_T9_mT8_S1G_bDpT10_ENKUlT_T0_E_clISt17integral_constantIbLb1EES1U_EEDaS1P_S1Q_EUlS1P_E_NS1_11comp_targetILNS1_3genE4ELNS1_11target_archE910ELNS1_3gpuE8ELNS1_3repE0EEENS1_30default_config_static_selectorELNS0_4arch9wavefront6targetE0EEEvS12_,comdat
.Lfunc_end851:
	.size	_ZN7rocprim17ROCPRIM_400000_NS6detail17trampoline_kernelINS0_13select_configILj256ELj13ELNS0_17block_load_methodE3ELS4_3ELS4_3ELNS0_20block_scan_algorithmE0ELj4294967295EEENS1_25partition_config_selectorILNS1_17partition_subalgoE4EjNS0_10empty_typeEbEEZZNS1_14partition_implILS8_4ELb0ES6_15HIP_vector_typeIjLj2EENS0_17counting_iteratorIjlEEPS9_SG_NS0_5tupleIJPjSI_NS0_16reverse_iteratorISI_EEEEENSH_IJSG_SG_SG_EEES9_SI_JZNS1_25segmented_radix_sort_implINS0_14default_configELb1EPKsPsPKlPlN2at6native12_GLOBAL__N_18offset_tEEE10hipError_tPvRmT1_PNSt15iterator_traitsIS12_E10value_typeET2_T3_PNS13_IS18_E10value_typeET4_jRbjT5_S1E_jjP12ihipStream_tbEUljE_ZNSN_ISO_Lb1ESQ_SR_ST_SU_SY_EESZ_S10_S11_S12_S16_S17_S18_S1B_S1C_jS1D_jS1E_S1E_jjS1G_bEUljE0_EEESZ_S10_S11_S18_S1C_S1E_T6_T7_T9_mT8_S1G_bDpT10_ENKUlT_T0_E_clISt17integral_constantIbLb1EES1U_EEDaS1P_S1Q_EUlS1P_E_NS1_11comp_targetILNS1_3genE4ELNS1_11target_archE910ELNS1_3gpuE8ELNS1_3repE0EEENS1_30default_config_static_selectorELNS0_4arch9wavefront6targetE0EEEvS12_, .Lfunc_end851-_ZN7rocprim17ROCPRIM_400000_NS6detail17trampoline_kernelINS0_13select_configILj256ELj13ELNS0_17block_load_methodE3ELS4_3ELS4_3ELNS0_20block_scan_algorithmE0ELj4294967295EEENS1_25partition_config_selectorILNS1_17partition_subalgoE4EjNS0_10empty_typeEbEEZZNS1_14partition_implILS8_4ELb0ES6_15HIP_vector_typeIjLj2EENS0_17counting_iteratorIjlEEPS9_SG_NS0_5tupleIJPjSI_NS0_16reverse_iteratorISI_EEEEENSH_IJSG_SG_SG_EEES9_SI_JZNS1_25segmented_radix_sort_implINS0_14default_configELb1EPKsPsPKlPlN2at6native12_GLOBAL__N_18offset_tEEE10hipError_tPvRmT1_PNSt15iterator_traitsIS12_E10value_typeET2_T3_PNS13_IS18_E10value_typeET4_jRbjT5_S1E_jjP12ihipStream_tbEUljE_ZNSN_ISO_Lb1ESQ_SR_ST_SU_SY_EESZ_S10_S11_S12_S16_S17_S18_S1B_S1C_jS1D_jS1E_S1E_jjS1G_bEUljE0_EEESZ_S10_S11_S18_S1C_S1E_T6_T7_T9_mT8_S1G_bDpT10_ENKUlT_T0_E_clISt17integral_constantIbLb1EES1U_EEDaS1P_S1Q_EUlS1P_E_NS1_11comp_targetILNS1_3genE4ELNS1_11target_archE910ELNS1_3gpuE8ELNS1_3repE0EEENS1_30default_config_static_selectorELNS0_4arch9wavefront6targetE0EEEvS12_
                                        ; -- End function
	.set _ZN7rocprim17ROCPRIM_400000_NS6detail17trampoline_kernelINS0_13select_configILj256ELj13ELNS0_17block_load_methodE3ELS4_3ELS4_3ELNS0_20block_scan_algorithmE0ELj4294967295EEENS1_25partition_config_selectorILNS1_17partition_subalgoE4EjNS0_10empty_typeEbEEZZNS1_14partition_implILS8_4ELb0ES6_15HIP_vector_typeIjLj2EENS0_17counting_iteratorIjlEEPS9_SG_NS0_5tupleIJPjSI_NS0_16reverse_iteratorISI_EEEEENSH_IJSG_SG_SG_EEES9_SI_JZNS1_25segmented_radix_sort_implINS0_14default_configELb1EPKsPsPKlPlN2at6native12_GLOBAL__N_18offset_tEEE10hipError_tPvRmT1_PNSt15iterator_traitsIS12_E10value_typeET2_T3_PNS13_IS18_E10value_typeET4_jRbjT5_S1E_jjP12ihipStream_tbEUljE_ZNSN_ISO_Lb1ESQ_SR_ST_SU_SY_EESZ_S10_S11_S12_S16_S17_S18_S1B_S1C_jS1D_jS1E_S1E_jjS1G_bEUljE0_EEESZ_S10_S11_S18_S1C_S1E_T6_T7_T9_mT8_S1G_bDpT10_ENKUlT_T0_E_clISt17integral_constantIbLb1EES1U_EEDaS1P_S1Q_EUlS1P_E_NS1_11comp_targetILNS1_3genE4ELNS1_11target_archE910ELNS1_3gpuE8ELNS1_3repE0EEENS1_30default_config_static_selectorELNS0_4arch9wavefront6targetE0EEEvS12_.num_vgpr, 0
	.set _ZN7rocprim17ROCPRIM_400000_NS6detail17trampoline_kernelINS0_13select_configILj256ELj13ELNS0_17block_load_methodE3ELS4_3ELS4_3ELNS0_20block_scan_algorithmE0ELj4294967295EEENS1_25partition_config_selectorILNS1_17partition_subalgoE4EjNS0_10empty_typeEbEEZZNS1_14partition_implILS8_4ELb0ES6_15HIP_vector_typeIjLj2EENS0_17counting_iteratorIjlEEPS9_SG_NS0_5tupleIJPjSI_NS0_16reverse_iteratorISI_EEEEENSH_IJSG_SG_SG_EEES9_SI_JZNS1_25segmented_radix_sort_implINS0_14default_configELb1EPKsPsPKlPlN2at6native12_GLOBAL__N_18offset_tEEE10hipError_tPvRmT1_PNSt15iterator_traitsIS12_E10value_typeET2_T3_PNS13_IS18_E10value_typeET4_jRbjT5_S1E_jjP12ihipStream_tbEUljE_ZNSN_ISO_Lb1ESQ_SR_ST_SU_SY_EESZ_S10_S11_S12_S16_S17_S18_S1B_S1C_jS1D_jS1E_S1E_jjS1G_bEUljE0_EEESZ_S10_S11_S18_S1C_S1E_T6_T7_T9_mT8_S1G_bDpT10_ENKUlT_T0_E_clISt17integral_constantIbLb1EES1U_EEDaS1P_S1Q_EUlS1P_E_NS1_11comp_targetILNS1_3genE4ELNS1_11target_archE910ELNS1_3gpuE8ELNS1_3repE0EEENS1_30default_config_static_selectorELNS0_4arch9wavefront6targetE0EEEvS12_.num_agpr, 0
	.set _ZN7rocprim17ROCPRIM_400000_NS6detail17trampoline_kernelINS0_13select_configILj256ELj13ELNS0_17block_load_methodE3ELS4_3ELS4_3ELNS0_20block_scan_algorithmE0ELj4294967295EEENS1_25partition_config_selectorILNS1_17partition_subalgoE4EjNS0_10empty_typeEbEEZZNS1_14partition_implILS8_4ELb0ES6_15HIP_vector_typeIjLj2EENS0_17counting_iteratorIjlEEPS9_SG_NS0_5tupleIJPjSI_NS0_16reverse_iteratorISI_EEEEENSH_IJSG_SG_SG_EEES9_SI_JZNS1_25segmented_radix_sort_implINS0_14default_configELb1EPKsPsPKlPlN2at6native12_GLOBAL__N_18offset_tEEE10hipError_tPvRmT1_PNSt15iterator_traitsIS12_E10value_typeET2_T3_PNS13_IS18_E10value_typeET4_jRbjT5_S1E_jjP12ihipStream_tbEUljE_ZNSN_ISO_Lb1ESQ_SR_ST_SU_SY_EESZ_S10_S11_S12_S16_S17_S18_S1B_S1C_jS1D_jS1E_S1E_jjS1G_bEUljE0_EEESZ_S10_S11_S18_S1C_S1E_T6_T7_T9_mT8_S1G_bDpT10_ENKUlT_T0_E_clISt17integral_constantIbLb1EES1U_EEDaS1P_S1Q_EUlS1P_E_NS1_11comp_targetILNS1_3genE4ELNS1_11target_archE910ELNS1_3gpuE8ELNS1_3repE0EEENS1_30default_config_static_selectorELNS0_4arch9wavefront6targetE0EEEvS12_.numbered_sgpr, 0
	.set _ZN7rocprim17ROCPRIM_400000_NS6detail17trampoline_kernelINS0_13select_configILj256ELj13ELNS0_17block_load_methodE3ELS4_3ELS4_3ELNS0_20block_scan_algorithmE0ELj4294967295EEENS1_25partition_config_selectorILNS1_17partition_subalgoE4EjNS0_10empty_typeEbEEZZNS1_14partition_implILS8_4ELb0ES6_15HIP_vector_typeIjLj2EENS0_17counting_iteratorIjlEEPS9_SG_NS0_5tupleIJPjSI_NS0_16reverse_iteratorISI_EEEEENSH_IJSG_SG_SG_EEES9_SI_JZNS1_25segmented_radix_sort_implINS0_14default_configELb1EPKsPsPKlPlN2at6native12_GLOBAL__N_18offset_tEEE10hipError_tPvRmT1_PNSt15iterator_traitsIS12_E10value_typeET2_T3_PNS13_IS18_E10value_typeET4_jRbjT5_S1E_jjP12ihipStream_tbEUljE_ZNSN_ISO_Lb1ESQ_SR_ST_SU_SY_EESZ_S10_S11_S12_S16_S17_S18_S1B_S1C_jS1D_jS1E_S1E_jjS1G_bEUljE0_EEESZ_S10_S11_S18_S1C_S1E_T6_T7_T9_mT8_S1G_bDpT10_ENKUlT_T0_E_clISt17integral_constantIbLb1EES1U_EEDaS1P_S1Q_EUlS1P_E_NS1_11comp_targetILNS1_3genE4ELNS1_11target_archE910ELNS1_3gpuE8ELNS1_3repE0EEENS1_30default_config_static_selectorELNS0_4arch9wavefront6targetE0EEEvS12_.num_named_barrier, 0
	.set _ZN7rocprim17ROCPRIM_400000_NS6detail17trampoline_kernelINS0_13select_configILj256ELj13ELNS0_17block_load_methodE3ELS4_3ELS4_3ELNS0_20block_scan_algorithmE0ELj4294967295EEENS1_25partition_config_selectorILNS1_17partition_subalgoE4EjNS0_10empty_typeEbEEZZNS1_14partition_implILS8_4ELb0ES6_15HIP_vector_typeIjLj2EENS0_17counting_iteratorIjlEEPS9_SG_NS0_5tupleIJPjSI_NS0_16reverse_iteratorISI_EEEEENSH_IJSG_SG_SG_EEES9_SI_JZNS1_25segmented_radix_sort_implINS0_14default_configELb1EPKsPsPKlPlN2at6native12_GLOBAL__N_18offset_tEEE10hipError_tPvRmT1_PNSt15iterator_traitsIS12_E10value_typeET2_T3_PNS13_IS18_E10value_typeET4_jRbjT5_S1E_jjP12ihipStream_tbEUljE_ZNSN_ISO_Lb1ESQ_SR_ST_SU_SY_EESZ_S10_S11_S12_S16_S17_S18_S1B_S1C_jS1D_jS1E_S1E_jjS1G_bEUljE0_EEESZ_S10_S11_S18_S1C_S1E_T6_T7_T9_mT8_S1G_bDpT10_ENKUlT_T0_E_clISt17integral_constantIbLb1EES1U_EEDaS1P_S1Q_EUlS1P_E_NS1_11comp_targetILNS1_3genE4ELNS1_11target_archE910ELNS1_3gpuE8ELNS1_3repE0EEENS1_30default_config_static_selectorELNS0_4arch9wavefront6targetE0EEEvS12_.private_seg_size, 0
	.set _ZN7rocprim17ROCPRIM_400000_NS6detail17trampoline_kernelINS0_13select_configILj256ELj13ELNS0_17block_load_methodE3ELS4_3ELS4_3ELNS0_20block_scan_algorithmE0ELj4294967295EEENS1_25partition_config_selectorILNS1_17partition_subalgoE4EjNS0_10empty_typeEbEEZZNS1_14partition_implILS8_4ELb0ES6_15HIP_vector_typeIjLj2EENS0_17counting_iteratorIjlEEPS9_SG_NS0_5tupleIJPjSI_NS0_16reverse_iteratorISI_EEEEENSH_IJSG_SG_SG_EEES9_SI_JZNS1_25segmented_radix_sort_implINS0_14default_configELb1EPKsPsPKlPlN2at6native12_GLOBAL__N_18offset_tEEE10hipError_tPvRmT1_PNSt15iterator_traitsIS12_E10value_typeET2_T3_PNS13_IS18_E10value_typeET4_jRbjT5_S1E_jjP12ihipStream_tbEUljE_ZNSN_ISO_Lb1ESQ_SR_ST_SU_SY_EESZ_S10_S11_S12_S16_S17_S18_S1B_S1C_jS1D_jS1E_S1E_jjS1G_bEUljE0_EEESZ_S10_S11_S18_S1C_S1E_T6_T7_T9_mT8_S1G_bDpT10_ENKUlT_T0_E_clISt17integral_constantIbLb1EES1U_EEDaS1P_S1Q_EUlS1P_E_NS1_11comp_targetILNS1_3genE4ELNS1_11target_archE910ELNS1_3gpuE8ELNS1_3repE0EEENS1_30default_config_static_selectorELNS0_4arch9wavefront6targetE0EEEvS12_.uses_vcc, 0
	.set _ZN7rocprim17ROCPRIM_400000_NS6detail17trampoline_kernelINS0_13select_configILj256ELj13ELNS0_17block_load_methodE3ELS4_3ELS4_3ELNS0_20block_scan_algorithmE0ELj4294967295EEENS1_25partition_config_selectorILNS1_17partition_subalgoE4EjNS0_10empty_typeEbEEZZNS1_14partition_implILS8_4ELb0ES6_15HIP_vector_typeIjLj2EENS0_17counting_iteratorIjlEEPS9_SG_NS0_5tupleIJPjSI_NS0_16reverse_iteratorISI_EEEEENSH_IJSG_SG_SG_EEES9_SI_JZNS1_25segmented_radix_sort_implINS0_14default_configELb1EPKsPsPKlPlN2at6native12_GLOBAL__N_18offset_tEEE10hipError_tPvRmT1_PNSt15iterator_traitsIS12_E10value_typeET2_T3_PNS13_IS18_E10value_typeET4_jRbjT5_S1E_jjP12ihipStream_tbEUljE_ZNSN_ISO_Lb1ESQ_SR_ST_SU_SY_EESZ_S10_S11_S12_S16_S17_S18_S1B_S1C_jS1D_jS1E_S1E_jjS1G_bEUljE0_EEESZ_S10_S11_S18_S1C_S1E_T6_T7_T9_mT8_S1G_bDpT10_ENKUlT_T0_E_clISt17integral_constantIbLb1EES1U_EEDaS1P_S1Q_EUlS1P_E_NS1_11comp_targetILNS1_3genE4ELNS1_11target_archE910ELNS1_3gpuE8ELNS1_3repE0EEENS1_30default_config_static_selectorELNS0_4arch9wavefront6targetE0EEEvS12_.uses_flat_scratch, 0
	.set _ZN7rocprim17ROCPRIM_400000_NS6detail17trampoline_kernelINS0_13select_configILj256ELj13ELNS0_17block_load_methodE3ELS4_3ELS4_3ELNS0_20block_scan_algorithmE0ELj4294967295EEENS1_25partition_config_selectorILNS1_17partition_subalgoE4EjNS0_10empty_typeEbEEZZNS1_14partition_implILS8_4ELb0ES6_15HIP_vector_typeIjLj2EENS0_17counting_iteratorIjlEEPS9_SG_NS0_5tupleIJPjSI_NS0_16reverse_iteratorISI_EEEEENSH_IJSG_SG_SG_EEES9_SI_JZNS1_25segmented_radix_sort_implINS0_14default_configELb1EPKsPsPKlPlN2at6native12_GLOBAL__N_18offset_tEEE10hipError_tPvRmT1_PNSt15iterator_traitsIS12_E10value_typeET2_T3_PNS13_IS18_E10value_typeET4_jRbjT5_S1E_jjP12ihipStream_tbEUljE_ZNSN_ISO_Lb1ESQ_SR_ST_SU_SY_EESZ_S10_S11_S12_S16_S17_S18_S1B_S1C_jS1D_jS1E_S1E_jjS1G_bEUljE0_EEESZ_S10_S11_S18_S1C_S1E_T6_T7_T9_mT8_S1G_bDpT10_ENKUlT_T0_E_clISt17integral_constantIbLb1EES1U_EEDaS1P_S1Q_EUlS1P_E_NS1_11comp_targetILNS1_3genE4ELNS1_11target_archE910ELNS1_3gpuE8ELNS1_3repE0EEENS1_30default_config_static_selectorELNS0_4arch9wavefront6targetE0EEEvS12_.has_dyn_sized_stack, 0
	.set _ZN7rocprim17ROCPRIM_400000_NS6detail17trampoline_kernelINS0_13select_configILj256ELj13ELNS0_17block_load_methodE3ELS4_3ELS4_3ELNS0_20block_scan_algorithmE0ELj4294967295EEENS1_25partition_config_selectorILNS1_17partition_subalgoE4EjNS0_10empty_typeEbEEZZNS1_14partition_implILS8_4ELb0ES6_15HIP_vector_typeIjLj2EENS0_17counting_iteratorIjlEEPS9_SG_NS0_5tupleIJPjSI_NS0_16reverse_iteratorISI_EEEEENSH_IJSG_SG_SG_EEES9_SI_JZNS1_25segmented_radix_sort_implINS0_14default_configELb1EPKsPsPKlPlN2at6native12_GLOBAL__N_18offset_tEEE10hipError_tPvRmT1_PNSt15iterator_traitsIS12_E10value_typeET2_T3_PNS13_IS18_E10value_typeET4_jRbjT5_S1E_jjP12ihipStream_tbEUljE_ZNSN_ISO_Lb1ESQ_SR_ST_SU_SY_EESZ_S10_S11_S12_S16_S17_S18_S1B_S1C_jS1D_jS1E_S1E_jjS1G_bEUljE0_EEESZ_S10_S11_S18_S1C_S1E_T6_T7_T9_mT8_S1G_bDpT10_ENKUlT_T0_E_clISt17integral_constantIbLb1EES1U_EEDaS1P_S1Q_EUlS1P_E_NS1_11comp_targetILNS1_3genE4ELNS1_11target_archE910ELNS1_3gpuE8ELNS1_3repE0EEENS1_30default_config_static_selectorELNS0_4arch9wavefront6targetE0EEEvS12_.has_recursion, 0
	.set _ZN7rocprim17ROCPRIM_400000_NS6detail17trampoline_kernelINS0_13select_configILj256ELj13ELNS0_17block_load_methodE3ELS4_3ELS4_3ELNS0_20block_scan_algorithmE0ELj4294967295EEENS1_25partition_config_selectorILNS1_17partition_subalgoE4EjNS0_10empty_typeEbEEZZNS1_14partition_implILS8_4ELb0ES6_15HIP_vector_typeIjLj2EENS0_17counting_iteratorIjlEEPS9_SG_NS0_5tupleIJPjSI_NS0_16reverse_iteratorISI_EEEEENSH_IJSG_SG_SG_EEES9_SI_JZNS1_25segmented_radix_sort_implINS0_14default_configELb1EPKsPsPKlPlN2at6native12_GLOBAL__N_18offset_tEEE10hipError_tPvRmT1_PNSt15iterator_traitsIS12_E10value_typeET2_T3_PNS13_IS18_E10value_typeET4_jRbjT5_S1E_jjP12ihipStream_tbEUljE_ZNSN_ISO_Lb1ESQ_SR_ST_SU_SY_EESZ_S10_S11_S12_S16_S17_S18_S1B_S1C_jS1D_jS1E_S1E_jjS1G_bEUljE0_EEESZ_S10_S11_S18_S1C_S1E_T6_T7_T9_mT8_S1G_bDpT10_ENKUlT_T0_E_clISt17integral_constantIbLb1EES1U_EEDaS1P_S1Q_EUlS1P_E_NS1_11comp_targetILNS1_3genE4ELNS1_11target_archE910ELNS1_3gpuE8ELNS1_3repE0EEENS1_30default_config_static_selectorELNS0_4arch9wavefront6targetE0EEEvS12_.has_indirect_call, 0
	.section	.AMDGPU.csdata,"",@progbits
; Kernel info:
; codeLenInByte = 0
; TotalNumSgprs: 0
; NumVgprs: 0
; ScratchSize: 0
; MemoryBound: 0
; FloatMode: 240
; IeeeMode: 1
; LDSByteSize: 0 bytes/workgroup (compile time only)
; SGPRBlocks: 0
; VGPRBlocks: 0
; NumSGPRsForWavesPerEU: 1
; NumVGPRsForWavesPerEU: 1
; Occupancy: 16
; WaveLimiterHint : 0
; COMPUTE_PGM_RSRC2:SCRATCH_EN: 0
; COMPUTE_PGM_RSRC2:USER_SGPR: 6
; COMPUTE_PGM_RSRC2:TRAP_HANDLER: 0
; COMPUTE_PGM_RSRC2:TGID_X_EN: 1
; COMPUTE_PGM_RSRC2:TGID_Y_EN: 0
; COMPUTE_PGM_RSRC2:TGID_Z_EN: 0
; COMPUTE_PGM_RSRC2:TIDIG_COMP_CNT: 0
	.section	.text._ZN7rocprim17ROCPRIM_400000_NS6detail17trampoline_kernelINS0_13select_configILj256ELj13ELNS0_17block_load_methodE3ELS4_3ELS4_3ELNS0_20block_scan_algorithmE0ELj4294967295EEENS1_25partition_config_selectorILNS1_17partition_subalgoE4EjNS0_10empty_typeEbEEZZNS1_14partition_implILS8_4ELb0ES6_15HIP_vector_typeIjLj2EENS0_17counting_iteratorIjlEEPS9_SG_NS0_5tupleIJPjSI_NS0_16reverse_iteratorISI_EEEEENSH_IJSG_SG_SG_EEES9_SI_JZNS1_25segmented_radix_sort_implINS0_14default_configELb1EPKsPsPKlPlN2at6native12_GLOBAL__N_18offset_tEEE10hipError_tPvRmT1_PNSt15iterator_traitsIS12_E10value_typeET2_T3_PNS13_IS18_E10value_typeET4_jRbjT5_S1E_jjP12ihipStream_tbEUljE_ZNSN_ISO_Lb1ESQ_SR_ST_SU_SY_EESZ_S10_S11_S12_S16_S17_S18_S1B_S1C_jS1D_jS1E_S1E_jjS1G_bEUljE0_EEESZ_S10_S11_S18_S1C_S1E_T6_T7_T9_mT8_S1G_bDpT10_ENKUlT_T0_E_clISt17integral_constantIbLb1EES1U_EEDaS1P_S1Q_EUlS1P_E_NS1_11comp_targetILNS1_3genE3ELNS1_11target_archE908ELNS1_3gpuE7ELNS1_3repE0EEENS1_30default_config_static_selectorELNS0_4arch9wavefront6targetE0EEEvS12_,"axG",@progbits,_ZN7rocprim17ROCPRIM_400000_NS6detail17trampoline_kernelINS0_13select_configILj256ELj13ELNS0_17block_load_methodE3ELS4_3ELS4_3ELNS0_20block_scan_algorithmE0ELj4294967295EEENS1_25partition_config_selectorILNS1_17partition_subalgoE4EjNS0_10empty_typeEbEEZZNS1_14partition_implILS8_4ELb0ES6_15HIP_vector_typeIjLj2EENS0_17counting_iteratorIjlEEPS9_SG_NS0_5tupleIJPjSI_NS0_16reverse_iteratorISI_EEEEENSH_IJSG_SG_SG_EEES9_SI_JZNS1_25segmented_radix_sort_implINS0_14default_configELb1EPKsPsPKlPlN2at6native12_GLOBAL__N_18offset_tEEE10hipError_tPvRmT1_PNSt15iterator_traitsIS12_E10value_typeET2_T3_PNS13_IS18_E10value_typeET4_jRbjT5_S1E_jjP12ihipStream_tbEUljE_ZNSN_ISO_Lb1ESQ_SR_ST_SU_SY_EESZ_S10_S11_S12_S16_S17_S18_S1B_S1C_jS1D_jS1E_S1E_jjS1G_bEUljE0_EEESZ_S10_S11_S18_S1C_S1E_T6_T7_T9_mT8_S1G_bDpT10_ENKUlT_T0_E_clISt17integral_constantIbLb1EES1U_EEDaS1P_S1Q_EUlS1P_E_NS1_11comp_targetILNS1_3genE3ELNS1_11target_archE908ELNS1_3gpuE7ELNS1_3repE0EEENS1_30default_config_static_selectorELNS0_4arch9wavefront6targetE0EEEvS12_,comdat
	.globl	_ZN7rocprim17ROCPRIM_400000_NS6detail17trampoline_kernelINS0_13select_configILj256ELj13ELNS0_17block_load_methodE3ELS4_3ELS4_3ELNS0_20block_scan_algorithmE0ELj4294967295EEENS1_25partition_config_selectorILNS1_17partition_subalgoE4EjNS0_10empty_typeEbEEZZNS1_14partition_implILS8_4ELb0ES6_15HIP_vector_typeIjLj2EENS0_17counting_iteratorIjlEEPS9_SG_NS0_5tupleIJPjSI_NS0_16reverse_iteratorISI_EEEEENSH_IJSG_SG_SG_EEES9_SI_JZNS1_25segmented_radix_sort_implINS0_14default_configELb1EPKsPsPKlPlN2at6native12_GLOBAL__N_18offset_tEEE10hipError_tPvRmT1_PNSt15iterator_traitsIS12_E10value_typeET2_T3_PNS13_IS18_E10value_typeET4_jRbjT5_S1E_jjP12ihipStream_tbEUljE_ZNSN_ISO_Lb1ESQ_SR_ST_SU_SY_EESZ_S10_S11_S12_S16_S17_S18_S1B_S1C_jS1D_jS1E_S1E_jjS1G_bEUljE0_EEESZ_S10_S11_S18_S1C_S1E_T6_T7_T9_mT8_S1G_bDpT10_ENKUlT_T0_E_clISt17integral_constantIbLb1EES1U_EEDaS1P_S1Q_EUlS1P_E_NS1_11comp_targetILNS1_3genE3ELNS1_11target_archE908ELNS1_3gpuE7ELNS1_3repE0EEENS1_30default_config_static_selectorELNS0_4arch9wavefront6targetE0EEEvS12_ ; -- Begin function _ZN7rocprim17ROCPRIM_400000_NS6detail17trampoline_kernelINS0_13select_configILj256ELj13ELNS0_17block_load_methodE3ELS4_3ELS4_3ELNS0_20block_scan_algorithmE0ELj4294967295EEENS1_25partition_config_selectorILNS1_17partition_subalgoE4EjNS0_10empty_typeEbEEZZNS1_14partition_implILS8_4ELb0ES6_15HIP_vector_typeIjLj2EENS0_17counting_iteratorIjlEEPS9_SG_NS0_5tupleIJPjSI_NS0_16reverse_iteratorISI_EEEEENSH_IJSG_SG_SG_EEES9_SI_JZNS1_25segmented_radix_sort_implINS0_14default_configELb1EPKsPsPKlPlN2at6native12_GLOBAL__N_18offset_tEEE10hipError_tPvRmT1_PNSt15iterator_traitsIS12_E10value_typeET2_T3_PNS13_IS18_E10value_typeET4_jRbjT5_S1E_jjP12ihipStream_tbEUljE_ZNSN_ISO_Lb1ESQ_SR_ST_SU_SY_EESZ_S10_S11_S12_S16_S17_S18_S1B_S1C_jS1D_jS1E_S1E_jjS1G_bEUljE0_EEESZ_S10_S11_S18_S1C_S1E_T6_T7_T9_mT8_S1G_bDpT10_ENKUlT_T0_E_clISt17integral_constantIbLb1EES1U_EEDaS1P_S1Q_EUlS1P_E_NS1_11comp_targetILNS1_3genE3ELNS1_11target_archE908ELNS1_3gpuE7ELNS1_3repE0EEENS1_30default_config_static_selectorELNS0_4arch9wavefront6targetE0EEEvS12_
	.p2align	8
	.type	_ZN7rocprim17ROCPRIM_400000_NS6detail17trampoline_kernelINS0_13select_configILj256ELj13ELNS0_17block_load_methodE3ELS4_3ELS4_3ELNS0_20block_scan_algorithmE0ELj4294967295EEENS1_25partition_config_selectorILNS1_17partition_subalgoE4EjNS0_10empty_typeEbEEZZNS1_14partition_implILS8_4ELb0ES6_15HIP_vector_typeIjLj2EENS0_17counting_iteratorIjlEEPS9_SG_NS0_5tupleIJPjSI_NS0_16reverse_iteratorISI_EEEEENSH_IJSG_SG_SG_EEES9_SI_JZNS1_25segmented_radix_sort_implINS0_14default_configELb1EPKsPsPKlPlN2at6native12_GLOBAL__N_18offset_tEEE10hipError_tPvRmT1_PNSt15iterator_traitsIS12_E10value_typeET2_T3_PNS13_IS18_E10value_typeET4_jRbjT5_S1E_jjP12ihipStream_tbEUljE_ZNSN_ISO_Lb1ESQ_SR_ST_SU_SY_EESZ_S10_S11_S12_S16_S17_S18_S1B_S1C_jS1D_jS1E_S1E_jjS1G_bEUljE0_EEESZ_S10_S11_S18_S1C_S1E_T6_T7_T9_mT8_S1G_bDpT10_ENKUlT_T0_E_clISt17integral_constantIbLb1EES1U_EEDaS1P_S1Q_EUlS1P_E_NS1_11comp_targetILNS1_3genE3ELNS1_11target_archE908ELNS1_3gpuE7ELNS1_3repE0EEENS1_30default_config_static_selectorELNS0_4arch9wavefront6targetE0EEEvS12_,@function
_ZN7rocprim17ROCPRIM_400000_NS6detail17trampoline_kernelINS0_13select_configILj256ELj13ELNS0_17block_load_methodE3ELS4_3ELS4_3ELNS0_20block_scan_algorithmE0ELj4294967295EEENS1_25partition_config_selectorILNS1_17partition_subalgoE4EjNS0_10empty_typeEbEEZZNS1_14partition_implILS8_4ELb0ES6_15HIP_vector_typeIjLj2EENS0_17counting_iteratorIjlEEPS9_SG_NS0_5tupleIJPjSI_NS0_16reverse_iteratorISI_EEEEENSH_IJSG_SG_SG_EEES9_SI_JZNS1_25segmented_radix_sort_implINS0_14default_configELb1EPKsPsPKlPlN2at6native12_GLOBAL__N_18offset_tEEE10hipError_tPvRmT1_PNSt15iterator_traitsIS12_E10value_typeET2_T3_PNS13_IS18_E10value_typeET4_jRbjT5_S1E_jjP12ihipStream_tbEUljE_ZNSN_ISO_Lb1ESQ_SR_ST_SU_SY_EESZ_S10_S11_S12_S16_S17_S18_S1B_S1C_jS1D_jS1E_S1E_jjS1G_bEUljE0_EEESZ_S10_S11_S18_S1C_S1E_T6_T7_T9_mT8_S1G_bDpT10_ENKUlT_T0_E_clISt17integral_constantIbLb1EES1U_EEDaS1P_S1Q_EUlS1P_E_NS1_11comp_targetILNS1_3genE3ELNS1_11target_archE908ELNS1_3gpuE7ELNS1_3repE0EEENS1_30default_config_static_selectorELNS0_4arch9wavefront6targetE0EEEvS12_: ; @_ZN7rocprim17ROCPRIM_400000_NS6detail17trampoline_kernelINS0_13select_configILj256ELj13ELNS0_17block_load_methodE3ELS4_3ELS4_3ELNS0_20block_scan_algorithmE0ELj4294967295EEENS1_25partition_config_selectorILNS1_17partition_subalgoE4EjNS0_10empty_typeEbEEZZNS1_14partition_implILS8_4ELb0ES6_15HIP_vector_typeIjLj2EENS0_17counting_iteratorIjlEEPS9_SG_NS0_5tupleIJPjSI_NS0_16reverse_iteratorISI_EEEEENSH_IJSG_SG_SG_EEES9_SI_JZNS1_25segmented_radix_sort_implINS0_14default_configELb1EPKsPsPKlPlN2at6native12_GLOBAL__N_18offset_tEEE10hipError_tPvRmT1_PNSt15iterator_traitsIS12_E10value_typeET2_T3_PNS13_IS18_E10value_typeET4_jRbjT5_S1E_jjP12ihipStream_tbEUljE_ZNSN_ISO_Lb1ESQ_SR_ST_SU_SY_EESZ_S10_S11_S12_S16_S17_S18_S1B_S1C_jS1D_jS1E_S1E_jjS1G_bEUljE0_EEESZ_S10_S11_S18_S1C_S1E_T6_T7_T9_mT8_S1G_bDpT10_ENKUlT_T0_E_clISt17integral_constantIbLb1EES1U_EEDaS1P_S1Q_EUlS1P_E_NS1_11comp_targetILNS1_3genE3ELNS1_11target_archE908ELNS1_3gpuE7ELNS1_3repE0EEENS1_30default_config_static_selectorELNS0_4arch9wavefront6targetE0EEEvS12_
; %bb.0:
	.section	.rodata,"a",@progbits
	.p2align	6, 0x0
	.amdhsa_kernel _ZN7rocprim17ROCPRIM_400000_NS6detail17trampoline_kernelINS0_13select_configILj256ELj13ELNS0_17block_load_methodE3ELS4_3ELS4_3ELNS0_20block_scan_algorithmE0ELj4294967295EEENS1_25partition_config_selectorILNS1_17partition_subalgoE4EjNS0_10empty_typeEbEEZZNS1_14partition_implILS8_4ELb0ES6_15HIP_vector_typeIjLj2EENS0_17counting_iteratorIjlEEPS9_SG_NS0_5tupleIJPjSI_NS0_16reverse_iteratorISI_EEEEENSH_IJSG_SG_SG_EEES9_SI_JZNS1_25segmented_radix_sort_implINS0_14default_configELb1EPKsPsPKlPlN2at6native12_GLOBAL__N_18offset_tEEE10hipError_tPvRmT1_PNSt15iterator_traitsIS12_E10value_typeET2_T3_PNS13_IS18_E10value_typeET4_jRbjT5_S1E_jjP12ihipStream_tbEUljE_ZNSN_ISO_Lb1ESQ_SR_ST_SU_SY_EESZ_S10_S11_S12_S16_S17_S18_S1B_S1C_jS1D_jS1E_S1E_jjS1G_bEUljE0_EEESZ_S10_S11_S18_S1C_S1E_T6_T7_T9_mT8_S1G_bDpT10_ENKUlT_T0_E_clISt17integral_constantIbLb1EES1U_EEDaS1P_S1Q_EUlS1P_E_NS1_11comp_targetILNS1_3genE3ELNS1_11target_archE908ELNS1_3gpuE7ELNS1_3repE0EEENS1_30default_config_static_selectorELNS0_4arch9wavefront6targetE0EEEvS12_
		.amdhsa_group_segment_fixed_size 0
		.amdhsa_private_segment_fixed_size 0
		.amdhsa_kernarg_size 184
		.amdhsa_user_sgpr_count 6
		.amdhsa_user_sgpr_private_segment_buffer 1
		.amdhsa_user_sgpr_dispatch_ptr 0
		.amdhsa_user_sgpr_queue_ptr 0
		.amdhsa_user_sgpr_kernarg_segment_ptr 1
		.amdhsa_user_sgpr_dispatch_id 0
		.amdhsa_user_sgpr_flat_scratch_init 0
		.amdhsa_user_sgpr_private_segment_size 0
		.amdhsa_wavefront_size32 1
		.amdhsa_uses_dynamic_stack 0
		.amdhsa_system_sgpr_private_segment_wavefront_offset 0
		.amdhsa_system_sgpr_workgroup_id_x 1
		.amdhsa_system_sgpr_workgroup_id_y 0
		.amdhsa_system_sgpr_workgroup_id_z 0
		.amdhsa_system_sgpr_workgroup_info 0
		.amdhsa_system_vgpr_workitem_id 0
		.amdhsa_next_free_vgpr 1
		.amdhsa_next_free_sgpr 1
		.amdhsa_reserve_vcc 0
		.amdhsa_reserve_flat_scratch 0
		.amdhsa_float_round_mode_32 0
		.amdhsa_float_round_mode_16_64 0
		.amdhsa_float_denorm_mode_32 3
		.amdhsa_float_denorm_mode_16_64 3
		.amdhsa_dx10_clamp 1
		.amdhsa_ieee_mode 1
		.amdhsa_fp16_overflow 0
		.amdhsa_workgroup_processor_mode 1
		.amdhsa_memory_ordered 1
		.amdhsa_forward_progress 1
		.amdhsa_shared_vgpr_count 0
		.amdhsa_exception_fp_ieee_invalid_op 0
		.amdhsa_exception_fp_denorm_src 0
		.amdhsa_exception_fp_ieee_div_zero 0
		.amdhsa_exception_fp_ieee_overflow 0
		.amdhsa_exception_fp_ieee_underflow 0
		.amdhsa_exception_fp_ieee_inexact 0
		.amdhsa_exception_int_div_zero 0
	.end_amdhsa_kernel
	.section	.text._ZN7rocprim17ROCPRIM_400000_NS6detail17trampoline_kernelINS0_13select_configILj256ELj13ELNS0_17block_load_methodE3ELS4_3ELS4_3ELNS0_20block_scan_algorithmE0ELj4294967295EEENS1_25partition_config_selectorILNS1_17partition_subalgoE4EjNS0_10empty_typeEbEEZZNS1_14partition_implILS8_4ELb0ES6_15HIP_vector_typeIjLj2EENS0_17counting_iteratorIjlEEPS9_SG_NS0_5tupleIJPjSI_NS0_16reverse_iteratorISI_EEEEENSH_IJSG_SG_SG_EEES9_SI_JZNS1_25segmented_radix_sort_implINS0_14default_configELb1EPKsPsPKlPlN2at6native12_GLOBAL__N_18offset_tEEE10hipError_tPvRmT1_PNSt15iterator_traitsIS12_E10value_typeET2_T3_PNS13_IS18_E10value_typeET4_jRbjT5_S1E_jjP12ihipStream_tbEUljE_ZNSN_ISO_Lb1ESQ_SR_ST_SU_SY_EESZ_S10_S11_S12_S16_S17_S18_S1B_S1C_jS1D_jS1E_S1E_jjS1G_bEUljE0_EEESZ_S10_S11_S18_S1C_S1E_T6_T7_T9_mT8_S1G_bDpT10_ENKUlT_T0_E_clISt17integral_constantIbLb1EES1U_EEDaS1P_S1Q_EUlS1P_E_NS1_11comp_targetILNS1_3genE3ELNS1_11target_archE908ELNS1_3gpuE7ELNS1_3repE0EEENS1_30default_config_static_selectorELNS0_4arch9wavefront6targetE0EEEvS12_,"axG",@progbits,_ZN7rocprim17ROCPRIM_400000_NS6detail17trampoline_kernelINS0_13select_configILj256ELj13ELNS0_17block_load_methodE3ELS4_3ELS4_3ELNS0_20block_scan_algorithmE0ELj4294967295EEENS1_25partition_config_selectorILNS1_17partition_subalgoE4EjNS0_10empty_typeEbEEZZNS1_14partition_implILS8_4ELb0ES6_15HIP_vector_typeIjLj2EENS0_17counting_iteratorIjlEEPS9_SG_NS0_5tupleIJPjSI_NS0_16reverse_iteratorISI_EEEEENSH_IJSG_SG_SG_EEES9_SI_JZNS1_25segmented_radix_sort_implINS0_14default_configELb1EPKsPsPKlPlN2at6native12_GLOBAL__N_18offset_tEEE10hipError_tPvRmT1_PNSt15iterator_traitsIS12_E10value_typeET2_T3_PNS13_IS18_E10value_typeET4_jRbjT5_S1E_jjP12ihipStream_tbEUljE_ZNSN_ISO_Lb1ESQ_SR_ST_SU_SY_EESZ_S10_S11_S12_S16_S17_S18_S1B_S1C_jS1D_jS1E_S1E_jjS1G_bEUljE0_EEESZ_S10_S11_S18_S1C_S1E_T6_T7_T9_mT8_S1G_bDpT10_ENKUlT_T0_E_clISt17integral_constantIbLb1EES1U_EEDaS1P_S1Q_EUlS1P_E_NS1_11comp_targetILNS1_3genE3ELNS1_11target_archE908ELNS1_3gpuE7ELNS1_3repE0EEENS1_30default_config_static_selectorELNS0_4arch9wavefront6targetE0EEEvS12_,comdat
.Lfunc_end852:
	.size	_ZN7rocprim17ROCPRIM_400000_NS6detail17trampoline_kernelINS0_13select_configILj256ELj13ELNS0_17block_load_methodE3ELS4_3ELS4_3ELNS0_20block_scan_algorithmE0ELj4294967295EEENS1_25partition_config_selectorILNS1_17partition_subalgoE4EjNS0_10empty_typeEbEEZZNS1_14partition_implILS8_4ELb0ES6_15HIP_vector_typeIjLj2EENS0_17counting_iteratorIjlEEPS9_SG_NS0_5tupleIJPjSI_NS0_16reverse_iteratorISI_EEEEENSH_IJSG_SG_SG_EEES9_SI_JZNS1_25segmented_radix_sort_implINS0_14default_configELb1EPKsPsPKlPlN2at6native12_GLOBAL__N_18offset_tEEE10hipError_tPvRmT1_PNSt15iterator_traitsIS12_E10value_typeET2_T3_PNS13_IS18_E10value_typeET4_jRbjT5_S1E_jjP12ihipStream_tbEUljE_ZNSN_ISO_Lb1ESQ_SR_ST_SU_SY_EESZ_S10_S11_S12_S16_S17_S18_S1B_S1C_jS1D_jS1E_S1E_jjS1G_bEUljE0_EEESZ_S10_S11_S18_S1C_S1E_T6_T7_T9_mT8_S1G_bDpT10_ENKUlT_T0_E_clISt17integral_constantIbLb1EES1U_EEDaS1P_S1Q_EUlS1P_E_NS1_11comp_targetILNS1_3genE3ELNS1_11target_archE908ELNS1_3gpuE7ELNS1_3repE0EEENS1_30default_config_static_selectorELNS0_4arch9wavefront6targetE0EEEvS12_, .Lfunc_end852-_ZN7rocprim17ROCPRIM_400000_NS6detail17trampoline_kernelINS0_13select_configILj256ELj13ELNS0_17block_load_methodE3ELS4_3ELS4_3ELNS0_20block_scan_algorithmE0ELj4294967295EEENS1_25partition_config_selectorILNS1_17partition_subalgoE4EjNS0_10empty_typeEbEEZZNS1_14partition_implILS8_4ELb0ES6_15HIP_vector_typeIjLj2EENS0_17counting_iteratorIjlEEPS9_SG_NS0_5tupleIJPjSI_NS0_16reverse_iteratorISI_EEEEENSH_IJSG_SG_SG_EEES9_SI_JZNS1_25segmented_radix_sort_implINS0_14default_configELb1EPKsPsPKlPlN2at6native12_GLOBAL__N_18offset_tEEE10hipError_tPvRmT1_PNSt15iterator_traitsIS12_E10value_typeET2_T3_PNS13_IS18_E10value_typeET4_jRbjT5_S1E_jjP12ihipStream_tbEUljE_ZNSN_ISO_Lb1ESQ_SR_ST_SU_SY_EESZ_S10_S11_S12_S16_S17_S18_S1B_S1C_jS1D_jS1E_S1E_jjS1G_bEUljE0_EEESZ_S10_S11_S18_S1C_S1E_T6_T7_T9_mT8_S1G_bDpT10_ENKUlT_T0_E_clISt17integral_constantIbLb1EES1U_EEDaS1P_S1Q_EUlS1P_E_NS1_11comp_targetILNS1_3genE3ELNS1_11target_archE908ELNS1_3gpuE7ELNS1_3repE0EEENS1_30default_config_static_selectorELNS0_4arch9wavefront6targetE0EEEvS12_
                                        ; -- End function
	.set _ZN7rocprim17ROCPRIM_400000_NS6detail17trampoline_kernelINS0_13select_configILj256ELj13ELNS0_17block_load_methodE3ELS4_3ELS4_3ELNS0_20block_scan_algorithmE0ELj4294967295EEENS1_25partition_config_selectorILNS1_17partition_subalgoE4EjNS0_10empty_typeEbEEZZNS1_14partition_implILS8_4ELb0ES6_15HIP_vector_typeIjLj2EENS0_17counting_iteratorIjlEEPS9_SG_NS0_5tupleIJPjSI_NS0_16reverse_iteratorISI_EEEEENSH_IJSG_SG_SG_EEES9_SI_JZNS1_25segmented_radix_sort_implINS0_14default_configELb1EPKsPsPKlPlN2at6native12_GLOBAL__N_18offset_tEEE10hipError_tPvRmT1_PNSt15iterator_traitsIS12_E10value_typeET2_T3_PNS13_IS18_E10value_typeET4_jRbjT5_S1E_jjP12ihipStream_tbEUljE_ZNSN_ISO_Lb1ESQ_SR_ST_SU_SY_EESZ_S10_S11_S12_S16_S17_S18_S1B_S1C_jS1D_jS1E_S1E_jjS1G_bEUljE0_EEESZ_S10_S11_S18_S1C_S1E_T6_T7_T9_mT8_S1G_bDpT10_ENKUlT_T0_E_clISt17integral_constantIbLb1EES1U_EEDaS1P_S1Q_EUlS1P_E_NS1_11comp_targetILNS1_3genE3ELNS1_11target_archE908ELNS1_3gpuE7ELNS1_3repE0EEENS1_30default_config_static_selectorELNS0_4arch9wavefront6targetE0EEEvS12_.num_vgpr, 0
	.set _ZN7rocprim17ROCPRIM_400000_NS6detail17trampoline_kernelINS0_13select_configILj256ELj13ELNS0_17block_load_methodE3ELS4_3ELS4_3ELNS0_20block_scan_algorithmE0ELj4294967295EEENS1_25partition_config_selectorILNS1_17partition_subalgoE4EjNS0_10empty_typeEbEEZZNS1_14partition_implILS8_4ELb0ES6_15HIP_vector_typeIjLj2EENS0_17counting_iteratorIjlEEPS9_SG_NS0_5tupleIJPjSI_NS0_16reverse_iteratorISI_EEEEENSH_IJSG_SG_SG_EEES9_SI_JZNS1_25segmented_radix_sort_implINS0_14default_configELb1EPKsPsPKlPlN2at6native12_GLOBAL__N_18offset_tEEE10hipError_tPvRmT1_PNSt15iterator_traitsIS12_E10value_typeET2_T3_PNS13_IS18_E10value_typeET4_jRbjT5_S1E_jjP12ihipStream_tbEUljE_ZNSN_ISO_Lb1ESQ_SR_ST_SU_SY_EESZ_S10_S11_S12_S16_S17_S18_S1B_S1C_jS1D_jS1E_S1E_jjS1G_bEUljE0_EEESZ_S10_S11_S18_S1C_S1E_T6_T7_T9_mT8_S1G_bDpT10_ENKUlT_T0_E_clISt17integral_constantIbLb1EES1U_EEDaS1P_S1Q_EUlS1P_E_NS1_11comp_targetILNS1_3genE3ELNS1_11target_archE908ELNS1_3gpuE7ELNS1_3repE0EEENS1_30default_config_static_selectorELNS0_4arch9wavefront6targetE0EEEvS12_.num_agpr, 0
	.set _ZN7rocprim17ROCPRIM_400000_NS6detail17trampoline_kernelINS0_13select_configILj256ELj13ELNS0_17block_load_methodE3ELS4_3ELS4_3ELNS0_20block_scan_algorithmE0ELj4294967295EEENS1_25partition_config_selectorILNS1_17partition_subalgoE4EjNS0_10empty_typeEbEEZZNS1_14partition_implILS8_4ELb0ES6_15HIP_vector_typeIjLj2EENS0_17counting_iteratorIjlEEPS9_SG_NS0_5tupleIJPjSI_NS0_16reverse_iteratorISI_EEEEENSH_IJSG_SG_SG_EEES9_SI_JZNS1_25segmented_radix_sort_implINS0_14default_configELb1EPKsPsPKlPlN2at6native12_GLOBAL__N_18offset_tEEE10hipError_tPvRmT1_PNSt15iterator_traitsIS12_E10value_typeET2_T3_PNS13_IS18_E10value_typeET4_jRbjT5_S1E_jjP12ihipStream_tbEUljE_ZNSN_ISO_Lb1ESQ_SR_ST_SU_SY_EESZ_S10_S11_S12_S16_S17_S18_S1B_S1C_jS1D_jS1E_S1E_jjS1G_bEUljE0_EEESZ_S10_S11_S18_S1C_S1E_T6_T7_T9_mT8_S1G_bDpT10_ENKUlT_T0_E_clISt17integral_constantIbLb1EES1U_EEDaS1P_S1Q_EUlS1P_E_NS1_11comp_targetILNS1_3genE3ELNS1_11target_archE908ELNS1_3gpuE7ELNS1_3repE0EEENS1_30default_config_static_selectorELNS0_4arch9wavefront6targetE0EEEvS12_.numbered_sgpr, 0
	.set _ZN7rocprim17ROCPRIM_400000_NS6detail17trampoline_kernelINS0_13select_configILj256ELj13ELNS0_17block_load_methodE3ELS4_3ELS4_3ELNS0_20block_scan_algorithmE0ELj4294967295EEENS1_25partition_config_selectorILNS1_17partition_subalgoE4EjNS0_10empty_typeEbEEZZNS1_14partition_implILS8_4ELb0ES6_15HIP_vector_typeIjLj2EENS0_17counting_iteratorIjlEEPS9_SG_NS0_5tupleIJPjSI_NS0_16reverse_iteratorISI_EEEEENSH_IJSG_SG_SG_EEES9_SI_JZNS1_25segmented_radix_sort_implINS0_14default_configELb1EPKsPsPKlPlN2at6native12_GLOBAL__N_18offset_tEEE10hipError_tPvRmT1_PNSt15iterator_traitsIS12_E10value_typeET2_T3_PNS13_IS18_E10value_typeET4_jRbjT5_S1E_jjP12ihipStream_tbEUljE_ZNSN_ISO_Lb1ESQ_SR_ST_SU_SY_EESZ_S10_S11_S12_S16_S17_S18_S1B_S1C_jS1D_jS1E_S1E_jjS1G_bEUljE0_EEESZ_S10_S11_S18_S1C_S1E_T6_T7_T9_mT8_S1G_bDpT10_ENKUlT_T0_E_clISt17integral_constantIbLb1EES1U_EEDaS1P_S1Q_EUlS1P_E_NS1_11comp_targetILNS1_3genE3ELNS1_11target_archE908ELNS1_3gpuE7ELNS1_3repE0EEENS1_30default_config_static_selectorELNS0_4arch9wavefront6targetE0EEEvS12_.num_named_barrier, 0
	.set _ZN7rocprim17ROCPRIM_400000_NS6detail17trampoline_kernelINS0_13select_configILj256ELj13ELNS0_17block_load_methodE3ELS4_3ELS4_3ELNS0_20block_scan_algorithmE0ELj4294967295EEENS1_25partition_config_selectorILNS1_17partition_subalgoE4EjNS0_10empty_typeEbEEZZNS1_14partition_implILS8_4ELb0ES6_15HIP_vector_typeIjLj2EENS0_17counting_iteratorIjlEEPS9_SG_NS0_5tupleIJPjSI_NS0_16reverse_iteratorISI_EEEEENSH_IJSG_SG_SG_EEES9_SI_JZNS1_25segmented_radix_sort_implINS0_14default_configELb1EPKsPsPKlPlN2at6native12_GLOBAL__N_18offset_tEEE10hipError_tPvRmT1_PNSt15iterator_traitsIS12_E10value_typeET2_T3_PNS13_IS18_E10value_typeET4_jRbjT5_S1E_jjP12ihipStream_tbEUljE_ZNSN_ISO_Lb1ESQ_SR_ST_SU_SY_EESZ_S10_S11_S12_S16_S17_S18_S1B_S1C_jS1D_jS1E_S1E_jjS1G_bEUljE0_EEESZ_S10_S11_S18_S1C_S1E_T6_T7_T9_mT8_S1G_bDpT10_ENKUlT_T0_E_clISt17integral_constantIbLb1EES1U_EEDaS1P_S1Q_EUlS1P_E_NS1_11comp_targetILNS1_3genE3ELNS1_11target_archE908ELNS1_3gpuE7ELNS1_3repE0EEENS1_30default_config_static_selectorELNS0_4arch9wavefront6targetE0EEEvS12_.private_seg_size, 0
	.set _ZN7rocprim17ROCPRIM_400000_NS6detail17trampoline_kernelINS0_13select_configILj256ELj13ELNS0_17block_load_methodE3ELS4_3ELS4_3ELNS0_20block_scan_algorithmE0ELj4294967295EEENS1_25partition_config_selectorILNS1_17partition_subalgoE4EjNS0_10empty_typeEbEEZZNS1_14partition_implILS8_4ELb0ES6_15HIP_vector_typeIjLj2EENS0_17counting_iteratorIjlEEPS9_SG_NS0_5tupleIJPjSI_NS0_16reverse_iteratorISI_EEEEENSH_IJSG_SG_SG_EEES9_SI_JZNS1_25segmented_radix_sort_implINS0_14default_configELb1EPKsPsPKlPlN2at6native12_GLOBAL__N_18offset_tEEE10hipError_tPvRmT1_PNSt15iterator_traitsIS12_E10value_typeET2_T3_PNS13_IS18_E10value_typeET4_jRbjT5_S1E_jjP12ihipStream_tbEUljE_ZNSN_ISO_Lb1ESQ_SR_ST_SU_SY_EESZ_S10_S11_S12_S16_S17_S18_S1B_S1C_jS1D_jS1E_S1E_jjS1G_bEUljE0_EEESZ_S10_S11_S18_S1C_S1E_T6_T7_T9_mT8_S1G_bDpT10_ENKUlT_T0_E_clISt17integral_constantIbLb1EES1U_EEDaS1P_S1Q_EUlS1P_E_NS1_11comp_targetILNS1_3genE3ELNS1_11target_archE908ELNS1_3gpuE7ELNS1_3repE0EEENS1_30default_config_static_selectorELNS0_4arch9wavefront6targetE0EEEvS12_.uses_vcc, 0
	.set _ZN7rocprim17ROCPRIM_400000_NS6detail17trampoline_kernelINS0_13select_configILj256ELj13ELNS0_17block_load_methodE3ELS4_3ELS4_3ELNS0_20block_scan_algorithmE0ELj4294967295EEENS1_25partition_config_selectorILNS1_17partition_subalgoE4EjNS0_10empty_typeEbEEZZNS1_14partition_implILS8_4ELb0ES6_15HIP_vector_typeIjLj2EENS0_17counting_iteratorIjlEEPS9_SG_NS0_5tupleIJPjSI_NS0_16reverse_iteratorISI_EEEEENSH_IJSG_SG_SG_EEES9_SI_JZNS1_25segmented_radix_sort_implINS0_14default_configELb1EPKsPsPKlPlN2at6native12_GLOBAL__N_18offset_tEEE10hipError_tPvRmT1_PNSt15iterator_traitsIS12_E10value_typeET2_T3_PNS13_IS18_E10value_typeET4_jRbjT5_S1E_jjP12ihipStream_tbEUljE_ZNSN_ISO_Lb1ESQ_SR_ST_SU_SY_EESZ_S10_S11_S12_S16_S17_S18_S1B_S1C_jS1D_jS1E_S1E_jjS1G_bEUljE0_EEESZ_S10_S11_S18_S1C_S1E_T6_T7_T9_mT8_S1G_bDpT10_ENKUlT_T0_E_clISt17integral_constantIbLb1EES1U_EEDaS1P_S1Q_EUlS1P_E_NS1_11comp_targetILNS1_3genE3ELNS1_11target_archE908ELNS1_3gpuE7ELNS1_3repE0EEENS1_30default_config_static_selectorELNS0_4arch9wavefront6targetE0EEEvS12_.uses_flat_scratch, 0
	.set _ZN7rocprim17ROCPRIM_400000_NS6detail17trampoline_kernelINS0_13select_configILj256ELj13ELNS0_17block_load_methodE3ELS4_3ELS4_3ELNS0_20block_scan_algorithmE0ELj4294967295EEENS1_25partition_config_selectorILNS1_17partition_subalgoE4EjNS0_10empty_typeEbEEZZNS1_14partition_implILS8_4ELb0ES6_15HIP_vector_typeIjLj2EENS0_17counting_iteratorIjlEEPS9_SG_NS0_5tupleIJPjSI_NS0_16reverse_iteratorISI_EEEEENSH_IJSG_SG_SG_EEES9_SI_JZNS1_25segmented_radix_sort_implINS0_14default_configELb1EPKsPsPKlPlN2at6native12_GLOBAL__N_18offset_tEEE10hipError_tPvRmT1_PNSt15iterator_traitsIS12_E10value_typeET2_T3_PNS13_IS18_E10value_typeET4_jRbjT5_S1E_jjP12ihipStream_tbEUljE_ZNSN_ISO_Lb1ESQ_SR_ST_SU_SY_EESZ_S10_S11_S12_S16_S17_S18_S1B_S1C_jS1D_jS1E_S1E_jjS1G_bEUljE0_EEESZ_S10_S11_S18_S1C_S1E_T6_T7_T9_mT8_S1G_bDpT10_ENKUlT_T0_E_clISt17integral_constantIbLb1EES1U_EEDaS1P_S1Q_EUlS1P_E_NS1_11comp_targetILNS1_3genE3ELNS1_11target_archE908ELNS1_3gpuE7ELNS1_3repE0EEENS1_30default_config_static_selectorELNS0_4arch9wavefront6targetE0EEEvS12_.has_dyn_sized_stack, 0
	.set _ZN7rocprim17ROCPRIM_400000_NS6detail17trampoline_kernelINS0_13select_configILj256ELj13ELNS0_17block_load_methodE3ELS4_3ELS4_3ELNS0_20block_scan_algorithmE0ELj4294967295EEENS1_25partition_config_selectorILNS1_17partition_subalgoE4EjNS0_10empty_typeEbEEZZNS1_14partition_implILS8_4ELb0ES6_15HIP_vector_typeIjLj2EENS0_17counting_iteratorIjlEEPS9_SG_NS0_5tupleIJPjSI_NS0_16reverse_iteratorISI_EEEEENSH_IJSG_SG_SG_EEES9_SI_JZNS1_25segmented_radix_sort_implINS0_14default_configELb1EPKsPsPKlPlN2at6native12_GLOBAL__N_18offset_tEEE10hipError_tPvRmT1_PNSt15iterator_traitsIS12_E10value_typeET2_T3_PNS13_IS18_E10value_typeET4_jRbjT5_S1E_jjP12ihipStream_tbEUljE_ZNSN_ISO_Lb1ESQ_SR_ST_SU_SY_EESZ_S10_S11_S12_S16_S17_S18_S1B_S1C_jS1D_jS1E_S1E_jjS1G_bEUljE0_EEESZ_S10_S11_S18_S1C_S1E_T6_T7_T9_mT8_S1G_bDpT10_ENKUlT_T0_E_clISt17integral_constantIbLb1EES1U_EEDaS1P_S1Q_EUlS1P_E_NS1_11comp_targetILNS1_3genE3ELNS1_11target_archE908ELNS1_3gpuE7ELNS1_3repE0EEENS1_30default_config_static_selectorELNS0_4arch9wavefront6targetE0EEEvS12_.has_recursion, 0
	.set _ZN7rocprim17ROCPRIM_400000_NS6detail17trampoline_kernelINS0_13select_configILj256ELj13ELNS0_17block_load_methodE3ELS4_3ELS4_3ELNS0_20block_scan_algorithmE0ELj4294967295EEENS1_25partition_config_selectorILNS1_17partition_subalgoE4EjNS0_10empty_typeEbEEZZNS1_14partition_implILS8_4ELb0ES6_15HIP_vector_typeIjLj2EENS0_17counting_iteratorIjlEEPS9_SG_NS0_5tupleIJPjSI_NS0_16reverse_iteratorISI_EEEEENSH_IJSG_SG_SG_EEES9_SI_JZNS1_25segmented_radix_sort_implINS0_14default_configELb1EPKsPsPKlPlN2at6native12_GLOBAL__N_18offset_tEEE10hipError_tPvRmT1_PNSt15iterator_traitsIS12_E10value_typeET2_T3_PNS13_IS18_E10value_typeET4_jRbjT5_S1E_jjP12ihipStream_tbEUljE_ZNSN_ISO_Lb1ESQ_SR_ST_SU_SY_EESZ_S10_S11_S12_S16_S17_S18_S1B_S1C_jS1D_jS1E_S1E_jjS1G_bEUljE0_EEESZ_S10_S11_S18_S1C_S1E_T6_T7_T9_mT8_S1G_bDpT10_ENKUlT_T0_E_clISt17integral_constantIbLb1EES1U_EEDaS1P_S1Q_EUlS1P_E_NS1_11comp_targetILNS1_3genE3ELNS1_11target_archE908ELNS1_3gpuE7ELNS1_3repE0EEENS1_30default_config_static_selectorELNS0_4arch9wavefront6targetE0EEEvS12_.has_indirect_call, 0
	.section	.AMDGPU.csdata,"",@progbits
; Kernel info:
; codeLenInByte = 0
; TotalNumSgprs: 0
; NumVgprs: 0
; ScratchSize: 0
; MemoryBound: 0
; FloatMode: 240
; IeeeMode: 1
; LDSByteSize: 0 bytes/workgroup (compile time only)
; SGPRBlocks: 0
; VGPRBlocks: 0
; NumSGPRsForWavesPerEU: 1
; NumVGPRsForWavesPerEU: 1
; Occupancy: 16
; WaveLimiterHint : 0
; COMPUTE_PGM_RSRC2:SCRATCH_EN: 0
; COMPUTE_PGM_RSRC2:USER_SGPR: 6
; COMPUTE_PGM_RSRC2:TRAP_HANDLER: 0
; COMPUTE_PGM_RSRC2:TGID_X_EN: 1
; COMPUTE_PGM_RSRC2:TGID_Y_EN: 0
; COMPUTE_PGM_RSRC2:TGID_Z_EN: 0
; COMPUTE_PGM_RSRC2:TIDIG_COMP_CNT: 0
	.section	.text._ZN7rocprim17ROCPRIM_400000_NS6detail17trampoline_kernelINS0_13select_configILj256ELj13ELNS0_17block_load_methodE3ELS4_3ELS4_3ELNS0_20block_scan_algorithmE0ELj4294967295EEENS1_25partition_config_selectorILNS1_17partition_subalgoE4EjNS0_10empty_typeEbEEZZNS1_14partition_implILS8_4ELb0ES6_15HIP_vector_typeIjLj2EENS0_17counting_iteratorIjlEEPS9_SG_NS0_5tupleIJPjSI_NS0_16reverse_iteratorISI_EEEEENSH_IJSG_SG_SG_EEES9_SI_JZNS1_25segmented_radix_sort_implINS0_14default_configELb1EPKsPsPKlPlN2at6native12_GLOBAL__N_18offset_tEEE10hipError_tPvRmT1_PNSt15iterator_traitsIS12_E10value_typeET2_T3_PNS13_IS18_E10value_typeET4_jRbjT5_S1E_jjP12ihipStream_tbEUljE_ZNSN_ISO_Lb1ESQ_SR_ST_SU_SY_EESZ_S10_S11_S12_S16_S17_S18_S1B_S1C_jS1D_jS1E_S1E_jjS1G_bEUljE0_EEESZ_S10_S11_S18_S1C_S1E_T6_T7_T9_mT8_S1G_bDpT10_ENKUlT_T0_E_clISt17integral_constantIbLb1EES1U_EEDaS1P_S1Q_EUlS1P_E_NS1_11comp_targetILNS1_3genE2ELNS1_11target_archE906ELNS1_3gpuE6ELNS1_3repE0EEENS1_30default_config_static_selectorELNS0_4arch9wavefront6targetE0EEEvS12_,"axG",@progbits,_ZN7rocprim17ROCPRIM_400000_NS6detail17trampoline_kernelINS0_13select_configILj256ELj13ELNS0_17block_load_methodE3ELS4_3ELS4_3ELNS0_20block_scan_algorithmE0ELj4294967295EEENS1_25partition_config_selectorILNS1_17partition_subalgoE4EjNS0_10empty_typeEbEEZZNS1_14partition_implILS8_4ELb0ES6_15HIP_vector_typeIjLj2EENS0_17counting_iteratorIjlEEPS9_SG_NS0_5tupleIJPjSI_NS0_16reverse_iteratorISI_EEEEENSH_IJSG_SG_SG_EEES9_SI_JZNS1_25segmented_radix_sort_implINS0_14default_configELb1EPKsPsPKlPlN2at6native12_GLOBAL__N_18offset_tEEE10hipError_tPvRmT1_PNSt15iterator_traitsIS12_E10value_typeET2_T3_PNS13_IS18_E10value_typeET4_jRbjT5_S1E_jjP12ihipStream_tbEUljE_ZNSN_ISO_Lb1ESQ_SR_ST_SU_SY_EESZ_S10_S11_S12_S16_S17_S18_S1B_S1C_jS1D_jS1E_S1E_jjS1G_bEUljE0_EEESZ_S10_S11_S18_S1C_S1E_T6_T7_T9_mT8_S1G_bDpT10_ENKUlT_T0_E_clISt17integral_constantIbLb1EES1U_EEDaS1P_S1Q_EUlS1P_E_NS1_11comp_targetILNS1_3genE2ELNS1_11target_archE906ELNS1_3gpuE6ELNS1_3repE0EEENS1_30default_config_static_selectorELNS0_4arch9wavefront6targetE0EEEvS12_,comdat
	.globl	_ZN7rocprim17ROCPRIM_400000_NS6detail17trampoline_kernelINS0_13select_configILj256ELj13ELNS0_17block_load_methodE3ELS4_3ELS4_3ELNS0_20block_scan_algorithmE0ELj4294967295EEENS1_25partition_config_selectorILNS1_17partition_subalgoE4EjNS0_10empty_typeEbEEZZNS1_14partition_implILS8_4ELb0ES6_15HIP_vector_typeIjLj2EENS0_17counting_iteratorIjlEEPS9_SG_NS0_5tupleIJPjSI_NS0_16reverse_iteratorISI_EEEEENSH_IJSG_SG_SG_EEES9_SI_JZNS1_25segmented_radix_sort_implINS0_14default_configELb1EPKsPsPKlPlN2at6native12_GLOBAL__N_18offset_tEEE10hipError_tPvRmT1_PNSt15iterator_traitsIS12_E10value_typeET2_T3_PNS13_IS18_E10value_typeET4_jRbjT5_S1E_jjP12ihipStream_tbEUljE_ZNSN_ISO_Lb1ESQ_SR_ST_SU_SY_EESZ_S10_S11_S12_S16_S17_S18_S1B_S1C_jS1D_jS1E_S1E_jjS1G_bEUljE0_EEESZ_S10_S11_S18_S1C_S1E_T6_T7_T9_mT8_S1G_bDpT10_ENKUlT_T0_E_clISt17integral_constantIbLb1EES1U_EEDaS1P_S1Q_EUlS1P_E_NS1_11comp_targetILNS1_3genE2ELNS1_11target_archE906ELNS1_3gpuE6ELNS1_3repE0EEENS1_30default_config_static_selectorELNS0_4arch9wavefront6targetE0EEEvS12_ ; -- Begin function _ZN7rocprim17ROCPRIM_400000_NS6detail17trampoline_kernelINS0_13select_configILj256ELj13ELNS0_17block_load_methodE3ELS4_3ELS4_3ELNS0_20block_scan_algorithmE0ELj4294967295EEENS1_25partition_config_selectorILNS1_17partition_subalgoE4EjNS0_10empty_typeEbEEZZNS1_14partition_implILS8_4ELb0ES6_15HIP_vector_typeIjLj2EENS0_17counting_iteratorIjlEEPS9_SG_NS0_5tupleIJPjSI_NS0_16reverse_iteratorISI_EEEEENSH_IJSG_SG_SG_EEES9_SI_JZNS1_25segmented_radix_sort_implINS0_14default_configELb1EPKsPsPKlPlN2at6native12_GLOBAL__N_18offset_tEEE10hipError_tPvRmT1_PNSt15iterator_traitsIS12_E10value_typeET2_T3_PNS13_IS18_E10value_typeET4_jRbjT5_S1E_jjP12ihipStream_tbEUljE_ZNSN_ISO_Lb1ESQ_SR_ST_SU_SY_EESZ_S10_S11_S12_S16_S17_S18_S1B_S1C_jS1D_jS1E_S1E_jjS1G_bEUljE0_EEESZ_S10_S11_S18_S1C_S1E_T6_T7_T9_mT8_S1G_bDpT10_ENKUlT_T0_E_clISt17integral_constantIbLb1EES1U_EEDaS1P_S1Q_EUlS1P_E_NS1_11comp_targetILNS1_3genE2ELNS1_11target_archE906ELNS1_3gpuE6ELNS1_3repE0EEENS1_30default_config_static_selectorELNS0_4arch9wavefront6targetE0EEEvS12_
	.p2align	8
	.type	_ZN7rocprim17ROCPRIM_400000_NS6detail17trampoline_kernelINS0_13select_configILj256ELj13ELNS0_17block_load_methodE3ELS4_3ELS4_3ELNS0_20block_scan_algorithmE0ELj4294967295EEENS1_25partition_config_selectorILNS1_17partition_subalgoE4EjNS0_10empty_typeEbEEZZNS1_14partition_implILS8_4ELb0ES6_15HIP_vector_typeIjLj2EENS0_17counting_iteratorIjlEEPS9_SG_NS0_5tupleIJPjSI_NS0_16reverse_iteratorISI_EEEEENSH_IJSG_SG_SG_EEES9_SI_JZNS1_25segmented_radix_sort_implINS0_14default_configELb1EPKsPsPKlPlN2at6native12_GLOBAL__N_18offset_tEEE10hipError_tPvRmT1_PNSt15iterator_traitsIS12_E10value_typeET2_T3_PNS13_IS18_E10value_typeET4_jRbjT5_S1E_jjP12ihipStream_tbEUljE_ZNSN_ISO_Lb1ESQ_SR_ST_SU_SY_EESZ_S10_S11_S12_S16_S17_S18_S1B_S1C_jS1D_jS1E_S1E_jjS1G_bEUljE0_EEESZ_S10_S11_S18_S1C_S1E_T6_T7_T9_mT8_S1G_bDpT10_ENKUlT_T0_E_clISt17integral_constantIbLb1EES1U_EEDaS1P_S1Q_EUlS1P_E_NS1_11comp_targetILNS1_3genE2ELNS1_11target_archE906ELNS1_3gpuE6ELNS1_3repE0EEENS1_30default_config_static_selectorELNS0_4arch9wavefront6targetE0EEEvS12_,@function
_ZN7rocprim17ROCPRIM_400000_NS6detail17trampoline_kernelINS0_13select_configILj256ELj13ELNS0_17block_load_methodE3ELS4_3ELS4_3ELNS0_20block_scan_algorithmE0ELj4294967295EEENS1_25partition_config_selectorILNS1_17partition_subalgoE4EjNS0_10empty_typeEbEEZZNS1_14partition_implILS8_4ELb0ES6_15HIP_vector_typeIjLj2EENS0_17counting_iteratorIjlEEPS9_SG_NS0_5tupleIJPjSI_NS0_16reverse_iteratorISI_EEEEENSH_IJSG_SG_SG_EEES9_SI_JZNS1_25segmented_radix_sort_implINS0_14default_configELb1EPKsPsPKlPlN2at6native12_GLOBAL__N_18offset_tEEE10hipError_tPvRmT1_PNSt15iterator_traitsIS12_E10value_typeET2_T3_PNS13_IS18_E10value_typeET4_jRbjT5_S1E_jjP12ihipStream_tbEUljE_ZNSN_ISO_Lb1ESQ_SR_ST_SU_SY_EESZ_S10_S11_S12_S16_S17_S18_S1B_S1C_jS1D_jS1E_S1E_jjS1G_bEUljE0_EEESZ_S10_S11_S18_S1C_S1E_T6_T7_T9_mT8_S1G_bDpT10_ENKUlT_T0_E_clISt17integral_constantIbLb1EES1U_EEDaS1P_S1Q_EUlS1P_E_NS1_11comp_targetILNS1_3genE2ELNS1_11target_archE906ELNS1_3gpuE6ELNS1_3repE0EEENS1_30default_config_static_selectorELNS0_4arch9wavefront6targetE0EEEvS12_: ; @_ZN7rocprim17ROCPRIM_400000_NS6detail17trampoline_kernelINS0_13select_configILj256ELj13ELNS0_17block_load_methodE3ELS4_3ELS4_3ELNS0_20block_scan_algorithmE0ELj4294967295EEENS1_25partition_config_selectorILNS1_17partition_subalgoE4EjNS0_10empty_typeEbEEZZNS1_14partition_implILS8_4ELb0ES6_15HIP_vector_typeIjLj2EENS0_17counting_iteratorIjlEEPS9_SG_NS0_5tupleIJPjSI_NS0_16reverse_iteratorISI_EEEEENSH_IJSG_SG_SG_EEES9_SI_JZNS1_25segmented_radix_sort_implINS0_14default_configELb1EPKsPsPKlPlN2at6native12_GLOBAL__N_18offset_tEEE10hipError_tPvRmT1_PNSt15iterator_traitsIS12_E10value_typeET2_T3_PNS13_IS18_E10value_typeET4_jRbjT5_S1E_jjP12ihipStream_tbEUljE_ZNSN_ISO_Lb1ESQ_SR_ST_SU_SY_EESZ_S10_S11_S12_S16_S17_S18_S1B_S1C_jS1D_jS1E_S1E_jjS1G_bEUljE0_EEESZ_S10_S11_S18_S1C_S1E_T6_T7_T9_mT8_S1G_bDpT10_ENKUlT_T0_E_clISt17integral_constantIbLb1EES1U_EEDaS1P_S1Q_EUlS1P_E_NS1_11comp_targetILNS1_3genE2ELNS1_11target_archE906ELNS1_3gpuE6ELNS1_3repE0EEENS1_30default_config_static_selectorELNS0_4arch9wavefront6targetE0EEEvS12_
; %bb.0:
	.section	.rodata,"a",@progbits
	.p2align	6, 0x0
	.amdhsa_kernel _ZN7rocprim17ROCPRIM_400000_NS6detail17trampoline_kernelINS0_13select_configILj256ELj13ELNS0_17block_load_methodE3ELS4_3ELS4_3ELNS0_20block_scan_algorithmE0ELj4294967295EEENS1_25partition_config_selectorILNS1_17partition_subalgoE4EjNS0_10empty_typeEbEEZZNS1_14partition_implILS8_4ELb0ES6_15HIP_vector_typeIjLj2EENS0_17counting_iteratorIjlEEPS9_SG_NS0_5tupleIJPjSI_NS0_16reverse_iteratorISI_EEEEENSH_IJSG_SG_SG_EEES9_SI_JZNS1_25segmented_radix_sort_implINS0_14default_configELb1EPKsPsPKlPlN2at6native12_GLOBAL__N_18offset_tEEE10hipError_tPvRmT1_PNSt15iterator_traitsIS12_E10value_typeET2_T3_PNS13_IS18_E10value_typeET4_jRbjT5_S1E_jjP12ihipStream_tbEUljE_ZNSN_ISO_Lb1ESQ_SR_ST_SU_SY_EESZ_S10_S11_S12_S16_S17_S18_S1B_S1C_jS1D_jS1E_S1E_jjS1G_bEUljE0_EEESZ_S10_S11_S18_S1C_S1E_T6_T7_T9_mT8_S1G_bDpT10_ENKUlT_T0_E_clISt17integral_constantIbLb1EES1U_EEDaS1P_S1Q_EUlS1P_E_NS1_11comp_targetILNS1_3genE2ELNS1_11target_archE906ELNS1_3gpuE6ELNS1_3repE0EEENS1_30default_config_static_selectorELNS0_4arch9wavefront6targetE0EEEvS12_
		.amdhsa_group_segment_fixed_size 0
		.amdhsa_private_segment_fixed_size 0
		.amdhsa_kernarg_size 184
		.amdhsa_user_sgpr_count 6
		.amdhsa_user_sgpr_private_segment_buffer 1
		.amdhsa_user_sgpr_dispatch_ptr 0
		.amdhsa_user_sgpr_queue_ptr 0
		.amdhsa_user_sgpr_kernarg_segment_ptr 1
		.amdhsa_user_sgpr_dispatch_id 0
		.amdhsa_user_sgpr_flat_scratch_init 0
		.amdhsa_user_sgpr_private_segment_size 0
		.amdhsa_wavefront_size32 1
		.amdhsa_uses_dynamic_stack 0
		.amdhsa_system_sgpr_private_segment_wavefront_offset 0
		.amdhsa_system_sgpr_workgroup_id_x 1
		.amdhsa_system_sgpr_workgroup_id_y 0
		.amdhsa_system_sgpr_workgroup_id_z 0
		.amdhsa_system_sgpr_workgroup_info 0
		.amdhsa_system_vgpr_workitem_id 0
		.amdhsa_next_free_vgpr 1
		.amdhsa_next_free_sgpr 1
		.amdhsa_reserve_vcc 0
		.amdhsa_reserve_flat_scratch 0
		.amdhsa_float_round_mode_32 0
		.amdhsa_float_round_mode_16_64 0
		.amdhsa_float_denorm_mode_32 3
		.amdhsa_float_denorm_mode_16_64 3
		.amdhsa_dx10_clamp 1
		.amdhsa_ieee_mode 1
		.amdhsa_fp16_overflow 0
		.amdhsa_workgroup_processor_mode 1
		.amdhsa_memory_ordered 1
		.amdhsa_forward_progress 1
		.amdhsa_shared_vgpr_count 0
		.amdhsa_exception_fp_ieee_invalid_op 0
		.amdhsa_exception_fp_denorm_src 0
		.amdhsa_exception_fp_ieee_div_zero 0
		.amdhsa_exception_fp_ieee_overflow 0
		.amdhsa_exception_fp_ieee_underflow 0
		.amdhsa_exception_fp_ieee_inexact 0
		.amdhsa_exception_int_div_zero 0
	.end_amdhsa_kernel
	.section	.text._ZN7rocprim17ROCPRIM_400000_NS6detail17trampoline_kernelINS0_13select_configILj256ELj13ELNS0_17block_load_methodE3ELS4_3ELS4_3ELNS0_20block_scan_algorithmE0ELj4294967295EEENS1_25partition_config_selectorILNS1_17partition_subalgoE4EjNS0_10empty_typeEbEEZZNS1_14partition_implILS8_4ELb0ES6_15HIP_vector_typeIjLj2EENS0_17counting_iteratorIjlEEPS9_SG_NS0_5tupleIJPjSI_NS0_16reverse_iteratorISI_EEEEENSH_IJSG_SG_SG_EEES9_SI_JZNS1_25segmented_radix_sort_implINS0_14default_configELb1EPKsPsPKlPlN2at6native12_GLOBAL__N_18offset_tEEE10hipError_tPvRmT1_PNSt15iterator_traitsIS12_E10value_typeET2_T3_PNS13_IS18_E10value_typeET4_jRbjT5_S1E_jjP12ihipStream_tbEUljE_ZNSN_ISO_Lb1ESQ_SR_ST_SU_SY_EESZ_S10_S11_S12_S16_S17_S18_S1B_S1C_jS1D_jS1E_S1E_jjS1G_bEUljE0_EEESZ_S10_S11_S18_S1C_S1E_T6_T7_T9_mT8_S1G_bDpT10_ENKUlT_T0_E_clISt17integral_constantIbLb1EES1U_EEDaS1P_S1Q_EUlS1P_E_NS1_11comp_targetILNS1_3genE2ELNS1_11target_archE906ELNS1_3gpuE6ELNS1_3repE0EEENS1_30default_config_static_selectorELNS0_4arch9wavefront6targetE0EEEvS12_,"axG",@progbits,_ZN7rocprim17ROCPRIM_400000_NS6detail17trampoline_kernelINS0_13select_configILj256ELj13ELNS0_17block_load_methodE3ELS4_3ELS4_3ELNS0_20block_scan_algorithmE0ELj4294967295EEENS1_25partition_config_selectorILNS1_17partition_subalgoE4EjNS0_10empty_typeEbEEZZNS1_14partition_implILS8_4ELb0ES6_15HIP_vector_typeIjLj2EENS0_17counting_iteratorIjlEEPS9_SG_NS0_5tupleIJPjSI_NS0_16reverse_iteratorISI_EEEEENSH_IJSG_SG_SG_EEES9_SI_JZNS1_25segmented_radix_sort_implINS0_14default_configELb1EPKsPsPKlPlN2at6native12_GLOBAL__N_18offset_tEEE10hipError_tPvRmT1_PNSt15iterator_traitsIS12_E10value_typeET2_T3_PNS13_IS18_E10value_typeET4_jRbjT5_S1E_jjP12ihipStream_tbEUljE_ZNSN_ISO_Lb1ESQ_SR_ST_SU_SY_EESZ_S10_S11_S12_S16_S17_S18_S1B_S1C_jS1D_jS1E_S1E_jjS1G_bEUljE0_EEESZ_S10_S11_S18_S1C_S1E_T6_T7_T9_mT8_S1G_bDpT10_ENKUlT_T0_E_clISt17integral_constantIbLb1EES1U_EEDaS1P_S1Q_EUlS1P_E_NS1_11comp_targetILNS1_3genE2ELNS1_11target_archE906ELNS1_3gpuE6ELNS1_3repE0EEENS1_30default_config_static_selectorELNS0_4arch9wavefront6targetE0EEEvS12_,comdat
.Lfunc_end853:
	.size	_ZN7rocprim17ROCPRIM_400000_NS6detail17trampoline_kernelINS0_13select_configILj256ELj13ELNS0_17block_load_methodE3ELS4_3ELS4_3ELNS0_20block_scan_algorithmE0ELj4294967295EEENS1_25partition_config_selectorILNS1_17partition_subalgoE4EjNS0_10empty_typeEbEEZZNS1_14partition_implILS8_4ELb0ES6_15HIP_vector_typeIjLj2EENS0_17counting_iteratorIjlEEPS9_SG_NS0_5tupleIJPjSI_NS0_16reverse_iteratorISI_EEEEENSH_IJSG_SG_SG_EEES9_SI_JZNS1_25segmented_radix_sort_implINS0_14default_configELb1EPKsPsPKlPlN2at6native12_GLOBAL__N_18offset_tEEE10hipError_tPvRmT1_PNSt15iterator_traitsIS12_E10value_typeET2_T3_PNS13_IS18_E10value_typeET4_jRbjT5_S1E_jjP12ihipStream_tbEUljE_ZNSN_ISO_Lb1ESQ_SR_ST_SU_SY_EESZ_S10_S11_S12_S16_S17_S18_S1B_S1C_jS1D_jS1E_S1E_jjS1G_bEUljE0_EEESZ_S10_S11_S18_S1C_S1E_T6_T7_T9_mT8_S1G_bDpT10_ENKUlT_T0_E_clISt17integral_constantIbLb1EES1U_EEDaS1P_S1Q_EUlS1P_E_NS1_11comp_targetILNS1_3genE2ELNS1_11target_archE906ELNS1_3gpuE6ELNS1_3repE0EEENS1_30default_config_static_selectorELNS0_4arch9wavefront6targetE0EEEvS12_, .Lfunc_end853-_ZN7rocprim17ROCPRIM_400000_NS6detail17trampoline_kernelINS0_13select_configILj256ELj13ELNS0_17block_load_methodE3ELS4_3ELS4_3ELNS0_20block_scan_algorithmE0ELj4294967295EEENS1_25partition_config_selectorILNS1_17partition_subalgoE4EjNS0_10empty_typeEbEEZZNS1_14partition_implILS8_4ELb0ES6_15HIP_vector_typeIjLj2EENS0_17counting_iteratorIjlEEPS9_SG_NS0_5tupleIJPjSI_NS0_16reverse_iteratorISI_EEEEENSH_IJSG_SG_SG_EEES9_SI_JZNS1_25segmented_radix_sort_implINS0_14default_configELb1EPKsPsPKlPlN2at6native12_GLOBAL__N_18offset_tEEE10hipError_tPvRmT1_PNSt15iterator_traitsIS12_E10value_typeET2_T3_PNS13_IS18_E10value_typeET4_jRbjT5_S1E_jjP12ihipStream_tbEUljE_ZNSN_ISO_Lb1ESQ_SR_ST_SU_SY_EESZ_S10_S11_S12_S16_S17_S18_S1B_S1C_jS1D_jS1E_S1E_jjS1G_bEUljE0_EEESZ_S10_S11_S18_S1C_S1E_T6_T7_T9_mT8_S1G_bDpT10_ENKUlT_T0_E_clISt17integral_constantIbLb1EES1U_EEDaS1P_S1Q_EUlS1P_E_NS1_11comp_targetILNS1_3genE2ELNS1_11target_archE906ELNS1_3gpuE6ELNS1_3repE0EEENS1_30default_config_static_selectorELNS0_4arch9wavefront6targetE0EEEvS12_
                                        ; -- End function
	.set _ZN7rocprim17ROCPRIM_400000_NS6detail17trampoline_kernelINS0_13select_configILj256ELj13ELNS0_17block_load_methodE3ELS4_3ELS4_3ELNS0_20block_scan_algorithmE0ELj4294967295EEENS1_25partition_config_selectorILNS1_17partition_subalgoE4EjNS0_10empty_typeEbEEZZNS1_14partition_implILS8_4ELb0ES6_15HIP_vector_typeIjLj2EENS0_17counting_iteratorIjlEEPS9_SG_NS0_5tupleIJPjSI_NS0_16reverse_iteratorISI_EEEEENSH_IJSG_SG_SG_EEES9_SI_JZNS1_25segmented_radix_sort_implINS0_14default_configELb1EPKsPsPKlPlN2at6native12_GLOBAL__N_18offset_tEEE10hipError_tPvRmT1_PNSt15iterator_traitsIS12_E10value_typeET2_T3_PNS13_IS18_E10value_typeET4_jRbjT5_S1E_jjP12ihipStream_tbEUljE_ZNSN_ISO_Lb1ESQ_SR_ST_SU_SY_EESZ_S10_S11_S12_S16_S17_S18_S1B_S1C_jS1D_jS1E_S1E_jjS1G_bEUljE0_EEESZ_S10_S11_S18_S1C_S1E_T6_T7_T9_mT8_S1G_bDpT10_ENKUlT_T0_E_clISt17integral_constantIbLb1EES1U_EEDaS1P_S1Q_EUlS1P_E_NS1_11comp_targetILNS1_3genE2ELNS1_11target_archE906ELNS1_3gpuE6ELNS1_3repE0EEENS1_30default_config_static_selectorELNS0_4arch9wavefront6targetE0EEEvS12_.num_vgpr, 0
	.set _ZN7rocprim17ROCPRIM_400000_NS6detail17trampoline_kernelINS0_13select_configILj256ELj13ELNS0_17block_load_methodE3ELS4_3ELS4_3ELNS0_20block_scan_algorithmE0ELj4294967295EEENS1_25partition_config_selectorILNS1_17partition_subalgoE4EjNS0_10empty_typeEbEEZZNS1_14partition_implILS8_4ELb0ES6_15HIP_vector_typeIjLj2EENS0_17counting_iteratorIjlEEPS9_SG_NS0_5tupleIJPjSI_NS0_16reverse_iteratorISI_EEEEENSH_IJSG_SG_SG_EEES9_SI_JZNS1_25segmented_radix_sort_implINS0_14default_configELb1EPKsPsPKlPlN2at6native12_GLOBAL__N_18offset_tEEE10hipError_tPvRmT1_PNSt15iterator_traitsIS12_E10value_typeET2_T3_PNS13_IS18_E10value_typeET4_jRbjT5_S1E_jjP12ihipStream_tbEUljE_ZNSN_ISO_Lb1ESQ_SR_ST_SU_SY_EESZ_S10_S11_S12_S16_S17_S18_S1B_S1C_jS1D_jS1E_S1E_jjS1G_bEUljE0_EEESZ_S10_S11_S18_S1C_S1E_T6_T7_T9_mT8_S1G_bDpT10_ENKUlT_T0_E_clISt17integral_constantIbLb1EES1U_EEDaS1P_S1Q_EUlS1P_E_NS1_11comp_targetILNS1_3genE2ELNS1_11target_archE906ELNS1_3gpuE6ELNS1_3repE0EEENS1_30default_config_static_selectorELNS0_4arch9wavefront6targetE0EEEvS12_.num_agpr, 0
	.set _ZN7rocprim17ROCPRIM_400000_NS6detail17trampoline_kernelINS0_13select_configILj256ELj13ELNS0_17block_load_methodE3ELS4_3ELS4_3ELNS0_20block_scan_algorithmE0ELj4294967295EEENS1_25partition_config_selectorILNS1_17partition_subalgoE4EjNS0_10empty_typeEbEEZZNS1_14partition_implILS8_4ELb0ES6_15HIP_vector_typeIjLj2EENS0_17counting_iteratorIjlEEPS9_SG_NS0_5tupleIJPjSI_NS0_16reverse_iteratorISI_EEEEENSH_IJSG_SG_SG_EEES9_SI_JZNS1_25segmented_radix_sort_implINS0_14default_configELb1EPKsPsPKlPlN2at6native12_GLOBAL__N_18offset_tEEE10hipError_tPvRmT1_PNSt15iterator_traitsIS12_E10value_typeET2_T3_PNS13_IS18_E10value_typeET4_jRbjT5_S1E_jjP12ihipStream_tbEUljE_ZNSN_ISO_Lb1ESQ_SR_ST_SU_SY_EESZ_S10_S11_S12_S16_S17_S18_S1B_S1C_jS1D_jS1E_S1E_jjS1G_bEUljE0_EEESZ_S10_S11_S18_S1C_S1E_T6_T7_T9_mT8_S1G_bDpT10_ENKUlT_T0_E_clISt17integral_constantIbLb1EES1U_EEDaS1P_S1Q_EUlS1P_E_NS1_11comp_targetILNS1_3genE2ELNS1_11target_archE906ELNS1_3gpuE6ELNS1_3repE0EEENS1_30default_config_static_selectorELNS0_4arch9wavefront6targetE0EEEvS12_.numbered_sgpr, 0
	.set _ZN7rocprim17ROCPRIM_400000_NS6detail17trampoline_kernelINS0_13select_configILj256ELj13ELNS0_17block_load_methodE3ELS4_3ELS4_3ELNS0_20block_scan_algorithmE0ELj4294967295EEENS1_25partition_config_selectorILNS1_17partition_subalgoE4EjNS0_10empty_typeEbEEZZNS1_14partition_implILS8_4ELb0ES6_15HIP_vector_typeIjLj2EENS0_17counting_iteratorIjlEEPS9_SG_NS0_5tupleIJPjSI_NS0_16reverse_iteratorISI_EEEEENSH_IJSG_SG_SG_EEES9_SI_JZNS1_25segmented_radix_sort_implINS0_14default_configELb1EPKsPsPKlPlN2at6native12_GLOBAL__N_18offset_tEEE10hipError_tPvRmT1_PNSt15iterator_traitsIS12_E10value_typeET2_T3_PNS13_IS18_E10value_typeET4_jRbjT5_S1E_jjP12ihipStream_tbEUljE_ZNSN_ISO_Lb1ESQ_SR_ST_SU_SY_EESZ_S10_S11_S12_S16_S17_S18_S1B_S1C_jS1D_jS1E_S1E_jjS1G_bEUljE0_EEESZ_S10_S11_S18_S1C_S1E_T6_T7_T9_mT8_S1G_bDpT10_ENKUlT_T0_E_clISt17integral_constantIbLb1EES1U_EEDaS1P_S1Q_EUlS1P_E_NS1_11comp_targetILNS1_3genE2ELNS1_11target_archE906ELNS1_3gpuE6ELNS1_3repE0EEENS1_30default_config_static_selectorELNS0_4arch9wavefront6targetE0EEEvS12_.num_named_barrier, 0
	.set _ZN7rocprim17ROCPRIM_400000_NS6detail17trampoline_kernelINS0_13select_configILj256ELj13ELNS0_17block_load_methodE3ELS4_3ELS4_3ELNS0_20block_scan_algorithmE0ELj4294967295EEENS1_25partition_config_selectorILNS1_17partition_subalgoE4EjNS0_10empty_typeEbEEZZNS1_14partition_implILS8_4ELb0ES6_15HIP_vector_typeIjLj2EENS0_17counting_iteratorIjlEEPS9_SG_NS0_5tupleIJPjSI_NS0_16reverse_iteratorISI_EEEEENSH_IJSG_SG_SG_EEES9_SI_JZNS1_25segmented_radix_sort_implINS0_14default_configELb1EPKsPsPKlPlN2at6native12_GLOBAL__N_18offset_tEEE10hipError_tPvRmT1_PNSt15iterator_traitsIS12_E10value_typeET2_T3_PNS13_IS18_E10value_typeET4_jRbjT5_S1E_jjP12ihipStream_tbEUljE_ZNSN_ISO_Lb1ESQ_SR_ST_SU_SY_EESZ_S10_S11_S12_S16_S17_S18_S1B_S1C_jS1D_jS1E_S1E_jjS1G_bEUljE0_EEESZ_S10_S11_S18_S1C_S1E_T6_T7_T9_mT8_S1G_bDpT10_ENKUlT_T0_E_clISt17integral_constantIbLb1EES1U_EEDaS1P_S1Q_EUlS1P_E_NS1_11comp_targetILNS1_3genE2ELNS1_11target_archE906ELNS1_3gpuE6ELNS1_3repE0EEENS1_30default_config_static_selectorELNS0_4arch9wavefront6targetE0EEEvS12_.private_seg_size, 0
	.set _ZN7rocprim17ROCPRIM_400000_NS6detail17trampoline_kernelINS0_13select_configILj256ELj13ELNS0_17block_load_methodE3ELS4_3ELS4_3ELNS0_20block_scan_algorithmE0ELj4294967295EEENS1_25partition_config_selectorILNS1_17partition_subalgoE4EjNS0_10empty_typeEbEEZZNS1_14partition_implILS8_4ELb0ES6_15HIP_vector_typeIjLj2EENS0_17counting_iteratorIjlEEPS9_SG_NS0_5tupleIJPjSI_NS0_16reverse_iteratorISI_EEEEENSH_IJSG_SG_SG_EEES9_SI_JZNS1_25segmented_radix_sort_implINS0_14default_configELb1EPKsPsPKlPlN2at6native12_GLOBAL__N_18offset_tEEE10hipError_tPvRmT1_PNSt15iterator_traitsIS12_E10value_typeET2_T3_PNS13_IS18_E10value_typeET4_jRbjT5_S1E_jjP12ihipStream_tbEUljE_ZNSN_ISO_Lb1ESQ_SR_ST_SU_SY_EESZ_S10_S11_S12_S16_S17_S18_S1B_S1C_jS1D_jS1E_S1E_jjS1G_bEUljE0_EEESZ_S10_S11_S18_S1C_S1E_T6_T7_T9_mT8_S1G_bDpT10_ENKUlT_T0_E_clISt17integral_constantIbLb1EES1U_EEDaS1P_S1Q_EUlS1P_E_NS1_11comp_targetILNS1_3genE2ELNS1_11target_archE906ELNS1_3gpuE6ELNS1_3repE0EEENS1_30default_config_static_selectorELNS0_4arch9wavefront6targetE0EEEvS12_.uses_vcc, 0
	.set _ZN7rocprim17ROCPRIM_400000_NS6detail17trampoline_kernelINS0_13select_configILj256ELj13ELNS0_17block_load_methodE3ELS4_3ELS4_3ELNS0_20block_scan_algorithmE0ELj4294967295EEENS1_25partition_config_selectorILNS1_17partition_subalgoE4EjNS0_10empty_typeEbEEZZNS1_14partition_implILS8_4ELb0ES6_15HIP_vector_typeIjLj2EENS0_17counting_iteratorIjlEEPS9_SG_NS0_5tupleIJPjSI_NS0_16reverse_iteratorISI_EEEEENSH_IJSG_SG_SG_EEES9_SI_JZNS1_25segmented_radix_sort_implINS0_14default_configELb1EPKsPsPKlPlN2at6native12_GLOBAL__N_18offset_tEEE10hipError_tPvRmT1_PNSt15iterator_traitsIS12_E10value_typeET2_T3_PNS13_IS18_E10value_typeET4_jRbjT5_S1E_jjP12ihipStream_tbEUljE_ZNSN_ISO_Lb1ESQ_SR_ST_SU_SY_EESZ_S10_S11_S12_S16_S17_S18_S1B_S1C_jS1D_jS1E_S1E_jjS1G_bEUljE0_EEESZ_S10_S11_S18_S1C_S1E_T6_T7_T9_mT8_S1G_bDpT10_ENKUlT_T0_E_clISt17integral_constantIbLb1EES1U_EEDaS1P_S1Q_EUlS1P_E_NS1_11comp_targetILNS1_3genE2ELNS1_11target_archE906ELNS1_3gpuE6ELNS1_3repE0EEENS1_30default_config_static_selectorELNS0_4arch9wavefront6targetE0EEEvS12_.uses_flat_scratch, 0
	.set _ZN7rocprim17ROCPRIM_400000_NS6detail17trampoline_kernelINS0_13select_configILj256ELj13ELNS0_17block_load_methodE3ELS4_3ELS4_3ELNS0_20block_scan_algorithmE0ELj4294967295EEENS1_25partition_config_selectorILNS1_17partition_subalgoE4EjNS0_10empty_typeEbEEZZNS1_14partition_implILS8_4ELb0ES6_15HIP_vector_typeIjLj2EENS0_17counting_iteratorIjlEEPS9_SG_NS0_5tupleIJPjSI_NS0_16reverse_iteratorISI_EEEEENSH_IJSG_SG_SG_EEES9_SI_JZNS1_25segmented_radix_sort_implINS0_14default_configELb1EPKsPsPKlPlN2at6native12_GLOBAL__N_18offset_tEEE10hipError_tPvRmT1_PNSt15iterator_traitsIS12_E10value_typeET2_T3_PNS13_IS18_E10value_typeET4_jRbjT5_S1E_jjP12ihipStream_tbEUljE_ZNSN_ISO_Lb1ESQ_SR_ST_SU_SY_EESZ_S10_S11_S12_S16_S17_S18_S1B_S1C_jS1D_jS1E_S1E_jjS1G_bEUljE0_EEESZ_S10_S11_S18_S1C_S1E_T6_T7_T9_mT8_S1G_bDpT10_ENKUlT_T0_E_clISt17integral_constantIbLb1EES1U_EEDaS1P_S1Q_EUlS1P_E_NS1_11comp_targetILNS1_3genE2ELNS1_11target_archE906ELNS1_3gpuE6ELNS1_3repE0EEENS1_30default_config_static_selectorELNS0_4arch9wavefront6targetE0EEEvS12_.has_dyn_sized_stack, 0
	.set _ZN7rocprim17ROCPRIM_400000_NS6detail17trampoline_kernelINS0_13select_configILj256ELj13ELNS0_17block_load_methodE3ELS4_3ELS4_3ELNS0_20block_scan_algorithmE0ELj4294967295EEENS1_25partition_config_selectorILNS1_17partition_subalgoE4EjNS0_10empty_typeEbEEZZNS1_14partition_implILS8_4ELb0ES6_15HIP_vector_typeIjLj2EENS0_17counting_iteratorIjlEEPS9_SG_NS0_5tupleIJPjSI_NS0_16reverse_iteratorISI_EEEEENSH_IJSG_SG_SG_EEES9_SI_JZNS1_25segmented_radix_sort_implINS0_14default_configELb1EPKsPsPKlPlN2at6native12_GLOBAL__N_18offset_tEEE10hipError_tPvRmT1_PNSt15iterator_traitsIS12_E10value_typeET2_T3_PNS13_IS18_E10value_typeET4_jRbjT5_S1E_jjP12ihipStream_tbEUljE_ZNSN_ISO_Lb1ESQ_SR_ST_SU_SY_EESZ_S10_S11_S12_S16_S17_S18_S1B_S1C_jS1D_jS1E_S1E_jjS1G_bEUljE0_EEESZ_S10_S11_S18_S1C_S1E_T6_T7_T9_mT8_S1G_bDpT10_ENKUlT_T0_E_clISt17integral_constantIbLb1EES1U_EEDaS1P_S1Q_EUlS1P_E_NS1_11comp_targetILNS1_3genE2ELNS1_11target_archE906ELNS1_3gpuE6ELNS1_3repE0EEENS1_30default_config_static_selectorELNS0_4arch9wavefront6targetE0EEEvS12_.has_recursion, 0
	.set _ZN7rocprim17ROCPRIM_400000_NS6detail17trampoline_kernelINS0_13select_configILj256ELj13ELNS0_17block_load_methodE3ELS4_3ELS4_3ELNS0_20block_scan_algorithmE0ELj4294967295EEENS1_25partition_config_selectorILNS1_17partition_subalgoE4EjNS0_10empty_typeEbEEZZNS1_14partition_implILS8_4ELb0ES6_15HIP_vector_typeIjLj2EENS0_17counting_iteratorIjlEEPS9_SG_NS0_5tupleIJPjSI_NS0_16reverse_iteratorISI_EEEEENSH_IJSG_SG_SG_EEES9_SI_JZNS1_25segmented_radix_sort_implINS0_14default_configELb1EPKsPsPKlPlN2at6native12_GLOBAL__N_18offset_tEEE10hipError_tPvRmT1_PNSt15iterator_traitsIS12_E10value_typeET2_T3_PNS13_IS18_E10value_typeET4_jRbjT5_S1E_jjP12ihipStream_tbEUljE_ZNSN_ISO_Lb1ESQ_SR_ST_SU_SY_EESZ_S10_S11_S12_S16_S17_S18_S1B_S1C_jS1D_jS1E_S1E_jjS1G_bEUljE0_EEESZ_S10_S11_S18_S1C_S1E_T6_T7_T9_mT8_S1G_bDpT10_ENKUlT_T0_E_clISt17integral_constantIbLb1EES1U_EEDaS1P_S1Q_EUlS1P_E_NS1_11comp_targetILNS1_3genE2ELNS1_11target_archE906ELNS1_3gpuE6ELNS1_3repE0EEENS1_30default_config_static_selectorELNS0_4arch9wavefront6targetE0EEEvS12_.has_indirect_call, 0
	.section	.AMDGPU.csdata,"",@progbits
; Kernel info:
; codeLenInByte = 0
; TotalNumSgprs: 0
; NumVgprs: 0
; ScratchSize: 0
; MemoryBound: 0
; FloatMode: 240
; IeeeMode: 1
; LDSByteSize: 0 bytes/workgroup (compile time only)
; SGPRBlocks: 0
; VGPRBlocks: 0
; NumSGPRsForWavesPerEU: 1
; NumVGPRsForWavesPerEU: 1
; Occupancy: 16
; WaveLimiterHint : 0
; COMPUTE_PGM_RSRC2:SCRATCH_EN: 0
; COMPUTE_PGM_RSRC2:USER_SGPR: 6
; COMPUTE_PGM_RSRC2:TRAP_HANDLER: 0
; COMPUTE_PGM_RSRC2:TGID_X_EN: 1
; COMPUTE_PGM_RSRC2:TGID_Y_EN: 0
; COMPUTE_PGM_RSRC2:TGID_Z_EN: 0
; COMPUTE_PGM_RSRC2:TIDIG_COMP_CNT: 0
	.section	.text._ZN7rocprim17ROCPRIM_400000_NS6detail17trampoline_kernelINS0_13select_configILj256ELj13ELNS0_17block_load_methodE3ELS4_3ELS4_3ELNS0_20block_scan_algorithmE0ELj4294967295EEENS1_25partition_config_selectorILNS1_17partition_subalgoE4EjNS0_10empty_typeEbEEZZNS1_14partition_implILS8_4ELb0ES6_15HIP_vector_typeIjLj2EENS0_17counting_iteratorIjlEEPS9_SG_NS0_5tupleIJPjSI_NS0_16reverse_iteratorISI_EEEEENSH_IJSG_SG_SG_EEES9_SI_JZNS1_25segmented_radix_sort_implINS0_14default_configELb1EPKsPsPKlPlN2at6native12_GLOBAL__N_18offset_tEEE10hipError_tPvRmT1_PNSt15iterator_traitsIS12_E10value_typeET2_T3_PNS13_IS18_E10value_typeET4_jRbjT5_S1E_jjP12ihipStream_tbEUljE_ZNSN_ISO_Lb1ESQ_SR_ST_SU_SY_EESZ_S10_S11_S12_S16_S17_S18_S1B_S1C_jS1D_jS1E_S1E_jjS1G_bEUljE0_EEESZ_S10_S11_S18_S1C_S1E_T6_T7_T9_mT8_S1G_bDpT10_ENKUlT_T0_E_clISt17integral_constantIbLb1EES1U_EEDaS1P_S1Q_EUlS1P_E_NS1_11comp_targetILNS1_3genE10ELNS1_11target_archE1200ELNS1_3gpuE4ELNS1_3repE0EEENS1_30default_config_static_selectorELNS0_4arch9wavefront6targetE0EEEvS12_,"axG",@progbits,_ZN7rocprim17ROCPRIM_400000_NS6detail17trampoline_kernelINS0_13select_configILj256ELj13ELNS0_17block_load_methodE3ELS4_3ELS4_3ELNS0_20block_scan_algorithmE0ELj4294967295EEENS1_25partition_config_selectorILNS1_17partition_subalgoE4EjNS0_10empty_typeEbEEZZNS1_14partition_implILS8_4ELb0ES6_15HIP_vector_typeIjLj2EENS0_17counting_iteratorIjlEEPS9_SG_NS0_5tupleIJPjSI_NS0_16reverse_iteratorISI_EEEEENSH_IJSG_SG_SG_EEES9_SI_JZNS1_25segmented_radix_sort_implINS0_14default_configELb1EPKsPsPKlPlN2at6native12_GLOBAL__N_18offset_tEEE10hipError_tPvRmT1_PNSt15iterator_traitsIS12_E10value_typeET2_T3_PNS13_IS18_E10value_typeET4_jRbjT5_S1E_jjP12ihipStream_tbEUljE_ZNSN_ISO_Lb1ESQ_SR_ST_SU_SY_EESZ_S10_S11_S12_S16_S17_S18_S1B_S1C_jS1D_jS1E_S1E_jjS1G_bEUljE0_EEESZ_S10_S11_S18_S1C_S1E_T6_T7_T9_mT8_S1G_bDpT10_ENKUlT_T0_E_clISt17integral_constantIbLb1EES1U_EEDaS1P_S1Q_EUlS1P_E_NS1_11comp_targetILNS1_3genE10ELNS1_11target_archE1200ELNS1_3gpuE4ELNS1_3repE0EEENS1_30default_config_static_selectorELNS0_4arch9wavefront6targetE0EEEvS12_,comdat
	.globl	_ZN7rocprim17ROCPRIM_400000_NS6detail17trampoline_kernelINS0_13select_configILj256ELj13ELNS0_17block_load_methodE3ELS4_3ELS4_3ELNS0_20block_scan_algorithmE0ELj4294967295EEENS1_25partition_config_selectorILNS1_17partition_subalgoE4EjNS0_10empty_typeEbEEZZNS1_14partition_implILS8_4ELb0ES6_15HIP_vector_typeIjLj2EENS0_17counting_iteratorIjlEEPS9_SG_NS0_5tupleIJPjSI_NS0_16reverse_iteratorISI_EEEEENSH_IJSG_SG_SG_EEES9_SI_JZNS1_25segmented_radix_sort_implINS0_14default_configELb1EPKsPsPKlPlN2at6native12_GLOBAL__N_18offset_tEEE10hipError_tPvRmT1_PNSt15iterator_traitsIS12_E10value_typeET2_T3_PNS13_IS18_E10value_typeET4_jRbjT5_S1E_jjP12ihipStream_tbEUljE_ZNSN_ISO_Lb1ESQ_SR_ST_SU_SY_EESZ_S10_S11_S12_S16_S17_S18_S1B_S1C_jS1D_jS1E_S1E_jjS1G_bEUljE0_EEESZ_S10_S11_S18_S1C_S1E_T6_T7_T9_mT8_S1G_bDpT10_ENKUlT_T0_E_clISt17integral_constantIbLb1EES1U_EEDaS1P_S1Q_EUlS1P_E_NS1_11comp_targetILNS1_3genE10ELNS1_11target_archE1200ELNS1_3gpuE4ELNS1_3repE0EEENS1_30default_config_static_selectorELNS0_4arch9wavefront6targetE0EEEvS12_ ; -- Begin function _ZN7rocprim17ROCPRIM_400000_NS6detail17trampoline_kernelINS0_13select_configILj256ELj13ELNS0_17block_load_methodE3ELS4_3ELS4_3ELNS0_20block_scan_algorithmE0ELj4294967295EEENS1_25partition_config_selectorILNS1_17partition_subalgoE4EjNS0_10empty_typeEbEEZZNS1_14partition_implILS8_4ELb0ES6_15HIP_vector_typeIjLj2EENS0_17counting_iteratorIjlEEPS9_SG_NS0_5tupleIJPjSI_NS0_16reverse_iteratorISI_EEEEENSH_IJSG_SG_SG_EEES9_SI_JZNS1_25segmented_radix_sort_implINS0_14default_configELb1EPKsPsPKlPlN2at6native12_GLOBAL__N_18offset_tEEE10hipError_tPvRmT1_PNSt15iterator_traitsIS12_E10value_typeET2_T3_PNS13_IS18_E10value_typeET4_jRbjT5_S1E_jjP12ihipStream_tbEUljE_ZNSN_ISO_Lb1ESQ_SR_ST_SU_SY_EESZ_S10_S11_S12_S16_S17_S18_S1B_S1C_jS1D_jS1E_S1E_jjS1G_bEUljE0_EEESZ_S10_S11_S18_S1C_S1E_T6_T7_T9_mT8_S1G_bDpT10_ENKUlT_T0_E_clISt17integral_constantIbLb1EES1U_EEDaS1P_S1Q_EUlS1P_E_NS1_11comp_targetILNS1_3genE10ELNS1_11target_archE1200ELNS1_3gpuE4ELNS1_3repE0EEENS1_30default_config_static_selectorELNS0_4arch9wavefront6targetE0EEEvS12_
	.p2align	8
	.type	_ZN7rocprim17ROCPRIM_400000_NS6detail17trampoline_kernelINS0_13select_configILj256ELj13ELNS0_17block_load_methodE3ELS4_3ELS4_3ELNS0_20block_scan_algorithmE0ELj4294967295EEENS1_25partition_config_selectorILNS1_17partition_subalgoE4EjNS0_10empty_typeEbEEZZNS1_14partition_implILS8_4ELb0ES6_15HIP_vector_typeIjLj2EENS0_17counting_iteratorIjlEEPS9_SG_NS0_5tupleIJPjSI_NS0_16reverse_iteratorISI_EEEEENSH_IJSG_SG_SG_EEES9_SI_JZNS1_25segmented_radix_sort_implINS0_14default_configELb1EPKsPsPKlPlN2at6native12_GLOBAL__N_18offset_tEEE10hipError_tPvRmT1_PNSt15iterator_traitsIS12_E10value_typeET2_T3_PNS13_IS18_E10value_typeET4_jRbjT5_S1E_jjP12ihipStream_tbEUljE_ZNSN_ISO_Lb1ESQ_SR_ST_SU_SY_EESZ_S10_S11_S12_S16_S17_S18_S1B_S1C_jS1D_jS1E_S1E_jjS1G_bEUljE0_EEESZ_S10_S11_S18_S1C_S1E_T6_T7_T9_mT8_S1G_bDpT10_ENKUlT_T0_E_clISt17integral_constantIbLb1EES1U_EEDaS1P_S1Q_EUlS1P_E_NS1_11comp_targetILNS1_3genE10ELNS1_11target_archE1200ELNS1_3gpuE4ELNS1_3repE0EEENS1_30default_config_static_selectorELNS0_4arch9wavefront6targetE0EEEvS12_,@function
_ZN7rocprim17ROCPRIM_400000_NS6detail17trampoline_kernelINS0_13select_configILj256ELj13ELNS0_17block_load_methodE3ELS4_3ELS4_3ELNS0_20block_scan_algorithmE0ELj4294967295EEENS1_25partition_config_selectorILNS1_17partition_subalgoE4EjNS0_10empty_typeEbEEZZNS1_14partition_implILS8_4ELb0ES6_15HIP_vector_typeIjLj2EENS0_17counting_iteratorIjlEEPS9_SG_NS0_5tupleIJPjSI_NS0_16reverse_iteratorISI_EEEEENSH_IJSG_SG_SG_EEES9_SI_JZNS1_25segmented_radix_sort_implINS0_14default_configELb1EPKsPsPKlPlN2at6native12_GLOBAL__N_18offset_tEEE10hipError_tPvRmT1_PNSt15iterator_traitsIS12_E10value_typeET2_T3_PNS13_IS18_E10value_typeET4_jRbjT5_S1E_jjP12ihipStream_tbEUljE_ZNSN_ISO_Lb1ESQ_SR_ST_SU_SY_EESZ_S10_S11_S12_S16_S17_S18_S1B_S1C_jS1D_jS1E_S1E_jjS1G_bEUljE0_EEESZ_S10_S11_S18_S1C_S1E_T6_T7_T9_mT8_S1G_bDpT10_ENKUlT_T0_E_clISt17integral_constantIbLb1EES1U_EEDaS1P_S1Q_EUlS1P_E_NS1_11comp_targetILNS1_3genE10ELNS1_11target_archE1200ELNS1_3gpuE4ELNS1_3repE0EEENS1_30default_config_static_selectorELNS0_4arch9wavefront6targetE0EEEvS12_: ; @_ZN7rocprim17ROCPRIM_400000_NS6detail17trampoline_kernelINS0_13select_configILj256ELj13ELNS0_17block_load_methodE3ELS4_3ELS4_3ELNS0_20block_scan_algorithmE0ELj4294967295EEENS1_25partition_config_selectorILNS1_17partition_subalgoE4EjNS0_10empty_typeEbEEZZNS1_14partition_implILS8_4ELb0ES6_15HIP_vector_typeIjLj2EENS0_17counting_iteratorIjlEEPS9_SG_NS0_5tupleIJPjSI_NS0_16reverse_iteratorISI_EEEEENSH_IJSG_SG_SG_EEES9_SI_JZNS1_25segmented_radix_sort_implINS0_14default_configELb1EPKsPsPKlPlN2at6native12_GLOBAL__N_18offset_tEEE10hipError_tPvRmT1_PNSt15iterator_traitsIS12_E10value_typeET2_T3_PNS13_IS18_E10value_typeET4_jRbjT5_S1E_jjP12ihipStream_tbEUljE_ZNSN_ISO_Lb1ESQ_SR_ST_SU_SY_EESZ_S10_S11_S12_S16_S17_S18_S1B_S1C_jS1D_jS1E_S1E_jjS1G_bEUljE0_EEESZ_S10_S11_S18_S1C_S1E_T6_T7_T9_mT8_S1G_bDpT10_ENKUlT_T0_E_clISt17integral_constantIbLb1EES1U_EEDaS1P_S1Q_EUlS1P_E_NS1_11comp_targetILNS1_3genE10ELNS1_11target_archE1200ELNS1_3gpuE4ELNS1_3repE0EEENS1_30default_config_static_selectorELNS0_4arch9wavefront6targetE0EEEvS12_
; %bb.0:
	.section	.rodata,"a",@progbits
	.p2align	6, 0x0
	.amdhsa_kernel _ZN7rocprim17ROCPRIM_400000_NS6detail17trampoline_kernelINS0_13select_configILj256ELj13ELNS0_17block_load_methodE3ELS4_3ELS4_3ELNS0_20block_scan_algorithmE0ELj4294967295EEENS1_25partition_config_selectorILNS1_17partition_subalgoE4EjNS0_10empty_typeEbEEZZNS1_14partition_implILS8_4ELb0ES6_15HIP_vector_typeIjLj2EENS0_17counting_iteratorIjlEEPS9_SG_NS0_5tupleIJPjSI_NS0_16reverse_iteratorISI_EEEEENSH_IJSG_SG_SG_EEES9_SI_JZNS1_25segmented_radix_sort_implINS0_14default_configELb1EPKsPsPKlPlN2at6native12_GLOBAL__N_18offset_tEEE10hipError_tPvRmT1_PNSt15iterator_traitsIS12_E10value_typeET2_T3_PNS13_IS18_E10value_typeET4_jRbjT5_S1E_jjP12ihipStream_tbEUljE_ZNSN_ISO_Lb1ESQ_SR_ST_SU_SY_EESZ_S10_S11_S12_S16_S17_S18_S1B_S1C_jS1D_jS1E_S1E_jjS1G_bEUljE0_EEESZ_S10_S11_S18_S1C_S1E_T6_T7_T9_mT8_S1G_bDpT10_ENKUlT_T0_E_clISt17integral_constantIbLb1EES1U_EEDaS1P_S1Q_EUlS1P_E_NS1_11comp_targetILNS1_3genE10ELNS1_11target_archE1200ELNS1_3gpuE4ELNS1_3repE0EEENS1_30default_config_static_selectorELNS0_4arch9wavefront6targetE0EEEvS12_
		.amdhsa_group_segment_fixed_size 0
		.amdhsa_private_segment_fixed_size 0
		.amdhsa_kernarg_size 184
		.amdhsa_user_sgpr_count 6
		.amdhsa_user_sgpr_private_segment_buffer 1
		.amdhsa_user_sgpr_dispatch_ptr 0
		.amdhsa_user_sgpr_queue_ptr 0
		.amdhsa_user_sgpr_kernarg_segment_ptr 1
		.amdhsa_user_sgpr_dispatch_id 0
		.amdhsa_user_sgpr_flat_scratch_init 0
		.amdhsa_user_sgpr_private_segment_size 0
		.amdhsa_wavefront_size32 1
		.amdhsa_uses_dynamic_stack 0
		.amdhsa_system_sgpr_private_segment_wavefront_offset 0
		.amdhsa_system_sgpr_workgroup_id_x 1
		.amdhsa_system_sgpr_workgroup_id_y 0
		.amdhsa_system_sgpr_workgroup_id_z 0
		.amdhsa_system_sgpr_workgroup_info 0
		.amdhsa_system_vgpr_workitem_id 0
		.amdhsa_next_free_vgpr 1
		.amdhsa_next_free_sgpr 1
		.amdhsa_reserve_vcc 0
		.amdhsa_reserve_flat_scratch 0
		.amdhsa_float_round_mode_32 0
		.amdhsa_float_round_mode_16_64 0
		.amdhsa_float_denorm_mode_32 3
		.amdhsa_float_denorm_mode_16_64 3
		.amdhsa_dx10_clamp 1
		.amdhsa_ieee_mode 1
		.amdhsa_fp16_overflow 0
		.amdhsa_workgroup_processor_mode 1
		.amdhsa_memory_ordered 1
		.amdhsa_forward_progress 1
		.amdhsa_shared_vgpr_count 0
		.amdhsa_exception_fp_ieee_invalid_op 0
		.amdhsa_exception_fp_denorm_src 0
		.amdhsa_exception_fp_ieee_div_zero 0
		.amdhsa_exception_fp_ieee_overflow 0
		.amdhsa_exception_fp_ieee_underflow 0
		.amdhsa_exception_fp_ieee_inexact 0
		.amdhsa_exception_int_div_zero 0
	.end_amdhsa_kernel
	.section	.text._ZN7rocprim17ROCPRIM_400000_NS6detail17trampoline_kernelINS0_13select_configILj256ELj13ELNS0_17block_load_methodE3ELS4_3ELS4_3ELNS0_20block_scan_algorithmE0ELj4294967295EEENS1_25partition_config_selectorILNS1_17partition_subalgoE4EjNS0_10empty_typeEbEEZZNS1_14partition_implILS8_4ELb0ES6_15HIP_vector_typeIjLj2EENS0_17counting_iteratorIjlEEPS9_SG_NS0_5tupleIJPjSI_NS0_16reverse_iteratorISI_EEEEENSH_IJSG_SG_SG_EEES9_SI_JZNS1_25segmented_radix_sort_implINS0_14default_configELb1EPKsPsPKlPlN2at6native12_GLOBAL__N_18offset_tEEE10hipError_tPvRmT1_PNSt15iterator_traitsIS12_E10value_typeET2_T3_PNS13_IS18_E10value_typeET4_jRbjT5_S1E_jjP12ihipStream_tbEUljE_ZNSN_ISO_Lb1ESQ_SR_ST_SU_SY_EESZ_S10_S11_S12_S16_S17_S18_S1B_S1C_jS1D_jS1E_S1E_jjS1G_bEUljE0_EEESZ_S10_S11_S18_S1C_S1E_T6_T7_T9_mT8_S1G_bDpT10_ENKUlT_T0_E_clISt17integral_constantIbLb1EES1U_EEDaS1P_S1Q_EUlS1P_E_NS1_11comp_targetILNS1_3genE10ELNS1_11target_archE1200ELNS1_3gpuE4ELNS1_3repE0EEENS1_30default_config_static_selectorELNS0_4arch9wavefront6targetE0EEEvS12_,"axG",@progbits,_ZN7rocprim17ROCPRIM_400000_NS6detail17trampoline_kernelINS0_13select_configILj256ELj13ELNS0_17block_load_methodE3ELS4_3ELS4_3ELNS0_20block_scan_algorithmE0ELj4294967295EEENS1_25partition_config_selectorILNS1_17partition_subalgoE4EjNS0_10empty_typeEbEEZZNS1_14partition_implILS8_4ELb0ES6_15HIP_vector_typeIjLj2EENS0_17counting_iteratorIjlEEPS9_SG_NS0_5tupleIJPjSI_NS0_16reverse_iteratorISI_EEEEENSH_IJSG_SG_SG_EEES9_SI_JZNS1_25segmented_radix_sort_implINS0_14default_configELb1EPKsPsPKlPlN2at6native12_GLOBAL__N_18offset_tEEE10hipError_tPvRmT1_PNSt15iterator_traitsIS12_E10value_typeET2_T3_PNS13_IS18_E10value_typeET4_jRbjT5_S1E_jjP12ihipStream_tbEUljE_ZNSN_ISO_Lb1ESQ_SR_ST_SU_SY_EESZ_S10_S11_S12_S16_S17_S18_S1B_S1C_jS1D_jS1E_S1E_jjS1G_bEUljE0_EEESZ_S10_S11_S18_S1C_S1E_T6_T7_T9_mT8_S1G_bDpT10_ENKUlT_T0_E_clISt17integral_constantIbLb1EES1U_EEDaS1P_S1Q_EUlS1P_E_NS1_11comp_targetILNS1_3genE10ELNS1_11target_archE1200ELNS1_3gpuE4ELNS1_3repE0EEENS1_30default_config_static_selectorELNS0_4arch9wavefront6targetE0EEEvS12_,comdat
.Lfunc_end854:
	.size	_ZN7rocprim17ROCPRIM_400000_NS6detail17trampoline_kernelINS0_13select_configILj256ELj13ELNS0_17block_load_methodE3ELS4_3ELS4_3ELNS0_20block_scan_algorithmE0ELj4294967295EEENS1_25partition_config_selectorILNS1_17partition_subalgoE4EjNS0_10empty_typeEbEEZZNS1_14partition_implILS8_4ELb0ES6_15HIP_vector_typeIjLj2EENS0_17counting_iteratorIjlEEPS9_SG_NS0_5tupleIJPjSI_NS0_16reverse_iteratorISI_EEEEENSH_IJSG_SG_SG_EEES9_SI_JZNS1_25segmented_radix_sort_implINS0_14default_configELb1EPKsPsPKlPlN2at6native12_GLOBAL__N_18offset_tEEE10hipError_tPvRmT1_PNSt15iterator_traitsIS12_E10value_typeET2_T3_PNS13_IS18_E10value_typeET4_jRbjT5_S1E_jjP12ihipStream_tbEUljE_ZNSN_ISO_Lb1ESQ_SR_ST_SU_SY_EESZ_S10_S11_S12_S16_S17_S18_S1B_S1C_jS1D_jS1E_S1E_jjS1G_bEUljE0_EEESZ_S10_S11_S18_S1C_S1E_T6_T7_T9_mT8_S1G_bDpT10_ENKUlT_T0_E_clISt17integral_constantIbLb1EES1U_EEDaS1P_S1Q_EUlS1P_E_NS1_11comp_targetILNS1_3genE10ELNS1_11target_archE1200ELNS1_3gpuE4ELNS1_3repE0EEENS1_30default_config_static_selectorELNS0_4arch9wavefront6targetE0EEEvS12_, .Lfunc_end854-_ZN7rocprim17ROCPRIM_400000_NS6detail17trampoline_kernelINS0_13select_configILj256ELj13ELNS0_17block_load_methodE3ELS4_3ELS4_3ELNS0_20block_scan_algorithmE0ELj4294967295EEENS1_25partition_config_selectorILNS1_17partition_subalgoE4EjNS0_10empty_typeEbEEZZNS1_14partition_implILS8_4ELb0ES6_15HIP_vector_typeIjLj2EENS0_17counting_iteratorIjlEEPS9_SG_NS0_5tupleIJPjSI_NS0_16reverse_iteratorISI_EEEEENSH_IJSG_SG_SG_EEES9_SI_JZNS1_25segmented_radix_sort_implINS0_14default_configELb1EPKsPsPKlPlN2at6native12_GLOBAL__N_18offset_tEEE10hipError_tPvRmT1_PNSt15iterator_traitsIS12_E10value_typeET2_T3_PNS13_IS18_E10value_typeET4_jRbjT5_S1E_jjP12ihipStream_tbEUljE_ZNSN_ISO_Lb1ESQ_SR_ST_SU_SY_EESZ_S10_S11_S12_S16_S17_S18_S1B_S1C_jS1D_jS1E_S1E_jjS1G_bEUljE0_EEESZ_S10_S11_S18_S1C_S1E_T6_T7_T9_mT8_S1G_bDpT10_ENKUlT_T0_E_clISt17integral_constantIbLb1EES1U_EEDaS1P_S1Q_EUlS1P_E_NS1_11comp_targetILNS1_3genE10ELNS1_11target_archE1200ELNS1_3gpuE4ELNS1_3repE0EEENS1_30default_config_static_selectorELNS0_4arch9wavefront6targetE0EEEvS12_
                                        ; -- End function
	.set _ZN7rocprim17ROCPRIM_400000_NS6detail17trampoline_kernelINS0_13select_configILj256ELj13ELNS0_17block_load_methodE3ELS4_3ELS4_3ELNS0_20block_scan_algorithmE0ELj4294967295EEENS1_25partition_config_selectorILNS1_17partition_subalgoE4EjNS0_10empty_typeEbEEZZNS1_14partition_implILS8_4ELb0ES6_15HIP_vector_typeIjLj2EENS0_17counting_iteratorIjlEEPS9_SG_NS0_5tupleIJPjSI_NS0_16reverse_iteratorISI_EEEEENSH_IJSG_SG_SG_EEES9_SI_JZNS1_25segmented_radix_sort_implINS0_14default_configELb1EPKsPsPKlPlN2at6native12_GLOBAL__N_18offset_tEEE10hipError_tPvRmT1_PNSt15iterator_traitsIS12_E10value_typeET2_T3_PNS13_IS18_E10value_typeET4_jRbjT5_S1E_jjP12ihipStream_tbEUljE_ZNSN_ISO_Lb1ESQ_SR_ST_SU_SY_EESZ_S10_S11_S12_S16_S17_S18_S1B_S1C_jS1D_jS1E_S1E_jjS1G_bEUljE0_EEESZ_S10_S11_S18_S1C_S1E_T6_T7_T9_mT8_S1G_bDpT10_ENKUlT_T0_E_clISt17integral_constantIbLb1EES1U_EEDaS1P_S1Q_EUlS1P_E_NS1_11comp_targetILNS1_3genE10ELNS1_11target_archE1200ELNS1_3gpuE4ELNS1_3repE0EEENS1_30default_config_static_selectorELNS0_4arch9wavefront6targetE0EEEvS12_.num_vgpr, 0
	.set _ZN7rocprim17ROCPRIM_400000_NS6detail17trampoline_kernelINS0_13select_configILj256ELj13ELNS0_17block_load_methodE3ELS4_3ELS4_3ELNS0_20block_scan_algorithmE0ELj4294967295EEENS1_25partition_config_selectorILNS1_17partition_subalgoE4EjNS0_10empty_typeEbEEZZNS1_14partition_implILS8_4ELb0ES6_15HIP_vector_typeIjLj2EENS0_17counting_iteratorIjlEEPS9_SG_NS0_5tupleIJPjSI_NS0_16reverse_iteratorISI_EEEEENSH_IJSG_SG_SG_EEES9_SI_JZNS1_25segmented_radix_sort_implINS0_14default_configELb1EPKsPsPKlPlN2at6native12_GLOBAL__N_18offset_tEEE10hipError_tPvRmT1_PNSt15iterator_traitsIS12_E10value_typeET2_T3_PNS13_IS18_E10value_typeET4_jRbjT5_S1E_jjP12ihipStream_tbEUljE_ZNSN_ISO_Lb1ESQ_SR_ST_SU_SY_EESZ_S10_S11_S12_S16_S17_S18_S1B_S1C_jS1D_jS1E_S1E_jjS1G_bEUljE0_EEESZ_S10_S11_S18_S1C_S1E_T6_T7_T9_mT8_S1G_bDpT10_ENKUlT_T0_E_clISt17integral_constantIbLb1EES1U_EEDaS1P_S1Q_EUlS1P_E_NS1_11comp_targetILNS1_3genE10ELNS1_11target_archE1200ELNS1_3gpuE4ELNS1_3repE0EEENS1_30default_config_static_selectorELNS0_4arch9wavefront6targetE0EEEvS12_.num_agpr, 0
	.set _ZN7rocprim17ROCPRIM_400000_NS6detail17trampoline_kernelINS0_13select_configILj256ELj13ELNS0_17block_load_methodE3ELS4_3ELS4_3ELNS0_20block_scan_algorithmE0ELj4294967295EEENS1_25partition_config_selectorILNS1_17partition_subalgoE4EjNS0_10empty_typeEbEEZZNS1_14partition_implILS8_4ELb0ES6_15HIP_vector_typeIjLj2EENS0_17counting_iteratorIjlEEPS9_SG_NS0_5tupleIJPjSI_NS0_16reverse_iteratorISI_EEEEENSH_IJSG_SG_SG_EEES9_SI_JZNS1_25segmented_radix_sort_implINS0_14default_configELb1EPKsPsPKlPlN2at6native12_GLOBAL__N_18offset_tEEE10hipError_tPvRmT1_PNSt15iterator_traitsIS12_E10value_typeET2_T3_PNS13_IS18_E10value_typeET4_jRbjT5_S1E_jjP12ihipStream_tbEUljE_ZNSN_ISO_Lb1ESQ_SR_ST_SU_SY_EESZ_S10_S11_S12_S16_S17_S18_S1B_S1C_jS1D_jS1E_S1E_jjS1G_bEUljE0_EEESZ_S10_S11_S18_S1C_S1E_T6_T7_T9_mT8_S1G_bDpT10_ENKUlT_T0_E_clISt17integral_constantIbLb1EES1U_EEDaS1P_S1Q_EUlS1P_E_NS1_11comp_targetILNS1_3genE10ELNS1_11target_archE1200ELNS1_3gpuE4ELNS1_3repE0EEENS1_30default_config_static_selectorELNS0_4arch9wavefront6targetE0EEEvS12_.numbered_sgpr, 0
	.set _ZN7rocprim17ROCPRIM_400000_NS6detail17trampoline_kernelINS0_13select_configILj256ELj13ELNS0_17block_load_methodE3ELS4_3ELS4_3ELNS0_20block_scan_algorithmE0ELj4294967295EEENS1_25partition_config_selectorILNS1_17partition_subalgoE4EjNS0_10empty_typeEbEEZZNS1_14partition_implILS8_4ELb0ES6_15HIP_vector_typeIjLj2EENS0_17counting_iteratorIjlEEPS9_SG_NS0_5tupleIJPjSI_NS0_16reverse_iteratorISI_EEEEENSH_IJSG_SG_SG_EEES9_SI_JZNS1_25segmented_radix_sort_implINS0_14default_configELb1EPKsPsPKlPlN2at6native12_GLOBAL__N_18offset_tEEE10hipError_tPvRmT1_PNSt15iterator_traitsIS12_E10value_typeET2_T3_PNS13_IS18_E10value_typeET4_jRbjT5_S1E_jjP12ihipStream_tbEUljE_ZNSN_ISO_Lb1ESQ_SR_ST_SU_SY_EESZ_S10_S11_S12_S16_S17_S18_S1B_S1C_jS1D_jS1E_S1E_jjS1G_bEUljE0_EEESZ_S10_S11_S18_S1C_S1E_T6_T7_T9_mT8_S1G_bDpT10_ENKUlT_T0_E_clISt17integral_constantIbLb1EES1U_EEDaS1P_S1Q_EUlS1P_E_NS1_11comp_targetILNS1_3genE10ELNS1_11target_archE1200ELNS1_3gpuE4ELNS1_3repE0EEENS1_30default_config_static_selectorELNS0_4arch9wavefront6targetE0EEEvS12_.num_named_barrier, 0
	.set _ZN7rocprim17ROCPRIM_400000_NS6detail17trampoline_kernelINS0_13select_configILj256ELj13ELNS0_17block_load_methodE3ELS4_3ELS4_3ELNS0_20block_scan_algorithmE0ELj4294967295EEENS1_25partition_config_selectorILNS1_17partition_subalgoE4EjNS0_10empty_typeEbEEZZNS1_14partition_implILS8_4ELb0ES6_15HIP_vector_typeIjLj2EENS0_17counting_iteratorIjlEEPS9_SG_NS0_5tupleIJPjSI_NS0_16reverse_iteratorISI_EEEEENSH_IJSG_SG_SG_EEES9_SI_JZNS1_25segmented_radix_sort_implINS0_14default_configELb1EPKsPsPKlPlN2at6native12_GLOBAL__N_18offset_tEEE10hipError_tPvRmT1_PNSt15iterator_traitsIS12_E10value_typeET2_T3_PNS13_IS18_E10value_typeET4_jRbjT5_S1E_jjP12ihipStream_tbEUljE_ZNSN_ISO_Lb1ESQ_SR_ST_SU_SY_EESZ_S10_S11_S12_S16_S17_S18_S1B_S1C_jS1D_jS1E_S1E_jjS1G_bEUljE0_EEESZ_S10_S11_S18_S1C_S1E_T6_T7_T9_mT8_S1G_bDpT10_ENKUlT_T0_E_clISt17integral_constantIbLb1EES1U_EEDaS1P_S1Q_EUlS1P_E_NS1_11comp_targetILNS1_3genE10ELNS1_11target_archE1200ELNS1_3gpuE4ELNS1_3repE0EEENS1_30default_config_static_selectorELNS0_4arch9wavefront6targetE0EEEvS12_.private_seg_size, 0
	.set _ZN7rocprim17ROCPRIM_400000_NS6detail17trampoline_kernelINS0_13select_configILj256ELj13ELNS0_17block_load_methodE3ELS4_3ELS4_3ELNS0_20block_scan_algorithmE0ELj4294967295EEENS1_25partition_config_selectorILNS1_17partition_subalgoE4EjNS0_10empty_typeEbEEZZNS1_14partition_implILS8_4ELb0ES6_15HIP_vector_typeIjLj2EENS0_17counting_iteratorIjlEEPS9_SG_NS0_5tupleIJPjSI_NS0_16reverse_iteratorISI_EEEEENSH_IJSG_SG_SG_EEES9_SI_JZNS1_25segmented_radix_sort_implINS0_14default_configELb1EPKsPsPKlPlN2at6native12_GLOBAL__N_18offset_tEEE10hipError_tPvRmT1_PNSt15iterator_traitsIS12_E10value_typeET2_T3_PNS13_IS18_E10value_typeET4_jRbjT5_S1E_jjP12ihipStream_tbEUljE_ZNSN_ISO_Lb1ESQ_SR_ST_SU_SY_EESZ_S10_S11_S12_S16_S17_S18_S1B_S1C_jS1D_jS1E_S1E_jjS1G_bEUljE0_EEESZ_S10_S11_S18_S1C_S1E_T6_T7_T9_mT8_S1G_bDpT10_ENKUlT_T0_E_clISt17integral_constantIbLb1EES1U_EEDaS1P_S1Q_EUlS1P_E_NS1_11comp_targetILNS1_3genE10ELNS1_11target_archE1200ELNS1_3gpuE4ELNS1_3repE0EEENS1_30default_config_static_selectorELNS0_4arch9wavefront6targetE0EEEvS12_.uses_vcc, 0
	.set _ZN7rocprim17ROCPRIM_400000_NS6detail17trampoline_kernelINS0_13select_configILj256ELj13ELNS0_17block_load_methodE3ELS4_3ELS4_3ELNS0_20block_scan_algorithmE0ELj4294967295EEENS1_25partition_config_selectorILNS1_17partition_subalgoE4EjNS0_10empty_typeEbEEZZNS1_14partition_implILS8_4ELb0ES6_15HIP_vector_typeIjLj2EENS0_17counting_iteratorIjlEEPS9_SG_NS0_5tupleIJPjSI_NS0_16reverse_iteratorISI_EEEEENSH_IJSG_SG_SG_EEES9_SI_JZNS1_25segmented_radix_sort_implINS0_14default_configELb1EPKsPsPKlPlN2at6native12_GLOBAL__N_18offset_tEEE10hipError_tPvRmT1_PNSt15iterator_traitsIS12_E10value_typeET2_T3_PNS13_IS18_E10value_typeET4_jRbjT5_S1E_jjP12ihipStream_tbEUljE_ZNSN_ISO_Lb1ESQ_SR_ST_SU_SY_EESZ_S10_S11_S12_S16_S17_S18_S1B_S1C_jS1D_jS1E_S1E_jjS1G_bEUljE0_EEESZ_S10_S11_S18_S1C_S1E_T6_T7_T9_mT8_S1G_bDpT10_ENKUlT_T0_E_clISt17integral_constantIbLb1EES1U_EEDaS1P_S1Q_EUlS1P_E_NS1_11comp_targetILNS1_3genE10ELNS1_11target_archE1200ELNS1_3gpuE4ELNS1_3repE0EEENS1_30default_config_static_selectorELNS0_4arch9wavefront6targetE0EEEvS12_.uses_flat_scratch, 0
	.set _ZN7rocprim17ROCPRIM_400000_NS6detail17trampoline_kernelINS0_13select_configILj256ELj13ELNS0_17block_load_methodE3ELS4_3ELS4_3ELNS0_20block_scan_algorithmE0ELj4294967295EEENS1_25partition_config_selectorILNS1_17partition_subalgoE4EjNS0_10empty_typeEbEEZZNS1_14partition_implILS8_4ELb0ES6_15HIP_vector_typeIjLj2EENS0_17counting_iteratorIjlEEPS9_SG_NS0_5tupleIJPjSI_NS0_16reverse_iteratorISI_EEEEENSH_IJSG_SG_SG_EEES9_SI_JZNS1_25segmented_radix_sort_implINS0_14default_configELb1EPKsPsPKlPlN2at6native12_GLOBAL__N_18offset_tEEE10hipError_tPvRmT1_PNSt15iterator_traitsIS12_E10value_typeET2_T3_PNS13_IS18_E10value_typeET4_jRbjT5_S1E_jjP12ihipStream_tbEUljE_ZNSN_ISO_Lb1ESQ_SR_ST_SU_SY_EESZ_S10_S11_S12_S16_S17_S18_S1B_S1C_jS1D_jS1E_S1E_jjS1G_bEUljE0_EEESZ_S10_S11_S18_S1C_S1E_T6_T7_T9_mT8_S1G_bDpT10_ENKUlT_T0_E_clISt17integral_constantIbLb1EES1U_EEDaS1P_S1Q_EUlS1P_E_NS1_11comp_targetILNS1_3genE10ELNS1_11target_archE1200ELNS1_3gpuE4ELNS1_3repE0EEENS1_30default_config_static_selectorELNS0_4arch9wavefront6targetE0EEEvS12_.has_dyn_sized_stack, 0
	.set _ZN7rocprim17ROCPRIM_400000_NS6detail17trampoline_kernelINS0_13select_configILj256ELj13ELNS0_17block_load_methodE3ELS4_3ELS4_3ELNS0_20block_scan_algorithmE0ELj4294967295EEENS1_25partition_config_selectorILNS1_17partition_subalgoE4EjNS0_10empty_typeEbEEZZNS1_14partition_implILS8_4ELb0ES6_15HIP_vector_typeIjLj2EENS0_17counting_iteratorIjlEEPS9_SG_NS0_5tupleIJPjSI_NS0_16reverse_iteratorISI_EEEEENSH_IJSG_SG_SG_EEES9_SI_JZNS1_25segmented_radix_sort_implINS0_14default_configELb1EPKsPsPKlPlN2at6native12_GLOBAL__N_18offset_tEEE10hipError_tPvRmT1_PNSt15iterator_traitsIS12_E10value_typeET2_T3_PNS13_IS18_E10value_typeET4_jRbjT5_S1E_jjP12ihipStream_tbEUljE_ZNSN_ISO_Lb1ESQ_SR_ST_SU_SY_EESZ_S10_S11_S12_S16_S17_S18_S1B_S1C_jS1D_jS1E_S1E_jjS1G_bEUljE0_EEESZ_S10_S11_S18_S1C_S1E_T6_T7_T9_mT8_S1G_bDpT10_ENKUlT_T0_E_clISt17integral_constantIbLb1EES1U_EEDaS1P_S1Q_EUlS1P_E_NS1_11comp_targetILNS1_3genE10ELNS1_11target_archE1200ELNS1_3gpuE4ELNS1_3repE0EEENS1_30default_config_static_selectorELNS0_4arch9wavefront6targetE0EEEvS12_.has_recursion, 0
	.set _ZN7rocprim17ROCPRIM_400000_NS6detail17trampoline_kernelINS0_13select_configILj256ELj13ELNS0_17block_load_methodE3ELS4_3ELS4_3ELNS0_20block_scan_algorithmE0ELj4294967295EEENS1_25partition_config_selectorILNS1_17partition_subalgoE4EjNS0_10empty_typeEbEEZZNS1_14partition_implILS8_4ELb0ES6_15HIP_vector_typeIjLj2EENS0_17counting_iteratorIjlEEPS9_SG_NS0_5tupleIJPjSI_NS0_16reverse_iteratorISI_EEEEENSH_IJSG_SG_SG_EEES9_SI_JZNS1_25segmented_radix_sort_implINS0_14default_configELb1EPKsPsPKlPlN2at6native12_GLOBAL__N_18offset_tEEE10hipError_tPvRmT1_PNSt15iterator_traitsIS12_E10value_typeET2_T3_PNS13_IS18_E10value_typeET4_jRbjT5_S1E_jjP12ihipStream_tbEUljE_ZNSN_ISO_Lb1ESQ_SR_ST_SU_SY_EESZ_S10_S11_S12_S16_S17_S18_S1B_S1C_jS1D_jS1E_S1E_jjS1G_bEUljE0_EEESZ_S10_S11_S18_S1C_S1E_T6_T7_T9_mT8_S1G_bDpT10_ENKUlT_T0_E_clISt17integral_constantIbLb1EES1U_EEDaS1P_S1Q_EUlS1P_E_NS1_11comp_targetILNS1_3genE10ELNS1_11target_archE1200ELNS1_3gpuE4ELNS1_3repE0EEENS1_30default_config_static_selectorELNS0_4arch9wavefront6targetE0EEEvS12_.has_indirect_call, 0
	.section	.AMDGPU.csdata,"",@progbits
; Kernel info:
; codeLenInByte = 0
; TotalNumSgprs: 0
; NumVgprs: 0
; ScratchSize: 0
; MemoryBound: 0
; FloatMode: 240
; IeeeMode: 1
; LDSByteSize: 0 bytes/workgroup (compile time only)
; SGPRBlocks: 0
; VGPRBlocks: 0
; NumSGPRsForWavesPerEU: 1
; NumVGPRsForWavesPerEU: 1
; Occupancy: 16
; WaveLimiterHint : 0
; COMPUTE_PGM_RSRC2:SCRATCH_EN: 0
; COMPUTE_PGM_RSRC2:USER_SGPR: 6
; COMPUTE_PGM_RSRC2:TRAP_HANDLER: 0
; COMPUTE_PGM_RSRC2:TGID_X_EN: 1
; COMPUTE_PGM_RSRC2:TGID_Y_EN: 0
; COMPUTE_PGM_RSRC2:TGID_Z_EN: 0
; COMPUTE_PGM_RSRC2:TIDIG_COMP_CNT: 0
	.section	.text._ZN7rocprim17ROCPRIM_400000_NS6detail17trampoline_kernelINS0_13select_configILj256ELj13ELNS0_17block_load_methodE3ELS4_3ELS4_3ELNS0_20block_scan_algorithmE0ELj4294967295EEENS1_25partition_config_selectorILNS1_17partition_subalgoE4EjNS0_10empty_typeEbEEZZNS1_14partition_implILS8_4ELb0ES6_15HIP_vector_typeIjLj2EENS0_17counting_iteratorIjlEEPS9_SG_NS0_5tupleIJPjSI_NS0_16reverse_iteratorISI_EEEEENSH_IJSG_SG_SG_EEES9_SI_JZNS1_25segmented_radix_sort_implINS0_14default_configELb1EPKsPsPKlPlN2at6native12_GLOBAL__N_18offset_tEEE10hipError_tPvRmT1_PNSt15iterator_traitsIS12_E10value_typeET2_T3_PNS13_IS18_E10value_typeET4_jRbjT5_S1E_jjP12ihipStream_tbEUljE_ZNSN_ISO_Lb1ESQ_SR_ST_SU_SY_EESZ_S10_S11_S12_S16_S17_S18_S1B_S1C_jS1D_jS1E_S1E_jjS1G_bEUljE0_EEESZ_S10_S11_S18_S1C_S1E_T6_T7_T9_mT8_S1G_bDpT10_ENKUlT_T0_E_clISt17integral_constantIbLb1EES1U_EEDaS1P_S1Q_EUlS1P_E_NS1_11comp_targetILNS1_3genE9ELNS1_11target_archE1100ELNS1_3gpuE3ELNS1_3repE0EEENS1_30default_config_static_selectorELNS0_4arch9wavefront6targetE0EEEvS12_,"axG",@progbits,_ZN7rocprim17ROCPRIM_400000_NS6detail17trampoline_kernelINS0_13select_configILj256ELj13ELNS0_17block_load_methodE3ELS4_3ELS4_3ELNS0_20block_scan_algorithmE0ELj4294967295EEENS1_25partition_config_selectorILNS1_17partition_subalgoE4EjNS0_10empty_typeEbEEZZNS1_14partition_implILS8_4ELb0ES6_15HIP_vector_typeIjLj2EENS0_17counting_iteratorIjlEEPS9_SG_NS0_5tupleIJPjSI_NS0_16reverse_iteratorISI_EEEEENSH_IJSG_SG_SG_EEES9_SI_JZNS1_25segmented_radix_sort_implINS0_14default_configELb1EPKsPsPKlPlN2at6native12_GLOBAL__N_18offset_tEEE10hipError_tPvRmT1_PNSt15iterator_traitsIS12_E10value_typeET2_T3_PNS13_IS18_E10value_typeET4_jRbjT5_S1E_jjP12ihipStream_tbEUljE_ZNSN_ISO_Lb1ESQ_SR_ST_SU_SY_EESZ_S10_S11_S12_S16_S17_S18_S1B_S1C_jS1D_jS1E_S1E_jjS1G_bEUljE0_EEESZ_S10_S11_S18_S1C_S1E_T6_T7_T9_mT8_S1G_bDpT10_ENKUlT_T0_E_clISt17integral_constantIbLb1EES1U_EEDaS1P_S1Q_EUlS1P_E_NS1_11comp_targetILNS1_3genE9ELNS1_11target_archE1100ELNS1_3gpuE3ELNS1_3repE0EEENS1_30default_config_static_selectorELNS0_4arch9wavefront6targetE0EEEvS12_,comdat
	.globl	_ZN7rocprim17ROCPRIM_400000_NS6detail17trampoline_kernelINS0_13select_configILj256ELj13ELNS0_17block_load_methodE3ELS4_3ELS4_3ELNS0_20block_scan_algorithmE0ELj4294967295EEENS1_25partition_config_selectorILNS1_17partition_subalgoE4EjNS0_10empty_typeEbEEZZNS1_14partition_implILS8_4ELb0ES6_15HIP_vector_typeIjLj2EENS0_17counting_iteratorIjlEEPS9_SG_NS0_5tupleIJPjSI_NS0_16reverse_iteratorISI_EEEEENSH_IJSG_SG_SG_EEES9_SI_JZNS1_25segmented_radix_sort_implINS0_14default_configELb1EPKsPsPKlPlN2at6native12_GLOBAL__N_18offset_tEEE10hipError_tPvRmT1_PNSt15iterator_traitsIS12_E10value_typeET2_T3_PNS13_IS18_E10value_typeET4_jRbjT5_S1E_jjP12ihipStream_tbEUljE_ZNSN_ISO_Lb1ESQ_SR_ST_SU_SY_EESZ_S10_S11_S12_S16_S17_S18_S1B_S1C_jS1D_jS1E_S1E_jjS1G_bEUljE0_EEESZ_S10_S11_S18_S1C_S1E_T6_T7_T9_mT8_S1G_bDpT10_ENKUlT_T0_E_clISt17integral_constantIbLb1EES1U_EEDaS1P_S1Q_EUlS1P_E_NS1_11comp_targetILNS1_3genE9ELNS1_11target_archE1100ELNS1_3gpuE3ELNS1_3repE0EEENS1_30default_config_static_selectorELNS0_4arch9wavefront6targetE0EEEvS12_ ; -- Begin function _ZN7rocprim17ROCPRIM_400000_NS6detail17trampoline_kernelINS0_13select_configILj256ELj13ELNS0_17block_load_methodE3ELS4_3ELS4_3ELNS0_20block_scan_algorithmE0ELj4294967295EEENS1_25partition_config_selectorILNS1_17partition_subalgoE4EjNS0_10empty_typeEbEEZZNS1_14partition_implILS8_4ELb0ES6_15HIP_vector_typeIjLj2EENS0_17counting_iteratorIjlEEPS9_SG_NS0_5tupleIJPjSI_NS0_16reverse_iteratorISI_EEEEENSH_IJSG_SG_SG_EEES9_SI_JZNS1_25segmented_radix_sort_implINS0_14default_configELb1EPKsPsPKlPlN2at6native12_GLOBAL__N_18offset_tEEE10hipError_tPvRmT1_PNSt15iterator_traitsIS12_E10value_typeET2_T3_PNS13_IS18_E10value_typeET4_jRbjT5_S1E_jjP12ihipStream_tbEUljE_ZNSN_ISO_Lb1ESQ_SR_ST_SU_SY_EESZ_S10_S11_S12_S16_S17_S18_S1B_S1C_jS1D_jS1E_S1E_jjS1G_bEUljE0_EEESZ_S10_S11_S18_S1C_S1E_T6_T7_T9_mT8_S1G_bDpT10_ENKUlT_T0_E_clISt17integral_constantIbLb1EES1U_EEDaS1P_S1Q_EUlS1P_E_NS1_11comp_targetILNS1_3genE9ELNS1_11target_archE1100ELNS1_3gpuE3ELNS1_3repE0EEENS1_30default_config_static_selectorELNS0_4arch9wavefront6targetE0EEEvS12_
	.p2align	8
	.type	_ZN7rocprim17ROCPRIM_400000_NS6detail17trampoline_kernelINS0_13select_configILj256ELj13ELNS0_17block_load_methodE3ELS4_3ELS4_3ELNS0_20block_scan_algorithmE0ELj4294967295EEENS1_25partition_config_selectorILNS1_17partition_subalgoE4EjNS0_10empty_typeEbEEZZNS1_14partition_implILS8_4ELb0ES6_15HIP_vector_typeIjLj2EENS0_17counting_iteratorIjlEEPS9_SG_NS0_5tupleIJPjSI_NS0_16reverse_iteratorISI_EEEEENSH_IJSG_SG_SG_EEES9_SI_JZNS1_25segmented_radix_sort_implINS0_14default_configELb1EPKsPsPKlPlN2at6native12_GLOBAL__N_18offset_tEEE10hipError_tPvRmT1_PNSt15iterator_traitsIS12_E10value_typeET2_T3_PNS13_IS18_E10value_typeET4_jRbjT5_S1E_jjP12ihipStream_tbEUljE_ZNSN_ISO_Lb1ESQ_SR_ST_SU_SY_EESZ_S10_S11_S12_S16_S17_S18_S1B_S1C_jS1D_jS1E_S1E_jjS1G_bEUljE0_EEESZ_S10_S11_S18_S1C_S1E_T6_T7_T9_mT8_S1G_bDpT10_ENKUlT_T0_E_clISt17integral_constantIbLb1EES1U_EEDaS1P_S1Q_EUlS1P_E_NS1_11comp_targetILNS1_3genE9ELNS1_11target_archE1100ELNS1_3gpuE3ELNS1_3repE0EEENS1_30default_config_static_selectorELNS0_4arch9wavefront6targetE0EEEvS12_,@function
_ZN7rocprim17ROCPRIM_400000_NS6detail17trampoline_kernelINS0_13select_configILj256ELj13ELNS0_17block_load_methodE3ELS4_3ELS4_3ELNS0_20block_scan_algorithmE0ELj4294967295EEENS1_25partition_config_selectorILNS1_17partition_subalgoE4EjNS0_10empty_typeEbEEZZNS1_14partition_implILS8_4ELb0ES6_15HIP_vector_typeIjLj2EENS0_17counting_iteratorIjlEEPS9_SG_NS0_5tupleIJPjSI_NS0_16reverse_iteratorISI_EEEEENSH_IJSG_SG_SG_EEES9_SI_JZNS1_25segmented_radix_sort_implINS0_14default_configELb1EPKsPsPKlPlN2at6native12_GLOBAL__N_18offset_tEEE10hipError_tPvRmT1_PNSt15iterator_traitsIS12_E10value_typeET2_T3_PNS13_IS18_E10value_typeET4_jRbjT5_S1E_jjP12ihipStream_tbEUljE_ZNSN_ISO_Lb1ESQ_SR_ST_SU_SY_EESZ_S10_S11_S12_S16_S17_S18_S1B_S1C_jS1D_jS1E_S1E_jjS1G_bEUljE0_EEESZ_S10_S11_S18_S1C_S1E_T6_T7_T9_mT8_S1G_bDpT10_ENKUlT_T0_E_clISt17integral_constantIbLb1EES1U_EEDaS1P_S1Q_EUlS1P_E_NS1_11comp_targetILNS1_3genE9ELNS1_11target_archE1100ELNS1_3gpuE3ELNS1_3repE0EEENS1_30default_config_static_selectorELNS0_4arch9wavefront6targetE0EEEvS12_: ; @_ZN7rocprim17ROCPRIM_400000_NS6detail17trampoline_kernelINS0_13select_configILj256ELj13ELNS0_17block_load_methodE3ELS4_3ELS4_3ELNS0_20block_scan_algorithmE0ELj4294967295EEENS1_25partition_config_selectorILNS1_17partition_subalgoE4EjNS0_10empty_typeEbEEZZNS1_14partition_implILS8_4ELb0ES6_15HIP_vector_typeIjLj2EENS0_17counting_iteratorIjlEEPS9_SG_NS0_5tupleIJPjSI_NS0_16reverse_iteratorISI_EEEEENSH_IJSG_SG_SG_EEES9_SI_JZNS1_25segmented_radix_sort_implINS0_14default_configELb1EPKsPsPKlPlN2at6native12_GLOBAL__N_18offset_tEEE10hipError_tPvRmT1_PNSt15iterator_traitsIS12_E10value_typeET2_T3_PNS13_IS18_E10value_typeET4_jRbjT5_S1E_jjP12ihipStream_tbEUljE_ZNSN_ISO_Lb1ESQ_SR_ST_SU_SY_EESZ_S10_S11_S12_S16_S17_S18_S1B_S1C_jS1D_jS1E_S1E_jjS1G_bEUljE0_EEESZ_S10_S11_S18_S1C_S1E_T6_T7_T9_mT8_S1G_bDpT10_ENKUlT_T0_E_clISt17integral_constantIbLb1EES1U_EEDaS1P_S1Q_EUlS1P_E_NS1_11comp_targetILNS1_3genE9ELNS1_11target_archE1100ELNS1_3gpuE3ELNS1_3repE0EEENS1_30default_config_static_selectorELNS0_4arch9wavefront6targetE0EEEvS12_
; %bb.0:
	.section	.rodata,"a",@progbits
	.p2align	6, 0x0
	.amdhsa_kernel _ZN7rocprim17ROCPRIM_400000_NS6detail17trampoline_kernelINS0_13select_configILj256ELj13ELNS0_17block_load_methodE3ELS4_3ELS4_3ELNS0_20block_scan_algorithmE0ELj4294967295EEENS1_25partition_config_selectorILNS1_17partition_subalgoE4EjNS0_10empty_typeEbEEZZNS1_14partition_implILS8_4ELb0ES6_15HIP_vector_typeIjLj2EENS0_17counting_iteratorIjlEEPS9_SG_NS0_5tupleIJPjSI_NS0_16reverse_iteratorISI_EEEEENSH_IJSG_SG_SG_EEES9_SI_JZNS1_25segmented_radix_sort_implINS0_14default_configELb1EPKsPsPKlPlN2at6native12_GLOBAL__N_18offset_tEEE10hipError_tPvRmT1_PNSt15iterator_traitsIS12_E10value_typeET2_T3_PNS13_IS18_E10value_typeET4_jRbjT5_S1E_jjP12ihipStream_tbEUljE_ZNSN_ISO_Lb1ESQ_SR_ST_SU_SY_EESZ_S10_S11_S12_S16_S17_S18_S1B_S1C_jS1D_jS1E_S1E_jjS1G_bEUljE0_EEESZ_S10_S11_S18_S1C_S1E_T6_T7_T9_mT8_S1G_bDpT10_ENKUlT_T0_E_clISt17integral_constantIbLb1EES1U_EEDaS1P_S1Q_EUlS1P_E_NS1_11comp_targetILNS1_3genE9ELNS1_11target_archE1100ELNS1_3gpuE3ELNS1_3repE0EEENS1_30default_config_static_selectorELNS0_4arch9wavefront6targetE0EEEvS12_
		.amdhsa_group_segment_fixed_size 0
		.amdhsa_private_segment_fixed_size 0
		.amdhsa_kernarg_size 184
		.amdhsa_user_sgpr_count 6
		.amdhsa_user_sgpr_private_segment_buffer 1
		.amdhsa_user_sgpr_dispatch_ptr 0
		.amdhsa_user_sgpr_queue_ptr 0
		.amdhsa_user_sgpr_kernarg_segment_ptr 1
		.amdhsa_user_sgpr_dispatch_id 0
		.amdhsa_user_sgpr_flat_scratch_init 0
		.amdhsa_user_sgpr_private_segment_size 0
		.amdhsa_wavefront_size32 1
		.amdhsa_uses_dynamic_stack 0
		.amdhsa_system_sgpr_private_segment_wavefront_offset 0
		.amdhsa_system_sgpr_workgroup_id_x 1
		.amdhsa_system_sgpr_workgroup_id_y 0
		.amdhsa_system_sgpr_workgroup_id_z 0
		.amdhsa_system_sgpr_workgroup_info 0
		.amdhsa_system_vgpr_workitem_id 0
		.amdhsa_next_free_vgpr 1
		.amdhsa_next_free_sgpr 1
		.amdhsa_reserve_vcc 0
		.amdhsa_reserve_flat_scratch 0
		.amdhsa_float_round_mode_32 0
		.amdhsa_float_round_mode_16_64 0
		.amdhsa_float_denorm_mode_32 3
		.amdhsa_float_denorm_mode_16_64 3
		.amdhsa_dx10_clamp 1
		.amdhsa_ieee_mode 1
		.amdhsa_fp16_overflow 0
		.amdhsa_workgroup_processor_mode 1
		.amdhsa_memory_ordered 1
		.amdhsa_forward_progress 1
		.amdhsa_shared_vgpr_count 0
		.amdhsa_exception_fp_ieee_invalid_op 0
		.amdhsa_exception_fp_denorm_src 0
		.amdhsa_exception_fp_ieee_div_zero 0
		.amdhsa_exception_fp_ieee_overflow 0
		.amdhsa_exception_fp_ieee_underflow 0
		.amdhsa_exception_fp_ieee_inexact 0
		.amdhsa_exception_int_div_zero 0
	.end_amdhsa_kernel
	.section	.text._ZN7rocprim17ROCPRIM_400000_NS6detail17trampoline_kernelINS0_13select_configILj256ELj13ELNS0_17block_load_methodE3ELS4_3ELS4_3ELNS0_20block_scan_algorithmE0ELj4294967295EEENS1_25partition_config_selectorILNS1_17partition_subalgoE4EjNS0_10empty_typeEbEEZZNS1_14partition_implILS8_4ELb0ES6_15HIP_vector_typeIjLj2EENS0_17counting_iteratorIjlEEPS9_SG_NS0_5tupleIJPjSI_NS0_16reverse_iteratorISI_EEEEENSH_IJSG_SG_SG_EEES9_SI_JZNS1_25segmented_radix_sort_implINS0_14default_configELb1EPKsPsPKlPlN2at6native12_GLOBAL__N_18offset_tEEE10hipError_tPvRmT1_PNSt15iterator_traitsIS12_E10value_typeET2_T3_PNS13_IS18_E10value_typeET4_jRbjT5_S1E_jjP12ihipStream_tbEUljE_ZNSN_ISO_Lb1ESQ_SR_ST_SU_SY_EESZ_S10_S11_S12_S16_S17_S18_S1B_S1C_jS1D_jS1E_S1E_jjS1G_bEUljE0_EEESZ_S10_S11_S18_S1C_S1E_T6_T7_T9_mT8_S1G_bDpT10_ENKUlT_T0_E_clISt17integral_constantIbLb1EES1U_EEDaS1P_S1Q_EUlS1P_E_NS1_11comp_targetILNS1_3genE9ELNS1_11target_archE1100ELNS1_3gpuE3ELNS1_3repE0EEENS1_30default_config_static_selectorELNS0_4arch9wavefront6targetE0EEEvS12_,"axG",@progbits,_ZN7rocprim17ROCPRIM_400000_NS6detail17trampoline_kernelINS0_13select_configILj256ELj13ELNS0_17block_load_methodE3ELS4_3ELS4_3ELNS0_20block_scan_algorithmE0ELj4294967295EEENS1_25partition_config_selectorILNS1_17partition_subalgoE4EjNS0_10empty_typeEbEEZZNS1_14partition_implILS8_4ELb0ES6_15HIP_vector_typeIjLj2EENS0_17counting_iteratorIjlEEPS9_SG_NS0_5tupleIJPjSI_NS0_16reverse_iteratorISI_EEEEENSH_IJSG_SG_SG_EEES9_SI_JZNS1_25segmented_radix_sort_implINS0_14default_configELb1EPKsPsPKlPlN2at6native12_GLOBAL__N_18offset_tEEE10hipError_tPvRmT1_PNSt15iterator_traitsIS12_E10value_typeET2_T3_PNS13_IS18_E10value_typeET4_jRbjT5_S1E_jjP12ihipStream_tbEUljE_ZNSN_ISO_Lb1ESQ_SR_ST_SU_SY_EESZ_S10_S11_S12_S16_S17_S18_S1B_S1C_jS1D_jS1E_S1E_jjS1G_bEUljE0_EEESZ_S10_S11_S18_S1C_S1E_T6_T7_T9_mT8_S1G_bDpT10_ENKUlT_T0_E_clISt17integral_constantIbLb1EES1U_EEDaS1P_S1Q_EUlS1P_E_NS1_11comp_targetILNS1_3genE9ELNS1_11target_archE1100ELNS1_3gpuE3ELNS1_3repE0EEENS1_30default_config_static_selectorELNS0_4arch9wavefront6targetE0EEEvS12_,comdat
.Lfunc_end855:
	.size	_ZN7rocprim17ROCPRIM_400000_NS6detail17trampoline_kernelINS0_13select_configILj256ELj13ELNS0_17block_load_methodE3ELS4_3ELS4_3ELNS0_20block_scan_algorithmE0ELj4294967295EEENS1_25partition_config_selectorILNS1_17partition_subalgoE4EjNS0_10empty_typeEbEEZZNS1_14partition_implILS8_4ELb0ES6_15HIP_vector_typeIjLj2EENS0_17counting_iteratorIjlEEPS9_SG_NS0_5tupleIJPjSI_NS0_16reverse_iteratorISI_EEEEENSH_IJSG_SG_SG_EEES9_SI_JZNS1_25segmented_radix_sort_implINS0_14default_configELb1EPKsPsPKlPlN2at6native12_GLOBAL__N_18offset_tEEE10hipError_tPvRmT1_PNSt15iterator_traitsIS12_E10value_typeET2_T3_PNS13_IS18_E10value_typeET4_jRbjT5_S1E_jjP12ihipStream_tbEUljE_ZNSN_ISO_Lb1ESQ_SR_ST_SU_SY_EESZ_S10_S11_S12_S16_S17_S18_S1B_S1C_jS1D_jS1E_S1E_jjS1G_bEUljE0_EEESZ_S10_S11_S18_S1C_S1E_T6_T7_T9_mT8_S1G_bDpT10_ENKUlT_T0_E_clISt17integral_constantIbLb1EES1U_EEDaS1P_S1Q_EUlS1P_E_NS1_11comp_targetILNS1_3genE9ELNS1_11target_archE1100ELNS1_3gpuE3ELNS1_3repE0EEENS1_30default_config_static_selectorELNS0_4arch9wavefront6targetE0EEEvS12_, .Lfunc_end855-_ZN7rocprim17ROCPRIM_400000_NS6detail17trampoline_kernelINS0_13select_configILj256ELj13ELNS0_17block_load_methodE3ELS4_3ELS4_3ELNS0_20block_scan_algorithmE0ELj4294967295EEENS1_25partition_config_selectorILNS1_17partition_subalgoE4EjNS0_10empty_typeEbEEZZNS1_14partition_implILS8_4ELb0ES6_15HIP_vector_typeIjLj2EENS0_17counting_iteratorIjlEEPS9_SG_NS0_5tupleIJPjSI_NS0_16reverse_iteratorISI_EEEEENSH_IJSG_SG_SG_EEES9_SI_JZNS1_25segmented_radix_sort_implINS0_14default_configELb1EPKsPsPKlPlN2at6native12_GLOBAL__N_18offset_tEEE10hipError_tPvRmT1_PNSt15iterator_traitsIS12_E10value_typeET2_T3_PNS13_IS18_E10value_typeET4_jRbjT5_S1E_jjP12ihipStream_tbEUljE_ZNSN_ISO_Lb1ESQ_SR_ST_SU_SY_EESZ_S10_S11_S12_S16_S17_S18_S1B_S1C_jS1D_jS1E_S1E_jjS1G_bEUljE0_EEESZ_S10_S11_S18_S1C_S1E_T6_T7_T9_mT8_S1G_bDpT10_ENKUlT_T0_E_clISt17integral_constantIbLb1EES1U_EEDaS1P_S1Q_EUlS1P_E_NS1_11comp_targetILNS1_3genE9ELNS1_11target_archE1100ELNS1_3gpuE3ELNS1_3repE0EEENS1_30default_config_static_selectorELNS0_4arch9wavefront6targetE0EEEvS12_
                                        ; -- End function
	.set _ZN7rocprim17ROCPRIM_400000_NS6detail17trampoline_kernelINS0_13select_configILj256ELj13ELNS0_17block_load_methodE3ELS4_3ELS4_3ELNS0_20block_scan_algorithmE0ELj4294967295EEENS1_25partition_config_selectorILNS1_17partition_subalgoE4EjNS0_10empty_typeEbEEZZNS1_14partition_implILS8_4ELb0ES6_15HIP_vector_typeIjLj2EENS0_17counting_iteratorIjlEEPS9_SG_NS0_5tupleIJPjSI_NS0_16reverse_iteratorISI_EEEEENSH_IJSG_SG_SG_EEES9_SI_JZNS1_25segmented_radix_sort_implINS0_14default_configELb1EPKsPsPKlPlN2at6native12_GLOBAL__N_18offset_tEEE10hipError_tPvRmT1_PNSt15iterator_traitsIS12_E10value_typeET2_T3_PNS13_IS18_E10value_typeET4_jRbjT5_S1E_jjP12ihipStream_tbEUljE_ZNSN_ISO_Lb1ESQ_SR_ST_SU_SY_EESZ_S10_S11_S12_S16_S17_S18_S1B_S1C_jS1D_jS1E_S1E_jjS1G_bEUljE0_EEESZ_S10_S11_S18_S1C_S1E_T6_T7_T9_mT8_S1G_bDpT10_ENKUlT_T0_E_clISt17integral_constantIbLb1EES1U_EEDaS1P_S1Q_EUlS1P_E_NS1_11comp_targetILNS1_3genE9ELNS1_11target_archE1100ELNS1_3gpuE3ELNS1_3repE0EEENS1_30default_config_static_selectorELNS0_4arch9wavefront6targetE0EEEvS12_.num_vgpr, 0
	.set _ZN7rocprim17ROCPRIM_400000_NS6detail17trampoline_kernelINS0_13select_configILj256ELj13ELNS0_17block_load_methodE3ELS4_3ELS4_3ELNS0_20block_scan_algorithmE0ELj4294967295EEENS1_25partition_config_selectorILNS1_17partition_subalgoE4EjNS0_10empty_typeEbEEZZNS1_14partition_implILS8_4ELb0ES6_15HIP_vector_typeIjLj2EENS0_17counting_iteratorIjlEEPS9_SG_NS0_5tupleIJPjSI_NS0_16reverse_iteratorISI_EEEEENSH_IJSG_SG_SG_EEES9_SI_JZNS1_25segmented_radix_sort_implINS0_14default_configELb1EPKsPsPKlPlN2at6native12_GLOBAL__N_18offset_tEEE10hipError_tPvRmT1_PNSt15iterator_traitsIS12_E10value_typeET2_T3_PNS13_IS18_E10value_typeET4_jRbjT5_S1E_jjP12ihipStream_tbEUljE_ZNSN_ISO_Lb1ESQ_SR_ST_SU_SY_EESZ_S10_S11_S12_S16_S17_S18_S1B_S1C_jS1D_jS1E_S1E_jjS1G_bEUljE0_EEESZ_S10_S11_S18_S1C_S1E_T6_T7_T9_mT8_S1G_bDpT10_ENKUlT_T0_E_clISt17integral_constantIbLb1EES1U_EEDaS1P_S1Q_EUlS1P_E_NS1_11comp_targetILNS1_3genE9ELNS1_11target_archE1100ELNS1_3gpuE3ELNS1_3repE0EEENS1_30default_config_static_selectorELNS0_4arch9wavefront6targetE0EEEvS12_.num_agpr, 0
	.set _ZN7rocprim17ROCPRIM_400000_NS6detail17trampoline_kernelINS0_13select_configILj256ELj13ELNS0_17block_load_methodE3ELS4_3ELS4_3ELNS0_20block_scan_algorithmE0ELj4294967295EEENS1_25partition_config_selectorILNS1_17partition_subalgoE4EjNS0_10empty_typeEbEEZZNS1_14partition_implILS8_4ELb0ES6_15HIP_vector_typeIjLj2EENS0_17counting_iteratorIjlEEPS9_SG_NS0_5tupleIJPjSI_NS0_16reverse_iteratorISI_EEEEENSH_IJSG_SG_SG_EEES9_SI_JZNS1_25segmented_radix_sort_implINS0_14default_configELb1EPKsPsPKlPlN2at6native12_GLOBAL__N_18offset_tEEE10hipError_tPvRmT1_PNSt15iterator_traitsIS12_E10value_typeET2_T3_PNS13_IS18_E10value_typeET4_jRbjT5_S1E_jjP12ihipStream_tbEUljE_ZNSN_ISO_Lb1ESQ_SR_ST_SU_SY_EESZ_S10_S11_S12_S16_S17_S18_S1B_S1C_jS1D_jS1E_S1E_jjS1G_bEUljE0_EEESZ_S10_S11_S18_S1C_S1E_T6_T7_T9_mT8_S1G_bDpT10_ENKUlT_T0_E_clISt17integral_constantIbLb1EES1U_EEDaS1P_S1Q_EUlS1P_E_NS1_11comp_targetILNS1_3genE9ELNS1_11target_archE1100ELNS1_3gpuE3ELNS1_3repE0EEENS1_30default_config_static_selectorELNS0_4arch9wavefront6targetE0EEEvS12_.numbered_sgpr, 0
	.set _ZN7rocprim17ROCPRIM_400000_NS6detail17trampoline_kernelINS0_13select_configILj256ELj13ELNS0_17block_load_methodE3ELS4_3ELS4_3ELNS0_20block_scan_algorithmE0ELj4294967295EEENS1_25partition_config_selectorILNS1_17partition_subalgoE4EjNS0_10empty_typeEbEEZZNS1_14partition_implILS8_4ELb0ES6_15HIP_vector_typeIjLj2EENS0_17counting_iteratorIjlEEPS9_SG_NS0_5tupleIJPjSI_NS0_16reverse_iteratorISI_EEEEENSH_IJSG_SG_SG_EEES9_SI_JZNS1_25segmented_radix_sort_implINS0_14default_configELb1EPKsPsPKlPlN2at6native12_GLOBAL__N_18offset_tEEE10hipError_tPvRmT1_PNSt15iterator_traitsIS12_E10value_typeET2_T3_PNS13_IS18_E10value_typeET4_jRbjT5_S1E_jjP12ihipStream_tbEUljE_ZNSN_ISO_Lb1ESQ_SR_ST_SU_SY_EESZ_S10_S11_S12_S16_S17_S18_S1B_S1C_jS1D_jS1E_S1E_jjS1G_bEUljE0_EEESZ_S10_S11_S18_S1C_S1E_T6_T7_T9_mT8_S1G_bDpT10_ENKUlT_T0_E_clISt17integral_constantIbLb1EES1U_EEDaS1P_S1Q_EUlS1P_E_NS1_11comp_targetILNS1_3genE9ELNS1_11target_archE1100ELNS1_3gpuE3ELNS1_3repE0EEENS1_30default_config_static_selectorELNS0_4arch9wavefront6targetE0EEEvS12_.num_named_barrier, 0
	.set _ZN7rocprim17ROCPRIM_400000_NS6detail17trampoline_kernelINS0_13select_configILj256ELj13ELNS0_17block_load_methodE3ELS4_3ELS4_3ELNS0_20block_scan_algorithmE0ELj4294967295EEENS1_25partition_config_selectorILNS1_17partition_subalgoE4EjNS0_10empty_typeEbEEZZNS1_14partition_implILS8_4ELb0ES6_15HIP_vector_typeIjLj2EENS0_17counting_iteratorIjlEEPS9_SG_NS0_5tupleIJPjSI_NS0_16reverse_iteratorISI_EEEEENSH_IJSG_SG_SG_EEES9_SI_JZNS1_25segmented_radix_sort_implINS0_14default_configELb1EPKsPsPKlPlN2at6native12_GLOBAL__N_18offset_tEEE10hipError_tPvRmT1_PNSt15iterator_traitsIS12_E10value_typeET2_T3_PNS13_IS18_E10value_typeET4_jRbjT5_S1E_jjP12ihipStream_tbEUljE_ZNSN_ISO_Lb1ESQ_SR_ST_SU_SY_EESZ_S10_S11_S12_S16_S17_S18_S1B_S1C_jS1D_jS1E_S1E_jjS1G_bEUljE0_EEESZ_S10_S11_S18_S1C_S1E_T6_T7_T9_mT8_S1G_bDpT10_ENKUlT_T0_E_clISt17integral_constantIbLb1EES1U_EEDaS1P_S1Q_EUlS1P_E_NS1_11comp_targetILNS1_3genE9ELNS1_11target_archE1100ELNS1_3gpuE3ELNS1_3repE0EEENS1_30default_config_static_selectorELNS0_4arch9wavefront6targetE0EEEvS12_.private_seg_size, 0
	.set _ZN7rocprim17ROCPRIM_400000_NS6detail17trampoline_kernelINS0_13select_configILj256ELj13ELNS0_17block_load_methodE3ELS4_3ELS4_3ELNS0_20block_scan_algorithmE0ELj4294967295EEENS1_25partition_config_selectorILNS1_17partition_subalgoE4EjNS0_10empty_typeEbEEZZNS1_14partition_implILS8_4ELb0ES6_15HIP_vector_typeIjLj2EENS0_17counting_iteratorIjlEEPS9_SG_NS0_5tupleIJPjSI_NS0_16reverse_iteratorISI_EEEEENSH_IJSG_SG_SG_EEES9_SI_JZNS1_25segmented_radix_sort_implINS0_14default_configELb1EPKsPsPKlPlN2at6native12_GLOBAL__N_18offset_tEEE10hipError_tPvRmT1_PNSt15iterator_traitsIS12_E10value_typeET2_T3_PNS13_IS18_E10value_typeET4_jRbjT5_S1E_jjP12ihipStream_tbEUljE_ZNSN_ISO_Lb1ESQ_SR_ST_SU_SY_EESZ_S10_S11_S12_S16_S17_S18_S1B_S1C_jS1D_jS1E_S1E_jjS1G_bEUljE0_EEESZ_S10_S11_S18_S1C_S1E_T6_T7_T9_mT8_S1G_bDpT10_ENKUlT_T0_E_clISt17integral_constantIbLb1EES1U_EEDaS1P_S1Q_EUlS1P_E_NS1_11comp_targetILNS1_3genE9ELNS1_11target_archE1100ELNS1_3gpuE3ELNS1_3repE0EEENS1_30default_config_static_selectorELNS0_4arch9wavefront6targetE0EEEvS12_.uses_vcc, 0
	.set _ZN7rocprim17ROCPRIM_400000_NS6detail17trampoline_kernelINS0_13select_configILj256ELj13ELNS0_17block_load_methodE3ELS4_3ELS4_3ELNS0_20block_scan_algorithmE0ELj4294967295EEENS1_25partition_config_selectorILNS1_17partition_subalgoE4EjNS0_10empty_typeEbEEZZNS1_14partition_implILS8_4ELb0ES6_15HIP_vector_typeIjLj2EENS0_17counting_iteratorIjlEEPS9_SG_NS0_5tupleIJPjSI_NS0_16reverse_iteratorISI_EEEEENSH_IJSG_SG_SG_EEES9_SI_JZNS1_25segmented_radix_sort_implINS0_14default_configELb1EPKsPsPKlPlN2at6native12_GLOBAL__N_18offset_tEEE10hipError_tPvRmT1_PNSt15iterator_traitsIS12_E10value_typeET2_T3_PNS13_IS18_E10value_typeET4_jRbjT5_S1E_jjP12ihipStream_tbEUljE_ZNSN_ISO_Lb1ESQ_SR_ST_SU_SY_EESZ_S10_S11_S12_S16_S17_S18_S1B_S1C_jS1D_jS1E_S1E_jjS1G_bEUljE0_EEESZ_S10_S11_S18_S1C_S1E_T6_T7_T9_mT8_S1G_bDpT10_ENKUlT_T0_E_clISt17integral_constantIbLb1EES1U_EEDaS1P_S1Q_EUlS1P_E_NS1_11comp_targetILNS1_3genE9ELNS1_11target_archE1100ELNS1_3gpuE3ELNS1_3repE0EEENS1_30default_config_static_selectorELNS0_4arch9wavefront6targetE0EEEvS12_.uses_flat_scratch, 0
	.set _ZN7rocprim17ROCPRIM_400000_NS6detail17trampoline_kernelINS0_13select_configILj256ELj13ELNS0_17block_load_methodE3ELS4_3ELS4_3ELNS0_20block_scan_algorithmE0ELj4294967295EEENS1_25partition_config_selectorILNS1_17partition_subalgoE4EjNS0_10empty_typeEbEEZZNS1_14partition_implILS8_4ELb0ES6_15HIP_vector_typeIjLj2EENS0_17counting_iteratorIjlEEPS9_SG_NS0_5tupleIJPjSI_NS0_16reverse_iteratorISI_EEEEENSH_IJSG_SG_SG_EEES9_SI_JZNS1_25segmented_radix_sort_implINS0_14default_configELb1EPKsPsPKlPlN2at6native12_GLOBAL__N_18offset_tEEE10hipError_tPvRmT1_PNSt15iterator_traitsIS12_E10value_typeET2_T3_PNS13_IS18_E10value_typeET4_jRbjT5_S1E_jjP12ihipStream_tbEUljE_ZNSN_ISO_Lb1ESQ_SR_ST_SU_SY_EESZ_S10_S11_S12_S16_S17_S18_S1B_S1C_jS1D_jS1E_S1E_jjS1G_bEUljE0_EEESZ_S10_S11_S18_S1C_S1E_T6_T7_T9_mT8_S1G_bDpT10_ENKUlT_T0_E_clISt17integral_constantIbLb1EES1U_EEDaS1P_S1Q_EUlS1P_E_NS1_11comp_targetILNS1_3genE9ELNS1_11target_archE1100ELNS1_3gpuE3ELNS1_3repE0EEENS1_30default_config_static_selectorELNS0_4arch9wavefront6targetE0EEEvS12_.has_dyn_sized_stack, 0
	.set _ZN7rocprim17ROCPRIM_400000_NS6detail17trampoline_kernelINS0_13select_configILj256ELj13ELNS0_17block_load_methodE3ELS4_3ELS4_3ELNS0_20block_scan_algorithmE0ELj4294967295EEENS1_25partition_config_selectorILNS1_17partition_subalgoE4EjNS0_10empty_typeEbEEZZNS1_14partition_implILS8_4ELb0ES6_15HIP_vector_typeIjLj2EENS0_17counting_iteratorIjlEEPS9_SG_NS0_5tupleIJPjSI_NS0_16reverse_iteratorISI_EEEEENSH_IJSG_SG_SG_EEES9_SI_JZNS1_25segmented_radix_sort_implINS0_14default_configELb1EPKsPsPKlPlN2at6native12_GLOBAL__N_18offset_tEEE10hipError_tPvRmT1_PNSt15iterator_traitsIS12_E10value_typeET2_T3_PNS13_IS18_E10value_typeET4_jRbjT5_S1E_jjP12ihipStream_tbEUljE_ZNSN_ISO_Lb1ESQ_SR_ST_SU_SY_EESZ_S10_S11_S12_S16_S17_S18_S1B_S1C_jS1D_jS1E_S1E_jjS1G_bEUljE0_EEESZ_S10_S11_S18_S1C_S1E_T6_T7_T9_mT8_S1G_bDpT10_ENKUlT_T0_E_clISt17integral_constantIbLb1EES1U_EEDaS1P_S1Q_EUlS1P_E_NS1_11comp_targetILNS1_3genE9ELNS1_11target_archE1100ELNS1_3gpuE3ELNS1_3repE0EEENS1_30default_config_static_selectorELNS0_4arch9wavefront6targetE0EEEvS12_.has_recursion, 0
	.set _ZN7rocprim17ROCPRIM_400000_NS6detail17trampoline_kernelINS0_13select_configILj256ELj13ELNS0_17block_load_methodE3ELS4_3ELS4_3ELNS0_20block_scan_algorithmE0ELj4294967295EEENS1_25partition_config_selectorILNS1_17partition_subalgoE4EjNS0_10empty_typeEbEEZZNS1_14partition_implILS8_4ELb0ES6_15HIP_vector_typeIjLj2EENS0_17counting_iteratorIjlEEPS9_SG_NS0_5tupleIJPjSI_NS0_16reverse_iteratorISI_EEEEENSH_IJSG_SG_SG_EEES9_SI_JZNS1_25segmented_radix_sort_implINS0_14default_configELb1EPKsPsPKlPlN2at6native12_GLOBAL__N_18offset_tEEE10hipError_tPvRmT1_PNSt15iterator_traitsIS12_E10value_typeET2_T3_PNS13_IS18_E10value_typeET4_jRbjT5_S1E_jjP12ihipStream_tbEUljE_ZNSN_ISO_Lb1ESQ_SR_ST_SU_SY_EESZ_S10_S11_S12_S16_S17_S18_S1B_S1C_jS1D_jS1E_S1E_jjS1G_bEUljE0_EEESZ_S10_S11_S18_S1C_S1E_T6_T7_T9_mT8_S1G_bDpT10_ENKUlT_T0_E_clISt17integral_constantIbLb1EES1U_EEDaS1P_S1Q_EUlS1P_E_NS1_11comp_targetILNS1_3genE9ELNS1_11target_archE1100ELNS1_3gpuE3ELNS1_3repE0EEENS1_30default_config_static_selectorELNS0_4arch9wavefront6targetE0EEEvS12_.has_indirect_call, 0
	.section	.AMDGPU.csdata,"",@progbits
; Kernel info:
; codeLenInByte = 0
; TotalNumSgprs: 0
; NumVgprs: 0
; ScratchSize: 0
; MemoryBound: 0
; FloatMode: 240
; IeeeMode: 1
; LDSByteSize: 0 bytes/workgroup (compile time only)
; SGPRBlocks: 0
; VGPRBlocks: 0
; NumSGPRsForWavesPerEU: 1
; NumVGPRsForWavesPerEU: 1
; Occupancy: 16
; WaveLimiterHint : 0
; COMPUTE_PGM_RSRC2:SCRATCH_EN: 0
; COMPUTE_PGM_RSRC2:USER_SGPR: 6
; COMPUTE_PGM_RSRC2:TRAP_HANDLER: 0
; COMPUTE_PGM_RSRC2:TGID_X_EN: 1
; COMPUTE_PGM_RSRC2:TGID_Y_EN: 0
; COMPUTE_PGM_RSRC2:TGID_Z_EN: 0
; COMPUTE_PGM_RSRC2:TIDIG_COMP_CNT: 0
	.section	.text._ZN7rocprim17ROCPRIM_400000_NS6detail17trampoline_kernelINS0_13select_configILj256ELj13ELNS0_17block_load_methodE3ELS4_3ELS4_3ELNS0_20block_scan_algorithmE0ELj4294967295EEENS1_25partition_config_selectorILNS1_17partition_subalgoE4EjNS0_10empty_typeEbEEZZNS1_14partition_implILS8_4ELb0ES6_15HIP_vector_typeIjLj2EENS0_17counting_iteratorIjlEEPS9_SG_NS0_5tupleIJPjSI_NS0_16reverse_iteratorISI_EEEEENSH_IJSG_SG_SG_EEES9_SI_JZNS1_25segmented_radix_sort_implINS0_14default_configELb1EPKsPsPKlPlN2at6native12_GLOBAL__N_18offset_tEEE10hipError_tPvRmT1_PNSt15iterator_traitsIS12_E10value_typeET2_T3_PNS13_IS18_E10value_typeET4_jRbjT5_S1E_jjP12ihipStream_tbEUljE_ZNSN_ISO_Lb1ESQ_SR_ST_SU_SY_EESZ_S10_S11_S12_S16_S17_S18_S1B_S1C_jS1D_jS1E_S1E_jjS1G_bEUljE0_EEESZ_S10_S11_S18_S1C_S1E_T6_T7_T9_mT8_S1G_bDpT10_ENKUlT_T0_E_clISt17integral_constantIbLb1EES1U_EEDaS1P_S1Q_EUlS1P_E_NS1_11comp_targetILNS1_3genE8ELNS1_11target_archE1030ELNS1_3gpuE2ELNS1_3repE0EEENS1_30default_config_static_selectorELNS0_4arch9wavefront6targetE0EEEvS12_,"axG",@progbits,_ZN7rocprim17ROCPRIM_400000_NS6detail17trampoline_kernelINS0_13select_configILj256ELj13ELNS0_17block_load_methodE3ELS4_3ELS4_3ELNS0_20block_scan_algorithmE0ELj4294967295EEENS1_25partition_config_selectorILNS1_17partition_subalgoE4EjNS0_10empty_typeEbEEZZNS1_14partition_implILS8_4ELb0ES6_15HIP_vector_typeIjLj2EENS0_17counting_iteratorIjlEEPS9_SG_NS0_5tupleIJPjSI_NS0_16reverse_iteratorISI_EEEEENSH_IJSG_SG_SG_EEES9_SI_JZNS1_25segmented_radix_sort_implINS0_14default_configELb1EPKsPsPKlPlN2at6native12_GLOBAL__N_18offset_tEEE10hipError_tPvRmT1_PNSt15iterator_traitsIS12_E10value_typeET2_T3_PNS13_IS18_E10value_typeET4_jRbjT5_S1E_jjP12ihipStream_tbEUljE_ZNSN_ISO_Lb1ESQ_SR_ST_SU_SY_EESZ_S10_S11_S12_S16_S17_S18_S1B_S1C_jS1D_jS1E_S1E_jjS1G_bEUljE0_EEESZ_S10_S11_S18_S1C_S1E_T6_T7_T9_mT8_S1G_bDpT10_ENKUlT_T0_E_clISt17integral_constantIbLb1EES1U_EEDaS1P_S1Q_EUlS1P_E_NS1_11comp_targetILNS1_3genE8ELNS1_11target_archE1030ELNS1_3gpuE2ELNS1_3repE0EEENS1_30default_config_static_selectorELNS0_4arch9wavefront6targetE0EEEvS12_,comdat
	.globl	_ZN7rocprim17ROCPRIM_400000_NS6detail17trampoline_kernelINS0_13select_configILj256ELj13ELNS0_17block_load_methodE3ELS4_3ELS4_3ELNS0_20block_scan_algorithmE0ELj4294967295EEENS1_25partition_config_selectorILNS1_17partition_subalgoE4EjNS0_10empty_typeEbEEZZNS1_14partition_implILS8_4ELb0ES6_15HIP_vector_typeIjLj2EENS0_17counting_iteratorIjlEEPS9_SG_NS0_5tupleIJPjSI_NS0_16reverse_iteratorISI_EEEEENSH_IJSG_SG_SG_EEES9_SI_JZNS1_25segmented_radix_sort_implINS0_14default_configELb1EPKsPsPKlPlN2at6native12_GLOBAL__N_18offset_tEEE10hipError_tPvRmT1_PNSt15iterator_traitsIS12_E10value_typeET2_T3_PNS13_IS18_E10value_typeET4_jRbjT5_S1E_jjP12ihipStream_tbEUljE_ZNSN_ISO_Lb1ESQ_SR_ST_SU_SY_EESZ_S10_S11_S12_S16_S17_S18_S1B_S1C_jS1D_jS1E_S1E_jjS1G_bEUljE0_EEESZ_S10_S11_S18_S1C_S1E_T6_T7_T9_mT8_S1G_bDpT10_ENKUlT_T0_E_clISt17integral_constantIbLb1EES1U_EEDaS1P_S1Q_EUlS1P_E_NS1_11comp_targetILNS1_3genE8ELNS1_11target_archE1030ELNS1_3gpuE2ELNS1_3repE0EEENS1_30default_config_static_selectorELNS0_4arch9wavefront6targetE0EEEvS12_ ; -- Begin function _ZN7rocprim17ROCPRIM_400000_NS6detail17trampoline_kernelINS0_13select_configILj256ELj13ELNS0_17block_load_methodE3ELS4_3ELS4_3ELNS0_20block_scan_algorithmE0ELj4294967295EEENS1_25partition_config_selectorILNS1_17partition_subalgoE4EjNS0_10empty_typeEbEEZZNS1_14partition_implILS8_4ELb0ES6_15HIP_vector_typeIjLj2EENS0_17counting_iteratorIjlEEPS9_SG_NS0_5tupleIJPjSI_NS0_16reverse_iteratorISI_EEEEENSH_IJSG_SG_SG_EEES9_SI_JZNS1_25segmented_radix_sort_implINS0_14default_configELb1EPKsPsPKlPlN2at6native12_GLOBAL__N_18offset_tEEE10hipError_tPvRmT1_PNSt15iterator_traitsIS12_E10value_typeET2_T3_PNS13_IS18_E10value_typeET4_jRbjT5_S1E_jjP12ihipStream_tbEUljE_ZNSN_ISO_Lb1ESQ_SR_ST_SU_SY_EESZ_S10_S11_S12_S16_S17_S18_S1B_S1C_jS1D_jS1E_S1E_jjS1G_bEUljE0_EEESZ_S10_S11_S18_S1C_S1E_T6_T7_T9_mT8_S1G_bDpT10_ENKUlT_T0_E_clISt17integral_constantIbLb1EES1U_EEDaS1P_S1Q_EUlS1P_E_NS1_11comp_targetILNS1_3genE8ELNS1_11target_archE1030ELNS1_3gpuE2ELNS1_3repE0EEENS1_30default_config_static_selectorELNS0_4arch9wavefront6targetE0EEEvS12_
	.p2align	8
	.type	_ZN7rocprim17ROCPRIM_400000_NS6detail17trampoline_kernelINS0_13select_configILj256ELj13ELNS0_17block_load_methodE3ELS4_3ELS4_3ELNS0_20block_scan_algorithmE0ELj4294967295EEENS1_25partition_config_selectorILNS1_17partition_subalgoE4EjNS0_10empty_typeEbEEZZNS1_14partition_implILS8_4ELb0ES6_15HIP_vector_typeIjLj2EENS0_17counting_iteratorIjlEEPS9_SG_NS0_5tupleIJPjSI_NS0_16reverse_iteratorISI_EEEEENSH_IJSG_SG_SG_EEES9_SI_JZNS1_25segmented_radix_sort_implINS0_14default_configELb1EPKsPsPKlPlN2at6native12_GLOBAL__N_18offset_tEEE10hipError_tPvRmT1_PNSt15iterator_traitsIS12_E10value_typeET2_T3_PNS13_IS18_E10value_typeET4_jRbjT5_S1E_jjP12ihipStream_tbEUljE_ZNSN_ISO_Lb1ESQ_SR_ST_SU_SY_EESZ_S10_S11_S12_S16_S17_S18_S1B_S1C_jS1D_jS1E_S1E_jjS1G_bEUljE0_EEESZ_S10_S11_S18_S1C_S1E_T6_T7_T9_mT8_S1G_bDpT10_ENKUlT_T0_E_clISt17integral_constantIbLb1EES1U_EEDaS1P_S1Q_EUlS1P_E_NS1_11comp_targetILNS1_3genE8ELNS1_11target_archE1030ELNS1_3gpuE2ELNS1_3repE0EEENS1_30default_config_static_selectorELNS0_4arch9wavefront6targetE0EEEvS12_,@function
_ZN7rocprim17ROCPRIM_400000_NS6detail17trampoline_kernelINS0_13select_configILj256ELj13ELNS0_17block_load_methodE3ELS4_3ELS4_3ELNS0_20block_scan_algorithmE0ELj4294967295EEENS1_25partition_config_selectorILNS1_17partition_subalgoE4EjNS0_10empty_typeEbEEZZNS1_14partition_implILS8_4ELb0ES6_15HIP_vector_typeIjLj2EENS0_17counting_iteratorIjlEEPS9_SG_NS0_5tupleIJPjSI_NS0_16reverse_iteratorISI_EEEEENSH_IJSG_SG_SG_EEES9_SI_JZNS1_25segmented_radix_sort_implINS0_14default_configELb1EPKsPsPKlPlN2at6native12_GLOBAL__N_18offset_tEEE10hipError_tPvRmT1_PNSt15iterator_traitsIS12_E10value_typeET2_T3_PNS13_IS18_E10value_typeET4_jRbjT5_S1E_jjP12ihipStream_tbEUljE_ZNSN_ISO_Lb1ESQ_SR_ST_SU_SY_EESZ_S10_S11_S12_S16_S17_S18_S1B_S1C_jS1D_jS1E_S1E_jjS1G_bEUljE0_EEESZ_S10_S11_S18_S1C_S1E_T6_T7_T9_mT8_S1G_bDpT10_ENKUlT_T0_E_clISt17integral_constantIbLb1EES1U_EEDaS1P_S1Q_EUlS1P_E_NS1_11comp_targetILNS1_3genE8ELNS1_11target_archE1030ELNS1_3gpuE2ELNS1_3repE0EEENS1_30default_config_static_selectorELNS0_4arch9wavefront6targetE0EEEvS12_: ; @_ZN7rocprim17ROCPRIM_400000_NS6detail17trampoline_kernelINS0_13select_configILj256ELj13ELNS0_17block_load_methodE3ELS4_3ELS4_3ELNS0_20block_scan_algorithmE0ELj4294967295EEENS1_25partition_config_selectorILNS1_17partition_subalgoE4EjNS0_10empty_typeEbEEZZNS1_14partition_implILS8_4ELb0ES6_15HIP_vector_typeIjLj2EENS0_17counting_iteratorIjlEEPS9_SG_NS0_5tupleIJPjSI_NS0_16reverse_iteratorISI_EEEEENSH_IJSG_SG_SG_EEES9_SI_JZNS1_25segmented_radix_sort_implINS0_14default_configELb1EPKsPsPKlPlN2at6native12_GLOBAL__N_18offset_tEEE10hipError_tPvRmT1_PNSt15iterator_traitsIS12_E10value_typeET2_T3_PNS13_IS18_E10value_typeET4_jRbjT5_S1E_jjP12ihipStream_tbEUljE_ZNSN_ISO_Lb1ESQ_SR_ST_SU_SY_EESZ_S10_S11_S12_S16_S17_S18_S1B_S1C_jS1D_jS1E_S1E_jjS1G_bEUljE0_EEESZ_S10_S11_S18_S1C_S1E_T6_T7_T9_mT8_S1G_bDpT10_ENKUlT_T0_E_clISt17integral_constantIbLb1EES1U_EEDaS1P_S1Q_EUlS1P_E_NS1_11comp_targetILNS1_3genE8ELNS1_11target_archE1030ELNS1_3gpuE2ELNS1_3repE0EEENS1_30default_config_static_selectorELNS0_4arch9wavefront6targetE0EEEvS12_
; %bb.0:
	s_endpgm
	.section	.rodata,"a",@progbits
	.p2align	6, 0x0
	.amdhsa_kernel _ZN7rocprim17ROCPRIM_400000_NS6detail17trampoline_kernelINS0_13select_configILj256ELj13ELNS0_17block_load_methodE3ELS4_3ELS4_3ELNS0_20block_scan_algorithmE0ELj4294967295EEENS1_25partition_config_selectorILNS1_17partition_subalgoE4EjNS0_10empty_typeEbEEZZNS1_14partition_implILS8_4ELb0ES6_15HIP_vector_typeIjLj2EENS0_17counting_iteratorIjlEEPS9_SG_NS0_5tupleIJPjSI_NS0_16reverse_iteratorISI_EEEEENSH_IJSG_SG_SG_EEES9_SI_JZNS1_25segmented_radix_sort_implINS0_14default_configELb1EPKsPsPKlPlN2at6native12_GLOBAL__N_18offset_tEEE10hipError_tPvRmT1_PNSt15iterator_traitsIS12_E10value_typeET2_T3_PNS13_IS18_E10value_typeET4_jRbjT5_S1E_jjP12ihipStream_tbEUljE_ZNSN_ISO_Lb1ESQ_SR_ST_SU_SY_EESZ_S10_S11_S12_S16_S17_S18_S1B_S1C_jS1D_jS1E_S1E_jjS1G_bEUljE0_EEESZ_S10_S11_S18_S1C_S1E_T6_T7_T9_mT8_S1G_bDpT10_ENKUlT_T0_E_clISt17integral_constantIbLb1EES1U_EEDaS1P_S1Q_EUlS1P_E_NS1_11comp_targetILNS1_3genE8ELNS1_11target_archE1030ELNS1_3gpuE2ELNS1_3repE0EEENS1_30default_config_static_selectorELNS0_4arch9wavefront6targetE0EEEvS12_
		.amdhsa_group_segment_fixed_size 0
		.amdhsa_private_segment_fixed_size 0
		.amdhsa_kernarg_size 184
		.amdhsa_user_sgpr_count 6
		.amdhsa_user_sgpr_private_segment_buffer 1
		.amdhsa_user_sgpr_dispatch_ptr 0
		.amdhsa_user_sgpr_queue_ptr 0
		.amdhsa_user_sgpr_kernarg_segment_ptr 1
		.amdhsa_user_sgpr_dispatch_id 0
		.amdhsa_user_sgpr_flat_scratch_init 0
		.amdhsa_user_sgpr_private_segment_size 0
		.amdhsa_wavefront_size32 1
		.amdhsa_uses_dynamic_stack 0
		.amdhsa_system_sgpr_private_segment_wavefront_offset 0
		.amdhsa_system_sgpr_workgroup_id_x 1
		.amdhsa_system_sgpr_workgroup_id_y 0
		.amdhsa_system_sgpr_workgroup_id_z 0
		.amdhsa_system_sgpr_workgroup_info 0
		.amdhsa_system_vgpr_workitem_id 0
		.amdhsa_next_free_vgpr 1
		.amdhsa_next_free_sgpr 1
		.amdhsa_reserve_vcc 0
		.amdhsa_reserve_flat_scratch 0
		.amdhsa_float_round_mode_32 0
		.amdhsa_float_round_mode_16_64 0
		.amdhsa_float_denorm_mode_32 3
		.amdhsa_float_denorm_mode_16_64 3
		.amdhsa_dx10_clamp 1
		.amdhsa_ieee_mode 1
		.amdhsa_fp16_overflow 0
		.amdhsa_workgroup_processor_mode 1
		.amdhsa_memory_ordered 1
		.amdhsa_forward_progress 1
		.amdhsa_shared_vgpr_count 0
		.amdhsa_exception_fp_ieee_invalid_op 0
		.amdhsa_exception_fp_denorm_src 0
		.amdhsa_exception_fp_ieee_div_zero 0
		.amdhsa_exception_fp_ieee_overflow 0
		.amdhsa_exception_fp_ieee_underflow 0
		.amdhsa_exception_fp_ieee_inexact 0
		.amdhsa_exception_int_div_zero 0
	.end_amdhsa_kernel
	.section	.text._ZN7rocprim17ROCPRIM_400000_NS6detail17trampoline_kernelINS0_13select_configILj256ELj13ELNS0_17block_load_methodE3ELS4_3ELS4_3ELNS0_20block_scan_algorithmE0ELj4294967295EEENS1_25partition_config_selectorILNS1_17partition_subalgoE4EjNS0_10empty_typeEbEEZZNS1_14partition_implILS8_4ELb0ES6_15HIP_vector_typeIjLj2EENS0_17counting_iteratorIjlEEPS9_SG_NS0_5tupleIJPjSI_NS0_16reverse_iteratorISI_EEEEENSH_IJSG_SG_SG_EEES9_SI_JZNS1_25segmented_radix_sort_implINS0_14default_configELb1EPKsPsPKlPlN2at6native12_GLOBAL__N_18offset_tEEE10hipError_tPvRmT1_PNSt15iterator_traitsIS12_E10value_typeET2_T3_PNS13_IS18_E10value_typeET4_jRbjT5_S1E_jjP12ihipStream_tbEUljE_ZNSN_ISO_Lb1ESQ_SR_ST_SU_SY_EESZ_S10_S11_S12_S16_S17_S18_S1B_S1C_jS1D_jS1E_S1E_jjS1G_bEUljE0_EEESZ_S10_S11_S18_S1C_S1E_T6_T7_T9_mT8_S1G_bDpT10_ENKUlT_T0_E_clISt17integral_constantIbLb1EES1U_EEDaS1P_S1Q_EUlS1P_E_NS1_11comp_targetILNS1_3genE8ELNS1_11target_archE1030ELNS1_3gpuE2ELNS1_3repE0EEENS1_30default_config_static_selectorELNS0_4arch9wavefront6targetE0EEEvS12_,"axG",@progbits,_ZN7rocprim17ROCPRIM_400000_NS6detail17trampoline_kernelINS0_13select_configILj256ELj13ELNS0_17block_load_methodE3ELS4_3ELS4_3ELNS0_20block_scan_algorithmE0ELj4294967295EEENS1_25partition_config_selectorILNS1_17partition_subalgoE4EjNS0_10empty_typeEbEEZZNS1_14partition_implILS8_4ELb0ES6_15HIP_vector_typeIjLj2EENS0_17counting_iteratorIjlEEPS9_SG_NS0_5tupleIJPjSI_NS0_16reverse_iteratorISI_EEEEENSH_IJSG_SG_SG_EEES9_SI_JZNS1_25segmented_radix_sort_implINS0_14default_configELb1EPKsPsPKlPlN2at6native12_GLOBAL__N_18offset_tEEE10hipError_tPvRmT1_PNSt15iterator_traitsIS12_E10value_typeET2_T3_PNS13_IS18_E10value_typeET4_jRbjT5_S1E_jjP12ihipStream_tbEUljE_ZNSN_ISO_Lb1ESQ_SR_ST_SU_SY_EESZ_S10_S11_S12_S16_S17_S18_S1B_S1C_jS1D_jS1E_S1E_jjS1G_bEUljE0_EEESZ_S10_S11_S18_S1C_S1E_T6_T7_T9_mT8_S1G_bDpT10_ENKUlT_T0_E_clISt17integral_constantIbLb1EES1U_EEDaS1P_S1Q_EUlS1P_E_NS1_11comp_targetILNS1_3genE8ELNS1_11target_archE1030ELNS1_3gpuE2ELNS1_3repE0EEENS1_30default_config_static_selectorELNS0_4arch9wavefront6targetE0EEEvS12_,comdat
.Lfunc_end856:
	.size	_ZN7rocprim17ROCPRIM_400000_NS6detail17trampoline_kernelINS0_13select_configILj256ELj13ELNS0_17block_load_methodE3ELS4_3ELS4_3ELNS0_20block_scan_algorithmE0ELj4294967295EEENS1_25partition_config_selectorILNS1_17partition_subalgoE4EjNS0_10empty_typeEbEEZZNS1_14partition_implILS8_4ELb0ES6_15HIP_vector_typeIjLj2EENS0_17counting_iteratorIjlEEPS9_SG_NS0_5tupleIJPjSI_NS0_16reverse_iteratorISI_EEEEENSH_IJSG_SG_SG_EEES9_SI_JZNS1_25segmented_radix_sort_implINS0_14default_configELb1EPKsPsPKlPlN2at6native12_GLOBAL__N_18offset_tEEE10hipError_tPvRmT1_PNSt15iterator_traitsIS12_E10value_typeET2_T3_PNS13_IS18_E10value_typeET4_jRbjT5_S1E_jjP12ihipStream_tbEUljE_ZNSN_ISO_Lb1ESQ_SR_ST_SU_SY_EESZ_S10_S11_S12_S16_S17_S18_S1B_S1C_jS1D_jS1E_S1E_jjS1G_bEUljE0_EEESZ_S10_S11_S18_S1C_S1E_T6_T7_T9_mT8_S1G_bDpT10_ENKUlT_T0_E_clISt17integral_constantIbLb1EES1U_EEDaS1P_S1Q_EUlS1P_E_NS1_11comp_targetILNS1_3genE8ELNS1_11target_archE1030ELNS1_3gpuE2ELNS1_3repE0EEENS1_30default_config_static_selectorELNS0_4arch9wavefront6targetE0EEEvS12_, .Lfunc_end856-_ZN7rocprim17ROCPRIM_400000_NS6detail17trampoline_kernelINS0_13select_configILj256ELj13ELNS0_17block_load_methodE3ELS4_3ELS4_3ELNS0_20block_scan_algorithmE0ELj4294967295EEENS1_25partition_config_selectorILNS1_17partition_subalgoE4EjNS0_10empty_typeEbEEZZNS1_14partition_implILS8_4ELb0ES6_15HIP_vector_typeIjLj2EENS0_17counting_iteratorIjlEEPS9_SG_NS0_5tupleIJPjSI_NS0_16reverse_iteratorISI_EEEEENSH_IJSG_SG_SG_EEES9_SI_JZNS1_25segmented_radix_sort_implINS0_14default_configELb1EPKsPsPKlPlN2at6native12_GLOBAL__N_18offset_tEEE10hipError_tPvRmT1_PNSt15iterator_traitsIS12_E10value_typeET2_T3_PNS13_IS18_E10value_typeET4_jRbjT5_S1E_jjP12ihipStream_tbEUljE_ZNSN_ISO_Lb1ESQ_SR_ST_SU_SY_EESZ_S10_S11_S12_S16_S17_S18_S1B_S1C_jS1D_jS1E_S1E_jjS1G_bEUljE0_EEESZ_S10_S11_S18_S1C_S1E_T6_T7_T9_mT8_S1G_bDpT10_ENKUlT_T0_E_clISt17integral_constantIbLb1EES1U_EEDaS1P_S1Q_EUlS1P_E_NS1_11comp_targetILNS1_3genE8ELNS1_11target_archE1030ELNS1_3gpuE2ELNS1_3repE0EEENS1_30default_config_static_selectorELNS0_4arch9wavefront6targetE0EEEvS12_
                                        ; -- End function
	.set _ZN7rocprim17ROCPRIM_400000_NS6detail17trampoline_kernelINS0_13select_configILj256ELj13ELNS0_17block_load_methodE3ELS4_3ELS4_3ELNS0_20block_scan_algorithmE0ELj4294967295EEENS1_25partition_config_selectorILNS1_17partition_subalgoE4EjNS0_10empty_typeEbEEZZNS1_14partition_implILS8_4ELb0ES6_15HIP_vector_typeIjLj2EENS0_17counting_iteratorIjlEEPS9_SG_NS0_5tupleIJPjSI_NS0_16reverse_iteratorISI_EEEEENSH_IJSG_SG_SG_EEES9_SI_JZNS1_25segmented_radix_sort_implINS0_14default_configELb1EPKsPsPKlPlN2at6native12_GLOBAL__N_18offset_tEEE10hipError_tPvRmT1_PNSt15iterator_traitsIS12_E10value_typeET2_T3_PNS13_IS18_E10value_typeET4_jRbjT5_S1E_jjP12ihipStream_tbEUljE_ZNSN_ISO_Lb1ESQ_SR_ST_SU_SY_EESZ_S10_S11_S12_S16_S17_S18_S1B_S1C_jS1D_jS1E_S1E_jjS1G_bEUljE0_EEESZ_S10_S11_S18_S1C_S1E_T6_T7_T9_mT8_S1G_bDpT10_ENKUlT_T0_E_clISt17integral_constantIbLb1EES1U_EEDaS1P_S1Q_EUlS1P_E_NS1_11comp_targetILNS1_3genE8ELNS1_11target_archE1030ELNS1_3gpuE2ELNS1_3repE0EEENS1_30default_config_static_selectorELNS0_4arch9wavefront6targetE0EEEvS12_.num_vgpr, 0
	.set _ZN7rocprim17ROCPRIM_400000_NS6detail17trampoline_kernelINS0_13select_configILj256ELj13ELNS0_17block_load_methodE3ELS4_3ELS4_3ELNS0_20block_scan_algorithmE0ELj4294967295EEENS1_25partition_config_selectorILNS1_17partition_subalgoE4EjNS0_10empty_typeEbEEZZNS1_14partition_implILS8_4ELb0ES6_15HIP_vector_typeIjLj2EENS0_17counting_iteratorIjlEEPS9_SG_NS0_5tupleIJPjSI_NS0_16reverse_iteratorISI_EEEEENSH_IJSG_SG_SG_EEES9_SI_JZNS1_25segmented_radix_sort_implINS0_14default_configELb1EPKsPsPKlPlN2at6native12_GLOBAL__N_18offset_tEEE10hipError_tPvRmT1_PNSt15iterator_traitsIS12_E10value_typeET2_T3_PNS13_IS18_E10value_typeET4_jRbjT5_S1E_jjP12ihipStream_tbEUljE_ZNSN_ISO_Lb1ESQ_SR_ST_SU_SY_EESZ_S10_S11_S12_S16_S17_S18_S1B_S1C_jS1D_jS1E_S1E_jjS1G_bEUljE0_EEESZ_S10_S11_S18_S1C_S1E_T6_T7_T9_mT8_S1G_bDpT10_ENKUlT_T0_E_clISt17integral_constantIbLb1EES1U_EEDaS1P_S1Q_EUlS1P_E_NS1_11comp_targetILNS1_3genE8ELNS1_11target_archE1030ELNS1_3gpuE2ELNS1_3repE0EEENS1_30default_config_static_selectorELNS0_4arch9wavefront6targetE0EEEvS12_.num_agpr, 0
	.set _ZN7rocprim17ROCPRIM_400000_NS6detail17trampoline_kernelINS0_13select_configILj256ELj13ELNS0_17block_load_methodE3ELS4_3ELS4_3ELNS0_20block_scan_algorithmE0ELj4294967295EEENS1_25partition_config_selectorILNS1_17partition_subalgoE4EjNS0_10empty_typeEbEEZZNS1_14partition_implILS8_4ELb0ES6_15HIP_vector_typeIjLj2EENS0_17counting_iteratorIjlEEPS9_SG_NS0_5tupleIJPjSI_NS0_16reverse_iteratorISI_EEEEENSH_IJSG_SG_SG_EEES9_SI_JZNS1_25segmented_radix_sort_implINS0_14default_configELb1EPKsPsPKlPlN2at6native12_GLOBAL__N_18offset_tEEE10hipError_tPvRmT1_PNSt15iterator_traitsIS12_E10value_typeET2_T3_PNS13_IS18_E10value_typeET4_jRbjT5_S1E_jjP12ihipStream_tbEUljE_ZNSN_ISO_Lb1ESQ_SR_ST_SU_SY_EESZ_S10_S11_S12_S16_S17_S18_S1B_S1C_jS1D_jS1E_S1E_jjS1G_bEUljE0_EEESZ_S10_S11_S18_S1C_S1E_T6_T7_T9_mT8_S1G_bDpT10_ENKUlT_T0_E_clISt17integral_constantIbLb1EES1U_EEDaS1P_S1Q_EUlS1P_E_NS1_11comp_targetILNS1_3genE8ELNS1_11target_archE1030ELNS1_3gpuE2ELNS1_3repE0EEENS1_30default_config_static_selectorELNS0_4arch9wavefront6targetE0EEEvS12_.numbered_sgpr, 0
	.set _ZN7rocprim17ROCPRIM_400000_NS6detail17trampoline_kernelINS0_13select_configILj256ELj13ELNS0_17block_load_methodE3ELS4_3ELS4_3ELNS0_20block_scan_algorithmE0ELj4294967295EEENS1_25partition_config_selectorILNS1_17partition_subalgoE4EjNS0_10empty_typeEbEEZZNS1_14partition_implILS8_4ELb0ES6_15HIP_vector_typeIjLj2EENS0_17counting_iteratorIjlEEPS9_SG_NS0_5tupleIJPjSI_NS0_16reverse_iteratorISI_EEEEENSH_IJSG_SG_SG_EEES9_SI_JZNS1_25segmented_radix_sort_implINS0_14default_configELb1EPKsPsPKlPlN2at6native12_GLOBAL__N_18offset_tEEE10hipError_tPvRmT1_PNSt15iterator_traitsIS12_E10value_typeET2_T3_PNS13_IS18_E10value_typeET4_jRbjT5_S1E_jjP12ihipStream_tbEUljE_ZNSN_ISO_Lb1ESQ_SR_ST_SU_SY_EESZ_S10_S11_S12_S16_S17_S18_S1B_S1C_jS1D_jS1E_S1E_jjS1G_bEUljE0_EEESZ_S10_S11_S18_S1C_S1E_T6_T7_T9_mT8_S1G_bDpT10_ENKUlT_T0_E_clISt17integral_constantIbLb1EES1U_EEDaS1P_S1Q_EUlS1P_E_NS1_11comp_targetILNS1_3genE8ELNS1_11target_archE1030ELNS1_3gpuE2ELNS1_3repE0EEENS1_30default_config_static_selectorELNS0_4arch9wavefront6targetE0EEEvS12_.num_named_barrier, 0
	.set _ZN7rocprim17ROCPRIM_400000_NS6detail17trampoline_kernelINS0_13select_configILj256ELj13ELNS0_17block_load_methodE3ELS4_3ELS4_3ELNS0_20block_scan_algorithmE0ELj4294967295EEENS1_25partition_config_selectorILNS1_17partition_subalgoE4EjNS0_10empty_typeEbEEZZNS1_14partition_implILS8_4ELb0ES6_15HIP_vector_typeIjLj2EENS0_17counting_iteratorIjlEEPS9_SG_NS0_5tupleIJPjSI_NS0_16reverse_iteratorISI_EEEEENSH_IJSG_SG_SG_EEES9_SI_JZNS1_25segmented_radix_sort_implINS0_14default_configELb1EPKsPsPKlPlN2at6native12_GLOBAL__N_18offset_tEEE10hipError_tPvRmT1_PNSt15iterator_traitsIS12_E10value_typeET2_T3_PNS13_IS18_E10value_typeET4_jRbjT5_S1E_jjP12ihipStream_tbEUljE_ZNSN_ISO_Lb1ESQ_SR_ST_SU_SY_EESZ_S10_S11_S12_S16_S17_S18_S1B_S1C_jS1D_jS1E_S1E_jjS1G_bEUljE0_EEESZ_S10_S11_S18_S1C_S1E_T6_T7_T9_mT8_S1G_bDpT10_ENKUlT_T0_E_clISt17integral_constantIbLb1EES1U_EEDaS1P_S1Q_EUlS1P_E_NS1_11comp_targetILNS1_3genE8ELNS1_11target_archE1030ELNS1_3gpuE2ELNS1_3repE0EEENS1_30default_config_static_selectorELNS0_4arch9wavefront6targetE0EEEvS12_.private_seg_size, 0
	.set _ZN7rocprim17ROCPRIM_400000_NS6detail17trampoline_kernelINS0_13select_configILj256ELj13ELNS0_17block_load_methodE3ELS4_3ELS4_3ELNS0_20block_scan_algorithmE0ELj4294967295EEENS1_25partition_config_selectorILNS1_17partition_subalgoE4EjNS0_10empty_typeEbEEZZNS1_14partition_implILS8_4ELb0ES6_15HIP_vector_typeIjLj2EENS0_17counting_iteratorIjlEEPS9_SG_NS0_5tupleIJPjSI_NS0_16reverse_iteratorISI_EEEEENSH_IJSG_SG_SG_EEES9_SI_JZNS1_25segmented_radix_sort_implINS0_14default_configELb1EPKsPsPKlPlN2at6native12_GLOBAL__N_18offset_tEEE10hipError_tPvRmT1_PNSt15iterator_traitsIS12_E10value_typeET2_T3_PNS13_IS18_E10value_typeET4_jRbjT5_S1E_jjP12ihipStream_tbEUljE_ZNSN_ISO_Lb1ESQ_SR_ST_SU_SY_EESZ_S10_S11_S12_S16_S17_S18_S1B_S1C_jS1D_jS1E_S1E_jjS1G_bEUljE0_EEESZ_S10_S11_S18_S1C_S1E_T6_T7_T9_mT8_S1G_bDpT10_ENKUlT_T0_E_clISt17integral_constantIbLb1EES1U_EEDaS1P_S1Q_EUlS1P_E_NS1_11comp_targetILNS1_3genE8ELNS1_11target_archE1030ELNS1_3gpuE2ELNS1_3repE0EEENS1_30default_config_static_selectorELNS0_4arch9wavefront6targetE0EEEvS12_.uses_vcc, 0
	.set _ZN7rocprim17ROCPRIM_400000_NS6detail17trampoline_kernelINS0_13select_configILj256ELj13ELNS0_17block_load_methodE3ELS4_3ELS4_3ELNS0_20block_scan_algorithmE0ELj4294967295EEENS1_25partition_config_selectorILNS1_17partition_subalgoE4EjNS0_10empty_typeEbEEZZNS1_14partition_implILS8_4ELb0ES6_15HIP_vector_typeIjLj2EENS0_17counting_iteratorIjlEEPS9_SG_NS0_5tupleIJPjSI_NS0_16reverse_iteratorISI_EEEEENSH_IJSG_SG_SG_EEES9_SI_JZNS1_25segmented_radix_sort_implINS0_14default_configELb1EPKsPsPKlPlN2at6native12_GLOBAL__N_18offset_tEEE10hipError_tPvRmT1_PNSt15iterator_traitsIS12_E10value_typeET2_T3_PNS13_IS18_E10value_typeET4_jRbjT5_S1E_jjP12ihipStream_tbEUljE_ZNSN_ISO_Lb1ESQ_SR_ST_SU_SY_EESZ_S10_S11_S12_S16_S17_S18_S1B_S1C_jS1D_jS1E_S1E_jjS1G_bEUljE0_EEESZ_S10_S11_S18_S1C_S1E_T6_T7_T9_mT8_S1G_bDpT10_ENKUlT_T0_E_clISt17integral_constantIbLb1EES1U_EEDaS1P_S1Q_EUlS1P_E_NS1_11comp_targetILNS1_3genE8ELNS1_11target_archE1030ELNS1_3gpuE2ELNS1_3repE0EEENS1_30default_config_static_selectorELNS0_4arch9wavefront6targetE0EEEvS12_.uses_flat_scratch, 0
	.set _ZN7rocprim17ROCPRIM_400000_NS6detail17trampoline_kernelINS0_13select_configILj256ELj13ELNS0_17block_load_methodE3ELS4_3ELS4_3ELNS0_20block_scan_algorithmE0ELj4294967295EEENS1_25partition_config_selectorILNS1_17partition_subalgoE4EjNS0_10empty_typeEbEEZZNS1_14partition_implILS8_4ELb0ES6_15HIP_vector_typeIjLj2EENS0_17counting_iteratorIjlEEPS9_SG_NS0_5tupleIJPjSI_NS0_16reverse_iteratorISI_EEEEENSH_IJSG_SG_SG_EEES9_SI_JZNS1_25segmented_radix_sort_implINS0_14default_configELb1EPKsPsPKlPlN2at6native12_GLOBAL__N_18offset_tEEE10hipError_tPvRmT1_PNSt15iterator_traitsIS12_E10value_typeET2_T3_PNS13_IS18_E10value_typeET4_jRbjT5_S1E_jjP12ihipStream_tbEUljE_ZNSN_ISO_Lb1ESQ_SR_ST_SU_SY_EESZ_S10_S11_S12_S16_S17_S18_S1B_S1C_jS1D_jS1E_S1E_jjS1G_bEUljE0_EEESZ_S10_S11_S18_S1C_S1E_T6_T7_T9_mT8_S1G_bDpT10_ENKUlT_T0_E_clISt17integral_constantIbLb1EES1U_EEDaS1P_S1Q_EUlS1P_E_NS1_11comp_targetILNS1_3genE8ELNS1_11target_archE1030ELNS1_3gpuE2ELNS1_3repE0EEENS1_30default_config_static_selectorELNS0_4arch9wavefront6targetE0EEEvS12_.has_dyn_sized_stack, 0
	.set _ZN7rocprim17ROCPRIM_400000_NS6detail17trampoline_kernelINS0_13select_configILj256ELj13ELNS0_17block_load_methodE3ELS4_3ELS4_3ELNS0_20block_scan_algorithmE0ELj4294967295EEENS1_25partition_config_selectorILNS1_17partition_subalgoE4EjNS0_10empty_typeEbEEZZNS1_14partition_implILS8_4ELb0ES6_15HIP_vector_typeIjLj2EENS0_17counting_iteratorIjlEEPS9_SG_NS0_5tupleIJPjSI_NS0_16reverse_iteratorISI_EEEEENSH_IJSG_SG_SG_EEES9_SI_JZNS1_25segmented_radix_sort_implINS0_14default_configELb1EPKsPsPKlPlN2at6native12_GLOBAL__N_18offset_tEEE10hipError_tPvRmT1_PNSt15iterator_traitsIS12_E10value_typeET2_T3_PNS13_IS18_E10value_typeET4_jRbjT5_S1E_jjP12ihipStream_tbEUljE_ZNSN_ISO_Lb1ESQ_SR_ST_SU_SY_EESZ_S10_S11_S12_S16_S17_S18_S1B_S1C_jS1D_jS1E_S1E_jjS1G_bEUljE0_EEESZ_S10_S11_S18_S1C_S1E_T6_T7_T9_mT8_S1G_bDpT10_ENKUlT_T0_E_clISt17integral_constantIbLb1EES1U_EEDaS1P_S1Q_EUlS1P_E_NS1_11comp_targetILNS1_3genE8ELNS1_11target_archE1030ELNS1_3gpuE2ELNS1_3repE0EEENS1_30default_config_static_selectorELNS0_4arch9wavefront6targetE0EEEvS12_.has_recursion, 0
	.set _ZN7rocprim17ROCPRIM_400000_NS6detail17trampoline_kernelINS0_13select_configILj256ELj13ELNS0_17block_load_methodE3ELS4_3ELS4_3ELNS0_20block_scan_algorithmE0ELj4294967295EEENS1_25partition_config_selectorILNS1_17partition_subalgoE4EjNS0_10empty_typeEbEEZZNS1_14partition_implILS8_4ELb0ES6_15HIP_vector_typeIjLj2EENS0_17counting_iteratorIjlEEPS9_SG_NS0_5tupleIJPjSI_NS0_16reverse_iteratorISI_EEEEENSH_IJSG_SG_SG_EEES9_SI_JZNS1_25segmented_radix_sort_implINS0_14default_configELb1EPKsPsPKlPlN2at6native12_GLOBAL__N_18offset_tEEE10hipError_tPvRmT1_PNSt15iterator_traitsIS12_E10value_typeET2_T3_PNS13_IS18_E10value_typeET4_jRbjT5_S1E_jjP12ihipStream_tbEUljE_ZNSN_ISO_Lb1ESQ_SR_ST_SU_SY_EESZ_S10_S11_S12_S16_S17_S18_S1B_S1C_jS1D_jS1E_S1E_jjS1G_bEUljE0_EEESZ_S10_S11_S18_S1C_S1E_T6_T7_T9_mT8_S1G_bDpT10_ENKUlT_T0_E_clISt17integral_constantIbLb1EES1U_EEDaS1P_S1Q_EUlS1P_E_NS1_11comp_targetILNS1_3genE8ELNS1_11target_archE1030ELNS1_3gpuE2ELNS1_3repE0EEENS1_30default_config_static_selectorELNS0_4arch9wavefront6targetE0EEEvS12_.has_indirect_call, 0
	.section	.AMDGPU.csdata,"",@progbits
; Kernel info:
; codeLenInByte = 4
; TotalNumSgprs: 0
; NumVgprs: 0
; ScratchSize: 0
; MemoryBound: 0
; FloatMode: 240
; IeeeMode: 1
; LDSByteSize: 0 bytes/workgroup (compile time only)
; SGPRBlocks: 0
; VGPRBlocks: 0
; NumSGPRsForWavesPerEU: 1
; NumVGPRsForWavesPerEU: 1
; Occupancy: 16
; WaveLimiterHint : 0
; COMPUTE_PGM_RSRC2:SCRATCH_EN: 0
; COMPUTE_PGM_RSRC2:USER_SGPR: 6
; COMPUTE_PGM_RSRC2:TRAP_HANDLER: 0
; COMPUTE_PGM_RSRC2:TGID_X_EN: 1
; COMPUTE_PGM_RSRC2:TGID_Y_EN: 0
; COMPUTE_PGM_RSRC2:TGID_Z_EN: 0
; COMPUTE_PGM_RSRC2:TIDIG_COMP_CNT: 0
	.section	.text._ZN7rocprim17ROCPRIM_400000_NS6detail17trampoline_kernelINS0_13select_configILj256ELj13ELNS0_17block_load_methodE3ELS4_3ELS4_3ELNS0_20block_scan_algorithmE0ELj4294967295EEENS1_25partition_config_selectorILNS1_17partition_subalgoE4EjNS0_10empty_typeEbEEZZNS1_14partition_implILS8_4ELb0ES6_15HIP_vector_typeIjLj2EENS0_17counting_iteratorIjlEEPS9_SG_NS0_5tupleIJPjSI_NS0_16reverse_iteratorISI_EEEEENSH_IJSG_SG_SG_EEES9_SI_JZNS1_25segmented_radix_sort_implINS0_14default_configELb1EPKsPsPKlPlN2at6native12_GLOBAL__N_18offset_tEEE10hipError_tPvRmT1_PNSt15iterator_traitsIS12_E10value_typeET2_T3_PNS13_IS18_E10value_typeET4_jRbjT5_S1E_jjP12ihipStream_tbEUljE_ZNSN_ISO_Lb1ESQ_SR_ST_SU_SY_EESZ_S10_S11_S12_S16_S17_S18_S1B_S1C_jS1D_jS1E_S1E_jjS1G_bEUljE0_EEESZ_S10_S11_S18_S1C_S1E_T6_T7_T9_mT8_S1G_bDpT10_ENKUlT_T0_E_clISt17integral_constantIbLb1EES1T_IbLb0EEEEDaS1P_S1Q_EUlS1P_E_NS1_11comp_targetILNS1_3genE0ELNS1_11target_archE4294967295ELNS1_3gpuE0ELNS1_3repE0EEENS1_30default_config_static_selectorELNS0_4arch9wavefront6targetE0EEEvS12_,"axG",@progbits,_ZN7rocprim17ROCPRIM_400000_NS6detail17trampoline_kernelINS0_13select_configILj256ELj13ELNS0_17block_load_methodE3ELS4_3ELS4_3ELNS0_20block_scan_algorithmE0ELj4294967295EEENS1_25partition_config_selectorILNS1_17partition_subalgoE4EjNS0_10empty_typeEbEEZZNS1_14partition_implILS8_4ELb0ES6_15HIP_vector_typeIjLj2EENS0_17counting_iteratorIjlEEPS9_SG_NS0_5tupleIJPjSI_NS0_16reverse_iteratorISI_EEEEENSH_IJSG_SG_SG_EEES9_SI_JZNS1_25segmented_radix_sort_implINS0_14default_configELb1EPKsPsPKlPlN2at6native12_GLOBAL__N_18offset_tEEE10hipError_tPvRmT1_PNSt15iterator_traitsIS12_E10value_typeET2_T3_PNS13_IS18_E10value_typeET4_jRbjT5_S1E_jjP12ihipStream_tbEUljE_ZNSN_ISO_Lb1ESQ_SR_ST_SU_SY_EESZ_S10_S11_S12_S16_S17_S18_S1B_S1C_jS1D_jS1E_S1E_jjS1G_bEUljE0_EEESZ_S10_S11_S18_S1C_S1E_T6_T7_T9_mT8_S1G_bDpT10_ENKUlT_T0_E_clISt17integral_constantIbLb1EES1T_IbLb0EEEEDaS1P_S1Q_EUlS1P_E_NS1_11comp_targetILNS1_3genE0ELNS1_11target_archE4294967295ELNS1_3gpuE0ELNS1_3repE0EEENS1_30default_config_static_selectorELNS0_4arch9wavefront6targetE0EEEvS12_,comdat
	.globl	_ZN7rocprim17ROCPRIM_400000_NS6detail17trampoline_kernelINS0_13select_configILj256ELj13ELNS0_17block_load_methodE3ELS4_3ELS4_3ELNS0_20block_scan_algorithmE0ELj4294967295EEENS1_25partition_config_selectorILNS1_17partition_subalgoE4EjNS0_10empty_typeEbEEZZNS1_14partition_implILS8_4ELb0ES6_15HIP_vector_typeIjLj2EENS0_17counting_iteratorIjlEEPS9_SG_NS0_5tupleIJPjSI_NS0_16reverse_iteratorISI_EEEEENSH_IJSG_SG_SG_EEES9_SI_JZNS1_25segmented_radix_sort_implINS0_14default_configELb1EPKsPsPKlPlN2at6native12_GLOBAL__N_18offset_tEEE10hipError_tPvRmT1_PNSt15iterator_traitsIS12_E10value_typeET2_T3_PNS13_IS18_E10value_typeET4_jRbjT5_S1E_jjP12ihipStream_tbEUljE_ZNSN_ISO_Lb1ESQ_SR_ST_SU_SY_EESZ_S10_S11_S12_S16_S17_S18_S1B_S1C_jS1D_jS1E_S1E_jjS1G_bEUljE0_EEESZ_S10_S11_S18_S1C_S1E_T6_T7_T9_mT8_S1G_bDpT10_ENKUlT_T0_E_clISt17integral_constantIbLb1EES1T_IbLb0EEEEDaS1P_S1Q_EUlS1P_E_NS1_11comp_targetILNS1_3genE0ELNS1_11target_archE4294967295ELNS1_3gpuE0ELNS1_3repE0EEENS1_30default_config_static_selectorELNS0_4arch9wavefront6targetE0EEEvS12_ ; -- Begin function _ZN7rocprim17ROCPRIM_400000_NS6detail17trampoline_kernelINS0_13select_configILj256ELj13ELNS0_17block_load_methodE3ELS4_3ELS4_3ELNS0_20block_scan_algorithmE0ELj4294967295EEENS1_25partition_config_selectorILNS1_17partition_subalgoE4EjNS0_10empty_typeEbEEZZNS1_14partition_implILS8_4ELb0ES6_15HIP_vector_typeIjLj2EENS0_17counting_iteratorIjlEEPS9_SG_NS0_5tupleIJPjSI_NS0_16reverse_iteratorISI_EEEEENSH_IJSG_SG_SG_EEES9_SI_JZNS1_25segmented_radix_sort_implINS0_14default_configELb1EPKsPsPKlPlN2at6native12_GLOBAL__N_18offset_tEEE10hipError_tPvRmT1_PNSt15iterator_traitsIS12_E10value_typeET2_T3_PNS13_IS18_E10value_typeET4_jRbjT5_S1E_jjP12ihipStream_tbEUljE_ZNSN_ISO_Lb1ESQ_SR_ST_SU_SY_EESZ_S10_S11_S12_S16_S17_S18_S1B_S1C_jS1D_jS1E_S1E_jjS1G_bEUljE0_EEESZ_S10_S11_S18_S1C_S1E_T6_T7_T9_mT8_S1G_bDpT10_ENKUlT_T0_E_clISt17integral_constantIbLb1EES1T_IbLb0EEEEDaS1P_S1Q_EUlS1P_E_NS1_11comp_targetILNS1_3genE0ELNS1_11target_archE4294967295ELNS1_3gpuE0ELNS1_3repE0EEENS1_30default_config_static_selectorELNS0_4arch9wavefront6targetE0EEEvS12_
	.p2align	8
	.type	_ZN7rocprim17ROCPRIM_400000_NS6detail17trampoline_kernelINS0_13select_configILj256ELj13ELNS0_17block_load_methodE3ELS4_3ELS4_3ELNS0_20block_scan_algorithmE0ELj4294967295EEENS1_25partition_config_selectorILNS1_17partition_subalgoE4EjNS0_10empty_typeEbEEZZNS1_14partition_implILS8_4ELb0ES6_15HIP_vector_typeIjLj2EENS0_17counting_iteratorIjlEEPS9_SG_NS0_5tupleIJPjSI_NS0_16reverse_iteratorISI_EEEEENSH_IJSG_SG_SG_EEES9_SI_JZNS1_25segmented_radix_sort_implINS0_14default_configELb1EPKsPsPKlPlN2at6native12_GLOBAL__N_18offset_tEEE10hipError_tPvRmT1_PNSt15iterator_traitsIS12_E10value_typeET2_T3_PNS13_IS18_E10value_typeET4_jRbjT5_S1E_jjP12ihipStream_tbEUljE_ZNSN_ISO_Lb1ESQ_SR_ST_SU_SY_EESZ_S10_S11_S12_S16_S17_S18_S1B_S1C_jS1D_jS1E_S1E_jjS1G_bEUljE0_EEESZ_S10_S11_S18_S1C_S1E_T6_T7_T9_mT8_S1G_bDpT10_ENKUlT_T0_E_clISt17integral_constantIbLb1EES1T_IbLb0EEEEDaS1P_S1Q_EUlS1P_E_NS1_11comp_targetILNS1_3genE0ELNS1_11target_archE4294967295ELNS1_3gpuE0ELNS1_3repE0EEENS1_30default_config_static_selectorELNS0_4arch9wavefront6targetE0EEEvS12_,@function
_ZN7rocprim17ROCPRIM_400000_NS6detail17trampoline_kernelINS0_13select_configILj256ELj13ELNS0_17block_load_methodE3ELS4_3ELS4_3ELNS0_20block_scan_algorithmE0ELj4294967295EEENS1_25partition_config_selectorILNS1_17partition_subalgoE4EjNS0_10empty_typeEbEEZZNS1_14partition_implILS8_4ELb0ES6_15HIP_vector_typeIjLj2EENS0_17counting_iteratorIjlEEPS9_SG_NS0_5tupleIJPjSI_NS0_16reverse_iteratorISI_EEEEENSH_IJSG_SG_SG_EEES9_SI_JZNS1_25segmented_radix_sort_implINS0_14default_configELb1EPKsPsPKlPlN2at6native12_GLOBAL__N_18offset_tEEE10hipError_tPvRmT1_PNSt15iterator_traitsIS12_E10value_typeET2_T3_PNS13_IS18_E10value_typeET4_jRbjT5_S1E_jjP12ihipStream_tbEUljE_ZNSN_ISO_Lb1ESQ_SR_ST_SU_SY_EESZ_S10_S11_S12_S16_S17_S18_S1B_S1C_jS1D_jS1E_S1E_jjS1G_bEUljE0_EEESZ_S10_S11_S18_S1C_S1E_T6_T7_T9_mT8_S1G_bDpT10_ENKUlT_T0_E_clISt17integral_constantIbLb1EES1T_IbLb0EEEEDaS1P_S1Q_EUlS1P_E_NS1_11comp_targetILNS1_3genE0ELNS1_11target_archE4294967295ELNS1_3gpuE0ELNS1_3repE0EEENS1_30default_config_static_selectorELNS0_4arch9wavefront6targetE0EEEvS12_: ; @_ZN7rocprim17ROCPRIM_400000_NS6detail17trampoline_kernelINS0_13select_configILj256ELj13ELNS0_17block_load_methodE3ELS4_3ELS4_3ELNS0_20block_scan_algorithmE0ELj4294967295EEENS1_25partition_config_selectorILNS1_17partition_subalgoE4EjNS0_10empty_typeEbEEZZNS1_14partition_implILS8_4ELb0ES6_15HIP_vector_typeIjLj2EENS0_17counting_iteratorIjlEEPS9_SG_NS0_5tupleIJPjSI_NS0_16reverse_iteratorISI_EEEEENSH_IJSG_SG_SG_EEES9_SI_JZNS1_25segmented_radix_sort_implINS0_14default_configELb1EPKsPsPKlPlN2at6native12_GLOBAL__N_18offset_tEEE10hipError_tPvRmT1_PNSt15iterator_traitsIS12_E10value_typeET2_T3_PNS13_IS18_E10value_typeET4_jRbjT5_S1E_jjP12ihipStream_tbEUljE_ZNSN_ISO_Lb1ESQ_SR_ST_SU_SY_EESZ_S10_S11_S12_S16_S17_S18_S1B_S1C_jS1D_jS1E_S1E_jjS1G_bEUljE0_EEESZ_S10_S11_S18_S1C_S1E_T6_T7_T9_mT8_S1G_bDpT10_ENKUlT_T0_E_clISt17integral_constantIbLb1EES1T_IbLb0EEEEDaS1P_S1Q_EUlS1P_E_NS1_11comp_targetILNS1_3genE0ELNS1_11target_archE4294967295ELNS1_3gpuE0ELNS1_3repE0EEENS1_30default_config_static_selectorELNS0_4arch9wavefront6targetE0EEEvS12_
; %bb.0:
	.section	.rodata,"a",@progbits
	.p2align	6, 0x0
	.amdhsa_kernel _ZN7rocprim17ROCPRIM_400000_NS6detail17trampoline_kernelINS0_13select_configILj256ELj13ELNS0_17block_load_methodE3ELS4_3ELS4_3ELNS0_20block_scan_algorithmE0ELj4294967295EEENS1_25partition_config_selectorILNS1_17partition_subalgoE4EjNS0_10empty_typeEbEEZZNS1_14partition_implILS8_4ELb0ES6_15HIP_vector_typeIjLj2EENS0_17counting_iteratorIjlEEPS9_SG_NS0_5tupleIJPjSI_NS0_16reverse_iteratorISI_EEEEENSH_IJSG_SG_SG_EEES9_SI_JZNS1_25segmented_radix_sort_implINS0_14default_configELb1EPKsPsPKlPlN2at6native12_GLOBAL__N_18offset_tEEE10hipError_tPvRmT1_PNSt15iterator_traitsIS12_E10value_typeET2_T3_PNS13_IS18_E10value_typeET4_jRbjT5_S1E_jjP12ihipStream_tbEUljE_ZNSN_ISO_Lb1ESQ_SR_ST_SU_SY_EESZ_S10_S11_S12_S16_S17_S18_S1B_S1C_jS1D_jS1E_S1E_jjS1G_bEUljE0_EEESZ_S10_S11_S18_S1C_S1E_T6_T7_T9_mT8_S1G_bDpT10_ENKUlT_T0_E_clISt17integral_constantIbLb1EES1T_IbLb0EEEEDaS1P_S1Q_EUlS1P_E_NS1_11comp_targetILNS1_3genE0ELNS1_11target_archE4294967295ELNS1_3gpuE0ELNS1_3repE0EEENS1_30default_config_static_selectorELNS0_4arch9wavefront6targetE0EEEvS12_
		.amdhsa_group_segment_fixed_size 0
		.amdhsa_private_segment_fixed_size 0
		.amdhsa_kernarg_size 176
		.amdhsa_user_sgpr_count 6
		.amdhsa_user_sgpr_private_segment_buffer 1
		.amdhsa_user_sgpr_dispatch_ptr 0
		.amdhsa_user_sgpr_queue_ptr 0
		.amdhsa_user_sgpr_kernarg_segment_ptr 1
		.amdhsa_user_sgpr_dispatch_id 0
		.amdhsa_user_sgpr_flat_scratch_init 0
		.amdhsa_user_sgpr_private_segment_size 0
		.amdhsa_wavefront_size32 1
		.amdhsa_uses_dynamic_stack 0
		.amdhsa_system_sgpr_private_segment_wavefront_offset 0
		.amdhsa_system_sgpr_workgroup_id_x 1
		.amdhsa_system_sgpr_workgroup_id_y 0
		.amdhsa_system_sgpr_workgroup_id_z 0
		.amdhsa_system_sgpr_workgroup_info 0
		.amdhsa_system_vgpr_workitem_id 0
		.amdhsa_next_free_vgpr 1
		.amdhsa_next_free_sgpr 1
		.amdhsa_reserve_vcc 0
		.amdhsa_reserve_flat_scratch 0
		.amdhsa_float_round_mode_32 0
		.amdhsa_float_round_mode_16_64 0
		.amdhsa_float_denorm_mode_32 3
		.amdhsa_float_denorm_mode_16_64 3
		.amdhsa_dx10_clamp 1
		.amdhsa_ieee_mode 1
		.amdhsa_fp16_overflow 0
		.amdhsa_workgroup_processor_mode 1
		.amdhsa_memory_ordered 1
		.amdhsa_forward_progress 1
		.amdhsa_shared_vgpr_count 0
		.amdhsa_exception_fp_ieee_invalid_op 0
		.amdhsa_exception_fp_denorm_src 0
		.amdhsa_exception_fp_ieee_div_zero 0
		.amdhsa_exception_fp_ieee_overflow 0
		.amdhsa_exception_fp_ieee_underflow 0
		.amdhsa_exception_fp_ieee_inexact 0
		.amdhsa_exception_int_div_zero 0
	.end_amdhsa_kernel
	.section	.text._ZN7rocprim17ROCPRIM_400000_NS6detail17trampoline_kernelINS0_13select_configILj256ELj13ELNS0_17block_load_methodE3ELS4_3ELS4_3ELNS0_20block_scan_algorithmE0ELj4294967295EEENS1_25partition_config_selectorILNS1_17partition_subalgoE4EjNS0_10empty_typeEbEEZZNS1_14partition_implILS8_4ELb0ES6_15HIP_vector_typeIjLj2EENS0_17counting_iteratorIjlEEPS9_SG_NS0_5tupleIJPjSI_NS0_16reverse_iteratorISI_EEEEENSH_IJSG_SG_SG_EEES9_SI_JZNS1_25segmented_radix_sort_implINS0_14default_configELb1EPKsPsPKlPlN2at6native12_GLOBAL__N_18offset_tEEE10hipError_tPvRmT1_PNSt15iterator_traitsIS12_E10value_typeET2_T3_PNS13_IS18_E10value_typeET4_jRbjT5_S1E_jjP12ihipStream_tbEUljE_ZNSN_ISO_Lb1ESQ_SR_ST_SU_SY_EESZ_S10_S11_S12_S16_S17_S18_S1B_S1C_jS1D_jS1E_S1E_jjS1G_bEUljE0_EEESZ_S10_S11_S18_S1C_S1E_T6_T7_T9_mT8_S1G_bDpT10_ENKUlT_T0_E_clISt17integral_constantIbLb1EES1T_IbLb0EEEEDaS1P_S1Q_EUlS1P_E_NS1_11comp_targetILNS1_3genE0ELNS1_11target_archE4294967295ELNS1_3gpuE0ELNS1_3repE0EEENS1_30default_config_static_selectorELNS0_4arch9wavefront6targetE0EEEvS12_,"axG",@progbits,_ZN7rocprim17ROCPRIM_400000_NS6detail17trampoline_kernelINS0_13select_configILj256ELj13ELNS0_17block_load_methodE3ELS4_3ELS4_3ELNS0_20block_scan_algorithmE0ELj4294967295EEENS1_25partition_config_selectorILNS1_17partition_subalgoE4EjNS0_10empty_typeEbEEZZNS1_14partition_implILS8_4ELb0ES6_15HIP_vector_typeIjLj2EENS0_17counting_iteratorIjlEEPS9_SG_NS0_5tupleIJPjSI_NS0_16reverse_iteratorISI_EEEEENSH_IJSG_SG_SG_EEES9_SI_JZNS1_25segmented_radix_sort_implINS0_14default_configELb1EPKsPsPKlPlN2at6native12_GLOBAL__N_18offset_tEEE10hipError_tPvRmT1_PNSt15iterator_traitsIS12_E10value_typeET2_T3_PNS13_IS18_E10value_typeET4_jRbjT5_S1E_jjP12ihipStream_tbEUljE_ZNSN_ISO_Lb1ESQ_SR_ST_SU_SY_EESZ_S10_S11_S12_S16_S17_S18_S1B_S1C_jS1D_jS1E_S1E_jjS1G_bEUljE0_EEESZ_S10_S11_S18_S1C_S1E_T6_T7_T9_mT8_S1G_bDpT10_ENKUlT_T0_E_clISt17integral_constantIbLb1EES1T_IbLb0EEEEDaS1P_S1Q_EUlS1P_E_NS1_11comp_targetILNS1_3genE0ELNS1_11target_archE4294967295ELNS1_3gpuE0ELNS1_3repE0EEENS1_30default_config_static_selectorELNS0_4arch9wavefront6targetE0EEEvS12_,comdat
.Lfunc_end857:
	.size	_ZN7rocprim17ROCPRIM_400000_NS6detail17trampoline_kernelINS0_13select_configILj256ELj13ELNS0_17block_load_methodE3ELS4_3ELS4_3ELNS0_20block_scan_algorithmE0ELj4294967295EEENS1_25partition_config_selectorILNS1_17partition_subalgoE4EjNS0_10empty_typeEbEEZZNS1_14partition_implILS8_4ELb0ES6_15HIP_vector_typeIjLj2EENS0_17counting_iteratorIjlEEPS9_SG_NS0_5tupleIJPjSI_NS0_16reverse_iteratorISI_EEEEENSH_IJSG_SG_SG_EEES9_SI_JZNS1_25segmented_radix_sort_implINS0_14default_configELb1EPKsPsPKlPlN2at6native12_GLOBAL__N_18offset_tEEE10hipError_tPvRmT1_PNSt15iterator_traitsIS12_E10value_typeET2_T3_PNS13_IS18_E10value_typeET4_jRbjT5_S1E_jjP12ihipStream_tbEUljE_ZNSN_ISO_Lb1ESQ_SR_ST_SU_SY_EESZ_S10_S11_S12_S16_S17_S18_S1B_S1C_jS1D_jS1E_S1E_jjS1G_bEUljE0_EEESZ_S10_S11_S18_S1C_S1E_T6_T7_T9_mT8_S1G_bDpT10_ENKUlT_T0_E_clISt17integral_constantIbLb1EES1T_IbLb0EEEEDaS1P_S1Q_EUlS1P_E_NS1_11comp_targetILNS1_3genE0ELNS1_11target_archE4294967295ELNS1_3gpuE0ELNS1_3repE0EEENS1_30default_config_static_selectorELNS0_4arch9wavefront6targetE0EEEvS12_, .Lfunc_end857-_ZN7rocprim17ROCPRIM_400000_NS6detail17trampoline_kernelINS0_13select_configILj256ELj13ELNS0_17block_load_methodE3ELS4_3ELS4_3ELNS0_20block_scan_algorithmE0ELj4294967295EEENS1_25partition_config_selectorILNS1_17partition_subalgoE4EjNS0_10empty_typeEbEEZZNS1_14partition_implILS8_4ELb0ES6_15HIP_vector_typeIjLj2EENS0_17counting_iteratorIjlEEPS9_SG_NS0_5tupleIJPjSI_NS0_16reverse_iteratorISI_EEEEENSH_IJSG_SG_SG_EEES9_SI_JZNS1_25segmented_radix_sort_implINS0_14default_configELb1EPKsPsPKlPlN2at6native12_GLOBAL__N_18offset_tEEE10hipError_tPvRmT1_PNSt15iterator_traitsIS12_E10value_typeET2_T3_PNS13_IS18_E10value_typeET4_jRbjT5_S1E_jjP12ihipStream_tbEUljE_ZNSN_ISO_Lb1ESQ_SR_ST_SU_SY_EESZ_S10_S11_S12_S16_S17_S18_S1B_S1C_jS1D_jS1E_S1E_jjS1G_bEUljE0_EEESZ_S10_S11_S18_S1C_S1E_T6_T7_T9_mT8_S1G_bDpT10_ENKUlT_T0_E_clISt17integral_constantIbLb1EES1T_IbLb0EEEEDaS1P_S1Q_EUlS1P_E_NS1_11comp_targetILNS1_3genE0ELNS1_11target_archE4294967295ELNS1_3gpuE0ELNS1_3repE0EEENS1_30default_config_static_selectorELNS0_4arch9wavefront6targetE0EEEvS12_
                                        ; -- End function
	.set _ZN7rocprim17ROCPRIM_400000_NS6detail17trampoline_kernelINS0_13select_configILj256ELj13ELNS0_17block_load_methodE3ELS4_3ELS4_3ELNS0_20block_scan_algorithmE0ELj4294967295EEENS1_25partition_config_selectorILNS1_17partition_subalgoE4EjNS0_10empty_typeEbEEZZNS1_14partition_implILS8_4ELb0ES6_15HIP_vector_typeIjLj2EENS0_17counting_iteratorIjlEEPS9_SG_NS0_5tupleIJPjSI_NS0_16reverse_iteratorISI_EEEEENSH_IJSG_SG_SG_EEES9_SI_JZNS1_25segmented_radix_sort_implINS0_14default_configELb1EPKsPsPKlPlN2at6native12_GLOBAL__N_18offset_tEEE10hipError_tPvRmT1_PNSt15iterator_traitsIS12_E10value_typeET2_T3_PNS13_IS18_E10value_typeET4_jRbjT5_S1E_jjP12ihipStream_tbEUljE_ZNSN_ISO_Lb1ESQ_SR_ST_SU_SY_EESZ_S10_S11_S12_S16_S17_S18_S1B_S1C_jS1D_jS1E_S1E_jjS1G_bEUljE0_EEESZ_S10_S11_S18_S1C_S1E_T6_T7_T9_mT8_S1G_bDpT10_ENKUlT_T0_E_clISt17integral_constantIbLb1EES1T_IbLb0EEEEDaS1P_S1Q_EUlS1P_E_NS1_11comp_targetILNS1_3genE0ELNS1_11target_archE4294967295ELNS1_3gpuE0ELNS1_3repE0EEENS1_30default_config_static_selectorELNS0_4arch9wavefront6targetE0EEEvS12_.num_vgpr, 0
	.set _ZN7rocprim17ROCPRIM_400000_NS6detail17trampoline_kernelINS0_13select_configILj256ELj13ELNS0_17block_load_methodE3ELS4_3ELS4_3ELNS0_20block_scan_algorithmE0ELj4294967295EEENS1_25partition_config_selectorILNS1_17partition_subalgoE4EjNS0_10empty_typeEbEEZZNS1_14partition_implILS8_4ELb0ES6_15HIP_vector_typeIjLj2EENS0_17counting_iteratorIjlEEPS9_SG_NS0_5tupleIJPjSI_NS0_16reverse_iteratorISI_EEEEENSH_IJSG_SG_SG_EEES9_SI_JZNS1_25segmented_radix_sort_implINS0_14default_configELb1EPKsPsPKlPlN2at6native12_GLOBAL__N_18offset_tEEE10hipError_tPvRmT1_PNSt15iterator_traitsIS12_E10value_typeET2_T3_PNS13_IS18_E10value_typeET4_jRbjT5_S1E_jjP12ihipStream_tbEUljE_ZNSN_ISO_Lb1ESQ_SR_ST_SU_SY_EESZ_S10_S11_S12_S16_S17_S18_S1B_S1C_jS1D_jS1E_S1E_jjS1G_bEUljE0_EEESZ_S10_S11_S18_S1C_S1E_T6_T7_T9_mT8_S1G_bDpT10_ENKUlT_T0_E_clISt17integral_constantIbLb1EES1T_IbLb0EEEEDaS1P_S1Q_EUlS1P_E_NS1_11comp_targetILNS1_3genE0ELNS1_11target_archE4294967295ELNS1_3gpuE0ELNS1_3repE0EEENS1_30default_config_static_selectorELNS0_4arch9wavefront6targetE0EEEvS12_.num_agpr, 0
	.set _ZN7rocprim17ROCPRIM_400000_NS6detail17trampoline_kernelINS0_13select_configILj256ELj13ELNS0_17block_load_methodE3ELS4_3ELS4_3ELNS0_20block_scan_algorithmE0ELj4294967295EEENS1_25partition_config_selectorILNS1_17partition_subalgoE4EjNS0_10empty_typeEbEEZZNS1_14partition_implILS8_4ELb0ES6_15HIP_vector_typeIjLj2EENS0_17counting_iteratorIjlEEPS9_SG_NS0_5tupleIJPjSI_NS0_16reverse_iteratorISI_EEEEENSH_IJSG_SG_SG_EEES9_SI_JZNS1_25segmented_radix_sort_implINS0_14default_configELb1EPKsPsPKlPlN2at6native12_GLOBAL__N_18offset_tEEE10hipError_tPvRmT1_PNSt15iterator_traitsIS12_E10value_typeET2_T3_PNS13_IS18_E10value_typeET4_jRbjT5_S1E_jjP12ihipStream_tbEUljE_ZNSN_ISO_Lb1ESQ_SR_ST_SU_SY_EESZ_S10_S11_S12_S16_S17_S18_S1B_S1C_jS1D_jS1E_S1E_jjS1G_bEUljE0_EEESZ_S10_S11_S18_S1C_S1E_T6_T7_T9_mT8_S1G_bDpT10_ENKUlT_T0_E_clISt17integral_constantIbLb1EES1T_IbLb0EEEEDaS1P_S1Q_EUlS1P_E_NS1_11comp_targetILNS1_3genE0ELNS1_11target_archE4294967295ELNS1_3gpuE0ELNS1_3repE0EEENS1_30default_config_static_selectorELNS0_4arch9wavefront6targetE0EEEvS12_.numbered_sgpr, 0
	.set _ZN7rocprim17ROCPRIM_400000_NS6detail17trampoline_kernelINS0_13select_configILj256ELj13ELNS0_17block_load_methodE3ELS4_3ELS4_3ELNS0_20block_scan_algorithmE0ELj4294967295EEENS1_25partition_config_selectorILNS1_17partition_subalgoE4EjNS0_10empty_typeEbEEZZNS1_14partition_implILS8_4ELb0ES6_15HIP_vector_typeIjLj2EENS0_17counting_iteratorIjlEEPS9_SG_NS0_5tupleIJPjSI_NS0_16reverse_iteratorISI_EEEEENSH_IJSG_SG_SG_EEES9_SI_JZNS1_25segmented_radix_sort_implINS0_14default_configELb1EPKsPsPKlPlN2at6native12_GLOBAL__N_18offset_tEEE10hipError_tPvRmT1_PNSt15iterator_traitsIS12_E10value_typeET2_T3_PNS13_IS18_E10value_typeET4_jRbjT5_S1E_jjP12ihipStream_tbEUljE_ZNSN_ISO_Lb1ESQ_SR_ST_SU_SY_EESZ_S10_S11_S12_S16_S17_S18_S1B_S1C_jS1D_jS1E_S1E_jjS1G_bEUljE0_EEESZ_S10_S11_S18_S1C_S1E_T6_T7_T9_mT8_S1G_bDpT10_ENKUlT_T0_E_clISt17integral_constantIbLb1EES1T_IbLb0EEEEDaS1P_S1Q_EUlS1P_E_NS1_11comp_targetILNS1_3genE0ELNS1_11target_archE4294967295ELNS1_3gpuE0ELNS1_3repE0EEENS1_30default_config_static_selectorELNS0_4arch9wavefront6targetE0EEEvS12_.num_named_barrier, 0
	.set _ZN7rocprim17ROCPRIM_400000_NS6detail17trampoline_kernelINS0_13select_configILj256ELj13ELNS0_17block_load_methodE3ELS4_3ELS4_3ELNS0_20block_scan_algorithmE0ELj4294967295EEENS1_25partition_config_selectorILNS1_17partition_subalgoE4EjNS0_10empty_typeEbEEZZNS1_14partition_implILS8_4ELb0ES6_15HIP_vector_typeIjLj2EENS0_17counting_iteratorIjlEEPS9_SG_NS0_5tupleIJPjSI_NS0_16reverse_iteratorISI_EEEEENSH_IJSG_SG_SG_EEES9_SI_JZNS1_25segmented_radix_sort_implINS0_14default_configELb1EPKsPsPKlPlN2at6native12_GLOBAL__N_18offset_tEEE10hipError_tPvRmT1_PNSt15iterator_traitsIS12_E10value_typeET2_T3_PNS13_IS18_E10value_typeET4_jRbjT5_S1E_jjP12ihipStream_tbEUljE_ZNSN_ISO_Lb1ESQ_SR_ST_SU_SY_EESZ_S10_S11_S12_S16_S17_S18_S1B_S1C_jS1D_jS1E_S1E_jjS1G_bEUljE0_EEESZ_S10_S11_S18_S1C_S1E_T6_T7_T9_mT8_S1G_bDpT10_ENKUlT_T0_E_clISt17integral_constantIbLb1EES1T_IbLb0EEEEDaS1P_S1Q_EUlS1P_E_NS1_11comp_targetILNS1_3genE0ELNS1_11target_archE4294967295ELNS1_3gpuE0ELNS1_3repE0EEENS1_30default_config_static_selectorELNS0_4arch9wavefront6targetE0EEEvS12_.private_seg_size, 0
	.set _ZN7rocprim17ROCPRIM_400000_NS6detail17trampoline_kernelINS0_13select_configILj256ELj13ELNS0_17block_load_methodE3ELS4_3ELS4_3ELNS0_20block_scan_algorithmE0ELj4294967295EEENS1_25partition_config_selectorILNS1_17partition_subalgoE4EjNS0_10empty_typeEbEEZZNS1_14partition_implILS8_4ELb0ES6_15HIP_vector_typeIjLj2EENS0_17counting_iteratorIjlEEPS9_SG_NS0_5tupleIJPjSI_NS0_16reverse_iteratorISI_EEEEENSH_IJSG_SG_SG_EEES9_SI_JZNS1_25segmented_radix_sort_implINS0_14default_configELb1EPKsPsPKlPlN2at6native12_GLOBAL__N_18offset_tEEE10hipError_tPvRmT1_PNSt15iterator_traitsIS12_E10value_typeET2_T3_PNS13_IS18_E10value_typeET4_jRbjT5_S1E_jjP12ihipStream_tbEUljE_ZNSN_ISO_Lb1ESQ_SR_ST_SU_SY_EESZ_S10_S11_S12_S16_S17_S18_S1B_S1C_jS1D_jS1E_S1E_jjS1G_bEUljE0_EEESZ_S10_S11_S18_S1C_S1E_T6_T7_T9_mT8_S1G_bDpT10_ENKUlT_T0_E_clISt17integral_constantIbLb1EES1T_IbLb0EEEEDaS1P_S1Q_EUlS1P_E_NS1_11comp_targetILNS1_3genE0ELNS1_11target_archE4294967295ELNS1_3gpuE0ELNS1_3repE0EEENS1_30default_config_static_selectorELNS0_4arch9wavefront6targetE0EEEvS12_.uses_vcc, 0
	.set _ZN7rocprim17ROCPRIM_400000_NS6detail17trampoline_kernelINS0_13select_configILj256ELj13ELNS0_17block_load_methodE3ELS4_3ELS4_3ELNS0_20block_scan_algorithmE0ELj4294967295EEENS1_25partition_config_selectorILNS1_17partition_subalgoE4EjNS0_10empty_typeEbEEZZNS1_14partition_implILS8_4ELb0ES6_15HIP_vector_typeIjLj2EENS0_17counting_iteratorIjlEEPS9_SG_NS0_5tupleIJPjSI_NS0_16reverse_iteratorISI_EEEEENSH_IJSG_SG_SG_EEES9_SI_JZNS1_25segmented_radix_sort_implINS0_14default_configELb1EPKsPsPKlPlN2at6native12_GLOBAL__N_18offset_tEEE10hipError_tPvRmT1_PNSt15iterator_traitsIS12_E10value_typeET2_T3_PNS13_IS18_E10value_typeET4_jRbjT5_S1E_jjP12ihipStream_tbEUljE_ZNSN_ISO_Lb1ESQ_SR_ST_SU_SY_EESZ_S10_S11_S12_S16_S17_S18_S1B_S1C_jS1D_jS1E_S1E_jjS1G_bEUljE0_EEESZ_S10_S11_S18_S1C_S1E_T6_T7_T9_mT8_S1G_bDpT10_ENKUlT_T0_E_clISt17integral_constantIbLb1EES1T_IbLb0EEEEDaS1P_S1Q_EUlS1P_E_NS1_11comp_targetILNS1_3genE0ELNS1_11target_archE4294967295ELNS1_3gpuE0ELNS1_3repE0EEENS1_30default_config_static_selectorELNS0_4arch9wavefront6targetE0EEEvS12_.uses_flat_scratch, 0
	.set _ZN7rocprim17ROCPRIM_400000_NS6detail17trampoline_kernelINS0_13select_configILj256ELj13ELNS0_17block_load_methodE3ELS4_3ELS4_3ELNS0_20block_scan_algorithmE0ELj4294967295EEENS1_25partition_config_selectorILNS1_17partition_subalgoE4EjNS0_10empty_typeEbEEZZNS1_14partition_implILS8_4ELb0ES6_15HIP_vector_typeIjLj2EENS0_17counting_iteratorIjlEEPS9_SG_NS0_5tupleIJPjSI_NS0_16reverse_iteratorISI_EEEEENSH_IJSG_SG_SG_EEES9_SI_JZNS1_25segmented_radix_sort_implINS0_14default_configELb1EPKsPsPKlPlN2at6native12_GLOBAL__N_18offset_tEEE10hipError_tPvRmT1_PNSt15iterator_traitsIS12_E10value_typeET2_T3_PNS13_IS18_E10value_typeET4_jRbjT5_S1E_jjP12ihipStream_tbEUljE_ZNSN_ISO_Lb1ESQ_SR_ST_SU_SY_EESZ_S10_S11_S12_S16_S17_S18_S1B_S1C_jS1D_jS1E_S1E_jjS1G_bEUljE0_EEESZ_S10_S11_S18_S1C_S1E_T6_T7_T9_mT8_S1G_bDpT10_ENKUlT_T0_E_clISt17integral_constantIbLb1EES1T_IbLb0EEEEDaS1P_S1Q_EUlS1P_E_NS1_11comp_targetILNS1_3genE0ELNS1_11target_archE4294967295ELNS1_3gpuE0ELNS1_3repE0EEENS1_30default_config_static_selectorELNS0_4arch9wavefront6targetE0EEEvS12_.has_dyn_sized_stack, 0
	.set _ZN7rocprim17ROCPRIM_400000_NS6detail17trampoline_kernelINS0_13select_configILj256ELj13ELNS0_17block_load_methodE3ELS4_3ELS4_3ELNS0_20block_scan_algorithmE0ELj4294967295EEENS1_25partition_config_selectorILNS1_17partition_subalgoE4EjNS0_10empty_typeEbEEZZNS1_14partition_implILS8_4ELb0ES6_15HIP_vector_typeIjLj2EENS0_17counting_iteratorIjlEEPS9_SG_NS0_5tupleIJPjSI_NS0_16reverse_iteratorISI_EEEEENSH_IJSG_SG_SG_EEES9_SI_JZNS1_25segmented_radix_sort_implINS0_14default_configELb1EPKsPsPKlPlN2at6native12_GLOBAL__N_18offset_tEEE10hipError_tPvRmT1_PNSt15iterator_traitsIS12_E10value_typeET2_T3_PNS13_IS18_E10value_typeET4_jRbjT5_S1E_jjP12ihipStream_tbEUljE_ZNSN_ISO_Lb1ESQ_SR_ST_SU_SY_EESZ_S10_S11_S12_S16_S17_S18_S1B_S1C_jS1D_jS1E_S1E_jjS1G_bEUljE0_EEESZ_S10_S11_S18_S1C_S1E_T6_T7_T9_mT8_S1G_bDpT10_ENKUlT_T0_E_clISt17integral_constantIbLb1EES1T_IbLb0EEEEDaS1P_S1Q_EUlS1P_E_NS1_11comp_targetILNS1_3genE0ELNS1_11target_archE4294967295ELNS1_3gpuE0ELNS1_3repE0EEENS1_30default_config_static_selectorELNS0_4arch9wavefront6targetE0EEEvS12_.has_recursion, 0
	.set _ZN7rocprim17ROCPRIM_400000_NS6detail17trampoline_kernelINS0_13select_configILj256ELj13ELNS0_17block_load_methodE3ELS4_3ELS4_3ELNS0_20block_scan_algorithmE0ELj4294967295EEENS1_25partition_config_selectorILNS1_17partition_subalgoE4EjNS0_10empty_typeEbEEZZNS1_14partition_implILS8_4ELb0ES6_15HIP_vector_typeIjLj2EENS0_17counting_iteratorIjlEEPS9_SG_NS0_5tupleIJPjSI_NS0_16reverse_iteratorISI_EEEEENSH_IJSG_SG_SG_EEES9_SI_JZNS1_25segmented_radix_sort_implINS0_14default_configELb1EPKsPsPKlPlN2at6native12_GLOBAL__N_18offset_tEEE10hipError_tPvRmT1_PNSt15iterator_traitsIS12_E10value_typeET2_T3_PNS13_IS18_E10value_typeET4_jRbjT5_S1E_jjP12ihipStream_tbEUljE_ZNSN_ISO_Lb1ESQ_SR_ST_SU_SY_EESZ_S10_S11_S12_S16_S17_S18_S1B_S1C_jS1D_jS1E_S1E_jjS1G_bEUljE0_EEESZ_S10_S11_S18_S1C_S1E_T6_T7_T9_mT8_S1G_bDpT10_ENKUlT_T0_E_clISt17integral_constantIbLb1EES1T_IbLb0EEEEDaS1P_S1Q_EUlS1P_E_NS1_11comp_targetILNS1_3genE0ELNS1_11target_archE4294967295ELNS1_3gpuE0ELNS1_3repE0EEENS1_30default_config_static_selectorELNS0_4arch9wavefront6targetE0EEEvS12_.has_indirect_call, 0
	.section	.AMDGPU.csdata,"",@progbits
; Kernel info:
; codeLenInByte = 0
; TotalNumSgprs: 0
; NumVgprs: 0
; ScratchSize: 0
; MemoryBound: 0
; FloatMode: 240
; IeeeMode: 1
; LDSByteSize: 0 bytes/workgroup (compile time only)
; SGPRBlocks: 0
; VGPRBlocks: 0
; NumSGPRsForWavesPerEU: 1
; NumVGPRsForWavesPerEU: 1
; Occupancy: 16
; WaveLimiterHint : 0
; COMPUTE_PGM_RSRC2:SCRATCH_EN: 0
; COMPUTE_PGM_RSRC2:USER_SGPR: 6
; COMPUTE_PGM_RSRC2:TRAP_HANDLER: 0
; COMPUTE_PGM_RSRC2:TGID_X_EN: 1
; COMPUTE_PGM_RSRC2:TGID_Y_EN: 0
; COMPUTE_PGM_RSRC2:TGID_Z_EN: 0
; COMPUTE_PGM_RSRC2:TIDIG_COMP_CNT: 0
	.section	.text._ZN7rocprim17ROCPRIM_400000_NS6detail17trampoline_kernelINS0_13select_configILj256ELj13ELNS0_17block_load_methodE3ELS4_3ELS4_3ELNS0_20block_scan_algorithmE0ELj4294967295EEENS1_25partition_config_selectorILNS1_17partition_subalgoE4EjNS0_10empty_typeEbEEZZNS1_14partition_implILS8_4ELb0ES6_15HIP_vector_typeIjLj2EENS0_17counting_iteratorIjlEEPS9_SG_NS0_5tupleIJPjSI_NS0_16reverse_iteratorISI_EEEEENSH_IJSG_SG_SG_EEES9_SI_JZNS1_25segmented_radix_sort_implINS0_14default_configELb1EPKsPsPKlPlN2at6native12_GLOBAL__N_18offset_tEEE10hipError_tPvRmT1_PNSt15iterator_traitsIS12_E10value_typeET2_T3_PNS13_IS18_E10value_typeET4_jRbjT5_S1E_jjP12ihipStream_tbEUljE_ZNSN_ISO_Lb1ESQ_SR_ST_SU_SY_EESZ_S10_S11_S12_S16_S17_S18_S1B_S1C_jS1D_jS1E_S1E_jjS1G_bEUljE0_EEESZ_S10_S11_S18_S1C_S1E_T6_T7_T9_mT8_S1G_bDpT10_ENKUlT_T0_E_clISt17integral_constantIbLb1EES1T_IbLb0EEEEDaS1P_S1Q_EUlS1P_E_NS1_11comp_targetILNS1_3genE5ELNS1_11target_archE942ELNS1_3gpuE9ELNS1_3repE0EEENS1_30default_config_static_selectorELNS0_4arch9wavefront6targetE0EEEvS12_,"axG",@progbits,_ZN7rocprim17ROCPRIM_400000_NS6detail17trampoline_kernelINS0_13select_configILj256ELj13ELNS0_17block_load_methodE3ELS4_3ELS4_3ELNS0_20block_scan_algorithmE0ELj4294967295EEENS1_25partition_config_selectorILNS1_17partition_subalgoE4EjNS0_10empty_typeEbEEZZNS1_14partition_implILS8_4ELb0ES6_15HIP_vector_typeIjLj2EENS0_17counting_iteratorIjlEEPS9_SG_NS0_5tupleIJPjSI_NS0_16reverse_iteratorISI_EEEEENSH_IJSG_SG_SG_EEES9_SI_JZNS1_25segmented_radix_sort_implINS0_14default_configELb1EPKsPsPKlPlN2at6native12_GLOBAL__N_18offset_tEEE10hipError_tPvRmT1_PNSt15iterator_traitsIS12_E10value_typeET2_T3_PNS13_IS18_E10value_typeET4_jRbjT5_S1E_jjP12ihipStream_tbEUljE_ZNSN_ISO_Lb1ESQ_SR_ST_SU_SY_EESZ_S10_S11_S12_S16_S17_S18_S1B_S1C_jS1D_jS1E_S1E_jjS1G_bEUljE0_EEESZ_S10_S11_S18_S1C_S1E_T6_T7_T9_mT8_S1G_bDpT10_ENKUlT_T0_E_clISt17integral_constantIbLb1EES1T_IbLb0EEEEDaS1P_S1Q_EUlS1P_E_NS1_11comp_targetILNS1_3genE5ELNS1_11target_archE942ELNS1_3gpuE9ELNS1_3repE0EEENS1_30default_config_static_selectorELNS0_4arch9wavefront6targetE0EEEvS12_,comdat
	.globl	_ZN7rocprim17ROCPRIM_400000_NS6detail17trampoline_kernelINS0_13select_configILj256ELj13ELNS0_17block_load_methodE3ELS4_3ELS4_3ELNS0_20block_scan_algorithmE0ELj4294967295EEENS1_25partition_config_selectorILNS1_17partition_subalgoE4EjNS0_10empty_typeEbEEZZNS1_14partition_implILS8_4ELb0ES6_15HIP_vector_typeIjLj2EENS0_17counting_iteratorIjlEEPS9_SG_NS0_5tupleIJPjSI_NS0_16reverse_iteratorISI_EEEEENSH_IJSG_SG_SG_EEES9_SI_JZNS1_25segmented_radix_sort_implINS0_14default_configELb1EPKsPsPKlPlN2at6native12_GLOBAL__N_18offset_tEEE10hipError_tPvRmT1_PNSt15iterator_traitsIS12_E10value_typeET2_T3_PNS13_IS18_E10value_typeET4_jRbjT5_S1E_jjP12ihipStream_tbEUljE_ZNSN_ISO_Lb1ESQ_SR_ST_SU_SY_EESZ_S10_S11_S12_S16_S17_S18_S1B_S1C_jS1D_jS1E_S1E_jjS1G_bEUljE0_EEESZ_S10_S11_S18_S1C_S1E_T6_T7_T9_mT8_S1G_bDpT10_ENKUlT_T0_E_clISt17integral_constantIbLb1EES1T_IbLb0EEEEDaS1P_S1Q_EUlS1P_E_NS1_11comp_targetILNS1_3genE5ELNS1_11target_archE942ELNS1_3gpuE9ELNS1_3repE0EEENS1_30default_config_static_selectorELNS0_4arch9wavefront6targetE0EEEvS12_ ; -- Begin function _ZN7rocprim17ROCPRIM_400000_NS6detail17trampoline_kernelINS0_13select_configILj256ELj13ELNS0_17block_load_methodE3ELS4_3ELS4_3ELNS0_20block_scan_algorithmE0ELj4294967295EEENS1_25partition_config_selectorILNS1_17partition_subalgoE4EjNS0_10empty_typeEbEEZZNS1_14partition_implILS8_4ELb0ES6_15HIP_vector_typeIjLj2EENS0_17counting_iteratorIjlEEPS9_SG_NS0_5tupleIJPjSI_NS0_16reverse_iteratorISI_EEEEENSH_IJSG_SG_SG_EEES9_SI_JZNS1_25segmented_radix_sort_implINS0_14default_configELb1EPKsPsPKlPlN2at6native12_GLOBAL__N_18offset_tEEE10hipError_tPvRmT1_PNSt15iterator_traitsIS12_E10value_typeET2_T3_PNS13_IS18_E10value_typeET4_jRbjT5_S1E_jjP12ihipStream_tbEUljE_ZNSN_ISO_Lb1ESQ_SR_ST_SU_SY_EESZ_S10_S11_S12_S16_S17_S18_S1B_S1C_jS1D_jS1E_S1E_jjS1G_bEUljE0_EEESZ_S10_S11_S18_S1C_S1E_T6_T7_T9_mT8_S1G_bDpT10_ENKUlT_T0_E_clISt17integral_constantIbLb1EES1T_IbLb0EEEEDaS1P_S1Q_EUlS1P_E_NS1_11comp_targetILNS1_3genE5ELNS1_11target_archE942ELNS1_3gpuE9ELNS1_3repE0EEENS1_30default_config_static_selectorELNS0_4arch9wavefront6targetE0EEEvS12_
	.p2align	8
	.type	_ZN7rocprim17ROCPRIM_400000_NS6detail17trampoline_kernelINS0_13select_configILj256ELj13ELNS0_17block_load_methodE3ELS4_3ELS4_3ELNS0_20block_scan_algorithmE0ELj4294967295EEENS1_25partition_config_selectorILNS1_17partition_subalgoE4EjNS0_10empty_typeEbEEZZNS1_14partition_implILS8_4ELb0ES6_15HIP_vector_typeIjLj2EENS0_17counting_iteratorIjlEEPS9_SG_NS0_5tupleIJPjSI_NS0_16reverse_iteratorISI_EEEEENSH_IJSG_SG_SG_EEES9_SI_JZNS1_25segmented_radix_sort_implINS0_14default_configELb1EPKsPsPKlPlN2at6native12_GLOBAL__N_18offset_tEEE10hipError_tPvRmT1_PNSt15iterator_traitsIS12_E10value_typeET2_T3_PNS13_IS18_E10value_typeET4_jRbjT5_S1E_jjP12ihipStream_tbEUljE_ZNSN_ISO_Lb1ESQ_SR_ST_SU_SY_EESZ_S10_S11_S12_S16_S17_S18_S1B_S1C_jS1D_jS1E_S1E_jjS1G_bEUljE0_EEESZ_S10_S11_S18_S1C_S1E_T6_T7_T9_mT8_S1G_bDpT10_ENKUlT_T0_E_clISt17integral_constantIbLb1EES1T_IbLb0EEEEDaS1P_S1Q_EUlS1P_E_NS1_11comp_targetILNS1_3genE5ELNS1_11target_archE942ELNS1_3gpuE9ELNS1_3repE0EEENS1_30default_config_static_selectorELNS0_4arch9wavefront6targetE0EEEvS12_,@function
_ZN7rocprim17ROCPRIM_400000_NS6detail17trampoline_kernelINS0_13select_configILj256ELj13ELNS0_17block_load_methodE3ELS4_3ELS4_3ELNS0_20block_scan_algorithmE0ELj4294967295EEENS1_25partition_config_selectorILNS1_17partition_subalgoE4EjNS0_10empty_typeEbEEZZNS1_14partition_implILS8_4ELb0ES6_15HIP_vector_typeIjLj2EENS0_17counting_iteratorIjlEEPS9_SG_NS0_5tupleIJPjSI_NS0_16reverse_iteratorISI_EEEEENSH_IJSG_SG_SG_EEES9_SI_JZNS1_25segmented_radix_sort_implINS0_14default_configELb1EPKsPsPKlPlN2at6native12_GLOBAL__N_18offset_tEEE10hipError_tPvRmT1_PNSt15iterator_traitsIS12_E10value_typeET2_T3_PNS13_IS18_E10value_typeET4_jRbjT5_S1E_jjP12ihipStream_tbEUljE_ZNSN_ISO_Lb1ESQ_SR_ST_SU_SY_EESZ_S10_S11_S12_S16_S17_S18_S1B_S1C_jS1D_jS1E_S1E_jjS1G_bEUljE0_EEESZ_S10_S11_S18_S1C_S1E_T6_T7_T9_mT8_S1G_bDpT10_ENKUlT_T0_E_clISt17integral_constantIbLb1EES1T_IbLb0EEEEDaS1P_S1Q_EUlS1P_E_NS1_11comp_targetILNS1_3genE5ELNS1_11target_archE942ELNS1_3gpuE9ELNS1_3repE0EEENS1_30default_config_static_selectorELNS0_4arch9wavefront6targetE0EEEvS12_: ; @_ZN7rocprim17ROCPRIM_400000_NS6detail17trampoline_kernelINS0_13select_configILj256ELj13ELNS0_17block_load_methodE3ELS4_3ELS4_3ELNS0_20block_scan_algorithmE0ELj4294967295EEENS1_25partition_config_selectorILNS1_17partition_subalgoE4EjNS0_10empty_typeEbEEZZNS1_14partition_implILS8_4ELb0ES6_15HIP_vector_typeIjLj2EENS0_17counting_iteratorIjlEEPS9_SG_NS0_5tupleIJPjSI_NS0_16reverse_iteratorISI_EEEEENSH_IJSG_SG_SG_EEES9_SI_JZNS1_25segmented_radix_sort_implINS0_14default_configELb1EPKsPsPKlPlN2at6native12_GLOBAL__N_18offset_tEEE10hipError_tPvRmT1_PNSt15iterator_traitsIS12_E10value_typeET2_T3_PNS13_IS18_E10value_typeET4_jRbjT5_S1E_jjP12ihipStream_tbEUljE_ZNSN_ISO_Lb1ESQ_SR_ST_SU_SY_EESZ_S10_S11_S12_S16_S17_S18_S1B_S1C_jS1D_jS1E_S1E_jjS1G_bEUljE0_EEESZ_S10_S11_S18_S1C_S1E_T6_T7_T9_mT8_S1G_bDpT10_ENKUlT_T0_E_clISt17integral_constantIbLb1EES1T_IbLb0EEEEDaS1P_S1Q_EUlS1P_E_NS1_11comp_targetILNS1_3genE5ELNS1_11target_archE942ELNS1_3gpuE9ELNS1_3repE0EEENS1_30default_config_static_selectorELNS0_4arch9wavefront6targetE0EEEvS12_
; %bb.0:
	.section	.rodata,"a",@progbits
	.p2align	6, 0x0
	.amdhsa_kernel _ZN7rocprim17ROCPRIM_400000_NS6detail17trampoline_kernelINS0_13select_configILj256ELj13ELNS0_17block_load_methodE3ELS4_3ELS4_3ELNS0_20block_scan_algorithmE0ELj4294967295EEENS1_25partition_config_selectorILNS1_17partition_subalgoE4EjNS0_10empty_typeEbEEZZNS1_14partition_implILS8_4ELb0ES6_15HIP_vector_typeIjLj2EENS0_17counting_iteratorIjlEEPS9_SG_NS0_5tupleIJPjSI_NS0_16reverse_iteratorISI_EEEEENSH_IJSG_SG_SG_EEES9_SI_JZNS1_25segmented_radix_sort_implINS0_14default_configELb1EPKsPsPKlPlN2at6native12_GLOBAL__N_18offset_tEEE10hipError_tPvRmT1_PNSt15iterator_traitsIS12_E10value_typeET2_T3_PNS13_IS18_E10value_typeET4_jRbjT5_S1E_jjP12ihipStream_tbEUljE_ZNSN_ISO_Lb1ESQ_SR_ST_SU_SY_EESZ_S10_S11_S12_S16_S17_S18_S1B_S1C_jS1D_jS1E_S1E_jjS1G_bEUljE0_EEESZ_S10_S11_S18_S1C_S1E_T6_T7_T9_mT8_S1G_bDpT10_ENKUlT_T0_E_clISt17integral_constantIbLb1EES1T_IbLb0EEEEDaS1P_S1Q_EUlS1P_E_NS1_11comp_targetILNS1_3genE5ELNS1_11target_archE942ELNS1_3gpuE9ELNS1_3repE0EEENS1_30default_config_static_selectorELNS0_4arch9wavefront6targetE0EEEvS12_
		.amdhsa_group_segment_fixed_size 0
		.amdhsa_private_segment_fixed_size 0
		.amdhsa_kernarg_size 176
		.amdhsa_user_sgpr_count 6
		.amdhsa_user_sgpr_private_segment_buffer 1
		.amdhsa_user_sgpr_dispatch_ptr 0
		.amdhsa_user_sgpr_queue_ptr 0
		.amdhsa_user_sgpr_kernarg_segment_ptr 1
		.amdhsa_user_sgpr_dispatch_id 0
		.amdhsa_user_sgpr_flat_scratch_init 0
		.amdhsa_user_sgpr_private_segment_size 0
		.amdhsa_wavefront_size32 1
		.amdhsa_uses_dynamic_stack 0
		.amdhsa_system_sgpr_private_segment_wavefront_offset 0
		.amdhsa_system_sgpr_workgroup_id_x 1
		.amdhsa_system_sgpr_workgroup_id_y 0
		.amdhsa_system_sgpr_workgroup_id_z 0
		.amdhsa_system_sgpr_workgroup_info 0
		.amdhsa_system_vgpr_workitem_id 0
		.amdhsa_next_free_vgpr 1
		.amdhsa_next_free_sgpr 1
		.amdhsa_reserve_vcc 0
		.amdhsa_reserve_flat_scratch 0
		.amdhsa_float_round_mode_32 0
		.amdhsa_float_round_mode_16_64 0
		.amdhsa_float_denorm_mode_32 3
		.amdhsa_float_denorm_mode_16_64 3
		.amdhsa_dx10_clamp 1
		.amdhsa_ieee_mode 1
		.amdhsa_fp16_overflow 0
		.amdhsa_workgroup_processor_mode 1
		.amdhsa_memory_ordered 1
		.amdhsa_forward_progress 1
		.amdhsa_shared_vgpr_count 0
		.amdhsa_exception_fp_ieee_invalid_op 0
		.amdhsa_exception_fp_denorm_src 0
		.amdhsa_exception_fp_ieee_div_zero 0
		.amdhsa_exception_fp_ieee_overflow 0
		.amdhsa_exception_fp_ieee_underflow 0
		.amdhsa_exception_fp_ieee_inexact 0
		.amdhsa_exception_int_div_zero 0
	.end_amdhsa_kernel
	.section	.text._ZN7rocprim17ROCPRIM_400000_NS6detail17trampoline_kernelINS0_13select_configILj256ELj13ELNS0_17block_load_methodE3ELS4_3ELS4_3ELNS0_20block_scan_algorithmE0ELj4294967295EEENS1_25partition_config_selectorILNS1_17partition_subalgoE4EjNS0_10empty_typeEbEEZZNS1_14partition_implILS8_4ELb0ES6_15HIP_vector_typeIjLj2EENS0_17counting_iteratorIjlEEPS9_SG_NS0_5tupleIJPjSI_NS0_16reverse_iteratorISI_EEEEENSH_IJSG_SG_SG_EEES9_SI_JZNS1_25segmented_radix_sort_implINS0_14default_configELb1EPKsPsPKlPlN2at6native12_GLOBAL__N_18offset_tEEE10hipError_tPvRmT1_PNSt15iterator_traitsIS12_E10value_typeET2_T3_PNS13_IS18_E10value_typeET4_jRbjT5_S1E_jjP12ihipStream_tbEUljE_ZNSN_ISO_Lb1ESQ_SR_ST_SU_SY_EESZ_S10_S11_S12_S16_S17_S18_S1B_S1C_jS1D_jS1E_S1E_jjS1G_bEUljE0_EEESZ_S10_S11_S18_S1C_S1E_T6_T7_T9_mT8_S1G_bDpT10_ENKUlT_T0_E_clISt17integral_constantIbLb1EES1T_IbLb0EEEEDaS1P_S1Q_EUlS1P_E_NS1_11comp_targetILNS1_3genE5ELNS1_11target_archE942ELNS1_3gpuE9ELNS1_3repE0EEENS1_30default_config_static_selectorELNS0_4arch9wavefront6targetE0EEEvS12_,"axG",@progbits,_ZN7rocprim17ROCPRIM_400000_NS6detail17trampoline_kernelINS0_13select_configILj256ELj13ELNS0_17block_load_methodE3ELS4_3ELS4_3ELNS0_20block_scan_algorithmE0ELj4294967295EEENS1_25partition_config_selectorILNS1_17partition_subalgoE4EjNS0_10empty_typeEbEEZZNS1_14partition_implILS8_4ELb0ES6_15HIP_vector_typeIjLj2EENS0_17counting_iteratorIjlEEPS9_SG_NS0_5tupleIJPjSI_NS0_16reverse_iteratorISI_EEEEENSH_IJSG_SG_SG_EEES9_SI_JZNS1_25segmented_radix_sort_implINS0_14default_configELb1EPKsPsPKlPlN2at6native12_GLOBAL__N_18offset_tEEE10hipError_tPvRmT1_PNSt15iterator_traitsIS12_E10value_typeET2_T3_PNS13_IS18_E10value_typeET4_jRbjT5_S1E_jjP12ihipStream_tbEUljE_ZNSN_ISO_Lb1ESQ_SR_ST_SU_SY_EESZ_S10_S11_S12_S16_S17_S18_S1B_S1C_jS1D_jS1E_S1E_jjS1G_bEUljE0_EEESZ_S10_S11_S18_S1C_S1E_T6_T7_T9_mT8_S1G_bDpT10_ENKUlT_T0_E_clISt17integral_constantIbLb1EES1T_IbLb0EEEEDaS1P_S1Q_EUlS1P_E_NS1_11comp_targetILNS1_3genE5ELNS1_11target_archE942ELNS1_3gpuE9ELNS1_3repE0EEENS1_30default_config_static_selectorELNS0_4arch9wavefront6targetE0EEEvS12_,comdat
.Lfunc_end858:
	.size	_ZN7rocprim17ROCPRIM_400000_NS6detail17trampoline_kernelINS0_13select_configILj256ELj13ELNS0_17block_load_methodE3ELS4_3ELS4_3ELNS0_20block_scan_algorithmE0ELj4294967295EEENS1_25partition_config_selectorILNS1_17partition_subalgoE4EjNS0_10empty_typeEbEEZZNS1_14partition_implILS8_4ELb0ES6_15HIP_vector_typeIjLj2EENS0_17counting_iteratorIjlEEPS9_SG_NS0_5tupleIJPjSI_NS0_16reverse_iteratorISI_EEEEENSH_IJSG_SG_SG_EEES9_SI_JZNS1_25segmented_radix_sort_implINS0_14default_configELb1EPKsPsPKlPlN2at6native12_GLOBAL__N_18offset_tEEE10hipError_tPvRmT1_PNSt15iterator_traitsIS12_E10value_typeET2_T3_PNS13_IS18_E10value_typeET4_jRbjT5_S1E_jjP12ihipStream_tbEUljE_ZNSN_ISO_Lb1ESQ_SR_ST_SU_SY_EESZ_S10_S11_S12_S16_S17_S18_S1B_S1C_jS1D_jS1E_S1E_jjS1G_bEUljE0_EEESZ_S10_S11_S18_S1C_S1E_T6_T7_T9_mT8_S1G_bDpT10_ENKUlT_T0_E_clISt17integral_constantIbLb1EES1T_IbLb0EEEEDaS1P_S1Q_EUlS1P_E_NS1_11comp_targetILNS1_3genE5ELNS1_11target_archE942ELNS1_3gpuE9ELNS1_3repE0EEENS1_30default_config_static_selectorELNS0_4arch9wavefront6targetE0EEEvS12_, .Lfunc_end858-_ZN7rocprim17ROCPRIM_400000_NS6detail17trampoline_kernelINS0_13select_configILj256ELj13ELNS0_17block_load_methodE3ELS4_3ELS4_3ELNS0_20block_scan_algorithmE0ELj4294967295EEENS1_25partition_config_selectorILNS1_17partition_subalgoE4EjNS0_10empty_typeEbEEZZNS1_14partition_implILS8_4ELb0ES6_15HIP_vector_typeIjLj2EENS0_17counting_iteratorIjlEEPS9_SG_NS0_5tupleIJPjSI_NS0_16reverse_iteratorISI_EEEEENSH_IJSG_SG_SG_EEES9_SI_JZNS1_25segmented_radix_sort_implINS0_14default_configELb1EPKsPsPKlPlN2at6native12_GLOBAL__N_18offset_tEEE10hipError_tPvRmT1_PNSt15iterator_traitsIS12_E10value_typeET2_T3_PNS13_IS18_E10value_typeET4_jRbjT5_S1E_jjP12ihipStream_tbEUljE_ZNSN_ISO_Lb1ESQ_SR_ST_SU_SY_EESZ_S10_S11_S12_S16_S17_S18_S1B_S1C_jS1D_jS1E_S1E_jjS1G_bEUljE0_EEESZ_S10_S11_S18_S1C_S1E_T6_T7_T9_mT8_S1G_bDpT10_ENKUlT_T0_E_clISt17integral_constantIbLb1EES1T_IbLb0EEEEDaS1P_S1Q_EUlS1P_E_NS1_11comp_targetILNS1_3genE5ELNS1_11target_archE942ELNS1_3gpuE9ELNS1_3repE0EEENS1_30default_config_static_selectorELNS0_4arch9wavefront6targetE0EEEvS12_
                                        ; -- End function
	.set _ZN7rocprim17ROCPRIM_400000_NS6detail17trampoline_kernelINS0_13select_configILj256ELj13ELNS0_17block_load_methodE3ELS4_3ELS4_3ELNS0_20block_scan_algorithmE0ELj4294967295EEENS1_25partition_config_selectorILNS1_17partition_subalgoE4EjNS0_10empty_typeEbEEZZNS1_14partition_implILS8_4ELb0ES6_15HIP_vector_typeIjLj2EENS0_17counting_iteratorIjlEEPS9_SG_NS0_5tupleIJPjSI_NS0_16reverse_iteratorISI_EEEEENSH_IJSG_SG_SG_EEES9_SI_JZNS1_25segmented_radix_sort_implINS0_14default_configELb1EPKsPsPKlPlN2at6native12_GLOBAL__N_18offset_tEEE10hipError_tPvRmT1_PNSt15iterator_traitsIS12_E10value_typeET2_T3_PNS13_IS18_E10value_typeET4_jRbjT5_S1E_jjP12ihipStream_tbEUljE_ZNSN_ISO_Lb1ESQ_SR_ST_SU_SY_EESZ_S10_S11_S12_S16_S17_S18_S1B_S1C_jS1D_jS1E_S1E_jjS1G_bEUljE0_EEESZ_S10_S11_S18_S1C_S1E_T6_T7_T9_mT8_S1G_bDpT10_ENKUlT_T0_E_clISt17integral_constantIbLb1EES1T_IbLb0EEEEDaS1P_S1Q_EUlS1P_E_NS1_11comp_targetILNS1_3genE5ELNS1_11target_archE942ELNS1_3gpuE9ELNS1_3repE0EEENS1_30default_config_static_selectorELNS0_4arch9wavefront6targetE0EEEvS12_.num_vgpr, 0
	.set _ZN7rocprim17ROCPRIM_400000_NS6detail17trampoline_kernelINS0_13select_configILj256ELj13ELNS0_17block_load_methodE3ELS4_3ELS4_3ELNS0_20block_scan_algorithmE0ELj4294967295EEENS1_25partition_config_selectorILNS1_17partition_subalgoE4EjNS0_10empty_typeEbEEZZNS1_14partition_implILS8_4ELb0ES6_15HIP_vector_typeIjLj2EENS0_17counting_iteratorIjlEEPS9_SG_NS0_5tupleIJPjSI_NS0_16reverse_iteratorISI_EEEEENSH_IJSG_SG_SG_EEES9_SI_JZNS1_25segmented_radix_sort_implINS0_14default_configELb1EPKsPsPKlPlN2at6native12_GLOBAL__N_18offset_tEEE10hipError_tPvRmT1_PNSt15iterator_traitsIS12_E10value_typeET2_T3_PNS13_IS18_E10value_typeET4_jRbjT5_S1E_jjP12ihipStream_tbEUljE_ZNSN_ISO_Lb1ESQ_SR_ST_SU_SY_EESZ_S10_S11_S12_S16_S17_S18_S1B_S1C_jS1D_jS1E_S1E_jjS1G_bEUljE0_EEESZ_S10_S11_S18_S1C_S1E_T6_T7_T9_mT8_S1G_bDpT10_ENKUlT_T0_E_clISt17integral_constantIbLb1EES1T_IbLb0EEEEDaS1P_S1Q_EUlS1P_E_NS1_11comp_targetILNS1_3genE5ELNS1_11target_archE942ELNS1_3gpuE9ELNS1_3repE0EEENS1_30default_config_static_selectorELNS0_4arch9wavefront6targetE0EEEvS12_.num_agpr, 0
	.set _ZN7rocprim17ROCPRIM_400000_NS6detail17trampoline_kernelINS0_13select_configILj256ELj13ELNS0_17block_load_methodE3ELS4_3ELS4_3ELNS0_20block_scan_algorithmE0ELj4294967295EEENS1_25partition_config_selectorILNS1_17partition_subalgoE4EjNS0_10empty_typeEbEEZZNS1_14partition_implILS8_4ELb0ES6_15HIP_vector_typeIjLj2EENS0_17counting_iteratorIjlEEPS9_SG_NS0_5tupleIJPjSI_NS0_16reverse_iteratorISI_EEEEENSH_IJSG_SG_SG_EEES9_SI_JZNS1_25segmented_radix_sort_implINS0_14default_configELb1EPKsPsPKlPlN2at6native12_GLOBAL__N_18offset_tEEE10hipError_tPvRmT1_PNSt15iterator_traitsIS12_E10value_typeET2_T3_PNS13_IS18_E10value_typeET4_jRbjT5_S1E_jjP12ihipStream_tbEUljE_ZNSN_ISO_Lb1ESQ_SR_ST_SU_SY_EESZ_S10_S11_S12_S16_S17_S18_S1B_S1C_jS1D_jS1E_S1E_jjS1G_bEUljE0_EEESZ_S10_S11_S18_S1C_S1E_T6_T7_T9_mT8_S1G_bDpT10_ENKUlT_T0_E_clISt17integral_constantIbLb1EES1T_IbLb0EEEEDaS1P_S1Q_EUlS1P_E_NS1_11comp_targetILNS1_3genE5ELNS1_11target_archE942ELNS1_3gpuE9ELNS1_3repE0EEENS1_30default_config_static_selectorELNS0_4arch9wavefront6targetE0EEEvS12_.numbered_sgpr, 0
	.set _ZN7rocprim17ROCPRIM_400000_NS6detail17trampoline_kernelINS0_13select_configILj256ELj13ELNS0_17block_load_methodE3ELS4_3ELS4_3ELNS0_20block_scan_algorithmE0ELj4294967295EEENS1_25partition_config_selectorILNS1_17partition_subalgoE4EjNS0_10empty_typeEbEEZZNS1_14partition_implILS8_4ELb0ES6_15HIP_vector_typeIjLj2EENS0_17counting_iteratorIjlEEPS9_SG_NS0_5tupleIJPjSI_NS0_16reverse_iteratorISI_EEEEENSH_IJSG_SG_SG_EEES9_SI_JZNS1_25segmented_radix_sort_implINS0_14default_configELb1EPKsPsPKlPlN2at6native12_GLOBAL__N_18offset_tEEE10hipError_tPvRmT1_PNSt15iterator_traitsIS12_E10value_typeET2_T3_PNS13_IS18_E10value_typeET4_jRbjT5_S1E_jjP12ihipStream_tbEUljE_ZNSN_ISO_Lb1ESQ_SR_ST_SU_SY_EESZ_S10_S11_S12_S16_S17_S18_S1B_S1C_jS1D_jS1E_S1E_jjS1G_bEUljE0_EEESZ_S10_S11_S18_S1C_S1E_T6_T7_T9_mT8_S1G_bDpT10_ENKUlT_T0_E_clISt17integral_constantIbLb1EES1T_IbLb0EEEEDaS1P_S1Q_EUlS1P_E_NS1_11comp_targetILNS1_3genE5ELNS1_11target_archE942ELNS1_3gpuE9ELNS1_3repE0EEENS1_30default_config_static_selectorELNS0_4arch9wavefront6targetE0EEEvS12_.num_named_barrier, 0
	.set _ZN7rocprim17ROCPRIM_400000_NS6detail17trampoline_kernelINS0_13select_configILj256ELj13ELNS0_17block_load_methodE3ELS4_3ELS4_3ELNS0_20block_scan_algorithmE0ELj4294967295EEENS1_25partition_config_selectorILNS1_17partition_subalgoE4EjNS0_10empty_typeEbEEZZNS1_14partition_implILS8_4ELb0ES6_15HIP_vector_typeIjLj2EENS0_17counting_iteratorIjlEEPS9_SG_NS0_5tupleIJPjSI_NS0_16reverse_iteratorISI_EEEEENSH_IJSG_SG_SG_EEES9_SI_JZNS1_25segmented_radix_sort_implINS0_14default_configELb1EPKsPsPKlPlN2at6native12_GLOBAL__N_18offset_tEEE10hipError_tPvRmT1_PNSt15iterator_traitsIS12_E10value_typeET2_T3_PNS13_IS18_E10value_typeET4_jRbjT5_S1E_jjP12ihipStream_tbEUljE_ZNSN_ISO_Lb1ESQ_SR_ST_SU_SY_EESZ_S10_S11_S12_S16_S17_S18_S1B_S1C_jS1D_jS1E_S1E_jjS1G_bEUljE0_EEESZ_S10_S11_S18_S1C_S1E_T6_T7_T9_mT8_S1G_bDpT10_ENKUlT_T0_E_clISt17integral_constantIbLb1EES1T_IbLb0EEEEDaS1P_S1Q_EUlS1P_E_NS1_11comp_targetILNS1_3genE5ELNS1_11target_archE942ELNS1_3gpuE9ELNS1_3repE0EEENS1_30default_config_static_selectorELNS0_4arch9wavefront6targetE0EEEvS12_.private_seg_size, 0
	.set _ZN7rocprim17ROCPRIM_400000_NS6detail17trampoline_kernelINS0_13select_configILj256ELj13ELNS0_17block_load_methodE3ELS4_3ELS4_3ELNS0_20block_scan_algorithmE0ELj4294967295EEENS1_25partition_config_selectorILNS1_17partition_subalgoE4EjNS0_10empty_typeEbEEZZNS1_14partition_implILS8_4ELb0ES6_15HIP_vector_typeIjLj2EENS0_17counting_iteratorIjlEEPS9_SG_NS0_5tupleIJPjSI_NS0_16reverse_iteratorISI_EEEEENSH_IJSG_SG_SG_EEES9_SI_JZNS1_25segmented_radix_sort_implINS0_14default_configELb1EPKsPsPKlPlN2at6native12_GLOBAL__N_18offset_tEEE10hipError_tPvRmT1_PNSt15iterator_traitsIS12_E10value_typeET2_T3_PNS13_IS18_E10value_typeET4_jRbjT5_S1E_jjP12ihipStream_tbEUljE_ZNSN_ISO_Lb1ESQ_SR_ST_SU_SY_EESZ_S10_S11_S12_S16_S17_S18_S1B_S1C_jS1D_jS1E_S1E_jjS1G_bEUljE0_EEESZ_S10_S11_S18_S1C_S1E_T6_T7_T9_mT8_S1G_bDpT10_ENKUlT_T0_E_clISt17integral_constantIbLb1EES1T_IbLb0EEEEDaS1P_S1Q_EUlS1P_E_NS1_11comp_targetILNS1_3genE5ELNS1_11target_archE942ELNS1_3gpuE9ELNS1_3repE0EEENS1_30default_config_static_selectorELNS0_4arch9wavefront6targetE0EEEvS12_.uses_vcc, 0
	.set _ZN7rocprim17ROCPRIM_400000_NS6detail17trampoline_kernelINS0_13select_configILj256ELj13ELNS0_17block_load_methodE3ELS4_3ELS4_3ELNS0_20block_scan_algorithmE0ELj4294967295EEENS1_25partition_config_selectorILNS1_17partition_subalgoE4EjNS0_10empty_typeEbEEZZNS1_14partition_implILS8_4ELb0ES6_15HIP_vector_typeIjLj2EENS0_17counting_iteratorIjlEEPS9_SG_NS0_5tupleIJPjSI_NS0_16reverse_iteratorISI_EEEEENSH_IJSG_SG_SG_EEES9_SI_JZNS1_25segmented_radix_sort_implINS0_14default_configELb1EPKsPsPKlPlN2at6native12_GLOBAL__N_18offset_tEEE10hipError_tPvRmT1_PNSt15iterator_traitsIS12_E10value_typeET2_T3_PNS13_IS18_E10value_typeET4_jRbjT5_S1E_jjP12ihipStream_tbEUljE_ZNSN_ISO_Lb1ESQ_SR_ST_SU_SY_EESZ_S10_S11_S12_S16_S17_S18_S1B_S1C_jS1D_jS1E_S1E_jjS1G_bEUljE0_EEESZ_S10_S11_S18_S1C_S1E_T6_T7_T9_mT8_S1G_bDpT10_ENKUlT_T0_E_clISt17integral_constantIbLb1EES1T_IbLb0EEEEDaS1P_S1Q_EUlS1P_E_NS1_11comp_targetILNS1_3genE5ELNS1_11target_archE942ELNS1_3gpuE9ELNS1_3repE0EEENS1_30default_config_static_selectorELNS0_4arch9wavefront6targetE0EEEvS12_.uses_flat_scratch, 0
	.set _ZN7rocprim17ROCPRIM_400000_NS6detail17trampoline_kernelINS0_13select_configILj256ELj13ELNS0_17block_load_methodE3ELS4_3ELS4_3ELNS0_20block_scan_algorithmE0ELj4294967295EEENS1_25partition_config_selectorILNS1_17partition_subalgoE4EjNS0_10empty_typeEbEEZZNS1_14partition_implILS8_4ELb0ES6_15HIP_vector_typeIjLj2EENS0_17counting_iteratorIjlEEPS9_SG_NS0_5tupleIJPjSI_NS0_16reverse_iteratorISI_EEEEENSH_IJSG_SG_SG_EEES9_SI_JZNS1_25segmented_radix_sort_implINS0_14default_configELb1EPKsPsPKlPlN2at6native12_GLOBAL__N_18offset_tEEE10hipError_tPvRmT1_PNSt15iterator_traitsIS12_E10value_typeET2_T3_PNS13_IS18_E10value_typeET4_jRbjT5_S1E_jjP12ihipStream_tbEUljE_ZNSN_ISO_Lb1ESQ_SR_ST_SU_SY_EESZ_S10_S11_S12_S16_S17_S18_S1B_S1C_jS1D_jS1E_S1E_jjS1G_bEUljE0_EEESZ_S10_S11_S18_S1C_S1E_T6_T7_T9_mT8_S1G_bDpT10_ENKUlT_T0_E_clISt17integral_constantIbLb1EES1T_IbLb0EEEEDaS1P_S1Q_EUlS1P_E_NS1_11comp_targetILNS1_3genE5ELNS1_11target_archE942ELNS1_3gpuE9ELNS1_3repE0EEENS1_30default_config_static_selectorELNS0_4arch9wavefront6targetE0EEEvS12_.has_dyn_sized_stack, 0
	.set _ZN7rocprim17ROCPRIM_400000_NS6detail17trampoline_kernelINS0_13select_configILj256ELj13ELNS0_17block_load_methodE3ELS4_3ELS4_3ELNS0_20block_scan_algorithmE0ELj4294967295EEENS1_25partition_config_selectorILNS1_17partition_subalgoE4EjNS0_10empty_typeEbEEZZNS1_14partition_implILS8_4ELb0ES6_15HIP_vector_typeIjLj2EENS0_17counting_iteratorIjlEEPS9_SG_NS0_5tupleIJPjSI_NS0_16reverse_iteratorISI_EEEEENSH_IJSG_SG_SG_EEES9_SI_JZNS1_25segmented_radix_sort_implINS0_14default_configELb1EPKsPsPKlPlN2at6native12_GLOBAL__N_18offset_tEEE10hipError_tPvRmT1_PNSt15iterator_traitsIS12_E10value_typeET2_T3_PNS13_IS18_E10value_typeET4_jRbjT5_S1E_jjP12ihipStream_tbEUljE_ZNSN_ISO_Lb1ESQ_SR_ST_SU_SY_EESZ_S10_S11_S12_S16_S17_S18_S1B_S1C_jS1D_jS1E_S1E_jjS1G_bEUljE0_EEESZ_S10_S11_S18_S1C_S1E_T6_T7_T9_mT8_S1G_bDpT10_ENKUlT_T0_E_clISt17integral_constantIbLb1EES1T_IbLb0EEEEDaS1P_S1Q_EUlS1P_E_NS1_11comp_targetILNS1_3genE5ELNS1_11target_archE942ELNS1_3gpuE9ELNS1_3repE0EEENS1_30default_config_static_selectorELNS0_4arch9wavefront6targetE0EEEvS12_.has_recursion, 0
	.set _ZN7rocprim17ROCPRIM_400000_NS6detail17trampoline_kernelINS0_13select_configILj256ELj13ELNS0_17block_load_methodE3ELS4_3ELS4_3ELNS0_20block_scan_algorithmE0ELj4294967295EEENS1_25partition_config_selectorILNS1_17partition_subalgoE4EjNS0_10empty_typeEbEEZZNS1_14partition_implILS8_4ELb0ES6_15HIP_vector_typeIjLj2EENS0_17counting_iteratorIjlEEPS9_SG_NS0_5tupleIJPjSI_NS0_16reverse_iteratorISI_EEEEENSH_IJSG_SG_SG_EEES9_SI_JZNS1_25segmented_radix_sort_implINS0_14default_configELb1EPKsPsPKlPlN2at6native12_GLOBAL__N_18offset_tEEE10hipError_tPvRmT1_PNSt15iterator_traitsIS12_E10value_typeET2_T3_PNS13_IS18_E10value_typeET4_jRbjT5_S1E_jjP12ihipStream_tbEUljE_ZNSN_ISO_Lb1ESQ_SR_ST_SU_SY_EESZ_S10_S11_S12_S16_S17_S18_S1B_S1C_jS1D_jS1E_S1E_jjS1G_bEUljE0_EEESZ_S10_S11_S18_S1C_S1E_T6_T7_T9_mT8_S1G_bDpT10_ENKUlT_T0_E_clISt17integral_constantIbLb1EES1T_IbLb0EEEEDaS1P_S1Q_EUlS1P_E_NS1_11comp_targetILNS1_3genE5ELNS1_11target_archE942ELNS1_3gpuE9ELNS1_3repE0EEENS1_30default_config_static_selectorELNS0_4arch9wavefront6targetE0EEEvS12_.has_indirect_call, 0
	.section	.AMDGPU.csdata,"",@progbits
; Kernel info:
; codeLenInByte = 0
; TotalNumSgprs: 0
; NumVgprs: 0
; ScratchSize: 0
; MemoryBound: 0
; FloatMode: 240
; IeeeMode: 1
; LDSByteSize: 0 bytes/workgroup (compile time only)
; SGPRBlocks: 0
; VGPRBlocks: 0
; NumSGPRsForWavesPerEU: 1
; NumVGPRsForWavesPerEU: 1
; Occupancy: 16
; WaveLimiterHint : 0
; COMPUTE_PGM_RSRC2:SCRATCH_EN: 0
; COMPUTE_PGM_RSRC2:USER_SGPR: 6
; COMPUTE_PGM_RSRC2:TRAP_HANDLER: 0
; COMPUTE_PGM_RSRC2:TGID_X_EN: 1
; COMPUTE_PGM_RSRC2:TGID_Y_EN: 0
; COMPUTE_PGM_RSRC2:TGID_Z_EN: 0
; COMPUTE_PGM_RSRC2:TIDIG_COMP_CNT: 0
	.section	.text._ZN7rocprim17ROCPRIM_400000_NS6detail17trampoline_kernelINS0_13select_configILj256ELj13ELNS0_17block_load_methodE3ELS4_3ELS4_3ELNS0_20block_scan_algorithmE0ELj4294967295EEENS1_25partition_config_selectorILNS1_17partition_subalgoE4EjNS0_10empty_typeEbEEZZNS1_14partition_implILS8_4ELb0ES6_15HIP_vector_typeIjLj2EENS0_17counting_iteratorIjlEEPS9_SG_NS0_5tupleIJPjSI_NS0_16reverse_iteratorISI_EEEEENSH_IJSG_SG_SG_EEES9_SI_JZNS1_25segmented_radix_sort_implINS0_14default_configELb1EPKsPsPKlPlN2at6native12_GLOBAL__N_18offset_tEEE10hipError_tPvRmT1_PNSt15iterator_traitsIS12_E10value_typeET2_T3_PNS13_IS18_E10value_typeET4_jRbjT5_S1E_jjP12ihipStream_tbEUljE_ZNSN_ISO_Lb1ESQ_SR_ST_SU_SY_EESZ_S10_S11_S12_S16_S17_S18_S1B_S1C_jS1D_jS1E_S1E_jjS1G_bEUljE0_EEESZ_S10_S11_S18_S1C_S1E_T6_T7_T9_mT8_S1G_bDpT10_ENKUlT_T0_E_clISt17integral_constantIbLb1EES1T_IbLb0EEEEDaS1P_S1Q_EUlS1P_E_NS1_11comp_targetILNS1_3genE4ELNS1_11target_archE910ELNS1_3gpuE8ELNS1_3repE0EEENS1_30default_config_static_selectorELNS0_4arch9wavefront6targetE0EEEvS12_,"axG",@progbits,_ZN7rocprim17ROCPRIM_400000_NS6detail17trampoline_kernelINS0_13select_configILj256ELj13ELNS0_17block_load_methodE3ELS4_3ELS4_3ELNS0_20block_scan_algorithmE0ELj4294967295EEENS1_25partition_config_selectorILNS1_17partition_subalgoE4EjNS0_10empty_typeEbEEZZNS1_14partition_implILS8_4ELb0ES6_15HIP_vector_typeIjLj2EENS0_17counting_iteratorIjlEEPS9_SG_NS0_5tupleIJPjSI_NS0_16reverse_iteratorISI_EEEEENSH_IJSG_SG_SG_EEES9_SI_JZNS1_25segmented_radix_sort_implINS0_14default_configELb1EPKsPsPKlPlN2at6native12_GLOBAL__N_18offset_tEEE10hipError_tPvRmT1_PNSt15iterator_traitsIS12_E10value_typeET2_T3_PNS13_IS18_E10value_typeET4_jRbjT5_S1E_jjP12ihipStream_tbEUljE_ZNSN_ISO_Lb1ESQ_SR_ST_SU_SY_EESZ_S10_S11_S12_S16_S17_S18_S1B_S1C_jS1D_jS1E_S1E_jjS1G_bEUljE0_EEESZ_S10_S11_S18_S1C_S1E_T6_T7_T9_mT8_S1G_bDpT10_ENKUlT_T0_E_clISt17integral_constantIbLb1EES1T_IbLb0EEEEDaS1P_S1Q_EUlS1P_E_NS1_11comp_targetILNS1_3genE4ELNS1_11target_archE910ELNS1_3gpuE8ELNS1_3repE0EEENS1_30default_config_static_selectorELNS0_4arch9wavefront6targetE0EEEvS12_,comdat
	.globl	_ZN7rocprim17ROCPRIM_400000_NS6detail17trampoline_kernelINS0_13select_configILj256ELj13ELNS0_17block_load_methodE3ELS4_3ELS4_3ELNS0_20block_scan_algorithmE0ELj4294967295EEENS1_25partition_config_selectorILNS1_17partition_subalgoE4EjNS0_10empty_typeEbEEZZNS1_14partition_implILS8_4ELb0ES6_15HIP_vector_typeIjLj2EENS0_17counting_iteratorIjlEEPS9_SG_NS0_5tupleIJPjSI_NS0_16reverse_iteratorISI_EEEEENSH_IJSG_SG_SG_EEES9_SI_JZNS1_25segmented_radix_sort_implINS0_14default_configELb1EPKsPsPKlPlN2at6native12_GLOBAL__N_18offset_tEEE10hipError_tPvRmT1_PNSt15iterator_traitsIS12_E10value_typeET2_T3_PNS13_IS18_E10value_typeET4_jRbjT5_S1E_jjP12ihipStream_tbEUljE_ZNSN_ISO_Lb1ESQ_SR_ST_SU_SY_EESZ_S10_S11_S12_S16_S17_S18_S1B_S1C_jS1D_jS1E_S1E_jjS1G_bEUljE0_EEESZ_S10_S11_S18_S1C_S1E_T6_T7_T9_mT8_S1G_bDpT10_ENKUlT_T0_E_clISt17integral_constantIbLb1EES1T_IbLb0EEEEDaS1P_S1Q_EUlS1P_E_NS1_11comp_targetILNS1_3genE4ELNS1_11target_archE910ELNS1_3gpuE8ELNS1_3repE0EEENS1_30default_config_static_selectorELNS0_4arch9wavefront6targetE0EEEvS12_ ; -- Begin function _ZN7rocprim17ROCPRIM_400000_NS6detail17trampoline_kernelINS0_13select_configILj256ELj13ELNS0_17block_load_methodE3ELS4_3ELS4_3ELNS0_20block_scan_algorithmE0ELj4294967295EEENS1_25partition_config_selectorILNS1_17partition_subalgoE4EjNS0_10empty_typeEbEEZZNS1_14partition_implILS8_4ELb0ES6_15HIP_vector_typeIjLj2EENS0_17counting_iteratorIjlEEPS9_SG_NS0_5tupleIJPjSI_NS0_16reverse_iteratorISI_EEEEENSH_IJSG_SG_SG_EEES9_SI_JZNS1_25segmented_radix_sort_implINS0_14default_configELb1EPKsPsPKlPlN2at6native12_GLOBAL__N_18offset_tEEE10hipError_tPvRmT1_PNSt15iterator_traitsIS12_E10value_typeET2_T3_PNS13_IS18_E10value_typeET4_jRbjT5_S1E_jjP12ihipStream_tbEUljE_ZNSN_ISO_Lb1ESQ_SR_ST_SU_SY_EESZ_S10_S11_S12_S16_S17_S18_S1B_S1C_jS1D_jS1E_S1E_jjS1G_bEUljE0_EEESZ_S10_S11_S18_S1C_S1E_T6_T7_T9_mT8_S1G_bDpT10_ENKUlT_T0_E_clISt17integral_constantIbLb1EES1T_IbLb0EEEEDaS1P_S1Q_EUlS1P_E_NS1_11comp_targetILNS1_3genE4ELNS1_11target_archE910ELNS1_3gpuE8ELNS1_3repE0EEENS1_30default_config_static_selectorELNS0_4arch9wavefront6targetE0EEEvS12_
	.p2align	8
	.type	_ZN7rocprim17ROCPRIM_400000_NS6detail17trampoline_kernelINS0_13select_configILj256ELj13ELNS0_17block_load_methodE3ELS4_3ELS4_3ELNS0_20block_scan_algorithmE0ELj4294967295EEENS1_25partition_config_selectorILNS1_17partition_subalgoE4EjNS0_10empty_typeEbEEZZNS1_14partition_implILS8_4ELb0ES6_15HIP_vector_typeIjLj2EENS0_17counting_iteratorIjlEEPS9_SG_NS0_5tupleIJPjSI_NS0_16reverse_iteratorISI_EEEEENSH_IJSG_SG_SG_EEES9_SI_JZNS1_25segmented_radix_sort_implINS0_14default_configELb1EPKsPsPKlPlN2at6native12_GLOBAL__N_18offset_tEEE10hipError_tPvRmT1_PNSt15iterator_traitsIS12_E10value_typeET2_T3_PNS13_IS18_E10value_typeET4_jRbjT5_S1E_jjP12ihipStream_tbEUljE_ZNSN_ISO_Lb1ESQ_SR_ST_SU_SY_EESZ_S10_S11_S12_S16_S17_S18_S1B_S1C_jS1D_jS1E_S1E_jjS1G_bEUljE0_EEESZ_S10_S11_S18_S1C_S1E_T6_T7_T9_mT8_S1G_bDpT10_ENKUlT_T0_E_clISt17integral_constantIbLb1EES1T_IbLb0EEEEDaS1P_S1Q_EUlS1P_E_NS1_11comp_targetILNS1_3genE4ELNS1_11target_archE910ELNS1_3gpuE8ELNS1_3repE0EEENS1_30default_config_static_selectorELNS0_4arch9wavefront6targetE0EEEvS12_,@function
_ZN7rocprim17ROCPRIM_400000_NS6detail17trampoline_kernelINS0_13select_configILj256ELj13ELNS0_17block_load_methodE3ELS4_3ELS4_3ELNS0_20block_scan_algorithmE0ELj4294967295EEENS1_25partition_config_selectorILNS1_17partition_subalgoE4EjNS0_10empty_typeEbEEZZNS1_14partition_implILS8_4ELb0ES6_15HIP_vector_typeIjLj2EENS0_17counting_iteratorIjlEEPS9_SG_NS0_5tupleIJPjSI_NS0_16reverse_iteratorISI_EEEEENSH_IJSG_SG_SG_EEES9_SI_JZNS1_25segmented_radix_sort_implINS0_14default_configELb1EPKsPsPKlPlN2at6native12_GLOBAL__N_18offset_tEEE10hipError_tPvRmT1_PNSt15iterator_traitsIS12_E10value_typeET2_T3_PNS13_IS18_E10value_typeET4_jRbjT5_S1E_jjP12ihipStream_tbEUljE_ZNSN_ISO_Lb1ESQ_SR_ST_SU_SY_EESZ_S10_S11_S12_S16_S17_S18_S1B_S1C_jS1D_jS1E_S1E_jjS1G_bEUljE0_EEESZ_S10_S11_S18_S1C_S1E_T6_T7_T9_mT8_S1G_bDpT10_ENKUlT_T0_E_clISt17integral_constantIbLb1EES1T_IbLb0EEEEDaS1P_S1Q_EUlS1P_E_NS1_11comp_targetILNS1_3genE4ELNS1_11target_archE910ELNS1_3gpuE8ELNS1_3repE0EEENS1_30default_config_static_selectorELNS0_4arch9wavefront6targetE0EEEvS12_: ; @_ZN7rocprim17ROCPRIM_400000_NS6detail17trampoline_kernelINS0_13select_configILj256ELj13ELNS0_17block_load_methodE3ELS4_3ELS4_3ELNS0_20block_scan_algorithmE0ELj4294967295EEENS1_25partition_config_selectorILNS1_17partition_subalgoE4EjNS0_10empty_typeEbEEZZNS1_14partition_implILS8_4ELb0ES6_15HIP_vector_typeIjLj2EENS0_17counting_iteratorIjlEEPS9_SG_NS0_5tupleIJPjSI_NS0_16reverse_iteratorISI_EEEEENSH_IJSG_SG_SG_EEES9_SI_JZNS1_25segmented_radix_sort_implINS0_14default_configELb1EPKsPsPKlPlN2at6native12_GLOBAL__N_18offset_tEEE10hipError_tPvRmT1_PNSt15iterator_traitsIS12_E10value_typeET2_T3_PNS13_IS18_E10value_typeET4_jRbjT5_S1E_jjP12ihipStream_tbEUljE_ZNSN_ISO_Lb1ESQ_SR_ST_SU_SY_EESZ_S10_S11_S12_S16_S17_S18_S1B_S1C_jS1D_jS1E_S1E_jjS1G_bEUljE0_EEESZ_S10_S11_S18_S1C_S1E_T6_T7_T9_mT8_S1G_bDpT10_ENKUlT_T0_E_clISt17integral_constantIbLb1EES1T_IbLb0EEEEDaS1P_S1Q_EUlS1P_E_NS1_11comp_targetILNS1_3genE4ELNS1_11target_archE910ELNS1_3gpuE8ELNS1_3repE0EEENS1_30default_config_static_selectorELNS0_4arch9wavefront6targetE0EEEvS12_
; %bb.0:
	.section	.rodata,"a",@progbits
	.p2align	6, 0x0
	.amdhsa_kernel _ZN7rocprim17ROCPRIM_400000_NS6detail17trampoline_kernelINS0_13select_configILj256ELj13ELNS0_17block_load_methodE3ELS4_3ELS4_3ELNS0_20block_scan_algorithmE0ELj4294967295EEENS1_25partition_config_selectorILNS1_17partition_subalgoE4EjNS0_10empty_typeEbEEZZNS1_14partition_implILS8_4ELb0ES6_15HIP_vector_typeIjLj2EENS0_17counting_iteratorIjlEEPS9_SG_NS0_5tupleIJPjSI_NS0_16reverse_iteratorISI_EEEEENSH_IJSG_SG_SG_EEES9_SI_JZNS1_25segmented_radix_sort_implINS0_14default_configELb1EPKsPsPKlPlN2at6native12_GLOBAL__N_18offset_tEEE10hipError_tPvRmT1_PNSt15iterator_traitsIS12_E10value_typeET2_T3_PNS13_IS18_E10value_typeET4_jRbjT5_S1E_jjP12ihipStream_tbEUljE_ZNSN_ISO_Lb1ESQ_SR_ST_SU_SY_EESZ_S10_S11_S12_S16_S17_S18_S1B_S1C_jS1D_jS1E_S1E_jjS1G_bEUljE0_EEESZ_S10_S11_S18_S1C_S1E_T6_T7_T9_mT8_S1G_bDpT10_ENKUlT_T0_E_clISt17integral_constantIbLb1EES1T_IbLb0EEEEDaS1P_S1Q_EUlS1P_E_NS1_11comp_targetILNS1_3genE4ELNS1_11target_archE910ELNS1_3gpuE8ELNS1_3repE0EEENS1_30default_config_static_selectorELNS0_4arch9wavefront6targetE0EEEvS12_
		.amdhsa_group_segment_fixed_size 0
		.amdhsa_private_segment_fixed_size 0
		.amdhsa_kernarg_size 176
		.amdhsa_user_sgpr_count 6
		.amdhsa_user_sgpr_private_segment_buffer 1
		.amdhsa_user_sgpr_dispatch_ptr 0
		.amdhsa_user_sgpr_queue_ptr 0
		.amdhsa_user_sgpr_kernarg_segment_ptr 1
		.amdhsa_user_sgpr_dispatch_id 0
		.amdhsa_user_sgpr_flat_scratch_init 0
		.amdhsa_user_sgpr_private_segment_size 0
		.amdhsa_wavefront_size32 1
		.amdhsa_uses_dynamic_stack 0
		.amdhsa_system_sgpr_private_segment_wavefront_offset 0
		.amdhsa_system_sgpr_workgroup_id_x 1
		.amdhsa_system_sgpr_workgroup_id_y 0
		.amdhsa_system_sgpr_workgroup_id_z 0
		.amdhsa_system_sgpr_workgroup_info 0
		.amdhsa_system_vgpr_workitem_id 0
		.amdhsa_next_free_vgpr 1
		.amdhsa_next_free_sgpr 1
		.amdhsa_reserve_vcc 0
		.amdhsa_reserve_flat_scratch 0
		.amdhsa_float_round_mode_32 0
		.amdhsa_float_round_mode_16_64 0
		.amdhsa_float_denorm_mode_32 3
		.amdhsa_float_denorm_mode_16_64 3
		.amdhsa_dx10_clamp 1
		.amdhsa_ieee_mode 1
		.amdhsa_fp16_overflow 0
		.amdhsa_workgroup_processor_mode 1
		.amdhsa_memory_ordered 1
		.amdhsa_forward_progress 1
		.amdhsa_shared_vgpr_count 0
		.amdhsa_exception_fp_ieee_invalid_op 0
		.amdhsa_exception_fp_denorm_src 0
		.amdhsa_exception_fp_ieee_div_zero 0
		.amdhsa_exception_fp_ieee_overflow 0
		.amdhsa_exception_fp_ieee_underflow 0
		.amdhsa_exception_fp_ieee_inexact 0
		.amdhsa_exception_int_div_zero 0
	.end_amdhsa_kernel
	.section	.text._ZN7rocprim17ROCPRIM_400000_NS6detail17trampoline_kernelINS0_13select_configILj256ELj13ELNS0_17block_load_methodE3ELS4_3ELS4_3ELNS0_20block_scan_algorithmE0ELj4294967295EEENS1_25partition_config_selectorILNS1_17partition_subalgoE4EjNS0_10empty_typeEbEEZZNS1_14partition_implILS8_4ELb0ES6_15HIP_vector_typeIjLj2EENS0_17counting_iteratorIjlEEPS9_SG_NS0_5tupleIJPjSI_NS0_16reverse_iteratorISI_EEEEENSH_IJSG_SG_SG_EEES9_SI_JZNS1_25segmented_radix_sort_implINS0_14default_configELb1EPKsPsPKlPlN2at6native12_GLOBAL__N_18offset_tEEE10hipError_tPvRmT1_PNSt15iterator_traitsIS12_E10value_typeET2_T3_PNS13_IS18_E10value_typeET4_jRbjT5_S1E_jjP12ihipStream_tbEUljE_ZNSN_ISO_Lb1ESQ_SR_ST_SU_SY_EESZ_S10_S11_S12_S16_S17_S18_S1B_S1C_jS1D_jS1E_S1E_jjS1G_bEUljE0_EEESZ_S10_S11_S18_S1C_S1E_T6_T7_T9_mT8_S1G_bDpT10_ENKUlT_T0_E_clISt17integral_constantIbLb1EES1T_IbLb0EEEEDaS1P_S1Q_EUlS1P_E_NS1_11comp_targetILNS1_3genE4ELNS1_11target_archE910ELNS1_3gpuE8ELNS1_3repE0EEENS1_30default_config_static_selectorELNS0_4arch9wavefront6targetE0EEEvS12_,"axG",@progbits,_ZN7rocprim17ROCPRIM_400000_NS6detail17trampoline_kernelINS0_13select_configILj256ELj13ELNS0_17block_load_methodE3ELS4_3ELS4_3ELNS0_20block_scan_algorithmE0ELj4294967295EEENS1_25partition_config_selectorILNS1_17partition_subalgoE4EjNS0_10empty_typeEbEEZZNS1_14partition_implILS8_4ELb0ES6_15HIP_vector_typeIjLj2EENS0_17counting_iteratorIjlEEPS9_SG_NS0_5tupleIJPjSI_NS0_16reverse_iteratorISI_EEEEENSH_IJSG_SG_SG_EEES9_SI_JZNS1_25segmented_radix_sort_implINS0_14default_configELb1EPKsPsPKlPlN2at6native12_GLOBAL__N_18offset_tEEE10hipError_tPvRmT1_PNSt15iterator_traitsIS12_E10value_typeET2_T3_PNS13_IS18_E10value_typeET4_jRbjT5_S1E_jjP12ihipStream_tbEUljE_ZNSN_ISO_Lb1ESQ_SR_ST_SU_SY_EESZ_S10_S11_S12_S16_S17_S18_S1B_S1C_jS1D_jS1E_S1E_jjS1G_bEUljE0_EEESZ_S10_S11_S18_S1C_S1E_T6_T7_T9_mT8_S1G_bDpT10_ENKUlT_T0_E_clISt17integral_constantIbLb1EES1T_IbLb0EEEEDaS1P_S1Q_EUlS1P_E_NS1_11comp_targetILNS1_3genE4ELNS1_11target_archE910ELNS1_3gpuE8ELNS1_3repE0EEENS1_30default_config_static_selectorELNS0_4arch9wavefront6targetE0EEEvS12_,comdat
.Lfunc_end859:
	.size	_ZN7rocprim17ROCPRIM_400000_NS6detail17trampoline_kernelINS0_13select_configILj256ELj13ELNS0_17block_load_methodE3ELS4_3ELS4_3ELNS0_20block_scan_algorithmE0ELj4294967295EEENS1_25partition_config_selectorILNS1_17partition_subalgoE4EjNS0_10empty_typeEbEEZZNS1_14partition_implILS8_4ELb0ES6_15HIP_vector_typeIjLj2EENS0_17counting_iteratorIjlEEPS9_SG_NS0_5tupleIJPjSI_NS0_16reverse_iteratorISI_EEEEENSH_IJSG_SG_SG_EEES9_SI_JZNS1_25segmented_radix_sort_implINS0_14default_configELb1EPKsPsPKlPlN2at6native12_GLOBAL__N_18offset_tEEE10hipError_tPvRmT1_PNSt15iterator_traitsIS12_E10value_typeET2_T3_PNS13_IS18_E10value_typeET4_jRbjT5_S1E_jjP12ihipStream_tbEUljE_ZNSN_ISO_Lb1ESQ_SR_ST_SU_SY_EESZ_S10_S11_S12_S16_S17_S18_S1B_S1C_jS1D_jS1E_S1E_jjS1G_bEUljE0_EEESZ_S10_S11_S18_S1C_S1E_T6_T7_T9_mT8_S1G_bDpT10_ENKUlT_T0_E_clISt17integral_constantIbLb1EES1T_IbLb0EEEEDaS1P_S1Q_EUlS1P_E_NS1_11comp_targetILNS1_3genE4ELNS1_11target_archE910ELNS1_3gpuE8ELNS1_3repE0EEENS1_30default_config_static_selectorELNS0_4arch9wavefront6targetE0EEEvS12_, .Lfunc_end859-_ZN7rocprim17ROCPRIM_400000_NS6detail17trampoline_kernelINS0_13select_configILj256ELj13ELNS0_17block_load_methodE3ELS4_3ELS4_3ELNS0_20block_scan_algorithmE0ELj4294967295EEENS1_25partition_config_selectorILNS1_17partition_subalgoE4EjNS0_10empty_typeEbEEZZNS1_14partition_implILS8_4ELb0ES6_15HIP_vector_typeIjLj2EENS0_17counting_iteratorIjlEEPS9_SG_NS0_5tupleIJPjSI_NS0_16reverse_iteratorISI_EEEEENSH_IJSG_SG_SG_EEES9_SI_JZNS1_25segmented_radix_sort_implINS0_14default_configELb1EPKsPsPKlPlN2at6native12_GLOBAL__N_18offset_tEEE10hipError_tPvRmT1_PNSt15iterator_traitsIS12_E10value_typeET2_T3_PNS13_IS18_E10value_typeET4_jRbjT5_S1E_jjP12ihipStream_tbEUljE_ZNSN_ISO_Lb1ESQ_SR_ST_SU_SY_EESZ_S10_S11_S12_S16_S17_S18_S1B_S1C_jS1D_jS1E_S1E_jjS1G_bEUljE0_EEESZ_S10_S11_S18_S1C_S1E_T6_T7_T9_mT8_S1G_bDpT10_ENKUlT_T0_E_clISt17integral_constantIbLb1EES1T_IbLb0EEEEDaS1P_S1Q_EUlS1P_E_NS1_11comp_targetILNS1_3genE4ELNS1_11target_archE910ELNS1_3gpuE8ELNS1_3repE0EEENS1_30default_config_static_selectorELNS0_4arch9wavefront6targetE0EEEvS12_
                                        ; -- End function
	.set _ZN7rocprim17ROCPRIM_400000_NS6detail17trampoline_kernelINS0_13select_configILj256ELj13ELNS0_17block_load_methodE3ELS4_3ELS4_3ELNS0_20block_scan_algorithmE0ELj4294967295EEENS1_25partition_config_selectorILNS1_17partition_subalgoE4EjNS0_10empty_typeEbEEZZNS1_14partition_implILS8_4ELb0ES6_15HIP_vector_typeIjLj2EENS0_17counting_iteratorIjlEEPS9_SG_NS0_5tupleIJPjSI_NS0_16reverse_iteratorISI_EEEEENSH_IJSG_SG_SG_EEES9_SI_JZNS1_25segmented_radix_sort_implINS0_14default_configELb1EPKsPsPKlPlN2at6native12_GLOBAL__N_18offset_tEEE10hipError_tPvRmT1_PNSt15iterator_traitsIS12_E10value_typeET2_T3_PNS13_IS18_E10value_typeET4_jRbjT5_S1E_jjP12ihipStream_tbEUljE_ZNSN_ISO_Lb1ESQ_SR_ST_SU_SY_EESZ_S10_S11_S12_S16_S17_S18_S1B_S1C_jS1D_jS1E_S1E_jjS1G_bEUljE0_EEESZ_S10_S11_S18_S1C_S1E_T6_T7_T9_mT8_S1G_bDpT10_ENKUlT_T0_E_clISt17integral_constantIbLb1EES1T_IbLb0EEEEDaS1P_S1Q_EUlS1P_E_NS1_11comp_targetILNS1_3genE4ELNS1_11target_archE910ELNS1_3gpuE8ELNS1_3repE0EEENS1_30default_config_static_selectorELNS0_4arch9wavefront6targetE0EEEvS12_.num_vgpr, 0
	.set _ZN7rocprim17ROCPRIM_400000_NS6detail17trampoline_kernelINS0_13select_configILj256ELj13ELNS0_17block_load_methodE3ELS4_3ELS4_3ELNS0_20block_scan_algorithmE0ELj4294967295EEENS1_25partition_config_selectorILNS1_17partition_subalgoE4EjNS0_10empty_typeEbEEZZNS1_14partition_implILS8_4ELb0ES6_15HIP_vector_typeIjLj2EENS0_17counting_iteratorIjlEEPS9_SG_NS0_5tupleIJPjSI_NS0_16reverse_iteratorISI_EEEEENSH_IJSG_SG_SG_EEES9_SI_JZNS1_25segmented_radix_sort_implINS0_14default_configELb1EPKsPsPKlPlN2at6native12_GLOBAL__N_18offset_tEEE10hipError_tPvRmT1_PNSt15iterator_traitsIS12_E10value_typeET2_T3_PNS13_IS18_E10value_typeET4_jRbjT5_S1E_jjP12ihipStream_tbEUljE_ZNSN_ISO_Lb1ESQ_SR_ST_SU_SY_EESZ_S10_S11_S12_S16_S17_S18_S1B_S1C_jS1D_jS1E_S1E_jjS1G_bEUljE0_EEESZ_S10_S11_S18_S1C_S1E_T6_T7_T9_mT8_S1G_bDpT10_ENKUlT_T0_E_clISt17integral_constantIbLb1EES1T_IbLb0EEEEDaS1P_S1Q_EUlS1P_E_NS1_11comp_targetILNS1_3genE4ELNS1_11target_archE910ELNS1_3gpuE8ELNS1_3repE0EEENS1_30default_config_static_selectorELNS0_4arch9wavefront6targetE0EEEvS12_.num_agpr, 0
	.set _ZN7rocprim17ROCPRIM_400000_NS6detail17trampoline_kernelINS0_13select_configILj256ELj13ELNS0_17block_load_methodE3ELS4_3ELS4_3ELNS0_20block_scan_algorithmE0ELj4294967295EEENS1_25partition_config_selectorILNS1_17partition_subalgoE4EjNS0_10empty_typeEbEEZZNS1_14partition_implILS8_4ELb0ES6_15HIP_vector_typeIjLj2EENS0_17counting_iteratorIjlEEPS9_SG_NS0_5tupleIJPjSI_NS0_16reverse_iteratorISI_EEEEENSH_IJSG_SG_SG_EEES9_SI_JZNS1_25segmented_radix_sort_implINS0_14default_configELb1EPKsPsPKlPlN2at6native12_GLOBAL__N_18offset_tEEE10hipError_tPvRmT1_PNSt15iterator_traitsIS12_E10value_typeET2_T3_PNS13_IS18_E10value_typeET4_jRbjT5_S1E_jjP12ihipStream_tbEUljE_ZNSN_ISO_Lb1ESQ_SR_ST_SU_SY_EESZ_S10_S11_S12_S16_S17_S18_S1B_S1C_jS1D_jS1E_S1E_jjS1G_bEUljE0_EEESZ_S10_S11_S18_S1C_S1E_T6_T7_T9_mT8_S1G_bDpT10_ENKUlT_T0_E_clISt17integral_constantIbLb1EES1T_IbLb0EEEEDaS1P_S1Q_EUlS1P_E_NS1_11comp_targetILNS1_3genE4ELNS1_11target_archE910ELNS1_3gpuE8ELNS1_3repE0EEENS1_30default_config_static_selectorELNS0_4arch9wavefront6targetE0EEEvS12_.numbered_sgpr, 0
	.set _ZN7rocprim17ROCPRIM_400000_NS6detail17trampoline_kernelINS0_13select_configILj256ELj13ELNS0_17block_load_methodE3ELS4_3ELS4_3ELNS0_20block_scan_algorithmE0ELj4294967295EEENS1_25partition_config_selectorILNS1_17partition_subalgoE4EjNS0_10empty_typeEbEEZZNS1_14partition_implILS8_4ELb0ES6_15HIP_vector_typeIjLj2EENS0_17counting_iteratorIjlEEPS9_SG_NS0_5tupleIJPjSI_NS0_16reverse_iteratorISI_EEEEENSH_IJSG_SG_SG_EEES9_SI_JZNS1_25segmented_radix_sort_implINS0_14default_configELb1EPKsPsPKlPlN2at6native12_GLOBAL__N_18offset_tEEE10hipError_tPvRmT1_PNSt15iterator_traitsIS12_E10value_typeET2_T3_PNS13_IS18_E10value_typeET4_jRbjT5_S1E_jjP12ihipStream_tbEUljE_ZNSN_ISO_Lb1ESQ_SR_ST_SU_SY_EESZ_S10_S11_S12_S16_S17_S18_S1B_S1C_jS1D_jS1E_S1E_jjS1G_bEUljE0_EEESZ_S10_S11_S18_S1C_S1E_T6_T7_T9_mT8_S1G_bDpT10_ENKUlT_T0_E_clISt17integral_constantIbLb1EES1T_IbLb0EEEEDaS1P_S1Q_EUlS1P_E_NS1_11comp_targetILNS1_3genE4ELNS1_11target_archE910ELNS1_3gpuE8ELNS1_3repE0EEENS1_30default_config_static_selectorELNS0_4arch9wavefront6targetE0EEEvS12_.num_named_barrier, 0
	.set _ZN7rocprim17ROCPRIM_400000_NS6detail17trampoline_kernelINS0_13select_configILj256ELj13ELNS0_17block_load_methodE3ELS4_3ELS4_3ELNS0_20block_scan_algorithmE0ELj4294967295EEENS1_25partition_config_selectorILNS1_17partition_subalgoE4EjNS0_10empty_typeEbEEZZNS1_14partition_implILS8_4ELb0ES6_15HIP_vector_typeIjLj2EENS0_17counting_iteratorIjlEEPS9_SG_NS0_5tupleIJPjSI_NS0_16reverse_iteratorISI_EEEEENSH_IJSG_SG_SG_EEES9_SI_JZNS1_25segmented_radix_sort_implINS0_14default_configELb1EPKsPsPKlPlN2at6native12_GLOBAL__N_18offset_tEEE10hipError_tPvRmT1_PNSt15iterator_traitsIS12_E10value_typeET2_T3_PNS13_IS18_E10value_typeET4_jRbjT5_S1E_jjP12ihipStream_tbEUljE_ZNSN_ISO_Lb1ESQ_SR_ST_SU_SY_EESZ_S10_S11_S12_S16_S17_S18_S1B_S1C_jS1D_jS1E_S1E_jjS1G_bEUljE0_EEESZ_S10_S11_S18_S1C_S1E_T6_T7_T9_mT8_S1G_bDpT10_ENKUlT_T0_E_clISt17integral_constantIbLb1EES1T_IbLb0EEEEDaS1P_S1Q_EUlS1P_E_NS1_11comp_targetILNS1_3genE4ELNS1_11target_archE910ELNS1_3gpuE8ELNS1_3repE0EEENS1_30default_config_static_selectorELNS0_4arch9wavefront6targetE0EEEvS12_.private_seg_size, 0
	.set _ZN7rocprim17ROCPRIM_400000_NS6detail17trampoline_kernelINS0_13select_configILj256ELj13ELNS0_17block_load_methodE3ELS4_3ELS4_3ELNS0_20block_scan_algorithmE0ELj4294967295EEENS1_25partition_config_selectorILNS1_17partition_subalgoE4EjNS0_10empty_typeEbEEZZNS1_14partition_implILS8_4ELb0ES6_15HIP_vector_typeIjLj2EENS0_17counting_iteratorIjlEEPS9_SG_NS0_5tupleIJPjSI_NS0_16reverse_iteratorISI_EEEEENSH_IJSG_SG_SG_EEES9_SI_JZNS1_25segmented_radix_sort_implINS0_14default_configELb1EPKsPsPKlPlN2at6native12_GLOBAL__N_18offset_tEEE10hipError_tPvRmT1_PNSt15iterator_traitsIS12_E10value_typeET2_T3_PNS13_IS18_E10value_typeET4_jRbjT5_S1E_jjP12ihipStream_tbEUljE_ZNSN_ISO_Lb1ESQ_SR_ST_SU_SY_EESZ_S10_S11_S12_S16_S17_S18_S1B_S1C_jS1D_jS1E_S1E_jjS1G_bEUljE0_EEESZ_S10_S11_S18_S1C_S1E_T6_T7_T9_mT8_S1G_bDpT10_ENKUlT_T0_E_clISt17integral_constantIbLb1EES1T_IbLb0EEEEDaS1P_S1Q_EUlS1P_E_NS1_11comp_targetILNS1_3genE4ELNS1_11target_archE910ELNS1_3gpuE8ELNS1_3repE0EEENS1_30default_config_static_selectorELNS0_4arch9wavefront6targetE0EEEvS12_.uses_vcc, 0
	.set _ZN7rocprim17ROCPRIM_400000_NS6detail17trampoline_kernelINS0_13select_configILj256ELj13ELNS0_17block_load_methodE3ELS4_3ELS4_3ELNS0_20block_scan_algorithmE0ELj4294967295EEENS1_25partition_config_selectorILNS1_17partition_subalgoE4EjNS0_10empty_typeEbEEZZNS1_14partition_implILS8_4ELb0ES6_15HIP_vector_typeIjLj2EENS0_17counting_iteratorIjlEEPS9_SG_NS0_5tupleIJPjSI_NS0_16reverse_iteratorISI_EEEEENSH_IJSG_SG_SG_EEES9_SI_JZNS1_25segmented_radix_sort_implINS0_14default_configELb1EPKsPsPKlPlN2at6native12_GLOBAL__N_18offset_tEEE10hipError_tPvRmT1_PNSt15iterator_traitsIS12_E10value_typeET2_T3_PNS13_IS18_E10value_typeET4_jRbjT5_S1E_jjP12ihipStream_tbEUljE_ZNSN_ISO_Lb1ESQ_SR_ST_SU_SY_EESZ_S10_S11_S12_S16_S17_S18_S1B_S1C_jS1D_jS1E_S1E_jjS1G_bEUljE0_EEESZ_S10_S11_S18_S1C_S1E_T6_T7_T9_mT8_S1G_bDpT10_ENKUlT_T0_E_clISt17integral_constantIbLb1EES1T_IbLb0EEEEDaS1P_S1Q_EUlS1P_E_NS1_11comp_targetILNS1_3genE4ELNS1_11target_archE910ELNS1_3gpuE8ELNS1_3repE0EEENS1_30default_config_static_selectorELNS0_4arch9wavefront6targetE0EEEvS12_.uses_flat_scratch, 0
	.set _ZN7rocprim17ROCPRIM_400000_NS6detail17trampoline_kernelINS0_13select_configILj256ELj13ELNS0_17block_load_methodE3ELS4_3ELS4_3ELNS0_20block_scan_algorithmE0ELj4294967295EEENS1_25partition_config_selectorILNS1_17partition_subalgoE4EjNS0_10empty_typeEbEEZZNS1_14partition_implILS8_4ELb0ES6_15HIP_vector_typeIjLj2EENS0_17counting_iteratorIjlEEPS9_SG_NS0_5tupleIJPjSI_NS0_16reverse_iteratorISI_EEEEENSH_IJSG_SG_SG_EEES9_SI_JZNS1_25segmented_radix_sort_implINS0_14default_configELb1EPKsPsPKlPlN2at6native12_GLOBAL__N_18offset_tEEE10hipError_tPvRmT1_PNSt15iterator_traitsIS12_E10value_typeET2_T3_PNS13_IS18_E10value_typeET4_jRbjT5_S1E_jjP12ihipStream_tbEUljE_ZNSN_ISO_Lb1ESQ_SR_ST_SU_SY_EESZ_S10_S11_S12_S16_S17_S18_S1B_S1C_jS1D_jS1E_S1E_jjS1G_bEUljE0_EEESZ_S10_S11_S18_S1C_S1E_T6_T7_T9_mT8_S1G_bDpT10_ENKUlT_T0_E_clISt17integral_constantIbLb1EES1T_IbLb0EEEEDaS1P_S1Q_EUlS1P_E_NS1_11comp_targetILNS1_3genE4ELNS1_11target_archE910ELNS1_3gpuE8ELNS1_3repE0EEENS1_30default_config_static_selectorELNS0_4arch9wavefront6targetE0EEEvS12_.has_dyn_sized_stack, 0
	.set _ZN7rocprim17ROCPRIM_400000_NS6detail17trampoline_kernelINS0_13select_configILj256ELj13ELNS0_17block_load_methodE3ELS4_3ELS4_3ELNS0_20block_scan_algorithmE0ELj4294967295EEENS1_25partition_config_selectorILNS1_17partition_subalgoE4EjNS0_10empty_typeEbEEZZNS1_14partition_implILS8_4ELb0ES6_15HIP_vector_typeIjLj2EENS0_17counting_iteratorIjlEEPS9_SG_NS0_5tupleIJPjSI_NS0_16reverse_iteratorISI_EEEEENSH_IJSG_SG_SG_EEES9_SI_JZNS1_25segmented_radix_sort_implINS0_14default_configELb1EPKsPsPKlPlN2at6native12_GLOBAL__N_18offset_tEEE10hipError_tPvRmT1_PNSt15iterator_traitsIS12_E10value_typeET2_T3_PNS13_IS18_E10value_typeET4_jRbjT5_S1E_jjP12ihipStream_tbEUljE_ZNSN_ISO_Lb1ESQ_SR_ST_SU_SY_EESZ_S10_S11_S12_S16_S17_S18_S1B_S1C_jS1D_jS1E_S1E_jjS1G_bEUljE0_EEESZ_S10_S11_S18_S1C_S1E_T6_T7_T9_mT8_S1G_bDpT10_ENKUlT_T0_E_clISt17integral_constantIbLb1EES1T_IbLb0EEEEDaS1P_S1Q_EUlS1P_E_NS1_11comp_targetILNS1_3genE4ELNS1_11target_archE910ELNS1_3gpuE8ELNS1_3repE0EEENS1_30default_config_static_selectorELNS0_4arch9wavefront6targetE0EEEvS12_.has_recursion, 0
	.set _ZN7rocprim17ROCPRIM_400000_NS6detail17trampoline_kernelINS0_13select_configILj256ELj13ELNS0_17block_load_methodE3ELS4_3ELS4_3ELNS0_20block_scan_algorithmE0ELj4294967295EEENS1_25partition_config_selectorILNS1_17partition_subalgoE4EjNS0_10empty_typeEbEEZZNS1_14partition_implILS8_4ELb0ES6_15HIP_vector_typeIjLj2EENS0_17counting_iteratorIjlEEPS9_SG_NS0_5tupleIJPjSI_NS0_16reverse_iteratorISI_EEEEENSH_IJSG_SG_SG_EEES9_SI_JZNS1_25segmented_radix_sort_implINS0_14default_configELb1EPKsPsPKlPlN2at6native12_GLOBAL__N_18offset_tEEE10hipError_tPvRmT1_PNSt15iterator_traitsIS12_E10value_typeET2_T3_PNS13_IS18_E10value_typeET4_jRbjT5_S1E_jjP12ihipStream_tbEUljE_ZNSN_ISO_Lb1ESQ_SR_ST_SU_SY_EESZ_S10_S11_S12_S16_S17_S18_S1B_S1C_jS1D_jS1E_S1E_jjS1G_bEUljE0_EEESZ_S10_S11_S18_S1C_S1E_T6_T7_T9_mT8_S1G_bDpT10_ENKUlT_T0_E_clISt17integral_constantIbLb1EES1T_IbLb0EEEEDaS1P_S1Q_EUlS1P_E_NS1_11comp_targetILNS1_3genE4ELNS1_11target_archE910ELNS1_3gpuE8ELNS1_3repE0EEENS1_30default_config_static_selectorELNS0_4arch9wavefront6targetE0EEEvS12_.has_indirect_call, 0
	.section	.AMDGPU.csdata,"",@progbits
; Kernel info:
; codeLenInByte = 0
; TotalNumSgprs: 0
; NumVgprs: 0
; ScratchSize: 0
; MemoryBound: 0
; FloatMode: 240
; IeeeMode: 1
; LDSByteSize: 0 bytes/workgroup (compile time only)
; SGPRBlocks: 0
; VGPRBlocks: 0
; NumSGPRsForWavesPerEU: 1
; NumVGPRsForWavesPerEU: 1
; Occupancy: 16
; WaveLimiterHint : 0
; COMPUTE_PGM_RSRC2:SCRATCH_EN: 0
; COMPUTE_PGM_RSRC2:USER_SGPR: 6
; COMPUTE_PGM_RSRC2:TRAP_HANDLER: 0
; COMPUTE_PGM_RSRC2:TGID_X_EN: 1
; COMPUTE_PGM_RSRC2:TGID_Y_EN: 0
; COMPUTE_PGM_RSRC2:TGID_Z_EN: 0
; COMPUTE_PGM_RSRC2:TIDIG_COMP_CNT: 0
	.section	.text._ZN7rocprim17ROCPRIM_400000_NS6detail17trampoline_kernelINS0_13select_configILj256ELj13ELNS0_17block_load_methodE3ELS4_3ELS4_3ELNS0_20block_scan_algorithmE0ELj4294967295EEENS1_25partition_config_selectorILNS1_17partition_subalgoE4EjNS0_10empty_typeEbEEZZNS1_14partition_implILS8_4ELb0ES6_15HIP_vector_typeIjLj2EENS0_17counting_iteratorIjlEEPS9_SG_NS0_5tupleIJPjSI_NS0_16reverse_iteratorISI_EEEEENSH_IJSG_SG_SG_EEES9_SI_JZNS1_25segmented_radix_sort_implINS0_14default_configELb1EPKsPsPKlPlN2at6native12_GLOBAL__N_18offset_tEEE10hipError_tPvRmT1_PNSt15iterator_traitsIS12_E10value_typeET2_T3_PNS13_IS18_E10value_typeET4_jRbjT5_S1E_jjP12ihipStream_tbEUljE_ZNSN_ISO_Lb1ESQ_SR_ST_SU_SY_EESZ_S10_S11_S12_S16_S17_S18_S1B_S1C_jS1D_jS1E_S1E_jjS1G_bEUljE0_EEESZ_S10_S11_S18_S1C_S1E_T6_T7_T9_mT8_S1G_bDpT10_ENKUlT_T0_E_clISt17integral_constantIbLb1EES1T_IbLb0EEEEDaS1P_S1Q_EUlS1P_E_NS1_11comp_targetILNS1_3genE3ELNS1_11target_archE908ELNS1_3gpuE7ELNS1_3repE0EEENS1_30default_config_static_selectorELNS0_4arch9wavefront6targetE0EEEvS12_,"axG",@progbits,_ZN7rocprim17ROCPRIM_400000_NS6detail17trampoline_kernelINS0_13select_configILj256ELj13ELNS0_17block_load_methodE3ELS4_3ELS4_3ELNS0_20block_scan_algorithmE0ELj4294967295EEENS1_25partition_config_selectorILNS1_17partition_subalgoE4EjNS0_10empty_typeEbEEZZNS1_14partition_implILS8_4ELb0ES6_15HIP_vector_typeIjLj2EENS0_17counting_iteratorIjlEEPS9_SG_NS0_5tupleIJPjSI_NS0_16reverse_iteratorISI_EEEEENSH_IJSG_SG_SG_EEES9_SI_JZNS1_25segmented_radix_sort_implINS0_14default_configELb1EPKsPsPKlPlN2at6native12_GLOBAL__N_18offset_tEEE10hipError_tPvRmT1_PNSt15iterator_traitsIS12_E10value_typeET2_T3_PNS13_IS18_E10value_typeET4_jRbjT5_S1E_jjP12ihipStream_tbEUljE_ZNSN_ISO_Lb1ESQ_SR_ST_SU_SY_EESZ_S10_S11_S12_S16_S17_S18_S1B_S1C_jS1D_jS1E_S1E_jjS1G_bEUljE0_EEESZ_S10_S11_S18_S1C_S1E_T6_T7_T9_mT8_S1G_bDpT10_ENKUlT_T0_E_clISt17integral_constantIbLb1EES1T_IbLb0EEEEDaS1P_S1Q_EUlS1P_E_NS1_11comp_targetILNS1_3genE3ELNS1_11target_archE908ELNS1_3gpuE7ELNS1_3repE0EEENS1_30default_config_static_selectorELNS0_4arch9wavefront6targetE0EEEvS12_,comdat
	.globl	_ZN7rocprim17ROCPRIM_400000_NS6detail17trampoline_kernelINS0_13select_configILj256ELj13ELNS0_17block_load_methodE3ELS4_3ELS4_3ELNS0_20block_scan_algorithmE0ELj4294967295EEENS1_25partition_config_selectorILNS1_17partition_subalgoE4EjNS0_10empty_typeEbEEZZNS1_14partition_implILS8_4ELb0ES6_15HIP_vector_typeIjLj2EENS0_17counting_iteratorIjlEEPS9_SG_NS0_5tupleIJPjSI_NS0_16reverse_iteratorISI_EEEEENSH_IJSG_SG_SG_EEES9_SI_JZNS1_25segmented_radix_sort_implINS0_14default_configELb1EPKsPsPKlPlN2at6native12_GLOBAL__N_18offset_tEEE10hipError_tPvRmT1_PNSt15iterator_traitsIS12_E10value_typeET2_T3_PNS13_IS18_E10value_typeET4_jRbjT5_S1E_jjP12ihipStream_tbEUljE_ZNSN_ISO_Lb1ESQ_SR_ST_SU_SY_EESZ_S10_S11_S12_S16_S17_S18_S1B_S1C_jS1D_jS1E_S1E_jjS1G_bEUljE0_EEESZ_S10_S11_S18_S1C_S1E_T6_T7_T9_mT8_S1G_bDpT10_ENKUlT_T0_E_clISt17integral_constantIbLb1EES1T_IbLb0EEEEDaS1P_S1Q_EUlS1P_E_NS1_11comp_targetILNS1_3genE3ELNS1_11target_archE908ELNS1_3gpuE7ELNS1_3repE0EEENS1_30default_config_static_selectorELNS0_4arch9wavefront6targetE0EEEvS12_ ; -- Begin function _ZN7rocprim17ROCPRIM_400000_NS6detail17trampoline_kernelINS0_13select_configILj256ELj13ELNS0_17block_load_methodE3ELS4_3ELS4_3ELNS0_20block_scan_algorithmE0ELj4294967295EEENS1_25partition_config_selectorILNS1_17partition_subalgoE4EjNS0_10empty_typeEbEEZZNS1_14partition_implILS8_4ELb0ES6_15HIP_vector_typeIjLj2EENS0_17counting_iteratorIjlEEPS9_SG_NS0_5tupleIJPjSI_NS0_16reverse_iteratorISI_EEEEENSH_IJSG_SG_SG_EEES9_SI_JZNS1_25segmented_radix_sort_implINS0_14default_configELb1EPKsPsPKlPlN2at6native12_GLOBAL__N_18offset_tEEE10hipError_tPvRmT1_PNSt15iterator_traitsIS12_E10value_typeET2_T3_PNS13_IS18_E10value_typeET4_jRbjT5_S1E_jjP12ihipStream_tbEUljE_ZNSN_ISO_Lb1ESQ_SR_ST_SU_SY_EESZ_S10_S11_S12_S16_S17_S18_S1B_S1C_jS1D_jS1E_S1E_jjS1G_bEUljE0_EEESZ_S10_S11_S18_S1C_S1E_T6_T7_T9_mT8_S1G_bDpT10_ENKUlT_T0_E_clISt17integral_constantIbLb1EES1T_IbLb0EEEEDaS1P_S1Q_EUlS1P_E_NS1_11comp_targetILNS1_3genE3ELNS1_11target_archE908ELNS1_3gpuE7ELNS1_3repE0EEENS1_30default_config_static_selectorELNS0_4arch9wavefront6targetE0EEEvS12_
	.p2align	8
	.type	_ZN7rocprim17ROCPRIM_400000_NS6detail17trampoline_kernelINS0_13select_configILj256ELj13ELNS0_17block_load_methodE3ELS4_3ELS4_3ELNS0_20block_scan_algorithmE0ELj4294967295EEENS1_25partition_config_selectorILNS1_17partition_subalgoE4EjNS0_10empty_typeEbEEZZNS1_14partition_implILS8_4ELb0ES6_15HIP_vector_typeIjLj2EENS0_17counting_iteratorIjlEEPS9_SG_NS0_5tupleIJPjSI_NS0_16reverse_iteratorISI_EEEEENSH_IJSG_SG_SG_EEES9_SI_JZNS1_25segmented_radix_sort_implINS0_14default_configELb1EPKsPsPKlPlN2at6native12_GLOBAL__N_18offset_tEEE10hipError_tPvRmT1_PNSt15iterator_traitsIS12_E10value_typeET2_T3_PNS13_IS18_E10value_typeET4_jRbjT5_S1E_jjP12ihipStream_tbEUljE_ZNSN_ISO_Lb1ESQ_SR_ST_SU_SY_EESZ_S10_S11_S12_S16_S17_S18_S1B_S1C_jS1D_jS1E_S1E_jjS1G_bEUljE0_EEESZ_S10_S11_S18_S1C_S1E_T6_T7_T9_mT8_S1G_bDpT10_ENKUlT_T0_E_clISt17integral_constantIbLb1EES1T_IbLb0EEEEDaS1P_S1Q_EUlS1P_E_NS1_11comp_targetILNS1_3genE3ELNS1_11target_archE908ELNS1_3gpuE7ELNS1_3repE0EEENS1_30default_config_static_selectorELNS0_4arch9wavefront6targetE0EEEvS12_,@function
_ZN7rocprim17ROCPRIM_400000_NS6detail17trampoline_kernelINS0_13select_configILj256ELj13ELNS0_17block_load_methodE3ELS4_3ELS4_3ELNS0_20block_scan_algorithmE0ELj4294967295EEENS1_25partition_config_selectorILNS1_17partition_subalgoE4EjNS0_10empty_typeEbEEZZNS1_14partition_implILS8_4ELb0ES6_15HIP_vector_typeIjLj2EENS0_17counting_iteratorIjlEEPS9_SG_NS0_5tupleIJPjSI_NS0_16reverse_iteratorISI_EEEEENSH_IJSG_SG_SG_EEES9_SI_JZNS1_25segmented_radix_sort_implINS0_14default_configELb1EPKsPsPKlPlN2at6native12_GLOBAL__N_18offset_tEEE10hipError_tPvRmT1_PNSt15iterator_traitsIS12_E10value_typeET2_T3_PNS13_IS18_E10value_typeET4_jRbjT5_S1E_jjP12ihipStream_tbEUljE_ZNSN_ISO_Lb1ESQ_SR_ST_SU_SY_EESZ_S10_S11_S12_S16_S17_S18_S1B_S1C_jS1D_jS1E_S1E_jjS1G_bEUljE0_EEESZ_S10_S11_S18_S1C_S1E_T6_T7_T9_mT8_S1G_bDpT10_ENKUlT_T0_E_clISt17integral_constantIbLb1EES1T_IbLb0EEEEDaS1P_S1Q_EUlS1P_E_NS1_11comp_targetILNS1_3genE3ELNS1_11target_archE908ELNS1_3gpuE7ELNS1_3repE0EEENS1_30default_config_static_selectorELNS0_4arch9wavefront6targetE0EEEvS12_: ; @_ZN7rocprim17ROCPRIM_400000_NS6detail17trampoline_kernelINS0_13select_configILj256ELj13ELNS0_17block_load_methodE3ELS4_3ELS4_3ELNS0_20block_scan_algorithmE0ELj4294967295EEENS1_25partition_config_selectorILNS1_17partition_subalgoE4EjNS0_10empty_typeEbEEZZNS1_14partition_implILS8_4ELb0ES6_15HIP_vector_typeIjLj2EENS0_17counting_iteratorIjlEEPS9_SG_NS0_5tupleIJPjSI_NS0_16reverse_iteratorISI_EEEEENSH_IJSG_SG_SG_EEES9_SI_JZNS1_25segmented_radix_sort_implINS0_14default_configELb1EPKsPsPKlPlN2at6native12_GLOBAL__N_18offset_tEEE10hipError_tPvRmT1_PNSt15iterator_traitsIS12_E10value_typeET2_T3_PNS13_IS18_E10value_typeET4_jRbjT5_S1E_jjP12ihipStream_tbEUljE_ZNSN_ISO_Lb1ESQ_SR_ST_SU_SY_EESZ_S10_S11_S12_S16_S17_S18_S1B_S1C_jS1D_jS1E_S1E_jjS1G_bEUljE0_EEESZ_S10_S11_S18_S1C_S1E_T6_T7_T9_mT8_S1G_bDpT10_ENKUlT_T0_E_clISt17integral_constantIbLb1EES1T_IbLb0EEEEDaS1P_S1Q_EUlS1P_E_NS1_11comp_targetILNS1_3genE3ELNS1_11target_archE908ELNS1_3gpuE7ELNS1_3repE0EEENS1_30default_config_static_selectorELNS0_4arch9wavefront6targetE0EEEvS12_
; %bb.0:
	.section	.rodata,"a",@progbits
	.p2align	6, 0x0
	.amdhsa_kernel _ZN7rocprim17ROCPRIM_400000_NS6detail17trampoline_kernelINS0_13select_configILj256ELj13ELNS0_17block_load_methodE3ELS4_3ELS4_3ELNS0_20block_scan_algorithmE0ELj4294967295EEENS1_25partition_config_selectorILNS1_17partition_subalgoE4EjNS0_10empty_typeEbEEZZNS1_14partition_implILS8_4ELb0ES6_15HIP_vector_typeIjLj2EENS0_17counting_iteratorIjlEEPS9_SG_NS0_5tupleIJPjSI_NS0_16reverse_iteratorISI_EEEEENSH_IJSG_SG_SG_EEES9_SI_JZNS1_25segmented_radix_sort_implINS0_14default_configELb1EPKsPsPKlPlN2at6native12_GLOBAL__N_18offset_tEEE10hipError_tPvRmT1_PNSt15iterator_traitsIS12_E10value_typeET2_T3_PNS13_IS18_E10value_typeET4_jRbjT5_S1E_jjP12ihipStream_tbEUljE_ZNSN_ISO_Lb1ESQ_SR_ST_SU_SY_EESZ_S10_S11_S12_S16_S17_S18_S1B_S1C_jS1D_jS1E_S1E_jjS1G_bEUljE0_EEESZ_S10_S11_S18_S1C_S1E_T6_T7_T9_mT8_S1G_bDpT10_ENKUlT_T0_E_clISt17integral_constantIbLb1EES1T_IbLb0EEEEDaS1P_S1Q_EUlS1P_E_NS1_11comp_targetILNS1_3genE3ELNS1_11target_archE908ELNS1_3gpuE7ELNS1_3repE0EEENS1_30default_config_static_selectorELNS0_4arch9wavefront6targetE0EEEvS12_
		.amdhsa_group_segment_fixed_size 0
		.amdhsa_private_segment_fixed_size 0
		.amdhsa_kernarg_size 176
		.amdhsa_user_sgpr_count 6
		.amdhsa_user_sgpr_private_segment_buffer 1
		.amdhsa_user_sgpr_dispatch_ptr 0
		.amdhsa_user_sgpr_queue_ptr 0
		.amdhsa_user_sgpr_kernarg_segment_ptr 1
		.amdhsa_user_sgpr_dispatch_id 0
		.amdhsa_user_sgpr_flat_scratch_init 0
		.amdhsa_user_sgpr_private_segment_size 0
		.amdhsa_wavefront_size32 1
		.amdhsa_uses_dynamic_stack 0
		.amdhsa_system_sgpr_private_segment_wavefront_offset 0
		.amdhsa_system_sgpr_workgroup_id_x 1
		.amdhsa_system_sgpr_workgroup_id_y 0
		.amdhsa_system_sgpr_workgroup_id_z 0
		.amdhsa_system_sgpr_workgroup_info 0
		.amdhsa_system_vgpr_workitem_id 0
		.amdhsa_next_free_vgpr 1
		.amdhsa_next_free_sgpr 1
		.amdhsa_reserve_vcc 0
		.amdhsa_reserve_flat_scratch 0
		.amdhsa_float_round_mode_32 0
		.amdhsa_float_round_mode_16_64 0
		.amdhsa_float_denorm_mode_32 3
		.amdhsa_float_denorm_mode_16_64 3
		.amdhsa_dx10_clamp 1
		.amdhsa_ieee_mode 1
		.amdhsa_fp16_overflow 0
		.amdhsa_workgroup_processor_mode 1
		.amdhsa_memory_ordered 1
		.amdhsa_forward_progress 1
		.amdhsa_shared_vgpr_count 0
		.amdhsa_exception_fp_ieee_invalid_op 0
		.amdhsa_exception_fp_denorm_src 0
		.amdhsa_exception_fp_ieee_div_zero 0
		.amdhsa_exception_fp_ieee_overflow 0
		.amdhsa_exception_fp_ieee_underflow 0
		.amdhsa_exception_fp_ieee_inexact 0
		.amdhsa_exception_int_div_zero 0
	.end_amdhsa_kernel
	.section	.text._ZN7rocprim17ROCPRIM_400000_NS6detail17trampoline_kernelINS0_13select_configILj256ELj13ELNS0_17block_load_methodE3ELS4_3ELS4_3ELNS0_20block_scan_algorithmE0ELj4294967295EEENS1_25partition_config_selectorILNS1_17partition_subalgoE4EjNS0_10empty_typeEbEEZZNS1_14partition_implILS8_4ELb0ES6_15HIP_vector_typeIjLj2EENS0_17counting_iteratorIjlEEPS9_SG_NS0_5tupleIJPjSI_NS0_16reverse_iteratorISI_EEEEENSH_IJSG_SG_SG_EEES9_SI_JZNS1_25segmented_radix_sort_implINS0_14default_configELb1EPKsPsPKlPlN2at6native12_GLOBAL__N_18offset_tEEE10hipError_tPvRmT1_PNSt15iterator_traitsIS12_E10value_typeET2_T3_PNS13_IS18_E10value_typeET4_jRbjT5_S1E_jjP12ihipStream_tbEUljE_ZNSN_ISO_Lb1ESQ_SR_ST_SU_SY_EESZ_S10_S11_S12_S16_S17_S18_S1B_S1C_jS1D_jS1E_S1E_jjS1G_bEUljE0_EEESZ_S10_S11_S18_S1C_S1E_T6_T7_T9_mT8_S1G_bDpT10_ENKUlT_T0_E_clISt17integral_constantIbLb1EES1T_IbLb0EEEEDaS1P_S1Q_EUlS1P_E_NS1_11comp_targetILNS1_3genE3ELNS1_11target_archE908ELNS1_3gpuE7ELNS1_3repE0EEENS1_30default_config_static_selectorELNS0_4arch9wavefront6targetE0EEEvS12_,"axG",@progbits,_ZN7rocprim17ROCPRIM_400000_NS6detail17trampoline_kernelINS0_13select_configILj256ELj13ELNS0_17block_load_methodE3ELS4_3ELS4_3ELNS0_20block_scan_algorithmE0ELj4294967295EEENS1_25partition_config_selectorILNS1_17partition_subalgoE4EjNS0_10empty_typeEbEEZZNS1_14partition_implILS8_4ELb0ES6_15HIP_vector_typeIjLj2EENS0_17counting_iteratorIjlEEPS9_SG_NS0_5tupleIJPjSI_NS0_16reverse_iteratorISI_EEEEENSH_IJSG_SG_SG_EEES9_SI_JZNS1_25segmented_radix_sort_implINS0_14default_configELb1EPKsPsPKlPlN2at6native12_GLOBAL__N_18offset_tEEE10hipError_tPvRmT1_PNSt15iterator_traitsIS12_E10value_typeET2_T3_PNS13_IS18_E10value_typeET4_jRbjT5_S1E_jjP12ihipStream_tbEUljE_ZNSN_ISO_Lb1ESQ_SR_ST_SU_SY_EESZ_S10_S11_S12_S16_S17_S18_S1B_S1C_jS1D_jS1E_S1E_jjS1G_bEUljE0_EEESZ_S10_S11_S18_S1C_S1E_T6_T7_T9_mT8_S1G_bDpT10_ENKUlT_T0_E_clISt17integral_constantIbLb1EES1T_IbLb0EEEEDaS1P_S1Q_EUlS1P_E_NS1_11comp_targetILNS1_3genE3ELNS1_11target_archE908ELNS1_3gpuE7ELNS1_3repE0EEENS1_30default_config_static_selectorELNS0_4arch9wavefront6targetE0EEEvS12_,comdat
.Lfunc_end860:
	.size	_ZN7rocprim17ROCPRIM_400000_NS6detail17trampoline_kernelINS0_13select_configILj256ELj13ELNS0_17block_load_methodE3ELS4_3ELS4_3ELNS0_20block_scan_algorithmE0ELj4294967295EEENS1_25partition_config_selectorILNS1_17partition_subalgoE4EjNS0_10empty_typeEbEEZZNS1_14partition_implILS8_4ELb0ES6_15HIP_vector_typeIjLj2EENS0_17counting_iteratorIjlEEPS9_SG_NS0_5tupleIJPjSI_NS0_16reverse_iteratorISI_EEEEENSH_IJSG_SG_SG_EEES9_SI_JZNS1_25segmented_radix_sort_implINS0_14default_configELb1EPKsPsPKlPlN2at6native12_GLOBAL__N_18offset_tEEE10hipError_tPvRmT1_PNSt15iterator_traitsIS12_E10value_typeET2_T3_PNS13_IS18_E10value_typeET4_jRbjT5_S1E_jjP12ihipStream_tbEUljE_ZNSN_ISO_Lb1ESQ_SR_ST_SU_SY_EESZ_S10_S11_S12_S16_S17_S18_S1B_S1C_jS1D_jS1E_S1E_jjS1G_bEUljE0_EEESZ_S10_S11_S18_S1C_S1E_T6_T7_T9_mT8_S1G_bDpT10_ENKUlT_T0_E_clISt17integral_constantIbLb1EES1T_IbLb0EEEEDaS1P_S1Q_EUlS1P_E_NS1_11comp_targetILNS1_3genE3ELNS1_11target_archE908ELNS1_3gpuE7ELNS1_3repE0EEENS1_30default_config_static_selectorELNS0_4arch9wavefront6targetE0EEEvS12_, .Lfunc_end860-_ZN7rocprim17ROCPRIM_400000_NS6detail17trampoline_kernelINS0_13select_configILj256ELj13ELNS0_17block_load_methodE3ELS4_3ELS4_3ELNS0_20block_scan_algorithmE0ELj4294967295EEENS1_25partition_config_selectorILNS1_17partition_subalgoE4EjNS0_10empty_typeEbEEZZNS1_14partition_implILS8_4ELb0ES6_15HIP_vector_typeIjLj2EENS0_17counting_iteratorIjlEEPS9_SG_NS0_5tupleIJPjSI_NS0_16reverse_iteratorISI_EEEEENSH_IJSG_SG_SG_EEES9_SI_JZNS1_25segmented_radix_sort_implINS0_14default_configELb1EPKsPsPKlPlN2at6native12_GLOBAL__N_18offset_tEEE10hipError_tPvRmT1_PNSt15iterator_traitsIS12_E10value_typeET2_T3_PNS13_IS18_E10value_typeET4_jRbjT5_S1E_jjP12ihipStream_tbEUljE_ZNSN_ISO_Lb1ESQ_SR_ST_SU_SY_EESZ_S10_S11_S12_S16_S17_S18_S1B_S1C_jS1D_jS1E_S1E_jjS1G_bEUljE0_EEESZ_S10_S11_S18_S1C_S1E_T6_T7_T9_mT8_S1G_bDpT10_ENKUlT_T0_E_clISt17integral_constantIbLb1EES1T_IbLb0EEEEDaS1P_S1Q_EUlS1P_E_NS1_11comp_targetILNS1_3genE3ELNS1_11target_archE908ELNS1_3gpuE7ELNS1_3repE0EEENS1_30default_config_static_selectorELNS0_4arch9wavefront6targetE0EEEvS12_
                                        ; -- End function
	.set _ZN7rocprim17ROCPRIM_400000_NS6detail17trampoline_kernelINS0_13select_configILj256ELj13ELNS0_17block_load_methodE3ELS4_3ELS4_3ELNS0_20block_scan_algorithmE0ELj4294967295EEENS1_25partition_config_selectorILNS1_17partition_subalgoE4EjNS0_10empty_typeEbEEZZNS1_14partition_implILS8_4ELb0ES6_15HIP_vector_typeIjLj2EENS0_17counting_iteratorIjlEEPS9_SG_NS0_5tupleIJPjSI_NS0_16reverse_iteratorISI_EEEEENSH_IJSG_SG_SG_EEES9_SI_JZNS1_25segmented_radix_sort_implINS0_14default_configELb1EPKsPsPKlPlN2at6native12_GLOBAL__N_18offset_tEEE10hipError_tPvRmT1_PNSt15iterator_traitsIS12_E10value_typeET2_T3_PNS13_IS18_E10value_typeET4_jRbjT5_S1E_jjP12ihipStream_tbEUljE_ZNSN_ISO_Lb1ESQ_SR_ST_SU_SY_EESZ_S10_S11_S12_S16_S17_S18_S1B_S1C_jS1D_jS1E_S1E_jjS1G_bEUljE0_EEESZ_S10_S11_S18_S1C_S1E_T6_T7_T9_mT8_S1G_bDpT10_ENKUlT_T0_E_clISt17integral_constantIbLb1EES1T_IbLb0EEEEDaS1P_S1Q_EUlS1P_E_NS1_11comp_targetILNS1_3genE3ELNS1_11target_archE908ELNS1_3gpuE7ELNS1_3repE0EEENS1_30default_config_static_selectorELNS0_4arch9wavefront6targetE0EEEvS12_.num_vgpr, 0
	.set _ZN7rocprim17ROCPRIM_400000_NS6detail17trampoline_kernelINS0_13select_configILj256ELj13ELNS0_17block_load_methodE3ELS4_3ELS4_3ELNS0_20block_scan_algorithmE0ELj4294967295EEENS1_25partition_config_selectorILNS1_17partition_subalgoE4EjNS0_10empty_typeEbEEZZNS1_14partition_implILS8_4ELb0ES6_15HIP_vector_typeIjLj2EENS0_17counting_iteratorIjlEEPS9_SG_NS0_5tupleIJPjSI_NS0_16reverse_iteratorISI_EEEEENSH_IJSG_SG_SG_EEES9_SI_JZNS1_25segmented_radix_sort_implINS0_14default_configELb1EPKsPsPKlPlN2at6native12_GLOBAL__N_18offset_tEEE10hipError_tPvRmT1_PNSt15iterator_traitsIS12_E10value_typeET2_T3_PNS13_IS18_E10value_typeET4_jRbjT5_S1E_jjP12ihipStream_tbEUljE_ZNSN_ISO_Lb1ESQ_SR_ST_SU_SY_EESZ_S10_S11_S12_S16_S17_S18_S1B_S1C_jS1D_jS1E_S1E_jjS1G_bEUljE0_EEESZ_S10_S11_S18_S1C_S1E_T6_T7_T9_mT8_S1G_bDpT10_ENKUlT_T0_E_clISt17integral_constantIbLb1EES1T_IbLb0EEEEDaS1P_S1Q_EUlS1P_E_NS1_11comp_targetILNS1_3genE3ELNS1_11target_archE908ELNS1_3gpuE7ELNS1_3repE0EEENS1_30default_config_static_selectorELNS0_4arch9wavefront6targetE0EEEvS12_.num_agpr, 0
	.set _ZN7rocprim17ROCPRIM_400000_NS6detail17trampoline_kernelINS0_13select_configILj256ELj13ELNS0_17block_load_methodE3ELS4_3ELS4_3ELNS0_20block_scan_algorithmE0ELj4294967295EEENS1_25partition_config_selectorILNS1_17partition_subalgoE4EjNS0_10empty_typeEbEEZZNS1_14partition_implILS8_4ELb0ES6_15HIP_vector_typeIjLj2EENS0_17counting_iteratorIjlEEPS9_SG_NS0_5tupleIJPjSI_NS0_16reverse_iteratorISI_EEEEENSH_IJSG_SG_SG_EEES9_SI_JZNS1_25segmented_radix_sort_implINS0_14default_configELb1EPKsPsPKlPlN2at6native12_GLOBAL__N_18offset_tEEE10hipError_tPvRmT1_PNSt15iterator_traitsIS12_E10value_typeET2_T3_PNS13_IS18_E10value_typeET4_jRbjT5_S1E_jjP12ihipStream_tbEUljE_ZNSN_ISO_Lb1ESQ_SR_ST_SU_SY_EESZ_S10_S11_S12_S16_S17_S18_S1B_S1C_jS1D_jS1E_S1E_jjS1G_bEUljE0_EEESZ_S10_S11_S18_S1C_S1E_T6_T7_T9_mT8_S1G_bDpT10_ENKUlT_T0_E_clISt17integral_constantIbLb1EES1T_IbLb0EEEEDaS1P_S1Q_EUlS1P_E_NS1_11comp_targetILNS1_3genE3ELNS1_11target_archE908ELNS1_3gpuE7ELNS1_3repE0EEENS1_30default_config_static_selectorELNS0_4arch9wavefront6targetE0EEEvS12_.numbered_sgpr, 0
	.set _ZN7rocprim17ROCPRIM_400000_NS6detail17trampoline_kernelINS0_13select_configILj256ELj13ELNS0_17block_load_methodE3ELS4_3ELS4_3ELNS0_20block_scan_algorithmE0ELj4294967295EEENS1_25partition_config_selectorILNS1_17partition_subalgoE4EjNS0_10empty_typeEbEEZZNS1_14partition_implILS8_4ELb0ES6_15HIP_vector_typeIjLj2EENS0_17counting_iteratorIjlEEPS9_SG_NS0_5tupleIJPjSI_NS0_16reverse_iteratorISI_EEEEENSH_IJSG_SG_SG_EEES9_SI_JZNS1_25segmented_radix_sort_implINS0_14default_configELb1EPKsPsPKlPlN2at6native12_GLOBAL__N_18offset_tEEE10hipError_tPvRmT1_PNSt15iterator_traitsIS12_E10value_typeET2_T3_PNS13_IS18_E10value_typeET4_jRbjT5_S1E_jjP12ihipStream_tbEUljE_ZNSN_ISO_Lb1ESQ_SR_ST_SU_SY_EESZ_S10_S11_S12_S16_S17_S18_S1B_S1C_jS1D_jS1E_S1E_jjS1G_bEUljE0_EEESZ_S10_S11_S18_S1C_S1E_T6_T7_T9_mT8_S1G_bDpT10_ENKUlT_T0_E_clISt17integral_constantIbLb1EES1T_IbLb0EEEEDaS1P_S1Q_EUlS1P_E_NS1_11comp_targetILNS1_3genE3ELNS1_11target_archE908ELNS1_3gpuE7ELNS1_3repE0EEENS1_30default_config_static_selectorELNS0_4arch9wavefront6targetE0EEEvS12_.num_named_barrier, 0
	.set _ZN7rocprim17ROCPRIM_400000_NS6detail17trampoline_kernelINS0_13select_configILj256ELj13ELNS0_17block_load_methodE3ELS4_3ELS4_3ELNS0_20block_scan_algorithmE0ELj4294967295EEENS1_25partition_config_selectorILNS1_17partition_subalgoE4EjNS0_10empty_typeEbEEZZNS1_14partition_implILS8_4ELb0ES6_15HIP_vector_typeIjLj2EENS0_17counting_iteratorIjlEEPS9_SG_NS0_5tupleIJPjSI_NS0_16reverse_iteratorISI_EEEEENSH_IJSG_SG_SG_EEES9_SI_JZNS1_25segmented_radix_sort_implINS0_14default_configELb1EPKsPsPKlPlN2at6native12_GLOBAL__N_18offset_tEEE10hipError_tPvRmT1_PNSt15iterator_traitsIS12_E10value_typeET2_T3_PNS13_IS18_E10value_typeET4_jRbjT5_S1E_jjP12ihipStream_tbEUljE_ZNSN_ISO_Lb1ESQ_SR_ST_SU_SY_EESZ_S10_S11_S12_S16_S17_S18_S1B_S1C_jS1D_jS1E_S1E_jjS1G_bEUljE0_EEESZ_S10_S11_S18_S1C_S1E_T6_T7_T9_mT8_S1G_bDpT10_ENKUlT_T0_E_clISt17integral_constantIbLb1EES1T_IbLb0EEEEDaS1P_S1Q_EUlS1P_E_NS1_11comp_targetILNS1_3genE3ELNS1_11target_archE908ELNS1_3gpuE7ELNS1_3repE0EEENS1_30default_config_static_selectorELNS0_4arch9wavefront6targetE0EEEvS12_.private_seg_size, 0
	.set _ZN7rocprim17ROCPRIM_400000_NS6detail17trampoline_kernelINS0_13select_configILj256ELj13ELNS0_17block_load_methodE3ELS4_3ELS4_3ELNS0_20block_scan_algorithmE0ELj4294967295EEENS1_25partition_config_selectorILNS1_17partition_subalgoE4EjNS0_10empty_typeEbEEZZNS1_14partition_implILS8_4ELb0ES6_15HIP_vector_typeIjLj2EENS0_17counting_iteratorIjlEEPS9_SG_NS0_5tupleIJPjSI_NS0_16reverse_iteratorISI_EEEEENSH_IJSG_SG_SG_EEES9_SI_JZNS1_25segmented_radix_sort_implINS0_14default_configELb1EPKsPsPKlPlN2at6native12_GLOBAL__N_18offset_tEEE10hipError_tPvRmT1_PNSt15iterator_traitsIS12_E10value_typeET2_T3_PNS13_IS18_E10value_typeET4_jRbjT5_S1E_jjP12ihipStream_tbEUljE_ZNSN_ISO_Lb1ESQ_SR_ST_SU_SY_EESZ_S10_S11_S12_S16_S17_S18_S1B_S1C_jS1D_jS1E_S1E_jjS1G_bEUljE0_EEESZ_S10_S11_S18_S1C_S1E_T6_T7_T9_mT8_S1G_bDpT10_ENKUlT_T0_E_clISt17integral_constantIbLb1EES1T_IbLb0EEEEDaS1P_S1Q_EUlS1P_E_NS1_11comp_targetILNS1_3genE3ELNS1_11target_archE908ELNS1_3gpuE7ELNS1_3repE0EEENS1_30default_config_static_selectorELNS0_4arch9wavefront6targetE0EEEvS12_.uses_vcc, 0
	.set _ZN7rocprim17ROCPRIM_400000_NS6detail17trampoline_kernelINS0_13select_configILj256ELj13ELNS0_17block_load_methodE3ELS4_3ELS4_3ELNS0_20block_scan_algorithmE0ELj4294967295EEENS1_25partition_config_selectorILNS1_17partition_subalgoE4EjNS0_10empty_typeEbEEZZNS1_14partition_implILS8_4ELb0ES6_15HIP_vector_typeIjLj2EENS0_17counting_iteratorIjlEEPS9_SG_NS0_5tupleIJPjSI_NS0_16reverse_iteratorISI_EEEEENSH_IJSG_SG_SG_EEES9_SI_JZNS1_25segmented_radix_sort_implINS0_14default_configELb1EPKsPsPKlPlN2at6native12_GLOBAL__N_18offset_tEEE10hipError_tPvRmT1_PNSt15iterator_traitsIS12_E10value_typeET2_T3_PNS13_IS18_E10value_typeET4_jRbjT5_S1E_jjP12ihipStream_tbEUljE_ZNSN_ISO_Lb1ESQ_SR_ST_SU_SY_EESZ_S10_S11_S12_S16_S17_S18_S1B_S1C_jS1D_jS1E_S1E_jjS1G_bEUljE0_EEESZ_S10_S11_S18_S1C_S1E_T6_T7_T9_mT8_S1G_bDpT10_ENKUlT_T0_E_clISt17integral_constantIbLb1EES1T_IbLb0EEEEDaS1P_S1Q_EUlS1P_E_NS1_11comp_targetILNS1_3genE3ELNS1_11target_archE908ELNS1_3gpuE7ELNS1_3repE0EEENS1_30default_config_static_selectorELNS0_4arch9wavefront6targetE0EEEvS12_.uses_flat_scratch, 0
	.set _ZN7rocprim17ROCPRIM_400000_NS6detail17trampoline_kernelINS0_13select_configILj256ELj13ELNS0_17block_load_methodE3ELS4_3ELS4_3ELNS0_20block_scan_algorithmE0ELj4294967295EEENS1_25partition_config_selectorILNS1_17partition_subalgoE4EjNS0_10empty_typeEbEEZZNS1_14partition_implILS8_4ELb0ES6_15HIP_vector_typeIjLj2EENS0_17counting_iteratorIjlEEPS9_SG_NS0_5tupleIJPjSI_NS0_16reverse_iteratorISI_EEEEENSH_IJSG_SG_SG_EEES9_SI_JZNS1_25segmented_radix_sort_implINS0_14default_configELb1EPKsPsPKlPlN2at6native12_GLOBAL__N_18offset_tEEE10hipError_tPvRmT1_PNSt15iterator_traitsIS12_E10value_typeET2_T3_PNS13_IS18_E10value_typeET4_jRbjT5_S1E_jjP12ihipStream_tbEUljE_ZNSN_ISO_Lb1ESQ_SR_ST_SU_SY_EESZ_S10_S11_S12_S16_S17_S18_S1B_S1C_jS1D_jS1E_S1E_jjS1G_bEUljE0_EEESZ_S10_S11_S18_S1C_S1E_T6_T7_T9_mT8_S1G_bDpT10_ENKUlT_T0_E_clISt17integral_constantIbLb1EES1T_IbLb0EEEEDaS1P_S1Q_EUlS1P_E_NS1_11comp_targetILNS1_3genE3ELNS1_11target_archE908ELNS1_3gpuE7ELNS1_3repE0EEENS1_30default_config_static_selectorELNS0_4arch9wavefront6targetE0EEEvS12_.has_dyn_sized_stack, 0
	.set _ZN7rocprim17ROCPRIM_400000_NS6detail17trampoline_kernelINS0_13select_configILj256ELj13ELNS0_17block_load_methodE3ELS4_3ELS4_3ELNS0_20block_scan_algorithmE0ELj4294967295EEENS1_25partition_config_selectorILNS1_17partition_subalgoE4EjNS0_10empty_typeEbEEZZNS1_14partition_implILS8_4ELb0ES6_15HIP_vector_typeIjLj2EENS0_17counting_iteratorIjlEEPS9_SG_NS0_5tupleIJPjSI_NS0_16reverse_iteratorISI_EEEEENSH_IJSG_SG_SG_EEES9_SI_JZNS1_25segmented_radix_sort_implINS0_14default_configELb1EPKsPsPKlPlN2at6native12_GLOBAL__N_18offset_tEEE10hipError_tPvRmT1_PNSt15iterator_traitsIS12_E10value_typeET2_T3_PNS13_IS18_E10value_typeET4_jRbjT5_S1E_jjP12ihipStream_tbEUljE_ZNSN_ISO_Lb1ESQ_SR_ST_SU_SY_EESZ_S10_S11_S12_S16_S17_S18_S1B_S1C_jS1D_jS1E_S1E_jjS1G_bEUljE0_EEESZ_S10_S11_S18_S1C_S1E_T6_T7_T9_mT8_S1G_bDpT10_ENKUlT_T0_E_clISt17integral_constantIbLb1EES1T_IbLb0EEEEDaS1P_S1Q_EUlS1P_E_NS1_11comp_targetILNS1_3genE3ELNS1_11target_archE908ELNS1_3gpuE7ELNS1_3repE0EEENS1_30default_config_static_selectorELNS0_4arch9wavefront6targetE0EEEvS12_.has_recursion, 0
	.set _ZN7rocprim17ROCPRIM_400000_NS6detail17trampoline_kernelINS0_13select_configILj256ELj13ELNS0_17block_load_methodE3ELS4_3ELS4_3ELNS0_20block_scan_algorithmE0ELj4294967295EEENS1_25partition_config_selectorILNS1_17partition_subalgoE4EjNS0_10empty_typeEbEEZZNS1_14partition_implILS8_4ELb0ES6_15HIP_vector_typeIjLj2EENS0_17counting_iteratorIjlEEPS9_SG_NS0_5tupleIJPjSI_NS0_16reverse_iteratorISI_EEEEENSH_IJSG_SG_SG_EEES9_SI_JZNS1_25segmented_radix_sort_implINS0_14default_configELb1EPKsPsPKlPlN2at6native12_GLOBAL__N_18offset_tEEE10hipError_tPvRmT1_PNSt15iterator_traitsIS12_E10value_typeET2_T3_PNS13_IS18_E10value_typeET4_jRbjT5_S1E_jjP12ihipStream_tbEUljE_ZNSN_ISO_Lb1ESQ_SR_ST_SU_SY_EESZ_S10_S11_S12_S16_S17_S18_S1B_S1C_jS1D_jS1E_S1E_jjS1G_bEUljE0_EEESZ_S10_S11_S18_S1C_S1E_T6_T7_T9_mT8_S1G_bDpT10_ENKUlT_T0_E_clISt17integral_constantIbLb1EES1T_IbLb0EEEEDaS1P_S1Q_EUlS1P_E_NS1_11comp_targetILNS1_3genE3ELNS1_11target_archE908ELNS1_3gpuE7ELNS1_3repE0EEENS1_30default_config_static_selectorELNS0_4arch9wavefront6targetE0EEEvS12_.has_indirect_call, 0
	.section	.AMDGPU.csdata,"",@progbits
; Kernel info:
; codeLenInByte = 0
; TotalNumSgprs: 0
; NumVgprs: 0
; ScratchSize: 0
; MemoryBound: 0
; FloatMode: 240
; IeeeMode: 1
; LDSByteSize: 0 bytes/workgroup (compile time only)
; SGPRBlocks: 0
; VGPRBlocks: 0
; NumSGPRsForWavesPerEU: 1
; NumVGPRsForWavesPerEU: 1
; Occupancy: 16
; WaveLimiterHint : 0
; COMPUTE_PGM_RSRC2:SCRATCH_EN: 0
; COMPUTE_PGM_RSRC2:USER_SGPR: 6
; COMPUTE_PGM_RSRC2:TRAP_HANDLER: 0
; COMPUTE_PGM_RSRC2:TGID_X_EN: 1
; COMPUTE_PGM_RSRC2:TGID_Y_EN: 0
; COMPUTE_PGM_RSRC2:TGID_Z_EN: 0
; COMPUTE_PGM_RSRC2:TIDIG_COMP_CNT: 0
	.section	.text._ZN7rocprim17ROCPRIM_400000_NS6detail17trampoline_kernelINS0_13select_configILj256ELj13ELNS0_17block_load_methodE3ELS4_3ELS4_3ELNS0_20block_scan_algorithmE0ELj4294967295EEENS1_25partition_config_selectorILNS1_17partition_subalgoE4EjNS0_10empty_typeEbEEZZNS1_14partition_implILS8_4ELb0ES6_15HIP_vector_typeIjLj2EENS0_17counting_iteratorIjlEEPS9_SG_NS0_5tupleIJPjSI_NS0_16reverse_iteratorISI_EEEEENSH_IJSG_SG_SG_EEES9_SI_JZNS1_25segmented_radix_sort_implINS0_14default_configELb1EPKsPsPKlPlN2at6native12_GLOBAL__N_18offset_tEEE10hipError_tPvRmT1_PNSt15iterator_traitsIS12_E10value_typeET2_T3_PNS13_IS18_E10value_typeET4_jRbjT5_S1E_jjP12ihipStream_tbEUljE_ZNSN_ISO_Lb1ESQ_SR_ST_SU_SY_EESZ_S10_S11_S12_S16_S17_S18_S1B_S1C_jS1D_jS1E_S1E_jjS1G_bEUljE0_EEESZ_S10_S11_S18_S1C_S1E_T6_T7_T9_mT8_S1G_bDpT10_ENKUlT_T0_E_clISt17integral_constantIbLb1EES1T_IbLb0EEEEDaS1P_S1Q_EUlS1P_E_NS1_11comp_targetILNS1_3genE2ELNS1_11target_archE906ELNS1_3gpuE6ELNS1_3repE0EEENS1_30default_config_static_selectorELNS0_4arch9wavefront6targetE0EEEvS12_,"axG",@progbits,_ZN7rocprim17ROCPRIM_400000_NS6detail17trampoline_kernelINS0_13select_configILj256ELj13ELNS0_17block_load_methodE3ELS4_3ELS4_3ELNS0_20block_scan_algorithmE0ELj4294967295EEENS1_25partition_config_selectorILNS1_17partition_subalgoE4EjNS0_10empty_typeEbEEZZNS1_14partition_implILS8_4ELb0ES6_15HIP_vector_typeIjLj2EENS0_17counting_iteratorIjlEEPS9_SG_NS0_5tupleIJPjSI_NS0_16reverse_iteratorISI_EEEEENSH_IJSG_SG_SG_EEES9_SI_JZNS1_25segmented_radix_sort_implINS0_14default_configELb1EPKsPsPKlPlN2at6native12_GLOBAL__N_18offset_tEEE10hipError_tPvRmT1_PNSt15iterator_traitsIS12_E10value_typeET2_T3_PNS13_IS18_E10value_typeET4_jRbjT5_S1E_jjP12ihipStream_tbEUljE_ZNSN_ISO_Lb1ESQ_SR_ST_SU_SY_EESZ_S10_S11_S12_S16_S17_S18_S1B_S1C_jS1D_jS1E_S1E_jjS1G_bEUljE0_EEESZ_S10_S11_S18_S1C_S1E_T6_T7_T9_mT8_S1G_bDpT10_ENKUlT_T0_E_clISt17integral_constantIbLb1EES1T_IbLb0EEEEDaS1P_S1Q_EUlS1P_E_NS1_11comp_targetILNS1_3genE2ELNS1_11target_archE906ELNS1_3gpuE6ELNS1_3repE0EEENS1_30default_config_static_selectorELNS0_4arch9wavefront6targetE0EEEvS12_,comdat
	.globl	_ZN7rocprim17ROCPRIM_400000_NS6detail17trampoline_kernelINS0_13select_configILj256ELj13ELNS0_17block_load_methodE3ELS4_3ELS4_3ELNS0_20block_scan_algorithmE0ELj4294967295EEENS1_25partition_config_selectorILNS1_17partition_subalgoE4EjNS0_10empty_typeEbEEZZNS1_14partition_implILS8_4ELb0ES6_15HIP_vector_typeIjLj2EENS0_17counting_iteratorIjlEEPS9_SG_NS0_5tupleIJPjSI_NS0_16reverse_iteratorISI_EEEEENSH_IJSG_SG_SG_EEES9_SI_JZNS1_25segmented_radix_sort_implINS0_14default_configELb1EPKsPsPKlPlN2at6native12_GLOBAL__N_18offset_tEEE10hipError_tPvRmT1_PNSt15iterator_traitsIS12_E10value_typeET2_T3_PNS13_IS18_E10value_typeET4_jRbjT5_S1E_jjP12ihipStream_tbEUljE_ZNSN_ISO_Lb1ESQ_SR_ST_SU_SY_EESZ_S10_S11_S12_S16_S17_S18_S1B_S1C_jS1D_jS1E_S1E_jjS1G_bEUljE0_EEESZ_S10_S11_S18_S1C_S1E_T6_T7_T9_mT8_S1G_bDpT10_ENKUlT_T0_E_clISt17integral_constantIbLb1EES1T_IbLb0EEEEDaS1P_S1Q_EUlS1P_E_NS1_11comp_targetILNS1_3genE2ELNS1_11target_archE906ELNS1_3gpuE6ELNS1_3repE0EEENS1_30default_config_static_selectorELNS0_4arch9wavefront6targetE0EEEvS12_ ; -- Begin function _ZN7rocprim17ROCPRIM_400000_NS6detail17trampoline_kernelINS0_13select_configILj256ELj13ELNS0_17block_load_methodE3ELS4_3ELS4_3ELNS0_20block_scan_algorithmE0ELj4294967295EEENS1_25partition_config_selectorILNS1_17partition_subalgoE4EjNS0_10empty_typeEbEEZZNS1_14partition_implILS8_4ELb0ES6_15HIP_vector_typeIjLj2EENS0_17counting_iteratorIjlEEPS9_SG_NS0_5tupleIJPjSI_NS0_16reverse_iteratorISI_EEEEENSH_IJSG_SG_SG_EEES9_SI_JZNS1_25segmented_radix_sort_implINS0_14default_configELb1EPKsPsPKlPlN2at6native12_GLOBAL__N_18offset_tEEE10hipError_tPvRmT1_PNSt15iterator_traitsIS12_E10value_typeET2_T3_PNS13_IS18_E10value_typeET4_jRbjT5_S1E_jjP12ihipStream_tbEUljE_ZNSN_ISO_Lb1ESQ_SR_ST_SU_SY_EESZ_S10_S11_S12_S16_S17_S18_S1B_S1C_jS1D_jS1E_S1E_jjS1G_bEUljE0_EEESZ_S10_S11_S18_S1C_S1E_T6_T7_T9_mT8_S1G_bDpT10_ENKUlT_T0_E_clISt17integral_constantIbLb1EES1T_IbLb0EEEEDaS1P_S1Q_EUlS1P_E_NS1_11comp_targetILNS1_3genE2ELNS1_11target_archE906ELNS1_3gpuE6ELNS1_3repE0EEENS1_30default_config_static_selectorELNS0_4arch9wavefront6targetE0EEEvS12_
	.p2align	8
	.type	_ZN7rocprim17ROCPRIM_400000_NS6detail17trampoline_kernelINS0_13select_configILj256ELj13ELNS0_17block_load_methodE3ELS4_3ELS4_3ELNS0_20block_scan_algorithmE0ELj4294967295EEENS1_25partition_config_selectorILNS1_17partition_subalgoE4EjNS0_10empty_typeEbEEZZNS1_14partition_implILS8_4ELb0ES6_15HIP_vector_typeIjLj2EENS0_17counting_iteratorIjlEEPS9_SG_NS0_5tupleIJPjSI_NS0_16reverse_iteratorISI_EEEEENSH_IJSG_SG_SG_EEES9_SI_JZNS1_25segmented_radix_sort_implINS0_14default_configELb1EPKsPsPKlPlN2at6native12_GLOBAL__N_18offset_tEEE10hipError_tPvRmT1_PNSt15iterator_traitsIS12_E10value_typeET2_T3_PNS13_IS18_E10value_typeET4_jRbjT5_S1E_jjP12ihipStream_tbEUljE_ZNSN_ISO_Lb1ESQ_SR_ST_SU_SY_EESZ_S10_S11_S12_S16_S17_S18_S1B_S1C_jS1D_jS1E_S1E_jjS1G_bEUljE0_EEESZ_S10_S11_S18_S1C_S1E_T6_T7_T9_mT8_S1G_bDpT10_ENKUlT_T0_E_clISt17integral_constantIbLb1EES1T_IbLb0EEEEDaS1P_S1Q_EUlS1P_E_NS1_11comp_targetILNS1_3genE2ELNS1_11target_archE906ELNS1_3gpuE6ELNS1_3repE0EEENS1_30default_config_static_selectorELNS0_4arch9wavefront6targetE0EEEvS12_,@function
_ZN7rocprim17ROCPRIM_400000_NS6detail17trampoline_kernelINS0_13select_configILj256ELj13ELNS0_17block_load_methodE3ELS4_3ELS4_3ELNS0_20block_scan_algorithmE0ELj4294967295EEENS1_25partition_config_selectorILNS1_17partition_subalgoE4EjNS0_10empty_typeEbEEZZNS1_14partition_implILS8_4ELb0ES6_15HIP_vector_typeIjLj2EENS0_17counting_iteratorIjlEEPS9_SG_NS0_5tupleIJPjSI_NS0_16reverse_iteratorISI_EEEEENSH_IJSG_SG_SG_EEES9_SI_JZNS1_25segmented_radix_sort_implINS0_14default_configELb1EPKsPsPKlPlN2at6native12_GLOBAL__N_18offset_tEEE10hipError_tPvRmT1_PNSt15iterator_traitsIS12_E10value_typeET2_T3_PNS13_IS18_E10value_typeET4_jRbjT5_S1E_jjP12ihipStream_tbEUljE_ZNSN_ISO_Lb1ESQ_SR_ST_SU_SY_EESZ_S10_S11_S12_S16_S17_S18_S1B_S1C_jS1D_jS1E_S1E_jjS1G_bEUljE0_EEESZ_S10_S11_S18_S1C_S1E_T6_T7_T9_mT8_S1G_bDpT10_ENKUlT_T0_E_clISt17integral_constantIbLb1EES1T_IbLb0EEEEDaS1P_S1Q_EUlS1P_E_NS1_11comp_targetILNS1_3genE2ELNS1_11target_archE906ELNS1_3gpuE6ELNS1_3repE0EEENS1_30default_config_static_selectorELNS0_4arch9wavefront6targetE0EEEvS12_: ; @_ZN7rocprim17ROCPRIM_400000_NS6detail17trampoline_kernelINS0_13select_configILj256ELj13ELNS0_17block_load_methodE3ELS4_3ELS4_3ELNS0_20block_scan_algorithmE0ELj4294967295EEENS1_25partition_config_selectorILNS1_17partition_subalgoE4EjNS0_10empty_typeEbEEZZNS1_14partition_implILS8_4ELb0ES6_15HIP_vector_typeIjLj2EENS0_17counting_iteratorIjlEEPS9_SG_NS0_5tupleIJPjSI_NS0_16reverse_iteratorISI_EEEEENSH_IJSG_SG_SG_EEES9_SI_JZNS1_25segmented_radix_sort_implINS0_14default_configELb1EPKsPsPKlPlN2at6native12_GLOBAL__N_18offset_tEEE10hipError_tPvRmT1_PNSt15iterator_traitsIS12_E10value_typeET2_T3_PNS13_IS18_E10value_typeET4_jRbjT5_S1E_jjP12ihipStream_tbEUljE_ZNSN_ISO_Lb1ESQ_SR_ST_SU_SY_EESZ_S10_S11_S12_S16_S17_S18_S1B_S1C_jS1D_jS1E_S1E_jjS1G_bEUljE0_EEESZ_S10_S11_S18_S1C_S1E_T6_T7_T9_mT8_S1G_bDpT10_ENKUlT_T0_E_clISt17integral_constantIbLb1EES1T_IbLb0EEEEDaS1P_S1Q_EUlS1P_E_NS1_11comp_targetILNS1_3genE2ELNS1_11target_archE906ELNS1_3gpuE6ELNS1_3repE0EEENS1_30default_config_static_selectorELNS0_4arch9wavefront6targetE0EEEvS12_
; %bb.0:
	.section	.rodata,"a",@progbits
	.p2align	6, 0x0
	.amdhsa_kernel _ZN7rocprim17ROCPRIM_400000_NS6detail17trampoline_kernelINS0_13select_configILj256ELj13ELNS0_17block_load_methodE3ELS4_3ELS4_3ELNS0_20block_scan_algorithmE0ELj4294967295EEENS1_25partition_config_selectorILNS1_17partition_subalgoE4EjNS0_10empty_typeEbEEZZNS1_14partition_implILS8_4ELb0ES6_15HIP_vector_typeIjLj2EENS0_17counting_iteratorIjlEEPS9_SG_NS0_5tupleIJPjSI_NS0_16reverse_iteratorISI_EEEEENSH_IJSG_SG_SG_EEES9_SI_JZNS1_25segmented_radix_sort_implINS0_14default_configELb1EPKsPsPKlPlN2at6native12_GLOBAL__N_18offset_tEEE10hipError_tPvRmT1_PNSt15iterator_traitsIS12_E10value_typeET2_T3_PNS13_IS18_E10value_typeET4_jRbjT5_S1E_jjP12ihipStream_tbEUljE_ZNSN_ISO_Lb1ESQ_SR_ST_SU_SY_EESZ_S10_S11_S12_S16_S17_S18_S1B_S1C_jS1D_jS1E_S1E_jjS1G_bEUljE0_EEESZ_S10_S11_S18_S1C_S1E_T6_T7_T9_mT8_S1G_bDpT10_ENKUlT_T0_E_clISt17integral_constantIbLb1EES1T_IbLb0EEEEDaS1P_S1Q_EUlS1P_E_NS1_11comp_targetILNS1_3genE2ELNS1_11target_archE906ELNS1_3gpuE6ELNS1_3repE0EEENS1_30default_config_static_selectorELNS0_4arch9wavefront6targetE0EEEvS12_
		.amdhsa_group_segment_fixed_size 0
		.amdhsa_private_segment_fixed_size 0
		.amdhsa_kernarg_size 176
		.amdhsa_user_sgpr_count 6
		.amdhsa_user_sgpr_private_segment_buffer 1
		.amdhsa_user_sgpr_dispatch_ptr 0
		.amdhsa_user_sgpr_queue_ptr 0
		.amdhsa_user_sgpr_kernarg_segment_ptr 1
		.amdhsa_user_sgpr_dispatch_id 0
		.amdhsa_user_sgpr_flat_scratch_init 0
		.amdhsa_user_sgpr_private_segment_size 0
		.amdhsa_wavefront_size32 1
		.amdhsa_uses_dynamic_stack 0
		.amdhsa_system_sgpr_private_segment_wavefront_offset 0
		.amdhsa_system_sgpr_workgroup_id_x 1
		.amdhsa_system_sgpr_workgroup_id_y 0
		.amdhsa_system_sgpr_workgroup_id_z 0
		.amdhsa_system_sgpr_workgroup_info 0
		.amdhsa_system_vgpr_workitem_id 0
		.amdhsa_next_free_vgpr 1
		.amdhsa_next_free_sgpr 1
		.amdhsa_reserve_vcc 0
		.amdhsa_reserve_flat_scratch 0
		.amdhsa_float_round_mode_32 0
		.amdhsa_float_round_mode_16_64 0
		.amdhsa_float_denorm_mode_32 3
		.amdhsa_float_denorm_mode_16_64 3
		.amdhsa_dx10_clamp 1
		.amdhsa_ieee_mode 1
		.amdhsa_fp16_overflow 0
		.amdhsa_workgroup_processor_mode 1
		.amdhsa_memory_ordered 1
		.amdhsa_forward_progress 1
		.amdhsa_shared_vgpr_count 0
		.amdhsa_exception_fp_ieee_invalid_op 0
		.amdhsa_exception_fp_denorm_src 0
		.amdhsa_exception_fp_ieee_div_zero 0
		.amdhsa_exception_fp_ieee_overflow 0
		.amdhsa_exception_fp_ieee_underflow 0
		.amdhsa_exception_fp_ieee_inexact 0
		.amdhsa_exception_int_div_zero 0
	.end_amdhsa_kernel
	.section	.text._ZN7rocprim17ROCPRIM_400000_NS6detail17trampoline_kernelINS0_13select_configILj256ELj13ELNS0_17block_load_methodE3ELS4_3ELS4_3ELNS0_20block_scan_algorithmE0ELj4294967295EEENS1_25partition_config_selectorILNS1_17partition_subalgoE4EjNS0_10empty_typeEbEEZZNS1_14partition_implILS8_4ELb0ES6_15HIP_vector_typeIjLj2EENS0_17counting_iteratorIjlEEPS9_SG_NS0_5tupleIJPjSI_NS0_16reverse_iteratorISI_EEEEENSH_IJSG_SG_SG_EEES9_SI_JZNS1_25segmented_radix_sort_implINS0_14default_configELb1EPKsPsPKlPlN2at6native12_GLOBAL__N_18offset_tEEE10hipError_tPvRmT1_PNSt15iterator_traitsIS12_E10value_typeET2_T3_PNS13_IS18_E10value_typeET4_jRbjT5_S1E_jjP12ihipStream_tbEUljE_ZNSN_ISO_Lb1ESQ_SR_ST_SU_SY_EESZ_S10_S11_S12_S16_S17_S18_S1B_S1C_jS1D_jS1E_S1E_jjS1G_bEUljE0_EEESZ_S10_S11_S18_S1C_S1E_T6_T7_T9_mT8_S1G_bDpT10_ENKUlT_T0_E_clISt17integral_constantIbLb1EES1T_IbLb0EEEEDaS1P_S1Q_EUlS1P_E_NS1_11comp_targetILNS1_3genE2ELNS1_11target_archE906ELNS1_3gpuE6ELNS1_3repE0EEENS1_30default_config_static_selectorELNS0_4arch9wavefront6targetE0EEEvS12_,"axG",@progbits,_ZN7rocprim17ROCPRIM_400000_NS6detail17trampoline_kernelINS0_13select_configILj256ELj13ELNS0_17block_load_methodE3ELS4_3ELS4_3ELNS0_20block_scan_algorithmE0ELj4294967295EEENS1_25partition_config_selectorILNS1_17partition_subalgoE4EjNS0_10empty_typeEbEEZZNS1_14partition_implILS8_4ELb0ES6_15HIP_vector_typeIjLj2EENS0_17counting_iteratorIjlEEPS9_SG_NS0_5tupleIJPjSI_NS0_16reverse_iteratorISI_EEEEENSH_IJSG_SG_SG_EEES9_SI_JZNS1_25segmented_radix_sort_implINS0_14default_configELb1EPKsPsPKlPlN2at6native12_GLOBAL__N_18offset_tEEE10hipError_tPvRmT1_PNSt15iterator_traitsIS12_E10value_typeET2_T3_PNS13_IS18_E10value_typeET4_jRbjT5_S1E_jjP12ihipStream_tbEUljE_ZNSN_ISO_Lb1ESQ_SR_ST_SU_SY_EESZ_S10_S11_S12_S16_S17_S18_S1B_S1C_jS1D_jS1E_S1E_jjS1G_bEUljE0_EEESZ_S10_S11_S18_S1C_S1E_T6_T7_T9_mT8_S1G_bDpT10_ENKUlT_T0_E_clISt17integral_constantIbLb1EES1T_IbLb0EEEEDaS1P_S1Q_EUlS1P_E_NS1_11comp_targetILNS1_3genE2ELNS1_11target_archE906ELNS1_3gpuE6ELNS1_3repE0EEENS1_30default_config_static_selectorELNS0_4arch9wavefront6targetE0EEEvS12_,comdat
.Lfunc_end861:
	.size	_ZN7rocprim17ROCPRIM_400000_NS6detail17trampoline_kernelINS0_13select_configILj256ELj13ELNS0_17block_load_methodE3ELS4_3ELS4_3ELNS0_20block_scan_algorithmE0ELj4294967295EEENS1_25partition_config_selectorILNS1_17partition_subalgoE4EjNS0_10empty_typeEbEEZZNS1_14partition_implILS8_4ELb0ES6_15HIP_vector_typeIjLj2EENS0_17counting_iteratorIjlEEPS9_SG_NS0_5tupleIJPjSI_NS0_16reverse_iteratorISI_EEEEENSH_IJSG_SG_SG_EEES9_SI_JZNS1_25segmented_radix_sort_implINS0_14default_configELb1EPKsPsPKlPlN2at6native12_GLOBAL__N_18offset_tEEE10hipError_tPvRmT1_PNSt15iterator_traitsIS12_E10value_typeET2_T3_PNS13_IS18_E10value_typeET4_jRbjT5_S1E_jjP12ihipStream_tbEUljE_ZNSN_ISO_Lb1ESQ_SR_ST_SU_SY_EESZ_S10_S11_S12_S16_S17_S18_S1B_S1C_jS1D_jS1E_S1E_jjS1G_bEUljE0_EEESZ_S10_S11_S18_S1C_S1E_T6_T7_T9_mT8_S1G_bDpT10_ENKUlT_T0_E_clISt17integral_constantIbLb1EES1T_IbLb0EEEEDaS1P_S1Q_EUlS1P_E_NS1_11comp_targetILNS1_3genE2ELNS1_11target_archE906ELNS1_3gpuE6ELNS1_3repE0EEENS1_30default_config_static_selectorELNS0_4arch9wavefront6targetE0EEEvS12_, .Lfunc_end861-_ZN7rocprim17ROCPRIM_400000_NS6detail17trampoline_kernelINS0_13select_configILj256ELj13ELNS0_17block_load_methodE3ELS4_3ELS4_3ELNS0_20block_scan_algorithmE0ELj4294967295EEENS1_25partition_config_selectorILNS1_17partition_subalgoE4EjNS0_10empty_typeEbEEZZNS1_14partition_implILS8_4ELb0ES6_15HIP_vector_typeIjLj2EENS0_17counting_iteratorIjlEEPS9_SG_NS0_5tupleIJPjSI_NS0_16reverse_iteratorISI_EEEEENSH_IJSG_SG_SG_EEES9_SI_JZNS1_25segmented_radix_sort_implINS0_14default_configELb1EPKsPsPKlPlN2at6native12_GLOBAL__N_18offset_tEEE10hipError_tPvRmT1_PNSt15iterator_traitsIS12_E10value_typeET2_T3_PNS13_IS18_E10value_typeET4_jRbjT5_S1E_jjP12ihipStream_tbEUljE_ZNSN_ISO_Lb1ESQ_SR_ST_SU_SY_EESZ_S10_S11_S12_S16_S17_S18_S1B_S1C_jS1D_jS1E_S1E_jjS1G_bEUljE0_EEESZ_S10_S11_S18_S1C_S1E_T6_T7_T9_mT8_S1G_bDpT10_ENKUlT_T0_E_clISt17integral_constantIbLb1EES1T_IbLb0EEEEDaS1P_S1Q_EUlS1P_E_NS1_11comp_targetILNS1_3genE2ELNS1_11target_archE906ELNS1_3gpuE6ELNS1_3repE0EEENS1_30default_config_static_selectorELNS0_4arch9wavefront6targetE0EEEvS12_
                                        ; -- End function
	.set _ZN7rocprim17ROCPRIM_400000_NS6detail17trampoline_kernelINS0_13select_configILj256ELj13ELNS0_17block_load_methodE3ELS4_3ELS4_3ELNS0_20block_scan_algorithmE0ELj4294967295EEENS1_25partition_config_selectorILNS1_17partition_subalgoE4EjNS0_10empty_typeEbEEZZNS1_14partition_implILS8_4ELb0ES6_15HIP_vector_typeIjLj2EENS0_17counting_iteratorIjlEEPS9_SG_NS0_5tupleIJPjSI_NS0_16reverse_iteratorISI_EEEEENSH_IJSG_SG_SG_EEES9_SI_JZNS1_25segmented_radix_sort_implINS0_14default_configELb1EPKsPsPKlPlN2at6native12_GLOBAL__N_18offset_tEEE10hipError_tPvRmT1_PNSt15iterator_traitsIS12_E10value_typeET2_T3_PNS13_IS18_E10value_typeET4_jRbjT5_S1E_jjP12ihipStream_tbEUljE_ZNSN_ISO_Lb1ESQ_SR_ST_SU_SY_EESZ_S10_S11_S12_S16_S17_S18_S1B_S1C_jS1D_jS1E_S1E_jjS1G_bEUljE0_EEESZ_S10_S11_S18_S1C_S1E_T6_T7_T9_mT8_S1G_bDpT10_ENKUlT_T0_E_clISt17integral_constantIbLb1EES1T_IbLb0EEEEDaS1P_S1Q_EUlS1P_E_NS1_11comp_targetILNS1_3genE2ELNS1_11target_archE906ELNS1_3gpuE6ELNS1_3repE0EEENS1_30default_config_static_selectorELNS0_4arch9wavefront6targetE0EEEvS12_.num_vgpr, 0
	.set _ZN7rocprim17ROCPRIM_400000_NS6detail17trampoline_kernelINS0_13select_configILj256ELj13ELNS0_17block_load_methodE3ELS4_3ELS4_3ELNS0_20block_scan_algorithmE0ELj4294967295EEENS1_25partition_config_selectorILNS1_17partition_subalgoE4EjNS0_10empty_typeEbEEZZNS1_14partition_implILS8_4ELb0ES6_15HIP_vector_typeIjLj2EENS0_17counting_iteratorIjlEEPS9_SG_NS0_5tupleIJPjSI_NS0_16reverse_iteratorISI_EEEEENSH_IJSG_SG_SG_EEES9_SI_JZNS1_25segmented_radix_sort_implINS0_14default_configELb1EPKsPsPKlPlN2at6native12_GLOBAL__N_18offset_tEEE10hipError_tPvRmT1_PNSt15iterator_traitsIS12_E10value_typeET2_T3_PNS13_IS18_E10value_typeET4_jRbjT5_S1E_jjP12ihipStream_tbEUljE_ZNSN_ISO_Lb1ESQ_SR_ST_SU_SY_EESZ_S10_S11_S12_S16_S17_S18_S1B_S1C_jS1D_jS1E_S1E_jjS1G_bEUljE0_EEESZ_S10_S11_S18_S1C_S1E_T6_T7_T9_mT8_S1G_bDpT10_ENKUlT_T0_E_clISt17integral_constantIbLb1EES1T_IbLb0EEEEDaS1P_S1Q_EUlS1P_E_NS1_11comp_targetILNS1_3genE2ELNS1_11target_archE906ELNS1_3gpuE6ELNS1_3repE0EEENS1_30default_config_static_selectorELNS0_4arch9wavefront6targetE0EEEvS12_.num_agpr, 0
	.set _ZN7rocprim17ROCPRIM_400000_NS6detail17trampoline_kernelINS0_13select_configILj256ELj13ELNS0_17block_load_methodE3ELS4_3ELS4_3ELNS0_20block_scan_algorithmE0ELj4294967295EEENS1_25partition_config_selectorILNS1_17partition_subalgoE4EjNS0_10empty_typeEbEEZZNS1_14partition_implILS8_4ELb0ES6_15HIP_vector_typeIjLj2EENS0_17counting_iteratorIjlEEPS9_SG_NS0_5tupleIJPjSI_NS0_16reverse_iteratorISI_EEEEENSH_IJSG_SG_SG_EEES9_SI_JZNS1_25segmented_radix_sort_implINS0_14default_configELb1EPKsPsPKlPlN2at6native12_GLOBAL__N_18offset_tEEE10hipError_tPvRmT1_PNSt15iterator_traitsIS12_E10value_typeET2_T3_PNS13_IS18_E10value_typeET4_jRbjT5_S1E_jjP12ihipStream_tbEUljE_ZNSN_ISO_Lb1ESQ_SR_ST_SU_SY_EESZ_S10_S11_S12_S16_S17_S18_S1B_S1C_jS1D_jS1E_S1E_jjS1G_bEUljE0_EEESZ_S10_S11_S18_S1C_S1E_T6_T7_T9_mT8_S1G_bDpT10_ENKUlT_T0_E_clISt17integral_constantIbLb1EES1T_IbLb0EEEEDaS1P_S1Q_EUlS1P_E_NS1_11comp_targetILNS1_3genE2ELNS1_11target_archE906ELNS1_3gpuE6ELNS1_3repE0EEENS1_30default_config_static_selectorELNS0_4arch9wavefront6targetE0EEEvS12_.numbered_sgpr, 0
	.set _ZN7rocprim17ROCPRIM_400000_NS6detail17trampoline_kernelINS0_13select_configILj256ELj13ELNS0_17block_load_methodE3ELS4_3ELS4_3ELNS0_20block_scan_algorithmE0ELj4294967295EEENS1_25partition_config_selectorILNS1_17partition_subalgoE4EjNS0_10empty_typeEbEEZZNS1_14partition_implILS8_4ELb0ES6_15HIP_vector_typeIjLj2EENS0_17counting_iteratorIjlEEPS9_SG_NS0_5tupleIJPjSI_NS0_16reverse_iteratorISI_EEEEENSH_IJSG_SG_SG_EEES9_SI_JZNS1_25segmented_radix_sort_implINS0_14default_configELb1EPKsPsPKlPlN2at6native12_GLOBAL__N_18offset_tEEE10hipError_tPvRmT1_PNSt15iterator_traitsIS12_E10value_typeET2_T3_PNS13_IS18_E10value_typeET4_jRbjT5_S1E_jjP12ihipStream_tbEUljE_ZNSN_ISO_Lb1ESQ_SR_ST_SU_SY_EESZ_S10_S11_S12_S16_S17_S18_S1B_S1C_jS1D_jS1E_S1E_jjS1G_bEUljE0_EEESZ_S10_S11_S18_S1C_S1E_T6_T7_T9_mT8_S1G_bDpT10_ENKUlT_T0_E_clISt17integral_constantIbLb1EES1T_IbLb0EEEEDaS1P_S1Q_EUlS1P_E_NS1_11comp_targetILNS1_3genE2ELNS1_11target_archE906ELNS1_3gpuE6ELNS1_3repE0EEENS1_30default_config_static_selectorELNS0_4arch9wavefront6targetE0EEEvS12_.num_named_barrier, 0
	.set _ZN7rocprim17ROCPRIM_400000_NS6detail17trampoline_kernelINS0_13select_configILj256ELj13ELNS0_17block_load_methodE3ELS4_3ELS4_3ELNS0_20block_scan_algorithmE0ELj4294967295EEENS1_25partition_config_selectorILNS1_17partition_subalgoE4EjNS0_10empty_typeEbEEZZNS1_14partition_implILS8_4ELb0ES6_15HIP_vector_typeIjLj2EENS0_17counting_iteratorIjlEEPS9_SG_NS0_5tupleIJPjSI_NS0_16reverse_iteratorISI_EEEEENSH_IJSG_SG_SG_EEES9_SI_JZNS1_25segmented_radix_sort_implINS0_14default_configELb1EPKsPsPKlPlN2at6native12_GLOBAL__N_18offset_tEEE10hipError_tPvRmT1_PNSt15iterator_traitsIS12_E10value_typeET2_T3_PNS13_IS18_E10value_typeET4_jRbjT5_S1E_jjP12ihipStream_tbEUljE_ZNSN_ISO_Lb1ESQ_SR_ST_SU_SY_EESZ_S10_S11_S12_S16_S17_S18_S1B_S1C_jS1D_jS1E_S1E_jjS1G_bEUljE0_EEESZ_S10_S11_S18_S1C_S1E_T6_T7_T9_mT8_S1G_bDpT10_ENKUlT_T0_E_clISt17integral_constantIbLb1EES1T_IbLb0EEEEDaS1P_S1Q_EUlS1P_E_NS1_11comp_targetILNS1_3genE2ELNS1_11target_archE906ELNS1_3gpuE6ELNS1_3repE0EEENS1_30default_config_static_selectorELNS0_4arch9wavefront6targetE0EEEvS12_.private_seg_size, 0
	.set _ZN7rocprim17ROCPRIM_400000_NS6detail17trampoline_kernelINS0_13select_configILj256ELj13ELNS0_17block_load_methodE3ELS4_3ELS4_3ELNS0_20block_scan_algorithmE0ELj4294967295EEENS1_25partition_config_selectorILNS1_17partition_subalgoE4EjNS0_10empty_typeEbEEZZNS1_14partition_implILS8_4ELb0ES6_15HIP_vector_typeIjLj2EENS0_17counting_iteratorIjlEEPS9_SG_NS0_5tupleIJPjSI_NS0_16reverse_iteratorISI_EEEEENSH_IJSG_SG_SG_EEES9_SI_JZNS1_25segmented_radix_sort_implINS0_14default_configELb1EPKsPsPKlPlN2at6native12_GLOBAL__N_18offset_tEEE10hipError_tPvRmT1_PNSt15iterator_traitsIS12_E10value_typeET2_T3_PNS13_IS18_E10value_typeET4_jRbjT5_S1E_jjP12ihipStream_tbEUljE_ZNSN_ISO_Lb1ESQ_SR_ST_SU_SY_EESZ_S10_S11_S12_S16_S17_S18_S1B_S1C_jS1D_jS1E_S1E_jjS1G_bEUljE0_EEESZ_S10_S11_S18_S1C_S1E_T6_T7_T9_mT8_S1G_bDpT10_ENKUlT_T0_E_clISt17integral_constantIbLb1EES1T_IbLb0EEEEDaS1P_S1Q_EUlS1P_E_NS1_11comp_targetILNS1_3genE2ELNS1_11target_archE906ELNS1_3gpuE6ELNS1_3repE0EEENS1_30default_config_static_selectorELNS0_4arch9wavefront6targetE0EEEvS12_.uses_vcc, 0
	.set _ZN7rocprim17ROCPRIM_400000_NS6detail17trampoline_kernelINS0_13select_configILj256ELj13ELNS0_17block_load_methodE3ELS4_3ELS4_3ELNS0_20block_scan_algorithmE0ELj4294967295EEENS1_25partition_config_selectorILNS1_17partition_subalgoE4EjNS0_10empty_typeEbEEZZNS1_14partition_implILS8_4ELb0ES6_15HIP_vector_typeIjLj2EENS0_17counting_iteratorIjlEEPS9_SG_NS0_5tupleIJPjSI_NS0_16reverse_iteratorISI_EEEEENSH_IJSG_SG_SG_EEES9_SI_JZNS1_25segmented_radix_sort_implINS0_14default_configELb1EPKsPsPKlPlN2at6native12_GLOBAL__N_18offset_tEEE10hipError_tPvRmT1_PNSt15iterator_traitsIS12_E10value_typeET2_T3_PNS13_IS18_E10value_typeET4_jRbjT5_S1E_jjP12ihipStream_tbEUljE_ZNSN_ISO_Lb1ESQ_SR_ST_SU_SY_EESZ_S10_S11_S12_S16_S17_S18_S1B_S1C_jS1D_jS1E_S1E_jjS1G_bEUljE0_EEESZ_S10_S11_S18_S1C_S1E_T6_T7_T9_mT8_S1G_bDpT10_ENKUlT_T0_E_clISt17integral_constantIbLb1EES1T_IbLb0EEEEDaS1P_S1Q_EUlS1P_E_NS1_11comp_targetILNS1_3genE2ELNS1_11target_archE906ELNS1_3gpuE6ELNS1_3repE0EEENS1_30default_config_static_selectorELNS0_4arch9wavefront6targetE0EEEvS12_.uses_flat_scratch, 0
	.set _ZN7rocprim17ROCPRIM_400000_NS6detail17trampoline_kernelINS0_13select_configILj256ELj13ELNS0_17block_load_methodE3ELS4_3ELS4_3ELNS0_20block_scan_algorithmE0ELj4294967295EEENS1_25partition_config_selectorILNS1_17partition_subalgoE4EjNS0_10empty_typeEbEEZZNS1_14partition_implILS8_4ELb0ES6_15HIP_vector_typeIjLj2EENS0_17counting_iteratorIjlEEPS9_SG_NS0_5tupleIJPjSI_NS0_16reverse_iteratorISI_EEEEENSH_IJSG_SG_SG_EEES9_SI_JZNS1_25segmented_radix_sort_implINS0_14default_configELb1EPKsPsPKlPlN2at6native12_GLOBAL__N_18offset_tEEE10hipError_tPvRmT1_PNSt15iterator_traitsIS12_E10value_typeET2_T3_PNS13_IS18_E10value_typeET4_jRbjT5_S1E_jjP12ihipStream_tbEUljE_ZNSN_ISO_Lb1ESQ_SR_ST_SU_SY_EESZ_S10_S11_S12_S16_S17_S18_S1B_S1C_jS1D_jS1E_S1E_jjS1G_bEUljE0_EEESZ_S10_S11_S18_S1C_S1E_T6_T7_T9_mT8_S1G_bDpT10_ENKUlT_T0_E_clISt17integral_constantIbLb1EES1T_IbLb0EEEEDaS1P_S1Q_EUlS1P_E_NS1_11comp_targetILNS1_3genE2ELNS1_11target_archE906ELNS1_3gpuE6ELNS1_3repE0EEENS1_30default_config_static_selectorELNS0_4arch9wavefront6targetE0EEEvS12_.has_dyn_sized_stack, 0
	.set _ZN7rocprim17ROCPRIM_400000_NS6detail17trampoline_kernelINS0_13select_configILj256ELj13ELNS0_17block_load_methodE3ELS4_3ELS4_3ELNS0_20block_scan_algorithmE0ELj4294967295EEENS1_25partition_config_selectorILNS1_17partition_subalgoE4EjNS0_10empty_typeEbEEZZNS1_14partition_implILS8_4ELb0ES6_15HIP_vector_typeIjLj2EENS0_17counting_iteratorIjlEEPS9_SG_NS0_5tupleIJPjSI_NS0_16reverse_iteratorISI_EEEEENSH_IJSG_SG_SG_EEES9_SI_JZNS1_25segmented_radix_sort_implINS0_14default_configELb1EPKsPsPKlPlN2at6native12_GLOBAL__N_18offset_tEEE10hipError_tPvRmT1_PNSt15iterator_traitsIS12_E10value_typeET2_T3_PNS13_IS18_E10value_typeET4_jRbjT5_S1E_jjP12ihipStream_tbEUljE_ZNSN_ISO_Lb1ESQ_SR_ST_SU_SY_EESZ_S10_S11_S12_S16_S17_S18_S1B_S1C_jS1D_jS1E_S1E_jjS1G_bEUljE0_EEESZ_S10_S11_S18_S1C_S1E_T6_T7_T9_mT8_S1G_bDpT10_ENKUlT_T0_E_clISt17integral_constantIbLb1EES1T_IbLb0EEEEDaS1P_S1Q_EUlS1P_E_NS1_11comp_targetILNS1_3genE2ELNS1_11target_archE906ELNS1_3gpuE6ELNS1_3repE0EEENS1_30default_config_static_selectorELNS0_4arch9wavefront6targetE0EEEvS12_.has_recursion, 0
	.set _ZN7rocprim17ROCPRIM_400000_NS6detail17trampoline_kernelINS0_13select_configILj256ELj13ELNS0_17block_load_methodE3ELS4_3ELS4_3ELNS0_20block_scan_algorithmE0ELj4294967295EEENS1_25partition_config_selectorILNS1_17partition_subalgoE4EjNS0_10empty_typeEbEEZZNS1_14partition_implILS8_4ELb0ES6_15HIP_vector_typeIjLj2EENS0_17counting_iteratorIjlEEPS9_SG_NS0_5tupleIJPjSI_NS0_16reverse_iteratorISI_EEEEENSH_IJSG_SG_SG_EEES9_SI_JZNS1_25segmented_radix_sort_implINS0_14default_configELb1EPKsPsPKlPlN2at6native12_GLOBAL__N_18offset_tEEE10hipError_tPvRmT1_PNSt15iterator_traitsIS12_E10value_typeET2_T3_PNS13_IS18_E10value_typeET4_jRbjT5_S1E_jjP12ihipStream_tbEUljE_ZNSN_ISO_Lb1ESQ_SR_ST_SU_SY_EESZ_S10_S11_S12_S16_S17_S18_S1B_S1C_jS1D_jS1E_S1E_jjS1G_bEUljE0_EEESZ_S10_S11_S18_S1C_S1E_T6_T7_T9_mT8_S1G_bDpT10_ENKUlT_T0_E_clISt17integral_constantIbLb1EES1T_IbLb0EEEEDaS1P_S1Q_EUlS1P_E_NS1_11comp_targetILNS1_3genE2ELNS1_11target_archE906ELNS1_3gpuE6ELNS1_3repE0EEENS1_30default_config_static_selectorELNS0_4arch9wavefront6targetE0EEEvS12_.has_indirect_call, 0
	.section	.AMDGPU.csdata,"",@progbits
; Kernel info:
; codeLenInByte = 0
; TotalNumSgprs: 0
; NumVgprs: 0
; ScratchSize: 0
; MemoryBound: 0
; FloatMode: 240
; IeeeMode: 1
; LDSByteSize: 0 bytes/workgroup (compile time only)
; SGPRBlocks: 0
; VGPRBlocks: 0
; NumSGPRsForWavesPerEU: 1
; NumVGPRsForWavesPerEU: 1
; Occupancy: 16
; WaveLimiterHint : 0
; COMPUTE_PGM_RSRC2:SCRATCH_EN: 0
; COMPUTE_PGM_RSRC2:USER_SGPR: 6
; COMPUTE_PGM_RSRC2:TRAP_HANDLER: 0
; COMPUTE_PGM_RSRC2:TGID_X_EN: 1
; COMPUTE_PGM_RSRC2:TGID_Y_EN: 0
; COMPUTE_PGM_RSRC2:TGID_Z_EN: 0
; COMPUTE_PGM_RSRC2:TIDIG_COMP_CNT: 0
	.section	.text._ZN7rocprim17ROCPRIM_400000_NS6detail17trampoline_kernelINS0_13select_configILj256ELj13ELNS0_17block_load_methodE3ELS4_3ELS4_3ELNS0_20block_scan_algorithmE0ELj4294967295EEENS1_25partition_config_selectorILNS1_17partition_subalgoE4EjNS0_10empty_typeEbEEZZNS1_14partition_implILS8_4ELb0ES6_15HIP_vector_typeIjLj2EENS0_17counting_iteratorIjlEEPS9_SG_NS0_5tupleIJPjSI_NS0_16reverse_iteratorISI_EEEEENSH_IJSG_SG_SG_EEES9_SI_JZNS1_25segmented_radix_sort_implINS0_14default_configELb1EPKsPsPKlPlN2at6native12_GLOBAL__N_18offset_tEEE10hipError_tPvRmT1_PNSt15iterator_traitsIS12_E10value_typeET2_T3_PNS13_IS18_E10value_typeET4_jRbjT5_S1E_jjP12ihipStream_tbEUljE_ZNSN_ISO_Lb1ESQ_SR_ST_SU_SY_EESZ_S10_S11_S12_S16_S17_S18_S1B_S1C_jS1D_jS1E_S1E_jjS1G_bEUljE0_EEESZ_S10_S11_S18_S1C_S1E_T6_T7_T9_mT8_S1G_bDpT10_ENKUlT_T0_E_clISt17integral_constantIbLb1EES1T_IbLb0EEEEDaS1P_S1Q_EUlS1P_E_NS1_11comp_targetILNS1_3genE10ELNS1_11target_archE1200ELNS1_3gpuE4ELNS1_3repE0EEENS1_30default_config_static_selectorELNS0_4arch9wavefront6targetE0EEEvS12_,"axG",@progbits,_ZN7rocprim17ROCPRIM_400000_NS6detail17trampoline_kernelINS0_13select_configILj256ELj13ELNS0_17block_load_methodE3ELS4_3ELS4_3ELNS0_20block_scan_algorithmE0ELj4294967295EEENS1_25partition_config_selectorILNS1_17partition_subalgoE4EjNS0_10empty_typeEbEEZZNS1_14partition_implILS8_4ELb0ES6_15HIP_vector_typeIjLj2EENS0_17counting_iteratorIjlEEPS9_SG_NS0_5tupleIJPjSI_NS0_16reverse_iteratorISI_EEEEENSH_IJSG_SG_SG_EEES9_SI_JZNS1_25segmented_radix_sort_implINS0_14default_configELb1EPKsPsPKlPlN2at6native12_GLOBAL__N_18offset_tEEE10hipError_tPvRmT1_PNSt15iterator_traitsIS12_E10value_typeET2_T3_PNS13_IS18_E10value_typeET4_jRbjT5_S1E_jjP12ihipStream_tbEUljE_ZNSN_ISO_Lb1ESQ_SR_ST_SU_SY_EESZ_S10_S11_S12_S16_S17_S18_S1B_S1C_jS1D_jS1E_S1E_jjS1G_bEUljE0_EEESZ_S10_S11_S18_S1C_S1E_T6_T7_T9_mT8_S1G_bDpT10_ENKUlT_T0_E_clISt17integral_constantIbLb1EES1T_IbLb0EEEEDaS1P_S1Q_EUlS1P_E_NS1_11comp_targetILNS1_3genE10ELNS1_11target_archE1200ELNS1_3gpuE4ELNS1_3repE0EEENS1_30default_config_static_selectorELNS0_4arch9wavefront6targetE0EEEvS12_,comdat
	.globl	_ZN7rocprim17ROCPRIM_400000_NS6detail17trampoline_kernelINS0_13select_configILj256ELj13ELNS0_17block_load_methodE3ELS4_3ELS4_3ELNS0_20block_scan_algorithmE0ELj4294967295EEENS1_25partition_config_selectorILNS1_17partition_subalgoE4EjNS0_10empty_typeEbEEZZNS1_14partition_implILS8_4ELb0ES6_15HIP_vector_typeIjLj2EENS0_17counting_iteratorIjlEEPS9_SG_NS0_5tupleIJPjSI_NS0_16reverse_iteratorISI_EEEEENSH_IJSG_SG_SG_EEES9_SI_JZNS1_25segmented_radix_sort_implINS0_14default_configELb1EPKsPsPKlPlN2at6native12_GLOBAL__N_18offset_tEEE10hipError_tPvRmT1_PNSt15iterator_traitsIS12_E10value_typeET2_T3_PNS13_IS18_E10value_typeET4_jRbjT5_S1E_jjP12ihipStream_tbEUljE_ZNSN_ISO_Lb1ESQ_SR_ST_SU_SY_EESZ_S10_S11_S12_S16_S17_S18_S1B_S1C_jS1D_jS1E_S1E_jjS1G_bEUljE0_EEESZ_S10_S11_S18_S1C_S1E_T6_T7_T9_mT8_S1G_bDpT10_ENKUlT_T0_E_clISt17integral_constantIbLb1EES1T_IbLb0EEEEDaS1P_S1Q_EUlS1P_E_NS1_11comp_targetILNS1_3genE10ELNS1_11target_archE1200ELNS1_3gpuE4ELNS1_3repE0EEENS1_30default_config_static_selectorELNS0_4arch9wavefront6targetE0EEEvS12_ ; -- Begin function _ZN7rocprim17ROCPRIM_400000_NS6detail17trampoline_kernelINS0_13select_configILj256ELj13ELNS0_17block_load_methodE3ELS4_3ELS4_3ELNS0_20block_scan_algorithmE0ELj4294967295EEENS1_25partition_config_selectorILNS1_17partition_subalgoE4EjNS0_10empty_typeEbEEZZNS1_14partition_implILS8_4ELb0ES6_15HIP_vector_typeIjLj2EENS0_17counting_iteratorIjlEEPS9_SG_NS0_5tupleIJPjSI_NS0_16reverse_iteratorISI_EEEEENSH_IJSG_SG_SG_EEES9_SI_JZNS1_25segmented_radix_sort_implINS0_14default_configELb1EPKsPsPKlPlN2at6native12_GLOBAL__N_18offset_tEEE10hipError_tPvRmT1_PNSt15iterator_traitsIS12_E10value_typeET2_T3_PNS13_IS18_E10value_typeET4_jRbjT5_S1E_jjP12ihipStream_tbEUljE_ZNSN_ISO_Lb1ESQ_SR_ST_SU_SY_EESZ_S10_S11_S12_S16_S17_S18_S1B_S1C_jS1D_jS1E_S1E_jjS1G_bEUljE0_EEESZ_S10_S11_S18_S1C_S1E_T6_T7_T9_mT8_S1G_bDpT10_ENKUlT_T0_E_clISt17integral_constantIbLb1EES1T_IbLb0EEEEDaS1P_S1Q_EUlS1P_E_NS1_11comp_targetILNS1_3genE10ELNS1_11target_archE1200ELNS1_3gpuE4ELNS1_3repE0EEENS1_30default_config_static_selectorELNS0_4arch9wavefront6targetE0EEEvS12_
	.p2align	8
	.type	_ZN7rocprim17ROCPRIM_400000_NS6detail17trampoline_kernelINS0_13select_configILj256ELj13ELNS0_17block_load_methodE3ELS4_3ELS4_3ELNS0_20block_scan_algorithmE0ELj4294967295EEENS1_25partition_config_selectorILNS1_17partition_subalgoE4EjNS0_10empty_typeEbEEZZNS1_14partition_implILS8_4ELb0ES6_15HIP_vector_typeIjLj2EENS0_17counting_iteratorIjlEEPS9_SG_NS0_5tupleIJPjSI_NS0_16reverse_iteratorISI_EEEEENSH_IJSG_SG_SG_EEES9_SI_JZNS1_25segmented_radix_sort_implINS0_14default_configELb1EPKsPsPKlPlN2at6native12_GLOBAL__N_18offset_tEEE10hipError_tPvRmT1_PNSt15iterator_traitsIS12_E10value_typeET2_T3_PNS13_IS18_E10value_typeET4_jRbjT5_S1E_jjP12ihipStream_tbEUljE_ZNSN_ISO_Lb1ESQ_SR_ST_SU_SY_EESZ_S10_S11_S12_S16_S17_S18_S1B_S1C_jS1D_jS1E_S1E_jjS1G_bEUljE0_EEESZ_S10_S11_S18_S1C_S1E_T6_T7_T9_mT8_S1G_bDpT10_ENKUlT_T0_E_clISt17integral_constantIbLb1EES1T_IbLb0EEEEDaS1P_S1Q_EUlS1P_E_NS1_11comp_targetILNS1_3genE10ELNS1_11target_archE1200ELNS1_3gpuE4ELNS1_3repE0EEENS1_30default_config_static_selectorELNS0_4arch9wavefront6targetE0EEEvS12_,@function
_ZN7rocprim17ROCPRIM_400000_NS6detail17trampoline_kernelINS0_13select_configILj256ELj13ELNS0_17block_load_methodE3ELS4_3ELS4_3ELNS0_20block_scan_algorithmE0ELj4294967295EEENS1_25partition_config_selectorILNS1_17partition_subalgoE4EjNS0_10empty_typeEbEEZZNS1_14partition_implILS8_4ELb0ES6_15HIP_vector_typeIjLj2EENS0_17counting_iteratorIjlEEPS9_SG_NS0_5tupleIJPjSI_NS0_16reverse_iteratorISI_EEEEENSH_IJSG_SG_SG_EEES9_SI_JZNS1_25segmented_radix_sort_implINS0_14default_configELb1EPKsPsPKlPlN2at6native12_GLOBAL__N_18offset_tEEE10hipError_tPvRmT1_PNSt15iterator_traitsIS12_E10value_typeET2_T3_PNS13_IS18_E10value_typeET4_jRbjT5_S1E_jjP12ihipStream_tbEUljE_ZNSN_ISO_Lb1ESQ_SR_ST_SU_SY_EESZ_S10_S11_S12_S16_S17_S18_S1B_S1C_jS1D_jS1E_S1E_jjS1G_bEUljE0_EEESZ_S10_S11_S18_S1C_S1E_T6_T7_T9_mT8_S1G_bDpT10_ENKUlT_T0_E_clISt17integral_constantIbLb1EES1T_IbLb0EEEEDaS1P_S1Q_EUlS1P_E_NS1_11comp_targetILNS1_3genE10ELNS1_11target_archE1200ELNS1_3gpuE4ELNS1_3repE0EEENS1_30default_config_static_selectorELNS0_4arch9wavefront6targetE0EEEvS12_: ; @_ZN7rocprim17ROCPRIM_400000_NS6detail17trampoline_kernelINS0_13select_configILj256ELj13ELNS0_17block_load_methodE3ELS4_3ELS4_3ELNS0_20block_scan_algorithmE0ELj4294967295EEENS1_25partition_config_selectorILNS1_17partition_subalgoE4EjNS0_10empty_typeEbEEZZNS1_14partition_implILS8_4ELb0ES6_15HIP_vector_typeIjLj2EENS0_17counting_iteratorIjlEEPS9_SG_NS0_5tupleIJPjSI_NS0_16reverse_iteratorISI_EEEEENSH_IJSG_SG_SG_EEES9_SI_JZNS1_25segmented_radix_sort_implINS0_14default_configELb1EPKsPsPKlPlN2at6native12_GLOBAL__N_18offset_tEEE10hipError_tPvRmT1_PNSt15iterator_traitsIS12_E10value_typeET2_T3_PNS13_IS18_E10value_typeET4_jRbjT5_S1E_jjP12ihipStream_tbEUljE_ZNSN_ISO_Lb1ESQ_SR_ST_SU_SY_EESZ_S10_S11_S12_S16_S17_S18_S1B_S1C_jS1D_jS1E_S1E_jjS1G_bEUljE0_EEESZ_S10_S11_S18_S1C_S1E_T6_T7_T9_mT8_S1G_bDpT10_ENKUlT_T0_E_clISt17integral_constantIbLb1EES1T_IbLb0EEEEDaS1P_S1Q_EUlS1P_E_NS1_11comp_targetILNS1_3genE10ELNS1_11target_archE1200ELNS1_3gpuE4ELNS1_3repE0EEENS1_30default_config_static_selectorELNS0_4arch9wavefront6targetE0EEEvS12_
; %bb.0:
	.section	.rodata,"a",@progbits
	.p2align	6, 0x0
	.amdhsa_kernel _ZN7rocprim17ROCPRIM_400000_NS6detail17trampoline_kernelINS0_13select_configILj256ELj13ELNS0_17block_load_methodE3ELS4_3ELS4_3ELNS0_20block_scan_algorithmE0ELj4294967295EEENS1_25partition_config_selectorILNS1_17partition_subalgoE4EjNS0_10empty_typeEbEEZZNS1_14partition_implILS8_4ELb0ES6_15HIP_vector_typeIjLj2EENS0_17counting_iteratorIjlEEPS9_SG_NS0_5tupleIJPjSI_NS0_16reverse_iteratorISI_EEEEENSH_IJSG_SG_SG_EEES9_SI_JZNS1_25segmented_radix_sort_implINS0_14default_configELb1EPKsPsPKlPlN2at6native12_GLOBAL__N_18offset_tEEE10hipError_tPvRmT1_PNSt15iterator_traitsIS12_E10value_typeET2_T3_PNS13_IS18_E10value_typeET4_jRbjT5_S1E_jjP12ihipStream_tbEUljE_ZNSN_ISO_Lb1ESQ_SR_ST_SU_SY_EESZ_S10_S11_S12_S16_S17_S18_S1B_S1C_jS1D_jS1E_S1E_jjS1G_bEUljE0_EEESZ_S10_S11_S18_S1C_S1E_T6_T7_T9_mT8_S1G_bDpT10_ENKUlT_T0_E_clISt17integral_constantIbLb1EES1T_IbLb0EEEEDaS1P_S1Q_EUlS1P_E_NS1_11comp_targetILNS1_3genE10ELNS1_11target_archE1200ELNS1_3gpuE4ELNS1_3repE0EEENS1_30default_config_static_selectorELNS0_4arch9wavefront6targetE0EEEvS12_
		.amdhsa_group_segment_fixed_size 0
		.amdhsa_private_segment_fixed_size 0
		.amdhsa_kernarg_size 176
		.amdhsa_user_sgpr_count 6
		.amdhsa_user_sgpr_private_segment_buffer 1
		.amdhsa_user_sgpr_dispatch_ptr 0
		.amdhsa_user_sgpr_queue_ptr 0
		.amdhsa_user_sgpr_kernarg_segment_ptr 1
		.amdhsa_user_sgpr_dispatch_id 0
		.amdhsa_user_sgpr_flat_scratch_init 0
		.amdhsa_user_sgpr_private_segment_size 0
		.amdhsa_wavefront_size32 1
		.amdhsa_uses_dynamic_stack 0
		.amdhsa_system_sgpr_private_segment_wavefront_offset 0
		.amdhsa_system_sgpr_workgroup_id_x 1
		.amdhsa_system_sgpr_workgroup_id_y 0
		.amdhsa_system_sgpr_workgroup_id_z 0
		.amdhsa_system_sgpr_workgroup_info 0
		.amdhsa_system_vgpr_workitem_id 0
		.amdhsa_next_free_vgpr 1
		.amdhsa_next_free_sgpr 1
		.amdhsa_reserve_vcc 0
		.amdhsa_reserve_flat_scratch 0
		.amdhsa_float_round_mode_32 0
		.amdhsa_float_round_mode_16_64 0
		.amdhsa_float_denorm_mode_32 3
		.amdhsa_float_denorm_mode_16_64 3
		.amdhsa_dx10_clamp 1
		.amdhsa_ieee_mode 1
		.amdhsa_fp16_overflow 0
		.amdhsa_workgroup_processor_mode 1
		.amdhsa_memory_ordered 1
		.amdhsa_forward_progress 1
		.amdhsa_shared_vgpr_count 0
		.amdhsa_exception_fp_ieee_invalid_op 0
		.amdhsa_exception_fp_denorm_src 0
		.amdhsa_exception_fp_ieee_div_zero 0
		.amdhsa_exception_fp_ieee_overflow 0
		.amdhsa_exception_fp_ieee_underflow 0
		.amdhsa_exception_fp_ieee_inexact 0
		.amdhsa_exception_int_div_zero 0
	.end_amdhsa_kernel
	.section	.text._ZN7rocprim17ROCPRIM_400000_NS6detail17trampoline_kernelINS0_13select_configILj256ELj13ELNS0_17block_load_methodE3ELS4_3ELS4_3ELNS0_20block_scan_algorithmE0ELj4294967295EEENS1_25partition_config_selectorILNS1_17partition_subalgoE4EjNS0_10empty_typeEbEEZZNS1_14partition_implILS8_4ELb0ES6_15HIP_vector_typeIjLj2EENS0_17counting_iteratorIjlEEPS9_SG_NS0_5tupleIJPjSI_NS0_16reverse_iteratorISI_EEEEENSH_IJSG_SG_SG_EEES9_SI_JZNS1_25segmented_radix_sort_implINS0_14default_configELb1EPKsPsPKlPlN2at6native12_GLOBAL__N_18offset_tEEE10hipError_tPvRmT1_PNSt15iterator_traitsIS12_E10value_typeET2_T3_PNS13_IS18_E10value_typeET4_jRbjT5_S1E_jjP12ihipStream_tbEUljE_ZNSN_ISO_Lb1ESQ_SR_ST_SU_SY_EESZ_S10_S11_S12_S16_S17_S18_S1B_S1C_jS1D_jS1E_S1E_jjS1G_bEUljE0_EEESZ_S10_S11_S18_S1C_S1E_T6_T7_T9_mT8_S1G_bDpT10_ENKUlT_T0_E_clISt17integral_constantIbLb1EES1T_IbLb0EEEEDaS1P_S1Q_EUlS1P_E_NS1_11comp_targetILNS1_3genE10ELNS1_11target_archE1200ELNS1_3gpuE4ELNS1_3repE0EEENS1_30default_config_static_selectorELNS0_4arch9wavefront6targetE0EEEvS12_,"axG",@progbits,_ZN7rocprim17ROCPRIM_400000_NS6detail17trampoline_kernelINS0_13select_configILj256ELj13ELNS0_17block_load_methodE3ELS4_3ELS4_3ELNS0_20block_scan_algorithmE0ELj4294967295EEENS1_25partition_config_selectorILNS1_17partition_subalgoE4EjNS0_10empty_typeEbEEZZNS1_14partition_implILS8_4ELb0ES6_15HIP_vector_typeIjLj2EENS0_17counting_iteratorIjlEEPS9_SG_NS0_5tupleIJPjSI_NS0_16reverse_iteratorISI_EEEEENSH_IJSG_SG_SG_EEES9_SI_JZNS1_25segmented_radix_sort_implINS0_14default_configELb1EPKsPsPKlPlN2at6native12_GLOBAL__N_18offset_tEEE10hipError_tPvRmT1_PNSt15iterator_traitsIS12_E10value_typeET2_T3_PNS13_IS18_E10value_typeET4_jRbjT5_S1E_jjP12ihipStream_tbEUljE_ZNSN_ISO_Lb1ESQ_SR_ST_SU_SY_EESZ_S10_S11_S12_S16_S17_S18_S1B_S1C_jS1D_jS1E_S1E_jjS1G_bEUljE0_EEESZ_S10_S11_S18_S1C_S1E_T6_T7_T9_mT8_S1G_bDpT10_ENKUlT_T0_E_clISt17integral_constantIbLb1EES1T_IbLb0EEEEDaS1P_S1Q_EUlS1P_E_NS1_11comp_targetILNS1_3genE10ELNS1_11target_archE1200ELNS1_3gpuE4ELNS1_3repE0EEENS1_30default_config_static_selectorELNS0_4arch9wavefront6targetE0EEEvS12_,comdat
.Lfunc_end862:
	.size	_ZN7rocprim17ROCPRIM_400000_NS6detail17trampoline_kernelINS0_13select_configILj256ELj13ELNS0_17block_load_methodE3ELS4_3ELS4_3ELNS0_20block_scan_algorithmE0ELj4294967295EEENS1_25partition_config_selectorILNS1_17partition_subalgoE4EjNS0_10empty_typeEbEEZZNS1_14partition_implILS8_4ELb0ES6_15HIP_vector_typeIjLj2EENS0_17counting_iteratorIjlEEPS9_SG_NS0_5tupleIJPjSI_NS0_16reverse_iteratorISI_EEEEENSH_IJSG_SG_SG_EEES9_SI_JZNS1_25segmented_radix_sort_implINS0_14default_configELb1EPKsPsPKlPlN2at6native12_GLOBAL__N_18offset_tEEE10hipError_tPvRmT1_PNSt15iterator_traitsIS12_E10value_typeET2_T3_PNS13_IS18_E10value_typeET4_jRbjT5_S1E_jjP12ihipStream_tbEUljE_ZNSN_ISO_Lb1ESQ_SR_ST_SU_SY_EESZ_S10_S11_S12_S16_S17_S18_S1B_S1C_jS1D_jS1E_S1E_jjS1G_bEUljE0_EEESZ_S10_S11_S18_S1C_S1E_T6_T7_T9_mT8_S1G_bDpT10_ENKUlT_T0_E_clISt17integral_constantIbLb1EES1T_IbLb0EEEEDaS1P_S1Q_EUlS1P_E_NS1_11comp_targetILNS1_3genE10ELNS1_11target_archE1200ELNS1_3gpuE4ELNS1_3repE0EEENS1_30default_config_static_selectorELNS0_4arch9wavefront6targetE0EEEvS12_, .Lfunc_end862-_ZN7rocprim17ROCPRIM_400000_NS6detail17trampoline_kernelINS0_13select_configILj256ELj13ELNS0_17block_load_methodE3ELS4_3ELS4_3ELNS0_20block_scan_algorithmE0ELj4294967295EEENS1_25partition_config_selectorILNS1_17partition_subalgoE4EjNS0_10empty_typeEbEEZZNS1_14partition_implILS8_4ELb0ES6_15HIP_vector_typeIjLj2EENS0_17counting_iteratorIjlEEPS9_SG_NS0_5tupleIJPjSI_NS0_16reverse_iteratorISI_EEEEENSH_IJSG_SG_SG_EEES9_SI_JZNS1_25segmented_radix_sort_implINS0_14default_configELb1EPKsPsPKlPlN2at6native12_GLOBAL__N_18offset_tEEE10hipError_tPvRmT1_PNSt15iterator_traitsIS12_E10value_typeET2_T3_PNS13_IS18_E10value_typeET4_jRbjT5_S1E_jjP12ihipStream_tbEUljE_ZNSN_ISO_Lb1ESQ_SR_ST_SU_SY_EESZ_S10_S11_S12_S16_S17_S18_S1B_S1C_jS1D_jS1E_S1E_jjS1G_bEUljE0_EEESZ_S10_S11_S18_S1C_S1E_T6_T7_T9_mT8_S1G_bDpT10_ENKUlT_T0_E_clISt17integral_constantIbLb1EES1T_IbLb0EEEEDaS1P_S1Q_EUlS1P_E_NS1_11comp_targetILNS1_3genE10ELNS1_11target_archE1200ELNS1_3gpuE4ELNS1_3repE0EEENS1_30default_config_static_selectorELNS0_4arch9wavefront6targetE0EEEvS12_
                                        ; -- End function
	.set _ZN7rocprim17ROCPRIM_400000_NS6detail17trampoline_kernelINS0_13select_configILj256ELj13ELNS0_17block_load_methodE3ELS4_3ELS4_3ELNS0_20block_scan_algorithmE0ELj4294967295EEENS1_25partition_config_selectorILNS1_17partition_subalgoE4EjNS0_10empty_typeEbEEZZNS1_14partition_implILS8_4ELb0ES6_15HIP_vector_typeIjLj2EENS0_17counting_iteratorIjlEEPS9_SG_NS0_5tupleIJPjSI_NS0_16reverse_iteratorISI_EEEEENSH_IJSG_SG_SG_EEES9_SI_JZNS1_25segmented_radix_sort_implINS0_14default_configELb1EPKsPsPKlPlN2at6native12_GLOBAL__N_18offset_tEEE10hipError_tPvRmT1_PNSt15iterator_traitsIS12_E10value_typeET2_T3_PNS13_IS18_E10value_typeET4_jRbjT5_S1E_jjP12ihipStream_tbEUljE_ZNSN_ISO_Lb1ESQ_SR_ST_SU_SY_EESZ_S10_S11_S12_S16_S17_S18_S1B_S1C_jS1D_jS1E_S1E_jjS1G_bEUljE0_EEESZ_S10_S11_S18_S1C_S1E_T6_T7_T9_mT8_S1G_bDpT10_ENKUlT_T0_E_clISt17integral_constantIbLb1EES1T_IbLb0EEEEDaS1P_S1Q_EUlS1P_E_NS1_11comp_targetILNS1_3genE10ELNS1_11target_archE1200ELNS1_3gpuE4ELNS1_3repE0EEENS1_30default_config_static_selectorELNS0_4arch9wavefront6targetE0EEEvS12_.num_vgpr, 0
	.set _ZN7rocprim17ROCPRIM_400000_NS6detail17trampoline_kernelINS0_13select_configILj256ELj13ELNS0_17block_load_methodE3ELS4_3ELS4_3ELNS0_20block_scan_algorithmE0ELj4294967295EEENS1_25partition_config_selectorILNS1_17partition_subalgoE4EjNS0_10empty_typeEbEEZZNS1_14partition_implILS8_4ELb0ES6_15HIP_vector_typeIjLj2EENS0_17counting_iteratorIjlEEPS9_SG_NS0_5tupleIJPjSI_NS0_16reverse_iteratorISI_EEEEENSH_IJSG_SG_SG_EEES9_SI_JZNS1_25segmented_radix_sort_implINS0_14default_configELb1EPKsPsPKlPlN2at6native12_GLOBAL__N_18offset_tEEE10hipError_tPvRmT1_PNSt15iterator_traitsIS12_E10value_typeET2_T3_PNS13_IS18_E10value_typeET4_jRbjT5_S1E_jjP12ihipStream_tbEUljE_ZNSN_ISO_Lb1ESQ_SR_ST_SU_SY_EESZ_S10_S11_S12_S16_S17_S18_S1B_S1C_jS1D_jS1E_S1E_jjS1G_bEUljE0_EEESZ_S10_S11_S18_S1C_S1E_T6_T7_T9_mT8_S1G_bDpT10_ENKUlT_T0_E_clISt17integral_constantIbLb1EES1T_IbLb0EEEEDaS1P_S1Q_EUlS1P_E_NS1_11comp_targetILNS1_3genE10ELNS1_11target_archE1200ELNS1_3gpuE4ELNS1_3repE0EEENS1_30default_config_static_selectorELNS0_4arch9wavefront6targetE0EEEvS12_.num_agpr, 0
	.set _ZN7rocprim17ROCPRIM_400000_NS6detail17trampoline_kernelINS0_13select_configILj256ELj13ELNS0_17block_load_methodE3ELS4_3ELS4_3ELNS0_20block_scan_algorithmE0ELj4294967295EEENS1_25partition_config_selectorILNS1_17partition_subalgoE4EjNS0_10empty_typeEbEEZZNS1_14partition_implILS8_4ELb0ES6_15HIP_vector_typeIjLj2EENS0_17counting_iteratorIjlEEPS9_SG_NS0_5tupleIJPjSI_NS0_16reverse_iteratorISI_EEEEENSH_IJSG_SG_SG_EEES9_SI_JZNS1_25segmented_radix_sort_implINS0_14default_configELb1EPKsPsPKlPlN2at6native12_GLOBAL__N_18offset_tEEE10hipError_tPvRmT1_PNSt15iterator_traitsIS12_E10value_typeET2_T3_PNS13_IS18_E10value_typeET4_jRbjT5_S1E_jjP12ihipStream_tbEUljE_ZNSN_ISO_Lb1ESQ_SR_ST_SU_SY_EESZ_S10_S11_S12_S16_S17_S18_S1B_S1C_jS1D_jS1E_S1E_jjS1G_bEUljE0_EEESZ_S10_S11_S18_S1C_S1E_T6_T7_T9_mT8_S1G_bDpT10_ENKUlT_T0_E_clISt17integral_constantIbLb1EES1T_IbLb0EEEEDaS1P_S1Q_EUlS1P_E_NS1_11comp_targetILNS1_3genE10ELNS1_11target_archE1200ELNS1_3gpuE4ELNS1_3repE0EEENS1_30default_config_static_selectorELNS0_4arch9wavefront6targetE0EEEvS12_.numbered_sgpr, 0
	.set _ZN7rocprim17ROCPRIM_400000_NS6detail17trampoline_kernelINS0_13select_configILj256ELj13ELNS0_17block_load_methodE3ELS4_3ELS4_3ELNS0_20block_scan_algorithmE0ELj4294967295EEENS1_25partition_config_selectorILNS1_17partition_subalgoE4EjNS0_10empty_typeEbEEZZNS1_14partition_implILS8_4ELb0ES6_15HIP_vector_typeIjLj2EENS0_17counting_iteratorIjlEEPS9_SG_NS0_5tupleIJPjSI_NS0_16reverse_iteratorISI_EEEEENSH_IJSG_SG_SG_EEES9_SI_JZNS1_25segmented_radix_sort_implINS0_14default_configELb1EPKsPsPKlPlN2at6native12_GLOBAL__N_18offset_tEEE10hipError_tPvRmT1_PNSt15iterator_traitsIS12_E10value_typeET2_T3_PNS13_IS18_E10value_typeET4_jRbjT5_S1E_jjP12ihipStream_tbEUljE_ZNSN_ISO_Lb1ESQ_SR_ST_SU_SY_EESZ_S10_S11_S12_S16_S17_S18_S1B_S1C_jS1D_jS1E_S1E_jjS1G_bEUljE0_EEESZ_S10_S11_S18_S1C_S1E_T6_T7_T9_mT8_S1G_bDpT10_ENKUlT_T0_E_clISt17integral_constantIbLb1EES1T_IbLb0EEEEDaS1P_S1Q_EUlS1P_E_NS1_11comp_targetILNS1_3genE10ELNS1_11target_archE1200ELNS1_3gpuE4ELNS1_3repE0EEENS1_30default_config_static_selectorELNS0_4arch9wavefront6targetE0EEEvS12_.num_named_barrier, 0
	.set _ZN7rocprim17ROCPRIM_400000_NS6detail17trampoline_kernelINS0_13select_configILj256ELj13ELNS0_17block_load_methodE3ELS4_3ELS4_3ELNS0_20block_scan_algorithmE0ELj4294967295EEENS1_25partition_config_selectorILNS1_17partition_subalgoE4EjNS0_10empty_typeEbEEZZNS1_14partition_implILS8_4ELb0ES6_15HIP_vector_typeIjLj2EENS0_17counting_iteratorIjlEEPS9_SG_NS0_5tupleIJPjSI_NS0_16reverse_iteratorISI_EEEEENSH_IJSG_SG_SG_EEES9_SI_JZNS1_25segmented_radix_sort_implINS0_14default_configELb1EPKsPsPKlPlN2at6native12_GLOBAL__N_18offset_tEEE10hipError_tPvRmT1_PNSt15iterator_traitsIS12_E10value_typeET2_T3_PNS13_IS18_E10value_typeET4_jRbjT5_S1E_jjP12ihipStream_tbEUljE_ZNSN_ISO_Lb1ESQ_SR_ST_SU_SY_EESZ_S10_S11_S12_S16_S17_S18_S1B_S1C_jS1D_jS1E_S1E_jjS1G_bEUljE0_EEESZ_S10_S11_S18_S1C_S1E_T6_T7_T9_mT8_S1G_bDpT10_ENKUlT_T0_E_clISt17integral_constantIbLb1EES1T_IbLb0EEEEDaS1P_S1Q_EUlS1P_E_NS1_11comp_targetILNS1_3genE10ELNS1_11target_archE1200ELNS1_3gpuE4ELNS1_3repE0EEENS1_30default_config_static_selectorELNS0_4arch9wavefront6targetE0EEEvS12_.private_seg_size, 0
	.set _ZN7rocprim17ROCPRIM_400000_NS6detail17trampoline_kernelINS0_13select_configILj256ELj13ELNS0_17block_load_methodE3ELS4_3ELS4_3ELNS0_20block_scan_algorithmE0ELj4294967295EEENS1_25partition_config_selectorILNS1_17partition_subalgoE4EjNS0_10empty_typeEbEEZZNS1_14partition_implILS8_4ELb0ES6_15HIP_vector_typeIjLj2EENS0_17counting_iteratorIjlEEPS9_SG_NS0_5tupleIJPjSI_NS0_16reverse_iteratorISI_EEEEENSH_IJSG_SG_SG_EEES9_SI_JZNS1_25segmented_radix_sort_implINS0_14default_configELb1EPKsPsPKlPlN2at6native12_GLOBAL__N_18offset_tEEE10hipError_tPvRmT1_PNSt15iterator_traitsIS12_E10value_typeET2_T3_PNS13_IS18_E10value_typeET4_jRbjT5_S1E_jjP12ihipStream_tbEUljE_ZNSN_ISO_Lb1ESQ_SR_ST_SU_SY_EESZ_S10_S11_S12_S16_S17_S18_S1B_S1C_jS1D_jS1E_S1E_jjS1G_bEUljE0_EEESZ_S10_S11_S18_S1C_S1E_T6_T7_T9_mT8_S1G_bDpT10_ENKUlT_T0_E_clISt17integral_constantIbLb1EES1T_IbLb0EEEEDaS1P_S1Q_EUlS1P_E_NS1_11comp_targetILNS1_3genE10ELNS1_11target_archE1200ELNS1_3gpuE4ELNS1_3repE0EEENS1_30default_config_static_selectorELNS0_4arch9wavefront6targetE0EEEvS12_.uses_vcc, 0
	.set _ZN7rocprim17ROCPRIM_400000_NS6detail17trampoline_kernelINS0_13select_configILj256ELj13ELNS0_17block_load_methodE3ELS4_3ELS4_3ELNS0_20block_scan_algorithmE0ELj4294967295EEENS1_25partition_config_selectorILNS1_17partition_subalgoE4EjNS0_10empty_typeEbEEZZNS1_14partition_implILS8_4ELb0ES6_15HIP_vector_typeIjLj2EENS0_17counting_iteratorIjlEEPS9_SG_NS0_5tupleIJPjSI_NS0_16reverse_iteratorISI_EEEEENSH_IJSG_SG_SG_EEES9_SI_JZNS1_25segmented_radix_sort_implINS0_14default_configELb1EPKsPsPKlPlN2at6native12_GLOBAL__N_18offset_tEEE10hipError_tPvRmT1_PNSt15iterator_traitsIS12_E10value_typeET2_T3_PNS13_IS18_E10value_typeET4_jRbjT5_S1E_jjP12ihipStream_tbEUljE_ZNSN_ISO_Lb1ESQ_SR_ST_SU_SY_EESZ_S10_S11_S12_S16_S17_S18_S1B_S1C_jS1D_jS1E_S1E_jjS1G_bEUljE0_EEESZ_S10_S11_S18_S1C_S1E_T6_T7_T9_mT8_S1G_bDpT10_ENKUlT_T0_E_clISt17integral_constantIbLb1EES1T_IbLb0EEEEDaS1P_S1Q_EUlS1P_E_NS1_11comp_targetILNS1_3genE10ELNS1_11target_archE1200ELNS1_3gpuE4ELNS1_3repE0EEENS1_30default_config_static_selectorELNS0_4arch9wavefront6targetE0EEEvS12_.uses_flat_scratch, 0
	.set _ZN7rocprim17ROCPRIM_400000_NS6detail17trampoline_kernelINS0_13select_configILj256ELj13ELNS0_17block_load_methodE3ELS4_3ELS4_3ELNS0_20block_scan_algorithmE0ELj4294967295EEENS1_25partition_config_selectorILNS1_17partition_subalgoE4EjNS0_10empty_typeEbEEZZNS1_14partition_implILS8_4ELb0ES6_15HIP_vector_typeIjLj2EENS0_17counting_iteratorIjlEEPS9_SG_NS0_5tupleIJPjSI_NS0_16reverse_iteratorISI_EEEEENSH_IJSG_SG_SG_EEES9_SI_JZNS1_25segmented_radix_sort_implINS0_14default_configELb1EPKsPsPKlPlN2at6native12_GLOBAL__N_18offset_tEEE10hipError_tPvRmT1_PNSt15iterator_traitsIS12_E10value_typeET2_T3_PNS13_IS18_E10value_typeET4_jRbjT5_S1E_jjP12ihipStream_tbEUljE_ZNSN_ISO_Lb1ESQ_SR_ST_SU_SY_EESZ_S10_S11_S12_S16_S17_S18_S1B_S1C_jS1D_jS1E_S1E_jjS1G_bEUljE0_EEESZ_S10_S11_S18_S1C_S1E_T6_T7_T9_mT8_S1G_bDpT10_ENKUlT_T0_E_clISt17integral_constantIbLb1EES1T_IbLb0EEEEDaS1P_S1Q_EUlS1P_E_NS1_11comp_targetILNS1_3genE10ELNS1_11target_archE1200ELNS1_3gpuE4ELNS1_3repE0EEENS1_30default_config_static_selectorELNS0_4arch9wavefront6targetE0EEEvS12_.has_dyn_sized_stack, 0
	.set _ZN7rocprim17ROCPRIM_400000_NS6detail17trampoline_kernelINS0_13select_configILj256ELj13ELNS0_17block_load_methodE3ELS4_3ELS4_3ELNS0_20block_scan_algorithmE0ELj4294967295EEENS1_25partition_config_selectorILNS1_17partition_subalgoE4EjNS0_10empty_typeEbEEZZNS1_14partition_implILS8_4ELb0ES6_15HIP_vector_typeIjLj2EENS0_17counting_iteratorIjlEEPS9_SG_NS0_5tupleIJPjSI_NS0_16reverse_iteratorISI_EEEEENSH_IJSG_SG_SG_EEES9_SI_JZNS1_25segmented_radix_sort_implINS0_14default_configELb1EPKsPsPKlPlN2at6native12_GLOBAL__N_18offset_tEEE10hipError_tPvRmT1_PNSt15iterator_traitsIS12_E10value_typeET2_T3_PNS13_IS18_E10value_typeET4_jRbjT5_S1E_jjP12ihipStream_tbEUljE_ZNSN_ISO_Lb1ESQ_SR_ST_SU_SY_EESZ_S10_S11_S12_S16_S17_S18_S1B_S1C_jS1D_jS1E_S1E_jjS1G_bEUljE0_EEESZ_S10_S11_S18_S1C_S1E_T6_T7_T9_mT8_S1G_bDpT10_ENKUlT_T0_E_clISt17integral_constantIbLb1EES1T_IbLb0EEEEDaS1P_S1Q_EUlS1P_E_NS1_11comp_targetILNS1_3genE10ELNS1_11target_archE1200ELNS1_3gpuE4ELNS1_3repE0EEENS1_30default_config_static_selectorELNS0_4arch9wavefront6targetE0EEEvS12_.has_recursion, 0
	.set _ZN7rocprim17ROCPRIM_400000_NS6detail17trampoline_kernelINS0_13select_configILj256ELj13ELNS0_17block_load_methodE3ELS4_3ELS4_3ELNS0_20block_scan_algorithmE0ELj4294967295EEENS1_25partition_config_selectorILNS1_17partition_subalgoE4EjNS0_10empty_typeEbEEZZNS1_14partition_implILS8_4ELb0ES6_15HIP_vector_typeIjLj2EENS0_17counting_iteratorIjlEEPS9_SG_NS0_5tupleIJPjSI_NS0_16reverse_iteratorISI_EEEEENSH_IJSG_SG_SG_EEES9_SI_JZNS1_25segmented_radix_sort_implINS0_14default_configELb1EPKsPsPKlPlN2at6native12_GLOBAL__N_18offset_tEEE10hipError_tPvRmT1_PNSt15iterator_traitsIS12_E10value_typeET2_T3_PNS13_IS18_E10value_typeET4_jRbjT5_S1E_jjP12ihipStream_tbEUljE_ZNSN_ISO_Lb1ESQ_SR_ST_SU_SY_EESZ_S10_S11_S12_S16_S17_S18_S1B_S1C_jS1D_jS1E_S1E_jjS1G_bEUljE0_EEESZ_S10_S11_S18_S1C_S1E_T6_T7_T9_mT8_S1G_bDpT10_ENKUlT_T0_E_clISt17integral_constantIbLb1EES1T_IbLb0EEEEDaS1P_S1Q_EUlS1P_E_NS1_11comp_targetILNS1_3genE10ELNS1_11target_archE1200ELNS1_3gpuE4ELNS1_3repE0EEENS1_30default_config_static_selectorELNS0_4arch9wavefront6targetE0EEEvS12_.has_indirect_call, 0
	.section	.AMDGPU.csdata,"",@progbits
; Kernel info:
; codeLenInByte = 0
; TotalNumSgprs: 0
; NumVgprs: 0
; ScratchSize: 0
; MemoryBound: 0
; FloatMode: 240
; IeeeMode: 1
; LDSByteSize: 0 bytes/workgroup (compile time only)
; SGPRBlocks: 0
; VGPRBlocks: 0
; NumSGPRsForWavesPerEU: 1
; NumVGPRsForWavesPerEU: 1
; Occupancy: 16
; WaveLimiterHint : 0
; COMPUTE_PGM_RSRC2:SCRATCH_EN: 0
; COMPUTE_PGM_RSRC2:USER_SGPR: 6
; COMPUTE_PGM_RSRC2:TRAP_HANDLER: 0
; COMPUTE_PGM_RSRC2:TGID_X_EN: 1
; COMPUTE_PGM_RSRC2:TGID_Y_EN: 0
; COMPUTE_PGM_RSRC2:TGID_Z_EN: 0
; COMPUTE_PGM_RSRC2:TIDIG_COMP_CNT: 0
	.section	.text._ZN7rocprim17ROCPRIM_400000_NS6detail17trampoline_kernelINS0_13select_configILj256ELj13ELNS0_17block_load_methodE3ELS4_3ELS4_3ELNS0_20block_scan_algorithmE0ELj4294967295EEENS1_25partition_config_selectorILNS1_17partition_subalgoE4EjNS0_10empty_typeEbEEZZNS1_14partition_implILS8_4ELb0ES6_15HIP_vector_typeIjLj2EENS0_17counting_iteratorIjlEEPS9_SG_NS0_5tupleIJPjSI_NS0_16reverse_iteratorISI_EEEEENSH_IJSG_SG_SG_EEES9_SI_JZNS1_25segmented_radix_sort_implINS0_14default_configELb1EPKsPsPKlPlN2at6native12_GLOBAL__N_18offset_tEEE10hipError_tPvRmT1_PNSt15iterator_traitsIS12_E10value_typeET2_T3_PNS13_IS18_E10value_typeET4_jRbjT5_S1E_jjP12ihipStream_tbEUljE_ZNSN_ISO_Lb1ESQ_SR_ST_SU_SY_EESZ_S10_S11_S12_S16_S17_S18_S1B_S1C_jS1D_jS1E_S1E_jjS1G_bEUljE0_EEESZ_S10_S11_S18_S1C_S1E_T6_T7_T9_mT8_S1G_bDpT10_ENKUlT_T0_E_clISt17integral_constantIbLb1EES1T_IbLb0EEEEDaS1P_S1Q_EUlS1P_E_NS1_11comp_targetILNS1_3genE9ELNS1_11target_archE1100ELNS1_3gpuE3ELNS1_3repE0EEENS1_30default_config_static_selectorELNS0_4arch9wavefront6targetE0EEEvS12_,"axG",@progbits,_ZN7rocprim17ROCPRIM_400000_NS6detail17trampoline_kernelINS0_13select_configILj256ELj13ELNS0_17block_load_methodE3ELS4_3ELS4_3ELNS0_20block_scan_algorithmE0ELj4294967295EEENS1_25partition_config_selectorILNS1_17partition_subalgoE4EjNS0_10empty_typeEbEEZZNS1_14partition_implILS8_4ELb0ES6_15HIP_vector_typeIjLj2EENS0_17counting_iteratorIjlEEPS9_SG_NS0_5tupleIJPjSI_NS0_16reverse_iteratorISI_EEEEENSH_IJSG_SG_SG_EEES9_SI_JZNS1_25segmented_radix_sort_implINS0_14default_configELb1EPKsPsPKlPlN2at6native12_GLOBAL__N_18offset_tEEE10hipError_tPvRmT1_PNSt15iterator_traitsIS12_E10value_typeET2_T3_PNS13_IS18_E10value_typeET4_jRbjT5_S1E_jjP12ihipStream_tbEUljE_ZNSN_ISO_Lb1ESQ_SR_ST_SU_SY_EESZ_S10_S11_S12_S16_S17_S18_S1B_S1C_jS1D_jS1E_S1E_jjS1G_bEUljE0_EEESZ_S10_S11_S18_S1C_S1E_T6_T7_T9_mT8_S1G_bDpT10_ENKUlT_T0_E_clISt17integral_constantIbLb1EES1T_IbLb0EEEEDaS1P_S1Q_EUlS1P_E_NS1_11comp_targetILNS1_3genE9ELNS1_11target_archE1100ELNS1_3gpuE3ELNS1_3repE0EEENS1_30default_config_static_selectorELNS0_4arch9wavefront6targetE0EEEvS12_,comdat
	.globl	_ZN7rocprim17ROCPRIM_400000_NS6detail17trampoline_kernelINS0_13select_configILj256ELj13ELNS0_17block_load_methodE3ELS4_3ELS4_3ELNS0_20block_scan_algorithmE0ELj4294967295EEENS1_25partition_config_selectorILNS1_17partition_subalgoE4EjNS0_10empty_typeEbEEZZNS1_14partition_implILS8_4ELb0ES6_15HIP_vector_typeIjLj2EENS0_17counting_iteratorIjlEEPS9_SG_NS0_5tupleIJPjSI_NS0_16reverse_iteratorISI_EEEEENSH_IJSG_SG_SG_EEES9_SI_JZNS1_25segmented_radix_sort_implINS0_14default_configELb1EPKsPsPKlPlN2at6native12_GLOBAL__N_18offset_tEEE10hipError_tPvRmT1_PNSt15iterator_traitsIS12_E10value_typeET2_T3_PNS13_IS18_E10value_typeET4_jRbjT5_S1E_jjP12ihipStream_tbEUljE_ZNSN_ISO_Lb1ESQ_SR_ST_SU_SY_EESZ_S10_S11_S12_S16_S17_S18_S1B_S1C_jS1D_jS1E_S1E_jjS1G_bEUljE0_EEESZ_S10_S11_S18_S1C_S1E_T6_T7_T9_mT8_S1G_bDpT10_ENKUlT_T0_E_clISt17integral_constantIbLb1EES1T_IbLb0EEEEDaS1P_S1Q_EUlS1P_E_NS1_11comp_targetILNS1_3genE9ELNS1_11target_archE1100ELNS1_3gpuE3ELNS1_3repE0EEENS1_30default_config_static_selectorELNS0_4arch9wavefront6targetE0EEEvS12_ ; -- Begin function _ZN7rocprim17ROCPRIM_400000_NS6detail17trampoline_kernelINS0_13select_configILj256ELj13ELNS0_17block_load_methodE3ELS4_3ELS4_3ELNS0_20block_scan_algorithmE0ELj4294967295EEENS1_25partition_config_selectorILNS1_17partition_subalgoE4EjNS0_10empty_typeEbEEZZNS1_14partition_implILS8_4ELb0ES6_15HIP_vector_typeIjLj2EENS0_17counting_iteratorIjlEEPS9_SG_NS0_5tupleIJPjSI_NS0_16reverse_iteratorISI_EEEEENSH_IJSG_SG_SG_EEES9_SI_JZNS1_25segmented_radix_sort_implINS0_14default_configELb1EPKsPsPKlPlN2at6native12_GLOBAL__N_18offset_tEEE10hipError_tPvRmT1_PNSt15iterator_traitsIS12_E10value_typeET2_T3_PNS13_IS18_E10value_typeET4_jRbjT5_S1E_jjP12ihipStream_tbEUljE_ZNSN_ISO_Lb1ESQ_SR_ST_SU_SY_EESZ_S10_S11_S12_S16_S17_S18_S1B_S1C_jS1D_jS1E_S1E_jjS1G_bEUljE0_EEESZ_S10_S11_S18_S1C_S1E_T6_T7_T9_mT8_S1G_bDpT10_ENKUlT_T0_E_clISt17integral_constantIbLb1EES1T_IbLb0EEEEDaS1P_S1Q_EUlS1P_E_NS1_11comp_targetILNS1_3genE9ELNS1_11target_archE1100ELNS1_3gpuE3ELNS1_3repE0EEENS1_30default_config_static_selectorELNS0_4arch9wavefront6targetE0EEEvS12_
	.p2align	8
	.type	_ZN7rocprim17ROCPRIM_400000_NS6detail17trampoline_kernelINS0_13select_configILj256ELj13ELNS0_17block_load_methodE3ELS4_3ELS4_3ELNS0_20block_scan_algorithmE0ELj4294967295EEENS1_25partition_config_selectorILNS1_17partition_subalgoE4EjNS0_10empty_typeEbEEZZNS1_14partition_implILS8_4ELb0ES6_15HIP_vector_typeIjLj2EENS0_17counting_iteratorIjlEEPS9_SG_NS0_5tupleIJPjSI_NS0_16reverse_iteratorISI_EEEEENSH_IJSG_SG_SG_EEES9_SI_JZNS1_25segmented_radix_sort_implINS0_14default_configELb1EPKsPsPKlPlN2at6native12_GLOBAL__N_18offset_tEEE10hipError_tPvRmT1_PNSt15iterator_traitsIS12_E10value_typeET2_T3_PNS13_IS18_E10value_typeET4_jRbjT5_S1E_jjP12ihipStream_tbEUljE_ZNSN_ISO_Lb1ESQ_SR_ST_SU_SY_EESZ_S10_S11_S12_S16_S17_S18_S1B_S1C_jS1D_jS1E_S1E_jjS1G_bEUljE0_EEESZ_S10_S11_S18_S1C_S1E_T6_T7_T9_mT8_S1G_bDpT10_ENKUlT_T0_E_clISt17integral_constantIbLb1EES1T_IbLb0EEEEDaS1P_S1Q_EUlS1P_E_NS1_11comp_targetILNS1_3genE9ELNS1_11target_archE1100ELNS1_3gpuE3ELNS1_3repE0EEENS1_30default_config_static_selectorELNS0_4arch9wavefront6targetE0EEEvS12_,@function
_ZN7rocprim17ROCPRIM_400000_NS6detail17trampoline_kernelINS0_13select_configILj256ELj13ELNS0_17block_load_methodE3ELS4_3ELS4_3ELNS0_20block_scan_algorithmE0ELj4294967295EEENS1_25partition_config_selectorILNS1_17partition_subalgoE4EjNS0_10empty_typeEbEEZZNS1_14partition_implILS8_4ELb0ES6_15HIP_vector_typeIjLj2EENS0_17counting_iteratorIjlEEPS9_SG_NS0_5tupleIJPjSI_NS0_16reverse_iteratorISI_EEEEENSH_IJSG_SG_SG_EEES9_SI_JZNS1_25segmented_radix_sort_implINS0_14default_configELb1EPKsPsPKlPlN2at6native12_GLOBAL__N_18offset_tEEE10hipError_tPvRmT1_PNSt15iterator_traitsIS12_E10value_typeET2_T3_PNS13_IS18_E10value_typeET4_jRbjT5_S1E_jjP12ihipStream_tbEUljE_ZNSN_ISO_Lb1ESQ_SR_ST_SU_SY_EESZ_S10_S11_S12_S16_S17_S18_S1B_S1C_jS1D_jS1E_S1E_jjS1G_bEUljE0_EEESZ_S10_S11_S18_S1C_S1E_T6_T7_T9_mT8_S1G_bDpT10_ENKUlT_T0_E_clISt17integral_constantIbLb1EES1T_IbLb0EEEEDaS1P_S1Q_EUlS1P_E_NS1_11comp_targetILNS1_3genE9ELNS1_11target_archE1100ELNS1_3gpuE3ELNS1_3repE0EEENS1_30default_config_static_selectorELNS0_4arch9wavefront6targetE0EEEvS12_: ; @_ZN7rocprim17ROCPRIM_400000_NS6detail17trampoline_kernelINS0_13select_configILj256ELj13ELNS0_17block_load_methodE3ELS4_3ELS4_3ELNS0_20block_scan_algorithmE0ELj4294967295EEENS1_25partition_config_selectorILNS1_17partition_subalgoE4EjNS0_10empty_typeEbEEZZNS1_14partition_implILS8_4ELb0ES6_15HIP_vector_typeIjLj2EENS0_17counting_iteratorIjlEEPS9_SG_NS0_5tupleIJPjSI_NS0_16reverse_iteratorISI_EEEEENSH_IJSG_SG_SG_EEES9_SI_JZNS1_25segmented_radix_sort_implINS0_14default_configELb1EPKsPsPKlPlN2at6native12_GLOBAL__N_18offset_tEEE10hipError_tPvRmT1_PNSt15iterator_traitsIS12_E10value_typeET2_T3_PNS13_IS18_E10value_typeET4_jRbjT5_S1E_jjP12ihipStream_tbEUljE_ZNSN_ISO_Lb1ESQ_SR_ST_SU_SY_EESZ_S10_S11_S12_S16_S17_S18_S1B_S1C_jS1D_jS1E_S1E_jjS1G_bEUljE0_EEESZ_S10_S11_S18_S1C_S1E_T6_T7_T9_mT8_S1G_bDpT10_ENKUlT_T0_E_clISt17integral_constantIbLb1EES1T_IbLb0EEEEDaS1P_S1Q_EUlS1P_E_NS1_11comp_targetILNS1_3genE9ELNS1_11target_archE1100ELNS1_3gpuE3ELNS1_3repE0EEENS1_30default_config_static_selectorELNS0_4arch9wavefront6targetE0EEEvS12_
; %bb.0:
	.section	.rodata,"a",@progbits
	.p2align	6, 0x0
	.amdhsa_kernel _ZN7rocprim17ROCPRIM_400000_NS6detail17trampoline_kernelINS0_13select_configILj256ELj13ELNS0_17block_load_methodE3ELS4_3ELS4_3ELNS0_20block_scan_algorithmE0ELj4294967295EEENS1_25partition_config_selectorILNS1_17partition_subalgoE4EjNS0_10empty_typeEbEEZZNS1_14partition_implILS8_4ELb0ES6_15HIP_vector_typeIjLj2EENS0_17counting_iteratorIjlEEPS9_SG_NS0_5tupleIJPjSI_NS0_16reverse_iteratorISI_EEEEENSH_IJSG_SG_SG_EEES9_SI_JZNS1_25segmented_radix_sort_implINS0_14default_configELb1EPKsPsPKlPlN2at6native12_GLOBAL__N_18offset_tEEE10hipError_tPvRmT1_PNSt15iterator_traitsIS12_E10value_typeET2_T3_PNS13_IS18_E10value_typeET4_jRbjT5_S1E_jjP12ihipStream_tbEUljE_ZNSN_ISO_Lb1ESQ_SR_ST_SU_SY_EESZ_S10_S11_S12_S16_S17_S18_S1B_S1C_jS1D_jS1E_S1E_jjS1G_bEUljE0_EEESZ_S10_S11_S18_S1C_S1E_T6_T7_T9_mT8_S1G_bDpT10_ENKUlT_T0_E_clISt17integral_constantIbLb1EES1T_IbLb0EEEEDaS1P_S1Q_EUlS1P_E_NS1_11comp_targetILNS1_3genE9ELNS1_11target_archE1100ELNS1_3gpuE3ELNS1_3repE0EEENS1_30default_config_static_selectorELNS0_4arch9wavefront6targetE0EEEvS12_
		.amdhsa_group_segment_fixed_size 0
		.amdhsa_private_segment_fixed_size 0
		.amdhsa_kernarg_size 176
		.amdhsa_user_sgpr_count 6
		.amdhsa_user_sgpr_private_segment_buffer 1
		.amdhsa_user_sgpr_dispatch_ptr 0
		.amdhsa_user_sgpr_queue_ptr 0
		.amdhsa_user_sgpr_kernarg_segment_ptr 1
		.amdhsa_user_sgpr_dispatch_id 0
		.amdhsa_user_sgpr_flat_scratch_init 0
		.amdhsa_user_sgpr_private_segment_size 0
		.amdhsa_wavefront_size32 1
		.amdhsa_uses_dynamic_stack 0
		.amdhsa_system_sgpr_private_segment_wavefront_offset 0
		.amdhsa_system_sgpr_workgroup_id_x 1
		.amdhsa_system_sgpr_workgroup_id_y 0
		.amdhsa_system_sgpr_workgroup_id_z 0
		.amdhsa_system_sgpr_workgroup_info 0
		.amdhsa_system_vgpr_workitem_id 0
		.amdhsa_next_free_vgpr 1
		.amdhsa_next_free_sgpr 1
		.amdhsa_reserve_vcc 0
		.amdhsa_reserve_flat_scratch 0
		.amdhsa_float_round_mode_32 0
		.amdhsa_float_round_mode_16_64 0
		.amdhsa_float_denorm_mode_32 3
		.amdhsa_float_denorm_mode_16_64 3
		.amdhsa_dx10_clamp 1
		.amdhsa_ieee_mode 1
		.amdhsa_fp16_overflow 0
		.amdhsa_workgroup_processor_mode 1
		.amdhsa_memory_ordered 1
		.amdhsa_forward_progress 1
		.amdhsa_shared_vgpr_count 0
		.amdhsa_exception_fp_ieee_invalid_op 0
		.amdhsa_exception_fp_denorm_src 0
		.amdhsa_exception_fp_ieee_div_zero 0
		.amdhsa_exception_fp_ieee_overflow 0
		.amdhsa_exception_fp_ieee_underflow 0
		.amdhsa_exception_fp_ieee_inexact 0
		.amdhsa_exception_int_div_zero 0
	.end_amdhsa_kernel
	.section	.text._ZN7rocprim17ROCPRIM_400000_NS6detail17trampoline_kernelINS0_13select_configILj256ELj13ELNS0_17block_load_methodE3ELS4_3ELS4_3ELNS0_20block_scan_algorithmE0ELj4294967295EEENS1_25partition_config_selectorILNS1_17partition_subalgoE4EjNS0_10empty_typeEbEEZZNS1_14partition_implILS8_4ELb0ES6_15HIP_vector_typeIjLj2EENS0_17counting_iteratorIjlEEPS9_SG_NS0_5tupleIJPjSI_NS0_16reverse_iteratorISI_EEEEENSH_IJSG_SG_SG_EEES9_SI_JZNS1_25segmented_radix_sort_implINS0_14default_configELb1EPKsPsPKlPlN2at6native12_GLOBAL__N_18offset_tEEE10hipError_tPvRmT1_PNSt15iterator_traitsIS12_E10value_typeET2_T3_PNS13_IS18_E10value_typeET4_jRbjT5_S1E_jjP12ihipStream_tbEUljE_ZNSN_ISO_Lb1ESQ_SR_ST_SU_SY_EESZ_S10_S11_S12_S16_S17_S18_S1B_S1C_jS1D_jS1E_S1E_jjS1G_bEUljE0_EEESZ_S10_S11_S18_S1C_S1E_T6_T7_T9_mT8_S1G_bDpT10_ENKUlT_T0_E_clISt17integral_constantIbLb1EES1T_IbLb0EEEEDaS1P_S1Q_EUlS1P_E_NS1_11comp_targetILNS1_3genE9ELNS1_11target_archE1100ELNS1_3gpuE3ELNS1_3repE0EEENS1_30default_config_static_selectorELNS0_4arch9wavefront6targetE0EEEvS12_,"axG",@progbits,_ZN7rocprim17ROCPRIM_400000_NS6detail17trampoline_kernelINS0_13select_configILj256ELj13ELNS0_17block_load_methodE3ELS4_3ELS4_3ELNS0_20block_scan_algorithmE0ELj4294967295EEENS1_25partition_config_selectorILNS1_17partition_subalgoE4EjNS0_10empty_typeEbEEZZNS1_14partition_implILS8_4ELb0ES6_15HIP_vector_typeIjLj2EENS0_17counting_iteratorIjlEEPS9_SG_NS0_5tupleIJPjSI_NS0_16reverse_iteratorISI_EEEEENSH_IJSG_SG_SG_EEES9_SI_JZNS1_25segmented_radix_sort_implINS0_14default_configELb1EPKsPsPKlPlN2at6native12_GLOBAL__N_18offset_tEEE10hipError_tPvRmT1_PNSt15iterator_traitsIS12_E10value_typeET2_T3_PNS13_IS18_E10value_typeET4_jRbjT5_S1E_jjP12ihipStream_tbEUljE_ZNSN_ISO_Lb1ESQ_SR_ST_SU_SY_EESZ_S10_S11_S12_S16_S17_S18_S1B_S1C_jS1D_jS1E_S1E_jjS1G_bEUljE0_EEESZ_S10_S11_S18_S1C_S1E_T6_T7_T9_mT8_S1G_bDpT10_ENKUlT_T0_E_clISt17integral_constantIbLb1EES1T_IbLb0EEEEDaS1P_S1Q_EUlS1P_E_NS1_11comp_targetILNS1_3genE9ELNS1_11target_archE1100ELNS1_3gpuE3ELNS1_3repE0EEENS1_30default_config_static_selectorELNS0_4arch9wavefront6targetE0EEEvS12_,comdat
.Lfunc_end863:
	.size	_ZN7rocprim17ROCPRIM_400000_NS6detail17trampoline_kernelINS0_13select_configILj256ELj13ELNS0_17block_load_methodE3ELS4_3ELS4_3ELNS0_20block_scan_algorithmE0ELj4294967295EEENS1_25partition_config_selectorILNS1_17partition_subalgoE4EjNS0_10empty_typeEbEEZZNS1_14partition_implILS8_4ELb0ES6_15HIP_vector_typeIjLj2EENS0_17counting_iteratorIjlEEPS9_SG_NS0_5tupleIJPjSI_NS0_16reverse_iteratorISI_EEEEENSH_IJSG_SG_SG_EEES9_SI_JZNS1_25segmented_radix_sort_implINS0_14default_configELb1EPKsPsPKlPlN2at6native12_GLOBAL__N_18offset_tEEE10hipError_tPvRmT1_PNSt15iterator_traitsIS12_E10value_typeET2_T3_PNS13_IS18_E10value_typeET4_jRbjT5_S1E_jjP12ihipStream_tbEUljE_ZNSN_ISO_Lb1ESQ_SR_ST_SU_SY_EESZ_S10_S11_S12_S16_S17_S18_S1B_S1C_jS1D_jS1E_S1E_jjS1G_bEUljE0_EEESZ_S10_S11_S18_S1C_S1E_T6_T7_T9_mT8_S1G_bDpT10_ENKUlT_T0_E_clISt17integral_constantIbLb1EES1T_IbLb0EEEEDaS1P_S1Q_EUlS1P_E_NS1_11comp_targetILNS1_3genE9ELNS1_11target_archE1100ELNS1_3gpuE3ELNS1_3repE0EEENS1_30default_config_static_selectorELNS0_4arch9wavefront6targetE0EEEvS12_, .Lfunc_end863-_ZN7rocprim17ROCPRIM_400000_NS6detail17trampoline_kernelINS0_13select_configILj256ELj13ELNS0_17block_load_methodE3ELS4_3ELS4_3ELNS0_20block_scan_algorithmE0ELj4294967295EEENS1_25partition_config_selectorILNS1_17partition_subalgoE4EjNS0_10empty_typeEbEEZZNS1_14partition_implILS8_4ELb0ES6_15HIP_vector_typeIjLj2EENS0_17counting_iteratorIjlEEPS9_SG_NS0_5tupleIJPjSI_NS0_16reverse_iteratorISI_EEEEENSH_IJSG_SG_SG_EEES9_SI_JZNS1_25segmented_radix_sort_implINS0_14default_configELb1EPKsPsPKlPlN2at6native12_GLOBAL__N_18offset_tEEE10hipError_tPvRmT1_PNSt15iterator_traitsIS12_E10value_typeET2_T3_PNS13_IS18_E10value_typeET4_jRbjT5_S1E_jjP12ihipStream_tbEUljE_ZNSN_ISO_Lb1ESQ_SR_ST_SU_SY_EESZ_S10_S11_S12_S16_S17_S18_S1B_S1C_jS1D_jS1E_S1E_jjS1G_bEUljE0_EEESZ_S10_S11_S18_S1C_S1E_T6_T7_T9_mT8_S1G_bDpT10_ENKUlT_T0_E_clISt17integral_constantIbLb1EES1T_IbLb0EEEEDaS1P_S1Q_EUlS1P_E_NS1_11comp_targetILNS1_3genE9ELNS1_11target_archE1100ELNS1_3gpuE3ELNS1_3repE0EEENS1_30default_config_static_selectorELNS0_4arch9wavefront6targetE0EEEvS12_
                                        ; -- End function
	.set _ZN7rocprim17ROCPRIM_400000_NS6detail17trampoline_kernelINS0_13select_configILj256ELj13ELNS0_17block_load_methodE3ELS4_3ELS4_3ELNS0_20block_scan_algorithmE0ELj4294967295EEENS1_25partition_config_selectorILNS1_17partition_subalgoE4EjNS0_10empty_typeEbEEZZNS1_14partition_implILS8_4ELb0ES6_15HIP_vector_typeIjLj2EENS0_17counting_iteratorIjlEEPS9_SG_NS0_5tupleIJPjSI_NS0_16reverse_iteratorISI_EEEEENSH_IJSG_SG_SG_EEES9_SI_JZNS1_25segmented_radix_sort_implINS0_14default_configELb1EPKsPsPKlPlN2at6native12_GLOBAL__N_18offset_tEEE10hipError_tPvRmT1_PNSt15iterator_traitsIS12_E10value_typeET2_T3_PNS13_IS18_E10value_typeET4_jRbjT5_S1E_jjP12ihipStream_tbEUljE_ZNSN_ISO_Lb1ESQ_SR_ST_SU_SY_EESZ_S10_S11_S12_S16_S17_S18_S1B_S1C_jS1D_jS1E_S1E_jjS1G_bEUljE0_EEESZ_S10_S11_S18_S1C_S1E_T6_T7_T9_mT8_S1G_bDpT10_ENKUlT_T0_E_clISt17integral_constantIbLb1EES1T_IbLb0EEEEDaS1P_S1Q_EUlS1P_E_NS1_11comp_targetILNS1_3genE9ELNS1_11target_archE1100ELNS1_3gpuE3ELNS1_3repE0EEENS1_30default_config_static_selectorELNS0_4arch9wavefront6targetE0EEEvS12_.num_vgpr, 0
	.set _ZN7rocprim17ROCPRIM_400000_NS6detail17trampoline_kernelINS0_13select_configILj256ELj13ELNS0_17block_load_methodE3ELS4_3ELS4_3ELNS0_20block_scan_algorithmE0ELj4294967295EEENS1_25partition_config_selectorILNS1_17partition_subalgoE4EjNS0_10empty_typeEbEEZZNS1_14partition_implILS8_4ELb0ES6_15HIP_vector_typeIjLj2EENS0_17counting_iteratorIjlEEPS9_SG_NS0_5tupleIJPjSI_NS0_16reverse_iteratorISI_EEEEENSH_IJSG_SG_SG_EEES9_SI_JZNS1_25segmented_radix_sort_implINS0_14default_configELb1EPKsPsPKlPlN2at6native12_GLOBAL__N_18offset_tEEE10hipError_tPvRmT1_PNSt15iterator_traitsIS12_E10value_typeET2_T3_PNS13_IS18_E10value_typeET4_jRbjT5_S1E_jjP12ihipStream_tbEUljE_ZNSN_ISO_Lb1ESQ_SR_ST_SU_SY_EESZ_S10_S11_S12_S16_S17_S18_S1B_S1C_jS1D_jS1E_S1E_jjS1G_bEUljE0_EEESZ_S10_S11_S18_S1C_S1E_T6_T7_T9_mT8_S1G_bDpT10_ENKUlT_T0_E_clISt17integral_constantIbLb1EES1T_IbLb0EEEEDaS1P_S1Q_EUlS1P_E_NS1_11comp_targetILNS1_3genE9ELNS1_11target_archE1100ELNS1_3gpuE3ELNS1_3repE0EEENS1_30default_config_static_selectorELNS0_4arch9wavefront6targetE0EEEvS12_.num_agpr, 0
	.set _ZN7rocprim17ROCPRIM_400000_NS6detail17trampoline_kernelINS0_13select_configILj256ELj13ELNS0_17block_load_methodE3ELS4_3ELS4_3ELNS0_20block_scan_algorithmE0ELj4294967295EEENS1_25partition_config_selectorILNS1_17partition_subalgoE4EjNS0_10empty_typeEbEEZZNS1_14partition_implILS8_4ELb0ES6_15HIP_vector_typeIjLj2EENS0_17counting_iteratorIjlEEPS9_SG_NS0_5tupleIJPjSI_NS0_16reverse_iteratorISI_EEEEENSH_IJSG_SG_SG_EEES9_SI_JZNS1_25segmented_radix_sort_implINS0_14default_configELb1EPKsPsPKlPlN2at6native12_GLOBAL__N_18offset_tEEE10hipError_tPvRmT1_PNSt15iterator_traitsIS12_E10value_typeET2_T3_PNS13_IS18_E10value_typeET4_jRbjT5_S1E_jjP12ihipStream_tbEUljE_ZNSN_ISO_Lb1ESQ_SR_ST_SU_SY_EESZ_S10_S11_S12_S16_S17_S18_S1B_S1C_jS1D_jS1E_S1E_jjS1G_bEUljE0_EEESZ_S10_S11_S18_S1C_S1E_T6_T7_T9_mT8_S1G_bDpT10_ENKUlT_T0_E_clISt17integral_constantIbLb1EES1T_IbLb0EEEEDaS1P_S1Q_EUlS1P_E_NS1_11comp_targetILNS1_3genE9ELNS1_11target_archE1100ELNS1_3gpuE3ELNS1_3repE0EEENS1_30default_config_static_selectorELNS0_4arch9wavefront6targetE0EEEvS12_.numbered_sgpr, 0
	.set _ZN7rocprim17ROCPRIM_400000_NS6detail17trampoline_kernelINS0_13select_configILj256ELj13ELNS0_17block_load_methodE3ELS4_3ELS4_3ELNS0_20block_scan_algorithmE0ELj4294967295EEENS1_25partition_config_selectorILNS1_17partition_subalgoE4EjNS0_10empty_typeEbEEZZNS1_14partition_implILS8_4ELb0ES6_15HIP_vector_typeIjLj2EENS0_17counting_iteratorIjlEEPS9_SG_NS0_5tupleIJPjSI_NS0_16reverse_iteratorISI_EEEEENSH_IJSG_SG_SG_EEES9_SI_JZNS1_25segmented_radix_sort_implINS0_14default_configELb1EPKsPsPKlPlN2at6native12_GLOBAL__N_18offset_tEEE10hipError_tPvRmT1_PNSt15iterator_traitsIS12_E10value_typeET2_T3_PNS13_IS18_E10value_typeET4_jRbjT5_S1E_jjP12ihipStream_tbEUljE_ZNSN_ISO_Lb1ESQ_SR_ST_SU_SY_EESZ_S10_S11_S12_S16_S17_S18_S1B_S1C_jS1D_jS1E_S1E_jjS1G_bEUljE0_EEESZ_S10_S11_S18_S1C_S1E_T6_T7_T9_mT8_S1G_bDpT10_ENKUlT_T0_E_clISt17integral_constantIbLb1EES1T_IbLb0EEEEDaS1P_S1Q_EUlS1P_E_NS1_11comp_targetILNS1_3genE9ELNS1_11target_archE1100ELNS1_3gpuE3ELNS1_3repE0EEENS1_30default_config_static_selectorELNS0_4arch9wavefront6targetE0EEEvS12_.num_named_barrier, 0
	.set _ZN7rocprim17ROCPRIM_400000_NS6detail17trampoline_kernelINS0_13select_configILj256ELj13ELNS0_17block_load_methodE3ELS4_3ELS4_3ELNS0_20block_scan_algorithmE0ELj4294967295EEENS1_25partition_config_selectorILNS1_17partition_subalgoE4EjNS0_10empty_typeEbEEZZNS1_14partition_implILS8_4ELb0ES6_15HIP_vector_typeIjLj2EENS0_17counting_iteratorIjlEEPS9_SG_NS0_5tupleIJPjSI_NS0_16reverse_iteratorISI_EEEEENSH_IJSG_SG_SG_EEES9_SI_JZNS1_25segmented_radix_sort_implINS0_14default_configELb1EPKsPsPKlPlN2at6native12_GLOBAL__N_18offset_tEEE10hipError_tPvRmT1_PNSt15iterator_traitsIS12_E10value_typeET2_T3_PNS13_IS18_E10value_typeET4_jRbjT5_S1E_jjP12ihipStream_tbEUljE_ZNSN_ISO_Lb1ESQ_SR_ST_SU_SY_EESZ_S10_S11_S12_S16_S17_S18_S1B_S1C_jS1D_jS1E_S1E_jjS1G_bEUljE0_EEESZ_S10_S11_S18_S1C_S1E_T6_T7_T9_mT8_S1G_bDpT10_ENKUlT_T0_E_clISt17integral_constantIbLb1EES1T_IbLb0EEEEDaS1P_S1Q_EUlS1P_E_NS1_11comp_targetILNS1_3genE9ELNS1_11target_archE1100ELNS1_3gpuE3ELNS1_3repE0EEENS1_30default_config_static_selectorELNS0_4arch9wavefront6targetE0EEEvS12_.private_seg_size, 0
	.set _ZN7rocprim17ROCPRIM_400000_NS6detail17trampoline_kernelINS0_13select_configILj256ELj13ELNS0_17block_load_methodE3ELS4_3ELS4_3ELNS0_20block_scan_algorithmE0ELj4294967295EEENS1_25partition_config_selectorILNS1_17partition_subalgoE4EjNS0_10empty_typeEbEEZZNS1_14partition_implILS8_4ELb0ES6_15HIP_vector_typeIjLj2EENS0_17counting_iteratorIjlEEPS9_SG_NS0_5tupleIJPjSI_NS0_16reverse_iteratorISI_EEEEENSH_IJSG_SG_SG_EEES9_SI_JZNS1_25segmented_radix_sort_implINS0_14default_configELb1EPKsPsPKlPlN2at6native12_GLOBAL__N_18offset_tEEE10hipError_tPvRmT1_PNSt15iterator_traitsIS12_E10value_typeET2_T3_PNS13_IS18_E10value_typeET4_jRbjT5_S1E_jjP12ihipStream_tbEUljE_ZNSN_ISO_Lb1ESQ_SR_ST_SU_SY_EESZ_S10_S11_S12_S16_S17_S18_S1B_S1C_jS1D_jS1E_S1E_jjS1G_bEUljE0_EEESZ_S10_S11_S18_S1C_S1E_T6_T7_T9_mT8_S1G_bDpT10_ENKUlT_T0_E_clISt17integral_constantIbLb1EES1T_IbLb0EEEEDaS1P_S1Q_EUlS1P_E_NS1_11comp_targetILNS1_3genE9ELNS1_11target_archE1100ELNS1_3gpuE3ELNS1_3repE0EEENS1_30default_config_static_selectorELNS0_4arch9wavefront6targetE0EEEvS12_.uses_vcc, 0
	.set _ZN7rocprim17ROCPRIM_400000_NS6detail17trampoline_kernelINS0_13select_configILj256ELj13ELNS0_17block_load_methodE3ELS4_3ELS4_3ELNS0_20block_scan_algorithmE0ELj4294967295EEENS1_25partition_config_selectorILNS1_17partition_subalgoE4EjNS0_10empty_typeEbEEZZNS1_14partition_implILS8_4ELb0ES6_15HIP_vector_typeIjLj2EENS0_17counting_iteratorIjlEEPS9_SG_NS0_5tupleIJPjSI_NS0_16reverse_iteratorISI_EEEEENSH_IJSG_SG_SG_EEES9_SI_JZNS1_25segmented_radix_sort_implINS0_14default_configELb1EPKsPsPKlPlN2at6native12_GLOBAL__N_18offset_tEEE10hipError_tPvRmT1_PNSt15iterator_traitsIS12_E10value_typeET2_T3_PNS13_IS18_E10value_typeET4_jRbjT5_S1E_jjP12ihipStream_tbEUljE_ZNSN_ISO_Lb1ESQ_SR_ST_SU_SY_EESZ_S10_S11_S12_S16_S17_S18_S1B_S1C_jS1D_jS1E_S1E_jjS1G_bEUljE0_EEESZ_S10_S11_S18_S1C_S1E_T6_T7_T9_mT8_S1G_bDpT10_ENKUlT_T0_E_clISt17integral_constantIbLb1EES1T_IbLb0EEEEDaS1P_S1Q_EUlS1P_E_NS1_11comp_targetILNS1_3genE9ELNS1_11target_archE1100ELNS1_3gpuE3ELNS1_3repE0EEENS1_30default_config_static_selectorELNS0_4arch9wavefront6targetE0EEEvS12_.uses_flat_scratch, 0
	.set _ZN7rocprim17ROCPRIM_400000_NS6detail17trampoline_kernelINS0_13select_configILj256ELj13ELNS0_17block_load_methodE3ELS4_3ELS4_3ELNS0_20block_scan_algorithmE0ELj4294967295EEENS1_25partition_config_selectorILNS1_17partition_subalgoE4EjNS0_10empty_typeEbEEZZNS1_14partition_implILS8_4ELb0ES6_15HIP_vector_typeIjLj2EENS0_17counting_iteratorIjlEEPS9_SG_NS0_5tupleIJPjSI_NS0_16reverse_iteratorISI_EEEEENSH_IJSG_SG_SG_EEES9_SI_JZNS1_25segmented_radix_sort_implINS0_14default_configELb1EPKsPsPKlPlN2at6native12_GLOBAL__N_18offset_tEEE10hipError_tPvRmT1_PNSt15iterator_traitsIS12_E10value_typeET2_T3_PNS13_IS18_E10value_typeET4_jRbjT5_S1E_jjP12ihipStream_tbEUljE_ZNSN_ISO_Lb1ESQ_SR_ST_SU_SY_EESZ_S10_S11_S12_S16_S17_S18_S1B_S1C_jS1D_jS1E_S1E_jjS1G_bEUljE0_EEESZ_S10_S11_S18_S1C_S1E_T6_T7_T9_mT8_S1G_bDpT10_ENKUlT_T0_E_clISt17integral_constantIbLb1EES1T_IbLb0EEEEDaS1P_S1Q_EUlS1P_E_NS1_11comp_targetILNS1_3genE9ELNS1_11target_archE1100ELNS1_3gpuE3ELNS1_3repE0EEENS1_30default_config_static_selectorELNS0_4arch9wavefront6targetE0EEEvS12_.has_dyn_sized_stack, 0
	.set _ZN7rocprim17ROCPRIM_400000_NS6detail17trampoline_kernelINS0_13select_configILj256ELj13ELNS0_17block_load_methodE3ELS4_3ELS4_3ELNS0_20block_scan_algorithmE0ELj4294967295EEENS1_25partition_config_selectorILNS1_17partition_subalgoE4EjNS0_10empty_typeEbEEZZNS1_14partition_implILS8_4ELb0ES6_15HIP_vector_typeIjLj2EENS0_17counting_iteratorIjlEEPS9_SG_NS0_5tupleIJPjSI_NS0_16reverse_iteratorISI_EEEEENSH_IJSG_SG_SG_EEES9_SI_JZNS1_25segmented_radix_sort_implINS0_14default_configELb1EPKsPsPKlPlN2at6native12_GLOBAL__N_18offset_tEEE10hipError_tPvRmT1_PNSt15iterator_traitsIS12_E10value_typeET2_T3_PNS13_IS18_E10value_typeET4_jRbjT5_S1E_jjP12ihipStream_tbEUljE_ZNSN_ISO_Lb1ESQ_SR_ST_SU_SY_EESZ_S10_S11_S12_S16_S17_S18_S1B_S1C_jS1D_jS1E_S1E_jjS1G_bEUljE0_EEESZ_S10_S11_S18_S1C_S1E_T6_T7_T9_mT8_S1G_bDpT10_ENKUlT_T0_E_clISt17integral_constantIbLb1EES1T_IbLb0EEEEDaS1P_S1Q_EUlS1P_E_NS1_11comp_targetILNS1_3genE9ELNS1_11target_archE1100ELNS1_3gpuE3ELNS1_3repE0EEENS1_30default_config_static_selectorELNS0_4arch9wavefront6targetE0EEEvS12_.has_recursion, 0
	.set _ZN7rocprim17ROCPRIM_400000_NS6detail17trampoline_kernelINS0_13select_configILj256ELj13ELNS0_17block_load_methodE3ELS4_3ELS4_3ELNS0_20block_scan_algorithmE0ELj4294967295EEENS1_25partition_config_selectorILNS1_17partition_subalgoE4EjNS0_10empty_typeEbEEZZNS1_14partition_implILS8_4ELb0ES6_15HIP_vector_typeIjLj2EENS0_17counting_iteratorIjlEEPS9_SG_NS0_5tupleIJPjSI_NS0_16reverse_iteratorISI_EEEEENSH_IJSG_SG_SG_EEES9_SI_JZNS1_25segmented_radix_sort_implINS0_14default_configELb1EPKsPsPKlPlN2at6native12_GLOBAL__N_18offset_tEEE10hipError_tPvRmT1_PNSt15iterator_traitsIS12_E10value_typeET2_T3_PNS13_IS18_E10value_typeET4_jRbjT5_S1E_jjP12ihipStream_tbEUljE_ZNSN_ISO_Lb1ESQ_SR_ST_SU_SY_EESZ_S10_S11_S12_S16_S17_S18_S1B_S1C_jS1D_jS1E_S1E_jjS1G_bEUljE0_EEESZ_S10_S11_S18_S1C_S1E_T6_T7_T9_mT8_S1G_bDpT10_ENKUlT_T0_E_clISt17integral_constantIbLb1EES1T_IbLb0EEEEDaS1P_S1Q_EUlS1P_E_NS1_11comp_targetILNS1_3genE9ELNS1_11target_archE1100ELNS1_3gpuE3ELNS1_3repE0EEENS1_30default_config_static_selectorELNS0_4arch9wavefront6targetE0EEEvS12_.has_indirect_call, 0
	.section	.AMDGPU.csdata,"",@progbits
; Kernel info:
; codeLenInByte = 0
; TotalNumSgprs: 0
; NumVgprs: 0
; ScratchSize: 0
; MemoryBound: 0
; FloatMode: 240
; IeeeMode: 1
; LDSByteSize: 0 bytes/workgroup (compile time only)
; SGPRBlocks: 0
; VGPRBlocks: 0
; NumSGPRsForWavesPerEU: 1
; NumVGPRsForWavesPerEU: 1
; Occupancy: 16
; WaveLimiterHint : 0
; COMPUTE_PGM_RSRC2:SCRATCH_EN: 0
; COMPUTE_PGM_RSRC2:USER_SGPR: 6
; COMPUTE_PGM_RSRC2:TRAP_HANDLER: 0
; COMPUTE_PGM_RSRC2:TGID_X_EN: 1
; COMPUTE_PGM_RSRC2:TGID_Y_EN: 0
; COMPUTE_PGM_RSRC2:TGID_Z_EN: 0
; COMPUTE_PGM_RSRC2:TIDIG_COMP_CNT: 0
	.section	.text._ZN7rocprim17ROCPRIM_400000_NS6detail17trampoline_kernelINS0_13select_configILj256ELj13ELNS0_17block_load_methodE3ELS4_3ELS4_3ELNS0_20block_scan_algorithmE0ELj4294967295EEENS1_25partition_config_selectorILNS1_17partition_subalgoE4EjNS0_10empty_typeEbEEZZNS1_14partition_implILS8_4ELb0ES6_15HIP_vector_typeIjLj2EENS0_17counting_iteratorIjlEEPS9_SG_NS0_5tupleIJPjSI_NS0_16reverse_iteratorISI_EEEEENSH_IJSG_SG_SG_EEES9_SI_JZNS1_25segmented_radix_sort_implINS0_14default_configELb1EPKsPsPKlPlN2at6native12_GLOBAL__N_18offset_tEEE10hipError_tPvRmT1_PNSt15iterator_traitsIS12_E10value_typeET2_T3_PNS13_IS18_E10value_typeET4_jRbjT5_S1E_jjP12ihipStream_tbEUljE_ZNSN_ISO_Lb1ESQ_SR_ST_SU_SY_EESZ_S10_S11_S12_S16_S17_S18_S1B_S1C_jS1D_jS1E_S1E_jjS1G_bEUljE0_EEESZ_S10_S11_S18_S1C_S1E_T6_T7_T9_mT8_S1G_bDpT10_ENKUlT_T0_E_clISt17integral_constantIbLb1EES1T_IbLb0EEEEDaS1P_S1Q_EUlS1P_E_NS1_11comp_targetILNS1_3genE8ELNS1_11target_archE1030ELNS1_3gpuE2ELNS1_3repE0EEENS1_30default_config_static_selectorELNS0_4arch9wavefront6targetE0EEEvS12_,"axG",@progbits,_ZN7rocprim17ROCPRIM_400000_NS6detail17trampoline_kernelINS0_13select_configILj256ELj13ELNS0_17block_load_methodE3ELS4_3ELS4_3ELNS0_20block_scan_algorithmE0ELj4294967295EEENS1_25partition_config_selectorILNS1_17partition_subalgoE4EjNS0_10empty_typeEbEEZZNS1_14partition_implILS8_4ELb0ES6_15HIP_vector_typeIjLj2EENS0_17counting_iteratorIjlEEPS9_SG_NS0_5tupleIJPjSI_NS0_16reverse_iteratorISI_EEEEENSH_IJSG_SG_SG_EEES9_SI_JZNS1_25segmented_radix_sort_implINS0_14default_configELb1EPKsPsPKlPlN2at6native12_GLOBAL__N_18offset_tEEE10hipError_tPvRmT1_PNSt15iterator_traitsIS12_E10value_typeET2_T3_PNS13_IS18_E10value_typeET4_jRbjT5_S1E_jjP12ihipStream_tbEUljE_ZNSN_ISO_Lb1ESQ_SR_ST_SU_SY_EESZ_S10_S11_S12_S16_S17_S18_S1B_S1C_jS1D_jS1E_S1E_jjS1G_bEUljE0_EEESZ_S10_S11_S18_S1C_S1E_T6_T7_T9_mT8_S1G_bDpT10_ENKUlT_T0_E_clISt17integral_constantIbLb1EES1T_IbLb0EEEEDaS1P_S1Q_EUlS1P_E_NS1_11comp_targetILNS1_3genE8ELNS1_11target_archE1030ELNS1_3gpuE2ELNS1_3repE0EEENS1_30default_config_static_selectorELNS0_4arch9wavefront6targetE0EEEvS12_,comdat
	.globl	_ZN7rocprim17ROCPRIM_400000_NS6detail17trampoline_kernelINS0_13select_configILj256ELj13ELNS0_17block_load_methodE3ELS4_3ELS4_3ELNS0_20block_scan_algorithmE0ELj4294967295EEENS1_25partition_config_selectorILNS1_17partition_subalgoE4EjNS0_10empty_typeEbEEZZNS1_14partition_implILS8_4ELb0ES6_15HIP_vector_typeIjLj2EENS0_17counting_iteratorIjlEEPS9_SG_NS0_5tupleIJPjSI_NS0_16reverse_iteratorISI_EEEEENSH_IJSG_SG_SG_EEES9_SI_JZNS1_25segmented_radix_sort_implINS0_14default_configELb1EPKsPsPKlPlN2at6native12_GLOBAL__N_18offset_tEEE10hipError_tPvRmT1_PNSt15iterator_traitsIS12_E10value_typeET2_T3_PNS13_IS18_E10value_typeET4_jRbjT5_S1E_jjP12ihipStream_tbEUljE_ZNSN_ISO_Lb1ESQ_SR_ST_SU_SY_EESZ_S10_S11_S12_S16_S17_S18_S1B_S1C_jS1D_jS1E_S1E_jjS1G_bEUljE0_EEESZ_S10_S11_S18_S1C_S1E_T6_T7_T9_mT8_S1G_bDpT10_ENKUlT_T0_E_clISt17integral_constantIbLb1EES1T_IbLb0EEEEDaS1P_S1Q_EUlS1P_E_NS1_11comp_targetILNS1_3genE8ELNS1_11target_archE1030ELNS1_3gpuE2ELNS1_3repE0EEENS1_30default_config_static_selectorELNS0_4arch9wavefront6targetE0EEEvS12_ ; -- Begin function _ZN7rocprim17ROCPRIM_400000_NS6detail17trampoline_kernelINS0_13select_configILj256ELj13ELNS0_17block_load_methodE3ELS4_3ELS4_3ELNS0_20block_scan_algorithmE0ELj4294967295EEENS1_25partition_config_selectorILNS1_17partition_subalgoE4EjNS0_10empty_typeEbEEZZNS1_14partition_implILS8_4ELb0ES6_15HIP_vector_typeIjLj2EENS0_17counting_iteratorIjlEEPS9_SG_NS0_5tupleIJPjSI_NS0_16reverse_iteratorISI_EEEEENSH_IJSG_SG_SG_EEES9_SI_JZNS1_25segmented_radix_sort_implINS0_14default_configELb1EPKsPsPKlPlN2at6native12_GLOBAL__N_18offset_tEEE10hipError_tPvRmT1_PNSt15iterator_traitsIS12_E10value_typeET2_T3_PNS13_IS18_E10value_typeET4_jRbjT5_S1E_jjP12ihipStream_tbEUljE_ZNSN_ISO_Lb1ESQ_SR_ST_SU_SY_EESZ_S10_S11_S12_S16_S17_S18_S1B_S1C_jS1D_jS1E_S1E_jjS1G_bEUljE0_EEESZ_S10_S11_S18_S1C_S1E_T6_T7_T9_mT8_S1G_bDpT10_ENKUlT_T0_E_clISt17integral_constantIbLb1EES1T_IbLb0EEEEDaS1P_S1Q_EUlS1P_E_NS1_11comp_targetILNS1_3genE8ELNS1_11target_archE1030ELNS1_3gpuE2ELNS1_3repE0EEENS1_30default_config_static_selectorELNS0_4arch9wavefront6targetE0EEEvS12_
	.p2align	8
	.type	_ZN7rocprim17ROCPRIM_400000_NS6detail17trampoline_kernelINS0_13select_configILj256ELj13ELNS0_17block_load_methodE3ELS4_3ELS4_3ELNS0_20block_scan_algorithmE0ELj4294967295EEENS1_25partition_config_selectorILNS1_17partition_subalgoE4EjNS0_10empty_typeEbEEZZNS1_14partition_implILS8_4ELb0ES6_15HIP_vector_typeIjLj2EENS0_17counting_iteratorIjlEEPS9_SG_NS0_5tupleIJPjSI_NS0_16reverse_iteratorISI_EEEEENSH_IJSG_SG_SG_EEES9_SI_JZNS1_25segmented_radix_sort_implINS0_14default_configELb1EPKsPsPKlPlN2at6native12_GLOBAL__N_18offset_tEEE10hipError_tPvRmT1_PNSt15iterator_traitsIS12_E10value_typeET2_T3_PNS13_IS18_E10value_typeET4_jRbjT5_S1E_jjP12ihipStream_tbEUljE_ZNSN_ISO_Lb1ESQ_SR_ST_SU_SY_EESZ_S10_S11_S12_S16_S17_S18_S1B_S1C_jS1D_jS1E_S1E_jjS1G_bEUljE0_EEESZ_S10_S11_S18_S1C_S1E_T6_T7_T9_mT8_S1G_bDpT10_ENKUlT_T0_E_clISt17integral_constantIbLb1EES1T_IbLb0EEEEDaS1P_S1Q_EUlS1P_E_NS1_11comp_targetILNS1_3genE8ELNS1_11target_archE1030ELNS1_3gpuE2ELNS1_3repE0EEENS1_30default_config_static_selectorELNS0_4arch9wavefront6targetE0EEEvS12_,@function
_ZN7rocprim17ROCPRIM_400000_NS6detail17trampoline_kernelINS0_13select_configILj256ELj13ELNS0_17block_load_methodE3ELS4_3ELS4_3ELNS0_20block_scan_algorithmE0ELj4294967295EEENS1_25partition_config_selectorILNS1_17partition_subalgoE4EjNS0_10empty_typeEbEEZZNS1_14partition_implILS8_4ELb0ES6_15HIP_vector_typeIjLj2EENS0_17counting_iteratorIjlEEPS9_SG_NS0_5tupleIJPjSI_NS0_16reverse_iteratorISI_EEEEENSH_IJSG_SG_SG_EEES9_SI_JZNS1_25segmented_radix_sort_implINS0_14default_configELb1EPKsPsPKlPlN2at6native12_GLOBAL__N_18offset_tEEE10hipError_tPvRmT1_PNSt15iterator_traitsIS12_E10value_typeET2_T3_PNS13_IS18_E10value_typeET4_jRbjT5_S1E_jjP12ihipStream_tbEUljE_ZNSN_ISO_Lb1ESQ_SR_ST_SU_SY_EESZ_S10_S11_S12_S16_S17_S18_S1B_S1C_jS1D_jS1E_S1E_jjS1G_bEUljE0_EEESZ_S10_S11_S18_S1C_S1E_T6_T7_T9_mT8_S1G_bDpT10_ENKUlT_T0_E_clISt17integral_constantIbLb1EES1T_IbLb0EEEEDaS1P_S1Q_EUlS1P_E_NS1_11comp_targetILNS1_3genE8ELNS1_11target_archE1030ELNS1_3gpuE2ELNS1_3repE0EEENS1_30default_config_static_selectorELNS0_4arch9wavefront6targetE0EEEvS12_: ; @_ZN7rocprim17ROCPRIM_400000_NS6detail17trampoline_kernelINS0_13select_configILj256ELj13ELNS0_17block_load_methodE3ELS4_3ELS4_3ELNS0_20block_scan_algorithmE0ELj4294967295EEENS1_25partition_config_selectorILNS1_17partition_subalgoE4EjNS0_10empty_typeEbEEZZNS1_14partition_implILS8_4ELb0ES6_15HIP_vector_typeIjLj2EENS0_17counting_iteratorIjlEEPS9_SG_NS0_5tupleIJPjSI_NS0_16reverse_iteratorISI_EEEEENSH_IJSG_SG_SG_EEES9_SI_JZNS1_25segmented_radix_sort_implINS0_14default_configELb1EPKsPsPKlPlN2at6native12_GLOBAL__N_18offset_tEEE10hipError_tPvRmT1_PNSt15iterator_traitsIS12_E10value_typeET2_T3_PNS13_IS18_E10value_typeET4_jRbjT5_S1E_jjP12ihipStream_tbEUljE_ZNSN_ISO_Lb1ESQ_SR_ST_SU_SY_EESZ_S10_S11_S12_S16_S17_S18_S1B_S1C_jS1D_jS1E_S1E_jjS1G_bEUljE0_EEESZ_S10_S11_S18_S1C_S1E_T6_T7_T9_mT8_S1G_bDpT10_ENKUlT_T0_E_clISt17integral_constantIbLb1EES1T_IbLb0EEEEDaS1P_S1Q_EUlS1P_E_NS1_11comp_targetILNS1_3genE8ELNS1_11target_archE1030ELNS1_3gpuE2ELNS1_3repE0EEENS1_30default_config_static_selectorELNS0_4arch9wavefront6targetE0EEEvS12_
; %bb.0:
	s_endpgm
	.section	.rodata,"a",@progbits
	.p2align	6, 0x0
	.amdhsa_kernel _ZN7rocprim17ROCPRIM_400000_NS6detail17trampoline_kernelINS0_13select_configILj256ELj13ELNS0_17block_load_methodE3ELS4_3ELS4_3ELNS0_20block_scan_algorithmE0ELj4294967295EEENS1_25partition_config_selectorILNS1_17partition_subalgoE4EjNS0_10empty_typeEbEEZZNS1_14partition_implILS8_4ELb0ES6_15HIP_vector_typeIjLj2EENS0_17counting_iteratorIjlEEPS9_SG_NS0_5tupleIJPjSI_NS0_16reverse_iteratorISI_EEEEENSH_IJSG_SG_SG_EEES9_SI_JZNS1_25segmented_radix_sort_implINS0_14default_configELb1EPKsPsPKlPlN2at6native12_GLOBAL__N_18offset_tEEE10hipError_tPvRmT1_PNSt15iterator_traitsIS12_E10value_typeET2_T3_PNS13_IS18_E10value_typeET4_jRbjT5_S1E_jjP12ihipStream_tbEUljE_ZNSN_ISO_Lb1ESQ_SR_ST_SU_SY_EESZ_S10_S11_S12_S16_S17_S18_S1B_S1C_jS1D_jS1E_S1E_jjS1G_bEUljE0_EEESZ_S10_S11_S18_S1C_S1E_T6_T7_T9_mT8_S1G_bDpT10_ENKUlT_T0_E_clISt17integral_constantIbLb1EES1T_IbLb0EEEEDaS1P_S1Q_EUlS1P_E_NS1_11comp_targetILNS1_3genE8ELNS1_11target_archE1030ELNS1_3gpuE2ELNS1_3repE0EEENS1_30default_config_static_selectorELNS0_4arch9wavefront6targetE0EEEvS12_
		.amdhsa_group_segment_fixed_size 0
		.amdhsa_private_segment_fixed_size 0
		.amdhsa_kernarg_size 176
		.amdhsa_user_sgpr_count 6
		.amdhsa_user_sgpr_private_segment_buffer 1
		.amdhsa_user_sgpr_dispatch_ptr 0
		.amdhsa_user_sgpr_queue_ptr 0
		.amdhsa_user_sgpr_kernarg_segment_ptr 1
		.amdhsa_user_sgpr_dispatch_id 0
		.amdhsa_user_sgpr_flat_scratch_init 0
		.amdhsa_user_sgpr_private_segment_size 0
		.amdhsa_wavefront_size32 1
		.amdhsa_uses_dynamic_stack 0
		.amdhsa_system_sgpr_private_segment_wavefront_offset 0
		.amdhsa_system_sgpr_workgroup_id_x 1
		.amdhsa_system_sgpr_workgroup_id_y 0
		.amdhsa_system_sgpr_workgroup_id_z 0
		.amdhsa_system_sgpr_workgroup_info 0
		.amdhsa_system_vgpr_workitem_id 0
		.amdhsa_next_free_vgpr 1
		.amdhsa_next_free_sgpr 1
		.amdhsa_reserve_vcc 0
		.amdhsa_reserve_flat_scratch 0
		.amdhsa_float_round_mode_32 0
		.amdhsa_float_round_mode_16_64 0
		.amdhsa_float_denorm_mode_32 3
		.amdhsa_float_denorm_mode_16_64 3
		.amdhsa_dx10_clamp 1
		.amdhsa_ieee_mode 1
		.amdhsa_fp16_overflow 0
		.amdhsa_workgroup_processor_mode 1
		.amdhsa_memory_ordered 1
		.amdhsa_forward_progress 1
		.amdhsa_shared_vgpr_count 0
		.amdhsa_exception_fp_ieee_invalid_op 0
		.amdhsa_exception_fp_denorm_src 0
		.amdhsa_exception_fp_ieee_div_zero 0
		.amdhsa_exception_fp_ieee_overflow 0
		.amdhsa_exception_fp_ieee_underflow 0
		.amdhsa_exception_fp_ieee_inexact 0
		.amdhsa_exception_int_div_zero 0
	.end_amdhsa_kernel
	.section	.text._ZN7rocprim17ROCPRIM_400000_NS6detail17trampoline_kernelINS0_13select_configILj256ELj13ELNS0_17block_load_methodE3ELS4_3ELS4_3ELNS0_20block_scan_algorithmE0ELj4294967295EEENS1_25partition_config_selectorILNS1_17partition_subalgoE4EjNS0_10empty_typeEbEEZZNS1_14partition_implILS8_4ELb0ES6_15HIP_vector_typeIjLj2EENS0_17counting_iteratorIjlEEPS9_SG_NS0_5tupleIJPjSI_NS0_16reverse_iteratorISI_EEEEENSH_IJSG_SG_SG_EEES9_SI_JZNS1_25segmented_radix_sort_implINS0_14default_configELb1EPKsPsPKlPlN2at6native12_GLOBAL__N_18offset_tEEE10hipError_tPvRmT1_PNSt15iterator_traitsIS12_E10value_typeET2_T3_PNS13_IS18_E10value_typeET4_jRbjT5_S1E_jjP12ihipStream_tbEUljE_ZNSN_ISO_Lb1ESQ_SR_ST_SU_SY_EESZ_S10_S11_S12_S16_S17_S18_S1B_S1C_jS1D_jS1E_S1E_jjS1G_bEUljE0_EEESZ_S10_S11_S18_S1C_S1E_T6_T7_T9_mT8_S1G_bDpT10_ENKUlT_T0_E_clISt17integral_constantIbLb1EES1T_IbLb0EEEEDaS1P_S1Q_EUlS1P_E_NS1_11comp_targetILNS1_3genE8ELNS1_11target_archE1030ELNS1_3gpuE2ELNS1_3repE0EEENS1_30default_config_static_selectorELNS0_4arch9wavefront6targetE0EEEvS12_,"axG",@progbits,_ZN7rocprim17ROCPRIM_400000_NS6detail17trampoline_kernelINS0_13select_configILj256ELj13ELNS0_17block_load_methodE3ELS4_3ELS4_3ELNS0_20block_scan_algorithmE0ELj4294967295EEENS1_25partition_config_selectorILNS1_17partition_subalgoE4EjNS0_10empty_typeEbEEZZNS1_14partition_implILS8_4ELb0ES6_15HIP_vector_typeIjLj2EENS0_17counting_iteratorIjlEEPS9_SG_NS0_5tupleIJPjSI_NS0_16reverse_iteratorISI_EEEEENSH_IJSG_SG_SG_EEES9_SI_JZNS1_25segmented_radix_sort_implINS0_14default_configELb1EPKsPsPKlPlN2at6native12_GLOBAL__N_18offset_tEEE10hipError_tPvRmT1_PNSt15iterator_traitsIS12_E10value_typeET2_T3_PNS13_IS18_E10value_typeET4_jRbjT5_S1E_jjP12ihipStream_tbEUljE_ZNSN_ISO_Lb1ESQ_SR_ST_SU_SY_EESZ_S10_S11_S12_S16_S17_S18_S1B_S1C_jS1D_jS1E_S1E_jjS1G_bEUljE0_EEESZ_S10_S11_S18_S1C_S1E_T6_T7_T9_mT8_S1G_bDpT10_ENKUlT_T0_E_clISt17integral_constantIbLb1EES1T_IbLb0EEEEDaS1P_S1Q_EUlS1P_E_NS1_11comp_targetILNS1_3genE8ELNS1_11target_archE1030ELNS1_3gpuE2ELNS1_3repE0EEENS1_30default_config_static_selectorELNS0_4arch9wavefront6targetE0EEEvS12_,comdat
.Lfunc_end864:
	.size	_ZN7rocprim17ROCPRIM_400000_NS6detail17trampoline_kernelINS0_13select_configILj256ELj13ELNS0_17block_load_methodE3ELS4_3ELS4_3ELNS0_20block_scan_algorithmE0ELj4294967295EEENS1_25partition_config_selectorILNS1_17partition_subalgoE4EjNS0_10empty_typeEbEEZZNS1_14partition_implILS8_4ELb0ES6_15HIP_vector_typeIjLj2EENS0_17counting_iteratorIjlEEPS9_SG_NS0_5tupleIJPjSI_NS0_16reverse_iteratorISI_EEEEENSH_IJSG_SG_SG_EEES9_SI_JZNS1_25segmented_radix_sort_implINS0_14default_configELb1EPKsPsPKlPlN2at6native12_GLOBAL__N_18offset_tEEE10hipError_tPvRmT1_PNSt15iterator_traitsIS12_E10value_typeET2_T3_PNS13_IS18_E10value_typeET4_jRbjT5_S1E_jjP12ihipStream_tbEUljE_ZNSN_ISO_Lb1ESQ_SR_ST_SU_SY_EESZ_S10_S11_S12_S16_S17_S18_S1B_S1C_jS1D_jS1E_S1E_jjS1G_bEUljE0_EEESZ_S10_S11_S18_S1C_S1E_T6_T7_T9_mT8_S1G_bDpT10_ENKUlT_T0_E_clISt17integral_constantIbLb1EES1T_IbLb0EEEEDaS1P_S1Q_EUlS1P_E_NS1_11comp_targetILNS1_3genE8ELNS1_11target_archE1030ELNS1_3gpuE2ELNS1_3repE0EEENS1_30default_config_static_selectorELNS0_4arch9wavefront6targetE0EEEvS12_, .Lfunc_end864-_ZN7rocprim17ROCPRIM_400000_NS6detail17trampoline_kernelINS0_13select_configILj256ELj13ELNS0_17block_load_methodE3ELS4_3ELS4_3ELNS0_20block_scan_algorithmE0ELj4294967295EEENS1_25partition_config_selectorILNS1_17partition_subalgoE4EjNS0_10empty_typeEbEEZZNS1_14partition_implILS8_4ELb0ES6_15HIP_vector_typeIjLj2EENS0_17counting_iteratorIjlEEPS9_SG_NS0_5tupleIJPjSI_NS0_16reverse_iteratorISI_EEEEENSH_IJSG_SG_SG_EEES9_SI_JZNS1_25segmented_radix_sort_implINS0_14default_configELb1EPKsPsPKlPlN2at6native12_GLOBAL__N_18offset_tEEE10hipError_tPvRmT1_PNSt15iterator_traitsIS12_E10value_typeET2_T3_PNS13_IS18_E10value_typeET4_jRbjT5_S1E_jjP12ihipStream_tbEUljE_ZNSN_ISO_Lb1ESQ_SR_ST_SU_SY_EESZ_S10_S11_S12_S16_S17_S18_S1B_S1C_jS1D_jS1E_S1E_jjS1G_bEUljE0_EEESZ_S10_S11_S18_S1C_S1E_T6_T7_T9_mT8_S1G_bDpT10_ENKUlT_T0_E_clISt17integral_constantIbLb1EES1T_IbLb0EEEEDaS1P_S1Q_EUlS1P_E_NS1_11comp_targetILNS1_3genE8ELNS1_11target_archE1030ELNS1_3gpuE2ELNS1_3repE0EEENS1_30default_config_static_selectorELNS0_4arch9wavefront6targetE0EEEvS12_
                                        ; -- End function
	.set _ZN7rocprim17ROCPRIM_400000_NS6detail17trampoline_kernelINS0_13select_configILj256ELj13ELNS0_17block_load_methodE3ELS4_3ELS4_3ELNS0_20block_scan_algorithmE0ELj4294967295EEENS1_25partition_config_selectorILNS1_17partition_subalgoE4EjNS0_10empty_typeEbEEZZNS1_14partition_implILS8_4ELb0ES6_15HIP_vector_typeIjLj2EENS0_17counting_iteratorIjlEEPS9_SG_NS0_5tupleIJPjSI_NS0_16reverse_iteratorISI_EEEEENSH_IJSG_SG_SG_EEES9_SI_JZNS1_25segmented_radix_sort_implINS0_14default_configELb1EPKsPsPKlPlN2at6native12_GLOBAL__N_18offset_tEEE10hipError_tPvRmT1_PNSt15iterator_traitsIS12_E10value_typeET2_T3_PNS13_IS18_E10value_typeET4_jRbjT5_S1E_jjP12ihipStream_tbEUljE_ZNSN_ISO_Lb1ESQ_SR_ST_SU_SY_EESZ_S10_S11_S12_S16_S17_S18_S1B_S1C_jS1D_jS1E_S1E_jjS1G_bEUljE0_EEESZ_S10_S11_S18_S1C_S1E_T6_T7_T9_mT8_S1G_bDpT10_ENKUlT_T0_E_clISt17integral_constantIbLb1EES1T_IbLb0EEEEDaS1P_S1Q_EUlS1P_E_NS1_11comp_targetILNS1_3genE8ELNS1_11target_archE1030ELNS1_3gpuE2ELNS1_3repE0EEENS1_30default_config_static_selectorELNS0_4arch9wavefront6targetE0EEEvS12_.num_vgpr, 0
	.set _ZN7rocprim17ROCPRIM_400000_NS6detail17trampoline_kernelINS0_13select_configILj256ELj13ELNS0_17block_load_methodE3ELS4_3ELS4_3ELNS0_20block_scan_algorithmE0ELj4294967295EEENS1_25partition_config_selectorILNS1_17partition_subalgoE4EjNS0_10empty_typeEbEEZZNS1_14partition_implILS8_4ELb0ES6_15HIP_vector_typeIjLj2EENS0_17counting_iteratorIjlEEPS9_SG_NS0_5tupleIJPjSI_NS0_16reverse_iteratorISI_EEEEENSH_IJSG_SG_SG_EEES9_SI_JZNS1_25segmented_radix_sort_implINS0_14default_configELb1EPKsPsPKlPlN2at6native12_GLOBAL__N_18offset_tEEE10hipError_tPvRmT1_PNSt15iterator_traitsIS12_E10value_typeET2_T3_PNS13_IS18_E10value_typeET4_jRbjT5_S1E_jjP12ihipStream_tbEUljE_ZNSN_ISO_Lb1ESQ_SR_ST_SU_SY_EESZ_S10_S11_S12_S16_S17_S18_S1B_S1C_jS1D_jS1E_S1E_jjS1G_bEUljE0_EEESZ_S10_S11_S18_S1C_S1E_T6_T7_T9_mT8_S1G_bDpT10_ENKUlT_T0_E_clISt17integral_constantIbLb1EES1T_IbLb0EEEEDaS1P_S1Q_EUlS1P_E_NS1_11comp_targetILNS1_3genE8ELNS1_11target_archE1030ELNS1_3gpuE2ELNS1_3repE0EEENS1_30default_config_static_selectorELNS0_4arch9wavefront6targetE0EEEvS12_.num_agpr, 0
	.set _ZN7rocprim17ROCPRIM_400000_NS6detail17trampoline_kernelINS0_13select_configILj256ELj13ELNS0_17block_load_methodE3ELS4_3ELS4_3ELNS0_20block_scan_algorithmE0ELj4294967295EEENS1_25partition_config_selectorILNS1_17partition_subalgoE4EjNS0_10empty_typeEbEEZZNS1_14partition_implILS8_4ELb0ES6_15HIP_vector_typeIjLj2EENS0_17counting_iteratorIjlEEPS9_SG_NS0_5tupleIJPjSI_NS0_16reverse_iteratorISI_EEEEENSH_IJSG_SG_SG_EEES9_SI_JZNS1_25segmented_radix_sort_implINS0_14default_configELb1EPKsPsPKlPlN2at6native12_GLOBAL__N_18offset_tEEE10hipError_tPvRmT1_PNSt15iterator_traitsIS12_E10value_typeET2_T3_PNS13_IS18_E10value_typeET4_jRbjT5_S1E_jjP12ihipStream_tbEUljE_ZNSN_ISO_Lb1ESQ_SR_ST_SU_SY_EESZ_S10_S11_S12_S16_S17_S18_S1B_S1C_jS1D_jS1E_S1E_jjS1G_bEUljE0_EEESZ_S10_S11_S18_S1C_S1E_T6_T7_T9_mT8_S1G_bDpT10_ENKUlT_T0_E_clISt17integral_constantIbLb1EES1T_IbLb0EEEEDaS1P_S1Q_EUlS1P_E_NS1_11comp_targetILNS1_3genE8ELNS1_11target_archE1030ELNS1_3gpuE2ELNS1_3repE0EEENS1_30default_config_static_selectorELNS0_4arch9wavefront6targetE0EEEvS12_.numbered_sgpr, 0
	.set _ZN7rocprim17ROCPRIM_400000_NS6detail17trampoline_kernelINS0_13select_configILj256ELj13ELNS0_17block_load_methodE3ELS4_3ELS4_3ELNS0_20block_scan_algorithmE0ELj4294967295EEENS1_25partition_config_selectorILNS1_17partition_subalgoE4EjNS0_10empty_typeEbEEZZNS1_14partition_implILS8_4ELb0ES6_15HIP_vector_typeIjLj2EENS0_17counting_iteratorIjlEEPS9_SG_NS0_5tupleIJPjSI_NS0_16reverse_iteratorISI_EEEEENSH_IJSG_SG_SG_EEES9_SI_JZNS1_25segmented_radix_sort_implINS0_14default_configELb1EPKsPsPKlPlN2at6native12_GLOBAL__N_18offset_tEEE10hipError_tPvRmT1_PNSt15iterator_traitsIS12_E10value_typeET2_T3_PNS13_IS18_E10value_typeET4_jRbjT5_S1E_jjP12ihipStream_tbEUljE_ZNSN_ISO_Lb1ESQ_SR_ST_SU_SY_EESZ_S10_S11_S12_S16_S17_S18_S1B_S1C_jS1D_jS1E_S1E_jjS1G_bEUljE0_EEESZ_S10_S11_S18_S1C_S1E_T6_T7_T9_mT8_S1G_bDpT10_ENKUlT_T0_E_clISt17integral_constantIbLb1EES1T_IbLb0EEEEDaS1P_S1Q_EUlS1P_E_NS1_11comp_targetILNS1_3genE8ELNS1_11target_archE1030ELNS1_3gpuE2ELNS1_3repE0EEENS1_30default_config_static_selectorELNS0_4arch9wavefront6targetE0EEEvS12_.num_named_barrier, 0
	.set _ZN7rocprim17ROCPRIM_400000_NS6detail17trampoline_kernelINS0_13select_configILj256ELj13ELNS0_17block_load_methodE3ELS4_3ELS4_3ELNS0_20block_scan_algorithmE0ELj4294967295EEENS1_25partition_config_selectorILNS1_17partition_subalgoE4EjNS0_10empty_typeEbEEZZNS1_14partition_implILS8_4ELb0ES6_15HIP_vector_typeIjLj2EENS0_17counting_iteratorIjlEEPS9_SG_NS0_5tupleIJPjSI_NS0_16reverse_iteratorISI_EEEEENSH_IJSG_SG_SG_EEES9_SI_JZNS1_25segmented_radix_sort_implINS0_14default_configELb1EPKsPsPKlPlN2at6native12_GLOBAL__N_18offset_tEEE10hipError_tPvRmT1_PNSt15iterator_traitsIS12_E10value_typeET2_T3_PNS13_IS18_E10value_typeET4_jRbjT5_S1E_jjP12ihipStream_tbEUljE_ZNSN_ISO_Lb1ESQ_SR_ST_SU_SY_EESZ_S10_S11_S12_S16_S17_S18_S1B_S1C_jS1D_jS1E_S1E_jjS1G_bEUljE0_EEESZ_S10_S11_S18_S1C_S1E_T6_T7_T9_mT8_S1G_bDpT10_ENKUlT_T0_E_clISt17integral_constantIbLb1EES1T_IbLb0EEEEDaS1P_S1Q_EUlS1P_E_NS1_11comp_targetILNS1_3genE8ELNS1_11target_archE1030ELNS1_3gpuE2ELNS1_3repE0EEENS1_30default_config_static_selectorELNS0_4arch9wavefront6targetE0EEEvS12_.private_seg_size, 0
	.set _ZN7rocprim17ROCPRIM_400000_NS6detail17trampoline_kernelINS0_13select_configILj256ELj13ELNS0_17block_load_methodE3ELS4_3ELS4_3ELNS0_20block_scan_algorithmE0ELj4294967295EEENS1_25partition_config_selectorILNS1_17partition_subalgoE4EjNS0_10empty_typeEbEEZZNS1_14partition_implILS8_4ELb0ES6_15HIP_vector_typeIjLj2EENS0_17counting_iteratorIjlEEPS9_SG_NS0_5tupleIJPjSI_NS0_16reverse_iteratorISI_EEEEENSH_IJSG_SG_SG_EEES9_SI_JZNS1_25segmented_radix_sort_implINS0_14default_configELb1EPKsPsPKlPlN2at6native12_GLOBAL__N_18offset_tEEE10hipError_tPvRmT1_PNSt15iterator_traitsIS12_E10value_typeET2_T3_PNS13_IS18_E10value_typeET4_jRbjT5_S1E_jjP12ihipStream_tbEUljE_ZNSN_ISO_Lb1ESQ_SR_ST_SU_SY_EESZ_S10_S11_S12_S16_S17_S18_S1B_S1C_jS1D_jS1E_S1E_jjS1G_bEUljE0_EEESZ_S10_S11_S18_S1C_S1E_T6_T7_T9_mT8_S1G_bDpT10_ENKUlT_T0_E_clISt17integral_constantIbLb1EES1T_IbLb0EEEEDaS1P_S1Q_EUlS1P_E_NS1_11comp_targetILNS1_3genE8ELNS1_11target_archE1030ELNS1_3gpuE2ELNS1_3repE0EEENS1_30default_config_static_selectorELNS0_4arch9wavefront6targetE0EEEvS12_.uses_vcc, 0
	.set _ZN7rocprim17ROCPRIM_400000_NS6detail17trampoline_kernelINS0_13select_configILj256ELj13ELNS0_17block_load_methodE3ELS4_3ELS4_3ELNS0_20block_scan_algorithmE0ELj4294967295EEENS1_25partition_config_selectorILNS1_17partition_subalgoE4EjNS0_10empty_typeEbEEZZNS1_14partition_implILS8_4ELb0ES6_15HIP_vector_typeIjLj2EENS0_17counting_iteratorIjlEEPS9_SG_NS0_5tupleIJPjSI_NS0_16reverse_iteratorISI_EEEEENSH_IJSG_SG_SG_EEES9_SI_JZNS1_25segmented_radix_sort_implINS0_14default_configELb1EPKsPsPKlPlN2at6native12_GLOBAL__N_18offset_tEEE10hipError_tPvRmT1_PNSt15iterator_traitsIS12_E10value_typeET2_T3_PNS13_IS18_E10value_typeET4_jRbjT5_S1E_jjP12ihipStream_tbEUljE_ZNSN_ISO_Lb1ESQ_SR_ST_SU_SY_EESZ_S10_S11_S12_S16_S17_S18_S1B_S1C_jS1D_jS1E_S1E_jjS1G_bEUljE0_EEESZ_S10_S11_S18_S1C_S1E_T6_T7_T9_mT8_S1G_bDpT10_ENKUlT_T0_E_clISt17integral_constantIbLb1EES1T_IbLb0EEEEDaS1P_S1Q_EUlS1P_E_NS1_11comp_targetILNS1_3genE8ELNS1_11target_archE1030ELNS1_3gpuE2ELNS1_3repE0EEENS1_30default_config_static_selectorELNS0_4arch9wavefront6targetE0EEEvS12_.uses_flat_scratch, 0
	.set _ZN7rocprim17ROCPRIM_400000_NS6detail17trampoline_kernelINS0_13select_configILj256ELj13ELNS0_17block_load_methodE3ELS4_3ELS4_3ELNS0_20block_scan_algorithmE0ELj4294967295EEENS1_25partition_config_selectorILNS1_17partition_subalgoE4EjNS0_10empty_typeEbEEZZNS1_14partition_implILS8_4ELb0ES6_15HIP_vector_typeIjLj2EENS0_17counting_iteratorIjlEEPS9_SG_NS0_5tupleIJPjSI_NS0_16reverse_iteratorISI_EEEEENSH_IJSG_SG_SG_EEES9_SI_JZNS1_25segmented_radix_sort_implINS0_14default_configELb1EPKsPsPKlPlN2at6native12_GLOBAL__N_18offset_tEEE10hipError_tPvRmT1_PNSt15iterator_traitsIS12_E10value_typeET2_T3_PNS13_IS18_E10value_typeET4_jRbjT5_S1E_jjP12ihipStream_tbEUljE_ZNSN_ISO_Lb1ESQ_SR_ST_SU_SY_EESZ_S10_S11_S12_S16_S17_S18_S1B_S1C_jS1D_jS1E_S1E_jjS1G_bEUljE0_EEESZ_S10_S11_S18_S1C_S1E_T6_T7_T9_mT8_S1G_bDpT10_ENKUlT_T0_E_clISt17integral_constantIbLb1EES1T_IbLb0EEEEDaS1P_S1Q_EUlS1P_E_NS1_11comp_targetILNS1_3genE8ELNS1_11target_archE1030ELNS1_3gpuE2ELNS1_3repE0EEENS1_30default_config_static_selectorELNS0_4arch9wavefront6targetE0EEEvS12_.has_dyn_sized_stack, 0
	.set _ZN7rocprim17ROCPRIM_400000_NS6detail17trampoline_kernelINS0_13select_configILj256ELj13ELNS0_17block_load_methodE3ELS4_3ELS4_3ELNS0_20block_scan_algorithmE0ELj4294967295EEENS1_25partition_config_selectorILNS1_17partition_subalgoE4EjNS0_10empty_typeEbEEZZNS1_14partition_implILS8_4ELb0ES6_15HIP_vector_typeIjLj2EENS0_17counting_iteratorIjlEEPS9_SG_NS0_5tupleIJPjSI_NS0_16reverse_iteratorISI_EEEEENSH_IJSG_SG_SG_EEES9_SI_JZNS1_25segmented_radix_sort_implINS0_14default_configELb1EPKsPsPKlPlN2at6native12_GLOBAL__N_18offset_tEEE10hipError_tPvRmT1_PNSt15iterator_traitsIS12_E10value_typeET2_T3_PNS13_IS18_E10value_typeET4_jRbjT5_S1E_jjP12ihipStream_tbEUljE_ZNSN_ISO_Lb1ESQ_SR_ST_SU_SY_EESZ_S10_S11_S12_S16_S17_S18_S1B_S1C_jS1D_jS1E_S1E_jjS1G_bEUljE0_EEESZ_S10_S11_S18_S1C_S1E_T6_T7_T9_mT8_S1G_bDpT10_ENKUlT_T0_E_clISt17integral_constantIbLb1EES1T_IbLb0EEEEDaS1P_S1Q_EUlS1P_E_NS1_11comp_targetILNS1_3genE8ELNS1_11target_archE1030ELNS1_3gpuE2ELNS1_3repE0EEENS1_30default_config_static_selectorELNS0_4arch9wavefront6targetE0EEEvS12_.has_recursion, 0
	.set _ZN7rocprim17ROCPRIM_400000_NS6detail17trampoline_kernelINS0_13select_configILj256ELj13ELNS0_17block_load_methodE3ELS4_3ELS4_3ELNS0_20block_scan_algorithmE0ELj4294967295EEENS1_25partition_config_selectorILNS1_17partition_subalgoE4EjNS0_10empty_typeEbEEZZNS1_14partition_implILS8_4ELb0ES6_15HIP_vector_typeIjLj2EENS0_17counting_iteratorIjlEEPS9_SG_NS0_5tupleIJPjSI_NS0_16reverse_iteratorISI_EEEEENSH_IJSG_SG_SG_EEES9_SI_JZNS1_25segmented_radix_sort_implINS0_14default_configELb1EPKsPsPKlPlN2at6native12_GLOBAL__N_18offset_tEEE10hipError_tPvRmT1_PNSt15iterator_traitsIS12_E10value_typeET2_T3_PNS13_IS18_E10value_typeET4_jRbjT5_S1E_jjP12ihipStream_tbEUljE_ZNSN_ISO_Lb1ESQ_SR_ST_SU_SY_EESZ_S10_S11_S12_S16_S17_S18_S1B_S1C_jS1D_jS1E_S1E_jjS1G_bEUljE0_EEESZ_S10_S11_S18_S1C_S1E_T6_T7_T9_mT8_S1G_bDpT10_ENKUlT_T0_E_clISt17integral_constantIbLb1EES1T_IbLb0EEEEDaS1P_S1Q_EUlS1P_E_NS1_11comp_targetILNS1_3genE8ELNS1_11target_archE1030ELNS1_3gpuE2ELNS1_3repE0EEENS1_30default_config_static_selectorELNS0_4arch9wavefront6targetE0EEEvS12_.has_indirect_call, 0
	.section	.AMDGPU.csdata,"",@progbits
; Kernel info:
; codeLenInByte = 4
; TotalNumSgprs: 0
; NumVgprs: 0
; ScratchSize: 0
; MemoryBound: 0
; FloatMode: 240
; IeeeMode: 1
; LDSByteSize: 0 bytes/workgroup (compile time only)
; SGPRBlocks: 0
; VGPRBlocks: 0
; NumSGPRsForWavesPerEU: 1
; NumVGPRsForWavesPerEU: 1
; Occupancy: 16
; WaveLimiterHint : 0
; COMPUTE_PGM_RSRC2:SCRATCH_EN: 0
; COMPUTE_PGM_RSRC2:USER_SGPR: 6
; COMPUTE_PGM_RSRC2:TRAP_HANDLER: 0
; COMPUTE_PGM_RSRC2:TGID_X_EN: 1
; COMPUTE_PGM_RSRC2:TGID_Y_EN: 0
; COMPUTE_PGM_RSRC2:TGID_Z_EN: 0
; COMPUTE_PGM_RSRC2:TIDIG_COMP_CNT: 0
	.section	.text._ZN7rocprim17ROCPRIM_400000_NS6detail17trampoline_kernelINS0_13select_configILj256ELj13ELNS0_17block_load_methodE3ELS4_3ELS4_3ELNS0_20block_scan_algorithmE0ELj4294967295EEENS1_25partition_config_selectorILNS1_17partition_subalgoE4EjNS0_10empty_typeEbEEZZNS1_14partition_implILS8_4ELb0ES6_15HIP_vector_typeIjLj2EENS0_17counting_iteratorIjlEEPS9_SG_NS0_5tupleIJPjSI_NS0_16reverse_iteratorISI_EEEEENSH_IJSG_SG_SG_EEES9_SI_JZNS1_25segmented_radix_sort_implINS0_14default_configELb1EPKsPsPKlPlN2at6native12_GLOBAL__N_18offset_tEEE10hipError_tPvRmT1_PNSt15iterator_traitsIS12_E10value_typeET2_T3_PNS13_IS18_E10value_typeET4_jRbjT5_S1E_jjP12ihipStream_tbEUljE_ZNSN_ISO_Lb1ESQ_SR_ST_SU_SY_EESZ_S10_S11_S12_S16_S17_S18_S1B_S1C_jS1D_jS1E_S1E_jjS1G_bEUljE0_EEESZ_S10_S11_S18_S1C_S1E_T6_T7_T9_mT8_S1G_bDpT10_ENKUlT_T0_E_clISt17integral_constantIbLb0EES1T_IbLb1EEEEDaS1P_S1Q_EUlS1P_E_NS1_11comp_targetILNS1_3genE0ELNS1_11target_archE4294967295ELNS1_3gpuE0ELNS1_3repE0EEENS1_30default_config_static_selectorELNS0_4arch9wavefront6targetE0EEEvS12_,"axG",@progbits,_ZN7rocprim17ROCPRIM_400000_NS6detail17trampoline_kernelINS0_13select_configILj256ELj13ELNS0_17block_load_methodE3ELS4_3ELS4_3ELNS0_20block_scan_algorithmE0ELj4294967295EEENS1_25partition_config_selectorILNS1_17partition_subalgoE4EjNS0_10empty_typeEbEEZZNS1_14partition_implILS8_4ELb0ES6_15HIP_vector_typeIjLj2EENS0_17counting_iteratorIjlEEPS9_SG_NS0_5tupleIJPjSI_NS0_16reverse_iteratorISI_EEEEENSH_IJSG_SG_SG_EEES9_SI_JZNS1_25segmented_radix_sort_implINS0_14default_configELb1EPKsPsPKlPlN2at6native12_GLOBAL__N_18offset_tEEE10hipError_tPvRmT1_PNSt15iterator_traitsIS12_E10value_typeET2_T3_PNS13_IS18_E10value_typeET4_jRbjT5_S1E_jjP12ihipStream_tbEUljE_ZNSN_ISO_Lb1ESQ_SR_ST_SU_SY_EESZ_S10_S11_S12_S16_S17_S18_S1B_S1C_jS1D_jS1E_S1E_jjS1G_bEUljE0_EEESZ_S10_S11_S18_S1C_S1E_T6_T7_T9_mT8_S1G_bDpT10_ENKUlT_T0_E_clISt17integral_constantIbLb0EES1T_IbLb1EEEEDaS1P_S1Q_EUlS1P_E_NS1_11comp_targetILNS1_3genE0ELNS1_11target_archE4294967295ELNS1_3gpuE0ELNS1_3repE0EEENS1_30default_config_static_selectorELNS0_4arch9wavefront6targetE0EEEvS12_,comdat
	.globl	_ZN7rocprim17ROCPRIM_400000_NS6detail17trampoline_kernelINS0_13select_configILj256ELj13ELNS0_17block_load_methodE3ELS4_3ELS4_3ELNS0_20block_scan_algorithmE0ELj4294967295EEENS1_25partition_config_selectorILNS1_17partition_subalgoE4EjNS0_10empty_typeEbEEZZNS1_14partition_implILS8_4ELb0ES6_15HIP_vector_typeIjLj2EENS0_17counting_iteratorIjlEEPS9_SG_NS0_5tupleIJPjSI_NS0_16reverse_iteratorISI_EEEEENSH_IJSG_SG_SG_EEES9_SI_JZNS1_25segmented_radix_sort_implINS0_14default_configELb1EPKsPsPKlPlN2at6native12_GLOBAL__N_18offset_tEEE10hipError_tPvRmT1_PNSt15iterator_traitsIS12_E10value_typeET2_T3_PNS13_IS18_E10value_typeET4_jRbjT5_S1E_jjP12ihipStream_tbEUljE_ZNSN_ISO_Lb1ESQ_SR_ST_SU_SY_EESZ_S10_S11_S12_S16_S17_S18_S1B_S1C_jS1D_jS1E_S1E_jjS1G_bEUljE0_EEESZ_S10_S11_S18_S1C_S1E_T6_T7_T9_mT8_S1G_bDpT10_ENKUlT_T0_E_clISt17integral_constantIbLb0EES1T_IbLb1EEEEDaS1P_S1Q_EUlS1P_E_NS1_11comp_targetILNS1_3genE0ELNS1_11target_archE4294967295ELNS1_3gpuE0ELNS1_3repE0EEENS1_30default_config_static_selectorELNS0_4arch9wavefront6targetE0EEEvS12_ ; -- Begin function _ZN7rocprim17ROCPRIM_400000_NS6detail17trampoline_kernelINS0_13select_configILj256ELj13ELNS0_17block_load_methodE3ELS4_3ELS4_3ELNS0_20block_scan_algorithmE0ELj4294967295EEENS1_25partition_config_selectorILNS1_17partition_subalgoE4EjNS0_10empty_typeEbEEZZNS1_14partition_implILS8_4ELb0ES6_15HIP_vector_typeIjLj2EENS0_17counting_iteratorIjlEEPS9_SG_NS0_5tupleIJPjSI_NS0_16reverse_iteratorISI_EEEEENSH_IJSG_SG_SG_EEES9_SI_JZNS1_25segmented_radix_sort_implINS0_14default_configELb1EPKsPsPKlPlN2at6native12_GLOBAL__N_18offset_tEEE10hipError_tPvRmT1_PNSt15iterator_traitsIS12_E10value_typeET2_T3_PNS13_IS18_E10value_typeET4_jRbjT5_S1E_jjP12ihipStream_tbEUljE_ZNSN_ISO_Lb1ESQ_SR_ST_SU_SY_EESZ_S10_S11_S12_S16_S17_S18_S1B_S1C_jS1D_jS1E_S1E_jjS1G_bEUljE0_EEESZ_S10_S11_S18_S1C_S1E_T6_T7_T9_mT8_S1G_bDpT10_ENKUlT_T0_E_clISt17integral_constantIbLb0EES1T_IbLb1EEEEDaS1P_S1Q_EUlS1P_E_NS1_11comp_targetILNS1_3genE0ELNS1_11target_archE4294967295ELNS1_3gpuE0ELNS1_3repE0EEENS1_30default_config_static_selectorELNS0_4arch9wavefront6targetE0EEEvS12_
	.p2align	8
	.type	_ZN7rocprim17ROCPRIM_400000_NS6detail17trampoline_kernelINS0_13select_configILj256ELj13ELNS0_17block_load_methodE3ELS4_3ELS4_3ELNS0_20block_scan_algorithmE0ELj4294967295EEENS1_25partition_config_selectorILNS1_17partition_subalgoE4EjNS0_10empty_typeEbEEZZNS1_14partition_implILS8_4ELb0ES6_15HIP_vector_typeIjLj2EENS0_17counting_iteratorIjlEEPS9_SG_NS0_5tupleIJPjSI_NS0_16reverse_iteratorISI_EEEEENSH_IJSG_SG_SG_EEES9_SI_JZNS1_25segmented_radix_sort_implINS0_14default_configELb1EPKsPsPKlPlN2at6native12_GLOBAL__N_18offset_tEEE10hipError_tPvRmT1_PNSt15iterator_traitsIS12_E10value_typeET2_T3_PNS13_IS18_E10value_typeET4_jRbjT5_S1E_jjP12ihipStream_tbEUljE_ZNSN_ISO_Lb1ESQ_SR_ST_SU_SY_EESZ_S10_S11_S12_S16_S17_S18_S1B_S1C_jS1D_jS1E_S1E_jjS1G_bEUljE0_EEESZ_S10_S11_S18_S1C_S1E_T6_T7_T9_mT8_S1G_bDpT10_ENKUlT_T0_E_clISt17integral_constantIbLb0EES1T_IbLb1EEEEDaS1P_S1Q_EUlS1P_E_NS1_11comp_targetILNS1_3genE0ELNS1_11target_archE4294967295ELNS1_3gpuE0ELNS1_3repE0EEENS1_30default_config_static_selectorELNS0_4arch9wavefront6targetE0EEEvS12_,@function
_ZN7rocprim17ROCPRIM_400000_NS6detail17trampoline_kernelINS0_13select_configILj256ELj13ELNS0_17block_load_methodE3ELS4_3ELS4_3ELNS0_20block_scan_algorithmE0ELj4294967295EEENS1_25partition_config_selectorILNS1_17partition_subalgoE4EjNS0_10empty_typeEbEEZZNS1_14partition_implILS8_4ELb0ES6_15HIP_vector_typeIjLj2EENS0_17counting_iteratorIjlEEPS9_SG_NS0_5tupleIJPjSI_NS0_16reverse_iteratorISI_EEEEENSH_IJSG_SG_SG_EEES9_SI_JZNS1_25segmented_radix_sort_implINS0_14default_configELb1EPKsPsPKlPlN2at6native12_GLOBAL__N_18offset_tEEE10hipError_tPvRmT1_PNSt15iterator_traitsIS12_E10value_typeET2_T3_PNS13_IS18_E10value_typeET4_jRbjT5_S1E_jjP12ihipStream_tbEUljE_ZNSN_ISO_Lb1ESQ_SR_ST_SU_SY_EESZ_S10_S11_S12_S16_S17_S18_S1B_S1C_jS1D_jS1E_S1E_jjS1G_bEUljE0_EEESZ_S10_S11_S18_S1C_S1E_T6_T7_T9_mT8_S1G_bDpT10_ENKUlT_T0_E_clISt17integral_constantIbLb0EES1T_IbLb1EEEEDaS1P_S1Q_EUlS1P_E_NS1_11comp_targetILNS1_3genE0ELNS1_11target_archE4294967295ELNS1_3gpuE0ELNS1_3repE0EEENS1_30default_config_static_selectorELNS0_4arch9wavefront6targetE0EEEvS12_: ; @_ZN7rocprim17ROCPRIM_400000_NS6detail17trampoline_kernelINS0_13select_configILj256ELj13ELNS0_17block_load_methodE3ELS4_3ELS4_3ELNS0_20block_scan_algorithmE0ELj4294967295EEENS1_25partition_config_selectorILNS1_17partition_subalgoE4EjNS0_10empty_typeEbEEZZNS1_14partition_implILS8_4ELb0ES6_15HIP_vector_typeIjLj2EENS0_17counting_iteratorIjlEEPS9_SG_NS0_5tupleIJPjSI_NS0_16reverse_iteratorISI_EEEEENSH_IJSG_SG_SG_EEES9_SI_JZNS1_25segmented_radix_sort_implINS0_14default_configELb1EPKsPsPKlPlN2at6native12_GLOBAL__N_18offset_tEEE10hipError_tPvRmT1_PNSt15iterator_traitsIS12_E10value_typeET2_T3_PNS13_IS18_E10value_typeET4_jRbjT5_S1E_jjP12ihipStream_tbEUljE_ZNSN_ISO_Lb1ESQ_SR_ST_SU_SY_EESZ_S10_S11_S12_S16_S17_S18_S1B_S1C_jS1D_jS1E_S1E_jjS1G_bEUljE0_EEESZ_S10_S11_S18_S1C_S1E_T6_T7_T9_mT8_S1G_bDpT10_ENKUlT_T0_E_clISt17integral_constantIbLb0EES1T_IbLb1EEEEDaS1P_S1Q_EUlS1P_E_NS1_11comp_targetILNS1_3genE0ELNS1_11target_archE4294967295ELNS1_3gpuE0ELNS1_3repE0EEENS1_30default_config_static_selectorELNS0_4arch9wavefront6targetE0EEEvS12_
; %bb.0:
	.section	.rodata,"a",@progbits
	.p2align	6, 0x0
	.amdhsa_kernel _ZN7rocprim17ROCPRIM_400000_NS6detail17trampoline_kernelINS0_13select_configILj256ELj13ELNS0_17block_load_methodE3ELS4_3ELS4_3ELNS0_20block_scan_algorithmE0ELj4294967295EEENS1_25partition_config_selectorILNS1_17partition_subalgoE4EjNS0_10empty_typeEbEEZZNS1_14partition_implILS8_4ELb0ES6_15HIP_vector_typeIjLj2EENS0_17counting_iteratorIjlEEPS9_SG_NS0_5tupleIJPjSI_NS0_16reverse_iteratorISI_EEEEENSH_IJSG_SG_SG_EEES9_SI_JZNS1_25segmented_radix_sort_implINS0_14default_configELb1EPKsPsPKlPlN2at6native12_GLOBAL__N_18offset_tEEE10hipError_tPvRmT1_PNSt15iterator_traitsIS12_E10value_typeET2_T3_PNS13_IS18_E10value_typeET4_jRbjT5_S1E_jjP12ihipStream_tbEUljE_ZNSN_ISO_Lb1ESQ_SR_ST_SU_SY_EESZ_S10_S11_S12_S16_S17_S18_S1B_S1C_jS1D_jS1E_S1E_jjS1G_bEUljE0_EEESZ_S10_S11_S18_S1C_S1E_T6_T7_T9_mT8_S1G_bDpT10_ENKUlT_T0_E_clISt17integral_constantIbLb0EES1T_IbLb1EEEEDaS1P_S1Q_EUlS1P_E_NS1_11comp_targetILNS1_3genE0ELNS1_11target_archE4294967295ELNS1_3gpuE0ELNS1_3repE0EEENS1_30default_config_static_selectorELNS0_4arch9wavefront6targetE0EEEvS12_
		.amdhsa_group_segment_fixed_size 0
		.amdhsa_private_segment_fixed_size 0
		.amdhsa_kernarg_size 184
		.amdhsa_user_sgpr_count 6
		.amdhsa_user_sgpr_private_segment_buffer 1
		.amdhsa_user_sgpr_dispatch_ptr 0
		.amdhsa_user_sgpr_queue_ptr 0
		.amdhsa_user_sgpr_kernarg_segment_ptr 1
		.amdhsa_user_sgpr_dispatch_id 0
		.amdhsa_user_sgpr_flat_scratch_init 0
		.amdhsa_user_sgpr_private_segment_size 0
		.amdhsa_wavefront_size32 1
		.amdhsa_uses_dynamic_stack 0
		.amdhsa_system_sgpr_private_segment_wavefront_offset 0
		.amdhsa_system_sgpr_workgroup_id_x 1
		.amdhsa_system_sgpr_workgroup_id_y 0
		.amdhsa_system_sgpr_workgroup_id_z 0
		.amdhsa_system_sgpr_workgroup_info 0
		.amdhsa_system_vgpr_workitem_id 0
		.amdhsa_next_free_vgpr 1
		.amdhsa_next_free_sgpr 1
		.amdhsa_reserve_vcc 0
		.amdhsa_reserve_flat_scratch 0
		.amdhsa_float_round_mode_32 0
		.amdhsa_float_round_mode_16_64 0
		.amdhsa_float_denorm_mode_32 3
		.amdhsa_float_denorm_mode_16_64 3
		.amdhsa_dx10_clamp 1
		.amdhsa_ieee_mode 1
		.amdhsa_fp16_overflow 0
		.amdhsa_workgroup_processor_mode 1
		.amdhsa_memory_ordered 1
		.amdhsa_forward_progress 1
		.amdhsa_shared_vgpr_count 0
		.amdhsa_exception_fp_ieee_invalid_op 0
		.amdhsa_exception_fp_denorm_src 0
		.amdhsa_exception_fp_ieee_div_zero 0
		.amdhsa_exception_fp_ieee_overflow 0
		.amdhsa_exception_fp_ieee_underflow 0
		.amdhsa_exception_fp_ieee_inexact 0
		.amdhsa_exception_int_div_zero 0
	.end_amdhsa_kernel
	.section	.text._ZN7rocprim17ROCPRIM_400000_NS6detail17trampoline_kernelINS0_13select_configILj256ELj13ELNS0_17block_load_methodE3ELS4_3ELS4_3ELNS0_20block_scan_algorithmE0ELj4294967295EEENS1_25partition_config_selectorILNS1_17partition_subalgoE4EjNS0_10empty_typeEbEEZZNS1_14partition_implILS8_4ELb0ES6_15HIP_vector_typeIjLj2EENS0_17counting_iteratorIjlEEPS9_SG_NS0_5tupleIJPjSI_NS0_16reverse_iteratorISI_EEEEENSH_IJSG_SG_SG_EEES9_SI_JZNS1_25segmented_radix_sort_implINS0_14default_configELb1EPKsPsPKlPlN2at6native12_GLOBAL__N_18offset_tEEE10hipError_tPvRmT1_PNSt15iterator_traitsIS12_E10value_typeET2_T3_PNS13_IS18_E10value_typeET4_jRbjT5_S1E_jjP12ihipStream_tbEUljE_ZNSN_ISO_Lb1ESQ_SR_ST_SU_SY_EESZ_S10_S11_S12_S16_S17_S18_S1B_S1C_jS1D_jS1E_S1E_jjS1G_bEUljE0_EEESZ_S10_S11_S18_S1C_S1E_T6_T7_T9_mT8_S1G_bDpT10_ENKUlT_T0_E_clISt17integral_constantIbLb0EES1T_IbLb1EEEEDaS1P_S1Q_EUlS1P_E_NS1_11comp_targetILNS1_3genE0ELNS1_11target_archE4294967295ELNS1_3gpuE0ELNS1_3repE0EEENS1_30default_config_static_selectorELNS0_4arch9wavefront6targetE0EEEvS12_,"axG",@progbits,_ZN7rocprim17ROCPRIM_400000_NS6detail17trampoline_kernelINS0_13select_configILj256ELj13ELNS0_17block_load_methodE3ELS4_3ELS4_3ELNS0_20block_scan_algorithmE0ELj4294967295EEENS1_25partition_config_selectorILNS1_17partition_subalgoE4EjNS0_10empty_typeEbEEZZNS1_14partition_implILS8_4ELb0ES6_15HIP_vector_typeIjLj2EENS0_17counting_iteratorIjlEEPS9_SG_NS0_5tupleIJPjSI_NS0_16reverse_iteratorISI_EEEEENSH_IJSG_SG_SG_EEES9_SI_JZNS1_25segmented_radix_sort_implINS0_14default_configELb1EPKsPsPKlPlN2at6native12_GLOBAL__N_18offset_tEEE10hipError_tPvRmT1_PNSt15iterator_traitsIS12_E10value_typeET2_T3_PNS13_IS18_E10value_typeET4_jRbjT5_S1E_jjP12ihipStream_tbEUljE_ZNSN_ISO_Lb1ESQ_SR_ST_SU_SY_EESZ_S10_S11_S12_S16_S17_S18_S1B_S1C_jS1D_jS1E_S1E_jjS1G_bEUljE0_EEESZ_S10_S11_S18_S1C_S1E_T6_T7_T9_mT8_S1G_bDpT10_ENKUlT_T0_E_clISt17integral_constantIbLb0EES1T_IbLb1EEEEDaS1P_S1Q_EUlS1P_E_NS1_11comp_targetILNS1_3genE0ELNS1_11target_archE4294967295ELNS1_3gpuE0ELNS1_3repE0EEENS1_30default_config_static_selectorELNS0_4arch9wavefront6targetE0EEEvS12_,comdat
.Lfunc_end865:
	.size	_ZN7rocprim17ROCPRIM_400000_NS6detail17trampoline_kernelINS0_13select_configILj256ELj13ELNS0_17block_load_methodE3ELS4_3ELS4_3ELNS0_20block_scan_algorithmE0ELj4294967295EEENS1_25partition_config_selectorILNS1_17partition_subalgoE4EjNS0_10empty_typeEbEEZZNS1_14partition_implILS8_4ELb0ES6_15HIP_vector_typeIjLj2EENS0_17counting_iteratorIjlEEPS9_SG_NS0_5tupleIJPjSI_NS0_16reverse_iteratorISI_EEEEENSH_IJSG_SG_SG_EEES9_SI_JZNS1_25segmented_radix_sort_implINS0_14default_configELb1EPKsPsPKlPlN2at6native12_GLOBAL__N_18offset_tEEE10hipError_tPvRmT1_PNSt15iterator_traitsIS12_E10value_typeET2_T3_PNS13_IS18_E10value_typeET4_jRbjT5_S1E_jjP12ihipStream_tbEUljE_ZNSN_ISO_Lb1ESQ_SR_ST_SU_SY_EESZ_S10_S11_S12_S16_S17_S18_S1B_S1C_jS1D_jS1E_S1E_jjS1G_bEUljE0_EEESZ_S10_S11_S18_S1C_S1E_T6_T7_T9_mT8_S1G_bDpT10_ENKUlT_T0_E_clISt17integral_constantIbLb0EES1T_IbLb1EEEEDaS1P_S1Q_EUlS1P_E_NS1_11comp_targetILNS1_3genE0ELNS1_11target_archE4294967295ELNS1_3gpuE0ELNS1_3repE0EEENS1_30default_config_static_selectorELNS0_4arch9wavefront6targetE0EEEvS12_, .Lfunc_end865-_ZN7rocprim17ROCPRIM_400000_NS6detail17trampoline_kernelINS0_13select_configILj256ELj13ELNS0_17block_load_methodE3ELS4_3ELS4_3ELNS0_20block_scan_algorithmE0ELj4294967295EEENS1_25partition_config_selectorILNS1_17partition_subalgoE4EjNS0_10empty_typeEbEEZZNS1_14partition_implILS8_4ELb0ES6_15HIP_vector_typeIjLj2EENS0_17counting_iteratorIjlEEPS9_SG_NS0_5tupleIJPjSI_NS0_16reverse_iteratorISI_EEEEENSH_IJSG_SG_SG_EEES9_SI_JZNS1_25segmented_radix_sort_implINS0_14default_configELb1EPKsPsPKlPlN2at6native12_GLOBAL__N_18offset_tEEE10hipError_tPvRmT1_PNSt15iterator_traitsIS12_E10value_typeET2_T3_PNS13_IS18_E10value_typeET4_jRbjT5_S1E_jjP12ihipStream_tbEUljE_ZNSN_ISO_Lb1ESQ_SR_ST_SU_SY_EESZ_S10_S11_S12_S16_S17_S18_S1B_S1C_jS1D_jS1E_S1E_jjS1G_bEUljE0_EEESZ_S10_S11_S18_S1C_S1E_T6_T7_T9_mT8_S1G_bDpT10_ENKUlT_T0_E_clISt17integral_constantIbLb0EES1T_IbLb1EEEEDaS1P_S1Q_EUlS1P_E_NS1_11comp_targetILNS1_3genE0ELNS1_11target_archE4294967295ELNS1_3gpuE0ELNS1_3repE0EEENS1_30default_config_static_selectorELNS0_4arch9wavefront6targetE0EEEvS12_
                                        ; -- End function
	.set _ZN7rocprim17ROCPRIM_400000_NS6detail17trampoline_kernelINS0_13select_configILj256ELj13ELNS0_17block_load_methodE3ELS4_3ELS4_3ELNS0_20block_scan_algorithmE0ELj4294967295EEENS1_25partition_config_selectorILNS1_17partition_subalgoE4EjNS0_10empty_typeEbEEZZNS1_14partition_implILS8_4ELb0ES6_15HIP_vector_typeIjLj2EENS0_17counting_iteratorIjlEEPS9_SG_NS0_5tupleIJPjSI_NS0_16reverse_iteratorISI_EEEEENSH_IJSG_SG_SG_EEES9_SI_JZNS1_25segmented_radix_sort_implINS0_14default_configELb1EPKsPsPKlPlN2at6native12_GLOBAL__N_18offset_tEEE10hipError_tPvRmT1_PNSt15iterator_traitsIS12_E10value_typeET2_T3_PNS13_IS18_E10value_typeET4_jRbjT5_S1E_jjP12ihipStream_tbEUljE_ZNSN_ISO_Lb1ESQ_SR_ST_SU_SY_EESZ_S10_S11_S12_S16_S17_S18_S1B_S1C_jS1D_jS1E_S1E_jjS1G_bEUljE0_EEESZ_S10_S11_S18_S1C_S1E_T6_T7_T9_mT8_S1G_bDpT10_ENKUlT_T0_E_clISt17integral_constantIbLb0EES1T_IbLb1EEEEDaS1P_S1Q_EUlS1P_E_NS1_11comp_targetILNS1_3genE0ELNS1_11target_archE4294967295ELNS1_3gpuE0ELNS1_3repE0EEENS1_30default_config_static_selectorELNS0_4arch9wavefront6targetE0EEEvS12_.num_vgpr, 0
	.set _ZN7rocprim17ROCPRIM_400000_NS6detail17trampoline_kernelINS0_13select_configILj256ELj13ELNS0_17block_load_methodE3ELS4_3ELS4_3ELNS0_20block_scan_algorithmE0ELj4294967295EEENS1_25partition_config_selectorILNS1_17partition_subalgoE4EjNS0_10empty_typeEbEEZZNS1_14partition_implILS8_4ELb0ES6_15HIP_vector_typeIjLj2EENS0_17counting_iteratorIjlEEPS9_SG_NS0_5tupleIJPjSI_NS0_16reverse_iteratorISI_EEEEENSH_IJSG_SG_SG_EEES9_SI_JZNS1_25segmented_radix_sort_implINS0_14default_configELb1EPKsPsPKlPlN2at6native12_GLOBAL__N_18offset_tEEE10hipError_tPvRmT1_PNSt15iterator_traitsIS12_E10value_typeET2_T3_PNS13_IS18_E10value_typeET4_jRbjT5_S1E_jjP12ihipStream_tbEUljE_ZNSN_ISO_Lb1ESQ_SR_ST_SU_SY_EESZ_S10_S11_S12_S16_S17_S18_S1B_S1C_jS1D_jS1E_S1E_jjS1G_bEUljE0_EEESZ_S10_S11_S18_S1C_S1E_T6_T7_T9_mT8_S1G_bDpT10_ENKUlT_T0_E_clISt17integral_constantIbLb0EES1T_IbLb1EEEEDaS1P_S1Q_EUlS1P_E_NS1_11comp_targetILNS1_3genE0ELNS1_11target_archE4294967295ELNS1_3gpuE0ELNS1_3repE0EEENS1_30default_config_static_selectorELNS0_4arch9wavefront6targetE0EEEvS12_.num_agpr, 0
	.set _ZN7rocprim17ROCPRIM_400000_NS6detail17trampoline_kernelINS0_13select_configILj256ELj13ELNS0_17block_load_methodE3ELS4_3ELS4_3ELNS0_20block_scan_algorithmE0ELj4294967295EEENS1_25partition_config_selectorILNS1_17partition_subalgoE4EjNS0_10empty_typeEbEEZZNS1_14partition_implILS8_4ELb0ES6_15HIP_vector_typeIjLj2EENS0_17counting_iteratorIjlEEPS9_SG_NS0_5tupleIJPjSI_NS0_16reverse_iteratorISI_EEEEENSH_IJSG_SG_SG_EEES9_SI_JZNS1_25segmented_radix_sort_implINS0_14default_configELb1EPKsPsPKlPlN2at6native12_GLOBAL__N_18offset_tEEE10hipError_tPvRmT1_PNSt15iterator_traitsIS12_E10value_typeET2_T3_PNS13_IS18_E10value_typeET4_jRbjT5_S1E_jjP12ihipStream_tbEUljE_ZNSN_ISO_Lb1ESQ_SR_ST_SU_SY_EESZ_S10_S11_S12_S16_S17_S18_S1B_S1C_jS1D_jS1E_S1E_jjS1G_bEUljE0_EEESZ_S10_S11_S18_S1C_S1E_T6_T7_T9_mT8_S1G_bDpT10_ENKUlT_T0_E_clISt17integral_constantIbLb0EES1T_IbLb1EEEEDaS1P_S1Q_EUlS1P_E_NS1_11comp_targetILNS1_3genE0ELNS1_11target_archE4294967295ELNS1_3gpuE0ELNS1_3repE0EEENS1_30default_config_static_selectorELNS0_4arch9wavefront6targetE0EEEvS12_.numbered_sgpr, 0
	.set _ZN7rocprim17ROCPRIM_400000_NS6detail17trampoline_kernelINS0_13select_configILj256ELj13ELNS0_17block_load_methodE3ELS4_3ELS4_3ELNS0_20block_scan_algorithmE0ELj4294967295EEENS1_25partition_config_selectorILNS1_17partition_subalgoE4EjNS0_10empty_typeEbEEZZNS1_14partition_implILS8_4ELb0ES6_15HIP_vector_typeIjLj2EENS0_17counting_iteratorIjlEEPS9_SG_NS0_5tupleIJPjSI_NS0_16reverse_iteratorISI_EEEEENSH_IJSG_SG_SG_EEES9_SI_JZNS1_25segmented_radix_sort_implINS0_14default_configELb1EPKsPsPKlPlN2at6native12_GLOBAL__N_18offset_tEEE10hipError_tPvRmT1_PNSt15iterator_traitsIS12_E10value_typeET2_T3_PNS13_IS18_E10value_typeET4_jRbjT5_S1E_jjP12ihipStream_tbEUljE_ZNSN_ISO_Lb1ESQ_SR_ST_SU_SY_EESZ_S10_S11_S12_S16_S17_S18_S1B_S1C_jS1D_jS1E_S1E_jjS1G_bEUljE0_EEESZ_S10_S11_S18_S1C_S1E_T6_T7_T9_mT8_S1G_bDpT10_ENKUlT_T0_E_clISt17integral_constantIbLb0EES1T_IbLb1EEEEDaS1P_S1Q_EUlS1P_E_NS1_11comp_targetILNS1_3genE0ELNS1_11target_archE4294967295ELNS1_3gpuE0ELNS1_3repE0EEENS1_30default_config_static_selectorELNS0_4arch9wavefront6targetE0EEEvS12_.num_named_barrier, 0
	.set _ZN7rocprim17ROCPRIM_400000_NS6detail17trampoline_kernelINS0_13select_configILj256ELj13ELNS0_17block_load_methodE3ELS4_3ELS4_3ELNS0_20block_scan_algorithmE0ELj4294967295EEENS1_25partition_config_selectorILNS1_17partition_subalgoE4EjNS0_10empty_typeEbEEZZNS1_14partition_implILS8_4ELb0ES6_15HIP_vector_typeIjLj2EENS0_17counting_iteratorIjlEEPS9_SG_NS0_5tupleIJPjSI_NS0_16reverse_iteratorISI_EEEEENSH_IJSG_SG_SG_EEES9_SI_JZNS1_25segmented_radix_sort_implINS0_14default_configELb1EPKsPsPKlPlN2at6native12_GLOBAL__N_18offset_tEEE10hipError_tPvRmT1_PNSt15iterator_traitsIS12_E10value_typeET2_T3_PNS13_IS18_E10value_typeET4_jRbjT5_S1E_jjP12ihipStream_tbEUljE_ZNSN_ISO_Lb1ESQ_SR_ST_SU_SY_EESZ_S10_S11_S12_S16_S17_S18_S1B_S1C_jS1D_jS1E_S1E_jjS1G_bEUljE0_EEESZ_S10_S11_S18_S1C_S1E_T6_T7_T9_mT8_S1G_bDpT10_ENKUlT_T0_E_clISt17integral_constantIbLb0EES1T_IbLb1EEEEDaS1P_S1Q_EUlS1P_E_NS1_11comp_targetILNS1_3genE0ELNS1_11target_archE4294967295ELNS1_3gpuE0ELNS1_3repE0EEENS1_30default_config_static_selectorELNS0_4arch9wavefront6targetE0EEEvS12_.private_seg_size, 0
	.set _ZN7rocprim17ROCPRIM_400000_NS6detail17trampoline_kernelINS0_13select_configILj256ELj13ELNS0_17block_load_methodE3ELS4_3ELS4_3ELNS0_20block_scan_algorithmE0ELj4294967295EEENS1_25partition_config_selectorILNS1_17partition_subalgoE4EjNS0_10empty_typeEbEEZZNS1_14partition_implILS8_4ELb0ES6_15HIP_vector_typeIjLj2EENS0_17counting_iteratorIjlEEPS9_SG_NS0_5tupleIJPjSI_NS0_16reverse_iteratorISI_EEEEENSH_IJSG_SG_SG_EEES9_SI_JZNS1_25segmented_radix_sort_implINS0_14default_configELb1EPKsPsPKlPlN2at6native12_GLOBAL__N_18offset_tEEE10hipError_tPvRmT1_PNSt15iterator_traitsIS12_E10value_typeET2_T3_PNS13_IS18_E10value_typeET4_jRbjT5_S1E_jjP12ihipStream_tbEUljE_ZNSN_ISO_Lb1ESQ_SR_ST_SU_SY_EESZ_S10_S11_S12_S16_S17_S18_S1B_S1C_jS1D_jS1E_S1E_jjS1G_bEUljE0_EEESZ_S10_S11_S18_S1C_S1E_T6_T7_T9_mT8_S1G_bDpT10_ENKUlT_T0_E_clISt17integral_constantIbLb0EES1T_IbLb1EEEEDaS1P_S1Q_EUlS1P_E_NS1_11comp_targetILNS1_3genE0ELNS1_11target_archE4294967295ELNS1_3gpuE0ELNS1_3repE0EEENS1_30default_config_static_selectorELNS0_4arch9wavefront6targetE0EEEvS12_.uses_vcc, 0
	.set _ZN7rocprim17ROCPRIM_400000_NS6detail17trampoline_kernelINS0_13select_configILj256ELj13ELNS0_17block_load_methodE3ELS4_3ELS4_3ELNS0_20block_scan_algorithmE0ELj4294967295EEENS1_25partition_config_selectorILNS1_17partition_subalgoE4EjNS0_10empty_typeEbEEZZNS1_14partition_implILS8_4ELb0ES6_15HIP_vector_typeIjLj2EENS0_17counting_iteratorIjlEEPS9_SG_NS0_5tupleIJPjSI_NS0_16reverse_iteratorISI_EEEEENSH_IJSG_SG_SG_EEES9_SI_JZNS1_25segmented_radix_sort_implINS0_14default_configELb1EPKsPsPKlPlN2at6native12_GLOBAL__N_18offset_tEEE10hipError_tPvRmT1_PNSt15iterator_traitsIS12_E10value_typeET2_T3_PNS13_IS18_E10value_typeET4_jRbjT5_S1E_jjP12ihipStream_tbEUljE_ZNSN_ISO_Lb1ESQ_SR_ST_SU_SY_EESZ_S10_S11_S12_S16_S17_S18_S1B_S1C_jS1D_jS1E_S1E_jjS1G_bEUljE0_EEESZ_S10_S11_S18_S1C_S1E_T6_T7_T9_mT8_S1G_bDpT10_ENKUlT_T0_E_clISt17integral_constantIbLb0EES1T_IbLb1EEEEDaS1P_S1Q_EUlS1P_E_NS1_11comp_targetILNS1_3genE0ELNS1_11target_archE4294967295ELNS1_3gpuE0ELNS1_3repE0EEENS1_30default_config_static_selectorELNS0_4arch9wavefront6targetE0EEEvS12_.uses_flat_scratch, 0
	.set _ZN7rocprim17ROCPRIM_400000_NS6detail17trampoline_kernelINS0_13select_configILj256ELj13ELNS0_17block_load_methodE3ELS4_3ELS4_3ELNS0_20block_scan_algorithmE0ELj4294967295EEENS1_25partition_config_selectorILNS1_17partition_subalgoE4EjNS0_10empty_typeEbEEZZNS1_14partition_implILS8_4ELb0ES6_15HIP_vector_typeIjLj2EENS0_17counting_iteratorIjlEEPS9_SG_NS0_5tupleIJPjSI_NS0_16reverse_iteratorISI_EEEEENSH_IJSG_SG_SG_EEES9_SI_JZNS1_25segmented_radix_sort_implINS0_14default_configELb1EPKsPsPKlPlN2at6native12_GLOBAL__N_18offset_tEEE10hipError_tPvRmT1_PNSt15iterator_traitsIS12_E10value_typeET2_T3_PNS13_IS18_E10value_typeET4_jRbjT5_S1E_jjP12ihipStream_tbEUljE_ZNSN_ISO_Lb1ESQ_SR_ST_SU_SY_EESZ_S10_S11_S12_S16_S17_S18_S1B_S1C_jS1D_jS1E_S1E_jjS1G_bEUljE0_EEESZ_S10_S11_S18_S1C_S1E_T6_T7_T9_mT8_S1G_bDpT10_ENKUlT_T0_E_clISt17integral_constantIbLb0EES1T_IbLb1EEEEDaS1P_S1Q_EUlS1P_E_NS1_11comp_targetILNS1_3genE0ELNS1_11target_archE4294967295ELNS1_3gpuE0ELNS1_3repE0EEENS1_30default_config_static_selectorELNS0_4arch9wavefront6targetE0EEEvS12_.has_dyn_sized_stack, 0
	.set _ZN7rocprim17ROCPRIM_400000_NS6detail17trampoline_kernelINS0_13select_configILj256ELj13ELNS0_17block_load_methodE3ELS4_3ELS4_3ELNS0_20block_scan_algorithmE0ELj4294967295EEENS1_25partition_config_selectorILNS1_17partition_subalgoE4EjNS0_10empty_typeEbEEZZNS1_14partition_implILS8_4ELb0ES6_15HIP_vector_typeIjLj2EENS0_17counting_iteratorIjlEEPS9_SG_NS0_5tupleIJPjSI_NS0_16reverse_iteratorISI_EEEEENSH_IJSG_SG_SG_EEES9_SI_JZNS1_25segmented_radix_sort_implINS0_14default_configELb1EPKsPsPKlPlN2at6native12_GLOBAL__N_18offset_tEEE10hipError_tPvRmT1_PNSt15iterator_traitsIS12_E10value_typeET2_T3_PNS13_IS18_E10value_typeET4_jRbjT5_S1E_jjP12ihipStream_tbEUljE_ZNSN_ISO_Lb1ESQ_SR_ST_SU_SY_EESZ_S10_S11_S12_S16_S17_S18_S1B_S1C_jS1D_jS1E_S1E_jjS1G_bEUljE0_EEESZ_S10_S11_S18_S1C_S1E_T6_T7_T9_mT8_S1G_bDpT10_ENKUlT_T0_E_clISt17integral_constantIbLb0EES1T_IbLb1EEEEDaS1P_S1Q_EUlS1P_E_NS1_11comp_targetILNS1_3genE0ELNS1_11target_archE4294967295ELNS1_3gpuE0ELNS1_3repE0EEENS1_30default_config_static_selectorELNS0_4arch9wavefront6targetE0EEEvS12_.has_recursion, 0
	.set _ZN7rocprim17ROCPRIM_400000_NS6detail17trampoline_kernelINS0_13select_configILj256ELj13ELNS0_17block_load_methodE3ELS4_3ELS4_3ELNS0_20block_scan_algorithmE0ELj4294967295EEENS1_25partition_config_selectorILNS1_17partition_subalgoE4EjNS0_10empty_typeEbEEZZNS1_14partition_implILS8_4ELb0ES6_15HIP_vector_typeIjLj2EENS0_17counting_iteratorIjlEEPS9_SG_NS0_5tupleIJPjSI_NS0_16reverse_iteratorISI_EEEEENSH_IJSG_SG_SG_EEES9_SI_JZNS1_25segmented_radix_sort_implINS0_14default_configELb1EPKsPsPKlPlN2at6native12_GLOBAL__N_18offset_tEEE10hipError_tPvRmT1_PNSt15iterator_traitsIS12_E10value_typeET2_T3_PNS13_IS18_E10value_typeET4_jRbjT5_S1E_jjP12ihipStream_tbEUljE_ZNSN_ISO_Lb1ESQ_SR_ST_SU_SY_EESZ_S10_S11_S12_S16_S17_S18_S1B_S1C_jS1D_jS1E_S1E_jjS1G_bEUljE0_EEESZ_S10_S11_S18_S1C_S1E_T6_T7_T9_mT8_S1G_bDpT10_ENKUlT_T0_E_clISt17integral_constantIbLb0EES1T_IbLb1EEEEDaS1P_S1Q_EUlS1P_E_NS1_11comp_targetILNS1_3genE0ELNS1_11target_archE4294967295ELNS1_3gpuE0ELNS1_3repE0EEENS1_30default_config_static_selectorELNS0_4arch9wavefront6targetE0EEEvS12_.has_indirect_call, 0
	.section	.AMDGPU.csdata,"",@progbits
; Kernel info:
; codeLenInByte = 0
; TotalNumSgprs: 0
; NumVgprs: 0
; ScratchSize: 0
; MemoryBound: 0
; FloatMode: 240
; IeeeMode: 1
; LDSByteSize: 0 bytes/workgroup (compile time only)
; SGPRBlocks: 0
; VGPRBlocks: 0
; NumSGPRsForWavesPerEU: 1
; NumVGPRsForWavesPerEU: 1
; Occupancy: 16
; WaveLimiterHint : 0
; COMPUTE_PGM_RSRC2:SCRATCH_EN: 0
; COMPUTE_PGM_RSRC2:USER_SGPR: 6
; COMPUTE_PGM_RSRC2:TRAP_HANDLER: 0
; COMPUTE_PGM_RSRC2:TGID_X_EN: 1
; COMPUTE_PGM_RSRC2:TGID_Y_EN: 0
; COMPUTE_PGM_RSRC2:TGID_Z_EN: 0
; COMPUTE_PGM_RSRC2:TIDIG_COMP_CNT: 0
	.section	.text._ZN7rocprim17ROCPRIM_400000_NS6detail17trampoline_kernelINS0_13select_configILj256ELj13ELNS0_17block_load_methodE3ELS4_3ELS4_3ELNS0_20block_scan_algorithmE0ELj4294967295EEENS1_25partition_config_selectorILNS1_17partition_subalgoE4EjNS0_10empty_typeEbEEZZNS1_14partition_implILS8_4ELb0ES6_15HIP_vector_typeIjLj2EENS0_17counting_iteratorIjlEEPS9_SG_NS0_5tupleIJPjSI_NS0_16reverse_iteratorISI_EEEEENSH_IJSG_SG_SG_EEES9_SI_JZNS1_25segmented_radix_sort_implINS0_14default_configELb1EPKsPsPKlPlN2at6native12_GLOBAL__N_18offset_tEEE10hipError_tPvRmT1_PNSt15iterator_traitsIS12_E10value_typeET2_T3_PNS13_IS18_E10value_typeET4_jRbjT5_S1E_jjP12ihipStream_tbEUljE_ZNSN_ISO_Lb1ESQ_SR_ST_SU_SY_EESZ_S10_S11_S12_S16_S17_S18_S1B_S1C_jS1D_jS1E_S1E_jjS1G_bEUljE0_EEESZ_S10_S11_S18_S1C_S1E_T6_T7_T9_mT8_S1G_bDpT10_ENKUlT_T0_E_clISt17integral_constantIbLb0EES1T_IbLb1EEEEDaS1P_S1Q_EUlS1P_E_NS1_11comp_targetILNS1_3genE5ELNS1_11target_archE942ELNS1_3gpuE9ELNS1_3repE0EEENS1_30default_config_static_selectorELNS0_4arch9wavefront6targetE0EEEvS12_,"axG",@progbits,_ZN7rocprim17ROCPRIM_400000_NS6detail17trampoline_kernelINS0_13select_configILj256ELj13ELNS0_17block_load_methodE3ELS4_3ELS4_3ELNS0_20block_scan_algorithmE0ELj4294967295EEENS1_25partition_config_selectorILNS1_17partition_subalgoE4EjNS0_10empty_typeEbEEZZNS1_14partition_implILS8_4ELb0ES6_15HIP_vector_typeIjLj2EENS0_17counting_iteratorIjlEEPS9_SG_NS0_5tupleIJPjSI_NS0_16reverse_iteratorISI_EEEEENSH_IJSG_SG_SG_EEES9_SI_JZNS1_25segmented_radix_sort_implINS0_14default_configELb1EPKsPsPKlPlN2at6native12_GLOBAL__N_18offset_tEEE10hipError_tPvRmT1_PNSt15iterator_traitsIS12_E10value_typeET2_T3_PNS13_IS18_E10value_typeET4_jRbjT5_S1E_jjP12ihipStream_tbEUljE_ZNSN_ISO_Lb1ESQ_SR_ST_SU_SY_EESZ_S10_S11_S12_S16_S17_S18_S1B_S1C_jS1D_jS1E_S1E_jjS1G_bEUljE0_EEESZ_S10_S11_S18_S1C_S1E_T6_T7_T9_mT8_S1G_bDpT10_ENKUlT_T0_E_clISt17integral_constantIbLb0EES1T_IbLb1EEEEDaS1P_S1Q_EUlS1P_E_NS1_11comp_targetILNS1_3genE5ELNS1_11target_archE942ELNS1_3gpuE9ELNS1_3repE0EEENS1_30default_config_static_selectorELNS0_4arch9wavefront6targetE0EEEvS12_,comdat
	.globl	_ZN7rocprim17ROCPRIM_400000_NS6detail17trampoline_kernelINS0_13select_configILj256ELj13ELNS0_17block_load_methodE3ELS4_3ELS4_3ELNS0_20block_scan_algorithmE0ELj4294967295EEENS1_25partition_config_selectorILNS1_17partition_subalgoE4EjNS0_10empty_typeEbEEZZNS1_14partition_implILS8_4ELb0ES6_15HIP_vector_typeIjLj2EENS0_17counting_iteratorIjlEEPS9_SG_NS0_5tupleIJPjSI_NS0_16reverse_iteratorISI_EEEEENSH_IJSG_SG_SG_EEES9_SI_JZNS1_25segmented_radix_sort_implINS0_14default_configELb1EPKsPsPKlPlN2at6native12_GLOBAL__N_18offset_tEEE10hipError_tPvRmT1_PNSt15iterator_traitsIS12_E10value_typeET2_T3_PNS13_IS18_E10value_typeET4_jRbjT5_S1E_jjP12ihipStream_tbEUljE_ZNSN_ISO_Lb1ESQ_SR_ST_SU_SY_EESZ_S10_S11_S12_S16_S17_S18_S1B_S1C_jS1D_jS1E_S1E_jjS1G_bEUljE0_EEESZ_S10_S11_S18_S1C_S1E_T6_T7_T9_mT8_S1G_bDpT10_ENKUlT_T0_E_clISt17integral_constantIbLb0EES1T_IbLb1EEEEDaS1P_S1Q_EUlS1P_E_NS1_11comp_targetILNS1_3genE5ELNS1_11target_archE942ELNS1_3gpuE9ELNS1_3repE0EEENS1_30default_config_static_selectorELNS0_4arch9wavefront6targetE0EEEvS12_ ; -- Begin function _ZN7rocprim17ROCPRIM_400000_NS6detail17trampoline_kernelINS0_13select_configILj256ELj13ELNS0_17block_load_methodE3ELS4_3ELS4_3ELNS0_20block_scan_algorithmE0ELj4294967295EEENS1_25partition_config_selectorILNS1_17partition_subalgoE4EjNS0_10empty_typeEbEEZZNS1_14partition_implILS8_4ELb0ES6_15HIP_vector_typeIjLj2EENS0_17counting_iteratorIjlEEPS9_SG_NS0_5tupleIJPjSI_NS0_16reverse_iteratorISI_EEEEENSH_IJSG_SG_SG_EEES9_SI_JZNS1_25segmented_radix_sort_implINS0_14default_configELb1EPKsPsPKlPlN2at6native12_GLOBAL__N_18offset_tEEE10hipError_tPvRmT1_PNSt15iterator_traitsIS12_E10value_typeET2_T3_PNS13_IS18_E10value_typeET4_jRbjT5_S1E_jjP12ihipStream_tbEUljE_ZNSN_ISO_Lb1ESQ_SR_ST_SU_SY_EESZ_S10_S11_S12_S16_S17_S18_S1B_S1C_jS1D_jS1E_S1E_jjS1G_bEUljE0_EEESZ_S10_S11_S18_S1C_S1E_T6_T7_T9_mT8_S1G_bDpT10_ENKUlT_T0_E_clISt17integral_constantIbLb0EES1T_IbLb1EEEEDaS1P_S1Q_EUlS1P_E_NS1_11comp_targetILNS1_3genE5ELNS1_11target_archE942ELNS1_3gpuE9ELNS1_3repE0EEENS1_30default_config_static_selectorELNS0_4arch9wavefront6targetE0EEEvS12_
	.p2align	8
	.type	_ZN7rocprim17ROCPRIM_400000_NS6detail17trampoline_kernelINS0_13select_configILj256ELj13ELNS0_17block_load_methodE3ELS4_3ELS4_3ELNS0_20block_scan_algorithmE0ELj4294967295EEENS1_25partition_config_selectorILNS1_17partition_subalgoE4EjNS0_10empty_typeEbEEZZNS1_14partition_implILS8_4ELb0ES6_15HIP_vector_typeIjLj2EENS0_17counting_iteratorIjlEEPS9_SG_NS0_5tupleIJPjSI_NS0_16reverse_iteratorISI_EEEEENSH_IJSG_SG_SG_EEES9_SI_JZNS1_25segmented_radix_sort_implINS0_14default_configELb1EPKsPsPKlPlN2at6native12_GLOBAL__N_18offset_tEEE10hipError_tPvRmT1_PNSt15iterator_traitsIS12_E10value_typeET2_T3_PNS13_IS18_E10value_typeET4_jRbjT5_S1E_jjP12ihipStream_tbEUljE_ZNSN_ISO_Lb1ESQ_SR_ST_SU_SY_EESZ_S10_S11_S12_S16_S17_S18_S1B_S1C_jS1D_jS1E_S1E_jjS1G_bEUljE0_EEESZ_S10_S11_S18_S1C_S1E_T6_T7_T9_mT8_S1G_bDpT10_ENKUlT_T0_E_clISt17integral_constantIbLb0EES1T_IbLb1EEEEDaS1P_S1Q_EUlS1P_E_NS1_11comp_targetILNS1_3genE5ELNS1_11target_archE942ELNS1_3gpuE9ELNS1_3repE0EEENS1_30default_config_static_selectorELNS0_4arch9wavefront6targetE0EEEvS12_,@function
_ZN7rocprim17ROCPRIM_400000_NS6detail17trampoline_kernelINS0_13select_configILj256ELj13ELNS0_17block_load_methodE3ELS4_3ELS4_3ELNS0_20block_scan_algorithmE0ELj4294967295EEENS1_25partition_config_selectorILNS1_17partition_subalgoE4EjNS0_10empty_typeEbEEZZNS1_14partition_implILS8_4ELb0ES6_15HIP_vector_typeIjLj2EENS0_17counting_iteratorIjlEEPS9_SG_NS0_5tupleIJPjSI_NS0_16reverse_iteratorISI_EEEEENSH_IJSG_SG_SG_EEES9_SI_JZNS1_25segmented_radix_sort_implINS0_14default_configELb1EPKsPsPKlPlN2at6native12_GLOBAL__N_18offset_tEEE10hipError_tPvRmT1_PNSt15iterator_traitsIS12_E10value_typeET2_T3_PNS13_IS18_E10value_typeET4_jRbjT5_S1E_jjP12ihipStream_tbEUljE_ZNSN_ISO_Lb1ESQ_SR_ST_SU_SY_EESZ_S10_S11_S12_S16_S17_S18_S1B_S1C_jS1D_jS1E_S1E_jjS1G_bEUljE0_EEESZ_S10_S11_S18_S1C_S1E_T6_T7_T9_mT8_S1G_bDpT10_ENKUlT_T0_E_clISt17integral_constantIbLb0EES1T_IbLb1EEEEDaS1P_S1Q_EUlS1P_E_NS1_11comp_targetILNS1_3genE5ELNS1_11target_archE942ELNS1_3gpuE9ELNS1_3repE0EEENS1_30default_config_static_selectorELNS0_4arch9wavefront6targetE0EEEvS12_: ; @_ZN7rocprim17ROCPRIM_400000_NS6detail17trampoline_kernelINS0_13select_configILj256ELj13ELNS0_17block_load_methodE3ELS4_3ELS4_3ELNS0_20block_scan_algorithmE0ELj4294967295EEENS1_25partition_config_selectorILNS1_17partition_subalgoE4EjNS0_10empty_typeEbEEZZNS1_14partition_implILS8_4ELb0ES6_15HIP_vector_typeIjLj2EENS0_17counting_iteratorIjlEEPS9_SG_NS0_5tupleIJPjSI_NS0_16reverse_iteratorISI_EEEEENSH_IJSG_SG_SG_EEES9_SI_JZNS1_25segmented_radix_sort_implINS0_14default_configELb1EPKsPsPKlPlN2at6native12_GLOBAL__N_18offset_tEEE10hipError_tPvRmT1_PNSt15iterator_traitsIS12_E10value_typeET2_T3_PNS13_IS18_E10value_typeET4_jRbjT5_S1E_jjP12ihipStream_tbEUljE_ZNSN_ISO_Lb1ESQ_SR_ST_SU_SY_EESZ_S10_S11_S12_S16_S17_S18_S1B_S1C_jS1D_jS1E_S1E_jjS1G_bEUljE0_EEESZ_S10_S11_S18_S1C_S1E_T6_T7_T9_mT8_S1G_bDpT10_ENKUlT_T0_E_clISt17integral_constantIbLb0EES1T_IbLb1EEEEDaS1P_S1Q_EUlS1P_E_NS1_11comp_targetILNS1_3genE5ELNS1_11target_archE942ELNS1_3gpuE9ELNS1_3repE0EEENS1_30default_config_static_selectorELNS0_4arch9wavefront6targetE0EEEvS12_
; %bb.0:
	.section	.rodata,"a",@progbits
	.p2align	6, 0x0
	.amdhsa_kernel _ZN7rocprim17ROCPRIM_400000_NS6detail17trampoline_kernelINS0_13select_configILj256ELj13ELNS0_17block_load_methodE3ELS4_3ELS4_3ELNS0_20block_scan_algorithmE0ELj4294967295EEENS1_25partition_config_selectorILNS1_17partition_subalgoE4EjNS0_10empty_typeEbEEZZNS1_14partition_implILS8_4ELb0ES6_15HIP_vector_typeIjLj2EENS0_17counting_iteratorIjlEEPS9_SG_NS0_5tupleIJPjSI_NS0_16reverse_iteratorISI_EEEEENSH_IJSG_SG_SG_EEES9_SI_JZNS1_25segmented_radix_sort_implINS0_14default_configELb1EPKsPsPKlPlN2at6native12_GLOBAL__N_18offset_tEEE10hipError_tPvRmT1_PNSt15iterator_traitsIS12_E10value_typeET2_T3_PNS13_IS18_E10value_typeET4_jRbjT5_S1E_jjP12ihipStream_tbEUljE_ZNSN_ISO_Lb1ESQ_SR_ST_SU_SY_EESZ_S10_S11_S12_S16_S17_S18_S1B_S1C_jS1D_jS1E_S1E_jjS1G_bEUljE0_EEESZ_S10_S11_S18_S1C_S1E_T6_T7_T9_mT8_S1G_bDpT10_ENKUlT_T0_E_clISt17integral_constantIbLb0EES1T_IbLb1EEEEDaS1P_S1Q_EUlS1P_E_NS1_11comp_targetILNS1_3genE5ELNS1_11target_archE942ELNS1_3gpuE9ELNS1_3repE0EEENS1_30default_config_static_selectorELNS0_4arch9wavefront6targetE0EEEvS12_
		.amdhsa_group_segment_fixed_size 0
		.amdhsa_private_segment_fixed_size 0
		.amdhsa_kernarg_size 184
		.amdhsa_user_sgpr_count 6
		.amdhsa_user_sgpr_private_segment_buffer 1
		.amdhsa_user_sgpr_dispatch_ptr 0
		.amdhsa_user_sgpr_queue_ptr 0
		.amdhsa_user_sgpr_kernarg_segment_ptr 1
		.amdhsa_user_sgpr_dispatch_id 0
		.amdhsa_user_sgpr_flat_scratch_init 0
		.amdhsa_user_sgpr_private_segment_size 0
		.amdhsa_wavefront_size32 1
		.amdhsa_uses_dynamic_stack 0
		.amdhsa_system_sgpr_private_segment_wavefront_offset 0
		.amdhsa_system_sgpr_workgroup_id_x 1
		.amdhsa_system_sgpr_workgroup_id_y 0
		.amdhsa_system_sgpr_workgroup_id_z 0
		.amdhsa_system_sgpr_workgroup_info 0
		.amdhsa_system_vgpr_workitem_id 0
		.amdhsa_next_free_vgpr 1
		.amdhsa_next_free_sgpr 1
		.amdhsa_reserve_vcc 0
		.amdhsa_reserve_flat_scratch 0
		.amdhsa_float_round_mode_32 0
		.amdhsa_float_round_mode_16_64 0
		.amdhsa_float_denorm_mode_32 3
		.amdhsa_float_denorm_mode_16_64 3
		.amdhsa_dx10_clamp 1
		.amdhsa_ieee_mode 1
		.amdhsa_fp16_overflow 0
		.amdhsa_workgroup_processor_mode 1
		.amdhsa_memory_ordered 1
		.amdhsa_forward_progress 1
		.amdhsa_shared_vgpr_count 0
		.amdhsa_exception_fp_ieee_invalid_op 0
		.amdhsa_exception_fp_denorm_src 0
		.amdhsa_exception_fp_ieee_div_zero 0
		.amdhsa_exception_fp_ieee_overflow 0
		.amdhsa_exception_fp_ieee_underflow 0
		.amdhsa_exception_fp_ieee_inexact 0
		.amdhsa_exception_int_div_zero 0
	.end_amdhsa_kernel
	.section	.text._ZN7rocprim17ROCPRIM_400000_NS6detail17trampoline_kernelINS0_13select_configILj256ELj13ELNS0_17block_load_methodE3ELS4_3ELS4_3ELNS0_20block_scan_algorithmE0ELj4294967295EEENS1_25partition_config_selectorILNS1_17partition_subalgoE4EjNS0_10empty_typeEbEEZZNS1_14partition_implILS8_4ELb0ES6_15HIP_vector_typeIjLj2EENS0_17counting_iteratorIjlEEPS9_SG_NS0_5tupleIJPjSI_NS0_16reverse_iteratorISI_EEEEENSH_IJSG_SG_SG_EEES9_SI_JZNS1_25segmented_radix_sort_implINS0_14default_configELb1EPKsPsPKlPlN2at6native12_GLOBAL__N_18offset_tEEE10hipError_tPvRmT1_PNSt15iterator_traitsIS12_E10value_typeET2_T3_PNS13_IS18_E10value_typeET4_jRbjT5_S1E_jjP12ihipStream_tbEUljE_ZNSN_ISO_Lb1ESQ_SR_ST_SU_SY_EESZ_S10_S11_S12_S16_S17_S18_S1B_S1C_jS1D_jS1E_S1E_jjS1G_bEUljE0_EEESZ_S10_S11_S18_S1C_S1E_T6_T7_T9_mT8_S1G_bDpT10_ENKUlT_T0_E_clISt17integral_constantIbLb0EES1T_IbLb1EEEEDaS1P_S1Q_EUlS1P_E_NS1_11comp_targetILNS1_3genE5ELNS1_11target_archE942ELNS1_3gpuE9ELNS1_3repE0EEENS1_30default_config_static_selectorELNS0_4arch9wavefront6targetE0EEEvS12_,"axG",@progbits,_ZN7rocprim17ROCPRIM_400000_NS6detail17trampoline_kernelINS0_13select_configILj256ELj13ELNS0_17block_load_methodE3ELS4_3ELS4_3ELNS0_20block_scan_algorithmE0ELj4294967295EEENS1_25partition_config_selectorILNS1_17partition_subalgoE4EjNS0_10empty_typeEbEEZZNS1_14partition_implILS8_4ELb0ES6_15HIP_vector_typeIjLj2EENS0_17counting_iteratorIjlEEPS9_SG_NS0_5tupleIJPjSI_NS0_16reverse_iteratorISI_EEEEENSH_IJSG_SG_SG_EEES9_SI_JZNS1_25segmented_radix_sort_implINS0_14default_configELb1EPKsPsPKlPlN2at6native12_GLOBAL__N_18offset_tEEE10hipError_tPvRmT1_PNSt15iterator_traitsIS12_E10value_typeET2_T3_PNS13_IS18_E10value_typeET4_jRbjT5_S1E_jjP12ihipStream_tbEUljE_ZNSN_ISO_Lb1ESQ_SR_ST_SU_SY_EESZ_S10_S11_S12_S16_S17_S18_S1B_S1C_jS1D_jS1E_S1E_jjS1G_bEUljE0_EEESZ_S10_S11_S18_S1C_S1E_T6_T7_T9_mT8_S1G_bDpT10_ENKUlT_T0_E_clISt17integral_constantIbLb0EES1T_IbLb1EEEEDaS1P_S1Q_EUlS1P_E_NS1_11comp_targetILNS1_3genE5ELNS1_11target_archE942ELNS1_3gpuE9ELNS1_3repE0EEENS1_30default_config_static_selectorELNS0_4arch9wavefront6targetE0EEEvS12_,comdat
.Lfunc_end866:
	.size	_ZN7rocprim17ROCPRIM_400000_NS6detail17trampoline_kernelINS0_13select_configILj256ELj13ELNS0_17block_load_methodE3ELS4_3ELS4_3ELNS0_20block_scan_algorithmE0ELj4294967295EEENS1_25partition_config_selectorILNS1_17partition_subalgoE4EjNS0_10empty_typeEbEEZZNS1_14partition_implILS8_4ELb0ES6_15HIP_vector_typeIjLj2EENS0_17counting_iteratorIjlEEPS9_SG_NS0_5tupleIJPjSI_NS0_16reverse_iteratorISI_EEEEENSH_IJSG_SG_SG_EEES9_SI_JZNS1_25segmented_radix_sort_implINS0_14default_configELb1EPKsPsPKlPlN2at6native12_GLOBAL__N_18offset_tEEE10hipError_tPvRmT1_PNSt15iterator_traitsIS12_E10value_typeET2_T3_PNS13_IS18_E10value_typeET4_jRbjT5_S1E_jjP12ihipStream_tbEUljE_ZNSN_ISO_Lb1ESQ_SR_ST_SU_SY_EESZ_S10_S11_S12_S16_S17_S18_S1B_S1C_jS1D_jS1E_S1E_jjS1G_bEUljE0_EEESZ_S10_S11_S18_S1C_S1E_T6_T7_T9_mT8_S1G_bDpT10_ENKUlT_T0_E_clISt17integral_constantIbLb0EES1T_IbLb1EEEEDaS1P_S1Q_EUlS1P_E_NS1_11comp_targetILNS1_3genE5ELNS1_11target_archE942ELNS1_3gpuE9ELNS1_3repE0EEENS1_30default_config_static_selectorELNS0_4arch9wavefront6targetE0EEEvS12_, .Lfunc_end866-_ZN7rocprim17ROCPRIM_400000_NS6detail17trampoline_kernelINS0_13select_configILj256ELj13ELNS0_17block_load_methodE3ELS4_3ELS4_3ELNS0_20block_scan_algorithmE0ELj4294967295EEENS1_25partition_config_selectorILNS1_17partition_subalgoE4EjNS0_10empty_typeEbEEZZNS1_14partition_implILS8_4ELb0ES6_15HIP_vector_typeIjLj2EENS0_17counting_iteratorIjlEEPS9_SG_NS0_5tupleIJPjSI_NS0_16reverse_iteratorISI_EEEEENSH_IJSG_SG_SG_EEES9_SI_JZNS1_25segmented_radix_sort_implINS0_14default_configELb1EPKsPsPKlPlN2at6native12_GLOBAL__N_18offset_tEEE10hipError_tPvRmT1_PNSt15iterator_traitsIS12_E10value_typeET2_T3_PNS13_IS18_E10value_typeET4_jRbjT5_S1E_jjP12ihipStream_tbEUljE_ZNSN_ISO_Lb1ESQ_SR_ST_SU_SY_EESZ_S10_S11_S12_S16_S17_S18_S1B_S1C_jS1D_jS1E_S1E_jjS1G_bEUljE0_EEESZ_S10_S11_S18_S1C_S1E_T6_T7_T9_mT8_S1G_bDpT10_ENKUlT_T0_E_clISt17integral_constantIbLb0EES1T_IbLb1EEEEDaS1P_S1Q_EUlS1P_E_NS1_11comp_targetILNS1_3genE5ELNS1_11target_archE942ELNS1_3gpuE9ELNS1_3repE0EEENS1_30default_config_static_selectorELNS0_4arch9wavefront6targetE0EEEvS12_
                                        ; -- End function
	.set _ZN7rocprim17ROCPRIM_400000_NS6detail17trampoline_kernelINS0_13select_configILj256ELj13ELNS0_17block_load_methodE3ELS4_3ELS4_3ELNS0_20block_scan_algorithmE0ELj4294967295EEENS1_25partition_config_selectorILNS1_17partition_subalgoE4EjNS0_10empty_typeEbEEZZNS1_14partition_implILS8_4ELb0ES6_15HIP_vector_typeIjLj2EENS0_17counting_iteratorIjlEEPS9_SG_NS0_5tupleIJPjSI_NS0_16reverse_iteratorISI_EEEEENSH_IJSG_SG_SG_EEES9_SI_JZNS1_25segmented_radix_sort_implINS0_14default_configELb1EPKsPsPKlPlN2at6native12_GLOBAL__N_18offset_tEEE10hipError_tPvRmT1_PNSt15iterator_traitsIS12_E10value_typeET2_T3_PNS13_IS18_E10value_typeET4_jRbjT5_S1E_jjP12ihipStream_tbEUljE_ZNSN_ISO_Lb1ESQ_SR_ST_SU_SY_EESZ_S10_S11_S12_S16_S17_S18_S1B_S1C_jS1D_jS1E_S1E_jjS1G_bEUljE0_EEESZ_S10_S11_S18_S1C_S1E_T6_T7_T9_mT8_S1G_bDpT10_ENKUlT_T0_E_clISt17integral_constantIbLb0EES1T_IbLb1EEEEDaS1P_S1Q_EUlS1P_E_NS1_11comp_targetILNS1_3genE5ELNS1_11target_archE942ELNS1_3gpuE9ELNS1_3repE0EEENS1_30default_config_static_selectorELNS0_4arch9wavefront6targetE0EEEvS12_.num_vgpr, 0
	.set _ZN7rocprim17ROCPRIM_400000_NS6detail17trampoline_kernelINS0_13select_configILj256ELj13ELNS0_17block_load_methodE3ELS4_3ELS4_3ELNS0_20block_scan_algorithmE0ELj4294967295EEENS1_25partition_config_selectorILNS1_17partition_subalgoE4EjNS0_10empty_typeEbEEZZNS1_14partition_implILS8_4ELb0ES6_15HIP_vector_typeIjLj2EENS0_17counting_iteratorIjlEEPS9_SG_NS0_5tupleIJPjSI_NS0_16reverse_iteratorISI_EEEEENSH_IJSG_SG_SG_EEES9_SI_JZNS1_25segmented_radix_sort_implINS0_14default_configELb1EPKsPsPKlPlN2at6native12_GLOBAL__N_18offset_tEEE10hipError_tPvRmT1_PNSt15iterator_traitsIS12_E10value_typeET2_T3_PNS13_IS18_E10value_typeET4_jRbjT5_S1E_jjP12ihipStream_tbEUljE_ZNSN_ISO_Lb1ESQ_SR_ST_SU_SY_EESZ_S10_S11_S12_S16_S17_S18_S1B_S1C_jS1D_jS1E_S1E_jjS1G_bEUljE0_EEESZ_S10_S11_S18_S1C_S1E_T6_T7_T9_mT8_S1G_bDpT10_ENKUlT_T0_E_clISt17integral_constantIbLb0EES1T_IbLb1EEEEDaS1P_S1Q_EUlS1P_E_NS1_11comp_targetILNS1_3genE5ELNS1_11target_archE942ELNS1_3gpuE9ELNS1_3repE0EEENS1_30default_config_static_selectorELNS0_4arch9wavefront6targetE0EEEvS12_.num_agpr, 0
	.set _ZN7rocprim17ROCPRIM_400000_NS6detail17trampoline_kernelINS0_13select_configILj256ELj13ELNS0_17block_load_methodE3ELS4_3ELS4_3ELNS0_20block_scan_algorithmE0ELj4294967295EEENS1_25partition_config_selectorILNS1_17partition_subalgoE4EjNS0_10empty_typeEbEEZZNS1_14partition_implILS8_4ELb0ES6_15HIP_vector_typeIjLj2EENS0_17counting_iteratorIjlEEPS9_SG_NS0_5tupleIJPjSI_NS0_16reverse_iteratorISI_EEEEENSH_IJSG_SG_SG_EEES9_SI_JZNS1_25segmented_radix_sort_implINS0_14default_configELb1EPKsPsPKlPlN2at6native12_GLOBAL__N_18offset_tEEE10hipError_tPvRmT1_PNSt15iterator_traitsIS12_E10value_typeET2_T3_PNS13_IS18_E10value_typeET4_jRbjT5_S1E_jjP12ihipStream_tbEUljE_ZNSN_ISO_Lb1ESQ_SR_ST_SU_SY_EESZ_S10_S11_S12_S16_S17_S18_S1B_S1C_jS1D_jS1E_S1E_jjS1G_bEUljE0_EEESZ_S10_S11_S18_S1C_S1E_T6_T7_T9_mT8_S1G_bDpT10_ENKUlT_T0_E_clISt17integral_constantIbLb0EES1T_IbLb1EEEEDaS1P_S1Q_EUlS1P_E_NS1_11comp_targetILNS1_3genE5ELNS1_11target_archE942ELNS1_3gpuE9ELNS1_3repE0EEENS1_30default_config_static_selectorELNS0_4arch9wavefront6targetE0EEEvS12_.numbered_sgpr, 0
	.set _ZN7rocprim17ROCPRIM_400000_NS6detail17trampoline_kernelINS0_13select_configILj256ELj13ELNS0_17block_load_methodE3ELS4_3ELS4_3ELNS0_20block_scan_algorithmE0ELj4294967295EEENS1_25partition_config_selectorILNS1_17partition_subalgoE4EjNS0_10empty_typeEbEEZZNS1_14partition_implILS8_4ELb0ES6_15HIP_vector_typeIjLj2EENS0_17counting_iteratorIjlEEPS9_SG_NS0_5tupleIJPjSI_NS0_16reverse_iteratorISI_EEEEENSH_IJSG_SG_SG_EEES9_SI_JZNS1_25segmented_radix_sort_implINS0_14default_configELb1EPKsPsPKlPlN2at6native12_GLOBAL__N_18offset_tEEE10hipError_tPvRmT1_PNSt15iterator_traitsIS12_E10value_typeET2_T3_PNS13_IS18_E10value_typeET4_jRbjT5_S1E_jjP12ihipStream_tbEUljE_ZNSN_ISO_Lb1ESQ_SR_ST_SU_SY_EESZ_S10_S11_S12_S16_S17_S18_S1B_S1C_jS1D_jS1E_S1E_jjS1G_bEUljE0_EEESZ_S10_S11_S18_S1C_S1E_T6_T7_T9_mT8_S1G_bDpT10_ENKUlT_T0_E_clISt17integral_constantIbLb0EES1T_IbLb1EEEEDaS1P_S1Q_EUlS1P_E_NS1_11comp_targetILNS1_3genE5ELNS1_11target_archE942ELNS1_3gpuE9ELNS1_3repE0EEENS1_30default_config_static_selectorELNS0_4arch9wavefront6targetE0EEEvS12_.num_named_barrier, 0
	.set _ZN7rocprim17ROCPRIM_400000_NS6detail17trampoline_kernelINS0_13select_configILj256ELj13ELNS0_17block_load_methodE3ELS4_3ELS4_3ELNS0_20block_scan_algorithmE0ELj4294967295EEENS1_25partition_config_selectorILNS1_17partition_subalgoE4EjNS0_10empty_typeEbEEZZNS1_14partition_implILS8_4ELb0ES6_15HIP_vector_typeIjLj2EENS0_17counting_iteratorIjlEEPS9_SG_NS0_5tupleIJPjSI_NS0_16reverse_iteratorISI_EEEEENSH_IJSG_SG_SG_EEES9_SI_JZNS1_25segmented_radix_sort_implINS0_14default_configELb1EPKsPsPKlPlN2at6native12_GLOBAL__N_18offset_tEEE10hipError_tPvRmT1_PNSt15iterator_traitsIS12_E10value_typeET2_T3_PNS13_IS18_E10value_typeET4_jRbjT5_S1E_jjP12ihipStream_tbEUljE_ZNSN_ISO_Lb1ESQ_SR_ST_SU_SY_EESZ_S10_S11_S12_S16_S17_S18_S1B_S1C_jS1D_jS1E_S1E_jjS1G_bEUljE0_EEESZ_S10_S11_S18_S1C_S1E_T6_T7_T9_mT8_S1G_bDpT10_ENKUlT_T0_E_clISt17integral_constantIbLb0EES1T_IbLb1EEEEDaS1P_S1Q_EUlS1P_E_NS1_11comp_targetILNS1_3genE5ELNS1_11target_archE942ELNS1_3gpuE9ELNS1_3repE0EEENS1_30default_config_static_selectorELNS0_4arch9wavefront6targetE0EEEvS12_.private_seg_size, 0
	.set _ZN7rocprim17ROCPRIM_400000_NS6detail17trampoline_kernelINS0_13select_configILj256ELj13ELNS0_17block_load_methodE3ELS4_3ELS4_3ELNS0_20block_scan_algorithmE0ELj4294967295EEENS1_25partition_config_selectorILNS1_17partition_subalgoE4EjNS0_10empty_typeEbEEZZNS1_14partition_implILS8_4ELb0ES6_15HIP_vector_typeIjLj2EENS0_17counting_iteratorIjlEEPS9_SG_NS0_5tupleIJPjSI_NS0_16reverse_iteratorISI_EEEEENSH_IJSG_SG_SG_EEES9_SI_JZNS1_25segmented_radix_sort_implINS0_14default_configELb1EPKsPsPKlPlN2at6native12_GLOBAL__N_18offset_tEEE10hipError_tPvRmT1_PNSt15iterator_traitsIS12_E10value_typeET2_T3_PNS13_IS18_E10value_typeET4_jRbjT5_S1E_jjP12ihipStream_tbEUljE_ZNSN_ISO_Lb1ESQ_SR_ST_SU_SY_EESZ_S10_S11_S12_S16_S17_S18_S1B_S1C_jS1D_jS1E_S1E_jjS1G_bEUljE0_EEESZ_S10_S11_S18_S1C_S1E_T6_T7_T9_mT8_S1G_bDpT10_ENKUlT_T0_E_clISt17integral_constantIbLb0EES1T_IbLb1EEEEDaS1P_S1Q_EUlS1P_E_NS1_11comp_targetILNS1_3genE5ELNS1_11target_archE942ELNS1_3gpuE9ELNS1_3repE0EEENS1_30default_config_static_selectorELNS0_4arch9wavefront6targetE0EEEvS12_.uses_vcc, 0
	.set _ZN7rocprim17ROCPRIM_400000_NS6detail17trampoline_kernelINS0_13select_configILj256ELj13ELNS0_17block_load_methodE3ELS4_3ELS4_3ELNS0_20block_scan_algorithmE0ELj4294967295EEENS1_25partition_config_selectorILNS1_17partition_subalgoE4EjNS0_10empty_typeEbEEZZNS1_14partition_implILS8_4ELb0ES6_15HIP_vector_typeIjLj2EENS0_17counting_iteratorIjlEEPS9_SG_NS0_5tupleIJPjSI_NS0_16reverse_iteratorISI_EEEEENSH_IJSG_SG_SG_EEES9_SI_JZNS1_25segmented_radix_sort_implINS0_14default_configELb1EPKsPsPKlPlN2at6native12_GLOBAL__N_18offset_tEEE10hipError_tPvRmT1_PNSt15iterator_traitsIS12_E10value_typeET2_T3_PNS13_IS18_E10value_typeET4_jRbjT5_S1E_jjP12ihipStream_tbEUljE_ZNSN_ISO_Lb1ESQ_SR_ST_SU_SY_EESZ_S10_S11_S12_S16_S17_S18_S1B_S1C_jS1D_jS1E_S1E_jjS1G_bEUljE0_EEESZ_S10_S11_S18_S1C_S1E_T6_T7_T9_mT8_S1G_bDpT10_ENKUlT_T0_E_clISt17integral_constantIbLb0EES1T_IbLb1EEEEDaS1P_S1Q_EUlS1P_E_NS1_11comp_targetILNS1_3genE5ELNS1_11target_archE942ELNS1_3gpuE9ELNS1_3repE0EEENS1_30default_config_static_selectorELNS0_4arch9wavefront6targetE0EEEvS12_.uses_flat_scratch, 0
	.set _ZN7rocprim17ROCPRIM_400000_NS6detail17trampoline_kernelINS0_13select_configILj256ELj13ELNS0_17block_load_methodE3ELS4_3ELS4_3ELNS0_20block_scan_algorithmE0ELj4294967295EEENS1_25partition_config_selectorILNS1_17partition_subalgoE4EjNS0_10empty_typeEbEEZZNS1_14partition_implILS8_4ELb0ES6_15HIP_vector_typeIjLj2EENS0_17counting_iteratorIjlEEPS9_SG_NS0_5tupleIJPjSI_NS0_16reverse_iteratorISI_EEEEENSH_IJSG_SG_SG_EEES9_SI_JZNS1_25segmented_radix_sort_implINS0_14default_configELb1EPKsPsPKlPlN2at6native12_GLOBAL__N_18offset_tEEE10hipError_tPvRmT1_PNSt15iterator_traitsIS12_E10value_typeET2_T3_PNS13_IS18_E10value_typeET4_jRbjT5_S1E_jjP12ihipStream_tbEUljE_ZNSN_ISO_Lb1ESQ_SR_ST_SU_SY_EESZ_S10_S11_S12_S16_S17_S18_S1B_S1C_jS1D_jS1E_S1E_jjS1G_bEUljE0_EEESZ_S10_S11_S18_S1C_S1E_T6_T7_T9_mT8_S1G_bDpT10_ENKUlT_T0_E_clISt17integral_constantIbLb0EES1T_IbLb1EEEEDaS1P_S1Q_EUlS1P_E_NS1_11comp_targetILNS1_3genE5ELNS1_11target_archE942ELNS1_3gpuE9ELNS1_3repE0EEENS1_30default_config_static_selectorELNS0_4arch9wavefront6targetE0EEEvS12_.has_dyn_sized_stack, 0
	.set _ZN7rocprim17ROCPRIM_400000_NS6detail17trampoline_kernelINS0_13select_configILj256ELj13ELNS0_17block_load_methodE3ELS4_3ELS4_3ELNS0_20block_scan_algorithmE0ELj4294967295EEENS1_25partition_config_selectorILNS1_17partition_subalgoE4EjNS0_10empty_typeEbEEZZNS1_14partition_implILS8_4ELb0ES6_15HIP_vector_typeIjLj2EENS0_17counting_iteratorIjlEEPS9_SG_NS0_5tupleIJPjSI_NS0_16reverse_iteratorISI_EEEEENSH_IJSG_SG_SG_EEES9_SI_JZNS1_25segmented_radix_sort_implINS0_14default_configELb1EPKsPsPKlPlN2at6native12_GLOBAL__N_18offset_tEEE10hipError_tPvRmT1_PNSt15iterator_traitsIS12_E10value_typeET2_T3_PNS13_IS18_E10value_typeET4_jRbjT5_S1E_jjP12ihipStream_tbEUljE_ZNSN_ISO_Lb1ESQ_SR_ST_SU_SY_EESZ_S10_S11_S12_S16_S17_S18_S1B_S1C_jS1D_jS1E_S1E_jjS1G_bEUljE0_EEESZ_S10_S11_S18_S1C_S1E_T6_T7_T9_mT8_S1G_bDpT10_ENKUlT_T0_E_clISt17integral_constantIbLb0EES1T_IbLb1EEEEDaS1P_S1Q_EUlS1P_E_NS1_11comp_targetILNS1_3genE5ELNS1_11target_archE942ELNS1_3gpuE9ELNS1_3repE0EEENS1_30default_config_static_selectorELNS0_4arch9wavefront6targetE0EEEvS12_.has_recursion, 0
	.set _ZN7rocprim17ROCPRIM_400000_NS6detail17trampoline_kernelINS0_13select_configILj256ELj13ELNS0_17block_load_methodE3ELS4_3ELS4_3ELNS0_20block_scan_algorithmE0ELj4294967295EEENS1_25partition_config_selectorILNS1_17partition_subalgoE4EjNS0_10empty_typeEbEEZZNS1_14partition_implILS8_4ELb0ES6_15HIP_vector_typeIjLj2EENS0_17counting_iteratorIjlEEPS9_SG_NS0_5tupleIJPjSI_NS0_16reverse_iteratorISI_EEEEENSH_IJSG_SG_SG_EEES9_SI_JZNS1_25segmented_radix_sort_implINS0_14default_configELb1EPKsPsPKlPlN2at6native12_GLOBAL__N_18offset_tEEE10hipError_tPvRmT1_PNSt15iterator_traitsIS12_E10value_typeET2_T3_PNS13_IS18_E10value_typeET4_jRbjT5_S1E_jjP12ihipStream_tbEUljE_ZNSN_ISO_Lb1ESQ_SR_ST_SU_SY_EESZ_S10_S11_S12_S16_S17_S18_S1B_S1C_jS1D_jS1E_S1E_jjS1G_bEUljE0_EEESZ_S10_S11_S18_S1C_S1E_T6_T7_T9_mT8_S1G_bDpT10_ENKUlT_T0_E_clISt17integral_constantIbLb0EES1T_IbLb1EEEEDaS1P_S1Q_EUlS1P_E_NS1_11comp_targetILNS1_3genE5ELNS1_11target_archE942ELNS1_3gpuE9ELNS1_3repE0EEENS1_30default_config_static_selectorELNS0_4arch9wavefront6targetE0EEEvS12_.has_indirect_call, 0
	.section	.AMDGPU.csdata,"",@progbits
; Kernel info:
; codeLenInByte = 0
; TotalNumSgprs: 0
; NumVgprs: 0
; ScratchSize: 0
; MemoryBound: 0
; FloatMode: 240
; IeeeMode: 1
; LDSByteSize: 0 bytes/workgroup (compile time only)
; SGPRBlocks: 0
; VGPRBlocks: 0
; NumSGPRsForWavesPerEU: 1
; NumVGPRsForWavesPerEU: 1
; Occupancy: 16
; WaveLimiterHint : 0
; COMPUTE_PGM_RSRC2:SCRATCH_EN: 0
; COMPUTE_PGM_RSRC2:USER_SGPR: 6
; COMPUTE_PGM_RSRC2:TRAP_HANDLER: 0
; COMPUTE_PGM_RSRC2:TGID_X_EN: 1
; COMPUTE_PGM_RSRC2:TGID_Y_EN: 0
; COMPUTE_PGM_RSRC2:TGID_Z_EN: 0
; COMPUTE_PGM_RSRC2:TIDIG_COMP_CNT: 0
	.section	.text._ZN7rocprim17ROCPRIM_400000_NS6detail17trampoline_kernelINS0_13select_configILj256ELj13ELNS0_17block_load_methodE3ELS4_3ELS4_3ELNS0_20block_scan_algorithmE0ELj4294967295EEENS1_25partition_config_selectorILNS1_17partition_subalgoE4EjNS0_10empty_typeEbEEZZNS1_14partition_implILS8_4ELb0ES6_15HIP_vector_typeIjLj2EENS0_17counting_iteratorIjlEEPS9_SG_NS0_5tupleIJPjSI_NS0_16reverse_iteratorISI_EEEEENSH_IJSG_SG_SG_EEES9_SI_JZNS1_25segmented_radix_sort_implINS0_14default_configELb1EPKsPsPKlPlN2at6native12_GLOBAL__N_18offset_tEEE10hipError_tPvRmT1_PNSt15iterator_traitsIS12_E10value_typeET2_T3_PNS13_IS18_E10value_typeET4_jRbjT5_S1E_jjP12ihipStream_tbEUljE_ZNSN_ISO_Lb1ESQ_SR_ST_SU_SY_EESZ_S10_S11_S12_S16_S17_S18_S1B_S1C_jS1D_jS1E_S1E_jjS1G_bEUljE0_EEESZ_S10_S11_S18_S1C_S1E_T6_T7_T9_mT8_S1G_bDpT10_ENKUlT_T0_E_clISt17integral_constantIbLb0EES1T_IbLb1EEEEDaS1P_S1Q_EUlS1P_E_NS1_11comp_targetILNS1_3genE4ELNS1_11target_archE910ELNS1_3gpuE8ELNS1_3repE0EEENS1_30default_config_static_selectorELNS0_4arch9wavefront6targetE0EEEvS12_,"axG",@progbits,_ZN7rocprim17ROCPRIM_400000_NS6detail17trampoline_kernelINS0_13select_configILj256ELj13ELNS0_17block_load_methodE3ELS4_3ELS4_3ELNS0_20block_scan_algorithmE0ELj4294967295EEENS1_25partition_config_selectorILNS1_17partition_subalgoE4EjNS0_10empty_typeEbEEZZNS1_14partition_implILS8_4ELb0ES6_15HIP_vector_typeIjLj2EENS0_17counting_iteratorIjlEEPS9_SG_NS0_5tupleIJPjSI_NS0_16reverse_iteratorISI_EEEEENSH_IJSG_SG_SG_EEES9_SI_JZNS1_25segmented_radix_sort_implINS0_14default_configELb1EPKsPsPKlPlN2at6native12_GLOBAL__N_18offset_tEEE10hipError_tPvRmT1_PNSt15iterator_traitsIS12_E10value_typeET2_T3_PNS13_IS18_E10value_typeET4_jRbjT5_S1E_jjP12ihipStream_tbEUljE_ZNSN_ISO_Lb1ESQ_SR_ST_SU_SY_EESZ_S10_S11_S12_S16_S17_S18_S1B_S1C_jS1D_jS1E_S1E_jjS1G_bEUljE0_EEESZ_S10_S11_S18_S1C_S1E_T6_T7_T9_mT8_S1G_bDpT10_ENKUlT_T0_E_clISt17integral_constantIbLb0EES1T_IbLb1EEEEDaS1P_S1Q_EUlS1P_E_NS1_11comp_targetILNS1_3genE4ELNS1_11target_archE910ELNS1_3gpuE8ELNS1_3repE0EEENS1_30default_config_static_selectorELNS0_4arch9wavefront6targetE0EEEvS12_,comdat
	.globl	_ZN7rocprim17ROCPRIM_400000_NS6detail17trampoline_kernelINS0_13select_configILj256ELj13ELNS0_17block_load_methodE3ELS4_3ELS4_3ELNS0_20block_scan_algorithmE0ELj4294967295EEENS1_25partition_config_selectorILNS1_17partition_subalgoE4EjNS0_10empty_typeEbEEZZNS1_14partition_implILS8_4ELb0ES6_15HIP_vector_typeIjLj2EENS0_17counting_iteratorIjlEEPS9_SG_NS0_5tupleIJPjSI_NS0_16reverse_iteratorISI_EEEEENSH_IJSG_SG_SG_EEES9_SI_JZNS1_25segmented_radix_sort_implINS0_14default_configELb1EPKsPsPKlPlN2at6native12_GLOBAL__N_18offset_tEEE10hipError_tPvRmT1_PNSt15iterator_traitsIS12_E10value_typeET2_T3_PNS13_IS18_E10value_typeET4_jRbjT5_S1E_jjP12ihipStream_tbEUljE_ZNSN_ISO_Lb1ESQ_SR_ST_SU_SY_EESZ_S10_S11_S12_S16_S17_S18_S1B_S1C_jS1D_jS1E_S1E_jjS1G_bEUljE0_EEESZ_S10_S11_S18_S1C_S1E_T6_T7_T9_mT8_S1G_bDpT10_ENKUlT_T0_E_clISt17integral_constantIbLb0EES1T_IbLb1EEEEDaS1P_S1Q_EUlS1P_E_NS1_11comp_targetILNS1_3genE4ELNS1_11target_archE910ELNS1_3gpuE8ELNS1_3repE0EEENS1_30default_config_static_selectorELNS0_4arch9wavefront6targetE0EEEvS12_ ; -- Begin function _ZN7rocprim17ROCPRIM_400000_NS6detail17trampoline_kernelINS0_13select_configILj256ELj13ELNS0_17block_load_methodE3ELS4_3ELS4_3ELNS0_20block_scan_algorithmE0ELj4294967295EEENS1_25partition_config_selectorILNS1_17partition_subalgoE4EjNS0_10empty_typeEbEEZZNS1_14partition_implILS8_4ELb0ES6_15HIP_vector_typeIjLj2EENS0_17counting_iteratorIjlEEPS9_SG_NS0_5tupleIJPjSI_NS0_16reverse_iteratorISI_EEEEENSH_IJSG_SG_SG_EEES9_SI_JZNS1_25segmented_radix_sort_implINS0_14default_configELb1EPKsPsPKlPlN2at6native12_GLOBAL__N_18offset_tEEE10hipError_tPvRmT1_PNSt15iterator_traitsIS12_E10value_typeET2_T3_PNS13_IS18_E10value_typeET4_jRbjT5_S1E_jjP12ihipStream_tbEUljE_ZNSN_ISO_Lb1ESQ_SR_ST_SU_SY_EESZ_S10_S11_S12_S16_S17_S18_S1B_S1C_jS1D_jS1E_S1E_jjS1G_bEUljE0_EEESZ_S10_S11_S18_S1C_S1E_T6_T7_T9_mT8_S1G_bDpT10_ENKUlT_T0_E_clISt17integral_constantIbLb0EES1T_IbLb1EEEEDaS1P_S1Q_EUlS1P_E_NS1_11comp_targetILNS1_3genE4ELNS1_11target_archE910ELNS1_3gpuE8ELNS1_3repE0EEENS1_30default_config_static_selectorELNS0_4arch9wavefront6targetE0EEEvS12_
	.p2align	8
	.type	_ZN7rocprim17ROCPRIM_400000_NS6detail17trampoline_kernelINS0_13select_configILj256ELj13ELNS0_17block_load_methodE3ELS4_3ELS4_3ELNS0_20block_scan_algorithmE0ELj4294967295EEENS1_25partition_config_selectorILNS1_17partition_subalgoE4EjNS0_10empty_typeEbEEZZNS1_14partition_implILS8_4ELb0ES6_15HIP_vector_typeIjLj2EENS0_17counting_iteratorIjlEEPS9_SG_NS0_5tupleIJPjSI_NS0_16reverse_iteratorISI_EEEEENSH_IJSG_SG_SG_EEES9_SI_JZNS1_25segmented_radix_sort_implINS0_14default_configELb1EPKsPsPKlPlN2at6native12_GLOBAL__N_18offset_tEEE10hipError_tPvRmT1_PNSt15iterator_traitsIS12_E10value_typeET2_T3_PNS13_IS18_E10value_typeET4_jRbjT5_S1E_jjP12ihipStream_tbEUljE_ZNSN_ISO_Lb1ESQ_SR_ST_SU_SY_EESZ_S10_S11_S12_S16_S17_S18_S1B_S1C_jS1D_jS1E_S1E_jjS1G_bEUljE0_EEESZ_S10_S11_S18_S1C_S1E_T6_T7_T9_mT8_S1G_bDpT10_ENKUlT_T0_E_clISt17integral_constantIbLb0EES1T_IbLb1EEEEDaS1P_S1Q_EUlS1P_E_NS1_11comp_targetILNS1_3genE4ELNS1_11target_archE910ELNS1_3gpuE8ELNS1_3repE0EEENS1_30default_config_static_selectorELNS0_4arch9wavefront6targetE0EEEvS12_,@function
_ZN7rocprim17ROCPRIM_400000_NS6detail17trampoline_kernelINS0_13select_configILj256ELj13ELNS0_17block_load_methodE3ELS4_3ELS4_3ELNS0_20block_scan_algorithmE0ELj4294967295EEENS1_25partition_config_selectorILNS1_17partition_subalgoE4EjNS0_10empty_typeEbEEZZNS1_14partition_implILS8_4ELb0ES6_15HIP_vector_typeIjLj2EENS0_17counting_iteratorIjlEEPS9_SG_NS0_5tupleIJPjSI_NS0_16reverse_iteratorISI_EEEEENSH_IJSG_SG_SG_EEES9_SI_JZNS1_25segmented_radix_sort_implINS0_14default_configELb1EPKsPsPKlPlN2at6native12_GLOBAL__N_18offset_tEEE10hipError_tPvRmT1_PNSt15iterator_traitsIS12_E10value_typeET2_T3_PNS13_IS18_E10value_typeET4_jRbjT5_S1E_jjP12ihipStream_tbEUljE_ZNSN_ISO_Lb1ESQ_SR_ST_SU_SY_EESZ_S10_S11_S12_S16_S17_S18_S1B_S1C_jS1D_jS1E_S1E_jjS1G_bEUljE0_EEESZ_S10_S11_S18_S1C_S1E_T6_T7_T9_mT8_S1G_bDpT10_ENKUlT_T0_E_clISt17integral_constantIbLb0EES1T_IbLb1EEEEDaS1P_S1Q_EUlS1P_E_NS1_11comp_targetILNS1_3genE4ELNS1_11target_archE910ELNS1_3gpuE8ELNS1_3repE0EEENS1_30default_config_static_selectorELNS0_4arch9wavefront6targetE0EEEvS12_: ; @_ZN7rocprim17ROCPRIM_400000_NS6detail17trampoline_kernelINS0_13select_configILj256ELj13ELNS0_17block_load_methodE3ELS4_3ELS4_3ELNS0_20block_scan_algorithmE0ELj4294967295EEENS1_25partition_config_selectorILNS1_17partition_subalgoE4EjNS0_10empty_typeEbEEZZNS1_14partition_implILS8_4ELb0ES6_15HIP_vector_typeIjLj2EENS0_17counting_iteratorIjlEEPS9_SG_NS0_5tupleIJPjSI_NS0_16reverse_iteratorISI_EEEEENSH_IJSG_SG_SG_EEES9_SI_JZNS1_25segmented_radix_sort_implINS0_14default_configELb1EPKsPsPKlPlN2at6native12_GLOBAL__N_18offset_tEEE10hipError_tPvRmT1_PNSt15iterator_traitsIS12_E10value_typeET2_T3_PNS13_IS18_E10value_typeET4_jRbjT5_S1E_jjP12ihipStream_tbEUljE_ZNSN_ISO_Lb1ESQ_SR_ST_SU_SY_EESZ_S10_S11_S12_S16_S17_S18_S1B_S1C_jS1D_jS1E_S1E_jjS1G_bEUljE0_EEESZ_S10_S11_S18_S1C_S1E_T6_T7_T9_mT8_S1G_bDpT10_ENKUlT_T0_E_clISt17integral_constantIbLb0EES1T_IbLb1EEEEDaS1P_S1Q_EUlS1P_E_NS1_11comp_targetILNS1_3genE4ELNS1_11target_archE910ELNS1_3gpuE8ELNS1_3repE0EEENS1_30default_config_static_selectorELNS0_4arch9wavefront6targetE0EEEvS12_
; %bb.0:
	.section	.rodata,"a",@progbits
	.p2align	6, 0x0
	.amdhsa_kernel _ZN7rocprim17ROCPRIM_400000_NS6detail17trampoline_kernelINS0_13select_configILj256ELj13ELNS0_17block_load_methodE3ELS4_3ELS4_3ELNS0_20block_scan_algorithmE0ELj4294967295EEENS1_25partition_config_selectorILNS1_17partition_subalgoE4EjNS0_10empty_typeEbEEZZNS1_14partition_implILS8_4ELb0ES6_15HIP_vector_typeIjLj2EENS0_17counting_iteratorIjlEEPS9_SG_NS0_5tupleIJPjSI_NS0_16reverse_iteratorISI_EEEEENSH_IJSG_SG_SG_EEES9_SI_JZNS1_25segmented_radix_sort_implINS0_14default_configELb1EPKsPsPKlPlN2at6native12_GLOBAL__N_18offset_tEEE10hipError_tPvRmT1_PNSt15iterator_traitsIS12_E10value_typeET2_T3_PNS13_IS18_E10value_typeET4_jRbjT5_S1E_jjP12ihipStream_tbEUljE_ZNSN_ISO_Lb1ESQ_SR_ST_SU_SY_EESZ_S10_S11_S12_S16_S17_S18_S1B_S1C_jS1D_jS1E_S1E_jjS1G_bEUljE0_EEESZ_S10_S11_S18_S1C_S1E_T6_T7_T9_mT8_S1G_bDpT10_ENKUlT_T0_E_clISt17integral_constantIbLb0EES1T_IbLb1EEEEDaS1P_S1Q_EUlS1P_E_NS1_11comp_targetILNS1_3genE4ELNS1_11target_archE910ELNS1_3gpuE8ELNS1_3repE0EEENS1_30default_config_static_selectorELNS0_4arch9wavefront6targetE0EEEvS12_
		.amdhsa_group_segment_fixed_size 0
		.amdhsa_private_segment_fixed_size 0
		.amdhsa_kernarg_size 184
		.amdhsa_user_sgpr_count 6
		.amdhsa_user_sgpr_private_segment_buffer 1
		.amdhsa_user_sgpr_dispatch_ptr 0
		.amdhsa_user_sgpr_queue_ptr 0
		.amdhsa_user_sgpr_kernarg_segment_ptr 1
		.amdhsa_user_sgpr_dispatch_id 0
		.amdhsa_user_sgpr_flat_scratch_init 0
		.amdhsa_user_sgpr_private_segment_size 0
		.amdhsa_wavefront_size32 1
		.amdhsa_uses_dynamic_stack 0
		.amdhsa_system_sgpr_private_segment_wavefront_offset 0
		.amdhsa_system_sgpr_workgroup_id_x 1
		.amdhsa_system_sgpr_workgroup_id_y 0
		.amdhsa_system_sgpr_workgroup_id_z 0
		.amdhsa_system_sgpr_workgroup_info 0
		.amdhsa_system_vgpr_workitem_id 0
		.amdhsa_next_free_vgpr 1
		.amdhsa_next_free_sgpr 1
		.amdhsa_reserve_vcc 0
		.amdhsa_reserve_flat_scratch 0
		.amdhsa_float_round_mode_32 0
		.amdhsa_float_round_mode_16_64 0
		.amdhsa_float_denorm_mode_32 3
		.amdhsa_float_denorm_mode_16_64 3
		.amdhsa_dx10_clamp 1
		.amdhsa_ieee_mode 1
		.amdhsa_fp16_overflow 0
		.amdhsa_workgroup_processor_mode 1
		.amdhsa_memory_ordered 1
		.amdhsa_forward_progress 1
		.amdhsa_shared_vgpr_count 0
		.amdhsa_exception_fp_ieee_invalid_op 0
		.amdhsa_exception_fp_denorm_src 0
		.amdhsa_exception_fp_ieee_div_zero 0
		.amdhsa_exception_fp_ieee_overflow 0
		.amdhsa_exception_fp_ieee_underflow 0
		.amdhsa_exception_fp_ieee_inexact 0
		.amdhsa_exception_int_div_zero 0
	.end_amdhsa_kernel
	.section	.text._ZN7rocprim17ROCPRIM_400000_NS6detail17trampoline_kernelINS0_13select_configILj256ELj13ELNS0_17block_load_methodE3ELS4_3ELS4_3ELNS0_20block_scan_algorithmE0ELj4294967295EEENS1_25partition_config_selectorILNS1_17partition_subalgoE4EjNS0_10empty_typeEbEEZZNS1_14partition_implILS8_4ELb0ES6_15HIP_vector_typeIjLj2EENS0_17counting_iteratorIjlEEPS9_SG_NS0_5tupleIJPjSI_NS0_16reverse_iteratorISI_EEEEENSH_IJSG_SG_SG_EEES9_SI_JZNS1_25segmented_radix_sort_implINS0_14default_configELb1EPKsPsPKlPlN2at6native12_GLOBAL__N_18offset_tEEE10hipError_tPvRmT1_PNSt15iterator_traitsIS12_E10value_typeET2_T3_PNS13_IS18_E10value_typeET4_jRbjT5_S1E_jjP12ihipStream_tbEUljE_ZNSN_ISO_Lb1ESQ_SR_ST_SU_SY_EESZ_S10_S11_S12_S16_S17_S18_S1B_S1C_jS1D_jS1E_S1E_jjS1G_bEUljE0_EEESZ_S10_S11_S18_S1C_S1E_T6_T7_T9_mT8_S1G_bDpT10_ENKUlT_T0_E_clISt17integral_constantIbLb0EES1T_IbLb1EEEEDaS1P_S1Q_EUlS1P_E_NS1_11comp_targetILNS1_3genE4ELNS1_11target_archE910ELNS1_3gpuE8ELNS1_3repE0EEENS1_30default_config_static_selectorELNS0_4arch9wavefront6targetE0EEEvS12_,"axG",@progbits,_ZN7rocprim17ROCPRIM_400000_NS6detail17trampoline_kernelINS0_13select_configILj256ELj13ELNS0_17block_load_methodE3ELS4_3ELS4_3ELNS0_20block_scan_algorithmE0ELj4294967295EEENS1_25partition_config_selectorILNS1_17partition_subalgoE4EjNS0_10empty_typeEbEEZZNS1_14partition_implILS8_4ELb0ES6_15HIP_vector_typeIjLj2EENS0_17counting_iteratorIjlEEPS9_SG_NS0_5tupleIJPjSI_NS0_16reverse_iteratorISI_EEEEENSH_IJSG_SG_SG_EEES9_SI_JZNS1_25segmented_radix_sort_implINS0_14default_configELb1EPKsPsPKlPlN2at6native12_GLOBAL__N_18offset_tEEE10hipError_tPvRmT1_PNSt15iterator_traitsIS12_E10value_typeET2_T3_PNS13_IS18_E10value_typeET4_jRbjT5_S1E_jjP12ihipStream_tbEUljE_ZNSN_ISO_Lb1ESQ_SR_ST_SU_SY_EESZ_S10_S11_S12_S16_S17_S18_S1B_S1C_jS1D_jS1E_S1E_jjS1G_bEUljE0_EEESZ_S10_S11_S18_S1C_S1E_T6_T7_T9_mT8_S1G_bDpT10_ENKUlT_T0_E_clISt17integral_constantIbLb0EES1T_IbLb1EEEEDaS1P_S1Q_EUlS1P_E_NS1_11comp_targetILNS1_3genE4ELNS1_11target_archE910ELNS1_3gpuE8ELNS1_3repE0EEENS1_30default_config_static_selectorELNS0_4arch9wavefront6targetE0EEEvS12_,comdat
.Lfunc_end867:
	.size	_ZN7rocprim17ROCPRIM_400000_NS6detail17trampoline_kernelINS0_13select_configILj256ELj13ELNS0_17block_load_methodE3ELS4_3ELS4_3ELNS0_20block_scan_algorithmE0ELj4294967295EEENS1_25partition_config_selectorILNS1_17partition_subalgoE4EjNS0_10empty_typeEbEEZZNS1_14partition_implILS8_4ELb0ES6_15HIP_vector_typeIjLj2EENS0_17counting_iteratorIjlEEPS9_SG_NS0_5tupleIJPjSI_NS0_16reverse_iteratorISI_EEEEENSH_IJSG_SG_SG_EEES9_SI_JZNS1_25segmented_radix_sort_implINS0_14default_configELb1EPKsPsPKlPlN2at6native12_GLOBAL__N_18offset_tEEE10hipError_tPvRmT1_PNSt15iterator_traitsIS12_E10value_typeET2_T3_PNS13_IS18_E10value_typeET4_jRbjT5_S1E_jjP12ihipStream_tbEUljE_ZNSN_ISO_Lb1ESQ_SR_ST_SU_SY_EESZ_S10_S11_S12_S16_S17_S18_S1B_S1C_jS1D_jS1E_S1E_jjS1G_bEUljE0_EEESZ_S10_S11_S18_S1C_S1E_T6_T7_T9_mT8_S1G_bDpT10_ENKUlT_T0_E_clISt17integral_constantIbLb0EES1T_IbLb1EEEEDaS1P_S1Q_EUlS1P_E_NS1_11comp_targetILNS1_3genE4ELNS1_11target_archE910ELNS1_3gpuE8ELNS1_3repE0EEENS1_30default_config_static_selectorELNS0_4arch9wavefront6targetE0EEEvS12_, .Lfunc_end867-_ZN7rocprim17ROCPRIM_400000_NS6detail17trampoline_kernelINS0_13select_configILj256ELj13ELNS0_17block_load_methodE3ELS4_3ELS4_3ELNS0_20block_scan_algorithmE0ELj4294967295EEENS1_25partition_config_selectorILNS1_17partition_subalgoE4EjNS0_10empty_typeEbEEZZNS1_14partition_implILS8_4ELb0ES6_15HIP_vector_typeIjLj2EENS0_17counting_iteratorIjlEEPS9_SG_NS0_5tupleIJPjSI_NS0_16reverse_iteratorISI_EEEEENSH_IJSG_SG_SG_EEES9_SI_JZNS1_25segmented_radix_sort_implINS0_14default_configELb1EPKsPsPKlPlN2at6native12_GLOBAL__N_18offset_tEEE10hipError_tPvRmT1_PNSt15iterator_traitsIS12_E10value_typeET2_T3_PNS13_IS18_E10value_typeET4_jRbjT5_S1E_jjP12ihipStream_tbEUljE_ZNSN_ISO_Lb1ESQ_SR_ST_SU_SY_EESZ_S10_S11_S12_S16_S17_S18_S1B_S1C_jS1D_jS1E_S1E_jjS1G_bEUljE0_EEESZ_S10_S11_S18_S1C_S1E_T6_T7_T9_mT8_S1G_bDpT10_ENKUlT_T0_E_clISt17integral_constantIbLb0EES1T_IbLb1EEEEDaS1P_S1Q_EUlS1P_E_NS1_11comp_targetILNS1_3genE4ELNS1_11target_archE910ELNS1_3gpuE8ELNS1_3repE0EEENS1_30default_config_static_selectorELNS0_4arch9wavefront6targetE0EEEvS12_
                                        ; -- End function
	.set _ZN7rocprim17ROCPRIM_400000_NS6detail17trampoline_kernelINS0_13select_configILj256ELj13ELNS0_17block_load_methodE3ELS4_3ELS4_3ELNS0_20block_scan_algorithmE0ELj4294967295EEENS1_25partition_config_selectorILNS1_17partition_subalgoE4EjNS0_10empty_typeEbEEZZNS1_14partition_implILS8_4ELb0ES6_15HIP_vector_typeIjLj2EENS0_17counting_iteratorIjlEEPS9_SG_NS0_5tupleIJPjSI_NS0_16reverse_iteratorISI_EEEEENSH_IJSG_SG_SG_EEES9_SI_JZNS1_25segmented_radix_sort_implINS0_14default_configELb1EPKsPsPKlPlN2at6native12_GLOBAL__N_18offset_tEEE10hipError_tPvRmT1_PNSt15iterator_traitsIS12_E10value_typeET2_T3_PNS13_IS18_E10value_typeET4_jRbjT5_S1E_jjP12ihipStream_tbEUljE_ZNSN_ISO_Lb1ESQ_SR_ST_SU_SY_EESZ_S10_S11_S12_S16_S17_S18_S1B_S1C_jS1D_jS1E_S1E_jjS1G_bEUljE0_EEESZ_S10_S11_S18_S1C_S1E_T6_T7_T9_mT8_S1G_bDpT10_ENKUlT_T0_E_clISt17integral_constantIbLb0EES1T_IbLb1EEEEDaS1P_S1Q_EUlS1P_E_NS1_11comp_targetILNS1_3genE4ELNS1_11target_archE910ELNS1_3gpuE8ELNS1_3repE0EEENS1_30default_config_static_selectorELNS0_4arch9wavefront6targetE0EEEvS12_.num_vgpr, 0
	.set _ZN7rocprim17ROCPRIM_400000_NS6detail17trampoline_kernelINS0_13select_configILj256ELj13ELNS0_17block_load_methodE3ELS4_3ELS4_3ELNS0_20block_scan_algorithmE0ELj4294967295EEENS1_25partition_config_selectorILNS1_17partition_subalgoE4EjNS0_10empty_typeEbEEZZNS1_14partition_implILS8_4ELb0ES6_15HIP_vector_typeIjLj2EENS0_17counting_iteratorIjlEEPS9_SG_NS0_5tupleIJPjSI_NS0_16reverse_iteratorISI_EEEEENSH_IJSG_SG_SG_EEES9_SI_JZNS1_25segmented_radix_sort_implINS0_14default_configELb1EPKsPsPKlPlN2at6native12_GLOBAL__N_18offset_tEEE10hipError_tPvRmT1_PNSt15iterator_traitsIS12_E10value_typeET2_T3_PNS13_IS18_E10value_typeET4_jRbjT5_S1E_jjP12ihipStream_tbEUljE_ZNSN_ISO_Lb1ESQ_SR_ST_SU_SY_EESZ_S10_S11_S12_S16_S17_S18_S1B_S1C_jS1D_jS1E_S1E_jjS1G_bEUljE0_EEESZ_S10_S11_S18_S1C_S1E_T6_T7_T9_mT8_S1G_bDpT10_ENKUlT_T0_E_clISt17integral_constantIbLb0EES1T_IbLb1EEEEDaS1P_S1Q_EUlS1P_E_NS1_11comp_targetILNS1_3genE4ELNS1_11target_archE910ELNS1_3gpuE8ELNS1_3repE0EEENS1_30default_config_static_selectorELNS0_4arch9wavefront6targetE0EEEvS12_.num_agpr, 0
	.set _ZN7rocprim17ROCPRIM_400000_NS6detail17trampoline_kernelINS0_13select_configILj256ELj13ELNS0_17block_load_methodE3ELS4_3ELS4_3ELNS0_20block_scan_algorithmE0ELj4294967295EEENS1_25partition_config_selectorILNS1_17partition_subalgoE4EjNS0_10empty_typeEbEEZZNS1_14partition_implILS8_4ELb0ES6_15HIP_vector_typeIjLj2EENS0_17counting_iteratorIjlEEPS9_SG_NS0_5tupleIJPjSI_NS0_16reverse_iteratorISI_EEEEENSH_IJSG_SG_SG_EEES9_SI_JZNS1_25segmented_radix_sort_implINS0_14default_configELb1EPKsPsPKlPlN2at6native12_GLOBAL__N_18offset_tEEE10hipError_tPvRmT1_PNSt15iterator_traitsIS12_E10value_typeET2_T3_PNS13_IS18_E10value_typeET4_jRbjT5_S1E_jjP12ihipStream_tbEUljE_ZNSN_ISO_Lb1ESQ_SR_ST_SU_SY_EESZ_S10_S11_S12_S16_S17_S18_S1B_S1C_jS1D_jS1E_S1E_jjS1G_bEUljE0_EEESZ_S10_S11_S18_S1C_S1E_T6_T7_T9_mT8_S1G_bDpT10_ENKUlT_T0_E_clISt17integral_constantIbLb0EES1T_IbLb1EEEEDaS1P_S1Q_EUlS1P_E_NS1_11comp_targetILNS1_3genE4ELNS1_11target_archE910ELNS1_3gpuE8ELNS1_3repE0EEENS1_30default_config_static_selectorELNS0_4arch9wavefront6targetE0EEEvS12_.numbered_sgpr, 0
	.set _ZN7rocprim17ROCPRIM_400000_NS6detail17trampoline_kernelINS0_13select_configILj256ELj13ELNS0_17block_load_methodE3ELS4_3ELS4_3ELNS0_20block_scan_algorithmE0ELj4294967295EEENS1_25partition_config_selectorILNS1_17partition_subalgoE4EjNS0_10empty_typeEbEEZZNS1_14partition_implILS8_4ELb0ES6_15HIP_vector_typeIjLj2EENS0_17counting_iteratorIjlEEPS9_SG_NS0_5tupleIJPjSI_NS0_16reverse_iteratorISI_EEEEENSH_IJSG_SG_SG_EEES9_SI_JZNS1_25segmented_radix_sort_implINS0_14default_configELb1EPKsPsPKlPlN2at6native12_GLOBAL__N_18offset_tEEE10hipError_tPvRmT1_PNSt15iterator_traitsIS12_E10value_typeET2_T3_PNS13_IS18_E10value_typeET4_jRbjT5_S1E_jjP12ihipStream_tbEUljE_ZNSN_ISO_Lb1ESQ_SR_ST_SU_SY_EESZ_S10_S11_S12_S16_S17_S18_S1B_S1C_jS1D_jS1E_S1E_jjS1G_bEUljE0_EEESZ_S10_S11_S18_S1C_S1E_T6_T7_T9_mT8_S1G_bDpT10_ENKUlT_T0_E_clISt17integral_constantIbLb0EES1T_IbLb1EEEEDaS1P_S1Q_EUlS1P_E_NS1_11comp_targetILNS1_3genE4ELNS1_11target_archE910ELNS1_3gpuE8ELNS1_3repE0EEENS1_30default_config_static_selectorELNS0_4arch9wavefront6targetE0EEEvS12_.num_named_barrier, 0
	.set _ZN7rocprim17ROCPRIM_400000_NS6detail17trampoline_kernelINS0_13select_configILj256ELj13ELNS0_17block_load_methodE3ELS4_3ELS4_3ELNS0_20block_scan_algorithmE0ELj4294967295EEENS1_25partition_config_selectorILNS1_17partition_subalgoE4EjNS0_10empty_typeEbEEZZNS1_14partition_implILS8_4ELb0ES6_15HIP_vector_typeIjLj2EENS0_17counting_iteratorIjlEEPS9_SG_NS0_5tupleIJPjSI_NS0_16reverse_iteratorISI_EEEEENSH_IJSG_SG_SG_EEES9_SI_JZNS1_25segmented_radix_sort_implINS0_14default_configELb1EPKsPsPKlPlN2at6native12_GLOBAL__N_18offset_tEEE10hipError_tPvRmT1_PNSt15iterator_traitsIS12_E10value_typeET2_T3_PNS13_IS18_E10value_typeET4_jRbjT5_S1E_jjP12ihipStream_tbEUljE_ZNSN_ISO_Lb1ESQ_SR_ST_SU_SY_EESZ_S10_S11_S12_S16_S17_S18_S1B_S1C_jS1D_jS1E_S1E_jjS1G_bEUljE0_EEESZ_S10_S11_S18_S1C_S1E_T6_T7_T9_mT8_S1G_bDpT10_ENKUlT_T0_E_clISt17integral_constantIbLb0EES1T_IbLb1EEEEDaS1P_S1Q_EUlS1P_E_NS1_11comp_targetILNS1_3genE4ELNS1_11target_archE910ELNS1_3gpuE8ELNS1_3repE0EEENS1_30default_config_static_selectorELNS0_4arch9wavefront6targetE0EEEvS12_.private_seg_size, 0
	.set _ZN7rocprim17ROCPRIM_400000_NS6detail17trampoline_kernelINS0_13select_configILj256ELj13ELNS0_17block_load_methodE3ELS4_3ELS4_3ELNS0_20block_scan_algorithmE0ELj4294967295EEENS1_25partition_config_selectorILNS1_17partition_subalgoE4EjNS0_10empty_typeEbEEZZNS1_14partition_implILS8_4ELb0ES6_15HIP_vector_typeIjLj2EENS0_17counting_iteratorIjlEEPS9_SG_NS0_5tupleIJPjSI_NS0_16reverse_iteratorISI_EEEEENSH_IJSG_SG_SG_EEES9_SI_JZNS1_25segmented_radix_sort_implINS0_14default_configELb1EPKsPsPKlPlN2at6native12_GLOBAL__N_18offset_tEEE10hipError_tPvRmT1_PNSt15iterator_traitsIS12_E10value_typeET2_T3_PNS13_IS18_E10value_typeET4_jRbjT5_S1E_jjP12ihipStream_tbEUljE_ZNSN_ISO_Lb1ESQ_SR_ST_SU_SY_EESZ_S10_S11_S12_S16_S17_S18_S1B_S1C_jS1D_jS1E_S1E_jjS1G_bEUljE0_EEESZ_S10_S11_S18_S1C_S1E_T6_T7_T9_mT8_S1G_bDpT10_ENKUlT_T0_E_clISt17integral_constantIbLb0EES1T_IbLb1EEEEDaS1P_S1Q_EUlS1P_E_NS1_11comp_targetILNS1_3genE4ELNS1_11target_archE910ELNS1_3gpuE8ELNS1_3repE0EEENS1_30default_config_static_selectorELNS0_4arch9wavefront6targetE0EEEvS12_.uses_vcc, 0
	.set _ZN7rocprim17ROCPRIM_400000_NS6detail17trampoline_kernelINS0_13select_configILj256ELj13ELNS0_17block_load_methodE3ELS4_3ELS4_3ELNS0_20block_scan_algorithmE0ELj4294967295EEENS1_25partition_config_selectorILNS1_17partition_subalgoE4EjNS0_10empty_typeEbEEZZNS1_14partition_implILS8_4ELb0ES6_15HIP_vector_typeIjLj2EENS0_17counting_iteratorIjlEEPS9_SG_NS0_5tupleIJPjSI_NS0_16reverse_iteratorISI_EEEEENSH_IJSG_SG_SG_EEES9_SI_JZNS1_25segmented_radix_sort_implINS0_14default_configELb1EPKsPsPKlPlN2at6native12_GLOBAL__N_18offset_tEEE10hipError_tPvRmT1_PNSt15iterator_traitsIS12_E10value_typeET2_T3_PNS13_IS18_E10value_typeET4_jRbjT5_S1E_jjP12ihipStream_tbEUljE_ZNSN_ISO_Lb1ESQ_SR_ST_SU_SY_EESZ_S10_S11_S12_S16_S17_S18_S1B_S1C_jS1D_jS1E_S1E_jjS1G_bEUljE0_EEESZ_S10_S11_S18_S1C_S1E_T6_T7_T9_mT8_S1G_bDpT10_ENKUlT_T0_E_clISt17integral_constantIbLb0EES1T_IbLb1EEEEDaS1P_S1Q_EUlS1P_E_NS1_11comp_targetILNS1_3genE4ELNS1_11target_archE910ELNS1_3gpuE8ELNS1_3repE0EEENS1_30default_config_static_selectorELNS0_4arch9wavefront6targetE0EEEvS12_.uses_flat_scratch, 0
	.set _ZN7rocprim17ROCPRIM_400000_NS6detail17trampoline_kernelINS0_13select_configILj256ELj13ELNS0_17block_load_methodE3ELS4_3ELS4_3ELNS0_20block_scan_algorithmE0ELj4294967295EEENS1_25partition_config_selectorILNS1_17partition_subalgoE4EjNS0_10empty_typeEbEEZZNS1_14partition_implILS8_4ELb0ES6_15HIP_vector_typeIjLj2EENS0_17counting_iteratorIjlEEPS9_SG_NS0_5tupleIJPjSI_NS0_16reverse_iteratorISI_EEEEENSH_IJSG_SG_SG_EEES9_SI_JZNS1_25segmented_radix_sort_implINS0_14default_configELb1EPKsPsPKlPlN2at6native12_GLOBAL__N_18offset_tEEE10hipError_tPvRmT1_PNSt15iterator_traitsIS12_E10value_typeET2_T3_PNS13_IS18_E10value_typeET4_jRbjT5_S1E_jjP12ihipStream_tbEUljE_ZNSN_ISO_Lb1ESQ_SR_ST_SU_SY_EESZ_S10_S11_S12_S16_S17_S18_S1B_S1C_jS1D_jS1E_S1E_jjS1G_bEUljE0_EEESZ_S10_S11_S18_S1C_S1E_T6_T7_T9_mT8_S1G_bDpT10_ENKUlT_T0_E_clISt17integral_constantIbLb0EES1T_IbLb1EEEEDaS1P_S1Q_EUlS1P_E_NS1_11comp_targetILNS1_3genE4ELNS1_11target_archE910ELNS1_3gpuE8ELNS1_3repE0EEENS1_30default_config_static_selectorELNS0_4arch9wavefront6targetE0EEEvS12_.has_dyn_sized_stack, 0
	.set _ZN7rocprim17ROCPRIM_400000_NS6detail17trampoline_kernelINS0_13select_configILj256ELj13ELNS0_17block_load_methodE3ELS4_3ELS4_3ELNS0_20block_scan_algorithmE0ELj4294967295EEENS1_25partition_config_selectorILNS1_17partition_subalgoE4EjNS0_10empty_typeEbEEZZNS1_14partition_implILS8_4ELb0ES6_15HIP_vector_typeIjLj2EENS0_17counting_iteratorIjlEEPS9_SG_NS0_5tupleIJPjSI_NS0_16reverse_iteratorISI_EEEEENSH_IJSG_SG_SG_EEES9_SI_JZNS1_25segmented_radix_sort_implINS0_14default_configELb1EPKsPsPKlPlN2at6native12_GLOBAL__N_18offset_tEEE10hipError_tPvRmT1_PNSt15iterator_traitsIS12_E10value_typeET2_T3_PNS13_IS18_E10value_typeET4_jRbjT5_S1E_jjP12ihipStream_tbEUljE_ZNSN_ISO_Lb1ESQ_SR_ST_SU_SY_EESZ_S10_S11_S12_S16_S17_S18_S1B_S1C_jS1D_jS1E_S1E_jjS1G_bEUljE0_EEESZ_S10_S11_S18_S1C_S1E_T6_T7_T9_mT8_S1G_bDpT10_ENKUlT_T0_E_clISt17integral_constantIbLb0EES1T_IbLb1EEEEDaS1P_S1Q_EUlS1P_E_NS1_11comp_targetILNS1_3genE4ELNS1_11target_archE910ELNS1_3gpuE8ELNS1_3repE0EEENS1_30default_config_static_selectorELNS0_4arch9wavefront6targetE0EEEvS12_.has_recursion, 0
	.set _ZN7rocprim17ROCPRIM_400000_NS6detail17trampoline_kernelINS0_13select_configILj256ELj13ELNS0_17block_load_methodE3ELS4_3ELS4_3ELNS0_20block_scan_algorithmE0ELj4294967295EEENS1_25partition_config_selectorILNS1_17partition_subalgoE4EjNS0_10empty_typeEbEEZZNS1_14partition_implILS8_4ELb0ES6_15HIP_vector_typeIjLj2EENS0_17counting_iteratorIjlEEPS9_SG_NS0_5tupleIJPjSI_NS0_16reverse_iteratorISI_EEEEENSH_IJSG_SG_SG_EEES9_SI_JZNS1_25segmented_radix_sort_implINS0_14default_configELb1EPKsPsPKlPlN2at6native12_GLOBAL__N_18offset_tEEE10hipError_tPvRmT1_PNSt15iterator_traitsIS12_E10value_typeET2_T3_PNS13_IS18_E10value_typeET4_jRbjT5_S1E_jjP12ihipStream_tbEUljE_ZNSN_ISO_Lb1ESQ_SR_ST_SU_SY_EESZ_S10_S11_S12_S16_S17_S18_S1B_S1C_jS1D_jS1E_S1E_jjS1G_bEUljE0_EEESZ_S10_S11_S18_S1C_S1E_T6_T7_T9_mT8_S1G_bDpT10_ENKUlT_T0_E_clISt17integral_constantIbLb0EES1T_IbLb1EEEEDaS1P_S1Q_EUlS1P_E_NS1_11comp_targetILNS1_3genE4ELNS1_11target_archE910ELNS1_3gpuE8ELNS1_3repE0EEENS1_30default_config_static_selectorELNS0_4arch9wavefront6targetE0EEEvS12_.has_indirect_call, 0
	.section	.AMDGPU.csdata,"",@progbits
; Kernel info:
; codeLenInByte = 0
; TotalNumSgprs: 0
; NumVgprs: 0
; ScratchSize: 0
; MemoryBound: 0
; FloatMode: 240
; IeeeMode: 1
; LDSByteSize: 0 bytes/workgroup (compile time only)
; SGPRBlocks: 0
; VGPRBlocks: 0
; NumSGPRsForWavesPerEU: 1
; NumVGPRsForWavesPerEU: 1
; Occupancy: 16
; WaveLimiterHint : 0
; COMPUTE_PGM_RSRC2:SCRATCH_EN: 0
; COMPUTE_PGM_RSRC2:USER_SGPR: 6
; COMPUTE_PGM_RSRC2:TRAP_HANDLER: 0
; COMPUTE_PGM_RSRC2:TGID_X_EN: 1
; COMPUTE_PGM_RSRC2:TGID_Y_EN: 0
; COMPUTE_PGM_RSRC2:TGID_Z_EN: 0
; COMPUTE_PGM_RSRC2:TIDIG_COMP_CNT: 0
	.section	.text._ZN7rocprim17ROCPRIM_400000_NS6detail17trampoline_kernelINS0_13select_configILj256ELj13ELNS0_17block_load_methodE3ELS4_3ELS4_3ELNS0_20block_scan_algorithmE0ELj4294967295EEENS1_25partition_config_selectorILNS1_17partition_subalgoE4EjNS0_10empty_typeEbEEZZNS1_14partition_implILS8_4ELb0ES6_15HIP_vector_typeIjLj2EENS0_17counting_iteratorIjlEEPS9_SG_NS0_5tupleIJPjSI_NS0_16reverse_iteratorISI_EEEEENSH_IJSG_SG_SG_EEES9_SI_JZNS1_25segmented_radix_sort_implINS0_14default_configELb1EPKsPsPKlPlN2at6native12_GLOBAL__N_18offset_tEEE10hipError_tPvRmT1_PNSt15iterator_traitsIS12_E10value_typeET2_T3_PNS13_IS18_E10value_typeET4_jRbjT5_S1E_jjP12ihipStream_tbEUljE_ZNSN_ISO_Lb1ESQ_SR_ST_SU_SY_EESZ_S10_S11_S12_S16_S17_S18_S1B_S1C_jS1D_jS1E_S1E_jjS1G_bEUljE0_EEESZ_S10_S11_S18_S1C_S1E_T6_T7_T9_mT8_S1G_bDpT10_ENKUlT_T0_E_clISt17integral_constantIbLb0EES1T_IbLb1EEEEDaS1P_S1Q_EUlS1P_E_NS1_11comp_targetILNS1_3genE3ELNS1_11target_archE908ELNS1_3gpuE7ELNS1_3repE0EEENS1_30default_config_static_selectorELNS0_4arch9wavefront6targetE0EEEvS12_,"axG",@progbits,_ZN7rocprim17ROCPRIM_400000_NS6detail17trampoline_kernelINS0_13select_configILj256ELj13ELNS0_17block_load_methodE3ELS4_3ELS4_3ELNS0_20block_scan_algorithmE0ELj4294967295EEENS1_25partition_config_selectorILNS1_17partition_subalgoE4EjNS0_10empty_typeEbEEZZNS1_14partition_implILS8_4ELb0ES6_15HIP_vector_typeIjLj2EENS0_17counting_iteratorIjlEEPS9_SG_NS0_5tupleIJPjSI_NS0_16reverse_iteratorISI_EEEEENSH_IJSG_SG_SG_EEES9_SI_JZNS1_25segmented_radix_sort_implINS0_14default_configELb1EPKsPsPKlPlN2at6native12_GLOBAL__N_18offset_tEEE10hipError_tPvRmT1_PNSt15iterator_traitsIS12_E10value_typeET2_T3_PNS13_IS18_E10value_typeET4_jRbjT5_S1E_jjP12ihipStream_tbEUljE_ZNSN_ISO_Lb1ESQ_SR_ST_SU_SY_EESZ_S10_S11_S12_S16_S17_S18_S1B_S1C_jS1D_jS1E_S1E_jjS1G_bEUljE0_EEESZ_S10_S11_S18_S1C_S1E_T6_T7_T9_mT8_S1G_bDpT10_ENKUlT_T0_E_clISt17integral_constantIbLb0EES1T_IbLb1EEEEDaS1P_S1Q_EUlS1P_E_NS1_11comp_targetILNS1_3genE3ELNS1_11target_archE908ELNS1_3gpuE7ELNS1_3repE0EEENS1_30default_config_static_selectorELNS0_4arch9wavefront6targetE0EEEvS12_,comdat
	.globl	_ZN7rocprim17ROCPRIM_400000_NS6detail17trampoline_kernelINS0_13select_configILj256ELj13ELNS0_17block_load_methodE3ELS4_3ELS4_3ELNS0_20block_scan_algorithmE0ELj4294967295EEENS1_25partition_config_selectorILNS1_17partition_subalgoE4EjNS0_10empty_typeEbEEZZNS1_14partition_implILS8_4ELb0ES6_15HIP_vector_typeIjLj2EENS0_17counting_iteratorIjlEEPS9_SG_NS0_5tupleIJPjSI_NS0_16reverse_iteratorISI_EEEEENSH_IJSG_SG_SG_EEES9_SI_JZNS1_25segmented_radix_sort_implINS0_14default_configELb1EPKsPsPKlPlN2at6native12_GLOBAL__N_18offset_tEEE10hipError_tPvRmT1_PNSt15iterator_traitsIS12_E10value_typeET2_T3_PNS13_IS18_E10value_typeET4_jRbjT5_S1E_jjP12ihipStream_tbEUljE_ZNSN_ISO_Lb1ESQ_SR_ST_SU_SY_EESZ_S10_S11_S12_S16_S17_S18_S1B_S1C_jS1D_jS1E_S1E_jjS1G_bEUljE0_EEESZ_S10_S11_S18_S1C_S1E_T6_T7_T9_mT8_S1G_bDpT10_ENKUlT_T0_E_clISt17integral_constantIbLb0EES1T_IbLb1EEEEDaS1P_S1Q_EUlS1P_E_NS1_11comp_targetILNS1_3genE3ELNS1_11target_archE908ELNS1_3gpuE7ELNS1_3repE0EEENS1_30default_config_static_selectorELNS0_4arch9wavefront6targetE0EEEvS12_ ; -- Begin function _ZN7rocprim17ROCPRIM_400000_NS6detail17trampoline_kernelINS0_13select_configILj256ELj13ELNS0_17block_load_methodE3ELS4_3ELS4_3ELNS0_20block_scan_algorithmE0ELj4294967295EEENS1_25partition_config_selectorILNS1_17partition_subalgoE4EjNS0_10empty_typeEbEEZZNS1_14partition_implILS8_4ELb0ES6_15HIP_vector_typeIjLj2EENS0_17counting_iteratorIjlEEPS9_SG_NS0_5tupleIJPjSI_NS0_16reverse_iteratorISI_EEEEENSH_IJSG_SG_SG_EEES9_SI_JZNS1_25segmented_radix_sort_implINS0_14default_configELb1EPKsPsPKlPlN2at6native12_GLOBAL__N_18offset_tEEE10hipError_tPvRmT1_PNSt15iterator_traitsIS12_E10value_typeET2_T3_PNS13_IS18_E10value_typeET4_jRbjT5_S1E_jjP12ihipStream_tbEUljE_ZNSN_ISO_Lb1ESQ_SR_ST_SU_SY_EESZ_S10_S11_S12_S16_S17_S18_S1B_S1C_jS1D_jS1E_S1E_jjS1G_bEUljE0_EEESZ_S10_S11_S18_S1C_S1E_T6_T7_T9_mT8_S1G_bDpT10_ENKUlT_T0_E_clISt17integral_constantIbLb0EES1T_IbLb1EEEEDaS1P_S1Q_EUlS1P_E_NS1_11comp_targetILNS1_3genE3ELNS1_11target_archE908ELNS1_3gpuE7ELNS1_3repE0EEENS1_30default_config_static_selectorELNS0_4arch9wavefront6targetE0EEEvS12_
	.p2align	8
	.type	_ZN7rocprim17ROCPRIM_400000_NS6detail17trampoline_kernelINS0_13select_configILj256ELj13ELNS0_17block_load_methodE3ELS4_3ELS4_3ELNS0_20block_scan_algorithmE0ELj4294967295EEENS1_25partition_config_selectorILNS1_17partition_subalgoE4EjNS0_10empty_typeEbEEZZNS1_14partition_implILS8_4ELb0ES6_15HIP_vector_typeIjLj2EENS0_17counting_iteratorIjlEEPS9_SG_NS0_5tupleIJPjSI_NS0_16reverse_iteratorISI_EEEEENSH_IJSG_SG_SG_EEES9_SI_JZNS1_25segmented_radix_sort_implINS0_14default_configELb1EPKsPsPKlPlN2at6native12_GLOBAL__N_18offset_tEEE10hipError_tPvRmT1_PNSt15iterator_traitsIS12_E10value_typeET2_T3_PNS13_IS18_E10value_typeET4_jRbjT5_S1E_jjP12ihipStream_tbEUljE_ZNSN_ISO_Lb1ESQ_SR_ST_SU_SY_EESZ_S10_S11_S12_S16_S17_S18_S1B_S1C_jS1D_jS1E_S1E_jjS1G_bEUljE0_EEESZ_S10_S11_S18_S1C_S1E_T6_T7_T9_mT8_S1G_bDpT10_ENKUlT_T0_E_clISt17integral_constantIbLb0EES1T_IbLb1EEEEDaS1P_S1Q_EUlS1P_E_NS1_11comp_targetILNS1_3genE3ELNS1_11target_archE908ELNS1_3gpuE7ELNS1_3repE0EEENS1_30default_config_static_selectorELNS0_4arch9wavefront6targetE0EEEvS12_,@function
_ZN7rocprim17ROCPRIM_400000_NS6detail17trampoline_kernelINS0_13select_configILj256ELj13ELNS0_17block_load_methodE3ELS4_3ELS4_3ELNS0_20block_scan_algorithmE0ELj4294967295EEENS1_25partition_config_selectorILNS1_17partition_subalgoE4EjNS0_10empty_typeEbEEZZNS1_14partition_implILS8_4ELb0ES6_15HIP_vector_typeIjLj2EENS0_17counting_iteratorIjlEEPS9_SG_NS0_5tupleIJPjSI_NS0_16reverse_iteratorISI_EEEEENSH_IJSG_SG_SG_EEES9_SI_JZNS1_25segmented_radix_sort_implINS0_14default_configELb1EPKsPsPKlPlN2at6native12_GLOBAL__N_18offset_tEEE10hipError_tPvRmT1_PNSt15iterator_traitsIS12_E10value_typeET2_T3_PNS13_IS18_E10value_typeET4_jRbjT5_S1E_jjP12ihipStream_tbEUljE_ZNSN_ISO_Lb1ESQ_SR_ST_SU_SY_EESZ_S10_S11_S12_S16_S17_S18_S1B_S1C_jS1D_jS1E_S1E_jjS1G_bEUljE0_EEESZ_S10_S11_S18_S1C_S1E_T6_T7_T9_mT8_S1G_bDpT10_ENKUlT_T0_E_clISt17integral_constantIbLb0EES1T_IbLb1EEEEDaS1P_S1Q_EUlS1P_E_NS1_11comp_targetILNS1_3genE3ELNS1_11target_archE908ELNS1_3gpuE7ELNS1_3repE0EEENS1_30default_config_static_selectorELNS0_4arch9wavefront6targetE0EEEvS12_: ; @_ZN7rocprim17ROCPRIM_400000_NS6detail17trampoline_kernelINS0_13select_configILj256ELj13ELNS0_17block_load_methodE3ELS4_3ELS4_3ELNS0_20block_scan_algorithmE0ELj4294967295EEENS1_25partition_config_selectorILNS1_17partition_subalgoE4EjNS0_10empty_typeEbEEZZNS1_14partition_implILS8_4ELb0ES6_15HIP_vector_typeIjLj2EENS0_17counting_iteratorIjlEEPS9_SG_NS0_5tupleIJPjSI_NS0_16reverse_iteratorISI_EEEEENSH_IJSG_SG_SG_EEES9_SI_JZNS1_25segmented_radix_sort_implINS0_14default_configELb1EPKsPsPKlPlN2at6native12_GLOBAL__N_18offset_tEEE10hipError_tPvRmT1_PNSt15iterator_traitsIS12_E10value_typeET2_T3_PNS13_IS18_E10value_typeET4_jRbjT5_S1E_jjP12ihipStream_tbEUljE_ZNSN_ISO_Lb1ESQ_SR_ST_SU_SY_EESZ_S10_S11_S12_S16_S17_S18_S1B_S1C_jS1D_jS1E_S1E_jjS1G_bEUljE0_EEESZ_S10_S11_S18_S1C_S1E_T6_T7_T9_mT8_S1G_bDpT10_ENKUlT_T0_E_clISt17integral_constantIbLb0EES1T_IbLb1EEEEDaS1P_S1Q_EUlS1P_E_NS1_11comp_targetILNS1_3genE3ELNS1_11target_archE908ELNS1_3gpuE7ELNS1_3repE0EEENS1_30default_config_static_selectorELNS0_4arch9wavefront6targetE0EEEvS12_
; %bb.0:
	.section	.rodata,"a",@progbits
	.p2align	6, 0x0
	.amdhsa_kernel _ZN7rocprim17ROCPRIM_400000_NS6detail17trampoline_kernelINS0_13select_configILj256ELj13ELNS0_17block_load_methodE3ELS4_3ELS4_3ELNS0_20block_scan_algorithmE0ELj4294967295EEENS1_25partition_config_selectorILNS1_17partition_subalgoE4EjNS0_10empty_typeEbEEZZNS1_14partition_implILS8_4ELb0ES6_15HIP_vector_typeIjLj2EENS0_17counting_iteratorIjlEEPS9_SG_NS0_5tupleIJPjSI_NS0_16reverse_iteratorISI_EEEEENSH_IJSG_SG_SG_EEES9_SI_JZNS1_25segmented_radix_sort_implINS0_14default_configELb1EPKsPsPKlPlN2at6native12_GLOBAL__N_18offset_tEEE10hipError_tPvRmT1_PNSt15iterator_traitsIS12_E10value_typeET2_T3_PNS13_IS18_E10value_typeET4_jRbjT5_S1E_jjP12ihipStream_tbEUljE_ZNSN_ISO_Lb1ESQ_SR_ST_SU_SY_EESZ_S10_S11_S12_S16_S17_S18_S1B_S1C_jS1D_jS1E_S1E_jjS1G_bEUljE0_EEESZ_S10_S11_S18_S1C_S1E_T6_T7_T9_mT8_S1G_bDpT10_ENKUlT_T0_E_clISt17integral_constantIbLb0EES1T_IbLb1EEEEDaS1P_S1Q_EUlS1P_E_NS1_11comp_targetILNS1_3genE3ELNS1_11target_archE908ELNS1_3gpuE7ELNS1_3repE0EEENS1_30default_config_static_selectorELNS0_4arch9wavefront6targetE0EEEvS12_
		.amdhsa_group_segment_fixed_size 0
		.amdhsa_private_segment_fixed_size 0
		.amdhsa_kernarg_size 184
		.amdhsa_user_sgpr_count 6
		.amdhsa_user_sgpr_private_segment_buffer 1
		.amdhsa_user_sgpr_dispatch_ptr 0
		.amdhsa_user_sgpr_queue_ptr 0
		.amdhsa_user_sgpr_kernarg_segment_ptr 1
		.amdhsa_user_sgpr_dispatch_id 0
		.amdhsa_user_sgpr_flat_scratch_init 0
		.amdhsa_user_sgpr_private_segment_size 0
		.amdhsa_wavefront_size32 1
		.amdhsa_uses_dynamic_stack 0
		.amdhsa_system_sgpr_private_segment_wavefront_offset 0
		.amdhsa_system_sgpr_workgroup_id_x 1
		.amdhsa_system_sgpr_workgroup_id_y 0
		.amdhsa_system_sgpr_workgroup_id_z 0
		.amdhsa_system_sgpr_workgroup_info 0
		.amdhsa_system_vgpr_workitem_id 0
		.amdhsa_next_free_vgpr 1
		.amdhsa_next_free_sgpr 1
		.amdhsa_reserve_vcc 0
		.amdhsa_reserve_flat_scratch 0
		.amdhsa_float_round_mode_32 0
		.amdhsa_float_round_mode_16_64 0
		.amdhsa_float_denorm_mode_32 3
		.amdhsa_float_denorm_mode_16_64 3
		.amdhsa_dx10_clamp 1
		.amdhsa_ieee_mode 1
		.amdhsa_fp16_overflow 0
		.amdhsa_workgroup_processor_mode 1
		.amdhsa_memory_ordered 1
		.amdhsa_forward_progress 1
		.amdhsa_shared_vgpr_count 0
		.amdhsa_exception_fp_ieee_invalid_op 0
		.amdhsa_exception_fp_denorm_src 0
		.amdhsa_exception_fp_ieee_div_zero 0
		.amdhsa_exception_fp_ieee_overflow 0
		.amdhsa_exception_fp_ieee_underflow 0
		.amdhsa_exception_fp_ieee_inexact 0
		.amdhsa_exception_int_div_zero 0
	.end_amdhsa_kernel
	.section	.text._ZN7rocprim17ROCPRIM_400000_NS6detail17trampoline_kernelINS0_13select_configILj256ELj13ELNS0_17block_load_methodE3ELS4_3ELS4_3ELNS0_20block_scan_algorithmE0ELj4294967295EEENS1_25partition_config_selectorILNS1_17partition_subalgoE4EjNS0_10empty_typeEbEEZZNS1_14partition_implILS8_4ELb0ES6_15HIP_vector_typeIjLj2EENS0_17counting_iteratorIjlEEPS9_SG_NS0_5tupleIJPjSI_NS0_16reverse_iteratorISI_EEEEENSH_IJSG_SG_SG_EEES9_SI_JZNS1_25segmented_radix_sort_implINS0_14default_configELb1EPKsPsPKlPlN2at6native12_GLOBAL__N_18offset_tEEE10hipError_tPvRmT1_PNSt15iterator_traitsIS12_E10value_typeET2_T3_PNS13_IS18_E10value_typeET4_jRbjT5_S1E_jjP12ihipStream_tbEUljE_ZNSN_ISO_Lb1ESQ_SR_ST_SU_SY_EESZ_S10_S11_S12_S16_S17_S18_S1B_S1C_jS1D_jS1E_S1E_jjS1G_bEUljE0_EEESZ_S10_S11_S18_S1C_S1E_T6_T7_T9_mT8_S1G_bDpT10_ENKUlT_T0_E_clISt17integral_constantIbLb0EES1T_IbLb1EEEEDaS1P_S1Q_EUlS1P_E_NS1_11comp_targetILNS1_3genE3ELNS1_11target_archE908ELNS1_3gpuE7ELNS1_3repE0EEENS1_30default_config_static_selectorELNS0_4arch9wavefront6targetE0EEEvS12_,"axG",@progbits,_ZN7rocprim17ROCPRIM_400000_NS6detail17trampoline_kernelINS0_13select_configILj256ELj13ELNS0_17block_load_methodE3ELS4_3ELS4_3ELNS0_20block_scan_algorithmE0ELj4294967295EEENS1_25partition_config_selectorILNS1_17partition_subalgoE4EjNS0_10empty_typeEbEEZZNS1_14partition_implILS8_4ELb0ES6_15HIP_vector_typeIjLj2EENS0_17counting_iteratorIjlEEPS9_SG_NS0_5tupleIJPjSI_NS0_16reverse_iteratorISI_EEEEENSH_IJSG_SG_SG_EEES9_SI_JZNS1_25segmented_radix_sort_implINS0_14default_configELb1EPKsPsPKlPlN2at6native12_GLOBAL__N_18offset_tEEE10hipError_tPvRmT1_PNSt15iterator_traitsIS12_E10value_typeET2_T3_PNS13_IS18_E10value_typeET4_jRbjT5_S1E_jjP12ihipStream_tbEUljE_ZNSN_ISO_Lb1ESQ_SR_ST_SU_SY_EESZ_S10_S11_S12_S16_S17_S18_S1B_S1C_jS1D_jS1E_S1E_jjS1G_bEUljE0_EEESZ_S10_S11_S18_S1C_S1E_T6_T7_T9_mT8_S1G_bDpT10_ENKUlT_T0_E_clISt17integral_constantIbLb0EES1T_IbLb1EEEEDaS1P_S1Q_EUlS1P_E_NS1_11comp_targetILNS1_3genE3ELNS1_11target_archE908ELNS1_3gpuE7ELNS1_3repE0EEENS1_30default_config_static_selectorELNS0_4arch9wavefront6targetE0EEEvS12_,comdat
.Lfunc_end868:
	.size	_ZN7rocprim17ROCPRIM_400000_NS6detail17trampoline_kernelINS0_13select_configILj256ELj13ELNS0_17block_load_methodE3ELS4_3ELS4_3ELNS0_20block_scan_algorithmE0ELj4294967295EEENS1_25partition_config_selectorILNS1_17partition_subalgoE4EjNS0_10empty_typeEbEEZZNS1_14partition_implILS8_4ELb0ES6_15HIP_vector_typeIjLj2EENS0_17counting_iteratorIjlEEPS9_SG_NS0_5tupleIJPjSI_NS0_16reverse_iteratorISI_EEEEENSH_IJSG_SG_SG_EEES9_SI_JZNS1_25segmented_radix_sort_implINS0_14default_configELb1EPKsPsPKlPlN2at6native12_GLOBAL__N_18offset_tEEE10hipError_tPvRmT1_PNSt15iterator_traitsIS12_E10value_typeET2_T3_PNS13_IS18_E10value_typeET4_jRbjT5_S1E_jjP12ihipStream_tbEUljE_ZNSN_ISO_Lb1ESQ_SR_ST_SU_SY_EESZ_S10_S11_S12_S16_S17_S18_S1B_S1C_jS1D_jS1E_S1E_jjS1G_bEUljE0_EEESZ_S10_S11_S18_S1C_S1E_T6_T7_T9_mT8_S1G_bDpT10_ENKUlT_T0_E_clISt17integral_constantIbLb0EES1T_IbLb1EEEEDaS1P_S1Q_EUlS1P_E_NS1_11comp_targetILNS1_3genE3ELNS1_11target_archE908ELNS1_3gpuE7ELNS1_3repE0EEENS1_30default_config_static_selectorELNS0_4arch9wavefront6targetE0EEEvS12_, .Lfunc_end868-_ZN7rocprim17ROCPRIM_400000_NS6detail17trampoline_kernelINS0_13select_configILj256ELj13ELNS0_17block_load_methodE3ELS4_3ELS4_3ELNS0_20block_scan_algorithmE0ELj4294967295EEENS1_25partition_config_selectorILNS1_17partition_subalgoE4EjNS0_10empty_typeEbEEZZNS1_14partition_implILS8_4ELb0ES6_15HIP_vector_typeIjLj2EENS0_17counting_iteratorIjlEEPS9_SG_NS0_5tupleIJPjSI_NS0_16reverse_iteratorISI_EEEEENSH_IJSG_SG_SG_EEES9_SI_JZNS1_25segmented_radix_sort_implINS0_14default_configELb1EPKsPsPKlPlN2at6native12_GLOBAL__N_18offset_tEEE10hipError_tPvRmT1_PNSt15iterator_traitsIS12_E10value_typeET2_T3_PNS13_IS18_E10value_typeET4_jRbjT5_S1E_jjP12ihipStream_tbEUljE_ZNSN_ISO_Lb1ESQ_SR_ST_SU_SY_EESZ_S10_S11_S12_S16_S17_S18_S1B_S1C_jS1D_jS1E_S1E_jjS1G_bEUljE0_EEESZ_S10_S11_S18_S1C_S1E_T6_T7_T9_mT8_S1G_bDpT10_ENKUlT_T0_E_clISt17integral_constantIbLb0EES1T_IbLb1EEEEDaS1P_S1Q_EUlS1P_E_NS1_11comp_targetILNS1_3genE3ELNS1_11target_archE908ELNS1_3gpuE7ELNS1_3repE0EEENS1_30default_config_static_selectorELNS0_4arch9wavefront6targetE0EEEvS12_
                                        ; -- End function
	.set _ZN7rocprim17ROCPRIM_400000_NS6detail17trampoline_kernelINS0_13select_configILj256ELj13ELNS0_17block_load_methodE3ELS4_3ELS4_3ELNS0_20block_scan_algorithmE0ELj4294967295EEENS1_25partition_config_selectorILNS1_17partition_subalgoE4EjNS0_10empty_typeEbEEZZNS1_14partition_implILS8_4ELb0ES6_15HIP_vector_typeIjLj2EENS0_17counting_iteratorIjlEEPS9_SG_NS0_5tupleIJPjSI_NS0_16reverse_iteratorISI_EEEEENSH_IJSG_SG_SG_EEES9_SI_JZNS1_25segmented_radix_sort_implINS0_14default_configELb1EPKsPsPKlPlN2at6native12_GLOBAL__N_18offset_tEEE10hipError_tPvRmT1_PNSt15iterator_traitsIS12_E10value_typeET2_T3_PNS13_IS18_E10value_typeET4_jRbjT5_S1E_jjP12ihipStream_tbEUljE_ZNSN_ISO_Lb1ESQ_SR_ST_SU_SY_EESZ_S10_S11_S12_S16_S17_S18_S1B_S1C_jS1D_jS1E_S1E_jjS1G_bEUljE0_EEESZ_S10_S11_S18_S1C_S1E_T6_T7_T9_mT8_S1G_bDpT10_ENKUlT_T0_E_clISt17integral_constantIbLb0EES1T_IbLb1EEEEDaS1P_S1Q_EUlS1P_E_NS1_11comp_targetILNS1_3genE3ELNS1_11target_archE908ELNS1_3gpuE7ELNS1_3repE0EEENS1_30default_config_static_selectorELNS0_4arch9wavefront6targetE0EEEvS12_.num_vgpr, 0
	.set _ZN7rocprim17ROCPRIM_400000_NS6detail17trampoline_kernelINS0_13select_configILj256ELj13ELNS0_17block_load_methodE3ELS4_3ELS4_3ELNS0_20block_scan_algorithmE0ELj4294967295EEENS1_25partition_config_selectorILNS1_17partition_subalgoE4EjNS0_10empty_typeEbEEZZNS1_14partition_implILS8_4ELb0ES6_15HIP_vector_typeIjLj2EENS0_17counting_iteratorIjlEEPS9_SG_NS0_5tupleIJPjSI_NS0_16reverse_iteratorISI_EEEEENSH_IJSG_SG_SG_EEES9_SI_JZNS1_25segmented_radix_sort_implINS0_14default_configELb1EPKsPsPKlPlN2at6native12_GLOBAL__N_18offset_tEEE10hipError_tPvRmT1_PNSt15iterator_traitsIS12_E10value_typeET2_T3_PNS13_IS18_E10value_typeET4_jRbjT5_S1E_jjP12ihipStream_tbEUljE_ZNSN_ISO_Lb1ESQ_SR_ST_SU_SY_EESZ_S10_S11_S12_S16_S17_S18_S1B_S1C_jS1D_jS1E_S1E_jjS1G_bEUljE0_EEESZ_S10_S11_S18_S1C_S1E_T6_T7_T9_mT8_S1G_bDpT10_ENKUlT_T0_E_clISt17integral_constantIbLb0EES1T_IbLb1EEEEDaS1P_S1Q_EUlS1P_E_NS1_11comp_targetILNS1_3genE3ELNS1_11target_archE908ELNS1_3gpuE7ELNS1_3repE0EEENS1_30default_config_static_selectorELNS0_4arch9wavefront6targetE0EEEvS12_.num_agpr, 0
	.set _ZN7rocprim17ROCPRIM_400000_NS6detail17trampoline_kernelINS0_13select_configILj256ELj13ELNS0_17block_load_methodE3ELS4_3ELS4_3ELNS0_20block_scan_algorithmE0ELj4294967295EEENS1_25partition_config_selectorILNS1_17partition_subalgoE4EjNS0_10empty_typeEbEEZZNS1_14partition_implILS8_4ELb0ES6_15HIP_vector_typeIjLj2EENS0_17counting_iteratorIjlEEPS9_SG_NS0_5tupleIJPjSI_NS0_16reverse_iteratorISI_EEEEENSH_IJSG_SG_SG_EEES9_SI_JZNS1_25segmented_radix_sort_implINS0_14default_configELb1EPKsPsPKlPlN2at6native12_GLOBAL__N_18offset_tEEE10hipError_tPvRmT1_PNSt15iterator_traitsIS12_E10value_typeET2_T3_PNS13_IS18_E10value_typeET4_jRbjT5_S1E_jjP12ihipStream_tbEUljE_ZNSN_ISO_Lb1ESQ_SR_ST_SU_SY_EESZ_S10_S11_S12_S16_S17_S18_S1B_S1C_jS1D_jS1E_S1E_jjS1G_bEUljE0_EEESZ_S10_S11_S18_S1C_S1E_T6_T7_T9_mT8_S1G_bDpT10_ENKUlT_T0_E_clISt17integral_constantIbLb0EES1T_IbLb1EEEEDaS1P_S1Q_EUlS1P_E_NS1_11comp_targetILNS1_3genE3ELNS1_11target_archE908ELNS1_3gpuE7ELNS1_3repE0EEENS1_30default_config_static_selectorELNS0_4arch9wavefront6targetE0EEEvS12_.numbered_sgpr, 0
	.set _ZN7rocprim17ROCPRIM_400000_NS6detail17trampoline_kernelINS0_13select_configILj256ELj13ELNS0_17block_load_methodE3ELS4_3ELS4_3ELNS0_20block_scan_algorithmE0ELj4294967295EEENS1_25partition_config_selectorILNS1_17partition_subalgoE4EjNS0_10empty_typeEbEEZZNS1_14partition_implILS8_4ELb0ES6_15HIP_vector_typeIjLj2EENS0_17counting_iteratorIjlEEPS9_SG_NS0_5tupleIJPjSI_NS0_16reverse_iteratorISI_EEEEENSH_IJSG_SG_SG_EEES9_SI_JZNS1_25segmented_radix_sort_implINS0_14default_configELb1EPKsPsPKlPlN2at6native12_GLOBAL__N_18offset_tEEE10hipError_tPvRmT1_PNSt15iterator_traitsIS12_E10value_typeET2_T3_PNS13_IS18_E10value_typeET4_jRbjT5_S1E_jjP12ihipStream_tbEUljE_ZNSN_ISO_Lb1ESQ_SR_ST_SU_SY_EESZ_S10_S11_S12_S16_S17_S18_S1B_S1C_jS1D_jS1E_S1E_jjS1G_bEUljE0_EEESZ_S10_S11_S18_S1C_S1E_T6_T7_T9_mT8_S1G_bDpT10_ENKUlT_T0_E_clISt17integral_constantIbLb0EES1T_IbLb1EEEEDaS1P_S1Q_EUlS1P_E_NS1_11comp_targetILNS1_3genE3ELNS1_11target_archE908ELNS1_3gpuE7ELNS1_3repE0EEENS1_30default_config_static_selectorELNS0_4arch9wavefront6targetE0EEEvS12_.num_named_barrier, 0
	.set _ZN7rocprim17ROCPRIM_400000_NS6detail17trampoline_kernelINS0_13select_configILj256ELj13ELNS0_17block_load_methodE3ELS4_3ELS4_3ELNS0_20block_scan_algorithmE0ELj4294967295EEENS1_25partition_config_selectorILNS1_17partition_subalgoE4EjNS0_10empty_typeEbEEZZNS1_14partition_implILS8_4ELb0ES6_15HIP_vector_typeIjLj2EENS0_17counting_iteratorIjlEEPS9_SG_NS0_5tupleIJPjSI_NS0_16reverse_iteratorISI_EEEEENSH_IJSG_SG_SG_EEES9_SI_JZNS1_25segmented_radix_sort_implINS0_14default_configELb1EPKsPsPKlPlN2at6native12_GLOBAL__N_18offset_tEEE10hipError_tPvRmT1_PNSt15iterator_traitsIS12_E10value_typeET2_T3_PNS13_IS18_E10value_typeET4_jRbjT5_S1E_jjP12ihipStream_tbEUljE_ZNSN_ISO_Lb1ESQ_SR_ST_SU_SY_EESZ_S10_S11_S12_S16_S17_S18_S1B_S1C_jS1D_jS1E_S1E_jjS1G_bEUljE0_EEESZ_S10_S11_S18_S1C_S1E_T6_T7_T9_mT8_S1G_bDpT10_ENKUlT_T0_E_clISt17integral_constantIbLb0EES1T_IbLb1EEEEDaS1P_S1Q_EUlS1P_E_NS1_11comp_targetILNS1_3genE3ELNS1_11target_archE908ELNS1_3gpuE7ELNS1_3repE0EEENS1_30default_config_static_selectorELNS0_4arch9wavefront6targetE0EEEvS12_.private_seg_size, 0
	.set _ZN7rocprim17ROCPRIM_400000_NS6detail17trampoline_kernelINS0_13select_configILj256ELj13ELNS0_17block_load_methodE3ELS4_3ELS4_3ELNS0_20block_scan_algorithmE0ELj4294967295EEENS1_25partition_config_selectorILNS1_17partition_subalgoE4EjNS0_10empty_typeEbEEZZNS1_14partition_implILS8_4ELb0ES6_15HIP_vector_typeIjLj2EENS0_17counting_iteratorIjlEEPS9_SG_NS0_5tupleIJPjSI_NS0_16reverse_iteratorISI_EEEEENSH_IJSG_SG_SG_EEES9_SI_JZNS1_25segmented_radix_sort_implINS0_14default_configELb1EPKsPsPKlPlN2at6native12_GLOBAL__N_18offset_tEEE10hipError_tPvRmT1_PNSt15iterator_traitsIS12_E10value_typeET2_T3_PNS13_IS18_E10value_typeET4_jRbjT5_S1E_jjP12ihipStream_tbEUljE_ZNSN_ISO_Lb1ESQ_SR_ST_SU_SY_EESZ_S10_S11_S12_S16_S17_S18_S1B_S1C_jS1D_jS1E_S1E_jjS1G_bEUljE0_EEESZ_S10_S11_S18_S1C_S1E_T6_T7_T9_mT8_S1G_bDpT10_ENKUlT_T0_E_clISt17integral_constantIbLb0EES1T_IbLb1EEEEDaS1P_S1Q_EUlS1P_E_NS1_11comp_targetILNS1_3genE3ELNS1_11target_archE908ELNS1_3gpuE7ELNS1_3repE0EEENS1_30default_config_static_selectorELNS0_4arch9wavefront6targetE0EEEvS12_.uses_vcc, 0
	.set _ZN7rocprim17ROCPRIM_400000_NS6detail17trampoline_kernelINS0_13select_configILj256ELj13ELNS0_17block_load_methodE3ELS4_3ELS4_3ELNS0_20block_scan_algorithmE0ELj4294967295EEENS1_25partition_config_selectorILNS1_17partition_subalgoE4EjNS0_10empty_typeEbEEZZNS1_14partition_implILS8_4ELb0ES6_15HIP_vector_typeIjLj2EENS0_17counting_iteratorIjlEEPS9_SG_NS0_5tupleIJPjSI_NS0_16reverse_iteratorISI_EEEEENSH_IJSG_SG_SG_EEES9_SI_JZNS1_25segmented_radix_sort_implINS0_14default_configELb1EPKsPsPKlPlN2at6native12_GLOBAL__N_18offset_tEEE10hipError_tPvRmT1_PNSt15iterator_traitsIS12_E10value_typeET2_T3_PNS13_IS18_E10value_typeET4_jRbjT5_S1E_jjP12ihipStream_tbEUljE_ZNSN_ISO_Lb1ESQ_SR_ST_SU_SY_EESZ_S10_S11_S12_S16_S17_S18_S1B_S1C_jS1D_jS1E_S1E_jjS1G_bEUljE0_EEESZ_S10_S11_S18_S1C_S1E_T6_T7_T9_mT8_S1G_bDpT10_ENKUlT_T0_E_clISt17integral_constantIbLb0EES1T_IbLb1EEEEDaS1P_S1Q_EUlS1P_E_NS1_11comp_targetILNS1_3genE3ELNS1_11target_archE908ELNS1_3gpuE7ELNS1_3repE0EEENS1_30default_config_static_selectorELNS0_4arch9wavefront6targetE0EEEvS12_.uses_flat_scratch, 0
	.set _ZN7rocprim17ROCPRIM_400000_NS6detail17trampoline_kernelINS0_13select_configILj256ELj13ELNS0_17block_load_methodE3ELS4_3ELS4_3ELNS0_20block_scan_algorithmE0ELj4294967295EEENS1_25partition_config_selectorILNS1_17partition_subalgoE4EjNS0_10empty_typeEbEEZZNS1_14partition_implILS8_4ELb0ES6_15HIP_vector_typeIjLj2EENS0_17counting_iteratorIjlEEPS9_SG_NS0_5tupleIJPjSI_NS0_16reverse_iteratorISI_EEEEENSH_IJSG_SG_SG_EEES9_SI_JZNS1_25segmented_radix_sort_implINS0_14default_configELb1EPKsPsPKlPlN2at6native12_GLOBAL__N_18offset_tEEE10hipError_tPvRmT1_PNSt15iterator_traitsIS12_E10value_typeET2_T3_PNS13_IS18_E10value_typeET4_jRbjT5_S1E_jjP12ihipStream_tbEUljE_ZNSN_ISO_Lb1ESQ_SR_ST_SU_SY_EESZ_S10_S11_S12_S16_S17_S18_S1B_S1C_jS1D_jS1E_S1E_jjS1G_bEUljE0_EEESZ_S10_S11_S18_S1C_S1E_T6_T7_T9_mT8_S1G_bDpT10_ENKUlT_T0_E_clISt17integral_constantIbLb0EES1T_IbLb1EEEEDaS1P_S1Q_EUlS1P_E_NS1_11comp_targetILNS1_3genE3ELNS1_11target_archE908ELNS1_3gpuE7ELNS1_3repE0EEENS1_30default_config_static_selectorELNS0_4arch9wavefront6targetE0EEEvS12_.has_dyn_sized_stack, 0
	.set _ZN7rocprim17ROCPRIM_400000_NS6detail17trampoline_kernelINS0_13select_configILj256ELj13ELNS0_17block_load_methodE3ELS4_3ELS4_3ELNS0_20block_scan_algorithmE0ELj4294967295EEENS1_25partition_config_selectorILNS1_17partition_subalgoE4EjNS0_10empty_typeEbEEZZNS1_14partition_implILS8_4ELb0ES6_15HIP_vector_typeIjLj2EENS0_17counting_iteratorIjlEEPS9_SG_NS0_5tupleIJPjSI_NS0_16reverse_iteratorISI_EEEEENSH_IJSG_SG_SG_EEES9_SI_JZNS1_25segmented_radix_sort_implINS0_14default_configELb1EPKsPsPKlPlN2at6native12_GLOBAL__N_18offset_tEEE10hipError_tPvRmT1_PNSt15iterator_traitsIS12_E10value_typeET2_T3_PNS13_IS18_E10value_typeET4_jRbjT5_S1E_jjP12ihipStream_tbEUljE_ZNSN_ISO_Lb1ESQ_SR_ST_SU_SY_EESZ_S10_S11_S12_S16_S17_S18_S1B_S1C_jS1D_jS1E_S1E_jjS1G_bEUljE0_EEESZ_S10_S11_S18_S1C_S1E_T6_T7_T9_mT8_S1G_bDpT10_ENKUlT_T0_E_clISt17integral_constantIbLb0EES1T_IbLb1EEEEDaS1P_S1Q_EUlS1P_E_NS1_11comp_targetILNS1_3genE3ELNS1_11target_archE908ELNS1_3gpuE7ELNS1_3repE0EEENS1_30default_config_static_selectorELNS0_4arch9wavefront6targetE0EEEvS12_.has_recursion, 0
	.set _ZN7rocprim17ROCPRIM_400000_NS6detail17trampoline_kernelINS0_13select_configILj256ELj13ELNS0_17block_load_methodE3ELS4_3ELS4_3ELNS0_20block_scan_algorithmE0ELj4294967295EEENS1_25partition_config_selectorILNS1_17partition_subalgoE4EjNS0_10empty_typeEbEEZZNS1_14partition_implILS8_4ELb0ES6_15HIP_vector_typeIjLj2EENS0_17counting_iteratorIjlEEPS9_SG_NS0_5tupleIJPjSI_NS0_16reverse_iteratorISI_EEEEENSH_IJSG_SG_SG_EEES9_SI_JZNS1_25segmented_radix_sort_implINS0_14default_configELb1EPKsPsPKlPlN2at6native12_GLOBAL__N_18offset_tEEE10hipError_tPvRmT1_PNSt15iterator_traitsIS12_E10value_typeET2_T3_PNS13_IS18_E10value_typeET4_jRbjT5_S1E_jjP12ihipStream_tbEUljE_ZNSN_ISO_Lb1ESQ_SR_ST_SU_SY_EESZ_S10_S11_S12_S16_S17_S18_S1B_S1C_jS1D_jS1E_S1E_jjS1G_bEUljE0_EEESZ_S10_S11_S18_S1C_S1E_T6_T7_T9_mT8_S1G_bDpT10_ENKUlT_T0_E_clISt17integral_constantIbLb0EES1T_IbLb1EEEEDaS1P_S1Q_EUlS1P_E_NS1_11comp_targetILNS1_3genE3ELNS1_11target_archE908ELNS1_3gpuE7ELNS1_3repE0EEENS1_30default_config_static_selectorELNS0_4arch9wavefront6targetE0EEEvS12_.has_indirect_call, 0
	.section	.AMDGPU.csdata,"",@progbits
; Kernel info:
; codeLenInByte = 0
; TotalNumSgprs: 0
; NumVgprs: 0
; ScratchSize: 0
; MemoryBound: 0
; FloatMode: 240
; IeeeMode: 1
; LDSByteSize: 0 bytes/workgroup (compile time only)
; SGPRBlocks: 0
; VGPRBlocks: 0
; NumSGPRsForWavesPerEU: 1
; NumVGPRsForWavesPerEU: 1
; Occupancy: 16
; WaveLimiterHint : 0
; COMPUTE_PGM_RSRC2:SCRATCH_EN: 0
; COMPUTE_PGM_RSRC2:USER_SGPR: 6
; COMPUTE_PGM_RSRC2:TRAP_HANDLER: 0
; COMPUTE_PGM_RSRC2:TGID_X_EN: 1
; COMPUTE_PGM_RSRC2:TGID_Y_EN: 0
; COMPUTE_PGM_RSRC2:TGID_Z_EN: 0
; COMPUTE_PGM_RSRC2:TIDIG_COMP_CNT: 0
	.section	.text._ZN7rocprim17ROCPRIM_400000_NS6detail17trampoline_kernelINS0_13select_configILj256ELj13ELNS0_17block_load_methodE3ELS4_3ELS4_3ELNS0_20block_scan_algorithmE0ELj4294967295EEENS1_25partition_config_selectorILNS1_17partition_subalgoE4EjNS0_10empty_typeEbEEZZNS1_14partition_implILS8_4ELb0ES6_15HIP_vector_typeIjLj2EENS0_17counting_iteratorIjlEEPS9_SG_NS0_5tupleIJPjSI_NS0_16reverse_iteratorISI_EEEEENSH_IJSG_SG_SG_EEES9_SI_JZNS1_25segmented_radix_sort_implINS0_14default_configELb1EPKsPsPKlPlN2at6native12_GLOBAL__N_18offset_tEEE10hipError_tPvRmT1_PNSt15iterator_traitsIS12_E10value_typeET2_T3_PNS13_IS18_E10value_typeET4_jRbjT5_S1E_jjP12ihipStream_tbEUljE_ZNSN_ISO_Lb1ESQ_SR_ST_SU_SY_EESZ_S10_S11_S12_S16_S17_S18_S1B_S1C_jS1D_jS1E_S1E_jjS1G_bEUljE0_EEESZ_S10_S11_S18_S1C_S1E_T6_T7_T9_mT8_S1G_bDpT10_ENKUlT_T0_E_clISt17integral_constantIbLb0EES1T_IbLb1EEEEDaS1P_S1Q_EUlS1P_E_NS1_11comp_targetILNS1_3genE2ELNS1_11target_archE906ELNS1_3gpuE6ELNS1_3repE0EEENS1_30default_config_static_selectorELNS0_4arch9wavefront6targetE0EEEvS12_,"axG",@progbits,_ZN7rocprim17ROCPRIM_400000_NS6detail17trampoline_kernelINS0_13select_configILj256ELj13ELNS0_17block_load_methodE3ELS4_3ELS4_3ELNS0_20block_scan_algorithmE0ELj4294967295EEENS1_25partition_config_selectorILNS1_17partition_subalgoE4EjNS0_10empty_typeEbEEZZNS1_14partition_implILS8_4ELb0ES6_15HIP_vector_typeIjLj2EENS0_17counting_iteratorIjlEEPS9_SG_NS0_5tupleIJPjSI_NS0_16reverse_iteratorISI_EEEEENSH_IJSG_SG_SG_EEES9_SI_JZNS1_25segmented_radix_sort_implINS0_14default_configELb1EPKsPsPKlPlN2at6native12_GLOBAL__N_18offset_tEEE10hipError_tPvRmT1_PNSt15iterator_traitsIS12_E10value_typeET2_T3_PNS13_IS18_E10value_typeET4_jRbjT5_S1E_jjP12ihipStream_tbEUljE_ZNSN_ISO_Lb1ESQ_SR_ST_SU_SY_EESZ_S10_S11_S12_S16_S17_S18_S1B_S1C_jS1D_jS1E_S1E_jjS1G_bEUljE0_EEESZ_S10_S11_S18_S1C_S1E_T6_T7_T9_mT8_S1G_bDpT10_ENKUlT_T0_E_clISt17integral_constantIbLb0EES1T_IbLb1EEEEDaS1P_S1Q_EUlS1P_E_NS1_11comp_targetILNS1_3genE2ELNS1_11target_archE906ELNS1_3gpuE6ELNS1_3repE0EEENS1_30default_config_static_selectorELNS0_4arch9wavefront6targetE0EEEvS12_,comdat
	.globl	_ZN7rocprim17ROCPRIM_400000_NS6detail17trampoline_kernelINS0_13select_configILj256ELj13ELNS0_17block_load_methodE3ELS4_3ELS4_3ELNS0_20block_scan_algorithmE0ELj4294967295EEENS1_25partition_config_selectorILNS1_17partition_subalgoE4EjNS0_10empty_typeEbEEZZNS1_14partition_implILS8_4ELb0ES6_15HIP_vector_typeIjLj2EENS0_17counting_iteratorIjlEEPS9_SG_NS0_5tupleIJPjSI_NS0_16reverse_iteratorISI_EEEEENSH_IJSG_SG_SG_EEES9_SI_JZNS1_25segmented_radix_sort_implINS0_14default_configELb1EPKsPsPKlPlN2at6native12_GLOBAL__N_18offset_tEEE10hipError_tPvRmT1_PNSt15iterator_traitsIS12_E10value_typeET2_T3_PNS13_IS18_E10value_typeET4_jRbjT5_S1E_jjP12ihipStream_tbEUljE_ZNSN_ISO_Lb1ESQ_SR_ST_SU_SY_EESZ_S10_S11_S12_S16_S17_S18_S1B_S1C_jS1D_jS1E_S1E_jjS1G_bEUljE0_EEESZ_S10_S11_S18_S1C_S1E_T6_T7_T9_mT8_S1G_bDpT10_ENKUlT_T0_E_clISt17integral_constantIbLb0EES1T_IbLb1EEEEDaS1P_S1Q_EUlS1P_E_NS1_11comp_targetILNS1_3genE2ELNS1_11target_archE906ELNS1_3gpuE6ELNS1_3repE0EEENS1_30default_config_static_selectorELNS0_4arch9wavefront6targetE0EEEvS12_ ; -- Begin function _ZN7rocprim17ROCPRIM_400000_NS6detail17trampoline_kernelINS0_13select_configILj256ELj13ELNS0_17block_load_methodE3ELS4_3ELS4_3ELNS0_20block_scan_algorithmE0ELj4294967295EEENS1_25partition_config_selectorILNS1_17partition_subalgoE4EjNS0_10empty_typeEbEEZZNS1_14partition_implILS8_4ELb0ES6_15HIP_vector_typeIjLj2EENS0_17counting_iteratorIjlEEPS9_SG_NS0_5tupleIJPjSI_NS0_16reverse_iteratorISI_EEEEENSH_IJSG_SG_SG_EEES9_SI_JZNS1_25segmented_radix_sort_implINS0_14default_configELb1EPKsPsPKlPlN2at6native12_GLOBAL__N_18offset_tEEE10hipError_tPvRmT1_PNSt15iterator_traitsIS12_E10value_typeET2_T3_PNS13_IS18_E10value_typeET4_jRbjT5_S1E_jjP12ihipStream_tbEUljE_ZNSN_ISO_Lb1ESQ_SR_ST_SU_SY_EESZ_S10_S11_S12_S16_S17_S18_S1B_S1C_jS1D_jS1E_S1E_jjS1G_bEUljE0_EEESZ_S10_S11_S18_S1C_S1E_T6_T7_T9_mT8_S1G_bDpT10_ENKUlT_T0_E_clISt17integral_constantIbLb0EES1T_IbLb1EEEEDaS1P_S1Q_EUlS1P_E_NS1_11comp_targetILNS1_3genE2ELNS1_11target_archE906ELNS1_3gpuE6ELNS1_3repE0EEENS1_30default_config_static_selectorELNS0_4arch9wavefront6targetE0EEEvS12_
	.p2align	8
	.type	_ZN7rocprim17ROCPRIM_400000_NS6detail17trampoline_kernelINS0_13select_configILj256ELj13ELNS0_17block_load_methodE3ELS4_3ELS4_3ELNS0_20block_scan_algorithmE0ELj4294967295EEENS1_25partition_config_selectorILNS1_17partition_subalgoE4EjNS0_10empty_typeEbEEZZNS1_14partition_implILS8_4ELb0ES6_15HIP_vector_typeIjLj2EENS0_17counting_iteratorIjlEEPS9_SG_NS0_5tupleIJPjSI_NS0_16reverse_iteratorISI_EEEEENSH_IJSG_SG_SG_EEES9_SI_JZNS1_25segmented_radix_sort_implINS0_14default_configELb1EPKsPsPKlPlN2at6native12_GLOBAL__N_18offset_tEEE10hipError_tPvRmT1_PNSt15iterator_traitsIS12_E10value_typeET2_T3_PNS13_IS18_E10value_typeET4_jRbjT5_S1E_jjP12ihipStream_tbEUljE_ZNSN_ISO_Lb1ESQ_SR_ST_SU_SY_EESZ_S10_S11_S12_S16_S17_S18_S1B_S1C_jS1D_jS1E_S1E_jjS1G_bEUljE0_EEESZ_S10_S11_S18_S1C_S1E_T6_T7_T9_mT8_S1G_bDpT10_ENKUlT_T0_E_clISt17integral_constantIbLb0EES1T_IbLb1EEEEDaS1P_S1Q_EUlS1P_E_NS1_11comp_targetILNS1_3genE2ELNS1_11target_archE906ELNS1_3gpuE6ELNS1_3repE0EEENS1_30default_config_static_selectorELNS0_4arch9wavefront6targetE0EEEvS12_,@function
_ZN7rocprim17ROCPRIM_400000_NS6detail17trampoline_kernelINS0_13select_configILj256ELj13ELNS0_17block_load_methodE3ELS4_3ELS4_3ELNS0_20block_scan_algorithmE0ELj4294967295EEENS1_25partition_config_selectorILNS1_17partition_subalgoE4EjNS0_10empty_typeEbEEZZNS1_14partition_implILS8_4ELb0ES6_15HIP_vector_typeIjLj2EENS0_17counting_iteratorIjlEEPS9_SG_NS0_5tupleIJPjSI_NS0_16reverse_iteratorISI_EEEEENSH_IJSG_SG_SG_EEES9_SI_JZNS1_25segmented_radix_sort_implINS0_14default_configELb1EPKsPsPKlPlN2at6native12_GLOBAL__N_18offset_tEEE10hipError_tPvRmT1_PNSt15iterator_traitsIS12_E10value_typeET2_T3_PNS13_IS18_E10value_typeET4_jRbjT5_S1E_jjP12ihipStream_tbEUljE_ZNSN_ISO_Lb1ESQ_SR_ST_SU_SY_EESZ_S10_S11_S12_S16_S17_S18_S1B_S1C_jS1D_jS1E_S1E_jjS1G_bEUljE0_EEESZ_S10_S11_S18_S1C_S1E_T6_T7_T9_mT8_S1G_bDpT10_ENKUlT_T0_E_clISt17integral_constantIbLb0EES1T_IbLb1EEEEDaS1P_S1Q_EUlS1P_E_NS1_11comp_targetILNS1_3genE2ELNS1_11target_archE906ELNS1_3gpuE6ELNS1_3repE0EEENS1_30default_config_static_selectorELNS0_4arch9wavefront6targetE0EEEvS12_: ; @_ZN7rocprim17ROCPRIM_400000_NS6detail17trampoline_kernelINS0_13select_configILj256ELj13ELNS0_17block_load_methodE3ELS4_3ELS4_3ELNS0_20block_scan_algorithmE0ELj4294967295EEENS1_25partition_config_selectorILNS1_17partition_subalgoE4EjNS0_10empty_typeEbEEZZNS1_14partition_implILS8_4ELb0ES6_15HIP_vector_typeIjLj2EENS0_17counting_iteratorIjlEEPS9_SG_NS0_5tupleIJPjSI_NS0_16reverse_iteratorISI_EEEEENSH_IJSG_SG_SG_EEES9_SI_JZNS1_25segmented_radix_sort_implINS0_14default_configELb1EPKsPsPKlPlN2at6native12_GLOBAL__N_18offset_tEEE10hipError_tPvRmT1_PNSt15iterator_traitsIS12_E10value_typeET2_T3_PNS13_IS18_E10value_typeET4_jRbjT5_S1E_jjP12ihipStream_tbEUljE_ZNSN_ISO_Lb1ESQ_SR_ST_SU_SY_EESZ_S10_S11_S12_S16_S17_S18_S1B_S1C_jS1D_jS1E_S1E_jjS1G_bEUljE0_EEESZ_S10_S11_S18_S1C_S1E_T6_T7_T9_mT8_S1G_bDpT10_ENKUlT_T0_E_clISt17integral_constantIbLb0EES1T_IbLb1EEEEDaS1P_S1Q_EUlS1P_E_NS1_11comp_targetILNS1_3genE2ELNS1_11target_archE906ELNS1_3gpuE6ELNS1_3repE0EEENS1_30default_config_static_selectorELNS0_4arch9wavefront6targetE0EEEvS12_
; %bb.0:
	.section	.rodata,"a",@progbits
	.p2align	6, 0x0
	.amdhsa_kernel _ZN7rocprim17ROCPRIM_400000_NS6detail17trampoline_kernelINS0_13select_configILj256ELj13ELNS0_17block_load_methodE3ELS4_3ELS4_3ELNS0_20block_scan_algorithmE0ELj4294967295EEENS1_25partition_config_selectorILNS1_17partition_subalgoE4EjNS0_10empty_typeEbEEZZNS1_14partition_implILS8_4ELb0ES6_15HIP_vector_typeIjLj2EENS0_17counting_iteratorIjlEEPS9_SG_NS0_5tupleIJPjSI_NS0_16reverse_iteratorISI_EEEEENSH_IJSG_SG_SG_EEES9_SI_JZNS1_25segmented_radix_sort_implINS0_14default_configELb1EPKsPsPKlPlN2at6native12_GLOBAL__N_18offset_tEEE10hipError_tPvRmT1_PNSt15iterator_traitsIS12_E10value_typeET2_T3_PNS13_IS18_E10value_typeET4_jRbjT5_S1E_jjP12ihipStream_tbEUljE_ZNSN_ISO_Lb1ESQ_SR_ST_SU_SY_EESZ_S10_S11_S12_S16_S17_S18_S1B_S1C_jS1D_jS1E_S1E_jjS1G_bEUljE0_EEESZ_S10_S11_S18_S1C_S1E_T6_T7_T9_mT8_S1G_bDpT10_ENKUlT_T0_E_clISt17integral_constantIbLb0EES1T_IbLb1EEEEDaS1P_S1Q_EUlS1P_E_NS1_11comp_targetILNS1_3genE2ELNS1_11target_archE906ELNS1_3gpuE6ELNS1_3repE0EEENS1_30default_config_static_selectorELNS0_4arch9wavefront6targetE0EEEvS12_
		.amdhsa_group_segment_fixed_size 0
		.amdhsa_private_segment_fixed_size 0
		.amdhsa_kernarg_size 184
		.amdhsa_user_sgpr_count 6
		.amdhsa_user_sgpr_private_segment_buffer 1
		.amdhsa_user_sgpr_dispatch_ptr 0
		.amdhsa_user_sgpr_queue_ptr 0
		.amdhsa_user_sgpr_kernarg_segment_ptr 1
		.amdhsa_user_sgpr_dispatch_id 0
		.amdhsa_user_sgpr_flat_scratch_init 0
		.amdhsa_user_sgpr_private_segment_size 0
		.amdhsa_wavefront_size32 1
		.amdhsa_uses_dynamic_stack 0
		.amdhsa_system_sgpr_private_segment_wavefront_offset 0
		.amdhsa_system_sgpr_workgroup_id_x 1
		.amdhsa_system_sgpr_workgroup_id_y 0
		.amdhsa_system_sgpr_workgroup_id_z 0
		.amdhsa_system_sgpr_workgroup_info 0
		.amdhsa_system_vgpr_workitem_id 0
		.amdhsa_next_free_vgpr 1
		.amdhsa_next_free_sgpr 1
		.amdhsa_reserve_vcc 0
		.amdhsa_reserve_flat_scratch 0
		.amdhsa_float_round_mode_32 0
		.amdhsa_float_round_mode_16_64 0
		.amdhsa_float_denorm_mode_32 3
		.amdhsa_float_denorm_mode_16_64 3
		.amdhsa_dx10_clamp 1
		.amdhsa_ieee_mode 1
		.amdhsa_fp16_overflow 0
		.amdhsa_workgroup_processor_mode 1
		.amdhsa_memory_ordered 1
		.amdhsa_forward_progress 1
		.amdhsa_shared_vgpr_count 0
		.amdhsa_exception_fp_ieee_invalid_op 0
		.amdhsa_exception_fp_denorm_src 0
		.amdhsa_exception_fp_ieee_div_zero 0
		.amdhsa_exception_fp_ieee_overflow 0
		.amdhsa_exception_fp_ieee_underflow 0
		.amdhsa_exception_fp_ieee_inexact 0
		.amdhsa_exception_int_div_zero 0
	.end_amdhsa_kernel
	.section	.text._ZN7rocprim17ROCPRIM_400000_NS6detail17trampoline_kernelINS0_13select_configILj256ELj13ELNS0_17block_load_methodE3ELS4_3ELS4_3ELNS0_20block_scan_algorithmE0ELj4294967295EEENS1_25partition_config_selectorILNS1_17partition_subalgoE4EjNS0_10empty_typeEbEEZZNS1_14partition_implILS8_4ELb0ES6_15HIP_vector_typeIjLj2EENS0_17counting_iteratorIjlEEPS9_SG_NS0_5tupleIJPjSI_NS0_16reverse_iteratorISI_EEEEENSH_IJSG_SG_SG_EEES9_SI_JZNS1_25segmented_radix_sort_implINS0_14default_configELb1EPKsPsPKlPlN2at6native12_GLOBAL__N_18offset_tEEE10hipError_tPvRmT1_PNSt15iterator_traitsIS12_E10value_typeET2_T3_PNS13_IS18_E10value_typeET4_jRbjT5_S1E_jjP12ihipStream_tbEUljE_ZNSN_ISO_Lb1ESQ_SR_ST_SU_SY_EESZ_S10_S11_S12_S16_S17_S18_S1B_S1C_jS1D_jS1E_S1E_jjS1G_bEUljE0_EEESZ_S10_S11_S18_S1C_S1E_T6_T7_T9_mT8_S1G_bDpT10_ENKUlT_T0_E_clISt17integral_constantIbLb0EES1T_IbLb1EEEEDaS1P_S1Q_EUlS1P_E_NS1_11comp_targetILNS1_3genE2ELNS1_11target_archE906ELNS1_3gpuE6ELNS1_3repE0EEENS1_30default_config_static_selectorELNS0_4arch9wavefront6targetE0EEEvS12_,"axG",@progbits,_ZN7rocprim17ROCPRIM_400000_NS6detail17trampoline_kernelINS0_13select_configILj256ELj13ELNS0_17block_load_methodE3ELS4_3ELS4_3ELNS0_20block_scan_algorithmE0ELj4294967295EEENS1_25partition_config_selectorILNS1_17partition_subalgoE4EjNS0_10empty_typeEbEEZZNS1_14partition_implILS8_4ELb0ES6_15HIP_vector_typeIjLj2EENS0_17counting_iteratorIjlEEPS9_SG_NS0_5tupleIJPjSI_NS0_16reverse_iteratorISI_EEEEENSH_IJSG_SG_SG_EEES9_SI_JZNS1_25segmented_radix_sort_implINS0_14default_configELb1EPKsPsPKlPlN2at6native12_GLOBAL__N_18offset_tEEE10hipError_tPvRmT1_PNSt15iterator_traitsIS12_E10value_typeET2_T3_PNS13_IS18_E10value_typeET4_jRbjT5_S1E_jjP12ihipStream_tbEUljE_ZNSN_ISO_Lb1ESQ_SR_ST_SU_SY_EESZ_S10_S11_S12_S16_S17_S18_S1B_S1C_jS1D_jS1E_S1E_jjS1G_bEUljE0_EEESZ_S10_S11_S18_S1C_S1E_T6_T7_T9_mT8_S1G_bDpT10_ENKUlT_T0_E_clISt17integral_constantIbLb0EES1T_IbLb1EEEEDaS1P_S1Q_EUlS1P_E_NS1_11comp_targetILNS1_3genE2ELNS1_11target_archE906ELNS1_3gpuE6ELNS1_3repE0EEENS1_30default_config_static_selectorELNS0_4arch9wavefront6targetE0EEEvS12_,comdat
.Lfunc_end869:
	.size	_ZN7rocprim17ROCPRIM_400000_NS6detail17trampoline_kernelINS0_13select_configILj256ELj13ELNS0_17block_load_methodE3ELS4_3ELS4_3ELNS0_20block_scan_algorithmE0ELj4294967295EEENS1_25partition_config_selectorILNS1_17partition_subalgoE4EjNS0_10empty_typeEbEEZZNS1_14partition_implILS8_4ELb0ES6_15HIP_vector_typeIjLj2EENS0_17counting_iteratorIjlEEPS9_SG_NS0_5tupleIJPjSI_NS0_16reverse_iteratorISI_EEEEENSH_IJSG_SG_SG_EEES9_SI_JZNS1_25segmented_radix_sort_implINS0_14default_configELb1EPKsPsPKlPlN2at6native12_GLOBAL__N_18offset_tEEE10hipError_tPvRmT1_PNSt15iterator_traitsIS12_E10value_typeET2_T3_PNS13_IS18_E10value_typeET4_jRbjT5_S1E_jjP12ihipStream_tbEUljE_ZNSN_ISO_Lb1ESQ_SR_ST_SU_SY_EESZ_S10_S11_S12_S16_S17_S18_S1B_S1C_jS1D_jS1E_S1E_jjS1G_bEUljE0_EEESZ_S10_S11_S18_S1C_S1E_T6_T7_T9_mT8_S1G_bDpT10_ENKUlT_T0_E_clISt17integral_constantIbLb0EES1T_IbLb1EEEEDaS1P_S1Q_EUlS1P_E_NS1_11comp_targetILNS1_3genE2ELNS1_11target_archE906ELNS1_3gpuE6ELNS1_3repE0EEENS1_30default_config_static_selectorELNS0_4arch9wavefront6targetE0EEEvS12_, .Lfunc_end869-_ZN7rocprim17ROCPRIM_400000_NS6detail17trampoline_kernelINS0_13select_configILj256ELj13ELNS0_17block_load_methodE3ELS4_3ELS4_3ELNS0_20block_scan_algorithmE0ELj4294967295EEENS1_25partition_config_selectorILNS1_17partition_subalgoE4EjNS0_10empty_typeEbEEZZNS1_14partition_implILS8_4ELb0ES6_15HIP_vector_typeIjLj2EENS0_17counting_iteratorIjlEEPS9_SG_NS0_5tupleIJPjSI_NS0_16reverse_iteratorISI_EEEEENSH_IJSG_SG_SG_EEES9_SI_JZNS1_25segmented_radix_sort_implINS0_14default_configELb1EPKsPsPKlPlN2at6native12_GLOBAL__N_18offset_tEEE10hipError_tPvRmT1_PNSt15iterator_traitsIS12_E10value_typeET2_T3_PNS13_IS18_E10value_typeET4_jRbjT5_S1E_jjP12ihipStream_tbEUljE_ZNSN_ISO_Lb1ESQ_SR_ST_SU_SY_EESZ_S10_S11_S12_S16_S17_S18_S1B_S1C_jS1D_jS1E_S1E_jjS1G_bEUljE0_EEESZ_S10_S11_S18_S1C_S1E_T6_T7_T9_mT8_S1G_bDpT10_ENKUlT_T0_E_clISt17integral_constantIbLb0EES1T_IbLb1EEEEDaS1P_S1Q_EUlS1P_E_NS1_11comp_targetILNS1_3genE2ELNS1_11target_archE906ELNS1_3gpuE6ELNS1_3repE0EEENS1_30default_config_static_selectorELNS0_4arch9wavefront6targetE0EEEvS12_
                                        ; -- End function
	.set _ZN7rocprim17ROCPRIM_400000_NS6detail17trampoline_kernelINS0_13select_configILj256ELj13ELNS0_17block_load_methodE3ELS4_3ELS4_3ELNS0_20block_scan_algorithmE0ELj4294967295EEENS1_25partition_config_selectorILNS1_17partition_subalgoE4EjNS0_10empty_typeEbEEZZNS1_14partition_implILS8_4ELb0ES6_15HIP_vector_typeIjLj2EENS0_17counting_iteratorIjlEEPS9_SG_NS0_5tupleIJPjSI_NS0_16reverse_iteratorISI_EEEEENSH_IJSG_SG_SG_EEES9_SI_JZNS1_25segmented_radix_sort_implINS0_14default_configELb1EPKsPsPKlPlN2at6native12_GLOBAL__N_18offset_tEEE10hipError_tPvRmT1_PNSt15iterator_traitsIS12_E10value_typeET2_T3_PNS13_IS18_E10value_typeET4_jRbjT5_S1E_jjP12ihipStream_tbEUljE_ZNSN_ISO_Lb1ESQ_SR_ST_SU_SY_EESZ_S10_S11_S12_S16_S17_S18_S1B_S1C_jS1D_jS1E_S1E_jjS1G_bEUljE0_EEESZ_S10_S11_S18_S1C_S1E_T6_T7_T9_mT8_S1G_bDpT10_ENKUlT_T0_E_clISt17integral_constantIbLb0EES1T_IbLb1EEEEDaS1P_S1Q_EUlS1P_E_NS1_11comp_targetILNS1_3genE2ELNS1_11target_archE906ELNS1_3gpuE6ELNS1_3repE0EEENS1_30default_config_static_selectorELNS0_4arch9wavefront6targetE0EEEvS12_.num_vgpr, 0
	.set _ZN7rocprim17ROCPRIM_400000_NS6detail17trampoline_kernelINS0_13select_configILj256ELj13ELNS0_17block_load_methodE3ELS4_3ELS4_3ELNS0_20block_scan_algorithmE0ELj4294967295EEENS1_25partition_config_selectorILNS1_17partition_subalgoE4EjNS0_10empty_typeEbEEZZNS1_14partition_implILS8_4ELb0ES6_15HIP_vector_typeIjLj2EENS0_17counting_iteratorIjlEEPS9_SG_NS0_5tupleIJPjSI_NS0_16reverse_iteratorISI_EEEEENSH_IJSG_SG_SG_EEES9_SI_JZNS1_25segmented_radix_sort_implINS0_14default_configELb1EPKsPsPKlPlN2at6native12_GLOBAL__N_18offset_tEEE10hipError_tPvRmT1_PNSt15iterator_traitsIS12_E10value_typeET2_T3_PNS13_IS18_E10value_typeET4_jRbjT5_S1E_jjP12ihipStream_tbEUljE_ZNSN_ISO_Lb1ESQ_SR_ST_SU_SY_EESZ_S10_S11_S12_S16_S17_S18_S1B_S1C_jS1D_jS1E_S1E_jjS1G_bEUljE0_EEESZ_S10_S11_S18_S1C_S1E_T6_T7_T9_mT8_S1G_bDpT10_ENKUlT_T0_E_clISt17integral_constantIbLb0EES1T_IbLb1EEEEDaS1P_S1Q_EUlS1P_E_NS1_11comp_targetILNS1_3genE2ELNS1_11target_archE906ELNS1_3gpuE6ELNS1_3repE0EEENS1_30default_config_static_selectorELNS0_4arch9wavefront6targetE0EEEvS12_.num_agpr, 0
	.set _ZN7rocprim17ROCPRIM_400000_NS6detail17trampoline_kernelINS0_13select_configILj256ELj13ELNS0_17block_load_methodE3ELS4_3ELS4_3ELNS0_20block_scan_algorithmE0ELj4294967295EEENS1_25partition_config_selectorILNS1_17partition_subalgoE4EjNS0_10empty_typeEbEEZZNS1_14partition_implILS8_4ELb0ES6_15HIP_vector_typeIjLj2EENS0_17counting_iteratorIjlEEPS9_SG_NS0_5tupleIJPjSI_NS0_16reverse_iteratorISI_EEEEENSH_IJSG_SG_SG_EEES9_SI_JZNS1_25segmented_radix_sort_implINS0_14default_configELb1EPKsPsPKlPlN2at6native12_GLOBAL__N_18offset_tEEE10hipError_tPvRmT1_PNSt15iterator_traitsIS12_E10value_typeET2_T3_PNS13_IS18_E10value_typeET4_jRbjT5_S1E_jjP12ihipStream_tbEUljE_ZNSN_ISO_Lb1ESQ_SR_ST_SU_SY_EESZ_S10_S11_S12_S16_S17_S18_S1B_S1C_jS1D_jS1E_S1E_jjS1G_bEUljE0_EEESZ_S10_S11_S18_S1C_S1E_T6_T7_T9_mT8_S1G_bDpT10_ENKUlT_T0_E_clISt17integral_constantIbLb0EES1T_IbLb1EEEEDaS1P_S1Q_EUlS1P_E_NS1_11comp_targetILNS1_3genE2ELNS1_11target_archE906ELNS1_3gpuE6ELNS1_3repE0EEENS1_30default_config_static_selectorELNS0_4arch9wavefront6targetE0EEEvS12_.numbered_sgpr, 0
	.set _ZN7rocprim17ROCPRIM_400000_NS6detail17trampoline_kernelINS0_13select_configILj256ELj13ELNS0_17block_load_methodE3ELS4_3ELS4_3ELNS0_20block_scan_algorithmE0ELj4294967295EEENS1_25partition_config_selectorILNS1_17partition_subalgoE4EjNS0_10empty_typeEbEEZZNS1_14partition_implILS8_4ELb0ES6_15HIP_vector_typeIjLj2EENS0_17counting_iteratorIjlEEPS9_SG_NS0_5tupleIJPjSI_NS0_16reverse_iteratorISI_EEEEENSH_IJSG_SG_SG_EEES9_SI_JZNS1_25segmented_radix_sort_implINS0_14default_configELb1EPKsPsPKlPlN2at6native12_GLOBAL__N_18offset_tEEE10hipError_tPvRmT1_PNSt15iterator_traitsIS12_E10value_typeET2_T3_PNS13_IS18_E10value_typeET4_jRbjT5_S1E_jjP12ihipStream_tbEUljE_ZNSN_ISO_Lb1ESQ_SR_ST_SU_SY_EESZ_S10_S11_S12_S16_S17_S18_S1B_S1C_jS1D_jS1E_S1E_jjS1G_bEUljE0_EEESZ_S10_S11_S18_S1C_S1E_T6_T7_T9_mT8_S1G_bDpT10_ENKUlT_T0_E_clISt17integral_constantIbLb0EES1T_IbLb1EEEEDaS1P_S1Q_EUlS1P_E_NS1_11comp_targetILNS1_3genE2ELNS1_11target_archE906ELNS1_3gpuE6ELNS1_3repE0EEENS1_30default_config_static_selectorELNS0_4arch9wavefront6targetE0EEEvS12_.num_named_barrier, 0
	.set _ZN7rocprim17ROCPRIM_400000_NS6detail17trampoline_kernelINS0_13select_configILj256ELj13ELNS0_17block_load_methodE3ELS4_3ELS4_3ELNS0_20block_scan_algorithmE0ELj4294967295EEENS1_25partition_config_selectorILNS1_17partition_subalgoE4EjNS0_10empty_typeEbEEZZNS1_14partition_implILS8_4ELb0ES6_15HIP_vector_typeIjLj2EENS0_17counting_iteratorIjlEEPS9_SG_NS0_5tupleIJPjSI_NS0_16reverse_iteratorISI_EEEEENSH_IJSG_SG_SG_EEES9_SI_JZNS1_25segmented_radix_sort_implINS0_14default_configELb1EPKsPsPKlPlN2at6native12_GLOBAL__N_18offset_tEEE10hipError_tPvRmT1_PNSt15iterator_traitsIS12_E10value_typeET2_T3_PNS13_IS18_E10value_typeET4_jRbjT5_S1E_jjP12ihipStream_tbEUljE_ZNSN_ISO_Lb1ESQ_SR_ST_SU_SY_EESZ_S10_S11_S12_S16_S17_S18_S1B_S1C_jS1D_jS1E_S1E_jjS1G_bEUljE0_EEESZ_S10_S11_S18_S1C_S1E_T6_T7_T9_mT8_S1G_bDpT10_ENKUlT_T0_E_clISt17integral_constantIbLb0EES1T_IbLb1EEEEDaS1P_S1Q_EUlS1P_E_NS1_11comp_targetILNS1_3genE2ELNS1_11target_archE906ELNS1_3gpuE6ELNS1_3repE0EEENS1_30default_config_static_selectorELNS0_4arch9wavefront6targetE0EEEvS12_.private_seg_size, 0
	.set _ZN7rocprim17ROCPRIM_400000_NS6detail17trampoline_kernelINS0_13select_configILj256ELj13ELNS0_17block_load_methodE3ELS4_3ELS4_3ELNS0_20block_scan_algorithmE0ELj4294967295EEENS1_25partition_config_selectorILNS1_17partition_subalgoE4EjNS0_10empty_typeEbEEZZNS1_14partition_implILS8_4ELb0ES6_15HIP_vector_typeIjLj2EENS0_17counting_iteratorIjlEEPS9_SG_NS0_5tupleIJPjSI_NS0_16reverse_iteratorISI_EEEEENSH_IJSG_SG_SG_EEES9_SI_JZNS1_25segmented_radix_sort_implINS0_14default_configELb1EPKsPsPKlPlN2at6native12_GLOBAL__N_18offset_tEEE10hipError_tPvRmT1_PNSt15iterator_traitsIS12_E10value_typeET2_T3_PNS13_IS18_E10value_typeET4_jRbjT5_S1E_jjP12ihipStream_tbEUljE_ZNSN_ISO_Lb1ESQ_SR_ST_SU_SY_EESZ_S10_S11_S12_S16_S17_S18_S1B_S1C_jS1D_jS1E_S1E_jjS1G_bEUljE0_EEESZ_S10_S11_S18_S1C_S1E_T6_T7_T9_mT8_S1G_bDpT10_ENKUlT_T0_E_clISt17integral_constantIbLb0EES1T_IbLb1EEEEDaS1P_S1Q_EUlS1P_E_NS1_11comp_targetILNS1_3genE2ELNS1_11target_archE906ELNS1_3gpuE6ELNS1_3repE0EEENS1_30default_config_static_selectorELNS0_4arch9wavefront6targetE0EEEvS12_.uses_vcc, 0
	.set _ZN7rocprim17ROCPRIM_400000_NS6detail17trampoline_kernelINS0_13select_configILj256ELj13ELNS0_17block_load_methodE3ELS4_3ELS4_3ELNS0_20block_scan_algorithmE0ELj4294967295EEENS1_25partition_config_selectorILNS1_17partition_subalgoE4EjNS0_10empty_typeEbEEZZNS1_14partition_implILS8_4ELb0ES6_15HIP_vector_typeIjLj2EENS0_17counting_iteratorIjlEEPS9_SG_NS0_5tupleIJPjSI_NS0_16reverse_iteratorISI_EEEEENSH_IJSG_SG_SG_EEES9_SI_JZNS1_25segmented_radix_sort_implINS0_14default_configELb1EPKsPsPKlPlN2at6native12_GLOBAL__N_18offset_tEEE10hipError_tPvRmT1_PNSt15iterator_traitsIS12_E10value_typeET2_T3_PNS13_IS18_E10value_typeET4_jRbjT5_S1E_jjP12ihipStream_tbEUljE_ZNSN_ISO_Lb1ESQ_SR_ST_SU_SY_EESZ_S10_S11_S12_S16_S17_S18_S1B_S1C_jS1D_jS1E_S1E_jjS1G_bEUljE0_EEESZ_S10_S11_S18_S1C_S1E_T6_T7_T9_mT8_S1G_bDpT10_ENKUlT_T0_E_clISt17integral_constantIbLb0EES1T_IbLb1EEEEDaS1P_S1Q_EUlS1P_E_NS1_11comp_targetILNS1_3genE2ELNS1_11target_archE906ELNS1_3gpuE6ELNS1_3repE0EEENS1_30default_config_static_selectorELNS0_4arch9wavefront6targetE0EEEvS12_.uses_flat_scratch, 0
	.set _ZN7rocprim17ROCPRIM_400000_NS6detail17trampoline_kernelINS0_13select_configILj256ELj13ELNS0_17block_load_methodE3ELS4_3ELS4_3ELNS0_20block_scan_algorithmE0ELj4294967295EEENS1_25partition_config_selectorILNS1_17partition_subalgoE4EjNS0_10empty_typeEbEEZZNS1_14partition_implILS8_4ELb0ES6_15HIP_vector_typeIjLj2EENS0_17counting_iteratorIjlEEPS9_SG_NS0_5tupleIJPjSI_NS0_16reverse_iteratorISI_EEEEENSH_IJSG_SG_SG_EEES9_SI_JZNS1_25segmented_radix_sort_implINS0_14default_configELb1EPKsPsPKlPlN2at6native12_GLOBAL__N_18offset_tEEE10hipError_tPvRmT1_PNSt15iterator_traitsIS12_E10value_typeET2_T3_PNS13_IS18_E10value_typeET4_jRbjT5_S1E_jjP12ihipStream_tbEUljE_ZNSN_ISO_Lb1ESQ_SR_ST_SU_SY_EESZ_S10_S11_S12_S16_S17_S18_S1B_S1C_jS1D_jS1E_S1E_jjS1G_bEUljE0_EEESZ_S10_S11_S18_S1C_S1E_T6_T7_T9_mT8_S1G_bDpT10_ENKUlT_T0_E_clISt17integral_constantIbLb0EES1T_IbLb1EEEEDaS1P_S1Q_EUlS1P_E_NS1_11comp_targetILNS1_3genE2ELNS1_11target_archE906ELNS1_3gpuE6ELNS1_3repE0EEENS1_30default_config_static_selectorELNS0_4arch9wavefront6targetE0EEEvS12_.has_dyn_sized_stack, 0
	.set _ZN7rocprim17ROCPRIM_400000_NS6detail17trampoline_kernelINS0_13select_configILj256ELj13ELNS0_17block_load_methodE3ELS4_3ELS4_3ELNS0_20block_scan_algorithmE0ELj4294967295EEENS1_25partition_config_selectorILNS1_17partition_subalgoE4EjNS0_10empty_typeEbEEZZNS1_14partition_implILS8_4ELb0ES6_15HIP_vector_typeIjLj2EENS0_17counting_iteratorIjlEEPS9_SG_NS0_5tupleIJPjSI_NS0_16reverse_iteratorISI_EEEEENSH_IJSG_SG_SG_EEES9_SI_JZNS1_25segmented_radix_sort_implINS0_14default_configELb1EPKsPsPKlPlN2at6native12_GLOBAL__N_18offset_tEEE10hipError_tPvRmT1_PNSt15iterator_traitsIS12_E10value_typeET2_T3_PNS13_IS18_E10value_typeET4_jRbjT5_S1E_jjP12ihipStream_tbEUljE_ZNSN_ISO_Lb1ESQ_SR_ST_SU_SY_EESZ_S10_S11_S12_S16_S17_S18_S1B_S1C_jS1D_jS1E_S1E_jjS1G_bEUljE0_EEESZ_S10_S11_S18_S1C_S1E_T6_T7_T9_mT8_S1G_bDpT10_ENKUlT_T0_E_clISt17integral_constantIbLb0EES1T_IbLb1EEEEDaS1P_S1Q_EUlS1P_E_NS1_11comp_targetILNS1_3genE2ELNS1_11target_archE906ELNS1_3gpuE6ELNS1_3repE0EEENS1_30default_config_static_selectorELNS0_4arch9wavefront6targetE0EEEvS12_.has_recursion, 0
	.set _ZN7rocprim17ROCPRIM_400000_NS6detail17trampoline_kernelINS0_13select_configILj256ELj13ELNS0_17block_load_methodE3ELS4_3ELS4_3ELNS0_20block_scan_algorithmE0ELj4294967295EEENS1_25partition_config_selectorILNS1_17partition_subalgoE4EjNS0_10empty_typeEbEEZZNS1_14partition_implILS8_4ELb0ES6_15HIP_vector_typeIjLj2EENS0_17counting_iteratorIjlEEPS9_SG_NS0_5tupleIJPjSI_NS0_16reverse_iteratorISI_EEEEENSH_IJSG_SG_SG_EEES9_SI_JZNS1_25segmented_radix_sort_implINS0_14default_configELb1EPKsPsPKlPlN2at6native12_GLOBAL__N_18offset_tEEE10hipError_tPvRmT1_PNSt15iterator_traitsIS12_E10value_typeET2_T3_PNS13_IS18_E10value_typeET4_jRbjT5_S1E_jjP12ihipStream_tbEUljE_ZNSN_ISO_Lb1ESQ_SR_ST_SU_SY_EESZ_S10_S11_S12_S16_S17_S18_S1B_S1C_jS1D_jS1E_S1E_jjS1G_bEUljE0_EEESZ_S10_S11_S18_S1C_S1E_T6_T7_T9_mT8_S1G_bDpT10_ENKUlT_T0_E_clISt17integral_constantIbLb0EES1T_IbLb1EEEEDaS1P_S1Q_EUlS1P_E_NS1_11comp_targetILNS1_3genE2ELNS1_11target_archE906ELNS1_3gpuE6ELNS1_3repE0EEENS1_30default_config_static_selectorELNS0_4arch9wavefront6targetE0EEEvS12_.has_indirect_call, 0
	.section	.AMDGPU.csdata,"",@progbits
; Kernel info:
; codeLenInByte = 0
; TotalNumSgprs: 0
; NumVgprs: 0
; ScratchSize: 0
; MemoryBound: 0
; FloatMode: 240
; IeeeMode: 1
; LDSByteSize: 0 bytes/workgroup (compile time only)
; SGPRBlocks: 0
; VGPRBlocks: 0
; NumSGPRsForWavesPerEU: 1
; NumVGPRsForWavesPerEU: 1
; Occupancy: 16
; WaveLimiterHint : 0
; COMPUTE_PGM_RSRC2:SCRATCH_EN: 0
; COMPUTE_PGM_RSRC2:USER_SGPR: 6
; COMPUTE_PGM_RSRC2:TRAP_HANDLER: 0
; COMPUTE_PGM_RSRC2:TGID_X_EN: 1
; COMPUTE_PGM_RSRC2:TGID_Y_EN: 0
; COMPUTE_PGM_RSRC2:TGID_Z_EN: 0
; COMPUTE_PGM_RSRC2:TIDIG_COMP_CNT: 0
	.section	.text._ZN7rocprim17ROCPRIM_400000_NS6detail17trampoline_kernelINS0_13select_configILj256ELj13ELNS0_17block_load_methodE3ELS4_3ELS4_3ELNS0_20block_scan_algorithmE0ELj4294967295EEENS1_25partition_config_selectorILNS1_17partition_subalgoE4EjNS0_10empty_typeEbEEZZNS1_14partition_implILS8_4ELb0ES6_15HIP_vector_typeIjLj2EENS0_17counting_iteratorIjlEEPS9_SG_NS0_5tupleIJPjSI_NS0_16reverse_iteratorISI_EEEEENSH_IJSG_SG_SG_EEES9_SI_JZNS1_25segmented_radix_sort_implINS0_14default_configELb1EPKsPsPKlPlN2at6native12_GLOBAL__N_18offset_tEEE10hipError_tPvRmT1_PNSt15iterator_traitsIS12_E10value_typeET2_T3_PNS13_IS18_E10value_typeET4_jRbjT5_S1E_jjP12ihipStream_tbEUljE_ZNSN_ISO_Lb1ESQ_SR_ST_SU_SY_EESZ_S10_S11_S12_S16_S17_S18_S1B_S1C_jS1D_jS1E_S1E_jjS1G_bEUljE0_EEESZ_S10_S11_S18_S1C_S1E_T6_T7_T9_mT8_S1G_bDpT10_ENKUlT_T0_E_clISt17integral_constantIbLb0EES1T_IbLb1EEEEDaS1P_S1Q_EUlS1P_E_NS1_11comp_targetILNS1_3genE10ELNS1_11target_archE1200ELNS1_3gpuE4ELNS1_3repE0EEENS1_30default_config_static_selectorELNS0_4arch9wavefront6targetE0EEEvS12_,"axG",@progbits,_ZN7rocprim17ROCPRIM_400000_NS6detail17trampoline_kernelINS0_13select_configILj256ELj13ELNS0_17block_load_methodE3ELS4_3ELS4_3ELNS0_20block_scan_algorithmE0ELj4294967295EEENS1_25partition_config_selectorILNS1_17partition_subalgoE4EjNS0_10empty_typeEbEEZZNS1_14partition_implILS8_4ELb0ES6_15HIP_vector_typeIjLj2EENS0_17counting_iteratorIjlEEPS9_SG_NS0_5tupleIJPjSI_NS0_16reverse_iteratorISI_EEEEENSH_IJSG_SG_SG_EEES9_SI_JZNS1_25segmented_radix_sort_implINS0_14default_configELb1EPKsPsPKlPlN2at6native12_GLOBAL__N_18offset_tEEE10hipError_tPvRmT1_PNSt15iterator_traitsIS12_E10value_typeET2_T3_PNS13_IS18_E10value_typeET4_jRbjT5_S1E_jjP12ihipStream_tbEUljE_ZNSN_ISO_Lb1ESQ_SR_ST_SU_SY_EESZ_S10_S11_S12_S16_S17_S18_S1B_S1C_jS1D_jS1E_S1E_jjS1G_bEUljE0_EEESZ_S10_S11_S18_S1C_S1E_T6_T7_T9_mT8_S1G_bDpT10_ENKUlT_T0_E_clISt17integral_constantIbLb0EES1T_IbLb1EEEEDaS1P_S1Q_EUlS1P_E_NS1_11comp_targetILNS1_3genE10ELNS1_11target_archE1200ELNS1_3gpuE4ELNS1_3repE0EEENS1_30default_config_static_selectorELNS0_4arch9wavefront6targetE0EEEvS12_,comdat
	.globl	_ZN7rocprim17ROCPRIM_400000_NS6detail17trampoline_kernelINS0_13select_configILj256ELj13ELNS0_17block_load_methodE3ELS4_3ELS4_3ELNS0_20block_scan_algorithmE0ELj4294967295EEENS1_25partition_config_selectorILNS1_17partition_subalgoE4EjNS0_10empty_typeEbEEZZNS1_14partition_implILS8_4ELb0ES6_15HIP_vector_typeIjLj2EENS0_17counting_iteratorIjlEEPS9_SG_NS0_5tupleIJPjSI_NS0_16reverse_iteratorISI_EEEEENSH_IJSG_SG_SG_EEES9_SI_JZNS1_25segmented_radix_sort_implINS0_14default_configELb1EPKsPsPKlPlN2at6native12_GLOBAL__N_18offset_tEEE10hipError_tPvRmT1_PNSt15iterator_traitsIS12_E10value_typeET2_T3_PNS13_IS18_E10value_typeET4_jRbjT5_S1E_jjP12ihipStream_tbEUljE_ZNSN_ISO_Lb1ESQ_SR_ST_SU_SY_EESZ_S10_S11_S12_S16_S17_S18_S1B_S1C_jS1D_jS1E_S1E_jjS1G_bEUljE0_EEESZ_S10_S11_S18_S1C_S1E_T6_T7_T9_mT8_S1G_bDpT10_ENKUlT_T0_E_clISt17integral_constantIbLb0EES1T_IbLb1EEEEDaS1P_S1Q_EUlS1P_E_NS1_11comp_targetILNS1_3genE10ELNS1_11target_archE1200ELNS1_3gpuE4ELNS1_3repE0EEENS1_30default_config_static_selectorELNS0_4arch9wavefront6targetE0EEEvS12_ ; -- Begin function _ZN7rocprim17ROCPRIM_400000_NS6detail17trampoline_kernelINS0_13select_configILj256ELj13ELNS0_17block_load_methodE3ELS4_3ELS4_3ELNS0_20block_scan_algorithmE0ELj4294967295EEENS1_25partition_config_selectorILNS1_17partition_subalgoE4EjNS0_10empty_typeEbEEZZNS1_14partition_implILS8_4ELb0ES6_15HIP_vector_typeIjLj2EENS0_17counting_iteratorIjlEEPS9_SG_NS0_5tupleIJPjSI_NS0_16reverse_iteratorISI_EEEEENSH_IJSG_SG_SG_EEES9_SI_JZNS1_25segmented_radix_sort_implINS0_14default_configELb1EPKsPsPKlPlN2at6native12_GLOBAL__N_18offset_tEEE10hipError_tPvRmT1_PNSt15iterator_traitsIS12_E10value_typeET2_T3_PNS13_IS18_E10value_typeET4_jRbjT5_S1E_jjP12ihipStream_tbEUljE_ZNSN_ISO_Lb1ESQ_SR_ST_SU_SY_EESZ_S10_S11_S12_S16_S17_S18_S1B_S1C_jS1D_jS1E_S1E_jjS1G_bEUljE0_EEESZ_S10_S11_S18_S1C_S1E_T6_T7_T9_mT8_S1G_bDpT10_ENKUlT_T0_E_clISt17integral_constantIbLb0EES1T_IbLb1EEEEDaS1P_S1Q_EUlS1P_E_NS1_11comp_targetILNS1_3genE10ELNS1_11target_archE1200ELNS1_3gpuE4ELNS1_3repE0EEENS1_30default_config_static_selectorELNS0_4arch9wavefront6targetE0EEEvS12_
	.p2align	8
	.type	_ZN7rocprim17ROCPRIM_400000_NS6detail17trampoline_kernelINS0_13select_configILj256ELj13ELNS0_17block_load_methodE3ELS4_3ELS4_3ELNS0_20block_scan_algorithmE0ELj4294967295EEENS1_25partition_config_selectorILNS1_17partition_subalgoE4EjNS0_10empty_typeEbEEZZNS1_14partition_implILS8_4ELb0ES6_15HIP_vector_typeIjLj2EENS0_17counting_iteratorIjlEEPS9_SG_NS0_5tupleIJPjSI_NS0_16reverse_iteratorISI_EEEEENSH_IJSG_SG_SG_EEES9_SI_JZNS1_25segmented_radix_sort_implINS0_14default_configELb1EPKsPsPKlPlN2at6native12_GLOBAL__N_18offset_tEEE10hipError_tPvRmT1_PNSt15iterator_traitsIS12_E10value_typeET2_T3_PNS13_IS18_E10value_typeET4_jRbjT5_S1E_jjP12ihipStream_tbEUljE_ZNSN_ISO_Lb1ESQ_SR_ST_SU_SY_EESZ_S10_S11_S12_S16_S17_S18_S1B_S1C_jS1D_jS1E_S1E_jjS1G_bEUljE0_EEESZ_S10_S11_S18_S1C_S1E_T6_T7_T9_mT8_S1G_bDpT10_ENKUlT_T0_E_clISt17integral_constantIbLb0EES1T_IbLb1EEEEDaS1P_S1Q_EUlS1P_E_NS1_11comp_targetILNS1_3genE10ELNS1_11target_archE1200ELNS1_3gpuE4ELNS1_3repE0EEENS1_30default_config_static_selectorELNS0_4arch9wavefront6targetE0EEEvS12_,@function
_ZN7rocprim17ROCPRIM_400000_NS6detail17trampoline_kernelINS0_13select_configILj256ELj13ELNS0_17block_load_methodE3ELS4_3ELS4_3ELNS0_20block_scan_algorithmE0ELj4294967295EEENS1_25partition_config_selectorILNS1_17partition_subalgoE4EjNS0_10empty_typeEbEEZZNS1_14partition_implILS8_4ELb0ES6_15HIP_vector_typeIjLj2EENS0_17counting_iteratorIjlEEPS9_SG_NS0_5tupleIJPjSI_NS0_16reverse_iteratorISI_EEEEENSH_IJSG_SG_SG_EEES9_SI_JZNS1_25segmented_radix_sort_implINS0_14default_configELb1EPKsPsPKlPlN2at6native12_GLOBAL__N_18offset_tEEE10hipError_tPvRmT1_PNSt15iterator_traitsIS12_E10value_typeET2_T3_PNS13_IS18_E10value_typeET4_jRbjT5_S1E_jjP12ihipStream_tbEUljE_ZNSN_ISO_Lb1ESQ_SR_ST_SU_SY_EESZ_S10_S11_S12_S16_S17_S18_S1B_S1C_jS1D_jS1E_S1E_jjS1G_bEUljE0_EEESZ_S10_S11_S18_S1C_S1E_T6_T7_T9_mT8_S1G_bDpT10_ENKUlT_T0_E_clISt17integral_constantIbLb0EES1T_IbLb1EEEEDaS1P_S1Q_EUlS1P_E_NS1_11comp_targetILNS1_3genE10ELNS1_11target_archE1200ELNS1_3gpuE4ELNS1_3repE0EEENS1_30default_config_static_selectorELNS0_4arch9wavefront6targetE0EEEvS12_: ; @_ZN7rocprim17ROCPRIM_400000_NS6detail17trampoline_kernelINS0_13select_configILj256ELj13ELNS0_17block_load_methodE3ELS4_3ELS4_3ELNS0_20block_scan_algorithmE0ELj4294967295EEENS1_25partition_config_selectorILNS1_17partition_subalgoE4EjNS0_10empty_typeEbEEZZNS1_14partition_implILS8_4ELb0ES6_15HIP_vector_typeIjLj2EENS0_17counting_iteratorIjlEEPS9_SG_NS0_5tupleIJPjSI_NS0_16reverse_iteratorISI_EEEEENSH_IJSG_SG_SG_EEES9_SI_JZNS1_25segmented_radix_sort_implINS0_14default_configELb1EPKsPsPKlPlN2at6native12_GLOBAL__N_18offset_tEEE10hipError_tPvRmT1_PNSt15iterator_traitsIS12_E10value_typeET2_T3_PNS13_IS18_E10value_typeET4_jRbjT5_S1E_jjP12ihipStream_tbEUljE_ZNSN_ISO_Lb1ESQ_SR_ST_SU_SY_EESZ_S10_S11_S12_S16_S17_S18_S1B_S1C_jS1D_jS1E_S1E_jjS1G_bEUljE0_EEESZ_S10_S11_S18_S1C_S1E_T6_T7_T9_mT8_S1G_bDpT10_ENKUlT_T0_E_clISt17integral_constantIbLb0EES1T_IbLb1EEEEDaS1P_S1Q_EUlS1P_E_NS1_11comp_targetILNS1_3genE10ELNS1_11target_archE1200ELNS1_3gpuE4ELNS1_3repE0EEENS1_30default_config_static_selectorELNS0_4arch9wavefront6targetE0EEEvS12_
; %bb.0:
	.section	.rodata,"a",@progbits
	.p2align	6, 0x0
	.amdhsa_kernel _ZN7rocprim17ROCPRIM_400000_NS6detail17trampoline_kernelINS0_13select_configILj256ELj13ELNS0_17block_load_methodE3ELS4_3ELS4_3ELNS0_20block_scan_algorithmE0ELj4294967295EEENS1_25partition_config_selectorILNS1_17partition_subalgoE4EjNS0_10empty_typeEbEEZZNS1_14partition_implILS8_4ELb0ES6_15HIP_vector_typeIjLj2EENS0_17counting_iteratorIjlEEPS9_SG_NS0_5tupleIJPjSI_NS0_16reverse_iteratorISI_EEEEENSH_IJSG_SG_SG_EEES9_SI_JZNS1_25segmented_radix_sort_implINS0_14default_configELb1EPKsPsPKlPlN2at6native12_GLOBAL__N_18offset_tEEE10hipError_tPvRmT1_PNSt15iterator_traitsIS12_E10value_typeET2_T3_PNS13_IS18_E10value_typeET4_jRbjT5_S1E_jjP12ihipStream_tbEUljE_ZNSN_ISO_Lb1ESQ_SR_ST_SU_SY_EESZ_S10_S11_S12_S16_S17_S18_S1B_S1C_jS1D_jS1E_S1E_jjS1G_bEUljE0_EEESZ_S10_S11_S18_S1C_S1E_T6_T7_T9_mT8_S1G_bDpT10_ENKUlT_T0_E_clISt17integral_constantIbLb0EES1T_IbLb1EEEEDaS1P_S1Q_EUlS1P_E_NS1_11comp_targetILNS1_3genE10ELNS1_11target_archE1200ELNS1_3gpuE4ELNS1_3repE0EEENS1_30default_config_static_selectorELNS0_4arch9wavefront6targetE0EEEvS12_
		.amdhsa_group_segment_fixed_size 0
		.amdhsa_private_segment_fixed_size 0
		.amdhsa_kernarg_size 184
		.amdhsa_user_sgpr_count 6
		.amdhsa_user_sgpr_private_segment_buffer 1
		.amdhsa_user_sgpr_dispatch_ptr 0
		.amdhsa_user_sgpr_queue_ptr 0
		.amdhsa_user_sgpr_kernarg_segment_ptr 1
		.amdhsa_user_sgpr_dispatch_id 0
		.amdhsa_user_sgpr_flat_scratch_init 0
		.amdhsa_user_sgpr_private_segment_size 0
		.amdhsa_wavefront_size32 1
		.amdhsa_uses_dynamic_stack 0
		.amdhsa_system_sgpr_private_segment_wavefront_offset 0
		.amdhsa_system_sgpr_workgroup_id_x 1
		.amdhsa_system_sgpr_workgroup_id_y 0
		.amdhsa_system_sgpr_workgroup_id_z 0
		.amdhsa_system_sgpr_workgroup_info 0
		.amdhsa_system_vgpr_workitem_id 0
		.amdhsa_next_free_vgpr 1
		.amdhsa_next_free_sgpr 1
		.amdhsa_reserve_vcc 0
		.amdhsa_reserve_flat_scratch 0
		.amdhsa_float_round_mode_32 0
		.amdhsa_float_round_mode_16_64 0
		.amdhsa_float_denorm_mode_32 3
		.amdhsa_float_denorm_mode_16_64 3
		.amdhsa_dx10_clamp 1
		.amdhsa_ieee_mode 1
		.amdhsa_fp16_overflow 0
		.amdhsa_workgroup_processor_mode 1
		.amdhsa_memory_ordered 1
		.amdhsa_forward_progress 1
		.amdhsa_shared_vgpr_count 0
		.amdhsa_exception_fp_ieee_invalid_op 0
		.amdhsa_exception_fp_denorm_src 0
		.amdhsa_exception_fp_ieee_div_zero 0
		.amdhsa_exception_fp_ieee_overflow 0
		.amdhsa_exception_fp_ieee_underflow 0
		.amdhsa_exception_fp_ieee_inexact 0
		.amdhsa_exception_int_div_zero 0
	.end_amdhsa_kernel
	.section	.text._ZN7rocprim17ROCPRIM_400000_NS6detail17trampoline_kernelINS0_13select_configILj256ELj13ELNS0_17block_load_methodE3ELS4_3ELS4_3ELNS0_20block_scan_algorithmE0ELj4294967295EEENS1_25partition_config_selectorILNS1_17partition_subalgoE4EjNS0_10empty_typeEbEEZZNS1_14partition_implILS8_4ELb0ES6_15HIP_vector_typeIjLj2EENS0_17counting_iteratorIjlEEPS9_SG_NS0_5tupleIJPjSI_NS0_16reverse_iteratorISI_EEEEENSH_IJSG_SG_SG_EEES9_SI_JZNS1_25segmented_radix_sort_implINS0_14default_configELb1EPKsPsPKlPlN2at6native12_GLOBAL__N_18offset_tEEE10hipError_tPvRmT1_PNSt15iterator_traitsIS12_E10value_typeET2_T3_PNS13_IS18_E10value_typeET4_jRbjT5_S1E_jjP12ihipStream_tbEUljE_ZNSN_ISO_Lb1ESQ_SR_ST_SU_SY_EESZ_S10_S11_S12_S16_S17_S18_S1B_S1C_jS1D_jS1E_S1E_jjS1G_bEUljE0_EEESZ_S10_S11_S18_S1C_S1E_T6_T7_T9_mT8_S1G_bDpT10_ENKUlT_T0_E_clISt17integral_constantIbLb0EES1T_IbLb1EEEEDaS1P_S1Q_EUlS1P_E_NS1_11comp_targetILNS1_3genE10ELNS1_11target_archE1200ELNS1_3gpuE4ELNS1_3repE0EEENS1_30default_config_static_selectorELNS0_4arch9wavefront6targetE0EEEvS12_,"axG",@progbits,_ZN7rocprim17ROCPRIM_400000_NS6detail17trampoline_kernelINS0_13select_configILj256ELj13ELNS0_17block_load_methodE3ELS4_3ELS4_3ELNS0_20block_scan_algorithmE0ELj4294967295EEENS1_25partition_config_selectorILNS1_17partition_subalgoE4EjNS0_10empty_typeEbEEZZNS1_14partition_implILS8_4ELb0ES6_15HIP_vector_typeIjLj2EENS0_17counting_iteratorIjlEEPS9_SG_NS0_5tupleIJPjSI_NS0_16reverse_iteratorISI_EEEEENSH_IJSG_SG_SG_EEES9_SI_JZNS1_25segmented_radix_sort_implINS0_14default_configELb1EPKsPsPKlPlN2at6native12_GLOBAL__N_18offset_tEEE10hipError_tPvRmT1_PNSt15iterator_traitsIS12_E10value_typeET2_T3_PNS13_IS18_E10value_typeET4_jRbjT5_S1E_jjP12ihipStream_tbEUljE_ZNSN_ISO_Lb1ESQ_SR_ST_SU_SY_EESZ_S10_S11_S12_S16_S17_S18_S1B_S1C_jS1D_jS1E_S1E_jjS1G_bEUljE0_EEESZ_S10_S11_S18_S1C_S1E_T6_T7_T9_mT8_S1G_bDpT10_ENKUlT_T0_E_clISt17integral_constantIbLb0EES1T_IbLb1EEEEDaS1P_S1Q_EUlS1P_E_NS1_11comp_targetILNS1_3genE10ELNS1_11target_archE1200ELNS1_3gpuE4ELNS1_3repE0EEENS1_30default_config_static_selectorELNS0_4arch9wavefront6targetE0EEEvS12_,comdat
.Lfunc_end870:
	.size	_ZN7rocprim17ROCPRIM_400000_NS6detail17trampoline_kernelINS0_13select_configILj256ELj13ELNS0_17block_load_methodE3ELS4_3ELS4_3ELNS0_20block_scan_algorithmE0ELj4294967295EEENS1_25partition_config_selectorILNS1_17partition_subalgoE4EjNS0_10empty_typeEbEEZZNS1_14partition_implILS8_4ELb0ES6_15HIP_vector_typeIjLj2EENS0_17counting_iteratorIjlEEPS9_SG_NS0_5tupleIJPjSI_NS0_16reverse_iteratorISI_EEEEENSH_IJSG_SG_SG_EEES9_SI_JZNS1_25segmented_radix_sort_implINS0_14default_configELb1EPKsPsPKlPlN2at6native12_GLOBAL__N_18offset_tEEE10hipError_tPvRmT1_PNSt15iterator_traitsIS12_E10value_typeET2_T3_PNS13_IS18_E10value_typeET4_jRbjT5_S1E_jjP12ihipStream_tbEUljE_ZNSN_ISO_Lb1ESQ_SR_ST_SU_SY_EESZ_S10_S11_S12_S16_S17_S18_S1B_S1C_jS1D_jS1E_S1E_jjS1G_bEUljE0_EEESZ_S10_S11_S18_S1C_S1E_T6_T7_T9_mT8_S1G_bDpT10_ENKUlT_T0_E_clISt17integral_constantIbLb0EES1T_IbLb1EEEEDaS1P_S1Q_EUlS1P_E_NS1_11comp_targetILNS1_3genE10ELNS1_11target_archE1200ELNS1_3gpuE4ELNS1_3repE0EEENS1_30default_config_static_selectorELNS0_4arch9wavefront6targetE0EEEvS12_, .Lfunc_end870-_ZN7rocprim17ROCPRIM_400000_NS6detail17trampoline_kernelINS0_13select_configILj256ELj13ELNS0_17block_load_methodE3ELS4_3ELS4_3ELNS0_20block_scan_algorithmE0ELj4294967295EEENS1_25partition_config_selectorILNS1_17partition_subalgoE4EjNS0_10empty_typeEbEEZZNS1_14partition_implILS8_4ELb0ES6_15HIP_vector_typeIjLj2EENS0_17counting_iteratorIjlEEPS9_SG_NS0_5tupleIJPjSI_NS0_16reverse_iteratorISI_EEEEENSH_IJSG_SG_SG_EEES9_SI_JZNS1_25segmented_radix_sort_implINS0_14default_configELb1EPKsPsPKlPlN2at6native12_GLOBAL__N_18offset_tEEE10hipError_tPvRmT1_PNSt15iterator_traitsIS12_E10value_typeET2_T3_PNS13_IS18_E10value_typeET4_jRbjT5_S1E_jjP12ihipStream_tbEUljE_ZNSN_ISO_Lb1ESQ_SR_ST_SU_SY_EESZ_S10_S11_S12_S16_S17_S18_S1B_S1C_jS1D_jS1E_S1E_jjS1G_bEUljE0_EEESZ_S10_S11_S18_S1C_S1E_T6_T7_T9_mT8_S1G_bDpT10_ENKUlT_T0_E_clISt17integral_constantIbLb0EES1T_IbLb1EEEEDaS1P_S1Q_EUlS1P_E_NS1_11comp_targetILNS1_3genE10ELNS1_11target_archE1200ELNS1_3gpuE4ELNS1_3repE0EEENS1_30default_config_static_selectorELNS0_4arch9wavefront6targetE0EEEvS12_
                                        ; -- End function
	.set _ZN7rocprim17ROCPRIM_400000_NS6detail17trampoline_kernelINS0_13select_configILj256ELj13ELNS0_17block_load_methodE3ELS4_3ELS4_3ELNS0_20block_scan_algorithmE0ELj4294967295EEENS1_25partition_config_selectorILNS1_17partition_subalgoE4EjNS0_10empty_typeEbEEZZNS1_14partition_implILS8_4ELb0ES6_15HIP_vector_typeIjLj2EENS0_17counting_iteratorIjlEEPS9_SG_NS0_5tupleIJPjSI_NS0_16reverse_iteratorISI_EEEEENSH_IJSG_SG_SG_EEES9_SI_JZNS1_25segmented_radix_sort_implINS0_14default_configELb1EPKsPsPKlPlN2at6native12_GLOBAL__N_18offset_tEEE10hipError_tPvRmT1_PNSt15iterator_traitsIS12_E10value_typeET2_T3_PNS13_IS18_E10value_typeET4_jRbjT5_S1E_jjP12ihipStream_tbEUljE_ZNSN_ISO_Lb1ESQ_SR_ST_SU_SY_EESZ_S10_S11_S12_S16_S17_S18_S1B_S1C_jS1D_jS1E_S1E_jjS1G_bEUljE0_EEESZ_S10_S11_S18_S1C_S1E_T6_T7_T9_mT8_S1G_bDpT10_ENKUlT_T0_E_clISt17integral_constantIbLb0EES1T_IbLb1EEEEDaS1P_S1Q_EUlS1P_E_NS1_11comp_targetILNS1_3genE10ELNS1_11target_archE1200ELNS1_3gpuE4ELNS1_3repE0EEENS1_30default_config_static_selectorELNS0_4arch9wavefront6targetE0EEEvS12_.num_vgpr, 0
	.set _ZN7rocprim17ROCPRIM_400000_NS6detail17trampoline_kernelINS0_13select_configILj256ELj13ELNS0_17block_load_methodE3ELS4_3ELS4_3ELNS0_20block_scan_algorithmE0ELj4294967295EEENS1_25partition_config_selectorILNS1_17partition_subalgoE4EjNS0_10empty_typeEbEEZZNS1_14partition_implILS8_4ELb0ES6_15HIP_vector_typeIjLj2EENS0_17counting_iteratorIjlEEPS9_SG_NS0_5tupleIJPjSI_NS0_16reverse_iteratorISI_EEEEENSH_IJSG_SG_SG_EEES9_SI_JZNS1_25segmented_radix_sort_implINS0_14default_configELb1EPKsPsPKlPlN2at6native12_GLOBAL__N_18offset_tEEE10hipError_tPvRmT1_PNSt15iterator_traitsIS12_E10value_typeET2_T3_PNS13_IS18_E10value_typeET4_jRbjT5_S1E_jjP12ihipStream_tbEUljE_ZNSN_ISO_Lb1ESQ_SR_ST_SU_SY_EESZ_S10_S11_S12_S16_S17_S18_S1B_S1C_jS1D_jS1E_S1E_jjS1G_bEUljE0_EEESZ_S10_S11_S18_S1C_S1E_T6_T7_T9_mT8_S1G_bDpT10_ENKUlT_T0_E_clISt17integral_constantIbLb0EES1T_IbLb1EEEEDaS1P_S1Q_EUlS1P_E_NS1_11comp_targetILNS1_3genE10ELNS1_11target_archE1200ELNS1_3gpuE4ELNS1_3repE0EEENS1_30default_config_static_selectorELNS0_4arch9wavefront6targetE0EEEvS12_.num_agpr, 0
	.set _ZN7rocprim17ROCPRIM_400000_NS6detail17trampoline_kernelINS0_13select_configILj256ELj13ELNS0_17block_load_methodE3ELS4_3ELS4_3ELNS0_20block_scan_algorithmE0ELj4294967295EEENS1_25partition_config_selectorILNS1_17partition_subalgoE4EjNS0_10empty_typeEbEEZZNS1_14partition_implILS8_4ELb0ES6_15HIP_vector_typeIjLj2EENS0_17counting_iteratorIjlEEPS9_SG_NS0_5tupleIJPjSI_NS0_16reverse_iteratorISI_EEEEENSH_IJSG_SG_SG_EEES9_SI_JZNS1_25segmented_radix_sort_implINS0_14default_configELb1EPKsPsPKlPlN2at6native12_GLOBAL__N_18offset_tEEE10hipError_tPvRmT1_PNSt15iterator_traitsIS12_E10value_typeET2_T3_PNS13_IS18_E10value_typeET4_jRbjT5_S1E_jjP12ihipStream_tbEUljE_ZNSN_ISO_Lb1ESQ_SR_ST_SU_SY_EESZ_S10_S11_S12_S16_S17_S18_S1B_S1C_jS1D_jS1E_S1E_jjS1G_bEUljE0_EEESZ_S10_S11_S18_S1C_S1E_T6_T7_T9_mT8_S1G_bDpT10_ENKUlT_T0_E_clISt17integral_constantIbLb0EES1T_IbLb1EEEEDaS1P_S1Q_EUlS1P_E_NS1_11comp_targetILNS1_3genE10ELNS1_11target_archE1200ELNS1_3gpuE4ELNS1_3repE0EEENS1_30default_config_static_selectorELNS0_4arch9wavefront6targetE0EEEvS12_.numbered_sgpr, 0
	.set _ZN7rocprim17ROCPRIM_400000_NS6detail17trampoline_kernelINS0_13select_configILj256ELj13ELNS0_17block_load_methodE3ELS4_3ELS4_3ELNS0_20block_scan_algorithmE0ELj4294967295EEENS1_25partition_config_selectorILNS1_17partition_subalgoE4EjNS0_10empty_typeEbEEZZNS1_14partition_implILS8_4ELb0ES6_15HIP_vector_typeIjLj2EENS0_17counting_iteratorIjlEEPS9_SG_NS0_5tupleIJPjSI_NS0_16reverse_iteratorISI_EEEEENSH_IJSG_SG_SG_EEES9_SI_JZNS1_25segmented_radix_sort_implINS0_14default_configELb1EPKsPsPKlPlN2at6native12_GLOBAL__N_18offset_tEEE10hipError_tPvRmT1_PNSt15iterator_traitsIS12_E10value_typeET2_T3_PNS13_IS18_E10value_typeET4_jRbjT5_S1E_jjP12ihipStream_tbEUljE_ZNSN_ISO_Lb1ESQ_SR_ST_SU_SY_EESZ_S10_S11_S12_S16_S17_S18_S1B_S1C_jS1D_jS1E_S1E_jjS1G_bEUljE0_EEESZ_S10_S11_S18_S1C_S1E_T6_T7_T9_mT8_S1G_bDpT10_ENKUlT_T0_E_clISt17integral_constantIbLb0EES1T_IbLb1EEEEDaS1P_S1Q_EUlS1P_E_NS1_11comp_targetILNS1_3genE10ELNS1_11target_archE1200ELNS1_3gpuE4ELNS1_3repE0EEENS1_30default_config_static_selectorELNS0_4arch9wavefront6targetE0EEEvS12_.num_named_barrier, 0
	.set _ZN7rocprim17ROCPRIM_400000_NS6detail17trampoline_kernelINS0_13select_configILj256ELj13ELNS0_17block_load_methodE3ELS4_3ELS4_3ELNS0_20block_scan_algorithmE0ELj4294967295EEENS1_25partition_config_selectorILNS1_17partition_subalgoE4EjNS0_10empty_typeEbEEZZNS1_14partition_implILS8_4ELb0ES6_15HIP_vector_typeIjLj2EENS0_17counting_iteratorIjlEEPS9_SG_NS0_5tupleIJPjSI_NS0_16reverse_iteratorISI_EEEEENSH_IJSG_SG_SG_EEES9_SI_JZNS1_25segmented_radix_sort_implINS0_14default_configELb1EPKsPsPKlPlN2at6native12_GLOBAL__N_18offset_tEEE10hipError_tPvRmT1_PNSt15iterator_traitsIS12_E10value_typeET2_T3_PNS13_IS18_E10value_typeET4_jRbjT5_S1E_jjP12ihipStream_tbEUljE_ZNSN_ISO_Lb1ESQ_SR_ST_SU_SY_EESZ_S10_S11_S12_S16_S17_S18_S1B_S1C_jS1D_jS1E_S1E_jjS1G_bEUljE0_EEESZ_S10_S11_S18_S1C_S1E_T6_T7_T9_mT8_S1G_bDpT10_ENKUlT_T0_E_clISt17integral_constantIbLb0EES1T_IbLb1EEEEDaS1P_S1Q_EUlS1P_E_NS1_11comp_targetILNS1_3genE10ELNS1_11target_archE1200ELNS1_3gpuE4ELNS1_3repE0EEENS1_30default_config_static_selectorELNS0_4arch9wavefront6targetE0EEEvS12_.private_seg_size, 0
	.set _ZN7rocprim17ROCPRIM_400000_NS6detail17trampoline_kernelINS0_13select_configILj256ELj13ELNS0_17block_load_methodE3ELS4_3ELS4_3ELNS0_20block_scan_algorithmE0ELj4294967295EEENS1_25partition_config_selectorILNS1_17partition_subalgoE4EjNS0_10empty_typeEbEEZZNS1_14partition_implILS8_4ELb0ES6_15HIP_vector_typeIjLj2EENS0_17counting_iteratorIjlEEPS9_SG_NS0_5tupleIJPjSI_NS0_16reverse_iteratorISI_EEEEENSH_IJSG_SG_SG_EEES9_SI_JZNS1_25segmented_radix_sort_implINS0_14default_configELb1EPKsPsPKlPlN2at6native12_GLOBAL__N_18offset_tEEE10hipError_tPvRmT1_PNSt15iterator_traitsIS12_E10value_typeET2_T3_PNS13_IS18_E10value_typeET4_jRbjT5_S1E_jjP12ihipStream_tbEUljE_ZNSN_ISO_Lb1ESQ_SR_ST_SU_SY_EESZ_S10_S11_S12_S16_S17_S18_S1B_S1C_jS1D_jS1E_S1E_jjS1G_bEUljE0_EEESZ_S10_S11_S18_S1C_S1E_T6_T7_T9_mT8_S1G_bDpT10_ENKUlT_T0_E_clISt17integral_constantIbLb0EES1T_IbLb1EEEEDaS1P_S1Q_EUlS1P_E_NS1_11comp_targetILNS1_3genE10ELNS1_11target_archE1200ELNS1_3gpuE4ELNS1_3repE0EEENS1_30default_config_static_selectorELNS0_4arch9wavefront6targetE0EEEvS12_.uses_vcc, 0
	.set _ZN7rocprim17ROCPRIM_400000_NS6detail17trampoline_kernelINS0_13select_configILj256ELj13ELNS0_17block_load_methodE3ELS4_3ELS4_3ELNS0_20block_scan_algorithmE0ELj4294967295EEENS1_25partition_config_selectorILNS1_17partition_subalgoE4EjNS0_10empty_typeEbEEZZNS1_14partition_implILS8_4ELb0ES6_15HIP_vector_typeIjLj2EENS0_17counting_iteratorIjlEEPS9_SG_NS0_5tupleIJPjSI_NS0_16reverse_iteratorISI_EEEEENSH_IJSG_SG_SG_EEES9_SI_JZNS1_25segmented_radix_sort_implINS0_14default_configELb1EPKsPsPKlPlN2at6native12_GLOBAL__N_18offset_tEEE10hipError_tPvRmT1_PNSt15iterator_traitsIS12_E10value_typeET2_T3_PNS13_IS18_E10value_typeET4_jRbjT5_S1E_jjP12ihipStream_tbEUljE_ZNSN_ISO_Lb1ESQ_SR_ST_SU_SY_EESZ_S10_S11_S12_S16_S17_S18_S1B_S1C_jS1D_jS1E_S1E_jjS1G_bEUljE0_EEESZ_S10_S11_S18_S1C_S1E_T6_T7_T9_mT8_S1G_bDpT10_ENKUlT_T0_E_clISt17integral_constantIbLb0EES1T_IbLb1EEEEDaS1P_S1Q_EUlS1P_E_NS1_11comp_targetILNS1_3genE10ELNS1_11target_archE1200ELNS1_3gpuE4ELNS1_3repE0EEENS1_30default_config_static_selectorELNS0_4arch9wavefront6targetE0EEEvS12_.uses_flat_scratch, 0
	.set _ZN7rocprim17ROCPRIM_400000_NS6detail17trampoline_kernelINS0_13select_configILj256ELj13ELNS0_17block_load_methodE3ELS4_3ELS4_3ELNS0_20block_scan_algorithmE0ELj4294967295EEENS1_25partition_config_selectorILNS1_17partition_subalgoE4EjNS0_10empty_typeEbEEZZNS1_14partition_implILS8_4ELb0ES6_15HIP_vector_typeIjLj2EENS0_17counting_iteratorIjlEEPS9_SG_NS0_5tupleIJPjSI_NS0_16reverse_iteratorISI_EEEEENSH_IJSG_SG_SG_EEES9_SI_JZNS1_25segmented_radix_sort_implINS0_14default_configELb1EPKsPsPKlPlN2at6native12_GLOBAL__N_18offset_tEEE10hipError_tPvRmT1_PNSt15iterator_traitsIS12_E10value_typeET2_T3_PNS13_IS18_E10value_typeET4_jRbjT5_S1E_jjP12ihipStream_tbEUljE_ZNSN_ISO_Lb1ESQ_SR_ST_SU_SY_EESZ_S10_S11_S12_S16_S17_S18_S1B_S1C_jS1D_jS1E_S1E_jjS1G_bEUljE0_EEESZ_S10_S11_S18_S1C_S1E_T6_T7_T9_mT8_S1G_bDpT10_ENKUlT_T0_E_clISt17integral_constantIbLb0EES1T_IbLb1EEEEDaS1P_S1Q_EUlS1P_E_NS1_11comp_targetILNS1_3genE10ELNS1_11target_archE1200ELNS1_3gpuE4ELNS1_3repE0EEENS1_30default_config_static_selectorELNS0_4arch9wavefront6targetE0EEEvS12_.has_dyn_sized_stack, 0
	.set _ZN7rocprim17ROCPRIM_400000_NS6detail17trampoline_kernelINS0_13select_configILj256ELj13ELNS0_17block_load_methodE3ELS4_3ELS4_3ELNS0_20block_scan_algorithmE0ELj4294967295EEENS1_25partition_config_selectorILNS1_17partition_subalgoE4EjNS0_10empty_typeEbEEZZNS1_14partition_implILS8_4ELb0ES6_15HIP_vector_typeIjLj2EENS0_17counting_iteratorIjlEEPS9_SG_NS0_5tupleIJPjSI_NS0_16reverse_iteratorISI_EEEEENSH_IJSG_SG_SG_EEES9_SI_JZNS1_25segmented_radix_sort_implINS0_14default_configELb1EPKsPsPKlPlN2at6native12_GLOBAL__N_18offset_tEEE10hipError_tPvRmT1_PNSt15iterator_traitsIS12_E10value_typeET2_T3_PNS13_IS18_E10value_typeET4_jRbjT5_S1E_jjP12ihipStream_tbEUljE_ZNSN_ISO_Lb1ESQ_SR_ST_SU_SY_EESZ_S10_S11_S12_S16_S17_S18_S1B_S1C_jS1D_jS1E_S1E_jjS1G_bEUljE0_EEESZ_S10_S11_S18_S1C_S1E_T6_T7_T9_mT8_S1G_bDpT10_ENKUlT_T0_E_clISt17integral_constantIbLb0EES1T_IbLb1EEEEDaS1P_S1Q_EUlS1P_E_NS1_11comp_targetILNS1_3genE10ELNS1_11target_archE1200ELNS1_3gpuE4ELNS1_3repE0EEENS1_30default_config_static_selectorELNS0_4arch9wavefront6targetE0EEEvS12_.has_recursion, 0
	.set _ZN7rocprim17ROCPRIM_400000_NS6detail17trampoline_kernelINS0_13select_configILj256ELj13ELNS0_17block_load_methodE3ELS4_3ELS4_3ELNS0_20block_scan_algorithmE0ELj4294967295EEENS1_25partition_config_selectorILNS1_17partition_subalgoE4EjNS0_10empty_typeEbEEZZNS1_14partition_implILS8_4ELb0ES6_15HIP_vector_typeIjLj2EENS0_17counting_iteratorIjlEEPS9_SG_NS0_5tupleIJPjSI_NS0_16reverse_iteratorISI_EEEEENSH_IJSG_SG_SG_EEES9_SI_JZNS1_25segmented_radix_sort_implINS0_14default_configELb1EPKsPsPKlPlN2at6native12_GLOBAL__N_18offset_tEEE10hipError_tPvRmT1_PNSt15iterator_traitsIS12_E10value_typeET2_T3_PNS13_IS18_E10value_typeET4_jRbjT5_S1E_jjP12ihipStream_tbEUljE_ZNSN_ISO_Lb1ESQ_SR_ST_SU_SY_EESZ_S10_S11_S12_S16_S17_S18_S1B_S1C_jS1D_jS1E_S1E_jjS1G_bEUljE0_EEESZ_S10_S11_S18_S1C_S1E_T6_T7_T9_mT8_S1G_bDpT10_ENKUlT_T0_E_clISt17integral_constantIbLb0EES1T_IbLb1EEEEDaS1P_S1Q_EUlS1P_E_NS1_11comp_targetILNS1_3genE10ELNS1_11target_archE1200ELNS1_3gpuE4ELNS1_3repE0EEENS1_30default_config_static_selectorELNS0_4arch9wavefront6targetE0EEEvS12_.has_indirect_call, 0
	.section	.AMDGPU.csdata,"",@progbits
; Kernel info:
; codeLenInByte = 0
; TotalNumSgprs: 0
; NumVgprs: 0
; ScratchSize: 0
; MemoryBound: 0
; FloatMode: 240
; IeeeMode: 1
; LDSByteSize: 0 bytes/workgroup (compile time only)
; SGPRBlocks: 0
; VGPRBlocks: 0
; NumSGPRsForWavesPerEU: 1
; NumVGPRsForWavesPerEU: 1
; Occupancy: 16
; WaveLimiterHint : 0
; COMPUTE_PGM_RSRC2:SCRATCH_EN: 0
; COMPUTE_PGM_RSRC2:USER_SGPR: 6
; COMPUTE_PGM_RSRC2:TRAP_HANDLER: 0
; COMPUTE_PGM_RSRC2:TGID_X_EN: 1
; COMPUTE_PGM_RSRC2:TGID_Y_EN: 0
; COMPUTE_PGM_RSRC2:TGID_Z_EN: 0
; COMPUTE_PGM_RSRC2:TIDIG_COMP_CNT: 0
	.section	.text._ZN7rocprim17ROCPRIM_400000_NS6detail17trampoline_kernelINS0_13select_configILj256ELj13ELNS0_17block_load_methodE3ELS4_3ELS4_3ELNS0_20block_scan_algorithmE0ELj4294967295EEENS1_25partition_config_selectorILNS1_17partition_subalgoE4EjNS0_10empty_typeEbEEZZNS1_14partition_implILS8_4ELb0ES6_15HIP_vector_typeIjLj2EENS0_17counting_iteratorIjlEEPS9_SG_NS0_5tupleIJPjSI_NS0_16reverse_iteratorISI_EEEEENSH_IJSG_SG_SG_EEES9_SI_JZNS1_25segmented_radix_sort_implINS0_14default_configELb1EPKsPsPKlPlN2at6native12_GLOBAL__N_18offset_tEEE10hipError_tPvRmT1_PNSt15iterator_traitsIS12_E10value_typeET2_T3_PNS13_IS18_E10value_typeET4_jRbjT5_S1E_jjP12ihipStream_tbEUljE_ZNSN_ISO_Lb1ESQ_SR_ST_SU_SY_EESZ_S10_S11_S12_S16_S17_S18_S1B_S1C_jS1D_jS1E_S1E_jjS1G_bEUljE0_EEESZ_S10_S11_S18_S1C_S1E_T6_T7_T9_mT8_S1G_bDpT10_ENKUlT_T0_E_clISt17integral_constantIbLb0EES1T_IbLb1EEEEDaS1P_S1Q_EUlS1P_E_NS1_11comp_targetILNS1_3genE9ELNS1_11target_archE1100ELNS1_3gpuE3ELNS1_3repE0EEENS1_30default_config_static_selectorELNS0_4arch9wavefront6targetE0EEEvS12_,"axG",@progbits,_ZN7rocprim17ROCPRIM_400000_NS6detail17trampoline_kernelINS0_13select_configILj256ELj13ELNS0_17block_load_methodE3ELS4_3ELS4_3ELNS0_20block_scan_algorithmE0ELj4294967295EEENS1_25partition_config_selectorILNS1_17partition_subalgoE4EjNS0_10empty_typeEbEEZZNS1_14partition_implILS8_4ELb0ES6_15HIP_vector_typeIjLj2EENS0_17counting_iteratorIjlEEPS9_SG_NS0_5tupleIJPjSI_NS0_16reverse_iteratorISI_EEEEENSH_IJSG_SG_SG_EEES9_SI_JZNS1_25segmented_radix_sort_implINS0_14default_configELb1EPKsPsPKlPlN2at6native12_GLOBAL__N_18offset_tEEE10hipError_tPvRmT1_PNSt15iterator_traitsIS12_E10value_typeET2_T3_PNS13_IS18_E10value_typeET4_jRbjT5_S1E_jjP12ihipStream_tbEUljE_ZNSN_ISO_Lb1ESQ_SR_ST_SU_SY_EESZ_S10_S11_S12_S16_S17_S18_S1B_S1C_jS1D_jS1E_S1E_jjS1G_bEUljE0_EEESZ_S10_S11_S18_S1C_S1E_T6_T7_T9_mT8_S1G_bDpT10_ENKUlT_T0_E_clISt17integral_constantIbLb0EES1T_IbLb1EEEEDaS1P_S1Q_EUlS1P_E_NS1_11comp_targetILNS1_3genE9ELNS1_11target_archE1100ELNS1_3gpuE3ELNS1_3repE0EEENS1_30default_config_static_selectorELNS0_4arch9wavefront6targetE0EEEvS12_,comdat
	.globl	_ZN7rocprim17ROCPRIM_400000_NS6detail17trampoline_kernelINS0_13select_configILj256ELj13ELNS0_17block_load_methodE3ELS4_3ELS4_3ELNS0_20block_scan_algorithmE0ELj4294967295EEENS1_25partition_config_selectorILNS1_17partition_subalgoE4EjNS0_10empty_typeEbEEZZNS1_14partition_implILS8_4ELb0ES6_15HIP_vector_typeIjLj2EENS0_17counting_iteratorIjlEEPS9_SG_NS0_5tupleIJPjSI_NS0_16reverse_iteratorISI_EEEEENSH_IJSG_SG_SG_EEES9_SI_JZNS1_25segmented_radix_sort_implINS0_14default_configELb1EPKsPsPKlPlN2at6native12_GLOBAL__N_18offset_tEEE10hipError_tPvRmT1_PNSt15iterator_traitsIS12_E10value_typeET2_T3_PNS13_IS18_E10value_typeET4_jRbjT5_S1E_jjP12ihipStream_tbEUljE_ZNSN_ISO_Lb1ESQ_SR_ST_SU_SY_EESZ_S10_S11_S12_S16_S17_S18_S1B_S1C_jS1D_jS1E_S1E_jjS1G_bEUljE0_EEESZ_S10_S11_S18_S1C_S1E_T6_T7_T9_mT8_S1G_bDpT10_ENKUlT_T0_E_clISt17integral_constantIbLb0EES1T_IbLb1EEEEDaS1P_S1Q_EUlS1P_E_NS1_11comp_targetILNS1_3genE9ELNS1_11target_archE1100ELNS1_3gpuE3ELNS1_3repE0EEENS1_30default_config_static_selectorELNS0_4arch9wavefront6targetE0EEEvS12_ ; -- Begin function _ZN7rocprim17ROCPRIM_400000_NS6detail17trampoline_kernelINS0_13select_configILj256ELj13ELNS0_17block_load_methodE3ELS4_3ELS4_3ELNS0_20block_scan_algorithmE0ELj4294967295EEENS1_25partition_config_selectorILNS1_17partition_subalgoE4EjNS0_10empty_typeEbEEZZNS1_14partition_implILS8_4ELb0ES6_15HIP_vector_typeIjLj2EENS0_17counting_iteratorIjlEEPS9_SG_NS0_5tupleIJPjSI_NS0_16reverse_iteratorISI_EEEEENSH_IJSG_SG_SG_EEES9_SI_JZNS1_25segmented_radix_sort_implINS0_14default_configELb1EPKsPsPKlPlN2at6native12_GLOBAL__N_18offset_tEEE10hipError_tPvRmT1_PNSt15iterator_traitsIS12_E10value_typeET2_T3_PNS13_IS18_E10value_typeET4_jRbjT5_S1E_jjP12ihipStream_tbEUljE_ZNSN_ISO_Lb1ESQ_SR_ST_SU_SY_EESZ_S10_S11_S12_S16_S17_S18_S1B_S1C_jS1D_jS1E_S1E_jjS1G_bEUljE0_EEESZ_S10_S11_S18_S1C_S1E_T6_T7_T9_mT8_S1G_bDpT10_ENKUlT_T0_E_clISt17integral_constantIbLb0EES1T_IbLb1EEEEDaS1P_S1Q_EUlS1P_E_NS1_11comp_targetILNS1_3genE9ELNS1_11target_archE1100ELNS1_3gpuE3ELNS1_3repE0EEENS1_30default_config_static_selectorELNS0_4arch9wavefront6targetE0EEEvS12_
	.p2align	8
	.type	_ZN7rocprim17ROCPRIM_400000_NS6detail17trampoline_kernelINS0_13select_configILj256ELj13ELNS0_17block_load_methodE3ELS4_3ELS4_3ELNS0_20block_scan_algorithmE0ELj4294967295EEENS1_25partition_config_selectorILNS1_17partition_subalgoE4EjNS0_10empty_typeEbEEZZNS1_14partition_implILS8_4ELb0ES6_15HIP_vector_typeIjLj2EENS0_17counting_iteratorIjlEEPS9_SG_NS0_5tupleIJPjSI_NS0_16reverse_iteratorISI_EEEEENSH_IJSG_SG_SG_EEES9_SI_JZNS1_25segmented_radix_sort_implINS0_14default_configELb1EPKsPsPKlPlN2at6native12_GLOBAL__N_18offset_tEEE10hipError_tPvRmT1_PNSt15iterator_traitsIS12_E10value_typeET2_T3_PNS13_IS18_E10value_typeET4_jRbjT5_S1E_jjP12ihipStream_tbEUljE_ZNSN_ISO_Lb1ESQ_SR_ST_SU_SY_EESZ_S10_S11_S12_S16_S17_S18_S1B_S1C_jS1D_jS1E_S1E_jjS1G_bEUljE0_EEESZ_S10_S11_S18_S1C_S1E_T6_T7_T9_mT8_S1G_bDpT10_ENKUlT_T0_E_clISt17integral_constantIbLb0EES1T_IbLb1EEEEDaS1P_S1Q_EUlS1P_E_NS1_11comp_targetILNS1_3genE9ELNS1_11target_archE1100ELNS1_3gpuE3ELNS1_3repE0EEENS1_30default_config_static_selectorELNS0_4arch9wavefront6targetE0EEEvS12_,@function
_ZN7rocprim17ROCPRIM_400000_NS6detail17trampoline_kernelINS0_13select_configILj256ELj13ELNS0_17block_load_methodE3ELS4_3ELS4_3ELNS0_20block_scan_algorithmE0ELj4294967295EEENS1_25partition_config_selectorILNS1_17partition_subalgoE4EjNS0_10empty_typeEbEEZZNS1_14partition_implILS8_4ELb0ES6_15HIP_vector_typeIjLj2EENS0_17counting_iteratorIjlEEPS9_SG_NS0_5tupleIJPjSI_NS0_16reverse_iteratorISI_EEEEENSH_IJSG_SG_SG_EEES9_SI_JZNS1_25segmented_radix_sort_implINS0_14default_configELb1EPKsPsPKlPlN2at6native12_GLOBAL__N_18offset_tEEE10hipError_tPvRmT1_PNSt15iterator_traitsIS12_E10value_typeET2_T3_PNS13_IS18_E10value_typeET4_jRbjT5_S1E_jjP12ihipStream_tbEUljE_ZNSN_ISO_Lb1ESQ_SR_ST_SU_SY_EESZ_S10_S11_S12_S16_S17_S18_S1B_S1C_jS1D_jS1E_S1E_jjS1G_bEUljE0_EEESZ_S10_S11_S18_S1C_S1E_T6_T7_T9_mT8_S1G_bDpT10_ENKUlT_T0_E_clISt17integral_constantIbLb0EES1T_IbLb1EEEEDaS1P_S1Q_EUlS1P_E_NS1_11comp_targetILNS1_3genE9ELNS1_11target_archE1100ELNS1_3gpuE3ELNS1_3repE0EEENS1_30default_config_static_selectorELNS0_4arch9wavefront6targetE0EEEvS12_: ; @_ZN7rocprim17ROCPRIM_400000_NS6detail17trampoline_kernelINS0_13select_configILj256ELj13ELNS0_17block_load_methodE3ELS4_3ELS4_3ELNS0_20block_scan_algorithmE0ELj4294967295EEENS1_25partition_config_selectorILNS1_17partition_subalgoE4EjNS0_10empty_typeEbEEZZNS1_14partition_implILS8_4ELb0ES6_15HIP_vector_typeIjLj2EENS0_17counting_iteratorIjlEEPS9_SG_NS0_5tupleIJPjSI_NS0_16reverse_iteratorISI_EEEEENSH_IJSG_SG_SG_EEES9_SI_JZNS1_25segmented_radix_sort_implINS0_14default_configELb1EPKsPsPKlPlN2at6native12_GLOBAL__N_18offset_tEEE10hipError_tPvRmT1_PNSt15iterator_traitsIS12_E10value_typeET2_T3_PNS13_IS18_E10value_typeET4_jRbjT5_S1E_jjP12ihipStream_tbEUljE_ZNSN_ISO_Lb1ESQ_SR_ST_SU_SY_EESZ_S10_S11_S12_S16_S17_S18_S1B_S1C_jS1D_jS1E_S1E_jjS1G_bEUljE0_EEESZ_S10_S11_S18_S1C_S1E_T6_T7_T9_mT8_S1G_bDpT10_ENKUlT_T0_E_clISt17integral_constantIbLb0EES1T_IbLb1EEEEDaS1P_S1Q_EUlS1P_E_NS1_11comp_targetILNS1_3genE9ELNS1_11target_archE1100ELNS1_3gpuE3ELNS1_3repE0EEENS1_30default_config_static_selectorELNS0_4arch9wavefront6targetE0EEEvS12_
; %bb.0:
	.section	.rodata,"a",@progbits
	.p2align	6, 0x0
	.amdhsa_kernel _ZN7rocprim17ROCPRIM_400000_NS6detail17trampoline_kernelINS0_13select_configILj256ELj13ELNS0_17block_load_methodE3ELS4_3ELS4_3ELNS0_20block_scan_algorithmE0ELj4294967295EEENS1_25partition_config_selectorILNS1_17partition_subalgoE4EjNS0_10empty_typeEbEEZZNS1_14partition_implILS8_4ELb0ES6_15HIP_vector_typeIjLj2EENS0_17counting_iteratorIjlEEPS9_SG_NS0_5tupleIJPjSI_NS0_16reverse_iteratorISI_EEEEENSH_IJSG_SG_SG_EEES9_SI_JZNS1_25segmented_radix_sort_implINS0_14default_configELb1EPKsPsPKlPlN2at6native12_GLOBAL__N_18offset_tEEE10hipError_tPvRmT1_PNSt15iterator_traitsIS12_E10value_typeET2_T3_PNS13_IS18_E10value_typeET4_jRbjT5_S1E_jjP12ihipStream_tbEUljE_ZNSN_ISO_Lb1ESQ_SR_ST_SU_SY_EESZ_S10_S11_S12_S16_S17_S18_S1B_S1C_jS1D_jS1E_S1E_jjS1G_bEUljE0_EEESZ_S10_S11_S18_S1C_S1E_T6_T7_T9_mT8_S1G_bDpT10_ENKUlT_T0_E_clISt17integral_constantIbLb0EES1T_IbLb1EEEEDaS1P_S1Q_EUlS1P_E_NS1_11comp_targetILNS1_3genE9ELNS1_11target_archE1100ELNS1_3gpuE3ELNS1_3repE0EEENS1_30default_config_static_selectorELNS0_4arch9wavefront6targetE0EEEvS12_
		.amdhsa_group_segment_fixed_size 0
		.amdhsa_private_segment_fixed_size 0
		.amdhsa_kernarg_size 184
		.amdhsa_user_sgpr_count 6
		.amdhsa_user_sgpr_private_segment_buffer 1
		.amdhsa_user_sgpr_dispatch_ptr 0
		.amdhsa_user_sgpr_queue_ptr 0
		.amdhsa_user_sgpr_kernarg_segment_ptr 1
		.amdhsa_user_sgpr_dispatch_id 0
		.amdhsa_user_sgpr_flat_scratch_init 0
		.amdhsa_user_sgpr_private_segment_size 0
		.amdhsa_wavefront_size32 1
		.amdhsa_uses_dynamic_stack 0
		.amdhsa_system_sgpr_private_segment_wavefront_offset 0
		.amdhsa_system_sgpr_workgroup_id_x 1
		.amdhsa_system_sgpr_workgroup_id_y 0
		.amdhsa_system_sgpr_workgroup_id_z 0
		.amdhsa_system_sgpr_workgroup_info 0
		.amdhsa_system_vgpr_workitem_id 0
		.amdhsa_next_free_vgpr 1
		.amdhsa_next_free_sgpr 1
		.amdhsa_reserve_vcc 0
		.amdhsa_reserve_flat_scratch 0
		.amdhsa_float_round_mode_32 0
		.amdhsa_float_round_mode_16_64 0
		.amdhsa_float_denorm_mode_32 3
		.amdhsa_float_denorm_mode_16_64 3
		.amdhsa_dx10_clamp 1
		.amdhsa_ieee_mode 1
		.amdhsa_fp16_overflow 0
		.amdhsa_workgroup_processor_mode 1
		.amdhsa_memory_ordered 1
		.amdhsa_forward_progress 1
		.amdhsa_shared_vgpr_count 0
		.amdhsa_exception_fp_ieee_invalid_op 0
		.amdhsa_exception_fp_denorm_src 0
		.amdhsa_exception_fp_ieee_div_zero 0
		.amdhsa_exception_fp_ieee_overflow 0
		.amdhsa_exception_fp_ieee_underflow 0
		.amdhsa_exception_fp_ieee_inexact 0
		.amdhsa_exception_int_div_zero 0
	.end_amdhsa_kernel
	.section	.text._ZN7rocprim17ROCPRIM_400000_NS6detail17trampoline_kernelINS0_13select_configILj256ELj13ELNS0_17block_load_methodE3ELS4_3ELS4_3ELNS0_20block_scan_algorithmE0ELj4294967295EEENS1_25partition_config_selectorILNS1_17partition_subalgoE4EjNS0_10empty_typeEbEEZZNS1_14partition_implILS8_4ELb0ES6_15HIP_vector_typeIjLj2EENS0_17counting_iteratorIjlEEPS9_SG_NS0_5tupleIJPjSI_NS0_16reverse_iteratorISI_EEEEENSH_IJSG_SG_SG_EEES9_SI_JZNS1_25segmented_radix_sort_implINS0_14default_configELb1EPKsPsPKlPlN2at6native12_GLOBAL__N_18offset_tEEE10hipError_tPvRmT1_PNSt15iterator_traitsIS12_E10value_typeET2_T3_PNS13_IS18_E10value_typeET4_jRbjT5_S1E_jjP12ihipStream_tbEUljE_ZNSN_ISO_Lb1ESQ_SR_ST_SU_SY_EESZ_S10_S11_S12_S16_S17_S18_S1B_S1C_jS1D_jS1E_S1E_jjS1G_bEUljE0_EEESZ_S10_S11_S18_S1C_S1E_T6_T7_T9_mT8_S1G_bDpT10_ENKUlT_T0_E_clISt17integral_constantIbLb0EES1T_IbLb1EEEEDaS1P_S1Q_EUlS1P_E_NS1_11comp_targetILNS1_3genE9ELNS1_11target_archE1100ELNS1_3gpuE3ELNS1_3repE0EEENS1_30default_config_static_selectorELNS0_4arch9wavefront6targetE0EEEvS12_,"axG",@progbits,_ZN7rocprim17ROCPRIM_400000_NS6detail17trampoline_kernelINS0_13select_configILj256ELj13ELNS0_17block_load_methodE3ELS4_3ELS4_3ELNS0_20block_scan_algorithmE0ELj4294967295EEENS1_25partition_config_selectorILNS1_17partition_subalgoE4EjNS0_10empty_typeEbEEZZNS1_14partition_implILS8_4ELb0ES6_15HIP_vector_typeIjLj2EENS0_17counting_iteratorIjlEEPS9_SG_NS0_5tupleIJPjSI_NS0_16reverse_iteratorISI_EEEEENSH_IJSG_SG_SG_EEES9_SI_JZNS1_25segmented_radix_sort_implINS0_14default_configELb1EPKsPsPKlPlN2at6native12_GLOBAL__N_18offset_tEEE10hipError_tPvRmT1_PNSt15iterator_traitsIS12_E10value_typeET2_T3_PNS13_IS18_E10value_typeET4_jRbjT5_S1E_jjP12ihipStream_tbEUljE_ZNSN_ISO_Lb1ESQ_SR_ST_SU_SY_EESZ_S10_S11_S12_S16_S17_S18_S1B_S1C_jS1D_jS1E_S1E_jjS1G_bEUljE0_EEESZ_S10_S11_S18_S1C_S1E_T6_T7_T9_mT8_S1G_bDpT10_ENKUlT_T0_E_clISt17integral_constantIbLb0EES1T_IbLb1EEEEDaS1P_S1Q_EUlS1P_E_NS1_11comp_targetILNS1_3genE9ELNS1_11target_archE1100ELNS1_3gpuE3ELNS1_3repE0EEENS1_30default_config_static_selectorELNS0_4arch9wavefront6targetE0EEEvS12_,comdat
.Lfunc_end871:
	.size	_ZN7rocprim17ROCPRIM_400000_NS6detail17trampoline_kernelINS0_13select_configILj256ELj13ELNS0_17block_load_methodE3ELS4_3ELS4_3ELNS0_20block_scan_algorithmE0ELj4294967295EEENS1_25partition_config_selectorILNS1_17partition_subalgoE4EjNS0_10empty_typeEbEEZZNS1_14partition_implILS8_4ELb0ES6_15HIP_vector_typeIjLj2EENS0_17counting_iteratorIjlEEPS9_SG_NS0_5tupleIJPjSI_NS0_16reverse_iteratorISI_EEEEENSH_IJSG_SG_SG_EEES9_SI_JZNS1_25segmented_radix_sort_implINS0_14default_configELb1EPKsPsPKlPlN2at6native12_GLOBAL__N_18offset_tEEE10hipError_tPvRmT1_PNSt15iterator_traitsIS12_E10value_typeET2_T3_PNS13_IS18_E10value_typeET4_jRbjT5_S1E_jjP12ihipStream_tbEUljE_ZNSN_ISO_Lb1ESQ_SR_ST_SU_SY_EESZ_S10_S11_S12_S16_S17_S18_S1B_S1C_jS1D_jS1E_S1E_jjS1G_bEUljE0_EEESZ_S10_S11_S18_S1C_S1E_T6_T7_T9_mT8_S1G_bDpT10_ENKUlT_T0_E_clISt17integral_constantIbLb0EES1T_IbLb1EEEEDaS1P_S1Q_EUlS1P_E_NS1_11comp_targetILNS1_3genE9ELNS1_11target_archE1100ELNS1_3gpuE3ELNS1_3repE0EEENS1_30default_config_static_selectorELNS0_4arch9wavefront6targetE0EEEvS12_, .Lfunc_end871-_ZN7rocprim17ROCPRIM_400000_NS6detail17trampoline_kernelINS0_13select_configILj256ELj13ELNS0_17block_load_methodE3ELS4_3ELS4_3ELNS0_20block_scan_algorithmE0ELj4294967295EEENS1_25partition_config_selectorILNS1_17partition_subalgoE4EjNS0_10empty_typeEbEEZZNS1_14partition_implILS8_4ELb0ES6_15HIP_vector_typeIjLj2EENS0_17counting_iteratorIjlEEPS9_SG_NS0_5tupleIJPjSI_NS0_16reverse_iteratorISI_EEEEENSH_IJSG_SG_SG_EEES9_SI_JZNS1_25segmented_radix_sort_implINS0_14default_configELb1EPKsPsPKlPlN2at6native12_GLOBAL__N_18offset_tEEE10hipError_tPvRmT1_PNSt15iterator_traitsIS12_E10value_typeET2_T3_PNS13_IS18_E10value_typeET4_jRbjT5_S1E_jjP12ihipStream_tbEUljE_ZNSN_ISO_Lb1ESQ_SR_ST_SU_SY_EESZ_S10_S11_S12_S16_S17_S18_S1B_S1C_jS1D_jS1E_S1E_jjS1G_bEUljE0_EEESZ_S10_S11_S18_S1C_S1E_T6_T7_T9_mT8_S1G_bDpT10_ENKUlT_T0_E_clISt17integral_constantIbLb0EES1T_IbLb1EEEEDaS1P_S1Q_EUlS1P_E_NS1_11comp_targetILNS1_3genE9ELNS1_11target_archE1100ELNS1_3gpuE3ELNS1_3repE0EEENS1_30default_config_static_selectorELNS0_4arch9wavefront6targetE0EEEvS12_
                                        ; -- End function
	.set _ZN7rocprim17ROCPRIM_400000_NS6detail17trampoline_kernelINS0_13select_configILj256ELj13ELNS0_17block_load_methodE3ELS4_3ELS4_3ELNS0_20block_scan_algorithmE0ELj4294967295EEENS1_25partition_config_selectorILNS1_17partition_subalgoE4EjNS0_10empty_typeEbEEZZNS1_14partition_implILS8_4ELb0ES6_15HIP_vector_typeIjLj2EENS0_17counting_iteratorIjlEEPS9_SG_NS0_5tupleIJPjSI_NS0_16reverse_iteratorISI_EEEEENSH_IJSG_SG_SG_EEES9_SI_JZNS1_25segmented_radix_sort_implINS0_14default_configELb1EPKsPsPKlPlN2at6native12_GLOBAL__N_18offset_tEEE10hipError_tPvRmT1_PNSt15iterator_traitsIS12_E10value_typeET2_T3_PNS13_IS18_E10value_typeET4_jRbjT5_S1E_jjP12ihipStream_tbEUljE_ZNSN_ISO_Lb1ESQ_SR_ST_SU_SY_EESZ_S10_S11_S12_S16_S17_S18_S1B_S1C_jS1D_jS1E_S1E_jjS1G_bEUljE0_EEESZ_S10_S11_S18_S1C_S1E_T6_T7_T9_mT8_S1G_bDpT10_ENKUlT_T0_E_clISt17integral_constantIbLb0EES1T_IbLb1EEEEDaS1P_S1Q_EUlS1P_E_NS1_11comp_targetILNS1_3genE9ELNS1_11target_archE1100ELNS1_3gpuE3ELNS1_3repE0EEENS1_30default_config_static_selectorELNS0_4arch9wavefront6targetE0EEEvS12_.num_vgpr, 0
	.set _ZN7rocprim17ROCPRIM_400000_NS6detail17trampoline_kernelINS0_13select_configILj256ELj13ELNS0_17block_load_methodE3ELS4_3ELS4_3ELNS0_20block_scan_algorithmE0ELj4294967295EEENS1_25partition_config_selectorILNS1_17partition_subalgoE4EjNS0_10empty_typeEbEEZZNS1_14partition_implILS8_4ELb0ES6_15HIP_vector_typeIjLj2EENS0_17counting_iteratorIjlEEPS9_SG_NS0_5tupleIJPjSI_NS0_16reverse_iteratorISI_EEEEENSH_IJSG_SG_SG_EEES9_SI_JZNS1_25segmented_radix_sort_implINS0_14default_configELb1EPKsPsPKlPlN2at6native12_GLOBAL__N_18offset_tEEE10hipError_tPvRmT1_PNSt15iterator_traitsIS12_E10value_typeET2_T3_PNS13_IS18_E10value_typeET4_jRbjT5_S1E_jjP12ihipStream_tbEUljE_ZNSN_ISO_Lb1ESQ_SR_ST_SU_SY_EESZ_S10_S11_S12_S16_S17_S18_S1B_S1C_jS1D_jS1E_S1E_jjS1G_bEUljE0_EEESZ_S10_S11_S18_S1C_S1E_T6_T7_T9_mT8_S1G_bDpT10_ENKUlT_T0_E_clISt17integral_constantIbLb0EES1T_IbLb1EEEEDaS1P_S1Q_EUlS1P_E_NS1_11comp_targetILNS1_3genE9ELNS1_11target_archE1100ELNS1_3gpuE3ELNS1_3repE0EEENS1_30default_config_static_selectorELNS0_4arch9wavefront6targetE0EEEvS12_.num_agpr, 0
	.set _ZN7rocprim17ROCPRIM_400000_NS6detail17trampoline_kernelINS0_13select_configILj256ELj13ELNS0_17block_load_methodE3ELS4_3ELS4_3ELNS0_20block_scan_algorithmE0ELj4294967295EEENS1_25partition_config_selectorILNS1_17partition_subalgoE4EjNS0_10empty_typeEbEEZZNS1_14partition_implILS8_4ELb0ES6_15HIP_vector_typeIjLj2EENS0_17counting_iteratorIjlEEPS9_SG_NS0_5tupleIJPjSI_NS0_16reverse_iteratorISI_EEEEENSH_IJSG_SG_SG_EEES9_SI_JZNS1_25segmented_radix_sort_implINS0_14default_configELb1EPKsPsPKlPlN2at6native12_GLOBAL__N_18offset_tEEE10hipError_tPvRmT1_PNSt15iterator_traitsIS12_E10value_typeET2_T3_PNS13_IS18_E10value_typeET4_jRbjT5_S1E_jjP12ihipStream_tbEUljE_ZNSN_ISO_Lb1ESQ_SR_ST_SU_SY_EESZ_S10_S11_S12_S16_S17_S18_S1B_S1C_jS1D_jS1E_S1E_jjS1G_bEUljE0_EEESZ_S10_S11_S18_S1C_S1E_T6_T7_T9_mT8_S1G_bDpT10_ENKUlT_T0_E_clISt17integral_constantIbLb0EES1T_IbLb1EEEEDaS1P_S1Q_EUlS1P_E_NS1_11comp_targetILNS1_3genE9ELNS1_11target_archE1100ELNS1_3gpuE3ELNS1_3repE0EEENS1_30default_config_static_selectorELNS0_4arch9wavefront6targetE0EEEvS12_.numbered_sgpr, 0
	.set _ZN7rocprim17ROCPRIM_400000_NS6detail17trampoline_kernelINS0_13select_configILj256ELj13ELNS0_17block_load_methodE3ELS4_3ELS4_3ELNS0_20block_scan_algorithmE0ELj4294967295EEENS1_25partition_config_selectorILNS1_17partition_subalgoE4EjNS0_10empty_typeEbEEZZNS1_14partition_implILS8_4ELb0ES6_15HIP_vector_typeIjLj2EENS0_17counting_iteratorIjlEEPS9_SG_NS0_5tupleIJPjSI_NS0_16reverse_iteratorISI_EEEEENSH_IJSG_SG_SG_EEES9_SI_JZNS1_25segmented_radix_sort_implINS0_14default_configELb1EPKsPsPKlPlN2at6native12_GLOBAL__N_18offset_tEEE10hipError_tPvRmT1_PNSt15iterator_traitsIS12_E10value_typeET2_T3_PNS13_IS18_E10value_typeET4_jRbjT5_S1E_jjP12ihipStream_tbEUljE_ZNSN_ISO_Lb1ESQ_SR_ST_SU_SY_EESZ_S10_S11_S12_S16_S17_S18_S1B_S1C_jS1D_jS1E_S1E_jjS1G_bEUljE0_EEESZ_S10_S11_S18_S1C_S1E_T6_T7_T9_mT8_S1G_bDpT10_ENKUlT_T0_E_clISt17integral_constantIbLb0EES1T_IbLb1EEEEDaS1P_S1Q_EUlS1P_E_NS1_11comp_targetILNS1_3genE9ELNS1_11target_archE1100ELNS1_3gpuE3ELNS1_3repE0EEENS1_30default_config_static_selectorELNS0_4arch9wavefront6targetE0EEEvS12_.num_named_barrier, 0
	.set _ZN7rocprim17ROCPRIM_400000_NS6detail17trampoline_kernelINS0_13select_configILj256ELj13ELNS0_17block_load_methodE3ELS4_3ELS4_3ELNS0_20block_scan_algorithmE0ELj4294967295EEENS1_25partition_config_selectorILNS1_17partition_subalgoE4EjNS0_10empty_typeEbEEZZNS1_14partition_implILS8_4ELb0ES6_15HIP_vector_typeIjLj2EENS0_17counting_iteratorIjlEEPS9_SG_NS0_5tupleIJPjSI_NS0_16reverse_iteratorISI_EEEEENSH_IJSG_SG_SG_EEES9_SI_JZNS1_25segmented_radix_sort_implINS0_14default_configELb1EPKsPsPKlPlN2at6native12_GLOBAL__N_18offset_tEEE10hipError_tPvRmT1_PNSt15iterator_traitsIS12_E10value_typeET2_T3_PNS13_IS18_E10value_typeET4_jRbjT5_S1E_jjP12ihipStream_tbEUljE_ZNSN_ISO_Lb1ESQ_SR_ST_SU_SY_EESZ_S10_S11_S12_S16_S17_S18_S1B_S1C_jS1D_jS1E_S1E_jjS1G_bEUljE0_EEESZ_S10_S11_S18_S1C_S1E_T6_T7_T9_mT8_S1G_bDpT10_ENKUlT_T0_E_clISt17integral_constantIbLb0EES1T_IbLb1EEEEDaS1P_S1Q_EUlS1P_E_NS1_11comp_targetILNS1_3genE9ELNS1_11target_archE1100ELNS1_3gpuE3ELNS1_3repE0EEENS1_30default_config_static_selectorELNS0_4arch9wavefront6targetE0EEEvS12_.private_seg_size, 0
	.set _ZN7rocprim17ROCPRIM_400000_NS6detail17trampoline_kernelINS0_13select_configILj256ELj13ELNS0_17block_load_methodE3ELS4_3ELS4_3ELNS0_20block_scan_algorithmE0ELj4294967295EEENS1_25partition_config_selectorILNS1_17partition_subalgoE4EjNS0_10empty_typeEbEEZZNS1_14partition_implILS8_4ELb0ES6_15HIP_vector_typeIjLj2EENS0_17counting_iteratorIjlEEPS9_SG_NS0_5tupleIJPjSI_NS0_16reverse_iteratorISI_EEEEENSH_IJSG_SG_SG_EEES9_SI_JZNS1_25segmented_radix_sort_implINS0_14default_configELb1EPKsPsPKlPlN2at6native12_GLOBAL__N_18offset_tEEE10hipError_tPvRmT1_PNSt15iterator_traitsIS12_E10value_typeET2_T3_PNS13_IS18_E10value_typeET4_jRbjT5_S1E_jjP12ihipStream_tbEUljE_ZNSN_ISO_Lb1ESQ_SR_ST_SU_SY_EESZ_S10_S11_S12_S16_S17_S18_S1B_S1C_jS1D_jS1E_S1E_jjS1G_bEUljE0_EEESZ_S10_S11_S18_S1C_S1E_T6_T7_T9_mT8_S1G_bDpT10_ENKUlT_T0_E_clISt17integral_constantIbLb0EES1T_IbLb1EEEEDaS1P_S1Q_EUlS1P_E_NS1_11comp_targetILNS1_3genE9ELNS1_11target_archE1100ELNS1_3gpuE3ELNS1_3repE0EEENS1_30default_config_static_selectorELNS0_4arch9wavefront6targetE0EEEvS12_.uses_vcc, 0
	.set _ZN7rocprim17ROCPRIM_400000_NS6detail17trampoline_kernelINS0_13select_configILj256ELj13ELNS0_17block_load_methodE3ELS4_3ELS4_3ELNS0_20block_scan_algorithmE0ELj4294967295EEENS1_25partition_config_selectorILNS1_17partition_subalgoE4EjNS0_10empty_typeEbEEZZNS1_14partition_implILS8_4ELb0ES6_15HIP_vector_typeIjLj2EENS0_17counting_iteratorIjlEEPS9_SG_NS0_5tupleIJPjSI_NS0_16reverse_iteratorISI_EEEEENSH_IJSG_SG_SG_EEES9_SI_JZNS1_25segmented_radix_sort_implINS0_14default_configELb1EPKsPsPKlPlN2at6native12_GLOBAL__N_18offset_tEEE10hipError_tPvRmT1_PNSt15iterator_traitsIS12_E10value_typeET2_T3_PNS13_IS18_E10value_typeET4_jRbjT5_S1E_jjP12ihipStream_tbEUljE_ZNSN_ISO_Lb1ESQ_SR_ST_SU_SY_EESZ_S10_S11_S12_S16_S17_S18_S1B_S1C_jS1D_jS1E_S1E_jjS1G_bEUljE0_EEESZ_S10_S11_S18_S1C_S1E_T6_T7_T9_mT8_S1G_bDpT10_ENKUlT_T0_E_clISt17integral_constantIbLb0EES1T_IbLb1EEEEDaS1P_S1Q_EUlS1P_E_NS1_11comp_targetILNS1_3genE9ELNS1_11target_archE1100ELNS1_3gpuE3ELNS1_3repE0EEENS1_30default_config_static_selectorELNS0_4arch9wavefront6targetE0EEEvS12_.uses_flat_scratch, 0
	.set _ZN7rocprim17ROCPRIM_400000_NS6detail17trampoline_kernelINS0_13select_configILj256ELj13ELNS0_17block_load_methodE3ELS4_3ELS4_3ELNS0_20block_scan_algorithmE0ELj4294967295EEENS1_25partition_config_selectorILNS1_17partition_subalgoE4EjNS0_10empty_typeEbEEZZNS1_14partition_implILS8_4ELb0ES6_15HIP_vector_typeIjLj2EENS0_17counting_iteratorIjlEEPS9_SG_NS0_5tupleIJPjSI_NS0_16reverse_iteratorISI_EEEEENSH_IJSG_SG_SG_EEES9_SI_JZNS1_25segmented_radix_sort_implINS0_14default_configELb1EPKsPsPKlPlN2at6native12_GLOBAL__N_18offset_tEEE10hipError_tPvRmT1_PNSt15iterator_traitsIS12_E10value_typeET2_T3_PNS13_IS18_E10value_typeET4_jRbjT5_S1E_jjP12ihipStream_tbEUljE_ZNSN_ISO_Lb1ESQ_SR_ST_SU_SY_EESZ_S10_S11_S12_S16_S17_S18_S1B_S1C_jS1D_jS1E_S1E_jjS1G_bEUljE0_EEESZ_S10_S11_S18_S1C_S1E_T6_T7_T9_mT8_S1G_bDpT10_ENKUlT_T0_E_clISt17integral_constantIbLb0EES1T_IbLb1EEEEDaS1P_S1Q_EUlS1P_E_NS1_11comp_targetILNS1_3genE9ELNS1_11target_archE1100ELNS1_3gpuE3ELNS1_3repE0EEENS1_30default_config_static_selectorELNS0_4arch9wavefront6targetE0EEEvS12_.has_dyn_sized_stack, 0
	.set _ZN7rocprim17ROCPRIM_400000_NS6detail17trampoline_kernelINS0_13select_configILj256ELj13ELNS0_17block_load_methodE3ELS4_3ELS4_3ELNS0_20block_scan_algorithmE0ELj4294967295EEENS1_25partition_config_selectorILNS1_17partition_subalgoE4EjNS0_10empty_typeEbEEZZNS1_14partition_implILS8_4ELb0ES6_15HIP_vector_typeIjLj2EENS0_17counting_iteratorIjlEEPS9_SG_NS0_5tupleIJPjSI_NS0_16reverse_iteratorISI_EEEEENSH_IJSG_SG_SG_EEES9_SI_JZNS1_25segmented_radix_sort_implINS0_14default_configELb1EPKsPsPKlPlN2at6native12_GLOBAL__N_18offset_tEEE10hipError_tPvRmT1_PNSt15iterator_traitsIS12_E10value_typeET2_T3_PNS13_IS18_E10value_typeET4_jRbjT5_S1E_jjP12ihipStream_tbEUljE_ZNSN_ISO_Lb1ESQ_SR_ST_SU_SY_EESZ_S10_S11_S12_S16_S17_S18_S1B_S1C_jS1D_jS1E_S1E_jjS1G_bEUljE0_EEESZ_S10_S11_S18_S1C_S1E_T6_T7_T9_mT8_S1G_bDpT10_ENKUlT_T0_E_clISt17integral_constantIbLb0EES1T_IbLb1EEEEDaS1P_S1Q_EUlS1P_E_NS1_11comp_targetILNS1_3genE9ELNS1_11target_archE1100ELNS1_3gpuE3ELNS1_3repE0EEENS1_30default_config_static_selectorELNS0_4arch9wavefront6targetE0EEEvS12_.has_recursion, 0
	.set _ZN7rocprim17ROCPRIM_400000_NS6detail17trampoline_kernelINS0_13select_configILj256ELj13ELNS0_17block_load_methodE3ELS4_3ELS4_3ELNS0_20block_scan_algorithmE0ELj4294967295EEENS1_25partition_config_selectorILNS1_17partition_subalgoE4EjNS0_10empty_typeEbEEZZNS1_14partition_implILS8_4ELb0ES6_15HIP_vector_typeIjLj2EENS0_17counting_iteratorIjlEEPS9_SG_NS0_5tupleIJPjSI_NS0_16reverse_iteratorISI_EEEEENSH_IJSG_SG_SG_EEES9_SI_JZNS1_25segmented_radix_sort_implINS0_14default_configELb1EPKsPsPKlPlN2at6native12_GLOBAL__N_18offset_tEEE10hipError_tPvRmT1_PNSt15iterator_traitsIS12_E10value_typeET2_T3_PNS13_IS18_E10value_typeET4_jRbjT5_S1E_jjP12ihipStream_tbEUljE_ZNSN_ISO_Lb1ESQ_SR_ST_SU_SY_EESZ_S10_S11_S12_S16_S17_S18_S1B_S1C_jS1D_jS1E_S1E_jjS1G_bEUljE0_EEESZ_S10_S11_S18_S1C_S1E_T6_T7_T9_mT8_S1G_bDpT10_ENKUlT_T0_E_clISt17integral_constantIbLb0EES1T_IbLb1EEEEDaS1P_S1Q_EUlS1P_E_NS1_11comp_targetILNS1_3genE9ELNS1_11target_archE1100ELNS1_3gpuE3ELNS1_3repE0EEENS1_30default_config_static_selectorELNS0_4arch9wavefront6targetE0EEEvS12_.has_indirect_call, 0
	.section	.AMDGPU.csdata,"",@progbits
; Kernel info:
; codeLenInByte = 0
; TotalNumSgprs: 0
; NumVgprs: 0
; ScratchSize: 0
; MemoryBound: 0
; FloatMode: 240
; IeeeMode: 1
; LDSByteSize: 0 bytes/workgroup (compile time only)
; SGPRBlocks: 0
; VGPRBlocks: 0
; NumSGPRsForWavesPerEU: 1
; NumVGPRsForWavesPerEU: 1
; Occupancy: 16
; WaveLimiterHint : 0
; COMPUTE_PGM_RSRC2:SCRATCH_EN: 0
; COMPUTE_PGM_RSRC2:USER_SGPR: 6
; COMPUTE_PGM_RSRC2:TRAP_HANDLER: 0
; COMPUTE_PGM_RSRC2:TGID_X_EN: 1
; COMPUTE_PGM_RSRC2:TGID_Y_EN: 0
; COMPUTE_PGM_RSRC2:TGID_Z_EN: 0
; COMPUTE_PGM_RSRC2:TIDIG_COMP_CNT: 0
	.section	.text._ZN7rocprim17ROCPRIM_400000_NS6detail17trampoline_kernelINS0_13select_configILj256ELj13ELNS0_17block_load_methodE3ELS4_3ELS4_3ELNS0_20block_scan_algorithmE0ELj4294967295EEENS1_25partition_config_selectorILNS1_17partition_subalgoE4EjNS0_10empty_typeEbEEZZNS1_14partition_implILS8_4ELb0ES6_15HIP_vector_typeIjLj2EENS0_17counting_iteratorIjlEEPS9_SG_NS0_5tupleIJPjSI_NS0_16reverse_iteratorISI_EEEEENSH_IJSG_SG_SG_EEES9_SI_JZNS1_25segmented_radix_sort_implINS0_14default_configELb1EPKsPsPKlPlN2at6native12_GLOBAL__N_18offset_tEEE10hipError_tPvRmT1_PNSt15iterator_traitsIS12_E10value_typeET2_T3_PNS13_IS18_E10value_typeET4_jRbjT5_S1E_jjP12ihipStream_tbEUljE_ZNSN_ISO_Lb1ESQ_SR_ST_SU_SY_EESZ_S10_S11_S12_S16_S17_S18_S1B_S1C_jS1D_jS1E_S1E_jjS1G_bEUljE0_EEESZ_S10_S11_S18_S1C_S1E_T6_T7_T9_mT8_S1G_bDpT10_ENKUlT_T0_E_clISt17integral_constantIbLb0EES1T_IbLb1EEEEDaS1P_S1Q_EUlS1P_E_NS1_11comp_targetILNS1_3genE8ELNS1_11target_archE1030ELNS1_3gpuE2ELNS1_3repE0EEENS1_30default_config_static_selectorELNS0_4arch9wavefront6targetE0EEEvS12_,"axG",@progbits,_ZN7rocprim17ROCPRIM_400000_NS6detail17trampoline_kernelINS0_13select_configILj256ELj13ELNS0_17block_load_methodE3ELS4_3ELS4_3ELNS0_20block_scan_algorithmE0ELj4294967295EEENS1_25partition_config_selectorILNS1_17partition_subalgoE4EjNS0_10empty_typeEbEEZZNS1_14partition_implILS8_4ELb0ES6_15HIP_vector_typeIjLj2EENS0_17counting_iteratorIjlEEPS9_SG_NS0_5tupleIJPjSI_NS0_16reverse_iteratorISI_EEEEENSH_IJSG_SG_SG_EEES9_SI_JZNS1_25segmented_radix_sort_implINS0_14default_configELb1EPKsPsPKlPlN2at6native12_GLOBAL__N_18offset_tEEE10hipError_tPvRmT1_PNSt15iterator_traitsIS12_E10value_typeET2_T3_PNS13_IS18_E10value_typeET4_jRbjT5_S1E_jjP12ihipStream_tbEUljE_ZNSN_ISO_Lb1ESQ_SR_ST_SU_SY_EESZ_S10_S11_S12_S16_S17_S18_S1B_S1C_jS1D_jS1E_S1E_jjS1G_bEUljE0_EEESZ_S10_S11_S18_S1C_S1E_T6_T7_T9_mT8_S1G_bDpT10_ENKUlT_T0_E_clISt17integral_constantIbLb0EES1T_IbLb1EEEEDaS1P_S1Q_EUlS1P_E_NS1_11comp_targetILNS1_3genE8ELNS1_11target_archE1030ELNS1_3gpuE2ELNS1_3repE0EEENS1_30default_config_static_selectorELNS0_4arch9wavefront6targetE0EEEvS12_,comdat
	.globl	_ZN7rocprim17ROCPRIM_400000_NS6detail17trampoline_kernelINS0_13select_configILj256ELj13ELNS0_17block_load_methodE3ELS4_3ELS4_3ELNS0_20block_scan_algorithmE0ELj4294967295EEENS1_25partition_config_selectorILNS1_17partition_subalgoE4EjNS0_10empty_typeEbEEZZNS1_14partition_implILS8_4ELb0ES6_15HIP_vector_typeIjLj2EENS0_17counting_iteratorIjlEEPS9_SG_NS0_5tupleIJPjSI_NS0_16reverse_iteratorISI_EEEEENSH_IJSG_SG_SG_EEES9_SI_JZNS1_25segmented_radix_sort_implINS0_14default_configELb1EPKsPsPKlPlN2at6native12_GLOBAL__N_18offset_tEEE10hipError_tPvRmT1_PNSt15iterator_traitsIS12_E10value_typeET2_T3_PNS13_IS18_E10value_typeET4_jRbjT5_S1E_jjP12ihipStream_tbEUljE_ZNSN_ISO_Lb1ESQ_SR_ST_SU_SY_EESZ_S10_S11_S12_S16_S17_S18_S1B_S1C_jS1D_jS1E_S1E_jjS1G_bEUljE0_EEESZ_S10_S11_S18_S1C_S1E_T6_T7_T9_mT8_S1G_bDpT10_ENKUlT_T0_E_clISt17integral_constantIbLb0EES1T_IbLb1EEEEDaS1P_S1Q_EUlS1P_E_NS1_11comp_targetILNS1_3genE8ELNS1_11target_archE1030ELNS1_3gpuE2ELNS1_3repE0EEENS1_30default_config_static_selectorELNS0_4arch9wavefront6targetE0EEEvS12_ ; -- Begin function _ZN7rocprim17ROCPRIM_400000_NS6detail17trampoline_kernelINS0_13select_configILj256ELj13ELNS0_17block_load_methodE3ELS4_3ELS4_3ELNS0_20block_scan_algorithmE0ELj4294967295EEENS1_25partition_config_selectorILNS1_17partition_subalgoE4EjNS0_10empty_typeEbEEZZNS1_14partition_implILS8_4ELb0ES6_15HIP_vector_typeIjLj2EENS0_17counting_iteratorIjlEEPS9_SG_NS0_5tupleIJPjSI_NS0_16reverse_iteratorISI_EEEEENSH_IJSG_SG_SG_EEES9_SI_JZNS1_25segmented_radix_sort_implINS0_14default_configELb1EPKsPsPKlPlN2at6native12_GLOBAL__N_18offset_tEEE10hipError_tPvRmT1_PNSt15iterator_traitsIS12_E10value_typeET2_T3_PNS13_IS18_E10value_typeET4_jRbjT5_S1E_jjP12ihipStream_tbEUljE_ZNSN_ISO_Lb1ESQ_SR_ST_SU_SY_EESZ_S10_S11_S12_S16_S17_S18_S1B_S1C_jS1D_jS1E_S1E_jjS1G_bEUljE0_EEESZ_S10_S11_S18_S1C_S1E_T6_T7_T9_mT8_S1G_bDpT10_ENKUlT_T0_E_clISt17integral_constantIbLb0EES1T_IbLb1EEEEDaS1P_S1Q_EUlS1P_E_NS1_11comp_targetILNS1_3genE8ELNS1_11target_archE1030ELNS1_3gpuE2ELNS1_3repE0EEENS1_30default_config_static_selectorELNS0_4arch9wavefront6targetE0EEEvS12_
	.p2align	8
	.type	_ZN7rocprim17ROCPRIM_400000_NS6detail17trampoline_kernelINS0_13select_configILj256ELj13ELNS0_17block_load_methodE3ELS4_3ELS4_3ELNS0_20block_scan_algorithmE0ELj4294967295EEENS1_25partition_config_selectorILNS1_17partition_subalgoE4EjNS0_10empty_typeEbEEZZNS1_14partition_implILS8_4ELb0ES6_15HIP_vector_typeIjLj2EENS0_17counting_iteratorIjlEEPS9_SG_NS0_5tupleIJPjSI_NS0_16reverse_iteratorISI_EEEEENSH_IJSG_SG_SG_EEES9_SI_JZNS1_25segmented_radix_sort_implINS0_14default_configELb1EPKsPsPKlPlN2at6native12_GLOBAL__N_18offset_tEEE10hipError_tPvRmT1_PNSt15iterator_traitsIS12_E10value_typeET2_T3_PNS13_IS18_E10value_typeET4_jRbjT5_S1E_jjP12ihipStream_tbEUljE_ZNSN_ISO_Lb1ESQ_SR_ST_SU_SY_EESZ_S10_S11_S12_S16_S17_S18_S1B_S1C_jS1D_jS1E_S1E_jjS1G_bEUljE0_EEESZ_S10_S11_S18_S1C_S1E_T6_T7_T9_mT8_S1G_bDpT10_ENKUlT_T0_E_clISt17integral_constantIbLb0EES1T_IbLb1EEEEDaS1P_S1Q_EUlS1P_E_NS1_11comp_targetILNS1_3genE8ELNS1_11target_archE1030ELNS1_3gpuE2ELNS1_3repE0EEENS1_30default_config_static_selectorELNS0_4arch9wavefront6targetE0EEEvS12_,@function
_ZN7rocprim17ROCPRIM_400000_NS6detail17trampoline_kernelINS0_13select_configILj256ELj13ELNS0_17block_load_methodE3ELS4_3ELS4_3ELNS0_20block_scan_algorithmE0ELj4294967295EEENS1_25partition_config_selectorILNS1_17partition_subalgoE4EjNS0_10empty_typeEbEEZZNS1_14partition_implILS8_4ELb0ES6_15HIP_vector_typeIjLj2EENS0_17counting_iteratorIjlEEPS9_SG_NS0_5tupleIJPjSI_NS0_16reverse_iteratorISI_EEEEENSH_IJSG_SG_SG_EEES9_SI_JZNS1_25segmented_radix_sort_implINS0_14default_configELb1EPKsPsPKlPlN2at6native12_GLOBAL__N_18offset_tEEE10hipError_tPvRmT1_PNSt15iterator_traitsIS12_E10value_typeET2_T3_PNS13_IS18_E10value_typeET4_jRbjT5_S1E_jjP12ihipStream_tbEUljE_ZNSN_ISO_Lb1ESQ_SR_ST_SU_SY_EESZ_S10_S11_S12_S16_S17_S18_S1B_S1C_jS1D_jS1E_S1E_jjS1G_bEUljE0_EEESZ_S10_S11_S18_S1C_S1E_T6_T7_T9_mT8_S1G_bDpT10_ENKUlT_T0_E_clISt17integral_constantIbLb0EES1T_IbLb1EEEEDaS1P_S1Q_EUlS1P_E_NS1_11comp_targetILNS1_3genE8ELNS1_11target_archE1030ELNS1_3gpuE2ELNS1_3repE0EEENS1_30default_config_static_selectorELNS0_4arch9wavefront6targetE0EEEvS12_: ; @_ZN7rocprim17ROCPRIM_400000_NS6detail17trampoline_kernelINS0_13select_configILj256ELj13ELNS0_17block_load_methodE3ELS4_3ELS4_3ELNS0_20block_scan_algorithmE0ELj4294967295EEENS1_25partition_config_selectorILNS1_17partition_subalgoE4EjNS0_10empty_typeEbEEZZNS1_14partition_implILS8_4ELb0ES6_15HIP_vector_typeIjLj2EENS0_17counting_iteratorIjlEEPS9_SG_NS0_5tupleIJPjSI_NS0_16reverse_iteratorISI_EEEEENSH_IJSG_SG_SG_EEES9_SI_JZNS1_25segmented_radix_sort_implINS0_14default_configELb1EPKsPsPKlPlN2at6native12_GLOBAL__N_18offset_tEEE10hipError_tPvRmT1_PNSt15iterator_traitsIS12_E10value_typeET2_T3_PNS13_IS18_E10value_typeET4_jRbjT5_S1E_jjP12ihipStream_tbEUljE_ZNSN_ISO_Lb1ESQ_SR_ST_SU_SY_EESZ_S10_S11_S12_S16_S17_S18_S1B_S1C_jS1D_jS1E_S1E_jjS1G_bEUljE0_EEESZ_S10_S11_S18_S1C_S1E_T6_T7_T9_mT8_S1G_bDpT10_ENKUlT_T0_E_clISt17integral_constantIbLb0EES1T_IbLb1EEEEDaS1P_S1Q_EUlS1P_E_NS1_11comp_targetILNS1_3genE8ELNS1_11target_archE1030ELNS1_3gpuE2ELNS1_3repE0EEENS1_30default_config_static_selectorELNS0_4arch9wavefront6targetE0EEEvS12_
; %bb.0:
	s_clause 0x7
	s_load_dwordx2 s[34:35], s[4:5], 0x10
	s_load_dwordx4 s[28:31], s[4:5], 0x28
	s_load_dwordx2 s[14:15], s[4:5], 0x38
	s_load_dwordx4 s[24:27], s[4:5], 0x58
	s_load_dwordx2 s[2:3], s[4:5], 0x68
	s_load_dwordx2 s[36:37], s[4:5], 0x78
	s_load_dwordx2 s[38:39], s[4:5], 0xb0
	s_load_dwordx8 s[16:23], s[4:5], 0x90
	v_cmp_eq_u32_e64 s0, 0, v0
	s_and_saveexec_b32 s1, s0
	s_cbranch_execz .LBB872_4
; %bb.1:
	s_mov_b32 s7, exec_lo
	s_mov_b32 s6, exec_lo
	v_mbcnt_lo_u32_b32 v1, s7, 0
                                        ; implicit-def: $vgpr2
	v_cmpx_eq_u32_e32 0, v1
	s_cbranch_execz .LBB872_3
; %bb.2:
	s_load_dwordx2 s[8:9], s[4:5], 0x88
	s_bcnt1_i32_b32 s7, s7
	v_mov_b32_e32 v2, 0
	v_mov_b32_e32 v3, s7
	s_waitcnt lgkmcnt(0)
	global_atomic_add v2, v2, v3, s[8:9] glc
.LBB872_3:
	s_or_b32 exec_lo, exec_lo, s6
	s_waitcnt vmcnt(0)
	v_readfirstlane_b32 s6, v2
	v_mov_b32_e32 v2, 0
	v_add_nc_u32_e32 v1, s6, v1
	ds_write_b32 v2, v1
.LBB872_4:
	s_or_b32 exec_lo, exec_lo, s1
	v_mov_b32_e32 v1, 0
	s_clause 0x1
	s_load_dword s6, s[4:5], 0x8
	s_load_dword s1, s[4:5], 0x80
	s_waitcnt lgkmcnt(0)
	s_barrier
	buffer_gl0_inv
	ds_read_b32 v5, v1
	s_waitcnt lgkmcnt(0)
	s_barrier
	buffer_gl0_inv
	global_load_dwordx4 v[1:4], v1, s[26:27]
	s_add_i32 s5, s6, s34
	s_mul_i32 s4, s1, 0xd00
	s_add_i32 s1, s1, -1
	s_add_u32 s6, s34, s4
	s_addc_u32 s7, s35, 0
	v_mul_lo_u32 v31, 0xd00, v5
	v_readfirstlane_b32 s27, v5
	v_cmp_gt_u64_e64 s3, s[2:3], s[6:7]
	v_cmp_ne_u32_e32 vcc_lo, s1, v5
	s_cmp_eq_u32 s27, s1
	s_cselect_b32 s26, -1, 0
	v_add3_u32 v5, v31, s5, v0
	s_or_b32 s1, s3, vcc_lo
	s_mov_b32 s3, -1
	s_and_b32 vcc_lo, exec_lo, s1
	v_add_nc_u32_e32 v6, 0x100, v5
	v_add_nc_u32_e32 v7, 0x200, v5
	;; [unrolled: 1-line block ×12, first 2 shown]
	s_cbranch_vccz .LBB872_6
; %bb.5:
	v_lshlrev_b32_e32 v18, 2, v0
	s_mov_b32 s3, 0
	ds_write2st64_b32 v18, v5, v6 offset1:4
	ds_write2st64_b32 v18, v7, v8 offset0:8 offset1:12
	ds_write2st64_b32 v18, v9, v10 offset0:16 offset1:20
	;; [unrolled: 1-line block ×5, first 2 shown]
	ds_write_b32 v18, v17 offset:12288
	s_waitcnt vmcnt(0) lgkmcnt(0)
	s_barrier
.LBB872_6:
	s_andn2_b32 vcc_lo, exec_lo, s3
	s_add_i32 s4, s4, s34
	s_cbranch_vccnz .LBB872_8
; %bb.7:
	v_lshlrev_b32_e32 v18, 2, v0
	ds_write2st64_b32 v18, v5, v6 offset1:4
	ds_write2st64_b32 v18, v7, v8 offset0:8 offset1:12
	ds_write2st64_b32 v18, v9, v10 offset0:16 offset1:20
	;; [unrolled: 1-line block ×5, first 2 shown]
	ds_write_b32 v18, v17 offset:12288
	s_waitcnt vmcnt(0) lgkmcnt(0)
	s_barrier
.LBB872_8:
	v_mul_u32_u24_e32 v34, 13, v0
	s_waitcnt vmcnt(0)
	buffer_gl0_inv
	v_cndmask_b32_e64 v32, 0, 1, s1
	s_sub_i32 s33, s2, s4
	s_andn2_b32 vcc_lo, exec_lo, s1
	v_lshlrev_b32_e32 v5, 2, v34
	ds_read_b32 v33, v5 offset:48
	ds_read2_b32 v[13:14], v5 offset0:10 offset1:11
	ds_read2_b32 v[15:16], v5 offset0:8 offset1:9
	;; [unrolled: 1-line block ×4, first 2 shown]
	ds_read2_b32 v[23:24], v5 offset1:1
	ds_read2_b32 v[21:22], v5 offset0:2 offset1:3
	s_waitcnt lgkmcnt(0)
	s_barrier
	buffer_gl0_inv
	s_cbranch_vccnz .LBB872_36
; %bb.9:
	v_add_nc_u32_e32 v5, s17, v23
	v_add_nc_u32_e32 v6, s19, v23
	s_mov_b32 s41, 0
	s_mov_b32 s40, 0
	s_mov_b32 s2, exec_lo
	v_mul_lo_u32 v5, v5, s16
	v_mul_lo_u32 v6, v6, s18
	v_sub_nc_u32_e32 v5, v5, v6
	v_cmp_lt_u32_e32 vcc_lo, s20, v5
	v_cmpx_ge_u32_e64 s20, v5
	s_cbranch_execz .LBB872_11
; %bb.10:
	v_add_nc_u32_e32 v5, s22, v23
	v_add_nc_u32_e32 v6, s38, v23
	v_mul_lo_u32 v5, v5, s21
	v_mul_lo_u32 v6, v6, s23
	v_sub_nc_u32_e32 v5, v5, v6
	v_cmp_lt_u32_e64 s1, s39, v5
	s_and_b32 s40, s1, exec_lo
.LBB872_11:
	s_or_b32 exec_lo, exec_lo, s2
	v_add_nc_u32_e32 v5, s17, v24
	v_add_nc_u32_e32 v6, s19, v24
	s_mov_b32 s3, exec_lo
	v_mul_lo_u32 v5, v5, s16
	v_mul_lo_u32 v6, v6, s18
	v_sub_nc_u32_e32 v5, v5, v6
	v_cmp_lt_u32_e64 s1, s20, v5
	v_cmpx_ge_u32_e64 s20, v5
	s_cbranch_execz .LBB872_13
; %bb.12:
	v_add_nc_u32_e32 v5, s22, v24
	v_add_nc_u32_e32 v6, s38, v24
	v_mul_lo_u32 v5, v5, s21
	v_mul_lo_u32 v6, v6, s23
	v_sub_nc_u32_e32 v5, v5, v6
	v_cmp_lt_u32_e64 s2, s39, v5
	s_and_b32 s41, s2, exec_lo
.LBB872_13:
	s_or_b32 exec_lo, exec_lo, s3
	v_add_nc_u32_e32 v5, s17, v21
	v_add_nc_u32_e32 v6, s19, v21
	s_mov_b32 s43, 0
	s_mov_b32 s42, 0
	s_mov_b32 s4, exec_lo
	v_mul_lo_u32 v5, v5, s16
	v_mul_lo_u32 v6, v6, s18
	v_sub_nc_u32_e32 v5, v5, v6
	v_cmp_lt_u32_e64 s2, s20, v5
	v_cmpx_ge_u32_e64 s20, v5
	s_cbranch_execz .LBB872_15
; %bb.14:
	v_add_nc_u32_e32 v5, s22, v21
	v_add_nc_u32_e32 v6, s38, v21
	v_mul_lo_u32 v5, v5, s21
	v_mul_lo_u32 v6, v6, s23
	v_sub_nc_u32_e32 v5, v5, v6
	v_cmp_lt_u32_e64 s3, s39, v5
	s_and_b32 s42, s3, exec_lo
.LBB872_15:
	s_or_b32 exec_lo, exec_lo, s4
	v_add_nc_u32_e32 v5, s17, v22
	v_add_nc_u32_e32 v6, s19, v22
	s_mov_b32 s5, exec_lo
	v_mul_lo_u32 v5, v5, s16
	v_mul_lo_u32 v6, v6, s18
	v_sub_nc_u32_e32 v5, v5, v6
	v_cmp_lt_u32_e64 s3, s20, v5
	v_cmpx_ge_u32_e64 s20, v5
	s_cbranch_execz .LBB872_17
; %bb.16:
	v_add_nc_u32_e32 v5, s22, v22
	v_add_nc_u32_e32 v6, s38, v22
	v_mul_lo_u32 v5, v5, s21
	v_mul_lo_u32 v6, v6, s23
	v_sub_nc_u32_e32 v5, v5, v6
	v_cmp_lt_u32_e64 s4, s39, v5
	s_and_b32 s43, s4, exec_lo
.LBB872_17:
	s_or_b32 exec_lo, exec_lo, s5
	v_add_nc_u32_e32 v5, s17, v19
	v_add_nc_u32_e32 v6, s19, v19
	s_mov_b32 s45, 0
	s_mov_b32 s44, 0
	s_mov_b32 s6, exec_lo
	v_mul_lo_u32 v5, v5, s16
	v_mul_lo_u32 v6, v6, s18
	v_sub_nc_u32_e32 v5, v5, v6
	v_cmp_lt_u32_e64 s4, s20, v5
	;; [unrolled: 40-line block ×6, first 2 shown]
	v_cmpx_ge_u32_e64 s20, v5
	s_cbranch_execz .LBB872_35
; %bb.34:
	v_add_nc_u32_e32 v5, s22, v33
	v_add_nc_u32_e32 v6, s38, v33
	v_mul_lo_u32 v5, v5, s21
	v_mul_lo_u32 v6, v6, s23
	v_sub_nc_u32_e32 v5, v5, v6
	v_cmp_lt_u32_e64 s13, s39, v5
	s_and_b32 s53, s13, exec_lo
.LBB872_35:
	s_or_b32 exec_lo, exec_lo, s54
	v_cndmask_b32_e64 v6, 0, 1, s1
	v_cndmask_b32_e64 v8, 0, 1, s3
	v_cndmask_b32_e64 v5, 0, 1, vcc_lo
	v_cndmask_b32_e64 v7, 0, 1, s2
	v_cndmask_b32_e64 v10, 0, 1, s5
	v_lshlrev_b16 v6, 8, v6
	v_lshlrev_b16 v8, 8, v8
	v_cndmask_b32_e64 v12, 0, 1, s7
	v_cndmask_b32_e64 v26, 0, 1, s9
	;; [unrolled: 1-line block ×3, first 2 shown]
	v_or_b32_e32 v5, v5, v6
	v_or_b32_sdwa v6, v7, v8 dst_sel:WORD_1 dst_unused:UNUSED_PAD src0_sel:DWORD src1_sel:DWORD
	v_cndmask_b32_e64 v7, 0, 1, s40
	v_cndmask_b32_e64 v9, 0, 1, s4
	;; [unrolled: 1-line block ×11, first 2 shown]
	v_or_b32_sdwa v35, v5, v6 dst_sel:DWORD dst_unused:UNUSED_PAD src0_sel:WORD_0 src1_sel:DWORD
	v_lshlrev_b16 v5, 8, v10
	v_lshlrev_b16 v6, 8, v12
	;; [unrolled: 1-line block ×5, first 2 shown]
	v_cndmask_b32_e64 v30, 0, 1, s49
	v_cndmask_b32_e64 v37, 0, 1, s47
	;; [unrolled: 1-line block ×5, first 2 shown]
	v_or_b32_e32 v5, v9, v5
	v_or_b32_sdwa v6, v11, v6 dst_sel:WORD_1 dst_unused:UNUSED_PAD src0_sel:DWORD src1_sel:DWORD
	v_or_b32_e32 v9, v25, v10
	v_or_b32_sdwa v10, v27, v12 dst_sel:WORD_1 dst_unused:UNUSED_PAD src0_sel:DWORD src1_sel:DWORD
	v_or_b32_e32 v7, v8, v7
	v_lshlrev_b16 v8, 8, v44
	v_lshlrev_b16 v11, 8, v41
	v_lshlrev_b16 v12, 8, v38
	v_lshlrev_b16 v25, 8, v36
	v_lshlrev_b16 v26, 8, v28
	v_or_b32_sdwa v8, v45, v8 dst_sel:WORD_1 dst_unused:UNUSED_PAD src0_sel:DWORD src1_sel:DWORD
	v_or_b32_e32 v11, v43, v11
	v_or_b32_sdwa v12, v40, v12 dst_sel:WORD_1 dst_unused:UNUSED_PAD src0_sel:DWORD src1_sel:DWORD
	v_or_b32_e32 v25, v37, v25
	v_or_b32_sdwa v26, v30, v26 dst_sel:WORD_1 dst_unused:UNUSED_PAD src0_sel:DWORD src1_sel:DWORD
	v_cndmask_b32_e64 v39, 0, 1, s51
	v_cndmask_b32_e64 v42, 0, 1, s53
	v_or_b32_sdwa v37, v5, v6 dst_sel:DWORD dst_unused:UNUSED_PAD src0_sel:WORD_0 src1_sel:DWORD
	v_or_b32_sdwa v40, v9, v10 dst_sel:DWORD dst_unused:UNUSED_PAD src0_sel:WORD_0 src1_sel:DWORD
	v_or_b32_sdwa v41, v7, v8 dst_sel:DWORD dst_unused:UNUSED_PAD src0_sel:WORD_0 src1_sel:DWORD
	v_or_b32_sdwa v36, v11, v12 dst_sel:DWORD dst_unused:UNUSED_PAD src0_sel:WORD_0 src1_sel:DWORD
	v_or_b32_sdwa v38, v25, v26 dst_sel:DWORD dst_unused:UNUSED_PAD src0_sel:WORD_0 src1_sel:DWORD
	s_and_b32 vcc_lo, exec_lo, s50
	s_add_i32 s5, s33, 0xd00
	s_cbranch_vccnz .LBB872_37
	s_branch .LBB872_114
.LBB872_36:
                                        ; implicit-def: $vgpr42
                                        ; implicit-def: $vgpr39
                                        ; implicit-def: $vgpr38
                                        ; implicit-def: $vgpr36
                                        ; implicit-def: $vgpr41
                                        ; implicit-def: $vgpr40
                                        ; implicit-def: $vgpr37
                                        ; implicit-def: $vgpr35
	s_add_i32 s5, s33, 0xd00
	s_cbranch_execz .LBB872_114
.LBB872_37:
	v_mov_b32_e32 v6, 0
	v_mov_b32_e32 v5, 0
	s_mov_b32 s2, exec_lo
	v_cmpx_gt_u32_e64 s5, v34
	s_cbranch_execz .LBB872_41
; %bb.38:
	v_add_nc_u32_e32 v5, s17, v23
	v_add_nc_u32_e32 v6, s19, v23
	s_mov_b32 s4, 0
	s_mov_b32 s3, exec_lo
	v_mul_lo_u32 v5, v5, s16
	v_mul_lo_u32 v6, v6, s18
	v_sub_nc_u32_e32 v5, v5, v6
	v_cmp_lt_u32_e32 vcc_lo, s20, v5
	v_cmpx_ge_u32_e64 s20, v5
	s_cbranch_execz .LBB872_40
; %bb.39:
	v_add_nc_u32_e32 v5, s22, v23
	v_add_nc_u32_e32 v6, s38, v23
	v_mul_lo_u32 v5, v5, s21
	v_mul_lo_u32 v6, v6, s23
	v_sub_nc_u32_e32 v5, v5, v6
	v_cmp_lt_u32_e64 s1, s39, v5
	s_and_b32 s4, s1, exec_lo
.LBB872_40:
	s_or_b32 exec_lo, exec_lo, s3
	v_cndmask_b32_e64 v6, 0, 1, s4
	v_cndmask_b32_e64 v5, 0, 1, vcc_lo
.LBB872_41:
	s_or_b32 exec_lo, exec_lo, s2
	v_add_nc_u32_e32 v7, 1, v34
	v_lshlrev_b16 v25, 8, v6
	v_and_b32_e32 v10, 0xff, v5
	v_lshlrev_b16 v11, 8, 0
                                        ; implicit-def: $vgpr9
                                        ; implicit-def: $vgpr12
                                        ; implicit-def: $vgpr6
                                        ; implicit-def: $vgpr8
	v_cmp_le_u32_e32 vcc_lo, s5, v7
                                        ; implicit-def: $vgpr7
	s_and_saveexec_b32 s1, vcc_lo
	s_xor_b32 s1, exec_lo, s1
	s_cbranch_execz .LBB872_43
; %bb.42:
	v_mov_b32_e32 v5, 8
	v_mov_b32_e32 v6, 0xff
	;; [unrolled: 1-line block ×3, first 2 shown]
	v_and_b32_e32 v8, 0xffff, v11
	v_and_b32_e32 v7, 0xffff, v11
	v_lshrrev_b32_sdwa v5, v5, v25 dst_sel:BYTE_1 dst_unused:UNUSED_PAD src0_sel:DWORD src1_sel:WORD_0
	v_and_b32_sdwa v6, v25, v6 dst_sel:DWORD dst_unused:UNUSED_PAD src0_sel:WORD_0 src1_sel:DWORD
                                        ; implicit-def: $vgpr25
	v_or_b32_e32 v5, v6, v5
	v_and_b32_e32 v6, 0xffff, v11
                                        ; implicit-def: $vgpr11
	v_and_b32_e32 v12, 0xffff, v5
                                        ; implicit-def: $vgpr5
.LBB872_43:
	s_andn2_saveexec_b32 s2, s1
	s_cbranch_execz .LBB872_47
; %bb.44:
	v_add_nc_u32_e32 v6, s17, v24
	v_add_nc_u32_e32 v7, s19, v24
	s_mov_b32 s3, 0
	s_mov_b32 s4, exec_lo
	v_mul_lo_u32 v6, v6, s16
	v_mul_lo_u32 v7, v7, s18
	v_sub_nc_u32_e32 v6, v6, v7
	v_cmp_lt_u32_e32 vcc_lo, s20, v6
	v_cmpx_ge_u32_e64 s20, v6
	s_cbranch_execz .LBB872_46
; %bb.45:
	v_add_nc_u32_e32 v6, s22, v24
	v_add_nc_u32_e32 v7, s38, v24
	v_mul_lo_u32 v6, v6, s21
	v_mul_lo_u32 v7, v7, s23
	v_sub_nc_u32_e32 v6, v6, v7
	v_cmp_lt_u32_e64 s1, s39, v6
	s_and_b32 s3, s1, exec_lo
.LBB872_46:
	s_or_b32 exec_lo, exec_lo, s4
	v_mov_b32_e32 v6, 0xff
	v_mov_b32_e32 v7, 8
	v_cndmask_b32_e64 v8, 0, 1, vcc_lo
	v_mov_b32_e32 v9, 0
	v_and_b32_sdwa v6, v25, v6 dst_sel:DWORD dst_unused:UNUSED_PAD src0_sel:WORD_0 src1_sel:DWORD
	v_lshrrev_b32_sdwa v7, v7, v25 dst_sel:BYTE_1 dst_unused:UNUSED_PAD src0_sel:DWORD src1_sel:WORD_0
	v_lshlrev_b16 v8, 8, v8
	v_or_b32_e32 v6, v6, v7
	v_cndmask_b32_e64 v7, 0, 1, s3
	v_or_b32_sdwa v5, v5, v8 dst_sel:DWORD dst_unused:UNUSED_PAD src0_sel:BYTE_0 src1_sel:DWORD
	v_and_b32_e32 v8, 0xffff, v11
	v_and_b32_e32 v12, 0xffff, v6
	v_mov_b32_e32 v6, 0
	v_and_b32_e32 v10, 0xffff, v5
	v_lshl_or_b32 v12, v7, 16, v12
	v_and_b32_e32 v7, 0xffff, v11
.LBB872_47:
	s_or_b32 exec_lo, exec_lo, s2
	v_add_nc_u32_e32 v5, 2, v34
                                        ; implicit-def: $vgpr11
	v_cmp_le_u32_e32 vcc_lo, s5, v5
                                        ; implicit-def: $vgpr5
	s_and_saveexec_b32 s1, vcc_lo
	s_xor_b32 s1, exec_lo, s1
	s_cbranch_execz .LBB872_49
; %bb.48:
	v_lshrrev_b32_e32 v5, 24, v10
	v_mov_b32_e32 v11, 8
	v_and_b32_e32 v25, 0xff0000, v12
	v_perm_b32 v8, v8, v8, 0x3060504
	v_perm_b32 v5, v5, v10, 0x40c0100
	v_lshrrev_b32_sdwa v10, v11, v5 dst_sel:BYTE_1 dst_unused:UNUSED_PAD src0_sel:DWORD src1_sel:DWORD
	v_or_b32_sdwa v10, v5, v10 dst_sel:DWORD dst_unused:UNUSED_PAD src0_sel:BYTE_0 src1_sel:DWORD
	v_and_b32_e32 v10, 0xffff, v10
	v_and_or_b32 v11, 0xff000000, v5, v10
	v_perm_b32 v5, v12, v25, 0x3020504
                                        ; implicit-def: $vgpr10
                                        ; implicit-def: $vgpr12
.LBB872_49:
	s_andn2_saveexec_b32 s2, s1
	s_cbranch_execz .LBB872_53
; %bb.50:
	v_add_nc_u32_e32 v5, s17, v21
	v_add_nc_u32_e32 v11, s19, v21
	s_mov_b32 s3, 0
	s_mov_b32 s4, exec_lo
	v_mul_lo_u32 v5, v5, s16
	v_mul_lo_u32 v11, v11, s18
	v_sub_nc_u32_e32 v5, v5, v11
	v_cmp_lt_u32_e32 vcc_lo, s20, v5
	v_cmpx_ge_u32_e64 s20, v5
	s_cbranch_execz .LBB872_52
; %bb.51:
	v_add_nc_u32_e32 v5, s22, v21
	v_add_nc_u32_e32 v11, s38, v21
	v_mul_lo_u32 v5, v5, s21
	v_mul_lo_u32 v11, v11, s23
	v_sub_nc_u32_e32 v5, v5, v11
	v_cmp_lt_u32_e64 s1, s39, v5
	s_and_b32 s3, s1, exec_lo
.LBB872_52:
	s_or_b32 exec_lo, exec_lo, s4
	v_mov_b32_e32 v5, 8
	v_mov_b32_e32 v11, 24
	v_cndmask_b32_e64 v26, 0, 1, s3
	v_mov_b32_e32 v27, 0xff
	v_cndmask_b32_e64 v25, 0, 1, vcc_lo
	v_lshrrev_b32_sdwa v28, v5, v10 dst_sel:BYTE_1 dst_unused:UNUSED_PAD src0_sel:DWORD src1_sel:DWORD
	v_lshrrev_b32_sdwa v11, v11, v10 dst_sel:BYTE_1 dst_unused:UNUSED_PAD src0_sel:DWORD src1_sel:DWORD
	;; [unrolled: 1-line block ×3, first 2 shown]
	v_lshlrev_b16 v26, 8, v26
	v_and_b32_sdwa v27, v12, v27 dst_sel:DWORD dst_unused:UNUSED_PAD src0_sel:WORD_1 src1_sel:DWORD
	v_or_b32_sdwa v10, v10, v28 dst_sel:DWORD dst_unused:UNUSED_PAD src0_sel:BYTE_0 src1_sel:DWORD
	v_or_b32_sdwa v11, v25, v11 dst_sel:WORD_1 dst_unused:UNUSED_PAD src0_sel:DWORD src1_sel:DWORD
	v_or_b32_sdwa v5, v12, v5 dst_sel:DWORD dst_unused:UNUSED_PAD src0_sel:BYTE_0 src1_sel:DWORD
	v_or_b32_sdwa v12, v27, v26 dst_sel:WORD_1 dst_unused:UNUSED_PAD src0_sel:DWORD src1_sel:DWORD
	v_or_b32_sdwa v11, v10, v11 dst_sel:DWORD dst_unused:UNUSED_PAD src0_sel:WORD_0 src1_sel:DWORD
	v_or_b32_sdwa v5, v5, v12 dst_sel:DWORD dst_unused:UNUSED_PAD src0_sel:WORD_0 src1_sel:DWORD
.LBB872_53:
	s_or_b32 exec_lo, exec_lo, s2
	v_add_nc_u32_e32 v10, 3, v34
                                        ; implicit-def: $vgpr35
	v_cmp_le_u32_e32 vcc_lo, s5, v10
                                        ; implicit-def: $vgpr10
	s_and_saveexec_b32 s1, vcc_lo
	s_xor_b32 s1, exec_lo, s1
	s_cbranch_execz .LBB872_55
; %bb.54:
	v_mov_b32_e32 v10, 24
	v_mov_b32_e32 v12, 0xff
	;; [unrolled: 1-line block ×3, first 2 shown]
	v_and_b32_e32 v26, 0xff0000, v11
	v_perm_b32 v8, v8, v8, 0x3060504
	v_lshrrev_b32_sdwa v10, v10, v9 dst_sel:BYTE_1 dst_unused:UNUSED_PAD src0_sel:DWORD src1_sel:DWORD
	v_and_b32_sdwa v12, v9, v12 dst_sel:DWORD dst_unused:UNUSED_PAD src0_sel:WORD_1 src1_sel:DWORD
	v_lshrrev_b32_sdwa v9, v25, v9 dst_sel:BYTE_1 dst_unused:UNUSED_PAD src0_sel:DWORD src1_sel:DWORD
	v_perm_b32 v35, v11, v26, 0x3020504
	v_perm_b32 v7, v7, v7, 0x3060504
                                        ; implicit-def: $vgpr11
	v_or_b32_sdwa v10, v12, v10 dst_sel:WORD_1 dst_unused:UNUSED_PAD src0_sel:DWORD src1_sel:DWORD
	v_or_b32_sdwa v10, v9, v10 dst_sel:DWORD dst_unused:UNUSED_PAD src0_sel:WORD_0 src1_sel:DWORD
                                        ; implicit-def: $vgpr9
.LBB872_55:
	s_andn2_saveexec_b32 s2, s1
	s_cbranch_execz .LBB872_59
; %bb.56:
	v_add_nc_u32_e32 v10, s17, v22
	v_add_nc_u32_e32 v12, s19, v22
	s_mov_b32 s3, 0
	s_mov_b32 s4, exec_lo
	v_mul_lo_u32 v10, v10, s16
	v_mul_lo_u32 v12, v12, s18
	v_sub_nc_u32_e32 v10, v10, v12
	v_cmp_lt_u32_e32 vcc_lo, s20, v10
	v_cmpx_ge_u32_e64 s20, v10
	s_cbranch_execz .LBB872_58
; %bb.57:
	v_add_nc_u32_e32 v10, s22, v22
	v_add_nc_u32_e32 v12, s38, v22
	v_mul_lo_u32 v10, v10, s21
	v_mul_lo_u32 v12, v12, s23
	v_sub_nc_u32_e32 v10, v10, v12
	v_cmp_lt_u32_e64 s1, s39, v10
	s_and_b32 s3, s1, exec_lo
.LBB872_58:
	s_or_b32 exec_lo, exec_lo, s4
	v_mov_b32_e32 v10, 8
	v_cndmask_b32_e64 v12, 0, 1, vcc_lo
	v_mov_b32_e32 v25, 0xff
	v_mov_b32_e32 v26, 24
	v_cndmask_b32_e64 v27, 0, 1, s3
	v_lshrrev_b32_sdwa v28, v10, v11 dst_sel:BYTE_1 dst_unused:UNUSED_PAD src0_sel:DWORD src1_sel:DWORD
	v_lshlrev_b16 v12, 8, v12
	v_and_b32_sdwa v29, v11, v25 dst_sel:DWORD dst_unused:UNUSED_PAD src0_sel:WORD_1 src1_sel:DWORD
	v_lshrrev_b32_sdwa v26, v26, v9 dst_sel:BYTE_1 dst_unused:UNUSED_PAD src0_sel:DWORD src1_sel:DWORD
	v_and_b32_sdwa v25, v9, v25 dst_sel:DWORD dst_unused:UNUSED_PAD src0_sel:WORD_1 src1_sel:DWORD
	v_lshrrev_b32_sdwa v9, v10, v9 dst_sel:BYTE_1 dst_unused:UNUSED_PAD src0_sel:DWORD src1_sel:DWORD
	v_or_b32_sdwa v10, v11, v28 dst_sel:DWORD dst_unused:UNUSED_PAD src0_sel:BYTE_0 src1_sel:DWORD
	v_or_b32_sdwa v11, v29, v12 dst_sel:WORD_1 dst_unused:UNUSED_PAD src0_sel:DWORD src1_sel:DWORD
	v_or_b32_sdwa v12, v25, v26 dst_sel:WORD_1 dst_unused:UNUSED_PAD src0_sel:DWORD src1_sel:DWORD
	v_or_b32_e32 v9, v27, v9
	v_or_b32_sdwa v35, v10, v11 dst_sel:DWORD dst_unused:UNUSED_PAD src0_sel:WORD_0 src1_sel:DWORD
	v_or_b32_sdwa v10, v9, v12 dst_sel:DWORD dst_unused:UNUSED_PAD src0_sel:WORD_0 src1_sel:DWORD
.LBB872_59:
	s_or_b32 exec_lo, exec_lo, s2
	v_add_nc_u32_e32 v9, 4, v34
                                        ; implicit-def: $vgpr11
	v_cmp_le_u32_e32 vcc_lo, s5, v9
                                        ; implicit-def: $vgpr9
	s_and_saveexec_b32 s1, vcc_lo
	s_xor_b32 s1, exec_lo, s1
	s_cbranch_execz .LBB872_61
; %bb.60:
	v_mov_b32_e32 v9, 24
	v_mov_b32_e32 v11, 0xff
	;; [unrolled: 1-line block ×3, first 2 shown]
	v_perm_b32 v7, v7, v7, 0x3060504
	v_lshrrev_b32_sdwa v25, v9, v8 dst_sel:BYTE_1 dst_unused:UNUSED_PAD src0_sel:DWORD src1_sel:DWORD
	v_and_b32_sdwa v26, v8, v11 dst_sel:DWORD dst_unused:UNUSED_PAD src0_sel:WORD_1 src1_sel:DWORD
	v_lshrrev_b32_sdwa v9, v9, v10 dst_sel:BYTE_1 dst_unused:UNUSED_PAD src0_sel:DWORD src1_sel:DWORD
	v_and_b32_sdwa v11, v10, v11 dst_sel:DWORD dst_unused:UNUSED_PAD src0_sel:WORD_1 src1_sel:DWORD
	v_lshrrev_b32_sdwa v8, v12, v8 dst_sel:BYTE_1 dst_unused:UNUSED_PAD src0_sel:DWORD src1_sel:DWORD
	v_or_b32_sdwa v12, v26, v25 dst_sel:WORD_1 dst_unused:UNUSED_PAD src0_sel:DWORD src1_sel:DWORD
	v_or_b32_e32 v11, v11, v9
	v_or_b32_sdwa v9, v8, v12 dst_sel:DWORD dst_unused:UNUSED_PAD src0_sel:WORD_0 src1_sel:DWORD
                                        ; implicit-def: $vgpr8
	v_perm_b32 v11, v11, v10, 0x5040c00
                                        ; implicit-def: $vgpr10
.LBB872_61:
	s_andn2_saveexec_b32 s2, s1
	s_cbranch_execz .LBB872_65
; %bb.62:
	v_add_nc_u32_e32 v9, s17, v19
	v_add_nc_u32_e32 v11, s19, v19
	s_mov_b32 s3, 0
	s_mov_b32 s4, exec_lo
	v_mul_lo_u32 v9, v9, s16
	v_mul_lo_u32 v11, v11, s18
	v_sub_nc_u32_e32 v9, v9, v11
	v_cmp_lt_u32_e32 vcc_lo, s20, v9
	v_cmpx_ge_u32_e64 s20, v9
	s_cbranch_execz .LBB872_64
; %bb.63:
	v_add_nc_u32_e32 v9, s22, v19
	v_add_nc_u32_e32 v11, s38, v19
	v_mul_lo_u32 v9, v9, s21
	v_mul_lo_u32 v11, v11, s23
	v_sub_nc_u32_e32 v9, v9, v11
	v_cmp_lt_u32_e64 s1, s39, v9
	s_and_b32 s3, s1, exec_lo
.LBB872_64:
	s_or_b32 exec_lo, exec_lo, s4
	v_mov_b32_e32 v9, 24
	v_mov_b32_e32 v11, 0xff
	;; [unrolled: 1-line block ×3, first 2 shown]
	v_cndmask_b32_e64 v25, 0, 1, s3
	v_cndmask_b32_e64 v26, 0, 1, vcc_lo
	v_lshrrev_b32_sdwa v27, v9, v8 dst_sel:BYTE_1 dst_unused:UNUSED_PAD src0_sel:DWORD src1_sel:DWORD
	v_and_b32_sdwa v28, v8, v11 dst_sel:DWORD dst_unused:UNUSED_PAD src0_sel:WORD_1 src1_sel:DWORD
	v_lshrrev_b32_sdwa v8, v12, v8 dst_sel:BYTE_1 dst_unused:UNUSED_PAD src0_sel:DWORD src1_sel:DWORD
	v_lshlrev_b16 v12, 8, v25
	v_lshrrev_b32_sdwa v9, v9, v10 dst_sel:BYTE_1 dst_unused:UNUSED_PAD src0_sel:DWORD src1_sel:DWORD
	v_and_b32_sdwa v11, v10, v11 dst_sel:DWORD dst_unused:UNUSED_PAD src0_sel:WORD_1 src1_sel:DWORD
	v_or_b32_sdwa v25, v28, v27 dst_sel:WORD_1 dst_unused:UNUSED_PAD src0_sel:DWORD src1_sel:DWORD
	v_or_b32_e32 v8, v26, v8
	v_or_b32_sdwa v10, v10, v12 dst_sel:DWORD dst_unused:UNUSED_PAD src0_sel:BYTE_0 src1_sel:DWORD
	v_or_b32_sdwa v11, v11, v9 dst_sel:WORD_1 dst_unused:UNUSED_PAD src0_sel:DWORD src1_sel:DWORD
	v_or_b32_sdwa v9, v8, v25 dst_sel:DWORD dst_unused:UNUSED_PAD src0_sel:WORD_0 src1_sel:DWORD
	v_or_b32_sdwa v11, v10, v11 dst_sel:DWORD dst_unused:UNUSED_PAD src0_sel:WORD_0 src1_sel:DWORD
.LBB872_65:
	s_or_b32 exec_lo, exec_lo, s2
	v_add_nc_u32_e32 v8, 5, v34
                                        ; implicit-def: $vgpr10
	v_cmp_le_u32_e32 vcc_lo, s5, v8
                                        ; implicit-def: $vgpr8
	s_and_saveexec_b32 s1, vcc_lo
	s_xor_b32 s1, exec_lo, s1
	s_cbranch_execz .LBB872_67
; %bb.66:
	v_lshrrev_b32_e32 v8, 24, v11
	v_mov_b32_e32 v10, 8
	v_mov_b32_e32 v12, 0xff
	v_perm_b32 v7, v7, v7, 0x3060504
	v_perm_b32 v8, v8, v11, 0x40c0100
	v_mov_b32_e32 v11, 24
	v_and_b32_sdwa v12, v9, v12 dst_sel:DWORD dst_unused:UNUSED_PAD src0_sel:WORD_1 src1_sel:DWORD
	v_lshrrev_b32_sdwa v10, v10, v8 dst_sel:BYTE_1 dst_unused:UNUSED_PAD src0_sel:DWORD src1_sel:DWORD
	v_lshrrev_b32_sdwa v11, v11, v9 dst_sel:BYTE_1 dst_unused:UNUSED_PAD src0_sel:DWORD src1_sel:DWORD
	v_or_b32_sdwa v10, v8, v10 dst_sel:DWORD dst_unused:UNUSED_PAD src0_sel:BYTE_0 src1_sel:DWORD
	v_or_b32_e32 v11, v12, v11
	v_and_b32_e32 v12, 0xffff, v10
	v_perm_b32 v10, v11, v9, 0x5040c00
                                        ; implicit-def: $vgpr9
                                        ; implicit-def: $vgpr11
	v_and_or_b32 v8, 0xff000000, v8, v12
.LBB872_67:
	s_andn2_saveexec_b32 s2, s1
	s_cbranch_execz .LBB872_71
; %bb.68:
	v_add_nc_u32_e32 v8, s17, v20
	v_add_nc_u32_e32 v10, s19, v20
	s_mov_b32 s3, 0
	s_mov_b32 s4, exec_lo
	v_mul_lo_u32 v8, v8, s16
	v_mul_lo_u32 v10, v10, s18
	v_sub_nc_u32_e32 v8, v8, v10
	v_cmp_lt_u32_e32 vcc_lo, s20, v8
	v_cmpx_ge_u32_e64 s20, v8
	s_cbranch_execz .LBB872_70
; %bb.69:
	v_add_nc_u32_e32 v8, s22, v20
	v_add_nc_u32_e32 v10, s38, v20
	v_mul_lo_u32 v8, v8, s21
	v_mul_lo_u32 v10, v10, s23
	v_sub_nc_u32_e32 v8, v8, v10
	v_cmp_lt_u32_e64 s1, s39, v8
	s_and_b32 s3, s1, exec_lo
.LBB872_70:
	s_or_b32 exec_lo, exec_lo, s4
	v_cndmask_b32_e64 v8, 0, 1, vcc_lo
	v_mov_b32_e32 v10, 24
	v_mov_b32_e32 v12, 0xff
	;; [unrolled: 1-line block ×3, first 2 shown]
	v_cndmask_b32_e64 v26, 0, 1, s3
	v_lshlrev_b16 v8, 8, v8
	v_lshrrev_b32_sdwa v27, v10, v9 dst_sel:BYTE_1 dst_unused:UNUSED_PAD src0_sel:DWORD src1_sel:DWORD
	v_and_b32_sdwa v12, v9, v12 dst_sel:DWORD dst_unused:UNUSED_PAD src0_sel:WORD_1 src1_sel:DWORD
	v_lshrrev_b32_sdwa v25, v25, v11 dst_sel:BYTE_1 dst_unused:UNUSED_PAD src0_sel:DWORD src1_sel:DWORD
	v_lshrrev_b32_sdwa v10, v10, v11 dst_sel:BYTE_1 dst_unused:UNUSED_PAD src0_sel:DWORD src1_sel:DWORD
	v_or_b32_sdwa v8, v9, v8 dst_sel:DWORD dst_unused:UNUSED_PAD src0_sel:BYTE_0 src1_sel:DWORD
	v_or_b32_sdwa v9, v12, v27 dst_sel:WORD_1 dst_unused:UNUSED_PAD src0_sel:DWORD src1_sel:DWORD
	v_or_b32_sdwa v11, v11, v25 dst_sel:DWORD dst_unused:UNUSED_PAD src0_sel:BYTE_0 src1_sel:DWORD
	v_or_b32_sdwa v12, v26, v10 dst_sel:WORD_1 dst_unused:UNUSED_PAD src0_sel:DWORD src1_sel:DWORD
	v_or_b32_sdwa v10, v8, v9 dst_sel:DWORD dst_unused:UNUSED_PAD src0_sel:WORD_0 src1_sel:DWORD
	v_or_b32_sdwa v8, v11, v12 dst_sel:DWORD dst_unused:UNUSED_PAD src0_sel:WORD_0 src1_sel:DWORD
.LBB872_71:
	s_or_b32 exec_lo, exec_lo, s2
	v_add_nc_u32_e32 v9, 6, v34
                                        ; implicit-def: $vgpr36
	v_cmp_le_u32_e32 vcc_lo, s5, v9
                                        ; implicit-def: $vgpr9
	s_and_saveexec_b32 s1, vcc_lo
	s_xor_b32 s1, exec_lo, s1
	s_cbranch_execz .LBB872_73
; %bb.72:
	v_lshrrev_b32_e32 v9, 24, v10
	v_mov_b32_e32 v11, 8
	v_perm_b32 v7, v7, v7, 0x3060504
	v_perm_b32 v9, v9, v10, 0x40c0100
	v_lshrrev_b32_sdwa v10, v11, v9 dst_sel:BYTE_1 dst_unused:UNUSED_PAD src0_sel:DWORD src1_sel:DWORD
	v_and_b32_e32 v11, 0xff0000, v8
	v_or_b32_sdwa v10, v9, v10 dst_sel:DWORD dst_unused:UNUSED_PAD src0_sel:BYTE_0 src1_sel:DWORD
	v_perm_b32 v36, v8, v11, 0x3020504
                                        ; implicit-def: $vgpr8
	v_and_b32_e32 v10, 0xffff, v10
	v_and_or_b32 v9, 0xff000000, v9, v10
                                        ; implicit-def: $vgpr10
.LBB872_73:
	s_andn2_saveexec_b32 s2, s1
	s_cbranch_execz .LBB872_77
; %bb.74:
	v_add_nc_u32_e32 v9, s17, v17
	v_add_nc_u32_e32 v11, s19, v17
	s_mov_b32 s3, 0
	s_mov_b32 s4, exec_lo
	v_mul_lo_u32 v9, v9, s16
	v_mul_lo_u32 v11, v11, s18
	v_sub_nc_u32_e32 v9, v9, v11
	v_cmp_lt_u32_e32 vcc_lo, s20, v9
	v_cmpx_ge_u32_e64 s20, v9
	s_cbranch_execz .LBB872_76
; %bb.75:
	v_add_nc_u32_e32 v9, s22, v17
	v_add_nc_u32_e32 v11, s38, v17
	v_mul_lo_u32 v9, v9, s21
	v_mul_lo_u32 v11, v11, s23
	v_sub_nc_u32_e32 v9, v9, v11
	v_cmp_lt_u32_e64 s1, s39, v9
	s_and_b32 s3, s1, exec_lo
.LBB872_76:
	s_or_b32 exec_lo, exec_lo, s4
	v_mov_b32_e32 v9, 8
	v_mov_b32_e32 v11, 24
	v_cndmask_b32_e64 v25, 0, 1, s3
	v_mov_b32_e32 v26, 0xff
	v_cndmask_b32_e64 v12, 0, 1, vcc_lo
	v_lshrrev_b32_sdwa v27, v9, v10 dst_sel:BYTE_1 dst_unused:UNUSED_PAD src0_sel:DWORD src1_sel:DWORD
	v_lshrrev_b32_sdwa v11, v11, v10 dst_sel:BYTE_1 dst_unused:UNUSED_PAD src0_sel:DWORD src1_sel:DWORD
	;; [unrolled: 1-line block ×3, first 2 shown]
	v_lshlrev_b16 v25, 8, v25
	v_and_b32_sdwa v26, v8, v26 dst_sel:DWORD dst_unused:UNUSED_PAD src0_sel:WORD_1 src1_sel:DWORD
	v_or_b32_sdwa v10, v10, v27 dst_sel:DWORD dst_unused:UNUSED_PAD src0_sel:BYTE_0 src1_sel:DWORD
	v_or_b32_sdwa v11, v12, v11 dst_sel:WORD_1 dst_unused:UNUSED_PAD src0_sel:DWORD src1_sel:DWORD
	v_or_b32_sdwa v8, v8, v9 dst_sel:DWORD dst_unused:UNUSED_PAD src0_sel:BYTE_0 src1_sel:DWORD
	v_or_b32_sdwa v12, v26, v25 dst_sel:WORD_1 dst_unused:UNUSED_PAD src0_sel:DWORD src1_sel:DWORD
	v_or_b32_sdwa v9, v10, v11 dst_sel:DWORD dst_unused:UNUSED_PAD src0_sel:WORD_0 src1_sel:DWORD
	v_or_b32_sdwa v36, v8, v12 dst_sel:DWORD dst_unused:UNUSED_PAD src0_sel:WORD_0 src1_sel:DWORD
.LBB872_77:
	s_or_b32 exec_lo, exec_lo, s2
	v_add_nc_u32_e32 v8, 7, v34
                                        ; implicit-def: $vgpr37
	v_cmp_le_u32_e32 vcc_lo, s5, v8
                                        ; implicit-def: $vgpr8
	s_and_saveexec_b32 s1, vcc_lo
	s_xor_b32 s1, exec_lo, s1
	s_cbranch_execz .LBB872_79
; %bb.78:
	v_mov_b32_e32 v8, 24
	v_mov_b32_e32 v10, 0xff
	;; [unrolled: 1-line block ×3, first 2 shown]
	v_lshrrev_b32_sdwa v8, v8, v7 dst_sel:BYTE_1 dst_unused:UNUSED_PAD src0_sel:DWORD src1_sel:DWORD
	v_and_b32_sdwa v10, v7, v10 dst_sel:DWORD dst_unused:UNUSED_PAD src0_sel:WORD_1 src1_sel:DWORD
	v_lshrrev_b32_sdwa v7, v11, v7 dst_sel:BYTE_1 dst_unused:UNUSED_PAD src0_sel:DWORD src1_sel:DWORD
	v_and_b32_e32 v11, 0xff0000, v9
	v_or_b32_sdwa v8, v10, v8 dst_sel:WORD_1 dst_unused:UNUSED_PAD src0_sel:DWORD src1_sel:DWORD
	v_perm_b32 v37, v9, v11, 0x3020504
                                        ; implicit-def: $vgpr9
	v_or_b32_sdwa v8, v7, v8 dst_sel:DWORD dst_unused:UNUSED_PAD src0_sel:WORD_0 src1_sel:DWORD
                                        ; implicit-def: $vgpr7
.LBB872_79:
	s_andn2_saveexec_b32 s2, s1
	s_cbranch_execz .LBB872_83
; %bb.80:
	v_add_nc_u32_e32 v8, s17, v18
	v_add_nc_u32_e32 v10, s19, v18
	s_mov_b32 s3, 0
	s_mov_b32 s4, exec_lo
	v_mul_lo_u32 v8, v8, s16
	v_mul_lo_u32 v10, v10, s18
	v_sub_nc_u32_e32 v8, v8, v10
	v_cmp_lt_u32_e32 vcc_lo, s20, v8
	v_cmpx_ge_u32_e64 s20, v8
	s_cbranch_execz .LBB872_82
; %bb.81:
	v_add_nc_u32_e32 v8, s22, v18
	v_add_nc_u32_e32 v10, s38, v18
	v_mul_lo_u32 v8, v8, s21
	v_mul_lo_u32 v10, v10, s23
	v_sub_nc_u32_e32 v8, v8, v10
	v_cmp_lt_u32_e64 s1, s39, v8
	s_and_b32 s3, s1, exec_lo
.LBB872_82:
	s_or_b32 exec_lo, exec_lo, s4
	v_mov_b32_e32 v8, 8
	v_cndmask_b32_e64 v10, 0, 1, vcc_lo
	v_mov_b32_e32 v11, 0xff
	v_mov_b32_e32 v12, 24
	v_cndmask_b32_e64 v25, 0, 1, s3
	v_lshrrev_b32_sdwa v26, v8, v9 dst_sel:BYTE_1 dst_unused:UNUSED_PAD src0_sel:DWORD src1_sel:DWORD
	v_lshlrev_b16 v10, 8, v10
	v_and_b32_sdwa v27, v9, v11 dst_sel:DWORD dst_unused:UNUSED_PAD src0_sel:WORD_1 src1_sel:DWORD
	v_lshrrev_b32_sdwa v12, v12, v7 dst_sel:BYTE_1 dst_unused:UNUSED_PAD src0_sel:DWORD src1_sel:DWORD
	v_and_b32_sdwa v11, v7, v11 dst_sel:DWORD dst_unused:UNUSED_PAD src0_sel:WORD_1 src1_sel:DWORD
	v_lshrrev_b32_sdwa v7, v8, v7 dst_sel:BYTE_1 dst_unused:UNUSED_PAD src0_sel:DWORD src1_sel:DWORD
	v_or_b32_sdwa v8, v9, v26 dst_sel:DWORD dst_unused:UNUSED_PAD src0_sel:BYTE_0 src1_sel:DWORD
	v_or_b32_sdwa v9, v27, v10 dst_sel:WORD_1 dst_unused:UNUSED_PAD src0_sel:DWORD src1_sel:DWORD
	v_or_b32_sdwa v10, v11, v12 dst_sel:WORD_1 dst_unused:UNUSED_PAD src0_sel:DWORD src1_sel:DWORD
	v_or_b32_e32 v7, v25, v7
	v_or_b32_sdwa v37, v8, v9 dst_sel:DWORD dst_unused:UNUSED_PAD src0_sel:WORD_0 src1_sel:DWORD
	v_or_b32_sdwa v8, v7, v10 dst_sel:DWORD dst_unused:UNUSED_PAD src0_sel:WORD_0 src1_sel:DWORD
.LBB872_83:
	s_or_b32 exec_lo, exec_lo, s2
	v_add_nc_u32_e32 v7, 8, v34
                                        ; implicit-def: $vgpr9
	v_cmp_le_u32_e32 vcc_lo, s5, v7
                                        ; implicit-def: $vgpr7
	s_and_saveexec_b32 s1, vcc_lo
	s_xor_b32 s1, exec_lo, s1
	s_cbranch_execz .LBB872_85
; %bb.84:
	v_mov_b32_e32 v7, 24
	v_mov_b32_e32 v9, 0xff
	;; [unrolled: 1-line block ×3, first 2 shown]
	v_perm_b32 v5, v5, v5, 0x3060504
	v_lshrrev_b32_sdwa v11, v7, v8 dst_sel:BYTE_1 dst_unused:UNUSED_PAD src0_sel:DWORD src1_sel:DWORD
	v_lshrrev_b32_sdwa v7, v7, v6 dst_sel:BYTE_1 dst_unused:UNUSED_PAD src0_sel:DWORD src1_sel:DWORD
	v_and_b32_sdwa v12, v6, v9 dst_sel:DWORD dst_unused:UNUSED_PAD src0_sel:WORD_1 src1_sel:DWORD
	v_and_b32_sdwa v9, v8, v9 dst_sel:DWORD dst_unused:UNUSED_PAD src0_sel:WORD_1 src1_sel:DWORD
	v_lshrrev_b32_sdwa v6, v10, v6 dst_sel:BYTE_1 dst_unused:UNUSED_PAD src0_sel:DWORD src1_sel:DWORD
	v_or_b32_sdwa v7, v12, v7 dst_sel:WORD_1 dst_unused:UNUSED_PAD src0_sel:DWORD src1_sel:DWORD
	v_or_b32_e32 v9, v9, v11
	v_or_b32_sdwa v7, v6, v7 dst_sel:DWORD dst_unused:UNUSED_PAD src0_sel:WORD_0 src1_sel:DWORD
	v_perm_b32 v9, v9, v8, 0x5040c00
                                        ; implicit-def: $vgpr6
                                        ; implicit-def: $vgpr8
.LBB872_85:
	s_andn2_saveexec_b32 s2, s1
	s_cbranch_execz .LBB872_89
; %bb.86:
	v_add_nc_u32_e32 v7, s17, v15
	v_add_nc_u32_e32 v9, s19, v15
	s_mov_b32 s3, 0
	s_mov_b32 s4, exec_lo
	v_mul_lo_u32 v7, v7, s16
	v_mul_lo_u32 v9, v9, s18
	v_sub_nc_u32_e32 v7, v7, v9
	v_cmp_lt_u32_e32 vcc_lo, s20, v7
	v_cmpx_ge_u32_e64 s20, v7
	s_cbranch_execz .LBB872_88
; %bb.87:
	v_add_nc_u32_e32 v7, s22, v15
	v_add_nc_u32_e32 v9, s38, v15
	v_mul_lo_u32 v7, v7, s21
	v_mul_lo_u32 v9, v9, s23
	v_sub_nc_u32_e32 v7, v7, v9
	v_cmp_lt_u32_e64 s1, s39, v7
	s_and_b32 s3, s1, exec_lo
.LBB872_88:
	s_or_b32 exec_lo, exec_lo, s4
	v_mov_b32_e32 v7, 24
	v_mov_b32_e32 v9, 0xff
	;; [unrolled: 1-line block ×3, first 2 shown]
	v_cndmask_b32_e64 v11, 0, 1, s3
	v_cndmask_b32_e64 v12, 0, 1, vcc_lo
	v_lshrrev_b32_sdwa v25, v7, v6 dst_sel:BYTE_1 dst_unused:UNUSED_PAD src0_sel:DWORD src1_sel:DWORD
	v_and_b32_sdwa v26, v6, v9 dst_sel:DWORD dst_unused:UNUSED_PAD src0_sel:WORD_1 src1_sel:DWORD
	v_lshrrev_b32_sdwa v6, v10, v6 dst_sel:BYTE_1 dst_unused:UNUSED_PAD src0_sel:DWORD src1_sel:DWORD
	v_lshlrev_b16 v10, 8, v11
	v_lshrrev_b32_sdwa v7, v7, v8 dst_sel:BYTE_1 dst_unused:UNUSED_PAD src0_sel:DWORD src1_sel:DWORD
	v_and_b32_sdwa v9, v8, v9 dst_sel:DWORD dst_unused:UNUSED_PAD src0_sel:WORD_1 src1_sel:DWORD
	v_or_b32_sdwa v11, v26, v25 dst_sel:WORD_1 dst_unused:UNUSED_PAD src0_sel:DWORD src1_sel:DWORD
	v_or_b32_e32 v6, v12, v6
	v_or_b32_sdwa v8, v8, v10 dst_sel:DWORD dst_unused:UNUSED_PAD src0_sel:BYTE_0 src1_sel:DWORD
	v_or_b32_sdwa v9, v9, v7 dst_sel:WORD_1 dst_unused:UNUSED_PAD src0_sel:DWORD src1_sel:DWORD
	v_or_b32_sdwa v7, v6, v11 dst_sel:DWORD dst_unused:UNUSED_PAD src0_sel:WORD_0 src1_sel:DWORD
	v_or_b32_sdwa v9, v8, v9 dst_sel:DWORD dst_unused:UNUSED_PAD src0_sel:WORD_0 src1_sel:DWORD
.LBB872_89:
	s_or_b32 exec_lo, exec_lo, s2
	v_add_nc_u32_e32 v6, 9, v34
                                        ; implicit-def: $vgpr8
	v_cmp_le_u32_e32 vcc_lo, s5, v6
                                        ; implicit-def: $vgpr6
	s_and_saveexec_b32 s1, vcc_lo
	s_xor_b32 s1, exec_lo, s1
	s_cbranch_execz .LBB872_91
; %bb.90:
	v_lshrrev_b32_e32 v6, 24, v9
	v_mov_b32_e32 v8, 8
	v_mov_b32_e32 v10, 0xff
	v_perm_b32 v5, v5, v5, 0x3060504
	v_perm_b32 v6, v6, v9, 0x40c0100
	v_mov_b32_e32 v9, 24
	v_and_b32_sdwa v10, v7, v10 dst_sel:DWORD dst_unused:UNUSED_PAD src0_sel:WORD_1 src1_sel:DWORD
	v_lshrrev_b32_sdwa v8, v8, v6 dst_sel:BYTE_1 dst_unused:UNUSED_PAD src0_sel:DWORD src1_sel:DWORD
	v_lshrrev_b32_sdwa v9, v9, v7 dst_sel:BYTE_1 dst_unused:UNUSED_PAD src0_sel:DWORD src1_sel:DWORD
	v_or_b32_sdwa v8, v6, v8 dst_sel:DWORD dst_unused:UNUSED_PAD src0_sel:BYTE_0 src1_sel:DWORD
	v_or_b32_e32 v9, v10, v9
	v_and_b32_e32 v10, 0xffff, v8
	v_perm_b32 v8, v9, v7, 0x5040c00
                                        ; implicit-def: $vgpr7
                                        ; implicit-def: $vgpr9
	v_and_or_b32 v6, 0xff000000, v6, v10
.LBB872_91:
	s_andn2_saveexec_b32 s2, s1
	s_cbranch_execz .LBB872_95
; %bb.92:
	v_add_nc_u32_e32 v6, s17, v16
	v_add_nc_u32_e32 v8, s19, v16
	s_mov_b32 s3, 0
	s_mov_b32 s4, exec_lo
	v_mul_lo_u32 v6, v6, s16
	v_mul_lo_u32 v8, v8, s18
	v_sub_nc_u32_e32 v6, v6, v8
	v_cmp_lt_u32_e32 vcc_lo, s20, v6
	v_cmpx_ge_u32_e64 s20, v6
	s_cbranch_execz .LBB872_94
; %bb.93:
	v_add_nc_u32_e32 v6, s22, v16
	v_add_nc_u32_e32 v8, s38, v16
	v_mul_lo_u32 v6, v6, s21
	v_mul_lo_u32 v8, v8, s23
	v_sub_nc_u32_e32 v6, v6, v8
	v_cmp_lt_u32_e64 s1, s39, v6
	s_and_b32 s3, s1, exec_lo
.LBB872_94:
	s_or_b32 exec_lo, exec_lo, s4
	v_cndmask_b32_e64 v6, 0, 1, vcc_lo
	v_mov_b32_e32 v8, 24
	v_mov_b32_e32 v10, 0xff
	;; [unrolled: 1-line block ×3, first 2 shown]
	v_cndmask_b32_e64 v12, 0, 1, s3
	v_lshlrev_b16 v6, 8, v6
	v_lshrrev_b32_sdwa v25, v8, v7 dst_sel:BYTE_1 dst_unused:UNUSED_PAD src0_sel:DWORD src1_sel:DWORD
	v_and_b32_sdwa v10, v7, v10 dst_sel:DWORD dst_unused:UNUSED_PAD src0_sel:WORD_1 src1_sel:DWORD
	v_lshrrev_b32_sdwa v11, v11, v9 dst_sel:BYTE_1 dst_unused:UNUSED_PAD src0_sel:DWORD src1_sel:DWORD
	v_lshrrev_b32_sdwa v8, v8, v9 dst_sel:BYTE_1 dst_unused:UNUSED_PAD src0_sel:DWORD src1_sel:DWORD
	v_or_b32_sdwa v6, v7, v6 dst_sel:DWORD dst_unused:UNUSED_PAD src0_sel:BYTE_0 src1_sel:DWORD
	v_or_b32_sdwa v7, v10, v25 dst_sel:WORD_1 dst_unused:UNUSED_PAD src0_sel:DWORD src1_sel:DWORD
	v_or_b32_sdwa v9, v9, v11 dst_sel:DWORD dst_unused:UNUSED_PAD src0_sel:BYTE_0 src1_sel:DWORD
	v_or_b32_sdwa v10, v12, v8 dst_sel:WORD_1 dst_unused:UNUSED_PAD src0_sel:DWORD src1_sel:DWORD
	v_or_b32_sdwa v8, v6, v7 dst_sel:DWORD dst_unused:UNUSED_PAD src0_sel:WORD_0 src1_sel:DWORD
	v_or_b32_sdwa v6, v9, v10 dst_sel:DWORD dst_unused:UNUSED_PAD src0_sel:WORD_0 src1_sel:DWORD
.LBB872_95:
	s_or_b32 exec_lo, exec_lo, s2
	v_add_nc_u32_e32 v7, 10, v34
                                        ; implicit-def: $vgpr38
	v_cmp_le_u32_e32 vcc_lo, s5, v7
                                        ; implicit-def: $vgpr7
	s_and_saveexec_b32 s1, vcc_lo
	s_xor_b32 s1, exec_lo, s1
	s_cbranch_execz .LBB872_97
; %bb.96:
	v_lshrrev_b32_e32 v7, 24, v8
	v_mov_b32_e32 v9, 8
	v_perm_b32 v5, v5, v5, 0x3060504
	v_perm_b32 v7, v7, v8, 0x40c0100
	v_lshrrev_b32_sdwa v8, v9, v7 dst_sel:BYTE_1 dst_unused:UNUSED_PAD src0_sel:DWORD src1_sel:DWORD
	v_and_b32_e32 v9, 0xff0000, v6
	v_or_b32_sdwa v8, v7, v8 dst_sel:DWORD dst_unused:UNUSED_PAD src0_sel:BYTE_0 src1_sel:DWORD
	v_perm_b32 v38, v6, v9, 0x3020504
                                        ; implicit-def: $vgpr6
	v_and_b32_e32 v8, 0xffff, v8
	v_and_or_b32 v7, 0xff000000, v7, v8
                                        ; implicit-def: $vgpr8
.LBB872_97:
	s_andn2_saveexec_b32 s2, s1
	s_cbranch_execz .LBB872_101
; %bb.98:
	v_add_nc_u32_e32 v7, s17, v13
	v_add_nc_u32_e32 v9, s19, v13
	s_mov_b32 s3, 0
	s_mov_b32 s4, exec_lo
	v_mul_lo_u32 v7, v7, s16
	v_mul_lo_u32 v9, v9, s18
	v_sub_nc_u32_e32 v7, v7, v9
	v_cmp_lt_u32_e32 vcc_lo, s20, v7
	v_cmpx_ge_u32_e64 s20, v7
	s_cbranch_execz .LBB872_100
; %bb.99:
	v_add_nc_u32_e32 v7, s22, v13
	v_add_nc_u32_e32 v9, s38, v13
	v_mul_lo_u32 v7, v7, s21
	v_mul_lo_u32 v9, v9, s23
	v_sub_nc_u32_e32 v7, v7, v9
	v_cmp_lt_u32_e64 s1, s39, v7
	s_and_b32 s3, s1, exec_lo
.LBB872_100:
	s_or_b32 exec_lo, exec_lo, s4
	v_mov_b32_e32 v7, 8
	v_mov_b32_e32 v9, 24
	v_cndmask_b32_e64 v11, 0, 1, s3
	v_mov_b32_e32 v12, 0xff
	v_cndmask_b32_e64 v10, 0, 1, vcc_lo
	v_lshrrev_b32_sdwa v25, v7, v8 dst_sel:BYTE_1 dst_unused:UNUSED_PAD src0_sel:DWORD src1_sel:DWORD
	v_lshrrev_b32_sdwa v9, v9, v8 dst_sel:BYTE_1 dst_unused:UNUSED_PAD src0_sel:DWORD src1_sel:DWORD
	;; [unrolled: 1-line block ×3, first 2 shown]
	v_lshlrev_b16 v11, 8, v11
	v_and_b32_sdwa v12, v6, v12 dst_sel:DWORD dst_unused:UNUSED_PAD src0_sel:WORD_1 src1_sel:DWORD
	v_or_b32_sdwa v8, v8, v25 dst_sel:DWORD dst_unused:UNUSED_PAD src0_sel:BYTE_0 src1_sel:DWORD
	v_or_b32_sdwa v9, v10, v9 dst_sel:WORD_1 dst_unused:UNUSED_PAD src0_sel:DWORD src1_sel:DWORD
	v_or_b32_sdwa v6, v6, v7 dst_sel:DWORD dst_unused:UNUSED_PAD src0_sel:BYTE_0 src1_sel:DWORD
	v_or_b32_sdwa v10, v12, v11 dst_sel:WORD_1 dst_unused:UNUSED_PAD src0_sel:DWORD src1_sel:DWORD
	v_or_b32_sdwa v7, v8, v9 dst_sel:DWORD dst_unused:UNUSED_PAD src0_sel:WORD_0 src1_sel:DWORD
	v_or_b32_sdwa v38, v6, v10 dst_sel:DWORD dst_unused:UNUSED_PAD src0_sel:WORD_0 src1_sel:DWORD
.LBB872_101:
	s_or_b32 exec_lo, exec_lo, s2
	v_add_nc_u32_e32 v6, 11, v34
	v_mov_b32_e32 v39, 0
	s_mov_b32 s1, exec_lo
                                        ; implicit-def: $vgpr40
	v_cmpx_le_u32_e64 s5, v6
	s_xor_b32 s1, exec_lo, s1
; %bb.102:
	v_and_b32_e32 v6, 0xff0000, v7
	v_perm_b32 v5, v5, v5, 0x3060504
	v_perm_b32 v40, v7, v6, 0x3020504
                                        ; implicit-def: $vgpr7
; %bb.103:
	s_andn2_saveexec_b32 s2, s1
	s_cbranch_execz .LBB872_107
; %bb.104:
	v_add_nc_u32_e32 v6, s17, v14
	v_add_nc_u32_e32 v8, s19, v14
	s_mov_b32 s3, 0
	s_mov_b32 s4, exec_lo
	v_mul_lo_u32 v6, v6, s16
	v_mul_lo_u32 v8, v8, s18
	v_sub_nc_u32_e32 v6, v6, v8
	v_cmp_lt_u32_e32 vcc_lo, s20, v6
	v_cmpx_ge_u32_e64 s20, v6
	s_cbranch_execz .LBB872_106
; %bb.105:
	v_add_nc_u32_e32 v6, s22, v14
	v_add_nc_u32_e32 v8, s38, v14
	v_mul_lo_u32 v6, v6, s21
	v_mul_lo_u32 v8, v8, s23
	v_sub_nc_u32_e32 v6, v6, v8
	v_cmp_lt_u32_e64 s1, s39, v6
	s_and_b32 s3, s1, exec_lo
.LBB872_106:
	s_or_b32 exec_lo, exec_lo, s4
	v_mov_b32_e32 v6, 8
	v_cndmask_b32_e64 v8, 0, 1, vcc_lo
	v_mov_b32_e32 v9, 0xff
	v_cndmask_b32_e64 v39, 0, 1, s3
	v_lshrrev_b32_sdwa v6, v6, v7 dst_sel:BYTE_1 dst_unused:UNUSED_PAD src0_sel:DWORD src1_sel:DWORD
	v_lshlrev_b16 v8, 8, v8
	v_and_b32_sdwa v9, v7, v9 dst_sel:DWORD dst_unused:UNUSED_PAD src0_sel:WORD_1 src1_sel:DWORD
	v_or_b32_sdwa v6, v7, v6 dst_sel:DWORD dst_unused:UNUSED_PAD src0_sel:BYTE_0 src1_sel:DWORD
	v_or_b32_sdwa v7, v9, v8 dst_sel:WORD_1 dst_unused:UNUSED_PAD src0_sel:DWORD src1_sel:DWORD
	v_or_b32_sdwa v40, v6, v7 dst_sel:DWORD dst_unused:UNUSED_PAD src0_sel:WORD_0 src1_sel:DWORD
.LBB872_107:
	s_or_b32 exec_lo, exec_lo, s2
	v_add_nc_u32_e32 v6, 12, v34
	s_mov_b32 s1, exec_lo
                                        ; implicit-def: $vgpr41
	v_cmpx_le_u32_e64 s5, v6
	s_xor_b32 s1, exec_lo, s1
	s_cbranch_execz .LBB872_109
; %bb.108:
	v_mov_b32_e32 v6, 24
	v_mov_b32_e32 v7, 0xff
	;; [unrolled: 1-line block ×3, first 2 shown]
	v_lshrrev_b32_sdwa v6, v6, v5 dst_sel:BYTE_1 dst_unused:UNUSED_PAD src0_sel:DWORD src1_sel:DWORD
	v_and_b32_sdwa v7, v5, v7 dst_sel:DWORD dst_unused:UNUSED_PAD src0_sel:WORD_1 src1_sel:DWORD
	v_lshrrev_b32_sdwa v5, v8, v5 dst_sel:BYTE_1 dst_unused:UNUSED_PAD src0_sel:DWORD src1_sel:DWORD
	v_or_b32_sdwa v6, v7, v6 dst_sel:WORD_1 dst_unused:UNUSED_PAD src0_sel:DWORD src1_sel:DWORD
	v_or_b32_sdwa v41, v5, v6 dst_sel:DWORD dst_unused:UNUSED_PAD src0_sel:WORD_0 src1_sel:DWORD
                                        ; implicit-def: $vgpr5
.LBB872_109:
	s_or_saveexec_b32 s2, s1
	v_mov_b32_e32 v42, 0
	s_xor_b32 exec_lo, exec_lo, s2
	s_cbranch_execz .LBB872_113
; %bb.110:
	v_add_nc_u32_e32 v6, s17, v33
	v_add_nc_u32_e32 v7, s19, v33
	s_mov_b32 s3, 0
	s_mov_b32 s4, exec_lo
	v_mul_lo_u32 v6, v6, s16
	v_mul_lo_u32 v7, v7, s18
	v_sub_nc_u32_e32 v6, v6, v7
	v_cmp_lt_u32_e32 vcc_lo, s20, v6
	v_cmpx_ge_u32_e64 s20, v6
	s_cbranch_execz .LBB872_112
; %bb.111:
	v_add_nc_u32_e32 v6, s22, v33
	v_add_nc_u32_e32 v7, s38, v33
	v_mul_lo_u32 v6, v6, s21
	v_mul_lo_u32 v7, v7, s23
	v_sub_nc_u32_e32 v6, v6, v7
	v_cmp_lt_u32_e64 s1, s39, v6
	s_and_b32 s3, s1, exec_lo
.LBB872_112:
	s_or_b32 exec_lo, exec_lo, s4
	v_mov_b32_e32 v6, 24
	v_mov_b32_e32 v7, 0xff
	;; [unrolled: 1-line block ×3, first 2 shown]
	v_cndmask_b32_e64 v9, 0, 1, vcc_lo
	v_cndmask_b32_e64 v42, 0, 1, s3
	v_lshrrev_b32_sdwa v6, v6, v5 dst_sel:BYTE_1 dst_unused:UNUSED_PAD src0_sel:DWORD src1_sel:DWORD
	v_and_b32_sdwa v7, v5, v7 dst_sel:DWORD dst_unused:UNUSED_PAD src0_sel:WORD_1 src1_sel:DWORD
	v_lshrrev_b32_sdwa v5, v8, v5 dst_sel:BYTE_1 dst_unused:UNUSED_PAD src0_sel:DWORD src1_sel:DWORD
	v_or_b32_sdwa v6, v7, v6 dst_sel:WORD_1 dst_unused:UNUSED_PAD src0_sel:DWORD src1_sel:DWORD
	v_or_b32_e32 v5, v9, v5
	v_or_b32_sdwa v41, v5, v6 dst_sel:DWORD dst_unused:UNUSED_PAD src0_sel:WORD_0 src1_sel:DWORD
.LBB872_113:
	s_or_b32 exec_lo, exec_lo, s2
.LBB872_114:
	v_and_b32_e32 v65, 0xff, v35
	v_bfe_u32 v66, v41, 8, 8
	v_bfe_u32 v62, v35, 8, 8
	;; [unrolled: 1-line block ×4, first 2 shown]
	v_lshrrev_b32_e32 v48, 24, v41
	v_lshrrev_b32_e32 v47, 24, v35
	v_and_b32_e32 v61, 0xff, v36
	v_and_b32_e32 v59, 0xff, v37
	v_bfe_u32 v60, v36, 8, 8
	v_add3_u32 v5, v62, v65, v64
	v_add3_u32 v6, v63, v66, v48
	v_bfe_u32 v57, v37, 8, 8
	v_bfe_u32 v58, v36, 16, 8
	;; [unrolled: 1-line block ×3, first 2 shown]
	v_lshrrev_b32_e32 v46, 24, v36
	v_add3_u32 v5, v5, v47, v59
	v_add3_u32 v6, v6, v61, v60
	v_lshrrev_b32_e32 v45, 24, v37
	v_and_b32_e32 v56, 0xff, v38
	v_and_b32_e32 v54, 0xff, v40
	v_bfe_u32 v55, v38, 8, 8
	v_add3_u32 v5, v5, v57, v52
	v_add3_u32 v6, v6, v58, v46
	v_bfe_u32 v51, v40, 8, 8
	v_bfe_u32 v53, v38, 16, 8
	;; [unrolled: 1-line block ×3, first 2 shown]
	v_lshrrev_b32_e32 v44, 24, v38
	v_add3_u32 v5, v5, v45, v54
	v_add3_u32 v6, v6, v56, v55
	v_mbcnt_lo_u32_b32 v67, -1, 0
	v_lshrrev_b32_e32 v43, 24, v40
	v_and_b32_e32 v50, 0xff, v39
	v_and_b32_e32 v7, 0xff, v41
	;; [unrolled: 1-line block ×3, first 2 shown]
	v_add3_u32 v5, v5, v51, v49
	v_add3_u32 v6, v6, v53, v44
	v_and_b32_e32 v69, 15, v67
	v_and_b32_e32 v71, 16, v67
	v_lshrrev_b32_e32 v68, 5, v0
	v_add3_u32 v72, v5, v43, v7
	v_add3_u32 v73, v6, v50, v8
	v_cmp_eq_u32_e64 s2, 0, v69
	v_cmp_lt_u32_e64 s1, 1, v69
	v_cmp_lt_u32_e64 s3, 3, v69
	v_or_b32_e32 v70, 31, v0
	s_cmp_lg_u32 s27, 0
	s_mov_b32 s4, -1
	v_cmp_lt_u32_e32 vcc_lo, 7, v69
	s_cbranch_scc0 .LBB872_136
; %bb.115:
	v_mov_b32_dpp v5, v73 row_shr:1 row_mask:0xf bank_mask:0xf
	v_mov_b32_dpp v6, v72 row_shr:1 row_mask:0xf bank_mask:0xf
	s_mov_b32 s4, exec_lo
	v_add_nc_u32_e32 v5, v5, v73
	v_add_nc_u32_e32 v6, v6, v72
	v_cndmask_b32_e64 v5, v5, v73, s2
	v_cndmask_b32_e64 v6, v6, v72, s2
	v_mov_b32_dpp v7, v5 row_shr:2 row_mask:0xf bank_mask:0xf
	v_mov_b32_dpp v8, v6 row_shr:2 row_mask:0xf bank_mask:0xf
	v_add_nc_u32_e32 v7, v5, v7
	v_add_nc_u32_e32 v8, v6, v8
	v_cndmask_b32_e64 v5, v5, v7, s1
	v_cndmask_b32_e64 v6, v6, v8, s1
	v_mov_b32_dpp v7, v5 row_shr:4 row_mask:0xf bank_mask:0xf
	v_mov_b32_dpp v8, v6 row_shr:4 row_mask:0xf bank_mask:0xf
	;; [unrolled: 6-line block ×3, first 2 shown]
	v_add_nc_u32_e32 v7, v5, v7
	v_add_nc_u32_e32 v8, v6, v8
	v_cndmask_b32_e32 v5, v5, v7, vcc_lo
	v_cndmask_b32_e32 v6, v6, v8, vcc_lo
	v_cmp_eq_u32_e32 vcc_lo, 0, v71
	ds_swizzle_b32 v7, v5 offset:swizzle(BROADCAST,32,15)
	ds_swizzle_b32 v8, v6 offset:swizzle(BROADCAST,32,15)
	s_waitcnt lgkmcnt(1)
	v_add_nc_u32_e32 v7, v5, v7
	s_waitcnt lgkmcnt(0)
	v_add_nc_u32_e32 v8, v6, v8
	v_cmpx_eq_u32_e64 v0, v70
	s_cbranch_execz .LBB872_117
; %bb.116:
	v_lshlrev_b32_e32 v11, 3, v68
	v_cndmask_b32_e32 v10, v7, v5, vcc_lo
	v_cndmask_b32_e32 v9, v8, v6, vcc_lo
	ds_write_b64 v11, v[9:10]
.LBB872_117:
	s_or_b32 exec_lo, exec_lo, s4
	s_mov_b32 s4, exec_lo
	s_waitcnt lgkmcnt(0)
	s_barrier
	buffer_gl0_inv
	v_cmpx_gt_u32_e32 8, v0
	s_cbranch_execz .LBB872_119
; %bb.118:
	v_lshlrev_b32_e32 v11, 3, v0
	v_and_b32_e32 v26, 7, v67
	ds_read_b64 v[9:10], v11
	v_cmp_eq_u32_e64 s3, 0, v26
	s_waitcnt lgkmcnt(0)
	v_mov_b32_dpp v12, v9 row_shr:1 row_mask:0xf bank_mask:0xf
	v_mov_b32_dpp v25, v10 row_shr:1 row_mask:0xf bank_mask:0xf
	v_add_nc_u32_e32 v12, v12, v9
	v_add_nc_u32_e32 v25, v25, v10
	v_cndmask_b32_e64 v9, v12, v9, s3
	v_cndmask_b32_e64 v10, v25, v10, s3
	v_cmp_lt_u32_e64 s3, 1, v26
	v_mov_b32_dpp v12, v9 row_shr:2 row_mask:0xf bank_mask:0xf
	v_mov_b32_dpp v25, v10 row_shr:2 row_mask:0xf bank_mask:0xf
	v_add_nc_u32_e32 v12, v9, v12
	v_add_nc_u32_e32 v25, v10, v25
	v_cndmask_b32_e64 v9, v9, v12, s3
	v_cndmask_b32_e64 v10, v10, v25, s3
	v_cmp_lt_u32_e64 s3, 3, v26
	v_mov_b32_dpp v12, v9 row_shr:4 row_mask:0xf bank_mask:0xf
	v_mov_b32_dpp v25, v10 row_shr:4 row_mask:0xf bank_mask:0xf
	v_cndmask_b32_e64 v12, 0, v12, s3
	v_cndmask_b32_e64 v25, 0, v25, s3
	v_add_nc_u32_e32 v9, v12, v9
	v_add_nc_u32_e32 v10, v25, v10
	ds_write_b64 v11, v[9:10]
.LBB872_119:
	s_or_b32 exec_lo, exec_lo, s4
	v_cndmask_b32_e32 v5, v7, v5, vcc_lo
	v_cndmask_b32_e32 v6, v8, v6, vcc_lo
	s_mov_b32 s4, exec_lo
	v_cmp_gt_u32_e32 vcc_lo, 32, v0
	s_waitcnt lgkmcnt(0)
	s_barrier
	buffer_gl0_inv
                                        ; implicit-def: $vgpr25
	v_cmpx_lt_u32_e32 31, v0
	s_cbranch_execz .LBB872_121
; %bb.120:
	v_lshl_add_u32 v7, v68, 3, -8
	ds_read_b64 v[25:26], v7
	s_waitcnt lgkmcnt(0)
	v_add_nc_u32_e32 v5, v26, v5
	v_add_nc_u32_e32 v6, v25, v6
.LBB872_121:
	s_or_b32 exec_lo, exec_lo, s4
	v_sub_co_u32 v7, s3, v67, 1
	v_cmp_gt_i32_e64 s4, 0, v7
	v_cndmask_b32_e64 v7, v7, v67, s4
	v_lshlrev_b32_e32 v7, 2, v7
	ds_bpermute_b32 v74, v7, v6
	ds_bpermute_b32 v75, v7, v5
	s_and_saveexec_b32 s4, vcc_lo
	s_cbranch_execz .LBB872_141
; %bb.122:
	v_mov_b32_e32 v8, 0
	ds_read_b64 v[5:6], v8 offset:56
	s_and_saveexec_b32 s6, s3
	s_cbranch_execz .LBB872_124
; %bb.123:
	s_add_i32 s8, s27, 32
	s_mov_b32 s9, 0
	v_mov_b32_e32 v7, 1
	s_lshl_b64 s[8:9], s[8:9], 4
	s_add_u32 s8, s36, s8
	s_addc_u32 s9, s37, s9
	v_mov_b32_e32 v10, s9
	v_mov_b32_e32 v9, s8
	s_waitcnt lgkmcnt(0)
	;;#ASMSTART
	global_store_dwordx4 v[9:10], v[5:8] off	
s_waitcnt vmcnt(0)
	;;#ASMEND
.LBB872_124:
	s_or_b32 exec_lo, exec_lo, s6
	v_xad_u32 v27, v67, -1, s27
	s_mov_b32 s7, 0
	v_add_nc_u32_e32 v7, 32, v27
	v_lshlrev_b64 v[9:10], 4, v[7:8]
	v_add_co_u32 v28, vcc_lo, s36, v9
	v_add_co_ci_u32_e64 v29, null, s37, v10, vcc_lo
	;;#ASMSTART
	global_load_dwordx4 v[9:12], v[28:29] off glc dlc	
s_waitcnt vmcnt(0)
	;;#ASMEND
	v_cmp_eq_u16_sdwa s8, v11, v8 src0_sel:BYTE_0 src1_sel:DWORD
	s_and_saveexec_b32 s6, s8
	s_cbranch_execz .LBB872_128
; %bb.125:
	v_mov_b32_e32 v7, 0
.LBB872_126:                            ; =>This Inner Loop Header: Depth=1
	;;#ASMSTART
	global_load_dwordx4 v[9:12], v[28:29] off glc dlc	
s_waitcnt vmcnt(0)
	;;#ASMEND
	v_cmp_ne_u16_sdwa s8, v11, v7 src0_sel:BYTE_0 src1_sel:DWORD
	s_or_b32 s7, s8, s7
	s_andn2_b32 exec_lo, exec_lo, s7
	s_cbranch_execnz .LBB872_126
; %bb.127:
	s_or_b32 exec_lo, exec_lo, s7
.LBB872_128:
	s_or_b32 exec_lo, exec_lo, s6
	v_cmp_ne_u32_e32 vcc_lo, 31, v67
	v_mov_b32_e32 v77, 2
	v_lshlrev_b32_e64 v78, v67, -1
	v_add_nc_u32_e32 v80, 2, v67
	v_add_nc_u32_e32 v82, 4, v67
	v_add_co_ci_u32_e64 v7, null, 0, v67, vcc_lo
	v_cmp_eq_u16_sdwa s6, v11, v77 src0_sel:BYTE_0 src1_sel:DWORD
	v_cmp_gt_u32_e32 vcc_lo, 30, v67
	v_add_nc_u32_e32 v84, 8, v67
	v_lshlrev_b32_e32 v76, 2, v7
	v_lshl_or_b32 v85, v67, 2, 64
	v_and_b32_e32 v12, s6, v78
	v_cndmask_b32_e64 v28, 0, 2, vcc_lo
	v_add_nc_u32_e32 v86, 16, v67
	ds_bpermute_b32 v7, v76, v10
	ds_bpermute_b32 v8, v76, v9
	v_or_b32_e32 v12, 0x80000000, v12
	v_add_lshl_u32 v79, v28, v67, 2
	v_ffbl_b32_e32 v12, v12
	v_cmp_lt_u32_e32 vcc_lo, v67, v12
	s_waitcnt lgkmcnt(1)
	v_add_nc_u32_e32 v7, v7, v10
	s_waitcnt lgkmcnt(0)
	v_add_nc_u32_e32 v8, v8, v9
	v_cndmask_b32_e32 v7, v10, v7, vcc_lo
	v_cndmask_b32_e32 v8, v9, v8, vcc_lo
	v_cmp_gt_u32_e32 vcc_lo, 28, v67
	ds_bpermute_b32 v9, v79, v7
	ds_bpermute_b32 v10, v79, v8
	v_cndmask_b32_e64 v28, 0, 4, vcc_lo
	v_cmp_gt_u32_e32 vcc_lo, v80, v12
	v_add_lshl_u32 v81, v28, v67, 2
	s_waitcnt lgkmcnt(1)
	v_add_nc_u32_e32 v9, v7, v9
	s_waitcnt lgkmcnt(0)
	v_add_nc_u32_e32 v10, v8, v10
	v_cndmask_b32_e32 v7, v9, v7, vcc_lo
	v_cndmask_b32_e32 v8, v10, v8, vcc_lo
	v_cmp_gt_u32_e32 vcc_lo, 24, v67
	ds_bpermute_b32 v9, v81, v7
	ds_bpermute_b32 v10, v81, v8
	v_cndmask_b32_e64 v28, 0, 8, vcc_lo
	v_cmp_gt_u32_e32 vcc_lo, v82, v12
	v_add_lshl_u32 v83, v28, v67, 2
	v_mov_b32_e32 v28, 0
	s_waitcnt lgkmcnt(1)
	v_add_nc_u32_e32 v9, v7, v9
	s_waitcnt lgkmcnt(0)
	v_add_nc_u32_e32 v10, v8, v10
	v_cndmask_b32_e32 v7, v9, v7, vcc_lo
	v_cndmask_b32_e32 v8, v10, v8, vcc_lo
	v_cmp_gt_u32_e32 vcc_lo, v84, v12
	ds_bpermute_b32 v9, v83, v7
	ds_bpermute_b32 v10, v83, v8
	s_waitcnt lgkmcnt(1)
	v_add_nc_u32_e32 v9, v7, v9
	s_waitcnt lgkmcnt(0)
	v_add_nc_u32_e32 v10, v8, v10
	v_cndmask_b32_e32 v7, v9, v7, vcc_lo
	v_cndmask_b32_e32 v8, v10, v8, vcc_lo
	v_cmp_le_u32_e32 vcc_lo, v86, v12
	ds_bpermute_b32 v10, v85, v7
	ds_bpermute_b32 v9, v85, v8
	s_waitcnt lgkmcnt(1)
	v_cndmask_b32_e32 v10, 0, v10, vcc_lo
	s_waitcnt lgkmcnt(0)
	v_cndmask_b32_e32 v9, 0, v9, vcc_lo
	v_add_nc_u32_e32 v10, v10, v7
	v_add_nc_u32_e32 v9, v9, v8
	s_branch .LBB872_132
.LBB872_129:                            ;   in Loop: Header=BB872_132 Depth=1
	s_or_b32 exec_lo, exec_lo, s7
.LBB872_130:                            ;   in Loop: Header=BB872_132 Depth=1
	s_or_b32 exec_lo, exec_lo, s6
	ds_bpermute_b32 v12, v76, v9
	ds_bpermute_b32 v29, v76, v10
	v_cmp_eq_u16_sdwa s6, v11, v77 src0_sel:BYTE_0 src1_sel:DWORD
	v_subrev_nc_u32_e32 v27, 32, v27
	v_and_or_b32 v30, s6, v78, 0x80000000
	s_mov_b32 s6, 0
	v_ffbl_b32_e32 v30, v30
	v_cmp_lt_u32_e32 vcc_lo, v67, v30
	s_waitcnt lgkmcnt(1)
	v_add_nc_u32_e32 v12, v12, v9
	s_waitcnt lgkmcnt(0)
	v_add_nc_u32_e32 v29, v29, v10
	v_cndmask_b32_e32 v9, v9, v12, vcc_lo
	v_cndmask_b32_e32 v10, v10, v29, vcc_lo
	v_cmp_gt_u32_e32 vcc_lo, v80, v30
	ds_bpermute_b32 v12, v79, v9
	ds_bpermute_b32 v29, v79, v10
	s_waitcnt lgkmcnt(1)
	v_add_nc_u32_e32 v12, v9, v12
	s_waitcnt lgkmcnt(0)
	v_add_nc_u32_e32 v29, v10, v29
	v_cndmask_b32_e32 v9, v12, v9, vcc_lo
	v_cndmask_b32_e32 v10, v29, v10, vcc_lo
	v_cmp_gt_u32_e32 vcc_lo, v82, v30
	ds_bpermute_b32 v12, v81, v9
	ds_bpermute_b32 v29, v81, v10
	;; [unrolled: 9-line block ×3, first 2 shown]
	s_waitcnt lgkmcnt(1)
	v_add_nc_u32_e32 v12, v9, v12
	s_waitcnt lgkmcnt(0)
	v_add_nc_u32_e32 v29, v10, v29
	v_cndmask_b32_e32 v9, v12, v9, vcc_lo
	v_cndmask_b32_e32 v10, v29, v10, vcc_lo
	v_cmp_le_u32_e32 vcc_lo, v86, v30
	ds_bpermute_b32 v12, v85, v9
	ds_bpermute_b32 v29, v85, v10
	s_waitcnt lgkmcnt(1)
	v_cndmask_b32_e32 v12, 0, v12, vcc_lo
	s_waitcnt lgkmcnt(0)
	v_cndmask_b32_e32 v29, 0, v29, vcc_lo
	v_add3_u32 v9, v9, v7, v12
	v_add3_u32 v10, v10, v8, v29
.LBB872_131:                            ;   in Loop: Header=BB872_132 Depth=1
	s_and_b32 vcc_lo, exec_lo, s6
	s_cbranch_vccnz .LBB872_137
.LBB872_132:                            ; =>This Loop Header: Depth=1
                                        ;     Child Loop BB872_135 Depth 2
	v_cmp_ne_u16_sdwa s6, v11, v77 src0_sel:BYTE_0 src1_sel:DWORD
	v_mov_b32_e32 v7, v9
	v_mov_b32_e32 v8, v10
                                        ; implicit-def: $vgpr11
                                        ; implicit-def: $vgpr9_vgpr10
	s_cmp_lg_u32 s6, exec_lo
	s_mov_b32 s6, -1
	s_cbranch_scc1 .LBB872_131
; %bb.133:                              ;   in Loop: Header=BB872_132 Depth=1
	v_lshlrev_b64 v[9:10], 4, v[27:28]
	v_add_co_u32 v29, vcc_lo, s36, v9
	v_add_co_ci_u32_e64 v30, null, s37, v10, vcc_lo
	;;#ASMSTART
	global_load_dwordx4 v[9:12], v[29:30] off glc dlc	
s_waitcnt vmcnt(0)
	;;#ASMEND
	v_cmp_eq_u16_sdwa s7, v11, v28 src0_sel:BYTE_0 src1_sel:DWORD
	s_and_saveexec_b32 s6, s7
	s_cbranch_execz .LBB872_130
; %bb.134:                              ;   in Loop: Header=BB872_132 Depth=1
	s_mov_b32 s7, 0
.LBB872_135:                            ;   Parent Loop BB872_132 Depth=1
                                        ; =>  This Inner Loop Header: Depth=2
	;;#ASMSTART
	global_load_dwordx4 v[9:12], v[29:30] off glc dlc	
s_waitcnt vmcnt(0)
	;;#ASMEND
	v_cmp_ne_u16_sdwa s8, v11, v28 src0_sel:BYTE_0 src1_sel:DWORD
	s_or_b32 s7, s8, s7
	s_andn2_b32 exec_lo, exec_lo, s7
	s_cbranch_execnz .LBB872_135
	s_branch .LBB872_129
.LBB872_136:
                                        ; implicit-def: $vgpr25
                                        ; implicit-def: $vgpr7
                                        ; implicit-def: $vgpr26
	s_and_b32 vcc_lo, exec_lo, s4
	s_cbranch_vccnz .LBB872_142
	s_branch .LBB872_151
.LBB872_137:
	s_and_saveexec_b32 s6, s3
	s_cbranch_execnz .LBB872_379
; %bb.138:
	s_or_b32 exec_lo, exec_lo, s6
	s_and_saveexec_b32 s6, s3
	s_cbranch_execnz .LBB872_380
.LBB872_139:
	s_or_b32 exec_lo, exec_lo, s6
	s_and_b32 exec_lo, exec_lo, s0
.LBB872_140:
	v_mov_b32_e32 v5, 0
	ds_write_b64 v5, v[7:8] offset:56
.LBB872_141:
	s_or_b32 exec_lo, exec_lo, s4
	v_mov_b32_e32 v5, 0
	s_waitcnt lgkmcnt(0)
	s_barrier
	buffer_gl0_inv
	v_cndmask_b32_e64 v11, v75, v26, s3
	ds_read_b64 v[9:10], v5 offset:56
	s_waitcnt lgkmcnt(0)
	s_barrier
	buffer_gl0_inv
	ds_read_b128 v[5:8], v5 offset:13312
	v_cndmask_b32_e64 v12, v74, v25, s3
	v_add_nc_u32_e32 v11, v10, v11
	v_add_nc_u32_e32 v12, v9, v12
	v_cndmask_b32_e64 v25, v11, v10, s0
	v_cndmask_b32_e64 v26, v12, v9, s0
	s_branch .LBB872_151
.LBB872_142:
	s_waitcnt lgkmcnt(0)
	v_mov_b32_dpp v5, v72 row_shr:1 row_mask:0xf bank_mask:0xf
	v_mov_b32_dpp v6, v73 row_shr:1 row_mask:0xf bank_mask:0xf
	v_cmp_lt_u32_e32 vcc_lo, 3, v69
	v_add_nc_u32_e32 v5, v5, v72
	v_add_nc_u32_e32 v6, v6, v73
	v_cndmask_b32_e64 v5, v5, v72, s2
	v_cndmask_b32_e64 v6, v6, v73, s2
	s_mov_b32 s2, exec_lo
	v_mov_b32_dpp v7, v5 row_shr:2 row_mask:0xf bank_mask:0xf
	v_mov_b32_dpp v8, v6 row_shr:2 row_mask:0xf bank_mask:0xf
	v_add_nc_u32_e32 v7, v5, v7
	v_add_nc_u32_e32 v8, v6, v8
	v_cndmask_b32_e64 v5, v5, v7, s1
	v_cndmask_b32_e64 v6, v6, v8, s1
	v_mov_b32_dpp v7, v5 row_shr:4 row_mask:0xf bank_mask:0xf
	v_mov_b32_dpp v8, v6 row_shr:4 row_mask:0xf bank_mask:0xf
	v_add_nc_u32_e32 v7, v5, v7
	v_add_nc_u32_e32 v8, v6, v8
	v_cndmask_b32_e32 v7, v5, v7, vcc_lo
	v_cndmask_b32_e32 v6, v6, v8, vcc_lo
	v_cmp_lt_u32_e32 vcc_lo, 7, v69
	v_mov_b32_dpp v5, v7 row_shr:8 row_mask:0xf bank_mask:0xf
	v_mov_b32_dpp v8, v6 row_shr:8 row_mask:0xf bank_mask:0xf
	v_add_nc_u32_e32 v9, v7, v5
	v_add_nc_u32_e32 v5, v6, v8
	v_cndmask_b32_e32 v5, v6, v5, vcc_lo
	v_cndmask_b32_e32 v6, v7, v9, vcc_lo
	v_cmp_eq_u32_e32 vcc_lo, 0, v71
	ds_swizzle_b32 v7, v5 offset:swizzle(BROADCAST,32,15)
	ds_swizzle_b32 v8, v6 offset:swizzle(BROADCAST,32,15)
	s_waitcnt lgkmcnt(1)
	v_add_nc_u32_e32 v7, v5, v7
	s_waitcnt lgkmcnt(0)
	v_add_nc_u32_e32 v8, v6, v8
	v_cmpx_eq_u32_e64 v0, v70
	s_cbranch_execz .LBB872_144
; %bb.143:
	v_cndmask_b32_e32 v9, v8, v6, vcc_lo
	v_cndmask_b32_e32 v10, v7, v5, vcc_lo
	v_lshlrev_b32_e32 v11, 3, v68
	ds_write_b64 v11, v[9:10]
.LBB872_144:
	s_or_b32 exec_lo, exec_lo, s2
	s_mov_b32 s2, exec_lo
	s_waitcnt lgkmcnt(0)
	s_barrier
	buffer_gl0_inv
	v_cmpx_gt_u32_e32 8, v0
	s_cbranch_execz .LBB872_146
; %bb.145:
	v_lshlrev_b32_e32 v11, 3, v0
	v_and_b32_e32 v26, 7, v67
	ds_read_b64 v[9:10], v11
	v_cmp_eq_u32_e64 s1, 0, v26
	s_waitcnt lgkmcnt(0)
	v_mov_b32_dpp v12, v9 row_shr:1 row_mask:0xf bank_mask:0xf
	v_mov_b32_dpp v25, v10 row_shr:1 row_mask:0xf bank_mask:0xf
	v_add_nc_u32_e32 v12, v12, v9
	v_add_nc_u32_e32 v25, v25, v10
	v_cndmask_b32_e64 v9, v12, v9, s1
	v_cndmask_b32_e64 v10, v25, v10, s1
	v_cmp_lt_u32_e64 s1, 1, v26
	v_mov_b32_dpp v12, v9 row_shr:2 row_mask:0xf bank_mask:0xf
	v_mov_b32_dpp v25, v10 row_shr:2 row_mask:0xf bank_mask:0xf
	v_add_nc_u32_e32 v12, v9, v12
	v_add_nc_u32_e32 v25, v10, v25
	v_cndmask_b32_e64 v9, v9, v12, s1
	v_cndmask_b32_e64 v10, v10, v25, s1
	v_cmp_lt_u32_e64 s1, 3, v26
	v_mov_b32_dpp v12, v9 row_shr:4 row_mask:0xf bank_mask:0xf
	v_mov_b32_dpp v25, v10 row_shr:4 row_mask:0xf bank_mask:0xf
	v_cndmask_b32_e64 v12, 0, v12, s1
	v_cndmask_b32_e64 v25, 0, v25, s1
	v_add_nc_u32_e32 v9, v12, v9
	v_add_nc_u32_e32 v10, v25, v10
	ds_write_b64 v11, v[9:10]
.LBB872_146:
	s_or_b32 exec_lo, exec_lo, s2
	v_mov_b32_e32 v11, 0
	v_mov_b32_e32 v9, 0
	;; [unrolled: 1-line block ×3, first 2 shown]
	s_mov_b32 s2, exec_lo
	s_waitcnt lgkmcnt(0)
	s_barrier
	buffer_gl0_inv
	v_cmpx_lt_u32_e32 31, v0
; %bb.147:
	v_lshl_add_u32 v9, v68, 3, -8
	ds_read_b64 v[9:10], v9
; %bb.148:
	s_or_b32 exec_lo, exec_lo, s2
	v_sub_co_u32 v12, s1, v67, 1
	v_cndmask_b32_e32 v6, v8, v6, vcc_lo
	v_cndmask_b32_e32 v5, v7, v5, vcc_lo
	v_cmp_gt_i32_e64 s2, 0, v12
	s_waitcnt lgkmcnt(0)
	v_add_nc_u32_e32 v6, v9, v6
	v_add_nc_u32_e32 v5, v10, v5
	v_cndmask_b32_e64 v8, v12, v67, s2
	v_lshlrev_b32_e32 v7, 2, v8
	ds_bpermute_b32 v12, v7, v6
	ds_bpermute_b32 v25, v7, v5
	ds_read_b64 v[5:6], v11 offset:56
	s_and_saveexec_b32 s2, s0
	s_cbranch_execz .LBB872_150
; %bb.149:
	s_add_u32 s6, s36, 0x200
	s_addc_u32 s7, s37, 0
	v_mov_b32_e32 v7, 2
	v_mov_b32_e32 v27, s7
	;; [unrolled: 1-line block ×4, first 2 shown]
	s_waitcnt lgkmcnt(0)
	;;#ASMSTART
	global_store_dwordx4 v[26:27], v[5:8] off	
s_waitcnt vmcnt(0)
	;;#ASMEND
.LBB872_150:
	s_or_b32 exec_lo, exec_lo, s2
	s_waitcnt lgkmcnt(1)
	v_cndmask_b32_e64 v7, v25, v10, s1
	v_cndmask_b32_e64 v9, v12, v9, s1
	v_mov_b32_e32 v8, 0
	s_waitcnt lgkmcnt(0)
	s_barrier
	v_cndmask_b32_e64 v25, v7, 0, s0
	v_cndmask_b32_e64 v26, v9, 0, s0
	v_mov_b32_e32 v7, 0
	buffer_gl0_inv
.LBB872_151:
	v_add_nc_u32_e32 v30, v25, v66
	v_add_nc_u32_e32 v29, v26, v65
	s_waitcnt lgkmcnt(0)
	v_sub_nc_u32_e32 v25, v25, v8
	v_lshrrev_b32_e32 v28, 8, v41
	v_lshlrev_b32_e32 v69, 1, v5
	v_add_nc_u32_e32 v63, v30, v63
	v_sub_nc_u32_e32 v30, v30, v8
	v_add_nc_u32_e32 v62, v29, v62
	v_sub_nc_u32_e32 v26, v26, v7
	;; [unrolled: 2-line block ×3, first 2 shown]
	v_add_nc_u32_e32 v30, v30, v5
	v_and_b32_e32 v28, 1, v28
	v_mov_b32_e32 v71, 1
	v_add3_u32 v34, v69, v6, v34
	v_add_nc_u32_e32 v75, v26, v25
	v_add_nc_u32_e32 v76, v30, v29
	v_add_co_u32 v1, vcc_lo, v1, v7
	v_add_co_ci_u32_e64 v2, null, 0, v2, vcc_lo
	v_sub_co_u32 v67, vcc_lo, v3, v5
	v_subrev_co_ci_u32_e64 v68, null, 0, v4, vcc_lo
	v_and_b32_sdwa v74, v71, v41 dst_sel:DWORD dst_unused:UNUSED_PAD src0_sel:DWORD src1_sel:WORD_1
	v_sub_nc_u32_e32 v76, v34, v76
	v_sub_nc_u32_e32 v75, v34, v75
	v_cmp_eq_u32_e32 vcc_lo, 1, v28
	v_lshrrev_b32_e32 v27, 8, v35
	v_add_nc_u32_e32 v65, v63, v48
	v_and_b32_e32 v70, 1, v35
	v_sub_nc_u32_e32 v63, v63, v8
	v_add_nc_u32_e32 v76, 1, v76
	v_cndmask_b32_e32 v25, v75, v25, vcc_lo
	v_cmp_eq_u32_e32 vcc_lo, 1, v74
	v_add_nc_u32_e32 v64, v62, v64
	v_and_b32_e32 v27, 1, v27
	v_sub_nc_u32_e32 v62, v62, v7
	v_add_nc_u32_e32 v63, v63, v5
	v_cndmask_b32_e32 v30, v76, v30, vcc_lo
	v_cmp_eq_u32_e32 vcc_lo, 1, v70
	v_and_b32_e32 v48, 1, v48
	v_add_nc_u32_e32 v61, v65, v61
	v_add_nc_u32_e32 v74, v63, v62
	v_and_b32_sdwa v35, v71, v35 dst_sel:DWORD dst_unused:UNUSED_PAD src0_sel:DWORD src1_sel:WORD_1
	v_cndmask_b32_e32 v70, v25, v26, vcc_lo
	v_cmp_eq_u32_e32 vcc_lo, 1, v27
	v_sub_nc_u32_e32 v65, v65, v8
	v_add_nc_u32_e32 v66, v64, v47
	v_add_nc_u32_e32 v60, v61, v60
	v_sub_nc_u32_e32 v61, v61, v8
	v_cndmask_b32_e32 v27, v30, v29, vcc_lo
	v_sub_nc_u32_e32 v29, v34, v74
	v_add_co_u32 v25, vcc_lo, v67, v8
	v_add_co_ci_u32_e64 v26, null, 0, v68, vcc_lo
	v_add_nc_u32_e32 v29, 2, v29
	v_cmp_eq_u32_e32 vcc_lo, 1, v48
	v_sub_nc_u32_e32 v48, v64, v7
	v_lshlrev_b32_e32 v30, 2, v70
	v_add_nc_u32_e32 v61, v61, v5
	v_lshlrev_b32_e32 v27, 2, v27
	v_cndmask_b32_e32 v29, v29, v63, vcc_lo
	v_add_nc_u32_e32 v63, v65, v5
	v_cmp_eq_u32_e32 vcc_lo, 1, v35
	v_sub_nc_u32_e32 v35, v66, v7
	v_lshrrev_b32_e32 v12, 8, v36
	ds_write_b32 v30, v23
	ds_write_b32 v27, v24
	v_and_b32_e32 v30, 1, v36
	v_cndmask_b32_e32 v29, v29, v62, vcc_lo
	v_add_nc_u32_e32 v62, v48, v63
	v_add_nc_u32_e32 v24, v35, v61
	;; [unrolled: 1-line block ×3, first 2 shown]
	v_and_b32_e32 v12, 1, v12
	v_lshlrev_b32_e32 v23, 2, v29
	v_sub_nc_u32_e32 v27, v34, v62
	v_and_b32_e32 v29, 1, v47
	v_sub_nc_u32_e32 v47, v60, v8
	v_sub_nc_u32_e32 v24, v34, v24
	v_cmp_eq_u32_e32 vcc_lo, 1, v30
	v_add_nc_u32_e32 v27, 3, v27
	v_add_nc_u32_e32 v57, v59, v57
	v_sub_nc_u32_e32 v59, v59, v7
	v_add_nc_u32_e32 v47, v47, v5
	v_add_nc_u32_e32 v24, 4, v24
	v_cndmask_b32_e32 v27, v27, v63, vcc_lo
	v_cmp_eq_u32_e32 vcc_lo, 1, v12
	v_add_nc_u32_e32 v58, v60, v58
	v_and_b32_e32 v30, 1, v37
	v_add_nc_u32_e32 v60, v59, v47
	v_lshrrev_b32_e32 v11, 8, v37
	v_cndmask_b32_e32 v12, v24, v61, vcc_lo
	v_cmp_eq_u32_e32 vcc_lo, 1, v29
	ds_write_b32 v23, v21
	v_and_b32_sdwa v23, v71, v36 dst_sel:DWORD dst_unused:UNUSED_PAD src0_sel:DWORD src1_sel:WORD_1
	v_add_nc_u32_e32 v72, v58, v46
	v_and_b32_e32 v11, 1, v11
	v_cndmask_b32_e32 v24, v27, v48, vcc_lo
	v_sub_nc_u32_e32 v27, v34, v60
	v_cmp_eq_u32_e32 vcc_lo, 1, v30
	v_add_nc_u32_e32 v52, v57, v52
	v_sub_nc_u32_e32 v29, v72, v8
	v_lshlrev_b32_e32 v21, 2, v24
	v_add_nc_u32_e32 v24, 5, v27
	v_cndmask_b32_e32 v12, v12, v35, vcc_lo
	v_sub_nc_u32_e32 v27, v58, v8
	v_cmp_eq_u32_e32 vcc_lo, 1, v23
	v_add_nc_u32_e32 v29, v29, v5
	v_add_nc_u32_e32 v56, v72, v56
	v_lshlrev_b32_e32 v12, 2, v12
	v_add_nc_u32_e32 v27, v27, v5
	v_cndmask_b32_e32 v23, v24, v47, vcc_lo
	v_sub_nc_u32_e32 v24, v57, v7
	v_cmp_eq_u32_e32 vcc_lo, 1, v11
	ds_write_b32 v21, v22
	ds_write_b32 v12, v19
	v_and_b32_e32 v22, 1, v46
	v_and_b32_e32 v35, 1, v38
	v_add_nc_u32_e32 v30, v24, v27
	v_cndmask_b32_e32 v11, v23, v59, vcc_lo
	v_sub_nc_u32_e32 v23, v52, v7
	v_cmp_eq_u32_e32 vcc_lo, 1, v22
	v_add_nc_u32_e32 v73, v52, v45
	v_sub_nc_u32_e32 v19, v34, v30
	v_sub_nc_u32_e32 v30, v56, v8
	v_add_nc_u32_e32 v12, v23, v29
	v_and_b32_sdwa v21, v71, v37 dst_sel:DWORD dst_unused:UNUSED_PAD src0_sel:DWORD src1_sel:WORD_1
	v_sub_nc_u32_e32 v36, v73, v7
	v_add_nc_u32_e32 v19, 6, v19
	v_add_nc_u32_e32 v30, v30, v5
	v_sub_nc_u32_e32 v12, v34, v12
	v_and_b32_e32 v22, 1, v45
	v_lshrrev_b32_e32 v10, 8, v38
	v_cndmask_b32_e32 v19, v19, v27, vcc_lo
	v_cmp_eq_u32_e32 vcc_lo, 1, v35
	v_add_nc_u32_e32 v12, 7, v12
	v_add_nc_u32_e32 v55, v56, v55
	;; [unrolled: 1-line block ×4, first 2 shown]
	v_and_b32_e32 v10, 1, v10
	v_cndmask_b32_e32 v12, v12, v29, vcc_lo
	v_cmp_eq_u32_e32 vcc_lo, 1, v21
	v_sub_nc_u32_e32 v21, v34, v27
	v_add_nc_u32_e32 v53, v55, v53
	v_lshlrev_b32_e32 v11, 2, v11
	v_add_nc_u32_e32 v51, v54, v51
	v_cndmask_b32_e32 v19, v19, v24, vcc_lo
	v_cmp_eq_u32_e32 vcc_lo, 1, v22
	v_sub_nc_u32_e32 v22, v55, v8
	v_add_nc_u32_e32 v21, 8, v21
	v_sub_nc_u32_e32 v24, v54, v7
	v_lshlrev_b32_e32 v19, 2, v19
	v_cndmask_b32_e32 v12, v12, v23, vcc_lo
	v_add_nc_u32_e32 v22, v22, v5
	v_cmp_eq_u32_e32 vcc_lo, 1, v10
	v_add_nc_u32_e32 v77, v53, v44
	v_and_b32_e32 v23, 1, v40
	v_lshlrev_b32_e32 v12, 2, v12
	ds_write_b32 v11, v20
	ds_write_b32 v19, v17
	;; [unrolled: 1-line block ×3, first 2 shown]
	v_cndmask_b32_e32 v10, v21, v30, vcc_lo
	v_add_nc_u32_e32 v21, v24, v22
	v_sub_nc_u32_e32 v12, v53, v8
	v_lshrrev_b32_e32 v9, 8, v40
	v_add_nc_u32_e32 v49, v51, v49
	v_cmp_eq_u32_e32 vcc_lo, 1, v23
	v_sub_nc_u32_e32 v11, v34, v21
	v_and_b32_sdwa v17, v71, v38 dst_sel:DWORD dst_unused:UNUSED_PAD src0_sel:DWORD src1_sel:WORD_1
	v_sub_nc_u32_e32 v18, v51, v7
	v_sub_nc_u32_e32 v19, v77, v8
	v_add_nc_u32_e32 v12, v12, v5
	v_cndmask_b32_e32 v10, v10, v36, vcc_lo
	v_and_b32_e32 v9, 1, v9
	v_add_nc_u32_e32 v11, 9, v11
	v_cmp_eq_u32_e32 vcc_lo, 1, v17
	v_sub_nc_u32_e32 v17, v49, v7
	v_add_nc_u32_e32 v19, v19, v5
	v_add_nc_u32_e32 v20, v18, v12
	;; [unrolled: 1-line block ×3, first 2 shown]
	v_cndmask_b32_e32 v11, v11, v22, vcc_lo
	v_cmp_eq_u32_e32 vcc_lo, 1, v9
	v_add_nc_u32_e32 v21, v17, v19
	v_sub_nc_u32_e32 v20, v34, v20
	v_and_b32_e32 v23, 1, v44
	v_add_nc_u32_e32 v50, v49, v43
	v_cndmask_b32_e32 v9, v11, v24, vcc_lo
	v_sub_nc_u32_e32 v11, v28, v8
	v_sub_nc_u32_e32 v21, v34, v21
	v_add_nc_u32_e32 v20, 10, v20
	v_and_b32_e32 v24, 1, v39
	v_cmp_eq_u32_e32 vcc_lo, 1, v23
	v_and_b32_sdwa v22, v71, v40 dst_sel:DWORD dst_unused:UNUSED_PAD src0_sel:DWORD src1_sel:WORD_1
	v_sub_nc_u32_e32 v7, v50, v7
	v_add_nc_u32_e32 v11, v11, v5
	v_add_nc_u32_e32 v21, 11, v21
	v_cndmask_b32_e32 v12, v20, v12, vcc_lo
	v_cmp_eq_u32_e32 vcc_lo, 1, v24
	v_and_b32_e32 v20, 1, v43
	v_add_nc_u32_e32 v27, v7, v11
	v_lshlrev_b32_e32 v10, 2, v10
	v_lshlrev_b32_e32 v9, 2, v9
	v_cndmask_b32_e32 v19, v21, v19, vcc_lo
	v_cmp_eq_u32_e32 vcc_lo, 1, v22
	v_sub_nc_u32_e32 v23, v34, v27
	v_cndmask_b32_e32 v12, v12, v18, vcc_lo
	v_and_b32_e32 v18, 1, v42
	v_cmp_eq_u32_e32 vcc_lo, 1, v20
	v_add_nc_u32_e32 v21, 12, v23
	v_lshlrev_b32_e32 v12, 2, v12
	v_cndmask_b32_e32 v17, v19, v17, vcc_lo
	v_and_b32_e32 v19, 1, v41
	v_cmp_eq_u32_e32 vcc_lo, 1, v18
	v_lshlrev_b32_e32 v17, 2, v17
	ds_write_b32 v10, v15
	ds_write_b32 v9, v16
	;; [unrolled: 1-line block ×4, first 2 shown]
	v_cndmask_b32_e32 v11, v21, v11, vcc_lo
	v_cmp_eq_u32_e32 vcc_lo, 1, v19
	v_add_co_u32 v9, s1, v6, v69
	v_add_co_ci_u32_e64 v10, null, 0, 0, s1
	v_cndmask_b32_e32 v7, v11, v7, vcc_lo
	v_add_co_u32 v11, s1, s34, v31
	v_add_co_ci_u32_e64 v12, null, s35, 0, s1
	v_lshlrev_b32_e32 v7, 2, v7
	v_add_nc_u32_e32 v14, v5, v6
	ds_write_b32 v7, v33
	v_add_co_u32 v7, vcc_lo, v9, v25
	v_add_co_ci_u32_e64 v9, null, v10, v26, vcc_lo
	s_waitcnt lgkmcnt(0)
	v_add_co_u32 v7, vcc_lo, v7, v1
	v_add_co_ci_u32_e64 v13, null, v9, v2, vcc_lo
	v_lshlrev_b64 v[9:10], 2, v[25:26]
	v_sub_co_u32 v7, vcc_lo, v11, v7
	v_sub_co_ci_u32_e64 v13, null, v12, v13, vcc_lo
	v_lshlrev_b64 v[11:12], 2, v[1:2]
	v_add_co_u32 v9, vcc_lo, s30, v9
	v_add_co_ci_u32_e64 v10, null, s31, v10, vcc_lo
	v_cmp_ne_u32_e32 vcc_lo, 1, v32
	v_add_co_u32 v11, s1, s28, v11
	v_add_co_ci_u32_e64 v12, null, s29, v12, s1
	s_mov_b32 s1, -1
	s_barrier
	buffer_gl0_inv
	s_cbranch_vccz .LBB872_155
; %bb.152:
	s_and_b32 vcc_lo, exec_lo, s1
	s_cbranch_vccnz .LBB872_260
.LBB872_153:
	s_and_b32 s0, s0, s26
	s_and_saveexec_b32 s1, s0
	s_cbranch_execnz .LBB872_378
.LBB872_154:
	s_endpgm
.LBB872_155:
	s_mov_b32 s1, exec_lo
	v_cmpx_ge_u32_e64 v0, v5
	s_xor_b32 s1, exec_lo, s1
	s_cbranch_execz .LBB872_161
; %bb.156:
	s_mov_b32 s2, exec_lo
	v_cmpx_ge_u32_e64 v0, v14
	s_xor_b32 s2, exec_lo, s2
	s_cbranch_execz .LBB872_158
; %bb.157:
	v_lshlrev_b32_e32 v15, 2, v0
	ds_read_b32 v17, v15
	v_add_co_u32 v15, vcc_lo, v7, v0
	v_add_co_ci_u32_e64 v16, null, 0, v13, vcc_lo
	v_lshlrev_b64 v[15:16], 2, v[15:16]
	v_sub_co_u32 v15, vcc_lo, s14, v15
	v_sub_co_ci_u32_e64 v16, null, s15, v16, vcc_lo
	s_waitcnt lgkmcnt(0)
	global_store_dword v[15:16], v17, off offset:-4
.LBB872_158:
	s_andn2_saveexec_b32 s2, s2
	s_cbranch_execz .LBB872_160
; %bb.159:
	v_lshlrev_b32_e32 v15, 2, v0
	v_readfirstlane_b32 s6, v9
	v_readfirstlane_b32 s7, v10
	ds_read_b32 v16, v15
	s_waitcnt lgkmcnt(0)
	global_store_dword v15, v16, s[6:7]
.LBB872_160:
	s_or_b32 exec_lo, exec_lo, s2
.LBB872_161:
	s_andn2_saveexec_b32 s1, s1
	s_cbranch_execz .LBB872_163
; %bb.162:
	v_lshlrev_b32_e32 v15, 2, v0
	v_readfirstlane_b32 s2, v11
	v_readfirstlane_b32 s3, v12
	ds_read_b32 v16, v15
	s_waitcnt lgkmcnt(0)
	global_store_dword v15, v16, s[2:3]
.LBB872_163:
	s_or_b32 exec_lo, exec_lo, s1
	v_or_b32_e32 v15, 0x100, v0
	s_mov_b32 s1, exec_lo
	v_cmpx_ge_u32_e64 v15, v5
	s_xor_b32 s1, exec_lo, s1
	s_cbranch_execz .LBB872_169
; %bb.164:
	s_mov_b32 s2, exec_lo
	v_cmpx_ge_u32_e64 v15, v14
	s_xor_b32 s2, exec_lo, s2
	s_cbranch_execz .LBB872_166
; %bb.165:
	v_lshlrev_b32_e32 v15, 2, v0
	ds_read_b32 v17, v15 offset:1024
	v_add_co_u32 v15, vcc_lo, v7, v0
	v_add_co_ci_u32_e64 v16, null, 0, v13, vcc_lo
	v_lshlrev_b64 v[15:16], 2, v[15:16]
	v_sub_co_u32 v15, vcc_lo, s14, v15
	v_sub_co_ci_u32_e64 v16, null, s15, v16, vcc_lo
	s_waitcnt lgkmcnt(0)
	global_store_dword v[15:16], v17, off offset:-1028
.LBB872_166:
	s_andn2_saveexec_b32 s2, s2
	s_cbranch_execz .LBB872_168
; %bb.167:
	v_lshlrev_b32_e32 v15, 2, v0
	v_readfirstlane_b32 s6, v9
	v_readfirstlane_b32 s7, v10
	ds_read_b32 v16, v15 offset:1024
	s_waitcnt lgkmcnt(0)
	global_store_dword v15, v16, s[6:7] offset:1024
.LBB872_168:
	s_or_b32 exec_lo, exec_lo, s2
.LBB872_169:
	s_andn2_saveexec_b32 s1, s1
	s_cbranch_execz .LBB872_171
; %bb.170:
	v_lshlrev_b32_e32 v15, 2, v0
	v_readfirstlane_b32 s2, v11
	v_readfirstlane_b32 s3, v12
	ds_read_b32 v16, v15 offset:1024
	s_waitcnt lgkmcnt(0)
	global_store_dword v15, v16, s[2:3] offset:1024
.LBB872_171:
	s_or_b32 exec_lo, exec_lo, s1
	v_or_b32_e32 v15, 0x200, v0
	s_mov_b32 s1, exec_lo
	v_cmpx_ge_u32_e64 v15, v5
	s_xor_b32 s1, exec_lo, s1
	s_cbranch_execz .LBB872_177
; %bb.172:
	s_mov_b32 s2, exec_lo
	v_cmpx_ge_u32_e64 v15, v14
	s_xor_b32 s2, exec_lo, s2
	s_cbranch_execz .LBB872_174
; %bb.173:
	v_lshlrev_b32_e32 v17, 2, v0
	v_add_co_u32 v15, vcc_lo, v7, v0
	v_add_co_ci_u32_e64 v16, null, 0, v13, vcc_lo
	ds_read_b32 v17, v17 offset:2048
	v_lshlrev_b64 v[15:16], 2, v[15:16]
	v_sub_co_u32 v15, vcc_lo, s14, v15
	v_sub_co_ci_u32_e64 v16, null, s15, v16, vcc_lo
	v_add_co_u32 v15, vcc_lo, 0xfffff800, v15
	v_add_co_ci_u32_e64 v16, null, -1, v16, vcc_lo
	s_waitcnt lgkmcnt(0)
	global_store_dword v[15:16], v17, off offset:-4
                                        ; implicit-def: $vgpr15
.LBB872_174:
	s_andn2_saveexec_b32 s2, s2
	s_cbranch_execz .LBB872_176
; %bb.175:
	v_lshlrev_b32_e32 v16, 2, v0
	v_lshlrev_b32_e32 v15, 2, v15
	v_readfirstlane_b32 s6, v9
	v_readfirstlane_b32 s7, v10
	ds_read_b32 v16, v16 offset:2048
	s_waitcnt lgkmcnt(0)
	global_store_dword v15, v16, s[6:7]
.LBB872_176:
	s_or_b32 exec_lo, exec_lo, s2
                                        ; implicit-def: $vgpr15
.LBB872_177:
	s_andn2_saveexec_b32 s1, s1
	s_cbranch_execz .LBB872_179
; %bb.178:
	v_lshlrev_b32_e32 v16, 2, v0
	v_lshlrev_b32_e32 v15, 2, v15
	v_readfirstlane_b32 s2, v11
	v_readfirstlane_b32 s3, v12
	ds_read_b32 v16, v16 offset:2048
	s_waitcnt lgkmcnt(0)
	global_store_dword v15, v16, s[2:3]
.LBB872_179:
	s_or_b32 exec_lo, exec_lo, s1
	v_or_b32_e32 v15, 0x300, v0
	s_mov_b32 s1, exec_lo
	v_cmpx_ge_u32_e64 v15, v5
	s_xor_b32 s1, exec_lo, s1
	s_cbranch_execz .LBB872_185
; %bb.180:
	s_mov_b32 s2, exec_lo
	v_cmpx_ge_u32_e64 v15, v14
	s_xor_b32 s2, exec_lo, s2
	s_cbranch_execz .LBB872_182
; %bb.181:
	v_lshlrev_b32_e32 v16, 2, v0
	v_add_co_u32 v15, vcc_lo, v7, v15
	ds_read_b32 v17, v16 offset:3072
	v_add_co_ci_u32_e64 v16, null, 0, v13, vcc_lo
	v_lshlrev_b64 v[15:16], 2, v[15:16]
	v_sub_co_u32 v15, vcc_lo, s14, v15
	v_sub_co_ci_u32_e64 v16, null, s15, v16, vcc_lo
	s_waitcnt lgkmcnt(0)
	global_store_dword v[15:16], v17, off offset:-4
                                        ; implicit-def: $vgpr15
.LBB872_182:
	s_andn2_saveexec_b32 s2, s2
	s_cbranch_execz .LBB872_184
; %bb.183:
	v_lshlrev_b32_e32 v16, 2, v0
	v_lshlrev_b32_e32 v15, 2, v15
	v_readfirstlane_b32 s6, v9
	v_readfirstlane_b32 s7, v10
	ds_read_b32 v16, v16 offset:3072
	s_waitcnt lgkmcnt(0)
	global_store_dword v15, v16, s[6:7]
.LBB872_184:
	s_or_b32 exec_lo, exec_lo, s2
                                        ; implicit-def: $vgpr15
.LBB872_185:
	s_andn2_saveexec_b32 s1, s1
	s_cbranch_execz .LBB872_187
; %bb.186:
	v_lshlrev_b32_e32 v16, 2, v0
	v_lshlrev_b32_e32 v15, 2, v15
	v_readfirstlane_b32 s2, v11
	v_readfirstlane_b32 s3, v12
	ds_read_b32 v16, v16 offset:3072
	s_waitcnt lgkmcnt(0)
	global_store_dword v15, v16, s[2:3]
.LBB872_187:
	s_or_b32 exec_lo, exec_lo, s1
	v_or_b32_e32 v15, 0x400, v0
	s_mov_b32 s1, exec_lo
	v_cmpx_ge_u32_e64 v15, v5
	s_xor_b32 s1, exec_lo, s1
	s_cbranch_execz .LBB872_193
; %bb.188:
	s_mov_b32 s2, exec_lo
	v_cmpx_ge_u32_e64 v15, v14
	s_xor_b32 s2, exec_lo, s2
	s_cbranch_execz .LBB872_190
; %bb.189:
	v_lshlrev_b32_e32 v16, 2, v0
	v_add_co_u32 v15, vcc_lo, v7, v15
	ds_read_b32 v17, v16 offset:4096
	v_add_co_ci_u32_e64 v16, null, 0, v13, vcc_lo
	v_lshlrev_b64 v[15:16], 2, v[15:16]
	v_sub_co_u32 v15, vcc_lo, s14, v15
	v_sub_co_ci_u32_e64 v16, null, s15, v16, vcc_lo
	s_waitcnt lgkmcnt(0)
	global_store_dword v[15:16], v17, off offset:-4
                                        ; implicit-def: $vgpr15
.LBB872_190:
	s_andn2_saveexec_b32 s2, s2
	s_cbranch_execz .LBB872_192
; %bb.191:
	v_lshlrev_b32_e32 v16, 2, v0
	v_lshlrev_b32_e32 v15, 2, v15
	v_readfirstlane_b32 s6, v9
	v_readfirstlane_b32 s7, v10
	ds_read_b32 v16, v16 offset:4096
	s_waitcnt lgkmcnt(0)
	global_store_dword v15, v16, s[6:7]
.LBB872_192:
	s_or_b32 exec_lo, exec_lo, s2
                                        ; implicit-def: $vgpr15
.LBB872_193:
	;; [unrolled: 48-line block ×10, first 2 shown]
	s_andn2_saveexec_b32 s1, s1
	s_cbranch_execz .LBB872_259
; %bb.258:
	v_lshlrev_b32_e32 v16, 2, v0
	v_lshlrev_b32_e32 v15, 2, v15
	v_readfirstlane_b32 s2, v11
	v_readfirstlane_b32 s3, v12
	ds_read_b32 v16, v16 offset:12288
	s_waitcnt lgkmcnt(0)
	global_store_dword v15, v16, s[2:3]
.LBB872_259:
	s_or_b32 exec_lo, exec_lo, s1
	s_branch .LBB872_153
.LBB872_260:
	s_mov_b32 s1, exec_lo
	v_cmpx_gt_u32_e64 s5, v0
	s_cbranch_execz .LBB872_269
; %bb.261:
	s_mov_b32 s2, exec_lo
	v_cmpx_ge_u32_e64 v0, v5
	s_xor_b32 s2, exec_lo, s2
	s_cbranch_execz .LBB872_267
; %bb.262:
	s_mov_b32 s3, exec_lo
	v_cmpx_ge_u32_e64 v0, v14
	s_xor_b32 s3, exec_lo, s3
	s_cbranch_execz .LBB872_264
; %bb.263:
	v_lshlrev_b32_e32 v15, 2, v0
	ds_read_b32 v17, v15
	v_add_co_u32 v15, vcc_lo, v7, v0
	v_add_co_ci_u32_e64 v16, null, 0, v13, vcc_lo
	v_lshlrev_b64 v[15:16], 2, v[15:16]
	v_sub_co_u32 v15, vcc_lo, s14, v15
	v_sub_co_ci_u32_e64 v16, null, s15, v16, vcc_lo
	s_waitcnt lgkmcnt(0)
	global_store_dword v[15:16], v17, off offset:-4
.LBB872_264:
	s_andn2_saveexec_b32 s3, s3
	s_cbranch_execz .LBB872_266
; %bb.265:
	v_lshlrev_b32_e32 v15, 2, v0
	v_readfirstlane_b32 s6, v9
	v_readfirstlane_b32 s7, v10
	ds_read_b32 v16, v15
	s_waitcnt lgkmcnt(0)
	global_store_dword v15, v16, s[6:7]
.LBB872_266:
	s_or_b32 exec_lo, exec_lo, s3
.LBB872_267:
	s_andn2_saveexec_b32 s2, s2
	s_cbranch_execz .LBB872_269
; %bb.268:
	v_lshlrev_b32_e32 v15, 2, v0
	v_readfirstlane_b32 s2, v11
	v_readfirstlane_b32 s3, v12
	ds_read_b32 v16, v15
	s_waitcnt lgkmcnt(0)
	global_store_dword v15, v16, s[2:3]
.LBB872_269:
	s_or_b32 exec_lo, exec_lo, s1
	v_or_b32_e32 v15, 0x100, v0
	s_mov_b32 s1, exec_lo
	v_cmpx_gt_u32_e64 s5, v15
	s_cbranch_execz .LBB872_278
; %bb.270:
	s_mov_b32 s2, exec_lo
	v_cmpx_ge_u32_e64 v15, v5
	s_xor_b32 s2, exec_lo, s2
	s_cbranch_execz .LBB872_276
; %bb.271:
	s_mov_b32 s3, exec_lo
	v_cmpx_ge_u32_e64 v15, v14
	s_xor_b32 s3, exec_lo, s3
	s_cbranch_execz .LBB872_273
; %bb.272:
	v_lshlrev_b32_e32 v15, 2, v0
	ds_read_b32 v17, v15 offset:1024
	v_add_co_u32 v15, vcc_lo, v7, v0
	v_add_co_ci_u32_e64 v16, null, 0, v13, vcc_lo
	v_lshlrev_b64 v[15:16], 2, v[15:16]
	v_sub_co_u32 v15, vcc_lo, s14, v15
	v_sub_co_ci_u32_e64 v16, null, s15, v16, vcc_lo
	s_waitcnt lgkmcnt(0)
	global_store_dword v[15:16], v17, off offset:-1028
.LBB872_273:
	s_andn2_saveexec_b32 s3, s3
	s_cbranch_execz .LBB872_275
; %bb.274:
	v_lshlrev_b32_e32 v15, 2, v0
	v_readfirstlane_b32 s6, v9
	v_readfirstlane_b32 s7, v10
	ds_read_b32 v16, v15 offset:1024
	s_waitcnt lgkmcnt(0)
	global_store_dword v15, v16, s[6:7] offset:1024
.LBB872_275:
	s_or_b32 exec_lo, exec_lo, s3
.LBB872_276:
	s_andn2_saveexec_b32 s2, s2
	s_cbranch_execz .LBB872_278
; %bb.277:
	v_lshlrev_b32_e32 v15, 2, v0
	v_readfirstlane_b32 s2, v11
	v_readfirstlane_b32 s3, v12
	ds_read_b32 v16, v15 offset:1024
	s_waitcnt lgkmcnt(0)
	global_store_dword v15, v16, s[2:3] offset:1024
.LBB872_278:
	s_or_b32 exec_lo, exec_lo, s1
	v_or_b32_e32 v15, 0x200, v0
	s_mov_b32 s1, exec_lo
	v_cmpx_gt_u32_e64 s5, v15
	s_cbranch_execz .LBB872_287
; %bb.279:
	s_mov_b32 s2, exec_lo
	v_cmpx_ge_u32_e64 v15, v5
	s_xor_b32 s2, exec_lo, s2
	s_cbranch_execz .LBB872_285
; %bb.280:
	s_mov_b32 s3, exec_lo
	v_cmpx_ge_u32_e64 v15, v14
	s_xor_b32 s3, exec_lo, s3
	s_cbranch_execz .LBB872_282
; %bb.281:
	v_lshlrev_b32_e32 v17, 2, v0
	v_add_co_u32 v15, vcc_lo, v7, v0
	v_add_co_ci_u32_e64 v16, null, 0, v13, vcc_lo
	ds_read_b32 v17, v17 offset:2048
	v_lshlrev_b64 v[15:16], 2, v[15:16]
	v_sub_co_u32 v15, vcc_lo, s14, v15
	v_sub_co_ci_u32_e64 v16, null, s15, v16, vcc_lo
	v_add_co_u32 v15, vcc_lo, 0xfffff800, v15
	v_add_co_ci_u32_e64 v16, null, -1, v16, vcc_lo
	s_waitcnt lgkmcnt(0)
	global_store_dword v[15:16], v17, off offset:-4
                                        ; implicit-def: $vgpr15
.LBB872_282:
	s_andn2_saveexec_b32 s3, s3
	s_cbranch_execz .LBB872_284
; %bb.283:
	v_lshlrev_b32_e32 v16, 2, v0
	v_lshlrev_b32_e32 v15, 2, v15
	v_readfirstlane_b32 s6, v9
	v_readfirstlane_b32 s7, v10
	ds_read_b32 v16, v16 offset:2048
	s_waitcnt lgkmcnt(0)
	global_store_dword v15, v16, s[6:7]
.LBB872_284:
	s_or_b32 exec_lo, exec_lo, s3
                                        ; implicit-def: $vgpr15
.LBB872_285:
	s_andn2_saveexec_b32 s2, s2
	s_cbranch_execz .LBB872_287
; %bb.286:
	v_lshlrev_b32_e32 v16, 2, v0
	v_lshlrev_b32_e32 v15, 2, v15
	v_readfirstlane_b32 s2, v11
	v_readfirstlane_b32 s3, v12
	ds_read_b32 v16, v16 offset:2048
	s_waitcnt lgkmcnt(0)
	global_store_dword v15, v16, s[2:3]
.LBB872_287:
	s_or_b32 exec_lo, exec_lo, s1
	v_or_b32_e32 v15, 0x300, v0
	s_mov_b32 s1, exec_lo
	v_cmpx_gt_u32_e64 s5, v15
	s_cbranch_execz .LBB872_296
; %bb.288:
	s_mov_b32 s2, exec_lo
	v_cmpx_ge_u32_e64 v15, v5
	s_xor_b32 s2, exec_lo, s2
	s_cbranch_execz .LBB872_294
; %bb.289:
	s_mov_b32 s3, exec_lo
	v_cmpx_ge_u32_e64 v15, v14
	s_xor_b32 s3, exec_lo, s3
	s_cbranch_execz .LBB872_291
; %bb.290:
	v_lshlrev_b32_e32 v16, 2, v0
	v_add_co_u32 v15, vcc_lo, v7, v15
	ds_read_b32 v17, v16 offset:3072
	v_add_co_ci_u32_e64 v16, null, 0, v13, vcc_lo
	v_lshlrev_b64 v[15:16], 2, v[15:16]
	v_sub_co_u32 v15, vcc_lo, s14, v15
	v_sub_co_ci_u32_e64 v16, null, s15, v16, vcc_lo
	s_waitcnt lgkmcnt(0)
	global_store_dword v[15:16], v17, off offset:-4
                                        ; implicit-def: $vgpr15
.LBB872_291:
	s_andn2_saveexec_b32 s3, s3
	s_cbranch_execz .LBB872_293
; %bb.292:
	v_lshlrev_b32_e32 v16, 2, v0
	v_lshlrev_b32_e32 v15, 2, v15
	v_readfirstlane_b32 s6, v9
	v_readfirstlane_b32 s7, v10
	ds_read_b32 v16, v16 offset:3072
	s_waitcnt lgkmcnt(0)
	global_store_dword v15, v16, s[6:7]
.LBB872_293:
	s_or_b32 exec_lo, exec_lo, s3
                                        ; implicit-def: $vgpr15
.LBB872_294:
	s_andn2_saveexec_b32 s2, s2
	s_cbranch_execz .LBB872_296
; %bb.295:
	v_lshlrev_b32_e32 v16, 2, v0
	v_lshlrev_b32_e32 v15, 2, v15
	v_readfirstlane_b32 s2, v11
	v_readfirstlane_b32 s3, v12
	ds_read_b32 v16, v16 offset:3072
	s_waitcnt lgkmcnt(0)
	global_store_dword v15, v16, s[2:3]
.LBB872_296:
	s_or_b32 exec_lo, exec_lo, s1
	v_or_b32_e32 v15, 0x400, v0
	s_mov_b32 s1, exec_lo
	v_cmpx_gt_u32_e64 s5, v15
	s_cbranch_execz .LBB872_305
; %bb.297:
	s_mov_b32 s2, exec_lo
	v_cmpx_ge_u32_e64 v15, v5
	s_xor_b32 s2, exec_lo, s2
	s_cbranch_execz .LBB872_303
; %bb.298:
	s_mov_b32 s3, exec_lo
	v_cmpx_ge_u32_e64 v15, v14
	s_xor_b32 s3, exec_lo, s3
	s_cbranch_execz .LBB872_300
; %bb.299:
	v_lshlrev_b32_e32 v16, 2, v0
	v_add_co_u32 v15, vcc_lo, v7, v15
	ds_read_b32 v17, v16 offset:4096
	v_add_co_ci_u32_e64 v16, null, 0, v13, vcc_lo
	v_lshlrev_b64 v[15:16], 2, v[15:16]
	v_sub_co_u32 v15, vcc_lo, s14, v15
	v_sub_co_ci_u32_e64 v16, null, s15, v16, vcc_lo
	s_waitcnt lgkmcnt(0)
	global_store_dword v[15:16], v17, off offset:-4
                                        ; implicit-def: $vgpr15
.LBB872_300:
	s_andn2_saveexec_b32 s3, s3
	s_cbranch_execz .LBB872_302
; %bb.301:
	v_lshlrev_b32_e32 v16, 2, v0
	v_lshlrev_b32_e32 v15, 2, v15
	v_readfirstlane_b32 s6, v9
	v_readfirstlane_b32 s7, v10
	ds_read_b32 v16, v16 offset:4096
	s_waitcnt lgkmcnt(0)
	global_store_dword v15, v16, s[6:7]
.LBB872_302:
	s_or_b32 exec_lo, exec_lo, s3
                                        ; implicit-def: $vgpr15
.LBB872_303:
	s_andn2_saveexec_b32 s2, s2
	s_cbranch_execz .LBB872_305
; %bb.304:
	v_lshlrev_b32_e32 v16, 2, v0
	v_lshlrev_b32_e32 v15, 2, v15
	v_readfirstlane_b32 s2, v11
	v_readfirstlane_b32 s3, v12
	ds_read_b32 v16, v16 offset:4096
	s_waitcnt lgkmcnt(0)
	global_store_dword v15, v16, s[2:3]
.LBB872_305:
	;; [unrolled: 52-line block ×9, first 2 shown]
	s_or_b32 exec_lo, exec_lo, s1
	v_or_b32_e32 v15, 0xc00, v0
	s_mov_b32 s1, exec_lo
	v_cmpx_gt_u32_e64 s5, v15
	s_cbranch_execz .LBB872_377
; %bb.369:
	s_mov_b32 s2, exec_lo
	v_cmpx_ge_u32_e64 v15, v5
	s_xor_b32 s2, exec_lo, s2
	s_cbranch_execz .LBB872_375
; %bb.370:
	s_mov_b32 s3, exec_lo
	v_cmpx_ge_u32_e64 v15, v14
	s_xor_b32 s3, exec_lo, s3
	s_cbranch_execz .LBB872_372
; %bb.371:
	v_lshlrev_b32_e32 v0, 2, v0
	v_add_co_u32 v9, vcc_lo, v7, v15
	v_add_co_ci_u32_e64 v10, null, 0, v13, vcc_lo
	ds_read_b32 v0, v0 offset:12288
                                        ; implicit-def: $vgpr15
	v_lshlrev_b64 v[9:10], 2, v[9:10]
	v_sub_co_u32 v9, vcc_lo, s14, v9
	v_sub_co_ci_u32_e64 v10, null, s15, v10, vcc_lo
	s_waitcnt lgkmcnt(0)
	global_store_dword v[9:10], v0, off offset:-4
                                        ; implicit-def: $vgpr0
                                        ; implicit-def: $vgpr9_vgpr10
.LBB872_372:
	s_andn2_saveexec_b32 s3, s3
	s_cbranch_execz .LBB872_374
; %bb.373:
	v_lshlrev_b32_e32 v0, 2, v0
	v_lshlrev_b32_e32 v7, 2, v15
	v_readfirstlane_b32 s4, v9
	v_readfirstlane_b32 s5, v10
	ds_read_b32 v0, v0 offset:12288
	s_waitcnt lgkmcnt(0)
	global_store_dword v7, v0, s[4:5]
.LBB872_374:
	s_or_b32 exec_lo, exec_lo, s3
                                        ; implicit-def: $vgpr0
                                        ; implicit-def: $vgpr15
                                        ; implicit-def: $vgpr11_vgpr12
.LBB872_375:
	s_andn2_saveexec_b32 s2, s2
	s_cbranch_execz .LBB872_377
; %bb.376:
	v_lshlrev_b32_e32 v0, 2, v0
	v_lshlrev_b32_e32 v7, 2, v15
	v_readfirstlane_b32 s2, v11
	v_readfirstlane_b32 s3, v12
	ds_read_b32 v0, v0 offset:12288
	s_waitcnt lgkmcnt(0)
	global_store_dword v7, v0, s[2:3]
.LBB872_377:
	s_or_b32 exec_lo, exec_lo, s1
	s_and_b32 s0, s0, s26
	s_and_saveexec_b32 s1, s0
	s_cbranch_execz .LBB872_154
.LBB872_378:
	v_add_co_u32 v0, vcc_lo, v3, v6
	v_add_co_ci_u32_e64 v4, null, 0, v4, vcc_lo
	v_mov_b32_e32 v6, 0
	v_add_co_u32 v3, vcc_lo, v0, v8
	v_add_co_ci_u32_e64 v4, null, 0, v4, vcc_lo
	v_add_co_u32 v1, vcc_lo, v1, v5
	v_add_co_ci_u32_e64 v2, null, 0, v2, vcc_lo
	global_store_dwordx4 v6, v[1:4], s[24:25]
	s_endpgm
.LBB872_379:
	s_add_i32 s8, s27, 32
	s_mov_b32 s9, 0
	v_add_nc_u32_e32 v10, v8, v6
	s_lshl_b64 s[8:9], s[8:9], 4
	v_add_nc_u32_e32 v9, v7, v5
	s_add_u32 s8, s36, s8
	s_addc_u32 s9, s37, s9
	v_mov_b32_e32 v11, 2
	v_mov_b32_e32 v28, s9
	;; [unrolled: 1-line block ×4, first 2 shown]
	;;#ASMSTART
	global_store_dwordx4 v[27:28], v[9:12] off	
s_waitcnt vmcnt(0)
	;;#ASMEND
	s_or_b32 exec_lo, exec_lo, s6
	s_and_saveexec_b32 s6, s3
	s_cbranch_execz .LBB872_139
.LBB872_380:
	v_mov_b32_e32 v9, 0
	ds_write_b128 v9, v[5:8] offset:13312
	s_or_b32 exec_lo, exec_lo, s6
	s_and_b32 exec_lo, exec_lo, s0
	s_cbranch_execnz .LBB872_140
	s_branch .LBB872_141
	.section	.rodata,"a",@progbits
	.p2align	6, 0x0
	.amdhsa_kernel _ZN7rocprim17ROCPRIM_400000_NS6detail17trampoline_kernelINS0_13select_configILj256ELj13ELNS0_17block_load_methodE3ELS4_3ELS4_3ELNS0_20block_scan_algorithmE0ELj4294967295EEENS1_25partition_config_selectorILNS1_17partition_subalgoE4EjNS0_10empty_typeEbEEZZNS1_14partition_implILS8_4ELb0ES6_15HIP_vector_typeIjLj2EENS0_17counting_iteratorIjlEEPS9_SG_NS0_5tupleIJPjSI_NS0_16reverse_iteratorISI_EEEEENSH_IJSG_SG_SG_EEES9_SI_JZNS1_25segmented_radix_sort_implINS0_14default_configELb1EPKsPsPKlPlN2at6native12_GLOBAL__N_18offset_tEEE10hipError_tPvRmT1_PNSt15iterator_traitsIS12_E10value_typeET2_T3_PNS13_IS18_E10value_typeET4_jRbjT5_S1E_jjP12ihipStream_tbEUljE_ZNSN_ISO_Lb1ESQ_SR_ST_SU_SY_EESZ_S10_S11_S12_S16_S17_S18_S1B_S1C_jS1D_jS1E_S1E_jjS1G_bEUljE0_EEESZ_S10_S11_S18_S1C_S1E_T6_T7_T9_mT8_S1G_bDpT10_ENKUlT_T0_E_clISt17integral_constantIbLb0EES1T_IbLb1EEEEDaS1P_S1Q_EUlS1P_E_NS1_11comp_targetILNS1_3genE8ELNS1_11target_archE1030ELNS1_3gpuE2ELNS1_3repE0EEENS1_30default_config_static_selectorELNS0_4arch9wavefront6targetE0EEEvS12_
		.amdhsa_group_segment_fixed_size 13328
		.amdhsa_private_segment_fixed_size 0
		.amdhsa_kernarg_size 184
		.amdhsa_user_sgpr_count 6
		.amdhsa_user_sgpr_private_segment_buffer 1
		.amdhsa_user_sgpr_dispatch_ptr 0
		.amdhsa_user_sgpr_queue_ptr 0
		.amdhsa_user_sgpr_kernarg_segment_ptr 1
		.amdhsa_user_sgpr_dispatch_id 0
		.amdhsa_user_sgpr_flat_scratch_init 0
		.amdhsa_user_sgpr_private_segment_size 0
		.amdhsa_wavefront_size32 1
		.amdhsa_uses_dynamic_stack 0
		.amdhsa_system_sgpr_private_segment_wavefront_offset 0
		.amdhsa_system_sgpr_workgroup_id_x 1
		.amdhsa_system_sgpr_workgroup_id_y 0
		.amdhsa_system_sgpr_workgroup_id_z 0
		.amdhsa_system_sgpr_workgroup_info 0
		.amdhsa_system_vgpr_workitem_id 0
		.amdhsa_next_free_vgpr 87
		.amdhsa_next_free_sgpr 55
		.amdhsa_reserve_vcc 1
		.amdhsa_reserve_flat_scratch 0
		.amdhsa_float_round_mode_32 0
		.amdhsa_float_round_mode_16_64 0
		.amdhsa_float_denorm_mode_32 3
		.amdhsa_float_denorm_mode_16_64 3
		.amdhsa_dx10_clamp 1
		.amdhsa_ieee_mode 1
		.amdhsa_fp16_overflow 0
		.amdhsa_workgroup_processor_mode 1
		.amdhsa_memory_ordered 1
		.amdhsa_forward_progress 1
		.amdhsa_shared_vgpr_count 0
		.amdhsa_exception_fp_ieee_invalid_op 0
		.amdhsa_exception_fp_denorm_src 0
		.amdhsa_exception_fp_ieee_div_zero 0
		.amdhsa_exception_fp_ieee_overflow 0
		.amdhsa_exception_fp_ieee_underflow 0
		.amdhsa_exception_fp_ieee_inexact 0
		.amdhsa_exception_int_div_zero 0
	.end_amdhsa_kernel
	.section	.text._ZN7rocprim17ROCPRIM_400000_NS6detail17trampoline_kernelINS0_13select_configILj256ELj13ELNS0_17block_load_methodE3ELS4_3ELS4_3ELNS0_20block_scan_algorithmE0ELj4294967295EEENS1_25partition_config_selectorILNS1_17partition_subalgoE4EjNS0_10empty_typeEbEEZZNS1_14partition_implILS8_4ELb0ES6_15HIP_vector_typeIjLj2EENS0_17counting_iteratorIjlEEPS9_SG_NS0_5tupleIJPjSI_NS0_16reverse_iteratorISI_EEEEENSH_IJSG_SG_SG_EEES9_SI_JZNS1_25segmented_radix_sort_implINS0_14default_configELb1EPKsPsPKlPlN2at6native12_GLOBAL__N_18offset_tEEE10hipError_tPvRmT1_PNSt15iterator_traitsIS12_E10value_typeET2_T3_PNS13_IS18_E10value_typeET4_jRbjT5_S1E_jjP12ihipStream_tbEUljE_ZNSN_ISO_Lb1ESQ_SR_ST_SU_SY_EESZ_S10_S11_S12_S16_S17_S18_S1B_S1C_jS1D_jS1E_S1E_jjS1G_bEUljE0_EEESZ_S10_S11_S18_S1C_S1E_T6_T7_T9_mT8_S1G_bDpT10_ENKUlT_T0_E_clISt17integral_constantIbLb0EES1T_IbLb1EEEEDaS1P_S1Q_EUlS1P_E_NS1_11comp_targetILNS1_3genE8ELNS1_11target_archE1030ELNS1_3gpuE2ELNS1_3repE0EEENS1_30default_config_static_selectorELNS0_4arch9wavefront6targetE0EEEvS12_,"axG",@progbits,_ZN7rocprim17ROCPRIM_400000_NS6detail17trampoline_kernelINS0_13select_configILj256ELj13ELNS0_17block_load_methodE3ELS4_3ELS4_3ELNS0_20block_scan_algorithmE0ELj4294967295EEENS1_25partition_config_selectorILNS1_17partition_subalgoE4EjNS0_10empty_typeEbEEZZNS1_14partition_implILS8_4ELb0ES6_15HIP_vector_typeIjLj2EENS0_17counting_iteratorIjlEEPS9_SG_NS0_5tupleIJPjSI_NS0_16reverse_iteratorISI_EEEEENSH_IJSG_SG_SG_EEES9_SI_JZNS1_25segmented_radix_sort_implINS0_14default_configELb1EPKsPsPKlPlN2at6native12_GLOBAL__N_18offset_tEEE10hipError_tPvRmT1_PNSt15iterator_traitsIS12_E10value_typeET2_T3_PNS13_IS18_E10value_typeET4_jRbjT5_S1E_jjP12ihipStream_tbEUljE_ZNSN_ISO_Lb1ESQ_SR_ST_SU_SY_EESZ_S10_S11_S12_S16_S17_S18_S1B_S1C_jS1D_jS1E_S1E_jjS1G_bEUljE0_EEESZ_S10_S11_S18_S1C_S1E_T6_T7_T9_mT8_S1G_bDpT10_ENKUlT_T0_E_clISt17integral_constantIbLb0EES1T_IbLb1EEEEDaS1P_S1Q_EUlS1P_E_NS1_11comp_targetILNS1_3genE8ELNS1_11target_archE1030ELNS1_3gpuE2ELNS1_3repE0EEENS1_30default_config_static_selectorELNS0_4arch9wavefront6targetE0EEEvS12_,comdat
.Lfunc_end872:
	.size	_ZN7rocprim17ROCPRIM_400000_NS6detail17trampoline_kernelINS0_13select_configILj256ELj13ELNS0_17block_load_methodE3ELS4_3ELS4_3ELNS0_20block_scan_algorithmE0ELj4294967295EEENS1_25partition_config_selectorILNS1_17partition_subalgoE4EjNS0_10empty_typeEbEEZZNS1_14partition_implILS8_4ELb0ES6_15HIP_vector_typeIjLj2EENS0_17counting_iteratorIjlEEPS9_SG_NS0_5tupleIJPjSI_NS0_16reverse_iteratorISI_EEEEENSH_IJSG_SG_SG_EEES9_SI_JZNS1_25segmented_radix_sort_implINS0_14default_configELb1EPKsPsPKlPlN2at6native12_GLOBAL__N_18offset_tEEE10hipError_tPvRmT1_PNSt15iterator_traitsIS12_E10value_typeET2_T3_PNS13_IS18_E10value_typeET4_jRbjT5_S1E_jjP12ihipStream_tbEUljE_ZNSN_ISO_Lb1ESQ_SR_ST_SU_SY_EESZ_S10_S11_S12_S16_S17_S18_S1B_S1C_jS1D_jS1E_S1E_jjS1G_bEUljE0_EEESZ_S10_S11_S18_S1C_S1E_T6_T7_T9_mT8_S1G_bDpT10_ENKUlT_T0_E_clISt17integral_constantIbLb0EES1T_IbLb1EEEEDaS1P_S1Q_EUlS1P_E_NS1_11comp_targetILNS1_3genE8ELNS1_11target_archE1030ELNS1_3gpuE2ELNS1_3repE0EEENS1_30default_config_static_selectorELNS0_4arch9wavefront6targetE0EEEvS12_, .Lfunc_end872-_ZN7rocprim17ROCPRIM_400000_NS6detail17trampoline_kernelINS0_13select_configILj256ELj13ELNS0_17block_load_methodE3ELS4_3ELS4_3ELNS0_20block_scan_algorithmE0ELj4294967295EEENS1_25partition_config_selectorILNS1_17partition_subalgoE4EjNS0_10empty_typeEbEEZZNS1_14partition_implILS8_4ELb0ES6_15HIP_vector_typeIjLj2EENS0_17counting_iteratorIjlEEPS9_SG_NS0_5tupleIJPjSI_NS0_16reverse_iteratorISI_EEEEENSH_IJSG_SG_SG_EEES9_SI_JZNS1_25segmented_radix_sort_implINS0_14default_configELb1EPKsPsPKlPlN2at6native12_GLOBAL__N_18offset_tEEE10hipError_tPvRmT1_PNSt15iterator_traitsIS12_E10value_typeET2_T3_PNS13_IS18_E10value_typeET4_jRbjT5_S1E_jjP12ihipStream_tbEUljE_ZNSN_ISO_Lb1ESQ_SR_ST_SU_SY_EESZ_S10_S11_S12_S16_S17_S18_S1B_S1C_jS1D_jS1E_S1E_jjS1G_bEUljE0_EEESZ_S10_S11_S18_S1C_S1E_T6_T7_T9_mT8_S1G_bDpT10_ENKUlT_T0_E_clISt17integral_constantIbLb0EES1T_IbLb1EEEEDaS1P_S1Q_EUlS1P_E_NS1_11comp_targetILNS1_3genE8ELNS1_11target_archE1030ELNS1_3gpuE2ELNS1_3repE0EEENS1_30default_config_static_selectorELNS0_4arch9wavefront6targetE0EEEvS12_
                                        ; -- End function
	.set _ZN7rocprim17ROCPRIM_400000_NS6detail17trampoline_kernelINS0_13select_configILj256ELj13ELNS0_17block_load_methodE3ELS4_3ELS4_3ELNS0_20block_scan_algorithmE0ELj4294967295EEENS1_25partition_config_selectorILNS1_17partition_subalgoE4EjNS0_10empty_typeEbEEZZNS1_14partition_implILS8_4ELb0ES6_15HIP_vector_typeIjLj2EENS0_17counting_iteratorIjlEEPS9_SG_NS0_5tupleIJPjSI_NS0_16reverse_iteratorISI_EEEEENSH_IJSG_SG_SG_EEES9_SI_JZNS1_25segmented_radix_sort_implINS0_14default_configELb1EPKsPsPKlPlN2at6native12_GLOBAL__N_18offset_tEEE10hipError_tPvRmT1_PNSt15iterator_traitsIS12_E10value_typeET2_T3_PNS13_IS18_E10value_typeET4_jRbjT5_S1E_jjP12ihipStream_tbEUljE_ZNSN_ISO_Lb1ESQ_SR_ST_SU_SY_EESZ_S10_S11_S12_S16_S17_S18_S1B_S1C_jS1D_jS1E_S1E_jjS1G_bEUljE0_EEESZ_S10_S11_S18_S1C_S1E_T6_T7_T9_mT8_S1G_bDpT10_ENKUlT_T0_E_clISt17integral_constantIbLb0EES1T_IbLb1EEEEDaS1P_S1Q_EUlS1P_E_NS1_11comp_targetILNS1_3genE8ELNS1_11target_archE1030ELNS1_3gpuE2ELNS1_3repE0EEENS1_30default_config_static_selectorELNS0_4arch9wavefront6targetE0EEEvS12_.num_vgpr, 87
	.set _ZN7rocprim17ROCPRIM_400000_NS6detail17trampoline_kernelINS0_13select_configILj256ELj13ELNS0_17block_load_methodE3ELS4_3ELS4_3ELNS0_20block_scan_algorithmE0ELj4294967295EEENS1_25partition_config_selectorILNS1_17partition_subalgoE4EjNS0_10empty_typeEbEEZZNS1_14partition_implILS8_4ELb0ES6_15HIP_vector_typeIjLj2EENS0_17counting_iteratorIjlEEPS9_SG_NS0_5tupleIJPjSI_NS0_16reverse_iteratorISI_EEEEENSH_IJSG_SG_SG_EEES9_SI_JZNS1_25segmented_radix_sort_implINS0_14default_configELb1EPKsPsPKlPlN2at6native12_GLOBAL__N_18offset_tEEE10hipError_tPvRmT1_PNSt15iterator_traitsIS12_E10value_typeET2_T3_PNS13_IS18_E10value_typeET4_jRbjT5_S1E_jjP12ihipStream_tbEUljE_ZNSN_ISO_Lb1ESQ_SR_ST_SU_SY_EESZ_S10_S11_S12_S16_S17_S18_S1B_S1C_jS1D_jS1E_S1E_jjS1G_bEUljE0_EEESZ_S10_S11_S18_S1C_S1E_T6_T7_T9_mT8_S1G_bDpT10_ENKUlT_T0_E_clISt17integral_constantIbLb0EES1T_IbLb1EEEEDaS1P_S1Q_EUlS1P_E_NS1_11comp_targetILNS1_3genE8ELNS1_11target_archE1030ELNS1_3gpuE2ELNS1_3repE0EEENS1_30default_config_static_selectorELNS0_4arch9wavefront6targetE0EEEvS12_.num_agpr, 0
	.set _ZN7rocprim17ROCPRIM_400000_NS6detail17trampoline_kernelINS0_13select_configILj256ELj13ELNS0_17block_load_methodE3ELS4_3ELS4_3ELNS0_20block_scan_algorithmE0ELj4294967295EEENS1_25partition_config_selectorILNS1_17partition_subalgoE4EjNS0_10empty_typeEbEEZZNS1_14partition_implILS8_4ELb0ES6_15HIP_vector_typeIjLj2EENS0_17counting_iteratorIjlEEPS9_SG_NS0_5tupleIJPjSI_NS0_16reverse_iteratorISI_EEEEENSH_IJSG_SG_SG_EEES9_SI_JZNS1_25segmented_radix_sort_implINS0_14default_configELb1EPKsPsPKlPlN2at6native12_GLOBAL__N_18offset_tEEE10hipError_tPvRmT1_PNSt15iterator_traitsIS12_E10value_typeET2_T3_PNS13_IS18_E10value_typeET4_jRbjT5_S1E_jjP12ihipStream_tbEUljE_ZNSN_ISO_Lb1ESQ_SR_ST_SU_SY_EESZ_S10_S11_S12_S16_S17_S18_S1B_S1C_jS1D_jS1E_S1E_jjS1G_bEUljE0_EEESZ_S10_S11_S18_S1C_S1E_T6_T7_T9_mT8_S1G_bDpT10_ENKUlT_T0_E_clISt17integral_constantIbLb0EES1T_IbLb1EEEEDaS1P_S1Q_EUlS1P_E_NS1_11comp_targetILNS1_3genE8ELNS1_11target_archE1030ELNS1_3gpuE2ELNS1_3repE0EEENS1_30default_config_static_selectorELNS0_4arch9wavefront6targetE0EEEvS12_.numbered_sgpr, 55
	.set _ZN7rocprim17ROCPRIM_400000_NS6detail17trampoline_kernelINS0_13select_configILj256ELj13ELNS0_17block_load_methodE3ELS4_3ELS4_3ELNS0_20block_scan_algorithmE0ELj4294967295EEENS1_25partition_config_selectorILNS1_17partition_subalgoE4EjNS0_10empty_typeEbEEZZNS1_14partition_implILS8_4ELb0ES6_15HIP_vector_typeIjLj2EENS0_17counting_iteratorIjlEEPS9_SG_NS0_5tupleIJPjSI_NS0_16reverse_iteratorISI_EEEEENSH_IJSG_SG_SG_EEES9_SI_JZNS1_25segmented_radix_sort_implINS0_14default_configELb1EPKsPsPKlPlN2at6native12_GLOBAL__N_18offset_tEEE10hipError_tPvRmT1_PNSt15iterator_traitsIS12_E10value_typeET2_T3_PNS13_IS18_E10value_typeET4_jRbjT5_S1E_jjP12ihipStream_tbEUljE_ZNSN_ISO_Lb1ESQ_SR_ST_SU_SY_EESZ_S10_S11_S12_S16_S17_S18_S1B_S1C_jS1D_jS1E_S1E_jjS1G_bEUljE0_EEESZ_S10_S11_S18_S1C_S1E_T6_T7_T9_mT8_S1G_bDpT10_ENKUlT_T0_E_clISt17integral_constantIbLb0EES1T_IbLb1EEEEDaS1P_S1Q_EUlS1P_E_NS1_11comp_targetILNS1_3genE8ELNS1_11target_archE1030ELNS1_3gpuE2ELNS1_3repE0EEENS1_30default_config_static_selectorELNS0_4arch9wavefront6targetE0EEEvS12_.num_named_barrier, 0
	.set _ZN7rocprim17ROCPRIM_400000_NS6detail17trampoline_kernelINS0_13select_configILj256ELj13ELNS0_17block_load_methodE3ELS4_3ELS4_3ELNS0_20block_scan_algorithmE0ELj4294967295EEENS1_25partition_config_selectorILNS1_17partition_subalgoE4EjNS0_10empty_typeEbEEZZNS1_14partition_implILS8_4ELb0ES6_15HIP_vector_typeIjLj2EENS0_17counting_iteratorIjlEEPS9_SG_NS0_5tupleIJPjSI_NS0_16reverse_iteratorISI_EEEEENSH_IJSG_SG_SG_EEES9_SI_JZNS1_25segmented_radix_sort_implINS0_14default_configELb1EPKsPsPKlPlN2at6native12_GLOBAL__N_18offset_tEEE10hipError_tPvRmT1_PNSt15iterator_traitsIS12_E10value_typeET2_T3_PNS13_IS18_E10value_typeET4_jRbjT5_S1E_jjP12ihipStream_tbEUljE_ZNSN_ISO_Lb1ESQ_SR_ST_SU_SY_EESZ_S10_S11_S12_S16_S17_S18_S1B_S1C_jS1D_jS1E_S1E_jjS1G_bEUljE0_EEESZ_S10_S11_S18_S1C_S1E_T6_T7_T9_mT8_S1G_bDpT10_ENKUlT_T0_E_clISt17integral_constantIbLb0EES1T_IbLb1EEEEDaS1P_S1Q_EUlS1P_E_NS1_11comp_targetILNS1_3genE8ELNS1_11target_archE1030ELNS1_3gpuE2ELNS1_3repE0EEENS1_30default_config_static_selectorELNS0_4arch9wavefront6targetE0EEEvS12_.private_seg_size, 0
	.set _ZN7rocprim17ROCPRIM_400000_NS6detail17trampoline_kernelINS0_13select_configILj256ELj13ELNS0_17block_load_methodE3ELS4_3ELS4_3ELNS0_20block_scan_algorithmE0ELj4294967295EEENS1_25partition_config_selectorILNS1_17partition_subalgoE4EjNS0_10empty_typeEbEEZZNS1_14partition_implILS8_4ELb0ES6_15HIP_vector_typeIjLj2EENS0_17counting_iteratorIjlEEPS9_SG_NS0_5tupleIJPjSI_NS0_16reverse_iteratorISI_EEEEENSH_IJSG_SG_SG_EEES9_SI_JZNS1_25segmented_radix_sort_implINS0_14default_configELb1EPKsPsPKlPlN2at6native12_GLOBAL__N_18offset_tEEE10hipError_tPvRmT1_PNSt15iterator_traitsIS12_E10value_typeET2_T3_PNS13_IS18_E10value_typeET4_jRbjT5_S1E_jjP12ihipStream_tbEUljE_ZNSN_ISO_Lb1ESQ_SR_ST_SU_SY_EESZ_S10_S11_S12_S16_S17_S18_S1B_S1C_jS1D_jS1E_S1E_jjS1G_bEUljE0_EEESZ_S10_S11_S18_S1C_S1E_T6_T7_T9_mT8_S1G_bDpT10_ENKUlT_T0_E_clISt17integral_constantIbLb0EES1T_IbLb1EEEEDaS1P_S1Q_EUlS1P_E_NS1_11comp_targetILNS1_3genE8ELNS1_11target_archE1030ELNS1_3gpuE2ELNS1_3repE0EEENS1_30default_config_static_selectorELNS0_4arch9wavefront6targetE0EEEvS12_.uses_vcc, 1
	.set _ZN7rocprim17ROCPRIM_400000_NS6detail17trampoline_kernelINS0_13select_configILj256ELj13ELNS0_17block_load_methodE3ELS4_3ELS4_3ELNS0_20block_scan_algorithmE0ELj4294967295EEENS1_25partition_config_selectorILNS1_17partition_subalgoE4EjNS0_10empty_typeEbEEZZNS1_14partition_implILS8_4ELb0ES6_15HIP_vector_typeIjLj2EENS0_17counting_iteratorIjlEEPS9_SG_NS0_5tupleIJPjSI_NS0_16reverse_iteratorISI_EEEEENSH_IJSG_SG_SG_EEES9_SI_JZNS1_25segmented_radix_sort_implINS0_14default_configELb1EPKsPsPKlPlN2at6native12_GLOBAL__N_18offset_tEEE10hipError_tPvRmT1_PNSt15iterator_traitsIS12_E10value_typeET2_T3_PNS13_IS18_E10value_typeET4_jRbjT5_S1E_jjP12ihipStream_tbEUljE_ZNSN_ISO_Lb1ESQ_SR_ST_SU_SY_EESZ_S10_S11_S12_S16_S17_S18_S1B_S1C_jS1D_jS1E_S1E_jjS1G_bEUljE0_EEESZ_S10_S11_S18_S1C_S1E_T6_T7_T9_mT8_S1G_bDpT10_ENKUlT_T0_E_clISt17integral_constantIbLb0EES1T_IbLb1EEEEDaS1P_S1Q_EUlS1P_E_NS1_11comp_targetILNS1_3genE8ELNS1_11target_archE1030ELNS1_3gpuE2ELNS1_3repE0EEENS1_30default_config_static_selectorELNS0_4arch9wavefront6targetE0EEEvS12_.uses_flat_scratch, 0
	.set _ZN7rocprim17ROCPRIM_400000_NS6detail17trampoline_kernelINS0_13select_configILj256ELj13ELNS0_17block_load_methodE3ELS4_3ELS4_3ELNS0_20block_scan_algorithmE0ELj4294967295EEENS1_25partition_config_selectorILNS1_17partition_subalgoE4EjNS0_10empty_typeEbEEZZNS1_14partition_implILS8_4ELb0ES6_15HIP_vector_typeIjLj2EENS0_17counting_iteratorIjlEEPS9_SG_NS0_5tupleIJPjSI_NS0_16reverse_iteratorISI_EEEEENSH_IJSG_SG_SG_EEES9_SI_JZNS1_25segmented_radix_sort_implINS0_14default_configELb1EPKsPsPKlPlN2at6native12_GLOBAL__N_18offset_tEEE10hipError_tPvRmT1_PNSt15iterator_traitsIS12_E10value_typeET2_T3_PNS13_IS18_E10value_typeET4_jRbjT5_S1E_jjP12ihipStream_tbEUljE_ZNSN_ISO_Lb1ESQ_SR_ST_SU_SY_EESZ_S10_S11_S12_S16_S17_S18_S1B_S1C_jS1D_jS1E_S1E_jjS1G_bEUljE0_EEESZ_S10_S11_S18_S1C_S1E_T6_T7_T9_mT8_S1G_bDpT10_ENKUlT_T0_E_clISt17integral_constantIbLb0EES1T_IbLb1EEEEDaS1P_S1Q_EUlS1P_E_NS1_11comp_targetILNS1_3genE8ELNS1_11target_archE1030ELNS1_3gpuE2ELNS1_3repE0EEENS1_30default_config_static_selectorELNS0_4arch9wavefront6targetE0EEEvS12_.has_dyn_sized_stack, 0
	.set _ZN7rocprim17ROCPRIM_400000_NS6detail17trampoline_kernelINS0_13select_configILj256ELj13ELNS0_17block_load_methodE3ELS4_3ELS4_3ELNS0_20block_scan_algorithmE0ELj4294967295EEENS1_25partition_config_selectorILNS1_17partition_subalgoE4EjNS0_10empty_typeEbEEZZNS1_14partition_implILS8_4ELb0ES6_15HIP_vector_typeIjLj2EENS0_17counting_iteratorIjlEEPS9_SG_NS0_5tupleIJPjSI_NS0_16reverse_iteratorISI_EEEEENSH_IJSG_SG_SG_EEES9_SI_JZNS1_25segmented_radix_sort_implINS0_14default_configELb1EPKsPsPKlPlN2at6native12_GLOBAL__N_18offset_tEEE10hipError_tPvRmT1_PNSt15iterator_traitsIS12_E10value_typeET2_T3_PNS13_IS18_E10value_typeET4_jRbjT5_S1E_jjP12ihipStream_tbEUljE_ZNSN_ISO_Lb1ESQ_SR_ST_SU_SY_EESZ_S10_S11_S12_S16_S17_S18_S1B_S1C_jS1D_jS1E_S1E_jjS1G_bEUljE0_EEESZ_S10_S11_S18_S1C_S1E_T6_T7_T9_mT8_S1G_bDpT10_ENKUlT_T0_E_clISt17integral_constantIbLb0EES1T_IbLb1EEEEDaS1P_S1Q_EUlS1P_E_NS1_11comp_targetILNS1_3genE8ELNS1_11target_archE1030ELNS1_3gpuE2ELNS1_3repE0EEENS1_30default_config_static_selectorELNS0_4arch9wavefront6targetE0EEEvS12_.has_recursion, 0
	.set _ZN7rocprim17ROCPRIM_400000_NS6detail17trampoline_kernelINS0_13select_configILj256ELj13ELNS0_17block_load_methodE3ELS4_3ELS4_3ELNS0_20block_scan_algorithmE0ELj4294967295EEENS1_25partition_config_selectorILNS1_17partition_subalgoE4EjNS0_10empty_typeEbEEZZNS1_14partition_implILS8_4ELb0ES6_15HIP_vector_typeIjLj2EENS0_17counting_iteratorIjlEEPS9_SG_NS0_5tupleIJPjSI_NS0_16reverse_iteratorISI_EEEEENSH_IJSG_SG_SG_EEES9_SI_JZNS1_25segmented_radix_sort_implINS0_14default_configELb1EPKsPsPKlPlN2at6native12_GLOBAL__N_18offset_tEEE10hipError_tPvRmT1_PNSt15iterator_traitsIS12_E10value_typeET2_T3_PNS13_IS18_E10value_typeET4_jRbjT5_S1E_jjP12ihipStream_tbEUljE_ZNSN_ISO_Lb1ESQ_SR_ST_SU_SY_EESZ_S10_S11_S12_S16_S17_S18_S1B_S1C_jS1D_jS1E_S1E_jjS1G_bEUljE0_EEESZ_S10_S11_S18_S1C_S1E_T6_T7_T9_mT8_S1G_bDpT10_ENKUlT_T0_E_clISt17integral_constantIbLb0EES1T_IbLb1EEEEDaS1P_S1Q_EUlS1P_E_NS1_11comp_targetILNS1_3genE8ELNS1_11target_archE1030ELNS1_3gpuE2ELNS1_3repE0EEENS1_30default_config_static_selectorELNS0_4arch9wavefront6targetE0EEEvS12_.has_indirect_call, 0
	.section	.AMDGPU.csdata,"",@progbits
; Kernel info:
; codeLenInByte = 16368
; TotalNumSgprs: 57
; NumVgprs: 87
; ScratchSize: 0
; MemoryBound: 0
; FloatMode: 240
; IeeeMode: 1
; LDSByteSize: 13328 bytes/workgroup (compile time only)
; SGPRBlocks: 0
; VGPRBlocks: 10
; NumSGPRsForWavesPerEU: 57
; NumVGPRsForWavesPerEU: 87
; Occupancy: 10
; WaveLimiterHint : 1
; COMPUTE_PGM_RSRC2:SCRATCH_EN: 0
; COMPUTE_PGM_RSRC2:USER_SGPR: 6
; COMPUTE_PGM_RSRC2:TRAP_HANDLER: 0
; COMPUTE_PGM_RSRC2:TGID_X_EN: 1
; COMPUTE_PGM_RSRC2:TGID_Y_EN: 0
; COMPUTE_PGM_RSRC2:TGID_Z_EN: 0
; COMPUTE_PGM_RSRC2:TIDIG_COMP_CNT: 0
	.section	.text._ZN7rocprim17ROCPRIM_400000_NS6detail17trampoline_kernelINS0_13select_configILj256ELj13ELNS0_17block_load_methodE3ELS4_3ELS4_3ELNS0_20block_scan_algorithmE0ELj4294967295EEENS1_25partition_config_selectorILNS1_17partition_subalgoE3EjNS0_10empty_typeEbEEZZNS1_14partition_implILS8_3ELb0ES6_jNS0_17counting_iteratorIjlEEPS9_SE_NS0_5tupleIJPjSE_EEENSF_IJSE_SE_EEES9_SG_JZNS1_25segmented_radix_sort_implINS0_14default_configELb1EPKsPsPKlPlN2at6native12_GLOBAL__N_18offset_tEEE10hipError_tPvRmT1_PNSt15iterator_traitsISY_E10value_typeET2_T3_PNSZ_IS14_E10value_typeET4_jRbjT5_S1A_jjP12ihipStream_tbEUljE_EEESV_SW_SX_S14_S18_S1A_T6_T7_T9_mT8_S1C_bDpT10_ENKUlT_T0_E_clISt17integral_constantIbLb0EES1P_EEDaS1K_S1L_EUlS1K_E_NS1_11comp_targetILNS1_3genE0ELNS1_11target_archE4294967295ELNS1_3gpuE0ELNS1_3repE0EEENS1_30default_config_static_selectorELNS0_4arch9wavefront6targetE0EEEvSY_,"axG",@progbits,_ZN7rocprim17ROCPRIM_400000_NS6detail17trampoline_kernelINS0_13select_configILj256ELj13ELNS0_17block_load_methodE3ELS4_3ELS4_3ELNS0_20block_scan_algorithmE0ELj4294967295EEENS1_25partition_config_selectorILNS1_17partition_subalgoE3EjNS0_10empty_typeEbEEZZNS1_14partition_implILS8_3ELb0ES6_jNS0_17counting_iteratorIjlEEPS9_SE_NS0_5tupleIJPjSE_EEENSF_IJSE_SE_EEES9_SG_JZNS1_25segmented_radix_sort_implINS0_14default_configELb1EPKsPsPKlPlN2at6native12_GLOBAL__N_18offset_tEEE10hipError_tPvRmT1_PNSt15iterator_traitsISY_E10value_typeET2_T3_PNSZ_IS14_E10value_typeET4_jRbjT5_S1A_jjP12ihipStream_tbEUljE_EEESV_SW_SX_S14_S18_S1A_T6_T7_T9_mT8_S1C_bDpT10_ENKUlT_T0_E_clISt17integral_constantIbLb0EES1P_EEDaS1K_S1L_EUlS1K_E_NS1_11comp_targetILNS1_3genE0ELNS1_11target_archE4294967295ELNS1_3gpuE0ELNS1_3repE0EEENS1_30default_config_static_selectorELNS0_4arch9wavefront6targetE0EEEvSY_,comdat
	.globl	_ZN7rocprim17ROCPRIM_400000_NS6detail17trampoline_kernelINS0_13select_configILj256ELj13ELNS0_17block_load_methodE3ELS4_3ELS4_3ELNS0_20block_scan_algorithmE0ELj4294967295EEENS1_25partition_config_selectorILNS1_17partition_subalgoE3EjNS0_10empty_typeEbEEZZNS1_14partition_implILS8_3ELb0ES6_jNS0_17counting_iteratorIjlEEPS9_SE_NS0_5tupleIJPjSE_EEENSF_IJSE_SE_EEES9_SG_JZNS1_25segmented_radix_sort_implINS0_14default_configELb1EPKsPsPKlPlN2at6native12_GLOBAL__N_18offset_tEEE10hipError_tPvRmT1_PNSt15iterator_traitsISY_E10value_typeET2_T3_PNSZ_IS14_E10value_typeET4_jRbjT5_S1A_jjP12ihipStream_tbEUljE_EEESV_SW_SX_S14_S18_S1A_T6_T7_T9_mT8_S1C_bDpT10_ENKUlT_T0_E_clISt17integral_constantIbLb0EES1P_EEDaS1K_S1L_EUlS1K_E_NS1_11comp_targetILNS1_3genE0ELNS1_11target_archE4294967295ELNS1_3gpuE0ELNS1_3repE0EEENS1_30default_config_static_selectorELNS0_4arch9wavefront6targetE0EEEvSY_ ; -- Begin function _ZN7rocprim17ROCPRIM_400000_NS6detail17trampoline_kernelINS0_13select_configILj256ELj13ELNS0_17block_load_methodE3ELS4_3ELS4_3ELNS0_20block_scan_algorithmE0ELj4294967295EEENS1_25partition_config_selectorILNS1_17partition_subalgoE3EjNS0_10empty_typeEbEEZZNS1_14partition_implILS8_3ELb0ES6_jNS0_17counting_iteratorIjlEEPS9_SE_NS0_5tupleIJPjSE_EEENSF_IJSE_SE_EEES9_SG_JZNS1_25segmented_radix_sort_implINS0_14default_configELb1EPKsPsPKlPlN2at6native12_GLOBAL__N_18offset_tEEE10hipError_tPvRmT1_PNSt15iterator_traitsISY_E10value_typeET2_T3_PNSZ_IS14_E10value_typeET4_jRbjT5_S1A_jjP12ihipStream_tbEUljE_EEESV_SW_SX_S14_S18_S1A_T6_T7_T9_mT8_S1C_bDpT10_ENKUlT_T0_E_clISt17integral_constantIbLb0EES1P_EEDaS1K_S1L_EUlS1K_E_NS1_11comp_targetILNS1_3genE0ELNS1_11target_archE4294967295ELNS1_3gpuE0ELNS1_3repE0EEENS1_30default_config_static_selectorELNS0_4arch9wavefront6targetE0EEEvSY_
	.p2align	8
	.type	_ZN7rocprim17ROCPRIM_400000_NS6detail17trampoline_kernelINS0_13select_configILj256ELj13ELNS0_17block_load_methodE3ELS4_3ELS4_3ELNS0_20block_scan_algorithmE0ELj4294967295EEENS1_25partition_config_selectorILNS1_17partition_subalgoE3EjNS0_10empty_typeEbEEZZNS1_14partition_implILS8_3ELb0ES6_jNS0_17counting_iteratorIjlEEPS9_SE_NS0_5tupleIJPjSE_EEENSF_IJSE_SE_EEES9_SG_JZNS1_25segmented_radix_sort_implINS0_14default_configELb1EPKsPsPKlPlN2at6native12_GLOBAL__N_18offset_tEEE10hipError_tPvRmT1_PNSt15iterator_traitsISY_E10value_typeET2_T3_PNSZ_IS14_E10value_typeET4_jRbjT5_S1A_jjP12ihipStream_tbEUljE_EEESV_SW_SX_S14_S18_S1A_T6_T7_T9_mT8_S1C_bDpT10_ENKUlT_T0_E_clISt17integral_constantIbLb0EES1P_EEDaS1K_S1L_EUlS1K_E_NS1_11comp_targetILNS1_3genE0ELNS1_11target_archE4294967295ELNS1_3gpuE0ELNS1_3repE0EEENS1_30default_config_static_selectorELNS0_4arch9wavefront6targetE0EEEvSY_,@function
_ZN7rocprim17ROCPRIM_400000_NS6detail17trampoline_kernelINS0_13select_configILj256ELj13ELNS0_17block_load_methodE3ELS4_3ELS4_3ELNS0_20block_scan_algorithmE0ELj4294967295EEENS1_25partition_config_selectorILNS1_17partition_subalgoE3EjNS0_10empty_typeEbEEZZNS1_14partition_implILS8_3ELb0ES6_jNS0_17counting_iteratorIjlEEPS9_SE_NS0_5tupleIJPjSE_EEENSF_IJSE_SE_EEES9_SG_JZNS1_25segmented_radix_sort_implINS0_14default_configELb1EPKsPsPKlPlN2at6native12_GLOBAL__N_18offset_tEEE10hipError_tPvRmT1_PNSt15iterator_traitsISY_E10value_typeET2_T3_PNSZ_IS14_E10value_typeET4_jRbjT5_S1A_jjP12ihipStream_tbEUljE_EEESV_SW_SX_S14_S18_S1A_T6_T7_T9_mT8_S1C_bDpT10_ENKUlT_T0_E_clISt17integral_constantIbLb0EES1P_EEDaS1K_S1L_EUlS1K_E_NS1_11comp_targetILNS1_3genE0ELNS1_11target_archE4294967295ELNS1_3gpuE0ELNS1_3repE0EEENS1_30default_config_static_selectorELNS0_4arch9wavefront6targetE0EEEvSY_: ; @_ZN7rocprim17ROCPRIM_400000_NS6detail17trampoline_kernelINS0_13select_configILj256ELj13ELNS0_17block_load_methodE3ELS4_3ELS4_3ELNS0_20block_scan_algorithmE0ELj4294967295EEENS1_25partition_config_selectorILNS1_17partition_subalgoE3EjNS0_10empty_typeEbEEZZNS1_14partition_implILS8_3ELb0ES6_jNS0_17counting_iteratorIjlEEPS9_SE_NS0_5tupleIJPjSE_EEENSF_IJSE_SE_EEES9_SG_JZNS1_25segmented_radix_sort_implINS0_14default_configELb1EPKsPsPKlPlN2at6native12_GLOBAL__N_18offset_tEEE10hipError_tPvRmT1_PNSt15iterator_traitsISY_E10value_typeET2_T3_PNSZ_IS14_E10value_typeET4_jRbjT5_S1A_jjP12ihipStream_tbEUljE_EEESV_SW_SX_S14_S18_S1A_T6_T7_T9_mT8_S1C_bDpT10_ENKUlT_T0_E_clISt17integral_constantIbLb0EES1P_EEDaS1K_S1L_EUlS1K_E_NS1_11comp_targetILNS1_3genE0ELNS1_11target_archE4294967295ELNS1_3gpuE0ELNS1_3repE0EEENS1_30default_config_static_selectorELNS0_4arch9wavefront6targetE0EEEvSY_
; %bb.0:
	.section	.rodata,"a",@progbits
	.p2align	6, 0x0
	.amdhsa_kernel _ZN7rocprim17ROCPRIM_400000_NS6detail17trampoline_kernelINS0_13select_configILj256ELj13ELNS0_17block_load_methodE3ELS4_3ELS4_3ELNS0_20block_scan_algorithmE0ELj4294967295EEENS1_25partition_config_selectorILNS1_17partition_subalgoE3EjNS0_10empty_typeEbEEZZNS1_14partition_implILS8_3ELb0ES6_jNS0_17counting_iteratorIjlEEPS9_SE_NS0_5tupleIJPjSE_EEENSF_IJSE_SE_EEES9_SG_JZNS1_25segmented_radix_sort_implINS0_14default_configELb1EPKsPsPKlPlN2at6native12_GLOBAL__N_18offset_tEEE10hipError_tPvRmT1_PNSt15iterator_traitsISY_E10value_typeET2_T3_PNSZ_IS14_E10value_typeET4_jRbjT5_S1A_jjP12ihipStream_tbEUljE_EEESV_SW_SX_S14_S18_S1A_T6_T7_T9_mT8_S1C_bDpT10_ENKUlT_T0_E_clISt17integral_constantIbLb0EES1P_EEDaS1K_S1L_EUlS1K_E_NS1_11comp_targetILNS1_3genE0ELNS1_11target_archE4294967295ELNS1_3gpuE0ELNS1_3repE0EEENS1_30default_config_static_selectorELNS0_4arch9wavefront6targetE0EEEvSY_
		.amdhsa_group_segment_fixed_size 0
		.amdhsa_private_segment_fixed_size 0
		.amdhsa_kernarg_size 144
		.amdhsa_user_sgpr_count 6
		.amdhsa_user_sgpr_private_segment_buffer 1
		.amdhsa_user_sgpr_dispatch_ptr 0
		.amdhsa_user_sgpr_queue_ptr 0
		.amdhsa_user_sgpr_kernarg_segment_ptr 1
		.amdhsa_user_sgpr_dispatch_id 0
		.amdhsa_user_sgpr_flat_scratch_init 0
		.amdhsa_user_sgpr_private_segment_size 0
		.amdhsa_wavefront_size32 1
		.amdhsa_uses_dynamic_stack 0
		.amdhsa_system_sgpr_private_segment_wavefront_offset 0
		.amdhsa_system_sgpr_workgroup_id_x 1
		.amdhsa_system_sgpr_workgroup_id_y 0
		.amdhsa_system_sgpr_workgroup_id_z 0
		.amdhsa_system_sgpr_workgroup_info 0
		.amdhsa_system_vgpr_workitem_id 0
		.amdhsa_next_free_vgpr 1
		.amdhsa_next_free_sgpr 1
		.amdhsa_reserve_vcc 0
		.amdhsa_reserve_flat_scratch 0
		.amdhsa_float_round_mode_32 0
		.amdhsa_float_round_mode_16_64 0
		.amdhsa_float_denorm_mode_32 3
		.amdhsa_float_denorm_mode_16_64 3
		.amdhsa_dx10_clamp 1
		.amdhsa_ieee_mode 1
		.amdhsa_fp16_overflow 0
		.amdhsa_workgroup_processor_mode 1
		.amdhsa_memory_ordered 1
		.amdhsa_forward_progress 1
		.amdhsa_shared_vgpr_count 0
		.amdhsa_exception_fp_ieee_invalid_op 0
		.amdhsa_exception_fp_denorm_src 0
		.amdhsa_exception_fp_ieee_div_zero 0
		.amdhsa_exception_fp_ieee_overflow 0
		.amdhsa_exception_fp_ieee_underflow 0
		.amdhsa_exception_fp_ieee_inexact 0
		.amdhsa_exception_int_div_zero 0
	.end_amdhsa_kernel
	.section	.text._ZN7rocprim17ROCPRIM_400000_NS6detail17trampoline_kernelINS0_13select_configILj256ELj13ELNS0_17block_load_methodE3ELS4_3ELS4_3ELNS0_20block_scan_algorithmE0ELj4294967295EEENS1_25partition_config_selectorILNS1_17partition_subalgoE3EjNS0_10empty_typeEbEEZZNS1_14partition_implILS8_3ELb0ES6_jNS0_17counting_iteratorIjlEEPS9_SE_NS0_5tupleIJPjSE_EEENSF_IJSE_SE_EEES9_SG_JZNS1_25segmented_radix_sort_implINS0_14default_configELb1EPKsPsPKlPlN2at6native12_GLOBAL__N_18offset_tEEE10hipError_tPvRmT1_PNSt15iterator_traitsISY_E10value_typeET2_T3_PNSZ_IS14_E10value_typeET4_jRbjT5_S1A_jjP12ihipStream_tbEUljE_EEESV_SW_SX_S14_S18_S1A_T6_T7_T9_mT8_S1C_bDpT10_ENKUlT_T0_E_clISt17integral_constantIbLb0EES1P_EEDaS1K_S1L_EUlS1K_E_NS1_11comp_targetILNS1_3genE0ELNS1_11target_archE4294967295ELNS1_3gpuE0ELNS1_3repE0EEENS1_30default_config_static_selectorELNS0_4arch9wavefront6targetE0EEEvSY_,"axG",@progbits,_ZN7rocprim17ROCPRIM_400000_NS6detail17trampoline_kernelINS0_13select_configILj256ELj13ELNS0_17block_load_methodE3ELS4_3ELS4_3ELNS0_20block_scan_algorithmE0ELj4294967295EEENS1_25partition_config_selectorILNS1_17partition_subalgoE3EjNS0_10empty_typeEbEEZZNS1_14partition_implILS8_3ELb0ES6_jNS0_17counting_iteratorIjlEEPS9_SE_NS0_5tupleIJPjSE_EEENSF_IJSE_SE_EEES9_SG_JZNS1_25segmented_radix_sort_implINS0_14default_configELb1EPKsPsPKlPlN2at6native12_GLOBAL__N_18offset_tEEE10hipError_tPvRmT1_PNSt15iterator_traitsISY_E10value_typeET2_T3_PNSZ_IS14_E10value_typeET4_jRbjT5_S1A_jjP12ihipStream_tbEUljE_EEESV_SW_SX_S14_S18_S1A_T6_T7_T9_mT8_S1C_bDpT10_ENKUlT_T0_E_clISt17integral_constantIbLb0EES1P_EEDaS1K_S1L_EUlS1K_E_NS1_11comp_targetILNS1_3genE0ELNS1_11target_archE4294967295ELNS1_3gpuE0ELNS1_3repE0EEENS1_30default_config_static_selectorELNS0_4arch9wavefront6targetE0EEEvSY_,comdat
.Lfunc_end873:
	.size	_ZN7rocprim17ROCPRIM_400000_NS6detail17trampoline_kernelINS0_13select_configILj256ELj13ELNS0_17block_load_methodE3ELS4_3ELS4_3ELNS0_20block_scan_algorithmE0ELj4294967295EEENS1_25partition_config_selectorILNS1_17partition_subalgoE3EjNS0_10empty_typeEbEEZZNS1_14partition_implILS8_3ELb0ES6_jNS0_17counting_iteratorIjlEEPS9_SE_NS0_5tupleIJPjSE_EEENSF_IJSE_SE_EEES9_SG_JZNS1_25segmented_radix_sort_implINS0_14default_configELb1EPKsPsPKlPlN2at6native12_GLOBAL__N_18offset_tEEE10hipError_tPvRmT1_PNSt15iterator_traitsISY_E10value_typeET2_T3_PNSZ_IS14_E10value_typeET4_jRbjT5_S1A_jjP12ihipStream_tbEUljE_EEESV_SW_SX_S14_S18_S1A_T6_T7_T9_mT8_S1C_bDpT10_ENKUlT_T0_E_clISt17integral_constantIbLb0EES1P_EEDaS1K_S1L_EUlS1K_E_NS1_11comp_targetILNS1_3genE0ELNS1_11target_archE4294967295ELNS1_3gpuE0ELNS1_3repE0EEENS1_30default_config_static_selectorELNS0_4arch9wavefront6targetE0EEEvSY_, .Lfunc_end873-_ZN7rocprim17ROCPRIM_400000_NS6detail17trampoline_kernelINS0_13select_configILj256ELj13ELNS0_17block_load_methodE3ELS4_3ELS4_3ELNS0_20block_scan_algorithmE0ELj4294967295EEENS1_25partition_config_selectorILNS1_17partition_subalgoE3EjNS0_10empty_typeEbEEZZNS1_14partition_implILS8_3ELb0ES6_jNS0_17counting_iteratorIjlEEPS9_SE_NS0_5tupleIJPjSE_EEENSF_IJSE_SE_EEES9_SG_JZNS1_25segmented_radix_sort_implINS0_14default_configELb1EPKsPsPKlPlN2at6native12_GLOBAL__N_18offset_tEEE10hipError_tPvRmT1_PNSt15iterator_traitsISY_E10value_typeET2_T3_PNSZ_IS14_E10value_typeET4_jRbjT5_S1A_jjP12ihipStream_tbEUljE_EEESV_SW_SX_S14_S18_S1A_T6_T7_T9_mT8_S1C_bDpT10_ENKUlT_T0_E_clISt17integral_constantIbLb0EES1P_EEDaS1K_S1L_EUlS1K_E_NS1_11comp_targetILNS1_3genE0ELNS1_11target_archE4294967295ELNS1_3gpuE0ELNS1_3repE0EEENS1_30default_config_static_selectorELNS0_4arch9wavefront6targetE0EEEvSY_
                                        ; -- End function
	.set _ZN7rocprim17ROCPRIM_400000_NS6detail17trampoline_kernelINS0_13select_configILj256ELj13ELNS0_17block_load_methodE3ELS4_3ELS4_3ELNS0_20block_scan_algorithmE0ELj4294967295EEENS1_25partition_config_selectorILNS1_17partition_subalgoE3EjNS0_10empty_typeEbEEZZNS1_14partition_implILS8_3ELb0ES6_jNS0_17counting_iteratorIjlEEPS9_SE_NS0_5tupleIJPjSE_EEENSF_IJSE_SE_EEES9_SG_JZNS1_25segmented_radix_sort_implINS0_14default_configELb1EPKsPsPKlPlN2at6native12_GLOBAL__N_18offset_tEEE10hipError_tPvRmT1_PNSt15iterator_traitsISY_E10value_typeET2_T3_PNSZ_IS14_E10value_typeET4_jRbjT5_S1A_jjP12ihipStream_tbEUljE_EEESV_SW_SX_S14_S18_S1A_T6_T7_T9_mT8_S1C_bDpT10_ENKUlT_T0_E_clISt17integral_constantIbLb0EES1P_EEDaS1K_S1L_EUlS1K_E_NS1_11comp_targetILNS1_3genE0ELNS1_11target_archE4294967295ELNS1_3gpuE0ELNS1_3repE0EEENS1_30default_config_static_selectorELNS0_4arch9wavefront6targetE0EEEvSY_.num_vgpr, 0
	.set _ZN7rocprim17ROCPRIM_400000_NS6detail17trampoline_kernelINS0_13select_configILj256ELj13ELNS0_17block_load_methodE3ELS4_3ELS4_3ELNS0_20block_scan_algorithmE0ELj4294967295EEENS1_25partition_config_selectorILNS1_17partition_subalgoE3EjNS0_10empty_typeEbEEZZNS1_14partition_implILS8_3ELb0ES6_jNS0_17counting_iteratorIjlEEPS9_SE_NS0_5tupleIJPjSE_EEENSF_IJSE_SE_EEES9_SG_JZNS1_25segmented_radix_sort_implINS0_14default_configELb1EPKsPsPKlPlN2at6native12_GLOBAL__N_18offset_tEEE10hipError_tPvRmT1_PNSt15iterator_traitsISY_E10value_typeET2_T3_PNSZ_IS14_E10value_typeET4_jRbjT5_S1A_jjP12ihipStream_tbEUljE_EEESV_SW_SX_S14_S18_S1A_T6_T7_T9_mT8_S1C_bDpT10_ENKUlT_T0_E_clISt17integral_constantIbLb0EES1P_EEDaS1K_S1L_EUlS1K_E_NS1_11comp_targetILNS1_3genE0ELNS1_11target_archE4294967295ELNS1_3gpuE0ELNS1_3repE0EEENS1_30default_config_static_selectorELNS0_4arch9wavefront6targetE0EEEvSY_.num_agpr, 0
	.set _ZN7rocprim17ROCPRIM_400000_NS6detail17trampoline_kernelINS0_13select_configILj256ELj13ELNS0_17block_load_methodE3ELS4_3ELS4_3ELNS0_20block_scan_algorithmE0ELj4294967295EEENS1_25partition_config_selectorILNS1_17partition_subalgoE3EjNS0_10empty_typeEbEEZZNS1_14partition_implILS8_3ELb0ES6_jNS0_17counting_iteratorIjlEEPS9_SE_NS0_5tupleIJPjSE_EEENSF_IJSE_SE_EEES9_SG_JZNS1_25segmented_radix_sort_implINS0_14default_configELb1EPKsPsPKlPlN2at6native12_GLOBAL__N_18offset_tEEE10hipError_tPvRmT1_PNSt15iterator_traitsISY_E10value_typeET2_T3_PNSZ_IS14_E10value_typeET4_jRbjT5_S1A_jjP12ihipStream_tbEUljE_EEESV_SW_SX_S14_S18_S1A_T6_T7_T9_mT8_S1C_bDpT10_ENKUlT_T0_E_clISt17integral_constantIbLb0EES1P_EEDaS1K_S1L_EUlS1K_E_NS1_11comp_targetILNS1_3genE0ELNS1_11target_archE4294967295ELNS1_3gpuE0ELNS1_3repE0EEENS1_30default_config_static_selectorELNS0_4arch9wavefront6targetE0EEEvSY_.numbered_sgpr, 0
	.set _ZN7rocprim17ROCPRIM_400000_NS6detail17trampoline_kernelINS0_13select_configILj256ELj13ELNS0_17block_load_methodE3ELS4_3ELS4_3ELNS0_20block_scan_algorithmE0ELj4294967295EEENS1_25partition_config_selectorILNS1_17partition_subalgoE3EjNS0_10empty_typeEbEEZZNS1_14partition_implILS8_3ELb0ES6_jNS0_17counting_iteratorIjlEEPS9_SE_NS0_5tupleIJPjSE_EEENSF_IJSE_SE_EEES9_SG_JZNS1_25segmented_radix_sort_implINS0_14default_configELb1EPKsPsPKlPlN2at6native12_GLOBAL__N_18offset_tEEE10hipError_tPvRmT1_PNSt15iterator_traitsISY_E10value_typeET2_T3_PNSZ_IS14_E10value_typeET4_jRbjT5_S1A_jjP12ihipStream_tbEUljE_EEESV_SW_SX_S14_S18_S1A_T6_T7_T9_mT8_S1C_bDpT10_ENKUlT_T0_E_clISt17integral_constantIbLb0EES1P_EEDaS1K_S1L_EUlS1K_E_NS1_11comp_targetILNS1_3genE0ELNS1_11target_archE4294967295ELNS1_3gpuE0ELNS1_3repE0EEENS1_30default_config_static_selectorELNS0_4arch9wavefront6targetE0EEEvSY_.num_named_barrier, 0
	.set _ZN7rocprim17ROCPRIM_400000_NS6detail17trampoline_kernelINS0_13select_configILj256ELj13ELNS0_17block_load_methodE3ELS4_3ELS4_3ELNS0_20block_scan_algorithmE0ELj4294967295EEENS1_25partition_config_selectorILNS1_17partition_subalgoE3EjNS0_10empty_typeEbEEZZNS1_14partition_implILS8_3ELb0ES6_jNS0_17counting_iteratorIjlEEPS9_SE_NS0_5tupleIJPjSE_EEENSF_IJSE_SE_EEES9_SG_JZNS1_25segmented_radix_sort_implINS0_14default_configELb1EPKsPsPKlPlN2at6native12_GLOBAL__N_18offset_tEEE10hipError_tPvRmT1_PNSt15iterator_traitsISY_E10value_typeET2_T3_PNSZ_IS14_E10value_typeET4_jRbjT5_S1A_jjP12ihipStream_tbEUljE_EEESV_SW_SX_S14_S18_S1A_T6_T7_T9_mT8_S1C_bDpT10_ENKUlT_T0_E_clISt17integral_constantIbLb0EES1P_EEDaS1K_S1L_EUlS1K_E_NS1_11comp_targetILNS1_3genE0ELNS1_11target_archE4294967295ELNS1_3gpuE0ELNS1_3repE0EEENS1_30default_config_static_selectorELNS0_4arch9wavefront6targetE0EEEvSY_.private_seg_size, 0
	.set _ZN7rocprim17ROCPRIM_400000_NS6detail17trampoline_kernelINS0_13select_configILj256ELj13ELNS0_17block_load_methodE3ELS4_3ELS4_3ELNS0_20block_scan_algorithmE0ELj4294967295EEENS1_25partition_config_selectorILNS1_17partition_subalgoE3EjNS0_10empty_typeEbEEZZNS1_14partition_implILS8_3ELb0ES6_jNS0_17counting_iteratorIjlEEPS9_SE_NS0_5tupleIJPjSE_EEENSF_IJSE_SE_EEES9_SG_JZNS1_25segmented_radix_sort_implINS0_14default_configELb1EPKsPsPKlPlN2at6native12_GLOBAL__N_18offset_tEEE10hipError_tPvRmT1_PNSt15iterator_traitsISY_E10value_typeET2_T3_PNSZ_IS14_E10value_typeET4_jRbjT5_S1A_jjP12ihipStream_tbEUljE_EEESV_SW_SX_S14_S18_S1A_T6_T7_T9_mT8_S1C_bDpT10_ENKUlT_T0_E_clISt17integral_constantIbLb0EES1P_EEDaS1K_S1L_EUlS1K_E_NS1_11comp_targetILNS1_3genE0ELNS1_11target_archE4294967295ELNS1_3gpuE0ELNS1_3repE0EEENS1_30default_config_static_selectorELNS0_4arch9wavefront6targetE0EEEvSY_.uses_vcc, 0
	.set _ZN7rocprim17ROCPRIM_400000_NS6detail17trampoline_kernelINS0_13select_configILj256ELj13ELNS0_17block_load_methodE3ELS4_3ELS4_3ELNS0_20block_scan_algorithmE0ELj4294967295EEENS1_25partition_config_selectorILNS1_17partition_subalgoE3EjNS0_10empty_typeEbEEZZNS1_14partition_implILS8_3ELb0ES6_jNS0_17counting_iteratorIjlEEPS9_SE_NS0_5tupleIJPjSE_EEENSF_IJSE_SE_EEES9_SG_JZNS1_25segmented_radix_sort_implINS0_14default_configELb1EPKsPsPKlPlN2at6native12_GLOBAL__N_18offset_tEEE10hipError_tPvRmT1_PNSt15iterator_traitsISY_E10value_typeET2_T3_PNSZ_IS14_E10value_typeET4_jRbjT5_S1A_jjP12ihipStream_tbEUljE_EEESV_SW_SX_S14_S18_S1A_T6_T7_T9_mT8_S1C_bDpT10_ENKUlT_T0_E_clISt17integral_constantIbLb0EES1P_EEDaS1K_S1L_EUlS1K_E_NS1_11comp_targetILNS1_3genE0ELNS1_11target_archE4294967295ELNS1_3gpuE0ELNS1_3repE0EEENS1_30default_config_static_selectorELNS0_4arch9wavefront6targetE0EEEvSY_.uses_flat_scratch, 0
	.set _ZN7rocprim17ROCPRIM_400000_NS6detail17trampoline_kernelINS0_13select_configILj256ELj13ELNS0_17block_load_methodE3ELS4_3ELS4_3ELNS0_20block_scan_algorithmE0ELj4294967295EEENS1_25partition_config_selectorILNS1_17partition_subalgoE3EjNS0_10empty_typeEbEEZZNS1_14partition_implILS8_3ELb0ES6_jNS0_17counting_iteratorIjlEEPS9_SE_NS0_5tupleIJPjSE_EEENSF_IJSE_SE_EEES9_SG_JZNS1_25segmented_radix_sort_implINS0_14default_configELb1EPKsPsPKlPlN2at6native12_GLOBAL__N_18offset_tEEE10hipError_tPvRmT1_PNSt15iterator_traitsISY_E10value_typeET2_T3_PNSZ_IS14_E10value_typeET4_jRbjT5_S1A_jjP12ihipStream_tbEUljE_EEESV_SW_SX_S14_S18_S1A_T6_T7_T9_mT8_S1C_bDpT10_ENKUlT_T0_E_clISt17integral_constantIbLb0EES1P_EEDaS1K_S1L_EUlS1K_E_NS1_11comp_targetILNS1_3genE0ELNS1_11target_archE4294967295ELNS1_3gpuE0ELNS1_3repE0EEENS1_30default_config_static_selectorELNS0_4arch9wavefront6targetE0EEEvSY_.has_dyn_sized_stack, 0
	.set _ZN7rocprim17ROCPRIM_400000_NS6detail17trampoline_kernelINS0_13select_configILj256ELj13ELNS0_17block_load_methodE3ELS4_3ELS4_3ELNS0_20block_scan_algorithmE0ELj4294967295EEENS1_25partition_config_selectorILNS1_17partition_subalgoE3EjNS0_10empty_typeEbEEZZNS1_14partition_implILS8_3ELb0ES6_jNS0_17counting_iteratorIjlEEPS9_SE_NS0_5tupleIJPjSE_EEENSF_IJSE_SE_EEES9_SG_JZNS1_25segmented_radix_sort_implINS0_14default_configELb1EPKsPsPKlPlN2at6native12_GLOBAL__N_18offset_tEEE10hipError_tPvRmT1_PNSt15iterator_traitsISY_E10value_typeET2_T3_PNSZ_IS14_E10value_typeET4_jRbjT5_S1A_jjP12ihipStream_tbEUljE_EEESV_SW_SX_S14_S18_S1A_T6_T7_T9_mT8_S1C_bDpT10_ENKUlT_T0_E_clISt17integral_constantIbLb0EES1P_EEDaS1K_S1L_EUlS1K_E_NS1_11comp_targetILNS1_3genE0ELNS1_11target_archE4294967295ELNS1_3gpuE0ELNS1_3repE0EEENS1_30default_config_static_selectorELNS0_4arch9wavefront6targetE0EEEvSY_.has_recursion, 0
	.set _ZN7rocprim17ROCPRIM_400000_NS6detail17trampoline_kernelINS0_13select_configILj256ELj13ELNS0_17block_load_methodE3ELS4_3ELS4_3ELNS0_20block_scan_algorithmE0ELj4294967295EEENS1_25partition_config_selectorILNS1_17partition_subalgoE3EjNS0_10empty_typeEbEEZZNS1_14partition_implILS8_3ELb0ES6_jNS0_17counting_iteratorIjlEEPS9_SE_NS0_5tupleIJPjSE_EEENSF_IJSE_SE_EEES9_SG_JZNS1_25segmented_radix_sort_implINS0_14default_configELb1EPKsPsPKlPlN2at6native12_GLOBAL__N_18offset_tEEE10hipError_tPvRmT1_PNSt15iterator_traitsISY_E10value_typeET2_T3_PNSZ_IS14_E10value_typeET4_jRbjT5_S1A_jjP12ihipStream_tbEUljE_EEESV_SW_SX_S14_S18_S1A_T6_T7_T9_mT8_S1C_bDpT10_ENKUlT_T0_E_clISt17integral_constantIbLb0EES1P_EEDaS1K_S1L_EUlS1K_E_NS1_11comp_targetILNS1_3genE0ELNS1_11target_archE4294967295ELNS1_3gpuE0ELNS1_3repE0EEENS1_30default_config_static_selectorELNS0_4arch9wavefront6targetE0EEEvSY_.has_indirect_call, 0
	.section	.AMDGPU.csdata,"",@progbits
; Kernel info:
; codeLenInByte = 0
; TotalNumSgprs: 0
; NumVgprs: 0
; ScratchSize: 0
; MemoryBound: 0
; FloatMode: 240
; IeeeMode: 1
; LDSByteSize: 0 bytes/workgroup (compile time only)
; SGPRBlocks: 0
; VGPRBlocks: 0
; NumSGPRsForWavesPerEU: 1
; NumVGPRsForWavesPerEU: 1
; Occupancy: 16
; WaveLimiterHint : 0
; COMPUTE_PGM_RSRC2:SCRATCH_EN: 0
; COMPUTE_PGM_RSRC2:USER_SGPR: 6
; COMPUTE_PGM_RSRC2:TRAP_HANDLER: 0
; COMPUTE_PGM_RSRC2:TGID_X_EN: 1
; COMPUTE_PGM_RSRC2:TGID_Y_EN: 0
; COMPUTE_PGM_RSRC2:TGID_Z_EN: 0
; COMPUTE_PGM_RSRC2:TIDIG_COMP_CNT: 0
	.section	.text._ZN7rocprim17ROCPRIM_400000_NS6detail17trampoline_kernelINS0_13select_configILj256ELj13ELNS0_17block_load_methodE3ELS4_3ELS4_3ELNS0_20block_scan_algorithmE0ELj4294967295EEENS1_25partition_config_selectorILNS1_17partition_subalgoE3EjNS0_10empty_typeEbEEZZNS1_14partition_implILS8_3ELb0ES6_jNS0_17counting_iteratorIjlEEPS9_SE_NS0_5tupleIJPjSE_EEENSF_IJSE_SE_EEES9_SG_JZNS1_25segmented_radix_sort_implINS0_14default_configELb1EPKsPsPKlPlN2at6native12_GLOBAL__N_18offset_tEEE10hipError_tPvRmT1_PNSt15iterator_traitsISY_E10value_typeET2_T3_PNSZ_IS14_E10value_typeET4_jRbjT5_S1A_jjP12ihipStream_tbEUljE_EEESV_SW_SX_S14_S18_S1A_T6_T7_T9_mT8_S1C_bDpT10_ENKUlT_T0_E_clISt17integral_constantIbLb0EES1P_EEDaS1K_S1L_EUlS1K_E_NS1_11comp_targetILNS1_3genE5ELNS1_11target_archE942ELNS1_3gpuE9ELNS1_3repE0EEENS1_30default_config_static_selectorELNS0_4arch9wavefront6targetE0EEEvSY_,"axG",@progbits,_ZN7rocprim17ROCPRIM_400000_NS6detail17trampoline_kernelINS0_13select_configILj256ELj13ELNS0_17block_load_methodE3ELS4_3ELS4_3ELNS0_20block_scan_algorithmE0ELj4294967295EEENS1_25partition_config_selectorILNS1_17partition_subalgoE3EjNS0_10empty_typeEbEEZZNS1_14partition_implILS8_3ELb0ES6_jNS0_17counting_iteratorIjlEEPS9_SE_NS0_5tupleIJPjSE_EEENSF_IJSE_SE_EEES9_SG_JZNS1_25segmented_radix_sort_implINS0_14default_configELb1EPKsPsPKlPlN2at6native12_GLOBAL__N_18offset_tEEE10hipError_tPvRmT1_PNSt15iterator_traitsISY_E10value_typeET2_T3_PNSZ_IS14_E10value_typeET4_jRbjT5_S1A_jjP12ihipStream_tbEUljE_EEESV_SW_SX_S14_S18_S1A_T6_T7_T9_mT8_S1C_bDpT10_ENKUlT_T0_E_clISt17integral_constantIbLb0EES1P_EEDaS1K_S1L_EUlS1K_E_NS1_11comp_targetILNS1_3genE5ELNS1_11target_archE942ELNS1_3gpuE9ELNS1_3repE0EEENS1_30default_config_static_selectorELNS0_4arch9wavefront6targetE0EEEvSY_,comdat
	.globl	_ZN7rocprim17ROCPRIM_400000_NS6detail17trampoline_kernelINS0_13select_configILj256ELj13ELNS0_17block_load_methodE3ELS4_3ELS4_3ELNS0_20block_scan_algorithmE0ELj4294967295EEENS1_25partition_config_selectorILNS1_17partition_subalgoE3EjNS0_10empty_typeEbEEZZNS1_14partition_implILS8_3ELb0ES6_jNS0_17counting_iteratorIjlEEPS9_SE_NS0_5tupleIJPjSE_EEENSF_IJSE_SE_EEES9_SG_JZNS1_25segmented_radix_sort_implINS0_14default_configELb1EPKsPsPKlPlN2at6native12_GLOBAL__N_18offset_tEEE10hipError_tPvRmT1_PNSt15iterator_traitsISY_E10value_typeET2_T3_PNSZ_IS14_E10value_typeET4_jRbjT5_S1A_jjP12ihipStream_tbEUljE_EEESV_SW_SX_S14_S18_S1A_T6_T7_T9_mT8_S1C_bDpT10_ENKUlT_T0_E_clISt17integral_constantIbLb0EES1P_EEDaS1K_S1L_EUlS1K_E_NS1_11comp_targetILNS1_3genE5ELNS1_11target_archE942ELNS1_3gpuE9ELNS1_3repE0EEENS1_30default_config_static_selectorELNS0_4arch9wavefront6targetE0EEEvSY_ ; -- Begin function _ZN7rocprim17ROCPRIM_400000_NS6detail17trampoline_kernelINS0_13select_configILj256ELj13ELNS0_17block_load_methodE3ELS4_3ELS4_3ELNS0_20block_scan_algorithmE0ELj4294967295EEENS1_25partition_config_selectorILNS1_17partition_subalgoE3EjNS0_10empty_typeEbEEZZNS1_14partition_implILS8_3ELb0ES6_jNS0_17counting_iteratorIjlEEPS9_SE_NS0_5tupleIJPjSE_EEENSF_IJSE_SE_EEES9_SG_JZNS1_25segmented_radix_sort_implINS0_14default_configELb1EPKsPsPKlPlN2at6native12_GLOBAL__N_18offset_tEEE10hipError_tPvRmT1_PNSt15iterator_traitsISY_E10value_typeET2_T3_PNSZ_IS14_E10value_typeET4_jRbjT5_S1A_jjP12ihipStream_tbEUljE_EEESV_SW_SX_S14_S18_S1A_T6_T7_T9_mT8_S1C_bDpT10_ENKUlT_T0_E_clISt17integral_constantIbLb0EES1P_EEDaS1K_S1L_EUlS1K_E_NS1_11comp_targetILNS1_3genE5ELNS1_11target_archE942ELNS1_3gpuE9ELNS1_3repE0EEENS1_30default_config_static_selectorELNS0_4arch9wavefront6targetE0EEEvSY_
	.p2align	8
	.type	_ZN7rocprim17ROCPRIM_400000_NS6detail17trampoline_kernelINS0_13select_configILj256ELj13ELNS0_17block_load_methodE3ELS4_3ELS4_3ELNS0_20block_scan_algorithmE0ELj4294967295EEENS1_25partition_config_selectorILNS1_17partition_subalgoE3EjNS0_10empty_typeEbEEZZNS1_14partition_implILS8_3ELb0ES6_jNS0_17counting_iteratorIjlEEPS9_SE_NS0_5tupleIJPjSE_EEENSF_IJSE_SE_EEES9_SG_JZNS1_25segmented_radix_sort_implINS0_14default_configELb1EPKsPsPKlPlN2at6native12_GLOBAL__N_18offset_tEEE10hipError_tPvRmT1_PNSt15iterator_traitsISY_E10value_typeET2_T3_PNSZ_IS14_E10value_typeET4_jRbjT5_S1A_jjP12ihipStream_tbEUljE_EEESV_SW_SX_S14_S18_S1A_T6_T7_T9_mT8_S1C_bDpT10_ENKUlT_T0_E_clISt17integral_constantIbLb0EES1P_EEDaS1K_S1L_EUlS1K_E_NS1_11comp_targetILNS1_3genE5ELNS1_11target_archE942ELNS1_3gpuE9ELNS1_3repE0EEENS1_30default_config_static_selectorELNS0_4arch9wavefront6targetE0EEEvSY_,@function
_ZN7rocprim17ROCPRIM_400000_NS6detail17trampoline_kernelINS0_13select_configILj256ELj13ELNS0_17block_load_methodE3ELS4_3ELS4_3ELNS0_20block_scan_algorithmE0ELj4294967295EEENS1_25partition_config_selectorILNS1_17partition_subalgoE3EjNS0_10empty_typeEbEEZZNS1_14partition_implILS8_3ELb0ES6_jNS0_17counting_iteratorIjlEEPS9_SE_NS0_5tupleIJPjSE_EEENSF_IJSE_SE_EEES9_SG_JZNS1_25segmented_radix_sort_implINS0_14default_configELb1EPKsPsPKlPlN2at6native12_GLOBAL__N_18offset_tEEE10hipError_tPvRmT1_PNSt15iterator_traitsISY_E10value_typeET2_T3_PNSZ_IS14_E10value_typeET4_jRbjT5_S1A_jjP12ihipStream_tbEUljE_EEESV_SW_SX_S14_S18_S1A_T6_T7_T9_mT8_S1C_bDpT10_ENKUlT_T0_E_clISt17integral_constantIbLb0EES1P_EEDaS1K_S1L_EUlS1K_E_NS1_11comp_targetILNS1_3genE5ELNS1_11target_archE942ELNS1_3gpuE9ELNS1_3repE0EEENS1_30default_config_static_selectorELNS0_4arch9wavefront6targetE0EEEvSY_: ; @_ZN7rocprim17ROCPRIM_400000_NS6detail17trampoline_kernelINS0_13select_configILj256ELj13ELNS0_17block_load_methodE3ELS4_3ELS4_3ELNS0_20block_scan_algorithmE0ELj4294967295EEENS1_25partition_config_selectorILNS1_17partition_subalgoE3EjNS0_10empty_typeEbEEZZNS1_14partition_implILS8_3ELb0ES6_jNS0_17counting_iteratorIjlEEPS9_SE_NS0_5tupleIJPjSE_EEENSF_IJSE_SE_EEES9_SG_JZNS1_25segmented_radix_sort_implINS0_14default_configELb1EPKsPsPKlPlN2at6native12_GLOBAL__N_18offset_tEEE10hipError_tPvRmT1_PNSt15iterator_traitsISY_E10value_typeET2_T3_PNSZ_IS14_E10value_typeET4_jRbjT5_S1A_jjP12ihipStream_tbEUljE_EEESV_SW_SX_S14_S18_S1A_T6_T7_T9_mT8_S1C_bDpT10_ENKUlT_T0_E_clISt17integral_constantIbLb0EES1P_EEDaS1K_S1L_EUlS1K_E_NS1_11comp_targetILNS1_3genE5ELNS1_11target_archE942ELNS1_3gpuE9ELNS1_3repE0EEENS1_30default_config_static_selectorELNS0_4arch9wavefront6targetE0EEEvSY_
; %bb.0:
	.section	.rodata,"a",@progbits
	.p2align	6, 0x0
	.amdhsa_kernel _ZN7rocprim17ROCPRIM_400000_NS6detail17trampoline_kernelINS0_13select_configILj256ELj13ELNS0_17block_load_methodE3ELS4_3ELS4_3ELNS0_20block_scan_algorithmE0ELj4294967295EEENS1_25partition_config_selectorILNS1_17partition_subalgoE3EjNS0_10empty_typeEbEEZZNS1_14partition_implILS8_3ELb0ES6_jNS0_17counting_iteratorIjlEEPS9_SE_NS0_5tupleIJPjSE_EEENSF_IJSE_SE_EEES9_SG_JZNS1_25segmented_radix_sort_implINS0_14default_configELb1EPKsPsPKlPlN2at6native12_GLOBAL__N_18offset_tEEE10hipError_tPvRmT1_PNSt15iterator_traitsISY_E10value_typeET2_T3_PNSZ_IS14_E10value_typeET4_jRbjT5_S1A_jjP12ihipStream_tbEUljE_EEESV_SW_SX_S14_S18_S1A_T6_T7_T9_mT8_S1C_bDpT10_ENKUlT_T0_E_clISt17integral_constantIbLb0EES1P_EEDaS1K_S1L_EUlS1K_E_NS1_11comp_targetILNS1_3genE5ELNS1_11target_archE942ELNS1_3gpuE9ELNS1_3repE0EEENS1_30default_config_static_selectorELNS0_4arch9wavefront6targetE0EEEvSY_
		.amdhsa_group_segment_fixed_size 0
		.amdhsa_private_segment_fixed_size 0
		.amdhsa_kernarg_size 144
		.amdhsa_user_sgpr_count 6
		.amdhsa_user_sgpr_private_segment_buffer 1
		.amdhsa_user_sgpr_dispatch_ptr 0
		.amdhsa_user_sgpr_queue_ptr 0
		.amdhsa_user_sgpr_kernarg_segment_ptr 1
		.amdhsa_user_sgpr_dispatch_id 0
		.amdhsa_user_sgpr_flat_scratch_init 0
		.amdhsa_user_sgpr_private_segment_size 0
		.amdhsa_wavefront_size32 1
		.amdhsa_uses_dynamic_stack 0
		.amdhsa_system_sgpr_private_segment_wavefront_offset 0
		.amdhsa_system_sgpr_workgroup_id_x 1
		.amdhsa_system_sgpr_workgroup_id_y 0
		.amdhsa_system_sgpr_workgroup_id_z 0
		.amdhsa_system_sgpr_workgroup_info 0
		.amdhsa_system_vgpr_workitem_id 0
		.amdhsa_next_free_vgpr 1
		.amdhsa_next_free_sgpr 1
		.amdhsa_reserve_vcc 0
		.amdhsa_reserve_flat_scratch 0
		.amdhsa_float_round_mode_32 0
		.amdhsa_float_round_mode_16_64 0
		.amdhsa_float_denorm_mode_32 3
		.amdhsa_float_denorm_mode_16_64 3
		.amdhsa_dx10_clamp 1
		.amdhsa_ieee_mode 1
		.amdhsa_fp16_overflow 0
		.amdhsa_workgroup_processor_mode 1
		.amdhsa_memory_ordered 1
		.amdhsa_forward_progress 1
		.amdhsa_shared_vgpr_count 0
		.amdhsa_exception_fp_ieee_invalid_op 0
		.amdhsa_exception_fp_denorm_src 0
		.amdhsa_exception_fp_ieee_div_zero 0
		.amdhsa_exception_fp_ieee_overflow 0
		.amdhsa_exception_fp_ieee_underflow 0
		.amdhsa_exception_fp_ieee_inexact 0
		.amdhsa_exception_int_div_zero 0
	.end_amdhsa_kernel
	.section	.text._ZN7rocprim17ROCPRIM_400000_NS6detail17trampoline_kernelINS0_13select_configILj256ELj13ELNS0_17block_load_methodE3ELS4_3ELS4_3ELNS0_20block_scan_algorithmE0ELj4294967295EEENS1_25partition_config_selectorILNS1_17partition_subalgoE3EjNS0_10empty_typeEbEEZZNS1_14partition_implILS8_3ELb0ES6_jNS0_17counting_iteratorIjlEEPS9_SE_NS0_5tupleIJPjSE_EEENSF_IJSE_SE_EEES9_SG_JZNS1_25segmented_radix_sort_implINS0_14default_configELb1EPKsPsPKlPlN2at6native12_GLOBAL__N_18offset_tEEE10hipError_tPvRmT1_PNSt15iterator_traitsISY_E10value_typeET2_T3_PNSZ_IS14_E10value_typeET4_jRbjT5_S1A_jjP12ihipStream_tbEUljE_EEESV_SW_SX_S14_S18_S1A_T6_T7_T9_mT8_S1C_bDpT10_ENKUlT_T0_E_clISt17integral_constantIbLb0EES1P_EEDaS1K_S1L_EUlS1K_E_NS1_11comp_targetILNS1_3genE5ELNS1_11target_archE942ELNS1_3gpuE9ELNS1_3repE0EEENS1_30default_config_static_selectorELNS0_4arch9wavefront6targetE0EEEvSY_,"axG",@progbits,_ZN7rocprim17ROCPRIM_400000_NS6detail17trampoline_kernelINS0_13select_configILj256ELj13ELNS0_17block_load_methodE3ELS4_3ELS4_3ELNS0_20block_scan_algorithmE0ELj4294967295EEENS1_25partition_config_selectorILNS1_17partition_subalgoE3EjNS0_10empty_typeEbEEZZNS1_14partition_implILS8_3ELb0ES6_jNS0_17counting_iteratorIjlEEPS9_SE_NS0_5tupleIJPjSE_EEENSF_IJSE_SE_EEES9_SG_JZNS1_25segmented_radix_sort_implINS0_14default_configELb1EPKsPsPKlPlN2at6native12_GLOBAL__N_18offset_tEEE10hipError_tPvRmT1_PNSt15iterator_traitsISY_E10value_typeET2_T3_PNSZ_IS14_E10value_typeET4_jRbjT5_S1A_jjP12ihipStream_tbEUljE_EEESV_SW_SX_S14_S18_S1A_T6_T7_T9_mT8_S1C_bDpT10_ENKUlT_T0_E_clISt17integral_constantIbLb0EES1P_EEDaS1K_S1L_EUlS1K_E_NS1_11comp_targetILNS1_3genE5ELNS1_11target_archE942ELNS1_3gpuE9ELNS1_3repE0EEENS1_30default_config_static_selectorELNS0_4arch9wavefront6targetE0EEEvSY_,comdat
.Lfunc_end874:
	.size	_ZN7rocprim17ROCPRIM_400000_NS6detail17trampoline_kernelINS0_13select_configILj256ELj13ELNS0_17block_load_methodE3ELS4_3ELS4_3ELNS0_20block_scan_algorithmE0ELj4294967295EEENS1_25partition_config_selectorILNS1_17partition_subalgoE3EjNS0_10empty_typeEbEEZZNS1_14partition_implILS8_3ELb0ES6_jNS0_17counting_iteratorIjlEEPS9_SE_NS0_5tupleIJPjSE_EEENSF_IJSE_SE_EEES9_SG_JZNS1_25segmented_radix_sort_implINS0_14default_configELb1EPKsPsPKlPlN2at6native12_GLOBAL__N_18offset_tEEE10hipError_tPvRmT1_PNSt15iterator_traitsISY_E10value_typeET2_T3_PNSZ_IS14_E10value_typeET4_jRbjT5_S1A_jjP12ihipStream_tbEUljE_EEESV_SW_SX_S14_S18_S1A_T6_T7_T9_mT8_S1C_bDpT10_ENKUlT_T0_E_clISt17integral_constantIbLb0EES1P_EEDaS1K_S1L_EUlS1K_E_NS1_11comp_targetILNS1_3genE5ELNS1_11target_archE942ELNS1_3gpuE9ELNS1_3repE0EEENS1_30default_config_static_selectorELNS0_4arch9wavefront6targetE0EEEvSY_, .Lfunc_end874-_ZN7rocprim17ROCPRIM_400000_NS6detail17trampoline_kernelINS0_13select_configILj256ELj13ELNS0_17block_load_methodE3ELS4_3ELS4_3ELNS0_20block_scan_algorithmE0ELj4294967295EEENS1_25partition_config_selectorILNS1_17partition_subalgoE3EjNS0_10empty_typeEbEEZZNS1_14partition_implILS8_3ELb0ES6_jNS0_17counting_iteratorIjlEEPS9_SE_NS0_5tupleIJPjSE_EEENSF_IJSE_SE_EEES9_SG_JZNS1_25segmented_radix_sort_implINS0_14default_configELb1EPKsPsPKlPlN2at6native12_GLOBAL__N_18offset_tEEE10hipError_tPvRmT1_PNSt15iterator_traitsISY_E10value_typeET2_T3_PNSZ_IS14_E10value_typeET4_jRbjT5_S1A_jjP12ihipStream_tbEUljE_EEESV_SW_SX_S14_S18_S1A_T6_T7_T9_mT8_S1C_bDpT10_ENKUlT_T0_E_clISt17integral_constantIbLb0EES1P_EEDaS1K_S1L_EUlS1K_E_NS1_11comp_targetILNS1_3genE5ELNS1_11target_archE942ELNS1_3gpuE9ELNS1_3repE0EEENS1_30default_config_static_selectorELNS0_4arch9wavefront6targetE0EEEvSY_
                                        ; -- End function
	.set _ZN7rocprim17ROCPRIM_400000_NS6detail17trampoline_kernelINS0_13select_configILj256ELj13ELNS0_17block_load_methodE3ELS4_3ELS4_3ELNS0_20block_scan_algorithmE0ELj4294967295EEENS1_25partition_config_selectorILNS1_17partition_subalgoE3EjNS0_10empty_typeEbEEZZNS1_14partition_implILS8_3ELb0ES6_jNS0_17counting_iteratorIjlEEPS9_SE_NS0_5tupleIJPjSE_EEENSF_IJSE_SE_EEES9_SG_JZNS1_25segmented_radix_sort_implINS0_14default_configELb1EPKsPsPKlPlN2at6native12_GLOBAL__N_18offset_tEEE10hipError_tPvRmT1_PNSt15iterator_traitsISY_E10value_typeET2_T3_PNSZ_IS14_E10value_typeET4_jRbjT5_S1A_jjP12ihipStream_tbEUljE_EEESV_SW_SX_S14_S18_S1A_T6_T7_T9_mT8_S1C_bDpT10_ENKUlT_T0_E_clISt17integral_constantIbLb0EES1P_EEDaS1K_S1L_EUlS1K_E_NS1_11comp_targetILNS1_3genE5ELNS1_11target_archE942ELNS1_3gpuE9ELNS1_3repE0EEENS1_30default_config_static_selectorELNS0_4arch9wavefront6targetE0EEEvSY_.num_vgpr, 0
	.set _ZN7rocprim17ROCPRIM_400000_NS6detail17trampoline_kernelINS0_13select_configILj256ELj13ELNS0_17block_load_methodE3ELS4_3ELS4_3ELNS0_20block_scan_algorithmE0ELj4294967295EEENS1_25partition_config_selectorILNS1_17partition_subalgoE3EjNS0_10empty_typeEbEEZZNS1_14partition_implILS8_3ELb0ES6_jNS0_17counting_iteratorIjlEEPS9_SE_NS0_5tupleIJPjSE_EEENSF_IJSE_SE_EEES9_SG_JZNS1_25segmented_radix_sort_implINS0_14default_configELb1EPKsPsPKlPlN2at6native12_GLOBAL__N_18offset_tEEE10hipError_tPvRmT1_PNSt15iterator_traitsISY_E10value_typeET2_T3_PNSZ_IS14_E10value_typeET4_jRbjT5_S1A_jjP12ihipStream_tbEUljE_EEESV_SW_SX_S14_S18_S1A_T6_T7_T9_mT8_S1C_bDpT10_ENKUlT_T0_E_clISt17integral_constantIbLb0EES1P_EEDaS1K_S1L_EUlS1K_E_NS1_11comp_targetILNS1_3genE5ELNS1_11target_archE942ELNS1_3gpuE9ELNS1_3repE0EEENS1_30default_config_static_selectorELNS0_4arch9wavefront6targetE0EEEvSY_.num_agpr, 0
	.set _ZN7rocprim17ROCPRIM_400000_NS6detail17trampoline_kernelINS0_13select_configILj256ELj13ELNS0_17block_load_methodE3ELS4_3ELS4_3ELNS0_20block_scan_algorithmE0ELj4294967295EEENS1_25partition_config_selectorILNS1_17partition_subalgoE3EjNS0_10empty_typeEbEEZZNS1_14partition_implILS8_3ELb0ES6_jNS0_17counting_iteratorIjlEEPS9_SE_NS0_5tupleIJPjSE_EEENSF_IJSE_SE_EEES9_SG_JZNS1_25segmented_radix_sort_implINS0_14default_configELb1EPKsPsPKlPlN2at6native12_GLOBAL__N_18offset_tEEE10hipError_tPvRmT1_PNSt15iterator_traitsISY_E10value_typeET2_T3_PNSZ_IS14_E10value_typeET4_jRbjT5_S1A_jjP12ihipStream_tbEUljE_EEESV_SW_SX_S14_S18_S1A_T6_T7_T9_mT8_S1C_bDpT10_ENKUlT_T0_E_clISt17integral_constantIbLb0EES1P_EEDaS1K_S1L_EUlS1K_E_NS1_11comp_targetILNS1_3genE5ELNS1_11target_archE942ELNS1_3gpuE9ELNS1_3repE0EEENS1_30default_config_static_selectorELNS0_4arch9wavefront6targetE0EEEvSY_.numbered_sgpr, 0
	.set _ZN7rocprim17ROCPRIM_400000_NS6detail17trampoline_kernelINS0_13select_configILj256ELj13ELNS0_17block_load_methodE3ELS4_3ELS4_3ELNS0_20block_scan_algorithmE0ELj4294967295EEENS1_25partition_config_selectorILNS1_17partition_subalgoE3EjNS0_10empty_typeEbEEZZNS1_14partition_implILS8_3ELb0ES6_jNS0_17counting_iteratorIjlEEPS9_SE_NS0_5tupleIJPjSE_EEENSF_IJSE_SE_EEES9_SG_JZNS1_25segmented_radix_sort_implINS0_14default_configELb1EPKsPsPKlPlN2at6native12_GLOBAL__N_18offset_tEEE10hipError_tPvRmT1_PNSt15iterator_traitsISY_E10value_typeET2_T3_PNSZ_IS14_E10value_typeET4_jRbjT5_S1A_jjP12ihipStream_tbEUljE_EEESV_SW_SX_S14_S18_S1A_T6_T7_T9_mT8_S1C_bDpT10_ENKUlT_T0_E_clISt17integral_constantIbLb0EES1P_EEDaS1K_S1L_EUlS1K_E_NS1_11comp_targetILNS1_3genE5ELNS1_11target_archE942ELNS1_3gpuE9ELNS1_3repE0EEENS1_30default_config_static_selectorELNS0_4arch9wavefront6targetE0EEEvSY_.num_named_barrier, 0
	.set _ZN7rocprim17ROCPRIM_400000_NS6detail17trampoline_kernelINS0_13select_configILj256ELj13ELNS0_17block_load_methodE3ELS4_3ELS4_3ELNS0_20block_scan_algorithmE0ELj4294967295EEENS1_25partition_config_selectorILNS1_17partition_subalgoE3EjNS0_10empty_typeEbEEZZNS1_14partition_implILS8_3ELb0ES6_jNS0_17counting_iteratorIjlEEPS9_SE_NS0_5tupleIJPjSE_EEENSF_IJSE_SE_EEES9_SG_JZNS1_25segmented_radix_sort_implINS0_14default_configELb1EPKsPsPKlPlN2at6native12_GLOBAL__N_18offset_tEEE10hipError_tPvRmT1_PNSt15iterator_traitsISY_E10value_typeET2_T3_PNSZ_IS14_E10value_typeET4_jRbjT5_S1A_jjP12ihipStream_tbEUljE_EEESV_SW_SX_S14_S18_S1A_T6_T7_T9_mT8_S1C_bDpT10_ENKUlT_T0_E_clISt17integral_constantIbLb0EES1P_EEDaS1K_S1L_EUlS1K_E_NS1_11comp_targetILNS1_3genE5ELNS1_11target_archE942ELNS1_3gpuE9ELNS1_3repE0EEENS1_30default_config_static_selectorELNS0_4arch9wavefront6targetE0EEEvSY_.private_seg_size, 0
	.set _ZN7rocprim17ROCPRIM_400000_NS6detail17trampoline_kernelINS0_13select_configILj256ELj13ELNS0_17block_load_methodE3ELS4_3ELS4_3ELNS0_20block_scan_algorithmE0ELj4294967295EEENS1_25partition_config_selectorILNS1_17partition_subalgoE3EjNS0_10empty_typeEbEEZZNS1_14partition_implILS8_3ELb0ES6_jNS0_17counting_iteratorIjlEEPS9_SE_NS0_5tupleIJPjSE_EEENSF_IJSE_SE_EEES9_SG_JZNS1_25segmented_radix_sort_implINS0_14default_configELb1EPKsPsPKlPlN2at6native12_GLOBAL__N_18offset_tEEE10hipError_tPvRmT1_PNSt15iterator_traitsISY_E10value_typeET2_T3_PNSZ_IS14_E10value_typeET4_jRbjT5_S1A_jjP12ihipStream_tbEUljE_EEESV_SW_SX_S14_S18_S1A_T6_T7_T9_mT8_S1C_bDpT10_ENKUlT_T0_E_clISt17integral_constantIbLb0EES1P_EEDaS1K_S1L_EUlS1K_E_NS1_11comp_targetILNS1_3genE5ELNS1_11target_archE942ELNS1_3gpuE9ELNS1_3repE0EEENS1_30default_config_static_selectorELNS0_4arch9wavefront6targetE0EEEvSY_.uses_vcc, 0
	.set _ZN7rocprim17ROCPRIM_400000_NS6detail17trampoline_kernelINS0_13select_configILj256ELj13ELNS0_17block_load_methodE3ELS4_3ELS4_3ELNS0_20block_scan_algorithmE0ELj4294967295EEENS1_25partition_config_selectorILNS1_17partition_subalgoE3EjNS0_10empty_typeEbEEZZNS1_14partition_implILS8_3ELb0ES6_jNS0_17counting_iteratorIjlEEPS9_SE_NS0_5tupleIJPjSE_EEENSF_IJSE_SE_EEES9_SG_JZNS1_25segmented_radix_sort_implINS0_14default_configELb1EPKsPsPKlPlN2at6native12_GLOBAL__N_18offset_tEEE10hipError_tPvRmT1_PNSt15iterator_traitsISY_E10value_typeET2_T3_PNSZ_IS14_E10value_typeET4_jRbjT5_S1A_jjP12ihipStream_tbEUljE_EEESV_SW_SX_S14_S18_S1A_T6_T7_T9_mT8_S1C_bDpT10_ENKUlT_T0_E_clISt17integral_constantIbLb0EES1P_EEDaS1K_S1L_EUlS1K_E_NS1_11comp_targetILNS1_3genE5ELNS1_11target_archE942ELNS1_3gpuE9ELNS1_3repE0EEENS1_30default_config_static_selectorELNS0_4arch9wavefront6targetE0EEEvSY_.uses_flat_scratch, 0
	.set _ZN7rocprim17ROCPRIM_400000_NS6detail17trampoline_kernelINS0_13select_configILj256ELj13ELNS0_17block_load_methodE3ELS4_3ELS4_3ELNS0_20block_scan_algorithmE0ELj4294967295EEENS1_25partition_config_selectorILNS1_17partition_subalgoE3EjNS0_10empty_typeEbEEZZNS1_14partition_implILS8_3ELb0ES6_jNS0_17counting_iteratorIjlEEPS9_SE_NS0_5tupleIJPjSE_EEENSF_IJSE_SE_EEES9_SG_JZNS1_25segmented_radix_sort_implINS0_14default_configELb1EPKsPsPKlPlN2at6native12_GLOBAL__N_18offset_tEEE10hipError_tPvRmT1_PNSt15iterator_traitsISY_E10value_typeET2_T3_PNSZ_IS14_E10value_typeET4_jRbjT5_S1A_jjP12ihipStream_tbEUljE_EEESV_SW_SX_S14_S18_S1A_T6_T7_T9_mT8_S1C_bDpT10_ENKUlT_T0_E_clISt17integral_constantIbLb0EES1P_EEDaS1K_S1L_EUlS1K_E_NS1_11comp_targetILNS1_3genE5ELNS1_11target_archE942ELNS1_3gpuE9ELNS1_3repE0EEENS1_30default_config_static_selectorELNS0_4arch9wavefront6targetE0EEEvSY_.has_dyn_sized_stack, 0
	.set _ZN7rocprim17ROCPRIM_400000_NS6detail17trampoline_kernelINS0_13select_configILj256ELj13ELNS0_17block_load_methodE3ELS4_3ELS4_3ELNS0_20block_scan_algorithmE0ELj4294967295EEENS1_25partition_config_selectorILNS1_17partition_subalgoE3EjNS0_10empty_typeEbEEZZNS1_14partition_implILS8_3ELb0ES6_jNS0_17counting_iteratorIjlEEPS9_SE_NS0_5tupleIJPjSE_EEENSF_IJSE_SE_EEES9_SG_JZNS1_25segmented_radix_sort_implINS0_14default_configELb1EPKsPsPKlPlN2at6native12_GLOBAL__N_18offset_tEEE10hipError_tPvRmT1_PNSt15iterator_traitsISY_E10value_typeET2_T3_PNSZ_IS14_E10value_typeET4_jRbjT5_S1A_jjP12ihipStream_tbEUljE_EEESV_SW_SX_S14_S18_S1A_T6_T7_T9_mT8_S1C_bDpT10_ENKUlT_T0_E_clISt17integral_constantIbLb0EES1P_EEDaS1K_S1L_EUlS1K_E_NS1_11comp_targetILNS1_3genE5ELNS1_11target_archE942ELNS1_3gpuE9ELNS1_3repE0EEENS1_30default_config_static_selectorELNS0_4arch9wavefront6targetE0EEEvSY_.has_recursion, 0
	.set _ZN7rocprim17ROCPRIM_400000_NS6detail17trampoline_kernelINS0_13select_configILj256ELj13ELNS0_17block_load_methodE3ELS4_3ELS4_3ELNS0_20block_scan_algorithmE0ELj4294967295EEENS1_25partition_config_selectorILNS1_17partition_subalgoE3EjNS0_10empty_typeEbEEZZNS1_14partition_implILS8_3ELb0ES6_jNS0_17counting_iteratorIjlEEPS9_SE_NS0_5tupleIJPjSE_EEENSF_IJSE_SE_EEES9_SG_JZNS1_25segmented_radix_sort_implINS0_14default_configELb1EPKsPsPKlPlN2at6native12_GLOBAL__N_18offset_tEEE10hipError_tPvRmT1_PNSt15iterator_traitsISY_E10value_typeET2_T3_PNSZ_IS14_E10value_typeET4_jRbjT5_S1A_jjP12ihipStream_tbEUljE_EEESV_SW_SX_S14_S18_S1A_T6_T7_T9_mT8_S1C_bDpT10_ENKUlT_T0_E_clISt17integral_constantIbLb0EES1P_EEDaS1K_S1L_EUlS1K_E_NS1_11comp_targetILNS1_3genE5ELNS1_11target_archE942ELNS1_3gpuE9ELNS1_3repE0EEENS1_30default_config_static_selectorELNS0_4arch9wavefront6targetE0EEEvSY_.has_indirect_call, 0
	.section	.AMDGPU.csdata,"",@progbits
; Kernel info:
; codeLenInByte = 0
; TotalNumSgprs: 0
; NumVgprs: 0
; ScratchSize: 0
; MemoryBound: 0
; FloatMode: 240
; IeeeMode: 1
; LDSByteSize: 0 bytes/workgroup (compile time only)
; SGPRBlocks: 0
; VGPRBlocks: 0
; NumSGPRsForWavesPerEU: 1
; NumVGPRsForWavesPerEU: 1
; Occupancy: 16
; WaveLimiterHint : 0
; COMPUTE_PGM_RSRC2:SCRATCH_EN: 0
; COMPUTE_PGM_RSRC2:USER_SGPR: 6
; COMPUTE_PGM_RSRC2:TRAP_HANDLER: 0
; COMPUTE_PGM_RSRC2:TGID_X_EN: 1
; COMPUTE_PGM_RSRC2:TGID_Y_EN: 0
; COMPUTE_PGM_RSRC2:TGID_Z_EN: 0
; COMPUTE_PGM_RSRC2:TIDIG_COMP_CNT: 0
	.section	.text._ZN7rocprim17ROCPRIM_400000_NS6detail17trampoline_kernelINS0_13select_configILj256ELj13ELNS0_17block_load_methodE3ELS4_3ELS4_3ELNS0_20block_scan_algorithmE0ELj4294967295EEENS1_25partition_config_selectorILNS1_17partition_subalgoE3EjNS0_10empty_typeEbEEZZNS1_14partition_implILS8_3ELb0ES6_jNS0_17counting_iteratorIjlEEPS9_SE_NS0_5tupleIJPjSE_EEENSF_IJSE_SE_EEES9_SG_JZNS1_25segmented_radix_sort_implINS0_14default_configELb1EPKsPsPKlPlN2at6native12_GLOBAL__N_18offset_tEEE10hipError_tPvRmT1_PNSt15iterator_traitsISY_E10value_typeET2_T3_PNSZ_IS14_E10value_typeET4_jRbjT5_S1A_jjP12ihipStream_tbEUljE_EEESV_SW_SX_S14_S18_S1A_T6_T7_T9_mT8_S1C_bDpT10_ENKUlT_T0_E_clISt17integral_constantIbLb0EES1P_EEDaS1K_S1L_EUlS1K_E_NS1_11comp_targetILNS1_3genE4ELNS1_11target_archE910ELNS1_3gpuE8ELNS1_3repE0EEENS1_30default_config_static_selectorELNS0_4arch9wavefront6targetE0EEEvSY_,"axG",@progbits,_ZN7rocprim17ROCPRIM_400000_NS6detail17trampoline_kernelINS0_13select_configILj256ELj13ELNS0_17block_load_methodE3ELS4_3ELS4_3ELNS0_20block_scan_algorithmE0ELj4294967295EEENS1_25partition_config_selectorILNS1_17partition_subalgoE3EjNS0_10empty_typeEbEEZZNS1_14partition_implILS8_3ELb0ES6_jNS0_17counting_iteratorIjlEEPS9_SE_NS0_5tupleIJPjSE_EEENSF_IJSE_SE_EEES9_SG_JZNS1_25segmented_radix_sort_implINS0_14default_configELb1EPKsPsPKlPlN2at6native12_GLOBAL__N_18offset_tEEE10hipError_tPvRmT1_PNSt15iterator_traitsISY_E10value_typeET2_T3_PNSZ_IS14_E10value_typeET4_jRbjT5_S1A_jjP12ihipStream_tbEUljE_EEESV_SW_SX_S14_S18_S1A_T6_T7_T9_mT8_S1C_bDpT10_ENKUlT_T0_E_clISt17integral_constantIbLb0EES1P_EEDaS1K_S1L_EUlS1K_E_NS1_11comp_targetILNS1_3genE4ELNS1_11target_archE910ELNS1_3gpuE8ELNS1_3repE0EEENS1_30default_config_static_selectorELNS0_4arch9wavefront6targetE0EEEvSY_,comdat
	.globl	_ZN7rocprim17ROCPRIM_400000_NS6detail17trampoline_kernelINS0_13select_configILj256ELj13ELNS0_17block_load_methodE3ELS4_3ELS4_3ELNS0_20block_scan_algorithmE0ELj4294967295EEENS1_25partition_config_selectorILNS1_17partition_subalgoE3EjNS0_10empty_typeEbEEZZNS1_14partition_implILS8_3ELb0ES6_jNS0_17counting_iteratorIjlEEPS9_SE_NS0_5tupleIJPjSE_EEENSF_IJSE_SE_EEES9_SG_JZNS1_25segmented_radix_sort_implINS0_14default_configELb1EPKsPsPKlPlN2at6native12_GLOBAL__N_18offset_tEEE10hipError_tPvRmT1_PNSt15iterator_traitsISY_E10value_typeET2_T3_PNSZ_IS14_E10value_typeET4_jRbjT5_S1A_jjP12ihipStream_tbEUljE_EEESV_SW_SX_S14_S18_S1A_T6_T7_T9_mT8_S1C_bDpT10_ENKUlT_T0_E_clISt17integral_constantIbLb0EES1P_EEDaS1K_S1L_EUlS1K_E_NS1_11comp_targetILNS1_3genE4ELNS1_11target_archE910ELNS1_3gpuE8ELNS1_3repE0EEENS1_30default_config_static_selectorELNS0_4arch9wavefront6targetE0EEEvSY_ ; -- Begin function _ZN7rocprim17ROCPRIM_400000_NS6detail17trampoline_kernelINS0_13select_configILj256ELj13ELNS0_17block_load_methodE3ELS4_3ELS4_3ELNS0_20block_scan_algorithmE0ELj4294967295EEENS1_25partition_config_selectorILNS1_17partition_subalgoE3EjNS0_10empty_typeEbEEZZNS1_14partition_implILS8_3ELb0ES6_jNS0_17counting_iteratorIjlEEPS9_SE_NS0_5tupleIJPjSE_EEENSF_IJSE_SE_EEES9_SG_JZNS1_25segmented_radix_sort_implINS0_14default_configELb1EPKsPsPKlPlN2at6native12_GLOBAL__N_18offset_tEEE10hipError_tPvRmT1_PNSt15iterator_traitsISY_E10value_typeET2_T3_PNSZ_IS14_E10value_typeET4_jRbjT5_S1A_jjP12ihipStream_tbEUljE_EEESV_SW_SX_S14_S18_S1A_T6_T7_T9_mT8_S1C_bDpT10_ENKUlT_T0_E_clISt17integral_constantIbLb0EES1P_EEDaS1K_S1L_EUlS1K_E_NS1_11comp_targetILNS1_3genE4ELNS1_11target_archE910ELNS1_3gpuE8ELNS1_3repE0EEENS1_30default_config_static_selectorELNS0_4arch9wavefront6targetE0EEEvSY_
	.p2align	8
	.type	_ZN7rocprim17ROCPRIM_400000_NS6detail17trampoline_kernelINS0_13select_configILj256ELj13ELNS0_17block_load_methodE3ELS4_3ELS4_3ELNS0_20block_scan_algorithmE0ELj4294967295EEENS1_25partition_config_selectorILNS1_17partition_subalgoE3EjNS0_10empty_typeEbEEZZNS1_14partition_implILS8_3ELb0ES6_jNS0_17counting_iteratorIjlEEPS9_SE_NS0_5tupleIJPjSE_EEENSF_IJSE_SE_EEES9_SG_JZNS1_25segmented_radix_sort_implINS0_14default_configELb1EPKsPsPKlPlN2at6native12_GLOBAL__N_18offset_tEEE10hipError_tPvRmT1_PNSt15iterator_traitsISY_E10value_typeET2_T3_PNSZ_IS14_E10value_typeET4_jRbjT5_S1A_jjP12ihipStream_tbEUljE_EEESV_SW_SX_S14_S18_S1A_T6_T7_T9_mT8_S1C_bDpT10_ENKUlT_T0_E_clISt17integral_constantIbLb0EES1P_EEDaS1K_S1L_EUlS1K_E_NS1_11comp_targetILNS1_3genE4ELNS1_11target_archE910ELNS1_3gpuE8ELNS1_3repE0EEENS1_30default_config_static_selectorELNS0_4arch9wavefront6targetE0EEEvSY_,@function
_ZN7rocprim17ROCPRIM_400000_NS6detail17trampoline_kernelINS0_13select_configILj256ELj13ELNS0_17block_load_methodE3ELS4_3ELS4_3ELNS0_20block_scan_algorithmE0ELj4294967295EEENS1_25partition_config_selectorILNS1_17partition_subalgoE3EjNS0_10empty_typeEbEEZZNS1_14partition_implILS8_3ELb0ES6_jNS0_17counting_iteratorIjlEEPS9_SE_NS0_5tupleIJPjSE_EEENSF_IJSE_SE_EEES9_SG_JZNS1_25segmented_radix_sort_implINS0_14default_configELb1EPKsPsPKlPlN2at6native12_GLOBAL__N_18offset_tEEE10hipError_tPvRmT1_PNSt15iterator_traitsISY_E10value_typeET2_T3_PNSZ_IS14_E10value_typeET4_jRbjT5_S1A_jjP12ihipStream_tbEUljE_EEESV_SW_SX_S14_S18_S1A_T6_T7_T9_mT8_S1C_bDpT10_ENKUlT_T0_E_clISt17integral_constantIbLb0EES1P_EEDaS1K_S1L_EUlS1K_E_NS1_11comp_targetILNS1_3genE4ELNS1_11target_archE910ELNS1_3gpuE8ELNS1_3repE0EEENS1_30default_config_static_selectorELNS0_4arch9wavefront6targetE0EEEvSY_: ; @_ZN7rocprim17ROCPRIM_400000_NS6detail17trampoline_kernelINS0_13select_configILj256ELj13ELNS0_17block_load_methodE3ELS4_3ELS4_3ELNS0_20block_scan_algorithmE0ELj4294967295EEENS1_25partition_config_selectorILNS1_17partition_subalgoE3EjNS0_10empty_typeEbEEZZNS1_14partition_implILS8_3ELb0ES6_jNS0_17counting_iteratorIjlEEPS9_SE_NS0_5tupleIJPjSE_EEENSF_IJSE_SE_EEES9_SG_JZNS1_25segmented_radix_sort_implINS0_14default_configELb1EPKsPsPKlPlN2at6native12_GLOBAL__N_18offset_tEEE10hipError_tPvRmT1_PNSt15iterator_traitsISY_E10value_typeET2_T3_PNSZ_IS14_E10value_typeET4_jRbjT5_S1A_jjP12ihipStream_tbEUljE_EEESV_SW_SX_S14_S18_S1A_T6_T7_T9_mT8_S1C_bDpT10_ENKUlT_T0_E_clISt17integral_constantIbLb0EES1P_EEDaS1K_S1L_EUlS1K_E_NS1_11comp_targetILNS1_3genE4ELNS1_11target_archE910ELNS1_3gpuE8ELNS1_3repE0EEENS1_30default_config_static_selectorELNS0_4arch9wavefront6targetE0EEEvSY_
; %bb.0:
	.section	.rodata,"a",@progbits
	.p2align	6, 0x0
	.amdhsa_kernel _ZN7rocprim17ROCPRIM_400000_NS6detail17trampoline_kernelINS0_13select_configILj256ELj13ELNS0_17block_load_methodE3ELS4_3ELS4_3ELNS0_20block_scan_algorithmE0ELj4294967295EEENS1_25partition_config_selectorILNS1_17partition_subalgoE3EjNS0_10empty_typeEbEEZZNS1_14partition_implILS8_3ELb0ES6_jNS0_17counting_iteratorIjlEEPS9_SE_NS0_5tupleIJPjSE_EEENSF_IJSE_SE_EEES9_SG_JZNS1_25segmented_radix_sort_implINS0_14default_configELb1EPKsPsPKlPlN2at6native12_GLOBAL__N_18offset_tEEE10hipError_tPvRmT1_PNSt15iterator_traitsISY_E10value_typeET2_T3_PNSZ_IS14_E10value_typeET4_jRbjT5_S1A_jjP12ihipStream_tbEUljE_EEESV_SW_SX_S14_S18_S1A_T6_T7_T9_mT8_S1C_bDpT10_ENKUlT_T0_E_clISt17integral_constantIbLb0EES1P_EEDaS1K_S1L_EUlS1K_E_NS1_11comp_targetILNS1_3genE4ELNS1_11target_archE910ELNS1_3gpuE8ELNS1_3repE0EEENS1_30default_config_static_selectorELNS0_4arch9wavefront6targetE0EEEvSY_
		.amdhsa_group_segment_fixed_size 0
		.amdhsa_private_segment_fixed_size 0
		.amdhsa_kernarg_size 144
		.amdhsa_user_sgpr_count 6
		.amdhsa_user_sgpr_private_segment_buffer 1
		.amdhsa_user_sgpr_dispatch_ptr 0
		.amdhsa_user_sgpr_queue_ptr 0
		.amdhsa_user_sgpr_kernarg_segment_ptr 1
		.amdhsa_user_sgpr_dispatch_id 0
		.amdhsa_user_sgpr_flat_scratch_init 0
		.amdhsa_user_sgpr_private_segment_size 0
		.amdhsa_wavefront_size32 1
		.amdhsa_uses_dynamic_stack 0
		.amdhsa_system_sgpr_private_segment_wavefront_offset 0
		.amdhsa_system_sgpr_workgroup_id_x 1
		.amdhsa_system_sgpr_workgroup_id_y 0
		.amdhsa_system_sgpr_workgroup_id_z 0
		.amdhsa_system_sgpr_workgroup_info 0
		.amdhsa_system_vgpr_workitem_id 0
		.amdhsa_next_free_vgpr 1
		.amdhsa_next_free_sgpr 1
		.amdhsa_reserve_vcc 0
		.amdhsa_reserve_flat_scratch 0
		.amdhsa_float_round_mode_32 0
		.amdhsa_float_round_mode_16_64 0
		.amdhsa_float_denorm_mode_32 3
		.amdhsa_float_denorm_mode_16_64 3
		.amdhsa_dx10_clamp 1
		.amdhsa_ieee_mode 1
		.amdhsa_fp16_overflow 0
		.amdhsa_workgroup_processor_mode 1
		.amdhsa_memory_ordered 1
		.amdhsa_forward_progress 1
		.amdhsa_shared_vgpr_count 0
		.amdhsa_exception_fp_ieee_invalid_op 0
		.amdhsa_exception_fp_denorm_src 0
		.amdhsa_exception_fp_ieee_div_zero 0
		.amdhsa_exception_fp_ieee_overflow 0
		.amdhsa_exception_fp_ieee_underflow 0
		.amdhsa_exception_fp_ieee_inexact 0
		.amdhsa_exception_int_div_zero 0
	.end_amdhsa_kernel
	.section	.text._ZN7rocprim17ROCPRIM_400000_NS6detail17trampoline_kernelINS0_13select_configILj256ELj13ELNS0_17block_load_methodE3ELS4_3ELS4_3ELNS0_20block_scan_algorithmE0ELj4294967295EEENS1_25partition_config_selectorILNS1_17partition_subalgoE3EjNS0_10empty_typeEbEEZZNS1_14partition_implILS8_3ELb0ES6_jNS0_17counting_iteratorIjlEEPS9_SE_NS0_5tupleIJPjSE_EEENSF_IJSE_SE_EEES9_SG_JZNS1_25segmented_radix_sort_implINS0_14default_configELb1EPKsPsPKlPlN2at6native12_GLOBAL__N_18offset_tEEE10hipError_tPvRmT1_PNSt15iterator_traitsISY_E10value_typeET2_T3_PNSZ_IS14_E10value_typeET4_jRbjT5_S1A_jjP12ihipStream_tbEUljE_EEESV_SW_SX_S14_S18_S1A_T6_T7_T9_mT8_S1C_bDpT10_ENKUlT_T0_E_clISt17integral_constantIbLb0EES1P_EEDaS1K_S1L_EUlS1K_E_NS1_11comp_targetILNS1_3genE4ELNS1_11target_archE910ELNS1_3gpuE8ELNS1_3repE0EEENS1_30default_config_static_selectorELNS0_4arch9wavefront6targetE0EEEvSY_,"axG",@progbits,_ZN7rocprim17ROCPRIM_400000_NS6detail17trampoline_kernelINS0_13select_configILj256ELj13ELNS0_17block_load_methodE3ELS4_3ELS4_3ELNS0_20block_scan_algorithmE0ELj4294967295EEENS1_25partition_config_selectorILNS1_17partition_subalgoE3EjNS0_10empty_typeEbEEZZNS1_14partition_implILS8_3ELb0ES6_jNS0_17counting_iteratorIjlEEPS9_SE_NS0_5tupleIJPjSE_EEENSF_IJSE_SE_EEES9_SG_JZNS1_25segmented_radix_sort_implINS0_14default_configELb1EPKsPsPKlPlN2at6native12_GLOBAL__N_18offset_tEEE10hipError_tPvRmT1_PNSt15iterator_traitsISY_E10value_typeET2_T3_PNSZ_IS14_E10value_typeET4_jRbjT5_S1A_jjP12ihipStream_tbEUljE_EEESV_SW_SX_S14_S18_S1A_T6_T7_T9_mT8_S1C_bDpT10_ENKUlT_T0_E_clISt17integral_constantIbLb0EES1P_EEDaS1K_S1L_EUlS1K_E_NS1_11comp_targetILNS1_3genE4ELNS1_11target_archE910ELNS1_3gpuE8ELNS1_3repE0EEENS1_30default_config_static_selectorELNS0_4arch9wavefront6targetE0EEEvSY_,comdat
.Lfunc_end875:
	.size	_ZN7rocprim17ROCPRIM_400000_NS6detail17trampoline_kernelINS0_13select_configILj256ELj13ELNS0_17block_load_methodE3ELS4_3ELS4_3ELNS0_20block_scan_algorithmE0ELj4294967295EEENS1_25partition_config_selectorILNS1_17partition_subalgoE3EjNS0_10empty_typeEbEEZZNS1_14partition_implILS8_3ELb0ES6_jNS0_17counting_iteratorIjlEEPS9_SE_NS0_5tupleIJPjSE_EEENSF_IJSE_SE_EEES9_SG_JZNS1_25segmented_radix_sort_implINS0_14default_configELb1EPKsPsPKlPlN2at6native12_GLOBAL__N_18offset_tEEE10hipError_tPvRmT1_PNSt15iterator_traitsISY_E10value_typeET2_T3_PNSZ_IS14_E10value_typeET4_jRbjT5_S1A_jjP12ihipStream_tbEUljE_EEESV_SW_SX_S14_S18_S1A_T6_T7_T9_mT8_S1C_bDpT10_ENKUlT_T0_E_clISt17integral_constantIbLb0EES1P_EEDaS1K_S1L_EUlS1K_E_NS1_11comp_targetILNS1_3genE4ELNS1_11target_archE910ELNS1_3gpuE8ELNS1_3repE0EEENS1_30default_config_static_selectorELNS0_4arch9wavefront6targetE0EEEvSY_, .Lfunc_end875-_ZN7rocprim17ROCPRIM_400000_NS6detail17trampoline_kernelINS0_13select_configILj256ELj13ELNS0_17block_load_methodE3ELS4_3ELS4_3ELNS0_20block_scan_algorithmE0ELj4294967295EEENS1_25partition_config_selectorILNS1_17partition_subalgoE3EjNS0_10empty_typeEbEEZZNS1_14partition_implILS8_3ELb0ES6_jNS0_17counting_iteratorIjlEEPS9_SE_NS0_5tupleIJPjSE_EEENSF_IJSE_SE_EEES9_SG_JZNS1_25segmented_radix_sort_implINS0_14default_configELb1EPKsPsPKlPlN2at6native12_GLOBAL__N_18offset_tEEE10hipError_tPvRmT1_PNSt15iterator_traitsISY_E10value_typeET2_T3_PNSZ_IS14_E10value_typeET4_jRbjT5_S1A_jjP12ihipStream_tbEUljE_EEESV_SW_SX_S14_S18_S1A_T6_T7_T9_mT8_S1C_bDpT10_ENKUlT_T0_E_clISt17integral_constantIbLb0EES1P_EEDaS1K_S1L_EUlS1K_E_NS1_11comp_targetILNS1_3genE4ELNS1_11target_archE910ELNS1_3gpuE8ELNS1_3repE0EEENS1_30default_config_static_selectorELNS0_4arch9wavefront6targetE0EEEvSY_
                                        ; -- End function
	.set _ZN7rocprim17ROCPRIM_400000_NS6detail17trampoline_kernelINS0_13select_configILj256ELj13ELNS0_17block_load_methodE3ELS4_3ELS4_3ELNS0_20block_scan_algorithmE0ELj4294967295EEENS1_25partition_config_selectorILNS1_17partition_subalgoE3EjNS0_10empty_typeEbEEZZNS1_14partition_implILS8_3ELb0ES6_jNS0_17counting_iteratorIjlEEPS9_SE_NS0_5tupleIJPjSE_EEENSF_IJSE_SE_EEES9_SG_JZNS1_25segmented_radix_sort_implINS0_14default_configELb1EPKsPsPKlPlN2at6native12_GLOBAL__N_18offset_tEEE10hipError_tPvRmT1_PNSt15iterator_traitsISY_E10value_typeET2_T3_PNSZ_IS14_E10value_typeET4_jRbjT5_S1A_jjP12ihipStream_tbEUljE_EEESV_SW_SX_S14_S18_S1A_T6_T7_T9_mT8_S1C_bDpT10_ENKUlT_T0_E_clISt17integral_constantIbLb0EES1P_EEDaS1K_S1L_EUlS1K_E_NS1_11comp_targetILNS1_3genE4ELNS1_11target_archE910ELNS1_3gpuE8ELNS1_3repE0EEENS1_30default_config_static_selectorELNS0_4arch9wavefront6targetE0EEEvSY_.num_vgpr, 0
	.set _ZN7rocprim17ROCPRIM_400000_NS6detail17trampoline_kernelINS0_13select_configILj256ELj13ELNS0_17block_load_methodE3ELS4_3ELS4_3ELNS0_20block_scan_algorithmE0ELj4294967295EEENS1_25partition_config_selectorILNS1_17partition_subalgoE3EjNS0_10empty_typeEbEEZZNS1_14partition_implILS8_3ELb0ES6_jNS0_17counting_iteratorIjlEEPS9_SE_NS0_5tupleIJPjSE_EEENSF_IJSE_SE_EEES9_SG_JZNS1_25segmented_radix_sort_implINS0_14default_configELb1EPKsPsPKlPlN2at6native12_GLOBAL__N_18offset_tEEE10hipError_tPvRmT1_PNSt15iterator_traitsISY_E10value_typeET2_T3_PNSZ_IS14_E10value_typeET4_jRbjT5_S1A_jjP12ihipStream_tbEUljE_EEESV_SW_SX_S14_S18_S1A_T6_T7_T9_mT8_S1C_bDpT10_ENKUlT_T0_E_clISt17integral_constantIbLb0EES1P_EEDaS1K_S1L_EUlS1K_E_NS1_11comp_targetILNS1_3genE4ELNS1_11target_archE910ELNS1_3gpuE8ELNS1_3repE0EEENS1_30default_config_static_selectorELNS0_4arch9wavefront6targetE0EEEvSY_.num_agpr, 0
	.set _ZN7rocprim17ROCPRIM_400000_NS6detail17trampoline_kernelINS0_13select_configILj256ELj13ELNS0_17block_load_methodE3ELS4_3ELS4_3ELNS0_20block_scan_algorithmE0ELj4294967295EEENS1_25partition_config_selectorILNS1_17partition_subalgoE3EjNS0_10empty_typeEbEEZZNS1_14partition_implILS8_3ELb0ES6_jNS0_17counting_iteratorIjlEEPS9_SE_NS0_5tupleIJPjSE_EEENSF_IJSE_SE_EEES9_SG_JZNS1_25segmented_radix_sort_implINS0_14default_configELb1EPKsPsPKlPlN2at6native12_GLOBAL__N_18offset_tEEE10hipError_tPvRmT1_PNSt15iterator_traitsISY_E10value_typeET2_T3_PNSZ_IS14_E10value_typeET4_jRbjT5_S1A_jjP12ihipStream_tbEUljE_EEESV_SW_SX_S14_S18_S1A_T6_T7_T9_mT8_S1C_bDpT10_ENKUlT_T0_E_clISt17integral_constantIbLb0EES1P_EEDaS1K_S1L_EUlS1K_E_NS1_11comp_targetILNS1_3genE4ELNS1_11target_archE910ELNS1_3gpuE8ELNS1_3repE0EEENS1_30default_config_static_selectorELNS0_4arch9wavefront6targetE0EEEvSY_.numbered_sgpr, 0
	.set _ZN7rocprim17ROCPRIM_400000_NS6detail17trampoline_kernelINS0_13select_configILj256ELj13ELNS0_17block_load_methodE3ELS4_3ELS4_3ELNS0_20block_scan_algorithmE0ELj4294967295EEENS1_25partition_config_selectorILNS1_17partition_subalgoE3EjNS0_10empty_typeEbEEZZNS1_14partition_implILS8_3ELb0ES6_jNS0_17counting_iteratorIjlEEPS9_SE_NS0_5tupleIJPjSE_EEENSF_IJSE_SE_EEES9_SG_JZNS1_25segmented_radix_sort_implINS0_14default_configELb1EPKsPsPKlPlN2at6native12_GLOBAL__N_18offset_tEEE10hipError_tPvRmT1_PNSt15iterator_traitsISY_E10value_typeET2_T3_PNSZ_IS14_E10value_typeET4_jRbjT5_S1A_jjP12ihipStream_tbEUljE_EEESV_SW_SX_S14_S18_S1A_T6_T7_T9_mT8_S1C_bDpT10_ENKUlT_T0_E_clISt17integral_constantIbLb0EES1P_EEDaS1K_S1L_EUlS1K_E_NS1_11comp_targetILNS1_3genE4ELNS1_11target_archE910ELNS1_3gpuE8ELNS1_3repE0EEENS1_30default_config_static_selectorELNS0_4arch9wavefront6targetE0EEEvSY_.num_named_barrier, 0
	.set _ZN7rocprim17ROCPRIM_400000_NS6detail17trampoline_kernelINS0_13select_configILj256ELj13ELNS0_17block_load_methodE3ELS4_3ELS4_3ELNS0_20block_scan_algorithmE0ELj4294967295EEENS1_25partition_config_selectorILNS1_17partition_subalgoE3EjNS0_10empty_typeEbEEZZNS1_14partition_implILS8_3ELb0ES6_jNS0_17counting_iteratorIjlEEPS9_SE_NS0_5tupleIJPjSE_EEENSF_IJSE_SE_EEES9_SG_JZNS1_25segmented_radix_sort_implINS0_14default_configELb1EPKsPsPKlPlN2at6native12_GLOBAL__N_18offset_tEEE10hipError_tPvRmT1_PNSt15iterator_traitsISY_E10value_typeET2_T3_PNSZ_IS14_E10value_typeET4_jRbjT5_S1A_jjP12ihipStream_tbEUljE_EEESV_SW_SX_S14_S18_S1A_T6_T7_T9_mT8_S1C_bDpT10_ENKUlT_T0_E_clISt17integral_constantIbLb0EES1P_EEDaS1K_S1L_EUlS1K_E_NS1_11comp_targetILNS1_3genE4ELNS1_11target_archE910ELNS1_3gpuE8ELNS1_3repE0EEENS1_30default_config_static_selectorELNS0_4arch9wavefront6targetE0EEEvSY_.private_seg_size, 0
	.set _ZN7rocprim17ROCPRIM_400000_NS6detail17trampoline_kernelINS0_13select_configILj256ELj13ELNS0_17block_load_methodE3ELS4_3ELS4_3ELNS0_20block_scan_algorithmE0ELj4294967295EEENS1_25partition_config_selectorILNS1_17partition_subalgoE3EjNS0_10empty_typeEbEEZZNS1_14partition_implILS8_3ELb0ES6_jNS0_17counting_iteratorIjlEEPS9_SE_NS0_5tupleIJPjSE_EEENSF_IJSE_SE_EEES9_SG_JZNS1_25segmented_radix_sort_implINS0_14default_configELb1EPKsPsPKlPlN2at6native12_GLOBAL__N_18offset_tEEE10hipError_tPvRmT1_PNSt15iterator_traitsISY_E10value_typeET2_T3_PNSZ_IS14_E10value_typeET4_jRbjT5_S1A_jjP12ihipStream_tbEUljE_EEESV_SW_SX_S14_S18_S1A_T6_T7_T9_mT8_S1C_bDpT10_ENKUlT_T0_E_clISt17integral_constantIbLb0EES1P_EEDaS1K_S1L_EUlS1K_E_NS1_11comp_targetILNS1_3genE4ELNS1_11target_archE910ELNS1_3gpuE8ELNS1_3repE0EEENS1_30default_config_static_selectorELNS0_4arch9wavefront6targetE0EEEvSY_.uses_vcc, 0
	.set _ZN7rocprim17ROCPRIM_400000_NS6detail17trampoline_kernelINS0_13select_configILj256ELj13ELNS0_17block_load_methodE3ELS4_3ELS4_3ELNS0_20block_scan_algorithmE0ELj4294967295EEENS1_25partition_config_selectorILNS1_17partition_subalgoE3EjNS0_10empty_typeEbEEZZNS1_14partition_implILS8_3ELb0ES6_jNS0_17counting_iteratorIjlEEPS9_SE_NS0_5tupleIJPjSE_EEENSF_IJSE_SE_EEES9_SG_JZNS1_25segmented_radix_sort_implINS0_14default_configELb1EPKsPsPKlPlN2at6native12_GLOBAL__N_18offset_tEEE10hipError_tPvRmT1_PNSt15iterator_traitsISY_E10value_typeET2_T3_PNSZ_IS14_E10value_typeET4_jRbjT5_S1A_jjP12ihipStream_tbEUljE_EEESV_SW_SX_S14_S18_S1A_T6_T7_T9_mT8_S1C_bDpT10_ENKUlT_T0_E_clISt17integral_constantIbLb0EES1P_EEDaS1K_S1L_EUlS1K_E_NS1_11comp_targetILNS1_3genE4ELNS1_11target_archE910ELNS1_3gpuE8ELNS1_3repE0EEENS1_30default_config_static_selectorELNS0_4arch9wavefront6targetE0EEEvSY_.uses_flat_scratch, 0
	.set _ZN7rocprim17ROCPRIM_400000_NS6detail17trampoline_kernelINS0_13select_configILj256ELj13ELNS0_17block_load_methodE3ELS4_3ELS4_3ELNS0_20block_scan_algorithmE0ELj4294967295EEENS1_25partition_config_selectorILNS1_17partition_subalgoE3EjNS0_10empty_typeEbEEZZNS1_14partition_implILS8_3ELb0ES6_jNS0_17counting_iteratorIjlEEPS9_SE_NS0_5tupleIJPjSE_EEENSF_IJSE_SE_EEES9_SG_JZNS1_25segmented_radix_sort_implINS0_14default_configELb1EPKsPsPKlPlN2at6native12_GLOBAL__N_18offset_tEEE10hipError_tPvRmT1_PNSt15iterator_traitsISY_E10value_typeET2_T3_PNSZ_IS14_E10value_typeET4_jRbjT5_S1A_jjP12ihipStream_tbEUljE_EEESV_SW_SX_S14_S18_S1A_T6_T7_T9_mT8_S1C_bDpT10_ENKUlT_T0_E_clISt17integral_constantIbLb0EES1P_EEDaS1K_S1L_EUlS1K_E_NS1_11comp_targetILNS1_3genE4ELNS1_11target_archE910ELNS1_3gpuE8ELNS1_3repE0EEENS1_30default_config_static_selectorELNS0_4arch9wavefront6targetE0EEEvSY_.has_dyn_sized_stack, 0
	.set _ZN7rocprim17ROCPRIM_400000_NS6detail17trampoline_kernelINS0_13select_configILj256ELj13ELNS0_17block_load_methodE3ELS4_3ELS4_3ELNS0_20block_scan_algorithmE0ELj4294967295EEENS1_25partition_config_selectorILNS1_17partition_subalgoE3EjNS0_10empty_typeEbEEZZNS1_14partition_implILS8_3ELb0ES6_jNS0_17counting_iteratorIjlEEPS9_SE_NS0_5tupleIJPjSE_EEENSF_IJSE_SE_EEES9_SG_JZNS1_25segmented_radix_sort_implINS0_14default_configELb1EPKsPsPKlPlN2at6native12_GLOBAL__N_18offset_tEEE10hipError_tPvRmT1_PNSt15iterator_traitsISY_E10value_typeET2_T3_PNSZ_IS14_E10value_typeET4_jRbjT5_S1A_jjP12ihipStream_tbEUljE_EEESV_SW_SX_S14_S18_S1A_T6_T7_T9_mT8_S1C_bDpT10_ENKUlT_T0_E_clISt17integral_constantIbLb0EES1P_EEDaS1K_S1L_EUlS1K_E_NS1_11comp_targetILNS1_3genE4ELNS1_11target_archE910ELNS1_3gpuE8ELNS1_3repE0EEENS1_30default_config_static_selectorELNS0_4arch9wavefront6targetE0EEEvSY_.has_recursion, 0
	.set _ZN7rocprim17ROCPRIM_400000_NS6detail17trampoline_kernelINS0_13select_configILj256ELj13ELNS0_17block_load_methodE3ELS4_3ELS4_3ELNS0_20block_scan_algorithmE0ELj4294967295EEENS1_25partition_config_selectorILNS1_17partition_subalgoE3EjNS0_10empty_typeEbEEZZNS1_14partition_implILS8_3ELb0ES6_jNS0_17counting_iteratorIjlEEPS9_SE_NS0_5tupleIJPjSE_EEENSF_IJSE_SE_EEES9_SG_JZNS1_25segmented_radix_sort_implINS0_14default_configELb1EPKsPsPKlPlN2at6native12_GLOBAL__N_18offset_tEEE10hipError_tPvRmT1_PNSt15iterator_traitsISY_E10value_typeET2_T3_PNSZ_IS14_E10value_typeET4_jRbjT5_S1A_jjP12ihipStream_tbEUljE_EEESV_SW_SX_S14_S18_S1A_T6_T7_T9_mT8_S1C_bDpT10_ENKUlT_T0_E_clISt17integral_constantIbLb0EES1P_EEDaS1K_S1L_EUlS1K_E_NS1_11comp_targetILNS1_3genE4ELNS1_11target_archE910ELNS1_3gpuE8ELNS1_3repE0EEENS1_30default_config_static_selectorELNS0_4arch9wavefront6targetE0EEEvSY_.has_indirect_call, 0
	.section	.AMDGPU.csdata,"",@progbits
; Kernel info:
; codeLenInByte = 0
; TotalNumSgprs: 0
; NumVgprs: 0
; ScratchSize: 0
; MemoryBound: 0
; FloatMode: 240
; IeeeMode: 1
; LDSByteSize: 0 bytes/workgroup (compile time only)
; SGPRBlocks: 0
; VGPRBlocks: 0
; NumSGPRsForWavesPerEU: 1
; NumVGPRsForWavesPerEU: 1
; Occupancy: 16
; WaveLimiterHint : 0
; COMPUTE_PGM_RSRC2:SCRATCH_EN: 0
; COMPUTE_PGM_RSRC2:USER_SGPR: 6
; COMPUTE_PGM_RSRC2:TRAP_HANDLER: 0
; COMPUTE_PGM_RSRC2:TGID_X_EN: 1
; COMPUTE_PGM_RSRC2:TGID_Y_EN: 0
; COMPUTE_PGM_RSRC2:TGID_Z_EN: 0
; COMPUTE_PGM_RSRC2:TIDIG_COMP_CNT: 0
	.section	.text._ZN7rocprim17ROCPRIM_400000_NS6detail17trampoline_kernelINS0_13select_configILj256ELj13ELNS0_17block_load_methodE3ELS4_3ELS4_3ELNS0_20block_scan_algorithmE0ELj4294967295EEENS1_25partition_config_selectorILNS1_17partition_subalgoE3EjNS0_10empty_typeEbEEZZNS1_14partition_implILS8_3ELb0ES6_jNS0_17counting_iteratorIjlEEPS9_SE_NS0_5tupleIJPjSE_EEENSF_IJSE_SE_EEES9_SG_JZNS1_25segmented_radix_sort_implINS0_14default_configELb1EPKsPsPKlPlN2at6native12_GLOBAL__N_18offset_tEEE10hipError_tPvRmT1_PNSt15iterator_traitsISY_E10value_typeET2_T3_PNSZ_IS14_E10value_typeET4_jRbjT5_S1A_jjP12ihipStream_tbEUljE_EEESV_SW_SX_S14_S18_S1A_T6_T7_T9_mT8_S1C_bDpT10_ENKUlT_T0_E_clISt17integral_constantIbLb0EES1P_EEDaS1K_S1L_EUlS1K_E_NS1_11comp_targetILNS1_3genE3ELNS1_11target_archE908ELNS1_3gpuE7ELNS1_3repE0EEENS1_30default_config_static_selectorELNS0_4arch9wavefront6targetE0EEEvSY_,"axG",@progbits,_ZN7rocprim17ROCPRIM_400000_NS6detail17trampoline_kernelINS0_13select_configILj256ELj13ELNS0_17block_load_methodE3ELS4_3ELS4_3ELNS0_20block_scan_algorithmE0ELj4294967295EEENS1_25partition_config_selectorILNS1_17partition_subalgoE3EjNS0_10empty_typeEbEEZZNS1_14partition_implILS8_3ELb0ES6_jNS0_17counting_iteratorIjlEEPS9_SE_NS0_5tupleIJPjSE_EEENSF_IJSE_SE_EEES9_SG_JZNS1_25segmented_radix_sort_implINS0_14default_configELb1EPKsPsPKlPlN2at6native12_GLOBAL__N_18offset_tEEE10hipError_tPvRmT1_PNSt15iterator_traitsISY_E10value_typeET2_T3_PNSZ_IS14_E10value_typeET4_jRbjT5_S1A_jjP12ihipStream_tbEUljE_EEESV_SW_SX_S14_S18_S1A_T6_T7_T9_mT8_S1C_bDpT10_ENKUlT_T0_E_clISt17integral_constantIbLb0EES1P_EEDaS1K_S1L_EUlS1K_E_NS1_11comp_targetILNS1_3genE3ELNS1_11target_archE908ELNS1_3gpuE7ELNS1_3repE0EEENS1_30default_config_static_selectorELNS0_4arch9wavefront6targetE0EEEvSY_,comdat
	.globl	_ZN7rocprim17ROCPRIM_400000_NS6detail17trampoline_kernelINS0_13select_configILj256ELj13ELNS0_17block_load_methodE3ELS4_3ELS4_3ELNS0_20block_scan_algorithmE0ELj4294967295EEENS1_25partition_config_selectorILNS1_17partition_subalgoE3EjNS0_10empty_typeEbEEZZNS1_14partition_implILS8_3ELb0ES6_jNS0_17counting_iteratorIjlEEPS9_SE_NS0_5tupleIJPjSE_EEENSF_IJSE_SE_EEES9_SG_JZNS1_25segmented_radix_sort_implINS0_14default_configELb1EPKsPsPKlPlN2at6native12_GLOBAL__N_18offset_tEEE10hipError_tPvRmT1_PNSt15iterator_traitsISY_E10value_typeET2_T3_PNSZ_IS14_E10value_typeET4_jRbjT5_S1A_jjP12ihipStream_tbEUljE_EEESV_SW_SX_S14_S18_S1A_T6_T7_T9_mT8_S1C_bDpT10_ENKUlT_T0_E_clISt17integral_constantIbLb0EES1P_EEDaS1K_S1L_EUlS1K_E_NS1_11comp_targetILNS1_3genE3ELNS1_11target_archE908ELNS1_3gpuE7ELNS1_3repE0EEENS1_30default_config_static_selectorELNS0_4arch9wavefront6targetE0EEEvSY_ ; -- Begin function _ZN7rocprim17ROCPRIM_400000_NS6detail17trampoline_kernelINS0_13select_configILj256ELj13ELNS0_17block_load_methodE3ELS4_3ELS4_3ELNS0_20block_scan_algorithmE0ELj4294967295EEENS1_25partition_config_selectorILNS1_17partition_subalgoE3EjNS0_10empty_typeEbEEZZNS1_14partition_implILS8_3ELb0ES6_jNS0_17counting_iteratorIjlEEPS9_SE_NS0_5tupleIJPjSE_EEENSF_IJSE_SE_EEES9_SG_JZNS1_25segmented_radix_sort_implINS0_14default_configELb1EPKsPsPKlPlN2at6native12_GLOBAL__N_18offset_tEEE10hipError_tPvRmT1_PNSt15iterator_traitsISY_E10value_typeET2_T3_PNSZ_IS14_E10value_typeET4_jRbjT5_S1A_jjP12ihipStream_tbEUljE_EEESV_SW_SX_S14_S18_S1A_T6_T7_T9_mT8_S1C_bDpT10_ENKUlT_T0_E_clISt17integral_constantIbLb0EES1P_EEDaS1K_S1L_EUlS1K_E_NS1_11comp_targetILNS1_3genE3ELNS1_11target_archE908ELNS1_3gpuE7ELNS1_3repE0EEENS1_30default_config_static_selectorELNS0_4arch9wavefront6targetE0EEEvSY_
	.p2align	8
	.type	_ZN7rocprim17ROCPRIM_400000_NS6detail17trampoline_kernelINS0_13select_configILj256ELj13ELNS0_17block_load_methodE3ELS4_3ELS4_3ELNS0_20block_scan_algorithmE0ELj4294967295EEENS1_25partition_config_selectorILNS1_17partition_subalgoE3EjNS0_10empty_typeEbEEZZNS1_14partition_implILS8_3ELb0ES6_jNS0_17counting_iteratorIjlEEPS9_SE_NS0_5tupleIJPjSE_EEENSF_IJSE_SE_EEES9_SG_JZNS1_25segmented_radix_sort_implINS0_14default_configELb1EPKsPsPKlPlN2at6native12_GLOBAL__N_18offset_tEEE10hipError_tPvRmT1_PNSt15iterator_traitsISY_E10value_typeET2_T3_PNSZ_IS14_E10value_typeET4_jRbjT5_S1A_jjP12ihipStream_tbEUljE_EEESV_SW_SX_S14_S18_S1A_T6_T7_T9_mT8_S1C_bDpT10_ENKUlT_T0_E_clISt17integral_constantIbLb0EES1P_EEDaS1K_S1L_EUlS1K_E_NS1_11comp_targetILNS1_3genE3ELNS1_11target_archE908ELNS1_3gpuE7ELNS1_3repE0EEENS1_30default_config_static_selectorELNS0_4arch9wavefront6targetE0EEEvSY_,@function
_ZN7rocprim17ROCPRIM_400000_NS6detail17trampoline_kernelINS0_13select_configILj256ELj13ELNS0_17block_load_methodE3ELS4_3ELS4_3ELNS0_20block_scan_algorithmE0ELj4294967295EEENS1_25partition_config_selectorILNS1_17partition_subalgoE3EjNS0_10empty_typeEbEEZZNS1_14partition_implILS8_3ELb0ES6_jNS0_17counting_iteratorIjlEEPS9_SE_NS0_5tupleIJPjSE_EEENSF_IJSE_SE_EEES9_SG_JZNS1_25segmented_radix_sort_implINS0_14default_configELb1EPKsPsPKlPlN2at6native12_GLOBAL__N_18offset_tEEE10hipError_tPvRmT1_PNSt15iterator_traitsISY_E10value_typeET2_T3_PNSZ_IS14_E10value_typeET4_jRbjT5_S1A_jjP12ihipStream_tbEUljE_EEESV_SW_SX_S14_S18_S1A_T6_T7_T9_mT8_S1C_bDpT10_ENKUlT_T0_E_clISt17integral_constantIbLb0EES1P_EEDaS1K_S1L_EUlS1K_E_NS1_11comp_targetILNS1_3genE3ELNS1_11target_archE908ELNS1_3gpuE7ELNS1_3repE0EEENS1_30default_config_static_selectorELNS0_4arch9wavefront6targetE0EEEvSY_: ; @_ZN7rocprim17ROCPRIM_400000_NS6detail17trampoline_kernelINS0_13select_configILj256ELj13ELNS0_17block_load_methodE3ELS4_3ELS4_3ELNS0_20block_scan_algorithmE0ELj4294967295EEENS1_25partition_config_selectorILNS1_17partition_subalgoE3EjNS0_10empty_typeEbEEZZNS1_14partition_implILS8_3ELb0ES6_jNS0_17counting_iteratorIjlEEPS9_SE_NS0_5tupleIJPjSE_EEENSF_IJSE_SE_EEES9_SG_JZNS1_25segmented_radix_sort_implINS0_14default_configELb1EPKsPsPKlPlN2at6native12_GLOBAL__N_18offset_tEEE10hipError_tPvRmT1_PNSt15iterator_traitsISY_E10value_typeET2_T3_PNSZ_IS14_E10value_typeET4_jRbjT5_S1A_jjP12ihipStream_tbEUljE_EEESV_SW_SX_S14_S18_S1A_T6_T7_T9_mT8_S1C_bDpT10_ENKUlT_T0_E_clISt17integral_constantIbLb0EES1P_EEDaS1K_S1L_EUlS1K_E_NS1_11comp_targetILNS1_3genE3ELNS1_11target_archE908ELNS1_3gpuE7ELNS1_3repE0EEENS1_30default_config_static_selectorELNS0_4arch9wavefront6targetE0EEEvSY_
; %bb.0:
	.section	.rodata,"a",@progbits
	.p2align	6, 0x0
	.amdhsa_kernel _ZN7rocprim17ROCPRIM_400000_NS6detail17trampoline_kernelINS0_13select_configILj256ELj13ELNS0_17block_load_methodE3ELS4_3ELS4_3ELNS0_20block_scan_algorithmE0ELj4294967295EEENS1_25partition_config_selectorILNS1_17partition_subalgoE3EjNS0_10empty_typeEbEEZZNS1_14partition_implILS8_3ELb0ES6_jNS0_17counting_iteratorIjlEEPS9_SE_NS0_5tupleIJPjSE_EEENSF_IJSE_SE_EEES9_SG_JZNS1_25segmented_radix_sort_implINS0_14default_configELb1EPKsPsPKlPlN2at6native12_GLOBAL__N_18offset_tEEE10hipError_tPvRmT1_PNSt15iterator_traitsISY_E10value_typeET2_T3_PNSZ_IS14_E10value_typeET4_jRbjT5_S1A_jjP12ihipStream_tbEUljE_EEESV_SW_SX_S14_S18_S1A_T6_T7_T9_mT8_S1C_bDpT10_ENKUlT_T0_E_clISt17integral_constantIbLb0EES1P_EEDaS1K_S1L_EUlS1K_E_NS1_11comp_targetILNS1_3genE3ELNS1_11target_archE908ELNS1_3gpuE7ELNS1_3repE0EEENS1_30default_config_static_selectorELNS0_4arch9wavefront6targetE0EEEvSY_
		.amdhsa_group_segment_fixed_size 0
		.amdhsa_private_segment_fixed_size 0
		.amdhsa_kernarg_size 144
		.amdhsa_user_sgpr_count 6
		.amdhsa_user_sgpr_private_segment_buffer 1
		.amdhsa_user_sgpr_dispatch_ptr 0
		.amdhsa_user_sgpr_queue_ptr 0
		.amdhsa_user_sgpr_kernarg_segment_ptr 1
		.amdhsa_user_sgpr_dispatch_id 0
		.amdhsa_user_sgpr_flat_scratch_init 0
		.amdhsa_user_sgpr_private_segment_size 0
		.amdhsa_wavefront_size32 1
		.amdhsa_uses_dynamic_stack 0
		.amdhsa_system_sgpr_private_segment_wavefront_offset 0
		.amdhsa_system_sgpr_workgroup_id_x 1
		.amdhsa_system_sgpr_workgroup_id_y 0
		.amdhsa_system_sgpr_workgroup_id_z 0
		.amdhsa_system_sgpr_workgroup_info 0
		.amdhsa_system_vgpr_workitem_id 0
		.amdhsa_next_free_vgpr 1
		.amdhsa_next_free_sgpr 1
		.amdhsa_reserve_vcc 0
		.amdhsa_reserve_flat_scratch 0
		.amdhsa_float_round_mode_32 0
		.amdhsa_float_round_mode_16_64 0
		.amdhsa_float_denorm_mode_32 3
		.amdhsa_float_denorm_mode_16_64 3
		.amdhsa_dx10_clamp 1
		.amdhsa_ieee_mode 1
		.amdhsa_fp16_overflow 0
		.amdhsa_workgroup_processor_mode 1
		.amdhsa_memory_ordered 1
		.amdhsa_forward_progress 1
		.amdhsa_shared_vgpr_count 0
		.amdhsa_exception_fp_ieee_invalid_op 0
		.amdhsa_exception_fp_denorm_src 0
		.amdhsa_exception_fp_ieee_div_zero 0
		.amdhsa_exception_fp_ieee_overflow 0
		.amdhsa_exception_fp_ieee_underflow 0
		.amdhsa_exception_fp_ieee_inexact 0
		.amdhsa_exception_int_div_zero 0
	.end_amdhsa_kernel
	.section	.text._ZN7rocprim17ROCPRIM_400000_NS6detail17trampoline_kernelINS0_13select_configILj256ELj13ELNS0_17block_load_methodE3ELS4_3ELS4_3ELNS0_20block_scan_algorithmE0ELj4294967295EEENS1_25partition_config_selectorILNS1_17partition_subalgoE3EjNS0_10empty_typeEbEEZZNS1_14partition_implILS8_3ELb0ES6_jNS0_17counting_iteratorIjlEEPS9_SE_NS0_5tupleIJPjSE_EEENSF_IJSE_SE_EEES9_SG_JZNS1_25segmented_radix_sort_implINS0_14default_configELb1EPKsPsPKlPlN2at6native12_GLOBAL__N_18offset_tEEE10hipError_tPvRmT1_PNSt15iterator_traitsISY_E10value_typeET2_T3_PNSZ_IS14_E10value_typeET4_jRbjT5_S1A_jjP12ihipStream_tbEUljE_EEESV_SW_SX_S14_S18_S1A_T6_T7_T9_mT8_S1C_bDpT10_ENKUlT_T0_E_clISt17integral_constantIbLb0EES1P_EEDaS1K_S1L_EUlS1K_E_NS1_11comp_targetILNS1_3genE3ELNS1_11target_archE908ELNS1_3gpuE7ELNS1_3repE0EEENS1_30default_config_static_selectorELNS0_4arch9wavefront6targetE0EEEvSY_,"axG",@progbits,_ZN7rocprim17ROCPRIM_400000_NS6detail17trampoline_kernelINS0_13select_configILj256ELj13ELNS0_17block_load_methodE3ELS4_3ELS4_3ELNS0_20block_scan_algorithmE0ELj4294967295EEENS1_25partition_config_selectorILNS1_17partition_subalgoE3EjNS0_10empty_typeEbEEZZNS1_14partition_implILS8_3ELb0ES6_jNS0_17counting_iteratorIjlEEPS9_SE_NS0_5tupleIJPjSE_EEENSF_IJSE_SE_EEES9_SG_JZNS1_25segmented_radix_sort_implINS0_14default_configELb1EPKsPsPKlPlN2at6native12_GLOBAL__N_18offset_tEEE10hipError_tPvRmT1_PNSt15iterator_traitsISY_E10value_typeET2_T3_PNSZ_IS14_E10value_typeET4_jRbjT5_S1A_jjP12ihipStream_tbEUljE_EEESV_SW_SX_S14_S18_S1A_T6_T7_T9_mT8_S1C_bDpT10_ENKUlT_T0_E_clISt17integral_constantIbLb0EES1P_EEDaS1K_S1L_EUlS1K_E_NS1_11comp_targetILNS1_3genE3ELNS1_11target_archE908ELNS1_3gpuE7ELNS1_3repE0EEENS1_30default_config_static_selectorELNS0_4arch9wavefront6targetE0EEEvSY_,comdat
.Lfunc_end876:
	.size	_ZN7rocprim17ROCPRIM_400000_NS6detail17trampoline_kernelINS0_13select_configILj256ELj13ELNS0_17block_load_methodE3ELS4_3ELS4_3ELNS0_20block_scan_algorithmE0ELj4294967295EEENS1_25partition_config_selectorILNS1_17partition_subalgoE3EjNS0_10empty_typeEbEEZZNS1_14partition_implILS8_3ELb0ES6_jNS0_17counting_iteratorIjlEEPS9_SE_NS0_5tupleIJPjSE_EEENSF_IJSE_SE_EEES9_SG_JZNS1_25segmented_radix_sort_implINS0_14default_configELb1EPKsPsPKlPlN2at6native12_GLOBAL__N_18offset_tEEE10hipError_tPvRmT1_PNSt15iterator_traitsISY_E10value_typeET2_T3_PNSZ_IS14_E10value_typeET4_jRbjT5_S1A_jjP12ihipStream_tbEUljE_EEESV_SW_SX_S14_S18_S1A_T6_T7_T9_mT8_S1C_bDpT10_ENKUlT_T0_E_clISt17integral_constantIbLb0EES1P_EEDaS1K_S1L_EUlS1K_E_NS1_11comp_targetILNS1_3genE3ELNS1_11target_archE908ELNS1_3gpuE7ELNS1_3repE0EEENS1_30default_config_static_selectorELNS0_4arch9wavefront6targetE0EEEvSY_, .Lfunc_end876-_ZN7rocprim17ROCPRIM_400000_NS6detail17trampoline_kernelINS0_13select_configILj256ELj13ELNS0_17block_load_methodE3ELS4_3ELS4_3ELNS0_20block_scan_algorithmE0ELj4294967295EEENS1_25partition_config_selectorILNS1_17partition_subalgoE3EjNS0_10empty_typeEbEEZZNS1_14partition_implILS8_3ELb0ES6_jNS0_17counting_iteratorIjlEEPS9_SE_NS0_5tupleIJPjSE_EEENSF_IJSE_SE_EEES9_SG_JZNS1_25segmented_radix_sort_implINS0_14default_configELb1EPKsPsPKlPlN2at6native12_GLOBAL__N_18offset_tEEE10hipError_tPvRmT1_PNSt15iterator_traitsISY_E10value_typeET2_T3_PNSZ_IS14_E10value_typeET4_jRbjT5_S1A_jjP12ihipStream_tbEUljE_EEESV_SW_SX_S14_S18_S1A_T6_T7_T9_mT8_S1C_bDpT10_ENKUlT_T0_E_clISt17integral_constantIbLb0EES1P_EEDaS1K_S1L_EUlS1K_E_NS1_11comp_targetILNS1_3genE3ELNS1_11target_archE908ELNS1_3gpuE7ELNS1_3repE0EEENS1_30default_config_static_selectorELNS0_4arch9wavefront6targetE0EEEvSY_
                                        ; -- End function
	.set _ZN7rocprim17ROCPRIM_400000_NS6detail17trampoline_kernelINS0_13select_configILj256ELj13ELNS0_17block_load_methodE3ELS4_3ELS4_3ELNS0_20block_scan_algorithmE0ELj4294967295EEENS1_25partition_config_selectorILNS1_17partition_subalgoE3EjNS0_10empty_typeEbEEZZNS1_14partition_implILS8_3ELb0ES6_jNS0_17counting_iteratorIjlEEPS9_SE_NS0_5tupleIJPjSE_EEENSF_IJSE_SE_EEES9_SG_JZNS1_25segmented_radix_sort_implINS0_14default_configELb1EPKsPsPKlPlN2at6native12_GLOBAL__N_18offset_tEEE10hipError_tPvRmT1_PNSt15iterator_traitsISY_E10value_typeET2_T3_PNSZ_IS14_E10value_typeET4_jRbjT5_S1A_jjP12ihipStream_tbEUljE_EEESV_SW_SX_S14_S18_S1A_T6_T7_T9_mT8_S1C_bDpT10_ENKUlT_T0_E_clISt17integral_constantIbLb0EES1P_EEDaS1K_S1L_EUlS1K_E_NS1_11comp_targetILNS1_3genE3ELNS1_11target_archE908ELNS1_3gpuE7ELNS1_3repE0EEENS1_30default_config_static_selectorELNS0_4arch9wavefront6targetE0EEEvSY_.num_vgpr, 0
	.set _ZN7rocprim17ROCPRIM_400000_NS6detail17trampoline_kernelINS0_13select_configILj256ELj13ELNS0_17block_load_methodE3ELS4_3ELS4_3ELNS0_20block_scan_algorithmE0ELj4294967295EEENS1_25partition_config_selectorILNS1_17partition_subalgoE3EjNS0_10empty_typeEbEEZZNS1_14partition_implILS8_3ELb0ES6_jNS0_17counting_iteratorIjlEEPS9_SE_NS0_5tupleIJPjSE_EEENSF_IJSE_SE_EEES9_SG_JZNS1_25segmented_radix_sort_implINS0_14default_configELb1EPKsPsPKlPlN2at6native12_GLOBAL__N_18offset_tEEE10hipError_tPvRmT1_PNSt15iterator_traitsISY_E10value_typeET2_T3_PNSZ_IS14_E10value_typeET4_jRbjT5_S1A_jjP12ihipStream_tbEUljE_EEESV_SW_SX_S14_S18_S1A_T6_T7_T9_mT8_S1C_bDpT10_ENKUlT_T0_E_clISt17integral_constantIbLb0EES1P_EEDaS1K_S1L_EUlS1K_E_NS1_11comp_targetILNS1_3genE3ELNS1_11target_archE908ELNS1_3gpuE7ELNS1_3repE0EEENS1_30default_config_static_selectorELNS0_4arch9wavefront6targetE0EEEvSY_.num_agpr, 0
	.set _ZN7rocprim17ROCPRIM_400000_NS6detail17trampoline_kernelINS0_13select_configILj256ELj13ELNS0_17block_load_methodE3ELS4_3ELS4_3ELNS0_20block_scan_algorithmE0ELj4294967295EEENS1_25partition_config_selectorILNS1_17partition_subalgoE3EjNS0_10empty_typeEbEEZZNS1_14partition_implILS8_3ELb0ES6_jNS0_17counting_iteratorIjlEEPS9_SE_NS0_5tupleIJPjSE_EEENSF_IJSE_SE_EEES9_SG_JZNS1_25segmented_radix_sort_implINS0_14default_configELb1EPKsPsPKlPlN2at6native12_GLOBAL__N_18offset_tEEE10hipError_tPvRmT1_PNSt15iterator_traitsISY_E10value_typeET2_T3_PNSZ_IS14_E10value_typeET4_jRbjT5_S1A_jjP12ihipStream_tbEUljE_EEESV_SW_SX_S14_S18_S1A_T6_T7_T9_mT8_S1C_bDpT10_ENKUlT_T0_E_clISt17integral_constantIbLb0EES1P_EEDaS1K_S1L_EUlS1K_E_NS1_11comp_targetILNS1_3genE3ELNS1_11target_archE908ELNS1_3gpuE7ELNS1_3repE0EEENS1_30default_config_static_selectorELNS0_4arch9wavefront6targetE0EEEvSY_.numbered_sgpr, 0
	.set _ZN7rocprim17ROCPRIM_400000_NS6detail17trampoline_kernelINS0_13select_configILj256ELj13ELNS0_17block_load_methodE3ELS4_3ELS4_3ELNS0_20block_scan_algorithmE0ELj4294967295EEENS1_25partition_config_selectorILNS1_17partition_subalgoE3EjNS0_10empty_typeEbEEZZNS1_14partition_implILS8_3ELb0ES6_jNS0_17counting_iteratorIjlEEPS9_SE_NS0_5tupleIJPjSE_EEENSF_IJSE_SE_EEES9_SG_JZNS1_25segmented_radix_sort_implINS0_14default_configELb1EPKsPsPKlPlN2at6native12_GLOBAL__N_18offset_tEEE10hipError_tPvRmT1_PNSt15iterator_traitsISY_E10value_typeET2_T3_PNSZ_IS14_E10value_typeET4_jRbjT5_S1A_jjP12ihipStream_tbEUljE_EEESV_SW_SX_S14_S18_S1A_T6_T7_T9_mT8_S1C_bDpT10_ENKUlT_T0_E_clISt17integral_constantIbLb0EES1P_EEDaS1K_S1L_EUlS1K_E_NS1_11comp_targetILNS1_3genE3ELNS1_11target_archE908ELNS1_3gpuE7ELNS1_3repE0EEENS1_30default_config_static_selectorELNS0_4arch9wavefront6targetE0EEEvSY_.num_named_barrier, 0
	.set _ZN7rocprim17ROCPRIM_400000_NS6detail17trampoline_kernelINS0_13select_configILj256ELj13ELNS0_17block_load_methodE3ELS4_3ELS4_3ELNS0_20block_scan_algorithmE0ELj4294967295EEENS1_25partition_config_selectorILNS1_17partition_subalgoE3EjNS0_10empty_typeEbEEZZNS1_14partition_implILS8_3ELb0ES6_jNS0_17counting_iteratorIjlEEPS9_SE_NS0_5tupleIJPjSE_EEENSF_IJSE_SE_EEES9_SG_JZNS1_25segmented_radix_sort_implINS0_14default_configELb1EPKsPsPKlPlN2at6native12_GLOBAL__N_18offset_tEEE10hipError_tPvRmT1_PNSt15iterator_traitsISY_E10value_typeET2_T3_PNSZ_IS14_E10value_typeET4_jRbjT5_S1A_jjP12ihipStream_tbEUljE_EEESV_SW_SX_S14_S18_S1A_T6_T7_T9_mT8_S1C_bDpT10_ENKUlT_T0_E_clISt17integral_constantIbLb0EES1P_EEDaS1K_S1L_EUlS1K_E_NS1_11comp_targetILNS1_3genE3ELNS1_11target_archE908ELNS1_3gpuE7ELNS1_3repE0EEENS1_30default_config_static_selectorELNS0_4arch9wavefront6targetE0EEEvSY_.private_seg_size, 0
	.set _ZN7rocprim17ROCPRIM_400000_NS6detail17trampoline_kernelINS0_13select_configILj256ELj13ELNS0_17block_load_methodE3ELS4_3ELS4_3ELNS0_20block_scan_algorithmE0ELj4294967295EEENS1_25partition_config_selectorILNS1_17partition_subalgoE3EjNS0_10empty_typeEbEEZZNS1_14partition_implILS8_3ELb0ES6_jNS0_17counting_iteratorIjlEEPS9_SE_NS0_5tupleIJPjSE_EEENSF_IJSE_SE_EEES9_SG_JZNS1_25segmented_radix_sort_implINS0_14default_configELb1EPKsPsPKlPlN2at6native12_GLOBAL__N_18offset_tEEE10hipError_tPvRmT1_PNSt15iterator_traitsISY_E10value_typeET2_T3_PNSZ_IS14_E10value_typeET4_jRbjT5_S1A_jjP12ihipStream_tbEUljE_EEESV_SW_SX_S14_S18_S1A_T6_T7_T9_mT8_S1C_bDpT10_ENKUlT_T0_E_clISt17integral_constantIbLb0EES1P_EEDaS1K_S1L_EUlS1K_E_NS1_11comp_targetILNS1_3genE3ELNS1_11target_archE908ELNS1_3gpuE7ELNS1_3repE0EEENS1_30default_config_static_selectorELNS0_4arch9wavefront6targetE0EEEvSY_.uses_vcc, 0
	.set _ZN7rocprim17ROCPRIM_400000_NS6detail17trampoline_kernelINS0_13select_configILj256ELj13ELNS0_17block_load_methodE3ELS4_3ELS4_3ELNS0_20block_scan_algorithmE0ELj4294967295EEENS1_25partition_config_selectorILNS1_17partition_subalgoE3EjNS0_10empty_typeEbEEZZNS1_14partition_implILS8_3ELb0ES6_jNS0_17counting_iteratorIjlEEPS9_SE_NS0_5tupleIJPjSE_EEENSF_IJSE_SE_EEES9_SG_JZNS1_25segmented_radix_sort_implINS0_14default_configELb1EPKsPsPKlPlN2at6native12_GLOBAL__N_18offset_tEEE10hipError_tPvRmT1_PNSt15iterator_traitsISY_E10value_typeET2_T3_PNSZ_IS14_E10value_typeET4_jRbjT5_S1A_jjP12ihipStream_tbEUljE_EEESV_SW_SX_S14_S18_S1A_T6_T7_T9_mT8_S1C_bDpT10_ENKUlT_T0_E_clISt17integral_constantIbLb0EES1P_EEDaS1K_S1L_EUlS1K_E_NS1_11comp_targetILNS1_3genE3ELNS1_11target_archE908ELNS1_3gpuE7ELNS1_3repE0EEENS1_30default_config_static_selectorELNS0_4arch9wavefront6targetE0EEEvSY_.uses_flat_scratch, 0
	.set _ZN7rocprim17ROCPRIM_400000_NS6detail17trampoline_kernelINS0_13select_configILj256ELj13ELNS0_17block_load_methodE3ELS4_3ELS4_3ELNS0_20block_scan_algorithmE0ELj4294967295EEENS1_25partition_config_selectorILNS1_17partition_subalgoE3EjNS0_10empty_typeEbEEZZNS1_14partition_implILS8_3ELb0ES6_jNS0_17counting_iteratorIjlEEPS9_SE_NS0_5tupleIJPjSE_EEENSF_IJSE_SE_EEES9_SG_JZNS1_25segmented_radix_sort_implINS0_14default_configELb1EPKsPsPKlPlN2at6native12_GLOBAL__N_18offset_tEEE10hipError_tPvRmT1_PNSt15iterator_traitsISY_E10value_typeET2_T3_PNSZ_IS14_E10value_typeET4_jRbjT5_S1A_jjP12ihipStream_tbEUljE_EEESV_SW_SX_S14_S18_S1A_T6_T7_T9_mT8_S1C_bDpT10_ENKUlT_T0_E_clISt17integral_constantIbLb0EES1P_EEDaS1K_S1L_EUlS1K_E_NS1_11comp_targetILNS1_3genE3ELNS1_11target_archE908ELNS1_3gpuE7ELNS1_3repE0EEENS1_30default_config_static_selectorELNS0_4arch9wavefront6targetE0EEEvSY_.has_dyn_sized_stack, 0
	.set _ZN7rocprim17ROCPRIM_400000_NS6detail17trampoline_kernelINS0_13select_configILj256ELj13ELNS0_17block_load_methodE3ELS4_3ELS4_3ELNS0_20block_scan_algorithmE0ELj4294967295EEENS1_25partition_config_selectorILNS1_17partition_subalgoE3EjNS0_10empty_typeEbEEZZNS1_14partition_implILS8_3ELb0ES6_jNS0_17counting_iteratorIjlEEPS9_SE_NS0_5tupleIJPjSE_EEENSF_IJSE_SE_EEES9_SG_JZNS1_25segmented_radix_sort_implINS0_14default_configELb1EPKsPsPKlPlN2at6native12_GLOBAL__N_18offset_tEEE10hipError_tPvRmT1_PNSt15iterator_traitsISY_E10value_typeET2_T3_PNSZ_IS14_E10value_typeET4_jRbjT5_S1A_jjP12ihipStream_tbEUljE_EEESV_SW_SX_S14_S18_S1A_T6_T7_T9_mT8_S1C_bDpT10_ENKUlT_T0_E_clISt17integral_constantIbLb0EES1P_EEDaS1K_S1L_EUlS1K_E_NS1_11comp_targetILNS1_3genE3ELNS1_11target_archE908ELNS1_3gpuE7ELNS1_3repE0EEENS1_30default_config_static_selectorELNS0_4arch9wavefront6targetE0EEEvSY_.has_recursion, 0
	.set _ZN7rocprim17ROCPRIM_400000_NS6detail17trampoline_kernelINS0_13select_configILj256ELj13ELNS0_17block_load_methodE3ELS4_3ELS4_3ELNS0_20block_scan_algorithmE0ELj4294967295EEENS1_25partition_config_selectorILNS1_17partition_subalgoE3EjNS0_10empty_typeEbEEZZNS1_14partition_implILS8_3ELb0ES6_jNS0_17counting_iteratorIjlEEPS9_SE_NS0_5tupleIJPjSE_EEENSF_IJSE_SE_EEES9_SG_JZNS1_25segmented_radix_sort_implINS0_14default_configELb1EPKsPsPKlPlN2at6native12_GLOBAL__N_18offset_tEEE10hipError_tPvRmT1_PNSt15iterator_traitsISY_E10value_typeET2_T3_PNSZ_IS14_E10value_typeET4_jRbjT5_S1A_jjP12ihipStream_tbEUljE_EEESV_SW_SX_S14_S18_S1A_T6_T7_T9_mT8_S1C_bDpT10_ENKUlT_T0_E_clISt17integral_constantIbLb0EES1P_EEDaS1K_S1L_EUlS1K_E_NS1_11comp_targetILNS1_3genE3ELNS1_11target_archE908ELNS1_3gpuE7ELNS1_3repE0EEENS1_30default_config_static_selectorELNS0_4arch9wavefront6targetE0EEEvSY_.has_indirect_call, 0
	.section	.AMDGPU.csdata,"",@progbits
; Kernel info:
; codeLenInByte = 0
; TotalNumSgprs: 0
; NumVgprs: 0
; ScratchSize: 0
; MemoryBound: 0
; FloatMode: 240
; IeeeMode: 1
; LDSByteSize: 0 bytes/workgroup (compile time only)
; SGPRBlocks: 0
; VGPRBlocks: 0
; NumSGPRsForWavesPerEU: 1
; NumVGPRsForWavesPerEU: 1
; Occupancy: 16
; WaveLimiterHint : 0
; COMPUTE_PGM_RSRC2:SCRATCH_EN: 0
; COMPUTE_PGM_RSRC2:USER_SGPR: 6
; COMPUTE_PGM_RSRC2:TRAP_HANDLER: 0
; COMPUTE_PGM_RSRC2:TGID_X_EN: 1
; COMPUTE_PGM_RSRC2:TGID_Y_EN: 0
; COMPUTE_PGM_RSRC2:TGID_Z_EN: 0
; COMPUTE_PGM_RSRC2:TIDIG_COMP_CNT: 0
	.section	.text._ZN7rocprim17ROCPRIM_400000_NS6detail17trampoline_kernelINS0_13select_configILj256ELj13ELNS0_17block_load_methodE3ELS4_3ELS4_3ELNS0_20block_scan_algorithmE0ELj4294967295EEENS1_25partition_config_selectorILNS1_17partition_subalgoE3EjNS0_10empty_typeEbEEZZNS1_14partition_implILS8_3ELb0ES6_jNS0_17counting_iteratorIjlEEPS9_SE_NS0_5tupleIJPjSE_EEENSF_IJSE_SE_EEES9_SG_JZNS1_25segmented_radix_sort_implINS0_14default_configELb1EPKsPsPKlPlN2at6native12_GLOBAL__N_18offset_tEEE10hipError_tPvRmT1_PNSt15iterator_traitsISY_E10value_typeET2_T3_PNSZ_IS14_E10value_typeET4_jRbjT5_S1A_jjP12ihipStream_tbEUljE_EEESV_SW_SX_S14_S18_S1A_T6_T7_T9_mT8_S1C_bDpT10_ENKUlT_T0_E_clISt17integral_constantIbLb0EES1P_EEDaS1K_S1L_EUlS1K_E_NS1_11comp_targetILNS1_3genE2ELNS1_11target_archE906ELNS1_3gpuE6ELNS1_3repE0EEENS1_30default_config_static_selectorELNS0_4arch9wavefront6targetE0EEEvSY_,"axG",@progbits,_ZN7rocprim17ROCPRIM_400000_NS6detail17trampoline_kernelINS0_13select_configILj256ELj13ELNS0_17block_load_methodE3ELS4_3ELS4_3ELNS0_20block_scan_algorithmE0ELj4294967295EEENS1_25partition_config_selectorILNS1_17partition_subalgoE3EjNS0_10empty_typeEbEEZZNS1_14partition_implILS8_3ELb0ES6_jNS0_17counting_iteratorIjlEEPS9_SE_NS0_5tupleIJPjSE_EEENSF_IJSE_SE_EEES9_SG_JZNS1_25segmented_radix_sort_implINS0_14default_configELb1EPKsPsPKlPlN2at6native12_GLOBAL__N_18offset_tEEE10hipError_tPvRmT1_PNSt15iterator_traitsISY_E10value_typeET2_T3_PNSZ_IS14_E10value_typeET4_jRbjT5_S1A_jjP12ihipStream_tbEUljE_EEESV_SW_SX_S14_S18_S1A_T6_T7_T9_mT8_S1C_bDpT10_ENKUlT_T0_E_clISt17integral_constantIbLb0EES1P_EEDaS1K_S1L_EUlS1K_E_NS1_11comp_targetILNS1_3genE2ELNS1_11target_archE906ELNS1_3gpuE6ELNS1_3repE0EEENS1_30default_config_static_selectorELNS0_4arch9wavefront6targetE0EEEvSY_,comdat
	.globl	_ZN7rocprim17ROCPRIM_400000_NS6detail17trampoline_kernelINS0_13select_configILj256ELj13ELNS0_17block_load_methodE3ELS4_3ELS4_3ELNS0_20block_scan_algorithmE0ELj4294967295EEENS1_25partition_config_selectorILNS1_17partition_subalgoE3EjNS0_10empty_typeEbEEZZNS1_14partition_implILS8_3ELb0ES6_jNS0_17counting_iteratorIjlEEPS9_SE_NS0_5tupleIJPjSE_EEENSF_IJSE_SE_EEES9_SG_JZNS1_25segmented_radix_sort_implINS0_14default_configELb1EPKsPsPKlPlN2at6native12_GLOBAL__N_18offset_tEEE10hipError_tPvRmT1_PNSt15iterator_traitsISY_E10value_typeET2_T3_PNSZ_IS14_E10value_typeET4_jRbjT5_S1A_jjP12ihipStream_tbEUljE_EEESV_SW_SX_S14_S18_S1A_T6_T7_T9_mT8_S1C_bDpT10_ENKUlT_T0_E_clISt17integral_constantIbLb0EES1P_EEDaS1K_S1L_EUlS1K_E_NS1_11comp_targetILNS1_3genE2ELNS1_11target_archE906ELNS1_3gpuE6ELNS1_3repE0EEENS1_30default_config_static_selectorELNS0_4arch9wavefront6targetE0EEEvSY_ ; -- Begin function _ZN7rocprim17ROCPRIM_400000_NS6detail17trampoline_kernelINS0_13select_configILj256ELj13ELNS0_17block_load_methodE3ELS4_3ELS4_3ELNS0_20block_scan_algorithmE0ELj4294967295EEENS1_25partition_config_selectorILNS1_17partition_subalgoE3EjNS0_10empty_typeEbEEZZNS1_14partition_implILS8_3ELb0ES6_jNS0_17counting_iteratorIjlEEPS9_SE_NS0_5tupleIJPjSE_EEENSF_IJSE_SE_EEES9_SG_JZNS1_25segmented_radix_sort_implINS0_14default_configELb1EPKsPsPKlPlN2at6native12_GLOBAL__N_18offset_tEEE10hipError_tPvRmT1_PNSt15iterator_traitsISY_E10value_typeET2_T3_PNSZ_IS14_E10value_typeET4_jRbjT5_S1A_jjP12ihipStream_tbEUljE_EEESV_SW_SX_S14_S18_S1A_T6_T7_T9_mT8_S1C_bDpT10_ENKUlT_T0_E_clISt17integral_constantIbLb0EES1P_EEDaS1K_S1L_EUlS1K_E_NS1_11comp_targetILNS1_3genE2ELNS1_11target_archE906ELNS1_3gpuE6ELNS1_3repE0EEENS1_30default_config_static_selectorELNS0_4arch9wavefront6targetE0EEEvSY_
	.p2align	8
	.type	_ZN7rocprim17ROCPRIM_400000_NS6detail17trampoline_kernelINS0_13select_configILj256ELj13ELNS0_17block_load_methodE3ELS4_3ELS4_3ELNS0_20block_scan_algorithmE0ELj4294967295EEENS1_25partition_config_selectorILNS1_17partition_subalgoE3EjNS0_10empty_typeEbEEZZNS1_14partition_implILS8_3ELb0ES6_jNS0_17counting_iteratorIjlEEPS9_SE_NS0_5tupleIJPjSE_EEENSF_IJSE_SE_EEES9_SG_JZNS1_25segmented_radix_sort_implINS0_14default_configELb1EPKsPsPKlPlN2at6native12_GLOBAL__N_18offset_tEEE10hipError_tPvRmT1_PNSt15iterator_traitsISY_E10value_typeET2_T3_PNSZ_IS14_E10value_typeET4_jRbjT5_S1A_jjP12ihipStream_tbEUljE_EEESV_SW_SX_S14_S18_S1A_T6_T7_T9_mT8_S1C_bDpT10_ENKUlT_T0_E_clISt17integral_constantIbLb0EES1P_EEDaS1K_S1L_EUlS1K_E_NS1_11comp_targetILNS1_3genE2ELNS1_11target_archE906ELNS1_3gpuE6ELNS1_3repE0EEENS1_30default_config_static_selectorELNS0_4arch9wavefront6targetE0EEEvSY_,@function
_ZN7rocprim17ROCPRIM_400000_NS6detail17trampoline_kernelINS0_13select_configILj256ELj13ELNS0_17block_load_methodE3ELS4_3ELS4_3ELNS0_20block_scan_algorithmE0ELj4294967295EEENS1_25partition_config_selectorILNS1_17partition_subalgoE3EjNS0_10empty_typeEbEEZZNS1_14partition_implILS8_3ELb0ES6_jNS0_17counting_iteratorIjlEEPS9_SE_NS0_5tupleIJPjSE_EEENSF_IJSE_SE_EEES9_SG_JZNS1_25segmented_radix_sort_implINS0_14default_configELb1EPKsPsPKlPlN2at6native12_GLOBAL__N_18offset_tEEE10hipError_tPvRmT1_PNSt15iterator_traitsISY_E10value_typeET2_T3_PNSZ_IS14_E10value_typeET4_jRbjT5_S1A_jjP12ihipStream_tbEUljE_EEESV_SW_SX_S14_S18_S1A_T6_T7_T9_mT8_S1C_bDpT10_ENKUlT_T0_E_clISt17integral_constantIbLb0EES1P_EEDaS1K_S1L_EUlS1K_E_NS1_11comp_targetILNS1_3genE2ELNS1_11target_archE906ELNS1_3gpuE6ELNS1_3repE0EEENS1_30default_config_static_selectorELNS0_4arch9wavefront6targetE0EEEvSY_: ; @_ZN7rocprim17ROCPRIM_400000_NS6detail17trampoline_kernelINS0_13select_configILj256ELj13ELNS0_17block_load_methodE3ELS4_3ELS4_3ELNS0_20block_scan_algorithmE0ELj4294967295EEENS1_25partition_config_selectorILNS1_17partition_subalgoE3EjNS0_10empty_typeEbEEZZNS1_14partition_implILS8_3ELb0ES6_jNS0_17counting_iteratorIjlEEPS9_SE_NS0_5tupleIJPjSE_EEENSF_IJSE_SE_EEES9_SG_JZNS1_25segmented_radix_sort_implINS0_14default_configELb1EPKsPsPKlPlN2at6native12_GLOBAL__N_18offset_tEEE10hipError_tPvRmT1_PNSt15iterator_traitsISY_E10value_typeET2_T3_PNSZ_IS14_E10value_typeET4_jRbjT5_S1A_jjP12ihipStream_tbEUljE_EEESV_SW_SX_S14_S18_S1A_T6_T7_T9_mT8_S1C_bDpT10_ENKUlT_T0_E_clISt17integral_constantIbLb0EES1P_EEDaS1K_S1L_EUlS1K_E_NS1_11comp_targetILNS1_3genE2ELNS1_11target_archE906ELNS1_3gpuE6ELNS1_3repE0EEENS1_30default_config_static_selectorELNS0_4arch9wavefront6targetE0EEEvSY_
; %bb.0:
	.section	.rodata,"a",@progbits
	.p2align	6, 0x0
	.amdhsa_kernel _ZN7rocprim17ROCPRIM_400000_NS6detail17trampoline_kernelINS0_13select_configILj256ELj13ELNS0_17block_load_methodE3ELS4_3ELS4_3ELNS0_20block_scan_algorithmE0ELj4294967295EEENS1_25partition_config_selectorILNS1_17partition_subalgoE3EjNS0_10empty_typeEbEEZZNS1_14partition_implILS8_3ELb0ES6_jNS0_17counting_iteratorIjlEEPS9_SE_NS0_5tupleIJPjSE_EEENSF_IJSE_SE_EEES9_SG_JZNS1_25segmented_radix_sort_implINS0_14default_configELb1EPKsPsPKlPlN2at6native12_GLOBAL__N_18offset_tEEE10hipError_tPvRmT1_PNSt15iterator_traitsISY_E10value_typeET2_T3_PNSZ_IS14_E10value_typeET4_jRbjT5_S1A_jjP12ihipStream_tbEUljE_EEESV_SW_SX_S14_S18_S1A_T6_T7_T9_mT8_S1C_bDpT10_ENKUlT_T0_E_clISt17integral_constantIbLb0EES1P_EEDaS1K_S1L_EUlS1K_E_NS1_11comp_targetILNS1_3genE2ELNS1_11target_archE906ELNS1_3gpuE6ELNS1_3repE0EEENS1_30default_config_static_selectorELNS0_4arch9wavefront6targetE0EEEvSY_
		.amdhsa_group_segment_fixed_size 0
		.amdhsa_private_segment_fixed_size 0
		.amdhsa_kernarg_size 144
		.amdhsa_user_sgpr_count 6
		.amdhsa_user_sgpr_private_segment_buffer 1
		.amdhsa_user_sgpr_dispatch_ptr 0
		.amdhsa_user_sgpr_queue_ptr 0
		.amdhsa_user_sgpr_kernarg_segment_ptr 1
		.amdhsa_user_sgpr_dispatch_id 0
		.amdhsa_user_sgpr_flat_scratch_init 0
		.amdhsa_user_sgpr_private_segment_size 0
		.amdhsa_wavefront_size32 1
		.amdhsa_uses_dynamic_stack 0
		.amdhsa_system_sgpr_private_segment_wavefront_offset 0
		.amdhsa_system_sgpr_workgroup_id_x 1
		.amdhsa_system_sgpr_workgroup_id_y 0
		.amdhsa_system_sgpr_workgroup_id_z 0
		.amdhsa_system_sgpr_workgroup_info 0
		.amdhsa_system_vgpr_workitem_id 0
		.amdhsa_next_free_vgpr 1
		.amdhsa_next_free_sgpr 1
		.amdhsa_reserve_vcc 0
		.amdhsa_reserve_flat_scratch 0
		.amdhsa_float_round_mode_32 0
		.amdhsa_float_round_mode_16_64 0
		.amdhsa_float_denorm_mode_32 3
		.amdhsa_float_denorm_mode_16_64 3
		.amdhsa_dx10_clamp 1
		.amdhsa_ieee_mode 1
		.amdhsa_fp16_overflow 0
		.amdhsa_workgroup_processor_mode 1
		.amdhsa_memory_ordered 1
		.amdhsa_forward_progress 1
		.amdhsa_shared_vgpr_count 0
		.amdhsa_exception_fp_ieee_invalid_op 0
		.amdhsa_exception_fp_denorm_src 0
		.amdhsa_exception_fp_ieee_div_zero 0
		.amdhsa_exception_fp_ieee_overflow 0
		.amdhsa_exception_fp_ieee_underflow 0
		.amdhsa_exception_fp_ieee_inexact 0
		.amdhsa_exception_int_div_zero 0
	.end_amdhsa_kernel
	.section	.text._ZN7rocprim17ROCPRIM_400000_NS6detail17trampoline_kernelINS0_13select_configILj256ELj13ELNS0_17block_load_methodE3ELS4_3ELS4_3ELNS0_20block_scan_algorithmE0ELj4294967295EEENS1_25partition_config_selectorILNS1_17partition_subalgoE3EjNS0_10empty_typeEbEEZZNS1_14partition_implILS8_3ELb0ES6_jNS0_17counting_iteratorIjlEEPS9_SE_NS0_5tupleIJPjSE_EEENSF_IJSE_SE_EEES9_SG_JZNS1_25segmented_radix_sort_implINS0_14default_configELb1EPKsPsPKlPlN2at6native12_GLOBAL__N_18offset_tEEE10hipError_tPvRmT1_PNSt15iterator_traitsISY_E10value_typeET2_T3_PNSZ_IS14_E10value_typeET4_jRbjT5_S1A_jjP12ihipStream_tbEUljE_EEESV_SW_SX_S14_S18_S1A_T6_T7_T9_mT8_S1C_bDpT10_ENKUlT_T0_E_clISt17integral_constantIbLb0EES1P_EEDaS1K_S1L_EUlS1K_E_NS1_11comp_targetILNS1_3genE2ELNS1_11target_archE906ELNS1_3gpuE6ELNS1_3repE0EEENS1_30default_config_static_selectorELNS0_4arch9wavefront6targetE0EEEvSY_,"axG",@progbits,_ZN7rocprim17ROCPRIM_400000_NS6detail17trampoline_kernelINS0_13select_configILj256ELj13ELNS0_17block_load_methodE3ELS4_3ELS4_3ELNS0_20block_scan_algorithmE0ELj4294967295EEENS1_25partition_config_selectorILNS1_17partition_subalgoE3EjNS0_10empty_typeEbEEZZNS1_14partition_implILS8_3ELb0ES6_jNS0_17counting_iteratorIjlEEPS9_SE_NS0_5tupleIJPjSE_EEENSF_IJSE_SE_EEES9_SG_JZNS1_25segmented_radix_sort_implINS0_14default_configELb1EPKsPsPKlPlN2at6native12_GLOBAL__N_18offset_tEEE10hipError_tPvRmT1_PNSt15iterator_traitsISY_E10value_typeET2_T3_PNSZ_IS14_E10value_typeET4_jRbjT5_S1A_jjP12ihipStream_tbEUljE_EEESV_SW_SX_S14_S18_S1A_T6_T7_T9_mT8_S1C_bDpT10_ENKUlT_T0_E_clISt17integral_constantIbLb0EES1P_EEDaS1K_S1L_EUlS1K_E_NS1_11comp_targetILNS1_3genE2ELNS1_11target_archE906ELNS1_3gpuE6ELNS1_3repE0EEENS1_30default_config_static_selectorELNS0_4arch9wavefront6targetE0EEEvSY_,comdat
.Lfunc_end877:
	.size	_ZN7rocprim17ROCPRIM_400000_NS6detail17trampoline_kernelINS0_13select_configILj256ELj13ELNS0_17block_load_methodE3ELS4_3ELS4_3ELNS0_20block_scan_algorithmE0ELj4294967295EEENS1_25partition_config_selectorILNS1_17partition_subalgoE3EjNS0_10empty_typeEbEEZZNS1_14partition_implILS8_3ELb0ES6_jNS0_17counting_iteratorIjlEEPS9_SE_NS0_5tupleIJPjSE_EEENSF_IJSE_SE_EEES9_SG_JZNS1_25segmented_radix_sort_implINS0_14default_configELb1EPKsPsPKlPlN2at6native12_GLOBAL__N_18offset_tEEE10hipError_tPvRmT1_PNSt15iterator_traitsISY_E10value_typeET2_T3_PNSZ_IS14_E10value_typeET4_jRbjT5_S1A_jjP12ihipStream_tbEUljE_EEESV_SW_SX_S14_S18_S1A_T6_T7_T9_mT8_S1C_bDpT10_ENKUlT_T0_E_clISt17integral_constantIbLb0EES1P_EEDaS1K_S1L_EUlS1K_E_NS1_11comp_targetILNS1_3genE2ELNS1_11target_archE906ELNS1_3gpuE6ELNS1_3repE0EEENS1_30default_config_static_selectorELNS0_4arch9wavefront6targetE0EEEvSY_, .Lfunc_end877-_ZN7rocprim17ROCPRIM_400000_NS6detail17trampoline_kernelINS0_13select_configILj256ELj13ELNS0_17block_load_methodE3ELS4_3ELS4_3ELNS0_20block_scan_algorithmE0ELj4294967295EEENS1_25partition_config_selectorILNS1_17partition_subalgoE3EjNS0_10empty_typeEbEEZZNS1_14partition_implILS8_3ELb0ES6_jNS0_17counting_iteratorIjlEEPS9_SE_NS0_5tupleIJPjSE_EEENSF_IJSE_SE_EEES9_SG_JZNS1_25segmented_radix_sort_implINS0_14default_configELb1EPKsPsPKlPlN2at6native12_GLOBAL__N_18offset_tEEE10hipError_tPvRmT1_PNSt15iterator_traitsISY_E10value_typeET2_T3_PNSZ_IS14_E10value_typeET4_jRbjT5_S1A_jjP12ihipStream_tbEUljE_EEESV_SW_SX_S14_S18_S1A_T6_T7_T9_mT8_S1C_bDpT10_ENKUlT_T0_E_clISt17integral_constantIbLb0EES1P_EEDaS1K_S1L_EUlS1K_E_NS1_11comp_targetILNS1_3genE2ELNS1_11target_archE906ELNS1_3gpuE6ELNS1_3repE0EEENS1_30default_config_static_selectorELNS0_4arch9wavefront6targetE0EEEvSY_
                                        ; -- End function
	.set _ZN7rocprim17ROCPRIM_400000_NS6detail17trampoline_kernelINS0_13select_configILj256ELj13ELNS0_17block_load_methodE3ELS4_3ELS4_3ELNS0_20block_scan_algorithmE0ELj4294967295EEENS1_25partition_config_selectorILNS1_17partition_subalgoE3EjNS0_10empty_typeEbEEZZNS1_14partition_implILS8_3ELb0ES6_jNS0_17counting_iteratorIjlEEPS9_SE_NS0_5tupleIJPjSE_EEENSF_IJSE_SE_EEES9_SG_JZNS1_25segmented_radix_sort_implINS0_14default_configELb1EPKsPsPKlPlN2at6native12_GLOBAL__N_18offset_tEEE10hipError_tPvRmT1_PNSt15iterator_traitsISY_E10value_typeET2_T3_PNSZ_IS14_E10value_typeET4_jRbjT5_S1A_jjP12ihipStream_tbEUljE_EEESV_SW_SX_S14_S18_S1A_T6_T7_T9_mT8_S1C_bDpT10_ENKUlT_T0_E_clISt17integral_constantIbLb0EES1P_EEDaS1K_S1L_EUlS1K_E_NS1_11comp_targetILNS1_3genE2ELNS1_11target_archE906ELNS1_3gpuE6ELNS1_3repE0EEENS1_30default_config_static_selectorELNS0_4arch9wavefront6targetE0EEEvSY_.num_vgpr, 0
	.set _ZN7rocprim17ROCPRIM_400000_NS6detail17trampoline_kernelINS0_13select_configILj256ELj13ELNS0_17block_load_methodE3ELS4_3ELS4_3ELNS0_20block_scan_algorithmE0ELj4294967295EEENS1_25partition_config_selectorILNS1_17partition_subalgoE3EjNS0_10empty_typeEbEEZZNS1_14partition_implILS8_3ELb0ES6_jNS0_17counting_iteratorIjlEEPS9_SE_NS0_5tupleIJPjSE_EEENSF_IJSE_SE_EEES9_SG_JZNS1_25segmented_radix_sort_implINS0_14default_configELb1EPKsPsPKlPlN2at6native12_GLOBAL__N_18offset_tEEE10hipError_tPvRmT1_PNSt15iterator_traitsISY_E10value_typeET2_T3_PNSZ_IS14_E10value_typeET4_jRbjT5_S1A_jjP12ihipStream_tbEUljE_EEESV_SW_SX_S14_S18_S1A_T6_T7_T9_mT8_S1C_bDpT10_ENKUlT_T0_E_clISt17integral_constantIbLb0EES1P_EEDaS1K_S1L_EUlS1K_E_NS1_11comp_targetILNS1_3genE2ELNS1_11target_archE906ELNS1_3gpuE6ELNS1_3repE0EEENS1_30default_config_static_selectorELNS0_4arch9wavefront6targetE0EEEvSY_.num_agpr, 0
	.set _ZN7rocprim17ROCPRIM_400000_NS6detail17trampoline_kernelINS0_13select_configILj256ELj13ELNS0_17block_load_methodE3ELS4_3ELS4_3ELNS0_20block_scan_algorithmE0ELj4294967295EEENS1_25partition_config_selectorILNS1_17partition_subalgoE3EjNS0_10empty_typeEbEEZZNS1_14partition_implILS8_3ELb0ES6_jNS0_17counting_iteratorIjlEEPS9_SE_NS0_5tupleIJPjSE_EEENSF_IJSE_SE_EEES9_SG_JZNS1_25segmented_radix_sort_implINS0_14default_configELb1EPKsPsPKlPlN2at6native12_GLOBAL__N_18offset_tEEE10hipError_tPvRmT1_PNSt15iterator_traitsISY_E10value_typeET2_T3_PNSZ_IS14_E10value_typeET4_jRbjT5_S1A_jjP12ihipStream_tbEUljE_EEESV_SW_SX_S14_S18_S1A_T6_T7_T9_mT8_S1C_bDpT10_ENKUlT_T0_E_clISt17integral_constantIbLb0EES1P_EEDaS1K_S1L_EUlS1K_E_NS1_11comp_targetILNS1_3genE2ELNS1_11target_archE906ELNS1_3gpuE6ELNS1_3repE0EEENS1_30default_config_static_selectorELNS0_4arch9wavefront6targetE0EEEvSY_.numbered_sgpr, 0
	.set _ZN7rocprim17ROCPRIM_400000_NS6detail17trampoline_kernelINS0_13select_configILj256ELj13ELNS0_17block_load_methodE3ELS4_3ELS4_3ELNS0_20block_scan_algorithmE0ELj4294967295EEENS1_25partition_config_selectorILNS1_17partition_subalgoE3EjNS0_10empty_typeEbEEZZNS1_14partition_implILS8_3ELb0ES6_jNS0_17counting_iteratorIjlEEPS9_SE_NS0_5tupleIJPjSE_EEENSF_IJSE_SE_EEES9_SG_JZNS1_25segmented_radix_sort_implINS0_14default_configELb1EPKsPsPKlPlN2at6native12_GLOBAL__N_18offset_tEEE10hipError_tPvRmT1_PNSt15iterator_traitsISY_E10value_typeET2_T3_PNSZ_IS14_E10value_typeET4_jRbjT5_S1A_jjP12ihipStream_tbEUljE_EEESV_SW_SX_S14_S18_S1A_T6_T7_T9_mT8_S1C_bDpT10_ENKUlT_T0_E_clISt17integral_constantIbLb0EES1P_EEDaS1K_S1L_EUlS1K_E_NS1_11comp_targetILNS1_3genE2ELNS1_11target_archE906ELNS1_3gpuE6ELNS1_3repE0EEENS1_30default_config_static_selectorELNS0_4arch9wavefront6targetE0EEEvSY_.num_named_barrier, 0
	.set _ZN7rocprim17ROCPRIM_400000_NS6detail17trampoline_kernelINS0_13select_configILj256ELj13ELNS0_17block_load_methodE3ELS4_3ELS4_3ELNS0_20block_scan_algorithmE0ELj4294967295EEENS1_25partition_config_selectorILNS1_17partition_subalgoE3EjNS0_10empty_typeEbEEZZNS1_14partition_implILS8_3ELb0ES6_jNS0_17counting_iteratorIjlEEPS9_SE_NS0_5tupleIJPjSE_EEENSF_IJSE_SE_EEES9_SG_JZNS1_25segmented_radix_sort_implINS0_14default_configELb1EPKsPsPKlPlN2at6native12_GLOBAL__N_18offset_tEEE10hipError_tPvRmT1_PNSt15iterator_traitsISY_E10value_typeET2_T3_PNSZ_IS14_E10value_typeET4_jRbjT5_S1A_jjP12ihipStream_tbEUljE_EEESV_SW_SX_S14_S18_S1A_T6_T7_T9_mT8_S1C_bDpT10_ENKUlT_T0_E_clISt17integral_constantIbLb0EES1P_EEDaS1K_S1L_EUlS1K_E_NS1_11comp_targetILNS1_3genE2ELNS1_11target_archE906ELNS1_3gpuE6ELNS1_3repE0EEENS1_30default_config_static_selectorELNS0_4arch9wavefront6targetE0EEEvSY_.private_seg_size, 0
	.set _ZN7rocprim17ROCPRIM_400000_NS6detail17trampoline_kernelINS0_13select_configILj256ELj13ELNS0_17block_load_methodE3ELS4_3ELS4_3ELNS0_20block_scan_algorithmE0ELj4294967295EEENS1_25partition_config_selectorILNS1_17partition_subalgoE3EjNS0_10empty_typeEbEEZZNS1_14partition_implILS8_3ELb0ES6_jNS0_17counting_iteratorIjlEEPS9_SE_NS0_5tupleIJPjSE_EEENSF_IJSE_SE_EEES9_SG_JZNS1_25segmented_radix_sort_implINS0_14default_configELb1EPKsPsPKlPlN2at6native12_GLOBAL__N_18offset_tEEE10hipError_tPvRmT1_PNSt15iterator_traitsISY_E10value_typeET2_T3_PNSZ_IS14_E10value_typeET4_jRbjT5_S1A_jjP12ihipStream_tbEUljE_EEESV_SW_SX_S14_S18_S1A_T6_T7_T9_mT8_S1C_bDpT10_ENKUlT_T0_E_clISt17integral_constantIbLb0EES1P_EEDaS1K_S1L_EUlS1K_E_NS1_11comp_targetILNS1_3genE2ELNS1_11target_archE906ELNS1_3gpuE6ELNS1_3repE0EEENS1_30default_config_static_selectorELNS0_4arch9wavefront6targetE0EEEvSY_.uses_vcc, 0
	.set _ZN7rocprim17ROCPRIM_400000_NS6detail17trampoline_kernelINS0_13select_configILj256ELj13ELNS0_17block_load_methodE3ELS4_3ELS4_3ELNS0_20block_scan_algorithmE0ELj4294967295EEENS1_25partition_config_selectorILNS1_17partition_subalgoE3EjNS0_10empty_typeEbEEZZNS1_14partition_implILS8_3ELb0ES6_jNS0_17counting_iteratorIjlEEPS9_SE_NS0_5tupleIJPjSE_EEENSF_IJSE_SE_EEES9_SG_JZNS1_25segmented_radix_sort_implINS0_14default_configELb1EPKsPsPKlPlN2at6native12_GLOBAL__N_18offset_tEEE10hipError_tPvRmT1_PNSt15iterator_traitsISY_E10value_typeET2_T3_PNSZ_IS14_E10value_typeET4_jRbjT5_S1A_jjP12ihipStream_tbEUljE_EEESV_SW_SX_S14_S18_S1A_T6_T7_T9_mT8_S1C_bDpT10_ENKUlT_T0_E_clISt17integral_constantIbLb0EES1P_EEDaS1K_S1L_EUlS1K_E_NS1_11comp_targetILNS1_3genE2ELNS1_11target_archE906ELNS1_3gpuE6ELNS1_3repE0EEENS1_30default_config_static_selectorELNS0_4arch9wavefront6targetE0EEEvSY_.uses_flat_scratch, 0
	.set _ZN7rocprim17ROCPRIM_400000_NS6detail17trampoline_kernelINS0_13select_configILj256ELj13ELNS0_17block_load_methodE3ELS4_3ELS4_3ELNS0_20block_scan_algorithmE0ELj4294967295EEENS1_25partition_config_selectorILNS1_17partition_subalgoE3EjNS0_10empty_typeEbEEZZNS1_14partition_implILS8_3ELb0ES6_jNS0_17counting_iteratorIjlEEPS9_SE_NS0_5tupleIJPjSE_EEENSF_IJSE_SE_EEES9_SG_JZNS1_25segmented_radix_sort_implINS0_14default_configELb1EPKsPsPKlPlN2at6native12_GLOBAL__N_18offset_tEEE10hipError_tPvRmT1_PNSt15iterator_traitsISY_E10value_typeET2_T3_PNSZ_IS14_E10value_typeET4_jRbjT5_S1A_jjP12ihipStream_tbEUljE_EEESV_SW_SX_S14_S18_S1A_T6_T7_T9_mT8_S1C_bDpT10_ENKUlT_T0_E_clISt17integral_constantIbLb0EES1P_EEDaS1K_S1L_EUlS1K_E_NS1_11comp_targetILNS1_3genE2ELNS1_11target_archE906ELNS1_3gpuE6ELNS1_3repE0EEENS1_30default_config_static_selectorELNS0_4arch9wavefront6targetE0EEEvSY_.has_dyn_sized_stack, 0
	.set _ZN7rocprim17ROCPRIM_400000_NS6detail17trampoline_kernelINS0_13select_configILj256ELj13ELNS0_17block_load_methodE3ELS4_3ELS4_3ELNS0_20block_scan_algorithmE0ELj4294967295EEENS1_25partition_config_selectorILNS1_17partition_subalgoE3EjNS0_10empty_typeEbEEZZNS1_14partition_implILS8_3ELb0ES6_jNS0_17counting_iteratorIjlEEPS9_SE_NS0_5tupleIJPjSE_EEENSF_IJSE_SE_EEES9_SG_JZNS1_25segmented_radix_sort_implINS0_14default_configELb1EPKsPsPKlPlN2at6native12_GLOBAL__N_18offset_tEEE10hipError_tPvRmT1_PNSt15iterator_traitsISY_E10value_typeET2_T3_PNSZ_IS14_E10value_typeET4_jRbjT5_S1A_jjP12ihipStream_tbEUljE_EEESV_SW_SX_S14_S18_S1A_T6_T7_T9_mT8_S1C_bDpT10_ENKUlT_T0_E_clISt17integral_constantIbLb0EES1P_EEDaS1K_S1L_EUlS1K_E_NS1_11comp_targetILNS1_3genE2ELNS1_11target_archE906ELNS1_3gpuE6ELNS1_3repE0EEENS1_30default_config_static_selectorELNS0_4arch9wavefront6targetE0EEEvSY_.has_recursion, 0
	.set _ZN7rocprim17ROCPRIM_400000_NS6detail17trampoline_kernelINS0_13select_configILj256ELj13ELNS0_17block_load_methodE3ELS4_3ELS4_3ELNS0_20block_scan_algorithmE0ELj4294967295EEENS1_25partition_config_selectorILNS1_17partition_subalgoE3EjNS0_10empty_typeEbEEZZNS1_14partition_implILS8_3ELb0ES6_jNS0_17counting_iteratorIjlEEPS9_SE_NS0_5tupleIJPjSE_EEENSF_IJSE_SE_EEES9_SG_JZNS1_25segmented_radix_sort_implINS0_14default_configELb1EPKsPsPKlPlN2at6native12_GLOBAL__N_18offset_tEEE10hipError_tPvRmT1_PNSt15iterator_traitsISY_E10value_typeET2_T3_PNSZ_IS14_E10value_typeET4_jRbjT5_S1A_jjP12ihipStream_tbEUljE_EEESV_SW_SX_S14_S18_S1A_T6_T7_T9_mT8_S1C_bDpT10_ENKUlT_T0_E_clISt17integral_constantIbLb0EES1P_EEDaS1K_S1L_EUlS1K_E_NS1_11comp_targetILNS1_3genE2ELNS1_11target_archE906ELNS1_3gpuE6ELNS1_3repE0EEENS1_30default_config_static_selectorELNS0_4arch9wavefront6targetE0EEEvSY_.has_indirect_call, 0
	.section	.AMDGPU.csdata,"",@progbits
; Kernel info:
; codeLenInByte = 0
; TotalNumSgprs: 0
; NumVgprs: 0
; ScratchSize: 0
; MemoryBound: 0
; FloatMode: 240
; IeeeMode: 1
; LDSByteSize: 0 bytes/workgroup (compile time only)
; SGPRBlocks: 0
; VGPRBlocks: 0
; NumSGPRsForWavesPerEU: 1
; NumVGPRsForWavesPerEU: 1
; Occupancy: 16
; WaveLimiterHint : 0
; COMPUTE_PGM_RSRC2:SCRATCH_EN: 0
; COMPUTE_PGM_RSRC2:USER_SGPR: 6
; COMPUTE_PGM_RSRC2:TRAP_HANDLER: 0
; COMPUTE_PGM_RSRC2:TGID_X_EN: 1
; COMPUTE_PGM_RSRC2:TGID_Y_EN: 0
; COMPUTE_PGM_RSRC2:TGID_Z_EN: 0
; COMPUTE_PGM_RSRC2:TIDIG_COMP_CNT: 0
	.section	.text._ZN7rocprim17ROCPRIM_400000_NS6detail17trampoline_kernelINS0_13select_configILj256ELj13ELNS0_17block_load_methodE3ELS4_3ELS4_3ELNS0_20block_scan_algorithmE0ELj4294967295EEENS1_25partition_config_selectorILNS1_17partition_subalgoE3EjNS0_10empty_typeEbEEZZNS1_14partition_implILS8_3ELb0ES6_jNS0_17counting_iteratorIjlEEPS9_SE_NS0_5tupleIJPjSE_EEENSF_IJSE_SE_EEES9_SG_JZNS1_25segmented_radix_sort_implINS0_14default_configELb1EPKsPsPKlPlN2at6native12_GLOBAL__N_18offset_tEEE10hipError_tPvRmT1_PNSt15iterator_traitsISY_E10value_typeET2_T3_PNSZ_IS14_E10value_typeET4_jRbjT5_S1A_jjP12ihipStream_tbEUljE_EEESV_SW_SX_S14_S18_S1A_T6_T7_T9_mT8_S1C_bDpT10_ENKUlT_T0_E_clISt17integral_constantIbLb0EES1P_EEDaS1K_S1L_EUlS1K_E_NS1_11comp_targetILNS1_3genE10ELNS1_11target_archE1200ELNS1_3gpuE4ELNS1_3repE0EEENS1_30default_config_static_selectorELNS0_4arch9wavefront6targetE0EEEvSY_,"axG",@progbits,_ZN7rocprim17ROCPRIM_400000_NS6detail17trampoline_kernelINS0_13select_configILj256ELj13ELNS0_17block_load_methodE3ELS4_3ELS4_3ELNS0_20block_scan_algorithmE0ELj4294967295EEENS1_25partition_config_selectorILNS1_17partition_subalgoE3EjNS0_10empty_typeEbEEZZNS1_14partition_implILS8_3ELb0ES6_jNS0_17counting_iteratorIjlEEPS9_SE_NS0_5tupleIJPjSE_EEENSF_IJSE_SE_EEES9_SG_JZNS1_25segmented_radix_sort_implINS0_14default_configELb1EPKsPsPKlPlN2at6native12_GLOBAL__N_18offset_tEEE10hipError_tPvRmT1_PNSt15iterator_traitsISY_E10value_typeET2_T3_PNSZ_IS14_E10value_typeET4_jRbjT5_S1A_jjP12ihipStream_tbEUljE_EEESV_SW_SX_S14_S18_S1A_T6_T7_T9_mT8_S1C_bDpT10_ENKUlT_T0_E_clISt17integral_constantIbLb0EES1P_EEDaS1K_S1L_EUlS1K_E_NS1_11comp_targetILNS1_3genE10ELNS1_11target_archE1200ELNS1_3gpuE4ELNS1_3repE0EEENS1_30default_config_static_selectorELNS0_4arch9wavefront6targetE0EEEvSY_,comdat
	.globl	_ZN7rocprim17ROCPRIM_400000_NS6detail17trampoline_kernelINS0_13select_configILj256ELj13ELNS0_17block_load_methodE3ELS4_3ELS4_3ELNS0_20block_scan_algorithmE0ELj4294967295EEENS1_25partition_config_selectorILNS1_17partition_subalgoE3EjNS0_10empty_typeEbEEZZNS1_14partition_implILS8_3ELb0ES6_jNS0_17counting_iteratorIjlEEPS9_SE_NS0_5tupleIJPjSE_EEENSF_IJSE_SE_EEES9_SG_JZNS1_25segmented_radix_sort_implINS0_14default_configELb1EPKsPsPKlPlN2at6native12_GLOBAL__N_18offset_tEEE10hipError_tPvRmT1_PNSt15iterator_traitsISY_E10value_typeET2_T3_PNSZ_IS14_E10value_typeET4_jRbjT5_S1A_jjP12ihipStream_tbEUljE_EEESV_SW_SX_S14_S18_S1A_T6_T7_T9_mT8_S1C_bDpT10_ENKUlT_T0_E_clISt17integral_constantIbLb0EES1P_EEDaS1K_S1L_EUlS1K_E_NS1_11comp_targetILNS1_3genE10ELNS1_11target_archE1200ELNS1_3gpuE4ELNS1_3repE0EEENS1_30default_config_static_selectorELNS0_4arch9wavefront6targetE0EEEvSY_ ; -- Begin function _ZN7rocprim17ROCPRIM_400000_NS6detail17trampoline_kernelINS0_13select_configILj256ELj13ELNS0_17block_load_methodE3ELS4_3ELS4_3ELNS0_20block_scan_algorithmE0ELj4294967295EEENS1_25partition_config_selectorILNS1_17partition_subalgoE3EjNS0_10empty_typeEbEEZZNS1_14partition_implILS8_3ELb0ES6_jNS0_17counting_iteratorIjlEEPS9_SE_NS0_5tupleIJPjSE_EEENSF_IJSE_SE_EEES9_SG_JZNS1_25segmented_radix_sort_implINS0_14default_configELb1EPKsPsPKlPlN2at6native12_GLOBAL__N_18offset_tEEE10hipError_tPvRmT1_PNSt15iterator_traitsISY_E10value_typeET2_T3_PNSZ_IS14_E10value_typeET4_jRbjT5_S1A_jjP12ihipStream_tbEUljE_EEESV_SW_SX_S14_S18_S1A_T6_T7_T9_mT8_S1C_bDpT10_ENKUlT_T0_E_clISt17integral_constantIbLb0EES1P_EEDaS1K_S1L_EUlS1K_E_NS1_11comp_targetILNS1_3genE10ELNS1_11target_archE1200ELNS1_3gpuE4ELNS1_3repE0EEENS1_30default_config_static_selectorELNS0_4arch9wavefront6targetE0EEEvSY_
	.p2align	8
	.type	_ZN7rocprim17ROCPRIM_400000_NS6detail17trampoline_kernelINS0_13select_configILj256ELj13ELNS0_17block_load_methodE3ELS4_3ELS4_3ELNS0_20block_scan_algorithmE0ELj4294967295EEENS1_25partition_config_selectorILNS1_17partition_subalgoE3EjNS0_10empty_typeEbEEZZNS1_14partition_implILS8_3ELb0ES6_jNS0_17counting_iteratorIjlEEPS9_SE_NS0_5tupleIJPjSE_EEENSF_IJSE_SE_EEES9_SG_JZNS1_25segmented_radix_sort_implINS0_14default_configELb1EPKsPsPKlPlN2at6native12_GLOBAL__N_18offset_tEEE10hipError_tPvRmT1_PNSt15iterator_traitsISY_E10value_typeET2_T3_PNSZ_IS14_E10value_typeET4_jRbjT5_S1A_jjP12ihipStream_tbEUljE_EEESV_SW_SX_S14_S18_S1A_T6_T7_T9_mT8_S1C_bDpT10_ENKUlT_T0_E_clISt17integral_constantIbLb0EES1P_EEDaS1K_S1L_EUlS1K_E_NS1_11comp_targetILNS1_3genE10ELNS1_11target_archE1200ELNS1_3gpuE4ELNS1_3repE0EEENS1_30default_config_static_selectorELNS0_4arch9wavefront6targetE0EEEvSY_,@function
_ZN7rocprim17ROCPRIM_400000_NS6detail17trampoline_kernelINS0_13select_configILj256ELj13ELNS0_17block_load_methodE3ELS4_3ELS4_3ELNS0_20block_scan_algorithmE0ELj4294967295EEENS1_25partition_config_selectorILNS1_17partition_subalgoE3EjNS0_10empty_typeEbEEZZNS1_14partition_implILS8_3ELb0ES6_jNS0_17counting_iteratorIjlEEPS9_SE_NS0_5tupleIJPjSE_EEENSF_IJSE_SE_EEES9_SG_JZNS1_25segmented_radix_sort_implINS0_14default_configELb1EPKsPsPKlPlN2at6native12_GLOBAL__N_18offset_tEEE10hipError_tPvRmT1_PNSt15iterator_traitsISY_E10value_typeET2_T3_PNSZ_IS14_E10value_typeET4_jRbjT5_S1A_jjP12ihipStream_tbEUljE_EEESV_SW_SX_S14_S18_S1A_T6_T7_T9_mT8_S1C_bDpT10_ENKUlT_T0_E_clISt17integral_constantIbLb0EES1P_EEDaS1K_S1L_EUlS1K_E_NS1_11comp_targetILNS1_3genE10ELNS1_11target_archE1200ELNS1_3gpuE4ELNS1_3repE0EEENS1_30default_config_static_selectorELNS0_4arch9wavefront6targetE0EEEvSY_: ; @_ZN7rocprim17ROCPRIM_400000_NS6detail17trampoline_kernelINS0_13select_configILj256ELj13ELNS0_17block_load_methodE3ELS4_3ELS4_3ELNS0_20block_scan_algorithmE0ELj4294967295EEENS1_25partition_config_selectorILNS1_17partition_subalgoE3EjNS0_10empty_typeEbEEZZNS1_14partition_implILS8_3ELb0ES6_jNS0_17counting_iteratorIjlEEPS9_SE_NS0_5tupleIJPjSE_EEENSF_IJSE_SE_EEES9_SG_JZNS1_25segmented_radix_sort_implINS0_14default_configELb1EPKsPsPKlPlN2at6native12_GLOBAL__N_18offset_tEEE10hipError_tPvRmT1_PNSt15iterator_traitsISY_E10value_typeET2_T3_PNSZ_IS14_E10value_typeET4_jRbjT5_S1A_jjP12ihipStream_tbEUljE_EEESV_SW_SX_S14_S18_S1A_T6_T7_T9_mT8_S1C_bDpT10_ENKUlT_T0_E_clISt17integral_constantIbLb0EES1P_EEDaS1K_S1L_EUlS1K_E_NS1_11comp_targetILNS1_3genE10ELNS1_11target_archE1200ELNS1_3gpuE4ELNS1_3repE0EEENS1_30default_config_static_selectorELNS0_4arch9wavefront6targetE0EEEvSY_
; %bb.0:
	.section	.rodata,"a",@progbits
	.p2align	6, 0x0
	.amdhsa_kernel _ZN7rocprim17ROCPRIM_400000_NS6detail17trampoline_kernelINS0_13select_configILj256ELj13ELNS0_17block_load_methodE3ELS4_3ELS4_3ELNS0_20block_scan_algorithmE0ELj4294967295EEENS1_25partition_config_selectorILNS1_17partition_subalgoE3EjNS0_10empty_typeEbEEZZNS1_14partition_implILS8_3ELb0ES6_jNS0_17counting_iteratorIjlEEPS9_SE_NS0_5tupleIJPjSE_EEENSF_IJSE_SE_EEES9_SG_JZNS1_25segmented_radix_sort_implINS0_14default_configELb1EPKsPsPKlPlN2at6native12_GLOBAL__N_18offset_tEEE10hipError_tPvRmT1_PNSt15iterator_traitsISY_E10value_typeET2_T3_PNSZ_IS14_E10value_typeET4_jRbjT5_S1A_jjP12ihipStream_tbEUljE_EEESV_SW_SX_S14_S18_S1A_T6_T7_T9_mT8_S1C_bDpT10_ENKUlT_T0_E_clISt17integral_constantIbLb0EES1P_EEDaS1K_S1L_EUlS1K_E_NS1_11comp_targetILNS1_3genE10ELNS1_11target_archE1200ELNS1_3gpuE4ELNS1_3repE0EEENS1_30default_config_static_selectorELNS0_4arch9wavefront6targetE0EEEvSY_
		.amdhsa_group_segment_fixed_size 0
		.amdhsa_private_segment_fixed_size 0
		.amdhsa_kernarg_size 144
		.amdhsa_user_sgpr_count 6
		.amdhsa_user_sgpr_private_segment_buffer 1
		.amdhsa_user_sgpr_dispatch_ptr 0
		.amdhsa_user_sgpr_queue_ptr 0
		.amdhsa_user_sgpr_kernarg_segment_ptr 1
		.amdhsa_user_sgpr_dispatch_id 0
		.amdhsa_user_sgpr_flat_scratch_init 0
		.amdhsa_user_sgpr_private_segment_size 0
		.amdhsa_wavefront_size32 1
		.amdhsa_uses_dynamic_stack 0
		.amdhsa_system_sgpr_private_segment_wavefront_offset 0
		.amdhsa_system_sgpr_workgroup_id_x 1
		.amdhsa_system_sgpr_workgroup_id_y 0
		.amdhsa_system_sgpr_workgroup_id_z 0
		.amdhsa_system_sgpr_workgroup_info 0
		.amdhsa_system_vgpr_workitem_id 0
		.amdhsa_next_free_vgpr 1
		.amdhsa_next_free_sgpr 1
		.amdhsa_reserve_vcc 0
		.amdhsa_reserve_flat_scratch 0
		.amdhsa_float_round_mode_32 0
		.amdhsa_float_round_mode_16_64 0
		.amdhsa_float_denorm_mode_32 3
		.amdhsa_float_denorm_mode_16_64 3
		.amdhsa_dx10_clamp 1
		.amdhsa_ieee_mode 1
		.amdhsa_fp16_overflow 0
		.amdhsa_workgroup_processor_mode 1
		.amdhsa_memory_ordered 1
		.amdhsa_forward_progress 1
		.amdhsa_shared_vgpr_count 0
		.amdhsa_exception_fp_ieee_invalid_op 0
		.amdhsa_exception_fp_denorm_src 0
		.amdhsa_exception_fp_ieee_div_zero 0
		.amdhsa_exception_fp_ieee_overflow 0
		.amdhsa_exception_fp_ieee_underflow 0
		.amdhsa_exception_fp_ieee_inexact 0
		.amdhsa_exception_int_div_zero 0
	.end_amdhsa_kernel
	.section	.text._ZN7rocprim17ROCPRIM_400000_NS6detail17trampoline_kernelINS0_13select_configILj256ELj13ELNS0_17block_load_methodE3ELS4_3ELS4_3ELNS0_20block_scan_algorithmE0ELj4294967295EEENS1_25partition_config_selectorILNS1_17partition_subalgoE3EjNS0_10empty_typeEbEEZZNS1_14partition_implILS8_3ELb0ES6_jNS0_17counting_iteratorIjlEEPS9_SE_NS0_5tupleIJPjSE_EEENSF_IJSE_SE_EEES9_SG_JZNS1_25segmented_radix_sort_implINS0_14default_configELb1EPKsPsPKlPlN2at6native12_GLOBAL__N_18offset_tEEE10hipError_tPvRmT1_PNSt15iterator_traitsISY_E10value_typeET2_T3_PNSZ_IS14_E10value_typeET4_jRbjT5_S1A_jjP12ihipStream_tbEUljE_EEESV_SW_SX_S14_S18_S1A_T6_T7_T9_mT8_S1C_bDpT10_ENKUlT_T0_E_clISt17integral_constantIbLb0EES1P_EEDaS1K_S1L_EUlS1K_E_NS1_11comp_targetILNS1_3genE10ELNS1_11target_archE1200ELNS1_3gpuE4ELNS1_3repE0EEENS1_30default_config_static_selectorELNS0_4arch9wavefront6targetE0EEEvSY_,"axG",@progbits,_ZN7rocprim17ROCPRIM_400000_NS6detail17trampoline_kernelINS0_13select_configILj256ELj13ELNS0_17block_load_methodE3ELS4_3ELS4_3ELNS0_20block_scan_algorithmE0ELj4294967295EEENS1_25partition_config_selectorILNS1_17partition_subalgoE3EjNS0_10empty_typeEbEEZZNS1_14partition_implILS8_3ELb0ES6_jNS0_17counting_iteratorIjlEEPS9_SE_NS0_5tupleIJPjSE_EEENSF_IJSE_SE_EEES9_SG_JZNS1_25segmented_radix_sort_implINS0_14default_configELb1EPKsPsPKlPlN2at6native12_GLOBAL__N_18offset_tEEE10hipError_tPvRmT1_PNSt15iterator_traitsISY_E10value_typeET2_T3_PNSZ_IS14_E10value_typeET4_jRbjT5_S1A_jjP12ihipStream_tbEUljE_EEESV_SW_SX_S14_S18_S1A_T6_T7_T9_mT8_S1C_bDpT10_ENKUlT_T0_E_clISt17integral_constantIbLb0EES1P_EEDaS1K_S1L_EUlS1K_E_NS1_11comp_targetILNS1_3genE10ELNS1_11target_archE1200ELNS1_3gpuE4ELNS1_3repE0EEENS1_30default_config_static_selectorELNS0_4arch9wavefront6targetE0EEEvSY_,comdat
.Lfunc_end878:
	.size	_ZN7rocprim17ROCPRIM_400000_NS6detail17trampoline_kernelINS0_13select_configILj256ELj13ELNS0_17block_load_methodE3ELS4_3ELS4_3ELNS0_20block_scan_algorithmE0ELj4294967295EEENS1_25partition_config_selectorILNS1_17partition_subalgoE3EjNS0_10empty_typeEbEEZZNS1_14partition_implILS8_3ELb0ES6_jNS0_17counting_iteratorIjlEEPS9_SE_NS0_5tupleIJPjSE_EEENSF_IJSE_SE_EEES9_SG_JZNS1_25segmented_radix_sort_implINS0_14default_configELb1EPKsPsPKlPlN2at6native12_GLOBAL__N_18offset_tEEE10hipError_tPvRmT1_PNSt15iterator_traitsISY_E10value_typeET2_T3_PNSZ_IS14_E10value_typeET4_jRbjT5_S1A_jjP12ihipStream_tbEUljE_EEESV_SW_SX_S14_S18_S1A_T6_T7_T9_mT8_S1C_bDpT10_ENKUlT_T0_E_clISt17integral_constantIbLb0EES1P_EEDaS1K_S1L_EUlS1K_E_NS1_11comp_targetILNS1_3genE10ELNS1_11target_archE1200ELNS1_3gpuE4ELNS1_3repE0EEENS1_30default_config_static_selectorELNS0_4arch9wavefront6targetE0EEEvSY_, .Lfunc_end878-_ZN7rocprim17ROCPRIM_400000_NS6detail17trampoline_kernelINS0_13select_configILj256ELj13ELNS0_17block_load_methodE3ELS4_3ELS4_3ELNS0_20block_scan_algorithmE0ELj4294967295EEENS1_25partition_config_selectorILNS1_17partition_subalgoE3EjNS0_10empty_typeEbEEZZNS1_14partition_implILS8_3ELb0ES6_jNS0_17counting_iteratorIjlEEPS9_SE_NS0_5tupleIJPjSE_EEENSF_IJSE_SE_EEES9_SG_JZNS1_25segmented_radix_sort_implINS0_14default_configELb1EPKsPsPKlPlN2at6native12_GLOBAL__N_18offset_tEEE10hipError_tPvRmT1_PNSt15iterator_traitsISY_E10value_typeET2_T3_PNSZ_IS14_E10value_typeET4_jRbjT5_S1A_jjP12ihipStream_tbEUljE_EEESV_SW_SX_S14_S18_S1A_T6_T7_T9_mT8_S1C_bDpT10_ENKUlT_T0_E_clISt17integral_constantIbLb0EES1P_EEDaS1K_S1L_EUlS1K_E_NS1_11comp_targetILNS1_3genE10ELNS1_11target_archE1200ELNS1_3gpuE4ELNS1_3repE0EEENS1_30default_config_static_selectorELNS0_4arch9wavefront6targetE0EEEvSY_
                                        ; -- End function
	.set _ZN7rocprim17ROCPRIM_400000_NS6detail17trampoline_kernelINS0_13select_configILj256ELj13ELNS0_17block_load_methodE3ELS4_3ELS4_3ELNS0_20block_scan_algorithmE0ELj4294967295EEENS1_25partition_config_selectorILNS1_17partition_subalgoE3EjNS0_10empty_typeEbEEZZNS1_14partition_implILS8_3ELb0ES6_jNS0_17counting_iteratorIjlEEPS9_SE_NS0_5tupleIJPjSE_EEENSF_IJSE_SE_EEES9_SG_JZNS1_25segmented_radix_sort_implINS0_14default_configELb1EPKsPsPKlPlN2at6native12_GLOBAL__N_18offset_tEEE10hipError_tPvRmT1_PNSt15iterator_traitsISY_E10value_typeET2_T3_PNSZ_IS14_E10value_typeET4_jRbjT5_S1A_jjP12ihipStream_tbEUljE_EEESV_SW_SX_S14_S18_S1A_T6_T7_T9_mT8_S1C_bDpT10_ENKUlT_T0_E_clISt17integral_constantIbLb0EES1P_EEDaS1K_S1L_EUlS1K_E_NS1_11comp_targetILNS1_3genE10ELNS1_11target_archE1200ELNS1_3gpuE4ELNS1_3repE0EEENS1_30default_config_static_selectorELNS0_4arch9wavefront6targetE0EEEvSY_.num_vgpr, 0
	.set _ZN7rocprim17ROCPRIM_400000_NS6detail17trampoline_kernelINS0_13select_configILj256ELj13ELNS0_17block_load_methodE3ELS4_3ELS4_3ELNS0_20block_scan_algorithmE0ELj4294967295EEENS1_25partition_config_selectorILNS1_17partition_subalgoE3EjNS0_10empty_typeEbEEZZNS1_14partition_implILS8_3ELb0ES6_jNS0_17counting_iteratorIjlEEPS9_SE_NS0_5tupleIJPjSE_EEENSF_IJSE_SE_EEES9_SG_JZNS1_25segmented_radix_sort_implINS0_14default_configELb1EPKsPsPKlPlN2at6native12_GLOBAL__N_18offset_tEEE10hipError_tPvRmT1_PNSt15iterator_traitsISY_E10value_typeET2_T3_PNSZ_IS14_E10value_typeET4_jRbjT5_S1A_jjP12ihipStream_tbEUljE_EEESV_SW_SX_S14_S18_S1A_T6_T7_T9_mT8_S1C_bDpT10_ENKUlT_T0_E_clISt17integral_constantIbLb0EES1P_EEDaS1K_S1L_EUlS1K_E_NS1_11comp_targetILNS1_3genE10ELNS1_11target_archE1200ELNS1_3gpuE4ELNS1_3repE0EEENS1_30default_config_static_selectorELNS0_4arch9wavefront6targetE0EEEvSY_.num_agpr, 0
	.set _ZN7rocprim17ROCPRIM_400000_NS6detail17trampoline_kernelINS0_13select_configILj256ELj13ELNS0_17block_load_methodE3ELS4_3ELS4_3ELNS0_20block_scan_algorithmE0ELj4294967295EEENS1_25partition_config_selectorILNS1_17partition_subalgoE3EjNS0_10empty_typeEbEEZZNS1_14partition_implILS8_3ELb0ES6_jNS0_17counting_iteratorIjlEEPS9_SE_NS0_5tupleIJPjSE_EEENSF_IJSE_SE_EEES9_SG_JZNS1_25segmented_radix_sort_implINS0_14default_configELb1EPKsPsPKlPlN2at6native12_GLOBAL__N_18offset_tEEE10hipError_tPvRmT1_PNSt15iterator_traitsISY_E10value_typeET2_T3_PNSZ_IS14_E10value_typeET4_jRbjT5_S1A_jjP12ihipStream_tbEUljE_EEESV_SW_SX_S14_S18_S1A_T6_T7_T9_mT8_S1C_bDpT10_ENKUlT_T0_E_clISt17integral_constantIbLb0EES1P_EEDaS1K_S1L_EUlS1K_E_NS1_11comp_targetILNS1_3genE10ELNS1_11target_archE1200ELNS1_3gpuE4ELNS1_3repE0EEENS1_30default_config_static_selectorELNS0_4arch9wavefront6targetE0EEEvSY_.numbered_sgpr, 0
	.set _ZN7rocprim17ROCPRIM_400000_NS6detail17trampoline_kernelINS0_13select_configILj256ELj13ELNS0_17block_load_methodE3ELS4_3ELS4_3ELNS0_20block_scan_algorithmE0ELj4294967295EEENS1_25partition_config_selectorILNS1_17partition_subalgoE3EjNS0_10empty_typeEbEEZZNS1_14partition_implILS8_3ELb0ES6_jNS0_17counting_iteratorIjlEEPS9_SE_NS0_5tupleIJPjSE_EEENSF_IJSE_SE_EEES9_SG_JZNS1_25segmented_radix_sort_implINS0_14default_configELb1EPKsPsPKlPlN2at6native12_GLOBAL__N_18offset_tEEE10hipError_tPvRmT1_PNSt15iterator_traitsISY_E10value_typeET2_T3_PNSZ_IS14_E10value_typeET4_jRbjT5_S1A_jjP12ihipStream_tbEUljE_EEESV_SW_SX_S14_S18_S1A_T6_T7_T9_mT8_S1C_bDpT10_ENKUlT_T0_E_clISt17integral_constantIbLb0EES1P_EEDaS1K_S1L_EUlS1K_E_NS1_11comp_targetILNS1_3genE10ELNS1_11target_archE1200ELNS1_3gpuE4ELNS1_3repE0EEENS1_30default_config_static_selectorELNS0_4arch9wavefront6targetE0EEEvSY_.num_named_barrier, 0
	.set _ZN7rocprim17ROCPRIM_400000_NS6detail17trampoline_kernelINS0_13select_configILj256ELj13ELNS0_17block_load_methodE3ELS4_3ELS4_3ELNS0_20block_scan_algorithmE0ELj4294967295EEENS1_25partition_config_selectorILNS1_17partition_subalgoE3EjNS0_10empty_typeEbEEZZNS1_14partition_implILS8_3ELb0ES6_jNS0_17counting_iteratorIjlEEPS9_SE_NS0_5tupleIJPjSE_EEENSF_IJSE_SE_EEES9_SG_JZNS1_25segmented_radix_sort_implINS0_14default_configELb1EPKsPsPKlPlN2at6native12_GLOBAL__N_18offset_tEEE10hipError_tPvRmT1_PNSt15iterator_traitsISY_E10value_typeET2_T3_PNSZ_IS14_E10value_typeET4_jRbjT5_S1A_jjP12ihipStream_tbEUljE_EEESV_SW_SX_S14_S18_S1A_T6_T7_T9_mT8_S1C_bDpT10_ENKUlT_T0_E_clISt17integral_constantIbLb0EES1P_EEDaS1K_S1L_EUlS1K_E_NS1_11comp_targetILNS1_3genE10ELNS1_11target_archE1200ELNS1_3gpuE4ELNS1_3repE0EEENS1_30default_config_static_selectorELNS0_4arch9wavefront6targetE0EEEvSY_.private_seg_size, 0
	.set _ZN7rocprim17ROCPRIM_400000_NS6detail17trampoline_kernelINS0_13select_configILj256ELj13ELNS0_17block_load_methodE3ELS4_3ELS4_3ELNS0_20block_scan_algorithmE0ELj4294967295EEENS1_25partition_config_selectorILNS1_17partition_subalgoE3EjNS0_10empty_typeEbEEZZNS1_14partition_implILS8_3ELb0ES6_jNS0_17counting_iteratorIjlEEPS9_SE_NS0_5tupleIJPjSE_EEENSF_IJSE_SE_EEES9_SG_JZNS1_25segmented_radix_sort_implINS0_14default_configELb1EPKsPsPKlPlN2at6native12_GLOBAL__N_18offset_tEEE10hipError_tPvRmT1_PNSt15iterator_traitsISY_E10value_typeET2_T3_PNSZ_IS14_E10value_typeET4_jRbjT5_S1A_jjP12ihipStream_tbEUljE_EEESV_SW_SX_S14_S18_S1A_T6_T7_T9_mT8_S1C_bDpT10_ENKUlT_T0_E_clISt17integral_constantIbLb0EES1P_EEDaS1K_S1L_EUlS1K_E_NS1_11comp_targetILNS1_3genE10ELNS1_11target_archE1200ELNS1_3gpuE4ELNS1_3repE0EEENS1_30default_config_static_selectorELNS0_4arch9wavefront6targetE0EEEvSY_.uses_vcc, 0
	.set _ZN7rocprim17ROCPRIM_400000_NS6detail17trampoline_kernelINS0_13select_configILj256ELj13ELNS0_17block_load_methodE3ELS4_3ELS4_3ELNS0_20block_scan_algorithmE0ELj4294967295EEENS1_25partition_config_selectorILNS1_17partition_subalgoE3EjNS0_10empty_typeEbEEZZNS1_14partition_implILS8_3ELb0ES6_jNS0_17counting_iteratorIjlEEPS9_SE_NS0_5tupleIJPjSE_EEENSF_IJSE_SE_EEES9_SG_JZNS1_25segmented_radix_sort_implINS0_14default_configELb1EPKsPsPKlPlN2at6native12_GLOBAL__N_18offset_tEEE10hipError_tPvRmT1_PNSt15iterator_traitsISY_E10value_typeET2_T3_PNSZ_IS14_E10value_typeET4_jRbjT5_S1A_jjP12ihipStream_tbEUljE_EEESV_SW_SX_S14_S18_S1A_T6_T7_T9_mT8_S1C_bDpT10_ENKUlT_T0_E_clISt17integral_constantIbLb0EES1P_EEDaS1K_S1L_EUlS1K_E_NS1_11comp_targetILNS1_3genE10ELNS1_11target_archE1200ELNS1_3gpuE4ELNS1_3repE0EEENS1_30default_config_static_selectorELNS0_4arch9wavefront6targetE0EEEvSY_.uses_flat_scratch, 0
	.set _ZN7rocprim17ROCPRIM_400000_NS6detail17trampoline_kernelINS0_13select_configILj256ELj13ELNS0_17block_load_methodE3ELS4_3ELS4_3ELNS0_20block_scan_algorithmE0ELj4294967295EEENS1_25partition_config_selectorILNS1_17partition_subalgoE3EjNS0_10empty_typeEbEEZZNS1_14partition_implILS8_3ELb0ES6_jNS0_17counting_iteratorIjlEEPS9_SE_NS0_5tupleIJPjSE_EEENSF_IJSE_SE_EEES9_SG_JZNS1_25segmented_radix_sort_implINS0_14default_configELb1EPKsPsPKlPlN2at6native12_GLOBAL__N_18offset_tEEE10hipError_tPvRmT1_PNSt15iterator_traitsISY_E10value_typeET2_T3_PNSZ_IS14_E10value_typeET4_jRbjT5_S1A_jjP12ihipStream_tbEUljE_EEESV_SW_SX_S14_S18_S1A_T6_T7_T9_mT8_S1C_bDpT10_ENKUlT_T0_E_clISt17integral_constantIbLb0EES1P_EEDaS1K_S1L_EUlS1K_E_NS1_11comp_targetILNS1_3genE10ELNS1_11target_archE1200ELNS1_3gpuE4ELNS1_3repE0EEENS1_30default_config_static_selectorELNS0_4arch9wavefront6targetE0EEEvSY_.has_dyn_sized_stack, 0
	.set _ZN7rocprim17ROCPRIM_400000_NS6detail17trampoline_kernelINS0_13select_configILj256ELj13ELNS0_17block_load_methodE3ELS4_3ELS4_3ELNS0_20block_scan_algorithmE0ELj4294967295EEENS1_25partition_config_selectorILNS1_17partition_subalgoE3EjNS0_10empty_typeEbEEZZNS1_14partition_implILS8_3ELb0ES6_jNS0_17counting_iteratorIjlEEPS9_SE_NS0_5tupleIJPjSE_EEENSF_IJSE_SE_EEES9_SG_JZNS1_25segmented_radix_sort_implINS0_14default_configELb1EPKsPsPKlPlN2at6native12_GLOBAL__N_18offset_tEEE10hipError_tPvRmT1_PNSt15iterator_traitsISY_E10value_typeET2_T3_PNSZ_IS14_E10value_typeET4_jRbjT5_S1A_jjP12ihipStream_tbEUljE_EEESV_SW_SX_S14_S18_S1A_T6_T7_T9_mT8_S1C_bDpT10_ENKUlT_T0_E_clISt17integral_constantIbLb0EES1P_EEDaS1K_S1L_EUlS1K_E_NS1_11comp_targetILNS1_3genE10ELNS1_11target_archE1200ELNS1_3gpuE4ELNS1_3repE0EEENS1_30default_config_static_selectorELNS0_4arch9wavefront6targetE0EEEvSY_.has_recursion, 0
	.set _ZN7rocprim17ROCPRIM_400000_NS6detail17trampoline_kernelINS0_13select_configILj256ELj13ELNS0_17block_load_methodE3ELS4_3ELS4_3ELNS0_20block_scan_algorithmE0ELj4294967295EEENS1_25partition_config_selectorILNS1_17partition_subalgoE3EjNS0_10empty_typeEbEEZZNS1_14partition_implILS8_3ELb0ES6_jNS0_17counting_iteratorIjlEEPS9_SE_NS0_5tupleIJPjSE_EEENSF_IJSE_SE_EEES9_SG_JZNS1_25segmented_radix_sort_implINS0_14default_configELb1EPKsPsPKlPlN2at6native12_GLOBAL__N_18offset_tEEE10hipError_tPvRmT1_PNSt15iterator_traitsISY_E10value_typeET2_T3_PNSZ_IS14_E10value_typeET4_jRbjT5_S1A_jjP12ihipStream_tbEUljE_EEESV_SW_SX_S14_S18_S1A_T6_T7_T9_mT8_S1C_bDpT10_ENKUlT_T0_E_clISt17integral_constantIbLb0EES1P_EEDaS1K_S1L_EUlS1K_E_NS1_11comp_targetILNS1_3genE10ELNS1_11target_archE1200ELNS1_3gpuE4ELNS1_3repE0EEENS1_30default_config_static_selectorELNS0_4arch9wavefront6targetE0EEEvSY_.has_indirect_call, 0
	.section	.AMDGPU.csdata,"",@progbits
; Kernel info:
; codeLenInByte = 0
; TotalNumSgprs: 0
; NumVgprs: 0
; ScratchSize: 0
; MemoryBound: 0
; FloatMode: 240
; IeeeMode: 1
; LDSByteSize: 0 bytes/workgroup (compile time only)
; SGPRBlocks: 0
; VGPRBlocks: 0
; NumSGPRsForWavesPerEU: 1
; NumVGPRsForWavesPerEU: 1
; Occupancy: 16
; WaveLimiterHint : 0
; COMPUTE_PGM_RSRC2:SCRATCH_EN: 0
; COMPUTE_PGM_RSRC2:USER_SGPR: 6
; COMPUTE_PGM_RSRC2:TRAP_HANDLER: 0
; COMPUTE_PGM_RSRC2:TGID_X_EN: 1
; COMPUTE_PGM_RSRC2:TGID_Y_EN: 0
; COMPUTE_PGM_RSRC2:TGID_Z_EN: 0
; COMPUTE_PGM_RSRC2:TIDIG_COMP_CNT: 0
	.section	.text._ZN7rocprim17ROCPRIM_400000_NS6detail17trampoline_kernelINS0_13select_configILj256ELj13ELNS0_17block_load_methodE3ELS4_3ELS4_3ELNS0_20block_scan_algorithmE0ELj4294967295EEENS1_25partition_config_selectorILNS1_17partition_subalgoE3EjNS0_10empty_typeEbEEZZNS1_14partition_implILS8_3ELb0ES6_jNS0_17counting_iteratorIjlEEPS9_SE_NS0_5tupleIJPjSE_EEENSF_IJSE_SE_EEES9_SG_JZNS1_25segmented_radix_sort_implINS0_14default_configELb1EPKsPsPKlPlN2at6native12_GLOBAL__N_18offset_tEEE10hipError_tPvRmT1_PNSt15iterator_traitsISY_E10value_typeET2_T3_PNSZ_IS14_E10value_typeET4_jRbjT5_S1A_jjP12ihipStream_tbEUljE_EEESV_SW_SX_S14_S18_S1A_T6_T7_T9_mT8_S1C_bDpT10_ENKUlT_T0_E_clISt17integral_constantIbLb0EES1P_EEDaS1K_S1L_EUlS1K_E_NS1_11comp_targetILNS1_3genE9ELNS1_11target_archE1100ELNS1_3gpuE3ELNS1_3repE0EEENS1_30default_config_static_selectorELNS0_4arch9wavefront6targetE0EEEvSY_,"axG",@progbits,_ZN7rocprim17ROCPRIM_400000_NS6detail17trampoline_kernelINS0_13select_configILj256ELj13ELNS0_17block_load_methodE3ELS4_3ELS4_3ELNS0_20block_scan_algorithmE0ELj4294967295EEENS1_25partition_config_selectorILNS1_17partition_subalgoE3EjNS0_10empty_typeEbEEZZNS1_14partition_implILS8_3ELb0ES6_jNS0_17counting_iteratorIjlEEPS9_SE_NS0_5tupleIJPjSE_EEENSF_IJSE_SE_EEES9_SG_JZNS1_25segmented_radix_sort_implINS0_14default_configELb1EPKsPsPKlPlN2at6native12_GLOBAL__N_18offset_tEEE10hipError_tPvRmT1_PNSt15iterator_traitsISY_E10value_typeET2_T3_PNSZ_IS14_E10value_typeET4_jRbjT5_S1A_jjP12ihipStream_tbEUljE_EEESV_SW_SX_S14_S18_S1A_T6_T7_T9_mT8_S1C_bDpT10_ENKUlT_T0_E_clISt17integral_constantIbLb0EES1P_EEDaS1K_S1L_EUlS1K_E_NS1_11comp_targetILNS1_3genE9ELNS1_11target_archE1100ELNS1_3gpuE3ELNS1_3repE0EEENS1_30default_config_static_selectorELNS0_4arch9wavefront6targetE0EEEvSY_,comdat
	.globl	_ZN7rocprim17ROCPRIM_400000_NS6detail17trampoline_kernelINS0_13select_configILj256ELj13ELNS0_17block_load_methodE3ELS4_3ELS4_3ELNS0_20block_scan_algorithmE0ELj4294967295EEENS1_25partition_config_selectorILNS1_17partition_subalgoE3EjNS0_10empty_typeEbEEZZNS1_14partition_implILS8_3ELb0ES6_jNS0_17counting_iteratorIjlEEPS9_SE_NS0_5tupleIJPjSE_EEENSF_IJSE_SE_EEES9_SG_JZNS1_25segmented_radix_sort_implINS0_14default_configELb1EPKsPsPKlPlN2at6native12_GLOBAL__N_18offset_tEEE10hipError_tPvRmT1_PNSt15iterator_traitsISY_E10value_typeET2_T3_PNSZ_IS14_E10value_typeET4_jRbjT5_S1A_jjP12ihipStream_tbEUljE_EEESV_SW_SX_S14_S18_S1A_T6_T7_T9_mT8_S1C_bDpT10_ENKUlT_T0_E_clISt17integral_constantIbLb0EES1P_EEDaS1K_S1L_EUlS1K_E_NS1_11comp_targetILNS1_3genE9ELNS1_11target_archE1100ELNS1_3gpuE3ELNS1_3repE0EEENS1_30default_config_static_selectorELNS0_4arch9wavefront6targetE0EEEvSY_ ; -- Begin function _ZN7rocprim17ROCPRIM_400000_NS6detail17trampoline_kernelINS0_13select_configILj256ELj13ELNS0_17block_load_methodE3ELS4_3ELS4_3ELNS0_20block_scan_algorithmE0ELj4294967295EEENS1_25partition_config_selectorILNS1_17partition_subalgoE3EjNS0_10empty_typeEbEEZZNS1_14partition_implILS8_3ELb0ES6_jNS0_17counting_iteratorIjlEEPS9_SE_NS0_5tupleIJPjSE_EEENSF_IJSE_SE_EEES9_SG_JZNS1_25segmented_radix_sort_implINS0_14default_configELb1EPKsPsPKlPlN2at6native12_GLOBAL__N_18offset_tEEE10hipError_tPvRmT1_PNSt15iterator_traitsISY_E10value_typeET2_T3_PNSZ_IS14_E10value_typeET4_jRbjT5_S1A_jjP12ihipStream_tbEUljE_EEESV_SW_SX_S14_S18_S1A_T6_T7_T9_mT8_S1C_bDpT10_ENKUlT_T0_E_clISt17integral_constantIbLb0EES1P_EEDaS1K_S1L_EUlS1K_E_NS1_11comp_targetILNS1_3genE9ELNS1_11target_archE1100ELNS1_3gpuE3ELNS1_3repE0EEENS1_30default_config_static_selectorELNS0_4arch9wavefront6targetE0EEEvSY_
	.p2align	8
	.type	_ZN7rocprim17ROCPRIM_400000_NS6detail17trampoline_kernelINS0_13select_configILj256ELj13ELNS0_17block_load_methodE3ELS4_3ELS4_3ELNS0_20block_scan_algorithmE0ELj4294967295EEENS1_25partition_config_selectorILNS1_17partition_subalgoE3EjNS0_10empty_typeEbEEZZNS1_14partition_implILS8_3ELb0ES6_jNS0_17counting_iteratorIjlEEPS9_SE_NS0_5tupleIJPjSE_EEENSF_IJSE_SE_EEES9_SG_JZNS1_25segmented_radix_sort_implINS0_14default_configELb1EPKsPsPKlPlN2at6native12_GLOBAL__N_18offset_tEEE10hipError_tPvRmT1_PNSt15iterator_traitsISY_E10value_typeET2_T3_PNSZ_IS14_E10value_typeET4_jRbjT5_S1A_jjP12ihipStream_tbEUljE_EEESV_SW_SX_S14_S18_S1A_T6_T7_T9_mT8_S1C_bDpT10_ENKUlT_T0_E_clISt17integral_constantIbLb0EES1P_EEDaS1K_S1L_EUlS1K_E_NS1_11comp_targetILNS1_3genE9ELNS1_11target_archE1100ELNS1_3gpuE3ELNS1_3repE0EEENS1_30default_config_static_selectorELNS0_4arch9wavefront6targetE0EEEvSY_,@function
_ZN7rocprim17ROCPRIM_400000_NS6detail17trampoline_kernelINS0_13select_configILj256ELj13ELNS0_17block_load_methodE3ELS4_3ELS4_3ELNS0_20block_scan_algorithmE0ELj4294967295EEENS1_25partition_config_selectorILNS1_17partition_subalgoE3EjNS0_10empty_typeEbEEZZNS1_14partition_implILS8_3ELb0ES6_jNS0_17counting_iteratorIjlEEPS9_SE_NS0_5tupleIJPjSE_EEENSF_IJSE_SE_EEES9_SG_JZNS1_25segmented_radix_sort_implINS0_14default_configELb1EPKsPsPKlPlN2at6native12_GLOBAL__N_18offset_tEEE10hipError_tPvRmT1_PNSt15iterator_traitsISY_E10value_typeET2_T3_PNSZ_IS14_E10value_typeET4_jRbjT5_S1A_jjP12ihipStream_tbEUljE_EEESV_SW_SX_S14_S18_S1A_T6_T7_T9_mT8_S1C_bDpT10_ENKUlT_T0_E_clISt17integral_constantIbLb0EES1P_EEDaS1K_S1L_EUlS1K_E_NS1_11comp_targetILNS1_3genE9ELNS1_11target_archE1100ELNS1_3gpuE3ELNS1_3repE0EEENS1_30default_config_static_selectorELNS0_4arch9wavefront6targetE0EEEvSY_: ; @_ZN7rocprim17ROCPRIM_400000_NS6detail17trampoline_kernelINS0_13select_configILj256ELj13ELNS0_17block_load_methodE3ELS4_3ELS4_3ELNS0_20block_scan_algorithmE0ELj4294967295EEENS1_25partition_config_selectorILNS1_17partition_subalgoE3EjNS0_10empty_typeEbEEZZNS1_14partition_implILS8_3ELb0ES6_jNS0_17counting_iteratorIjlEEPS9_SE_NS0_5tupleIJPjSE_EEENSF_IJSE_SE_EEES9_SG_JZNS1_25segmented_radix_sort_implINS0_14default_configELb1EPKsPsPKlPlN2at6native12_GLOBAL__N_18offset_tEEE10hipError_tPvRmT1_PNSt15iterator_traitsISY_E10value_typeET2_T3_PNSZ_IS14_E10value_typeET4_jRbjT5_S1A_jjP12ihipStream_tbEUljE_EEESV_SW_SX_S14_S18_S1A_T6_T7_T9_mT8_S1C_bDpT10_ENKUlT_T0_E_clISt17integral_constantIbLb0EES1P_EEDaS1K_S1L_EUlS1K_E_NS1_11comp_targetILNS1_3genE9ELNS1_11target_archE1100ELNS1_3gpuE3ELNS1_3repE0EEENS1_30default_config_static_selectorELNS0_4arch9wavefront6targetE0EEEvSY_
; %bb.0:
	.section	.rodata,"a",@progbits
	.p2align	6, 0x0
	.amdhsa_kernel _ZN7rocprim17ROCPRIM_400000_NS6detail17trampoline_kernelINS0_13select_configILj256ELj13ELNS0_17block_load_methodE3ELS4_3ELS4_3ELNS0_20block_scan_algorithmE0ELj4294967295EEENS1_25partition_config_selectorILNS1_17partition_subalgoE3EjNS0_10empty_typeEbEEZZNS1_14partition_implILS8_3ELb0ES6_jNS0_17counting_iteratorIjlEEPS9_SE_NS0_5tupleIJPjSE_EEENSF_IJSE_SE_EEES9_SG_JZNS1_25segmented_radix_sort_implINS0_14default_configELb1EPKsPsPKlPlN2at6native12_GLOBAL__N_18offset_tEEE10hipError_tPvRmT1_PNSt15iterator_traitsISY_E10value_typeET2_T3_PNSZ_IS14_E10value_typeET4_jRbjT5_S1A_jjP12ihipStream_tbEUljE_EEESV_SW_SX_S14_S18_S1A_T6_T7_T9_mT8_S1C_bDpT10_ENKUlT_T0_E_clISt17integral_constantIbLb0EES1P_EEDaS1K_S1L_EUlS1K_E_NS1_11comp_targetILNS1_3genE9ELNS1_11target_archE1100ELNS1_3gpuE3ELNS1_3repE0EEENS1_30default_config_static_selectorELNS0_4arch9wavefront6targetE0EEEvSY_
		.amdhsa_group_segment_fixed_size 0
		.amdhsa_private_segment_fixed_size 0
		.amdhsa_kernarg_size 144
		.amdhsa_user_sgpr_count 6
		.amdhsa_user_sgpr_private_segment_buffer 1
		.amdhsa_user_sgpr_dispatch_ptr 0
		.amdhsa_user_sgpr_queue_ptr 0
		.amdhsa_user_sgpr_kernarg_segment_ptr 1
		.amdhsa_user_sgpr_dispatch_id 0
		.amdhsa_user_sgpr_flat_scratch_init 0
		.amdhsa_user_sgpr_private_segment_size 0
		.amdhsa_wavefront_size32 1
		.amdhsa_uses_dynamic_stack 0
		.amdhsa_system_sgpr_private_segment_wavefront_offset 0
		.amdhsa_system_sgpr_workgroup_id_x 1
		.amdhsa_system_sgpr_workgroup_id_y 0
		.amdhsa_system_sgpr_workgroup_id_z 0
		.amdhsa_system_sgpr_workgroup_info 0
		.amdhsa_system_vgpr_workitem_id 0
		.amdhsa_next_free_vgpr 1
		.amdhsa_next_free_sgpr 1
		.amdhsa_reserve_vcc 0
		.amdhsa_reserve_flat_scratch 0
		.amdhsa_float_round_mode_32 0
		.amdhsa_float_round_mode_16_64 0
		.amdhsa_float_denorm_mode_32 3
		.amdhsa_float_denorm_mode_16_64 3
		.amdhsa_dx10_clamp 1
		.amdhsa_ieee_mode 1
		.amdhsa_fp16_overflow 0
		.amdhsa_workgroup_processor_mode 1
		.amdhsa_memory_ordered 1
		.amdhsa_forward_progress 1
		.amdhsa_shared_vgpr_count 0
		.amdhsa_exception_fp_ieee_invalid_op 0
		.amdhsa_exception_fp_denorm_src 0
		.amdhsa_exception_fp_ieee_div_zero 0
		.amdhsa_exception_fp_ieee_overflow 0
		.amdhsa_exception_fp_ieee_underflow 0
		.amdhsa_exception_fp_ieee_inexact 0
		.amdhsa_exception_int_div_zero 0
	.end_amdhsa_kernel
	.section	.text._ZN7rocprim17ROCPRIM_400000_NS6detail17trampoline_kernelINS0_13select_configILj256ELj13ELNS0_17block_load_methodE3ELS4_3ELS4_3ELNS0_20block_scan_algorithmE0ELj4294967295EEENS1_25partition_config_selectorILNS1_17partition_subalgoE3EjNS0_10empty_typeEbEEZZNS1_14partition_implILS8_3ELb0ES6_jNS0_17counting_iteratorIjlEEPS9_SE_NS0_5tupleIJPjSE_EEENSF_IJSE_SE_EEES9_SG_JZNS1_25segmented_radix_sort_implINS0_14default_configELb1EPKsPsPKlPlN2at6native12_GLOBAL__N_18offset_tEEE10hipError_tPvRmT1_PNSt15iterator_traitsISY_E10value_typeET2_T3_PNSZ_IS14_E10value_typeET4_jRbjT5_S1A_jjP12ihipStream_tbEUljE_EEESV_SW_SX_S14_S18_S1A_T6_T7_T9_mT8_S1C_bDpT10_ENKUlT_T0_E_clISt17integral_constantIbLb0EES1P_EEDaS1K_S1L_EUlS1K_E_NS1_11comp_targetILNS1_3genE9ELNS1_11target_archE1100ELNS1_3gpuE3ELNS1_3repE0EEENS1_30default_config_static_selectorELNS0_4arch9wavefront6targetE0EEEvSY_,"axG",@progbits,_ZN7rocprim17ROCPRIM_400000_NS6detail17trampoline_kernelINS0_13select_configILj256ELj13ELNS0_17block_load_methodE3ELS4_3ELS4_3ELNS0_20block_scan_algorithmE0ELj4294967295EEENS1_25partition_config_selectorILNS1_17partition_subalgoE3EjNS0_10empty_typeEbEEZZNS1_14partition_implILS8_3ELb0ES6_jNS0_17counting_iteratorIjlEEPS9_SE_NS0_5tupleIJPjSE_EEENSF_IJSE_SE_EEES9_SG_JZNS1_25segmented_radix_sort_implINS0_14default_configELb1EPKsPsPKlPlN2at6native12_GLOBAL__N_18offset_tEEE10hipError_tPvRmT1_PNSt15iterator_traitsISY_E10value_typeET2_T3_PNSZ_IS14_E10value_typeET4_jRbjT5_S1A_jjP12ihipStream_tbEUljE_EEESV_SW_SX_S14_S18_S1A_T6_T7_T9_mT8_S1C_bDpT10_ENKUlT_T0_E_clISt17integral_constantIbLb0EES1P_EEDaS1K_S1L_EUlS1K_E_NS1_11comp_targetILNS1_3genE9ELNS1_11target_archE1100ELNS1_3gpuE3ELNS1_3repE0EEENS1_30default_config_static_selectorELNS0_4arch9wavefront6targetE0EEEvSY_,comdat
.Lfunc_end879:
	.size	_ZN7rocprim17ROCPRIM_400000_NS6detail17trampoline_kernelINS0_13select_configILj256ELj13ELNS0_17block_load_methodE3ELS4_3ELS4_3ELNS0_20block_scan_algorithmE0ELj4294967295EEENS1_25partition_config_selectorILNS1_17partition_subalgoE3EjNS0_10empty_typeEbEEZZNS1_14partition_implILS8_3ELb0ES6_jNS0_17counting_iteratorIjlEEPS9_SE_NS0_5tupleIJPjSE_EEENSF_IJSE_SE_EEES9_SG_JZNS1_25segmented_radix_sort_implINS0_14default_configELb1EPKsPsPKlPlN2at6native12_GLOBAL__N_18offset_tEEE10hipError_tPvRmT1_PNSt15iterator_traitsISY_E10value_typeET2_T3_PNSZ_IS14_E10value_typeET4_jRbjT5_S1A_jjP12ihipStream_tbEUljE_EEESV_SW_SX_S14_S18_S1A_T6_T7_T9_mT8_S1C_bDpT10_ENKUlT_T0_E_clISt17integral_constantIbLb0EES1P_EEDaS1K_S1L_EUlS1K_E_NS1_11comp_targetILNS1_3genE9ELNS1_11target_archE1100ELNS1_3gpuE3ELNS1_3repE0EEENS1_30default_config_static_selectorELNS0_4arch9wavefront6targetE0EEEvSY_, .Lfunc_end879-_ZN7rocprim17ROCPRIM_400000_NS6detail17trampoline_kernelINS0_13select_configILj256ELj13ELNS0_17block_load_methodE3ELS4_3ELS4_3ELNS0_20block_scan_algorithmE0ELj4294967295EEENS1_25partition_config_selectorILNS1_17partition_subalgoE3EjNS0_10empty_typeEbEEZZNS1_14partition_implILS8_3ELb0ES6_jNS0_17counting_iteratorIjlEEPS9_SE_NS0_5tupleIJPjSE_EEENSF_IJSE_SE_EEES9_SG_JZNS1_25segmented_radix_sort_implINS0_14default_configELb1EPKsPsPKlPlN2at6native12_GLOBAL__N_18offset_tEEE10hipError_tPvRmT1_PNSt15iterator_traitsISY_E10value_typeET2_T3_PNSZ_IS14_E10value_typeET4_jRbjT5_S1A_jjP12ihipStream_tbEUljE_EEESV_SW_SX_S14_S18_S1A_T6_T7_T9_mT8_S1C_bDpT10_ENKUlT_T0_E_clISt17integral_constantIbLb0EES1P_EEDaS1K_S1L_EUlS1K_E_NS1_11comp_targetILNS1_3genE9ELNS1_11target_archE1100ELNS1_3gpuE3ELNS1_3repE0EEENS1_30default_config_static_selectorELNS0_4arch9wavefront6targetE0EEEvSY_
                                        ; -- End function
	.set _ZN7rocprim17ROCPRIM_400000_NS6detail17trampoline_kernelINS0_13select_configILj256ELj13ELNS0_17block_load_methodE3ELS4_3ELS4_3ELNS0_20block_scan_algorithmE0ELj4294967295EEENS1_25partition_config_selectorILNS1_17partition_subalgoE3EjNS0_10empty_typeEbEEZZNS1_14partition_implILS8_3ELb0ES6_jNS0_17counting_iteratorIjlEEPS9_SE_NS0_5tupleIJPjSE_EEENSF_IJSE_SE_EEES9_SG_JZNS1_25segmented_radix_sort_implINS0_14default_configELb1EPKsPsPKlPlN2at6native12_GLOBAL__N_18offset_tEEE10hipError_tPvRmT1_PNSt15iterator_traitsISY_E10value_typeET2_T3_PNSZ_IS14_E10value_typeET4_jRbjT5_S1A_jjP12ihipStream_tbEUljE_EEESV_SW_SX_S14_S18_S1A_T6_T7_T9_mT8_S1C_bDpT10_ENKUlT_T0_E_clISt17integral_constantIbLb0EES1P_EEDaS1K_S1L_EUlS1K_E_NS1_11comp_targetILNS1_3genE9ELNS1_11target_archE1100ELNS1_3gpuE3ELNS1_3repE0EEENS1_30default_config_static_selectorELNS0_4arch9wavefront6targetE0EEEvSY_.num_vgpr, 0
	.set _ZN7rocprim17ROCPRIM_400000_NS6detail17trampoline_kernelINS0_13select_configILj256ELj13ELNS0_17block_load_methodE3ELS4_3ELS4_3ELNS0_20block_scan_algorithmE0ELj4294967295EEENS1_25partition_config_selectorILNS1_17partition_subalgoE3EjNS0_10empty_typeEbEEZZNS1_14partition_implILS8_3ELb0ES6_jNS0_17counting_iteratorIjlEEPS9_SE_NS0_5tupleIJPjSE_EEENSF_IJSE_SE_EEES9_SG_JZNS1_25segmented_radix_sort_implINS0_14default_configELb1EPKsPsPKlPlN2at6native12_GLOBAL__N_18offset_tEEE10hipError_tPvRmT1_PNSt15iterator_traitsISY_E10value_typeET2_T3_PNSZ_IS14_E10value_typeET4_jRbjT5_S1A_jjP12ihipStream_tbEUljE_EEESV_SW_SX_S14_S18_S1A_T6_T7_T9_mT8_S1C_bDpT10_ENKUlT_T0_E_clISt17integral_constantIbLb0EES1P_EEDaS1K_S1L_EUlS1K_E_NS1_11comp_targetILNS1_3genE9ELNS1_11target_archE1100ELNS1_3gpuE3ELNS1_3repE0EEENS1_30default_config_static_selectorELNS0_4arch9wavefront6targetE0EEEvSY_.num_agpr, 0
	.set _ZN7rocprim17ROCPRIM_400000_NS6detail17trampoline_kernelINS0_13select_configILj256ELj13ELNS0_17block_load_methodE3ELS4_3ELS4_3ELNS0_20block_scan_algorithmE0ELj4294967295EEENS1_25partition_config_selectorILNS1_17partition_subalgoE3EjNS0_10empty_typeEbEEZZNS1_14partition_implILS8_3ELb0ES6_jNS0_17counting_iteratorIjlEEPS9_SE_NS0_5tupleIJPjSE_EEENSF_IJSE_SE_EEES9_SG_JZNS1_25segmented_radix_sort_implINS0_14default_configELb1EPKsPsPKlPlN2at6native12_GLOBAL__N_18offset_tEEE10hipError_tPvRmT1_PNSt15iterator_traitsISY_E10value_typeET2_T3_PNSZ_IS14_E10value_typeET4_jRbjT5_S1A_jjP12ihipStream_tbEUljE_EEESV_SW_SX_S14_S18_S1A_T6_T7_T9_mT8_S1C_bDpT10_ENKUlT_T0_E_clISt17integral_constantIbLb0EES1P_EEDaS1K_S1L_EUlS1K_E_NS1_11comp_targetILNS1_3genE9ELNS1_11target_archE1100ELNS1_3gpuE3ELNS1_3repE0EEENS1_30default_config_static_selectorELNS0_4arch9wavefront6targetE0EEEvSY_.numbered_sgpr, 0
	.set _ZN7rocprim17ROCPRIM_400000_NS6detail17trampoline_kernelINS0_13select_configILj256ELj13ELNS0_17block_load_methodE3ELS4_3ELS4_3ELNS0_20block_scan_algorithmE0ELj4294967295EEENS1_25partition_config_selectorILNS1_17partition_subalgoE3EjNS0_10empty_typeEbEEZZNS1_14partition_implILS8_3ELb0ES6_jNS0_17counting_iteratorIjlEEPS9_SE_NS0_5tupleIJPjSE_EEENSF_IJSE_SE_EEES9_SG_JZNS1_25segmented_radix_sort_implINS0_14default_configELb1EPKsPsPKlPlN2at6native12_GLOBAL__N_18offset_tEEE10hipError_tPvRmT1_PNSt15iterator_traitsISY_E10value_typeET2_T3_PNSZ_IS14_E10value_typeET4_jRbjT5_S1A_jjP12ihipStream_tbEUljE_EEESV_SW_SX_S14_S18_S1A_T6_T7_T9_mT8_S1C_bDpT10_ENKUlT_T0_E_clISt17integral_constantIbLb0EES1P_EEDaS1K_S1L_EUlS1K_E_NS1_11comp_targetILNS1_3genE9ELNS1_11target_archE1100ELNS1_3gpuE3ELNS1_3repE0EEENS1_30default_config_static_selectorELNS0_4arch9wavefront6targetE0EEEvSY_.num_named_barrier, 0
	.set _ZN7rocprim17ROCPRIM_400000_NS6detail17trampoline_kernelINS0_13select_configILj256ELj13ELNS0_17block_load_methodE3ELS4_3ELS4_3ELNS0_20block_scan_algorithmE0ELj4294967295EEENS1_25partition_config_selectorILNS1_17partition_subalgoE3EjNS0_10empty_typeEbEEZZNS1_14partition_implILS8_3ELb0ES6_jNS0_17counting_iteratorIjlEEPS9_SE_NS0_5tupleIJPjSE_EEENSF_IJSE_SE_EEES9_SG_JZNS1_25segmented_radix_sort_implINS0_14default_configELb1EPKsPsPKlPlN2at6native12_GLOBAL__N_18offset_tEEE10hipError_tPvRmT1_PNSt15iterator_traitsISY_E10value_typeET2_T3_PNSZ_IS14_E10value_typeET4_jRbjT5_S1A_jjP12ihipStream_tbEUljE_EEESV_SW_SX_S14_S18_S1A_T6_T7_T9_mT8_S1C_bDpT10_ENKUlT_T0_E_clISt17integral_constantIbLb0EES1P_EEDaS1K_S1L_EUlS1K_E_NS1_11comp_targetILNS1_3genE9ELNS1_11target_archE1100ELNS1_3gpuE3ELNS1_3repE0EEENS1_30default_config_static_selectorELNS0_4arch9wavefront6targetE0EEEvSY_.private_seg_size, 0
	.set _ZN7rocprim17ROCPRIM_400000_NS6detail17trampoline_kernelINS0_13select_configILj256ELj13ELNS0_17block_load_methodE3ELS4_3ELS4_3ELNS0_20block_scan_algorithmE0ELj4294967295EEENS1_25partition_config_selectorILNS1_17partition_subalgoE3EjNS0_10empty_typeEbEEZZNS1_14partition_implILS8_3ELb0ES6_jNS0_17counting_iteratorIjlEEPS9_SE_NS0_5tupleIJPjSE_EEENSF_IJSE_SE_EEES9_SG_JZNS1_25segmented_radix_sort_implINS0_14default_configELb1EPKsPsPKlPlN2at6native12_GLOBAL__N_18offset_tEEE10hipError_tPvRmT1_PNSt15iterator_traitsISY_E10value_typeET2_T3_PNSZ_IS14_E10value_typeET4_jRbjT5_S1A_jjP12ihipStream_tbEUljE_EEESV_SW_SX_S14_S18_S1A_T6_T7_T9_mT8_S1C_bDpT10_ENKUlT_T0_E_clISt17integral_constantIbLb0EES1P_EEDaS1K_S1L_EUlS1K_E_NS1_11comp_targetILNS1_3genE9ELNS1_11target_archE1100ELNS1_3gpuE3ELNS1_3repE0EEENS1_30default_config_static_selectorELNS0_4arch9wavefront6targetE0EEEvSY_.uses_vcc, 0
	.set _ZN7rocprim17ROCPRIM_400000_NS6detail17trampoline_kernelINS0_13select_configILj256ELj13ELNS0_17block_load_methodE3ELS4_3ELS4_3ELNS0_20block_scan_algorithmE0ELj4294967295EEENS1_25partition_config_selectorILNS1_17partition_subalgoE3EjNS0_10empty_typeEbEEZZNS1_14partition_implILS8_3ELb0ES6_jNS0_17counting_iteratorIjlEEPS9_SE_NS0_5tupleIJPjSE_EEENSF_IJSE_SE_EEES9_SG_JZNS1_25segmented_radix_sort_implINS0_14default_configELb1EPKsPsPKlPlN2at6native12_GLOBAL__N_18offset_tEEE10hipError_tPvRmT1_PNSt15iterator_traitsISY_E10value_typeET2_T3_PNSZ_IS14_E10value_typeET4_jRbjT5_S1A_jjP12ihipStream_tbEUljE_EEESV_SW_SX_S14_S18_S1A_T6_T7_T9_mT8_S1C_bDpT10_ENKUlT_T0_E_clISt17integral_constantIbLb0EES1P_EEDaS1K_S1L_EUlS1K_E_NS1_11comp_targetILNS1_3genE9ELNS1_11target_archE1100ELNS1_3gpuE3ELNS1_3repE0EEENS1_30default_config_static_selectorELNS0_4arch9wavefront6targetE0EEEvSY_.uses_flat_scratch, 0
	.set _ZN7rocprim17ROCPRIM_400000_NS6detail17trampoline_kernelINS0_13select_configILj256ELj13ELNS0_17block_load_methodE3ELS4_3ELS4_3ELNS0_20block_scan_algorithmE0ELj4294967295EEENS1_25partition_config_selectorILNS1_17partition_subalgoE3EjNS0_10empty_typeEbEEZZNS1_14partition_implILS8_3ELb0ES6_jNS0_17counting_iteratorIjlEEPS9_SE_NS0_5tupleIJPjSE_EEENSF_IJSE_SE_EEES9_SG_JZNS1_25segmented_radix_sort_implINS0_14default_configELb1EPKsPsPKlPlN2at6native12_GLOBAL__N_18offset_tEEE10hipError_tPvRmT1_PNSt15iterator_traitsISY_E10value_typeET2_T3_PNSZ_IS14_E10value_typeET4_jRbjT5_S1A_jjP12ihipStream_tbEUljE_EEESV_SW_SX_S14_S18_S1A_T6_T7_T9_mT8_S1C_bDpT10_ENKUlT_T0_E_clISt17integral_constantIbLb0EES1P_EEDaS1K_S1L_EUlS1K_E_NS1_11comp_targetILNS1_3genE9ELNS1_11target_archE1100ELNS1_3gpuE3ELNS1_3repE0EEENS1_30default_config_static_selectorELNS0_4arch9wavefront6targetE0EEEvSY_.has_dyn_sized_stack, 0
	.set _ZN7rocprim17ROCPRIM_400000_NS6detail17trampoline_kernelINS0_13select_configILj256ELj13ELNS0_17block_load_methodE3ELS4_3ELS4_3ELNS0_20block_scan_algorithmE0ELj4294967295EEENS1_25partition_config_selectorILNS1_17partition_subalgoE3EjNS0_10empty_typeEbEEZZNS1_14partition_implILS8_3ELb0ES6_jNS0_17counting_iteratorIjlEEPS9_SE_NS0_5tupleIJPjSE_EEENSF_IJSE_SE_EEES9_SG_JZNS1_25segmented_radix_sort_implINS0_14default_configELb1EPKsPsPKlPlN2at6native12_GLOBAL__N_18offset_tEEE10hipError_tPvRmT1_PNSt15iterator_traitsISY_E10value_typeET2_T3_PNSZ_IS14_E10value_typeET4_jRbjT5_S1A_jjP12ihipStream_tbEUljE_EEESV_SW_SX_S14_S18_S1A_T6_T7_T9_mT8_S1C_bDpT10_ENKUlT_T0_E_clISt17integral_constantIbLb0EES1P_EEDaS1K_S1L_EUlS1K_E_NS1_11comp_targetILNS1_3genE9ELNS1_11target_archE1100ELNS1_3gpuE3ELNS1_3repE0EEENS1_30default_config_static_selectorELNS0_4arch9wavefront6targetE0EEEvSY_.has_recursion, 0
	.set _ZN7rocprim17ROCPRIM_400000_NS6detail17trampoline_kernelINS0_13select_configILj256ELj13ELNS0_17block_load_methodE3ELS4_3ELS4_3ELNS0_20block_scan_algorithmE0ELj4294967295EEENS1_25partition_config_selectorILNS1_17partition_subalgoE3EjNS0_10empty_typeEbEEZZNS1_14partition_implILS8_3ELb0ES6_jNS0_17counting_iteratorIjlEEPS9_SE_NS0_5tupleIJPjSE_EEENSF_IJSE_SE_EEES9_SG_JZNS1_25segmented_radix_sort_implINS0_14default_configELb1EPKsPsPKlPlN2at6native12_GLOBAL__N_18offset_tEEE10hipError_tPvRmT1_PNSt15iterator_traitsISY_E10value_typeET2_T3_PNSZ_IS14_E10value_typeET4_jRbjT5_S1A_jjP12ihipStream_tbEUljE_EEESV_SW_SX_S14_S18_S1A_T6_T7_T9_mT8_S1C_bDpT10_ENKUlT_T0_E_clISt17integral_constantIbLb0EES1P_EEDaS1K_S1L_EUlS1K_E_NS1_11comp_targetILNS1_3genE9ELNS1_11target_archE1100ELNS1_3gpuE3ELNS1_3repE0EEENS1_30default_config_static_selectorELNS0_4arch9wavefront6targetE0EEEvSY_.has_indirect_call, 0
	.section	.AMDGPU.csdata,"",@progbits
; Kernel info:
; codeLenInByte = 0
; TotalNumSgprs: 0
; NumVgprs: 0
; ScratchSize: 0
; MemoryBound: 0
; FloatMode: 240
; IeeeMode: 1
; LDSByteSize: 0 bytes/workgroup (compile time only)
; SGPRBlocks: 0
; VGPRBlocks: 0
; NumSGPRsForWavesPerEU: 1
; NumVGPRsForWavesPerEU: 1
; Occupancy: 16
; WaveLimiterHint : 0
; COMPUTE_PGM_RSRC2:SCRATCH_EN: 0
; COMPUTE_PGM_RSRC2:USER_SGPR: 6
; COMPUTE_PGM_RSRC2:TRAP_HANDLER: 0
; COMPUTE_PGM_RSRC2:TGID_X_EN: 1
; COMPUTE_PGM_RSRC2:TGID_Y_EN: 0
; COMPUTE_PGM_RSRC2:TGID_Z_EN: 0
; COMPUTE_PGM_RSRC2:TIDIG_COMP_CNT: 0
	.section	.text._ZN7rocprim17ROCPRIM_400000_NS6detail17trampoline_kernelINS0_13select_configILj256ELj13ELNS0_17block_load_methodE3ELS4_3ELS4_3ELNS0_20block_scan_algorithmE0ELj4294967295EEENS1_25partition_config_selectorILNS1_17partition_subalgoE3EjNS0_10empty_typeEbEEZZNS1_14partition_implILS8_3ELb0ES6_jNS0_17counting_iteratorIjlEEPS9_SE_NS0_5tupleIJPjSE_EEENSF_IJSE_SE_EEES9_SG_JZNS1_25segmented_radix_sort_implINS0_14default_configELb1EPKsPsPKlPlN2at6native12_GLOBAL__N_18offset_tEEE10hipError_tPvRmT1_PNSt15iterator_traitsISY_E10value_typeET2_T3_PNSZ_IS14_E10value_typeET4_jRbjT5_S1A_jjP12ihipStream_tbEUljE_EEESV_SW_SX_S14_S18_S1A_T6_T7_T9_mT8_S1C_bDpT10_ENKUlT_T0_E_clISt17integral_constantIbLb0EES1P_EEDaS1K_S1L_EUlS1K_E_NS1_11comp_targetILNS1_3genE8ELNS1_11target_archE1030ELNS1_3gpuE2ELNS1_3repE0EEENS1_30default_config_static_selectorELNS0_4arch9wavefront6targetE0EEEvSY_,"axG",@progbits,_ZN7rocprim17ROCPRIM_400000_NS6detail17trampoline_kernelINS0_13select_configILj256ELj13ELNS0_17block_load_methodE3ELS4_3ELS4_3ELNS0_20block_scan_algorithmE0ELj4294967295EEENS1_25partition_config_selectorILNS1_17partition_subalgoE3EjNS0_10empty_typeEbEEZZNS1_14partition_implILS8_3ELb0ES6_jNS0_17counting_iteratorIjlEEPS9_SE_NS0_5tupleIJPjSE_EEENSF_IJSE_SE_EEES9_SG_JZNS1_25segmented_radix_sort_implINS0_14default_configELb1EPKsPsPKlPlN2at6native12_GLOBAL__N_18offset_tEEE10hipError_tPvRmT1_PNSt15iterator_traitsISY_E10value_typeET2_T3_PNSZ_IS14_E10value_typeET4_jRbjT5_S1A_jjP12ihipStream_tbEUljE_EEESV_SW_SX_S14_S18_S1A_T6_T7_T9_mT8_S1C_bDpT10_ENKUlT_T0_E_clISt17integral_constantIbLb0EES1P_EEDaS1K_S1L_EUlS1K_E_NS1_11comp_targetILNS1_3genE8ELNS1_11target_archE1030ELNS1_3gpuE2ELNS1_3repE0EEENS1_30default_config_static_selectorELNS0_4arch9wavefront6targetE0EEEvSY_,comdat
	.globl	_ZN7rocprim17ROCPRIM_400000_NS6detail17trampoline_kernelINS0_13select_configILj256ELj13ELNS0_17block_load_methodE3ELS4_3ELS4_3ELNS0_20block_scan_algorithmE0ELj4294967295EEENS1_25partition_config_selectorILNS1_17partition_subalgoE3EjNS0_10empty_typeEbEEZZNS1_14partition_implILS8_3ELb0ES6_jNS0_17counting_iteratorIjlEEPS9_SE_NS0_5tupleIJPjSE_EEENSF_IJSE_SE_EEES9_SG_JZNS1_25segmented_radix_sort_implINS0_14default_configELb1EPKsPsPKlPlN2at6native12_GLOBAL__N_18offset_tEEE10hipError_tPvRmT1_PNSt15iterator_traitsISY_E10value_typeET2_T3_PNSZ_IS14_E10value_typeET4_jRbjT5_S1A_jjP12ihipStream_tbEUljE_EEESV_SW_SX_S14_S18_S1A_T6_T7_T9_mT8_S1C_bDpT10_ENKUlT_T0_E_clISt17integral_constantIbLb0EES1P_EEDaS1K_S1L_EUlS1K_E_NS1_11comp_targetILNS1_3genE8ELNS1_11target_archE1030ELNS1_3gpuE2ELNS1_3repE0EEENS1_30default_config_static_selectorELNS0_4arch9wavefront6targetE0EEEvSY_ ; -- Begin function _ZN7rocprim17ROCPRIM_400000_NS6detail17trampoline_kernelINS0_13select_configILj256ELj13ELNS0_17block_load_methodE3ELS4_3ELS4_3ELNS0_20block_scan_algorithmE0ELj4294967295EEENS1_25partition_config_selectorILNS1_17partition_subalgoE3EjNS0_10empty_typeEbEEZZNS1_14partition_implILS8_3ELb0ES6_jNS0_17counting_iteratorIjlEEPS9_SE_NS0_5tupleIJPjSE_EEENSF_IJSE_SE_EEES9_SG_JZNS1_25segmented_radix_sort_implINS0_14default_configELb1EPKsPsPKlPlN2at6native12_GLOBAL__N_18offset_tEEE10hipError_tPvRmT1_PNSt15iterator_traitsISY_E10value_typeET2_T3_PNSZ_IS14_E10value_typeET4_jRbjT5_S1A_jjP12ihipStream_tbEUljE_EEESV_SW_SX_S14_S18_S1A_T6_T7_T9_mT8_S1C_bDpT10_ENKUlT_T0_E_clISt17integral_constantIbLb0EES1P_EEDaS1K_S1L_EUlS1K_E_NS1_11comp_targetILNS1_3genE8ELNS1_11target_archE1030ELNS1_3gpuE2ELNS1_3repE0EEENS1_30default_config_static_selectorELNS0_4arch9wavefront6targetE0EEEvSY_
	.p2align	8
	.type	_ZN7rocprim17ROCPRIM_400000_NS6detail17trampoline_kernelINS0_13select_configILj256ELj13ELNS0_17block_load_methodE3ELS4_3ELS4_3ELNS0_20block_scan_algorithmE0ELj4294967295EEENS1_25partition_config_selectorILNS1_17partition_subalgoE3EjNS0_10empty_typeEbEEZZNS1_14partition_implILS8_3ELb0ES6_jNS0_17counting_iteratorIjlEEPS9_SE_NS0_5tupleIJPjSE_EEENSF_IJSE_SE_EEES9_SG_JZNS1_25segmented_radix_sort_implINS0_14default_configELb1EPKsPsPKlPlN2at6native12_GLOBAL__N_18offset_tEEE10hipError_tPvRmT1_PNSt15iterator_traitsISY_E10value_typeET2_T3_PNSZ_IS14_E10value_typeET4_jRbjT5_S1A_jjP12ihipStream_tbEUljE_EEESV_SW_SX_S14_S18_S1A_T6_T7_T9_mT8_S1C_bDpT10_ENKUlT_T0_E_clISt17integral_constantIbLb0EES1P_EEDaS1K_S1L_EUlS1K_E_NS1_11comp_targetILNS1_3genE8ELNS1_11target_archE1030ELNS1_3gpuE2ELNS1_3repE0EEENS1_30default_config_static_selectorELNS0_4arch9wavefront6targetE0EEEvSY_,@function
_ZN7rocprim17ROCPRIM_400000_NS6detail17trampoline_kernelINS0_13select_configILj256ELj13ELNS0_17block_load_methodE3ELS4_3ELS4_3ELNS0_20block_scan_algorithmE0ELj4294967295EEENS1_25partition_config_selectorILNS1_17partition_subalgoE3EjNS0_10empty_typeEbEEZZNS1_14partition_implILS8_3ELb0ES6_jNS0_17counting_iteratorIjlEEPS9_SE_NS0_5tupleIJPjSE_EEENSF_IJSE_SE_EEES9_SG_JZNS1_25segmented_radix_sort_implINS0_14default_configELb1EPKsPsPKlPlN2at6native12_GLOBAL__N_18offset_tEEE10hipError_tPvRmT1_PNSt15iterator_traitsISY_E10value_typeET2_T3_PNSZ_IS14_E10value_typeET4_jRbjT5_S1A_jjP12ihipStream_tbEUljE_EEESV_SW_SX_S14_S18_S1A_T6_T7_T9_mT8_S1C_bDpT10_ENKUlT_T0_E_clISt17integral_constantIbLb0EES1P_EEDaS1K_S1L_EUlS1K_E_NS1_11comp_targetILNS1_3genE8ELNS1_11target_archE1030ELNS1_3gpuE2ELNS1_3repE0EEENS1_30default_config_static_selectorELNS0_4arch9wavefront6targetE0EEEvSY_: ; @_ZN7rocprim17ROCPRIM_400000_NS6detail17trampoline_kernelINS0_13select_configILj256ELj13ELNS0_17block_load_methodE3ELS4_3ELS4_3ELNS0_20block_scan_algorithmE0ELj4294967295EEENS1_25partition_config_selectorILNS1_17partition_subalgoE3EjNS0_10empty_typeEbEEZZNS1_14partition_implILS8_3ELb0ES6_jNS0_17counting_iteratorIjlEEPS9_SE_NS0_5tupleIJPjSE_EEENSF_IJSE_SE_EEES9_SG_JZNS1_25segmented_radix_sort_implINS0_14default_configELb1EPKsPsPKlPlN2at6native12_GLOBAL__N_18offset_tEEE10hipError_tPvRmT1_PNSt15iterator_traitsISY_E10value_typeET2_T3_PNSZ_IS14_E10value_typeET4_jRbjT5_S1A_jjP12ihipStream_tbEUljE_EEESV_SW_SX_S14_S18_S1A_T6_T7_T9_mT8_S1C_bDpT10_ENKUlT_T0_E_clISt17integral_constantIbLb0EES1P_EEDaS1K_S1L_EUlS1K_E_NS1_11comp_targetILNS1_3genE8ELNS1_11target_archE1030ELNS1_3gpuE2ELNS1_3repE0EEENS1_30default_config_static_selectorELNS0_4arch9wavefront6targetE0EEEvSY_
; %bb.0:
	s_clause 0x6
	s_load_dword s0, s[4:5], 0x70
	s_load_dwordx2 s[16:17], s[4:5], 0x10
	s_load_dwordx4 s[12:15], s[4:5], 0x48
	s_load_dwordx2 s[18:19], s[4:5], 0x58
	s_load_dword s7, s[4:5], 0x8
	s_load_dwordx4 s[8:11], s[4:5], 0x78
	s_load_dword s1, s[4:5], 0x88
	s_mul_i32 s26, s6, 0xd00
	v_lshlrev_b32_e32 v42, 2, v0
	s_waitcnt lgkmcnt(0)
	s_mul_i32 s2, s0, 0xd00
	s_add_i32 s0, s0, -1
	s_add_i32 s3, s2, s16
	s_load_dwordx2 s[20:21], s[14:15], 0x0
	s_sub_i32 s25, s18, s3
	s_addk_i32 s25, 0xd00
	s_add_u32 s2, s16, s2
	s_addc_u32 s3, s17, 0
	s_cmp_eq_u32 s6, s0
	v_cmp_gt_u64_e64 s2, s[18:19], s[2:3]
	s_cselect_b32 s24, -1, 0
	s_cmp_lg_u32 s6, s0
	s_cselect_b32 s0, -1, 0
	s_add_i32 s3, s7, s26
	s_or_b32 s2, s0, s2
	s_add_i32 s3, s3, s16
	s_and_b32 vcc_lo, exec_lo, s2
	v_add_nc_u32_e32 v1, s3, v0
	s_mov_b32 s7, -1
	s_cbranch_vccz .LBB880_2
; %bb.1:
	v_add_nc_u32_e32 v2, 0x100, v1
	v_add_nc_u32_e32 v3, 0x200, v1
	;; [unrolled: 1-line block ×12, first 2 shown]
	ds_write2st64_b32 v42, v1, v2 offset1:4
	ds_write2st64_b32 v42, v3, v4 offset0:8 offset1:12
	ds_write2st64_b32 v42, v5, v6 offset0:16 offset1:20
	;; [unrolled: 1-line block ×5, first 2 shown]
	ds_write_b32 v42, v13 offset:12288
	s_waitcnt lgkmcnt(0)
	s_mov_b32 s7, 0
	s_barrier
.LBB880_2:
	v_cmp_gt_u32_e64 s0, s25, v0
	v_or_b32_e32 v41, 0x100, v0
	v_or_b32_e32 v40, 0x200, v0
	;; [unrolled: 1-line block ×12, first 2 shown]
	s_andn2_b32 vcc_lo, exec_lo, s7
	s_cbranch_vccnz .LBB880_4
; %bb.3:
	v_add_nc_u32_e32 v2, s3, v41
	v_cmp_gt_u32_e32 vcc_lo, s25, v41
	v_add_nc_u32_e32 v3, s3, v40
	v_add_nc_u32_e32 v4, s3, v39
	;; [unrolled: 1-line block ×4, first 2 shown]
	v_cndmask_b32_e32 v2, 0, v2, vcc_lo
	v_cmp_gt_u32_e32 vcc_lo, s25, v40
	v_add_nc_u32_e32 v7, s3, v36
	v_add_nc_u32_e32 v8, s3, v35
	;; [unrolled: 1-line block ×4, first 2 shown]
	v_cndmask_b32_e32 v3, 0, v3, vcc_lo
	v_cmp_gt_u32_e32 vcc_lo, s25, v39
	v_add_nc_u32_e32 v11, s3, v32
	v_add_nc_u32_e32 v12, s3, v31
	v_cndmask_b32_e64 v1, 0, v1, s0
	v_add_nc_u32_e32 v13, s3, v30
	v_cndmask_b32_e32 v4, 0, v4, vcc_lo
	v_cmp_gt_u32_e32 vcc_lo, s25, v38
	v_cndmask_b32_e32 v5, 0, v5, vcc_lo
	v_cmp_gt_u32_e32 vcc_lo, s25, v37
	;; [unrolled: 2-line block ×9, first 2 shown]
	v_cndmask_b32_e32 v13, 0, v13, vcc_lo
	ds_write2st64_b32 v42, v1, v2 offset1:4
	ds_write2st64_b32 v42, v3, v4 offset0:8 offset1:12
	ds_write2st64_b32 v42, v5, v6 offset0:16 offset1:20
	;; [unrolled: 1-line block ×5, first 2 shown]
	ds_write_b32 v42, v13 offset:12288
	s_waitcnt lgkmcnt(0)
	s_barrier
.LBB880_4:
	v_mul_u32_u24_e32 v45, 13, v0
	s_waitcnt lgkmcnt(0)
	buffer_gl0_inv
	v_cndmask_b32_e64 v43, 0, 1, s2
	s_andn2_b32 vcc_lo, exec_lo, s2
	v_lshlrev_b32_e32 v1, 2, v45
	ds_read2_b32 v[26:27], v1 offset0:2 offset1:3
	ds_read2_b32 v[22:23], v1 offset0:6 offset1:7
	;; [unrolled: 1-line block ×3, first 2 shown]
	ds_read2_b32 v[28:29], v1 offset1:1
	ds_read2_b32 v[18:19], v1 offset0:10 offset1:11
	ds_read_b32 v44, v1 offset:48
	ds_read2_b32 v[20:21], v1 offset0:8 offset1:9
	s_waitcnt lgkmcnt(0)
	s_barrier
	buffer_gl0_inv
	s_cbranch_vccnz .LBB880_6
; %bb.5:
	v_add_nc_u32_e32 v1, s9, v27
	v_add_nc_u32_e32 v4, s9, v26
	;; [unrolled: 1-line block ×6, first 2 shown]
	v_mul_lo_u32 v4, v4, s8
	v_mul_lo_u32 v1, v1, s8
	;; [unrolled: 1-line block ×4, first 2 shown]
	v_add_nc_u32_e32 v3, s9, v28
	v_add_nc_u32_e32 v7, s11, v28
	v_mul_lo_u32 v2, v2, s8
	v_mul_lo_u32 v6, v6, s10
	v_add_nc_u32_e32 v10, s11, v25
	v_mul_lo_u32 v3, v3, s8
	v_mul_lo_u32 v7, v7, s10
	v_sub_nc_u32_e32 v1, v1, v5
	v_sub_nc_u32_e32 v4, v4, v8
	v_add_nc_u32_e32 v5, s9, v23
	v_add_nc_u32_e32 v8, s11, v23
	v_sub_nc_u32_e32 v2, v2, v6
	v_add_nc_u32_e32 v6, s9, v25
	v_add_nc_u32_e32 v9, s9, v22
	v_mul_lo_u32 v5, v5, s8
	v_mul_lo_u32 v8, v8, s10
	v_sub_nc_u32_e32 v3, v3, v7
	v_add_nc_u32_e32 v7, s9, v24
	v_add_nc_u32_e32 v11, s11, v22
	v_mul_lo_u32 v6, v6, s8
	v_mul_lo_u32 v10, v10, s10
	v_add_nc_u32_e32 v12, s11, v24
	v_mul_lo_u32 v9, v9, s8
	v_mul_lo_u32 v7, v7, s8
	;; [unrolled: 1-line block ×3, first 2 shown]
	v_sub_nc_u32_e32 v5, v5, v8
	v_mul_lo_u32 v8, v12, s10
	v_cmp_lt_u32_e32 vcc_lo, s1, v1
	v_sub_nc_u32_e32 v6, v6, v10
	v_add_nc_u32_e32 v10, s9, v19
	v_add_nc_u32_e32 v14, s11, v19
	;; [unrolled: 1-line block ×3, first 2 shown]
	v_cndmask_b32_e64 v1, 0, 1, vcc_lo
	v_cmp_lt_u32_e32 vcc_lo, s1, v2
	v_sub_nc_u32_e32 v7, v7, v8
	v_sub_nc_u32_e32 v8, v9, v11
	v_add_nc_u32_e32 v11, s9, v21
	v_mul_lo_u32 v10, v10, s8
	v_mul_lo_u32 v14, v14, s10
	v_cndmask_b32_e64 v2, 0, 1, vcc_lo
	v_cmp_lt_u32_e32 vcc_lo, s1, v5
	v_mul_lo_u32 v11, v11, s8
	v_mul_lo_u32 v15, v15, s10
	v_mov_b32_e32 v9, 8
	v_lshlrev_b16 v2, 8, v2
	v_cndmask_b32_e64 v5, 0, 1, vcc_lo
	v_cmp_lt_u32_e32 vcc_lo, s1, v6
	v_sub_nc_u32_e32 v10, v10, v14
	v_add_nc_u32_e32 v12, s9, v20
	v_add_nc_u32_e32 v16, s11, v20
	v_sub_nc_u32_e32 v11, v11, v15
	v_cndmask_b32_e64 v6, 0, 1, vcc_lo
	v_cmp_lt_u32_e32 vcc_lo, s1, v10
	v_lshrrev_b32_sdwa v2, v9, v2 dst_sel:BYTE_1 dst_unused:UNUSED_PAD src0_sel:DWORD src1_sel:DWORD
	v_add_nc_u32_e32 v13, s9, v18
	v_add_nc_u32_e32 v17, s11, v18
	v_mul_lo_u32 v12, v12, s8
	v_cndmask_b32_e64 v10, 0, 1, vcc_lo
	v_cmp_lt_u32_e32 vcc_lo, s1, v11
	v_mul_lo_u32 v16, v16, s10
	v_mul_lo_u32 v13, v13, s8
	;; [unrolled: 1-line block ×3, first 2 shown]
	v_add_nc_u32_e32 v14, s9, v44
	v_cndmask_b32_e64 v11, 0, 1, vcc_lo
	v_cmp_lt_u32_e32 vcc_lo, s1, v3
	v_add_nc_u32_e32 v15, s11, v44
	v_lshlrev_b16 v1, 8, v1
	v_sub_nc_u32_e32 v12, v12, v16
	v_lshlrev_b16 v11, 8, v11
	v_cndmask_b32_e64 v3, 0, 1, vcc_lo
	v_cmp_lt_u32_e32 vcc_lo, s1, v4
	v_sub_nc_u32_e32 v13, v13, v17
	v_mul_lo_u32 v14, v14, s8
	v_mul_lo_u32 v15, v15, s10
	v_or_b32_e32 v2, v3, v2
	v_cndmask_b32_e64 v3, 0, 1, vcc_lo
	v_cmp_lt_u32_e32 vcc_lo, s1, v7
	v_lshlrev_b16 v6, 8, v6
	v_lshlrev_b16 v10, 8, v10
	;; [unrolled: 1-line block ×3, first 2 shown]
	v_lshrrev_b32_sdwa v1, v9, v1 dst_sel:BYTE_1 dst_unused:UNUSED_PAD src0_sel:DWORD src1_sel:DWORD
	v_cndmask_b32_e64 v4, 0, 1, vcc_lo
	v_cmp_lt_u32_e32 vcc_lo, s1, v8
	v_lshrrev_b32_sdwa v8, v9, v11 dst_sel:BYTE_1 dst_unused:UNUSED_PAD src0_sel:DWORD src1_sel:DWORD
	v_lshrrev_b32_sdwa v6, v9, v6 dst_sel:BYTE_1 dst_unused:UNUSED_PAD src0_sel:DWORD src1_sel:DWORD
	v_sub_nc_u32_e32 v14, v14, v15
	v_lshrrev_b32_sdwa v9, v9, v10 dst_sel:BYTE_1 dst_unused:UNUSED_PAD src0_sel:DWORD src1_sel:DWORD
	v_cndmask_b32_e64 v7, 0, 1, vcc_lo
	v_cmp_lt_u32_e32 vcc_lo, s1, v12
	v_or_b32_sdwa v1, v3, v1 dst_sel:WORD_1 dst_unused:UNUSED_PAD src0_sel:DWORD src1_sel:DWORD
	v_or_b32_e32 v3, v4, v6
	v_or_b32_sdwa v4, v7, v5 dst_sel:WORD_1 dst_unused:UNUSED_PAD src0_sel:DWORD src1_sel:DWORD
	v_cndmask_b32_e64 v11, 0, 1, vcc_lo
	v_cmp_lt_u32_e32 vcc_lo, s1, v13
	v_or_b32_sdwa v50, v2, v1 dst_sel:DWORD dst_unused:UNUSED_PAD src0_sel:WORD_0 src1_sel:DWORD
	v_or_b32_sdwa v48, v3, v4 dst_sel:DWORD dst_unused:UNUSED_PAD src0_sel:WORD_0 src1_sel:DWORD
	v_or_b32_e32 v5, v11, v8
	v_cndmask_b32_e64 v10, 0, 1, vcc_lo
	v_cmp_lt_u32_e32 vcc_lo, s1, v14
	v_or_b32_sdwa v6, v10, v9 dst_sel:WORD_1 dst_unused:UNUSED_PAD src0_sel:DWORD src1_sel:DWORD
	v_cndmask_b32_e64 v46, 0, 1, vcc_lo
	v_or_b32_sdwa v47, v5, v6 dst_sel:DWORD dst_unused:UNUSED_PAD src0_sel:WORD_0 src1_sel:DWORD
	s_clause 0x1
	s_load_dwordx2 s[14:15], s[4:5], 0x28
	s_load_dwordx2 s[22:23], s[4:5], 0x68
	s_cbranch_execz .LBB880_7
	s_branch .LBB880_34
.LBB880_6:
                                        ; implicit-def: $vgpr46
                                        ; implicit-def: $vgpr47
                                        ; implicit-def: $vgpr48
                                        ; implicit-def: $vgpr50
	s_clause 0x1
	s_load_dwordx2 s[14:15], s[4:5], 0x28
	s_load_dwordx2 s[22:23], s[4:5], 0x68
.LBB880_7:
	v_mov_b32_e32 v2, 0
	v_mov_b32_e32 v1, 0
	s_mov_b32 s0, exec_lo
	v_cmpx_gt_u32_e64 s25, v45
	s_cbranch_execz .LBB880_9
; %bb.8:
	v_add_nc_u32_e32 v1, s9, v28
	v_add_nc_u32_e32 v3, s11, v28
	v_mul_lo_u32 v1, v1, s8
	v_mul_lo_u32 v3, v3, s10
	v_sub_nc_u32_e32 v1, v1, v3
	v_cmp_lt_u32_e32 vcc_lo, s1, v1
	v_cndmask_b32_e64 v1, 0, 1, vcc_lo
.LBB880_9:
	s_or_b32 exec_lo, exec_lo, s0
	v_add_nc_u32_e32 v3, 1, v45
	s_mov_b32 s0, exec_lo
	v_cmpx_gt_u32_e64 s25, v3
	s_cbranch_execz .LBB880_11
; %bb.10:
	v_add_nc_u32_e32 v2, s9, v29
	v_add_nc_u32_e32 v3, s11, v29
	v_mul_lo_u32 v2, v2, s8
	v_mul_lo_u32 v3, v3, s10
	v_sub_nc_u32_e32 v2, v2, v3
	v_cmp_lt_u32_e32 vcc_lo, s1, v2
	v_cndmask_b32_e64 v2, 0, 1, vcc_lo
.LBB880_11:
	s_or_b32 exec_lo, exec_lo, s0
	v_add_nc_u32_e32 v3, 2, v45
	v_mov_b32_e32 v4, 0
	v_cmp_gt_u32_e32 vcc_lo, s25, v3
	v_mov_b32_e32 v3, 0
	s_and_saveexec_b32 s0, vcc_lo
	s_cbranch_execz .LBB880_13
; %bb.12:
	v_add_nc_u32_e32 v3, s9, v26
	v_add_nc_u32_e32 v5, s11, v26
	v_mul_lo_u32 v3, v3, s8
	v_mul_lo_u32 v5, v5, s10
	v_sub_nc_u32_e32 v3, v3, v5
	v_cmp_lt_u32_e32 vcc_lo, s1, v3
	v_cndmask_b32_e64 v3, 0, 1, vcc_lo
.LBB880_13:
	s_or_b32 exec_lo, exec_lo, s0
	v_add_nc_u32_e32 v5, 3, v45
	s_mov_b32 s0, exec_lo
	v_cmpx_gt_u32_e64 s25, v5
	s_cbranch_execz .LBB880_15
; %bb.14:
	v_add_nc_u32_e32 v4, s9, v27
	v_add_nc_u32_e32 v5, s11, v27
	v_mul_lo_u32 v4, v4, s8
	v_mul_lo_u32 v5, v5, s10
	v_sub_nc_u32_e32 v4, v4, v5
	v_cmp_lt_u32_e32 vcc_lo, s1, v4
	v_cndmask_b32_e64 v4, 0, 1, vcc_lo
.LBB880_15:
	s_or_b32 exec_lo, exec_lo, s0
	v_add_nc_u32_e32 v5, 4, v45
	v_mov_b32_e32 v6, 0
	v_cmp_gt_u32_e32 vcc_lo, s25, v5
	v_mov_b32_e32 v5, 0
	s_and_saveexec_b32 s0, vcc_lo
	;; [unrolled: 30-line block ×5, first 2 shown]
	s_cbranch_execz .LBB880_29
; %bb.28:
	v_add_nc_u32_e32 v11, s9, v18
	v_add_nc_u32_e32 v13, s11, v18
	v_mul_lo_u32 v11, v11, s8
	v_mul_lo_u32 v13, v13, s10
	v_sub_nc_u32_e32 v11, v11, v13
	v_cmp_lt_u32_e32 vcc_lo, s1, v11
	v_cndmask_b32_e64 v11, 0, 1, vcc_lo
.LBB880_29:
	s_or_b32 exec_lo, exec_lo, s0
	v_add_nc_u32_e32 v13, 11, v45
	s_mov_b32 s0, exec_lo
	v_cmpx_gt_u32_e64 s25, v13
	s_cbranch_execz .LBB880_31
; %bb.30:
	v_add_nc_u32_e32 v12, s9, v19
	v_add_nc_u32_e32 v13, s11, v19
	v_mul_lo_u32 v12, v12, s8
	v_mul_lo_u32 v13, v13, s10
	v_sub_nc_u32_e32 v12, v12, v13
	v_cmp_lt_u32_e32 vcc_lo, s1, v12
	v_cndmask_b32_e64 v12, 0, 1, vcc_lo
.LBB880_31:
	s_or_b32 exec_lo, exec_lo, s0
	v_add_nc_u32_e32 v13, 12, v45
	v_mov_b32_e32 v46, 0
	s_mov_b32 s0, exec_lo
	v_cmpx_gt_u32_e64 s25, v13
	s_cbranch_execz .LBB880_33
; %bb.32:
	v_add_nc_u32_e32 v13, s9, v44
	v_add_nc_u32_e32 v14, s11, v44
	v_mul_lo_u32 v13, v13, s8
	v_mul_lo_u32 v14, v14, s10
	v_sub_nc_u32_e32 v13, v13, v14
	v_cmp_lt_u32_e32 vcc_lo, s1, v13
	v_cndmask_b32_e64 v46, 0, 1, vcc_lo
.LBB880_33:
	s_or_b32 exec_lo, exec_lo, s0
	v_lshlrev_b16 v2, 8, v2
	v_lshlrev_b16 v4, 8, v4
	v_lshlrev_b16 v6, 8, v6
	v_lshlrev_b16 v8, 8, v8
	v_lshlrev_b16 v10, 8, v10
	v_or_b32_e32 v1, v1, v2
	v_lshlrev_b16 v2, 8, v12
	v_or_b32_sdwa v3, v3, v4 dst_sel:WORD_1 dst_unused:UNUSED_PAD src0_sel:DWORD src1_sel:DWORD
	v_or_b32_e32 v4, v5, v6
	v_or_b32_sdwa v5, v7, v8 dst_sel:WORD_1 dst_unused:UNUSED_PAD src0_sel:DWORD src1_sel:DWORD
	v_or_b32_e32 v6, v9, v10
	v_or_b32_sdwa v2, v11, v2 dst_sel:WORD_1 dst_unused:UNUSED_PAD src0_sel:DWORD src1_sel:DWORD
	v_or_b32_sdwa v50, v1, v3 dst_sel:DWORD dst_unused:UNUSED_PAD src0_sel:WORD_0 src1_sel:DWORD
	v_or_b32_sdwa v48, v4, v5 dst_sel:DWORD dst_unused:UNUSED_PAD src0_sel:WORD_0 src1_sel:DWORD
	;; [unrolled: 1-line block ×3, first 2 shown]
.LBB880_34:
	v_and_b32_e32 v53, 0xff, v50
	v_bfe_u32 v54, v50, 8, 8
	v_bfe_u32 v55, v50, 16, 8
	v_lshrrev_b32_e32 v52, 24, v50
	v_and_b32_e32 v56, 0xff, v48
	v_bfe_u32 v57, v48, 8, 8
	v_bfe_u32 v58, v48, 16, 8
	v_add3_u32 v1, v54, v53, v55
	v_lshrrev_b32_e32 v51, 24, v48
	v_and_b32_e32 v59, 0xff, v47
	v_bfe_u32 v60, v47, 8, 8
	v_mbcnt_lo_u32_b32 v62, -1, 0
	v_add3_u32 v1, v1, v52, v56
	v_bfe_u32 v61, v47, 16, 8
	v_lshrrev_b32_e32 v49, 24, v47
	v_and_b32_e32 v2, 0xff, v46
	v_and_b32_e32 v3, 15, v62
	v_add3_u32 v1, v1, v57, v58
	v_or_b32_e32 v4, 31, v0
	v_and_b32_e32 v5, 16, v62
	v_lshrrev_b32_e32 v63, 5, v0
	v_cmp_eq_u32_e64 s5, 0, v3
	v_add3_u32 v1, v1, v51, v59
	v_cmp_lt_u32_e64 s4, 1, v3
	v_cmp_lt_u32_e64 s3, 3, v3
	;; [unrolled: 1-line block ×3, first 2 shown]
	v_cmp_eq_u32_e64 s1, 0, v5
	v_add3_u32 v1, v1, v60, v61
	v_cmp_eq_u32_e64 s0, v0, v4
	s_cmp_lg_u32 s6, 0
	s_mov_b32 s7, -1
	v_add3_u32 v64, v1, v49, v2
	s_cbranch_scc0 .LBB880_56
; %bb.35:
	v_mov_b32_dpp v1, v64 row_shr:1 row_mask:0xf bank_mask:0xf
	v_cndmask_b32_e64 v1, v1, 0, s5
	v_add_nc_u32_e32 v1, v1, v64
	v_mov_b32_dpp v2, v1 row_shr:2 row_mask:0xf bank_mask:0xf
	v_cndmask_b32_e64 v2, 0, v2, s4
	v_add_nc_u32_e32 v1, v1, v2
	;; [unrolled: 3-line block ×4, first 2 shown]
	ds_swizzle_b32 v2, v1 offset:swizzle(BROADCAST,32,15)
	s_waitcnt lgkmcnt(0)
	v_cndmask_b32_e64 v2, v2, 0, s1
	v_add_nc_u32_e32 v1, v1, v2
	s_and_saveexec_b32 s7, s0
; %bb.36:
	v_lshlrev_b32_e32 v2, 2, v63
	ds_write_b32 v2, v1
; %bb.37:
	s_or_b32 exec_lo, exec_lo, s7
	s_mov_b32 s7, exec_lo
	s_waitcnt lgkmcnt(0)
	s_barrier
	buffer_gl0_inv
	v_cmpx_gt_u32_e32 8, v0
	s_cbranch_execz .LBB880_39
; %bb.38:
	ds_read_b32 v2, v42
	v_and_b32_e32 v3, 7, v62
	v_cmp_ne_u32_e32 vcc_lo, 0, v3
	s_waitcnt lgkmcnt(0)
	v_mov_b32_dpp v4, v2 row_shr:1 row_mask:0xf bank_mask:0xf
	v_cndmask_b32_e32 v4, 0, v4, vcc_lo
	v_cmp_lt_u32_e32 vcc_lo, 1, v3
	v_add_nc_u32_e32 v2, v4, v2
	v_mov_b32_dpp v4, v2 row_shr:2 row_mask:0xf bank_mask:0xf
	v_cndmask_b32_e32 v4, 0, v4, vcc_lo
	v_cmp_lt_u32_e32 vcc_lo, 3, v3
	v_add_nc_u32_e32 v2, v2, v4
	v_mov_b32_dpp v4, v2 row_shr:4 row_mask:0xf bank_mask:0xf
	v_cndmask_b32_e32 v3, 0, v4, vcc_lo
	v_add_nc_u32_e32 v2, v2, v3
	ds_write_b32 v42, v2
.LBB880_39:
	s_or_b32 exec_lo, exec_lo, s7
	s_mov_b32 s8, exec_lo
	v_cmp_gt_u32_e32 vcc_lo, 32, v0
	s_waitcnt lgkmcnt(0)
	s_barrier
	buffer_gl0_inv
                                        ; implicit-def: $vgpr10
	v_cmpx_lt_u32_e32 31, v0
	s_cbranch_execz .LBB880_41
; %bb.40:
	v_lshl_add_u32 v2, v63, 2, -4
	ds_read_b32 v10, v2
	s_waitcnt lgkmcnt(0)
	v_add_nc_u32_e32 v1, v10, v1
.LBB880_41:
	s_or_b32 exec_lo, exec_lo, s8
	v_sub_co_u32 v2, s7, v62, 1
	v_cmp_gt_i32_e64 s8, 0, v2
	v_cndmask_b32_e64 v2, v2, v62, s8
	v_lshlrev_b32_e32 v2, 2, v2
	ds_bpermute_b32 v11, v2, v1
	s_and_saveexec_b32 s8, vcc_lo
	s_cbranch_execz .LBB880_61
; %bb.42:
	v_mov_b32_e32 v7, 0
	ds_read_b32 v1, v7 offset:28
	s_and_saveexec_b32 s9, s7
	s_cbranch_execz .LBB880_44
; %bb.43:
	s_add_i32 s10, s6, 32
	s_mov_b32 s11, 0
	v_mov_b32_e32 v2, 1
	s_lshl_b64 s[10:11], s[10:11], 3
	s_add_u32 s10, s22, s10
	s_addc_u32 s11, s23, s11
	s_waitcnt lgkmcnt(0)
	global_store_dwordx2 v7, v[1:2], s[10:11]
.LBB880_44:
	s_or_b32 exec_lo, exec_lo, s9
	v_xad_u32 v3, v62, -1, s6
	s_mov_b32 s10, 0
	v_add_nc_u32_e32 v6, 32, v3
	v_lshlrev_b64 v[4:5], 3, v[6:7]
	v_add_co_u32 v8, vcc_lo, s22, v4
	v_add_co_ci_u32_e64 v9, null, s23, v5, vcc_lo
	global_load_dwordx2 v[5:6], v[8:9], off glc dlc
	s_waitcnt vmcnt(0)
	v_cmp_eq_u16_sdwa s11, v6, v7 src0_sel:BYTE_0 src1_sel:DWORD
	s_and_saveexec_b32 s9, s11
	s_cbranch_execz .LBB880_48
; %bb.45:
	v_mov_b32_e32 v2, 0
.LBB880_46:                             ; =>This Inner Loop Header: Depth=1
	global_load_dwordx2 v[5:6], v[8:9], off glc dlc
	s_waitcnt vmcnt(0)
	v_cmp_ne_u16_sdwa s11, v6, v2 src0_sel:BYTE_0 src1_sel:DWORD
	s_or_b32 s10, s11, s10
	s_andn2_b32 exec_lo, exec_lo, s10
	s_cbranch_execnz .LBB880_46
; %bb.47:
	s_or_b32 exec_lo, exec_lo, s10
.LBB880_48:
	s_or_b32 exec_lo, exec_lo, s9
	v_cmp_ne_u32_e32 vcc_lo, 31, v62
	v_mov_b32_e32 v12, 2
	v_lshlrev_b32_e64 v13, v62, -1
	v_add_nc_u32_e32 v15, 2, v62
	v_add_nc_u32_e32 v17, 4, v62
	v_add_co_ci_u32_e64 v2, null, 0, v62, vcc_lo
	v_cmp_eq_u16_sdwa s9, v6, v12 src0_sel:BYTE_0 src1_sel:DWORD
	v_cmp_gt_u32_e32 vcc_lo, 30, v62
	v_add_nc_u32_e32 v66, 8, v62
	v_lshlrev_b32_e32 v9, 2, v2
	v_lshl_or_b32 v67, v62, 2, 64
	v_and_or_b32 v4, s9, v13, 0x80000000
	v_cndmask_b32_e64 v7, 0, 2, vcc_lo
	v_add_nc_u32_e32 v68, 16, v62
	ds_bpermute_b32 v2, v9, v5
	v_ffbl_b32_e32 v4, v4
	v_add_lshl_u32 v14, v7, v62, 2
	v_cmp_lt_u32_e32 vcc_lo, v62, v4
	s_waitcnt lgkmcnt(0)
	v_cndmask_b32_e32 v2, 0, v2, vcc_lo
	v_cmp_gt_u32_e32 vcc_lo, 28, v62
	v_add_nc_u32_e32 v2, v2, v5
	v_cndmask_b32_e64 v7, 0, 4, vcc_lo
	v_cmp_le_u32_e32 vcc_lo, v15, v4
	ds_bpermute_b32 v5, v14, v2
	v_add_lshl_u32 v16, v7, v62, 2
	s_waitcnt lgkmcnt(0)
	v_cndmask_b32_e32 v5, 0, v5, vcc_lo
	v_cmp_gt_u32_e32 vcc_lo, 24, v62
	v_add_nc_u32_e32 v2, v2, v5
	v_cndmask_b32_e64 v7, 0, 8, vcc_lo
	v_cmp_le_u32_e32 vcc_lo, v17, v4
	ds_bpermute_b32 v5, v16, v2
	v_add_lshl_u32 v65, v7, v62, 2
	s_waitcnt lgkmcnt(0)
	v_cndmask_b32_e32 v5, 0, v5, vcc_lo
	v_cmp_le_u32_e32 vcc_lo, v66, v4
	v_add_nc_u32_e32 v2, v2, v5
	ds_bpermute_b32 v5, v65, v2
	s_waitcnt lgkmcnt(0)
	v_cndmask_b32_e32 v5, 0, v5, vcc_lo
	v_cmp_le_u32_e32 vcc_lo, v68, v4
	v_add_nc_u32_e32 v2, v2, v5
	ds_bpermute_b32 v5, v67, v2
	s_waitcnt lgkmcnt(0)
	v_cndmask_b32_e32 v4, 0, v5, vcc_lo
	v_add_nc_u32_e32 v5, v2, v4
	v_mov_b32_e32 v4, 0
	s_branch .LBB880_52
.LBB880_49:                             ;   in Loop: Header=BB880_52 Depth=1
	s_or_b32 exec_lo, exec_lo, s10
.LBB880_50:                             ;   in Loop: Header=BB880_52 Depth=1
	s_or_b32 exec_lo, exec_lo, s9
	ds_bpermute_b32 v7, v9, v5
	v_cmp_eq_u16_sdwa s9, v6, v12 src0_sel:BYTE_0 src1_sel:DWORD
	v_subrev_nc_u32_e32 v3, 32, v3
	v_and_or_b32 v8, s9, v13, 0x80000000
	s_mov_b32 s9, 0
	v_ffbl_b32_e32 v8, v8
	v_cmp_lt_u32_e32 vcc_lo, v62, v8
	s_waitcnt lgkmcnt(0)
	v_cndmask_b32_e32 v7, 0, v7, vcc_lo
	v_cmp_le_u32_e32 vcc_lo, v15, v8
	v_add_nc_u32_e32 v5, v7, v5
	ds_bpermute_b32 v7, v14, v5
	s_waitcnt lgkmcnt(0)
	v_cndmask_b32_e32 v7, 0, v7, vcc_lo
	v_cmp_le_u32_e32 vcc_lo, v17, v8
	v_add_nc_u32_e32 v5, v5, v7
	ds_bpermute_b32 v7, v16, v5
	;; [unrolled: 5-line block ×4, first 2 shown]
	s_waitcnt lgkmcnt(0)
	v_cndmask_b32_e32 v7, 0, v7, vcc_lo
	v_add3_u32 v5, v7, v2, v5
.LBB880_51:                             ;   in Loop: Header=BB880_52 Depth=1
	s_and_b32 vcc_lo, exec_lo, s9
	s_cbranch_vccnz .LBB880_57
.LBB880_52:                             ; =>This Loop Header: Depth=1
                                        ;     Child Loop BB880_55 Depth 2
	v_cmp_ne_u16_sdwa s9, v6, v12 src0_sel:BYTE_0 src1_sel:DWORD
	v_mov_b32_e32 v2, v5
                                        ; implicit-def: $vgpr5
                                        ; implicit-def: $vgpr6
	s_cmp_lg_u32 s9, exec_lo
	s_mov_b32 s9, -1
	s_cbranch_scc1 .LBB880_51
; %bb.53:                               ;   in Loop: Header=BB880_52 Depth=1
	v_lshlrev_b64 v[5:6], 3, v[3:4]
	v_add_co_u32 v7, vcc_lo, s22, v5
	v_add_co_ci_u32_e64 v8, null, s23, v6, vcc_lo
	global_load_dwordx2 v[5:6], v[7:8], off glc dlc
	s_waitcnt vmcnt(0)
	v_cmp_eq_u16_sdwa s10, v6, v4 src0_sel:BYTE_0 src1_sel:DWORD
	s_and_saveexec_b32 s9, s10
	s_cbranch_execz .LBB880_50
; %bb.54:                               ;   in Loop: Header=BB880_52 Depth=1
	s_mov_b32 s10, 0
.LBB880_55:                             ;   Parent Loop BB880_52 Depth=1
                                        ; =>  This Inner Loop Header: Depth=2
	global_load_dwordx2 v[5:6], v[7:8], off glc dlc
	s_waitcnt vmcnt(0)
	v_cmp_ne_u16_sdwa s11, v6, v4 src0_sel:BYTE_0 src1_sel:DWORD
	s_or_b32 s10, s11, s10
	s_andn2_b32 exec_lo, exec_lo, s10
	s_cbranch_execnz .LBB880_55
	s_branch .LBB880_49
.LBB880_56:
                                        ; implicit-def: $vgpr17
                                        ; implicit-def: $vgpr1_vgpr2_vgpr3_vgpr4_vgpr5_vgpr6_vgpr7_vgpr8_vgpr9_vgpr10_vgpr11_vgpr12_vgpr13_vgpr14_vgpr15_vgpr16
	s_and_b32 vcc_lo, exec_lo, s7
	s_cbranch_vccnz .LBB880_62
	s_branch .LBB880_71
.LBB880_57:
	s_and_saveexec_b32 s9, s7
	s_cbranch_execz .LBB880_59
; %bb.58:
	s_add_i32 s10, s6, 32
	s_mov_b32 s11, 0
	v_add_nc_u32_e32 v3, v2, v1
	v_mov_b32_e32 v4, 2
	s_lshl_b64 s[10:11], s[10:11], 3
	v_mov_b32_e32 v5, 0
	s_add_u32 s10, s22, s10
	s_addc_u32 s11, s23, s11
	global_store_dwordx2 v5, v[3:4], s[10:11]
	ds_write_b64 v5, v[1:2] offset:13312
.LBB880_59:
	s_or_b32 exec_lo, exec_lo, s9
	v_cmp_eq_u32_e32 vcc_lo, 0, v0
	s_and_b32 exec_lo, exec_lo, vcc_lo
; %bb.60:
	v_mov_b32_e32 v1, 0
	ds_write_b32 v1, v2 offset:28
.LBB880_61:
	s_or_b32 exec_lo, exec_lo, s8
	v_mov_b32_e32 v12, 0
	s_waitcnt lgkmcnt(0)
	s_waitcnt_vscnt null, 0x0
	s_barrier
	buffer_gl0_inv
	v_cndmask_b32_e64 v2, v11, v10, s7
	ds_read_b32 v1, v12 offset:28
	v_cmp_ne_u32_e32 vcc_lo, 0, v0
	s_waitcnt lgkmcnt(0)
	s_barrier
	buffer_gl0_inv
	ds_read_b64 v[16:17], v12 offset:13312
	v_cndmask_b32_e32 v2, 0, v2, vcc_lo
	v_add_nc_u32_e32 v1, v1, v2
	v_add_nc_u32_e32 v2, v1, v53
	;; [unrolled: 1-line block ×13, first 2 shown]
	s_branch .LBB880_71
.LBB880_62:
	v_mov_b32_dpp v1, v64 row_shr:1 row_mask:0xf bank_mask:0xf
	v_cndmask_b32_e64 v1, v1, 0, s5
	v_add_nc_u32_e32 v1, v1, v64
	v_mov_b32_dpp v2, v1 row_shr:2 row_mask:0xf bank_mask:0xf
	v_cndmask_b32_e64 v2, 0, v2, s4
	v_add_nc_u32_e32 v1, v1, v2
	;; [unrolled: 3-line block ×4, first 2 shown]
	ds_swizzle_b32 v2, v1 offset:swizzle(BROADCAST,32,15)
	s_waitcnt lgkmcnt(0)
	v_cndmask_b32_e64 v2, v2, 0, s1
	v_add_nc_u32_e32 v1, v1, v2
	s_and_saveexec_b32 s1, s0
; %bb.63:
	v_lshlrev_b32_e32 v2, 2, v63
	ds_write_b32 v2, v1
; %bb.64:
	s_or_b32 exec_lo, exec_lo, s1
	s_mov_b32 s0, exec_lo
	s_waitcnt lgkmcnt(0)
	s_barrier
	buffer_gl0_inv
	v_cmpx_gt_u32_e32 8, v0
	s_cbranch_execz .LBB880_66
; %bb.65:
	ds_read_b32 v2, v42
	v_and_b32_e32 v3, 7, v62
	v_cmp_ne_u32_e32 vcc_lo, 0, v3
	s_waitcnt lgkmcnt(0)
	v_mov_b32_dpp v4, v2 row_shr:1 row_mask:0xf bank_mask:0xf
	v_cndmask_b32_e32 v4, 0, v4, vcc_lo
	v_cmp_lt_u32_e32 vcc_lo, 1, v3
	v_add_nc_u32_e32 v2, v4, v2
	v_mov_b32_dpp v4, v2 row_shr:2 row_mask:0xf bank_mask:0xf
	v_cndmask_b32_e32 v4, 0, v4, vcc_lo
	v_cmp_lt_u32_e32 vcc_lo, 3, v3
	v_add_nc_u32_e32 v2, v2, v4
	v_mov_b32_dpp v4, v2 row_shr:4 row_mask:0xf bank_mask:0xf
	v_cndmask_b32_e32 v3, 0, v4, vcc_lo
	v_add_nc_u32_e32 v2, v2, v3
	ds_write_b32 v42, v2
.LBB880_66:
	s_or_b32 exec_lo, exec_lo, s0
	v_mov_b32_e32 v3, 0
	v_mov_b32_e32 v2, 0
	s_mov_b32 s0, exec_lo
	s_waitcnt lgkmcnt(0)
	s_barrier
	buffer_gl0_inv
	v_cmpx_lt_u32_e32 31, v0
; %bb.67:
	v_lshl_add_u32 v2, v63, 2, -4
	ds_read_b32 v2, v2
; %bb.68:
	s_or_b32 exec_lo, exec_lo, s0
	v_sub_co_u32 v4, vcc_lo, v62, 1
	s_waitcnt lgkmcnt(0)
	v_add_nc_u32_e32 v1, v2, v1
	ds_read_b32 v16, v3 offset:28
	v_cmp_gt_i32_e64 s0, 0, v4
	v_cndmask_b32_e64 v4, v4, v62, s0
	v_cmp_eq_u32_e64 s0, 0, v0
	v_lshlrev_b32_e32 v4, 2, v4
	ds_bpermute_b32 v1, v4, v1
	s_and_saveexec_b32 s1, s0
	s_cbranch_execz .LBB880_70
; %bb.69:
	v_mov_b32_e32 v3, 0
	v_mov_b32_e32 v17, 2
	s_waitcnt lgkmcnt(1)
	global_store_dwordx2 v3, v[16:17], s[22:23] offset:256
.LBB880_70:
	s_or_b32 exec_lo, exec_lo, s1
	s_waitcnt lgkmcnt(0)
	v_cndmask_b32_e32 v1, v1, v2, vcc_lo
	v_mov_b32_e32 v17, 0
	s_waitcnt_vscnt null, 0x0
	s_barrier
	buffer_gl0_inv
	v_cndmask_b32_e64 v1, v1, 0, s0
	v_add_nc_u32_e32 v2, v1, v53
	v_add_nc_u32_e32 v3, v2, v54
	v_add_nc_u32_e32 v4, v3, v55
	v_add_nc_u32_e32 v5, v4, v52
	v_add_nc_u32_e32 v6, v5, v56
	v_add_nc_u32_e32 v7, v6, v57
	v_add_nc_u32_e32 v8, v7, v58
	v_add_nc_u32_e32 v9, v8, v51
	v_add_nc_u32_e32 v10, v9, v59
	v_add_nc_u32_e32 v11, v10, v60
	v_add_nc_u32_e32 v12, v11, v61
	v_add_nc_u32_e32 v13, v12, v49
.LBB880_71:
	s_waitcnt lgkmcnt(0)
	v_add_nc_u32_e32 v45, v16, v45
	v_sub_nc_u32_e32 v1, v1, v17
	v_and_b32_e32 v54, 1, v50
	v_lshrrev_b32_e32 v53, 8, v50
	v_sub_nc_u32_e32 v2, v2, v17
	v_sub_nc_u32_e32 v3, v3, v17
	v_sub_nc_u32_e32 v55, v45, v1
	v_cmp_eq_u32_e32 vcc_lo, 1, v54
	v_and_b32_e32 v53, 1, v53
	v_mov_b32_e32 v56, 1
	v_sub_nc_u32_e32 v54, v45, v2
	v_sub_nc_u32_e32 v4, v4, v17
	v_cndmask_b32_e32 v1, v55, v1, vcc_lo
	v_sub_nc_u32_e32 v55, v45, v3
	v_and_b32_sdwa v50, v56, v50 dst_sel:DWORD dst_unused:UNUSED_PAD src0_sel:DWORD src1_sel:WORD_1
	v_add_nc_u32_e32 v54, 1, v54
	v_cmp_eq_u32_e32 vcc_lo, 1, v53
	v_lshlrev_b32_e32 v1, 2, v1
	v_and_b32_e32 v52, 1, v52
	v_sub_nc_u32_e32 v57, v45, v4
	v_add_nc_u32_e32 v55, 2, v55
	v_lshrrev_b32_e32 v15, 8, v48
	ds_write_b32 v1, v28
	v_cndmask_b32_e32 v1, v54, v2, vcc_lo
	v_cmp_eq_u32_e32 vcc_lo, 1, v50
	v_add_nc_u32_e32 v57, 3, v57
	v_lshrrev_b32_e32 v14, 8, v47
	v_lshlrev_b32_e32 v1, 2, v1
	v_cndmask_b32_e32 v2, v55, v3, vcc_lo
	v_cmp_eq_u32_e32 vcc_lo, 1, v52
	ds_write_b32 v1, v29
	v_lshlrev_b32_e32 v2, 2, v2
	v_cndmask_b32_e32 v3, v57, v4, vcc_lo
	v_sub_nc_u32_e32 v4, v5, v17
	v_sub_nc_u32_e32 v5, v6, v17
	v_lshlrev_b32_e32 v3, 2, v3
	v_sub_nc_u32_e32 v1, v45, v4
	v_sub_nc_u32_e32 v6, v45, v5
	ds_write_b32 v2, v26
	ds_write_b32 v3, v27
	v_and_b32_e32 v2, 1, v48
	v_add_nc_u32_e32 v1, 4, v1
	v_add_nc_u32_e32 v3, 5, v6
	v_sub_nc_u32_e32 v6, v7, v17
	v_and_b32_e32 v7, 1, v15
	v_cmp_eq_u32_e32 vcc_lo, 1, v2
	v_sub_nc_u32_e32 v2, v8, v17
	v_and_b32_e32 v8, 1, v51
	v_add_co_u32 v15, s0, s20, v17
	v_cndmask_b32_e32 v1, v1, v4, vcc_lo
	v_sub_nc_u32_e32 v4, v45, v6
	v_cmp_eq_u32_e32 vcc_lo, 1, v7
	v_and_b32_sdwa v7, v56, v48 dst_sel:DWORD dst_unused:UNUSED_PAD src0_sel:DWORD src1_sel:WORD_1
	v_lshlrev_b32_e32 v1, 2, v1
	v_add_nc_u32_e32 v4, 6, v4
	v_cndmask_b32_e32 v3, v3, v5, vcc_lo
	v_sub_nc_u32_e32 v5, v45, v2
	v_cmp_eq_u32_e32 vcc_lo, 1, v7
	v_sub_nc_u32_e32 v7, v13, v17
	v_lshlrev_b32_e32 v3, 2, v3
	v_add_nc_u32_e32 v5, 7, v5
	v_cndmask_b32_e32 v4, v4, v6, vcc_lo
	v_cmp_eq_u32_e32 vcc_lo, 1, v8
	v_sub_nc_u32_e32 v6, v9, v17
	ds_write_b32 v1, v24
	ds_write_b32 v3, v25
	v_lshlrev_b32_e32 v3, 2, v4
	v_cndmask_b32_e32 v2, v5, v2, vcc_lo
	v_sub_nc_u32_e32 v1, v45, v6
	v_and_b32_e32 v5, 1, v47
	v_sub_nc_u32_e32 v4, v10, v17
	v_and_b32_e32 v10, 1, v49
	v_lshlrev_b32_e32 v2, 2, v2
	v_add_nc_u32_e32 v1, 8, v1
	ds_write_b32 v3, v22
	ds_write_b32 v2, v23
	v_cmp_eq_u32_e32 vcc_lo, 1, v5
	v_sub_nc_u32_e32 v3, v11, v17
	v_sub_nc_u32_e32 v2, v45, v4
	;; [unrolled: 1-line block ×3, first 2 shown]
	v_and_b32_e32 v11, 1, v46
	v_cndmask_b32_e32 v1, v1, v6, vcc_lo
	v_and_b32_e32 v6, 1, v14
	v_sub_nc_u32_e32 v8, v45, v3
	v_add_nc_u32_e32 v2, 9, v2
	v_sub_nc_u32_e32 v9, v45, v5
	v_lshlrev_b32_e32 v1, 2, v1
	v_cmp_eq_u32_e32 vcc_lo, 1, v6
	v_add_nc_u32_e32 v6, 10, v8
	v_and_b32_sdwa v8, v56, v47 dst_sel:DWORD dst_unused:UNUSED_PAD src0_sel:DWORD src1_sel:WORD_1
	v_add_nc_u32_e32 v9, 11, v9
	v_add_co_ci_u32_e64 v17, null, s21, 0, s0
	v_cndmask_b32_e32 v2, v2, v4, vcc_lo
	v_cmp_eq_u32_e32 vcc_lo, 1, v8
	v_sub_nc_u32_e32 v4, v45, v7
	v_lshlrev_b32_e32 v2, 2, v2
	v_cndmask_b32_e32 v3, v6, v3, vcc_lo
	v_cmp_eq_u32_e32 vcc_lo, 1, v10
	v_add_nc_u32_e32 v4, 12, v4
	v_lshlrev_b32_e32 v3, 2, v3
	v_cndmask_b32_e32 v5, v9, v5, vcc_lo
	v_cmp_eq_u32_e32 vcc_lo, 1, v11
	v_lshlrev_b32_e32 v5, 2, v5
	v_cndmask_b32_e32 v4, v4, v7, vcc_lo
	v_cmp_ne_u32_e32 vcc_lo, 1, v43
	v_lshlrev_b32_e32 v4, 2, v4
	ds_write_b32 v1, v20
	ds_write_b32 v2, v21
	;; [unrolled: 1-line block ×5, first 2 shown]
	s_waitcnt lgkmcnt(0)
	s_barrier
	buffer_gl0_inv
	ds_read2st64_b32 v[11:12], v42 offset1:4
	ds_read2st64_b32 v[9:10], v42 offset0:8 offset1:12
	ds_read2st64_b32 v[7:8], v42 offset0:16 offset1:20
	;; [unrolled: 1-line block ×5, first 2 shown]
	ds_read_b32 v18, v42 offset:12288
	s_cbranch_vccnz .LBB880_125
; %bb.72:
	s_sub_u32 s0, s18, s26
	v_sub_co_u32 v13, vcc_lo, v15, s16
	s_subb_u32 s1, s19, 0
	v_add_co_u32 v19, s0, s0, v16
	v_subrev_co_ci_u32_e64 v14, null, s17, v17, vcc_lo
	v_add_co_ci_u32_e64 v20, null, s1, 0, s0
	v_add_co_u32 v19, vcc_lo, v19, v13
	s_mov_b32 s0, exec_lo
	v_add_co_ci_u32_e64 v20, null, v20, v14, vcc_lo
                                        ; implicit-def: $vgpr13_vgpr14
	v_cmpx_ge_u32_e64 v0, v16
	s_xor_b32 s0, exec_lo, s0
; %bb.73:
	v_not_b32_e32 v13, v0
	v_ashrrev_i32_e32 v14, 31, v13
	v_add_co_u32 v13, vcc_lo, v19, v13
	v_add_co_ci_u32_e64 v14, null, v20, v14, vcc_lo
; %bb.74:
	s_andn2_saveexec_b32 s0, s0
; %bb.75:
	v_add_co_u32 v13, vcc_lo, v15, v0
	v_add_co_ci_u32_e64 v14, null, 0, v17, vcc_lo
; %bb.76:
	s_or_b32 exec_lo, exec_lo, s0
	v_lshlrev_b64 v[13:14], 2, v[13:14]
	s_mov_b32 s0, exec_lo
	v_add_co_u32 v13, vcc_lo, s14, v13
	v_add_co_ci_u32_e64 v14, null, s15, v14, vcc_lo
	s_waitcnt lgkmcnt(6)
	global_store_dword v[13:14], v11, off
                                        ; implicit-def: $vgpr13_vgpr14
	v_cmpx_ge_u32_e64 v41, v16
	s_xor_b32 s0, exec_lo, s0
; %bb.77:
	v_xor_b32_e32 v13, 0xfffffeff, v0
	v_ashrrev_i32_e32 v14, 31, v13
	v_add_co_u32 v13, vcc_lo, v19, v13
	v_add_co_ci_u32_e64 v14, null, v20, v14, vcc_lo
; %bb.78:
	s_andn2_saveexec_b32 s0, s0
; %bb.79:
	v_add_co_u32 v13, vcc_lo, v15, v41
	v_add_co_ci_u32_e64 v14, null, 0, v17, vcc_lo
; %bb.80:
	s_or_b32 exec_lo, exec_lo, s0
	v_lshlrev_b64 v[13:14], 2, v[13:14]
	s_mov_b32 s0, exec_lo
	v_add_co_u32 v13, vcc_lo, s14, v13
	v_add_co_ci_u32_e64 v14, null, s15, v14, vcc_lo
	global_store_dword v[13:14], v12, off
                                        ; implicit-def: $vgpr13_vgpr14
	v_cmpx_ge_u32_e64 v40, v16
	s_xor_b32 s0, exec_lo, s0
; %bb.81:
	v_xor_b32_e32 v13, 0xfffffdff, v0
	v_ashrrev_i32_e32 v14, 31, v13
	v_add_co_u32 v13, vcc_lo, v19, v13
	v_add_co_ci_u32_e64 v14, null, v20, v14, vcc_lo
; %bb.82:
	s_andn2_saveexec_b32 s0, s0
; %bb.83:
	v_add_co_u32 v13, vcc_lo, v15, v40
	v_add_co_ci_u32_e64 v14, null, 0, v17, vcc_lo
; %bb.84:
	s_or_b32 exec_lo, exec_lo, s0
	v_lshlrev_b64 v[13:14], 2, v[13:14]
	s_mov_b32 s0, exec_lo
	v_add_co_u32 v13, vcc_lo, s14, v13
	v_add_co_ci_u32_e64 v14, null, s15, v14, vcc_lo
	s_waitcnt lgkmcnt(5)
	global_store_dword v[13:14], v9, off
                                        ; implicit-def: $vgpr13_vgpr14
	v_cmpx_ge_u32_e64 v39, v16
	s_xor_b32 s0, exec_lo, s0
; %bb.85:
	v_xor_b32_e32 v13, 0xfffffcff, v0
	v_ashrrev_i32_e32 v14, 31, v13
	v_add_co_u32 v13, vcc_lo, v19, v13
	v_add_co_ci_u32_e64 v14, null, v20, v14, vcc_lo
; %bb.86:
	s_andn2_saveexec_b32 s0, s0
; %bb.87:
	v_add_co_u32 v13, vcc_lo, v15, v39
	v_add_co_ci_u32_e64 v14, null, 0, v17, vcc_lo
; %bb.88:
	s_or_b32 exec_lo, exec_lo, s0
	v_lshlrev_b64 v[13:14], 2, v[13:14]
	s_mov_b32 s0, exec_lo
	v_add_co_u32 v13, vcc_lo, s14, v13
	v_add_co_ci_u32_e64 v14, null, s15, v14, vcc_lo
	global_store_dword v[13:14], v10, off
                                        ; implicit-def: $vgpr13_vgpr14
	v_cmpx_ge_u32_e64 v38, v16
	s_xor_b32 s0, exec_lo, s0
; %bb.89:
	v_xor_b32_e32 v13, 0xfffffbff, v0
	;; [unrolled: 41-line block ×6, first 2 shown]
	v_ashrrev_i32_e32 v14, 31, v13
	v_add_co_u32 v13, vcc_lo, v19, v13
	v_add_co_ci_u32_e64 v14, null, v20, v14, vcc_lo
; %bb.122:
	s_andn2_saveexec_b32 s0, s0
; %bb.123:
	v_add_co_u32 v13, vcc_lo, v15, v30
	v_add_co_ci_u32_e64 v14, null, 0, v17, vcc_lo
; %bb.124:
	s_or_b32 exec_lo, exec_lo, s0
	s_mov_b32 s0, -1
	s_branch .LBB880_205
.LBB880_125:
	s_mov_b32 s0, 0
                                        ; implicit-def: $vgpr13_vgpr14
	s_cbranch_execz .LBB880_205
; %bb.126:
	s_add_u32 s1, s16, s26
	s_addc_u32 s2, s17, 0
	s_sub_u32 s1, s18, s1
	s_subb_u32 s2, s19, s2
	v_add_co_u32 v13, s1, s1, v16
	v_add_co_ci_u32_e64 v14, null, s2, 0, s1
	s_mov_b32 s1, exec_lo
	v_add_co_u32 v19, vcc_lo, v13, v15
	v_add_co_ci_u32_e64 v20, null, v14, v17, vcc_lo
	v_cmpx_gt_u32_e64 s25, v0
	s_cbranch_execz .LBB880_162
; %bb.127:
	s_mov_b32 s2, exec_lo
                                        ; implicit-def: $vgpr13_vgpr14
	v_cmpx_ge_u32_e64 v0, v16
	s_xor_b32 s2, exec_lo, s2
; %bb.128:
	v_not_b32_e32 v13, v0
	v_ashrrev_i32_e32 v14, 31, v13
	v_add_co_u32 v13, vcc_lo, v19, v13
	v_add_co_ci_u32_e64 v14, null, v20, v14, vcc_lo
; %bb.129:
	s_andn2_saveexec_b32 s2, s2
; %bb.130:
	v_add_co_u32 v13, vcc_lo, v15, v0
	v_add_co_ci_u32_e64 v14, null, 0, v17, vcc_lo
; %bb.131:
	s_or_b32 exec_lo, exec_lo, s2
	v_lshlrev_b64 v[13:14], 2, v[13:14]
	v_add_co_u32 v13, vcc_lo, s14, v13
	v_add_co_ci_u32_e64 v14, null, s15, v14, vcc_lo
	s_waitcnt lgkmcnt(6)
	global_store_dword v[13:14], v11, off
	s_or_b32 exec_lo, exec_lo, s1
	s_mov_b32 s1, exec_lo
	v_cmpx_gt_u32_e64 s25, v41
	s_cbranch_execnz .LBB880_163
.LBB880_132:
	s_or_b32 exec_lo, exec_lo, s1
	s_mov_b32 s1, exec_lo
	v_cmpx_gt_u32_e64 s25, v40
	s_cbranch_execz .LBB880_168
.LBB880_133:
	s_mov_b32 s2, exec_lo
                                        ; implicit-def: $vgpr11_vgpr12
	v_cmpx_ge_u32_e64 v40, v16
	s_xor_b32 s2, exec_lo, s2
	s_cbranch_execz .LBB880_135
; %bb.134:
	s_waitcnt lgkmcnt(6)
	v_xor_b32_e32 v11, 0xfffffdff, v0
                                        ; implicit-def: $vgpr40
	v_ashrrev_i32_e32 v12, 31, v11
	v_add_co_u32 v11, vcc_lo, v19, v11
	v_add_co_ci_u32_e64 v12, null, v20, v12, vcc_lo
.LBB880_135:
	s_andn2_saveexec_b32 s2, s2
	s_cbranch_execz .LBB880_137
; %bb.136:
	s_waitcnt lgkmcnt(6)
	v_add_co_u32 v11, vcc_lo, v15, v40
	v_add_co_ci_u32_e64 v12, null, 0, v17, vcc_lo
.LBB880_137:
	s_or_b32 exec_lo, exec_lo, s2
	s_waitcnt lgkmcnt(6)
	v_lshlrev_b64 v[11:12], 2, v[11:12]
	v_add_co_u32 v11, vcc_lo, s14, v11
	v_add_co_ci_u32_e64 v12, null, s15, v12, vcc_lo
	s_waitcnt lgkmcnt(5)
	global_store_dword v[11:12], v9, off
	s_or_b32 exec_lo, exec_lo, s1
	s_mov_b32 s1, exec_lo
	v_cmpx_gt_u32_e64 s25, v39
	s_cbranch_execnz .LBB880_169
.LBB880_138:
	s_or_b32 exec_lo, exec_lo, s1
	s_mov_b32 s1, exec_lo
	v_cmpx_gt_u32_e64 s25, v38
	s_cbranch_execz .LBB880_174
.LBB880_139:
	s_mov_b32 s2, exec_lo
                                        ; implicit-def: $vgpr9_vgpr10
	v_cmpx_ge_u32_e64 v38, v16
	s_xor_b32 s2, exec_lo, s2
	s_cbranch_execz .LBB880_141
; %bb.140:
	s_waitcnt lgkmcnt(5)
	v_xor_b32_e32 v9, 0xfffffbff, v0
                                        ; implicit-def: $vgpr38
	v_ashrrev_i32_e32 v10, 31, v9
	v_add_co_u32 v9, vcc_lo, v19, v9
	v_add_co_ci_u32_e64 v10, null, v20, v10, vcc_lo
.LBB880_141:
	s_andn2_saveexec_b32 s2, s2
	s_cbranch_execz .LBB880_143
; %bb.142:
	s_waitcnt lgkmcnt(5)
	v_add_co_u32 v9, vcc_lo, v15, v38
	v_add_co_ci_u32_e64 v10, null, 0, v17, vcc_lo
.LBB880_143:
	s_or_b32 exec_lo, exec_lo, s2
	s_waitcnt lgkmcnt(5)
	v_lshlrev_b64 v[9:10], 2, v[9:10]
	v_add_co_u32 v9, vcc_lo, s14, v9
	v_add_co_ci_u32_e64 v10, null, s15, v10, vcc_lo
	s_waitcnt lgkmcnt(4)
	global_store_dword v[9:10], v7, off
	s_or_b32 exec_lo, exec_lo, s1
	s_mov_b32 s1, exec_lo
	v_cmpx_gt_u32_e64 s25, v37
	s_cbranch_execnz .LBB880_175
.LBB880_144:
	s_or_b32 exec_lo, exec_lo, s1
	s_mov_b32 s1, exec_lo
	v_cmpx_gt_u32_e64 s25, v36
	s_cbranch_execz .LBB880_180
.LBB880_145:
	s_mov_b32 s2, exec_lo
                                        ; implicit-def: $vgpr7_vgpr8
	v_cmpx_ge_u32_e64 v36, v16
	s_xor_b32 s2, exec_lo, s2
	s_cbranch_execz .LBB880_147
; %bb.146:
	s_waitcnt lgkmcnt(4)
	v_xor_b32_e32 v7, 0xfffff9ff, v0
                                        ; implicit-def: $vgpr36
	v_ashrrev_i32_e32 v8, 31, v7
	v_add_co_u32 v7, vcc_lo, v19, v7
	v_add_co_ci_u32_e64 v8, null, v20, v8, vcc_lo
.LBB880_147:
	s_andn2_saveexec_b32 s2, s2
	s_cbranch_execz .LBB880_149
; %bb.148:
	s_waitcnt lgkmcnt(4)
	v_add_co_u32 v7, vcc_lo, v15, v36
	v_add_co_ci_u32_e64 v8, null, 0, v17, vcc_lo
.LBB880_149:
	s_or_b32 exec_lo, exec_lo, s2
	s_waitcnt lgkmcnt(4)
	v_lshlrev_b64 v[7:8], 2, v[7:8]
	v_add_co_u32 v7, vcc_lo, s14, v7
	v_add_co_ci_u32_e64 v8, null, s15, v8, vcc_lo
	s_waitcnt lgkmcnt(3)
	global_store_dword v[7:8], v5, off
	s_or_b32 exec_lo, exec_lo, s1
	s_mov_b32 s1, exec_lo
	v_cmpx_gt_u32_e64 s25, v35
	s_cbranch_execnz .LBB880_181
.LBB880_150:
	s_or_b32 exec_lo, exec_lo, s1
	s_mov_b32 s1, exec_lo
	v_cmpx_gt_u32_e64 s25, v34
	s_cbranch_execz .LBB880_186
.LBB880_151:
	s_mov_b32 s2, exec_lo
                                        ; implicit-def: $vgpr5_vgpr6
	v_cmpx_ge_u32_e64 v34, v16
	s_xor_b32 s2, exec_lo, s2
	s_cbranch_execz .LBB880_153
; %bb.152:
	s_waitcnt lgkmcnt(3)
	v_xor_b32_e32 v5, 0xfffff7ff, v0
                                        ; implicit-def: $vgpr34
	v_ashrrev_i32_e32 v6, 31, v5
	v_add_co_u32 v5, vcc_lo, v19, v5
	v_add_co_ci_u32_e64 v6, null, v20, v6, vcc_lo
.LBB880_153:
	s_andn2_saveexec_b32 s2, s2
	s_cbranch_execz .LBB880_155
; %bb.154:
	s_waitcnt lgkmcnt(3)
	v_add_co_u32 v5, vcc_lo, v15, v34
	v_add_co_ci_u32_e64 v6, null, 0, v17, vcc_lo
.LBB880_155:
	s_or_b32 exec_lo, exec_lo, s2
	s_waitcnt lgkmcnt(3)
	v_lshlrev_b64 v[5:6], 2, v[5:6]
	v_add_co_u32 v5, vcc_lo, s14, v5
	v_add_co_ci_u32_e64 v6, null, s15, v6, vcc_lo
	s_waitcnt lgkmcnt(2)
	global_store_dword v[5:6], v3, off
	s_or_b32 exec_lo, exec_lo, s1
	s_mov_b32 s1, exec_lo
	v_cmpx_gt_u32_e64 s25, v33
	s_cbranch_execnz .LBB880_187
.LBB880_156:
	s_or_b32 exec_lo, exec_lo, s1
	s_mov_b32 s1, exec_lo
	v_cmpx_gt_u32_e64 s25, v32
	s_cbranch_execz .LBB880_192
.LBB880_157:
	s_mov_b32 s2, exec_lo
                                        ; implicit-def: $vgpr3_vgpr4
	v_cmpx_ge_u32_e64 v32, v16
	s_xor_b32 s2, exec_lo, s2
	s_cbranch_execz .LBB880_159
; %bb.158:
	s_waitcnt lgkmcnt(2)
	v_xor_b32_e32 v3, 0xfffff5ff, v0
                                        ; implicit-def: $vgpr32
	v_ashrrev_i32_e32 v4, 31, v3
	v_add_co_u32 v3, vcc_lo, v19, v3
	v_add_co_ci_u32_e64 v4, null, v20, v4, vcc_lo
.LBB880_159:
	s_andn2_saveexec_b32 s2, s2
	s_cbranch_execz .LBB880_161
; %bb.160:
	s_waitcnt lgkmcnt(2)
	v_add_co_u32 v3, vcc_lo, v15, v32
	v_add_co_ci_u32_e64 v4, null, 0, v17, vcc_lo
.LBB880_161:
	s_or_b32 exec_lo, exec_lo, s2
	s_waitcnt lgkmcnt(2)
	v_lshlrev_b64 v[3:4], 2, v[3:4]
	v_add_co_u32 v3, vcc_lo, s14, v3
	v_add_co_ci_u32_e64 v4, null, s15, v4, vcc_lo
	s_waitcnt lgkmcnt(1)
	global_store_dword v[3:4], v1, off
	s_or_b32 exec_lo, exec_lo, s1
	s_mov_b32 s1, exec_lo
	v_cmpx_gt_u32_e64 s25, v31
	s_cbranch_execz .LBB880_198
	s_branch .LBB880_193
.LBB880_162:
	s_or_b32 exec_lo, exec_lo, s1
	s_mov_b32 s1, exec_lo
	v_cmpx_gt_u32_e64 s25, v41
	s_cbranch_execz .LBB880_132
.LBB880_163:
	s_mov_b32 s2, exec_lo
                                        ; implicit-def: $vgpr13_vgpr14
	v_cmpx_ge_u32_e64 v41, v16
	s_xor_b32 s2, exec_lo, s2
	s_cbranch_execz .LBB880_165
; %bb.164:
	s_waitcnt lgkmcnt(6)
	v_xor_b32_e32 v11, 0xfffffeff, v0
                                        ; implicit-def: $vgpr41
	v_ashrrev_i32_e32 v14, 31, v11
	v_add_co_u32 v13, vcc_lo, v19, v11
	v_add_co_ci_u32_e64 v14, null, v20, v14, vcc_lo
.LBB880_165:
	s_andn2_saveexec_b32 s2, s2
; %bb.166:
	v_add_co_u32 v13, vcc_lo, v15, v41
	v_add_co_ci_u32_e64 v14, null, 0, v17, vcc_lo
; %bb.167:
	s_or_b32 exec_lo, exec_lo, s2
	v_lshlrev_b64 v[13:14], 2, v[13:14]
	v_add_co_u32 v13, vcc_lo, s14, v13
	v_add_co_ci_u32_e64 v14, null, s15, v14, vcc_lo
	s_waitcnt lgkmcnt(6)
	global_store_dword v[13:14], v12, off
	s_or_b32 exec_lo, exec_lo, s1
	s_mov_b32 s1, exec_lo
	v_cmpx_gt_u32_e64 s25, v40
	s_cbranch_execnz .LBB880_133
.LBB880_168:
	s_or_b32 exec_lo, exec_lo, s1
	s_mov_b32 s1, exec_lo
	v_cmpx_gt_u32_e64 s25, v39
	s_cbranch_execz .LBB880_138
.LBB880_169:
	s_mov_b32 s2, exec_lo
                                        ; implicit-def: $vgpr11_vgpr12
	v_cmpx_ge_u32_e64 v39, v16
	s_xor_b32 s2, exec_lo, s2
	s_cbranch_execz .LBB880_171
; %bb.170:
	s_waitcnt lgkmcnt(5)
	v_xor_b32_e32 v9, 0xfffffcff, v0
                                        ; implicit-def: $vgpr39
	v_ashrrev_i32_e32 v12, 31, v9
	v_add_co_u32 v11, vcc_lo, v19, v9
	v_add_co_ci_u32_e64 v12, null, v20, v12, vcc_lo
.LBB880_171:
	s_andn2_saveexec_b32 s2, s2
	s_cbranch_execz .LBB880_173
; %bb.172:
	s_waitcnt lgkmcnt(6)
	v_add_co_u32 v11, vcc_lo, v15, v39
	v_add_co_ci_u32_e64 v12, null, 0, v17, vcc_lo
.LBB880_173:
	s_or_b32 exec_lo, exec_lo, s2
	s_waitcnt lgkmcnt(6)
	v_lshlrev_b64 v[11:12], 2, v[11:12]
	v_add_co_u32 v11, vcc_lo, s14, v11
	v_add_co_ci_u32_e64 v12, null, s15, v12, vcc_lo
	s_waitcnt lgkmcnt(5)
	global_store_dword v[11:12], v10, off
	s_or_b32 exec_lo, exec_lo, s1
	s_mov_b32 s1, exec_lo
	v_cmpx_gt_u32_e64 s25, v38
	s_cbranch_execnz .LBB880_139
.LBB880_174:
	s_or_b32 exec_lo, exec_lo, s1
	s_mov_b32 s1, exec_lo
	v_cmpx_gt_u32_e64 s25, v37
	s_cbranch_execz .LBB880_144
.LBB880_175:
	s_mov_b32 s2, exec_lo
                                        ; implicit-def: $vgpr9_vgpr10
	v_cmpx_ge_u32_e64 v37, v16
	s_xor_b32 s2, exec_lo, s2
	s_cbranch_execz .LBB880_177
; %bb.176:
	s_waitcnt lgkmcnt(4)
	v_xor_b32_e32 v7, 0xfffffaff, v0
                                        ; implicit-def: $vgpr37
	v_ashrrev_i32_e32 v10, 31, v7
	v_add_co_u32 v9, vcc_lo, v19, v7
	v_add_co_ci_u32_e64 v10, null, v20, v10, vcc_lo
.LBB880_177:
	s_andn2_saveexec_b32 s2, s2
	s_cbranch_execz .LBB880_179
; %bb.178:
	s_waitcnt lgkmcnt(5)
	v_add_co_u32 v9, vcc_lo, v15, v37
	v_add_co_ci_u32_e64 v10, null, 0, v17, vcc_lo
.LBB880_179:
	s_or_b32 exec_lo, exec_lo, s2
	s_waitcnt lgkmcnt(5)
	v_lshlrev_b64 v[9:10], 2, v[9:10]
	v_add_co_u32 v9, vcc_lo, s14, v9
	v_add_co_ci_u32_e64 v10, null, s15, v10, vcc_lo
	s_waitcnt lgkmcnt(4)
	global_store_dword v[9:10], v8, off
	s_or_b32 exec_lo, exec_lo, s1
	s_mov_b32 s1, exec_lo
	v_cmpx_gt_u32_e64 s25, v36
	s_cbranch_execnz .LBB880_145
.LBB880_180:
	s_or_b32 exec_lo, exec_lo, s1
	s_mov_b32 s1, exec_lo
	v_cmpx_gt_u32_e64 s25, v35
	s_cbranch_execz .LBB880_150
.LBB880_181:
	s_mov_b32 s2, exec_lo
                                        ; implicit-def: $vgpr7_vgpr8
	v_cmpx_ge_u32_e64 v35, v16
	s_xor_b32 s2, exec_lo, s2
	s_cbranch_execz .LBB880_183
; %bb.182:
	s_waitcnt lgkmcnt(3)
	v_xor_b32_e32 v5, 0xfffff8ff, v0
                                        ; implicit-def: $vgpr35
	v_ashrrev_i32_e32 v8, 31, v5
	v_add_co_u32 v7, vcc_lo, v19, v5
	v_add_co_ci_u32_e64 v8, null, v20, v8, vcc_lo
.LBB880_183:
	s_andn2_saveexec_b32 s2, s2
	s_cbranch_execz .LBB880_185
; %bb.184:
	s_waitcnt lgkmcnt(4)
	v_add_co_u32 v7, vcc_lo, v15, v35
	v_add_co_ci_u32_e64 v8, null, 0, v17, vcc_lo
.LBB880_185:
	s_or_b32 exec_lo, exec_lo, s2
	s_waitcnt lgkmcnt(4)
	v_lshlrev_b64 v[7:8], 2, v[7:8]
	v_add_co_u32 v7, vcc_lo, s14, v7
	v_add_co_ci_u32_e64 v8, null, s15, v8, vcc_lo
	s_waitcnt lgkmcnt(3)
	global_store_dword v[7:8], v6, off
	s_or_b32 exec_lo, exec_lo, s1
	s_mov_b32 s1, exec_lo
	v_cmpx_gt_u32_e64 s25, v34
	s_cbranch_execnz .LBB880_151
.LBB880_186:
	s_or_b32 exec_lo, exec_lo, s1
	s_mov_b32 s1, exec_lo
	v_cmpx_gt_u32_e64 s25, v33
	s_cbranch_execz .LBB880_156
.LBB880_187:
	s_mov_b32 s2, exec_lo
                                        ; implicit-def: $vgpr5_vgpr6
	v_cmpx_ge_u32_e64 v33, v16
	s_xor_b32 s2, exec_lo, s2
	s_cbranch_execz .LBB880_189
; %bb.188:
	s_waitcnt lgkmcnt(2)
	v_xor_b32_e32 v3, 0xfffff6ff, v0
                                        ; implicit-def: $vgpr33
	v_ashrrev_i32_e32 v6, 31, v3
	v_add_co_u32 v5, vcc_lo, v19, v3
	v_add_co_ci_u32_e64 v6, null, v20, v6, vcc_lo
.LBB880_189:
	s_andn2_saveexec_b32 s2, s2
	s_cbranch_execz .LBB880_191
; %bb.190:
	s_waitcnt lgkmcnt(3)
	v_add_co_u32 v5, vcc_lo, v15, v33
	v_add_co_ci_u32_e64 v6, null, 0, v17, vcc_lo
.LBB880_191:
	s_or_b32 exec_lo, exec_lo, s2
	s_waitcnt lgkmcnt(3)
	v_lshlrev_b64 v[5:6], 2, v[5:6]
	v_add_co_u32 v5, vcc_lo, s14, v5
	v_add_co_ci_u32_e64 v6, null, s15, v6, vcc_lo
	s_waitcnt lgkmcnt(2)
	global_store_dword v[5:6], v4, off
	s_or_b32 exec_lo, exec_lo, s1
	s_mov_b32 s1, exec_lo
	v_cmpx_gt_u32_e64 s25, v32
	s_cbranch_execnz .LBB880_157
.LBB880_192:
	s_or_b32 exec_lo, exec_lo, s1
	s_mov_b32 s1, exec_lo
	v_cmpx_gt_u32_e64 s25, v31
	s_cbranch_execz .LBB880_198
.LBB880_193:
	s_mov_b32 s2, exec_lo
                                        ; implicit-def: $vgpr3_vgpr4
	v_cmpx_ge_u32_e64 v31, v16
	s_xor_b32 s2, exec_lo, s2
	s_cbranch_execz .LBB880_195
; %bb.194:
	s_waitcnt lgkmcnt(1)
	v_xor_b32_e32 v1, 0xfffff4ff, v0
                                        ; implicit-def: $vgpr31
	v_ashrrev_i32_e32 v4, 31, v1
	v_add_co_u32 v3, vcc_lo, v19, v1
	v_add_co_ci_u32_e64 v4, null, v20, v4, vcc_lo
.LBB880_195:
	s_andn2_saveexec_b32 s2, s2
	s_cbranch_execz .LBB880_197
; %bb.196:
	s_waitcnt lgkmcnt(2)
	v_add_co_u32 v3, vcc_lo, v15, v31
	v_add_co_ci_u32_e64 v4, null, 0, v17, vcc_lo
.LBB880_197:
	s_or_b32 exec_lo, exec_lo, s2
	s_waitcnt lgkmcnt(2)
	v_lshlrev_b64 v[3:4], 2, v[3:4]
	v_add_co_u32 v3, vcc_lo, s14, v3
	v_add_co_ci_u32_e64 v4, null, s15, v4, vcc_lo
	s_waitcnt lgkmcnt(1)
	global_store_dword v[3:4], v2, off
.LBB880_198:
	s_or_b32 exec_lo, exec_lo, s1
	s_mov_b32 s1, exec_lo
                                        ; implicit-def: $vgpr13_vgpr14
	v_cmpx_gt_u32_e64 s25, v30
	s_cbranch_execz .LBB880_204
; %bb.199:
	s_mov_b32 s2, exec_lo
                                        ; implicit-def: $vgpr13_vgpr14
	v_cmpx_ge_u32_e64 v30, v16
	s_xor_b32 s2, exec_lo, s2
	s_cbranch_execz .LBB880_201
; %bb.200:
	s_waitcnt lgkmcnt(1)
	v_xor_b32_e32 v1, 0xfffff3ff, v0
                                        ; implicit-def: $vgpr30
	v_ashrrev_i32_e32 v2, 31, v1
	v_add_co_u32 v13, vcc_lo, v19, v1
	v_add_co_ci_u32_e64 v14, null, v20, v2, vcc_lo
.LBB880_201:
	s_andn2_saveexec_b32 s2, s2
; %bb.202:
	v_add_co_u32 v13, vcc_lo, v15, v30
	v_add_co_ci_u32_e64 v14, null, 0, v17, vcc_lo
; %bb.203:
	s_or_b32 exec_lo, exec_lo, s2
	s_or_b32 s0, s0, exec_lo
.LBB880_204:
	s_or_b32 exec_lo, exec_lo, s1
.LBB880_205:
	s_and_saveexec_b32 s1, s0
	s_cbranch_execz .LBB880_207
; %bb.206:
	s_waitcnt lgkmcnt(1)
	v_lshlrev_b64 v[1:2], 2, v[13:14]
	v_add_co_u32 v1, vcc_lo, s14, v1
	v_add_co_ci_u32_e64 v2, null, s15, v2, vcc_lo
	s_waitcnt lgkmcnt(0)
	global_store_dword v[1:2], v18, off
.LBB880_207:
	s_or_b32 exec_lo, exec_lo, s1
	v_cmp_eq_u32_e32 vcc_lo, 0, v0
	s_and_b32 s0, vcc_lo, s24
	s_and_saveexec_b32 s1, s0
	s_cbranch_execz .LBB880_209
; %bb.208:
	v_add_co_u32 v0, vcc_lo, v15, v16
	s_waitcnt lgkmcnt(1)
	v_mov_b32_e32 v2, 0
	v_add_co_ci_u32_e64 v1, null, 0, v17, vcc_lo
	global_store_dwordx2 v2, v[0:1], s[12:13]
.LBB880_209:
	s_endpgm
	.section	.rodata,"a",@progbits
	.p2align	6, 0x0
	.amdhsa_kernel _ZN7rocprim17ROCPRIM_400000_NS6detail17trampoline_kernelINS0_13select_configILj256ELj13ELNS0_17block_load_methodE3ELS4_3ELS4_3ELNS0_20block_scan_algorithmE0ELj4294967295EEENS1_25partition_config_selectorILNS1_17partition_subalgoE3EjNS0_10empty_typeEbEEZZNS1_14partition_implILS8_3ELb0ES6_jNS0_17counting_iteratorIjlEEPS9_SE_NS0_5tupleIJPjSE_EEENSF_IJSE_SE_EEES9_SG_JZNS1_25segmented_radix_sort_implINS0_14default_configELb1EPKsPsPKlPlN2at6native12_GLOBAL__N_18offset_tEEE10hipError_tPvRmT1_PNSt15iterator_traitsISY_E10value_typeET2_T3_PNSZ_IS14_E10value_typeET4_jRbjT5_S1A_jjP12ihipStream_tbEUljE_EEESV_SW_SX_S14_S18_S1A_T6_T7_T9_mT8_S1C_bDpT10_ENKUlT_T0_E_clISt17integral_constantIbLb0EES1P_EEDaS1K_S1L_EUlS1K_E_NS1_11comp_targetILNS1_3genE8ELNS1_11target_archE1030ELNS1_3gpuE2ELNS1_3repE0EEENS1_30default_config_static_selectorELNS0_4arch9wavefront6targetE0EEEvSY_
		.amdhsa_group_segment_fixed_size 13320
		.amdhsa_private_segment_fixed_size 0
		.amdhsa_kernarg_size 144
		.amdhsa_user_sgpr_count 6
		.amdhsa_user_sgpr_private_segment_buffer 1
		.amdhsa_user_sgpr_dispatch_ptr 0
		.amdhsa_user_sgpr_queue_ptr 0
		.amdhsa_user_sgpr_kernarg_segment_ptr 1
		.amdhsa_user_sgpr_dispatch_id 0
		.amdhsa_user_sgpr_flat_scratch_init 0
		.amdhsa_user_sgpr_private_segment_size 0
		.amdhsa_wavefront_size32 1
		.amdhsa_uses_dynamic_stack 0
		.amdhsa_system_sgpr_private_segment_wavefront_offset 0
		.amdhsa_system_sgpr_workgroup_id_x 1
		.amdhsa_system_sgpr_workgroup_id_y 0
		.amdhsa_system_sgpr_workgroup_id_z 0
		.amdhsa_system_sgpr_workgroup_info 0
		.amdhsa_system_vgpr_workitem_id 0
		.amdhsa_next_free_vgpr 69
		.amdhsa_next_free_sgpr 27
		.amdhsa_reserve_vcc 1
		.amdhsa_reserve_flat_scratch 0
		.amdhsa_float_round_mode_32 0
		.amdhsa_float_round_mode_16_64 0
		.amdhsa_float_denorm_mode_32 3
		.amdhsa_float_denorm_mode_16_64 3
		.amdhsa_dx10_clamp 1
		.amdhsa_ieee_mode 1
		.amdhsa_fp16_overflow 0
		.amdhsa_workgroup_processor_mode 1
		.amdhsa_memory_ordered 1
		.amdhsa_forward_progress 1
		.amdhsa_shared_vgpr_count 0
		.amdhsa_exception_fp_ieee_invalid_op 0
		.amdhsa_exception_fp_denorm_src 0
		.amdhsa_exception_fp_ieee_div_zero 0
		.amdhsa_exception_fp_ieee_overflow 0
		.amdhsa_exception_fp_ieee_underflow 0
		.amdhsa_exception_fp_ieee_inexact 0
		.amdhsa_exception_int_div_zero 0
	.end_amdhsa_kernel
	.section	.text._ZN7rocprim17ROCPRIM_400000_NS6detail17trampoline_kernelINS0_13select_configILj256ELj13ELNS0_17block_load_methodE3ELS4_3ELS4_3ELNS0_20block_scan_algorithmE0ELj4294967295EEENS1_25partition_config_selectorILNS1_17partition_subalgoE3EjNS0_10empty_typeEbEEZZNS1_14partition_implILS8_3ELb0ES6_jNS0_17counting_iteratorIjlEEPS9_SE_NS0_5tupleIJPjSE_EEENSF_IJSE_SE_EEES9_SG_JZNS1_25segmented_radix_sort_implINS0_14default_configELb1EPKsPsPKlPlN2at6native12_GLOBAL__N_18offset_tEEE10hipError_tPvRmT1_PNSt15iterator_traitsISY_E10value_typeET2_T3_PNSZ_IS14_E10value_typeET4_jRbjT5_S1A_jjP12ihipStream_tbEUljE_EEESV_SW_SX_S14_S18_S1A_T6_T7_T9_mT8_S1C_bDpT10_ENKUlT_T0_E_clISt17integral_constantIbLb0EES1P_EEDaS1K_S1L_EUlS1K_E_NS1_11comp_targetILNS1_3genE8ELNS1_11target_archE1030ELNS1_3gpuE2ELNS1_3repE0EEENS1_30default_config_static_selectorELNS0_4arch9wavefront6targetE0EEEvSY_,"axG",@progbits,_ZN7rocprim17ROCPRIM_400000_NS6detail17trampoline_kernelINS0_13select_configILj256ELj13ELNS0_17block_load_methodE3ELS4_3ELS4_3ELNS0_20block_scan_algorithmE0ELj4294967295EEENS1_25partition_config_selectorILNS1_17partition_subalgoE3EjNS0_10empty_typeEbEEZZNS1_14partition_implILS8_3ELb0ES6_jNS0_17counting_iteratorIjlEEPS9_SE_NS0_5tupleIJPjSE_EEENSF_IJSE_SE_EEES9_SG_JZNS1_25segmented_radix_sort_implINS0_14default_configELb1EPKsPsPKlPlN2at6native12_GLOBAL__N_18offset_tEEE10hipError_tPvRmT1_PNSt15iterator_traitsISY_E10value_typeET2_T3_PNSZ_IS14_E10value_typeET4_jRbjT5_S1A_jjP12ihipStream_tbEUljE_EEESV_SW_SX_S14_S18_S1A_T6_T7_T9_mT8_S1C_bDpT10_ENKUlT_T0_E_clISt17integral_constantIbLb0EES1P_EEDaS1K_S1L_EUlS1K_E_NS1_11comp_targetILNS1_3genE8ELNS1_11target_archE1030ELNS1_3gpuE2ELNS1_3repE0EEENS1_30default_config_static_selectorELNS0_4arch9wavefront6targetE0EEEvSY_,comdat
.Lfunc_end880:
	.size	_ZN7rocprim17ROCPRIM_400000_NS6detail17trampoline_kernelINS0_13select_configILj256ELj13ELNS0_17block_load_methodE3ELS4_3ELS4_3ELNS0_20block_scan_algorithmE0ELj4294967295EEENS1_25partition_config_selectorILNS1_17partition_subalgoE3EjNS0_10empty_typeEbEEZZNS1_14partition_implILS8_3ELb0ES6_jNS0_17counting_iteratorIjlEEPS9_SE_NS0_5tupleIJPjSE_EEENSF_IJSE_SE_EEES9_SG_JZNS1_25segmented_radix_sort_implINS0_14default_configELb1EPKsPsPKlPlN2at6native12_GLOBAL__N_18offset_tEEE10hipError_tPvRmT1_PNSt15iterator_traitsISY_E10value_typeET2_T3_PNSZ_IS14_E10value_typeET4_jRbjT5_S1A_jjP12ihipStream_tbEUljE_EEESV_SW_SX_S14_S18_S1A_T6_T7_T9_mT8_S1C_bDpT10_ENKUlT_T0_E_clISt17integral_constantIbLb0EES1P_EEDaS1K_S1L_EUlS1K_E_NS1_11comp_targetILNS1_3genE8ELNS1_11target_archE1030ELNS1_3gpuE2ELNS1_3repE0EEENS1_30default_config_static_selectorELNS0_4arch9wavefront6targetE0EEEvSY_, .Lfunc_end880-_ZN7rocprim17ROCPRIM_400000_NS6detail17trampoline_kernelINS0_13select_configILj256ELj13ELNS0_17block_load_methodE3ELS4_3ELS4_3ELNS0_20block_scan_algorithmE0ELj4294967295EEENS1_25partition_config_selectorILNS1_17partition_subalgoE3EjNS0_10empty_typeEbEEZZNS1_14partition_implILS8_3ELb0ES6_jNS0_17counting_iteratorIjlEEPS9_SE_NS0_5tupleIJPjSE_EEENSF_IJSE_SE_EEES9_SG_JZNS1_25segmented_radix_sort_implINS0_14default_configELb1EPKsPsPKlPlN2at6native12_GLOBAL__N_18offset_tEEE10hipError_tPvRmT1_PNSt15iterator_traitsISY_E10value_typeET2_T3_PNSZ_IS14_E10value_typeET4_jRbjT5_S1A_jjP12ihipStream_tbEUljE_EEESV_SW_SX_S14_S18_S1A_T6_T7_T9_mT8_S1C_bDpT10_ENKUlT_T0_E_clISt17integral_constantIbLb0EES1P_EEDaS1K_S1L_EUlS1K_E_NS1_11comp_targetILNS1_3genE8ELNS1_11target_archE1030ELNS1_3gpuE2ELNS1_3repE0EEENS1_30default_config_static_selectorELNS0_4arch9wavefront6targetE0EEEvSY_
                                        ; -- End function
	.set _ZN7rocprim17ROCPRIM_400000_NS6detail17trampoline_kernelINS0_13select_configILj256ELj13ELNS0_17block_load_methodE3ELS4_3ELS4_3ELNS0_20block_scan_algorithmE0ELj4294967295EEENS1_25partition_config_selectorILNS1_17partition_subalgoE3EjNS0_10empty_typeEbEEZZNS1_14partition_implILS8_3ELb0ES6_jNS0_17counting_iteratorIjlEEPS9_SE_NS0_5tupleIJPjSE_EEENSF_IJSE_SE_EEES9_SG_JZNS1_25segmented_radix_sort_implINS0_14default_configELb1EPKsPsPKlPlN2at6native12_GLOBAL__N_18offset_tEEE10hipError_tPvRmT1_PNSt15iterator_traitsISY_E10value_typeET2_T3_PNSZ_IS14_E10value_typeET4_jRbjT5_S1A_jjP12ihipStream_tbEUljE_EEESV_SW_SX_S14_S18_S1A_T6_T7_T9_mT8_S1C_bDpT10_ENKUlT_T0_E_clISt17integral_constantIbLb0EES1P_EEDaS1K_S1L_EUlS1K_E_NS1_11comp_targetILNS1_3genE8ELNS1_11target_archE1030ELNS1_3gpuE2ELNS1_3repE0EEENS1_30default_config_static_selectorELNS0_4arch9wavefront6targetE0EEEvSY_.num_vgpr, 69
	.set _ZN7rocprim17ROCPRIM_400000_NS6detail17trampoline_kernelINS0_13select_configILj256ELj13ELNS0_17block_load_methodE3ELS4_3ELS4_3ELNS0_20block_scan_algorithmE0ELj4294967295EEENS1_25partition_config_selectorILNS1_17partition_subalgoE3EjNS0_10empty_typeEbEEZZNS1_14partition_implILS8_3ELb0ES6_jNS0_17counting_iteratorIjlEEPS9_SE_NS0_5tupleIJPjSE_EEENSF_IJSE_SE_EEES9_SG_JZNS1_25segmented_radix_sort_implINS0_14default_configELb1EPKsPsPKlPlN2at6native12_GLOBAL__N_18offset_tEEE10hipError_tPvRmT1_PNSt15iterator_traitsISY_E10value_typeET2_T3_PNSZ_IS14_E10value_typeET4_jRbjT5_S1A_jjP12ihipStream_tbEUljE_EEESV_SW_SX_S14_S18_S1A_T6_T7_T9_mT8_S1C_bDpT10_ENKUlT_T0_E_clISt17integral_constantIbLb0EES1P_EEDaS1K_S1L_EUlS1K_E_NS1_11comp_targetILNS1_3genE8ELNS1_11target_archE1030ELNS1_3gpuE2ELNS1_3repE0EEENS1_30default_config_static_selectorELNS0_4arch9wavefront6targetE0EEEvSY_.num_agpr, 0
	.set _ZN7rocprim17ROCPRIM_400000_NS6detail17trampoline_kernelINS0_13select_configILj256ELj13ELNS0_17block_load_methodE3ELS4_3ELS4_3ELNS0_20block_scan_algorithmE0ELj4294967295EEENS1_25partition_config_selectorILNS1_17partition_subalgoE3EjNS0_10empty_typeEbEEZZNS1_14partition_implILS8_3ELb0ES6_jNS0_17counting_iteratorIjlEEPS9_SE_NS0_5tupleIJPjSE_EEENSF_IJSE_SE_EEES9_SG_JZNS1_25segmented_radix_sort_implINS0_14default_configELb1EPKsPsPKlPlN2at6native12_GLOBAL__N_18offset_tEEE10hipError_tPvRmT1_PNSt15iterator_traitsISY_E10value_typeET2_T3_PNSZ_IS14_E10value_typeET4_jRbjT5_S1A_jjP12ihipStream_tbEUljE_EEESV_SW_SX_S14_S18_S1A_T6_T7_T9_mT8_S1C_bDpT10_ENKUlT_T0_E_clISt17integral_constantIbLb0EES1P_EEDaS1K_S1L_EUlS1K_E_NS1_11comp_targetILNS1_3genE8ELNS1_11target_archE1030ELNS1_3gpuE2ELNS1_3repE0EEENS1_30default_config_static_selectorELNS0_4arch9wavefront6targetE0EEEvSY_.numbered_sgpr, 27
	.set _ZN7rocprim17ROCPRIM_400000_NS6detail17trampoline_kernelINS0_13select_configILj256ELj13ELNS0_17block_load_methodE3ELS4_3ELS4_3ELNS0_20block_scan_algorithmE0ELj4294967295EEENS1_25partition_config_selectorILNS1_17partition_subalgoE3EjNS0_10empty_typeEbEEZZNS1_14partition_implILS8_3ELb0ES6_jNS0_17counting_iteratorIjlEEPS9_SE_NS0_5tupleIJPjSE_EEENSF_IJSE_SE_EEES9_SG_JZNS1_25segmented_radix_sort_implINS0_14default_configELb1EPKsPsPKlPlN2at6native12_GLOBAL__N_18offset_tEEE10hipError_tPvRmT1_PNSt15iterator_traitsISY_E10value_typeET2_T3_PNSZ_IS14_E10value_typeET4_jRbjT5_S1A_jjP12ihipStream_tbEUljE_EEESV_SW_SX_S14_S18_S1A_T6_T7_T9_mT8_S1C_bDpT10_ENKUlT_T0_E_clISt17integral_constantIbLb0EES1P_EEDaS1K_S1L_EUlS1K_E_NS1_11comp_targetILNS1_3genE8ELNS1_11target_archE1030ELNS1_3gpuE2ELNS1_3repE0EEENS1_30default_config_static_selectorELNS0_4arch9wavefront6targetE0EEEvSY_.num_named_barrier, 0
	.set _ZN7rocprim17ROCPRIM_400000_NS6detail17trampoline_kernelINS0_13select_configILj256ELj13ELNS0_17block_load_methodE3ELS4_3ELS4_3ELNS0_20block_scan_algorithmE0ELj4294967295EEENS1_25partition_config_selectorILNS1_17partition_subalgoE3EjNS0_10empty_typeEbEEZZNS1_14partition_implILS8_3ELb0ES6_jNS0_17counting_iteratorIjlEEPS9_SE_NS0_5tupleIJPjSE_EEENSF_IJSE_SE_EEES9_SG_JZNS1_25segmented_radix_sort_implINS0_14default_configELb1EPKsPsPKlPlN2at6native12_GLOBAL__N_18offset_tEEE10hipError_tPvRmT1_PNSt15iterator_traitsISY_E10value_typeET2_T3_PNSZ_IS14_E10value_typeET4_jRbjT5_S1A_jjP12ihipStream_tbEUljE_EEESV_SW_SX_S14_S18_S1A_T6_T7_T9_mT8_S1C_bDpT10_ENKUlT_T0_E_clISt17integral_constantIbLb0EES1P_EEDaS1K_S1L_EUlS1K_E_NS1_11comp_targetILNS1_3genE8ELNS1_11target_archE1030ELNS1_3gpuE2ELNS1_3repE0EEENS1_30default_config_static_selectorELNS0_4arch9wavefront6targetE0EEEvSY_.private_seg_size, 0
	.set _ZN7rocprim17ROCPRIM_400000_NS6detail17trampoline_kernelINS0_13select_configILj256ELj13ELNS0_17block_load_methodE3ELS4_3ELS4_3ELNS0_20block_scan_algorithmE0ELj4294967295EEENS1_25partition_config_selectorILNS1_17partition_subalgoE3EjNS0_10empty_typeEbEEZZNS1_14partition_implILS8_3ELb0ES6_jNS0_17counting_iteratorIjlEEPS9_SE_NS0_5tupleIJPjSE_EEENSF_IJSE_SE_EEES9_SG_JZNS1_25segmented_radix_sort_implINS0_14default_configELb1EPKsPsPKlPlN2at6native12_GLOBAL__N_18offset_tEEE10hipError_tPvRmT1_PNSt15iterator_traitsISY_E10value_typeET2_T3_PNSZ_IS14_E10value_typeET4_jRbjT5_S1A_jjP12ihipStream_tbEUljE_EEESV_SW_SX_S14_S18_S1A_T6_T7_T9_mT8_S1C_bDpT10_ENKUlT_T0_E_clISt17integral_constantIbLb0EES1P_EEDaS1K_S1L_EUlS1K_E_NS1_11comp_targetILNS1_3genE8ELNS1_11target_archE1030ELNS1_3gpuE2ELNS1_3repE0EEENS1_30default_config_static_selectorELNS0_4arch9wavefront6targetE0EEEvSY_.uses_vcc, 1
	.set _ZN7rocprim17ROCPRIM_400000_NS6detail17trampoline_kernelINS0_13select_configILj256ELj13ELNS0_17block_load_methodE3ELS4_3ELS4_3ELNS0_20block_scan_algorithmE0ELj4294967295EEENS1_25partition_config_selectorILNS1_17partition_subalgoE3EjNS0_10empty_typeEbEEZZNS1_14partition_implILS8_3ELb0ES6_jNS0_17counting_iteratorIjlEEPS9_SE_NS0_5tupleIJPjSE_EEENSF_IJSE_SE_EEES9_SG_JZNS1_25segmented_radix_sort_implINS0_14default_configELb1EPKsPsPKlPlN2at6native12_GLOBAL__N_18offset_tEEE10hipError_tPvRmT1_PNSt15iterator_traitsISY_E10value_typeET2_T3_PNSZ_IS14_E10value_typeET4_jRbjT5_S1A_jjP12ihipStream_tbEUljE_EEESV_SW_SX_S14_S18_S1A_T6_T7_T9_mT8_S1C_bDpT10_ENKUlT_T0_E_clISt17integral_constantIbLb0EES1P_EEDaS1K_S1L_EUlS1K_E_NS1_11comp_targetILNS1_3genE8ELNS1_11target_archE1030ELNS1_3gpuE2ELNS1_3repE0EEENS1_30default_config_static_selectorELNS0_4arch9wavefront6targetE0EEEvSY_.uses_flat_scratch, 0
	.set _ZN7rocprim17ROCPRIM_400000_NS6detail17trampoline_kernelINS0_13select_configILj256ELj13ELNS0_17block_load_methodE3ELS4_3ELS4_3ELNS0_20block_scan_algorithmE0ELj4294967295EEENS1_25partition_config_selectorILNS1_17partition_subalgoE3EjNS0_10empty_typeEbEEZZNS1_14partition_implILS8_3ELb0ES6_jNS0_17counting_iteratorIjlEEPS9_SE_NS0_5tupleIJPjSE_EEENSF_IJSE_SE_EEES9_SG_JZNS1_25segmented_radix_sort_implINS0_14default_configELb1EPKsPsPKlPlN2at6native12_GLOBAL__N_18offset_tEEE10hipError_tPvRmT1_PNSt15iterator_traitsISY_E10value_typeET2_T3_PNSZ_IS14_E10value_typeET4_jRbjT5_S1A_jjP12ihipStream_tbEUljE_EEESV_SW_SX_S14_S18_S1A_T6_T7_T9_mT8_S1C_bDpT10_ENKUlT_T0_E_clISt17integral_constantIbLb0EES1P_EEDaS1K_S1L_EUlS1K_E_NS1_11comp_targetILNS1_3genE8ELNS1_11target_archE1030ELNS1_3gpuE2ELNS1_3repE0EEENS1_30default_config_static_selectorELNS0_4arch9wavefront6targetE0EEEvSY_.has_dyn_sized_stack, 0
	.set _ZN7rocprim17ROCPRIM_400000_NS6detail17trampoline_kernelINS0_13select_configILj256ELj13ELNS0_17block_load_methodE3ELS4_3ELS4_3ELNS0_20block_scan_algorithmE0ELj4294967295EEENS1_25partition_config_selectorILNS1_17partition_subalgoE3EjNS0_10empty_typeEbEEZZNS1_14partition_implILS8_3ELb0ES6_jNS0_17counting_iteratorIjlEEPS9_SE_NS0_5tupleIJPjSE_EEENSF_IJSE_SE_EEES9_SG_JZNS1_25segmented_radix_sort_implINS0_14default_configELb1EPKsPsPKlPlN2at6native12_GLOBAL__N_18offset_tEEE10hipError_tPvRmT1_PNSt15iterator_traitsISY_E10value_typeET2_T3_PNSZ_IS14_E10value_typeET4_jRbjT5_S1A_jjP12ihipStream_tbEUljE_EEESV_SW_SX_S14_S18_S1A_T6_T7_T9_mT8_S1C_bDpT10_ENKUlT_T0_E_clISt17integral_constantIbLb0EES1P_EEDaS1K_S1L_EUlS1K_E_NS1_11comp_targetILNS1_3genE8ELNS1_11target_archE1030ELNS1_3gpuE2ELNS1_3repE0EEENS1_30default_config_static_selectorELNS0_4arch9wavefront6targetE0EEEvSY_.has_recursion, 0
	.set _ZN7rocprim17ROCPRIM_400000_NS6detail17trampoline_kernelINS0_13select_configILj256ELj13ELNS0_17block_load_methodE3ELS4_3ELS4_3ELNS0_20block_scan_algorithmE0ELj4294967295EEENS1_25partition_config_selectorILNS1_17partition_subalgoE3EjNS0_10empty_typeEbEEZZNS1_14partition_implILS8_3ELb0ES6_jNS0_17counting_iteratorIjlEEPS9_SE_NS0_5tupleIJPjSE_EEENSF_IJSE_SE_EEES9_SG_JZNS1_25segmented_radix_sort_implINS0_14default_configELb1EPKsPsPKlPlN2at6native12_GLOBAL__N_18offset_tEEE10hipError_tPvRmT1_PNSt15iterator_traitsISY_E10value_typeET2_T3_PNSZ_IS14_E10value_typeET4_jRbjT5_S1A_jjP12ihipStream_tbEUljE_EEESV_SW_SX_S14_S18_S1A_T6_T7_T9_mT8_S1C_bDpT10_ENKUlT_T0_E_clISt17integral_constantIbLb0EES1P_EEDaS1K_S1L_EUlS1K_E_NS1_11comp_targetILNS1_3genE8ELNS1_11target_archE1030ELNS1_3gpuE2ELNS1_3repE0EEENS1_30default_config_static_selectorELNS0_4arch9wavefront6targetE0EEEvSY_.has_indirect_call, 0
	.section	.AMDGPU.csdata,"",@progbits
; Kernel info:
; codeLenInByte = 8564
; TotalNumSgprs: 29
; NumVgprs: 69
; ScratchSize: 0
; MemoryBound: 0
; FloatMode: 240
; IeeeMode: 1
; LDSByteSize: 13320 bytes/workgroup (compile time only)
; SGPRBlocks: 0
; VGPRBlocks: 8
; NumSGPRsForWavesPerEU: 29
; NumVGPRsForWavesPerEU: 69
; Occupancy: 12
; WaveLimiterHint : 0
; COMPUTE_PGM_RSRC2:SCRATCH_EN: 0
; COMPUTE_PGM_RSRC2:USER_SGPR: 6
; COMPUTE_PGM_RSRC2:TRAP_HANDLER: 0
; COMPUTE_PGM_RSRC2:TGID_X_EN: 1
; COMPUTE_PGM_RSRC2:TGID_Y_EN: 0
; COMPUTE_PGM_RSRC2:TGID_Z_EN: 0
; COMPUTE_PGM_RSRC2:TIDIG_COMP_CNT: 0
	.section	.text._ZN7rocprim17ROCPRIM_400000_NS6detail17trampoline_kernelINS0_13select_configILj256ELj13ELNS0_17block_load_methodE3ELS4_3ELS4_3ELNS0_20block_scan_algorithmE0ELj4294967295EEENS1_25partition_config_selectorILNS1_17partition_subalgoE3EjNS0_10empty_typeEbEEZZNS1_14partition_implILS8_3ELb0ES6_jNS0_17counting_iteratorIjlEEPS9_SE_NS0_5tupleIJPjSE_EEENSF_IJSE_SE_EEES9_SG_JZNS1_25segmented_radix_sort_implINS0_14default_configELb1EPKsPsPKlPlN2at6native12_GLOBAL__N_18offset_tEEE10hipError_tPvRmT1_PNSt15iterator_traitsISY_E10value_typeET2_T3_PNSZ_IS14_E10value_typeET4_jRbjT5_S1A_jjP12ihipStream_tbEUljE_EEESV_SW_SX_S14_S18_S1A_T6_T7_T9_mT8_S1C_bDpT10_ENKUlT_T0_E_clISt17integral_constantIbLb1EES1P_EEDaS1K_S1L_EUlS1K_E_NS1_11comp_targetILNS1_3genE0ELNS1_11target_archE4294967295ELNS1_3gpuE0ELNS1_3repE0EEENS1_30default_config_static_selectorELNS0_4arch9wavefront6targetE0EEEvSY_,"axG",@progbits,_ZN7rocprim17ROCPRIM_400000_NS6detail17trampoline_kernelINS0_13select_configILj256ELj13ELNS0_17block_load_methodE3ELS4_3ELS4_3ELNS0_20block_scan_algorithmE0ELj4294967295EEENS1_25partition_config_selectorILNS1_17partition_subalgoE3EjNS0_10empty_typeEbEEZZNS1_14partition_implILS8_3ELb0ES6_jNS0_17counting_iteratorIjlEEPS9_SE_NS0_5tupleIJPjSE_EEENSF_IJSE_SE_EEES9_SG_JZNS1_25segmented_radix_sort_implINS0_14default_configELb1EPKsPsPKlPlN2at6native12_GLOBAL__N_18offset_tEEE10hipError_tPvRmT1_PNSt15iterator_traitsISY_E10value_typeET2_T3_PNSZ_IS14_E10value_typeET4_jRbjT5_S1A_jjP12ihipStream_tbEUljE_EEESV_SW_SX_S14_S18_S1A_T6_T7_T9_mT8_S1C_bDpT10_ENKUlT_T0_E_clISt17integral_constantIbLb1EES1P_EEDaS1K_S1L_EUlS1K_E_NS1_11comp_targetILNS1_3genE0ELNS1_11target_archE4294967295ELNS1_3gpuE0ELNS1_3repE0EEENS1_30default_config_static_selectorELNS0_4arch9wavefront6targetE0EEEvSY_,comdat
	.globl	_ZN7rocprim17ROCPRIM_400000_NS6detail17trampoline_kernelINS0_13select_configILj256ELj13ELNS0_17block_load_methodE3ELS4_3ELS4_3ELNS0_20block_scan_algorithmE0ELj4294967295EEENS1_25partition_config_selectorILNS1_17partition_subalgoE3EjNS0_10empty_typeEbEEZZNS1_14partition_implILS8_3ELb0ES6_jNS0_17counting_iteratorIjlEEPS9_SE_NS0_5tupleIJPjSE_EEENSF_IJSE_SE_EEES9_SG_JZNS1_25segmented_radix_sort_implINS0_14default_configELb1EPKsPsPKlPlN2at6native12_GLOBAL__N_18offset_tEEE10hipError_tPvRmT1_PNSt15iterator_traitsISY_E10value_typeET2_T3_PNSZ_IS14_E10value_typeET4_jRbjT5_S1A_jjP12ihipStream_tbEUljE_EEESV_SW_SX_S14_S18_S1A_T6_T7_T9_mT8_S1C_bDpT10_ENKUlT_T0_E_clISt17integral_constantIbLb1EES1P_EEDaS1K_S1L_EUlS1K_E_NS1_11comp_targetILNS1_3genE0ELNS1_11target_archE4294967295ELNS1_3gpuE0ELNS1_3repE0EEENS1_30default_config_static_selectorELNS0_4arch9wavefront6targetE0EEEvSY_ ; -- Begin function _ZN7rocprim17ROCPRIM_400000_NS6detail17trampoline_kernelINS0_13select_configILj256ELj13ELNS0_17block_load_methodE3ELS4_3ELS4_3ELNS0_20block_scan_algorithmE0ELj4294967295EEENS1_25partition_config_selectorILNS1_17partition_subalgoE3EjNS0_10empty_typeEbEEZZNS1_14partition_implILS8_3ELb0ES6_jNS0_17counting_iteratorIjlEEPS9_SE_NS0_5tupleIJPjSE_EEENSF_IJSE_SE_EEES9_SG_JZNS1_25segmented_radix_sort_implINS0_14default_configELb1EPKsPsPKlPlN2at6native12_GLOBAL__N_18offset_tEEE10hipError_tPvRmT1_PNSt15iterator_traitsISY_E10value_typeET2_T3_PNSZ_IS14_E10value_typeET4_jRbjT5_S1A_jjP12ihipStream_tbEUljE_EEESV_SW_SX_S14_S18_S1A_T6_T7_T9_mT8_S1C_bDpT10_ENKUlT_T0_E_clISt17integral_constantIbLb1EES1P_EEDaS1K_S1L_EUlS1K_E_NS1_11comp_targetILNS1_3genE0ELNS1_11target_archE4294967295ELNS1_3gpuE0ELNS1_3repE0EEENS1_30default_config_static_selectorELNS0_4arch9wavefront6targetE0EEEvSY_
	.p2align	8
	.type	_ZN7rocprim17ROCPRIM_400000_NS6detail17trampoline_kernelINS0_13select_configILj256ELj13ELNS0_17block_load_methodE3ELS4_3ELS4_3ELNS0_20block_scan_algorithmE0ELj4294967295EEENS1_25partition_config_selectorILNS1_17partition_subalgoE3EjNS0_10empty_typeEbEEZZNS1_14partition_implILS8_3ELb0ES6_jNS0_17counting_iteratorIjlEEPS9_SE_NS0_5tupleIJPjSE_EEENSF_IJSE_SE_EEES9_SG_JZNS1_25segmented_radix_sort_implINS0_14default_configELb1EPKsPsPKlPlN2at6native12_GLOBAL__N_18offset_tEEE10hipError_tPvRmT1_PNSt15iterator_traitsISY_E10value_typeET2_T3_PNSZ_IS14_E10value_typeET4_jRbjT5_S1A_jjP12ihipStream_tbEUljE_EEESV_SW_SX_S14_S18_S1A_T6_T7_T9_mT8_S1C_bDpT10_ENKUlT_T0_E_clISt17integral_constantIbLb1EES1P_EEDaS1K_S1L_EUlS1K_E_NS1_11comp_targetILNS1_3genE0ELNS1_11target_archE4294967295ELNS1_3gpuE0ELNS1_3repE0EEENS1_30default_config_static_selectorELNS0_4arch9wavefront6targetE0EEEvSY_,@function
_ZN7rocprim17ROCPRIM_400000_NS6detail17trampoline_kernelINS0_13select_configILj256ELj13ELNS0_17block_load_methodE3ELS4_3ELS4_3ELNS0_20block_scan_algorithmE0ELj4294967295EEENS1_25partition_config_selectorILNS1_17partition_subalgoE3EjNS0_10empty_typeEbEEZZNS1_14partition_implILS8_3ELb0ES6_jNS0_17counting_iteratorIjlEEPS9_SE_NS0_5tupleIJPjSE_EEENSF_IJSE_SE_EEES9_SG_JZNS1_25segmented_radix_sort_implINS0_14default_configELb1EPKsPsPKlPlN2at6native12_GLOBAL__N_18offset_tEEE10hipError_tPvRmT1_PNSt15iterator_traitsISY_E10value_typeET2_T3_PNSZ_IS14_E10value_typeET4_jRbjT5_S1A_jjP12ihipStream_tbEUljE_EEESV_SW_SX_S14_S18_S1A_T6_T7_T9_mT8_S1C_bDpT10_ENKUlT_T0_E_clISt17integral_constantIbLb1EES1P_EEDaS1K_S1L_EUlS1K_E_NS1_11comp_targetILNS1_3genE0ELNS1_11target_archE4294967295ELNS1_3gpuE0ELNS1_3repE0EEENS1_30default_config_static_selectorELNS0_4arch9wavefront6targetE0EEEvSY_: ; @_ZN7rocprim17ROCPRIM_400000_NS6detail17trampoline_kernelINS0_13select_configILj256ELj13ELNS0_17block_load_methodE3ELS4_3ELS4_3ELNS0_20block_scan_algorithmE0ELj4294967295EEENS1_25partition_config_selectorILNS1_17partition_subalgoE3EjNS0_10empty_typeEbEEZZNS1_14partition_implILS8_3ELb0ES6_jNS0_17counting_iteratorIjlEEPS9_SE_NS0_5tupleIJPjSE_EEENSF_IJSE_SE_EEES9_SG_JZNS1_25segmented_radix_sort_implINS0_14default_configELb1EPKsPsPKlPlN2at6native12_GLOBAL__N_18offset_tEEE10hipError_tPvRmT1_PNSt15iterator_traitsISY_E10value_typeET2_T3_PNSZ_IS14_E10value_typeET4_jRbjT5_S1A_jjP12ihipStream_tbEUljE_EEESV_SW_SX_S14_S18_S1A_T6_T7_T9_mT8_S1C_bDpT10_ENKUlT_T0_E_clISt17integral_constantIbLb1EES1P_EEDaS1K_S1L_EUlS1K_E_NS1_11comp_targetILNS1_3genE0ELNS1_11target_archE4294967295ELNS1_3gpuE0ELNS1_3repE0EEENS1_30default_config_static_selectorELNS0_4arch9wavefront6targetE0EEEvSY_
; %bb.0:
	.section	.rodata,"a",@progbits
	.p2align	6, 0x0
	.amdhsa_kernel _ZN7rocprim17ROCPRIM_400000_NS6detail17trampoline_kernelINS0_13select_configILj256ELj13ELNS0_17block_load_methodE3ELS4_3ELS4_3ELNS0_20block_scan_algorithmE0ELj4294967295EEENS1_25partition_config_selectorILNS1_17partition_subalgoE3EjNS0_10empty_typeEbEEZZNS1_14partition_implILS8_3ELb0ES6_jNS0_17counting_iteratorIjlEEPS9_SE_NS0_5tupleIJPjSE_EEENSF_IJSE_SE_EEES9_SG_JZNS1_25segmented_radix_sort_implINS0_14default_configELb1EPKsPsPKlPlN2at6native12_GLOBAL__N_18offset_tEEE10hipError_tPvRmT1_PNSt15iterator_traitsISY_E10value_typeET2_T3_PNSZ_IS14_E10value_typeET4_jRbjT5_S1A_jjP12ihipStream_tbEUljE_EEESV_SW_SX_S14_S18_S1A_T6_T7_T9_mT8_S1C_bDpT10_ENKUlT_T0_E_clISt17integral_constantIbLb1EES1P_EEDaS1K_S1L_EUlS1K_E_NS1_11comp_targetILNS1_3genE0ELNS1_11target_archE4294967295ELNS1_3gpuE0ELNS1_3repE0EEENS1_30default_config_static_selectorELNS0_4arch9wavefront6targetE0EEEvSY_
		.amdhsa_group_segment_fixed_size 0
		.amdhsa_private_segment_fixed_size 0
		.amdhsa_kernarg_size 152
		.amdhsa_user_sgpr_count 6
		.amdhsa_user_sgpr_private_segment_buffer 1
		.amdhsa_user_sgpr_dispatch_ptr 0
		.amdhsa_user_sgpr_queue_ptr 0
		.amdhsa_user_sgpr_kernarg_segment_ptr 1
		.amdhsa_user_sgpr_dispatch_id 0
		.amdhsa_user_sgpr_flat_scratch_init 0
		.amdhsa_user_sgpr_private_segment_size 0
		.amdhsa_wavefront_size32 1
		.amdhsa_uses_dynamic_stack 0
		.amdhsa_system_sgpr_private_segment_wavefront_offset 0
		.amdhsa_system_sgpr_workgroup_id_x 1
		.amdhsa_system_sgpr_workgroup_id_y 0
		.amdhsa_system_sgpr_workgroup_id_z 0
		.amdhsa_system_sgpr_workgroup_info 0
		.amdhsa_system_vgpr_workitem_id 0
		.amdhsa_next_free_vgpr 1
		.amdhsa_next_free_sgpr 1
		.amdhsa_reserve_vcc 0
		.amdhsa_reserve_flat_scratch 0
		.amdhsa_float_round_mode_32 0
		.amdhsa_float_round_mode_16_64 0
		.amdhsa_float_denorm_mode_32 3
		.amdhsa_float_denorm_mode_16_64 3
		.amdhsa_dx10_clamp 1
		.amdhsa_ieee_mode 1
		.amdhsa_fp16_overflow 0
		.amdhsa_workgroup_processor_mode 1
		.amdhsa_memory_ordered 1
		.amdhsa_forward_progress 1
		.amdhsa_shared_vgpr_count 0
		.amdhsa_exception_fp_ieee_invalid_op 0
		.amdhsa_exception_fp_denorm_src 0
		.amdhsa_exception_fp_ieee_div_zero 0
		.amdhsa_exception_fp_ieee_overflow 0
		.amdhsa_exception_fp_ieee_underflow 0
		.amdhsa_exception_fp_ieee_inexact 0
		.amdhsa_exception_int_div_zero 0
	.end_amdhsa_kernel
	.section	.text._ZN7rocprim17ROCPRIM_400000_NS6detail17trampoline_kernelINS0_13select_configILj256ELj13ELNS0_17block_load_methodE3ELS4_3ELS4_3ELNS0_20block_scan_algorithmE0ELj4294967295EEENS1_25partition_config_selectorILNS1_17partition_subalgoE3EjNS0_10empty_typeEbEEZZNS1_14partition_implILS8_3ELb0ES6_jNS0_17counting_iteratorIjlEEPS9_SE_NS0_5tupleIJPjSE_EEENSF_IJSE_SE_EEES9_SG_JZNS1_25segmented_radix_sort_implINS0_14default_configELb1EPKsPsPKlPlN2at6native12_GLOBAL__N_18offset_tEEE10hipError_tPvRmT1_PNSt15iterator_traitsISY_E10value_typeET2_T3_PNSZ_IS14_E10value_typeET4_jRbjT5_S1A_jjP12ihipStream_tbEUljE_EEESV_SW_SX_S14_S18_S1A_T6_T7_T9_mT8_S1C_bDpT10_ENKUlT_T0_E_clISt17integral_constantIbLb1EES1P_EEDaS1K_S1L_EUlS1K_E_NS1_11comp_targetILNS1_3genE0ELNS1_11target_archE4294967295ELNS1_3gpuE0ELNS1_3repE0EEENS1_30default_config_static_selectorELNS0_4arch9wavefront6targetE0EEEvSY_,"axG",@progbits,_ZN7rocprim17ROCPRIM_400000_NS6detail17trampoline_kernelINS0_13select_configILj256ELj13ELNS0_17block_load_methodE3ELS4_3ELS4_3ELNS0_20block_scan_algorithmE0ELj4294967295EEENS1_25partition_config_selectorILNS1_17partition_subalgoE3EjNS0_10empty_typeEbEEZZNS1_14partition_implILS8_3ELb0ES6_jNS0_17counting_iteratorIjlEEPS9_SE_NS0_5tupleIJPjSE_EEENSF_IJSE_SE_EEES9_SG_JZNS1_25segmented_radix_sort_implINS0_14default_configELb1EPKsPsPKlPlN2at6native12_GLOBAL__N_18offset_tEEE10hipError_tPvRmT1_PNSt15iterator_traitsISY_E10value_typeET2_T3_PNSZ_IS14_E10value_typeET4_jRbjT5_S1A_jjP12ihipStream_tbEUljE_EEESV_SW_SX_S14_S18_S1A_T6_T7_T9_mT8_S1C_bDpT10_ENKUlT_T0_E_clISt17integral_constantIbLb1EES1P_EEDaS1K_S1L_EUlS1K_E_NS1_11comp_targetILNS1_3genE0ELNS1_11target_archE4294967295ELNS1_3gpuE0ELNS1_3repE0EEENS1_30default_config_static_selectorELNS0_4arch9wavefront6targetE0EEEvSY_,comdat
.Lfunc_end881:
	.size	_ZN7rocprim17ROCPRIM_400000_NS6detail17trampoline_kernelINS0_13select_configILj256ELj13ELNS0_17block_load_methodE3ELS4_3ELS4_3ELNS0_20block_scan_algorithmE0ELj4294967295EEENS1_25partition_config_selectorILNS1_17partition_subalgoE3EjNS0_10empty_typeEbEEZZNS1_14partition_implILS8_3ELb0ES6_jNS0_17counting_iteratorIjlEEPS9_SE_NS0_5tupleIJPjSE_EEENSF_IJSE_SE_EEES9_SG_JZNS1_25segmented_radix_sort_implINS0_14default_configELb1EPKsPsPKlPlN2at6native12_GLOBAL__N_18offset_tEEE10hipError_tPvRmT1_PNSt15iterator_traitsISY_E10value_typeET2_T3_PNSZ_IS14_E10value_typeET4_jRbjT5_S1A_jjP12ihipStream_tbEUljE_EEESV_SW_SX_S14_S18_S1A_T6_T7_T9_mT8_S1C_bDpT10_ENKUlT_T0_E_clISt17integral_constantIbLb1EES1P_EEDaS1K_S1L_EUlS1K_E_NS1_11comp_targetILNS1_3genE0ELNS1_11target_archE4294967295ELNS1_3gpuE0ELNS1_3repE0EEENS1_30default_config_static_selectorELNS0_4arch9wavefront6targetE0EEEvSY_, .Lfunc_end881-_ZN7rocprim17ROCPRIM_400000_NS6detail17trampoline_kernelINS0_13select_configILj256ELj13ELNS0_17block_load_methodE3ELS4_3ELS4_3ELNS0_20block_scan_algorithmE0ELj4294967295EEENS1_25partition_config_selectorILNS1_17partition_subalgoE3EjNS0_10empty_typeEbEEZZNS1_14partition_implILS8_3ELb0ES6_jNS0_17counting_iteratorIjlEEPS9_SE_NS0_5tupleIJPjSE_EEENSF_IJSE_SE_EEES9_SG_JZNS1_25segmented_radix_sort_implINS0_14default_configELb1EPKsPsPKlPlN2at6native12_GLOBAL__N_18offset_tEEE10hipError_tPvRmT1_PNSt15iterator_traitsISY_E10value_typeET2_T3_PNSZ_IS14_E10value_typeET4_jRbjT5_S1A_jjP12ihipStream_tbEUljE_EEESV_SW_SX_S14_S18_S1A_T6_T7_T9_mT8_S1C_bDpT10_ENKUlT_T0_E_clISt17integral_constantIbLb1EES1P_EEDaS1K_S1L_EUlS1K_E_NS1_11comp_targetILNS1_3genE0ELNS1_11target_archE4294967295ELNS1_3gpuE0ELNS1_3repE0EEENS1_30default_config_static_selectorELNS0_4arch9wavefront6targetE0EEEvSY_
                                        ; -- End function
	.set _ZN7rocprim17ROCPRIM_400000_NS6detail17trampoline_kernelINS0_13select_configILj256ELj13ELNS0_17block_load_methodE3ELS4_3ELS4_3ELNS0_20block_scan_algorithmE0ELj4294967295EEENS1_25partition_config_selectorILNS1_17partition_subalgoE3EjNS0_10empty_typeEbEEZZNS1_14partition_implILS8_3ELb0ES6_jNS0_17counting_iteratorIjlEEPS9_SE_NS0_5tupleIJPjSE_EEENSF_IJSE_SE_EEES9_SG_JZNS1_25segmented_radix_sort_implINS0_14default_configELb1EPKsPsPKlPlN2at6native12_GLOBAL__N_18offset_tEEE10hipError_tPvRmT1_PNSt15iterator_traitsISY_E10value_typeET2_T3_PNSZ_IS14_E10value_typeET4_jRbjT5_S1A_jjP12ihipStream_tbEUljE_EEESV_SW_SX_S14_S18_S1A_T6_T7_T9_mT8_S1C_bDpT10_ENKUlT_T0_E_clISt17integral_constantIbLb1EES1P_EEDaS1K_S1L_EUlS1K_E_NS1_11comp_targetILNS1_3genE0ELNS1_11target_archE4294967295ELNS1_3gpuE0ELNS1_3repE0EEENS1_30default_config_static_selectorELNS0_4arch9wavefront6targetE0EEEvSY_.num_vgpr, 0
	.set _ZN7rocprim17ROCPRIM_400000_NS6detail17trampoline_kernelINS0_13select_configILj256ELj13ELNS0_17block_load_methodE3ELS4_3ELS4_3ELNS0_20block_scan_algorithmE0ELj4294967295EEENS1_25partition_config_selectorILNS1_17partition_subalgoE3EjNS0_10empty_typeEbEEZZNS1_14partition_implILS8_3ELb0ES6_jNS0_17counting_iteratorIjlEEPS9_SE_NS0_5tupleIJPjSE_EEENSF_IJSE_SE_EEES9_SG_JZNS1_25segmented_radix_sort_implINS0_14default_configELb1EPKsPsPKlPlN2at6native12_GLOBAL__N_18offset_tEEE10hipError_tPvRmT1_PNSt15iterator_traitsISY_E10value_typeET2_T3_PNSZ_IS14_E10value_typeET4_jRbjT5_S1A_jjP12ihipStream_tbEUljE_EEESV_SW_SX_S14_S18_S1A_T6_T7_T9_mT8_S1C_bDpT10_ENKUlT_T0_E_clISt17integral_constantIbLb1EES1P_EEDaS1K_S1L_EUlS1K_E_NS1_11comp_targetILNS1_3genE0ELNS1_11target_archE4294967295ELNS1_3gpuE0ELNS1_3repE0EEENS1_30default_config_static_selectorELNS0_4arch9wavefront6targetE0EEEvSY_.num_agpr, 0
	.set _ZN7rocprim17ROCPRIM_400000_NS6detail17trampoline_kernelINS0_13select_configILj256ELj13ELNS0_17block_load_methodE3ELS4_3ELS4_3ELNS0_20block_scan_algorithmE0ELj4294967295EEENS1_25partition_config_selectorILNS1_17partition_subalgoE3EjNS0_10empty_typeEbEEZZNS1_14partition_implILS8_3ELb0ES6_jNS0_17counting_iteratorIjlEEPS9_SE_NS0_5tupleIJPjSE_EEENSF_IJSE_SE_EEES9_SG_JZNS1_25segmented_radix_sort_implINS0_14default_configELb1EPKsPsPKlPlN2at6native12_GLOBAL__N_18offset_tEEE10hipError_tPvRmT1_PNSt15iterator_traitsISY_E10value_typeET2_T3_PNSZ_IS14_E10value_typeET4_jRbjT5_S1A_jjP12ihipStream_tbEUljE_EEESV_SW_SX_S14_S18_S1A_T6_T7_T9_mT8_S1C_bDpT10_ENKUlT_T0_E_clISt17integral_constantIbLb1EES1P_EEDaS1K_S1L_EUlS1K_E_NS1_11comp_targetILNS1_3genE0ELNS1_11target_archE4294967295ELNS1_3gpuE0ELNS1_3repE0EEENS1_30default_config_static_selectorELNS0_4arch9wavefront6targetE0EEEvSY_.numbered_sgpr, 0
	.set _ZN7rocprim17ROCPRIM_400000_NS6detail17trampoline_kernelINS0_13select_configILj256ELj13ELNS0_17block_load_methodE3ELS4_3ELS4_3ELNS0_20block_scan_algorithmE0ELj4294967295EEENS1_25partition_config_selectorILNS1_17partition_subalgoE3EjNS0_10empty_typeEbEEZZNS1_14partition_implILS8_3ELb0ES6_jNS0_17counting_iteratorIjlEEPS9_SE_NS0_5tupleIJPjSE_EEENSF_IJSE_SE_EEES9_SG_JZNS1_25segmented_radix_sort_implINS0_14default_configELb1EPKsPsPKlPlN2at6native12_GLOBAL__N_18offset_tEEE10hipError_tPvRmT1_PNSt15iterator_traitsISY_E10value_typeET2_T3_PNSZ_IS14_E10value_typeET4_jRbjT5_S1A_jjP12ihipStream_tbEUljE_EEESV_SW_SX_S14_S18_S1A_T6_T7_T9_mT8_S1C_bDpT10_ENKUlT_T0_E_clISt17integral_constantIbLb1EES1P_EEDaS1K_S1L_EUlS1K_E_NS1_11comp_targetILNS1_3genE0ELNS1_11target_archE4294967295ELNS1_3gpuE0ELNS1_3repE0EEENS1_30default_config_static_selectorELNS0_4arch9wavefront6targetE0EEEvSY_.num_named_barrier, 0
	.set _ZN7rocprim17ROCPRIM_400000_NS6detail17trampoline_kernelINS0_13select_configILj256ELj13ELNS0_17block_load_methodE3ELS4_3ELS4_3ELNS0_20block_scan_algorithmE0ELj4294967295EEENS1_25partition_config_selectorILNS1_17partition_subalgoE3EjNS0_10empty_typeEbEEZZNS1_14partition_implILS8_3ELb0ES6_jNS0_17counting_iteratorIjlEEPS9_SE_NS0_5tupleIJPjSE_EEENSF_IJSE_SE_EEES9_SG_JZNS1_25segmented_radix_sort_implINS0_14default_configELb1EPKsPsPKlPlN2at6native12_GLOBAL__N_18offset_tEEE10hipError_tPvRmT1_PNSt15iterator_traitsISY_E10value_typeET2_T3_PNSZ_IS14_E10value_typeET4_jRbjT5_S1A_jjP12ihipStream_tbEUljE_EEESV_SW_SX_S14_S18_S1A_T6_T7_T9_mT8_S1C_bDpT10_ENKUlT_T0_E_clISt17integral_constantIbLb1EES1P_EEDaS1K_S1L_EUlS1K_E_NS1_11comp_targetILNS1_3genE0ELNS1_11target_archE4294967295ELNS1_3gpuE0ELNS1_3repE0EEENS1_30default_config_static_selectorELNS0_4arch9wavefront6targetE0EEEvSY_.private_seg_size, 0
	.set _ZN7rocprim17ROCPRIM_400000_NS6detail17trampoline_kernelINS0_13select_configILj256ELj13ELNS0_17block_load_methodE3ELS4_3ELS4_3ELNS0_20block_scan_algorithmE0ELj4294967295EEENS1_25partition_config_selectorILNS1_17partition_subalgoE3EjNS0_10empty_typeEbEEZZNS1_14partition_implILS8_3ELb0ES6_jNS0_17counting_iteratorIjlEEPS9_SE_NS0_5tupleIJPjSE_EEENSF_IJSE_SE_EEES9_SG_JZNS1_25segmented_radix_sort_implINS0_14default_configELb1EPKsPsPKlPlN2at6native12_GLOBAL__N_18offset_tEEE10hipError_tPvRmT1_PNSt15iterator_traitsISY_E10value_typeET2_T3_PNSZ_IS14_E10value_typeET4_jRbjT5_S1A_jjP12ihipStream_tbEUljE_EEESV_SW_SX_S14_S18_S1A_T6_T7_T9_mT8_S1C_bDpT10_ENKUlT_T0_E_clISt17integral_constantIbLb1EES1P_EEDaS1K_S1L_EUlS1K_E_NS1_11comp_targetILNS1_3genE0ELNS1_11target_archE4294967295ELNS1_3gpuE0ELNS1_3repE0EEENS1_30default_config_static_selectorELNS0_4arch9wavefront6targetE0EEEvSY_.uses_vcc, 0
	.set _ZN7rocprim17ROCPRIM_400000_NS6detail17trampoline_kernelINS0_13select_configILj256ELj13ELNS0_17block_load_methodE3ELS4_3ELS4_3ELNS0_20block_scan_algorithmE0ELj4294967295EEENS1_25partition_config_selectorILNS1_17partition_subalgoE3EjNS0_10empty_typeEbEEZZNS1_14partition_implILS8_3ELb0ES6_jNS0_17counting_iteratorIjlEEPS9_SE_NS0_5tupleIJPjSE_EEENSF_IJSE_SE_EEES9_SG_JZNS1_25segmented_radix_sort_implINS0_14default_configELb1EPKsPsPKlPlN2at6native12_GLOBAL__N_18offset_tEEE10hipError_tPvRmT1_PNSt15iterator_traitsISY_E10value_typeET2_T3_PNSZ_IS14_E10value_typeET4_jRbjT5_S1A_jjP12ihipStream_tbEUljE_EEESV_SW_SX_S14_S18_S1A_T6_T7_T9_mT8_S1C_bDpT10_ENKUlT_T0_E_clISt17integral_constantIbLb1EES1P_EEDaS1K_S1L_EUlS1K_E_NS1_11comp_targetILNS1_3genE0ELNS1_11target_archE4294967295ELNS1_3gpuE0ELNS1_3repE0EEENS1_30default_config_static_selectorELNS0_4arch9wavefront6targetE0EEEvSY_.uses_flat_scratch, 0
	.set _ZN7rocprim17ROCPRIM_400000_NS6detail17trampoline_kernelINS0_13select_configILj256ELj13ELNS0_17block_load_methodE3ELS4_3ELS4_3ELNS0_20block_scan_algorithmE0ELj4294967295EEENS1_25partition_config_selectorILNS1_17partition_subalgoE3EjNS0_10empty_typeEbEEZZNS1_14partition_implILS8_3ELb0ES6_jNS0_17counting_iteratorIjlEEPS9_SE_NS0_5tupleIJPjSE_EEENSF_IJSE_SE_EEES9_SG_JZNS1_25segmented_radix_sort_implINS0_14default_configELb1EPKsPsPKlPlN2at6native12_GLOBAL__N_18offset_tEEE10hipError_tPvRmT1_PNSt15iterator_traitsISY_E10value_typeET2_T3_PNSZ_IS14_E10value_typeET4_jRbjT5_S1A_jjP12ihipStream_tbEUljE_EEESV_SW_SX_S14_S18_S1A_T6_T7_T9_mT8_S1C_bDpT10_ENKUlT_T0_E_clISt17integral_constantIbLb1EES1P_EEDaS1K_S1L_EUlS1K_E_NS1_11comp_targetILNS1_3genE0ELNS1_11target_archE4294967295ELNS1_3gpuE0ELNS1_3repE0EEENS1_30default_config_static_selectorELNS0_4arch9wavefront6targetE0EEEvSY_.has_dyn_sized_stack, 0
	.set _ZN7rocprim17ROCPRIM_400000_NS6detail17trampoline_kernelINS0_13select_configILj256ELj13ELNS0_17block_load_methodE3ELS4_3ELS4_3ELNS0_20block_scan_algorithmE0ELj4294967295EEENS1_25partition_config_selectorILNS1_17partition_subalgoE3EjNS0_10empty_typeEbEEZZNS1_14partition_implILS8_3ELb0ES6_jNS0_17counting_iteratorIjlEEPS9_SE_NS0_5tupleIJPjSE_EEENSF_IJSE_SE_EEES9_SG_JZNS1_25segmented_radix_sort_implINS0_14default_configELb1EPKsPsPKlPlN2at6native12_GLOBAL__N_18offset_tEEE10hipError_tPvRmT1_PNSt15iterator_traitsISY_E10value_typeET2_T3_PNSZ_IS14_E10value_typeET4_jRbjT5_S1A_jjP12ihipStream_tbEUljE_EEESV_SW_SX_S14_S18_S1A_T6_T7_T9_mT8_S1C_bDpT10_ENKUlT_T0_E_clISt17integral_constantIbLb1EES1P_EEDaS1K_S1L_EUlS1K_E_NS1_11comp_targetILNS1_3genE0ELNS1_11target_archE4294967295ELNS1_3gpuE0ELNS1_3repE0EEENS1_30default_config_static_selectorELNS0_4arch9wavefront6targetE0EEEvSY_.has_recursion, 0
	.set _ZN7rocprim17ROCPRIM_400000_NS6detail17trampoline_kernelINS0_13select_configILj256ELj13ELNS0_17block_load_methodE3ELS4_3ELS4_3ELNS0_20block_scan_algorithmE0ELj4294967295EEENS1_25partition_config_selectorILNS1_17partition_subalgoE3EjNS0_10empty_typeEbEEZZNS1_14partition_implILS8_3ELb0ES6_jNS0_17counting_iteratorIjlEEPS9_SE_NS0_5tupleIJPjSE_EEENSF_IJSE_SE_EEES9_SG_JZNS1_25segmented_radix_sort_implINS0_14default_configELb1EPKsPsPKlPlN2at6native12_GLOBAL__N_18offset_tEEE10hipError_tPvRmT1_PNSt15iterator_traitsISY_E10value_typeET2_T3_PNSZ_IS14_E10value_typeET4_jRbjT5_S1A_jjP12ihipStream_tbEUljE_EEESV_SW_SX_S14_S18_S1A_T6_T7_T9_mT8_S1C_bDpT10_ENKUlT_T0_E_clISt17integral_constantIbLb1EES1P_EEDaS1K_S1L_EUlS1K_E_NS1_11comp_targetILNS1_3genE0ELNS1_11target_archE4294967295ELNS1_3gpuE0ELNS1_3repE0EEENS1_30default_config_static_selectorELNS0_4arch9wavefront6targetE0EEEvSY_.has_indirect_call, 0
	.section	.AMDGPU.csdata,"",@progbits
; Kernel info:
; codeLenInByte = 0
; TotalNumSgprs: 0
; NumVgprs: 0
; ScratchSize: 0
; MemoryBound: 0
; FloatMode: 240
; IeeeMode: 1
; LDSByteSize: 0 bytes/workgroup (compile time only)
; SGPRBlocks: 0
; VGPRBlocks: 0
; NumSGPRsForWavesPerEU: 1
; NumVGPRsForWavesPerEU: 1
; Occupancy: 16
; WaveLimiterHint : 0
; COMPUTE_PGM_RSRC2:SCRATCH_EN: 0
; COMPUTE_PGM_RSRC2:USER_SGPR: 6
; COMPUTE_PGM_RSRC2:TRAP_HANDLER: 0
; COMPUTE_PGM_RSRC2:TGID_X_EN: 1
; COMPUTE_PGM_RSRC2:TGID_Y_EN: 0
; COMPUTE_PGM_RSRC2:TGID_Z_EN: 0
; COMPUTE_PGM_RSRC2:TIDIG_COMP_CNT: 0
	.section	.text._ZN7rocprim17ROCPRIM_400000_NS6detail17trampoline_kernelINS0_13select_configILj256ELj13ELNS0_17block_load_methodE3ELS4_3ELS4_3ELNS0_20block_scan_algorithmE0ELj4294967295EEENS1_25partition_config_selectorILNS1_17partition_subalgoE3EjNS0_10empty_typeEbEEZZNS1_14partition_implILS8_3ELb0ES6_jNS0_17counting_iteratorIjlEEPS9_SE_NS0_5tupleIJPjSE_EEENSF_IJSE_SE_EEES9_SG_JZNS1_25segmented_radix_sort_implINS0_14default_configELb1EPKsPsPKlPlN2at6native12_GLOBAL__N_18offset_tEEE10hipError_tPvRmT1_PNSt15iterator_traitsISY_E10value_typeET2_T3_PNSZ_IS14_E10value_typeET4_jRbjT5_S1A_jjP12ihipStream_tbEUljE_EEESV_SW_SX_S14_S18_S1A_T6_T7_T9_mT8_S1C_bDpT10_ENKUlT_T0_E_clISt17integral_constantIbLb1EES1P_EEDaS1K_S1L_EUlS1K_E_NS1_11comp_targetILNS1_3genE5ELNS1_11target_archE942ELNS1_3gpuE9ELNS1_3repE0EEENS1_30default_config_static_selectorELNS0_4arch9wavefront6targetE0EEEvSY_,"axG",@progbits,_ZN7rocprim17ROCPRIM_400000_NS6detail17trampoline_kernelINS0_13select_configILj256ELj13ELNS0_17block_load_methodE3ELS4_3ELS4_3ELNS0_20block_scan_algorithmE0ELj4294967295EEENS1_25partition_config_selectorILNS1_17partition_subalgoE3EjNS0_10empty_typeEbEEZZNS1_14partition_implILS8_3ELb0ES6_jNS0_17counting_iteratorIjlEEPS9_SE_NS0_5tupleIJPjSE_EEENSF_IJSE_SE_EEES9_SG_JZNS1_25segmented_radix_sort_implINS0_14default_configELb1EPKsPsPKlPlN2at6native12_GLOBAL__N_18offset_tEEE10hipError_tPvRmT1_PNSt15iterator_traitsISY_E10value_typeET2_T3_PNSZ_IS14_E10value_typeET4_jRbjT5_S1A_jjP12ihipStream_tbEUljE_EEESV_SW_SX_S14_S18_S1A_T6_T7_T9_mT8_S1C_bDpT10_ENKUlT_T0_E_clISt17integral_constantIbLb1EES1P_EEDaS1K_S1L_EUlS1K_E_NS1_11comp_targetILNS1_3genE5ELNS1_11target_archE942ELNS1_3gpuE9ELNS1_3repE0EEENS1_30default_config_static_selectorELNS0_4arch9wavefront6targetE0EEEvSY_,comdat
	.globl	_ZN7rocprim17ROCPRIM_400000_NS6detail17trampoline_kernelINS0_13select_configILj256ELj13ELNS0_17block_load_methodE3ELS4_3ELS4_3ELNS0_20block_scan_algorithmE0ELj4294967295EEENS1_25partition_config_selectorILNS1_17partition_subalgoE3EjNS0_10empty_typeEbEEZZNS1_14partition_implILS8_3ELb0ES6_jNS0_17counting_iteratorIjlEEPS9_SE_NS0_5tupleIJPjSE_EEENSF_IJSE_SE_EEES9_SG_JZNS1_25segmented_radix_sort_implINS0_14default_configELb1EPKsPsPKlPlN2at6native12_GLOBAL__N_18offset_tEEE10hipError_tPvRmT1_PNSt15iterator_traitsISY_E10value_typeET2_T3_PNSZ_IS14_E10value_typeET4_jRbjT5_S1A_jjP12ihipStream_tbEUljE_EEESV_SW_SX_S14_S18_S1A_T6_T7_T9_mT8_S1C_bDpT10_ENKUlT_T0_E_clISt17integral_constantIbLb1EES1P_EEDaS1K_S1L_EUlS1K_E_NS1_11comp_targetILNS1_3genE5ELNS1_11target_archE942ELNS1_3gpuE9ELNS1_3repE0EEENS1_30default_config_static_selectorELNS0_4arch9wavefront6targetE0EEEvSY_ ; -- Begin function _ZN7rocprim17ROCPRIM_400000_NS6detail17trampoline_kernelINS0_13select_configILj256ELj13ELNS0_17block_load_methodE3ELS4_3ELS4_3ELNS0_20block_scan_algorithmE0ELj4294967295EEENS1_25partition_config_selectorILNS1_17partition_subalgoE3EjNS0_10empty_typeEbEEZZNS1_14partition_implILS8_3ELb0ES6_jNS0_17counting_iteratorIjlEEPS9_SE_NS0_5tupleIJPjSE_EEENSF_IJSE_SE_EEES9_SG_JZNS1_25segmented_radix_sort_implINS0_14default_configELb1EPKsPsPKlPlN2at6native12_GLOBAL__N_18offset_tEEE10hipError_tPvRmT1_PNSt15iterator_traitsISY_E10value_typeET2_T3_PNSZ_IS14_E10value_typeET4_jRbjT5_S1A_jjP12ihipStream_tbEUljE_EEESV_SW_SX_S14_S18_S1A_T6_T7_T9_mT8_S1C_bDpT10_ENKUlT_T0_E_clISt17integral_constantIbLb1EES1P_EEDaS1K_S1L_EUlS1K_E_NS1_11comp_targetILNS1_3genE5ELNS1_11target_archE942ELNS1_3gpuE9ELNS1_3repE0EEENS1_30default_config_static_selectorELNS0_4arch9wavefront6targetE0EEEvSY_
	.p2align	8
	.type	_ZN7rocprim17ROCPRIM_400000_NS6detail17trampoline_kernelINS0_13select_configILj256ELj13ELNS0_17block_load_methodE3ELS4_3ELS4_3ELNS0_20block_scan_algorithmE0ELj4294967295EEENS1_25partition_config_selectorILNS1_17partition_subalgoE3EjNS0_10empty_typeEbEEZZNS1_14partition_implILS8_3ELb0ES6_jNS0_17counting_iteratorIjlEEPS9_SE_NS0_5tupleIJPjSE_EEENSF_IJSE_SE_EEES9_SG_JZNS1_25segmented_radix_sort_implINS0_14default_configELb1EPKsPsPKlPlN2at6native12_GLOBAL__N_18offset_tEEE10hipError_tPvRmT1_PNSt15iterator_traitsISY_E10value_typeET2_T3_PNSZ_IS14_E10value_typeET4_jRbjT5_S1A_jjP12ihipStream_tbEUljE_EEESV_SW_SX_S14_S18_S1A_T6_T7_T9_mT8_S1C_bDpT10_ENKUlT_T0_E_clISt17integral_constantIbLb1EES1P_EEDaS1K_S1L_EUlS1K_E_NS1_11comp_targetILNS1_3genE5ELNS1_11target_archE942ELNS1_3gpuE9ELNS1_3repE0EEENS1_30default_config_static_selectorELNS0_4arch9wavefront6targetE0EEEvSY_,@function
_ZN7rocprim17ROCPRIM_400000_NS6detail17trampoline_kernelINS0_13select_configILj256ELj13ELNS0_17block_load_methodE3ELS4_3ELS4_3ELNS0_20block_scan_algorithmE0ELj4294967295EEENS1_25partition_config_selectorILNS1_17partition_subalgoE3EjNS0_10empty_typeEbEEZZNS1_14partition_implILS8_3ELb0ES6_jNS0_17counting_iteratorIjlEEPS9_SE_NS0_5tupleIJPjSE_EEENSF_IJSE_SE_EEES9_SG_JZNS1_25segmented_radix_sort_implINS0_14default_configELb1EPKsPsPKlPlN2at6native12_GLOBAL__N_18offset_tEEE10hipError_tPvRmT1_PNSt15iterator_traitsISY_E10value_typeET2_T3_PNSZ_IS14_E10value_typeET4_jRbjT5_S1A_jjP12ihipStream_tbEUljE_EEESV_SW_SX_S14_S18_S1A_T6_T7_T9_mT8_S1C_bDpT10_ENKUlT_T0_E_clISt17integral_constantIbLb1EES1P_EEDaS1K_S1L_EUlS1K_E_NS1_11comp_targetILNS1_3genE5ELNS1_11target_archE942ELNS1_3gpuE9ELNS1_3repE0EEENS1_30default_config_static_selectorELNS0_4arch9wavefront6targetE0EEEvSY_: ; @_ZN7rocprim17ROCPRIM_400000_NS6detail17trampoline_kernelINS0_13select_configILj256ELj13ELNS0_17block_load_methodE3ELS4_3ELS4_3ELNS0_20block_scan_algorithmE0ELj4294967295EEENS1_25partition_config_selectorILNS1_17partition_subalgoE3EjNS0_10empty_typeEbEEZZNS1_14partition_implILS8_3ELb0ES6_jNS0_17counting_iteratorIjlEEPS9_SE_NS0_5tupleIJPjSE_EEENSF_IJSE_SE_EEES9_SG_JZNS1_25segmented_radix_sort_implINS0_14default_configELb1EPKsPsPKlPlN2at6native12_GLOBAL__N_18offset_tEEE10hipError_tPvRmT1_PNSt15iterator_traitsISY_E10value_typeET2_T3_PNSZ_IS14_E10value_typeET4_jRbjT5_S1A_jjP12ihipStream_tbEUljE_EEESV_SW_SX_S14_S18_S1A_T6_T7_T9_mT8_S1C_bDpT10_ENKUlT_T0_E_clISt17integral_constantIbLb1EES1P_EEDaS1K_S1L_EUlS1K_E_NS1_11comp_targetILNS1_3genE5ELNS1_11target_archE942ELNS1_3gpuE9ELNS1_3repE0EEENS1_30default_config_static_selectorELNS0_4arch9wavefront6targetE0EEEvSY_
; %bb.0:
	.section	.rodata,"a",@progbits
	.p2align	6, 0x0
	.amdhsa_kernel _ZN7rocprim17ROCPRIM_400000_NS6detail17trampoline_kernelINS0_13select_configILj256ELj13ELNS0_17block_load_methodE3ELS4_3ELS4_3ELNS0_20block_scan_algorithmE0ELj4294967295EEENS1_25partition_config_selectorILNS1_17partition_subalgoE3EjNS0_10empty_typeEbEEZZNS1_14partition_implILS8_3ELb0ES6_jNS0_17counting_iteratorIjlEEPS9_SE_NS0_5tupleIJPjSE_EEENSF_IJSE_SE_EEES9_SG_JZNS1_25segmented_radix_sort_implINS0_14default_configELb1EPKsPsPKlPlN2at6native12_GLOBAL__N_18offset_tEEE10hipError_tPvRmT1_PNSt15iterator_traitsISY_E10value_typeET2_T3_PNSZ_IS14_E10value_typeET4_jRbjT5_S1A_jjP12ihipStream_tbEUljE_EEESV_SW_SX_S14_S18_S1A_T6_T7_T9_mT8_S1C_bDpT10_ENKUlT_T0_E_clISt17integral_constantIbLb1EES1P_EEDaS1K_S1L_EUlS1K_E_NS1_11comp_targetILNS1_3genE5ELNS1_11target_archE942ELNS1_3gpuE9ELNS1_3repE0EEENS1_30default_config_static_selectorELNS0_4arch9wavefront6targetE0EEEvSY_
		.amdhsa_group_segment_fixed_size 0
		.amdhsa_private_segment_fixed_size 0
		.amdhsa_kernarg_size 152
		.amdhsa_user_sgpr_count 6
		.amdhsa_user_sgpr_private_segment_buffer 1
		.amdhsa_user_sgpr_dispatch_ptr 0
		.amdhsa_user_sgpr_queue_ptr 0
		.amdhsa_user_sgpr_kernarg_segment_ptr 1
		.amdhsa_user_sgpr_dispatch_id 0
		.amdhsa_user_sgpr_flat_scratch_init 0
		.amdhsa_user_sgpr_private_segment_size 0
		.amdhsa_wavefront_size32 1
		.amdhsa_uses_dynamic_stack 0
		.amdhsa_system_sgpr_private_segment_wavefront_offset 0
		.amdhsa_system_sgpr_workgroup_id_x 1
		.amdhsa_system_sgpr_workgroup_id_y 0
		.amdhsa_system_sgpr_workgroup_id_z 0
		.amdhsa_system_sgpr_workgroup_info 0
		.amdhsa_system_vgpr_workitem_id 0
		.amdhsa_next_free_vgpr 1
		.amdhsa_next_free_sgpr 1
		.amdhsa_reserve_vcc 0
		.amdhsa_reserve_flat_scratch 0
		.amdhsa_float_round_mode_32 0
		.amdhsa_float_round_mode_16_64 0
		.amdhsa_float_denorm_mode_32 3
		.amdhsa_float_denorm_mode_16_64 3
		.amdhsa_dx10_clamp 1
		.amdhsa_ieee_mode 1
		.amdhsa_fp16_overflow 0
		.amdhsa_workgroup_processor_mode 1
		.amdhsa_memory_ordered 1
		.amdhsa_forward_progress 1
		.amdhsa_shared_vgpr_count 0
		.amdhsa_exception_fp_ieee_invalid_op 0
		.amdhsa_exception_fp_denorm_src 0
		.amdhsa_exception_fp_ieee_div_zero 0
		.amdhsa_exception_fp_ieee_overflow 0
		.amdhsa_exception_fp_ieee_underflow 0
		.amdhsa_exception_fp_ieee_inexact 0
		.amdhsa_exception_int_div_zero 0
	.end_amdhsa_kernel
	.section	.text._ZN7rocprim17ROCPRIM_400000_NS6detail17trampoline_kernelINS0_13select_configILj256ELj13ELNS0_17block_load_methodE3ELS4_3ELS4_3ELNS0_20block_scan_algorithmE0ELj4294967295EEENS1_25partition_config_selectorILNS1_17partition_subalgoE3EjNS0_10empty_typeEbEEZZNS1_14partition_implILS8_3ELb0ES6_jNS0_17counting_iteratorIjlEEPS9_SE_NS0_5tupleIJPjSE_EEENSF_IJSE_SE_EEES9_SG_JZNS1_25segmented_radix_sort_implINS0_14default_configELb1EPKsPsPKlPlN2at6native12_GLOBAL__N_18offset_tEEE10hipError_tPvRmT1_PNSt15iterator_traitsISY_E10value_typeET2_T3_PNSZ_IS14_E10value_typeET4_jRbjT5_S1A_jjP12ihipStream_tbEUljE_EEESV_SW_SX_S14_S18_S1A_T6_T7_T9_mT8_S1C_bDpT10_ENKUlT_T0_E_clISt17integral_constantIbLb1EES1P_EEDaS1K_S1L_EUlS1K_E_NS1_11comp_targetILNS1_3genE5ELNS1_11target_archE942ELNS1_3gpuE9ELNS1_3repE0EEENS1_30default_config_static_selectorELNS0_4arch9wavefront6targetE0EEEvSY_,"axG",@progbits,_ZN7rocprim17ROCPRIM_400000_NS6detail17trampoline_kernelINS0_13select_configILj256ELj13ELNS0_17block_load_methodE3ELS4_3ELS4_3ELNS0_20block_scan_algorithmE0ELj4294967295EEENS1_25partition_config_selectorILNS1_17partition_subalgoE3EjNS0_10empty_typeEbEEZZNS1_14partition_implILS8_3ELb0ES6_jNS0_17counting_iteratorIjlEEPS9_SE_NS0_5tupleIJPjSE_EEENSF_IJSE_SE_EEES9_SG_JZNS1_25segmented_radix_sort_implINS0_14default_configELb1EPKsPsPKlPlN2at6native12_GLOBAL__N_18offset_tEEE10hipError_tPvRmT1_PNSt15iterator_traitsISY_E10value_typeET2_T3_PNSZ_IS14_E10value_typeET4_jRbjT5_S1A_jjP12ihipStream_tbEUljE_EEESV_SW_SX_S14_S18_S1A_T6_T7_T9_mT8_S1C_bDpT10_ENKUlT_T0_E_clISt17integral_constantIbLb1EES1P_EEDaS1K_S1L_EUlS1K_E_NS1_11comp_targetILNS1_3genE5ELNS1_11target_archE942ELNS1_3gpuE9ELNS1_3repE0EEENS1_30default_config_static_selectorELNS0_4arch9wavefront6targetE0EEEvSY_,comdat
.Lfunc_end882:
	.size	_ZN7rocprim17ROCPRIM_400000_NS6detail17trampoline_kernelINS0_13select_configILj256ELj13ELNS0_17block_load_methodE3ELS4_3ELS4_3ELNS0_20block_scan_algorithmE0ELj4294967295EEENS1_25partition_config_selectorILNS1_17partition_subalgoE3EjNS0_10empty_typeEbEEZZNS1_14partition_implILS8_3ELb0ES6_jNS0_17counting_iteratorIjlEEPS9_SE_NS0_5tupleIJPjSE_EEENSF_IJSE_SE_EEES9_SG_JZNS1_25segmented_radix_sort_implINS0_14default_configELb1EPKsPsPKlPlN2at6native12_GLOBAL__N_18offset_tEEE10hipError_tPvRmT1_PNSt15iterator_traitsISY_E10value_typeET2_T3_PNSZ_IS14_E10value_typeET4_jRbjT5_S1A_jjP12ihipStream_tbEUljE_EEESV_SW_SX_S14_S18_S1A_T6_T7_T9_mT8_S1C_bDpT10_ENKUlT_T0_E_clISt17integral_constantIbLb1EES1P_EEDaS1K_S1L_EUlS1K_E_NS1_11comp_targetILNS1_3genE5ELNS1_11target_archE942ELNS1_3gpuE9ELNS1_3repE0EEENS1_30default_config_static_selectorELNS0_4arch9wavefront6targetE0EEEvSY_, .Lfunc_end882-_ZN7rocprim17ROCPRIM_400000_NS6detail17trampoline_kernelINS0_13select_configILj256ELj13ELNS0_17block_load_methodE3ELS4_3ELS4_3ELNS0_20block_scan_algorithmE0ELj4294967295EEENS1_25partition_config_selectorILNS1_17partition_subalgoE3EjNS0_10empty_typeEbEEZZNS1_14partition_implILS8_3ELb0ES6_jNS0_17counting_iteratorIjlEEPS9_SE_NS0_5tupleIJPjSE_EEENSF_IJSE_SE_EEES9_SG_JZNS1_25segmented_radix_sort_implINS0_14default_configELb1EPKsPsPKlPlN2at6native12_GLOBAL__N_18offset_tEEE10hipError_tPvRmT1_PNSt15iterator_traitsISY_E10value_typeET2_T3_PNSZ_IS14_E10value_typeET4_jRbjT5_S1A_jjP12ihipStream_tbEUljE_EEESV_SW_SX_S14_S18_S1A_T6_T7_T9_mT8_S1C_bDpT10_ENKUlT_T0_E_clISt17integral_constantIbLb1EES1P_EEDaS1K_S1L_EUlS1K_E_NS1_11comp_targetILNS1_3genE5ELNS1_11target_archE942ELNS1_3gpuE9ELNS1_3repE0EEENS1_30default_config_static_selectorELNS0_4arch9wavefront6targetE0EEEvSY_
                                        ; -- End function
	.set _ZN7rocprim17ROCPRIM_400000_NS6detail17trampoline_kernelINS0_13select_configILj256ELj13ELNS0_17block_load_methodE3ELS4_3ELS4_3ELNS0_20block_scan_algorithmE0ELj4294967295EEENS1_25partition_config_selectorILNS1_17partition_subalgoE3EjNS0_10empty_typeEbEEZZNS1_14partition_implILS8_3ELb0ES6_jNS0_17counting_iteratorIjlEEPS9_SE_NS0_5tupleIJPjSE_EEENSF_IJSE_SE_EEES9_SG_JZNS1_25segmented_radix_sort_implINS0_14default_configELb1EPKsPsPKlPlN2at6native12_GLOBAL__N_18offset_tEEE10hipError_tPvRmT1_PNSt15iterator_traitsISY_E10value_typeET2_T3_PNSZ_IS14_E10value_typeET4_jRbjT5_S1A_jjP12ihipStream_tbEUljE_EEESV_SW_SX_S14_S18_S1A_T6_T7_T9_mT8_S1C_bDpT10_ENKUlT_T0_E_clISt17integral_constantIbLb1EES1P_EEDaS1K_S1L_EUlS1K_E_NS1_11comp_targetILNS1_3genE5ELNS1_11target_archE942ELNS1_3gpuE9ELNS1_3repE0EEENS1_30default_config_static_selectorELNS0_4arch9wavefront6targetE0EEEvSY_.num_vgpr, 0
	.set _ZN7rocprim17ROCPRIM_400000_NS6detail17trampoline_kernelINS0_13select_configILj256ELj13ELNS0_17block_load_methodE3ELS4_3ELS4_3ELNS0_20block_scan_algorithmE0ELj4294967295EEENS1_25partition_config_selectorILNS1_17partition_subalgoE3EjNS0_10empty_typeEbEEZZNS1_14partition_implILS8_3ELb0ES6_jNS0_17counting_iteratorIjlEEPS9_SE_NS0_5tupleIJPjSE_EEENSF_IJSE_SE_EEES9_SG_JZNS1_25segmented_radix_sort_implINS0_14default_configELb1EPKsPsPKlPlN2at6native12_GLOBAL__N_18offset_tEEE10hipError_tPvRmT1_PNSt15iterator_traitsISY_E10value_typeET2_T3_PNSZ_IS14_E10value_typeET4_jRbjT5_S1A_jjP12ihipStream_tbEUljE_EEESV_SW_SX_S14_S18_S1A_T6_T7_T9_mT8_S1C_bDpT10_ENKUlT_T0_E_clISt17integral_constantIbLb1EES1P_EEDaS1K_S1L_EUlS1K_E_NS1_11comp_targetILNS1_3genE5ELNS1_11target_archE942ELNS1_3gpuE9ELNS1_3repE0EEENS1_30default_config_static_selectorELNS0_4arch9wavefront6targetE0EEEvSY_.num_agpr, 0
	.set _ZN7rocprim17ROCPRIM_400000_NS6detail17trampoline_kernelINS0_13select_configILj256ELj13ELNS0_17block_load_methodE3ELS4_3ELS4_3ELNS0_20block_scan_algorithmE0ELj4294967295EEENS1_25partition_config_selectorILNS1_17partition_subalgoE3EjNS0_10empty_typeEbEEZZNS1_14partition_implILS8_3ELb0ES6_jNS0_17counting_iteratorIjlEEPS9_SE_NS0_5tupleIJPjSE_EEENSF_IJSE_SE_EEES9_SG_JZNS1_25segmented_radix_sort_implINS0_14default_configELb1EPKsPsPKlPlN2at6native12_GLOBAL__N_18offset_tEEE10hipError_tPvRmT1_PNSt15iterator_traitsISY_E10value_typeET2_T3_PNSZ_IS14_E10value_typeET4_jRbjT5_S1A_jjP12ihipStream_tbEUljE_EEESV_SW_SX_S14_S18_S1A_T6_T7_T9_mT8_S1C_bDpT10_ENKUlT_T0_E_clISt17integral_constantIbLb1EES1P_EEDaS1K_S1L_EUlS1K_E_NS1_11comp_targetILNS1_3genE5ELNS1_11target_archE942ELNS1_3gpuE9ELNS1_3repE0EEENS1_30default_config_static_selectorELNS0_4arch9wavefront6targetE0EEEvSY_.numbered_sgpr, 0
	.set _ZN7rocprim17ROCPRIM_400000_NS6detail17trampoline_kernelINS0_13select_configILj256ELj13ELNS0_17block_load_methodE3ELS4_3ELS4_3ELNS0_20block_scan_algorithmE0ELj4294967295EEENS1_25partition_config_selectorILNS1_17partition_subalgoE3EjNS0_10empty_typeEbEEZZNS1_14partition_implILS8_3ELb0ES6_jNS0_17counting_iteratorIjlEEPS9_SE_NS0_5tupleIJPjSE_EEENSF_IJSE_SE_EEES9_SG_JZNS1_25segmented_radix_sort_implINS0_14default_configELb1EPKsPsPKlPlN2at6native12_GLOBAL__N_18offset_tEEE10hipError_tPvRmT1_PNSt15iterator_traitsISY_E10value_typeET2_T3_PNSZ_IS14_E10value_typeET4_jRbjT5_S1A_jjP12ihipStream_tbEUljE_EEESV_SW_SX_S14_S18_S1A_T6_T7_T9_mT8_S1C_bDpT10_ENKUlT_T0_E_clISt17integral_constantIbLb1EES1P_EEDaS1K_S1L_EUlS1K_E_NS1_11comp_targetILNS1_3genE5ELNS1_11target_archE942ELNS1_3gpuE9ELNS1_3repE0EEENS1_30default_config_static_selectorELNS0_4arch9wavefront6targetE0EEEvSY_.num_named_barrier, 0
	.set _ZN7rocprim17ROCPRIM_400000_NS6detail17trampoline_kernelINS0_13select_configILj256ELj13ELNS0_17block_load_methodE3ELS4_3ELS4_3ELNS0_20block_scan_algorithmE0ELj4294967295EEENS1_25partition_config_selectorILNS1_17partition_subalgoE3EjNS0_10empty_typeEbEEZZNS1_14partition_implILS8_3ELb0ES6_jNS0_17counting_iteratorIjlEEPS9_SE_NS0_5tupleIJPjSE_EEENSF_IJSE_SE_EEES9_SG_JZNS1_25segmented_radix_sort_implINS0_14default_configELb1EPKsPsPKlPlN2at6native12_GLOBAL__N_18offset_tEEE10hipError_tPvRmT1_PNSt15iterator_traitsISY_E10value_typeET2_T3_PNSZ_IS14_E10value_typeET4_jRbjT5_S1A_jjP12ihipStream_tbEUljE_EEESV_SW_SX_S14_S18_S1A_T6_T7_T9_mT8_S1C_bDpT10_ENKUlT_T0_E_clISt17integral_constantIbLb1EES1P_EEDaS1K_S1L_EUlS1K_E_NS1_11comp_targetILNS1_3genE5ELNS1_11target_archE942ELNS1_3gpuE9ELNS1_3repE0EEENS1_30default_config_static_selectorELNS0_4arch9wavefront6targetE0EEEvSY_.private_seg_size, 0
	.set _ZN7rocprim17ROCPRIM_400000_NS6detail17trampoline_kernelINS0_13select_configILj256ELj13ELNS0_17block_load_methodE3ELS4_3ELS4_3ELNS0_20block_scan_algorithmE0ELj4294967295EEENS1_25partition_config_selectorILNS1_17partition_subalgoE3EjNS0_10empty_typeEbEEZZNS1_14partition_implILS8_3ELb0ES6_jNS0_17counting_iteratorIjlEEPS9_SE_NS0_5tupleIJPjSE_EEENSF_IJSE_SE_EEES9_SG_JZNS1_25segmented_radix_sort_implINS0_14default_configELb1EPKsPsPKlPlN2at6native12_GLOBAL__N_18offset_tEEE10hipError_tPvRmT1_PNSt15iterator_traitsISY_E10value_typeET2_T3_PNSZ_IS14_E10value_typeET4_jRbjT5_S1A_jjP12ihipStream_tbEUljE_EEESV_SW_SX_S14_S18_S1A_T6_T7_T9_mT8_S1C_bDpT10_ENKUlT_T0_E_clISt17integral_constantIbLb1EES1P_EEDaS1K_S1L_EUlS1K_E_NS1_11comp_targetILNS1_3genE5ELNS1_11target_archE942ELNS1_3gpuE9ELNS1_3repE0EEENS1_30default_config_static_selectorELNS0_4arch9wavefront6targetE0EEEvSY_.uses_vcc, 0
	.set _ZN7rocprim17ROCPRIM_400000_NS6detail17trampoline_kernelINS0_13select_configILj256ELj13ELNS0_17block_load_methodE3ELS4_3ELS4_3ELNS0_20block_scan_algorithmE0ELj4294967295EEENS1_25partition_config_selectorILNS1_17partition_subalgoE3EjNS0_10empty_typeEbEEZZNS1_14partition_implILS8_3ELb0ES6_jNS0_17counting_iteratorIjlEEPS9_SE_NS0_5tupleIJPjSE_EEENSF_IJSE_SE_EEES9_SG_JZNS1_25segmented_radix_sort_implINS0_14default_configELb1EPKsPsPKlPlN2at6native12_GLOBAL__N_18offset_tEEE10hipError_tPvRmT1_PNSt15iterator_traitsISY_E10value_typeET2_T3_PNSZ_IS14_E10value_typeET4_jRbjT5_S1A_jjP12ihipStream_tbEUljE_EEESV_SW_SX_S14_S18_S1A_T6_T7_T9_mT8_S1C_bDpT10_ENKUlT_T0_E_clISt17integral_constantIbLb1EES1P_EEDaS1K_S1L_EUlS1K_E_NS1_11comp_targetILNS1_3genE5ELNS1_11target_archE942ELNS1_3gpuE9ELNS1_3repE0EEENS1_30default_config_static_selectorELNS0_4arch9wavefront6targetE0EEEvSY_.uses_flat_scratch, 0
	.set _ZN7rocprim17ROCPRIM_400000_NS6detail17trampoline_kernelINS0_13select_configILj256ELj13ELNS0_17block_load_methodE3ELS4_3ELS4_3ELNS0_20block_scan_algorithmE0ELj4294967295EEENS1_25partition_config_selectorILNS1_17partition_subalgoE3EjNS0_10empty_typeEbEEZZNS1_14partition_implILS8_3ELb0ES6_jNS0_17counting_iteratorIjlEEPS9_SE_NS0_5tupleIJPjSE_EEENSF_IJSE_SE_EEES9_SG_JZNS1_25segmented_radix_sort_implINS0_14default_configELb1EPKsPsPKlPlN2at6native12_GLOBAL__N_18offset_tEEE10hipError_tPvRmT1_PNSt15iterator_traitsISY_E10value_typeET2_T3_PNSZ_IS14_E10value_typeET4_jRbjT5_S1A_jjP12ihipStream_tbEUljE_EEESV_SW_SX_S14_S18_S1A_T6_T7_T9_mT8_S1C_bDpT10_ENKUlT_T0_E_clISt17integral_constantIbLb1EES1P_EEDaS1K_S1L_EUlS1K_E_NS1_11comp_targetILNS1_3genE5ELNS1_11target_archE942ELNS1_3gpuE9ELNS1_3repE0EEENS1_30default_config_static_selectorELNS0_4arch9wavefront6targetE0EEEvSY_.has_dyn_sized_stack, 0
	.set _ZN7rocprim17ROCPRIM_400000_NS6detail17trampoline_kernelINS0_13select_configILj256ELj13ELNS0_17block_load_methodE3ELS4_3ELS4_3ELNS0_20block_scan_algorithmE0ELj4294967295EEENS1_25partition_config_selectorILNS1_17partition_subalgoE3EjNS0_10empty_typeEbEEZZNS1_14partition_implILS8_3ELb0ES6_jNS0_17counting_iteratorIjlEEPS9_SE_NS0_5tupleIJPjSE_EEENSF_IJSE_SE_EEES9_SG_JZNS1_25segmented_radix_sort_implINS0_14default_configELb1EPKsPsPKlPlN2at6native12_GLOBAL__N_18offset_tEEE10hipError_tPvRmT1_PNSt15iterator_traitsISY_E10value_typeET2_T3_PNSZ_IS14_E10value_typeET4_jRbjT5_S1A_jjP12ihipStream_tbEUljE_EEESV_SW_SX_S14_S18_S1A_T6_T7_T9_mT8_S1C_bDpT10_ENKUlT_T0_E_clISt17integral_constantIbLb1EES1P_EEDaS1K_S1L_EUlS1K_E_NS1_11comp_targetILNS1_3genE5ELNS1_11target_archE942ELNS1_3gpuE9ELNS1_3repE0EEENS1_30default_config_static_selectorELNS0_4arch9wavefront6targetE0EEEvSY_.has_recursion, 0
	.set _ZN7rocprim17ROCPRIM_400000_NS6detail17trampoline_kernelINS0_13select_configILj256ELj13ELNS0_17block_load_methodE3ELS4_3ELS4_3ELNS0_20block_scan_algorithmE0ELj4294967295EEENS1_25partition_config_selectorILNS1_17partition_subalgoE3EjNS0_10empty_typeEbEEZZNS1_14partition_implILS8_3ELb0ES6_jNS0_17counting_iteratorIjlEEPS9_SE_NS0_5tupleIJPjSE_EEENSF_IJSE_SE_EEES9_SG_JZNS1_25segmented_radix_sort_implINS0_14default_configELb1EPKsPsPKlPlN2at6native12_GLOBAL__N_18offset_tEEE10hipError_tPvRmT1_PNSt15iterator_traitsISY_E10value_typeET2_T3_PNSZ_IS14_E10value_typeET4_jRbjT5_S1A_jjP12ihipStream_tbEUljE_EEESV_SW_SX_S14_S18_S1A_T6_T7_T9_mT8_S1C_bDpT10_ENKUlT_T0_E_clISt17integral_constantIbLb1EES1P_EEDaS1K_S1L_EUlS1K_E_NS1_11comp_targetILNS1_3genE5ELNS1_11target_archE942ELNS1_3gpuE9ELNS1_3repE0EEENS1_30default_config_static_selectorELNS0_4arch9wavefront6targetE0EEEvSY_.has_indirect_call, 0
	.section	.AMDGPU.csdata,"",@progbits
; Kernel info:
; codeLenInByte = 0
; TotalNumSgprs: 0
; NumVgprs: 0
; ScratchSize: 0
; MemoryBound: 0
; FloatMode: 240
; IeeeMode: 1
; LDSByteSize: 0 bytes/workgroup (compile time only)
; SGPRBlocks: 0
; VGPRBlocks: 0
; NumSGPRsForWavesPerEU: 1
; NumVGPRsForWavesPerEU: 1
; Occupancy: 16
; WaveLimiterHint : 0
; COMPUTE_PGM_RSRC2:SCRATCH_EN: 0
; COMPUTE_PGM_RSRC2:USER_SGPR: 6
; COMPUTE_PGM_RSRC2:TRAP_HANDLER: 0
; COMPUTE_PGM_RSRC2:TGID_X_EN: 1
; COMPUTE_PGM_RSRC2:TGID_Y_EN: 0
; COMPUTE_PGM_RSRC2:TGID_Z_EN: 0
; COMPUTE_PGM_RSRC2:TIDIG_COMP_CNT: 0
	.section	.text._ZN7rocprim17ROCPRIM_400000_NS6detail17trampoline_kernelINS0_13select_configILj256ELj13ELNS0_17block_load_methodE3ELS4_3ELS4_3ELNS0_20block_scan_algorithmE0ELj4294967295EEENS1_25partition_config_selectorILNS1_17partition_subalgoE3EjNS0_10empty_typeEbEEZZNS1_14partition_implILS8_3ELb0ES6_jNS0_17counting_iteratorIjlEEPS9_SE_NS0_5tupleIJPjSE_EEENSF_IJSE_SE_EEES9_SG_JZNS1_25segmented_radix_sort_implINS0_14default_configELb1EPKsPsPKlPlN2at6native12_GLOBAL__N_18offset_tEEE10hipError_tPvRmT1_PNSt15iterator_traitsISY_E10value_typeET2_T3_PNSZ_IS14_E10value_typeET4_jRbjT5_S1A_jjP12ihipStream_tbEUljE_EEESV_SW_SX_S14_S18_S1A_T6_T7_T9_mT8_S1C_bDpT10_ENKUlT_T0_E_clISt17integral_constantIbLb1EES1P_EEDaS1K_S1L_EUlS1K_E_NS1_11comp_targetILNS1_3genE4ELNS1_11target_archE910ELNS1_3gpuE8ELNS1_3repE0EEENS1_30default_config_static_selectorELNS0_4arch9wavefront6targetE0EEEvSY_,"axG",@progbits,_ZN7rocprim17ROCPRIM_400000_NS6detail17trampoline_kernelINS0_13select_configILj256ELj13ELNS0_17block_load_methodE3ELS4_3ELS4_3ELNS0_20block_scan_algorithmE0ELj4294967295EEENS1_25partition_config_selectorILNS1_17partition_subalgoE3EjNS0_10empty_typeEbEEZZNS1_14partition_implILS8_3ELb0ES6_jNS0_17counting_iteratorIjlEEPS9_SE_NS0_5tupleIJPjSE_EEENSF_IJSE_SE_EEES9_SG_JZNS1_25segmented_radix_sort_implINS0_14default_configELb1EPKsPsPKlPlN2at6native12_GLOBAL__N_18offset_tEEE10hipError_tPvRmT1_PNSt15iterator_traitsISY_E10value_typeET2_T3_PNSZ_IS14_E10value_typeET4_jRbjT5_S1A_jjP12ihipStream_tbEUljE_EEESV_SW_SX_S14_S18_S1A_T6_T7_T9_mT8_S1C_bDpT10_ENKUlT_T0_E_clISt17integral_constantIbLb1EES1P_EEDaS1K_S1L_EUlS1K_E_NS1_11comp_targetILNS1_3genE4ELNS1_11target_archE910ELNS1_3gpuE8ELNS1_3repE0EEENS1_30default_config_static_selectorELNS0_4arch9wavefront6targetE0EEEvSY_,comdat
	.globl	_ZN7rocprim17ROCPRIM_400000_NS6detail17trampoline_kernelINS0_13select_configILj256ELj13ELNS0_17block_load_methodE3ELS4_3ELS4_3ELNS0_20block_scan_algorithmE0ELj4294967295EEENS1_25partition_config_selectorILNS1_17partition_subalgoE3EjNS0_10empty_typeEbEEZZNS1_14partition_implILS8_3ELb0ES6_jNS0_17counting_iteratorIjlEEPS9_SE_NS0_5tupleIJPjSE_EEENSF_IJSE_SE_EEES9_SG_JZNS1_25segmented_radix_sort_implINS0_14default_configELb1EPKsPsPKlPlN2at6native12_GLOBAL__N_18offset_tEEE10hipError_tPvRmT1_PNSt15iterator_traitsISY_E10value_typeET2_T3_PNSZ_IS14_E10value_typeET4_jRbjT5_S1A_jjP12ihipStream_tbEUljE_EEESV_SW_SX_S14_S18_S1A_T6_T7_T9_mT8_S1C_bDpT10_ENKUlT_T0_E_clISt17integral_constantIbLb1EES1P_EEDaS1K_S1L_EUlS1K_E_NS1_11comp_targetILNS1_3genE4ELNS1_11target_archE910ELNS1_3gpuE8ELNS1_3repE0EEENS1_30default_config_static_selectorELNS0_4arch9wavefront6targetE0EEEvSY_ ; -- Begin function _ZN7rocprim17ROCPRIM_400000_NS6detail17trampoline_kernelINS0_13select_configILj256ELj13ELNS0_17block_load_methodE3ELS4_3ELS4_3ELNS0_20block_scan_algorithmE0ELj4294967295EEENS1_25partition_config_selectorILNS1_17partition_subalgoE3EjNS0_10empty_typeEbEEZZNS1_14partition_implILS8_3ELb0ES6_jNS0_17counting_iteratorIjlEEPS9_SE_NS0_5tupleIJPjSE_EEENSF_IJSE_SE_EEES9_SG_JZNS1_25segmented_radix_sort_implINS0_14default_configELb1EPKsPsPKlPlN2at6native12_GLOBAL__N_18offset_tEEE10hipError_tPvRmT1_PNSt15iterator_traitsISY_E10value_typeET2_T3_PNSZ_IS14_E10value_typeET4_jRbjT5_S1A_jjP12ihipStream_tbEUljE_EEESV_SW_SX_S14_S18_S1A_T6_T7_T9_mT8_S1C_bDpT10_ENKUlT_T0_E_clISt17integral_constantIbLb1EES1P_EEDaS1K_S1L_EUlS1K_E_NS1_11comp_targetILNS1_3genE4ELNS1_11target_archE910ELNS1_3gpuE8ELNS1_3repE0EEENS1_30default_config_static_selectorELNS0_4arch9wavefront6targetE0EEEvSY_
	.p2align	8
	.type	_ZN7rocprim17ROCPRIM_400000_NS6detail17trampoline_kernelINS0_13select_configILj256ELj13ELNS0_17block_load_methodE3ELS4_3ELS4_3ELNS0_20block_scan_algorithmE0ELj4294967295EEENS1_25partition_config_selectorILNS1_17partition_subalgoE3EjNS0_10empty_typeEbEEZZNS1_14partition_implILS8_3ELb0ES6_jNS0_17counting_iteratorIjlEEPS9_SE_NS0_5tupleIJPjSE_EEENSF_IJSE_SE_EEES9_SG_JZNS1_25segmented_radix_sort_implINS0_14default_configELb1EPKsPsPKlPlN2at6native12_GLOBAL__N_18offset_tEEE10hipError_tPvRmT1_PNSt15iterator_traitsISY_E10value_typeET2_T3_PNSZ_IS14_E10value_typeET4_jRbjT5_S1A_jjP12ihipStream_tbEUljE_EEESV_SW_SX_S14_S18_S1A_T6_T7_T9_mT8_S1C_bDpT10_ENKUlT_T0_E_clISt17integral_constantIbLb1EES1P_EEDaS1K_S1L_EUlS1K_E_NS1_11comp_targetILNS1_3genE4ELNS1_11target_archE910ELNS1_3gpuE8ELNS1_3repE0EEENS1_30default_config_static_selectorELNS0_4arch9wavefront6targetE0EEEvSY_,@function
_ZN7rocprim17ROCPRIM_400000_NS6detail17trampoline_kernelINS0_13select_configILj256ELj13ELNS0_17block_load_methodE3ELS4_3ELS4_3ELNS0_20block_scan_algorithmE0ELj4294967295EEENS1_25partition_config_selectorILNS1_17partition_subalgoE3EjNS0_10empty_typeEbEEZZNS1_14partition_implILS8_3ELb0ES6_jNS0_17counting_iteratorIjlEEPS9_SE_NS0_5tupleIJPjSE_EEENSF_IJSE_SE_EEES9_SG_JZNS1_25segmented_radix_sort_implINS0_14default_configELb1EPKsPsPKlPlN2at6native12_GLOBAL__N_18offset_tEEE10hipError_tPvRmT1_PNSt15iterator_traitsISY_E10value_typeET2_T3_PNSZ_IS14_E10value_typeET4_jRbjT5_S1A_jjP12ihipStream_tbEUljE_EEESV_SW_SX_S14_S18_S1A_T6_T7_T9_mT8_S1C_bDpT10_ENKUlT_T0_E_clISt17integral_constantIbLb1EES1P_EEDaS1K_S1L_EUlS1K_E_NS1_11comp_targetILNS1_3genE4ELNS1_11target_archE910ELNS1_3gpuE8ELNS1_3repE0EEENS1_30default_config_static_selectorELNS0_4arch9wavefront6targetE0EEEvSY_: ; @_ZN7rocprim17ROCPRIM_400000_NS6detail17trampoline_kernelINS0_13select_configILj256ELj13ELNS0_17block_load_methodE3ELS4_3ELS4_3ELNS0_20block_scan_algorithmE0ELj4294967295EEENS1_25partition_config_selectorILNS1_17partition_subalgoE3EjNS0_10empty_typeEbEEZZNS1_14partition_implILS8_3ELb0ES6_jNS0_17counting_iteratorIjlEEPS9_SE_NS0_5tupleIJPjSE_EEENSF_IJSE_SE_EEES9_SG_JZNS1_25segmented_radix_sort_implINS0_14default_configELb1EPKsPsPKlPlN2at6native12_GLOBAL__N_18offset_tEEE10hipError_tPvRmT1_PNSt15iterator_traitsISY_E10value_typeET2_T3_PNSZ_IS14_E10value_typeET4_jRbjT5_S1A_jjP12ihipStream_tbEUljE_EEESV_SW_SX_S14_S18_S1A_T6_T7_T9_mT8_S1C_bDpT10_ENKUlT_T0_E_clISt17integral_constantIbLb1EES1P_EEDaS1K_S1L_EUlS1K_E_NS1_11comp_targetILNS1_3genE4ELNS1_11target_archE910ELNS1_3gpuE8ELNS1_3repE0EEENS1_30default_config_static_selectorELNS0_4arch9wavefront6targetE0EEEvSY_
; %bb.0:
	.section	.rodata,"a",@progbits
	.p2align	6, 0x0
	.amdhsa_kernel _ZN7rocprim17ROCPRIM_400000_NS6detail17trampoline_kernelINS0_13select_configILj256ELj13ELNS0_17block_load_methodE3ELS4_3ELS4_3ELNS0_20block_scan_algorithmE0ELj4294967295EEENS1_25partition_config_selectorILNS1_17partition_subalgoE3EjNS0_10empty_typeEbEEZZNS1_14partition_implILS8_3ELb0ES6_jNS0_17counting_iteratorIjlEEPS9_SE_NS0_5tupleIJPjSE_EEENSF_IJSE_SE_EEES9_SG_JZNS1_25segmented_radix_sort_implINS0_14default_configELb1EPKsPsPKlPlN2at6native12_GLOBAL__N_18offset_tEEE10hipError_tPvRmT1_PNSt15iterator_traitsISY_E10value_typeET2_T3_PNSZ_IS14_E10value_typeET4_jRbjT5_S1A_jjP12ihipStream_tbEUljE_EEESV_SW_SX_S14_S18_S1A_T6_T7_T9_mT8_S1C_bDpT10_ENKUlT_T0_E_clISt17integral_constantIbLb1EES1P_EEDaS1K_S1L_EUlS1K_E_NS1_11comp_targetILNS1_3genE4ELNS1_11target_archE910ELNS1_3gpuE8ELNS1_3repE0EEENS1_30default_config_static_selectorELNS0_4arch9wavefront6targetE0EEEvSY_
		.amdhsa_group_segment_fixed_size 0
		.amdhsa_private_segment_fixed_size 0
		.amdhsa_kernarg_size 152
		.amdhsa_user_sgpr_count 6
		.amdhsa_user_sgpr_private_segment_buffer 1
		.amdhsa_user_sgpr_dispatch_ptr 0
		.amdhsa_user_sgpr_queue_ptr 0
		.amdhsa_user_sgpr_kernarg_segment_ptr 1
		.amdhsa_user_sgpr_dispatch_id 0
		.amdhsa_user_sgpr_flat_scratch_init 0
		.amdhsa_user_sgpr_private_segment_size 0
		.amdhsa_wavefront_size32 1
		.amdhsa_uses_dynamic_stack 0
		.amdhsa_system_sgpr_private_segment_wavefront_offset 0
		.amdhsa_system_sgpr_workgroup_id_x 1
		.amdhsa_system_sgpr_workgroup_id_y 0
		.amdhsa_system_sgpr_workgroup_id_z 0
		.amdhsa_system_sgpr_workgroup_info 0
		.amdhsa_system_vgpr_workitem_id 0
		.amdhsa_next_free_vgpr 1
		.amdhsa_next_free_sgpr 1
		.amdhsa_reserve_vcc 0
		.amdhsa_reserve_flat_scratch 0
		.amdhsa_float_round_mode_32 0
		.amdhsa_float_round_mode_16_64 0
		.amdhsa_float_denorm_mode_32 3
		.amdhsa_float_denorm_mode_16_64 3
		.amdhsa_dx10_clamp 1
		.amdhsa_ieee_mode 1
		.amdhsa_fp16_overflow 0
		.amdhsa_workgroup_processor_mode 1
		.amdhsa_memory_ordered 1
		.amdhsa_forward_progress 1
		.amdhsa_shared_vgpr_count 0
		.amdhsa_exception_fp_ieee_invalid_op 0
		.amdhsa_exception_fp_denorm_src 0
		.amdhsa_exception_fp_ieee_div_zero 0
		.amdhsa_exception_fp_ieee_overflow 0
		.amdhsa_exception_fp_ieee_underflow 0
		.amdhsa_exception_fp_ieee_inexact 0
		.amdhsa_exception_int_div_zero 0
	.end_amdhsa_kernel
	.section	.text._ZN7rocprim17ROCPRIM_400000_NS6detail17trampoline_kernelINS0_13select_configILj256ELj13ELNS0_17block_load_methodE3ELS4_3ELS4_3ELNS0_20block_scan_algorithmE0ELj4294967295EEENS1_25partition_config_selectorILNS1_17partition_subalgoE3EjNS0_10empty_typeEbEEZZNS1_14partition_implILS8_3ELb0ES6_jNS0_17counting_iteratorIjlEEPS9_SE_NS0_5tupleIJPjSE_EEENSF_IJSE_SE_EEES9_SG_JZNS1_25segmented_radix_sort_implINS0_14default_configELb1EPKsPsPKlPlN2at6native12_GLOBAL__N_18offset_tEEE10hipError_tPvRmT1_PNSt15iterator_traitsISY_E10value_typeET2_T3_PNSZ_IS14_E10value_typeET4_jRbjT5_S1A_jjP12ihipStream_tbEUljE_EEESV_SW_SX_S14_S18_S1A_T6_T7_T9_mT8_S1C_bDpT10_ENKUlT_T0_E_clISt17integral_constantIbLb1EES1P_EEDaS1K_S1L_EUlS1K_E_NS1_11comp_targetILNS1_3genE4ELNS1_11target_archE910ELNS1_3gpuE8ELNS1_3repE0EEENS1_30default_config_static_selectorELNS0_4arch9wavefront6targetE0EEEvSY_,"axG",@progbits,_ZN7rocprim17ROCPRIM_400000_NS6detail17trampoline_kernelINS0_13select_configILj256ELj13ELNS0_17block_load_methodE3ELS4_3ELS4_3ELNS0_20block_scan_algorithmE0ELj4294967295EEENS1_25partition_config_selectorILNS1_17partition_subalgoE3EjNS0_10empty_typeEbEEZZNS1_14partition_implILS8_3ELb0ES6_jNS0_17counting_iteratorIjlEEPS9_SE_NS0_5tupleIJPjSE_EEENSF_IJSE_SE_EEES9_SG_JZNS1_25segmented_radix_sort_implINS0_14default_configELb1EPKsPsPKlPlN2at6native12_GLOBAL__N_18offset_tEEE10hipError_tPvRmT1_PNSt15iterator_traitsISY_E10value_typeET2_T3_PNSZ_IS14_E10value_typeET4_jRbjT5_S1A_jjP12ihipStream_tbEUljE_EEESV_SW_SX_S14_S18_S1A_T6_T7_T9_mT8_S1C_bDpT10_ENKUlT_T0_E_clISt17integral_constantIbLb1EES1P_EEDaS1K_S1L_EUlS1K_E_NS1_11comp_targetILNS1_3genE4ELNS1_11target_archE910ELNS1_3gpuE8ELNS1_3repE0EEENS1_30default_config_static_selectorELNS0_4arch9wavefront6targetE0EEEvSY_,comdat
.Lfunc_end883:
	.size	_ZN7rocprim17ROCPRIM_400000_NS6detail17trampoline_kernelINS0_13select_configILj256ELj13ELNS0_17block_load_methodE3ELS4_3ELS4_3ELNS0_20block_scan_algorithmE0ELj4294967295EEENS1_25partition_config_selectorILNS1_17partition_subalgoE3EjNS0_10empty_typeEbEEZZNS1_14partition_implILS8_3ELb0ES6_jNS0_17counting_iteratorIjlEEPS9_SE_NS0_5tupleIJPjSE_EEENSF_IJSE_SE_EEES9_SG_JZNS1_25segmented_radix_sort_implINS0_14default_configELb1EPKsPsPKlPlN2at6native12_GLOBAL__N_18offset_tEEE10hipError_tPvRmT1_PNSt15iterator_traitsISY_E10value_typeET2_T3_PNSZ_IS14_E10value_typeET4_jRbjT5_S1A_jjP12ihipStream_tbEUljE_EEESV_SW_SX_S14_S18_S1A_T6_T7_T9_mT8_S1C_bDpT10_ENKUlT_T0_E_clISt17integral_constantIbLb1EES1P_EEDaS1K_S1L_EUlS1K_E_NS1_11comp_targetILNS1_3genE4ELNS1_11target_archE910ELNS1_3gpuE8ELNS1_3repE0EEENS1_30default_config_static_selectorELNS0_4arch9wavefront6targetE0EEEvSY_, .Lfunc_end883-_ZN7rocprim17ROCPRIM_400000_NS6detail17trampoline_kernelINS0_13select_configILj256ELj13ELNS0_17block_load_methodE3ELS4_3ELS4_3ELNS0_20block_scan_algorithmE0ELj4294967295EEENS1_25partition_config_selectorILNS1_17partition_subalgoE3EjNS0_10empty_typeEbEEZZNS1_14partition_implILS8_3ELb0ES6_jNS0_17counting_iteratorIjlEEPS9_SE_NS0_5tupleIJPjSE_EEENSF_IJSE_SE_EEES9_SG_JZNS1_25segmented_radix_sort_implINS0_14default_configELb1EPKsPsPKlPlN2at6native12_GLOBAL__N_18offset_tEEE10hipError_tPvRmT1_PNSt15iterator_traitsISY_E10value_typeET2_T3_PNSZ_IS14_E10value_typeET4_jRbjT5_S1A_jjP12ihipStream_tbEUljE_EEESV_SW_SX_S14_S18_S1A_T6_T7_T9_mT8_S1C_bDpT10_ENKUlT_T0_E_clISt17integral_constantIbLb1EES1P_EEDaS1K_S1L_EUlS1K_E_NS1_11comp_targetILNS1_3genE4ELNS1_11target_archE910ELNS1_3gpuE8ELNS1_3repE0EEENS1_30default_config_static_selectorELNS0_4arch9wavefront6targetE0EEEvSY_
                                        ; -- End function
	.set _ZN7rocprim17ROCPRIM_400000_NS6detail17trampoline_kernelINS0_13select_configILj256ELj13ELNS0_17block_load_methodE3ELS4_3ELS4_3ELNS0_20block_scan_algorithmE0ELj4294967295EEENS1_25partition_config_selectorILNS1_17partition_subalgoE3EjNS0_10empty_typeEbEEZZNS1_14partition_implILS8_3ELb0ES6_jNS0_17counting_iteratorIjlEEPS9_SE_NS0_5tupleIJPjSE_EEENSF_IJSE_SE_EEES9_SG_JZNS1_25segmented_radix_sort_implINS0_14default_configELb1EPKsPsPKlPlN2at6native12_GLOBAL__N_18offset_tEEE10hipError_tPvRmT1_PNSt15iterator_traitsISY_E10value_typeET2_T3_PNSZ_IS14_E10value_typeET4_jRbjT5_S1A_jjP12ihipStream_tbEUljE_EEESV_SW_SX_S14_S18_S1A_T6_T7_T9_mT8_S1C_bDpT10_ENKUlT_T0_E_clISt17integral_constantIbLb1EES1P_EEDaS1K_S1L_EUlS1K_E_NS1_11comp_targetILNS1_3genE4ELNS1_11target_archE910ELNS1_3gpuE8ELNS1_3repE0EEENS1_30default_config_static_selectorELNS0_4arch9wavefront6targetE0EEEvSY_.num_vgpr, 0
	.set _ZN7rocprim17ROCPRIM_400000_NS6detail17trampoline_kernelINS0_13select_configILj256ELj13ELNS0_17block_load_methodE3ELS4_3ELS4_3ELNS0_20block_scan_algorithmE0ELj4294967295EEENS1_25partition_config_selectorILNS1_17partition_subalgoE3EjNS0_10empty_typeEbEEZZNS1_14partition_implILS8_3ELb0ES6_jNS0_17counting_iteratorIjlEEPS9_SE_NS0_5tupleIJPjSE_EEENSF_IJSE_SE_EEES9_SG_JZNS1_25segmented_radix_sort_implINS0_14default_configELb1EPKsPsPKlPlN2at6native12_GLOBAL__N_18offset_tEEE10hipError_tPvRmT1_PNSt15iterator_traitsISY_E10value_typeET2_T3_PNSZ_IS14_E10value_typeET4_jRbjT5_S1A_jjP12ihipStream_tbEUljE_EEESV_SW_SX_S14_S18_S1A_T6_T7_T9_mT8_S1C_bDpT10_ENKUlT_T0_E_clISt17integral_constantIbLb1EES1P_EEDaS1K_S1L_EUlS1K_E_NS1_11comp_targetILNS1_3genE4ELNS1_11target_archE910ELNS1_3gpuE8ELNS1_3repE0EEENS1_30default_config_static_selectorELNS0_4arch9wavefront6targetE0EEEvSY_.num_agpr, 0
	.set _ZN7rocprim17ROCPRIM_400000_NS6detail17trampoline_kernelINS0_13select_configILj256ELj13ELNS0_17block_load_methodE3ELS4_3ELS4_3ELNS0_20block_scan_algorithmE0ELj4294967295EEENS1_25partition_config_selectorILNS1_17partition_subalgoE3EjNS0_10empty_typeEbEEZZNS1_14partition_implILS8_3ELb0ES6_jNS0_17counting_iteratorIjlEEPS9_SE_NS0_5tupleIJPjSE_EEENSF_IJSE_SE_EEES9_SG_JZNS1_25segmented_radix_sort_implINS0_14default_configELb1EPKsPsPKlPlN2at6native12_GLOBAL__N_18offset_tEEE10hipError_tPvRmT1_PNSt15iterator_traitsISY_E10value_typeET2_T3_PNSZ_IS14_E10value_typeET4_jRbjT5_S1A_jjP12ihipStream_tbEUljE_EEESV_SW_SX_S14_S18_S1A_T6_T7_T9_mT8_S1C_bDpT10_ENKUlT_T0_E_clISt17integral_constantIbLb1EES1P_EEDaS1K_S1L_EUlS1K_E_NS1_11comp_targetILNS1_3genE4ELNS1_11target_archE910ELNS1_3gpuE8ELNS1_3repE0EEENS1_30default_config_static_selectorELNS0_4arch9wavefront6targetE0EEEvSY_.numbered_sgpr, 0
	.set _ZN7rocprim17ROCPRIM_400000_NS6detail17trampoline_kernelINS0_13select_configILj256ELj13ELNS0_17block_load_methodE3ELS4_3ELS4_3ELNS0_20block_scan_algorithmE0ELj4294967295EEENS1_25partition_config_selectorILNS1_17partition_subalgoE3EjNS0_10empty_typeEbEEZZNS1_14partition_implILS8_3ELb0ES6_jNS0_17counting_iteratorIjlEEPS9_SE_NS0_5tupleIJPjSE_EEENSF_IJSE_SE_EEES9_SG_JZNS1_25segmented_radix_sort_implINS0_14default_configELb1EPKsPsPKlPlN2at6native12_GLOBAL__N_18offset_tEEE10hipError_tPvRmT1_PNSt15iterator_traitsISY_E10value_typeET2_T3_PNSZ_IS14_E10value_typeET4_jRbjT5_S1A_jjP12ihipStream_tbEUljE_EEESV_SW_SX_S14_S18_S1A_T6_T7_T9_mT8_S1C_bDpT10_ENKUlT_T0_E_clISt17integral_constantIbLb1EES1P_EEDaS1K_S1L_EUlS1K_E_NS1_11comp_targetILNS1_3genE4ELNS1_11target_archE910ELNS1_3gpuE8ELNS1_3repE0EEENS1_30default_config_static_selectorELNS0_4arch9wavefront6targetE0EEEvSY_.num_named_barrier, 0
	.set _ZN7rocprim17ROCPRIM_400000_NS6detail17trampoline_kernelINS0_13select_configILj256ELj13ELNS0_17block_load_methodE3ELS4_3ELS4_3ELNS0_20block_scan_algorithmE0ELj4294967295EEENS1_25partition_config_selectorILNS1_17partition_subalgoE3EjNS0_10empty_typeEbEEZZNS1_14partition_implILS8_3ELb0ES6_jNS0_17counting_iteratorIjlEEPS9_SE_NS0_5tupleIJPjSE_EEENSF_IJSE_SE_EEES9_SG_JZNS1_25segmented_radix_sort_implINS0_14default_configELb1EPKsPsPKlPlN2at6native12_GLOBAL__N_18offset_tEEE10hipError_tPvRmT1_PNSt15iterator_traitsISY_E10value_typeET2_T3_PNSZ_IS14_E10value_typeET4_jRbjT5_S1A_jjP12ihipStream_tbEUljE_EEESV_SW_SX_S14_S18_S1A_T6_T7_T9_mT8_S1C_bDpT10_ENKUlT_T0_E_clISt17integral_constantIbLb1EES1P_EEDaS1K_S1L_EUlS1K_E_NS1_11comp_targetILNS1_3genE4ELNS1_11target_archE910ELNS1_3gpuE8ELNS1_3repE0EEENS1_30default_config_static_selectorELNS0_4arch9wavefront6targetE0EEEvSY_.private_seg_size, 0
	.set _ZN7rocprim17ROCPRIM_400000_NS6detail17trampoline_kernelINS0_13select_configILj256ELj13ELNS0_17block_load_methodE3ELS4_3ELS4_3ELNS0_20block_scan_algorithmE0ELj4294967295EEENS1_25partition_config_selectorILNS1_17partition_subalgoE3EjNS0_10empty_typeEbEEZZNS1_14partition_implILS8_3ELb0ES6_jNS0_17counting_iteratorIjlEEPS9_SE_NS0_5tupleIJPjSE_EEENSF_IJSE_SE_EEES9_SG_JZNS1_25segmented_radix_sort_implINS0_14default_configELb1EPKsPsPKlPlN2at6native12_GLOBAL__N_18offset_tEEE10hipError_tPvRmT1_PNSt15iterator_traitsISY_E10value_typeET2_T3_PNSZ_IS14_E10value_typeET4_jRbjT5_S1A_jjP12ihipStream_tbEUljE_EEESV_SW_SX_S14_S18_S1A_T6_T7_T9_mT8_S1C_bDpT10_ENKUlT_T0_E_clISt17integral_constantIbLb1EES1P_EEDaS1K_S1L_EUlS1K_E_NS1_11comp_targetILNS1_3genE4ELNS1_11target_archE910ELNS1_3gpuE8ELNS1_3repE0EEENS1_30default_config_static_selectorELNS0_4arch9wavefront6targetE0EEEvSY_.uses_vcc, 0
	.set _ZN7rocprim17ROCPRIM_400000_NS6detail17trampoline_kernelINS0_13select_configILj256ELj13ELNS0_17block_load_methodE3ELS4_3ELS4_3ELNS0_20block_scan_algorithmE0ELj4294967295EEENS1_25partition_config_selectorILNS1_17partition_subalgoE3EjNS0_10empty_typeEbEEZZNS1_14partition_implILS8_3ELb0ES6_jNS0_17counting_iteratorIjlEEPS9_SE_NS0_5tupleIJPjSE_EEENSF_IJSE_SE_EEES9_SG_JZNS1_25segmented_radix_sort_implINS0_14default_configELb1EPKsPsPKlPlN2at6native12_GLOBAL__N_18offset_tEEE10hipError_tPvRmT1_PNSt15iterator_traitsISY_E10value_typeET2_T3_PNSZ_IS14_E10value_typeET4_jRbjT5_S1A_jjP12ihipStream_tbEUljE_EEESV_SW_SX_S14_S18_S1A_T6_T7_T9_mT8_S1C_bDpT10_ENKUlT_T0_E_clISt17integral_constantIbLb1EES1P_EEDaS1K_S1L_EUlS1K_E_NS1_11comp_targetILNS1_3genE4ELNS1_11target_archE910ELNS1_3gpuE8ELNS1_3repE0EEENS1_30default_config_static_selectorELNS0_4arch9wavefront6targetE0EEEvSY_.uses_flat_scratch, 0
	.set _ZN7rocprim17ROCPRIM_400000_NS6detail17trampoline_kernelINS0_13select_configILj256ELj13ELNS0_17block_load_methodE3ELS4_3ELS4_3ELNS0_20block_scan_algorithmE0ELj4294967295EEENS1_25partition_config_selectorILNS1_17partition_subalgoE3EjNS0_10empty_typeEbEEZZNS1_14partition_implILS8_3ELb0ES6_jNS0_17counting_iteratorIjlEEPS9_SE_NS0_5tupleIJPjSE_EEENSF_IJSE_SE_EEES9_SG_JZNS1_25segmented_radix_sort_implINS0_14default_configELb1EPKsPsPKlPlN2at6native12_GLOBAL__N_18offset_tEEE10hipError_tPvRmT1_PNSt15iterator_traitsISY_E10value_typeET2_T3_PNSZ_IS14_E10value_typeET4_jRbjT5_S1A_jjP12ihipStream_tbEUljE_EEESV_SW_SX_S14_S18_S1A_T6_T7_T9_mT8_S1C_bDpT10_ENKUlT_T0_E_clISt17integral_constantIbLb1EES1P_EEDaS1K_S1L_EUlS1K_E_NS1_11comp_targetILNS1_3genE4ELNS1_11target_archE910ELNS1_3gpuE8ELNS1_3repE0EEENS1_30default_config_static_selectorELNS0_4arch9wavefront6targetE0EEEvSY_.has_dyn_sized_stack, 0
	.set _ZN7rocprim17ROCPRIM_400000_NS6detail17trampoline_kernelINS0_13select_configILj256ELj13ELNS0_17block_load_methodE3ELS4_3ELS4_3ELNS0_20block_scan_algorithmE0ELj4294967295EEENS1_25partition_config_selectorILNS1_17partition_subalgoE3EjNS0_10empty_typeEbEEZZNS1_14partition_implILS8_3ELb0ES6_jNS0_17counting_iteratorIjlEEPS9_SE_NS0_5tupleIJPjSE_EEENSF_IJSE_SE_EEES9_SG_JZNS1_25segmented_radix_sort_implINS0_14default_configELb1EPKsPsPKlPlN2at6native12_GLOBAL__N_18offset_tEEE10hipError_tPvRmT1_PNSt15iterator_traitsISY_E10value_typeET2_T3_PNSZ_IS14_E10value_typeET4_jRbjT5_S1A_jjP12ihipStream_tbEUljE_EEESV_SW_SX_S14_S18_S1A_T6_T7_T9_mT8_S1C_bDpT10_ENKUlT_T0_E_clISt17integral_constantIbLb1EES1P_EEDaS1K_S1L_EUlS1K_E_NS1_11comp_targetILNS1_3genE4ELNS1_11target_archE910ELNS1_3gpuE8ELNS1_3repE0EEENS1_30default_config_static_selectorELNS0_4arch9wavefront6targetE0EEEvSY_.has_recursion, 0
	.set _ZN7rocprim17ROCPRIM_400000_NS6detail17trampoline_kernelINS0_13select_configILj256ELj13ELNS0_17block_load_methodE3ELS4_3ELS4_3ELNS0_20block_scan_algorithmE0ELj4294967295EEENS1_25partition_config_selectorILNS1_17partition_subalgoE3EjNS0_10empty_typeEbEEZZNS1_14partition_implILS8_3ELb0ES6_jNS0_17counting_iteratorIjlEEPS9_SE_NS0_5tupleIJPjSE_EEENSF_IJSE_SE_EEES9_SG_JZNS1_25segmented_radix_sort_implINS0_14default_configELb1EPKsPsPKlPlN2at6native12_GLOBAL__N_18offset_tEEE10hipError_tPvRmT1_PNSt15iterator_traitsISY_E10value_typeET2_T3_PNSZ_IS14_E10value_typeET4_jRbjT5_S1A_jjP12ihipStream_tbEUljE_EEESV_SW_SX_S14_S18_S1A_T6_T7_T9_mT8_S1C_bDpT10_ENKUlT_T0_E_clISt17integral_constantIbLb1EES1P_EEDaS1K_S1L_EUlS1K_E_NS1_11comp_targetILNS1_3genE4ELNS1_11target_archE910ELNS1_3gpuE8ELNS1_3repE0EEENS1_30default_config_static_selectorELNS0_4arch9wavefront6targetE0EEEvSY_.has_indirect_call, 0
	.section	.AMDGPU.csdata,"",@progbits
; Kernel info:
; codeLenInByte = 0
; TotalNumSgprs: 0
; NumVgprs: 0
; ScratchSize: 0
; MemoryBound: 0
; FloatMode: 240
; IeeeMode: 1
; LDSByteSize: 0 bytes/workgroup (compile time only)
; SGPRBlocks: 0
; VGPRBlocks: 0
; NumSGPRsForWavesPerEU: 1
; NumVGPRsForWavesPerEU: 1
; Occupancy: 16
; WaveLimiterHint : 0
; COMPUTE_PGM_RSRC2:SCRATCH_EN: 0
; COMPUTE_PGM_RSRC2:USER_SGPR: 6
; COMPUTE_PGM_RSRC2:TRAP_HANDLER: 0
; COMPUTE_PGM_RSRC2:TGID_X_EN: 1
; COMPUTE_PGM_RSRC2:TGID_Y_EN: 0
; COMPUTE_PGM_RSRC2:TGID_Z_EN: 0
; COMPUTE_PGM_RSRC2:TIDIG_COMP_CNT: 0
	.section	.text._ZN7rocprim17ROCPRIM_400000_NS6detail17trampoline_kernelINS0_13select_configILj256ELj13ELNS0_17block_load_methodE3ELS4_3ELS4_3ELNS0_20block_scan_algorithmE0ELj4294967295EEENS1_25partition_config_selectorILNS1_17partition_subalgoE3EjNS0_10empty_typeEbEEZZNS1_14partition_implILS8_3ELb0ES6_jNS0_17counting_iteratorIjlEEPS9_SE_NS0_5tupleIJPjSE_EEENSF_IJSE_SE_EEES9_SG_JZNS1_25segmented_radix_sort_implINS0_14default_configELb1EPKsPsPKlPlN2at6native12_GLOBAL__N_18offset_tEEE10hipError_tPvRmT1_PNSt15iterator_traitsISY_E10value_typeET2_T3_PNSZ_IS14_E10value_typeET4_jRbjT5_S1A_jjP12ihipStream_tbEUljE_EEESV_SW_SX_S14_S18_S1A_T6_T7_T9_mT8_S1C_bDpT10_ENKUlT_T0_E_clISt17integral_constantIbLb1EES1P_EEDaS1K_S1L_EUlS1K_E_NS1_11comp_targetILNS1_3genE3ELNS1_11target_archE908ELNS1_3gpuE7ELNS1_3repE0EEENS1_30default_config_static_selectorELNS0_4arch9wavefront6targetE0EEEvSY_,"axG",@progbits,_ZN7rocprim17ROCPRIM_400000_NS6detail17trampoline_kernelINS0_13select_configILj256ELj13ELNS0_17block_load_methodE3ELS4_3ELS4_3ELNS0_20block_scan_algorithmE0ELj4294967295EEENS1_25partition_config_selectorILNS1_17partition_subalgoE3EjNS0_10empty_typeEbEEZZNS1_14partition_implILS8_3ELb0ES6_jNS0_17counting_iteratorIjlEEPS9_SE_NS0_5tupleIJPjSE_EEENSF_IJSE_SE_EEES9_SG_JZNS1_25segmented_radix_sort_implINS0_14default_configELb1EPKsPsPKlPlN2at6native12_GLOBAL__N_18offset_tEEE10hipError_tPvRmT1_PNSt15iterator_traitsISY_E10value_typeET2_T3_PNSZ_IS14_E10value_typeET4_jRbjT5_S1A_jjP12ihipStream_tbEUljE_EEESV_SW_SX_S14_S18_S1A_T6_T7_T9_mT8_S1C_bDpT10_ENKUlT_T0_E_clISt17integral_constantIbLb1EES1P_EEDaS1K_S1L_EUlS1K_E_NS1_11comp_targetILNS1_3genE3ELNS1_11target_archE908ELNS1_3gpuE7ELNS1_3repE0EEENS1_30default_config_static_selectorELNS0_4arch9wavefront6targetE0EEEvSY_,comdat
	.globl	_ZN7rocprim17ROCPRIM_400000_NS6detail17trampoline_kernelINS0_13select_configILj256ELj13ELNS0_17block_load_methodE3ELS4_3ELS4_3ELNS0_20block_scan_algorithmE0ELj4294967295EEENS1_25partition_config_selectorILNS1_17partition_subalgoE3EjNS0_10empty_typeEbEEZZNS1_14partition_implILS8_3ELb0ES6_jNS0_17counting_iteratorIjlEEPS9_SE_NS0_5tupleIJPjSE_EEENSF_IJSE_SE_EEES9_SG_JZNS1_25segmented_radix_sort_implINS0_14default_configELb1EPKsPsPKlPlN2at6native12_GLOBAL__N_18offset_tEEE10hipError_tPvRmT1_PNSt15iterator_traitsISY_E10value_typeET2_T3_PNSZ_IS14_E10value_typeET4_jRbjT5_S1A_jjP12ihipStream_tbEUljE_EEESV_SW_SX_S14_S18_S1A_T6_T7_T9_mT8_S1C_bDpT10_ENKUlT_T0_E_clISt17integral_constantIbLb1EES1P_EEDaS1K_S1L_EUlS1K_E_NS1_11comp_targetILNS1_3genE3ELNS1_11target_archE908ELNS1_3gpuE7ELNS1_3repE0EEENS1_30default_config_static_selectorELNS0_4arch9wavefront6targetE0EEEvSY_ ; -- Begin function _ZN7rocprim17ROCPRIM_400000_NS6detail17trampoline_kernelINS0_13select_configILj256ELj13ELNS0_17block_load_methodE3ELS4_3ELS4_3ELNS0_20block_scan_algorithmE0ELj4294967295EEENS1_25partition_config_selectorILNS1_17partition_subalgoE3EjNS0_10empty_typeEbEEZZNS1_14partition_implILS8_3ELb0ES6_jNS0_17counting_iteratorIjlEEPS9_SE_NS0_5tupleIJPjSE_EEENSF_IJSE_SE_EEES9_SG_JZNS1_25segmented_radix_sort_implINS0_14default_configELb1EPKsPsPKlPlN2at6native12_GLOBAL__N_18offset_tEEE10hipError_tPvRmT1_PNSt15iterator_traitsISY_E10value_typeET2_T3_PNSZ_IS14_E10value_typeET4_jRbjT5_S1A_jjP12ihipStream_tbEUljE_EEESV_SW_SX_S14_S18_S1A_T6_T7_T9_mT8_S1C_bDpT10_ENKUlT_T0_E_clISt17integral_constantIbLb1EES1P_EEDaS1K_S1L_EUlS1K_E_NS1_11comp_targetILNS1_3genE3ELNS1_11target_archE908ELNS1_3gpuE7ELNS1_3repE0EEENS1_30default_config_static_selectorELNS0_4arch9wavefront6targetE0EEEvSY_
	.p2align	8
	.type	_ZN7rocprim17ROCPRIM_400000_NS6detail17trampoline_kernelINS0_13select_configILj256ELj13ELNS0_17block_load_methodE3ELS4_3ELS4_3ELNS0_20block_scan_algorithmE0ELj4294967295EEENS1_25partition_config_selectorILNS1_17partition_subalgoE3EjNS0_10empty_typeEbEEZZNS1_14partition_implILS8_3ELb0ES6_jNS0_17counting_iteratorIjlEEPS9_SE_NS0_5tupleIJPjSE_EEENSF_IJSE_SE_EEES9_SG_JZNS1_25segmented_radix_sort_implINS0_14default_configELb1EPKsPsPKlPlN2at6native12_GLOBAL__N_18offset_tEEE10hipError_tPvRmT1_PNSt15iterator_traitsISY_E10value_typeET2_T3_PNSZ_IS14_E10value_typeET4_jRbjT5_S1A_jjP12ihipStream_tbEUljE_EEESV_SW_SX_S14_S18_S1A_T6_T7_T9_mT8_S1C_bDpT10_ENKUlT_T0_E_clISt17integral_constantIbLb1EES1P_EEDaS1K_S1L_EUlS1K_E_NS1_11comp_targetILNS1_3genE3ELNS1_11target_archE908ELNS1_3gpuE7ELNS1_3repE0EEENS1_30default_config_static_selectorELNS0_4arch9wavefront6targetE0EEEvSY_,@function
_ZN7rocprim17ROCPRIM_400000_NS6detail17trampoline_kernelINS0_13select_configILj256ELj13ELNS0_17block_load_methodE3ELS4_3ELS4_3ELNS0_20block_scan_algorithmE0ELj4294967295EEENS1_25partition_config_selectorILNS1_17partition_subalgoE3EjNS0_10empty_typeEbEEZZNS1_14partition_implILS8_3ELb0ES6_jNS0_17counting_iteratorIjlEEPS9_SE_NS0_5tupleIJPjSE_EEENSF_IJSE_SE_EEES9_SG_JZNS1_25segmented_radix_sort_implINS0_14default_configELb1EPKsPsPKlPlN2at6native12_GLOBAL__N_18offset_tEEE10hipError_tPvRmT1_PNSt15iterator_traitsISY_E10value_typeET2_T3_PNSZ_IS14_E10value_typeET4_jRbjT5_S1A_jjP12ihipStream_tbEUljE_EEESV_SW_SX_S14_S18_S1A_T6_T7_T9_mT8_S1C_bDpT10_ENKUlT_T0_E_clISt17integral_constantIbLb1EES1P_EEDaS1K_S1L_EUlS1K_E_NS1_11comp_targetILNS1_3genE3ELNS1_11target_archE908ELNS1_3gpuE7ELNS1_3repE0EEENS1_30default_config_static_selectorELNS0_4arch9wavefront6targetE0EEEvSY_: ; @_ZN7rocprim17ROCPRIM_400000_NS6detail17trampoline_kernelINS0_13select_configILj256ELj13ELNS0_17block_load_methodE3ELS4_3ELS4_3ELNS0_20block_scan_algorithmE0ELj4294967295EEENS1_25partition_config_selectorILNS1_17partition_subalgoE3EjNS0_10empty_typeEbEEZZNS1_14partition_implILS8_3ELb0ES6_jNS0_17counting_iteratorIjlEEPS9_SE_NS0_5tupleIJPjSE_EEENSF_IJSE_SE_EEES9_SG_JZNS1_25segmented_radix_sort_implINS0_14default_configELb1EPKsPsPKlPlN2at6native12_GLOBAL__N_18offset_tEEE10hipError_tPvRmT1_PNSt15iterator_traitsISY_E10value_typeET2_T3_PNSZ_IS14_E10value_typeET4_jRbjT5_S1A_jjP12ihipStream_tbEUljE_EEESV_SW_SX_S14_S18_S1A_T6_T7_T9_mT8_S1C_bDpT10_ENKUlT_T0_E_clISt17integral_constantIbLb1EES1P_EEDaS1K_S1L_EUlS1K_E_NS1_11comp_targetILNS1_3genE3ELNS1_11target_archE908ELNS1_3gpuE7ELNS1_3repE0EEENS1_30default_config_static_selectorELNS0_4arch9wavefront6targetE0EEEvSY_
; %bb.0:
	.section	.rodata,"a",@progbits
	.p2align	6, 0x0
	.amdhsa_kernel _ZN7rocprim17ROCPRIM_400000_NS6detail17trampoline_kernelINS0_13select_configILj256ELj13ELNS0_17block_load_methodE3ELS4_3ELS4_3ELNS0_20block_scan_algorithmE0ELj4294967295EEENS1_25partition_config_selectorILNS1_17partition_subalgoE3EjNS0_10empty_typeEbEEZZNS1_14partition_implILS8_3ELb0ES6_jNS0_17counting_iteratorIjlEEPS9_SE_NS0_5tupleIJPjSE_EEENSF_IJSE_SE_EEES9_SG_JZNS1_25segmented_radix_sort_implINS0_14default_configELb1EPKsPsPKlPlN2at6native12_GLOBAL__N_18offset_tEEE10hipError_tPvRmT1_PNSt15iterator_traitsISY_E10value_typeET2_T3_PNSZ_IS14_E10value_typeET4_jRbjT5_S1A_jjP12ihipStream_tbEUljE_EEESV_SW_SX_S14_S18_S1A_T6_T7_T9_mT8_S1C_bDpT10_ENKUlT_T0_E_clISt17integral_constantIbLb1EES1P_EEDaS1K_S1L_EUlS1K_E_NS1_11comp_targetILNS1_3genE3ELNS1_11target_archE908ELNS1_3gpuE7ELNS1_3repE0EEENS1_30default_config_static_selectorELNS0_4arch9wavefront6targetE0EEEvSY_
		.amdhsa_group_segment_fixed_size 0
		.amdhsa_private_segment_fixed_size 0
		.amdhsa_kernarg_size 152
		.amdhsa_user_sgpr_count 6
		.amdhsa_user_sgpr_private_segment_buffer 1
		.amdhsa_user_sgpr_dispatch_ptr 0
		.amdhsa_user_sgpr_queue_ptr 0
		.amdhsa_user_sgpr_kernarg_segment_ptr 1
		.amdhsa_user_sgpr_dispatch_id 0
		.amdhsa_user_sgpr_flat_scratch_init 0
		.amdhsa_user_sgpr_private_segment_size 0
		.amdhsa_wavefront_size32 1
		.amdhsa_uses_dynamic_stack 0
		.amdhsa_system_sgpr_private_segment_wavefront_offset 0
		.amdhsa_system_sgpr_workgroup_id_x 1
		.amdhsa_system_sgpr_workgroup_id_y 0
		.amdhsa_system_sgpr_workgroup_id_z 0
		.amdhsa_system_sgpr_workgroup_info 0
		.amdhsa_system_vgpr_workitem_id 0
		.amdhsa_next_free_vgpr 1
		.amdhsa_next_free_sgpr 1
		.amdhsa_reserve_vcc 0
		.amdhsa_reserve_flat_scratch 0
		.amdhsa_float_round_mode_32 0
		.amdhsa_float_round_mode_16_64 0
		.amdhsa_float_denorm_mode_32 3
		.amdhsa_float_denorm_mode_16_64 3
		.amdhsa_dx10_clamp 1
		.amdhsa_ieee_mode 1
		.amdhsa_fp16_overflow 0
		.amdhsa_workgroup_processor_mode 1
		.amdhsa_memory_ordered 1
		.amdhsa_forward_progress 1
		.amdhsa_shared_vgpr_count 0
		.amdhsa_exception_fp_ieee_invalid_op 0
		.amdhsa_exception_fp_denorm_src 0
		.amdhsa_exception_fp_ieee_div_zero 0
		.amdhsa_exception_fp_ieee_overflow 0
		.amdhsa_exception_fp_ieee_underflow 0
		.amdhsa_exception_fp_ieee_inexact 0
		.amdhsa_exception_int_div_zero 0
	.end_amdhsa_kernel
	.section	.text._ZN7rocprim17ROCPRIM_400000_NS6detail17trampoline_kernelINS0_13select_configILj256ELj13ELNS0_17block_load_methodE3ELS4_3ELS4_3ELNS0_20block_scan_algorithmE0ELj4294967295EEENS1_25partition_config_selectorILNS1_17partition_subalgoE3EjNS0_10empty_typeEbEEZZNS1_14partition_implILS8_3ELb0ES6_jNS0_17counting_iteratorIjlEEPS9_SE_NS0_5tupleIJPjSE_EEENSF_IJSE_SE_EEES9_SG_JZNS1_25segmented_radix_sort_implINS0_14default_configELb1EPKsPsPKlPlN2at6native12_GLOBAL__N_18offset_tEEE10hipError_tPvRmT1_PNSt15iterator_traitsISY_E10value_typeET2_T3_PNSZ_IS14_E10value_typeET4_jRbjT5_S1A_jjP12ihipStream_tbEUljE_EEESV_SW_SX_S14_S18_S1A_T6_T7_T9_mT8_S1C_bDpT10_ENKUlT_T0_E_clISt17integral_constantIbLb1EES1P_EEDaS1K_S1L_EUlS1K_E_NS1_11comp_targetILNS1_3genE3ELNS1_11target_archE908ELNS1_3gpuE7ELNS1_3repE0EEENS1_30default_config_static_selectorELNS0_4arch9wavefront6targetE0EEEvSY_,"axG",@progbits,_ZN7rocprim17ROCPRIM_400000_NS6detail17trampoline_kernelINS0_13select_configILj256ELj13ELNS0_17block_load_methodE3ELS4_3ELS4_3ELNS0_20block_scan_algorithmE0ELj4294967295EEENS1_25partition_config_selectorILNS1_17partition_subalgoE3EjNS0_10empty_typeEbEEZZNS1_14partition_implILS8_3ELb0ES6_jNS0_17counting_iteratorIjlEEPS9_SE_NS0_5tupleIJPjSE_EEENSF_IJSE_SE_EEES9_SG_JZNS1_25segmented_radix_sort_implINS0_14default_configELb1EPKsPsPKlPlN2at6native12_GLOBAL__N_18offset_tEEE10hipError_tPvRmT1_PNSt15iterator_traitsISY_E10value_typeET2_T3_PNSZ_IS14_E10value_typeET4_jRbjT5_S1A_jjP12ihipStream_tbEUljE_EEESV_SW_SX_S14_S18_S1A_T6_T7_T9_mT8_S1C_bDpT10_ENKUlT_T0_E_clISt17integral_constantIbLb1EES1P_EEDaS1K_S1L_EUlS1K_E_NS1_11comp_targetILNS1_3genE3ELNS1_11target_archE908ELNS1_3gpuE7ELNS1_3repE0EEENS1_30default_config_static_selectorELNS0_4arch9wavefront6targetE0EEEvSY_,comdat
.Lfunc_end884:
	.size	_ZN7rocprim17ROCPRIM_400000_NS6detail17trampoline_kernelINS0_13select_configILj256ELj13ELNS0_17block_load_methodE3ELS4_3ELS4_3ELNS0_20block_scan_algorithmE0ELj4294967295EEENS1_25partition_config_selectorILNS1_17partition_subalgoE3EjNS0_10empty_typeEbEEZZNS1_14partition_implILS8_3ELb0ES6_jNS0_17counting_iteratorIjlEEPS9_SE_NS0_5tupleIJPjSE_EEENSF_IJSE_SE_EEES9_SG_JZNS1_25segmented_radix_sort_implINS0_14default_configELb1EPKsPsPKlPlN2at6native12_GLOBAL__N_18offset_tEEE10hipError_tPvRmT1_PNSt15iterator_traitsISY_E10value_typeET2_T3_PNSZ_IS14_E10value_typeET4_jRbjT5_S1A_jjP12ihipStream_tbEUljE_EEESV_SW_SX_S14_S18_S1A_T6_T7_T9_mT8_S1C_bDpT10_ENKUlT_T0_E_clISt17integral_constantIbLb1EES1P_EEDaS1K_S1L_EUlS1K_E_NS1_11comp_targetILNS1_3genE3ELNS1_11target_archE908ELNS1_3gpuE7ELNS1_3repE0EEENS1_30default_config_static_selectorELNS0_4arch9wavefront6targetE0EEEvSY_, .Lfunc_end884-_ZN7rocprim17ROCPRIM_400000_NS6detail17trampoline_kernelINS0_13select_configILj256ELj13ELNS0_17block_load_methodE3ELS4_3ELS4_3ELNS0_20block_scan_algorithmE0ELj4294967295EEENS1_25partition_config_selectorILNS1_17partition_subalgoE3EjNS0_10empty_typeEbEEZZNS1_14partition_implILS8_3ELb0ES6_jNS0_17counting_iteratorIjlEEPS9_SE_NS0_5tupleIJPjSE_EEENSF_IJSE_SE_EEES9_SG_JZNS1_25segmented_radix_sort_implINS0_14default_configELb1EPKsPsPKlPlN2at6native12_GLOBAL__N_18offset_tEEE10hipError_tPvRmT1_PNSt15iterator_traitsISY_E10value_typeET2_T3_PNSZ_IS14_E10value_typeET4_jRbjT5_S1A_jjP12ihipStream_tbEUljE_EEESV_SW_SX_S14_S18_S1A_T6_T7_T9_mT8_S1C_bDpT10_ENKUlT_T0_E_clISt17integral_constantIbLb1EES1P_EEDaS1K_S1L_EUlS1K_E_NS1_11comp_targetILNS1_3genE3ELNS1_11target_archE908ELNS1_3gpuE7ELNS1_3repE0EEENS1_30default_config_static_selectorELNS0_4arch9wavefront6targetE0EEEvSY_
                                        ; -- End function
	.set _ZN7rocprim17ROCPRIM_400000_NS6detail17trampoline_kernelINS0_13select_configILj256ELj13ELNS0_17block_load_methodE3ELS4_3ELS4_3ELNS0_20block_scan_algorithmE0ELj4294967295EEENS1_25partition_config_selectorILNS1_17partition_subalgoE3EjNS0_10empty_typeEbEEZZNS1_14partition_implILS8_3ELb0ES6_jNS0_17counting_iteratorIjlEEPS9_SE_NS0_5tupleIJPjSE_EEENSF_IJSE_SE_EEES9_SG_JZNS1_25segmented_radix_sort_implINS0_14default_configELb1EPKsPsPKlPlN2at6native12_GLOBAL__N_18offset_tEEE10hipError_tPvRmT1_PNSt15iterator_traitsISY_E10value_typeET2_T3_PNSZ_IS14_E10value_typeET4_jRbjT5_S1A_jjP12ihipStream_tbEUljE_EEESV_SW_SX_S14_S18_S1A_T6_T7_T9_mT8_S1C_bDpT10_ENKUlT_T0_E_clISt17integral_constantIbLb1EES1P_EEDaS1K_S1L_EUlS1K_E_NS1_11comp_targetILNS1_3genE3ELNS1_11target_archE908ELNS1_3gpuE7ELNS1_3repE0EEENS1_30default_config_static_selectorELNS0_4arch9wavefront6targetE0EEEvSY_.num_vgpr, 0
	.set _ZN7rocprim17ROCPRIM_400000_NS6detail17trampoline_kernelINS0_13select_configILj256ELj13ELNS0_17block_load_methodE3ELS4_3ELS4_3ELNS0_20block_scan_algorithmE0ELj4294967295EEENS1_25partition_config_selectorILNS1_17partition_subalgoE3EjNS0_10empty_typeEbEEZZNS1_14partition_implILS8_3ELb0ES6_jNS0_17counting_iteratorIjlEEPS9_SE_NS0_5tupleIJPjSE_EEENSF_IJSE_SE_EEES9_SG_JZNS1_25segmented_radix_sort_implINS0_14default_configELb1EPKsPsPKlPlN2at6native12_GLOBAL__N_18offset_tEEE10hipError_tPvRmT1_PNSt15iterator_traitsISY_E10value_typeET2_T3_PNSZ_IS14_E10value_typeET4_jRbjT5_S1A_jjP12ihipStream_tbEUljE_EEESV_SW_SX_S14_S18_S1A_T6_T7_T9_mT8_S1C_bDpT10_ENKUlT_T0_E_clISt17integral_constantIbLb1EES1P_EEDaS1K_S1L_EUlS1K_E_NS1_11comp_targetILNS1_3genE3ELNS1_11target_archE908ELNS1_3gpuE7ELNS1_3repE0EEENS1_30default_config_static_selectorELNS0_4arch9wavefront6targetE0EEEvSY_.num_agpr, 0
	.set _ZN7rocprim17ROCPRIM_400000_NS6detail17trampoline_kernelINS0_13select_configILj256ELj13ELNS0_17block_load_methodE3ELS4_3ELS4_3ELNS0_20block_scan_algorithmE0ELj4294967295EEENS1_25partition_config_selectorILNS1_17partition_subalgoE3EjNS0_10empty_typeEbEEZZNS1_14partition_implILS8_3ELb0ES6_jNS0_17counting_iteratorIjlEEPS9_SE_NS0_5tupleIJPjSE_EEENSF_IJSE_SE_EEES9_SG_JZNS1_25segmented_radix_sort_implINS0_14default_configELb1EPKsPsPKlPlN2at6native12_GLOBAL__N_18offset_tEEE10hipError_tPvRmT1_PNSt15iterator_traitsISY_E10value_typeET2_T3_PNSZ_IS14_E10value_typeET4_jRbjT5_S1A_jjP12ihipStream_tbEUljE_EEESV_SW_SX_S14_S18_S1A_T6_T7_T9_mT8_S1C_bDpT10_ENKUlT_T0_E_clISt17integral_constantIbLb1EES1P_EEDaS1K_S1L_EUlS1K_E_NS1_11comp_targetILNS1_3genE3ELNS1_11target_archE908ELNS1_3gpuE7ELNS1_3repE0EEENS1_30default_config_static_selectorELNS0_4arch9wavefront6targetE0EEEvSY_.numbered_sgpr, 0
	.set _ZN7rocprim17ROCPRIM_400000_NS6detail17trampoline_kernelINS0_13select_configILj256ELj13ELNS0_17block_load_methodE3ELS4_3ELS4_3ELNS0_20block_scan_algorithmE0ELj4294967295EEENS1_25partition_config_selectorILNS1_17partition_subalgoE3EjNS0_10empty_typeEbEEZZNS1_14partition_implILS8_3ELb0ES6_jNS0_17counting_iteratorIjlEEPS9_SE_NS0_5tupleIJPjSE_EEENSF_IJSE_SE_EEES9_SG_JZNS1_25segmented_radix_sort_implINS0_14default_configELb1EPKsPsPKlPlN2at6native12_GLOBAL__N_18offset_tEEE10hipError_tPvRmT1_PNSt15iterator_traitsISY_E10value_typeET2_T3_PNSZ_IS14_E10value_typeET4_jRbjT5_S1A_jjP12ihipStream_tbEUljE_EEESV_SW_SX_S14_S18_S1A_T6_T7_T9_mT8_S1C_bDpT10_ENKUlT_T0_E_clISt17integral_constantIbLb1EES1P_EEDaS1K_S1L_EUlS1K_E_NS1_11comp_targetILNS1_3genE3ELNS1_11target_archE908ELNS1_3gpuE7ELNS1_3repE0EEENS1_30default_config_static_selectorELNS0_4arch9wavefront6targetE0EEEvSY_.num_named_barrier, 0
	.set _ZN7rocprim17ROCPRIM_400000_NS6detail17trampoline_kernelINS0_13select_configILj256ELj13ELNS0_17block_load_methodE3ELS4_3ELS4_3ELNS0_20block_scan_algorithmE0ELj4294967295EEENS1_25partition_config_selectorILNS1_17partition_subalgoE3EjNS0_10empty_typeEbEEZZNS1_14partition_implILS8_3ELb0ES6_jNS0_17counting_iteratorIjlEEPS9_SE_NS0_5tupleIJPjSE_EEENSF_IJSE_SE_EEES9_SG_JZNS1_25segmented_radix_sort_implINS0_14default_configELb1EPKsPsPKlPlN2at6native12_GLOBAL__N_18offset_tEEE10hipError_tPvRmT1_PNSt15iterator_traitsISY_E10value_typeET2_T3_PNSZ_IS14_E10value_typeET4_jRbjT5_S1A_jjP12ihipStream_tbEUljE_EEESV_SW_SX_S14_S18_S1A_T6_T7_T9_mT8_S1C_bDpT10_ENKUlT_T0_E_clISt17integral_constantIbLb1EES1P_EEDaS1K_S1L_EUlS1K_E_NS1_11comp_targetILNS1_3genE3ELNS1_11target_archE908ELNS1_3gpuE7ELNS1_3repE0EEENS1_30default_config_static_selectorELNS0_4arch9wavefront6targetE0EEEvSY_.private_seg_size, 0
	.set _ZN7rocprim17ROCPRIM_400000_NS6detail17trampoline_kernelINS0_13select_configILj256ELj13ELNS0_17block_load_methodE3ELS4_3ELS4_3ELNS0_20block_scan_algorithmE0ELj4294967295EEENS1_25partition_config_selectorILNS1_17partition_subalgoE3EjNS0_10empty_typeEbEEZZNS1_14partition_implILS8_3ELb0ES6_jNS0_17counting_iteratorIjlEEPS9_SE_NS0_5tupleIJPjSE_EEENSF_IJSE_SE_EEES9_SG_JZNS1_25segmented_radix_sort_implINS0_14default_configELb1EPKsPsPKlPlN2at6native12_GLOBAL__N_18offset_tEEE10hipError_tPvRmT1_PNSt15iterator_traitsISY_E10value_typeET2_T3_PNSZ_IS14_E10value_typeET4_jRbjT5_S1A_jjP12ihipStream_tbEUljE_EEESV_SW_SX_S14_S18_S1A_T6_T7_T9_mT8_S1C_bDpT10_ENKUlT_T0_E_clISt17integral_constantIbLb1EES1P_EEDaS1K_S1L_EUlS1K_E_NS1_11comp_targetILNS1_3genE3ELNS1_11target_archE908ELNS1_3gpuE7ELNS1_3repE0EEENS1_30default_config_static_selectorELNS0_4arch9wavefront6targetE0EEEvSY_.uses_vcc, 0
	.set _ZN7rocprim17ROCPRIM_400000_NS6detail17trampoline_kernelINS0_13select_configILj256ELj13ELNS0_17block_load_methodE3ELS4_3ELS4_3ELNS0_20block_scan_algorithmE0ELj4294967295EEENS1_25partition_config_selectorILNS1_17partition_subalgoE3EjNS0_10empty_typeEbEEZZNS1_14partition_implILS8_3ELb0ES6_jNS0_17counting_iteratorIjlEEPS9_SE_NS0_5tupleIJPjSE_EEENSF_IJSE_SE_EEES9_SG_JZNS1_25segmented_radix_sort_implINS0_14default_configELb1EPKsPsPKlPlN2at6native12_GLOBAL__N_18offset_tEEE10hipError_tPvRmT1_PNSt15iterator_traitsISY_E10value_typeET2_T3_PNSZ_IS14_E10value_typeET4_jRbjT5_S1A_jjP12ihipStream_tbEUljE_EEESV_SW_SX_S14_S18_S1A_T6_T7_T9_mT8_S1C_bDpT10_ENKUlT_T0_E_clISt17integral_constantIbLb1EES1P_EEDaS1K_S1L_EUlS1K_E_NS1_11comp_targetILNS1_3genE3ELNS1_11target_archE908ELNS1_3gpuE7ELNS1_3repE0EEENS1_30default_config_static_selectorELNS0_4arch9wavefront6targetE0EEEvSY_.uses_flat_scratch, 0
	.set _ZN7rocprim17ROCPRIM_400000_NS6detail17trampoline_kernelINS0_13select_configILj256ELj13ELNS0_17block_load_methodE3ELS4_3ELS4_3ELNS0_20block_scan_algorithmE0ELj4294967295EEENS1_25partition_config_selectorILNS1_17partition_subalgoE3EjNS0_10empty_typeEbEEZZNS1_14partition_implILS8_3ELb0ES6_jNS0_17counting_iteratorIjlEEPS9_SE_NS0_5tupleIJPjSE_EEENSF_IJSE_SE_EEES9_SG_JZNS1_25segmented_radix_sort_implINS0_14default_configELb1EPKsPsPKlPlN2at6native12_GLOBAL__N_18offset_tEEE10hipError_tPvRmT1_PNSt15iterator_traitsISY_E10value_typeET2_T3_PNSZ_IS14_E10value_typeET4_jRbjT5_S1A_jjP12ihipStream_tbEUljE_EEESV_SW_SX_S14_S18_S1A_T6_T7_T9_mT8_S1C_bDpT10_ENKUlT_T0_E_clISt17integral_constantIbLb1EES1P_EEDaS1K_S1L_EUlS1K_E_NS1_11comp_targetILNS1_3genE3ELNS1_11target_archE908ELNS1_3gpuE7ELNS1_3repE0EEENS1_30default_config_static_selectorELNS0_4arch9wavefront6targetE0EEEvSY_.has_dyn_sized_stack, 0
	.set _ZN7rocprim17ROCPRIM_400000_NS6detail17trampoline_kernelINS0_13select_configILj256ELj13ELNS0_17block_load_methodE3ELS4_3ELS4_3ELNS0_20block_scan_algorithmE0ELj4294967295EEENS1_25partition_config_selectorILNS1_17partition_subalgoE3EjNS0_10empty_typeEbEEZZNS1_14partition_implILS8_3ELb0ES6_jNS0_17counting_iteratorIjlEEPS9_SE_NS0_5tupleIJPjSE_EEENSF_IJSE_SE_EEES9_SG_JZNS1_25segmented_radix_sort_implINS0_14default_configELb1EPKsPsPKlPlN2at6native12_GLOBAL__N_18offset_tEEE10hipError_tPvRmT1_PNSt15iterator_traitsISY_E10value_typeET2_T3_PNSZ_IS14_E10value_typeET4_jRbjT5_S1A_jjP12ihipStream_tbEUljE_EEESV_SW_SX_S14_S18_S1A_T6_T7_T9_mT8_S1C_bDpT10_ENKUlT_T0_E_clISt17integral_constantIbLb1EES1P_EEDaS1K_S1L_EUlS1K_E_NS1_11comp_targetILNS1_3genE3ELNS1_11target_archE908ELNS1_3gpuE7ELNS1_3repE0EEENS1_30default_config_static_selectorELNS0_4arch9wavefront6targetE0EEEvSY_.has_recursion, 0
	.set _ZN7rocprim17ROCPRIM_400000_NS6detail17trampoline_kernelINS0_13select_configILj256ELj13ELNS0_17block_load_methodE3ELS4_3ELS4_3ELNS0_20block_scan_algorithmE0ELj4294967295EEENS1_25partition_config_selectorILNS1_17partition_subalgoE3EjNS0_10empty_typeEbEEZZNS1_14partition_implILS8_3ELb0ES6_jNS0_17counting_iteratorIjlEEPS9_SE_NS0_5tupleIJPjSE_EEENSF_IJSE_SE_EEES9_SG_JZNS1_25segmented_radix_sort_implINS0_14default_configELb1EPKsPsPKlPlN2at6native12_GLOBAL__N_18offset_tEEE10hipError_tPvRmT1_PNSt15iterator_traitsISY_E10value_typeET2_T3_PNSZ_IS14_E10value_typeET4_jRbjT5_S1A_jjP12ihipStream_tbEUljE_EEESV_SW_SX_S14_S18_S1A_T6_T7_T9_mT8_S1C_bDpT10_ENKUlT_T0_E_clISt17integral_constantIbLb1EES1P_EEDaS1K_S1L_EUlS1K_E_NS1_11comp_targetILNS1_3genE3ELNS1_11target_archE908ELNS1_3gpuE7ELNS1_3repE0EEENS1_30default_config_static_selectorELNS0_4arch9wavefront6targetE0EEEvSY_.has_indirect_call, 0
	.section	.AMDGPU.csdata,"",@progbits
; Kernel info:
; codeLenInByte = 0
; TotalNumSgprs: 0
; NumVgprs: 0
; ScratchSize: 0
; MemoryBound: 0
; FloatMode: 240
; IeeeMode: 1
; LDSByteSize: 0 bytes/workgroup (compile time only)
; SGPRBlocks: 0
; VGPRBlocks: 0
; NumSGPRsForWavesPerEU: 1
; NumVGPRsForWavesPerEU: 1
; Occupancy: 16
; WaveLimiterHint : 0
; COMPUTE_PGM_RSRC2:SCRATCH_EN: 0
; COMPUTE_PGM_RSRC2:USER_SGPR: 6
; COMPUTE_PGM_RSRC2:TRAP_HANDLER: 0
; COMPUTE_PGM_RSRC2:TGID_X_EN: 1
; COMPUTE_PGM_RSRC2:TGID_Y_EN: 0
; COMPUTE_PGM_RSRC2:TGID_Z_EN: 0
; COMPUTE_PGM_RSRC2:TIDIG_COMP_CNT: 0
	.section	.text._ZN7rocprim17ROCPRIM_400000_NS6detail17trampoline_kernelINS0_13select_configILj256ELj13ELNS0_17block_load_methodE3ELS4_3ELS4_3ELNS0_20block_scan_algorithmE0ELj4294967295EEENS1_25partition_config_selectorILNS1_17partition_subalgoE3EjNS0_10empty_typeEbEEZZNS1_14partition_implILS8_3ELb0ES6_jNS0_17counting_iteratorIjlEEPS9_SE_NS0_5tupleIJPjSE_EEENSF_IJSE_SE_EEES9_SG_JZNS1_25segmented_radix_sort_implINS0_14default_configELb1EPKsPsPKlPlN2at6native12_GLOBAL__N_18offset_tEEE10hipError_tPvRmT1_PNSt15iterator_traitsISY_E10value_typeET2_T3_PNSZ_IS14_E10value_typeET4_jRbjT5_S1A_jjP12ihipStream_tbEUljE_EEESV_SW_SX_S14_S18_S1A_T6_T7_T9_mT8_S1C_bDpT10_ENKUlT_T0_E_clISt17integral_constantIbLb1EES1P_EEDaS1K_S1L_EUlS1K_E_NS1_11comp_targetILNS1_3genE2ELNS1_11target_archE906ELNS1_3gpuE6ELNS1_3repE0EEENS1_30default_config_static_selectorELNS0_4arch9wavefront6targetE0EEEvSY_,"axG",@progbits,_ZN7rocprim17ROCPRIM_400000_NS6detail17trampoline_kernelINS0_13select_configILj256ELj13ELNS0_17block_load_methodE3ELS4_3ELS4_3ELNS0_20block_scan_algorithmE0ELj4294967295EEENS1_25partition_config_selectorILNS1_17partition_subalgoE3EjNS0_10empty_typeEbEEZZNS1_14partition_implILS8_3ELb0ES6_jNS0_17counting_iteratorIjlEEPS9_SE_NS0_5tupleIJPjSE_EEENSF_IJSE_SE_EEES9_SG_JZNS1_25segmented_radix_sort_implINS0_14default_configELb1EPKsPsPKlPlN2at6native12_GLOBAL__N_18offset_tEEE10hipError_tPvRmT1_PNSt15iterator_traitsISY_E10value_typeET2_T3_PNSZ_IS14_E10value_typeET4_jRbjT5_S1A_jjP12ihipStream_tbEUljE_EEESV_SW_SX_S14_S18_S1A_T6_T7_T9_mT8_S1C_bDpT10_ENKUlT_T0_E_clISt17integral_constantIbLb1EES1P_EEDaS1K_S1L_EUlS1K_E_NS1_11comp_targetILNS1_3genE2ELNS1_11target_archE906ELNS1_3gpuE6ELNS1_3repE0EEENS1_30default_config_static_selectorELNS0_4arch9wavefront6targetE0EEEvSY_,comdat
	.globl	_ZN7rocprim17ROCPRIM_400000_NS6detail17trampoline_kernelINS0_13select_configILj256ELj13ELNS0_17block_load_methodE3ELS4_3ELS4_3ELNS0_20block_scan_algorithmE0ELj4294967295EEENS1_25partition_config_selectorILNS1_17partition_subalgoE3EjNS0_10empty_typeEbEEZZNS1_14partition_implILS8_3ELb0ES6_jNS0_17counting_iteratorIjlEEPS9_SE_NS0_5tupleIJPjSE_EEENSF_IJSE_SE_EEES9_SG_JZNS1_25segmented_radix_sort_implINS0_14default_configELb1EPKsPsPKlPlN2at6native12_GLOBAL__N_18offset_tEEE10hipError_tPvRmT1_PNSt15iterator_traitsISY_E10value_typeET2_T3_PNSZ_IS14_E10value_typeET4_jRbjT5_S1A_jjP12ihipStream_tbEUljE_EEESV_SW_SX_S14_S18_S1A_T6_T7_T9_mT8_S1C_bDpT10_ENKUlT_T0_E_clISt17integral_constantIbLb1EES1P_EEDaS1K_S1L_EUlS1K_E_NS1_11comp_targetILNS1_3genE2ELNS1_11target_archE906ELNS1_3gpuE6ELNS1_3repE0EEENS1_30default_config_static_selectorELNS0_4arch9wavefront6targetE0EEEvSY_ ; -- Begin function _ZN7rocprim17ROCPRIM_400000_NS6detail17trampoline_kernelINS0_13select_configILj256ELj13ELNS0_17block_load_methodE3ELS4_3ELS4_3ELNS0_20block_scan_algorithmE0ELj4294967295EEENS1_25partition_config_selectorILNS1_17partition_subalgoE3EjNS0_10empty_typeEbEEZZNS1_14partition_implILS8_3ELb0ES6_jNS0_17counting_iteratorIjlEEPS9_SE_NS0_5tupleIJPjSE_EEENSF_IJSE_SE_EEES9_SG_JZNS1_25segmented_radix_sort_implINS0_14default_configELb1EPKsPsPKlPlN2at6native12_GLOBAL__N_18offset_tEEE10hipError_tPvRmT1_PNSt15iterator_traitsISY_E10value_typeET2_T3_PNSZ_IS14_E10value_typeET4_jRbjT5_S1A_jjP12ihipStream_tbEUljE_EEESV_SW_SX_S14_S18_S1A_T6_T7_T9_mT8_S1C_bDpT10_ENKUlT_T0_E_clISt17integral_constantIbLb1EES1P_EEDaS1K_S1L_EUlS1K_E_NS1_11comp_targetILNS1_3genE2ELNS1_11target_archE906ELNS1_3gpuE6ELNS1_3repE0EEENS1_30default_config_static_selectorELNS0_4arch9wavefront6targetE0EEEvSY_
	.p2align	8
	.type	_ZN7rocprim17ROCPRIM_400000_NS6detail17trampoline_kernelINS0_13select_configILj256ELj13ELNS0_17block_load_methodE3ELS4_3ELS4_3ELNS0_20block_scan_algorithmE0ELj4294967295EEENS1_25partition_config_selectorILNS1_17partition_subalgoE3EjNS0_10empty_typeEbEEZZNS1_14partition_implILS8_3ELb0ES6_jNS0_17counting_iteratorIjlEEPS9_SE_NS0_5tupleIJPjSE_EEENSF_IJSE_SE_EEES9_SG_JZNS1_25segmented_radix_sort_implINS0_14default_configELb1EPKsPsPKlPlN2at6native12_GLOBAL__N_18offset_tEEE10hipError_tPvRmT1_PNSt15iterator_traitsISY_E10value_typeET2_T3_PNSZ_IS14_E10value_typeET4_jRbjT5_S1A_jjP12ihipStream_tbEUljE_EEESV_SW_SX_S14_S18_S1A_T6_T7_T9_mT8_S1C_bDpT10_ENKUlT_T0_E_clISt17integral_constantIbLb1EES1P_EEDaS1K_S1L_EUlS1K_E_NS1_11comp_targetILNS1_3genE2ELNS1_11target_archE906ELNS1_3gpuE6ELNS1_3repE0EEENS1_30default_config_static_selectorELNS0_4arch9wavefront6targetE0EEEvSY_,@function
_ZN7rocprim17ROCPRIM_400000_NS6detail17trampoline_kernelINS0_13select_configILj256ELj13ELNS0_17block_load_methodE3ELS4_3ELS4_3ELNS0_20block_scan_algorithmE0ELj4294967295EEENS1_25partition_config_selectorILNS1_17partition_subalgoE3EjNS0_10empty_typeEbEEZZNS1_14partition_implILS8_3ELb0ES6_jNS0_17counting_iteratorIjlEEPS9_SE_NS0_5tupleIJPjSE_EEENSF_IJSE_SE_EEES9_SG_JZNS1_25segmented_radix_sort_implINS0_14default_configELb1EPKsPsPKlPlN2at6native12_GLOBAL__N_18offset_tEEE10hipError_tPvRmT1_PNSt15iterator_traitsISY_E10value_typeET2_T3_PNSZ_IS14_E10value_typeET4_jRbjT5_S1A_jjP12ihipStream_tbEUljE_EEESV_SW_SX_S14_S18_S1A_T6_T7_T9_mT8_S1C_bDpT10_ENKUlT_T0_E_clISt17integral_constantIbLb1EES1P_EEDaS1K_S1L_EUlS1K_E_NS1_11comp_targetILNS1_3genE2ELNS1_11target_archE906ELNS1_3gpuE6ELNS1_3repE0EEENS1_30default_config_static_selectorELNS0_4arch9wavefront6targetE0EEEvSY_: ; @_ZN7rocprim17ROCPRIM_400000_NS6detail17trampoline_kernelINS0_13select_configILj256ELj13ELNS0_17block_load_methodE3ELS4_3ELS4_3ELNS0_20block_scan_algorithmE0ELj4294967295EEENS1_25partition_config_selectorILNS1_17partition_subalgoE3EjNS0_10empty_typeEbEEZZNS1_14partition_implILS8_3ELb0ES6_jNS0_17counting_iteratorIjlEEPS9_SE_NS0_5tupleIJPjSE_EEENSF_IJSE_SE_EEES9_SG_JZNS1_25segmented_radix_sort_implINS0_14default_configELb1EPKsPsPKlPlN2at6native12_GLOBAL__N_18offset_tEEE10hipError_tPvRmT1_PNSt15iterator_traitsISY_E10value_typeET2_T3_PNSZ_IS14_E10value_typeET4_jRbjT5_S1A_jjP12ihipStream_tbEUljE_EEESV_SW_SX_S14_S18_S1A_T6_T7_T9_mT8_S1C_bDpT10_ENKUlT_T0_E_clISt17integral_constantIbLb1EES1P_EEDaS1K_S1L_EUlS1K_E_NS1_11comp_targetILNS1_3genE2ELNS1_11target_archE906ELNS1_3gpuE6ELNS1_3repE0EEENS1_30default_config_static_selectorELNS0_4arch9wavefront6targetE0EEEvSY_
; %bb.0:
	.section	.rodata,"a",@progbits
	.p2align	6, 0x0
	.amdhsa_kernel _ZN7rocprim17ROCPRIM_400000_NS6detail17trampoline_kernelINS0_13select_configILj256ELj13ELNS0_17block_load_methodE3ELS4_3ELS4_3ELNS0_20block_scan_algorithmE0ELj4294967295EEENS1_25partition_config_selectorILNS1_17partition_subalgoE3EjNS0_10empty_typeEbEEZZNS1_14partition_implILS8_3ELb0ES6_jNS0_17counting_iteratorIjlEEPS9_SE_NS0_5tupleIJPjSE_EEENSF_IJSE_SE_EEES9_SG_JZNS1_25segmented_radix_sort_implINS0_14default_configELb1EPKsPsPKlPlN2at6native12_GLOBAL__N_18offset_tEEE10hipError_tPvRmT1_PNSt15iterator_traitsISY_E10value_typeET2_T3_PNSZ_IS14_E10value_typeET4_jRbjT5_S1A_jjP12ihipStream_tbEUljE_EEESV_SW_SX_S14_S18_S1A_T6_T7_T9_mT8_S1C_bDpT10_ENKUlT_T0_E_clISt17integral_constantIbLb1EES1P_EEDaS1K_S1L_EUlS1K_E_NS1_11comp_targetILNS1_3genE2ELNS1_11target_archE906ELNS1_3gpuE6ELNS1_3repE0EEENS1_30default_config_static_selectorELNS0_4arch9wavefront6targetE0EEEvSY_
		.amdhsa_group_segment_fixed_size 0
		.amdhsa_private_segment_fixed_size 0
		.amdhsa_kernarg_size 152
		.amdhsa_user_sgpr_count 6
		.amdhsa_user_sgpr_private_segment_buffer 1
		.amdhsa_user_sgpr_dispatch_ptr 0
		.amdhsa_user_sgpr_queue_ptr 0
		.amdhsa_user_sgpr_kernarg_segment_ptr 1
		.amdhsa_user_sgpr_dispatch_id 0
		.amdhsa_user_sgpr_flat_scratch_init 0
		.amdhsa_user_sgpr_private_segment_size 0
		.amdhsa_wavefront_size32 1
		.amdhsa_uses_dynamic_stack 0
		.amdhsa_system_sgpr_private_segment_wavefront_offset 0
		.amdhsa_system_sgpr_workgroup_id_x 1
		.amdhsa_system_sgpr_workgroup_id_y 0
		.amdhsa_system_sgpr_workgroup_id_z 0
		.amdhsa_system_sgpr_workgroup_info 0
		.amdhsa_system_vgpr_workitem_id 0
		.amdhsa_next_free_vgpr 1
		.amdhsa_next_free_sgpr 1
		.amdhsa_reserve_vcc 0
		.amdhsa_reserve_flat_scratch 0
		.amdhsa_float_round_mode_32 0
		.amdhsa_float_round_mode_16_64 0
		.amdhsa_float_denorm_mode_32 3
		.amdhsa_float_denorm_mode_16_64 3
		.amdhsa_dx10_clamp 1
		.amdhsa_ieee_mode 1
		.amdhsa_fp16_overflow 0
		.amdhsa_workgroup_processor_mode 1
		.amdhsa_memory_ordered 1
		.amdhsa_forward_progress 1
		.amdhsa_shared_vgpr_count 0
		.amdhsa_exception_fp_ieee_invalid_op 0
		.amdhsa_exception_fp_denorm_src 0
		.amdhsa_exception_fp_ieee_div_zero 0
		.amdhsa_exception_fp_ieee_overflow 0
		.amdhsa_exception_fp_ieee_underflow 0
		.amdhsa_exception_fp_ieee_inexact 0
		.amdhsa_exception_int_div_zero 0
	.end_amdhsa_kernel
	.section	.text._ZN7rocprim17ROCPRIM_400000_NS6detail17trampoline_kernelINS0_13select_configILj256ELj13ELNS0_17block_load_methodE3ELS4_3ELS4_3ELNS0_20block_scan_algorithmE0ELj4294967295EEENS1_25partition_config_selectorILNS1_17partition_subalgoE3EjNS0_10empty_typeEbEEZZNS1_14partition_implILS8_3ELb0ES6_jNS0_17counting_iteratorIjlEEPS9_SE_NS0_5tupleIJPjSE_EEENSF_IJSE_SE_EEES9_SG_JZNS1_25segmented_radix_sort_implINS0_14default_configELb1EPKsPsPKlPlN2at6native12_GLOBAL__N_18offset_tEEE10hipError_tPvRmT1_PNSt15iterator_traitsISY_E10value_typeET2_T3_PNSZ_IS14_E10value_typeET4_jRbjT5_S1A_jjP12ihipStream_tbEUljE_EEESV_SW_SX_S14_S18_S1A_T6_T7_T9_mT8_S1C_bDpT10_ENKUlT_T0_E_clISt17integral_constantIbLb1EES1P_EEDaS1K_S1L_EUlS1K_E_NS1_11comp_targetILNS1_3genE2ELNS1_11target_archE906ELNS1_3gpuE6ELNS1_3repE0EEENS1_30default_config_static_selectorELNS0_4arch9wavefront6targetE0EEEvSY_,"axG",@progbits,_ZN7rocprim17ROCPRIM_400000_NS6detail17trampoline_kernelINS0_13select_configILj256ELj13ELNS0_17block_load_methodE3ELS4_3ELS4_3ELNS0_20block_scan_algorithmE0ELj4294967295EEENS1_25partition_config_selectorILNS1_17partition_subalgoE3EjNS0_10empty_typeEbEEZZNS1_14partition_implILS8_3ELb0ES6_jNS0_17counting_iteratorIjlEEPS9_SE_NS0_5tupleIJPjSE_EEENSF_IJSE_SE_EEES9_SG_JZNS1_25segmented_radix_sort_implINS0_14default_configELb1EPKsPsPKlPlN2at6native12_GLOBAL__N_18offset_tEEE10hipError_tPvRmT1_PNSt15iterator_traitsISY_E10value_typeET2_T3_PNSZ_IS14_E10value_typeET4_jRbjT5_S1A_jjP12ihipStream_tbEUljE_EEESV_SW_SX_S14_S18_S1A_T6_T7_T9_mT8_S1C_bDpT10_ENKUlT_T0_E_clISt17integral_constantIbLb1EES1P_EEDaS1K_S1L_EUlS1K_E_NS1_11comp_targetILNS1_3genE2ELNS1_11target_archE906ELNS1_3gpuE6ELNS1_3repE0EEENS1_30default_config_static_selectorELNS0_4arch9wavefront6targetE0EEEvSY_,comdat
.Lfunc_end885:
	.size	_ZN7rocprim17ROCPRIM_400000_NS6detail17trampoline_kernelINS0_13select_configILj256ELj13ELNS0_17block_load_methodE3ELS4_3ELS4_3ELNS0_20block_scan_algorithmE0ELj4294967295EEENS1_25partition_config_selectorILNS1_17partition_subalgoE3EjNS0_10empty_typeEbEEZZNS1_14partition_implILS8_3ELb0ES6_jNS0_17counting_iteratorIjlEEPS9_SE_NS0_5tupleIJPjSE_EEENSF_IJSE_SE_EEES9_SG_JZNS1_25segmented_radix_sort_implINS0_14default_configELb1EPKsPsPKlPlN2at6native12_GLOBAL__N_18offset_tEEE10hipError_tPvRmT1_PNSt15iterator_traitsISY_E10value_typeET2_T3_PNSZ_IS14_E10value_typeET4_jRbjT5_S1A_jjP12ihipStream_tbEUljE_EEESV_SW_SX_S14_S18_S1A_T6_T7_T9_mT8_S1C_bDpT10_ENKUlT_T0_E_clISt17integral_constantIbLb1EES1P_EEDaS1K_S1L_EUlS1K_E_NS1_11comp_targetILNS1_3genE2ELNS1_11target_archE906ELNS1_3gpuE6ELNS1_3repE0EEENS1_30default_config_static_selectorELNS0_4arch9wavefront6targetE0EEEvSY_, .Lfunc_end885-_ZN7rocprim17ROCPRIM_400000_NS6detail17trampoline_kernelINS0_13select_configILj256ELj13ELNS0_17block_load_methodE3ELS4_3ELS4_3ELNS0_20block_scan_algorithmE0ELj4294967295EEENS1_25partition_config_selectorILNS1_17partition_subalgoE3EjNS0_10empty_typeEbEEZZNS1_14partition_implILS8_3ELb0ES6_jNS0_17counting_iteratorIjlEEPS9_SE_NS0_5tupleIJPjSE_EEENSF_IJSE_SE_EEES9_SG_JZNS1_25segmented_radix_sort_implINS0_14default_configELb1EPKsPsPKlPlN2at6native12_GLOBAL__N_18offset_tEEE10hipError_tPvRmT1_PNSt15iterator_traitsISY_E10value_typeET2_T3_PNSZ_IS14_E10value_typeET4_jRbjT5_S1A_jjP12ihipStream_tbEUljE_EEESV_SW_SX_S14_S18_S1A_T6_T7_T9_mT8_S1C_bDpT10_ENKUlT_T0_E_clISt17integral_constantIbLb1EES1P_EEDaS1K_S1L_EUlS1K_E_NS1_11comp_targetILNS1_3genE2ELNS1_11target_archE906ELNS1_3gpuE6ELNS1_3repE0EEENS1_30default_config_static_selectorELNS0_4arch9wavefront6targetE0EEEvSY_
                                        ; -- End function
	.set _ZN7rocprim17ROCPRIM_400000_NS6detail17trampoline_kernelINS0_13select_configILj256ELj13ELNS0_17block_load_methodE3ELS4_3ELS4_3ELNS0_20block_scan_algorithmE0ELj4294967295EEENS1_25partition_config_selectorILNS1_17partition_subalgoE3EjNS0_10empty_typeEbEEZZNS1_14partition_implILS8_3ELb0ES6_jNS0_17counting_iteratorIjlEEPS9_SE_NS0_5tupleIJPjSE_EEENSF_IJSE_SE_EEES9_SG_JZNS1_25segmented_radix_sort_implINS0_14default_configELb1EPKsPsPKlPlN2at6native12_GLOBAL__N_18offset_tEEE10hipError_tPvRmT1_PNSt15iterator_traitsISY_E10value_typeET2_T3_PNSZ_IS14_E10value_typeET4_jRbjT5_S1A_jjP12ihipStream_tbEUljE_EEESV_SW_SX_S14_S18_S1A_T6_T7_T9_mT8_S1C_bDpT10_ENKUlT_T0_E_clISt17integral_constantIbLb1EES1P_EEDaS1K_S1L_EUlS1K_E_NS1_11comp_targetILNS1_3genE2ELNS1_11target_archE906ELNS1_3gpuE6ELNS1_3repE0EEENS1_30default_config_static_selectorELNS0_4arch9wavefront6targetE0EEEvSY_.num_vgpr, 0
	.set _ZN7rocprim17ROCPRIM_400000_NS6detail17trampoline_kernelINS0_13select_configILj256ELj13ELNS0_17block_load_methodE3ELS4_3ELS4_3ELNS0_20block_scan_algorithmE0ELj4294967295EEENS1_25partition_config_selectorILNS1_17partition_subalgoE3EjNS0_10empty_typeEbEEZZNS1_14partition_implILS8_3ELb0ES6_jNS0_17counting_iteratorIjlEEPS9_SE_NS0_5tupleIJPjSE_EEENSF_IJSE_SE_EEES9_SG_JZNS1_25segmented_radix_sort_implINS0_14default_configELb1EPKsPsPKlPlN2at6native12_GLOBAL__N_18offset_tEEE10hipError_tPvRmT1_PNSt15iterator_traitsISY_E10value_typeET2_T3_PNSZ_IS14_E10value_typeET4_jRbjT5_S1A_jjP12ihipStream_tbEUljE_EEESV_SW_SX_S14_S18_S1A_T6_T7_T9_mT8_S1C_bDpT10_ENKUlT_T0_E_clISt17integral_constantIbLb1EES1P_EEDaS1K_S1L_EUlS1K_E_NS1_11comp_targetILNS1_3genE2ELNS1_11target_archE906ELNS1_3gpuE6ELNS1_3repE0EEENS1_30default_config_static_selectorELNS0_4arch9wavefront6targetE0EEEvSY_.num_agpr, 0
	.set _ZN7rocprim17ROCPRIM_400000_NS6detail17trampoline_kernelINS0_13select_configILj256ELj13ELNS0_17block_load_methodE3ELS4_3ELS4_3ELNS0_20block_scan_algorithmE0ELj4294967295EEENS1_25partition_config_selectorILNS1_17partition_subalgoE3EjNS0_10empty_typeEbEEZZNS1_14partition_implILS8_3ELb0ES6_jNS0_17counting_iteratorIjlEEPS9_SE_NS0_5tupleIJPjSE_EEENSF_IJSE_SE_EEES9_SG_JZNS1_25segmented_radix_sort_implINS0_14default_configELb1EPKsPsPKlPlN2at6native12_GLOBAL__N_18offset_tEEE10hipError_tPvRmT1_PNSt15iterator_traitsISY_E10value_typeET2_T3_PNSZ_IS14_E10value_typeET4_jRbjT5_S1A_jjP12ihipStream_tbEUljE_EEESV_SW_SX_S14_S18_S1A_T6_T7_T9_mT8_S1C_bDpT10_ENKUlT_T0_E_clISt17integral_constantIbLb1EES1P_EEDaS1K_S1L_EUlS1K_E_NS1_11comp_targetILNS1_3genE2ELNS1_11target_archE906ELNS1_3gpuE6ELNS1_3repE0EEENS1_30default_config_static_selectorELNS0_4arch9wavefront6targetE0EEEvSY_.numbered_sgpr, 0
	.set _ZN7rocprim17ROCPRIM_400000_NS6detail17trampoline_kernelINS0_13select_configILj256ELj13ELNS0_17block_load_methodE3ELS4_3ELS4_3ELNS0_20block_scan_algorithmE0ELj4294967295EEENS1_25partition_config_selectorILNS1_17partition_subalgoE3EjNS0_10empty_typeEbEEZZNS1_14partition_implILS8_3ELb0ES6_jNS0_17counting_iteratorIjlEEPS9_SE_NS0_5tupleIJPjSE_EEENSF_IJSE_SE_EEES9_SG_JZNS1_25segmented_radix_sort_implINS0_14default_configELb1EPKsPsPKlPlN2at6native12_GLOBAL__N_18offset_tEEE10hipError_tPvRmT1_PNSt15iterator_traitsISY_E10value_typeET2_T3_PNSZ_IS14_E10value_typeET4_jRbjT5_S1A_jjP12ihipStream_tbEUljE_EEESV_SW_SX_S14_S18_S1A_T6_T7_T9_mT8_S1C_bDpT10_ENKUlT_T0_E_clISt17integral_constantIbLb1EES1P_EEDaS1K_S1L_EUlS1K_E_NS1_11comp_targetILNS1_3genE2ELNS1_11target_archE906ELNS1_3gpuE6ELNS1_3repE0EEENS1_30default_config_static_selectorELNS0_4arch9wavefront6targetE0EEEvSY_.num_named_barrier, 0
	.set _ZN7rocprim17ROCPRIM_400000_NS6detail17trampoline_kernelINS0_13select_configILj256ELj13ELNS0_17block_load_methodE3ELS4_3ELS4_3ELNS0_20block_scan_algorithmE0ELj4294967295EEENS1_25partition_config_selectorILNS1_17partition_subalgoE3EjNS0_10empty_typeEbEEZZNS1_14partition_implILS8_3ELb0ES6_jNS0_17counting_iteratorIjlEEPS9_SE_NS0_5tupleIJPjSE_EEENSF_IJSE_SE_EEES9_SG_JZNS1_25segmented_radix_sort_implINS0_14default_configELb1EPKsPsPKlPlN2at6native12_GLOBAL__N_18offset_tEEE10hipError_tPvRmT1_PNSt15iterator_traitsISY_E10value_typeET2_T3_PNSZ_IS14_E10value_typeET4_jRbjT5_S1A_jjP12ihipStream_tbEUljE_EEESV_SW_SX_S14_S18_S1A_T6_T7_T9_mT8_S1C_bDpT10_ENKUlT_T0_E_clISt17integral_constantIbLb1EES1P_EEDaS1K_S1L_EUlS1K_E_NS1_11comp_targetILNS1_3genE2ELNS1_11target_archE906ELNS1_3gpuE6ELNS1_3repE0EEENS1_30default_config_static_selectorELNS0_4arch9wavefront6targetE0EEEvSY_.private_seg_size, 0
	.set _ZN7rocprim17ROCPRIM_400000_NS6detail17trampoline_kernelINS0_13select_configILj256ELj13ELNS0_17block_load_methodE3ELS4_3ELS4_3ELNS0_20block_scan_algorithmE0ELj4294967295EEENS1_25partition_config_selectorILNS1_17partition_subalgoE3EjNS0_10empty_typeEbEEZZNS1_14partition_implILS8_3ELb0ES6_jNS0_17counting_iteratorIjlEEPS9_SE_NS0_5tupleIJPjSE_EEENSF_IJSE_SE_EEES9_SG_JZNS1_25segmented_radix_sort_implINS0_14default_configELb1EPKsPsPKlPlN2at6native12_GLOBAL__N_18offset_tEEE10hipError_tPvRmT1_PNSt15iterator_traitsISY_E10value_typeET2_T3_PNSZ_IS14_E10value_typeET4_jRbjT5_S1A_jjP12ihipStream_tbEUljE_EEESV_SW_SX_S14_S18_S1A_T6_T7_T9_mT8_S1C_bDpT10_ENKUlT_T0_E_clISt17integral_constantIbLb1EES1P_EEDaS1K_S1L_EUlS1K_E_NS1_11comp_targetILNS1_3genE2ELNS1_11target_archE906ELNS1_3gpuE6ELNS1_3repE0EEENS1_30default_config_static_selectorELNS0_4arch9wavefront6targetE0EEEvSY_.uses_vcc, 0
	.set _ZN7rocprim17ROCPRIM_400000_NS6detail17trampoline_kernelINS0_13select_configILj256ELj13ELNS0_17block_load_methodE3ELS4_3ELS4_3ELNS0_20block_scan_algorithmE0ELj4294967295EEENS1_25partition_config_selectorILNS1_17partition_subalgoE3EjNS0_10empty_typeEbEEZZNS1_14partition_implILS8_3ELb0ES6_jNS0_17counting_iteratorIjlEEPS9_SE_NS0_5tupleIJPjSE_EEENSF_IJSE_SE_EEES9_SG_JZNS1_25segmented_radix_sort_implINS0_14default_configELb1EPKsPsPKlPlN2at6native12_GLOBAL__N_18offset_tEEE10hipError_tPvRmT1_PNSt15iterator_traitsISY_E10value_typeET2_T3_PNSZ_IS14_E10value_typeET4_jRbjT5_S1A_jjP12ihipStream_tbEUljE_EEESV_SW_SX_S14_S18_S1A_T6_T7_T9_mT8_S1C_bDpT10_ENKUlT_T0_E_clISt17integral_constantIbLb1EES1P_EEDaS1K_S1L_EUlS1K_E_NS1_11comp_targetILNS1_3genE2ELNS1_11target_archE906ELNS1_3gpuE6ELNS1_3repE0EEENS1_30default_config_static_selectorELNS0_4arch9wavefront6targetE0EEEvSY_.uses_flat_scratch, 0
	.set _ZN7rocprim17ROCPRIM_400000_NS6detail17trampoline_kernelINS0_13select_configILj256ELj13ELNS0_17block_load_methodE3ELS4_3ELS4_3ELNS0_20block_scan_algorithmE0ELj4294967295EEENS1_25partition_config_selectorILNS1_17partition_subalgoE3EjNS0_10empty_typeEbEEZZNS1_14partition_implILS8_3ELb0ES6_jNS0_17counting_iteratorIjlEEPS9_SE_NS0_5tupleIJPjSE_EEENSF_IJSE_SE_EEES9_SG_JZNS1_25segmented_radix_sort_implINS0_14default_configELb1EPKsPsPKlPlN2at6native12_GLOBAL__N_18offset_tEEE10hipError_tPvRmT1_PNSt15iterator_traitsISY_E10value_typeET2_T3_PNSZ_IS14_E10value_typeET4_jRbjT5_S1A_jjP12ihipStream_tbEUljE_EEESV_SW_SX_S14_S18_S1A_T6_T7_T9_mT8_S1C_bDpT10_ENKUlT_T0_E_clISt17integral_constantIbLb1EES1P_EEDaS1K_S1L_EUlS1K_E_NS1_11comp_targetILNS1_3genE2ELNS1_11target_archE906ELNS1_3gpuE6ELNS1_3repE0EEENS1_30default_config_static_selectorELNS0_4arch9wavefront6targetE0EEEvSY_.has_dyn_sized_stack, 0
	.set _ZN7rocprim17ROCPRIM_400000_NS6detail17trampoline_kernelINS0_13select_configILj256ELj13ELNS0_17block_load_methodE3ELS4_3ELS4_3ELNS0_20block_scan_algorithmE0ELj4294967295EEENS1_25partition_config_selectorILNS1_17partition_subalgoE3EjNS0_10empty_typeEbEEZZNS1_14partition_implILS8_3ELb0ES6_jNS0_17counting_iteratorIjlEEPS9_SE_NS0_5tupleIJPjSE_EEENSF_IJSE_SE_EEES9_SG_JZNS1_25segmented_radix_sort_implINS0_14default_configELb1EPKsPsPKlPlN2at6native12_GLOBAL__N_18offset_tEEE10hipError_tPvRmT1_PNSt15iterator_traitsISY_E10value_typeET2_T3_PNSZ_IS14_E10value_typeET4_jRbjT5_S1A_jjP12ihipStream_tbEUljE_EEESV_SW_SX_S14_S18_S1A_T6_T7_T9_mT8_S1C_bDpT10_ENKUlT_T0_E_clISt17integral_constantIbLb1EES1P_EEDaS1K_S1L_EUlS1K_E_NS1_11comp_targetILNS1_3genE2ELNS1_11target_archE906ELNS1_3gpuE6ELNS1_3repE0EEENS1_30default_config_static_selectorELNS0_4arch9wavefront6targetE0EEEvSY_.has_recursion, 0
	.set _ZN7rocprim17ROCPRIM_400000_NS6detail17trampoline_kernelINS0_13select_configILj256ELj13ELNS0_17block_load_methodE3ELS4_3ELS4_3ELNS0_20block_scan_algorithmE0ELj4294967295EEENS1_25partition_config_selectorILNS1_17partition_subalgoE3EjNS0_10empty_typeEbEEZZNS1_14partition_implILS8_3ELb0ES6_jNS0_17counting_iteratorIjlEEPS9_SE_NS0_5tupleIJPjSE_EEENSF_IJSE_SE_EEES9_SG_JZNS1_25segmented_radix_sort_implINS0_14default_configELb1EPKsPsPKlPlN2at6native12_GLOBAL__N_18offset_tEEE10hipError_tPvRmT1_PNSt15iterator_traitsISY_E10value_typeET2_T3_PNSZ_IS14_E10value_typeET4_jRbjT5_S1A_jjP12ihipStream_tbEUljE_EEESV_SW_SX_S14_S18_S1A_T6_T7_T9_mT8_S1C_bDpT10_ENKUlT_T0_E_clISt17integral_constantIbLb1EES1P_EEDaS1K_S1L_EUlS1K_E_NS1_11comp_targetILNS1_3genE2ELNS1_11target_archE906ELNS1_3gpuE6ELNS1_3repE0EEENS1_30default_config_static_selectorELNS0_4arch9wavefront6targetE0EEEvSY_.has_indirect_call, 0
	.section	.AMDGPU.csdata,"",@progbits
; Kernel info:
; codeLenInByte = 0
; TotalNumSgprs: 0
; NumVgprs: 0
; ScratchSize: 0
; MemoryBound: 0
; FloatMode: 240
; IeeeMode: 1
; LDSByteSize: 0 bytes/workgroup (compile time only)
; SGPRBlocks: 0
; VGPRBlocks: 0
; NumSGPRsForWavesPerEU: 1
; NumVGPRsForWavesPerEU: 1
; Occupancy: 16
; WaveLimiterHint : 0
; COMPUTE_PGM_RSRC2:SCRATCH_EN: 0
; COMPUTE_PGM_RSRC2:USER_SGPR: 6
; COMPUTE_PGM_RSRC2:TRAP_HANDLER: 0
; COMPUTE_PGM_RSRC2:TGID_X_EN: 1
; COMPUTE_PGM_RSRC2:TGID_Y_EN: 0
; COMPUTE_PGM_RSRC2:TGID_Z_EN: 0
; COMPUTE_PGM_RSRC2:TIDIG_COMP_CNT: 0
	.section	.text._ZN7rocprim17ROCPRIM_400000_NS6detail17trampoline_kernelINS0_13select_configILj256ELj13ELNS0_17block_load_methodE3ELS4_3ELS4_3ELNS0_20block_scan_algorithmE0ELj4294967295EEENS1_25partition_config_selectorILNS1_17partition_subalgoE3EjNS0_10empty_typeEbEEZZNS1_14partition_implILS8_3ELb0ES6_jNS0_17counting_iteratorIjlEEPS9_SE_NS0_5tupleIJPjSE_EEENSF_IJSE_SE_EEES9_SG_JZNS1_25segmented_radix_sort_implINS0_14default_configELb1EPKsPsPKlPlN2at6native12_GLOBAL__N_18offset_tEEE10hipError_tPvRmT1_PNSt15iterator_traitsISY_E10value_typeET2_T3_PNSZ_IS14_E10value_typeET4_jRbjT5_S1A_jjP12ihipStream_tbEUljE_EEESV_SW_SX_S14_S18_S1A_T6_T7_T9_mT8_S1C_bDpT10_ENKUlT_T0_E_clISt17integral_constantIbLb1EES1P_EEDaS1K_S1L_EUlS1K_E_NS1_11comp_targetILNS1_3genE10ELNS1_11target_archE1200ELNS1_3gpuE4ELNS1_3repE0EEENS1_30default_config_static_selectorELNS0_4arch9wavefront6targetE0EEEvSY_,"axG",@progbits,_ZN7rocprim17ROCPRIM_400000_NS6detail17trampoline_kernelINS0_13select_configILj256ELj13ELNS0_17block_load_methodE3ELS4_3ELS4_3ELNS0_20block_scan_algorithmE0ELj4294967295EEENS1_25partition_config_selectorILNS1_17partition_subalgoE3EjNS0_10empty_typeEbEEZZNS1_14partition_implILS8_3ELb0ES6_jNS0_17counting_iteratorIjlEEPS9_SE_NS0_5tupleIJPjSE_EEENSF_IJSE_SE_EEES9_SG_JZNS1_25segmented_radix_sort_implINS0_14default_configELb1EPKsPsPKlPlN2at6native12_GLOBAL__N_18offset_tEEE10hipError_tPvRmT1_PNSt15iterator_traitsISY_E10value_typeET2_T3_PNSZ_IS14_E10value_typeET4_jRbjT5_S1A_jjP12ihipStream_tbEUljE_EEESV_SW_SX_S14_S18_S1A_T6_T7_T9_mT8_S1C_bDpT10_ENKUlT_T0_E_clISt17integral_constantIbLb1EES1P_EEDaS1K_S1L_EUlS1K_E_NS1_11comp_targetILNS1_3genE10ELNS1_11target_archE1200ELNS1_3gpuE4ELNS1_3repE0EEENS1_30default_config_static_selectorELNS0_4arch9wavefront6targetE0EEEvSY_,comdat
	.globl	_ZN7rocprim17ROCPRIM_400000_NS6detail17trampoline_kernelINS0_13select_configILj256ELj13ELNS0_17block_load_methodE3ELS4_3ELS4_3ELNS0_20block_scan_algorithmE0ELj4294967295EEENS1_25partition_config_selectorILNS1_17partition_subalgoE3EjNS0_10empty_typeEbEEZZNS1_14partition_implILS8_3ELb0ES6_jNS0_17counting_iteratorIjlEEPS9_SE_NS0_5tupleIJPjSE_EEENSF_IJSE_SE_EEES9_SG_JZNS1_25segmented_radix_sort_implINS0_14default_configELb1EPKsPsPKlPlN2at6native12_GLOBAL__N_18offset_tEEE10hipError_tPvRmT1_PNSt15iterator_traitsISY_E10value_typeET2_T3_PNSZ_IS14_E10value_typeET4_jRbjT5_S1A_jjP12ihipStream_tbEUljE_EEESV_SW_SX_S14_S18_S1A_T6_T7_T9_mT8_S1C_bDpT10_ENKUlT_T0_E_clISt17integral_constantIbLb1EES1P_EEDaS1K_S1L_EUlS1K_E_NS1_11comp_targetILNS1_3genE10ELNS1_11target_archE1200ELNS1_3gpuE4ELNS1_3repE0EEENS1_30default_config_static_selectorELNS0_4arch9wavefront6targetE0EEEvSY_ ; -- Begin function _ZN7rocprim17ROCPRIM_400000_NS6detail17trampoline_kernelINS0_13select_configILj256ELj13ELNS0_17block_load_methodE3ELS4_3ELS4_3ELNS0_20block_scan_algorithmE0ELj4294967295EEENS1_25partition_config_selectorILNS1_17partition_subalgoE3EjNS0_10empty_typeEbEEZZNS1_14partition_implILS8_3ELb0ES6_jNS0_17counting_iteratorIjlEEPS9_SE_NS0_5tupleIJPjSE_EEENSF_IJSE_SE_EEES9_SG_JZNS1_25segmented_radix_sort_implINS0_14default_configELb1EPKsPsPKlPlN2at6native12_GLOBAL__N_18offset_tEEE10hipError_tPvRmT1_PNSt15iterator_traitsISY_E10value_typeET2_T3_PNSZ_IS14_E10value_typeET4_jRbjT5_S1A_jjP12ihipStream_tbEUljE_EEESV_SW_SX_S14_S18_S1A_T6_T7_T9_mT8_S1C_bDpT10_ENKUlT_T0_E_clISt17integral_constantIbLb1EES1P_EEDaS1K_S1L_EUlS1K_E_NS1_11comp_targetILNS1_3genE10ELNS1_11target_archE1200ELNS1_3gpuE4ELNS1_3repE0EEENS1_30default_config_static_selectorELNS0_4arch9wavefront6targetE0EEEvSY_
	.p2align	8
	.type	_ZN7rocprim17ROCPRIM_400000_NS6detail17trampoline_kernelINS0_13select_configILj256ELj13ELNS0_17block_load_methodE3ELS4_3ELS4_3ELNS0_20block_scan_algorithmE0ELj4294967295EEENS1_25partition_config_selectorILNS1_17partition_subalgoE3EjNS0_10empty_typeEbEEZZNS1_14partition_implILS8_3ELb0ES6_jNS0_17counting_iteratorIjlEEPS9_SE_NS0_5tupleIJPjSE_EEENSF_IJSE_SE_EEES9_SG_JZNS1_25segmented_radix_sort_implINS0_14default_configELb1EPKsPsPKlPlN2at6native12_GLOBAL__N_18offset_tEEE10hipError_tPvRmT1_PNSt15iterator_traitsISY_E10value_typeET2_T3_PNSZ_IS14_E10value_typeET4_jRbjT5_S1A_jjP12ihipStream_tbEUljE_EEESV_SW_SX_S14_S18_S1A_T6_T7_T9_mT8_S1C_bDpT10_ENKUlT_T0_E_clISt17integral_constantIbLb1EES1P_EEDaS1K_S1L_EUlS1K_E_NS1_11comp_targetILNS1_3genE10ELNS1_11target_archE1200ELNS1_3gpuE4ELNS1_3repE0EEENS1_30default_config_static_selectorELNS0_4arch9wavefront6targetE0EEEvSY_,@function
_ZN7rocprim17ROCPRIM_400000_NS6detail17trampoline_kernelINS0_13select_configILj256ELj13ELNS0_17block_load_methodE3ELS4_3ELS4_3ELNS0_20block_scan_algorithmE0ELj4294967295EEENS1_25partition_config_selectorILNS1_17partition_subalgoE3EjNS0_10empty_typeEbEEZZNS1_14partition_implILS8_3ELb0ES6_jNS0_17counting_iteratorIjlEEPS9_SE_NS0_5tupleIJPjSE_EEENSF_IJSE_SE_EEES9_SG_JZNS1_25segmented_radix_sort_implINS0_14default_configELb1EPKsPsPKlPlN2at6native12_GLOBAL__N_18offset_tEEE10hipError_tPvRmT1_PNSt15iterator_traitsISY_E10value_typeET2_T3_PNSZ_IS14_E10value_typeET4_jRbjT5_S1A_jjP12ihipStream_tbEUljE_EEESV_SW_SX_S14_S18_S1A_T6_T7_T9_mT8_S1C_bDpT10_ENKUlT_T0_E_clISt17integral_constantIbLb1EES1P_EEDaS1K_S1L_EUlS1K_E_NS1_11comp_targetILNS1_3genE10ELNS1_11target_archE1200ELNS1_3gpuE4ELNS1_3repE0EEENS1_30default_config_static_selectorELNS0_4arch9wavefront6targetE0EEEvSY_: ; @_ZN7rocprim17ROCPRIM_400000_NS6detail17trampoline_kernelINS0_13select_configILj256ELj13ELNS0_17block_load_methodE3ELS4_3ELS4_3ELNS0_20block_scan_algorithmE0ELj4294967295EEENS1_25partition_config_selectorILNS1_17partition_subalgoE3EjNS0_10empty_typeEbEEZZNS1_14partition_implILS8_3ELb0ES6_jNS0_17counting_iteratorIjlEEPS9_SE_NS0_5tupleIJPjSE_EEENSF_IJSE_SE_EEES9_SG_JZNS1_25segmented_radix_sort_implINS0_14default_configELb1EPKsPsPKlPlN2at6native12_GLOBAL__N_18offset_tEEE10hipError_tPvRmT1_PNSt15iterator_traitsISY_E10value_typeET2_T3_PNSZ_IS14_E10value_typeET4_jRbjT5_S1A_jjP12ihipStream_tbEUljE_EEESV_SW_SX_S14_S18_S1A_T6_T7_T9_mT8_S1C_bDpT10_ENKUlT_T0_E_clISt17integral_constantIbLb1EES1P_EEDaS1K_S1L_EUlS1K_E_NS1_11comp_targetILNS1_3genE10ELNS1_11target_archE1200ELNS1_3gpuE4ELNS1_3repE0EEENS1_30default_config_static_selectorELNS0_4arch9wavefront6targetE0EEEvSY_
; %bb.0:
	.section	.rodata,"a",@progbits
	.p2align	6, 0x0
	.amdhsa_kernel _ZN7rocprim17ROCPRIM_400000_NS6detail17trampoline_kernelINS0_13select_configILj256ELj13ELNS0_17block_load_methodE3ELS4_3ELS4_3ELNS0_20block_scan_algorithmE0ELj4294967295EEENS1_25partition_config_selectorILNS1_17partition_subalgoE3EjNS0_10empty_typeEbEEZZNS1_14partition_implILS8_3ELb0ES6_jNS0_17counting_iteratorIjlEEPS9_SE_NS0_5tupleIJPjSE_EEENSF_IJSE_SE_EEES9_SG_JZNS1_25segmented_radix_sort_implINS0_14default_configELb1EPKsPsPKlPlN2at6native12_GLOBAL__N_18offset_tEEE10hipError_tPvRmT1_PNSt15iterator_traitsISY_E10value_typeET2_T3_PNSZ_IS14_E10value_typeET4_jRbjT5_S1A_jjP12ihipStream_tbEUljE_EEESV_SW_SX_S14_S18_S1A_T6_T7_T9_mT8_S1C_bDpT10_ENKUlT_T0_E_clISt17integral_constantIbLb1EES1P_EEDaS1K_S1L_EUlS1K_E_NS1_11comp_targetILNS1_3genE10ELNS1_11target_archE1200ELNS1_3gpuE4ELNS1_3repE0EEENS1_30default_config_static_selectorELNS0_4arch9wavefront6targetE0EEEvSY_
		.amdhsa_group_segment_fixed_size 0
		.amdhsa_private_segment_fixed_size 0
		.amdhsa_kernarg_size 152
		.amdhsa_user_sgpr_count 6
		.amdhsa_user_sgpr_private_segment_buffer 1
		.amdhsa_user_sgpr_dispatch_ptr 0
		.amdhsa_user_sgpr_queue_ptr 0
		.amdhsa_user_sgpr_kernarg_segment_ptr 1
		.amdhsa_user_sgpr_dispatch_id 0
		.amdhsa_user_sgpr_flat_scratch_init 0
		.amdhsa_user_sgpr_private_segment_size 0
		.amdhsa_wavefront_size32 1
		.amdhsa_uses_dynamic_stack 0
		.amdhsa_system_sgpr_private_segment_wavefront_offset 0
		.amdhsa_system_sgpr_workgroup_id_x 1
		.amdhsa_system_sgpr_workgroup_id_y 0
		.amdhsa_system_sgpr_workgroup_id_z 0
		.amdhsa_system_sgpr_workgroup_info 0
		.amdhsa_system_vgpr_workitem_id 0
		.amdhsa_next_free_vgpr 1
		.amdhsa_next_free_sgpr 1
		.amdhsa_reserve_vcc 0
		.amdhsa_reserve_flat_scratch 0
		.amdhsa_float_round_mode_32 0
		.amdhsa_float_round_mode_16_64 0
		.amdhsa_float_denorm_mode_32 3
		.amdhsa_float_denorm_mode_16_64 3
		.amdhsa_dx10_clamp 1
		.amdhsa_ieee_mode 1
		.amdhsa_fp16_overflow 0
		.amdhsa_workgroup_processor_mode 1
		.amdhsa_memory_ordered 1
		.amdhsa_forward_progress 1
		.amdhsa_shared_vgpr_count 0
		.amdhsa_exception_fp_ieee_invalid_op 0
		.amdhsa_exception_fp_denorm_src 0
		.amdhsa_exception_fp_ieee_div_zero 0
		.amdhsa_exception_fp_ieee_overflow 0
		.amdhsa_exception_fp_ieee_underflow 0
		.amdhsa_exception_fp_ieee_inexact 0
		.amdhsa_exception_int_div_zero 0
	.end_amdhsa_kernel
	.section	.text._ZN7rocprim17ROCPRIM_400000_NS6detail17trampoline_kernelINS0_13select_configILj256ELj13ELNS0_17block_load_methodE3ELS4_3ELS4_3ELNS0_20block_scan_algorithmE0ELj4294967295EEENS1_25partition_config_selectorILNS1_17partition_subalgoE3EjNS0_10empty_typeEbEEZZNS1_14partition_implILS8_3ELb0ES6_jNS0_17counting_iteratorIjlEEPS9_SE_NS0_5tupleIJPjSE_EEENSF_IJSE_SE_EEES9_SG_JZNS1_25segmented_radix_sort_implINS0_14default_configELb1EPKsPsPKlPlN2at6native12_GLOBAL__N_18offset_tEEE10hipError_tPvRmT1_PNSt15iterator_traitsISY_E10value_typeET2_T3_PNSZ_IS14_E10value_typeET4_jRbjT5_S1A_jjP12ihipStream_tbEUljE_EEESV_SW_SX_S14_S18_S1A_T6_T7_T9_mT8_S1C_bDpT10_ENKUlT_T0_E_clISt17integral_constantIbLb1EES1P_EEDaS1K_S1L_EUlS1K_E_NS1_11comp_targetILNS1_3genE10ELNS1_11target_archE1200ELNS1_3gpuE4ELNS1_3repE0EEENS1_30default_config_static_selectorELNS0_4arch9wavefront6targetE0EEEvSY_,"axG",@progbits,_ZN7rocprim17ROCPRIM_400000_NS6detail17trampoline_kernelINS0_13select_configILj256ELj13ELNS0_17block_load_methodE3ELS4_3ELS4_3ELNS0_20block_scan_algorithmE0ELj4294967295EEENS1_25partition_config_selectorILNS1_17partition_subalgoE3EjNS0_10empty_typeEbEEZZNS1_14partition_implILS8_3ELb0ES6_jNS0_17counting_iteratorIjlEEPS9_SE_NS0_5tupleIJPjSE_EEENSF_IJSE_SE_EEES9_SG_JZNS1_25segmented_radix_sort_implINS0_14default_configELb1EPKsPsPKlPlN2at6native12_GLOBAL__N_18offset_tEEE10hipError_tPvRmT1_PNSt15iterator_traitsISY_E10value_typeET2_T3_PNSZ_IS14_E10value_typeET4_jRbjT5_S1A_jjP12ihipStream_tbEUljE_EEESV_SW_SX_S14_S18_S1A_T6_T7_T9_mT8_S1C_bDpT10_ENKUlT_T0_E_clISt17integral_constantIbLb1EES1P_EEDaS1K_S1L_EUlS1K_E_NS1_11comp_targetILNS1_3genE10ELNS1_11target_archE1200ELNS1_3gpuE4ELNS1_3repE0EEENS1_30default_config_static_selectorELNS0_4arch9wavefront6targetE0EEEvSY_,comdat
.Lfunc_end886:
	.size	_ZN7rocprim17ROCPRIM_400000_NS6detail17trampoline_kernelINS0_13select_configILj256ELj13ELNS0_17block_load_methodE3ELS4_3ELS4_3ELNS0_20block_scan_algorithmE0ELj4294967295EEENS1_25partition_config_selectorILNS1_17partition_subalgoE3EjNS0_10empty_typeEbEEZZNS1_14partition_implILS8_3ELb0ES6_jNS0_17counting_iteratorIjlEEPS9_SE_NS0_5tupleIJPjSE_EEENSF_IJSE_SE_EEES9_SG_JZNS1_25segmented_radix_sort_implINS0_14default_configELb1EPKsPsPKlPlN2at6native12_GLOBAL__N_18offset_tEEE10hipError_tPvRmT1_PNSt15iterator_traitsISY_E10value_typeET2_T3_PNSZ_IS14_E10value_typeET4_jRbjT5_S1A_jjP12ihipStream_tbEUljE_EEESV_SW_SX_S14_S18_S1A_T6_T7_T9_mT8_S1C_bDpT10_ENKUlT_T0_E_clISt17integral_constantIbLb1EES1P_EEDaS1K_S1L_EUlS1K_E_NS1_11comp_targetILNS1_3genE10ELNS1_11target_archE1200ELNS1_3gpuE4ELNS1_3repE0EEENS1_30default_config_static_selectorELNS0_4arch9wavefront6targetE0EEEvSY_, .Lfunc_end886-_ZN7rocprim17ROCPRIM_400000_NS6detail17trampoline_kernelINS0_13select_configILj256ELj13ELNS0_17block_load_methodE3ELS4_3ELS4_3ELNS0_20block_scan_algorithmE0ELj4294967295EEENS1_25partition_config_selectorILNS1_17partition_subalgoE3EjNS0_10empty_typeEbEEZZNS1_14partition_implILS8_3ELb0ES6_jNS0_17counting_iteratorIjlEEPS9_SE_NS0_5tupleIJPjSE_EEENSF_IJSE_SE_EEES9_SG_JZNS1_25segmented_radix_sort_implINS0_14default_configELb1EPKsPsPKlPlN2at6native12_GLOBAL__N_18offset_tEEE10hipError_tPvRmT1_PNSt15iterator_traitsISY_E10value_typeET2_T3_PNSZ_IS14_E10value_typeET4_jRbjT5_S1A_jjP12ihipStream_tbEUljE_EEESV_SW_SX_S14_S18_S1A_T6_T7_T9_mT8_S1C_bDpT10_ENKUlT_T0_E_clISt17integral_constantIbLb1EES1P_EEDaS1K_S1L_EUlS1K_E_NS1_11comp_targetILNS1_3genE10ELNS1_11target_archE1200ELNS1_3gpuE4ELNS1_3repE0EEENS1_30default_config_static_selectorELNS0_4arch9wavefront6targetE0EEEvSY_
                                        ; -- End function
	.set _ZN7rocprim17ROCPRIM_400000_NS6detail17trampoline_kernelINS0_13select_configILj256ELj13ELNS0_17block_load_methodE3ELS4_3ELS4_3ELNS0_20block_scan_algorithmE0ELj4294967295EEENS1_25partition_config_selectorILNS1_17partition_subalgoE3EjNS0_10empty_typeEbEEZZNS1_14partition_implILS8_3ELb0ES6_jNS0_17counting_iteratorIjlEEPS9_SE_NS0_5tupleIJPjSE_EEENSF_IJSE_SE_EEES9_SG_JZNS1_25segmented_radix_sort_implINS0_14default_configELb1EPKsPsPKlPlN2at6native12_GLOBAL__N_18offset_tEEE10hipError_tPvRmT1_PNSt15iterator_traitsISY_E10value_typeET2_T3_PNSZ_IS14_E10value_typeET4_jRbjT5_S1A_jjP12ihipStream_tbEUljE_EEESV_SW_SX_S14_S18_S1A_T6_T7_T9_mT8_S1C_bDpT10_ENKUlT_T0_E_clISt17integral_constantIbLb1EES1P_EEDaS1K_S1L_EUlS1K_E_NS1_11comp_targetILNS1_3genE10ELNS1_11target_archE1200ELNS1_3gpuE4ELNS1_3repE0EEENS1_30default_config_static_selectorELNS0_4arch9wavefront6targetE0EEEvSY_.num_vgpr, 0
	.set _ZN7rocprim17ROCPRIM_400000_NS6detail17trampoline_kernelINS0_13select_configILj256ELj13ELNS0_17block_load_methodE3ELS4_3ELS4_3ELNS0_20block_scan_algorithmE0ELj4294967295EEENS1_25partition_config_selectorILNS1_17partition_subalgoE3EjNS0_10empty_typeEbEEZZNS1_14partition_implILS8_3ELb0ES6_jNS0_17counting_iteratorIjlEEPS9_SE_NS0_5tupleIJPjSE_EEENSF_IJSE_SE_EEES9_SG_JZNS1_25segmented_radix_sort_implINS0_14default_configELb1EPKsPsPKlPlN2at6native12_GLOBAL__N_18offset_tEEE10hipError_tPvRmT1_PNSt15iterator_traitsISY_E10value_typeET2_T3_PNSZ_IS14_E10value_typeET4_jRbjT5_S1A_jjP12ihipStream_tbEUljE_EEESV_SW_SX_S14_S18_S1A_T6_T7_T9_mT8_S1C_bDpT10_ENKUlT_T0_E_clISt17integral_constantIbLb1EES1P_EEDaS1K_S1L_EUlS1K_E_NS1_11comp_targetILNS1_3genE10ELNS1_11target_archE1200ELNS1_3gpuE4ELNS1_3repE0EEENS1_30default_config_static_selectorELNS0_4arch9wavefront6targetE0EEEvSY_.num_agpr, 0
	.set _ZN7rocprim17ROCPRIM_400000_NS6detail17trampoline_kernelINS0_13select_configILj256ELj13ELNS0_17block_load_methodE3ELS4_3ELS4_3ELNS0_20block_scan_algorithmE0ELj4294967295EEENS1_25partition_config_selectorILNS1_17partition_subalgoE3EjNS0_10empty_typeEbEEZZNS1_14partition_implILS8_3ELb0ES6_jNS0_17counting_iteratorIjlEEPS9_SE_NS0_5tupleIJPjSE_EEENSF_IJSE_SE_EEES9_SG_JZNS1_25segmented_radix_sort_implINS0_14default_configELb1EPKsPsPKlPlN2at6native12_GLOBAL__N_18offset_tEEE10hipError_tPvRmT1_PNSt15iterator_traitsISY_E10value_typeET2_T3_PNSZ_IS14_E10value_typeET4_jRbjT5_S1A_jjP12ihipStream_tbEUljE_EEESV_SW_SX_S14_S18_S1A_T6_T7_T9_mT8_S1C_bDpT10_ENKUlT_T0_E_clISt17integral_constantIbLb1EES1P_EEDaS1K_S1L_EUlS1K_E_NS1_11comp_targetILNS1_3genE10ELNS1_11target_archE1200ELNS1_3gpuE4ELNS1_3repE0EEENS1_30default_config_static_selectorELNS0_4arch9wavefront6targetE0EEEvSY_.numbered_sgpr, 0
	.set _ZN7rocprim17ROCPRIM_400000_NS6detail17trampoline_kernelINS0_13select_configILj256ELj13ELNS0_17block_load_methodE3ELS4_3ELS4_3ELNS0_20block_scan_algorithmE0ELj4294967295EEENS1_25partition_config_selectorILNS1_17partition_subalgoE3EjNS0_10empty_typeEbEEZZNS1_14partition_implILS8_3ELb0ES6_jNS0_17counting_iteratorIjlEEPS9_SE_NS0_5tupleIJPjSE_EEENSF_IJSE_SE_EEES9_SG_JZNS1_25segmented_radix_sort_implINS0_14default_configELb1EPKsPsPKlPlN2at6native12_GLOBAL__N_18offset_tEEE10hipError_tPvRmT1_PNSt15iterator_traitsISY_E10value_typeET2_T3_PNSZ_IS14_E10value_typeET4_jRbjT5_S1A_jjP12ihipStream_tbEUljE_EEESV_SW_SX_S14_S18_S1A_T6_T7_T9_mT8_S1C_bDpT10_ENKUlT_T0_E_clISt17integral_constantIbLb1EES1P_EEDaS1K_S1L_EUlS1K_E_NS1_11comp_targetILNS1_3genE10ELNS1_11target_archE1200ELNS1_3gpuE4ELNS1_3repE0EEENS1_30default_config_static_selectorELNS0_4arch9wavefront6targetE0EEEvSY_.num_named_barrier, 0
	.set _ZN7rocprim17ROCPRIM_400000_NS6detail17trampoline_kernelINS0_13select_configILj256ELj13ELNS0_17block_load_methodE3ELS4_3ELS4_3ELNS0_20block_scan_algorithmE0ELj4294967295EEENS1_25partition_config_selectorILNS1_17partition_subalgoE3EjNS0_10empty_typeEbEEZZNS1_14partition_implILS8_3ELb0ES6_jNS0_17counting_iteratorIjlEEPS9_SE_NS0_5tupleIJPjSE_EEENSF_IJSE_SE_EEES9_SG_JZNS1_25segmented_radix_sort_implINS0_14default_configELb1EPKsPsPKlPlN2at6native12_GLOBAL__N_18offset_tEEE10hipError_tPvRmT1_PNSt15iterator_traitsISY_E10value_typeET2_T3_PNSZ_IS14_E10value_typeET4_jRbjT5_S1A_jjP12ihipStream_tbEUljE_EEESV_SW_SX_S14_S18_S1A_T6_T7_T9_mT8_S1C_bDpT10_ENKUlT_T0_E_clISt17integral_constantIbLb1EES1P_EEDaS1K_S1L_EUlS1K_E_NS1_11comp_targetILNS1_3genE10ELNS1_11target_archE1200ELNS1_3gpuE4ELNS1_3repE0EEENS1_30default_config_static_selectorELNS0_4arch9wavefront6targetE0EEEvSY_.private_seg_size, 0
	.set _ZN7rocprim17ROCPRIM_400000_NS6detail17trampoline_kernelINS0_13select_configILj256ELj13ELNS0_17block_load_methodE3ELS4_3ELS4_3ELNS0_20block_scan_algorithmE0ELj4294967295EEENS1_25partition_config_selectorILNS1_17partition_subalgoE3EjNS0_10empty_typeEbEEZZNS1_14partition_implILS8_3ELb0ES6_jNS0_17counting_iteratorIjlEEPS9_SE_NS0_5tupleIJPjSE_EEENSF_IJSE_SE_EEES9_SG_JZNS1_25segmented_radix_sort_implINS0_14default_configELb1EPKsPsPKlPlN2at6native12_GLOBAL__N_18offset_tEEE10hipError_tPvRmT1_PNSt15iterator_traitsISY_E10value_typeET2_T3_PNSZ_IS14_E10value_typeET4_jRbjT5_S1A_jjP12ihipStream_tbEUljE_EEESV_SW_SX_S14_S18_S1A_T6_T7_T9_mT8_S1C_bDpT10_ENKUlT_T0_E_clISt17integral_constantIbLb1EES1P_EEDaS1K_S1L_EUlS1K_E_NS1_11comp_targetILNS1_3genE10ELNS1_11target_archE1200ELNS1_3gpuE4ELNS1_3repE0EEENS1_30default_config_static_selectorELNS0_4arch9wavefront6targetE0EEEvSY_.uses_vcc, 0
	.set _ZN7rocprim17ROCPRIM_400000_NS6detail17trampoline_kernelINS0_13select_configILj256ELj13ELNS0_17block_load_methodE3ELS4_3ELS4_3ELNS0_20block_scan_algorithmE0ELj4294967295EEENS1_25partition_config_selectorILNS1_17partition_subalgoE3EjNS0_10empty_typeEbEEZZNS1_14partition_implILS8_3ELb0ES6_jNS0_17counting_iteratorIjlEEPS9_SE_NS0_5tupleIJPjSE_EEENSF_IJSE_SE_EEES9_SG_JZNS1_25segmented_radix_sort_implINS0_14default_configELb1EPKsPsPKlPlN2at6native12_GLOBAL__N_18offset_tEEE10hipError_tPvRmT1_PNSt15iterator_traitsISY_E10value_typeET2_T3_PNSZ_IS14_E10value_typeET4_jRbjT5_S1A_jjP12ihipStream_tbEUljE_EEESV_SW_SX_S14_S18_S1A_T6_T7_T9_mT8_S1C_bDpT10_ENKUlT_T0_E_clISt17integral_constantIbLb1EES1P_EEDaS1K_S1L_EUlS1K_E_NS1_11comp_targetILNS1_3genE10ELNS1_11target_archE1200ELNS1_3gpuE4ELNS1_3repE0EEENS1_30default_config_static_selectorELNS0_4arch9wavefront6targetE0EEEvSY_.uses_flat_scratch, 0
	.set _ZN7rocprim17ROCPRIM_400000_NS6detail17trampoline_kernelINS0_13select_configILj256ELj13ELNS0_17block_load_methodE3ELS4_3ELS4_3ELNS0_20block_scan_algorithmE0ELj4294967295EEENS1_25partition_config_selectorILNS1_17partition_subalgoE3EjNS0_10empty_typeEbEEZZNS1_14partition_implILS8_3ELb0ES6_jNS0_17counting_iteratorIjlEEPS9_SE_NS0_5tupleIJPjSE_EEENSF_IJSE_SE_EEES9_SG_JZNS1_25segmented_radix_sort_implINS0_14default_configELb1EPKsPsPKlPlN2at6native12_GLOBAL__N_18offset_tEEE10hipError_tPvRmT1_PNSt15iterator_traitsISY_E10value_typeET2_T3_PNSZ_IS14_E10value_typeET4_jRbjT5_S1A_jjP12ihipStream_tbEUljE_EEESV_SW_SX_S14_S18_S1A_T6_T7_T9_mT8_S1C_bDpT10_ENKUlT_T0_E_clISt17integral_constantIbLb1EES1P_EEDaS1K_S1L_EUlS1K_E_NS1_11comp_targetILNS1_3genE10ELNS1_11target_archE1200ELNS1_3gpuE4ELNS1_3repE0EEENS1_30default_config_static_selectorELNS0_4arch9wavefront6targetE0EEEvSY_.has_dyn_sized_stack, 0
	.set _ZN7rocprim17ROCPRIM_400000_NS6detail17trampoline_kernelINS0_13select_configILj256ELj13ELNS0_17block_load_methodE3ELS4_3ELS4_3ELNS0_20block_scan_algorithmE0ELj4294967295EEENS1_25partition_config_selectorILNS1_17partition_subalgoE3EjNS0_10empty_typeEbEEZZNS1_14partition_implILS8_3ELb0ES6_jNS0_17counting_iteratorIjlEEPS9_SE_NS0_5tupleIJPjSE_EEENSF_IJSE_SE_EEES9_SG_JZNS1_25segmented_radix_sort_implINS0_14default_configELb1EPKsPsPKlPlN2at6native12_GLOBAL__N_18offset_tEEE10hipError_tPvRmT1_PNSt15iterator_traitsISY_E10value_typeET2_T3_PNSZ_IS14_E10value_typeET4_jRbjT5_S1A_jjP12ihipStream_tbEUljE_EEESV_SW_SX_S14_S18_S1A_T6_T7_T9_mT8_S1C_bDpT10_ENKUlT_T0_E_clISt17integral_constantIbLb1EES1P_EEDaS1K_S1L_EUlS1K_E_NS1_11comp_targetILNS1_3genE10ELNS1_11target_archE1200ELNS1_3gpuE4ELNS1_3repE0EEENS1_30default_config_static_selectorELNS0_4arch9wavefront6targetE0EEEvSY_.has_recursion, 0
	.set _ZN7rocprim17ROCPRIM_400000_NS6detail17trampoline_kernelINS0_13select_configILj256ELj13ELNS0_17block_load_methodE3ELS4_3ELS4_3ELNS0_20block_scan_algorithmE0ELj4294967295EEENS1_25partition_config_selectorILNS1_17partition_subalgoE3EjNS0_10empty_typeEbEEZZNS1_14partition_implILS8_3ELb0ES6_jNS0_17counting_iteratorIjlEEPS9_SE_NS0_5tupleIJPjSE_EEENSF_IJSE_SE_EEES9_SG_JZNS1_25segmented_radix_sort_implINS0_14default_configELb1EPKsPsPKlPlN2at6native12_GLOBAL__N_18offset_tEEE10hipError_tPvRmT1_PNSt15iterator_traitsISY_E10value_typeET2_T3_PNSZ_IS14_E10value_typeET4_jRbjT5_S1A_jjP12ihipStream_tbEUljE_EEESV_SW_SX_S14_S18_S1A_T6_T7_T9_mT8_S1C_bDpT10_ENKUlT_T0_E_clISt17integral_constantIbLb1EES1P_EEDaS1K_S1L_EUlS1K_E_NS1_11comp_targetILNS1_3genE10ELNS1_11target_archE1200ELNS1_3gpuE4ELNS1_3repE0EEENS1_30default_config_static_selectorELNS0_4arch9wavefront6targetE0EEEvSY_.has_indirect_call, 0
	.section	.AMDGPU.csdata,"",@progbits
; Kernel info:
; codeLenInByte = 0
; TotalNumSgprs: 0
; NumVgprs: 0
; ScratchSize: 0
; MemoryBound: 0
; FloatMode: 240
; IeeeMode: 1
; LDSByteSize: 0 bytes/workgroup (compile time only)
; SGPRBlocks: 0
; VGPRBlocks: 0
; NumSGPRsForWavesPerEU: 1
; NumVGPRsForWavesPerEU: 1
; Occupancy: 16
; WaveLimiterHint : 0
; COMPUTE_PGM_RSRC2:SCRATCH_EN: 0
; COMPUTE_PGM_RSRC2:USER_SGPR: 6
; COMPUTE_PGM_RSRC2:TRAP_HANDLER: 0
; COMPUTE_PGM_RSRC2:TGID_X_EN: 1
; COMPUTE_PGM_RSRC2:TGID_Y_EN: 0
; COMPUTE_PGM_RSRC2:TGID_Z_EN: 0
; COMPUTE_PGM_RSRC2:TIDIG_COMP_CNT: 0
	.section	.text._ZN7rocprim17ROCPRIM_400000_NS6detail17trampoline_kernelINS0_13select_configILj256ELj13ELNS0_17block_load_methodE3ELS4_3ELS4_3ELNS0_20block_scan_algorithmE0ELj4294967295EEENS1_25partition_config_selectorILNS1_17partition_subalgoE3EjNS0_10empty_typeEbEEZZNS1_14partition_implILS8_3ELb0ES6_jNS0_17counting_iteratorIjlEEPS9_SE_NS0_5tupleIJPjSE_EEENSF_IJSE_SE_EEES9_SG_JZNS1_25segmented_radix_sort_implINS0_14default_configELb1EPKsPsPKlPlN2at6native12_GLOBAL__N_18offset_tEEE10hipError_tPvRmT1_PNSt15iterator_traitsISY_E10value_typeET2_T3_PNSZ_IS14_E10value_typeET4_jRbjT5_S1A_jjP12ihipStream_tbEUljE_EEESV_SW_SX_S14_S18_S1A_T6_T7_T9_mT8_S1C_bDpT10_ENKUlT_T0_E_clISt17integral_constantIbLb1EES1P_EEDaS1K_S1L_EUlS1K_E_NS1_11comp_targetILNS1_3genE9ELNS1_11target_archE1100ELNS1_3gpuE3ELNS1_3repE0EEENS1_30default_config_static_selectorELNS0_4arch9wavefront6targetE0EEEvSY_,"axG",@progbits,_ZN7rocprim17ROCPRIM_400000_NS6detail17trampoline_kernelINS0_13select_configILj256ELj13ELNS0_17block_load_methodE3ELS4_3ELS4_3ELNS0_20block_scan_algorithmE0ELj4294967295EEENS1_25partition_config_selectorILNS1_17partition_subalgoE3EjNS0_10empty_typeEbEEZZNS1_14partition_implILS8_3ELb0ES6_jNS0_17counting_iteratorIjlEEPS9_SE_NS0_5tupleIJPjSE_EEENSF_IJSE_SE_EEES9_SG_JZNS1_25segmented_radix_sort_implINS0_14default_configELb1EPKsPsPKlPlN2at6native12_GLOBAL__N_18offset_tEEE10hipError_tPvRmT1_PNSt15iterator_traitsISY_E10value_typeET2_T3_PNSZ_IS14_E10value_typeET4_jRbjT5_S1A_jjP12ihipStream_tbEUljE_EEESV_SW_SX_S14_S18_S1A_T6_T7_T9_mT8_S1C_bDpT10_ENKUlT_T0_E_clISt17integral_constantIbLb1EES1P_EEDaS1K_S1L_EUlS1K_E_NS1_11comp_targetILNS1_3genE9ELNS1_11target_archE1100ELNS1_3gpuE3ELNS1_3repE0EEENS1_30default_config_static_selectorELNS0_4arch9wavefront6targetE0EEEvSY_,comdat
	.globl	_ZN7rocprim17ROCPRIM_400000_NS6detail17trampoline_kernelINS0_13select_configILj256ELj13ELNS0_17block_load_methodE3ELS4_3ELS4_3ELNS0_20block_scan_algorithmE0ELj4294967295EEENS1_25partition_config_selectorILNS1_17partition_subalgoE3EjNS0_10empty_typeEbEEZZNS1_14partition_implILS8_3ELb0ES6_jNS0_17counting_iteratorIjlEEPS9_SE_NS0_5tupleIJPjSE_EEENSF_IJSE_SE_EEES9_SG_JZNS1_25segmented_radix_sort_implINS0_14default_configELb1EPKsPsPKlPlN2at6native12_GLOBAL__N_18offset_tEEE10hipError_tPvRmT1_PNSt15iterator_traitsISY_E10value_typeET2_T3_PNSZ_IS14_E10value_typeET4_jRbjT5_S1A_jjP12ihipStream_tbEUljE_EEESV_SW_SX_S14_S18_S1A_T6_T7_T9_mT8_S1C_bDpT10_ENKUlT_T0_E_clISt17integral_constantIbLb1EES1P_EEDaS1K_S1L_EUlS1K_E_NS1_11comp_targetILNS1_3genE9ELNS1_11target_archE1100ELNS1_3gpuE3ELNS1_3repE0EEENS1_30default_config_static_selectorELNS0_4arch9wavefront6targetE0EEEvSY_ ; -- Begin function _ZN7rocprim17ROCPRIM_400000_NS6detail17trampoline_kernelINS0_13select_configILj256ELj13ELNS0_17block_load_methodE3ELS4_3ELS4_3ELNS0_20block_scan_algorithmE0ELj4294967295EEENS1_25partition_config_selectorILNS1_17partition_subalgoE3EjNS0_10empty_typeEbEEZZNS1_14partition_implILS8_3ELb0ES6_jNS0_17counting_iteratorIjlEEPS9_SE_NS0_5tupleIJPjSE_EEENSF_IJSE_SE_EEES9_SG_JZNS1_25segmented_radix_sort_implINS0_14default_configELb1EPKsPsPKlPlN2at6native12_GLOBAL__N_18offset_tEEE10hipError_tPvRmT1_PNSt15iterator_traitsISY_E10value_typeET2_T3_PNSZ_IS14_E10value_typeET4_jRbjT5_S1A_jjP12ihipStream_tbEUljE_EEESV_SW_SX_S14_S18_S1A_T6_T7_T9_mT8_S1C_bDpT10_ENKUlT_T0_E_clISt17integral_constantIbLb1EES1P_EEDaS1K_S1L_EUlS1K_E_NS1_11comp_targetILNS1_3genE9ELNS1_11target_archE1100ELNS1_3gpuE3ELNS1_3repE0EEENS1_30default_config_static_selectorELNS0_4arch9wavefront6targetE0EEEvSY_
	.p2align	8
	.type	_ZN7rocprim17ROCPRIM_400000_NS6detail17trampoline_kernelINS0_13select_configILj256ELj13ELNS0_17block_load_methodE3ELS4_3ELS4_3ELNS0_20block_scan_algorithmE0ELj4294967295EEENS1_25partition_config_selectorILNS1_17partition_subalgoE3EjNS0_10empty_typeEbEEZZNS1_14partition_implILS8_3ELb0ES6_jNS0_17counting_iteratorIjlEEPS9_SE_NS0_5tupleIJPjSE_EEENSF_IJSE_SE_EEES9_SG_JZNS1_25segmented_radix_sort_implINS0_14default_configELb1EPKsPsPKlPlN2at6native12_GLOBAL__N_18offset_tEEE10hipError_tPvRmT1_PNSt15iterator_traitsISY_E10value_typeET2_T3_PNSZ_IS14_E10value_typeET4_jRbjT5_S1A_jjP12ihipStream_tbEUljE_EEESV_SW_SX_S14_S18_S1A_T6_T7_T9_mT8_S1C_bDpT10_ENKUlT_T0_E_clISt17integral_constantIbLb1EES1P_EEDaS1K_S1L_EUlS1K_E_NS1_11comp_targetILNS1_3genE9ELNS1_11target_archE1100ELNS1_3gpuE3ELNS1_3repE0EEENS1_30default_config_static_selectorELNS0_4arch9wavefront6targetE0EEEvSY_,@function
_ZN7rocprim17ROCPRIM_400000_NS6detail17trampoline_kernelINS0_13select_configILj256ELj13ELNS0_17block_load_methodE3ELS4_3ELS4_3ELNS0_20block_scan_algorithmE0ELj4294967295EEENS1_25partition_config_selectorILNS1_17partition_subalgoE3EjNS0_10empty_typeEbEEZZNS1_14partition_implILS8_3ELb0ES6_jNS0_17counting_iteratorIjlEEPS9_SE_NS0_5tupleIJPjSE_EEENSF_IJSE_SE_EEES9_SG_JZNS1_25segmented_radix_sort_implINS0_14default_configELb1EPKsPsPKlPlN2at6native12_GLOBAL__N_18offset_tEEE10hipError_tPvRmT1_PNSt15iterator_traitsISY_E10value_typeET2_T3_PNSZ_IS14_E10value_typeET4_jRbjT5_S1A_jjP12ihipStream_tbEUljE_EEESV_SW_SX_S14_S18_S1A_T6_T7_T9_mT8_S1C_bDpT10_ENKUlT_T0_E_clISt17integral_constantIbLb1EES1P_EEDaS1K_S1L_EUlS1K_E_NS1_11comp_targetILNS1_3genE9ELNS1_11target_archE1100ELNS1_3gpuE3ELNS1_3repE0EEENS1_30default_config_static_selectorELNS0_4arch9wavefront6targetE0EEEvSY_: ; @_ZN7rocprim17ROCPRIM_400000_NS6detail17trampoline_kernelINS0_13select_configILj256ELj13ELNS0_17block_load_methodE3ELS4_3ELS4_3ELNS0_20block_scan_algorithmE0ELj4294967295EEENS1_25partition_config_selectorILNS1_17partition_subalgoE3EjNS0_10empty_typeEbEEZZNS1_14partition_implILS8_3ELb0ES6_jNS0_17counting_iteratorIjlEEPS9_SE_NS0_5tupleIJPjSE_EEENSF_IJSE_SE_EEES9_SG_JZNS1_25segmented_radix_sort_implINS0_14default_configELb1EPKsPsPKlPlN2at6native12_GLOBAL__N_18offset_tEEE10hipError_tPvRmT1_PNSt15iterator_traitsISY_E10value_typeET2_T3_PNSZ_IS14_E10value_typeET4_jRbjT5_S1A_jjP12ihipStream_tbEUljE_EEESV_SW_SX_S14_S18_S1A_T6_T7_T9_mT8_S1C_bDpT10_ENKUlT_T0_E_clISt17integral_constantIbLb1EES1P_EEDaS1K_S1L_EUlS1K_E_NS1_11comp_targetILNS1_3genE9ELNS1_11target_archE1100ELNS1_3gpuE3ELNS1_3repE0EEENS1_30default_config_static_selectorELNS0_4arch9wavefront6targetE0EEEvSY_
; %bb.0:
	.section	.rodata,"a",@progbits
	.p2align	6, 0x0
	.amdhsa_kernel _ZN7rocprim17ROCPRIM_400000_NS6detail17trampoline_kernelINS0_13select_configILj256ELj13ELNS0_17block_load_methodE3ELS4_3ELS4_3ELNS0_20block_scan_algorithmE0ELj4294967295EEENS1_25partition_config_selectorILNS1_17partition_subalgoE3EjNS0_10empty_typeEbEEZZNS1_14partition_implILS8_3ELb0ES6_jNS0_17counting_iteratorIjlEEPS9_SE_NS0_5tupleIJPjSE_EEENSF_IJSE_SE_EEES9_SG_JZNS1_25segmented_radix_sort_implINS0_14default_configELb1EPKsPsPKlPlN2at6native12_GLOBAL__N_18offset_tEEE10hipError_tPvRmT1_PNSt15iterator_traitsISY_E10value_typeET2_T3_PNSZ_IS14_E10value_typeET4_jRbjT5_S1A_jjP12ihipStream_tbEUljE_EEESV_SW_SX_S14_S18_S1A_T6_T7_T9_mT8_S1C_bDpT10_ENKUlT_T0_E_clISt17integral_constantIbLb1EES1P_EEDaS1K_S1L_EUlS1K_E_NS1_11comp_targetILNS1_3genE9ELNS1_11target_archE1100ELNS1_3gpuE3ELNS1_3repE0EEENS1_30default_config_static_selectorELNS0_4arch9wavefront6targetE0EEEvSY_
		.amdhsa_group_segment_fixed_size 0
		.amdhsa_private_segment_fixed_size 0
		.amdhsa_kernarg_size 152
		.amdhsa_user_sgpr_count 6
		.amdhsa_user_sgpr_private_segment_buffer 1
		.amdhsa_user_sgpr_dispatch_ptr 0
		.amdhsa_user_sgpr_queue_ptr 0
		.amdhsa_user_sgpr_kernarg_segment_ptr 1
		.amdhsa_user_sgpr_dispatch_id 0
		.amdhsa_user_sgpr_flat_scratch_init 0
		.amdhsa_user_sgpr_private_segment_size 0
		.amdhsa_wavefront_size32 1
		.amdhsa_uses_dynamic_stack 0
		.amdhsa_system_sgpr_private_segment_wavefront_offset 0
		.amdhsa_system_sgpr_workgroup_id_x 1
		.amdhsa_system_sgpr_workgroup_id_y 0
		.amdhsa_system_sgpr_workgroup_id_z 0
		.amdhsa_system_sgpr_workgroup_info 0
		.amdhsa_system_vgpr_workitem_id 0
		.amdhsa_next_free_vgpr 1
		.amdhsa_next_free_sgpr 1
		.amdhsa_reserve_vcc 0
		.amdhsa_reserve_flat_scratch 0
		.amdhsa_float_round_mode_32 0
		.amdhsa_float_round_mode_16_64 0
		.amdhsa_float_denorm_mode_32 3
		.amdhsa_float_denorm_mode_16_64 3
		.amdhsa_dx10_clamp 1
		.amdhsa_ieee_mode 1
		.amdhsa_fp16_overflow 0
		.amdhsa_workgroup_processor_mode 1
		.amdhsa_memory_ordered 1
		.amdhsa_forward_progress 1
		.amdhsa_shared_vgpr_count 0
		.amdhsa_exception_fp_ieee_invalid_op 0
		.amdhsa_exception_fp_denorm_src 0
		.amdhsa_exception_fp_ieee_div_zero 0
		.amdhsa_exception_fp_ieee_overflow 0
		.amdhsa_exception_fp_ieee_underflow 0
		.amdhsa_exception_fp_ieee_inexact 0
		.amdhsa_exception_int_div_zero 0
	.end_amdhsa_kernel
	.section	.text._ZN7rocprim17ROCPRIM_400000_NS6detail17trampoline_kernelINS0_13select_configILj256ELj13ELNS0_17block_load_methodE3ELS4_3ELS4_3ELNS0_20block_scan_algorithmE0ELj4294967295EEENS1_25partition_config_selectorILNS1_17partition_subalgoE3EjNS0_10empty_typeEbEEZZNS1_14partition_implILS8_3ELb0ES6_jNS0_17counting_iteratorIjlEEPS9_SE_NS0_5tupleIJPjSE_EEENSF_IJSE_SE_EEES9_SG_JZNS1_25segmented_radix_sort_implINS0_14default_configELb1EPKsPsPKlPlN2at6native12_GLOBAL__N_18offset_tEEE10hipError_tPvRmT1_PNSt15iterator_traitsISY_E10value_typeET2_T3_PNSZ_IS14_E10value_typeET4_jRbjT5_S1A_jjP12ihipStream_tbEUljE_EEESV_SW_SX_S14_S18_S1A_T6_T7_T9_mT8_S1C_bDpT10_ENKUlT_T0_E_clISt17integral_constantIbLb1EES1P_EEDaS1K_S1L_EUlS1K_E_NS1_11comp_targetILNS1_3genE9ELNS1_11target_archE1100ELNS1_3gpuE3ELNS1_3repE0EEENS1_30default_config_static_selectorELNS0_4arch9wavefront6targetE0EEEvSY_,"axG",@progbits,_ZN7rocprim17ROCPRIM_400000_NS6detail17trampoline_kernelINS0_13select_configILj256ELj13ELNS0_17block_load_methodE3ELS4_3ELS4_3ELNS0_20block_scan_algorithmE0ELj4294967295EEENS1_25partition_config_selectorILNS1_17partition_subalgoE3EjNS0_10empty_typeEbEEZZNS1_14partition_implILS8_3ELb0ES6_jNS0_17counting_iteratorIjlEEPS9_SE_NS0_5tupleIJPjSE_EEENSF_IJSE_SE_EEES9_SG_JZNS1_25segmented_radix_sort_implINS0_14default_configELb1EPKsPsPKlPlN2at6native12_GLOBAL__N_18offset_tEEE10hipError_tPvRmT1_PNSt15iterator_traitsISY_E10value_typeET2_T3_PNSZ_IS14_E10value_typeET4_jRbjT5_S1A_jjP12ihipStream_tbEUljE_EEESV_SW_SX_S14_S18_S1A_T6_T7_T9_mT8_S1C_bDpT10_ENKUlT_T0_E_clISt17integral_constantIbLb1EES1P_EEDaS1K_S1L_EUlS1K_E_NS1_11comp_targetILNS1_3genE9ELNS1_11target_archE1100ELNS1_3gpuE3ELNS1_3repE0EEENS1_30default_config_static_selectorELNS0_4arch9wavefront6targetE0EEEvSY_,comdat
.Lfunc_end887:
	.size	_ZN7rocprim17ROCPRIM_400000_NS6detail17trampoline_kernelINS0_13select_configILj256ELj13ELNS0_17block_load_methodE3ELS4_3ELS4_3ELNS0_20block_scan_algorithmE0ELj4294967295EEENS1_25partition_config_selectorILNS1_17partition_subalgoE3EjNS0_10empty_typeEbEEZZNS1_14partition_implILS8_3ELb0ES6_jNS0_17counting_iteratorIjlEEPS9_SE_NS0_5tupleIJPjSE_EEENSF_IJSE_SE_EEES9_SG_JZNS1_25segmented_radix_sort_implINS0_14default_configELb1EPKsPsPKlPlN2at6native12_GLOBAL__N_18offset_tEEE10hipError_tPvRmT1_PNSt15iterator_traitsISY_E10value_typeET2_T3_PNSZ_IS14_E10value_typeET4_jRbjT5_S1A_jjP12ihipStream_tbEUljE_EEESV_SW_SX_S14_S18_S1A_T6_T7_T9_mT8_S1C_bDpT10_ENKUlT_T0_E_clISt17integral_constantIbLb1EES1P_EEDaS1K_S1L_EUlS1K_E_NS1_11comp_targetILNS1_3genE9ELNS1_11target_archE1100ELNS1_3gpuE3ELNS1_3repE0EEENS1_30default_config_static_selectorELNS0_4arch9wavefront6targetE0EEEvSY_, .Lfunc_end887-_ZN7rocprim17ROCPRIM_400000_NS6detail17trampoline_kernelINS0_13select_configILj256ELj13ELNS0_17block_load_methodE3ELS4_3ELS4_3ELNS0_20block_scan_algorithmE0ELj4294967295EEENS1_25partition_config_selectorILNS1_17partition_subalgoE3EjNS0_10empty_typeEbEEZZNS1_14partition_implILS8_3ELb0ES6_jNS0_17counting_iteratorIjlEEPS9_SE_NS0_5tupleIJPjSE_EEENSF_IJSE_SE_EEES9_SG_JZNS1_25segmented_radix_sort_implINS0_14default_configELb1EPKsPsPKlPlN2at6native12_GLOBAL__N_18offset_tEEE10hipError_tPvRmT1_PNSt15iterator_traitsISY_E10value_typeET2_T3_PNSZ_IS14_E10value_typeET4_jRbjT5_S1A_jjP12ihipStream_tbEUljE_EEESV_SW_SX_S14_S18_S1A_T6_T7_T9_mT8_S1C_bDpT10_ENKUlT_T0_E_clISt17integral_constantIbLb1EES1P_EEDaS1K_S1L_EUlS1K_E_NS1_11comp_targetILNS1_3genE9ELNS1_11target_archE1100ELNS1_3gpuE3ELNS1_3repE0EEENS1_30default_config_static_selectorELNS0_4arch9wavefront6targetE0EEEvSY_
                                        ; -- End function
	.set _ZN7rocprim17ROCPRIM_400000_NS6detail17trampoline_kernelINS0_13select_configILj256ELj13ELNS0_17block_load_methodE3ELS4_3ELS4_3ELNS0_20block_scan_algorithmE0ELj4294967295EEENS1_25partition_config_selectorILNS1_17partition_subalgoE3EjNS0_10empty_typeEbEEZZNS1_14partition_implILS8_3ELb0ES6_jNS0_17counting_iteratorIjlEEPS9_SE_NS0_5tupleIJPjSE_EEENSF_IJSE_SE_EEES9_SG_JZNS1_25segmented_radix_sort_implINS0_14default_configELb1EPKsPsPKlPlN2at6native12_GLOBAL__N_18offset_tEEE10hipError_tPvRmT1_PNSt15iterator_traitsISY_E10value_typeET2_T3_PNSZ_IS14_E10value_typeET4_jRbjT5_S1A_jjP12ihipStream_tbEUljE_EEESV_SW_SX_S14_S18_S1A_T6_T7_T9_mT8_S1C_bDpT10_ENKUlT_T0_E_clISt17integral_constantIbLb1EES1P_EEDaS1K_S1L_EUlS1K_E_NS1_11comp_targetILNS1_3genE9ELNS1_11target_archE1100ELNS1_3gpuE3ELNS1_3repE0EEENS1_30default_config_static_selectorELNS0_4arch9wavefront6targetE0EEEvSY_.num_vgpr, 0
	.set _ZN7rocprim17ROCPRIM_400000_NS6detail17trampoline_kernelINS0_13select_configILj256ELj13ELNS0_17block_load_methodE3ELS4_3ELS4_3ELNS0_20block_scan_algorithmE0ELj4294967295EEENS1_25partition_config_selectorILNS1_17partition_subalgoE3EjNS0_10empty_typeEbEEZZNS1_14partition_implILS8_3ELb0ES6_jNS0_17counting_iteratorIjlEEPS9_SE_NS0_5tupleIJPjSE_EEENSF_IJSE_SE_EEES9_SG_JZNS1_25segmented_radix_sort_implINS0_14default_configELb1EPKsPsPKlPlN2at6native12_GLOBAL__N_18offset_tEEE10hipError_tPvRmT1_PNSt15iterator_traitsISY_E10value_typeET2_T3_PNSZ_IS14_E10value_typeET4_jRbjT5_S1A_jjP12ihipStream_tbEUljE_EEESV_SW_SX_S14_S18_S1A_T6_T7_T9_mT8_S1C_bDpT10_ENKUlT_T0_E_clISt17integral_constantIbLb1EES1P_EEDaS1K_S1L_EUlS1K_E_NS1_11comp_targetILNS1_3genE9ELNS1_11target_archE1100ELNS1_3gpuE3ELNS1_3repE0EEENS1_30default_config_static_selectorELNS0_4arch9wavefront6targetE0EEEvSY_.num_agpr, 0
	.set _ZN7rocprim17ROCPRIM_400000_NS6detail17trampoline_kernelINS0_13select_configILj256ELj13ELNS0_17block_load_methodE3ELS4_3ELS4_3ELNS0_20block_scan_algorithmE0ELj4294967295EEENS1_25partition_config_selectorILNS1_17partition_subalgoE3EjNS0_10empty_typeEbEEZZNS1_14partition_implILS8_3ELb0ES6_jNS0_17counting_iteratorIjlEEPS9_SE_NS0_5tupleIJPjSE_EEENSF_IJSE_SE_EEES9_SG_JZNS1_25segmented_radix_sort_implINS0_14default_configELb1EPKsPsPKlPlN2at6native12_GLOBAL__N_18offset_tEEE10hipError_tPvRmT1_PNSt15iterator_traitsISY_E10value_typeET2_T3_PNSZ_IS14_E10value_typeET4_jRbjT5_S1A_jjP12ihipStream_tbEUljE_EEESV_SW_SX_S14_S18_S1A_T6_T7_T9_mT8_S1C_bDpT10_ENKUlT_T0_E_clISt17integral_constantIbLb1EES1P_EEDaS1K_S1L_EUlS1K_E_NS1_11comp_targetILNS1_3genE9ELNS1_11target_archE1100ELNS1_3gpuE3ELNS1_3repE0EEENS1_30default_config_static_selectorELNS0_4arch9wavefront6targetE0EEEvSY_.numbered_sgpr, 0
	.set _ZN7rocprim17ROCPRIM_400000_NS6detail17trampoline_kernelINS0_13select_configILj256ELj13ELNS0_17block_load_methodE3ELS4_3ELS4_3ELNS0_20block_scan_algorithmE0ELj4294967295EEENS1_25partition_config_selectorILNS1_17partition_subalgoE3EjNS0_10empty_typeEbEEZZNS1_14partition_implILS8_3ELb0ES6_jNS0_17counting_iteratorIjlEEPS9_SE_NS0_5tupleIJPjSE_EEENSF_IJSE_SE_EEES9_SG_JZNS1_25segmented_radix_sort_implINS0_14default_configELb1EPKsPsPKlPlN2at6native12_GLOBAL__N_18offset_tEEE10hipError_tPvRmT1_PNSt15iterator_traitsISY_E10value_typeET2_T3_PNSZ_IS14_E10value_typeET4_jRbjT5_S1A_jjP12ihipStream_tbEUljE_EEESV_SW_SX_S14_S18_S1A_T6_T7_T9_mT8_S1C_bDpT10_ENKUlT_T0_E_clISt17integral_constantIbLb1EES1P_EEDaS1K_S1L_EUlS1K_E_NS1_11comp_targetILNS1_3genE9ELNS1_11target_archE1100ELNS1_3gpuE3ELNS1_3repE0EEENS1_30default_config_static_selectorELNS0_4arch9wavefront6targetE0EEEvSY_.num_named_barrier, 0
	.set _ZN7rocprim17ROCPRIM_400000_NS6detail17trampoline_kernelINS0_13select_configILj256ELj13ELNS0_17block_load_methodE3ELS4_3ELS4_3ELNS0_20block_scan_algorithmE0ELj4294967295EEENS1_25partition_config_selectorILNS1_17partition_subalgoE3EjNS0_10empty_typeEbEEZZNS1_14partition_implILS8_3ELb0ES6_jNS0_17counting_iteratorIjlEEPS9_SE_NS0_5tupleIJPjSE_EEENSF_IJSE_SE_EEES9_SG_JZNS1_25segmented_radix_sort_implINS0_14default_configELb1EPKsPsPKlPlN2at6native12_GLOBAL__N_18offset_tEEE10hipError_tPvRmT1_PNSt15iterator_traitsISY_E10value_typeET2_T3_PNSZ_IS14_E10value_typeET4_jRbjT5_S1A_jjP12ihipStream_tbEUljE_EEESV_SW_SX_S14_S18_S1A_T6_T7_T9_mT8_S1C_bDpT10_ENKUlT_T0_E_clISt17integral_constantIbLb1EES1P_EEDaS1K_S1L_EUlS1K_E_NS1_11comp_targetILNS1_3genE9ELNS1_11target_archE1100ELNS1_3gpuE3ELNS1_3repE0EEENS1_30default_config_static_selectorELNS0_4arch9wavefront6targetE0EEEvSY_.private_seg_size, 0
	.set _ZN7rocprim17ROCPRIM_400000_NS6detail17trampoline_kernelINS0_13select_configILj256ELj13ELNS0_17block_load_methodE3ELS4_3ELS4_3ELNS0_20block_scan_algorithmE0ELj4294967295EEENS1_25partition_config_selectorILNS1_17partition_subalgoE3EjNS0_10empty_typeEbEEZZNS1_14partition_implILS8_3ELb0ES6_jNS0_17counting_iteratorIjlEEPS9_SE_NS0_5tupleIJPjSE_EEENSF_IJSE_SE_EEES9_SG_JZNS1_25segmented_radix_sort_implINS0_14default_configELb1EPKsPsPKlPlN2at6native12_GLOBAL__N_18offset_tEEE10hipError_tPvRmT1_PNSt15iterator_traitsISY_E10value_typeET2_T3_PNSZ_IS14_E10value_typeET4_jRbjT5_S1A_jjP12ihipStream_tbEUljE_EEESV_SW_SX_S14_S18_S1A_T6_T7_T9_mT8_S1C_bDpT10_ENKUlT_T0_E_clISt17integral_constantIbLb1EES1P_EEDaS1K_S1L_EUlS1K_E_NS1_11comp_targetILNS1_3genE9ELNS1_11target_archE1100ELNS1_3gpuE3ELNS1_3repE0EEENS1_30default_config_static_selectorELNS0_4arch9wavefront6targetE0EEEvSY_.uses_vcc, 0
	.set _ZN7rocprim17ROCPRIM_400000_NS6detail17trampoline_kernelINS0_13select_configILj256ELj13ELNS0_17block_load_methodE3ELS4_3ELS4_3ELNS0_20block_scan_algorithmE0ELj4294967295EEENS1_25partition_config_selectorILNS1_17partition_subalgoE3EjNS0_10empty_typeEbEEZZNS1_14partition_implILS8_3ELb0ES6_jNS0_17counting_iteratorIjlEEPS9_SE_NS0_5tupleIJPjSE_EEENSF_IJSE_SE_EEES9_SG_JZNS1_25segmented_radix_sort_implINS0_14default_configELb1EPKsPsPKlPlN2at6native12_GLOBAL__N_18offset_tEEE10hipError_tPvRmT1_PNSt15iterator_traitsISY_E10value_typeET2_T3_PNSZ_IS14_E10value_typeET4_jRbjT5_S1A_jjP12ihipStream_tbEUljE_EEESV_SW_SX_S14_S18_S1A_T6_T7_T9_mT8_S1C_bDpT10_ENKUlT_T0_E_clISt17integral_constantIbLb1EES1P_EEDaS1K_S1L_EUlS1K_E_NS1_11comp_targetILNS1_3genE9ELNS1_11target_archE1100ELNS1_3gpuE3ELNS1_3repE0EEENS1_30default_config_static_selectorELNS0_4arch9wavefront6targetE0EEEvSY_.uses_flat_scratch, 0
	.set _ZN7rocprim17ROCPRIM_400000_NS6detail17trampoline_kernelINS0_13select_configILj256ELj13ELNS0_17block_load_methodE3ELS4_3ELS4_3ELNS0_20block_scan_algorithmE0ELj4294967295EEENS1_25partition_config_selectorILNS1_17partition_subalgoE3EjNS0_10empty_typeEbEEZZNS1_14partition_implILS8_3ELb0ES6_jNS0_17counting_iteratorIjlEEPS9_SE_NS0_5tupleIJPjSE_EEENSF_IJSE_SE_EEES9_SG_JZNS1_25segmented_radix_sort_implINS0_14default_configELb1EPKsPsPKlPlN2at6native12_GLOBAL__N_18offset_tEEE10hipError_tPvRmT1_PNSt15iterator_traitsISY_E10value_typeET2_T3_PNSZ_IS14_E10value_typeET4_jRbjT5_S1A_jjP12ihipStream_tbEUljE_EEESV_SW_SX_S14_S18_S1A_T6_T7_T9_mT8_S1C_bDpT10_ENKUlT_T0_E_clISt17integral_constantIbLb1EES1P_EEDaS1K_S1L_EUlS1K_E_NS1_11comp_targetILNS1_3genE9ELNS1_11target_archE1100ELNS1_3gpuE3ELNS1_3repE0EEENS1_30default_config_static_selectorELNS0_4arch9wavefront6targetE0EEEvSY_.has_dyn_sized_stack, 0
	.set _ZN7rocprim17ROCPRIM_400000_NS6detail17trampoline_kernelINS0_13select_configILj256ELj13ELNS0_17block_load_methodE3ELS4_3ELS4_3ELNS0_20block_scan_algorithmE0ELj4294967295EEENS1_25partition_config_selectorILNS1_17partition_subalgoE3EjNS0_10empty_typeEbEEZZNS1_14partition_implILS8_3ELb0ES6_jNS0_17counting_iteratorIjlEEPS9_SE_NS0_5tupleIJPjSE_EEENSF_IJSE_SE_EEES9_SG_JZNS1_25segmented_radix_sort_implINS0_14default_configELb1EPKsPsPKlPlN2at6native12_GLOBAL__N_18offset_tEEE10hipError_tPvRmT1_PNSt15iterator_traitsISY_E10value_typeET2_T3_PNSZ_IS14_E10value_typeET4_jRbjT5_S1A_jjP12ihipStream_tbEUljE_EEESV_SW_SX_S14_S18_S1A_T6_T7_T9_mT8_S1C_bDpT10_ENKUlT_T0_E_clISt17integral_constantIbLb1EES1P_EEDaS1K_S1L_EUlS1K_E_NS1_11comp_targetILNS1_3genE9ELNS1_11target_archE1100ELNS1_3gpuE3ELNS1_3repE0EEENS1_30default_config_static_selectorELNS0_4arch9wavefront6targetE0EEEvSY_.has_recursion, 0
	.set _ZN7rocprim17ROCPRIM_400000_NS6detail17trampoline_kernelINS0_13select_configILj256ELj13ELNS0_17block_load_methodE3ELS4_3ELS4_3ELNS0_20block_scan_algorithmE0ELj4294967295EEENS1_25partition_config_selectorILNS1_17partition_subalgoE3EjNS0_10empty_typeEbEEZZNS1_14partition_implILS8_3ELb0ES6_jNS0_17counting_iteratorIjlEEPS9_SE_NS0_5tupleIJPjSE_EEENSF_IJSE_SE_EEES9_SG_JZNS1_25segmented_radix_sort_implINS0_14default_configELb1EPKsPsPKlPlN2at6native12_GLOBAL__N_18offset_tEEE10hipError_tPvRmT1_PNSt15iterator_traitsISY_E10value_typeET2_T3_PNSZ_IS14_E10value_typeET4_jRbjT5_S1A_jjP12ihipStream_tbEUljE_EEESV_SW_SX_S14_S18_S1A_T6_T7_T9_mT8_S1C_bDpT10_ENKUlT_T0_E_clISt17integral_constantIbLb1EES1P_EEDaS1K_S1L_EUlS1K_E_NS1_11comp_targetILNS1_3genE9ELNS1_11target_archE1100ELNS1_3gpuE3ELNS1_3repE0EEENS1_30default_config_static_selectorELNS0_4arch9wavefront6targetE0EEEvSY_.has_indirect_call, 0
	.section	.AMDGPU.csdata,"",@progbits
; Kernel info:
; codeLenInByte = 0
; TotalNumSgprs: 0
; NumVgprs: 0
; ScratchSize: 0
; MemoryBound: 0
; FloatMode: 240
; IeeeMode: 1
; LDSByteSize: 0 bytes/workgroup (compile time only)
; SGPRBlocks: 0
; VGPRBlocks: 0
; NumSGPRsForWavesPerEU: 1
; NumVGPRsForWavesPerEU: 1
; Occupancy: 16
; WaveLimiterHint : 0
; COMPUTE_PGM_RSRC2:SCRATCH_EN: 0
; COMPUTE_PGM_RSRC2:USER_SGPR: 6
; COMPUTE_PGM_RSRC2:TRAP_HANDLER: 0
; COMPUTE_PGM_RSRC2:TGID_X_EN: 1
; COMPUTE_PGM_RSRC2:TGID_Y_EN: 0
; COMPUTE_PGM_RSRC2:TGID_Z_EN: 0
; COMPUTE_PGM_RSRC2:TIDIG_COMP_CNT: 0
	.section	.text._ZN7rocprim17ROCPRIM_400000_NS6detail17trampoline_kernelINS0_13select_configILj256ELj13ELNS0_17block_load_methodE3ELS4_3ELS4_3ELNS0_20block_scan_algorithmE0ELj4294967295EEENS1_25partition_config_selectorILNS1_17partition_subalgoE3EjNS0_10empty_typeEbEEZZNS1_14partition_implILS8_3ELb0ES6_jNS0_17counting_iteratorIjlEEPS9_SE_NS0_5tupleIJPjSE_EEENSF_IJSE_SE_EEES9_SG_JZNS1_25segmented_radix_sort_implINS0_14default_configELb1EPKsPsPKlPlN2at6native12_GLOBAL__N_18offset_tEEE10hipError_tPvRmT1_PNSt15iterator_traitsISY_E10value_typeET2_T3_PNSZ_IS14_E10value_typeET4_jRbjT5_S1A_jjP12ihipStream_tbEUljE_EEESV_SW_SX_S14_S18_S1A_T6_T7_T9_mT8_S1C_bDpT10_ENKUlT_T0_E_clISt17integral_constantIbLb1EES1P_EEDaS1K_S1L_EUlS1K_E_NS1_11comp_targetILNS1_3genE8ELNS1_11target_archE1030ELNS1_3gpuE2ELNS1_3repE0EEENS1_30default_config_static_selectorELNS0_4arch9wavefront6targetE0EEEvSY_,"axG",@progbits,_ZN7rocprim17ROCPRIM_400000_NS6detail17trampoline_kernelINS0_13select_configILj256ELj13ELNS0_17block_load_methodE3ELS4_3ELS4_3ELNS0_20block_scan_algorithmE0ELj4294967295EEENS1_25partition_config_selectorILNS1_17partition_subalgoE3EjNS0_10empty_typeEbEEZZNS1_14partition_implILS8_3ELb0ES6_jNS0_17counting_iteratorIjlEEPS9_SE_NS0_5tupleIJPjSE_EEENSF_IJSE_SE_EEES9_SG_JZNS1_25segmented_radix_sort_implINS0_14default_configELb1EPKsPsPKlPlN2at6native12_GLOBAL__N_18offset_tEEE10hipError_tPvRmT1_PNSt15iterator_traitsISY_E10value_typeET2_T3_PNSZ_IS14_E10value_typeET4_jRbjT5_S1A_jjP12ihipStream_tbEUljE_EEESV_SW_SX_S14_S18_S1A_T6_T7_T9_mT8_S1C_bDpT10_ENKUlT_T0_E_clISt17integral_constantIbLb1EES1P_EEDaS1K_S1L_EUlS1K_E_NS1_11comp_targetILNS1_3genE8ELNS1_11target_archE1030ELNS1_3gpuE2ELNS1_3repE0EEENS1_30default_config_static_selectorELNS0_4arch9wavefront6targetE0EEEvSY_,comdat
	.globl	_ZN7rocprim17ROCPRIM_400000_NS6detail17trampoline_kernelINS0_13select_configILj256ELj13ELNS0_17block_load_methodE3ELS4_3ELS4_3ELNS0_20block_scan_algorithmE0ELj4294967295EEENS1_25partition_config_selectorILNS1_17partition_subalgoE3EjNS0_10empty_typeEbEEZZNS1_14partition_implILS8_3ELb0ES6_jNS0_17counting_iteratorIjlEEPS9_SE_NS0_5tupleIJPjSE_EEENSF_IJSE_SE_EEES9_SG_JZNS1_25segmented_radix_sort_implINS0_14default_configELb1EPKsPsPKlPlN2at6native12_GLOBAL__N_18offset_tEEE10hipError_tPvRmT1_PNSt15iterator_traitsISY_E10value_typeET2_T3_PNSZ_IS14_E10value_typeET4_jRbjT5_S1A_jjP12ihipStream_tbEUljE_EEESV_SW_SX_S14_S18_S1A_T6_T7_T9_mT8_S1C_bDpT10_ENKUlT_T0_E_clISt17integral_constantIbLb1EES1P_EEDaS1K_S1L_EUlS1K_E_NS1_11comp_targetILNS1_3genE8ELNS1_11target_archE1030ELNS1_3gpuE2ELNS1_3repE0EEENS1_30default_config_static_selectorELNS0_4arch9wavefront6targetE0EEEvSY_ ; -- Begin function _ZN7rocprim17ROCPRIM_400000_NS6detail17trampoline_kernelINS0_13select_configILj256ELj13ELNS0_17block_load_methodE3ELS4_3ELS4_3ELNS0_20block_scan_algorithmE0ELj4294967295EEENS1_25partition_config_selectorILNS1_17partition_subalgoE3EjNS0_10empty_typeEbEEZZNS1_14partition_implILS8_3ELb0ES6_jNS0_17counting_iteratorIjlEEPS9_SE_NS0_5tupleIJPjSE_EEENSF_IJSE_SE_EEES9_SG_JZNS1_25segmented_radix_sort_implINS0_14default_configELb1EPKsPsPKlPlN2at6native12_GLOBAL__N_18offset_tEEE10hipError_tPvRmT1_PNSt15iterator_traitsISY_E10value_typeET2_T3_PNSZ_IS14_E10value_typeET4_jRbjT5_S1A_jjP12ihipStream_tbEUljE_EEESV_SW_SX_S14_S18_S1A_T6_T7_T9_mT8_S1C_bDpT10_ENKUlT_T0_E_clISt17integral_constantIbLb1EES1P_EEDaS1K_S1L_EUlS1K_E_NS1_11comp_targetILNS1_3genE8ELNS1_11target_archE1030ELNS1_3gpuE2ELNS1_3repE0EEENS1_30default_config_static_selectorELNS0_4arch9wavefront6targetE0EEEvSY_
	.p2align	8
	.type	_ZN7rocprim17ROCPRIM_400000_NS6detail17trampoline_kernelINS0_13select_configILj256ELj13ELNS0_17block_load_methodE3ELS4_3ELS4_3ELNS0_20block_scan_algorithmE0ELj4294967295EEENS1_25partition_config_selectorILNS1_17partition_subalgoE3EjNS0_10empty_typeEbEEZZNS1_14partition_implILS8_3ELb0ES6_jNS0_17counting_iteratorIjlEEPS9_SE_NS0_5tupleIJPjSE_EEENSF_IJSE_SE_EEES9_SG_JZNS1_25segmented_radix_sort_implINS0_14default_configELb1EPKsPsPKlPlN2at6native12_GLOBAL__N_18offset_tEEE10hipError_tPvRmT1_PNSt15iterator_traitsISY_E10value_typeET2_T3_PNSZ_IS14_E10value_typeET4_jRbjT5_S1A_jjP12ihipStream_tbEUljE_EEESV_SW_SX_S14_S18_S1A_T6_T7_T9_mT8_S1C_bDpT10_ENKUlT_T0_E_clISt17integral_constantIbLb1EES1P_EEDaS1K_S1L_EUlS1K_E_NS1_11comp_targetILNS1_3genE8ELNS1_11target_archE1030ELNS1_3gpuE2ELNS1_3repE0EEENS1_30default_config_static_selectorELNS0_4arch9wavefront6targetE0EEEvSY_,@function
_ZN7rocprim17ROCPRIM_400000_NS6detail17trampoline_kernelINS0_13select_configILj256ELj13ELNS0_17block_load_methodE3ELS4_3ELS4_3ELNS0_20block_scan_algorithmE0ELj4294967295EEENS1_25partition_config_selectorILNS1_17partition_subalgoE3EjNS0_10empty_typeEbEEZZNS1_14partition_implILS8_3ELb0ES6_jNS0_17counting_iteratorIjlEEPS9_SE_NS0_5tupleIJPjSE_EEENSF_IJSE_SE_EEES9_SG_JZNS1_25segmented_radix_sort_implINS0_14default_configELb1EPKsPsPKlPlN2at6native12_GLOBAL__N_18offset_tEEE10hipError_tPvRmT1_PNSt15iterator_traitsISY_E10value_typeET2_T3_PNSZ_IS14_E10value_typeET4_jRbjT5_S1A_jjP12ihipStream_tbEUljE_EEESV_SW_SX_S14_S18_S1A_T6_T7_T9_mT8_S1C_bDpT10_ENKUlT_T0_E_clISt17integral_constantIbLb1EES1P_EEDaS1K_S1L_EUlS1K_E_NS1_11comp_targetILNS1_3genE8ELNS1_11target_archE1030ELNS1_3gpuE2ELNS1_3repE0EEENS1_30default_config_static_selectorELNS0_4arch9wavefront6targetE0EEEvSY_: ; @_ZN7rocprim17ROCPRIM_400000_NS6detail17trampoline_kernelINS0_13select_configILj256ELj13ELNS0_17block_load_methodE3ELS4_3ELS4_3ELNS0_20block_scan_algorithmE0ELj4294967295EEENS1_25partition_config_selectorILNS1_17partition_subalgoE3EjNS0_10empty_typeEbEEZZNS1_14partition_implILS8_3ELb0ES6_jNS0_17counting_iteratorIjlEEPS9_SE_NS0_5tupleIJPjSE_EEENSF_IJSE_SE_EEES9_SG_JZNS1_25segmented_radix_sort_implINS0_14default_configELb1EPKsPsPKlPlN2at6native12_GLOBAL__N_18offset_tEEE10hipError_tPvRmT1_PNSt15iterator_traitsISY_E10value_typeET2_T3_PNSZ_IS14_E10value_typeET4_jRbjT5_S1A_jjP12ihipStream_tbEUljE_EEESV_SW_SX_S14_S18_S1A_T6_T7_T9_mT8_S1C_bDpT10_ENKUlT_T0_E_clISt17integral_constantIbLb1EES1P_EEDaS1K_S1L_EUlS1K_E_NS1_11comp_targetILNS1_3genE8ELNS1_11target_archE1030ELNS1_3gpuE2ELNS1_3repE0EEENS1_30default_config_static_selectorELNS0_4arch9wavefront6targetE0EEEvSY_
; %bb.0:
	s_endpgm
	.section	.rodata,"a",@progbits
	.p2align	6, 0x0
	.amdhsa_kernel _ZN7rocprim17ROCPRIM_400000_NS6detail17trampoline_kernelINS0_13select_configILj256ELj13ELNS0_17block_load_methodE3ELS4_3ELS4_3ELNS0_20block_scan_algorithmE0ELj4294967295EEENS1_25partition_config_selectorILNS1_17partition_subalgoE3EjNS0_10empty_typeEbEEZZNS1_14partition_implILS8_3ELb0ES6_jNS0_17counting_iteratorIjlEEPS9_SE_NS0_5tupleIJPjSE_EEENSF_IJSE_SE_EEES9_SG_JZNS1_25segmented_radix_sort_implINS0_14default_configELb1EPKsPsPKlPlN2at6native12_GLOBAL__N_18offset_tEEE10hipError_tPvRmT1_PNSt15iterator_traitsISY_E10value_typeET2_T3_PNSZ_IS14_E10value_typeET4_jRbjT5_S1A_jjP12ihipStream_tbEUljE_EEESV_SW_SX_S14_S18_S1A_T6_T7_T9_mT8_S1C_bDpT10_ENKUlT_T0_E_clISt17integral_constantIbLb1EES1P_EEDaS1K_S1L_EUlS1K_E_NS1_11comp_targetILNS1_3genE8ELNS1_11target_archE1030ELNS1_3gpuE2ELNS1_3repE0EEENS1_30default_config_static_selectorELNS0_4arch9wavefront6targetE0EEEvSY_
		.amdhsa_group_segment_fixed_size 0
		.amdhsa_private_segment_fixed_size 0
		.amdhsa_kernarg_size 152
		.amdhsa_user_sgpr_count 6
		.amdhsa_user_sgpr_private_segment_buffer 1
		.amdhsa_user_sgpr_dispatch_ptr 0
		.amdhsa_user_sgpr_queue_ptr 0
		.amdhsa_user_sgpr_kernarg_segment_ptr 1
		.amdhsa_user_sgpr_dispatch_id 0
		.amdhsa_user_sgpr_flat_scratch_init 0
		.amdhsa_user_sgpr_private_segment_size 0
		.amdhsa_wavefront_size32 1
		.amdhsa_uses_dynamic_stack 0
		.amdhsa_system_sgpr_private_segment_wavefront_offset 0
		.amdhsa_system_sgpr_workgroup_id_x 1
		.amdhsa_system_sgpr_workgroup_id_y 0
		.amdhsa_system_sgpr_workgroup_id_z 0
		.amdhsa_system_sgpr_workgroup_info 0
		.amdhsa_system_vgpr_workitem_id 0
		.amdhsa_next_free_vgpr 1
		.amdhsa_next_free_sgpr 1
		.amdhsa_reserve_vcc 0
		.amdhsa_reserve_flat_scratch 0
		.amdhsa_float_round_mode_32 0
		.amdhsa_float_round_mode_16_64 0
		.amdhsa_float_denorm_mode_32 3
		.amdhsa_float_denorm_mode_16_64 3
		.amdhsa_dx10_clamp 1
		.amdhsa_ieee_mode 1
		.amdhsa_fp16_overflow 0
		.amdhsa_workgroup_processor_mode 1
		.amdhsa_memory_ordered 1
		.amdhsa_forward_progress 1
		.amdhsa_shared_vgpr_count 0
		.amdhsa_exception_fp_ieee_invalid_op 0
		.amdhsa_exception_fp_denorm_src 0
		.amdhsa_exception_fp_ieee_div_zero 0
		.amdhsa_exception_fp_ieee_overflow 0
		.amdhsa_exception_fp_ieee_underflow 0
		.amdhsa_exception_fp_ieee_inexact 0
		.amdhsa_exception_int_div_zero 0
	.end_amdhsa_kernel
	.section	.text._ZN7rocprim17ROCPRIM_400000_NS6detail17trampoline_kernelINS0_13select_configILj256ELj13ELNS0_17block_load_methodE3ELS4_3ELS4_3ELNS0_20block_scan_algorithmE0ELj4294967295EEENS1_25partition_config_selectorILNS1_17partition_subalgoE3EjNS0_10empty_typeEbEEZZNS1_14partition_implILS8_3ELb0ES6_jNS0_17counting_iteratorIjlEEPS9_SE_NS0_5tupleIJPjSE_EEENSF_IJSE_SE_EEES9_SG_JZNS1_25segmented_radix_sort_implINS0_14default_configELb1EPKsPsPKlPlN2at6native12_GLOBAL__N_18offset_tEEE10hipError_tPvRmT1_PNSt15iterator_traitsISY_E10value_typeET2_T3_PNSZ_IS14_E10value_typeET4_jRbjT5_S1A_jjP12ihipStream_tbEUljE_EEESV_SW_SX_S14_S18_S1A_T6_T7_T9_mT8_S1C_bDpT10_ENKUlT_T0_E_clISt17integral_constantIbLb1EES1P_EEDaS1K_S1L_EUlS1K_E_NS1_11comp_targetILNS1_3genE8ELNS1_11target_archE1030ELNS1_3gpuE2ELNS1_3repE0EEENS1_30default_config_static_selectorELNS0_4arch9wavefront6targetE0EEEvSY_,"axG",@progbits,_ZN7rocprim17ROCPRIM_400000_NS6detail17trampoline_kernelINS0_13select_configILj256ELj13ELNS0_17block_load_methodE3ELS4_3ELS4_3ELNS0_20block_scan_algorithmE0ELj4294967295EEENS1_25partition_config_selectorILNS1_17partition_subalgoE3EjNS0_10empty_typeEbEEZZNS1_14partition_implILS8_3ELb0ES6_jNS0_17counting_iteratorIjlEEPS9_SE_NS0_5tupleIJPjSE_EEENSF_IJSE_SE_EEES9_SG_JZNS1_25segmented_radix_sort_implINS0_14default_configELb1EPKsPsPKlPlN2at6native12_GLOBAL__N_18offset_tEEE10hipError_tPvRmT1_PNSt15iterator_traitsISY_E10value_typeET2_T3_PNSZ_IS14_E10value_typeET4_jRbjT5_S1A_jjP12ihipStream_tbEUljE_EEESV_SW_SX_S14_S18_S1A_T6_T7_T9_mT8_S1C_bDpT10_ENKUlT_T0_E_clISt17integral_constantIbLb1EES1P_EEDaS1K_S1L_EUlS1K_E_NS1_11comp_targetILNS1_3genE8ELNS1_11target_archE1030ELNS1_3gpuE2ELNS1_3repE0EEENS1_30default_config_static_selectorELNS0_4arch9wavefront6targetE0EEEvSY_,comdat
.Lfunc_end888:
	.size	_ZN7rocprim17ROCPRIM_400000_NS6detail17trampoline_kernelINS0_13select_configILj256ELj13ELNS0_17block_load_methodE3ELS4_3ELS4_3ELNS0_20block_scan_algorithmE0ELj4294967295EEENS1_25partition_config_selectorILNS1_17partition_subalgoE3EjNS0_10empty_typeEbEEZZNS1_14partition_implILS8_3ELb0ES6_jNS0_17counting_iteratorIjlEEPS9_SE_NS0_5tupleIJPjSE_EEENSF_IJSE_SE_EEES9_SG_JZNS1_25segmented_radix_sort_implINS0_14default_configELb1EPKsPsPKlPlN2at6native12_GLOBAL__N_18offset_tEEE10hipError_tPvRmT1_PNSt15iterator_traitsISY_E10value_typeET2_T3_PNSZ_IS14_E10value_typeET4_jRbjT5_S1A_jjP12ihipStream_tbEUljE_EEESV_SW_SX_S14_S18_S1A_T6_T7_T9_mT8_S1C_bDpT10_ENKUlT_T0_E_clISt17integral_constantIbLb1EES1P_EEDaS1K_S1L_EUlS1K_E_NS1_11comp_targetILNS1_3genE8ELNS1_11target_archE1030ELNS1_3gpuE2ELNS1_3repE0EEENS1_30default_config_static_selectorELNS0_4arch9wavefront6targetE0EEEvSY_, .Lfunc_end888-_ZN7rocprim17ROCPRIM_400000_NS6detail17trampoline_kernelINS0_13select_configILj256ELj13ELNS0_17block_load_methodE3ELS4_3ELS4_3ELNS0_20block_scan_algorithmE0ELj4294967295EEENS1_25partition_config_selectorILNS1_17partition_subalgoE3EjNS0_10empty_typeEbEEZZNS1_14partition_implILS8_3ELb0ES6_jNS0_17counting_iteratorIjlEEPS9_SE_NS0_5tupleIJPjSE_EEENSF_IJSE_SE_EEES9_SG_JZNS1_25segmented_radix_sort_implINS0_14default_configELb1EPKsPsPKlPlN2at6native12_GLOBAL__N_18offset_tEEE10hipError_tPvRmT1_PNSt15iterator_traitsISY_E10value_typeET2_T3_PNSZ_IS14_E10value_typeET4_jRbjT5_S1A_jjP12ihipStream_tbEUljE_EEESV_SW_SX_S14_S18_S1A_T6_T7_T9_mT8_S1C_bDpT10_ENKUlT_T0_E_clISt17integral_constantIbLb1EES1P_EEDaS1K_S1L_EUlS1K_E_NS1_11comp_targetILNS1_3genE8ELNS1_11target_archE1030ELNS1_3gpuE2ELNS1_3repE0EEENS1_30default_config_static_selectorELNS0_4arch9wavefront6targetE0EEEvSY_
                                        ; -- End function
	.set _ZN7rocprim17ROCPRIM_400000_NS6detail17trampoline_kernelINS0_13select_configILj256ELj13ELNS0_17block_load_methodE3ELS4_3ELS4_3ELNS0_20block_scan_algorithmE0ELj4294967295EEENS1_25partition_config_selectorILNS1_17partition_subalgoE3EjNS0_10empty_typeEbEEZZNS1_14partition_implILS8_3ELb0ES6_jNS0_17counting_iteratorIjlEEPS9_SE_NS0_5tupleIJPjSE_EEENSF_IJSE_SE_EEES9_SG_JZNS1_25segmented_radix_sort_implINS0_14default_configELb1EPKsPsPKlPlN2at6native12_GLOBAL__N_18offset_tEEE10hipError_tPvRmT1_PNSt15iterator_traitsISY_E10value_typeET2_T3_PNSZ_IS14_E10value_typeET4_jRbjT5_S1A_jjP12ihipStream_tbEUljE_EEESV_SW_SX_S14_S18_S1A_T6_T7_T9_mT8_S1C_bDpT10_ENKUlT_T0_E_clISt17integral_constantIbLb1EES1P_EEDaS1K_S1L_EUlS1K_E_NS1_11comp_targetILNS1_3genE8ELNS1_11target_archE1030ELNS1_3gpuE2ELNS1_3repE0EEENS1_30default_config_static_selectorELNS0_4arch9wavefront6targetE0EEEvSY_.num_vgpr, 0
	.set _ZN7rocprim17ROCPRIM_400000_NS6detail17trampoline_kernelINS0_13select_configILj256ELj13ELNS0_17block_load_methodE3ELS4_3ELS4_3ELNS0_20block_scan_algorithmE0ELj4294967295EEENS1_25partition_config_selectorILNS1_17partition_subalgoE3EjNS0_10empty_typeEbEEZZNS1_14partition_implILS8_3ELb0ES6_jNS0_17counting_iteratorIjlEEPS9_SE_NS0_5tupleIJPjSE_EEENSF_IJSE_SE_EEES9_SG_JZNS1_25segmented_radix_sort_implINS0_14default_configELb1EPKsPsPKlPlN2at6native12_GLOBAL__N_18offset_tEEE10hipError_tPvRmT1_PNSt15iterator_traitsISY_E10value_typeET2_T3_PNSZ_IS14_E10value_typeET4_jRbjT5_S1A_jjP12ihipStream_tbEUljE_EEESV_SW_SX_S14_S18_S1A_T6_T7_T9_mT8_S1C_bDpT10_ENKUlT_T0_E_clISt17integral_constantIbLb1EES1P_EEDaS1K_S1L_EUlS1K_E_NS1_11comp_targetILNS1_3genE8ELNS1_11target_archE1030ELNS1_3gpuE2ELNS1_3repE0EEENS1_30default_config_static_selectorELNS0_4arch9wavefront6targetE0EEEvSY_.num_agpr, 0
	.set _ZN7rocprim17ROCPRIM_400000_NS6detail17trampoline_kernelINS0_13select_configILj256ELj13ELNS0_17block_load_methodE3ELS4_3ELS4_3ELNS0_20block_scan_algorithmE0ELj4294967295EEENS1_25partition_config_selectorILNS1_17partition_subalgoE3EjNS0_10empty_typeEbEEZZNS1_14partition_implILS8_3ELb0ES6_jNS0_17counting_iteratorIjlEEPS9_SE_NS0_5tupleIJPjSE_EEENSF_IJSE_SE_EEES9_SG_JZNS1_25segmented_radix_sort_implINS0_14default_configELb1EPKsPsPKlPlN2at6native12_GLOBAL__N_18offset_tEEE10hipError_tPvRmT1_PNSt15iterator_traitsISY_E10value_typeET2_T3_PNSZ_IS14_E10value_typeET4_jRbjT5_S1A_jjP12ihipStream_tbEUljE_EEESV_SW_SX_S14_S18_S1A_T6_T7_T9_mT8_S1C_bDpT10_ENKUlT_T0_E_clISt17integral_constantIbLb1EES1P_EEDaS1K_S1L_EUlS1K_E_NS1_11comp_targetILNS1_3genE8ELNS1_11target_archE1030ELNS1_3gpuE2ELNS1_3repE0EEENS1_30default_config_static_selectorELNS0_4arch9wavefront6targetE0EEEvSY_.numbered_sgpr, 0
	.set _ZN7rocprim17ROCPRIM_400000_NS6detail17trampoline_kernelINS0_13select_configILj256ELj13ELNS0_17block_load_methodE3ELS4_3ELS4_3ELNS0_20block_scan_algorithmE0ELj4294967295EEENS1_25partition_config_selectorILNS1_17partition_subalgoE3EjNS0_10empty_typeEbEEZZNS1_14partition_implILS8_3ELb0ES6_jNS0_17counting_iteratorIjlEEPS9_SE_NS0_5tupleIJPjSE_EEENSF_IJSE_SE_EEES9_SG_JZNS1_25segmented_radix_sort_implINS0_14default_configELb1EPKsPsPKlPlN2at6native12_GLOBAL__N_18offset_tEEE10hipError_tPvRmT1_PNSt15iterator_traitsISY_E10value_typeET2_T3_PNSZ_IS14_E10value_typeET4_jRbjT5_S1A_jjP12ihipStream_tbEUljE_EEESV_SW_SX_S14_S18_S1A_T6_T7_T9_mT8_S1C_bDpT10_ENKUlT_T0_E_clISt17integral_constantIbLb1EES1P_EEDaS1K_S1L_EUlS1K_E_NS1_11comp_targetILNS1_3genE8ELNS1_11target_archE1030ELNS1_3gpuE2ELNS1_3repE0EEENS1_30default_config_static_selectorELNS0_4arch9wavefront6targetE0EEEvSY_.num_named_barrier, 0
	.set _ZN7rocprim17ROCPRIM_400000_NS6detail17trampoline_kernelINS0_13select_configILj256ELj13ELNS0_17block_load_methodE3ELS4_3ELS4_3ELNS0_20block_scan_algorithmE0ELj4294967295EEENS1_25partition_config_selectorILNS1_17partition_subalgoE3EjNS0_10empty_typeEbEEZZNS1_14partition_implILS8_3ELb0ES6_jNS0_17counting_iteratorIjlEEPS9_SE_NS0_5tupleIJPjSE_EEENSF_IJSE_SE_EEES9_SG_JZNS1_25segmented_radix_sort_implINS0_14default_configELb1EPKsPsPKlPlN2at6native12_GLOBAL__N_18offset_tEEE10hipError_tPvRmT1_PNSt15iterator_traitsISY_E10value_typeET2_T3_PNSZ_IS14_E10value_typeET4_jRbjT5_S1A_jjP12ihipStream_tbEUljE_EEESV_SW_SX_S14_S18_S1A_T6_T7_T9_mT8_S1C_bDpT10_ENKUlT_T0_E_clISt17integral_constantIbLb1EES1P_EEDaS1K_S1L_EUlS1K_E_NS1_11comp_targetILNS1_3genE8ELNS1_11target_archE1030ELNS1_3gpuE2ELNS1_3repE0EEENS1_30default_config_static_selectorELNS0_4arch9wavefront6targetE0EEEvSY_.private_seg_size, 0
	.set _ZN7rocprim17ROCPRIM_400000_NS6detail17trampoline_kernelINS0_13select_configILj256ELj13ELNS0_17block_load_methodE3ELS4_3ELS4_3ELNS0_20block_scan_algorithmE0ELj4294967295EEENS1_25partition_config_selectorILNS1_17partition_subalgoE3EjNS0_10empty_typeEbEEZZNS1_14partition_implILS8_3ELb0ES6_jNS0_17counting_iteratorIjlEEPS9_SE_NS0_5tupleIJPjSE_EEENSF_IJSE_SE_EEES9_SG_JZNS1_25segmented_radix_sort_implINS0_14default_configELb1EPKsPsPKlPlN2at6native12_GLOBAL__N_18offset_tEEE10hipError_tPvRmT1_PNSt15iterator_traitsISY_E10value_typeET2_T3_PNSZ_IS14_E10value_typeET4_jRbjT5_S1A_jjP12ihipStream_tbEUljE_EEESV_SW_SX_S14_S18_S1A_T6_T7_T9_mT8_S1C_bDpT10_ENKUlT_T0_E_clISt17integral_constantIbLb1EES1P_EEDaS1K_S1L_EUlS1K_E_NS1_11comp_targetILNS1_3genE8ELNS1_11target_archE1030ELNS1_3gpuE2ELNS1_3repE0EEENS1_30default_config_static_selectorELNS0_4arch9wavefront6targetE0EEEvSY_.uses_vcc, 0
	.set _ZN7rocprim17ROCPRIM_400000_NS6detail17trampoline_kernelINS0_13select_configILj256ELj13ELNS0_17block_load_methodE3ELS4_3ELS4_3ELNS0_20block_scan_algorithmE0ELj4294967295EEENS1_25partition_config_selectorILNS1_17partition_subalgoE3EjNS0_10empty_typeEbEEZZNS1_14partition_implILS8_3ELb0ES6_jNS0_17counting_iteratorIjlEEPS9_SE_NS0_5tupleIJPjSE_EEENSF_IJSE_SE_EEES9_SG_JZNS1_25segmented_radix_sort_implINS0_14default_configELb1EPKsPsPKlPlN2at6native12_GLOBAL__N_18offset_tEEE10hipError_tPvRmT1_PNSt15iterator_traitsISY_E10value_typeET2_T3_PNSZ_IS14_E10value_typeET4_jRbjT5_S1A_jjP12ihipStream_tbEUljE_EEESV_SW_SX_S14_S18_S1A_T6_T7_T9_mT8_S1C_bDpT10_ENKUlT_T0_E_clISt17integral_constantIbLb1EES1P_EEDaS1K_S1L_EUlS1K_E_NS1_11comp_targetILNS1_3genE8ELNS1_11target_archE1030ELNS1_3gpuE2ELNS1_3repE0EEENS1_30default_config_static_selectorELNS0_4arch9wavefront6targetE0EEEvSY_.uses_flat_scratch, 0
	.set _ZN7rocprim17ROCPRIM_400000_NS6detail17trampoline_kernelINS0_13select_configILj256ELj13ELNS0_17block_load_methodE3ELS4_3ELS4_3ELNS0_20block_scan_algorithmE0ELj4294967295EEENS1_25partition_config_selectorILNS1_17partition_subalgoE3EjNS0_10empty_typeEbEEZZNS1_14partition_implILS8_3ELb0ES6_jNS0_17counting_iteratorIjlEEPS9_SE_NS0_5tupleIJPjSE_EEENSF_IJSE_SE_EEES9_SG_JZNS1_25segmented_radix_sort_implINS0_14default_configELb1EPKsPsPKlPlN2at6native12_GLOBAL__N_18offset_tEEE10hipError_tPvRmT1_PNSt15iterator_traitsISY_E10value_typeET2_T3_PNSZ_IS14_E10value_typeET4_jRbjT5_S1A_jjP12ihipStream_tbEUljE_EEESV_SW_SX_S14_S18_S1A_T6_T7_T9_mT8_S1C_bDpT10_ENKUlT_T0_E_clISt17integral_constantIbLb1EES1P_EEDaS1K_S1L_EUlS1K_E_NS1_11comp_targetILNS1_3genE8ELNS1_11target_archE1030ELNS1_3gpuE2ELNS1_3repE0EEENS1_30default_config_static_selectorELNS0_4arch9wavefront6targetE0EEEvSY_.has_dyn_sized_stack, 0
	.set _ZN7rocprim17ROCPRIM_400000_NS6detail17trampoline_kernelINS0_13select_configILj256ELj13ELNS0_17block_load_methodE3ELS4_3ELS4_3ELNS0_20block_scan_algorithmE0ELj4294967295EEENS1_25partition_config_selectorILNS1_17partition_subalgoE3EjNS0_10empty_typeEbEEZZNS1_14partition_implILS8_3ELb0ES6_jNS0_17counting_iteratorIjlEEPS9_SE_NS0_5tupleIJPjSE_EEENSF_IJSE_SE_EEES9_SG_JZNS1_25segmented_radix_sort_implINS0_14default_configELb1EPKsPsPKlPlN2at6native12_GLOBAL__N_18offset_tEEE10hipError_tPvRmT1_PNSt15iterator_traitsISY_E10value_typeET2_T3_PNSZ_IS14_E10value_typeET4_jRbjT5_S1A_jjP12ihipStream_tbEUljE_EEESV_SW_SX_S14_S18_S1A_T6_T7_T9_mT8_S1C_bDpT10_ENKUlT_T0_E_clISt17integral_constantIbLb1EES1P_EEDaS1K_S1L_EUlS1K_E_NS1_11comp_targetILNS1_3genE8ELNS1_11target_archE1030ELNS1_3gpuE2ELNS1_3repE0EEENS1_30default_config_static_selectorELNS0_4arch9wavefront6targetE0EEEvSY_.has_recursion, 0
	.set _ZN7rocprim17ROCPRIM_400000_NS6detail17trampoline_kernelINS0_13select_configILj256ELj13ELNS0_17block_load_methodE3ELS4_3ELS4_3ELNS0_20block_scan_algorithmE0ELj4294967295EEENS1_25partition_config_selectorILNS1_17partition_subalgoE3EjNS0_10empty_typeEbEEZZNS1_14partition_implILS8_3ELb0ES6_jNS0_17counting_iteratorIjlEEPS9_SE_NS0_5tupleIJPjSE_EEENSF_IJSE_SE_EEES9_SG_JZNS1_25segmented_radix_sort_implINS0_14default_configELb1EPKsPsPKlPlN2at6native12_GLOBAL__N_18offset_tEEE10hipError_tPvRmT1_PNSt15iterator_traitsISY_E10value_typeET2_T3_PNSZ_IS14_E10value_typeET4_jRbjT5_S1A_jjP12ihipStream_tbEUljE_EEESV_SW_SX_S14_S18_S1A_T6_T7_T9_mT8_S1C_bDpT10_ENKUlT_T0_E_clISt17integral_constantIbLb1EES1P_EEDaS1K_S1L_EUlS1K_E_NS1_11comp_targetILNS1_3genE8ELNS1_11target_archE1030ELNS1_3gpuE2ELNS1_3repE0EEENS1_30default_config_static_selectorELNS0_4arch9wavefront6targetE0EEEvSY_.has_indirect_call, 0
	.section	.AMDGPU.csdata,"",@progbits
; Kernel info:
; codeLenInByte = 4
; TotalNumSgprs: 0
; NumVgprs: 0
; ScratchSize: 0
; MemoryBound: 0
; FloatMode: 240
; IeeeMode: 1
; LDSByteSize: 0 bytes/workgroup (compile time only)
; SGPRBlocks: 0
; VGPRBlocks: 0
; NumSGPRsForWavesPerEU: 1
; NumVGPRsForWavesPerEU: 1
; Occupancy: 16
; WaveLimiterHint : 0
; COMPUTE_PGM_RSRC2:SCRATCH_EN: 0
; COMPUTE_PGM_RSRC2:USER_SGPR: 6
; COMPUTE_PGM_RSRC2:TRAP_HANDLER: 0
; COMPUTE_PGM_RSRC2:TGID_X_EN: 1
; COMPUTE_PGM_RSRC2:TGID_Y_EN: 0
; COMPUTE_PGM_RSRC2:TGID_Z_EN: 0
; COMPUTE_PGM_RSRC2:TIDIG_COMP_CNT: 0
	.section	.text._ZN7rocprim17ROCPRIM_400000_NS6detail17trampoline_kernelINS0_13select_configILj256ELj13ELNS0_17block_load_methodE3ELS4_3ELS4_3ELNS0_20block_scan_algorithmE0ELj4294967295EEENS1_25partition_config_selectorILNS1_17partition_subalgoE3EjNS0_10empty_typeEbEEZZNS1_14partition_implILS8_3ELb0ES6_jNS0_17counting_iteratorIjlEEPS9_SE_NS0_5tupleIJPjSE_EEENSF_IJSE_SE_EEES9_SG_JZNS1_25segmented_radix_sort_implINS0_14default_configELb1EPKsPsPKlPlN2at6native12_GLOBAL__N_18offset_tEEE10hipError_tPvRmT1_PNSt15iterator_traitsISY_E10value_typeET2_T3_PNSZ_IS14_E10value_typeET4_jRbjT5_S1A_jjP12ihipStream_tbEUljE_EEESV_SW_SX_S14_S18_S1A_T6_T7_T9_mT8_S1C_bDpT10_ENKUlT_T0_E_clISt17integral_constantIbLb1EES1O_IbLb0EEEEDaS1K_S1L_EUlS1K_E_NS1_11comp_targetILNS1_3genE0ELNS1_11target_archE4294967295ELNS1_3gpuE0ELNS1_3repE0EEENS1_30default_config_static_selectorELNS0_4arch9wavefront6targetE0EEEvSY_,"axG",@progbits,_ZN7rocprim17ROCPRIM_400000_NS6detail17trampoline_kernelINS0_13select_configILj256ELj13ELNS0_17block_load_methodE3ELS4_3ELS4_3ELNS0_20block_scan_algorithmE0ELj4294967295EEENS1_25partition_config_selectorILNS1_17partition_subalgoE3EjNS0_10empty_typeEbEEZZNS1_14partition_implILS8_3ELb0ES6_jNS0_17counting_iteratorIjlEEPS9_SE_NS0_5tupleIJPjSE_EEENSF_IJSE_SE_EEES9_SG_JZNS1_25segmented_radix_sort_implINS0_14default_configELb1EPKsPsPKlPlN2at6native12_GLOBAL__N_18offset_tEEE10hipError_tPvRmT1_PNSt15iterator_traitsISY_E10value_typeET2_T3_PNSZ_IS14_E10value_typeET4_jRbjT5_S1A_jjP12ihipStream_tbEUljE_EEESV_SW_SX_S14_S18_S1A_T6_T7_T9_mT8_S1C_bDpT10_ENKUlT_T0_E_clISt17integral_constantIbLb1EES1O_IbLb0EEEEDaS1K_S1L_EUlS1K_E_NS1_11comp_targetILNS1_3genE0ELNS1_11target_archE4294967295ELNS1_3gpuE0ELNS1_3repE0EEENS1_30default_config_static_selectorELNS0_4arch9wavefront6targetE0EEEvSY_,comdat
	.globl	_ZN7rocprim17ROCPRIM_400000_NS6detail17trampoline_kernelINS0_13select_configILj256ELj13ELNS0_17block_load_methodE3ELS4_3ELS4_3ELNS0_20block_scan_algorithmE0ELj4294967295EEENS1_25partition_config_selectorILNS1_17partition_subalgoE3EjNS0_10empty_typeEbEEZZNS1_14partition_implILS8_3ELb0ES6_jNS0_17counting_iteratorIjlEEPS9_SE_NS0_5tupleIJPjSE_EEENSF_IJSE_SE_EEES9_SG_JZNS1_25segmented_radix_sort_implINS0_14default_configELb1EPKsPsPKlPlN2at6native12_GLOBAL__N_18offset_tEEE10hipError_tPvRmT1_PNSt15iterator_traitsISY_E10value_typeET2_T3_PNSZ_IS14_E10value_typeET4_jRbjT5_S1A_jjP12ihipStream_tbEUljE_EEESV_SW_SX_S14_S18_S1A_T6_T7_T9_mT8_S1C_bDpT10_ENKUlT_T0_E_clISt17integral_constantIbLb1EES1O_IbLb0EEEEDaS1K_S1L_EUlS1K_E_NS1_11comp_targetILNS1_3genE0ELNS1_11target_archE4294967295ELNS1_3gpuE0ELNS1_3repE0EEENS1_30default_config_static_selectorELNS0_4arch9wavefront6targetE0EEEvSY_ ; -- Begin function _ZN7rocprim17ROCPRIM_400000_NS6detail17trampoline_kernelINS0_13select_configILj256ELj13ELNS0_17block_load_methodE3ELS4_3ELS4_3ELNS0_20block_scan_algorithmE0ELj4294967295EEENS1_25partition_config_selectorILNS1_17partition_subalgoE3EjNS0_10empty_typeEbEEZZNS1_14partition_implILS8_3ELb0ES6_jNS0_17counting_iteratorIjlEEPS9_SE_NS0_5tupleIJPjSE_EEENSF_IJSE_SE_EEES9_SG_JZNS1_25segmented_radix_sort_implINS0_14default_configELb1EPKsPsPKlPlN2at6native12_GLOBAL__N_18offset_tEEE10hipError_tPvRmT1_PNSt15iterator_traitsISY_E10value_typeET2_T3_PNSZ_IS14_E10value_typeET4_jRbjT5_S1A_jjP12ihipStream_tbEUljE_EEESV_SW_SX_S14_S18_S1A_T6_T7_T9_mT8_S1C_bDpT10_ENKUlT_T0_E_clISt17integral_constantIbLb1EES1O_IbLb0EEEEDaS1K_S1L_EUlS1K_E_NS1_11comp_targetILNS1_3genE0ELNS1_11target_archE4294967295ELNS1_3gpuE0ELNS1_3repE0EEENS1_30default_config_static_selectorELNS0_4arch9wavefront6targetE0EEEvSY_
	.p2align	8
	.type	_ZN7rocprim17ROCPRIM_400000_NS6detail17trampoline_kernelINS0_13select_configILj256ELj13ELNS0_17block_load_methodE3ELS4_3ELS4_3ELNS0_20block_scan_algorithmE0ELj4294967295EEENS1_25partition_config_selectorILNS1_17partition_subalgoE3EjNS0_10empty_typeEbEEZZNS1_14partition_implILS8_3ELb0ES6_jNS0_17counting_iteratorIjlEEPS9_SE_NS0_5tupleIJPjSE_EEENSF_IJSE_SE_EEES9_SG_JZNS1_25segmented_radix_sort_implINS0_14default_configELb1EPKsPsPKlPlN2at6native12_GLOBAL__N_18offset_tEEE10hipError_tPvRmT1_PNSt15iterator_traitsISY_E10value_typeET2_T3_PNSZ_IS14_E10value_typeET4_jRbjT5_S1A_jjP12ihipStream_tbEUljE_EEESV_SW_SX_S14_S18_S1A_T6_T7_T9_mT8_S1C_bDpT10_ENKUlT_T0_E_clISt17integral_constantIbLb1EES1O_IbLb0EEEEDaS1K_S1L_EUlS1K_E_NS1_11comp_targetILNS1_3genE0ELNS1_11target_archE4294967295ELNS1_3gpuE0ELNS1_3repE0EEENS1_30default_config_static_selectorELNS0_4arch9wavefront6targetE0EEEvSY_,@function
_ZN7rocprim17ROCPRIM_400000_NS6detail17trampoline_kernelINS0_13select_configILj256ELj13ELNS0_17block_load_methodE3ELS4_3ELS4_3ELNS0_20block_scan_algorithmE0ELj4294967295EEENS1_25partition_config_selectorILNS1_17partition_subalgoE3EjNS0_10empty_typeEbEEZZNS1_14partition_implILS8_3ELb0ES6_jNS0_17counting_iteratorIjlEEPS9_SE_NS0_5tupleIJPjSE_EEENSF_IJSE_SE_EEES9_SG_JZNS1_25segmented_radix_sort_implINS0_14default_configELb1EPKsPsPKlPlN2at6native12_GLOBAL__N_18offset_tEEE10hipError_tPvRmT1_PNSt15iterator_traitsISY_E10value_typeET2_T3_PNSZ_IS14_E10value_typeET4_jRbjT5_S1A_jjP12ihipStream_tbEUljE_EEESV_SW_SX_S14_S18_S1A_T6_T7_T9_mT8_S1C_bDpT10_ENKUlT_T0_E_clISt17integral_constantIbLb1EES1O_IbLb0EEEEDaS1K_S1L_EUlS1K_E_NS1_11comp_targetILNS1_3genE0ELNS1_11target_archE4294967295ELNS1_3gpuE0ELNS1_3repE0EEENS1_30default_config_static_selectorELNS0_4arch9wavefront6targetE0EEEvSY_: ; @_ZN7rocprim17ROCPRIM_400000_NS6detail17trampoline_kernelINS0_13select_configILj256ELj13ELNS0_17block_load_methodE3ELS4_3ELS4_3ELNS0_20block_scan_algorithmE0ELj4294967295EEENS1_25partition_config_selectorILNS1_17partition_subalgoE3EjNS0_10empty_typeEbEEZZNS1_14partition_implILS8_3ELb0ES6_jNS0_17counting_iteratorIjlEEPS9_SE_NS0_5tupleIJPjSE_EEENSF_IJSE_SE_EEES9_SG_JZNS1_25segmented_radix_sort_implINS0_14default_configELb1EPKsPsPKlPlN2at6native12_GLOBAL__N_18offset_tEEE10hipError_tPvRmT1_PNSt15iterator_traitsISY_E10value_typeET2_T3_PNSZ_IS14_E10value_typeET4_jRbjT5_S1A_jjP12ihipStream_tbEUljE_EEESV_SW_SX_S14_S18_S1A_T6_T7_T9_mT8_S1C_bDpT10_ENKUlT_T0_E_clISt17integral_constantIbLb1EES1O_IbLb0EEEEDaS1K_S1L_EUlS1K_E_NS1_11comp_targetILNS1_3genE0ELNS1_11target_archE4294967295ELNS1_3gpuE0ELNS1_3repE0EEENS1_30default_config_static_selectorELNS0_4arch9wavefront6targetE0EEEvSY_
; %bb.0:
	.section	.rodata,"a",@progbits
	.p2align	6, 0x0
	.amdhsa_kernel _ZN7rocprim17ROCPRIM_400000_NS6detail17trampoline_kernelINS0_13select_configILj256ELj13ELNS0_17block_load_methodE3ELS4_3ELS4_3ELNS0_20block_scan_algorithmE0ELj4294967295EEENS1_25partition_config_selectorILNS1_17partition_subalgoE3EjNS0_10empty_typeEbEEZZNS1_14partition_implILS8_3ELb0ES6_jNS0_17counting_iteratorIjlEEPS9_SE_NS0_5tupleIJPjSE_EEENSF_IJSE_SE_EEES9_SG_JZNS1_25segmented_radix_sort_implINS0_14default_configELb1EPKsPsPKlPlN2at6native12_GLOBAL__N_18offset_tEEE10hipError_tPvRmT1_PNSt15iterator_traitsISY_E10value_typeET2_T3_PNSZ_IS14_E10value_typeET4_jRbjT5_S1A_jjP12ihipStream_tbEUljE_EEESV_SW_SX_S14_S18_S1A_T6_T7_T9_mT8_S1C_bDpT10_ENKUlT_T0_E_clISt17integral_constantIbLb1EES1O_IbLb0EEEEDaS1K_S1L_EUlS1K_E_NS1_11comp_targetILNS1_3genE0ELNS1_11target_archE4294967295ELNS1_3gpuE0ELNS1_3repE0EEENS1_30default_config_static_selectorELNS0_4arch9wavefront6targetE0EEEvSY_
		.amdhsa_group_segment_fixed_size 0
		.amdhsa_private_segment_fixed_size 0
		.amdhsa_kernarg_size 144
		.amdhsa_user_sgpr_count 6
		.amdhsa_user_sgpr_private_segment_buffer 1
		.amdhsa_user_sgpr_dispatch_ptr 0
		.amdhsa_user_sgpr_queue_ptr 0
		.amdhsa_user_sgpr_kernarg_segment_ptr 1
		.amdhsa_user_sgpr_dispatch_id 0
		.amdhsa_user_sgpr_flat_scratch_init 0
		.amdhsa_user_sgpr_private_segment_size 0
		.amdhsa_wavefront_size32 1
		.amdhsa_uses_dynamic_stack 0
		.amdhsa_system_sgpr_private_segment_wavefront_offset 0
		.amdhsa_system_sgpr_workgroup_id_x 1
		.amdhsa_system_sgpr_workgroup_id_y 0
		.amdhsa_system_sgpr_workgroup_id_z 0
		.amdhsa_system_sgpr_workgroup_info 0
		.amdhsa_system_vgpr_workitem_id 0
		.amdhsa_next_free_vgpr 1
		.amdhsa_next_free_sgpr 1
		.amdhsa_reserve_vcc 0
		.amdhsa_reserve_flat_scratch 0
		.amdhsa_float_round_mode_32 0
		.amdhsa_float_round_mode_16_64 0
		.amdhsa_float_denorm_mode_32 3
		.amdhsa_float_denorm_mode_16_64 3
		.amdhsa_dx10_clamp 1
		.amdhsa_ieee_mode 1
		.amdhsa_fp16_overflow 0
		.amdhsa_workgroup_processor_mode 1
		.amdhsa_memory_ordered 1
		.amdhsa_forward_progress 1
		.amdhsa_shared_vgpr_count 0
		.amdhsa_exception_fp_ieee_invalid_op 0
		.amdhsa_exception_fp_denorm_src 0
		.amdhsa_exception_fp_ieee_div_zero 0
		.amdhsa_exception_fp_ieee_overflow 0
		.amdhsa_exception_fp_ieee_underflow 0
		.amdhsa_exception_fp_ieee_inexact 0
		.amdhsa_exception_int_div_zero 0
	.end_amdhsa_kernel
	.section	.text._ZN7rocprim17ROCPRIM_400000_NS6detail17trampoline_kernelINS0_13select_configILj256ELj13ELNS0_17block_load_methodE3ELS4_3ELS4_3ELNS0_20block_scan_algorithmE0ELj4294967295EEENS1_25partition_config_selectorILNS1_17partition_subalgoE3EjNS0_10empty_typeEbEEZZNS1_14partition_implILS8_3ELb0ES6_jNS0_17counting_iteratorIjlEEPS9_SE_NS0_5tupleIJPjSE_EEENSF_IJSE_SE_EEES9_SG_JZNS1_25segmented_radix_sort_implINS0_14default_configELb1EPKsPsPKlPlN2at6native12_GLOBAL__N_18offset_tEEE10hipError_tPvRmT1_PNSt15iterator_traitsISY_E10value_typeET2_T3_PNSZ_IS14_E10value_typeET4_jRbjT5_S1A_jjP12ihipStream_tbEUljE_EEESV_SW_SX_S14_S18_S1A_T6_T7_T9_mT8_S1C_bDpT10_ENKUlT_T0_E_clISt17integral_constantIbLb1EES1O_IbLb0EEEEDaS1K_S1L_EUlS1K_E_NS1_11comp_targetILNS1_3genE0ELNS1_11target_archE4294967295ELNS1_3gpuE0ELNS1_3repE0EEENS1_30default_config_static_selectorELNS0_4arch9wavefront6targetE0EEEvSY_,"axG",@progbits,_ZN7rocprim17ROCPRIM_400000_NS6detail17trampoline_kernelINS0_13select_configILj256ELj13ELNS0_17block_load_methodE3ELS4_3ELS4_3ELNS0_20block_scan_algorithmE0ELj4294967295EEENS1_25partition_config_selectorILNS1_17partition_subalgoE3EjNS0_10empty_typeEbEEZZNS1_14partition_implILS8_3ELb0ES6_jNS0_17counting_iteratorIjlEEPS9_SE_NS0_5tupleIJPjSE_EEENSF_IJSE_SE_EEES9_SG_JZNS1_25segmented_radix_sort_implINS0_14default_configELb1EPKsPsPKlPlN2at6native12_GLOBAL__N_18offset_tEEE10hipError_tPvRmT1_PNSt15iterator_traitsISY_E10value_typeET2_T3_PNSZ_IS14_E10value_typeET4_jRbjT5_S1A_jjP12ihipStream_tbEUljE_EEESV_SW_SX_S14_S18_S1A_T6_T7_T9_mT8_S1C_bDpT10_ENKUlT_T0_E_clISt17integral_constantIbLb1EES1O_IbLb0EEEEDaS1K_S1L_EUlS1K_E_NS1_11comp_targetILNS1_3genE0ELNS1_11target_archE4294967295ELNS1_3gpuE0ELNS1_3repE0EEENS1_30default_config_static_selectorELNS0_4arch9wavefront6targetE0EEEvSY_,comdat
.Lfunc_end889:
	.size	_ZN7rocprim17ROCPRIM_400000_NS6detail17trampoline_kernelINS0_13select_configILj256ELj13ELNS0_17block_load_methodE3ELS4_3ELS4_3ELNS0_20block_scan_algorithmE0ELj4294967295EEENS1_25partition_config_selectorILNS1_17partition_subalgoE3EjNS0_10empty_typeEbEEZZNS1_14partition_implILS8_3ELb0ES6_jNS0_17counting_iteratorIjlEEPS9_SE_NS0_5tupleIJPjSE_EEENSF_IJSE_SE_EEES9_SG_JZNS1_25segmented_radix_sort_implINS0_14default_configELb1EPKsPsPKlPlN2at6native12_GLOBAL__N_18offset_tEEE10hipError_tPvRmT1_PNSt15iterator_traitsISY_E10value_typeET2_T3_PNSZ_IS14_E10value_typeET4_jRbjT5_S1A_jjP12ihipStream_tbEUljE_EEESV_SW_SX_S14_S18_S1A_T6_T7_T9_mT8_S1C_bDpT10_ENKUlT_T0_E_clISt17integral_constantIbLb1EES1O_IbLb0EEEEDaS1K_S1L_EUlS1K_E_NS1_11comp_targetILNS1_3genE0ELNS1_11target_archE4294967295ELNS1_3gpuE0ELNS1_3repE0EEENS1_30default_config_static_selectorELNS0_4arch9wavefront6targetE0EEEvSY_, .Lfunc_end889-_ZN7rocprim17ROCPRIM_400000_NS6detail17trampoline_kernelINS0_13select_configILj256ELj13ELNS0_17block_load_methodE3ELS4_3ELS4_3ELNS0_20block_scan_algorithmE0ELj4294967295EEENS1_25partition_config_selectorILNS1_17partition_subalgoE3EjNS0_10empty_typeEbEEZZNS1_14partition_implILS8_3ELb0ES6_jNS0_17counting_iteratorIjlEEPS9_SE_NS0_5tupleIJPjSE_EEENSF_IJSE_SE_EEES9_SG_JZNS1_25segmented_radix_sort_implINS0_14default_configELb1EPKsPsPKlPlN2at6native12_GLOBAL__N_18offset_tEEE10hipError_tPvRmT1_PNSt15iterator_traitsISY_E10value_typeET2_T3_PNSZ_IS14_E10value_typeET4_jRbjT5_S1A_jjP12ihipStream_tbEUljE_EEESV_SW_SX_S14_S18_S1A_T6_T7_T9_mT8_S1C_bDpT10_ENKUlT_T0_E_clISt17integral_constantIbLb1EES1O_IbLb0EEEEDaS1K_S1L_EUlS1K_E_NS1_11comp_targetILNS1_3genE0ELNS1_11target_archE4294967295ELNS1_3gpuE0ELNS1_3repE0EEENS1_30default_config_static_selectorELNS0_4arch9wavefront6targetE0EEEvSY_
                                        ; -- End function
	.set _ZN7rocprim17ROCPRIM_400000_NS6detail17trampoline_kernelINS0_13select_configILj256ELj13ELNS0_17block_load_methodE3ELS4_3ELS4_3ELNS0_20block_scan_algorithmE0ELj4294967295EEENS1_25partition_config_selectorILNS1_17partition_subalgoE3EjNS0_10empty_typeEbEEZZNS1_14partition_implILS8_3ELb0ES6_jNS0_17counting_iteratorIjlEEPS9_SE_NS0_5tupleIJPjSE_EEENSF_IJSE_SE_EEES9_SG_JZNS1_25segmented_radix_sort_implINS0_14default_configELb1EPKsPsPKlPlN2at6native12_GLOBAL__N_18offset_tEEE10hipError_tPvRmT1_PNSt15iterator_traitsISY_E10value_typeET2_T3_PNSZ_IS14_E10value_typeET4_jRbjT5_S1A_jjP12ihipStream_tbEUljE_EEESV_SW_SX_S14_S18_S1A_T6_T7_T9_mT8_S1C_bDpT10_ENKUlT_T0_E_clISt17integral_constantIbLb1EES1O_IbLb0EEEEDaS1K_S1L_EUlS1K_E_NS1_11comp_targetILNS1_3genE0ELNS1_11target_archE4294967295ELNS1_3gpuE0ELNS1_3repE0EEENS1_30default_config_static_selectorELNS0_4arch9wavefront6targetE0EEEvSY_.num_vgpr, 0
	.set _ZN7rocprim17ROCPRIM_400000_NS6detail17trampoline_kernelINS0_13select_configILj256ELj13ELNS0_17block_load_methodE3ELS4_3ELS4_3ELNS0_20block_scan_algorithmE0ELj4294967295EEENS1_25partition_config_selectorILNS1_17partition_subalgoE3EjNS0_10empty_typeEbEEZZNS1_14partition_implILS8_3ELb0ES6_jNS0_17counting_iteratorIjlEEPS9_SE_NS0_5tupleIJPjSE_EEENSF_IJSE_SE_EEES9_SG_JZNS1_25segmented_radix_sort_implINS0_14default_configELb1EPKsPsPKlPlN2at6native12_GLOBAL__N_18offset_tEEE10hipError_tPvRmT1_PNSt15iterator_traitsISY_E10value_typeET2_T3_PNSZ_IS14_E10value_typeET4_jRbjT5_S1A_jjP12ihipStream_tbEUljE_EEESV_SW_SX_S14_S18_S1A_T6_T7_T9_mT8_S1C_bDpT10_ENKUlT_T0_E_clISt17integral_constantIbLb1EES1O_IbLb0EEEEDaS1K_S1L_EUlS1K_E_NS1_11comp_targetILNS1_3genE0ELNS1_11target_archE4294967295ELNS1_3gpuE0ELNS1_3repE0EEENS1_30default_config_static_selectorELNS0_4arch9wavefront6targetE0EEEvSY_.num_agpr, 0
	.set _ZN7rocprim17ROCPRIM_400000_NS6detail17trampoline_kernelINS0_13select_configILj256ELj13ELNS0_17block_load_methodE3ELS4_3ELS4_3ELNS0_20block_scan_algorithmE0ELj4294967295EEENS1_25partition_config_selectorILNS1_17partition_subalgoE3EjNS0_10empty_typeEbEEZZNS1_14partition_implILS8_3ELb0ES6_jNS0_17counting_iteratorIjlEEPS9_SE_NS0_5tupleIJPjSE_EEENSF_IJSE_SE_EEES9_SG_JZNS1_25segmented_radix_sort_implINS0_14default_configELb1EPKsPsPKlPlN2at6native12_GLOBAL__N_18offset_tEEE10hipError_tPvRmT1_PNSt15iterator_traitsISY_E10value_typeET2_T3_PNSZ_IS14_E10value_typeET4_jRbjT5_S1A_jjP12ihipStream_tbEUljE_EEESV_SW_SX_S14_S18_S1A_T6_T7_T9_mT8_S1C_bDpT10_ENKUlT_T0_E_clISt17integral_constantIbLb1EES1O_IbLb0EEEEDaS1K_S1L_EUlS1K_E_NS1_11comp_targetILNS1_3genE0ELNS1_11target_archE4294967295ELNS1_3gpuE0ELNS1_3repE0EEENS1_30default_config_static_selectorELNS0_4arch9wavefront6targetE0EEEvSY_.numbered_sgpr, 0
	.set _ZN7rocprim17ROCPRIM_400000_NS6detail17trampoline_kernelINS0_13select_configILj256ELj13ELNS0_17block_load_methodE3ELS4_3ELS4_3ELNS0_20block_scan_algorithmE0ELj4294967295EEENS1_25partition_config_selectorILNS1_17partition_subalgoE3EjNS0_10empty_typeEbEEZZNS1_14partition_implILS8_3ELb0ES6_jNS0_17counting_iteratorIjlEEPS9_SE_NS0_5tupleIJPjSE_EEENSF_IJSE_SE_EEES9_SG_JZNS1_25segmented_radix_sort_implINS0_14default_configELb1EPKsPsPKlPlN2at6native12_GLOBAL__N_18offset_tEEE10hipError_tPvRmT1_PNSt15iterator_traitsISY_E10value_typeET2_T3_PNSZ_IS14_E10value_typeET4_jRbjT5_S1A_jjP12ihipStream_tbEUljE_EEESV_SW_SX_S14_S18_S1A_T6_T7_T9_mT8_S1C_bDpT10_ENKUlT_T0_E_clISt17integral_constantIbLb1EES1O_IbLb0EEEEDaS1K_S1L_EUlS1K_E_NS1_11comp_targetILNS1_3genE0ELNS1_11target_archE4294967295ELNS1_3gpuE0ELNS1_3repE0EEENS1_30default_config_static_selectorELNS0_4arch9wavefront6targetE0EEEvSY_.num_named_barrier, 0
	.set _ZN7rocprim17ROCPRIM_400000_NS6detail17trampoline_kernelINS0_13select_configILj256ELj13ELNS0_17block_load_methodE3ELS4_3ELS4_3ELNS0_20block_scan_algorithmE0ELj4294967295EEENS1_25partition_config_selectorILNS1_17partition_subalgoE3EjNS0_10empty_typeEbEEZZNS1_14partition_implILS8_3ELb0ES6_jNS0_17counting_iteratorIjlEEPS9_SE_NS0_5tupleIJPjSE_EEENSF_IJSE_SE_EEES9_SG_JZNS1_25segmented_radix_sort_implINS0_14default_configELb1EPKsPsPKlPlN2at6native12_GLOBAL__N_18offset_tEEE10hipError_tPvRmT1_PNSt15iterator_traitsISY_E10value_typeET2_T3_PNSZ_IS14_E10value_typeET4_jRbjT5_S1A_jjP12ihipStream_tbEUljE_EEESV_SW_SX_S14_S18_S1A_T6_T7_T9_mT8_S1C_bDpT10_ENKUlT_T0_E_clISt17integral_constantIbLb1EES1O_IbLb0EEEEDaS1K_S1L_EUlS1K_E_NS1_11comp_targetILNS1_3genE0ELNS1_11target_archE4294967295ELNS1_3gpuE0ELNS1_3repE0EEENS1_30default_config_static_selectorELNS0_4arch9wavefront6targetE0EEEvSY_.private_seg_size, 0
	.set _ZN7rocprim17ROCPRIM_400000_NS6detail17trampoline_kernelINS0_13select_configILj256ELj13ELNS0_17block_load_methodE3ELS4_3ELS4_3ELNS0_20block_scan_algorithmE0ELj4294967295EEENS1_25partition_config_selectorILNS1_17partition_subalgoE3EjNS0_10empty_typeEbEEZZNS1_14partition_implILS8_3ELb0ES6_jNS0_17counting_iteratorIjlEEPS9_SE_NS0_5tupleIJPjSE_EEENSF_IJSE_SE_EEES9_SG_JZNS1_25segmented_radix_sort_implINS0_14default_configELb1EPKsPsPKlPlN2at6native12_GLOBAL__N_18offset_tEEE10hipError_tPvRmT1_PNSt15iterator_traitsISY_E10value_typeET2_T3_PNSZ_IS14_E10value_typeET4_jRbjT5_S1A_jjP12ihipStream_tbEUljE_EEESV_SW_SX_S14_S18_S1A_T6_T7_T9_mT8_S1C_bDpT10_ENKUlT_T0_E_clISt17integral_constantIbLb1EES1O_IbLb0EEEEDaS1K_S1L_EUlS1K_E_NS1_11comp_targetILNS1_3genE0ELNS1_11target_archE4294967295ELNS1_3gpuE0ELNS1_3repE0EEENS1_30default_config_static_selectorELNS0_4arch9wavefront6targetE0EEEvSY_.uses_vcc, 0
	.set _ZN7rocprim17ROCPRIM_400000_NS6detail17trampoline_kernelINS0_13select_configILj256ELj13ELNS0_17block_load_methodE3ELS4_3ELS4_3ELNS0_20block_scan_algorithmE0ELj4294967295EEENS1_25partition_config_selectorILNS1_17partition_subalgoE3EjNS0_10empty_typeEbEEZZNS1_14partition_implILS8_3ELb0ES6_jNS0_17counting_iteratorIjlEEPS9_SE_NS0_5tupleIJPjSE_EEENSF_IJSE_SE_EEES9_SG_JZNS1_25segmented_radix_sort_implINS0_14default_configELb1EPKsPsPKlPlN2at6native12_GLOBAL__N_18offset_tEEE10hipError_tPvRmT1_PNSt15iterator_traitsISY_E10value_typeET2_T3_PNSZ_IS14_E10value_typeET4_jRbjT5_S1A_jjP12ihipStream_tbEUljE_EEESV_SW_SX_S14_S18_S1A_T6_T7_T9_mT8_S1C_bDpT10_ENKUlT_T0_E_clISt17integral_constantIbLb1EES1O_IbLb0EEEEDaS1K_S1L_EUlS1K_E_NS1_11comp_targetILNS1_3genE0ELNS1_11target_archE4294967295ELNS1_3gpuE0ELNS1_3repE0EEENS1_30default_config_static_selectorELNS0_4arch9wavefront6targetE0EEEvSY_.uses_flat_scratch, 0
	.set _ZN7rocprim17ROCPRIM_400000_NS6detail17trampoline_kernelINS0_13select_configILj256ELj13ELNS0_17block_load_methodE3ELS4_3ELS4_3ELNS0_20block_scan_algorithmE0ELj4294967295EEENS1_25partition_config_selectorILNS1_17partition_subalgoE3EjNS0_10empty_typeEbEEZZNS1_14partition_implILS8_3ELb0ES6_jNS0_17counting_iteratorIjlEEPS9_SE_NS0_5tupleIJPjSE_EEENSF_IJSE_SE_EEES9_SG_JZNS1_25segmented_radix_sort_implINS0_14default_configELb1EPKsPsPKlPlN2at6native12_GLOBAL__N_18offset_tEEE10hipError_tPvRmT1_PNSt15iterator_traitsISY_E10value_typeET2_T3_PNSZ_IS14_E10value_typeET4_jRbjT5_S1A_jjP12ihipStream_tbEUljE_EEESV_SW_SX_S14_S18_S1A_T6_T7_T9_mT8_S1C_bDpT10_ENKUlT_T0_E_clISt17integral_constantIbLb1EES1O_IbLb0EEEEDaS1K_S1L_EUlS1K_E_NS1_11comp_targetILNS1_3genE0ELNS1_11target_archE4294967295ELNS1_3gpuE0ELNS1_3repE0EEENS1_30default_config_static_selectorELNS0_4arch9wavefront6targetE0EEEvSY_.has_dyn_sized_stack, 0
	.set _ZN7rocprim17ROCPRIM_400000_NS6detail17trampoline_kernelINS0_13select_configILj256ELj13ELNS0_17block_load_methodE3ELS4_3ELS4_3ELNS0_20block_scan_algorithmE0ELj4294967295EEENS1_25partition_config_selectorILNS1_17partition_subalgoE3EjNS0_10empty_typeEbEEZZNS1_14partition_implILS8_3ELb0ES6_jNS0_17counting_iteratorIjlEEPS9_SE_NS0_5tupleIJPjSE_EEENSF_IJSE_SE_EEES9_SG_JZNS1_25segmented_radix_sort_implINS0_14default_configELb1EPKsPsPKlPlN2at6native12_GLOBAL__N_18offset_tEEE10hipError_tPvRmT1_PNSt15iterator_traitsISY_E10value_typeET2_T3_PNSZ_IS14_E10value_typeET4_jRbjT5_S1A_jjP12ihipStream_tbEUljE_EEESV_SW_SX_S14_S18_S1A_T6_T7_T9_mT8_S1C_bDpT10_ENKUlT_T0_E_clISt17integral_constantIbLb1EES1O_IbLb0EEEEDaS1K_S1L_EUlS1K_E_NS1_11comp_targetILNS1_3genE0ELNS1_11target_archE4294967295ELNS1_3gpuE0ELNS1_3repE0EEENS1_30default_config_static_selectorELNS0_4arch9wavefront6targetE0EEEvSY_.has_recursion, 0
	.set _ZN7rocprim17ROCPRIM_400000_NS6detail17trampoline_kernelINS0_13select_configILj256ELj13ELNS0_17block_load_methodE3ELS4_3ELS4_3ELNS0_20block_scan_algorithmE0ELj4294967295EEENS1_25partition_config_selectorILNS1_17partition_subalgoE3EjNS0_10empty_typeEbEEZZNS1_14partition_implILS8_3ELb0ES6_jNS0_17counting_iteratorIjlEEPS9_SE_NS0_5tupleIJPjSE_EEENSF_IJSE_SE_EEES9_SG_JZNS1_25segmented_radix_sort_implINS0_14default_configELb1EPKsPsPKlPlN2at6native12_GLOBAL__N_18offset_tEEE10hipError_tPvRmT1_PNSt15iterator_traitsISY_E10value_typeET2_T3_PNSZ_IS14_E10value_typeET4_jRbjT5_S1A_jjP12ihipStream_tbEUljE_EEESV_SW_SX_S14_S18_S1A_T6_T7_T9_mT8_S1C_bDpT10_ENKUlT_T0_E_clISt17integral_constantIbLb1EES1O_IbLb0EEEEDaS1K_S1L_EUlS1K_E_NS1_11comp_targetILNS1_3genE0ELNS1_11target_archE4294967295ELNS1_3gpuE0ELNS1_3repE0EEENS1_30default_config_static_selectorELNS0_4arch9wavefront6targetE0EEEvSY_.has_indirect_call, 0
	.section	.AMDGPU.csdata,"",@progbits
; Kernel info:
; codeLenInByte = 0
; TotalNumSgprs: 0
; NumVgprs: 0
; ScratchSize: 0
; MemoryBound: 0
; FloatMode: 240
; IeeeMode: 1
; LDSByteSize: 0 bytes/workgroup (compile time only)
; SGPRBlocks: 0
; VGPRBlocks: 0
; NumSGPRsForWavesPerEU: 1
; NumVGPRsForWavesPerEU: 1
; Occupancy: 16
; WaveLimiterHint : 0
; COMPUTE_PGM_RSRC2:SCRATCH_EN: 0
; COMPUTE_PGM_RSRC2:USER_SGPR: 6
; COMPUTE_PGM_RSRC2:TRAP_HANDLER: 0
; COMPUTE_PGM_RSRC2:TGID_X_EN: 1
; COMPUTE_PGM_RSRC2:TGID_Y_EN: 0
; COMPUTE_PGM_RSRC2:TGID_Z_EN: 0
; COMPUTE_PGM_RSRC2:TIDIG_COMP_CNT: 0
	.section	.text._ZN7rocprim17ROCPRIM_400000_NS6detail17trampoline_kernelINS0_13select_configILj256ELj13ELNS0_17block_load_methodE3ELS4_3ELS4_3ELNS0_20block_scan_algorithmE0ELj4294967295EEENS1_25partition_config_selectorILNS1_17partition_subalgoE3EjNS0_10empty_typeEbEEZZNS1_14partition_implILS8_3ELb0ES6_jNS0_17counting_iteratorIjlEEPS9_SE_NS0_5tupleIJPjSE_EEENSF_IJSE_SE_EEES9_SG_JZNS1_25segmented_radix_sort_implINS0_14default_configELb1EPKsPsPKlPlN2at6native12_GLOBAL__N_18offset_tEEE10hipError_tPvRmT1_PNSt15iterator_traitsISY_E10value_typeET2_T3_PNSZ_IS14_E10value_typeET4_jRbjT5_S1A_jjP12ihipStream_tbEUljE_EEESV_SW_SX_S14_S18_S1A_T6_T7_T9_mT8_S1C_bDpT10_ENKUlT_T0_E_clISt17integral_constantIbLb1EES1O_IbLb0EEEEDaS1K_S1L_EUlS1K_E_NS1_11comp_targetILNS1_3genE5ELNS1_11target_archE942ELNS1_3gpuE9ELNS1_3repE0EEENS1_30default_config_static_selectorELNS0_4arch9wavefront6targetE0EEEvSY_,"axG",@progbits,_ZN7rocprim17ROCPRIM_400000_NS6detail17trampoline_kernelINS0_13select_configILj256ELj13ELNS0_17block_load_methodE3ELS4_3ELS4_3ELNS0_20block_scan_algorithmE0ELj4294967295EEENS1_25partition_config_selectorILNS1_17partition_subalgoE3EjNS0_10empty_typeEbEEZZNS1_14partition_implILS8_3ELb0ES6_jNS0_17counting_iteratorIjlEEPS9_SE_NS0_5tupleIJPjSE_EEENSF_IJSE_SE_EEES9_SG_JZNS1_25segmented_radix_sort_implINS0_14default_configELb1EPKsPsPKlPlN2at6native12_GLOBAL__N_18offset_tEEE10hipError_tPvRmT1_PNSt15iterator_traitsISY_E10value_typeET2_T3_PNSZ_IS14_E10value_typeET4_jRbjT5_S1A_jjP12ihipStream_tbEUljE_EEESV_SW_SX_S14_S18_S1A_T6_T7_T9_mT8_S1C_bDpT10_ENKUlT_T0_E_clISt17integral_constantIbLb1EES1O_IbLb0EEEEDaS1K_S1L_EUlS1K_E_NS1_11comp_targetILNS1_3genE5ELNS1_11target_archE942ELNS1_3gpuE9ELNS1_3repE0EEENS1_30default_config_static_selectorELNS0_4arch9wavefront6targetE0EEEvSY_,comdat
	.globl	_ZN7rocprim17ROCPRIM_400000_NS6detail17trampoline_kernelINS0_13select_configILj256ELj13ELNS0_17block_load_methodE3ELS4_3ELS4_3ELNS0_20block_scan_algorithmE0ELj4294967295EEENS1_25partition_config_selectorILNS1_17partition_subalgoE3EjNS0_10empty_typeEbEEZZNS1_14partition_implILS8_3ELb0ES6_jNS0_17counting_iteratorIjlEEPS9_SE_NS0_5tupleIJPjSE_EEENSF_IJSE_SE_EEES9_SG_JZNS1_25segmented_radix_sort_implINS0_14default_configELb1EPKsPsPKlPlN2at6native12_GLOBAL__N_18offset_tEEE10hipError_tPvRmT1_PNSt15iterator_traitsISY_E10value_typeET2_T3_PNSZ_IS14_E10value_typeET4_jRbjT5_S1A_jjP12ihipStream_tbEUljE_EEESV_SW_SX_S14_S18_S1A_T6_T7_T9_mT8_S1C_bDpT10_ENKUlT_T0_E_clISt17integral_constantIbLb1EES1O_IbLb0EEEEDaS1K_S1L_EUlS1K_E_NS1_11comp_targetILNS1_3genE5ELNS1_11target_archE942ELNS1_3gpuE9ELNS1_3repE0EEENS1_30default_config_static_selectorELNS0_4arch9wavefront6targetE0EEEvSY_ ; -- Begin function _ZN7rocprim17ROCPRIM_400000_NS6detail17trampoline_kernelINS0_13select_configILj256ELj13ELNS0_17block_load_methodE3ELS4_3ELS4_3ELNS0_20block_scan_algorithmE0ELj4294967295EEENS1_25partition_config_selectorILNS1_17partition_subalgoE3EjNS0_10empty_typeEbEEZZNS1_14partition_implILS8_3ELb0ES6_jNS0_17counting_iteratorIjlEEPS9_SE_NS0_5tupleIJPjSE_EEENSF_IJSE_SE_EEES9_SG_JZNS1_25segmented_radix_sort_implINS0_14default_configELb1EPKsPsPKlPlN2at6native12_GLOBAL__N_18offset_tEEE10hipError_tPvRmT1_PNSt15iterator_traitsISY_E10value_typeET2_T3_PNSZ_IS14_E10value_typeET4_jRbjT5_S1A_jjP12ihipStream_tbEUljE_EEESV_SW_SX_S14_S18_S1A_T6_T7_T9_mT8_S1C_bDpT10_ENKUlT_T0_E_clISt17integral_constantIbLb1EES1O_IbLb0EEEEDaS1K_S1L_EUlS1K_E_NS1_11comp_targetILNS1_3genE5ELNS1_11target_archE942ELNS1_3gpuE9ELNS1_3repE0EEENS1_30default_config_static_selectorELNS0_4arch9wavefront6targetE0EEEvSY_
	.p2align	8
	.type	_ZN7rocprim17ROCPRIM_400000_NS6detail17trampoline_kernelINS0_13select_configILj256ELj13ELNS0_17block_load_methodE3ELS4_3ELS4_3ELNS0_20block_scan_algorithmE0ELj4294967295EEENS1_25partition_config_selectorILNS1_17partition_subalgoE3EjNS0_10empty_typeEbEEZZNS1_14partition_implILS8_3ELb0ES6_jNS0_17counting_iteratorIjlEEPS9_SE_NS0_5tupleIJPjSE_EEENSF_IJSE_SE_EEES9_SG_JZNS1_25segmented_radix_sort_implINS0_14default_configELb1EPKsPsPKlPlN2at6native12_GLOBAL__N_18offset_tEEE10hipError_tPvRmT1_PNSt15iterator_traitsISY_E10value_typeET2_T3_PNSZ_IS14_E10value_typeET4_jRbjT5_S1A_jjP12ihipStream_tbEUljE_EEESV_SW_SX_S14_S18_S1A_T6_T7_T9_mT8_S1C_bDpT10_ENKUlT_T0_E_clISt17integral_constantIbLb1EES1O_IbLb0EEEEDaS1K_S1L_EUlS1K_E_NS1_11comp_targetILNS1_3genE5ELNS1_11target_archE942ELNS1_3gpuE9ELNS1_3repE0EEENS1_30default_config_static_selectorELNS0_4arch9wavefront6targetE0EEEvSY_,@function
_ZN7rocprim17ROCPRIM_400000_NS6detail17trampoline_kernelINS0_13select_configILj256ELj13ELNS0_17block_load_methodE3ELS4_3ELS4_3ELNS0_20block_scan_algorithmE0ELj4294967295EEENS1_25partition_config_selectorILNS1_17partition_subalgoE3EjNS0_10empty_typeEbEEZZNS1_14partition_implILS8_3ELb0ES6_jNS0_17counting_iteratorIjlEEPS9_SE_NS0_5tupleIJPjSE_EEENSF_IJSE_SE_EEES9_SG_JZNS1_25segmented_radix_sort_implINS0_14default_configELb1EPKsPsPKlPlN2at6native12_GLOBAL__N_18offset_tEEE10hipError_tPvRmT1_PNSt15iterator_traitsISY_E10value_typeET2_T3_PNSZ_IS14_E10value_typeET4_jRbjT5_S1A_jjP12ihipStream_tbEUljE_EEESV_SW_SX_S14_S18_S1A_T6_T7_T9_mT8_S1C_bDpT10_ENKUlT_T0_E_clISt17integral_constantIbLb1EES1O_IbLb0EEEEDaS1K_S1L_EUlS1K_E_NS1_11comp_targetILNS1_3genE5ELNS1_11target_archE942ELNS1_3gpuE9ELNS1_3repE0EEENS1_30default_config_static_selectorELNS0_4arch9wavefront6targetE0EEEvSY_: ; @_ZN7rocprim17ROCPRIM_400000_NS6detail17trampoline_kernelINS0_13select_configILj256ELj13ELNS0_17block_load_methodE3ELS4_3ELS4_3ELNS0_20block_scan_algorithmE0ELj4294967295EEENS1_25partition_config_selectorILNS1_17partition_subalgoE3EjNS0_10empty_typeEbEEZZNS1_14partition_implILS8_3ELb0ES6_jNS0_17counting_iteratorIjlEEPS9_SE_NS0_5tupleIJPjSE_EEENSF_IJSE_SE_EEES9_SG_JZNS1_25segmented_radix_sort_implINS0_14default_configELb1EPKsPsPKlPlN2at6native12_GLOBAL__N_18offset_tEEE10hipError_tPvRmT1_PNSt15iterator_traitsISY_E10value_typeET2_T3_PNSZ_IS14_E10value_typeET4_jRbjT5_S1A_jjP12ihipStream_tbEUljE_EEESV_SW_SX_S14_S18_S1A_T6_T7_T9_mT8_S1C_bDpT10_ENKUlT_T0_E_clISt17integral_constantIbLb1EES1O_IbLb0EEEEDaS1K_S1L_EUlS1K_E_NS1_11comp_targetILNS1_3genE5ELNS1_11target_archE942ELNS1_3gpuE9ELNS1_3repE0EEENS1_30default_config_static_selectorELNS0_4arch9wavefront6targetE0EEEvSY_
; %bb.0:
	.section	.rodata,"a",@progbits
	.p2align	6, 0x0
	.amdhsa_kernel _ZN7rocprim17ROCPRIM_400000_NS6detail17trampoline_kernelINS0_13select_configILj256ELj13ELNS0_17block_load_methodE3ELS4_3ELS4_3ELNS0_20block_scan_algorithmE0ELj4294967295EEENS1_25partition_config_selectorILNS1_17partition_subalgoE3EjNS0_10empty_typeEbEEZZNS1_14partition_implILS8_3ELb0ES6_jNS0_17counting_iteratorIjlEEPS9_SE_NS0_5tupleIJPjSE_EEENSF_IJSE_SE_EEES9_SG_JZNS1_25segmented_radix_sort_implINS0_14default_configELb1EPKsPsPKlPlN2at6native12_GLOBAL__N_18offset_tEEE10hipError_tPvRmT1_PNSt15iterator_traitsISY_E10value_typeET2_T3_PNSZ_IS14_E10value_typeET4_jRbjT5_S1A_jjP12ihipStream_tbEUljE_EEESV_SW_SX_S14_S18_S1A_T6_T7_T9_mT8_S1C_bDpT10_ENKUlT_T0_E_clISt17integral_constantIbLb1EES1O_IbLb0EEEEDaS1K_S1L_EUlS1K_E_NS1_11comp_targetILNS1_3genE5ELNS1_11target_archE942ELNS1_3gpuE9ELNS1_3repE0EEENS1_30default_config_static_selectorELNS0_4arch9wavefront6targetE0EEEvSY_
		.amdhsa_group_segment_fixed_size 0
		.amdhsa_private_segment_fixed_size 0
		.amdhsa_kernarg_size 144
		.amdhsa_user_sgpr_count 6
		.amdhsa_user_sgpr_private_segment_buffer 1
		.amdhsa_user_sgpr_dispatch_ptr 0
		.amdhsa_user_sgpr_queue_ptr 0
		.amdhsa_user_sgpr_kernarg_segment_ptr 1
		.amdhsa_user_sgpr_dispatch_id 0
		.amdhsa_user_sgpr_flat_scratch_init 0
		.amdhsa_user_sgpr_private_segment_size 0
		.amdhsa_wavefront_size32 1
		.amdhsa_uses_dynamic_stack 0
		.amdhsa_system_sgpr_private_segment_wavefront_offset 0
		.amdhsa_system_sgpr_workgroup_id_x 1
		.amdhsa_system_sgpr_workgroup_id_y 0
		.amdhsa_system_sgpr_workgroup_id_z 0
		.amdhsa_system_sgpr_workgroup_info 0
		.amdhsa_system_vgpr_workitem_id 0
		.amdhsa_next_free_vgpr 1
		.amdhsa_next_free_sgpr 1
		.amdhsa_reserve_vcc 0
		.amdhsa_reserve_flat_scratch 0
		.amdhsa_float_round_mode_32 0
		.amdhsa_float_round_mode_16_64 0
		.amdhsa_float_denorm_mode_32 3
		.amdhsa_float_denorm_mode_16_64 3
		.amdhsa_dx10_clamp 1
		.amdhsa_ieee_mode 1
		.amdhsa_fp16_overflow 0
		.amdhsa_workgroup_processor_mode 1
		.amdhsa_memory_ordered 1
		.amdhsa_forward_progress 1
		.amdhsa_shared_vgpr_count 0
		.amdhsa_exception_fp_ieee_invalid_op 0
		.amdhsa_exception_fp_denorm_src 0
		.amdhsa_exception_fp_ieee_div_zero 0
		.amdhsa_exception_fp_ieee_overflow 0
		.amdhsa_exception_fp_ieee_underflow 0
		.amdhsa_exception_fp_ieee_inexact 0
		.amdhsa_exception_int_div_zero 0
	.end_amdhsa_kernel
	.section	.text._ZN7rocprim17ROCPRIM_400000_NS6detail17trampoline_kernelINS0_13select_configILj256ELj13ELNS0_17block_load_methodE3ELS4_3ELS4_3ELNS0_20block_scan_algorithmE0ELj4294967295EEENS1_25partition_config_selectorILNS1_17partition_subalgoE3EjNS0_10empty_typeEbEEZZNS1_14partition_implILS8_3ELb0ES6_jNS0_17counting_iteratorIjlEEPS9_SE_NS0_5tupleIJPjSE_EEENSF_IJSE_SE_EEES9_SG_JZNS1_25segmented_radix_sort_implINS0_14default_configELb1EPKsPsPKlPlN2at6native12_GLOBAL__N_18offset_tEEE10hipError_tPvRmT1_PNSt15iterator_traitsISY_E10value_typeET2_T3_PNSZ_IS14_E10value_typeET4_jRbjT5_S1A_jjP12ihipStream_tbEUljE_EEESV_SW_SX_S14_S18_S1A_T6_T7_T9_mT8_S1C_bDpT10_ENKUlT_T0_E_clISt17integral_constantIbLb1EES1O_IbLb0EEEEDaS1K_S1L_EUlS1K_E_NS1_11comp_targetILNS1_3genE5ELNS1_11target_archE942ELNS1_3gpuE9ELNS1_3repE0EEENS1_30default_config_static_selectorELNS0_4arch9wavefront6targetE0EEEvSY_,"axG",@progbits,_ZN7rocprim17ROCPRIM_400000_NS6detail17trampoline_kernelINS0_13select_configILj256ELj13ELNS0_17block_load_methodE3ELS4_3ELS4_3ELNS0_20block_scan_algorithmE0ELj4294967295EEENS1_25partition_config_selectorILNS1_17partition_subalgoE3EjNS0_10empty_typeEbEEZZNS1_14partition_implILS8_3ELb0ES6_jNS0_17counting_iteratorIjlEEPS9_SE_NS0_5tupleIJPjSE_EEENSF_IJSE_SE_EEES9_SG_JZNS1_25segmented_radix_sort_implINS0_14default_configELb1EPKsPsPKlPlN2at6native12_GLOBAL__N_18offset_tEEE10hipError_tPvRmT1_PNSt15iterator_traitsISY_E10value_typeET2_T3_PNSZ_IS14_E10value_typeET4_jRbjT5_S1A_jjP12ihipStream_tbEUljE_EEESV_SW_SX_S14_S18_S1A_T6_T7_T9_mT8_S1C_bDpT10_ENKUlT_T0_E_clISt17integral_constantIbLb1EES1O_IbLb0EEEEDaS1K_S1L_EUlS1K_E_NS1_11comp_targetILNS1_3genE5ELNS1_11target_archE942ELNS1_3gpuE9ELNS1_3repE0EEENS1_30default_config_static_selectorELNS0_4arch9wavefront6targetE0EEEvSY_,comdat
.Lfunc_end890:
	.size	_ZN7rocprim17ROCPRIM_400000_NS6detail17trampoline_kernelINS0_13select_configILj256ELj13ELNS0_17block_load_methodE3ELS4_3ELS4_3ELNS0_20block_scan_algorithmE0ELj4294967295EEENS1_25partition_config_selectorILNS1_17partition_subalgoE3EjNS0_10empty_typeEbEEZZNS1_14partition_implILS8_3ELb0ES6_jNS0_17counting_iteratorIjlEEPS9_SE_NS0_5tupleIJPjSE_EEENSF_IJSE_SE_EEES9_SG_JZNS1_25segmented_radix_sort_implINS0_14default_configELb1EPKsPsPKlPlN2at6native12_GLOBAL__N_18offset_tEEE10hipError_tPvRmT1_PNSt15iterator_traitsISY_E10value_typeET2_T3_PNSZ_IS14_E10value_typeET4_jRbjT5_S1A_jjP12ihipStream_tbEUljE_EEESV_SW_SX_S14_S18_S1A_T6_T7_T9_mT8_S1C_bDpT10_ENKUlT_T0_E_clISt17integral_constantIbLb1EES1O_IbLb0EEEEDaS1K_S1L_EUlS1K_E_NS1_11comp_targetILNS1_3genE5ELNS1_11target_archE942ELNS1_3gpuE9ELNS1_3repE0EEENS1_30default_config_static_selectorELNS0_4arch9wavefront6targetE0EEEvSY_, .Lfunc_end890-_ZN7rocprim17ROCPRIM_400000_NS6detail17trampoline_kernelINS0_13select_configILj256ELj13ELNS0_17block_load_methodE3ELS4_3ELS4_3ELNS0_20block_scan_algorithmE0ELj4294967295EEENS1_25partition_config_selectorILNS1_17partition_subalgoE3EjNS0_10empty_typeEbEEZZNS1_14partition_implILS8_3ELb0ES6_jNS0_17counting_iteratorIjlEEPS9_SE_NS0_5tupleIJPjSE_EEENSF_IJSE_SE_EEES9_SG_JZNS1_25segmented_radix_sort_implINS0_14default_configELb1EPKsPsPKlPlN2at6native12_GLOBAL__N_18offset_tEEE10hipError_tPvRmT1_PNSt15iterator_traitsISY_E10value_typeET2_T3_PNSZ_IS14_E10value_typeET4_jRbjT5_S1A_jjP12ihipStream_tbEUljE_EEESV_SW_SX_S14_S18_S1A_T6_T7_T9_mT8_S1C_bDpT10_ENKUlT_T0_E_clISt17integral_constantIbLb1EES1O_IbLb0EEEEDaS1K_S1L_EUlS1K_E_NS1_11comp_targetILNS1_3genE5ELNS1_11target_archE942ELNS1_3gpuE9ELNS1_3repE0EEENS1_30default_config_static_selectorELNS0_4arch9wavefront6targetE0EEEvSY_
                                        ; -- End function
	.set _ZN7rocprim17ROCPRIM_400000_NS6detail17trampoline_kernelINS0_13select_configILj256ELj13ELNS0_17block_load_methodE3ELS4_3ELS4_3ELNS0_20block_scan_algorithmE0ELj4294967295EEENS1_25partition_config_selectorILNS1_17partition_subalgoE3EjNS0_10empty_typeEbEEZZNS1_14partition_implILS8_3ELb0ES6_jNS0_17counting_iteratorIjlEEPS9_SE_NS0_5tupleIJPjSE_EEENSF_IJSE_SE_EEES9_SG_JZNS1_25segmented_radix_sort_implINS0_14default_configELb1EPKsPsPKlPlN2at6native12_GLOBAL__N_18offset_tEEE10hipError_tPvRmT1_PNSt15iterator_traitsISY_E10value_typeET2_T3_PNSZ_IS14_E10value_typeET4_jRbjT5_S1A_jjP12ihipStream_tbEUljE_EEESV_SW_SX_S14_S18_S1A_T6_T7_T9_mT8_S1C_bDpT10_ENKUlT_T0_E_clISt17integral_constantIbLb1EES1O_IbLb0EEEEDaS1K_S1L_EUlS1K_E_NS1_11comp_targetILNS1_3genE5ELNS1_11target_archE942ELNS1_3gpuE9ELNS1_3repE0EEENS1_30default_config_static_selectorELNS0_4arch9wavefront6targetE0EEEvSY_.num_vgpr, 0
	.set _ZN7rocprim17ROCPRIM_400000_NS6detail17trampoline_kernelINS0_13select_configILj256ELj13ELNS0_17block_load_methodE3ELS4_3ELS4_3ELNS0_20block_scan_algorithmE0ELj4294967295EEENS1_25partition_config_selectorILNS1_17partition_subalgoE3EjNS0_10empty_typeEbEEZZNS1_14partition_implILS8_3ELb0ES6_jNS0_17counting_iteratorIjlEEPS9_SE_NS0_5tupleIJPjSE_EEENSF_IJSE_SE_EEES9_SG_JZNS1_25segmented_radix_sort_implINS0_14default_configELb1EPKsPsPKlPlN2at6native12_GLOBAL__N_18offset_tEEE10hipError_tPvRmT1_PNSt15iterator_traitsISY_E10value_typeET2_T3_PNSZ_IS14_E10value_typeET4_jRbjT5_S1A_jjP12ihipStream_tbEUljE_EEESV_SW_SX_S14_S18_S1A_T6_T7_T9_mT8_S1C_bDpT10_ENKUlT_T0_E_clISt17integral_constantIbLb1EES1O_IbLb0EEEEDaS1K_S1L_EUlS1K_E_NS1_11comp_targetILNS1_3genE5ELNS1_11target_archE942ELNS1_3gpuE9ELNS1_3repE0EEENS1_30default_config_static_selectorELNS0_4arch9wavefront6targetE0EEEvSY_.num_agpr, 0
	.set _ZN7rocprim17ROCPRIM_400000_NS6detail17trampoline_kernelINS0_13select_configILj256ELj13ELNS0_17block_load_methodE3ELS4_3ELS4_3ELNS0_20block_scan_algorithmE0ELj4294967295EEENS1_25partition_config_selectorILNS1_17partition_subalgoE3EjNS0_10empty_typeEbEEZZNS1_14partition_implILS8_3ELb0ES6_jNS0_17counting_iteratorIjlEEPS9_SE_NS0_5tupleIJPjSE_EEENSF_IJSE_SE_EEES9_SG_JZNS1_25segmented_radix_sort_implINS0_14default_configELb1EPKsPsPKlPlN2at6native12_GLOBAL__N_18offset_tEEE10hipError_tPvRmT1_PNSt15iterator_traitsISY_E10value_typeET2_T3_PNSZ_IS14_E10value_typeET4_jRbjT5_S1A_jjP12ihipStream_tbEUljE_EEESV_SW_SX_S14_S18_S1A_T6_T7_T9_mT8_S1C_bDpT10_ENKUlT_T0_E_clISt17integral_constantIbLb1EES1O_IbLb0EEEEDaS1K_S1L_EUlS1K_E_NS1_11comp_targetILNS1_3genE5ELNS1_11target_archE942ELNS1_3gpuE9ELNS1_3repE0EEENS1_30default_config_static_selectorELNS0_4arch9wavefront6targetE0EEEvSY_.numbered_sgpr, 0
	.set _ZN7rocprim17ROCPRIM_400000_NS6detail17trampoline_kernelINS0_13select_configILj256ELj13ELNS0_17block_load_methodE3ELS4_3ELS4_3ELNS0_20block_scan_algorithmE0ELj4294967295EEENS1_25partition_config_selectorILNS1_17partition_subalgoE3EjNS0_10empty_typeEbEEZZNS1_14partition_implILS8_3ELb0ES6_jNS0_17counting_iteratorIjlEEPS9_SE_NS0_5tupleIJPjSE_EEENSF_IJSE_SE_EEES9_SG_JZNS1_25segmented_radix_sort_implINS0_14default_configELb1EPKsPsPKlPlN2at6native12_GLOBAL__N_18offset_tEEE10hipError_tPvRmT1_PNSt15iterator_traitsISY_E10value_typeET2_T3_PNSZ_IS14_E10value_typeET4_jRbjT5_S1A_jjP12ihipStream_tbEUljE_EEESV_SW_SX_S14_S18_S1A_T6_T7_T9_mT8_S1C_bDpT10_ENKUlT_T0_E_clISt17integral_constantIbLb1EES1O_IbLb0EEEEDaS1K_S1L_EUlS1K_E_NS1_11comp_targetILNS1_3genE5ELNS1_11target_archE942ELNS1_3gpuE9ELNS1_3repE0EEENS1_30default_config_static_selectorELNS0_4arch9wavefront6targetE0EEEvSY_.num_named_barrier, 0
	.set _ZN7rocprim17ROCPRIM_400000_NS6detail17trampoline_kernelINS0_13select_configILj256ELj13ELNS0_17block_load_methodE3ELS4_3ELS4_3ELNS0_20block_scan_algorithmE0ELj4294967295EEENS1_25partition_config_selectorILNS1_17partition_subalgoE3EjNS0_10empty_typeEbEEZZNS1_14partition_implILS8_3ELb0ES6_jNS0_17counting_iteratorIjlEEPS9_SE_NS0_5tupleIJPjSE_EEENSF_IJSE_SE_EEES9_SG_JZNS1_25segmented_radix_sort_implINS0_14default_configELb1EPKsPsPKlPlN2at6native12_GLOBAL__N_18offset_tEEE10hipError_tPvRmT1_PNSt15iterator_traitsISY_E10value_typeET2_T3_PNSZ_IS14_E10value_typeET4_jRbjT5_S1A_jjP12ihipStream_tbEUljE_EEESV_SW_SX_S14_S18_S1A_T6_T7_T9_mT8_S1C_bDpT10_ENKUlT_T0_E_clISt17integral_constantIbLb1EES1O_IbLb0EEEEDaS1K_S1L_EUlS1K_E_NS1_11comp_targetILNS1_3genE5ELNS1_11target_archE942ELNS1_3gpuE9ELNS1_3repE0EEENS1_30default_config_static_selectorELNS0_4arch9wavefront6targetE0EEEvSY_.private_seg_size, 0
	.set _ZN7rocprim17ROCPRIM_400000_NS6detail17trampoline_kernelINS0_13select_configILj256ELj13ELNS0_17block_load_methodE3ELS4_3ELS4_3ELNS0_20block_scan_algorithmE0ELj4294967295EEENS1_25partition_config_selectorILNS1_17partition_subalgoE3EjNS0_10empty_typeEbEEZZNS1_14partition_implILS8_3ELb0ES6_jNS0_17counting_iteratorIjlEEPS9_SE_NS0_5tupleIJPjSE_EEENSF_IJSE_SE_EEES9_SG_JZNS1_25segmented_radix_sort_implINS0_14default_configELb1EPKsPsPKlPlN2at6native12_GLOBAL__N_18offset_tEEE10hipError_tPvRmT1_PNSt15iterator_traitsISY_E10value_typeET2_T3_PNSZ_IS14_E10value_typeET4_jRbjT5_S1A_jjP12ihipStream_tbEUljE_EEESV_SW_SX_S14_S18_S1A_T6_T7_T9_mT8_S1C_bDpT10_ENKUlT_T0_E_clISt17integral_constantIbLb1EES1O_IbLb0EEEEDaS1K_S1L_EUlS1K_E_NS1_11comp_targetILNS1_3genE5ELNS1_11target_archE942ELNS1_3gpuE9ELNS1_3repE0EEENS1_30default_config_static_selectorELNS0_4arch9wavefront6targetE0EEEvSY_.uses_vcc, 0
	.set _ZN7rocprim17ROCPRIM_400000_NS6detail17trampoline_kernelINS0_13select_configILj256ELj13ELNS0_17block_load_methodE3ELS4_3ELS4_3ELNS0_20block_scan_algorithmE0ELj4294967295EEENS1_25partition_config_selectorILNS1_17partition_subalgoE3EjNS0_10empty_typeEbEEZZNS1_14partition_implILS8_3ELb0ES6_jNS0_17counting_iteratorIjlEEPS9_SE_NS0_5tupleIJPjSE_EEENSF_IJSE_SE_EEES9_SG_JZNS1_25segmented_radix_sort_implINS0_14default_configELb1EPKsPsPKlPlN2at6native12_GLOBAL__N_18offset_tEEE10hipError_tPvRmT1_PNSt15iterator_traitsISY_E10value_typeET2_T3_PNSZ_IS14_E10value_typeET4_jRbjT5_S1A_jjP12ihipStream_tbEUljE_EEESV_SW_SX_S14_S18_S1A_T6_T7_T9_mT8_S1C_bDpT10_ENKUlT_T0_E_clISt17integral_constantIbLb1EES1O_IbLb0EEEEDaS1K_S1L_EUlS1K_E_NS1_11comp_targetILNS1_3genE5ELNS1_11target_archE942ELNS1_3gpuE9ELNS1_3repE0EEENS1_30default_config_static_selectorELNS0_4arch9wavefront6targetE0EEEvSY_.uses_flat_scratch, 0
	.set _ZN7rocprim17ROCPRIM_400000_NS6detail17trampoline_kernelINS0_13select_configILj256ELj13ELNS0_17block_load_methodE3ELS4_3ELS4_3ELNS0_20block_scan_algorithmE0ELj4294967295EEENS1_25partition_config_selectorILNS1_17partition_subalgoE3EjNS0_10empty_typeEbEEZZNS1_14partition_implILS8_3ELb0ES6_jNS0_17counting_iteratorIjlEEPS9_SE_NS0_5tupleIJPjSE_EEENSF_IJSE_SE_EEES9_SG_JZNS1_25segmented_radix_sort_implINS0_14default_configELb1EPKsPsPKlPlN2at6native12_GLOBAL__N_18offset_tEEE10hipError_tPvRmT1_PNSt15iterator_traitsISY_E10value_typeET2_T3_PNSZ_IS14_E10value_typeET4_jRbjT5_S1A_jjP12ihipStream_tbEUljE_EEESV_SW_SX_S14_S18_S1A_T6_T7_T9_mT8_S1C_bDpT10_ENKUlT_T0_E_clISt17integral_constantIbLb1EES1O_IbLb0EEEEDaS1K_S1L_EUlS1K_E_NS1_11comp_targetILNS1_3genE5ELNS1_11target_archE942ELNS1_3gpuE9ELNS1_3repE0EEENS1_30default_config_static_selectorELNS0_4arch9wavefront6targetE0EEEvSY_.has_dyn_sized_stack, 0
	.set _ZN7rocprim17ROCPRIM_400000_NS6detail17trampoline_kernelINS0_13select_configILj256ELj13ELNS0_17block_load_methodE3ELS4_3ELS4_3ELNS0_20block_scan_algorithmE0ELj4294967295EEENS1_25partition_config_selectorILNS1_17partition_subalgoE3EjNS0_10empty_typeEbEEZZNS1_14partition_implILS8_3ELb0ES6_jNS0_17counting_iteratorIjlEEPS9_SE_NS0_5tupleIJPjSE_EEENSF_IJSE_SE_EEES9_SG_JZNS1_25segmented_radix_sort_implINS0_14default_configELb1EPKsPsPKlPlN2at6native12_GLOBAL__N_18offset_tEEE10hipError_tPvRmT1_PNSt15iterator_traitsISY_E10value_typeET2_T3_PNSZ_IS14_E10value_typeET4_jRbjT5_S1A_jjP12ihipStream_tbEUljE_EEESV_SW_SX_S14_S18_S1A_T6_T7_T9_mT8_S1C_bDpT10_ENKUlT_T0_E_clISt17integral_constantIbLb1EES1O_IbLb0EEEEDaS1K_S1L_EUlS1K_E_NS1_11comp_targetILNS1_3genE5ELNS1_11target_archE942ELNS1_3gpuE9ELNS1_3repE0EEENS1_30default_config_static_selectorELNS0_4arch9wavefront6targetE0EEEvSY_.has_recursion, 0
	.set _ZN7rocprim17ROCPRIM_400000_NS6detail17trampoline_kernelINS0_13select_configILj256ELj13ELNS0_17block_load_methodE3ELS4_3ELS4_3ELNS0_20block_scan_algorithmE0ELj4294967295EEENS1_25partition_config_selectorILNS1_17partition_subalgoE3EjNS0_10empty_typeEbEEZZNS1_14partition_implILS8_3ELb0ES6_jNS0_17counting_iteratorIjlEEPS9_SE_NS0_5tupleIJPjSE_EEENSF_IJSE_SE_EEES9_SG_JZNS1_25segmented_radix_sort_implINS0_14default_configELb1EPKsPsPKlPlN2at6native12_GLOBAL__N_18offset_tEEE10hipError_tPvRmT1_PNSt15iterator_traitsISY_E10value_typeET2_T3_PNSZ_IS14_E10value_typeET4_jRbjT5_S1A_jjP12ihipStream_tbEUljE_EEESV_SW_SX_S14_S18_S1A_T6_T7_T9_mT8_S1C_bDpT10_ENKUlT_T0_E_clISt17integral_constantIbLb1EES1O_IbLb0EEEEDaS1K_S1L_EUlS1K_E_NS1_11comp_targetILNS1_3genE5ELNS1_11target_archE942ELNS1_3gpuE9ELNS1_3repE0EEENS1_30default_config_static_selectorELNS0_4arch9wavefront6targetE0EEEvSY_.has_indirect_call, 0
	.section	.AMDGPU.csdata,"",@progbits
; Kernel info:
; codeLenInByte = 0
; TotalNumSgprs: 0
; NumVgprs: 0
; ScratchSize: 0
; MemoryBound: 0
; FloatMode: 240
; IeeeMode: 1
; LDSByteSize: 0 bytes/workgroup (compile time only)
; SGPRBlocks: 0
; VGPRBlocks: 0
; NumSGPRsForWavesPerEU: 1
; NumVGPRsForWavesPerEU: 1
; Occupancy: 16
; WaveLimiterHint : 0
; COMPUTE_PGM_RSRC2:SCRATCH_EN: 0
; COMPUTE_PGM_RSRC2:USER_SGPR: 6
; COMPUTE_PGM_RSRC2:TRAP_HANDLER: 0
; COMPUTE_PGM_RSRC2:TGID_X_EN: 1
; COMPUTE_PGM_RSRC2:TGID_Y_EN: 0
; COMPUTE_PGM_RSRC2:TGID_Z_EN: 0
; COMPUTE_PGM_RSRC2:TIDIG_COMP_CNT: 0
	.section	.text._ZN7rocprim17ROCPRIM_400000_NS6detail17trampoline_kernelINS0_13select_configILj256ELj13ELNS0_17block_load_methodE3ELS4_3ELS4_3ELNS0_20block_scan_algorithmE0ELj4294967295EEENS1_25partition_config_selectorILNS1_17partition_subalgoE3EjNS0_10empty_typeEbEEZZNS1_14partition_implILS8_3ELb0ES6_jNS0_17counting_iteratorIjlEEPS9_SE_NS0_5tupleIJPjSE_EEENSF_IJSE_SE_EEES9_SG_JZNS1_25segmented_radix_sort_implINS0_14default_configELb1EPKsPsPKlPlN2at6native12_GLOBAL__N_18offset_tEEE10hipError_tPvRmT1_PNSt15iterator_traitsISY_E10value_typeET2_T3_PNSZ_IS14_E10value_typeET4_jRbjT5_S1A_jjP12ihipStream_tbEUljE_EEESV_SW_SX_S14_S18_S1A_T6_T7_T9_mT8_S1C_bDpT10_ENKUlT_T0_E_clISt17integral_constantIbLb1EES1O_IbLb0EEEEDaS1K_S1L_EUlS1K_E_NS1_11comp_targetILNS1_3genE4ELNS1_11target_archE910ELNS1_3gpuE8ELNS1_3repE0EEENS1_30default_config_static_selectorELNS0_4arch9wavefront6targetE0EEEvSY_,"axG",@progbits,_ZN7rocprim17ROCPRIM_400000_NS6detail17trampoline_kernelINS0_13select_configILj256ELj13ELNS0_17block_load_methodE3ELS4_3ELS4_3ELNS0_20block_scan_algorithmE0ELj4294967295EEENS1_25partition_config_selectorILNS1_17partition_subalgoE3EjNS0_10empty_typeEbEEZZNS1_14partition_implILS8_3ELb0ES6_jNS0_17counting_iteratorIjlEEPS9_SE_NS0_5tupleIJPjSE_EEENSF_IJSE_SE_EEES9_SG_JZNS1_25segmented_radix_sort_implINS0_14default_configELb1EPKsPsPKlPlN2at6native12_GLOBAL__N_18offset_tEEE10hipError_tPvRmT1_PNSt15iterator_traitsISY_E10value_typeET2_T3_PNSZ_IS14_E10value_typeET4_jRbjT5_S1A_jjP12ihipStream_tbEUljE_EEESV_SW_SX_S14_S18_S1A_T6_T7_T9_mT8_S1C_bDpT10_ENKUlT_T0_E_clISt17integral_constantIbLb1EES1O_IbLb0EEEEDaS1K_S1L_EUlS1K_E_NS1_11comp_targetILNS1_3genE4ELNS1_11target_archE910ELNS1_3gpuE8ELNS1_3repE0EEENS1_30default_config_static_selectorELNS0_4arch9wavefront6targetE0EEEvSY_,comdat
	.globl	_ZN7rocprim17ROCPRIM_400000_NS6detail17trampoline_kernelINS0_13select_configILj256ELj13ELNS0_17block_load_methodE3ELS4_3ELS4_3ELNS0_20block_scan_algorithmE0ELj4294967295EEENS1_25partition_config_selectorILNS1_17partition_subalgoE3EjNS0_10empty_typeEbEEZZNS1_14partition_implILS8_3ELb0ES6_jNS0_17counting_iteratorIjlEEPS9_SE_NS0_5tupleIJPjSE_EEENSF_IJSE_SE_EEES9_SG_JZNS1_25segmented_radix_sort_implINS0_14default_configELb1EPKsPsPKlPlN2at6native12_GLOBAL__N_18offset_tEEE10hipError_tPvRmT1_PNSt15iterator_traitsISY_E10value_typeET2_T3_PNSZ_IS14_E10value_typeET4_jRbjT5_S1A_jjP12ihipStream_tbEUljE_EEESV_SW_SX_S14_S18_S1A_T6_T7_T9_mT8_S1C_bDpT10_ENKUlT_T0_E_clISt17integral_constantIbLb1EES1O_IbLb0EEEEDaS1K_S1L_EUlS1K_E_NS1_11comp_targetILNS1_3genE4ELNS1_11target_archE910ELNS1_3gpuE8ELNS1_3repE0EEENS1_30default_config_static_selectorELNS0_4arch9wavefront6targetE0EEEvSY_ ; -- Begin function _ZN7rocprim17ROCPRIM_400000_NS6detail17trampoline_kernelINS0_13select_configILj256ELj13ELNS0_17block_load_methodE3ELS4_3ELS4_3ELNS0_20block_scan_algorithmE0ELj4294967295EEENS1_25partition_config_selectorILNS1_17partition_subalgoE3EjNS0_10empty_typeEbEEZZNS1_14partition_implILS8_3ELb0ES6_jNS0_17counting_iteratorIjlEEPS9_SE_NS0_5tupleIJPjSE_EEENSF_IJSE_SE_EEES9_SG_JZNS1_25segmented_radix_sort_implINS0_14default_configELb1EPKsPsPKlPlN2at6native12_GLOBAL__N_18offset_tEEE10hipError_tPvRmT1_PNSt15iterator_traitsISY_E10value_typeET2_T3_PNSZ_IS14_E10value_typeET4_jRbjT5_S1A_jjP12ihipStream_tbEUljE_EEESV_SW_SX_S14_S18_S1A_T6_T7_T9_mT8_S1C_bDpT10_ENKUlT_T0_E_clISt17integral_constantIbLb1EES1O_IbLb0EEEEDaS1K_S1L_EUlS1K_E_NS1_11comp_targetILNS1_3genE4ELNS1_11target_archE910ELNS1_3gpuE8ELNS1_3repE0EEENS1_30default_config_static_selectorELNS0_4arch9wavefront6targetE0EEEvSY_
	.p2align	8
	.type	_ZN7rocprim17ROCPRIM_400000_NS6detail17trampoline_kernelINS0_13select_configILj256ELj13ELNS0_17block_load_methodE3ELS4_3ELS4_3ELNS0_20block_scan_algorithmE0ELj4294967295EEENS1_25partition_config_selectorILNS1_17partition_subalgoE3EjNS0_10empty_typeEbEEZZNS1_14partition_implILS8_3ELb0ES6_jNS0_17counting_iteratorIjlEEPS9_SE_NS0_5tupleIJPjSE_EEENSF_IJSE_SE_EEES9_SG_JZNS1_25segmented_radix_sort_implINS0_14default_configELb1EPKsPsPKlPlN2at6native12_GLOBAL__N_18offset_tEEE10hipError_tPvRmT1_PNSt15iterator_traitsISY_E10value_typeET2_T3_PNSZ_IS14_E10value_typeET4_jRbjT5_S1A_jjP12ihipStream_tbEUljE_EEESV_SW_SX_S14_S18_S1A_T6_T7_T9_mT8_S1C_bDpT10_ENKUlT_T0_E_clISt17integral_constantIbLb1EES1O_IbLb0EEEEDaS1K_S1L_EUlS1K_E_NS1_11comp_targetILNS1_3genE4ELNS1_11target_archE910ELNS1_3gpuE8ELNS1_3repE0EEENS1_30default_config_static_selectorELNS0_4arch9wavefront6targetE0EEEvSY_,@function
_ZN7rocprim17ROCPRIM_400000_NS6detail17trampoline_kernelINS0_13select_configILj256ELj13ELNS0_17block_load_methodE3ELS4_3ELS4_3ELNS0_20block_scan_algorithmE0ELj4294967295EEENS1_25partition_config_selectorILNS1_17partition_subalgoE3EjNS0_10empty_typeEbEEZZNS1_14partition_implILS8_3ELb0ES6_jNS0_17counting_iteratorIjlEEPS9_SE_NS0_5tupleIJPjSE_EEENSF_IJSE_SE_EEES9_SG_JZNS1_25segmented_radix_sort_implINS0_14default_configELb1EPKsPsPKlPlN2at6native12_GLOBAL__N_18offset_tEEE10hipError_tPvRmT1_PNSt15iterator_traitsISY_E10value_typeET2_T3_PNSZ_IS14_E10value_typeET4_jRbjT5_S1A_jjP12ihipStream_tbEUljE_EEESV_SW_SX_S14_S18_S1A_T6_T7_T9_mT8_S1C_bDpT10_ENKUlT_T0_E_clISt17integral_constantIbLb1EES1O_IbLb0EEEEDaS1K_S1L_EUlS1K_E_NS1_11comp_targetILNS1_3genE4ELNS1_11target_archE910ELNS1_3gpuE8ELNS1_3repE0EEENS1_30default_config_static_selectorELNS0_4arch9wavefront6targetE0EEEvSY_: ; @_ZN7rocprim17ROCPRIM_400000_NS6detail17trampoline_kernelINS0_13select_configILj256ELj13ELNS0_17block_load_methodE3ELS4_3ELS4_3ELNS0_20block_scan_algorithmE0ELj4294967295EEENS1_25partition_config_selectorILNS1_17partition_subalgoE3EjNS0_10empty_typeEbEEZZNS1_14partition_implILS8_3ELb0ES6_jNS0_17counting_iteratorIjlEEPS9_SE_NS0_5tupleIJPjSE_EEENSF_IJSE_SE_EEES9_SG_JZNS1_25segmented_radix_sort_implINS0_14default_configELb1EPKsPsPKlPlN2at6native12_GLOBAL__N_18offset_tEEE10hipError_tPvRmT1_PNSt15iterator_traitsISY_E10value_typeET2_T3_PNSZ_IS14_E10value_typeET4_jRbjT5_S1A_jjP12ihipStream_tbEUljE_EEESV_SW_SX_S14_S18_S1A_T6_T7_T9_mT8_S1C_bDpT10_ENKUlT_T0_E_clISt17integral_constantIbLb1EES1O_IbLb0EEEEDaS1K_S1L_EUlS1K_E_NS1_11comp_targetILNS1_3genE4ELNS1_11target_archE910ELNS1_3gpuE8ELNS1_3repE0EEENS1_30default_config_static_selectorELNS0_4arch9wavefront6targetE0EEEvSY_
; %bb.0:
	.section	.rodata,"a",@progbits
	.p2align	6, 0x0
	.amdhsa_kernel _ZN7rocprim17ROCPRIM_400000_NS6detail17trampoline_kernelINS0_13select_configILj256ELj13ELNS0_17block_load_methodE3ELS4_3ELS4_3ELNS0_20block_scan_algorithmE0ELj4294967295EEENS1_25partition_config_selectorILNS1_17partition_subalgoE3EjNS0_10empty_typeEbEEZZNS1_14partition_implILS8_3ELb0ES6_jNS0_17counting_iteratorIjlEEPS9_SE_NS0_5tupleIJPjSE_EEENSF_IJSE_SE_EEES9_SG_JZNS1_25segmented_radix_sort_implINS0_14default_configELb1EPKsPsPKlPlN2at6native12_GLOBAL__N_18offset_tEEE10hipError_tPvRmT1_PNSt15iterator_traitsISY_E10value_typeET2_T3_PNSZ_IS14_E10value_typeET4_jRbjT5_S1A_jjP12ihipStream_tbEUljE_EEESV_SW_SX_S14_S18_S1A_T6_T7_T9_mT8_S1C_bDpT10_ENKUlT_T0_E_clISt17integral_constantIbLb1EES1O_IbLb0EEEEDaS1K_S1L_EUlS1K_E_NS1_11comp_targetILNS1_3genE4ELNS1_11target_archE910ELNS1_3gpuE8ELNS1_3repE0EEENS1_30default_config_static_selectorELNS0_4arch9wavefront6targetE0EEEvSY_
		.amdhsa_group_segment_fixed_size 0
		.amdhsa_private_segment_fixed_size 0
		.amdhsa_kernarg_size 144
		.amdhsa_user_sgpr_count 6
		.amdhsa_user_sgpr_private_segment_buffer 1
		.amdhsa_user_sgpr_dispatch_ptr 0
		.amdhsa_user_sgpr_queue_ptr 0
		.amdhsa_user_sgpr_kernarg_segment_ptr 1
		.amdhsa_user_sgpr_dispatch_id 0
		.amdhsa_user_sgpr_flat_scratch_init 0
		.amdhsa_user_sgpr_private_segment_size 0
		.amdhsa_wavefront_size32 1
		.amdhsa_uses_dynamic_stack 0
		.amdhsa_system_sgpr_private_segment_wavefront_offset 0
		.amdhsa_system_sgpr_workgroup_id_x 1
		.amdhsa_system_sgpr_workgroup_id_y 0
		.amdhsa_system_sgpr_workgroup_id_z 0
		.amdhsa_system_sgpr_workgroup_info 0
		.amdhsa_system_vgpr_workitem_id 0
		.amdhsa_next_free_vgpr 1
		.amdhsa_next_free_sgpr 1
		.amdhsa_reserve_vcc 0
		.amdhsa_reserve_flat_scratch 0
		.amdhsa_float_round_mode_32 0
		.amdhsa_float_round_mode_16_64 0
		.amdhsa_float_denorm_mode_32 3
		.amdhsa_float_denorm_mode_16_64 3
		.amdhsa_dx10_clamp 1
		.amdhsa_ieee_mode 1
		.amdhsa_fp16_overflow 0
		.amdhsa_workgroup_processor_mode 1
		.amdhsa_memory_ordered 1
		.amdhsa_forward_progress 1
		.amdhsa_shared_vgpr_count 0
		.amdhsa_exception_fp_ieee_invalid_op 0
		.amdhsa_exception_fp_denorm_src 0
		.amdhsa_exception_fp_ieee_div_zero 0
		.amdhsa_exception_fp_ieee_overflow 0
		.amdhsa_exception_fp_ieee_underflow 0
		.amdhsa_exception_fp_ieee_inexact 0
		.amdhsa_exception_int_div_zero 0
	.end_amdhsa_kernel
	.section	.text._ZN7rocprim17ROCPRIM_400000_NS6detail17trampoline_kernelINS0_13select_configILj256ELj13ELNS0_17block_load_methodE3ELS4_3ELS4_3ELNS0_20block_scan_algorithmE0ELj4294967295EEENS1_25partition_config_selectorILNS1_17partition_subalgoE3EjNS0_10empty_typeEbEEZZNS1_14partition_implILS8_3ELb0ES6_jNS0_17counting_iteratorIjlEEPS9_SE_NS0_5tupleIJPjSE_EEENSF_IJSE_SE_EEES9_SG_JZNS1_25segmented_radix_sort_implINS0_14default_configELb1EPKsPsPKlPlN2at6native12_GLOBAL__N_18offset_tEEE10hipError_tPvRmT1_PNSt15iterator_traitsISY_E10value_typeET2_T3_PNSZ_IS14_E10value_typeET4_jRbjT5_S1A_jjP12ihipStream_tbEUljE_EEESV_SW_SX_S14_S18_S1A_T6_T7_T9_mT8_S1C_bDpT10_ENKUlT_T0_E_clISt17integral_constantIbLb1EES1O_IbLb0EEEEDaS1K_S1L_EUlS1K_E_NS1_11comp_targetILNS1_3genE4ELNS1_11target_archE910ELNS1_3gpuE8ELNS1_3repE0EEENS1_30default_config_static_selectorELNS0_4arch9wavefront6targetE0EEEvSY_,"axG",@progbits,_ZN7rocprim17ROCPRIM_400000_NS6detail17trampoline_kernelINS0_13select_configILj256ELj13ELNS0_17block_load_methodE3ELS4_3ELS4_3ELNS0_20block_scan_algorithmE0ELj4294967295EEENS1_25partition_config_selectorILNS1_17partition_subalgoE3EjNS0_10empty_typeEbEEZZNS1_14partition_implILS8_3ELb0ES6_jNS0_17counting_iteratorIjlEEPS9_SE_NS0_5tupleIJPjSE_EEENSF_IJSE_SE_EEES9_SG_JZNS1_25segmented_radix_sort_implINS0_14default_configELb1EPKsPsPKlPlN2at6native12_GLOBAL__N_18offset_tEEE10hipError_tPvRmT1_PNSt15iterator_traitsISY_E10value_typeET2_T3_PNSZ_IS14_E10value_typeET4_jRbjT5_S1A_jjP12ihipStream_tbEUljE_EEESV_SW_SX_S14_S18_S1A_T6_T7_T9_mT8_S1C_bDpT10_ENKUlT_T0_E_clISt17integral_constantIbLb1EES1O_IbLb0EEEEDaS1K_S1L_EUlS1K_E_NS1_11comp_targetILNS1_3genE4ELNS1_11target_archE910ELNS1_3gpuE8ELNS1_3repE0EEENS1_30default_config_static_selectorELNS0_4arch9wavefront6targetE0EEEvSY_,comdat
.Lfunc_end891:
	.size	_ZN7rocprim17ROCPRIM_400000_NS6detail17trampoline_kernelINS0_13select_configILj256ELj13ELNS0_17block_load_methodE3ELS4_3ELS4_3ELNS0_20block_scan_algorithmE0ELj4294967295EEENS1_25partition_config_selectorILNS1_17partition_subalgoE3EjNS0_10empty_typeEbEEZZNS1_14partition_implILS8_3ELb0ES6_jNS0_17counting_iteratorIjlEEPS9_SE_NS0_5tupleIJPjSE_EEENSF_IJSE_SE_EEES9_SG_JZNS1_25segmented_radix_sort_implINS0_14default_configELb1EPKsPsPKlPlN2at6native12_GLOBAL__N_18offset_tEEE10hipError_tPvRmT1_PNSt15iterator_traitsISY_E10value_typeET2_T3_PNSZ_IS14_E10value_typeET4_jRbjT5_S1A_jjP12ihipStream_tbEUljE_EEESV_SW_SX_S14_S18_S1A_T6_T7_T9_mT8_S1C_bDpT10_ENKUlT_T0_E_clISt17integral_constantIbLb1EES1O_IbLb0EEEEDaS1K_S1L_EUlS1K_E_NS1_11comp_targetILNS1_3genE4ELNS1_11target_archE910ELNS1_3gpuE8ELNS1_3repE0EEENS1_30default_config_static_selectorELNS0_4arch9wavefront6targetE0EEEvSY_, .Lfunc_end891-_ZN7rocprim17ROCPRIM_400000_NS6detail17trampoline_kernelINS0_13select_configILj256ELj13ELNS0_17block_load_methodE3ELS4_3ELS4_3ELNS0_20block_scan_algorithmE0ELj4294967295EEENS1_25partition_config_selectorILNS1_17partition_subalgoE3EjNS0_10empty_typeEbEEZZNS1_14partition_implILS8_3ELb0ES6_jNS0_17counting_iteratorIjlEEPS9_SE_NS0_5tupleIJPjSE_EEENSF_IJSE_SE_EEES9_SG_JZNS1_25segmented_radix_sort_implINS0_14default_configELb1EPKsPsPKlPlN2at6native12_GLOBAL__N_18offset_tEEE10hipError_tPvRmT1_PNSt15iterator_traitsISY_E10value_typeET2_T3_PNSZ_IS14_E10value_typeET4_jRbjT5_S1A_jjP12ihipStream_tbEUljE_EEESV_SW_SX_S14_S18_S1A_T6_T7_T9_mT8_S1C_bDpT10_ENKUlT_T0_E_clISt17integral_constantIbLb1EES1O_IbLb0EEEEDaS1K_S1L_EUlS1K_E_NS1_11comp_targetILNS1_3genE4ELNS1_11target_archE910ELNS1_3gpuE8ELNS1_3repE0EEENS1_30default_config_static_selectorELNS0_4arch9wavefront6targetE0EEEvSY_
                                        ; -- End function
	.set _ZN7rocprim17ROCPRIM_400000_NS6detail17trampoline_kernelINS0_13select_configILj256ELj13ELNS0_17block_load_methodE3ELS4_3ELS4_3ELNS0_20block_scan_algorithmE0ELj4294967295EEENS1_25partition_config_selectorILNS1_17partition_subalgoE3EjNS0_10empty_typeEbEEZZNS1_14partition_implILS8_3ELb0ES6_jNS0_17counting_iteratorIjlEEPS9_SE_NS0_5tupleIJPjSE_EEENSF_IJSE_SE_EEES9_SG_JZNS1_25segmented_radix_sort_implINS0_14default_configELb1EPKsPsPKlPlN2at6native12_GLOBAL__N_18offset_tEEE10hipError_tPvRmT1_PNSt15iterator_traitsISY_E10value_typeET2_T3_PNSZ_IS14_E10value_typeET4_jRbjT5_S1A_jjP12ihipStream_tbEUljE_EEESV_SW_SX_S14_S18_S1A_T6_T7_T9_mT8_S1C_bDpT10_ENKUlT_T0_E_clISt17integral_constantIbLb1EES1O_IbLb0EEEEDaS1K_S1L_EUlS1K_E_NS1_11comp_targetILNS1_3genE4ELNS1_11target_archE910ELNS1_3gpuE8ELNS1_3repE0EEENS1_30default_config_static_selectorELNS0_4arch9wavefront6targetE0EEEvSY_.num_vgpr, 0
	.set _ZN7rocprim17ROCPRIM_400000_NS6detail17trampoline_kernelINS0_13select_configILj256ELj13ELNS0_17block_load_methodE3ELS4_3ELS4_3ELNS0_20block_scan_algorithmE0ELj4294967295EEENS1_25partition_config_selectorILNS1_17partition_subalgoE3EjNS0_10empty_typeEbEEZZNS1_14partition_implILS8_3ELb0ES6_jNS0_17counting_iteratorIjlEEPS9_SE_NS0_5tupleIJPjSE_EEENSF_IJSE_SE_EEES9_SG_JZNS1_25segmented_radix_sort_implINS0_14default_configELb1EPKsPsPKlPlN2at6native12_GLOBAL__N_18offset_tEEE10hipError_tPvRmT1_PNSt15iterator_traitsISY_E10value_typeET2_T3_PNSZ_IS14_E10value_typeET4_jRbjT5_S1A_jjP12ihipStream_tbEUljE_EEESV_SW_SX_S14_S18_S1A_T6_T7_T9_mT8_S1C_bDpT10_ENKUlT_T0_E_clISt17integral_constantIbLb1EES1O_IbLb0EEEEDaS1K_S1L_EUlS1K_E_NS1_11comp_targetILNS1_3genE4ELNS1_11target_archE910ELNS1_3gpuE8ELNS1_3repE0EEENS1_30default_config_static_selectorELNS0_4arch9wavefront6targetE0EEEvSY_.num_agpr, 0
	.set _ZN7rocprim17ROCPRIM_400000_NS6detail17trampoline_kernelINS0_13select_configILj256ELj13ELNS0_17block_load_methodE3ELS4_3ELS4_3ELNS0_20block_scan_algorithmE0ELj4294967295EEENS1_25partition_config_selectorILNS1_17partition_subalgoE3EjNS0_10empty_typeEbEEZZNS1_14partition_implILS8_3ELb0ES6_jNS0_17counting_iteratorIjlEEPS9_SE_NS0_5tupleIJPjSE_EEENSF_IJSE_SE_EEES9_SG_JZNS1_25segmented_radix_sort_implINS0_14default_configELb1EPKsPsPKlPlN2at6native12_GLOBAL__N_18offset_tEEE10hipError_tPvRmT1_PNSt15iterator_traitsISY_E10value_typeET2_T3_PNSZ_IS14_E10value_typeET4_jRbjT5_S1A_jjP12ihipStream_tbEUljE_EEESV_SW_SX_S14_S18_S1A_T6_T7_T9_mT8_S1C_bDpT10_ENKUlT_T0_E_clISt17integral_constantIbLb1EES1O_IbLb0EEEEDaS1K_S1L_EUlS1K_E_NS1_11comp_targetILNS1_3genE4ELNS1_11target_archE910ELNS1_3gpuE8ELNS1_3repE0EEENS1_30default_config_static_selectorELNS0_4arch9wavefront6targetE0EEEvSY_.numbered_sgpr, 0
	.set _ZN7rocprim17ROCPRIM_400000_NS6detail17trampoline_kernelINS0_13select_configILj256ELj13ELNS0_17block_load_methodE3ELS4_3ELS4_3ELNS0_20block_scan_algorithmE0ELj4294967295EEENS1_25partition_config_selectorILNS1_17partition_subalgoE3EjNS0_10empty_typeEbEEZZNS1_14partition_implILS8_3ELb0ES6_jNS0_17counting_iteratorIjlEEPS9_SE_NS0_5tupleIJPjSE_EEENSF_IJSE_SE_EEES9_SG_JZNS1_25segmented_radix_sort_implINS0_14default_configELb1EPKsPsPKlPlN2at6native12_GLOBAL__N_18offset_tEEE10hipError_tPvRmT1_PNSt15iterator_traitsISY_E10value_typeET2_T3_PNSZ_IS14_E10value_typeET4_jRbjT5_S1A_jjP12ihipStream_tbEUljE_EEESV_SW_SX_S14_S18_S1A_T6_T7_T9_mT8_S1C_bDpT10_ENKUlT_T0_E_clISt17integral_constantIbLb1EES1O_IbLb0EEEEDaS1K_S1L_EUlS1K_E_NS1_11comp_targetILNS1_3genE4ELNS1_11target_archE910ELNS1_3gpuE8ELNS1_3repE0EEENS1_30default_config_static_selectorELNS0_4arch9wavefront6targetE0EEEvSY_.num_named_barrier, 0
	.set _ZN7rocprim17ROCPRIM_400000_NS6detail17trampoline_kernelINS0_13select_configILj256ELj13ELNS0_17block_load_methodE3ELS4_3ELS4_3ELNS0_20block_scan_algorithmE0ELj4294967295EEENS1_25partition_config_selectorILNS1_17partition_subalgoE3EjNS0_10empty_typeEbEEZZNS1_14partition_implILS8_3ELb0ES6_jNS0_17counting_iteratorIjlEEPS9_SE_NS0_5tupleIJPjSE_EEENSF_IJSE_SE_EEES9_SG_JZNS1_25segmented_radix_sort_implINS0_14default_configELb1EPKsPsPKlPlN2at6native12_GLOBAL__N_18offset_tEEE10hipError_tPvRmT1_PNSt15iterator_traitsISY_E10value_typeET2_T3_PNSZ_IS14_E10value_typeET4_jRbjT5_S1A_jjP12ihipStream_tbEUljE_EEESV_SW_SX_S14_S18_S1A_T6_T7_T9_mT8_S1C_bDpT10_ENKUlT_T0_E_clISt17integral_constantIbLb1EES1O_IbLb0EEEEDaS1K_S1L_EUlS1K_E_NS1_11comp_targetILNS1_3genE4ELNS1_11target_archE910ELNS1_3gpuE8ELNS1_3repE0EEENS1_30default_config_static_selectorELNS0_4arch9wavefront6targetE0EEEvSY_.private_seg_size, 0
	.set _ZN7rocprim17ROCPRIM_400000_NS6detail17trampoline_kernelINS0_13select_configILj256ELj13ELNS0_17block_load_methodE3ELS4_3ELS4_3ELNS0_20block_scan_algorithmE0ELj4294967295EEENS1_25partition_config_selectorILNS1_17partition_subalgoE3EjNS0_10empty_typeEbEEZZNS1_14partition_implILS8_3ELb0ES6_jNS0_17counting_iteratorIjlEEPS9_SE_NS0_5tupleIJPjSE_EEENSF_IJSE_SE_EEES9_SG_JZNS1_25segmented_radix_sort_implINS0_14default_configELb1EPKsPsPKlPlN2at6native12_GLOBAL__N_18offset_tEEE10hipError_tPvRmT1_PNSt15iterator_traitsISY_E10value_typeET2_T3_PNSZ_IS14_E10value_typeET4_jRbjT5_S1A_jjP12ihipStream_tbEUljE_EEESV_SW_SX_S14_S18_S1A_T6_T7_T9_mT8_S1C_bDpT10_ENKUlT_T0_E_clISt17integral_constantIbLb1EES1O_IbLb0EEEEDaS1K_S1L_EUlS1K_E_NS1_11comp_targetILNS1_3genE4ELNS1_11target_archE910ELNS1_3gpuE8ELNS1_3repE0EEENS1_30default_config_static_selectorELNS0_4arch9wavefront6targetE0EEEvSY_.uses_vcc, 0
	.set _ZN7rocprim17ROCPRIM_400000_NS6detail17trampoline_kernelINS0_13select_configILj256ELj13ELNS0_17block_load_methodE3ELS4_3ELS4_3ELNS0_20block_scan_algorithmE0ELj4294967295EEENS1_25partition_config_selectorILNS1_17partition_subalgoE3EjNS0_10empty_typeEbEEZZNS1_14partition_implILS8_3ELb0ES6_jNS0_17counting_iteratorIjlEEPS9_SE_NS0_5tupleIJPjSE_EEENSF_IJSE_SE_EEES9_SG_JZNS1_25segmented_radix_sort_implINS0_14default_configELb1EPKsPsPKlPlN2at6native12_GLOBAL__N_18offset_tEEE10hipError_tPvRmT1_PNSt15iterator_traitsISY_E10value_typeET2_T3_PNSZ_IS14_E10value_typeET4_jRbjT5_S1A_jjP12ihipStream_tbEUljE_EEESV_SW_SX_S14_S18_S1A_T6_T7_T9_mT8_S1C_bDpT10_ENKUlT_T0_E_clISt17integral_constantIbLb1EES1O_IbLb0EEEEDaS1K_S1L_EUlS1K_E_NS1_11comp_targetILNS1_3genE4ELNS1_11target_archE910ELNS1_3gpuE8ELNS1_3repE0EEENS1_30default_config_static_selectorELNS0_4arch9wavefront6targetE0EEEvSY_.uses_flat_scratch, 0
	.set _ZN7rocprim17ROCPRIM_400000_NS6detail17trampoline_kernelINS0_13select_configILj256ELj13ELNS0_17block_load_methodE3ELS4_3ELS4_3ELNS0_20block_scan_algorithmE0ELj4294967295EEENS1_25partition_config_selectorILNS1_17partition_subalgoE3EjNS0_10empty_typeEbEEZZNS1_14partition_implILS8_3ELb0ES6_jNS0_17counting_iteratorIjlEEPS9_SE_NS0_5tupleIJPjSE_EEENSF_IJSE_SE_EEES9_SG_JZNS1_25segmented_radix_sort_implINS0_14default_configELb1EPKsPsPKlPlN2at6native12_GLOBAL__N_18offset_tEEE10hipError_tPvRmT1_PNSt15iterator_traitsISY_E10value_typeET2_T3_PNSZ_IS14_E10value_typeET4_jRbjT5_S1A_jjP12ihipStream_tbEUljE_EEESV_SW_SX_S14_S18_S1A_T6_T7_T9_mT8_S1C_bDpT10_ENKUlT_T0_E_clISt17integral_constantIbLb1EES1O_IbLb0EEEEDaS1K_S1L_EUlS1K_E_NS1_11comp_targetILNS1_3genE4ELNS1_11target_archE910ELNS1_3gpuE8ELNS1_3repE0EEENS1_30default_config_static_selectorELNS0_4arch9wavefront6targetE0EEEvSY_.has_dyn_sized_stack, 0
	.set _ZN7rocprim17ROCPRIM_400000_NS6detail17trampoline_kernelINS0_13select_configILj256ELj13ELNS0_17block_load_methodE3ELS4_3ELS4_3ELNS0_20block_scan_algorithmE0ELj4294967295EEENS1_25partition_config_selectorILNS1_17partition_subalgoE3EjNS0_10empty_typeEbEEZZNS1_14partition_implILS8_3ELb0ES6_jNS0_17counting_iteratorIjlEEPS9_SE_NS0_5tupleIJPjSE_EEENSF_IJSE_SE_EEES9_SG_JZNS1_25segmented_radix_sort_implINS0_14default_configELb1EPKsPsPKlPlN2at6native12_GLOBAL__N_18offset_tEEE10hipError_tPvRmT1_PNSt15iterator_traitsISY_E10value_typeET2_T3_PNSZ_IS14_E10value_typeET4_jRbjT5_S1A_jjP12ihipStream_tbEUljE_EEESV_SW_SX_S14_S18_S1A_T6_T7_T9_mT8_S1C_bDpT10_ENKUlT_T0_E_clISt17integral_constantIbLb1EES1O_IbLb0EEEEDaS1K_S1L_EUlS1K_E_NS1_11comp_targetILNS1_3genE4ELNS1_11target_archE910ELNS1_3gpuE8ELNS1_3repE0EEENS1_30default_config_static_selectorELNS0_4arch9wavefront6targetE0EEEvSY_.has_recursion, 0
	.set _ZN7rocprim17ROCPRIM_400000_NS6detail17trampoline_kernelINS0_13select_configILj256ELj13ELNS0_17block_load_methodE3ELS4_3ELS4_3ELNS0_20block_scan_algorithmE0ELj4294967295EEENS1_25partition_config_selectorILNS1_17partition_subalgoE3EjNS0_10empty_typeEbEEZZNS1_14partition_implILS8_3ELb0ES6_jNS0_17counting_iteratorIjlEEPS9_SE_NS0_5tupleIJPjSE_EEENSF_IJSE_SE_EEES9_SG_JZNS1_25segmented_radix_sort_implINS0_14default_configELb1EPKsPsPKlPlN2at6native12_GLOBAL__N_18offset_tEEE10hipError_tPvRmT1_PNSt15iterator_traitsISY_E10value_typeET2_T3_PNSZ_IS14_E10value_typeET4_jRbjT5_S1A_jjP12ihipStream_tbEUljE_EEESV_SW_SX_S14_S18_S1A_T6_T7_T9_mT8_S1C_bDpT10_ENKUlT_T0_E_clISt17integral_constantIbLb1EES1O_IbLb0EEEEDaS1K_S1L_EUlS1K_E_NS1_11comp_targetILNS1_3genE4ELNS1_11target_archE910ELNS1_3gpuE8ELNS1_3repE0EEENS1_30default_config_static_selectorELNS0_4arch9wavefront6targetE0EEEvSY_.has_indirect_call, 0
	.section	.AMDGPU.csdata,"",@progbits
; Kernel info:
; codeLenInByte = 0
; TotalNumSgprs: 0
; NumVgprs: 0
; ScratchSize: 0
; MemoryBound: 0
; FloatMode: 240
; IeeeMode: 1
; LDSByteSize: 0 bytes/workgroup (compile time only)
; SGPRBlocks: 0
; VGPRBlocks: 0
; NumSGPRsForWavesPerEU: 1
; NumVGPRsForWavesPerEU: 1
; Occupancy: 16
; WaveLimiterHint : 0
; COMPUTE_PGM_RSRC2:SCRATCH_EN: 0
; COMPUTE_PGM_RSRC2:USER_SGPR: 6
; COMPUTE_PGM_RSRC2:TRAP_HANDLER: 0
; COMPUTE_PGM_RSRC2:TGID_X_EN: 1
; COMPUTE_PGM_RSRC2:TGID_Y_EN: 0
; COMPUTE_PGM_RSRC2:TGID_Z_EN: 0
; COMPUTE_PGM_RSRC2:TIDIG_COMP_CNT: 0
	.section	.text._ZN7rocprim17ROCPRIM_400000_NS6detail17trampoline_kernelINS0_13select_configILj256ELj13ELNS0_17block_load_methodE3ELS4_3ELS4_3ELNS0_20block_scan_algorithmE0ELj4294967295EEENS1_25partition_config_selectorILNS1_17partition_subalgoE3EjNS0_10empty_typeEbEEZZNS1_14partition_implILS8_3ELb0ES6_jNS0_17counting_iteratorIjlEEPS9_SE_NS0_5tupleIJPjSE_EEENSF_IJSE_SE_EEES9_SG_JZNS1_25segmented_radix_sort_implINS0_14default_configELb1EPKsPsPKlPlN2at6native12_GLOBAL__N_18offset_tEEE10hipError_tPvRmT1_PNSt15iterator_traitsISY_E10value_typeET2_T3_PNSZ_IS14_E10value_typeET4_jRbjT5_S1A_jjP12ihipStream_tbEUljE_EEESV_SW_SX_S14_S18_S1A_T6_T7_T9_mT8_S1C_bDpT10_ENKUlT_T0_E_clISt17integral_constantIbLb1EES1O_IbLb0EEEEDaS1K_S1L_EUlS1K_E_NS1_11comp_targetILNS1_3genE3ELNS1_11target_archE908ELNS1_3gpuE7ELNS1_3repE0EEENS1_30default_config_static_selectorELNS0_4arch9wavefront6targetE0EEEvSY_,"axG",@progbits,_ZN7rocprim17ROCPRIM_400000_NS6detail17trampoline_kernelINS0_13select_configILj256ELj13ELNS0_17block_load_methodE3ELS4_3ELS4_3ELNS0_20block_scan_algorithmE0ELj4294967295EEENS1_25partition_config_selectorILNS1_17partition_subalgoE3EjNS0_10empty_typeEbEEZZNS1_14partition_implILS8_3ELb0ES6_jNS0_17counting_iteratorIjlEEPS9_SE_NS0_5tupleIJPjSE_EEENSF_IJSE_SE_EEES9_SG_JZNS1_25segmented_radix_sort_implINS0_14default_configELb1EPKsPsPKlPlN2at6native12_GLOBAL__N_18offset_tEEE10hipError_tPvRmT1_PNSt15iterator_traitsISY_E10value_typeET2_T3_PNSZ_IS14_E10value_typeET4_jRbjT5_S1A_jjP12ihipStream_tbEUljE_EEESV_SW_SX_S14_S18_S1A_T6_T7_T9_mT8_S1C_bDpT10_ENKUlT_T0_E_clISt17integral_constantIbLb1EES1O_IbLb0EEEEDaS1K_S1L_EUlS1K_E_NS1_11comp_targetILNS1_3genE3ELNS1_11target_archE908ELNS1_3gpuE7ELNS1_3repE0EEENS1_30default_config_static_selectorELNS0_4arch9wavefront6targetE0EEEvSY_,comdat
	.globl	_ZN7rocprim17ROCPRIM_400000_NS6detail17trampoline_kernelINS0_13select_configILj256ELj13ELNS0_17block_load_methodE3ELS4_3ELS4_3ELNS0_20block_scan_algorithmE0ELj4294967295EEENS1_25partition_config_selectorILNS1_17partition_subalgoE3EjNS0_10empty_typeEbEEZZNS1_14partition_implILS8_3ELb0ES6_jNS0_17counting_iteratorIjlEEPS9_SE_NS0_5tupleIJPjSE_EEENSF_IJSE_SE_EEES9_SG_JZNS1_25segmented_radix_sort_implINS0_14default_configELb1EPKsPsPKlPlN2at6native12_GLOBAL__N_18offset_tEEE10hipError_tPvRmT1_PNSt15iterator_traitsISY_E10value_typeET2_T3_PNSZ_IS14_E10value_typeET4_jRbjT5_S1A_jjP12ihipStream_tbEUljE_EEESV_SW_SX_S14_S18_S1A_T6_T7_T9_mT8_S1C_bDpT10_ENKUlT_T0_E_clISt17integral_constantIbLb1EES1O_IbLb0EEEEDaS1K_S1L_EUlS1K_E_NS1_11comp_targetILNS1_3genE3ELNS1_11target_archE908ELNS1_3gpuE7ELNS1_3repE0EEENS1_30default_config_static_selectorELNS0_4arch9wavefront6targetE0EEEvSY_ ; -- Begin function _ZN7rocprim17ROCPRIM_400000_NS6detail17trampoline_kernelINS0_13select_configILj256ELj13ELNS0_17block_load_methodE3ELS4_3ELS4_3ELNS0_20block_scan_algorithmE0ELj4294967295EEENS1_25partition_config_selectorILNS1_17partition_subalgoE3EjNS0_10empty_typeEbEEZZNS1_14partition_implILS8_3ELb0ES6_jNS0_17counting_iteratorIjlEEPS9_SE_NS0_5tupleIJPjSE_EEENSF_IJSE_SE_EEES9_SG_JZNS1_25segmented_radix_sort_implINS0_14default_configELb1EPKsPsPKlPlN2at6native12_GLOBAL__N_18offset_tEEE10hipError_tPvRmT1_PNSt15iterator_traitsISY_E10value_typeET2_T3_PNSZ_IS14_E10value_typeET4_jRbjT5_S1A_jjP12ihipStream_tbEUljE_EEESV_SW_SX_S14_S18_S1A_T6_T7_T9_mT8_S1C_bDpT10_ENKUlT_T0_E_clISt17integral_constantIbLb1EES1O_IbLb0EEEEDaS1K_S1L_EUlS1K_E_NS1_11comp_targetILNS1_3genE3ELNS1_11target_archE908ELNS1_3gpuE7ELNS1_3repE0EEENS1_30default_config_static_selectorELNS0_4arch9wavefront6targetE0EEEvSY_
	.p2align	8
	.type	_ZN7rocprim17ROCPRIM_400000_NS6detail17trampoline_kernelINS0_13select_configILj256ELj13ELNS0_17block_load_methodE3ELS4_3ELS4_3ELNS0_20block_scan_algorithmE0ELj4294967295EEENS1_25partition_config_selectorILNS1_17partition_subalgoE3EjNS0_10empty_typeEbEEZZNS1_14partition_implILS8_3ELb0ES6_jNS0_17counting_iteratorIjlEEPS9_SE_NS0_5tupleIJPjSE_EEENSF_IJSE_SE_EEES9_SG_JZNS1_25segmented_radix_sort_implINS0_14default_configELb1EPKsPsPKlPlN2at6native12_GLOBAL__N_18offset_tEEE10hipError_tPvRmT1_PNSt15iterator_traitsISY_E10value_typeET2_T3_PNSZ_IS14_E10value_typeET4_jRbjT5_S1A_jjP12ihipStream_tbEUljE_EEESV_SW_SX_S14_S18_S1A_T6_T7_T9_mT8_S1C_bDpT10_ENKUlT_T0_E_clISt17integral_constantIbLb1EES1O_IbLb0EEEEDaS1K_S1L_EUlS1K_E_NS1_11comp_targetILNS1_3genE3ELNS1_11target_archE908ELNS1_3gpuE7ELNS1_3repE0EEENS1_30default_config_static_selectorELNS0_4arch9wavefront6targetE0EEEvSY_,@function
_ZN7rocprim17ROCPRIM_400000_NS6detail17trampoline_kernelINS0_13select_configILj256ELj13ELNS0_17block_load_methodE3ELS4_3ELS4_3ELNS0_20block_scan_algorithmE0ELj4294967295EEENS1_25partition_config_selectorILNS1_17partition_subalgoE3EjNS0_10empty_typeEbEEZZNS1_14partition_implILS8_3ELb0ES6_jNS0_17counting_iteratorIjlEEPS9_SE_NS0_5tupleIJPjSE_EEENSF_IJSE_SE_EEES9_SG_JZNS1_25segmented_radix_sort_implINS0_14default_configELb1EPKsPsPKlPlN2at6native12_GLOBAL__N_18offset_tEEE10hipError_tPvRmT1_PNSt15iterator_traitsISY_E10value_typeET2_T3_PNSZ_IS14_E10value_typeET4_jRbjT5_S1A_jjP12ihipStream_tbEUljE_EEESV_SW_SX_S14_S18_S1A_T6_T7_T9_mT8_S1C_bDpT10_ENKUlT_T0_E_clISt17integral_constantIbLb1EES1O_IbLb0EEEEDaS1K_S1L_EUlS1K_E_NS1_11comp_targetILNS1_3genE3ELNS1_11target_archE908ELNS1_3gpuE7ELNS1_3repE0EEENS1_30default_config_static_selectorELNS0_4arch9wavefront6targetE0EEEvSY_: ; @_ZN7rocprim17ROCPRIM_400000_NS6detail17trampoline_kernelINS0_13select_configILj256ELj13ELNS0_17block_load_methodE3ELS4_3ELS4_3ELNS0_20block_scan_algorithmE0ELj4294967295EEENS1_25partition_config_selectorILNS1_17partition_subalgoE3EjNS0_10empty_typeEbEEZZNS1_14partition_implILS8_3ELb0ES6_jNS0_17counting_iteratorIjlEEPS9_SE_NS0_5tupleIJPjSE_EEENSF_IJSE_SE_EEES9_SG_JZNS1_25segmented_radix_sort_implINS0_14default_configELb1EPKsPsPKlPlN2at6native12_GLOBAL__N_18offset_tEEE10hipError_tPvRmT1_PNSt15iterator_traitsISY_E10value_typeET2_T3_PNSZ_IS14_E10value_typeET4_jRbjT5_S1A_jjP12ihipStream_tbEUljE_EEESV_SW_SX_S14_S18_S1A_T6_T7_T9_mT8_S1C_bDpT10_ENKUlT_T0_E_clISt17integral_constantIbLb1EES1O_IbLb0EEEEDaS1K_S1L_EUlS1K_E_NS1_11comp_targetILNS1_3genE3ELNS1_11target_archE908ELNS1_3gpuE7ELNS1_3repE0EEENS1_30default_config_static_selectorELNS0_4arch9wavefront6targetE0EEEvSY_
; %bb.0:
	.section	.rodata,"a",@progbits
	.p2align	6, 0x0
	.amdhsa_kernel _ZN7rocprim17ROCPRIM_400000_NS6detail17trampoline_kernelINS0_13select_configILj256ELj13ELNS0_17block_load_methodE3ELS4_3ELS4_3ELNS0_20block_scan_algorithmE0ELj4294967295EEENS1_25partition_config_selectorILNS1_17partition_subalgoE3EjNS0_10empty_typeEbEEZZNS1_14partition_implILS8_3ELb0ES6_jNS0_17counting_iteratorIjlEEPS9_SE_NS0_5tupleIJPjSE_EEENSF_IJSE_SE_EEES9_SG_JZNS1_25segmented_radix_sort_implINS0_14default_configELb1EPKsPsPKlPlN2at6native12_GLOBAL__N_18offset_tEEE10hipError_tPvRmT1_PNSt15iterator_traitsISY_E10value_typeET2_T3_PNSZ_IS14_E10value_typeET4_jRbjT5_S1A_jjP12ihipStream_tbEUljE_EEESV_SW_SX_S14_S18_S1A_T6_T7_T9_mT8_S1C_bDpT10_ENKUlT_T0_E_clISt17integral_constantIbLb1EES1O_IbLb0EEEEDaS1K_S1L_EUlS1K_E_NS1_11comp_targetILNS1_3genE3ELNS1_11target_archE908ELNS1_3gpuE7ELNS1_3repE0EEENS1_30default_config_static_selectorELNS0_4arch9wavefront6targetE0EEEvSY_
		.amdhsa_group_segment_fixed_size 0
		.amdhsa_private_segment_fixed_size 0
		.amdhsa_kernarg_size 144
		.amdhsa_user_sgpr_count 6
		.amdhsa_user_sgpr_private_segment_buffer 1
		.amdhsa_user_sgpr_dispatch_ptr 0
		.amdhsa_user_sgpr_queue_ptr 0
		.amdhsa_user_sgpr_kernarg_segment_ptr 1
		.amdhsa_user_sgpr_dispatch_id 0
		.amdhsa_user_sgpr_flat_scratch_init 0
		.amdhsa_user_sgpr_private_segment_size 0
		.amdhsa_wavefront_size32 1
		.amdhsa_uses_dynamic_stack 0
		.amdhsa_system_sgpr_private_segment_wavefront_offset 0
		.amdhsa_system_sgpr_workgroup_id_x 1
		.amdhsa_system_sgpr_workgroup_id_y 0
		.amdhsa_system_sgpr_workgroup_id_z 0
		.amdhsa_system_sgpr_workgroup_info 0
		.amdhsa_system_vgpr_workitem_id 0
		.amdhsa_next_free_vgpr 1
		.amdhsa_next_free_sgpr 1
		.amdhsa_reserve_vcc 0
		.amdhsa_reserve_flat_scratch 0
		.amdhsa_float_round_mode_32 0
		.amdhsa_float_round_mode_16_64 0
		.amdhsa_float_denorm_mode_32 3
		.amdhsa_float_denorm_mode_16_64 3
		.amdhsa_dx10_clamp 1
		.amdhsa_ieee_mode 1
		.amdhsa_fp16_overflow 0
		.amdhsa_workgroup_processor_mode 1
		.amdhsa_memory_ordered 1
		.amdhsa_forward_progress 1
		.amdhsa_shared_vgpr_count 0
		.amdhsa_exception_fp_ieee_invalid_op 0
		.amdhsa_exception_fp_denorm_src 0
		.amdhsa_exception_fp_ieee_div_zero 0
		.amdhsa_exception_fp_ieee_overflow 0
		.amdhsa_exception_fp_ieee_underflow 0
		.amdhsa_exception_fp_ieee_inexact 0
		.amdhsa_exception_int_div_zero 0
	.end_amdhsa_kernel
	.section	.text._ZN7rocprim17ROCPRIM_400000_NS6detail17trampoline_kernelINS0_13select_configILj256ELj13ELNS0_17block_load_methodE3ELS4_3ELS4_3ELNS0_20block_scan_algorithmE0ELj4294967295EEENS1_25partition_config_selectorILNS1_17partition_subalgoE3EjNS0_10empty_typeEbEEZZNS1_14partition_implILS8_3ELb0ES6_jNS0_17counting_iteratorIjlEEPS9_SE_NS0_5tupleIJPjSE_EEENSF_IJSE_SE_EEES9_SG_JZNS1_25segmented_radix_sort_implINS0_14default_configELb1EPKsPsPKlPlN2at6native12_GLOBAL__N_18offset_tEEE10hipError_tPvRmT1_PNSt15iterator_traitsISY_E10value_typeET2_T3_PNSZ_IS14_E10value_typeET4_jRbjT5_S1A_jjP12ihipStream_tbEUljE_EEESV_SW_SX_S14_S18_S1A_T6_T7_T9_mT8_S1C_bDpT10_ENKUlT_T0_E_clISt17integral_constantIbLb1EES1O_IbLb0EEEEDaS1K_S1L_EUlS1K_E_NS1_11comp_targetILNS1_3genE3ELNS1_11target_archE908ELNS1_3gpuE7ELNS1_3repE0EEENS1_30default_config_static_selectorELNS0_4arch9wavefront6targetE0EEEvSY_,"axG",@progbits,_ZN7rocprim17ROCPRIM_400000_NS6detail17trampoline_kernelINS0_13select_configILj256ELj13ELNS0_17block_load_methodE3ELS4_3ELS4_3ELNS0_20block_scan_algorithmE0ELj4294967295EEENS1_25partition_config_selectorILNS1_17partition_subalgoE3EjNS0_10empty_typeEbEEZZNS1_14partition_implILS8_3ELb0ES6_jNS0_17counting_iteratorIjlEEPS9_SE_NS0_5tupleIJPjSE_EEENSF_IJSE_SE_EEES9_SG_JZNS1_25segmented_radix_sort_implINS0_14default_configELb1EPKsPsPKlPlN2at6native12_GLOBAL__N_18offset_tEEE10hipError_tPvRmT1_PNSt15iterator_traitsISY_E10value_typeET2_T3_PNSZ_IS14_E10value_typeET4_jRbjT5_S1A_jjP12ihipStream_tbEUljE_EEESV_SW_SX_S14_S18_S1A_T6_T7_T9_mT8_S1C_bDpT10_ENKUlT_T0_E_clISt17integral_constantIbLb1EES1O_IbLb0EEEEDaS1K_S1L_EUlS1K_E_NS1_11comp_targetILNS1_3genE3ELNS1_11target_archE908ELNS1_3gpuE7ELNS1_3repE0EEENS1_30default_config_static_selectorELNS0_4arch9wavefront6targetE0EEEvSY_,comdat
.Lfunc_end892:
	.size	_ZN7rocprim17ROCPRIM_400000_NS6detail17trampoline_kernelINS0_13select_configILj256ELj13ELNS0_17block_load_methodE3ELS4_3ELS4_3ELNS0_20block_scan_algorithmE0ELj4294967295EEENS1_25partition_config_selectorILNS1_17partition_subalgoE3EjNS0_10empty_typeEbEEZZNS1_14partition_implILS8_3ELb0ES6_jNS0_17counting_iteratorIjlEEPS9_SE_NS0_5tupleIJPjSE_EEENSF_IJSE_SE_EEES9_SG_JZNS1_25segmented_radix_sort_implINS0_14default_configELb1EPKsPsPKlPlN2at6native12_GLOBAL__N_18offset_tEEE10hipError_tPvRmT1_PNSt15iterator_traitsISY_E10value_typeET2_T3_PNSZ_IS14_E10value_typeET4_jRbjT5_S1A_jjP12ihipStream_tbEUljE_EEESV_SW_SX_S14_S18_S1A_T6_T7_T9_mT8_S1C_bDpT10_ENKUlT_T0_E_clISt17integral_constantIbLb1EES1O_IbLb0EEEEDaS1K_S1L_EUlS1K_E_NS1_11comp_targetILNS1_3genE3ELNS1_11target_archE908ELNS1_3gpuE7ELNS1_3repE0EEENS1_30default_config_static_selectorELNS0_4arch9wavefront6targetE0EEEvSY_, .Lfunc_end892-_ZN7rocprim17ROCPRIM_400000_NS6detail17trampoline_kernelINS0_13select_configILj256ELj13ELNS0_17block_load_methodE3ELS4_3ELS4_3ELNS0_20block_scan_algorithmE0ELj4294967295EEENS1_25partition_config_selectorILNS1_17partition_subalgoE3EjNS0_10empty_typeEbEEZZNS1_14partition_implILS8_3ELb0ES6_jNS0_17counting_iteratorIjlEEPS9_SE_NS0_5tupleIJPjSE_EEENSF_IJSE_SE_EEES9_SG_JZNS1_25segmented_radix_sort_implINS0_14default_configELb1EPKsPsPKlPlN2at6native12_GLOBAL__N_18offset_tEEE10hipError_tPvRmT1_PNSt15iterator_traitsISY_E10value_typeET2_T3_PNSZ_IS14_E10value_typeET4_jRbjT5_S1A_jjP12ihipStream_tbEUljE_EEESV_SW_SX_S14_S18_S1A_T6_T7_T9_mT8_S1C_bDpT10_ENKUlT_T0_E_clISt17integral_constantIbLb1EES1O_IbLb0EEEEDaS1K_S1L_EUlS1K_E_NS1_11comp_targetILNS1_3genE3ELNS1_11target_archE908ELNS1_3gpuE7ELNS1_3repE0EEENS1_30default_config_static_selectorELNS0_4arch9wavefront6targetE0EEEvSY_
                                        ; -- End function
	.set _ZN7rocprim17ROCPRIM_400000_NS6detail17trampoline_kernelINS0_13select_configILj256ELj13ELNS0_17block_load_methodE3ELS4_3ELS4_3ELNS0_20block_scan_algorithmE0ELj4294967295EEENS1_25partition_config_selectorILNS1_17partition_subalgoE3EjNS0_10empty_typeEbEEZZNS1_14partition_implILS8_3ELb0ES6_jNS0_17counting_iteratorIjlEEPS9_SE_NS0_5tupleIJPjSE_EEENSF_IJSE_SE_EEES9_SG_JZNS1_25segmented_radix_sort_implINS0_14default_configELb1EPKsPsPKlPlN2at6native12_GLOBAL__N_18offset_tEEE10hipError_tPvRmT1_PNSt15iterator_traitsISY_E10value_typeET2_T3_PNSZ_IS14_E10value_typeET4_jRbjT5_S1A_jjP12ihipStream_tbEUljE_EEESV_SW_SX_S14_S18_S1A_T6_T7_T9_mT8_S1C_bDpT10_ENKUlT_T0_E_clISt17integral_constantIbLb1EES1O_IbLb0EEEEDaS1K_S1L_EUlS1K_E_NS1_11comp_targetILNS1_3genE3ELNS1_11target_archE908ELNS1_3gpuE7ELNS1_3repE0EEENS1_30default_config_static_selectorELNS0_4arch9wavefront6targetE0EEEvSY_.num_vgpr, 0
	.set _ZN7rocprim17ROCPRIM_400000_NS6detail17trampoline_kernelINS0_13select_configILj256ELj13ELNS0_17block_load_methodE3ELS4_3ELS4_3ELNS0_20block_scan_algorithmE0ELj4294967295EEENS1_25partition_config_selectorILNS1_17partition_subalgoE3EjNS0_10empty_typeEbEEZZNS1_14partition_implILS8_3ELb0ES6_jNS0_17counting_iteratorIjlEEPS9_SE_NS0_5tupleIJPjSE_EEENSF_IJSE_SE_EEES9_SG_JZNS1_25segmented_radix_sort_implINS0_14default_configELb1EPKsPsPKlPlN2at6native12_GLOBAL__N_18offset_tEEE10hipError_tPvRmT1_PNSt15iterator_traitsISY_E10value_typeET2_T3_PNSZ_IS14_E10value_typeET4_jRbjT5_S1A_jjP12ihipStream_tbEUljE_EEESV_SW_SX_S14_S18_S1A_T6_T7_T9_mT8_S1C_bDpT10_ENKUlT_T0_E_clISt17integral_constantIbLb1EES1O_IbLb0EEEEDaS1K_S1L_EUlS1K_E_NS1_11comp_targetILNS1_3genE3ELNS1_11target_archE908ELNS1_3gpuE7ELNS1_3repE0EEENS1_30default_config_static_selectorELNS0_4arch9wavefront6targetE0EEEvSY_.num_agpr, 0
	.set _ZN7rocprim17ROCPRIM_400000_NS6detail17trampoline_kernelINS0_13select_configILj256ELj13ELNS0_17block_load_methodE3ELS4_3ELS4_3ELNS0_20block_scan_algorithmE0ELj4294967295EEENS1_25partition_config_selectorILNS1_17partition_subalgoE3EjNS0_10empty_typeEbEEZZNS1_14partition_implILS8_3ELb0ES6_jNS0_17counting_iteratorIjlEEPS9_SE_NS0_5tupleIJPjSE_EEENSF_IJSE_SE_EEES9_SG_JZNS1_25segmented_radix_sort_implINS0_14default_configELb1EPKsPsPKlPlN2at6native12_GLOBAL__N_18offset_tEEE10hipError_tPvRmT1_PNSt15iterator_traitsISY_E10value_typeET2_T3_PNSZ_IS14_E10value_typeET4_jRbjT5_S1A_jjP12ihipStream_tbEUljE_EEESV_SW_SX_S14_S18_S1A_T6_T7_T9_mT8_S1C_bDpT10_ENKUlT_T0_E_clISt17integral_constantIbLb1EES1O_IbLb0EEEEDaS1K_S1L_EUlS1K_E_NS1_11comp_targetILNS1_3genE3ELNS1_11target_archE908ELNS1_3gpuE7ELNS1_3repE0EEENS1_30default_config_static_selectorELNS0_4arch9wavefront6targetE0EEEvSY_.numbered_sgpr, 0
	.set _ZN7rocprim17ROCPRIM_400000_NS6detail17trampoline_kernelINS0_13select_configILj256ELj13ELNS0_17block_load_methodE3ELS4_3ELS4_3ELNS0_20block_scan_algorithmE0ELj4294967295EEENS1_25partition_config_selectorILNS1_17partition_subalgoE3EjNS0_10empty_typeEbEEZZNS1_14partition_implILS8_3ELb0ES6_jNS0_17counting_iteratorIjlEEPS9_SE_NS0_5tupleIJPjSE_EEENSF_IJSE_SE_EEES9_SG_JZNS1_25segmented_radix_sort_implINS0_14default_configELb1EPKsPsPKlPlN2at6native12_GLOBAL__N_18offset_tEEE10hipError_tPvRmT1_PNSt15iterator_traitsISY_E10value_typeET2_T3_PNSZ_IS14_E10value_typeET4_jRbjT5_S1A_jjP12ihipStream_tbEUljE_EEESV_SW_SX_S14_S18_S1A_T6_T7_T9_mT8_S1C_bDpT10_ENKUlT_T0_E_clISt17integral_constantIbLb1EES1O_IbLb0EEEEDaS1K_S1L_EUlS1K_E_NS1_11comp_targetILNS1_3genE3ELNS1_11target_archE908ELNS1_3gpuE7ELNS1_3repE0EEENS1_30default_config_static_selectorELNS0_4arch9wavefront6targetE0EEEvSY_.num_named_barrier, 0
	.set _ZN7rocprim17ROCPRIM_400000_NS6detail17trampoline_kernelINS0_13select_configILj256ELj13ELNS0_17block_load_methodE3ELS4_3ELS4_3ELNS0_20block_scan_algorithmE0ELj4294967295EEENS1_25partition_config_selectorILNS1_17partition_subalgoE3EjNS0_10empty_typeEbEEZZNS1_14partition_implILS8_3ELb0ES6_jNS0_17counting_iteratorIjlEEPS9_SE_NS0_5tupleIJPjSE_EEENSF_IJSE_SE_EEES9_SG_JZNS1_25segmented_radix_sort_implINS0_14default_configELb1EPKsPsPKlPlN2at6native12_GLOBAL__N_18offset_tEEE10hipError_tPvRmT1_PNSt15iterator_traitsISY_E10value_typeET2_T3_PNSZ_IS14_E10value_typeET4_jRbjT5_S1A_jjP12ihipStream_tbEUljE_EEESV_SW_SX_S14_S18_S1A_T6_T7_T9_mT8_S1C_bDpT10_ENKUlT_T0_E_clISt17integral_constantIbLb1EES1O_IbLb0EEEEDaS1K_S1L_EUlS1K_E_NS1_11comp_targetILNS1_3genE3ELNS1_11target_archE908ELNS1_3gpuE7ELNS1_3repE0EEENS1_30default_config_static_selectorELNS0_4arch9wavefront6targetE0EEEvSY_.private_seg_size, 0
	.set _ZN7rocprim17ROCPRIM_400000_NS6detail17trampoline_kernelINS0_13select_configILj256ELj13ELNS0_17block_load_methodE3ELS4_3ELS4_3ELNS0_20block_scan_algorithmE0ELj4294967295EEENS1_25partition_config_selectorILNS1_17partition_subalgoE3EjNS0_10empty_typeEbEEZZNS1_14partition_implILS8_3ELb0ES6_jNS0_17counting_iteratorIjlEEPS9_SE_NS0_5tupleIJPjSE_EEENSF_IJSE_SE_EEES9_SG_JZNS1_25segmented_radix_sort_implINS0_14default_configELb1EPKsPsPKlPlN2at6native12_GLOBAL__N_18offset_tEEE10hipError_tPvRmT1_PNSt15iterator_traitsISY_E10value_typeET2_T3_PNSZ_IS14_E10value_typeET4_jRbjT5_S1A_jjP12ihipStream_tbEUljE_EEESV_SW_SX_S14_S18_S1A_T6_T7_T9_mT8_S1C_bDpT10_ENKUlT_T0_E_clISt17integral_constantIbLb1EES1O_IbLb0EEEEDaS1K_S1L_EUlS1K_E_NS1_11comp_targetILNS1_3genE3ELNS1_11target_archE908ELNS1_3gpuE7ELNS1_3repE0EEENS1_30default_config_static_selectorELNS0_4arch9wavefront6targetE0EEEvSY_.uses_vcc, 0
	.set _ZN7rocprim17ROCPRIM_400000_NS6detail17trampoline_kernelINS0_13select_configILj256ELj13ELNS0_17block_load_methodE3ELS4_3ELS4_3ELNS0_20block_scan_algorithmE0ELj4294967295EEENS1_25partition_config_selectorILNS1_17partition_subalgoE3EjNS0_10empty_typeEbEEZZNS1_14partition_implILS8_3ELb0ES6_jNS0_17counting_iteratorIjlEEPS9_SE_NS0_5tupleIJPjSE_EEENSF_IJSE_SE_EEES9_SG_JZNS1_25segmented_radix_sort_implINS0_14default_configELb1EPKsPsPKlPlN2at6native12_GLOBAL__N_18offset_tEEE10hipError_tPvRmT1_PNSt15iterator_traitsISY_E10value_typeET2_T3_PNSZ_IS14_E10value_typeET4_jRbjT5_S1A_jjP12ihipStream_tbEUljE_EEESV_SW_SX_S14_S18_S1A_T6_T7_T9_mT8_S1C_bDpT10_ENKUlT_T0_E_clISt17integral_constantIbLb1EES1O_IbLb0EEEEDaS1K_S1L_EUlS1K_E_NS1_11comp_targetILNS1_3genE3ELNS1_11target_archE908ELNS1_3gpuE7ELNS1_3repE0EEENS1_30default_config_static_selectorELNS0_4arch9wavefront6targetE0EEEvSY_.uses_flat_scratch, 0
	.set _ZN7rocprim17ROCPRIM_400000_NS6detail17trampoline_kernelINS0_13select_configILj256ELj13ELNS0_17block_load_methodE3ELS4_3ELS4_3ELNS0_20block_scan_algorithmE0ELj4294967295EEENS1_25partition_config_selectorILNS1_17partition_subalgoE3EjNS0_10empty_typeEbEEZZNS1_14partition_implILS8_3ELb0ES6_jNS0_17counting_iteratorIjlEEPS9_SE_NS0_5tupleIJPjSE_EEENSF_IJSE_SE_EEES9_SG_JZNS1_25segmented_radix_sort_implINS0_14default_configELb1EPKsPsPKlPlN2at6native12_GLOBAL__N_18offset_tEEE10hipError_tPvRmT1_PNSt15iterator_traitsISY_E10value_typeET2_T3_PNSZ_IS14_E10value_typeET4_jRbjT5_S1A_jjP12ihipStream_tbEUljE_EEESV_SW_SX_S14_S18_S1A_T6_T7_T9_mT8_S1C_bDpT10_ENKUlT_T0_E_clISt17integral_constantIbLb1EES1O_IbLb0EEEEDaS1K_S1L_EUlS1K_E_NS1_11comp_targetILNS1_3genE3ELNS1_11target_archE908ELNS1_3gpuE7ELNS1_3repE0EEENS1_30default_config_static_selectorELNS0_4arch9wavefront6targetE0EEEvSY_.has_dyn_sized_stack, 0
	.set _ZN7rocprim17ROCPRIM_400000_NS6detail17trampoline_kernelINS0_13select_configILj256ELj13ELNS0_17block_load_methodE3ELS4_3ELS4_3ELNS0_20block_scan_algorithmE0ELj4294967295EEENS1_25partition_config_selectorILNS1_17partition_subalgoE3EjNS0_10empty_typeEbEEZZNS1_14partition_implILS8_3ELb0ES6_jNS0_17counting_iteratorIjlEEPS9_SE_NS0_5tupleIJPjSE_EEENSF_IJSE_SE_EEES9_SG_JZNS1_25segmented_radix_sort_implINS0_14default_configELb1EPKsPsPKlPlN2at6native12_GLOBAL__N_18offset_tEEE10hipError_tPvRmT1_PNSt15iterator_traitsISY_E10value_typeET2_T3_PNSZ_IS14_E10value_typeET4_jRbjT5_S1A_jjP12ihipStream_tbEUljE_EEESV_SW_SX_S14_S18_S1A_T6_T7_T9_mT8_S1C_bDpT10_ENKUlT_T0_E_clISt17integral_constantIbLb1EES1O_IbLb0EEEEDaS1K_S1L_EUlS1K_E_NS1_11comp_targetILNS1_3genE3ELNS1_11target_archE908ELNS1_3gpuE7ELNS1_3repE0EEENS1_30default_config_static_selectorELNS0_4arch9wavefront6targetE0EEEvSY_.has_recursion, 0
	.set _ZN7rocprim17ROCPRIM_400000_NS6detail17trampoline_kernelINS0_13select_configILj256ELj13ELNS0_17block_load_methodE3ELS4_3ELS4_3ELNS0_20block_scan_algorithmE0ELj4294967295EEENS1_25partition_config_selectorILNS1_17partition_subalgoE3EjNS0_10empty_typeEbEEZZNS1_14partition_implILS8_3ELb0ES6_jNS0_17counting_iteratorIjlEEPS9_SE_NS0_5tupleIJPjSE_EEENSF_IJSE_SE_EEES9_SG_JZNS1_25segmented_radix_sort_implINS0_14default_configELb1EPKsPsPKlPlN2at6native12_GLOBAL__N_18offset_tEEE10hipError_tPvRmT1_PNSt15iterator_traitsISY_E10value_typeET2_T3_PNSZ_IS14_E10value_typeET4_jRbjT5_S1A_jjP12ihipStream_tbEUljE_EEESV_SW_SX_S14_S18_S1A_T6_T7_T9_mT8_S1C_bDpT10_ENKUlT_T0_E_clISt17integral_constantIbLb1EES1O_IbLb0EEEEDaS1K_S1L_EUlS1K_E_NS1_11comp_targetILNS1_3genE3ELNS1_11target_archE908ELNS1_3gpuE7ELNS1_3repE0EEENS1_30default_config_static_selectorELNS0_4arch9wavefront6targetE0EEEvSY_.has_indirect_call, 0
	.section	.AMDGPU.csdata,"",@progbits
; Kernel info:
; codeLenInByte = 0
; TotalNumSgprs: 0
; NumVgprs: 0
; ScratchSize: 0
; MemoryBound: 0
; FloatMode: 240
; IeeeMode: 1
; LDSByteSize: 0 bytes/workgroup (compile time only)
; SGPRBlocks: 0
; VGPRBlocks: 0
; NumSGPRsForWavesPerEU: 1
; NumVGPRsForWavesPerEU: 1
; Occupancy: 16
; WaveLimiterHint : 0
; COMPUTE_PGM_RSRC2:SCRATCH_EN: 0
; COMPUTE_PGM_RSRC2:USER_SGPR: 6
; COMPUTE_PGM_RSRC2:TRAP_HANDLER: 0
; COMPUTE_PGM_RSRC2:TGID_X_EN: 1
; COMPUTE_PGM_RSRC2:TGID_Y_EN: 0
; COMPUTE_PGM_RSRC2:TGID_Z_EN: 0
; COMPUTE_PGM_RSRC2:TIDIG_COMP_CNT: 0
	.section	.text._ZN7rocprim17ROCPRIM_400000_NS6detail17trampoline_kernelINS0_13select_configILj256ELj13ELNS0_17block_load_methodE3ELS4_3ELS4_3ELNS0_20block_scan_algorithmE0ELj4294967295EEENS1_25partition_config_selectorILNS1_17partition_subalgoE3EjNS0_10empty_typeEbEEZZNS1_14partition_implILS8_3ELb0ES6_jNS0_17counting_iteratorIjlEEPS9_SE_NS0_5tupleIJPjSE_EEENSF_IJSE_SE_EEES9_SG_JZNS1_25segmented_radix_sort_implINS0_14default_configELb1EPKsPsPKlPlN2at6native12_GLOBAL__N_18offset_tEEE10hipError_tPvRmT1_PNSt15iterator_traitsISY_E10value_typeET2_T3_PNSZ_IS14_E10value_typeET4_jRbjT5_S1A_jjP12ihipStream_tbEUljE_EEESV_SW_SX_S14_S18_S1A_T6_T7_T9_mT8_S1C_bDpT10_ENKUlT_T0_E_clISt17integral_constantIbLb1EES1O_IbLb0EEEEDaS1K_S1L_EUlS1K_E_NS1_11comp_targetILNS1_3genE2ELNS1_11target_archE906ELNS1_3gpuE6ELNS1_3repE0EEENS1_30default_config_static_selectorELNS0_4arch9wavefront6targetE0EEEvSY_,"axG",@progbits,_ZN7rocprim17ROCPRIM_400000_NS6detail17trampoline_kernelINS0_13select_configILj256ELj13ELNS0_17block_load_methodE3ELS4_3ELS4_3ELNS0_20block_scan_algorithmE0ELj4294967295EEENS1_25partition_config_selectorILNS1_17partition_subalgoE3EjNS0_10empty_typeEbEEZZNS1_14partition_implILS8_3ELb0ES6_jNS0_17counting_iteratorIjlEEPS9_SE_NS0_5tupleIJPjSE_EEENSF_IJSE_SE_EEES9_SG_JZNS1_25segmented_radix_sort_implINS0_14default_configELb1EPKsPsPKlPlN2at6native12_GLOBAL__N_18offset_tEEE10hipError_tPvRmT1_PNSt15iterator_traitsISY_E10value_typeET2_T3_PNSZ_IS14_E10value_typeET4_jRbjT5_S1A_jjP12ihipStream_tbEUljE_EEESV_SW_SX_S14_S18_S1A_T6_T7_T9_mT8_S1C_bDpT10_ENKUlT_T0_E_clISt17integral_constantIbLb1EES1O_IbLb0EEEEDaS1K_S1L_EUlS1K_E_NS1_11comp_targetILNS1_3genE2ELNS1_11target_archE906ELNS1_3gpuE6ELNS1_3repE0EEENS1_30default_config_static_selectorELNS0_4arch9wavefront6targetE0EEEvSY_,comdat
	.globl	_ZN7rocprim17ROCPRIM_400000_NS6detail17trampoline_kernelINS0_13select_configILj256ELj13ELNS0_17block_load_methodE3ELS4_3ELS4_3ELNS0_20block_scan_algorithmE0ELj4294967295EEENS1_25partition_config_selectorILNS1_17partition_subalgoE3EjNS0_10empty_typeEbEEZZNS1_14partition_implILS8_3ELb0ES6_jNS0_17counting_iteratorIjlEEPS9_SE_NS0_5tupleIJPjSE_EEENSF_IJSE_SE_EEES9_SG_JZNS1_25segmented_radix_sort_implINS0_14default_configELb1EPKsPsPKlPlN2at6native12_GLOBAL__N_18offset_tEEE10hipError_tPvRmT1_PNSt15iterator_traitsISY_E10value_typeET2_T3_PNSZ_IS14_E10value_typeET4_jRbjT5_S1A_jjP12ihipStream_tbEUljE_EEESV_SW_SX_S14_S18_S1A_T6_T7_T9_mT8_S1C_bDpT10_ENKUlT_T0_E_clISt17integral_constantIbLb1EES1O_IbLb0EEEEDaS1K_S1L_EUlS1K_E_NS1_11comp_targetILNS1_3genE2ELNS1_11target_archE906ELNS1_3gpuE6ELNS1_3repE0EEENS1_30default_config_static_selectorELNS0_4arch9wavefront6targetE0EEEvSY_ ; -- Begin function _ZN7rocprim17ROCPRIM_400000_NS6detail17trampoline_kernelINS0_13select_configILj256ELj13ELNS0_17block_load_methodE3ELS4_3ELS4_3ELNS0_20block_scan_algorithmE0ELj4294967295EEENS1_25partition_config_selectorILNS1_17partition_subalgoE3EjNS0_10empty_typeEbEEZZNS1_14partition_implILS8_3ELb0ES6_jNS0_17counting_iteratorIjlEEPS9_SE_NS0_5tupleIJPjSE_EEENSF_IJSE_SE_EEES9_SG_JZNS1_25segmented_radix_sort_implINS0_14default_configELb1EPKsPsPKlPlN2at6native12_GLOBAL__N_18offset_tEEE10hipError_tPvRmT1_PNSt15iterator_traitsISY_E10value_typeET2_T3_PNSZ_IS14_E10value_typeET4_jRbjT5_S1A_jjP12ihipStream_tbEUljE_EEESV_SW_SX_S14_S18_S1A_T6_T7_T9_mT8_S1C_bDpT10_ENKUlT_T0_E_clISt17integral_constantIbLb1EES1O_IbLb0EEEEDaS1K_S1L_EUlS1K_E_NS1_11comp_targetILNS1_3genE2ELNS1_11target_archE906ELNS1_3gpuE6ELNS1_3repE0EEENS1_30default_config_static_selectorELNS0_4arch9wavefront6targetE0EEEvSY_
	.p2align	8
	.type	_ZN7rocprim17ROCPRIM_400000_NS6detail17trampoline_kernelINS0_13select_configILj256ELj13ELNS0_17block_load_methodE3ELS4_3ELS4_3ELNS0_20block_scan_algorithmE0ELj4294967295EEENS1_25partition_config_selectorILNS1_17partition_subalgoE3EjNS0_10empty_typeEbEEZZNS1_14partition_implILS8_3ELb0ES6_jNS0_17counting_iteratorIjlEEPS9_SE_NS0_5tupleIJPjSE_EEENSF_IJSE_SE_EEES9_SG_JZNS1_25segmented_radix_sort_implINS0_14default_configELb1EPKsPsPKlPlN2at6native12_GLOBAL__N_18offset_tEEE10hipError_tPvRmT1_PNSt15iterator_traitsISY_E10value_typeET2_T3_PNSZ_IS14_E10value_typeET4_jRbjT5_S1A_jjP12ihipStream_tbEUljE_EEESV_SW_SX_S14_S18_S1A_T6_T7_T9_mT8_S1C_bDpT10_ENKUlT_T0_E_clISt17integral_constantIbLb1EES1O_IbLb0EEEEDaS1K_S1L_EUlS1K_E_NS1_11comp_targetILNS1_3genE2ELNS1_11target_archE906ELNS1_3gpuE6ELNS1_3repE0EEENS1_30default_config_static_selectorELNS0_4arch9wavefront6targetE0EEEvSY_,@function
_ZN7rocprim17ROCPRIM_400000_NS6detail17trampoline_kernelINS0_13select_configILj256ELj13ELNS0_17block_load_methodE3ELS4_3ELS4_3ELNS0_20block_scan_algorithmE0ELj4294967295EEENS1_25partition_config_selectorILNS1_17partition_subalgoE3EjNS0_10empty_typeEbEEZZNS1_14partition_implILS8_3ELb0ES6_jNS0_17counting_iteratorIjlEEPS9_SE_NS0_5tupleIJPjSE_EEENSF_IJSE_SE_EEES9_SG_JZNS1_25segmented_radix_sort_implINS0_14default_configELb1EPKsPsPKlPlN2at6native12_GLOBAL__N_18offset_tEEE10hipError_tPvRmT1_PNSt15iterator_traitsISY_E10value_typeET2_T3_PNSZ_IS14_E10value_typeET4_jRbjT5_S1A_jjP12ihipStream_tbEUljE_EEESV_SW_SX_S14_S18_S1A_T6_T7_T9_mT8_S1C_bDpT10_ENKUlT_T0_E_clISt17integral_constantIbLb1EES1O_IbLb0EEEEDaS1K_S1L_EUlS1K_E_NS1_11comp_targetILNS1_3genE2ELNS1_11target_archE906ELNS1_3gpuE6ELNS1_3repE0EEENS1_30default_config_static_selectorELNS0_4arch9wavefront6targetE0EEEvSY_: ; @_ZN7rocprim17ROCPRIM_400000_NS6detail17trampoline_kernelINS0_13select_configILj256ELj13ELNS0_17block_load_methodE3ELS4_3ELS4_3ELNS0_20block_scan_algorithmE0ELj4294967295EEENS1_25partition_config_selectorILNS1_17partition_subalgoE3EjNS0_10empty_typeEbEEZZNS1_14partition_implILS8_3ELb0ES6_jNS0_17counting_iteratorIjlEEPS9_SE_NS0_5tupleIJPjSE_EEENSF_IJSE_SE_EEES9_SG_JZNS1_25segmented_radix_sort_implINS0_14default_configELb1EPKsPsPKlPlN2at6native12_GLOBAL__N_18offset_tEEE10hipError_tPvRmT1_PNSt15iterator_traitsISY_E10value_typeET2_T3_PNSZ_IS14_E10value_typeET4_jRbjT5_S1A_jjP12ihipStream_tbEUljE_EEESV_SW_SX_S14_S18_S1A_T6_T7_T9_mT8_S1C_bDpT10_ENKUlT_T0_E_clISt17integral_constantIbLb1EES1O_IbLb0EEEEDaS1K_S1L_EUlS1K_E_NS1_11comp_targetILNS1_3genE2ELNS1_11target_archE906ELNS1_3gpuE6ELNS1_3repE0EEENS1_30default_config_static_selectorELNS0_4arch9wavefront6targetE0EEEvSY_
; %bb.0:
	.section	.rodata,"a",@progbits
	.p2align	6, 0x0
	.amdhsa_kernel _ZN7rocprim17ROCPRIM_400000_NS6detail17trampoline_kernelINS0_13select_configILj256ELj13ELNS0_17block_load_methodE3ELS4_3ELS4_3ELNS0_20block_scan_algorithmE0ELj4294967295EEENS1_25partition_config_selectorILNS1_17partition_subalgoE3EjNS0_10empty_typeEbEEZZNS1_14partition_implILS8_3ELb0ES6_jNS0_17counting_iteratorIjlEEPS9_SE_NS0_5tupleIJPjSE_EEENSF_IJSE_SE_EEES9_SG_JZNS1_25segmented_radix_sort_implINS0_14default_configELb1EPKsPsPKlPlN2at6native12_GLOBAL__N_18offset_tEEE10hipError_tPvRmT1_PNSt15iterator_traitsISY_E10value_typeET2_T3_PNSZ_IS14_E10value_typeET4_jRbjT5_S1A_jjP12ihipStream_tbEUljE_EEESV_SW_SX_S14_S18_S1A_T6_T7_T9_mT8_S1C_bDpT10_ENKUlT_T0_E_clISt17integral_constantIbLb1EES1O_IbLb0EEEEDaS1K_S1L_EUlS1K_E_NS1_11comp_targetILNS1_3genE2ELNS1_11target_archE906ELNS1_3gpuE6ELNS1_3repE0EEENS1_30default_config_static_selectorELNS0_4arch9wavefront6targetE0EEEvSY_
		.amdhsa_group_segment_fixed_size 0
		.amdhsa_private_segment_fixed_size 0
		.amdhsa_kernarg_size 144
		.amdhsa_user_sgpr_count 6
		.amdhsa_user_sgpr_private_segment_buffer 1
		.amdhsa_user_sgpr_dispatch_ptr 0
		.amdhsa_user_sgpr_queue_ptr 0
		.amdhsa_user_sgpr_kernarg_segment_ptr 1
		.amdhsa_user_sgpr_dispatch_id 0
		.amdhsa_user_sgpr_flat_scratch_init 0
		.amdhsa_user_sgpr_private_segment_size 0
		.amdhsa_wavefront_size32 1
		.amdhsa_uses_dynamic_stack 0
		.amdhsa_system_sgpr_private_segment_wavefront_offset 0
		.amdhsa_system_sgpr_workgroup_id_x 1
		.amdhsa_system_sgpr_workgroup_id_y 0
		.amdhsa_system_sgpr_workgroup_id_z 0
		.amdhsa_system_sgpr_workgroup_info 0
		.amdhsa_system_vgpr_workitem_id 0
		.amdhsa_next_free_vgpr 1
		.amdhsa_next_free_sgpr 1
		.amdhsa_reserve_vcc 0
		.amdhsa_reserve_flat_scratch 0
		.amdhsa_float_round_mode_32 0
		.amdhsa_float_round_mode_16_64 0
		.amdhsa_float_denorm_mode_32 3
		.amdhsa_float_denorm_mode_16_64 3
		.amdhsa_dx10_clamp 1
		.amdhsa_ieee_mode 1
		.amdhsa_fp16_overflow 0
		.amdhsa_workgroup_processor_mode 1
		.amdhsa_memory_ordered 1
		.amdhsa_forward_progress 1
		.amdhsa_shared_vgpr_count 0
		.amdhsa_exception_fp_ieee_invalid_op 0
		.amdhsa_exception_fp_denorm_src 0
		.amdhsa_exception_fp_ieee_div_zero 0
		.amdhsa_exception_fp_ieee_overflow 0
		.amdhsa_exception_fp_ieee_underflow 0
		.amdhsa_exception_fp_ieee_inexact 0
		.amdhsa_exception_int_div_zero 0
	.end_amdhsa_kernel
	.section	.text._ZN7rocprim17ROCPRIM_400000_NS6detail17trampoline_kernelINS0_13select_configILj256ELj13ELNS0_17block_load_methodE3ELS4_3ELS4_3ELNS0_20block_scan_algorithmE0ELj4294967295EEENS1_25partition_config_selectorILNS1_17partition_subalgoE3EjNS0_10empty_typeEbEEZZNS1_14partition_implILS8_3ELb0ES6_jNS0_17counting_iteratorIjlEEPS9_SE_NS0_5tupleIJPjSE_EEENSF_IJSE_SE_EEES9_SG_JZNS1_25segmented_radix_sort_implINS0_14default_configELb1EPKsPsPKlPlN2at6native12_GLOBAL__N_18offset_tEEE10hipError_tPvRmT1_PNSt15iterator_traitsISY_E10value_typeET2_T3_PNSZ_IS14_E10value_typeET4_jRbjT5_S1A_jjP12ihipStream_tbEUljE_EEESV_SW_SX_S14_S18_S1A_T6_T7_T9_mT8_S1C_bDpT10_ENKUlT_T0_E_clISt17integral_constantIbLb1EES1O_IbLb0EEEEDaS1K_S1L_EUlS1K_E_NS1_11comp_targetILNS1_3genE2ELNS1_11target_archE906ELNS1_3gpuE6ELNS1_3repE0EEENS1_30default_config_static_selectorELNS0_4arch9wavefront6targetE0EEEvSY_,"axG",@progbits,_ZN7rocprim17ROCPRIM_400000_NS6detail17trampoline_kernelINS0_13select_configILj256ELj13ELNS0_17block_load_methodE3ELS4_3ELS4_3ELNS0_20block_scan_algorithmE0ELj4294967295EEENS1_25partition_config_selectorILNS1_17partition_subalgoE3EjNS0_10empty_typeEbEEZZNS1_14partition_implILS8_3ELb0ES6_jNS0_17counting_iteratorIjlEEPS9_SE_NS0_5tupleIJPjSE_EEENSF_IJSE_SE_EEES9_SG_JZNS1_25segmented_radix_sort_implINS0_14default_configELb1EPKsPsPKlPlN2at6native12_GLOBAL__N_18offset_tEEE10hipError_tPvRmT1_PNSt15iterator_traitsISY_E10value_typeET2_T3_PNSZ_IS14_E10value_typeET4_jRbjT5_S1A_jjP12ihipStream_tbEUljE_EEESV_SW_SX_S14_S18_S1A_T6_T7_T9_mT8_S1C_bDpT10_ENKUlT_T0_E_clISt17integral_constantIbLb1EES1O_IbLb0EEEEDaS1K_S1L_EUlS1K_E_NS1_11comp_targetILNS1_3genE2ELNS1_11target_archE906ELNS1_3gpuE6ELNS1_3repE0EEENS1_30default_config_static_selectorELNS0_4arch9wavefront6targetE0EEEvSY_,comdat
.Lfunc_end893:
	.size	_ZN7rocprim17ROCPRIM_400000_NS6detail17trampoline_kernelINS0_13select_configILj256ELj13ELNS0_17block_load_methodE3ELS4_3ELS4_3ELNS0_20block_scan_algorithmE0ELj4294967295EEENS1_25partition_config_selectorILNS1_17partition_subalgoE3EjNS0_10empty_typeEbEEZZNS1_14partition_implILS8_3ELb0ES6_jNS0_17counting_iteratorIjlEEPS9_SE_NS0_5tupleIJPjSE_EEENSF_IJSE_SE_EEES9_SG_JZNS1_25segmented_radix_sort_implINS0_14default_configELb1EPKsPsPKlPlN2at6native12_GLOBAL__N_18offset_tEEE10hipError_tPvRmT1_PNSt15iterator_traitsISY_E10value_typeET2_T3_PNSZ_IS14_E10value_typeET4_jRbjT5_S1A_jjP12ihipStream_tbEUljE_EEESV_SW_SX_S14_S18_S1A_T6_T7_T9_mT8_S1C_bDpT10_ENKUlT_T0_E_clISt17integral_constantIbLb1EES1O_IbLb0EEEEDaS1K_S1L_EUlS1K_E_NS1_11comp_targetILNS1_3genE2ELNS1_11target_archE906ELNS1_3gpuE6ELNS1_3repE0EEENS1_30default_config_static_selectorELNS0_4arch9wavefront6targetE0EEEvSY_, .Lfunc_end893-_ZN7rocprim17ROCPRIM_400000_NS6detail17trampoline_kernelINS0_13select_configILj256ELj13ELNS0_17block_load_methodE3ELS4_3ELS4_3ELNS0_20block_scan_algorithmE0ELj4294967295EEENS1_25partition_config_selectorILNS1_17partition_subalgoE3EjNS0_10empty_typeEbEEZZNS1_14partition_implILS8_3ELb0ES6_jNS0_17counting_iteratorIjlEEPS9_SE_NS0_5tupleIJPjSE_EEENSF_IJSE_SE_EEES9_SG_JZNS1_25segmented_radix_sort_implINS0_14default_configELb1EPKsPsPKlPlN2at6native12_GLOBAL__N_18offset_tEEE10hipError_tPvRmT1_PNSt15iterator_traitsISY_E10value_typeET2_T3_PNSZ_IS14_E10value_typeET4_jRbjT5_S1A_jjP12ihipStream_tbEUljE_EEESV_SW_SX_S14_S18_S1A_T6_T7_T9_mT8_S1C_bDpT10_ENKUlT_T0_E_clISt17integral_constantIbLb1EES1O_IbLb0EEEEDaS1K_S1L_EUlS1K_E_NS1_11comp_targetILNS1_3genE2ELNS1_11target_archE906ELNS1_3gpuE6ELNS1_3repE0EEENS1_30default_config_static_selectorELNS0_4arch9wavefront6targetE0EEEvSY_
                                        ; -- End function
	.set _ZN7rocprim17ROCPRIM_400000_NS6detail17trampoline_kernelINS0_13select_configILj256ELj13ELNS0_17block_load_methodE3ELS4_3ELS4_3ELNS0_20block_scan_algorithmE0ELj4294967295EEENS1_25partition_config_selectorILNS1_17partition_subalgoE3EjNS0_10empty_typeEbEEZZNS1_14partition_implILS8_3ELb0ES6_jNS0_17counting_iteratorIjlEEPS9_SE_NS0_5tupleIJPjSE_EEENSF_IJSE_SE_EEES9_SG_JZNS1_25segmented_radix_sort_implINS0_14default_configELb1EPKsPsPKlPlN2at6native12_GLOBAL__N_18offset_tEEE10hipError_tPvRmT1_PNSt15iterator_traitsISY_E10value_typeET2_T3_PNSZ_IS14_E10value_typeET4_jRbjT5_S1A_jjP12ihipStream_tbEUljE_EEESV_SW_SX_S14_S18_S1A_T6_T7_T9_mT8_S1C_bDpT10_ENKUlT_T0_E_clISt17integral_constantIbLb1EES1O_IbLb0EEEEDaS1K_S1L_EUlS1K_E_NS1_11comp_targetILNS1_3genE2ELNS1_11target_archE906ELNS1_3gpuE6ELNS1_3repE0EEENS1_30default_config_static_selectorELNS0_4arch9wavefront6targetE0EEEvSY_.num_vgpr, 0
	.set _ZN7rocprim17ROCPRIM_400000_NS6detail17trampoline_kernelINS0_13select_configILj256ELj13ELNS0_17block_load_methodE3ELS4_3ELS4_3ELNS0_20block_scan_algorithmE0ELj4294967295EEENS1_25partition_config_selectorILNS1_17partition_subalgoE3EjNS0_10empty_typeEbEEZZNS1_14partition_implILS8_3ELb0ES6_jNS0_17counting_iteratorIjlEEPS9_SE_NS0_5tupleIJPjSE_EEENSF_IJSE_SE_EEES9_SG_JZNS1_25segmented_radix_sort_implINS0_14default_configELb1EPKsPsPKlPlN2at6native12_GLOBAL__N_18offset_tEEE10hipError_tPvRmT1_PNSt15iterator_traitsISY_E10value_typeET2_T3_PNSZ_IS14_E10value_typeET4_jRbjT5_S1A_jjP12ihipStream_tbEUljE_EEESV_SW_SX_S14_S18_S1A_T6_T7_T9_mT8_S1C_bDpT10_ENKUlT_T0_E_clISt17integral_constantIbLb1EES1O_IbLb0EEEEDaS1K_S1L_EUlS1K_E_NS1_11comp_targetILNS1_3genE2ELNS1_11target_archE906ELNS1_3gpuE6ELNS1_3repE0EEENS1_30default_config_static_selectorELNS0_4arch9wavefront6targetE0EEEvSY_.num_agpr, 0
	.set _ZN7rocprim17ROCPRIM_400000_NS6detail17trampoline_kernelINS0_13select_configILj256ELj13ELNS0_17block_load_methodE3ELS4_3ELS4_3ELNS0_20block_scan_algorithmE0ELj4294967295EEENS1_25partition_config_selectorILNS1_17partition_subalgoE3EjNS0_10empty_typeEbEEZZNS1_14partition_implILS8_3ELb0ES6_jNS0_17counting_iteratorIjlEEPS9_SE_NS0_5tupleIJPjSE_EEENSF_IJSE_SE_EEES9_SG_JZNS1_25segmented_radix_sort_implINS0_14default_configELb1EPKsPsPKlPlN2at6native12_GLOBAL__N_18offset_tEEE10hipError_tPvRmT1_PNSt15iterator_traitsISY_E10value_typeET2_T3_PNSZ_IS14_E10value_typeET4_jRbjT5_S1A_jjP12ihipStream_tbEUljE_EEESV_SW_SX_S14_S18_S1A_T6_T7_T9_mT8_S1C_bDpT10_ENKUlT_T0_E_clISt17integral_constantIbLb1EES1O_IbLb0EEEEDaS1K_S1L_EUlS1K_E_NS1_11comp_targetILNS1_3genE2ELNS1_11target_archE906ELNS1_3gpuE6ELNS1_3repE0EEENS1_30default_config_static_selectorELNS0_4arch9wavefront6targetE0EEEvSY_.numbered_sgpr, 0
	.set _ZN7rocprim17ROCPRIM_400000_NS6detail17trampoline_kernelINS0_13select_configILj256ELj13ELNS0_17block_load_methodE3ELS4_3ELS4_3ELNS0_20block_scan_algorithmE0ELj4294967295EEENS1_25partition_config_selectorILNS1_17partition_subalgoE3EjNS0_10empty_typeEbEEZZNS1_14partition_implILS8_3ELb0ES6_jNS0_17counting_iteratorIjlEEPS9_SE_NS0_5tupleIJPjSE_EEENSF_IJSE_SE_EEES9_SG_JZNS1_25segmented_radix_sort_implINS0_14default_configELb1EPKsPsPKlPlN2at6native12_GLOBAL__N_18offset_tEEE10hipError_tPvRmT1_PNSt15iterator_traitsISY_E10value_typeET2_T3_PNSZ_IS14_E10value_typeET4_jRbjT5_S1A_jjP12ihipStream_tbEUljE_EEESV_SW_SX_S14_S18_S1A_T6_T7_T9_mT8_S1C_bDpT10_ENKUlT_T0_E_clISt17integral_constantIbLb1EES1O_IbLb0EEEEDaS1K_S1L_EUlS1K_E_NS1_11comp_targetILNS1_3genE2ELNS1_11target_archE906ELNS1_3gpuE6ELNS1_3repE0EEENS1_30default_config_static_selectorELNS0_4arch9wavefront6targetE0EEEvSY_.num_named_barrier, 0
	.set _ZN7rocprim17ROCPRIM_400000_NS6detail17trampoline_kernelINS0_13select_configILj256ELj13ELNS0_17block_load_methodE3ELS4_3ELS4_3ELNS0_20block_scan_algorithmE0ELj4294967295EEENS1_25partition_config_selectorILNS1_17partition_subalgoE3EjNS0_10empty_typeEbEEZZNS1_14partition_implILS8_3ELb0ES6_jNS0_17counting_iteratorIjlEEPS9_SE_NS0_5tupleIJPjSE_EEENSF_IJSE_SE_EEES9_SG_JZNS1_25segmented_radix_sort_implINS0_14default_configELb1EPKsPsPKlPlN2at6native12_GLOBAL__N_18offset_tEEE10hipError_tPvRmT1_PNSt15iterator_traitsISY_E10value_typeET2_T3_PNSZ_IS14_E10value_typeET4_jRbjT5_S1A_jjP12ihipStream_tbEUljE_EEESV_SW_SX_S14_S18_S1A_T6_T7_T9_mT8_S1C_bDpT10_ENKUlT_T0_E_clISt17integral_constantIbLb1EES1O_IbLb0EEEEDaS1K_S1L_EUlS1K_E_NS1_11comp_targetILNS1_3genE2ELNS1_11target_archE906ELNS1_3gpuE6ELNS1_3repE0EEENS1_30default_config_static_selectorELNS0_4arch9wavefront6targetE0EEEvSY_.private_seg_size, 0
	.set _ZN7rocprim17ROCPRIM_400000_NS6detail17trampoline_kernelINS0_13select_configILj256ELj13ELNS0_17block_load_methodE3ELS4_3ELS4_3ELNS0_20block_scan_algorithmE0ELj4294967295EEENS1_25partition_config_selectorILNS1_17partition_subalgoE3EjNS0_10empty_typeEbEEZZNS1_14partition_implILS8_3ELb0ES6_jNS0_17counting_iteratorIjlEEPS9_SE_NS0_5tupleIJPjSE_EEENSF_IJSE_SE_EEES9_SG_JZNS1_25segmented_radix_sort_implINS0_14default_configELb1EPKsPsPKlPlN2at6native12_GLOBAL__N_18offset_tEEE10hipError_tPvRmT1_PNSt15iterator_traitsISY_E10value_typeET2_T3_PNSZ_IS14_E10value_typeET4_jRbjT5_S1A_jjP12ihipStream_tbEUljE_EEESV_SW_SX_S14_S18_S1A_T6_T7_T9_mT8_S1C_bDpT10_ENKUlT_T0_E_clISt17integral_constantIbLb1EES1O_IbLb0EEEEDaS1K_S1L_EUlS1K_E_NS1_11comp_targetILNS1_3genE2ELNS1_11target_archE906ELNS1_3gpuE6ELNS1_3repE0EEENS1_30default_config_static_selectorELNS0_4arch9wavefront6targetE0EEEvSY_.uses_vcc, 0
	.set _ZN7rocprim17ROCPRIM_400000_NS6detail17trampoline_kernelINS0_13select_configILj256ELj13ELNS0_17block_load_methodE3ELS4_3ELS4_3ELNS0_20block_scan_algorithmE0ELj4294967295EEENS1_25partition_config_selectorILNS1_17partition_subalgoE3EjNS0_10empty_typeEbEEZZNS1_14partition_implILS8_3ELb0ES6_jNS0_17counting_iteratorIjlEEPS9_SE_NS0_5tupleIJPjSE_EEENSF_IJSE_SE_EEES9_SG_JZNS1_25segmented_radix_sort_implINS0_14default_configELb1EPKsPsPKlPlN2at6native12_GLOBAL__N_18offset_tEEE10hipError_tPvRmT1_PNSt15iterator_traitsISY_E10value_typeET2_T3_PNSZ_IS14_E10value_typeET4_jRbjT5_S1A_jjP12ihipStream_tbEUljE_EEESV_SW_SX_S14_S18_S1A_T6_T7_T9_mT8_S1C_bDpT10_ENKUlT_T0_E_clISt17integral_constantIbLb1EES1O_IbLb0EEEEDaS1K_S1L_EUlS1K_E_NS1_11comp_targetILNS1_3genE2ELNS1_11target_archE906ELNS1_3gpuE6ELNS1_3repE0EEENS1_30default_config_static_selectorELNS0_4arch9wavefront6targetE0EEEvSY_.uses_flat_scratch, 0
	.set _ZN7rocprim17ROCPRIM_400000_NS6detail17trampoline_kernelINS0_13select_configILj256ELj13ELNS0_17block_load_methodE3ELS4_3ELS4_3ELNS0_20block_scan_algorithmE0ELj4294967295EEENS1_25partition_config_selectorILNS1_17partition_subalgoE3EjNS0_10empty_typeEbEEZZNS1_14partition_implILS8_3ELb0ES6_jNS0_17counting_iteratorIjlEEPS9_SE_NS0_5tupleIJPjSE_EEENSF_IJSE_SE_EEES9_SG_JZNS1_25segmented_radix_sort_implINS0_14default_configELb1EPKsPsPKlPlN2at6native12_GLOBAL__N_18offset_tEEE10hipError_tPvRmT1_PNSt15iterator_traitsISY_E10value_typeET2_T3_PNSZ_IS14_E10value_typeET4_jRbjT5_S1A_jjP12ihipStream_tbEUljE_EEESV_SW_SX_S14_S18_S1A_T6_T7_T9_mT8_S1C_bDpT10_ENKUlT_T0_E_clISt17integral_constantIbLb1EES1O_IbLb0EEEEDaS1K_S1L_EUlS1K_E_NS1_11comp_targetILNS1_3genE2ELNS1_11target_archE906ELNS1_3gpuE6ELNS1_3repE0EEENS1_30default_config_static_selectorELNS0_4arch9wavefront6targetE0EEEvSY_.has_dyn_sized_stack, 0
	.set _ZN7rocprim17ROCPRIM_400000_NS6detail17trampoline_kernelINS0_13select_configILj256ELj13ELNS0_17block_load_methodE3ELS4_3ELS4_3ELNS0_20block_scan_algorithmE0ELj4294967295EEENS1_25partition_config_selectorILNS1_17partition_subalgoE3EjNS0_10empty_typeEbEEZZNS1_14partition_implILS8_3ELb0ES6_jNS0_17counting_iteratorIjlEEPS9_SE_NS0_5tupleIJPjSE_EEENSF_IJSE_SE_EEES9_SG_JZNS1_25segmented_radix_sort_implINS0_14default_configELb1EPKsPsPKlPlN2at6native12_GLOBAL__N_18offset_tEEE10hipError_tPvRmT1_PNSt15iterator_traitsISY_E10value_typeET2_T3_PNSZ_IS14_E10value_typeET4_jRbjT5_S1A_jjP12ihipStream_tbEUljE_EEESV_SW_SX_S14_S18_S1A_T6_T7_T9_mT8_S1C_bDpT10_ENKUlT_T0_E_clISt17integral_constantIbLb1EES1O_IbLb0EEEEDaS1K_S1L_EUlS1K_E_NS1_11comp_targetILNS1_3genE2ELNS1_11target_archE906ELNS1_3gpuE6ELNS1_3repE0EEENS1_30default_config_static_selectorELNS0_4arch9wavefront6targetE0EEEvSY_.has_recursion, 0
	.set _ZN7rocprim17ROCPRIM_400000_NS6detail17trampoline_kernelINS0_13select_configILj256ELj13ELNS0_17block_load_methodE3ELS4_3ELS4_3ELNS0_20block_scan_algorithmE0ELj4294967295EEENS1_25partition_config_selectorILNS1_17partition_subalgoE3EjNS0_10empty_typeEbEEZZNS1_14partition_implILS8_3ELb0ES6_jNS0_17counting_iteratorIjlEEPS9_SE_NS0_5tupleIJPjSE_EEENSF_IJSE_SE_EEES9_SG_JZNS1_25segmented_radix_sort_implINS0_14default_configELb1EPKsPsPKlPlN2at6native12_GLOBAL__N_18offset_tEEE10hipError_tPvRmT1_PNSt15iterator_traitsISY_E10value_typeET2_T3_PNSZ_IS14_E10value_typeET4_jRbjT5_S1A_jjP12ihipStream_tbEUljE_EEESV_SW_SX_S14_S18_S1A_T6_T7_T9_mT8_S1C_bDpT10_ENKUlT_T0_E_clISt17integral_constantIbLb1EES1O_IbLb0EEEEDaS1K_S1L_EUlS1K_E_NS1_11comp_targetILNS1_3genE2ELNS1_11target_archE906ELNS1_3gpuE6ELNS1_3repE0EEENS1_30default_config_static_selectorELNS0_4arch9wavefront6targetE0EEEvSY_.has_indirect_call, 0
	.section	.AMDGPU.csdata,"",@progbits
; Kernel info:
; codeLenInByte = 0
; TotalNumSgprs: 0
; NumVgprs: 0
; ScratchSize: 0
; MemoryBound: 0
; FloatMode: 240
; IeeeMode: 1
; LDSByteSize: 0 bytes/workgroup (compile time only)
; SGPRBlocks: 0
; VGPRBlocks: 0
; NumSGPRsForWavesPerEU: 1
; NumVGPRsForWavesPerEU: 1
; Occupancy: 16
; WaveLimiterHint : 0
; COMPUTE_PGM_RSRC2:SCRATCH_EN: 0
; COMPUTE_PGM_RSRC2:USER_SGPR: 6
; COMPUTE_PGM_RSRC2:TRAP_HANDLER: 0
; COMPUTE_PGM_RSRC2:TGID_X_EN: 1
; COMPUTE_PGM_RSRC2:TGID_Y_EN: 0
; COMPUTE_PGM_RSRC2:TGID_Z_EN: 0
; COMPUTE_PGM_RSRC2:TIDIG_COMP_CNT: 0
	.section	.text._ZN7rocprim17ROCPRIM_400000_NS6detail17trampoline_kernelINS0_13select_configILj256ELj13ELNS0_17block_load_methodE3ELS4_3ELS4_3ELNS0_20block_scan_algorithmE0ELj4294967295EEENS1_25partition_config_selectorILNS1_17partition_subalgoE3EjNS0_10empty_typeEbEEZZNS1_14partition_implILS8_3ELb0ES6_jNS0_17counting_iteratorIjlEEPS9_SE_NS0_5tupleIJPjSE_EEENSF_IJSE_SE_EEES9_SG_JZNS1_25segmented_radix_sort_implINS0_14default_configELb1EPKsPsPKlPlN2at6native12_GLOBAL__N_18offset_tEEE10hipError_tPvRmT1_PNSt15iterator_traitsISY_E10value_typeET2_T3_PNSZ_IS14_E10value_typeET4_jRbjT5_S1A_jjP12ihipStream_tbEUljE_EEESV_SW_SX_S14_S18_S1A_T6_T7_T9_mT8_S1C_bDpT10_ENKUlT_T0_E_clISt17integral_constantIbLb1EES1O_IbLb0EEEEDaS1K_S1L_EUlS1K_E_NS1_11comp_targetILNS1_3genE10ELNS1_11target_archE1200ELNS1_3gpuE4ELNS1_3repE0EEENS1_30default_config_static_selectorELNS0_4arch9wavefront6targetE0EEEvSY_,"axG",@progbits,_ZN7rocprim17ROCPRIM_400000_NS6detail17trampoline_kernelINS0_13select_configILj256ELj13ELNS0_17block_load_methodE3ELS4_3ELS4_3ELNS0_20block_scan_algorithmE0ELj4294967295EEENS1_25partition_config_selectorILNS1_17partition_subalgoE3EjNS0_10empty_typeEbEEZZNS1_14partition_implILS8_3ELb0ES6_jNS0_17counting_iteratorIjlEEPS9_SE_NS0_5tupleIJPjSE_EEENSF_IJSE_SE_EEES9_SG_JZNS1_25segmented_radix_sort_implINS0_14default_configELb1EPKsPsPKlPlN2at6native12_GLOBAL__N_18offset_tEEE10hipError_tPvRmT1_PNSt15iterator_traitsISY_E10value_typeET2_T3_PNSZ_IS14_E10value_typeET4_jRbjT5_S1A_jjP12ihipStream_tbEUljE_EEESV_SW_SX_S14_S18_S1A_T6_T7_T9_mT8_S1C_bDpT10_ENKUlT_T0_E_clISt17integral_constantIbLb1EES1O_IbLb0EEEEDaS1K_S1L_EUlS1K_E_NS1_11comp_targetILNS1_3genE10ELNS1_11target_archE1200ELNS1_3gpuE4ELNS1_3repE0EEENS1_30default_config_static_selectorELNS0_4arch9wavefront6targetE0EEEvSY_,comdat
	.globl	_ZN7rocprim17ROCPRIM_400000_NS6detail17trampoline_kernelINS0_13select_configILj256ELj13ELNS0_17block_load_methodE3ELS4_3ELS4_3ELNS0_20block_scan_algorithmE0ELj4294967295EEENS1_25partition_config_selectorILNS1_17partition_subalgoE3EjNS0_10empty_typeEbEEZZNS1_14partition_implILS8_3ELb0ES6_jNS0_17counting_iteratorIjlEEPS9_SE_NS0_5tupleIJPjSE_EEENSF_IJSE_SE_EEES9_SG_JZNS1_25segmented_radix_sort_implINS0_14default_configELb1EPKsPsPKlPlN2at6native12_GLOBAL__N_18offset_tEEE10hipError_tPvRmT1_PNSt15iterator_traitsISY_E10value_typeET2_T3_PNSZ_IS14_E10value_typeET4_jRbjT5_S1A_jjP12ihipStream_tbEUljE_EEESV_SW_SX_S14_S18_S1A_T6_T7_T9_mT8_S1C_bDpT10_ENKUlT_T0_E_clISt17integral_constantIbLb1EES1O_IbLb0EEEEDaS1K_S1L_EUlS1K_E_NS1_11comp_targetILNS1_3genE10ELNS1_11target_archE1200ELNS1_3gpuE4ELNS1_3repE0EEENS1_30default_config_static_selectorELNS0_4arch9wavefront6targetE0EEEvSY_ ; -- Begin function _ZN7rocprim17ROCPRIM_400000_NS6detail17trampoline_kernelINS0_13select_configILj256ELj13ELNS0_17block_load_methodE3ELS4_3ELS4_3ELNS0_20block_scan_algorithmE0ELj4294967295EEENS1_25partition_config_selectorILNS1_17partition_subalgoE3EjNS0_10empty_typeEbEEZZNS1_14partition_implILS8_3ELb0ES6_jNS0_17counting_iteratorIjlEEPS9_SE_NS0_5tupleIJPjSE_EEENSF_IJSE_SE_EEES9_SG_JZNS1_25segmented_radix_sort_implINS0_14default_configELb1EPKsPsPKlPlN2at6native12_GLOBAL__N_18offset_tEEE10hipError_tPvRmT1_PNSt15iterator_traitsISY_E10value_typeET2_T3_PNSZ_IS14_E10value_typeET4_jRbjT5_S1A_jjP12ihipStream_tbEUljE_EEESV_SW_SX_S14_S18_S1A_T6_T7_T9_mT8_S1C_bDpT10_ENKUlT_T0_E_clISt17integral_constantIbLb1EES1O_IbLb0EEEEDaS1K_S1L_EUlS1K_E_NS1_11comp_targetILNS1_3genE10ELNS1_11target_archE1200ELNS1_3gpuE4ELNS1_3repE0EEENS1_30default_config_static_selectorELNS0_4arch9wavefront6targetE0EEEvSY_
	.p2align	8
	.type	_ZN7rocprim17ROCPRIM_400000_NS6detail17trampoline_kernelINS0_13select_configILj256ELj13ELNS0_17block_load_methodE3ELS4_3ELS4_3ELNS0_20block_scan_algorithmE0ELj4294967295EEENS1_25partition_config_selectorILNS1_17partition_subalgoE3EjNS0_10empty_typeEbEEZZNS1_14partition_implILS8_3ELb0ES6_jNS0_17counting_iteratorIjlEEPS9_SE_NS0_5tupleIJPjSE_EEENSF_IJSE_SE_EEES9_SG_JZNS1_25segmented_radix_sort_implINS0_14default_configELb1EPKsPsPKlPlN2at6native12_GLOBAL__N_18offset_tEEE10hipError_tPvRmT1_PNSt15iterator_traitsISY_E10value_typeET2_T3_PNSZ_IS14_E10value_typeET4_jRbjT5_S1A_jjP12ihipStream_tbEUljE_EEESV_SW_SX_S14_S18_S1A_T6_T7_T9_mT8_S1C_bDpT10_ENKUlT_T0_E_clISt17integral_constantIbLb1EES1O_IbLb0EEEEDaS1K_S1L_EUlS1K_E_NS1_11comp_targetILNS1_3genE10ELNS1_11target_archE1200ELNS1_3gpuE4ELNS1_3repE0EEENS1_30default_config_static_selectorELNS0_4arch9wavefront6targetE0EEEvSY_,@function
_ZN7rocprim17ROCPRIM_400000_NS6detail17trampoline_kernelINS0_13select_configILj256ELj13ELNS0_17block_load_methodE3ELS4_3ELS4_3ELNS0_20block_scan_algorithmE0ELj4294967295EEENS1_25partition_config_selectorILNS1_17partition_subalgoE3EjNS0_10empty_typeEbEEZZNS1_14partition_implILS8_3ELb0ES6_jNS0_17counting_iteratorIjlEEPS9_SE_NS0_5tupleIJPjSE_EEENSF_IJSE_SE_EEES9_SG_JZNS1_25segmented_radix_sort_implINS0_14default_configELb1EPKsPsPKlPlN2at6native12_GLOBAL__N_18offset_tEEE10hipError_tPvRmT1_PNSt15iterator_traitsISY_E10value_typeET2_T3_PNSZ_IS14_E10value_typeET4_jRbjT5_S1A_jjP12ihipStream_tbEUljE_EEESV_SW_SX_S14_S18_S1A_T6_T7_T9_mT8_S1C_bDpT10_ENKUlT_T0_E_clISt17integral_constantIbLb1EES1O_IbLb0EEEEDaS1K_S1L_EUlS1K_E_NS1_11comp_targetILNS1_3genE10ELNS1_11target_archE1200ELNS1_3gpuE4ELNS1_3repE0EEENS1_30default_config_static_selectorELNS0_4arch9wavefront6targetE0EEEvSY_: ; @_ZN7rocprim17ROCPRIM_400000_NS6detail17trampoline_kernelINS0_13select_configILj256ELj13ELNS0_17block_load_methodE3ELS4_3ELS4_3ELNS0_20block_scan_algorithmE0ELj4294967295EEENS1_25partition_config_selectorILNS1_17partition_subalgoE3EjNS0_10empty_typeEbEEZZNS1_14partition_implILS8_3ELb0ES6_jNS0_17counting_iteratorIjlEEPS9_SE_NS0_5tupleIJPjSE_EEENSF_IJSE_SE_EEES9_SG_JZNS1_25segmented_radix_sort_implINS0_14default_configELb1EPKsPsPKlPlN2at6native12_GLOBAL__N_18offset_tEEE10hipError_tPvRmT1_PNSt15iterator_traitsISY_E10value_typeET2_T3_PNSZ_IS14_E10value_typeET4_jRbjT5_S1A_jjP12ihipStream_tbEUljE_EEESV_SW_SX_S14_S18_S1A_T6_T7_T9_mT8_S1C_bDpT10_ENKUlT_T0_E_clISt17integral_constantIbLb1EES1O_IbLb0EEEEDaS1K_S1L_EUlS1K_E_NS1_11comp_targetILNS1_3genE10ELNS1_11target_archE1200ELNS1_3gpuE4ELNS1_3repE0EEENS1_30default_config_static_selectorELNS0_4arch9wavefront6targetE0EEEvSY_
; %bb.0:
	.section	.rodata,"a",@progbits
	.p2align	6, 0x0
	.amdhsa_kernel _ZN7rocprim17ROCPRIM_400000_NS6detail17trampoline_kernelINS0_13select_configILj256ELj13ELNS0_17block_load_methodE3ELS4_3ELS4_3ELNS0_20block_scan_algorithmE0ELj4294967295EEENS1_25partition_config_selectorILNS1_17partition_subalgoE3EjNS0_10empty_typeEbEEZZNS1_14partition_implILS8_3ELb0ES6_jNS0_17counting_iteratorIjlEEPS9_SE_NS0_5tupleIJPjSE_EEENSF_IJSE_SE_EEES9_SG_JZNS1_25segmented_radix_sort_implINS0_14default_configELb1EPKsPsPKlPlN2at6native12_GLOBAL__N_18offset_tEEE10hipError_tPvRmT1_PNSt15iterator_traitsISY_E10value_typeET2_T3_PNSZ_IS14_E10value_typeET4_jRbjT5_S1A_jjP12ihipStream_tbEUljE_EEESV_SW_SX_S14_S18_S1A_T6_T7_T9_mT8_S1C_bDpT10_ENKUlT_T0_E_clISt17integral_constantIbLb1EES1O_IbLb0EEEEDaS1K_S1L_EUlS1K_E_NS1_11comp_targetILNS1_3genE10ELNS1_11target_archE1200ELNS1_3gpuE4ELNS1_3repE0EEENS1_30default_config_static_selectorELNS0_4arch9wavefront6targetE0EEEvSY_
		.amdhsa_group_segment_fixed_size 0
		.amdhsa_private_segment_fixed_size 0
		.amdhsa_kernarg_size 144
		.amdhsa_user_sgpr_count 6
		.amdhsa_user_sgpr_private_segment_buffer 1
		.amdhsa_user_sgpr_dispatch_ptr 0
		.amdhsa_user_sgpr_queue_ptr 0
		.amdhsa_user_sgpr_kernarg_segment_ptr 1
		.amdhsa_user_sgpr_dispatch_id 0
		.amdhsa_user_sgpr_flat_scratch_init 0
		.amdhsa_user_sgpr_private_segment_size 0
		.amdhsa_wavefront_size32 1
		.amdhsa_uses_dynamic_stack 0
		.amdhsa_system_sgpr_private_segment_wavefront_offset 0
		.amdhsa_system_sgpr_workgroup_id_x 1
		.amdhsa_system_sgpr_workgroup_id_y 0
		.amdhsa_system_sgpr_workgroup_id_z 0
		.amdhsa_system_sgpr_workgroup_info 0
		.amdhsa_system_vgpr_workitem_id 0
		.amdhsa_next_free_vgpr 1
		.amdhsa_next_free_sgpr 1
		.amdhsa_reserve_vcc 0
		.amdhsa_reserve_flat_scratch 0
		.amdhsa_float_round_mode_32 0
		.amdhsa_float_round_mode_16_64 0
		.amdhsa_float_denorm_mode_32 3
		.amdhsa_float_denorm_mode_16_64 3
		.amdhsa_dx10_clamp 1
		.amdhsa_ieee_mode 1
		.amdhsa_fp16_overflow 0
		.amdhsa_workgroup_processor_mode 1
		.amdhsa_memory_ordered 1
		.amdhsa_forward_progress 1
		.amdhsa_shared_vgpr_count 0
		.amdhsa_exception_fp_ieee_invalid_op 0
		.amdhsa_exception_fp_denorm_src 0
		.amdhsa_exception_fp_ieee_div_zero 0
		.amdhsa_exception_fp_ieee_overflow 0
		.amdhsa_exception_fp_ieee_underflow 0
		.amdhsa_exception_fp_ieee_inexact 0
		.amdhsa_exception_int_div_zero 0
	.end_amdhsa_kernel
	.section	.text._ZN7rocprim17ROCPRIM_400000_NS6detail17trampoline_kernelINS0_13select_configILj256ELj13ELNS0_17block_load_methodE3ELS4_3ELS4_3ELNS0_20block_scan_algorithmE0ELj4294967295EEENS1_25partition_config_selectorILNS1_17partition_subalgoE3EjNS0_10empty_typeEbEEZZNS1_14partition_implILS8_3ELb0ES6_jNS0_17counting_iteratorIjlEEPS9_SE_NS0_5tupleIJPjSE_EEENSF_IJSE_SE_EEES9_SG_JZNS1_25segmented_radix_sort_implINS0_14default_configELb1EPKsPsPKlPlN2at6native12_GLOBAL__N_18offset_tEEE10hipError_tPvRmT1_PNSt15iterator_traitsISY_E10value_typeET2_T3_PNSZ_IS14_E10value_typeET4_jRbjT5_S1A_jjP12ihipStream_tbEUljE_EEESV_SW_SX_S14_S18_S1A_T6_T7_T9_mT8_S1C_bDpT10_ENKUlT_T0_E_clISt17integral_constantIbLb1EES1O_IbLb0EEEEDaS1K_S1L_EUlS1K_E_NS1_11comp_targetILNS1_3genE10ELNS1_11target_archE1200ELNS1_3gpuE4ELNS1_3repE0EEENS1_30default_config_static_selectorELNS0_4arch9wavefront6targetE0EEEvSY_,"axG",@progbits,_ZN7rocprim17ROCPRIM_400000_NS6detail17trampoline_kernelINS0_13select_configILj256ELj13ELNS0_17block_load_methodE3ELS4_3ELS4_3ELNS0_20block_scan_algorithmE0ELj4294967295EEENS1_25partition_config_selectorILNS1_17partition_subalgoE3EjNS0_10empty_typeEbEEZZNS1_14partition_implILS8_3ELb0ES6_jNS0_17counting_iteratorIjlEEPS9_SE_NS0_5tupleIJPjSE_EEENSF_IJSE_SE_EEES9_SG_JZNS1_25segmented_radix_sort_implINS0_14default_configELb1EPKsPsPKlPlN2at6native12_GLOBAL__N_18offset_tEEE10hipError_tPvRmT1_PNSt15iterator_traitsISY_E10value_typeET2_T3_PNSZ_IS14_E10value_typeET4_jRbjT5_S1A_jjP12ihipStream_tbEUljE_EEESV_SW_SX_S14_S18_S1A_T6_T7_T9_mT8_S1C_bDpT10_ENKUlT_T0_E_clISt17integral_constantIbLb1EES1O_IbLb0EEEEDaS1K_S1L_EUlS1K_E_NS1_11comp_targetILNS1_3genE10ELNS1_11target_archE1200ELNS1_3gpuE4ELNS1_3repE0EEENS1_30default_config_static_selectorELNS0_4arch9wavefront6targetE0EEEvSY_,comdat
.Lfunc_end894:
	.size	_ZN7rocprim17ROCPRIM_400000_NS6detail17trampoline_kernelINS0_13select_configILj256ELj13ELNS0_17block_load_methodE3ELS4_3ELS4_3ELNS0_20block_scan_algorithmE0ELj4294967295EEENS1_25partition_config_selectorILNS1_17partition_subalgoE3EjNS0_10empty_typeEbEEZZNS1_14partition_implILS8_3ELb0ES6_jNS0_17counting_iteratorIjlEEPS9_SE_NS0_5tupleIJPjSE_EEENSF_IJSE_SE_EEES9_SG_JZNS1_25segmented_radix_sort_implINS0_14default_configELb1EPKsPsPKlPlN2at6native12_GLOBAL__N_18offset_tEEE10hipError_tPvRmT1_PNSt15iterator_traitsISY_E10value_typeET2_T3_PNSZ_IS14_E10value_typeET4_jRbjT5_S1A_jjP12ihipStream_tbEUljE_EEESV_SW_SX_S14_S18_S1A_T6_T7_T9_mT8_S1C_bDpT10_ENKUlT_T0_E_clISt17integral_constantIbLb1EES1O_IbLb0EEEEDaS1K_S1L_EUlS1K_E_NS1_11comp_targetILNS1_3genE10ELNS1_11target_archE1200ELNS1_3gpuE4ELNS1_3repE0EEENS1_30default_config_static_selectorELNS0_4arch9wavefront6targetE0EEEvSY_, .Lfunc_end894-_ZN7rocprim17ROCPRIM_400000_NS6detail17trampoline_kernelINS0_13select_configILj256ELj13ELNS0_17block_load_methodE3ELS4_3ELS4_3ELNS0_20block_scan_algorithmE0ELj4294967295EEENS1_25partition_config_selectorILNS1_17partition_subalgoE3EjNS0_10empty_typeEbEEZZNS1_14partition_implILS8_3ELb0ES6_jNS0_17counting_iteratorIjlEEPS9_SE_NS0_5tupleIJPjSE_EEENSF_IJSE_SE_EEES9_SG_JZNS1_25segmented_radix_sort_implINS0_14default_configELb1EPKsPsPKlPlN2at6native12_GLOBAL__N_18offset_tEEE10hipError_tPvRmT1_PNSt15iterator_traitsISY_E10value_typeET2_T3_PNSZ_IS14_E10value_typeET4_jRbjT5_S1A_jjP12ihipStream_tbEUljE_EEESV_SW_SX_S14_S18_S1A_T6_T7_T9_mT8_S1C_bDpT10_ENKUlT_T0_E_clISt17integral_constantIbLb1EES1O_IbLb0EEEEDaS1K_S1L_EUlS1K_E_NS1_11comp_targetILNS1_3genE10ELNS1_11target_archE1200ELNS1_3gpuE4ELNS1_3repE0EEENS1_30default_config_static_selectorELNS0_4arch9wavefront6targetE0EEEvSY_
                                        ; -- End function
	.set _ZN7rocprim17ROCPRIM_400000_NS6detail17trampoline_kernelINS0_13select_configILj256ELj13ELNS0_17block_load_methodE3ELS4_3ELS4_3ELNS0_20block_scan_algorithmE0ELj4294967295EEENS1_25partition_config_selectorILNS1_17partition_subalgoE3EjNS0_10empty_typeEbEEZZNS1_14partition_implILS8_3ELb0ES6_jNS0_17counting_iteratorIjlEEPS9_SE_NS0_5tupleIJPjSE_EEENSF_IJSE_SE_EEES9_SG_JZNS1_25segmented_radix_sort_implINS0_14default_configELb1EPKsPsPKlPlN2at6native12_GLOBAL__N_18offset_tEEE10hipError_tPvRmT1_PNSt15iterator_traitsISY_E10value_typeET2_T3_PNSZ_IS14_E10value_typeET4_jRbjT5_S1A_jjP12ihipStream_tbEUljE_EEESV_SW_SX_S14_S18_S1A_T6_T7_T9_mT8_S1C_bDpT10_ENKUlT_T0_E_clISt17integral_constantIbLb1EES1O_IbLb0EEEEDaS1K_S1L_EUlS1K_E_NS1_11comp_targetILNS1_3genE10ELNS1_11target_archE1200ELNS1_3gpuE4ELNS1_3repE0EEENS1_30default_config_static_selectorELNS0_4arch9wavefront6targetE0EEEvSY_.num_vgpr, 0
	.set _ZN7rocprim17ROCPRIM_400000_NS6detail17trampoline_kernelINS0_13select_configILj256ELj13ELNS0_17block_load_methodE3ELS4_3ELS4_3ELNS0_20block_scan_algorithmE0ELj4294967295EEENS1_25partition_config_selectorILNS1_17partition_subalgoE3EjNS0_10empty_typeEbEEZZNS1_14partition_implILS8_3ELb0ES6_jNS0_17counting_iteratorIjlEEPS9_SE_NS0_5tupleIJPjSE_EEENSF_IJSE_SE_EEES9_SG_JZNS1_25segmented_radix_sort_implINS0_14default_configELb1EPKsPsPKlPlN2at6native12_GLOBAL__N_18offset_tEEE10hipError_tPvRmT1_PNSt15iterator_traitsISY_E10value_typeET2_T3_PNSZ_IS14_E10value_typeET4_jRbjT5_S1A_jjP12ihipStream_tbEUljE_EEESV_SW_SX_S14_S18_S1A_T6_T7_T9_mT8_S1C_bDpT10_ENKUlT_T0_E_clISt17integral_constantIbLb1EES1O_IbLb0EEEEDaS1K_S1L_EUlS1K_E_NS1_11comp_targetILNS1_3genE10ELNS1_11target_archE1200ELNS1_3gpuE4ELNS1_3repE0EEENS1_30default_config_static_selectorELNS0_4arch9wavefront6targetE0EEEvSY_.num_agpr, 0
	.set _ZN7rocprim17ROCPRIM_400000_NS6detail17trampoline_kernelINS0_13select_configILj256ELj13ELNS0_17block_load_methodE3ELS4_3ELS4_3ELNS0_20block_scan_algorithmE0ELj4294967295EEENS1_25partition_config_selectorILNS1_17partition_subalgoE3EjNS0_10empty_typeEbEEZZNS1_14partition_implILS8_3ELb0ES6_jNS0_17counting_iteratorIjlEEPS9_SE_NS0_5tupleIJPjSE_EEENSF_IJSE_SE_EEES9_SG_JZNS1_25segmented_radix_sort_implINS0_14default_configELb1EPKsPsPKlPlN2at6native12_GLOBAL__N_18offset_tEEE10hipError_tPvRmT1_PNSt15iterator_traitsISY_E10value_typeET2_T3_PNSZ_IS14_E10value_typeET4_jRbjT5_S1A_jjP12ihipStream_tbEUljE_EEESV_SW_SX_S14_S18_S1A_T6_T7_T9_mT8_S1C_bDpT10_ENKUlT_T0_E_clISt17integral_constantIbLb1EES1O_IbLb0EEEEDaS1K_S1L_EUlS1K_E_NS1_11comp_targetILNS1_3genE10ELNS1_11target_archE1200ELNS1_3gpuE4ELNS1_3repE0EEENS1_30default_config_static_selectorELNS0_4arch9wavefront6targetE0EEEvSY_.numbered_sgpr, 0
	.set _ZN7rocprim17ROCPRIM_400000_NS6detail17trampoline_kernelINS0_13select_configILj256ELj13ELNS0_17block_load_methodE3ELS4_3ELS4_3ELNS0_20block_scan_algorithmE0ELj4294967295EEENS1_25partition_config_selectorILNS1_17partition_subalgoE3EjNS0_10empty_typeEbEEZZNS1_14partition_implILS8_3ELb0ES6_jNS0_17counting_iteratorIjlEEPS9_SE_NS0_5tupleIJPjSE_EEENSF_IJSE_SE_EEES9_SG_JZNS1_25segmented_radix_sort_implINS0_14default_configELb1EPKsPsPKlPlN2at6native12_GLOBAL__N_18offset_tEEE10hipError_tPvRmT1_PNSt15iterator_traitsISY_E10value_typeET2_T3_PNSZ_IS14_E10value_typeET4_jRbjT5_S1A_jjP12ihipStream_tbEUljE_EEESV_SW_SX_S14_S18_S1A_T6_T7_T9_mT8_S1C_bDpT10_ENKUlT_T0_E_clISt17integral_constantIbLb1EES1O_IbLb0EEEEDaS1K_S1L_EUlS1K_E_NS1_11comp_targetILNS1_3genE10ELNS1_11target_archE1200ELNS1_3gpuE4ELNS1_3repE0EEENS1_30default_config_static_selectorELNS0_4arch9wavefront6targetE0EEEvSY_.num_named_barrier, 0
	.set _ZN7rocprim17ROCPRIM_400000_NS6detail17trampoline_kernelINS0_13select_configILj256ELj13ELNS0_17block_load_methodE3ELS4_3ELS4_3ELNS0_20block_scan_algorithmE0ELj4294967295EEENS1_25partition_config_selectorILNS1_17partition_subalgoE3EjNS0_10empty_typeEbEEZZNS1_14partition_implILS8_3ELb0ES6_jNS0_17counting_iteratorIjlEEPS9_SE_NS0_5tupleIJPjSE_EEENSF_IJSE_SE_EEES9_SG_JZNS1_25segmented_radix_sort_implINS0_14default_configELb1EPKsPsPKlPlN2at6native12_GLOBAL__N_18offset_tEEE10hipError_tPvRmT1_PNSt15iterator_traitsISY_E10value_typeET2_T3_PNSZ_IS14_E10value_typeET4_jRbjT5_S1A_jjP12ihipStream_tbEUljE_EEESV_SW_SX_S14_S18_S1A_T6_T7_T9_mT8_S1C_bDpT10_ENKUlT_T0_E_clISt17integral_constantIbLb1EES1O_IbLb0EEEEDaS1K_S1L_EUlS1K_E_NS1_11comp_targetILNS1_3genE10ELNS1_11target_archE1200ELNS1_3gpuE4ELNS1_3repE0EEENS1_30default_config_static_selectorELNS0_4arch9wavefront6targetE0EEEvSY_.private_seg_size, 0
	.set _ZN7rocprim17ROCPRIM_400000_NS6detail17trampoline_kernelINS0_13select_configILj256ELj13ELNS0_17block_load_methodE3ELS4_3ELS4_3ELNS0_20block_scan_algorithmE0ELj4294967295EEENS1_25partition_config_selectorILNS1_17partition_subalgoE3EjNS0_10empty_typeEbEEZZNS1_14partition_implILS8_3ELb0ES6_jNS0_17counting_iteratorIjlEEPS9_SE_NS0_5tupleIJPjSE_EEENSF_IJSE_SE_EEES9_SG_JZNS1_25segmented_radix_sort_implINS0_14default_configELb1EPKsPsPKlPlN2at6native12_GLOBAL__N_18offset_tEEE10hipError_tPvRmT1_PNSt15iterator_traitsISY_E10value_typeET2_T3_PNSZ_IS14_E10value_typeET4_jRbjT5_S1A_jjP12ihipStream_tbEUljE_EEESV_SW_SX_S14_S18_S1A_T6_T7_T9_mT8_S1C_bDpT10_ENKUlT_T0_E_clISt17integral_constantIbLb1EES1O_IbLb0EEEEDaS1K_S1L_EUlS1K_E_NS1_11comp_targetILNS1_3genE10ELNS1_11target_archE1200ELNS1_3gpuE4ELNS1_3repE0EEENS1_30default_config_static_selectorELNS0_4arch9wavefront6targetE0EEEvSY_.uses_vcc, 0
	.set _ZN7rocprim17ROCPRIM_400000_NS6detail17trampoline_kernelINS0_13select_configILj256ELj13ELNS0_17block_load_methodE3ELS4_3ELS4_3ELNS0_20block_scan_algorithmE0ELj4294967295EEENS1_25partition_config_selectorILNS1_17partition_subalgoE3EjNS0_10empty_typeEbEEZZNS1_14partition_implILS8_3ELb0ES6_jNS0_17counting_iteratorIjlEEPS9_SE_NS0_5tupleIJPjSE_EEENSF_IJSE_SE_EEES9_SG_JZNS1_25segmented_radix_sort_implINS0_14default_configELb1EPKsPsPKlPlN2at6native12_GLOBAL__N_18offset_tEEE10hipError_tPvRmT1_PNSt15iterator_traitsISY_E10value_typeET2_T3_PNSZ_IS14_E10value_typeET4_jRbjT5_S1A_jjP12ihipStream_tbEUljE_EEESV_SW_SX_S14_S18_S1A_T6_T7_T9_mT8_S1C_bDpT10_ENKUlT_T0_E_clISt17integral_constantIbLb1EES1O_IbLb0EEEEDaS1K_S1L_EUlS1K_E_NS1_11comp_targetILNS1_3genE10ELNS1_11target_archE1200ELNS1_3gpuE4ELNS1_3repE0EEENS1_30default_config_static_selectorELNS0_4arch9wavefront6targetE0EEEvSY_.uses_flat_scratch, 0
	.set _ZN7rocprim17ROCPRIM_400000_NS6detail17trampoline_kernelINS0_13select_configILj256ELj13ELNS0_17block_load_methodE3ELS4_3ELS4_3ELNS0_20block_scan_algorithmE0ELj4294967295EEENS1_25partition_config_selectorILNS1_17partition_subalgoE3EjNS0_10empty_typeEbEEZZNS1_14partition_implILS8_3ELb0ES6_jNS0_17counting_iteratorIjlEEPS9_SE_NS0_5tupleIJPjSE_EEENSF_IJSE_SE_EEES9_SG_JZNS1_25segmented_radix_sort_implINS0_14default_configELb1EPKsPsPKlPlN2at6native12_GLOBAL__N_18offset_tEEE10hipError_tPvRmT1_PNSt15iterator_traitsISY_E10value_typeET2_T3_PNSZ_IS14_E10value_typeET4_jRbjT5_S1A_jjP12ihipStream_tbEUljE_EEESV_SW_SX_S14_S18_S1A_T6_T7_T9_mT8_S1C_bDpT10_ENKUlT_T0_E_clISt17integral_constantIbLb1EES1O_IbLb0EEEEDaS1K_S1L_EUlS1K_E_NS1_11comp_targetILNS1_3genE10ELNS1_11target_archE1200ELNS1_3gpuE4ELNS1_3repE0EEENS1_30default_config_static_selectorELNS0_4arch9wavefront6targetE0EEEvSY_.has_dyn_sized_stack, 0
	.set _ZN7rocprim17ROCPRIM_400000_NS6detail17trampoline_kernelINS0_13select_configILj256ELj13ELNS0_17block_load_methodE3ELS4_3ELS4_3ELNS0_20block_scan_algorithmE0ELj4294967295EEENS1_25partition_config_selectorILNS1_17partition_subalgoE3EjNS0_10empty_typeEbEEZZNS1_14partition_implILS8_3ELb0ES6_jNS0_17counting_iteratorIjlEEPS9_SE_NS0_5tupleIJPjSE_EEENSF_IJSE_SE_EEES9_SG_JZNS1_25segmented_radix_sort_implINS0_14default_configELb1EPKsPsPKlPlN2at6native12_GLOBAL__N_18offset_tEEE10hipError_tPvRmT1_PNSt15iterator_traitsISY_E10value_typeET2_T3_PNSZ_IS14_E10value_typeET4_jRbjT5_S1A_jjP12ihipStream_tbEUljE_EEESV_SW_SX_S14_S18_S1A_T6_T7_T9_mT8_S1C_bDpT10_ENKUlT_T0_E_clISt17integral_constantIbLb1EES1O_IbLb0EEEEDaS1K_S1L_EUlS1K_E_NS1_11comp_targetILNS1_3genE10ELNS1_11target_archE1200ELNS1_3gpuE4ELNS1_3repE0EEENS1_30default_config_static_selectorELNS0_4arch9wavefront6targetE0EEEvSY_.has_recursion, 0
	.set _ZN7rocprim17ROCPRIM_400000_NS6detail17trampoline_kernelINS0_13select_configILj256ELj13ELNS0_17block_load_methodE3ELS4_3ELS4_3ELNS0_20block_scan_algorithmE0ELj4294967295EEENS1_25partition_config_selectorILNS1_17partition_subalgoE3EjNS0_10empty_typeEbEEZZNS1_14partition_implILS8_3ELb0ES6_jNS0_17counting_iteratorIjlEEPS9_SE_NS0_5tupleIJPjSE_EEENSF_IJSE_SE_EEES9_SG_JZNS1_25segmented_radix_sort_implINS0_14default_configELb1EPKsPsPKlPlN2at6native12_GLOBAL__N_18offset_tEEE10hipError_tPvRmT1_PNSt15iterator_traitsISY_E10value_typeET2_T3_PNSZ_IS14_E10value_typeET4_jRbjT5_S1A_jjP12ihipStream_tbEUljE_EEESV_SW_SX_S14_S18_S1A_T6_T7_T9_mT8_S1C_bDpT10_ENKUlT_T0_E_clISt17integral_constantIbLb1EES1O_IbLb0EEEEDaS1K_S1L_EUlS1K_E_NS1_11comp_targetILNS1_3genE10ELNS1_11target_archE1200ELNS1_3gpuE4ELNS1_3repE0EEENS1_30default_config_static_selectorELNS0_4arch9wavefront6targetE0EEEvSY_.has_indirect_call, 0
	.section	.AMDGPU.csdata,"",@progbits
; Kernel info:
; codeLenInByte = 0
; TotalNumSgprs: 0
; NumVgprs: 0
; ScratchSize: 0
; MemoryBound: 0
; FloatMode: 240
; IeeeMode: 1
; LDSByteSize: 0 bytes/workgroup (compile time only)
; SGPRBlocks: 0
; VGPRBlocks: 0
; NumSGPRsForWavesPerEU: 1
; NumVGPRsForWavesPerEU: 1
; Occupancy: 16
; WaveLimiterHint : 0
; COMPUTE_PGM_RSRC2:SCRATCH_EN: 0
; COMPUTE_PGM_RSRC2:USER_SGPR: 6
; COMPUTE_PGM_RSRC2:TRAP_HANDLER: 0
; COMPUTE_PGM_RSRC2:TGID_X_EN: 1
; COMPUTE_PGM_RSRC2:TGID_Y_EN: 0
; COMPUTE_PGM_RSRC2:TGID_Z_EN: 0
; COMPUTE_PGM_RSRC2:TIDIG_COMP_CNT: 0
	.section	.text._ZN7rocprim17ROCPRIM_400000_NS6detail17trampoline_kernelINS0_13select_configILj256ELj13ELNS0_17block_load_methodE3ELS4_3ELS4_3ELNS0_20block_scan_algorithmE0ELj4294967295EEENS1_25partition_config_selectorILNS1_17partition_subalgoE3EjNS0_10empty_typeEbEEZZNS1_14partition_implILS8_3ELb0ES6_jNS0_17counting_iteratorIjlEEPS9_SE_NS0_5tupleIJPjSE_EEENSF_IJSE_SE_EEES9_SG_JZNS1_25segmented_radix_sort_implINS0_14default_configELb1EPKsPsPKlPlN2at6native12_GLOBAL__N_18offset_tEEE10hipError_tPvRmT1_PNSt15iterator_traitsISY_E10value_typeET2_T3_PNSZ_IS14_E10value_typeET4_jRbjT5_S1A_jjP12ihipStream_tbEUljE_EEESV_SW_SX_S14_S18_S1A_T6_T7_T9_mT8_S1C_bDpT10_ENKUlT_T0_E_clISt17integral_constantIbLb1EES1O_IbLb0EEEEDaS1K_S1L_EUlS1K_E_NS1_11comp_targetILNS1_3genE9ELNS1_11target_archE1100ELNS1_3gpuE3ELNS1_3repE0EEENS1_30default_config_static_selectorELNS0_4arch9wavefront6targetE0EEEvSY_,"axG",@progbits,_ZN7rocprim17ROCPRIM_400000_NS6detail17trampoline_kernelINS0_13select_configILj256ELj13ELNS0_17block_load_methodE3ELS4_3ELS4_3ELNS0_20block_scan_algorithmE0ELj4294967295EEENS1_25partition_config_selectorILNS1_17partition_subalgoE3EjNS0_10empty_typeEbEEZZNS1_14partition_implILS8_3ELb0ES6_jNS0_17counting_iteratorIjlEEPS9_SE_NS0_5tupleIJPjSE_EEENSF_IJSE_SE_EEES9_SG_JZNS1_25segmented_radix_sort_implINS0_14default_configELb1EPKsPsPKlPlN2at6native12_GLOBAL__N_18offset_tEEE10hipError_tPvRmT1_PNSt15iterator_traitsISY_E10value_typeET2_T3_PNSZ_IS14_E10value_typeET4_jRbjT5_S1A_jjP12ihipStream_tbEUljE_EEESV_SW_SX_S14_S18_S1A_T6_T7_T9_mT8_S1C_bDpT10_ENKUlT_T0_E_clISt17integral_constantIbLb1EES1O_IbLb0EEEEDaS1K_S1L_EUlS1K_E_NS1_11comp_targetILNS1_3genE9ELNS1_11target_archE1100ELNS1_3gpuE3ELNS1_3repE0EEENS1_30default_config_static_selectorELNS0_4arch9wavefront6targetE0EEEvSY_,comdat
	.globl	_ZN7rocprim17ROCPRIM_400000_NS6detail17trampoline_kernelINS0_13select_configILj256ELj13ELNS0_17block_load_methodE3ELS4_3ELS4_3ELNS0_20block_scan_algorithmE0ELj4294967295EEENS1_25partition_config_selectorILNS1_17partition_subalgoE3EjNS0_10empty_typeEbEEZZNS1_14partition_implILS8_3ELb0ES6_jNS0_17counting_iteratorIjlEEPS9_SE_NS0_5tupleIJPjSE_EEENSF_IJSE_SE_EEES9_SG_JZNS1_25segmented_radix_sort_implINS0_14default_configELb1EPKsPsPKlPlN2at6native12_GLOBAL__N_18offset_tEEE10hipError_tPvRmT1_PNSt15iterator_traitsISY_E10value_typeET2_T3_PNSZ_IS14_E10value_typeET4_jRbjT5_S1A_jjP12ihipStream_tbEUljE_EEESV_SW_SX_S14_S18_S1A_T6_T7_T9_mT8_S1C_bDpT10_ENKUlT_T0_E_clISt17integral_constantIbLb1EES1O_IbLb0EEEEDaS1K_S1L_EUlS1K_E_NS1_11comp_targetILNS1_3genE9ELNS1_11target_archE1100ELNS1_3gpuE3ELNS1_3repE0EEENS1_30default_config_static_selectorELNS0_4arch9wavefront6targetE0EEEvSY_ ; -- Begin function _ZN7rocprim17ROCPRIM_400000_NS6detail17trampoline_kernelINS0_13select_configILj256ELj13ELNS0_17block_load_methodE3ELS4_3ELS4_3ELNS0_20block_scan_algorithmE0ELj4294967295EEENS1_25partition_config_selectorILNS1_17partition_subalgoE3EjNS0_10empty_typeEbEEZZNS1_14partition_implILS8_3ELb0ES6_jNS0_17counting_iteratorIjlEEPS9_SE_NS0_5tupleIJPjSE_EEENSF_IJSE_SE_EEES9_SG_JZNS1_25segmented_radix_sort_implINS0_14default_configELb1EPKsPsPKlPlN2at6native12_GLOBAL__N_18offset_tEEE10hipError_tPvRmT1_PNSt15iterator_traitsISY_E10value_typeET2_T3_PNSZ_IS14_E10value_typeET4_jRbjT5_S1A_jjP12ihipStream_tbEUljE_EEESV_SW_SX_S14_S18_S1A_T6_T7_T9_mT8_S1C_bDpT10_ENKUlT_T0_E_clISt17integral_constantIbLb1EES1O_IbLb0EEEEDaS1K_S1L_EUlS1K_E_NS1_11comp_targetILNS1_3genE9ELNS1_11target_archE1100ELNS1_3gpuE3ELNS1_3repE0EEENS1_30default_config_static_selectorELNS0_4arch9wavefront6targetE0EEEvSY_
	.p2align	8
	.type	_ZN7rocprim17ROCPRIM_400000_NS6detail17trampoline_kernelINS0_13select_configILj256ELj13ELNS0_17block_load_methodE3ELS4_3ELS4_3ELNS0_20block_scan_algorithmE0ELj4294967295EEENS1_25partition_config_selectorILNS1_17partition_subalgoE3EjNS0_10empty_typeEbEEZZNS1_14partition_implILS8_3ELb0ES6_jNS0_17counting_iteratorIjlEEPS9_SE_NS0_5tupleIJPjSE_EEENSF_IJSE_SE_EEES9_SG_JZNS1_25segmented_radix_sort_implINS0_14default_configELb1EPKsPsPKlPlN2at6native12_GLOBAL__N_18offset_tEEE10hipError_tPvRmT1_PNSt15iterator_traitsISY_E10value_typeET2_T3_PNSZ_IS14_E10value_typeET4_jRbjT5_S1A_jjP12ihipStream_tbEUljE_EEESV_SW_SX_S14_S18_S1A_T6_T7_T9_mT8_S1C_bDpT10_ENKUlT_T0_E_clISt17integral_constantIbLb1EES1O_IbLb0EEEEDaS1K_S1L_EUlS1K_E_NS1_11comp_targetILNS1_3genE9ELNS1_11target_archE1100ELNS1_3gpuE3ELNS1_3repE0EEENS1_30default_config_static_selectorELNS0_4arch9wavefront6targetE0EEEvSY_,@function
_ZN7rocprim17ROCPRIM_400000_NS6detail17trampoline_kernelINS0_13select_configILj256ELj13ELNS0_17block_load_methodE3ELS4_3ELS4_3ELNS0_20block_scan_algorithmE0ELj4294967295EEENS1_25partition_config_selectorILNS1_17partition_subalgoE3EjNS0_10empty_typeEbEEZZNS1_14partition_implILS8_3ELb0ES6_jNS0_17counting_iteratorIjlEEPS9_SE_NS0_5tupleIJPjSE_EEENSF_IJSE_SE_EEES9_SG_JZNS1_25segmented_radix_sort_implINS0_14default_configELb1EPKsPsPKlPlN2at6native12_GLOBAL__N_18offset_tEEE10hipError_tPvRmT1_PNSt15iterator_traitsISY_E10value_typeET2_T3_PNSZ_IS14_E10value_typeET4_jRbjT5_S1A_jjP12ihipStream_tbEUljE_EEESV_SW_SX_S14_S18_S1A_T6_T7_T9_mT8_S1C_bDpT10_ENKUlT_T0_E_clISt17integral_constantIbLb1EES1O_IbLb0EEEEDaS1K_S1L_EUlS1K_E_NS1_11comp_targetILNS1_3genE9ELNS1_11target_archE1100ELNS1_3gpuE3ELNS1_3repE0EEENS1_30default_config_static_selectorELNS0_4arch9wavefront6targetE0EEEvSY_: ; @_ZN7rocprim17ROCPRIM_400000_NS6detail17trampoline_kernelINS0_13select_configILj256ELj13ELNS0_17block_load_methodE3ELS4_3ELS4_3ELNS0_20block_scan_algorithmE0ELj4294967295EEENS1_25partition_config_selectorILNS1_17partition_subalgoE3EjNS0_10empty_typeEbEEZZNS1_14partition_implILS8_3ELb0ES6_jNS0_17counting_iteratorIjlEEPS9_SE_NS0_5tupleIJPjSE_EEENSF_IJSE_SE_EEES9_SG_JZNS1_25segmented_radix_sort_implINS0_14default_configELb1EPKsPsPKlPlN2at6native12_GLOBAL__N_18offset_tEEE10hipError_tPvRmT1_PNSt15iterator_traitsISY_E10value_typeET2_T3_PNSZ_IS14_E10value_typeET4_jRbjT5_S1A_jjP12ihipStream_tbEUljE_EEESV_SW_SX_S14_S18_S1A_T6_T7_T9_mT8_S1C_bDpT10_ENKUlT_T0_E_clISt17integral_constantIbLb1EES1O_IbLb0EEEEDaS1K_S1L_EUlS1K_E_NS1_11comp_targetILNS1_3genE9ELNS1_11target_archE1100ELNS1_3gpuE3ELNS1_3repE0EEENS1_30default_config_static_selectorELNS0_4arch9wavefront6targetE0EEEvSY_
; %bb.0:
	.section	.rodata,"a",@progbits
	.p2align	6, 0x0
	.amdhsa_kernel _ZN7rocprim17ROCPRIM_400000_NS6detail17trampoline_kernelINS0_13select_configILj256ELj13ELNS0_17block_load_methodE3ELS4_3ELS4_3ELNS0_20block_scan_algorithmE0ELj4294967295EEENS1_25partition_config_selectorILNS1_17partition_subalgoE3EjNS0_10empty_typeEbEEZZNS1_14partition_implILS8_3ELb0ES6_jNS0_17counting_iteratorIjlEEPS9_SE_NS0_5tupleIJPjSE_EEENSF_IJSE_SE_EEES9_SG_JZNS1_25segmented_radix_sort_implINS0_14default_configELb1EPKsPsPKlPlN2at6native12_GLOBAL__N_18offset_tEEE10hipError_tPvRmT1_PNSt15iterator_traitsISY_E10value_typeET2_T3_PNSZ_IS14_E10value_typeET4_jRbjT5_S1A_jjP12ihipStream_tbEUljE_EEESV_SW_SX_S14_S18_S1A_T6_T7_T9_mT8_S1C_bDpT10_ENKUlT_T0_E_clISt17integral_constantIbLb1EES1O_IbLb0EEEEDaS1K_S1L_EUlS1K_E_NS1_11comp_targetILNS1_3genE9ELNS1_11target_archE1100ELNS1_3gpuE3ELNS1_3repE0EEENS1_30default_config_static_selectorELNS0_4arch9wavefront6targetE0EEEvSY_
		.amdhsa_group_segment_fixed_size 0
		.amdhsa_private_segment_fixed_size 0
		.amdhsa_kernarg_size 144
		.amdhsa_user_sgpr_count 6
		.amdhsa_user_sgpr_private_segment_buffer 1
		.amdhsa_user_sgpr_dispatch_ptr 0
		.amdhsa_user_sgpr_queue_ptr 0
		.amdhsa_user_sgpr_kernarg_segment_ptr 1
		.amdhsa_user_sgpr_dispatch_id 0
		.amdhsa_user_sgpr_flat_scratch_init 0
		.amdhsa_user_sgpr_private_segment_size 0
		.amdhsa_wavefront_size32 1
		.amdhsa_uses_dynamic_stack 0
		.amdhsa_system_sgpr_private_segment_wavefront_offset 0
		.amdhsa_system_sgpr_workgroup_id_x 1
		.amdhsa_system_sgpr_workgroup_id_y 0
		.amdhsa_system_sgpr_workgroup_id_z 0
		.amdhsa_system_sgpr_workgroup_info 0
		.amdhsa_system_vgpr_workitem_id 0
		.amdhsa_next_free_vgpr 1
		.amdhsa_next_free_sgpr 1
		.amdhsa_reserve_vcc 0
		.amdhsa_reserve_flat_scratch 0
		.amdhsa_float_round_mode_32 0
		.amdhsa_float_round_mode_16_64 0
		.amdhsa_float_denorm_mode_32 3
		.amdhsa_float_denorm_mode_16_64 3
		.amdhsa_dx10_clamp 1
		.amdhsa_ieee_mode 1
		.amdhsa_fp16_overflow 0
		.amdhsa_workgroup_processor_mode 1
		.amdhsa_memory_ordered 1
		.amdhsa_forward_progress 1
		.amdhsa_shared_vgpr_count 0
		.amdhsa_exception_fp_ieee_invalid_op 0
		.amdhsa_exception_fp_denorm_src 0
		.amdhsa_exception_fp_ieee_div_zero 0
		.amdhsa_exception_fp_ieee_overflow 0
		.amdhsa_exception_fp_ieee_underflow 0
		.amdhsa_exception_fp_ieee_inexact 0
		.amdhsa_exception_int_div_zero 0
	.end_amdhsa_kernel
	.section	.text._ZN7rocprim17ROCPRIM_400000_NS6detail17trampoline_kernelINS0_13select_configILj256ELj13ELNS0_17block_load_methodE3ELS4_3ELS4_3ELNS0_20block_scan_algorithmE0ELj4294967295EEENS1_25partition_config_selectorILNS1_17partition_subalgoE3EjNS0_10empty_typeEbEEZZNS1_14partition_implILS8_3ELb0ES6_jNS0_17counting_iteratorIjlEEPS9_SE_NS0_5tupleIJPjSE_EEENSF_IJSE_SE_EEES9_SG_JZNS1_25segmented_radix_sort_implINS0_14default_configELb1EPKsPsPKlPlN2at6native12_GLOBAL__N_18offset_tEEE10hipError_tPvRmT1_PNSt15iterator_traitsISY_E10value_typeET2_T3_PNSZ_IS14_E10value_typeET4_jRbjT5_S1A_jjP12ihipStream_tbEUljE_EEESV_SW_SX_S14_S18_S1A_T6_T7_T9_mT8_S1C_bDpT10_ENKUlT_T0_E_clISt17integral_constantIbLb1EES1O_IbLb0EEEEDaS1K_S1L_EUlS1K_E_NS1_11comp_targetILNS1_3genE9ELNS1_11target_archE1100ELNS1_3gpuE3ELNS1_3repE0EEENS1_30default_config_static_selectorELNS0_4arch9wavefront6targetE0EEEvSY_,"axG",@progbits,_ZN7rocprim17ROCPRIM_400000_NS6detail17trampoline_kernelINS0_13select_configILj256ELj13ELNS0_17block_load_methodE3ELS4_3ELS4_3ELNS0_20block_scan_algorithmE0ELj4294967295EEENS1_25partition_config_selectorILNS1_17partition_subalgoE3EjNS0_10empty_typeEbEEZZNS1_14partition_implILS8_3ELb0ES6_jNS0_17counting_iteratorIjlEEPS9_SE_NS0_5tupleIJPjSE_EEENSF_IJSE_SE_EEES9_SG_JZNS1_25segmented_radix_sort_implINS0_14default_configELb1EPKsPsPKlPlN2at6native12_GLOBAL__N_18offset_tEEE10hipError_tPvRmT1_PNSt15iterator_traitsISY_E10value_typeET2_T3_PNSZ_IS14_E10value_typeET4_jRbjT5_S1A_jjP12ihipStream_tbEUljE_EEESV_SW_SX_S14_S18_S1A_T6_T7_T9_mT8_S1C_bDpT10_ENKUlT_T0_E_clISt17integral_constantIbLb1EES1O_IbLb0EEEEDaS1K_S1L_EUlS1K_E_NS1_11comp_targetILNS1_3genE9ELNS1_11target_archE1100ELNS1_3gpuE3ELNS1_3repE0EEENS1_30default_config_static_selectorELNS0_4arch9wavefront6targetE0EEEvSY_,comdat
.Lfunc_end895:
	.size	_ZN7rocprim17ROCPRIM_400000_NS6detail17trampoline_kernelINS0_13select_configILj256ELj13ELNS0_17block_load_methodE3ELS4_3ELS4_3ELNS0_20block_scan_algorithmE0ELj4294967295EEENS1_25partition_config_selectorILNS1_17partition_subalgoE3EjNS0_10empty_typeEbEEZZNS1_14partition_implILS8_3ELb0ES6_jNS0_17counting_iteratorIjlEEPS9_SE_NS0_5tupleIJPjSE_EEENSF_IJSE_SE_EEES9_SG_JZNS1_25segmented_radix_sort_implINS0_14default_configELb1EPKsPsPKlPlN2at6native12_GLOBAL__N_18offset_tEEE10hipError_tPvRmT1_PNSt15iterator_traitsISY_E10value_typeET2_T3_PNSZ_IS14_E10value_typeET4_jRbjT5_S1A_jjP12ihipStream_tbEUljE_EEESV_SW_SX_S14_S18_S1A_T6_T7_T9_mT8_S1C_bDpT10_ENKUlT_T0_E_clISt17integral_constantIbLb1EES1O_IbLb0EEEEDaS1K_S1L_EUlS1K_E_NS1_11comp_targetILNS1_3genE9ELNS1_11target_archE1100ELNS1_3gpuE3ELNS1_3repE0EEENS1_30default_config_static_selectorELNS0_4arch9wavefront6targetE0EEEvSY_, .Lfunc_end895-_ZN7rocprim17ROCPRIM_400000_NS6detail17trampoline_kernelINS0_13select_configILj256ELj13ELNS0_17block_load_methodE3ELS4_3ELS4_3ELNS0_20block_scan_algorithmE0ELj4294967295EEENS1_25partition_config_selectorILNS1_17partition_subalgoE3EjNS0_10empty_typeEbEEZZNS1_14partition_implILS8_3ELb0ES6_jNS0_17counting_iteratorIjlEEPS9_SE_NS0_5tupleIJPjSE_EEENSF_IJSE_SE_EEES9_SG_JZNS1_25segmented_radix_sort_implINS0_14default_configELb1EPKsPsPKlPlN2at6native12_GLOBAL__N_18offset_tEEE10hipError_tPvRmT1_PNSt15iterator_traitsISY_E10value_typeET2_T3_PNSZ_IS14_E10value_typeET4_jRbjT5_S1A_jjP12ihipStream_tbEUljE_EEESV_SW_SX_S14_S18_S1A_T6_T7_T9_mT8_S1C_bDpT10_ENKUlT_T0_E_clISt17integral_constantIbLb1EES1O_IbLb0EEEEDaS1K_S1L_EUlS1K_E_NS1_11comp_targetILNS1_3genE9ELNS1_11target_archE1100ELNS1_3gpuE3ELNS1_3repE0EEENS1_30default_config_static_selectorELNS0_4arch9wavefront6targetE0EEEvSY_
                                        ; -- End function
	.set _ZN7rocprim17ROCPRIM_400000_NS6detail17trampoline_kernelINS0_13select_configILj256ELj13ELNS0_17block_load_methodE3ELS4_3ELS4_3ELNS0_20block_scan_algorithmE0ELj4294967295EEENS1_25partition_config_selectorILNS1_17partition_subalgoE3EjNS0_10empty_typeEbEEZZNS1_14partition_implILS8_3ELb0ES6_jNS0_17counting_iteratorIjlEEPS9_SE_NS0_5tupleIJPjSE_EEENSF_IJSE_SE_EEES9_SG_JZNS1_25segmented_radix_sort_implINS0_14default_configELb1EPKsPsPKlPlN2at6native12_GLOBAL__N_18offset_tEEE10hipError_tPvRmT1_PNSt15iterator_traitsISY_E10value_typeET2_T3_PNSZ_IS14_E10value_typeET4_jRbjT5_S1A_jjP12ihipStream_tbEUljE_EEESV_SW_SX_S14_S18_S1A_T6_T7_T9_mT8_S1C_bDpT10_ENKUlT_T0_E_clISt17integral_constantIbLb1EES1O_IbLb0EEEEDaS1K_S1L_EUlS1K_E_NS1_11comp_targetILNS1_3genE9ELNS1_11target_archE1100ELNS1_3gpuE3ELNS1_3repE0EEENS1_30default_config_static_selectorELNS0_4arch9wavefront6targetE0EEEvSY_.num_vgpr, 0
	.set _ZN7rocprim17ROCPRIM_400000_NS6detail17trampoline_kernelINS0_13select_configILj256ELj13ELNS0_17block_load_methodE3ELS4_3ELS4_3ELNS0_20block_scan_algorithmE0ELj4294967295EEENS1_25partition_config_selectorILNS1_17partition_subalgoE3EjNS0_10empty_typeEbEEZZNS1_14partition_implILS8_3ELb0ES6_jNS0_17counting_iteratorIjlEEPS9_SE_NS0_5tupleIJPjSE_EEENSF_IJSE_SE_EEES9_SG_JZNS1_25segmented_radix_sort_implINS0_14default_configELb1EPKsPsPKlPlN2at6native12_GLOBAL__N_18offset_tEEE10hipError_tPvRmT1_PNSt15iterator_traitsISY_E10value_typeET2_T3_PNSZ_IS14_E10value_typeET4_jRbjT5_S1A_jjP12ihipStream_tbEUljE_EEESV_SW_SX_S14_S18_S1A_T6_T7_T9_mT8_S1C_bDpT10_ENKUlT_T0_E_clISt17integral_constantIbLb1EES1O_IbLb0EEEEDaS1K_S1L_EUlS1K_E_NS1_11comp_targetILNS1_3genE9ELNS1_11target_archE1100ELNS1_3gpuE3ELNS1_3repE0EEENS1_30default_config_static_selectorELNS0_4arch9wavefront6targetE0EEEvSY_.num_agpr, 0
	.set _ZN7rocprim17ROCPRIM_400000_NS6detail17trampoline_kernelINS0_13select_configILj256ELj13ELNS0_17block_load_methodE3ELS4_3ELS4_3ELNS0_20block_scan_algorithmE0ELj4294967295EEENS1_25partition_config_selectorILNS1_17partition_subalgoE3EjNS0_10empty_typeEbEEZZNS1_14partition_implILS8_3ELb0ES6_jNS0_17counting_iteratorIjlEEPS9_SE_NS0_5tupleIJPjSE_EEENSF_IJSE_SE_EEES9_SG_JZNS1_25segmented_radix_sort_implINS0_14default_configELb1EPKsPsPKlPlN2at6native12_GLOBAL__N_18offset_tEEE10hipError_tPvRmT1_PNSt15iterator_traitsISY_E10value_typeET2_T3_PNSZ_IS14_E10value_typeET4_jRbjT5_S1A_jjP12ihipStream_tbEUljE_EEESV_SW_SX_S14_S18_S1A_T6_T7_T9_mT8_S1C_bDpT10_ENKUlT_T0_E_clISt17integral_constantIbLb1EES1O_IbLb0EEEEDaS1K_S1L_EUlS1K_E_NS1_11comp_targetILNS1_3genE9ELNS1_11target_archE1100ELNS1_3gpuE3ELNS1_3repE0EEENS1_30default_config_static_selectorELNS0_4arch9wavefront6targetE0EEEvSY_.numbered_sgpr, 0
	.set _ZN7rocprim17ROCPRIM_400000_NS6detail17trampoline_kernelINS0_13select_configILj256ELj13ELNS0_17block_load_methodE3ELS4_3ELS4_3ELNS0_20block_scan_algorithmE0ELj4294967295EEENS1_25partition_config_selectorILNS1_17partition_subalgoE3EjNS0_10empty_typeEbEEZZNS1_14partition_implILS8_3ELb0ES6_jNS0_17counting_iteratorIjlEEPS9_SE_NS0_5tupleIJPjSE_EEENSF_IJSE_SE_EEES9_SG_JZNS1_25segmented_radix_sort_implINS0_14default_configELb1EPKsPsPKlPlN2at6native12_GLOBAL__N_18offset_tEEE10hipError_tPvRmT1_PNSt15iterator_traitsISY_E10value_typeET2_T3_PNSZ_IS14_E10value_typeET4_jRbjT5_S1A_jjP12ihipStream_tbEUljE_EEESV_SW_SX_S14_S18_S1A_T6_T7_T9_mT8_S1C_bDpT10_ENKUlT_T0_E_clISt17integral_constantIbLb1EES1O_IbLb0EEEEDaS1K_S1L_EUlS1K_E_NS1_11comp_targetILNS1_3genE9ELNS1_11target_archE1100ELNS1_3gpuE3ELNS1_3repE0EEENS1_30default_config_static_selectorELNS0_4arch9wavefront6targetE0EEEvSY_.num_named_barrier, 0
	.set _ZN7rocprim17ROCPRIM_400000_NS6detail17trampoline_kernelINS0_13select_configILj256ELj13ELNS0_17block_load_methodE3ELS4_3ELS4_3ELNS0_20block_scan_algorithmE0ELj4294967295EEENS1_25partition_config_selectorILNS1_17partition_subalgoE3EjNS0_10empty_typeEbEEZZNS1_14partition_implILS8_3ELb0ES6_jNS0_17counting_iteratorIjlEEPS9_SE_NS0_5tupleIJPjSE_EEENSF_IJSE_SE_EEES9_SG_JZNS1_25segmented_radix_sort_implINS0_14default_configELb1EPKsPsPKlPlN2at6native12_GLOBAL__N_18offset_tEEE10hipError_tPvRmT1_PNSt15iterator_traitsISY_E10value_typeET2_T3_PNSZ_IS14_E10value_typeET4_jRbjT5_S1A_jjP12ihipStream_tbEUljE_EEESV_SW_SX_S14_S18_S1A_T6_T7_T9_mT8_S1C_bDpT10_ENKUlT_T0_E_clISt17integral_constantIbLb1EES1O_IbLb0EEEEDaS1K_S1L_EUlS1K_E_NS1_11comp_targetILNS1_3genE9ELNS1_11target_archE1100ELNS1_3gpuE3ELNS1_3repE0EEENS1_30default_config_static_selectorELNS0_4arch9wavefront6targetE0EEEvSY_.private_seg_size, 0
	.set _ZN7rocprim17ROCPRIM_400000_NS6detail17trampoline_kernelINS0_13select_configILj256ELj13ELNS0_17block_load_methodE3ELS4_3ELS4_3ELNS0_20block_scan_algorithmE0ELj4294967295EEENS1_25partition_config_selectorILNS1_17partition_subalgoE3EjNS0_10empty_typeEbEEZZNS1_14partition_implILS8_3ELb0ES6_jNS0_17counting_iteratorIjlEEPS9_SE_NS0_5tupleIJPjSE_EEENSF_IJSE_SE_EEES9_SG_JZNS1_25segmented_radix_sort_implINS0_14default_configELb1EPKsPsPKlPlN2at6native12_GLOBAL__N_18offset_tEEE10hipError_tPvRmT1_PNSt15iterator_traitsISY_E10value_typeET2_T3_PNSZ_IS14_E10value_typeET4_jRbjT5_S1A_jjP12ihipStream_tbEUljE_EEESV_SW_SX_S14_S18_S1A_T6_T7_T9_mT8_S1C_bDpT10_ENKUlT_T0_E_clISt17integral_constantIbLb1EES1O_IbLb0EEEEDaS1K_S1L_EUlS1K_E_NS1_11comp_targetILNS1_3genE9ELNS1_11target_archE1100ELNS1_3gpuE3ELNS1_3repE0EEENS1_30default_config_static_selectorELNS0_4arch9wavefront6targetE0EEEvSY_.uses_vcc, 0
	.set _ZN7rocprim17ROCPRIM_400000_NS6detail17trampoline_kernelINS0_13select_configILj256ELj13ELNS0_17block_load_methodE3ELS4_3ELS4_3ELNS0_20block_scan_algorithmE0ELj4294967295EEENS1_25partition_config_selectorILNS1_17partition_subalgoE3EjNS0_10empty_typeEbEEZZNS1_14partition_implILS8_3ELb0ES6_jNS0_17counting_iteratorIjlEEPS9_SE_NS0_5tupleIJPjSE_EEENSF_IJSE_SE_EEES9_SG_JZNS1_25segmented_radix_sort_implINS0_14default_configELb1EPKsPsPKlPlN2at6native12_GLOBAL__N_18offset_tEEE10hipError_tPvRmT1_PNSt15iterator_traitsISY_E10value_typeET2_T3_PNSZ_IS14_E10value_typeET4_jRbjT5_S1A_jjP12ihipStream_tbEUljE_EEESV_SW_SX_S14_S18_S1A_T6_T7_T9_mT8_S1C_bDpT10_ENKUlT_T0_E_clISt17integral_constantIbLb1EES1O_IbLb0EEEEDaS1K_S1L_EUlS1K_E_NS1_11comp_targetILNS1_3genE9ELNS1_11target_archE1100ELNS1_3gpuE3ELNS1_3repE0EEENS1_30default_config_static_selectorELNS0_4arch9wavefront6targetE0EEEvSY_.uses_flat_scratch, 0
	.set _ZN7rocprim17ROCPRIM_400000_NS6detail17trampoline_kernelINS0_13select_configILj256ELj13ELNS0_17block_load_methodE3ELS4_3ELS4_3ELNS0_20block_scan_algorithmE0ELj4294967295EEENS1_25partition_config_selectorILNS1_17partition_subalgoE3EjNS0_10empty_typeEbEEZZNS1_14partition_implILS8_3ELb0ES6_jNS0_17counting_iteratorIjlEEPS9_SE_NS0_5tupleIJPjSE_EEENSF_IJSE_SE_EEES9_SG_JZNS1_25segmented_radix_sort_implINS0_14default_configELb1EPKsPsPKlPlN2at6native12_GLOBAL__N_18offset_tEEE10hipError_tPvRmT1_PNSt15iterator_traitsISY_E10value_typeET2_T3_PNSZ_IS14_E10value_typeET4_jRbjT5_S1A_jjP12ihipStream_tbEUljE_EEESV_SW_SX_S14_S18_S1A_T6_T7_T9_mT8_S1C_bDpT10_ENKUlT_T0_E_clISt17integral_constantIbLb1EES1O_IbLb0EEEEDaS1K_S1L_EUlS1K_E_NS1_11comp_targetILNS1_3genE9ELNS1_11target_archE1100ELNS1_3gpuE3ELNS1_3repE0EEENS1_30default_config_static_selectorELNS0_4arch9wavefront6targetE0EEEvSY_.has_dyn_sized_stack, 0
	.set _ZN7rocprim17ROCPRIM_400000_NS6detail17trampoline_kernelINS0_13select_configILj256ELj13ELNS0_17block_load_methodE3ELS4_3ELS4_3ELNS0_20block_scan_algorithmE0ELj4294967295EEENS1_25partition_config_selectorILNS1_17partition_subalgoE3EjNS0_10empty_typeEbEEZZNS1_14partition_implILS8_3ELb0ES6_jNS0_17counting_iteratorIjlEEPS9_SE_NS0_5tupleIJPjSE_EEENSF_IJSE_SE_EEES9_SG_JZNS1_25segmented_radix_sort_implINS0_14default_configELb1EPKsPsPKlPlN2at6native12_GLOBAL__N_18offset_tEEE10hipError_tPvRmT1_PNSt15iterator_traitsISY_E10value_typeET2_T3_PNSZ_IS14_E10value_typeET4_jRbjT5_S1A_jjP12ihipStream_tbEUljE_EEESV_SW_SX_S14_S18_S1A_T6_T7_T9_mT8_S1C_bDpT10_ENKUlT_T0_E_clISt17integral_constantIbLb1EES1O_IbLb0EEEEDaS1K_S1L_EUlS1K_E_NS1_11comp_targetILNS1_3genE9ELNS1_11target_archE1100ELNS1_3gpuE3ELNS1_3repE0EEENS1_30default_config_static_selectorELNS0_4arch9wavefront6targetE0EEEvSY_.has_recursion, 0
	.set _ZN7rocprim17ROCPRIM_400000_NS6detail17trampoline_kernelINS0_13select_configILj256ELj13ELNS0_17block_load_methodE3ELS4_3ELS4_3ELNS0_20block_scan_algorithmE0ELj4294967295EEENS1_25partition_config_selectorILNS1_17partition_subalgoE3EjNS0_10empty_typeEbEEZZNS1_14partition_implILS8_3ELb0ES6_jNS0_17counting_iteratorIjlEEPS9_SE_NS0_5tupleIJPjSE_EEENSF_IJSE_SE_EEES9_SG_JZNS1_25segmented_radix_sort_implINS0_14default_configELb1EPKsPsPKlPlN2at6native12_GLOBAL__N_18offset_tEEE10hipError_tPvRmT1_PNSt15iterator_traitsISY_E10value_typeET2_T3_PNSZ_IS14_E10value_typeET4_jRbjT5_S1A_jjP12ihipStream_tbEUljE_EEESV_SW_SX_S14_S18_S1A_T6_T7_T9_mT8_S1C_bDpT10_ENKUlT_T0_E_clISt17integral_constantIbLb1EES1O_IbLb0EEEEDaS1K_S1L_EUlS1K_E_NS1_11comp_targetILNS1_3genE9ELNS1_11target_archE1100ELNS1_3gpuE3ELNS1_3repE0EEENS1_30default_config_static_selectorELNS0_4arch9wavefront6targetE0EEEvSY_.has_indirect_call, 0
	.section	.AMDGPU.csdata,"",@progbits
; Kernel info:
; codeLenInByte = 0
; TotalNumSgprs: 0
; NumVgprs: 0
; ScratchSize: 0
; MemoryBound: 0
; FloatMode: 240
; IeeeMode: 1
; LDSByteSize: 0 bytes/workgroup (compile time only)
; SGPRBlocks: 0
; VGPRBlocks: 0
; NumSGPRsForWavesPerEU: 1
; NumVGPRsForWavesPerEU: 1
; Occupancy: 16
; WaveLimiterHint : 0
; COMPUTE_PGM_RSRC2:SCRATCH_EN: 0
; COMPUTE_PGM_RSRC2:USER_SGPR: 6
; COMPUTE_PGM_RSRC2:TRAP_HANDLER: 0
; COMPUTE_PGM_RSRC2:TGID_X_EN: 1
; COMPUTE_PGM_RSRC2:TGID_Y_EN: 0
; COMPUTE_PGM_RSRC2:TGID_Z_EN: 0
; COMPUTE_PGM_RSRC2:TIDIG_COMP_CNT: 0
	.section	.text._ZN7rocprim17ROCPRIM_400000_NS6detail17trampoline_kernelINS0_13select_configILj256ELj13ELNS0_17block_load_methodE3ELS4_3ELS4_3ELNS0_20block_scan_algorithmE0ELj4294967295EEENS1_25partition_config_selectorILNS1_17partition_subalgoE3EjNS0_10empty_typeEbEEZZNS1_14partition_implILS8_3ELb0ES6_jNS0_17counting_iteratorIjlEEPS9_SE_NS0_5tupleIJPjSE_EEENSF_IJSE_SE_EEES9_SG_JZNS1_25segmented_radix_sort_implINS0_14default_configELb1EPKsPsPKlPlN2at6native12_GLOBAL__N_18offset_tEEE10hipError_tPvRmT1_PNSt15iterator_traitsISY_E10value_typeET2_T3_PNSZ_IS14_E10value_typeET4_jRbjT5_S1A_jjP12ihipStream_tbEUljE_EEESV_SW_SX_S14_S18_S1A_T6_T7_T9_mT8_S1C_bDpT10_ENKUlT_T0_E_clISt17integral_constantIbLb1EES1O_IbLb0EEEEDaS1K_S1L_EUlS1K_E_NS1_11comp_targetILNS1_3genE8ELNS1_11target_archE1030ELNS1_3gpuE2ELNS1_3repE0EEENS1_30default_config_static_selectorELNS0_4arch9wavefront6targetE0EEEvSY_,"axG",@progbits,_ZN7rocprim17ROCPRIM_400000_NS6detail17trampoline_kernelINS0_13select_configILj256ELj13ELNS0_17block_load_methodE3ELS4_3ELS4_3ELNS0_20block_scan_algorithmE0ELj4294967295EEENS1_25partition_config_selectorILNS1_17partition_subalgoE3EjNS0_10empty_typeEbEEZZNS1_14partition_implILS8_3ELb0ES6_jNS0_17counting_iteratorIjlEEPS9_SE_NS0_5tupleIJPjSE_EEENSF_IJSE_SE_EEES9_SG_JZNS1_25segmented_radix_sort_implINS0_14default_configELb1EPKsPsPKlPlN2at6native12_GLOBAL__N_18offset_tEEE10hipError_tPvRmT1_PNSt15iterator_traitsISY_E10value_typeET2_T3_PNSZ_IS14_E10value_typeET4_jRbjT5_S1A_jjP12ihipStream_tbEUljE_EEESV_SW_SX_S14_S18_S1A_T6_T7_T9_mT8_S1C_bDpT10_ENKUlT_T0_E_clISt17integral_constantIbLb1EES1O_IbLb0EEEEDaS1K_S1L_EUlS1K_E_NS1_11comp_targetILNS1_3genE8ELNS1_11target_archE1030ELNS1_3gpuE2ELNS1_3repE0EEENS1_30default_config_static_selectorELNS0_4arch9wavefront6targetE0EEEvSY_,comdat
	.globl	_ZN7rocprim17ROCPRIM_400000_NS6detail17trampoline_kernelINS0_13select_configILj256ELj13ELNS0_17block_load_methodE3ELS4_3ELS4_3ELNS0_20block_scan_algorithmE0ELj4294967295EEENS1_25partition_config_selectorILNS1_17partition_subalgoE3EjNS0_10empty_typeEbEEZZNS1_14partition_implILS8_3ELb0ES6_jNS0_17counting_iteratorIjlEEPS9_SE_NS0_5tupleIJPjSE_EEENSF_IJSE_SE_EEES9_SG_JZNS1_25segmented_radix_sort_implINS0_14default_configELb1EPKsPsPKlPlN2at6native12_GLOBAL__N_18offset_tEEE10hipError_tPvRmT1_PNSt15iterator_traitsISY_E10value_typeET2_T3_PNSZ_IS14_E10value_typeET4_jRbjT5_S1A_jjP12ihipStream_tbEUljE_EEESV_SW_SX_S14_S18_S1A_T6_T7_T9_mT8_S1C_bDpT10_ENKUlT_T0_E_clISt17integral_constantIbLb1EES1O_IbLb0EEEEDaS1K_S1L_EUlS1K_E_NS1_11comp_targetILNS1_3genE8ELNS1_11target_archE1030ELNS1_3gpuE2ELNS1_3repE0EEENS1_30default_config_static_selectorELNS0_4arch9wavefront6targetE0EEEvSY_ ; -- Begin function _ZN7rocprim17ROCPRIM_400000_NS6detail17trampoline_kernelINS0_13select_configILj256ELj13ELNS0_17block_load_methodE3ELS4_3ELS4_3ELNS0_20block_scan_algorithmE0ELj4294967295EEENS1_25partition_config_selectorILNS1_17partition_subalgoE3EjNS0_10empty_typeEbEEZZNS1_14partition_implILS8_3ELb0ES6_jNS0_17counting_iteratorIjlEEPS9_SE_NS0_5tupleIJPjSE_EEENSF_IJSE_SE_EEES9_SG_JZNS1_25segmented_radix_sort_implINS0_14default_configELb1EPKsPsPKlPlN2at6native12_GLOBAL__N_18offset_tEEE10hipError_tPvRmT1_PNSt15iterator_traitsISY_E10value_typeET2_T3_PNSZ_IS14_E10value_typeET4_jRbjT5_S1A_jjP12ihipStream_tbEUljE_EEESV_SW_SX_S14_S18_S1A_T6_T7_T9_mT8_S1C_bDpT10_ENKUlT_T0_E_clISt17integral_constantIbLb1EES1O_IbLb0EEEEDaS1K_S1L_EUlS1K_E_NS1_11comp_targetILNS1_3genE8ELNS1_11target_archE1030ELNS1_3gpuE2ELNS1_3repE0EEENS1_30default_config_static_selectorELNS0_4arch9wavefront6targetE0EEEvSY_
	.p2align	8
	.type	_ZN7rocprim17ROCPRIM_400000_NS6detail17trampoline_kernelINS0_13select_configILj256ELj13ELNS0_17block_load_methodE3ELS4_3ELS4_3ELNS0_20block_scan_algorithmE0ELj4294967295EEENS1_25partition_config_selectorILNS1_17partition_subalgoE3EjNS0_10empty_typeEbEEZZNS1_14partition_implILS8_3ELb0ES6_jNS0_17counting_iteratorIjlEEPS9_SE_NS0_5tupleIJPjSE_EEENSF_IJSE_SE_EEES9_SG_JZNS1_25segmented_radix_sort_implINS0_14default_configELb1EPKsPsPKlPlN2at6native12_GLOBAL__N_18offset_tEEE10hipError_tPvRmT1_PNSt15iterator_traitsISY_E10value_typeET2_T3_PNSZ_IS14_E10value_typeET4_jRbjT5_S1A_jjP12ihipStream_tbEUljE_EEESV_SW_SX_S14_S18_S1A_T6_T7_T9_mT8_S1C_bDpT10_ENKUlT_T0_E_clISt17integral_constantIbLb1EES1O_IbLb0EEEEDaS1K_S1L_EUlS1K_E_NS1_11comp_targetILNS1_3genE8ELNS1_11target_archE1030ELNS1_3gpuE2ELNS1_3repE0EEENS1_30default_config_static_selectorELNS0_4arch9wavefront6targetE0EEEvSY_,@function
_ZN7rocprim17ROCPRIM_400000_NS6detail17trampoline_kernelINS0_13select_configILj256ELj13ELNS0_17block_load_methodE3ELS4_3ELS4_3ELNS0_20block_scan_algorithmE0ELj4294967295EEENS1_25partition_config_selectorILNS1_17partition_subalgoE3EjNS0_10empty_typeEbEEZZNS1_14partition_implILS8_3ELb0ES6_jNS0_17counting_iteratorIjlEEPS9_SE_NS0_5tupleIJPjSE_EEENSF_IJSE_SE_EEES9_SG_JZNS1_25segmented_radix_sort_implINS0_14default_configELb1EPKsPsPKlPlN2at6native12_GLOBAL__N_18offset_tEEE10hipError_tPvRmT1_PNSt15iterator_traitsISY_E10value_typeET2_T3_PNSZ_IS14_E10value_typeET4_jRbjT5_S1A_jjP12ihipStream_tbEUljE_EEESV_SW_SX_S14_S18_S1A_T6_T7_T9_mT8_S1C_bDpT10_ENKUlT_T0_E_clISt17integral_constantIbLb1EES1O_IbLb0EEEEDaS1K_S1L_EUlS1K_E_NS1_11comp_targetILNS1_3genE8ELNS1_11target_archE1030ELNS1_3gpuE2ELNS1_3repE0EEENS1_30default_config_static_selectorELNS0_4arch9wavefront6targetE0EEEvSY_: ; @_ZN7rocprim17ROCPRIM_400000_NS6detail17trampoline_kernelINS0_13select_configILj256ELj13ELNS0_17block_load_methodE3ELS4_3ELS4_3ELNS0_20block_scan_algorithmE0ELj4294967295EEENS1_25partition_config_selectorILNS1_17partition_subalgoE3EjNS0_10empty_typeEbEEZZNS1_14partition_implILS8_3ELb0ES6_jNS0_17counting_iteratorIjlEEPS9_SE_NS0_5tupleIJPjSE_EEENSF_IJSE_SE_EEES9_SG_JZNS1_25segmented_radix_sort_implINS0_14default_configELb1EPKsPsPKlPlN2at6native12_GLOBAL__N_18offset_tEEE10hipError_tPvRmT1_PNSt15iterator_traitsISY_E10value_typeET2_T3_PNSZ_IS14_E10value_typeET4_jRbjT5_S1A_jjP12ihipStream_tbEUljE_EEESV_SW_SX_S14_S18_S1A_T6_T7_T9_mT8_S1C_bDpT10_ENKUlT_T0_E_clISt17integral_constantIbLb1EES1O_IbLb0EEEEDaS1K_S1L_EUlS1K_E_NS1_11comp_targetILNS1_3genE8ELNS1_11target_archE1030ELNS1_3gpuE2ELNS1_3repE0EEENS1_30default_config_static_selectorELNS0_4arch9wavefront6targetE0EEEvSY_
; %bb.0:
	s_endpgm
	.section	.rodata,"a",@progbits
	.p2align	6, 0x0
	.amdhsa_kernel _ZN7rocprim17ROCPRIM_400000_NS6detail17trampoline_kernelINS0_13select_configILj256ELj13ELNS0_17block_load_methodE3ELS4_3ELS4_3ELNS0_20block_scan_algorithmE0ELj4294967295EEENS1_25partition_config_selectorILNS1_17partition_subalgoE3EjNS0_10empty_typeEbEEZZNS1_14partition_implILS8_3ELb0ES6_jNS0_17counting_iteratorIjlEEPS9_SE_NS0_5tupleIJPjSE_EEENSF_IJSE_SE_EEES9_SG_JZNS1_25segmented_radix_sort_implINS0_14default_configELb1EPKsPsPKlPlN2at6native12_GLOBAL__N_18offset_tEEE10hipError_tPvRmT1_PNSt15iterator_traitsISY_E10value_typeET2_T3_PNSZ_IS14_E10value_typeET4_jRbjT5_S1A_jjP12ihipStream_tbEUljE_EEESV_SW_SX_S14_S18_S1A_T6_T7_T9_mT8_S1C_bDpT10_ENKUlT_T0_E_clISt17integral_constantIbLb1EES1O_IbLb0EEEEDaS1K_S1L_EUlS1K_E_NS1_11comp_targetILNS1_3genE8ELNS1_11target_archE1030ELNS1_3gpuE2ELNS1_3repE0EEENS1_30default_config_static_selectorELNS0_4arch9wavefront6targetE0EEEvSY_
		.amdhsa_group_segment_fixed_size 0
		.amdhsa_private_segment_fixed_size 0
		.amdhsa_kernarg_size 144
		.amdhsa_user_sgpr_count 6
		.amdhsa_user_sgpr_private_segment_buffer 1
		.amdhsa_user_sgpr_dispatch_ptr 0
		.amdhsa_user_sgpr_queue_ptr 0
		.amdhsa_user_sgpr_kernarg_segment_ptr 1
		.amdhsa_user_sgpr_dispatch_id 0
		.amdhsa_user_sgpr_flat_scratch_init 0
		.amdhsa_user_sgpr_private_segment_size 0
		.amdhsa_wavefront_size32 1
		.amdhsa_uses_dynamic_stack 0
		.amdhsa_system_sgpr_private_segment_wavefront_offset 0
		.amdhsa_system_sgpr_workgroup_id_x 1
		.amdhsa_system_sgpr_workgroup_id_y 0
		.amdhsa_system_sgpr_workgroup_id_z 0
		.amdhsa_system_sgpr_workgroup_info 0
		.amdhsa_system_vgpr_workitem_id 0
		.amdhsa_next_free_vgpr 1
		.amdhsa_next_free_sgpr 1
		.amdhsa_reserve_vcc 0
		.amdhsa_reserve_flat_scratch 0
		.amdhsa_float_round_mode_32 0
		.amdhsa_float_round_mode_16_64 0
		.amdhsa_float_denorm_mode_32 3
		.amdhsa_float_denorm_mode_16_64 3
		.amdhsa_dx10_clamp 1
		.amdhsa_ieee_mode 1
		.amdhsa_fp16_overflow 0
		.amdhsa_workgroup_processor_mode 1
		.amdhsa_memory_ordered 1
		.amdhsa_forward_progress 1
		.amdhsa_shared_vgpr_count 0
		.amdhsa_exception_fp_ieee_invalid_op 0
		.amdhsa_exception_fp_denorm_src 0
		.amdhsa_exception_fp_ieee_div_zero 0
		.amdhsa_exception_fp_ieee_overflow 0
		.amdhsa_exception_fp_ieee_underflow 0
		.amdhsa_exception_fp_ieee_inexact 0
		.amdhsa_exception_int_div_zero 0
	.end_amdhsa_kernel
	.section	.text._ZN7rocprim17ROCPRIM_400000_NS6detail17trampoline_kernelINS0_13select_configILj256ELj13ELNS0_17block_load_methodE3ELS4_3ELS4_3ELNS0_20block_scan_algorithmE0ELj4294967295EEENS1_25partition_config_selectorILNS1_17partition_subalgoE3EjNS0_10empty_typeEbEEZZNS1_14partition_implILS8_3ELb0ES6_jNS0_17counting_iteratorIjlEEPS9_SE_NS0_5tupleIJPjSE_EEENSF_IJSE_SE_EEES9_SG_JZNS1_25segmented_radix_sort_implINS0_14default_configELb1EPKsPsPKlPlN2at6native12_GLOBAL__N_18offset_tEEE10hipError_tPvRmT1_PNSt15iterator_traitsISY_E10value_typeET2_T3_PNSZ_IS14_E10value_typeET4_jRbjT5_S1A_jjP12ihipStream_tbEUljE_EEESV_SW_SX_S14_S18_S1A_T6_T7_T9_mT8_S1C_bDpT10_ENKUlT_T0_E_clISt17integral_constantIbLb1EES1O_IbLb0EEEEDaS1K_S1L_EUlS1K_E_NS1_11comp_targetILNS1_3genE8ELNS1_11target_archE1030ELNS1_3gpuE2ELNS1_3repE0EEENS1_30default_config_static_selectorELNS0_4arch9wavefront6targetE0EEEvSY_,"axG",@progbits,_ZN7rocprim17ROCPRIM_400000_NS6detail17trampoline_kernelINS0_13select_configILj256ELj13ELNS0_17block_load_methodE3ELS4_3ELS4_3ELNS0_20block_scan_algorithmE0ELj4294967295EEENS1_25partition_config_selectorILNS1_17partition_subalgoE3EjNS0_10empty_typeEbEEZZNS1_14partition_implILS8_3ELb0ES6_jNS0_17counting_iteratorIjlEEPS9_SE_NS0_5tupleIJPjSE_EEENSF_IJSE_SE_EEES9_SG_JZNS1_25segmented_radix_sort_implINS0_14default_configELb1EPKsPsPKlPlN2at6native12_GLOBAL__N_18offset_tEEE10hipError_tPvRmT1_PNSt15iterator_traitsISY_E10value_typeET2_T3_PNSZ_IS14_E10value_typeET4_jRbjT5_S1A_jjP12ihipStream_tbEUljE_EEESV_SW_SX_S14_S18_S1A_T6_T7_T9_mT8_S1C_bDpT10_ENKUlT_T0_E_clISt17integral_constantIbLb1EES1O_IbLb0EEEEDaS1K_S1L_EUlS1K_E_NS1_11comp_targetILNS1_3genE8ELNS1_11target_archE1030ELNS1_3gpuE2ELNS1_3repE0EEENS1_30default_config_static_selectorELNS0_4arch9wavefront6targetE0EEEvSY_,comdat
.Lfunc_end896:
	.size	_ZN7rocprim17ROCPRIM_400000_NS6detail17trampoline_kernelINS0_13select_configILj256ELj13ELNS0_17block_load_methodE3ELS4_3ELS4_3ELNS0_20block_scan_algorithmE0ELj4294967295EEENS1_25partition_config_selectorILNS1_17partition_subalgoE3EjNS0_10empty_typeEbEEZZNS1_14partition_implILS8_3ELb0ES6_jNS0_17counting_iteratorIjlEEPS9_SE_NS0_5tupleIJPjSE_EEENSF_IJSE_SE_EEES9_SG_JZNS1_25segmented_radix_sort_implINS0_14default_configELb1EPKsPsPKlPlN2at6native12_GLOBAL__N_18offset_tEEE10hipError_tPvRmT1_PNSt15iterator_traitsISY_E10value_typeET2_T3_PNSZ_IS14_E10value_typeET4_jRbjT5_S1A_jjP12ihipStream_tbEUljE_EEESV_SW_SX_S14_S18_S1A_T6_T7_T9_mT8_S1C_bDpT10_ENKUlT_T0_E_clISt17integral_constantIbLb1EES1O_IbLb0EEEEDaS1K_S1L_EUlS1K_E_NS1_11comp_targetILNS1_3genE8ELNS1_11target_archE1030ELNS1_3gpuE2ELNS1_3repE0EEENS1_30default_config_static_selectorELNS0_4arch9wavefront6targetE0EEEvSY_, .Lfunc_end896-_ZN7rocprim17ROCPRIM_400000_NS6detail17trampoline_kernelINS0_13select_configILj256ELj13ELNS0_17block_load_methodE3ELS4_3ELS4_3ELNS0_20block_scan_algorithmE0ELj4294967295EEENS1_25partition_config_selectorILNS1_17partition_subalgoE3EjNS0_10empty_typeEbEEZZNS1_14partition_implILS8_3ELb0ES6_jNS0_17counting_iteratorIjlEEPS9_SE_NS0_5tupleIJPjSE_EEENSF_IJSE_SE_EEES9_SG_JZNS1_25segmented_radix_sort_implINS0_14default_configELb1EPKsPsPKlPlN2at6native12_GLOBAL__N_18offset_tEEE10hipError_tPvRmT1_PNSt15iterator_traitsISY_E10value_typeET2_T3_PNSZ_IS14_E10value_typeET4_jRbjT5_S1A_jjP12ihipStream_tbEUljE_EEESV_SW_SX_S14_S18_S1A_T6_T7_T9_mT8_S1C_bDpT10_ENKUlT_T0_E_clISt17integral_constantIbLb1EES1O_IbLb0EEEEDaS1K_S1L_EUlS1K_E_NS1_11comp_targetILNS1_3genE8ELNS1_11target_archE1030ELNS1_3gpuE2ELNS1_3repE0EEENS1_30default_config_static_selectorELNS0_4arch9wavefront6targetE0EEEvSY_
                                        ; -- End function
	.set _ZN7rocprim17ROCPRIM_400000_NS6detail17trampoline_kernelINS0_13select_configILj256ELj13ELNS0_17block_load_methodE3ELS4_3ELS4_3ELNS0_20block_scan_algorithmE0ELj4294967295EEENS1_25partition_config_selectorILNS1_17partition_subalgoE3EjNS0_10empty_typeEbEEZZNS1_14partition_implILS8_3ELb0ES6_jNS0_17counting_iteratorIjlEEPS9_SE_NS0_5tupleIJPjSE_EEENSF_IJSE_SE_EEES9_SG_JZNS1_25segmented_radix_sort_implINS0_14default_configELb1EPKsPsPKlPlN2at6native12_GLOBAL__N_18offset_tEEE10hipError_tPvRmT1_PNSt15iterator_traitsISY_E10value_typeET2_T3_PNSZ_IS14_E10value_typeET4_jRbjT5_S1A_jjP12ihipStream_tbEUljE_EEESV_SW_SX_S14_S18_S1A_T6_T7_T9_mT8_S1C_bDpT10_ENKUlT_T0_E_clISt17integral_constantIbLb1EES1O_IbLb0EEEEDaS1K_S1L_EUlS1K_E_NS1_11comp_targetILNS1_3genE8ELNS1_11target_archE1030ELNS1_3gpuE2ELNS1_3repE0EEENS1_30default_config_static_selectorELNS0_4arch9wavefront6targetE0EEEvSY_.num_vgpr, 0
	.set _ZN7rocprim17ROCPRIM_400000_NS6detail17trampoline_kernelINS0_13select_configILj256ELj13ELNS0_17block_load_methodE3ELS4_3ELS4_3ELNS0_20block_scan_algorithmE0ELj4294967295EEENS1_25partition_config_selectorILNS1_17partition_subalgoE3EjNS0_10empty_typeEbEEZZNS1_14partition_implILS8_3ELb0ES6_jNS0_17counting_iteratorIjlEEPS9_SE_NS0_5tupleIJPjSE_EEENSF_IJSE_SE_EEES9_SG_JZNS1_25segmented_radix_sort_implINS0_14default_configELb1EPKsPsPKlPlN2at6native12_GLOBAL__N_18offset_tEEE10hipError_tPvRmT1_PNSt15iterator_traitsISY_E10value_typeET2_T3_PNSZ_IS14_E10value_typeET4_jRbjT5_S1A_jjP12ihipStream_tbEUljE_EEESV_SW_SX_S14_S18_S1A_T6_T7_T9_mT8_S1C_bDpT10_ENKUlT_T0_E_clISt17integral_constantIbLb1EES1O_IbLb0EEEEDaS1K_S1L_EUlS1K_E_NS1_11comp_targetILNS1_3genE8ELNS1_11target_archE1030ELNS1_3gpuE2ELNS1_3repE0EEENS1_30default_config_static_selectorELNS0_4arch9wavefront6targetE0EEEvSY_.num_agpr, 0
	.set _ZN7rocprim17ROCPRIM_400000_NS6detail17trampoline_kernelINS0_13select_configILj256ELj13ELNS0_17block_load_methodE3ELS4_3ELS4_3ELNS0_20block_scan_algorithmE0ELj4294967295EEENS1_25partition_config_selectorILNS1_17partition_subalgoE3EjNS0_10empty_typeEbEEZZNS1_14partition_implILS8_3ELb0ES6_jNS0_17counting_iteratorIjlEEPS9_SE_NS0_5tupleIJPjSE_EEENSF_IJSE_SE_EEES9_SG_JZNS1_25segmented_radix_sort_implINS0_14default_configELb1EPKsPsPKlPlN2at6native12_GLOBAL__N_18offset_tEEE10hipError_tPvRmT1_PNSt15iterator_traitsISY_E10value_typeET2_T3_PNSZ_IS14_E10value_typeET4_jRbjT5_S1A_jjP12ihipStream_tbEUljE_EEESV_SW_SX_S14_S18_S1A_T6_T7_T9_mT8_S1C_bDpT10_ENKUlT_T0_E_clISt17integral_constantIbLb1EES1O_IbLb0EEEEDaS1K_S1L_EUlS1K_E_NS1_11comp_targetILNS1_3genE8ELNS1_11target_archE1030ELNS1_3gpuE2ELNS1_3repE0EEENS1_30default_config_static_selectorELNS0_4arch9wavefront6targetE0EEEvSY_.numbered_sgpr, 0
	.set _ZN7rocprim17ROCPRIM_400000_NS6detail17trampoline_kernelINS0_13select_configILj256ELj13ELNS0_17block_load_methodE3ELS4_3ELS4_3ELNS0_20block_scan_algorithmE0ELj4294967295EEENS1_25partition_config_selectorILNS1_17partition_subalgoE3EjNS0_10empty_typeEbEEZZNS1_14partition_implILS8_3ELb0ES6_jNS0_17counting_iteratorIjlEEPS9_SE_NS0_5tupleIJPjSE_EEENSF_IJSE_SE_EEES9_SG_JZNS1_25segmented_radix_sort_implINS0_14default_configELb1EPKsPsPKlPlN2at6native12_GLOBAL__N_18offset_tEEE10hipError_tPvRmT1_PNSt15iterator_traitsISY_E10value_typeET2_T3_PNSZ_IS14_E10value_typeET4_jRbjT5_S1A_jjP12ihipStream_tbEUljE_EEESV_SW_SX_S14_S18_S1A_T6_T7_T9_mT8_S1C_bDpT10_ENKUlT_T0_E_clISt17integral_constantIbLb1EES1O_IbLb0EEEEDaS1K_S1L_EUlS1K_E_NS1_11comp_targetILNS1_3genE8ELNS1_11target_archE1030ELNS1_3gpuE2ELNS1_3repE0EEENS1_30default_config_static_selectorELNS0_4arch9wavefront6targetE0EEEvSY_.num_named_barrier, 0
	.set _ZN7rocprim17ROCPRIM_400000_NS6detail17trampoline_kernelINS0_13select_configILj256ELj13ELNS0_17block_load_methodE3ELS4_3ELS4_3ELNS0_20block_scan_algorithmE0ELj4294967295EEENS1_25partition_config_selectorILNS1_17partition_subalgoE3EjNS0_10empty_typeEbEEZZNS1_14partition_implILS8_3ELb0ES6_jNS0_17counting_iteratorIjlEEPS9_SE_NS0_5tupleIJPjSE_EEENSF_IJSE_SE_EEES9_SG_JZNS1_25segmented_radix_sort_implINS0_14default_configELb1EPKsPsPKlPlN2at6native12_GLOBAL__N_18offset_tEEE10hipError_tPvRmT1_PNSt15iterator_traitsISY_E10value_typeET2_T3_PNSZ_IS14_E10value_typeET4_jRbjT5_S1A_jjP12ihipStream_tbEUljE_EEESV_SW_SX_S14_S18_S1A_T6_T7_T9_mT8_S1C_bDpT10_ENKUlT_T0_E_clISt17integral_constantIbLb1EES1O_IbLb0EEEEDaS1K_S1L_EUlS1K_E_NS1_11comp_targetILNS1_3genE8ELNS1_11target_archE1030ELNS1_3gpuE2ELNS1_3repE0EEENS1_30default_config_static_selectorELNS0_4arch9wavefront6targetE0EEEvSY_.private_seg_size, 0
	.set _ZN7rocprim17ROCPRIM_400000_NS6detail17trampoline_kernelINS0_13select_configILj256ELj13ELNS0_17block_load_methodE3ELS4_3ELS4_3ELNS0_20block_scan_algorithmE0ELj4294967295EEENS1_25partition_config_selectorILNS1_17partition_subalgoE3EjNS0_10empty_typeEbEEZZNS1_14partition_implILS8_3ELb0ES6_jNS0_17counting_iteratorIjlEEPS9_SE_NS0_5tupleIJPjSE_EEENSF_IJSE_SE_EEES9_SG_JZNS1_25segmented_radix_sort_implINS0_14default_configELb1EPKsPsPKlPlN2at6native12_GLOBAL__N_18offset_tEEE10hipError_tPvRmT1_PNSt15iterator_traitsISY_E10value_typeET2_T3_PNSZ_IS14_E10value_typeET4_jRbjT5_S1A_jjP12ihipStream_tbEUljE_EEESV_SW_SX_S14_S18_S1A_T6_T7_T9_mT8_S1C_bDpT10_ENKUlT_T0_E_clISt17integral_constantIbLb1EES1O_IbLb0EEEEDaS1K_S1L_EUlS1K_E_NS1_11comp_targetILNS1_3genE8ELNS1_11target_archE1030ELNS1_3gpuE2ELNS1_3repE0EEENS1_30default_config_static_selectorELNS0_4arch9wavefront6targetE0EEEvSY_.uses_vcc, 0
	.set _ZN7rocprim17ROCPRIM_400000_NS6detail17trampoline_kernelINS0_13select_configILj256ELj13ELNS0_17block_load_methodE3ELS4_3ELS4_3ELNS0_20block_scan_algorithmE0ELj4294967295EEENS1_25partition_config_selectorILNS1_17partition_subalgoE3EjNS0_10empty_typeEbEEZZNS1_14partition_implILS8_3ELb0ES6_jNS0_17counting_iteratorIjlEEPS9_SE_NS0_5tupleIJPjSE_EEENSF_IJSE_SE_EEES9_SG_JZNS1_25segmented_radix_sort_implINS0_14default_configELb1EPKsPsPKlPlN2at6native12_GLOBAL__N_18offset_tEEE10hipError_tPvRmT1_PNSt15iterator_traitsISY_E10value_typeET2_T3_PNSZ_IS14_E10value_typeET4_jRbjT5_S1A_jjP12ihipStream_tbEUljE_EEESV_SW_SX_S14_S18_S1A_T6_T7_T9_mT8_S1C_bDpT10_ENKUlT_T0_E_clISt17integral_constantIbLb1EES1O_IbLb0EEEEDaS1K_S1L_EUlS1K_E_NS1_11comp_targetILNS1_3genE8ELNS1_11target_archE1030ELNS1_3gpuE2ELNS1_3repE0EEENS1_30default_config_static_selectorELNS0_4arch9wavefront6targetE0EEEvSY_.uses_flat_scratch, 0
	.set _ZN7rocprim17ROCPRIM_400000_NS6detail17trampoline_kernelINS0_13select_configILj256ELj13ELNS0_17block_load_methodE3ELS4_3ELS4_3ELNS0_20block_scan_algorithmE0ELj4294967295EEENS1_25partition_config_selectorILNS1_17partition_subalgoE3EjNS0_10empty_typeEbEEZZNS1_14partition_implILS8_3ELb0ES6_jNS0_17counting_iteratorIjlEEPS9_SE_NS0_5tupleIJPjSE_EEENSF_IJSE_SE_EEES9_SG_JZNS1_25segmented_radix_sort_implINS0_14default_configELb1EPKsPsPKlPlN2at6native12_GLOBAL__N_18offset_tEEE10hipError_tPvRmT1_PNSt15iterator_traitsISY_E10value_typeET2_T3_PNSZ_IS14_E10value_typeET4_jRbjT5_S1A_jjP12ihipStream_tbEUljE_EEESV_SW_SX_S14_S18_S1A_T6_T7_T9_mT8_S1C_bDpT10_ENKUlT_T0_E_clISt17integral_constantIbLb1EES1O_IbLb0EEEEDaS1K_S1L_EUlS1K_E_NS1_11comp_targetILNS1_3genE8ELNS1_11target_archE1030ELNS1_3gpuE2ELNS1_3repE0EEENS1_30default_config_static_selectorELNS0_4arch9wavefront6targetE0EEEvSY_.has_dyn_sized_stack, 0
	.set _ZN7rocprim17ROCPRIM_400000_NS6detail17trampoline_kernelINS0_13select_configILj256ELj13ELNS0_17block_load_methodE3ELS4_3ELS4_3ELNS0_20block_scan_algorithmE0ELj4294967295EEENS1_25partition_config_selectorILNS1_17partition_subalgoE3EjNS0_10empty_typeEbEEZZNS1_14partition_implILS8_3ELb0ES6_jNS0_17counting_iteratorIjlEEPS9_SE_NS0_5tupleIJPjSE_EEENSF_IJSE_SE_EEES9_SG_JZNS1_25segmented_radix_sort_implINS0_14default_configELb1EPKsPsPKlPlN2at6native12_GLOBAL__N_18offset_tEEE10hipError_tPvRmT1_PNSt15iterator_traitsISY_E10value_typeET2_T3_PNSZ_IS14_E10value_typeET4_jRbjT5_S1A_jjP12ihipStream_tbEUljE_EEESV_SW_SX_S14_S18_S1A_T6_T7_T9_mT8_S1C_bDpT10_ENKUlT_T0_E_clISt17integral_constantIbLb1EES1O_IbLb0EEEEDaS1K_S1L_EUlS1K_E_NS1_11comp_targetILNS1_3genE8ELNS1_11target_archE1030ELNS1_3gpuE2ELNS1_3repE0EEENS1_30default_config_static_selectorELNS0_4arch9wavefront6targetE0EEEvSY_.has_recursion, 0
	.set _ZN7rocprim17ROCPRIM_400000_NS6detail17trampoline_kernelINS0_13select_configILj256ELj13ELNS0_17block_load_methodE3ELS4_3ELS4_3ELNS0_20block_scan_algorithmE0ELj4294967295EEENS1_25partition_config_selectorILNS1_17partition_subalgoE3EjNS0_10empty_typeEbEEZZNS1_14partition_implILS8_3ELb0ES6_jNS0_17counting_iteratorIjlEEPS9_SE_NS0_5tupleIJPjSE_EEENSF_IJSE_SE_EEES9_SG_JZNS1_25segmented_radix_sort_implINS0_14default_configELb1EPKsPsPKlPlN2at6native12_GLOBAL__N_18offset_tEEE10hipError_tPvRmT1_PNSt15iterator_traitsISY_E10value_typeET2_T3_PNSZ_IS14_E10value_typeET4_jRbjT5_S1A_jjP12ihipStream_tbEUljE_EEESV_SW_SX_S14_S18_S1A_T6_T7_T9_mT8_S1C_bDpT10_ENKUlT_T0_E_clISt17integral_constantIbLb1EES1O_IbLb0EEEEDaS1K_S1L_EUlS1K_E_NS1_11comp_targetILNS1_3genE8ELNS1_11target_archE1030ELNS1_3gpuE2ELNS1_3repE0EEENS1_30default_config_static_selectorELNS0_4arch9wavefront6targetE0EEEvSY_.has_indirect_call, 0
	.section	.AMDGPU.csdata,"",@progbits
; Kernel info:
; codeLenInByte = 4
; TotalNumSgprs: 0
; NumVgprs: 0
; ScratchSize: 0
; MemoryBound: 0
; FloatMode: 240
; IeeeMode: 1
; LDSByteSize: 0 bytes/workgroup (compile time only)
; SGPRBlocks: 0
; VGPRBlocks: 0
; NumSGPRsForWavesPerEU: 1
; NumVGPRsForWavesPerEU: 1
; Occupancy: 16
; WaveLimiterHint : 0
; COMPUTE_PGM_RSRC2:SCRATCH_EN: 0
; COMPUTE_PGM_RSRC2:USER_SGPR: 6
; COMPUTE_PGM_RSRC2:TRAP_HANDLER: 0
; COMPUTE_PGM_RSRC2:TGID_X_EN: 1
; COMPUTE_PGM_RSRC2:TGID_Y_EN: 0
; COMPUTE_PGM_RSRC2:TGID_Z_EN: 0
; COMPUTE_PGM_RSRC2:TIDIG_COMP_CNT: 0
	.section	.text._ZN7rocprim17ROCPRIM_400000_NS6detail17trampoline_kernelINS0_13select_configILj256ELj13ELNS0_17block_load_methodE3ELS4_3ELS4_3ELNS0_20block_scan_algorithmE0ELj4294967295EEENS1_25partition_config_selectorILNS1_17partition_subalgoE3EjNS0_10empty_typeEbEEZZNS1_14partition_implILS8_3ELb0ES6_jNS0_17counting_iteratorIjlEEPS9_SE_NS0_5tupleIJPjSE_EEENSF_IJSE_SE_EEES9_SG_JZNS1_25segmented_radix_sort_implINS0_14default_configELb1EPKsPsPKlPlN2at6native12_GLOBAL__N_18offset_tEEE10hipError_tPvRmT1_PNSt15iterator_traitsISY_E10value_typeET2_T3_PNSZ_IS14_E10value_typeET4_jRbjT5_S1A_jjP12ihipStream_tbEUljE_EEESV_SW_SX_S14_S18_S1A_T6_T7_T9_mT8_S1C_bDpT10_ENKUlT_T0_E_clISt17integral_constantIbLb0EES1O_IbLb1EEEEDaS1K_S1L_EUlS1K_E_NS1_11comp_targetILNS1_3genE0ELNS1_11target_archE4294967295ELNS1_3gpuE0ELNS1_3repE0EEENS1_30default_config_static_selectorELNS0_4arch9wavefront6targetE0EEEvSY_,"axG",@progbits,_ZN7rocprim17ROCPRIM_400000_NS6detail17trampoline_kernelINS0_13select_configILj256ELj13ELNS0_17block_load_methodE3ELS4_3ELS4_3ELNS0_20block_scan_algorithmE0ELj4294967295EEENS1_25partition_config_selectorILNS1_17partition_subalgoE3EjNS0_10empty_typeEbEEZZNS1_14partition_implILS8_3ELb0ES6_jNS0_17counting_iteratorIjlEEPS9_SE_NS0_5tupleIJPjSE_EEENSF_IJSE_SE_EEES9_SG_JZNS1_25segmented_radix_sort_implINS0_14default_configELb1EPKsPsPKlPlN2at6native12_GLOBAL__N_18offset_tEEE10hipError_tPvRmT1_PNSt15iterator_traitsISY_E10value_typeET2_T3_PNSZ_IS14_E10value_typeET4_jRbjT5_S1A_jjP12ihipStream_tbEUljE_EEESV_SW_SX_S14_S18_S1A_T6_T7_T9_mT8_S1C_bDpT10_ENKUlT_T0_E_clISt17integral_constantIbLb0EES1O_IbLb1EEEEDaS1K_S1L_EUlS1K_E_NS1_11comp_targetILNS1_3genE0ELNS1_11target_archE4294967295ELNS1_3gpuE0ELNS1_3repE0EEENS1_30default_config_static_selectorELNS0_4arch9wavefront6targetE0EEEvSY_,comdat
	.globl	_ZN7rocprim17ROCPRIM_400000_NS6detail17trampoline_kernelINS0_13select_configILj256ELj13ELNS0_17block_load_methodE3ELS4_3ELS4_3ELNS0_20block_scan_algorithmE0ELj4294967295EEENS1_25partition_config_selectorILNS1_17partition_subalgoE3EjNS0_10empty_typeEbEEZZNS1_14partition_implILS8_3ELb0ES6_jNS0_17counting_iteratorIjlEEPS9_SE_NS0_5tupleIJPjSE_EEENSF_IJSE_SE_EEES9_SG_JZNS1_25segmented_radix_sort_implINS0_14default_configELb1EPKsPsPKlPlN2at6native12_GLOBAL__N_18offset_tEEE10hipError_tPvRmT1_PNSt15iterator_traitsISY_E10value_typeET2_T3_PNSZ_IS14_E10value_typeET4_jRbjT5_S1A_jjP12ihipStream_tbEUljE_EEESV_SW_SX_S14_S18_S1A_T6_T7_T9_mT8_S1C_bDpT10_ENKUlT_T0_E_clISt17integral_constantIbLb0EES1O_IbLb1EEEEDaS1K_S1L_EUlS1K_E_NS1_11comp_targetILNS1_3genE0ELNS1_11target_archE4294967295ELNS1_3gpuE0ELNS1_3repE0EEENS1_30default_config_static_selectorELNS0_4arch9wavefront6targetE0EEEvSY_ ; -- Begin function _ZN7rocprim17ROCPRIM_400000_NS6detail17trampoline_kernelINS0_13select_configILj256ELj13ELNS0_17block_load_methodE3ELS4_3ELS4_3ELNS0_20block_scan_algorithmE0ELj4294967295EEENS1_25partition_config_selectorILNS1_17partition_subalgoE3EjNS0_10empty_typeEbEEZZNS1_14partition_implILS8_3ELb0ES6_jNS0_17counting_iteratorIjlEEPS9_SE_NS0_5tupleIJPjSE_EEENSF_IJSE_SE_EEES9_SG_JZNS1_25segmented_radix_sort_implINS0_14default_configELb1EPKsPsPKlPlN2at6native12_GLOBAL__N_18offset_tEEE10hipError_tPvRmT1_PNSt15iterator_traitsISY_E10value_typeET2_T3_PNSZ_IS14_E10value_typeET4_jRbjT5_S1A_jjP12ihipStream_tbEUljE_EEESV_SW_SX_S14_S18_S1A_T6_T7_T9_mT8_S1C_bDpT10_ENKUlT_T0_E_clISt17integral_constantIbLb0EES1O_IbLb1EEEEDaS1K_S1L_EUlS1K_E_NS1_11comp_targetILNS1_3genE0ELNS1_11target_archE4294967295ELNS1_3gpuE0ELNS1_3repE0EEENS1_30default_config_static_selectorELNS0_4arch9wavefront6targetE0EEEvSY_
	.p2align	8
	.type	_ZN7rocprim17ROCPRIM_400000_NS6detail17trampoline_kernelINS0_13select_configILj256ELj13ELNS0_17block_load_methodE3ELS4_3ELS4_3ELNS0_20block_scan_algorithmE0ELj4294967295EEENS1_25partition_config_selectorILNS1_17partition_subalgoE3EjNS0_10empty_typeEbEEZZNS1_14partition_implILS8_3ELb0ES6_jNS0_17counting_iteratorIjlEEPS9_SE_NS0_5tupleIJPjSE_EEENSF_IJSE_SE_EEES9_SG_JZNS1_25segmented_radix_sort_implINS0_14default_configELb1EPKsPsPKlPlN2at6native12_GLOBAL__N_18offset_tEEE10hipError_tPvRmT1_PNSt15iterator_traitsISY_E10value_typeET2_T3_PNSZ_IS14_E10value_typeET4_jRbjT5_S1A_jjP12ihipStream_tbEUljE_EEESV_SW_SX_S14_S18_S1A_T6_T7_T9_mT8_S1C_bDpT10_ENKUlT_T0_E_clISt17integral_constantIbLb0EES1O_IbLb1EEEEDaS1K_S1L_EUlS1K_E_NS1_11comp_targetILNS1_3genE0ELNS1_11target_archE4294967295ELNS1_3gpuE0ELNS1_3repE0EEENS1_30default_config_static_selectorELNS0_4arch9wavefront6targetE0EEEvSY_,@function
_ZN7rocprim17ROCPRIM_400000_NS6detail17trampoline_kernelINS0_13select_configILj256ELj13ELNS0_17block_load_methodE3ELS4_3ELS4_3ELNS0_20block_scan_algorithmE0ELj4294967295EEENS1_25partition_config_selectorILNS1_17partition_subalgoE3EjNS0_10empty_typeEbEEZZNS1_14partition_implILS8_3ELb0ES6_jNS0_17counting_iteratorIjlEEPS9_SE_NS0_5tupleIJPjSE_EEENSF_IJSE_SE_EEES9_SG_JZNS1_25segmented_radix_sort_implINS0_14default_configELb1EPKsPsPKlPlN2at6native12_GLOBAL__N_18offset_tEEE10hipError_tPvRmT1_PNSt15iterator_traitsISY_E10value_typeET2_T3_PNSZ_IS14_E10value_typeET4_jRbjT5_S1A_jjP12ihipStream_tbEUljE_EEESV_SW_SX_S14_S18_S1A_T6_T7_T9_mT8_S1C_bDpT10_ENKUlT_T0_E_clISt17integral_constantIbLb0EES1O_IbLb1EEEEDaS1K_S1L_EUlS1K_E_NS1_11comp_targetILNS1_3genE0ELNS1_11target_archE4294967295ELNS1_3gpuE0ELNS1_3repE0EEENS1_30default_config_static_selectorELNS0_4arch9wavefront6targetE0EEEvSY_: ; @_ZN7rocprim17ROCPRIM_400000_NS6detail17trampoline_kernelINS0_13select_configILj256ELj13ELNS0_17block_load_methodE3ELS4_3ELS4_3ELNS0_20block_scan_algorithmE0ELj4294967295EEENS1_25partition_config_selectorILNS1_17partition_subalgoE3EjNS0_10empty_typeEbEEZZNS1_14partition_implILS8_3ELb0ES6_jNS0_17counting_iteratorIjlEEPS9_SE_NS0_5tupleIJPjSE_EEENSF_IJSE_SE_EEES9_SG_JZNS1_25segmented_radix_sort_implINS0_14default_configELb1EPKsPsPKlPlN2at6native12_GLOBAL__N_18offset_tEEE10hipError_tPvRmT1_PNSt15iterator_traitsISY_E10value_typeET2_T3_PNSZ_IS14_E10value_typeET4_jRbjT5_S1A_jjP12ihipStream_tbEUljE_EEESV_SW_SX_S14_S18_S1A_T6_T7_T9_mT8_S1C_bDpT10_ENKUlT_T0_E_clISt17integral_constantIbLb0EES1O_IbLb1EEEEDaS1K_S1L_EUlS1K_E_NS1_11comp_targetILNS1_3genE0ELNS1_11target_archE4294967295ELNS1_3gpuE0ELNS1_3repE0EEENS1_30default_config_static_selectorELNS0_4arch9wavefront6targetE0EEEvSY_
; %bb.0:
	.section	.rodata,"a",@progbits
	.p2align	6, 0x0
	.amdhsa_kernel _ZN7rocprim17ROCPRIM_400000_NS6detail17trampoline_kernelINS0_13select_configILj256ELj13ELNS0_17block_load_methodE3ELS4_3ELS4_3ELNS0_20block_scan_algorithmE0ELj4294967295EEENS1_25partition_config_selectorILNS1_17partition_subalgoE3EjNS0_10empty_typeEbEEZZNS1_14partition_implILS8_3ELb0ES6_jNS0_17counting_iteratorIjlEEPS9_SE_NS0_5tupleIJPjSE_EEENSF_IJSE_SE_EEES9_SG_JZNS1_25segmented_radix_sort_implINS0_14default_configELb1EPKsPsPKlPlN2at6native12_GLOBAL__N_18offset_tEEE10hipError_tPvRmT1_PNSt15iterator_traitsISY_E10value_typeET2_T3_PNSZ_IS14_E10value_typeET4_jRbjT5_S1A_jjP12ihipStream_tbEUljE_EEESV_SW_SX_S14_S18_S1A_T6_T7_T9_mT8_S1C_bDpT10_ENKUlT_T0_E_clISt17integral_constantIbLb0EES1O_IbLb1EEEEDaS1K_S1L_EUlS1K_E_NS1_11comp_targetILNS1_3genE0ELNS1_11target_archE4294967295ELNS1_3gpuE0ELNS1_3repE0EEENS1_30default_config_static_selectorELNS0_4arch9wavefront6targetE0EEEvSY_
		.amdhsa_group_segment_fixed_size 0
		.amdhsa_private_segment_fixed_size 0
		.amdhsa_kernarg_size 152
		.amdhsa_user_sgpr_count 6
		.amdhsa_user_sgpr_private_segment_buffer 1
		.amdhsa_user_sgpr_dispatch_ptr 0
		.amdhsa_user_sgpr_queue_ptr 0
		.amdhsa_user_sgpr_kernarg_segment_ptr 1
		.amdhsa_user_sgpr_dispatch_id 0
		.amdhsa_user_sgpr_flat_scratch_init 0
		.amdhsa_user_sgpr_private_segment_size 0
		.amdhsa_wavefront_size32 1
		.amdhsa_uses_dynamic_stack 0
		.amdhsa_system_sgpr_private_segment_wavefront_offset 0
		.amdhsa_system_sgpr_workgroup_id_x 1
		.amdhsa_system_sgpr_workgroup_id_y 0
		.amdhsa_system_sgpr_workgroup_id_z 0
		.amdhsa_system_sgpr_workgroup_info 0
		.amdhsa_system_vgpr_workitem_id 0
		.amdhsa_next_free_vgpr 1
		.amdhsa_next_free_sgpr 1
		.amdhsa_reserve_vcc 0
		.amdhsa_reserve_flat_scratch 0
		.amdhsa_float_round_mode_32 0
		.amdhsa_float_round_mode_16_64 0
		.amdhsa_float_denorm_mode_32 3
		.amdhsa_float_denorm_mode_16_64 3
		.amdhsa_dx10_clamp 1
		.amdhsa_ieee_mode 1
		.amdhsa_fp16_overflow 0
		.amdhsa_workgroup_processor_mode 1
		.amdhsa_memory_ordered 1
		.amdhsa_forward_progress 1
		.amdhsa_shared_vgpr_count 0
		.amdhsa_exception_fp_ieee_invalid_op 0
		.amdhsa_exception_fp_denorm_src 0
		.amdhsa_exception_fp_ieee_div_zero 0
		.amdhsa_exception_fp_ieee_overflow 0
		.amdhsa_exception_fp_ieee_underflow 0
		.amdhsa_exception_fp_ieee_inexact 0
		.amdhsa_exception_int_div_zero 0
	.end_amdhsa_kernel
	.section	.text._ZN7rocprim17ROCPRIM_400000_NS6detail17trampoline_kernelINS0_13select_configILj256ELj13ELNS0_17block_load_methodE3ELS4_3ELS4_3ELNS0_20block_scan_algorithmE0ELj4294967295EEENS1_25partition_config_selectorILNS1_17partition_subalgoE3EjNS0_10empty_typeEbEEZZNS1_14partition_implILS8_3ELb0ES6_jNS0_17counting_iteratorIjlEEPS9_SE_NS0_5tupleIJPjSE_EEENSF_IJSE_SE_EEES9_SG_JZNS1_25segmented_radix_sort_implINS0_14default_configELb1EPKsPsPKlPlN2at6native12_GLOBAL__N_18offset_tEEE10hipError_tPvRmT1_PNSt15iterator_traitsISY_E10value_typeET2_T3_PNSZ_IS14_E10value_typeET4_jRbjT5_S1A_jjP12ihipStream_tbEUljE_EEESV_SW_SX_S14_S18_S1A_T6_T7_T9_mT8_S1C_bDpT10_ENKUlT_T0_E_clISt17integral_constantIbLb0EES1O_IbLb1EEEEDaS1K_S1L_EUlS1K_E_NS1_11comp_targetILNS1_3genE0ELNS1_11target_archE4294967295ELNS1_3gpuE0ELNS1_3repE0EEENS1_30default_config_static_selectorELNS0_4arch9wavefront6targetE0EEEvSY_,"axG",@progbits,_ZN7rocprim17ROCPRIM_400000_NS6detail17trampoline_kernelINS0_13select_configILj256ELj13ELNS0_17block_load_methodE3ELS4_3ELS4_3ELNS0_20block_scan_algorithmE0ELj4294967295EEENS1_25partition_config_selectorILNS1_17partition_subalgoE3EjNS0_10empty_typeEbEEZZNS1_14partition_implILS8_3ELb0ES6_jNS0_17counting_iteratorIjlEEPS9_SE_NS0_5tupleIJPjSE_EEENSF_IJSE_SE_EEES9_SG_JZNS1_25segmented_radix_sort_implINS0_14default_configELb1EPKsPsPKlPlN2at6native12_GLOBAL__N_18offset_tEEE10hipError_tPvRmT1_PNSt15iterator_traitsISY_E10value_typeET2_T3_PNSZ_IS14_E10value_typeET4_jRbjT5_S1A_jjP12ihipStream_tbEUljE_EEESV_SW_SX_S14_S18_S1A_T6_T7_T9_mT8_S1C_bDpT10_ENKUlT_T0_E_clISt17integral_constantIbLb0EES1O_IbLb1EEEEDaS1K_S1L_EUlS1K_E_NS1_11comp_targetILNS1_3genE0ELNS1_11target_archE4294967295ELNS1_3gpuE0ELNS1_3repE0EEENS1_30default_config_static_selectorELNS0_4arch9wavefront6targetE0EEEvSY_,comdat
.Lfunc_end897:
	.size	_ZN7rocprim17ROCPRIM_400000_NS6detail17trampoline_kernelINS0_13select_configILj256ELj13ELNS0_17block_load_methodE3ELS4_3ELS4_3ELNS0_20block_scan_algorithmE0ELj4294967295EEENS1_25partition_config_selectorILNS1_17partition_subalgoE3EjNS0_10empty_typeEbEEZZNS1_14partition_implILS8_3ELb0ES6_jNS0_17counting_iteratorIjlEEPS9_SE_NS0_5tupleIJPjSE_EEENSF_IJSE_SE_EEES9_SG_JZNS1_25segmented_radix_sort_implINS0_14default_configELb1EPKsPsPKlPlN2at6native12_GLOBAL__N_18offset_tEEE10hipError_tPvRmT1_PNSt15iterator_traitsISY_E10value_typeET2_T3_PNSZ_IS14_E10value_typeET4_jRbjT5_S1A_jjP12ihipStream_tbEUljE_EEESV_SW_SX_S14_S18_S1A_T6_T7_T9_mT8_S1C_bDpT10_ENKUlT_T0_E_clISt17integral_constantIbLb0EES1O_IbLb1EEEEDaS1K_S1L_EUlS1K_E_NS1_11comp_targetILNS1_3genE0ELNS1_11target_archE4294967295ELNS1_3gpuE0ELNS1_3repE0EEENS1_30default_config_static_selectorELNS0_4arch9wavefront6targetE0EEEvSY_, .Lfunc_end897-_ZN7rocprim17ROCPRIM_400000_NS6detail17trampoline_kernelINS0_13select_configILj256ELj13ELNS0_17block_load_methodE3ELS4_3ELS4_3ELNS0_20block_scan_algorithmE0ELj4294967295EEENS1_25partition_config_selectorILNS1_17partition_subalgoE3EjNS0_10empty_typeEbEEZZNS1_14partition_implILS8_3ELb0ES6_jNS0_17counting_iteratorIjlEEPS9_SE_NS0_5tupleIJPjSE_EEENSF_IJSE_SE_EEES9_SG_JZNS1_25segmented_radix_sort_implINS0_14default_configELb1EPKsPsPKlPlN2at6native12_GLOBAL__N_18offset_tEEE10hipError_tPvRmT1_PNSt15iterator_traitsISY_E10value_typeET2_T3_PNSZ_IS14_E10value_typeET4_jRbjT5_S1A_jjP12ihipStream_tbEUljE_EEESV_SW_SX_S14_S18_S1A_T6_T7_T9_mT8_S1C_bDpT10_ENKUlT_T0_E_clISt17integral_constantIbLb0EES1O_IbLb1EEEEDaS1K_S1L_EUlS1K_E_NS1_11comp_targetILNS1_3genE0ELNS1_11target_archE4294967295ELNS1_3gpuE0ELNS1_3repE0EEENS1_30default_config_static_selectorELNS0_4arch9wavefront6targetE0EEEvSY_
                                        ; -- End function
	.set _ZN7rocprim17ROCPRIM_400000_NS6detail17trampoline_kernelINS0_13select_configILj256ELj13ELNS0_17block_load_methodE3ELS4_3ELS4_3ELNS0_20block_scan_algorithmE0ELj4294967295EEENS1_25partition_config_selectorILNS1_17partition_subalgoE3EjNS0_10empty_typeEbEEZZNS1_14partition_implILS8_3ELb0ES6_jNS0_17counting_iteratorIjlEEPS9_SE_NS0_5tupleIJPjSE_EEENSF_IJSE_SE_EEES9_SG_JZNS1_25segmented_radix_sort_implINS0_14default_configELb1EPKsPsPKlPlN2at6native12_GLOBAL__N_18offset_tEEE10hipError_tPvRmT1_PNSt15iterator_traitsISY_E10value_typeET2_T3_PNSZ_IS14_E10value_typeET4_jRbjT5_S1A_jjP12ihipStream_tbEUljE_EEESV_SW_SX_S14_S18_S1A_T6_T7_T9_mT8_S1C_bDpT10_ENKUlT_T0_E_clISt17integral_constantIbLb0EES1O_IbLb1EEEEDaS1K_S1L_EUlS1K_E_NS1_11comp_targetILNS1_3genE0ELNS1_11target_archE4294967295ELNS1_3gpuE0ELNS1_3repE0EEENS1_30default_config_static_selectorELNS0_4arch9wavefront6targetE0EEEvSY_.num_vgpr, 0
	.set _ZN7rocprim17ROCPRIM_400000_NS6detail17trampoline_kernelINS0_13select_configILj256ELj13ELNS0_17block_load_methodE3ELS4_3ELS4_3ELNS0_20block_scan_algorithmE0ELj4294967295EEENS1_25partition_config_selectorILNS1_17partition_subalgoE3EjNS0_10empty_typeEbEEZZNS1_14partition_implILS8_3ELb0ES6_jNS0_17counting_iteratorIjlEEPS9_SE_NS0_5tupleIJPjSE_EEENSF_IJSE_SE_EEES9_SG_JZNS1_25segmented_radix_sort_implINS0_14default_configELb1EPKsPsPKlPlN2at6native12_GLOBAL__N_18offset_tEEE10hipError_tPvRmT1_PNSt15iterator_traitsISY_E10value_typeET2_T3_PNSZ_IS14_E10value_typeET4_jRbjT5_S1A_jjP12ihipStream_tbEUljE_EEESV_SW_SX_S14_S18_S1A_T6_T7_T9_mT8_S1C_bDpT10_ENKUlT_T0_E_clISt17integral_constantIbLb0EES1O_IbLb1EEEEDaS1K_S1L_EUlS1K_E_NS1_11comp_targetILNS1_3genE0ELNS1_11target_archE4294967295ELNS1_3gpuE0ELNS1_3repE0EEENS1_30default_config_static_selectorELNS0_4arch9wavefront6targetE0EEEvSY_.num_agpr, 0
	.set _ZN7rocprim17ROCPRIM_400000_NS6detail17trampoline_kernelINS0_13select_configILj256ELj13ELNS0_17block_load_methodE3ELS4_3ELS4_3ELNS0_20block_scan_algorithmE0ELj4294967295EEENS1_25partition_config_selectorILNS1_17partition_subalgoE3EjNS0_10empty_typeEbEEZZNS1_14partition_implILS8_3ELb0ES6_jNS0_17counting_iteratorIjlEEPS9_SE_NS0_5tupleIJPjSE_EEENSF_IJSE_SE_EEES9_SG_JZNS1_25segmented_radix_sort_implINS0_14default_configELb1EPKsPsPKlPlN2at6native12_GLOBAL__N_18offset_tEEE10hipError_tPvRmT1_PNSt15iterator_traitsISY_E10value_typeET2_T3_PNSZ_IS14_E10value_typeET4_jRbjT5_S1A_jjP12ihipStream_tbEUljE_EEESV_SW_SX_S14_S18_S1A_T6_T7_T9_mT8_S1C_bDpT10_ENKUlT_T0_E_clISt17integral_constantIbLb0EES1O_IbLb1EEEEDaS1K_S1L_EUlS1K_E_NS1_11comp_targetILNS1_3genE0ELNS1_11target_archE4294967295ELNS1_3gpuE0ELNS1_3repE0EEENS1_30default_config_static_selectorELNS0_4arch9wavefront6targetE0EEEvSY_.numbered_sgpr, 0
	.set _ZN7rocprim17ROCPRIM_400000_NS6detail17trampoline_kernelINS0_13select_configILj256ELj13ELNS0_17block_load_methodE3ELS4_3ELS4_3ELNS0_20block_scan_algorithmE0ELj4294967295EEENS1_25partition_config_selectorILNS1_17partition_subalgoE3EjNS0_10empty_typeEbEEZZNS1_14partition_implILS8_3ELb0ES6_jNS0_17counting_iteratorIjlEEPS9_SE_NS0_5tupleIJPjSE_EEENSF_IJSE_SE_EEES9_SG_JZNS1_25segmented_radix_sort_implINS0_14default_configELb1EPKsPsPKlPlN2at6native12_GLOBAL__N_18offset_tEEE10hipError_tPvRmT1_PNSt15iterator_traitsISY_E10value_typeET2_T3_PNSZ_IS14_E10value_typeET4_jRbjT5_S1A_jjP12ihipStream_tbEUljE_EEESV_SW_SX_S14_S18_S1A_T6_T7_T9_mT8_S1C_bDpT10_ENKUlT_T0_E_clISt17integral_constantIbLb0EES1O_IbLb1EEEEDaS1K_S1L_EUlS1K_E_NS1_11comp_targetILNS1_3genE0ELNS1_11target_archE4294967295ELNS1_3gpuE0ELNS1_3repE0EEENS1_30default_config_static_selectorELNS0_4arch9wavefront6targetE0EEEvSY_.num_named_barrier, 0
	.set _ZN7rocprim17ROCPRIM_400000_NS6detail17trampoline_kernelINS0_13select_configILj256ELj13ELNS0_17block_load_methodE3ELS4_3ELS4_3ELNS0_20block_scan_algorithmE0ELj4294967295EEENS1_25partition_config_selectorILNS1_17partition_subalgoE3EjNS0_10empty_typeEbEEZZNS1_14partition_implILS8_3ELb0ES6_jNS0_17counting_iteratorIjlEEPS9_SE_NS0_5tupleIJPjSE_EEENSF_IJSE_SE_EEES9_SG_JZNS1_25segmented_radix_sort_implINS0_14default_configELb1EPKsPsPKlPlN2at6native12_GLOBAL__N_18offset_tEEE10hipError_tPvRmT1_PNSt15iterator_traitsISY_E10value_typeET2_T3_PNSZ_IS14_E10value_typeET4_jRbjT5_S1A_jjP12ihipStream_tbEUljE_EEESV_SW_SX_S14_S18_S1A_T6_T7_T9_mT8_S1C_bDpT10_ENKUlT_T0_E_clISt17integral_constantIbLb0EES1O_IbLb1EEEEDaS1K_S1L_EUlS1K_E_NS1_11comp_targetILNS1_3genE0ELNS1_11target_archE4294967295ELNS1_3gpuE0ELNS1_3repE0EEENS1_30default_config_static_selectorELNS0_4arch9wavefront6targetE0EEEvSY_.private_seg_size, 0
	.set _ZN7rocprim17ROCPRIM_400000_NS6detail17trampoline_kernelINS0_13select_configILj256ELj13ELNS0_17block_load_methodE3ELS4_3ELS4_3ELNS0_20block_scan_algorithmE0ELj4294967295EEENS1_25partition_config_selectorILNS1_17partition_subalgoE3EjNS0_10empty_typeEbEEZZNS1_14partition_implILS8_3ELb0ES6_jNS0_17counting_iteratorIjlEEPS9_SE_NS0_5tupleIJPjSE_EEENSF_IJSE_SE_EEES9_SG_JZNS1_25segmented_radix_sort_implINS0_14default_configELb1EPKsPsPKlPlN2at6native12_GLOBAL__N_18offset_tEEE10hipError_tPvRmT1_PNSt15iterator_traitsISY_E10value_typeET2_T3_PNSZ_IS14_E10value_typeET4_jRbjT5_S1A_jjP12ihipStream_tbEUljE_EEESV_SW_SX_S14_S18_S1A_T6_T7_T9_mT8_S1C_bDpT10_ENKUlT_T0_E_clISt17integral_constantIbLb0EES1O_IbLb1EEEEDaS1K_S1L_EUlS1K_E_NS1_11comp_targetILNS1_3genE0ELNS1_11target_archE4294967295ELNS1_3gpuE0ELNS1_3repE0EEENS1_30default_config_static_selectorELNS0_4arch9wavefront6targetE0EEEvSY_.uses_vcc, 0
	.set _ZN7rocprim17ROCPRIM_400000_NS6detail17trampoline_kernelINS0_13select_configILj256ELj13ELNS0_17block_load_methodE3ELS4_3ELS4_3ELNS0_20block_scan_algorithmE0ELj4294967295EEENS1_25partition_config_selectorILNS1_17partition_subalgoE3EjNS0_10empty_typeEbEEZZNS1_14partition_implILS8_3ELb0ES6_jNS0_17counting_iteratorIjlEEPS9_SE_NS0_5tupleIJPjSE_EEENSF_IJSE_SE_EEES9_SG_JZNS1_25segmented_radix_sort_implINS0_14default_configELb1EPKsPsPKlPlN2at6native12_GLOBAL__N_18offset_tEEE10hipError_tPvRmT1_PNSt15iterator_traitsISY_E10value_typeET2_T3_PNSZ_IS14_E10value_typeET4_jRbjT5_S1A_jjP12ihipStream_tbEUljE_EEESV_SW_SX_S14_S18_S1A_T6_T7_T9_mT8_S1C_bDpT10_ENKUlT_T0_E_clISt17integral_constantIbLb0EES1O_IbLb1EEEEDaS1K_S1L_EUlS1K_E_NS1_11comp_targetILNS1_3genE0ELNS1_11target_archE4294967295ELNS1_3gpuE0ELNS1_3repE0EEENS1_30default_config_static_selectorELNS0_4arch9wavefront6targetE0EEEvSY_.uses_flat_scratch, 0
	.set _ZN7rocprim17ROCPRIM_400000_NS6detail17trampoline_kernelINS0_13select_configILj256ELj13ELNS0_17block_load_methodE3ELS4_3ELS4_3ELNS0_20block_scan_algorithmE0ELj4294967295EEENS1_25partition_config_selectorILNS1_17partition_subalgoE3EjNS0_10empty_typeEbEEZZNS1_14partition_implILS8_3ELb0ES6_jNS0_17counting_iteratorIjlEEPS9_SE_NS0_5tupleIJPjSE_EEENSF_IJSE_SE_EEES9_SG_JZNS1_25segmented_radix_sort_implINS0_14default_configELb1EPKsPsPKlPlN2at6native12_GLOBAL__N_18offset_tEEE10hipError_tPvRmT1_PNSt15iterator_traitsISY_E10value_typeET2_T3_PNSZ_IS14_E10value_typeET4_jRbjT5_S1A_jjP12ihipStream_tbEUljE_EEESV_SW_SX_S14_S18_S1A_T6_T7_T9_mT8_S1C_bDpT10_ENKUlT_T0_E_clISt17integral_constantIbLb0EES1O_IbLb1EEEEDaS1K_S1L_EUlS1K_E_NS1_11comp_targetILNS1_3genE0ELNS1_11target_archE4294967295ELNS1_3gpuE0ELNS1_3repE0EEENS1_30default_config_static_selectorELNS0_4arch9wavefront6targetE0EEEvSY_.has_dyn_sized_stack, 0
	.set _ZN7rocprim17ROCPRIM_400000_NS6detail17trampoline_kernelINS0_13select_configILj256ELj13ELNS0_17block_load_methodE3ELS4_3ELS4_3ELNS0_20block_scan_algorithmE0ELj4294967295EEENS1_25partition_config_selectorILNS1_17partition_subalgoE3EjNS0_10empty_typeEbEEZZNS1_14partition_implILS8_3ELb0ES6_jNS0_17counting_iteratorIjlEEPS9_SE_NS0_5tupleIJPjSE_EEENSF_IJSE_SE_EEES9_SG_JZNS1_25segmented_radix_sort_implINS0_14default_configELb1EPKsPsPKlPlN2at6native12_GLOBAL__N_18offset_tEEE10hipError_tPvRmT1_PNSt15iterator_traitsISY_E10value_typeET2_T3_PNSZ_IS14_E10value_typeET4_jRbjT5_S1A_jjP12ihipStream_tbEUljE_EEESV_SW_SX_S14_S18_S1A_T6_T7_T9_mT8_S1C_bDpT10_ENKUlT_T0_E_clISt17integral_constantIbLb0EES1O_IbLb1EEEEDaS1K_S1L_EUlS1K_E_NS1_11comp_targetILNS1_3genE0ELNS1_11target_archE4294967295ELNS1_3gpuE0ELNS1_3repE0EEENS1_30default_config_static_selectorELNS0_4arch9wavefront6targetE0EEEvSY_.has_recursion, 0
	.set _ZN7rocprim17ROCPRIM_400000_NS6detail17trampoline_kernelINS0_13select_configILj256ELj13ELNS0_17block_load_methodE3ELS4_3ELS4_3ELNS0_20block_scan_algorithmE0ELj4294967295EEENS1_25partition_config_selectorILNS1_17partition_subalgoE3EjNS0_10empty_typeEbEEZZNS1_14partition_implILS8_3ELb0ES6_jNS0_17counting_iteratorIjlEEPS9_SE_NS0_5tupleIJPjSE_EEENSF_IJSE_SE_EEES9_SG_JZNS1_25segmented_radix_sort_implINS0_14default_configELb1EPKsPsPKlPlN2at6native12_GLOBAL__N_18offset_tEEE10hipError_tPvRmT1_PNSt15iterator_traitsISY_E10value_typeET2_T3_PNSZ_IS14_E10value_typeET4_jRbjT5_S1A_jjP12ihipStream_tbEUljE_EEESV_SW_SX_S14_S18_S1A_T6_T7_T9_mT8_S1C_bDpT10_ENKUlT_T0_E_clISt17integral_constantIbLb0EES1O_IbLb1EEEEDaS1K_S1L_EUlS1K_E_NS1_11comp_targetILNS1_3genE0ELNS1_11target_archE4294967295ELNS1_3gpuE0ELNS1_3repE0EEENS1_30default_config_static_selectorELNS0_4arch9wavefront6targetE0EEEvSY_.has_indirect_call, 0
	.section	.AMDGPU.csdata,"",@progbits
; Kernel info:
; codeLenInByte = 0
; TotalNumSgprs: 0
; NumVgprs: 0
; ScratchSize: 0
; MemoryBound: 0
; FloatMode: 240
; IeeeMode: 1
; LDSByteSize: 0 bytes/workgroup (compile time only)
; SGPRBlocks: 0
; VGPRBlocks: 0
; NumSGPRsForWavesPerEU: 1
; NumVGPRsForWavesPerEU: 1
; Occupancy: 16
; WaveLimiterHint : 0
; COMPUTE_PGM_RSRC2:SCRATCH_EN: 0
; COMPUTE_PGM_RSRC2:USER_SGPR: 6
; COMPUTE_PGM_RSRC2:TRAP_HANDLER: 0
; COMPUTE_PGM_RSRC2:TGID_X_EN: 1
; COMPUTE_PGM_RSRC2:TGID_Y_EN: 0
; COMPUTE_PGM_RSRC2:TGID_Z_EN: 0
; COMPUTE_PGM_RSRC2:TIDIG_COMP_CNT: 0
	.section	.text._ZN7rocprim17ROCPRIM_400000_NS6detail17trampoline_kernelINS0_13select_configILj256ELj13ELNS0_17block_load_methodE3ELS4_3ELS4_3ELNS0_20block_scan_algorithmE0ELj4294967295EEENS1_25partition_config_selectorILNS1_17partition_subalgoE3EjNS0_10empty_typeEbEEZZNS1_14partition_implILS8_3ELb0ES6_jNS0_17counting_iteratorIjlEEPS9_SE_NS0_5tupleIJPjSE_EEENSF_IJSE_SE_EEES9_SG_JZNS1_25segmented_radix_sort_implINS0_14default_configELb1EPKsPsPKlPlN2at6native12_GLOBAL__N_18offset_tEEE10hipError_tPvRmT1_PNSt15iterator_traitsISY_E10value_typeET2_T3_PNSZ_IS14_E10value_typeET4_jRbjT5_S1A_jjP12ihipStream_tbEUljE_EEESV_SW_SX_S14_S18_S1A_T6_T7_T9_mT8_S1C_bDpT10_ENKUlT_T0_E_clISt17integral_constantIbLb0EES1O_IbLb1EEEEDaS1K_S1L_EUlS1K_E_NS1_11comp_targetILNS1_3genE5ELNS1_11target_archE942ELNS1_3gpuE9ELNS1_3repE0EEENS1_30default_config_static_selectorELNS0_4arch9wavefront6targetE0EEEvSY_,"axG",@progbits,_ZN7rocprim17ROCPRIM_400000_NS6detail17trampoline_kernelINS0_13select_configILj256ELj13ELNS0_17block_load_methodE3ELS4_3ELS4_3ELNS0_20block_scan_algorithmE0ELj4294967295EEENS1_25partition_config_selectorILNS1_17partition_subalgoE3EjNS0_10empty_typeEbEEZZNS1_14partition_implILS8_3ELb0ES6_jNS0_17counting_iteratorIjlEEPS9_SE_NS0_5tupleIJPjSE_EEENSF_IJSE_SE_EEES9_SG_JZNS1_25segmented_radix_sort_implINS0_14default_configELb1EPKsPsPKlPlN2at6native12_GLOBAL__N_18offset_tEEE10hipError_tPvRmT1_PNSt15iterator_traitsISY_E10value_typeET2_T3_PNSZ_IS14_E10value_typeET4_jRbjT5_S1A_jjP12ihipStream_tbEUljE_EEESV_SW_SX_S14_S18_S1A_T6_T7_T9_mT8_S1C_bDpT10_ENKUlT_T0_E_clISt17integral_constantIbLb0EES1O_IbLb1EEEEDaS1K_S1L_EUlS1K_E_NS1_11comp_targetILNS1_3genE5ELNS1_11target_archE942ELNS1_3gpuE9ELNS1_3repE0EEENS1_30default_config_static_selectorELNS0_4arch9wavefront6targetE0EEEvSY_,comdat
	.globl	_ZN7rocprim17ROCPRIM_400000_NS6detail17trampoline_kernelINS0_13select_configILj256ELj13ELNS0_17block_load_methodE3ELS4_3ELS4_3ELNS0_20block_scan_algorithmE0ELj4294967295EEENS1_25partition_config_selectorILNS1_17partition_subalgoE3EjNS0_10empty_typeEbEEZZNS1_14partition_implILS8_3ELb0ES6_jNS0_17counting_iteratorIjlEEPS9_SE_NS0_5tupleIJPjSE_EEENSF_IJSE_SE_EEES9_SG_JZNS1_25segmented_radix_sort_implINS0_14default_configELb1EPKsPsPKlPlN2at6native12_GLOBAL__N_18offset_tEEE10hipError_tPvRmT1_PNSt15iterator_traitsISY_E10value_typeET2_T3_PNSZ_IS14_E10value_typeET4_jRbjT5_S1A_jjP12ihipStream_tbEUljE_EEESV_SW_SX_S14_S18_S1A_T6_T7_T9_mT8_S1C_bDpT10_ENKUlT_T0_E_clISt17integral_constantIbLb0EES1O_IbLb1EEEEDaS1K_S1L_EUlS1K_E_NS1_11comp_targetILNS1_3genE5ELNS1_11target_archE942ELNS1_3gpuE9ELNS1_3repE0EEENS1_30default_config_static_selectorELNS0_4arch9wavefront6targetE0EEEvSY_ ; -- Begin function _ZN7rocprim17ROCPRIM_400000_NS6detail17trampoline_kernelINS0_13select_configILj256ELj13ELNS0_17block_load_methodE3ELS4_3ELS4_3ELNS0_20block_scan_algorithmE0ELj4294967295EEENS1_25partition_config_selectorILNS1_17partition_subalgoE3EjNS0_10empty_typeEbEEZZNS1_14partition_implILS8_3ELb0ES6_jNS0_17counting_iteratorIjlEEPS9_SE_NS0_5tupleIJPjSE_EEENSF_IJSE_SE_EEES9_SG_JZNS1_25segmented_radix_sort_implINS0_14default_configELb1EPKsPsPKlPlN2at6native12_GLOBAL__N_18offset_tEEE10hipError_tPvRmT1_PNSt15iterator_traitsISY_E10value_typeET2_T3_PNSZ_IS14_E10value_typeET4_jRbjT5_S1A_jjP12ihipStream_tbEUljE_EEESV_SW_SX_S14_S18_S1A_T6_T7_T9_mT8_S1C_bDpT10_ENKUlT_T0_E_clISt17integral_constantIbLb0EES1O_IbLb1EEEEDaS1K_S1L_EUlS1K_E_NS1_11comp_targetILNS1_3genE5ELNS1_11target_archE942ELNS1_3gpuE9ELNS1_3repE0EEENS1_30default_config_static_selectorELNS0_4arch9wavefront6targetE0EEEvSY_
	.p2align	8
	.type	_ZN7rocprim17ROCPRIM_400000_NS6detail17trampoline_kernelINS0_13select_configILj256ELj13ELNS0_17block_load_methodE3ELS4_3ELS4_3ELNS0_20block_scan_algorithmE0ELj4294967295EEENS1_25partition_config_selectorILNS1_17partition_subalgoE3EjNS0_10empty_typeEbEEZZNS1_14partition_implILS8_3ELb0ES6_jNS0_17counting_iteratorIjlEEPS9_SE_NS0_5tupleIJPjSE_EEENSF_IJSE_SE_EEES9_SG_JZNS1_25segmented_radix_sort_implINS0_14default_configELb1EPKsPsPKlPlN2at6native12_GLOBAL__N_18offset_tEEE10hipError_tPvRmT1_PNSt15iterator_traitsISY_E10value_typeET2_T3_PNSZ_IS14_E10value_typeET4_jRbjT5_S1A_jjP12ihipStream_tbEUljE_EEESV_SW_SX_S14_S18_S1A_T6_T7_T9_mT8_S1C_bDpT10_ENKUlT_T0_E_clISt17integral_constantIbLb0EES1O_IbLb1EEEEDaS1K_S1L_EUlS1K_E_NS1_11comp_targetILNS1_3genE5ELNS1_11target_archE942ELNS1_3gpuE9ELNS1_3repE0EEENS1_30default_config_static_selectorELNS0_4arch9wavefront6targetE0EEEvSY_,@function
_ZN7rocprim17ROCPRIM_400000_NS6detail17trampoline_kernelINS0_13select_configILj256ELj13ELNS0_17block_load_methodE3ELS4_3ELS4_3ELNS0_20block_scan_algorithmE0ELj4294967295EEENS1_25partition_config_selectorILNS1_17partition_subalgoE3EjNS0_10empty_typeEbEEZZNS1_14partition_implILS8_3ELb0ES6_jNS0_17counting_iteratorIjlEEPS9_SE_NS0_5tupleIJPjSE_EEENSF_IJSE_SE_EEES9_SG_JZNS1_25segmented_radix_sort_implINS0_14default_configELb1EPKsPsPKlPlN2at6native12_GLOBAL__N_18offset_tEEE10hipError_tPvRmT1_PNSt15iterator_traitsISY_E10value_typeET2_T3_PNSZ_IS14_E10value_typeET4_jRbjT5_S1A_jjP12ihipStream_tbEUljE_EEESV_SW_SX_S14_S18_S1A_T6_T7_T9_mT8_S1C_bDpT10_ENKUlT_T0_E_clISt17integral_constantIbLb0EES1O_IbLb1EEEEDaS1K_S1L_EUlS1K_E_NS1_11comp_targetILNS1_3genE5ELNS1_11target_archE942ELNS1_3gpuE9ELNS1_3repE0EEENS1_30default_config_static_selectorELNS0_4arch9wavefront6targetE0EEEvSY_: ; @_ZN7rocprim17ROCPRIM_400000_NS6detail17trampoline_kernelINS0_13select_configILj256ELj13ELNS0_17block_load_methodE3ELS4_3ELS4_3ELNS0_20block_scan_algorithmE0ELj4294967295EEENS1_25partition_config_selectorILNS1_17partition_subalgoE3EjNS0_10empty_typeEbEEZZNS1_14partition_implILS8_3ELb0ES6_jNS0_17counting_iteratorIjlEEPS9_SE_NS0_5tupleIJPjSE_EEENSF_IJSE_SE_EEES9_SG_JZNS1_25segmented_radix_sort_implINS0_14default_configELb1EPKsPsPKlPlN2at6native12_GLOBAL__N_18offset_tEEE10hipError_tPvRmT1_PNSt15iterator_traitsISY_E10value_typeET2_T3_PNSZ_IS14_E10value_typeET4_jRbjT5_S1A_jjP12ihipStream_tbEUljE_EEESV_SW_SX_S14_S18_S1A_T6_T7_T9_mT8_S1C_bDpT10_ENKUlT_T0_E_clISt17integral_constantIbLb0EES1O_IbLb1EEEEDaS1K_S1L_EUlS1K_E_NS1_11comp_targetILNS1_3genE5ELNS1_11target_archE942ELNS1_3gpuE9ELNS1_3repE0EEENS1_30default_config_static_selectorELNS0_4arch9wavefront6targetE0EEEvSY_
; %bb.0:
	.section	.rodata,"a",@progbits
	.p2align	6, 0x0
	.amdhsa_kernel _ZN7rocprim17ROCPRIM_400000_NS6detail17trampoline_kernelINS0_13select_configILj256ELj13ELNS0_17block_load_methodE3ELS4_3ELS4_3ELNS0_20block_scan_algorithmE0ELj4294967295EEENS1_25partition_config_selectorILNS1_17partition_subalgoE3EjNS0_10empty_typeEbEEZZNS1_14partition_implILS8_3ELb0ES6_jNS0_17counting_iteratorIjlEEPS9_SE_NS0_5tupleIJPjSE_EEENSF_IJSE_SE_EEES9_SG_JZNS1_25segmented_radix_sort_implINS0_14default_configELb1EPKsPsPKlPlN2at6native12_GLOBAL__N_18offset_tEEE10hipError_tPvRmT1_PNSt15iterator_traitsISY_E10value_typeET2_T3_PNSZ_IS14_E10value_typeET4_jRbjT5_S1A_jjP12ihipStream_tbEUljE_EEESV_SW_SX_S14_S18_S1A_T6_T7_T9_mT8_S1C_bDpT10_ENKUlT_T0_E_clISt17integral_constantIbLb0EES1O_IbLb1EEEEDaS1K_S1L_EUlS1K_E_NS1_11comp_targetILNS1_3genE5ELNS1_11target_archE942ELNS1_3gpuE9ELNS1_3repE0EEENS1_30default_config_static_selectorELNS0_4arch9wavefront6targetE0EEEvSY_
		.amdhsa_group_segment_fixed_size 0
		.amdhsa_private_segment_fixed_size 0
		.amdhsa_kernarg_size 152
		.amdhsa_user_sgpr_count 6
		.amdhsa_user_sgpr_private_segment_buffer 1
		.amdhsa_user_sgpr_dispatch_ptr 0
		.amdhsa_user_sgpr_queue_ptr 0
		.amdhsa_user_sgpr_kernarg_segment_ptr 1
		.amdhsa_user_sgpr_dispatch_id 0
		.amdhsa_user_sgpr_flat_scratch_init 0
		.amdhsa_user_sgpr_private_segment_size 0
		.amdhsa_wavefront_size32 1
		.amdhsa_uses_dynamic_stack 0
		.amdhsa_system_sgpr_private_segment_wavefront_offset 0
		.amdhsa_system_sgpr_workgroup_id_x 1
		.amdhsa_system_sgpr_workgroup_id_y 0
		.amdhsa_system_sgpr_workgroup_id_z 0
		.amdhsa_system_sgpr_workgroup_info 0
		.amdhsa_system_vgpr_workitem_id 0
		.amdhsa_next_free_vgpr 1
		.amdhsa_next_free_sgpr 1
		.amdhsa_reserve_vcc 0
		.amdhsa_reserve_flat_scratch 0
		.amdhsa_float_round_mode_32 0
		.amdhsa_float_round_mode_16_64 0
		.amdhsa_float_denorm_mode_32 3
		.amdhsa_float_denorm_mode_16_64 3
		.amdhsa_dx10_clamp 1
		.amdhsa_ieee_mode 1
		.amdhsa_fp16_overflow 0
		.amdhsa_workgroup_processor_mode 1
		.amdhsa_memory_ordered 1
		.amdhsa_forward_progress 1
		.amdhsa_shared_vgpr_count 0
		.amdhsa_exception_fp_ieee_invalid_op 0
		.amdhsa_exception_fp_denorm_src 0
		.amdhsa_exception_fp_ieee_div_zero 0
		.amdhsa_exception_fp_ieee_overflow 0
		.amdhsa_exception_fp_ieee_underflow 0
		.amdhsa_exception_fp_ieee_inexact 0
		.amdhsa_exception_int_div_zero 0
	.end_amdhsa_kernel
	.section	.text._ZN7rocprim17ROCPRIM_400000_NS6detail17trampoline_kernelINS0_13select_configILj256ELj13ELNS0_17block_load_methodE3ELS4_3ELS4_3ELNS0_20block_scan_algorithmE0ELj4294967295EEENS1_25partition_config_selectorILNS1_17partition_subalgoE3EjNS0_10empty_typeEbEEZZNS1_14partition_implILS8_3ELb0ES6_jNS0_17counting_iteratorIjlEEPS9_SE_NS0_5tupleIJPjSE_EEENSF_IJSE_SE_EEES9_SG_JZNS1_25segmented_radix_sort_implINS0_14default_configELb1EPKsPsPKlPlN2at6native12_GLOBAL__N_18offset_tEEE10hipError_tPvRmT1_PNSt15iterator_traitsISY_E10value_typeET2_T3_PNSZ_IS14_E10value_typeET4_jRbjT5_S1A_jjP12ihipStream_tbEUljE_EEESV_SW_SX_S14_S18_S1A_T6_T7_T9_mT8_S1C_bDpT10_ENKUlT_T0_E_clISt17integral_constantIbLb0EES1O_IbLb1EEEEDaS1K_S1L_EUlS1K_E_NS1_11comp_targetILNS1_3genE5ELNS1_11target_archE942ELNS1_3gpuE9ELNS1_3repE0EEENS1_30default_config_static_selectorELNS0_4arch9wavefront6targetE0EEEvSY_,"axG",@progbits,_ZN7rocprim17ROCPRIM_400000_NS6detail17trampoline_kernelINS0_13select_configILj256ELj13ELNS0_17block_load_methodE3ELS4_3ELS4_3ELNS0_20block_scan_algorithmE0ELj4294967295EEENS1_25partition_config_selectorILNS1_17partition_subalgoE3EjNS0_10empty_typeEbEEZZNS1_14partition_implILS8_3ELb0ES6_jNS0_17counting_iteratorIjlEEPS9_SE_NS0_5tupleIJPjSE_EEENSF_IJSE_SE_EEES9_SG_JZNS1_25segmented_radix_sort_implINS0_14default_configELb1EPKsPsPKlPlN2at6native12_GLOBAL__N_18offset_tEEE10hipError_tPvRmT1_PNSt15iterator_traitsISY_E10value_typeET2_T3_PNSZ_IS14_E10value_typeET4_jRbjT5_S1A_jjP12ihipStream_tbEUljE_EEESV_SW_SX_S14_S18_S1A_T6_T7_T9_mT8_S1C_bDpT10_ENKUlT_T0_E_clISt17integral_constantIbLb0EES1O_IbLb1EEEEDaS1K_S1L_EUlS1K_E_NS1_11comp_targetILNS1_3genE5ELNS1_11target_archE942ELNS1_3gpuE9ELNS1_3repE0EEENS1_30default_config_static_selectorELNS0_4arch9wavefront6targetE0EEEvSY_,comdat
.Lfunc_end898:
	.size	_ZN7rocprim17ROCPRIM_400000_NS6detail17trampoline_kernelINS0_13select_configILj256ELj13ELNS0_17block_load_methodE3ELS4_3ELS4_3ELNS0_20block_scan_algorithmE0ELj4294967295EEENS1_25partition_config_selectorILNS1_17partition_subalgoE3EjNS0_10empty_typeEbEEZZNS1_14partition_implILS8_3ELb0ES6_jNS0_17counting_iteratorIjlEEPS9_SE_NS0_5tupleIJPjSE_EEENSF_IJSE_SE_EEES9_SG_JZNS1_25segmented_radix_sort_implINS0_14default_configELb1EPKsPsPKlPlN2at6native12_GLOBAL__N_18offset_tEEE10hipError_tPvRmT1_PNSt15iterator_traitsISY_E10value_typeET2_T3_PNSZ_IS14_E10value_typeET4_jRbjT5_S1A_jjP12ihipStream_tbEUljE_EEESV_SW_SX_S14_S18_S1A_T6_T7_T9_mT8_S1C_bDpT10_ENKUlT_T0_E_clISt17integral_constantIbLb0EES1O_IbLb1EEEEDaS1K_S1L_EUlS1K_E_NS1_11comp_targetILNS1_3genE5ELNS1_11target_archE942ELNS1_3gpuE9ELNS1_3repE0EEENS1_30default_config_static_selectorELNS0_4arch9wavefront6targetE0EEEvSY_, .Lfunc_end898-_ZN7rocprim17ROCPRIM_400000_NS6detail17trampoline_kernelINS0_13select_configILj256ELj13ELNS0_17block_load_methodE3ELS4_3ELS4_3ELNS0_20block_scan_algorithmE0ELj4294967295EEENS1_25partition_config_selectorILNS1_17partition_subalgoE3EjNS0_10empty_typeEbEEZZNS1_14partition_implILS8_3ELb0ES6_jNS0_17counting_iteratorIjlEEPS9_SE_NS0_5tupleIJPjSE_EEENSF_IJSE_SE_EEES9_SG_JZNS1_25segmented_radix_sort_implINS0_14default_configELb1EPKsPsPKlPlN2at6native12_GLOBAL__N_18offset_tEEE10hipError_tPvRmT1_PNSt15iterator_traitsISY_E10value_typeET2_T3_PNSZ_IS14_E10value_typeET4_jRbjT5_S1A_jjP12ihipStream_tbEUljE_EEESV_SW_SX_S14_S18_S1A_T6_T7_T9_mT8_S1C_bDpT10_ENKUlT_T0_E_clISt17integral_constantIbLb0EES1O_IbLb1EEEEDaS1K_S1L_EUlS1K_E_NS1_11comp_targetILNS1_3genE5ELNS1_11target_archE942ELNS1_3gpuE9ELNS1_3repE0EEENS1_30default_config_static_selectorELNS0_4arch9wavefront6targetE0EEEvSY_
                                        ; -- End function
	.set _ZN7rocprim17ROCPRIM_400000_NS6detail17trampoline_kernelINS0_13select_configILj256ELj13ELNS0_17block_load_methodE3ELS4_3ELS4_3ELNS0_20block_scan_algorithmE0ELj4294967295EEENS1_25partition_config_selectorILNS1_17partition_subalgoE3EjNS0_10empty_typeEbEEZZNS1_14partition_implILS8_3ELb0ES6_jNS0_17counting_iteratorIjlEEPS9_SE_NS0_5tupleIJPjSE_EEENSF_IJSE_SE_EEES9_SG_JZNS1_25segmented_radix_sort_implINS0_14default_configELb1EPKsPsPKlPlN2at6native12_GLOBAL__N_18offset_tEEE10hipError_tPvRmT1_PNSt15iterator_traitsISY_E10value_typeET2_T3_PNSZ_IS14_E10value_typeET4_jRbjT5_S1A_jjP12ihipStream_tbEUljE_EEESV_SW_SX_S14_S18_S1A_T6_T7_T9_mT8_S1C_bDpT10_ENKUlT_T0_E_clISt17integral_constantIbLb0EES1O_IbLb1EEEEDaS1K_S1L_EUlS1K_E_NS1_11comp_targetILNS1_3genE5ELNS1_11target_archE942ELNS1_3gpuE9ELNS1_3repE0EEENS1_30default_config_static_selectorELNS0_4arch9wavefront6targetE0EEEvSY_.num_vgpr, 0
	.set _ZN7rocprim17ROCPRIM_400000_NS6detail17trampoline_kernelINS0_13select_configILj256ELj13ELNS0_17block_load_methodE3ELS4_3ELS4_3ELNS0_20block_scan_algorithmE0ELj4294967295EEENS1_25partition_config_selectorILNS1_17partition_subalgoE3EjNS0_10empty_typeEbEEZZNS1_14partition_implILS8_3ELb0ES6_jNS0_17counting_iteratorIjlEEPS9_SE_NS0_5tupleIJPjSE_EEENSF_IJSE_SE_EEES9_SG_JZNS1_25segmented_radix_sort_implINS0_14default_configELb1EPKsPsPKlPlN2at6native12_GLOBAL__N_18offset_tEEE10hipError_tPvRmT1_PNSt15iterator_traitsISY_E10value_typeET2_T3_PNSZ_IS14_E10value_typeET4_jRbjT5_S1A_jjP12ihipStream_tbEUljE_EEESV_SW_SX_S14_S18_S1A_T6_T7_T9_mT8_S1C_bDpT10_ENKUlT_T0_E_clISt17integral_constantIbLb0EES1O_IbLb1EEEEDaS1K_S1L_EUlS1K_E_NS1_11comp_targetILNS1_3genE5ELNS1_11target_archE942ELNS1_3gpuE9ELNS1_3repE0EEENS1_30default_config_static_selectorELNS0_4arch9wavefront6targetE0EEEvSY_.num_agpr, 0
	.set _ZN7rocprim17ROCPRIM_400000_NS6detail17trampoline_kernelINS0_13select_configILj256ELj13ELNS0_17block_load_methodE3ELS4_3ELS4_3ELNS0_20block_scan_algorithmE0ELj4294967295EEENS1_25partition_config_selectorILNS1_17partition_subalgoE3EjNS0_10empty_typeEbEEZZNS1_14partition_implILS8_3ELb0ES6_jNS0_17counting_iteratorIjlEEPS9_SE_NS0_5tupleIJPjSE_EEENSF_IJSE_SE_EEES9_SG_JZNS1_25segmented_radix_sort_implINS0_14default_configELb1EPKsPsPKlPlN2at6native12_GLOBAL__N_18offset_tEEE10hipError_tPvRmT1_PNSt15iterator_traitsISY_E10value_typeET2_T3_PNSZ_IS14_E10value_typeET4_jRbjT5_S1A_jjP12ihipStream_tbEUljE_EEESV_SW_SX_S14_S18_S1A_T6_T7_T9_mT8_S1C_bDpT10_ENKUlT_T0_E_clISt17integral_constantIbLb0EES1O_IbLb1EEEEDaS1K_S1L_EUlS1K_E_NS1_11comp_targetILNS1_3genE5ELNS1_11target_archE942ELNS1_3gpuE9ELNS1_3repE0EEENS1_30default_config_static_selectorELNS0_4arch9wavefront6targetE0EEEvSY_.numbered_sgpr, 0
	.set _ZN7rocprim17ROCPRIM_400000_NS6detail17trampoline_kernelINS0_13select_configILj256ELj13ELNS0_17block_load_methodE3ELS4_3ELS4_3ELNS0_20block_scan_algorithmE0ELj4294967295EEENS1_25partition_config_selectorILNS1_17partition_subalgoE3EjNS0_10empty_typeEbEEZZNS1_14partition_implILS8_3ELb0ES6_jNS0_17counting_iteratorIjlEEPS9_SE_NS0_5tupleIJPjSE_EEENSF_IJSE_SE_EEES9_SG_JZNS1_25segmented_radix_sort_implINS0_14default_configELb1EPKsPsPKlPlN2at6native12_GLOBAL__N_18offset_tEEE10hipError_tPvRmT1_PNSt15iterator_traitsISY_E10value_typeET2_T3_PNSZ_IS14_E10value_typeET4_jRbjT5_S1A_jjP12ihipStream_tbEUljE_EEESV_SW_SX_S14_S18_S1A_T6_T7_T9_mT8_S1C_bDpT10_ENKUlT_T0_E_clISt17integral_constantIbLb0EES1O_IbLb1EEEEDaS1K_S1L_EUlS1K_E_NS1_11comp_targetILNS1_3genE5ELNS1_11target_archE942ELNS1_3gpuE9ELNS1_3repE0EEENS1_30default_config_static_selectorELNS0_4arch9wavefront6targetE0EEEvSY_.num_named_barrier, 0
	.set _ZN7rocprim17ROCPRIM_400000_NS6detail17trampoline_kernelINS0_13select_configILj256ELj13ELNS0_17block_load_methodE3ELS4_3ELS4_3ELNS0_20block_scan_algorithmE0ELj4294967295EEENS1_25partition_config_selectorILNS1_17partition_subalgoE3EjNS0_10empty_typeEbEEZZNS1_14partition_implILS8_3ELb0ES6_jNS0_17counting_iteratorIjlEEPS9_SE_NS0_5tupleIJPjSE_EEENSF_IJSE_SE_EEES9_SG_JZNS1_25segmented_radix_sort_implINS0_14default_configELb1EPKsPsPKlPlN2at6native12_GLOBAL__N_18offset_tEEE10hipError_tPvRmT1_PNSt15iterator_traitsISY_E10value_typeET2_T3_PNSZ_IS14_E10value_typeET4_jRbjT5_S1A_jjP12ihipStream_tbEUljE_EEESV_SW_SX_S14_S18_S1A_T6_T7_T9_mT8_S1C_bDpT10_ENKUlT_T0_E_clISt17integral_constantIbLb0EES1O_IbLb1EEEEDaS1K_S1L_EUlS1K_E_NS1_11comp_targetILNS1_3genE5ELNS1_11target_archE942ELNS1_3gpuE9ELNS1_3repE0EEENS1_30default_config_static_selectorELNS0_4arch9wavefront6targetE0EEEvSY_.private_seg_size, 0
	.set _ZN7rocprim17ROCPRIM_400000_NS6detail17trampoline_kernelINS0_13select_configILj256ELj13ELNS0_17block_load_methodE3ELS4_3ELS4_3ELNS0_20block_scan_algorithmE0ELj4294967295EEENS1_25partition_config_selectorILNS1_17partition_subalgoE3EjNS0_10empty_typeEbEEZZNS1_14partition_implILS8_3ELb0ES6_jNS0_17counting_iteratorIjlEEPS9_SE_NS0_5tupleIJPjSE_EEENSF_IJSE_SE_EEES9_SG_JZNS1_25segmented_radix_sort_implINS0_14default_configELb1EPKsPsPKlPlN2at6native12_GLOBAL__N_18offset_tEEE10hipError_tPvRmT1_PNSt15iterator_traitsISY_E10value_typeET2_T3_PNSZ_IS14_E10value_typeET4_jRbjT5_S1A_jjP12ihipStream_tbEUljE_EEESV_SW_SX_S14_S18_S1A_T6_T7_T9_mT8_S1C_bDpT10_ENKUlT_T0_E_clISt17integral_constantIbLb0EES1O_IbLb1EEEEDaS1K_S1L_EUlS1K_E_NS1_11comp_targetILNS1_3genE5ELNS1_11target_archE942ELNS1_3gpuE9ELNS1_3repE0EEENS1_30default_config_static_selectorELNS0_4arch9wavefront6targetE0EEEvSY_.uses_vcc, 0
	.set _ZN7rocprim17ROCPRIM_400000_NS6detail17trampoline_kernelINS0_13select_configILj256ELj13ELNS0_17block_load_methodE3ELS4_3ELS4_3ELNS0_20block_scan_algorithmE0ELj4294967295EEENS1_25partition_config_selectorILNS1_17partition_subalgoE3EjNS0_10empty_typeEbEEZZNS1_14partition_implILS8_3ELb0ES6_jNS0_17counting_iteratorIjlEEPS9_SE_NS0_5tupleIJPjSE_EEENSF_IJSE_SE_EEES9_SG_JZNS1_25segmented_radix_sort_implINS0_14default_configELb1EPKsPsPKlPlN2at6native12_GLOBAL__N_18offset_tEEE10hipError_tPvRmT1_PNSt15iterator_traitsISY_E10value_typeET2_T3_PNSZ_IS14_E10value_typeET4_jRbjT5_S1A_jjP12ihipStream_tbEUljE_EEESV_SW_SX_S14_S18_S1A_T6_T7_T9_mT8_S1C_bDpT10_ENKUlT_T0_E_clISt17integral_constantIbLb0EES1O_IbLb1EEEEDaS1K_S1L_EUlS1K_E_NS1_11comp_targetILNS1_3genE5ELNS1_11target_archE942ELNS1_3gpuE9ELNS1_3repE0EEENS1_30default_config_static_selectorELNS0_4arch9wavefront6targetE0EEEvSY_.uses_flat_scratch, 0
	.set _ZN7rocprim17ROCPRIM_400000_NS6detail17trampoline_kernelINS0_13select_configILj256ELj13ELNS0_17block_load_methodE3ELS4_3ELS4_3ELNS0_20block_scan_algorithmE0ELj4294967295EEENS1_25partition_config_selectorILNS1_17partition_subalgoE3EjNS0_10empty_typeEbEEZZNS1_14partition_implILS8_3ELb0ES6_jNS0_17counting_iteratorIjlEEPS9_SE_NS0_5tupleIJPjSE_EEENSF_IJSE_SE_EEES9_SG_JZNS1_25segmented_radix_sort_implINS0_14default_configELb1EPKsPsPKlPlN2at6native12_GLOBAL__N_18offset_tEEE10hipError_tPvRmT1_PNSt15iterator_traitsISY_E10value_typeET2_T3_PNSZ_IS14_E10value_typeET4_jRbjT5_S1A_jjP12ihipStream_tbEUljE_EEESV_SW_SX_S14_S18_S1A_T6_T7_T9_mT8_S1C_bDpT10_ENKUlT_T0_E_clISt17integral_constantIbLb0EES1O_IbLb1EEEEDaS1K_S1L_EUlS1K_E_NS1_11comp_targetILNS1_3genE5ELNS1_11target_archE942ELNS1_3gpuE9ELNS1_3repE0EEENS1_30default_config_static_selectorELNS0_4arch9wavefront6targetE0EEEvSY_.has_dyn_sized_stack, 0
	.set _ZN7rocprim17ROCPRIM_400000_NS6detail17trampoline_kernelINS0_13select_configILj256ELj13ELNS0_17block_load_methodE3ELS4_3ELS4_3ELNS0_20block_scan_algorithmE0ELj4294967295EEENS1_25partition_config_selectorILNS1_17partition_subalgoE3EjNS0_10empty_typeEbEEZZNS1_14partition_implILS8_3ELb0ES6_jNS0_17counting_iteratorIjlEEPS9_SE_NS0_5tupleIJPjSE_EEENSF_IJSE_SE_EEES9_SG_JZNS1_25segmented_radix_sort_implINS0_14default_configELb1EPKsPsPKlPlN2at6native12_GLOBAL__N_18offset_tEEE10hipError_tPvRmT1_PNSt15iterator_traitsISY_E10value_typeET2_T3_PNSZ_IS14_E10value_typeET4_jRbjT5_S1A_jjP12ihipStream_tbEUljE_EEESV_SW_SX_S14_S18_S1A_T6_T7_T9_mT8_S1C_bDpT10_ENKUlT_T0_E_clISt17integral_constantIbLb0EES1O_IbLb1EEEEDaS1K_S1L_EUlS1K_E_NS1_11comp_targetILNS1_3genE5ELNS1_11target_archE942ELNS1_3gpuE9ELNS1_3repE0EEENS1_30default_config_static_selectorELNS0_4arch9wavefront6targetE0EEEvSY_.has_recursion, 0
	.set _ZN7rocprim17ROCPRIM_400000_NS6detail17trampoline_kernelINS0_13select_configILj256ELj13ELNS0_17block_load_methodE3ELS4_3ELS4_3ELNS0_20block_scan_algorithmE0ELj4294967295EEENS1_25partition_config_selectorILNS1_17partition_subalgoE3EjNS0_10empty_typeEbEEZZNS1_14partition_implILS8_3ELb0ES6_jNS0_17counting_iteratorIjlEEPS9_SE_NS0_5tupleIJPjSE_EEENSF_IJSE_SE_EEES9_SG_JZNS1_25segmented_radix_sort_implINS0_14default_configELb1EPKsPsPKlPlN2at6native12_GLOBAL__N_18offset_tEEE10hipError_tPvRmT1_PNSt15iterator_traitsISY_E10value_typeET2_T3_PNSZ_IS14_E10value_typeET4_jRbjT5_S1A_jjP12ihipStream_tbEUljE_EEESV_SW_SX_S14_S18_S1A_T6_T7_T9_mT8_S1C_bDpT10_ENKUlT_T0_E_clISt17integral_constantIbLb0EES1O_IbLb1EEEEDaS1K_S1L_EUlS1K_E_NS1_11comp_targetILNS1_3genE5ELNS1_11target_archE942ELNS1_3gpuE9ELNS1_3repE0EEENS1_30default_config_static_selectorELNS0_4arch9wavefront6targetE0EEEvSY_.has_indirect_call, 0
	.section	.AMDGPU.csdata,"",@progbits
; Kernel info:
; codeLenInByte = 0
; TotalNumSgprs: 0
; NumVgprs: 0
; ScratchSize: 0
; MemoryBound: 0
; FloatMode: 240
; IeeeMode: 1
; LDSByteSize: 0 bytes/workgroup (compile time only)
; SGPRBlocks: 0
; VGPRBlocks: 0
; NumSGPRsForWavesPerEU: 1
; NumVGPRsForWavesPerEU: 1
; Occupancy: 16
; WaveLimiterHint : 0
; COMPUTE_PGM_RSRC2:SCRATCH_EN: 0
; COMPUTE_PGM_RSRC2:USER_SGPR: 6
; COMPUTE_PGM_RSRC2:TRAP_HANDLER: 0
; COMPUTE_PGM_RSRC2:TGID_X_EN: 1
; COMPUTE_PGM_RSRC2:TGID_Y_EN: 0
; COMPUTE_PGM_RSRC2:TGID_Z_EN: 0
; COMPUTE_PGM_RSRC2:TIDIG_COMP_CNT: 0
	.section	.text._ZN7rocprim17ROCPRIM_400000_NS6detail17trampoline_kernelINS0_13select_configILj256ELj13ELNS0_17block_load_methodE3ELS4_3ELS4_3ELNS0_20block_scan_algorithmE0ELj4294967295EEENS1_25partition_config_selectorILNS1_17partition_subalgoE3EjNS0_10empty_typeEbEEZZNS1_14partition_implILS8_3ELb0ES6_jNS0_17counting_iteratorIjlEEPS9_SE_NS0_5tupleIJPjSE_EEENSF_IJSE_SE_EEES9_SG_JZNS1_25segmented_radix_sort_implINS0_14default_configELb1EPKsPsPKlPlN2at6native12_GLOBAL__N_18offset_tEEE10hipError_tPvRmT1_PNSt15iterator_traitsISY_E10value_typeET2_T3_PNSZ_IS14_E10value_typeET4_jRbjT5_S1A_jjP12ihipStream_tbEUljE_EEESV_SW_SX_S14_S18_S1A_T6_T7_T9_mT8_S1C_bDpT10_ENKUlT_T0_E_clISt17integral_constantIbLb0EES1O_IbLb1EEEEDaS1K_S1L_EUlS1K_E_NS1_11comp_targetILNS1_3genE4ELNS1_11target_archE910ELNS1_3gpuE8ELNS1_3repE0EEENS1_30default_config_static_selectorELNS0_4arch9wavefront6targetE0EEEvSY_,"axG",@progbits,_ZN7rocprim17ROCPRIM_400000_NS6detail17trampoline_kernelINS0_13select_configILj256ELj13ELNS0_17block_load_methodE3ELS4_3ELS4_3ELNS0_20block_scan_algorithmE0ELj4294967295EEENS1_25partition_config_selectorILNS1_17partition_subalgoE3EjNS0_10empty_typeEbEEZZNS1_14partition_implILS8_3ELb0ES6_jNS0_17counting_iteratorIjlEEPS9_SE_NS0_5tupleIJPjSE_EEENSF_IJSE_SE_EEES9_SG_JZNS1_25segmented_radix_sort_implINS0_14default_configELb1EPKsPsPKlPlN2at6native12_GLOBAL__N_18offset_tEEE10hipError_tPvRmT1_PNSt15iterator_traitsISY_E10value_typeET2_T3_PNSZ_IS14_E10value_typeET4_jRbjT5_S1A_jjP12ihipStream_tbEUljE_EEESV_SW_SX_S14_S18_S1A_T6_T7_T9_mT8_S1C_bDpT10_ENKUlT_T0_E_clISt17integral_constantIbLb0EES1O_IbLb1EEEEDaS1K_S1L_EUlS1K_E_NS1_11comp_targetILNS1_3genE4ELNS1_11target_archE910ELNS1_3gpuE8ELNS1_3repE0EEENS1_30default_config_static_selectorELNS0_4arch9wavefront6targetE0EEEvSY_,comdat
	.globl	_ZN7rocprim17ROCPRIM_400000_NS6detail17trampoline_kernelINS0_13select_configILj256ELj13ELNS0_17block_load_methodE3ELS4_3ELS4_3ELNS0_20block_scan_algorithmE0ELj4294967295EEENS1_25partition_config_selectorILNS1_17partition_subalgoE3EjNS0_10empty_typeEbEEZZNS1_14partition_implILS8_3ELb0ES6_jNS0_17counting_iteratorIjlEEPS9_SE_NS0_5tupleIJPjSE_EEENSF_IJSE_SE_EEES9_SG_JZNS1_25segmented_radix_sort_implINS0_14default_configELb1EPKsPsPKlPlN2at6native12_GLOBAL__N_18offset_tEEE10hipError_tPvRmT1_PNSt15iterator_traitsISY_E10value_typeET2_T3_PNSZ_IS14_E10value_typeET4_jRbjT5_S1A_jjP12ihipStream_tbEUljE_EEESV_SW_SX_S14_S18_S1A_T6_T7_T9_mT8_S1C_bDpT10_ENKUlT_T0_E_clISt17integral_constantIbLb0EES1O_IbLb1EEEEDaS1K_S1L_EUlS1K_E_NS1_11comp_targetILNS1_3genE4ELNS1_11target_archE910ELNS1_3gpuE8ELNS1_3repE0EEENS1_30default_config_static_selectorELNS0_4arch9wavefront6targetE0EEEvSY_ ; -- Begin function _ZN7rocprim17ROCPRIM_400000_NS6detail17trampoline_kernelINS0_13select_configILj256ELj13ELNS0_17block_load_methodE3ELS4_3ELS4_3ELNS0_20block_scan_algorithmE0ELj4294967295EEENS1_25partition_config_selectorILNS1_17partition_subalgoE3EjNS0_10empty_typeEbEEZZNS1_14partition_implILS8_3ELb0ES6_jNS0_17counting_iteratorIjlEEPS9_SE_NS0_5tupleIJPjSE_EEENSF_IJSE_SE_EEES9_SG_JZNS1_25segmented_radix_sort_implINS0_14default_configELb1EPKsPsPKlPlN2at6native12_GLOBAL__N_18offset_tEEE10hipError_tPvRmT1_PNSt15iterator_traitsISY_E10value_typeET2_T3_PNSZ_IS14_E10value_typeET4_jRbjT5_S1A_jjP12ihipStream_tbEUljE_EEESV_SW_SX_S14_S18_S1A_T6_T7_T9_mT8_S1C_bDpT10_ENKUlT_T0_E_clISt17integral_constantIbLb0EES1O_IbLb1EEEEDaS1K_S1L_EUlS1K_E_NS1_11comp_targetILNS1_3genE4ELNS1_11target_archE910ELNS1_3gpuE8ELNS1_3repE0EEENS1_30default_config_static_selectorELNS0_4arch9wavefront6targetE0EEEvSY_
	.p2align	8
	.type	_ZN7rocprim17ROCPRIM_400000_NS6detail17trampoline_kernelINS0_13select_configILj256ELj13ELNS0_17block_load_methodE3ELS4_3ELS4_3ELNS0_20block_scan_algorithmE0ELj4294967295EEENS1_25partition_config_selectorILNS1_17partition_subalgoE3EjNS0_10empty_typeEbEEZZNS1_14partition_implILS8_3ELb0ES6_jNS0_17counting_iteratorIjlEEPS9_SE_NS0_5tupleIJPjSE_EEENSF_IJSE_SE_EEES9_SG_JZNS1_25segmented_radix_sort_implINS0_14default_configELb1EPKsPsPKlPlN2at6native12_GLOBAL__N_18offset_tEEE10hipError_tPvRmT1_PNSt15iterator_traitsISY_E10value_typeET2_T3_PNSZ_IS14_E10value_typeET4_jRbjT5_S1A_jjP12ihipStream_tbEUljE_EEESV_SW_SX_S14_S18_S1A_T6_T7_T9_mT8_S1C_bDpT10_ENKUlT_T0_E_clISt17integral_constantIbLb0EES1O_IbLb1EEEEDaS1K_S1L_EUlS1K_E_NS1_11comp_targetILNS1_3genE4ELNS1_11target_archE910ELNS1_3gpuE8ELNS1_3repE0EEENS1_30default_config_static_selectorELNS0_4arch9wavefront6targetE0EEEvSY_,@function
_ZN7rocprim17ROCPRIM_400000_NS6detail17trampoline_kernelINS0_13select_configILj256ELj13ELNS0_17block_load_methodE3ELS4_3ELS4_3ELNS0_20block_scan_algorithmE0ELj4294967295EEENS1_25partition_config_selectorILNS1_17partition_subalgoE3EjNS0_10empty_typeEbEEZZNS1_14partition_implILS8_3ELb0ES6_jNS0_17counting_iteratorIjlEEPS9_SE_NS0_5tupleIJPjSE_EEENSF_IJSE_SE_EEES9_SG_JZNS1_25segmented_radix_sort_implINS0_14default_configELb1EPKsPsPKlPlN2at6native12_GLOBAL__N_18offset_tEEE10hipError_tPvRmT1_PNSt15iterator_traitsISY_E10value_typeET2_T3_PNSZ_IS14_E10value_typeET4_jRbjT5_S1A_jjP12ihipStream_tbEUljE_EEESV_SW_SX_S14_S18_S1A_T6_T7_T9_mT8_S1C_bDpT10_ENKUlT_T0_E_clISt17integral_constantIbLb0EES1O_IbLb1EEEEDaS1K_S1L_EUlS1K_E_NS1_11comp_targetILNS1_3genE4ELNS1_11target_archE910ELNS1_3gpuE8ELNS1_3repE0EEENS1_30default_config_static_selectorELNS0_4arch9wavefront6targetE0EEEvSY_: ; @_ZN7rocprim17ROCPRIM_400000_NS6detail17trampoline_kernelINS0_13select_configILj256ELj13ELNS0_17block_load_methodE3ELS4_3ELS4_3ELNS0_20block_scan_algorithmE0ELj4294967295EEENS1_25partition_config_selectorILNS1_17partition_subalgoE3EjNS0_10empty_typeEbEEZZNS1_14partition_implILS8_3ELb0ES6_jNS0_17counting_iteratorIjlEEPS9_SE_NS0_5tupleIJPjSE_EEENSF_IJSE_SE_EEES9_SG_JZNS1_25segmented_radix_sort_implINS0_14default_configELb1EPKsPsPKlPlN2at6native12_GLOBAL__N_18offset_tEEE10hipError_tPvRmT1_PNSt15iterator_traitsISY_E10value_typeET2_T3_PNSZ_IS14_E10value_typeET4_jRbjT5_S1A_jjP12ihipStream_tbEUljE_EEESV_SW_SX_S14_S18_S1A_T6_T7_T9_mT8_S1C_bDpT10_ENKUlT_T0_E_clISt17integral_constantIbLb0EES1O_IbLb1EEEEDaS1K_S1L_EUlS1K_E_NS1_11comp_targetILNS1_3genE4ELNS1_11target_archE910ELNS1_3gpuE8ELNS1_3repE0EEENS1_30default_config_static_selectorELNS0_4arch9wavefront6targetE0EEEvSY_
; %bb.0:
	.section	.rodata,"a",@progbits
	.p2align	6, 0x0
	.amdhsa_kernel _ZN7rocprim17ROCPRIM_400000_NS6detail17trampoline_kernelINS0_13select_configILj256ELj13ELNS0_17block_load_methodE3ELS4_3ELS4_3ELNS0_20block_scan_algorithmE0ELj4294967295EEENS1_25partition_config_selectorILNS1_17partition_subalgoE3EjNS0_10empty_typeEbEEZZNS1_14partition_implILS8_3ELb0ES6_jNS0_17counting_iteratorIjlEEPS9_SE_NS0_5tupleIJPjSE_EEENSF_IJSE_SE_EEES9_SG_JZNS1_25segmented_radix_sort_implINS0_14default_configELb1EPKsPsPKlPlN2at6native12_GLOBAL__N_18offset_tEEE10hipError_tPvRmT1_PNSt15iterator_traitsISY_E10value_typeET2_T3_PNSZ_IS14_E10value_typeET4_jRbjT5_S1A_jjP12ihipStream_tbEUljE_EEESV_SW_SX_S14_S18_S1A_T6_T7_T9_mT8_S1C_bDpT10_ENKUlT_T0_E_clISt17integral_constantIbLb0EES1O_IbLb1EEEEDaS1K_S1L_EUlS1K_E_NS1_11comp_targetILNS1_3genE4ELNS1_11target_archE910ELNS1_3gpuE8ELNS1_3repE0EEENS1_30default_config_static_selectorELNS0_4arch9wavefront6targetE0EEEvSY_
		.amdhsa_group_segment_fixed_size 0
		.amdhsa_private_segment_fixed_size 0
		.amdhsa_kernarg_size 152
		.amdhsa_user_sgpr_count 6
		.amdhsa_user_sgpr_private_segment_buffer 1
		.amdhsa_user_sgpr_dispatch_ptr 0
		.amdhsa_user_sgpr_queue_ptr 0
		.amdhsa_user_sgpr_kernarg_segment_ptr 1
		.amdhsa_user_sgpr_dispatch_id 0
		.amdhsa_user_sgpr_flat_scratch_init 0
		.amdhsa_user_sgpr_private_segment_size 0
		.amdhsa_wavefront_size32 1
		.amdhsa_uses_dynamic_stack 0
		.amdhsa_system_sgpr_private_segment_wavefront_offset 0
		.amdhsa_system_sgpr_workgroup_id_x 1
		.amdhsa_system_sgpr_workgroup_id_y 0
		.amdhsa_system_sgpr_workgroup_id_z 0
		.amdhsa_system_sgpr_workgroup_info 0
		.amdhsa_system_vgpr_workitem_id 0
		.amdhsa_next_free_vgpr 1
		.amdhsa_next_free_sgpr 1
		.amdhsa_reserve_vcc 0
		.amdhsa_reserve_flat_scratch 0
		.amdhsa_float_round_mode_32 0
		.amdhsa_float_round_mode_16_64 0
		.amdhsa_float_denorm_mode_32 3
		.amdhsa_float_denorm_mode_16_64 3
		.amdhsa_dx10_clamp 1
		.amdhsa_ieee_mode 1
		.amdhsa_fp16_overflow 0
		.amdhsa_workgroup_processor_mode 1
		.amdhsa_memory_ordered 1
		.amdhsa_forward_progress 1
		.amdhsa_shared_vgpr_count 0
		.amdhsa_exception_fp_ieee_invalid_op 0
		.amdhsa_exception_fp_denorm_src 0
		.amdhsa_exception_fp_ieee_div_zero 0
		.amdhsa_exception_fp_ieee_overflow 0
		.amdhsa_exception_fp_ieee_underflow 0
		.amdhsa_exception_fp_ieee_inexact 0
		.amdhsa_exception_int_div_zero 0
	.end_amdhsa_kernel
	.section	.text._ZN7rocprim17ROCPRIM_400000_NS6detail17trampoline_kernelINS0_13select_configILj256ELj13ELNS0_17block_load_methodE3ELS4_3ELS4_3ELNS0_20block_scan_algorithmE0ELj4294967295EEENS1_25partition_config_selectorILNS1_17partition_subalgoE3EjNS0_10empty_typeEbEEZZNS1_14partition_implILS8_3ELb0ES6_jNS0_17counting_iteratorIjlEEPS9_SE_NS0_5tupleIJPjSE_EEENSF_IJSE_SE_EEES9_SG_JZNS1_25segmented_radix_sort_implINS0_14default_configELb1EPKsPsPKlPlN2at6native12_GLOBAL__N_18offset_tEEE10hipError_tPvRmT1_PNSt15iterator_traitsISY_E10value_typeET2_T3_PNSZ_IS14_E10value_typeET4_jRbjT5_S1A_jjP12ihipStream_tbEUljE_EEESV_SW_SX_S14_S18_S1A_T6_T7_T9_mT8_S1C_bDpT10_ENKUlT_T0_E_clISt17integral_constantIbLb0EES1O_IbLb1EEEEDaS1K_S1L_EUlS1K_E_NS1_11comp_targetILNS1_3genE4ELNS1_11target_archE910ELNS1_3gpuE8ELNS1_3repE0EEENS1_30default_config_static_selectorELNS0_4arch9wavefront6targetE0EEEvSY_,"axG",@progbits,_ZN7rocprim17ROCPRIM_400000_NS6detail17trampoline_kernelINS0_13select_configILj256ELj13ELNS0_17block_load_methodE3ELS4_3ELS4_3ELNS0_20block_scan_algorithmE0ELj4294967295EEENS1_25partition_config_selectorILNS1_17partition_subalgoE3EjNS0_10empty_typeEbEEZZNS1_14partition_implILS8_3ELb0ES6_jNS0_17counting_iteratorIjlEEPS9_SE_NS0_5tupleIJPjSE_EEENSF_IJSE_SE_EEES9_SG_JZNS1_25segmented_radix_sort_implINS0_14default_configELb1EPKsPsPKlPlN2at6native12_GLOBAL__N_18offset_tEEE10hipError_tPvRmT1_PNSt15iterator_traitsISY_E10value_typeET2_T3_PNSZ_IS14_E10value_typeET4_jRbjT5_S1A_jjP12ihipStream_tbEUljE_EEESV_SW_SX_S14_S18_S1A_T6_T7_T9_mT8_S1C_bDpT10_ENKUlT_T0_E_clISt17integral_constantIbLb0EES1O_IbLb1EEEEDaS1K_S1L_EUlS1K_E_NS1_11comp_targetILNS1_3genE4ELNS1_11target_archE910ELNS1_3gpuE8ELNS1_3repE0EEENS1_30default_config_static_selectorELNS0_4arch9wavefront6targetE0EEEvSY_,comdat
.Lfunc_end899:
	.size	_ZN7rocprim17ROCPRIM_400000_NS6detail17trampoline_kernelINS0_13select_configILj256ELj13ELNS0_17block_load_methodE3ELS4_3ELS4_3ELNS0_20block_scan_algorithmE0ELj4294967295EEENS1_25partition_config_selectorILNS1_17partition_subalgoE3EjNS0_10empty_typeEbEEZZNS1_14partition_implILS8_3ELb0ES6_jNS0_17counting_iteratorIjlEEPS9_SE_NS0_5tupleIJPjSE_EEENSF_IJSE_SE_EEES9_SG_JZNS1_25segmented_radix_sort_implINS0_14default_configELb1EPKsPsPKlPlN2at6native12_GLOBAL__N_18offset_tEEE10hipError_tPvRmT1_PNSt15iterator_traitsISY_E10value_typeET2_T3_PNSZ_IS14_E10value_typeET4_jRbjT5_S1A_jjP12ihipStream_tbEUljE_EEESV_SW_SX_S14_S18_S1A_T6_T7_T9_mT8_S1C_bDpT10_ENKUlT_T0_E_clISt17integral_constantIbLb0EES1O_IbLb1EEEEDaS1K_S1L_EUlS1K_E_NS1_11comp_targetILNS1_3genE4ELNS1_11target_archE910ELNS1_3gpuE8ELNS1_3repE0EEENS1_30default_config_static_selectorELNS0_4arch9wavefront6targetE0EEEvSY_, .Lfunc_end899-_ZN7rocprim17ROCPRIM_400000_NS6detail17trampoline_kernelINS0_13select_configILj256ELj13ELNS0_17block_load_methodE3ELS4_3ELS4_3ELNS0_20block_scan_algorithmE0ELj4294967295EEENS1_25partition_config_selectorILNS1_17partition_subalgoE3EjNS0_10empty_typeEbEEZZNS1_14partition_implILS8_3ELb0ES6_jNS0_17counting_iteratorIjlEEPS9_SE_NS0_5tupleIJPjSE_EEENSF_IJSE_SE_EEES9_SG_JZNS1_25segmented_radix_sort_implINS0_14default_configELb1EPKsPsPKlPlN2at6native12_GLOBAL__N_18offset_tEEE10hipError_tPvRmT1_PNSt15iterator_traitsISY_E10value_typeET2_T3_PNSZ_IS14_E10value_typeET4_jRbjT5_S1A_jjP12ihipStream_tbEUljE_EEESV_SW_SX_S14_S18_S1A_T6_T7_T9_mT8_S1C_bDpT10_ENKUlT_T0_E_clISt17integral_constantIbLb0EES1O_IbLb1EEEEDaS1K_S1L_EUlS1K_E_NS1_11comp_targetILNS1_3genE4ELNS1_11target_archE910ELNS1_3gpuE8ELNS1_3repE0EEENS1_30default_config_static_selectorELNS0_4arch9wavefront6targetE0EEEvSY_
                                        ; -- End function
	.set _ZN7rocprim17ROCPRIM_400000_NS6detail17trampoline_kernelINS0_13select_configILj256ELj13ELNS0_17block_load_methodE3ELS4_3ELS4_3ELNS0_20block_scan_algorithmE0ELj4294967295EEENS1_25partition_config_selectorILNS1_17partition_subalgoE3EjNS0_10empty_typeEbEEZZNS1_14partition_implILS8_3ELb0ES6_jNS0_17counting_iteratorIjlEEPS9_SE_NS0_5tupleIJPjSE_EEENSF_IJSE_SE_EEES9_SG_JZNS1_25segmented_radix_sort_implINS0_14default_configELb1EPKsPsPKlPlN2at6native12_GLOBAL__N_18offset_tEEE10hipError_tPvRmT1_PNSt15iterator_traitsISY_E10value_typeET2_T3_PNSZ_IS14_E10value_typeET4_jRbjT5_S1A_jjP12ihipStream_tbEUljE_EEESV_SW_SX_S14_S18_S1A_T6_T7_T9_mT8_S1C_bDpT10_ENKUlT_T0_E_clISt17integral_constantIbLb0EES1O_IbLb1EEEEDaS1K_S1L_EUlS1K_E_NS1_11comp_targetILNS1_3genE4ELNS1_11target_archE910ELNS1_3gpuE8ELNS1_3repE0EEENS1_30default_config_static_selectorELNS0_4arch9wavefront6targetE0EEEvSY_.num_vgpr, 0
	.set _ZN7rocprim17ROCPRIM_400000_NS6detail17trampoline_kernelINS0_13select_configILj256ELj13ELNS0_17block_load_methodE3ELS4_3ELS4_3ELNS0_20block_scan_algorithmE0ELj4294967295EEENS1_25partition_config_selectorILNS1_17partition_subalgoE3EjNS0_10empty_typeEbEEZZNS1_14partition_implILS8_3ELb0ES6_jNS0_17counting_iteratorIjlEEPS9_SE_NS0_5tupleIJPjSE_EEENSF_IJSE_SE_EEES9_SG_JZNS1_25segmented_radix_sort_implINS0_14default_configELb1EPKsPsPKlPlN2at6native12_GLOBAL__N_18offset_tEEE10hipError_tPvRmT1_PNSt15iterator_traitsISY_E10value_typeET2_T3_PNSZ_IS14_E10value_typeET4_jRbjT5_S1A_jjP12ihipStream_tbEUljE_EEESV_SW_SX_S14_S18_S1A_T6_T7_T9_mT8_S1C_bDpT10_ENKUlT_T0_E_clISt17integral_constantIbLb0EES1O_IbLb1EEEEDaS1K_S1L_EUlS1K_E_NS1_11comp_targetILNS1_3genE4ELNS1_11target_archE910ELNS1_3gpuE8ELNS1_3repE0EEENS1_30default_config_static_selectorELNS0_4arch9wavefront6targetE0EEEvSY_.num_agpr, 0
	.set _ZN7rocprim17ROCPRIM_400000_NS6detail17trampoline_kernelINS0_13select_configILj256ELj13ELNS0_17block_load_methodE3ELS4_3ELS4_3ELNS0_20block_scan_algorithmE0ELj4294967295EEENS1_25partition_config_selectorILNS1_17partition_subalgoE3EjNS0_10empty_typeEbEEZZNS1_14partition_implILS8_3ELb0ES6_jNS0_17counting_iteratorIjlEEPS9_SE_NS0_5tupleIJPjSE_EEENSF_IJSE_SE_EEES9_SG_JZNS1_25segmented_radix_sort_implINS0_14default_configELb1EPKsPsPKlPlN2at6native12_GLOBAL__N_18offset_tEEE10hipError_tPvRmT1_PNSt15iterator_traitsISY_E10value_typeET2_T3_PNSZ_IS14_E10value_typeET4_jRbjT5_S1A_jjP12ihipStream_tbEUljE_EEESV_SW_SX_S14_S18_S1A_T6_T7_T9_mT8_S1C_bDpT10_ENKUlT_T0_E_clISt17integral_constantIbLb0EES1O_IbLb1EEEEDaS1K_S1L_EUlS1K_E_NS1_11comp_targetILNS1_3genE4ELNS1_11target_archE910ELNS1_3gpuE8ELNS1_3repE0EEENS1_30default_config_static_selectorELNS0_4arch9wavefront6targetE0EEEvSY_.numbered_sgpr, 0
	.set _ZN7rocprim17ROCPRIM_400000_NS6detail17trampoline_kernelINS0_13select_configILj256ELj13ELNS0_17block_load_methodE3ELS4_3ELS4_3ELNS0_20block_scan_algorithmE0ELj4294967295EEENS1_25partition_config_selectorILNS1_17partition_subalgoE3EjNS0_10empty_typeEbEEZZNS1_14partition_implILS8_3ELb0ES6_jNS0_17counting_iteratorIjlEEPS9_SE_NS0_5tupleIJPjSE_EEENSF_IJSE_SE_EEES9_SG_JZNS1_25segmented_radix_sort_implINS0_14default_configELb1EPKsPsPKlPlN2at6native12_GLOBAL__N_18offset_tEEE10hipError_tPvRmT1_PNSt15iterator_traitsISY_E10value_typeET2_T3_PNSZ_IS14_E10value_typeET4_jRbjT5_S1A_jjP12ihipStream_tbEUljE_EEESV_SW_SX_S14_S18_S1A_T6_T7_T9_mT8_S1C_bDpT10_ENKUlT_T0_E_clISt17integral_constantIbLb0EES1O_IbLb1EEEEDaS1K_S1L_EUlS1K_E_NS1_11comp_targetILNS1_3genE4ELNS1_11target_archE910ELNS1_3gpuE8ELNS1_3repE0EEENS1_30default_config_static_selectorELNS0_4arch9wavefront6targetE0EEEvSY_.num_named_barrier, 0
	.set _ZN7rocprim17ROCPRIM_400000_NS6detail17trampoline_kernelINS0_13select_configILj256ELj13ELNS0_17block_load_methodE3ELS4_3ELS4_3ELNS0_20block_scan_algorithmE0ELj4294967295EEENS1_25partition_config_selectorILNS1_17partition_subalgoE3EjNS0_10empty_typeEbEEZZNS1_14partition_implILS8_3ELb0ES6_jNS0_17counting_iteratorIjlEEPS9_SE_NS0_5tupleIJPjSE_EEENSF_IJSE_SE_EEES9_SG_JZNS1_25segmented_radix_sort_implINS0_14default_configELb1EPKsPsPKlPlN2at6native12_GLOBAL__N_18offset_tEEE10hipError_tPvRmT1_PNSt15iterator_traitsISY_E10value_typeET2_T3_PNSZ_IS14_E10value_typeET4_jRbjT5_S1A_jjP12ihipStream_tbEUljE_EEESV_SW_SX_S14_S18_S1A_T6_T7_T9_mT8_S1C_bDpT10_ENKUlT_T0_E_clISt17integral_constantIbLb0EES1O_IbLb1EEEEDaS1K_S1L_EUlS1K_E_NS1_11comp_targetILNS1_3genE4ELNS1_11target_archE910ELNS1_3gpuE8ELNS1_3repE0EEENS1_30default_config_static_selectorELNS0_4arch9wavefront6targetE0EEEvSY_.private_seg_size, 0
	.set _ZN7rocprim17ROCPRIM_400000_NS6detail17trampoline_kernelINS0_13select_configILj256ELj13ELNS0_17block_load_methodE3ELS4_3ELS4_3ELNS0_20block_scan_algorithmE0ELj4294967295EEENS1_25partition_config_selectorILNS1_17partition_subalgoE3EjNS0_10empty_typeEbEEZZNS1_14partition_implILS8_3ELb0ES6_jNS0_17counting_iteratorIjlEEPS9_SE_NS0_5tupleIJPjSE_EEENSF_IJSE_SE_EEES9_SG_JZNS1_25segmented_radix_sort_implINS0_14default_configELb1EPKsPsPKlPlN2at6native12_GLOBAL__N_18offset_tEEE10hipError_tPvRmT1_PNSt15iterator_traitsISY_E10value_typeET2_T3_PNSZ_IS14_E10value_typeET4_jRbjT5_S1A_jjP12ihipStream_tbEUljE_EEESV_SW_SX_S14_S18_S1A_T6_T7_T9_mT8_S1C_bDpT10_ENKUlT_T0_E_clISt17integral_constantIbLb0EES1O_IbLb1EEEEDaS1K_S1L_EUlS1K_E_NS1_11comp_targetILNS1_3genE4ELNS1_11target_archE910ELNS1_3gpuE8ELNS1_3repE0EEENS1_30default_config_static_selectorELNS0_4arch9wavefront6targetE0EEEvSY_.uses_vcc, 0
	.set _ZN7rocprim17ROCPRIM_400000_NS6detail17trampoline_kernelINS0_13select_configILj256ELj13ELNS0_17block_load_methodE3ELS4_3ELS4_3ELNS0_20block_scan_algorithmE0ELj4294967295EEENS1_25partition_config_selectorILNS1_17partition_subalgoE3EjNS0_10empty_typeEbEEZZNS1_14partition_implILS8_3ELb0ES6_jNS0_17counting_iteratorIjlEEPS9_SE_NS0_5tupleIJPjSE_EEENSF_IJSE_SE_EEES9_SG_JZNS1_25segmented_radix_sort_implINS0_14default_configELb1EPKsPsPKlPlN2at6native12_GLOBAL__N_18offset_tEEE10hipError_tPvRmT1_PNSt15iterator_traitsISY_E10value_typeET2_T3_PNSZ_IS14_E10value_typeET4_jRbjT5_S1A_jjP12ihipStream_tbEUljE_EEESV_SW_SX_S14_S18_S1A_T6_T7_T9_mT8_S1C_bDpT10_ENKUlT_T0_E_clISt17integral_constantIbLb0EES1O_IbLb1EEEEDaS1K_S1L_EUlS1K_E_NS1_11comp_targetILNS1_3genE4ELNS1_11target_archE910ELNS1_3gpuE8ELNS1_3repE0EEENS1_30default_config_static_selectorELNS0_4arch9wavefront6targetE0EEEvSY_.uses_flat_scratch, 0
	.set _ZN7rocprim17ROCPRIM_400000_NS6detail17trampoline_kernelINS0_13select_configILj256ELj13ELNS0_17block_load_methodE3ELS4_3ELS4_3ELNS0_20block_scan_algorithmE0ELj4294967295EEENS1_25partition_config_selectorILNS1_17partition_subalgoE3EjNS0_10empty_typeEbEEZZNS1_14partition_implILS8_3ELb0ES6_jNS0_17counting_iteratorIjlEEPS9_SE_NS0_5tupleIJPjSE_EEENSF_IJSE_SE_EEES9_SG_JZNS1_25segmented_radix_sort_implINS0_14default_configELb1EPKsPsPKlPlN2at6native12_GLOBAL__N_18offset_tEEE10hipError_tPvRmT1_PNSt15iterator_traitsISY_E10value_typeET2_T3_PNSZ_IS14_E10value_typeET4_jRbjT5_S1A_jjP12ihipStream_tbEUljE_EEESV_SW_SX_S14_S18_S1A_T6_T7_T9_mT8_S1C_bDpT10_ENKUlT_T0_E_clISt17integral_constantIbLb0EES1O_IbLb1EEEEDaS1K_S1L_EUlS1K_E_NS1_11comp_targetILNS1_3genE4ELNS1_11target_archE910ELNS1_3gpuE8ELNS1_3repE0EEENS1_30default_config_static_selectorELNS0_4arch9wavefront6targetE0EEEvSY_.has_dyn_sized_stack, 0
	.set _ZN7rocprim17ROCPRIM_400000_NS6detail17trampoline_kernelINS0_13select_configILj256ELj13ELNS0_17block_load_methodE3ELS4_3ELS4_3ELNS0_20block_scan_algorithmE0ELj4294967295EEENS1_25partition_config_selectorILNS1_17partition_subalgoE3EjNS0_10empty_typeEbEEZZNS1_14partition_implILS8_3ELb0ES6_jNS0_17counting_iteratorIjlEEPS9_SE_NS0_5tupleIJPjSE_EEENSF_IJSE_SE_EEES9_SG_JZNS1_25segmented_radix_sort_implINS0_14default_configELb1EPKsPsPKlPlN2at6native12_GLOBAL__N_18offset_tEEE10hipError_tPvRmT1_PNSt15iterator_traitsISY_E10value_typeET2_T3_PNSZ_IS14_E10value_typeET4_jRbjT5_S1A_jjP12ihipStream_tbEUljE_EEESV_SW_SX_S14_S18_S1A_T6_T7_T9_mT8_S1C_bDpT10_ENKUlT_T0_E_clISt17integral_constantIbLb0EES1O_IbLb1EEEEDaS1K_S1L_EUlS1K_E_NS1_11comp_targetILNS1_3genE4ELNS1_11target_archE910ELNS1_3gpuE8ELNS1_3repE0EEENS1_30default_config_static_selectorELNS0_4arch9wavefront6targetE0EEEvSY_.has_recursion, 0
	.set _ZN7rocprim17ROCPRIM_400000_NS6detail17trampoline_kernelINS0_13select_configILj256ELj13ELNS0_17block_load_methodE3ELS4_3ELS4_3ELNS0_20block_scan_algorithmE0ELj4294967295EEENS1_25partition_config_selectorILNS1_17partition_subalgoE3EjNS0_10empty_typeEbEEZZNS1_14partition_implILS8_3ELb0ES6_jNS0_17counting_iteratorIjlEEPS9_SE_NS0_5tupleIJPjSE_EEENSF_IJSE_SE_EEES9_SG_JZNS1_25segmented_radix_sort_implINS0_14default_configELb1EPKsPsPKlPlN2at6native12_GLOBAL__N_18offset_tEEE10hipError_tPvRmT1_PNSt15iterator_traitsISY_E10value_typeET2_T3_PNSZ_IS14_E10value_typeET4_jRbjT5_S1A_jjP12ihipStream_tbEUljE_EEESV_SW_SX_S14_S18_S1A_T6_T7_T9_mT8_S1C_bDpT10_ENKUlT_T0_E_clISt17integral_constantIbLb0EES1O_IbLb1EEEEDaS1K_S1L_EUlS1K_E_NS1_11comp_targetILNS1_3genE4ELNS1_11target_archE910ELNS1_3gpuE8ELNS1_3repE0EEENS1_30default_config_static_selectorELNS0_4arch9wavefront6targetE0EEEvSY_.has_indirect_call, 0
	.section	.AMDGPU.csdata,"",@progbits
; Kernel info:
; codeLenInByte = 0
; TotalNumSgprs: 0
; NumVgprs: 0
; ScratchSize: 0
; MemoryBound: 0
; FloatMode: 240
; IeeeMode: 1
; LDSByteSize: 0 bytes/workgroup (compile time only)
; SGPRBlocks: 0
; VGPRBlocks: 0
; NumSGPRsForWavesPerEU: 1
; NumVGPRsForWavesPerEU: 1
; Occupancy: 16
; WaveLimiterHint : 0
; COMPUTE_PGM_RSRC2:SCRATCH_EN: 0
; COMPUTE_PGM_RSRC2:USER_SGPR: 6
; COMPUTE_PGM_RSRC2:TRAP_HANDLER: 0
; COMPUTE_PGM_RSRC2:TGID_X_EN: 1
; COMPUTE_PGM_RSRC2:TGID_Y_EN: 0
; COMPUTE_PGM_RSRC2:TGID_Z_EN: 0
; COMPUTE_PGM_RSRC2:TIDIG_COMP_CNT: 0
	.section	.text._ZN7rocprim17ROCPRIM_400000_NS6detail17trampoline_kernelINS0_13select_configILj256ELj13ELNS0_17block_load_methodE3ELS4_3ELS4_3ELNS0_20block_scan_algorithmE0ELj4294967295EEENS1_25partition_config_selectorILNS1_17partition_subalgoE3EjNS0_10empty_typeEbEEZZNS1_14partition_implILS8_3ELb0ES6_jNS0_17counting_iteratorIjlEEPS9_SE_NS0_5tupleIJPjSE_EEENSF_IJSE_SE_EEES9_SG_JZNS1_25segmented_radix_sort_implINS0_14default_configELb1EPKsPsPKlPlN2at6native12_GLOBAL__N_18offset_tEEE10hipError_tPvRmT1_PNSt15iterator_traitsISY_E10value_typeET2_T3_PNSZ_IS14_E10value_typeET4_jRbjT5_S1A_jjP12ihipStream_tbEUljE_EEESV_SW_SX_S14_S18_S1A_T6_T7_T9_mT8_S1C_bDpT10_ENKUlT_T0_E_clISt17integral_constantIbLb0EES1O_IbLb1EEEEDaS1K_S1L_EUlS1K_E_NS1_11comp_targetILNS1_3genE3ELNS1_11target_archE908ELNS1_3gpuE7ELNS1_3repE0EEENS1_30default_config_static_selectorELNS0_4arch9wavefront6targetE0EEEvSY_,"axG",@progbits,_ZN7rocprim17ROCPRIM_400000_NS6detail17trampoline_kernelINS0_13select_configILj256ELj13ELNS0_17block_load_methodE3ELS4_3ELS4_3ELNS0_20block_scan_algorithmE0ELj4294967295EEENS1_25partition_config_selectorILNS1_17partition_subalgoE3EjNS0_10empty_typeEbEEZZNS1_14partition_implILS8_3ELb0ES6_jNS0_17counting_iteratorIjlEEPS9_SE_NS0_5tupleIJPjSE_EEENSF_IJSE_SE_EEES9_SG_JZNS1_25segmented_radix_sort_implINS0_14default_configELb1EPKsPsPKlPlN2at6native12_GLOBAL__N_18offset_tEEE10hipError_tPvRmT1_PNSt15iterator_traitsISY_E10value_typeET2_T3_PNSZ_IS14_E10value_typeET4_jRbjT5_S1A_jjP12ihipStream_tbEUljE_EEESV_SW_SX_S14_S18_S1A_T6_T7_T9_mT8_S1C_bDpT10_ENKUlT_T0_E_clISt17integral_constantIbLb0EES1O_IbLb1EEEEDaS1K_S1L_EUlS1K_E_NS1_11comp_targetILNS1_3genE3ELNS1_11target_archE908ELNS1_3gpuE7ELNS1_3repE0EEENS1_30default_config_static_selectorELNS0_4arch9wavefront6targetE0EEEvSY_,comdat
	.globl	_ZN7rocprim17ROCPRIM_400000_NS6detail17trampoline_kernelINS0_13select_configILj256ELj13ELNS0_17block_load_methodE3ELS4_3ELS4_3ELNS0_20block_scan_algorithmE0ELj4294967295EEENS1_25partition_config_selectorILNS1_17partition_subalgoE3EjNS0_10empty_typeEbEEZZNS1_14partition_implILS8_3ELb0ES6_jNS0_17counting_iteratorIjlEEPS9_SE_NS0_5tupleIJPjSE_EEENSF_IJSE_SE_EEES9_SG_JZNS1_25segmented_radix_sort_implINS0_14default_configELb1EPKsPsPKlPlN2at6native12_GLOBAL__N_18offset_tEEE10hipError_tPvRmT1_PNSt15iterator_traitsISY_E10value_typeET2_T3_PNSZ_IS14_E10value_typeET4_jRbjT5_S1A_jjP12ihipStream_tbEUljE_EEESV_SW_SX_S14_S18_S1A_T6_T7_T9_mT8_S1C_bDpT10_ENKUlT_T0_E_clISt17integral_constantIbLb0EES1O_IbLb1EEEEDaS1K_S1L_EUlS1K_E_NS1_11comp_targetILNS1_3genE3ELNS1_11target_archE908ELNS1_3gpuE7ELNS1_3repE0EEENS1_30default_config_static_selectorELNS0_4arch9wavefront6targetE0EEEvSY_ ; -- Begin function _ZN7rocprim17ROCPRIM_400000_NS6detail17trampoline_kernelINS0_13select_configILj256ELj13ELNS0_17block_load_methodE3ELS4_3ELS4_3ELNS0_20block_scan_algorithmE0ELj4294967295EEENS1_25partition_config_selectorILNS1_17partition_subalgoE3EjNS0_10empty_typeEbEEZZNS1_14partition_implILS8_3ELb0ES6_jNS0_17counting_iteratorIjlEEPS9_SE_NS0_5tupleIJPjSE_EEENSF_IJSE_SE_EEES9_SG_JZNS1_25segmented_radix_sort_implINS0_14default_configELb1EPKsPsPKlPlN2at6native12_GLOBAL__N_18offset_tEEE10hipError_tPvRmT1_PNSt15iterator_traitsISY_E10value_typeET2_T3_PNSZ_IS14_E10value_typeET4_jRbjT5_S1A_jjP12ihipStream_tbEUljE_EEESV_SW_SX_S14_S18_S1A_T6_T7_T9_mT8_S1C_bDpT10_ENKUlT_T0_E_clISt17integral_constantIbLb0EES1O_IbLb1EEEEDaS1K_S1L_EUlS1K_E_NS1_11comp_targetILNS1_3genE3ELNS1_11target_archE908ELNS1_3gpuE7ELNS1_3repE0EEENS1_30default_config_static_selectorELNS0_4arch9wavefront6targetE0EEEvSY_
	.p2align	8
	.type	_ZN7rocprim17ROCPRIM_400000_NS6detail17trampoline_kernelINS0_13select_configILj256ELj13ELNS0_17block_load_methodE3ELS4_3ELS4_3ELNS0_20block_scan_algorithmE0ELj4294967295EEENS1_25partition_config_selectorILNS1_17partition_subalgoE3EjNS0_10empty_typeEbEEZZNS1_14partition_implILS8_3ELb0ES6_jNS0_17counting_iteratorIjlEEPS9_SE_NS0_5tupleIJPjSE_EEENSF_IJSE_SE_EEES9_SG_JZNS1_25segmented_radix_sort_implINS0_14default_configELb1EPKsPsPKlPlN2at6native12_GLOBAL__N_18offset_tEEE10hipError_tPvRmT1_PNSt15iterator_traitsISY_E10value_typeET2_T3_PNSZ_IS14_E10value_typeET4_jRbjT5_S1A_jjP12ihipStream_tbEUljE_EEESV_SW_SX_S14_S18_S1A_T6_T7_T9_mT8_S1C_bDpT10_ENKUlT_T0_E_clISt17integral_constantIbLb0EES1O_IbLb1EEEEDaS1K_S1L_EUlS1K_E_NS1_11comp_targetILNS1_3genE3ELNS1_11target_archE908ELNS1_3gpuE7ELNS1_3repE0EEENS1_30default_config_static_selectorELNS0_4arch9wavefront6targetE0EEEvSY_,@function
_ZN7rocprim17ROCPRIM_400000_NS6detail17trampoline_kernelINS0_13select_configILj256ELj13ELNS0_17block_load_methodE3ELS4_3ELS4_3ELNS0_20block_scan_algorithmE0ELj4294967295EEENS1_25partition_config_selectorILNS1_17partition_subalgoE3EjNS0_10empty_typeEbEEZZNS1_14partition_implILS8_3ELb0ES6_jNS0_17counting_iteratorIjlEEPS9_SE_NS0_5tupleIJPjSE_EEENSF_IJSE_SE_EEES9_SG_JZNS1_25segmented_radix_sort_implINS0_14default_configELb1EPKsPsPKlPlN2at6native12_GLOBAL__N_18offset_tEEE10hipError_tPvRmT1_PNSt15iterator_traitsISY_E10value_typeET2_T3_PNSZ_IS14_E10value_typeET4_jRbjT5_S1A_jjP12ihipStream_tbEUljE_EEESV_SW_SX_S14_S18_S1A_T6_T7_T9_mT8_S1C_bDpT10_ENKUlT_T0_E_clISt17integral_constantIbLb0EES1O_IbLb1EEEEDaS1K_S1L_EUlS1K_E_NS1_11comp_targetILNS1_3genE3ELNS1_11target_archE908ELNS1_3gpuE7ELNS1_3repE0EEENS1_30default_config_static_selectorELNS0_4arch9wavefront6targetE0EEEvSY_: ; @_ZN7rocprim17ROCPRIM_400000_NS6detail17trampoline_kernelINS0_13select_configILj256ELj13ELNS0_17block_load_methodE3ELS4_3ELS4_3ELNS0_20block_scan_algorithmE0ELj4294967295EEENS1_25partition_config_selectorILNS1_17partition_subalgoE3EjNS0_10empty_typeEbEEZZNS1_14partition_implILS8_3ELb0ES6_jNS0_17counting_iteratorIjlEEPS9_SE_NS0_5tupleIJPjSE_EEENSF_IJSE_SE_EEES9_SG_JZNS1_25segmented_radix_sort_implINS0_14default_configELb1EPKsPsPKlPlN2at6native12_GLOBAL__N_18offset_tEEE10hipError_tPvRmT1_PNSt15iterator_traitsISY_E10value_typeET2_T3_PNSZ_IS14_E10value_typeET4_jRbjT5_S1A_jjP12ihipStream_tbEUljE_EEESV_SW_SX_S14_S18_S1A_T6_T7_T9_mT8_S1C_bDpT10_ENKUlT_T0_E_clISt17integral_constantIbLb0EES1O_IbLb1EEEEDaS1K_S1L_EUlS1K_E_NS1_11comp_targetILNS1_3genE3ELNS1_11target_archE908ELNS1_3gpuE7ELNS1_3repE0EEENS1_30default_config_static_selectorELNS0_4arch9wavefront6targetE0EEEvSY_
; %bb.0:
	.section	.rodata,"a",@progbits
	.p2align	6, 0x0
	.amdhsa_kernel _ZN7rocprim17ROCPRIM_400000_NS6detail17trampoline_kernelINS0_13select_configILj256ELj13ELNS0_17block_load_methodE3ELS4_3ELS4_3ELNS0_20block_scan_algorithmE0ELj4294967295EEENS1_25partition_config_selectorILNS1_17partition_subalgoE3EjNS0_10empty_typeEbEEZZNS1_14partition_implILS8_3ELb0ES6_jNS0_17counting_iteratorIjlEEPS9_SE_NS0_5tupleIJPjSE_EEENSF_IJSE_SE_EEES9_SG_JZNS1_25segmented_radix_sort_implINS0_14default_configELb1EPKsPsPKlPlN2at6native12_GLOBAL__N_18offset_tEEE10hipError_tPvRmT1_PNSt15iterator_traitsISY_E10value_typeET2_T3_PNSZ_IS14_E10value_typeET4_jRbjT5_S1A_jjP12ihipStream_tbEUljE_EEESV_SW_SX_S14_S18_S1A_T6_T7_T9_mT8_S1C_bDpT10_ENKUlT_T0_E_clISt17integral_constantIbLb0EES1O_IbLb1EEEEDaS1K_S1L_EUlS1K_E_NS1_11comp_targetILNS1_3genE3ELNS1_11target_archE908ELNS1_3gpuE7ELNS1_3repE0EEENS1_30default_config_static_selectorELNS0_4arch9wavefront6targetE0EEEvSY_
		.amdhsa_group_segment_fixed_size 0
		.amdhsa_private_segment_fixed_size 0
		.amdhsa_kernarg_size 152
		.amdhsa_user_sgpr_count 6
		.amdhsa_user_sgpr_private_segment_buffer 1
		.amdhsa_user_sgpr_dispatch_ptr 0
		.amdhsa_user_sgpr_queue_ptr 0
		.amdhsa_user_sgpr_kernarg_segment_ptr 1
		.amdhsa_user_sgpr_dispatch_id 0
		.amdhsa_user_sgpr_flat_scratch_init 0
		.amdhsa_user_sgpr_private_segment_size 0
		.amdhsa_wavefront_size32 1
		.amdhsa_uses_dynamic_stack 0
		.amdhsa_system_sgpr_private_segment_wavefront_offset 0
		.amdhsa_system_sgpr_workgroup_id_x 1
		.amdhsa_system_sgpr_workgroup_id_y 0
		.amdhsa_system_sgpr_workgroup_id_z 0
		.amdhsa_system_sgpr_workgroup_info 0
		.amdhsa_system_vgpr_workitem_id 0
		.amdhsa_next_free_vgpr 1
		.amdhsa_next_free_sgpr 1
		.amdhsa_reserve_vcc 0
		.amdhsa_reserve_flat_scratch 0
		.amdhsa_float_round_mode_32 0
		.amdhsa_float_round_mode_16_64 0
		.amdhsa_float_denorm_mode_32 3
		.amdhsa_float_denorm_mode_16_64 3
		.amdhsa_dx10_clamp 1
		.amdhsa_ieee_mode 1
		.amdhsa_fp16_overflow 0
		.amdhsa_workgroup_processor_mode 1
		.amdhsa_memory_ordered 1
		.amdhsa_forward_progress 1
		.amdhsa_shared_vgpr_count 0
		.amdhsa_exception_fp_ieee_invalid_op 0
		.amdhsa_exception_fp_denorm_src 0
		.amdhsa_exception_fp_ieee_div_zero 0
		.amdhsa_exception_fp_ieee_overflow 0
		.amdhsa_exception_fp_ieee_underflow 0
		.amdhsa_exception_fp_ieee_inexact 0
		.amdhsa_exception_int_div_zero 0
	.end_amdhsa_kernel
	.section	.text._ZN7rocprim17ROCPRIM_400000_NS6detail17trampoline_kernelINS0_13select_configILj256ELj13ELNS0_17block_load_methodE3ELS4_3ELS4_3ELNS0_20block_scan_algorithmE0ELj4294967295EEENS1_25partition_config_selectorILNS1_17partition_subalgoE3EjNS0_10empty_typeEbEEZZNS1_14partition_implILS8_3ELb0ES6_jNS0_17counting_iteratorIjlEEPS9_SE_NS0_5tupleIJPjSE_EEENSF_IJSE_SE_EEES9_SG_JZNS1_25segmented_radix_sort_implINS0_14default_configELb1EPKsPsPKlPlN2at6native12_GLOBAL__N_18offset_tEEE10hipError_tPvRmT1_PNSt15iterator_traitsISY_E10value_typeET2_T3_PNSZ_IS14_E10value_typeET4_jRbjT5_S1A_jjP12ihipStream_tbEUljE_EEESV_SW_SX_S14_S18_S1A_T6_T7_T9_mT8_S1C_bDpT10_ENKUlT_T0_E_clISt17integral_constantIbLb0EES1O_IbLb1EEEEDaS1K_S1L_EUlS1K_E_NS1_11comp_targetILNS1_3genE3ELNS1_11target_archE908ELNS1_3gpuE7ELNS1_3repE0EEENS1_30default_config_static_selectorELNS0_4arch9wavefront6targetE0EEEvSY_,"axG",@progbits,_ZN7rocprim17ROCPRIM_400000_NS6detail17trampoline_kernelINS0_13select_configILj256ELj13ELNS0_17block_load_methodE3ELS4_3ELS4_3ELNS0_20block_scan_algorithmE0ELj4294967295EEENS1_25partition_config_selectorILNS1_17partition_subalgoE3EjNS0_10empty_typeEbEEZZNS1_14partition_implILS8_3ELb0ES6_jNS0_17counting_iteratorIjlEEPS9_SE_NS0_5tupleIJPjSE_EEENSF_IJSE_SE_EEES9_SG_JZNS1_25segmented_radix_sort_implINS0_14default_configELb1EPKsPsPKlPlN2at6native12_GLOBAL__N_18offset_tEEE10hipError_tPvRmT1_PNSt15iterator_traitsISY_E10value_typeET2_T3_PNSZ_IS14_E10value_typeET4_jRbjT5_S1A_jjP12ihipStream_tbEUljE_EEESV_SW_SX_S14_S18_S1A_T6_T7_T9_mT8_S1C_bDpT10_ENKUlT_T0_E_clISt17integral_constantIbLb0EES1O_IbLb1EEEEDaS1K_S1L_EUlS1K_E_NS1_11comp_targetILNS1_3genE3ELNS1_11target_archE908ELNS1_3gpuE7ELNS1_3repE0EEENS1_30default_config_static_selectorELNS0_4arch9wavefront6targetE0EEEvSY_,comdat
.Lfunc_end900:
	.size	_ZN7rocprim17ROCPRIM_400000_NS6detail17trampoline_kernelINS0_13select_configILj256ELj13ELNS0_17block_load_methodE3ELS4_3ELS4_3ELNS0_20block_scan_algorithmE0ELj4294967295EEENS1_25partition_config_selectorILNS1_17partition_subalgoE3EjNS0_10empty_typeEbEEZZNS1_14partition_implILS8_3ELb0ES6_jNS0_17counting_iteratorIjlEEPS9_SE_NS0_5tupleIJPjSE_EEENSF_IJSE_SE_EEES9_SG_JZNS1_25segmented_radix_sort_implINS0_14default_configELb1EPKsPsPKlPlN2at6native12_GLOBAL__N_18offset_tEEE10hipError_tPvRmT1_PNSt15iterator_traitsISY_E10value_typeET2_T3_PNSZ_IS14_E10value_typeET4_jRbjT5_S1A_jjP12ihipStream_tbEUljE_EEESV_SW_SX_S14_S18_S1A_T6_T7_T9_mT8_S1C_bDpT10_ENKUlT_T0_E_clISt17integral_constantIbLb0EES1O_IbLb1EEEEDaS1K_S1L_EUlS1K_E_NS1_11comp_targetILNS1_3genE3ELNS1_11target_archE908ELNS1_3gpuE7ELNS1_3repE0EEENS1_30default_config_static_selectorELNS0_4arch9wavefront6targetE0EEEvSY_, .Lfunc_end900-_ZN7rocprim17ROCPRIM_400000_NS6detail17trampoline_kernelINS0_13select_configILj256ELj13ELNS0_17block_load_methodE3ELS4_3ELS4_3ELNS0_20block_scan_algorithmE0ELj4294967295EEENS1_25partition_config_selectorILNS1_17partition_subalgoE3EjNS0_10empty_typeEbEEZZNS1_14partition_implILS8_3ELb0ES6_jNS0_17counting_iteratorIjlEEPS9_SE_NS0_5tupleIJPjSE_EEENSF_IJSE_SE_EEES9_SG_JZNS1_25segmented_radix_sort_implINS0_14default_configELb1EPKsPsPKlPlN2at6native12_GLOBAL__N_18offset_tEEE10hipError_tPvRmT1_PNSt15iterator_traitsISY_E10value_typeET2_T3_PNSZ_IS14_E10value_typeET4_jRbjT5_S1A_jjP12ihipStream_tbEUljE_EEESV_SW_SX_S14_S18_S1A_T6_T7_T9_mT8_S1C_bDpT10_ENKUlT_T0_E_clISt17integral_constantIbLb0EES1O_IbLb1EEEEDaS1K_S1L_EUlS1K_E_NS1_11comp_targetILNS1_3genE3ELNS1_11target_archE908ELNS1_3gpuE7ELNS1_3repE0EEENS1_30default_config_static_selectorELNS0_4arch9wavefront6targetE0EEEvSY_
                                        ; -- End function
	.set _ZN7rocprim17ROCPRIM_400000_NS6detail17trampoline_kernelINS0_13select_configILj256ELj13ELNS0_17block_load_methodE3ELS4_3ELS4_3ELNS0_20block_scan_algorithmE0ELj4294967295EEENS1_25partition_config_selectorILNS1_17partition_subalgoE3EjNS0_10empty_typeEbEEZZNS1_14partition_implILS8_3ELb0ES6_jNS0_17counting_iteratorIjlEEPS9_SE_NS0_5tupleIJPjSE_EEENSF_IJSE_SE_EEES9_SG_JZNS1_25segmented_radix_sort_implINS0_14default_configELb1EPKsPsPKlPlN2at6native12_GLOBAL__N_18offset_tEEE10hipError_tPvRmT1_PNSt15iterator_traitsISY_E10value_typeET2_T3_PNSZ_IS14_E10value_typeET4_jRbjT5_S1A_jjP12ihipStream_tbEUljE_EEESV_SW_SX_S14_S18_S1A_T6_T7_T9_mT8_S1C_bDpT10_ENKUlT_T0_E_clISt17integral_constantIbLb0EES1O_IbLb1EEEEDaS1K_S1L_EUlS1K_E_NS1_11comp_targetILNS1_3genE3ELNS1_11target_archE908ELNS1_3gpuE7ELNS1_3repE0EEENS1_30default_config_static_selectorELNS0_4arch9wavefront6targetE0EEEvSY_.num_vgpr, 0
	.set _ZN7rocprim17ROCPRIM_400000_NS6detail17trampoline_kernelINS0_13select_configILj256ELj13ELNS0_17block_load_methodE3ELS4_3ELS4_3ELNS0_20block_scan_algorithmE0ELj4294967295EEENS1_25partition_config_selectorILNS1_17partition_subalgoE3EjNS0_10empty_typeEbEEZZNS1_14partition_implILS8_3ELb0ES6_jNS0_17counting_iteratorIjlEEPS9_SE_NS0_5tupleIJPjSE_EEENSF_IJSE_SE_EEES9_SG_JZNS1_25segmented_radix_sort_implINS0_14default_configELb1EPKsPsPKlPlN2at6native12_GLOBAL__N_18offset_tEEE10hipError_tPvRmT1_PNSt15iterator_traitsISY_E10value_typeET2_T3_PNSZ_IS14_E10value_typeET4_jRbjT5_S1A_jjP12ihipStream_tbEUljE_EEESV_SW_SX_S14_S18_S1A_T6_T7_T9_mT8_S1C_bDpT10_ENKUlT_T0_E_clISt17integral_constantIbLb0EES1O_IbLb1EEEEDaS1K_S1L_EUlS1K_E_NS1_11comp_targetILNS1_3genE3ELNS1_11target_archE908ELNS1_3gpuE7ELNS1_3repE0EEENS1_30default_config_static_selectorELNS0_4arch9wavefront6targetE0EEEvSY_.num_agpr, 0
	.set _ZN7rocprim17ROCPRIM_400000_NS6detail17trampoline_kernelINS0_13select_configILj256ELj13ELNS0_17block_load_methodE3ELS4_3ELS4_3ELNS0_20block_scan_algorithmE0ELj4294967295EEENS1_25partition_config_selectorILNS1_17partition_subalgoE3EjNS0_10empty_typeEbEEZZNS1_14partition_implILS8_3ELb0ES6_jNS0_17counting_iteratorIjlEEPS9_SE_NS0_5tupleIJPjSE_EEENSF_IJSE_SE_EEES9_SG_JZNS1_25segmented_radix_sort_implINS0_14default_configELb1EPKsPsPKlPlN2at6native12_GLOBAL__N_18offset_tEEE10hipError_tPvRmT1_PNSt15iterator_traitsISY_E10value_typeET2_T3_PNSZ_IS14_E10value_typeET4_jRbjT5_S1A_jjP12ihipStream_tbEUljE_EEESV_SW_SX_S14_S18_S1A_T6_T7_T9_mT8_S1C_bDpT10_ENKUlT_T0_E_clISt17integral_constantIbLb0EES1O_IbLb1EEEEDaS1K_S1L_EUlS1K_E_NS1_11comp_targetILNS1_3genE3ELNS1_11target_archE908ELNS1_3gpuE7ELNS1_3repE0EEENS1_30default_config_static_selectorELNS0_4arch9wavefront6targetE0EEEvSY_.numbered_sgpr, 0
	.set _ZN7rocprim17ROCPRIM_400000_NS6detail17trampoline_kernelINS0_13select_configILj256ELj13ELNS0_17block_load_methodE3ELS4_3ELS4_3ELNS0_20block_scan_algorithmE0ELj4294967295EEENS1_25partition_config_selectorILNS1_17partition_subalgoE3EjNS0_10empty_typeEbEEZZNS1_14partition_implILS8_3ELb0ES6_jNS0_17counting_iteratorIjlEEPS9_SE_NS0_5tupleIJPjSE_EEENSF_IJSE_SE_EEES9_SG_JZNS1_25segmented_radix_sort_implINS0_14default_configELb1EPKsPsPKlPlN2at6native12_GLOBAL__N_18offset_tEEE10hipError_tPvRmT1_PNSt15iterator_traitsISY_E10value_typeET2_T3_PNSZ_IS14_E10value_typeET4_jRbjT5_S1A_jjP12ihipStream_tbEUljE_EEESV_SW_SX_S14_S18_S1A_T6_T7_T9_mT8_S1C_bDpT10_ENKUlT_T0_E_clISt17integral_constantIbLb0EES1O_IbLb1EEEEDaS1K_S1L_EUlS1K_E_NS1_11comp_targetILNS1_3genE3ELNS1_11target_archE908ELNS1_3gpuE7ELNS1_3repE0EEENS1_30default_config_static_selectorELNS0_4arch9wavefront6targetE0EEEvSY_.num_named_barrier, 0
	.set _ZN7rocprim17ROCPRIM_400000_NS6detail17trampoline_kernelINS0_13select_configILj256ELj13ELNS0_17block_load_methodE3ELS4_3ELS4_3ELNS0_20block_scan_algorithmE0ELj4294967295EEENS1_25partition_config_selectorILNS1_17partition_subalgoE3EjNS0_10empty_typeEbEEZZNS1_14partition_implILS8_3ELb0ES6_jNS0_17counting_iteratorIjlEEPS9_SE_NS0_5tupleIJPjSE_EEENSF_IJSE_SE_EEES9_SG_JZNS1_25segmented_radix_sort_implINS0_14default_configELb1EPKsPsPKlPlN2at6native12_GLOBAL__N_18offset_tEEE10hipError_tPvRmT1_PNSt15iterator_traitsISY_E10value_typeET2_T3_PNSZ_IS14_E10value_typeET4_jRbjT5_S1A_jjP12ihipStream_tbEUljE_EEESV_SW_SX_S14_S18_S1A_T6_T7_T9_mT8_S1C_bDpT10_ENKUlT_T0_E_clISt17integral_constantIbLb0EES1O_IbLb1EEEEDaS1K_S1L_EUlS1K_E_NS1_11comp_targetILNS1_3genE3ELNS1_11target_archE908ELNS1_3gpuE7ELNS1_3repE0EEENS1_30default_config_static_selectorELNS0_4arch9wavefront6targetE0EEEvSY_.private_seg_size, 0
	.set _ZN7rocprim17ROCPRIM_400000_NS6detail17trampoline_kernelINS0_13select_configILj256ELj13ELNS0_17block_load_methodE3ELS4_3ELS4_3ELNS0_20block_scan_algorithmE0ELj4294967295EEENS1_25partition_config_selectorILNS1_17partition_subalgoE3EjNS0_10empty_typeEbEEZZNS1_14partition_implILS8_3ELb0ES6_jNS0_17counting_iteratorIjlEEPS9_SE_NS0_5tupleIJPjSE_EEENSF_IJSE_SE_EEES9_SG_JZNS1_25segmented_radix_sort_implINS0_14default_configELb1EPKsPsPKlPlN2at6native12_GLOBAL__N_18offset_tEEE10hipError_tPvRmT1_PNSt15iterator_traitsISY_E10value_typeET2_T3_PNSZ_IS14_E10value_typeET4_jRbjT5_S1A_jjP12ihipStream_tbEUljE_EEESV_SW_SX_S14_S18_S1A_T6_T7_T9_mT8_S1C_bDpT10_ENKUlT_T0_E_clISt17integral_constantIbLb0EES1O_IbLb1EEEEDaS1K_S1L_EUlS1K_E_NS1_11comp_targetILNS1_3genE3ELNS1_11target_archE908ELNS1_3gpuE7ELNS1_3repE0EEENS1_30default_config_static_selectorELNS0_4arch9wavefront6targetE0EEEvSY_.uses_vcc, 0
	.set _ZN7rocprim17ROCPRIM_400000_NS6detail17trampoline_kernelINS0_13select_configILj256ELj13ELNS0_17block_load_methodE3ELS4_3ELS4_3ELNS0_20block_scan_algorithmE0ELj4294967295EEENS1_25partition_config_selectorILNS1_17partition_subalgoE3EjNS0_10empty_typeEbEEZZNS1_14partition_implILS8_3ELb0ES6_jNS0_17counting_iteratorIjlEEPS9_SE_NS0_5tupleIJPjSE_EEENSF_IJSE_SE_EEES9_SG_JZNS1_25segmented_radix_sort_implINS0_14default_configELb1EPKsPsPKlPlN2at6native12_GLOBAL__N_18offset_tEEE10hipError_tPvRmT1_PNSt15iterator_traitsISY_E10value_typeET2_T3_PNSZ_IS14_E10value_typeET4_jRbjT5_S1A_jjP12ihipStream_tbEUljE_EEESV_SW_SX_S14_S18_S1A_T6_T7_T9_mT8_S1C_bDpT10_ENKUlT_T0_E_clISt17integral_constantIbLb0EES1O_IbLb1EEEEDaS1K_S1L_EUlS1K_E_NS1_11comp_targetILNS1_3genE3ELNS1_11target_archE908ELNS1_3gpuE7ELNS1_3repE0EEENS1_30default_config_static_selectorELNS0_4arch9wavefront6targetE0EEEvSY_.uses_flat_scratch, 0
	.set _ZN7rocprim17ROCPRIM_400000_NS6detail17trampoline_kernelINS0_13select_configILj256ELj13ELNS0_17block_load_methodE3ELS4_3ELS4_3ELNS0_20block_scan_algorithmE0ELj4294967295EEENS1_25partition_config_selectorILNS1_17partition_subalgoE3EjNS0_10empty_typeEbEEZZNS1_14partition_implILS8_3ELb0ES6_jNS0_17counting_iteratorIjlEEPS9_SE_NS0_5tupleIJPjSE_EEENSF_IJSE_SE_EEES9_SG_JZNS1_25segmented_radix_sort_implINS0_14default_configELb1EPKsPsPKlPlN2at6native12_GLOBAL__N_18offset_tEEE10hipError_tPvRmT1_PNSt15iterator_traitsISY_E10value_typeET2_T3_PNSZ_IS14_E10value_typeET4_jRbjT5_S1A_jjP12ihipStream_tbEUljE_EEESV_SW_SX_S14_S18_S1A_T6_T7_T9_mT8_S1C_bDpT10_ENKUlT_T0_E_clISt17integral_constantIbLb0EES1O_IbLb1EEEEDaS1K_S1L_EUlS1K_E_NS1_11comp_targetILNS1_3genE3ELNS1_11target_archE908ELNS1_3gpuE7ELNS1_3repE0EEENS1_30default_config_static_selectorELNS0_4arch9wavefront6targetE0EEEvSY_.has_dyn_sized_stack, 0
	.set _ZN7rocprim17ROCPRIM_400000_NS6detail17trampoline_kernelINS0_13select_configILj256ELj13ELNS0_17block_load_methodE3ELS4_3ELS4_3ELNS0_20block_scan_algorithmE0ELj4294967295EEENS1_25partition_config_selectorILNS1_17partition_subalgoE3EjNS0_10empty_typeEbEEZZNS1_14partition_implILS8_3ELb0ES6_jNS0_17counting_iteratorIjlEEPS9_SE_NS0_5tupleIJPjSE_EEENSF_IJSE_SE_EEES9_SG_JZNS1_25segmented_radix_sort_implINS0_14default_configELb1EPKsPsPKlPlN2at6native12_GLOBAL__N_18offset_tEEE10hipError_tPvRmT1_PNSt15iterator_traitsISY_E10value_typeET2_T3_PNSZ_IS14_E10value_typeET4_jRbjT5_S1A_jjP12ihipStream_tbEUljE_EEESV_SW_SX_S14_S18_S1A_T6_T7_T9_mT8_S1C_bDpT10_ENKUlT_T0_E_clISt17integral_constantIbLb0EES1O_IbLb1EEEEDaS1K_S1L_EUlS1K_E_NS1_11comp_targetILNS1_3genE3ELNS1_11target_archE908ELNS1_3gpuE7ELNS1_3repE0EEENS1_30default_config_static_selectorELNS0_4arch9wavefront6targetE0EEEvSY_.has_recursion, 0
	.set _ZN7rocprim17ROCPRIM_400000_NS6detail17trampoline_kernelINS0_13select_configILj256ELj13ELNS0_17block_load_methodE3ELS4_3ELS4_3ELNS0_20block_scan_algorithmE0ELj4294967295EEENS1_25partition_config_selectorILNS1_17partition_subalgoE3EjNS0_10empty_typeEbEEZZNS1_14partition_implILS8_3ELb0ES6_jNS0_17counting_iteratorIjlEEPS9_SE_NS0_5tupleIJPjSE_EEENSF_IJSE_SE_EEES9_SG_JZNS1_25segmented_radix_sort_implINS0_14default_configELb1EPKsPsPKlPlN2at6native12_GLOBAL__N_18offset_tEEE10hipError_tPvRmT1_PNSt15iterator_traitsISY_E10value_typeET2_T3_PNSZ_IS14_E10value_typeET4_jRbjT5_S1A_jjP12ihipStream_tbEUljE_EEESV_SW_SX_S14_S18_S1A_T6_T7_T9_mT8_S1C_bDpT10_ENKUlT_T0_E_clISt17integral_constantIbLb0EES1O_IbLb1EEEEDaS1K_S1L_EUlS1K_E_NS1_11comp_targetILNS1_3genE3ELNS1_11target_archE908ELNS1_3gpuE7ELNS1_3repE0EEENS1_30default_config_static_selectorELNS0_4arch9wavefront6targetE0EEEvSY_.has_indirect_call, 0
	.section	.AMDGPU.csdata,"",@progbits
; Kernel info:
; codeLenInByte = 0
; TotalNumSgprs: 0
; NumVgprs: 0
; ScratchSize: 0
; MemoryBound: 0
; FloatMode: 240
; IeeeMode: 1
; LDSByteSize: 0 bytes/workgroup (compile time only)
; SGPRBlocks: 0
; VGPRBlocks: 0
; NumSGPRsForWavesPerEU: 1
; NumVGPRsForWavesPerEU: 1
; Occupancy: 16
; WaveLimiterHint : 0
; COMPUTE_PGM_RSRC2:SCRATCH_EN: 0
; COMPUTE_PGM_RSRC2:USER_SGPR: 6
; COMPUTE_PGM_RSRC2:TRAP_HANDLER: 0
; COMPUTE_PGM_RSRC2:TGID_X_EN: 1
; COMPUTE_PGM_RSRC2:TGID_Y_EN: 0
; COMPUTE_PGM_RSRC2:TGID_Z_EN: 0
; COMPUTE_PGM_RSRC2:TIDIG_COMP_CNT: 0
	.section	.text._ZN7rocprim17ROCPRIM_400000_NS6detail17trampoline_kernelINS0_13select_configILj256ELj13ELNS0_17block_load_methodE3ELS4_3ELS4_3ELNS0_20block_scan_algorithmE0ELj4294967295EEENS1_25partition_config_selectorILNS1_17partition_subalgoE3EjNS0_10empty_typeEbEEZZNS1_14partition_implILS8_3ELb0ES6_jNS0_17counting_iteratorIjlEEPS9_SE_NS0_5tupleIJPjSE_EEENSF_IJSE_SE_EEES9_SG_JZNS1_25segmented_radix_sort_implINS0_14default_configELb1EPKsPsPKlPlN2at6native12_GLOBAL__N_18offset_tEEE10hipError_tPvRmT1_PNSt15iterator_traitsISY_E10value_typeET2_T3_PNSZ_IS14_E10value_typeET4_jRbjT5_S1A_jjP12ihipStream_tbEUljE_EEESV_SW_SX_S14_S18_S1A_T6_T7_T9_mT8_S1C_bDpT10_ENKUlT_T0_E_clISt17integral_constantIbLb0EES1O_IbLb1EEEEDaS1K_S1L_EUlS1K_E_NS1_11comp_targetILNS1_3genE2ELNS1_11target_archE906ELNS1_3gpuE6ELNS1_3repE0EEENS1_30default_config_static_selectorELNS0_4arch9wavefront6targetE0EEEvSY_,"axG",@progbits,_ZN7rocprim17ROCPRIM_400000_NS6detail17trampoline_kernelINS0_13select_configILj256ELj13ELNS0_17block_load_methodE3ELS4_3ELS4_3ELNS0_20block_scan_algorithmE0ELj4294967295EEENS1_25partition_config_selectorILNS1_17partition_subalgoE3EjNS0_10empty_typeEbEEZZNS1_14partition_implILS8_3ELb0ES6_jNS0_17counting_iteratorIjlEEPS9_SE_NS0_5tupleIJPjSE_EEENSF_IJSE_SE_EEES9_SG_JZNS1_25segmented_radix_sort_implINS0_14default_configELb1EPKsPsPKlPlN2at6native12_GLOBAL__N_18offset_tEEE10hipError_tPvRmT1_PNSt15iterator_traitsISY_E10value_typeET2_T3_PNSZ_IS14_E10value_typeET4_jRbjT5_S1A_jjP12ihipStream_tbEUljE_EEESV_SW_SX_S14_S18_S1A_T6_T7_T9_mT8_S1C_bDpT10_ENKUlT_T0_E_clISt17integral_constantIbLb0EES1O_IbLb1EEEEDaS1K_S1L_EUlS1K_E_NS1_11comp_targetILNS1_3genE2ELNS1_11target_archE906ELNS1_3gpuE6ELNS1_3repE0EEENS1_30default_config_static_selectorELNS0_4arch9wavefront6targetE0EEEvSY_,comdat
	.globl	_ZN7rocprim17ROCPRIM_400000_NS6detail17trampoline_kernelINS0_13select_configILj256ELj13ELNS0_17block_load_methodE3ELS4_3ELS4_3ELNS0_20block_scan_algorithmE0ELj4294967295EEENS1_25partition_config_selectorILNS1_17partition_subalgoE3EjNS0_10empty_typeEbEEZZNS1_14partition_implILS8_3ELb0ES6_jNS0_17counting_iteratorIjlEEPS9_SE_NS0_5tupleIJPjSE_EEENSF_IJSE_SE_EEES9_SG_JZNS1_25segmented_radix_sort_implINS0_14default_configELb1EPKsPsPKlPlN2at6native12_GLOBAL__N_18offset_tEEE10hipError_tPvRmT1_PNSt15iterator_traitsISY_E10value_typeET2_T3_PNSZ_IS14_E10value_typeET4_jRbjT5_S1A_jjP12ihipStream_tbEUljE_EEESV_SW_SX_S14_S18_S1A_T6_T7_T9_mT8_S1C_bDpT10_ENKUlT_T0_E_clISt17integral_constantIbLb0EES1O_IbLb1EEEEDaS1K_S1L_EUlS1K_E_NS1_11comp_targetILNS1_3genE2ELNS1_11target_archE906ELNS1_3gpuE6ELNS1_3repE0EEENS1_30default_config_static_selectorELNS0_4arch9wavefront6targetE0EEEvSY_ ; -- Begin function _ZN7rocprim17ROCPRIM_400000_NS6detail17trampoline_kernelINS0_13select_configILj256ELj13ELNS0_17block_load_methodE3ELS4_3ELS4_3ELNS0_20block_scan_algorithmE0ELj4294967295EEENS1_25partition_config_selectorILNS1_17partition_subalgoE3EjNS0_10empty_typeEbEEZZNS1_14partition_implILS8_3ELb0ES6_jNS0_17counting_iteratorIjlEEPS9_SE_NS0_5tupleIJPjSE_EEENSF_IJSE_SE_EEES9_SG_JZNS1_25segmented_radix_sort_implINS0_14default_configELb1EPKsPsPKlPlN2at6native12_GLOBAL__N_18offset_tEEE10hipError_tPvRmT1_PNSt15iterator_traitsISY_E10value_typeET2_T3_PNSZ_IS14_E10value_typeET4_jRbjT5_S1A_jjP12ihipStream_tbEUljE_EEESV_SW_SX_S14_S18_S1A_T6_T7_T9_mT8_S1C_bDpT10_ENKUlT_T0_E_clISt17integral_constantIbLb0EES1O_IbLb1EEEEDaS1K_S1L_EUlS1K_E_NS1_11comp_targetILNS1_3genE2ELNS1_11target_archE906ELNS1_3gpuE6ELNS1_3repE0EEENS1_30default_config_static_selectorELNS0_4arch9wavefront6targetE0EEEvSY_
	.p2align	8
	.type	_ZN7rocprim17ROCPRIM_400000_NS6detail17trampoline_kernelINS0_13select_configILj256ELj13ELNS0_17block_load_methodE3ELS4_3ELS4_3ELNS0_20block_scan_algorithmE0ELj4294967295EEENS1_25partition_config_selectorILNS1_17partition_subalgoE3EjNS0_10empty_typeEbEEZZNS1_14partition_implILS8_3ELb0ES6_jNS0_17counting_iteratorIjlEEPS9_SE_NS0_5tupleIJPjSE_EEENSF_IJSE_SE_EEES9_SG_JZNS1_25segmented_radix_sort_implINS0_14default_configELb1EPKsPsPKlPlN2at6native12_GLOBAL__N_18offset_tEEE10hipError_tPvRmT1_PNSt15iterator_traitsISY_E10value_typeET2_T3_PNSZ_IS14_E10value_typeET4_jRbjT5_S1A_jjP12ihipStream_tbEUljE_EEESV_SW_SX_S14_S18_S1A_T6_T7_T9_mT8_S1C_bDpT10_ENKUlT_T0_E_clISt17integral_constantIbLb0EES1O_IbLb1EEEEDaS1K_S1L_EUlS1K_E_NS1_11comp_targetILNS1_3genE2ELNS1_11target_archE906ELNS1_3gpuE6ELNS1_3repE0EEENS1_30default_config_static_selectorELNS0_4arch9wavefront6targetE0EEEvSY_,@function
_ZN7rocprim17ROCPRIM_400000_NS6detail17trampoline_kernelINS0_13select_configILj256ELj13ELNS0_17block_load_methodE3ELS4_3ELS4_3ELNS0_20block_scan_algorithmE0ELj4294967295EEENS1_25partition_config_selectorILNS1_17partition_subalgoE3EjNS0_10empty_typeEbEEZZNS1_14partition_implILS8_3ELb0ES6_jNS0_17counting_iteratorIjlEEPS9_SE_NS0_5tupleIJPjSE_EEENSF_IJSE_SE_EEES9_SG_JZNS1_25segmented_radix_sort_implINS0_14default_configELb1EPKsPsPKlPlN2at6native12_GLOBAL__N_18offset_tEEE10hipError_tPvRmT1_PNSt15iterator_traitsISY_E10value_typeET2_T3_PNSZ_IS14_E10value_typeET4_jRbjT5_S1A_jjP12ihipStream_tbEUljE_EEESV_SW_SX_S14_S18_S1A_T6_T7_T9_mT8_S1C_bDpT10_ENKUlT_T0_E_clISt17integral_constantIbLb0EES1O_IbLb1EEEEDaS1K_S1L_EUlS1K_E_NS1_11comp_targetILNS1_3genE2ELNS1_11target_archE906ELNS1_3gpuE6ELNS1_3repE0EEENS1_30default_config_static_selectorELNS0_4arch9wavefront6targetE0EEEvSY_: ; @_ZN7rocprim17ROCPRIM_400000_NS6detail17trampoline_kernelINS0_13select_configILj256ELj13ELNS0_17block_load_methodE3ELS4_3ELS4_3ELNS0_20block_scan_algorithmE0ELj4294967295EEENS1_25partition_config_selectorILNS1_17partition_subalgoE3EjNS0_10empty_typeEbEEZZNS1_14partition_implILS8_3ELb0ES6_jNS0_17counting_iteratorIjlEEPS9_SE_NS0_5tupleIJPjSE_EEENSF_IJSE_SE_EEES9_SG_JZNS1_25segmented_radix_sort_implINS0_14default_configELb1EPKsPsPKlPlN2at6native12_GLOBAL__N_18offset_tEEE10hipError_tPvRmT1_PNSt15iterator_traitsISY_E10value_typeET2_T3_PNSZ_IS14_E10value_typeET4_jRbjT5_S1A_jjP12ihipStream_tbEUljE_EEESV_SW_SX_S14_S18_S1A_T6_T7_T9_mT8_S1C_bDpT10_ENKUlT_T0_E_clISt17integral_constantIbLb0EES1O_IbLb1EEEEDaS1K_S1L_EUlS1K_E_NS1_11comp_targetILNS1_3genE2ELNS1_11target_archE906ELNS1_3gpuE6ELNS1_3repE0EEENS1_30default_config_static_selectorELNS0_4arch9wavefront6targetE0EEEvSY_
; %bb.0:
	.section	.rodata,"a",@progbits
	.p2align	6, 0x0
	.amdhsa_kernel _ZN7rocprim17ROCPRIM_400000_NS6detail17trampoline_kernelINS0_13select_configILj256ELj13ELNS0_17block_load_methodE3ELS4_3ELS4_3ELNS0_20block_scan_algorithmE0ELj4294967295EEENS1_25partition_config_selectorILNS1_17partition_subalgoE3EjNS0_10empty_typeEbEEZZNS1_14partition_implILS8_3ELb0ES6_jNS0_17counting_iteratorIjlEEPS9_SE_NS0_5tupleIJPjSE_EEENSF_IJSE_SE_EEES9_SG_JZNS1_25segmented_radix_sort_implINS0_14default_configELb1EPKsPsPKlPlN2at6native12_GLOBAL__N_18offset_tEEE10hipError_tPvRmT1_PNSt15iterator_traitsISY_E10value_typeET2_T3_PNSZ_IS14_E10value_typeET4_jRbjT5_S1A_jjP12ihipStream_tbEUljE_EEESV_SW_SX_S14_S18_S1A_T6_T7_T9_mT8_S1C_bDpT10_ENKUlT_T0_E_clISt17integral_constantIbLb0EES1O_IbLb1EEEEDaS1K_S1L_EUlS1K_E_NS1_11comp_targetILNS1_3genE2ELNS1_11target_archE906ELNS1_3gpuE6ELNS1_3repE0EEENS1_30default_config_static_selectorELNS0_4arch9wavefront6targetE0EEEvSY_
		.amdhsa_group_segment_fixed_size 0
		.amdhsa_private_segment_fixed_size 0
		.amdhsa_kernarg_size 152
		.amdhsa_user_sgpr_count 6
		.amdhsa_user_sgpr_private_segment_buffer 1
		.amdhsa_user_sgpr_dispatch_ptr 0
		.amdhsa_user_sgpr_queue_ptr 0
		.amdhsa_user_sgpr_kernarg_segment_ptr 1
		.amdhsa_user_sgpr_dispatch_id 0
		.amdhsa_user_sgpr_flat_scratch_init 0
		.amdhsa_user_sgpr_private_segment_size 0
		.amdhsa_wavefront_size32 1
		.amdhsa_uses_dynamic_stack 0
		.amdhsa_system_sgpr_private_segment_wavefront_offset 0
		.amdhsa_system_sgpr_workgroup_id_x 1
		.amdhsa_system_sgpr_workgroup_id_y 0
		.amdhsa_system_sgpr_workgroup_id_z 0
		.amdhsa_system_sgpr_workgroup_info 0
		.amdhsa_system_vgpr_workitem_id 0
		.amdhsa_next_free_vgpr 1
		.amdhsa_next_free_sgpr 1
		.amdhsa_reserve_vcc 0
		.amdhsa_reserve_flat_scratch 0
		.amdhsa_float_round_mode_32 0
		.amdhsa_float_round_mode_16_64 0
		.amdhsa_float_denorm_mode_32 3
		.amdhsa_float_denorm_mode_16_64 3
		.amdhsa_dx10_clamp 1
		.amdhsa_ieee_mode 1
		.amdhsa_fp16_overflow 0
		.amdhsa_workgroup_processor_mode 1
		.amdhsa_memory_ordered 1
		.amdhsa_forward_progress 1
		.amdhsa_shared_vgpr_count 0
		.amdhsa_exception_fp_ieee_invalid_op 0
		.amdhsa_exception_fp_denorm_src 0
		.amdhsa_exception_fp_ieee_div_zero 0
		.amdhsa_exception_fp_ieee_overflow 0
		.amdhsa_exception_fp_ieee_underflow 0
		.amdhsa_exception_fp_ieee_inexact 0
		.amdhsa_exception_int_div_zero 0
	.end_amdhsa_kernel
	.section	.text._ZN7rocprim17ROCPRIM_400000_NS6detail17trampoline_kernelINS0_13select_configILj256ELj13ELNS0_17block_load_methodE3ELS4_3ELS4_3ELNS0_20block_scan_algorithmE0ELj4294967295EEENS1_25partition_config_selectorILNS1_17partition_subalgoE3EjNS0_10empty_typeEbEEZZNS1_14partition_implILS8_3ELb0ES6_jNS0_17counting_iteratorIjlEEPS9_SE_NS0_5tupleIJPjSE_EEENSF_IJSE_SE_EEES9_SG_JZNS1_25segmented_radix_sort_implINS0_14default_configELb1EPKsPsPKlPlN2at6native12_GLOBAL__N_18offset_tEEE10hipError_tPvRmT1_PNSt15iterator_traitsISY_E10value_typeET2_T3_PNSZ_IS14_E10value_typeET4_jRbjT5_S1A_jjP12ihipStream_tbEUljE_EEESV_SW_SX_S14_S18_S1A_T6_T7_T9_mT8_S1C_bDpT10_ENKUlT_T0_E_clISt17integral_constantIbLb0EES1O_IbLb1EEEEDaS1K_S1L_EUlS1K_E_NS1_11comp_targetILNS1_3genE2ELNS1_11target_archE906ELNS1_3gpuE6ELNS1_3repE0EEENS1_30default_config_static_selectorELNS0_4arch9wavefront6targetE0EEEvSY_,"axG",@progbits,_ZN7rocprim17ROCPRIM_400000_NS6detail17trampoline_kernelINS0_13select_configILj256ELj13ELNS0_17block_load_methodE3ELS4_3ELS4_3ELNS0_20block_scan_algorithmE0ELj4294967295EEENS1_25partition_config_selectorILNS1_17partition_subalgoE3EjNS0_10empty_typeEbEEZZNS1_14partition_implILS8_3ELb0ES6_jNS0_17counting_iteratorIjlEEPS9_SE_NS0_5tupleIJPjSE_EEENSF_IJSE_SE_EEES9_SG_JZNS1_25segmented_radix_sort_implINS0_14default_configELb1EPKsPsPKlPlN2at6native12_GLOBAL__N_18offset_tEEE10hipError_tPvRmT1_PNSt15iterator_traitsISY_E10value_typeET2_T3_PNSZ_IS14_E10value_typeET4_jRbjT5_S1A_jjP12ihipStream_tbEUljE_EEESV_SW_SX_S14_S18_S1A_T6_T7_T9_mT8_S1C_bDpT10_ENKUlT_T0_E_clISt17integral_constantIbLb0EES1O_IbLb1EEEEDaS1K_S1L_EUlS1K_E_NS1_11comp_targetILNS1_3genE2ELNS1_11target_archE906ELNS1_3gpuE6ELNS1_3repE0EEENS1_30default_config_static_selectorELNS0_4arch9wavefront6targetE0EEEvSY_,comdat
.Lfunc_end901:
	.size	_ZN7rocprim17ROCPRIM_400000_NS6detail17trampoline_kernelINS0_13select_configILj256ELj13ELNS0_17block_load_methodE3ELS4_3ELS4_3ELNS0_20block_scan_algorithmE0ELj4294967295EEENS1_25partition_config_selectorILNS1_17partition_subalgoE3EjNS0_10empty_typeEbEEZZNS1_14partition_implILS8_3ELb0ES6_jNS0_17counting_iteratorIjlEEPS9_SE_NS0_5tupleIJPjSE_EEENSF_IJSE_SE_EEES9_SG_JZNS1_25segmented_radix_sort_implINS0_14default_configELb1EPKsPsPKlPlN2at6native12_GLOBAL__N_18offset_tEEE10hipError_tPvRmT1_PNSt15iterator_traitsISY_E10value_typeET2_T3_PNSZ_IS14_E10value_typeET4_jRbjT5_S1A_jjP12ihipStream_tbEUljE_EEESV_SW_SX_S14_S18_S1A_T6_T7_T9_mT8_S1C_bDpT10_ENKUlT_T0_E_clISt17integral_constantIbLb0EES1O_IbLb1EEEEDaS1K_S1L_EUlS1K_E_NS1_11comp_targetILNS1_3genE2ELNS1_11target_archE906ELNS1_3gpuE6ELNS1_3repE0EEENS1_30default_config_static_selectorELNS0_4arch9wavefront6targetE0EEEvSY_, .Lfunc_end901-_ZN7rocprim17ROCPRIM_400000_NS6detail17trampoline_kernelINS0_13select_configILj256ELj13ELNS0_17block_load_methodE3ELS4_3ELS4_3ELNS0_20block_scan_algorithmE0ELj4294967295EEENS1_25partition_config_selectorILNS1_17partition_subalgoE3EjNS0_10empty_typeEbEEZZNS1_14partition_implILS8_3ELb0ES6_jNS0_17counting_iteratorIjlEEPS9_SE_NS0_5tupleIJPjSE_EEENSF_IJSE_SE_EEES9_SG_JZNS1_25segmented_radix_sort_implINS0_14default_configELb1EPKsPsPKlPlN2at6native12_GLOBAL__N_18offset_tEEE10hipError_tPvRmT1_PNSt15iterator_traitsISY_E10value_typeET2_T3_PNSZ_IS14_E10value_typeET4_jRbjT5_S1A_jjP12ihipStream_tbEUljE_EEESV_SW_SX_S14_S18_S1A_T6_T7_T9_mT8_S1C_bDpT10_ENKUlT_T0_E_clISt17integral_constantIbLb0EES1O_IbLb1EEEEDaS1K_S1L_EUlS1K_E_NS1_11comp_targetILNS1_3genE2ELNS1_11target_archE906ELNS1_3gpuE6ELNS1_3repE0EEENS1_30default_config_static_selectorELNS0_4arch9wavefront6targetE0EEEvSY_
                                        ; -- End function
	.set _ZN7rocprim17ROCPRIM_400000_NS6detail17trampoline_kernelINS0_13select_configILj256ELj13ELNS0_17block_load_methodE3ELS4_3ELS4_3ELNS0_20block_scan_algorithmE0ELj4294967295EEENS1_25partition_config_selectorILNS1_17partition_subalgoE3EjNS0_10empty_typeEbEEZZNS1_14partition_implILS8_3ELb0ES6_jNS0_17counting_iteratorIjlEEPS9_SE_NS0_5tupleIJPjSE_EEENSF_IJSE_SE_EEES9_SG_JZNS1_25segmented_radix_sort_implINS0_14default_configELb1EPKsPsPKlPlN2at6native12_GLOBAL__N_18offset_tEEE10hipError_tPvRmT1_PNSt15iterator_traitsISY_E10value_typeET2_T3_PNSZ_IS14_E10value_typeET4_jRbjT5_S1A_jjP12ihipStream_tbEUljE_EEESV_SW_SX_S14_S18_S1A_T6_T7_T9_mT8_S1C_bDpT10_ENKUlT_T0_E_clISt17integral_constantIbLb0EES1O_IbLb1EEEEDaS1K_S1L_EUlS1K_E_NS1_11comp_targetILNS1_3genE2ELNS1_11target_archE906ELNS1_3gpuE6ELNS1_3repE0EEENS1_30default_config_static_selectorELNS0_4arch9wavefront6targetE0EEEvSY_.num_vgpr, 0
	.set _ZN7rocprim17ROCPRIM_400000_NS6detail17trampoline_kernelINS0_13select_configILj256ELj13ELNS0_17block_load_methodE3ELS4_3ELS4_3ELNS0_20block_scan_algorithmE0ELj4294967295EEENS1_25partition_config_selectorILNS1_17partition_subalgoE3EjNS0_10empty_typeEbEEZZNS1_14partition_implILS8_3ELb0ES6_jNS0_17counting_iteratorIjlEEPS9_SE_NS0_5tupleIJPjSE_EEENSF_IJSE_SE_EEES9_SG_JZNS1_25segmented_radix_sort_implINS0_14default_configELb1EPKsPsPKlPlN2at6native12_GLOBAL__N_18offset_tEEE10hipError_tPvRmT1_PNSt15iterator_traitsISY_E10value_typeET2_T3_PNSZ_IS14_E10value_typeET4_jRbjT5_S1A_jjP12ihipStream_tbEUljE_EEESV_SW_SX_S14_S18_S1A_T6_T7_T9_mT8_S1C_bDpT10_ENKUlT_T0_E_clISt17integral_constantIbLb0EES1O_IbLb1EEEEDaS1K_S1L_EUlS1K_E_NS1_11comp_targetILNS1_3genE2ELNS1_11target_archE906ELNS1_3gpuE6ELNS1_3repE0EEENS1_30default_config_static_selectorELNS0_4arch9wavefront6targetE0EEEvSY_.num_agpr, 0
	.set _ZN7rocprim17ROCPRIM_400000_NS6detail17trampoline_kernelINS0_13select_configILj256ELj13ELNS0_17block_load_methodE3ELS4_3ELS4_3ELNS0_20block_scan_algorithmE0ELj4294967295EEENS1_25partition_config_selectorILNS1_17partition_subalgoE3EjNS0_10empty_typeEbEEZZNS1_14partition_implILS8_3ELb0ES6_jNS0_17counting_iteratorIjlEEPS9_SE_NS0_5tupleIJPjSE_EEENSF_IJSE_SE_EEES9_SG_JZNS1_25segmented_radix_sort_implINS0_14default_configELb1EPKsPsPKlPlN2at6native12_GLOBAL__N_18offset_tEEE10hipError_tPvRmT1_PNSt15iterator_traitsISY_E10value_typeET2_T3_PNSZ_IS14_E10value_typeET4_jRbjT5_S1A_jjP12ihipStream_tbEUljE_EEESV_SW_SX_S14_S18_S1A_T6_T7_T9_mT8_S1C_bDpT10_ENKUlT_T0_E_clISt17integral_constantIbLb0EES1O_IbLb1EEEEDaS1K_S1L_EUlS1K_E_NS1_11comp_targetILNS1_3genE2ELNS1_11target_archE906ELNS1_3gpuE6ELNS1_3repE0EEENS1_30default_config_static_selectorELNS0_4arch9wavefront6targetE0EEEvSY_.numbered_sgpr, 0
	.set _ZN7rocprim17ROCPRIM_400000_NS6detail17trampoline_kernelINS0_13select_configILj256ELj13ELNS0_17block_load_methodE3ELS4_3ELS4_3ELNS0_20block_scan_algorithmE0ELj4294967295EEENS1_25partition_config_selectorILNS1_17partition_subalgoE3EjNS0_10empty_typeEbEEZZNS1_14partition_implILS8_3ELb0ES6_jNS0_17counting_iteratorIjlEEPS9_SE_NS0_5tupleIJPjSE_EEENSF_IJSE_SE_EEES9_SG_JZNS1_25segmented_radix_sort_implINS0_14default_configELb1EPKsPsPKlPlN2at6native12_GLOBAL__N_18offset_tEEE10hipError_tPvRmT1_PNSt15iterator_traitsISY_E10value_typeET2_T3_PNSZ_IS14_E10value_typeET4_jRbjT5_S1A_jjP12ihipStream_tbEUljE_EEESV_SW_SX_S14_S18_S1A_T6_T7_T9_mT8_S1C_bDpT10_ENKUlT_T0_E_clISt17integral_constantIbLb0EES1O_IbLb1EEEEDaS1K_S1L_EUlS1K_E_NS1_11comp_targetILNS1_3genE2ELNS1_11target_archE906ELNS1_3gpuE6ELNS1_3repE0EEENS1_30default_config_static_selectorELNS0_4arch9wavefront6targetE0EEEvSY_.num_named_barrier, 0
	.set _ZN7rocprim17ROCPRIM_400000_NS6detail17trampoline_kernelINS0_13select_configILj256ELj13ELNS0_17block_load_methodE3ELS4_3ELS4_3ELNS0_20block_scan_algorithmE0ELj4294967295EEENS1_25partition_config_selectorILNS1_17partition_subalgoE3EjNS0_10empty_typeEbEEZZNS1_14partition_implILS8_3ELb0ES6_jNS0_17counting_iteratorIjlEEPS9_SE_NS0_5tupleIJPjSE_EEENSF_IJSE_SE_EEES9_SG_JZNS1_25segmented_radix_sort_implINS0_14default_configELb1EPKsPsPKlPlN2at6native12_GLOBAL__N_18offset_tEEE10hipError_tPvRmT1_PNSt15iterator_traitsISY_E10value_typeET2_T3_PNSZ_IS14_E10value_typeET4_jRbjT5_S1A_jjP12ihipStream_tbEUljE_EEESV_SW_SX_S14_S18_S1A_T6_T7_T9_mT8_S1C_bDpT10_ENKUlT_T0_E_clISt17integral_constantIbLb0EES1O_IbLb1EEEEDaS1K_S1L_EUlS1K_E_NS1_11comp_targetILNS1_3genE2ELNS1_11target_archE906ELNS1_3gpuE6ELNS1_3repE0EEENS1_30default_config_static_selectorELNS0_4arch9wavefront6targetE0EEEvSY_.private_seg_size, 0
	.set _ZN7rocprim17ROCPRIM_400000_NS6detail17trampoline_kernelINS0_13select_configILj256ELj13ELNS0_17block_load_methodE3ELS4_3ELS4_3ELNS0_20block_scan_algorithmE0ELj4294967295EEENS1_25partition_config_selectorILNS1_17partition_subalgoE3EjNS0_10empty_typeEbEEZZNS1_14partition_implILS8_3ELb0ES6_jNS0_17counting_iteratorIjlEEPS9_SE_NS0_5tupleIJPjSE_EEENSF_IJSE_SE_EEES9_SG_JZNS1_25segmented_radix_sort_implINS0_14default_configELb1EPKsPsPKlPlN2at6native12_GLOBAL__N_18offset_tEEE10hipError_tPvRmT1_PNSt15iterator_traitsISY_E10value_typeET2_T3_PNSZ_IS14_E10value_typeET4_jRbjT5_S1A_jjP12ihipStream_tbEUljE_EEESV_SW_SX_S14_S18_S1A_T6_T7_T9_mT8_S1C_bDpT10_ENKUlT_T0_E_clISt17integral_constantIbLb0EES1O_IbLb1EEEEDaS1K_S1L_EUlS1K_E_NS1_11comp_targetILNS1_3genE2ELNS1_11target_archE906ELNS1_3gpuE6ELNS1_3repE0EEENS1_30default_config_static_selectorELNS0_4arch9wavefront6targetE0EEEvSY_.uses_vcc, 0
	.set _ZN7rocprim17ROCPRIM_400000_NS6detail17trampoline_kernelINS0_13select_configILj256ELj13ELNS0_17block_load_methodE3ELS4_3ELS4_3ELNS0_20block_scan_algorithmE0ELj4294967295EEENS1_25partition_config_selectorILNS1_17partition_subalgoE3EjNS0_10empty_typeEbEEZZNS1_14partition_implILS8_3ELb0ES6_jNS0_17counting_iteratorIjlEEPS9_SE_NS0_5tupleIJPjSE_EEENSF_IJSE_SE_EEES9_SG_JZNS1_25segmented_radix_sort_implINS0_14default_configELb1EPKsPsPKlPlN2at6native12_GLOBAL__N_18offset_tEEE10hipError_tPvRmT1_PNSt15iterator_traitsISY_E10value_typeET2_T3_PNSZ_IS14_E10value_typeET4_jRbjT5_S1A_jjP12ihipStream_tbEUljE_EEESV_SW_SX_S14_S18_S1A_T6_T7_T9_mT8_S1C_bDpT10_ENKUlT_T0_E_clISt17integral_constantIbLb0EES1O_IbLb1EEEEDaS1K_S1L_EUlS1K_E_NS1_11comp_targetILNS1_3genE2ELNS1_11target_archE906ELNS1_3gpuE6ELNS1_3repE0EEENS1_30default_config_static_selectorELNS0_4arch9wavefront6targetE0EEEvSY_.uses_flat_scratch, 0
	.set _ZN7rocprim17ROCPRIM_400000_NS6detail17trampoline_kernelINS0_13select_configILj256ELj13ELNS0_17block_load_methodE3ELS4_3ELS4_3ELNS0_20block_scan_algorithmE0ELj4294967295EEENS1_25partition_config_selectorILNS1_17partition_subalgoE3EjNS0_10empty_typeEbEEZZNS1_14partition_implILS8_3ELb0ES6_jNS0_17counting_iteratorIjlEEPS9_SE_NS0_5tupleIJPjSE_EEENSF_IJSE_SE_EEES9_SG_JZNS1_25segmented_radix_sort_implINS0_14default_configELb1EPKsPsPKlPlN2at6native12_GLOBAL__N_18offset_tEEE10hipError_tPvRmT1_PNSt15iterator_traitsISY_E10value_typeET2_T3_PNSZ_IS14_E10value_typeET4_jRbjT5_S1A_jjP12ihipStream_tbEUljE_EEESV_SW_SX_S14_S18_S1A_T6_T7_T9_mT8_S1C_bDpT10_ENKUlT_T0_E_clISt17integral_constantIbLb0EES1O_IbLb1EEEEDaS1K_S1L_EUlS1K_E_NS1_11comp_targetILNS1_3genE2ELNS1_11target_archE906ELNS1_3gpuE6ELNS1_3repE0EEENS1_30default_config_static_selectorELNS0_4arch9wavefront6targetE0EEEvSY_.has_dyn_sized_stack, 0
	.set _ZN7rocprim17ROCPRIM_400000_NS6detail17trampoline_kernelINS0_13select_configILj256ELj13ELNS0_17block_load_methodE3ELS4_3ELS4_3ELNS0_20block_scan_algorithmE0ELj4294967295EEENS1_25partition_config_selectorILNS1_17partition_subalgoE3EjNS0_10empty_typeEbEEZZNS1_14partition_implILS8_3ELb0ES6_jNS0_17counting_iteratorIjlEEPS9_SE_NS0_5tupleIJPjSE_EEENSF_IJSE_SE_EEES9_SG_JZNS1_25segmented_radix_sort_implINS0_14default_configELb1EPKsPsPKlPlN2at6native12_GLOBAL__N_18offset_tEEE10hipError_tPvRmT1_PNSt15iterator_traitsISY_E10value_typeET2_T3_PNSZ_IS14_E10value_typeET4_jRbjT5_S1A_jjP12ihipStream_tbEUljE_EEESV_SW_SX_S14_S18_S1A_T6_T7_T9_mT8_S1C_bDpT10_ENKUlT_T0_E_clISt17integral_constantIbLb0EES1O_IbLb1EEEEDaS1K_S1L_EUlS1K_E_NS1_11comp_targetILNS1_3genE2ELNS1_11target_archE906ELNS1_3gpuE6ELNS1_3repE0EEENS1_30default_config_static_selectorELNS0_4arch9wavefront6targetE0EEEvSY_.has_recursion, 0
	.set _ZN7rocprim17ROCPRIM_400000_NS6detail17trampoline_kernelINS0_13select_configILj256ELj13ELNS0_17block_load_methodE3ELS4_3ELS4_3ELNS0_20block_scan_algorithmE0ELj4294967295EEENS1_25partition_config_selectorILNS1_17partition_subalgoE3EjNS0_10empty_typeEbEEZZNS1_14partition_implILS8_3ELb0ES6_jNS0_17counting_iteratorIjlEEPS9_SE_NS0_5tupleIJPjSE_EEENSF_IJSE_SE_EEES9_SG_JZNS1_25segmented_radix_sort_implINS0_14default_configELb1EPKsPsPKlPlN2at6native12_GLOBAL__N_18offset_tEEE10hipError_tPvRmT1_PNSt15iterator_traitsISY_E10value_typeET2_T3_PNSZ_IS14_E10value_typeET4_jRbjT5_S1A_jjP12ihipStream_tbEUljE_EEESV_SW_SX_S14_S18_S1A_T6_T7_T9_mT8_S1C_bDpT10_ENKUlT_T0_E_clISt17integral_constantIbLb0EES1O_IbLb1EEEEDaS1K_S1L_EUlS1K_E_NS1_11comp_targetILNS1_3genE2ELNS1_11target_archE906ELNS1_3gpuE6ELNS1_3repE0EEENS1_30default_config_static_selectorELNS0_4arch9wavefront6targetE0EEEvSY_.has_indirect_call, 0
	.section	.AMDGPU.csdata,"",@progbits
; Kernel info:
; codeLenInByte = 0
; TotalNumSgprs: 0
; NumVgprs: 0
; ScratchSize: 0
; MemoryBound: 0
; FloatMode: 240
; IeeeMode: 1
; LDSByteSize: 0 bytes/workgroup (compile time only)
; SGPRBlocks: 0
; VGPRBlocks: 0
; NumSGPRsForWavesPerEU: 1
; NumVGPRsForWavesPerEU: 1
; Occupancy: 16
; WaveLimiterHint : 0
; COMPUTE_PGM_RSRC2:SCRATCH_EN: 0
; COMPUTE_PGM_RSRC2:USER_SGPR: 6
; COMPUTE_PGM_RSRC2:TRAP_HANDLER: 0
; COMPUTE_PGM_RSRC2:TGID_X_EN: 1
; COMPUTE_PGM_RSRC2:TGID_Y_EN: 0
; COMPUTE_PGM_RSRC2:TGID_Z_EN: 0
; COMPUTE_PGM_RSRC2:TIDIG_COMP_CNT: 0
	.section	.text._ZN7rocprim17ROCPRIM_400000_NS6detail17trampoline_kernelINS0_13select_configILj256ELj13ELNS0_17block_load_methodE3ELS4_3ELS4_3ELNS0_20block_scan_algorithmE0ELj4294967295EEENS1_25partition_config_selectorILNS1_17partition_subalgoE3EjNS0_10empty_typeEbEEZZNS1_14partition_implILS8_3ELb0ES6_jNS0_17counting_iteratorIjlEEPS9_SE_NS0_5tupleIJPjSE_EEENSF_IJSE_SE_EEES9_SG_JZNS1_25segmented_radix_sort_implINS0_14default_configELb1EPKsPsPKlPlN2at6native12_GLOBAL__N_18offset_tEEE10hipError_tPvRmT1_PNSt15iterator_traitsISY_E10value_typeET2_T3_PNSZ_IS14_E10value_typeET4_jRbjT5_S1A_jjP12ihipStream_tbEUljE_EEESV_SW_SX_S14_S18_S1A_T6_T7_T9_mT8_S1C_bDpT10_ENKUlT_T0_E_clISt17integral_constantIbLb0EES1O_IbLb1EEEEDaS1K_S1L_EUlS1K_E_NS1_11comp_targetILNS1_3genE10ELNS1_11target_archE1200ELNS1_3gpuE4ELNS1_3repE0EEENS1_30default_config_static_selectorELNS0_4arch9wavefront6targetE0EEEvSY_,"axG",@progbits,_ZN7rocprim17ROCPRIM_400000_NS6detail17trampoline_kernelINS0_13select_configILj256ELj13ELNS0_17block_load_methodE3ELS4_3ELS4_3ELNS0_20block_scan_algorithmE0ELj4294967295EEENS1_25partition_config_selectorILNS1_17partition_subalgoE3EjNS0_10empty_typeEbEEZZNS1_14partition_implILS8_3ELb0ES6_jNS0_17counting_iteratorIjlEEPS9_SE_NS0_5tupleIJPjSE_EEENSF_IJSE_SE_EEES9_SG_JZNS1_25segmented_radix_sort_implINS0_14default_configELb1EPKsPsPKlPlN2at6native12_GLOBAL__N_18offset_tEEE10hipError_tPvRmT1_PNSt15iterator_traitsISY_E10value_typeET2_T3_PNSZ_IS14_E10value_typeET4_jRbjT5_S1A_jjP12ihipStream_tbEUljE_EEESV_SW_SX_S14_S18_S1A_T6_T7_T9_mT8_S1C_bDpT10_ENKUlT_T0_E_clISt17integral_constantIbLb0EES1O_IbLb1EEEEDaS1K_S1L_EUlS1K_E_NS1_11comp_targetILNS1_3genE10ELNS1_11target_archE1200ELNS1_3gpuE4ELNS1_3repE0EEENS1_30default_config_static_selectorELNS0_4arch9wavefront6targetE0EEEvSY_,comdat
	.globl	_ZN7rocprim17ROCPRIM_400000_NS6detail17trampoline_kernelINS0_13select_configILj256ELj13ELNS0_17block_load_methodE3ELS4_3ELS4_3ELNS0_20block_scan_algorithmE0ELj4294967295EEENS1_25partition_config_selectorILNS1_17partition_subalgoE3EjNS0_10empty_typeEbEEZZNS1_14partition_implILS8_3ELb0ES6_jNS0_17counting_iteratorIjlEEPS9_SE_NS0_5tupleIJPjSE_EEENSF_IJSE_SE_EEES9_SG_JZNS1_25segmented_radix_sort_implINS0_14default_configELb1EPKsPsPKlPlN2at6native12_GLOBAL__N_18offset_tEEE10hipError_tPvRmT1_PNSt15iterator_traitsISY_E10value_typeET2_T3_PNSZ_IS14_E10value_typeET4_jRbjT5_S1A_jjP12ihipStream_tbEUljE_EEESV_SW_SX_S14_S18_S1A_T6_T7_T9_mT8_S1C_bDpT10_ENKUlT_T0_E_clISt17integral_constantIbLb0EES1O_IbLb1EEEEDaS1K_S1L_EUlS1K_E_NS1_11comp_targetILNS1_3genE10ELNS1_11target_archE1200ELNS1_3gpuE4ELNS1_3repE0EEENS1_30default_config_static_selectorELNS0_4arch9wavefront6targetE0EEEvSY_ ; -- Begin function _ZN7rocprim17ROCPRIM_400000_NS6detail17trampoline_kernelINS0_13select_configILj256ELj13ELNS0_17block_load_methodE3ELS4_3ELS4_3ELNS0_20block_scan_algorithmE0ELj4294967295EEENS1_25partition_config_selectorILNS1_17partition_subalgoE3EjNS0_10empty_typeEbEEZZNS1_14partition_implILS8_3ELb0ES6_jNS0_17counting_iteratorIjlEEPS9_SE_NS0_5tupleIJPjSE_EEENSF_IJSE_SE_EEES9_SG_JZNS1_25segmented_radix_sort_implINS0_14default_configELb1EPKsPsPKlPlN2at6native12_GLOBAL__N_18offset_tEEE10hipError_tPvRmT1_PNSt15iterator_traitsISY_E10value_typeET2_T3_PNSZ_IS14_E10value_typeET4_jRbjT5_S1A_jjP12ihipStream_tbEUljE_EEESV_SW_SX_S14_S18_S1A_T6_T7_T9_mT8_S1C_bDpT10_ENKUlT_T0_E_clISt17integral_constantIbLb0EES1O_IbLb1EEEEDaS1K_S1L_EUlS1K_E_NS1_11comp_targetILNS1_3genE10ELNS1_11target_archE1200ELNS1_3gpuE4ELNS1_3repE0EEENS1_30default_config_static_selectorELNS0_4arch9wavefront6targetE0EEEvSY_
	.p2align	8
	.type	_ZN7rocprim17ROCPRIM_400000_NS6detail17trampoline_kernelINS0_13select_configILj256ELj13ELNS0_17block_load_methodE3ELS4_3ELS4_3ELNS0_20block_scan_algorithmE0ELj4294967295EEENS1_25partition_config_selectorILNS1_17partition_subalgoE3EjNS0_10empty_typeEbEEZZNS1_14partition_implILS8_3ELb0ES6_jNS0_17counting_iteratorIjlEEPS9_SE_NS0_5tupleIJPjSE_EEENSF_IJSE_SE_EEES9_SG_JZNS1_25segmented_radix_sort_implINS0_14default_configELb1EPKsPsPKlPlN2at6native12_GLOBAL__N_18offset_tEEE10hipError_tPvRmT1_PNSt15iterator_traitsISY_E10value_typeET2_T3_PNSZ_IS14_E10value_typeET4_jRbjT5_S1A_jjP12ihipStream_tbEUljE_EEESV_SW_SX_S14_S18_S1A_T6_T7_T9_mT8_S1C_bDpT10_ENKUlT_T0_E_clISt17integral_constantIbLb0EES1O_IbLb1EEEEDaS1K_S1L_EUlS1K_E_NS1_11comp_targetILNS1_3genE10ELNS1_11target_archE1200ELNS1_3gpuE4ELNS1_3repE0EEENS1_30default_config_static_selectorELNS0_4arch9wavefront6targetE0EEEvSY_,@function
_ZN7rocprim17ROCPRIM_400000_NS6detail17trampoline_kernelINS0_13select_configILj256ELj13ELNS0_17block_load_methodE3ELS4_3ELS4_3ELNS0_20block_scan_algorithmE0ELj4294967295EEENS1_25partition_config_selectorILNS1_17partition_subalgoE3EjNS0_10empty_typeEbEEZZNS1_14partition_implILS8_3ELb0ES6_jNS0_17counting_iteratorIjlEEPS9_SE_NS0_5tupleIJPjSE_EEENSF_IJSE_SE_EEES9_SG_JZNS1_25segmented_radix_sort_implINS0_14default_configELb1EPKsPsPKlPlN2at6native12_GLOBAL__N_18offset_tEEE10hipError_tPvRmT1_PNSt15iterator_traitsISY_E10value_typeET2_T3_PNSZ_IS14_E10value_typeET4_jRbjT5_S1A_jjP12ihipStream_tbEUljE_EEESV_SW_SX_S14_S18_S1A_T6_T7_T9_mT8_S1C_bDpT10_ENKUlT_T0_E_clISt17integral_constantIbLb0EES1O_IbLb1EEEEDaS1K_S1L_EUlS1K_E_NS1_11comp_targetILNS1_3genE10ELNS1_11target_archE1200ELNS1_3gpuE4ELNS1_3repE0EEENS1_30default_config_static_selectorELNS0_4arch9wavefront6targetE0EEEvSY_: ; @_ZN7rocprim17ROCPRIM_400000_NS6detail17trampoline_kernelINS0_13select_configILj256ELj13ELNS0_17block_load_methodE3ELS4_3ELS4_3ELNS0_20block_scan_algorithmE0ELj4294967295EEENS1_25partition_config_selectorILNS1_17partition_subalgoE3EjNS0_10empty_typeEbEEZZNS1_14partition_implILS8_3ELb0ES6_jNS0_17counting_iteratorIjlEEPS9_SE_NS0_5tupleIJPjSE_EEENSF_IJSE_SE_EEES9_SG_JZNS1_25segmented_radix_sort_implINS0_14default_configELb1EPKsPsPKlPlN2at6native12_GLOBAL__N_18offset_tEEE10hipError_tPvRmT1_PNSt15iterator_traitsISY_E10value_typeET2_T3_PNSZ_IS14_E10value_typeET4_jRbjT5_S1A_jjP12ihipStream_tbEUljE_EEESV_SW_SX_S14_S18_S1A_T6_T7_T9_mT8_S1C_bDpT10_ENKUlT_T0_E_clISt17integral_constantIbLb0EES1O_IbLb1EEEEDaS1K_S1L_EUlS1K_E_NS1_11comp_targetILNS1_3genE10ELNS1_11target_archE1200ELNS1_3gpuE4ELNS1_3repE0EEENS1_30default_config_static_selectorELNS0_4arch9wavefront6targetE0EEEvSY_
; %bb.0:
	.section	.rodata,"a",@progbits
	.p2align	6, 0x0
	.amdhsa_kernel _ZN7rocprim17ROCPRIM_400000_NS6detail17trampoline_kernelINS0_13select_configILj256ELj13ELNS0_17block_load_methodE3ELS4_3ELS4_3ELNS0_20block_scan_algorithmE0ELj4294967295EEENS1_25partition_config_selectorILNS1_17partition_subalgoE3EjNS0_10empty_typeEbEEZZNS1_14partition_implILS8_3ELb0ES6_jNS0_17counting_iteratorIjlEEPS9_SE_NS0_5tupleIJPjSE_EEENSF_IJSE_SE_EEES9_SG_JZNS1_25segmented_radix_sort_implINS0_14default_configELb1EPKsPsPKlPlN2at6native12_GLOBAL__N_18offset_tEEE10hipError_tPvRmT1_PNSt15iterator_traitsISY_E10value_typeET2_T3_PNSZ_IS14_E10value_typeET4_jRbjT5_S1A_jjP12ihipStream_tbEUljE_EEESV_SW_SX_S14_S18_S1A_T6_T7_T9_mT8_S1C_bDpT10_ENKUlT_T0_E_clISt17integral_constantIbLb0EES1O_IbLb1EEEEDaS1K_S1L_EUlS1K_E_NS1_11comp_targetILNS1_3genE10ELNS1_11target_archE1200ELNS1_3gpuE4ELNS1_3repE0EEENS1_30default_config_static_selectorELNS0_4arch9wavefront6targetE0EEEvSY_
		.amdhsa_group_segment_fixed_size 0
		.amdhsa_private_segment_fixed_size 0
		.amdhsa_kernarg_size 152
		.amdhsa_user_sgpr_count 6
		.amdhsa_user_sgpr_private_segment_buffer 1
		.amdhsa_user_sgpr_dispatch_ptr 0
		.amdhsa_user_sgpr_queue_ptr 0
		.amdhsa_user_sgpr_kernarg_segment_ptr 1
		.amdhsa_user_sgpr_dispatch_id 0
		.amdhsa_user_sgpr_flat_scratch_init 0
		.amdhsa_user_sgpr_private_segment_size 0
		.amdhsa_wavefront_size32 1
		.amdhsa_uses_dynamic_stack 0
		.amdhsa_system_sgpr_private_segment_wavefront_offset 0
		.amdhsa_system_sgpr_workgroup_id_x 1
		.amdhsa_system_sgpr_workgroup_id_y 0
		.amdhsa_system_sgpr_workgroup_id_z 0
		.amdhsa_system_sgpr_workgroup_info 0
		.amdhsa_system_vgpr_workitem_id 0
		.amdhsa_next_free_vgpr 1
		.amdhsa_next_free_sgpr 1
		.amdhsa_reserve_vcc 0
		.amdhsa_reserve_flat_scratch 0
		.amdhsa_float_round_mode_32 0
		.amdhsa_float_round_mode_16_64 0
		.amdhsa_float_denorm_mode_32 3
		.amdhsa_float_denorm_mode_16_64 3
		.amdhsa_dx10_clamp 1
		.amdhsa_ieee_mode 1
		.amdhsa_fp16_overflow 0
		.amdhsa_workgroup_processor_mode 1
		.amdhsa_memory_ordered 1
		.amdhsa_forward_progress 1
		.amdhsa_shared_vgpr_count 0
		.amdhsa_exception_fp_ieee_invalid_op 0
		.amdhsa_exception_fp_denorm_src 0
		.amdhsa_exception_fp_ieee_div_zero 0
		.amdhsa_exception_fp_ieee_overflow 0
		.amdhsa_exception_fp_ieee_underflow 0
		.amdhsa_exception_fp_ieee_inexact 0
		.amdhsa_exception_int_div_zero 0
	.end_amdhsa_kernel
	.section	.text._ZN7rocprim17ROCPRIM_400000_NS6detail17trampoline_kernelINS0_13select_configILj256ELj13ELNS0_17block_load_methodE3ELS4_3ELS4_3ELNS0_20block_scan_algorithmE0ELj4294967295EEENS1_25partition_config_selectorILNS1_17partition_subalgoE3EjNS0_10empty_typeEbEEZZNS1_14partition_implILS8_3ELb0ES6_jNS0_17counting_iteratorIjlEEPS9_SE_NS0_5tupleIJPjSE_EEENSF_IJSE_SE_EEES9_SG_JZNS1_25segmented_radix_sort_implINS0_14default_configELb1EPKsPsPKlPlN2at6native12_GLOBAL__N_18offset_tEEE10hipError_tPvRmT1_PNSt15iterator_traitsISY_E10value_typeET2_T3_PNSZ_IS14_E10value_typeET4_jRbjT5_S1A_jjP12ihipStream_tbEUljE_EEESV_SW_SX_S14_S18_S1A_T6_T7_T9_mT8_S1C_bDpT10_ENKUlT_T0_E_clISt17integral_constantIbLb0EES1O_IbLb1EEEEDaS1K_S1L_EUlS1K_E_NS1_11comp_targetILNS1_3genE10ELNS1_11target_archE1200ELNS1_3gpuE4ELNS1_3repE0EEENS1_30default_config_static_selectorELNS0_4arch9wavefront6targetE0EEEvSY_,"axG",@progbits,_ZN7rocprim17ROCPRIM_400000_NS6detail17trampoline_kernelINS0_13select_configILj256ELj13ELNS0_17block_load_methodE3ELS4_3ELS4_3ELNS0_20block_scan_algorithmE0ELj4294967295EEENS1_25partition_config_selectorILNS1_17partition_subalgoE3EjNS0_10empty_typeEbEEZZNS1_14partition_implILS8_3ELb0ES6_jNS0_17counting_iteratorIjlEEPS9_SE_NS0_5tupleIJPjSE_EEENSF_IJSE_SE_EEES9_SG_JZNS1_25segmented_radix_sort_implINS0_14default_configELb1EPKsPsPKlPlN2at6native12_GLOBAL__N_18offset_tEEE10hipError_tPvRmT1_PNSt15iterator_traitsISY_E10value_typeET2_T3_PNSZ_IS14_E10value_typeET4_jRbjT5_S1A_jjP12ihipStream_tbEUljE_EEESV_SW_SX_S14_S18_S1A_T6_T7_T9_mT8_S1C_bDpT10_ENKUlT_T0_E_clISt17integral_constantIbLb0EES1O_IbLb1EEEEDaS1K_S1L_EUlS1K_E_NS1_11comp_targetILNS1_3genE10ELNS1_11target_archE1200ELNS1_3gpuE4ELNS1_3repE0EEENS1_30default_config_static_selectorELNS0_4arch9wavefront6targetE0EEEvSY_,comdat
.Lfunc_end902:
	.size	_ZN7rocprim17ROCPRIM_400000_NS6detail17trampoline_kernelINS0_13select_configILj256ELj13ELNS0_17block_load_methodE3ELS4_3ELS4_3ELNS0_20block_scan_algorithmE0ELj4294967295EEENS1_25partition_config_selectorILNS1_17partition_subalgoE3EjNS0_10empty_typeEbEEZZNS1_14partition_implILS8_3ELb0ES6_jNS0_17counting_iteratorIjlEEPS9_SE_NS0_5tupleIJPjSE_EEENSF_IJSE_SE_EEES9_SG_JZNS1_25segmented_radix_sort_implINS0_14default_configELb1EPKsPsPKlPlN2at6native12_GLOBAL__N_18offset_tEEE10hipError_tPvRmT1_PNSt15iterator_traitsISY_E10value_typeET2_T3_PNSZ_IS14_E10value_typeET4_jRbjT5_S1A_jjP12ihipStream_tbEUljE_EEESV_SW_SX_S14_S18_S1A_T6_T7_T9_mT8_S1C_bDpT10_ENKUlT_T0_E_clISt17integral_constantIbLb0EES1O_IbLb1EEEEDaS1K_S1L_EUlS1K_E_NS1_11comp_targetILNS1_3genE10ELNS1_11target_archE1200ELNS1_3gpuE4ELNS1_3repE0EEENS1_30default_config_static_selectorELNS0_4arch9wavefront6targetE0EEEvSY_, .Lfunc_end902-_ZN7rocprim17ROCPRIM_400000_NS6detail17trampoline_kernelINS0_13select_configILj256ELj13ELNS0_17block_load_methodE3ELS4_3ELS4_3ELNS0_20block_scan_algorithmE0ELj4294967295EEENS1_25partition_config_selectorILNS1_17partition_subalgoE3EjNS0_10empty_typeEbEEZZNS1_14partition_implILS8_3ELb0ES6_jNS0_17counting_iteratorIjlEEPS9_SE_NS0_5tupleIJPjSE_EEENSF_IJSE_SE_EEES9_SG_JZNS1_25segmented_radix_sort_implINS0_14default_configELb1EPKsPsPKlPlN2at6native12_GLOBAL__N_18offset_tEEE10hipError_tPvRmT1_PNSt15iterator_traitsISY_E10value_typeET2_T3_PNSZ_IS14_E10value_typeET4_jRbjT5_S1A_jjP12ihipStream_tbEUljE_EEESV_SW_SX_S14_S18_S1A_T6_T7_T9_mT8_S1C_bDpT10_ENKUlT_T0_E_clISt17integral_constantIbLb0EES1O_IbLb1EEEEDaS1K_S1L_EUlS1K_E_NS1_11comp_targetILNS1_3genE10ELNS1_11target_archE1200ELNS1_3gpuE4ELNS1_3repE0EEENS1_30default_config_static_selectorELNS0_4arch9wavefront6targetE0EEEvSY_
                                        ; -- End function
	.set _ZN7rocprim17ROCPRIM_400000_NS6detail17trampoline_kernelINS0_13select_configILj256ELj13ELNS0_17block_load_methodE3ELS4_3ELS4_3ELNS0_20block_scan_algorithmE0ELj4294967295EEENS1_25partition_config_selectorILNS1_17partition_subalgoE3EjNS0_10empty_typeEbEEZZNS1_14partition_implILS8_3ELb0ES6_jNS0_17counting_iteratorIjlEEPS9_SE_NS0_5tupleIJPjSE_EEENSF_IJSE_SE_EEES9_SG_JZNS1_25segmented_radix_sort_implINS0_14default_configELb1EPKsPsPKlPlN2at6native12_GLOBAL__N_18offset_tEEE10hipError_tPvRmT1_PNSt15iterator_traitsISY_E10value_typeET2_T3_PNSZ_IS14_E10value_typeET4_jRbjT5_S1A_jjP12ihipStream_tbEUljE_EEESV_SW_SX_S14_S18_S1A_T6_T7_T9_mT8_S1C_bDpT10_ENKUlT_T0_E_clISt17integral_constantIbLb0EES1O_IbLb1EEEEDaS1K_S1L_EUlS1K_E_NS1_11comp_targetILNS1_3genE10ELNS1_11target_archE1200ELNS1_3gpuE4ELNS1_3repE0EEENS1_30default_config_static_selectorELNS0_4arch9wavefront6targetE0EEEvSY_.num_vgpr, 0
	.set _ZN7rocprim17ROCPRIM_400000_NS6detail17trampoline_kernelINS0_13select_configILj256ELj13ELNS0_17block_load_methodE3ELS4_3ELS4_3ELNS0_20block_scan_algorithmE0ELj4294967295EEENS1_25partition_config_selectorILNS1_17partition_subalgoE3EjNS0_10empty_typeEbEEZZNS1_14partition_implILS8_3ELb0ES6_jNS0_17counting_iteratorIjlEEPS9_SE_NS0_5tupleIJPjSE_EEENSF_IJSE_SE_EEES9_SG_JZNS1_25segmented_radix_sort_implINS0_14default_configELb1EPKsPsPKlPlN2at6native12_GLOBAL__N_18offset_tEEE10hipError_tPvRmT1_PNSt15iterator_traitsISY_E10value_typeET2_T3_PNSZ_IS14_E10value_typeET4_jRbjT5_S1A_jjP12ihipStream_tbEUljE_EEESV_SW_SX_S14_S18_S1A_T6_T7_T9_mT8_S1C_bDpT10_ENKUlT_T0_E_clISt17integral_constantIbLb0EES1O_IbLb1EEEEDaS1K_S1L_EUlS1K_E_NS1_11comp_targetILNS1_3genE10ELNS1_11target_archE1200ELNS1_3gpuE4ELNS1_3repE0EEENS1_30default_config_static_selectorELNS0_4arch9wavefront6targetE0EEEvSY_.num_agpr, 0
	.set _ZN7rocprim17ROCPRIM_400000_NS6detail17trampoline_kernelINS0_13select_configILj256ELj13ELNS0_17block_load_methodE3ELS4_3ELS4_3ELNS0_20block_scan_algorithmE0ELj4294967295EEENS1_25partition_config_selectorILNS1_17partition_subalgoE3EjNS0_10empty_typeEbEEZZNS1_14partition_implILS8_3ELb0ES6_jNS0_17counting_iteratorIjlEEPS9_SE_NS0_5tupleIJPjSE_EEENSF_IJSE_SE_EEES9_SG_JZNS1_25segmented_radix_sort_implINS0_14default_configELb1EPKsPsPKlPlN2at6native12_GLOBAL__N_18offset_tEEE10hipError_tPvRmT1_PNSt15iterator_traitsISY_E10value_typeET2_T3_PNSZ_IS14_E10value_typeET4_jRbjT5_S1A_jjP12ihipStream_tbEUljE_EEESV_SW_SX_S14_S18_S1A_T6_T7_T9_mT8_S1C_bDpT10_ENKUlT_T0_E_clISt17integral_constantIbLb0EES1O_IbLb1EEEEDaS1K_S1L_EUlS1K_E_NS1_11comp_targetILNS1_3genE10ELNS1_11target_archE1200ELNS1_3gpuE4ELNS1_3repE0EEENS1_30default_config_static_selectorELNS0_4arch9wavefront6targetE0EEEvSY_.numbered_sgpr, 0
	.set _ZN7rocprim17ROCPRIM_400000_NS6detail17trampoline_kernelINS0_13select_configILj256ELj13ELNS0_17block_load_methodE3ELS4_3ELS4_3ELNS0_20block_scan_algorithmE0ELj4294967295EEENS1_25partition_config_selectorILNS1_17partition_subalgoE3EjNS0_10empty_typeEbEEZZNS1_14partition_implILS8_3ELb0ES6_jNS0_17counting_iteratorIjlEEPS9_SE_NS0_5tupleIJPjSE_EEENSF_IJSE_SE_EEES9_SG_JZNS1_25segmented_radix_sort_implINS0_14default_configELb1EPKsPsPKlPlN2at6native12_GLOBAL__N_18offset_tEEE10hipError_tPvRmT1_PNSt15iterator_traitsISY_E10value_typeET2_T3_PNSZ_IS14_E10value_typeET4_jRbjT5_S1A_jjP12ihipStream_tbEUljE_EEESV_SW_SX_S14_S18_S1A_T6_T7_T9_mT8_S1C_bDpT10_ENKUlT_T0_E_clISt17integral_constantIbLb0EES1O_IbLb1EEEEDaS1K_S1L_EUlS1K_E_NS1_11comp_targetILNS1_3genE10ELNS1_11target_archE1200ELNS1_3gpuE4ELNS1_3repE0EEENS1_30default_config_static_selectorELNS0_4arch9wavefront6targetE0EEEvSY_.num_named_barrier, 0
	.set _ZN7rocprim17ROCPRIM_400000_NS6detail17trampoline_kernelINS0_13select_configILj256ELj13ELNS0_17block_load_methodE3ELS4_3ELS4_3ELNS0_20block_scan_algorithmE0ELj4294967295EEENS1_25partition_config_selectorILNS1_17partition_subalgoE3EjNS0_10empty_typeEbEEZZNS1_14partition_implILS8_3ELb0ES6_jNS0_17counting_iteratorIjlEEPS9_SE_NS0_5tupleIJPjSE_EEENSF_IJSE_SE_EEES9_SG_JZNS1_25segmented_radix_sort_implINS0_14default_configELb1EPKsPsPKlPlN2at6native12_GLOBAL__N_18offset_tEEE10hipError_tPvRmT1_PNSt15iterator_traitsISY_E10value_typeET2_T3_PNSZ_IS14_E10value_typeET4_jRbjT5_S1A_jjP12ihipStream_tbEUljE_EEESV_SW_SX_S14_S18_S1A_T6_T7_T9_mT8_S1C_bDpT10_ENKUlT_T0_E_clISt17integral_constantIbLb0EES1O_IbLb1EEEEDaS1K_S1L_EUlS1K_E_NS1_11comp_targetILNS1_3genE10ELNS1_11target_archE1200ELNS1_3gpuE4ELNS1_3repE0EEENS1_30default_config_static_selectorELNS0_4arch9wavefront6targetE0EEEvSY_.private_seg_size, 0
	.set _ZN7rocprim17ROCPRIM_400000_NS6detail17trampoline_kernelINS0_13select_configILj256ELj13ELNS0_17block_load_methodE3ELS4_3ELS4_3ELNS0_20block_scan_algorithmE0ELj4294967295EEENS1_25partition_config_selectorILNS1_17partition_subalgoE3EjNS0_10empty_typeEbEEZZNS1_14partition_implILS8_3ELb0ES6_jNS0_17counting_iteratorIjlEEPS9_SE_NS0_5tupleIJPjSE_EEENSF_IJSE_SE_EEES9_SG_JZNS1_25segmented_radix_sort_implINS0_14default_configELb1EPKsPsPKlPlN2at6native12_GLOBAL__N_18offset_tEEE10hipError_tPvRmT1_PNSt15iterator_traitsISY_E10value_typeET2_T3_PNSZ_IS14_E10value_typeET4_jRbjT5_S1A_jjP12ihipStream_tbEUljE_EEESV_SW_SX_S14_S18_S1A_T6_T7_T9_mT8_S1C_bDpT10_ENKUlT_T0_E_clISt17integral_constantIbLb0EES1O_IbLb1EEEEDaS1K_S1L_EUlS1K_E_NS1_11comp_targetILNS1_3genE10ELNS1_11target_archE1200ELNS1_3gpuE4ELNS1_3repE0EEENS1_30default_config_static_selectorELNS0_4arch9wavefront6targetE0EEEvSY_.uses_vcc, 0
	.set _ZN7rocprim17ROCPRIM_400000_NS6detail17trampoline_kernelINS0_13select_configILj256ELj13ELNS0_17block_load_methodE3ELS4_3ELS4_3ELNS0_20block_scan_algorithmE0ELj4294967295EEENS1_25partition_config_selectorILNS1_17partition_subalgoE3EjNS0_10empty_typeEbEEZZNS1_14partition_implILS8_3ELb0ES6_jNS0_17counting_iteratorIjlEEPS9_SE_NS0_5tupleIJPjSE_EEENSF_IJSE_SE_EEES9_SG_JZNS1_25segmented_radix_sort_implINS0_14default_configELb1EPKsPsPKlPlN2at6native12_GLOBAL__N_18offset_tEEE10hipError_tPvRmT1_PNSt15iterator_traitsISY_E10value_typeET2_T3_PNSZ_IS14_E10value_typeET4_jRbjT5_S1A_jjP12ihipStream_tbEUljE_EEESV_SW_SX_S14_S18_S1A_T6_T7_T9_mT8_S1C_bDpT10_ENKUlT_T0_E_clISt17integral_constantIbLb0EES1O_IbLb1EEEEDaS1K_S1L_EUlS1K_E_NS1_11comp_targetILNS1_3genE10ELNS1_11target_archE1200ELNS1_3gpuE4ELNS1_3repE0EEENS1_30default_config_static_selectorELNS0_4arch9wavefront6targetE0EEEvSY_.uses_flat_scratch, 0
	.set _ZN7rocprim17ROCPRIM_400000_NS6detail17trampoline_kernelINS0_13select_configILj256ELj13ELNS0_17block_load_methodE3ELS4_3ELS4_3ELNS0_20block_scan_algorithmE0ELj4294967295EEENS1_25partition_config_selectorILNS1_17partition_subalgoE3EjNS0_10empty_typeEbEEZZNS1_14partition_implILS8_3ELb0ES6_jNS0_17counting_iteratorIjlEEPS9_SE_NS0_5tupleIJPjSE_EEENSF_IJSE_SE_EEES9_SG_JZNS1_25segmented_radix_sort_implINS0_14default_configELb1EPKsPsPKlPlN2at6native12_GLOBAL__N_18offset_tEEE10hipError_tPvRmT1_PNSt15iterator_traitsISY_E10value_typeET2_T3_PNSZ_IS14_E10value_typeET4_jRbjT5_S1A_jjP12ihipStream_tbEUljE_EEESV_SW_SX_S14_S18_S1A_T6_T7_T9_mT8_S1C_bDpT10_ENKUlT_T0_E_clISt17integral_constantIbLb0EES1O_IbLb1EEEEDaS1K_S1L_EUlS1K_E_NS1_11comp_targetILNS1_3genE10ELNS1_11target_archE1200ELNS1_3gpuE4ELNS1_3repE0EEENS1_30default_config_static_selectorELNS0_4arch9wavefront6targetE0EEEvSY_.has_dyn_sized_stack, 0
	.set _ZN7rocprim17ROCPRIM_400000_NS6detail17trampoline_kernelINS0_13select_configILj256ELj13ELNS0_17block_load_methodE3ELS4_3ELS4_3ELNS0_20block_scan_algorithmE0ELj4294967295EEENS1_25partition_config_selectorILNS1_17partition_subalgoE3EjNS0_10empty_typeEbEEZZNS1_14partition_implILS8_3ELb0ES6_jNS0_17counting_iteratorIjlEEPS9_SE_NS0_5tupleIJPjSE_EEENSF_IJSE_SE_EEES9_SG_JZNS1_25segmented_radix_sort_implINS0_14default_configELb1EPKsPsPKlPlN2at6native12_GLOBAL__N_18offset_tEEE10hipError_tPvRmT1_PNSt15iterator_traitsISY_E10value_typeET2_T3_PNSZ_IS14_E10value_typeET4_jRbjT5_S1A_jjP12ihipStream_tbEUljE_EEESV_SW_SX_S14_S18_S1A_T6_T7_T9_mT8_S1C_bDpT10_ENKUlT_T0_E_clISt17integral_constantIbLb0EES1O_IbLb1EEEEDaS1K_S1L_EUlS1K_E_NS1_11comp_targetILNS1_3genE10ELNS1_11target_archE1200ELNS1_3gpuE4ELNS1_3repE0EEENS1_30default_config_static_selectorELNS0_4arch9wavefront6targetE0EEEvSY_.has_recursion, 0
	.set _ZN7rocprim17ROCPRIM_400000_NS6detail17trampoline_kernelINS0_13select_configILj256ELj13ELNS0_17block_load_methodE3ELS4_3ELS4_3ELNS0_20block_scan_algorithmE0ELj4294967295EEENS1_25partition_config_selectorILNS1_17partition_subalgoE3EjNS0_10empty_typeEbEEZZNS1_14partition_implILS8_3ELb0ES6_jNS0_17counting_iteratorIjlEEPS9_SE_NS0_5tupleIJPjSE_EEENSF_IJSE_SE_EEES9_SG_JZNS1_25segmented_radix_sort_implINS0_14default_configELb1EPKsPsPKlPlN2at6native12_GLOBAL__N_18offset_tEEE10hipError_tPvRmT1_PNSt15iterator_traitsISY_E10value_typeET2_T3_PNSZ_IS14_E10value_typeET4_jRbjT5_S1A_jjP12ihipStream_tbEUljE_EEESV_SW_SX_S14_S18_S1A_T6_T7_T9_mT8_S1C_bDpT10_ENKUlT_T0_E_clISt17integral_constantIbLb0EES1O_IbLb1EEEEDaS1K_S1L_EUlS1K_E_NS1_11comp_targetILNS1_3genE10ELNS1_11target_archE1200ELNS1_3gpuE4ELNS1_3repE0EEENS1_30default_config_static_selectorELNS0_4arch9wavefront6targetE0EEEvSY_.has_indirect_call, 0
	.section	.AMDGPU.csdata,"",@progbits
; Kernel info:
; codeLenInByte = 0
; TotalNumSgprs: 0
; NumVgprs: 0
; ScratchSize: 0
; MemoryBound: 0
; FloatMode: 240
; IeeeMode: 1
; LDSByteSize: 0 bytes/workgroup (compile time only)
; SGPRBlocks: 0
; VGPRBlocks: 0
; NumSGPRsForWavesPerEU: 1
; NumVGPRsForWavesPerEU: 1
; Occupancy: 16
; WaveLimiterHint : 0
; COMPUTE_PGM_RSRC2:SCRATCH_EN: 0
; COMPUTE_PGM_RSRC2:USER_SGPR: 6
; COMPUTE_PGM_RSRC2:TRAP_HANDLER: 0
; COMPUTE_PGM_RSRC2:TGID_X_EN: 1
; COMPUTE_PGM_RSRC2:TGID_Y_EN: 0
; COMPUTE_PGM_RSRC2:TGID_Z_EN: 0
; COMPUTE_PGM_RSRC2:TIDIG_COMP_CNT: 0
	.section	.text._ZN7rocprim17ROCPRIM_400000_NS6detail17trampoline_kernelINS0_13select_configILj256ELj13ELNS0_17block_load_methodE3ELS4_3ELS4_3ELNS0_20block_scan_algorithmE0ELj4294967295EEENS1_25partition_config_selectorILNS1_17partition_subalgoE3EjNS0_10empty_typeEbEEZZNS1_14partition_implILS8_3ELb0ES6_jNS0_17counting_iteratorIjlEEPS9_SE_NS0_5tupleIJPjSE_EEENSF_IJSE_SE_EEES9_SG_JZNS1_25segmented_radix_sort_implINS0_14default_configELb1EPKsPsPKlPlN2at6native12_GLOBAL__N_18offset_tEEE10hipError_tPvRmT1_PNSt15iterator_traitsISY_E10value_typeET2_T3_PNSZ_IS14_E10value_typeET4_jRbjT5_S1A_jjP12ihipStream_tbEUljE_EEESV_SW_SX_S14_S18_S1A_T6_T7_T9_mT8_S1C_bDpT10_ENKUlT_T0_E_clISt17integral_constantIbLb0EES1O_IbLb1EEEEDaS1K_S1L_EUlS1K_E_NS1_11comp_targetILNS1_3genE9ELNS1_11target_archE1100ELNS1_3gpuE3ELNS1_3repE0EEENS1_30default_config_static_selectorELNS0_4arch9wavefront6targetE0EEEvSY_,"axG",@progbits,_ZN7rocprim17ROCPRIM_400000_NS6detail17trampoline_kernelINS0_13select_configILj256ELj13ELNS0_17block_load_methodE3ELS4_3ELS4_3ELNS0_20block_scan_algorithmE0ELj4294967295EEENS1_25partition_config_selectorILNS1_17partition_subalgoE3EjNS0_10empty_typeEbEEZZNS1_14partition_implILS8_3ELb0ES6_jNS0_17counting_iteratorIjlEEPS9_SE_NS0_5tupleIJPjSE_EEENSF_IJSE_SE_EEES9_SG_JZNS1_25segmented_radix_sort_implINS0_14default_configELb1EPKsPsPKlPlN2at6native12_GLOBAL__N_18offset_tEEE10hipError_tPvRmT1_PNSt15iterator_traitsISY_E10value_typeET2_T3_PNSZ_IS14_E10value_typeET4_jRbjT5_S1A_jjP12ihipStream_tbEUljE_EEESV_SW_SX_S14_S18_S1A_T6_T7_T9_mT8_S1C_bDpT10_ENKUlT_T0_E_clISt17integral_constantIbLb0EES1O_IbLb1EEEEDaS1K_S1L_EUlS1K_E_NS1_11comp_targetILNS1_3genE9ELNS1_11target_archE1100ELNS1_3gpuE3ELNS1_3repE0EEENS1_30default_config_static_selectorELNS0_4arch9wavefront6targetE0EEEvSY_,comdat
	.globl	_ZN7rocprim17ROCPRIM_400000_NS6detail17trampoline_kernelINS0_13select_configILj256ELj13ELNS0_17block_load_methodE3ELS4_3ELS4_3ELNS0_20block_scan_algorithmE0ELj4294967295EEENS1_25partition_config_selectorILNS1_17partition_subalgoE3EjNS0_10empty_typeEbEEZZNS1_14partition_implILS8_3ELb0ES6_jNS0_17counting_iteratorIjlEEPS9_SE_NS0_5tupleIJPjSE_EEENSF_IJSE_SE_EEES9_SG_JZNS1_25segmented_radix_sort_implINS0_14default_configELb1EPKsPsPKlPlN2at6native12_GLOBAL__N_18offset_tEEE10hipError_tPvRmT1_PNSt15iterator_traitsISY_E10value_typeET2_T3_PNSZ_IS14_E10value_typeET4_jRbjT5_S1A_jjP12ihipStream_tbEUljE_EEESV_SW_SX_S14_S18_S1A_T6_T7_T9_mT8_S1C_bDpT10_ENKUlT_T0_E_clISt17integral_constantIbLb0EES1O_IbLb1EEEEDaS1K_S1L_EUlS1K_E_NS1_11comp_targetILNS1_3genE9ELNS1_11target_archE1100ELNS1_3gpuE3ELNS1_3repE0EEENS1_30default_config_static_selectorELNS0_4arch9wavefront6targetE0EEEvSY_ ; -- Begin function _ZN7rocprim17ROCPRIM_400000_NS6detail17trampoline_kernelINS0_13select_configILj256ELj13ELNS0_17block_load_methodE3ELS4_3ELS4_3ELNS0_20block_scan_algorithmE0ELj4294967295EEENS1_25partition_config_selectorILNS1_17partition_subalgoE3EjNS0_10empty_typeEbEEZZNS1_14partition_implILS8_3ELb0ES6_jNS0_17counting_iteratorIjlEEPS9_SE_NS0_5tupleIJPjSE_EEENSF_IJSE_SE_EEES9_SG_JZNS1_25segmented_radix_sort_implINS0_14default_configELb1EPKsPsPKlPlN2at6native12_GLOBAL__N_18offset_tEEE10hipError_tPvRmT1_PNSt15iterator_traitsISY_E10value_typeET2_T3_PNSZ_IS14_E10value_typeET4_jRbjT5_S1A_jjP12ihipStream_tbEUljE_EEESV_SW_SX_S14_S18_S1A_T6_T7_T9_mT8_S1C_bDpT10_ENKUlT_T0_E_clISt17integral_constantIbLb0EES1O_IbLb1EEEEDaS1K_S1L_EUlS1K_E_NS1_11comp_targetILNS1_3genE9ELNS1_11target_archE1100ELNS1_3gpuE3ELNS1_3repE0EEENS1_30default_config_static_selectorELNS0_4arch9wavefront6targetE0EEEvSY_
	.p2align	8
	.type	_ZN7rocprim17ROCPRIM_400000_NS6detail17trampoline_kernelINS0_13select_configILj256ELj13ELNS0_17block_load_methodE3ELS4_3ELS4_3ELNS0_20block_scan_algorithmE0ELj4294967295EEENS1_25partition_config_selectorILNS1_17partition_subalgoE3EjNS0_10empty_typeEbEEZZNS1_14partition_implILS8_3ELb0ES6_jNS0_17counting_iteratorIjlEEPS9_SE_NS0_5tupleIJPjSE_EEENSF_IJSE_SE_EEES9_SG_JZNS1_25segmented_radix_sort_implINS0_14default_configELb1EPKsPsPKlPlN2at6native12_GLOBAL__N_18offset_tEEE10hipError_tPvRmT1_PNSt15iterator_traitsISY_E10value_typeET2_T3_PNSZ_IS14_E10value_typeET4_jRbjT5_S1A_jjP12ihipStream_tbEUljE_EEESV_SW_SX_S14_S18_S1A_T6_T7_T9_mT8_S1C_bDpT10_ENKUlT_T0_E_clISt17integral_constantIbLb0EES1O_IbLb1EEEEDaS1K_S1L_EUlS1K_E_NS1_11comp_targetILNS1_3genE9ELNS1_11target_archE1100ELNS1_3gpuE3ELNS1_3repE0EEENS1_30default_config_static_selectorELNS0_4arch9wavefront6targetE0EEEvSY_,@function
_ZN7rocprim17ROCPRIM_400000_NS6detail17trampoline_kernelINS0_13select_configILj256ELj13ELNS0_17block_load_methodE3ELS4_3ELS4_3ELNS0_20block_scan_algorithmE0ELj4294967295EEENS1_25partition_config_selectorILNS1_17partition_subalgoE3EjNS0_10empty_typeEbEEZZNS1_14partition_implILS8_3ELb0ES6_jNS0_17counting_iteratorIjlEEPS9_SE_NS0_5tupleIJPjSE_EEENSF_IJSE_SE_EEES9_SG_JZNS1_25segmented_radix_sort_implINS0_14default_configELb1EPKsPsPKlPlN2at6native12_GLOBAL__N_18offset_tEEE10hipError_tPvRmT1_PNSt15iterator_traitsISY_E10value_typeET2_T3_PNSZ_IS14_E10value_typeET4_jRbjT5_S1A_jjP12ihipStream_tbEUljE_EEESV_SW_SX_S14_S18_S1A_T6_T7_T9_mT8_S1C_bDpT10_ENKUlT_T0_E_clISt17integral_constantIbLb0EES1O_IbLb1EEEEDaS1K_S1L_EUlS1K_E_NS1_11comp_targetILNS1_3genE9ELNS1_11target_archE1100ELNS1_3gpuE3ELNS1_3repE0EEENS1_30default_config_static_selectorELNS0_4arch9wavefront6targetE0EEEvSY_: ; @_ZN7rocprim17ROCPRIM_400000_NS6detail17trampoline_kernelINS0_13select_configILj256ELj13ELNS0_17block_load_methodE3ELS4_3ELS4_3ELNS0_20block_scan_algorithmE0ELj4294967295EEENS1_25partition_config_selectorILNS1_17partition_subalgoE3EjNS0_10empty_typeEbEEZZNS1_14partition_implILS8_3ELb0ES6_jNS0_17counting_iteratorIjlEEPS9_SE_NS0_5tupleIJPjSE_EEENSF_IJSE_SE_EEES9_SG_JZNS1_25segmented_radix_sort_implINS0_14default_configELb1EPKsPsPKlPlN2at6native12_GLOBAL__N_18offset_tEEE10hipError_tPvRmT1_PNSt15iterator_traitsISY_E10value_typeET2_T3_PNSZ_IS14_E10value_typeET4_jRbjT5_S1A_jjP12ihipStream_tbEUljE_EEESV_SW_SX_S14_S18_S1A_T6_T7_T9_mT8_S1C_bDpT10_ENKUlT_T0_E_clISt17integral_constantIbLb0EES1O_IbLb1EEEEDaS1K_S1L_EUlS1K_E_NS1_11comp_targetILNS1_3genE9ELNS1_11target_archE1100ELNS1_3gpuE3ELNS1_3repE0EEENS1_30default_config_static_selectorELNS0_4arch9wavefront6targetE0EEEvSY_
; %bb.0:
	.section	.rodata,"a",@progbits
	.p2align	6, 0x0
	.amdhsa_kernel _ZN7rocprim17ROCPRIM_400000_NS6detail17trampoline_kernelINS0_13select_configILj256ELj13ELNS0_17block_load_methodE3ELS4_3ELS4_3ELNS0_20block_scan_algorithmE0ELj4294967295EEENS1_25partition_config_selectorILNS1_17partition_subalgoE3EjNS0_10empty_typeEbEEZZNS1_14partition_implILS8_3ELb0ES6_jNS0_17counting_iteratorIjlEEPS9_SE_NS0_5tupleIJPjSE_EEENSF_IJSE_SE_EEES9_SG_JZNS1_25segmented_radix_sort_implINS0_14default_configELb1EPKsPsPKlPlN2at6native12_GLOBAL__N_18offset_tEEE10hipError_tPvRmT1_PNSt15iterator_traitsISY_E10value_typeET2_T3_PNSZ_IS14_E10value_typeET4_jRbjT5_S1A_jjP12ihipStream_tbEUljE_EEESV_SW_SX_S14_S18_S1A_T6_T7_T9_mT8_S1C_bDpT10_ENKUlT_T0_E_clISt17integral_constantIbLb0EES1O_IbLb1EEEEDaS1K_S1L_EUlS1K_E_NS1_11comp_targetILNS1_3genE9ELNS1_11target_archE1100ELNS1_3gpuE3ELNS1_3repE0EEENS1_30default_config_static_selectorELNS0_4arch9wavefront6targetE0EEEvSY_
		.amdhsa_group_segment_fixed_size 0
		.amdhsa_private_segment_fixed_size 0
		.amdhsa_kernarg_size 152
		.amdhsa_user_sgpr_count 6
		.amdhsa_user_sgpr_private_segment_buffer 1
		.amdhsa_user_sgpr_dispatch_ptr 0
		.amdhsa_user_sgpr_queue_ptr 0
		.amdhsa_user_sgpr_kernarg_segment_ptr 1
		.amdhsa_user_sgpr_dispatch_id 0
		.amdhsa_user_sgpr_flat_scratch_init 0
		.amdhsa_user_sgpr_private_segment_size 0
		.amdhsa_wavefront_size32 1
		.amdhsa_uses_dynamic_stack 0
		.amdhsa_system_sgpr_private_segment_wavefront_offset 0
		.amdhsa_system_sgpr_workgroup_id_x 1
		.amdhsa_system_sgpr_workgroup_id_y 0
		.amdhsa_system_sgpr_workgroup_id_z 0
		.amdhsa_system_sgpr_workgroup_info 0
		.amdhsa_system_vgpr_workitem_id 0
		.amdhsa_next_free_vgpr 1
		.amdhsa_next_free_sgpr 1
		.amdhsa_reserve_vcc 0
		.amdhsa_reserve_flat_scratch 0
		.amdhsa_float_round_mode_32 0
		.amdhsa_float_round_mode_16_64 0
		.amdhsa_float_denorm_mode_32 3
		.amdhsa_float_denorm_mode_16_64 3
		.amdhsa_dx10_clamp 1
		.amdhsa_ieee_mode 1
		.amdhsa_fp16_overflow 0
		.amdhsa_workgroup_processor_mode 1
		.amdhsa_memory_ordered 1
		.amdhsa_forward_progress 1
		.amdhsa_shared_vgpr_count 0
		.amdhsa_exception_fp_ieee_invalid_op 0
		.amdhsa_exception_fp_denorm_src 0
		.amdhsa_exception_fp_ieee_div_zero 0
		.amdhsa_exception_fp_ieee_overflow 0
		.amdhsa_exception_fp_ieee_underflow 0
		.amdhsa_exception_fp_ieee_inexact 0
		.amdhsa_exception_int_div_zero 0
	.end_amdhsa_kernel
	.section	.text._ZN7rocprim17ROCPRIM_400000_NS6detail17trampoline_kernelINS0_13select_configILj256ELj13ELNS0_17block_load_methodE3ELS4_3ELS4_3ELNS0_20block_scan_algorithmE0ELj4294967295EEENS1_25partition_config_selectorILNS1_17partition_subalgoE3EjNS0_10empty_typeEbEEZZNS1_14partition_implILS8_3ELb0ES6_jNS0_17counting_iteratorIjlEEPS9_SE_NS0_5tupleIJPjSE_EEENSF_IJSE_SE_EEES9_SG_JZNS1_25segmented_radix_sort_implINS0_14default_configELb1EPKsPsPKlPlN2at6native12_GLOBAL__N_18offset_tEEE10hipError_tPvRmT1_PNSt15iterator_traitsISY_E10value_typeET2_T3_PNSZ_IS14_E10value_typeET4_jRbjT5_S1A_jjP12ihipStream_tbEUljE_EEESV_SW_SX_S14_S18_S1A_T6_T7_T9_mT8_S1C_bDpT10_ENKUlT_T0_E_clISt17integral_constantIbLb0EES1O_IbLb1EEEEDaS1K_S1L_EUlS1K_E_NS1_11comp_targetILNS1_3genE9ELNS1_11target_archE1100ELNS1_3gpuE3ELNS1_3repE0EEENS1_30default_config_static_selectorELNS0_4arch9wavefront6targetE0EEEvSY_,"axG",@progbits,_ZN7rocprim17ROCPRIM_400000_NS6detail17trampoline_kernelINS0_13select_configILj256ELj13ELNS0_17block_load_methodE3ELS4_3ELS4_3ELNS0_20block_scan_algorithmE0ELj4294967295EEENS1_25partition_config_selectorILNS1_17partition_subalgoE3EjNS0_10empty_typeEbEEZZNS1_14partition_implILS8_3ELb0ES6_jNS0_17counting_iteratorIjlEEPS9_SE_NS0_5tupleIJPjSE_EEENSF_IJSE_SE_EEES9_SG_JZNS1_25segmented_radix_sort_implINS0_14default_configELb1EPKsPsPKlPlN2at6native12_GLOBAL__N_18offset_tEEE10hipError_tPvRmT1_PNSt15iterator_traitsISY_E10value_typeET2_T3_PNSZ_IS14_E10value_typeET4_jRbjT5_S1A_jjP12ihipStream_tbEUljE_EEESV_SW_SX_S14_S18_S1A_T6_T7_T9_mT8_S1C_bDpT10_ENKUlT_T0_E_clISt17integral_constantIbLb0EES1O_IbLb1EEEEDaS1K_S1L_EUlS1K_E_NS1_11comp_targetILNS1_3genE9ELNS1_11target_archE1100ELNS1_3gpuE3ELNS1_3repE0EEENS1_30default_config_static_selectorELNS0_4arch9wavefront6targetE0EEEvSY_,comdat
.Lfunc_end903:
	.size	_ZN7rocprim17ROCPRIM_400000_NS6detail17trampoline_kernelINS0_13select_configILj256ELj13ELNS0_17block_load_methodE3ELS4_3ELS4_3ELNS0_20block_scan_algorithmE0ELj4294967295EEENS1_25partition_config_selectorILNS1_17partition_subalgoE3EjNS0_10empty_typeEbEEZZNS1_14partition_implILS8_3ELb0ES6_jNS0_17counting_iteratorIjlEEPS9_SE_NS0_5tupleIJPjSE_EEENSF_IJSE_SE_EEES9_SG_JZNS1_25segmented_radix_sort_implINS0_14default_configELb1EPKsPsPKlPlN2at6native12_GLOBAL__N_18offset_tEEE10hipError_tPvRmT1_PNSt15iterator_traitsISY_E10value_typeET2_T3_PNSZ_IS14_E10value_typeET4_jRbjT5_S1A_jjP12ihipStream_tbEUljE_EEESV_SW_SX_S14_S18_S1A_T6_T7_T9_mT8_S1C_bDpT10_ENKUlT_T0_E_clISt17integral_constantIbLb0EES1O_IbLb1EEEEDaS1K_S1L_EUlS1K_E_NS1_11comp_targetILNS1_3genE9ELNS1_11target_archE1100ELNS1_3gpuE3ELNS1_3repE0EEENS1_30default_config_static_selectorELNS0_4arch9wavefront6targetE0EEEvSY_, .Lfunc_end903-_ZN7rocprim17ROCPRIM_400000_NS6detail17trampoline_kernelINS0_13select_configILj256ELj13ELNS0_17block_load_methodE3ELS4_3ELS4_3ELNS0_20block_scan_algorithmE0ELj4294967295EEENS1_25partition_config_selectorILNS1_17partition_subalgoE3EjNS0_10empty_typeEbEEZZNS1_14partition_implILS8_3ELb0ES6_jNS0_17counting_iteratorIjlEEPS9_SE_NS0_5tupleIJPjSE_EEENSF_IJSE_SE_EEES9_SG_JZNS1_25segmented_radix_sort_implINS0_14default_configELb1EPKsPsPKlPlN2at6native12_GLOBAL__N_18offset_tEEE10hipError_tPvRmT1_PNSt15iterator_traitsISY_E10value_typeET2_T3_PNSZ_IS14_E10value_typeET4_jRbjT5_S1A_jjP12ihipStream_tbEUljE_EEESV_SW_SX_S14_S18_S1A_T6_T7_T9_mT8_S1C_bDpT10_ENKUlT_T0_E_clISt17integral_constantIbLb0EES1O_IbLb1EEEEDaS1K_S1L_EUlS1K_E_NS1_11comp_targetILNS1_3genE9ELNS1_11target_archE1100ELNS1_3gpuE3ELNS1_3repE0EEENS1_30default_config_static_selectorELNS0_4arch9wavefront6targetE0EEEvSY_
                                        ; -- End function
	.set _ZN7rocprim17ROCPRIM_400000_NS6detail17trampoline_kernelINS0_13select_configILj256ELj13ELNS0_17block_load_methodE3ELS4_3ELS4_3ELNS0_20block_scan_algorithmE0ELj4294967295EEENS1_25partition_config_selectorILNS1_17partition_subalgoE3EjNS0_10empty_typeEbEEZZNS1_14partition_implILS8_3ELb0ES6_jNS0_17counting_iteratorIjlEEPS9_SE_NS0_5tupleIJPjSE_EEENSF_IJSE_SE_EEES9_SG_JZNS1_25segmented_radix_sort_implINS0_14default_configELb1EPKsPsPKlPlN2at6native12_GLOBAL__N_18offset_tEEE10hipError_tPvRmT1_PNSt15iterator_traitsISY_E10value_typeET2_T3_PNSZ_IS14_E10value_typeET4_jRbjT5_S1A_jjP12ihipStream_tbEUljE_EEESV_SW_SX_S14_S18_S1A_T6_T7_T9_mT8_S1C_bDpT10_ENKUlT_T0_E_clISt17integral_constantIbLb0EES1O_IbLb1EEEEDaS1K_S1L_EUlS1K_E_NS1_11comp_targetILNS1_3genE9ELNS1_11target_archE1100ELNS1_3gpuE3ELNS1_3repE0EEENS1_30default_config_static_selectorELNS0_4arch9wavefront6targetE0EEEvSY_.num_vgpr, 0
	.set _ZN7rocprim17ROCPRIM_400000_NS6detail17trampoline_kernelINS0_13select_configILj256ELj13ELNS0_17block_load_methodE3ELS4_3ELS4_3ELNS0_20block_scan_algorithmE0ELj4294967295EEENS1_25partition_config_selectorILNS1_17partition_subalgoE3EjNS0_10empty_typeEbEEZZNS1_14partition_implILS8_3ELb0ES6_jNS0_17counting_iteratorIjlEEPS9_SE_NS0_5tupleIJPjSE_EEENSF_IJSE_SE_EEES9_SG_JZNS1_25segmented_radix_sort_implINS0_14default_configELb1EPKsPsPKlPlN2at6native12_GLOBAL__N_18offset_tEEE10hipError_tPvRmT1_PNSt15iterator_traitsISY_E10value_typeET2_T3_PNSZ_IS14_E10value_typeET4_jRbjT5_S1A_jjP12ihipStream_tbEUljE_EEESV_SW_SX_S14_S18_S1A_T6_T7_T9_mT8_S1C_bDpT10_ENKUlT_T0_E_clISt17integral_constantIbLb0EES1O_IbLb1EEEEDaS1K_S1L_EUlS1K_E_NS1_11comp_targetILNS1_3genE9ELNS1_11target_archE1100ELNS1_3gpuE3ELNS1_3repE0EEENS1_30default_config_static_selectorELNS0_4arch9wavefront6targetE0EEEvSY_.num_agpr, 0
	.set _ZN7rocprim17ROCPRIM_400000_NS6detail17trampoline_kernelINS0_13select_configILj256ELj13ELNS0_17block_load_methodE3ELS4_3ELS4_3ELNS0_20block_scan_algorithmE0ELj4294967295EEENS1_25partition_config_selectorILNS1_17partition_subalgoE3EjNS0_10empty_typeEbEEZZNS1_14partition_implILS8_3ELb0ES6_jNS0_17counting_iteratorIjlEEPS9_SE_NS0_5tupleIJPjSE_EEENSF_IJSE_SE_EEES9_SG_JZNS1_25segmented_radix_sort_implINS0_14default_configELb1EPKsPsPKlPlN2at6native12_GLOBAL__N_18offset_tEEE10hipError_tPvRmT1_PNSt15iterator_traitsISY_E10value_typeET2_T3_PNSZ_IS14_E10value_typeET4_jRbjT5_S1A_jjP12ihipStream_tbEUljE_EEESV_SW_SX_S14_S18_S1A_T6_T7_T9_mT8_S1C_bDpT10_ENKUlT_T0_E_clISt17integral_constantIbLb0EES1O_IbLb1EEEEDaS1K_S1L_EUlS1K_E_NS1_11comp_targetILNS1_3genE9ELNS1_11target_archE1100ELNS1_3gpuE3ELNS1_3repE0EEENS1_30default_config_static_selectorELNS0_4arch9wavefront6targetE0EEEvSY_.numbered_sgpr, 0
	.set _ZN7rocprim17ROCPRIM_400000_NS6detail17trampoline_kernelINS0_13select_configILj256ELj13ELNS0_17block_load_methodE3ELS4_3ELS4_3ELNS0_20block_scan_algorithmE0ELj4294967295EEENS1_25partition_config_selectorILNS1_17partition_subalgoE3EjNS0_10empty_typeEbEEZZNS1_14partition_implILS8_3ELb0ES6_jNS0_17counting_iteratorIjlEEPS9_SE_NS0_5tupleIJPjSE_EEENSF_IJSE_SE_EEES9_SG_JZNS1_25segmented_radix_sort_implINS0_14default_configELb1EPKsPsPKlPlN2at6native12_GLOBAL__N_18offset_tEEE10hipError_tPvRmT1_PNSt15iterator_traitsISY_E10value_typeET2_T3_PNSZ_IS14_E10value_typeET4_jRbjT5_S1A_jjP12ihipStream_tbEUljE_EEESV_SW_SX_S14_S18_S1A_T6_T7_T9_mT8_S1C_bDpT10_ENKUlT_T0_E_clISt17integral_constantIbLb0EES1O_IbLb1EEEEDaS1K_S1L_EUlS1K_E_NS1_11comp_targetILNS1_3genE9ELNS1_11target_archE1100ELNS1_3gpuE3ELNS1_3repE0EEENS1_30default_config_static_selectorELNS0_4arch9wavefront6targetE0EEEvSY_.num_named_barrier, 0
	.set _ZN7rocprim17ROCPRIM_400000_NS6detail17trampoline_kernelINS0_13select_configILj256ELj13ELNS0_17block_load_methodE3ELS4_3ELS4_3ELNS0_20block_scan_algorithmE0ELj4294967295EEENS1_25partition_config_selectorILNS1_17partition_subalgoE3EjNS0_10empty_typeEbEEZZNS1_14partition_implILS8_3ELb0ES6_jNS0_17counting_iteratorIjlEEPS9_SE_NS0_5tupleIJPjSE_EEENSF_IJSE_SE_EEES9_SG_JZNS1_25segmented_radix_sort_implINS0_14default_configELb1EPKsPsPKlPlN2at6native12_GLOBAL__N_18offset_tEEE10hipError_tPvRmT1_PNSt15iterator_traitsISY_E10value_typeET2_T3_PNSZ_IS14_E10value_typeET4_jRbjT5_S1A_jjP12ihipStream_tbEUljE_EEESV_SW_SX_S14_S18_S1A_T6_T7_T9_mT8_S1C_bDpT10_ENKUlT_T0_E_clISt17integral_constantIbLb0EES1O_IbLb1EEEEDaS1K_S1L_EUlS1K_E_NS1_11comp_targetILNS1_3genE9ELNS1_11target_archE1100ELNS1_3gpuE3ELNS1_3repE0EEENS1_30default_config_static_selectorELNS0_4arch9wavefront6targetE0EEEvSY_.private_seg_size, 0
	.set _ZN7rocprim17ROCPRIM_400000_NS6detail17trampoline_kernelINS0_13select_configILj256ELj13ELNS0_17block_load_methodE3ELS4_3ELS4_3ELNS0_20block_scan_algorithmE0ELj4294967295EEENS1_25partition_config_selectorILNS1_17partition_subalgoE3EjNS0_10empty_typeEbEEZZNS1_14partition_implILS8_3ELb0ES6_jNS0_17counting_iteratorIjlEEPS9_SE_NS0_5tupleIJPjSE_EEENSF_IJSE_SE_EEES9_SG_JZNS1_25segmented_radix_sort_implINS0_14default_configELb1EPKsPsPKlPlN2at6native12_GLOBAL__N_18offset_tEEE10hipError_tPvRmT1_PNSt15iterator_traitsISY_E10value_typeET2_T3_PNSZ_IS14_E10value_typeET4_jRbjT5_S1A_jjP12ihipStream_tbEUljE_EEESV_SW_SX_S14_S18_S1A_T6_T7_T9_mT8_S1C_bDpT10_ENKUlT_T0_E_clISt17integral_constantIbLb0EES1O_IbLb1EEEEDaS1K_S1L_EUlS1K_E_NS1_11comp_targetILNS1_3genE9ELNS1_11target_archE1100ELNS1_3gpuE3ELNS1_3repE0EEENS1_30default_config_static_selectorELNS0_4arch9wavefront6targetE0EEEvSY_.uses_vcc, 0
	.set _ZN7rocprim17ROCPRIM_400000_NS6detail17trampoline_kernelINS0_13select_configILj256ELj13ELNS0_17block_load_methodE3ELS4_3ELS4_3ELNS0_20block_scan_algorithmE0ELj4294967295EEENS1_25partition_config_selectorILNS1_17partition_subalgoE3EjNS0_10empty_typeEbEEZZNS1_14partition_implILS8_3ELb0ES6_jNS0_17counting_iteratorIjlEEPS9_SE_NS0_5tupleIJPjSE_EEENSF_IJSE_SE_EEES9_SG_JZNS1_25segmented_radix_sort_implINS0_14default_configELb1EPKsPsPKlPlN2at6native12_GLOBAL__N_18offset_tEEE10hipError_tPvRmT1_PNSt15iterator_traitsISY_E10value_typeET2_T3_PNSZ_IS14_E10value_typeET4_jRbjT5_S1A_jjP12ihipStream_tbEUljE_EEESV_SW_SX_S14_S18_S1A_T6_T7_T9_mT8_S1C_bDpT10_ENKUlT_T0_E_clISt17integral_constantIbLb0EES1O_IbLb1EEEEDaS1K_S1L_EUlS1K_E_NS1_11comp_targetILNS1_3genE9ELNS1_11target_archE1100ELNS1_3gpuE3ELNS1_3repE0EEENS1_30default_config_static_selectorELNS0_4arch9wavefront6targetE0EEEvSY_.uses_flat_scratch, 0
	.set _ZN7rocprim17ROCPRIM_400000_NS6detail17trampoline_kernelINS0_13select_configILj256ELj13ELNS0_17block_load_methodE3ELS4_3ELS4_3ELNS0_20block_scan_algorithmE0ELj4294967295EEENS1_25partition_config_selectorILNS1_17partition_subalgoE3EjNS0_10empty_typeEbEEZZNS1_14partition_implILS8_3ELb0ES6_jNS0_17counting_iteratorIjlEEPS9_SE_NS0_5tupleIJPjSE_EEENSF_IJSE_SE_EEES9_SG_JZNS1_25segmented_radix_sort_implINS0_14default_configELb1EPKsPsPKlPlN2at6native12_GLOBAL__N_18offset_tEEE10hipError_tPvRmT1_PNSt15iterator_traitsISY_E10value_typeET2_T3_PNSZ_IS14_E10value_typeET4_jRbjT5_S1A_jjP12ihipStream_tbEUljE_EEESV_SW_SX_S14_S18_S1A_T6_T7_T9_mT8_S1C_bDpT10_ENKUlT_T0_E_clISt17integral_constantIbLb0EES1O_IbLb1EEEEDaS1K_S1L_EUlS1K_E_NS1_11comp_targetILNS1_3genE9ELNS1_11target_archE1100ELNS1_3gpuE3ELNS1_3repE0EEENS1_30default_config_static_selectorELNS0_4arch9wavefront6targetE0EEEvSY_.has_dyn_sized_stack, 0
	.set _ZN7rocprim17ROCPRIM_400000_NS6detail17trampoline_kernelINS0_13select_configILj256ELj13ELNS0_17block_load_methodE3ELS4_3ELS4_3ELNS0_20block_scan_algorithmE0ELj4294967295EEENS1_25partition_config_selectorILNS1_17partition_subalgoE3EjNS0_10empty_typeEbEEZZNS1_14partition_implILS8_3ELb0ES6_jNS0_17counting_iteratorIjlEEPS9_SE_NS0_5tupleIJPjSE_EEENSF_IJSE_SE_EEES9_SG_JZNS1_25segmented_radix_sort_implINS0_14default_configELb1EPKsPsPKlPlN2at6native12_GLOBAL__N_18offset_tEEE10hipError_tPvRmT1_PNSt15iterator_traitsISY_E10value_typeET2_T3_PNSZ_IS14_E10value_typeET4_jRbjT5_S1A_jjP12ihipStream_tbEUljE_EEESV_SW_SX_S14_S18_S1A_T6_T7_T9_mT8_S1C_bDpT10_ENKUlT_T0_E_clISt17integral_constantIbLb0EES1O_IbLb1EEEEDaS1K_S1L_EUlS1K_E_NS1_11comp_targetILNS1_3genE9ELNS1_11target_archE1100ELNS1_3gpuE3ELNS1_3repE0EEENS1_30default_config_static_selectorELNS0_4arch9wavefront6targetE0EEEvSY_.has_recursion, 0
	.set _ZN7rocprim17ROCPRIM_400000_NS6detail17trampoline_kernelINS0_13select_configILj256ELj13ELNS0_17block_load_methodE3ELS4_3ELS4_3ELNS0_20block_scan_algorithmE0ELj4294967295EEENS1_25partition_config_selectorILNS1_17partition_subalgoE3EjNS0_10empty_typeEbEEZZNS1_14partition_implILS8_3ELb0ES6_jNS0_17counting_iteratorIjlEEPS9_SE_NS0_5tupleIJPjSE_EEENSF_IJSE_SE_EEES9_SG_JZNS1_25segmented_radix_sort_implINS0_14default_configELb1EPKsPsPKlPlN2at6native12_GLOBAL__N_18offset_tEEE10hipError_tPvRmT1_PNSt15iterator_traitsISY_E10value_typeET2_T3_PNSZ_IS14_E10value_typeET4_jRbjT5_S1A_jjP12ihipStream_tbEUljE_EEESV_SW_SX_S14_S18_S1A_T6_T7_T9_mT8_S1C_bDpT10_ENKUlT_T0_E_clISt17integral_constantIbLb0EES1O_IbLb1EEEEDaS1K_S1L_EUlS1K_E_NS1_11comp_targetILNS1_3genE9ELNS1_11target_archE1100ELNS1_3gpuE3ELNS1_3repE0EEENS1_30default_config_static_selectorELNS0_4arch9wavefront6targetE0EEEvSY_.has_indirect_call, 0
	.section	.AMDGPU.csdata,"",@progbits
; Kernel info:
; codeLenInByte = 0
; TotalNumSgprs: 0
; NumVgprs: 0
; ScratchSize: 0
; MemoryBound: 0
; FloatMode: 240
; IeeeMode: 1
; LDSByteSize: 0 bytes/workgroup (compile time only)
; SGPRBlocks: 0
; VGPRBlocks: 0
; NumSGPRsForWavesPerEU: 1
; NumVGPRsForWavesPerEU: 1
; Occupancy: 16
; WaveLimiterHint : 0
; COMPUTE_PGM_RSRC2:SCRATCH_EN: 0
; COMPUTE_PGM_RSRC2:USER_SGPR: 6
; COMPUTE_PGM_RSRC2:TRAP_HANDLER: 0
; COMPUTE_PGM_RSRC2:TGID_X_EN: 1
; COMPUTE_PGM_RSRC2:TGID_Y_EN: 0
; COMPUTE_PGM_RSRC2:TGID_Z_EN: 0
; COMPUTE_PGM_RSRC2:TIDIG_COMP_CNT: 0
	.section	.text._ZN7rocprim17ROCPRIM_400000_NS6detail17trampoline_kernelINS0_13select_configILj256ELj13ELNS0_17block_load_methodE3ELS4_3ELS4_3ELNS0_20block_scan_algorithmE0ELj4294967295EEENS1_25partition_config_selectorILNS1_17partition_subalgoE3EjNS0_10empty_typeEbEEZZNS1_14partition_implILS8_3ELb0ES6_jNS0_17counting_iteratorIjlEEPS9_SE_NS0_5tupleIJPjSE_EEENSF_IJSE_SE_EEES9_SG_JZNS1_25segmented_radix_sort_implINS0_14default_configELb1EPKsPsPKlPlN2at6native12_GLOBAL__N_18offset_tEEE10hipError_tPvRmT1_PNSt15iterator_traitsISY_E10value_typeET2_T3_PNSZ_IS14_E10value_typeET4_jRbjT5_S1A_jjP12ihipStream_tbEUljE_EEESV_SW_SX_S14_S18_S1A_T6_T7_T9_mT8_S1C_bDpT10_ENKUlT_T0_E_clISt17integral_constantIbLb0EES1O_IbLb1EEEEDaS1K_S1L_EUlS1K_E_NS1_11comp_targetILNS1_3genE8ELNS1_11target_archE1030ELNS1_3gpuE2ELNS1_3repE0EEENS1_30default_config_static_selectorELNS0_4arch9wavefront6targetE0EEEvSY_,"axG",@progbits,_ZN7rocprim17ROCPRIM_400000_NS6detail17trampoline_kernelINS0_13select_configILj256ELj13ELNS0_17block_load_methodE3ELS4_3ELS4_3ELNS0_20block_scan_algorithmE0ELj4294967295EEENS1_25partition_config_selectorILNS1_17partition_subalgoE3EjNS0_10empty_typeEbEEZZNS1_14partition_implILS8_3ELb0ES6_jNS0_17counting_iteratorIjlEEPS9_SE_NS0_5tupleIJPjSE_EEENSF_IJSE_SE_EEES9_SG_JZNS1_25segmented_radix_sort_implINS0_14default_configELb1EPKsPsPKlPlN2at6native12_GLOBAL__N_18offset_tEEE10hipError_tPvRmT1_PNSt15iterator_traitsISY_E10value_typeET2_T3_PNSZ_IS14_E10value_typeET4_jRbjT5_S1A_jjP12ihipStream_tbEUljE_EEESV_SW_SX_S14_S18_S1A_T6_T7_T9_mT8_S1C_bDpT10_ENKUlT_T0_E_clISt17integral_constantIbLb0EES1O_IbLb1EEEEDaS1K_S1L_EUlS1K_E_NS1_11comp_targetILNS1_3genE8ELNS1_11target_archE1030ELNS1_3gpuE2ELNS1_3repE0EEENS1_30default_config_static_selectorELNS0_4arch9wavefront6targetE0EEEvSY_,comdat
	.globl	_ZN7rocprim17ROCPRIM_400000_NS6detail17trampoline_kernelINS0_13select_configILj256ELj13ELNS0_17block_load_methodE3ELS4_3ELS4_3ELNS0_20block_scan_algorithmE0ELj4294967295EEENS1_25partition_config_selectorILNS1_17partition_subalgoE3EjNS0_10empty_typeEbEEZZNS1_14partition_implILS8_3ELb0ES6_jNS0_17counting_iteratorIjlEEPS9_SE_NS0_5tupleIJPjSE_EEENSF_IJSE_SE_EEES9_SG_JZNS1_25segmented_radix_sort_implINS0_14default_configELb1EPKsPsPKlPlN2at6native12_GLOBAL__N_18offset_tEEE10hipError_tPvRmT1_PNSt15iterator_traitsISY_E10value_typeET2_T3_PNSZ_IS14_E10value_typeET4_jRbjT5_S1A_jjP12ihipStream_tbEUljE_EEESV_SW_SX_S14_S18_S1A_T6_T7_T9_mT8_S1C_bDpT10_ENKUlT_T0_E_clISt17integral_constantIbLb0EES1O_IbLb1EEEEDaS1K_S1L_EUlS1K_E_NS1_11comp_targetILNS1_3genE8ELNS1_11target_archE1030ELNS1_3gpuE2ELNS1_3repE0EEENS1_30default_config_static_selectorELNS0_4arch9wavefront6targetE0EEEvSY_ ; -- Begin function _ZN7rocprim17ROCPRIM_400000_NS6detail17trampoline_kernelINS0_13select_configILj256ELj13ELNS0_17block_load_methodE3ELS4_3ELS4_3ELNS0_20block_scan_algorithmE0ELj4294967295EEENS1_25partition_config_selectorILNS1_17partition_subalgoE3EjNS0_10empty_typeEbEEZZNS1_14partition_implILS8_3ELb0ES6_jNS0_17counting_iteratorIjlEEPS9_SE_NS0_5tupleIJPjSE_EEENSF_IJSE_SE_EEES9_SG_JZNS1_25segmented_radix_sort_implINS0_14default_configELb1EPKsPsPKlPlN2at6native12_GLOBAL__N_18offset_tEEE10hipError_tPvRmT1_PNSt15iterator_traitsISY_E10value_typeET2_T3_PNSZ_IS14_E10value_typeET4_jRbjT5_S1A_jjP12ihipStream_tbEUljE_EEESV_SW_SX_S14_S18_S1A_T6_T7_T9_mT8_S1C_bDpT10_ENKUlT_T0_E_clISt17integral_constantIbLb0EES1O_IbLb1EEEEDaS1K_S1L_EUlS1K_E_NS1_11comp_targetILNS1_3genE8ELNS1_11target_archE1030ELNS1_3gpuE2ELNS1_3repE0EEENS1_30default_config_static_selectorELNS0_4arch9wavefront6targetE0EEEvSY_
	.p2align	8
	.type	_ZN7rocprim17ROCPRIM_400000_NS6detail17trampoline_kernelINS0_13select_configILj256ELj13ELNS0_17block_load_methodE3ELS4_3ELS4_3ELNS0_20block_scan_algorithmE0ELj4294967295EEENS1_25partition_config_selectorILNS1_17partition_subalgoE3EjNS0_10empty_typeEbEEZZNS1_14partition_implILS8_3ELb0ES6_jNS0_17counting_iteratorIjlEEPS9_SE_NS0_5tupleIJPjSE_EEENSF_IJSE_SE_EEES9_SG_JZNS1_25segmented_radix_sort_implINS0_14default_configELb1EPKsPsPKlPlN2at6native12_GLOBAL__N_18offset_tEEE10hipError_tPvRmT1_PNSt15iterator_traitsISY_E10value_typeET2_T3_PNSZ_IS14_E10value_typeET4_jRbjT5_S1A_jjP12ihipStream_tbEUljE_EEESV_SW_SX_S14_S18_S1A_T6_T7_T9_mT8_S1C_bDpT10_ENKUlT_T0_E_clISt17integral_constantIbLb0EES1O_IbLb1EEEEDaS1K_S1L_EUlS1K_E_NS1_11comp_targetILNS1_3genE8ELNS1_11target_archE1030ELNS1_3gpuE2ELNS1_3repE0EEENS1_30default_config_static_selectorELNS0_4arch9wavefront6targetE0EEEvSY_,@function
_ZN7rocprim17ROCPRIM_400000_NS6detail17trampoline_kernelINS0_13select_configILj256ELj13ELNS0_17block_load_methodE3ELS4_3ELS4_3ELNS0_20block_scan_algorithmE0ELj4294967295EEENS1_25partition_config_selectorILNS1_17partition_subalgoE3EjNS0_10empty_typeEbEEZZNS1_14partition_implILS8_3ELb0ES6_jNS0_17counting_iteratorIjlEEPS9_SE_NS0_5tupleIJPjSE_EEENSF_IJSE_SE_EEES9_SG_JZNS1_25segmented_radix_sort_implINS0_14default_configELb1EPKsPsPKlPlN2at6native12_GLOBAL__N_18offset_tEEE10hipError_tPvRmT1_PNSt15iterator_traitsISY_E10value_typeET2_T3_PNSZ_IS14_E10value_typeET4_jRbjT5_S1A_jjP12ihipStream_tbEUljE_EEESV_SW_SX_S14_S18_S1A_T6_T7_T9_mT8_S1C_bDpT10_ENKUlT_T0_E_clISt17integral_constantIbLb0EES1O_IbLb1EEEEDaS1K_S1L_EUlS1K_E_NS1_11comp_targetILNS1_3genE8ELNS1_11target_archE1030ELNS1_3gpuE2ELNS1_3repE0EEENS1_30default_config_static_selectorELNS0_4arch9wavefront6targetE0EEEvSY_: ; @_ZN7rocprim17ROCPRIM_400000_NS6detail17trampoline_kernelINS0_13select_configILj256ELj13ELNS0_17block_load_methodE3ELS4_3ELS4_3ELNS0_20block_scan_algorithmE0ELj4294967295EEENS1_25partition_config_selectorILNS1_17partition_subalgoE3EjNS0_10empty_typeEbEEZZNS1_14partition_implILS8_3ELb0ES6_jNS0_17counting_iteratorIjlEEPS9_SE_NS0_5tupleIJPjSE_EEENSF_IJSE_SE_EEES9_SG_JZNS1_25segmented_radix_sort_implINS0_14default_configELb1EPKsPsPKlPlN2at6native12_GLOBAL__N_18offset_tEEE10hipError_tPvRmT1_PNSt15iterator_traitsISY_E10value_typeET2_T3_PNSZ_IS14_E10value_typeET4_jRbjT5_S1A_jjP12ihipStream_tbEUljE_EEESV_SW_SX_S14_S18_S1A_T6_T7_T9_mT8_S1C_bDpT10_ENKUlT_T0_E_clISt17integral_constantIbLb0EES1O_IbLb1EEEEDaS1K_S1L_EUlS1K_E_NS1_11comp_targetILNS1_3genE8ELNS1_11target_archE1030ELNS1_3gpuE2ELNS1_3repE0EEENS1_30default_config_static_selectorELNS0_4arch9wavefront6targetE0EEEvSY_
; %bb.0:
	s_clause 0x6
	s_load_dwordx2 s[18:19], s[4:5], 0x10
	s_load_dwordx2 s[16:17], s[4:5], 0x28
	;; [unrolled: 1-line block ×3, first 2 shown]
	s_load_dwordx4 s[12:15], s[4:5], 0x48
	s_load_dword s2, s[4:5], 0x90
	s_load_dwordx2 s[22:23], s[4:5], 0x68
	s_load_dwordx4 s[8:11], s[4:5], 0x80
	v_cmp_eq_u32_e64 s0, 0, v0
	s_and_saveexec_b32 s1, s0
	s_cbranch_execz .LBB904_4
; %bb.1:
	s_mov_b32 s6, exec_lo
	s_mov_b32 s3, exec_lo
	v_mbcnt_lo_u32_b32 v1, s6, 0
                                        ; implicit-def: $vgpr2
	v_cmpx_eq_u32_e32 0, v1
	s_cbranch_execz .LBB904_3
; %bb.2:
	s_load_dwordx2 s[24:25], s[4:5], 0x78
	s_bcnt1_i32_b32 s6, s6
	v_mov_b32_e32 v2, 0
	v_mov_b32_e32 v3, s6
	s_waitcnt lgkmcnt(0)
	global_atomic_add v2, v2, v3, s[24:25] glc
.LBB904_3:
	s_or_b32 exec_lo, exec_lo, s3
	s_waitcnt vmcnt(0)
	v_readfirstlane_b32 s3, v2
	v_mov_b32_e32 v2, 0
	v_add_nc_u32_e32 v1, s3, v1
	ds_write_b32 v2, v1
.LBB904_4:
	s_or_b32 exec_lo, exec_lo, s1
	v_mov_b32_e32 v1, 0
	s_clause 0x1
	s_load_dword s3, s[4:5], 0x8
	s_load_dword s1, s[4:5], 0x70
	s_waitcnt lgkmcnt(0)
	s_barrier
	buffer_gl0_inv
	ds_read_b32 v2, v1
	s_waitcnt lgkmcnt(0)
	s_barrier
	buffer_gl0_inv
	global_load_dwordx2 v[18:19], v1, s[14:15]
	v_lshlrev_b32_e32 v44, 2, v0
	s_add_i32 s4, s3, s18
	s_mul_i32 s5, s1, 0xd00
	s_add_i32 s1, s1, -1
	s_add_i32 s3, s5, s18
	s_sub_i32 s15, s20, s3
	v_readfirstlane_b32 s25, v2
	s_addk_i32 s15, 0xd00
	s_add_u32 s6, s18, s5
	s_addc_u32 s7, s19, 0
	v_cmp_ne_u32_e32 vcc_lo, s1, v2
	v_cmp_gt_u64_e64 s3, s[20:21], s[6:7]
	s_cmp_eq_u32 s25, s1
	s_mul_i32 s24, s25, 0xd00
	s_cselect_b32 s14, -1, 0
	s_mov_b32 s5, -1
	s_or_b32 s3, s3, vcc_lo
	s_and_b32 vcc_lo, exec_lo, s3
	s_cbranch_vccz .LBB904_6
; %bb.5:
	v_add3_u32 v1, s24, s4, v0
	s_mov_b32 s5, 0
	v_add_nc_u32_e32 v2, 0x100, v1
	v_add_nc_u32_e32 v3, 0x200, v1
	v_add_nc_u32_e32 v4, 0x300, v1
	v_add_nc_u32_e32 v5, 0x400, v1
	v_add_nc_u32_e32 v6, 0x500, v1
	v_add_nc_u32_e32 v7, 0x600, v1
	v_add_nc_u32_e32 v8, 0x700, v1
	v_add_nc_u32_e32 v9, 0x800, v1
	v_add_nc_u32_e32 v10, 0x900, v1
	v_add_nc_u32_e32 v11, 0xa00, v1
	v_add_nc_u32_e32 v12, 0xb00, v1
	v_add_nc_u32_e32 v13, 0xc00, v1
	ds_write2st64_b32 v44, v1, v2 offset1:4
	ds_write2st64_b32 v44, v3, v4 offset0:8 offset1:12
	ds_write2st64_b32 v44, v5, v6 offset0:16 offset1:20
	;; [unrolled: 1-line block ×5, first 2 shown]
	ds_write_b32 v44, v13 offset:12288
	s_waitcnt vmcnt(0) lgkmcnt(0)
	s_barrier
.LBB904_6:
	v_cmp_gt_u32_e64 s1, s15, v0
	v_or_b32_e32 v43, 0x100, v0
	v_or_b32_e32 v42, 0x200, v0
	;; [unrolled: 1-line block ×12, first 2 shown]
	s_andn2_b32 vcc_lo, exec_lo, s5
	s_cbranch_vccnz .LBB904_8
; %bb.7:
	s_add_i32 s4, s24, s4
	v_cmp_gt_u32_e32 vcc_lo, s15, v43
	v_add_nc_u32_e32 v2, s4, v43
	v_add_nc_u32_e32 v3, s4, v42
	;; [unrolled: 1-line block ×5, first 2 shown]
	v_cndmask_b32_e32 v2, 0, v2, vcc_lo
	v_cmp_gt_u32_e32 vcc_lo, s15, v42
	v_add_nc_u32_e32 v7, s4, v38
	v_add_nc_u32_e32 v8, s4, v37
	;; [unrolled: 1-line block ×4, first 2 shown]
	v_cndmask_b32_e32 v3, 0, v3, vcc_lo
	v_cmp_gt_u32_e32 vcc_lo, s15, v41
	v_add_nc_u32_e32 v11, s4, v34
	v_add_nc_u32_e32 v1, s4, v0
	;; [unrolled: 1-line block ×4, first 2 shown]
	v_cndmask_b32_e32 v4, 0, v4, vcc_lo
	v_cmp_gt_u32_e32 vcc_lo, s15, v40
	v_cndmask_b32_e64 v1, 0, v1, s1
	v_cndmask_b32_e32 v5, 0, v5, vcc_lo
	v_cmp_gt_u32_e32 vcc_lo, s15, v39
	v_cndmask_b32_e32 v6, 0, v6, vcc_lo
	v_cmp_gt_u32_e32 vcc_lo, s15, v38
	v_cndmask_b32_e32 v7, 0, v7, vcc_lo
	v_cmp_gt_u32_e32 vcc_lo, s15, v37
	v_cndmask_b32_e32 v8, 0, v8, vcc_lo
	v_cmp_gt_u32_e32 vcc_lo, s15, v36
	v_cndmask_b32_e32 v9, 0, v9, vcc_lo
	v_cmp_gt_u32_e32 vcc_lo, s15, v35
	v_cndmask_b32_e32 v10, 0, v10, vcc_lo
	v_cmp_gt_u32_e32 vcc_lo, s15, v34
	v_cndmask_b32_e32 v11, 0, v11, vcc_lo
	v_cmp_gt_u32_e32 vcc_lo, s15, v33
	v_cndmask_b32_e32 v12, 0, v12, vcc_lo
	v_cmp_gt_u32_e32 vcc_lo, s15, v32
	v_cndmask_b32_e32 v13, 0, v13, vcc_lo
	ds_write2st64_b32 v44, v1, v2 offset1:4
	ds_write2st64_b32 v44, v3, v4 offset0:8 offset1:12
	ds_write2st64_b32 v44, v5, v6 offset0:16 offset1:20
	ds_write2st64_b32 v44, v7, v8 offset0:24 offset1:28
	ds_write2st64_b32 v44, v9, v10 offset0:32 offset1:36
	ds_write2st64_b32 v44, v11, v12 offset0:40 offset1:44
	ds_write_b32 v44, v13 offset:12288
	s_waitcnt vmcnt(0) lgkmcnt(0)
	s_barrier
.LBB904_8:
	v_mul_u32_u24_e32 v47, 13, v0
	s_waitcnt vmcnt(0)
	buffer_gl0_inv
	v_cndmask_b32_e64 v45, 0, 1, s3
	s_andn2_b32 vcc_lo, exec_lo, s3
	v_lshlrev_b32_e32 v1, 2, v47
	ds_read2_b32 v[28:29], v1 offset0:2 offset1:3
	ds_read2_b32 v[24:25], v1 offset0:6 offset1:7
	;; [unrolled: 1-line block ×3, first 2 shown]
	ds_read2_b32 v[30:31], v1 offset1:1
	ds_read2_b32 v[20:21], v1 offset0:10 offset1:11
	ds_read_b32 v46, v1 offset:48
	ds_read2_b32 v[22:23], v1 offset0:8 offset1:9
	s_waitcnt lgkmcnt(0)
	s_barrier
	buffer_gl0_inv
	s_cbranch_vccnz .LBB904_10
; %bb.9:
	v_add_nc_u32_e32 v1, s9, v29
	v_add_nc_u32_e32 v4, s9, v28
	;; [unrolled: 1-line block ×6, first 2 shown]
	v_mul_lo_u32 v4, v4, s8
	v_mul_lo_u32 v1, v1, s8
	;; [unrolled: 1-line block ×4, first 2 shown]
	v_add_nc_u32_e32 v3, s9, v30
	v_add_nc_u32_e32 v7, s11, v30
	v_mul_lo_u32 v2, v2, s8
	v_mul_lo_u32 v6, v6, s10
	v_add_nc_u32_e32 v10, s11, v27
	v_mul_lo_u32 v3, v3, s8
	v_mul_lo_u32 v7, v7, s10
	v_sub_nc_u32_e32 v1, v1, v5
	v_sub_nc_u32_e32 v4, v4, v8
	v_add_nc_u32_e32 v5, s9, v25
	v_add_nc_u32_e32 v8, s11, v25
	v_sub_nc_u32_e32 v2, v2, v6
	v_add_nc_u32_e32 v6, s9, v27
	v_add_nc_u32_e32 v9, s9, v24
	v_mul_lo_u32 v5, v5, s8
	v_mul_lo_u32 v8, v8, s10
	v_sub_nc_u32_e32 v3, v3, v7
	v_add_nc_u32_e32 v7, s9, v26
	v_add_nc_u32_e32 v11, s11, v24
	v_mul_lo_u32 v6, v6, s8
	v_mul_lo_u32 v10, v10, s10
	v_add_nc_u32_e32 v12, s11, v26
	v_mul_lo_u32 v9, v9, s8
	v_mul_lo_u32 v7, v7, s8
	;; [unrolled: 1-line block ×3, first 2 shown]
	v_sub_nc_u32_e32 v5, v5, v8
	v_mul_lo_u32 v8, v12, s10
	v_cmp_lt_u32_e32 vcc_lo, s2, v1
	v_sub_nc_u32_e32 v6, v6, v10
	v_add_nc_u32_e32 v10, s9, v21
	v_add_nc_u32_e32 v14, s11, v21
	;; [unrolled: 1-line block ×3, first 2 shown]
	v_cndmask_b32_e64 v1, 0, 1, vcc_lo
	v_cmp_lt_u32_e32 vcc_lo, s2, v2
	v_sub_nc_u32_e32 v7, v7, v8
	v_sub_nc_u32_e32 v8, v9, v11
	v_add_nc_u32_e32 v11, s9, v23
	v_mul_lo_u32 v10, v10, s8
	v_mul_lo_u32 v14, v14, s10
	v_cndmask_b32_e64 v2, 0, 1, vcc_lo
	v_cmp_lt_u32_e32 vcc_lo, s2, v5
	v_mul_lo_u32 v11, v11, s8
	v_mul_lo_u32 v15, v15, s10
	v_mov_b32_e32 v9, 8
	v_lshlrev_b16 v2, 8, v2
	v_cndmask_b32_e64 v5, 0, 1, vcc_lo
	v_cmp_lt_u32_e32 vcc_lo, s2, v6
	v_sub_nc_u32_e32 v10, v10, v14
	v_add_nc_u32_e32 v12, s9, v22
	v_add_nc_u32_e32 v16, s11, v22
	v_sub_nc_u32_e32 v11, v11, v15
	v_cndmask_b32_e64 v6, 0, 1, vcc_lo
	v_cmp_lt_u32_e32 vcc_lo, s2, v10
	v_lshrrev_b32_sdwa v2, v9, v2 dst_sel:BYTE_1 dst_unused:UNUSED_PAD src0_sel:DWORD src1_sel:DWORD
	v_add_nc_u32_e32 v13, s9, v20
	v_add_nc_u32_e32 v17, s11, v20
	v_mul_lo_u32 v12, v12, s8
	v_cndmask_b32_e64 v10, 0, 1, vcc_lo
	v_cmp_lt_u32_e32 vcc_lo, s2, v11
	v_mul_lo_u32 v16, v16, s10
	v_mul_lo_u32 v13, v13, s8
	;; [unrolled: 1-line block ×3, first 2 shown]
	v_add_nc_u32_e32 v14, s9, v46
	v_cndmask_b32_e64 v11, 0, 1, vcc_lo
	v_cmp_lt_u32_e32 vcc_lo, s2, v3
	v_add_nc_u32_e32 v15, s11, v46
	v_lshlrev_b16 v1, 8, v1
	v_sub_nc_u32_e32 v12, v12, v16
	v_lshlrev_b16 v11, 8, v11
	v_cndmask_b32_e64 v3, 0, 1, vcc_lo
	v_cmp_lt_u32_e32 vcc_lo, s2, v4
	v_sub_nc_u32_e32 v13, v13, v17
	v_mul_lo_u32 v14, v14, s8
	v_mul_lo_u32 v15, v15, s10
	v_or_b32_e32 v2, v3, v2
	v_cndmask_b32_e64 v3, 0, 1, vcc_lo
	v_cmp_lt_u32_e32 vcc_lo, s2, v7
	v_lshlrev_b16 v6, 8, v6
	v_lshlrev_b16 v10, 8, v10
	;; [unrolled: 1-line block ×3, first 2 shown]
	v_lshrrev_b32_sdwa v1, v9, v1 dst_sel:BYTE_1 dst_unused:UNUSED_PAD src0_sel:DWORD src1_sel:DWORD
	v_cndmask_b32_e64 v4, 0, 1, vcc_lo
	v_cmp_lt_u32_e32 vcc_lo, s2, v8
	v_lshrrev_b32_sdwa v8, v9, v11 dst_sel:BYTE_1 dst_unused:UNUSED_PAD src0_sel:DWORD src1_sel:DWORD
	v_lshrrev_b32_sdwa v6, v9, v6 dst_sel:BYTE_1 dst_unused:UNUSED_PAD src0_sel:DWORD src1_sel:DWORD
	v_sub_nc_u32_e32 v14, v14, v15
	v_lshrrev_b32_sdwa v9, v9, v10 dst_sel:BYTE_1 dst_unused:UNUSED_PAD src0_sel:DWORD src1_sel:DWORD
	v_cndmask_b32_e64 v7, 0, 1, vcc_lo
	v_cmp_lt_u32_e32 vcc_lo, s2, v12
	v_or_b32_sdwa v1, v3, v1 dst_sel:WORD_1 dst_unused:UNUSED_PAD src0_sel:DWORD src1_sel:DWORD
	v_or_b32_e32 v3, v4, v6
	v_or_b32_sdwa v4, v7, v5 dst_sel:WORD_1 dst_unused:UNUSED_PAD src0_sel:DWORD src1_sel:DWORD
	v_cndmask_b32_e64 v11, 0, 1, vcc_lo
	v_cmp_lt_u32_e32 vcc_lo, s2, v13
	v_or_b32_sdwa v52, v2, v1 dst_sel:DWORD dst_unused:UNUSED_PAD src0_sel:WORD_0 src1_sel:DWORD
	v_or_b32_sdwa v50, v3, v4 dst_sel:DWORD dst_unused:UNUSED_PAD src0_sel:WORD_0 src1_sel:DWORD
	v_or_b32_e32 v5, v11, v8
	v_cndmask_b32_e64 v10, 0, 1, vcc_lo
	v_cmp_lt_u32_e32 vcc_lo, s2, v14
	v_or_b32_sdwa v6, v10, v9 dst_sel:WORD_1 dst_unused:UNUSED_PAD src0_sel:DWORD src1_sel:DWORD
	v_cndmask_b32_e64 v48, 0, 1, vcc_lo
	v_or_b32_sdwa v49, v5, v6 dst_sel:DWORD dst_unused:UNUSED_PAD src0_sel:WORD_0 src1_sel:DWORD
	s_cbranch_execz .LBB904_11
	s_branch .LBB904_38
.LBB904_10:
                                        ; implicit-def: $vgpr48
                                        ; implicit-def: $vgpr49
                                        ; implicit-def: $vgpr50
                                        ; implicit-def: $vgpr52
.LBB904_11:
	v_mov_b32_e32 v2, 0
	v_mov_b32_e32 v1, 0
	s_mov_b32 s1, exec_lo
	v_cmpx_gt_u32_e64 s15, v47
	s_cbranch_execz .LBB904_13
; %bb.12:
	v_add_nc_u32_e32 v1, s9, v30
	v_add_nc_u32_e32 v3, s11, v30
	v_mul_lo_u32 v1, v1, s8
	v_mul_lo_u32 v3, v3, s10
	v_sub_nc_u32_e32 v1, v1, v3
	v_cmp_lt_u32_e32 vcc_lo, s2, v1
	v_cndmask_b32_e64 v1, 0, 1, vcc_lo
.LBB904_13:
	s_or_b32 exec_lo, exec_lo, s1
	v_add_nc_u32_e32 v3, 1, v47
	s_mov_b32 s1, exec_lo
	v_cmpx_gt_u32_e64 s15, v3
	s_cbranch_execz .LBB904_15
; %bb.14:
	v_add_nc_u32_e32 v2, s9, v31
	v_add_nc_u32_e32 v3, s11, v31
	v_mul_lo_u32 v2, v2, s8
	v_mul_lo_u32 v3, v3, s10
	v_sub_nc_u32_e32 v2, v2, v3
	v_cmp_lt_u32_e32 vcc_lo, s2, v2
	v_cndmask_b32_e64 v2, 0, 1, vcc_lo
.LBB904_15:
	s_or_b32 exec_lo, exec_lo, s1
	v_add_nc_u32_e32 v3, 2, v47
	v_mov_b32_e32 v4, 0
	v_cmp_gt_u32_e32 vcc_lo, s15, v3
	v_mov_b32_e32 v3, 0
	s_and_saveexec_b32 s1, vcc_lo
	s_cbranch_execz .LBB904_17
; %bb.16:
	v_add_nc_u32_e32 v3, s9, v28
	v_add_nc_u32_e32 v5, s11, v28
	v_mul_lo_u32 v3, v3, s8
	v_mul_lo_u32 v5, v5, s10
	v_sub_nc_u32_e32 v3, v3, v5
	v_cmp_lt_u32_e32 vcc_lo, s2, v3
	v_cndmask_b32_e64 v3, 0, 1, vcc_lo
.LBB904_17:
	s_or_b32 exec_lo, exec_lo, s1
	v_add_nc_u32_e32 v5, 3, v47
	s_mov_b32 s1, exec_lo
	v_cmpx_gt_u32_e64 s15, v5
	s_cbranch_execz .LBB904_19
; %bb.18:
	v_add_nc_u32_e32 v4, s9, v29
	v_add_nc_u32_e32 v5, s11, v29
	v_mul_lo_u32 v4, v4, s8
	v_mul_lo_u32 v5, v5, s10
	v_sub_nc_u32_e32 v4, v4, v5
	v_cmp_lt_u32_e32 vcc_lo, s2, v4
	v_cndmask_b32_e64 v4, 0, 1, vcc_lo
.LBB904_19:
	s_or_b32 exec_lo, exec_lo, s1
	v_add_nc_u32_e32 v5, 4, v47
	v_mov_b32_e32 v6, 0
	v_cmp_gt_u32_e32 vcc_lo, s15, v5
	v_mov_b32_e32 v5, 0
	s_and_saveexec_b32 s1, vcc_lo
	;; [unrolled: 30-line block ×5, first 2 shown]
	s_cbranch_execz .LBB904_33
; %bb.32:
	v_add_nc_u32_e32 v11, s9, v20
	v_add_nc_u32_e32 v13, s11, v20
	v_mul_lo_u32 v11, v11, s8
	v_mul_lo_u32 v13, v13, s10
	v_sub_nc_u32_e32 v11, v11, v13
	v_cmp_lt_u32_e32 vcc_lo, s2, v11
	v_cndmask_b32_e64 v11, 0, 1, vcc_lo
.LBB904_33:
	s_or_b32 exec_lo, exec_lo, s1
	v_add_nc_u32_e32 v13, 11, v47
	s_mov_b32 s1, exec_lo
	v_cmpx_gt_u32_e64 s15, v13
	s_cbranch_execz .LBB904_35
; %bb.34:
	v_add_nc_u32_e32 v12, s9, v21
	v_add_nc_u32_e32 v13, s11, v21
	v_mul_lo_u32 v12, v12, s8
	v_mul_lo_u32 v13, v13, s10
	v_sub_nc_u32_e32 v12, v12, v13
	v_cmp_lt_u32_e32 vcc_lo, s2, v12
	v_cndmask_b32_e64 v12, 0, 1, vcc_lo
.LBB904_35:
	s_or_b32 exec_lo, exec_lo, s1
	v_add_nc_u32_e32 v13, 12, v47
	v_mov_b32_e32 v48, 0
	s_mov_b32 s1, exec_lo
	v_cmpx_gt_u32_e64 s15, v13
	s_cbranch_execz .LBB904_37
; %bb.36:
	v_add_nc_u32_e32 v13, s9, v46
	v_add_nc_u32_e32 v14, s11, v46
	v_mul_lo_u32 v13, v13, s8
	v_mul_lo_u32 v14, v14, s10
	v_sub_nc_u32_e32 v13, v13, v14
	v_cmp_lt_u32_e32 vcc_lo, s2, v13
	v_cndmask_b32_e64 v48, 0, 1, vcc_lo
.LBB904_37:
	s_or_b32 exec_lo, exec_lo, s1
	v_lshlrev_b16 v2, 8, v2
	v_lshlrev_b16 v4, 8, v4
	;; [unrolled: 1-line block ×5, first 2 shown]
	v_or_b32_e32 v1, v1, v2
	v_lshlrev_b16 v2, 8, v12
	v_or_b32_sdwa v3, v3, v4 dst_sel:WORD_1 dst_unused:UNUSED_PAD src0_sel:DWORD src1_sel:DWORD
	v_or_b32_e32 v4, v5, v6
	v_or_b32_sdwa v5, v7, v8 dst_sel:WORD_1 dst_unused:UNUSED_PAD src0_sel:DWORD src1_sel:DWORD
	v_or_b32_e32 v6, v9, v10
	v_or_b32_sdwa v2, v11, v2 dst_sel:WORD_1 dst_unused:UNUSED_PAD src0_sel:DWORD src1_sel:DWORD
	v_or_b32_sdwa v52, v1, v3 dst_sel:DWORD dst_unused:UNUSED_PAD src0_sel:WORD_0 src1_sel:DWORD
	v_or_b32_sdwa v50, v4, v5 dst_sel:DWORD dst_unused:UNUSED_PAD src0_sel:WORD_0 src1_sel:DWORD
	;; [unrolled: 1-line block ×3, first 2 shown]
.LBB904_38:
	v_and_b32_e32 v55, 0xff, v52
	v_bfe_u32 v56, v52, 8, 8
	v_bfe_u32 v57, v52, 16, 8
	v_lshrrev_b32_e32 v54, 24, v52
	v_and_b32_e32 v58, 0xff, v50
	v_bfe_u32 v59, v50, 8, 8
	v_bfe_u32 v60, v50, 16, 8
	v_add3_u32 v1, v56, v55, v57
	v_lshrrev_b32_e32 v53, 24, v50
	v_and_b32_e32 v61, 0xff, v49
	v_bfe_u32 v62, v49, 8, 8
	v_mbcnt_lo_u32_b32 v64, -1, 0
	v_add3_u32 v1, v1, v54, v58
	v_bfe_u32 v63, v49, 16, 8
	v_lshrrev_b32_e32 v51, 24, v49
	v_and_b32_e32 v2, 0xff, v48
	v_and_b32_e32 v3, 15, v64
	v_add3_u32 v1, v1, v59, v60
	v_or_b32_e32 v4, 31, v0
	v_and_b32_e32 v5, 16, v64
	v_lshrrev_b32_e32 v65, 5, v0
	v_cmp_eq_u32_e64 s6, 0, v3
	v_add3_u32 v1, v1, v53, v61
	v_cmp_lt_u32_e64 s5, 1, v3
	v_cmp_lt_u32_e64 s4, 3, v3
	;; [unrolled: 1-line block ×3, first 2 shown]
	v_cmp_eq_u32_e64 s2, 0, v5
	v_add3_u32 v1, v1, v62, v63
	v_cmp_eq_u32_e64 s1, v0, v4
	s_cmp_lg_u32 s25, 0
	s_mov_b32 s7, -1
	v_add3_u32 v66, v1, v51, v2
	s_cbranch_scc0 .LBB904_60
; %bb.39:
	v_mov_b32_dpp v1, v66 row_shr:1 row_mask:0xf bank_mask:0xf
	v_cndmask_b32_e64 v1, v1, 0, s6
	v_add_nc_u32_e32 v1, v1, v66
	v_mov_b32_dpp v2, v1 row_shr:2 row_mask:0xf bank_mask:0xf
	v_cndmask_b32_e64 v2, 0, v2, s5
	v_add_nc_u32_e32 v1, v1, v2
	;; [unrolled: 3-line block ×4, first 2 shown]
	ds_swizzle_b32 v2, v1 offset:swizzle(BROADCAST,32,15)
	s_waitcnt lgkmcnt(0)
	v_cndmask_b32_e64 v2, v2, 0, s2
	v_add_nc_u32_e32 v1, v1, v2
	s_and_saveexec_b32 s7, s1
; %bb.40:
	v_lshlrev_b32_e32 v2, 2, v65
	ds_write_b32 v2, v1
; %bb.41:
	s_or_b32 exec_lo, exec_lo, s7
	s_mov_b32 s7, exec_lo
	s_waitcnt lgkmcnt(0)
	s_barrier
	buffer_gl0_inv
	v_cmpx_gt_u32_e32 8, v0
	s_cbranch_execz .LBB904_43
; %bb.42:
	ds_read_b32 v2, v44
	v_and_b32_e32 v3, 7, v64
	v_cmp_ne_u32_e32 vcc_lo, 0, v3
	s_waitcnt lgkmcnt(0)
	v_mov_b32_dpp v4, v2 row_shr:1 row_mask:0xf bank_mask:0xf
	v_cndmask_b32_e32 v4, 0, v4, vcc_lo
	v_cmp_lt_u32_e32 vcc_lo, 1, v3
	v_add_nc_u32_e32 v2, v4, v2
	v_mov_b32_dpp v4, v2 row_shr:2 row_mask:0xf bank_mask:0xf
	v_cndmask_b32_e32 v4, 0, v4, vcc_lo
	v_cmp_lt_u32_e32 vcc_lo, 3, v3
	v_add_nc_u32_e32 v2, v2, v4
	v_mov_b32_dpp v4, v2 row_shr:4 row_mask:0xf bank_mask:0xf
	v_cndmask_b32_e32 v3, 0, v4, vcc_lo
	v_add_nc_u32_e32 v2, v2, v3
	ds_write_b32 v44, v2
.LBB904_43:
	s_or_b32 exec_lo, exec_lo, s7
	s_mov_b32 s8, exec_lo
	v_cmp_gt_u32_e32 vcc_lo, 32, v0
	s_waitcnt lgkmcnt(0)
	s_barrier
	buffer_gl0_inv
                                        ; implicit-def: $vgpr10
	v_cmpx_lt_u32_e32 31, v0
	s_cbranch_execz .LBB904_45
; %bb.44:
	v_lshl_add_u32 v2, v65, 2, -4
	ds_read_b32 v10, v2
	s_waitcnt lgkmcnt(0)
	v_add_nc_u32_e32 v1, v10, v1
.LBB904_45:
	s_or_b32 exec_lo, exec_lo, s8
	v_sub_co_u32 v2, s7, v64, 1
	v_cmp_gt_i32_e64 s8, 0, v2
	v_cndmask_b32_e64 v2, v2, v64, s8
	v_lshlrev_b32_e32 v2, 2, v2
	ds_bpermute_b32 v11, v2, v1
	s_and_saveexec_b32 s8, vcc_lo
	s_cbranch_execz .LBB904_65
; %bb.46:
	v_mov_b32_e32 v7, 0
	ds_read_b32 v1, v7 offset:28
	s_and_saveexec_b32 s9, s7
	s_cbranch_execz .LBB904_48
; %bb.47:
	s_add_i32 s10, s25, 32
	s_mov_b32 s11, 0
	v_mov_b32_e32 v2, 1
	s_lshl_b64 s[10:11], s[10:11], 3
	s_add_u32 s10, s22, s10
	s_addc_u32 s11, s23, s11
	s_waitcnt lgkmcnt(0)
	global_store_dwordx2 v7, v[1:2], s[10:11]
.LBB904_48:
	s_or_b32 exec_lo, exec_lo, s9
	v_xad_u32 v3, v64, -1, s25
	s_mov_b32 s10, 0
	v_add_nc_u32_e32 v6, 32, v3
	v_lshlrev_b64 v[4:5], 3, v[6:7]
	v_add_co_u32 v8, vcc_lo, s22, v4
	v_add_co_ci_u32_e64 v9, null, s23, v5, vcc_lo
	global_load_dwordx2 v[5:6], v[8:9], off glc dlc
	s_waitcnt vmcnt(0)
	v_cmp_eq_u16_sdwa s11, v6, v7 src0_sel:BYTE_0 src1_sel:DWORD
	s_and_saveexec_b32 s9, s11
	s_cbranch_execz .LBB904_52
; %bb.49:
	v_mov_b32_e32 v2, 0
.LBB904_50:                             ; =>This Inner Loop Header: Depth=1
	global_load_dwordx2 v[5:6], v[8:9], off glc dlc
	s_waitcnt vmcnt(0)
	v_cmp_ne_u16_sdwa s11, v6, v2 src0_sel:BYTE_0 src1_sel:DWORD
	s_or_b32 s10, s11, s10
	s_andn2_b32 exec_lo, exec_lo, s10
	s_cbranch_execnz .LBB904_50
; %bb.51:
	s_or_b32 exec_lo, exec_lo, s10
.LBB904_52:
	s_or_b32 exec_lo, exec_lo, s9
	v_cmp_ne_u32_e32 vcc_lo, 31, v64
	v_mov_b32_e32 v12, 2
	v_lshlrev_b32_e64 v13, v64, -1
	v_add_nc_u32_e32 v15, 2, v64
	v_add_nc_u32_e32 v17, 4, v64
	v_add_co_ci_u32_e64 v2, null, 0, v64, vcc_lo
	v_cmp_eq_u16_sdwa s9, v6, v12 src0_sel:BYTE_0 src1_sel:DWORD
	v_cmp_gt_u32_e32 vcc_lo, 30, v64
	v_add_nc_u32_e32 v68, 8, v64
	v_lshlrev_b32_e32 v9, 2, v2
	v_lshl_or_b32 v69, v64, 2, 64
	v_and_or_b32 v4, s9, v13, 0x80000000
	v_cndmask_b32_e64 v7, 0, 2, vcc_lo
	v_add_nc_u32_e32 v70, 16, v64
	ds_bpermute_b32 v2, v9, v5
	v_ffbl_b32_e32 v4, v4
	v_add_lshl_u32 v14, v7, v64, 2
	v_cmp_lt_u32_e32 vcc_lo, v64, v4
	s_waitcnt lgkmcnt(0)
	v_cndmask_b32_e32 v2, 0, v2, vcc_lo
	v_cmp_gt_u32_e32 vcc_lo, 28, v64
	v_add_nc_u32_e32 v2, v2, v5
	v_cndmask_b32_e64 v7, 0, 4, vcc_lo
	v_cmp_le_u32_e32 vcc_lo, v15, v4
	ds_bpermute_b32 v5, v14, v2
	v_add_lshl_u32 v16, v7, v64, 2
	s_waitcnt lgkmcnt(0)
	v_cndmask_b32_e32 v5, 0, v5, vcc_lo
	v_cmp_gt_u32_e32 vcc_lo, 24, v64
	v_add_nc_u32_e32 v2, v2, v5
	v_cndmask_b32_e64 v7, 0, 8, vcc_lo
	v_cmp_le_u32_e32 vcc_lo, v17, v4
	ds_bpermute_b32 v5, v16, v2
	v_add_lshl_u32 v67, v7, v64, 2
	s_waitcnt lgkmcnt(0)
	v_cndmask_b32_e32 v5, 0, v5, vcc_lo
	v_cmp_le_u32_e32 vcc_lo, v68, v4
	v_add_nc_u32_e32 v2, v2, v5
	ds_bpermute_b32 v5, v67, v2
	s_waitcnt lgkmcnt(0)
	v_cndmask_b32_e32 v5, 0, v5, vcc_lo
	v_cmp_le_u32_e32 vcc_lo, v70, v4
	v_add_nc_u32_e32 v2, v2, v5
	ds_bpermute_b32 v5, v69, v2
	s_waitcnt lgkmcnt(0)
	v_cndmask_b32_e32 v4, 0, v5, vcc_lo
	v_add_nc_u32_e32 v5, v2, v4
	v_mov_b32_e32 v4, 0
	s_branch .LBB904_56
.LBB904_53:                             ;   in Loop: Header=BB904_56 Depth=1
	s_or_b32 exec_lo, exec_lo, s10
.LBB904_54:                             ;   in Loop: Header=BB904_56 Depth=1
	s_or_b32 exec_lo, exec_lo, s9
	ds_bpermute_b32 v7, v9, v5
	v_cmp_eq_u16_sdwa s9, v6, v12 src0_sel:BYTE_0 src1_sel:DWORD
	v_subrev_nc_u32_e32 v3, 32, v3
	v_and_or_b32 v8, s9, v13, 0x80000000
	s_mov_b32 s9, 0
	v_ffbl_b32_e32 v8, v8
	v_cmp_lt_u32_e32 vcc_lo, v64, v8
	s_waitcnt lgkmcnt(0)
	v_cndmask_b32_e32 v7, 0, v7, vcc_lo
	v_cmp_le_u32_e32 vcc_lo, v15, v8
	v_add_nc_u32_e32 v5, v7, v5
	ds_bpermute_b32 v7, v14, v5
	s_waitcnt lgkmcnt(0)
	v_cndmask_b32_e32 v7, 0, v7, vcc_lo
	v_cmp_le_u32_e32 vcc_lo, v17, v8
	v_add_nc_u32_e32 v5, v5, v7
	ds_bpermute_b32 v7, v16, v5
	s_waitcnt lgkmcnt(0)
	v_cndmask_b32_e32 v7, 0, v7, vcc_lo
	v_cmp_le_u32_e32 vcc_lo, v68, v8
	v_add_nc_u32_e32 v5, v5, v7
	ds_bpermute_b32 v7, v67, v5
	s_waitcnt lgkmcnt(0)
	v_cndmask_b32_e32 v7, 0, v7, vcc_lo
	v_cmp_le_u32_e32 vcc_lo, v70, v8
	v_add_nc_u32_e32 v5, v5, v7
	ds_bpermute_b32 v7, v69, v5
	s_waitcnt lgkmcnt(0)
	v_cndmask_b32_e32 v7, 0, v7, vcc_lo
	v_add3_u32 v5, v7, v2, v5
.LBB904_55:                             ;   in Loop: Header=BB904_56 Depth=1
	s_and_b32 vcc_lo, exec_lo, s9
	s_cbranch_vccnz .LBB904_61
.LBB904_56:                             ; =>This Loop Header: Depth=1
                                        ;     Child Loop BB904_59 Depth 2
	v_cmp_ne_u16_sdwa s9, v6, v12 src0_sel:BYTE_0 src1_sel:DWORD
	v_mov_b32_e32 v2, v5
                                        ; implicit-def: $vgpr5
                                        ; implicit-def: $vgpr6
	s_cmp_lg_u32 s9, exec_lo
	s_mov_b32 s9, -1
	s_cbranch_scc1 .LBB904_55
; %bb.57:                               ;   in Loop: Header=BB904_56 Depth=1
	v_lshlrev_b64 v[5:6], 3, v[3:4]
	v_add_co_u32 v7, vcc_lo, s22, v5
	v_add_co_ci_u32_e64 v8, null, s23, v6, vcc_lo
	global_load_dwordx2 v[5:6], v[7:8], off glc dlc
	s_waitcnt vmcnt(0)
	v_cmp_eq_u16_sdwa s10, v6, v4 src0_sel:BYTE_0 src1_sel:DWORD
	s_and_saveexec_b32 s9, s10
	s_cbranch_execz .LBB904_54
; %bb.58:                               ;   in Loop: Header=BB904_56 Depth=1
	s_mov_b32 s10, 0
.LBB904_59:                             ;   Parent Loop BB904_56 Depth=1
                                        ; =>  This Inner Loop Header: Depth=2
	global_load_dwordx2 v[5:6], v[7:8], off glc dlc
	s_waitcnt vmcnt(0)
	v_cmp_ne_u16_sdwa s11, v6, v4 src0_sel:BYTE_0 src1_sel:DWORD
	s_or_b32 s10, s11, s10
	s_andn2_b32 exec_lo, exec_lo, s10
	s_cbranch_execnz .LBB904_59
	s_branch .LBB904_53
.LBB904_60:
                                        ; implicit-def: $vgpr17
                                        ; implicit-def: $vgpr1_vgpr2_vgpr3_vgpr4_vgpr5_vgpr6_vgpr7_vgpr8_vgpr9_vgpr10_vgpr11_vgpr12_vgpr13_vgpr14_vgpr15_vgpr16
	s_and_b32 vcc_lo, exec_lo, s7
	s_cbranch_vccnz .LBB904_66
	s_branch .LBB904_75
.LBB904_61:
	s_and_saveexec_b32 s9, s7
	s_cbranch_execz .LBB904_63
; %bb.62:
	s_add_i32 s10, s25, 32
	s_mov_b32 s11, 0
	v_add_nc_u32_e32 v3, v2, v1
	v_mov_b32_e32 v4, 2
	s_lshl_b64 s[10:11], s[10:11], 3
	v_mov_b32_e32 v5, 0
	s_add_u32 s10, s22, s10
	s_addc_u32 s11, s23, s11
	global_store_dwordx2 v5, v[3:4], s[10:11]
	ds_write_b64 v5, v[1:2] offset:13312
.LBB904_63:
	s_or_b32 exec_lo, exec_lo, s9
	s_and_b32 exec_lo, exec_lo, s0
; %bb.64:
	v_mov_b32_e32 v1, 0
	ds_write_b32 v1, v2 offset:28
.LBB904_65:
	s_or_b32 exec_lo, exec_lo, s8
	v_mov_b32_e32 v12, 0
	s_waitcnt lgkmcnt(0)
	s_waitcnt_vscnt null, 0x0
	s_barrier
	buffer_gl0_inv
	v_cndmask_b32_e64 v2, v11, v10, s7
	ds_read_b32 v1, v12 offset:28
	s_waitcnt lgkmcnt(0)
	s_barrier
	buffer_gl0_inv
	v_cndmask_b32_e64 v2, v2, 0, s0
	ds_read_b64 v[16:17], v12 offset:13312
	v_add_nc_u32_e32 v1, v1, v2
	v_add_nc_u32_e32 v2, v1, v55
	;; [unrolled: 1-line block ×13, first 2 shown]
	s_branch .LBB904_75
.LBB904_66:
	v_mov_b32_dpp v1, v66 row_shr:1 row_mask:0xf bank_mask:0xf
	v_cndmask_b32_e64 v1, v1, 0, s6
	v_add_nc_u32_e32 v1, v1, v66
	v_mov_b32_dpp v2, v1 row_shr:2 row_mask:0xf bank_mask:0xf
	v_cndmask_b32_e64 v2, 0, v2, s5
	v_add_nc_u32_e32 v1, v1, v2
	;; [unrolled: 3-line block ×4, first 2 shown]
	ds_swizzle_b32 v2, v1 offset:swizzle(BROADCAST,32,15)
	s_waitcnt lgkmcnt(0)
	v_cndmask_b32_e64 v2, v2, 0, s2
	v_add_nc_u32_e32 v1, v1, v2
	s_and_saveexec_b32 s2, s1
; %bb.67:
	v_lshlrev_b32_e32 v2, 2, v65
	ds_write_b32 v2, v1
; %bb.68:
	s_or_b32 exec_lo, exec_lo, s2
	s_mov_b32 s1, exec_lo
	s_waitcnt lgkmcnt(0)
	s_barrier
	buffer_gl0_inv
	v_cmpx_gt_u32_e32 8, v0
	s_cbranch_execz .LBB904_70
; %bb.69:
	ds_read_b32 v2, v44
	v_and_b32_e32 v3, 7, v64
	v_cmp_ne_u32_e32 vcc_lo, 0, v3
	s_waitcnt lgkmcnt(0)
	v_mov_b32_dpp v4, v2 row_shr:1 row_mask:0xf bank_mask:0xf
	v_cndmask_b32_e32 v4, 0, v4, vcc_lo
	v_cmp_lt_u32_e32 vcc_lo, 1, v3
	v_add_nc_u32_e32 v2, v4, v2
	v_mov_b32_dpp v4, v2 row_shr:2 row_mask:0xf bank_mask:0xf
	v_cndmask_b32_e32 v4, 0, v4, vcc_lo
	v_cmp_lt_u32_e32 vcc_lo, 3, v3
	v_add_nc_u32_e32 v2, v2, v4
	v_mov_b32_dpp v4, v2 row_shr:4 row_mask:0xf bank_mask:0xf
	v_cndmask_b32_e32 v3, 0, v4, vcc_lo
	v_add_nc_u32_e32 v2, v2, v3
	ds_write_b32 v44, v2
.LBB904_70:
	s_or_b32 exec_lo, exec_lo, s1
	v_mov_b32_e32 v3, 0
	v_mov_b32_e32 v2, 0
	s_mov_b32 s1, exec_lo
	s_waitcnt lgkmcnt(0)
	s_barrier
	buffer_gl0_inv
	v_cmpx_lt_u32_e32 31, v0
; %bb.71:
	v_lshl_add_u32 v2, v65, 2, -4
	ds_read_b32 v2, v2
; %bb.72:
	s_or_b32 exec_lo, exec_lo, s1
	v_sub_co_u32 v4, vcc_lo, v64, 1
	s_waitcnt lgkmcnt(0)
	v_add_nc_u32_e32 v1, v2, v1
	ds_read_b32 v16, v3 offset:28
	v_cmp_gt_i32_e64 s1, 0, v4
	v_cndmask_b32_e64 v4, v4, v64, s1
	v_lshlrev_b32_e32 v4, 2, v4
	ds_bpermute_b32 v1, v4, v1
	s_and_saveexec_b32 s1, s0
	s_cbranch_execz .LBB904_74
; %bb.73:
	v_mov_b32_e32 v3, 0
	v_mov_b32_e32 v17, 2
	s_waitcnt lgkmcnt(1)
	global_store_dwordx2 v3, v[16:17], s[22:23] offset:256
.LBB904_74:
	s_or_b32 exec_lo, exec_lo, s1
	s_waitcnt lgkmcnt(0)
	v_cndmask_b32_e32 v1, v1, v2, vcc_lo
	v_mov_b32_e32 v17, 0
	s_waitcnt_vscnt null, 0x0
	s_barrier
	buffer_gl0_inv
	v_cndmask_b32_e64 v1, v1, 0, s0
	v_add_nc_u32_e32 v2, v1, v55
	v_add_nc_u32_e32 v3, v2, v56
	;; [unrolled: 1-line block ×12, first 2 shown]
.LBB904_75:
	s_waitcnt lgkmcnt(0)
	v_add_nc_u32_e32 v47, v16, v47
	v_sub_nc_u32_e32 v1, v1, v17
	v_and_b32_e32 v56, 1, v52
	v_lshrrev_b32_e32 v55, 8, v52
	v_sub_nc_u32_e32 v2, v2, v17
	v_sub_nc_u32_e32 v3, v3, v17
	;; [unrolled: 1-line block ×3, first 2 shown]
	v_cmp_eq_u32_e32 vcc_lo, 1, v56
	v_and_b32_e32 v55, 1, v55
	v_mov_b32_e32 v58, 1
	v_sub_nc_u32_e32 v56, v47, v2
	v_sub_nc_u32_e32 v4, v4, v17
	v_cndmask_b32_e32 v1, v57, v1, vcc_lo
	v_sub_nc_u32_e32 v57, v47, v3
	v_and_b32_sdwa v52, v58, v52 dst_sel:DWORD dst_unused:UNUSED_PAD src0_sel:DWORD src1_sel:WORD_1
	v_add_nc_u32_e32 v56, 1, v56
	v_cmp_eq_u32_e32 vcc_lo, 1, v55
	v_lshlrev_b32_e32 v1, 2, v1
	v_and_b32_e32 v54, 1, v54
	v_sub_nc_u32_e32 v59, v47, v4
	v_add_nc_u32_e32 v57, 2, v57
	v_lshrrev_b32_e32 v15, 8, v50
	ds_write_b32 v1, v30
	v_cndmask_b32_e32 v1, v56, v2, vcc_lo
	v_cmp_eq_u32_e32 vcc_lo, 1, v52
	v_add_nc_u32_e32 v59, 3, v59
	v_lshrrev_b32_e32 v14, 8, v49
	v_lshlrev_b32_e32 v1, 2, v1
	v_cndmask_b32_e32 v2, v57, v3, vcc_lo
	v_cmp_eq_u32_e32 vcc_lo, 1, v54
	ds_write_b32 v1, v31
	v_lshlrev_b32_e32 v2, 2, v2
	v_cndmask_b32_e32 v3, v59, v4, vcc_lo
	v_sub_nc_u32_e32 v4, v5, v17
	v_sub_nc_u32_e32 v5, v6, v17
	v_lshlrev_b32_e32 v3, 2, v3
	v_sub_nc_u32_e32 v1, v47, v4
	v_sub_nc_u32_e32 v6, v47, v5
	ds_write_b32 v2, v28
	ds_write_b32 v3, v29
	v_and_b32_e32 v2, 1, v50
	v_add_nc_u32_e32 v1, 4, v1
	v_add_nc_u32_e32 v3, 5, v6
	v_sub_nc_u32_e32 v6, v7, v17
	v_and_b32_e32 v7, 1, v15
	v_cmp_eq_u32_e32 vcc_lo, 1, v2
	v_sub_nc_u32_e32 v2, v8, v17
	v_and_b32_e32 v8, 1, v53
	v_add_co_u32 v15, s1, v18, v17
	v_cndmask_b32_e32 v1, v1, v4, vcc_lo
	v_sub_nc_u32_e32 v4, v47, v6
	v_cmp_eq_u32_e32 vcc_lo, 1, v7
	v_and_b32_sdwa v7, v58, v50 dst_sel:DWORD dst_unused:UNUSED_PAD src0_sel:DWORD src1_sel:WORD_1
	v_lshlrev_b32_e32 v1, 2, v1
	v_add_nc_u32_e32 v4, 6, v4
	v_cndmask_b32_e32 v3, v3, v5, vcc_lo
	v_sub_nc_u32_e32 v5, v47, v2
	v_cmp_eq_u32_e32 vcc_lo, 1, v7
	v_sub_nc_u32_e32 v7, v13, v17
	v_lshlrev_b32_e32 v3, 2, v3
	v_add_nc_u32_e32 v5, 7, v5
	v_cndmask_b32_e32 v4, v4, v6, vcc_lo
	v_cmp_eq_u32_e32 vcc_lo, 1, v8
	v_sub_nc_u32_e32 v6, v9, v17
	ds_write_b32 v1, v26
	ds_write_b32 v3, v27
	v_lshlrev_b32_e32 v3, 2, v4
	v_cndmask_b32_e32 v2, v5, v2, vcc_lo
	v_sub_nc_u32_e32 v1, v47, v6
	v_and_b32_e32 v5, 1, v49
	v_sub_nc_u32_e32 v4, v10, v17
	v_and_b32_e32 v10, 1, v51
	v_lshlrev_b32_e32 v2, 2, v2
	v_add_nc_u32_e32 v1, 8, v1
	ds_write_b32 v3, v24
	ds_write_b32 v2, v25
	v_cmp_eq_u32_e32 vcc_lo, 1, v5
	v_sub_nc_u32_e32 v3, v11, v17
	v_sub_nc_u32_e32 v2, v47, v4
	;; [unrolled: 1-line block ×3, first 2 shown]
	v_and_b32_e32 v11, 1, v48
	v_cndmask_b32_e32 v1, v1, v6, vcc_lo
	v_and_b32_e32 v6, 1, v14
	v_sub_nc_u32_e32 v8, v47, v3
	v_add_nc_u32_e32 v2, 9, v2
	v_sub_nc_u32_e32 v9, v47, v5
	v_lshlrev_b32_e32 v1, 2, v1
	v_cmp_eq_u32_e32 vcc_lo, 1, v6
	v_add_nc_u32_e32 v6, 10, v8
	v_and_b32_sdwa v8, v58, v49 dst_sel:DWORD dst_unused:UNUSED_PAD src0_sel:DWORD src1_sel:WORD_1
	v_add_nc_u32_e32 v9, 11, v9
	v_add_co_ci_u32_e64 v17, null, 0, v19, s1
	v_cndmask_b32_e32 v2, v2, v4, vcc_lo
	v_cmp_eq_u32_e32 vcc_lo, 1, v8
	v_sub_nc_u32_e32 v4, v47, v7
	v_lshlrev_b32_e32 v2, 2, v2
	v_cndmask_b32_e32 v3, v6, v3, vcc_lo
	v_cmp_eq_u32_e32 vcc_lo, 1, v10
	v_add_nc_u32_e32 v4, 12, v4
	v_lshlrev_b32_e32 v3, 2, v3
	v_cndmask_b32_e32 v5, v9, v5, vcc_lo
	v_cmp_eq_u32_e32 vcc_lo, 1, v11
	v_lshlrev_b32_e32 v5, 2, v5
	v_cndmask_b32_e32 v4, v4, v7, vcc_lo
	v_cmp_ne_u32_e32 vcc_lo, 1, v45
	v_lshlrev_b32_e32 v4, 2, v4
	ds_write_b32 v1, v22
	ds_write_b32 v2, v23
	;; [unrolled: 1-line block ×5, first 2 shown]
	s_waitcnt lgkmcnt(0)
	s_barrier
	buffer_gl0_inv
	ds_read2st64_b32 v[11:12], v44 offset1:4
	ds_read2st64_b32 v[9:10], v44 offset0:8 offset1:12
	ds_read2st64_b32 v[7:8], v44 offset0:16 offset1:20
	;; [unrolled: 1-line block ×5, first 2 shown]
	ds_read_b32 v20, v44 offset:12288
	s_cbranch_vccnz .LBB904_132
; %bb.76:
	s_sub_u32 s1, s20, s24
	v_sub_co_u32 v13, vcc_lo, v15, s18
	s_subb_u32 s2, s21, 0
	v_add_co_u32 v18, s1, s1, v16
	v_subrev_co_ci_u32_e64 v14, null, s19, v17, vcc_lo
	v_add_co_ci_u32_e64 v19, null, s2, 0, s1
	v_add_co_u32 v18, vcc_lo, v18, v13
	s_mov_b32 s1, exec_lo
	v_add_co_ci_u32_e64 v19, null, v19, v14, vcc_lo
                                        ; implicit-def: $vgpr13_vgpr14
	v_cmpx_ge_u32_e64 v0, v16
	s_xor_b32 s1, exec_lo, s1
; %bb.77:
	v_not_b32_e32 v13, v0
	v_ashrrev_i32_e32 v14, 31, v13
	v_add_co_u32 v13, vcc_lo, v18, v13
	v_add_co_ci_u32_e64 v14, null, v19, v14, vcc_lo
; %bb.78:
	s_andn2_saveexec_b32 s1, s1
; %bb.79:
	v_add_co_u32 v13, vcc_lo, v15, v0
	v_add_co_ci_u32_e64 v14, null, 0, v17, vcc_lo
; %bb.80:
	s_or_b32 exec_lo, exec_lo, s1
	v_lshlrev_b64 v[13:14], 2, v[13:14]
	s_mov_b32 s1, exec_lo
	v_add_co_u32 v13, vcc_lo, s16, v13
	v_add_co_ci_u32_e64 v14, null, s17, v14, vcc_lo
	s_waitcnt lgkmcnt(6)
	global_store_dword v[13:14], v11, off
                                        ; implicit-def: $vgpr13_vgpr14
	v_cmpx_ge_u32_e64 v43, v16
	s_xor_b32 s1, exec_lo, s1
; %bb.81:
	v_xor_b32_e32 v13, 0xfffffeff, v0
	v_ashrrev_i32_e32 v14, 31, v13
	v_add_co_u32 v13, vcc_lo, v18, v13
	v_add_co_ci_u32_e64 v14, null, v19, v14, vcc_lo
; %bb.82:
	s_andn2_saveexec_b32 s1, s1
; %bb.83:
	v_add_co_u32 v13, vcc_lo, v15, v43
	v_add_co_ci_u32_e64 v14, null, 0, v17, vcc_lo
; %bb.84:
	s_or_b32 exec_lo, exec_lo, s1
	v_lshlrev_b64 v[13:14], 2, v[13:14]
	s_mov_b32 s1, exec_lo
	v_add_co_u32 v13, vcc_lo, s16, v13
	v_add_co_ci_u32_e64 v14, null, s17, v14, vcc_lo
	global_store_dword v[13:14], v12, off
                                        ; implicit-def: $vgpr13_vgpr14
	v_cmpx_ge_u32_e64 v42, v16
	s_xor_b32 s1, exec_lo, s1
; %bb.85:
	v_xor_b32_e32 v13, 0xfffffdff, v0
	v_ashrrev_i32_e32 v14, 31, v13
	v_add_co_u32 v13, vcc_lo, v18, v13
	v_add_co_ci_u32_e64 v14, null, v19, v14, vcc_lo
; %bb.86:
	s_andn2_saveexec_b32 s1, s1
; %bb.87:
	v_add_co_u32 v13, vcc_lo, v15, v42
	v_add_co_ci_u32_e64 v14, null, 0, v17, vcc_lo
; %bb.88:
	s_or_b32 exec_lo, exec_lo, s1
	v_lshlrev_b64 v[13:14], 2, v[13:14]
	s_mov_b32 s1, exec_lo
	v_add_co_u32 v13, vcc_lo, s16, v13
	v_add_co_ci_u32_e64 v14, null, s17, v14, vcc_lo
	s_waitcnt lgkmcnt(5)
	global_store_dword v[13:14], v9, off
                                        ; implicit-def: $vgpr13_vgpr14
	v_cmpx_ge_u32_e64 v41, v16
	s_xor_b32 s1, exec_lo, s1
; %bb.89:
	v_xor_b32_e32 v13, 0xfffffcff, v0
	v_ashrrev_i32_e32 v14, 31, v13
	v_add_co_u32 v13, vcc_lo, v18, v13
	v_add_co_ci_u32_e64 v14, null, v19, v14, vcc_lo
; %bb.90:
	s_andn2_saveexec_b32 s1, s1
; %bb.91:
	v_add_co_u32 v13, vcc_lo, v15, v41
	v_add_co_ci_u32_e64 v14, null, 0, v17, vcc_lo
; %bb.92:
	s_or_b32 exec_lo, exec_lo, s1
	v_lshlrev_b64 v[13:14], 2, v[13:14]
	s_mov_b32 s1, exec_lo
	v_add_co_u32 v13, vcc_lo, s16, v13
	v_add_co_ci_u32_e64 v14, null, s17, v14, vcc_lo
	global_store_dword v[13:14], v10, off
                                        ; implicit-def: $vgpr13_vgpr14
	v_cmpx_ge_u32_e64 v40, v16
	s_xor_b32 s1, exec_lo, s1
; %bb.93:
	v_xor_b32_e32 v13, 0xfffffbff, v0
	;; [unrolled: 41-line block ×6, first 2 shown]
	v_ashrrev_i32_e32 v14, 31, v13
	v_add_co_u32 v13, vcc_lo, v18, v13
	v_add_co_ci_u32_e64 v14, null, v19, v14, vcc_lo
; %bb.126:
	s_andn2_saveexec_b32 s1, s1
; %bb.127:
	v_add_co_u32 v13, vcc_lo, v15, v32
	v_add_co_ci_u32_e64 v14, null, 0, v17, vcc_lo
; %bb.128:
	s_or_b32 exec_lo, exec_lo, s1
	s_mov_b32 s1, -1
.LBB904_129:
	s_and_saveexec_b32 s2, s1
	s_cbranch_execz .LBB904_212
.LBB904_130:
	s_waitcnt lgkmcnt(1)
	v_lshlrev_b64 v[0:1], 2, v[13:14]
	v_add_co_u32 v0, vcc_lo, s16, v0
	v_add_co_ci_u32_e64 v1, null, s17, v1, vcc_lo
	s_waitcnt lgkmcnt(0)
	global_store_dword v[0:1], v20, off
	s_or_b32 exec_lo, exec_lo, s2
	s_and_b32 s0, s0, s14
	s_and_saveexec_b32 s1, s0
	s_cbranch_execnz .LBB904_213
.LBB904_131:
	s_endpgm
.LBB904_132:
	s_mov_b32 s1, 0
                                        ; implicit-def: $vgpr13_vgpr14
	s_cbranch_execz .LBB904_129
; %bb.133:
	s_add_u32 s2, s18, s24
	s_addc_u32 s3, s19, 0
	s_sub_u32 s2, s20, s2
	s_subb_u32 s3, s21, s3
	v_add_co_u32 v13, s2, s2, v16
	v_add_co_ci_u32_e64 v14, null, s3, 0, s2
	s_mov_b32 s2, exec_lo
	v_add_co_u32 v18, vcc_lo, v13, v15
	v_add_co_ci_u32_e64 v19, null, v14, v17, vcc_lo
	v_cmpx_gt_u32_e64 s15, v0
	s_cbranch_execz .LBB904_169
; %bb.134:
	s_mov_b32 s3, exec_lo
                                        ; implicit-def: $vgpr13_vgpr14
	v_cmpx_ge_u32_e64 v0, v16
	s_xor_b32 s3, exec_lo, s3
; %bb.135:
	v_not_b32_e32 v13, v0
	v_ashrrev_i32_e32 v14, 31, v13
	v_add_co_u32 v13, vcc_lo, v18, v13
	v_add_co_ci_u32_e64 v14, null, v19, v14, vcc_lo
; %bb.136:
	s_andn2_saveexec_b32 s3, s3
; %bb.137:
	v_add_co_u32 v13, vcc_lo, v15, v0
	v_add_co_ci_u32_e64 v14, null, 0, v17, vcc_lo
; %bb.138:
	s_or_b32 exec_lo, exec_lo, s3
	v_lshlrev_b64 v[13:14], 2, v[13:14]
	v_add_co_u32 v13, vcc_lo, s16, v13
	v_add_co_ci_u32_e64 v14, null, s17, v14, vcc_lo
	s_waitcnt lgkmcnt(6)
	global_store_dword v[13:14], v11, off
	s_or_b32 exec_lo, exec_lo, s2
	s_mov_b32 s2, exec_lo
	v_cmpx_gt_u32_e64 s15, v43
	s_cbranch_execnz .LBB904_170
.LBB904_139:
	s_or_b32 exec_lo, exec_lo, s2
	s_mov_b32 s2, exec_lo
	v_cmpx_gt_u32_e64 s15, v42
	s_cbranch_execz .LBB904_175
.LBB904_140:
	s_mov_b32 s3, exec_lo
                                        ; implicit-def: $vgpr11_vgpr12
	v_cmpx_ge_u32_e64 v42, v16
	s_xor_b32 s3, exec_lo, s3
	s_cbranch_execz .LBB904_142
; %bb.141:
	s_waitcnt lgkmcnt(6)
	v_xor_b32_e32 v11, 0xfffffdff, v0
                                        ; implicit-def: $vgpr42
	v_ashrrev_i32_e32 v12, 31, v11
	v_add_co_u32 v11, vcc_lo, v18, v11
	v_add_co_ci_u32_e64 v12, null, v19, v12, vcc_lo
.LBB904_142:
	s_andn2_saveexec_b32 s3, s3
	s_cbranch_execz .LBB904_144
; %bb.143:
	s_waitcnt lgkmcnt(6)
	v_add_co_u32 v11, vcc_lo, v15, v42
	v_add_co_ci_u32_e64 v12, null, 0, v17, vcc_lo
.LBB904_144:
	s_or_b32 exec_lo, exec_lo, s3
	s_waitcnt lgkmcnt(6)
	v_lshlrev_b64 v[11:12], 2, v[11:12]
	v_add_co_u32 v11, vcc_lo, s16, v11
	v_add_co_ci_u32_e64 v12, null, s17, v12, vcc_lo
	s_waitcnt lgkmcnt(5)
	global_store_dword v[11:12], v9, off
	s_or_b32 exec_lo, exec_lo, s2
	s_mov_b32 s2, exec_lo
	v_cmpx_gt_u32_e64 s15, v41
	s_cbranch_execnz .LBB904_176
.LBB904_145:
	s_or_b32 exec_lo, exec_lo, s2
	s_mov_b32 s2, exec_lo
	v_cmpx_gt_u32_e64 s15, v40
	s_cbranch_execz .LBB904_181
.LBB904_146:
	s_mov_b32 s3, exec_lo
                                        ; implicit-def: $vgpr9_vgpr10
	v_cmpx_ge_u32_e64 v40, v16
	s_xor_b32 s3, exec_lo, s3
	s_cbranch_execz .LBB904_148
; %bb.147:
	s_waitcnt lgkmcnt(5)
	v_xor_b32_e32 v9, 0xfffffbff, v0
                                        ; implicit-def: $vgpr40
	v_ashrrev_i32_e32 v10, 31, v9
	v_add_co_u32 v9, vcc_lo, v18, v9
	v_add_co_ci_u32_e64 v10, null, v19, v10, vcc_lo
.LBB904_148:
	s_andn2_saveexec_b32 s3, s3
	s_cbranch_execz .LBB904_150
; %bb.149:
	s_waitcnt lgkmcnt(5)
	v_add_co_u32 v9, vcc_lo, v15, v40
	v_add_co_ci_u32_e64 v10, null, 0, v17, vcc_lo
.LBB904_150:
	s_or_b32 exec_lo, exec_lo, s3
	s_waitcnt lgkmcnt(5)
	v_lshlrev_b64 v[9:10], 2, v[9:10]
	v_add_co_u32 v9, vcc_lo, s16, v9
	v_add_co_ci_u32_e64 v10, null, s17, v10, vcc_lo
	s_waitcnt lgkmcnt(4)
	global_store_dword v[9:10], v7, off
	s_or_b32 exec_lo, exec_lo, s2
	s_mov_b32 s2, exec_lo
	v_cmpx_gt_u32_e64 s15, v39
	s_cbranch_execnz .LBB904_182
.LBB904_151:
	s_or_b32 exec_lo, exec_lo, s2
	s_mov_b32 s2, exec_lo
	v_cmpx_gt_u32_e64 s15, v38
	s_cbranch_execz .LBB904_187
.LBB904_152:
	s_mov_b32 s3, exec_lo
                                        ; implicit-def: $vgpr7_vgpr8
	v_cmpx_ge_u32_e64 v38, v16
	s_xor_b32 s3, exec_lo, s3
	s_cbranch_execz .LBB904_154
; %bb.153:
	s_waitcnt lgkmcnt(4)
	v_xor_b32_e32 v7, 0xfffff9ff, v0
                                        ; implicit-def: $vgpr38
	v_ashrrev_i32_e32 v8, 31, v7
	v_add_co_u32 v7, vcc_lo, v18, v7
	v_add_co_ci_u32_e64 v8, null, v19, v8, vcc_lo
.LBB904_154:
	s_andn2_saveexec_b32 s3, s3
	s_cbranch_execz .LBB904_156
; %bb.155:
	s_waitcnt lgkmcnt(4)
	v_add_co_u32 v7, vcc_lo, v15, v38
	v_add_co_ci_u32_e64 v8, null, 0, v17, vcc_lo
.LBB904_156:
	s_or_b32 exec_lo, exec_lo, s3
	s_waitcnt lgkmcnt(4)
	v_lshlrev_b64 v[7:8], 2, v[7:8]
	v_add_co_u32 v7, vcc_lo, s16, v7
	v_add_co_ci_u32_e64 v8, null, s17, v8, vcc_lo
	s_waitcnt lgkmcnt(3)
	global_store_dword v[7:8], v5, off
	s_or_b32 exec_lo, exec_lo, s2
	s_mov_b32 s2, exec_lo
	v_cmpx_gt_u32_e64 s15, v37
	s_cbranch_execnz .LBB904_188
.LBB904_157:
	s_or_b32 exec_lo, exec_lo, s2
	s_mov_b32 s2, exec_lo
	v_cmpx_gt_u32_e64 s15, v36
	s_cbranch_execz .LBB904_193
.LBB904_158:
	s_mov_b32 s3, exec_lo
                                        ; implicit-def: $vgpr5_vgpr6
	v_cmpx_ge_u32_e64 v36, v16
	s_xor_b32 s3, exec_lo, s3
	s_cbranch_execz .LBB904_160
; %bb.159:
	s_waitcnt lgkmcnt(3)
	v_xor_b32_e32 v5, 0xfffff7ff, v0
                                        ; implicit-def: $vgpr36
	v_ashrrev_i32_e32 v6, 31, v5
	v_add_co_u32 v5, vcc_lo, v18, v5
	v_add_co_ci_u32_e64 v6, null, v19, v6, vcc_lo
.LBB904_160:
	s_andn2_saveexec_b32 s3, s3
	s_cbranch_execz .LBB904_162
; %bb.161:
	s_waitcnt lgkmcnt(3)
	v_add_co_u32 v5, vcc_lo, v15, v36
	v_add_co_ci_u32_e64 v6, null, 0, v17, vcc_lo
.LBB904_162:
	s_or_b32 exec_lo, exec_lo, s3
	s_waitcnt lgkmcnt(3)
	v_lshlrev_b64 v[5:6], 2, v[5:6]
	v_add_co_u32 v5, vcc_lo, s16, v5
	v_add_co_ci_u32_e64 v6, null, s17, v6, vcc_lo
	s_waitcnt lgkmcnt(2)
	global_store_dword v[5:6], v3, off
	s_or_b32 exec_lo, exec_lo, s2
	s_mov_b32 s2, exec_lo
	v_cmpx_gt_u32_e64 s15, v35
	s_cbranch_execnz .LBB904_194
.LBB904_163:
	s_or_b32 exec_lo, exec_lo, s2
	s_mov_b32 s2, exec_lo
	v_cmpx_gt_u32_e64 s15, v34
	s_cbranch_execz .LBB904_199
.LBB904_164:
	s_mov_b32 s3, exec_lo
                                        ; implicit-def: $vgpr3_vgpr4
	v_cmpx_ge_u32_e64 v34, v16
	s_xor_b32 s3, exec_lo, s3
	s_cbranch_execz .LBB904_166
; %bb.165:
	s_waitcnt lgkmcnt(2)
	v_xor_b32_e32 v3, 0xfffff5ff, v0
                                        ; implicit-def: $vgpr34
	v_ashrrev_i32_e32 v4, 31, v3
	v_add_co_u32 v3, vcc_lo, v18, v3
	v_add_co_ci_u32_e64 v4, null, v19, v4, vcc_lo
.LBB904_166:
	s_andn2_saveexec_b32 s3, s3
	s_cbranch_execz .LBB904_168
; %bb.167:
	s_waitcnt lgkmcnt(2)
	v_add_co_u32 v3, vcc_lo, v15, v34
	v_add_co_ci_u32_e64 v4, null, 0, v17, vcc_lo
.LBB904_168:
	s_or_b32 exec_lo, exec_lo, s3
	s_waitcnt lgkmcnt(2)
	v_lshlrev_b64 v[3:4], 2, v[3:4]
	v_add_co_u32 v3, vcc_lo, s16, v3
	v_add_co_ci_u32_e64 v4, null, s17, v4, vcc_lo
	s_waitcnt lgkmcnt(1)
	global_store_dword v[3:4], v1, off
	s_or_b32 exec_lo, exec_lo, s2
	s_mov_b32 s2, exec_lo
	v_cmpx_gt_u32_e64 s15, v33
	s_cbranch_execz .LBB904_205
	s_branch .LBB904_200
.LBB904_169:
	s_or_b32 exec_lo, exec_lo, s2
	s_mov_b32 s2, exec_lo
	v_cmpx_gt_u32_e64 s15, v43
	s_cbranch_execz .LBB904_139
.LBB904_170:
	s_mov_b32 s3, exec_lo
                                        ; implicit-def: $vgpr13_vgpr14
	v_cmpx_ge_u32_e64 v43, v16
	s_xor_b32 s3, exec_lo, s3
	s_cbranch_execz .LBB904_172
; %bb.171:
	s_waitcnt lgkmcnt(6)
	v_xor_b32_e32 v11, 0xfffffeff, v0
                                        ; implicit-def: $vgpr43
	v_ashrrev_i32_e32 v14, 31, v11
	v_add_co_u32 v13, vcc_lo, v18, v11
	v_add_co_ci_u32_e64 v14, null, v19, v14, vcc_lo
.LBB904_172:
	s_andn2_saveexec_b32 s3, s3
; %bb.173:
	v_add_co_u32 v13, vcc_lo, v15, v43
	v_add_co_ci_u32_e64 v14, null, 0, v17, vcc_lo
; %bb.174:
	s_or_b32 exec_lo, exec_lo, s3
	v_lshlrev_b64 v[13:14], 2, v[13:14]
	v_add_co_u32 v13, vcc_lo, s16, v13
	v_add_co_ci_u32_e64 v14, null, s17, v14, vcc_lo
	s_waitcnt lgkmcnt(6)
	global_store_dword v[13:14], v12, off
	s_or_b32 exec_lo, exec_lo, s2
	s_mov_b32 s2, exec_lo
	v_cmpx_gt_u32_e64 s15, v42
	s_cbranch_execnz .LBB904_140
.LBB904_175:
	s_or_b32 exec_lo, exec_lo, s2
	s_mov_b32 s2, exec_lo
	v_cmpx_gt_u32_e64 s15, v41
	s_cbranch_execz .LBB904_145
.LBB904_176:
	s_mov_b32 s3, exec_lo
                                        ; implicit-def: $vgpr11_vgpr12
	v_cmpx_ge_u32_e64 v41, v16
	s_xor_b32 s3, exec_lo, s3
	s_cbranch_execz .LBB904_178
; %bb.177:
	s_waitcnt lgkmcnt(5)
	v_xor_b32_e32 v9, 0xfffffcff, v0
                                        ; implicit-def: $vgpr41
	v_ashrrev_i32_e32 v12, 31, v9
	v_add_co_u32 v11, vcc_lo, v18, v9
	v_add_co_ci_u32_e64 v12, null, v19, v12, vcc_lo
.LBB904_178:
	s_andn2_saveexec_b32 s3, s3
	s_cbranch_execz .LBB904_180
; %bb.179:
	s_waitcnt lgkmcnt(6)
	v_add_co_u32 v11, vcc_lo, v15, v41
	v_add_co_ci_u32_e64 v12, null, 0, v17, vcc_lo
.LBB904_180:
	s_or_b32 exec_lo, exec_lo, s3
	s_waitcnt lgkmcnt(6)
	v_lshlrev_b64 v[11:12], 2, v[11:12]
	v_add_co_u32 v11, vcc_lo, s16, v11
	v_add_co_ci_u32_e64 v12, null, s17, v12, vcc_lo
	s_waitcnt lgkmcnt(5)
	global_store_dword v[11:12], v10, off
	s_or_b32 exec_lo, exec_lo, s2
	s_mov_b32 s2, exec_lo
	v_cmpx_gt_u32_e64 s15, v40
	s_cbranch_execnz .LBB904_146
.LBB904_181:
	s_or_b32 exec_lo, exec_lo, s2
	s_mov_b32 s2, exec_lo
	v_cmpx_gt_u32_e64 s15, v39
	s_cbranch_execz .LBB904_151
.LBB904_182:
	s_mov_b32 s3, exec_lo
                                        ; implicit-def: $vgpr9_vgpr10
	v_cmpx_ge_u32_e64 v39, v16
	s_xor_b32 s3, exec_lo, s3
	s_cbranch_execz .LBB904_184
; %bb.183:
	s_waitcnt lgkmcnt(4)
	v_xor_b32_e32 v7, 0xfffffaff, v0
                                        ; implicit-def: $vgpr39
	v_ashrrev_i32_e32 v10, 31, v7
	v_add_co_u32 v9, vcc_lo, v18, v7
	v_add_co_ci_u32_e64 v10, null, v19, v10, vcc_lo
.LBB904_184:
	s_andn2_saveexec_b32 s3, s3
	s_cbranch_execz .LBB904_186
; %bb.185:
	s_waitcnt lgkmcnt(5)
	v_add_co_u32 v9, vcc_lo, v15, v39
	v_add_co_ci_u32_e64 v10, null, 0, v17, vcc_lo
.LBB904_186:
	s_or_b32 exec_lo, exec_lo, s3
	s_waitcnt lgkmcnt(5)
	v_lshlrev_b64 v[9:10], 2, v[9:10]
	v_add_co_u32 v9, vcc_lo, s16, v9
	v_add_co_ci_u32_e64 v10, null, s17, v10, vcc_lo
	s_waitcnt lgkmcnt(4)
	global_store_dword v[9:10], v8, off
	s_or_b32 exec_lo, exec_lo, s2
	s_mov_b32 s2, exec_lo
	v_cmpx_gt_u32_e64 s15, v38
	s_cbranch_execnz .LBB904_152
.LBB904_187:
	s_or_b32 exec_lo, exec_lo, s2
	s_mov_b32 s2, exec_lo
	v_cmpx_gt_u32_e64 s15, v37
	s_cbranch_execz .LBB904_157
.LBB904_188:
	s_mov_b32 s3, exec_lo
                                        ; implicit-def: $vgpr7_vgpr8
	v_cmpx_ge_u32_e64 v37, v16
	s_xor_b32 s3, exec_lo, s3
	s_cbranch_execz .LBB904_190
; %bb.189:
	s_waitcnt lgkmcnt(3)
	v_xor_b32_e32 v5, 0xfffff8ff, v0
                                        ; implicit-def: $vgpr37
	v_ashrrev_i32_e32 v8, 31, v5
	v_add_co_u32 v7, vcc_lo, v18, v5
	v_add_co_ci_u32_e64 v8, null, v19, v8, vcc_lo
.LBB904_190:
	s_andn2_saveexec_b32 s3, s3
	s_cbranch_execz .LBB904_192
; %bb.191:
	s_waitcnt lgkmcnt(4)
	v_add_co_u32 v7, vcc_lo, v15, v37
	v_add_co_ci_u32_e64 v8, null, 0, v17, vcc_lo
.LBB904_192:
	s_or_b32 exec_lo, exec_lo, s3
	s_waitcnt lgkmcnt(4)
	v_lshlrev_b64 v[7:8], 2, v[7:8]
	v_add_co_u32 v7, vcc_lo, s16, v7
	v_add_co_ci_u32_e64 v8, null, s17, v8, vcc_lo
	s_waitcnt lgkmcnt(3)
	global_store_dword v[7:8], v6, off
	s_or_b32 exec_lo, exec_lo, s2
	s_mov_b32 s2, exec_lo
	v_cmpx_gt_u32_e64 s15, v36
	s_cbranch_execnz .LBB904_158
.LBB904_193:
	s_or_b32 exec_lo, exec_lo, s2
	s_mov_b32 s2, exec_lo
	v_cmpx_gt_u32_e64 s15, v35
	s_cbranch_execz .LBB904_163
.LBB904_194:
	s_mov_b32 s3, exec_lo
                                        ; implicit-def: $vgpr5_vgpr6
	v_cmpx_ge_u32_e64 v35, v16
	s_xor_b32 s3, exec_lo, s3
	s_cbranch_execz .LBB904_196
; %bb.195:
	s_waitcnt lgkmcnt(2)
	v_xor_b32_e32 v3, 0xfffff6ff, v0
                                        ; implicit-def: $vgpr35
	v_ashrrev_i32_e32 v6, 31, v3
	v_add_co_u32 v5, vcc_lo, v18, v3
	v_add_co_ci_u32_e64 v6, null, v19, v6, vcc_lo
.LBB904_196:
	s_andn2_saveexec_b32 s3, s3
	s_cbranch_execz .LBB904_198
; %bb.197:
	s_waitcnt lgkmcnt(3)
	v_add_co_u32 v5, vcc_lo, v15, v35
	v_add_co_ci_u32_e64 v6, null, 0, v17, vcc_lo
.LBB904_198:
	s_or_b32 exec_lo, exec_lo, s3
	s_waitcnt lgkmcnt(3)
	v_lshlrev_b64 v[5:6], 2, v[5:6]
	v_add_co_u32 v5, vcc_lo, s16, v5
	v_add_co_ci_u32_e64 v6, null, s17, v6, vcc_lo
	s_waitcnt lgkmcnt(2)
	global_store_dword v[5:6], v4, off
	s_or_b32 exec_lo, exec_lo, s2
	s_mov_b32 s2, exec_lo
	v_cmpx_gt_u32_e64 s15, v34
	s_cbranch_execnz .LBB904_164
.LBB904_199:
	s_or_b32 exec_lo, exec_lo, s2
	s_mov_b32 s2, exec_lo
	v_cmpx_gt_u32_e64 s15, v33
	s_cbranch_execz .LBB904_205
.LBB904_200:
	s_mov_b32 s3, exec_lo
                                        ; implicit-def: $vgpr3_vgpr4
	v_cmpx_ge_u32_e64 v33, v16
	s_xor_b32 s3, exec_lo, s3
	s_cbranch_execz .LBB904_202
; %bb.201:
	s_waitcnt lgkmcnt(1)
	v_xor_b32_e32 v1, 0xfffff4ff, v0
                                        ; implicit-def: $vgpr33
	v_ashrrev_i32_e32 v4, 31, v1
	v_add_co_u32 v3, vcc_lo, v18, v1
	v_add_co_ci_u32_e64 v4, null, v19, v4, vcc_lo
.LBB904_202:
	s_andn2_saveexec_b32 s3, s3
	s_cbranch_execz .LBB904_204
; %bb.203:
	s_waitcnt lgkmcnt(2)
	v_add_co_u32 v3, vcc_lo, v15, v33
	v_add_co_ci_u32_e64 v4, null, 0, v17, vcc_lo
.LBB904_204:
	s_or_b32 exec_lo, exec_lo, s3
	s_waitcnt lgkmcnt(2)
	v_lshlrev_b64 v[3:4], 2, v[3:4]
	v_add_co_u32 v3, vcc_lo, s16, v3
	v_add_co_ci_u32_e64 v4, null, s17, v4, vcc_lo
	s_waitcnt lgkmcnt(1)
	global_store_dword v[3:4], v2, off
.LBB904_205:
	s_or_b32 exec_lo, exec_lo, s2
	s_mov_b32 s2, exec_lo
                                        ; implicit-def: $vgpr13_vgpr14
	v_cmpx_gt_u32_e64 s15, v32
	s_cbranch_execz .LBB904_211
; %bb.206:
	s_mov_b32 s3, exec_lo
                                        ; implicit-def: $vgpr13_vgpr14
	v_cmpx_ge_u32_e64 v32, v16
	s_xor_b32 s3, exec_lo, s3
	s_cbranch_execz .LBB904_208
; %bb.207:
	v_xor_b32_e32 v0, 0xfffff3ff, v0
                                        ; implicit-def: $vgpr32
	s_waitcnt lgkmcnt(1)
	v_ashrrev_i32_e32 v1, 31, v0
	v_add_co_u32 v13, vcc_lo, v18, v0
	v_add_co_ci_u32_e64 v14, null, v19, v1, vcc_lo
.LBB904_208:
	s_andn2_saveexec_b32 s3, s3
; %bb.209:
	v_add_co_u32 v13, vcc_lo, v15, v32
	v_add_co_ci_u32_e64 v14, null, 0, v17, vcc_lo
; %bb.210:
	s_or_b32 exec_lo, exec_lo, s3
	s_or_b32 s1, s1, exec_lo
.LBB904_211:
	s_or_b32 exec_lo, exec_lo, s2
	s_and_saveexec_b32 s2, s1
	s_cbranch_execnz .LBB904_130
.LBB904_212:
	s_or_b32 exec_lo, exec_lo, s2
	s_and_b32 s0, s0, s14
	s_and_saveexec_b32 s1, s0
	s_cbranch_execz .LBB904_131
.LBB904_213:
	v_add_co_u32 v0, vcc_lo, v15, v16
	s_waitcnt lgkmcnt(1)
	v_mov_b32_e32 v2, 0
	v_add_co_ci_u32_e64 v1, null, 0, v17, vcc_lo
	global_store_dwordx2 v2, v[0:1], s[12:13]
	s_endpgm
	.section	.rodata,"a",@progbits
	.p2align	6, 0x0
	.amdhsa_kernel _ZN7rocprim17ROCPRIM_400000_NS6detail17trampoline_kernelINS0_13select_configILj256ELj13ELNS0_17block_load_methodE3ELS4_3ELS4_3ELNS0_20block_scan_algorithmE0ELj4294967295EEENS1_25partition_config_selectorILNS1_17partition_subalgoE3EjNS0_10empty_typeEbEEZZNS1_14partition_implILS8_3ELb0ES6_jNS0_17counting_iteratorIjlEEPS9_SE_NS0_5tupleIJPjSE_EEENSF_IJSE_SE_EEES9_SG_JZNS1_25segmented_radix_sort_implINS0_14default_configELb1EPKsPsPKlPlN2at6native12_GLOBAL__N_18offset_tEEE10hipError_tPvRmT1_PNSt15iterator_traitsISY_E10value_typeET2_T3_PNSZ_IS14_E10value_typeET4_jRbjT5_S1A_jjP12ihipStream_tbEUljE_EEESV_SW_SX_S14_S18_S1A_T6_T7_T9_mT8_S1C_bDpT10_ENKUlT_T0_E_clISt17integral_constantIbLb0EES1O_IbLb1EEEEDaS1K_S1L_EUlS1K_E_NS1_11comp_targetILNS1_3genE8ELNS1_11target_archE1030ELNS1_3gpuE2ELNS1_3repE0EEENS1_30default_config_static_selectorELNS0_4arch9wavefront6targetE0EEEvSY_
		.amdhsa_group_segment_fixed_size 13320
		.amdhsa_private_segment_fixed_size 0
		.amdhsa_kernarg_size 152
		.amdhsa_user_sgpr_count 6
		.amdhsa_user_sgpr_private_segment_buffer 1
		.amdhsa_user_sgpr_dispatch_ptr 0
		.amdhsa_user_sgpr_queue_ptr 0
		.amdhsa_user_sgpr_kernarg_segment_ptr 1
		.amdhsa_user_sgpr_dispatch_id 0
		.amdhsa_user_sgpr_flat_scratch_init 0
		.amdhsa_user_sgpr_private_segment_size 0
		.amdhsa_wavefront_size32 1
		.amdhsa_uses_dynamic_stack 0
		.amdhsa_system_sgpr_private_segment_wavefront_offset 0
		.amdhsa_system_sgpr_workgroup_id_x 1
		.amdhsa_system_sgpr_workgroup_id_y 0
		.amdhsa_system_sgpr_workgroup_id_z 0
		.amdhsa_system_sgpr_workgroup_info 0
		.amdhsa_system_vgpr_workitem_id 0
		.amdhsa_next_free_vgpr 71
		.amdhsa_next_free_sgpr 26
		.amdhsa_reserve_vcc 1
		.amdhsa_reserve_flat_scratch 0
		.amdhsa_float_round_mode_32 0
		.amdhsa_float_round_mode_16_64 0
		.amdhsa_float_denorm_mode_32 3
		.amdhsa_float_denorm_mode_16_64 3
		.amdhsa_dx10_clamp 1
		.amdhsa_ieee_mode 1
		.amdhsa_fp16_overflow 0
		.amdhsa_workgroup_processor_mode 1
		.amdhsa_memory_ordered 1
		.amdhsa_forward_progress 1
		.amdhsa_shared_vgpr_count 0
		.amdhsa_exception_fp_ieee_invalid_op 0
		.amdhsa_exception_fp_denorm_src 0
		.amdhsa_exception_fp_ieee_div_zero 0
		.amdhsa_exception_fp_ieee_overflow 0
		.amdhsa_exception_fp_ieee_underflow 0
		.amdhsa_exception_fp_ieee_inexact 0
		.amdhsa_exception_int_div_zero 0
	.end_amdhsa_kernel
	.section	.text._ZN7rocprim17ROCPRIM_400000_NS6detail17trampoline_kernelINS0_13select_configILj256ELj13ELNS0_17block_load_methodE3ELS4_3ELS4_3ELNS0_20block_scan_algorithmE0ELj4294967295EEENS1_25partition_config_selectorILNS1_17partition_subalgoE3EjNS0_10empty_typeEbEEZZNS1_14partition_implILS8_3ELb0ES6_jNS0_17counting_iteratorIjlEEPS9_SE_NS0_5tupleIJPjSE_EEENSF_IJSE_SE_EEES9_SG_JZNS1_25segmented_radix_sort_implINS0_14default_configELb1EPKsPsPKlPlN2at6native12_GLOBAL__N_18offset_tEEE10hipError_tPvRmT1_PNSt15iterator_traitsISY_E10value_typeET2_T3_PNSZ_IS14_E10value_typeET4_jRbjT5_S1A_jjP12ihipStream_tbEUljE_EEESV_SW_SX_S14_S18_S1A_T6_T7_T9_mT8_S1C_bDpT10_ENKUlT_T0_E_clISt17integral_constantIbLb0EES1O_IbLb1EEEEDaS1K_S1L_EUlS1K_E_NS1_11comp_targetILNS1_3genE8ELNS1_11target_archE1030ELNS1_3gpuE2ELNS1_3repE0EEENS1_30default_config_static_selectorELNS0_4arch9wavefront6targetE0EEEvSY_,"axG",@progbits,_ZN7rocprim17ROCPRIM_400000_NS6detail17trampoline_kernelINS0_13select_configILj256ELj13ELNS0_17block_load_methodE3ELS4_3ELS4_3ELNS0_20block_scan_algorithmE0ELj4294967295EEENS1_25partition_config_selectorILNS1_17partition_subalgoE3EjNS0_10empty_typeEbEEZZNS1_14partition_implILS8_3ELb0ES6_jNS0_17counting_iteratorIjlEEPS9_SE_NS0_5tupleIJPjSE_EEENSF_IJSE_SE_EEES9_SG_JZNS1_25segmented_radix_sort_implINS0_14default_configELb1EPKsPsPKlPlN2at6native12_GLOBAL__N_18offset_tEEE10hipError_tPvRmT1_PNSt15iterator_traitsISY_E10value_typeET2_T3_PNSZ_IS14_E10value_typeET4_jRbjT5_S1A_jjP12ihipStream_tbEUljE_EEESV_SW_SX_S14_S18_S1A_T6_T7_T9_mT8_S1C_bDpT10_ENKUlT_T0_E_clISt17integral_constantIbLb0EES1O_IbLb1EEEEDaS1K_S1L_EUlS1K_E_NS1_11comp_targetILNS1_3genE8ELNS1_11target_archE1030ELNS1_3gpuE2ELNS1_3repE0EEENS1_30default_config_static_selectorELNS0_4arch9wavefront6targetE0EEEvSY_,comdat
.Lfunc_end904:
	.size	_ZN7rocprim17ROCPRIM_400000_NS6detail17trampoline_kernelINS0_13select_configILj256ELj13ELNS0_17block_load_methodE3ELS4_3ELS4_3ELNS0_20block_scan_algorithmE0ELj4294967295EEENS1_25partition_config_selectorILNS1_17partition_subalgoE3EjNS0_10empty_typeEbEEZZNS1_14partition_implILS8_3ELb0ES6_jNS0_17counting_iteratorIjlEEPS9_SE_NS0_5tupleIJPjSE_EEENSF_IJSE_SE_EEES9_SG_JZNS1_25segmented_radix_sort_implINS0_14default_configELb1EPKsPsPKlPlN2at6native12_GLOBAL__N_18offset_tEEE10hipError_tPvRmT1_PNSt15iterator_traitsISY_E10value_typeET2_T3_PNSZ_IS14_E10value_typeET4_jRbjT5_S1A_jjP12ihipStream_tbEUljE_EEESV_SW_SX_S14_S18_S1A_T6_T7_T9_mT8_S1C_bDpT10_ENKUlT_T0_E_clISt17integral_constantIbLb0EES1O_IbLb1EEEEDaS1K_S1L_EUlS1K_E_NS1_11comp_targetILNS1_3genE8ELNS1_11target_archE1030ELNS1_3gpuE2ELNS1_3repE0EEENS1_30default_config_static_selectorELNS0_4arch9wavefront6targetE0EEEvSY_, .Lfunc_end904-_ZN7rocprim17ROCPRIM_400000_NS6detail17trampoline_kernelINS0_13select_configILj256ELj13ELNS0_17block_load_methodE3ELS4_3ELS4_3ELNS0_20block_scan_algorithmE0ELj4294967295EEENS1_25partition_config_selectorILNS1_17partition_subalgoE3EjNS0_10empty_typeEbEEZZNS1_14partition_implILS8_3ELb0ES6_jNS0_17counting_iteratorIjlEEPS9_SE_NS0_5tupleIJPjSE_EEENSF_IJSE_SE_EEES9_SG_JZNS1_25segmented_radix_sort_implINS0_14default_configELb1EPKsPsPKlPlN2at6native12_GLOBAL__N_18offset_tEEE10hipError_tPvRmT1_PNSt15iterator_traitsISY_E10value_typeET2_T3_PNSZ_IS14_E10value_typeET4_jRbjT5_S1A_jjP12ihipStream_tbEUljE_EEESV_SW_SX_S14_S18_S1A_T6_T7_T9_mT8_S1C_bDpT10_ENKUlT_T0_E_clISt17integral_constantIbLb0EES1O_IbLb1EEEEDaS1K_S1L_EUlS1K_E_NS1_11comp_targetILNS1_3genE8ELNS1_11target_archE1030ELNS1_3gpuE2ELNS1_3repE0EEENS1_30default_config_static_selectorELNS0_4arch9wavefront6targetE0EEEvSY_
                                        ; -- End function
	.set _ZN7rocprim17ROCPRIM_400000_NS6detail17trampoline_kernelINS0_13select_configILj256ELj13ELNS0_17block_load_methodE3ELS4_3ELS4_3ELNS0_20block_scan_algorithmE0ELj4294967295EEENS1_25partition_config_selectorILNS1_17partition_subalgoE3EjNS0_10empty_typeEbEEZZNS1_14partition_implILS8_3ELb0ES6_jNS0_17counting_iteratorIjlEEPS9_SE_NS0_5tupleIJPjSE_EEENSF_IJSE_SE_EEES9_SG_JZNS1_25segmented_radix_sort_implINS0_14default_configELb1EPKsPsPKlPlN2at6native12_GLOBAL__N_18offset_tEEE10hipError_tPvRmT1_PNSt15iterator_traitsISY_E10value_typeET2_T3_PNSZ_IS14_E10value_typeET4_jRbjT5_S1A_jjP12ihipStream_tbEUljE_EEESV_SW_SX_S14_S18_S1A_T6_T7_T9_mT8_S1C_bDpT10_ENKUlT_T0_E_clISt17integral_constantIbLb0EES1O_IbLb1EEEEDaS1K_S1L_EUlS1K_E_NS1_11comp_targetILNS1_3genE8ELNS1_11target_archE1030ELNS1_3gpuE2ELNS1_3repE0EEENS1_30default_config_static_selectorELNS0_4arch9wavefront6targetE0EEEvSY_.num_vgpr, 71
	.set _ZN7rocprim17ROCPRIM_400000_NS6detail17trampoline_kernelINS0_13select_configILj256ELj13ELNS0_17block_load_methodE3ELS4_3ELS4_3ELNS0_20block_scan_algorithmE0ELj4294967295EEENS1_25partition_config_selectorILNS1_17partition_subalgoE3EjNS0_10empty_typeEbEEZZNS1_14partition_implILS8_3ELb0ES6_jNS0_17counting_iteratorIjlEEPS9_SE_NS0_5tupleIJPjSE_EEENSF_IJSE_SE_EEES9_SG_JZNS1_25segmented_radix_sort_implINS0_14default_configELb1EPKsPsPKlPlN2at6native12_GLOBAL__N_18offset_tEEE10hipError_tPvRmT1_PNSt15iterator_traitsISY_E10value_typeET2_T3_PNSZ_IS14_E10value_typeET4_jRbjT5_S1A_jjP12ihipStream_tbEUljE_EEESV_SW_SX_S14_S18_S1A_T6_T7_T9_mT8_S1C_bDpT10_ENKUlT_T0_E_clISt17integral_constantIbLb0EES1O_IbLb1EEEEDaS1K_S1L_EUlS1K_E_NS1_11comp_targetILNS1_3genE8ELNS1_11target_archE1030ELNS1_3gpuE2ELNS1_3repE0EEENS1_30default_config_static_selectorELNS0_4arch9wavefront6targetE0EEEvSY_.num_agpr, 0
	.set _ZN7rocprim17ROCPRIM_400000_NS6detail17trampoline_kernelINS0_13select_configILj256ELj13ELNS0_17block_load_methodE3ELS4_3ELS4_3ELNS0_20block_scan_algorithmE0ELj4294967295EEENS1_25partition_config_selectorILNS1_17partition_subalgoE3EjNS0_10empty_typeEbEEZZNS1_14partition_implILS8_3ELb0ES6_jNS0_17counting_iteratorIjlEEPS9_SE_NS0_5tupleIJPjSE_EEENSF_IJSE_SE_EEES9_SG_JZNS1_25segmented_radix_sort_implINS0_14default_configELb1EPKsPsPKlPlN2at6native12_GLOBAL__N_18offset_tEEE10hipError_tPvRmT1_PNSt15iterator_traitsISY_E10value_typeET2_T3_PNSZ_IS14_E10value_typeET4_jRbjT5_S1A_jjP12ihipStream_tbEUljE_EEESV_SW_SX_S14_S18_S1A_T6_T7_T9_mT8_S1C_bDpT10_ENKUlT_T0_E_clISt17integral_constantIbLb0EES1O_IbLb1EEEEDaS1K_S1L_EUlS1K_E_NS1_11comp_targetILNS1_3genE8ELNS1_11target_archE1030ELNS1_3gpuE2ELNS1_3repE0EEENS1_30default_config_static_selectorELNS0_4arch9wavefront6targetE0EEEvSY_.numbered_sgpr, 26
	.set _ZN7rocprim17ROCPRIM_400000_NS6detail17trampoline_kernelINS0_13select_configILj256ELj13ELNS0_17block_load_methodE3ELS4_3ELS4_3ELNS0_20block_scan_algorithmE0ELj4294967295EEENS1_25partition_config_selectorILNS1_17partition_subalgoE3EjNS0_10empty_typeEbEEZZNS1_14partition_implILS8_3ELb0ES6_jNS0_17counting_iteratorIjlEEPS9_SE_NS0_5tupleIJPjSE_EEENSF_IJSE_SE_EEES9_SG_JZNS1_25segmented_radix_sort_implINS0_14default_configELb1EPKsPsPKlPlN2at6native12_GLOBAL__N_18offset_tEEE10hipError_tPvRmT1_PNSt15iterator_traitsISY_E10value_typeET2_T3_PNSZ_IS14_E10value_typeET4_jRbjT5_S1A_jjP12ihipStream_tbEUljE_EEESV_SW_SX_S14_S18_S1A_T6_T7_T9_mT8_S1C_bDpT10_ENKUlT_T0_E_clISt17integral_constantIbLb0EES1O_IbLb1EEEEDaS1K_S1L_EUlS1K_E_NS1_11comp_targetILNS1_3genE8ELNS1_11target_archE1030ELNS1_3gpuE2ELNS1_3repE0EEENS1_30default_config_static_selectorELNS0_4arch9wavefront6targetE0EEEvSY_.num_named_barrier, 0
	.set _ZN7rocprim17ROCPRIM_400000_NS6detail17trampoline_kernelINS0_13select_configILj256ELj13ELNS0_17block_load_methodE3ELS4_3ELS4_3ELNS0_20block_scan_algorithmE0ELj4294967295EEENS1_25partition_config_selectorILNS1_17partition_subalgoE3EjNS0_10empty_typeEbEEZZNS1_14partition_implILS8_3ELb0ES6_jNS0_17counting_iteratorIjlEEPS9_SE_NS0_5tupleIJPjSE_EEENSF_IJSE_SE_EEES9_SG_JZNS1_25segmented_radix_sort_implINS0_14default_configELb1EPKsPsPKlPlN2at6native12_GLOBAL__N_18offset_tEEE10hipError_tPvRmT1_PNSt15iterator_traitsISY_E10value_typeET2_T3_PNSZ_IS14_E10value_typeET4_jRbjT5_S1A_jjP12ihipStream_tbEUljE_EEESV_SW_SX_S14_S18_S1A_T6_T7_T9_mT8_S1C_bDpT10_ENKUlT_T0_E_clISt17integral_constantIbLb0EES1O_IbLb1EEEEDaS1K_S1L_EUlS1K_E_NS1_11comp_targetILNS1_3genE8ELNS1_11target_archE1030ELNS1_3gpuE2ELNS1_3repE0EEENS1_30default_config_static_selectorELNS0_4arch9wavefront6targetE0EEEvSY_.private_seg_size, 0
	.set _ZN7rocprim17ROCPRIM_400000_NS6detail17trampoline_kernelINS0_13select_configILj256ELj13ELNS0_17block_load_methodE3ELS4_3ELS4_3ELNS0_20block_scan_algorithmE0ELj4294967295EEENS1_25partition_config_selectorILNS1_17partition_subalgoE3EjNS0_10empty_typeEbEEZZNS1_14partition_implILS8_3ELb0ES6_jNS0_17counting_iteratorIjlEEPS9_SE_NS0_5tupleIJPjSE_EEENSF_IJSE_SE_EEES9_SG_JZNS1_25segmented_radix_sort_implINS0_14default_configELb1EPKsPsPKlPlN2at6native12_GLOBAL__N_18offset_tEEE10hipError_tPvRmT1_PNSt15iterator_traitsISY_E10value_typeET2_T3_PNSZ_IS14_E10value_typeET4_jRbjT5_S1A_jjP12ihipStream_tbEUljE_EEESV_SW_SX_S14_S18_S1A_T6_T7_T9_mT8_S1C_bDpT10_ENKUlT_T0_E_clISt17integral_constantIbLb0EES1O_IbLb1EEEEDaS1K_S1L_EUlS1K_E_NS1_11comp_targetILNS1_3genE8ELNS1_11target_archE1030ELNS1_3gpuE2ELNS1_3repE0EEENS1_30default_config_static_selectorELNS0_4arch9wavefront6targetE0EEEvSY_.uses_vcc, 1
	.set _ZN7rocprim17ROCPRIM_400000_NS6detail17trampoline_kernelINS0_13select_configILj256ELj13ELNS0_17block_load_methodE3ELS4_3ELS4_3ELNS0_20block_scan_algorithmE0ELj4294967295EEENS1_25partition_config_selectorILNS1_17partition_subalgoE3EjNS0_10empty_typeEbEEZZNS1_14partition_implILS8_3ELb0ES6_jNS0_17counting_iteratorIjlEEPS9_SE_NS0_5tupleIJPjSE_EEENSF_IJSE_SE_EEES9_SG_JZNS1_25segmented_radix_sort_implINS0_14default_configELb1EPKsPsPKlPlN2at6native12_GLOBAL__N_18offset_tEEE10hipError_tPvRmT1_PNSt15iterator_traitsISY_E10value_typeET2_T3_PNSZ_IS14_E10value_typeET4_jRbjT5_S1A_jjP12ihipStream_tbEUljE_EEESV_SW_SX_S14_S18_S1A_T6_T7_T9_mT8_S1C_bDpT10_ENKUlT_T0_E_clISt17integral_constantIbLb0EES1O_IbLb1EEEEDaS1K_S1L_EUlS1K_E_NS1_11comp_targetILNS1_3genE8ELNS1_11target_archE1030ELNS1_3gpuE2ELNS1_3repE0EEENS1_30default_config_static_selectorELNS0_4arch9wavefront6targetE0EEEvSY_.uses_flat_scratch, 0
	.set _ZN7rocprim17ROCPRIM_400000_NS6detail17trampoline_kernelINS0_13select_configILj256ELj13ELNS0_17block_load_methodE3ELS4_3ELS4_3ELNS0_20block_scan_algorithmE0ELj4294967295EEENS1_25partition_config_selectorILNS1_17partition_subalgoE3EjNS0_10empty_typeEbEEZZNS1_14partition_implILS8_3ELb0ES6_jNS0_17counting_iteratorIjlEEPS9_SE_NS0_5tupleIJPjSE_EEENSF_IJSE_SE_EEES9_SG_JZNS1_25segmented_radix_sort_implINS0_14default_configELb1EPKsPsPKlPlN2at6native12_GLOBAL__N_18offset_tEEE10hipError_tPvRmT1_PNSt15iterator_traitsISY_E10value_typeET2_T3_PNSZ_IS14_E10value_typeET4_jRbjT5_S1A_jjP12ihipStream_tbEUljE_EEESV_SW_SX_S14_S18_S1A_T6_T7_T9_mT8_S1C_bDpT10_ENKUlT_T0_E_clISt17integral_constantIbLb0EES1O_IbLb1EEEEDaS1K_S1L_EUlS1K_E_NS1_11comp_targetILNS1_3genE8ELNS1_11target_archE1030ELNS1_3gpuE2ELNS1_3repE0EEENS1_30default_config_static_selectorELNS0_4arch9wavefront6targetE0EEEvSY_.has_dyn_sized_stack, 0
	.set _ZN7rocprim17ROCPRIM_400000_NS6detail17trampoline_kernelINS0_13select_configILj256ELj13ELNS0_17block_load_methodE3ELS4_3ELS4_3ELNS0_20block_scan_algorithmE0ELj4294967295EEENS1_25partition_config_selectorILNS1_17partition_subalgoE3EjNS0_10empty_typeEbEEZZNS1_14partition_implILS8_3ELb0ES6_jNS0_17counting_iteratorIjlEEPS9_SE_NS0_5tupleIJPjSE_EEENSF_IJSE_SE_EEES9_SG_JZNS1_25segmented_radix_sort_implINS0_14default_configELb1EPKsPsPKlPlN2at6native12_GLOBAL__N_18offset_tEEE10hipError_tPvRmT1_PNSt15iterator_traitsISY_E10value_typeET2_T3_PNSZ_IS14_E10value_typeET4_jRbjT5_S1A_jjP12ihipStream_tbEUljE_EEESV_SW_SX_S14_S18_S1A_T6_T7_T9_mT8_S1C_bDpT10_ENKUlT_T0_E_clISt17integral_constantIbLb0EES1O_IbLb1EEEEDaS1K_S1L_EUlS1K_E_NS1_11comp_targetILNS1_3genE8ELNS1_11target_archE1030ELNS1_3gpuE2ELNS1_3repE0EEENS1_30default_config_static_selectorELNS0_4arch9wavefront6targetE0EEEvSY_.has_recursion, 0
	.set _ZN7rocprim17ROCPRIM_400000_NS6detail17trampoline_kernelINS0_13select_configILj256ELj13ELNS0_17block_load_methodE3ELS4_3ELS4_3ELNS0_20block_scan_algorithmE0ELj4294967295EEENS1_25partition_config_selectorILNS1_17partition_subalgoE3EjNS0_10empty_typeEbEEZZNS1_14partition_implILS8_3ELb0ES6_jNS0_17counting_iteratorIjlEEPS9_SE_NS0_5tupleIJPjSE_EEENSF_IJSE_SE_EEES9_SG_JZNS1_25segmented_radix_sort_implINS0_14default_configELb1EPKsPsPKlPlN2at6native12_GLOBAL__N_18offset_tEEE10hipError_tPvRmT1_PNSt15iterator_traitsISY_E10value_typeET2_T3_PNSZ_IS14_E10value_typeET4_jRbjT5_S1A_jjP12ihipStream_tbEUljE_EEESV_SW_SX_S14_S18_S1A_T6_T7_T9_mT8_S1C_bDpT10_ENKUlT_T0_E_clISt17integral_constantIbLb0EES1O_IbLb1EEEEDaS1K_S1L_EUlS1K_E_NS1_11comp_targetILNS1_3genE8ELNS1_11target_archE1030ELNS1_3gpuE2ELNS1_3repE0EEENS1_30default_config_static_selectorELNS0_4arch9wavefront6targetE0EEEvSY_.has_indirect_call, 0
	.section	.AMDGPU.csdata,"",@progbits
; Kernel info:
; codeLenInByte = 8704
; TotalNumSgprs: 28
; NumVgprs: 71
; ScratchSize: 0
; MemoryBound: 0
; FloatMode: 240
; IeeeMode: 1
; LDSByteSize: 13320 bytes/workgroup (compile time only)
; SGPRBlocks: 0
; VGPRBlocks: 8
; NumSGPRsForWavesPerEU: 28
; NumVGPRsForWavesPerEU: 71
; Occupancy: 12
; WaveLimiterHint : 0
; COMPUTE_PGM_RSRC2:SCRATCH_EN: 0
; COMPUTE_PGM_RSRC2:USER_SGPR: 6
; COMPUTE_PGM_RSRC2:TRAP_HANDLER: 0
; COMPUTE_PGM_RSRC2:TGID_X_EN: 1
; COMPUTE_PGM_RSRC2:TGID_Y_EN: 0
; COMPUTE_PGM_RSRC2:TGID_Z_EN: 0
; COMPUTE_PGM_RSRC2:TIDIG_COMP_CNT: 0
	.section	.text._ZN7rocprim17ROCPRIM_400000_NS6detail17trampoline_kernelINS0_14default_configENS1_36segmented_radix_sort_config_selectorIslEEZNS1_25segmented_radix_sort_implIS3_Lb1EPKsPsPKlPlN2at6native12_GLOBAL__N_18offset_tEEE10hipError_tPvRmT1_PNSt15iterator_traitsISK_E10value_typeET2_T3_PNSL_ISQ_E10value_typeET4_jRbjT5_SW_jjP12ihipStream_tbEUlT_E_NS1_11comp_targetILNS1_3genE0ELNS1_11target_archE4294967295ELNS1_3gpuE0ELNS1_3repE0EEENS1_30default_config_static_selectorELNS0_4arch9wavefront6targetE0EEEvSK_,"axG",@progbits,_ZN7rocprim17ROCPRIM_400000_NS6detail17trampoline_kernelINS0_14default_configENS1_36segmented_radix_sort_config_selectorIslEEZNS1_25segmented_radix_sort_implIS3_Lb1EPKsPsPKlPlN2at6native12_GLOBAL__N_18offset_tEEE10hipError_tPvRmT1_PNSt15iterator_traitsISK_E10value_typeET2_T3_PNSL_ISQ_E10value_typeET4_jRbjT5_SW_jjP12ihipStream_tbEUlT_E_NS1_11comp_targetILNS1_3genE0ELNS1_11target_archE4294967295ELNS1_3gpuE0ELNS1_3repE0EEENS1_30default_config_static_selectorELNS0_4arch9wavefront6targetE0EEEvSK_,comdat
	.globl	_ZN7rocprim17ROCPRIM_400000_NS6detail17trampoline_kernelINS0_14default_configENS1_36segmented_radix_sort_config_selectorIslEEZNS1_25segmented_radix_sort_implIS3_Lb1EPKsPsPKlPlN2at6native12_GLOBAL__N_18offset_tEEE10hipError_tPvRmT1_PNSt15iterator_traitsISK_E10value_typeET2_T3_PNSL_ISQ_E10value_typeET4_jRbjT5_SW_jjP12ihipStream_tbEUlT_E_NS1_11comp_targetILNS1_3genE0ELNS1_11target_archE4294967295ELNS1_3gpuE0ELNS1_3repE0EEENS1_30default_config_static_selectorELNS0_4arch9wavefront6targetE0EEEvSK_ ; -- Begin function _ZN7rocprim17ROCPRIM_400000_NS6detail17trampoline_kernelINS0_14default_configENS1_36segmented_radix_sort_config_selectorIslEEZNS1_25segmented_radix_sort_implIS3_Lb1EPKsPsPKlPlN2at6native12_GLOBAL__N_18offset_tEEE10hipError_tPvRmT1_PNSt15iterator_traitsISK_E10value_typeET2_T3_PNSL_ISQ_E10value_typeET4_jRbjT5_SW_jjP12ihipStream_tbEUlT_E_NS1_11comp_targetILNS1_3genE0ELNS1_11target_archE4294967295ELNS1_3gpuE0ELNS1_3repE0EEENS1_30default_config_static_selectorELNS0_4arch9wavefront6targetE0EEEvSK_
	.p2align	8
	.type	_ZN7rocprim17ROCPRIM_400000_NS6detail17trampoline_kernelINS0_14default_configENS1_36segmented_radix_sort_config_selectorIslEEZNS1_25segmented_radix_sort_implIS3_Lb1EPKsPsPKlPlN2at6native12_GLOBAL__N_18offset_tEEE10hipError_tPvRmT1_PNSt15iterator_traitsISK_E10value_typeET2_T3_PNSL_ISQ_E10value_typeET4_jRbjT5_SW_jjP12ihipStream_tbEUlT_E_NS1_11comp_targetILNS1_3genE0ELNS1_11target_archE4294967295ELNS1_3gpuE0ELNS1_3repE0EEENS1_30default_config_static_selectorELNS0_4arch9wavefront6targetE0EEEvSK_,@function
_ZN7rocprim17ROCPRIM_400000_NS6detail17trampoline_kernelINS0_14default_configENS1_36segmented_radix_sort_config_selectorIslEEZNS1_25segmented_radix_sort_implIS3_Lb1EPKsPsPKlPlN2at6native12_GLOBAL__N_18offset_tEEE10hipError_tPvRmT1_PNSt15iterator_traitsISK_E10value_typeET2_T3_PNSL_ISQ_E10value_typeET4_jRbjT5_SW_jjP12ihipStream_tbEUlT_E_NS1_11comp_targetILNS1_3genE0ELNS1_11target_archE4294967295ELNS1_3gpuE0ELNS1_3repE0EEENS1_30default_config_static_selectorELNS0_4arch9wavefront6targetE0EEEvSK_: ; @_ZN7rocprim17ROCPRIM_400000_NS6detail17trampoline_kernelINS0_14default_configENS1_36segmented_radix_sort_config_selectorIslEEZNS1_25segmented_radix_sort_implIS3_Lb1EPKsPsPKlPlN2at6native12_GLOBAL__N_18offset_tEEE10hipError_tPvRmT1_PNSt15iterator_traitsISK_E10value_typeET2_T3_PNSL_ISQ_E10value_typeET4_jRbjT5_SW_jjP12ihipStream_tbEUlT_E_NS1_11comp_targetILNS1_3genE0ELNS1_11target_archE4294967295ELNS1_3gpuE0ELNS1_3repE0EEENS1_30default_config_static_selectorELNS0_4arch9wavefront6targetE0EEEvSK_
; %bb.0:
	.section	.rodata,"a",@progbits
	.p2align	6, 0x0
	.amdhsa_kernel _ZN7rocprim17ROCPRIM_400000_NS6detail17trampoline_kernelINS0_14default_configENS1_36segmented_radix_sort_config_selectorIslEEZNS1_25segmented_radix_sort_implIS3_Lb1EPKsPsPKlPlN2at6native12_GLOBAL__N_18offset_tEEE10hipError_tPvRmT1_PNSt15iterator_traitsISK_E10value_typeET2_T3_PNSL_ISQ_E10value_typeET4_jRbjT5_SW_jjP12ihipStream_tbEUlT_E_NS1_11comp_targetILNS1_3genE0ELNS1_11target_archE4294967295ELNS1_3gpuE0ELNS1_3repE0EEENS1_30default_config_static_selectorELNS0_4arch9wavefront6targetE0EEEvSK_
		.amdhsa_group_segment_fixed_size 0
		.amdhsa_private_segment_fixed_size 0
		.amdhsa_kernarg_size 96
		.amdhsa_user_sgpr_count 6
		.amdhsa_user_sgpr_private_segment_buffer 1
		.amdhsa_user_sgpr_dispatch_ptr 0
		.amdhsa_user_sgpr_queue_ptr 0
		.amdhsa_user_sgpr_kernarg_segment_ptr 1
		.amdhsa_user_sgpr_dispatch_id 0
		.amdhsa_user_sgpr_flat_scratch_init 0
		.amdhsa_user_sgpr_private_segment_size 0
		.amdhsa_wavefront_size32 1
		.amdhsa_uses_dynamic_stack 0
		.amdhsa_system_sgpr_private_segment_wavefront_offset 0
		.amdhsa_system_sgpr_workgroup_id_x 1
		.amdhsa_system_sgpr_workgroup_id_y 0
		.amdhsa_system_sgpr_workgroup_id_z 0
		.amdhsa_system_sgpr_workgroup_info 0
		.amdhsa_system_vgpr_workitem_id 0
		.amdhsa_next_free_vgpr 1
		.amdhsa_next_free_sgpr 1
		.amdhsa_reserve_vcc 0
		.amdhsa_reserve_flat_scratch 0
		.amdhsa_float_round_mode_32 0
		.amdhsa_float_round_mode_16_64 0
		.amdhsa_float_denorm_mode_32 3
		.amdhsa_float_denorm_mode_16_64 3
		.amdhsa_dx10_clamp 1
		.amdhsa_ieee_mode 1
		.amdhsa_fp16_overflow 0
		.amdhsa_workgroup_processor_mode 1
		.amdhsa_memory_ordered 1
		.amdhsa_forward_progress 1
		.amdhsa_shared_vgpr_count 0
		.amdhsa_exception_fp_ieee_invalid_op 0
		.amdhsa_exception_fp_denorm_src 0
		.amdhsa_exception_fp_ieee_div_zero 0
		.amdhsa_exception_fp_ieee_overflow 0
		.amdhsa_exception_fp_ieee_underflow 0
		.amdhsa_exception_fp_ieee_inexact 0
		.amdhsa_exception_int_div_zero 0
	.end_amdhsa_kernel
	.section	.text._ZN7rocprim17ROCPRIM_400000_NS6detail17trampoline_kernelINS0_14default_configENS1_36segmented_radix_sort_config_selectorIslEEZNS1_25segmented_radix_sort_implIS3_Lb1EPKsPsPKlPlN2at6native12_GLOBAL__N_18offset_tEEE10hipError_tPvRmT1_PNSt15iterator_traitsISK_E10value_typeET2_T3_PNSL_ISQ_E10value_typeET4_jRbjT5_SW_jjP12ihipStream_tbEUlT_E_NS1_11comp_targetILNS1_3genE0ELNS1_11target_archE4294967295ELNS1_3gpuE0ELNS1_3repE0EEENS1_30default_config_static_selectorELNS0_4arch9wavefront6targetE0EEEvSK_,"axG",@progbits,_ZN7rocprim17ROCPRIM_400000_NS6detail17trampoline_kernelINS0_14default_configENS1_36segmented_radix_sort_config_selectorIslEEZNS1_25segmented_radix_sort_implIS3_Lb1EPKsPsPKlPlN2at6native12_GLOBAL__N_18offset_tEEE10hipError_tPvRmT1_PNSt15iterator_traitsISK_E10value_typeET2_T3_PNSL_ISQ_E10value_typeET4_jRbjT5_SW_jjP12ihipStream_tbEUlT_E_NS1_11comp_targetILNS1_3genE0ELNS1_11target_archE4294967295ELNS1_3gpuE0ELNS1_3repE0EEENS1_30default_config_static_selectorELNS0_4arch9wavefront6targetE0EEEvSK_,comdat
.Lfunc_end905:
	.size	_ZN7rocprim17ROCPRIM_400000_NS6detail17trampoline_kernelINS0_14default_configENS1_36segmented_radix_sort_config_selectorIslEEZNS1_25segmented_radix_sort_implIS3_Lb1EPKsPsPKlPlN2at6native12_GLOBAL__N_18offset_tEEE10hipError_tPvRmT1_PNSt15iterator_traitsISK_E10value_typeET2_T3_PNSL_ISQ_E10value_typeET4_jRbjT5_SW_jjP12ihipStream_tbEUlT_E_NS1_11comp_targetILNS1_3genE0ELNS1_11target_archE4294967295ELNS1_3gpuE0ELNS1_3repE0EEENS1_30default_config_static_selectorELNS0_4arch9wavefront6targetE0EEEvSK_, .Lfunc_end905-_ZN7rocprim17ROCPRIM_400000_NS6detail17trampoline_kernelINS0_14default_configENS1_36segmented_radix_sort_config_selectorIslEEZNS1_25segmented_radix_sort_implIS3_Lb1EPKsPsPKlPlN2at6native12_GLOBAL__N_18offset_tEEE10hipError_tPvRmT1_PNSt15iterator_traitsISK_E10value_typeET2_T3_PNSL_ISQ_E10value_typeET4_jRbjT5_SW_jjP12ihipStream_tbEUlT_E_NS1_11comp_targetILNS1_3genE0ELNS1_11target_archE4294967295ELNS1_3gpuE0ELNS1_3repE0EEENS1_30default_config_static_selectorELNS0_4arch9wavefront6targetE0EEEvSK_
                                        ; -- End function
	.set _ZN7rocprim17ROCPRIM_400000_NS6detail17trampoline_kernelINS0_14default_configENS1_36segmented_radix_sort_config_selectorIslEEZNS1_25segmented_radix_sort_implIS3_Lb1EPKsPsPKlPlN2at6native12_GLOBAL__N_18offset_tEEE10hipError_tPvRmT1_PNSt15iterator_traitsISK_E10value_typeET2_T3_PNSL_ISQ_E10value_typeET4_jRbjT5_SW_jjP12ihipStream_tbEUlT_E_NS1_11comp_targetILNS1_3genE0ELNS1_11target_archE4294967295ELNS1_3gpuE0ELNS1_3repE0EEENS1_30default_config_static_selectorELNS0_4arch9wavefront6targetE0EEEvSK_.num_vgpr, 0
	.set _ZN7rocprim17ROCPRIM_400000_NS6detail17trampoline_kernelINS0_14default_configENS1_36segmented_radix_sort_config_selectorIslEEZNS1_25segmented_radix_sort_implIS3_Lb1EPKsPsPKlPlN2at6native12_GLOBAL__N_18offset_tEEE10hipError_tPvRmT1_PNSt15iterator_traitsISK_E10value_typeET2_T3_PNSL_ISQ_E10value_typeET4_jRbjT5_SW_jjP12ihipStream_tbEUlT_E_NS1_11comp_targetILNS1_3genE0ELNS1_11target_archE4294967295ELNS1_3gpuE0ELNS1_3repE0EEENS1_30default_config_static_selectorELNS0_4arch9wavefront6targetE0EEEvSK_.num_agpr, 0
	.set _ZN7rocprim17ROCPRIM_400000_NS6detail17trampoline_kernelINS0_14default_configENS1_36segmented_radix_sort_config_selectorIslEEZNS1_25segmented_radix_sort_implIS3_Lb1EPKsPsPKlPlN2at6native12_GLOBAL__N_18offset_tEEE10hipError_tPvRmT1_PNSt15iterator_traitsISK_E10value_typeET2_T3_PNSL_ISQ_E10value_typeET4_jRbjT5_SW_jjP12ihipStream_tbEUlT_E_NS1_11comp_targetILNS1_3genE0ELNS1_11target_archE4294967295ELNS1_3gpuE0ELNS1_3repE0EEENS1_30default_config_static_selectorELNS0_4arch9wavefront6targetE0EEEvSK_.numbered_sgpr, 0
	.set _ZN7rocprim17ROCPRIM_400000_NS6detail17trampoline_kernelINS0_14default_configENS1_36segmented_radix_sort_config_selectorIslEEZNS1_25segmented_radix_sort_implIS3_Lb1EPKsPsPKlPlN2at6native12_GLOBAL__N_18offset_tEEE10hipError_tPvRmT1_PNSt15iterator_traitsISK_E10value_typeET2_T3_PNSL_ISQ_E10value_typeET4_jRbjT5_SW_jjP12ihipStream_tbEUlT_E_NS1_11comp_targetILNS1_3genE0ELNS1_11target_archE4294967295ELNS1_3gpuE0ELNS1_3repE0EEENS1_30default_config_static_selectorELNS0_4arch9wavefront6targetE0EEEvSK_.num_named_barrier, 0
	.set _ZN7rocprim17ROCPRIM_400000_NS6detail17trampoline_kernelINS0_14default_configENS1_36segmented_radix_sort_config_selectorIslEEZNS1_25segmented_radix_sort_implIS3_Lb1EPKsPsPKlPlN2at6native12_GLOBAL__N_18offset_tEEE10hipError_tPvRmT1_PNSt15iterator_traitsISK_E10value_typeET2_T3_PNSL_ISQ_E10value_typeET4_jRbjT5_SW_jjP12ihipStream_tbEUlT_E_NS1_11comp_targetILNS1_3genE0ELNS1_11target_archE4294967295ELNS1_3gpuE0ELNS1_3repE0EEENS1_30default_config_static_selectorELNS0_4arch9wavefront6targetE0EEEvSK_.private_seg_size, 0
	.set _ZN7rocprim17ROCPRIM_400000_NS6detail17trampoline_kernelINS0_14default_configENS1_36segmented_radix_sort_config_selectorIslEEZNS1_25segmented_radix_sort_implIS3_Lb1EPKsPsPKlPlN2at6native12_GLOBAL__N_18offset_tEEE10hipError_tPvRmT1_PNSt15iterator_traitsISK_E10value_typeET2_T3_PNSL_ISQ_E10value_typeET4_jRbjT5_SW_jjP12ihipStream_tbEUlT_E_NS1_11comp_targetILNS1_3genE0ELNS1_11target_archE4294967295ELNS1_3gpuE0ELNS1_3repE0EEENS1_30default_config_static_selectorELNS0_4arch9wavefront6targetE0EEEvSK_.uses_vcc, 0
	.set _ZN7rocprim17ROCPRIM_400000_NS6detail17trampoline_kernelINS0_14default_configENS1_36segmented_radix_sort_config_selectorIslEEZNS1_25segmented_radix_sort_implIS3_Lb1EPKsPsPKlPlN2at6native12_GLOBAL__N_18offset_tEEE10hipError_tPvRmT1_PNSt15iterator_traitsISK_E10value_typeET2_T3_PNSL_ISQ_E10value_typeET4_jRbjT5_SW_jjP12ihipStream_tbEUlT_E_NS1_11comp_targetILNS1_3genE0ELNS1_11target_archE4294967295ELNS1_3gpuE0ELNS1_3repE0EEENS1_30default_config_static_selectorELNS0_4arch9wavefront6targetE0EEEvSK_.uses_flat_scratch, 0
	.set _ZN7rocprim17ROCPRIM_400000_NS6detail17trampoline_kernelINS0_14default_configENS1_36segmented_radix_sort_config_selectorIslEEZNS1_25segmented_radix_sort_implIS3_Lb1EPKsPsPKlPlN2at6native12_GLOBAL__N_18offset_tEEE10hipError_tPvRmT1_PNSt15iterator_traitsISK_E10value_typeET2_T3_PNSL_ISQ_E10value_typeET4_jRbjT5_SW_jjP12ihipStream_tbEUlT_E_NS1_11comp_targetILNS1_3genE0ELNS1_11target_archE4294967295ELNS1_3gpuE0ELNS1_3repE0EEENS1_30default_config_static_selectorELNS0_4arch9wavefront6targetE0EEEvSK_.has_dyn_sized_stack, 0
	.set _ZN7rocprim17ROCPRIM_400000_NS6detail17trampoline_kernelINS0_14default_configENS1_36segmented_radix_sort_config_selectorIslEEZNS1_25segmented_radix_sort_implIS3_Lb1EPKsPsPKlPlN2at6native12_GLOBAL__N_18offset_tEEE10hipError_tPvRmT1_PNSt15iterator_traitsISK_E10value_typeET2_T3_PNSL_ISQ_E10value_typeET4_jRbjT5_SW_jjP12ihipStream_tbEUlT_E_NS1_11comp_targetILNS1_3genE0ELNS1_11target_archE4294967295ELNS1_3gpuE0ELNS1_3repE0EEENS1_30default_config_static_selectorELNS0_4arch9wavefront6targetE0EEEvSK_.has_recursion, 0
	.set _ZN7rocprim17ROCPRIM_400000_NS6detail17trampoline_kernelINS0_14default_configENS1_36segmented_radix_sort_config_selectorIslEEZNS1_25segmented_radix_sort_implIS3_Lb1EPKsPsPKlPlN2at6native12_GLOBAL__N_18offset_tEEE10hipError_tPvRmT1_PNSt15iterator_traitsISK_E10value_typeET2_T3_PNSL_ISQ_E10value_typeET4_jRbjT5_SW_jjP12ihipStream_tbEUlT_E_NS1_11comp_targetILNS1_3genE0ELNS1_11target_archE4294967295ELNS1_3gpuE0ELNS1_3repE0EEENS1_30default_config_static_selectorELNS0_4arch9wavefront6targetE0EEEvSK_.has_indirect_call, 0
	.section	.AMDGPU.csdata,"",@progbits
; Kernel info:
; codeLenInByte = 0
; TotalNumSgprs: 0
; NumVgprs: 0
; ScratchSize: 0
; MemoryBound: 0
; FloatMode: 240
; IeeeMode: 1
; LDSByteSize: 0 bytes/workgroup (compile time only)
; SGPRBlocks: 0
; VGPRBlocks: 0
; NumSGPRsForWavesPerEU: 1
; NumVGPRsForWavesPerEU: 1
; Occupancy: 16
; WaveLimiterHint : 0
; COMPUTE_PGM_RSRC2:SCRATCH_EN: 0
; COMPUTE_PGM_RSRC2:USER_SGPR: 6
; COMPUTE_PGM_RSRC2:TRAP_HANDLER: 0
; COMPUTE_PGM_RSRC2:TGID_X_EN: 1
; COMPUTE_PGM_RSRC2:TGID_Y_EN: 0
; COMPUTE_PGM_RSRC2:TGID_Z_EN: 0
; COMPUTE_PGM_RSRC2:TIDIG_COMP_CNT: 0
	.section	.text._ZN7rocprim17ROCPRIM_400000_NS6detail17trampoline_kernelINS0_14default_configENS1_36segmented_radix_sort_config_selectorIslEEZNS1_25segmented_radix_sort_implIS3_Lb1EPKsPsPKlPlN2at6native12_GLOBAL__N_18offset_tEEE10hipError_tPvRmT1_PNSt15iterator_traitsISK_E10value_typeET2_T3_PNSL_ISQ_E10value_typeET4_jRbjT5_SW_jjP12ihipStream_tbEUlT_E_NS1_11comp_targetILNS1_3genE5ELNS1_11target_archE942ELNS1_3gpuE9ELNS1_3repE0EEENS1_30default_config_static_selectorELNS0_4arch9wavefront6targetE0EEEvSK_,"axG",@progbits,_ZN7rocprim17ROCPRIM_400000_NS6detail17trampoline_kernelINS0_14default_configENS1_36segmented_radix_sort_config_selectorIslEEZNS1_25segmented_radix_sort_implIS3_Lb1EPKsPsPKlPlN2at6native12_GLOBAL__N_18offset_tEEE10hipError_tPvRmT1_PNSt15iterator_traitsISK_E10value_typeET2_T3_PNSL_ISQ_E10value_typeET4_jRbjT5_SW_jjP12ihipStream_tbEUlT_E_NS1_11comp_targetILNS1_3genE5ELNS1_11target_archE942ELNS1_3gpuE9ELNS1_3repE0EEENS1_30default_config_static_selectorELNS0_4arch9wavefront6targetE0EEEvSK_,comdat
	.globl	_ZN7rocprim17ROCPRIM_400000_NS6detail17trampoline_kernelINS0_14default_configENS1_36segmented_radix_sort_config_selectorIslEEZNS1_25segmented_radix_sort_implIS3_Lb1EPKsPsPKlPlN2at6native12_GLOBAL__N_18offset_tEEE10hipError_tPvRmT1_PNSt15iterator_traitsISK_E10value_typeET2_T3_PNSL_ISQ_E10value_typeET4_jRbjT5_SW_jjP12ihipStream_tbEUlT_E_NS1_11comp_targetILNS1_3genE5ELNS1_11target_archE942ELNS1_3gpuE9ELNS1_3repE0EEENS1_30default_config_static_selectorELNS0_4arch9wavefront6targetE0EEEvSK_ ; -- Begin function _ZN7rocprim17ROCPRIM_400000_NS6detail17trampoline_kernelINS0_14default_configENS1_36segmented_radix_sort_config_selectorIslEEZNS1_25segmented_radix_sort_implIS3_Lb1EPKsPsPKlPlN2at6native12_GLOBAL__N_18offset_tEEE10hipError_tPvRmT1_PNSt15iterator_traitsISK_E10value_typeET2_T3_PNSL_ISQ_E10value_typeET4_jRbjT5_SW_jjP12ihipStream_tbEUlT_E_NS1_11comp_targetILNS1_3genE5ELNS1_11target_archE942ELNS1_3gpuE9ELNS1_3repE0EEENS1_30default_config_static_selectorELNS0_4arch9wavefront6targetE0EEEvSK_
	.p2align	8
	.type	_ZN7rocprim17ROCPRIM_400000_NS6detail17trampoline_kernelINS0_14default_configENS1_36segmented_radix_sort_config_selectorIslEEZNS1_25segmented_radix_sort_implIS3_Lb1EPKsPsPKlPlN2at6native12_GLOBAL__N_18offset_tEEE10hipError_tPvRmT1_PNSt15iterator_traitsISK_E10value_typeET2_T3_PNSL_ISQ_E10value_typeET4_jRbjT5_SW_jjP12ihipStream_tbEUlT_E_NS1_11comp_targetILNS1_3genE5ELNS1_11target_archE942ELNS1_3gpuE9ELNS1_3repE0EEENS1_30default_config_static_selectorELNS0_4arch9wavefront6targetE0EEEvSK_,@function
_ZN7rocprim17ROCPRIM_400000_NS6detail17trampoline_kernelINS0_14default_configENS1_36segmented_radix_sort_config_selectorIslEEZNS1_25segmented_radix_sort_implIS3_Lb1EPKsPsPKlPlN2at6native12_GLOBAL__N_18offset_tEEE10hipError_tPvRmT1_PNSt15iterator_traitsISK_E10value_typeET2_T3_PNSL_ISQ_E10value_typeET4_jRbjT5_SW_jjP12ihipStream_tbEUlT_E_NS1_11comp_targetILNS1_3genE5ELNS1_11target_archE942ELNS1_3gpuE9ELNS1_3repE0EEENS1_30default_config_static_selectorELNS0_4arch9wavefront6targetE0EEEvSK_: ; @_ZN7rocprim17ROCPRIM_400000_NS6detail17trampoline_kernelINS0_14default_configENS1_36segmented_radix_sort_config_selectorIslEEZNS1_25segmented_radix_sort_implIS3_Lb1EPKsPsPKlPlN2at6native12_GLOBAL__N_18offset_tEEE10hipError_tPvRmT1_PNSt15iterator_traitsISK_E10value_typeET2_T3_PNSL_ISQ_E10value_typeET4_jRbjT5_SW_jjP12ihipStream_tbEUlT_E_NS1_11comp_targetILNS1_3genE5ELNS1_11target_archE942ELNS1_3gpuE9ELNS1_3repE0EEENS1_30default_config_static_selectorELNS0_4arch9wavefront6targetE0EEEvSK_
; %bb.0:
	.section	.rodata,"a",@progbits
	.p2align	6, 0x0
	.amdhsa_kernel _ZN7rocprim17ROCPRIM_400000_NS6detail17trampoline_kernelINS0_14default_configENS1_36segmented_radix_sort_config_selectorIslEEZNS1_25segmented_radix_sort_implIS3_Lb1EPKsPsPKlPlN2at6native12_GLOBAL__N_18offset_tEEE10hipError_tPvRmT1_PNSt15iterator_traitsISK_E10value_typeET2_T3_PNSL_ISQ_E10value_typeET4_jRbjT5_SW_jjP12ihipStream_tbEUlT_E_NS1_11comp_targetILNS1_3genE5ELNS1_11target_archE942ELNS1_3gpuE9ELNS1_3repE0EEENS1_30default_config_static_selectorELNS0_4arch9wavefront6targetE0EEEvSK_
		.amdhsa_group_segment_fixed_size 0
		.amdhsa_private_segment_fixed_size 0
		.amdhsa_kernarg_size 96
		.amdhsa_user_sgpr_count 6
		.amdhsa_user_sgpr_private_segment_buffer 1
		.amdhsa_user_sgpr_dispatch_ptr 0
		.amdhsa_user_sgpr_queue_ptr 0
		.amdhsa_user_sgpr_kernarg_segment_ptr 1
		.amdhsa_user_sgpr_dispatch_id 0
		.amdhsa_user_sgpr_flat_scratch_init 0
		.amdhsa_user_sgpr_private_segment_size 0
		.amdhsa_wavefront_size32 1
		.amdhsa_uses_dynamic_stack 0
		.amdhsa_system_sgpr_private_segment_wavefront_offset 0
		.amdhsa_system_sgpr_workgroup_id_x 1
		.amdhsa_system_sgpr_workgroup_id_y 0
		.amdhsa_system_sgpr_workgroup_id_z 0
		.amdhsa_system_sgpr_workgroup_info 0
		.amdhsa_system_vgpr_workitem_id 0
		.amdhsa_next_free_vgpr 1
		.amdhsa_next_free_sgpr 1
		.amdhsa_reserve_vcc 0
		.amdhsa_reserve_flat_scratch 0
		.amdhsa_float_round_mode_32 0
		.amdhsa_float_round_mode_16_64 0
		.amdhsa_float_denorm_mode_32 3
		.amdhsa_float_denorm_mode_16_64 3
		.amdhsa_dx10_clamp 1
		.amdhsa_ieee_mode 1
		.amdhsa_fp16_overflow 0
		.amdhsa_workgroup_processor_mode 1
		.amdhsa_memory_ordered 1
		.amdhsa_forward_progress 1
		.amdhsa_shared_vgpr_count 0
		.amdhsa_exception_fp_ieee_invalid_op 0
		.amdhsa_exception_fp_denorm_src 0
		.amdhsa_exception_fp_ieee_div_zero 0
		.amdhsa_exception_fp_ieee_overflow 0
		.amdhsa_exception_fp_ieee_underflow 0
		.amdhsa_exception_fp_ieee_inexact 0
		.amdhsa_exception_int_div_zero 0
	.end_amdhsa_kernel
	.section	.text._ZN7rocprim17ROCPRIM_400000_NS6detail17trampoline_kernelINS0_14default_configENS1_36segmented_radix_sort_config_selectorIslEEZNS1_25segmented_radix_sort_implIS3_Lb1EPKsPsPKlPlN2at6native12_GLOBAL__N_18offset_tEEE10hipError_tPvRmT1_PNSt15iterator_traitsISK_E10value_typeET2_T3_PNSL_ISQ_E10value_typeET4_jRbjT5_SW_jjP12ihipStream_tbEUlT_E_NS1_11comp_targetILNS1_3genE5ELNS1_11target_archE942ELNS1_3gpuE9ELNS1_3repE0EEENS1_30default_config_static_selectorELNS0_4arch9wavefront6targetE0EEEvSK_,"axG",@progbits,_ZN7rocprim17ROCPRIM_400000_NS6detail17trampoline_kernelINS0_14default_configENS1_36segmented_radix_sort_config_selectorIslEEZNS1_25segmented_radix_sort_implIS3_Lb1EPKsPsPKlPlN2at6native12_GLOBAL__N_18offset_tEEE10hipError_tPvRmT1_PNSt15iterator_traitsISK_E10value_typeET2_T3_PNSL_ISQ_E10value_typeET4_jRbjT5_SW_jjP12ihipStream_tbEUlT_E_NS1_11comp_targetILNS1_3genE5ELNS1_11target_archE942ELNS1_3gpuE9ELNS1_3repE0EEENS1_30default_config_static_selectorELNS0_4arch9wavefront6targetE0EEEvSK_,comdat
.Lfunc_end906:
	.size	_ZN7rocprim17ROCPRIM_400000_NS6detail17trampoline_kernelINS0_14default_configENS1_36segmented_radix_sort_config_selectorIslEEZNS1_25segmented_radix_sort_implIS3_Lb1EPKsPsPKlPlN2at6native12_GLOBAL__N_18offset_tEEE10hipError_tPvRmT1_PNSt15iterator_traitsISK_E10value_typeET2_T3_PNSL_ISQ_E10value_typeET4_jRbjT5_SW_jjP12ihipStream_tbEUlT_E_NS1_11comp_targetILNS1_3genE5ELNS1_11target_archE942ELNS1_3gpuE9ELNS1_3repE0EEENS1_30default_config_static_selectorELNS0_4arch9wavefront6targetE0EEEvSK_, .Lfunc_end906-_ZN7rocprim17ROCPRIM_400000_NS6detail17trampoline_kernelINS0_14default_configENS1_36segmented_radix_sort_config_selectorIslEEZNS1_25segmented_radix_sort_implIS3_Lb1EPKsPsPKlPlN2at6native12_GLOBAL__N_18offset_tEEE10hipError_tPvRmT1_PNSt15iterator_traitsISK_E10value_typeET2_T3_PNSL_ISQ_E10value_typeET4_jRbjT5_SW_jjP12ihipStream_tbEUlT_E_NS1_11comp_targetILNS1_3genE5ELNS1_11target_archE942ELNS1_3gpuE9ELNS1_3repE0EEENS1_30default_config_static_selectorELNS0_4arch9wavefront6targetE0EEEvSK_
                                        ; -- End function
	.set _ZN7rocprim17ROCPRIM_400000_NS6detail17trampoline_kernelINS0_14default_configENS1_36segmented_radix_sort_config_selectorIslEEZNS1_25segmented_radix_sort_implIS3_Lb1EPKsPsPKlPlN2at6native12_GLOBAL__N_18offset_tEEE10hipError_tPvRmT1_PNSt15iterator_traitsISK_E10value_typeET2_T3_PNSL_ISQ_E10value_typeET4_jRbjT5_SW_jjP12ihipStream_tbEUlT_E_NS1_11comp_targetILNS1_3genE5ELNS1_11target_archE942ELNS1_3gpuE9ELNS1_3repE0EEENS1_30default_config_static_selectorELNS0_4arch9wavefront6targetE0EEEvSK_.num_vgpr, 0
	.set _ZN7rocprim17ROCPRIM_400000_NS6detail17trampoline_kernelINS0_14default_configENS1_36segmented_radix_sort_config_selectorIslEEZNS1_25segmented_radix_sort_implIS3_Lb1EPKsPsPKlPlN2at6native12_GLOBAL__N_18offset_tEEE10hipError_tPvRmT1_PNSt15iterator_traitsISK_E10value_typeET2_T3_PNSL_ISQ_E10value_typeET4_jRbjT5_SW_jjP12ihipStream_tbEUlT_E_NS1_11comp_targetILNS1_3genE5ELNS1_11target_archE942ELNS1_3gpuE9ELNS1_3repE0EEENS1_30default_config_static_selectorELNS0_4arch9wavefront6targetE0EEEvSK_.num_agpr, 0
	.set _ZN7rocprim17ROCPRIM_400000_NS6detail17trampoline_kernelINS0_14default_configENS1_36segmented_radix_sort_config_selectorIslEEZNS1_25segmented_radix_sort_implIS3_Lb1EPKsPsPKlPlN2at6native12_GLOBAL__N_18offset_tEEE10hipError_tPvRmT1_PNSt15iterator_traitsISK_E10value_typeET2_T3_PNSL_ISQ_E10value_typeET4_jRbjT5_SW_jjP12ihipStream_tbEUlT_E_NS1_11comp_targetILNS1_3genE5ELNS1_11target_archE942ELNS1_3gpuE9ELNS1_3repE0EEENS1_30default_config_static_selectorELNS0_4arch9wavefront6targetE0EEEvSK_.numbered_sgpr, 0
	.set _ZN7rocprim17ROCPRIM_400000_NS6detail17trampoline_kernelINS0_14default_configENS1_36segmented_radix_sort_config_selectorIslEEZNS1_25segmented_radix_sort_implIS3_Lb1EPKsPsPKlPlN2at6native12_GLOBAL__N_18offset_tEEE10hipError_tPvRmT1_PNSt15iterator_traitsISK_E10value_typeET2_T3_PNSL_ISQ_E10value_typeET4_jRbjT5_SW_jjP12ihipStream_tbEUlT_E_NS1_11comp_targetILNS1_3genE5ELNS1_11target_archE942ELNS1_3gpuE9ELNS1_3repE0EEENS1_30default_config_static_selectorELNS0_4arch9wavefront6targetE0EEEvSK_.num_named_barrier, 0
	.set _ZN7rocprim17ROCPRIM_400000_NS6detail17trampoline_kernelINS0_14default_configENS1_36segmented_radix_sort_config_selectorIslEEZNS1_25segmented_radix_sort_implIS3_Lb1EPKsPsPKlPlN2at6native12_GLOBAL__N_18offset_tEEE10hipError_tPvRmT1_PNSt15iterator_traitsISK_E10value_typeET2_T3_PNSL_ISQ_E10value_typeET4_jRbjT5_SW_jjP12ihipStream_tbEUlT_E_NS1_11comp_targetILNS1_3genE5ELNS1_11target_archE942ELNS1_3gpuE9ELNS1_3repE0EEENS1_30default_config_static_selectorELNS0_4arch9wavefront6targetE0EEEvSK_.private_seg_size, 0
	.set _ZN7rocprim17ROCPRIM_400000_NS6detail17trampoline_kernelINS0_14default_configENS1_36segmented_radix_sort_config_selectorIslEEZNS1_25segmented_radix_sort_implIS3_Lb1EPKsPsPKlPlN2at6native12_GLOBAL__N_18offset_tEEE10hipError_tPvRmT1_PNSt15iterator_traitsISK_E10value_typeET2_T3_PNSL_ISQ_E10value_typeET4_jRbjT5_SW_jjP12ihipStream_tbEUlT_E_NS1_11comp_targetILNS1_3genE5ELNS1_11target_archE942ELNS1_3gpuE9ELNS1_3repE0EEENS1_30default_config_static_selectorELNS0_4arch9wavefront6targetE0EEEvSK_.uses_vcc, 0
	.set _ZN7rocprim17ROCPRIM_400000_NS6detail17trampoline_kernelINS0_14default_configENS1_36segmented_radix_sort_config_selectorIslEEZNS1_25segmented_radix_sort_implIS3_Lb1EPKsPsPKlPlN2at6native12_GLOBAL__N_18offset_tEEE10hipError_tPvRmT1_PNSt15iterator_traitsISK_E10value_typeET2_T3_PNSL_ISQ_E10value_typeET4_jRbjT5_SW_jjP12ihipStream_tbEUlT_E_NS1_11comp_targetILNS1_3genE5ELNS1_11target_archE942ELNS1_3gpuE9ELNS1_3repE0EEENS1_30default_config_static_selectorELNS0_4arch9wavefront6targetE0EEEvSK_.uses_flat_scratch, 0
	.set _ZN7rocprim17ROCPRIM_400000_NS6detail17trampoline_kernelINS0_14default_configENS1_36segmented_radix_sort_config_selectorIslEEZNS1_25segmented_radix_sort_implIS3_Lb1EPKsPsPKlPlN2at6native12_GLOBAL__N_18offset_tEEE10hipError_tPvRmT1_PNSt15iterator_traitsISK_E10value_typeET2_T3_PNSL_ISQ_E10value_typeET4_jRbjT5_SW_jjP12ihipStream_tbEUlT_E_NS1_11comp_targetILNS1_3genE5ELNS1_11target_archE942ELNS1_3gpuE9ELNS1_3repE0EEENS1_30default_config_static_selectorELNS0_4arch9wavefront6targetE0EEEvSK_.has_dyn_sized_stack, 0
	.set _ZN7rocprim17ROCPRIM_400000_NS6detail17trampoline_kernelINS0_14default_configENS1_36segmented_radix_sort_config_selectorIslEEZNS1_25segmented_radix_sort_implIS3_Lb1EPKsPsPKlPlN2at6native12_GLOBAL__N_18offset_tEEE10hipError_tPvRmT1_PNSt15iterator_traitsISK_E10value_typeET2_T3_PNSL_ISQ_E10value_typeET4_jRbjT5_SW_jjP12ihipStream_tbEUlT_E_NS1_11comp_targetILNS1_3genE5ELNS1_11target_archE942ELNS1_3gpuE9ELNS1_3repE0EEENS1_30default_config_static_selectorELNS0_4arch9wavefront6targetE0EEEvSK_.has_recursion, 0
	.set _ZN7rocprim17ROCPRIM_400000_NS6detail17trampoline_kernelINS0_14default_configENS1_36segmented_radix_sort_config_selectorIslEEZNS1_25segmented_radix_sort_implIS3_Lb1EPKsPsPKlPlN2at6native12_GLOBAL__N_18offset_tEEE10hipError_tPvRmT1_PNSt15iterator_traitsISK_E10value_typeET2_T3_PNSL_ISQ_E10value_typeET4_jRbjT5_SW_jjP12ihipStream_tbEUlT_E_NS1_11comp_targetILNS1_3genE5ELNS1_11target_archE942ELNS1_3gpuE9ELNS1_3repE0EEENS1_30default_config_static_selectorELNS0_4arch9wavefront6targetE0EEEvSK_.has_indirect_call, 0
	.section	.AMDGPU.csdata,"",@progbits
; Kernel info:
; codeLenInByte = 0
; TotalNumSgprs: 0
; NumVgprs: 0
; ScratchSize: 0
; MemoryBound: 0
; FloatMode: 240
; IeeeMode: 1
; LDSByteSize: 0 bytes/workgroup (compile time only)
; SGPRBlocks: 0
; VGPRBlocks: 0
; NumSGPRsForWavesPerEU: 1
; NumVGPRsForWavesPerEU: 1
; Occupancy: 16
; WaveLimiterHint : 0
; COMPUTE_PGM_RSRC2:SCRATCH_EN: 0
; COMPUTE_PGM_RSRC2:USER_SGPR: 6
; COMPUTE_PGM_RSRC2:TRAP_HANDLER: 0
; COMPUTE_PGM_RSRC2:TGID_X_EN: 1
; COMPUTE_PGM_RSRC2:TGID_Y_EN: 0
; COMPUTE_PGM_RSRC2:TGID_Z_EN: 0
; COMPUTE_PGM_RSRC2:TIDIG_COMP_CNT: 0
	.section	.text._ZN7rocprim17ROCPRIM_400000_NS6detail17trampoline_kernelINS0_14default_configENS1_36segmented_radix_sort_config_selectorIslEEZNS1_25segmented_radix_sort_implIS3_Lb1EPKsPsPKlPlN2at6native12_GLOBAL__N_18offset_tEEE10hipError_tPvRmT1_PNSt15iterator_traitsISK_E10value_typeET2_T3_PNSL_ISQ_E10value_typeET4_jRbjT5_SW_jjP12ihipStream_tbEUlT_E_NS1_11comp_targetILNS1_3genE4ELNS1_11target_archE910ELNS1_3gpuE8ELNS1_3repE0EEENS1_30default_config_static_selectorELNS0_4arch9wavefront6targetE0EEEvSK_,"axG",@progbits,_ZN7rocprim17ROCPRIM_400000_NS6detail17trampoline_kernelINS0_14default_configENS1_36segmented_radix_sort_config_selectorIslEEZNS1_25segmented_radix_sort_implIS3_Lb1EPKsPsPKlPlN2at6native12_GLOBAL__N_18offset_tEEE10hipError_tPvRmT1_PNSt15iterator_traitsISK_E10value_typeET2_T3_PNSL_ISQ_E10value_typeET4_jRbjT5_SW_jjP12ihipStream_tbEUlT_E_NS1_11comp_targetILNS1_3genE4ELNS1_11target_archE910ELNS1_3gpuE8ELNS1_3repE0EEENS1_30default_config_static_selectorELNS0_4arch9wavefront6targetE0EEEvSK_,comdat
	.globl	_ZN7rocprim17ROCPRIM_400000_NS6detail17trampoline_kernelINS0_14default_configENS1_36segmented_radix_sort_config_selectorIslEEZNS1_25segmented_radix_sort_implIS3_Lb1EPKsPsPKlPlN2at6native12_GLOBAL__N_18offset_tEEE10hipError_tPvRmT1_PNSt15iterator_traitsISK_E10value_typeET2_T3_PNSL_ISQ_E10value_typeET4_jRbjT5_SW_jjP12ihipStream_tbEUlT_E_NS1_11comp_targetILNS1_3genE4ELNS1_11target_archE910ELNS1_3gpuE8ELNS1_3repE0EEENS1_30default_config_static_selectorELNS0_4arch9wavefront6targetE0EEEvSK_ ; -- Begin function _ZN7rocprim17ROCPRIM_400000_NS6detail17trampoline_kernelINS0_14default_configENS1_36segmented_radix_sort_config_selectorIslEEZNS1_25segmented_radix_sort_implIS3_Lb1EPKsPsPKlPlN2at6native12_GLOBAL__N_18offset_tEEE10hipError_tPvRmT1_PNSt15iterator_traitsISK_E10value_typeET2_T3_PNSL_ISQ_E10value_typeET4_jRbjT5_SW_jjP12ihipStream_tbEUlT_E_NS1_11comp_targetILNS1_3genE4ELNS1_11target_archE910ELNS1_3gpuE8ELNS1_3repE0EEENS1_30default_config_static_selectorELNS0_4arch9wavefront6targetE0EEEvSK_
	.p2align	8
	.type	_ZN7rocprim17ROCPRIM_400000_NS6detail17trampoline_kernelINS0_14default_configENS1_36segmented_radix_sort_config_selectorIslEEZNS1_25segmented_radix_sort_implIS3_Lb1EPKsPsPKlPlN2at6native12_GLOBAL__N_18offset_tEEE10hipError_tPvRmT1_PNSt15iterator_traitsISK_E10value_typeET2_T3_PNSL_ISQ_E10value_typeET4_jRbjT5_SW_jjP12ihipStream_tbEUlT_E_NS1_11comp_targetILNS1_3genE4ELNS1_11target_archE910ELNS1_3gpuE8ELNS1_3repE0EEENS1_30default_config_static_selectorELNS0_4arch9wavefront6targetE0EEEvSK_,@function
_ZN7rocprim17ROCPRIM_400000_NS6detail17trampoline_kernelINS0_14default_configENS1_36segmented_radix_sort_config_selectorIslEEZNS1_25segmented_radix_sort_implIS3_Lb1EPKsPsPKlPlN2at6native12_GLOBAL__N_18offset_tEEE10hipError_tPvRmT1_PNSt15iterator_traitsISK_E10value_typeET2_T3_PNSL_ISQ_E10value_typeET4_jRbjT5_SW_jjP12ihipStream_tbEUlT_E_NS1_11comp_targetILNS1_3genE4ELNS1_11target_archE910ELNS1_3gpuE8ELNS1_3repE0EEENS1_30default_config_static_selectorELNS0_4arch9wavefront6targetE0EEEvSK_: ; @_ZN7rocprim17ROCPRIM_400000_NS6detail17trampoline_kernelINS0_14default_configENS1_36segmented_radix_sort_config_selectorIslEEZNS1_25segmented_radix_sort_implIS3_Lb1EPKsPsPKlPlN2at6native12_GLOBAL__N_18offset_tEEE10hipError_tPvRmT1_PNSt15iterator_traitsISK_E10value_typeET2_T3_PNSL_ISQ_E10value_typeET4_jRbjT5_SW_jjP12ihipStream_tbEUlT_E_NS1_11comp_targetILNS1_3genE4ELNS1_11target_archE910ELNS1_3gpuE8ELNS1_3repE0EEENS1_30default_config_static_selectorELNS0_4arch9wavefront6targetE0EEEvSK_
; %bb.0:
	.section	.rodata,"a",@progbits
	.p2align	6, 0x0
	.amdhsa_kernel _ZN7rocprim17ROCPRIM_400000_NS6detail17trampoline_kernelINS0_14default_configENS1_36segmented_radix_sort_config_selectorIslEEZNS1_25segmented_radix_sort_implIS3_Lb1EPKsPsPKlPlN2at6native12_GLOBAL__N_18offset_tEEE10hipError_tPvRmT1_PNSt15iterator_traitsISK_E10value_typeET2_T3_PNSL_ISQ_E10value_typeET4_jRbjT5_SW_jjP12ihipStream_tbEUlT_E_NS1_11comp_targetILNS1_3genE4ELNS1_11target_archE910ELNS1_3gpuE8ELNS1_3repE0EEENS1_30default_config_static_selectorELNS0_4arch9wavefront6targetE0EEEvSK_
		.amdhsa_group_segment_fixed_size 0
		.amdhsa_private_segment_fixed_size 0
		.amdhsa_kernarg_size 96
		.amdhsa_user_sgpr_count 6
		.amdhsa_user_sgpr_private_segment_buffer 1
		.amdhsa_user_sgpr_dispatch_ptr 0
		.amdhsa_user_sgpr_queue_ptr 0
		.amdhsa_user_sgpr_kernarg_segment_ptr 1
		.amdhsa_user_sgpr_dispatch_id 0
		.amdhsa_user_sgpr_flat_scratch_init 0
		.amdhsa_user_sgpr_private_segment_size 0
		.amdhsa_wavefront_size32 1
		.amdhsa_uses_dynamic_stack 0
		.amdhsa_system_sgpr_private_segment_wavefront_offset 0
		.amdhsa_system_sgpr_workgroup_id_x 1
		.amdhsa_system_sgpr_workgroup_id_y 0
		.amdhsa_system_sgpr_workgroup_id_z 0
		.amdhsa_system_sgpr_workgroup_info 0
		.amdhsa_system_vgpr_workitem_id 0
		.amdhsa_next_free_vgpr 1
		.amdhsa_next_free_sgpr 1
		.amdhsa_reserve_vcc 0
		.amdhsa_reserve_flat_scratch 0
		.amdhsa_float_round_mode_32 0
		.amdhsa_float_round_mode_16_64 0
		.amdhsa_float_denorm_mode_32 3
		.amdhsa_float_denorm_mode_16_64 3
		.amdhsa_dx10_clamp 1
		.amdhsa_ieee_mode 1
		.amdhsa_fp16_overflow 0
		.amdhsa_workgroup_processor_mode 1
		.amdhsa_memory_ordered 1
		.amdhsa_forward_progress 1
		.amdhsa_shared_vgpr_count 0
		.amdhsa_exception_fp_ieee_invalid_op 0
		.amdhsa_exception_fp_denorm_src 0
		.amdhsa_exception_fp_ieee_div_zero 0
		.amdhsa_exception_fp_ieee_overflow 0
		.amdhsa_exception_fp_ieee_underflow 0
		.amdhsa_exception_fp_ieee_inexact 0
		.amdhsa_exception_int_div_zero 0
	.end_amdhsa_kernel
	.section	.text._ZN7rocprim17ROCPRIM_400000_NS6detail17trampoline_kernelINS0_14default_configENS1_36segmented_radix_sort_config_selectorIslEEZNS1_25segmented_radix_sort_implIS3_Lb1EPKsPsPKlPlN2at6native12_GLOBAL__N_18offset_tEEE10hipError_tPvRmT1_PNSt15iterator_traitsISK_E10value_typeET2_T3_PNSL_ISQ_E10value_typeET4_jRbjT5_SW_jjP12ihipStream_tbEUlT_E_NS1_11comp_targetILNS1_3genE4ELNS1_11target_archE910ELNS1_3gpuE8ELNS1_3repE0EEENS1_30default_config_static_selectorELNS0_4arch9wavefront6targetE0EEEvSK_,"axG",@progbits,_ZN7rocprim17ROCPRIM_400000_NS6detail17trampoline_kernelINS0_14default_configENS1_36segmented_radix_sort_config_selectorIslEEZNS1_25segmented_radix_sort_implIS3_Lb1EPKsPsPKlPlN2at6native12_GLOBAL__N_18offset_tEEE10hipError_tPvRmT1_PNSt15iterator_traitsISK_E10value_typeET2_T3_PNSL_ISQ_E10value_typeET4_jRbjT5_SW_jjP12ihipStream_tbEUlT_E_NS1_11comp_targetILNS1_3genE4ELNS1_11target_archE910ELNS1_3gpuE8ELNS1_3repE0EEENS1_30default_config_static_selectorELNS0_4arch9wavefront6targetE0EEEvSK_,comdat
.Lfunc_end907:
	.size	_ZN7rocprim17ROCPRIM_400000_NS6detail17trampoline_kernelINS0_14default_configENS1_36segmented_radix_sort_config_selectorIslEEZNS1_25segmented_radix_sort_implIS3_Lb1EPKsPsPKlPlN2at6native12_GLOBAL__N_18offset_tEEE10hipError_tPvRmT1_PNSt15iterator_traitsISK_E10value_typeET2_T3_PNSL_ISQ_E10value_typeET4_jRbjT5_SW_jjP12ihipStream_tbEUlT_E_NS1_11comp_targetILNS1_3genE4ELNS1_11target_archE910ELNS1_3gpuE8ELNS1_3repE0EEENS1_30default_config_static_selectorELNS0_4arch9wavefront6targetE0EEEvSK_, .Lfunc_end907-_ZN7rocprim17ROCPRIM_400000_NS6detail17trampoline_kernelINS0_14default_configENS1_36segmented_radix_sort_config_selectorIslEEZNS1_25segmented_radix_sort_implIS3_Lb1EPKsPsPKlPlN2at6native12_GLOBAL__N_18offset_tEEE10hipError_tPvRmT1_PNSt15iterator_traitsISK_E10value_typeET2_T3_PNSL_ISQ_E10value_typeET4_jRbjT5_SW_jjP12ihipStream_tbEUlT_E_NS1_11comp_targetILNS1_3genE4ELNS1_11target_archE910ELNS1_3gpuE8ELNS1_3repE0EEENS1_30default_config_static_selectorELNS0_4arch9wavefront6targetE0EEEvSK_
                                        ; -- End function
	.set _ZN7rocprim17ROCPRIM_400000_NS6detail17trampoline_kernelINS0_14default_configENS1_36segmented_radix_sort_config_selectorIslEEZNS1_25segmented_radix_sort_implIS3_Lb1EPKsPsPKlPlN2at6native12_GLOBAL__N_18offset_tEEE10hipError_tPvRmT1_PNSt15iterator_traitsISK_E10value_typeET2_T3_PNSL_ISQ_E10value_typeET4_jRbjT5_SW_jjP12ihipStream_tbEUlT_E_NS1_11comp_targetILNS1_3genE4ELNS1_11target_archE910ELNS1_3gpuE8ELNS1_3repE0EEENS1_30default_config_static_selectorELNS0_4arch9wavefront6targetE0EEEvSK_.num_vgpr, 0
	.set _ZN7rocprim17ROCPRIM_400000_NS6detail17trampoline_kernelINS0_14default_configENS1_36segmented_radix_sort_config_selectorIslEEZNS1_25segmented_radix_sort_implIS3_Lb1EPKsPsPKlPlN2at6native12_GLOBAL__N_18offset_tEEE10hipError_tPvRmT1_PNSt15iterator_traitsISK_E10value_typeET2_T3_PNSL_ISQ_E10value_typeET4_jRbjT5_SW_jjP12ihipStream_tbEUlT_E_NS1_11comp_targetILNS1_3genE4ELNS1_11target_archE910ELNS1_3gpuE8ELNS1_3repE0EEENS1_30default_config_static_selectorELNS0_4arch9wavefront6targetE0EEEvSK_.num_agpr, 0
	.set _ZN7rocprim17ROCPRIM_400000_NS6detail17trampoline_kernelINS0_14default_configENS1_36segmented_radix_sort_config_selectorIslEEZNS1_25segmented_radix_sort_implIS3_Lb1EPKsPsPKlPlN2at6native12_GLOBAL__N_18offset_tEEE10hipError_tPvRmT1_PNSt15iterator_traitsISK_E10value_typeET2_T3_PNSL_ISQ_E10value_typeET4_jRbjT5_SW_jjP12ihipStream_tbEUlT_E_NS1_11comp_targetILNS1_3genE4ELNS1_11target_archE910ELNS1_3gpuE8ELNS1_3repE0EEENS1_30default_config_static_selectorELNS0_4arch9wavefront6targetE0EEEvSK_.numbered_sgpr, 0
	.set _ZN7rocprim17ROCPRIM_400000_NS6detail17trampoline_kernelINS0_14default_configENS1_36segmented_radix_sort_config_selectorIslEEZNS1_25segmented_radix_sort_implIS3_Lb1EPKsPsPKlPlN2at6native12_GLOBAL__N_18offset_tEEE10hipError_tPvRmT1_PNSt15iterator_traitsISK_E10value_typeET2_T3_PNSL_ISQ_E10value_typeET4_jRbjT5_SW_jjP12ihipStream_tbEUlT_E_NS1_11comp_targetILNS1_3genE4ELNS1_11target_archE910ELNS1_3gpuE8ELNS1_3repE0EEENS1_30default_config_static_selectorELNS0_4arch9wavefront6targetE0EEEvSK_.num_named_barrier, 0
	.set _ZN7rocprim17ROCPRIM_400000_NS6detail17trampoline_kernelINS0_14default_configENS1_36segmented_radix_sort_config_selectorIslEEZNS1_25segmented_radix_sort_implIS3_Lb1EPKsPsPKlPlN2at6native12_GLOBAL__N_18offset_tEEE10hipError_tPvRmT1_PNSt15iterator_traitsISK_E10value_typeET2_T3_PNSL_ISQ_E10value_typeET4_jRbjT5_SW_jjP12ihipStream_tbEUlT_E_NS1_11comp_targetILNS1_3genE4ELNS1_11target_archE910ELNS1_3gpuE8ELNS1_3repE0EEENS1_30default_config_static_selectorELNS0_4arch9wavefront6targetE0EEEvSK_.private_seg_size, 0
	.set _ZN7rocprim17ROCPRIM_400000_NS6detail17trampoline_kernelINS0_14default_configENS1_36segmented_radix_sort_config_selectorIslEEZNS1_25segmented_radix_sort_implIS3_Lb1EPKsPsPKlPlN2at6native12_GLOBAL__N_18offset_tEEE10hipError_tPvRmT1_PNSt15iterator_traitsISK_E10value_typeET2_T3_PNSL_ISQ_E10value_typeET4_jRbjT5_SW_jjP12ihipStream_tbEUlT_E_NS1_11comp_targetILNS1_3genE4ELNS1_11target_archE910ELNS1_3gpuE8ELNS1_3repE0EEENS1_30default_config_static_selectorELNS0_4arch9wavefront6targetE0EEEvSK_.uses_vcc, 0
	.set _ZN7rocprim17ROCPRIM_400000_NS6detail17trampoline_kernelINS0_14default_configENS1_36segmented_radix_sort_config_selectorIslEEZNS1_25segmented_radix_sort_implIS3_Lb1EPKsPsPKlPlN2at6native12_GLOBAL__N_18offset_tEEE10hipError_tPvRmT1_PNSt15iterator_traitsISK_E10value_typeET2_T3_PNSL_ISQ_E10value_typeET4_jRbjT5_SW_jjP12ihipStream_tbEUlT_E_NS1_11comp_targetILNS1_3genE4ELNS1_11target_archE910ELNS1_3gpuE8ELNS1_3repE0EEENS1_30default_config_static_selectorELNS0_4arch9wavefront6targetE0EEEvSK_.uses_flat_scratch, 0
	.set _ZN7rocprim17ROCPRIM_400000_NS6detail17trampoline_kernelINS0_14default_configENS1_36segmented_radix_sort_config_selectorIslEEZNS1_25segmented_radix_sort_implIS3_Lb1EPKsPsPKlPlN2at6native12_GLOBAL__N_18offset_tEEE10hipError_tPvRmT1_PNSt15iterator_traitsISK_E10value_typeET2_T3_PNSL_ISQ_E10value_typeET4_jRbjT5_SW_jjP12ihipStream_tbEUlT_E_NS1_11comp_targetILNS1_3genE4ELNS1_11target_archE910ELNS1_3gpuE8ELNS1_3repE0EEENS1_30default_config_static_selectorELNS0_4arch9wavefront6targetE0EEEvSK_.has_dyn_sized_stack, 0
	.set _ZN7rocprim17ROCPRIM_400000_NS6detail17trampoline_kernelINS0_14default_configENS1_36segmented_radix_sort_config_selectorIslEEZNS1_25segmented_radix_sort_implIS3_Lb1EPKsPsPKlPlN2at6native12_GLOBAL__N_18offset_tEEE10hipError_tPvRmT1_PNSt15iterator_traitsISK_E10value_typeET2_T3_PNSL_ISQ_E10value_typeET4_jRbjT5_SW_jjP12ihipStream_tbEUlT_E_NS1_11comp_targetILNS1_3genE4ELNS1_11target_archE910ELNS1_3gpuE8ELNS1_3repE0EEENS1_30default_config_static_selectorELNS0_4arch9wavefront6targetE0EEEvSK_.has_recursion, 0
	.set _ZN7rocprim17ROCPRIM_400000_NS6detail17trampoline_kernelINS0_14default_configENS1_36segmented_radix_sort_config_selectorIslEEZNS1_25segmented_radix_sort_implIS3_Lb1EPKsPsPKlPlN2at6native12_GLOBAL__N_18offset_tEEE10hipError_tPvRmT1_PNSt15iterator_traitsISK_E10value_typeET2_T3_PNSL_ISQ_E10value_typeET4_jRbjT5_SW_jjP12ihipStream_tbEUlT_E_NS1_11comp_targetILNS1_3genE4ELNS1_11target_archE910ELNS1_3gpuE8ELNS1_3repE0EEENS1_30default_config_static_selectorELNS0_4arch9wavefront6targetE0EEEvSK_.has_indirect_call, 0
	.section	.AMDGPU.csdata,"",@progbits
; Kernel info:
; codeLenInByte = 0
; TotalNumSgprs: 0
; NumVgprs: 0
; ScratchSize: 0
; MemoryBound: 0
; FloatMode: 240
; IeeeMode: 1
; LDSByteSize: 0 bytes/workgroup (compile time only)
; SGPRBlocks: 0
; VGPRBlocks: 0
; NumSGPRsForWavesPerEU: 1
; NumVGPRsForWavesPerEU: 1
; Occupancy: 16
; WaveLimiterHint : 0
; COMPUTE_PGM_RSRC2:SCRATCH_EN: 0
; COMPUTE_PGM_RSRC2:USER_SGPR: 6
; COMPUTE_PGM_RSRC2:TRAP_HANDLER: 0
; COMPUTE_PGM_RSRC2:TGID_X_EN: 1
; COMPUTE_PGM_RSRC2:TGID_Y_EN: 0
; COMPUTE_PGM_RSRC2:TGID_Z_EN: 0
; COMPUTE_PGM_RSRC2:TIDIG_COMP_CNT: 0
	.section	.text._ZN7rocprim17ROCPRIM_400000_NS6detail17trampoline_kernelINS0_14default_configENS1_36segmented_radix_sort_config_selectorIslEEZNS1_25segmented_radix_sort_implIS3_Lb1EPKsPsPKlPlN2at6native12_GLOBAL__N_18offset_tEEE10hipError_tPvRmT1_PNSt15iterator_traitsISK_E10value_typeET2_T3_PNSL_ISQ_E10value_typeET4_jRbjT5_SW_jjP12ihipStream_tbEUlT_E_NS1_11comp_targetILNS1_3genE3ELNS1_11target_archE908ELNS1_3gpuE7ELNS1_3repE0EEENS1_30default_config_static_selectorELNS0_4arch9wavefront6targetE0EEEvSK_,"axG",@progbits,_ZN7rocprim17ROCPRIM_400000_NS6detail17trampoline_kernelINS0_14default_configENS1_36segmented_radix_sort_config_selectorIslEEZNS1_25segmented_radix_sort_implIS3_Lb1EPKsPsPKlPlN2at6native12_GLOBAL__N_18offset_tEEE10hipError_tPvRmT1_PNSt15iterator_traitsISK_E10value_typeET2_T3_PNSL_ISQ_E10value_typeET4_jRbjT5_SW_jjP12ihipStream_tbEUlT_E_NS1_11comp_targetILNS1_3genE3ELNS1_11target_archE908ELNS1_3gpuE7ELNS1_3repE0EEENS1_30default_config_static_selectorELNS0_4arch9wavefront6targetE0EEEvSK_,comdat
	.globl	_ZN7rocprim17ROCPRIM_400000_NS6detail17trampoline_kernelINS0_14default_configENS1_36segmented_radix_sort_config_selectorIslEEZNS1_25segmented_radix_sort_implIS3_Lb1EPKsPsPKlPlN2at6native12_GLOBAL__N_18offset_tEEE10hipError_tPvRmT1_PNSt15iterator_traitsISK_E10value_typeET2_T3_PNSL_ISQ_E10value_typeET4_jRbjT5_SW_jjP12ihipStream_tbEUlT_E_NS1_11comp_targetILNS1_3genE3ELNS1_11target_archE908ELNS1_3gpuE7ELNS1_3repE0EEENS1_30default_config_static_selectorELNS0_4arch9wavefront6targetE0EEEvSK_ ; -- Begin function _ZN7rocprim17ROCPRIM_400000_NS6detail17trampoline_kernelINS0_14default_configENS1_36segmented_radix_sort_config_selectorIslEEZNS1_25segmented_radix_sort_implIS3_Lb1EPKsPsPKlPlN2at6native12_GLOBAL__N_18offset_tEEE10hipError_tPvRmT1_PNSt15iterator_traitsISK_E10value_typeET2_T3_PNSL_ISQ_E10value_typeET4_jRbjT5_SW_jjP12ihipStream_tbEUlT_E_NS1_11comp_targetILNS1_3genE3ELNS1_11target_archE908ELNS1_3gpuE7ELNS1_3repE0EEENS1_30default_config_static_selectorELNS0_4arch9wavefront6targetE0EEEvSK_
	.p2align	8
	.type	_ZN7rocprim17ROCPRIM_400000_NS6detail17trampoline_kernelINS0_14default_configENS1_36segmented_radix_sort_config_selectorIslEEZNS1_25segmented_radix_sort_implIS3_Lb1EPKsPsPKlPlN2at6native12_GLOBAL__N_18offset_tEEE10hipError_tPvRmT1_PNSt15iterator_traitsISK_E10value_typeET2_T3_PNSL_ISQ_E10value_typeET4_jRbjT5_SW_jjP12ihipStream_tbEUlT_E_NS1_11comp_targetILNS1_3genE3ELNS1_11target_archE908ELNS1_3gpuE7ELNS1_3repE0EEENS1_30default_config_static_selectorELNS0_4arch9wavefront6targetE0EEEvSK_,@function
_ZN7rocprim17ROCPRIM_400000_NS6detail17trampoline_kernelINS0_14default_configENS1_36segmented_radix_sort_config_selectorIslEEZNS1_25segmented_radix_sort_implIS3_Lb1EPKsPsPKlPlN2at6native12_GLOBAL__N_18offset_tEEE10hipError_tPvRmT1_PNSt15iterator_traitsISK_E10value_typeET2_T3_PNSL_ISQ_E10value_typeET4_jRbjT5_SW_jjP12ihipStream_tbEUlT_E_NS1_11comp_targetILNS1_3genE3ELNS1_11target_archE908ELNS1_3gpuE7ELNS1_3repE0EEENS1_30default_config_static_selectorELNS0_4arch9wavefront6targetE0EEEvSK_: ; @_ZN7rocprim17ROCPRIM_400000_NS6detail17trampoline_kernelINS0_14default_configENS1_36segmented_radix_sort_config_selectorIslEEZNS1_25segmented_radix_sort_implIS3_Lb1EPKsPsPKlPlN2at6native12_GLOBAL__N_18offset_tEEE10hipError_tPvRmT1_PNSt15iterator_traitsISK_E10value_typeET2_T3_PNSL_ISQ_E10value_typeET4_jRbjT5_SW_jjP12ihipStream_tbEUlT_E_NS1_11comp_targetILNS1_3genE3ELNS1_11target_archE908ELNS1_3gpuE7ELNS1_3repE0EEENS1_30default_config_static_selectorELNS0_4arch9wavefront6targetE0EEEvSK_
; %bb.0:
	.section	.rodata,"a",@progbits
	.p2align	6, 0x0
	.amdhsa_kernel _ZN7rocprim17ROCPRIM_400000_NS6detail17trampoline_kernelINS0_14default_configENS1_36segmented_radix_sort_config_selectorIslEEZNS1_25segmented_radix_sort_implIS3_Lb1EPKsPsPKlPlN2at6native12_GLOBAL__N_18offset_tEEE10hipError_tPvRmT1_PNSt15iterator_traitsISK_E10value_typeET2_T3_PNSL_ISQ_E10value_typeET4_jRbjT5_SW_jjP12ihipStream_tbEUlT_E_NS1_11comp_targetILNS1_3genE3ELNS1_11target_archE908ELNS1_3gpuE7ELNS1_3repE0EEENS1_30default_config_static_selectorELNS0_4arch9wavefront6targetE0EEEvSK_
		.amdhsa_group_segment_fixed_size 0
		.amdhsa_private_segment_fixed_size 0
		.amdhsa_kernarg_size 96
		.amdhsa_user_sgpr_count 6
		.amdhsa_user_sgpr_private_segment_buffer 1
		.amdhsa_user_sgpr_dispatch_ptr 0
		.amdhsa_user_sgpr_queue_ptr 0
		.amdhsa_user_sgpr_kernarg_segment_ptr 1
		.amdhsa_user_sgpr_dispatch_id 0
		.amdhsa_user_sgpr_flat_scratch_init 0
		.amdhsa_user_sgpr_private_segment_size 0
		.amdhsa_wavefront_size32 1
		.amdhsa_uses_dynamic_stack 0
		.amdhsa_system_sgpr_private_segment_wavefront_offset 0
		.amdhsa_system_sgpr_workgroup_id_x 1
		.amdhsa_system_sgpr_workgroup_id_y 0
		.amdhsa_system_sgpr_workgroup_id_z 0
		.amdhsa_system_sgpr_workgroup_info 0
		.amdhsa_system_vgpr_workitem_id 0
		.amdhsa_next_free_vgpr 1
		.amdhsa_next_free_sgpr 1
		.amdhsa_reserve_vcc 0
		.amdhsa_reserve_flat_scratch 0
		.amdhsa_float_round_mode_32 0
		.amdhsa_float_round_mode_16_64 0
		.amdhsa_float_denorm_mode_32 3
		.amdhsa_float_denorm_mode_16_64 3
		.amdhsa_dx10_clamp 1
		.amdhsa_ieee_mode 1
		.amdhsa_fp16_overflow 0
		.amdhsa_workgroup_processor_mode 1
		.amdhsa_memory_ordered 1
		.amdhsa_forward_progress 1
		.amdhsa_shared_vgpr_count 0
		.amdhsa_exception_fp_ieee_invalid_op 0
		.amdhsa_exception_fp_denorm_src 0
		.amdhsa_exception_fp_ieee_div_zero 0
		.amdhsa_exception_fp_ieee_overflow 0
		.amdhsa_exception_fp_ieee_underflow 0
		.amdhsa_exception_fp_ieee_inexact 0
		.amdhsa_exception_int_div_zero 0
	.end_amdhsa_kernel
	.section	.text._ZN7rocprim17ROCPRIM_400000_NS6detail17trampoline_kernelINS0_14default_configENS1_36segmented_radix_sort_config_selectorIslEEZNS1_25segmented_radix_sort_implIS3_Lb1EPKsPsPKlPlN2at6native12_GLOBAL__N_18offset_tEEE10hipError_tPvRmT1_PNSt15iterator_traitsISK_E10value_typeET2_T3_PNSL_ISQ_E10value_typeET4_jRbjT5_SW_jjP12ihipStream_tbEUlT_E_NS1_11comp_targetILNS1_3genE3ELNS1_11target_archE908ELNS1_3gpuE7ELNS1_3repE0EEENS1_30default_config_static_selectorELNS0_4arch9wavefront6targetE0EEEvSK_,"axG",@progbits,_ZN7rocprim17ROCPRIM_400000_NS6detail17trampoline_kernelINS0_14default_configENS1_36segmented_radix_sort_config_selectorIslEEZNS1_25segmented_radix_sort_implIS3_Lb1EPKsPsPKlPlN2at6native12_GLOBAL__N_18offset_tEEE10hipError_tPvRmT1_PNSt15iterator_traitsISK_E10value_typeET2_T3_PNSL_ISQ_E10value_typeET4_jRbjT5_SW_jjP12ihipStream_tbEUlT_E_NS1_11comp_targetILNS1_3genE3ELNS1_11target_archE908ELNS1_3gpuE7ELNS1_3repE0EEENS1_30default_config_static_selectorELNS0_4arch9wavefront6targetE0EEEvSK_,comdat
.Lfunc_end908:
	.size	_ZN7rocprim17ROCPRIM_400000_NS6detail17trampoline_kernelINS0_14default_configENS1_36segmented_radix_sort_config_selectorIslEEZNS1_25segmented_radix_sort_implIS3_Lb1EPKsPsPKlPlN2at6native12_GLOBAL__N_18offset_tEEE10hipError_tPvRmT1_PNSt15iterator_traitsISK_E10value_typeET2_T3_PNSL_ISQ_E10value_typeET4_jRbjT5_SW_jjP12ihipStream_tbEUlT_E_NS1_11comp_targetILNS1_3genE3ELNS1_11target_archE908ELNS1_3gpuE7ELNS1_3repE0EEENS1_30default_config_static_selectorELNS0_4arch9wavefront6targetE0EEEvSK_, .Lfunc_end908-_ZN7rocprim17ROCPRIM_400000_NS6detail17trampoline_kernelINS0_14default_configENS1_36segmented_radix_sort_config_selectorIslEEZNS1_25segmented_radix_sort_implIS3_Lb1EPKsPsPKlPlN2at6native12_GLOBAL__N_18offset_tEEE10hipError_tPvRmT1_PNSt15iterator_traitsISK_E10value_typeET2_T3_PNSL_ISQ_E10value_typeET4_jRbjT5_SW_jjP12ihipStream_tbEUlT_E_NS1_11comp_targetILNS1_3genE3ELNS1_11target_archE908ELNS1_3gpuE7ELNS1_3repE0EEENS1_30default_config_static_selectorELNS0_4arch9wavefront6targetE0EEEvSK_
                                        ; -- End function
	.set _ZN7rocprim17ROCPRIM_400000_NS6detail17trampoline_kernelINS0_14default_configENS1_36segmented_radix_sort_config_selectorIslEEZNS1_25segmented_radix_sort_implIS3_Lb1EPKsPsPKlPlN2at6native12_GLOBAL__N_18offset_tEEE10hipError_tPvRmT1_PNSt15iterator_traitsISK_E10value_typeET2_T3_PNSL_ISQ_E10value_typeET4_jRbjT5_SW_jjP12ihipStream_tbEUlT_E_NS1_11comp_targetILNS1_3genE3ELNS1_11target_archE908ELNS1_3gpuE7ELNS1_3repE0EEENS1_30default_config_static_selectorELNS0_4arch9wavefront6targetE0EEEvSK_.num_vgpr, 0
	.set _ZN7rocprim17ROCPRIM_400000_NS6detail17trampoline_kernelINS0_14default_configENS1_36segmented_radix_sort_config_selectorIslEEZNS1_25segmented_radix_sort_implIS3_Lb1EPKsPsPKlPlN2at6native12_GLOBAL__N_18offset_tEEE10hipError_tPvRmT1_PNSt15iterator_traitsISK_E10value_typeET2_T3_PNSL_ISQ_E10value_typeET4_jRbjT5_SW_jjP12ihipStream_tbEUlT_E_NS1_11comp_targetILNS1_3genE3ELNS1_11target_archE908ELNS1_3gpuE7ELNS1_3repE0EEENS1_30default_config_static_selectorELNS0_4arch9wavefront6targetE0EEEvSK_.num_agpr, 0
	.set _ZN7rocprim17ROCPRIM_400000_NS6detail17trampoline_kernelINS0_14default_configENS1_36segmented_radix_sort_config_selectorIslEEZNS1_25segmented_radix_sort_implIS3_Lb1EPKsPsPKlPlN2at6native12_GLOBAL__N_18offset_tEEE10hipError_tPvRmT1_PNSt15iterator_traitsISK_E10value_typeET2_T3_PNSL_ISQ_E10value_typeET4_jRbjT5_SW_jjP12ihipStream_tbEUlT_E_NS1_11comp_targetILNS1_3genE3ELNS1_11target_archE908ELNS1_3gpuE7ELNS1_3repE0EEENS1_30default_config_static_selectorELNS0_4arch9wavefront6targetE0EEEvSK_.numbered_sgpr, 0
	.set _ZN7rocprim17ROCPRIM_400000_NS6detail17trampoline_kernelINS0_14default_configENS1_36segmented_radix_sort_config_selectorIslEEZNS1_25segmented_radix_sort_implIS3_Lb1EPKsPsPKlPlN2at6native12_GLOBAL__N_18offset_tEEE10hipError_tPvRmT1_PNSt15iterator_traitsISK_E10value_typeET2_T3_PNSL_ISQ_E10value_typeET4_jRbjT5_SW_jjP12ihipStream_tbEUlT_E_NS1_11comp_targetILNS1_3genE3ELNS1_11target_archE908ELNS1_3gpuE7ELNS1_3repE0EEENS1_30default_config_static_selectorELNS0_4arch9wavefront6targetE0EEEvSK_.num_named_barrier, 0
	.set _ZN7rocprim17ROCPRIM_400000_NS6detail17trampoline_kernelINS0_14default_configENS1_36segmented_radix_sort_config_selectorIslEEZNS1_25segmented_radix_sort_implIS3_Lb1EPKsPsPKlPlN2at6native12_GLOBAL__N_18offset_tEEE10hipError_tPvRmT1_PNSt15iterator_traitsISK_E10value_typeET2_T3_PNSL_ISQ_E10value_typeET4_jRbjT5_SW_jjP12ihipStream_tbEUlT_E_NS1_11comp_targetILNS1_3genE3ELNS1_11target_archE908ELNS1_3gpuE7ELNS1_3repE0EEENS1_30default_config_static_selectorELNS0_4arch9wavefront6targetE0EEEvSK_.private_seg_size, 0
	.set _ZN7rocprim17ROCPRIM_400000_NS6detail17trampoline_kernelINS0_14default_configENS1_36segmented_radix_sort_config_selectorIslEEZNS1_25segmented_radix_sort_implIS3_Lb1EPKsPsPKlPlN2at6native12_GLOBAL__N_18offset_tEEE10hipError_tPvRmT1_PNSt15iterator_traitsISK_E10value_typeET2_T3_PNSL_ISQ_E10value_typeET4_jRbjT5_SW_jjP12ihipStream_tbEUlT_E_NS1_11comp_targetILNS1_3genE3ELNS1_11target_archE908ELNS1_3gpuE7ELNS1_3repE0EEENS1_30default_config_static_selectorELNS0_4arch9wavefront6targetE0EEEvSK_.uses_vcc, 0
	.set _ZN7rocprim17ROCPRIM_400000_NS6detail17trampoline_kernelINS0_14default_configENS1_36segmented_radix_sort_config_selectorIslEEZNS1_25segmented_radix_sort_implIS3_Lb1EPKsPsPKlPlN2at6native12_GLOBAL__N_18offset_tEEE10hipError_tPvRmT1_PNSt15iterator_traitsISK_E10value_typeET2_T3_PNSL_ISQ_E10value_typeET4_jRbjT5_SW_jjP12ihipStream_tbEUlT_E_NS1_11comp_targetILNS1_3genE3ELNS1_11target_archE908ELNS1_3gpuE7ELNS1_3repE0EEENS1_30default_config_static_selectorELNS0_4arch9wavefront6targetE0EEEvSK_.uses_flat_scratch, 0
	.set _ZN7rocprim17ROCPRIM_400000_NS6detail17trampoline_kernelINS0_14default_configENS1_36segmented_radix_sort_config_selectorIslEEZNS1_25segmented_radix_sort_implIS3_Lb1EPKsPsPKlPlN2at6native12_GLOBAL__N_18offset_tEEE10hipError_tPvRmT1_PNSt15iterator_traitsISK_E10value_typeET2_T3_PNSL_ISQ_E10value_typeET4_jRbjT5_SW_jjP12ihipStream_tbEUlT_E_NS1_11comp_targetILNS1_3genE3ELNS1_11target_archE908ELNS1_3gpuE7ELNS1_3repE0EEENS1_30default_config_static_selectorELNS0_4arch9wavefront6targetE0EEEvSK_.has_dyn_sized_stack, 0
	.set _ZN7rocprim17ROCPRIM_400000_NS6detail17trampoline_kernelINS0_14default_configENS1_36segmented_radix_sort_config_selectorIslEEZNS1_25segmented_radix_sort_implIS3_Lb1EPKsPsPKlPlN2at6native12_GLOBAL__N_18offset_tEEE10hipError_tPvRmT1_PNSt15iterator_traitsISK_E10value_typeET2_T3_PNSL_ISQ_E10value_typeET4_jRbjT5_SW_jjP12ihipStream_tbEUlT_E_NS1_11comp_targetILNS1_3genE3ELNS1_11target_archE908ELNS1_3gpuE7ELNS1_3repE0EEENS1_30default_config_static_selectorELNS0_4arch9wavefront6targetE0EEEvSK_.has_recursion, 0
	.set _ZN7rocprim17ROCPRIM_400000_NS6detail17trampoline_kernelINS0_14default_configENS1_36segmented_radix_sort_config_selectorIslEEZNS1_25segmented_radix_sort_implIS3_Lb1EPKsPsPKlPlN2at6native12_GLOBAL__N_18offset_tEEE10hipError_tPvRmT1_PNSt15iterator_traitsISK_E10value_typeET2_T3_PNSL_ISQ_E10value_typeET4_jRbjT5_SW_jjP12ihipStream_tbEUlT_E_NS1_11comp_targetILNS1_3genE3ELNS1_11target_archE908ELNS1_3gpuE7ELNS1_3repE0EEENS1_30default_config_static_selectorELNS0_4arch9wavefront6targetE0EEEvSK_.has_indirect_call, 0
	.section	.AMDGPU.csdata,"",@progbits
; Kernel info:
; codeLenInByte = 0
; TotalNumSgprs: 0
; NumVgprs: 0
; ScratchSize: 0
; MemoryBound: 0
; FloatMode: 240
; IeeeMode: 1
; LDSByteSize: 0 bytes/workgroup (compile time only)
; SGPRBlocks: 0
; VGPRBlocks: 0
; NumSGPRsForWavesPerEU: 1
; NumVGPRsForWavesPerEU: 1
; Occupancy: 16
; WaveLimiterHint : 0
; COMPUTE_PGM_RSRC2:SCRATCH_EN: 0
; COMPUTE_PGM_RSRC2:USER_SGPR: 6
; COMPUTE_PGM_RSRC2:TRAP_HANDLER: 0
; COMPUTE_PGM_RSRC2:TGID_X_EN: 1
; COMPUTE_PGM_RSRC2:TGID_Y_EN: 0
; COMPUTE_PGM_RSRC2:TGID_Z_EN: 0
; COMPUTE_PGM_RSRC2:TIDIG_COMP_CNT: 0
	.section	.text._ZN7rocprim17ROCPRIM_400000_NS6detail17trampoline_kernelINS0_14default_configENS1_36segmented_radix_sort_config_selectorIslEEZNS1_25segmented_radix_sort_implIS3_Lb1EPKsPsPKlPlN2at6native12_GLOBAL__N_18offset_tEEE10hipError_tPvRmT1_PNSt15iterator_traitsISK_E10value_typeET2_T3_PNSL_ISQ_E10value_typeET4_jRbjT5_SW_jjP12ihipStream_tbEUlT_E_NS1_11comp_targetILNS1_3genE2ELNS1_11target_archE906ELNS1_3gpuE6ELNS1_3repE0EEENS1_30default_config_static_selectorELNS0_4arch9wavefront6targetE0EEEvSK_,"axG",@progbits,_ZN7rocprim17ROCPRIM_400000_NS6detail17trampoline_kernelINS0_14default_configENS1_36segmented_radix_sort_config_selectorIslEEZNS1_25segmented_radix_sort_implIS3_Lb1EPKsPsPKlPlN2at6native12_GLOBAL__N_18offset_tEEE10hipError_tPvRmT1_PNSt15iterator_traitsISK_E10value_typeET2_T3_PNSL_ISQ_E10value_typeET4_jRbjT5_SW_jjP12ihipStream_tbEUlT_E_NS1_11comp_targetILNS1_3genE2ELNS1_11target_archE906ELNS1_3gpuE6ELNS1_3repE0EEENS1_30default_config_static_selectorELNS0_4arch9wavefront6targetE0EEEvSK_,comdat
	.globl	_ZN7rocprim17ROCPRIM_400000_NS6detail17trampoline_kernelINS0_14default_configENS1_36segmented_radix_sort_config_selectorIslEEZNS1_25segmented_radix_sort_implIS3_Lb1EPKsPsPKlPlN2at6native12_GLOBAL__N_18offset_tEEE10hipError_tPvRmT1_PNSt15iterator_traitsISK_E10value_typeET2_T3_PNSL_ISQ_E10value_typeET4_jRbjT5_SW_jjP12ihipStream_tbEUlT_E_NS1_11comp_targetILNS1_3genE2ELNS1_11target_archE906ELNS1_3gpuE6ELNS1_3repE0EEENS1_30default_config_static_selectorELNS0_4arch9wavefront6targetE0EEEvSK_ ; -- Begin function _ZN7rocprim17ROCPRIM_400000_NS6detail17trampoline_kernelINS0_14default_configENS1_36segmented_radix_sort_config_selectorIslEEZNS1_25segmented_radix_sort_implIS3_Lb1EPKsPsPKlPlN2at6native12_GLOBAL__N_18offset_tEEE10hipError_tPvRmT1_PNSt15iterator_traitsISK_E10value_typeET2_T3_PNSL_ISQ_E10value_typeET4_jRbjT5_SW_jjP12ihipStream_tbEUlT_E_NS1_11comp_targetILNS1_3genE2ELNS1_11target_archE906ELNS1_3gpuE6ELNS1_3repE0EEENS1_30default_config_static_selectorELNS0_4arch9wavefront6targetE0EEEvSK_
	.p2align	8
	.type	_ZN7rocprim17ROCPRIM_400000_NS6detail17trampoline_kernelINS0_14default_configENS1_36segmented_radix_sort_config_selectorIslEEZNS1_25segmented_radix_sort_implIS3_Lb1EPKsPsPKlPlN2at6native12_GLOBAL__N_18offset_tEEE10hipError_tPvRmT1_PNSt15iterator_traitsISK_E10value_typeET2_T3_PNSL_ISQ_E10value_typeET4_jRbjT5_SW_jjP12ihipStream_tbEUlT_E_NS1_11comp_targetILNS1_3genE2ELNS1_11target_archE906ELNS1_3gpuE6ELNS1_3repE0EEENS1_30default_config_static_selectorELNS0_4arch9wavefront6targetE0EEEvSK_,@function
_ZN7rocprim17ROCPRIM_400000_NS6detail17trampoline_kernelINS0_14default_configENS1_36segmented_radix_sort_config_selectorIslEEZNS1_25segmented_radix_sort_implIS3_Lb1EPKsPsPKlPlN2at6native12_GLOBAL__N_18offset_tEEE10hipError_tPvRmT1_PNSt15iterator_traitsISK_E10value_typeET2_T3_PNSL_ISQ_E10value_typeET4_jRbjT5_SW_jjP12ihipStream_tbEUlT_E_NS1_11comp_targetILNS1_3genE2ELNS1_11target_archE906ELNS1_3gpuE6ELNS1_3repE0EEENS1_30default_config_static_selectorELNS0_4arch9wavefront6targetE0EEEvSK_: ; @_ZN7rocprim17ROCPRIM_400000_NS6detail17trampoline_kernelINS0_14default_configENS1_36segmented_radix_sort_config_selectorIslEEZNS1_25segmented_radix_sort_implIS3_Lb1EPKsPsPKlPlN2at6native12_GLOBAL__N_18offset_tEEE10hipError_tPvRmT1_PNSt15iterator_traitsISK_E10value_typeET2_T3_PNSL_ISQ_E10value_typeET4_jRbjT5_SW_jjP12ihipStream_tbEUlT_E_NS1_11comp_targetILNS1_3genE2ELNS1_11target_archE906ELNS1_3gpuE6ELNS1_3repE0EEENS1_30default_config_static_selectorELNS0_4arch9wavefront6targetE0EEEvSK_
; %bb.0:
	.section	.rodata,"a",@progbits
	.p2align	6, 0x0
	.amdhsa_kernel _ZN7rocprim17ROCPRIM_400000_NS6detail17trampoline_kernelINS0_14default_configENS1_36segmented_radix_sort_config_selectorIslEEZNS1_25segmented_radix_sort_implIS3_Lb1EPKsPsPKlPlN2at6native12_GLOBAL__N_18offset_tEEE10hipError_tPvRmT1_PNSt15iterator_traitsISK_E10value_typeET2_T3_PNSL_ISQ_E10value_typeET4_jRbjT5_SW_jjP12ihipStream_tbEUlT_E_NS1_11comp_targetILNS1_3genE2ELNS1_11target_archE906ELNS1_3gpuE6ELNS1_3repE0EEENS1_30default_config_static_selectorELNS0_4arch9wavefront6targetE0EEEvSK_
		.amdhsa_group_segment_fixed_size 0
		.amdhsa_private_segment_fixed_size 0
		.amdhsa_kernarg_size 96
		.amdhsa_user_sgpr_count 6
		.amdhsa_user_sgpr_private_segment_buffer 1
		.amdhsa_user_sgpr_dispatch_ptr 0
		.amdhsa_user_sgpr_queue_ptr 0
		.amdhsa_user_sgpr_kernarg_segment_ptr 1
		.amdhsa_user_sgpr_dispatch_id 0
		.amdhsa_user_sgpr_flat_scratch_init 0
		.amdhsa_user_sgpr_private_segment_size 0
		.amdhsa_wavefront_size32 1
		.amdhsa_uses_dynamic_stack 0
		.amdhsa_system_sgpr_private_segment_wavefront_offset 0
		.amdhsa_system_sgpr_workgroup_id_x 1
		.amdhsa_system_sgpr_workgroup_id_y 0
		.amdhsa_system_sgpr_workgroup_id_z 0
		.amdhsa_system_sgpr_workgroup_info 0
		.amdhsa_system_vgpr_workitem_id 0
		.amdhsa_next_free_vgpr 1
		.amdhsa_next_free_sgpr 1
		.amdhsa_reserve_vcc 0
		.amdhsa_reserve_flat_scratch 0
		.amdhsa_float_round_mode_32 0
		.amdhsa_float_round_mode_16_64 0
		.amdhsa_float_denorm_mode_32 3
		.amdhsa_float_denorm_mode_16_64 3
		.amdhsa_dx10_clamp 1
		.amdhsa_ieee_mode 1
		.amdhsa_fp16_overflow 0
		.amdhsa_workgroup_processor_mode 1
		.amdhsa_memory_ordered 1
		.amdhsa_forward_progress 1
		.amdhsa_shared_vgpr_count 0
		.amdhsa_exception_fp_ieee_invalid_op 0
		.amdhsa_exception_fp_denorm_src 0
		.amdhsa_exception_fp_ieee_div_zero 0
		.amdhsa_exception_fp_ieee_overflow 0
		.amdhsa_exception_fp_ieee_underflow 0
		.amdhsa_exception_fp_ieee_inexact 0
		.amdhsa_exception_int_div_zero 0
	.end_amdhsa_kernel
	.section	.text._ZN7rocprim17ROCPRIM_400000_NS6detail17trampoline_kernelINS0_14default_configENS1_36segmented_radix_sort_config_selectorIslEEZNS1_25segmented_radix_sort_implIS3_Lb1EPKsPsPKlPlN2at6native12_GLOBAL__N_18offset_tEEE10hipError_tPvRmT1_PNSt15iterator_traitsISK_E10value_typeET2_T3_PNSL_ISQ_E10value_typeET4_jRbjT5_SW_jjP12ihipStream_tbEUlT_E_NS1_11comp_targetILNS1_3genE2ELNS1_11target_archE906ELNS1_3gpuE6ELNS1_3repE0EEENS1_30default_config_static_selectorELNS0_4arch9wavefront6targetE0EEEvSK_,"axG",@progbits,_ZN7rocprim17ROCPRIM_400000_NS6detail17trampoline_kernelINS0_14default_configENS1_36segmented_radix_sort_config_selectorIslEEZNS1_25segmented_radix_sort_implIS3_Lb1EPKsPsPKlPlN2at6native12_GLOBAL__N_18offset_tEEE10hipError_tPvRmT1_PNSt15iterator_traitsISK_E10value_typeET2_T3_PNSL_ISQ_E10value_typeET4_jRbjT5_SW_jjP12ihipStream_tbEUlT_E_NS1_11comp_targetILNS1_3genE2ELNS1_11target_archE906ELNS1_3gpuE6ELNS1_3repE0EEENS1_30default_config_static_selectorELNS0_4arch9wavefront6targetE0EEEvSK_,comdat
.Lfunc_end909:
	.size	_ZN7rocprim17ROCPRIM_400000_NS6detail17trampoline_kernelINS0_14default_configENS1_36segmented_radix_sort_config_selectorIslEEZNS1_25segmented_radix_sort_implIS3_Lb1EPKsPsPKlPlN2at6native12_GLOBAL__N_18offset_tEEE10hipError_tPvRmT1_PNSt15iterator_traitsISK_E10value_typeET2_T3_PNSL_ISQ_E10value_typeET4_jRbjT5_SW_jjP12ihipStream_tbEUlT_E_NS1_11comp_targetILNS1_3genE2ELNS1_11target_archE906ELNS1_3gpuE6ELNS1_3repE0EEENS1_30default_config_static_selectorELNS0_4arch9wavefront6targetE0EEEvSK_, .Lfunc_end909-_ZN7rocprim17ROCPRIM_400000_NS6detail17trampoline_kernelINS0_14default_configENS1_36segmented_radix_sort_config_selectorIslEEZNS1_25segmented_radix_sort_implIS3_Lb1EPKsPsPKlPlN2at6native12_GLOBAL__N_18offset_tEEE10hipError_tPvRmT1_PNSt15iterator_traitsISK_E10value_typeET2_T3_PNSL_ISQ_E10value_typeET4_jRbjT5_SW_jjP12ihipStream_tbEUlT_E_NS1_11comp_targetILNS1_3genE2ELNS1_11target_archE906ELNS1_3gpuE6ELNS1_3repE0EEENS1_30default_config_static_selectorELNS0_4arch9wavefront6targetE0EEEvSK_
                                        ; -- End function
	.set _ZN7rocprim17ROCPRIM_400000_NS6detail17trampoline_kernelINS0_14default_configENS1_36segmented_radix_sort_config_selectorIslEEZNS1_25segmented_radix_sort_implIS3_Lb1EPKsPsPKlPlN2at6native12_GLOBAL__N_18offset_tEEE10hipError_tPvRmT1_PNSt15iterator_traitsISK_E10value_typeET2_T3_PNSL_ISQ_E10value_typeET4_jRbjT5_SW_jjP12ihipStream_tbEUlT_E_NS1_11comp_targetILNS1_3genE2ELNS1_11target_archE906ELNS1_3gpuE6ELNS1_3repE0EEENS1_30default_config_static_selectorELNS0_4arch9wavefront6targetE0EEEvSK_.num_vgpr, 0
	.set _ZN7rocprim17ROCPRIM_400000_NS6detail17trampoline_kernelINS0_14default_configENS1_36segmented_radix_sort_config_selectorIslEEZNS1_25segmented_radix_sort_implIS3_Lb1EPKsPsPKlPlN2at6native12_GLOBAL__N_18offset_tEEE10hipError_tPvRmT1_PNSt15iterator_traitsISK_E10value_typeET2_T3_PNSL_ISQ_E10value_typeET4_jRbjT5_SW_jjP12ihipStream_tbEUlT_E_NS1_11comp_targetILNS1_3genE2ELNS1_11target_archE906ELNS1_3gpuE6ELNS1_3repE0EEENS1_30default_config_static_selectorELNS0_4arch9wavefront6targetE0EEEvSK_.num_agpr, 0
	.set _ZN7rocprim17ROCPRIM_400000_NS6detail17trampoline_kernelINS0_14default_configENS1_36segmented_radix_sort_config_selectorIslEEZNS1_25segmented_radix_sort_implIS3_Lb1EPKsPsPKlPlN2at6native12_GLOBAL__N_18offset_tEEE10hipError_tPvRmT1_PNSt15iterator_traitsISK_E10value_typeET2_T3_PNSL_ISQ_E10value_typeET4_jRbjT5_SW_jjP12ihipStream_tbEUlT_E_NS1_11comp_targetILNS1_3genE2ELNS1_11target_archE906ELNS1_3gpuE6ELNS1_3repE0EEENS1_30default_config_static_selectorELNS0_4arch9wavefront6targetE0EEEvSK_.numbered_sgpr, 0
	.set _ZN7rocprim17ROCPRIM_400000_NS6detail17trampoline_kernelINS0_14default_configENS1_36segmented_radix_sort_config_selectorIslEEZNS1_25segmented_radix_sort_implIS3_Lb1EPKsPsPKlPlN2at6native12_GLOBAL__N_18offset_tEEE10hipError_tPvRmT1_PNSt15iterator_traitsISK_E10value_typeET2_T3_PNSL_ISQ_E10value_typeET4_jRbjT5_SW_jjP12ihipStream_tbEUlT_E_NS1_11comp_targetILNS1_3genE2ELNS1_11target_archE906ELNS1_3gpuE6ELNS1_3repE0EEENS1_30default_config_static_selectorELNS0_4arch9wavefront6targetE0EEEvSK_.num_named_barrier, 0
	.set _ZN7rocprim17ROCPRIM_400000_NS6detail17trampoline_kernelINS0_14default_configENS1_36segmented_radix_sort_config_selectorIslEEZNS1_25segmented_radix_sort_implIS3_Lb1EPKsPsPKlPlN2at6native12_GLOBAL__N_18offset_tEEE10hipError_tPvRmT1_PNSt15iterator_traitsISK_E10value_typeET2_T3_PNSL_ISQ_E10value_typeET4_jRbjT5_SW_jjP12ihipStream_tbEUlT_E_NS1_11comp_targetILNS1_3genE2ELNS1_11target_archE906ELNS1_3gpuE6ELNS1_3repE0EEENS1_30default_config_static_selectorELNS0_4arch9wavefront6targetE0EEEvSK_.private_seg_size, 0
	.set _ZN7rocprim17ROCPRIM_400000_NS6detail17trampoline_kernelINS0_14default_configENS1_36segmented_radix_sort_config_selectorIslEEZNS1_25segmented_radix_sort_implIS3_Lb1EPKsPsPKlPlN2at6native12_GLOBAL__N_18offset_tEEE10hipError_tPvRmT1_PNSt15iterator_traitsISK_E10value_typeET2_T3_PNSL_ISQ_E10value_typeET4_jRbjT5_SW_jjP12ihipStream_tbEUlT_E_NS1_11comp_targetILNS1_3genE2ELNS1_11target_archE906ELNS1_3gpuE6ELNS1_3repE0EEENS1_30default_config_static_selectorELNS0_4arch9wavefront6targetE0EEEvSK_.uses_vcc, 0
	.set _ZN7rocprim17ROCPRIM_400000_NS6detail17trampoline_kernelINS0_14default_configENS1_36segmented_radix_sort_config_selectorIslEEZNS1_25segmented_radix_sort_implIS3_Lb1EPKsPsPKlPlN2at6native12_GLOBAL__N_18offset_tEEE10hipError_tPvRmT1_PNSt15iterator_traitsISK_E10value_typeET2_T3_PNSL_ISQ_E10value_typeET4_jRbjT5_SW_jjP12ihipStream_tbEUlT_E_NS1_11comp_targetILNS1_3genE2ELNS1_11target_archE906ELNS1_3gpuE6ELNS1_3repE0EEENS1_30default_config_static_selectorELNS0_4arch9wavefront6targetE0EEEvSK_.uses_flat_scratch, 0
	.set _ZN7rocprim17ROCPRIM_400000_NS6detail17trampoline_kernelINS0_14default_configENS1_36segmented_radix_sort_config_selectorIslEEZNS1_25segmented_radix_sort_implIS3_Lb1EPKsPsPKlPlN2at6native12_GLOBAL__N_18offset_tEEE10hipError_tPvRmT1_PNSt15iterator_traitsISK_E10value_typeET2_T3_PNSL_ISQ_E10value_typeET4_jRbjT5_SW_jjP12ihipStream_tbEUlT_E_NS1_11comp_targetILNS1_3genE2ELNS1_11target_archE906ELNS1_3gpuE6ELNS1_3repE0EEENS1_30default_config_static_selectorELNS0_4arch9wavefront6targetE0EEEvSK_.has_dyn_sized_stack, 0
	.set _ZN7rocprim17ROCPRIM_400000_NS6detail17trampoline_kernelINS0_14default_configENS1_36segmented_radix_sort_config_selectorIslEEZNS1_25segmented_radix_sort_implIS3_Lb1EPKsPsPKlPlN2at6native12_GLOBAL__N_18offset_tEEE10hipError_tPvRmT1_PNSt15iterator_traitsISK_E10value_typeET2_T3_PNSL_ISQ_E10value_typeET4_jRbjT5_SW_jjP12ihipStream_tbEUlT_E_NS1_11comp_targetILNS1_3genE2ELNS1_11target_archE906ELNS1_3gpuE6ELNS1_3repE0EEENS1_30default_config_static_selectorELNS0_4arch9wavefront6targetE0EEEvSK_.has_recursion, 0
	.set _ZN7rocprim17ROCPRIM_400000_NS6detail17trampoline_kernelINS0_14default_configENS1_36segmented_radix_sort_config_selectorIslEEZNS1_25segmented_radix_sort_implIS3_Lb1EPKsPsPKlPlN2at6native12_GLOBAL__N_18offset_tEEE10hipError_tPvRmT1_PNSt15iterator_traitsISK_E10value_typeET2_T3_PNSL_ISQ_E10value_typeET4_jRbjT5_SW_jjP12ihipStream_tbEUlT_E_NS1_11comp_targetILNS1_3genE2ELNS1_11target_archE906ELNS1_3gpuE6ELNS1_3repE0EEENS1_30default_config_static_selectorELNS0_4arch9wavefront6targetE0EEEvSK_.has_indirect_call, 0
	.section	.AMDGPU.csdata,"",@progbits
; Kernel info:
; codeLenInByte = 0
; TotalNumSgprs: 0
; NumVgprs: 0
; ScratchSize: 0
; MemoryBound: 0
; FloatMode: 240
; IeeeMode: 1
; LDSByteSize: 0 bytes/workgroup (compile time only)
; SGPRBlocks: 0
; VGPRBlocks: 0
; NumSGPRsForWavesPerEU: 1
; NumVGPRsForWavesPerEU: 1
; Occupancy: 16
; WaveLimiterHint : 0
; COMPUTE_PGM_RSRC2:SCRATCH_EN: 0
; COMPUTE_PGM_RSRC2:USER_SGPR: 6
; COMPUTE_PGM_RSRC2:TRAP_HANDLER: 0
; COMPUTE_PGM_RSRC2:TGID_X_EN: 1
; COMPUTE_PGM_RSRC2:TGID_Y_EN: 0
; COMPUTE_PGM_RSRC2:TGID_Z_EN: 0
; COMPUTE_PGM_RSRC2:TIDIG_COMP_CNT: 0
	.section	.text._ZN7rocprim17ROCPRIM_400000_NS6detail17trampoline_kernelINS0_14default_configENS1_36segmented_radix_sort_config_selectorIslEEZNS1_25segmented_radix_sort_implIS3_Lb1EPKsPsPKlPlN2at6native12_GLOBAL__N_18offset_tEEE10hipError_tPvRmT1_PNSt15iterator_traitsISK_E10value_typeET2_T3_PNSL_ISQ_E10value_typeET4_jRbjT5_SW_jjP12ihipStream_tbEUlT_E_NS1_11comp_targetILNS1_3genE10ELNS1_11target_archE1201ELNS1_3gpuE5ELNS1_3repE0EEENS1_30default_config_static_selectorELNS0_4arch9wavefront6targetE0EEEvSK_,"axG",@progbits,_ZN7rocprim17ROCPRIM_400000_NS6detail17trampoline_kernelINS0_14default_configENS1_36segmented_radix_sort_config_selectorIslEEZNS1_25segmented_radix_sort_implIS3_Lb1EPKsPsPKlPlN2at6native12_GLOBAL__N_18offset_tEEE10hipError_tPvRmT1_PNSt15iterator_traitsISK_E10value_typeET2_T3_PNSL_ISQ_E10value_typeET4_jRbjT5_SW_jjP12ihipStream_tbEUlT_E_NS1_11comp_targetILNS1_3genE10ELNS1_11target_archE1201ELNS1_3gpuE5ELNS1_3repE0EEENS1_30default_config_static_selectorELNS0_4arch9wavefront6targetE0EEEvSK_,comdat
	.globl	_ZN7rocprim17ROCPRIM_400000_NS6detail17trampoline_kernelINS0_14default_configENS1_36segmented_radix_sort_config_selectorIslEEZNS1_25segmented_radix_sort_implIS3_Lb1EPKsPsPKlPlN2at6native12_GLOBAL__N_18offset_tEEE10hipError_tPvRmT1_PNSt15iterator_traitsISK_E10value_typeET2_T3_PNSL_ISQ_E10value_typeET4_jRbjT5_SW_jjP12ihipStream_tbEUlT_E_NS1_11comp_targetILNS1_3genE10ELNS1_11target_archE1201ELNS1_3gpuE5ELNS1_3repE0EEENS1_30default_config_static_selectorELNS0_4arch9wavefront6targetE0EEEvSK_ ; -- Begin function _ZN7rocprim17ROCPRIM_400000_NS6detail17trampoline_kernelINS0_14default_configENS1_36segmented_radix_sort_config_selectorIslEEZNS1_25segmented_radix_sort_implIS3_Lb1EPKsPsPKlPlN2at6native12_GLOBAL__N_18offset_tEEE10hipError_tPvRmT1_PNSt15iterator_traitsISK_E10value_typeET2_T3_PNSL_ISQ_E10value_typeET4_jRbjT5_SW_jjP12ihipStream_tbEUlT_E_NS1_11comp_targetILNS1_3genE10ELNS1_11target_archE1201ELNS1_3gpuE5ELNS1_3repE0EEENS1_30default_config_static_selectorELNS0_4arch9wavefront6targetE0EEEvSK_
	.p2align	8
	.type	_ZN7rocprim17ROCPRIM_400000_NS6detail17trampoline_kernelINS0_14default_configENS1_36segmented_radix_sort_config_selectorIslEEZNS1_25segmented_radix_sort_implIS3_Lb1EPKsPsPKlPlN2at6native12_GLOBAL__N_18offset_tEEE10hipError_tPvRmT1_PNSt15iterator_traitsISK_E10value_typeET2_T3_PNSL_ISQ_E10value_typeET4_jRbjT5_SW_jjP12ihipStream_tbEUlT_E_NS1_11comp_targetILNS1_3genE10ELNS1_11target_archE1201ELNS1_3gpuE5ELNS1_3repE0EEENS1_30default_config_static_selectorELNS0_4arch9wavefront6targetE0EEEvSK_,@function
_ZN7rocprim17ROCPRIM_400000_NS6detail17trampoline_kernelINS0_14default_configENS1_36segmented_radix_sort_config_selectorIslEEZNS1_25segmented_radix_sort_implIS3_Lb1EPKsPsPKlPlN2at6native12_GLOBAL__N_18offset_tEEE10hipError_tPvRmT1_PNSt15iterator_traitsISK_E10value_typeET2_T3_PNSL_ISQ_E10value_typeET4_jRbjT5_SW_jjP12ihipStream_tbEUlT_E_NS1_11comp_targetILNS1_3genE10ELNS1_11target_archE1201ELNS1_3gpuE5ELNS1_3repE0EEENS1_30default_config_static_selectorELNS0_4arch9wavefront6targetE0EEEvSK_: ; @_ZN7rocprim17ROCPRIM_400000_NS6detail17trampoline_kernelINS0_14default_configENS1_36segmented_radix_sort_config_selectorIslEEZNS1_25segmented_radix_sort_implIS3_Lb1EPKsPsPKlPlN2at6native12_GLOBAL__N_18offset_tEEE10hipError_tPvRmT1_PNSt15iterator_traitsISK_E10value_typeET2_T3_PNSL_ISQ_E10value_typeET4_jRbjT5_SW_jjP12ihipStream_tbEUlT_E_NS1_11comp_targetILNS1_3genE10ELNS1_11target_archE1201ELNS1_3gpuE5ELNS1_3repE0EEENS1_30default_config_static_selectorELNS0_4arch9wavefront6targetE0EEEvSK_
; %bb.0:
	.section	.rodata,"a",@progbits
	.p2align	6, 0x0
	.amdhsa_kernel _ZN7rocprim17ROCPRIM_400000_NS6detail17trampoline_kernelINS0_14default_configENS1_36segmented_radix_sort_config_selectorIslEEZNS1_25segmented_radix_sort_implIS3_Lb1EPKsPsPKlPlN2at6native12_GLOBAL__N_18offset_tEEE10hipError_tPvRmT1_PNSt15iterator_traitsISK_E10value_typeET2_T3_PNSL_ISQ_E10value_typeET4_jRbjT5_SW_jjP12ihipStream_tbEUlT_E_NS1_11comp_targetILNS1_3genE10ELNS1_11target_archE1201ELNS1_3gpuE5ELNS1_3repE0EEENS1_30default_config_static_selectorELNS0_4arch9wavefront6targetE0EEEvSK_
		.amdhsa_group_segment_fixed_size 0
		.amdhsa_private_segment_fixed_size 0
		.amdhsa_kernarg_size 96
		.amdhsa_user_sgpr_count 6
		.amdhsa_user_sgpr_private_segment_buffer 1
		.amdhsa_user_sgpr_dispatch_ptr 0
		.amdhsa_user_sgpr_queue_ptr 0
		.amdhsa_user_sgpr_kernarg_segment_ptr 1
		.amdhsa_user_sgpr_dispatch_id 0
		.amdhsa_user_sgpr_flat_scratch_init 0
		.amdhsa_user_sgpr_private_segment_size 0
		.amdhsa_wavefront_size32 1
		.amdhsa_uses_dynamic_stack 0
		.amdhsa_system_sgpr_private_segment_wavefront_offset 0
		.amdhsa_system_sgpr_workgroup_id_x 1
		.amdhsa_system_sgpr_workgroup_id_y 0
		.amdhsa_system_sgpr_workgroup_id_z 0
		.amdhsa_system_sgpr_workgroup_info 0
		.amdhsa_system_vgpr_workitem_id 0
		.amdhsa_next_free_vgpr 1
		.amdhsa_next_free_sgpr 1
		.amdhsa_reserve_vcc 0
		.amdhsa_reserve_flat_scratch 0
		.amdhsa_float_round_mode_32 0
		.amdhsa_float_round_mode_16_64 0
		.amdhsa_float_denorm_mode_32 3
		.amdhsa_float_denorm_mode_16_64 3
		.amdhsa_dx10_clamp 1
		.amdhsa_ieee_mode 1
		.amdhsa_fp16_overflow 0
		.amdhsa_workgroup_processor_mode 1
		.amdhsa_memory_ordered 1
		.amdhsa_forward_progress 1
		.amdhsa_shared_vgpr_count 0
		.amdhsa_exception_fp_ieee_invalid_op 0
		.amdhsa_exception_fp_denorm_src 0
		.amdhsa_exception_fp_ieee_div_zero 0
		.amdhsa_exception_fp_ieee_overflow 0
		.amdhsa_exception_fp_ieee_underflow 0
		.amdhsa_exception_fp_ieee_inexact 0
		.amdhsa_exception_int_div_zero 0
	.end_amdhsa_kernel
	.section	.text._ZN7rocprim17ROCPRIM_400000_NS6detail17trampoline_kernelINS0_14default_configENS1_36segmented_radix_sort_config_selectorIslEEZNS1_25segmented_radix_sort_implIS3_Lb1EPKsPsPKlPlN2at6native12_GLOBAL__N_18offset_tEEE10hipError_tPvRmT1_PNSt15iterator_traitsISK_E10value_typeET2_T3_PNSL_ISQ_E10value_typeET4_jRbjT5_SW_jjP12ihipStream_tbEUlT_E_NS1_11comp_targetILNS1_3genE10ELNS1_11target_archE1201ELNS1_3gpuE5ELNS1_3repE0EEENS1_30default_config_static_selectorELNS0_4arch9wavefront6targetE0EEEvSK_,"axG",@progbits,_ZN7rocprim17ROCPRIM_400000_NS6detail17trampoline_kernelINS0_14default_configENS1_36segmented_radix_sort_config_selectorIslEEZNS1_25segmented_radix_sort_implIS3_Lb1EPKsPsPKlPlN2at6native12_GLOBAL__N_18offset_tEEE10hipError_tPvRmT1_PNSt15iterator_traitsISK_E10value_typeET2_T3_PNSL_ISQ_E10value_typeET4_jRbjT5_SW_jjP12ihipStream_tbEUlT_E_NS1_11comp_targetILNS1_3genE10ELNS1_11target_archE1201ELNS1_3gpuE5ELNS1_3repE0EEENS1_30default_config_static_selectorELNS0_4arch9wavefront6targetE0EEEvSK_,comdat
.Lfunc_end910:
	.size	_ZN7rocprim17ROCPRIM_400000_NS6detail17trampoline_kernelINS0_14default_configENS1_36segmented_radix_sort_config_selectorIslEEZNS1_25segmented_radix_sort_implIS3_Lb1EPKsPsPKlPlN2at6native12_GLOBAL__N_18offset_tEEE10hipError_tPvRmT1_PNSt15iterator_traitsISK_E10value_typeET2_T3_PNSL_ISQ_E10value_typeET4_jRbjT5_SW_jjP12ihipStream_tbEUlT_E_NS1_11comp_targetILNS1_3genE10ELNS1_11target_archE1201ELNS1_3gpuE5ELNS1_3repE0EEENS1_30default_config_static_selectorELNS0_4arch9wavefront6targetE0EEEvSK_, .Lfunc_end910-_ZN7rocprim17ROCPRIM_400000_NS6detail17trampoline_kernelINS0_14default_configENS1_36segmented_radix_sort_config_selectorIslEEZNS1_25segmented_radix_sort_implIS3_Lb1EPKsPsPKlPlN2at6native12_GLOBAL__N_18offset_tEEE10hipError_tPvRmT1_PNSt15iterator_traitsISK_E10value_typeET2_T3_PNSL_ISQ_E10value_typeET4_jRbjT5_SW_jjP12ihipStream_tbEUlT_E_NS1_11comp_targetILNS1_3genE10ELNS1_11target_archE1201ELNS1_3gpuE5ELNS1_3repE0EEENS1_30default_config_static_selectorELNS0_4arch9wavefront6targetE0EEEvSK_
                                        ; -- End function
	.set _ZN7rocprim17ROCPRIM_400000_NS6detail17trampoline_kernelINS0_14default_configENS1_36segmented_radix_sort_config_selectorIslEEZNS1_25segmented_radix_sort_implIS3_Lb1EPKsPsPKlPlN2at6native12_GLOBAL__N_18offset_tEEE10hipError_tPvRmT1_PNSt15iterator_traitsISK_E10value_typeET2_T3_PNSL_ISQ_E10value_typeET4_jRbjT5_SW_jjP12ihipStream_tbEUlT_E_NS1_11comp_targetILNS1_3genE10ELNS1_11target_archE1201ELNS1_3gpuE5ELNS1_3repE0EEENS1_30default_config_static_selectorELNS0_4arch9wavefront6targetE0EEEvSK_.num_vgpr, 0
	.set _ZN7rocprim17ROCPRIM_400000_NS6detail17trampoline_kernelINS0_14default_configENS1_36segmented_radix_sort_config_selectorIslEEZNS1_25segmented_radix_sort_implIS3_Lb1EPKsPsPKlPlN2at6native12_GLOBAL__N_18offset_tEEE10hipError_tPvRmT1_PNSt15iterator_traitsISK_E10value_typeET2_T3_PNSL_ISQ_E10value_typeET4_jRbjT5_SW_jjP12ihipStream_tbEUlT_E_NS1_11comp_targetILNS1_3genE10ELNS1_11target_archE1201ELNS1_3gpuE5ELNS1_3repE0EEENS1_30default_config_static_selectorELNS0_4arch9wavefront6targetE0EEEvSK_.num_agpr, 0
	.set _ZN7rocprim17ROCPRIM_400000_NS6detail17trampoline_kernelINS0_14default_configENS1_36segmented_radix_sort_config_selectorIslEEZNS1_25segmented_radix_sort_implIS3_Lb1EPKsPsPKlPlN2at6native12_GLOBAL__N_18offset_tEEE10hipError_tPvRmT1_PNSt15iterator_traitsISK_E10value_typeET2_T3_PNSL_ISQ_E10value_typeET4_jRbjT5_SW_jjP12ihipStream_tbEUlT_E_NS1_11comp_targetILNS1_3genE10ELNS1_11target_archE1201ELNS1_3gpuE5ELNS1_3repE0EEENS1_30default_config_static_selectorELNS0_4arch9wavefront6targetE0EEEvSK_.numbered_sgpr, 0
	.set _ZN7rocprim17ROCPRIM_400000_NS6detail17trampoline_kernelINS0_14default_configENS1_36segmented_radix_sort_config_selectorIslEEZNS1_25segmented_radix_sort_implIS3_Lb1EPKsPsPKlPlN2at6native12_GLOBAL__N_18offset_tEEE10hipError_tPvRmT1_PNSt15iterator_traitsISK_E10value_typeET2_T3_PNSL_ISQ_E10value_typeET4_jRbjT5_SW_jjP12ihipStream_tbEUlT_E_NS1_11comp_targetILNS1_3genE10ELNS1_11target_archE1201ELNS1_3gpuE5ELNS1_3repE0EEENS1_30default_config_static_selectorELNS0_4arch9wavefront6targetE0EEEvSK_.num_named_barrier, 0
	.set _ZN7rocprim17ROCPRIM_400000_NS6detail17trampoline_kernelINS0_14default_configENS1_36segmented_radix_sort_config_selectorIslEEZNS1_25segmented_radix_sort_implIS3_Lb1EPKsPsPKlPlN2at6native12_GLOBAL__N_18offset_tEEE10hipError_tPvRmT1_PNSt15iterator_traitsISK_E10value_typeET2_T3_PNSL_ISQ_E10value_typeET4_jRbjT5_SW_jjP12ihipStream_tbEUlT_E_NS1_11comp_targetILNS1_3genE10ELNS1_11target_archE1201ELNS1_3gpuE5ELNS1_3repE0EEENS1_30default_config_static_selectorELNS0_4arch9wavefront6targetE0EEEvSK_.private_seg_size, 0
	.set _ZN7rocprim17ROCPRIM_400000_NS6detail17trampoline_kernelINS0_14default_configENS1_36segmented_radix_sort_config_selectorIslEEZNS1_25segmented_radix_sort_implIS3_Lb1EPKsPsPKlPlN2at6native12_GLOBAL__N_18offset_tEEE10hipError_tPvRmT1_PNSt15iterator_traitsISK_E10value_typeET2_T3_PNSL_ISQ_E10value_typeET4_jRbjT5_SW_jjP12ihipStream_tbEUlT_E_NS1_11comp_targetILNS1_3genE10ELNS1_11target_archE1201ELNS1_3gpuE5ELNS1_3repE0EEENS1_30default_config_static_selectorELNS0_4arch9wavefront6targetE0EEEvSK_.uses_vcc, 0
	.set _ZN7rocprim17ROCPRIM_400000_NS6detail17trampoline_kernelINS0_14default_configENS1_36segmented_radix_sort_config_selectorIslEEZNS1_25segmented_radix_sort_implIS3_Lb1EPKsPsPKlPlN2at6native12_GLOBAL__N_18offset_tEEE10hipError_tPvRmT1_PNSt15iterator_traitsISK_E10value_typeET2_T3_PNSL_ISQ_E10value_typeET4_jRbjT5_SW_jjP12ihipStream_tbEUlT_E_NS1_11comp_targetILNS1_3genE10ELNS1_11target_archE1201ELNS1_3gpuE5ELNS1_3repE0EEENS1_30default_config_static_selectorELNS0_4arch9wavefront6targetE0EEEvSK_.uses_flat_scratch, 0
	.set _ZN7rocprim17ROCPRIM_400000_NS6detail17trampoline_kernelINS0_14default_configENS1_36segmented_radix_sort_config_selectorIslEEZNS1_25segmented_radix_sort_implIS3_Lb1EPKsPsPKlPlN2at6native12_GLOBAL__N_18offset_tEEE10hipError_tPvRmT1_PNSt15iterator_traitsISK_E10value_typeET2_T3_PNSL_ISQ_E10value_typeET4_jRbjT5_SW_jjP12ihipStream_tbEUlT_E_NS1_11comp_targetILNS1_3genE10ELNS1_11target_archE1201ELNS1_3gpuE5ELNS1_3repE0EEENS1_30default_config_static_selectorELNS0_4arch9wavefront6targetE0EEEvSK_.has_dyn_sized_stack, 0
	.set _ZN7rocprim17ROCPRIM_400000_NS6detail17trampoline_kernelINS0_14default_configENS1_36segmented_radix_sort_config_selectorIslEEZNS1_25segmented_radix_sort_implIS3_Lb1EPKsPsPKlPlN2at6native12_GLOBAL__N_18offset_tEEE10hipError_tPvRmT1_PNSt15iterator_traitsISK_E10value_typeET2_T3_PNSL_ISQ_E10value_typeET4_jRbjT5_SW_jjP12ihipStream_tbEUlT_E_NS1_11comp_targetILNS1_3genE10ELNS1_11target_archE1201ELNS1_3gpuE5ELNS1_3repE0EEENS1_30default_config_static_selectorELNS0_4arch9wavefront6targetE0EEEvSK_.has_recursion, 0
	.set _ZN7rocprim17ROCPRIM_400000_NS6detail17trampoline_kernelINS0_14default_configENS1_36segmented_radix_sort_config_selectorIslEEZNS1_25segmented_radix_sort_implIS3_Lb1EPKsPsPKlPlN2at6native12_GLOBAL__N_18offset_tEEE10hipError_tPvRmT1_PNSt15iterator_traitsISK_E10value_typeET2_T3_PNSL_ISQ_E10value_typeET4_jRbjT5_SW_jjP12ihipStream_tbEUlT_E_NS1_11comp_targetILNS1_3genE10ELNS1_11target_archE1201ELNS1_3gpuE5ELNS1_3repE0EEENS1_30default_config_static_selectorELNS0_4arch9wavefront6targetE0EEEvSK_.has_indirect_call, 0
	.section	.AMDGPU.csdata,"",@progbits
; Kernel info:
; codeLenInByte = 0
; TotalNumSgprs: 0
; NumVgprs: 0
; ScratchSize: 0
; MemoryBound: 0
; FloatMode: 240
; IeeeMode: 1
; LDSByteSize: 0 bytes/workgroup (compile time only)
; SGPRBlocks: 0
; VGPRBlocks: 0
; NumSGPRsForWavesPerEU: 1
; NumVGPRsForWavesPerEU: 1
; Occupancy: 16
; WaveLimiterHint : 0
; COMPUTE_PGM_RSRC2:SCRATCH_EN: 0
; COMPUTE_PGM_RSRC2:USER_SGPR: 6
; COMPUTE_PGM_RSRC2:TRAP_HANDLER: 0
; COMPUTE_PGM_RSRC2:TGID_X_EN: 1
; COMPUTE_PGM_RSRC2:TGID_Y_EN: 0
; COMPUTE_PGM_RSRC2:TGID_Z_EN: 0
; COMPUTE_PGM_RSRC2:TIDIG_COMP_CNT: 0
	.section	.text._ZN7rocprim17ROCPRIM_400000_NS6detail17trampoline_kernelINS0_14default_configENS1_36segmented_radix_sort_config_selectorIslEEZNS1_25segmented_radix_sort_implIS3_Lb1EPKsPsPKlPlN2at6native12_GLOBAL__N_18offset_tEEE10hipError_tPvRmT1_PNSt15iterator_traitsISK_E10value_typeET2_T3_PNSL_ISQ_E10value_typeET4_jRbjT5_SW_jjP12ihipStream_tbEUlT_E_NS1_11comp_targetILNS1_3genE10ELNS1_11target_archE1200ELNS1_3gpuE4ELNS1_3repE0EEENS1_30default_config_static_selectorELNS0_4arch9wavefront6targetE0EEEvSK_,"axG",@progbits,_ZN7rocprim17ROCPRIM_400000_NS6detail17trampoline_kernelINS0_14default_configENS1_36segmented_radix_sort_config_selectorIslEEZNS1_25segmented_radix_sort_implIS3_Lb1EPKsPsPKlPlN2at6native12_GLOBAL__N_18offset_tEEE10hipError_tPvRmT1_PNSt15iterator_traitsISK_E10value_typeET2_T3_PNSL_ISQ_E10value_typeET4_jRbjT5_SW_jjP12ihipStream_tbEUlT_E_NS1_11comp_targetILNS1_3genE10ELNS1_11target_archE1200ELNS1_3gpuE4ELNS1_3repE0EEENS1_30default_config_static_selectorELNS0_4arch9wavefront6targetE0EEEvSK_,comdat
	.globl	_ZN7rocprim17ROCPRIM_400000_NS6detail17trampoline_kernelINS0_14default_configENS1_36segmented_radix_sort_config_selectorIslEEZNS1_25segmented_radix_sort_implIS3_Lb1EPKsPsPKlPlN2at6native12_GLOBAL__N_18offset_tEEE10hipError_tPvRmT1_PNSt15iterator_traitsISK_E10value_typeET2_T3_PNSL_ISQ_E10value_typeET4_jRbjT5_SW_jjP12ihipStream_tbEUlT_E_NS1_11comp_targetILNS1_3genE10ELNS1_11target_archE1200ELNS1_3gpuE4ELNS1_3repE0EEENS1_30default_config_static_selectorELNS0_4arch9wavefront6targetE0EEEvSK_ ; -- Begin function _ZN7rocprim17ROCPRIM_400000_NS6detail17trampoline_kernelINS0_14default_configENS1_36segmented_radix_sort_config_selectorIslEEZNS1_25segmented_radix_sort_implIS3_Lb1EPKsPsPKlPlN2at6native12_GLOBAL__N_18offset_tEEE10hipError_tPvRmT1_PNSt15iterator_traitsISK_E10value_typeET2_T3_PNSL_ISQ_E10value_typeET4_jRbjT5_SW_jjP12ihipStream_tbEUlT_E_NS1_11comp_targetILNS1_3genE10ELNS1_11target_archE1200ELNS1_3gpuE4ELNS1_3repE0EEENS1_30default_config_static_selectorELNS0_4arch9wavefront6targetE0EEEvSK_
	.p2align	8
	.type	_ZN7rocprim17ROCPRIM_400000_NS6detail17trampoline_kernelINS0_14default_configENS1_36segmented_radix_sort_config_selectorIslEEZNS1_25segmented_radix_sort_implIS3_Lb1EPKsPsPKlPlN2at6native12_GLOBAL__N_18offset_tEEE10hipError_tPvRmT1_PNSt15iterator_traitsISK_E10value_typeET2_T3_PNSL_ISQ_E10value_typeET4_jRbjT5_SW_jjP12ihipStream_tbEUlT_E_NS1_11comp_targetILNS1_3genE10ELNS1_11target_archE1200ELNS1_3gpuE4ELNS1_3repE0EEENS1_30default_config_static_selectorELNS0_4arch9wavefront6targetE0EEEvSK_,@function
_ZN7rocprim17ROCPRIM_400000_NS6detail17trampoline_kernelINS0_14default_configENS1_36segmented_radix_sort_config_selectorIslEEZNS1_25segmented_radix_sort_implIS3_Lb1EPKsPsPKlPlN2at6native12_GLOBAL__N_18offset_tEEE10hipError_tPvRmT1_PNSt15iterator_traitsISK_E10value_typeET2_T3_PNSL_ISQ_E10value_typeET4_jRbjT5_SW_jjP12ihipStream_tbEUlT_E_NS1_11comp_targetILNS1_3genE10ELNS1_11target_archE1200ELNS1_3gpuE4ELNS1_3repE0EEENS1_30default_config_static_selectorELNS0_4arch9wavefront6targetE0EEEvSK_: ; @_ZN7rocprim17ROCPRIM_400000_NS6detail17trampoline_kernelINS0_14default_configENS1_36segmented_radix_sort_config_selectorIslEEZNS1_25segmented_radix_sort_implIS3_Lb1EPKsPsPKlPlN2at6native12_GLOBAL__N_18offset_tEEE10hipError_tPvRmT1_PNSt15iterator_traitsISK_E10value_typeET2_T3_PNSL_ISQ_E10value_typeET4_jRbjT5_SW_jjP12ihipStream_tbEUlT_E_NS1_11comp_targetILNS1_3genE10ELNS1_11target_archE1200ELNS1_3gpuE4ELNS1_3repE0EEENS1_30default_config_static_selectorELNS0_4arch9wavefront6targetE0EEEvSK_
; %bb.0:
	.section	.rodata,"a",@progbits
	.p2align	6, 0x0
	.amdhsa_kernel _ZN7rocprim17ROCPRIM_400000_NS6detail17trampoline_kernelINS0_14default_configENS1_36segmented_radix_sort_config_selectorIslEEZNS1_25segmented_radix_sort_implIS3_Lb1EPKsPsPKlPlN2at6native12_GLOBAL__N_18offset_tEEE10hipError_tPvRmT1_PNSt15iterator_traitsISK_E10value_typeET2_T3_PNSL_ISQ_E10value_typeET4_jRbjT5_SW_jjP12ihipStream_tbEUlT_E_NS1_11comp_targetILNS1_3genE10ELNS1_11target_archE1200ELNS1_3gpuE4ELNS1_3repE0EEENS1_30default_config_static_selectorELNS0_4arch9wavefront6targetE0EEEvSK_
		.amdhsa_group_segment_fixed_size 0
		.amdhsa_private_segment_fixed_size 0
		.amdhsa_kernarg_size 96
		.amdhsa_user_sgpr_count 6
		.amdhsa_user_sgpr_private_segment_buffer 1
		.amdhsa_user_sgpr_dispatch_ptr 0
		.amdhsa_user_sgpr_queue_ptr 0
		.amdhsa_user_sgpr_kernarg_segment_ptr 1
		.amdhsa_user_sgpr_dispatch_id 0
		.amdhsa_user_sgpr_flat_scratch_init 0
		.amdhsa_user_sgpr_private_segment_size 0
		.amdhsa_wavefront_size32 1
		.amdhsa_uses_dynamic_stack 0
		.amdhsa_system_sgpr_private_segment_wavefront_offset 0
		.amdhsa_system_sgpr_workgroup_id_x 1
		.amdhsa_system_sgpr_workgroup_id_y 0
		.amdhsa_system_sgpr_workgroup_id_z 0
		.amdhsa_system_sgpr_workgroup_info 0
		.amdhsa_system_vgpr_workitem_id 0
		.amdhsa_next_free_vgpr 1
		.amdhsa_next_free_sgpr 1
		.amdhsa_reserve_vcc 0
		.amdhsa_reserve_flat_scratch 0
		.amdhsa_float_round_mode_32 0
		.amdhsa_float_round_mode_16_64 0
		.amdhsa_float_denorm_mode_32 3
		.amdhsa_float_denorm_mode_16_64 3
		.amdhsa_dx10_clamp 1
		.amdhsa_ieee_mode 1
		.amdhsa_fp16_overflow 0
		.amdhsa_workgroup_processor_mode 1
		.amdhsa_memory_ordered 1
		.amdhsa_forward_progress 1
		.amdhsa_shared_vgpr_count 0
		.amdhsa_exception_fp_ieee_invalid_op 0
		.amdhsa_exception_fp_denorm_src 0
		.amdhsa_exception_fp_ieee_div_zero 0
		.amdhsa_exception_fp_ieee_overflow 0
		.amdhsa_exception_fp_ieee_underflow 0
		.amdhsa_exception_fp_ieee_inexact 0
		.amdhsa_exception_int_div_zero 0
	.end_amdhsa_kernel
	.section	.text._ZN7rocprim17ROCPRIM_400000_NS6detail17trampoline_kernelINS0_14default_configENS1_36segmented_radix_sort_config_selectorIslEEZNS1_25segmented_radix_sort_implIS3_Lb1EPKsPsPKlPlN2at6native12_GLOBAL__N_18offset_tEEE10hipError_tPvRmT1_PNSt15iterator_traitsISK_E10value_typeET2_T3_PNSL_ISQ_E10value_typeET4_jRbjT5_SW_jjP12ihipStream_tbEUlT_E_NS1_11comp_targetILNS1_3genE10ELNS1_11target_archE1200ELNS1_3gpuE4ELNS1_3repE0EEENS1_30default_config_static_selectorELNS0_4arch9wavefront6targetE0EEEvSK_,"axG",@progbits,_ZN7rocprim17ROCPRIM_400000_NS6detail17trampoline_kernelINS0_14default_configENS1_36segmented_radix_sort_config_selectorIslEEZNS1_25segmented_radix_sort_implIS3_Lb1EPKsPsPKlPlN2at6native12_GLOBAL__N_18offset_tEEE10hipError_tPvRmT1_PNSt15iterator_traitsISK_E10value_typeET2_T3_PNSL_ISQ_E10value_typeET4_jRbjT5_SW_jjP12ihipStream_tbEUlT_E_NS1_11comp_targetILNS1_3genE10ELNS1_11target_archE1200ELNS1_3gpuE4ELNS1_3repE0EEENS1_30default_config_static_selectorELNS0_4arch9wavefront6targetE0EEEvSK_,comdat
.Lfunc_end911:
	.size	_ZN7rocprim17ROCPRIM_400000_NS6detail17trampoline_kernelINS0_14default_configENS1_36segmented_radix_sort_config_selectorIslEEZNS1_25segmented_radix_sort_implIS3_Lb1EPKsPsPKlPlN2at6native12_GLOBAL__N_18offset_tEEE10hipError_tPvRmT1_PNSt15iterator_traitsISK_E10value_typeET2_T3_PNSL_ISQ_E10value_typeET4_jRbjT5_SW_jjP12ihipStream_tbEUlT_E_NS1_11comp_targetILNS1_3genE10ELNS1_11target_archE1200ELNS1_3gpuE4ELNS1_3repE0EEENS1_30default_config_static_selectorELNS0_4arch9wavefront6targetE0EEEvSK_, .Lfunc_end911-_ZN7rocprim17ROCPRIM_400000_NS6detail17trampoline_kernelINS0_14default_configENS1_36segmented_radix_sort_config_selectorIslEEZNS1_25segmented_radix_sort_implIS3_Lb1EPKsPsPKlPlN2at6native12_GLOBAL__N_18offset_tEEE10hipError_tPvRmT1_PNSt15iterator_traitsISK_E10value_typeET2_T3_PNSL_ISQ_E10value_typeET4_jRbjT5_SW_jjP12ihipStream_tbEUlT_E_NS1_11comp_targetILNS1_3genE10ELNS1_11target_archE1200ELNS1_3gpuE4ELNS1_3repE0EEENS1_30default_config_static_selectorELNS0_4arch9wavefront6targetE0EEEvSK_
                                        ; -- End function
	.set _ZN7rocprim17ROCPRIM_400000_NS6detail17trampoline_kernelINS0_14default_configENS1_36segmented_radix_sort_config_selectorIslEEZNS1_25segmented_radix_sort_implIS3_Lb1EPKsPsPKlPlN2at6native12_GLOBAL__N_18offset_tEEE10hipError_tPvRmT1_PNSt15iterator_traitsISK_E10value_typeET2_T3_PNSL_ISQ_E10value_typeET4_jRbjT5_SW_jjP12ihipStream_tbEUlT_E_NS1_11comp_targetILNS1_3genE10ELNS1_11target_archE1200ELNS1_3gpuE4ELNS1_3repE0EEENS1_30default_config_static_selectorELNS0_4arch9wavefront6targetE0EEEvSK_.num_vgpr, 0
	.set _ZN7rocprim17ROCPRIM_400000_NS6detail17trampoline_kernelINS0_14default_configENS1_36segmented_radix_sort_config_selectorIslEEZNS1_25segmented_radix_sort_implIS3_Lb1EPKsPsPKlPlN2at6native12_GLOBAL__N_18offset_tEEE10hipError_tPvRmT1_PNSt15iterator_traitsISK_E10value_typeET2_T3_PNSL_ISQ_E10value_typeET4_jRbjT5_SW_jjP12ihipStream_tbEUlT_E_NS1_11comp_targetILNS1_3genE10ELNS1_11target_archE1200ELNS1_3gpuE4ELNS1_3repE0EEENS1_30default_config_static_selectorELNS0_4arch9wavefront6targetE0EEEvSK_.num_agpr, 0
	.set _ZN7rocprim17ROCPRIM_400000_NS6detail17trampoline_kernelINS0_14default_configENS1_36segmented_radix_sort_config_selectorIslEEZNS1_25segmented_radix_sort_implIS3_Lb1EPKsPsPKlPlN2at6native12_GLOBAL__N_18offset_tEEE10hipError_tPvRmT1_PNSt15iterator_traitsISK_E10value_typeET2_T3_PNSL_ISQ_E10value_typeET4_jRbjT5_SW_jjP12ihipStream_tbEUlT_E_NS1_11comp_targetILNS1_3genE10ELNS1_11target_archE1200ELNS1_3gpuE4ELNS1_3repE0EEENS1_30default_config_static_selectorELNS0_4arch9wavefront6targetE0EEEvSK_.numbered_sgpr, 0
	.set _ZN7rocprim17ROCPRIM_400000_NS6detail17trampoline_kernelINS0_14default_configENS1_36segmented_radix_sort_config_selectorIslEEZNS1_25segmented_radix_sort_implIS3_Lb1EPKsPsPKlPlN2at6native12_GLOBAL__N_18offset_tEEE10hipError_tPvRmT1_PNSt15iterator_traitsISK_E10value_typeET2_T3_PNSL_ISQ_E10value_typeET4_jRbjT5_SW_jjP12ihipStream_tbEUlT_E_NS1_11comp_targetILNS1_3genE10ELNS1_11target_archE1200ELNS1_3gpuE4ELNS1_3repE0EEENS1_30default_config_static_selectorELNS0_4arch9wavefront6targetE0EEEvSK_.num_named_barrier, 0
	.set _ZN7rocprim17ROCPRIM_400000_NS6detail17trampoline_kernelINS0_14default_configENS1_36segmented_radix_sort_config_selectorIslEEZNS1_25segmented_radix_sort_implIS3_Lb1EPKsPsPKlPlN2at6native12_GLOBAL__N_18offset_tEEE10hipError_tPvRmT1_PNSt15iterator_traitsISK_E10value_typeET2_T3_PNSL_ISQ_E10value_typeET4_jRbjT5_SW_jjP12ihipStream_tbEUlT_E_NS1_11comp_targetILNS1_3genE10ELNS1_11target_archE1200ELNS1_3gpuE4ELNS1_3repE0EEENS1_30default_config_static_selectorELNS0_4arch9wavefront6targetE0EEEvSK_.private_seg_size, 0
	.set _ZN7rocprim17ROCPRIM_400000_NS6detail17trampoline_kernelINS0_14default_configENS1_36segmented_radix_sort_config_selectorIslEEZNS1_25segmented_radix_sort_implIS3_Lb1EPKsPsPKlPlN2at6native12_GLOBAL__N_18offset_tEEE10hipError_tPvRmT1_PNSt15iterator_traitsISK_E10value_typeET2_T3_PNSL_ISQ_E10value_typeET4_jRbjT5_SW_jjP12ihipStream_tbEUlT_E_NS1_11comp_targetILNS1_3genE10ELNS1_11target_archE1200ELNS1_3gpuE4ELNS1_3repE0EEENS1_30default_config_static_selectorELNS0_4arch9wavefront6targetE0EEEvSK_.uses_vcc, 0
	.set _ZN7rocprim17ROCPRIM_400000_NS6detail17trampoline_kernelINS0_14default_configENS1_36segmented_radix_sort_config_selectorIslEEZNS1_25segmented_radix_sort_implIS3_Lb1EPKsPsPKlPlN2at6native12_GLOBAL__N_18offset_tEEE10hipError_tPvRmT1_PNSt15iterator_traitsISK_E10value_typeET2_T3_PNSL_ISQ_E10value_typeET4_jRbjT5_SW_jjP12ihipStream_tbEUlT_E_NS1_11comp_targetILNS1_3genE10ELNS1_11target_archE1200ELNS1_3gpuE4ELNS1_3repE0EEENS1_30default_config_static_selectorELNS0_4arch9wavefront6targetE0EEEvSK_.uses_flat_scratch, 0
	.set _ZN7rocprim17ROCPRIM_400000_NS6detail17trampoline_kernelINS0_14default_configENS1_36segmented_radix_sort_config_selectorIslEEZNS1_25segmented_radix_sort_implIS3_Lb1EPKsPsPKlPlN2at6native12_GLOBAL__N_18offset_tEEE10hipError_tPvRmT1_PNSt15iterator_traitsISK_E10value_typeET2_T3_PNSL_ISQ_E10value_typeET4_jRbjT5_SW_jjP12ihipStream_tbEUlT_E_NS1_11comp_targetILNS1_3genE10ELNS1_11target_archE1200ELNS1_3gpuE4ELNS1_3repE0EEENS1_30default_config_static_selectorELNS0_4arch9wavefront6targetE0EEEvSK_.has_dyn_sized_stack, 0
	.set _ZN7rocprim17ROCPRIM_400000_NS6detail17trampoline_kernelINS0_14default_configENS1_36segmented_radix_sort_config_selectorIslEEZNS1_25segmented_radix_sort_implIS3_Lb1EPKsPsPKlPlN2at6native12_GLOBAL__N_18offset_tEEE10hipError_tPvRmT1_PNSt15iterator_traitsISK_E10value_typeET2_T3_PNSL_ISQ_E10value_typeET4_jRbjT5_SW_jjP12ihipStream_tbEUlT_E_NS1_11comp_targetILNS1_3genE10ELNS1_11target_archE1200ELNS1_3gpuE4ELNS1_3repE0EEENS1_30default_config_static_selectorELNS0_4arch9wavefront6targetE0EEEvSK_.has_recursion, 0
	.set _ZN7rocprim17ROCPRIM_400000_NS6detail17trampoline_kernelINS0_14default_configENS1_36segmented_radix_sort_config_selectorIslEEZNS1_25segmented_radix_sort_implIS3_Lb1EPKsPsPKlPlN2at6native12_GLOBAL__N_18offset_tEEE10hipError_tPvRmT1_PNSt15iterator_traitsISK_E10value_typeET2_T3_PNSL_ISQ_E10value_typeET4_jRbjT5_SW_jjP12ihipStream_tbEUlT_E_NS1_11comp_targetILNS1_3genE10ELNS1_11target_archE1200ELNS1_3gpuE4ELNS1_3repE0EEENS1_30default_config_static_selectorELNS0_4arch9wavefront6targetE0EEEvSK_.has_indirect_call, 0
	.section	.AMDGPU.csdata,"",@progbits
; Kernel info:
; codeLenInByte = 0
; TotalNumSgprs: 0
; NumVgprs: 0
; ScratchSize: 0
; MemoryBound: 0
; FloatMode: 240
; IeeeMode: 1
; LDSByteSize: 0 bytes/workgroup (compile time only)
; SGPRBlocks: 0
; VGPRBlocks: 0
; NumSGPRsForWavesPerEU: 1
; NumVGPRsForWavesPerEU: 1
; Occupancy: 16
; WaveLimiterHint : 0
; COMPUTE_PGM_RSRC2:SCRATCH_EN: 0
; COMPUTE_PGM_RSRC2:USER_SGPR: 6
; COMPUTE_PGM_RSRC2:TRAP_HANDLER: 0
; COMPUTE_PGM_RSRC2:TGID_X_EN: 1
; COMPUTE_PGM_RSRC2:TGID_Y_EN: 0
; COMPUTE_PGM_RSRC2:TGID_Z_EN: 0
; COMPUTE_PGM_RSRC2:TIDIG_COMP_CNT: 0
	.section	.text._ZN7rocprim17ROCPRIM_400000_NS6detail17trampoline_kernelINS0_14default_configENS1_36segmented_radix_sort_config_selectorIslEEZNS1_25segmented_radix_sort_implIS3_Lb1EPKsPsPKlPlN2at6native12_GLOBAL__N_18offset_tEEE10hipError_tPvRmT1_PNSt15iterator_traitsISK_E10value_typeET2_T3_PNSL_ISQ_E10value_typeET4_jRbjT5_SW_jjP12ihipStream_tbEUlT_E_NS1_11comp_targetILNS1_3genE9ELNS1_11target_archE1100ELNS1_3gpuE3ELNS1_3repE0EEENS1_30default_config_static_selectorELNS0_4arch9wavefront6targetE0EEEvSK_,"axG",@progbits,_ZN7rocprim17ROCPRIM_400000_NS6detail17trampoline_kernelINS0_14default_configENS1_36segmented_radix_sort_config_selectorIslEEZNS1_25segmented_radix_sort_implIS3_Lb1EPKsPsPKlPlN2at6native12_GLOBAL__N_18offset_tEEE10hipError_tPvRmT1_PNSt15iterator_traitsISK_E10value_typeET2_T3_PNSL_ISQ_E10value_typeET4_jRbjT5_SW_jjP12ihipStream_tbEUlT_E_NS1_11comp_targetILNS1_3genE9ELNS1_11target_archE1100ELNS1_3gpuE3ELNS1_3repE0EEENS1_30default_config_static_selectorELNS0_4arch9wavefront6targetE0EEEvSK_,comdat
	.globl	_ZN7rocprim17ROCPRIM_400000_NS6detail17trampoline_kernelINS0_14default_configENS1_36segmented_radix_sort_config_selectorIslEEZNS1_25segmented_radix_sort_implIS3_Lb1EPKsPsPKlPlN2at6native12_GLOBAL__N_18offset_tEEE10hipError_tPvRmT1_PNSt15iterator_traitsISK_E10value_typeET2_T3_PNSL_ISQ_E10value_typeET4_jRbjT5_SW_jjP12ihipStream_tbEUlT_E_NS1_11comp_targetILNS1_3genE9ELNS1_11target_archE1100ELNS1_3gpuE3ELNS1_3repE0EEENS1_30default_config_static_selectorELNS0_4arch9wavefront6targetE0EEEvSK_ ; -- Begin function _ZN7rocprim17ROCPRIM_400000_NS6detail17trampoline_kernelINS0_14default_configENS1_36segmented_radix_sort_config_selectorIslEEZNS1_25segmented_radix_sort_implIS3_Lb1EPKsPsPKlPlN2at6native12_GLOBAL__N_18offset_tEEE10hipError_tPvRmT1_PNSt15iterator_traitsISK_E10value_typeET2_T3_PNSL_ISQ_E10value_typeET4_jRbjT5_SW_jjP12ihipStream_tbEUlT_E_NS1_11comp_targetILNS1_3genE9ELNS1_11target_archE1100ELNS1_3gpuE3ELNS1_3repE0EEENS1_30default_config_static_selectorELNS0_4arch9wavefront6targetE0EEEvSK_
	.p2align	8
	.type	_ZN7rocprim17ROCPRIM_400000_NS6detail17trampoline_kernelINS0_14default_configENS1_36segmented_radix_sort_config_selectorIslEEZNS1_25segmented_radix_sort_implIS3_Lb1EPKsPsPKlPlN2at6native12_GLOBAL__N_18offset_tEEE10hipError_tPvRmT1_PNSt15iterator_traitsISK_E10value_typeET2_T3_PNSL_ISQ_E10value_typeET4_jRbjT5_SW_jjP12ihipStream_tbEUlT_E_NS1_11comp_targetILNS1_3genE9ELNS1_11target_archE1100ELNS1_3gpuE3ELNS1_3repE0EEENS1_30default_config_static_selectorELNS0_4arch9wavefront6targetE0EEEvSK_,@function
_ZN7rocprim17ROCPRIM_400000_NS6detail17trampoline_kernelINS0_14default_configENS1_36segmented_radix_sort_config_selectorIslEEZNS1_25segmented_radix_sort_implIS3_Lb1EPKsPsPKlPlN2at6native12_GLOBAL__N_18offset_tEEE10hipError_tPvRmT1_PNSt15iterator_traitsISK_E10value_typeET2_T3_PNSL_ISQ_E10value_typeET4_jRbjT5_SW_jjP12ihipStream_tbEUlT_E_NS1_11comp_targetILNS1_3genE9ELNS1_11target_archE1100ELNS1_3gpuE3ELNS1_3repE0EEENS1_30default_config_static_selectorELNS0_4arch9wavefront6targetE0EEEvSK_: ; @_ZN7rocprim17ROCPRIM_400000_NS6detail17trampoline_kernelINS0_14default_configENS1_36segmented_radix_sort_config_selectorIslEEZNS1_25segmented_radix_sort_implIS3_Lb1EPKsPsPKlPlN2at6native12_GLOBAL__N_18offset_tEEE10hipError_tPvRmT1_PNSt15iterator_traitsISK_E10value_typeET2_T3_PNSL_ISQ_E10value_typeET4_jRbjT5_SW_jjP12ihipStream_tbEUlT_E_NS1_11comp_targetILNS1_3genE9ELNS1_11target_archE1100ELNS1_3gpuE3ELNS1_3repE0EEENS1_30default_config_static_selectorELNS0_4arch9wavefront6targetE0EEEvSK_
; %bb.0:
	.section	.rodata,"a",@progbits
	.p2align	6, 0x0
	.amdhsa_kernel _ZN7rocprim17ROCPRIM_400000_NS6detail17trampoline_kernelINS0_14default_configENS1_36segmented_radix_sort_config_selectorIslEEZNS1_25segmented_radix_sort_implIS3_Lb1EPKsPsPKlPlN2at6native12_GLOBAL__N_18offset_tEEE10hipError_tPvRmT1_PNSt15iterator_traitsISK_E10value_typeET2_T3_PNSL_ISQ_E10value_typeET4_jRbjT5_SW_jjP12ihipStream_tbEUlT_E_NS1_11comp_targetILNS1_3genE9ELNS1_11target_archE1100ELNS1_3gpuE3ELNS1_3repE0EEENS1_30default_config_static_selectorELNS0_4arch9wavefront6targetE0EEEvSK_
		.amdhsa_group_segment_fixed_size 0
		.amdhsa_private_segment_fixed_size 0
		.amdhsa_kernarg_size 96
		.amdhsa_user_sgpr_count 6
		.amdhsa_user_sgpr_private_segment_buffer 1
		.amdhsa_user_sgpr_dispatch_ptr 0
		.amdhsa_user_sgpr_queue_ptr 0
		.amdhsa_user_sgpr_kernarg_segment_ptr 1
		.amdhsa_user_sgpr_dispatch_id 0
		.amdhsa_user_sgpr_flat_scratch_init 0
		.amdhsa_user_sgpr_private_segment_size 0
		.amdhsa_wavefront_size32 1
		.amdhsa_uses_dynamic_stack 0
		.amdhsa_system_sgpr_private_segment_wavefront_offset 0
		.amdhsa_system_sgpr_workgroup_id_x 1
		.amdhsa_system_sgpr_workgroup_id_y 0
		.amdhsa_system_sgpr_workgroup_id_z 0
		.amdhsa_system_sgpr_workgroup_info 0
		.amdhsa_system_vgpr_workitem_id 0
		.amdhsa_next_free_vgpr 1
		.amdhsa_next_free_sgpr 1
		.amdhsa_reserve_vcc 0
		.amdhsa_reserve_flat_scratch 0
		.amdhsa_float_round_mode_32 0
		.amdhsa_float_round_mode_16_64 0
		.amdhsa_float_denorm_mode_32 3
		.amdhsa_float_denorm_mode_16_64 3
		.amdhsa_dx10_clamp 1
		.amdhsa_ieee_mode 1
		.amdhsa_fp16_overflow 0
		.amdhsa_workgroup_processor_mode 1
		.amdhsa_memory_ordered 1
		.amdhsa_forward_progress 1
		.amdhsa_shared_vgpr_count 0
		.amdhsa_exception_fp_ieee_invalid_op 0
		.amdhsa_exception_fp_denorm_src 0
		.amdhsa_exception_fp_ieee_div_zero 0
		.amdhsa_exception_fp_ieee_overflow 0
		.amdhsa_exception_fp_ieee_underflow 0
		.amdhsa_exception_fp_ieee_inexact 0
		.amdhsa_exception_int_div_zero 0
	.end_amdhsa_kernel
	.section	.text._ZN7rocprim17ROCPRIM_400000_NS6detail17trampoline_kernelINS0_14default_configENS1_36segmented_radix_sort_config_selectorIslEEZNS1_25segmented_radix_sort_implIS3_Lb1EPKsPsPKlPlN2at6native12_GLOBAL__N_18offset_tEEE10hipError_tPvRmT1_PNSt15iterator_traitsISK_E10value_typeET2_T3_PNSL_ISQ_E10value_typeET4_jRbjT5_SW_jjP12ihipStream_tbEUlT_E_NS1_11comp_targetILNS1_3genE9ELNS1_11target_archE1100ELNS1_3gpuE3ELNS1_3repE0EEENS1_30default_config_static_selectorELNS0_4arch9wavefront6targetE0EEEvSK_,"axG",@progbits,_ZN7rocprim17ROCPRIM_400000_NS6detail17trampoline_kernelINS0_14default_configENS1_36segmented_radix_sort_config_selectorIslEEZNS1_25segmented_radix_sort_implIS3_Lb1EPKsPsPKlPlN2at6native12_GLOBAL__N_18offset_tEEE10hipError_tPvRmT1_PNSt15iterator_traitsISK_E10value_typeET2_T3_PNSL_ISQ_E10value_typeET4_jRbjT5_SW_jjP12ihipStream_tbEUlT_E_NS1_11comp_targetILNS1_3genE9ELNS1_11target_archE1100ELNS1_3gpuE3ELNS1_3repE0EEENS1_30default_config_static_selectorELNS0_4arch9wavefront6targetE0EEEvSK_,comdat
.Lfunc_end912:
	.size	_ZN7rocprim17ROCPRIM_400000_NS6detail17trampoline_kernelINS0_14default_configENS1_36segmented_radix_sort_config_selectorIslEEZNS1_25segmented_radix_sort_implIS3_Lb1EPKsPsPKlPlN2at6native12_GLOBAL__N_18offset_tEEE10hipError_tPvRmT1_PNSt15iterator_traitsISK_E10value_typeET2_T3_PNSL_ISQ_E10value_typeET4_jRbjT5_SW_jjP12ihipStream_tbEUlT_E_NS1_11comp_targetILNS1_3genE9ELNS1_11target_archE1100ELNS1_3gpuE3ELNS1_3repE0EEENS1_30default_config_static_selectorELNS0_4arch9wavefront6targetE0EEEvSK_, .Lfunc_end912-_ZN7rocprim17ROCPRIM_400000_NS6detail17trampoline_kernelINS0_14default_configENS1_36segmented_radix_sort_config_selectorIslEEZNS1_25segmented_radix_sort_implIS3_Lb1EPKsPsPKlPlN2at6native12_GLOBAL__N_18offset_tEEE10hipError_tPvRmT1_PNSt15iterator_traitsISK_E10value_typeET2_T3_PNSL_ISQ_E10value_typeET4_jRbjT5_SW_jjP12ihipStream_tbEUlT_E_NS1_11comp_targetILNS1_3genE9ELNS1_11target_archE1100ELNS1_3gpuE3ELNS1_3repE0EEENS1_30default_config_static_selectorELNS0_4arch9wavefront6targetE0EEEvSK_
                                        ; -- End function
	.set _ZN7rocprim17ROCPRIM_400000_NS6detail17trampoline_kernelINS0_14default_configENS1_36segmented_radix_sort_config_selectorIslEEZNS1_25segmented_radix_sort_implIS3_Lb1EPKsPsPKlPlN2at6native12_GLOBAL__N_18offset_tEEE10hipError_tPvRmT1_PNSt15iterator_traitsISK_E10value_typeET2_T3_PNSL_ISQ_E10value_typeET4_jRbjT5_SW_jjP12ihipStream_tbEUlT_E_NS1_11comp_targetILNS1_3genE9ELNS1_11target_archE1100ELNS1_3gpuE3ELNS1_3repE0EEENS1_30default_config_static_selectorELNS0_4arch9wavefront6targetE0EEEvSK_.num_vgpr, 0
	.set _ZN7rocprim17ROCPRIM_400000_NS6detail17trampoline_kernelINS0_14default_configENS1_36segmented_radix_sort_config_selectorIslEEZNS1_25segmented_radix_sort_implIS3_Lb1EPKsPsPKlPlN2at6native12_GLOBAL__N_18offset_tEEE10hipError_tPvRmT1_PNSt15iterator_traitsISK_E10value_typeET2_T3_PNSL_ISQ_E10value_typeET4_jRbjT5_SW_jjP12ihipStream_tbEUlT_E_NS1_11comp_targetILNS1_3genE9ELNS1_11target_archE1100ELNS1_3gpuE3ELNS1_3repE0EEENS1_30default_config_static_selectorELNS0_4arch9wavefront6targetE0EEEvSK_.num_agpr, 0
	.set _ZN7rocprim17ROCPRIM_400000_NS6detail17trampoline_kernelINS0_14default_configENS1_36segmented_radix_sort_config_selectorIslEEZNS1_25segmented_radix_sort_implIS3_Lb1EPKsPsPKlPlN2at6native12_GLOBAL__N_18offset_tEEE10hipError_tPvRmT1_PNSt15iterator_traitsISK_E10value_typeET2_T3_PNSL_ISQ_E10value_typeET4_jRbjT5_SW_jjP12ihipStream_tbEUlT_E_NS1_11comp_targetILNS1_3genE9ELNS1_11target_archE1100ELNS1_3gpuE3ELNS1_3repE0EEENS1_30default_config_static_selectorELNS0_4arch9wavefront6targetE0EEEvSK_.numbered_sgpr, 0
	.set _ZN7rocprim17ROCPRIM_400000_NS6detail17trampoline_kernelINS0_14default_configENS1_36segmented_radix_sort_config_selectorIslEEZNS1_25segmented_radix_sort_implIS3_Lb1EPKsPsPKlPlN2at6native12_GLOBAL__N_18offset_tEEE10hipError_tPvRmT1_PNSt15iterator_traitsISK_E10value_typeET2_T3_PNSL_ISQ_E10value_typeET4_jRbjT5_SW_jjP12ihipStream_tbEUlT_E_NS1_11comp_targetILNS1_3genE9ELNS1_11target_archE1100ELNS1_3gpuE3ELNS1_3repE0EEENS1_30default_config_static_selectorELNS0_4arch9wavefront6targetE0EEEvSK_.num_named_barrier, 0
	.set _ZN7rocprim17ROCPRIM_400000_NS6detail17trampoline_kernelINS0_14default_configENS1_36segmented_radix_sort_config_selectorIslEEZNS1_25segmented_radix_sort_implIS3_Lb1EPKsPsPKlPlN2at6native12_GLOBAL__N_18offset_tEEE10hipError_tPvRmT1_PNSt15iterator_traitsISK_E10value_typeET2_T3_PNSL_ISQ_E10value_typeET4_jRbjT5_SW_jjP12ihipStream_tbEUlT_E_NS1_11comp_targetILNS1_3genE9ELNS1_11target_archE1100ELNS1_3gpuE3ELNS1_3repE0EEENS1_30default_config_static_selectorELNS0_4arch9wavefront6targetE0EEEvSK_.private_seg_size, 0
	.set _ZN7rocprim17ROCPRIM_400000_NS6detail17trampoline_kernelINS0_14default_configENS1_36segmented_radix_sort_config_selectorIslEEZNS1_25segmented_radix_sort_implIS3_Lb1EPKsPsPKlPlN2at6native12_GLOBAL__N_18offset_tEEE10hipError_tPvRmT1_PNSt15iterator_traitsISK_E10value_typeET2_T3_PNSL_ISQ_E10value_typeET4_jRbjT5_SW_jjP12ihipStream_tbEUlT_E_NS1_11comp_targetILNS1_3genE9ELNS1_11target_archE1100ELNS1_3gpuE3ELNS1_3repE0EEENS1_30default_config_static_selectorELNS0_4arch9wavefront6targetE0EEEvSK_.uses_vcc, 0
	.set _ZN7rocprim17ROCPRIM_400000_NS6detail17trampoline_kernelINS0_14default_configENS1_36segmented_radix_sort_config_selectorIslEEZNS1_25segmented_radix_sort_implIS3_Lb1EPKsPsPKlPlN2at6native12_GLOBAL__N_18offset_tEEE10hipError_tPvRmT1_PNSt15iterator_traitsISK_E10value_typeET2_T3_PNSL_ISQ_E10value_typeET4_jRbjT5_SW_jjP12ihipStream_tbEUlT_E_NS1_11comp_targetILNS1_3genE9ELNS1_11target_archE1100ELNS1_3gpuE3ELNS1_3repE0EEENS1_30default_config_static_selectorELNS0_4arch9wavefront6targetE0EEEvSK_.uses_flat_scratch, 0
	.set _ZN7rocprim17ROCPRIM_400000_NS6detail17trampoline_kernelINS0_14default_configENS1_36segmented_radix_sort_config_selectorIslEEZNS1_25segmented_radix_sort_implIS3_Lb1EPKsPsPKlPlN2at6native12_GLOBAL__N_18offset_tEEE10hipError_tPvRmT1_PNSt15iterator_traitsISK_E10value_typeET2_T3_PNSL_ISQ_E10value_typeET4_jRbjT5_SW_jjP12ihipStream_tbEUlT_E_NS1_11comp_targetILNS1_3genE9ELNS1_11target_archE1100ELNS1_3gpuE3ELNS1_3repE0EEENS1_30default_config_static_selectorELNS0_4arch9wavefront6targetE0EEEvSK_.has_dyn_sized_stack, 0
	.set _ZN7rocprim17ROCPRIM_400000_NS6detail17trampoline_kernelINS0_14default_configENS1_36segmented_radix_sort_config_selectorIslEEZNS1_25segmented_radix_sort_implIS3_Lb1EPKsPsPKlPlN2at6native12_GLOBAL__N_18offset_tEEE10hipError_tPvRmT1_PNSt15iterator_traitsISK_E10value_typeET2_T3_PNSL_ISQ_E10value_typeET4_jRbjT5_SW_jjP12ihipStream_tbEUlT_E_NS1_11comp_targetILNS1_3genE9ELNS1_11target_archE1100ELNS1_3gpuE3ELNS1_3repE0EEENS1_30default_config_static_selectorELNS0_4arch9wavefront6targetE0EEEvSK_.has_recursion, 0
	.set _ZN7rocprim17ROCPRIM_400000_NS6detail17trampoline_kernelINS0_14default_configENS1_36segmented_radix_sort_config_selectorIslEEZNS1_25segmented_radix_sort_implIS3_Lb1EPKsPsPKlPlN2at6native12_GLOBAL__N_18offset_tEEE10hipError_tPvRmT1_PNSt15iterator_traitsISK_E10value_typeET2_T3_PNSL_ISQ_E10value_typeET4_jRbjT5_SW_jjP12ihipStream_tbEUlT_E_NS1_11comp_targetILNS1_3genE9ELNS1_11target_archE1100ELNS1_3gpuE3ELNS1_3repE0EEENS1_30default_config_static_selectorELNS0_4arch9wavefront6targetE0EEEvSK_.has_indirect_call, 0
	.section	.AMDGPU.csdata,"",@progbits
; Kernel info:
; codeLenInByte = 0
; TotalNumSgprs: 0
; NumVgprs: 0
; ScratchSize: 0
; MemoryBound: 0
; FloatMode: 240
; IeeeMode: 1
; LDSByteSize: 0 bytes/workgroup (compile time only)
; SGPRBlocks: 0
; VGPRBlocks: 0
; NumSGPRsForWavesPerEU: 1
; NumVGPRsForWavesPerEU: 1
; Occupancy: 16
; WaveLimiterHint : 0
; COMPUTE_PGM_RSRC2:SCRATCH_EN: 0
; COMPUTE_PGM_RSRC2:USER_SGPR: 6
; COMPUTE_PGM_RSRC2:TRAP_HANDLER: 0
; COMPUTE_PGM_RSRC2:TGID_X_EN: 1
; COMPUTE_PGM_RSRC2:TGID_Y_EN: 0
; COMPUTE_PGM_RSRC2:TGID_Z_EN: 0
; COMPUTE_PGM_RSRC2:TIDIG_COMP_CNT: 0
	.text
	.p2align	2                               ; -- Begin function _ZN7rocprim17ROCPRIM_400000_NS6detail40segmented_radix_sort_single_block_helperIslLj256ELj17ELb1EE4sortIPKsPsPKlPlEEbT_T0_T1_T2_jjjjRNS3_12storage_typeE
	.type	_ZN7rocprim17ROCPRIM_400000_NS6detail40segmented_radix_sort_single_block_helperIslLj256ELj17ELb1EE4sortIPKsPsPKlPlEEbT_T0_T1_T2_jjjjRNS3_12storage_typeE,@function
_ZN7rocprim17ROCPRIM_400000_NS6detail40segmented_radix_sort_single_block_helperIslLj256ELj17ELb1EE4sortIPKsPsPKlPlEEbT_T0_T1_T2_jjjjRNS3_12storage_typeE: ; @_ZN7rocprim17ROCPRIM_400000_NS6detail40segmented_radix_sort_single_block_helperIslLj256ELj17ELb1EE4sortIPKsPsPKlPlEEbT_T0_T1_T2_jjjjRNS3_12storage_typeE
; %bb.0:
	s_waitcnt vmcnt(0) expcnt(0) lgkmcnt(0)
	buffer_store_dword v40, off, s[0:3], s32 offset:188 ; 4-byte Folded Spill
	buffer_store_dword v41, off, s[0:3], s32 offset:184 ; 4-byte Folded Spill
	;; [unrolled: 1-line block ×47, first 2 shown]
	buffer_store_dword v127, off, s[0:3], s32 ; 4-byte Folded Spill
	v_sub_nc_u32_e32 v183, v9, v8
	s_mov_b32 s25, exec_lo
	v_cmpx_gt_u32_e32 0x1101, v183
	s_cbranch_execz .LBB913_382
; %bb.1:
	v_bfe_u32 v14, v31, 10, 10
	v_bfe_u32 v15, v31, 20, 10
	v_and_b32_e32 v18, 0x3ff, v31
	v_mbcnt_lo_u32_b32 v33, -1, 0
	s_mov_b32 s4, exec_lo
	v_cmpx_lt_u32_e32 0x800, v183
	s_xor_b32 s26, exec_lo, s4
	s_cbranch_execz .LBB913_151
; %bb.2:
	s_load_dwordx2 s[4:5], s[8:9], 0x0
	v_mov_b32_e32 v9, 0
	v_mov_b32_e32 v99, -1
	v_mov_b32_e32 v101, -1
	v_lshlrev_b64 v[50:51], 1, v[8:9]
	s_waitcnt lgkmcnt(0)
	s_cmp_lt_u32 s13, s5
	s_cselect_b32 s5, 14, 20
	s_add_u32 s6, s8, s5
	s_addc_u32 s7, s9, 0
	s_cmp_lt_u32 s12, s4
	global_load_ushort v16, v9, s[6:7]
	s_cselect_b32 s4, 12, 18
	s_add_u32 s4, s8, s4
	s_addc_u32 s5, s9, 0
	global_load_ushort v17, v9, s[4:5]
	s_waitcnt vmcnt(1)
	v_mad_u32_u24 v14, v15, v16, v14
	v_mov_b32_e32 v15, v9
	s_waitcnt vmcnt(0)
	v_mad_u64_u32 v[48:49], null, v14, v17, v[18:19]
	v_lshlrev_b32_e32 v17, 1, v33
	v_add_co_u32 v19, vcc_lo, v0, v50
	v_add_co_ci_u32_e64 v20, null, v1, v51, vcc_lo
	v_add_co_u32 v17, vcc_lo, v19, v17
	v_and_b32_e32 v14, 0xffffffe0, v48
	v_add_co_ci_u32_e64 v19, null, 0, v20, vcc_lo
	v_lshl_add_u32 v14, v14, 4, v14
	v_lshlrev_b64 v[0:1], 1, v[14:15]
	v_or_b32_e32 v16, v14, v33
	v_cmp_lt_u32_e32 vcc_lo, v16, v183
	v_add_co_u32 v0, s4, v17, v0
	v_add_co_ci_u32_e64 v1, null, v19, v1, s4
	s_and_saveexec_b32 s4, vcc_lo
	s_cbranch_execz .LBB913_4
; %bb.3:
	flat_load_ushort v17, v[0:1]
	s_waitcnt vmcnt(0) lgkmcnt(0)
	v_xor_b32_e32 v101, 0x7fff, v17
.LBB913_4:
	s_or_b32 exec_lo, exec_lo, s4
	v_add_nc_u32_e32 v17, 32, v16
	v_cmp_lt_u32_e64 s4, v17, v183
	s_and_saveexec_b32 s5, s4
	s_cbranch_execz .LBB913_6
; %bb.5:
	flat_load_ushort v17, v[0:1] offset:64
	s_waitcnt vmcnt(0) lgkmcnt(0)
	v_xor_b32_e32 v99, 0x7fff, v17
.LBB913_6:
	s_or_b32 exec_lo, exec_lo, s5
	v_add_nc_u32_e32 v17, 64, v16
	v_mov_b32_e32 v117, -1
	v_mov_b32_e32 v103, -1
	v_cmp_lt_u32_e64 s5, v17, v183
	s_and_saveexec_b32 s6, s5
	s_cbranch_execz .LBB913_8
; %bb.7:
	flat_load_ushort v17, v[0:1] offset:128
	s_waitcnt vmcnt(0) lgkmcnt(0)
	v_xor_b32_e32 v103, 0x7fff, v17
.LBB913_8:
	s_or_b32 exec_lo, exec_lo, s6
	v_add_nc_u32_e32 v17, 0x60, v16
	v_cmp_lt_u32_e64 s6, v17, v183
	s_and_saveexec_b32 s7, s6
	s_cbranch_execz .LBB913_10
; %bb.9:
	flat_load_ushort v17, v[0:1] offset:192
	s_waitcnt vmcnt(0) lgkmcnt(0)
	v_xor_b32_e32 v117, 0x7fff, v17
.LBB913_10:
	s_or_b32 exec_lo, exec_lo, s7
	v_add_nc_u32_e32 v17, 0x80, v16
	v_mov_b32_e32 v119, -1
	v_mov_b32_e32 v145, -1
	v_cmp_lt_u32_e64 s7, v17, v183
	s_and_saveexec_b32 s10, s7
	s_cbranch_execz .LBB913_12
; %bb.11:
	flat_load_ushort v17, v[0:1] offset:256
	s_waitcnt vmcnt(0) lgkmcnt(0)
	v_xor_b32_e32 v145, 0x7fff, v17
.LBB913_12:
	;; [unrolled: 22-line block ×7, first 2 shown]
	s_or_b32 exec_lo, exec_lo, s15
	v_add_nc_u32_e32 v17, 0x1e0, v16
	v_cmp_lt_u32_e64 s19, v17, v183
	s_and_saveexec_b32 s15, s19
	s_cbranch_execz .LBB913_34
; %bb.33:
	flat_load_ushort v17, v[0:1] offset:960
	s_waitcnt vmcnt(0) lgkmcnt(0)
	v_xor_b32_e32 v125, 0x7fff, v17
.LBB913_34:
	s_or_b32 exec_lo, exec_lo, s15
	v_add_nc_u32_e32 v16, 0x200, v16
	v_mov_b32_e32 v127, -1
	v_cmp_lt_u32_e64 s15, v16, v183
	s_and_saveexec_b32 s24, s15
	s_cbranch_execz .LBB913_36
; %bb.35:
	flat_load_ushort v0, v[0:1] offset:1024
	s_waitcnt vmcnt(0) lgkmcnt(0)
	v_xor_b32_e32 v127, 0x7fff, v0
.LBB913_36:
	s_or_b32 exec_lo, exec_lo, s24
	v_lshlrev_b64 v[0:1], 3, v[8:9]
	v_lshlrev_b32_e32 v8, 3, v33
                                        ; implicit-def: $vgpr82_vgpr83
	v_add_co_u32 v9, s24, v4, v0
	v_add_co_ci_u32_e64 v16, null, v5, v1, s24
	v_lshlrev_b64 v[4:5], 3, v[14:15]
	v_add_co_u32 v8, s24, v9, v8
	v_add_co_ci_u32_e64 v9, null, 0, v16, s24
	v_add_co_u32 v4, s24, v8, v4
	v_add_co_ci_u32_e64 v5, null, v9, v5, s24
	s_and_saveexec_b32 s24, vcc_lo
	s_cbranch_execnz .LBB913_204
; %bb.37:
	s_or_b32 exec_lo, exec_lo, s24
                                        ; implicit-def: $vgpr86_vgpr87
	s_and_saveexec_b32 s24, s4
	s_cbranch_execnz .LBB913_205
.LBB913_38:
	s_or_b32 exec_lo, exec_lo, s24
                                        ; implicit-def: $vgpr80_vgpr81
	s_and_saveexec_b32 s4, s5
	s_cbranch_execnz .LBB913_206
.LBB913_39:
	s_or_b32 exec_lo, exec_lo, s4
                                        ; implicit-def: $vgpr84_vgpr85
	s_and_saveexec_b32 s4, s6
	s_cbranch_execnz .LBB913_207
.LBB913_40:
	s_or_b32 exec_lo, exec_lo, s4
                                        ; implicit-def: $vgpr96_vgpr97
	s_and_saveexec_b32 s4, s7
	s_cbranch_execnz .LBB913_208
.LBB913_41:
	s_or_b32 exec_lo, exec_lo, s4
                                        ; implicit-def: $vgpr114_vgpr115
	s_and_saveexec_b32 s4, s10
	s_cbranch_execnz .LBB913_209
.LBB913_42:
	s_or_b32 exec_lo, exec_lo, s4
                                        ; implicit-def: $vgpr112_vgpr113
	s_and_saveexec_b32 s4, s11
	s_cbranch_execnz .LBB913_210
.LBB913_43:
	s_or_b32 exec_lo, exec_lo, s4
                                        ; implicit-def: $vgpr129_vgpr130
	s_and_saveexec_b32 s4, s14
	s_cbranch_execnz .LBB913_211
.LBB913_44:
	s_or_b32 exec_lo, exec_lo, s4
                                        ; implicit-def: $vgpr131_vgpr132
	s_and_saveexec_b32 s4, s20
	s_cbranch_execnz .LBB913_212
.LBB913_45:
	s_or_b32 exec_lo, exec_lo, s4
                                        ; implicit-def: $vgpr134_vgpr135
	s_and_saveexec_b32 s4, s16
	s_cbranch_execnz .LBB913_213
.LBB913_46:
	s_or_b32 exec_lo, exec_lo, s4
                                        ; implicit-def: $vgpr177_vgpr178
	s_and_saveexec_b32 s4, s21
	s_cbranch_execnz .LBB913_214
.LBB913_47:
	s_or_b32 exec_lo, exec_lo, s4
                                        ; implicit-def: $vgpr179_vgpr180
	s_and_saveexec_b32 s4, s17
	s_cbranch_execnz .LBB913_215
.LBB913_48:
	s_or_b32 exec_lo, exec_lo, s4
                                        ; implicit-def: $vgpr181_vgpr182
	s_and_saveexec_b32 s4, s22
	s_cbranch_execnz .LBB913_216
.LBB913_49:
	s_or_b32 exec_lo, exec_lo, s4
                                        ; implicit-def: $vgpr192_vgpr193
	s_and_saveexec_b32 s4, s18
	s_cbranch_execnz .LBB913_217
.LBB913_50:
	s_or_b32 exec_lo, exec_lo, s4
                                        ; implicit-def: $vgpr194_vgpr195
	s_and_saveexec_b32 s4, s23
	s_cbranch_execnz .LBB913_218
.LBB913_51:
	s_or_b32 exec_lo, exec_lo, s4
                                        ; implicit-def: $vgpr210_vgpr211
	s_and_saveexec_b32 s4, s19
	s_cbranch_execnz .LBB913_219
.LBB913_52:
	s_or_b32 exec_lo, exec_lo, s4
                                        ; implicit-def: $vgpr230_vgpr231
	s_and_saveexec_b32 s4, s15
	s_cbranch_execz .LBB913_54
.LBB913_53:
	v_add_co_u32 v4, vcc_lo, 0x1000, v4
	v_add_co_ci_u32_e64 v5, null, 0, v5, vcc_lo
	flat_load_dwordx2 v[230:231], v[4:5]
.LBB913_54:
	s_or_b32 exec_lo, exec_lo, s4
	v_lshl_add_u32 v4, v18, 5, v12
	v_and_b32_e32 v5, 0x3e0, v18
	v_and_b32_e32 v8, 15, v33
	v_sub_co_u32 v14, s6, v33, 1
	v_add_nc_u32_e32 v17, 32, v4
	v_add_nc_u32_e32 v49, 36, v4
	;; [unrolled: 1-line block ×8, first 2 shown]
	v_min_u32_e32 v4, 0xe0, v5
	v_mul_u32_u24_e32 v5, 17, v5
	s_getpc_b64 s[4:5]
	s_add_u32 s4, s4, _ZN7rocprim17ROCPRIM_400000_NS16block_radix_sortIsLj256ELj17ElLj1ELj1ELj8ELNS0_26block_radix_rank_algorithmE2ELNS0_18block_padding_hintE2ELNS0_4arch9wavefront6targetE0EE19radix_bits_per_passE@rel32@lo+4
	s_addc_u32 s5, s5, _ZN7rocprim17ROCPRIM_400000_NS16block_radix_sortIsLj256ELj17ElLj1ELj1ELj8ELNS0_26block_radix_rank_algorithmE2ELNS0_18block_padding_hintE2ELNS0_4arch9wavefront6targetE0EE19radix_bits_per_passE@rel32@hi+12
	v_cmp_eq_u32_e32 vcc_lo, 0, v8
	s_load_dword s22, s[4:5], 0x0
	v_cmp_lt_u32_e64 s4, 1, v8
	v_or_b32_e32 v5, v33, v5
	v_cmp_lt_u32_e64 s5, 3, v8
	v_cmp_lt_u32_e64 s7, 7, v8
	v_and_b32_e32 v9, 16, v33
	v_cmp_gt_i32_e64 s14, 0, v14
	v_lshlrev_b32_e32 v8, 1, v5
	v_or_b32_e32 v4, 31, v4
	v_and_b32_e32 v16, 7, v33
	v_cmp_eq_u32_e64 s10, 0, v9
	v_cndmask_b32_e64 v14, v14, v33, s14
	v_add_co_u32 v8, s16, v12, v8
	v_add_co_ci_u32_e64 v9, null, 0, v13, s16
	v_cmp_eq_u32_e64 s11, v18, v4
	v_lshrrev_b32_e32 v4, 3, v18
	v_lshlrev_b32_e32 v72, 2, v14
	v_mad_u64_u32 v[14:15], null, v5, 6, v[8:9]
	v_lshrrev_b32_e32 v63, 5, v48
	v_and_b32_e32 v4, 0x7c, v4
	v_cmp_gt_u32_e64 s14, 8, v18
	v_cmp_lt_u32_e64 s15, 31, v18
	v_cmp_eq_u32_e64 s16, 0, v18
	v_mov_b32_e32 v5, 0
	v_add_nc_u32_e32 v9, v12, v4
	v_lshl_add_u32 v73, v18, 2, v12
	v_cmp_eq_u32_e64 s17, 0, v16
	v_cmp_lt_u32_e64 s18, 1, v16
	v_cmp_lt_u32_e64 s19, 3, v16
	v_add_nc_u32_e32 v74, 0x900, v14
	v_add_nc_u32_e32 v75, 0xa00, v14
	v_add_nc_u32_e32 v76, 0xb00, v14
	v_add_nc_u32_e32 v77, 0xc00, v14
	v_add_nc_u32_e32 v78, 0xd00, v14
	v_add_nc_u32_e32 v79, 0xe00, v14
	v_add_nc_u32_e32 v88, 0xf00, v14
	v_add_nc_u32_e32 v89, 0x1000, v14
	v_sub_nc_u32_e32 v90, v11, v10
	s_mov_b32 s23, 0
	s_waitcnt vmcnt(0) lgkmcnt(0)
	s_waitcnt_vscnt null, 0x0
	s_barrier
	buffer_gl0_inv
	s_branch .LBB913_56
.LBB913_55:                             ;   in Loop: Header=BB913_56 Depth=1
	s_or_b32 exec_lo, exec_lo, s21
	s_and_b32 s20, exec_lo, s24
	s_or_b32 s23, s20, s23
	s_andn2_b32 exec_lo, exec_lo, s23
	s_cbranch_execz .LBB913_98
.LBB913_56:                             ; =>This Inner Loop Header: Depth=1
	v_min_u32_e32 v4, s22, v90
	v_mov_b32_e32 v91, v101
	v_mov_b32_e32 v19, v82
	;; [unrolled: 1-line block ×4, first 2 shown]
	v_lshlrev_b32_e64 v4, v4, -1
	v_mov_b32_e32 v67, v81
	v_mov_b32_e32 v33, v84
	;; [unrolled: 1-line block ×4, first 2 shown]
	v_not_b32_e32 v83, v4
	v_lshrrev_b32_sdwa v4, v10, v91 dst_sel:DWORD dst_unused:UNUSED_PAD src0_sel:DWORD src1_sel:WORD_0
	v_mov_b32_e32 v31, v96
	v_mov_b32_e32 v29, v114
	;; [unrolled: 1-line block ×4, first 2 shown]
	v_and_b32_e32 v4, v4, v83
	v_mov_b32_e32 v35, v131
	v_mov_b32_e32 v64, v134
	;; [unrolled: 1-line block ×4, first 2 shown]
	v_and_b32_e32 v39, 1, v4
	v_lshlrev_b32_e32 v81, 30, v4
	v_lshlrev_b32_e32 v82, 29, v4
	;; [unrolled: 1-line block ×3, first 2 shown]
	v_mov_b32_e32 v37, v181
	v_add_co_u32 v39, s20, v39, -1
	v_cndmask_b32_e64 v80, 0, 1, s20
	v_mov_b32_e32 v27, v192
	v_mov_b32_e32 v25, v194
	;; [unrolled: 1-line block ×4, first 2 shown]
	v_cmp_ne_u32_e64 s20, 0, v80
	v_not_b32_e32 v80, v81
	v_mov_b32_e32 v16, v87
	v_mov_b32_e32 v32, v97
	;; [unrolled: 1-line block ×3, first 2 shown]
	v_xor_b32_e32 v39, s20, v39
	v_cmp_gt_i32_e64 s20, 0, v81
	v_ashrrev_i32_e32 v80, 31, v80
	v_not_b32_e32 v81, v82
	v_mov_b32_e32 v71, v113
	v_and_b32_e32 v39, exec_lo, v39
	v_mov_b32_e32 v69, v130
	v_xor_b32_e32 v80, s20, v80
	v_cmp_gt_i32_e64 s20, 0, v82
	v_ashrrev_i32_e32 v81, 31, v81
	v_not_b32_e32 v82, v84
	v_mov_b32_e32 v36, v132
	v_and_b32_e32 v39, v39, v80
	v_lshlrev_b32_e32 v80, 27, v4
	v_xor_b32_e32 v81, s20, v81
	v_cmp_gt_i32_e64 s20, 0, v84
	v_ashrrev_i32_e32 v82, 31, v82
	v_mov_b32_e32 v65, v135
	v_not_b32_e32 v84, v80
	v_and_b32_e32 v39, v39, v81
	v_lshlrev_b32_e32 v81, 26, v4
	v_xor_b32_e32 v82, s20, v82
	v_cmp_gt_i32_e64 s20, 0, v80
	v_ashrrev_i32_e32 v80, 31, v84
	v_mov_b32_e32 v55, v178
	v_not_b32_e32 v84, v81
	;; [unrolled: 7-line block ×3, first 2 shown]
	v_and_b32_e32 v39, v39, v80
	v_lshlrev_b32_e32 v80, 24, v4
	v_xor_b32_e32 v81, s20, v81
	v_cmp_gt_i32_e64 s20, 0, v82
	v_ashrrev_i32_e32 v82, 31, v84
	v_lshlrev_b32_e32 v4, 3, v4
	v_not_b32_e32 v84, v80
	v_and_b32_e32 v39, v39, v81
	v_mov_b32_e32 v38, v182
	v_xor_b32_e32 v81, s20, v82
	v_cmp_gt_i32_e64 s20, 0, v80
	v_ashrrev_i32_e32 v80, 31, v84
	v_mov_b32_e32 v28, v193
	v_mov_b32_e32 v26, v195
	v_and_b32_e32 v39, v39, v81
	v_mov_b32_e32 v24, v211
	v_xor_b32_e32 v80, s20, v80
	v_mov_b32_e32 v22, v231
	v_mov_b32_e32 v94, v99
	;; [unrolled: 1-line block ×4, first 2 shown]
	v_and_b32_e32 v80, v39, v80
	v_add_lshl_u32 v39, v4, v63, 2
	v_mov_b32_e32 v95, v145
	v_mov_b32_e32 v105, v119
	;; [unrolled: 1-line block ×3, first 2 shown]
	v_mbcnt_lo_u32_b32 v4, v80, 0
	v_add_co_u32 v39, null, v12, v39
	v_cmp_ne_u32_e64 s21, 0, v80
	v_mov_b32_e32 v106, v147
	v_cmp_eq_u32_e64 s20, 0, v4
	v_mov_b32_e32 v107, v161
	v_mov_b32_e32 v108, v151
	v_mov_b32_e32 v109, v165
	v_mov_b32_e32 v110, v163
	v_mov_b32_e32 v111, v167
	v_mov_b32_e32 v120, v124
	v_mov_b32_e32 v121, v126
	v_mov_b32_e32 v123, v125
	v_mov_b32_e32 v122, v127
	v_add_co_u32 v39, null, v39, 32
	s_and_b32 s21, s21, s20
	ds_write_b32 v17, v5
	ds_write_b32 v49, v5
	;; [unrolled: 1-line block ×8, first 2 shown]
	s_waitcnt lgkmcnt(0)
	s_barrier
	buffer_gl0_inv
	; wave barrier
	s_and_saveexec_b32 s20, s21
; %bb.57:                               ;   in Loop: Header=BB913_56 Depth=1
	v_bcnt_u32_b32 v80, v80, 0
	ds_write_b32 v39, v80
; %bb.58:                               ;   in Loop: Header=BB913_56 Depth=1
	s_or_b32 exec_lo, exec_lo, s20
	v_lshrrev_b32_sdwa v80, v10, v94 dst_sel:DWORD dst_unused:UNUSED_PAD src0_sel:DWORD src1_sel:WORD_0
	; wave barrier
	v_and_b32_e32 v80, v80, v83
	v_and_b32_e32 v81, 1, v80
	v_lshlrev_b32_e32 v82, 30, v80
	v_lshlrev_b32_e32 v84, 29, v80
	;; [unrolled: 1-line block ×4, first 2 shown]
	v_add_co_u32 v81, s20, v81, -1
	v_cndmask_b32_e64 v86, 0, 1, s20
	v_not_b32_e32 v98, v82
	v_cmp_gt_i32_e64 s21, 0, v82
	v_not_b32_e32 v82, v84
	v_lshlrev_b32_e32 v96, 26, v80
	v_cmp_ne_u32_e64 s20, 0, v86
	v_ashrrev_i32_e32 v98, 31, v98
	v_lshlrev_b32_e32 v97, 25, v80
	v_ashrrev_i32_e32 v82, 31, v82
	v_lshlrev_b32_e32 v86, 24, v80
	v_xor_b32_e32 v81, s20, v81
	v_cmp_gt_i32_e64 s20, 0, v84
	v_not_b32_e32 v84, v85
	v_xor_b32_e32 v98, s21, v98
	v_cmp_gt_i32_e64 s21, 0, v85
	v_and_b32_e32 v81, exec_lo, v81
	v_not_b32_e32 v85, v87
	v_ashrrev_i32_e32 v84, 31, v84
	v_xor_b32_e32 v82, s20, v82
	v_cmp_gt_i32_e64 s20, 0, v87
	v_and_b32_e32 v81, v81, v98
	v_not_b32_e32 v87, v96
	v_ashrrev_i32_e32 v85, 31, v85
	v_xor_b32_e32 v84, s21, v84
	v_cmp_gt_i32_e64 s21, 0, v96
	v_and_b32_e32 v81, v81, v82
	;; [unrolled: 5-line block ×3, first 2 shown]
	v_not_b32_e32 v84, v86
	v_ashrrev_i32_e32 v82, 31, v82
	v_xor_b32_e32 v87, s21, v87
	v_lshl_add_u32 v80, v80, 3, v63
	v_and_b32_e32 v81, v81, v85
	v_cmp_gt_i32_e64 s21, 0, v86
	v_ashrrev_i32_e32 v84, 31, v84
	v_xor_b32_e32 v82, s20, v82
	v_lshl_add_u32 v85, v80, 2, v12
	v_and_b32_e32 v81, v81, v87
	v_xor_b32_e32 v84, s21, v84
	ds_read_b32 v80, v85 offset:32
	v_and_b32_e32 v81, v81, v82
	v_add_nc_u32_e32 v82, 32, v85
	; wave barrier
	v_and_b32_e32 v84, v81, v84
	v_mbcnt_lo_u32_b32 v81, v84, 0
	v_cmp_ne_u32_e64 s21, 0, v84
	v_cmp_eq_u32_e64 s20, 0, v81
	s_and_b32 s21, s21, s20
	s_and_saveexec_b32 s20, s21
	s_cbranch_execz .LBB913_60
; %bb.59:                               ;   in Loop: Header=BB913_56 Depth=1
	s_waitcnt lgkmcnt(0)
	v_bcnt_u32_b32 v84, v84, v80
	ds_write_b32 v82, v84
.LBB913_60:                             ;   in Loop: Header=BB913_56 Depth=1
	s_or_b32 exec_lo, exec_lo, s20
	v_lshrrev_b32_sdwa v84, v10, v93 dst_sel:DWORD dst_unused:UNUSED_PAD src0_sel:DWORD src1_sel:WORD_0
	; wave barrier
	v_and_b32_e32 v84, v84, v83
	v_and_b32_e32 v85, 1, v84
	v_lshlrev_b32_e32 v86, 30, v84
	v_lshlrev_b32_e32 v87, 29, v84
	;; [unrolled: 1-line block ×4, first 2 shown]
	v_add_co_u32 v85, s20, v85, -1
	v_cndmask_b32_e64 v97, 0, 1, s20
	v_not_b32_e32 v101, v86
	v_cmp_gt_i32_e64 s21, 0, v86
	v_not_b32_e32 v86, v87
	v_lshlrev_b32_e32 v99, 26, v84
	v_cmp_ne_u32_e64 s20, 0, v97
	v_ashrrev_i32_e32 v101, 31, v101
	v_lshlrev_b32_e32 v100, 25, v84
	v_ashrrev_i32_e32 v86, 31, v86
	v_lshlrev_b32_e32 v97, 24, v84
	v_xor_b32_e32 v85, s20, v85
	v_cmp_gt_i32_e64 s20, 0, v87
	v_not_b32_e32 v87, v96
	v_xor_b32_e32 v101, s21, v101
	v_cmp_gt_i32_e64 s21, 0, v96
	v_and_b32_e32 v85, exec_lo, v85
	v_not_b32_e32 v96, v98
	v_ashrrev_i32_e32 v87, 31, v87
	v_xor_b32_e32 v86, s20, v86
	v_cmp_gt_i32_e64 s20, 0, v98
	v_and_b32_e32 v85, v85, v101
	v_not_b32_e32 v98, v99
	v_ashrrev_i32_e32 v96, 31, v96
	v_xor_b32_e32 v87, s21, v87
	v_cmp_gt_i32_e64 s21, 0, v99
	v_and_b32_e32 v85, v85, v86
	;; [unrolled: 5-line block ×3, first 2 shown]
	v_not_b32_e32 v87, v97
	v_ashrrev_i32_e32 v86, 31, v86
	v_xor_b32_e32 v98, s21, v98
	v_lshl_add_u32 v84, v84, 3, v63
	v_and_b32_e32 v85, v85, v96
	v_cmp_gt_i32_e64 s21, 0, v97
	v_ashrrev_i32_e32 v87, 31, v87
	v_xor_b32_e32 v86, s20, v86
	v_lshl_add_u32 v96, v84, 2, v12
	v_and_b32_e32 v85, v85, v98
	v_xor_b32_e32 v87, s21, v87
	ds_read_b32 v84, v96 offset:32
	v_and_b32_e32 v85, v85, v86
	v_add_nc_u32_e32 v86, 32, v96
	; wave barrier
	v_and_b32_e32 v87, v85, v87
	v_mbcnt_lo_u32_b32 v85, v87, 0
	v_cmp_ne_u32_e64 s21, 0, v87
	v_cmp_eq_u32_e64 s20, 0, v85
	s_and_b32 s21, s21, s20
	s_and_saveexec_b32 s20, s21
	s_cbranch_execz .LBB913_62
; %bb.61:                               ;   in Loop: Header=BB913_56 Depth=1
	s_waitcnt lgkmcnt(0)
	v_bcnt_u32_b32 v87, v87, v84
	ds_write_b32 v86, v87
.LBB913_62:                             ;   in Loop: Header=BB913_56 Depth=1
	s_or_b32 exec_lo, exec_lo, s20
	v_lshrrev_b32_sdwa v87, v10, v92 dst_sel:DWORD dst_unused:UNUSED_PAD src0_sel:DWORD src1_sel:WORD_0
	; wave barrier
	v_and_b32_e32 v87, v87, v83
	v_and_b32_e32 v96, 1, v87
	v_lshlrev_b32_e32 v97, 30, v87
	v_lshlrev_b32_e32 v98, 29, v87
	;; [unrolled: 1-line block ×4, first 2 shown]
	v_add_co_u32 v96, s20, v96, -1
	v_cndmask_b32_e64 v100, 0, 1, s20
	v_not_b32_e32 v112, v97
	v_cmp_gt_i32_e64 s21, 0, v97
	v_not_b32_e32 v97, v98
	v_lshlrev_b32_e32 v102, 26, v87
	v_cmp_ne_u32_e64 s20, 0, v100
	v_ashrrev_i32_e32 v112, 31, v112
	v_lshlrev_b32_e32 v103, 25, v87
	v_ashrrev_i32_e32 v97, 31, v97
	v_lshlrev_b32_e32 v100, 24, v87
	v_xor_b32_e32 v96, s20, v96
	v_cmp_gt_i32_e64 s20, 0, v98
	v_not_b32_e32 v98, v99
	v_xor_b32_e32 v112, s21, v112
	v_cmp_gt_i32_e64 s21, 0, v99
	v_and_b32_e32 v96, exec_lo, v96
	v_not_b32_e32 v99, v101
	v_ashrrev_i32_e32 v98, 31, v98
	v_xor_b32_e32 v97, s20, v97
	v_cmp_gt_i32_e64 s20, 0, v101
	v_and_b32_e32 v96, v96, v112
	v_not_b32_e32 v101, v102
	v_ashrrev_i32_e32 v99, 31, v99
	v_xor_b32_e32 v98, s21, v98
	v_cmp_gt_i32_e64 s21, 0, v102
	v_and_b32_e32 v96, v96, v97
	v_not_b32_e32 v97, v103
	v_ashrrev_i32_e32 v101, 31, v101
	v_xor_b32_e32 v99, s20, v99
	v_cmp_gt_i32_e64 s20, 0, v103
	v_and_b32_e32 v96, v96, v98
	v_not_b32_e32 v98, v100
	v_ashrrev_i32_e32 v97, 31, v97
	v_xor_b32_e32 v101, s21, v101
	v_lshl_add_u32 v87, v87, 3, v63
	v_and_b32_e32 v96, v96, v99
	v_cmp_gt_i32_e64 s21, 0, v100
	v_ashrrev_i32_e32 v98, 31, v98
	v_xor_b32_e32 v97, s20, v97
	v_lshl_add_u32 v99, v87, 2, v12
	v_and_b32_e32 v96, v96, v101
	v_xor_b32_e32 v98, s21, v98
	ds_read_b32 v87, v99 offset:32
	v_and_b32_e32 v96, v96, v97
	v_add_nc_u32_e32 v97, 32, v99
	; wave barrier
	v_and_b32_e32 v98, v96, v98
	v_mbcnt_lo_u32_b32 v96, v98, 0
	v_cmp_ne_u32_e64 s21, 0, v98
	v_cmp_eq_u32_e64 s20, 0, v96
	s_and_b32 s21, s21, s20
	s_and_saveexec_b32 s20, s21
	s_cbranch_execz .LBB913_64
; %bb.63:                               ;   in Loop: Header=BB913_56 Depth=1
	s_waitcnt lgkmcnt(0)
	v_bcnt_u32_b32 v98, v98, v87
	ds_write_b32 v97, v98
.LBB913_64:                             ;   in Loop: Header=BB913_56 Depth=1
	s_or_b32 exec_lo, exec_lo, s20
	v_lshrrev_b32_sdwa v98, v10, v95 dst_sel:DWORD dst_unused:UNUSED_PAD src0_sel:DWORD src1_sel:WORD_0
	; wave barrier
	v_and_b32_e32 v98, v98, v83
	v_and_b32_e32 v99, 1, v98
	v_lshlrev_b32_e32 v100, 30, v98
	v_lshlrev_b32_e32 v101, 29, v98
	;; [unrolled: 1-line block ×4, first 2 shown]
	v_add_co_u32 v99, s20, v99, -1
	v_cndmask_b32_e64 v103, 0, 1, s20
	v_not_b32_e32 v115, v100
	v_cmp_gt_i32_e64 s21, 0, v100
	v_not_b32_e32 v100, v101
	v_lshlrev_b32_e32 v113, 26, v98
	v_cmp_ne_u32_e64 s20, 0, v103
	v_ashrrev_i32_e32 v115, 31, v115
	v_lshlrev_b32_e32 v114, 25, v98
	v_ashrrev_i32_e32 v100, 31, v100
	v_lshlrev_b32_e32 v103, 24, v98
	v_xor_b32_e32 v99, s20, v99
	v_cmp_gt_i32_e64 s20, 0, v101
	v_not_b32_e32 v101, v102
	v_xor_b32_e32 v115, s21, v115
	v_cmp_gt_i32_e64 s21, 0, v102
	v_and_b32_e32 v99, exec_lo, v99
	v_not_b32_e32 v102, v112
	v_ashrrev_i32_e32 v101, 31, v101
	v_xor_b32_e32 v100, s20, v100
	v_cmp_gt_i32_e64 s20, 0, v112
	v_and_b32_e32 v99, v99, v115
	v_not_b32_e32 v112, v113
	v_ashrrev_i32_e32 v102, 31, v102
	v_xor_b32_e32 v101, s21, v101
	v_cmp_gt_i32_e64 s21, 0, v113
	v_and_b32_e32 v99, v99, v100
	;; [unrolled: 5-line block ×3, first 2 shown]
	v_not_b32_e32 v101, v103
	v_ashrrev_i32_e32 v100, 31, v100
	v_xor_b32_e32 v112, s21, v112
	v_lshl_add_u32 v98, v98, 3, v63
	v_and_b32_e32 v99, v99, v102
	v_cmp_gt_i32_e64 s21, 0, v103
	v_ashrrev_i32_e32 v101, 31, v101
	v_xor_b32_e32 v100, s20, v100
	v_lshl_add_u32 v98, v98, 2, v12
	v_and_b32_e32 v99, v99, v112
	v_xor_b32_e32 v101, s21, v101
	ds_read_b32 v112, v98 offset:32
	v_and_b32_e32 v99, v99, v100
	v_add_nc_u32_e32 v98, 32, v98
	; wave barrier
	v_and_b32_e32 v99, v99, v101
	v_mbcnt_lo_u32_b32 v113, v99, 0
	v_cmp_ne_u32_e64 s21, 0, v99
	v_cmp_eq_u32_e64 s20, 0, v113
	s_and_b32 s21, s21, s20
	s_and_saveexec_b32 s20, s21
	s_cbranch_execz .LBB913_66
; %bb.65:                               ;   in Loop: Header=BB913_56 Depth=1
	s_waitcnt lgkmcnt(0)
	v_bcnt_u32_b32 v99, v99, v112
	ds_write_b32 v98, v99
.LBB913_66:                             ;   in Loop: Header=BB913_56 Depth=1
	s_or_b32 exec_lo, exec_lo, s20
	v_lshrrev_b32_sdwa v99, v10, v105 dst_sel:DWORD dst_unused:UNUSED_PAD src0_sel:DWORD src1_sel:WORD_0
	; wave barrier
	v_and_b32_e32 v99, v99, v83
	v_and_b32_e32 v100, 1, v99
	v_lshlrev_b32_e32 v101, 30, v99
	v_lshlrev_b32_e32 v102, 29, v99
	;; [unrolled: 1-line block ×4, first 2 shown]
	v_add_co_u32 v100, s20, v100, -1
	v_cndmask_b32_e64 v114, 0, 1, s20
	v_not_b32_e32 v118, v101
	v_cmp_gt_i32_e64 s21, 0, v101
	v_not_b32_e32 v101, v102
	v_lshlrev_b32_e32 v116, 26, v99
	v_cmp_ne_u32_e64 s20, 0, v114
	v_ashrrev_i32_e32 v118, 31, v118
	v_lshlrev_b32_e32 v117, 25, v99
	v_ashrrev_i32_e32 v101, 31, v101
	v_lshlrev_b32_e32 v114, 24, v99
	v_xor_b32_e32 v100, s20, v100
	v_cmp_gt_i32_e64 s20, 0, v102
	v_not_b32_e32 v102, v103
	v_xor_b32_e32 v118, s21, v118
	v_cmp_gt_i32_e64 s21, 0, v103
	v_and_b32_e32 v100, exec_lo, v100
	v_not_b32_e32 v103, v115
	v_ashrrev_i32_e32 v102, 31, v102
	v_xor_b32_e32 v101, s20, v101
	v_cmp_gt_i32_e64 s20, 0, v115
	v_and_b32_e32 v100, v100, v118
	v_not_b32_e32 v115, v116
	v_ashrrev_i32_e32 v103, 31, v103
	v_xor_b32_e32 v102, s21, v102
	v_cmp_gt_i32_e64 s21, 0, v116
	v_and_b32_e32 v100, v100, v101
	;; [unrolled: 5-line block ×3, first 2 shown]
	v_not_b32_e32 v102, v114
	v_ashrrev_i32_e32 v101, 31, v101
	v_xor_b32_e32 v115, s21, v115
	v_lshl_add_u32 v99, v99, 3, v63
	v_and_b32_e32 v100, v100, v103
	v_cmp_gt_i32_e64 s21, 0, v114
	v_ashrrev_i32_e32 v102, 31, v102
	v_xor_b32_e32 v101, s20, v101
	v_lshl_add_u32 v103, v99, 2, v12
	v_and_b32_e32 v100, v100, v115
	v_xor_b32_e32 v99, s21, v102
	ds_read_b32 v114, v103 offset:32
	v_and_b32_e32 v100, v100, v101
	; wave barrier
	v_and_b32_e32 v99, v100, v99
	v_add_nc_u32_e32 v100, 32, v103
	v_mbcnt_lo_u32_b32 v115, v99, 0
	v_cmp_ne_u32_e64 s21, 0, v99
	v_cmp_eq_u32_e64 s20, 0, v115
	s_and_b32 s21, s21, s20
	s_and_saveexec_b32 s20, s21
	s_cbranch_execz .LBB913_68
; %bb.67:                               ;   in Loop: Header=BB913_56 Depth=1
	s_waitcnt lgkmcnt(0)
	v_bcnt_u32_b32 v99, v99, v114
	ds_write_b32 v100, v99
.LBB913_68:                             ;   in Loop: Header=BB913_56 Depth=1
	s_or_b32 exec_lo, exec_lo, s20
	v_lshrrev_b32_sdwa v99, v10, v104 dst_sel:DWORD dst_unused:UNUSED_PAD src0_sel:DWORD src1_sel:WORD_0
	; wave barrier
	v_and_b32_e32 v99, v99, v83
	v_and_b32_e32 v101, 1, v99
	v_lshlrev_b32_e32 v102, 30, v99
	v_lshlrev_b32_e32 v103, 29, v99
	;; [unrolled: 1-line block ×4, first 2 shown]
	v_add_co_u32 v101, s20, v101, -1
	v_cndmask_b32_e64 v117, 0, 1, s20
	v_not_b32_e32 v129, v102
	v_cmp_gt_i32_e64 s21, 0, v102
	v_not_b32_e32 v102, v103
	v_lshlrev_b32_e32 v119, 26, v99
	v_cmp_ne_u32_e64 s20, 0, v117
	v_ashrrev_i32_e32 v129, 31, v129
	v_lshlrev_b32_e32 v128, 25, v99
	v_ashrrev_i32_e32 v102, 31, v102
	v_lshlrev_b32_e32 v117, 24, v99
	v_xor_b32_e32 v101, s20, v101
	v_cmp_gt_i32_e64 s20, 0, v103
	v_not_b32_e32 v103, v116
	v_xor_b32_e32 v129, s21, v129
	v_cmp_gt_i32_e64 s21, 0, v116
	v_and_b32_e32 v101, exec_lo, v101
	v_not_b32_e32 v116, v118
	v_ashrrev_i32_e32 v103, 31, v103
	v_xor_b32_e32 v102, s20, v102
	v_cmp_gt_i32_e64 s20, 0, v118
	v_and_b32_e32 v101, v101, v129
	v_not_b32_e32 v118, v119
	v_ashrrev_i32_e32 v116, 31, v116
	v_xor_b32_e32 v103, s21, v103
	v_cmp_gt_i32_e64 s21, 0, v119
	v_and_b32_e32 v101, v101, v102
	;; [unrolled: 5-line block ×3, first 2 shown]
	v_not_b32_e32 v103, v117
	v_ashrrev_i32_e32 v102, 31, v102
	v_xor_b32_e32 v118, s21, v118
	v_lshl_add_u32 v99, v99, 3, v63
	v_and_b32_e32 v101, v101, v116
	v_cmp_gt_i32_e64 s21, 0, v117
	v_ashrrev_i32_e32 v103, 31, v103
	v_xor_b32_e32 v102, s20, v102
	v_lshl_add_u32 v116, v99, 2, v12
	v_and_b32_e32 v101, v101, v118
	v_xor_b32_e32 v99, s21, v103
	ds_read_b32 v128, v116 offset:32
	v_and_b32_e32 v101, v101, v102
	v_add_nc_u32_e32 v102, 32, v116
	; wave barrier
	v_and_b32_e32 v99, v101, v99
	v_mbcnt_lo_u32_b32 v130, v99, 0
	v_cmp_ne_u32_e64 s21, 0, v99
	v_cmp_eq_u32_e64 s20, 0, v130
	s_and_b32 s21, s21, s20
	s_and_saveexec_b32 s20, s21
	s_cbranch_execz .LBB913_70
; %bb.69:                               ;   in Loop: Header=BB913_56 Depth=1
	s_waitcnt lgkmcnt(0)
	v_bcnt_u32_b32 v99, v99, v128
	ds_write_b32 v102, v99
.LBB913_70:                             ;   in Loop: Header=BB913_56 Depth=1
	s_or_b32 exec_lo, exec_lo, s20
	v_lshrrev_b32_sdwa v99, v10, v106 dst_sel:DWORD dst_unused:UNUSED_PAD src0_sel:DWORD src1_sel:WORD_0
	; wave barrier
	v_and_b32_e32 v99, v99, v83
	v_and_b32_e32 v101, 1, v99
	v_lshlrev_b32_e32 v103, 30, v99
	v_lshlrev_b32_e32 v116, 29, v99
	;; [unrolled: 1-line block ×4, first 2 shown]
	v_add_co_u32 v101, s20, v101, -1
	v_cndmask_b32_e64 v118, 0, 1, s20
	v_not_b32_e32 v132, v103
	v_cmp_gt_i32_e64 s21, 0, v103
	v_not_b32_e32 v103, v116
	v_lshlrev_b32_e32 v129, 26, v99
	v_cmp_ne_u32_e64 s20, 0, v118
	v_ashrrev_i32_e32 v132, 31, v132
	v_lshlrev_b32_e32 v131, 25, v99
	v_ashrrev_i32_e32 v103, 31, v103
	v_lshlrev_b32_e32 v118, 24, v99
	v_xor_b32_e32 v101, s20, v101
	v_cmp_gt_i32_e64 s20, 0, v116
	v_not_b32_e32 v116, v117
	v_xor_b32_e32 v132, s21, v132
	v_cmp_gt_i32_e64 s21, 0, v117
	v_and_b32_e32 v101, exec_lo, v101
	v_not_b32_e32 v117, v119
	v_ashrrev_i32_e32 v116, 31, v116
	v_xor_b32_e32 v103, s20, v103
	v_cmp_gt_i32_e64 s20, 0, v119
	v_and_b32_e32 v101, v101, v132
	v_not_b32_e32 v119, v129
	v_ashrrev_i32_e32 v117, 31, v117
	v_xor_b32_e32 v116, s21, v116
	v_cmp_gt_i32_e64 s21, 0, v129
	v_and_b32_e32 v101, v101, v103
	;; [unrolled: 5-line block ×3, first 2 shown]
	v_not_b32_e32 v116, v118
	v_ashrrev_i32_e32 v103, 31, v103
	v_xor_b32_e32 v119, s21, v119
	v_lshl_add_u32 v99, v99, 3, v63
	v_and_b32_e32 v101, v101, v117
	v_cmp_gt_i32_e64 s21, 0, v118
	v_ashrrev_i32_e32 v116, 31, v116
	v_xor_b32_e32 v103, s20, v103
	v_lshl_add_u32 v117, v99, 2, v12
	v_and_b32_e32 v101, v101, v119
	v_xor_b32_e32 v99, s21, v116
	ds_read_b32 v131, v117 offset:32
	v_and_b32_e32 v101, v101, v103
	v_add_nc_u32_e32 v116, 32, v117
	; wave barrier
	v_and_b32_e32 v99, v101, v99
	v_mbcnt_lo_u32_b32 v132, v99, 0
	v_cmp_ne_u32_e64 s21, 0, v99
	v_cmp_eq_u32_e64 s20, 0, v132
	s_and_b32 s21, s21, s20
	s_and_saveexec_b32 s20, s21
	s_cbranch_execz .LBB913_72
; %bb.71:                               ;   in Loop: Header=BB913_56 Depth=1
	s_waitcnt lgkmcnt(0)
	v_bcnt_u32_b32 v99, v99, v131
	ds_write_b32 v116, v99
.LBB913_72:                             ;   in Loop: Header=BB913_56 Depth=1
	s_or_b32 exec_lo, exec_lo, s20
	v_lshrrev_b32_sdwa v99, v10, v107 dst_sel:DWORD dst_unused:UNUSED_PAD src0_sel:DWORD src1_sel:WORD_0
	; wave barrier
	v_and_b32_e32 v99, v99, v83
	v_and_b32_e32 v101, 1, v99
	v_lshlrev_b32_e32 v103, 30, v99
	v_lshlrev_b32_e32 v117, 29, v99
	;; [unrolled: 1-line block ×4, first 2 shown]
	v_add_co_u32 v101, s20, v101, -1
	v_cndmask_b32_e64 v119, 0, 1, s20
	v_not_b32_e32 v135, v103
	v_cmp_gt_i32_e64 s21, 0, v103
	v_not_b32_e32 v103, v117
	v_lshlrev_b32_e32 v133, 26, v99
	v_cmp_ne_u32_e64 s20, 0, v119
	v_ashrrev_i32_e32 v135, 31, v135
	v_lshlrev_b32_e32 v134, 25, v99
	v_ashrrev_i32_e32 v103, 31, v103
	v_lshlrev_b32_e32 v119, 24, v99
	v_xor_b32_e32 v101, s20, v101
	v_cmp_gt_i32_e64 s20, 0, v117
	v_not_b32_e32 v117, v118
	v_xor_b32_e32 v135, s21, v135
	v_cmp_gt_i32_e64 s21, 0, v118
	v_and_b32_e32 v101, exec_lo, v101
	v_not_b32_e32 v118, v129
	v_ashrrev_i32_e32 v117, 31, v117
	v_xor_b32_e32 v103, s20, v103
	v_cmp_gt_i32_e64 s20, 0, v129
	v_and_b32_e32 v101, v101, v135
	v_not_b32_e32 v129, v133
	v_ashrrev_i32_e32 v118, 31, v118
	v_xor_b32_e32 v117, s21, v117
	v_cmp_gt_i32_e64 s21, 0, v133
	v_and_b32_e32 v101, v101, v103
	v_not_b32_e32 v103, v134
	v_ashrrev_i32_e32 v129, 31, v129
	v_xor_b32_e32 v118, s20, v118
	v_cmp_gt_i32_e64 s20, 0, v134
	v_and_b32_e32 v101, v101, v117
	v_not_b32_e32 v117, v119
	v_ashrrev_i32_e32 v103, 31, v103
	v_xor_b32_e32 v129, s21, v129
	v_lshl_add_u32 v99, v99, 3, v63
	v_and_b32_e32 v101, v101, v118
	v_cmp_gt_i32_e64 s21, 0, v119
	v_ashrrev_i32_e32 v117, 31, v117
	v_xor_b32_e32 v103, s20, v103
	v_lshl_add_u32 v118, v99, 2, v12
	v_and_b32_e32 v101, v101, v129
	v_xor_b32_e32 v99, s21, v117
	ds_read_b32 v133, v118 offset:32
	v_and_b32_e32 v101, v101, v103
	v_add_nc_u32_e32 v118, 32, v118
	; wave barrier
	v_and_b32_e32 v99, v101, v99
	v_mbcnt_lo_u32_b32 v134, v99, 0
	v_cmp_ne_u32_e64 s21, 0, v99
	v_cmp_eq_u32_e64 s20, 0, v134
	s_and_b32 s21, s21, s20
	s_and_saveexec_b32 s20, s21
	s_cbranch_execz .LBB913_74
; %bb.73:                               ;   in Loop: Header=BB913_56 Depth=1
	s_waitcnt lgkmcnt(0)
	v_bcnt_u32_b32 v99, v99, v133
	ds_write_b32 v118, v99
.LBB913_74:                             ;   in Loop: Header=BB913_56 Depth=1
	s_or_b32 exec_lo, exec_lo, s20
	v_lshrrev_b32_sdwa v99, v10, v108 dst_sel:DWORD dst_unused:UNUSED_PAD src0_sel:DWORD src1_sel:WORD_0
	; wave barrier
	v_and_b32_e32 v99, v99, v83
	v_and_b32_e32 v101, 1, v99
	v_lshlrev_b32_e32 v103, 30, v99
	v_lshlrev_b32_e32 v117, 29, v99
	;; [unrolled: 1-line block ×4, first 2 shown]
	v_add_co_u32 v101, s20, v101, -1
	v_cndmask_b32_e64 v129, 0, 1, s20
	v_not_b32_e32 v146, v103
	v_cmp_gt_i32_e64 s21, 0, v103
	v_not_b32_e32 v103, v117
	v_lshlrev_b32_e32 v144, 26, v99
	v_cmp_ne_u32_e64 s20, 0, v129
	v_ashrrev_i32_e32 v146, 31, v146
	v_lshlrev_b32_e32 v145, 25, v99
	v_ashrrev_i32_e32 v103, 31, v103
	v_lshlrev_b32_e32 v129, 24, v99
	v_xor_b32_e32 v101, s20, v101
	v_cmp_gt_i32_e64 s20, 0, v117
	v_not_b32_e32 v117, v119
	v_xor_b32_e32 v146, s21, v146
	v_cmp_gt_i32_e64 s21, 0, v119
	v_and_b32_e32 v101, exec_lo, v101
	v_not_b32_e32 v119, v135
	v_ashrrev_i32_e32 v117, 31, v117
	v_xor_b32_e32 v103, s20, v103
	v_cmp_gt_i32_e64 s20, 0, v135
	v_and_b32_e32 v101, v101, v146
	v_not_b32_e32 v135, v144
	v_ashrrev_i32_e32 v119, 31, v119
	v_xor_b32_e32 v117, s21, v117
	v_cmp_gt_i32_e64 s21, 0, v144
	v_and_b32_e32 v101, v101, v103
	;; [unrolled: 5-line block ×3, first 2 shown]
	v_not_b32_e32 v117, v129
	v_ashrrev_i32_e32 v103, 31, v103
	v_xor_b32_e32 v135, s21, v135
	v_lshl_add_u32 v99, v99, 3, v63
	v_and_b32_e32 v101, v101, v119
	v_cmp_gt_i32_e64 s21, 0, v129
	v_ashrrev_i32_e32 v117, 31, v117
	v_xor_b32_e32 v103, s20, v103
	v_lshl_add_u32 v119, v99, 2, v12
	v_and_b32_e32 v101, v101, v135
	v_xor_b32_e32 v99, s21, v117
	ds_read_b32 v135, v119 offset:32
	v_and_b32_e32 v101, v101, v103
	v_add_nc_u32_e32 v145, 32, v119
	; wave barrier
	v_and_b32_e32 v99, v101, v99
	v_mbcnt_lo_u32_b32 v144, v99, 0
	v_cmp_ne_u32_e64 s21, 0, v99
	v_cmp_eq_u32_e64 s20, 0, v144
	s_and_b32 s21, s21, s20
	s_and_saveexec_b32 s20, s21
	s_cbranch_execz .LBB913_76
; %bb.75:                               ;   in Loop: Header=BB913_56 Depth=1
	s_waitcnt lgkmcnt(0)
	v_bcnt_u32_b32 v99, v99, v135
	ds_write_b32 v145, v99
.LBB913_76:                             ;   in Loop: Header=BB913_56 Depth=1
	s_or_b32 exec_lo, exec_lo, s20
	v_lshrrev_b32_sdwa v99, v10, v109 dst_sel:DWORD dst_unused:UNUSED_PAD src0_sel:DWORD src1_sel:WORD_0
	; wave barrier
	v_and_b32_e32 v99, v99, v83
	v_and_b32_e32 v101, 1, v99
	v_lshlrev_b32_e32 v103, 30, v99
	v_lshlrev_b32_e32 v117, 29, v99
	;; [unrolled: 1-line block ×4, first 2 shown]
	v_add_co_u32 v101, s20, v101, -1
	v_cndmask_b32_e64 v129, 0, 1, s20
	v_not_b32_e32 v149, v103
	v_cmp_gt_i32_e64 s21, 0, v103
	v_not_b32_e32 v103, v117
	v_lshlrev_b32_e32 v147, 26, v99
	v_cmp_ne_u32_e64 s20, 0, v129
	v_ashrrev_i32_e32 v149, 31, v149
	v_lshlrev_b32_e32 v148, 25, v99
	v_ashrrev_i32_e32 v103, 31, v103
	v_lshlrev_b32_e32 v129, 24, v99
	v_xor_b32_e32 v101, s20, v101
	v_cmp_gt_i32_e64 s20, 0, v117
	v_not_b32_e32 v117, v119
	v_xor_b32_e32 v149, s21, v149
	v_cmp_gt_i32_e64 s21, 0, v119
	v_and_b32_e32 v101, exec_lo, v101
	v_not_b32_e32 v119, v146
	v_ashrrev_i32_e32 v117, 31, v117
	v_xor_b32_e32 v103, s20, v103
	v_cmp_gt_i32_e64 s20, 0, v146
	v_and_b32_e32 v101, v101, v149
	v_not_b32_e32 v146, v147
	v_ashrrev_i32_e32 v119, 31, v119
	v_xor_b32_e32 v117, s21, v117
	v_cmp_gt_i32_e64 s21, 0, v147
	v_and_b32_e32 v101, v101, v103
	;; [unrolled: 5-line block ×3, first 2 shown]
	v_not_b32_e32 v117, v129
	v_ashrrev_i32_e32 v103, 31, v103
	v_xor_b32_e32 v146, s21, v146
	v_lshl_add_u32 v99, v99, 3, v63
	v_and_b32_e32 v101, v101, v119
	v_cmp_gt_i32_e64 s21, 0, v129
	v_ashrrev_i32_e32 v117, 31, v117
	v_xor_b32_e32 v103, s20, v103
	v_lshl_add_u32 v119, v99, 2, v12
	v_and_b32_e32 v101, v101, v146
	v_xor_b32_e32 v99, s21, v117
	ds_read_b32 v148, v119 offset:32
	v_and_b32_e32 v101, v101, v103
	v_add_nc_u32_e32 v146, 32, v119
	; wave barrier
	v_and_b32_e32 v99, v101, v99
	v_mbcnt_lo_u32_b32 v149, v99, 0
	v_cmp_ne_u32_e64 s21, 0, v99
	v_cmp_eq_u32_e64 s20, 0, v149
	s_and_b32 s21, s21, s20
	s_and_saveexec_b32 s20, s21
	s_cbranch_execz .LBB913_78
; %bb.77:                               ;   in Loop: Header=BB913_56 Depth=1
	s_waitcnt lgkmcnt(0)
	v_bcnt_u32_b32 v99, v99, v148
	ds_write_b32 v146, v99
.LBB913_78:                             ;   in Loop: Header=BB913_56 Depth=1
	s_or_b32 exec_lo, exec_lo, s20
	v_lshrrev_b32_sdwa v99, v10, v110 dst_sel:DWORD dst_unused:UNUSED_PAD src0_sel:DWORD src1_sel:WORD_0
	; wave barrier
	v_and_b32_e32 v99, v99, v83
	v_and_b32_e32 v101, 1, v99
	v_lshlrev_b32_e32 v103, 30, v99
	v_lshlrev_b32_e32 v117, 29, v99
	;; [unrolled: 1-line block ×4, first 2 shown]
	v_add_co_u32 v101, s20, v101, -1
	v_cndmask_b32_e64 v129, 0, 1, s20
	v_not_b32_e32 v160, v103
	v_cmp_gt_i32_e64 s21, 0, v103
	v_not_b32_e32 v103, v117
	v_lshlrev_b32_e32 v150, 26, v99
	v_cmp_ne_u32_e64 s20, 0, v129
	v_ashrrev_i32_e32 v160, 31, v160
	v_lshlrev_b32_e32 v151, 25, v99
	v_ashrrev_i32_e32 v103, 31, v103
	v_lshlrev_b32_e32 v129, 24, v99
	v_xor_b32_e32 v101, s20, v101
	v_cmp_gt_i32_e64 s20, 0, v117
	v_not_b32_e32 v117, v119
	v_xor_b32_e32 v160, s21, v160
	v_cmp_gt_i32_e64 s21, 0, v119
	v_and_b32_e32 v101, exec_lo, v101
	v_not_b32_e32 v119, v147
	v_ashrrev_i32_e32 v117, 31, v117
	v_xor_b32_e32 v103, s20, v103
	v_cmp_gt_i32_e64 s20, 0, v147
	v_and_b32_e32 v101, v101, v160
	v_not_b32_e32 v147, v150
	v_ashrrev_i32_e32 v119, 31, v119
	v_xor_b32_e32 v117, s21, v117
	v_cmp_gt_i32_e64 s21, 0, v150
	v_and_b32_e32 v101, v101, v103
	v_not_b32_e32 v103, v151
	v_ashrrev_i32_e32 v147, 31, v147
	v_xor_b32_e32 v119, s20, v119
	v_cmp_gt_i32_e64 s20, 0, v151
	v_and_b32_e32 v101, v101, v117
	v_not_b32_e32 v117, v129
	v_ashrrev_i32_e32 v103, 31, v103
	v_xor_b32_e32 v147, s21, v147
	v_lshl_add_u32 v99, v99, 3, v63
	v_and_b32_e32 v101, v101, v119
	v_cmp_gt_i32_e64 s21, 0, v129
	v_ashrrev_i32_e32 v117, 31, v117
	v_xor_b32_e32 v103, s20, v103
	v_lshl_add_u32 v119, v99, 2, v12
	v_and_b32_e32 v101, v101, v147
	v_xor_b32_e32 v99, s21, v117
	ds_read_b32 v160, v119 offset:32
	v_and_b32_e32 v101, v101, v103
	v_add_nc_u32_e32 v147, 32, v119
	; wave barrier
	v_and_b32_e32 v99, v101, v99
	v_mbcnt_lo_u32_b32 v161, v99, 0
	v_cmp_ne_u32_e64 s21, 0, v99
	v_cmp_eq_u32_e64 s20, 0, v161
	s_and_b32 s21, s21, s20
	s_and_saveexec_b32 s20, s21
	s_cbranch_execz .LBB913_80
; %bb.79:                               ;   in Loop: Header=BB913_56 Depth=1
	s_waitcnt lgkmcnt(0)
	v_bcnt_u32_b32 v99, v99, v160
	ds_write_b32 v147, v99
.LBB913_80:                             ;   in Loop: Header=BB913_56 Depth=1
	s_or_b32 exec_lo, exec_lo, s20
	v_lshrrev_b32_sdwa v99, v10, v111 dst_sel:DWORD dst_unused:UNUSED_PAD src0_sel:DWORD src1_sel:WORD_0
	; wave barrier
	v_and_b32_e32 v99, v99, v83
	v_and_b32_e32 v101, 1, v99
	v_lshlrev_b32_e32 v103, 30, v99
	v_lshlrev_b32_e32 v117, 29, v99
	;; [unrolled: 1-line block ×4, first 2 shown]
	v_add_co_u32 v101, s20, v101, -1
	v_cndmask_b32_e64 v129, 0, 1, s20
	v_not_b32_e32 v163, v103
	v_cmp_gt_i32_e64 s21, 0, v103
	v_not_b32_e32 v103, v117
	v_lshlrev_b32_e32 v151, 26, v99
	v_cmp_ne_u32_e64 s20, 0, v129
	v_ashrrev_i32_e32 v163, 31, v163
	v_lshlrev_b32_e32 v162, 25, v99
	v_ashrrev_i32_e32 v103, 31, v103
	v_lshlrev_b32_e32 v129, 24, v99
	v_xor_b32_e32 v101, s20, v101
	v_cmp_gt_i32_e64 s20, 0, v117
	v_not_b32_e32 v117, v119
	v_xor_b32_e32 v163, s21, v163
	v_cmp_gt_i32_e64 s21, 0, v119
	v_and_b32_e32 v101, exec_lo, v101
	v_not_b32_e32 v119, v150
	v_ashrrev_i32_e32 v117, 31, v117
	v_xor_b32_e32 v103, s20, v103
	v_cmp_gt_i32_e64 s20, 0, v150
	v_and_b32_e32 v101, v101, v163
	v_not_b32_e32 v150, v151
	v_ashrrev_i32_e32 v119, 31, v119
	v_xor_b32_e32 v117, s21, v117
	v_cmp_gt_i32_e64 s21, 0, v151
	v_and_b32_e32 v101, v101, v103
	v_not_b32_e32 v103, v162
	v_ashrrev_i32_e32 v150, 31, v150
	v_xor_b32_e32 v119, s20, v119
	v_cmp_gt_i32_e64 s20, 0, v162
	v_and_b32_e32 v101, v101, v117
	v_not_b32_e32 v117, v129
	v_ashrrev_i32_e32 v103, 31, v103
	v_xor_b32_e32 v150, s21, v150
	v_lshl_add_u32 v99, v99, 3, v63
	v_and_b32_e32 v101, v101, v119
	v_cmp_gt_i32_e64 s21, 0, v129
	v_ashrrev_i32_e32 v117, 31, v117
	v_xor_b32_e32 v103, s20, v103
	v_lshl_add_u32 v119, v99, 2, v12
	v_and_b32_e32 v101, v101, v150
	v_xor_b32_e32 v99, s21, v117
	ds_read_b32 v162, v119 offset:32
	v_and_b32_e32 v101, v101, v103
	v_add_nc_u32_e32 v150, 32, v119
	; wave barrier
	v_and_b32_e32 v99, v101, v99
	v_mbcnt_lo_u32_b32 v163, v99, 0
	v_cmp_ne_u32_e64 s21, 0, v99
	v_cmp_eq_u32_e64 s20, 0, v163
	s_and_b32 s21, s21, s20
	s_and_saveexec_b32 s20, s21
	s_cbranch_execz .LBB913_82
; %bb.81:                               ;   in Loop: Header=BB913_56 Depth=1
	s_waitcnt lgkmcnt(0)
	v_bcnt_u32_b32 v99, v99, v162
	ds_write_b32 v150, v99
.LBB913_82:                             ;   in Loop: Header=BB913_56 Depth=1
	s_or_b32 exec_lo, exec_lo, s20
	v_lshrrev_b32_sdwa v99, v10, v120 dst_sel:DWORD dst_unused:UNUSED_PAD src0_sel:DWORD src1_sel:WORD_0
	; wave barrier
	v_and_b32_e32 v99, v99, v83
	v_and_b32_e32 v101, 1, v99
	v_lshlrev_b32_e32 v103, 30, v99
	v_lshlrev_b32_e32 v117, 29, v99
	;; [unrolled: 1-line block ×4, first 2 shown]
	v_add_co_u32 v101, s20, v101, -1
	v_cndmask_b32_e64 v129, 0, 1, s20
	v_not_b32_e32 v166, v103
	v_cmp_gt_i32_e64 s21, 0, v103
	v_not_b32_e32 v103, v117
	v_lshlrev_b32_e32 v164, 26, v99
	v_cmp_ne_u32_e64 s20, 0, v129
	v_ashrrev_i32_e32 v166, 31, v166
	v_lshlrev_b32_e32 v165, 25, v99
	v_ashrrev_i32_e32 v103, 31, v103
	v_lshlrev_b32_e32 v129, 24, v99
	v_xor_b32_e32 v101, s20, v101
	v_cmp_gt_i32_e64 s20, 0, v117
	v_not_b32_e32 v117, v119
	v_xor_b32_e32 v166, s21, v166
	v_cmp_gt_i32_e64 s21, 0, v119
	v_and_b32_e32 v101, exec_lo, v101
	v_not_b32_e32 v119, v151
	v_ashrrev_i32_e32 v117, 31, v117
	v_xor_b32_e32 v103, s20, v103
	v_cmp_gt_i32_e64 s20, 0, v151
	v_and_b32_e32 v101, v101, v166
	v_not_b32_e32 v151, v164
	v_ashrrev_i32_e32 v119, 31, v119
	v_xor_b32_e32 v117, s21, v117
	v_cmp_gt_i32_e64 s21, 0, v164
	v_and_b32_e32 v101, v101, v103
	v_not_b32_e32 v103, v165
	v_ashrrev_i32_e32 v151, 31, v151
	v_xor_b32_e32 v119, s20, v119
	v_cmp_gt_i32_e64 s20, 0, v165
	v_and_b32_e32 v101, v101, v117
	v_not_b32_e32 v117, v129
	v_ashrrev_i32_e32 v103, 31, v103
	v_xor_b32_e32 v151, s21, v151
	v_lshl_add_u32 v99, v99, 3, v63
	v_and_b32_e32 v101, v101, v119
	v_cmp_gt_i32_e64 s21, 0, v129
	v_ashrrev_i32_e32 v117, 31, v117
	v_xor_b32_e32 v103, s20, v103
	v_lshl_add_u32 v119, v99, 2, v12
	v_and_b32_e32 v101, v101, v151
	v_xor_b32_e32 v99, s21, v117
	ds_read_b32 v165, v119 offset:32
	v_and_b32_e32 v101, v101, v103
	v_add_nc_u32_e32 v151, 32, v119
	; wave barrier
	v_and_b32_e32 v99, v101, v99
	v_mbcnt_lo_u32_b32 v167, v99, 0
	v_cmp_ne_u32_e64 s21, 0, v99
	v_cmp_eq_u32_e64 s20, 0, v167
	s_and_b32 s21, s21, s20
	s_and_saveexec_b32 s20, s21
	s_cbranch_execz .LBB913_84
; %bb.83:                               ;   in Loop: Header=BB913_56 Depth=1
	s_waitcnt lgkmcnt(0)
	v_bcnt_u32_b32 v99, v99, v165
	ds_write_b32 v151, v99
.LBB913_84:                             ;   in Loop: Header=BB913_56 Depth=1
	s_or_b32 exec_lo, exec_lo, s20
	v_lshrrev_b32_sdwa v99, v10, v121 dst_sel:DWORD dst_unused:UNUSED_PAD src0_sel:DWORD src1_sel:WORD_0
	; wave barrier
	v_and_b32_e32 v99, v99, v83
	v_and_b32_e32 v101, 1, v99
	v_lshlrev_b32_e32 v103, 30, v99
	v_lshlrev_b32_e32 v117, 29, v99
	;; [unrolled: 1-line block ×4, first 2 shown]
	v_add_co_u32 v101, s20, v101, -1
	v_cndmask_b32_e64 v129, 0, 1, s20
	v_not_b32_e32 v177, v103
	v_cmp_gt_i32_e64 s21, 0, v103
	v_not_b32_e32 v103, v117
	v_lshlrev_b32_e32 v166, 26, v99
	v_cmp_ne_u32_e64 s20, 0, v129
	v_ashrrev_i32_e32 v177, 31, v177
	v_lshlrev_b32_e32 v176, 25, v99
	v_ashrrev_i32_e32 v103, 31, v103
	v_lshlrev_b32_e32 v129, 24, v99
	v_xor_b32_e32 v101, s20, v101
	v_cmp_gt_i32_e64 s20, 0, v117
	v_not_b32_e32 v117, v119
	v_xor_b32_e32 v177, s21, v177
	v_cmp_gt_i32_e64 s21, 0, v119
	v_and_b32_e32 v101, exec_lo, v101
	v_not_b32_e32 v119, v164
	v_ashrrev_i32_e32 v117, 31, v117
	v_xor_b32_e32 v103, s20, v103
	v_cmp_gt_i32_e64 s20, 0, v164
	v_and_b32_e32 v101, v101, v177
	v_not_b32_e32 v164, v166
	v_ashrrev_i32_e32 v119, 31, v119
	v_xor_b32_e32 v117, s21, v117
	v_cmp_gt_i32_e64 s21, 0, v166
	v_and_b32_e32 v101, v101, v103
	;; [unrolled: 5-line block ×3, first 2 shown]
	v_not_b32_e32 v117, v129
	v_ashrrev_i32_e32 v103, 31, v103
	v_xor_b32_e32 v164, s21, v164
	v_lshl_add_u32 v99, v99, 3, v63
	v_and_b32_e32 v101, v101, v119
	v_cmp_gt_i32_e64 s21, 0, v129
	v_ashrrev_i32_e32 v117, 31, v117
	v_xor_b32_e32 v103, s20, v103
	v_lshl_add_u32 v119, v99, 2, v12
	v_and_b32_e32 v101, v101, v164
	v_xor_b32_e32 v99, s21, v117
	ds_read_b32 v177, v119 offset:32
	v_and_b32_e32 v101, v101, v103
	v_add_nc_u32_e32 v164, 32, v119
	; wave barrier
	v_and_b32_e32 v99, v101, v99
	v_mbcnt_lo_u32_b32 v178, v99, 0
	v_cmp_ne_u32_e64 s21, 0, v99
	v_cmp_eq_u32_e64 s20, 0, v178
	s_and_b32 s21, s21, s20
	s_and_saveexec_b32 s20, s21
	s_cbranch_execz .LBB913_86
; %bb.85:                               ;   in Loop: Header=BB913_56 Depth=1
	s_waitcnt lgkmcnt(0)
	v_bcnt_u32_b32 v99, v99, v177
	ds_write_b32 v164, v99
.LBB913_86:                             ;   in Loop: Header=BB913_56 Depth=1
	s_or_b32 exec_lo, exec_lo, s20
	v_lshrrev_b32_sdwa v99, v10, v123 dst_sel:DWORD dst_unused:UNUSED_PAD src0_sel:DWORD src1_sel:WORD_0
	; wave barrier
	v_and_b32_e32 v99, v99, v83
	v_and_b32_e32 v101, 1, v99
	v_lshlrev_b32_e32 v103, 30, v99
	v_lshlrev_b32_e32 v117, 29, v99
	;; [unrolled: 1-line block ×4, first 2 shown]
	v_add_co_u32 v101, s20, v101, -1
	v_cndmask_b32_e64 v129, 0, 1, s20
	v_not_b32_e32 v180, v103
	v_cmp_gt_i32_e64 s21, 0, v103
	v_not_b32_e32 v103, v117
	v_lshlrev_b32_e32 v176, 26, v99
	v_cmp_ne_u32_e64 s20, 0, v129
	v_ashrrev_i32_e32 v180, 31, v180
	v_lshlrev_b32_e32 v179, 25, v99
	v_ashrrev_i32_e32 v103, 31, v103
	v_lshlrev_b32_e32 v129, 24, v99
	v_xor_b32_e32 v101, s20, v101
	v_cmp_gt_i32_e64 s20, 0, v117
	v_not_b32_e32 v117, v119
	v_xor_b32_e32 v180, s21, v180
	v_cmp_gt_i32_e64 s21, 0, v119
	v_and_b32_e32 v101, exec_lo, v101
	v_not_b32_e32 v119, v166
	v_ashrrev_i32_e32 v117, 31, v117
	v_xor_b32_e32 v103, s20, v103
	v_cmp_gt_i32_e64 s20, 0, v166
	v_and_b32_e32 v101, v101, v180
	v_not_b32_e32 v166, v176
	v_ashrrev_i32_e32 v119, 31, v119
	v_xor_b32_e32 v117, s21, v117
	v_cmp_gt_i32_e64 s21, 0, v176
	v_and_b32_e32 v101, v101, v103
	;; [unrolled: 5-line block ×3, first 2 shown]
	v_not_b32_e32 v117, v129
	v_ashrrev_i32_e32 v103, 31, v103
	v_xor_b32_e32 v166, s21, v166
	v_lshl_add_u32 v99, v99, 3, v63
	v_and_b32_e32 v101, v101, v119
	v_cmp_gt_i32_e64 s21, 0, v129
	v_ashrrev_i32_e32 v117, 31, v117
	v_xor_b32_e32 v103, s20, v103
	v_lshl_add_u32 v119, v99, 2, v12
	v_and_b32_e32 v101, v101, v166
	v_xor_b32_e32 v99, s21, v117
	ds_read_b32 v179, v119 offset:32
	v_and_b32_e32 v101, v101, v103
	v_add_nc_u32_e32 v166, 32, v119
	; wave barrier
	v_and_b32_e32 v99, v101, v99
	v_mbcnt_lo_u32_b32 v180, v99, 0
	v_cmp_ne_u32_e64 s21, 0, v99
	v_cmp_eq_u32_e64 s20, 0, v180
	s_and_b32 s21, s21, s20
	s_and_saveexec_b32 s20, s21
	s_cbranch_execz .LBB913_88
; %bb.87:                               ;   in Loop: Header=BB913_56 Depth=1
	s_waitcnt lgkmcnt(0)
	v_bcnt_u32_b32 v99, v99, v179
	ds_write_b32 v166, v99
.LBB913_88:                             ;   in Loop: Header=BB913_56 Depth=1
	s_or_b32 exec_lo, exec_lo, s20
	v_lshrrev_b32_sdwa v99, v10, v122 dst_sel:DWORD dst_unused:UNUSED_PAD src0_sel:DWORD src1_sel:WORD_0
	; wave barrier
	v_and_b32_e32 v83, v99, v83
	v_and_b32_e32 v99, 1, v83
	v_lshlrev_b32_e32 v101, 30, v83
	v_lshlrev_b32_e32 v103, 29, v83
	;; [unrolled: 1-line block ×4, first 2 shown]
	v_add_co_u32 v99, s20, v99, -1
	v_cndmask_b32_e64 v119, 0, 1, s20
	v_not_b32_e32 v182, v101
	v_cmp_gt_i32_e64 s21, 0, v101
	v_not_b32_e32 v101, v103
	v_lshlrev_b32_e32 v176, 26, v83
	v_cmp_ne_u32_e64 s20, 0, v119
	v_ashrrev_i32_e32 v182, 31, v182
	v_lshlrev_b32_e32 v181, 25, v83
	v_ashrrev_i32_e32 v101, 31, v101
	v_lshlrev_b32_e32 v119, 24, v83
	v_xor_b32_e32 v99, s20, v99
	v_cmp_gt_i32_e64 s20, 0, v103
	v_not_b32_e32 v103, v117
	v_xor_b32_e32 v182, s21, v182
	v_cmp_gt_i32_e64 s21, 0, v117
	v_and_b32_e32 v99, exec_lo, v99
	v_not_b32_e32 v117, v129
	v_ashrrev_i32_e32 v103, 31, v103
	v_xor_b32_e32 v101, s20, v101
	v_cmp_gt_i32_e64 s20, 0, v129
	v_and_b32_e32 v99, v99, v182
	v_not_b32_e32 v129, v176
	v_ashrrev_i32_e32 v117, 31, v117
	v_xor_b32_e32 v103, s21, v103
	v_cmp_gt_i32_e64 s21, 0, v176
	v_and_b32_e32 v99, v99, v101
	;; [unrolled: 5-line block ×3, first 2 shown]
	v_not_b32_e32 v103, v119
	v_ashrrev_i32_e32 v101, 31, v101
	v_xor_b32_e32 v129, s21, v129
	v_lshl_add_u32 v83, v83, 3, v63
	v_and_b32_e32 v99, v99, v117
	v_cmp_gt_i32_e64 s21, 0, v119
	v_ashrrev_i32_e32 v103, 31, v103
	v_xor_b32_e32 v101, s20, v101
	v_lshl_add_u32 v117, v83, 2, v12
	v_and_b32_e32 v99, v99, v129
	v_xor_b32_e32 v103, s21, v103
	ds_read_b32 v83, v117 offset:32
	v_and_b32_e32 v99, v99, v101
	v_add_nc_u32_e32 v176, 32, v117
	; wave barrier
	v_and_b32_e32 v99, v99, v103
	v_mbcnt_lo_u32_b32 v181, v99, 0
	v_cmp_ne_u32_e64 s21, 0, v99
	v_cmp_eq_u32_e64 s20, 0, v181
	s_and_b32 s21, s21, s20
	s_and_saveexec_b32 s20, s21
	s_cbranch_execz .LBB913_90
; %bb.89:                               ;   in Loop: Header=BB913_56 Depth=1
	s_waitcnt lgkmcnt(0)
	v_bcnt_u32_b32 v99, v99, v83
	ds_write_b32 v176, v99
.LBB913_90:                             ;   in Loop: Header=BB913_56 Depth=1
	s_or_b32 exec_lo, exec_lo, s20
	; wave barrier
	s_waitcnt lgkmcnt(0)
	s_barrier
	buffer_gl0_inv
	ds_read_b32 v99, v17
	ds_read_b32 v103, v49
	;; [unrolled: 1-line block ×8, first 2 shown]
	s_waitcnt lgkmcnt(6)
	v_add_nc_u32_e32 v193, v103, v99
	s_waitcnt lgkmcnt(4)
	v_add3_u32 v193, v193, v117, v119
	s_waitcnt lgkmcnt(2)
	v_add3_u32 v193, v193, v101, v129
	;; [unrolled: 2-line block ×3, first 2 shown]
	v_mov_b32_dpp v193, v192 row_shr:1 row_mask:0xf bank_mask:0xf
	v_cndmask_b32_e64 v193, v193, 0, vcc_lo
	v_add_nc_u32_e32 v192, v193, v192
	v_mov_b32_dpp v193, v192 row_shr:2 row_mask:0xf bank_mask:0xf
	v_cndmask_b32_e64 v193, 0, v193, s4
	v_add_nc_u32_e32 v192, v192, v193
	v_mov_b32_dpp v193, v192 row_shr:4 row_mask:0xf bank_mask:0xf
	v_cndmask_b32_e64 v193, 0, v193, s5
	;; [unrolled: 3-line block ×3, first 2 shown]
	v_add_nc_u32_e32 v192, v192, v193
	ds_swizzle_b32 v193, v192 offset:swizzle(BROADCAST,32,15)
	s_waitcnt lgkmcnt(0)
	v_cndmask_b32_e64 v193, v193, 0, s10
	v_add_nc_u32_e32 v192, v192, v193
	s_and_saveexec_b32 s20, s11
; %bb.91:                               ;   in Loop: Header=BB913_56 Depth=1
	ds_write_b32 v9, v192
; %bb.92:                               ;   in Loop: Header=BB913_56 Depth=1
	s_or_b32 exec_lo, exec_lo, s20
	s_waitcnt lgkmcnt(0)
	s_barrier
	buffer_gl0_inv
	s_and_saveexec_b32 s20, s14
	s_cbranch_execz .LBB913_94
; %bb.93:                               ;   in Loop: Header=BB913_56 Depth=1
	ds_read_b32 v193, v73
	s_waitcnt lgkmcnt(0)
	v_mov_b32_dpp v194, v193 row_shr:1 row_mask:0xf bank_mask:0xf
	v_cndmask_b32_e64 v194, v194, 0, s17
	v_add_nc_u32_e32 v193, v194, v193
	v_mov_b32_dpp v194, v193 row_shr:2 row_mask:0xf bank_mask:0xf
	v_cndmask_b32_e64 v194, 0, v194, s18
	v_add_nc_u32_e32 v193, v193, v194
	;; [unrolled: 3-line block ×3, first 2 shown]
	ds_write_b32 v73, v193
.LBB913_94:                             ;   in Loop: Header=BB913_56 Depth=1
	s_or_b32 exec_lo, exec_lo, s20
	v_mov_b32_e32 v193, 0
	s_waitcnt lgkmcnt(0)
	s_barrier
	buffer_gl0_inv
	s_and_saveexec_b32 s20, s15
; %bb.95:                               ;   in Loop: Header=BB913_56 Depth=1
	v_add_nc_u32_e32 v193, -4, v9
	ds_read_b32 v193, v193
; %bb.96:                               ;   in Loop: Header=BB913_56 Depth=1
	s_or_b32 exec_lo, exec_lo, s20
	s_waitcnt lgkmcnt(0)
	v_add_nc_u32_e32 v192, v193, v192
	v_add_nc_u32_e32 v10, 8, v10
	s_mov_b32 s24, -1
                                        ; implicit-def: $vgpr230_vgpr231
                                        ; implicit-def: $vgpr124
                                        ; implicit-def: $vgpr126
                                        ; implicit-def: $vgpr125
                                        ; implicit-def: $vgpr127
	ds_bpermute_b32 v192, v72, v192
	v_cmp_lt_u32_e64 s20, v10, v11
	s_waitcnt lgkmcnt(0)
	v_cndmask_b32_e64 v192, v192, v193, s6
	v_cndmask_b32_e64 v192, v192, 0, s16
	v_add_nc_u32_e32 v193, v192, v99
	v_mov_b32_e32 v99, v5
	v_add_nc_u32_e32 v194, v193, v103
	v_mov_b32_e32 v103, v5
	ds_write_b32 v17, v192
	ds_write_b32 v49, v193
	;; [unrolled: 1-line block ×3, first 2 shown]
	v_add_nc_u32_e32 v195, v194, v117
	v_mov_b32_e32 v117, v5
	v_add_nc_u32_e32 v196, v195, v119
	v_mov_b32_e32 v119, v5
	;; [unrolled: 2-line block ×4, first 2 shown]
	v_add_nc_u32_e32 v182, v198, v182
	ds_write_b32 v58, v195
	ds_write_b32 v59, v196
	;; [unrolled: 1-line block ×5, first 2 shown]
	s_waitcnt lgkmcnt(0)
	s_barrier
	buffer_gl0_inv
	ds_read_b32 v39, v39
	ds_read_b32 v82, v82
	;; [unrolled: 1-line block ×17, first 2 shown]
	v_mov_b32_e32 v147, v5
	v_mov_b32_e32 v151, v5
	s_waitcnt lgkmcnt(0)
	v_add_nc_u32_e32 v4, v39, v4
	v_add3_u32 v98, v81, v80, v82
	v_add3_u32 v100, v85, v84, v86
	;; [unrolled: 1-line block ×4, first 2 shown]
	v_lshlrev_b64 v[80:81], 1, v[4:5]
	v_add3_u32 v118, v115, v114, v192
	v_lshlrev_b64 v[84:85], 1, v[100:101]
	v_add3_u32 v150, v134, v133, v195
	;; [unrolled: 2-line block ×3, first 2 shown]
	v_add_co_u32 v196, s21, v12, v80
	v_add3_u32 v128, v130, v128, v193
	v_add3_u32 v164, v161, v160, v197
	;; [unrolled: 1-line block ×4, first 2 shown]
	v_lshlrev_b64 v[82:83], 1, v[98:99]
	v_lshlrev_b64 v[96:97], 1, v[116:117]
	v_add_co_ci_u32_e64 v197, null, v13, v81, s21
	v_add3_u32 v146, v132, v131, v194
	v_add3_u32 v160, v167, v165, v199
	v_add_co_u32 v198, s21, v12, v82
	v_add3_u32 v148, v178, v177, v208
	v_lshlrev_b64 v[112:113], 1, v[118:119]
	v_add_co_ci_u32_e64 v199, null, v13, v83, s21
	v_add_co_u32 v208, s21, v12, v84
	v_add3_u32 v176, v144, v135, v145
	v_add3_u32 v144, v180, v179, v209
	v_lshlrev_b64 v[114:115], 1, v[128:129]
	v_add_co_ci_u32_e64 v209, null, v13, v85, s21
	v_add_co_u32 v212, s21, v12, v86
	v_lshlrev_b64 v[129:130], 1, v[146:147]
	v_add_co_ci_u32_e64 v213, null, v13, v87, s21
	v_add_co_u32 v214, s21, v12, v96
	v_add_co_ci_u32_e64 v215, null, v13, v97, s21
	v_add_co_u32 v224, s21, v12, v112
	v_lshlrev_b64 v[80:81], 1, v[150:151]
	v_mov_b32_e32 v177, v5
	v_add_co_ci_u32_e64 v225, null, v13, v113, s21
	v_add_co_u32 v226, s21, v12, v114
	v_mov_b32_e32 v167, v5
	v_add_co_ci_u32_e64 v227, null, v13, v115, s21
	v_add_co_u32 v228, s21, v12, v129
	v_add_co_ci_u32_e64 v229, null, v13, v130, s21
	v_lshlrev_b64 v[82:83], 1, v[176:177]
	v_add_co_u32 v240, s21, v12, v80
	v_add_co_ci_u32_e64 v241, null, v13, v81, s21
	v_lshlrev_b64 v[80:81], 1, v[166:167]
	v_mov_b32_e32 v165, v5
	v_mov_b32_e32 v163, v5
	v_add_co_u32 v242, s21, v12, v82
	v_add_co_ci_u32_e64 v243, null, v13, v83, s21
	v_lshlrev_b64 v[82:83], 1, v[164:165]
	v_add_co_u32 v244, s21, v12, v80
	v_add_co_ci_u32_e64 v245, null, v13, v81, s21
	v_lshlrev_b64 v[80:81], 1, v[162:163]
	v_mov_b32_e32 v161, v5
	v_mov_b32_e32 v149, v5
	;; [unrolled: 8-line block ×3, first 2 shown]
	v_add_co_u32 v41, s21, v12, v82
	v_add_co_ci_u32_e64 v42, null, v13, v83, s21
	v_lshlrev_b64 v[82:83], 1, v[144:145]
	v_add_co_u32 v45, s21, v12, v80
	v_add_co_ci_u32_e64 v46, null, v13, v81, s21
	v_lshlrev_b64 v[80:81], 1, v[133:134]
	v_add_co_u32 v56, s21, v12, v82
	v_add_co_ci_u32_e64 v57, null, v13, v83, s21
                                        ; implicit-def: $vgpr82_vgpr83
                                        ; implicit-def: $vgpr86_vgpr87
                                        ; implicit-def: $vgpr84_vgpr85
                                        ; implicit-def: $vgpr96_vgpr97
                                        ; implicit-def: $vgpr114_vgpr115
                                        ; implicit-def: $vgpr112_vgpr113
                                        ; implicit-def: $vgpr129_vgpr130
                                        ; implicit-def: $vgpr131_vgpr132
                                        ; implicit-def: $vgpr134_vgpr135
                                        ; implicit-def: $vgpr177_vgpr178
                                        ; implicit-def: $vgpr179_vgpr180
                                        ; implicit-def: $vgpr181_vgpr182
                                        ; implicit-def: $vgpr192_vgpr193
                                        ; implicit-def: $vgpr194_vgpr195
                                        ; implicit-def: $vgpr210_vgpr211
                                        ; implicit-def: $vgpr101
                                        ; implicit-def: $vgpr99
                                        ; implicit-def: $vgpr103
                                        ; implicit-def: $vgpr117
                                        ; implicit-def: $vgpr145
                                        ; implicit-def: $vgpr119
                                        ; implicit-def: $vgpr149
                                        ; implicit-def: $vgpr147
                                        ; implicit-def: $vgpr161
                                        ; implicit-def: $vgpr151
                                        ; implicit-def: $vgpr165
                                        ; implicit-def: $vgpr163
                                        ; implicit-def: $vgpr167
	v_add_co_u32 v43, s21, v12, v80
	v_add_co_ci_u32_e64 v44, null, v13, v81, s21
                                        ; implicit-def: $vgpr80_vgpr81
	s_and_saveexec_b32 s21, s20
	s_cbranch_execz .LBB913_55
; %bb.97:                               ;   in Loop: Header=BB913_56 Depth=1
	v_add_nc_u32_e32 v80, 64, v8
	v_add_nc_u32_e32 v81, 0x80, v8
	s_barrier
	buffer_gl0_inv
	ds_write_b16 v196, v91
	ds_write_b16 v198, v94
	;; [unrolled: 1-line block ×17, first 2 shown]
	s_waitcnt lgkmcnt(0)
	s_barrier
	buffer_gl0_inv
	ds_read_u16 v101, v8
	ds_read_u16 v99, v80
	;; [unrolled: 1-line block ×3, first 2 shown]
	v_add_nc_u32_e32 v80, 0xc0, v8
	v_add_nc_u32_e32 v81, 0x100, v8
	;; [unrolled: 1-line block ×5, first 2 shown]
	ds_read_u16 v117, v80
	ds_read_u16 v145, v81
	;; [unrolled: 1-line block ×5, first 2 shown]
	v_add_nc_u32_e32 v80, 0x200, v8
	v_add_nc_u32_e32 v81, 0x240, v8
	;; [unrolled: 1-line block ×5, first 2 shown]
	ds_read_u16 v161, v80
	ds_read_u16 v151, v81
	;; [unrolled: 1-line block ×5, first 2 shown]
	v_mad_u64_u32 v[80:81], null, v4, 6, v[196:197]
	v_add_nc_u32_e32 v82, 0x340, v8
	v_add_nc_u32_e32 v83, 0x380, v8
	;; [unrolled: 1-line block ×4, first 2 shown]
	ds_read_u16 v124, v82
	ds_read_u16 v126, v83
	;; [unrolled: 1-line block ×4, first 2 shown]
	s_waitcnt lgkmcnt(0)
	s_barrier
	buffer_gl0_inv
	ds_write_b64 v80, v[19:20]
	v_mad_u64_u32 v[80:81], null, v98, 6, v[198:199]
	v_mad_u64_u32 v[81:82], null, v100, 6, v[208:209]
	;; [unrolled: 1-line block ×8, first 2 shown]
	ds_write_b64 v80, v[15:16]
	ds_write_b64 v81, v[66:67]
	;; [unrolled: 1-line block ×8, first 2 shown]
	v_mad_u64_u32 v[80:81], null, v176, 6, v[242:243]
	v_mad_u64_u32 v[81:82], null, v166, 6, v[244:245]
	;; [unrolled: 1-line block ×8, first 2 shown]
	ds_write_b64 v80, v[64:65]
	ds_write_b64 v81, v[54:55]
	;; [unrolled: 1-line block ×8, first 2 shown]
	v_add_nc_u32_e32 v96, 0x400, v14
	v_add_nc_u32_e32 v80, 0x100, v14
	;; [unrolled: 1-line block ×8, first 2 shown]
	s_waitcnt lgkmcnt(0)
	s_barrier
	buffer_gl0_inv
	ds_read_b64 v[82:83], v14
	ds_read_b64 v[86:87], v80
	;; [unrolled: 1-line block ×17, first 2 shown]
	v_add_nc_u32_e32 v90, -8, v90
	s_xor_b32 s24, exec_lo, -1
	s_waitcnt lgkmcnt(0)
	s_barrier
	buffer_gl0_inv
	s_branch .LBB913_55
.LBB913_98:
	s_or_b32 exec_lo, exec_lo, s23
	v_lshl_add_u32 v5, v18, 1, v12
	v_lshl_add_u32 v4, v4, 3, v12
	;; [unrolled: 1-line block ×4, first 2 shown]
	s_barrier
	buffer_gl0_inv
	ds_write_b16 v196, v91
	ds_write_b16 v198, v94
	;; [unrolled: 1-line block ×17, first 2 shown]
	s_waitcnt lgkmcnt(0)
	s_barrier
	buffer_gl0_inv
	ds_read_u16 v115, v5
	ds_read_u16 v114, v5 offset:512
	ds_read_u16 v113, v5 offset:1024
	;; [unrolled: 1-line block ×16, first 2 shown]
	s_waitcnt lgkmcnt(0)
	s_barrier
	buffer_gl0_inv
	ds_write_b64 v4, v[19:20]
	ds_write_b64 v8, v[15:16]
	;; [unrolled: 1-line block ×3, first 2 shown]
	v_lshl_add_u32 v4, v102, 3, v12
	v_lshl_add_u32 v8, v116, 3, v12
	;; [unrolled: 1-line block ×5, first 2 shown]
	ds_write_b64 v4, v[33:34]
	ds_write_b64 v8, v[31:32]
	;; [unrolled: 1-line block ×5, first 2 shown]
	v_lshl_add_u32 v4, v150, 3, v12
	v_lshl_add_u32 v8, v176, 3, v12
	;; [unrolled: 1-line block ×5, first 2 shown]
	ds_write_b64 v4, v[35:36]
	ds_write_b64 v8, v[64:65]
	;; [unrolled: 1-line block ×5, first 2 shown]
	v_lshl_add_u32 v4, v160, 3, v12
	v_mul_u32_u24_e32 v10, 6, v18
	v_lshl_add_u32 v8, v148, 3, v12
	v_lshl_add_u32 v9, v144, 3, v12
	;; [unrolled: 1-line block ×3, first 2 shown]
	ds_write_b64 v4, v[27:28]
	ds_write_b64 v8, v[25:26]
	;; [unrolled: 1-line block ×3, first 2 shown]
	v_add_nc_u32_e32 v4, v5, v10
	v_mov_b32_e32 v49, 0
	ds_write_b64 v11, v[21:22]
	s_waitcnt lgkmcnt(0)
	s_barrier
	buffer_gl0_inv
	ds_read2st64_b64 v[36:39], v4 offset1:4
	ds_read2st64_b64 v[32:35], v4 offset0:8 offset1:12
	ds_read2st64_b64 v[28:31], v4 offset0:16 offset1:20
	;; [unrolled: 1-line block ×7, first 2 shown]
	ds_read_b64 v[4:5], v4 offset:32768
	v_lshlrev_b64 v[52:53], 1, v[48:49]
	v_add_co_u32 v2, vcc_lo, v2, v50
	v_add_co_ci_u32_e64 v3, null, v3, v51, vcc_lo
	s_waitcnt lgkmcnt(0)
	v_add_co_u32 v2, vcc_lo, v2, v52
	v_add_co_ci_u32_e64 v3, null, v3, v53, vcc_lo
	v_cmp_lt_u32_e32 vcc_lo, v48, v183
	s_barrier
	buffer_gl0_inv
	s_and_saveexec_b32 s4, vcc_lo
	s_cbranch_execz .LBB913_100
; %bb.99:
	v_xor_b32_e32 v50, 0x7fff, v115
	flat_store_short v[2:3], v50
.LBB913_100:
	s_or_b32 exec_lo, exec_lo, s4
	v_add_nc_u32_e32 v50, 0x100, v48
	v_cmp_lt_u32_e64 s7, v50, v183
	s_and_saveexec_b32 s4, s7
	s_cbranch_execz .LBB913_102
; %bb.101:
	v_xor_b32_e32 v50, 0x7fff, v114
	flat_store_short v[2:3], v50 offset:512
.LBB913_102:
	s_or_b32 exec_lo, exec_lo, s4
	v_add_nc_u32_e32 v50, 0x200, v48
	v_cmp_lt_u32_e64 s6, v50, v183
	s_and_saveexec_b32 s4, s6
	s_cbranch_execz .LBB913_104
; %bb.103:
	v_xor_b32_e32 v50, 0x7fff, v113
	flat_store_short v[2:3], v50 offset:1024
.LBB913_104:
	;; [unrolled: 9-line block ×3, first 2 shown]
	s_or_b32 exec_lo, exec_lo, s4
	v_add_nc_u32_e32 v50, 0x400, v48
	v_cmp_lt_u32_e64 s4, v50, v183
	s_and_saveexec_b32 s11, s4
	s_cbranch_execz .LBB913_108
; %bb.107:
	v_add_co_u32 v50, s10, 0x800, v2
	v_xor_b32_e32 v52, 0x7fff, v103
	v_add_co_ci_u32_e64 v51, null, 0, v3, s10
	flat_store_short v[50:51], v52
.LBB913_108:
	s_or_b32 exec_lo, exec_lo, s11
	v_add_nc_u32_e32 v50, 0x500, v48
	v_cmp_lt_u32_e64 s10, v50, v183
	s_and_saveexec_b32 s14, s10
	s_cbranch_execz .LBB913_110
; %bb.109:
	v_add_co_u32 v50, s11, 0x800, v2
	v_xor_b32_e32 v52, 0x7fff, v101
	v_add_co_ci_u32_e64 v51, null, 0, v3, s11
	flat_store_short v[50:51], v52 offset:512
.LBB913_110:
	s_or_b32 exec_lo, exec_lo, s14
	v_add_nc_u32_e32 v50, 0x600, v48
	v_cmp_lt_u32_e64 s11, v50, v183
	s_and_saveexec_b32 s15, s11
	s_cbranch_execz .LBB913_112
; %bb.111:
	v_add_co_u32 v50, s14, 0x800, v2
	v_xor_b32_e32 v52, 0x7fff, v99
	v_add_co_ci_u32_e64 v51, null, 0, v3, s14
	flat_store_short v[50:51], v52 offset:1024
.LBB913_112:
	s_or_b32 exec_lo, exec_lo, s15
	v_add_nc_u32_e32 v50, 0x700, v48
	v_cmp_lt_u32_e64 s14, v50, v183
	s_and_saveexec_b32 s16, s14
	s_cbranch_execz .LBB913_114
; %bb.113:
	v_add_co_u32 v50, s15, 0x800, v2
	v_xor_b32_e32 v52, 0x7fff, v97
	v_add_co_ci_u32_e64 v51, null, 0, v3, s15
	flat_store_short v[50:51], v52 offset:1536
.LBB913_114:
	s_or_b32 exec_lo, exec_lo, s16
	v_add_nc_u32_e32 v50, 0x800, v48
	v_cmp_lt_u32_e64 s15, v50, v183
	s_and_saveexec_b32 s17, s15
	s_cbranch_execz .LBB913_116
; %bb.115:
	v_add_co_u32 v50, s16, 0x1000, v2
	v_xor_b32_e32 v52, 0x7fff, v96
	v_add_co_ci_u32_e64 v51, null, 0, v3, s16
	flat_store_short v[50:51], v52
.LBB913_116:
	s_or_b32 exec_lo, exec_lo, s17
	v_add_nc_u32_e32 v50, 0x900, v48
	v_cmp_lt_u32_e64 s16, v50, v183
	s_and_saveexec_b32 s18, s16
	s_cbranch_execz .LBB913_118
; %bb.117:
	v_add_co_u32 v50, s17, 0x1000, v2
	v_xor_b32_e32 v52, 0x7fff, v87
	v_add_co_ci_u32_e64 v51, null, 0, v3, s17
	flat_store_short v[50:51], v52 offset:512
.LBB913_118:
	s_or_b32 exec_lo, exec_lo, s18
	v_add_nc_u32_e32 v50, 0xa00, v48
	v_cmp_lt_u32_e64 s17, v50, v183
	s_and_saveexec_b32 s19, s17
	s_cbranch_execz .LBB913_120
; %bb.119:
	v_add_co_u32 v50, s18, 0x1000, v2
	v_xor_b32_e32 v52, 0x7fff, v86
	v_add_co_ci_u32_e64 v51, null, 0, v3, s18
	flat_store_short v[50:51], v52 offset:1024
.LBB913_120:
	s_or_b32 exec_lo, exec_lo, s19
	v_add_nc_u32_e32 v50, 0xb00, v48
	v_cmp_lt_u32_e64 s18, v50, v183
	s_and_saveexec_b32 s20, s18
	s_cbranch_execz .LBB913_122
; %bb.121:
	v_add_co_u32 v50, s19, 0x1000, v2
	v_xor_b32_e32 v52, 0x7fff, v85
	v_add_co_ci_u32_e64 v51, null, 0, v3, s19
	flat_store_short v[50:51], v52 offset:1536
.LBB913_122:
	s_or_b32 exec_lo, exec_lo, s20
	v_add_nc_u32_e32 v50, 0xc00, v48
	v_cmp_lt_u32_e64 s19, v50, v183
	s_and_saveexec_b32 s21, s19
	s_cbranch_execz .LBB913_124
; %bb.123:
	v_add_co_u32 v50, s20, 0x1800, v2
	v_xor_b32_e32 v52, 0x7fff, v84
	v_add_co_ci_u32_e64 v51, null, 0, v3, s20
	flat_store_short v[50:51], v52
.LBB913_124:
	s_or_b32 exec_lo, exec_lo, s21
	v_add_nc_u32_e32 v50, 0xd00, v48
	v_cmp_lt_u32_e64 s20, v50, v183
	s_and_saveexec_b32 s22, s20
	s_cbranch_execz .LBB913_126
; %bb.125:
	v_add_co_u32 v50, s21, 0x1800, v2
	v_xor_b32_e32 v52, 0x7fff, v83
	v_add_co_ci_u32_e64 v51, null, 0, v3, s21
	flat_store_short v[50:51], v52 offset:512
.LBB913_126:
	s_or_b32 exec_lo, exec_lo, s22
	v_add_nc_u32_e32 v50, 0xe00, v48
	v_cmp_lt_u32_e64 s21, v50, v183
	s_and_saveexec_b32 s23, s21
	s_cbranch_execz .LBB913_128
; %bb.127:
	v_add_co_u32 v50, s22, 0x1800, v2
	v_xor_b32_e32 v52, 0x7fff, v82
	v_add_co_ci_u32_e64 v51, null, 0, v3, s22
	flat_store_short v[50:51], v52 offset:1024
.LBB913_128:
	s_or_b32 exec_lo, exec_lo, s23
	v_add_nc_u32_e32 v50, 0xf00, v48
	v_cmp_lt_u32_e64 s22, v50, v183
	s_and_saveexec_b32 s24, s22
	s_cbranch_execz .LBB913_130
; %bb.129:
	v_add_co_u32 v50, s23, 0x1800, v2
	v_xor_b32_e32 v52, 0x7fff, v81
	v_add_co_ci_u32_e64 v51, null, 0, v3, s23
	flat_store_short v[50:51], v52 offset:1536
.LBB913_130:
	s_or_b32 exec_lo, exec_lo, s24
	v_add_nc_u32_e32 v50, 0x1000, v48
	v_cmp_lt_u32_e64 s23, v50, v183
	s_and_saveexec_b32 s27, s23
	s_cbranch_execz .LBB913_132
; %bb.131:
	v_add_co_u32 v2, s24, 0x2000, v2
	v_xor_b32_e32 v50, 0x7fff, v80
	v_add_co_ci_u32_e64 v3, null, 0, v3, s24
	flat_store_short v[2:3], v50
.LBB913_132:
	s_or_b32 exec_lo, exec_lo, s27
	v_lshlrev_b64 v[2:3], 3, v[48:49]
	v_add_co_u32 v0, s24, v6, v0
	v_add_co_ci_u32_e64 v1, null, v7, v1, s24
	v_add_co_u32 v0, s24, v0, v2
	v_add_co_ci_u32_e64 v1, null, v1, v3, s24
	s_and_saveexec_b32 s24, vcc_lo
	s_cbranch_execnz .LBB913_220
; %bb.133:
	s_or_b32 exec_lo, exec_lo, s24
	s_and_saveexec_b32 s24, s7
	s_cbranch_execnz .LBB913_221
.LBB913_134:
	s_or_b32 exec_lo, exec_lo, s24
	s_and_saveexec_b32 s7, s6
	s_cbranch_execnz .LBB913_222
.LBB913_135:
	s_or_b32 exec_lo, exec_lo, s7
	s_and_saveexec_b32 s6, s5
	s_cbranch_execnz .LBB913_223
.LBB913_136:
	s_or_b32 exec_lo, exec_lo, s6
	s_and_saveexec_b32 s5, s4
	s_cbranch_execnz .LBB913_224
.LBB913_137:
	s_or_b32 exec_lo, exec_lo, s5
	s_and_saveexec_b32 s4, s10
	s_cbranch_execnz .LBB913_225
.LBB913_138:
	s_or_b32 exec_lo, exec_lo, s4
	s_and_saveexec_b32 s4, s11
	s_cbranch_execnz .LBB913_226
.LBB913_139:
	s_or_b32 exec_lo, exec_lo, s4
	s_and_saveexec_b32 s4, s14
	s_cbranch_execnz .LBB913_227
.LBB913_140:
	s_or_b32 exec_lo, exec_lo, s4
	s_and_saveexec_b32 s4, s15
	s_cbranch_execnz .LBB913_228
.LBB913_141:
	s_or_b32 exec_lo, exec_lo, s4
	s_and_saveexec_b32 s4, s16
	s_cbranch_execnz .LBB913_229
.LBB913_142:
	s_or_b32 exec_lo, exec_lo, s4
	s_and_saveexec_b32 s4, s17
	s_cbranch_execnz .LBB913_230
.LBB913_143:
	s_or_b32 exec_lo, exec_lo, s4
	s_and_saveexec_b32 s4, s18
	s_cbranch_execnz .LBB913_231
.LBB913_144:
	s_or_b32 exec_lo, exec_lo, s4
	s_and_saveexec_b32 s4, s19
	s_cbranch_execnz .LBB913_232
.LBB913_145:
	s_or_b32 exec_lo, exec_lo, s4
	s_and_saveexec_b32 s4, s20
	s_cbranch_execnz .LBB913_233
.LBB913_146:
	s_or_b32 exec_lo, exec_lo, s4
	s_and_saveexec_b32 s4, s21
	s_cbranch_execnz .LBB913_234
.LBB913_147:
	s_or_b32 exec_lo, exec_lo, s4
	s_and_saveexec_b32 s4, s22
	s_cbranch_execnz .LBB913_235
.LBB913_148:
	s_or_b32 exec_lo, exec_lo, s4
	s_and_saveexec_b32 s4, s23
	s_cbranch_execz .LBB913_150
.LBB913_149:
	v_add_co_u32 v0, vcc_lo, 0x8000, v0
	v_add_co_ci_u32_e64 v1, null, 0, v1, vcc_lo
	flat_store_dwordx2 v[0:1], v[4:5]
.LBB913_150:
	s_or_b32 exec_lo, exec_lo, s4
                                        ; implicit-def: $vgpr183
                                        ; implicit-def: $vgpr0
                                        ; implicit-def: $vgpr1
                                        ; implicit-def: $vgpr2
                                        ; implicit-def: $vgpr3
                                        ; implicit-def: $vgpr4
                                        ; implicit-def: $vgpr5
                                        ; implicit-def: $vgpr6
                                        ; implicit-def: $vgpr7
                                        ; implicit-def: $vgpr8
                                        ; implicit-def: $vgpr10
                                        ; implicit-def: $vgpr11
                                        ; implicit-def: $vgpr12
                                        ; implicit-def: $vgpr13
                                        ; implicit-def: $vgpr14
                                        ; implicit-def: $vgpr15
                                        ; implicit-def: $vgpr18
                                        ; implicit-def: $vgpr33
.LBB913_151:
	s_andn2_saveexec_b32 s4, s26
	s_cbranch_execz .LBB913_382
; %bb.152:
	s_mov_b32 s4, exec_lo
	v_cmpx_lt_u32_e32 0x400, v183
	s_xor_b32 s22, exec_lo, s4
	s_cbranch_execz .LBB913_262
; %bb.153:
	s_load_dwordx2 s[4:5], s[8:9], 0x0
	v_mov_b32_e32 v9, 0
	v_lshlrev_b64 v[26:27], 1, v[8:9]
	v_mov_b32_e32 v20, v9
	v_add_co_u32 v22, vcc_lo, v0, v26
	v_add_co_ci_u32_e64 v23, null, v1, v27, vcc_lo
	s_waitcnt lgkmcnt(0)
	s_cmp_lt_u32 s13, s5
	s_cselect_b32 s5, 14, 20
	s_add_u32 s6, s8, s5
	s_addc_u32 s7, s9, 0
	s_cmp_lt_u32 s12, s4
	global_load_ushort v16, v9, s[6:7]
	s_cselect_b32 s4, 12, 18
	s_add_u32 s4, s8, s4
	s_addc_u32 s5, s9, 0
	global_load_ushort v17, v9, s[4:5]
	s_waitcnt vmcnt(1)
	v_mad_u32_u24 v14, v15, v16, v14
	s_waitcnt vmcnt(0)
	v_mad_u64_u32 v[24:25], null, v14, v17, v[18:19]
	v_lshlrev_b32_e32 v17, 1, v33
	v_mov_b32_e32 v14, 0x80008000
	v_add_co_u32 v17, vcc_lo, v22, v17
	v_lshlrev_b32_e32 v19, 3, v24
	v_add_co_ci_u32_e64 v22, null, 0, v23, vcc_lo
	v_mov_b32_e32 v15, v14
	v_mov_b32_e32 v16, v14
	v_and_b32_e32 v19, 0xffffff00, v19
	v_lshlrev_b64 v[0:1], 1, v[19:20]
	v_or_b32_e32 v21, v19, v33
	v_cmp_lt_u32_e32 vcc_lo, v21, v183
	v_add_co_u32 v0, s4, v17, v0
	v_add_co_ci_u32_e64 v1, null, v22, v1, s4
	v_mov_b32_e32 v17, v14
	s_and_saveexec_b32 s4, vcc_lo
	s_cbranch_execz .LBB913_155
; %bb.154:
	v_bfrev_b32_e32 v28, 1
	v_mov_b32_e32 v29, v14
	v_mov_b32_e32 v30, v14
	;; [unrolled: 1-line block ×3, first 2 shown]
	flat_load_short_d16 v28, v[0:1]
	s_waitcnt vmcnt(0) lgkmcnt(0)
	v_mov_b32_e32 v14, v28
	v_mov_b32_e32 v15, v29
	;; [unrolled: 1-line block ×4, first 2 shown]
.LBB913_155:
	s_or_b32 exec_lo, exec_lo, s4
	v_or_b32_e32 v22, 32, v21
	v_cmp_lt_u32_e64 s4, v22, v183
	s_and_saveexec_b32 s5, s4
	s_cbranch_execz .LBB913_157
; %bb.156:
	flat_load_short_d16_hi v14, v[0:1] offset:64
.LBB913_157:
	s_or_b32 exec_lo, exec_lo, s5
	v_or_b32_e32 v22, 64, v21
	v_cmp_lt_u32_e64 s5, v22, v183
	s_and_saveexec_b32 s6, s5
	s_cbranch_execz .LBB913_159
; %bb.158:
	flat_load_short_d16 v15, v[0:1] offset:128
.LBB913_159:
	s_or_b32 exec_lo, exec_lo, s6
	v_or_b32_e32 v22, 0x60, v21
	v_cmp_lt_u32_e64 s6, v22, v183
	s_and_saveexec_b32 s7, s6
	s_cbranch_execz .LBB913_161
; %bb.160:
	s_waitcnt vmcnt(0) lgkmcnt(0)
	flat_load_short_d16_hi v15, v[0:1] offset:192
.LBB913_161:
	s_or_b32 exec_lo, exec_lo, s7
	v_or_b32_e32 v22, 0x80, v21
	v_cmp_lt_u32_e64 s7, v22, v183
	s_and_saveexec_b32 s10, s7
	s_cbranch_execz .LBB913_163
; %bb.162:
	flat_load_short_d16 v16, v[0:1] offset:256
.LBB913_163:
	s_or_b32 exec_lo, exec_lo, s10
	v_or_b32_e32 v22, 0xa0, v21
	v_cmp_lt_u32_e64 s10, v22, v183
	s_and_saveexec_b32 s11, s10
	s_cbranch_execz .LBB913_165
; %bb.164:
	s_waitcnt vmcnt(0) lgkmcnt(0)
	flat_load_short_d16_hi v16, v[0:1] offset:320
.LBB913_165:
	;; [unrolled: 17-line block ×3, first 2 shown]
	s_or_b32 exec_lo, exec_lo, s15
	v_lshlrev_b64 v[0:1], 3, v[8:9]
	v_lshlrev_b32_e32 v8, 3, v33
                                        ; implicit-def: $vgpr36_vgpr37
	v_add_co_u32 v9, s15, v4, v0
	v_add_co_ci_u32_e64 v21, null, v5, v1, s15
	v_lshlrev_b64 v[4:5], 3, v[19:20]
	v_add_co_u32 v8, s15, v9, v8
	v_add_co_ci_u32_e64 v9, null, 0, v21, s15
	v_add_co_u32 v4, s15, v8, v4
	v_add_co_ci_u32_e64 v5, null, v9, v5, s15
	s_and_saveexec_b32 s15, vcc_lo
	s_cbranch_execnz .LBB913_295
; %bb.170:
	s_or_b32 exec_lo, exec_lo, s15
                                        ; implicit-def: $vgpr48_vgpr49
	s_and_saveexec_b32 s15, s4
	s_cbranch_execnz .LBB913_296
.LBB913_171:
	s_or_b32 exec_lo, exec_lo, s15
                                        ; implicit-def: $vgpr50_vgpr51
	s_and_saveexec_b32 s4, s5
	s_cbranch_execnz .LBB913_297
.LBB913_172:
	s_or_b32 exec_lo, exec_lo, s4
                                        ; implicit-def: $vgpr52_vgpr53
	s_and_saveexec_b32 s4, s6
	s_cbranch_execnz .LBB913_298
.LBB913_173:
	s_or_b32 exec_lo, exec_lo, s4
                                        ; implicit-def: $vgpr54_vgpr55
	s_and_saveexec_b32 s4, s7
	s_cbranch_execnz .LBB913_299
.LBB913_174:
	s_or_b32 exec_lo, exec_lo, s4
                                        ; implicit-def: $vgpr64_vgpr65
	s_and_saveexec_b32 s4, s10
	s_cbranch_execnz .LBB913_300
.LBB913_175:
	s_or_b32 exec_lo, exec_lo, s4
                                        ; implicit-def: $vgpr34_vgpr35
	s_and_saveexec_b32 s4, s11
	s_cbranch_execnz .LBB913_301
.LBB913_176:
	s_or_b32 exec_lo, exec_lo, s4
                                        ; implicit-def: $vgpr38_vgpr39
	s_and_saveexec_b32 s4, s14
	s_cbranch_execz .LBB913_178
.LBB913_177:
	flat_load_dwordx2 v[38:39], v[4:5] offset:1792
.LBB913_178:
	s_or_b32 exec_lo, exec_lo, s4
	v_lshl_add_u32 v5, v18, 5, v12
	v_mov_b32_e32 v4, 0x7fff
	s_waitcnt vmcnt(0) lgkmcnt(0)
	v_xor_b32_e32 v8, 0x7fff, v17
	v_xor_b32_e32 v9, 0x7fff, v16
	v_xor_b32_e32 v19, 0x7fff, v15
	v_add_nc_u32_e32 v23, 32, v5
	v_add_nc_u32_e32 v25, 36, v5
	;; [unrolled: 1-line block ×8, first 2 shown]
	v_and_b32_e32 v5, 0x3e0, v18
	v_xor_b32_sdwa v17, v17, v4 dst_sel:DWORD dst_unused:UNUSED_PAD src0_sel:WORD_1 src1_sel:DWORD
	v_xor_b32_sdwa v16, v16, v4 dst_sel:DWORD dst_unused:UNUSED_PAD src0_sel:WORD_1 src1_sel:DWORD
	;; [unrolled: 1-line block ×3, first 2 shown]
	v_xor_b32_e32 v20, 0x7fff, v14
	v_xor_b32_sdwa v4, v14, v4 dst_sel:DWORD dst_unused:UNUSED_PAD src0_sel:WORD_1 src1_sel:DWORD
	v_lshlrev_b32_e32 v14, 3, v18
	v_and_b32_e32 v21, 15, v33
	v_min_u32_e32 v5, 0xe0, v5
	v_sub_co_u32 v28, s6, v33, 1
	s_getpc_b64 s[4:5]
	s_add_u32 s4, s4, _ZN7rocprim17ROCPRIM_400000_NS16block_radix_sortIsLj256ELj8ElLj1ELj1ELj8ELNS0_26block_radix_rank_algorithmE2ELNS0_18block_padding_hintE2ELNS0_4arch9wavefront6targetE0EE19radix_bits_per_passE@rel32@lo+4
	s_addc_u32 s5, s5, _ZN7rocprim17ROCPRIM_400000_NS16block_radix_sortIsLj256ELj8ElLj1ELj1ELj8ELNS0_26block_radix_rank_algorithmE2ELNS0_18block_padding_hintE2ELNS0_4arch9wavefront6targetE0EE19radix_bits_per_passE@rel32@hi+12
	v_cmp_eq_u32_e32 vcc_lo, 0, v21
	s_load_dword s23, s[4:5], 0x0
	v_cmp_lt_u32_e64 s4, 1, v21
	v_cmp_lt_u32_e64 s5, 3, v21
	v_and_b32_e32 v22, 16, v33
	v_cmp_lt_u32_e64 s7, 7, v21
	v_or_b32_e32 v5, 31, v5
	v_lshrrev_b32_e32 v21, 3, v18
	v_cmp_gt_i32_e64 s11, 0, v28
	v_and_or_b32 v14, 0x1f00, v14, v33
	v_cmp_eq_u32_e64 s10, 0, v22
	v_lshrrev_b32_e32 v134, 5, v24
	v_cmp_gt_u32_e64 s14, 8, v18
	v_cndmask_b32_e64 v22, v28, v33, s11
	v_cmp_eq_u32_e64 s11, v18, v5
	v_and_b32_e32 v5, 0x7c, v21
	v_lshl_add_u32 v146, v14, 1, v12
	v_mul_u32_u24_e32 v14, 6, v14
	v_and_b32_e32 v21, 7, v33
	v_cmp_lt_u32_e64 s15, 31, v18
	v_add_nc_u32_e32 v144, v12, v5
	v_lshlrev_b32_e32 v135, 2, v22
	v_add_nc_u32_e32 v151, v146, v14
	v_cmp_eq_u32_e64 s16, 0, v18
	v_mov_b32_e32 v5, 0
	v_lshl_add_u32 v145, v18, 2, v12
	v_cmp_eq_u32_e64 s17, 0, v21
	v_cmp_lt_u32_e64 s18, 1, v21
	v_cmp_lt_u32_e64 s19, 3, v21
	v_add_nc_u32_e32 v147, -4, v144
	v_add_nc_u32_e32 v148, 64, v146
	v_add_nc_u32_e32 v149, 0x80, v146
	;; [unrolled: 1-line block ×14, first 2 shown]
	v_perm_b32 v180, v4, v20, 0x5040100
	v_perm_b32 v67, v15, v19, 0x5040100
	;; [unrolled: 1-line block ×4, first 2 shown]
	v_sub_nc_u32_e32 v179, v11, v10
	s_mov_b32 s24, 0
	s_waitcnt lgkmcnt(0)
	s_waitcnt_vscnt null, 0x0
	s_barrier
	buffer_gl0_inv
	s_branch .LBB913_180
.LBB913_179:                            ;   in Loop: Header=BB913_180 Depth=1
	s_or_b32 exec_lo, exec_lo, s21
	s_and_b32 s20, exec_lo, s26
	s_or_b32 s24, s20, s24
	s_andn2_b32 exec_lo, exec_lo, s24
	s_cbranch_execz .LBB913_236
.LBB913_180:                            ; =>This Inner Loop Header: Depth=1
	v_min_u32_e32 v4, s23, v179
	v_lshrrev_b32_sdwa v8, v10, v180 dst_sel:DWORD dst_unused:UNUSED_PAD src0_sel:DWORD src1_sel:WORD_0
	v_mov_b32_e32 v28, v36
	v_mov_b32_e32 v29, v37
	;; [unrolled: 1-line block ×3, first 2 shown]
	v_lshlrev_b32_e64 v4, v4, -1
	v_mov_b32_e32 v20, v51
	v_mov_b32_e32 v21, v48
	;; [unrolled: 1-line block ×4, first 2 shown]
	v_not_b32_e32 v66, v4
	v_mov_b32_e32 v14, v54
	v_mov_b32_e32 v181, v71
	;; [unrolled: 1-line block ×4, first 2 shown]
	v_and_b32_e32 v4, v8, v66
	v_mov_b32_e32 v8, v64
	v_mov_b32_e32 v17, v53
	;; [unrolled: 1-line block ×4, first 2 shown]
	v_and_b32_e32 v30, 1, v4
	v_lshlrev_b32_e32 v31, 30, v4
	v_lshlrev_b32_e32 v32, 29, v4
	;; [unrolled: 1-line block ×4, first 2 shown]
	v_add_co_u32 v30, s20, v30, -1
	v_cndmask_b32_e64 v36, 0, 1, s20
	v_not_b32_e32 v50, v31
	v_cmp_gt_i32_e64 s21, 0, v31
	v_not_b32_e32 v31, v32
	v_lshlrev_b32_e32 v48, 26, v4
	v_cmp_ne_u32_e64 s20, 0, v36
	v_ashrrev_i32_e32 v50, 31, v50
	v_lshlrev_b32_e32 v49, 25, v4
	v_ashrrev_i32_e32 v31, 31, v31
	v_lshlrev_b32_e32 v36, 24, v4
	v_xor_b32_e32 v30, s20, v30
	v_cmp_gt_i32_e64 s20, 0, v32
	v_not_b32_e32 v32, v33
	v_xor_b32_e32 v50, s21, v50
	v_cmp_gt_i32_e64 s21, 0, v33
	v_and_b32_e32 v30, exec_lo, v30
	v_not_b32_e32 v33, v37
	v_ashrrev_i32_e32 v32, 31, v32
	v_xor_b32_e32 v31, s20, v31
	v_cmp_gt_i32_e64 s20, 0, v37
	v_and_b32_e32 v30, v30, v50
	v_not_b32_e32 v37, v48
	v_ashrrev_i32_e32 v33, 31, v33
	v_xor_b32_e32 v32, s21, v32
	v_cmp_gt_i32_e64 s21, 0, v48
	v_and_b32_e32 v30, v30, v31
	;; [unrolled: 5-line block ×4, first 2 shown]
	v_mov_b32_e32 v30, v34
	v_mov_b32_e32 v31, v35
	v_ashrrev_i32_e32 v34, 31, v32
	v_xor_b32_e32 v35, s20, v48
	v_and_b32_e32 v36, v33, v37
	v_lshlrev_b32_e32 v4, 3, v4
	v_mov_b32_e32 v32, v38
	v_xor_b32_e32 v34, s21, v34
	v_mov_b32_e32 v33, v39
	v_and_b32_e32 v35, v36, v35
	ds_write_b32 v23, v5
	ds_write_b32 v25, v5
	;; [unrolled: 1-line block ×7, first 2 shown]
	v_and_b32_e32 v35, v35, v34
	v_add_lshl_u32 v34, v4, v134, 2
	ds_write_b32 v133, v5
	s_waitcnt lgkmcnt(0)
	s_barrier
	v_mbcnt_lo_u32_b32 v4, v35, 0
	v_add_co_u32 v34, null, v12, v34
	v_cmp_ne_u32_e64 s21, 0, v35
	buffer_gl0_inv
	v_cmp_eq_u32_e64 s20, 0, v4
	v_add_co_u32 v34, null, v34, 32
	; wave barrier
	s_and_b32 s21, s21, s20
	s_and_saveexec_b32 s20, s21
; %bb.181:                              ;   in Loop: Header=BB913_180 Depth=1
	v_bcnt_u32_b32 v35, v35, 0
	ds_write_b32 v34, v35
; %bb.182:                              ;   in Loop: Header=BB913_180 Depth=1
	s_or_b32 exec_lo, exec_lo, s20
	v_lshrrev_b32_e32 v193, 16, v180
	; wave barrier
	v_lshrrev_b32_e32 v35, v10, v193
	v_and_b32_e32 v35, v35, v66
	v_and_b32_e32 v36, 1, v35
	v_lshlrev_b32_e32 v37, 30, v35
	v_lshlrev_b32_e32 v38, 29, v35
	;; [unrolled: 1-line block ×4, first 2 shown]
	v_add_co_u32 v36, s20, v36, -1
	v_cndmask_b32_e64 v48, 0, 1, s20
	v_not_b32_e32 v52, v37
	v_cmp_gt_i32_e64 s21, 0, v37
	v_not_b32_e32 v37, v38
	v_lshlrev_b32_e32 v50, 26, v35
	v_cmp_ne_u32_e64 s20, 0, v48
	v_ashrrev_i32_e32 v52, 31, v52
	v_lshlrev_b32_e32 v51, 25, v35
	v_ashrrev_i32_e32 v37, 31, v37
	v_lshlrev_b32_e32 v48, 24, v35
	v_xor_b32_e32 v36, s20, v36
	v_cmp_gt_i32_e64 s20, 0, v38
	v_not_b32_e32 v38, v39
	v_xor_b32_e32 v52, s21, v52
	v_cmp_gt_i32_e64 s21, 0, v39
	v_and_b32_e32 v36, exec_lo, v36
	v_not_b32_e32 v39, v49
	v_ashrrev_i32_e32 v38, 31, v38
	v_xor_b32_e32 v37, s20, v37
	v_cmp_gt_i32_e64 s20, 0, v49
	v_and_b32_e32 v36, v36, v52
	v_not_b32_e32 v49, v50
	v_ashrrev_i32_e32 v39, 31, v39
	v_xor_b32_e32 v38, s21, v38
	v_cmp_gt_i32_e64 s21, 0, v50
	v_and_b32_e32 v36, v36, v37
	;; [unrolled: 5-line block ×3, first 2 shown]
	v_not_b32_e32 v38, v48
	v_ashrrev_i32_e32 v37, 31, v37
	v_xor_b32_e32 v49, s21, v49
	v_lshl_add_u32 v35, v35, 3, v134
	v_and_b32_e32 v36, v36, v39
	v_cmp_gt_i32_e64 s21, 0, v48
	v_ashrrev_i32_e32 v38, 31, v38
	v_xor_b32_e32 v37, s20, v37
	v_lshl_add_u32 v39, v35, 2, v12
	v_and_b32_e32 v36, v36, v49
	v_xor_b32_e32 v38, s21, v38
	ds_read_b32 v35, v39 offset:32
	v_and_b32_e32 v36, v36, v37
	v_add_nc_u32_e32 v37, 32, v39
	; wave barrier
	v_and_b32_e32 v38, v36, v38
	v_mbcnt_lo_u32_b32 v36, v38, 0
	v_cmp_ne_u32_e64 s21, 0, v38
	v_cmp_eq_u32_e64 s20, 0, v36
	s_and_b32 s21, s21, s20
	s_and_saveexec_b32 s20, s21
	s_cbranch_execz .LBB913_184
; %bb.183:                              ;   in Loop: Header=BB913_180 Depth=1
	s_waitcnt lgkmcnt(0)
	v_bcnt_u32_b32 v38, v38, v35
	ds_write_b32 v37, v38
.LBB913_184:                            ;   in Loop: Header=BB913_180 Depth=1
	s_or_b32 exec_lo, exec_lo, s20
	v_lshrrev_b32_sdwa v38, v10, v192 dst_sel:DWORD dst_unused:UNUSED_PAD src0_sel:DWORD src1_sel:WORD_0
	; wave barrier
	v_and_b32_e32 v38, v38, v66
	v_and_b32_e32 v39, 1, v38
	v_lshlrev_b32_e32 v48, 30, v38
	v_lshlrev_b32_e32 v49, 29, v38
	v_lshlrev_b32_e32 v50, 28, v38
	v_lshlrev_b32_e32 v52, 27, v38
	v_add_co_u32 v39, s20, v39, -1
	v_cndmask_b32_e64 v51, 0, 1, s20
	v_not_b32_e32 v55, v48
	v_cmp_gt_i32_e64 s21, 0, v48
	v_not_b32_e32 v48, v49
	v_lshlrev_b32_e32 v53, 26, v38
	v_cmp_ne_u32_e64 s20, 0, v51
	v_ashrrev_i32_e32 v55, 31, v55
	v_lshlrev_b32_e32 v54, 25, v38
	v_ashrrev_i32_e32 v48, 31, v48
	v_lshlrev_b32_e32 v51, 24, v38
	v_xor_b32_e32 v39, s20, v39
	v_cmp_gt_i32_e64 s20, 0, v49
	v_not_b32_e32 v49, v50
	v_xor_b32_e32 v55, s21, v55
	v_cmp_gt_i32_e64 s21, 0, v50
	v_and_b32_e32 v39, exec_lo, v39
	v_not_b32_e32 v50, v52
	v_ashrrev_i32_e32 v49, 31, v49
	v_xor_b32_e32 v48, s20, v48
	v_cmp_gt_i32_e64 s20, 0, v52
	v_and_b32_e32 v39, v39, v55
	v_not_b32_e32 v52, v53
	v_ashrrev_i32_e32 v50, 31, v50
	v_xor_b32_e32 v49, s21, v49
	v_cmp_gt_i32_e64 s21, 0, v53
	v_and_b32_e32 v39, v39, v48
	;; [unrolled: 5-line block ×3, first 2 shown]
	v_not_b32_e32 v49, v51
	v_ashrrev_i32_e32 v48, 31, v48
	v_xor_b32_e32 v52, s21, v52
	v_lshl_add_u32 v38, v38, 3, v134
	v_and_b32_e32 v39, v39, v50
	v_cmp_gt_i32_e64 s21, 0, v51
	v_ashrrev_i32_e32 v49, 31, v49
	v_xor_b32_e32 v48, s20, v48
	v_lshl_add_u32 v50, v38, 2, v12
	v_and_b32_e32 v39, v39, v52
	v_xor_b32_e32 v49, s21, v49
	ds_read_b32 v38, v50 offset:32
	v_and_b32_e32 v39, v39, v48
	v_add_nc_u32_e32 v48, 32, v50
	; wave barrier
	v_and_b32_e32 v49, v39, v49
	v_mbcnt_lo_u32_b32 v39, v49, 0
	v_cmp_ne_u32_e64 s21, 0, v49
	v_cmp_eq_u32_e64 s20, 0, v39
	s_and_b32 s21, s21, s20
	s_and_saveexec_b32 s20, s21
	s_cbranch_execz .LBB913_186
; %bb.185:                              ;   in Loop: Header=BB913_180 Depth=1
	s_waitcnt lgkmcnt(0)
	v_bcnt_u32_b32 v49, v49, v38
	ds_write_b32 v48, v49
.LBB913_186:                            ;   in Loop: Header=BB913_180 Depth=1
	s_or_b32 exec_lo, exec_lo, s20
	v_lshrrev_b32_e32 v194, 16, v192
	; wave barrier
	v_lshrrev_b32_e32 v49, v10, v194
	v_and_b32_e32 v49, v49, v66
	v_and_b32_e32 v50, 1, v49
	v_lshlrev_b32_e32 v51, 30, v49
	v_lshlrev_b32_e32 v52, 29, v49
	;; [unrolled: 1-line block ×4, first 2 shown]
	v_add_co_u32 v50, s20, v50, -1
	v_cndmask_b32_e64 v54, 0, 1, s20
	v_not_b32_e32 v67, v51
	v_cmp_gt_i32_e64 s21, 0, v51
	v_not_b32_e32 v51, v52
	v_lshlrev_b32_e32 v64, 26, v49
	v_cmp_ne_u32_e64 s20, 0, v54
	v_ashrrev_i32_e32 v67, 31, v67
	v_lshlrev_b32_e32 v65, 25, v49
	v_ashrrev_i32_e32 v51, 31, v51
	v_lshlrev_b32_e32 v54, 24, v49
	v_xor_b32_e32 v50, s20, v50
	v_cmp_gt_i32_e64 s20, 0, v52
	v_not_b32_e32 v52, v53
	v_xor_b32_e32 v67, s21, v67
	v_cmp_gt_i32_e64 s21, 0, v53
	v_and_b32_e32 v50, exec_lo, v50
	v_not_b32_e32 v53, v55
	v_ashrrev_i32_e32 v52, 31, v52
	v_xor_b32_e32 v51, s20, v51
	v_cmp_gt_i32_e64 s20, 0, v55
	v_and_b32_e32 v50, v50, v67
	v_not_b32_e32 v55, v64
	v_ashrrev_i32_e32 v53, 31, v53
	v_xor_b32_e32 v52, s21, v52
	v_cmp_gt_i32_e64 s21, 0, v64
	v_and_b32_e32 v50, v50, v51
	;; [unrolled: 5-line block ×3, first 2 shown]
	v_not_b32_e32 v52, v54
	v_ashrrev_i32_e32 v51, 31, v51
	v_xor_b32_e32 v55, s21, v55
	v_lshl_add_u32 v49, v49, 3, v134
	v_and_b32_e32 v50, v50, v53
	v_cmp_gt_i32_e64 s21, 0, v54
	v_ashrrev_i32_e32 v52, 31, v52
	v_xor_b32_e32 v51, s20, v51
	v_lshl_add_u32 v53, v49, 2, v12
	v_and_b32_e32 v50, v50, v55
	v_xor_b32_e32 v52, s21, v52
	ds_read_b32 v49, v53 offset:32
	v_and_b32_e32 v50, v50, v51
	v_add_nc_u32_e32 v51, 32, v53
	; wave barrier
	v_and_b32_e32 v52, v50, v52
	v_mbcnt_lo_u32_b32 v50, v52, 0
	v_cmp_ne_u32_e64 s21, 0, v52
	v_cmp_eq_u32_e64 s20, 0, v50
	s_and_b32 s21, s21, s20
	s_and_saveexec_b32 s20, s21
	s_cbranch_execz .LBB913_188
; %bb.187:                              ;   in Loop: Header=BB913_180 Depth=1
	s_waitcnt lgkmcnt(0)
	v_bcnt_u32_b32 v52, v52, v49
	ds_write_b32 v51, v52
.LBB913_188:                            ;   in Loop: Header=BB913_180 Depth=1
	s_or_b32 exec_lo, exec_lo, s20
	v_lshrrev_b32_sdwa v52, v10, v182 dst_sel:DWORD dst_unused:UNUSED_PAD src0_sel:DWORD src1_sel:WORD_0
	; wave barrier
	v_and_b32_e32 v52, v52, v66
	v_and_b32_e32 v53, 1, v52
	v_lshlrev_b32_e32 v54, 30, v52
	v_lshlrev_b32_e32 v55, 29, v52
	;; [unrolled: 1-line block ×4, first 2 shown]
	v_add_co_u32 v53, s20, v53, -1
	v_cndmask_b32_e64 v65, 0, 1, s20
	v_not_b32_e32 v70, v54
	v_cmp_gt_i32_e64 s21, 0, v54
	v_not_b32_e32 v54, v55
	v_lshlrev_b32_e32 v68, 26, v52
	v_cmp_ne_u32_e64 s20, 0, v65
	v_ashrrev_i32_e32 v70, 31, v70
	v_lshlrev_b32_e32 v69, 25, v52
	v_ashrrev_i32_e32 v54, 31, v54
	v_lshlrev_b32_e32 v65, 24, v52
	v_xor_b32_e32 v53, s20, v53
	v_cmp_gt_i32_e64 s20, 0, v55
	v_not_b32_e32 v55, v64
	v_xor_b32_e32 v70, s21, v70
	v_cmp_gt_i32_e64 s21, 0, v64
	v_and_b32_e32 v53, exec_lo, v53
	v_not_b32_e32 v64, v67
	v_ashrrev_i32_e32 v55, 31, v55
	v_xor_b32_e32 v54, s20, v54
	v_cmp_gt_i32_e64 s20, 0, v67
	v_and_b32_e32 v53, v53, v70
	v_not_b32_e32 v67, v68
	v_ashrrev_i32_e32 v64, 31, v64
	v_xor_b32_e32 v55, s21, v55
	v_cmp_gt_i32_e64 s21, 0, v68
	v_and_b32_e32 v53, v53, v54
	;; [unrolled: 5-line block ×3, first 2 shown]
	v_not_b32_e32 v55, v65
	v_ashrrev_i32_e32 v54, 31, v54
	v_xor_b32_e32 v67, s21, v67
	v_lshl_add_u32 v52, v52, 3, v134
	v_and_b32_e32 v53, v53, v64
	v_cmp_gt_i32_e64 s21, 0, v65
	v_ashrrev_i32_e32 v55, 31, v55
	v_xor_b32_e32 v54, s20, v54
	v_lshl_add_u32 v64, v52, 2, v12
	v_and_b32_e32 v53, v53, v67
	v_xor_b32_e32 v55, s21, v55
	ds_read_b32 v52, v64 offset:32
	v_and_b32_e32 v53, v53, v54
	v_add_nc_u32_e32 v54, 32, v64
	; wave barrier
	v_and_b32_e32 v55, v53, v55
	v_mbcnt_lo_u32_b32 v53, v55, 0
	v_cmp_ne_u32_e64 s21, 0, v55
	v_cmp_eq_u32_e64 s20, 0, v53
	s_and_b32 s21, s21, s20
	s_and_saveexec_b32 s20, s21
	s_cbranch_execz .LBB913_190
; %bb.189:                              ;   in Loop: Header=BB913_180 Depth=1
	s_waitcnt lgkmcnt(0)
	v_bcnt_u32_b32 v55, v55, v52
	ds_write_b32 v54, v55
.LBB913_190:                            ;   in Loop: Header=BB913_180 Depth=1
	s_or_b32 exec_lo, exec_lo, s20
	v_lshrrev_b32_e32 v195, 16, v182
	; wave barrier
	v_lshrrev_b32_e32 v55, v10, v195
	v_and_b32_e32 v55, v55, v66
	v_and_b32_e32 v64, 1, v55
	v_lshlrev_b32_e32 v65, 30, v55
	v_lshlrev_b32_e32 v67, 29, v55
	;; [unrolled: 1-line block ×4, first 2 shown]
	v_add_co_u32 v64, s20, v64, -1
	v_cndmask_b32_e64 v69, 0, 1, s20
	v_not_b32_e32 v81, v65
	v_cmp_gt_i32_e64 s21, 0, v65
	v_not_b32_e32 v65, v67
	v_lshlrev_b32_e32 v71, 26, v55
	v_cmp_ne_u32_e64 s20, 0, v69
	v_ashrrev_i32_e32 v81, 31, v81
	v_lshlrev_b32_e32 v80, 25, v55
	v_ashrrev_i32_e32 v65, 31, v65
	v_lshlrev_b32_e32 v69, 24, v55
	v_xor_b32_e32 v64, s20, v64
	v_cmp_gt_i32_e64 s20, 0, v67
	v_not_b32_e32 v67, v68
	v_xor_b32_e32 v81, s21, v81
	v_cmp_gt_i32_e64 s21, 0, v68
	v_and_b32_e32 v64, exec_lo, v64
	v_not_b32_e32 v68, v70
	v_ashrrev_i32_e32 v67, 31, v67
	v_xor_b32_e32 v65, s20, v65
	v_cmp_gt_i32_e64 s20, 0, v70
	v_and_b32_e32 v64, v64, v81
	v_not_b32_e32 v70, v71
	v_ashrrev_i32_e32 v68, 31, v68
	v_xor_b32_e32 v67, s21, v67
	v_cmp_gt_i32_e64 s21, 0, v71
	v_and_b32_e32 v64, v64, v65
	;; [unrolled: 5-line block ×3, first 2 shown]
	v_not_b32_e32 v67, v69
	v_ashrrev_i32_e32 v65, 31, v65
	v_xor_b32_e32 v70, s21, v70
	v_lshl_add_u32 v55, v55, 3, v134
	v_and_b32_e32 v64, v64, v68
	v_cmp_gt_i32_e64 s21, 0, v69
	v_ashrrev_i32_e32 v67, 31, v67
	v_xor_b32_e32 v65, s20, v65
	v_lshl_add_u32 v68, v55, 2, v12
	v_and_b32_e32 v64, v64, v70
	v_xor_b32_e32 v67, s21, v67
	ds_read_b32 v55, v68 offset:32
	v_and_b32_e32 v64, v64, v65
	v_add_nc_u32_e32 v65, 32, v68
	; wave barrier
	v_and_b32_e32 v67, v64, v67
	v_mbcnt_lo_u32_b32 v64, v67, 0
	v_cmp_ne_u32_e64 s21, 0, v67
	v_cmp_eq_u32_e64 s20, 0, v64
	s_and_b32 s21, s21, s20
	s_and_saveexec_b32 s20, s21
	s_cbranch_execz .LBB913_192
; %bb.191:                              ;   in Loop: Header=BB913_180 Depth=1
	s_waitcnt lgkmcnt(0)
	v_bcnt_u32_b32 v67, v67, v55
	ds_write_b32 v65, v67
.LBB913_192:                            ;   in Loop: Header=BB913_180 Depth=1
	s_or_b32 exec_lo, exec_lo, s20
	v_lshrrev_b32_sdwa v67, v10, v181 dst_sel:DWORD dst_unused:UNUSED_PAD src0_sel:DWORD src1_sel:WORD_0
	; wave barrier
	v_and_b32_e32 v67, v67, v66
	v_and_b32_e32 v68, 1, v67
	v_lshlrev_b32_e32 v69, 30, v67
	v_lshlrev_b32_e32 v70, 29, v67
	;; [unrolled: 1-line block ×4, first 2 shown]
	v_add_co_u32 v68, s20, v68, -1
	v_cndmask_b32_e64 v80, 0, 1, s20
	v_not_b32_e32 v84, v69
	v_cmp_gt_i32_e64 s21, 0, v69
	v_not_b32_e32 v69, v70
	v_lshlrev_b32_e32 v82, 26, v67
	v_cmp_ne_u32_e64 s20, 0, v80
	v_ashrrev_i32_e32 v84, 31, v84
	v_lshlrev_b32_e32 v83, 25, v67
	v_ashrrev_i32_e32 v69, 31, v69
	v_lshlrev_b32_e32 v80, 24, v67
	v_xor_b32_e32 v68, s20, v68
	v_cmp_gt_i32_e64 s20, 0, v70
	v_not_b32_e32 v70, v71
	v_xor_b32_e32 v84, s21, v84
	v_cmp_gt_i32_e64 s21, 0, v71
	v_and_b32_e32 v68, exec_lo, v68
	v_not_b32_e32 v71, v81
	v_ashrrev_i32_e32 v70, 31, v70
	v_xor_b32_e32 v69, s20, v69
	v_cmp_gt_i32_e64 s20, 0, v81
	v_and_b32_e32 v68, v68, v84
	v_not_b32_e32 v81, v82
	v_ashrrev_i32_e32 v71, 31, v71
	v_xor_b32_e32 v70, s21, v70
	v_cmp_gt_i32_e64 s21, 0, v82
	v_and_b32_e32 v68, v68, v69
	;; [unrolled: 5-line block ×3, first 2 shown]
	v_not_b32_e32 v70, v80
	v_ashrrev_i32_e32 v69, 31, v69
	v_xor_b32_e32 v81, s21, v81
	v_lshl_add_u32 v67, v67, 3, v134
	v_and_b32_e32 v68, v68, v71
	v_cmp_gt_i32_e64 s21, 0, v80
	v_ashrrev_i32_e32 v70, 31, v70
	v_xor_b32_e32 v69, s20, v69
	v_lshl_add_u32 v67, v67, 2, v12
	v_and_b32_e32 v68, v68, v81
	v_xor_b32_e32 v70, s21, v70
	ds_read_b32 v84, v67 offset:32
	v_and_b32_e32 v68, v68, v69
	v_add_nc_u32_e32 v67, 32, v67
	; wave barrier
	v_and_b32_e32 v68, v68, v70
	v_mbcnt_lo_u32_b32 v86, v68, 0
	v_cmp_ne_u32_e64 s21, 0, v68
	v_cmp_eq_u32_e64 s20, 0, v86
	s_and_b32 s21, s21, s20
	s_and_saveexec_b32 s20, s21
	s_cbranch_execz .LBB913_194
; %bb.193:                              ;   in Loop: Header=BB913_180 Depth=1
	s_waitcnt lgkmcnt(0)
	v_bcnt_u32_b32 v68, v68, v84
	ds_write_b32 v67, v68
.LBB913_194:                            ;   in Loop: Header=BB913_180 Depth=1
	s_or_b32 exec_lo, exec_lo, s20
	v_lshrrev_b32_e32 v196, 16, v181
	; wave barrier
	v_lshrrev_b32_e32 v68, v10, v196
	v_and_b32_e32 v66, v68, v66
	v_and_b32_e32 v68, 1, v66
	v_lshlrev_b32_e32 v69, 30, v66
	v_lshlrev_b32_e32 v70, 29, v66
	;; [unrolled: 1-line block ×4, first 2 shown]
	v_add_co_u32 v68, s20, v68, -1
	v_cndmask_b32_e64 v80, 0, 1, s20
	v_not_b32_e32 v85, v69
	v_cmp_gt_i32_e64 s21, 0, v69
	v_not_b32_e32 v69, v70
	v_lshlrev_b32_e32 v82, 26, v66
	v_cmp_ne_u32_e64 s20, 0, v80
	v_ashrrev_i32_e32 v85, 31, v85
	v_lshlrev_b32_e32 v83, 25, v66
	v_ashrrev_i32_e32 v69, 31, v69
	v_lshlrev_b32_e32 v80, 24, v66
	v_xor_b32_e32 v68, s20, v68
	v_cmp_gt_i32_e64 s20, 0, v70
	v_not_b32_e32 v70, v71
	v_xor_b32_e32 v85, s21, v85
	v_cmp_gt_i32_e64 s21, 0, v71
	v_and_b32_e32 v68, exec_lo, v68
	v_not_b32_e32 v71, v81
	v_ashrrev_i32_e32 v70, 31, v70
	v_xor_b32_e32 v69, s20, v69
	v_cmp_gt_i32_e64 s20, 0, v81
	v_and_b32_e32 v68, v68, v85
	v_not_b32_e32 v81, v82
	v_ashrrev_i32_e32 v71, 31, v71
	v_xor_b32_e32 v70, s21, v70
	v_cmp_gt_i32_e64 s21, 0, v82
	v_and_b32_e32 v68, v68, v69
	;; [unrolled: 5-line block ×3, first 2 shown]
	v_not_b32_e32 v70, v80
	v_ashrrev_i32_e32 v69, 31, v69
	v_xor_b32_e32 v81, s21, v81
	v_lshl_add_u32 v66, v66, 3, v134
	v_and_b32_e32 v68, v68, v71
	v_cmp_gt_i32_e64 s21, 0, v80
	v_ashrrev_i32_e32 v70, 31, v70
	v_xor_b32_e32 v69, s20, v69
	v_lshl_add_u32 v66, v66, 2, v12
	v_and_b32_e32 v68, v68, v81
	v_xor_b32_e32 v70, s21, v70
	ds_read_b32 v96, v66 offset:32
	v_and_b32_e32 v68, v68, v69
	v_add_nc_u32_e32 v66, 32, v66
	; wave barrier
	v_and_b32_e32 v68, v68, v70
	v_mbcnt_lo_u32_b32 v97, v68, 0
	v_cmp_ne_u32_e64 s21, 0, v68
	v_cmp_eq_u32_e64 s20, 0, v97
	s_and_b32 s21, s21, s20
	s_and_saveexec_b32 s20, s21
	s_cbranch_execz .LBB913_196
; %bb.195:                              ;   in Loop: Header=BB913_180 Depth=1
	s_waitcnt lgkmcnt(0)
	v_bcnt_u32_b32 v68, v68, v96
	ds_write_b32 v66, v68
.LBB913_196:                            ;   in Loop: Header=BB913_180 Depth=1
	s_or_b32 exec_lo, exec_lo, s20
	; wave barrier
	s_waitcnt lgkmcnt(0)
	s_barrier
	buffer_gl0_inv
	ds_read_b32 v69, v23
	ds_read_b32 v70, v25
	;; [unrolled: 1-line block ×8, first 2 shown]
	s_waitcnt lgkmcnt(6)
	v_add_nc_u32_e32 v85, v70, v69
	s_waitcnt lgkmcnt(4)
	v_add3_u32 v85, v85, v71, v80
	s_waitcnt lgkmcnt(2)
	v_add3_u32 v85, v85, v81, v82
	;; [unrolled: 2-line block ×3, first 2 shown]
	v_mov_b32_dpp v85, v83 row_shr:1 row_mask:0xf bank_mask:0xf
	v_cndmask_b32_e64 v85, v85, 0, vcc_lo
	v_add_nc_u32_e32 v83, v85, v83
	v_mov_b32_dpp v85, v83 row_shr:2 row_mask:0xf bank_mask:0xf
	v_cndmask_b32_e64 v85, 0, v85, s4
	v_add_nc_u32_e32 v83, v83, v85
	v_mov_b32_dpp v85, v83 row_shr:4 row_mask:0xf bank_mask:0xf
	v_cndmask_b32_e64 v85, 0, v85, s5
	;; [unrolled: 3-line block ×3, first 2 shown]
	v_add_nc_u32_e32 v83, v83, v85
	ds_swizzle_b32 v85, v83 offset:swizzle(BROADCAST,32,15)
	s_waitcnt lgkmcnt(0)
	v_cndmask_b32_e64 v85, v85, 0, s10
	v_add_nc_u32_e32 v83, v83, v85
	s_and_saveexec_b32 s20, s11
; %bb.197:                              ;   in Loop: Header=BB913_180 Depth=1
	ds_write_b32 v144, v83
; %bb.198:                              ;   in Loop: Header=BB913_180 Depth=1
	s_or_b32 exec_lo, exec_lo, s20
	s_waitcnt lgkmcnt(0)
	s_barrier
	buffer_gl0_inv
	s_and_saveexec_b32 s20, s14
	s_cbranch_execz .LBB913_200
; %bb.199:                              ;   in Loop: Header=BB913_180 Depth=1
	ds_read_b32 v85, v145
	s_waitcnt lgkmcnt(0)
	v_mov_b32_dpp v87, v85 row_shr:1 row_mask:0xf bank_mask:0xf
	v_cndmask_b32_e64 v87, v87, 0, s17
	v_add_nc_u32_e32 v85, v87, v85
	v_mov_b32_dpp v87, v85 row_shr:2 row_mask:0xf bank_mask:0xf
	v_cndmask_b32_e64 v87, 0, v87, s18
	v_add_nc_u32_e32 v85, v85, v87
	v_mov_b32_dpp v87, v85 row_shr:4 row_mask:0xf bank_mask:0xf
	v_cndmask_b32_e64 v87, 0, v87, s19
	v_add_nc_u32_e32 v85, v85, v87
	ds_write_b32 v145, v85
.LBB913_200:                            ;   in Loop: Header=BB913_180 Depth=1
	s_or_b32 exec_lo, exec_lo, s20
	v_mov_b32_e32 v85, 0
	s_waitcnt lgkmcnt(0)
	s_barrier
	buffer_gl0_inv
	s_and_saveexec_b32 s20, s15
; %bb.201:                              ;   in Loop: Header=BB913_180 Depth=1
	ds_read_b32 v85, v147
; %bb.202:                              ;   in Loop: Header=BB913_180 Depth=1
	s_or_b32 exec_lo, exec_lo, s20
	s_waitcnt lgkmcnt(0)
	v_add_nc_u32_e32 v83, v85, v83
	v_mov_b32_e32 v87, v5
	v_add_nc_u32_e32 v10, 8, v10
	v_mov_b32_e32 v197, v180
	s_mov_b32 s26, -1
	ds_bpermute_b32 v83, v135, v83
	v_cmp_lt_u32_e64 s20, v10, v11
	s_waitcnt lgkmcnt(0)
	v_cndmask_b32_e64 v83, v83, v85, s6
	v_mov_b32_e32 v85, v5
	v_cndmask_b32_e64 v83, v83, 0, s16
	v_add_nc_u32_e32 v69, v83, v69
	v_add_nc_u32_e32 v70, v69, v70
	ds_write_b32 v23, v83
	ds_write_b32 v25, v69
	;; [unrolled: 1-line block ×3, first 2 shown]
	v_mov_b32_e32 v69, v5
	v_add_nc_u32_e32 v71, v70, v71
	v_mov_b32_e32 v83, v5
	v_add_nc_u32_e32 v80, v71, v80
	v_add_nc_u32_e32 v81, v80, v81
	;; [unrolled: 1-line block ×4, first 2 shown]
	ds_write_b32 v129, v71
	ds_write_b32 v130, v80
	;; [unrolled: 1-line block ×5, first 2 shown]
	s_waitcnt lgkmcnt(0)
	s_barrier
	buffer_gl0_inv
	ds_read_b32 v34, v34
	ds_read_b32 v37, v37
	;; [unrolled: 1-line block ×8, first 2 shown]
	v_mov_b32_e32 v71, v5
	v_mov_b32_e32 v67, v5
	;; [unrolled: 1-line block ×3, first 2 shown]
	s_waitcnt lgkmcnt(0)
	v_add_nc_u32_e32 v4, v34, v4
	v_add3_u32 v70, v36, v35, v37
	v_add3_u32 v66, v39, v38, v48
	;; [unrolled: 1-line block ×4, first 2 shown]
	v_lshlrev_b64 v[34:35], 1, v[4:5]
	v_lshlrev_b64 v[36:37], 1, v[70:71]
	v_lshlrev_b64 v[38:39], 1, v[66:67]
	v_add3_u32 v82, v64, v55, v65
	v_lshlrev_b64 v[48:49], 1, v[68:69]
	v_add3_u32 v84, v86, v84, v98
	v_add_co_u32 v116, s21, v12, v34
	v_lshlrev_b64 v[50:51], 1, v[80:81]
	v_add_co_ci_u32_e64 v117, null, v13, v35, s21
	v_add_co_u32 v118, s21, v12, v36
	v_add3_u32 v86, v97, v96, v99
	v_lshlrev_b64 v[52:53], 1, v[82:83]
	v_add_co_ci_u32_e64 v119, null, v13, v37, s21
	v_add_co_u32 v96, s21, v12, v38
	v_lshlrev_b64 v[54:55], 1, v[84:85]
	v_add_co_ci_u32_e64 v97, null, v13, v39, s21
	v_add_co_u32 v98, s21, v12, v48
	;; [unrolled: 3-line block ×3, first 2 shown]
	v_add_co_ci_u32_e64 v101, null, v13, v51, s21
	v_add_co_u32 v102, s21, v12, v52
	v_add_co_ci_u32_e64 v103, null, v13, v53, s21
	v_add_co_u32 v112, s21, v12, v54
	;; [unrolled: 2-line block ×3, first 2 shown]
	v_add_co_ci_u32_e64 v115, null, v13, v65, s21
                                        ; implicit-def: $vgpr71
                                        ; implicit-def: $vgpr69
                                        ; implicit-def: $vgpr67
                                        ; implicit-def: $vgpr36_vgpr37
                                        ; implicit-def: $vgpr48_vgpr49
                                        ; implicit-def: $vgpr50_vgpr51
                                        ; implicit-def: $vgpr52_vgpr53
                                        ; implicit-def: $vgpr54_vgpr55
                                        ; implicit-def: $vgpr64_vgpr65
                                        ; implicit-def: $vgpr34_vgpr35
                                        ; implicit-def: $vgpr38_vgpr39
	s_and_saveexec_b32 s21, s20
	s_cbranch_execz .LBB913_179
; %bb.203:                              ;   in Loop: Header=BB913_180 Depth=1
	s_barrier
	buffer_gl0_inv
	ds_write_b16 v116, v180
	ds_write_b16 v118, v193
	;; [unrolled: 1-line block ×8, first 2 shown]
	s_waitcnt lgkmcnt(0)
	s_barrier
	buffer_gl0_inv
	ds_read_u16 v180, v146
	ds_read_u16 v67, v149
	;; [unrolled: 1-line block ×4, first 2 shown]
	v_mad_u64_u32 v[34:35], null, v4, 6, v[116:117]
	v_mad_u64_u32 v[35:36], null, v70, 6, v[118:119]
	v_mad_u64_u32 v[36:37], null, v66, 6, v[96:97]
	v_mad_u64_u32 v[37:38], null, v68, 6, v[98:99]
	v_mad_u64_u32 v[38:39], null, v80, 6, v[100:101]
	v_mad_u64_u32 v[48:49], null, v82, 6, v[102:103]
	v_mad_u64_u32 v[49:50], null, v84, 6, v[112:113]
	v_mad_u64_u32 v[50:51], null, v86, 6, v[114:115]
	s_waitcnt lgkmcnt(3)
	ds_read_u16_d16_hi v180, v148
	s_waitcnt lgkmcnt(3)
	ds_read_u16_d16_hi v67, v150
	;; [unrolled: 2-line block ×4, first 2 shown]
	s_waitcnt lgkmcnt(0)
	s_barrier
	buffer_gl0_inv
	ds_write_b64 v34, v[28:29]
	ds_write_b64 v35, v[21:22]
	;; [unrolled: 1-line block ×8, first 2 shown]
	s_waitcnt lgkmcnt(0)
	s_barrier
	buffer_gl0_inv
	ds_read_b64 v[36:37], v151
	ds_read_b64 v[48:49], v164
	;; [unrolled: 1-line block ×8, first 2 shown]
	v_add_nc_u32_e32 v179, -8, v179
	s_xor_b32 s26, exec_lo, -1
	s_waitcnt lgkmcnt(0)
	s_barrier
	buffer_gl0_inv
	s_branch .LBB913_179
.LBB913_204:
	flat_load_dwordx2 v[82:83], v[4:5]
	s_or_b32 exec_lo, exec_lo, s24
                                        ; implicit-def: $vgpr86_vgpr87
	s_and_saveexec_b32 s24, s4
	s_cbranch_execz .LBB913_38
.LBB913_205:
	flat_load_dwordx2 v[86:87], v[4:5] offset:256
	s_or_b32 exec_lo, exec_lo, s24
                                        ; implicit-def: $vgpr80_vgpr81
	s_and_saveexec_b32 s4, s5
	s_cbranch_execz .LBB913_39
.LBB913_206:
	flat_load_dwordx2 v[80:81], v[4:5] offset:512
	s_or_b32 exec_lo, exec_lo, s4
                                        ; implicit-def: $vgpr84_vgpr85
	s_and_saveexec_b32 s4, s6
	s_cbranch_execz .LBB913_40
.LBB913_207:
	flat_load_dwordx2 v[84:85], v[4:5] offset:768
	s_or_b32 exec_lo, exec_lo, s4
                                        ; implicit-def: $vgpr96_vgpr97
	s_and_saveexec_b32 s4, s7
	s_cbranch_execz .LBB913_41
.LBB913_208:
	flat_load_dwordx2 v[96:97], v[4:5] offset:1024
	s_or_b32 exec_lo, exec_lo, s4
                                        ; implicit-def: $vgpr114_vgpr115
	s_and_saveexec_b32 s4, s10
	s_cbranch_execz .LBB913_42
.LBB913_209:
	flat_load_dwordx2 v[114:115], v[4:5] offset:1280
	s_or_b32 exec_lo, exec_lo, s4
                                        ; implicit-def: $vgpr112_vgpr113
	s_and_saveexec_b32 s4, s11
	s_cbranch_execz .LBB913_43
.LBB913_210:
	flat_load_dwordx2 v[112:113], v[4:5] offset:1536
	s_or_b32 exec_lo, exec_lo, s4
                                        ; implicit-def: $vgpr129_vgpr130
	s_and_saveexec_b32 s4, s14
	s_cbranch_execz .LBB913_44
.LBB913_211:
	flat_load_dwordx2 v[129:130], v[4:5] offset:1792
	s_or_b32 exec_lo, exec_lo, s4
                                        ; implicit-def: $vgpr131_vgpr132
	s_and_saveexec_b32 s4, s20
	s_cbranch_execz .LBB913_45
.LBB913_212:
	v_add_co_u32 v8, vcc_lo, 0x800, v4
	v_add_co_ci_u32_e64 v9, null, 0, v5, vcc_lo
	flat_load_dwordx2 v[131:132], v[8:9]
	s_or_b32 exec_lo, exec_lo, s4
                                        ; implicit-def: $vgpr134_vgpr135
	s_and_saveexec_b32 s4, s16
	s_cbranch_execz .LBB913_46
.LBB913_213:
	v_add_co_u32 v8, vcc_lo, 0x800, v4
	v_add_co_ci_u32_e64 v9, null, 0, v5, vcc_lo
	flat_load_dwordx2 v[134:135], v[8:9] offset:256
	s_or_b32 exec_lo, exec_lo, s4
                                        ; implicit-def: $vgpr177_vgpr178
	s_and_saveexec_b32 s4, s21
	s_cbranch_execz .LBB913_47
.LBB913_214:
	v_add_co_u32 v8, vcc_lo, 0x800, v4
	v_add_co_ci_u32_e64 v9, null, 0, v5, vcc_lo
	flat_load_dwordx2 v[177:178], v[8:9] offset:512
	s_or_b32 exec_lo, exec_lo, s4
                                        ; implicit-def: $vgpr179_vgpr180
	s_and_saveexec_b32 s4, s17
	s_cbranch_execz .LBB913_48
.LBB913_215:
	v_add_co_u32 v8, vcc_lo, 0x800, v4
	v_add_co_ci_u32_e64 v9, null, 0, v5, vcc_lo
	flat_load_dwordx2 v[179:180], v[8:9] offset:768
	s_or_b32 exec_lo, exec_lo, s4
                                        ; implicit-def: $vgpr181_vgpr182
	s_and_saveexec_b32 s4, s22
	s_cbranch_execz .LBB913_49
.LBB913_216:
	v_add_co_u32 v8, vcc_lo, 0x800, v4
	v_add_co_ci_u32_e64 v9, null, 0, v5, vcc_lo
	flat_load_dwordx2 v[181:182], v[8:9] offset:1024
	s_or_b32 exec_lo, exec_lo, s4
                                        ; implicit-def: $vgpr192_vgpr193
	s_and_saveexec_b32 s4, s18
	s_cbranch_execz .LBB913_50
.LBB913_217:
	v_add_co_u32 v8, vcc_lo, 0x800, v4
	v_add_co_ci_u32_e64 v9, null, 0, v5, vcc_lo
	flat_load_dwordx2 v[192:193], v[8:9] offset:1280
	s_or_b32 exec_lo, exec_lo, s4
                                        ; implicit-def: $vgpr194_vgpr195
	s_and_saveexec_b32 s4, s23
	s_cbranch_execz .LBB913_51
.LBB913_218:
	v_add_co_u32 v8, vcc_lo, 0x800, v4
	v_add_co_ci_u32_e64 v9, null, 0, v5, vcc_lo
	flat_load_dwordx2 v[194:195], v[8:9] offset:1536
	s_or_b32 exec_lo, exec_lo, s4
                                        ; implicit-def: $vgpr210_vgpr211
	s_and_saveexec_b32 s4, s19
	s_cbranch_execz .LBB913_52
.LBB913_219:
	v_add_co_u32 v8, vcc_lo, 0x800, v4
	v_add_co_ci_u32_e64 v9, null, 0, v5, vcc_lo
	flat_load_dwordx2 v[210:211], v[8:9] offset:1792
	s_or_b32 exec_lo, exec_lo, s4
                                        ; implicit-def: $vgpr230_vgpr231
	s_and_saveexec_b32 s4, s15
	s_cbranch_execnz .LBB913_53
	s_branch .LBB913_54
.LBB913_220:
	flat_store_dwordx2 v[0:1], v[36:37]
	s_or_b32 exec_lo, exec_lo, s24
	s_and_saveexec_b32 s24, s7
	s_cbranch_execz .LBB913_134
.LBB913_221:
	v_add_co_u32 v2, vcc_lo, 0x800, v0
	v_add_co_ci_u32_e64 v3, null, 0, v1, vcc_lo
	flat_store_dwordx2 v[2:3], v[38:39]
	s_or_b32 exec_lo, exec_lo, s24
	s_and_saveexec_b32 s7, s6
	s_cbranch_execz .LBB913_135
.LBB913_222:
	v_add_co_u32 v2, vcc_lo, 0x1000, v0
	v_add_co_ci_u32_e64 v3, null, 0, v1, vcc_lo
	flat_store_dwordx2 v[2:3], v[32:33]
	s_or_b32 exec_lo, exec_lo, s7
	s_and_saveexec_b32 s6, s5
	s_cbranch_execz .LBB913_136
.LBB913_223:
	v_add_co_u32 v2, vcc_lo, 0x1800, v0
	v_add_co_ci_u32_e64 v3, null, 0, v1, vcc_lo
	flat_store_dwordx2 v[2:3], v[34:35]
	s_or_b32 exec_lo, exec_lo, s6
	s_and_saveexec_b32 s5, s4
	s_cbranch_execz .LBB913_137
.LBB913_224:
	v_add_co_u32 v2, vcc_lo, 0x2000, v0
	v_add_co_ci_u32_e64 v3, null, 0, v1, vcc_lo
	flat_store_dwordx2 v[2:3], v[28:29]
	s_or_b32 exec_lo, exec_lo, s5
	s_and_saveexec_b32 s4, s10
	s_cbranch_execz .LBB913_138
.LBB913_225:
	v_add_co_u32 v2, vcc_lo, 0x2800, v0
	v_add_co_ci_u32_e64 v3, null, 0, v1, vcc_lo
	flat_store_dwordx2 v[2:3], v[30:31]
	s_or_b32 exec_lo, exec_lo, s4
	s_and_saveexec_b32 s4, s11
	s_cbranch_execz .LBB913_139
.LBB913_226:
	v_add_co_u32 v2, vcc_lo, 0x3000, v0
	v_add_co_ci_u32_e64 v3, null, 0, v1, vcc_lo
	flat_store_dwordx2 v[2:3], v[24:25]
	s_or_b32 exec_lo, exec_lo, s4
	s_and_saveexec_b32 s4, s14
	s_cbranch_execz .LBB913_140
.LBB913_227:
	v_add_co_u32 v2, vcc_lo, 0x3800, v0
	v_add_co_ci_u32_e64 v3, null, 0, v1, vcc_lo
	flat_store_dwordx2 v[2:3], v[26:27]
	s_or_b32 exec_lo, exec_lo, s4
	s_and_saveexec_b32 s4, s15
	s_cbranch_execz .LBB913_141
.LBB913_228:
	v_add_co_u32 v2, vcc_lo, 0x4000, v0
	v_add_co_ci_u32_e64 v3, null, 0, v1, vcc_lo
	flat_store_dwordx2 v[2:3], v[20:21]
	s_or_b32 exec_lo, exec_lo, s4
	s_and_saveexec_b32 s4, s16
	s_cbranch_execz .LBB913_142
.LBB913_229:
	v_add_co_u32 v2, vcc_lo, 0x4800, v0
	v_add_co_ci_u32_e64 v3, null, 0, v1, vcc_lo
	flat_store_dwordx2 v[2:3], v[22:23]
	s_or_b32 exec_lo, exec_lo, s4
	s_and_saveexec_b32 s4, s17
	s_cbranch_execz .LBB913_143
.LBB913_230:
	v_add_co_u32 v2, vcc_lo, 0x5000, v0
	v_add_co_ci_u32_e64 v3, null, 0, v1, vcc_lo
	flat_store_dwordx2 v[2:3], v[16:17]
	s_or_b32 exec_lo, exec_lo, s4
	s_and_saveexec_b32 s4, s18
	s_cbranch_execz .LBB913_144
.LBB913_231:
	v_add_co_u32 v2, vcc_lo, 0x5800, v0
	v_add_co_ci_u32_e64 v3, null, 0, v1, vcc_lo
	flat_store_dwordx2 v[2:3], v[18:19]
	s_or_b32 exec_lo, exec_lo, s4
	s_and_saveexec_b32 s4, s19
	s_cbranch_execz .LBB913_145
.LBB913_232:
	v_add_co_u32 v2, vcc_lo, 0x6000, v0
	v_add_co_ci_u32_e64 v3, null, 0, v1, vcc_lo
	flat_store_dwordx2 v[2:3], v[12:13]
	s_or_b32 exec_lo, exec_lo, s4
	s_and_saveexec_b32 s4, s20
	s_cbranch_execz .LBB913_146
.LBB913_233:
	v_add_co_u32 v2, vcc_lo, 0x6800, v0
	v_add_co_ci_u32_e64 v3, null, 0, v1, vcc_lo
	flat_store_dwordx2 v[2:3], v[14:15]
	s_or_b32 exec_lo, exec_lo, s4
	s_and_saveexec_b32 s4, s21
	s_cbranch_execz .LBB913_147
.LBB913_234:
	v_add_co_u32 v2, vcc_lo, 0x7000, v0
	v_add_co_ci_u32_e64 v3, null, 0, v1, vcc_lo
	flat_store_dwordx2 v[2:3], v[8:9]
	s_or_b32 exec_lo, exec_lo, s4
	s_and_saveexec_b32 s4, s22
	s_cbranch_execz .LBB913_148
.LBB913_235:
	v_add_co_u32 v2, vcc_lo, 0x7800, v0
	v_add_co_ci_u32_e64 v3, null, 0, v1, vcc_lo
	flat_store_dwordx2 v[2:3], v[10:11]
	s_or_b32 exec_lo, exec_lo, s4
	s_and_saveexec_b32 s4, s23
	s_cbranch_execnz .LBB913_149
	s_branch .LBB913_150
.LBB913_236:
	s_or_b32 exec_lo, exec_lo, s24
	v_mad_u64_u32 v[10:11], null, v4, 6, v[116:117]
	v_lshl_add_u32 v25, v18, 1, v12
	v_mad_u64_u32 v[11:12], null, v70, 6, v[118:119]
	s_barrier
	buffer_gl0_inv
	ds_write_b16 v116, v197
	ds_write_b16 v118, v193
	;; [unrolled: 1-line block ×8, first 2 shown]
	s_waitcnt lgkmcnt(0)
	s_barrier
	buffer_gl0_inv
	ds_read_u16 v39, v25
	ds_read_u16 v38, v25 offset:512
	ds_read_u16 v37, v25 offset:1024
	;; [unrolled: 1-line block ×7, first 2 shown]
	s_waitcnt lgkmcnt(0)
	s_barrier
	buffer_gl0_inv
	ds_write_b64 v10, v[28:29]
	ds_write_b64 v11, v[21:22]
	v_mad_u64_u32 v[10:11], null, v66, 6, v[96:97]
	v_mad_u64_u32 v[11:12], null, v68, 6, v[98:99]
	;; [unrolled: 1-line block ×5, first 2 shown]
	ds_write_b64 v10, v[19:20]
	v_mul_u32_u24_e32 v10, 6, v18
	v_mad_u64_u32 v[28:29], null, v86, 6, v[114:115]
	ds_write_b64 v11, v[16:17]
	ds_write_b64 v12, v[14:15]
	;; [unrolled: 1-line block ×4, first 2 shown]
	v_add_co_u32 v2, vcc_lo, v2, v26
	v_add_nc_u32_e32 v8, v25, v10
	v_mov_b32_e32 v25, 0
	v_add_co_ci_u32_e64 v3, null, v3, v27, vcc_lo
	ds_write_b64 v28, v[32:33]
	s_waitcnt lgkmcnt(0)
	s_barrier
	buffer_gl0_inv
	ds_read2st64_b64 v[20:23], v8 offset1:4
	ds_read2st64_b64 v[16:19], v8 offset0:8 offset1:12
	ds_read2st64_b64 v[12:15], v8 offset0:16 offset1:20
	;; [unrolled: 1-line block ×3, first 2 shown]
	v_lshlrev_b64 v[28:29], 1, v[24:25]
	s_waitcnt lgkmcnt(0)
	s_barrier
	buffer_gl0_inv
	v_add_co_u32 v2, vcc_lo, v2, v28
	v_add_co_ci_u32_e64 v3, null, v3, v29, vcc_lo
	v_cmp_lt_u32_e32 vcc_lo, v24, v183
	s_and_saveexec_b32 s4, vcc_lo
	s_cbranch_execz .LBB913_238
; %bb.237:
	v_xor_b32_e32 v26, 0x7fff, v39
	flat_store_short v[2:3], v26
.LBB913_238:
	s_or_b32 exec_lo, exec_lo, s4
	v_add_nc_u32_e32 v26, 0x100, v24
	v_cmp_lt_u32_e64 s7, v26, v183
	s_and_saveexec_b32 s4, s7
	s_cbranch_execz .LBB913_240
; %bb.239:
	v_xor_b32_e32 v26, 0x7fff, v38
	flat_store_short v[2:3], v26 offset:512
.LBB913_240:
	s_or_b32 exec_lo, exec_lo, s4
	v_add_nc_u32_e32 v26, 0x200, v24
	v_cmp_lt_u32_e64 s6, v26, v183
	s_and_saveexec_b32 s4, s6
	s_cbranch_execz .LBB913_242
; %bb.241:
	v_xor_b32_e32 v26, 0x7fff, v37
	flat_store_short v[2:3], v26 offset:1024
.LBB913_242:
	s_or_b32 exec_lo, exec_lo, s4
	v_add_nc_u32_e32 v26, 0x300, v24
	v_cmp_lt_u32_e64 s5, v26, v183
	s_and_saveexec_b32 s4, s5
	s_cbranch_execz .LBB913_244
; %bb.243:
	v_xor_b32_e32 v26, 0x7fff, v36
	flat_store_short v[2:3], v26 offset:1536
.LBB913_244:
	s_or_b32 exec_lo, exec_lo, s4
	v_add_nc_u32_e32 v26, 0x400, v24
	v_cmp_lt_u32_e64 s4, v26, v183
	s_and_saveexec_b32 s11, s4
	s_cbranch_execz .LBB913_246
; %bb.245:
	v_add_co_u32 v26, s10, 0x800, v2
	v_xor_b32_e32 v28, 0x7fff, v35
	v_add_co_ci_u32_e64 v27, null, 0, v3, s10
	flat_store_short v[26:27], v28
.LBB913_246:
	s_or_b32 exec_lo, exec_lo, s11
	v_add_nc_u32_e32 v26, 0x500, v24
	v_cmp_lt_u32_e64 s10, v26, v183
	s_and_saveexec_b32 s14, s10
	s_cbranch_execz .LBB913_248
; %bb.247:
	v_add_co_u32 v26, s11, 0x800, v2
	v_xor_b32_e32 v28, 0x7fff, v34
	v_add_co_ci_u32_e64 v27, null, 0, v3, s11
	flat_store_short v[26:27], v28 offset:512
.LBB913_248:
	s_or_b32 exec_lo, exec_lo, s14
	v_add_nc_u32_e32 v26, 0x600, v24
	v_cmp_lt_u32_e64 s11, v26, v183
	s_and_saveexec_b32 s15, s11
	s_cbranch_execz .LBB913_250
; %bb.249:
	v_add_co_u32 v26, s14, 0x800, v2
	v_xor_b32_e32 v5, 0x7fff, v5
	v_add_co_ci_u32_e64 v27, null, 0, v3, s14
	flat_store_short v[26:27], v5 offset:1024
.LBB913_250:
	;; [unrolled: 11-line block ×3, first 2 shown]
	s_or_b32 exec_lo, exec_lo, s16
	v_lshlrev_b64 v[2:3], 3, v[24:25]
	v_add_co_u32 v0, s15, v6, v0
	v_add_co_ci_u32_e64 v1, null, v7, v1, s15
	v_add_co_u32 v0, s15, v0, v2
	v_add_co_ci_u32_e64 v1, null, v1, v3, s15
	s_and_saveexec_b32 s15, vcc_lo
	s_cbranch_execnz .LBB913_302
; %bb.253:
	s_or_b32 exec_lo, exec_lo, s15
	s_and_saveexec_b32 s15, s7
	s_cbranch_execnz .LBB913_303
.LBB913_254:
	s_or_b32 exec_lo, exec_lo, s15
	s_and_saveexec_b32 s7, s6
	s_cbranch_execnz .LBB913_304
.LBB913_255:
	s_or_b32 exec_lo, exec_lo, s7
	s_and_saveexec_b32 s6, s5
	s_cbranch_execnz .LBB913_305
.LBB913_256:
	s_or_b32 exec_lo, exec_lo, s6
	s_and_saveexec_b32 s5, s4
	s_cbranch_execnz .LBB913_306
.LBB913_257:
	s_or_b32 exec_lo, exec_lo, s5
	s_and_saveexec_b32 s4, s10
	s_cbranch_execnz .LBB913_307
.LBB913_258:
	s_or_b32 exec_lo, exec_lo, s4
	s_and_saveexec_b32 s4, s11
	s_cbranch_execnz .LBB913_308
.LBB913_259:
	s_or_b32 exec_lo, exec_lo, s4
	s_and_saveexec_b32 s4, s14
	s_cbranch_execz .LBB913_261
.LBB913_260:
	v_add_co_u32 v0, vcc_lo, 0x3800, v0
	v_add_co_ci_u32_e64 v1, null, 0, v1, vcc_lo
	flat_store_dwordx2 v[0:1], v[10:11]
.LBB913_261:
	s_or_b32 exec_lo, exec_lo, s4
                                        ; implicit-def: $vgpr183
                                        ; implicit-def: $vgpr0
                                        ; implicit-def: $vgpr1
                                        ; implicit-def: $vgpr2
                                        ; implicit-def: $vgpr3
                                        ; implicit-def: $vgpr4
                                        ; implicit-def: $vgpr5
                                        ; implicit-def: $vgpr6
                                        ; implicit-def: $vgpr7
                                        ; implicit-def: $vgpr8
                                        ; implicit-def: $vgpr10
                                        ; implicit-def: $vgpr11
                                        ; implicit-def: $vgpr12
                                        ; implicit-def: $vgpr13
                                        ; implicit-def: $vgpr14
                                        ; implicit-def: $vgpr15
                                        ; implicit-def: $vgpr18
                                        ; implicit-def: $vgpr33
.LBB913_262:
	s_andn2_saveexec_b32 s4, s22
	s_cbranch_execz .LBB913_382
; %bb.263:
	s_mov_b32 s4, exec_lo
	v_cmpx_lt_u32_e32 0x200, v183
	s_xor_b32 s22, exec_lo, s4
	s_cbranch_execz .LBB913_323
; %bb.264:
	s_load_dwordx2 s[4:5], s[8:9], 0x0
	v_mov_b32_e32 v9, 0
	v_lshlrev_b32_e32 v23, 1, v33
	v_mov_b32_e32 v22, v9
	s_waitcnt lgkmcnt(0)
	s_cmp_lt_u32 s13, s5
	s_cselect_b32 s5, 14, 20
	s_add_u32 s6, s8, s5
	s_addc_u32 s7, s9, 0
	s_cmp_lt_u32 s12, s4
	global_load_ushort v16, v9, s[6:7]
	s_cselect_b32 s4, 12, 18
	s_add_u32 s4, s8, s4
	s_addc_u32 s5, s9, 0
	global_load_ushort v17, v9, s[4:5]
	s_waitcnt vmcnt(1)
	v_mad_u32_u24 v14, v15, v16, v14
	s_waitcnt vmcnt(0)
	v_mad_u64_u32 v[16:17], null, v14, v17, v[18:19]
	v_lshlrev_b64 v[19:20], 1, v[8:9]
	v_mov_b32_e32 v14, 0x80008000
	v_lshlrev_b32_e32 v15, 2, v16
	v_and_b32_e32 v21, 0xffffff80, v15
	v_add_co_u32 v15, vcc_lo, v0, v19
	v_add_co_ci_u32_e64 v24, null, v1, v20, vcc_lo
	v_lshlrev_b64 v[0:1], 1, v[21:22]
	v_add_co_u32 v15, vcc_lo, v15, v23
	v_or_b32_e32 v17, v21, v33
	v_add_co_ci_u32_e64 v23, null, 0, v24, vcc_lo
	v_add_co_u32 v0, s4, v15, v0
	v_cmp_lt_u32_e32 vcc_lo, v17, v183
	v_add_co_ci_u32_e64 v1, null, v23, v1, s4
	v_mov_b32_e32 v15, v14
	s_and_saveexec_b32 s4, vcc_lo
	s_cbranch_execz .LBB913_266
; %bb.265:
	v_bfrev_b32_e32 v23, 1
	v_mov_b32_e32 v24, v14
	flat_load_short_d16 v23, v[0:1]
	s_waitcnt vmcnt(0) lgkmcnt(0)
	v_mov_b32_e32 v14, v23
	v_mov_b32_e32 v15, v24
.LBB913_266:
	s_or_b32 exec_lo, exec_lo, s4
	v_or_b32_e32 v23, 32, v17
	v_cmp_lt_u32_e64 s4, v23, v183
	s_and_saveexec_b32 s5, s4
	s_cbranch_execz .LBB913_268
; %bb.267:
	flat_load_short_d16_hi v14, v[0:1] offset:64
.LBB913_268:
	s_or_b32 exec_lo, exec_lo, s5
	v_or_b32_e32 v23, 64, v17
	v_cmp_lt_u32_e64 s5, v23, v183
	s_and_saveexec_b32 s6, s5
	s_cbranch_execz .LBB913_270
; %bb.269:
	flat_load_short_d16 v15, v[0:1] offset:128
.LBB913_270:
	s_or_b32 exec_lo, exec_lo, s6
	v_or_b32_e32 v17, 0x60, v17
	v_cmp_lt_u32_e64 s6, v17, v183
	s_and_saveexec_b32 s7, s6
	s_cbranch_execz .LBB913_272
; %bb.271:
	s_waitcnt vmcnt(0) lgkmcnt(0)
	flat_load_short_d16_hi v15, v[0:1] offset:192
.LBB913_272:
	s_or_b32 exec_lo, exec_lo, s7
	v_lshlrev_b64 v[0:1], 3, v[8:9]
	v_lshlrev_b32_e32 v8, 3, v33
                                        ; implicit-def: $vgpr29_vgpr30
	v_add_co_u32 v9, s7, v4, v0
	v_add_co_ci_u32_e64 v17, null, v5, v1, s7
	v_lshlrev_b64 v[4:5], 3, v[21:22]
	v_add_co_u32 v8, s7, v9, v8
	v_add_co_ci_u32_e64 v9, null, 0, v17, s7
	v_add_co_u32 v4, s7, v8, v4
	v_add_co_ci_u32_e64 v5, null, v9, v5, s7
	s_and_saveexec_b32 s7, vcc_lo
	s_cbranch_execnz .LBB913_347
; %bb.273:
	s_or_b32 exec_lo, exec_lo, s7
                                        ; implicit-def: $vgpr31_vgpr32
	s_and_saveexec_b32 s7, s4
	s_cbranch_execnz .LBB913_348
.LBB913_274:
	s_or_b32 exec_lo, exec_lo, s7
                                        ; implicit-def: $vgpr25_vgpr26
	s_and_saveexec_b32 s4, s5
	s_cbranch_execnz .LBB913_349
.LBB913_275:
	s_or_b32 exec_lo, exec_lo, s4
                                        ; implicit-def: $vgpr27_vgpr28
	s_and_saveexec_b32 s4, s6
	s_cbranch_execz .LBB913_277
.LBB913_276:
	flat_load_dwordx2 v[27:28], v[4:5] offset:768
.LBB913_277:
	s_or_b32 exec_lo, exec_lo, s4
	v_mov_b32_e32 v4, 0x7fff
	s_waitcnt vmcnt(0) lgkmcnt(0)
	v_xor_b32_e32 v8, 0x7fff, v15
	v_lshl_add_u32 v5, v18, 5, v12
	v_xor_b32_e32 v9, 0x7fff, v14
	v_sub_co_u32 v22, s6, v33, 1
	v_xor_b32_sdwa v15, v15, v4 dst_sel:DWORD dst_unused:UNUSED_PAD src0_sel:WORD_1 src1_sel:DWORD
	v_xor_b32_sdwa v4, v14, v4 dst_sel:DWORD dst_unused:UNUSED_PAD src0_sel:WORD_1 src1_sel:DWORD
	v_and_b32_e32 v14, 0x3e0, v18
	v_add_nc_u32_e32 v17, 32, v5
	v_add_nc_u32_e32 v54, 36, v5
	;; [unrolled: 1-line block ×6, first 2 shown]
	v_and_b32_e32 v21, 15, v33
	v_add_nc_u32_e32 v67, 56, v5
	v_add_nc_u32_e32 v68, 60, v5
	v_min_u32_e32 v5, 0xe0, v14
	v_and_b32_e32 v14, 16, v33
	v_cmp_gt_i32_e64 s14, 0, v22
	s_getpc_b64 s[4:5]
	s_add_u32 s4, s4, _ZN7rocprim17ROCPRIM_400000_NS16block_radix_sortIsLj256ELj4ElLj1ELj1ELj8ELNS0_26block_radix_rank_algorithmE2ELNS0_18block_padding_hintE2ELNS0_4arch9wavefront6targetE0EE19radix_bits_per_passE@rel32@lo+4
	s_addc_u32 s5, s5, _ZN7rocprim17ROCPRIM_400000_NS16block_radix_sortIsLj256ELj4ElLj1ELj1ELj8ELNS0_26block_radix_rank_algorithmE2ELNS0_18block_padding_hintE2ELNS0_4arch9wavefront6targetE0EE19radix_bits_per_passE@rel32@hi+12
	v_cmp_eq_u32_e32 vcc_lo, 0, v21
	s_load_dword s23, s[4:5], 0x0
	v_cmp_lt_u32_e64 s4, 1, v21
	v_cmp_lt_u32_e64 s5, 3, v21
	v_or_b32_e32 v5, 31, v5
	v_cmp_lt_u32_e64 s7, 7, v21
	v_cmp_eq_u32_e64 s10, 0, v14
	v_cndmask_b32_e64 v14, v22, v33, s14
	v_lshlrev_b32_e32 v21, 2, v18
	v_cmp_eq_u32_e64 s11, v18, v5
	v_lshrrev_b32_e32 v5, 3, v18
	v_and_b32_e32 v22, 7, v33
	v_lshlrev_b32_e32 v70, 2, v14
	v_and_or_b32 v14, 0xf80, v21, v33
	v_lshrrev_b32_e32 v69, 5, v16
	v_and_b32_e32 v5, 0x7c, v5
	v_cmp_gt_u32_e64 s14, 8, v18
	v_cmp_lt_u32_e64 s15, 31, v18
	v_lshl_add_u32 v80, v14, 1, v12
	v_mul_u32_u24_e32 v14, 6, v14
	v_add_nc_u32_e32 v71, v12, v5
	v_cmp_eq_u32_e64 s16, 0, v18
	v_mov_b32_e32 v5, 0
	v_add_nc_u32_e32 v81, v12, v21
	v_add_nc_u32_e32 v82, v80, v14
	v_cmp_eq_u32_e64 s17, 0, v22
	v_cmp_lt_u32_e64 s18, 1, v22
	v_cmp_lt_u32_e64 s19, 3, v22
	v_add_nc_u32_e32 v83, -4, v71
	v_add_nc_u32_e32 v84, 64, v80
	v_add_nc_u32_e32 v85, 0x80, v80
	;; [unrolled: 1-line block ×6, first 2 shown]
	v_perm_b32 v99, v4, v9, 0x5040100
	v_perm_b32 v34, v15, v8, 0x5040100
	v_sub_nc_u32_e32 v98, v11, v10
	s_mov_b32 s24, 0
	s_waitcnt lgkmcnt(0)
	s_waitcnt_vscnt null, 0x0
	s_barrier
	buffer_gl0_inv
	s_branch .LBB913_279
.LBB913_278:                            ;   in Loop: Header=BB913_279 Depth=1
	s_or_b32 exec_lo, exec_lo, s21
	s_and_b32 s20, exec_lo, s26
	s_or_b32 s24, s20, s24
	s_andn2_b32 exec_lo, exec_lo, s24
	s_cbranch_execz .LBB913_309
.LBB913_279:                            ; =>This Inner Loop Header: Depth=1
	v_min_u32_e32 v4, s23, v98
	v_lshrrev_b32_sdwa v8, v10, v99 dst_sel:DWORD dst_unused:UNUSED_PAD src0_sel:DWORD src1_sel:WORD_0
	v_mov_b32_e32 v14, v29
	v_mov_b32_e32 v15, v30
	;; [unrolled: 1-line block ×3, first 2 shown]
	v_lshlrev_b32_e64 v4, v4, -1
	ds_write_b32 v17, v5
	ds_write_b32 v54, v5
	;; [unrolled: 1-line block ×7, first 2 shown]
	v_not_b32_e32 v33, v4
	ds_write_b32 v68, v5
	s_waitcnt lgkmcnt(0)
	s_barrier
	buffer_gl0_inv
	v_and_b32_e32 v4, v8, v33
	v_mov_b32_e32 v8, v31
	v_mov_b32_e32 v9, v32
	; wave barrier
	v_and_b32_e32 v21, 1, v4
	v_lshlrev_b32_e32 v22, 30, v4
	v_lshlrev_b32_e32 v23, 29, v4
	;; [unrolled: 1-line block ×4, first 2 shown]
	v_add_co_u32 v21, s20, v21, -1
	v_cndmask_b32_e64 v29, 0, 1, s20
	v_not_b32_e32 v34, v22
	v_cmp_gt_i32_e64 s21, 0, v22
	v_not_b32_e32 v22, v23
	v_lshlrev_b32_e32 v31, 26, v4
	v_cmp_ne_u32_e64 s20, 0, v29
	v_ashrrev_i32_e32 v34, 31, v34
	v_lshlrev_b32_e32 v32, 25, v4
	v_ashrrev_i32_e32 v22, 31, v22
	v_lshlrev_b32_e32 v29, 24, v4
	v_xor_b32_e32 v21, s20, v21
	v_cmp_gt_i32_e64 s20, 0, v23
	v_not_b32_e32 v23, v24
	v_xor_b32_e32 v34, s21, v34
	v_cmp_gt_i32_e64 s21, 0, v24
	v_and_b32_e32 v21, exec_lo, v21
	v_not_b32_e32 v24, v30
	v_ashrrev_i32_e32 v23, 31, v23
	v_xor_b32_e32 v22, s20, v22
	v_cmp_gt_i32_e64 s20, 0, v30
	v_and_b32_e32 v21, v21, v34
	v_not_b32_e32 v30, v31
	v_ashrrev_i32_e32 v24, 31, v24
	v_xor_b32_e32 v23, s21, v23
	v_cmp_gt_i32_e64 s21, 0, v31
	v_and_b32_e32 v21, v21, v22
	;; [unrolled: 5-line block ×4, first 2 shown]
	v_mov_b32_e32 v21, v25
	v_mov_b32_e32 v22, v26
	v_ashrrev_i32_e32 v25, 31, v23
	v_xor_b32_e32 v26, s20, v31
	v_and_b32_e32 v29, v24, v30
	v_lshlrev_b32_e32 v4, 3, v4
	v_mov_b32_e32 v23, v27
	v_xor_b32_e32 v25, s21, v25
	v_mov_b32_e32 v24, v28
	v_and_b32_e32 v26, v29, v26
	v_and_b32_e32 v26, v26, v25
	v_add_lshl_u32 v25, v4, v69, 2
	v_mbcnt_lo_u32_b32 v4, v26, 0
	v_add_co_u32 v25, null, v12, v25
	v_cmp_ne_u32_e64 s21, 0, v26
	v_cmp_eq_u32_e64 s20, 0, v4
	v_add_co_u32 v25, null, v25, 32
	s_and_b32 s21, s21, s20
	s_and_saveexec_b32 s20, s21
; %bb.280:                              ;   in Loop: Header=BB913_279 Depth=1
	v_bcnt_u32_b32 v26, v26, 0
	ds_write_b32 v25, v26
; %bb.281:                              ;   in Loop: Header=BB913_279 Depth=1
	s_or_b32 exec_lo, exec_lo, s20
	v_lshrrev_b32_e32 v101, 16, v99
	; wave barrier
	v_lshrrev_b32_e32 v26, v10, v101
	v_and_b32_e32 v26, v26, v33
	v_and_b32_e32 v27, 1, v26
	v_lshlrev_b32_e32 v28, 30, v26
	v_lshlrev_b32_e32 v29, 29, v26
	;; [unrolled: 1-line block ×4, first 2 shown]
	v_add_co_u32 v27, s20, v27, -1
	v_cndmask_b32_e64 v31, 0, 1, s20
	v_not_b32_e32 v36, v28
	v_cmp_gt_i32_e64 s21, 0, v28
	v_not_b32_e32 v28, v29
	v_lshlrev_b32_e32 v34, 26, v26
	v_cmp_ne_u32_e64 s20, 0, v31
	v_ashrrev_i32_e32 v36, 31, v36
	v_lshlrev_b32_e32 v35, 25, v26
	v_ashrrev_i32_e32 v28, 31, v28
	v_lshlrev_b32_e32 v31, 24, v26
	v_xor_b32_e32 v27, s20, v27
	v_cmp_gt_i32_e64 s20, 0, v29
	v_not_b32_e32 v29, v30
	v_xor_b32_e32 v36, s21, v36
	v_cmp_gt_i32_e64 s21, 0, v30
	v_and_b32_e32 v27, exec_lo, v27
	v_not_b32_e32 v30, v32
	v_ashrrev_i32_e32 v29, 31, v29
	v_xor_b32_e32 v28, s20, v28
	v_cmp_gt_i32_e64 s20, 0, v32
	v_and_b32_e32 v27, v27, v36
	v_not_b32_e32 v32, v34
	v_ashrrev_i32_e32 v30, 31, v30
	v_xor_b32_e32 v29, s21, v29
	v_cmp_gt_i32_e64 s21, 0, v34
	v_and_b32_e32 v27, v27, v28
	;; [unrolled: 5-line block ×3, first 2 shown]
	v_not_b32_e32 v29, v31
	v_ashrrev_i32_e32 v28, 31, v28
	v_xor_b32_e32 v32, s21, v32
	v_lshl_add_u32 v26, v26, 3, v69
	v_and_b32_e32 v27, v27, v30
	v_cmp_gt_i32_e64 s21, 0, v31
	v_ashrrev_i32_e32 v29, 31, v29
	v_xor_b32_e32 v28, s20, v28
	v_lshl_add_u32 v30, v26, 2, v12
	v_and_b32_e32 v27, v27, v32
	v_xor_b32_e32 v29, s21, v29
	ds_read_b32 v26, v30 offset:32
	v_and_b32_e32 v27, v27, v28
	v_add_nc_u32_e32 v28, 32, v30
	; wave barrier
	v_and_b32_e32 v29, v27, v29
	v_mbcnt_lo_u32_b32 v27, v29, 0
	v_cmp_ne_u32_e64 s21, 0, v29
	v_cmp_eq_u32_e64 s20, 0, v27
	s_and_b32 s21, s21, s20
	s_and_saveexec_b32 s20, s21
	s_cbranch_execz .LBB913_283
; %bb.282:                              ;   in Loop: Header=BB913_279 Depth=1
	s_waitcnt lgkmcnt(0)
	v_bcnt_u32_b32 v29, v29, v26
	ds_write_b32 v28, v29
.LBB913_283:                            ;   in Loop: Header=BB913_279 Depth=1
	s_or_b32 exec_lo, exec_lo, s20
	v_lshrrev_b32_sdwa v29, v10, v100 dst_sel:DWORD dst_unused:UNUSED_PAD src0_sel:DWORD src1_sel:WORD_0
	; wave barrier
	v_and_b32_e32 v29, v29, v33
	v_and_b32_e32 v30, 1, v29
	v_lshlrev_b32_e32 v31, 30, v29
	v_lshlrev_b32_e32 v32, 29, v29
	v_lshlrev_b32_e32 v34, 28, v29
	v_lshlrev_b32_e32 v36, 27, v29
	v_add_co_u32 v30, s20, v30, -1
	v_cndmask_b32_e64 v35, 0, 1, s20
	v_not_b32_e32 v39, v31
	v_cmp_gt_i32_e64 s21, 0, v31
	v_not_b32_e32 v31, v32
	v_lshlrev_b32_e32 v37, 26, v29
	v_cmp_ne_u32_e64 s20, 0, v35
	v_ashrrev_i32_e32 v39, 31, v39
	v_lshlrev_b32_e32 v38, 25, v29
	v_ashrrev_i32_e32 v31, 31, v31
	v_lshlrev_b32_e32 v35, 24, v29
	v_xor_b32_e32 v30, s20, v30
	v_cmp_gt_i32_e64 s20, 0, v32
	v_not_b32_e32 v32, v34
	v_xor_b32_e32 v39, s21, v39
	v_cmp_gt_i32_e64 s21, 0, v34
	v_and_b32_e32 v30, exec_lo, v30
	v_not_b32_e32 v34, v36
	v_ashrrev_i32_e32 v32, 31, v32
	v_xor_b32_e32 v31, s20, v31
	v_cmp_gt_i32_e64 s20, 0, v36
	v_and_b32_e32 v30, v30, v39
	v_not_b32_e32 v36, v37
	v_ashrrev_i32_e32 v34, 31, v34
	v_xor_b32_e32 v32, s21, v32
	v_cmp_gt_i32_e64 s21, 0, v37
	v_and_b32_e32 v30, v30, v31
	;; [unrolled: 5-line block ×3, first 2 shown]
	v_not_b32_e32 v32, v35
	v_ashrrev_i32_e32 v31, 31, v31
	v_xor_b32_e32 v36, s21, v36
	v_lshl_add_u32 v29, v29, 3, v69
	v_and_b32_e32 v30, v30, v34
	v_cmp_gt_i32_e64 s21, 0, v35
	v_ashrrev_i32_e32 v32, 31, v32
	v_xor_b32_e32 v31, s20, v31
	v_lshl_add_u32 v34, v29, 2, v12
	v_and_b32_e32 v30, v30, v36
	v_xor_b32_e32 v32, s21, v32
	ds_read_b32 v29, v34 offset:32
	v_and_b32_e32 v30, v30, v31
	v_add_nc_u32_e32 v31, 32, v34
	; wave barrier
	v_and_b32_e32 v32, v30, v32
	v_mbcnt_lo_u32_b32 v30, v32, 0
	v_cmp_ne_u32_e64 s21, 0, v32
	v_cmp_eq_u32_e64 s20, 0, v30
	s_and_b32 s21, s21, s20
	s_and_saveexec_b32 s20, s21
	s_cbranch_execz .LBB913_285
; %bb.284:                              ;   in Loop: Header=BB913_279 Depth=1
	s_waitcnt lgkmcnt(0)
	v_bcnt_u32_b32 v32, v32, v29
	ds_write_b32 v31, v32
.LBB913_285:                            ;   in Loop: Header=BB913_279 Depth=1
	s_or_b32 exec_lo, exec_lo, s20
	v_lshrrev_b32_e32 v102, 16, v100
	; wave barrier
	v_lshrrev_b32_e32 v32, v10, v102
	v_and_b32_e32 v32, v32, v33
	v_and_b32_e32 v33, 1, v32
	v_lshlrev_b32_e32 v34, 30, v32
	v_lshlrev_b32_e32 v35, 29, v32
	;; [unrolled: 1-line block ×4, first 2 shown]
	v_add_co_u32 v33, s20, v33, -1
	v_cndmask_b32_e64 v37, 0, 1, s20
	v_not_b32_e32 v49, v34
	v_cmp_gt_i32_e64 s21, 0, v34
	v_not_b32_e32 v34, v35
	v_lshlrev_b32_e32 v39, 26, v32
	v_cmp_ne_u32_e64 s20, 0, v37
	v_ashrrev_i32_e32 v49, 31, v49
	v_lshlrev_b32_e32 v48, 25, v32
	v_ashrrev_i32_e32 v34, 31, v34
	v_lshlrev_b32_e32 v37, 24, v32
	v_xor_b32_e32 v33, s20, v33
	v_cmp_gt_i32_e64 s20, 0, v35
	v_not_b32_e32 v35, v36
	v_xor_b32_e32 v49, s21, v49
	v_cmp_gt_i32_e64 s21, 0, v36
	v_and_b32_e32 v33, exec_lo, v33
	v_not_b32_e32 v36, v38
	v_ashrrev_i32_e32 v35, 31, v35
	v_xor_b32_e32 v34, s20, v34
	v_cmp_gt_i32_e64 s20, 0, v38
	v_and_b32_e32 v33, v33, v49
	v_not_b32_e32 v38, v39
	v_ashrrev_i32_e32 v36, 31, v36
	v_xor_b32_e32 v35, s21, v35
	v_cmp_gt_i32_e64 s21, 0, v39
	v_and_b32_e32 v33, v33, v34
	;; [unrolled: 5-line block ×3, first 2 shown]
	v_not_b32_e32 v35, v37
	v_ashrrev_i32_e32 v34, 31, v34
	v_xor_b32_e32 v38, s21, v38
	v_lshl_add_u32 v32, v32, 3, v69
	v_and_b32_e32 v33, v33, v36
	v_cmp_gt_i32_e64 s21, 0, v37
	v_ashrrev_i32_e32 v35, 31, v35
	v_xor_b32_e32 v34, s20, v34
	v_lshl_add_u32 v36, v32, 2, v12
	v_and_b32_e32 v33, v33, v38
	v_xor_b32_e32 v35, s21, v35
	ds_read_b32 v32, v36 offset:32
	v_and_b32_e32 v33, v33, v34
	; wave barrier
	v_and_b32_e32 v34, v33, v35
	v_add_nc_u32_e32 v33, 32, v36
	v_mbcnt_lo_u32_b32 v35, v34, 0
	v_cmp_ne_u32_e64 s21, 0, v34
	v_cmp_eq_u32_e64 s20, 0, v35
	s_and_b32 s21, s21, s20
	s_and_saveexec_b32 s20, s21
	s_cbranch_execz .LBB913_287
; %bb.286:                              ;   in Loop: Header=BB913_279 Depth=1
	s_waitcnt lgkmcnt(0)
	v_bcnt_u32_b32 v34, v34, v32
	ds_write_b32 v33, v34
.LBB913_287:                            ;   in Loop: Header=BB913_279 Depth=1
	s_or_b32 exec_lo, exec_lo, s20
	; wave barrier
	s_waitcnt lgkmcnt(0)
	s_barrier
	buffer_gl0_inv
	ds_read_b32 v36, v17
	ds_read_b32 v37, v54
	;; [unrolled: 1-line block ×8, first 2 shown]
	s_waitcnt lgkmcnt(6)
	v_add_nc_u32_e32 v51, v37, v36
	s_waitcnt lgkmcnt(4)
	v_add3_u32 v51, v51, v38, v39
	s_waitcnt lgkmcnt(2)
	v_add3_u32 v51, v51, v48, v49
	;; [unrolled: 2-line block ×3, first 2 shown]
	v_mov_b32_dpp v51, v50 row_shr:1 row_mask:0xf bank_mask:0xf
	v_cndmask_b32_e64 v51, v51, 0, vcc_lo
	v_add_nc_u32_e32 v50, v51, v50
	v_mov_b32_dpp v51, v50 row_shr:2 row_mask:0xf bank_mask:0xf
	v_cndmask_b32_e64 v51, 0, v51, s4
	v_add_nc_u32_e32 v50, v50, v51
	v_mov_b32_dpp v51, v50 row_shr:4 row_mask:0xf bank_mask:0xf
	v_cndmask_b32_e64 v51, 0, v51, s5
	v_add_nc_u32_e32 v50, v50, v51
	v_mov_b32_dpp v51, v50 row_shr:8 row_mask:0xf bank_mask:0xf
	v_cndmask_b32_e64 v51, 0, v51, s7
	v_add_nc_u32_e32 v50, v50, v51
	ds_swizzle_b32 v51, v50 offset:swizzle(BROADCAST,32,15)
	s_waitcnt lgkmcnt(0)
	v_cndmask_b32_e64 v51, v51, 0, s10
	v_add_nc_u32_e32 v50, v50, v51
	s_and_saveexec_b32 s20, s11
; %bb.288:                              ;   in Loop: Header=BB913_279 Depth=1
	ds_write_b32 v71, v50
; %bb.289:                              ;   in Loop: Header=BB913_279 Depth=1
	s_or_b32 exec_lo, exec_lo, s20
	s_waitcnt lgkmcnt(0)
	s_barrier
	buffer_gl0_inv
	s_and_saveexec_b32 s20, s14
	s_cbranch_execz .LBB913_291
; %bb.290:                              ;   in Loop: Header=BB913_279 Depth=1
	ds_read_b32 v51, v81
	s_waitcnt lgkmcnt(0)
	v_mov_b32_dpp v52, v51 row_shr:1 row_mask:0xf bank_mask:0xf
	v_cndmask_b32_e64 v52, v52, 0, s17
	v_add_nc_u32_e32 v51, v52, v51
	v_mov_b32_dpp v52, v51 row_shr:2 row_mask:0xf bank_mask:0xf
	v_cndmask_b32_e64 v52, 0, v52, s18
	v_add_nc_u32_e32 v51, v51, v52
	;; [unrolled: 3-line block ×3, first 2 shown]
	ds_write_b32 v81, v51
.LBB913_291:                            ;   in Loop: Header=BB913_279 Depth=1
	s_or_b32 exec_lo, exec_lo, s20
	v_mov_b32_e32 v51, 0
	s_waitcnt lgkmcnt(0)
	s_barrier
	buffer_gl0_inv
	s_and_saveexec_b32 s20, s15
; %bb.292:                              ;   in Loop: Header=BB913_279 Depth=1
	ds_read_b32 v51, v83
; %bb.293:                              ;   in Loop: Header=BB913_279 Depth=1
	s_or_b32 exec_lo, exec_lo, s20
	s_waitcnt lgkmcnt(0)
	v_add_nc_u32_e32 v50, v51, v50
	v_mov_b32_e32 v103, v99
	v_add_nc_u32_e32 v10, 8, v10
	s_mov_b32 s26, -1
	ds_bpermute_b32 v50, v70, v50
	s_waitcnt lgkmcnt(0)
	v_cndmask_b32_e64 v50, v50, v51, s6
	v_cndmask_b32_e64 v50, v50, 0, s16
	v_add_nc_u32_e32 v36, v50, v36
	v_add_nc_u32_e32 v37, v36, v37
	ds_write_b32 v17, v50
	ds_write_b32 v54, v36
	;; [unrolled: 1-line block ×3, first 2 shown]
	v_mov_b32_e32 v36, v5
	v_add_nc_u32_e32 v38, v37, v38
	v_add_nc_u32_e32 v39, v38, v39
	;; [unrolled: 1-line block ×5, first 2 shown]
	ds_write_b32 v64, v38
	ds_write_b32 v65, v39
	;; [unrolled: 1-line block ×5, first 2 shown]
	s_waitcnt lgkmcnt(0)
	s_barrier
	buffer_gl0_inv
	ds_read_b32 v25, v25
	ds_read_b32 v28, v28
	;; [unrolled: 1-line block ×4, first 2 shown]
	v_mov_b32_e32 v38, v5
	v_mov_b32_e32 v34, v5
	s_waitcnt lgkmcnt(0)
	v_add_nc_u32_e32 v37, v25, v4
	v_add3_u32 v4, v27, v26, v28
	v_add3_u32 v33, v30, v29, v31
	;; [unrolled: 1-line block ×3, first 2 shown]
	v_lshlrev_b64 v[25:26], 1, v[37:38]
	v_lshlrev_b64 v[27:28], 1, v[4:5]
	;; [unrolled: 1-line block ×4, first 2 shown]
                                        ; implicit-def: $vgpr34
	v_add_co_u32 v52, s21, v12, v25
	v_add_co_ci_u32_e64 v53, null, v13, v26, s21
	v_add_co_u32 v38, s21, v12, v27
	v_add_co_ci_u32_e64 v39, null, v13, v28, s21
	v_add_co_u32 v48, s21, v12, v29
	v_mad_u64_u32 v[36:37], null, v37, 6, v[52:53]
	v_add_co_ci_u32_e64 v49, null, v13, v30, s21
	v_add_co_u32 v50, s21, v12, v31
	v_add_co_ci_u32_e64 v51, null, v13, v32, s21
	s_mov_b32 s21, exec_lo
                                        ; implicit-def: $vgpr29_vgpr30
                                        ; implicit-def: $vgpr31_vgpr32
                                        ; implicit-def: $vgpr25_vgpr26
                                        ; implicit-def: $vgpr27_vgpr28
	v_cmpx_lt_u32_e64 v10, v11
	s_cbranch_execz .LBB913_278
; %bb.294:                              ;   in Loop: Header=BB913_279 Depth=1
	s_barrier
	buffer_gl0_inv
	ds_write_b16 v52, v99
	ds_write_b16 v38, v101
	;; [unrolled: 1-line block ×4, first 2 shown]
	s_waitcnt lgkmcnt(0)
	s_barrier
	buffer_gl0_inv
	ds_read_u16 v99, v80
	ds_read_u16 v34, v85
	v_mad_u64_u32 v[25:26], null, v4, 6, v[38:39]
	v_mad_u64_u32 v[26:27], null, v33, 6, v[48:49]
	v_mad_u64_u32 v[27:28], null, v35, 6, v[50:51]
	v_add_nc_u32_e32 v98, -8, v98
	s_xor_b32 s26, exec_lo, -1
	s_waitcnt lgkmcnt(1)
	ds_read_u16_d16_hi v99, v84
	s_waitcnt lgkmcnt(1)
	ds_read_u16_d16_hi v34, v86
	s_waitcnt lgkmcnt(0)
	s_barrier
	buffer_gl0_inv
	ds_write_b64 v36, v[14:15]
	ds_write_b64 v25, v[8:9]
	;; [unrolled: 1-line block ×4, first 2 shown]
	s_waitcnt lgkmcnt(0)
	s_barrier
	buffer_gl0_inv
	ds_read_b64 v[29:30], v82
	ds_read_b64 v[31:32], v87
	;; [unrolled: 1-line block ×4, first 2 shown]
	s_waitcnt lgkmcnt(0)
	s_barrier
	buffer_gl0_inv
	s_branch .LBB913_278
.LBB913_295:
	flat_load_dwordx2 v[36:37], v[4:5]
	s_or_b32 exec_lo, exec_lo, s15
                                        ; implicit-def: $vgpr48_vgpr49
	s_and_saveexec_b32 s15, s4
	s_cbranch_execz .LBB913_171
.LBB913_296:
	flat_load_dwordx2 v[48:49], v[4:5] offset:256
	s_or_b32 exec_lo, exec_lo, s15
                                        ; implicit-def: $vgpr50_vgpr51
	s_and_saveexec_b32 s4, s5
	s_cbranch_execz .LBB913_172
.LBB913_297:
	flat_load_dwordx2 v[50:51], v[4:5] offset:512
	s_or_b32 exec_lo, exec_lo, s4
                                        ; implicit-def: $vgpr52_vgpr53
	s_and_saveexec_b32 s4, s6
	s_cbranch_execz .LBB913_173
.LBB913_298:
	flat_load_dwordx2 v[52:53], v[4:5] offset:768
	s_or_b32 exec_lo, exec_lo, s4
                                        ; implicit-def: $vgpr54_vgpr55
	s_and_saveexec_b32 s4, s7
	s_cbranch_execz .LBB913_174
.LBB913_299:
	flat_load_dwordx2 v[54:55], v[4:5] offset:1024
	s_or_b32 exec_lo, exec_lo, s4
                                        ; implicit-def: $vgpr64_vgpr65
	s_and_saveexec_b32 s4, s10
	s_cbranch_execz .LBB913_175
.LBB913_300:
	flat_load_dwordx2 v[64:65], v[4:5] offset:1280
	s_or_b32 exec_lo, exec_lo, s4
                                        ; implicit-def: $vgpr34_vgpr35
	s_and_saveexec_b32 s4, s11
	s_cbranch_execz .LBB913_176
.LBB913_301:
	flat_load_dwordx2 v[34:35], v[4:5] offset:1536
	s_or_b32 exec_lo, exec_lo, s4
                                        ; implicit-def: $vgpr38_vgpr39
	s_and_saveexec_b32 s4, s14
	s_cbranch_execnz .LBB913_177
	s_branch .LBB913_178
.LBB913_302:
	flat_store_dwordx2 v[0:1], v[20:21]
	s_or_b32 exec_lo, exec_lo, s15
	s_and_saveexec_b32 s15, s7
	s_cbranch_execz .LBB913_254
.LBB913_303:
	v_add_co_u32 v2, vcc_lo, 0x800, v0
	v_add_co_ci_u32_e64 v3, null, 0, v1, vcc_lo
	flat_store_dwordx2 v[2:3], v[22:23]
	s_or_b32 exec_lo, exec_lo, s15
	s_and_saveexec_b32 s7, s6
	s_cbranch_execz .LBB913_255
.LBB913_304:
	v_add_co_u32 v2, vcc_lo, 0x1000, v0
	v_add_co_ci_u32_e64 v3, null, 0, v1, vcc_lo
	flat_store_dwordx2 v[2:3], v[16:17]
	s_or_b32 exec_lo, exec_lo, s7
	s_and_saveexec_b32 s6, s5
	s_cbranch_execz .LBB913_256
.LBB913_305:
	v_add_co_u32 v2, vcc_lo, 0x1800, v0
	v_add_co_ci_u32_e64 v3, null, 0, v1, vcc_lo
	flat_store_dwordx2 v[2:3], v[18:19]
	s_or_b32 exec_lo, exec_lo, s6
	s_and_saveexec_b32 s5, s4
	s_cbranch_execz .LBB913_257
.LBB913_306:
	v_add_co_u32 v2, vcc_lo, 0x2000, v0
	v_add_co_ci_u32_e64 v3, null, 0, v1, vcc_lo
	flat_store_dwordx2 v[2:3], v[12:13]
	s_or_b32 exec_lo, exec_lo, s5
	s_and_saveexec_b32 s4, s10
	s_cbranch_execz .LBB913_258
.LBB913_307:
	v_add_co_u32 v2, vcc_lo, 0x2800, v0
	v_add_co_ci_u32_e64 v3, null, 0, v1, vcc_lo
	flat_store_dwordx2 v[2:3], v[14:15]
	s_or_b32 exec_lo, exec_lo, s4
	s_and_saveexec_b32 s4, s11
	s_cbranch_execz .LBB913_259
.LBB913_308:
	v_add_co_u32 v2, vcc_lo, 0x3000, v0
	v_add_co_ci_u32_e64 v3, null, 0, v1, vcc_lo
	flat_store_dwordx2 v[2:3], v[8:9]
	s_or_b32 exec_lo, exec_lo, s4
	s_and_saveexec_b32 s4, s14
	s_cbranch_execnz .LBB913_260
	s_branch .LBB913_261
.LBB913_309:
	s_or_b32 exec_lo, exec_lo, s24
	v_lshl_add_u32 v17, v18, 1, v12
	v_mad_u64_u32 v[10:11], null, v4, 6, v[38:39]
	v_mul_u32_u24_e32 v4, 6, v18
	v_mad_u64_u32 v[11:12], null, v33, 6, v[48:49]
	v_mad_u64_u32 v[12:13], null, v35, 6, v[50:51]
	v_add_nc_u32_e32 v4, v17, v4
	s_barrier
	buffer_gl0_inv
	ds_write_b16 v52, v103
	ds_write_b16 v38, v101
	ds_write_b16 v48, v100
	ds_write_b16 v50, v102
	s_waitcnt lgkmcnt(0)
	s_barrier
	buffer_gl0_inv
	ds_read_u16 v27, v17
	ds_read_u16 v26, v17 offset:512
	ds_read_u16 v25, v17 offset:1024
	;; [unrolled: 1-line block ×3, first 2 shown]
	s_waitcnt lgkmcnt(0)
	s_barrier
	buffer_gl0_inv
	ds_write_b64 v36, v[14:15]
	ds_write_b64 v10, v[8:9]
	ds_write_b64 v11, v[21:22]
	ds_write_b64 v12, v[23:24]
	s_waitcnt lgkmcnt(0)
	s_barrier
	buffer_gl0_inv
	ds_read2st64_b64 v[12:15], v4 offset1:4
	ds_read2st64_b64 v[8:11], v4 offset0:8 offset1:12
	v_mov_b32_e32 v17, 0
	v_add_co_u32 v2, vcc_lo, v2, v19
	v_add_co_ci_u32_e64 v3, null, v3, v20, vcc_lo
	v_lshlrev_b64 v[21:22], 1, v[16:17]
	s_waitcnt lgkmcnt(0)
	s_barrier
	buffer_gl0_inv
	v_add_co_u32 v2, vcc_lo, v2, v21
	v_add_co_ci_u32_e64 v3, null, v3, v22, vcc_lo
	v_cmp_lt_u32_e32 vcc_lo, v16, v183
	s_and_saveexec_b32 s4, vcc_lo
	s_cbranch_execz .LBB913_311
; %bb.310:
	v_xor_b32_e32 v4, 0x7fff, v27
	flat_store_short v[2:3], v4
.LBB913_311:
	s_or_b32 exec_lo, exec_lo, s4
	v_add_nc_u32_e32 v4, 0x100, v16
	v_cmp_lt_u32_e64 s6, v4, v183
	s_and_saveexec_b32 s4, s6
	s_cbranch_execz .LBB913_313
; %bb.312:
	v_xor_b32_e32 v4, 0x7fff, v26
	flat_store_short v[2:3], v4 offset:512
.LBB913_313:
	s_or_b32 exec_lo, exec_lo, s4
	v_add_nc_u32_e32 v4, 0x200, v16
	v_cmp_lt_u32_e64 s5, v4, v183
	s_and_saveexec_b32 s4, s5
	s_cbranch_execz .LBB913_315
; %bb.314:
	v_xor_b32_e32 v4, 0x7fff, v25
	flat_store_short v[2:3], v4 offset:1024
.LBB913_315:
	;; [unrolled: 9-line block ×3, first 2 shown]
	s_or_b32 exec_lo, exec_lo, s7
	v_lshlrev_b64 v[2:3], 3, v[16:17]
	v_add_co_u32 v0, s7, v6, v0
	v_add_co_ci_u32_e64 v1, null, v7, v1, s7
	v_add_co_u32 v0, s7, v0, v2
	v_add_co_ci_u32_e64 v1, null, v1, v3, s7
	s_and_saveexec_b32 s7, vcc_lo
	s_cbranch_execnz .LBB913_350
; %bb.318:
	s_or_b32 exec_lo, exec_lo, s7
	s_and_saveexec_b32 s7, s6
	s_cbranch_execnz .LBB913_351
.LBB913_319:
	s_or_b32 exec_lo, exec_lo, s7
	s_and_saveexec_b32 s6, s5
	s_cbranch_execnz .LBB913_352
.LBB913_320:
	s_or_b32 exec_lo, exec_lo, s6
	s_and_saveexec_b32 s5, s4
	s_cbranch_execz .LBB913_322
.LBB913_321:
	v_add_co_u32 v0, vcc_lo, 0x1800, v0
	v_add_co_ci_u32_e64 v1, null, 0, v1, vcc_lo
	flat_store_dwordx2 v[0:1], v[10:11]
.LBB913_322:
	s_or_b32 exec_lo, exec_lo, s5
                                        ; implicit-def: $vgpr183
                                        ; implicit-def: $vgpr0
                                        ; implicit-def: $vgpr1
                                        ; implicit-def: $vgpr2
                                        ; implicit-def: $vgpr3
                                        ; implicit-def: $vgpr4
                                        ; implicit-def: $vgpr5
                                        ; implicit-def: $vgpr6
                                        ; implicit-def: $vgpr7
                                        ; implicit-def: $vgpr8
                                        ; implicit-def: $vgpr10
                                        ; implicit-def: $vgpr11
                                        ; implicit-def: $vgpr12
                                        ; implicit-def: $vgpr13
                                        ; implicit-def: $vgpr14
                                        ; implicit-def: $vgpr15
                                        ; implicit-def: $vgpr18
                                        ; implicit-def: $vgpr33
.LBB913_323:
	s_andn2_saveexec_b32 s4, s22
	s_cbranch_execz .LBB913_382
; %bb.324:
	s_load_dwordx2 s[4:5], s[8:9], 0x0
	v_mov_b32_e32 v9, 0
	s_waitcnt lgkmcnt(0)
	s_cmp_lt_u32 s13, s5
	s_cselect_b32 s5, 14, 20
	s_add_u32 s6, s8, s5
	s_addc_u32 s7, s9, 0
	s_cmp_lt_u32 s12, s4
	global_load_ushort v16, v9, s[6:7]
	s_cselect_b32 s4, 12, 18
	s_add_u32 s4, s8, s4
	s_addc_u32 s5, s9, 0
	global_load_ushort v17, v9, s[4:5]
	s_mov_b32 s4, exec_lo
	s_waitcnt vmcnt(1)
	v_mad_u32_u24 v14, v15, v16, v14
	s_waitcnt vmcnt(0)
	v_mad_u64_u32 v[14:15], null, v14, v17, v[18:19]
	v_lshlrev_b64 v[16:17], 1, v[8:9]
	v_cmpx_lt_u32_e32 0x100, v183
	s_xor_b32 s18, exec_lo, s4
	s_cbranch_execz .LBB913_362
; %bb.325:
	v_lshlrev_b32_e32 v15, 1, v14
	v_mov_b32_e32 v20, v9
	v_lshlrev_b32_e32 v21, 1, v33
	v_and_b32_e32 v19, 0xffffffc0, v15
	v_add_co_u32 v15, vcc_lo, v0, v16
	v_add_co_ci_u32_e64 v22, null, v1, v17, vcc_lo
	v_lshlrev_b64 v[0:1], 1, v[19:20]
	v_add_co_u32 v15, vcc_lo, v15, v21
	v_add_co_ci_u32_e64 v22, null, 0, v22, vcc_lo
	v_or_b32_e32 v21, v33, v19
	v_add_co_u32 v0, vcc_lo, v15, v0
	v_add_co_ci_u32_e64 v1, null, v22, v1, vcc_lo
	v_cmp_lt_u32_e32 vcc_lo, v21, v183
	v_mov_b32_e32 v15, 0x80008000
	s_and_saveexec_b32 s4, vcc_lo
	s_cbranch_execz .LBB913_327
; %bb.326:
	v_bfrev_b32_e32 v15, 1
	flat_load_short_d16 v15, v[0:1]
.LBB913_327:
	s_or_b32 exec_lo, exec_lo, s4
	v_or_b32_e32 v21, 32, v21
	v_cmp_lt_u32_e64 s4, v21, v183
	s_and_saveexec_b32 s5, s4
	s_cbranch_execz .LBB913_329
; %bb.328:
	s_waitcnt vmcnt(0) lgkmcnt(0)
	flat_load_short_d16_hi v15, v[0:1] offset:64
.LBB913_329:
	s_or_b32 exec_lo, exec_lo, s5
	v_lshlrev_b64 v[0:1], 3, v[8:9]
	v_lshlrev_b32_e32 v21, 3, v33
	v_lshlrev_b64 v[8:9], 3, v[19:20]
	v_mov_b32_e32 v23, 0
	v_mov_b32_e32 v24, 0
	v_add_co_u32 v4, s5, v4, v0
	v_add_co_ci_u32_e64 v5, null, v5, v1, s5
	v_add_co_u32 v4, s5, v4, v21
	v_add_co_ci_u32_e64 v5, null, 0, v5, s5
	v_mov_b32_e32 v21, 0
	v_add_co_u32 v4, s5, v4, v8
	v_mov_b32_e32 v22, 0
	v_add_co_ci_u32_e64 v5, null, v5, v9, s5
	s_and_saveexec_b32 s5, vcc_lo
	s_cbranch_execz .LBB913_331
; %bb.330:
	flat_load_dwordx2 v[21:22], v[4:5]
.LBB913_331:
	s_or_b32 exec_lo, exec_lo, s5
	s_and_saveexec_b32 s5, s4
	s_cbranch_execz .LBB913_333
; %bb.332:
	flat_load_dwordx2 v[23:24], v[4:5] offset:256
.LBB913_333:
	s_or_b32 exec_lo, exec_lo, s5
	v_lshl_add_u32 v4, v18, 5, v12
	v_and_b32_e32 v5, 0x3e0, v18
	s_waitcnt vmcnt(0) lgkmcnt(0)
	v_xor_b32_e32 v37, 0x7fff7fff, v15
	v_sub_co_u32 v9, s6, v33, 1
	v_add_nc_u32_e32 v15, 32, v4
	v_add_nc_u32_e32 v34, 36, v4
	;; [unrolled: 1-line block ×8, first 2 shown]
	v_min_u32_e32 v4, 0xe0, v5
	v_and_b32_e32 v8, 15, v33
	v_and_b32_e32 v5, 16, v33
	v_cmp_gt_i32_e64 s10, 0, v9
	s_getpc_b64 s[4:5]
	s_add_u32 s4, s4, _ZN7rocprim17ROCPRIM_400000_NS16block_radix_sortIsLj256ELj2ElLj1ELj1ELj8ELNS0_26block_radix_rank_algorithmE2ELNS0_18block_padding_hintE2ELNS0_4arch9wavefront6targetE0EE19radix_bits_per_passE@rel32@lo+4
	s_addc_u32 s5, s5, _ZN7rocprim17ROCPRIM_400000_NS16block_radix_sortIsLj256ELj2ElLj1ELj1ELj8ELNS0_26block_radix_rank_algorithmE2ELNS0_18block_padding_hintE2ELNS0_4arch9wavefront6targetE0EE19radix_bits_per_passE@rel32@hi+12
	v_or_b32_e32 v4, 31, v4
	s_load_dword s19, s[4:5], 0x0
	v_cmp_eq_u32_e32 vcc_lo, 0, v8
	v_cmp_lt_u32_e64 s4, 1, v8
	v_cmp_lt_u32_e64 s5, 3, v8
	v_cmp_eq_u32_e64 s9, v18, v4
	v_lshlrev_b32_e32 v4, 1, v18
	v_cmp_lt_u32_e64 s7, 7, v8
	v_cmp_eq_u32_e64 s8, 0, v5
	v_cndmask_b32_e64 v5, v9, v33, s10
	v_lshrrev_b32_e32 v8, 3, v18
	v_and_or_b32 v4, 0x7c0, v4, v33
	v_lshrrev_b32_e32 v50, 5, v14
	v_cmp_gt_u32_e64 s10, 8, v18
	v_lshlrev_b32_e32 v51, 2, v5
	v_and_b32_e32 v5, 0x7c, v8
	v_and_b32_e32 v8, 7, v33
	v_lshl_add_u32 v33, v4, 1, v12
	v_mul_u32_u24_e32 v4, 6, v4
	v_cmp_lt_u32_e64 s11, 31, v18
	v_add_nc_u32_e32 v52, v12, v5
	v_cmp_eq_u32_e64 s12, 0, v18
	v_mov_b32_e32 v5, 0
	v_add_nc_u32_e32 v54, v33, v4
	v_lshl_add_u32 v53, v18, 2, v12
	v_cmp_eq_u32_e64 s13, 0, v8
	v_cmp_lt_u32_e64 s14, 1, v8
	v_cmp_lt_u32_e64 s15, 3, v8
	v_add_nc_u32_e32 v55, -4, v52
	v_add_nc_u32_e32 v64, 64, v33
	v_add_nc_u32_e32 v65, 0x100, v54
	v_sub_nc_u32_e32 v66, v11, v10
	s_mov_b32 s20, 0
	s_waitcnt lgkmcnt(0)
	s_waitcnt_vscnt null, 0x0
	s_barrier
	buffer_gl0_inv
	s_branch .LBB913_335
.LBB913_334:                            ;   in Loop: Header=BB913_335 Depth=1
	s_or_b32 exec_lo, exec_lo, s17
	s_and_b32 s16, exec_lo, s21
	s_or_b32 s20, s16, s20
	s_andn2_b32 exec_lo, exec_lo, s20
	s_cbranch_execz .LBB913_353
.LBB913_335:                            ; =>This Inner Loop Header: Depth=1
	v_min_u32_e32 v4, s19, v66
	v_lshrrev_b32_sdwa v8, v10, v37 dst_sel:DWORD dst_unused:UNUSED_PAD src0_sel:DWORD src1_sel:WORD_0
	ds_write_b32 v15, v5
	ds_write_b32 v34, v5
	;; [unrolled: 1-line block ×5, first 2 shown]
	v_lshlrev_b32_e64 v4, v4, -1
	ds_write_b32 v39, v5
	ds_write_b32 v48, v5
	;; [unrolled: 1-line block ×3, first 2 shown]
	s_waitcnt lgkmcnt(0)
	s_barrier
	v_not_b32_e32 v25, v4
	buffer_gl0_inv
	; wave barrier
	v_and_b32_e32 v4, v8, v25
	v_and_b32_e32 v8, 1, v4
	v_lshlrev_b32_e32 v9, 30, v4
	v_lshlrev_b32_e32 v19, 29, v4
	;; [unrolled: 1-line block ×4, first 2 shown]
	v_add_co_u32 v8, s16, v8, -1
	v_cndmask_b32_e64 v26, 0, 1, s16
	v_not_b32_e32 v30, v9
	v_cmp_gt_i32_e64 s17, 0, v9
	v_not_b32_e32 v9, v19
	v_lshlrev_b32_e32 v28, 26, v4
	v_cmp_ne_u32_e64 s16, 0, v26
	v_ashrrev_i32_e32 v30, 31, v30
	v_lshlrev_b32_e32 v29, 25, v4
	v_ashrrev_i32_e32 v9, 31, v9
	v_lshlrev_b32_e32 v26, 24, v4
	v_xor_b32_e32 v8, s16, v8
	v_cmp_gt_i32_e64 s16, 0, v19
	v_not_b32_e32 v19, v20
	v_xor_b32_e32 v30, s17, v30
	v_cmp_gt_i32_e64 s17, 0, v20
	v_and_b32_e32 v8, exec_lo, v8
	v_not_b32_e32 v20, v27
	v_ashrrev_i32_e32 v19, 31, v19
	v_xor_b32_e32 v9, s16, v9
	v_cmp_gt_i32_e64 s16, 0, v27
	v_and_b32_e32 v8, v8, v30
	v_not_b32_e32 v27, v28
	v_ashrrev_i32_e32 v20, 31, v20
	v_xor_b32_e32 v19, s17, v19
	v_cmp_gt_i32_e64 s17, 0, v28
	v_and_b32_e32 v8, v8, v9
	;; [unrolled: 5-line block ×4, first 2 shown]
	v_mov_b32_e32 v8, v23
	v_mov_b32_e32 v9, v24
	v_ashrrev_i32_e32 v23, 31, v19
	v_xor_b32_e32 v24, s16, v28
	v_and_b32_e32 v26, v20, v27
	v_mov_b32_e32 v19, v21
	v_mov_b32_e32 v20, v22
	v_xor_b32_e32 v21, s17, v23
	v_lshlrev_b32_e32 v4, 3, v4
	v_and_b32_e32 v22, v26, v24
	v_and_b32_e32 v22, v22, v21
	v_add_lshl_u32 v21, v4, v50, 2
	v_mbcnt_lo_u32_b32 v4, v22, 0
	v_add_co_u32 v21, null, v12, v21
	v_cmp_ne_u32_e64 s17, 0, v22
	v_cmp_eq_u32_e64 s16, 0, v4
	v_add_co_u32 v21, null, v21, 32
	s_and_b32 s17, s17, s16
	s_and_saveexec_b32 s16, s17
; %bb.336:                              ;   in Loop: Header=BB913_335 Depth=1
	v_bcnt_u32_b32 v22, v22, 0
	ds_write_b32 v21, v22
; %bb.337:                              ;   in Loop: Header=BB913_335 Depth=1
	s_or_b32 exec_lo, exec_lo, s16
	v_lshrrev_b32_e32 v67, 16, v37
	; wave barrier
	v_lshrrev_b32_e32 v22, v10, v67
	v_and_b32_e32 v22, v22, v25
	v_and_b32_e32 v23, 1, v22
	v_lshlrev_b32_e32 v24, 30, v22
	v_lshlrev_b32_e32 v25, 29, v22
	;; [unrolled: 1-line block ×4, first 2 shown]
	v_add_co_u32 v23, s16, v23, -1
	v_cndmask_b32_e64 v27, 0, 1, s16
	v_not_b32_e32 v31, v24
	v_cmp_gt_i32_e64 s17, 0, v24
	v_not_b32_e32 v24, v25
	v_lshlrev_b32_e32 v29, 26, v22
	v_cmp_ne_u32_e64 s16, 0, v27
	v_ashrrev_i32_e32 v31, 31, v31
	v_lshlrev_b32_e32 v30, 25, v22
	v_ashrrev_i32_e32 v24, 31, v24
	v_lshlrev_b32_e32 v27, 24, v22
	v_xor_b32_e32 v23, s16, v23
	v_cmp_gt_i32_e64 s16, 0, v25
	v_not_b32_e32 v25, v26
	v_xor_b32_e32 v31, s17, v31
	v_cmp_gt_i32_e64 s17, 0, v26
	v_and_b32_e32 v23, exec_lo, v23
	v_not_b32_e32 v26, v28
	v_ashrrev_i32_e32 v25, 31, v25
	v_xor_b32_e32 v24, s16, v24
	v_cmp_gt_i32_e64 s16, 0, v28
	v_and_b32_e32 v23, v23, v31
	v_not_b32_e32 v28, v29
	v_ashrrev_i32_e32 v26, 31, v26
	v_xor_b32_e32 v25, s17, v25
	v_cmp_gt_i32_e64 s17, 0, v29
	v_and_b32_e32 v23, v23, v24
	;; [unrolled: 5-line block ×3, first 2 shown]
	v_not_b32_e32 v25, v27
	v_ashrrev_i32_e32 v24, 31, v24
	v_xor_b32_e32 v28, s17, v28
	v_lshl_add_u32 v22, v22, 3, v50
	v_and_b32_e32 v23, v23, v26
	v_cmp_gt_i32_e64 s17, 0, v27
	v_ashrrev_i32_e32 v25, 31, v25
	v_xor_b32_e32 v24, s16, v24
	v_lshl_add_u32 v26, v22, 2, v12
	v_and_b32_e32 v23, v23, v28
	v_xor_b32_e32 v25, s17, v25
	ds_read_b32 v22, v26 offset:32
	v_and_b32_e32 v23, v23, v24
	v_add_nc_u32_e32 v24, 32, v26
	; wave barrier
	v_and_b32_e32 v25, v23, v25
	v_mbcnt_lo_u32_b32 v23, v25, 0
	v_cmp_ne_u32_e64 s17, 0, v25
	v_cmp_eq_u32_e64 s16, 0, v23
	s_and_b32 s17, s17, s16
	s_and_saveexec_b32 s16, s17
	s_cbranch_execz .LBB913_339
; %bb.338:                              ;   in Loop: Header=BB913_335 Depth=1
	s_waitcnt lgkmcnt(0)
	v_bcnt_u32_b32 v25, v25, v22
	ds_write_b32 v24, v25
.LBB913_339:                            ;   in Loop: Header=BB913_335 Depth=1
	s_or_b32 exec_lo, exec_lo, s16
	; wave barrier
	s_waitcnt lgkmcnt(0)
	s_barrier
	buffer_gl0_inv
	ds_read_b32 v26, v15
	ds_read_b32 v27, v34
	;; [unrolled: 1-line block ×8, first 2 shown]
	s_waitcnt lgkmcnt(6)
	v_add_nc_u32_e32 v68, v27, v26
	s_waitcnt lgkmcnt(4)
	v_add3_u32 v68, v68, v28, v29
	s_waitcnt lgkmcnt(2)
	v_add3_u32 v68, v68, v30, v31
	;; [unrolled: 2-line block ×3, first 2 shown]
	v_mov_b32_dpp v68, v32 row_shr:1 row_mask:0xf bank_mask:0xf
	v_cndmask_b32_e64 v68, v68, 0, vcc_lo
	v_add_nc_u32_e32 v32, v68, v32
	v_mov_b32_dpp v68, v32 row_shr:2 row_mask:0xf bank_mask:0xf
	v_cndmask_b32_e64 v68, 0, v68, s4
	v_add_nc_u32_e32 v32, v32, v68
	v_mov_b32_dpp v68, v32 row_shr:4 row_mask:0xf bank_mask:0xf
	v_cndmask_b32_e64 v68, 0, v68, s5
	;; [unrolled: 3-line block ×3, first 2 shown]
	v_add_nc_u32_e32 v32, v32, v68
	ds_swizzle_b32 v68, v32 offset:swizzle(BROADCAST,32,15)
	s_waitcnt lgkmcnt(0)
	v_cndmask_b32_e64 v68, v68, 0, s8
	v_add_nc_u32_e32 v32, v32, v68
	s_and_saveexec_b32 s16, s9
; %bb.340:                              ;   in Loop: Header=BB913_335 Depth=1
	ds_write_b32 v52, v32
; %bb.341:                              ;   in Loop: Header=BB913_335 Depth=1
	s_or_b32 exec_lo, exec_lo, s16
	s_waitcnt lgkmcnt(0)
	s_barrier
	buffer_gl0_inv
	s_and_saveexec_b32 s16, s10
	s_cbranch_execz .LBB913_343
; %bb.342:                              ;   in Loop: Header=BB913_335 Depth=1
	ds_read_b32 v68, v53
	s_waitcnt lgkmcnt(0)
	v_mov_b32_dpp v69, v68 row_shr:1 row_mask:0xf bank_mask:0xf
	v_cndmask_b32_e64 v69, v69, 0, s13
	v_add_nc_u32_e32 v68, v69, v68
	v_mov_b32_dpp v69, v68 row_shr:2 row_mask:0xf bank_mask:0xf
	v_cndmask_b32_e64 v69, 0, v69, s14
	v_add_nc_u32_e32 v68, v68, v69
	;; [unrolled: 3-line block ×3, first 2 shown]
	ds_write_b32 v53, v68
.LBB913_343:                            ;   in Loop: Header=BB913_335 Depth=1
	s_or_b32 exec_lo, exec_lo, s16
	v_mov_b32_e32 v68, 0
	s_waitcnt lgkmcnt(0)
	s_barrier
	buffer_gl0_inv
	s_and_saveexec_b32 s16, s11
; %bb.344:                              ;   in Loop: Header=BB913_335 Depth=1
	ds_read_b32 v68, v55
; %bb.345:                              ;   in Loop: Header=BB913_335 Depth=1
	s_or_b32 exec_lo, exec_lo, s16
	s_waitcnt lgkmcnt(0)
	v_add_nc_u32_e32 v32, v68, v32
	v_add_nc_u32_e32 v10, 8, v10
	s_mov_b32 s21, -1
	s_mov_b32 s17, exec_lo
	ds_bpermute_b32 v32, v51, v32
	s_waitcnt lgkmcnt(0)
	v_cndmask_b32_e64 v32, v32, v68, s6
	v_cndmask_b32_e64 v32, v32, 0, s12
	v_add_nc_u32_e32 v26, v32, v26
	v_add_nc_u32_e32 v27, v26, v27
	ds_write_b32 v15, v32
	ds_write_b32 v34, v26
	;; [unrolled: 1-line block ×3, first 2 shown]
	v_add_nc_u32_e32 v28, v27, v28
	v_add_nc_u32_e32 v29, v28, v29
	;; [unrolled: 1-line block ×5, first 2 shown]
	ds_write_b32 v36, v28
	ds_write_b32 v38, v29
	;; [unrolled: 1-line block ×5, first 2 shown]
	s_waitcnt lgkmcnt(0)
	s_barrier
	buffer_gl0_inv
	ds_read_b32 v21, v21
	ds_read_b32 v25, v24
	v_mov_b32_e32 v24, v5
	s_waitcnt lgkmcnt(0)
	v_add_nc_u32_e32 v4, v21, v4
	v_add3_u32 v23, v23, v22, v25
	v_lshlrev_b64 v[21:22], 1, v[4:5]
	v_lshlrev_b64 v[24:25], 1, v[23:24]
	v_add_co_u32 v31, s16, v12, v21
	v_add_co_ci_u32_e64 v32, null, v13, v22, s16
	v_add_co_u32 v29, s16, v12, v24
	v_add_co_ci_u32_e64 v30, null, v13, v25, s16
	v_mad_u64_u32 v[27:28], null, v4, 6, v[31:32]
	v_mov_b32_e32 v4, v37
	v_mad_u64_u32 v[25:26], null, v23, 6, v[29:30]
                                        ; implicit-def: $vgpr23_vgpr24
                                        ; implicit-def: $vgpr21_vgpr22
	v_cmpx_lt_u32_e64 v10, v11
	s_cbranch_execz .LBB913_334
; %bb.346:                              ;   in Loop: Header=BB913_335 Depth=1
	s_barrier
	buffer_gl0_inv
	ds_write_b16 v31, v37
	ds_write_b16 v29, v67
	s_waitcnt lgkmcnt(0)
	s_barrier
	buffer_gl0_inv
	ds_read_u16 v37, v33
	v_add_nc_u32_e32 v66, -8, v66
	s_xor_b32 s21, exec_lo, -1
	s_waitcnt lgkmcnt(0)
	ds_read_u16_d16_hi v37, v64
	s_waitcnt lgkmcnt(0)
	s_barrier
	buffer_gl0_inv
	ds_write_b64 v27, v[19:20]
	ds_write_b64 v25, v[8:9]
	s_waitcnt lgkmcnt(0)
	s_barrier
	buffer_gl0_inv
	ds_read_b64 v[21:22], v54
	ds_read_b64 v[23:24], v65
	s_waitcnt lgkmcnt(0)
	s_barrier
	buffer_gl0_inv
	s_branch .LBB913_334
.LBB913_347:
	flat_load_dwordx2 v[29:30], v[4:5]
	s_or_b32 exec_lo, exec_lo, s7
                                        ; implicit-def: $vgpr31_vgpr32
	s_and_saveexec_b32 s7, s4
	s_cbranch_execz .LBB913_274
.LBB913_348:
	flat_load_dwordx2 v[31:32], v[4:5] offset:256
	s_or_b32 exec_lo, exec_lo, s7
                                        ; implicit-def: $vgpr25_vgpr26
	s_and_saveexec_b32 s4, s5
	s_cbranch_execz .LBB913_275
.LBB913_349:
	flat_load_dwordx2 v[25:26], v[4:5] offset:512
	s_or_b32 exec_lo, exec_lo, s4
                                        ; implicit-def: $vgpr27_vgpr28
	s_and_saveexec_b32 s4, s6
	s_cbranch_execnz .LBB913_276
	s_branch .LBB913_277
.LBB913_350:
	flat_store_dwordx2 v[0:1], v[12:13]
	s_or_b32 exec_lo, exec_lo, s7
	s_and_saveexec_b32 s7, s6
	s_cbranch_execz .LBB913_319
.LBB913_351:
	v_add_co_u32 v2, vcc_lo, 0x800, v0
	v_add_co_ci_u32_e64 v3, null, 0, v1, vcc_lo
	flat_store_dwordx2 v[2:3], v[14:15]
	s_or_b32 exec_lo, exec_lo, s7
	s_and_saveexec_b32 s6, s5
	s_cbranch_execz .LBB913_320
.LBB913_352:
	v_add_co_u32 v2, vcc_lo, 0x1000, v0
	v_add_co_ci_u32_e64 v3, null, 0, v1, vcc_lo
	flat_store_dwordx2 v[2:3], v[8:9]
	s_or_b32 exec_lo, exec_lo, s6
	s_and_saveexec_b32 s5, s4
	s_cbranch_execnz .LBB913_321
	s_branch .LBB913_322
.LBB913_353:
	s_or_b32 exec_lo, exec_lo, s20
	v_lshl_add_u32 v10, v18, 1, v12
	v_mul_u32_u24_e32 v11, 6, v18
	s_barrier
	buffer_gl0_inv
	ds_write_b16 v31, v4
	ds_write_b16 v29, v67
	s_waitcnt lgkmcnt(0)
	s_barrier
	buffer_gl0_inv
	ds_read_u16 v5, v10
	ds_read_u16 v4, v10 offset:512
	v_add_nc_u32_e32 v10, v10, v11
	s_waitcnt lgkmcnt(0)
	s_barrier
	buffer_gl0_inv
	ds_write_b64 v27, v[19:20]
	ds_write_b64 v25, v[8:9]
	s_waitcnt lgkmcnt(0)
	s_barrier
	buffer_gl0_inv
	ds_read2st64_b64 v[8:11], v10 offset1:4
	v_mov_b32_e32 v15, 0
	v_add_co_u32 v2, vcc_lo, v2, v16
	v_add_co_ci_u32_e64 v3, null, v3, v17, vcc_lo
	v_lshlrev_b64 v[12:13], 1, v[14:15]
	s_waitcnt lgkmcnt(0)
	s_barrier
	buffer_gl0_inv
	v_add_co_u32 v2, vcc_lo, v2, v12
	v_add_co_ci_u32_e64 v3, null, v3, v13, vcc_lo
	v_cmp_lt_u32_e32 vcc_lo, v14, v183
	s_and_saveexec_b32 s4, vcc_lo
	s_cbranch_execz .LBB913_355
; %bb.354:
	v_xor_b32_e32 v5, 0x7fff, v5
	flat_store_short v[2:3], v5
.LBB913_355:
	s_or_b32 exec_lo, exec_lo, s4
	v_add_nc_u32_e32 v5, 0x100, v14
	v_cmp_lt_u32_e64 s4, v5, v183
	s_and_saveexec_b32 s5, s4
	s_cbranch_execz .LBB913_357
; %bb.356:
	v_xor_b32_e32 v4, 0x7fff, v4
	flat_store_short v[2:3], v4 offset:512
.LBB913_357:
	s_or_b32 exec_lo, exec_lo, s5
	v_lshlrev_b64 v[2:3], 3, v[14:15]
	v_add_co_u32 v0, s5, v6, v0
	v_add_co_ci_u32_e64 v1, null, v7, v1, s5
	v_add_co_u32 v0, s5, v0, v2
	v_add_co_ci_u32_e64 v1, null, v1, v3, s5
	s_and_saveexec_b32 s5, vcc_lo
	s_cbranch_execz .LBB913_359
; %bb.358:
	flat_store_dwordx2 v[0:1], v[8:9]
.LBB913_359:
	s_or_b32 exec_lo, exec_lo, s5
	s_and_saveexec_b32 s5, s4
	s_cbranch_execz .LBB913_361
; %bb.360:
	v_add_co_u32 v0, vcc_lo, 0x800, v0
	v_add_co_ci_u32_e64 v1, null, 0, v1, vcc_lo
	flat_store_dwordx2 v[0:1], v[10:11]
.LBB913_361:
	s_or_b32 exec_lo, exec_lo, s5
                                        ; implicit-def: $vgpr14_vgpr15
                                        ; implicit-def: $vgpr8_vgpr9
                                        ; implicit-def: $vgpr16_vgpr17
                                        ; implicit-def: $vgpr183
                                        ; implicit-def: $vgpr0
                                        ; implicit-def: $vgpr1
                                        ; implicit-def: $vgpr2
                                        ; implicit-def: $vgpr3
                                        ; implicit-def: $vgpr4
                                        ; implicit-def: $vgpr5
                                        ; implicit-def: $vgpr6
                                        ; implicit-def: $vgpr7
                                        ; implicit-def: $vgpr10
                                        ; implicit-def: $vgpr11
                                        ; implicit-def: $vgpr12
                                        ; implicit-def: $vgpr13
                                        ; implicit-def: $vgpr18
                                        ; implicit-def: $vgpr33
.LBB913_362:
	s_andn2_saveexec_b32 s4, s18
	s_cbranch_execz .LBB913_382
; %bb.363:
	v_and_b32_e32 v21, 0xffffffe0, v14
	v_mov_b32_e32 v39, -1
	v_or_b32_e32 v15, v33, v21
	v_cmp_lt_u32_e32 vcc_lo, v15, v183
	s_and_saveexec_b32 s5, vcc_lo
	s_cbranch_execz .LBB913_365
; %bb.364:
	v_mov_b32_e32 v22, 0
	v_lshlrev_b32_e32 v15, 1, v33
	v_add_co_u32 v19, s4, v0, v16
	v_add_co_ci_u32_e64 v20, null, v1, v17, s4
	v_lshlrev_b64 v[0:1], 1, v[21:22]
	v_add_co_u32 v15, s4, v19, v15
	v_add_co_ci_u32_e64 v19, null, 0, v20, s4
	v_add_co_u32 v0, s4, v15, v0
	v_add_co_ci_u32_e64 v1, null, v19, v1, s4
	flat_load_ushort v0, v[0:1]
	s_waitcnt vmcnt(0) lgkmcnt(0)
	v_xor_b32_e32 v39, 0x7fff, v0
.LBB913_365:
	s_or_b32 exec_lo, exec_lo, s5
	v_lshlrev_b64 v[0:1], 3, v[8:9]
                                        ; implicit-def: $vgpr19_vgpr20
	s_and_saveexec_b32 s4, vcc_lo
	s_cbranch_execz .LBB913_367
; %bb.366:
	v_mov_b32_e32 v22, 0
	v_lshlrev_b32_e32 v8, 3, v33
	v_add_co_u32 v9, vcc_lo, v4, v0
	v_add_co_ci_u32_e64 v15, null, v5, v1, vcc_lo
	v_lshlrev_b64 v[4:5], 3, v[21:22]
	v_add_co_u32 v8, vcc_lo, v9, v8
	v_add_co_ci_u32_e64 v9, null, 0, v15, vcc_lo
	v_add_co_u32 v4, vcc_lo, v8, v4
	v_add_co_ci_u32_e64 v5, null, v9, v5, vcc_lo
	flat_load_dwordx2 v[19:20], v[4:5]
.LBB913_367:
	s_or_b32 exec_lo, exec_lo, s4
	v_lshl_add_u32 v4, v18, 5, v12
	v_and_b32_e32 v5, 15, v33
	v_sub_co_u32 v21, s6, v33, 1
	s_getpc_b64 s[4:5]
	s_add_u32 s4, s4, _ZN7rocprim17ROCPRIM_400000_NS16block_radix_sortIsLj256ELj1ElLj1ELj1ELj8ELNS0_26block_radix_rank_algorithmE2ELNS0_18block_padding_hintE2ELNS0_4arch9wavefront6targetE0EE19radix_bits_per_passE@rel32@lo+4
	s_addc_u32 s5, s5, _ZN7rocprim17ROCPRIM_400000_NS16block_radix_sortIsLj256ELj1ElLj1ELj1ELj8ELNS0_26block_radix_rank_algorithmE2ELNS0_18block_padding_hintE2ELNS0_4arch9wavefront6targetE0EE19radix_bits_per_passE@rel32@hi+12
	v_add_nc_u32_e32 v15, 32, v4
	v_add_nc_u32_e32 v23, 36, v4
	;; [unrolled: 1-line block ×8, first 2 shown]
	v_and_b32_e32 v4, 0x3e0, v18
	s_load_dword s18, s[4:5], 0x0
	v_cmp_eq_u32_e32 vcc_lo, 0, v5
	v_cmp_lt_u32_e64 s4, 1, v5
	v_cmp_lt_u32_e64 s5, 3, v5
	v_min_u32_e32 v8, 0xe0, v4
	v_and_b32_e32 v9, 16, v33
	v_cmp_lt_u32_e64 s7, 7, v5
	v_cmp_gt_i32_e64 s9, 0, v21
	v_or_b32_e32 v4, v33, v4
	v_or_b32_e32 v5, 31, v8
	v_lshrrev_b32_e32 v8, 3, v18
	v_cmp_eq_u32_e64 s8, 0, v9
	v_cndmask_b32_e64 v9, v21, v33, s9
	v_lshl_add_u32 v34, v4, 1, v12
	v_cmp_eq_u32_e64 s9, v18, v5
	v_and_b32_e32 v5, 0x7c, v8
	v_and_b32_e32 v8, 7, v33
	v_mul_u32_u24_e32 v4, 6, v4
	v_lshrrev_b32_e32 v30, 5, v14
	v_cmp_gt_u32_e64 s10, 8, v18
	v_add_nc_u32_e32 v32, v12, v5
	v_cmp_lt_u32_e64 s11, 31, v18
	v_lshlrev_b32_e32 v31, 2, v9
	v_cmp_eq_u32_e64 s12, 0, v18
	v_mov_b32_e32 v5, 0
	v_lshl_add_u32 v33, v18, 2, v12
	v_cmp_eq_u32_e64 s13, 0, v8
	v_cmp_lt_u32_e64 s14, 1, v8
	v_cmp_lt_u32_e64 s15, 3, v8
	v_add_nc_u32_e32 v35, -4, v32
	v_add_nc_u32_e32 v36, v34, v4
	v_sub_nc_u32_e32 v37, v11, v10
	s_mov_b32 s19, 0
	s_waitcnt vmcnt(0) lgkmcnt(0)
	s_waitcnt_vscnt null, 0x0
	s_barrier
	buffer_gl0_inv
	s_branch .LBB913_369
.LBB913_368:                            ;   in Loop: Header=BB913_369 Depth=1
	s_or_b32 exec_lo, exec_lo, s17
	s_and_b32 s16, exec_lo, s20
	s_or_b32 s19, s16, s19
	s_andn2_b32 exec_lo, exec_lo, s19
	s_cbranch_execz .LBB913_379
.LBB913_369:                            ; =>This Inner Loop Header: Depth=1
	v_mov_b32_e32 v38, v39
	v_min_u32_e32 v4, s18, v37
	ds_write_b32 v15, v5
	ds_write_b32 v23, v5
	;; [unrolled: 1-line block ×5, first 2 shown]
	v_lshrrev_b32_sdwa v8, v10, v38 dst_sel:DWORD dst_unused:UNUSED_PAD src0_sel:DWORD src1_sel:WORD_0
	ds_write_b32 v27, v5
	ds_write_b32 v28, v5
	;; [unrolled: 1-line block ×3, first 2 shown]
	s_waitcnt lgkmcnt(0)
	s_barrier
	v_bfe_u32 v4, v8, 0, v4
	buffer_gl0_inv
	; wave barrier
	v_and_b32_e32 v8, 1, v4
	v_lshlrev_b32_e32 v9, 30, v4
	v_lshlrev_b32_e32 v21, 29, v4
	;; [unrolled: 1-line block ×4, first 2 shown]
	v_add_co_u32 v8, s16, v8, -1
	v_cndmask_b32_e64 v39, 0, 1, s16
	v_not_b32_e32 v51, v9
	v_cmp_gt_i32_e64 s17, 0, v9
	v_not_b32_e32 v9, v21
	v_lshlrev_b32_e32 v49, 26, v4
	v_cmp_ne_u32_e64 s16, 0, v39
	v_ashrrev_i32_e32 v51, 31, v51
	v_lshlrev_b32_e32 v50, 25, v4
	v_ashrrev_i32_e32 v9, 31, v9
	v_lshlrev_b32_e32 v39, 24, v4
	v_xor_b32_e32 v8, s16, v8
	v_cmp_gt_i32_e64 s16, 0, v21
	v_not_b32_e32 v21, v22
	v_xor_b32_e32 v51, s17, v51
	v_cmp_gt_i32_e64 s17, 0, v22
	v_and_b32_e32 v8, exec_lo, v8
	v_not_b32_e32 v22, v48
	v_ashrrev_i32_e32 v21, 31, v21
	v_xor_b32_e32 v9, s16, v9
	v_cmp_gt_i32_e64 s16, 0, v48
	v_and_b32_e32 v8, v8, v51
	v_not_b32_e32 v48, v49
	v_ashrrev_i32_e32 v22, 31, v22
	v_xor_b32_e32 v21, s17, v21
	v_cmp_gt_i32_e64 s17, 0, v49
	v_and_b32_e32 v8, v8, v9
	;; [unrolled: 5-line block ×4, first 2 shown]
	v_ashrrev_i32_e32 v21, 31, v21
	v_xor_b32_e32 v22, s16, v9
	v_lshlrev_b32_e32 v4, 3, v4
	v_and_b32_e32 v39, v8, v48
	v_mov_b32_e32 v8, v19
	v_mov_b32_e32 v9, v20
	v_xor_b32_e32 v19, s17, v21
	v_and_b32_e32 v20, v39, v22
	v_and_b32_e32 v20, v20, v19
	v_add_lshl_u32 v19, v4, v30, 2
	v_mbcnt_lo_u32_b32 v4, v20, 0
	v_add_co_u32 v19, null, v12, v19
	v_cmp_ne_u32_e64 s17, 0, v20
	v_cmp_eq_u32_e64 s16, 0, v4
	v_add_co_u32 v19, null, v19, 32
	s_and_b32 s17, s17, s16
	s_and_saveexec_b32 s16, s17
; %bb.370:                              ;   in Loop: Header=BB913_369 Depth=1
	v_bcnt_u32_b32 v20, v20, 0
	ds_write_b32 v19, v20
; %bb.371:                              ;   in Loop: Header=BB913_369 Depth=1
	s_or_b32 exec_lo, exec_lo, s16
	; wave barrier
	s_waitcnt lgkmcnt(0)
	s_barrier
	buffer_gl0_inv
	ds_read_b32 v21, v15
	ds_read_b32 v22, v23
	;; [unrolled: 1-line block ×8, first 2 shown]
	s_waitcnt lgkmcnt(6)
	v_add_nc_u32_e32 v52, v22, v21
	s_waitcnt lgkmcnt(4)
	v_add3_u32 v52, v52, v39, v48
	s_waitcnt lgkmcnt(2)
	v_add3_u32 v52, v52, v49, v50
	;; [unrolled: 2-line block ×3, first 2 shown]
	v_mov_b32_dpp v52, v51 row_shr:1 row_mask:0xf bank_mask:0xf
	v_cndmask_b32_e64 v52, v52, 0, vcc_lo
	v_add_nc_u32_e32 v51, v52, v51
	v_mov_b32_dpp v52, v51 row_shr:2 row_mask:0xf bank_mask:0xf
	v_cndmask_b32_e64 v52, 0, v52, s4
	v_add_nc_u32_e32 v51, v51, v52
	v_mov_b32_dpp v52, v51 row_shr:4 row_mask:0xf bank_mask:0xf
	v_cndmask_b32_e64 v52, 0, v52, s5
	v_add_nc_u32_e32 v51, v51, v52
	v_mov_b32_dpp v52, v51 row_shr:8 row_mask:0xf bank_mask:0xf
	v_cndmask_b32_e64 v52, 0, v52, s7
	v_add_nc_u32_e32 v51, v51, v52
	ds_swizzle_b32 v52, v51 offset:swizzle(BROADCAST,32,15)
	s_waitcnt lgkmcnt(0)
	v_cndmask_b32_e64 v52, v52, 0, s8
	v_add_nc_u32_e32 v51, v51, v52
	s_and_saveexec_b32 s16, s9
; %bb.372:                              ;   in Loop: Header=BB913_369 Depth=1
	ds_write_b32 v32, v51
; %bb.373:                              ;   in Loop: Header=BB913_369 Depth=1
	s_or_b32 exec_lo, exec_lo, s16
	s_waitcnt lgkmcnt(0)
	s_barrier
	buffer_gl0_inv
	s_and_saveexec_b32 s16, s10
	s_cbranch_execz .LBB913_375
; %bb.374:                              ;   in Loop: Header=BB913_369 Depth=1
	ds_read_b32 v52, v33
	s_waitcnt lgkmcnt(0)
	v_mov_b32_dpp v53, v52 row_shr:1 row_mask:0xf bank_mask:0xf
	v_cndmask_b32_e64 v53, v53, 0, s13
	v_add_nc_u32_e32 v52, v53, v52
	v_mov_b32_dpp v53, v52 row_shr:2 row_mask:0xf bank_mask:0xf
	v_cndmask_b32_e64 v53, 0, v53, s14
	v_add_nc_u32_e32 v52, v52, v53
	;; [unrolled: 3-line block ×3, first 2 shown]
	ds_write_b32 v33, v52
.LBB913_375:                            ;   in Loop: Header=BB913_369 Depth=1
	s_or_b32 exec_lo, exec_lo, s16
	v_mov_b32_e32 v52, 0
	s_waitcnt lgkmcnt(0)
	s_barrier
	buffer_gl0_inv
	s_and_saveexec_b32 s16, s11
; %bb.376:                              ;   in Loop: Header=BB913_369 Depth=1
	ds_read_b32 v52, v35
; %bb.377:                              ;   in Loop: Header=BB913_369 Depth=1
	s_or_b32 exec_lo, exec_lo, s16
	s_waitcnt lgkmcnt(0)
	v_add_nc_u32_e32 v51, v52, v51
	v_add_nc_u32_e32 v10, 8, v10
	s_mov_b32 s20, -1
	ds_bpermute_b32 v51, v31, v51
	s_waitcnt lgkmcnt(0)
	v_cndmask_b32_e64 v51, v51, v52, s6
	v_cndmask_b32_e64 v51, v51, 0, s12
	v_add_nc_u32_e32 v21, v51, v21
	v_add_nc_u32_e32 v22, v21, v22
	ds_write_b32 v15, v51
	ds_write_b32 v23, v21
	;; [unrolled: 1-line block ×3, first 2 shown]
	v_add_nc_u32_e32 v39, v22, v39
	v_add_nc_u32_e32 v48, v39, v48
	;; [unrolled: 1-line block ×5, first 2 shown]
	ds_write_b32 v25, v39
	ds_write_b32 v26, v48
	;; [unrolled: 1-line block ×5, first 2 shown]
	s_waitcnt lgkmcnt(0)
	s_barrier
	buffer_gl0_inv
	ds_read_b32 v19, v19
	s_waitcnt lgkmcnt(0)
                                        ; implicit-def: $vgpr39
	v_add_nc_u32_e32 v4, v19, v4
	v_lshlrev_b64 v[19:20], 1, v[4:5]
	v_add_co_u32 v21, s17, v12, v19
	v_add_co_ci_u32_e64 v22, null, v13, v20, s17
	s_mov_b32 s17, exec_lo
                                        ; implicit-def: $vgpr19_vgpr20
	v_cmpx_lt_u32_e64 v10, v11
	s_cbranch_execz .LBB913_368
; %bb.378:                              ;   in Loop: Header=BB913_369 Depth=1
	v_mad_u64_u32 v[19:20], null, v4, 6, v[21:22]
	s_barrier
	buffer_gl0_inv
	ds_write_b16 v21, v38
	s_waitcnt lgkmcnt(0)
	s_barrier
	buffer_gl0_inv
	ds_read_u16 v39, v34
	s_waitcnt lgkmcnt(0)
	s_barrier
	buffer_gl0_inv
	ds_write_b64 v19, v[8:9]
	s_waitcnt lgkmcnt(0)
	s_barrier
	buffer_gl0_inv
	ds_read_b64 v[19:20], v36
	v_add_nc_u32_e32 v37, -8, v37
	s_xor_b32 s20, exec_lo, -1
	s_waitcnt lgkmcnt(0)
	s_barrier
	buffer_gl0_inv
	s_branch .LBB913_368
.LBB913_379:
	s_or_b32 exec_lo, exec_lo, s19
	v_mad_u64_u32 v[4:5], null, v4, 6, v[21:22]
	v_lshl_add_u32 v11, v18, 1, v12
	v_mul_u32_u24_e32 v5, 6, v18
	s_barrier
	buffer_gl0_inv
	ds_write_b16 v21, v38
	s_waitcnt lgkmcnt(0)
	v_add_nc_u32_e32 v5, v11, v5
	s_barrier
	buffer_gl0_inv
	ds_read_u16 v10, v11
	s_waitcnt lgkmcnt(0)
	s_barrier
	buffer_gl0_inv
	ds_write_b64 v4, v[8:9]
	s_waitcnt lgkmcnt(0)
	s_barrier
	buffer_gl0_inv
	ds_read_b64 v[4:5], v5
	s_mov_b32 s4, exec_lo
	s_waitcnt lgkmcnt(0)
	s_barrier
	buffer_gl0_inv
	v_cmpx_lt_u32_e64 v14, v183
	s_cbranch_execz .LBB913_381
; %bb.380:
	v_mov_b32_e32 v15, 0
	v_add_co_u32 v11, vcc_lo, v2, v16
	v_add_co_ci_u32_e64 v12, null, v3, v17, vcc_lo
	v_lshlrev_b64 v[8:9], 1, v[14:15]
	v_lshlrev_b64 v[2:3], 3, v[14:15]
	v_add_co_u32 v8, vcc_lo, v11, v8
	v_add_co_ci_u32_e64 v9, null, v12, v9, vcc_lo
	v_add_co_u32 v0, vcc_lo, v6, v0
	v_add_co_ci_u32_e64 v1, null, v7, v1, vcc_lo
	v_xor_b32_e32 v6, 0x7fff, v10
	v_add_co_u32 v0, vcc_lo, v0, v2
	v_add_co_ci_u32_e64 v1, null, v1, v3, vcc_lo
	flat_store_short v[8:9], v6
	flat_store_dwordx2 v[0:1], v[4:5]
.LBB913_381:
	s_or_b32 exec_lo, exec_lo, s4
.LBB913_382:
	s_or_b32 exec_lo, exec_lo, s25
	s_clause 0x2f
	buffer_load_dword v127, off, s[0:3], s32
	buffer_load_dword v126, off, s[0:3], s32 offset:4
	buffer_load_dword v125, off, s[0:3], s32 offset:8
	;; [unrolled: 1-line block ×47, first 2 shown]
	s_waitcnt vmcnt(0) lgkmcnt(0)
	s_setpc_b64 s[30:31]
.Lfunc_end913:
	.size	_ZN7rocprim17ROCPRIM_400000_NS6detail40segmented_radix_sort_single_block_helperIslLj256ELj17ELb1EE4sortIPKsPsPKlPlEEbT_T0_T1_T2_jjjjRNS3_12storage_typeE, .Lfunc_end913-_ZN7rocprim17ROCPRIM_400000_NS6detail40segmented_radix_sort_single_block_helperIslLj256ELj17ELb1EE4sortIPKsPsPKlPlEEbT_T0_T1_T2_jjjjRNS3_12storage_typeE
                                        ; -- End function
	.set .L_ZN7rocprim17ROCPRIM_400000_NS6detail40segmented_radix_sort_single_block_helperIslLj256ELj17ELb1EE4sortIPKsPsPKlPlEEbT_T0_T1_T2_jjjjRNS3_12storage_typeE.num_vgpr, 248
	.set .L_ZN7rocprim17ROCPRIM_400000_NS6detail40segmented_radix_sort_single_block_helperIslLj256ELj17ELb1EE4sortIPKsPsPKlPlEEbT_T0_T1_T2_jjjjRNS3_12storage_typeE.num_agpr, 0
	.set .L_ZN7rocprim17ROCPRIM_400000_NS6detail40segmented_radix_sort_single_block_helperIslLj256ELj17ELb1EE4sortIPKsPsPKlPlEEbT_T0_T1_T2_jjjjRNS3_12storage_typeE.numbered_sgpr, 33
	.set .L_ZN7rocprim17ROCPRIM_400000_NS6detail40segmented_radix_sort_single_block_helperIslLj256ELj17ELb1EE4sortIPKsPsPKlPlEEbT_T0_T1_T2_jjjjRNS3_12storage_typeE.num_named_barrier, 0
	.set .L_ZN7rocprim17ROCPRIM_400000_NS6detail40segmented_radix_sort_single_block_helperIslLj256ELj17ELb1EE4sortIPKsPsPKlPlEEbT_T0_T1_T2_jjjjRNS3_12storage_typeE.private_seg_size, 196
	.set .L_ZN7rocprim17ROCPRIM_400000_NS6detail40segmented_radix_sort_single_block_helperIslLj256ELj17ELb1EE4sortIPKsPsPKlPlEEbT_T0_T1_T2_jjjjRNS3_12storage_typeE.uses_vcc, 1
	.set .L_ZN7rocprim17ROCPRIM_400000_NS6detail40segmented_radix_sort_single_block_helperIslLj256ELj17ELb1EE4sortIPKsPsPKlPlEEbT_T0_T1_T2_jjjjRNS3_12storage_typeE.uses_flat_scratch, 0
	.set .L_ZN7rocprim17ROCPRIM_400000_NS6detail40segmented_radix_sort_single_block_helperIslLj256ELj17ELb1EE4sortIPKsPsPKlPlEEbT_T0_T1_T2_jjjjRNS3_12storage_typeE.has_dyn_sized_stack, 0
	.set .L_ZN7rocprim17ROCPRIM_400000_NS6detail40segmented_radix_sort_single_block_helperIslLj256ELj17ELb1EE4sortIPKsPsPKlPlEEbT_T0_T1_T2_jjjjRNS3_12storage_typeE.has_recursion, 0
	.set .L_ZN7rocprim17ROCPRIM_400000_NS6detail40segmented_radix_sort_single_block_helperIslLj256ELj17ELb1EE4sortIPKsPsPKlPlEEbT_T0_T1_T2_jjjjRNS3_12storage_typeE.has_indirect_call, 0
	.section	.AMDGPU.csdata,"",@progbits
; Function info:
; codeLenInByte = 29568
; TotalNumSgprs: 35
; NumVgprs: 248
; ScratchSize: 196
; MemoryBound: 1
	.section	.text._ZN7rocprim17ROCPRIM_400000_NS6detail17trampoline_kernelINS0_14default_configENS1_36segmented_radix_sort_config_selectorIslEEZNS1_25segmented_radix_sort_implIS3_Lb1EPKsPsPKlPlN2at6native12_GLOBAL__N_18offset_tEEE10hipError_tPvRmT1_PNSt15iterator_traitsISK_E10value_typeET2_T3_PNSL_ISQ_E10value_typeET4_jRbjT5_SW_jjP12ihipStream_tbEUlT_E_NS1_11comp_targetILNS1_3genE8ELNS1_11target_archE1030ELNS1_3gpuE2ELNS1_3repE0EEENS1_30default_config_static_selectorELNS0_4arch9wavefront6targetE0EEEvSK_,"axG",@progbits,_ZN7rocprim17ROCPRIM_400000_NS6detail17trampoline_kernelINS0_14default_configENS1_36segmented_radix_sort_config_selectorIslEEZNS1_25segmented_radix_sort_implIS3_Lb1EPKsPsPKlPlN2at6native12_GLOBAL__N_18offset_tEEE10hipError_tPvRmT1_PNSt15iterator_traitsISK_E10value_typeET2_T3_PNSL_ISQ_E10value_typeET4_jRbjT5_SW_jjP12ihipStream_tbEUlT_E_NS1_11comp_targetILNS1_3genE8ELNS1_11target_archE1030ELNS1_3gpuE2ELNS1_3repE0EEENS1_30default_config_static_selectorELNS0_4arch9wavefront6targetE0EEEvSK_,comdat
	.globl	_ZN7rocprim17ROCPRIM_400000_NS6detail17trampoline_kernelINS0_14default_configENS1_36segmented_radix_sort_config_selectorIslEEZNS1_25segmented_radix_sort_implIS3_Lb1EPKsPsPKlPlN2at6native12_GLOBAL__N_18offset_tEEE10hipError_tPvRmT1_PNSt15iterator_traitsISK_E10value_typeET2_T3_PNSL_ISQ_E10value_typeET4_jRbjT5_SW_jjP12ihipStream_tbEUlT_E_NS1_11comp_targetILNS1_3genE8ELNS1_11target_archE1030ELNS1_3gpuE2ELNS1_3repE0EEENS1_30default_config_static_selectorELNS0_4arch9wavefront6targetE0EEEvSK_ ; -- Begin function _ZN7rocprim17ROCPRIM_400000_NS6detail17trampoline_kernelINS0_14default_configENS1_36segmented_radix_sort_config_selectorIslEEZNS1_25segmented_radix_sort_implIS3_Lb1EPKsPsPKlPlN2at6native12_GLOBAL__N_18offset_tEEE10hipError_tPvRmT1_PNSt15iterator_traitsISK_E10value_typeET2_T3_PNSL_ISQ_E10value_typeET4_jRbjT5_SW_jjP12ihipStream_tbEUlT_E_NS1_11comp_targetILNS1_3genE8ELNS1_11target_archE1030ELNS1_3gpuE2ELNS1_3repE0EEENS1_30default_config_static_selectorELNS0_4arch9wavefront6targetE0EEEvSK_
	.p2align	8
	.type	_ZN7rocprim17ROCPRIM_400000_NS6detail17trampoline_kernelINS0_14default_configENS1_36segmented_radix_sort_config_selectorIslEEZNS1_25segmented_radix_sort_implIS3_Lb1EPKsPsPKlPlN2at6native12_GLOBAL__N_18offset_tEEE10hipError_tPvRmT1_PNSt15iterator_traitsISK_E10value_typeET2_T3_PNSL_ISQ_E10value_typeET4_jRbjT5_SW_jjP12ihipStream_tbEUlT_E_NS1_11comp_targetILNS1_3genE8ELNS1_11target_archE1030ELNS1_3gpuE2ELNS1_3repE0EEENS1_30default_config_static_selectorELNS0_4arch9wavefront6targetE0EEEvSK_,@function
_ZN7rocprim17ROCPRIM_400000_NS6detail17trampoline_kernelINS0_14default_configENS1_36segmented_radix_sort_config_selectorIslEEZNS1_25segmented_radix_sort_implIS3_Lb1EPKsPsPKlPlN2at6native12_GLOBAL__N_18offset_tEEE10hipError_tPvRmT1_PNSt15iterator_traitsISK_E10value_typeET2_T3_PNSL_ISQ_E10value_typeET4_jRbjT5_SW_jjP12ihipStream_tbEUlT_E_NS1_11comp_targetILNS1_3genE8ELNS1_11target_archE1030ELNS1_3gpuE2ELNS1_3repE0EEENS1_30default_config_static_selectorELNS0_4arch9wavefront6targetE0EEEvSK_: ; @_ZN7rocprim17ROCPRIM_400000_NS6detail17trampoline_kernelINS0_14default_configENS1_36segmented_radix_sort_config_selectorIslEEZNS1_25segmented_radix_sort_implIS3_Lb1EPKsPsPKlPlN2at6native12_GLOBAL__N_18offset_tEEE10hipError_tPvRmT1_PNSt15iterator_traitsISK_E10value_typeET2_T3_PNSL_ISQ_E10value_typeET4_jRbjT5_SW_jjP12ihipStream_tbEUlT_E_NS1_11comp_targetILNS1_3genE8ELNS1_11target_archE1030ELNS1_3gpuE2ELNS1_3repE0EEENS1_30default_config_static_selectorELNS0_4arch9wavefront6targetE0EEEvSK_
; %bb.0:
	s_load_dwordx2 s[12:13], s[4:5], 0x38
	s_mov_b32 s28, s7
	s_mov_b32 s7, 0
	s_add_u32 s0, s0, s8
	s_addc_u32 s1, s1, 0
	s_lshl_b64 s[14:15], s[6:7], 2
	s_load_dwordx4 s[8:11], s[4:5], 0x40
	s_mov_b32 s32, 0
	s_waitcnt lgkmcnt(0)
	s_add_u32 s12, s12, s14
	s_addc_u32 s13, s13, s15
	s_load_dword s7, s[12:13], 0x0
	s_waitcnt lgkmcnt(0)
	s_add_i32 s58, s7, s9
	s_add_i32 s59, s7, s11
	s_mul_i32 s58, s58, s8
	s_mul_i32 s59, s59, s10
	s_cmp_le_u32 s59, s58
	s_cbranch_scc1 .LBB914_1254
; %bb.1:
	s_clause 0x3
	s_load_dword s7, s[4:5], 0x30
	s_load_dwordx4 s[52:55], s[4:5], 0x20
	s_load_dwordx4 s[40:43], s[4:5], 0x50
	s_load_dwordx8 s[44:51], s[4:5], 0x0
	s_waitcnt lgkmcnt(0)
	s_bitcmp1_b32 s7, 0
	s_mov_b32 s7, -1
	s_cselect_b32 s43, -1, 0
	s_sub_i32 s60, s59, s58
	s_cmpk_lt_u32 s60, 0x1101
	s_cbranch_scc0 .LBB914_7
; %bb.2:
	v_cndmask_b32_e64 v3, 0, 1, s43
	s_and_b32 s7, s40, 1
	v_lshlrev_b32_e32 v41, 20, v2
	v_lshlrev_b32_e32 v42, 10, v1
	v_cmp_ne_u32_e32 vcc_lo, s7, v3
	s_mov_b32 s7, -1
	s_cbranch_vccnz .LBB914_4
; %bb.3:
	s_mov_b64 s[10:11], src_shared_base
	v_or3_b32 v31, v0, v42, v41
	v_mov_b32_e32 v40, v0
	v_mov_b32_e32 v0, s44
	;; [unrolled: 1-line block ×17, first 2 shown]
	s_add_u32 s8, s4, 0x60
	s_addc_u32 s9, s5, 0
	s_getpc_b64 s[14:15]
	s_add_u32 s14, s14, _ZN7rocprim17ROCPRIM_400000_NS6detail40segmented_radix_sort_single_block_helperIslLj256ELj17ELb1EE4sortIPKsPsPKlPlEEbT_T0_T1_T2_jjjjRNS3_12storage_typeE@rel32@lo+4
	s_addc_u32 s15, s15, _ZN7rocprim17ROCPRIM_400000_NS6detail40segmented_radix_sort_single_block_helperIslLj256ELj17ELb1EE4sortIPKsPsPKlPlEEbT_T0_T1_T2_jjjjRNS3_12storage_typeE@rel32@hi+12
	s_mov_b32 s12, s6
	s_mov_b32 s13, s28
	;; [unrolled: 1-line block ×3, first 2 shown]
	s_mov_b64 s[36:37], s[4:5]
	s_swappc_b64 s[30:31], s[14:15]
	v_mov_b32_e32 v1, v43
	v_mov_b32_e32 v2, v44
	;; [unrolled: 1-line block ×3, first 2 shown]
	s_mov_b64 s[4:5], s[36:37]
	s_mov_b32 s6, s34
	s_mov_b32 s7, 0
.LBB914_4:
	s_andn2_b32 vcc_lo, exec_lo, s7
	s_cbranch_vccnz .LBB914_6
; %bb.5:
	s_mov_b64 s[10:11], src_shared_base
	v_or3_b32 v31, v0, v42, v41
	v_mov_b32_e32 v40, v0
	v_mov_b32_e32 v0, s44
	;; [unrolled: 1-line block ×17, first 2 shown]
	s_add_u32 s8, s4, 0x60
	s_addc_u32 s9, s5, 0
	s_getpc_b64 s[14:15]
	s_add_u32 s14, s14, _ZN7rocprim17ROCPRIM_400000_NS6detail40segmented_radix_sort_single_block_helperIslLj256ELj17ELb1EE4sortIPKsPsPKlPlEEbT_T0_T1_T2_jjjjRNS3_12storage_typeE@rel32@lo+4
	s_addc_u32 s15, s15, _ZN7rocprim17ROCPRIM_400000_NS6detail40segmented_radix_sort_single_block_helperIslLj256ELj17ELb1EE4sortIPKsPsPKlPlEEbT_T0_T1_T2_jjjjRNS3_12storage_typeE@rel32@hi+12
	s_mov_b32 s12, s6
	s_mov_b32 s13, s28
	s_mov_b32 s34, s6
	s_mov_b64 s[36:37], s[4:5]
	s_swappc_b64 s[30:31], s[14:15]
	v_mov_b32_e32 v1, v41
	v_mov_b32_e32 v2, v42
	;; [unrolled: 1-line block ×3, first 2 shown]
	s_mov_b64 s[4:5], s[36:37]
	s_mov_b32 s6, s34
.LBB914_6:
	s_mov_b32 s7, 0
.LBB914_7:
	s_andn2_b32 vcc_lo, exec_lo, s7
	s_cbranch_vccnz .LBB914_1254
; %bb.8:
	s_cmp_ge_u32 s41, s42
	s_cbranch_scc1 .LBB914_1254
; %bb.9:
	v_and_b32_e32 v6, 0xe0, v0
	v_lshlrev_b32_e32 v43, 2, v0
	v_and_b32_e32 v5, 3, v0
	v_lshrrev_b32_e32 v8, 3, v0
	s_add_u32 s56, s4, 0x60
	v_min_u32_e32 v7, 0x60, v6
	v_mad_u32_u24 v64, v0, 12, v43
	v_lshlrev_b32_e32 v63, 2, v5
	v_mul_u32_u24_e32 v5, 17, v6
	v_or_b32_e32 v6, 31, v6
	v_or_b32_e32 v7, 31, v7
	v_add_nc_u32_e32 v68, v64, v43
	v_and_b32_e32 v62, 28, v8
	v_add_nc_u32_e32 v8, 1, v0
	v_cmp_eq_u32_e64 s4, v0, v6
	v_cmp_eq_u32_e64 s8, v0, v7
	v_lshlrev_b32_e32 v7, 4, v0
	v_lshlrev_b32_e32 v6, 3, v5
	;; [unrolled: 1-line block ×3, first 2 shown]
	v_mul_u32_u24_e32 v70, 36, v8
	v_cmp_ne_u32_e64 s13, 0x80, v8
	v_sub_nc_u32_e32 v69, v68, v7
	v_lshlrev_b32_e32 v7, 1, v5
	v_add_co_u32 v8, s14, s54, v6
	v_add_co_ci_u32_e64 v9, null, s55, 0, s14
	v_add_co_u32 v72, s14, s48, v7
	v_add_co_ci_u32_e64 v73, null, s49, 0, s14
	v_add_co_u32 v76, s14, s46, v3
	v_mbcnt_lo_u32_b32 v86, -1, 0
	v_add_co_ci_u32_e64 v77, null, s47, 0, s14
	v_add_co_u32 v78, s14, s52, v6
	v_add_co_ci_u32_e64 v79, null, s53, 0, s14
	v_add_co_u32 v80, s14, s46, v7
	v_lshlrev_b32_e32 v97, 3, v86
	v_add_co_ci_u32_e64 v81, null, s47, 0, s14
	v_add_co_u32 v82, s14, s44, v3
	v_or_b32_e32 v49, 0x400, v0
	v_or_b32_e32 v50, 0x500, v0
	;; [unrolled: 1-line block ×13, first 2 shown]
	v_lshl_add_u32 v71, v0, 5, v69
	v_or_b32_e32 v94, v86, v5
	v_add_co_ci_u32_e64 v83, null, s45, 0, s14
	v_add_co_u32 v84, s14, s50, v6
	v_add_co_u32 v45, s7, s48, v3
	v_add_co_ci_u32_e64 v85, null, s51, 0, s14
	v_add_co_u32 v87, s14, s44, v7
	v_add_co_u32 v123, vcc_lo, v8, v97
	v_mov_b32_e32 v4, 0
	v_or_b32_e32 v44, 0x100, v0
	v_add_co_ci_u32_e64 v46, null, s49, 0, s7
	v_or_b32_e32 v47, 0x200, v0
	v_or_b32_e32 v48, 0x300, v0
	v_cmp_gt_u32_e64 s7, 0x80, v0
	v_or_b32_e32 v65, 0x8a00, v62
	v_cmp_gt_u32_e64 s9, 4, v0
	v_add_nc_u32_e32 v66, 0x8a00, v43
	v_cmp_lt_u32_e64 s10, 31, v0
	v_add_nc_u32_e32 v67, 0x89fc, v62
	v_cmp_gt_u32_e64 s11, 8, v0
	v_cmp_eq_u32_e64 s12, 0, v0
	v_mad_i32_i24 v74, 0xffffffde, v0, v71
	v_mul_u32_u24_e32 v75, 6, v0
	v_add_co_ci_u32_e64 v88, null, s45, 0, s14
	v_mov_b32_e32 v89, 1
	v_and_b32_e32 v90, 15, v86
	v_bfe_i32 v91, v86, 4, 1
	v_and_b32_e32 v92, 16, v86
	v_and_b32_e32 v93, 3, v86
	v_sub_co_u32 v95, s14, v86, 1
	v_and_b32_e32 v96, 7, v86
	v_add_nc_u32_e32 v98, 32, v94
	v_add_nc_u32_e32 v99, 64, v94
	;; [unrolled: 1-line block ×11, first 2 shown]
	v_lshlrev_b32_e32 v109, 1, v0
	v_lshlrev_b32_e32 v110, 1, v49
	;; [unrolled: 1-line block ×14, first 2 shown]
	v_add_co_ci_u32_e64 v124, null, 0, v9, vcc_lo
	s_addc_u32 s57, s5, 0
	s_mov_b32 s51, 0
	s_mov_b32 s61, s41
	s_branch .LBB914_12
.LBB914_10:                             ;   in Loop: Header=BB914_12 Depth=1
	s_waitcnt lgkmcnt(0)
	s_barrier
.LBB914_11:                             ;   in Loop: Header=BB914_12 Depth=1
	s_add_i32 s61, s61, 7
	buffer_gl0_inv
	s_cmp_ge_u32 s61, s42
	s_cbranch_scc1 .LBB914_1254
.LBB914_12:                             ; =>This Loop Header: Depth=1
                                        ;     Child Loop BB914_16 Depth 2
                                        ;     Child Loop BB914_100 Depth 2
                                        ;     Child Loop BB914_326 Depth 2
                                        ;     Child Loop BB914_410 Depth 2
                                        ;     Child Loop BB914_638 Depth 2
                                        ;     Child Loop BB914_722 Depth 2
                                        ;     Child Loop BB914_948 Depth 2
                                        ;     Child Loop BB914_1032 Depth 2
	s_sub_i32 s5, s42, s61
	s_xor_b32 s43, s43, -1
	s_min_u32 s5, s5, 7
	ds_write2st64_b32 v43, v4, v4 offset1:4
	s_lshl_b32 s5, -1, s5
	s_waitcnt lgkmcnt(0)
	s_waitcnt_vscnt null, 0x0
	s_not_b32 s62, s5
	s_cmp_lg_u32 s61, s41
	s_mov_b32 s5, -1
	s_cbranch_scc0 .LBB914_634
; %bb.13:                               ;   in Loop: Header=BB914_12 Depth=1
	s_and_b32 vcc_lo, exec_lo, s43
	s_cbranch_vccz .LBB914_323
; %bb.14:                               ;   in Loop: Header=BB914_12 Depth=1
	s_mov_b32 s5, s60
	s_mov_b32 s50, s58
	s_barrier
	buffer_gl0_inv
                                        ; implicit-def: $vgpr3
                                        ; implicit-def: $vgpr5
                                        ; implicit-def: $vgpr6
                                        ; implicit-def: $vgpr7
                                        ; implicit-def: $vgpr8
                                        ; implicit-def: $vgpr9
                                        ; implicit-def: $vgpr10
                                        ; implicit-def: $vgpr11
                                        ; implicit-def: $vgpr12
                                        ; implicit-def: $vgpr13
                                        ; implicit-def: $vgpr14
                                        ; implicit-def: $vgpr15
                                        ; implicit-def: $vgpr16
                                        ; implicit-def: $vgpr17
                                        ; implicit-def: $vgpr18
                                        ; implicit-def: $vgpr19
                                        ; implicit-def: $vgpr20
	s_branch .LBB914_16
.LBB914_15:                             ;   in Loop: Header=BB914_16 Depth=2
	s_or_b32 exec_lo, exec_lo, s16
	s_addk_i32 s5, 0xef00
	s_cmp_ge_u32 s15, s59
	s_mov_b32 s50, s15
	s_cbranch_scc1 .LBB914_88
.LBB914_16:                             ;   Parent Loop BB914_12 Depth=1
                                        ; =>  This Inner Loop Header: Depth=2
	s_add_i32 s15, s50, 0x1100
	s_mov_b32 s16, -1
	s_cmp_gt_u32 s15, s59
                                        ; implicit-def: $vgpr21
                                        ; implicit-def: $vgpr22
                                        ; implicit-def: $vgpr23
                                        ; implicit-def: $vgpr24
                                        ; implicit-def: $vgpr28
                                        ; implicit-def: $vgpr25
                                        ; implicit-def: $vgpr26
                                        ; implicit-def: $vgpr27
                                        ; implicit-def: $vgpr30
                                        ; implicit-def: $vgpr29
                                        ; implicit-def: $vgpr31
                                        ; implicit-def: $vgpr32
                                        ; implicit-def: $vgpr33
                                        ; implicit-def: $vgpr34
                                        ; implicit-def: $vgpr35
                                        ; implicit-def: $vgpr36
                                        ; implicit-def: $vgpr37
	s_cbranch_scc1 .LBB914_18
; %bb.17:                               ;   in Loop: Header=BB914_16 Depth=2
	s_lshl_b64 s[16:17], s[50:51], 1
	v_add_co_u32 v30, vcc_lo, v45, s16
	v_add_co_ci_u32_e64 v31, null, s17, v46, vcc_lo
	s_mov_b32 s16, 0
	v_add_co_u32 v27, vcc_lo, 0x800, v30
	v_add_co_ci_u32_e64 v28, null, 0, v31, vcc_lo
	v_add_co_u32 v32, vcc_lo, v30, 0x1000
	v_add_co_ci_u32_e64 v33, null, 0, v31, vcc_lo
	v_add_co_u32 v34, vcc_lo, 0x1000, v30
	v_add_co_ci_u32_e64 v35, null, 0, v31, vcc_lo
	v_add_co_u32 v36, vcc_lo, 0x1800, v30
	v_add_co_ci_u32_e64 v37, null, 0, v31, vcc_lo
	v_add_co_u32 v38, vcc_lo, v30, 0x2000
	v_add_co_ci_u32_e64 v39, null, 0, v31, vcc_lo
	s_clause 0x10
	global_load_ushort v21, v[30:31], off
	global_load_ushort v22, v[30:31], off offset:512
	global_load_ushort v23, v[30:31], off offset:1024
	;; [unrolled: 1-line block ×7, first 2 shown]
	global_load_ushort v28, v[32:33], off offset:-2048
	global_load_ushort v30, v[32:33], off
	global_load_ushort v31, v[34:35], off offset:1024
	global_load_ushort v32, v[34:35], off offset:1536
	global_load_ushort v33, v[38:39], off offset:-2048
	global_load_ushort v34, v[36:37], off offset:512
	global_load_ushort v35, v[36:37], off offset:1024
	;; [unrolled: 1-line block ×3, first 2 shown]
	global_load_ushort v37, v[38:39], off
.LBB914_18:                             ;   in Loop: Header=BB914_16 Depth=2
	s_andn2_b32 vcc_lo, exec_lo, s16
	s_movk_i32 s16, 0x1100
	s_cbranch_vccnz .LBB914_38
; %bb.19:                               ;   in Loop: Header=BB914_16 Depth=2
	s_lshl_b64 s[16:17], s[50:51], 1
	s_mov_b32 s18, exec_lo
	s_add_u32 s16, s48, s16
	s_addc_u32 s17, s49, s17
	v_cmpx_gt_u32_e64 s5, v0
	s_cbranch_execnz .LBB914_72
; %bb.20:                               ;   in Loop: Header=BB914_16 Depth=2
	s_or_b32 exec_lo, exec_lo, s18
	s_mov_b32 s18, exec_lo
	v_cmpx_gt_u32_e64 s5, v44
	s_cbranch_execnz .LBB914_73
.LBB914_21:                             ;   in Loop: Header=BB914_16 Depth=2
	s_or_b32 exec_lo, exec_lo, s18
	s_mov_b32 s18, exec_lo
	v_cmpx_gt_u32_e64 s5, v47
	s_cbranch_execnz .LBB914_74
.LBB914_22:                             ;   in Loop: Header=BB914_16 Depth=2
	s_or_b32 exec_lo, exec_lo, s18
	s_mov_b32 s18, exec_lo
	v_cmpx_gt_u32_e64 s5, v48
	s_cbranch_execnz .LBB914_75
.LBB914_23:                             ;   in Loop: Header=BB914_16 Depth=2
	s_or_b32 exec_lo, exec_lo, s18
	s_mov_b32 s18, exec_lo
	v_cmpx_gt_u32_e64 s5, v49
	s_cbranch_execnz .LBB914_76
.LBB914_24:                             ;   in Loop: Header=BB914_16 Depth=2
	s_or_b32 exec_lo, exec_lo, s18
	s_mov_b32 s18, exec_lo
	v_cmpx_gt_u32_e64 s5, v50
	s_cbranch_execnz .LBB914_77
.LBB914_25:                             ;   in Loop: Header=BB914_16 Depth=2
	s_or_b32 exec_lo, exec_lo, s18
	s_mov_b32 s18, exec_lo
	v_cmpx_gt_u32_e64 s5, v51
	s_cbranch_execnz .LBB914_78
.LBB914_26:                             ;   in Loop: Header=BB914_16 Depth=2
	s_or_b32 exec_lo, exec_lo, s18
	s_mov_b32 s18, exec_lo
	v_cmpx_gt_u32_e64 s5, v52
	s_cbranch_execnz .LBB914_79
.LBB914_27:                             ;   in Loop: Header=BB914_16 Depth=2
	s_or_b32 exec_lo, exec_lo, s18
	s_mov_b32 s18, exec_lo
	v_cmpx_gt_u32_e64 s5, v53
	s_cbranch_execnz .LBB914_80
.LBB914_28:                             ;   in Loop: Header=BB914_16 Depth=2
	s_or_b32 exec_lo, exec_lo, s18
	s_mov_b32 s18, exec_lo
	v_cmpx_gt_u32_e64 s5, v54
	s_cbranch_execnz .LBB914_81
.LBB914_29:                             ;   in Loop: Header=BB914_16 Depth=2
	s_or_b32 exec_lo, exec_lo, s18
	s_mov_b32 s18, exec_lo
	v_cmpx_gt_u32_e64 s5, v55
	s_cbranch_execnz .LBB914_82
.LBB914_30:                             ;   in Loop: Header=BB914_16 Depth=2
	s_or_b32 exec_lo, exec_lo, s18
	s_mov_b32 s18, exec_lo
	v_cmpx_gt_u32_e64 s5, v56
	s_cbranch_execnz .LBB914_83
.LBB914_31:                             ;   in Loop: Header=BB914_16 Depth=2
	s_or_b32 exec_lo, exec_lo, s18
	s_mov_b32 s18, exec_lo
	v_cmpx_gt_u32_e64 s5, v57
	s_cbranch_execnz .LBB914_84
.LBB914_32:                             ;   in Loop: Header=BB914_16 Depth=2
	s_or_b32 exec_lo, exec_lo, s18
	s_mov_b32 s18, exec_lo
	v_cmpx_gt_u32_e64 s5, v58
	s_cbranch_execnz .LBB914_85
.LBB914_33:                             ;   in Loop: Header=BB914_16 Depth=2
	s_or_b32 exec_lo, exec_lo, s18
	s_mov_b32 s18, exec_lo
	v_cmpx_gt_u32_e64 s5, v59
	s_cbranch_execnz .LBB914_86
.LBB914_34:                             ;   in Loop: Header=BB914_16 Depth=2
	s_or_b32 exec_lo, exec_lo, s18
	s_mov_b32 s18, exec_lo
	v_cmpx_gt_u32_e64 s5, v60
	s_cbranch_execnz .LBB914_87
.LBB914_35:                             ;   in Loop: Header=BB914_16 Depth=2
	s_or_b32 exec_lo, exec_lo, s18
	s_mov_b32 s18, exec_lo
	v_cmpx_gt_u32_e64 s5, v61
	s_cbranch_execz .LBB914_37
.LBB914_36:                             ;   in Loop: Header=BB914_16 Depth=2
	global_load_ushort v3, v122, s[16:17]
.LBB914_37:                             ;   in Loop: Header=BB914_16 Depth=2
	s_or_b32 exec_lo, exec_lo, s18
	s_waitcnt vmcnt(0)
	v_mov_b32_e32 v21, v20
	v_mov_b32_e32 v22, v19
	v_mov_b32_e32 v23, v18
	v_mov_b32_e32 v24, v17
	v_mov_b32_e32 v28, v16
	v_mov_b32_e32 v25, v15
	v_mov_b32_e32 v26, v14
	v_mov_b32_e32 v27, v13
	v_mov_b32_e32 v30, v12
	v_mov_b32_e32 v29, v11
	v_mov_b32_e32 v31, v10
	v_mov_b32_e32 v32, v9
	v_mov_b32_e32 v33, v8
	v_mov_b32_e32 v34, v7
	v_mov_b32_e32 v35, v6
	v_mov_b32_e32 v36, v5
	v_mov_b32_e32 v37, v3
	s_mov_b32 s16, s5
.LBB914_38:                             ;   in Loop: Header=BB914_16 Depth=2
	s_waitcnt vmcnt(0)
	v_mov_b32_e32 v3, v37
	v_mov_b32_e32 v5, v36
	;; [unrolled: 1-line block ×17, first 2 shown]
	s_mov_b32 s17, exec_lo
	v_cmpx_gt_u32_e64 s16, v0
	s_cbranch_execnz .LBB914_55
; %bb.39:                               ;   in Loop: Header=BB914_16 Depth=2
	s_or_b32 exec_lo, exec_lo, s17
	s_mov_b32 s17, exec_lo
	v_cmpx_gt_u32_e64 s16, v44
	s_cbranch_execnz .LBB914_56
.LBB914_40:                             ;   in Loop: Header=BB914_16 Depth=2
	s_or_b32 exec_lo, exec_lo, s17
	s_mov_b32 s17, exec_lo
	v_cmpx_gt_u32_e64 s16, v47
	s_cbranch_execnz .LBB914_57
.LBB914_41:                             ;   in Loop: Header=BB914_16 Depth=2
	s_or_b32 exec_lo, exec_lo, s17
	s_mov_b32 s17, exec_lo
	v_cmpx_gt_u32_e64 s16, v48
	s_cbranch_execnz .LBB914_58
.LBB914_42:                             ;   in Loop: Header=BB914_16 Depth=2
	s_or_b32 exec_lo, exec_lo, s17
	s_mov_b32 s17, exec_lo
	v_cmpx_gt_u32_e64 s16, v49
	s_cbranch_execnz .LBB914_59
.LBB914_43:                             ;   in Loop: Header=BB914_16 Depth=2
	s_or_b32 exec_lo, exec_lo, s17
	s_mov_b32 s17, exec_lo
	v_cmpx_gt_u32_e64 s16, v50
	s_cbranch_execnz .LBB914_60
.LBB914_44:                             ;   in Loop: Header=BB914_16 Depth=2
	s_or_b32 exec_lo, exec_lo, s17
	s_mov_b32 s17, exec_lo
	v_cmpx_gt_u32_e64 s16, v51
	s_cbranch_execnz .LBB914_61
.LBB914_45:                             ;   in Loop: Header=BB914_16 Depth=2
	s_or_b32 exec_lo, exec_lo, s17
	s_mov_b32 s17, exec_lo
	v_cmpx_gt_u32_e64 s16, v52
	s_cbranch_execnz .LBB914_62
.LBB914_46:                             ;   in Loop: Header=BB914_16 Depth=2
	s_or_b32 exec_lo, exec_lo, s17
	s_mov_b32 s17, exec_lo
	v_cmpx_gt_u32_e64 s16, v53
	s_cbranch_execnz .LBB914_63
.LBB914_47:                             ;   in Loop: Header=BB914_16 Depth=2
	s_or_b32 exec_lo, exec_lo, s17
	s_mov_b32 s17, exec_lo
	v_cmpx_gt_u32_e64 s16, v54
	s_cbranch_execnz .LBB914_64
.LBB914_48:                             ;   in Loop: Header=BB914_16 Depth=2
	s_or_b32 exec_lo, exec_lo, s17
	s_mov_b32 s17, exec_lo
	v_cmpx_gt_u32_e64 s16, v55
	s_cbranch_execnz .LBB914_65
.LBB914_49:                             ;   in Loop: Header=BB914_16 Depth=2
	s_or_b32 exec_lo, exec_lo, s17
	s_mov_b32 s17, exec_lo
	v_cmpx_gt_u32_e64 s16, v56
	s_cbranch_execnz .LBB914_66
.LBB914_50:                             ;   in Loop: Header=BB914_16 Depth=2
	s_or_b32 exec_lo, exec_lo, s17
	s_mov_b32 s17, exec_lo
	v_cmpx_gt_u32_e64 s16, v57
	s_cbranch_execnz .LBB914_67
.LBB914_51:                             ;   in Loop: Header=BB914_16 Depth=2
	s_or_b32 exec_lo, exec_lo, s17
	s_mov_b32 s17, exec_lo
	v_cmpx_gt_u32_e64 s16, v58
	s_cbranch_execnz .LBB914_68
.LBB914_52:                             ;   in Loop: Header=BB914_16 Depth=2
	s_or_b32 exec_lo, exec_lo, s17
	s_mov_b32 s17, exec_lo
	v_cmpx_gt_u32_e64 s16, v59
	s_cbranch_execnz .LBB914_69
.LBB914_53:                             ;   in Loop: Header=BB914_16 Depth=2
	s_or_b32 exec_lo, exec_lo, s17
	s_mov_b32 s17, exec_lo
	v_cmpx_gt_u32_e64 s16, v60
	s_cbranch_execnz .LBB914_70
.LBB914_54:                             ;   in Loop: Header=BB914_16 Depth=2
	s_or_b32 exec_lo, exec_lo, s17
	v_cmp_gt_u32_e32 vcc_lo, s16, v61
	s_and_saveexec_b32 s16, vcc_lo
	s_cbranch_execz .LBB914_15
	s_branch .LBB914_71
.LBB914_55:                             ;   in Loop: Header=BB914_16 Depth=2
	v_xor_b32_e32 v21, 0x7fff, v20
	v_lshrrev_b32_sdwa v21, s61, v21 dst_sel:DWORD dst_unused:UNUSED_PAD src0_sel:DWORD src1_sel:WORD_0
	v_and_b32_e32 v21, s62, v21
	v_lshl_or_b32 v21, v21, 4, v63
	ds_add_u32 v21, v89
	s_or_b32 exec_lo, exec_lo, s17
	s_mov_b32 s17, exec_lo
	v_cmpx_gt_u32_e64 s16, v44
	s_cbranch_execz .LBB914_40
.LBB914_56:                             ;   in Loop: Header=BB914_16 Depth=2
	v_xor_b32_e32 v21, 0x7fff, v19
	v_lshrrev_b32_sdwa v21, s61, v21 dst_sel:DWORD dst_unused:UNUSED_PAD src0_sel:DWORD src1_sel:WORD_0
	v_and_b32_e32 v21, s62, v21
	v_lshl_or_b32 v21, v21, 4, v63
	ds_add_u32 v21, v89
	s_or_b32 exec_lo, exec_lo, s17
	s_mov_b32 s17, exec_lo
	v_cmpx_gt_u32_e64 s16, v47
	s_cbranch_execz .LBB914_41
.LBB914_57:                             ;   in Loop: Header=BB914_16 Depth=2
	v_xor_b32_e32 v21, 0x7fff, v18
	v_lshrrev_b32_sdwa v21, s61, v21 dst_sel:DWORD dst_unused:UNUSED_PAD src0_sel:DWORD src1_sel:WORD_0
	v_and_b32_e32 v21, s62, v21
	v_lshl_or_b32 v21, v21, 4, v63
	ds_add_u32 v21, v89
	s_or_b32 exec_lo, exec_lo, s17
	s_mov_b32 s17, exec_lo
	v_cmpx_gt_u32_e64 s16, v48
	s_cbranch_execz .LBB914_42
.LBB914_58:                             ;   in Loop: Header=BB914_16 Depth=2
	v_xor_b32_e32 v21, 0x7fff, v17
	v_lshrrev_b32_sdwa v21, s61, v21 dst_sel:DWORD dst_unused:UNUSED_PAD src0_sel:DWORD src1_sel:WORD_0
	v_and_b32_e32 v21, s62, v21
	v_lshl_or_b32 v21, v21, 4, v63
	ds_add_u32 v21, v89
	s_or_b32 exec_lo, exec_lo, s17
	s_mov_b32 s17, exec_lo
	v_cmpx_gt_u32_e64 s16, v49
	s_cbranch_execz .LBB914_43
.LBB914_59:                             ;   in Loop: Header=BB914_16 Depth=2
	v_xor_b32_e32 v21, 0x7fff, v16
	v_lshrrev_b32_sdwa v21, s61, v21 dst_sel:DWORD dst_unused:UNUSED_PAD src0_sel:DWORD src1_sel:WORD_0
	v_and_b32_e32 v21, s62, v21
	v_lshl_or_b32 v21, v21, 4, v63
	ds_add_u32 v21, v89
	s_or_b32 exec_lo, exec_lo, s17
	s_mov_b32 s17, exec_lo
	v_cmpx_gt_u32_e64 s16, v50
	s_cbranch_execz .LBB914_44
.LBB914_60:                             ;   in Loop: Header=BB914_16 Depth=2
	v_xor_b32_e32 v21, 0x7fff, v15
	v_lshrrev_b32_sdwa v21, s61, v21 dst_sel:DWORD dst_unused:UNUSED_PAD src0_sel:DWORD src1_sel:WORD_0
	v_and_b32_e32 v21, s62, v21
	v_lshl_or_b32 v21, v21, 4, v63
	ds_add_u32 v21, v89
	s_or_b32 exec_lo, exec_lo, s17
	s_mov_b32 s17, exec_lo
	v_cmpx_gt_u32_e64 s16, v51
	s_cbranch_execz .LBB914_45
.LBB914_61:                             ;   in Loop: Header=BB914_16 Depth=2
	v_xor_b32_e32 v21, 0x7fff, v14
	v_lshrrev_b32_sdwa v21, s61, v21 dst_sel:DWORD dst_unused:UNUSED_PAD src0_sel:DWORD src1_sel:WORD_0
	v_and_b32_e32 v21, s62, v21
	v_lshl_or_b32 v21, v21, 4, v63
	ds_add_u32 v21, v89
	s_or_b32 exec_lo, exec_lo, s17
	s_mov_b32 s17, exec_lo
	v_cmpx_gt_u32_e64 s16, v52
	s_cbranch_execz .LBB914_46
.LBB914_62:                             ;   in Loop: Header=BB914_16 Depth=2
	v_xor_b32_e32 v21, 0x7fff, v13
	v_lshrrev_b32_sdwa v21, s61, v21 dst_sel:DWORD dst_unused:UNUSED_PAD src0_sel:DWORD src1_sel:WORD_0
	v_and_b32_e32 v21, s62, v21
	v_lshl_or_b32 v21, v21, 4, v63
	ds_add_u32 v21, v89
	s_or_b32 exec_lo, exec_lo, s17
	s_mov_b32 s17, exec_lo
	v_cmpx_gt_u32_e64 s16, v53
	s_cbranch_execz .LBB914_47
.LBB914_63:                             ;   in Loop: Header=BB914_16 Depth=2
	v_xor_b32_e32 v21, 0x7fff, v12
	v_lshrrev_b32_sdwa v21, s61, v21 dst_sel:DWORD dst_unused:UNUSED_PAD src0_sel:DWORD src1_sel:WORD_0
	v_and_b32_e32 v21, s62, v21
	v_lshl_or_b32 v21, v21, 4, v63
	ds_add_u32 v21, v89
	s_or_b32 exec_lo, exec_lo, s17
	s_mov_b32 s17, exec_lo
	v_cmpx_gt_u32_e64 s16, v54
	s_cbranch_execz .LBB914_48
.LBB914_64:                             ;   in Loop: Header=BB914_16 Depth=2
	v_xor_b32_e32 v21, 0x7fff, v11
	v_lshrrev_b32_sdwa v21, s61, v21 dst_sel:DWORD dst_unused:UNUSED_PAD src0_sel:DWORD src1_sel:WORD_0
	v_and_b32_e32 v21, s62, v21
	v_lshl_or_b32 v21, v21, 4, v63
	ds_add_u32 v21, v89
	s_or_b32 exec_lo, exec_lo, s17
	s_mov_b32 s17, exec_lo
	v_cmpx_gt_u32_e64 s16, v55
	s_cbranch_execz .LBB914_49
.LBB914_65:                             ;   in Loop: Header=BB914_16 Depth=2
	v_xor_b32_e32 v21, 0x7fff, v10
	v_lshrrev_b32_sdwa v21, s61, v21 dst_sel:DWORD dst_unused:UNUSED_PAD src0_sel:DWORD src1_sel:WORD_0
	v_and_b32_e32 v21, s62, v21
	v_lshl_or_b32 v21, v21, 4, v63
	ds_add_u32 v21, v89
	s_or_b32 exec_lo, exec_lo, s17
	s_mov_b32 s17, exec_lo
	v_cmpx_gt_u32_e64 s16, v56
	s_cbranch_execz .LBB914_50
.LBB914_66:                             ;   in Loop: Header=BB914_16 Depth=2
	v_xor_b32_e32 v21, 0x7fff, v9
	v_lshrrev_b32_sdwa v21, s61, v21 dst_sel:DWORD dst_unused:UNUSED_PAD src0_sel:DWORD src1_sel:WORD_0
	v_and_b32_e32 v21, s62, v21
	v_lshl_or_b32 v21, v21, 4, v63
	ds_add_u32 v21, v89
	s_or_b32 exec_lo, exec_lo, s17
	s_mov_b32 s17, exec_lo
	v_cmpx_gt_u32_e64 s16, v57
	s_cbranch_execz .LBB914_51
.LBB914_67:                             ;   in Loop: Header=BB914_16 Depth=2
	v_xor_b32_e32 v21, 0x7fff, v8
	v_lshrrev_b32_sdwa v21, s61, v21 dst_sel:DWORD dst_unused:UNUSED_PAD src0_sel:DWORD src1_sel:WORD_0
	v_and_b32_e32 v21, s62, v21
	v_lshl_or_b32 v21, v21, 4, v63
	ds_add_u32 v21, v89
	s_or_b32 exec_lo, exec_lo, s17
	s_mov_b32 s17, exec_lo
	v_cmpx_gt_u32_e64 s16, v58
	s_cbranch_execz .LBB914_52
.LBB914_68:                             ;   in Loop: Header=BB914_16 Depth=2
	v_xor_b32_e32 v21, 0x7fff, v7
	v_lshrrev_b32_sdwa v21, s61, v21 dst_sel:DWORD dst_unused:UNUSED_PAD src0_sel:DWORD src1_sel:WORD_0
	v_and_b32_e32 v21, s62, v21
	v_lshl_or_b32 v21, v21, 4, v63
	ds_add_u32 v21, v89
	s_or_b32 exec_lo, exec_lo, s17
	s_mov_b32 s17, exec_lo
	v_cmpx_gt_u32_e64 s16, v59
	s_cbranch_execz .LBB914_53
.LBB914_69:                             ;   in Loop: Header=BB914_16 Depth=2
	v_xor_b32_e32 v21, 0x7fff, v6
	v_lshrrev_b32_sdwa v21, s61, v21 dst_sel:DWORD dst_unused:UNUSED_PAD src0_sel:DWORD src1_sel:WORD_0
	v_and_b32_e32 v21, s62, v21
	v_lshl_or_b32 v21, v21, 4, v63
	ds_add_u32 v21, v89
	s_or_b32 exec_lo, exec_lo, s17
	s_mov_b32 s17, exec_lo
	v_cmpx_gt_u32_e64 s16, v60
	s_cbranch_execz .LBB914_54
.LBB914_70:                             ;   in Loop: Header=BB914_16 Depth=2
	v_xor_b32_e32 v21, 0x7fff, v5
	v_lshrrev_b32_sdwa v21, s61, v21 dst_sel:DWORD dst_unused:UNUSED_PAD src0_sel:DWORD src1_sel:WORD_0
	v_and_b32_e32 v21, s62, v21
	v_lshl_or_b32 v21, v21, 4, v63
	ds_add_u32 v21, v89
	s_or_b32 exec_lo, exec_lo, s17
	v_cmp_gt_u32_e32 vcc_lo, s16, v61
	s_and_saveexec_b32 s16, vcc_lo
	s_cbranch_execz .LBB914_15
.LBB914_71:                             ;   in Loop: Header=BB914_16 Depth=2
	v_xor_b32_e32 v21, 0x7fff, v3
	v_lshrrev_b32_sdwa v21, s61, v21 dst_sel:DWORD dst_unused:UNUSED_PAD src0_sel:DWORD src1_sel:WORD_0
	v_and_b32_e32 v21, s62, v21
	v_lshl_or_b32 v21, v21, 4, v63
	ds_add_u32 v21, v89
	s_branch .LBB914_15
.LBB914_72:                             ;   in Loop: Header=BB914_16 Depth=2
	global_load_ushort v20, v109, s[16:17]
	s_or_b32 exec_lo, exec_lo, s18
	s_mov_b32 s18, exec_lo
	v_cmpx_gt_u32_e64 s5, v44
	s_cbranch_execz .LBB914_21
.LBB914_73:                             ;   in Loop: Header=BB914_16 Depth=2
	global_load_ushort v19, v109, s[16:17] offset:512
	s_or_b32 exec_lo, exec_lo, s18
	s_mov_b32 s18, exec_lo
	v_cmpx_gt_u32_e64 s5, v47
	s_cbranch_execz .LBB914_22
.LBB914_74:                             ;   in Loop: Header=BB914_16 Depth=2
	global_load_ushort v18, v109, s[16:17] offset:1024
	s_or_b32 exec_lo, exec_lo, s18
	s_mov_b32 s18, exec_lo
	v_cmpx_gt_u32_e64 s5, v48
	s_cbranch_execz .LBB914_23
.LBB914_75:                             ;   in Loop: Header=BB914_16 Depth=2
	global_load_ushort v17, v109, s[16:17] offset:1536
	s_or_b32 exec_lo, exec_lo, s18
	s_mov_b32 s18, exec_lo
	v_cmpx_gt_u32_e64 s5, v49
	s_cbranch_execz .LBB914_24
.LBB914_76:                             ;   in Loop: Header=BB914_16 Depth=2
	global_load_ushort v16, v110, s[16:17]
	s_or_b32 exec_lo, exec_lo, s18
	s_mov_b32 s18, exec_lo
	v_cmpx_gt_u32_e64 s5, v50
	s_cbranch_execz .LBB914_25
.LBB914_77:                             ;   in Loop: Header=BB914_16 Depth=2
	global_load_ushort v15, v111, s[16:17]
	s_or_b32 exec_lo, exec_lo, s18
	s_mov_b32 s18, exec_lo
	v_cmpx_gt_u32_e64 s5, v51
	s_cbranch_execz .LBB914_26
.LBB914_78:                             ;   in Loop: Header=BB914_16 Depth=2
	global_load_ushort v14, v112, s[16:17]
	s_or_b32 exec_lo, exec_lo, s18
	s_mov_b32 s18, exec_lo
	v_cmpx_gt_u32_e64 s5, v52
	s_cbranch_execz .LBB914_27
.LBB914_79:                             ;   in Loop: Header=BB914_16 Depth=2
	global_load_ushort v13, v113, s[16:17]
	s_or_b32 exec_lo, exec_lo, s18
	s_mov_b32 s18, exec_lo
	v_cmpx_gt_u32_e64 s5, v53
	s_cbranch_execz .LBB914_28
.LBB914_80:                             ;   in Loop: Header=BB914_16 Depth=2
	global_load_ushort v12, v114, s[16:17]
	s_or_b32 exec_lo, exec_lo, s18
	s_mov_b32 s18, exec_lo
	v_cmpx_gt_u32_e64 s5, v54
	s_cbranch_execz .LBB914_29
.LBB914_81:                             ;   in Loop: Header=BB914_16 Depth=2
	global_load_ushort v11, v115, s[16:17]
	s_or_b32 exec_lo, exec_lo, s18
	s_mov_b32 s18, exec_lo
	v_cmpx_gt_u32_e64 s5, v55
	s_cbranch_execz .LBB914_30
.LBB914_82:                             ;   in Loop: Header=BB914_16 Depth=2
	global_load_ushort v10, v116, s[16:17]
	s_or_b32 exec_lo, exec_lo, s18
	s_mov_b32 s18, exec_lo
	v_cmpx_gt_u32_e64 s5, v56
	s_cbranch_execz .LBB914_31
.LBB914_83:                             ;   in Loop: Header=BB914_16 Depth=2
	global_load_ushort v9, v117, s[16:17]
	s_or_b32 exec_lo, exec_lo, s18
	s_mov_b32 s18, exec_lo
	v_cmpx_gt_u32_e64 s5, v57
	s_cbranch_execz .LBB914_32
.LBB914_84:                             ;   in Loop: Header=BB914_16 Depth=2
	global_load_ushort v8, v118, s[16:17]
	s_or_b32 exec_lo, exec_lo, s18
	s_mov_b32 s18, exec_lo
	v_cmpx_gt_u32_e64 s5, v58
	s_cbranch_execz .LBB914_33
.LBB914_85:                             ;   in Loop: Header=BB914_16 Depth=2
	global_load_ushort v7, v119, s[16:17]
	s_or_b32 exec_lo, exec_lo, s18
	s_mov_b32 s18, exec_lo
	v_cmpx_gt_u32_e64 s5, v59
	s_cbranch_execz .LBB914_34
.LBB914_86:                             ;   in Loop: Header=BB914_16 Depth=2
	global_load_ushort v6, v120, s[16:17]
	s_or_b32 exec_lo, exec_lo, s18
	s_mov_b32 s18, exec_lo
	v_cmpx_gt_u32_e64 s5, v60
	s_cbranch_execz .LBB914_35
.LBB914_87:                             ;   in Loop: Header=BB914_16 Depth=2
	global_load_ushort v5, v121, s[16:17]
	s_or_b32 exec_lo, exec_lo, s18
	s_mov_b32 s18, exec_lo
	v_cmpx_gt_u32_e64 s5, v61
	s_cbranch_execnz .LBB914_36
	s_branch .LBB914_37
.LBB914_88:                             ;   in Loop: Header=BB914_12 Depth=1
	v_mov_b32_e32 v3, 0
	s_waitcnt lgkmcnt(0)
	s_barrier
	buffer_gl0_inv
	s_and_saveexec_b32 s5, s7
	s_cbranch_execz .LBB914_90
; %bb.89:                               ;   in Loop: Header=BB914_12 Depth=1
	ds_read2_b64 v[5:8], v64 offset1:1
	s_waitcnt lgkmcnt(0)
	v_add_nc_u32_e32 v3, v6, v5
	v_add3_u32 v3, v3, v7, v8
.LBB914_90:                             ;   in Loop: Header=BB914_12 Depth=1
	s_or_b32 exec_lo, exec_lo, s5
	v_mov_b32_dpp v5, v3 row_shr:1 row_mask:0xf bank_mask:0xf
	v_cmp_eq_u32_e64 s5, 0, v90
	v_cmp_lt_u32_e64 s15, 1, v90
	v_cmp_lt_u32_e64 s16, 3, v90
	v_cmp_lt_u32_e64 s17, 7, v90
	v_cmp_eq_u32_e64 s18, 0, v92
	v_cndmask_b32_e64 v5, v5, 0, s5
	v_add_nc_u32_e32 v3, v5, v3
	v_mov_b32_dpp v5, v3 row_shr:2 row_mask:0xf bank_mask:0xf
	v_cndmask_b32_e64 v5, 0, v5, s15
	v_add_nc_u32_e32 v3, v3, v5
	v_mov_b32_dpp v5, v3 row_shr:4 row_mask:0xf bank_mask:0xf
	v_cndmask_b32_e64 v5, 0, v5, s16
	v_add_nc_u32_e32 v3, v3, v5
	v_mov_b32_dpp v5, v3 row_shr:8 row_mask:0xf bank_mask:0xf
	v_cndmask_b32_e64 v5, 0, v5, s17
	v_add_nc_u32_e32 v3, v3, v5
	ds_swizzle_b32 v5, v3 offset:swizzle(BROADCAST,32,15)
	s_waitcnt lgkmcnt(0)
	v_and_b32_e32 v5, v91, v5
	v_add_nc_u32_e32 v3, v3, v5
	s_and_saveexec_b32 s19, s8
; %bb.91:                               ;   in Loop: Header=BB914_12 Depth=1
	ds_write_b32 v65, v3
; %bb.92:                               ;   in Loop: Header=BB914_12 Depth=1
	s_or_b32 exec_lo, exec_lo, s19
	s_waitcnt lgkmcnt(0)
	s_barrier
	buffer_gl0_inv
	s_and_saveexec_b32 s19, s9
	s_cbranch_execz .LBB914_94
; %bb.93:                               ;   in Loop: Header=BB914_12 Depth=1
	ds_read_b32 v5, v66
	v_cmp_ne_u32_e32 vcc_lo, 0, v93
	s_waitcnt lgkmcnt(0)
	v_mov_b32_dpp v6, v5 row_shr:1 row_mask:0xf bank_mask:0xf
	v_cndmask_b32_e32 v6, 0, v6, vcc_lo
	v_cmp_lt_u32_e32 vcc_lo, 1, v93
	v_add_nc_u32_e32 v5, v6, v5
	v_mov_b32_dpp v6, v5 row_shr:2 row_mask:0xf bank_mask:0xf
	v_cndmask_b32_e32 v6, 0, v6, vcc_lo
	v_add_nc_u32_e32 v5, v5, v6
	ds_write_b32 v66, v5
.LBB914_94:                             ;   in Loop: Header=BB914_12 Depth=1
	s_or_b32 exec_lo, exec_lo, s19
	v_mov_b32_e32 v5, 0
	s_waitcnt lgkmcnt(0)
	s_barrier
	buffer_gl0_inv
	s_and_saveexec_b32 s19, s10
; %bb.95:                               ;   in Loop: Header=BB914_12 Depth=1
	ds_read_b32 v5, v67
; %bb.96:                               ;   in Loop: Header=BB914_12 Depth=1
	s_or_b32 exec_lo, exec_lo, s19
	v_cmp_gt_i32_e32 vcc_lo, 0, v95
	s_waitcnt lgkmcnt(0)
	v_add_nc_u32_e32 v3, v5, v3
	s_barrier
	buffer_gl0_inv
	v_cndmask_b32_e32 v6, v95, v86, vcc_lo
	v_lshlrev_b32_e32 v125, 2, v6
	ds_bpermute_b32 v3, v125, v3
	s_and_saveexec_b32 s19, s7
	s_cbranch_execz .LBB914_98
; %bb.97:                               ;   in Loop: Header=BB914_12 Depth=1
	s_waitcnt lgkmcnt(0)
	v_cndmask_b32_e64 v3, v3, v5, s14
	v_add_nc_u32_e32 v3, s58, v3
	ds_write_b32 v43, v3
.LBB914_98:                             ;   in Loop: Header=BB914_12 Depth=1
	s_or_b32 exec_lo, exec_lo, s19
	s_clause 0x1
	s_load_dword s19, s[56:57], 0x4
	s_load_dword s22, s[56:57], 0xc
	v_add_nc_u32_e32 v126, 0x180, v94
	v_add_nc_u32_e32 v127, 0x1a0, v94
	;; [unrolled: 1-line block ×5, first 2 shown]
	s_mov_b32 s63, s60
	s_mov_b32 s50, s58
                                        ; implicit-def: $vgpr7_vgpr8
                                        ; implicit-def: $vgpr9_vgpr10
                                        ; implicit-def: $vgpr11_vgpr12
                                        ; implicit-def: $vgpr13_vgpr14
                                        ; implicit-def: $vgpr15_vgpr16
                                        ; implicit-def: $vgpr19_vgpr20
                                        ; implicit-def: $vgpr23_vgpr24
                                        ; implicit-def: $vgpr27_vgpr28
                                        ; implicit-def: $vgpr17_vgpr18
                                        ; implicit-def: $vgpr21_vgpr22
                                        ; implicit-def: $vgpr25_vgpr26
                                        ; implicit-def: $vgpr29_vgpr30
                                        ; implicit-def: $vgpr31_vgpr32
                                        ; implicit-def: $vgpr33_vgpr34
                                        ; implicit-def: $vgpr35_vgpr36
                                        ; implicit-def: $vgpr37_vgpr38
                                        ; implicit-def: $vgpr134
                                        ; implicit-def: $vgpr135
                                        ; implicit-def: $vgpr136
                                        ; implicit-def: $vgpr137
                                        ; implicit-def: $vgpr138
                                        ; implicit-def: $vgpr139
                                        ; implicit-def: $vgpr140
                                        ; implicit-def: $vgpr141
                                        ; implicit-def: $vgpr142
                                        ; implicit-def: $vgpr143
                                        ; implicit-def: $vgpr144
                                        ; implicit-def: $vgpr145
                                        ; implicit-def: $vgpr146
                                        ; implicit-def: $vgpr147
                                        ; implicit-def: $vgpr148
                                        ; implicit-def: $vgpr150
                                        ; implicit-def: $vgpr151
                                        ; implicit-def: $vgpr149
                                        ; implicit-def: $vgpr152
	s_waitcnt lgkmcnt(0)
	s_cmp_lt_u32 s28, s19
	s_cselect_b32 s19, 14, 20
	s_add_u32 s20, s56, s19
	s_addc_u32 s21, s57, 0
	v_cmp_eq_u32_e64 s19, 0, v96
	global_load_ushort v3, v4, s[20:21]
	s_and_b32 s20, s22, 0xffff
	v_cmp_lt_u32_e64 s21, 3, v96
	s_waitcnt vmcnt(0)
	v_mad_u32_u24 v3, v2, v3, v1
	v_mad_u64_u32 v[5:6], null, v3, s20, v[0:1]
	v_lshlrev_b32_e32 v3, 1, v86
	v_cmp_lt_u32_e64 s20, 1, v96
	v_add_co_u32 v131, vcc_lo, v72, v3
	v_lshrrev_b32_e32 v5, 3, v5
	v_add_co_ci_u32_e64 v132, null, 0, v73, vcc_lo
	v_and_b32_e32 v133, 0x1ffffffc, v5
                                        ; implicit-def: $vgpr5_vgpr6
	s_branch .LBB914_100
.LBB914_99:                             ;   in Loop: Header=BB914_100 Depth=2
	s_or_b32 exec_lo, exec_lo, s22
	s_addk_i32 s63, 0xef00
	s_cmp_lt_u32 s64, s59
	s_mov_b32 s50, s64
	s_cbranch_scc0 .LBB914_322
.LBB914_100:                            ;   Parent Loop BB914_12 Depth=1
                                        ; =>  This Inner Loop Header: Depth=2
	s_add_i32 s64, s50, 0x1100
	s_cmp_gt_u32 s64, s59
	s_cbranch_scc1 .LBB914_102
; %bb.101:                              ;   in Loop: Header=BB914_100 Depth=2
	s_lshl_b64 s[22:23], s[50:51], 1
	v_add_co_u32 v39, vcc_lo, v131, s22
	v_add_co_ci_u32_e64 v40, null, s23, v132, vcc_lo
	s_mov_b32 s22, -1
	s_clause 0xf
	global_load_ushort v154, v[39:40], off
	global_load_ushort v155, v[39:40], off offset:64
	global_load_ushort v158, v[39:40], off offset:128
	;; [unrolled: 1-line block ×15, first 2 shown]
	s_movk_i32 s23, 0x1100
	s_cbranch_execz .LBB914_103
	s_branch .LBB914_136
.LBB914_102:                            ;   in Loop: Header=BB914_100 Depth=2
	s_mov_b32 s22, 0
                                        ; implicit-def: $vgpr154
                                        ; implicit-def: $vgpr155
                                        ; implicit-def: $vgpr158
                                        ; implicit-def: $vgpr162
                                        ; implicit-def: $vgpr167
                                        ; implicit-def: $vgpr172
                                        ; implicit-def: $vgpr177
                                        ; implicit-def: $vgpr182
                                        ; implicit-def: $vgpr187
                                        ; implicit-def: $vgpr185
                                        ; implicit-def: $vgpr180
                                        ; implicit-def: $vgpr175
                                        ; implicit-def: $vgpr171
                                        ; implicit-def: $vgpr166
                                        ; implicit-def: $vgpr42
                                        ; implicit-def: $vgpr41
	s_movk_i32 s23, 0x1100
.LBB914_103:                            ;   in Loop: Header=BB914_100 Depth=2
	s_lshl_b64 s[22:23], s[50:51], 1
	s_waitcnt vmcnt(14)
	v_mov_b32_e32 v155, 0xffff8000
	v_add_co_u32 v39, vcc_lo, v131, s22
	v_add_co_ci_u32_e64 v40, null, s23, v132, vcc_lo
	v_mov_b32_e32 v154, 0xffff8000
	s_mov_b32 s22, exec_lo
	v_cmpx_gt_u32_e64 s63, v94
	s_cbranch_execz .LBB914_105
; %bb.104:                              ;   in Loop: Header=BB914_100 Depth=2
	global_load_ushort v154, v[39:40], off
.LBB914_105:                            ;   in Loop: Header=BB914_100 Depth=2
	s_or_b32 exec_lo, exec_lo, s22
	s_mov_b32 s22, exec_lo
	v_cmpx_gt_u32_e64 s63, v98
	s_cbranch_execz .LBB914_107
; %bb.106:                              ;   in Loop: Header=BB914_100 Depth=2
	global_load_ushort v155, v[39:40], off offset:64
.LBB914_107:                            ;   in Loop: Header=BB914_100 Depth=2
	s_or_b32 exec_lo, exec_lo, s22
	s_waitcnt vmcnt(12)
	v_mov_b32_e32 v162, 0xffff8000
	v_mov_b32_e32 v158, 0xffff8000
	s_mov_b32 s22, exec_lo
	v_cmpx_gt_u32_e64 s63, v99
	s_cbranch_execz .LBB914_109
; %bb.108:                              ;   in Loop: Header=BB914_100 Depth=2
	global_load_ushort v158, v[39:40], off offset:128
.LBB914_109:                            ;   in Loop: Header=BB914_100 Depth=2
	s_or_b32 exec_lo, exec_lo, s22
	s_mov_b32 s22, exec_lo
	v_cmpx_gt_u32_e64 s63, v100
	s_cbranch_execz .LBB914_111
; %bb.110:                              ;   in Loop: Header=BB914_100 Depth=2
	global_load_ushort v162, v[39:40], off offset:192
.LBB914_111:                            ;   in Loop: Header=BB914_100 Depth=2
	s_or_b32 exec_lo, exec_lo, s22
	s_waitcnt vmcnt(10)
	v_mov_b32_e32 v172, 0xffff8000
	v_mov_b32_e32 v167, 0xffff8000
	s_mov_b32 s22, exec_lo
	v_cmpx_gt_u32_e64 s63, v101
	s_cbranch_execz .LBB914_113
; %bb.112:                              ;   in Loop: Header=BB914_100 Depth=2
	global_load_ushort v167, v[39:40], off offset:256
.LBB914_113:                            ;   in Loop: Header=BB914_100 Depth=2
	;; [unrolled: 17-line block ×7, first 2 shown]
	s_or_b32 exec_lo, exec_lo, s22
	s_mov_b32 s22, exec_lo
	v_cmpx_gt_u32_e64 s63, v129
	s_cbranch_execz .LBB914_135
; %bb.134:                              ;   in Loop: Header=BB914_100 Depth=2
	global_load_ushort v41, v[39:40], off offset:960
.LBB914_135:                            ;   in Loop: Header=BB914_100 Depth=2
	s_or_b32 exec_lo, exec_lo, s22
	v_cmp_gt_u32_e64 s22, s63, v130
	s_sub_i32 s23, s59, s50
.LBB914_136:                            ;   in Loop: Header=BB914_100 Depth=2
	v_mov_b32_e32 v3, -1
	v_mov_b32_e32 v153, s63
	s_and_saveexec_b32 s24, s22
	s_cbranch_execz .LBB914_138
; %bb.137:                              ;   in Loop: Header=BB914_100 Depth=2
	s_lshl_b64 s[26:27], s[50:51], 1
	v_mov_b32_e32 v153, s23
	v_add_co_u32 v39, vcc_lo, v131, s26
	v_add_co_ci_u32_e64 v40, null, s27, v132, vcc_lo
	global_load_ushort v3, v[39:40], off offset:1024
	s_waitcnt vmcnt(0)
	v_xor_b32_e32 v3, 0x7fff, v3
.LBB914_138:                            ;   in Loop: Header=BB914_100 Depth=2
	s_or_b32 exec_lo, exec_lo, s24
	s_waitcnt vmcnt(15)
	v_xor_b32_e32 v154, 0x7fff, v154
	ds_write2_b32 v68, v4, v4 offset0:136 offset1:137
	ds_write2_b32 v68, v4, v4 offset0:138 offset1:139
	ds_write_b32 v68, v4 offset:560
	s_waitcnt vmcnt(0) lgkmcnt(0)
	s_barrier
	v_lshrrev_b32_sdwa v39, s61, v154 dst_sel:DWORD dst_unused:UNUSED_PAD src0_sel:DWORD src1_sel:WORD_0
	buffer_gl0_inv
	; wave barrier
	v_and_b32_e32 v40, s62, v39
	v_and_b32_e32 v39, 1, v40
	v_lshlrev_b32_e32 v156, 30, v40
	v_lshlrev_b32_e32 v157, 29, v40
	;; [unrolled: 1-line block ×4, first 2 shown]
	v_add_co_u32 v39, s22, v39, -1
	v_cndmask_b32_e64 v159, 0, 1, s22
	v_not_b32_e32 v164, v156
	v_cmp_gt_i32_e64 s22, 0, v156
	v_not_b32_e32 v156, v157
	v_lshlrev_b32_e32 v163, 26, v40
	v_cmp_ne_u32_e32 vcc_lo, 0, v159
	v_ashrrev_i32_e32 v164, 31, v164
	v_lshlrev_b32_e32 v159, 25, v40
	v_ashrrev_i32_e32 v156, 31, v156
	v_mul_u32_u24_e32 v40, 36, v40
	v_xor_b32_e32 v39, vcc_lo, v39
	v_cmp_gt_i32_e32 vcc_lo, 0, v157
	v_not_b32_e32 v157, v160
	v_xor_b32_e32 v164, s22, v164
	v_cmp_gt_i32_e64 s22, 0, v160
	v_and_b32_e32 v39, exec_lo, v39
	v_not_b32_e32 v160, v161
	v_ashrrev_i32_e32 v157, 31, v157
	v_xor_b32_e32 v156, vcc_lo, v156
	v_cmp_gt_i32_e32 vcc_lo, 0, v161
	v_and_b32_e32 v39, v39, v164
	v_not_b32_e32 v161, v163
	v_ashrrev_i32_e32 v160, 31, v160
	v_xor_b32_e32 v157, s22, v157
	v_cmp_gt_i32_e64 s22, 0, v163
	v_and_b32_e32 v39, v39, v156
	v_not_b32_e32 v156, v159
	v_ashrrev_i32_e32 v161, 31, v161
	v_xor_b32_e32 v160, vcc_lo, v160
	v_cmp_gt_i32_e32 vcc_lo, 0, v159
	v_and_b32_e32 v39, v39, v157
	v_ashrrev_i32_e32 v156, 31, v156
	v_xor_b32_e32 v157, s22, v161
	v_and_b32_e32 v39, v39, v160
	v_xor_b32_e32 v156, vcc_lo, v156
	v_and_b32_e32 v39, v39, v157
	v_add_nc_u32_e32 v157, v133, v40
	v_and_b32_e32 v39, v39, v156
	v_mbcnt_lo_u32_b32 v156, v39, 0
	v_cmp_ne_u32_e64 s22, 0, v39
	v_cmp_eq_u32_e32 vcc_lo, 0, v156
	s_and_b32 s23, s22, vcc_lo
	s_and_saveexec_b32 s22, s23
; %bb.139:                              ;   in Loop: Header=BB914_100 Depth=2
	v_bcnt_u32_b32 v39, v39, 0
	ds_write_b32 v157, v39 offset:544
; %bb.140:                              ;   in Loop: Header=BB914_100 Depth=2
	s_or_b32 exec_lo, exec_lo, s22
	v_xor_b32_e32 v155, 0x7fff, v155
	; wave barrier
	v_lshrrev_b32_sdwa v39, s61, v155 dst_sel:DWORD dst_unused:UNUSED_PAD src0_sel:DWORD src1_sel:WORD_0
	v_and_b32_e32 v40, s62, v39
	v_and_b32_e32 v39, 1, v40
	v_lshlrev_b32_e32 v159, 30, v40
	v_lshlrev_b32_e32 v160, 29, v40
	v_lshlrev_b32_e32 v163, 28, v40
	v_lshlrev_b32_e32 v164, 27, v40
	v_add_co_u32 v39, s22, v39, -1
	v_cndmask_b32_e64 v161, 0, 1, s22
	v_not_b32_e32 v168, v159
	v_cmp_gt_i32_e64 s22, 0, v159
	v_not_b32_e32 v159, v160
	v_lshlrev_b32_e32 v165, 26, v40
	v_cmp_ne_u32_e32 vcc_lo, 0, v161
	v_ashrrev_i32_e32 v168, 31, v168
	v_lshlrev_b32_e32 v161, 25, v40
	v_ashrrev_i32_e32 v159, 31, v159
	v_xor_b32_e32 v39, vcc_lo, v39
	v_cmp_gt_i32_e32 vcc_lo, 0, v160
	v_not_b32_e32 v160, v163
	v_xor_b32_e32 v168, s22, v168
	v_cmp_gt_i32_e64 s22, 0, v163
	v_and_b32_e32 v39, exec_lo, v39
	v_not_b32_e32 v163, v164
	v_ashrrev_i32_e32 v160, 31, v160
	v_xor_b32_e32 v159, vcc_lo, v159
	v_cmp_gt_i32_e32 vcc_lo, 0, v164
	v_and_b32_e32 v39, v39, v168
	v_not_b32_e32 v164, v165
	v_ashrrev_i32_e32 v163, 31, v163
	v_xor_b32_e32 v160, s22, v160
	v_cmp_gt_i32_e64 s22, 0, v165
	v_and_b32_e32 v39, v39, v159
	v_not_b32_e32 v159, v161
	v_ashrrev_i32_e32 v164, 31, v164
	v_xor_b32_e32 v163, vcc_lo, v163
	v_cmp_gt_i32_e32 vcc_lo, 0, v161
	v_and_b32_e32 v39, v39, v160
	v_ashrrev_i32_e32 v159, 31, v159
	v_xor_b32_e32 v160, s22, v164
	v_mad_u32_u24 v161, v40, 36, v133
	v_mul_u32_u24_e32 v40, 36, v40
	v_and_b32_e32 v39, v39, v163
	v_xor_b32_e32 v163, vcc_lo, v159
	ds_read_b32 v159, v161 offset:544
	v_add_nc_u32_e32 v161, v133, v40
	v_and_b32_e32 v39, v39, v160
	; wave barrier
	v_and_b32_e32 v39, v39, v163
	v_mbcnt_lo_u32_b32 v160, v39, 0
	v_cmp_ne_u32_e64 s22, 0, v39
	v_cmp_eq_u32_e32 vcc_lo, 0, v160
	s_and_b32 s23, s22, vcc_lo
	s_and_saveexec_b32 s22, s23
	s_cbranch_execz .LBB914_142
; %bb.141:                              ;   in Loop: Header=BB914_100 Depth=2
	s_waitcnt lgkmcnt(0)
	v_bcnt_u32_b32 v39, v39, v159
	ds_write_b32 v161, v39 offset:544
.LBB914_142:                            ;   in Loop: Header=BB914_100 Depth=2
	s_or_b32 exec_lo, exec_lo, s22
	v_xor_b32_e32 v158, 0x7fff, v158
	; wave barrier
	v_lshrrev_b32_sdwa v39, s61, v158 dst_sel:DWORD dst_unused:UNUSED_PAD src0_sel:DWORD src1_sel:WORD_0
	v_and_b32_e32 v40, s62, v39
	v_and_b32_e32 v39, 1, v40
	v_lshlrev_b32_e32 v163, 30, v40
	v_lshlrev_b32_e32 v164, 29, v40
	v_lshlrev_b32_e32 v168, 28, v40
	v_lshlrev_b32_e32 v169, 27, v40
	v_add_co_u32 v39, s22, v39, -1
	v_cndmask_b32_e64 v165, 0, 1, s22
	v_not_b32_e32 v173, v163
	v_cmp_gt_i32_e64 s22, 0, v163
	v_not_b32_e32 v163, v164
	v_lshlrev_b32_e32 v170, 26, v40
	v_cmp_ne_u32_e32 vcc_lo, 0, v165
	v_ashrrev_i32_e32 v173, 31, v173
	v_lshlrev_b32_e32 v165, 25, v40
	v_ashrrev_i32_e32 v163, 31, v163
	v_xor_b32_e32 v39, vcc_lo, v39
	v_cmp_gt_i32_e32 vcc_lo, 0, v164
	v_not_b32_e32 v164, v168
	v_xor_b32_e32 v173, s22, v173
	v_cmp_gt_i32_e64 s22, 0, v168
	v_and_b32_e32 v39, exec_lo, v39
	v_not_b32_e32 v168, v169
	v_ashrrev_i32_e32 v164, 31, v164
	v_xor_b32_e32 v163, vcc_lo, v163
	v_cmp_gt_i32_e32 vcc_lo, 0, v169
	v_and_b32_e32 v39, v39, v173
	v_not_b32_e32 v169, v170
	v_ashrrev_i32_e32 v168, 31, v168
	v_xor_b32_e32 v164, s22, v164
	v_cmp_gt_i32_e64 s22, 0, v170
	v_and_b32_e32 v39, v39, v163
	v_not_b32_e32 v163, v165
	v_ashrrev_i32_e32 v169, 31, v169
	v_xor_b32_e32 v168, vcc_lo, v168
	v_cmp_gt_i32_e32 vcc_lo, 0, v165
	v_and_b32_e32 v39, v39, v164
	v_ashrrev_i32_e32 v163, 31, v163
	v_xor_b32_e32 v164, s22, v169
	v_mad_u32_u24 v165, v40, 36, v133
	v_mul_u32_u24_e32 v40, 36, v40
	v_and_b32_e32 v39, v39, v168
	v_xor_b32_e32 v168, vcc_lo, v163
	ds_read_b32 v163, v165 offset:544
	v_add_nc_u32_e32 v165, v133, v40
	v_and_b32_e32 v39, v39, v164
	; wave barrier
	v_and_b32_e32 v39, v39, v168
	v_mbcnt_lo_u32_b32 v164, v39, 0
	v_cmp_ne_u32_e64 s22, 0, v39
	v_cmp_eq_u32_e32 vcc_lo, 0, v164
	s_and_b32 s23, s22, vcc_lo
	s_and_saveexec_b32 s22, s23
	s_cbranch_execz .LBB914_144
; %bb.143:                              ;   in Loop: Header=BB914_100 Depth=2
	s_waitcnt lgkmcnt(0)
	v_bcnt_u32_b32 v39, v39, v163
	ds_write_b32 v165, v39 offset:544
.LBB914_144:                            ;   in Loop: Header=BB914_100 Depth=2
	;; [unrolled: 63-line block ×9, first 2 shown]
	s_or_b32 exec_lo, exec_lo, s22
	v_xor_b32_e32 v180, 0x7fff, v180
	; wave barrier
	v_lshrrev_b32_sdwa v39, s61, v180 dst_sel:DWORD dst_unused:UNUSED_PAD src0_sel:DWORD src1_sel:WORD_0
	v_and_b32_e32 v40, s62, v39
	v_and_b32_e32 v39, 1, v40
	v_lshlrev_b32_e32 v197, 30, v40
	v_lshlrev_b32_e32 v198, 29, v40
	;; [unrolled: 1-line block ×4, first 2 shown]
	v_add_co_u32 v39, s22, v39, -1
	v_cndmask_b32_e64 v199, 0, 1, s22
	v_not_b32_e32 v203, v197
	v_cmp_gt_i32_e64 s22, 0, v197
	v_not_b32_e32 v197, v198
	v_lshlrev_b32_e32 v202, 26, v40
	v_cmp_ne_u32_e32 vcc_lo, 0, v199
	v_ashrrev_i32_e32 v203, 31, v203
	v_lshlrev_b32_e32 v199, 25, v40
	v_ashrrev_i32_e32 v197, 31, v197
	v_xor_b32_e32 v39, vcc_lo, v39
	v_cmp_gt_i32_e32 vcc_lo, 0, v198
	v_not_b32_e32 v198, v200
	v_xor_b32_e32 v203, s22, v203
	v_cmp_gt_i32_e64 s22, 0, v200
	v_and_b32_e32 v39, exec_lo, v39
	v_not_b32_e32 v200, v201
	v_ashrrev_i32_e32 v198, 31, v198
	v_xor_b32_e32 v197, vcc_lo, v197
	v_cmp_gt_i32_e32 vcc_lo, 0, v201
	v_and_b32_e32 v39, v39, v203
	v_not_b32_e32 v201, v202
	v_ashrrev_i32_e32 v200, 31, v200
	v_xor_b32_e32 v198, s22, v198
	v_cmp_gt_i32_e64 s22, 0, v202
	v_and_b32_e32 v39, v39, v197
	v_not_b32_e32 v197, v199
	v_ashrrev_i32_e32 v201, 31, v201
	v_xor_b32_e32 v200, vcc_lo, v200
	v_cmp_gt_i32_e32 vcc_lo, 0, v199
	v_and_b32_e32 v39, v39, v198
	v_ashrrev_i32_e32 v197, 31, v197
	v_xor_b32_e32 v198, s22, v201
	v_mad_u32_u24 v199, v40, 36, v133
	v_mul_u32_u24_e32 v40, 36, v40
	v_and_b32_e32 v39, v39, v200
	v_xor_b32_e32 v197, vcc_lo, v197
	v_add_nc_u32_e32 v200, v133, v40
	v_and_b32_e32 v39, v39, v198
	ds_read_b32 v198, v199 offset:544
	; wave barrier
	v_and_b32_e32 v39, v39, v197
	v_mbcnt_lo_u32_b32 v199, v39, 0
	v_cmp_ne_u32_e64 s22, 0, v39
	v_cmp_eq_u32_e32 vcc_lo, 0, v199
	s_and_b32 s23, s22, vcc_lo
	s_and_saveexec_b32 s22, s23
	s_cbranch_execz .LBB914_160
; %bb.159:                              ;   in Loop: Header=BB914_100 Depth=2
	s_waitcnt lgkmcnt(0)
	v_bcnt_u32_b32 v39, v39, v198
	ds_write_b32 v200, v39 offset:544
.LBB914_160:                            ;   in Loop: Header=BB914_100 Depth=2
	s_or_b32 exec_lo, exec_lo, s22
	v_xor_b32_e32 v197, 0x7fff, v175
	; wave barrier
	v_lshrrev_b32_sdwa v39, s61, v197 dst_sel:DWORD dst_unused:UNUSED_PAD src0_sel:DWORD src1_sel:WORD_0
	v_and_b32_e32 v40, s62, v39
	v_and_b32_e32 v39, 1, v40
	v_lshlrev_b32_e32 v175, 30, v40
	v_lshlrev_b32_e32 v201, 29, v40
	v_lshlrev_b32_e32 v203, 28, v40
	v_lshlrev_b32_e32 v204, 27, v40
	v_add_co_u32 v39, s22, v39, -1
	v_cndmask_b32_e64 v202, 0, 1, s22
	v_not_b32_e32 v206, v175
	v_cmp_gt_i32_e64 s22, 0, v175
	v_not_b32_e32 v175, v201
	v_lshlrev_b32_e32 v205, 26, v40
	v_cmp_ne_u32_e32 vcc_lo, 0, v202
	v_ashrrev_i32_e32 v206, 31, v206
	v_lshlrev_b32_e32 v202, 25, v40
	v_ashrrev_i32_e32 v175, 31, v175
	v_xor_b32_e32 v39, vcc_lo, v39
	v_cmp_gt_i32_e32 vcc_lo, 0, v201
	v_not_b32_e32 v201, v203
	v_xor_b32_e32 v206, s22, v206
	v_cmp_gt_i32_e64 s22, 0, v203
	v_and_b32_e32 v39, exec_lo, v39
	v_not_b32_e32 v203, v204
	v_ashrrev_i32_e32 v201, 31, v201
	v_xor_b32_e32 v175, vcc_lo, v175
	v_cmp_gt_i32_e32 vcc_lo, 0, v204
	v_and_b32_e32 v39, v39, v206
	v_not_b32_e32 v204, v205
	v_ashrrev_i32_e32 v203, 31, v203
	v_xor_b32_e32 v201, s22, v201
	v_cmp_gt_i32_e64 s22, 0, v205
	v_and_b32_e32 v39, v39, v175
	v_not_b32_e32 v175, v202
	v_ashrrev_i32_e32 v204, 31, v204
	v_xor_b32_e32 v203, vcc_lo, v203
	v_cmp_gt_i32_e32 vcc_lo, 0, v202
	v_and_b32_e32 v39, v39, v201
	v_ashrrev_i32_e32 v175, 31, v175
	v_xor_b32_e32 v201, s22, v204
	v_mad_u32_u24 v202, v40, 36, v133
	v_mul_u32_u24_e32 v40, 36, v40
	v_and_b32_e32 v39, v39, v203
	v_xor_b32_e32 v175, vcc_lo, v175
	ds_read_b32 v202, v202 offset:544
	v_and_b32_e32 v39, v39, v201
	; wave barrier
	v_and_b32_e32 v39, v39, v175
	v_add_nc_u32_e32 v175, v133, v40
	v_mbcnt_lo_u32_b32 v203, v39, 0
	v_cmp_ne_u32_e64 s22, 0, v39
	v_cmp_eq_u32_e32 vcc_lo, 0, v203
	s_and_b32 s23, s22, vcc_lo
	s_and_saveexec_b32 s22, s23
	s_cbranch_execz .LBB914_162
; %bb.161:                              ;   in Loop: Header=BB914_100 Depth=2
	s_waitcnt lgkmcnt(0)
	v_bcnt_u32_b32 v39, v39, v202
	ds_write_b32 v175, v39 offset:544
.LBB914_162:                            ;   in Loop: Header=BB914_100 Depth=2
	s_or_b32 exec_lo, exec_lo, s22
	v_xor_b32_e32 v201, 0x7fff, v171
	; wave barrier
	v_lshrrev_b32_sdwa v39, s61, v201 dst_sel:DWORD dst_unused:UNUSED_PAD src0_sel:DWORD src1_sel:WORD_0
	v_and_b32_e32 v40, s62, v39
	v_and_b32_e32 v39, 1, v40
	v_lshlrev_b32_e32 v171, 30, v40
	v_lshlrev_b32_e32 v204, 29, v40
	v_lshlrev_b32_e32 v206, 28, v40
	v_lshlrev_b32_e32 v207, 27, v40
	v_add_co_u32 v39, s22, v39, -1
	v_cndmask_b32_e64 v205, 0, 1, s22
	v_not_b32_e32 v209, v171
	v_cmp_gt_i32_e64 s22, 0, v171
	v_not_b32_e32 v171, v204
	v_lshlrev_b32_e32 v208, 26, v40
	v_cmp_ne_u32_e32 vcc_lo, 0, v205
	v_ashrrev_i32_e32 v209, 31, v209
	v_lshlrev_b32_e32 v205, 25, v40
	v_ashrrev_i32_e32 v171, 31, v171
	v_xor_b32_e32 v39, vcc_lo, v39
	v_cmp_gt_i32_e32 vcc_lo, 0, v204
	v_not_b32_e32 v204, v206
	v_xor_b32_e32 v209, s22, v209
	v_cmp_gt_i32_e64 s22, 0, v206
	v_and_b32_e32 v39, exec_lo, v39
	v_not_b32_e32 v206, v207
	v_ashrrev_i32_e32 v204, 31, v204
	v_xor_b32_e32 v171, vcc_lo, v171
	v_cmp_gt_i32_e32 vcc_lo, 0, v207
	v_and_b32_e32 v39, v39, v209
	v_not_b32_e32 v207, v208
	v_ashrrev_i32_e32 v206, 31, v206
	v_xor_b32_e32 v204, s22, v204
	v_cmp_gt_i32_e64 s22, 0, v208
	v_and_b32_e32 v39, v39, v171
	v_not_b32_e32 v171, v205
	v_ashrrev_i32_e32 v207, 31, v207
	v_xor_b32_e32 v206, vcc_lo, v206
	v_cmp_gt_i32_e32 vcc_lo, 0, v205
	v_and_b32_e32 v39, v39, v204
	v_ashrrev_i32_e32 v171, 31, v171
	v_xor_b32_e32 v204, s22, v207
	v_mad_u32_u24 v205, v40, 36, v133
	v_mul_u32_u24_e32 v40, 36, v40
	v_and_b32_e32 v39, v39, v206
	v_xor_b32_e32 v171, vcc_lo, v171
	ds_read_b32 v205, v205 offset:544
	v_and_b32_e32 v39, v39, v204
	; wave barrier
	v_and_b32_e32 v39, v39, v171
	v_add_nc_u32_e32 v171, v133, v40
	;; [unrolled: 63-line block ×3, first 2 shown]
	v_mbcnt_lo_u32_b32 v209, v39, 0
	v_cmp_ne_u32_e64 s22, 0, v39
	v_cmp_eq_u32_e32 vcc_lo, 0, v209
	s_and_b32 s23, s22, vcc_lo
	s_and_saveexec_b32 s22, s23
	s_cbranch_execz .LBB914_166
; %bb.165:                              ;   in Loop: Header=BB914_100 Depth=2
	s_waitcnt lgkmcnt(0)
	v_bcnt_u32_b32 v39, v39, v208
	ds_write_b32 v166, v39 offset:544
.LBB914_166:                            ;   in Loop: Header=BB914_100 Depth=2
	s_or_b32 exec_lo, exec_lo, s22
	v_xor_b32_e32 v207, 0x7fff, v42
	; wave barrier
	v_lshrrev_b32_sdwa v39, s61, v207 dst_sel:DWORD dst_unused:UNUSED_PAD src0_sel:DWORD src1_sel:WORD_0
	v_and_b32_e32 v40, s62, v39
	v_and_b32_e32 v39, 1, v40
	v_lshlrev_b32_e32 v42, 30, v40
	v_lshlrev_b32_e32 v210, 29, v40
	;; [unrolled: 1-line block ×4, first 2 shown]
	v_add_co_u32 v39, s22, v39, -1
	v_cndmask_b32_e64 v211, 0, 1, s22
	v_not_b32_e32 v215, v42
	v_cmp_gt_i32_e64 s22, 0, v42
	v_not_b32_e32 v42, v210
	v_lshlrev_b32_e32 v214, 26, v40
	v_cmp_ne_u32_e32 vcc_lo, 0, v211
	v_ashrrev_i32_e32 v215, 31, v215
	v_lshlrev_b32_e32 v211, 25, v40
	v_ashrrev_i32_e32 v42, 31, v42
	v_xor_b32_e32 v39, vcc_lo, v39
	v_cmp_gt_i32_e32 vcc_lo, 0, v210
	v_not_b32_e32 v210, v212
	v_xor_b32_e32 v215, s22, v215
	v_cmp_gt_i32_e64 s22, 0, v212
	v_and_b32_e32 v39, exec_lo, v39
	v_not_b32_e32 v212, v213
	v_ashrrev_i32_e32 v210, 31, v210
	v_xor_b32_e32 v42, vcc_lo, v42
	v_cmp_gt_i32_e32 vcc_lo, 0, v213
	v_and_b32_e32 v39, v39, v215
	v_not_b32_e32 v213, v214
	v_ashrrev_i32_e32 v212, 31, v212
	v_xor_b32_e32 v210, s22, v210
	v_cmp_gt_i32_e64 s22, 0, v214
	v_and_b32_e32 v39, v39, v42
	v_not_b32_e32 v42, v211
	v_ashrrev_i32_e32 v213, 31, v213
	v_xor_b32_e32 v212, vcc_lo, v212
	v_cmp_gt_i32_e32 vcc_lo, 0, v211
	v_and_b32_e32 v39, v39, v210
	v_ashrrev_i32_e32 v42, 31, v42
	v_xor_b32_e32 v210, s22, v213
	v_mad_u32_u24 v211, v40, 36, v133
	v_mul_u32_u24_e32 v40, 36, v40
	v_and_b32_e32 v39, v39, v212
	v_xor_b32_e32 v42, vcc_lo, v42
	ds_read_b32 v211, v211 offset:544
	v_add_nc_u32_e32 v213, v133, v40
	v_and_b32_e32 v39, v39, v210
	; wave barrier
	v_and_b32_e32 v39, v39, v42
	v_mbcnt_lo_u32_b32 v212, v39, 0
	v_cmp_ne_u32_e64 s22, 0, v39
	v_cmp_eq_u32_e32 vcc_lo, 0, v212
	s_and_b32 s23, s22, vcc_lo
	s_and_saveexec_b32 s22, s23
	s_cbranch_execz .LBB914_168
; %bb.167:                              ;   in Loop: Header=BB914_100 Depth=2
	s_waitcnt lgkmcnt(0)
	v_bcnt_u32_b32 v39, v39, v211
	ds_write_b32 v213, v39 offset:544
.LBB914_168:                            ;   in Loop: Header=BB914_100 Depth=2
	s_or_b32 exec_lo, exec_lo, s22
	v_xor_b32_e32 v210, 0x7fff, v41
	; wave barrier
	v_lshrrev_b32_sdwa v39, s61, v210 dst_sel:DWORD dst_unused:UNUSED_PAD src0_sel:DWORD src1_sel:WORD_0
	v_and_b32_e32 v40, s62, v39
	v_and_b32_e32 v39, 1, v40
	v_lshlrev_b32_e32 v41, 30, v40
	v_lshlrev_b32_e32 v42, 29, v40
	;; [unrolled: 1-line block ×4, first 2 shown]
	v_add_co_u32 v39, s22, v39, -1
	v_cndmask_b32_e64 v214, 0, 1, s22
	v_not_b32_e32 v218, v41
	v_cmp_gt_i32_e64 s22, 0, v41
	v_not_b32_e32 v41, v42
	v_lshlrev_b32_e32 v217, 26, v40
	v_cmp_ne_u32_e32 vcc_lo, 0, v214
	v_ashrrev_i32_e32 v218, 31, v218
	v_lshlrev_b32_e32 v214, 25, v40
	v_ashrrev_i32_e32 v41, 31, v41
	v_xor_b32_e32 v39, vcc_lo, v39
	v_cmp_gt_i32_e32 vcc_lo, 0, v42
	v_not_b32_e32 v42, v215
	v_xor_b32_e32 v218, s22, v218
	v_cmp_gt_i32_e64 s22, 0, v215
	v_and_b32_e32 v39, exec_lo, v39
	v_not_b32_e32 v215, v216
	v_ashrrev_i32_e32 v42, 31, v42
	v_xor_b32_e32 v41, vcc_lo, v41
	v_cmp_gt_i32_e32 vcc_lo, 0, v216
	v_and_b32_e32 v39, v39, v218
	v_not_b32_e32 v216, v217
	v_ashrrev_i32_e32 v215, 31, v215
	v_xor_b32_e32 v42, s22, v42
	v_cmp_gt_i32_e64 s22, 0, v217
	v_and_b32_e32 v39, v39, v41
	v_not_b32_e32 v41, v214
	v_ashrrev_i32_e32 v216, 31, v216
	v_xor_b32_e32 v215, vcc_lo, v215
	v_cmp_gt_i32_e32 vcc_lo, 0, v214
	v_and_b32_e32 v39, v39, v42
	v_ashrrev_i32_e32 v41, 31, v41
	v_xor_b32_e32 v42, s22, v216
	v_mad_u32_u24 v214, v40, 36, v133
	v_mul_u32_u24_e32 v40, 36, v40
	v_and_b32_e32 v39, v39, v215
	v_xor_b32_e32 v41, vcc_lo, v41
	ds_read_b32 v214, v214 offset:544
	v_add_nc_u32_e32 v216, v133, v40
	v_and_b32_e32 v39, v39, v42
	; wave barrier
	v_and_b32_e32 v39, v39, v41
	v_mbcnt_lo_u32_b32 v215, v39, 0
	v_cmp_ne_u32_e64 s22, 0, v39
	v_cmp_eq_u32_e32 vcc_lo, 0, v215
	s_and_b32 s23, s22, vcc_lo
	s_and_saveexec_b32 s22, s23
	s_cbranch_execz .LBB914_170
; %bb.169:                              ;   in Loop: Header=BB914_100 Depth=2
	s_waitcnt lgkmcnt(0)
	v_bcnt_u32_b32 v39, v39, v214
	ds_write_b32 v216, v39 offset:544
.LBB914_170:                            ;   in Loop: Header=BB914_100 Depth=2
	s_or_b32 exec_lo, exec_lo, s22
	v_lshrrev_b32_sdwa v39, s61, v3 dst_sel:DWORD dst_unused:UNUSED_PAD src0_sel:DWORD src1_sel:WORD_0
	; wave barrier
	v_and_b32_e32 v40, s62, v39
	v_and_b32_e32 v39, 1, v40
	v_lshlrev_b32_e32 v41, 30, v40
	v_lshlrev_b32_e32 v42, 29, v40
	;; [unrolled: 1-line block ×4, first 2 shown]
	v_add_co_u32 v39, s22, v39, -1
	v_cndmask_b32_e64 v217, 0, 1, s22
	v_not_b32_e32 v221, v41
	v_cmp_gt_i32_e64 s22, 0, v41
	v_not_b32_e32 v41, v42
	v_lshlrev_b32_e32 v220, 26, v40
	v_cmp_ne_u32_e32 vcc_lo, 0, v217
	v_ashrrev_i32_e32 v221, 31, v221
	v_lshlrev_b32_e32 v217, 25, v40
	v_ashrrev_i32_e32 v41, 31, v41
	v_xor_b32_e32 v39, vcc_lo, v39
	v_cmp_gt_i32_e32 vcc_lo, 0, v42
	v_not_b32_e32 v42, v218
	v_xor_b32_e32 v221, s22, v221
	v_cmp_gt_i32_e64 s22, 0, v218
	v_and_b32_e32 v39, exec_lo, v39
	v_not_b32_e32 v218, v219
	v_ashrrev_i32_e32 v42, 31, v42
	v_xor_b32_e32 v41, vcc_lo, v41
	v_cmp_gt_i32_e32 vcc_lo, 0, v219
	v_and_b32_e32 v39, v39, v221
	v_not_b32_e32 v219, v220
	v_ashrrev_i32_e32 v218, 31, v218
	v_xor_b32_e32 v42, s22, v42
	v_cmp_gt_i32_e64 s22, 0, v220
	v_and_b32_e32 v39, v39, v41
	v_not_b32_e32 v41, v217
	v_ashrrev_i32_e32 v219, 31, v219
	v_xor_b32_e32 v218, vcc_lo, v218
	v_cmp_gt_i32_e32 vcc_lo, 0, v217
	v_and_b32_e32 v39, v39, v42
	v_ashrrev_i32_e32 v41, 31, v41
	v_xor_b32_e32 v42, s22, v219
	v_mad_u32_u24 v217, v40, 36, v133
	v_mul_u32_u24_e32 v40, 36, v40
	v_and_b32_e32 v39, v39, v218
	v_xor_b32_e32 v41, vcc_lo, v41
	ds_read_b32 v217, v217 offset:544
	v_add_nc_u32_e32 v219, v133, v40
	v_and_b32_e32 v39, v39, v42
	; wave barrier
	v_and_b32_e32 v39, v39, v41
	v_mbcnt_lo_u32_b32 v218, v39, 0
	v_cmp_ne_u32_e64 s22, 0, v39
	v_cmp_eq_u32_e32 vcc_lo, 0, v218
	s_and_b32 s23, s22, vcc_lo
	s_and_saveexec_b32 s22, s23
	s_cbranch_execz .LBB914_172
; %bb.171:                              ;   in Loop: Header=BB914_100 Depth=2
	s_waitcnt lgkmcnt(0)
	v_bcnt_u32_b32 v39, v39, v217
	ds_write_b32 v219, v39 offset:544
.LBB914_172:                            ;   in Loop: Header=BB914_100 Depth=2
	s_or_b32 exec_lo, exec_lo, s22
	; wave barrier
	s_waitcnt lgkmcnt(0)
	s_barrier
	buffer_gl0_inv
	ds_read2_b32 v[41:42], v68 offset0:136 offset1:137
	ds_read2_b32 v[39:40], v68 offset0:138 offset1:139
	ds_read_b32 v220, v68 offset:560
	s_waitcnt lgkmcnt(1)
	v_add3_u32 v221, v42, v41, v39
	s_waitcnt lgkmcnt(0)
	v_add3_u32 v220, v221, v40, v220
	v_mov_b32_dpp v221, v220 row_shr:1 row_mask:0xf bank_mask:0xf
	v_cndmask_b32_e64 v221, v221, 0, s5
	v_add_nc_u32_e32 v220, v221, v220
	v_mov_b32_dpp v221, v220 row_shr:2 row_mask:0xf bank_mask:0xf
	v_cndmask_b32_e64 v221, 0, v221, s15
	v_add_nc_u32_e32 v220, v220, v221
	;; [unrolled: 3-line block ×4, first 2 shown]
	ds_swizzle_b32 v221, v220 offset:swizzle(BROADCAST,32,15)
	s_waitcnt lgkmcnt(0)
	v_cndmask_b32_e64 v221, v221, 0, s18
	v_add_nc_u32_e32 v220, v220, v221
	s_and_saveexec_b32 s22, s4
; %bb.173:                              ;   in Loop: Header=BB914_100 Depth=2
	ds_write_b32 v62, v220 offset:512
; %bb.174:                              ;   in Loop: Header=BB914_100 Depth=2
	s_or_b32 exec_lo, exec_lo, s22
	s_waitcnt lgkmcnt(0)
	s_barrier
	buffer_gl0_inv
	s_and_saveexec_b32 s22, s11
	s_cbranch_execz .LBB914_176
; %bb.175:                              ;   in Loop: Header=BB914_100 Depth=2
	ds_read_b32 v221, v69 offset:512
	s_waitcnt lgkmcnt(0)
	v_mov_b32_dpp v222, v221 row_shr:1 row_mask:0xf bank_mask:0xf
	v_cndmask_b32_e64 v222, v222, 0, s19
	v_add_nc_u32_e32 v221, v222, v221
	v_mov_b32_dpp v222, v221 row_shr:2 row_mask:0xf bank_mask:0xf
	v_cndmask_b32_e64 v222, 0, v222, s20
	v_add_nc_u32_e32 v221, v221, v222
	v_mov_b32_dpp v222, v221 row_shr:4 row_mask:0xf bank_mask:0xf
	v_cndmask_b32_e64 v222, 0, v222, s21
	v_add_nc_u32_e32 v221, v221, v222
	ds_write_b32 v69, v221 offset:512
.LBB914_176:                            ;   in Loop: Header=BB914_100 Depth=2
	s_or_b32 exec_lo, exec_lo, s22
	v_mov_b32_e32 v221, 0
	s_waitcnt lgkmcnt(0)
	s_barrier
	buffer_gl0_inv
	s_and_saveexec_b32 s22, s10
; %bb.177:                              ;   in Loop: Header=BB914_100 Depth=2
	ds_read_b32 v221, v62 offset:508
; %bb.178:                              ;   in Loop: Header=BB914_100 Depth=2
	s_or_b32 exec_lo, exec_lo, s22
	s_waitcnt lgkmcnt(0)
	v_add_nc_u32_e32 v220, v221, v220
	ds_bpermute_b32 v220, v125, v220
	s_waitcnt lgkmcnt(0)
	v_cndmask_b32_e64 v220, v220, v221, s14
	v_cndmask_b32_e64 v220, v220, 0, s12
	v_add_nc_u32_e32 v41, v220, v41
	v_add_nc_u32_e32 v42, v41, v42
	;; [unrolled: 1-line block ×4, first 2 shown]
	ds_write2_b32 v68, v220, v41 offset0:136 offset1:137
	ds_write2_b32 v68, v42, v39 offset0:138 offset1:139
	ds_write_b32 v68, v40 offset:560
	s_waitcnt lgkmcnt(0)
	s_barrier
	buffer_gl0_inv
	ds_read_b32 v41, v157 offset:544
	ds_read_b32 v42, v161 offset:544
	;; [unrolled: 1-line block ×17, first 2 shown]
	s_and_saveexec_b32 s22, s7
	s_cbranch_execz .LBB914_182
; %bb.179:                              ;   in Loop: Header=BB914_100 Depth=2
	ds_read_b32 v149, v71 offset:544
	v_mov_b32_e32 v152, 0x1100
	s_and_saveexec_b32 s23, s13
; %bb.180:                              ;   in Loop: Header=BB914_100 Depth=2
	ds_read_b32 v152, v70 offset:544
; %bb.181:                              ;   in Loop: Header=BB914_100 Depth=2
	s_or_b32 exec_lo, exec_lo, s23
	s_waitcnt lgkmcnt(0)
	v_sub_nc_u32_e32 v152, v152, v149
.LBB914_182:                            ;   in Loop: Header=BB914_100 Depth=2
	s_or_b32 exec_lo, exec_lo, s22
	s_waitcnt lgkmcnt(0)
	s_barrier
	buffer_gl0_inv
	s_and_saveexec_b32 s22, s7
	s_cbranch_execz .LBB914_184
; %bb.183:                              ;   in Loop: Header=BB914_100 Depth=2
	ds_read_b32 v166, v43
	s_waitcnt lgkmcnt(0)
	v_sub_nc_u32_e32 v166, v166, v149
	ds_write_b32 v43, v166
.LBB914_184:                            ;   in Loop: Header=BB914_100 Depth=2
	s_or_b32 exec_lo, exec_lo, s22
	v_add_nc_u32_e32 v176, v41, v156
	v_add3_u32 v175, v160, v159, v42
	v_add3_u32 v171, v164, v163, v161
	;; [unrolled: 1-line block ×5, first 2 shown]
	v_lshlrev_b32_e32 v173, 1, v176
	v_lshlrev_b32_e32 v174, 1, v175
	v_add3_u32 v159, v215, v214, v39
	v_lshlrev_b32_e32 v39, 1, v171
	v_add3_u32 v168, v179, v178, v181
	v_add3_u32 v165, v189, v188, v190
	;; [unrolled: 1-line block ×5, first 2 shown]
	ds_write_b16 v173, v154 offset:512
	ds_write_b16 v174, v155 offset:512
	v_lshlrev_b32_e32 v40, 1, v170
	ds_write_b16 v39, v158 offset:512
	v_lshlrev_b32_e32 v39, 1, v166
	v_add3_u32 v163, v195, v194, v196
	v_lshlrev_b32_e32 v154, 1, v169
	v_add3_u32 v161, v199, v198, v200
	;; [unrolled: 2-line block ×3, first 2 shown]
	v_add3_u32 v42, v206, v205, v222
	ds_write_b16 v40, v162 offset:512
	ds_write_b16 v154, v167 offset:512
	;; [unrolled: 1-line block ×3, first 2 shown]
	v_lshlrev_b32_e32 v40, 1, v165
	ds_write_b16 v39, v177 offset:512
	v_lshlrev_b32_e32 v39, 1, v164
	v_lshlrev_b32_e32 v154, 1, v163
	;; [unrolled: 1-line block ×3, first 2 shown]
	v_add3_u32 v41, v209, v208, v223
	ds_write_b16 v40, v182 offset:512
	v_lshlrev_b32_e32 v40, 1, v160
	ds_write_b16 v39, v187 offset:512
	ds_write_b16 v154, v185 offset:512
	;; [unrolled: 1-line block ×3, first 2 shown]
	v_lshlrev_b32_e32 v39, 1, v42
	v_cmp_lt_u32_e32 vcc_lo, v0, v153
	v_lshlrev_b32_e32 v154, 1, v156
	ds_write_b16 v40, v197 offset:512
	v_lshlrev_b32_e32 v40, 1, v41
	ds_write_b16 v39, v201 offset:512
	v_lshlrev_b32_e32 v39, 1, v157
	v_lshlrev_b32_e32 v155, 1, v159
	ds_write_b16 v40, v204 offset:512
	ds_write_b16 v154, v207 offset:512
	;; [unrolled: 1-line block ×4, first 2 shown]
	s_waitcnt lgkmcnt(0)
	s_barrier
	buffer_gl0_inv
	s_and_saveexec_b32 s23, vcc_lo
	s_cbranch_execnz .LBB914_257
; %bb.185:                              ;   in Loop: Header=BB914_100 Depth=2
	s_or_b32 exec_lo, exec_lo, s23
	v_cmp_lt_u32_e64 s22, v44, v153
	s_and_saveexec_b32 s24, s22
	s_cbranch_execnz .LBB914_258
.LBB914_186:                            ;   in Loop: Header=BB914_100 Depth=2
	s_or_b32 exec_lo, exec_lo, s24
	v_cmp_lt_u32_e64 s23, v47, v153
	s_and_saveexec_b32 s25, s23
	s_cbranch_execnz .LBB914_259
.LBB914_187:                            ;   in Loop: Header=BB914_100 Depth=2
	s_or_b32 exec_lo, exec_lo, s25
	v_cmp_lt_u32_e64 s24, v48, v153
	s_and_saveexec_b32 s26, s24
	s_cbranch_execnz .LBB914_260
.LBB914_188:                            ;   in Loop: Header=BB914_100 Depth=2
	s_or_b32 exec_lo, exec_lo, s26
	v_cmp_lt_u32_e64 s25, v49, v153
	s_and_saveexec_b32 s27, s25
	s_cbranch_execnz .LBB914_261
.LBB914_189:                            ;   in Loop: Header=BB914_100 Depth=2
	s_or_b32 exec_lo, exec_lo, s27
	v_cmp_lt_u32_e64 s26, v50, v153
	s_and_saveexec_b32 s29, s26
	s_cbranch_execnz .LBB914_262
.LBB914_190:                            ;   in Loop: Header=BB914_100 Depth=2
	s_or_b32 exec_lo, exec_lo, s29
	v_cmp_lt_u32_e64 s27, v51, v153
	s_and_saveexec_b32 s30, s27
	s_cbranch_execnz .LBB914_263
.LBB914_191:                            ;   in Loop: Header=BB914_100 Depth=2
	s_or_b32 exec_lo, exec_lo, s30
	v_cmp_lt_u32_e64 s29, v52, v153
	s_and_saveexec_b32 s31, s29
	s_cbranch_execnz .LBB914_264
.LBB914_192:                            ;   in Loop: Header=BB914_100 Depth=2
	s_or_b32 exec_lo, exec_lo, s31
	v_cmp_lt_u32_e64 s30, v53, v153
	s_and_saveexec_b32 s33, s30
	s_cbranch_execnz .LBB914_265
.LBB914_193:                            ;   in Loop: Header=BB914_100 Depth=2
	s_or_b32 exec_lo, exec_lo, s33
	v_cmp_lt_u32_e64 s31, v54, v153
	s_and_saveexec_b32 s34, s31
	s_cbranch_execnz .LBB914_266
.LBB914_194:                            ;   in Loop: Header=BB914_100 Depth=2
	s_or_b32 exec_lo, exec_lo, s34
	v_cmp_lt_u32_e64 s33, v55, v153
	s_and_saveexec_b32 s35, s33
	s_cbranch_execnz .LBB914_267
.LBB914_195:                            ;   in Loop: Header=BB914_100 Depth=2
	s_or_b32 exec_lo, exec_lo, s35
	v_cmp_lt_u32_e64 s34, v56, v153
	s_and_saveexec_b32 s36, s34
	s_cbranch_execnz .LBB914_268
.LBB914_196:                            ;   in Loop: Header=BB914_100 Depth=2
	s_or_b32 exec_lo, exec_lo, s36
	v_cmp_lt_u32_e64 s35, v57, v153
	s_and_saveexec_b32 s37, s35
	s_cbranch_execnz .LBB914_269
.LBB914_197:                            ;   in Loop: Header=BB914_100 Depth=2
	s_or_b32 exec_lo, exec_lo, s37
	v_cmp_lt_u32_e64 s36, v58, v153
	s_and_saveexec_b32 s38, s36
	s_cbranch_execnz .LBB914_270
.LBB914_198:                            ;   in Loop: Header=BB914_100 Depth=2
	s_or_b32 exec_lo, exec_lo, s38
	v_cmp_lt_u32_e64 s37, v59, v153
	s_and_saveexec_b32 s39, s37
	s_cbranch_execnz .LBB914_271
.LBB914_199:                            ;   in Loop: Header=BB914_100 Depth=2
	s_or_b32 exec_lo, exec_lo, s39
	v_cmp_lt_u32_e64 s38, v60, v153
	s_and_saveexec_b32 s40, s38
	s_cbranch_execnz .LBB914_272
.LBB914_200:                            ;   in Loop: Header=BB914_100 Depth=2
	s_or_b32 exec_lo, exec_lo, s40
	v_cmp_lt_u32_e64 s39, v61, v153
	s_and_saveexec_b32 s65, s39
	s_cbranch_execz .LBB914_202
.LBB914_201:                            ;   in Loop: Header=BB914_100 Depth=2
	ds_read_u16 v154, v74 offset:8704
	s_waitcnt lgkmcnt(0)
	v_lshrrev_b32_sdwa v3, s61, v154 dst_sel:DWORD dst_unused:UNUSED_PAD src0_sel:DWORD src1_sel:WORD_0
	v_and_b32_e32 v3, s62, v3
	v_lshlrev_b32_e32 v3, 2, v3
	ds_read_b32 v3, v3
	s_waitcnt lgkmcnt(0)
	v_add_nc_u32_e32 v3, v3, v61
	v_lshlrev_b64 v[39:40], 1, v[3:4]
	v_xor_b32_e32 v3, 0x7fff, v154
	v_add_co_u32 v39, s40, s46, v39
	v_add_co_ci_u32_e64 v40, null, s47, v40, s40
	global_store_short v[39:40], v3, off
.LBB914_202:                            ;   in Loop: Header=BB914_100 Depth=2
	s_or_b32 exec_lo, exec_lo, s65
	s_lshl_b64 s[66:67], s[50:51], 3
	v_add_co_u32 v39, s40, v123, s66
	v_add_co_ci_u32_e64 v40, null, s67, v124, s40
	v_cmp_lt_u32_e64 s40, v94, v153
	s_and_saveexec_b32 s50, s40
	s_xor_b32 s40, exec_lo, s50
	s_cbranch_execnz .LBB914_273
; %bb.203:                              ;   in Loop: Header=BB914_100 Depth=2
	s_or_b32 exec_lo, exec_lo, s40
	s_mov_b32 s50, exec_lo
	v_cmpx_lt_u32_e64 v98, v153
	s_cbranch_execnz .LBB914_274
.LBB914_204:                            ;   in Loop: Header=BB914_100 Depth=2
	s_or_b32 exec_lo, exec_lo, s50
	s_mov_b32 s50, exec_lo
	v_cmpx_lt_u32_e64 v99, v153
	s_cbranch_execnz .LBB914_275
.LBB914_205:                            ;   in Loop: Header=BB914_100 Depth=2
	s_or_b32 exec_lo, exec_lo, s50
	s_mov_b32 s50, exec_lo
	v_cmpx_lt_u32_e64 v100, v153
	s_cbranch_execnz .LBB914_276
.LBB914_206:                            ;   in Loop: Header=BB914_100 Depth=2
	s_or_b32 exec_lo, exec_lo, s50
	s_mov_b32 s50, exec_lo
	v_cmpx_lt_u32_e64 v101, v153
	s_cbranch_execnz .LBB914_277
.LBB914_207:                            ;   in Loop: Header=BB914_100 Depth=2
	s_or_b32 exec_lo, exec_lo, s50
	s_mov_b32 s50, exec_lo
	v_cmpx_lt_u32_e64 v102, v153
	s_cbranch_execnz .LBB914_278
.LBB914_208:                            ;   in Loop: Header=BB914_100 Depth=2
	s_or_b32 exec_lo, exec_lo, s50
	s_mov_b32 s50, exec_lo
	v_cmpx_lt_u32_e64 v103, v153
	s_cbranch_execnz .LBB914_279
.LBB914_209:                            ;   in Loop: Header=BB914_100 Depth=2
	s_or_b32 exec_lo, exec_lo, s50
	s_mov_b32 s50, exec_lo
	v_cmpx_lt_u32_e64 v104, v153
	s_cbranch_execnz .LBB914_280
.LBB914_210:                            ;   in Loop: Header=BB914_100 Depth=2
	s_or_b32 exec_lo, exec_lo, s50
	s_mov_b32 s50, exec_lo
	v_cmpx_lt_u32_e64 v105, v153
	s_cbranch_execnz .LBB914_281
.LBB914_211:                            ;   in Loop: Header=BB914_100 Depth=2
	s_or_b32 exec_lo, exec_lo, s50
	s_mov_b32 s50, exec_lo
	v_cmpx_lt_u32_e64 v106, v153
	s_cbranch_execnz .LBB914_282
.LBB914_212:                            ;   in Loop: Header=BB914_100 Depth=2
	s_or_b32 exec_lo, exec_lo, s50
	s_mov_b32 s50, exec_lo
	v_cmpx_lt_u32_e64 v107, v153
	s_cbranch_execnz .LBB914_283
.LBB914_213:                            ;   in Loop: Header=BB914_100 Depth=2
	s_or_b32 exec_lo, exec_lo, s50
	s_mov_b32 s50, exec_lo
	v_cmpx_lt_u32_e64 v108, v153
	s_cbranch_execnz .LBB914_284
.LBB914_214:                            ;   in Loop: Header=BB914_100 Depth=2
	s_or_b32 exec_lo, exec_lo, s50
	s_mov_b32 s50, exec_lo
	v_cmpx_lt_u32_e64 v126, v153
	s_cbranch_execnz .LBB914_285
.LBB914_215:                            ;   in Loop: Header=BB914_100 Depth=2
	s_or_b32 exec_lo, exec_lo, s50
	s_mov_b32 s50, exec_lo
	v_cmpx_lt_u32_e64 v127, v153
	s_cbranch_execnz .LBB914_286
.LBB914_216:                            ;   in Loop: Header=BB914_100 Depth=2
	s_or_b32 exec_lo, exec_lo, s50
	s_mov_b32 s50, exec_lo
	v_cmpx_lt_u32_e64 v128, v153
	s_cbranch_execnz .LBB914_287
.LBB914_217:                            ;   in Loop: Header=BB914_100 Depth=2
	s_or_b32 exec_lo, exec_lo, s50
	s_mov_b32 s50, exec_lo
	v_cmpx_lt_u32_e64 v129, v153
	s_cbranch_execnz .LBB914_288
.LBB914_218:                            ;   in Loop: Header=BB914_100 Depth=2
	s_or_b32 exec_lo, exec_lo, s50
	s_mov_b32 s50, exec_lo
	v_cmpx_lt_u32_e64 v130, v153
	s_cbranch_execnz .LBB914_289
.LBB914_219:                            ;   in Loop: Header=BB914_100 Depth=2
	s_or_b32 exec_lo, exec_lo, s50
	s_and_saveexec_b32 s40, vcc_lo
	s_cbranch_execnz .LBB914_290
.LBB914_220:                            ;   in Loop: Header=BB914_100 Depth=2
	s_or_b32 exec_lo, exec_lo, s40
	s_and_saveexec_b32 s40, s22
	s_cbranch_execnz .LBB914_291
.LBB914_221:                            ;   in Loop: Header=BB914_100 Depth=2
	s_or_b32 exec_lo, exec_lo, s40
	s_and_saveexec_b32 s40, s23
	s_cbranch_execnz .LBB914_292
.LBB914_222:                            ;   in Loop: Header=BB914_100 Depth=2
	s_or_b32 exec_lo, exec_lo, s40
	s_and_saveexec_b32 s40, s24
	s_cbranch_execnz .LBB914_293
.LBB914_223:                            ;   in Loop: Header=BB914_100 Depth=2
	s_or_b32 exec_lo, exec_lo, s40
	s_and_saveexec_b32 s40, s25
	s_cbranch_execnz .LBB914_294
.LBB914_224:                            ;   in Loop: Header=BB914_100 Depth=2
	s_or_b32 exec_lo, exec_lo, s40
	s_and_saveexec_b32 s40, s26
	s_cbranch_execnz .LBB914_295
.LBB914_225:                            ;   in Loop: Header=BB914_100 Depth=2
	s_or_b32 exec_lo, exec_lo, s40
	s_and_saveexec_b32 s40, s27
	s_cbranch_execnz .LBB914_296
.LBB914_226:                            ;   in Loop: Header=BB914_100 Depth=2
	s_or_b32 exec_lo, exec_lo, s40
	s_and_saveexec_b32 s40, s29
	s_cbranch_execnz .LBB914_297
.LBB914_227:                            ;   in Loop: Header=BB914_100 Depth=2
	s_or_b32 exec_lo, exec_lo, s40
	s_and_saveexec_b32 s40, s30
	s_cbranch_execnz .LBB914_298
.LBB914_228:                            ;   in Loop: Header=BB914_100 Depth=2
	s_or_b32 exec_lo, exec_lo, s40
	s_and_saveexec_b32 s40, s31
	s_cbranch_execnz .LBB914_299
.LBB914_229:                            ;   in Loop: Header=BB914_100 Depth=2
	s_or_b32 exec_lo, exec_lo, s40
	s_and_saveexec_b32 s40, s33
	s_cbranch_execnz .LBB914_300
.LBB914_230:                            ;   in Loop: Header=BB914_100 Depth=2
	s_or_b32 exec_lo, exec_lo, s40
	s_and_saveexec_b32 s40, s34
	s_cbranch_execnz .LBB914_301
.LBB914_231:                            ;   in Loop: Header=BB914_100 Depth=2
	s_or_b32 exec_lo, exec_lo, s40
	s_and_saveexec_b32 s40, s35
	s_cbranch_execnz .LBB914_302
.LBB914_232:                            ;   in Loop: Header=BB914_100 Depth=2
	s_or_b32 exec_lo, exec_lo, s40
	s_and_saveexec_b32 s40, s36
	s_cbranch_execnz .LBB914_303
.LBB914_233:                            ;   in Loop: Header=BB914_100 Depth=2
	s_or_b32 exec_lo, exec_lo, s40
	s_and_saveexec_b32 s40, s37
	s_cbranch_execnz .LBB914_304
.LBB914_234:                            ;   in Loop: Header=BB914_100 Depth=2
	s_or_b32 exec_lo, exec_lo, s40
	s_and_saveexec_b32 s40, s38
	s_cbranch_execnz .LBB914_305
.LBB914_235:                            ;   in Loop: Header=BB914_100 Depth=2
	s_or_b32 exec_lo, exec_lo, s40
	s_and_saveexec_b32 s40, s39
	s_cbranch_execz .LBB914_237
.LBB914_236:                            ;   in Loop: Header=BB914_100 Depth=2
	ds_read_u16 v3, v74 offset:8704
	s_waitcnt lgkmcnt(0)
	v_lshrrev_b32_e32 v3, s61, v3
	v_and_b32_e32 v134, s62, v3
.LBB914_237:                            ;   in Loop: Header=BB914_100 Depth=2
	s_or_b32 exec_lo, exec_lo, s40
	v_lshlrev_b32_e32 v3, 3, v176
	v_lshlrev_b32_e32 v39, 3, v175
	s_waitcnt vmcnt(0)
	s_waitcnt_vscnt null, 0x0
	s_barrier
	buffer_gl0_inv
	ds_write_b64 v3, v[37:38] offset:512
	ds_write_b64 v39, v[35:36] offset:512
	v_lshlrev_b32_e32 v3, 3, v171
	v_lshlrev_b32_e32 v39, 3, v170
	v_lshlrev_b32_e32 v40, 3, v169
	v_lshlrev_b32_e32 v153, 3, v168
	v_lshlrev_b32_e32 v154, 3, v166
	ds_write_b64 v3, v[33:34] offset:512
	ds_write_b64 v39, v[31:32] offset:512
	ds_write_b64 v40, v[29:30] offset:512
	ds_write_b64 v153, v[25:26] offset:512
	ds_write_b64 v154, v[21:22] offset:512
	v_lshlrev_b32_e32 v3, 3, v165
	v_lshlrev_b32_e32 v39, 3, v164
	v_lshlrev_b32_e32 v40, 3, v163
	v_lshlrev_b32_e32 v153, 3, v161
	v_lshlrev_b32_e32 v154, 3, v160
	ds_write_b64 v3, v[17:18] offset:512
	ds_write_b64 v39, v[27:28] offset:512
	ds_write_b64 v40, v[23:24] offset:512
	;; [unrolled: 10-line block ×3, first 2 shown]
	ds_write_b64 v41, v[7:8] offset:512
	ds_write_b64 v42, v[5:6] offset:512
	s_waitcnt lgkmcnt(0)
	s_barrier
	buffer_gl0_inv
	s_and_saveexec_b32 s40, vcc_lo
	s_cbranch_execnz .LBB914_306
; %bb.238:                              ;   in Loop: Header=BB914_100 Depth=2
	s_or_b32 exec_lo, exec_lo, s40
	s_and_saveexec_b32 s40, s22
	s_cbranch_execnz .LBB914_307
.LBB914_239:                            ;   in Loop: Header=BB914_100 Depth=2
	s_or_b32 exec_lo, exec_lo, s40
	s_and_saveexec_b32 s22, s23
	s_cbranch_execnz .LBB914_308
.LBB914_240:                            ;   in Loop: Header=BB914_100 Depth=2
	s_or_b32 exec_lo, exec_lo, s22
	s_and_saveexec_b32 s22, s24
	s_cbranch_execnz .LBB914_309
.LBB914_241:                            ;   in Loop: Header=BB914_100 Depth=2
	s_or_b32 exec_lo, exec_lo, s22
	s_and_saveexec_b32 s22, s25
	s_cbranch_execnz .LBB914_310
.LBB914_242:                            ;   in Loop: Header=BB914_100 Depth=2
	s_or_b32 exec_lo, exec_lo, s22
	s_and_saveexec_b32 s22, s26
	s_cbranch_execnz .LBB914_311
.LBB914_243:                            ;   in Loop: Header=BB914_100 Depth=2
	s_or_b32 exec_lo, exec_lo, s22
	s_and_saveexec_b32 s22, s27
	s_cbranch_execnz .LBB914_312
.LBB914_244:                            ;   in Loop: Header=BB914_100 Depth=2
	s_or_b32 exec_lo, exec_lo, s22
	s_and_saveexec_b32 s22, s29
	s_cbranch_execnz .LBB914_313
.LBB914_245:                            ;   in Loop: Header=BB914_100 Depth=2
	s_or_b32 exec_lo, exec_lo, s22
	s_and_saveexec_b32 s22, s30
	s_cbranch_execnz .LBB914_314
.LBB914_246:                            ;   in Loop: Header=BB914_100 Depth=2
	s_or_b32 exec_lo, exec_lo, s22
	s_and_saveexec_b32 s22, s31
	s_cbranch_execnz .LBB914_315
.LBB914_247:                            ;   in Loop: Header=BB914_100 Depth=2
	s_or_b32 exec_lo, exec_lo, s22
	s_and_saveexec_b32 s22, s33
	s_cbranch_execnz .LBB914_316
.LBB914_248:                            ;   in Loop: Header=BB914_100 Depth=2
	s_or_b32 exec_lo, exec_lo, s22
	s_and_saveexec_b32 s22, s34
	s_cbranch_execnz .LBB914_317
.LBB914_249:                            ;   in Loop: Header=BB914_100 Depth=2
	s_or_b32 exec_lo, exec_lo, s22
	s_and_saveexec_b32 s22, s35
	s_cbranch_execnz .LBB914_318
.LBB914_250:                            ;   in Loop: Header=BB914_100 Depth=2
	s_or_b32 exec_lo, exec_lo, s22
	s_and_saveexec_b32 s22, s36
	s_cbranch_execnz .LBB914_319
.LBB914_251:                            ;   in Loop: Header=BB914_100 Depth=2
	s_or_b32 exec_lo, exec_lo, s22
	s_and_saveexec_b32 s22, s37
	s_cbranch_execnz .LBB914_320
.LBB914_252:                            ;   in Loop: Header=BB914_100 Depth=2
	s_or_b32 exec_lo, exec_lo, s22
	s_and_saveexec_b32 s22, s38
	s_cbranch_execnz .LBB914_321
.LBB914_253:                            ;   in Loop: Header=BB914_100 Depth=2
	s_or_b32 exec_lo, exec_lo, s22
	s_and_saveexec_b32 s22, s39
	s_cbranch_execz .LBB914_255
.LBB914_254:                            ;   in Loop: Header=BB914_100 Depth=2
	v_lshlrev_b32_e32 v3, 2, v134
	v_add_nc_u32_e32 v39, v74, v75
	ds_read_b32 v3, v3
	ds_read_b64 v[39:40], v39 offset:33280
	s_waitcnt lgkmcnt(1)
	v_add_nc_u32_e32 v3, v3, v61
	v_lshlrev_b64 v[41:42], 3, v[3:4]
	v_add_co_u32 v41, vcc_lo, s52, v41
	v_add_co_ci_u32_e64 v42, null, s53, v42, vcc_lo
	s_waitcnt lgkmcnt(0)
	global_store_dwordx2 v[41:42], v[39:40], off
.LBB914_255:                            ;   in Loop: Header=BB914_100 Depth=2
	s_or_b32 exec_lo, exec_lo, s22
	s_waitcnt_vscnt null, 0x0
	s_barrier
	buffer_gl0_inv
	s_and_saveexec_b32 s22, s7
	s_cbranch_execz .LBB914_99
; %bb.256:                              ;   in Loop: Header=BB914_100 Depth=2
	ds_read_b32 v3, v43
	s_waitcnt lgkmcnt(0)
	v_add3_u32 v3, v149, v152, v3
	ds_write_b32 v43, v3
	s_branch .LBB914_99
.LBB914_257:                            ;   in Loop: Header=BB914_100 Depth=2
	ds_read_u16 v154, v74 offset:512
	s_waitcnt lgkmcnt(0)
	v_lshrrev_b32_sdwa v3, s61, v154 dst_sel:DWORD dst_unused:UNUSED_PAD src0_sel:DWORD src1_sel:WORD_0
	v_and_b32_e32 v3, s62, v3
	v_lshlrev_b32_e32 v3, 2, v3
	ds_read_b32 v3, v3
	s_waitcnt lgkmcnt(0)
	v_add_nc_u32_e32 v3, v3, v0
	v_lshlrev_b64 v[39:40], 1, v[3:4]
	v_xor_b32_e32 v3, 0x7fff, v154
	v_add_co_u32 v39, s22, s46, v39
	v_add_co_ci_u32_e64 v40, null, s47, v40, s22
	global_store_short v[39:40], v3, off
	s_or_b32 exec_lo, exec_lo, s23
	v_cmp_lt_u32_e64 s22, v44, v153
	s_and_saveexec_b32 s24, s22
	s_cbranch_execz .LBB914_186
.LBB914_258:                            ;   in Loop: Header=BB914_100 Depth=2
	ds_read_u16 v154, v74 offset:1024
	s_waitcnt lgkmcnt(0)
	v_lshrrev_b32_sdwa v3, s61, v154 dst_sel:DWORD dst_unused:UNUSED_PAD src0_sel:DWORD src1_sel:WORD_0
	v_and_b32_e32 v3, s62, v3
	v_lshlrev_b32_e32 v3, 2, v3
	ds_read_b32 v3, v3
	s_waitcnt lgkmcnt(0)
	v_add_nc_u32_e32 v3, v3, v44
	v_lshlrev_b64 v[39:40], 1, v[3:4]
	v_xor_b32_e32 v3, 0x7fff, v154
	v_add_co_u32 v39, s23, s46, v39
	v_add_co_ci_u32_e64 v40, null, s47, v40, s23
	global_store_short v[39:40], v3, off
	s_or_b32 exec_lo, exec_lo, s24
	v_cmp_lt_u32_e64 s23, v47, v153
	s_and_saveexec_b32 s25, s23
	s_cbranch_execz .LBB914_187
.LBB914_259:                            ;   in Loop: Header=BB914_100 Depth=2
	ds_read_u16 v154, v74 offset:1536
	s_waitcnt lgkmcnt(0)
	v_lshrrev_b32_sdwa v3, s61, v154 dst_sel:DWORD dst_unused:UNUSED_PAD src0_sel:DWORD src1_sel:WORD_0
	v_and_b32_e32 v3, s62, v3
	v_lshlrev_b32_e32 v3, 2, v3
	ds_read_b32 v3, v3
	s_waitcnt lgkmcnt(0)
	v_add_nc_u32_e32 v3, v3, v47
	v_lshlrev_b64 v[39:40], 1, v[3:4]
	v_xor_b32_e32 v3, 0x7fff, v154
	v_add_co_u32 v39, s24, s46, v39
	v_add_co_ci_u32_e64 v40, null, s47, v40, s24
	global_store_short v[39:40], v3, off
	s_or_b32 exec_lo, exec_lo, s25
	v_cmp_lt_u32_e64 s24, v48, v153
	s_and_saveexec_b32 s26, s24
	s_cbranch_execz .LBB914_188
.LBB914_260:                            ;   in Loop: Header=BB914_100 Depth=2
	ds_read_u16 v154, v74 offset:2048
	s_waitcnt lgkmcnt(0)
	v_lshrrev_b32_sdwa v3, s61, v154 dst_sel:DWORD dst_unused:UNUSED_PAD src0_sel:DWORD src1_sel:WORD_0
	v_and_b32_e32 v3, s62, v3
	v_lshlrev_b32_e32 v3, 2, v3
	ds_read_b32 v3, v3
	s_waitcnt lgkmcnt(0)
	v_add_nc_u32_e32 v3, v3, v48
	v_lshlrev_b64 v[39:40], 1, v[3:4]
	v_xor_b32_e32 v3, 0x7fff, v154
	v_add_co_u32 v39, s25, s46, v39
	v_add_co_ci_u32_e64 v40, null, s47, v40, s25
	global_store_short v[39:40], v3, off
	s_or_b32 exec_lo, exec_lo, s26
	v_cmp_lt_u32_e64 s25, v49, v153
	s_and_saveexec_b32 s27, s25
	s_cbranch_execz .LBB914_189
.LBB914_261:                            ;   in Loop: Header=BB914_100 Depth=2
	ds_read_u16 v154, v74 offset:2560
	s_waitcnt lgkmcnt(0)
	v_lshrrev_b32_sdwa v3, s61, v154 dst_sel:DWORD dst_unused:UNUSED_PAD src0_sel:DWORD src1_sel:WORD_0
	v_and_b32_e32 v3, s62, v3
	v_lshlrev_b32_e32 v3, 2, v3
	ds_read_b32 v3, v3
	s_waitcnt lgkmcnt(0)
	v_add_nc_u32_e32 v3, v3, v49
	v_lshlrev_b64 v[39:40], 1, v[3:4]
	v_xor_b32_e32 v3, 0x7fff, v154
	v_add_co_u32 v39, s26, s46, v39
	v_add_co_ci_u32_e64 v40, null, s47, v40, s26
	global_store_short v[39:40], v3, off
	s_or_b32 exec_lo, exec_lo, s27
	v_cmp_lt_u32_e64 s26, v50, v153
	s_and_saveexec_b32 s29, s26
	s_cbranch_execz .LBB914_190
.LBB914_262:                            ;   in Loop: Header=BB914_100 Depth=2
	ds_read_u16 v154, v74 offset:3072
	s_waitcnt lgkmcnt(0)
	v_lshrrev_b32_sdwa v3, s61, v154 dst_sel:DWORD dst_unused:UNUSED_PAD src0_sel:DWORD src1_sel:WORD_0
	v_and_b32_e32 v3, s62, v3
	v_lshlrev_b32_e32 v3, 2, v3
	ds_read_b32 v3, v3
	s_waitcnt lgkmcnt(0)
	v_add_nc_u32_e32 v3, v3, v50
	v_lshlrev_b64 v[39:40], 1, v[3:4]
	v_xor_b32_e32 v3, 0x7fff, v154
	v_add_co_u32 v39, s27, s46, v39
	v_add_co_ci_u32_e64 v40, null, s47, v40, s27
	global_store_short v[39:40], v3, off
	s_or_b32 exec_lo, exec_lo, s29
	v_cmp_lt_u32_e64 s27, v51, v153
	s_and_saveexec_b32 s30, s27
	s_cbranch_execz .LBB914_191
.LBB914_263:                            ;   in Loop: Header=BB914_100 Depth=2
	ds_read_u16 v154, v74 offset:3584
	s_waitcnt lgkmcnt(0)
	v_lshrrev_b32_sdwa v3, s61, v154 dst_sel:DWORD dst_unused:UNUSED_PAD src0_sel:DWORD src1_sel:WORD_0
	v_and_b32_e32 v3, s62, v3
	v_lshlrev_b32_e32 v3, 2, v3
	ds_read_b32 v3, v3
	s_waitcnt lgkmcnt(0)
	v_add_nc_u32_e32 v3, v3, v51
	v_lshlrev_b64 v[39:40], 1, v[3:4]
	v_xor_b32_e32 v3, 0x7fff, v154
	v_add_co_u32 v39, s29, s46, v39
	v_add_co_ci_u32_e64 v40, null, s47, v40, s29
	global_store_short v[39:40], v3, off
	s_or_b32 exec_lo, exec_lo, s30
	v_cmp_lt_u32_e64 s29, v52, v153
	s_and_saveexec_b32 s31, s29
	s_cbranch_execz .LBB914_192
.LBB914_264:                            ;   in Loop: Header=BB914_100 Depth=2
	ds_read_u16 v154, v74 offset:4096
	s_waitcnt lgkmcnt(0)
	v_lshrrev_b32_sdwa v3, s61, v154 dst_sel:DWORD dst_unused:UNUSED_PAD src0_sel:DWORD src1_sel:WORD_0
	v_and_b32_e32 v3, s62, v3
	v_lshlrev_b32_e32 v3, 2, v3
	ds_read_b32 v3, v3
	s_waitcnt lgkmcnt(0)
	v_add_nc_u32_e32 v3, v3, v52
	v_lshlrev_b64 v[39:40], 1, v[3:4]
	v_xor_b32_e32 v3, 0x7fff, v154
	v_add_co_u32 v39, s30, s46, v39
	v_add_co_ci_u32_e64 v40, null, s47, v40, s30
	global_store_short v[39:40], v3, off
	s_or_b32 exec_lo, exec_lo, s31
	v_cmp_lt_u32_e64 s30, v53, v153
	s_and_saveexec_b32 s33, s30
	s_cbranch_execz .LBB914_193
.LBB914_265:                            ;   in Loop: Header=BB914_100 Depth=2
	ds_read_u16 v154, v74 offset:4608
	s_waitcnt lgkmcnt(0)
	v_lshrrev_b32_sdwa v3, s61, v154 dst_sel:DWORD dst_unused:UNUSED_PAD src0_sel:DWORD src1_sel:WORD_0
	v_and_b32_e32 v3, s62, v3
	v_lshlrev_b32_e32 v3, 2, v3
	ds_read_b32 v3, v3
	s_waitcnt lgkmcnt(0)
	v_add_nc_u32_e32 v3, v3, v53
	v_lshlrev_b64 v[39:40], 1, v[3:4]
	v_xor_b32_e32 v3, 0x7fff, v154
	v_add_co_u32 v39, s31, s46, v39
	v_add_co_ci_u32_e64 v40, null, s47, v40, s31
	global_store_short v[39:40], v3, off
	s_or_b32 exec_lo, exec_lo, s33
	v_cmp_lt_u32_e64 s31, v54, v153
	s_and_saveexec_b32 s34, s31
	s_cbranch_execz .LBB914_194
.LBB914_266:                            ;   in Loop: Header=BB914_100 Depth=2
	ds_read_u16 v154, v74 offset:5120
	s_waitcnt lgkmcnt(0)
	v_lshrrev_b32_sdwa v3, s61, v154 dst_sel:DWORD dst_unused:UNUSED_PAD src0_sel:DWORD src1_sel:WORD_0
	v_and_b32_e32 v3, s62, v3
	v_lshlrev_b32_e32 v3, 2, v3
	ds_read_b32 v3, v3
	s_waitcnt lgkmcnt(0)
	v_add_nc_u32_e32 v3, v3, v54
	v_lshlrev_b64 v[39:40], 1, v[3:4]
	v_xor_b32_e32 v3, 0x7fff, v154
	v_add_co_u32 v39, s33, s46, v39
	v_add_co_ci_u32_e64 v40, null, s47, v40, s33
	global_store_short v[39:40], v3, off
	s_or_b32 exec_lo, exec_lo, s34
	v_cmp_lt_u32_e64 s33, v55, v153
	s_and_saveexec_b32 s35, s33
	s_cbranch_execz .LBB914_195
.LBB914_267:                            ;   in Loop: Header=BB914_100 Depth=2
	ds_read_u16 v154, v74 offset:5632
	s_waitcnt lgkmcnt(0)
	v_lshrrev_b32_sdwa v3, s61, v154 dst_sel:DWORD dst_unused:UNUSED_PAD src0_sel:DWORD src1_sel:WORD_0
	v_and_b32_e32 v3, s62, v3
	v_lshlrev_b32_e32 v3, 2, v3
	ds_read_b32 v3, v3
	s_waitcnt lgkmcnt(0)
	v_add_nc_u32_e32 v3, v3, v55
	v_lshlrev_b64 v[39:40], 1, v[3:4]
	v_xor_b32_e32 v3, 0x7fff, v154
	v_add_co_u32 v39, s34, s46, v39
	v_add_co_ci_u32_e64 v40, null, s47, v40, s34
	global_store_short v[39:40], v3, off
	s_or_b32 exec_lo, exec_lo, s35
	v_cmp_lt_u32_e64 s34, v56, v153
	s_and_saveexec_b32 s36, s34
	s_cbranch_execz .LBB914_196
.LBB914_268:                            ;   in Loop: Header=BB914_100 Depth=2
	ds_read_u16 v154, v74 offset:6144
	s_waitcnt lgkmcnt(0)
	v_lshrrev_b32_sdwa v3, s61, v154 dst_sel:DWORD dst_unused:UNUSED_PAD src0_sel:DWORD src1_sel:WORD_0
	v_and_b32_e32 v3, s62, v3
	v_lshlrev_b32_e32 v3, 2, v3
	ds_read_b32 v3, v3
	s_waitcnt lgkmcnt(0)
	v_add_nc_u32_e32 v3, v3, v56
	v_lshlrev_b64 v[39:40], 1, v[3:4]
	v_xor_b32_e32 v3, 0x7fff, v154
	v_add_co_u32 v39, s35, s46, v39
	v_add_co_ci_u32_e64 v40, null, s47, v40, s35
	global_store_short v[39:40], v3, off
	s_or_b32 exec_lo, exec_lo, s36
	v_cmp_lt_u32_e64 s35, v57, v153
	s_and_saveexec_b32 s37, s35
	s_cbranch_execz .LBB914_197
.LBB914_269:                            ;   in Loop: Header=BB914_100 Depth=2
	ds_read_u16 v154, v74 offset:6656
	s_waitcnt lgkmcnt(0)
	v_lshrrev_b32_sdwa v3, s61, v154 dst_sel:DWORD dst_unused:UNUSED_PAD src0_sel:DWORD src1_sel:WORD_0
	v_and_b32_e32 v3, s62, v3
	v_lshlrev_b32_e32 v3, 2, v3
	ds_read_b32 v3, v3
	s_waitcnt lgkmcnt(0)
	v_add_nc_u32_e32 v3, v3, v57
	v_lshlrev_b64 v[39:40], 1, v[3:4]
	v_xor_b32_e32 v3, 0x7fff, v154
	v_add_co_u32 v39, s36, s46, v39
	v_add_co_ci_u32_e64 v40, null, s47, v40, s36
	global_store_short v[39:40], v3, off
	s_or_b32 exec_lo, exec_lo, s37
	v_cmp_lt_u32_e64 s36, v58, v153
	s_and_saveexec_b32 s38, s36
	s_cbranch_execz .LBB914_198
.LBB914_270:                            ;   in Loop: Header=BB914_100 Depth=2
	ds_read_u16 v154, v74 offset:7168
	s_waitcnt lgkmcnt(0)
	v_lshrrev_b32_sdwa v3, s61, v154 dst_sel:DWORD dst_unused:UNUSED_PAD src0_sel:DWORD src1_sel:WORD_0
	v_and_b32_e32 v3, s62, v3
	v_lshlrev_b32_e32 v3, 2, v3
	ds_read_b32 v3, v3
	s_waitcnt lgkmcnt(0)
	v_add_nc_u32_e32 v3, v3, v58
	v_lshlrev_b64 v[39:40], 1, v[3:4]
	v_xor_b32_e32 v3, 0x7fff, v154
	v_add_co_u32 v39, s37, s46, v39
	v_add_co_ci_u32_e64 v40, null, s47, v40, s37
	global_store_short v[39:40], v3, off
	s_or_b32 exec_lo, exec_lo, s38
	v_cmp_lt_u32_e64 s37, v59, v153
	s_and_saveexec_b32 s39, s37
	s_cbranch_execz .LBB914_199
.LBB914_271:                            ;   in Loop: Header=BB914_100 Depth=2
	ds_read_u16 v154, v74 offset:7680
	s_waitcnt lgkmcnt(0)
	v_lshrrev_b32_sdwa v3, s61, v154 dst_sel:DWORD dst_unused:UNUSED_PAD src0_sel:DWORD src1_sel:WORD_0
	v_and_b32_e32 v3, s62, v3
	v_lshlrev_b32_e32 v3, 2, v3
	ds_read_b32 v3, v3
	s_waitcnt lgkmcnt(0)
	v_add_nc_u32_e32 v3, v3, v59
	v_lshlrev_b64 v[39:40], 1, v[3:4]
	v_xor_b32_e32 v3, 0x7fff, v154
	v_add_co_u32 v39, s38, s46, v39
	v_add_co_ci_u32_e64 v40, null, s47, v40, s38
	global_store_short v[39:40], v3, off
	s_or_b32 exec_lo, exec_lo, s39
	v_cmp_lt_u32_e64 s38, v60, v153
	s_and_saveexec_b32 s40, s38
	s_cbranch_execz .LBB914_200
.LBB914_272:                            ;   in Loop: Header=BB914_100 Depth=2
	ds_read_u16 v154, v74 offset:8192
	s_waitcnt lgkmcnt(0)
	v_lshrrev_b32_sdwa v3, s61, v154 dst_sel:DWORD dst_unused:UNUSED_PAD src0_sel:DWORD src1_sel:WORD_0
	v_and_b32_e32 v3, s62, v3
	v_lshlrev_b32_e32 v3, 2, v3
	ds_read_b32 v3, v3
	s_waitcnt lgkmcnt(0)
	v_add_nc_u32_e32 v3, v3, v60
	v_lshlrev_b64 v[39:40], 1, v[3:4]
	v_xor_b32_e32 v3, 0x7fff, v154
	v_add_co_u32 v39, s39, s46, v39
	v_add_co_ci_u32_e64 v40, null, s47, v40, s39
	global_store_short v[39:40], v3, off
	s_or_b32 exec_lo, exec_lo, s40
	v_cmp_lt_u32_e64 s39, v61, v153
	s_and_saveexec_b32 s65, s39
	s_cbranch_execnz .LBB914_201
	s_branch .LBB914_202
.LBB914_273:                            ;   in Loop: Header=BB914_100 Depth=2
	global_load_dwordx2 v[37:38], v[39:40], off
	s_or_b32 exec_lo, exec_lo, s40
	s_mov_b32 s50, exec_lo
	v_cmpx_lt_u32_e64 v98, v153
	s_cbranch_execz .LBB914_204
.LBB914_274:                            ;   in Loop: Header=BB914_100 Depth=2
	global_load_dwordx2 v[35:36], v[39:40], off offset:256
	s_or_b32 exec_lo, exec_lo, s50
	s_mov_b32 s50, exec_lo
	v_cmpx_lt_u32_e64 v99, v153
	s_cbranch_execz .LBB914_205
.LBB914_275:                            ;   in Loop: Header=BB914_100 Depth=2
	global_load_dwordx2 v[33:34], v[39:40], off offset:512
	s_or_b32 exec_lo, exec_lo, s50
	s_mov_b32 s50, exec_lo
	v_cmpx_lt_u32_e64 v100, v153
	s_cbranch_execz .LBB914_206
.LBB914_276:                            ;   in Loop: Header=BB914_100 Depth=2
	global_load_dwordx2 v[31:32], v[39:40], off offset:768
	s_or_b32 exec_lo, exec_lo, s50
	s_mov_b32 s50, exec_lo
	v_cmpx_lt_u32_e64 v101, v153
	s_cbranch_execz .LBB914_207
.LBB914_277:                            ;   in Loop: Header=BB914_100 Depth=2
	global_load_dwordx2 v[29:30], v[39:40], off offset:1024
	s_or_b32 exec_lo, exec_lo, s50
	s_mov_b32 s50, exec_lo
	v_cmpx_lt_u32_e64 v102, v153
	s_cbranch_execz .LBB914_208
.LBB914_278:                            ;   in Loop: Header=BB914_100 Depth=2
	global_load_dwordx2 v[25:26], v[39:40], off offset:1280
	s_or_b32 exec_lo, exec_lo, s50
	s_mov_b32 s50, exec_lo
	v_cmpx_lt_u32_e64 v103, v153
	s_cbranch_execz .LBB914_209
.LBB914_279:                            ;   in Loop: Header=BB914_100 Depth=2
	global_load_dwordx2 v[21:22], v[39:40], off offset:1536
	s_or_b32 exec_lo, exec_lo, s50
	s_mov_b32 s50, exec_lo
	v_cmpx_lt_u32_e64 v104, v153
	s_cbranch_execz .LBB914_210
.LBB914_280:                            ;   in Loop: Header=BB914_100 Depth=2
	global_load_dwordx2 v[17:18], v[39:40], off offset:1792
	s_or_b32 exec_lo, exec_lo, s50
	s_mov_b32 s50, exec_lo
	v_cmpx_lt_u32_e64 v105, v153
	s_cbranch_execz .LBB914_211
.LBB914_281:                            ;   in Loop: Header=BB914_100 Depth=2
	v_add_co_u32 v27, s40, 0x800, v39
	v_add_co_ci_u32_e64 v28, null, 0, v40, s40
	global_load_dwordx2 v[27:28], v[27:28], off
	s_or_b32 exec_lo, exec_lo, s50
	s_mov_b32 s50, exec_lo
	v_cmpx_lt_u32_e64 v106, v153
	s_cbranch_execz .LBB914_212
.LBB914_282:                            ;   in Loop: Header=BB914_100 Depth=2
	v_add_co_u32 v23, s40, 0x800, v39
	v_add_co_ci_u32_e64 v24, null, 0, v40, s40
	global_load_dwordx2 v[23:24], v[23:24], off offset:256
	s_or_b32 exec_lo, exec_lo, s50
	s_mov_b32 s50, exec_lo
	v_cmpx_lt_u32_e64 v107, v153
	s_cbranch_execz .LBB914_213
.LBB914_283:                            ;   in Loop: Header=BB914_100 Depth=2
	v_add_co_u32 v19, s40, 0x800, v39
	v_add_co_ci_u32_e64 v20, null, 0, v40, s40
	global_load_dwordx2 v[19:20], v[19:20], off offset:512
	s_or_b32 exec_lo, exec_lo, s50
	s_mov_b32 s50, exec_lo
	v_cmpx_lt_u32_e64 v108, v153
	s_cbranch_execz .LBB914_214
.LBB914_284:                            ;   in Loop: Header=BB914_100 Depth=2
	v_add_co_u32 v15, s40, 0x800, v39
	v_add_co_ci_u32_e64 v16, null, 0, v40, s40
	global_load_dwordx2 v[15:16], v[15:16], off offset:768
	s_or_b32 exec_lo, exec_lo, s50
	s_mov_b32 s50, exec_lo
	v_cmpx_lt_u32_e64 v126, v153
	s_cbranch_execz .LBB914_215
.LBB914_285:                            ;   in Loop: Header=BB914_100 Depth=2
	v_add_co_u32 v13, s40, 0x800, v39
	v_add_co_ci_u32_e64 v14, null, 0, v40, s40
	global_load_dwordx2 v[13:14], v[13:14], off offset:1024
	s_or_b32 exec_lo, exec_lo, s50
	s_mov_b32 s50, exec_lo
	v_cmpx_lt_u32_e64 v127, v153
	s_cbranch_execz .LBB914_216
.LBB914_286:                            ;   in Loop: Header=BB914_100 Depth=2
	v_add_co_u32 v11, s40, 0x800, v39
	v_add_co_ci_u32_e64 v12, null, 0, v40, s40
	global_load_dwordx2 v[11:12], v[11:12], off offset:1280
	s_or_b32 exec_lo, exec_lo, s50
	s_mov_b32 s50, exec_lo
	v_cmpx_lt_u32_e64 v128, v153
	s_cbranch_execz .LBB914_217
.LBB914_287:                            ;   in Loop: Header=BB914_100 Depth=2
	v_add_co_u32 v9, s40, 0x800, v39
	v_add_co_ci_u32_e64 v10, null, 0, v40, s40
	global_load_dwordx2 v[9:10], v[9:10], off offset:1536
	s_or_b32 exec_lo, exec_lo, s50
	s_mov_b32 s50, exec_lo
	v_cmpx_lt_u32_e64 v129, v153
	s_cbranch_execz .LBB914_218
.LBB914_288:                            ;   in Loop: Header=BB914_100 Depth=2
	v_add_co_u32 v7, s40, 0x800, v39
	v_add_co_ci_u32_e64 v8, null, 0, v40, s40
	global_load_dwordx2 v[7:8], v[7:8], off offset:1792
	s_or_b32 exec_lo, exec_lo, s50
	s_mov_b32 s50, exec_lo
	v_cmpx_lt_u32_e64 v130, v153
	s_cbranch_execz .LBB914_219
.LBB914_289:                            ;   in Loop: Header=BB914_100 Depth=2
	v_add_co_u32 v5, s40, 0x1000, v39
	v_add_co_ci_u32_e64 v6, null, 0, v40, s40
	global_load_dwordx2 v[5:6], v[5:6], off
	s_or_b32 exec_lo, exec_lo, s50
	s_and_saveexec_b32 s40, vcc_lo
	s_cbranch_execz .LBB914_220
.LBB914_290:                            ;   in Loop: Header=BB914_100 Depth=2
	ds_read_u16 v3, v74 offset:512
	s_waitcnt lgkmcnt(0)
	v_lshrrev_b32_e32 v3, s61, v3
	v_and_b32_e32 v151, s62, v3
	s_or_b32 exec_lo, exec_lo, s40
	s_and_saveexec_b32 s40, s22
	s_cbranch_execz .LBB914_221
.LBB914_291:                            ;   in Loop: Header=BB914_100 Depth=2
	ds_read_u16 v3, v74 offset:1024
	s_waitcnt lgkmcnt(0)
	v_lshrrev_b32_e32 v3, s61, v3
	v_and_b32_e32 v150, s62, v3
	s_or_b32 exec_lo, exec_lo, s40
	s_and_saveexec_b32 s40, s23
	s_cbranch_execz .LBB914_222
.LBB914_292:                            ;   in Loop: Header=BB914_100 Depth=2
	ds_read_u16 v3, v74 offset:1536
	s_waitcnt lgkmcnt(0)
	v_lshrrev_b32_e32 v3, s61, v3
	v_and_b32_e32 v148, s62, v3
	s_or_b32 exec_lo, exec_lo, s40
	s_and_saveexec_b32 s40, s24
	s_cbranch_execz .LBB914_223
.LBB914_293:                            ;   in Loop: Header=BB914_100 Depth=2
	ds_read_u16 v3, v74 offset:2048
	s_waitcnt lgkmcnt(0)
	v_lshrrev_b32_e32 v3, s61, v3
	v_and_b32_e32 v147, s62, v3
	s_or_b32 exec_lo, exec_lo, s40
	s_and_saveexec_b32 s40, s25
	s_cbranch_execz .LBB914_224
.LBB914_294:                            ;   in Loop: Header=BB914_100 Depth=2
	ds_read_u16 v3, v74 offset:2560
	s_waitcnt lgkmcnt(0)
	v_lshrrev_b32_e32 v3, s61, v3
	v_and_b32_e32 v146, s62, v3
	s_or_b32 exec_lo, exec_lo, s40
	s_and_saveexec_b32 s40, s26
	s_cbranch_execz .LBB914_225
.LBB914_295:                            ;   in Loop: Header=BB914_100 Depth=2
	ds_read_u16 v3, v74 offset:3072
	s_waitcnt lgkmcnt(0)
	v_lshrrev_b32_e32 v3, s61, v3
	v_and_b32_e32 v145, s62, v3
	s_or_b32 exec_lo, exec_lo, s40
	s_and_saveexec_b32 s40, s27
	s_cbranch_execz .LBB914_226
.LBB914_296:                            ;   in Loop: Header=BB914_100 Depth=2
	ds_read_u16 v3, v74 offset:3584
	s_waitcnt lgkmcnt(0)
	v_lshrrev_b32_e32 v3, s61, v3
	v_and_b32_e32 v144, s62, v3
	s_or_b32 exec_lo, exec_lo, s40
	s_and_saveexec_b32 s40, s29
	s_cbranch_execz .LBB914_227
.LBB914_297:                            ;   in Loop: Header=BB914_100 Depth=2
	ds_read_u16 v3, v74 offset:4096
	s_waitcnt lgkmcnt(0)
	v_lshrrev_b32_e32 v3, s61, v3
	v_and_b32_e32 v143, s62, v3
	s_or_b32 exec_lo, exec_lo, s40
	s_and_saveexec_b32 s40, s30
	s_cbranch_execz .LBB914_228
.LBB914_298:                            ;   in Loop: Header=BB914_100 Depth=2
	ds_read_u16 v3, v74 offset:4608
	s_waitcnt lgkmcnt(0)
	v_lshrrev_b32_e32 v3, s61, v3
	v_and_b32_e32 v142, s62, v3
	s_or_b32 exec_lo, exec_lo, s40
	s_and_saveexec_b32 s40, s31
	s_cbranch_execz .LBB914_229
.LBB914_299:                            ;   in Loop: Header=BB914_100 Depth=2
	ds_read_u16 v3, v74 offset:5120
	s_waitcnt lgkmcnt(0)
	v_lshrrev_b32_e32 v3, s61, v3
	v_and_b32_e32 v141, s62, v3
	s_or_b32 exec_lo, exec_lo, s40
	s_and_saveexec_b32 s40, s33
	s_cbranch_execz .LBB914_230
.LBB914_300:                            ;   in Loop: Header=BB914_100 Depth=2
	ds_read_u16 v3, v74 offset:5632
	s_waitcnt lgkmcnt(0)
	v_lshrrev_b32_e32 v3, s61, v3
	v_and_b32_e32 v140, s62, v3
	s_or_b32 exec_lo, exec_lo, s40
	s_and_saveexec_b32 s40, s34
	s_cbranch_execz .LBB914_231
.LBB914_301:                            ;   in Loop: Header=BB914_100 Depth=2
	ds_read_u16 v3, v74 offset:6144
	s_waitcnt lgkmcnt(0)
	v_lshrrev_b32_e32 v3, s61, v3
	v_and_b32_e32 v139, s62, v3
	s_or_b32 exec_lo, exec_lo, s40
	s_and_saveexec_b32 s40, s35
	s_cbranch_execz .LBB914_232
.LBB914_302:                            ;   in Loop: Header=BB914_100 Depth=2
	ds_read_u16 v3, v74 offset:6656
	s_waitcnt lgkmcnt(0)
	v_lshrrev_b32_e32 v3, s61, v3
	v_and_b32_e32 v138, s62, v3
	s_or_b32 exec_lo, exec_lo, s40
	s_and_saveexec_b32 s40, s36
	s_cbranch_execz .LBB914_233
.LBB914_303:                            ;   in Loop: Header=BB914_100 Depth=2
	ds_read_u16 v3, v74 offset:7168
	s_waitcnt lgkmcnt(0)
	v_lshrrev_b32_e32 v3, s61, v3
	v_and_b32_e32 v137, s62, v3
	s_or_b32 exec_lo, exec_lo, s40
	s_and_saveexec_b32 s40, s37
	s_cbranch_execz .LBB914_234
.LBB914_304:                            ;   in Loop: Header=BB914_100 Depth=2
	ds_read_u16 v3, v74 offset:7680
	s_waitcnt lgkmcnt(0)
	v_lshrrev_b32_e32 v3, s61, v3
	v_and_b32_e32 v136, s62, v3
	s_or_b32 exec_lo, exec_lo, s40
	s_and_saveexec_b32 s40, s38
	s_cbranch_execz .LBB914_235
.LBB914_305:                            ;   in Loop: Header=BB914_100 Depth=2
	ds_read_u16 v3, v74 offset:8192
	s_waitcnt lgkmcnt(0)
	v_lshrrev_b32_e32 v3, s61, v3
	v_and_b32_e32 v135, s62, v3
	s_or_b32 exec_lo, exec_lo, s40
	s_and_saveexec_b32 s40, s39
	s_cbranch_execnz .LBB914_236
	s_branch .LBB914_237
.LBB914_306:                            ;   in Loop: Header=BB914_100 Depth=2
	v_lshlrev_b32_e32 v3, 2, v151
	v_add_nc_u32_e32 v39, v74, v75
	ds_read_b32 v3, v3
	ds_read_b64 v[39:40], v39 offset:512
	s_waitcnt lgkmcnt(1)
	v_add_nc_u32_e32 v3, v3, v0
	v_lshlrev_b64 v[41:42], 3, v[3:4]
	v_add_co_u32 v41, vcc_lo, s52, v41
	v_add_co_ci_u32_e64 v42, null, s53, v42, vcc_lo
	s_waitcnt lgkmcnt(0)
	global_store_dwordx2 v[41:42], v[39:40], off
	s_or_b32 exec_lo, exec_lo, s40
	s_and_saveexec_b32 s40, s22
	s_cbranch_execz .LBB914_239
.LBB914_307:                            ;   in Loop: Header=BB914_100 Depth=2
	v_lshlrev_b32_e32 v3, 2, v150
	v_add_nc_u32_e32 v39, v74, v75
	ds_read_b32 v3, v3
	ds_read_b64 v[39:40], v39 offset:2560
	s_waitcnt lgkmcnt(1)
	v_add_nc_u32_e32 v3, v3, v44
	v_lshlrev_b64 v[41:42], 3, v[3:4]
	v_add_co_u32 v41, vcc_lo, s52, v41
	v_add_co_ci_u32_e64 v42, null, s53, v42, vcc_lo
	s_waitcnt lgkmcnt(0)
	global_store_dwordx2 v[41:42], v[39:40], off
	s_or_b32 exec_lo, exec_lo, s40
	s_and_saveexec_b32 s22, s23
	s_cbranch_execz .LBB914_240
.LBB914_308:                            ;   in Loop: Header=BB914_100 Depth=2
	v_lshlrev_b32_e32 v3, 2, v148
	v_add_nc_u32_e32 v39, v74, v75
	ds_read_b32 v3, v3
	ds_read_b64 v[39:40], v39 offset:4608
	s_waitcnt lgkmcnt(1)
	v_add_nc_u32_e32 v3, v3, v47
	v_lshlrev_b64 v[41:42], 3, v[3:4]
	v_add_co_u32 v41, vcc_lo, s52, v41
	v_add_co_ci_u32_e64 v42, null, s53, v42, vcc_lo
	s_waitcnt lgkmcnt(0)
	global_store_dwordx2 v[41:42], v[39:40], off
	s_or_b32 exec_lo, exec_lo, s22
	s_and_saveexec_b32 s22, s24
	s_cbranch_execz .LBB914_241
.LBB914_309:                            ;   in Loop: Header=BB914_100 Depth=2
	v_lshlrev_b32_e32 v3, 2, v147
	v_add_nc_u32_e32 v39, v74, v75
	ds_read_b32 v3, v3
	ds_read_b64 v[39:40], v39 offset:6656
	s_waitcnt lgkmcnt(1)
	v_add_nc_u32_e32 v3, v3, v48
	v_lshlrev_b64 v[41:42], 3, v[3:4]
	v_add_co_u32 v41, vcc_lo, s52, v41
	v_add_co_ci_u32_e64 v42, null, s53, v42, vcc_lo
	s_waitcnt lgkmcnt(0)
	global_store_dwordx2 v[41:42], v[39:40], off
	s_or_b32 exec_lo, exec_lo, s22
	s_and_saveexec_b32 s22, s25
	s_cbranch_execz .LBB914_242
.LBB914_310:                            ;   in Loop: Header=BB914_100 Depth=2
	v_lshlrev_b32_e32 v3, 2, v146
	v_add_nc_u32_e32 v39, v74, v75
	ds_read_b32 v3, v3
	ds_read_b64 v[39:40], v39 offset:8704
	s_waitcnt lgkmcnt(1)
	v_add_nc_u32_e32 v3, v3, v49
	v_lshlrev_b64 v[41:42], 3, v[3:4]
	v_add_co_u32 v41, vcc_lo, s52, v41
	v_add_co_ci_u32_e64 v42, null, s53, v42, vcc_lo
	s_waitcnt lgkmcnt(0)
	global_store_dwordx2 v[41:42], v[39:40], off
	s_or_b32 exec_lo, exec_lo, s22
	s_and_saveexec_b32 s22, s26
	s_cbranch_execz .LBB914_243
.LBB914_311:                            ;   in Loop: Header=BB914_100 Depth=2
	v_lshlrev_b32_e32 v3, 2, v145
	v_add_nc_u32_e32 v39, v74, v75
	ds_read_b32 v3, v3
	ds_read_b64 v[39:40], v39 offset:10752
	s_waitcnt lgkmcnt(1)
	v_add_nc_u32_e32 v3, v3, v50
	v_lshlrev_b64 v[41:42], 3, v[3:4]
	v_add_co_u32 v41, vcc_lo, s52, v41
	v_add_co_ci_u32_e64 v42, null, s53, v42, vcc_lo
	s_waitcnt lgkmcnt(0)
	global_store_dwordx2 v[41:42], v[39:40], off
	s_or_b32 exec_lo, exec_lo, s22
	s_and_saveexec_b32 s22, s27
	s_cbranch_execz .LBB914_244
.LBB914_312:                            ;   in Loop: Header=BB914_100 Depth=2
	v_lshlrev_b32_e32 v3, 2, v144
	v_add_nc_u32_e32 v39, v74, v75
	ds_read_b32 v3, v3
	ds_read_b64 v[39:40], v39 offset:12800
	s_waitcnt lgkmcnt(1)
	v_add_nc_u32_e32 v3, v3, v51
	v_lshlrev_b64 v[41:42], 3, v[3:4]
	v_add_co_u32 v41, vcc_lo, s52, v41
	v_add_co_ci_u32_e64 v42, null, s53, v42, vcc_lo
	s_waitcnt lgkmcnt(0)
	global_store_dwordx2 v[41:42], v[39:40], off
	s_or_b32 exec_lo, exec_lo, s22
	s_and_saveexec_b32 s22, s29
	s_cbranch_execz .LBB914_245
.LBB914_313:                            ;   in Loop: Header=BB914_100 Depth=2
	v_lshlrev_b32_e32 v3, 2, v143
	v_add_nc_u32_e32 v39, v74, v75
	ds_read_b32 v3, v3
	ds_read_b64 v[39:40], v39 offset:14848
	s_waitcnt lgkmcnt(1)
	v_add_nc_u32_e32 v3, v3, v52
	v_lshlrev_b64 v[41:42], 3, v[3:4]
	v_add_co_u32 v41, vcc_lo, s52, v41
	v_add_co_ci_u32_e64 v42, null, s53, v42, vcc_lo
	s_waitcnt lgkmcnt(0)
	global_store_dwordx2 v[41:42], v[39:40], off
	s_or_b32 exec_lo, exec_lo, s22
	s_and_saveexec_b32 s22, s30
	s_cbranch_execz .LBB914_246
.LBB914_314:                            ;   in Loop: Header=BB914_100 Depth=2
	v_lshlrev_b32_e32 v3, 2, v142
	v_add_nc_u32_e32 v39, v74, v75
	ds_read_b32 v3, v3
	ds_read_b64 v[39:40], v39 offset:16896
	s_waitcnt lgkmcnt(1)
	v_add_nc_u32_e32 v3, v3, v53
	v_lshlrev_b64 v[41:42], 3, v[3:4]
	v_add_co_u32 v41, vcc_lo, s52, v41
	v_add_co_ci_u32_e64 v42, null, s53, v42, vcc_lo
	s_waitcnt lgkmcnt(0)
	global_store_dwordx2 v[41:42], v[39:40], off
	s_or_b32 exec_lo, exec_lo, s22
	s_and_saveexec_b32 s22, s31
	s_cbranch_execz .LBB914_247
.LBB914_315:                            ;   in Loop: Header=BB914_100 Depth=2
	v_lshlrev_b32_e32 v3, 2, v141
	v_add_nc_u32_e32 v39, v74, v75
	ds_read_b32 v3, v3
	ds_read_b64 v[39:40], v39 offset:18944
	s_waitcnt lgkmcnt(1)
	v_add_nc_u32_e32 v3, v3, v54
	v_lshlrev_b64 v[41:42], 3, v[3:4]
	v_add_co_u32 v41, vcc_lo, s52, v41
	v_add_co_ci_u32_e64 v42, null, s53, v42, vcc_lo
	s_waitcnt lgkmcnt(0)
	global_store_dwordx2 v[41:42], v[39:40], off
	s_or_b32 exec_lo, exec_lo, s22
	s_and_saveexec_b32 s22, s33
	s_cbranch_execz .LBB914_248
.LBB914_316:                            ;   in Loop: Header=BB914_100 Depth=2
	v_lshlrev_b32_e32 v3, 2, v140
	v_add_nc_u32_e32 v39, v74, v75
	ds_read_b32 v3, v3
	ds_read_b64 v[39:40], v39 offset:20992
	s_waitcnt lgkmcnt(1)
	v_add_nc_u32_e32 v3, v3, v55
	v_lshlrev_b64 v[41:42], 3, v[3:4]
	v_add_co_u32 v41, vcc_lo, s52, v41
	v_add_co_ci_u32_e64 v42, null, s53, v42, vcc_lo
	s_waitcnt lgkmcnt(0)
	global_store_dwordx2 v[41:42], v[39:40], off
	s_or_b32 exec_lo, exec_lo, s22
	s_and_saveexec_b32 s22, s34
	s_cbranch_execz .LBB914_249
.LBB914_317:                            ;   in Loop: Header=BB914_100 Depth=2
	v_lshlrev_b32_e32 v3, 2, v139
	v_add_nc_u32_e32 v39, v74, v75
	ds_read_b32 v3, v3
	ds_read_b64 v[39:40], v39 offset:23040
	s_waitcnt lgkmcnt(1)
	v_add_nc_u32_e32 v3, v3, v56
	v_lshlrev_b64 v[41:42], 3, v[3:4]
	v_add_co_u32 v41, vcc_lo, s52, v41
	v_add_co_ci_u32_e64 v42, null, s53, v42, vcc_lo
	s_waitcnt lgkmcnt(0)
	global_store_dwordx2 v[41:42], v[39:40], off
	s_or_b32 exec_lo, exec_lo, s22
	s_and_saveexec_b32 s22, s35
	s_cbranch_execz .LBB914_250
.LBB914_318:                            ;   in Loop: Header=BB914_100 Depth=2
	v_lshlrev_b32_e32 v3, 2, v138
	v_add_nc_u32_e32 v39, v74, v75
	ds_read_b32 v3, v3
	ds_read_b64 v[39:40], v39 offset:25088
	s_waitcnt lgkmcnt(1)
	v_add_nc_u32_e32 v3, v3, v57
	v_lshlrev_b64 v[41:42], 3, v[3:4]
	v_add_co_u32 v41, vcc_lo, s52, v41
	v_add_co_ci_u32_e64 v42, null, s53, v42, vcc_lo
	s_waitcnt lgkmcnt(0)
	global_store_dwordx2 v[41:42], v[39:40], off
	s_or_b32 exec_lo, exec_lo, s22
	s_and_saveexec_b32 s22, s36
	s_cbranch_execz .LBB914_251
.LBB914_319:                            ;   in Loop: Header=BB914_100 Depth=2
	v_lshlrev_b32_e32 v3, 2, v137
	v_add_nc_u32_e32 v39, v74, v75
	ds_read_b32 v3, v3
	ds_read_b64 v[39:40], v39 offset:27136
	s_waitcnt lgkmcnt(1)
	v_add_nc_u32_e32 v3, v3, v58
	v_lshlrev_b64 v[41:42], 3, v[3:4]
	v_add_co_u32 v41, vcc_lo, s52, v41
	v_add_co_ci_u32_e64 v42, null, s53, v42, vcc_lo
	s_waitcnt lgkmcnt(0)
	global_store_dwordx2 v[41:42], v[39:40], off
	s_or_b32 exec_lo, exec_lo, s22
	s_and_saveexec_b32 s22, s37
	s_cbranch_execz .LBB914_252
.LBB914_320:                            ;   in Loop: Header=BB914_100 Depth=2
	v_lshlrev_b32_e32 v3, 2, v136
	v_add_nc_u32_e32 v39, v74, v75
	ds_read_b32 v3, v3
	ds_read_b64 v[39:40], v39 offset:29184
	s_waitcnt lgkmcnt(1)
	v_add_nc_u32_e32 v3, v3, v59
	v_lshlrev_b64 v[41:42], 3, v[3:4]
	v_add_co_u32 v41, vcc_lo, s52, v41
	v_add_co_ci_u32_e64 v42, null, s53, v42, vcc_lo
	s_waitcnt lgkmcnt(0)
	global_store_dwordx2 v[41:42], v[39:40], off
	s_or_b32 exec_lo, exec_lo, s22
	s_and_saveexec_b32 s22, s38
	s_cbranch_execz .LBB914_253
.LBB914_321:                            ;   in Loop: Header=BB914_100 Depth=2
	v_lshlrev_b32_e32 v3, 2, v135
	v_add_nc_u32_e32 v39, v74, v75
	ds_read_b32 v3, v3
	ds_read_b64 v[39:40], v39 offset:31232
	s_waitcnt lgkmcnt(1)
	v_add_nc_u32_e32 v3, v3, v60
	v_lshlrev_b64 v[41:42], 3, v[3:4]
	v_add_co_u32 v41, vcc_lo, s52, v41
	v_add_co_ci_u32_e64 v42, null, s53, v42, vcc_lo
	s_waitcnt lgkmcnt(0)
	global_store_dwordx2 v[41:42], v[39:40], off
	s_or_b32 exec_lo, exec_lo, s22
	s_and_saveexec_b32 s22, s39
	s_cbranch_execnz .LBB914_254
	s_branch .LBB914_255
.LBB914_322:                            ;   in Loop: Header=BB914_12 Depth=1
	s_waitcnt lgkmcnt(0)
	s_mov_b32 s5, 0
	s_barrier
.LBB914_323:                            ;   in Loop: Header=BB914_12 Depth=1
	s_and_b32 vcc_lo, exec_lo, s5
	s_cbranch_vccz .LBB914_633
; %bb.324:                              ;   in Loop: Header=BB914_12 Depth=1
	s_mov_b32 s5, s60
	s_mov_b32 s50, s58
	s_barrier
	buffer_gl0_inv
                                        ; implicit-def: $vgpr3
                                        ; implicit-def: $vgpr5
                                        ; implicit-def: $vgpr6
                                        ; implicit-def: $vgpr7
                                        ; implicit-def: $vgpr8
                                        ; implicit-def: $vgpr9
                                        ; implicit-def: $vgpr10
                                        ; implicit-def: $vgpr11
                                        ; implicit-def: $vgpr12
                                        ; implicit-def: $vgpr13
                                        ; implicit-def: $vgpr14
                                        ; implicit-def: $vgpr15
                                        ; implicit-def: $vgpr16
                                        ; implicit-def: $vgpr17
                                        ; implicit-def: $vgpr18
                                        ; implicit-def: $vgpr19
                                        ; implicit-def: $vgpr20
	s_branch .LBB914_326
.LBB914_325:                            ;   in Loop: Header=BB914_326 Depth=2
	s_or_b32 exec_lo, exec_lo, s16
	s_addk_i32 s5, 0xef00
	s_cmp_ge_u32 s15, s59
	s_mov_b32 s50, s15
	s_cbranch_scc1 .LBB914_398
.LBB914_326:                            ;   Parent Loop BB914_12 Depth=1
                                        ; =>  This Inner Loop Header: Depth=2
	s_add_i32 s15, s50, 0x1100
	s_mov_b32 s16, -1
	s_cmp_gt_u32 s15, s59
                                        ; implicit-def: $vgpr21
                                        ; implicit-def: $vgpr22
                                        ; implicit-def: $vgpr23
                                        ; implicit-def: $vgpr24
                                        ; implicit-def: $vgpr28
                                        ; implicit-def: $vgpr25
                                        ; implicit-def: $vgpr26
                                        ; implicit-def: $vgpr27
                                        ; implicit-def: $vgpr30
                                        ; implicit-def: $vgpr29
                                        ; implicit-def: $vgpr31
                                        ; implicit-def: $vgpr32
                                        ; implicit-def: $vgpr33
                                        ; implicit-def: $vgpr34
                                        ; implicit-def: $vgpr35
                                        ; implicit-def: $vgpr36
                                        ; implicit-def: $vgpr37
	s_cbranch_scc1 .LBB914_328
; %bb.327:                              ;   in Loop: Header=BB914_326 Depth=2
	s_lshl_b64 s[16:17], s[50:51], 1
	v_add_co_u32 v30, vcc_lo, v76, s16
	v_add_co_ci_u32_e64 v31, null, s17, v77, vcc_lo
	s_mov_b32 s16, 0
	v_add_co_u32 v27, vcc_lo, 0x800, v30
	v_add_co_ci_u32_e64 v28, null, 0, v31, vcc_lo
	v_add_co_u32 v32, vcc_lo, v30, 0x1000
	v_add_co_ci_u32_e64 v33, null, 0, v31, vcc_lo
	;; [unrolled: 2-line block ×5, first 2 shown]
	s_clause 0x10
	global_load_ushort v21, v[30:31], off
	global_load_ushort v22, v[30:31], off offset:512
	global_load_ushort v23, v[30:31], off offset:1024
	global_load_ushort v24, v[30:31], off offset:1536
	global_load_ushort v25, v[27:28], off offset:512
	global_load_ushort v26, v[27:28], off offset:1024
	global_load_ushort v27, v[27:28], off offset:1536
	global_load_ushort v29, v[34:35], off offset:512
	global_load_ushort v28, v[32:33], off offset:-2048
	global_load_ushort v30, v[32:33], off
	global_load_ushort v31, v[34:35], off offset:1024
	global_load_ushort v32, v[34:35], off offset:1536
	global_load_ushort v33, v[38:39], off offset:-2048
	global_load_ushort v34, v[36:37], off offset:512
	global_load_ushort v35, v[36:37], off offset:1024
	;; [unrolled: 1-line block ×3, first 2 shown]
	global_load_ushort v37, v[38:39], off
.LBB914_328:                            ;   in Loop: Header=BB914_326 Depth=2
	s_andn2_b32 vcc_lo, exec_lo, s16
	s_movk_i32 s16, 0x1100
	s_cbranch_vccnz .LBB914_348
; %bb.329:                              ;   in Loop: Header=BB914_326 Depth=2
	s_lshl_b64 s[16:17], s[50:51], 1
	s_mov_b32 s18, exec_lo
	s_add_u32 s16, s46, s16
	s_addc_u32 s17, s47, s17
	v_cmpx_gt_u32_e64 s5, v0
	s_cbranch_execnz .LBB914_382
; %bb.330:                              ;   in Loop: Header=BB914_326 Depth=2
	s_or_b32 exec_lo, exec_lo, s18
	s_mov_b32 s18, exec_lo
	v_cmpx_gt_u32_e64 s5, v44
	s_cbranch_execnz .LBB914_383
.LBB914_331:                            ;   in Loop: Header=BB914_326 Depth=2
	s_or_b32 exec_lo, exec_lo, s18
	s_mov_b32 s18, exec_lo
	v_cmpx_gt_u32_e64 s5, v47
	s_cbranch_execnz .LBB914_384
.LBB914_332:                            ;   in Loop: Header=BB914_326 Depth=2
	s_or_b32 exec_lo, exec_lo, s18
	s_mov_b32 s18, exec_lo
	v_cmpx_gt_u32_e64 s5, v48
	s_cbranch_execnz .LBB914_385
.LBB914_333:                            ;   in Loop: Header=BB914_326 Depth=2
	s_or_b32 exec_lo, exec_lo, s18
	s_mov_b32 s18, exec_lo
	v_cmpx_gt_u32_e64 s5, v49
	s_cbranch_execnz .LBB914_386
.LBB914_334:                            ;   in Loop: Header=BB914_326 Depth=2
	s_or_b32 exec_lo, exec_lo, s18
	s_mov_b32 s18, exec_lo
	v_cmpx_gt_u32_e64 s5, v50
	s_cbranch_execnz .LBB914_387
.LBB914_335:                            ;   in Loop: Header=BB914_326 Depth=2
	s_or_b32 exec_lo, exec_lo, s18
	s_mov_b32 s18, exec_lo
	v_cmpx_gt_u32_e64 s5, v51
	s_cbranch_execnz .LBB914_388
.LBB914_336:                            ;   in Loop: Header=BB914_326 Depth=2
	s_or_b32 exec_lo, exec_lo, s18
	s_mov_b32 s18, exec_lo
	v_cmpx_gt_u32_e64 s5, v52
	s_cbranch_execnz .LBB914_389
.LBB914_337:                            ;   in Loop: Header=BB914_326 Depth=2
	s_or_b32 exec_lo, exec_lo, s18
	s_mov_b32 s18, exec_lo
	v_cmpx_gt_u32_e64 s5, v53
	s_cbranch_execnz .LBB914_390
.LBB914_338:                            ;   in Loop: Header=BB914_326 Depth=2
	s_or_b32 exec_lo, exec_lo, s18
	s_mov_b32 s18, exec_lo
	v_cmpx_gt_u32_e64 s5, v54
	s_cbranch_execnz .LBB914_391
.LBB914_339:                            ;   in Loop: Header=BB914_326 Depth=2
	s_or_b32 exec_lo, exec_lo, s18
	s_mov_b32 s18, exec_lo
	v_cmpx_gt_u32_e64 s5, v55
	s_cbranch_execnz .LBB914_392
.LBB914_340:                            ;   in Loop: Header=BB914_326 Depth=2
	s_or_b32 exec_lo, exec_lo, s18
	s_mov_b32 s18, exec_lo
	v_cmpx_gt_u32_e64 s5, v56
	s_cbranch_execnz .LBB914_393
.LBB914_341:                            ;   in Loop: Header=BB914_326 Depth=2
	s_or_b32 exec_lo, exec_lo, s18
	s_mov_b32 s18, exec_lo
	v_cmpx_gt_u32_e64 s5, v57
	s_cbranch_execnz .LBB914_394
.LBB914_342:                            ;   in Loop: Header=BB914_326 Depth=2
	s_or_b32 exec_lo, exec_lo, s18
	s_mov_b32 s18, exec_lo
	v_cmpx_gt_u32_e64 s5, v58
	s_cbranch_execnz .LBB914_395
.LBB914_343:                            ;   in Loop: Header=BB914_326 Depth=2
	s_or_b32 exec_lo, exec_lo, s18
	s_mov_b32 s18, exec_lo
	v_cmpx_gt_u32_e64 s5, v59
	s_cbranch_execnz .LBB914_396
.LBB914_344:                            ;   in Loop: Header=BB914_326 Depth=2
	s_or_b32 exec_lo, exec_lo, s18
	s_mov_b32 s18, exec_lo
	v_cmpx_gt_u32_e64 s5, v60
	s_cbranch_execnz .LBB914_397
.LBB914_345:                            ;   in Loop: Header=BB914_326 Depth=2
	s_or_b32 exec_lo, exec_lo, s18
	s_mov_b32 s18, exec_lo
	v_cmpx_gt_u32_e64 s5, v61
	s_cbranch_execz .LBB914_347
.LBB914_346:                            ;   in Loop: Header=BB914_326 Depth=2
	global_load_ushort v3, v122, s[16:17]
.LBB914_347:                            ;   in Loop: Header=BB914_326 Depth=2
	s_or_b32 exec_lo, exec_lo, s18
	s_waitcnt vmcnt(0)
	v_mov_b32_e32 v21, v20
	v_mov_b32_e32 v22, v19
	;; [unrolled: 1-line block ×17, first 2 shown]
	s_mov_b32 s16, s5
.LBB914_348:                            ;   in Loop: Header=BB914_326 Depth=2
	s_waitcnt vmcnt(0)
	v_mov_b32_e32 v3, v37
	v_mov_b32_e32 v5, v36
	v_mov_b32_e32 v6, v35
	v_mov_b32_e32 v7, v34
	v_mov_b32_e32 v8, v33
	v_mov_b32_e32 v9, v32
	v_mov_b32_e32 v10, v31
	v_mov_b32_e32 v11, v29
	v_mov_b32_e32 v12, v30
	v_mov_b32_e32 v13, v27
	v_mov_b32_e32 v14, v26
	v_mov_b32_e32 v15, v25
	v_mov_b32_e32 v16, v28
	v_mov_b32_e32 v17, v24
	v_mov_b32_e32 v18, v23
	v_mov_b32_e32 v19, v22
	v_mov_b32_e32 v20, v21
	s_mov_b32 s17, exec_lo
	v_cmpx_gt_u32_e64 s16, v0
	s_cbranch_execnz .LBB914_365
; %bb.349:                              ;   in Loop: Header=BB914_326 Depth=2
	s_or_b32 exec_lo, exec_lo, s17
	s_mov_b32 s17, exec_lo
	v_cmpx_gt_u32_e64 s16, v44
	s_cbranch_execnz .LBB914_366
.LBB914_350:                            ;   in Loop: Header=BB914_326 Depth=2
	s_or_b32 exec_lo, exec_lo, s17
	s_mov_b32 s17, exec_lo
	v_cmpx_gt_u32_e64 s16, v47
	s_cbranch_execnz .LBB914_367
.LBB914_351:                            ;   in Loop: Header=BB914_326 Depth=2
	s_or_b32 exec_lo, exec_lo, s17
	s_mov_b32 s17, exec_lo
	v_cmpx_gt_u32_e64 s16, v48
	s_cbranch_execnz .LBB914_368
.LBB914_352:                            ;   in Loop: Header=BB914_326 Depth=2
	s_or_b32 exec_lo, exec_lo, s17
	s_mov_b32 s17, exec_lo
	v_cmpx_gt_u32_e64 s16, v49
	s_cbranch_execnz .LBB914_369
.LBB914_353:                            ;   in Loop: Header=BB914_326 Depth=2
	s_or_b32 exec_lo, exec_lo, s17
	s_mov_b32 s17, exec_lo
	v_cmpx_gt_u32_e64 s16, v50
	s_cbranch_execnz .LBB914_370
.LBB914_354:                            ;   in Loop: Header=BB914_326 Depth=2
	s_or_b32 exec_lo, exec_lo, s17
	s_mov_b32 s17, exec_lo
	v_cmpx_gt_u32_e64 s16, v51
	s_cbranch_execnz .LBB914_371
.LBB914_355:                            ;   in Loop: Header=BB914_326 Depth=2
	s_or_b32 exec_lo, exec_lo, s17
	s_mov_b32 s17, exec_lo
	v_cmpx_gt_u32_e64 s16, v52
	s_cbranch_execnz .LBB914_372
.LBB914_356:                            ;   in Loop: Header=BB914_326 Depth=2
	s_or_b32 exec_lo, exec_lo, s17
	s_mov_b32 s17, exec_lo
	v_cmpx_gt_u32_e64 s16, v53
	s_cbranch_execnz .LBB914_373
.LBB914_357:                            ;   in Loop: Header=BB914_326 Depth=2
	s_or_b32 exec_lo, exec_lo, s17
	s_mov_b32 s17, exec_lo
	v_cmpx_gt_u32_e64 s16, v54
	s_cbranch_execnz .LBB914_374
.LBB914_358:                            ;   in Loop: Header=BB914_326 Depth=2
	s_or_b32 exec_lo, exec_lo, s17
	s_mov_b32 s17, exec_lo
	v_cmpx_gt_u32_e64 s16, v55
	s_cbranch_execnz .LBB914_375
.LBB914_359:                            ;   in Loop: Header=BB914_326 Depth=2
	s_or_b32 exec_lo, exec_lo, s17
	s_mov_b32 s17, exec_lo
	v_cmpx_gt_u32_e64 s16, v56
	s_cbranch_execnz .LBB914_376
.LBB914_360:                            ;   in Loop: Header=BB914_326 Depth=2
	s_or_b32 exec_lo, exec_lo, s17
	s_mov_b32 s17, exec_lo
	v_cmpx_gt_u32_e64 s16, v57
	s_cbranch_execnz .LBB914_377
.LBB914_361:                            ;   in Loop: Header=BB914_326 Depth=2
	s_or_b32 exec_lo, exec_lo, s17
	s_mov_b32 s17, exec_lo
	v_cmpx_gt_u32_e64 s16, v58
	s_cbranch_execnz .LBB914_378
.LBB914_362:                            ;   in Loop: Header=BB914_326 Depth=2
	s_or_b32 exec_lo, exec_lo, s17
	s_mov_b32 s17, exec_lo
	v_cmpx_gt_u32_e64 s16, v59
	s_cbranch_execnz .LBB914_379
.LBB914_363:                            ;   in Loop: Header=BB914_326 Depth=2
	s_or_b32 exec_lo, exec_lo, s17
	s_mov_b32 s17, exec_lo
	v_cmpx_gt_u32_e64 s16, v60
	s_cbranch_execnz .LBB914_380
.LBB914_364:                            ;   in Loop: Header=BB914_326 Depth=2
	s_or_b32 exec_lo, exec_lo, s17
	v_cmp_gt_u32_e32 vcc_lo, s16, v61
	s_and_saveexec_b32 s16, vcc_lo
	s_cbranch_execz .LBB914_325
	s_branch .LBB914_381
.LBB914_365:                            ;   in Loop: Header=BB914_326 Depth=2
	v_xor_b32_e32 v21, 0x7fff, v20
	v_lshrrev_b32_sdwa v21, s61, v21 dst_sel:DWORD dst_unused:UNUSED_PAD src0_sel:DWORD src1_sel:WORD_0
	v_and_b32_e32 v21, s62, v21
	v_lshl_or_b32 v21, v21, 4, v63
	ds_add_u32 v21, v89
	s_or_b32 exec_lo, exec_lo, s17
	s_mov_b32 s17, exec_lo
	v_cmpx_gt_u32_e64 s16, v44
	s_cbranch_execz .LBB914_350
.LBB914_366:                            ;   in Loop: Header=BB914_326 Depth=2
	v_xor_b32_e32 v21, 0x7fff, v19
	v_lshrrev_b32_sdwa v21, s61, v21 dst_sel:DWORD dst_unused:UNUSED_PAD src0_sel:DWORD src1_sel:WORD_0
	v_and_b32_e32 v21, s62, v21
	v_lshl_or_b32 v21, v21, 4, v63
	ds_add_u32 v21, v89
	s_or_b32 exec_lo, exec_lo, s17
	s_mov_b32 s17, exec_lo
	v_cmpx_gt_u32_e64 s16, v47
	s_cbranch_execz .LBB914_351
.LBB914_367:                            ;   in Loop: Header=BB914_326 Depth=2
	v_xor_b32_e32 v21, 0x7fff, v18
	v_lshrrev_b32_sdwa v21, s61, v21 dst_sel:DWORD dst_unused:UNUSED_PAD src0_sel:DWORD src1_sel:WORD_0
	v_and_b32_e32 v21, s62, v21
	v_lshl_or_b32 v21, v21, 4, v63
	ds_add_u32 v21, v89
	s_or_b32 exec_lo, exec_lo, s17
	s_mov_b32 s17, exec_lo
	v_cmpx_gt_u32_e64 s16, v48
	s_cbranch_execz .LBB914_352
.LBB914_368:                            ;   in Loop: Header=BB914_326 Depth=2
	v_xor_b32_e32 v21, 0x7fff, v17
	v_lshrrev_b32_sdwa v21, s61, v21 dst_sel:DWORD dst_unused:UNUSED_PAD src0_sel:DWORD src1_sel:WORD_0
	v_and_b32_e32 v21, s62, v21
	v_lshl_or_b32 v21, v21, 4, v63
	ds_add_u32 v21, v89
	s_or_b32 exec_lo, exec_lo, s17
	s_mov_b32 s17, exec_lo
	v_cmpx_gt_u32_e64 s16, v49
	s_cbranch_execz .LBB914_353
.LBB914_369:                            ;   in Loop: Header=BB914_326 Depth=2
	v_xor_b32_e32 v21, 0x7fff, v16
	v_lshrrev_b32_sdwa v21, s61, v21 dst_sel:DWORD dst_unused:UNUSED_PAD src0_sel:DWORD src1_sel:WORD_0
	v_and_b32_e32 v21, s62, v21
	v_lshl_or_b32 v21, v21, 4, v63
	ds_add_u32 v21, v89
	s_or_b32 exec_lo, exec_lo, s17
	s_mov_b32 s17, exec_lo
	v_cmpx_gt_u32_e64 s16, v50
	s_cbranch_execz .LBB914_354
.LBB914_370:                            ;   in Loop: Header=BB914_326 Depth=2
	v_xor_b32_e32 v21, 0x7fff, v15
	v_lshrrev_b32_sdwa v21, s61, v21 dst_sel:DWORD dst_unused:UNUSED_PAD src0_sel:DWORD src1_sel:WORD_0
	v_and_b32_e32 v21, s62, v21
	v_lshl_or_b32 v21, v21, 4, v63
	ds_add_u32 v21, v89
	s_or_b32 exec_lo, exec_lo, s17
	s_mov_b32 s17, exec_lo
	v_cmpx_gt_u32_e64 s16, v51
	s_cbranch_execz .LBB914_355
.LBB914_371:                            ;   in Loop: Header=BB914_326 Depth=2
	v_xor_b32_e32 v21, 0x7fff, v14
	v_lshrrev_b32_sdwa v21, s61, v21 dst_sel:DWORD dst_unused:UNUSED_PAD src0_sel:DWORD src1_sel:WORD_0
	v_and_b32_e32 v21, s62, v21
	v_lshl_or_b32 v21, v21, 4, v63
	ds_add_u32 v21, v89
	s_or_b32 exec_lo, exec_lo, s17
	s_mov_b32 s17, exec_lo
	v_cmpx_gt_u32_e64 s16, v52
	s_cbranch_execz .LBB914_356
.LBB914_372:                            ;   in Loop: Header=BB914_326 Depth=2
	v_xor_b32_e32 v21, 0x7fff, v13
	v_lshrrev_b32_sdwa v21, s61, v21 dst_sel:DWORD dst_unused:UNUSED_PAD src0_sel:DWORD src1_sel:WORD_0
	v_and_b32_e32 v21, s62, v21
	v_lshl_or_b32 v21, v21, 4, v63
	ds_add_u32 v21, v89
	s_or_b32 exec_lo, exec_lo, s17
	s_mov_b32 s17, exec_lo
	v_cmpx_gt_u32_e64 s16, v53
	s_cbranch_execz .LBB914_357
.LBB914_373:                            ;   in Loop: Header=BB914_326 Depth=2
	v_xor_b32_e32 v21, 0x7fff, v12
	v_lshrrev_b32_sdwa v21, s61, v21 dst_sel:DWORD dst_unused:UNUSED_PAD src0_sel:DWORD src1_sel:WORD_0
	v_and_b32_e32 v21, s62, v21
	v_lshl_or_b32 v21, v21, 4, v63
	ds_add_u32 v21, v89
	s_or_b32 exec_lo, exec_lo, s17
	s_mov_b32 s17, exec_lo
	v_cmpx_gt_u32_e64 s16, v54
	s_cbranch_execz .LBB914_358
.LBB914_374:                            ;   in Loop: Header=BB914_326 Depth=2
	v_xor_b32_e32 v21, 0x7fff, v11
	v_lshrrev_b32_sdwa v21, s61, v21 dst_sel:DWORD dst_unused:UNUSED_PAD src0_sel:DWORD src1_sel:WORD_0
	v_and_b32_e32 v21, s62, v21
	v_lshl_or_b32 v21, v21, 4, v63
	ds_add_u32 v21, v89
	s_or_b32 exec_lo, exec_lo, s17
	s_mov_b32 s17, exec_lo
	v_cmpx_gt_u32_e64 s16, v55
	s_cbranch_execz .LBB914_359
.LBB914_375:                            ;   in Loop: Header=BB914_326 Depth=2
	v_xor_b32_e32 v21, 0x7fff, v10
	v_lshrrev_b32_sdwa v21, s61, v21 dst_sel:DWORD dst_unused:UNUSED_PAD src0_sel:DWORD src1_sel:WORD_0
	v_and_b32_e32 v21, s62, v21
	v_lshl_or_b32 v21, v21, 4, v63
	ds_add_u32 v21, v89
	s_or_b32 exec_lo, exec_lo, s17
	s_mov_b32 s17, exec_lo
	v_cmpx_gt_u32_e64 s16, v56
	s_cbranch_execz .LBB914_360
.LBB914_376:                            ;   in Loop: Header=BB914_326 Depth=2
	v_xor_b32_e32 v21, 0x7fff, v9
	v_lshrrev_b32_sdwa v21, s61, v21 dst_sel:DWORD dst_unused:UNUSED_PAD src0_sel:DWORD src1_sel:WORD_0
	v_and_b32_e32 v21, s62, v21
	v_lshl_or_b32 v21, v21, 4, v63
	ds_add_u32 v21, v89
	s_or_b32 exec_lo, exec_lo, s17
	s_mov_b32 s17, exec_lo
	v_cmpx_gt_u32_e64 s16, v57
	s_cbranch_execz .LBB914_361
.LBB914_377:                            ;   in Loop: Header=BB914_326 Depth=2
	v_xor_b32_e32 v21, 0x7fff, v8
	v_lshrrev_b32_sdwa v21, s61, v21 dst_sel:DWORD dst_unused:UNUSED_PAD src0_sel:DWORD src1_sel:WORD_0
	v_and_b32_e32 v21, s62, v21
	v_lshl_or_b32 v21, v21, 4, v63
	ds_add_u32 v21, v89
	s_or_b32 exec_lo, exec_lo, s17
	s_mov_b32 s17, exec_lo
	v_cmpx_gt_u32_e64 s16, v58
	s_cbranch_execz .LBB914_362
.LBB914_378:                            ;   in Loop: Header=BB914_326 Depth=2
	v_xor_b32_e32 v21, 0x7fff, v7
	v_lshrrev_b32_sdwa v21, s61, v21 dst_sel:DWORD dst_unused:UNUSED_PAD src0_sel:DWORD src1_sel:WORD_0
	v_and_b32_e32 v21, s62, v21
	v_lshl_or_b32 v21, v21, 4, v63
	ds_add_u32 v21, v89
	s_or_b32 exec_lo, exec_lo, s17
	s_mov_b32 s17, exec_lo
	v_cmpx_gt_u32_e64 s16, v59
	s_cbranch_execz .LBB914_363
.LBB914_379:                            ;   in Loop: Header=BB914_326 Depth=2
	v_xor_b32_e32 v21, 0x7fff, v6
	v_lshrrev_b32_sdwa v21, s61, v21 dst_sel:DWORD dst_unused:UNUSED_PAD src0_sel:DWORD src1_sel:WORD_0
	v_and_b32_e32 v21, s62, v21
	v_lshl_or_b32 v21, v21, 4, v63
	ds_add_u32 v21, v89
	s_or_b32 exec_lo, exec_lo, s17
	s_mov_b32 s17, exec_lo
	v_cmpx_gt_u32_e64 s16, v60
	s_cbranch_execz .LBB914_364
.LBB914_380:                            ;   in Loop: Header=BB914_326 Depth=2
	v_xor_b32_e32 v21, 0x7fff, v5
	v_lshrrev_b32_sdwa v21, s61, v21 dst_sel:DWORD dst_unused:UNUSED_PAD src0_sel:DWORD src1_sel:WORD_0
	v_and_b32_e32 v21, s62, v21
	v_lshl_or_b32 v21, v21, 4, v63
	ds_add_u32 v21, v89
	s_or_b32 exec_lo, exec_lo, s17
	v_cmp_gt_u32_e32 vcc_lo, s16, v61
	s_and_saveexec_b32 s16, vcc_lo
	s_cbranch_execz .LBB914_325
.LBB914_381:                            ;   in Loop: Header=BB914_326 Depth=2
	v_xor_b32_e32 v21, 0x7fff, v3
	v_lshrrev_b32_sdwa v21, s61, v21 dst_sel:DWORD dst_unused:UNUSED_PAD src0_sel:DWORD src1_sel:WORD_0
	v_and_b32_e32 v21, s62, v21
	v_lshl_or_b32 v21, v21, 4, v63
	ds_add_u32 v21, v89
	s_branch .LBB914_325
.LBB914_382:                            ;   in Loop: Header=BB914_326 Depth=2
	global_load_ushort v20, v109, s[16:17]
	s_or_b32 exec_lo, exec_lo, s18
	s_mov_b32 s18, exec_lo
	v_cmpx_gt_u32_e64 s5, v44
	s_cbranch_execz .LBB914_331
.LBB914_383:                            ;   in Loop: Header=BB914_326 Depth=2
	global_load_ushort v19, v109, s[16:17] offset:512
	s_or_b32 exec_lo, exec_lo, s18
	s_mov_b32 s18, exec_lo
	v_cmpx_gt_u32_e64 s5, v47
	s_cbranch_execz .LBB914_332
.LBB914_384:                            ;   in Loop: Header=BB914_326 Depth=2
	global_load_ushort v18, v109, s[16:17] offset:1024
	s_or_b32 exec_lo, exec_lo, s18
	s_mov_b32 s18, exec_lo
	v_cmpx_gt_u32_e64 s5, v48
	s_cbranch_execz .LBB914_333
.LBB914_385:                            ;   in Loop: Header=BB914_326 Depth=2
	global_load_ushort v17, v109, s[16:17] offset:1536
	s_or_b32 exec_lo, exec_lo, s18
	s_mov_b32 s18, exec_lo
	v_cmpx_gt_u32_e64 s5, v49
	s_cbranch_execz .LBB914_334
.LBB914_386:                            ;   in Loop: Header=BB914_326 Depth=2
	global_load_ushort v16, v110, s[16:17]
	s_or_b32 exec_lo, exec_lo, s18
	s_mov_b32 s18, exec_lo
	v_cmpx_gt_u32_e64 s5, v50
	s_cbranch_execz .LBB914_335
.LBB914_387:                            ;   in Loop: Header=BB914_326 Depth=2
	global_load_ushort v15, v111, s[16:17]
	s_or_b32 exec_lo, exec_lo, s18
	s_mov_b32 s18, exec_lo
	v_cmpx_gt_u32_e64 s5, v51
	s_cbranch_execz .LBB914_336
.LBB914_388:                            ;   in Loop: Header=BB914_326 Depth=2
	global_load_ushort v14, v112, s[16:17]
	s_or_b32 exec_lo, exec_lo, s18
	s_mov_b32 s18, exec_lo
	v_cmpx_gt_u32_e64 s5, v52
	s_cbranch_execz .LBB914_337
.LBB914_389:                            ;   in Loop: Header=BB914_326 Depth=2
	global_load_ushort v13, v113, s[16:17]
	s_or_b32 exec_lo, exec_lo, s18
	s_mov_b32 s18, exec_lo
	v_cmpx_gt_u32_e64 s5, v53
	s_cbranch_execz .LBB914_338
.LBB914_390:                            ;   in Loop: Header=BB914_326 Depth=2
	global_load_ushort v12, v114, s[16:17]
	s_or_b32 exec_lo, exec_lo, s18
	s_mov_b32 s18, exec_lo
	v_cmpx_gt_u32_e64 s5, v54
	s_cbranch_execz .LBB914_339
.LBB914_391:                            ;   in Loop: Header=BB914_326 Depth=2
	global_load_ushort v11, v115, s[16:17]
	s_or_b32 exec_lo, exec_lo, s18
	s_mov_b32 s18, exec_lo
	v_cmpx_gt_u32_e64 s5, v55
	s_cbranch_execz .LBB914_340
.LBB914_392:                            ;   in Loop: Header=BB914_326 Depth=2
	global_load_ushort v10, v116, s[16:17]
	s_or_b32 exec_lo, exec_lo, s18
	s_mov_b32 s18, exec_lo
	v_cmpx_gt_u32_e64 s5, v56
	s_cbranch_execz .LBB914_341
.LBB914_393:                            ;   in Loop: Header=BB914_326 Depth=2
	global_load_ushort v9, v117, s[16:17]
	s_or_b32 exec_lo, exec_lo, s18
	s_mov_b32 s18, exec_lo
	v_cmpx_gt_u32_e64 s5, v57
	s_cbranch_execz .LBB914_342
.LBB914_394:                            ;   in Loop: Header=BB914_326 Depth=2
	global_load_ushort v8, v118, s[16:17]
	s_or_b32 exec_lo, exec_lo, s18
	s_mov_b32 s18, exec_lo
	v_cmpx_gt_u32_e64 s5, v58
	s_cbranch_execz .LBB914_343
.LBB914_395:                            ;   in Loop: Header=BB914_326 Depth=2
	global_load_ushort v7, v119, s[16:17]
	s_or_b32 exec_lo, exec_lo, s18
	s_mov_b32 s18, exec_lo
	v_cmpx_gt_u32_e64 s5, v59
	s_cbranch_execz .LBB914_344
.LBB914_396:                            ;   in Loop: Header=BB914_326 Depth=2
	global_load_ushort v6, v120, s[16:17]
	s_or_b32 exec_lo, exec_lo, s18
	s_mov_b32 s18, exec_lo
	v_cmpx_gt_u32_e64 s5, v60
	s_cbranch_execz .LBB914_345
.LBB914_397:                            ;   in Loop: Header=BB914_326 Depth=2
	global_load_ushort v5, v121, s[16:17]
	s_or_b32 exec_lo, exec_lo, s18
	s_mov_b32 s18, exec_lo
	v_cmpx_gt_u32_e64 s5, v61
	s_cbranch_execnz .LBB914_346
	s_branch .LBB914_347
.LBB914_398:                            ;   in Loop: Header=BB914_12 Depth=1
	v_mov_b32_e32 v3, 0
	s_waitcnt lgkmcnt(0)
	s_barrier
	buffer_gl0_inv
	s_and_saveexec_b32 s5, s7
	s_cbranch_execz .LBB914_400
; %bb.399:                              ;   in Loop: Header=BB914_12 Depth=1
	ds_read2_b64 v[5:8], v64 offset1:1
	s_waitcnt lgkmcnt(0)
	v_add_nc_u32_e32 v3, v6, v5
	v_add3_u32 v3, v3, v7, v8
.LBB914_400:                            ;   in Loop: Header=BB914_12 Depth=1
	s_or_b32 exec_lo, exec_lo, s5
	v_mov_b32_dpp v5, v3 row_shr:1 row_mask:0xf bank_mask:0xf
	v_cmp_eq_u32_e64 s5, 0, v90
	v_cmp_lt_u32_e64 s15, 1, v90
	v_cmp_lt_u32_e64 s16, 3, v90
	;; [unrolled: 1-line block ×3, first 2 shown]
	v_cmp_eq_u32_e64 s18, 0, v92
	v_cndmask_b32_e64 v5, v5, 0, s5
	v_add_nc_u32_e32 v3, v5, v3
	v_mov_b32_dpp v5, v3 row_shr:2 row_mask:0xf bank_mask:0xf
	v_cndmask_b32_e64 v5, 0, v5, s15
	v_add_nc_u32_e32 v3, v3, v5
	v_mov_b32_dpp v5, v3 row_shr:4 row_mask:0xf bank_mask:0xf
	;; [unrolled: 3-line block ×3, first 2 shown]
	v_cndmask_b32_e64 v5, 0, v5, s17
	v_add_nc_u32_e32 v3, v3, v5
	ds_swizzle_b32 v5, v3 offset:swizzle(BROADCAST,32,15)
	s_waitcnt lgkmcnt(0)
	v_and_b32_e32 v5, v91, v5
	v_add_nc_u32_e32 v3, v3, v5
	s_and_saveexec_b32 s19, s8
; %bb.401:                              ;   in Loop: Header=BB914_12 Depth=1
	ds_write_b32 v65, v3
; %bb.402:                              ;   in Loop: Header=BB914_12 Depth=1
	s_or_b32 exec_lo, exec_lo, s19
	s_waitcnt lgkmcnt(0)
	s_barrier
	buffer_gl0_inv
	s_and_saveexec_b32 s19, s9
	s_cbranch_execz .LBB914_404
; %bb.403:                              ;   in Loop: Header=BB914_12 Depth=1
	ds_read_b32 v5, v66
	v_cmp_ne_u32_e32 vcc_lo, 0, v93
	s_waitcnt lgkmcnt(0)
	v_mov_b32_dpp v6, v5 row_shr:1 row_mask:0xf bank_mask:0xf
	v_cndmask_b32_e32 v6, 0, v6, vcc_lo
	v_cmp_lt_u32_e32 vcc_lo, 1, v93
	v_add_nc_u32_e32 v5, v6, v5
	v_mov_b32_dpp v6, v5 row_shr:2 row_mask:0xf bank_mask:0xf
	v_cndmask_b32_e32 v6, 0, v6, vcc_lo
	v_add_nc_u32_e32 v5, v5, v6
	ds_write_b32 v66, v5
.LBB914_404:                            ;   in Loop: Header=BB914_12 Depth=1
	s_or_b32 exec_lo, exec_lo, s19
	v_mov_b32_e32 v5, 0
	s_waitcnt lgkmcnt(0)
	s_barrier
	buffer_gl0_inv
	s_and_saveexec_b32 s19, s10
; %bb.405:                              ;   in Loop: Header=BB914_12 Depth=1
	ds_read_b32 v5, v67
; %bb.406:                              ;   in Loop: Header=BB914_12 Depth=1
	s_or_b32 exec_lo, exec_lo, s19
	v_cmp_gt_i32_e32 vcc_lo, 0, v95
	s_waitcnt lgkmcnt(0)
	v_add_nc_u32_e32 v3, v5, v3
	s_barrier
	buffer_gl0_inv
	v_cndmask_b32_e32 v6, v95, v86, vcc_lo
	v_lshlrev_b32_e32 v125, 2, v6
	ds_bpermute_b32 v3, v125, v3
	s_and_saveexec_b32 s19, s7
	s_cbranch_execz .LBB914_408
; %bb.407:                              ;   in Loop: Header=BB914_12 Depth=1
	s_waitcnt lgkmcnt(0)
	v_cndmask_b32_e64 v3, v3, v5, s14
	v_add_nc_u32_e32 v3, s58, v3
	ds_write_b32 v43, v3
.LBB914_408:                            ;   in Loop: Header=BB914_12 Depth=1
	s_or_b32 exec_lo, exec_lo, s19
	s_load_dwordx2 s[20:21], s[56:57], 0x0
	v_add_co_u32 v126, vcc_lo, v78, v97
	v_add_co_ci_u32_e64 v127, null, 0, v79, vcc_lo
	v_add_nc_u32_e32 v128, 0x180, v94
	v_add_nc_u32_e32 v129, 0x1a0, v94
	;; [unrolled: 1-line block ×5, first 2 shown]
	s_mov_b32 s63, s60
	s_mov_b32 s50, s58
                                        ; implicit-def: $vgpr7_vgpr8
                                        ; implicit-def: $vgpr9_vgpr10
                                        ; implicit-def: $vgpr11_vgpr12
                                        ; implicit-def: $vgpr13_vgpr14
                                        ; implicit-def: $vgpr15_vgpr16
                                        ; implicit-def: $vgpr19_vgpr20
                                        ; implicit-def: $vgpr23_vgpr24
                                        ; implicit-def: $vgpr27_vgpr28
                                        ; implicit-def: $vgpr17_vgpr18
                                        ; implicit-def: $vgpr21_vgpr22
                                        ; implicit-def: $vgpr25_vgpr26
                                        ; implicit-def: $vgpr29_vgpr30
                                        ; implicit-def: $vgpr31_vgpr32
                                        ; implicit-def: $vgpr33_vgpr34
                                        ; implicit-def: $vgpr35_vgpr36
                                        ; implicit-def: $vgpr37_vgpr38
                                        ; implicit-def: $vgpr136
                                        ; implicit-def: $vgpr137
                                        ; implicit-def: $vgpr138
                                        ; implicit-def: $vgpr139
                                        ; implicit-def: $vgpr140
                                        ; implicit-def: $vgpr141
                                        ; implicit-def: $vgpr142
                                        ; implicit-def: $vgpr143
                                        ; implicit-def: $vgpr144
                                        ; implicit-def: $vgpr145
                                        ; implicit-def: $vgpr146
                                        ; implicit-def: $vgpr147
                                        ; implicit-def: $vgpr148
                                        ; implicit-def: $vgpr149
                                        ; implicit-def: $vgpr150
                                        ; implicit-def: $vgpr152
                                        ; implicit-def: $vgpr153
                                        ; implicit-def: $vgpr151
                                        ; implicit-def: $vgpr154
	s_waitcnt lgkmcnt(0)
	s_cmp_lt_u32 s28, s21
	s_cselect_b32 s19, 14, 20
	s_add_u32 s22, s56, s19
	s_addc_u32 s23, s57, 0
	s_cmp_lt_u32 s6, s20
	global_load_ushort v3, v4, s[22:23]
	s_cselect_b32 s19, 12, 18
	s_add_u32 s20, s56, s19
	s_addc_u32 s21, s57, 0
	v_cmp_eq_u32_e64 s19, 0, v96
	global_load_ushort v5, v4, s[20:21]
	v_cmp_lt_u32_e64 s20, 1, v96
	v_cmp_lt_u32_e64 s21, 3, v96
	s_waitcnt vmcnt(1)
	v_mad_u32_u24 v3, v2, v3, v1
	s_waitcnt vmcnt(0)
	v_mad_u64_u32 v[5:6], null, v3, v5, v[0:1]
	v_lshlrev_b32_e32 v3, 1, v86
	v_add_co_u32 v133, vcc_lo, v80, v3
	v_lshrrev_b32_e32 v5, 3, v5
	v_add_co_ci_u32_e64 v134, null, 0, v81, vcc_lo
	v_and_b32_e32 v135, 0x1ffffffc, v5
                                        ; implicit-def: $vgpr5_vgpr6
	s_branch .LBB914_410
.LBB914_409:                            ;   in Loop: Header=BB914_410 Depth=2
	s_or_b32 exec_lo, exec_lo, s22
	s_addk_i32 s63, 0xef00
	s_cmp_lt_u32 s64, s59
	s_mov_b32 s50, s64
	s_cbranch_scc0 .LBB914_632
.LBB914_410:                            ;   Parent Loop BB914_12 Depth=1
                                        ; =>  This Inner Loop Header: Depth=2
	s_add_i32 s64, s50, 0x1100
	s_cmp_gt_u32 s64, s59
	s_cbranch_scc1 .LBB914_412
; %bb.411:                              ;   in Loop: Header=BB914_410 Depth=2
	s_lshl_b64 s[22:23], s[50:51], 1
	v_add_co_u32 v39, vcc_lo, v133, s22
	v_add_co_ci_u32_e64 v40, null, s23, v134, vcc_lo
	s_mov_b32 s22, -1
	s_clause 0xf
	global_load_ushort v156, v[39:40], off
	global_load_ushort v157, v[39:40], off offset:64
	global_load_ushort v160, v[39:40], off offset:128
	global_load_ushort v164, v[39:40], off offset:192
	global_load_ushort v169, v[39:40], off offset:256
	global_load_ushort v174, v[39:40], off offset:320
	global_load_ushort v179, v[39:40], off offset:384
	global_load_ushort v184, v[39:40], off offset:448
	global_load_ushort v189, v[39:40], off offset:512
	global_load_ushort v187, v[39:40], off offset:576
	global_load_ushort v182, v[39:40], off offset:640
	global_load_ushort v177, v[39:40], off offset:704
	global_load_ushort v173, v[39:40], off offset:768
	global_load_ushort v168, v[39:40], off offset:832
	global_load_ushort v42, v[39:40], off offset:896
	global_load_ushort v41, v[39:40], off offset:960
	s_movk_i32 s23, 0x1100
	s_cbranch_execz .LBB914_413
	s_branch .LBB914_446
.LBB914_412:                            ;   in Loop: Header=BB914_410 Depth=2
	s_mov_b32 s22, 0
                                        ; implicit-def: $vgpr156
                                        ; implicit-def: $vgpr157
                                        ; implicit-def: $vgpr160
                                        ; implicit-def: $vgpr164
                                        ; implicit-def: $vgpr169
                                        ; implicit-def: $vgpr174
                                        ; implicit-def: $vgpr179
                                        ; implicit-def: $vgpr184
                                        ; implicit-def: $vgpr189
                                        ; implicit-def: $vgpr187
                                        ; implicit-def: $vgpr182
                                        ; implicit-def: $vgpr177
                                        ; implicit-def: $vgpr173
                                        ; implicit-def: $vgpr168
                                        ; implicit-def: $vgpr42
                                        ; implicit-def: $vgpr41
	s_movk_i32 s23, 0x1100
.LBB914_413:                            ;   in Loop: Header=BB914_410 Depth=2
	s_lshl_b64 s[22:23], s[50:51], 1
	s_waitcnt vmcnt(14)
	v_mov_b32_e32 v157, 0xffff8000
	v_add_co_u32 v39, vcc_lo, v133, s22
	v_add_co_ci_u32_e64 v40, null, s23, v134, vcc_lo
	v_mov_b32_e32 v156, 0xffff8000
	s_mov_b32 s22, exec_lo
	v_cmpx_gt_u32_e64 s63, v94
	s_cbranch_execz .LBB914_415
; %bb.414:                              ;   in Loop: Header=BB914_410 Depth=2
	global_load_ushort v156, v[39:40], off
.LBB914_415:                            ;   in Loop: Header=BB914_410 Depth=2
	s_or_b32 exec_lo, exec_lo, s22
	s_mov_b32 s22, exec_lo
	v_cmpx_gt_u32_e64 s63, v98
	s_cbranch_execz .LBB914_417
; %bb.416:                              ;   in Loop: Header=BB914_410 Depth=2
	global_load_ushort v157, v[39:40], off offset:64
.LBB914_417:                            ;   in Loop: Header=BB914_410 Depth=2
	s_or_b32 exec_lo, exec_lo, s22
	s_waitcnt vmcnt(12)
	v_mov_b32_e32 v164, 0xffff8000
	v_mov_b32_e32 v160, 0xffff8000
	s_mov_b32 s22, exec_lo
	v_cmpx_gt_u32_e64 s63, v99
	s_cbranch_execz .LBB914_419
; %bb.418:                              ;   in Loop: Header=BB914_410 Depth=2
	global_load_ushort v160, v[39:40], off offset:128
.LBB914_419:                            ;   in Loop: Header=BB914_410 Depth=2
	s_or_b32 exec_lo, exec_lo, s22
	s_mov_b32 s22, exec_lo
	v_cmpx_gt_u32_e64 s63, v100
	s_cbranch_execz .LBB914_421
; %bb.420:                              ;   in Loop: Header=BB914_410 Depth=2
	global_load_ushort v164, v[39:40], off offset:192
.LBB914_421:                            ;   in Loop: Header=BB914_410 Depth=2
	s_or_b32 exec_lo, exec_lo, s22
	s_waitcnt vmcnt(10)
	v_mov_b32_e32 v174, 0xffff8000
	v_mov_b32_e32 v169, 0xffff8000
	s_mov_b32 s22, exec_lo
	v_cmpx_gt_u32_e64 s63, v101
	s_cbranch_execz .LBB914_423
; %bb.422:                              ;   in Loop: Header=BB914_410 Depth=2
	global_load_ushort v169, v[39:40], off offset:256
.LBB914_423:                            ;   in Loop: Header=BB914_410 Depth=2
	;; [unrolled: 17-line block ×7, first 2 shown]
	s_or_b32 exec_lo, exec_lo, s22
	s_mov_b32 s22, exec_lo
	v_cmpx_gt_u32_e64 s63, v131
	s_cbranch_execz .LBB914_445
; %bb.444:                              ;   in Loop: Header=BB914_410 Depth=2
	global_load_ushort v41, v[39:40], off offset:960
.LBB914_445:                            ;   in Loop: Header=BB914_410 Depth=2
	s_or_b32 exec_lo, exec_lo, s22
	v_cmp_gt_u32_e64 s22, s63, v132
	s_sub_i32 s23, s59, s50
.LBB914_446:                            ;   in Loop: Header=BB914_410 Depth=2
	v_mov_b32_e32 v3, -1
	v_mov_b32_e32 v155, s63
	s_and_saveexec_b32 s24, s22
	s_cbranch_execz .LBB914_448
; %bb.447:                              ;   in Loop: Header=BB914_410 Depth=2
	s_lshl_b64 s[26:27], s[50:51], 1
	v_mov_b32_e32 v155, s23
	v_add_co_u32 v39, vcc_lo, v133, s26
	v_add_co_ci_u32_e64 v40, null, s27, v134, vcc_lo
	global_load_ushort v3, v[39:40], off offset:1024
	s_waitcnt vmcnt(0)
	v_xor_b32_e32 v3, 0x7fff, v3
.LBB914_448:                            ;   in Loop: Header=BB914_410 Depth=2
	s_or_b32 exec_lo, exec_lo, s24
	s_waitcnt vmcnt(15)
	v_xor_b32_e32 v156, 0x7fff, v156
	ds_write2_b32 v68, v4, v4 offset0:136 offset1:137
	ds_write2_b32 v68, v4, v4 offset0:138 offset1:139
	ds_write_b32 v68, v4 offset:560
	s_waitcnt vmcnt(0) lgkmcnt(0)
	s_barrier
	v_lshrrev_b32_sdwa v39, s61, v156 dst_sel:DWORD dst_unused:UNUSED_PAD src0_sel:DWORD src1_sel:WORD_0
	buffer_gl0_inv
	; wave barrier
	v_and_b32_e32 v40, s62, v39
	v_and_b32_e32 v39, 1, v40
	v_lshlrev_b32_e32 v158, 30, v40
	v_lshlrev_b32_e32 v159, 29, v40
	;; [unrolled: 1-line block ×4, first 2 shown]
	v_add_co_u32 v39, s22, v39, -1
	v_cndmask_b32_e64 v161, 0, 1, s22
	v_not_b32_e32 v166, v158
	v_cmp_gt_i32_e64 s22, 0, v158
	v_not_b32_e32 v158, v159
	v_lshlrev_b32_e32 v165, 26, v40
	v_cmp_ne_u32_e32 vcc_lo, 0, v161
	v_ashrrev_i32_e32 v166, 31, v166
	v_lshlrev_b32_e32 v161, 25, v40
	v_ashrrev_i32_e32 v158, 31, v158
	v_mul_u32_u24_e32 v40, 36, v40
	v_xor_b32_e32 v39, vcc_lo, v39
	v_cmp_gt_i32_e32 vcc_lo, 0, v159
	v_not_b32_e32 v159, v162
	v_xor_b32_e32 v166, s22, v166
	v_cmp_gt_i32_e64 s22, 0, v162
	v_and_b32_e32 v39, exec_lo, v39
	v_not_b32_e32 v162, v163
	v_ashrrev_i32_e32 v159, 31, v159
	v_xor_b32_e32 v158, vcc_lo, v158
	v_cmp_gt_i32_e32 vcc_lo, 0, v163
	v_and_b32_e32 v39, v39, v166
	v_not_b32_e32 v163, v165
	v_ashrrev_i32_e32 v162, 31, v162
	v_xor_b32_e32 v159, s22, v159
	v_cmp_gt_i32_e64 s22, 0, v165
	v_and_b32_e32 v39, v39, v158
	v_not_b32_e32 v158, v161
	v_ashrrev_i32_e32 v163, 31, v163
	v_xor_b32_e32 v162, vcc_lo, v162
	v_cmp_gt_i32_e32 vcc_lo, 0, v161
	v_and_b32_e32 v39, v39, v159
	v_ashrrev_i32_e32 v158, 31, v158
	v_xor_b32_e32 v159, s22, v163
	v_and_b32_e32 v39, v39, v162
	v_xor_b32_e32 v158, vcc_lo, v158
	v_and_b32_e32 v39, v39, v159
	v_add_nc_u32_e32 v159, v135, v40
	v_and_b32_e32 v39, v39, v158
	v_mbcnt_lo_u32_b32 v158, v39, 0
	v_cmp_ne_u32_e64 s22, 0, v39
	v_cmp_eq_u32_e32 vcc_lo, 0, v158
	s_and_b32 s23, s22, vcc_lo
	s_and_saveexec_b32 s22, s23
; %bb.449:                              ;   in Loop: Header=BB914_410 Depth=2
	v_bcnt_u32_b32 v39, v39, 0
	ds_write_b32 v159, v39 offset:544
; %bb.450:                              ;   in Loop: Header=BB914_410 Depth=2
	s_or_b32 exec_lo, exec_lo, s22
	v_xor_b32_e32 v157, 0x7fff, v157
	; wave barrier
	v_lshrrev_b32_sdwa v39, s61, v157 dst_sel:DWORD dst_unused:UNUSED_PAD src0_sel:DWORD src1_sel:WORD_0
	v_and_b32_e32 v40, s62, v39
	v_and_b32_e32 v39, 1, v40
	v_lshlrev_b32_e32 v161, 30, v40
	v_lshlrev_b32_e32 v162, 29, v40
	v_lshlrev_b32_e32 v165, 28, v40
	v_lshlrev_b32_e32 v166, 27, v40
	v_add_co_u32 v39, s22, v39, -1
	v_cndmask_b32_e64 v163, 0, 1, s22
	v_not_b32_e32 v170, v161
	v_cmp_gt_i32_e64 s22, 0, v161
	v_not_b32_e32 v161, v162
	v_lshlrev_b32_e32 v167, 26, v40
	v_cmp_ne_u32_e32 vcc_lo, 0, v163
	v_ashrrev_i32_e32 v170, 31, v170
	v_lshlrev_b32_e32 v163, 25, v40
	v_ashrrev_i32_e32 v161, 31, v161
	v_xor_b32_e32 v39, vcc_lo, v39
	v_cmp_gt_i32_e32 vcc_lo, 0, v162
	v_not_b32_e32 v162, v165
	v_xor_b32_e32 v170, s22, v170
	v_cmp_gt_i32_e64 s22, 0, v165
	v_and_b32_e32 v39, exec_lo, v39
	v_not_b32_e32 v165, v166
	v_ashrrev_i32_e32 v162, 31, v162
	v_xor_b32_e32 v161, vcc_lo, v161
	v_cmp_gt_i32_e32 vcc_lo, 0, v166
	v_and_b32_e32 v39, v39, v170
	v_not_b32_e32 v166, v167
	v_ashrrev_i32_e32 v165, 31, v165
	v_xor_b32_e32 v162, s22, v162
	v_cmp_gt_i32_e64 s22, 0, v167
	v_and_b32_e32 v39, v39, v161
	v_not_b32_e32 v161, v163
	v_ashrrev_i32_e32 v166, 31, v166
	v_xor_b32_e32 v165, vcc_lo, v165
	v_cmp_gt_i32_e32 vcc_lo, 0, v163
	v_and_b32_e32 v39, v39, v162
	v_ashrrev_i32_e32 v161, 31, v161
	v_xor_b32_e32 v162, s22, v166
	v_mad_u32_u24 v163, v40, 36, v135
	v_mul_u32_u24_e32 v40, 36, v40
	v_and_b32_e32 v39, v39, v165
	v_xor_b32_e32 v165, vcc_lo, v161
	ds_read_b32 v161, v163 offset:544
	v_add_nc_u32_e32 v163, v135, v40
	v_and_b32_e32 v39, v39, v162
	; wave barrier
	v_and_b32_e32 v39, v39, v165
	v_mbcnt_lo_u32_b32 v162, v39, 0
	v_cmp_ne_u32_e64 s22, 0, v39
	v_cmp_eq_u32_e32 vcc_lo, 0, v162
	s_and_b32 s23, s22, vcc_lo
	s_and_saveexec_b32 s22, s23
	s_cbranch_execz .LBB914_452
; %bb.451:                              ;   in Loop: Header=BB914_410 Depth=2
	s_waitcnt lgkmcnt(0)
	v_bcnt_u32_b32 v39, v39, v161
	ds_write_b32 v163, v39 offset:544
.LBB914_452:                            ;   in Loop: Header=BB914_410 Depth=2
	s_or_b32 exec_lo, exec_lo, s22
	v_xor_b32_e32 v160, 0x7fff, v160
	; wave barrier
	v_lshrrev_b32_sdwa v39, s61, v160 dst_sel:DWORD dst_unused:UNUSED_PAD src0_sel:DWORD src1_sel:WORD_0
	v_and_b32_e32 v40, s62, v39
	v_and_b32_e32 v39, 1, v40
	v_lshlrev_b32_e32 v165, 30, v40
	v_lshlrev_b32_e32 v166, 29, v40
	v_lshlrev_b32_e32 v170, 28, v40
	v_lshlrev_b32_e32 v171, 27, v40
	v_add_co_u32 v39, s22, v39, -1
	v_cndmask_b32_e64 v167, 0, 1, s22
	v_not_b32_e32 v175, v165
	v_cmp_gt_i32_e64 s22, 0, v165
	v_not_b32_e32 v165, v166
	v_lshlrev_b32_e32 v172, 26, v40
	v_cmp_ne_u32_e32 vcc_lo, 0, v167
	v_ashrrev_i32_e32 v175, 31, v175
	v_lshlrev_b32_e32 v167, 25, v40
	v_ashrrev_i32_e32 v165, 31, v165
	v_xor_b32_e32 v39, vcc_lo, v39
	v_cmp_gt_i32_e32 vcc_lo, 0, v166
	v_not_b32_e32 v166, v170
	v_xor_b32_e32 v175, s22, v175
	v_cmp_gt_i32_e64 s22, 0, v170
	v_and_b32_e32 v39, exec_lo, v39
	v_not_b32_e32 v170, v171
	v_ashrrev_i32_e32 v166, 31, v166
	v_xor_b32_e32 v165, vcc_lo, v165
	v_cmp_gt_i32_e32 vcc_lo, 0, v171
	v_and_b32_e32 v39, v39, v175
	v_not_b32_e32 v171, v172
	v_ashrrev_i32_e32 v170, 31, v170
	v_xor_b32_e32 v166, s22, v166
	v_cmp_gt_i32_e64 s22, 0, v172
	v_and_b32_e32 v39, v39, v165
	v_not_b32_e32 v165, v167
	v_ashrrev_i32_e32 v171, 31, v171
	v_xor_b32_e32 v170, vcc_lo, v170
	v_cmp_gt_i32_e32 vcc_lo, 0, v167
	v_and_b32_e32 v39, v39, v166
	v_ashrrev_i32_e32 v165, 31, v165
	v_xor_b32_e32 v166, s22, v171
	v_mad_u32_u24 v167, v40, 36, v135
	v_mul_u32_u24_e32 v40, 36, v40
	v_and_b32_e32 v39, v39, v170
	v_xor_b32_e32 v170, vcc_lo, v165
	ds_read_b32 v165, v167 offset:544
	v_add_nc_u32_e32 v167, v135, v40
	v_and_b32_e32 v39, v39, v166
	; wave barrier
	v_and_b32_e32 v39, v39, v170
	v_mbcnt_lo_u32_b32 v166, v39, 0
	v_cmp_ne_u32_e64 s22, 0, v39
	v_cmp_eq_u32_e32 vcc_lo, 0, v166
	s_and_b32 s23, s22, vcc_lo
	s_and_saveexec_b32 s22, s23
	s_cbranch_execz .LBB914_454
; %bb.453:                              ;   in Loop: Header=BB914_410 Depth=2
	s_waitcnt lgkmcnt(0)
	v_bcnt_u32_b32 v39, v39, v165
	ds_write_b32 v167, v39 offset:544
.LBB914_454:                            ;   in Loop: Header=BB914_410 Depth=2
	;; [unrolled: 63-line block ×9, first 2 shown]
	s_or_b32 exec_lo, exec_lo, s22
	v_xor_b32_e32 v182, 0x7fff, v182
	; wave barrier
	v_lshrrev_b32_sdwa v39, s61, v182 dst_sel:DWORD dst_unused:UNUSED_PAD src0_sel:DWORD src1_sel:WORD_0
	v_and_b32_e32 v40, s62, v39
	v_and_b32_e32 v39, 1, v40
	v_lshlrev_b32_e32 v199, 30, v40
	v_lshlrev_b32_e32 v200, 29, v40
	;; [unrolled: 1-line block ×4, first 2 shown]
	v_add_co_u32 v39, s22, v39, -1
	v_cndmask_b32_e64 v201, 0, 1, s22
	v_not_b32_e32 v205, v199
	v_cmp_gt_i32_e64 s22, 0, v199
	v_not_b32_e32 v199, v200
	v_lshlrev_b32_e32 v204, 26, v40
	v_cmp_ne_u32_e32 vcc_lo, 0, v201
	v_ashrrev_i32_e32 v205, 31, v205
	v_lshlrev_b32_e32 v201, 25, v40
	v_ashrrev_i32_e32 v199, 31, v199
	v_xor_b32_e32 v39, vcc_lo, v39
	v_cmp_gt_i32_e32 vcc_lo, 0, v200
	v_not_b32_e32 v200, v202
	v_xor_b32_e32 v205, s22, v205
	v_cmp_gt_i32_e64 s22, 0, v202
	v_and_b32_e32 v39, exec_lo, v39
	v_not_b32_e32 v202, v203
	v_ashrrev_i32_e32 v200, 31, v200
	v_xor_b32_e32 v199, vcc_lo, v199
	v_cmp_gt_i32_e32 vcc_lo, 0, v203
	v_and_b32_e32 v39, v39, v205
	v_not_b32_e32 v203, v204
	v_ashrrev_i32_e32 v202, 31, v202
	v_xor_b32_e32 v200, s22, v200
	v_cmp_gt_i32_e64 s22, 0, v204
	v_and_b32_e32 v39, v39, v199
	v_not_b32_e32 v199, v201
	v_ashrrev_i32_e32 v203, 31, v203
	v_xor_b32_e32 v202, vcc_lo, v202
	v_cmp_gt_i32_e32 vcc_lo, 0, v201
	v_and_b32_e32 v39, v39, v200
	v_ashrrev_i32_e32 v199, 31, v199
	v_xor_b32_e32 v200, s22, v203
	v_mad_u32_u24 v201, v40, 36, v135
	v_mul_u32_u24_e32 v40, 36, v40
	v_and_b32_e32 v39, v39, v202
	v_xor_b32_e32 v199, vcc_lo, v199
	v_add_nc_u32_e32 v202, v135, v40
	v_and_b32_e32 v39, v39, v200
	ds_read_b32 v200, v201 offset:544
	; wave barrier
	v_and_b32_e32 v39, v39, v199
	v_mbcnt_lo_u32_b32 v201, v39, 0
	v_cmp_ne_u32_e64 s22, 0, v39
	v_cmp_eq_u32_e32 vcc_lo, 0, v201
	s_and_b32 s23, s22, vcc_lo
	s_and_saveexec_b32 s22, s23
	s_cbranch_execz .LBB914_470
; %bb.469:                              ;   in Loop: Header=BB914_410 Depth=2
	s_waitcnt lgkmcnt(0)
	v_bcnt_u32_b32 v39, v39, v200
	ds_write_b32 v202, v39 offset:544
.LBB914_470:                            ;   in Loop: Header=BB914_410 Depth=2
	s_or_b32 exec_lo, exec_lo, s22
	v_xor_b32_e32 v199, 0x7fff, v177
	; wave barrier
	v_lshrrev_b32_sdwa v39, s61, v199 dst_sel:DWORD dst_unused:UNUSED_PAD src0_sel:DWORD src1_sel:WORD_0
	v_and_b32_e32 v40, s62, v39
	v_and_b32_e32 v39, 1, v40
	v_lshlrev_b32_e32 v177, 30, v40
	v_lshlrev_b32_e32 v203, 29, v40
	v_lshlrev_b32_e32 v205, 28, v40
	v_lshlrev_b32_e32 v206, 27, v40
	v_add_co_u32 v39, s22, v39, -1
	v_cndmask_b32_e64 v204, 0, 1, s22
	v_not_b32_e32 v208, v177
	v_cmp_gt_i32_e64 s22, 0, v177
	v_not_b32_e32 v177, v203
	v_lshlrev_b32_e32 v207, 26, v40
	v_cmp_ne_u32_e32 vcc_lo, 0, v204
	v_ashrrev_i32_e32 v208, 31, v208
	v_lshlrev_b32_e32 v204, 25, v40
	v_ashrrev_i32_e32 v177, 31, v177
	v_xor_b32_e32 v39, vcc_lo, v39
	v_cmp_gt_i32_e32 vcc_lo, 0, v203
	v_not_b32_e32 v203, v205
	v_xor_b32_e32 v208, s22, v208
	v_cmp_gt_i32_e64 s22, 0, v205
	v_and_b32_e32 v39, exec_lo, v39
	v_not_b32_e32 v205, v206
	v_ashrrev_i32_e32 v203, 31, v203
	v_xor_b32_e32 v177, vcc_lo, v177
	v_cmp_gt_i32_e32 vcc_lo, 0, v206
	v_and_b32_e32 v39, v39, v208
	v_not_b32_e32 v206, v207
	v_ashrrev_i32_e32 v205, 31, v205
	v_xor_b32_e32 v203, s22, v203
	v_cmp_gt_i32_e64 s22, 0, v207
	v_and_b32_e32 v39, v39, v177
	v_not_b32_e32 v177, v204
	v_ashrrev_i32_e32 v206, 31, v206
	v_xor_b32_e32 v205, vcc_lo, v205
	v_cmp_gt_i32_e32 vcc_lo, 0, v204
	v_and_b32_e32 v39, v39, v203
	v_ashrrev_i32_e32 v177, 31, v177
	v_xor_b32_e32 v203, s22, v206
	v_mad_u32_u24 v204, v40, 36, v135
	v_mul_u32_u24_e32 v40, 36, v40
	v_and_b32_e32 v39, v39, v205
	v_xor_b32_e32 v177, vcc_lo, v177
	ds_read_b32 v204, v204 offset:544
	v_and_b32_e32 v39, v39, v203
	; wave barrier
	v_and_b32_e32 v39, v39, v177
	v_add_nc_u32_e32 v177, v135, v40
	v_mbcnt_lo_u32_b32 v205, v39, 0
	v_cmp_ne_u32_e64 s22, 0, v39
	v_cmp_eq_u32_e32 vcc_lo, 0, v205
	s_and_b32 s23, s22, vcc_lo
	s_and_saveexec_b32 s22, s23
	s_cbranch_execz .LBB914_472
; %bb.471:                              ;   in Loop: Header=BB914_410 Depth=2
	s_waitcnt lgkmcnt(0)
	v_bcnt_u32_b32 v39, v39, v204
	ds_write_b32 v177, v39 offset:544
.LBB914_472:                            ;   in Loop: Header=BB914_410 Depth=2
	s_or_b32 exec_lo, exec_lo, s22
	v_xor_b32_e32 v203, 0x7fff, v173
	; wave barrier
	v_lshrrev_b32_sdwa v39, s61, v203 dst_sel:DWORD dst_unused:UNUSED_PAD src0_sel:DWORD src1_sel:WORD_0
	v_and_b32_e32 v40, s62, v39
	v_and_b32_e32 v39, 1, v40
	v_lshlrev_b32_e32 v173, 30, v40
	v_lshlrev_b32_e32 v206, 29, v40
	v_lshlrev_b32_e32 v208, 28, v40
	v_lshlrev_b32_e32 v209, 27, v40
	v_add_co_u32 v39, s22, v39, -1
	v_cndmask_b32_e64 v207, 0, 1, s22
	v_not_b32_e32 v211, v173
	v_cmp_gt_i32_e64 s22, 0, v173
	v_not_b32_e32 v173, v206
	v_lshlrev_b32_e32 v210, 26, v40
	v_cmp_ne_u32_e32 vcc_lo, 0, v207
	v_ashrrev_i32_e32 v211, 31, v211
	v_lshlrev_b32_e32 v207, 25, v40
	v_ashrrev_i32_e32 v173, 31, v173
	v_xor_b32_e32 v39, vcc_lo, v39
	v_cmp_gt_i32_e32 vcc_lo, 0, v206
	v_not_b32_e32 v206, v208
	v_xor_b32_e32 v211, s22, v211
	v_cmp_gt_i32_e64 s22, 0, v208
	v_and_b32_e32 v39, exec_lo, v39
	v_not_b32_e32 v208, v209
	v_ashrrev_i32_e32 v206, 31, v206
	v_xor_b32_e32 v173, vcc_lo, v173
	v_cmp_gt_i32_e32 vcc_lo, 0, v209
	v_and_b32_e32 v39, v39, v211
	v_not_b32_e32 v209, v210
	v_ashrrev_i32_e32 v208, 31, v208
	v_xor_b32_e32 v206, s22, v206
	v_cmp_gt_i32_e64 s22, 0, v210
	v_and_b32_e32 v39, v39, v173
	v_not_b32_e32 v173, v207
	v_ashrrev_i32_e32 v209, 31, v209
	v_xor_b32_e32 v208, vcc_lo, v208
	v_cmp_gt_i32_e32 vcc_lo, 0, v207
	v_and_b32_e32 v39, v39, v206
	v_ashrrev_i32_e32 v173, 31, v173
	v_xor_b32_e32 v206, s22, v209
	v_mad_u32_u24 v207, v40, 36, v135
	v_mul_u32_u24_e32 v40, 36, v40
	v_and_b32_e32 v39, v39, v208
	v_xor_b32_e32 v173, vcc_lo, v173
	ds_read_b32 v207, v207 offset:544
	v_and_b32_e32 v39, v39, v206
	; wave barrier
	v_and_b32_e32 v39, v39, v173
	v_add_nc_u32_e32 v173, v135, v40
	;; [unrolled: 63-line block ×3, first 2 shown]
	v_mbcnt_lo_u32_b32 v211, v39, 0
	v_cmp_ne_u32_e64 s22, 0, v39
	v_cmp_eq_u32_e32 vcc_lo, 0, v211
	s_and_b32 s23, s22, vcc_lo
	s_and_saveexec_b32 s22, s23
	s_cbranch_execz .LBB914_476
; %bb.475:                              ;   in Loop: Header=BB914_410 Depth=2
	s_waitcnt lgkmcnt(0)
	v_bcnt_u32_b32 v39, v39, v210
	ds_write_b32 v168, v39 offset:544
.LBB914_476:                            ;   in Loop: Header=BB914_410 Depth=2
	s_or_b32 exec_lo, exec_lo, s22
	v_xor_b32_e32 v209, 0x7fff, v42
	; wave barrier
	v_lshrrev_b32_sdwa v39, s61, v209 dst_sel:DWORD dst_unused:UNUSED_PAD src0_sel:DWORD src1_sel:WORD_0
	v_and_b32_e32 v40, s62, v39
	v_and_b32_e32 v39, 1, v40
	v_lshlrev_b32_e32 v42, 30, v40
	v_lshlrev_b32_e32 v212, 29, v40
	;; [unrolled: 1-line block ×4, first 2 shown]
	v_add_co_u32 v39, s22, v39, -1
	v_cndmask_b32_e64 v213, 0, 1, s22
	v_not_b32_e32 v217, v42
	v_cmp_gt_i32_e64 s22, 0, v42
	v_not_b32_e32 v42, v212
	v_lshlrev_b32_e32 v216, 26, v40
	v_cmp_ne_u32_e32 vcc_lo, 0, v213
	v_ashrrev_i32_e32 v217, 31, v217
	v_lshlrev_b32_e32 v213, 25, v40
	v_ashrrev_i32_e32 v42, 31, v42
	v_xor_b32_e32 v39, vcc_lo, v39
	v_cmp_gt_i32_e32 vcc_lo, 0, v212
	v_not_b32_e32 v212, v214
	v_xor_b32_e32 v217, s22, v217
	v_cmp_gt_i32_e64 s22, 0, v214
	v_and_b32_e32 v39, exec_lo, v39
	v_not_b32_e32 v214, v215
	v_ashrrev_i32_e32 v212, 31, v212
	v_xor_b32_e32 v42, vcc_lo, v42
	v_cmp_gt_i32_e32 vcc_lo, 0, v215
	v_and_b32_e32 v39, v39, v217
	v_not_b32_e32 v215, v216
	v_ashrrev_i32_e32 v214, 31, v214
	v_xor_b32_e32 v212, s22, v212
	v_cmp_gt_i32_e64 s22, 0, v216
	v_and_b32_e32 v39, v39, v42
	v_not_b32_e32 v42, v213
	v_ashrrev_i32_e32 v215, 31, v215
	v_xor_b32_e32 v214, vcc_lo, v214
	v_cmp_gt_i32_e32 vcc_lo, 0, v213
	v_and_b32_e32 v39, v39, v212
	v_ashrrev_i32_e32 v42, 31, v42
	v_xor_b32_e32 v212, s22, v215
	v_mad_u32_u24 v213, v40, 36, v135
	v_mul_u32_u24_e32 v40, 36, v40
	v_and_b32_e32 v39, v39, v214
	v_xor_b32_e32 v42, vcc_lo, v42
	ds_read_b32 v213, v213 offset:544
	v_add_nc_u32_e32 v215, v135, v40
	v_and_b32_e32 v39, v39, v212
	; wave barrier
	v_and_b32_e32 v39, v39, v42
	v_mbcnt_lo_u32_b32 v214, v39, 0
	v_cmp_ne_u32_e64 s22, 0, v39
	v_cmp_eq_u32_e32 vcc_lo, 0, v214
	s_and_b32 s23, s22, vcc_lo
	s_and_saveexec_b32 s22, s23
	s_cbranch_execz .LBB914_478
; %bb.477:                              ;   in Loop: Header=BB914_410 Depth=2
	s_waitcnt lgkmcnt(0)
	v_bcnt_u32_b32 v39, v39, v213
	ds_write_b32 v215, v39 offset:544
.LBB914_478:                            ;   in Loop: Header=BB914_410 Depth=2
	s_or_b32 exec_lo, exec_lo, s22
	v_xor_b32_e32 v212, 0x7fff, v41
	; wave barrier
	v_lshrrev_b32_sdwa v39, s61, v212 dst_sel:DWORD dst_unused:UNUSED_PAD src0_sel:DWORD src1_sel:WORD_0
	v_and_b32_e32 v40, s62, v39
	v_and_b32_e32 v39, 1, v40
	v_lshlrev_b32_e32 v41, 30, v40
	v_lshlrev_b32_e32 v42, 29, v40
	;; [unrolled: 1-line block ×4, first 2 shown]
	v_add_co_u32 v39, s22, v39, -1
	v_cndmask_b32_e64 v216, 0, 1, s22
	v_not_b32_e32 v220, v41
	v_cmp_gt_i32_e64 s22, 0, v41
	v_not_b32_e32 v41, v42
	v_lshlrev_b32_e32 v219, 26, v40
	v_cmp_ne_u32_e32 vcc_lo, 0, v216
	v_ashrrev_i32_e32 v220, 31, v220
	v_lshlrev_b32_e32 v216, 25, v40
	v_ashrrev_i32_e32 v41, 31, v41
	v_xor_b32_e32 v39, vcc_lo, v39
	v_cmp_gt_i32_e32 vcc_lo, 0, v42
	v_not_b32_e32 v42, v217
	v_xor_b32_e32 v220, s22, v220
	v_cmp_gt_i32_e64 s22, 0, v217
	v_and_b32_e32 v39, exec_lo, v39
	v_not_b32_e32 v217, v218
	v_ashrrev_i32_e32 v42, 31, v42
	v_xor_b32_e32 v41, vcc_lo, v41
	v_cmp_gt_i32_e32 vcc_lo, 0, v218
	v_and_b32_e32 v39, v39, v220
	v_not_b32_e32 v218, v219
	v_ashrrev_i32_e32 v217, 31, v217
	v_xor_b32_e32 v42, s22, v42
	v_cmp_gt_i32_e64 s22, 0, v219
	v_and_b32_e32 v39, v39, v41
	v_not_b32_e32 v41, v216
	v_ashrrev_i32_e32 v218, 31, v218
	v_xor_b32_e32 v217, vcc_lo, v217
	v_cmp_gt_i32_e32 vcc_lo, 0, v216
	v_and_b32_e32 v39, v39, v42
	v_ashrrev_i32_e32 v41, 31, v41
	v_xor_b32_e32 v42, s22, v218
	v_mad_u32_u24 v216, v40, 36, v135
	v_mul_u32_u24_e32 v40, 36, v40
	v_and_b32_e32 v39, v39, v217
	v_xor_b32_e32 v41, vcc_lo, v41
	ds_read_b32 v216, v216 offset:544
	v_add_nc_u32_e32 v218, v135, v40
	v_and_b32_e32 v39, v39, v42
	; wave barrier
	v_and_b32_e32 v39, v39, v41
	v_mbcnt_lo_u32_b32 v217, v39, 0
	v_cmp_ne_u32_e64 s22, 0, v39
	v_cmp_eq_u32_e32 vcc_lo, 0, v217
	s_and_b32 s23, s22, vcc_lo
	s_and_saveexec_b32 s22, s23
	s_cbranch_execz .LBB914_480
; %bb.479:                              ;   in Loop: Header=BB914_410 Depth=2
	s_waitcnt lgkmcnt(0)
	v_bcnt_u32_b32 v39, v39, v216
	ds_write_b32 v218, v39 offset:544
.LBB914_480:                            ;   in Loop: Header=BB914_410 Depth=2
	s_or_b32 exec_lo, exec_lo, s22
	v_lshrrev_b32_sdwa v39, s61, v3 dst_sel:DWORD dst_unused:UNUSED_PAD src0_sel:DWORD src1_sel:WORD_0
	; wave barrier
	v_and_b32_e32 v40, s62, v39
	v_and_b32_e32 v39, 1, v40
	v_lshlrev_b32_e32 v41, 30, v40
	v_lshlrev_b32_e32 v42, 29, v40
	;; [unrolled: 1-line block ×4, first 2 shown]
	v_add_co_u32 v39, s22, v39, -1
	v_cndmask_b32_e64 v219, 0, 1, s22
	v_not_b32_e32 v223, v41
	v_cmp_gt_i32_e64 s22, 0, v41
	v_not_b32_e32 v41, v42
	v_lshlrev_b32_e32 v222, 26, v40
	v_cmp_ne_u32_e32 vcc_lo, 0, v219
	v_ashrrev_i32_e32 v223, 31, v223
	v_lshlrev_b32_e32 v219, 25, v40
	v_ashrrev_i32_e32 v41, 31, v41
	v_xor_b32_e32 v39, vcc_lo, v39
	v_cmp_gt_i32_e32 vcc_lo, 0, v42
	v_not_b32_e32 v42, v220
	v_xor_b32_e32 v223, s22, v223
	v_cmp_gt_i32_e64 s22, 0, v220
	v_and_b32_e32 v39, exec_lo, v39
	v_not_b32_e32 v220, v221
	v_ashrrev_i32_e32 v42, 31, v42
	v_xor_b32_e32 v41, vcc_lo, v41
	v_cmp_gt_i32_e32 vcc_lo, 0, v221
	v_and_b32_e32 v39, v39, v223
	v_not_b32_e32 v221, v222
	v_ashrrev_i32_e32 v220, 31, v220
	v_xor_b32_e32 v42, s22, v42
	v_cmp_gt_i32_e64 s22, 0, v222
	v_and_b32_e32 v39, v39, v41
	v_not_b32_e32 v41, v219
	v_ashrrev_i32_e32 v221, 31, v221
	v_xor_b32_e32 v220, vcc_lo, v220
	v_cmp_gt_i32_e32 vcc_lo, 0, v219
	v_and_b32_e32 v39, v39, v42
	v_ashrrev_i32_e32 v41, 31, v41
	v_xor_b32_e32 v42, s22, v221
	v_mad_u32_u24 v219, v40, 36, v135
	v_mul_u32_u24_e32 v40, 36, v40
	v_and_b32_e32 v39, v39, v220
	v_xor_b32_e32 v41, vcc_lo, v41
	ds_read_b32 v219, v219 offset:544
	v_add_nc_u32_e32 v221, v135, v40
	v_and_b32_e32 v39, v39, v42
	; wave barrier
	v_and_b32_e32 v39, v39, v41
	v_mbcnt_lo_u32_b32 v220, v39, 0
	v_cmp_ne_u32_e64 s22, 0, v39
	v_cmp_eq_u32_e32 vcc_lo, 0, v220
	s_and_b32 s23, s22, vcc_lo
	s_and_saveexec_b32 s22, s23
	s_cbranch_execz .LBB914_482
; %bb.481:                              ;   in Loop: Header=BB914_410 Depth=2
	s_waitcnt lgkmcnt(0)
	v_bcnt_u32_b32 v39, v39, v219
	ds_write_b32 v221, v39 offset:544
.LBB914_482:                            ;   in Loop: Header=BB914_410 Depth=2
	s_or_b32 exec_lo, exec_lo, s22
	; wave barrier
	s_waitcnt lgkmcnt(0)
	s_barrier
	buffer_gl0_inv
	ds_read2_b32 v[41:42], v68 offset0:136 offset1:137
	ds_read2_b32 v[39:40], v68 offset0:138 offset1:139
	ds_read_b32 v222, v68 offset:560
	s_waitcnt lgkmcnt(1)
	v_add3_u32 v223, v42, v41, v39
	s_waitcnt lgkmcnt(0)
	v_add3_u32 v222, v223, v40, v222
	v_mov_b32_dpp v223, v222 row_shr:1 row_mask:0xf bank_mask:0xf
	v_cndmask_b32_e64 v223, v223, 0, s5
	v_add_nc_u32_e32 v222, v223, v222
	v_mov_b32_dpp v223, v222 row_shr:2 row_mask:0xf bank_mask:0xf
	v_cndmask_b32_e64 v223, 0, v223, s15
	v_add_nc_u32_e32 v222, v222, v223
	;; [unrolled: 3-line block ×4, first 2 shown]
	ds_swizzle_b32 v223, v222 offset:swizzle(BROADCAST,32,15)
	s_waitcnt lgkmcnt(0)
	v_cndmask_b32_e64 v223, v223, 0, s18
	v_add_nc_u32_e32 v222, v222, v223
	s_and_saveexec_b32 s22, s4
; %bb.483:                              ;   in Loop: Header=BB914_410 Depth=2
	ds_write_b32 v62, v222 offset:512
; %bb.484:                              ;   in Loop: Header=BB914_410 Depth=2
	s_or_b32 exec_lo, exec_lo, s22
	s_waitcnt lgkmcnt(0)
	s_barrier
	buffer_gl0_inv
	s_and_saveexec_b32 s22, s11
	s_cbranch_execz .LBB914_486
; %bb.485:                              ;   in Loop: Header=BB914_410 Depth=2
	ds_read_b32 v223, v69 offset:512
	s_waitcnt lgkmcnt(0)
	v_mov_b32_dpp v224, v223 row_shr:1 row_mask:0xf bank_mask:0xf
	v_cndmask_b32_e64 v224, v224, 0, s19
	v_add_nc_u32_e32 v223, v224, v223
	v_mov_b32_dpp v224, v223 row_shr:2 row_mask:0xf bank_mask:0xf
	v_cndmask_b32_e64 v224, 0, v224, s20
	v_add_nc_u32_e32 v223, v223, v224
	;; [unrolled: 3-line block ×3, first 2 shown]
	ds_write_b32 v69, v223 offset:512
.LBB914_486:                            ;   in Loop: Header=BB914_410 Depth=2
	s_or_b32 exec_lo, exec_lo, s22
	v_mov_b32_e32 v223, 0
	s_waitcnt lgkmcnt(0)
	s_barrier
	buffer_gl0_inv
	s_and_saveexec_b32 s22, s10
; %bb.487:                              ;   in Loop: Header=BB914_410 Depth=2
	ds_read_b32 v223, v62 offset:508
; %bb.488:                              ;   in Loop: Header=BB914_410 Depth=2
	s_or_b32 exec_lo, exec_lo, s22
	s_waitcnt lgkmcnt(0)
	v_add_nc_u32_e32 v222, v223, v222
	ds_bpermute_b32 v222, v125, v222
	s_waitcnt lgkmcnt(0)
	v_cndmask_b32_e64 v222, v222, v223, s14
	v_cndmask_b32_e64 v222, v222, 0, s12
	v_add_nc_u32_e32 v41, v222, v41
	v_add_nc_u32_e32 v42, v41, v42
	;; [unrolled: 1-line block ×4, first 2 shown]
	ds_write2_b32 v68, v222, v41 offset0:136 offset1:137
	ds_write2_b32 v68, v42, v39 offset0:138 offset1:139
	ds_write_b32 v68, v40 offset:560
	s_waitcnt lgkmcnt(0)
	s_barrier
	buffer_gl0_inv
	ds_read_b32 v41, v159 offset:544
	ds_read_b32 v42, v163 offset:544
	;; [unrolled: 1-line block ×17, first 2 shown]
	s_and_saveexec_b32 s22, s7
	s_cbranch_execz .LBB914_492
; %bb.489:                              ;   in Loop: Header=BB914_410 Depth=2
	ds_read_b32 v151, v71 offset:544
	v_mov_b32_e32 v154, 0x1100
	s_and_saveexec_b32 s23, s13
; %bb.490:                              ;   in Loop: Header=BB914_410 Depth=2
	ds_read_b32 v154, v70 offset:544
; %bb.491:                              ;   in Loop: Header=BB914_410 Depth=2
	s_or_b32 exec_lo, exec_lo, s23
	s_waitcnt lgkmcnt(0)
	v_sub_nc_u32_e32 v154, v154, v151
.LBB914_492:                            ;   in Loop: Header=BB914_410 Depth=2
	s_or_b32 exec_lo, exec_lo, s22
	s_waitcnt lgkmcnt(0)
	s_barrier
	buffer_gl0_inv
	s_and_saveexec_b32 s22, s7
	s_cbranch_execz .LBB914_494
; %bb.493:                              ;   in Loop: Header=BB914_410 Depth=2
	ds_read_b32 v168, v43
	s_waitcnt lgkmcnt(0)
	v_sub_nc_u32_e32 v168, v168, v151
	ds_write_b32 v43, v168
.LBB914_494:                            ;   in Loop: Header=BB914_410 Depth=2
	s_or_b32 exec_lo, exec_lo, s22
	v_add_nc_u32_e32 v178, v41, v158
	v_add3_u32 v177, v162, v161, v42
	v_add3_u32 v173, v166, v165, v163
	;; [unrolled: 1-line block ×5, first 2 shown]
	v_lshlrev_b32_e32 v175, 1, v178
	v_lshlrev_b32_e32 v176, 1, v177
	v_add3_u32 v161, v217, v216, v39
	v_lshlrev_b32_e32 v39, 1, v173
	v_add3_u32 v170, v181, v180, v183
	v_add3_u32 v167, v191, v190, v192
	;; [unrolled: 1-line block ×5, first 2 shown]
	ds_write_b16 v175, v156 offset:512
	ds_write_b16 v176, v157 offset:512
	v_lshlrev_b32_e32 v40, 1, v172
	ds_write_b16 v39, v160 offset:512
	v_lshlrev_b32_e32 v39, 1, v168
	v_add3_u32 v165, v197, v196, v198
	v_lshlrev_b32_e32 v156, 1, v171
	v_add3_u32 v163, v201, v200, v202
	;; [unrolled: 2-line block ×3, first 2 shown]
	v_add3_u32 v42, v208, v207, v224
	ds_write_b16 v40, v164 offset:512
	ds_write_b16 v156, v169 offset:512
	;; [unrolled: 1-line block ×3, first 2 shown]
	v_lshlrev_b32_e32 v40, 1, v167
	ds_write_b16 v39, v179 offset:512
	v_lshlrev_b32_e32 v39, 1, v166
	v_lshlrev_b32_e32 v156, 1, v165
	;; [unrolled: 1-line block ×3, first 2 shown]
	v_add3_u32 v41, v211, v210, v225
	ds_write_b16 v40, v184 offset:512
	v_lshlrev_b32_e32 v40, 1, v162
	ds_write_b16 v39, v189 offset:512
	ds_write_b16 v156, v187 offset:512
	;; [unrolled: 1-line block ×3, first 2 shown]
	v_lshlrev_b32_e32 v39, 1, v42
	v_cmp_lt_u32_e32 vcc_lo, v0, v155
	v_lshlrev_b32_e32 v156, 1, v158
	ds_write_b16 v40, v199 offset:512
	v_lshlrev_b32_e32 v40, 1, v41
	ds_write_b16 v39, v203 offset:512
	v_lshlrev_b32_e32 v39, 1, v159
	v_lshlrev_b32_e32 v157, 1, v161
	ds_write_b16 v40, v206 offset:512
	ds_write_b16 v156, v209 offset:512
	;; [unrolled: 1-line block ×4, first 2 shown]
	s_waitcnt lgkmcnt(0)
	s_barrier
	buffer_gl0_inv
	s_and_saveexec_b32 s23, vcc_lo
	s_cbranch_execnz .LBB914_567
; %bb.495:                              ;   in Loop: Header=BB914_410 Depth=2
	s_or_b32 exec_lo, exec_lo, s23
	v_cmp_lt_u32_e64 s22, v44, v155
	s_and_saveexec_b32 s24, s22
	s_cbranch_execnz .LBB914_568
.LBB914_496:                            ;   in Loop: Header=BB914_410 Depth=2
	s_or_b32 exec_lo, exec_lo, s24
	v_cmp_lt_u32_e64 s23, v47, v155
	s_and_saveexec_b32 s25, s23
	s_cbranch_execnz .LBB914_569
.LBB914_497:                            ;   in Loop: Header=BB914_410 Depth=2
	s_or_b32 exec_lo, exec_lo, s25
	v_cmp_lt_u32_e64 s24, v48, v155
	s_and_saveexec_b32 s26, s24
	s_cbranch_execnz .LBB914_570
.LBB914_498:                            ;   in Loop: Header=BB914_410 Depth=2
	s_or_b32 exec_lo, exec_lo, s26
	v_cmp_lt_u32_e64 s25, v49, v155
	s_and_saveexec_b32 s27, s25
	s_cbranch_execnz .LBB914_571
.LBB914_499:                            ;   in Loop: Header=BB914_410 Depth=2
	s_or_b32 exec_lo, exec_lo, s27
	v_cmp_lt_u32_e64 s26, v50, v155
	s_and_saveexec_b32 s29, s26
	s_cbranch_execnz .LBB914_572
.LBB914_500:                            ;   in Loop: Header=BB914_410 Depth=2
	s_or_b32 exec_lo, exec_lo, s29
	v_cmp_lt_u32_e64 s27, v51, v155
	s_and_saveexec_b32 s30, s27
	s_cbranch_execnz .LBB914_573
.LBB914_501:                            ;   in Loop: Header=BB914_410 Depth=2
	s_or_b32 exec_lo, exec_lo, s30
	v_cmp_lt_u32_e64 s29, v52, v155
	s_and_saveexec_b32 s31, s29
	s_cbranch_execnz .LBB914_574
.LBB914_502:                            ;   in Loop: Header=BB914_410 Depth=2
	s_or_b32 exec_lo, exec_lo, s31
	v_cmp_lt_u32_e64 s30, v53, v155
	s_and_saveexec_b32 s33, s30
	s_cbranch_execnz .LBB914_575
.LBB914_503:                            ;   in Loop: Header=BB914_410 Depth=2
	s_or_b32 exec_lo, exec_lo, s33
	v_cmp_lt_u32_e64 s31, v54, v155
	s_and_saveexec_b32 s34, s31
	s_cbranch_execnz .LBB914_576
.LBB914_504:                            ;   in Loop: Header=BB914_410 Depth=2
	s_or_b32 exec_lo, exec_lo, s34
	v_cmp_lt_u32_e64 s33, v55, v155
	s_and_saveexec_b32 s35, s33
	s_cbranch_execnz .LBB914_577
.LBB914_505:                            ;   in Loop: Header=BB914_410 Depth=2
	s_or_b32 exec_lo, exec_lo, s35
	v_cmp_lt_u32_e64 s34, v56, v155
	s_and_saveexec_b32 s36, s34
	s_cbranch_execnz .LBB914_578
.LBB914_506:                            ;   in Loop: Header=BB914_410 Depth=2
	s_or_b32 exec_lo, exec_lo, s36
	v_cmp_lt_u32_e64 s35, v57, v155
	s_and_saveexec_b32 s37, s35
	s_cbranch_execnz .LBB914_579
.LBB914_507:                            ;   in Loop: Header=BB914_410 Depth=2
	s_or_b32 exec_lo, exec_lo, s37
	v_cmp_lt_u32_e64 s36, v58, v155
	s_and_saveexec_b32 s38, s36
	s_cbranch_execnz .LBB914_580
.LBB914_508:                            ;   in Loop: Header=BB914_410 Depth=2
	s_or_b32 exec_lo, exec_lo, s38
	v_cmp_lt_u32_e64 s37, v59, v155
	s_and_saveexec_b32 s39, s37
	s_cbranch_execnz .LBB914_581
.LBB914_509:                            ;   in Loop: Header=BB914_410 Depth=2
	s_or_b32 exec_lo, exec_lo, s39
	v_cmp_lt_u32_e64 s38, v60, v155
	s_and_saveexec_b32 s40, s38
	s_cbranch_execnz .LBB914_582
.LBB914_510:                            ;   in Loop: Header=BB914_410 Depth=2
	s_or_b32 exec_lo, exec_lo, s40
	v_cmp_lt_u32_e64 s39, v61, v155
	s_and_saveexec_b32 s65, s39
	s_cbranch_execz .LBB914_512
.LBB914_511:                            ;   in Loop: Header=BB914_410 Depth=2
	ds_read_u16 v156, v74 offset:8704
	s_waitcnt lgkmcnt(0)
	v_lshrrev_b32_sdwa v3, s61, v156 dst_sel:DWORD dst_unused:UNUSED_PAD src0_sel:DWORD src1_sel:WORD_0
	v_and_b32_e32 v3, s62, v3
	v_lshlrev_b32_e32 v3, 2, v3
	ds_read_b32 v3, v3
	s_waitcnt lgkmcnt(0)
	v_add_nc_u32_e32 v3, v3, v61
	v_lshlrev_b64 v[39:40], 1, v[3:4]
	v_xor_b32_e32 v3, 0x7fff, v156
	v_add_co_u32 v39, s40, s48, v39
	v_add_co_ci_u32_e64 v40, null, s49, v40, s40
	global_store_short v[39:40], v3, off
.LBB914_512:                            ;   in Loop: Header=BB914_410 Depth=2
	s_or_b32 exec_lo, exec_lo, s65
	s_lshl_b64 s[66:67], s[50:51], 3
	v_add_co_u32 v39, s40, v126, s66
	v_add_co_ci_u32_e64 v40, null, s67, v127, s40
	v_cmp_lt_u32_e64 s40, v94, v155
	s_and_saveexec_b32 s50, s40
	s_xor_b32 s40, exec_lo, s50
	s_cbranch_execnz .LBB914_583
; %bb.513:                              ;   in Loop: Header=BB914_410 Depth=2
	s_or_b32 exec_lo, exec_lo, s40
	s_mov_b32 s50, exec_lo
	v_cmpx_lt_u32_e64 v98, v155
	s_cbranch_execnz .LBB914_584
.LBB914_514:                            ;   in Loop: Header=BB914_410 Depth=2
	s_or_b32 exec_lo, exec_lo, s50
	s_mov_b32 s50, exec_lo
	v_cmpx_lt_u32_e64 v99, v155
	s_cbranch_execnz .LBB914_585
.LBB914_515:                            ;   in Loop: Header=BB914_410 Depth=2
	s_or_b32 exec_lo, exec_lo, s50
	s_mov_b32 s50, exec_lo
	v_cmpx_lt_u32_e64 v100, v155
	s_cbranch_execnz .LBB914_586
.LBB914_516:                            ;   in Loop: Header=BB914_410 Depth=2
	s_or_b32 exec_lo, exec_lo, s50
	s_mov_b32 s50, exec_lo
	v_cmpx_lt_u32_e64 v101, v155
	s_cbranch_execnz .LBB914_587
.LBB914_517:                            ;   in Loop: Header=BB914_410 Depth=2
	s_or_b32 exec_lo, exec_lo, s50
	s_mov_b32 s50, exec_lo
	v_cmpx_lt_u32_e64 v102, v155
	s_cbranch_execnz .LBB914_588
.LBB914_518:                            ;   in Loop: Header=BB914_410 Depth=2
	s_or_b32 exec_lo, exec_lo, s50
	s_mov_b32 s50, exec_lo
	v_cmpx_lt_u32_e64 v103, v155
	s_cbranch_execnz .LBB914_589
.LBB914_519:                            ;   in Loop: Header=BB914_410 Depth=2
	s_or_b32 exec_lo, exec_lo, s50
	s_mov_b32 s50, exec_lo
	v_cmpx_lt_u32_e64 v104, v155
	s_cbranch_execnz .LBB914_590
.LBB914_520:                            ;   in Loop: Header=BB914_410 Depth=2
	s_or_b32 exec_lo, exec_lo, s50
	s_mov_b32 s50, exec_lo
	v_cmpx_lt_u32_e64 v105, v155
	s_cbranch_execnz .LBB914_591
.LBB914_521:                            ;   in Loop: Header=BB914_410 Depth=2
	s_or_b32 exec_lo, exec_lo, s50
	s_mov_b32 s50, exec_lo
	v_cmpx_lt_u32_e64 v106, v155
	s_cbranch_execnz .LBB914_592
.LBB914_522:                            ;   in Loop: Header=BB914_410 Depth=2
	s_or_b32 exec_lo, exec_lo, s50
	s_mov_b32 s50, exec_lo
	v_cmpx_lt_u32_e64 v107, v155
	s_cbranch_execnz .LBB914_593
.LBB914_523:                            ;   in Loop: Header=BB914_410 Depth=2
	s_or_b32 exec_lo, exec_lo, s50
	s_mov_b32 s50, exec_lo
	v_cmpx_lt_u32_e64 v108, v155
	s_cbranch_execnz .LBB914_594
.LBB914_524:                            ;   in Loop: Header=BB914_410 Depth=2
	s_or_b32 exec_lo, exec_lo, s50
	s_mov_b32 s50, exec_lo
	v_cmpx_lt_u32_e64 v128, v155
	s_cbranch_execnz .LBB914_595
.LBB914_525:                            ;   in Loop: Header=BB914_410 Depth=2
	s_or_b32 exec_lo, exec_lo, s50
	s_mov_b32 s50, exec_lo
	v_cmpx_lt_u32_e64 v129, v155
	s_cbranch_execnz .LBB914_596
.LBB914_526:                            ;   in Loop: Header=BB914_410 Depth=2
	s_or_b32 exec_lo, exec_lo, s50
	s_mov_b32 s50, exec_lo
	v_cmpx_lt_u32_e64 v130, v155
	s_cbranch_execnz .LBB914_597
.LBB914_527:                            ;   in Loop: Header=BB914_410 Depth=2
	s_or_b32 exec_lo, exec_lo, s50
	s_mov_b32 s50, exec_lo
	v_cmpx_lt_u32_e64 v131, v155
	s_cbranch_execnz .LBB914_598
.LBB914_528:                            ;   in Loop: Header=BB914_410 Depth=2
	s_or_b32 exec_lo, exec_lo, s50
	s_mov_b32 s50, exec_lo
	v_cmpx_lt_u32_e64 v132, v155
	s_cbranch_execnz .LBB914_599
.LBB914_529:                            ;   in Loop: Header=BB914_410 Depth=2
	s_or_b32 exec_lo, exec_lo, s50
	s_and_saveexec_b32 s40, vcc_lo
	s_cbranch_execnz .LBB914_600
.LBB914_530:                            ;   in Loop: Header=BB914_410 Depth=2
	s_or_b32 exec_lo, exec_lo, s40
	s_and_saveexec_b32 s40, s22
	s_cbranch_execnz .LBB914_601
.LBB914_531:                            ;   in Loop: Header=BB914_410 Depth=2
	s_or_b32 exec_lo, exec_lo, s40
	s_and_saveexec_b32 s40, s23
	s_cbranch_execnz .LBB914_602
.LBB914_532:                            ;   in Loop: Header=BB914_410 Depth=2
	s_or_b32 exec_lo, exec_lo, s40
	s_and_saveexec_b32 s40, s24
	s_cbranch_execnz .LBB914_603
.LBB914_533:                            ;   in Loop: Header=BB914_410 Depth=2
	s_or_b32 exec_lo, exec_lo, s40
	s_and_saveexec_b32 s40, s25
	s_cbranch_execnz .LBB914_604
.LBB914_534:                            ;   in Loop: Header=BB914_410 Depth=2
	s_or_b32 exec_lo, exec_lo, s40
	s_and_saveexec_b32 s40, s26
	s_cbranch_execnz .LBB914_605
.LBB914_535:                            ;   in Loop: Header=BB914_410 Depth=2
	s_or_b32 exec_lo, exec_lo, s40
	s_and_saveexec_b32 s40, s27
	s_cbranch_execnz .LBB914_606
.LBB914_536:                            ;   in Loop: Header=BB914_410 Depth=2
	s_or_b32 exec_lo, exec_lo, s40
	s_and_saveexec_b32 s40, s29
	s_cbranch_execnz .LBB914_607
.LBB914_537:                            ;   in Loop: Header=BB914_410 Depth=2
	s_or_b32 exec_lo, exec_lo, s40
	s_and_saveexec_b32 s40, s30
	s_cbranch_execnz .LBB914_608
.LBB914_538:                            ;   in Loop: Header=BB914_410 Depth=2
	s_or_b32 exec_lo, exec_lo, s40
	s_and_saveexec_b32 s40, s31
	s_cbranch_execnz .LBB914_609
.LBB914_539:                            ;   in Loop: Header=BB914_410 Depth=2
	s_or_b32 exec_lo, exec_lo, s40
	s_and_saveexec_b32 s40, s33
	s_cbranch_execnz .LBB914_610
.LBB914_540:                            ;   in Loop: Header=BB914_410 Depth=2
	s_or_b32 exec_lo, exec_lo, s40
	s_and_saveexec_b32 s40, s34
	s_cbranch_execnz .LBB914_611
.LBB914_541:                            ;   in Loop: Header=BB914_410 Depth=2
	s_or_b32 exec_lo, exec_lo, s40
	s_and_saveexec_b32 s40, s35
	s_cbranch_execnz .LBB914_612
.LBB914_542:                            ;   in Loop: Header=BB914_410 Depth=2
	s_or_b32 exec_lo, exec_lo, s40
	s_and_saveexec_b32 s40, s36
	s_cbranch_execnz .LBB914_613
.LBB914_543:                            ;   in Loop: Header=BB914_410 Depth=2
	s_or_b32 exec_lo, exec_lo, s40
	s_and_saveexec_b32 s40, s37
	s_cbranch_execnz .LBB914_614
.LBB914_544:                            ;   in Loop: Header=BB914_410 Depth=2
	s_or_b32 exec_lo, exec_lo, s40
	s_and_saveexec_b32 s40, s38
	s_cbranch_execnz .LBB914_615
.LBB914_545:                            ;   in Loop: Header=BB914_410 Depth=2
	s_or_b32 exec_lo, exec_lo, s40
	s_and_saveexec_b32 s40, s39
	s_cbranch_execz .LBB914_547
.LBB914_546:                            ;   in Loop: Header=BB914_410 Depth=2
	ds_read_u16 v3, v74 offset:8704
	s_waitcnt lgkmcnt(0)
	v_lshrrev_b32_e32 v3, s61, v3
	v_and_b32_e32 v136, s62, v3
.LBB914_547:                            ;   in Loop: Header=BB914_410 Depth=2
	s_or_b32 exec_lo, exec_lo, s40
	v_lshlrev_b32_e32 v3, 3, v178
	v_lshlrev_b32_e32 v39, 3, v177
	s_waitcnt vmcnt(0)
	s_waitcnt_vscnt null, 0x0
	s_barrier
	buffer_gl0_inv
	ds_write_b64 v3, v[37:38] offset:512
	ds_write_b64 v39, v[35:36] offset:512
	v_lshlrev_b32_e32 v3, 3, v173
	v_lshlrev_b32_e32 v39, 3, v172
	v_lshlrev_b32_e32 v40, 3, v171
	v_lshlrev_b32_e32 v155, 3, v170
	v_lshlrev_b32_e32 v156, 3, v168
	ds_write_b64 v3, v[33:34] offset:512
	ds_write_b64 v39, v[31:32] offset:512
	ds_write_b64 v40, v[29:30] offset:512
	ds_write_b64 v155, v[25:26] offset:512
	ds_write_b64 v156, v[21:22] offset:512
	v_lshlrev_b32_e32 v3, 3, v167
	v_lshlrev_b32_e32 v39, 3, v166
	v_lshlrev_b32_e32 v40, 3, v165
	v_lshlrev_b32_e32 v155, 3, v163
	v_lshlrev_b32_e32 v156, 3, v162
	ds_write_b64 v3, v[17:18] offset:512
	ds_write_b64 v39, v[27:28] offset:512
	ds_write_b64 v40, v[23:24] offset:512
	;; [unrolled: 10-line block ×3, first 2 shown]
	ds_write_b64 v41, v[7:8] offset:512
	ds_write_b64 v42, v[5:6] offset:512
	s_waitcnt lgkmcnt(0)
	s_barrier
	buffer_gl0_inv
	s_and_saveexec_b32 s40, vcc_lo
	s_cbranch_execnz .LBB914_616
; %bb.548:                              ;   in Loop: Header=BB914_410 Depth=2
	s_or_b32 exec_lo, exec_lo, s40
	s_and_saveexec_b32 s40, s22
	s_cbranch_execnz .LBB914_617
.LBB914_549:                            ;   in Loop: Header=BB914_410 Depth=2
	s_or_b32 exec_lo, exec_lo, s40
	s_and_saveexec_b32 s22, s23
	s_cbranch_execnz .LBB914_618
.LBB914_550:                            ;   in Loop: Header=BB914_410 Depth=2
	s_or_b32 exec_lo, exec_lo, s22
	s_and_saveexec_b32 s22, s24
	s_cbranch_execnz .LBB914_619
.LBB914_551:                            ;   in Loop: Header=BB914_410 Depth=2
	s_or_b32 exec_lo, exec_lo, s22
	s_and_saveexec_b32 s22, s25
	s_cbranch_execnz .LBB914_620
.LBB914_552:                            ;   in Loop: Header=BB914_410 Depth=2
	s_or_b32 exec_lo, exec_lo, s22
	s_and_saveexec_b32 s22, s26
	s_cbranch_execnz .LBB914_621
.LBB914_553:                            ;   in Loop: Header=BB914_410 Depth=2
	s_or_b32 exec_lo, exec_lo, s22
	s_and_saveexec_b32 s22, s27
	s_cbranch_execnz .LBB914_622
.LBB914_554:                            ;   in Loop: Header=BB914_410 Depth=2
	s_or_b32 exec_lo, exec_lo, s22
	s_and_saveexec_b32 s22, s29
	s_cbranch_execnz .LBB914_623
.LBB914_555:                            ;   in Loop: Header=BB914_410 Depth=2
	s_or_b32 exec_lo, exec_lo, s22
	s_and_saveexec_b32 s22, s30
	s_cbranch_execnz .LBB914_624
.LBB914_556:                            ;   in Loop: Header=BB914_410 Depth=2
	s_or_b32 exec_lo, exec_lo, s22
	s_and_saveexec_b32 s22, s31
	s_cbranch_execnz .LBB914_625
.LBB914_557:                            ;   in Loop: Header=BB914_410 Depth=2
	s_or_b32 exec_lo, exec_lo, s22
	s_and_saveexec_b32 s22, s33
	s_cbranch_execnz .LBB914_626
.LBB914_558:                            ;   in Loop: Header=BB914_410 Depth=2
	s_or_b32 exec_lo, exec_lo, s22
	s_and_saveexec_b32 s22, s34
	s_cbranch_execnz .LBB914_627
.LBB914_559:                            ;   in Loop: Header=BB914_410 Depth=2
	s_or_b32 exec_lo, exec_lo, s22
	s_and_saveexec_b32 s22, s35
	s_cbranch_execnz .LBB914_628
.LBB914_560:                            ;   in Loop: Header=BB914_410 Depth=2
	s_or_b32 exec_lo, exec_lo, s22
	s_and_saveexec_b32 s22, s36
	s_cbranch_execnz .LBB914_629
.LBB914_561:                            ;   in Loop: Header=BB914_410 Depth=2
	s_or_b32 exec_lo, exec_lo, s22
	s_and_saveexec_b32 s22, s37
	s_cbranch_execnz .LBB914_630
.LBB914_562:                            ;   in Loop: Header=BB914_410 Depth=2
	s_or_b32 exec_lo, exec_lo, s22
	s_and_saveexec_b32 s22, s38
	s_cbranch_execnz .LBB914_631
.LBB914_563:                            ;   in Loop: Header=BB914_410 Depth=2
	s_or_b32 exec_lo, exec_lo, s22
	s_and_saveexec_b32 s22, s39
	s_cbranch_execz .LBB914_565
.LBB914_564:                            ;   in Loop: Header=BB914_410 Depth=2
	v_lshlrev_b32_e32 v3, 2, v136
	v_add_nc_u32_e32 v39, v74, v75
	ds_read_b32 v3, v3
	ds_read_b64 v[39:40], v39 offset:33280
	s_waitcnt lgkmcnt(1)
	v_add_nc_u32_e32 v3, v3, v61
	v_lshlrev_b64 v[41:42], 3, v[3:4]
	v_add_co_u32 v41, vcc_lo, s54, v41
	v_add_co_ci_u32_e64 v42, null, s55, v42, vcc_lo
	s_waitcnt lgkmcnt(0)
	global_store_dwordx2 v[41:42], v[39:40], off
.LBB914_565:                            ;   in Loop: Header=BB914_410 Depth=2
	s_or_b32 exec_lo, exec_lo, s22
	s_waitcnt_vscnt null, 0x0
	s_barrier
	buffer_gl0_inv
	s_and_saveexec_b32 s22, s7
	s_cbranch_execz .LBB914_409
; %bb.566:                              ;   in Loop: Header=BB914_410 Depth=2
	ds_read_b32 v3, v43
	s_waitcnt lgkmcnt(0)
	v_add3_u32 v3, v151, v154, v3
	ds_write_b32 v43, v3
	s_branch .LBB914_409
.LBB914_567:                            ;   in Loop: Header=BB914_410 Depth=2
	ds_read_u16 v156, v74 offset:512
	s_waitcnt lgkmcnt(0)
	v_lshrrev_b32_sdwa v3, s61, v156 dst_sel:DWORD dst_unused:UNUSED_PAD src0_sel:DWORD src1_sel:WORD_0
	v_and_b32_e32 v3, s62, v3
	v_lshlrev_b32_e32 v3, 2, v3
	ds_read_b32 v3, v3
	s_waitcnt lgkmcnt(0)
	v_add_nc_u32_e32 v3, v3, v0
	v_lshlrev_b64 v[39:40], 1, v[3:4]
	v_xor_b32_e32 v3, 0x7fff, v156
	v_add_co_u32 v39, s22, s48, v39
	v_add_co_ci_u32_e64 v40, null, s49, v40, s22
	global_store_short v[39:40], v3, off
	s_or_b32 exec_lo, exec_lo, s23
	v_cmp_lt_u32_e64 s22, v44, v155
	s_and_saveexec_b32 s24, s22
	s_cbranch_execz .LBB914_496
.LBB914_568:                            ;   in Loop: Header=BB914_410 Depth=2
	ds_read_u16 v156, v74 offset:1024
	s_waitcnt lgkmcnt(0)
	v_lshrrev_b32_sdwa v3, s61, v156 dst_sel:DWORD dst_unused:UNUSED_PAD src0_sel:DWORD src1_sel:WORD_0
	v_and_b32_e32 v3, s62, v3
	v_lshlrev_b32_e32 v3, 2, v3
	ds_read_b32 v3, v3
	s_waitcnt lgkmcnt(0)
	v_add_nc_u32_e32 v3, v3, v44
	v_lshlrev_b64 v[39:40], 1, v[3:4]
	v_xor_b32_e32 v3, 0x7fff, v156
	v_add_co_u32 v39, s23, s48, v39
	v_add_co_ci_u32_e64 v40, null, s49, v40, s23
	global_store_short v[39:40], v3, off
	s_or_b32 exec_lo, exec_lo, s24
	v_cmp_lt_u32_e64 s23, v47, v155
	s_and_saveexec_b32 s25, s23
	s_cbranch_execz .LBB914_497
.LBB914_569:                            ;   in Loop: Header=BB914_410 Depth=2
	ds_read_u16 v156, v74 offset:1536
	s_waitcnt lgkmcnt(0)
	v_lshrrev_b32_sdwa v3, s61, v156 dst_sel:DWORD dst_unused:UNUSED_PAD src0_sel:DWORD src1_sel:WORD_0
	v_and_b32_e32 v3, s62, v3
	v_lshlrev_b32_e32 v3, 2, v3
	ds_read_b32 v3, v3
	s_waitcnt lgkmcnt(0)
	v_add_nc_u32_e32 v3, v3, v47
	v_lshlrev_b64 v[39:40], 1, v[3:4]
	v_xor_b32_e32 v3, 0x7fff, v156
	v_add_co_u32 v39, s24, s48, v39
	v_add_co_ci_u32_e64 v40, null, s49, v40, s24
	global_store_short v[39:40], v3, off
	s_or_b32 exec_lo, exec_lo, s25
	v_cmp_lt_u32_e64 s24, v48, v155
	s_and_saveexec_b32 s26, s24
	s_cbranch_execz .LBB914_498
.LBB914_570:                            ;   in Loop: Header=BB914_410 Depth=2
	ds_read_u16 v156, v74 offset:2048
	s_waitcnt lgkmcnt(0)
	v_lshrrev_b32_sdwa v3, s61, v156 dst_sel:DWORD dst_unused:UNUSED_PAD src0_sel:DWORD src1_sel:WORD_0
	v_and_b32_e32 v3, s62, v3
	v_lshlrev_b32_e32 v3, 2, v3
	ds_read_b32 v3, v3
	s_waitcnt lgkmcnt(0)
	v_add_nc_u32_e32 v3, v3, v48
	v_lshlrev_b64 v[39:40], 1, v[3:4]
	v_xor_b32_e32 v3, 0x7fff, v156
	v_add_co_u32 v39, s25, s48, v39
	v_add_co_ci_u32_e64 v40, null, s49, v40, s25
	global_store_short v[39:40], v3, off
	s_or_b32 exec_lo, exec_lo, s26
	v_cmp_lt_u32_e64 s25, v49, v155
	s_and_saveexec_b32 s27, s25
	s_cbranch_execz .LBB914_499
.LBB914_571:                            ;   in Loop: Header=BB914_410 Depth=2
	ds_read_u16 v156, v74 offset:2560
	s_waitcnt lgkmcnt(0)
	v_lshrrev_b32_sdwa v3, s61, v156 dst_sel:DWORD dst_unused:UNUSED_PAD src0_sel:DWORD src1_sel:WORD_0
	v_and_b32_e32 v3, s62, v3
	v_lshlrev_b32_e32 v3, 2, v3
	ds_read_b32 v3, v3
	s_waitcnt lgkmcnt(0)
	v_add_nc_u32_e32 v3, v3, v49
	v_lshlrev_b64 v[39:40], 1, v[3:4]
	v_xor_b32_e32 v3, 0x7fff, v156
	v_add_co_u32 v39, s26, s48, v39
	v_add_co_ci_u32_e64 v40, null, s49, v40, s26
	global_store_short v[39:40], v3, off
	s_or_b32 exec_lo, exec_lo, s27
	v_cmp_lt_u32_e64 s26, v50, v155
	s_and_saveexec_b32 s29, s26
	s_cbranch_execz .LBB914_500
.LBB914_572:                            ;   in Loop: Header=BB914_410 Depth=2
	ds_read_u16 v156, v74 offset:3072
	s_waitcnt lgkmcnt(0)
	v_lshrrev_b32_sdwa v3, s61, v156 dst_sel:DWORD dst_unused:UNUSED_PAD src0_sel:DWORD src1_sel:WORD_0
	v_and_b32_e32 v3, s62, v3
	v_lshlrev_b32_e32 v3, 2, v3
	ds_read_b32 v3, v3
	s_waitcnt lgkmcnt(0)
	v_add_nc_u32_e32 v3, v3, v50
	v_lshlrev_b64 v[39:40], 1, v[3:4]
	v_xor_b32_e32 v3, 0x7fff, v156
	v_add_co_u32 v39, s27, s48, v39
	v_add_co_ci_u32_e64 v40, null, s49, v40, s27
	global_store_short v[39:40], v3, off
	s_or_b32 exec_lo, exec_lo, s29
	v_cmp_lt_u32_e64 s27, v51, v155
	s_and_saveexec_b32 s30, s27
	s_cbranch_execz .LBB914_501
.LBB914_573:                            ;   in Loop: Header=BB914_410 Depth=2
	ds_read_u16 v156, v74 offset:3584
	s_waitcnt lgkmcnt(0)
	v_lshrrev_b32_sdwa v3, s61, v156 dst_sel:DWORD dst_unused:UNUSED_PAD src0_sel:DWORD src1_sel:WORD_0
	v_and_b32_e32 v3, s62, v3
	v_lshlrev_b32_e32 v3, 2, v3
	ds_read_b32 v3, v3
	s_waitcnt lgkmcnt(0)
	v_add_nc_u32_e32 v3, v3, v51
	v_lshlrev_b64 v[39:40], 1, v[3:4]
	v_xor_b32_e32 v3, 0x7fff, v156
	v_add_co_u32 v39, s29, s48, v39
	v_add_co_ci_u32_e64 v40, null, s49, v40, s29
	global_store_short v[39:40], v3, off
	s_or_b32 exec_lo, exec_lo, s30
	v_cmp_lt_u32_e64 s29, v52, v155
	s_and_saveexec_b32 s31, s29
	s_cbranch_execz .LBB914_502
.LBB914_574:                            ;   in Loop: Header=BB914_410 Depth=2
	ds_read_u16 v156, v74 offset:4096
	s_waitcnt lgkmcnt(0)
	v_lshrrev_b32_sdwa v3, s61, v156 dst_sel:DWORD dst_unused:UNUSED_PAD src0_sel:DWORD src1_sel:WORD_0
	v_and_b32_e32 v3, s62, v3
	v_lshlrev_b32_e32 v3, 2, v3
	ds_read_b32 v3, v3
	s_waitcnt lgkmcnt(0)
	v_add_nc_u32_e32 v3, v3, v52
	v_lshlrev_b64 v[39:40], 1, v[3:4]
	v_xor_b32_e32 v3, 0x7fff, v156
	v_add_co_u32 v39, s30, s48, v39
	v_add_co_ci_u32_e64 v40, null, s49, v40, s30
	global_store_short v[39:40], v3, off
	s_or_b32 exec_lo, exec_lo, s31
	v_cmp_lt_u32_e64 s30, v53, v155
	s_and_saveexec_b32 s33, s30
	s_cbranch_execz .LBB914_503
.LBB914_575:                            ;   in Loop: Header=BB914_410 Depth=2
	ds_read_u16 v156, v74 offset:4608
	s_waitcnt lgkmcnt(0)
	v_lshrrev_b32_sdwa v3, s61, v156 dst_sel:DWORD dst_unused:UNUSED_PAD src0_sel:DWORD src1_sel:WORD_0
	v_and_b32_e32 v3, s62, v3
	v_lshlrev_b32_e32 v3, 2, v3
	ds_read_b32 v3, v3
	s_waitcnt lgkmcnt(0)
	v_add_nc_u32_e32 v3, v3, v53
	v_lshlrev_b64 v[39:40], 1, v[3:4]
	v_xor_b32_e32 v3, 0x7fff, v156
	v_add_co_u32 v39, s31, s48, v39
	v_add_co_ci_u32_e64 v40, null, s49, v40, s31
	global_store_short v[39:40], v3, off
	s_or_b32 exec_lo, exec_lo, s33
	v_cmp_lt_u32_e64 s31, v54, v155
	s_and_saveexec_b32 s34, s31
	s_cbranch_execz .LBB914_504
.LBB914_576:                            ;   in Loop: Header=BB914_410 Depth=2
	ds_read_u16 v156, v74 offset:5120
	s_waitcnt lgkmcnt(0)
	v_lshrrev_b32_sdwa v3, s61, v156 dst_sel:DWORD dst_unused:UNUSED_PAD src0_sel:DWORD src1_sel:WORD_0
	v_and_b32_e32 v3, s62, v3
	v_lshlrev_b32_e32 v3, 2, v3
	ds_read_b32 v3, v3
	s_waitcnt lgkmcnt(0)
	v_add_nc_u32_e32 v3, v3, v54
	v_lshlrev_b64 v[39:40], 1, v[3:4]
	v_xor_b32_e32 v3, 0x7fff, v156
	v_add_co_u32 v39, s33, s48, v39
	v_add_co_ci_u32_e64 v40, null, s49, v40, s33
	global_store_short v[39:40], v3, off
	s_or_b32 exec_lo, exec_lo, s34
	v_cmp_lt_u32_e64 s33, v55, v155
	s_and_saveexec_b32 s35, s33
	s_cbranch_execz .LBB914_505
.LBB914_577:                            ;   in Loop: Header=BB914_410 Depth=2
	ds_read_u16 v156, v74 offset:5632
	s_waitcnt lgkmcnt(0)
	v_lshrrev_b32_sdwa v3, s61, v156 dst_sel:DWORD dst_unused:UNUSED_PAD src0_sel:DWORD src1_sel:WORD_0
	v_and_b32_e32 v3, s62, v3
	v_lshlrev_b32_e32 v3, 2, v3
	ds_read_b32 v3, v3
	s_waitcnt lgkmcnt(0)
	v_add_nc_u32_e32 v3, v3, v55
	v_lshlrev_b64 v[39:40], 1, v[3:4]
	v_xor_b32_e32 v3, 0x7fff, v156
	v_add_co_u32 v39, s34, s48, v39
	v_add_co_ci_u32_e64 v40, null, s49, v40, s34
	global_store_short v[39:40], v3, off
	s_or_b32 exec_lo, exec_lo, s35
	v_cmp_lt_u32_e64 s34, v56, v155
	s_and_saveexec_b32 s36, s34
	s_cbranch_execz .LBB914_506
.LBB914_578:                            ;   in Loop: Header=BB914_410 Depth=2
	ds_read_u16 v156, v74 offset:6144
	s_waitcnt lgkmcnt(0)
	v_lshrrev_b32_sdwa v3, s61, v156 dst_sel:DWORD dst_unused:UNUSED_PAD src0_sel:DWORD src1_sel:WORD_0
	v_and_b32_e32 v3, s62, v3
	v_lshlrev_b32_e32 v3, 2, v3
	ds_read_b32 v3, v3
	s_waitcnt lgkmcnt(0)
	v_add_nc_u32_e32 v3, v3, v56
	v_lshlrev_b64 v[39:40], 1, v[3:4]
	v_xor_b32_e32 v3, 0x7fff, v156
	v_add_co_u32 v39, s35, s48, v39
	v_add_co_ci_u32_e64 v40, null, s49, v40, s35
	global_store_short v[39:40], v3, off
	s_or_b32 exec_lo, exec_lo, s36
	v_cmp_lt_u32_e64 s35, v57, v155
	s_and_saveexec_b32 s37, s35
	s_cbranch_execz .LBB914_507
.LBB914_579:                            ;   in Loop: Header=BB914_410 Depth=2
	ds_read_u16 v156, v74 offset:6656
	s_waitcnt lgkmcnt(0)
	v_lshrrev_b32_sdwa v3, s61, v156 dst_sel:DWORD dst_unused:UNUSED_PAD src0_sel:DWORD src1_sel:WORD_0
	v_and_b32_e32 v3, s62, v3
	v_lshlrev_b32_e32 v3, 2, v3
	ds_read_b32 v3, v3
	s_waitcnt lgkmcnt(0)
	v_add_nc_u32_e32 v3, v3, v57
	v_lshlrev_b64 v[39:40], 1, v[3:4]
	v_xor_b32_e32 v3, 0x7fff, v156
	v_add_co_u32 v39, s36, s48, v39
	v_add_co_ci_u32_e64 v40, null, s49, v40, s36
	global_store_short v[39:40], v3, off
	s_or_b32 exec_lo, exec_lo, s37
	v_cmp_lt_u32_e64 s36, v58, v155
	s_and_saveexec_b32 s38, s36
	s_cbranch_execz .LBB914_508
.LBB914_580:                            ;   in Loop: Header=BB914_410 Depth=2
	ds_read_u16 v156, v74 offset:7168
	s_waitcnt lgkmcnt(0)
	v_lshrrev_b32_sdwa v3, s61, v156 dst_sel:DWORD dst_unused:UNUSED_PAD src0_sel:DWORD src1_sel:WORD_0
	v_and_b32_e32 v3, s62, v3
	v_lshlrev_b32_e32 v3, 2, v3
	ds_read_b32 v3, v3
	s_waitcnt lgkmcnt(0)
	v_add_nc_u32_e32 v3, v3, v58
	v_lshlrev_b64 v[39:40], 1, v[3:4]
	v_xor_b32_e32 v3, 0x7fff, v156
	v_add_co_u32 v39, s37, s48, v39
	v_add_co_ci_u32_e64 v40, null, s49, v40, s37
	global_store_short v[39:40], v3, off
	s_or_b32 exec_lo, exec_lo, s38
	v_cmp_lt_u32_e64 s37, v59, v155
	s_and_saveexec_b32 s39, s37
	s_cbranch_execz .LBB914_509
.LBB914_581:                            ;   in Loop: Header=BB914_410 Depth=2
	ds_read_u16 v156, v74 offset:7680
	s_waitcnt lgkmcnt(0)
	v_lshrrev_b32_sdwa v3, s61, v156 dst_sel:DWORD dst_unused:UNUSED_PAD src0_sel:DWORD src1_sel:WORD_0
	v_and_b32_e32 v3, s62, v3
	v_lshlrev_b32_e32 v3, 2, v3
	ds_read_b32 v3, v3
	s_waitcnt lgkmcnt(0)
	v_add_nc_u32_e32 v3, v3, v59
	v_lshlrev_b64 v[39:40], 1, v[3:4]
	v_xor_b32_e32 v3, 0x7fff, v156
	v_add_co_u32 v39, s38, s48, v39
	v_add_co_ci_u32_e64 v40, null, s49, v40, s38
	global_store_short v[39:40], v3, off
	s_or_b32 exec_lo, exec_lo, s39
	v_cmp_lt_u32_e64 s38, v60, v155
	s_and_saveexec_b32 s40, s38
	s_cbranch_execz .LBB914_510
.LBB914_582:                            ;   in Loop: Header=BB914_410 Depth=2
	ds_read_u16 v156, v74 offset:8192
	s_waitcnt lgkmcnt(0)
	v_lshrrev_b32_sdwa v3, s61, v156 dst_sel:DWORD dst_unused:UNUSED_PAD src0_sel:DWORD src1_sel:WORD_0
	v_and_b32_e32 v3, s62, v3
	v_lshlrev_b32_e32 v3, 2, v3
	ds_read_b32 v3, v3
	s_waitcnt lgkmcnt(0)
	v_add_nc_u32_e32 v3, v3, v60
	v_lshlrev_b64 v[39:40], 1, v[3:4]
	v_xor_b32_e32 v3, 0x7fff, v156
	v_add_co_u32 v39, s39, s48, v39
	v_add_co_ci_u32_e64 v40, null, s49, v40, s39
	global_store_short v[39:40], v3, off
	s_or_b32 exec_lo, exec_lo, s40
	v_cmp_lt_u32_e64 s39, v61, v155
	s_and_saveexec_b32 s65, s39
	s_cbranch_execnz .LBB914_511
	s_branch .LBB914_512
.LBB914_583:                            ;   in Loop: Header=BB914_410 Depth=2
	global_load_dwordx2 v[37:38], v[39:40], off
	s_or_b32 exec_lo, exec_lo, s40
	s_mov_b32 s50, exec_lo
	v_cmpx_lt_u32_e64 v98, v155
	s_cbranch_execz .LBB914_514
.LBB914_584:                            ;   in Loop: Header=BB914_410 Depth=2
	global_load_dwordx2 v[35:36], v[39:40], off offset:256
	s_or_b32 exec_lo, exec_lo, s50
	s_mov_b32 s50, exec_lo
	v_cmpx_lt_u32_e64 v99, v155
	s_cbranch_execz .LBB914_515
.LBB914_585:                            ;   in Loop: Header=BB914_410 Depth=2
	global_load_dwordx2 v[33:34], v[39:40], off offset:512
	s_or_b32 exec_lo, exec_lo, s50
	s_mov_b32 s50, exec_lo
	v_cmpx_lt_u32_e64 v100, v155
	s_cbranch_execz .LBB914_516
.LBB914_586:                            ;   in Loop: Header=BB914_410 Depth=2
	global_load_dwordx2 v[31:32], v[39:40], off offset:768
	s_or_b32 exec_lo, exec_lo, s50
	s_mov_b32 s50, exec_lo
	v_cmpx_lt_u32_e64 v101, v155
	s_cbranch_execz .LBB914_517
.LBB914_587:                            ;   in Loop: Header=BB914_410 Depth=2
	global_load_dwordx2 v[29:30], v[39:40], off offset:1024
	s_or_b32 exec_lo, exec_lo, s50
	s_mov_b32 s50, exec_lo
	v_cmpx_lt_u32_e64 v102, v155
	s_cbranch_execz .LBB914_518
.LBB914_588:                            ;   in Loop: Header=BB914_410 Depth=2
	global_load_dwordx2 v[25:26], v[39:40], off offset:1280
	s_or_b32 exec_lo, exec_lo, s50
	s_mov_b32 s50, exec_lo
	v_cmpx_lt_u32_e64 v103, v155
	s_cbranch_execz .LBB914_519
.LBB914_589:                            ;   in Loop: Header=BB914_410 Depth=2
	global_load_dwordx2 v[21:22], v[39:40], off offset:1536
	s_or_b32 exec_lo, exec_lo, s50
	s_mov_b32 s50, exec_lo
	v_cmpx_lt_u32_e64 v104, v155
	s_cbranch_execz .LBB914_520
.LBB914_590:                            ;   in Loop: Header=BB914_410 Depth=2
	global_load_dwordx2 v[17:18], v[39:40], off offset:1792
	s_or_b32 exec_lo, exec_lo, s50
	s_mov_b32 s50, exec_lo
	v_cmpx_lt_u32_e64 v105, v155
	s_cbranch_execz .LBB914_521
.LBB914_591:                            ;   in Loop: Header=BB914_410 Depth=2
	v_add_co_u32 v27, s40, 0x800, v39
	v_add_co_ci_u32_e64 v28, null, 0, v40, s40
	global_load_dwordx2 v[27:28], v[27:28], off
	s_or_b32 exec_lo, exec_lo, s50
	s_mov_b32 s50, exec_lo
	v_cmpx_lt_u32_e64 v106, v155
	s_cbranch_execz .LBB914_522
.LBB914_592:                            ;   in Loop: Header=BB914_410 Depth=2
	v_add_co_u32 v23, s40, 0x800, v39
	v_add_co_ci_u32_e64 v24, null, 0, v40, s40
	global_load_dwordx2 v[23:24], v[23:24], off offset:256
	s_or_b32 exec_lo, exec_lo, s50
	s_mov_b32 s50, exec_lo
	v_cmpx_lt_u32_e64 v107, v155
	s_cbranch_execz .LBB914_523
.LBB914_593:                            ;   in Loop: Header=BB914_410 Depth=2
	v_add_co_u32 v19, s40, 0x800, v39
	v_add_co_ci_u32_e64 v20, null, 0, v40, s40
	global_load_dwordx2 v[19:20], v[19:20], off offset:512
	s_or_b32 exec_lo, exec_lo, s50
	s_mov_b32 s50, exec_lo
	v_cmpx_lt_u32_e64 v108, v155
	s_cbranch_execz .LBB914_524
.LBB914_594:                            ;   in Loop: Header=BB914_410 Depth=2
	v_add_co_u32 v15, s40, 0x800, v39
	v_add_co_ci_u32_e64 v16, null, 0, v40, s40
	global_load_dwordx2 v[15:16], v[15:16], off offset:768
	s_or_b32 exec_lo, exec_lo, s50
	s_mov_b32 s50, exec_lo
	v_cmpx_lt_u32_e64 v128, v155
	s_cbranch_execz .LBB914_525
.LBB914_595:                            ;   in Loop: Header=BB914_410 Depth=2
	v_add_co_u32 v13, s40, 0x800, v39
	v_add_co_ci_u32_e64 v14, null, 0, v40, s40
	global_load_dwordx2 v[13:14], v[13:14], off offset:1024
	s_or_b32 exec_lo, exec_lo, s50
	s_mov_b32 s50, exec_lo
	v_cmpx_lt_u32_e64 v129, v155
	s_cbranch_execz .LBB914_526
.LBB914_596:                            ;   in Loop: Header=BB914_410 Depth=2
	v_add_co_u32 v11, s40, 0x800, v39
	v_add_co_ci_u32_e64 v12, null, 0, v40, s40
	global_load_dwordx2 v[11:12], v[11:12], off offset:1280
	s_or_b32 exec_lo, exec_lo, s50
	s_mov_b32 s50, exec_lo
	v_cmpx_lt_u32_e64 v130, v155
	s_cbranch_execz .LBB914_527
.LBB914_597:                            ;   in Loop: Header=BB914_410 Depth=2
	v_add_co_u32 v9, s40, 0x800, v39
	v_add_co_ci_u32_e64 v10, null, 0, v40, s40
	global_load_dwordx2 v[9:10], v[9:10], off offset:1536
	s_or_b32 exec_lo, exec_lo, s50
	s_mov_b32 s50, exec_lo
	v_cmpx_lt_u32_e64 v131, v155
	s_cbranch_execz .LBB914_528
.LBB914_598:                            ;   in Loop: Header=BB914_410 Depth=2
	v_add_co_u32 v7, s40, 0x800, v39
	v_add_co_ci_u32_e64 v8, null, 0, v40, s40
	global_load_dwordx2 v[7:8], v[7:8], off offset:1792
	s_or_b32 exec_lo, exec_lo, s50
	s_mov_b32 s50, exec_lo
	v_cmpx_lt_u32_e64 v132, v155
	s_cbranch_execz .LBB914_529
.LBB914_599:                            ;   in Loop: Header=BB914_410 Depth=2
	v_add_co_u32 v5, s40, 0x1000, v39
	v_add_co_ci_u32_e64 v6, null, 0, v40, s40
	global_load_dwordx2 v[5:6], v[5:6], off
	s_or_b32 exec_lo, exec_lo, s50
	s_and_saveexec_b32 s40, vcc_lo
	s_cbranch_execz .LBB914_530
.LBB914_600:                            ;   in Loop: Header=BB914_410 Depth=2
	ds_read_u16 v3, v74 offset:512
	s_waitcnt lgkmcnt(0)
	v_lshrrev_b32_e32 v3, s61, v3
	v_and_b32_e32 v153, s62, v3
	s_or_b32 exec_lo, exec_lo, s40
	s_and_saveexec_b32 s40, s22
	s_cbranch_execz .LBB914_531
.LBB914_601:                            ;   in Loop: Header=BB914_410 Depth=2
	ds_read_u16 v3, v74 offset:1024
	s_waitcnt lgkmcnt(0)
	v_lshrrev_b32_e32 v3, s61, v3
	v_and_b32_e32 v152, s62, v3
	s_or_b32 exec_lo, exec_lo, s40
	s_and_saveexec_b32 s40, s23
	s_cbranch_execz .LBB914_532
.LBB914_602:                            ;   in Loop: Header=BB914_410 Depth=2
	ds_read_u16 v3, v74 offset:1536
	s_waitcnt lgkmcnt(0)
	v_lshrrev_b32_e32 v3, s61, v3
	v_and_b32_e32 v150, s62, v3
	s_or_b32 exec_lo, exec_lo, s40
	s_and_saveexec_b32 s40, s24
	s_cbranch_execz .LBB914_533
.LBB914_603:                            ;   in Loop: Header=BB914_410 Depth=2
	ds_read_u16 v3, v74 offset:2048
	s_waitcnt lgkmcnt(0)
	v_lshrrev_b32_e32 v3, s61, v3
	v_and_b32_e32 v149, s62, v3
	s_or_b32 exec_lo, exec_lo, s40
	s_and_saveexec_b32 s40, s25
	s_cbranch_execz .LBB914_534
.LBB914_604:                            ;   in Loop: Header=BB914_410 Depth=2
	ds_read_u16 v3, v74 offset:2560
	s_waitcnt lgkmcnt(0)
	v_lshrrev_b32_e32 v3, s61, v3
	v_and_b32_e32 v148, s62, v3
	s_or_b32 exec_lo, exec_lo, s40
	s_and_saveexec_b32 s40, s26
	s_cbranch_execz .LBB914_535
.LBB914_605:                            ;   in Loop: Header=BB914_410 Depth=2
	ds_read_u16 v3, v74 offset:3072
	s_waitcnt lgkmcnt(0)
	v_lshrrev_b32_e32 v3, s61, v3
	v_and_b32_e32 v147, s62, v3
	s_or_b32 exec_lo, exec_lo, s40
	s_and_saveexec_b32 s40, s27
	s_cbranch_execz .LBB914_536
.LBB914_606:                            ;   in Loop: Header=BB914_410 Depth=2
	ds_read_u16 v3, v74 offset:3584
	s_waitcnt lgkmcnt(0)
	v_lshrrev_b32_e32 v3, s61, v3
	v_and_b32_e32 v146, s62, v3
	s_or_b32 exec_lo, exec_lo, s40
	s_and_saveexec_b32 s40, s29
	s_cbranch_execz .LBB914_537
.LBB914_607:                            ;   in Loop: Header=BB914_410 Depth=2
	ds_read_u16 v3, v74 offset:4096
	s_waitcnt lgkmcnt(0)
	v_lshrrev_b32_e32 v3, s61, v3
	v_and_b32_e32 v145, s62, v3
	s_or_b32 exec_lo, exec_lo, s40
	s_and_saveexec_b32 s40, s30
	s_cbranch_execz .LBB914_538
.LBB914_608:                            ;   in Loop: Header=BB914_410 Depth=2
	ds_read_u16 v3, v74 offset:4608
	s_waitcnt lgkmcnt(0)
	v_lshrrev_b32_e32 v3, s61, v3
	v_and_b32_e32 v144, s62, v3
	s_or_b32 exec_lo, exec_lo, s40
	s_and_saveexec_b32 s40, s31
	s_cbranch_execz .LBB914_539
.LBB914_609:                            ;   in Loop: Header=BB914_410 Depth=2
	ds_read_u16 v3, v74 offset:5120
	s_waitcnt lgkmcnt(0)
	v_lshrrev_b32_e32 v3, s61, v3
	v_and_b32_e32 v143, s62, v3
	s_or_b32 exec_lo, exec_lo, s40
	s_and_saveexec_b32 s40, s33
	s_cbranch_execz .LBB914_540
.LBB914_610:                            ;   in Loop: Header=BB914_410 Depth=2
	ds_read_u16 v3, v74 offset:5632
	s_waitcnt lgkmcnt(0)
	v_lshrrev_b32_e32 v3, s61, v3
	v_and_b32_e32 v142, s62, v3
	s_or_b32 exec_lo, exec_lo, s40
	s_and_saveexec_b32 s40, s34
	s_cbranch_execz .LBB914_541
.LBB914_611:                            ;   in Loop: Header=BB914_410 Depth=2
	ds_read_u16 v3, v74 offset:6144
	s_waitcnt lgkmcnt(0)
	v_lshrrev_b32_e32 v3, s61, v3
	v_and_b32_e32 v141, s62, v3
	s_or_b32 exec_lo, exec_lo, s40
	s_and_saveexec_b32 s40, s35
	s_cbranch_execz .LBB914_542
.LBB914_612:                            ;   in Loop: Header=BB914_410 Depth=2
	ds_read_u16 v3, v74 offset:6656
	s_waitcnt lgkmcnt(0)
	v_lshrrev_b32_e32 v3, s61, v3
	v_and_b32_e32 v140, s62, v3
	s_or_b32 exec_lo, exec_lo, s40
	s_and_saveexec_b32 s40, s36
	s_cbranch_execz .LBB914_543
.LBB914_613:                            ;   in Loop: Header=BB914_410 Depth=2
	ds_read_u16 v3, v74 offset:7168
	s_waitcnt lgkmcnt(0)
	v_lshrrev_b32_e32 v3, s61, v3
	v_and_b32_e32 v139, s62, v3
	s_or_b32 exec_lo, exec_lo, s40
	s_and_saveexec_b32 s40, s37
	s_cbranch_execz .LBB914_544
.LBB914_614:                            ;   in Loop: Header=BB914_410 Depth=2
	ds_read_u16 v3, v74 offset:7680
	s_waitcnt lgkmcnt(0)
	v_lshrrev_b32_e32 v3, s61, v3
	v_and_b32_e32 v138, s62, v3
	s_or_b32 exec_lo, exec_lo, s40
	s_and_saveexec_b32 s40, s38
	s_cbranch_execz .LBB914_545
.LBB914_615:                            ;   in Loop: Header=BB914_410 Depth=2
	ds_read_u16 v3, v74 offset:8192
	s_waitcnt lgkmcnt(0)
	v_lshrrev_b32_e32 v3, s61, v3
	v_and_b32_e32 v137, s62, v3
	s_or_b32 exec_lo, exec_lo, s40
	s_and_saveexec_b32 s40, s39
	s_cbranch_execnz .LBB914_546
	s_branch .LBB914_547
.LBB914_616:                            ;   in Loop: Header=BB914_410 Depth=2
	v_lshlrev_b32_e32 v3, 2, v153
	v_add_nc_u32_e32 v39, v74, v75
	ds_read_b32 v3, v3
	ds_read_b64 v[39:40], v39 offset:512
	s_waitcnt lgkmcnt(1)
	v_add_nc_u32_e32 v3, v3, v0
	v_lshlrev_b64 v[41:42], 3, v[3:4]
	v_add_co_u32 v41, vcc_lo, s54, v41
	v_add_co_ci_u32_e64 v42, null, s55, v42, vcc_lo
	s_waitcnt lgkmcnt(0)
	global_store_dwordx2 v[41:42], v[39:40], off
	s_or_b32 exec_lo, exec_lo, s40
	s_and_saveexec_b32 s40, s22
	s_cbranch_execz .LBB914_549
.LBB914_617:                            ;   in Loop: Header=BB914_410 Depth=2
	v_lshlrev_b32_e32 v3, 2, v152
	v_add_nc_u32_e32 v39, v74, v75
	ds_read_b32 v3, v3
	ds_read_b64 v[39:40], v39 offset:2560
	s_waitcnt lgkmcnt(1)
	v_add_nc_u32_e32 v3, v3, v44
	v_lshlrev_b64 v[41:42], 3, v[3:4]
	v_add_co_u32 v41, vcc_lo, s54, v41
	v_add_co_ci_u32_e64 v42, null, s55, v42, vcc_lo
	s_waitcnt lgkmcnt(0)
	global_store_dwordx2 v[41:42], v[39:40], off
	s_or_b32 exec_lo, exec_lo, s40
	s_and_saveexec_b32 s22, s23
	s_cbranch_execz .LBB914_550
.LBB914_618:                            ;   in Loop: Header=BB914_410 Depth=2
	v_lshlrev_b32_e32 v3, 2, v150
	v_add_nc_u32_e32 v39, v74, v75
	ds_read_b32 v3, v3
	ds_read_b64 v[39:40], v39 offset:4608
	s_waitcnt lgkmcnt(1)
	v_add_nc_u32_e32 v3, v3, v47
	v_lshlrev_b64 v[41:42], 3, v[3:4]
	v_add_co_u32 v41, vcc_lo, s54, v41
	v_add_co_ci_u32_e64 v42, null, s55, v42, vcc_lo
	s_waitcnt lgkmcnt(0)
	global_store_dwordx2 v[41:42], v[39:40], off
	s_or_b32 exec_lo, exec_lo, s22
	s_and_saveexec_b32 s22, s24
	s_cbranch_execz .LBB914_551
.LBB914_619:                            ;   in Loop: Header=BB914_410 Depth=2
	v_lshlrev_b32_e32 v3, 2, v149
	v_add_nc_u32_e32 v39, v74, v75
	ds_read_b32 v3, v3
	ds_read_b64 v[39:40], v39 offset:6656
	s_waitcnt lgkmcnt(1)
	v_add_nc_u32_e32 v3, v3, v48
	v_lshlrev_b64 v[41:42], 3, v[3:4]
	v_add_co_u32 v41, vcc_lo, s54, v41
	v_add_co_ci_u32_e64 v42, null, s55, v42, vcc_lo
	s_waitcnt lgkmcnt(0)
	global_store_dwordx2 v[41:42], v[39:40], off
	s_or_b32 exec_lo, exec_lo, s22
	s_and_saveexec_b32 s22, s25
	s_cbranch_execz .LBB914_552
.LBB914_620:                            ;   in Loop: Header=BB914_410 Depth=2
	v_lshlrev_b32_e32 v3, 2, v148
	v_add_nc_u32_e32 v39, v74, v75
	ds_read_b32 v3, v3
	ds_read_b64 v[39:40], v39 offset:8704
	s_waitcnt lgkmcnt(1)
	v_add_nc_u32_e32 v3, v3, v49
	v_lshlrev_b64 v[41:42], 3, v[3:4]
	v_add_co_u32 v41, vcc_lo, s54, v41
	v_add_co_ci_u32_e64 v42, null, s55, v42, vcc_lo
	s_waitcnt lgkmcnt(0)
	global_store_dwordx2 v[41:42], v[39:40], off
	s_or_b32 exec_lo, exec_lo, s22
	s_and_saveexec_b32 s22, s26
	s_cbranch_execz .LBB914_553
.LBB914_621:                            ;   in Loop: Header=BB914_410 Depth=2
	v_lshlrev_b32_e32 v3, 2, v147
	v_add_nc_u32_e32 v39, v74, v75
	ds_read_b32 v3, v3
	ds_read_b64 v[39:40], v39 offset:10752
	s_waitcnt lgkmcnt(1)
	v_add_nc_u32_e32 v3, v3, v50
	v_lshlrev_b64 v[41:42], 3, v[3:4]
	v_add_co_u32 v41, vcc_lo, s54, v41
	v_add_co_ci_u32_e64 v42, null, s55, v42, vcc_lo
	s_waitcnt lgkmcnt(0)
	global_store_dwordx2 v[41:42], v[39:40], off
	s_or_b32 exec_lo, exec_lo, s22
	s_and_saveexec_b32 s22, s27
	s_cbranch_execz .LBB914_554
.LBB914_622:                            ;   in Loop: Header=BB914_410 Depth=2
	v_lshlrev_b32_e32 v3, 2, v146
	v_add_nc_u32_e32 v39, v74, v75
	ds_read_b32 v3, v3
	ds_read_b64 v[39:40], v39 offset:12800
	s_waitcnt lgkmcnt(1)
	v_add_nc_u32_e32 v3, v3, v51
	v_lshlrev_b64 v[41:42], 3, v[3:4]
	v_add_co_u32 v41, vcc_lo, s54, v41
	v_add_co_ci_u32_e64 v42, null, s55, v42, vcc_lo
	s_waitcnt lgkmcnt(0)
	global_store_dwordx2 v[41:42], v[39:40], off
	s_or_b32 exec_lo, exec_lo, s22
	s_and_saveexec_b32 s22, s29
	s_cbranch_execz .LBB914_555
.LBB914_623:                            ;   in Loop: Header=BB914_410 Depth=2
	v_lshlrev_b32_e32 v3, 2, v145
	v_add_nc_u32_e32 v39, v74, v75
	ds_read_b32 v3, v3
	ds_read_b64 v[39:40], v39 offset:14848
	s_waitcnt lgkmcnt(1)
	v_add_nc_u32_e32 v3, v3, v52
	v_lshlrev_b64 v[41:42], 3, v[3:4]
	v_add_co_u32 v41, vcc_lo, s54, v41
	v_add_co_ci_u32_e64 v42, null, s55, v42, vcc_lo
	s_waitcnt lgkmcnt(0)
	global_store_dwordx2 v[41:42], v[39:40], off
	s_or_b32 exec_lo, exec_lo, s22
	s_and_saveexec_b32 s22, s30
	s_cbranch_execz .LBB914_556
.LBB914_624:                            ;   in Loop: Header=BB914_410 Depth=2
	v_lshlrev_b32_e32 v3, 2, v144
	v_add_nc_u32_e32 v39, v74, v75
	ds_read_b32 v3, v3
	ds_read_b64 v[39:40], v39 offset:16896
	s_waitcnt lgkmcnt(1)
	v_add_nc_u32_e32 v3, v3, v53
	v_lshlrev_b64 v[41:42], 3, v[3:4]
	v_add_co_u32 v41, vcc_lo, s54, v41
	v_add_co_ci_u32_e64 v42, null, s55, v42, vcc_lo
	s_waitcnt lgkmcnt(0)
	global_store_dwordx2 v[41:42], v[39:40], off
	s_or_b32 exec_lo, exec_lo, s22
	s_and_saveexec_b32 s22, s31
	s_cbranch_execz .LBB914_557
.LBB914_625:                            ;   in Loop: Header=BB914_410 Depth=2
	v_lshlrev_b32_e32 v3, 2, v143
	v_add_nc_u32_e32 v39, v74, v75
	ds_read_b32 v3, v3
	ds_read_b64 v[39:40], v39 offset:18944
	s_waitcnt lgkmcnt(1)
	v_add_nc_u32_e32 v3, v3, v54
	v_lshlrev_b64 v[41:42], 3, v[3:4]
	v_add_co_u32 v41, vcc_lo, s54, v41
	v_add_co_ci_u32_e64 v42, null, s55, v42, vcc_lo
	s_waitcnt lgkmcnt(0)
	global_store_dwordx2 v[41:42], v[39:40], off
	s_or_b32 exec_lo, exec_lo, s22
	s_and_saveexec_b32 s22, s33
	s_cbranch_execz .LBB914_558
.LBB914_626:                            ;   in Loop: Header=BB914_410 Depth=2
	v_lshlrev_b32_e32 v3, 2, v142
	v_add_nc_u32_e32 v39, v74, v75
	ds_read_b32 v3, v3
	ds_read_b64 v[39:40], v39 offset:20992
	s_waitcnt lgkmcnt(1)
	v_add_nc_u32_e32 v3, v3, v55
	v_lshlrev_b64 v[41:42], 3, v[3:4]
	v_add_co_u32 v41, vcc_lo, s54, v41
	v_add_co_ci_u32_e64 v42, null, s55, v42, vcc_lo
	s_waitcnt lgkmcnt(0)
	global_store_dwordx2 v[41:42], v[39:40], off
	s_or_b32 exec_lo, exec_lo, s22
	s_and_saveexec_b32 s22, s34
	s_cbranch_execz .LBB914_559
.LBB914_627:                            ;   in Loop: Header=BB914_410 Depth=2
	v_lshlrev_b32_e32 v3, 2, v141
	v_add_nc_u32_e32 v39, v74, v75
	ds_read_b32 v3, v3
	ds_read_b64 v[39:40], v39 offset:23040
	s_waitcnt lgkmcnt(1)
	v_add_nc_u32_e32 v3, v3, v56
	v_lshlrev_b64 v[41:42], 3, v[3:4]
	v_add_co_u32 v41, vcc_lo, s54, v41
	v_add_co_ci_u32_e64 v42, null, s55, v42, vcc_lo
	s_waitcnt lgkmcnt(0)
	global_store_dwordx2 v[41:42], v[39:40], off
	s_or_b32 exec_lo, exec_lo, s22
	s_and_saveexec_b32 s22, s35
	s_cbranch_execz .LBB914_560
.LBB914_628:                            ;   in Loop: Header=BB914_410 Depth=2
	v_lshlrev_b32_e32 v3, 2, v140
	v_add_nc_u32_e32 v39, v74, v75
	ds_read_b32 v3, v3
	ds_read_b64 v[39:40], v39 offset:25088
	s_waitcnt lgkmcnt(1)
	v_add_nc_u32_e32 v3, v3, v57
	v_lshlrev_b64 v[41:42], 3, v[3:4]
	v_add_co_u32 v41, vcc_lo, s54, v41
	v_add_co_ci_u32_e64 v42, null, s55, v42, vcc_lo
	s_waitcnt lgkmcnt(0)
	global_store_dwordx2 v[41:42], v[39:40], off
	s_or_b32 exec_lo, exec_lo, s22
	s_and_saveexec_b32 s22, s36
	s_cbranch_execz .LBB914_561
.LBB914_629:                            ;   in Loop: Header=BB914_410 Depth=2
	v_lshlrev_b32_e32 v3, 2, v139
	v_add_nc_u32_e32 v39, v74, v75
	ds_read_b32 v3, v3
	ds_read_b64 v[39:40], v39 offset:27136
	s_waitcnt lgkmcnt(1)
	v_add_nc_u32_e32 v3, v3, v58
	v_lshlrev_b64 v[41:42], 3, v[3:4]
	v_add_co_u32 v41, vcc_lo, s54, v41
	v_add_co_ci_u32_e64 v42, null, s55, v42, vcc_lo
	s_waitcnt lgkmcnt(0)
	global_store_dwordx2 v[41:42], v[39:40], off
	s_or_b32 exec_lo, exec_lo, s22
	s_and_saveexec_b32 s22, s37
	s_cbranch_execz .LBB914_562
.LBB914_630:                            ;   in Loop: Header=BB914_410 Depth=2
	v_lshlrev_b32_e32 v3, 2, v138
	v_add_nc_u32_e32 v39, v74, v75
	ds_read_b32 v3, v3
	ds_read_b64 v[39:40], v39 offset:29184
	s_waitcnt lgkmcnt(1)
	v_add_nc_u32_e32 v3, v3, v59
	v_lshlrev_b64 v[41:42], 3, v[3:4]
	v_add_co_u32 v41, vcc_lo, s54, v41
	v_add_co_ci_u32_e64 v42, null, s55, v42, vcc_lo
	s_waitcnt lgkmcnt(0)
	global_store_dwordx2 v[41:42], v[39:40], off
	s_or_b32 exec_lo, exec_lo, s22
	s_and_saveexec_b32 s22, s38
	s_cbranch_execz .LBB914_563
.LBB914_631:                            ;   in Loop: Header=BB914_410 Depth=2
	v_lshlrev_b32_e32 v3, 2, v137
	v_add_nc_u32_e32 v39, v74, v75
	ds_read_b32 v3, v3
	ds_read_b64 v[39:40], v39 offset:31232
	s_waitcnt lgkmcnt(1)
	v_add_nc_u32_e32 v3, v3, v60
	v_lshlrev_b64 v[41:42], 3, v[3:4]
	v_add_co_u32 v41, vcc_lo, s54, v41
	v_add_co_ci_u32_e64 v42, null, s55, v42, vcc_lo
	s_waitcnt lgkmcnt(0)
	global_store_dwordx2 v[41:42], v[39:40], off
	s_or_b32 exec_lo, exec_lo, s22
	s_and_saveexec_b32 s22, s39
	s_cbranch_execnz .LBB914_564
	s_branch .LBB914_565
.LBB914_632:                            ;   in Loop: Header=BB914_12 Depth=1
	s_waitcnt lgkmcnt(0)
	s_barrier
.LBB914_633:                            ;   in Loop: Header=BB914_12 Depth=1
	s_mov_b32 s5, 0
.LBB914_634:                            ;   in Loop: Header=BB914_12 Depth=1
	s_andn2_b32 vcc_lo, exec_lo, s5
	s_cbranch_vccnz .LBB914_11
; %bb.635:                              ;   in Loop: Header=BB914_12 Depth=1
	s_and_b32 vcc_lo, exec_lo, s43
	s_mov_b32 s5, -1
	s_cbranch_vccz .LBB914_945
; %bb.636:                              ;   in Loop: Header=BB914_12 Depth=1
	s_mov_b32 s5, s60
	s_mov_b32 s50, s58
	s_barrier
	buffer_gl0_inv
                                        ; implicit-def: $vgpr3
                                        ; implicit-def: $vgpr5
                                        ; implicit-def: $vgpr6
                                        ; implicit-def: $vgpr7
                                        ; implicit-def: $vgpr8
                                        ; implicit-def: $vgpr9
                                        ; implicit-def: $vgpr10
                                        ; implicit-def: $vgpr11
                                        ; implicit-def: $vgpr12
                                        ; implicit-def: $vgpr13
                                        ; implicit-def: $vgpr14
                                        ; implicit-def: $vgpr15
                                        ; implicit-def: $vgpr16
                                        ; implicit-def: $vgpr17
                                        ; implicit-def: $vgpr18
                                        ; implicit-def: $vgpr19
                                        ; implicit-def: $vgpr20
	s_branch .LBB914_638
.LBB914_637:                            ;   in Loop: Header=BB914_638 Depth=2
	s_or_b32 exec_lo, exec_lo, s16
	s_addk_i32 s5, 0xef00
	s_cmp_ge_u32 s15, s59
	s_mov_b32 s50, s15
	s_cbranch_scc1 .LBB914_710
.LBB914_638:                            ;   Parent Loop BB914_12 Depth=1
                                        ; =>  This Inner Loop Header: Depth=2
	s_add_i32 s15, s50, 0x1100
	s_mov_b32 s16, -1
	s_cmp_gt_u32 s15, s59
                                        ; implicit-def: $vgpr21
                                        ; implicit-def: $vgpr22
                                        ; implicit-def: $vgpr23
                                        ; implicit-def: $vgpr24
                                        ; implicit-def: $vgpr28
                                        ; implicit-def: $vgpr25
                                        ; implicit-def: $vgpr26
                                        ; implicit-def: $vgpr27
                                        ; implicit-def: $vgpr30
                                        ; implicit-def: $vgpr29
                                        ; implicit-def: $vgpr31
                                        ; implicit-def: $vgpr32
                                        ; implicit-def: $vgpr33
                                        ; implicit-def: $vgpr34
                                        ; implicit-def: $vgpr35
                                        ; implicit-def: $vgpr36
                                        ; implicit-def: $vgpr37
	s_cbranch_scc1 .LBB914_640
; %bb.639:                              ;   in Loop: Header=BB914_638 Depth=2
	s_lshl_b64 s[16:17], s[50:51], 1
	v_add_co_u32 v30, vcc_lo, v82, s16
	v_add_co_ci_u32_e64 v31, null, s17, v83, vcc_lo
	s_mov_b32 s16, 0
	v_add_co_u32 v27, vcc_lo, 0x800, v30
	v_add_co_ci_u32_e64 v28, null, 0, v31, vcc_lo
	v_add_co_u32 v32, vcc_lo, v30, 0x1000
	v_add_co_ci_u32_e64 v33, null, 0, v31, vcc_lo
	;; [unrolled: 2-line block ×5, first 2 shown]
	s_clause 0x10
	global_load_ushort v21, v[30:31], off
	global_load_ushort v22, v[30:31], off offset:512
	global_load_ushort v23, v[30:31], off offset:1024
	;; [unrolled: 1-line block ×7, first 2 shown]
	global_load_ushort v28, v[32:33], off offset:-2048
	global_load_ushort v30, v[32:33], off
	global_load_ushort v31, v[34:35], off offset:1024
	global_load_ushort v32, v[34:35], off offset:1536
	global_load_ushort v33, v[38:39], off offset:-2048
	global_load_ushort v34, v[36:37], off offset:512
	global_load_ushort v35, v[36:37], off offset:1024
	;; [unrolled: 1-line block ×3, first 2 shown]
	global_load_ushort v37, v[38:39], off
.LBB914_640:                            ;   in Loop: Header=BB914_638 Depth=2
	s_andn2_b32 vcc_lo, exec_lo, s16
	s_movk_i32 s16, 0x1100
	s_cbranch_vccnz .LBB914_660
; %bb.641:                              ;   in Loop: Header=BB914_638 Depth=2
	s_lshl_b64 s[16:17], s[50:51], 1
	s_mov_b32 s18, exec_lo
	s_add_u32 s16, s44, s16
	s_addc_u32 s17, s45, s17
	v_cmpx_gt_u32_e64 s5, v0
	s_cbranch_execnz .LBB914_694
; %bb.642:                              ;   in Loop: Header=BB914_638 Depth=2
	s_or_b32 exec_lo, exec_lo, s18
	s_mov_b32 s18, exec_lo
	v_cmpx_gt_u32_e64 s5, v44
	s_cbranch_execnz .LBB914_695
.LBB914_643:                            ;   in Loop: Header=BB914_638 Depth=2
	s_or_b32 exec_lo, exec_lo, s18
	s_mov_b32 s18, exec_lo
	v_cmpx_gt_u32_e64 s5, v47
	s_cbranch_execnz .LBB914_696
.LBB914_644:                            ;   in Loop: Header=BB914_638 Depth=2
	s_or_b32 exec_lo, exec_lo, s18
	s_mov_b32 s18, exec_lo
	v_cmpx_gt_u32_e64 s5, v48
	s_cbranch_execnz .LBB914_697
.LBB914_645:                            ;   in Loop: Header=BB914_638 Depth=2
	s_or_b32 exec_lo, exec_lo, s18
	s_mov_b32 s18, exec_lo
	v_cmpx_gt_u32_e64 s5, v49
	s_cbranch_execnz .LBB914_698
.LBB914_646:                            ;   in Loop: Header=BB914_638 Depth=2
	s_or_b32 exec_lo, exec_lo, s18
	s_mov_b32 s18, exec_lo
	v_cmpx_gt_u32_e64 s5, v50
	s_cbranch_execnz .LBB914_699
.LBB914_647:                            ;   in Loop: Header=BB914_638 Depth=2
	s_or_b32 exec_lo, exec_lo, s18
	s_mov_b32 s18, exec_lo
	v_cmpx_gt_u32_e64 s5, v51
	s_cbranch_execnz .LBB914_700
.LBB914_648:                            ;   in Loop: Header=BB914_638 Depth=2
	s_or_b32 exec_lo, exec_lo, s18
	s_mov_b32 s18, exec_lo
	v_cmpx_gt_u32_e64 s5, v52
	s_cbranch_execnz .LBB914_701
.LBB914_649:                            ;   in Loop: Header=BB914_638 Depth=2
	s_or_b32 exec_lo, exec_lo, s18
	s_mov_b32 s18, exec_lo
	v_cmpx_gt_u32_e64 s5, v53
	s_cbranch_execnz .LBB914_702
.LBB914_650:                            ;   in Loop: Header=BB914_638 Depth=2
	s_or_b32 exec_lo, exec_lo, s18
	s_mov_b32 s18, exec_lo
	v_cmpx_gt_u32_e64 s5, v54
	s_cbranch_execnz .LBB914_703
.LBB914_651:                            ;   in Loop: Header=BB914_638 Depth=2
	s_or_b32 exec_lo, exec_lo, s18
	s_mov_b32 s18, exec_lo
	v_cmpx_gt_u32_e64 s5, v55
	s_cbranch_execnz .LBB914_704
.LBB914_652:                            ;   in Loop: Header=BB914_638 Depth=2
	s_or_b32 exec_lo, exec_lo, s18
	s_mov_b32 s18, exec_lo
	v_cmpx_gt_u32_e64 s5, v56
	s_cbranch_execnz .LBB914_705
.LBB914_653:                            ;   in Loop: Header=BB914_638 Depth=2
	s_or_b32 exec_lo, exec_lo, s18
	s_mov_b32 s18, exec_lo
	v_cmpx_gt_u32_e64 s5, v57
	s_cbranch_execnz .LBB914_706
.LBB914_654:                            ;   in Loop: Header=BB914_638 Depth=2
	s_or_b32 exec_lo, exec_lo, s18
	s_mov_b32 s18, exec_lo
	v_cmpx_gt_u32_e64 s5, v58
	s_cbranch_execnz .LBB914_707
.LBB914_655:                            ;   in Loop: Header=BB914_638 Depth=2
	s_or_b32 exec_lo, exec_lo, s18
	s_mov_b32 s18, exec_lo
	v_cmpx_gt_u32_e64 s5, v59
	s_cbranch_execnz .LBB914_708
.LBB914_656:                            ;   in Loop: Header=BB914_638 Depth=2
	s_or_b32 exec_lo, exec_lo, s18
	s_mov_b32 s18, exec_lo
	v_cmpx_gt_u32_e64 s5, v60
	s_cbranch_execnz .LBB914_709
.LBB914_657:                            ;   in Loop: Header=BB914_638 Depth=2
	s_or_b32 exec_lo, exec_lo, s18
	s_mov_b32 s18, exec_lo
	v_cmpx_gt_u32_e64 s5, v61
	s_cbranch_execz .LBB914_659
.LBB914_658:                            ;   in Loop: Header=BB914_638 Depth=2
	global_load_ushort v3, v122, s[16:17]
.LBB914_659:                            ;   in Loop: Header=BB914_638 Depth=2
	s_or_b32 exec_lo, exec_lo, s18
	s_waitcnt vmcnt(0)
	v_mov_b32_e32 v21, v20
	v_mov_b32_e32 v22, v19
	;; [unrolled: 1-line block ×17, first 2 shown]
	s_mov_b32 s16, s5
.LBB914_660:                            ;   in Loop: Header=BB914_638 Depth=2
	s_waitcnt vmcnt(0)
	v_mov_b32_e32 v3, v37
	v_mov_b32_e32 v5, v36
	;; [unrolled: 1-line block ×17, first 2 shown]
	s_mov_b32 s17, exec_lo
	v_cmpx_gt_u32_e64 s16, v0
	s_cbranch_execnz .LBB914_677
; %bb.661:                              ;   in Loop: Header=BB914_638 Depth=2
	s_or_b32 exec_lo, exec_lo, s17
	s_mov_b32 s17, exec_lo
	v_cmpx_gt_u32_e64 s16, v44
	s_cbranch_execnz .LBB914_678
.LBB914_662:                            ;   in Loop: Header=BB914_638 Depth=2
	s_or_b32 exec_lo, exec_lo, s17
	s_mov_b32 s17, exec_lo
	v_cmpx_gt_u32_e64 s16, v47
	s_cbranch_execnz .LBB914_679
.LBB914_663:                            ;   in Loop: Header=BB914_638 Depth=2
	s_or_b32 exec_lo, exec_lo, s17
	s_mov_b32 s17, exec_lo
	v_cmpx_gt_u32_e64 s16, v48
	s_cbranch_execnz .LBB914_680
.LBB914_664:                            ;   in Loop: Header=BB914_638 Depth=2
	s_or_b32 exec_lo, exec_lo, s17
	s_mov_b32 s17, exec_lo
	v_cmpx_gt_u32_e64 s16, v49
	s_cbranch_execnz .LBB914_681
.LBB914_665:                            ;   in Loop: Header=BB914_638 Depth=2
	s_or_b32 exec_lo, exec_lo, s17
	s_mov_b32 s17, exec_lo
	v_cmpx_gt_u32_e64 s16, v50
	s_cbranch_execnz .LBB914_682
.LBB914_666:                            ;   in Loop: Header=BB914_638 Depth=2
	s_or_b32 exec_lo, exec_lo, s17
	s_mov_b32 s17, exec_lo
	v_cmpx_gt_u32_e64 s16, v51
	s_cbranch_execnz .LBB914_683
.LBB914_667:                            ;   in Loop: Header=BB914_638 Depth=2
	s_or_b32 exec_lo, exec_lo, s17
	s_mov_b32 s17, exec_lo
	v_cmpx_gt_u32_e64 s16, v52
	s_cbranch_execnz .LBB914_684
.LBB914_668:                            ;   in Loop: Header=BB914_638 Depth=2
	s_or_b32 exec_lo, exec_lo, s17
	s_mov_b32 s17, exec_lo
	v_cmpx_gt_u32_e64 s16, v53
	s_cbranch_execnz .LBB914_685
.LBB914_669:                            ;   in Loop: Header=BB914_638 Depth=2
	s_or_b32 exec_lo, exec_lo, s17
	s_mov_b32 s17, exec_lo
	v_cmpx_gt_u32_e64 s16, v54
	s_cbranch_execnz .LBB914_686
.LBB914_670:                            ;   in Loop: Header=BB914_638 Depth=2
	s_or_b32 exec_lo, exec_lo, s17
	s_mov_b32 s17, exec_lo
	v_cmpx_gt_u32_e64 s16, v55
	s_cbranch_execnz .LBB914_687
.LBB914_671:                            ;   in Loop: Header=BB914_638 Depth=2
	s_or_b32 exec_lo, exec_lo, s17
	s_mov_b32 s17, exec_lo
	v_cmpx_gt_u32_e64 s16, v56
	s_cbranch_execnz .LBB914_688
.LBB914_672:                            ;   in Loop: Header=BB914_638 Depth=2
	s_or_b32 exec_lo, exec_lo, s17
	s_mov_b32 s17, exec_lo
	v_cmpx_gt_u32_e64 s16, v57
	s_cbranch_execnz .LBB914_689
.LBB914_673:                            ;   in Loop: Header=BB914_638 Depth=2
	s_or_b32 exec_lo, exec_lo, s17
	s_mov_b32 s17, exec_lo
	v_cmpx_gt_u32_e64 s16, v58
	s_cbranch_execnz .LBB914_690
.LBB914_674:                            ;   in Loop: Header=BB914_638 Depth=2
	s_or_b32 exec_lo, exec_lo, s17
	s_mov_b32 s17, exec_lo
	v_cmpx_gt_u32_e64 s16, v59
	s_cbranch_execnz .LBB914_691
.LBB914_675:                            ;   in Loop: Header=BB914_638 Depth=2
	s_or_b32 exec_lo, exec_lo, s17
	s_mov_b32 s17, exec_lo
	v_cmpx_gt_u32_e64 s16, v60
	s_cbranch_execnz .LBB914_692
.LBB914_676:                            ;   in Loop: Header=BB914_638 Depth=2
	s_or_b32 exec_lo, exec_lo, s17
	v_cmp_gt_u32_e32 vcc_lo, s16, v61
	s_and_saveexec_b32 s16, vcc_lo
	s_cbranch_execz .LBB914_637
	s_branch .LBB914_693
.LBB914_677:                            ;   in Loop: Header=BB914_638 Depth=2
	v_xor_b32_e32 v21, 0x7fff, v20
	v_lshrrev_b32_sdwa v21, s41, v21 dst_sel:DWORD dst_unused:UNUSED_PAD src0_sel:DWORD src1_sel:WORD_0
	v_and_b32_e32 v21, s62, v21
	v_lshl_or_b32 v21, v21, 4, v63
	ds_add_u32 v21, v89
	s_or_b32 exec_lo, exec_lo, s17
	s_mov_b32 s17, exec_lo
	v_cmpx_gt_u32_e64 s16, v44
	s_cbranch_execz .LBB914_662
.LBB914_678:                            ;   in Loop: Header=BB914_638 Depth=2
	v_xor_b32_e32 v21, 0x7fff, v19
	v_lshrrev_b32_sdwa v21, s41, v21 dst_sel:DWORD dst_unused:UNUSED_PAD src0_sel:DWORD src1_sel:WORD_0
	v_and_b32_e32 v21, s62, v21
	v_lshl_or_b32 v21, v21, 4, v63
	ds_add_u32 v21, v89
	s_or_b32 exec_lo, exec_lo, s17
	s_mov_b32 s17, exec_lo
	v_cmpx_gt_u32_e64 s16, v47
	s_cbranch_execz .LBB914_663
.LBB914_679:                            ;   in Loop: Header=BB914_638 Depth=2
	v_xor_b32_e32 v21, 0x7fff, v18
	v_lshrrev_b32_sdwa v21, s41, v21 dst_sel:DWORD dst_unused:UNUSED_PAD src0_sel:DWORD src1_sel:WORD_0
	v_and_b32_e32 v21, s62, v21
	v_lshl_or_b32 v21, v21, 4, v63
	ds_add_u32 v21, v89
	s_or_b32 exec_lo, exec_lo, s17
	s_mov_b32 s17, exec_lo
	v_cmpx_gt_u32_e64 s16, v48
	s_cbranch_execz .LBB914_664
.LBB914_680:                            ;   in Loop: Header=BB914_638 Depth=2
	v_xor_b32_e32 v21, 0x7fff, v17
	v_lshrrev_b32_sdwa v21, s41, v21 dst_sel:DWORD dst_unused:UNUSED_PAD src0_sel:DWORD src1_sel:WORD_0
	v_and_b32_e32 v21, s62, v21
	v_lshl_or_b32 v21, v21, 4, v63
	ds_add_u32 v21, v89
	s_or_b32 exec_lo, exec_lo, s17
	s_mov_b32 s17, exec_lo
	v_cmpx_gt_u32_e64 s16, v49
	s_cbranch_execz .LBB914_665
.LBB914_681:                            ;   in Loop: Header=BB914_638 Depth=2
	v_xor_b32_e32 v21, 0x7fff, v16
	v_lshrrev_b32_sdwa v21, s41, v21 dst_sel:DWORD dst_unused:UNUSED_PAD src0_sel:DWORD src1_sel:WORD_0
	v_and_b32_e32 v21, s62, v21
	v_lshl_or_b32 v21, v21, 4, v63
	ds_add_u32 v21, v89
	s_or_b32 exec_lo, exec_lo, s17
	s_mov_b32 s17, exec_lo
	v_cmpx_gt_u32_e64 s16, v50
	s_cbranch_execz .LBB914_666
.LBB914_682:                            ;   in Loop: Header=BB914_638 Depth=2
	v_xor_b32_e32 v21, 0x7fff, v15
	v_lshrrev_b32_sdwa v21, s41, v21 dst_sel:DWORD dst_unused:UNUSED_PAD src0_sel:DWORD src1_sel:WORD_0
	v_and_b32_e32 v21, s62, v21
	v_lshl_or_b32 v21, v21, 4, v63
	ds_add_u32 v21, v89
	s_or_b32 exec_lo, exec_lo, s17
	s_mov_b32 s17, exec_lo
	v_cmpx_gt_u32_e64 s16, v51
	s_cbranch_execz .LBB914_667
.LBB914_683:                            ;   in Loop: Header=BB914_638 Depth=2
	v_xor_b32_e32 v21, 0x7fff, v14
	v_lshrrev_b32_sdwa v21, s41, v21 dst_sel:DWORD dst_unused:UNUSED_PAD src0_sel:DWORD src1_sel:WORD_0
	v_and_b32_e32 v21, s62, v21
	v_lshl_or_b32 v21, v21, 4, v63
	ds_add_u32 v21, v89
	s_or_b32 exec_lo, exec_lo, s17
	s_mov_b32 s17, exec_lo
	v_cmpx_gt_u32_e64 s16, v52
	s_cbranch_execz .LBB914_668
.LBB914_684:                            ;   in Loop: Header=BB914_638 Depth=2
	v_xor_b32_e32 v21, 0x7fff, v13
	v_lshrrev_b32_sdwa v21, s41, v21 dst_sel:DWORD dst_unused:UNUSED_PAD src0_sel:DWORD src1_sel:WORD_0
	v_and_b32_e32 v21, s62, v21
	v_lshl_or_b32 v21, v21, 4, v63
	ds_add_u32 v21, v89
	s_or_b32 exec_lo, exec_lo, s17
	s_mov_b32 s17, exec_lo
	v_cmpx_gt_u32_e64 s16, v53
	s_cbranch_execz .LBB914_669
.LBB914_685:                            ;   in Loop: Header=BB914_638 Depth=2
	v_xor_b32_e32 v21, 0x7fff, v12
	v_lshrrev_b32_sdwa v21, s41, v21 dst_sel:DWORD dst_unused:UNUSED_PAD src0_sel:DWORD src1_sel:WORD_0
	v_and_b32_e32 v21, s62, v21
	v_lshl_or_b32 v21, v21, 4, v63
	ds_add_u32 v21, v89
	s_or_b32 exec_lo, exec_lo, s17
	s_mov_b32 s17, exec_lo
	v_cmpx_gt_u32_e64 s16, v54
	s_cbranch_execz .LBB914_670
.LBB914_686:                            ;   in Loop: Header=BB914_638 Depth=2
	v_xor_b32_e32 v21, 0x7fff, v11
	v_lshrrev_b32_sdwa v21, s41, v21 dst_sel:DWORD dst_unused:UNUSED_PAD src0_sel:DWORD src1_sel:WORD_0
	v_and_b32_e32 v21, s62, v21
	v_lshl_or_b32 v21, v21, 4, v63
	ds_add_u32 v21, v89
	s_or_b32 exec_lo, exec_lo, s17
	s_mov_b32 s17, exec_lo
	v_cmpx_gt_u32_e64 s16, v55
	s_cbranch_execz .LBB914_671
.LBB914_687:                            ;   in Loop: Header=BB914_638 Depth=2
	v_xor_b32_e32 v21, 0x7fff, v10
	v_lshrrev_b32_sdwa v21, s41, v21 dst_sel:DWORD dst_unused:UNUSED_PAD src0_sel:DWORD src1_sel:WORD_0
	v_and_b32_e32 v21, s62, v21
	v_lshl_or_b32 v21, v21, 4, v63
	ds_add_u32 v21, v89
	s_or_b32 exec_lo, exec_lo, s17
	s_mov_b32 s17, exec_lo
	v_cmpx_gt_u32_e64 s16, v56
	s_cbranch_execz .LBB914_672
.LBB914_688:                            ;   in Loop: Header=BB914_638 Depth=2
	v_xor_b32_e32 v21, 0x7fff, v9
	v_lshrrev_b32_sdwa v21, s41, v21 dst_sel:DWORD dst_unused:UNUSED_PAD src0_sel:DWORD src1_sel:WORD_0
	v_and_b32_e32 v21, s62, v21
	v_lshl_or_b32 v21, v21, 4, v63
	ds_add_u32 v21, v89
	s_or_b32 exec_lo, exec_lo, s17
	s_mov_b32 s17, exec_lo
	v_cmpx_gt_u32_e64 s16, v57
	s_cbranch_execz .LBB914_673
.LBB914_689:                            ;   in Loop: Header=BB914_638 Depth=2
	v_xor_b32_e32 v21, 0x7fff, v8
	v_lshrrev_b32_sdwa v21, s41, v21 dst_sel:DWORD dst_unused:UNUSED_PAD src0_sel:DWORD src1_sel:WORD_0
	v_and_b32_e32 v21, s62, v21
	v_lshl_or_b32 v21, v21, 4, v63
	ds_add_u32 v21, v89
	s_or_b32 exec_lo, exec_lo, s17
	s_mov_b32 s17, exec_lo
	v_cmpx_gt_u32_e64 s16, v58
	s_cbranch_execz .LBB914_674
.LBB914_690:                            ;   in Loop: Header=BB914_638 Depth=2
	v_xor_b32_e32 v21, 0x7fff, v7
	v_lshrrev_b32_sdwa v21, s41, v21 dst_sel:DWORD dst_unused:UNUSED_PAD src0_sel:DWORD src1_sel:WORD_0
	v_and_b32_e32 v21, s62, v21
	v_lshl_or_b32 v21, v21, 4, v63
	ds_add_u32 v21, v89
	s_or_b32 exec_lo, exec_lo, s17
	s_mov_b32 s17, exec_lo
	v_cmpx_gt_u32_e64 s16, v59
	s_cbranch_execz .LBB914_675
.LBB914_691:                            ;   in Loop: Header=BB914_638 Depth=2
	v_xor_b32_e32 v21, 0x7fff, v6
	v_lshrrev_b32_sdwa v21, s41, v21 dst_sel:DWORD dst_unused:UNUSED_PAD src0_sel:DWORD src1_sel:WORD_0
	v_and_b32_e32 v21, s62, v21
	v_lshl_or_b32 v21, v21, 4, v63
	ds_add_u32 v21, v89
	s_or_b32 exec_lo, exec_lo, s17
	s_mov_b32 s17, exec_lo
	v_cmpx_gt_u32_e64 s16, v60
	s_cbranch_execz .LBB914_676
.LBB914_692:                            ;   in Loop: Header=BB914_638 Depth=2
	v_xor_b32_e32 v21, 0x7fff, v5
	v_lshrrev_b32_sdwa v21, s41, v21 dst_sel:DWORD dst_unused:UNUSED_PAD src0_sel:DWORD src1_sel:WORD_0
	v_and_b32_e32 v21, s62, v21
	v_lshl_or_b32 v21, v21, 4, v63
	ds_add_u32 v21, v89
	s_or_b32 exec_lo, exec_lo, s17
	v_cmp_gt_u32_e32 vcc_lo, s16, v61
	s_and_saveexec_b32 s16, vcc_lo
	s_cbranch_execz .LBB914_637
.LBB914_693:                            ;   in Loop: Header=BB914_638 Depth=2
	v_xor_b32_e32 v21, 0x7fff, v3
	v_lshrrev_b32_sdwa v21, s41, v21 dst_sel:DWORD dst_unused:UNUSED_PAD src0_sel:DWORD src1_sel:WORD_0
	v_and_b32_e32 v21, s62, v21
	v_lshl_or_b32 v21, v21, 4, v63
	ds_add_u32 v21, v89
	s_branch .LBB914_637
.LBB914_694:                            ;   in Loop: Header=BB914_638 Depth=2
	global_load_ushort v20, v109, s[16:17]
	s_or_b32 exec_lo, exec_lo, s18
	s_mov_b32 s18, exec_lo
	v_cmpx_gt_u32_e64 s5, v44
	s_cbranch_execz .LBB914_643
.LBB914_695:                            ;   in Loop: Header=BB914_638 Depth=2
	global_load_ushort v19, v109, s[16:17] offset:512
	s_or_b32 exec_lo, exec_lo, s18
	s_mov_b32 s18, exec_lo
	v_cmpx_gt_u32_e64 s5, v47
	s_cbranch_execz .LBB914_644
.LBB914_696:                            ;   in Loop: Header=BB914_638 Depth=2
	global_load_ushort v18, v109, s[16:17] offset:1024
	s_or_b32 exec_lo, exec_lo, s18
	s_mov_b32 s18, exec_lo
	v_cmpx_gt_u32_e64 s5, v48
	s_cbranch_execz .LBB914_645
.LBB914_697:                            ;   in Loop: Header=BB914_638 Depth=2
	global_load_ushort v17, v109, s[16:17] offset:1536
	s_or_b32 exec_lo, exec_lo, s18
	s_mov_b32 s18, exec_lo
	v_cmpx_gt_u32_e64 s5, v49
	s_cbranch_execz .LBB914_646
.LBB914_698:                            ;   in Loop: Header=BB914_638 Depth=2
	global_load_ushort v16, v110, s[16:17]
	s_or_b32 exec_lo, exec_lo, s18
	s_mov_b32 s18, exec_lo
	v_cmpx_gt_u32_e64 s5, v50
	s_cbranch_execz .LBB914_647
.LBB914_699:                            ;   in Loop: Header=BB914_638 Depth=2
	global_load_ushort v15, v111, s[16:17]
	s_or_b32 exec_lo, exec_lo, s18
	s_mov_b32 s18, exec_lo
	v_cmpx_gt_u32_e64 s5, v51
	s_cbranch_execz .LBB914_648
.LBB914_700:                            ;   in Loop: Header=BB914_638 Depth=2
	global_load_ushort v14, v112, s[16:17]
	s_or_b32 exec_lo, exec_lo, s18
	s_mov_b32 s18, exec_lo
	v_cmpx_gt_u32_e64 s5, v52
	s_cbranch_execz .LBB914_649
.LBB914_701:                            ;   in Loop: Header=BB914_638 Depth=2
	global_load_ushort v13, v113, s[16:17]
	s_or_b32 exec_lo, exec_lo, s18
	s_mov_b32 s18, exec_lo
	v_cmpx_gt_u32_e64 s5, v53
	s_cbranch_execz .LBB914_650
.LBB914_702:                            ;   in Loop: Header=BB914_638 Depth=2
	global_load_ushort v12, v114, s[16:17]
	s_or_b32 exec_lo, exec_lo, s18
	s_mov_b32 s18, exec_lo
	v_cmpx_gt_u32_e64 s5, v54
	s_cbranch_execz .LBB914_651
.LBB914_703:                            ;   in Loop: Header=BB914_638 Depth=2
	global_load_ushort v11, v115, s[16:17]
	s_or_b32 exec_lo, exec_lo, s18
	s_mov_b32 s18, exec_lo
	v_cmpx_gt_u32_e64 s5, v55
	s_cbranch_execz .LBB914_652
.LBB914_704:                            ;   in Loop: Header=BB914_638 Depth=2
	global_load_ushort v10, v116, s[16:17]
	s_or_b32 exec_lo, exec_lo, s18
	s_mov_b32 s18, exec_lo
	v_cmpx_gt_u32_e64 s5, v56
	s_cbranch_execz .LBB914_653
.LBB914_705:                            ;   in Loop: Header=BB914_638 Depth=2
	global_load_ushort v9, v117, s[16:17]
	s_or_b32 exec_lo, exec_lo, s18
	s_mov_b32 s18, exec_lo
	v_cmpx_gt_u32_e64 s5, v57
	s_cbranch_execz .LBB914_654
.LBB914_706:                            ;   in Loop: Header=BB914_638 Depth=2
	global_load_ushort v8, v118, s[16:17]
	s_or_b32 exec_lo, exec_lo, s18
	s_mov_b32 s18, exec_lo
	v_cmpx_gt_u32_e64 s5, v58
	s_cbranch_execz .LBB914_655
.LBB914_707:                            ;   in Loop: Header=BB914_638 Depth=2
	global_load_ushort v7, v119, s[16:17]
	s_or_b32 exec_lo, exec_lo, s18
	s_mov_b32 s18, exec_lo
	v_cmpx_gt_u32_e64 s5, v59
	s_cbranch_execz .LBB914_656
.LBB914_708:                            ;   in Loop: Header=BB914_638 Depth=2
	global_load_ushort v6, v120, s[16:17]
	s_or_b32 exec_lo, exec_lo, s18
	s_mov_b32 s18, exec_lo
	v_cmpx_gt_u32_e64 s5, v60
	s_cbranch_execz .LBB914_657
.LBB914_709:                            ;   in Loop: Header=BB914_638 Depth=2
	global_load_ushort v5, v121, s[16:17]
	s_or_b32 exec_lo, exec_lo, s18
	s_mov_b32 s18, exec_lo
	v_cmpx_gt_u32_e64 s5, v61
	s_cbranch_execnz .LBB914_658
	s_branch .LBB914_659
.LBB914_710:                            ;   in Loop: Header=BB914_12 Depth=1
	v_mov_b32_e32 v3, 0
	s_waitcnt lgkmcnt(0)
	s_barrier
	buffer_gl0_inv
	s_and_saveexec_b32 s5, s7
	s_cbranch_execz .LBB914_712
; %bb.711:                              ;   in Loop: Header=BB914_12 Depth=1
	ds_read2_b64 v[5:8], v64 offset1:1
	s_waitcnt lgkmcnt(0)
	v_add_nc_u32_e32 v3, v6, v5
	v_add3_u32 v3, v3, v7, v8
.LBB914_712:                            ;   in Loop: Header=BB914_12 Depth=1
	s_or_b32 exec_lo, exec_lo, s5
	v_mov_b32_dpp v5, v3 row_shr:1 row_mask:0xf bank_mask:0xf
	v_cmp_eq_u32_e64 s5, 0, v90
	v_cmp_lt_u32_e64 s15, 1, v90
	v_cmp_lt_u32_e64 s16, 3, v90
	v_cmp_lt_u32_e64 s17, 7, v90
	v_cmp_eq_u32_e64 s18, 0, v92
	v_cndmask_b32_e64 v5, v5, 0, s5
	v_add_nc_u32_e32 v3, v5, v3
	v_mov_b32_dpp v5, v3 row_shr:2 row_mask:0xf bank_mask:0xf
	v_cndmask_b32_e64 v5, 0, v5, s15
	v_add_nc_u32_e32 v3, v3, v5
	v_mov_b32_dpp v5, v3 row_shr:4 row_mask:0xf bank_mask:0xf
	;; [unrolled: 3-line block ×3, first 2 shown]
	v_cndmask_b32_e64 v5, 0, v5, s17
	v_add_nc_u32_e32 v3, v3, v5
	ds_swizzle_b32 v5, v3 offset:swizzle(BROADCAST,32,15)
	s_waitcnt lgkmcnt(0)
	v_and_b32_e32 v5, v91, v5
	v_add_nc_u32_e32 v3, v3, v5
	s_and_saveexec_b32 s19, s8
; %bb.713:                              ;   in Loop: Header=BB914_12 Depth=1
	ds_write_b32 v65, v3
; %bb.714:                              ;   in Loop: Header=BB914_12 Depth=1
	s_or_b32 exec_lo, exec_lo, s19
	s_waitcnt lgkmcnt(0)
	s_barrier
	buffer_gl0_inv
	s_and_saveexec_b32 s19, s9
	s_cbranch_execz .LBB914_716
; %bb.715:                              ;   in Loop: Header=BB914_12 Depth=1
	ds_read_b32 v5, v66
	v_cmp_ne_u32_e32 vcc_lo, 0, v93
	s_waitcnt lgkmcnt(0)
	v_mov_b32_dpp v6, v5 row_shr:1 row_mask:0xf bank_mask:0xf
	v_cndmask_b32_e32 v6, 0, v6, vcc_lo
	v_cmp_lt_u32_e32 vcc_lo, 1, v93
	v_add_nc_u32_e32 v5, v6, v5
	v_mov_b32_dpp v6, v5 row_shr:2 row_mask:0xf bank_mask:0xf
	v_cndmask_b32_e32 v6, 0, v6, vcc_lo
	v_add_nc_u32_e32 v5, v5, v6
	ds_write_b32 v66, v5
.LBB914_716:                            ;   in Loop: Header=BB914_12 Depth=1
	s_or_b32 exec_lo, exec_lo, s19
	v_mov_b32_e32 v5, 0
	s_waitcnt lgkmcnt(0)
	s_barrier
	buffer_gl0_inv
	s_and_saveexec_b32 s19, s10
; %bb.717:                              ;   in Loop: Header=BB914_12 Depth=1
	ds_read_b32 v5, v67
; %bb.718:                              ;   in Loop: Header=BB914_12 Depth=1
	s_or_b32 exec_lo, exec_lo, s19
	v_cmp_gt_i32_e32 vcc_lo, 0, v95
	s_waitcnt lgkmcnt(0)
	v_add_nc_u32_e32 v3, v5, v3
	s_barrier
	buffer_gl0_inv
	v_cndmask_b32_e32 v6, v95, v86, vcc_lo
	v_lshlrev_b32_e32 v125, 2, v6
	ds_bpermute_b32 v3, v125, v3
	s_and_saveexec_b32 s19, s7
	s_cbranch_execz .LBB914_720
; %bb.719:                              ;   in Loop: Header=BB914_12 Depth=1
	s_waitcnt lgkmcnt(0)
	v_cndmask_b32_e64 v3, v3, v5, s14
	v_add_nc_u32_e32 v3, s58, v3
	ds_write_b32 v43, v3
.LBB914_720:                            ;   in Loop: Header=BB914_12 Depth=1
	s_or_b32 exec_lo, exec_lo, s19
	s_load_dwordx2 s[20:21], s[56:57], 0x0
	v_add_co_u32 v126, vcc_lo, v84, v97
	v_add_co_ci_u32_e64 v127, null, 0, v85, vcc_lo
	v_add_nc_u32_e32 v128, 0x180, v94
	v_add_nc_u32_e32 v129, 0x1a0, v94
	;; [unrolled: 1-line block ×5, first 2 shown]
	s_mov_b32 s63, s60
	s_mov_b32 s50, s58
                                        ; implicit-def: $vgpr7_vgpr8
                                        ; implicit-def: $vgpr9_vgpr10
                                        ; implicit-def: $vgpr11_vgpr12
                                        ; implicit-def: $vgpr13_vgpr14
                                        ; implicit-def: $vgpr15_vgpr16
                                        ; implicit-def: $vgpr19_vgpr20
                                        ; implicit-def: $vgpr23_vgpr24
                                        ; implicit-def: $vgpr27_vgpr28
                                        ; implicit-def: $vgpr17_vgpr18
                                        ; implicit-def: $vgpr21_vgpr22
                                        ; implicit-def: $vgpr25_vgpr26
                                        ; implicit-def: $vgpr29_vgpr30
                                        ; implicit-def: $vgpr31_vgpr32
                                        ; implicit-def: $vgpr33_vgpr34
                                        ; implicit-def: $vgpr35_vgpr36
                                        ; implicit-def: $vgpr37_vgpr38
                                        ; implicit-def: $vgpr136
                                        ; implicit-def: $vgpr137
                                        ; implicit-def: $vgpr138
                                        ; implicit-def: $vgpr139
                                        ; implicit-def: $vgpr140
                                        ; implicit-def: $vgpr141
                                        ; implicit-def: $vgpr142
                                        ; implicit-def: $vgpr143
                                        ; implicit-def: $vgpr144
                                        ; implicit-def: $vgpr145
                                        ; implicit-def: $vgpr146
                                        ; implicit-def: $vgpr147
                                        ; implicit-def: $vgpr148
                                        ; implicit-def: $vgpr149
                                        ; implicit-def: $vgpr150
                                        ; implicit-def: $vgpr152
                                        ; implicit-def: $vgpr153
                                        ; implicit-def: $vgpr151
                                        ; implicit-def: $vgpr154
	s_waitcnt lgkmcnt(0)
	s_cmp_lt_u32 s28, s21
	s_cselect_b32 s19, 14, 20
	s_add_u32 s22, s56, s19
	s_addc_u32 s23, s57, 0
	s_cmp_lt_u32 s6, s20
	global_load_ushort v3, v4, s[22:23]
	s_cselect_b32 s19, 12, 18
	s_add_u32 s20, s56, s19
	s_addc_u32 s21, s57, 0
	v_cmp_eq_u32_e64 s19, 0, v96
	global_load_ushort v5, v4, s[20:21]
	v_cmp_lt_u32_e64 s20, 1, v96
	v_cmp_lt_u32_e64 s21, 3, v96
	s_waitcnt vmcnt(1)
	v_mad_u32_u24 v3, v2, v3, v1
	s_waitcnt vmcnt(0)
	v_mad_u64_u32 v[5:6], null, v3, v5, v[0:1]
	v_lshlrev_b32_e32 v3, 1, v86
	v_add_co_u32 v133, vcc_lo, v87, v3
	v_lshrrev_b32_e32 v5, 3, v5
	v_add_co_ci_u32_e64 v134, null, 0, v88, vcc_lo
	v_and_b32_e32 v135, 0x1ffffffc, v5
                                        ; implicit-def: $vgpr5_vgpr6
	s_branch .LBB914_722
.LBB914_721:                            ;   in Loop: Header=BB914_722 Depth=2
	s_or_b32 exec_lo, exec_lo, s22
	s_addk_i32 s63, 0xef00
	s_cmp_lt_u32 s64, s59
	s_mov_b32 s50, s64
	s_cbranch_scc0 .LBB914_944
.LBB914_722:                            ;   Parent Loop BB914_12 Depth=1
                                        ; =>  This Inner Loop Header: Depth=2
	s_add_i32 s64, s50, 0x1100
	s_cmp_gt_u32 s64, s59
	s_cbranch_scc1 .LBB914_724
; %bb.723:                              ;   in Loop: Header=BB914_722 Depth=2
	s_lshl_b64 s[22:23], s[50:51], 1
	v_add_co_u32 v39, vcc_lo, v133, s22
	v_add_co_ci_u32_e64 v40, null, s23, v134, vcc_lo
	s_mov_b32 s22, -1
	s_clause 0xf
	global_load_ushort v156, v[39:40], off
	global_load_ushort v157, v[39:40], off offset:64
	global_load_ushort v160, v[39:40], off offset:128
	;; [unrolled: 1-line block ×15, first 2 shown]
	s_movk_i32 s23, 0x1100
	s_cbranch_execz .LBB914_725
	s_branch .LBB914_758
.LBB914_724:                            ;   in Loop: Header=BB914_722 Depth=2
	s_mov_b32 s22, 0
                                        ; implicit-def: $vgpr156
                                        ; implicit-def: $vgpr157
                                        ; implicit-def: $vgpr160
                                        ; implicit-def: $vgpr164
                                        ; implicit-def: $vgpr169
                                        ; implicit-def: $vgpr174
                                        ; implicit-def: $vgpr179
                                        ; implicit-def: $vgpr184
                                        ; implicit-def: $vgpr189
                                        ; implicit-def: $vgpr187
                                        ; implicit-def: $vgpr182
                                        ; implicit-def: $vgpr177
                                        ; implicit-def: $vgpr173
                                        ; implicit-def: $vgpr168
                                        ; implicit-def: $vgpr42
                                        ; implicit-def: $vgpr41
	s_movk_i32 s23, 0x1100
.LBB914_725:                            ;   in Loop: Header=BB914_722 Depth=2
	s_lshl_b64 s[22:23], s[50:51], 1
	s_waitcnt vmcnt(14)
	v_mov_b32_e32 v157, 0xffff8000
	v_add_co_u32 v39, vcc_lo, v133, s22
	v_add_co_ci_u32_e64 v40, null, s23, v134, vcc_lo
	v_mov_b32_e32 v156, 0xffff8000
	s_mov_b32 s22, exec_lo
	v_cmpx_gt_u32_e64 s63, v94
	s_cbranch_execz .LBB914_727
; %bb.726:                              ;   in Loop: Header=BB914_722 Depth=2
	global_load_ushort v156, v[39:40], off
.LBB914_727:                            ;   in Loop: Header=BB914_722 Depth=2
	s_or_b32 exec_lo, exec_lo, s22
	s_mov_b32 s22, exec_lo
	v_cmpx_gt_u32_e64 s63, v98
	s_cbranch_execz .LBB914_729
; %bb.728:                              ;   in Loop: Header=BB914_722 Depth=2
	global_load_ushort v157, v[39:40], off offset:64
.LBB914_729:                            ;   in Loop: Header=BB914_722 Depth=2
	s_or_b32 exec_lo, exec_lo, s22
	s_waitcnt vmcnt(12)
	v_mov_b32_e32 v164, 0xffff8000
	v_mov_b32_e32 v160, 0xffff8000
	s_mov_b32 s22, exec_lo
	v_cmpx_gt_u32_e64 s63, v99
	s_cbranch_execz .LBB914_731
; %bb.730:                              ;   in Loop: Header=BB914_722 Depth=2
	global_load_ushort v160, v[39:40], off offset:128
.LBB914_731:                            ;   in Loop: Header=BB914_722 Depth=2
	s_or_b32 exec_lo, exec_lo, s22
	s_mov_b32 s22, exec_lo
	v_cmpx_gt_u32_e64 s63, v100
	s_cbranch_execz .LBB914_733
; %bb.732:                              ;   in Loop: Header=BB914_722 Depth=2
	global_load_ushort v164, v[39:40], off offset:192
.LBB914_733:                            ;   in Loop: Header=BB914_722 Depth=2
	s_or_b32 exec_lo, exec_lo, s22
	s_waitcnt vmcnt(10)
	v_mov_b32_e32 v174, 0xffff8000
	v_mov_b32_e32 v169, 0xffff8000
	s_mov_b32 s22, exec_lo
	v_cmpx_gt_u32_e64 s63, v101
	s_cbranch_execz .LBB914_735
; %bb.734:                              ;   in Loop: Header=BB914_722 Depth=2
	global_load_ushort v169, v[39:40], off offset:256
.LBB914_735:                            ;   in Loop: Header=BB914_722 Depth=2
	;; [unrolled: 17-line block ×7, first 2 shown]
	s_or_b32 exec_lo, exec_lo, s22
	s_mov_b32 s22, exec_lo
	v_cmpx_gt_u32_e64 s63, v131
	s_cbranch_execz .LBB914_757
; %bb.756:                              ;   in Loop: Header=BB914_722 Depth=2
	global_load_ushort v41, v[39:40], off offset:960
.LBB914_757:                            ;   in Loop: Header=BB914_722 Depth=2
	s_or_b32 exec_lo, exec_lo, s22
	v_cmp_gt_u32_e64 s22, s63, v132
	s_sub_i32 s23, s59, s50
.LBB914_758:                            ;   in Loop: Header=BB914_722 Depth=2
	v_mov_b32_e32 v3, -1
	v_mov_b32_e32 v155, s63
	s_and_saveexec_b32 s24, s22
	s_cbranch_execz .LBB914_760
; %bb.759:                              ;   in Loop: Header=BB914_722 Depth=2
	s_lshl_b64 s[26:27], s[50:51], 1
	v_mov_b32_e32 v155, s23
	v_add_co_u32 v39, vcc_lo, v133, s26
	v_add_co_ci_u32_e64 v40, null, s27, v134, vcc_lo
	global_load_ushort v3, v[39:40], off offset:1024
	s_waitcnt vmcnt(0)
	v_xor_b32_e32 v3, 0x7fff, v3
.LBB914_760:                            ;   in Loop: Header=BB914_722 Depth=2
	s_or_b32 exec_lo, exec_lo, s24
	s_waitcnt vmcnt(15)
	v_xor_b32_e32 v156, 0x7fff, v156
	ds_write2_b32 v68, v4, v4 offset0:136 offset1:137
	ds_write2_b32 v68, v4, v4 offset0:138 offset1:139
	ds_write_b32 v68, v4 offset:560
	s_waitcnt vmcnt(0) lgkmcnt(0)
	s_barrier
	v_lshrrev_b32_sdwa v39, s41, v156 dst_sel:DWORD dst_unused:UNUSED_PAD src0_sel:DWORD src1_sel:WORD_0
	buffer_gl0_inv
	; wave barrier
	v_and_b32_e32 v40, s62, v39
	v_and_b32_e32 v39, 1, v40
	v_lshlrev_b32_e32 v158, 30, v40
	v_lshlrev_b32_e32 v159, 29, v40
	;; [unrolled: 1-line block ×4, first 2 shown]
	v_add_co_u32 v39, s22, v39, -1
	v_cndmask_b32_e64 v161, 0, 1, s22
	v_not_b32_e32 v166, v158
	v_cmp_gt_i32_e64 s22, 0, v158
	v_not_b32_e32 v158, v159
	v_lshlrev_b32_e32 v165, 26, v40
	v_cmp_ne_u32_e32 vcc_lo, 0, v161
	v_ashrrev_i32_e32 v166, 31, v166
	v_lshlrev_b32_e32 v161, 25, v40
	v_ashrrev_i32_e32 v158, 31, v158
	v_mul_u32_u24_e32 v40, 36, v40
	v_xor_b32_e32 v39, vcc_lo, v39
	v_cmp_gt_i32_e32 vcc_lo, 0, v159
	v_not_b32_e32 v159, v162
	v_xor_b32_e32 v166, s22, v166
	v_cmp_gt_i32_e64 s22, 0, v162
	v_and_b32_e32 v39, exec_lo, v39
	v_not_b32_e32 v162, v163
	v_ashrrev_i32_e32 v159, 31, v159
	v_xor_b32_e32 v158, vcc_lo, v158
	v_cmp_gt_i32_e32 vcc_lo, 0, v163
	v_and_b32_e32 v39, v39, v166
	v_not_b32_e32 v163, v165
	v_ashrrev_i32_e32 v162, 31, v162
	v_xor_b32_e32 v159, s22, v159
	v_cmp_gt_i32_e64 s22, 0, v165
	v_and_b32_e32 v39, v39, v158
	v_not_b32_e32 v158, v161
	v_ashrrev_i32_e32 v163, 31, v163
	v_xor_b32_e32 v162, vcc_lo, v162
	v_cmp_gt_i32_e32 vcc_lo, 0, v161
	v_and_b32_e32 v39, v39, v159
	v_ashrrev_i32_e32 v158, 31, v158
	v_xor_b32_e32 v159, s22, v163
	v_and_b32_e32 v39, v39, v162
	v_xor_b32_e32 v158, vcc_lo, v158
	v_and_b32_e32 v39, v39, v159
	v_add_nc_u32_e32 v159, v135, v40
	v_and_b32_e32 v39, v39, v158
	v_mbcnt_lo_u32_b32 v158, v39, 0
	v_cmp_ne_u32_e64 s22, 0, v39
	v_cmp_eq_u32_e32 vcc_lo, 0, v158
	s_and_b32 s23, s22, vcc_lo
	s_and_saveexec_b32 s22, s23
; %bb.761:                              ;   in Loop: Header=BB914_722 Depth=2
	v_bcnt_u32_b32 v39, v39, 0
	ds_write_b32 v159, v39 offset:544
; %bb.762:                              ;   in Loop: Header=BB914_722 Depth=2
	s_or_b32 exec_lo, exec_lo, s22
	v_xor_b32_e32 v157, 0x7fff, v157
	; wave barrier
	v_lshrrev_b32_sdwa v39, s41, v157 dst_sel:DWORD dst_unused:UNUSED_PAD src0_sel:DWORD src1_sel:WORD_0
	v_and_b32_e32 v40, s62, v39
	v_and_b32_e32 v39, 1, v40
	v_lshlrev_b32_e32 v161, 30, v40
	v_lshlrev_b32_e32 v162, 29, v40
	v_lshlrev_b32_e32 v165, 28, v40
	v_lshlrev_b32_e32 v166, 27, v40
	v_add_co_u32 v39, s22, v39, -1
	v_cndmask_b32_e64 v163, 0, 1, s22
	v_not_b32_e32 v170, v161
	v_cmp_gt_i32_e64 s22, 0, v161
	v_not_b32_e32 v161, v162
	v_lshlrev_b32_e32 v167, 26, v40
	v_cmp_ne_u32_e32 vcc_lo, 0, v163
	v_ashrrev_i32_e32 v170, 31, v170
	v_lshlrev_b32_e32 v163, 25, v40
	v_ashrrev_i32_e32 v161, 31, v161
	v_xor_b32_e32 v39, vcc_lo, v39
	v_cmp_gt_i32_e32 vcc_lo, 0, v162
	v_not_b32_e32 v162, v165
	v_xor_b32_e32 v170, s22, v170
	v_cmp_gt_i32_e64 s22, 0, v165
	v_and_b32_e32 v39, exec_lo, v39
	v_not_b32_e32 v165, v166
	v_ashrrev_i32_e32 v162, 31, v162
	v_xor_b32_e32 v161, vcc_lo, v161
	v_cmp_gt_i32_e32 vcc_lo, 0, v166
	v_and_b32_e32 v39, v39, v170
	v_not_b32_e32 v166, v167
	v_ashrrev_i32_e32 v165, 31, v165
	v_xor_b32_e32 v162, s22, v162
	v_cmp_gt_i32_e64 s22, 0, v167
	v_and_b32_e32 v39, v39, v161
	v_not_b32_e32 v161, v163
	v_ashrrev_i32_e32 v166, 31, v166
	v_xor_b32_e32 v165, vcc_lo, v165
	v_cmp_gt_i32_e32 vcc_lo, 0, v163
	v_and_b32_e32 v39, v39, v162
	v_ashrrev_i32_e32 v161, 31, v161
	v_xor_b32_e32 v162, s22, v166
	v_mad_u32_u24 v163, v40, 36, v135
	v_mul_u32_u24_e32 v40, 36, v40
	v_and_b32_e32 v39, v39, v165
	v_xor_b32_e32 v165, vcc_lo, v161
	ds_read_b32 v161, v163 offset:544
	v_add_nc_u32_e32 v163, v135, v40
	v_and_b32_e32 v39, v39, v162
	; wave barrier
	v_and_b32_e32 v39, v39, v165
	v_mbcnt_lo_u32_b32 v162, v39, 0
	v_cmp_ne_u32_e64 s22, 0, v39
	v_cmp_eq_u32_e32 vcc_lo, 0, v162
	s_and_b32 s23, s22, vcc_lo
	s_and_saveexec_b32 s22, s23
	s_cbranch_execz .LBB914_764
; %bb.763:                              ;   in Loop: Header=BB914_722 Depth=2
	s_waitcnt lgkmcnt(0)
	v_bcnt_u32_b32 v39, v39, v161
	ds_write_b32 v163, v39 offset:544
.LBB914_764:                            ;   in Loop: Header=BB914_722 Depth=2
	s_or_b32 exec_lo, exec_lo, s22
	v_xor_b32_e32 v160, 0x7fff, v160
	; wave barrier
	v_lshrrev_b32_sdwa v39, s41, v160 dst_sel:DWORD dst_unused:UNUSED_PAD src0_sel:DWORD src1_sel:WORD_0
	v_and_b32_e32 v40, s62, v39
	v_and_b32_e32 v39, 1, v40
	v_lshlrev_b32_e32 v165, 30, v40
	v_lshlrev_b32_e32 v166, 29, v40
	v_lshlrev_b32_e32 v170, 28, v40
	v_lshlrev_b32_e32 v171, 27, v40
	v_add_co_u32 v39, s22, v39, -1
	v_cndmask_b32_e64 v167, 0, 1, s22
	v_not_b32_e32 v175, v165
	v_cmp_gt_i32_e64 s22, 0, v165
	v_not_b32_e32 v165, v166
	v_lshlrev_b32_e32 v172, 26, v40
	v_cmp_ne_u32_e32 vcc_lo, 0, v167
	v_ashrrev_i32_e32 v175, 31, v175
	v_lshlrev_b32_e32 v167, 25, v40
	v_ashrrev_i32_e32 v165, 31, v165
	v_xor_b32_e32 v39, vcc_lo, v39
	v_cmp_gt_i32_e32 vcc_lo, 0, v166
	v_not_b32_e32 v166, v170
	v_xor_b32_e32 v175, s22, v175
	v_cmp_gt_i32_e64 s22, 0, v170
	v_and_b32_e32 v39, exec_lo, v39
	v_not_b32_e32 v170, v171
	v_ashrrev_i32_e32 v166, 31, v166
	v_xor_b32_e32 v165, vcc_lo, v165
	v_cmp_gt_i32_e32 vcc_lo, 0, v171
	v_and_b32_e32 v39, v39, v175
	v_not_b32_e32 v171, v172
	v_ashrrev_i32_e32 v170, 31, v170
	v_xor_b32_e32 v166, s22, v166
	v_cmp_gt_i32_e64 s22, 0, v172
	v_and_b32_e32 v39, v39, v165
	v_not_b32_e32 v165, v167
	v_ashrrev_i32_e32 v171, 31, v171
	v_xor_b32_e32 v170, vcc_lo, v170
	v_cmp_gt_i32_e32 vcc_lo, 0, v167
	v_and_b32_e32 v39, v39, v166
	v_ashrrev_i32_e32 v165, 31, v165
	v_xor_b32_e32 v166, s22, v171
	v_mad_u32_u24 v167, v40, 36, v135
	v_mul_u32_u24_e32 v40, 36, v40
	v_and_b32_e32 v39, v39, v170
	v_xor_b32_e32 v170, vcc_lo, v165
	ds_read_b32 v165, v167 offset:544
	v_add_nc_u32_e32 v167, v135, v40
	v_and_b32_e32 v39, v39, v166
	; wave barrier
	v_and_b32_e32 v39, v39, v170
	v_mbcnt_lo_u32_b32 v166, v39, 0
	v_cmp_ne_u32_e64 s22, 0, v39
	v_cmp_eq_u32_e32 vcc_lo, 0, v166
	s_and_b32 s23, s22, vcc_lo
	s_and_saveexec_b32 s22, s23
	s_cbranch_execz .LBB914_766
; %bb.765:                              ;   in Loop: Header=BB914_722 Depth=2
	s_waitcnt lgkmcnt(0)
	v_bcnt_u32_b32 v39, v39, v165
	ds_write_b32 v167, v39 offset:544
.LBB914_766:                            ;   in Loop: Header=BB914_722 Depth=2
	s_or_b32 exec_lo, exec_lo, s22
	v_xor_b32_e32 v164, 0x7fff, v164
	; wave barrier
	v_lshrrev_b32_sdwa v39, s41, v164 dst_sel:DWORD dst_unused:UNUSED_PAD src0_sel:DWORD src1_sel:WORD_0
	v_and_b32_e32 v40, s62, v39
	v_and_b32_e32 v39, 1, v40
	v_lshlrev_b32_e32 v170, 30, v40
	v_lshlrev_b32_e32 v171, 29, v40
	v_lshlrev_b32_e32 v175, 28, v40
	v_lshlrev_b32_e32 v176, 27, v40
	v_add_co_u32 v39, s22, v39, -1
	v_cndmask_b32_e64 v172, 0, 1, s22
	v_not_b32_e32 v180, v170
	v_cmp_gt_i32_e64 s22, 0, v170
	v_not_b32_e32 v170, v171
	v_lshlrev_b32_e32 v178, 26, v40
	v_cmp_ne_u32_e32 vcc_lo, 0, v172
	v_ashrrev_i32_e32 v180, 31, v180
	v_lshlrev_b32_e32 v172, 25, v40
	v_ashrrev_i32_e32 v170, 31, v170
	v_xor_b32_e32 v39, vcc_lo, v39
	v_cmp_gt_i32_e32 vcc_lo, 0, v171
	v_not_b32_e32 v171, v175
	v_xor_b32_e32 v180, s22, v180
	v_cmp_gt_i32_e64 s22, 0, v175
	v_and_b32_e32 v39, exec_lo, v39
	v_not_b32_e32 v175, v176
	v_ashrrev_i32_e32 v171, 31, v171
	v_xor_b32_e32 v170, vcc_lo, v170
	v_cmp_gt_i32_e32 vcc_lo, 0, v176
	v_and_b32_e32 v39, v39, v180
	v_not_b32_e32 v176, v178
	v_ashrrev_i32_e32 v175, 31, v175
	v_xor_b32_e32 v171, s22, v171
	v_cmp_gt_i32_e64 s22, 0, v178
	v_and_b32_e32 v39, v39, v170
	v_not_b32_e32 v170, v172
	v_ashrrev_i32_e32 v176, 31, v176
	v_xor_b32_e32 v175, vcc_lo, v175
	v_cmp_gt_i32_e32 vcc_lo, 0, v172
	v_and_b32_e32 v39, v39, v171
	v_ashrrev_i32_e32 v170, 31, v170
	v_xor_b32_e32 v171, s22, v176
	v_mad_u32_u24 v172, v40, 36, v135
	v_mul_u32_u24_e32 v40, 36, v40
	v_and_b32_e32 v39, v39, v175
	v_xor_b32_e32 v175, vcc_lo, v170
	ds_read_b32 v170, v172 offset:544
	v_add_nc_u32_e32 v172, v135, v40
	v_and_b32_e32 v39, v39, v171
	; wave barrier
	v_and_b32_e32 v39, v39, v175
	v_mbcnt_lo_u32_b32 v171, v39, 0
	v_cmp_ne_u32_e64 s22, 0, v39
	v_cmp_eq_u32_e32 vcc_lo, 0, v171
	s_and_b32 s23, s22, vcc_lo
	s_and_saveexec_b32 s22, s23
	s_cbranch_execz .LBB914_768
; %bb.767:                              ;   in Loop: Header=BB914_722 Depth=2
	s_waitcnt lgkmcnt(0)
	v_bcnt_u32_b32 v39, v39, v170
	ds_write_b32 v172, v39 offset:544
.LBB914_768:                            ;   in Loop: Header=BB914_722 Depth=2
	s_or_b32 exec_lo, exec_lo, s22
	v_xor_b32_e32 v169, 0x7fff, v169
	; wave barrier
	v_lshrrev_b32_sdwa v39, s41, v169 dst_sel:DWORD dst_unused:UNUSED_PAD src0_sel:DWORD src1_sel:WORD_0
	v_and_b32_e32 v40, s62, v39
	v_and_b32_e32 v39, 1, v40
	v_lshlrev_b32_e32 v175, 30, v40
	v_lshlrev_b32_e32 v176, 29, v40
	v_lshlrev_b32_e32 v180, 28, v40
	v_lshlrev_b32_e32 v181, 27, v40
	v_add_co_u32 v39, s22, v39, -1
	v_cndmask_b32_e64 v178, 0, 1, s22
	v_not_b32_e32 v185, v175
	v_cmp_gt_i32_e64 s22, 0, v175
	v_not_b32_e32 v175, v176
	v_lshlrev_b32_e32 v183, 26, v40
	v_cmp_ne_u32_e32 vcc_lo, 0, v178
	v_ashrrev_i32_e32 v185, 31, v185
	v_lshlrev_b32_e32 v178, 25, v40
	v_ashrrev_i32_e32 v175, 31, v175
	v_xor_b32_e32 v39, vcc_lo, v39
	v_cmp_gt_i32_e32 vcc_lo, 0, v176
	v_not_b32_e32 v176, v180
	v_xor_b32_e32 v185, s22, v185
	v_cmp_gt_i32_e64 s22, 0, v180
	v_and_b32_e32 v39, exec_lo, v39
	v_not_b32_e32 v180, v181
	v_ashrrev_i32_e32 v176, 31, v176
	v_xor_b32_e32 v175, vcc_lo, v175
	v_cmp_gt_i32_e32 vcc_lo, 0, v181
	v_and_b32_e32 v39, v39, v185
	v_not_b32_e32 v181, v183
	v_ashrrev_i32_e32 v180, 31, v180
	v_xor_b32_e32 v176, s22, v176
	v_cmp_gt_i32_e64 s22, 0, v183
	v_and_b32_e32 v39, v39, v175
	v_not_b32_e32 v175, v178
	v_ashrrev_i32_e32 v181, 31, v181
	v_xor_b32_e32 v180, vcc_lo, v180
	v_cmp_gt_i32_e32 vcc_lo, 0, v178
	v_and_b32_e32 v39, v39, v176
	v_ashrrev_i32_e32 v175, 31, v175
	v_xor_b32_e32 v176, s22, v181
	v_mad_u32_u24 v178, v40, 36, v135
	v_mul_u32_u24_e32 v40, 36, v40
	v_and_b32_e32 v39, v39, v180
	v_xor_b32_e32 v180, vcc_lo, v175
	ds_read_b32 v175, v178 offset:544
	v_add_nc_u32_e32 v178, v135, v40
	v_and_b32_e32 v39, v39, v176
	; wave barrier
	v_and_b32_e32 v39, v39, v180
	v_mbcnt_lo_u32_b32 v176, v39, 0
	v_cmp_ne_u32_e64 s22, 0, v39
	v_cmp_eq_u32_e32 vcc_lo, 0, v176
	s_and_b32 s23, s22, vcc_lo
	s_and_saveexec_b32 s22, s23
	s_cbranch_execz .LBB914_770
; %bb.769:                              ;   in Loop: Header=BB914_722 Depth=2
	s_waitcnt lgkmcnt(0)
	v_bcnt_u32_b32 v39, v39, v175
	ds_write_b32 v178, v39 offset:544
.LBB914_770:                            ;   in Loop: Header=BB914_722 Depth=2
	s_or_b32 exec_lo, exec_lo, s22
	v_xor_b32_e32 v174, 0x7fff, v174
	; wave barrier
	v_lshrrev_b32_sdwa v39, s41, v174 dst_sel:DWORD dst_unused:UNUSED_PAD src0_sel:DWORD src1_sel:WORD_0
	v_and_b32_e32 v40, s62, v39
	v_and_b32_e32 v39, 1, v40
	v_lshlrev_b32_e32 v180, 30, v40
	v_lshlrev_b32_e32 v181, 29, v40
	v_lshlrev_b32_e32 v185, 28, v40
	v_lshlrev_b32_e32 v186, 27, v40
	v_add_co_u32 v39, s22, v39, -1
	v_cndmask_b32_e64 v183, 0, 1, s22
	v_not_b32_e32 v190, v180
	v_cmp_gt_i32_e64 s22, 0, v180
	v_not_b32_e32 v180, v181
	v_lshlrev_b32_e32 v188, 26, v40
	v_cmp_ne_u32_e32 vcc_lo, 0, v183
	v_ashrrev_i32_e32 v190, 31, v190
	v_lshlrev_b32_e32 v183, 25, v40
	v_ashrrev_i32_e32 v180, 31, v180
	v_xor_b32_e32 v39, vcc_lo, v39
	v_cmp_gt_i32_e32 vcc_lo, 0, v181
	v_not_b32_e32 v181, v185
	v_xor_b32_e32 v190, s22, v190
	v_cmp_gt_i32_e64 s22, 0, v185
	v_and_b32_e32 v39, exec_lo, v39
	v_not_b32_e32 v185, v186
	v_ashrrev_i32_e32 v181, 31, v181
	v_xor_b32_e32 v180, vcc_lo, v180
	v_cmp_gt_i32_e32 vcc_lo, 0, v186
	v_and_b32_e32 v39, v39, v190
	v_not_b32_e32 v186, v188
	v_ashrrev_i32_e32 v185, 31, v185
	v_xor_b32_e32 v181, s22, v181
	v_cmp_gt_i32_e64 s22, 0, v188
	v_and_b32_e32 v39, v39, v180
	v_not_b32_e32 v180, v183
	v_ashrrev_i32_e32 v186, 31, v186
	v_xor_b32_e32 v185, vcc_lo, v185
	v_cmp_gt_i32_e32 vcc_lo, 0, v183
	v_and_b32_e32 v39, v39, v181
	v_ashrrev_i32_e32 v180, 31, v180
	v_xor_b32_e32 v181, s22, v186
	v_mad_u32_u24 v183, v40, 36, v135
	v_mul_u32_u24_e32 v40, 36, v40
	v_and_b32_e32 v39, v39, v185
	v_xor_b32_e32 v185, vcc_lo, v180
	ds_read_b32 v180, v183 offset:544
	v_add_nc_u32_e32 v183, v135, v40
	v_and_b32_e32 v39, v39, v181
	; wave barrier
	v_and_b32_e32 v39, v39, v185
	v_mbcnt_lo_u32_b32 v181, v39, 0
	v_cmp_ne_u32_e64 s22, 0, v39
	v_cmp_eq_u32_e32 vcc_lo, 0, v181
	s_and_b32 s23, s22, vcc_lo
	s_and_saveexec_b32 s22, s23
	s_cbranch_execz .LBB914_772
; %bb.771:                              ;   in Loop: Header=BB914_722 Depth=2
	s_waitcnt lgkmcnt(0)
	v_bcnt_u32_b32 v39, v39, v180
	ds_write_b32 v183, v39 offset:544
.LBB914_772:                            ;   in Loop: Header=BB914_722 Depth=2
	s_or_b32 exec_lo, exec_lo, s22
	v_xor_b32_e32 v179, 0x7fff, v179
	; wave barrier
	v_lshrrev_b32_sdwa v39, s41, v179 dst_sel:DWORD dst_unused:UNUSED_PAD src0_sel:DWORD src1_sel:WORD_0
	v_and_b32_e32 v40, s62, v39
	v_and_b32_e32 v39, 1, v40
	v_lshlrev_b32_e32 v185, 30, v40
	v_lshlrev_b32_e32 v186, 29, v40
	v_lshlrev_b32_e32 v190, 28, v40
	v_lshlrev_b32_e32 v191, 27, v40
	v_add_co_u32 v39, s22, v39, -1
	v_cndmask_b32_e64 v188, 0, 1, s22
	v_not_b32_e32 v193, v185
	v_cmp_gt_i32_e64 s22, 0, v185
	v_not_b32_e32 v185, v186
	v_lshlrev_b32_e32 v192, 26, v40
	v_cmp_ne_u32_e32 vcc_lo, 0, v188
	v_ashrrev_i32_e32 v193, 31, v193
	v_lshlrev_b32_e32 v188, 25, v40
	v_ashrrev_i32_e32 v185, 31, v185
	v_xor_b32_e32 v39, vcc_lo, v39
	v_cmp_gt_i32_e32 vcc_lo, 0, v186
	v_not_b32_e32 v186, v190
	v_xor_b32_e32 v193, s22, v193
	v_cmp_gt_i32_e64 s22, 0, v190
	v_and_b32_e32 v39, exec_lo, v39
	v_not_b32_e32 v190, v191
	v_ashrrev_i32_e32 v186, 31, v186
	v_xor_b32_e32 v185, vcc_lo, v185
	v_cmp_gt_i32_e32 vcc_lo, 0, v191
	v_and_b32_e32 v39, v39, v193
	v_not_b32_e32 v191, v192
	v_ashrrev_i32_e32 v190, 31, v190
	v_xor_b32_e32 v186, s22, v186
	v_cmp_gt_i32_e64 s22, 0, v192
	v_and_b32_e32 v39, v39, v185
	v_not_b32_e32 v185, v188
	v_ashrrev_i32_e32 v191, 31, v191
	v_xor_b32_e32 v190, vcc_lo, v190
	v_cmp_gt_i32_e32 vcc_lo, 0, v188
	v_and_b32_e32 v39, v39, v186
	v_ashrrev_i32_e32 v185, 31, v185
	v_xor_b32_e32 v186, s22, v191
	v_mad_u32_u24 v188, v40, 36, v135
	v_mul_u32_u24_e32 v40, 36, v40
	v_and_b32_e32 v39, v39, v190
	v_xor_b32_e32 v190, vcc_lo, v185
	ds_read_b32 v185, v188 offset:544
	v_add_nc_u32_e32 v188, v135, v40
	v_and_b32_e32 v39, v39, v186
	; wave barrier
	v_and_b32_e32 v39, v39, v190
	v_mbcnt_lo_u32_b32 v186, v39, 0
	v_cmp_ne_u32_e64 s22, 0, v39
	v_cmp_eq_u32_e32 vcc_lo, 0, v186
	s_and_b32 s23, s22, vcc_lo
	s_and_saveexec_b32 s22, s23
	s_cbranch_execz .LBB914_774
; %bb.773:                              ;   in Loop: Header=BB914_722 Depth=2
	s_waitcnt lgkmcnt(0)
	v_bcnt_u32_b32 v39, v39, v185
	ds_write_b32 v188, v39 offset:544
.LBB914_774:                            ;   in Loop: Header=BB914_722 Depth=2
	s_or_b32 exec_lo, exec_lo, s22
	v_xor_b32_e32 v184, 0x7fff, v184
	; wave barrier
	v_lshrrev_b32_sdwa v39, s41, v184 dst_sel:DWORD dst_unused:UNUSED_PAD src0_sel:DWORD src1_sel:WORD_0
	v_and_b32_e32 v40, s62, v39
	v_and_b32_e32 v39, 1, v40
	v_lshlrev_b32_e32 v190, 30, v40
	v_lshlrev_b32_e32 v191, 29, v40
	v_lshlrev_b32_e32 v193, 28, v40
	v_lshlrev_b32_e32 v194, 27, v40
	v_add_co_u32 v39, s22, v39, -1
	v_cndmask_b32_e64 v192, 0, 1, s22
	v_not_b32_e32 v196, v190
	v_cmp_gt_i32_e64 s22, 0, v190
	v_not_b32_e32 v190, v191
	v_lshlrev_b32_e32 v195, 26, v40
	v_cmp_ne_u32_e32 vcc_lo, 0, v192
	v_ashrrev_i32_e32 v196, 31, v196
	v_lshlrev_b32_e32 v192, 25, v40
	v_ashrrev_i32_e32 v190, 31, v190
	v_xor_b32_e32 v39, vcc_lo, v39
	v_cmp_gt_i32_e32 vcc_lo, 0, v191
	v_not_b32_e32 v191, v193
	v_xor_b32_e32 v196, s22, v196
	v_cmp_gt_i32_e64 s22, 0, v193
	v_and_b32_e32 v39, exec_lo, v39
	v_not_b32_e32 v193, v194
	v_ashrrev_i32_e32 v191, 31, v191
	v_xor_b32_e32 v190, vcc_lo, v190
	v_cmp_gt_i32_e32 vcc_lo, 0, v194
	v_and_b32_e32 v39, v39, v196
	v_not_b32_e32 v194, v195
	v_ashrrev_i32_e32 v193, 31, v193
	v_xor_b32_e32 v191, s22, v191
	v_cmp_gt_i32_e64 s22, 0, v195
	v_and_b32_e32 v39, v39, v190
	v_not_b32_e32 v190, v192
	v_ashrrev_i32_e32 v194, 31, v194
	v_xor_b32_e32 v193, vcc_lo, v193
	v_cmp_gt_i32_e32 vcc_lo, 0, v192
	v_and_b32_e32 v39, v39, v191
	v_ashrrev_i32_e32 v190, 31, v190
	v_xor_b32_e32 v191, s22, v194
	v_mad_u32_u24 v192, v40, 36, v135
	v_mul_u32_u24_e32 v40, 36, v40
	v_and_b32_e32 v39, v39, v193
	v_xor_b32_e32 v193, vcc_lo, v190
	ds_read_b32 v190, v192 offset:544
	v_add_nc_u32_e32 v192, v135, v40
	v_and_b32_e32 v39, v39, v191
	; wave barrier
	v_and_b32_e32 v39, v39, v193
	v_mbcnt_lo_u32_b32 v191, v39, 0
	v_cmp_ne_u32_e64 s22, 0, v39
	v_cmp_eq_u32_e32 vcc_lo, 0, v191
	s_and_b32 s23, s22, vcc_lo
	s_and_saveexec_b32 s22, s23
	s_cbranch_execz .LBB914_776
; %bb.775:                              ;   in Loop: Header=BB914_722 Depth=2
	s_waitcnt lgkmcnt(0)
	v_bcnt_u32_b32 v39, v39, v190
	ds_write_b32 v192, v39 offset:544
.LBB914_776:                            ;   in Loop: Header=BB914_722 Depth=2
	s_or_b32 exec_lo, exec_lo, s22
	v_xor_b32_e32 v189, 0x7fff, v189
	; wave barrier
	v_lshrrev_b32_sdwa v39, s41, v189 dst_sel:DWORD dst_unused:UNUSED_PAD src0_sel:DWORD src1_sel:WORD_0
	v_and_b32_e32 v40, s62, v39
	v_and_b32_e32 v39, 1, v40
	v_lshlrev_b32_e32 v193, 30, v40
	v_lshlrev_b32_e32 v194, 29, v40
	v_lshlrev_b32_e32 v196, 28, v40
	v_lshlrev_b32_e32 v197, 27, v40
	v_add_co_u32 v39, s22, v39, -1
	v_cndmask_b32_e64 v195, 0, 1, s22
	v_not_b32_e32 v199, v193
	v_cmp_gt_i32_e64 s22, 0, v193
	v_not_b32_e32 v193, v194
	v_lshlrev_b32_e32 v198, 26, v40
	v_cmp_ne_u32_e32 vcc_lo, 0, v195
	v_ashrrev_i32_e32 v199, 31, v199
	v_lshlrev_b32_e32 v195, 25, v40
	v_ashrrev_i32_e32 v193, 31, v193
	v_xor_b32_e32 v39, vcc_lo, v39
	v_cmp_gt_i32_e32 vcc_lo, 0, v194
	v_not_b32_e32 v194, v196
	v_xor_b32_e32 v199, s22, v199
	v_cmp_gt_i32_e64 s22, 0, v196
	v_and_b32_e32 v39, exec_lo, v39
	v_not_b32_e32 v196, v197
	v_ashrrev_i32_e32 v194, 31, v194
	v_xor_b32_e32 v193, vcc_lo, v193
	v_cmp_gt_i32_e32 vcc_lo, 0, v197
	v_and_b32_e32 v39, v39, v199
	v_not_b32_e32 v197, v198
	v_ashrrev_i32_e32 v196, 31, v196
	v_xor_b32_e32 v194, s22, v194
	v_cmp_gt_i32_e64 s22, 0, v198
	v_and_b32_e32 v39, v39, v193
	v_not_b32_e32 v193, v195
	v_ashrrev_i32_e32 v197, 31, v197
	v_xor_b32_e32 v196, vcc_lo, v196
	v_cmp_gt_i32_e32 vcc_lo, 0, v195
	v_and_b32_e32 v39, v39, v194
	v_ashrrev_i32_e32 v193, 31, v193
	v_xor_b32_e32 v194, s22, v197
	v_mad_u32_u24 v195, v40, 36, v135
	v_mul_u32_u24_e32 v40, 36, v40
	v_and_b32_e32 v39, v39, v196
	v_xor_b32_e32 v196, vcc_lo, v193
	ds_read_b32 v193, v195 offset:544
	v_add_nc_u32_e32 v195, v135, v40
	v_and_b32_e32 v39, v39, v194
	; wave barrier
	v_and_b32_e32 v39, v39, v196
	v_mbcnt_lo_u32_b32 v194, v39, 0
	v_cmp_ne_u32_e64 s22, 0, v39
	v_cmp_eq_u32_e32 vcc_lo, 0, v194
	s_and_b32 s23, s22, vcc_lo
	s_and_saveexec_b32 s22, s23
	s_cbranch_execz .LBB914_778
; %bb.777:                              ;   in Loop: Header=BB914_722 Depth=2
	s_waitcnt lgkmcnt(0)
	v_bcnt_u32_b32 v39, v39, v193
	ds_write_b32 v195, v39 offset:544
.LBB914_778:                            ;   in Loop: Header=BB914_722 Depth=2
	s_or_b32 exec_lo, exec_lo, s22
	v_xor_b32_e32 v187, 0x7fff, v187
	; wave barrier
	v_lshrrev_b32_sdwa v39, s41, v187 dst_sel:DWORD dst_unused:UNUSED_PAD src0_sel:DWORD src1_sel:WORD_0
	v_and_b32_e32 v40, s62, v39
	v_and_b32_e32 v39, 1, v40
	v_lshlrev_b32_e32 v196, 30, v40
	v_lshlrev_b32_e32 v197, 29, v40
	v_lshlrev_b32_e32 v199, 28, v40
	v_lshlrev_b32_e32 v200, 27, v40
	v_add_co_u32 v39, s22, v39, -1
	v_cndmask_b32_e64 v198, 0, 1, s22
	v_not_b32_e32 v202, v196
	v_cmp_gt_i32_e64 s22, 0, v196
	v_not_b32_e32 v196, v197
	v_lshlrev_b32_e32 v201, 26, v40
	v_cmp_ne_u32_e32 vcc_lo, 0, v198
	v_ashrrev_i32_e32 v202, 31, v202
	v_lshlrev_b32_e32 v198, 25, v40
	v_ashrrev_i32_e32 v196, 31, v196
	v_xor_b32_e32 v39, vcc_lo, v39
	v_cmp_gt_i32_e32 vcc_lo, 0, v197
	v_not_b32_e32 v197, v199
	v_xor_b32_e32 v202, s22, v202
	v_cmp_gt_i32_e64 s22, 0, v199
	v_and_b32_e32 v39, exec_lo, v39
	v_not_b32_e32 v199, v200
	v_ashrrev_i32_e32 v197, 31, v197
	v_xor_b32_e32 v196, vcc_lo, v196
	v_cmp_gt_i32_e32 vcc_lo, 0, v200
	v_and_b32_e32 v39, v39, v202
	v_not_b32_e32 v200, v201
	v_ashrrev_i32_e32 v199, 31, v199
	v_xor_b32_e32 v197, s22, v197
	v_cmp_gt_i32_e64 s22, 0, v201
	v_and_b32_e32 v39, v39, v196
	v_not_b32_e32 v196, v198
	v_ashrrev_i32_e32 v200, 31, v200
	v_xor_b32_e32 v199, vcc_lo, v199
	v_cmp_gt_i32_e32 vcc_lo, 0, v198
	v_and_b32_e32 v39, v39, v197
	v_ashrrev_i32_e32 v196, 31, v196
	v_xor_b32_e32 v197, s22, v200
	v_mad_u32_u24 v198, v40, 36, v135
	v_mul_u32_u24_e32 v40, 36, v40
	v_and_b32_e32 v39, v39, v199
	v_xor_b32_e32 v199, vcc_lo, v196
	ds_read_b32 v196, v198 offset:544
	v_add_nc_u32_e32 v198, v135, v40
	v_and_b32_e32 v39, v39, v197
	; wave barrier
	v_and_b32_e32 v39, v39, v199
	v_mbcnt_lo_u32_b32 v197, v39, 0
	v_cmp_ne_u32_e64 s22, 0, v39
	v_cmp_eq_u32_e32 vcc_lo, 0, v197
	s_and_b32 s23, s22, vcc_lo
	s_and_saveexec_b32 s22, s23
	s_cbranch_execz .LBB914_780
; %bb.779:                              ;   in Loop: Header=BB914_722 Depth=2
	s_waitcnt lgkmcnt(0)
	v_bcnt_u32_b32 v39, v39, v196
	ds_write_b32 v198, v39 offset:544
.LBB914_780:                            ;   in Loop: Header=BB914_722 Depth=2
	s_or_b32 exec_lo, exec_lo, s22
	v_xor_b32_e32 v182, 0x7fff, v182
	; wave barrier
	v_lshrrev_b32_sdwa v39, s41, v182 dst_sel:DWORD dst_unused:UNUSED_PAD src0_sel:DWORD src1_sel:WORD_0
	v_and_b32_e32 v40, s62, v39
	v_and_b32_e32 v39, 1, v40
	v_lshlrev_b32_e32 v199, 30, v40
	v_lshlrev_b32_e32 v200, 29, v40
	;; [unrolled: 1-line block ×4, first 2 shown]
	v_add_co_u32 v39, s22, v39, -1
	v_cndmask_b32_e64 v201, 0, 1, s22
	v_not_b32_e32 v205, v199
	v_cmp_gt_i32_e64 s22, 0, v199
	v_not_b32_e32 v199, v200
	v_lshlrev_b32_e32 v204, 26, v40
	v_cmp_ne_u32_e32 vcc_lo, 0, v201
	v_ashrrev_i32_e32 v205, 31, v205
	v_lshlrev_b32_e32 v201, 25, v40
	v_ashrrev_i32_e32 v199, 31, v199
	v_xor_b32_e32 v39, vcc_lo, v39
	v_cmp_gt_i32_e32 vcc_lo, 0, v200
	v_not_b32_e32 v200, v202
	v_xor_b32_e32 v205, s22, v205
	v_cmp_gt_i32_e64 s22, 0, v202
	v_and_b32_e32 v39, exec_lo, v39
	v_not_b32_e32 v202, v203
	v_ashrrev_i32_e32 v200, 31, v200
	v_xor_b32_e32 v199, vcc_lo, v199
	v_cmp_gt_i32_e32 vcc_lo, 0, v203
	v_and_b32_e32 v39, v39, v205
	v_not_b32_e32 v203, v204
	v_ashrrev_i32_e32 v202, 31, v202
	v_xor_b32_e32 v200, s22, v200
	v_cmp_gt_i32_e64 s22, 0, v204
	v_and_b32_e32 v39, v39, v199
	v_not_b32_e32 v199, v201
	v_ashrrev_i32_e32 v203, 31, v203
	v_xor_b32_e32 v202, vcc_lo, v202
	v_cmp_gt_i32_e32 vcc_lo, 0, v201
	v_and_b32_e32 v39, v39, v200
	v_ashrrev_i32_e32 v199, 31, v199
	v_xor_b32_e32 v200, s22, v203
	v_mad_u32_u24 v201, v40, 36, v135
	v_mul_u32_u24_e32 v40, 36, v40
	v_and_b32_e32 v39, v39, v202
	v_xor_b32_e32 v199, vcc_lo, v199
	v_add_nc_u32_e32 v202, v135, v40
	v_and_b32_e32 v39, v39, v200
	ds_read_b32 v200, v201 offset:544
	; wave barrier
	v_and_b32_e32 v39, v39, v199
	v_mbcnt_lo_u32_b32 v201, v39, 0
	v_cmp_ne_u32_e64 s22, 0, v39
	v_cmp_eq_u32_e32 vcc_lo, 0, v201
	s_and_b32 s23, s22, vcc_lo
	s_and_saveexec_b32 s22, s23
	s_cbranch_execz .LBB914_782
; %bb.781:                              ;   in Loop: Header=BB914_722 Depth=2
	s_waitcnt lgkmcnt(0)
	v_bcnt_u32_b32 v39, v39, v200
	ds_write_b32 v202, v39 offset:544
.LBB914_782:                            ;   in Loop: Header=BB914_722 Depth=2
	s_or_b32 exec_lo, exec_lo, s22
	v_xor_b32_e32 v199, 0x7fff, v177
	; wave barrier
	v_lshrrev_b32_sdwa v39, s41, v199 dst_sel:DWORD dst_unused:UNUSED_PAD src0_sel:DWORD src1_sel:WORD_0
	v_and_b32_e32 v40, s62, v39
	v_and_b32_e32 v39, 1, v40
	v_lshlrev_b32_e32 v177, 30, v40
	v_lshlrev_b32_e32 v203, 29, v40
	v_lshlrev_b32_e32 v205, 28, v40
	v_lshlrev_b32_e32 v206, 27, v40
	v_add_co_u32 v39, s22, v39, -1
	v_cndmask_b32_e64 v204, 0, 1, s22
	v_not_b32_e32 v208, v177
	v_cmp_gt_i32_e64 s22, 0, v177
	v_not_b32_e32 v177, v203
	v_lshlrev_b32_e32 v207, 26, v40
	v_cmp_ne_u32_e32 vcc_lo, 0, v204
	v_ashrrev_i32_e32 v208, 31, v208
	v_lshlrev_b32_e32 v204, 25, v40
	v_ashrrev_i32_e32 v177, 31, v177
	v_xor_b32_e32 v39, vcc_lo, v39
	v_cmp_gt_i32_e32 vcc_lo, 0, v203
	v_not_b32_e32 v203, v205
	v_xor_b32_e32 v208, s22, v208
	v_cmp_gt_i32_e64 s22, 0, v205
	v_and_b32_e32 v39, exec_lo, v39
	v_not_b32_e32 v205, v206
	v_ashrrev_i32_e32 v203, 31, v203
	v_xor_b32_e32 v177, vcc_lo, v177
	v_cmp_gt_i32_e32 vcc_lo, 0, v206
	v_and_b32_e32 v39, v39, v208
	v_not_b32_e32 v206, v207
	v_ashrrev_i32_e32 v205, 31, v205
	v_xor_b32_e32 v203, s22, v203
	v_cmp_gt_i32_e64 s22, 0, v207
	v_and_b32_e32 v39, v39, v177
	v_not_b32_e32 v177, v204
	v_ashrrev_i32_e32 v206, 31, v206
	v_xor_b32_e32 v205, vcc_lo, v205
	v_cmp_gt_i32_e32 vcc_lo, 0, v204
	v_and_b32_e32 v39, v39, v203
	v_ashrrev_i32_e32 v177, 31, v177
	v_xor_b32_e32 v203, s22, v206
	v_mad_u32_u24 v204, v40, 36, v135
	v_mul_u32_u24_e32 v40, 36, v40
	v_and_b32_e32 v39, v39, v205
	v_xor_b32_e32 v177, vcc_lo, v177
	ds_read_b32 v204, v204 offset:544
	v_and_b32_e32 v39, v39, v203
	; wave barrier
	v_and_b32_e32 v39, v39, v177
	v_add_nc_u32_e32 v177, v135, v40
	v_mbcnt_lo_u32_b32 v205, v39, 0
	v_cmp_ne_u32_e64 s22, 0, v39
	v_cmp_eq_u32_e32 vcc_lo, 0, v205
	s_and_b32 s23, s22, vcc_lo
	s_and_saveexec_b32 s22, s23
	s_cbranch_execz .LBB914_784
; %bb.783:                              ;   in Loop: Header=BB914_722 Depth=2
	s_waitcnt lgkmcnt(0)
	v_bcnt_u32_b32 v39, v39, v204
	ds_write_b32 v177, v39 offset:544
.LBB914_784:                            ;   in Loop: Header=BB914_722 Depth=2
	s_or_b32 exec_lo, exec_lo, s22
	v_xor_b32_e32 v203, 0x7fff, v173
	; wave barrier
	v_lshrrev_b32_sdwa v39, s41, v203 dst_sel:DWORD dst_unused:UNUSED_PAD src0_sel:DWORD src1_sel:WORD_0
	v_and_b32_e32 v40, s62, v39
	v_and_b32_e32 v39, 1, v40
	v_lshlrev_b32_e32 v173, 30, v40
	v_lshlrev_b32_e32 v206, 29, v40
	v_lshlrev_b32_e32 v208, 28, v40
	v_lshlrev_b32_e32 v209, 27, v40
	v_add_co_u32 v39, s22, v39, -1
	v_cndmask_b32_e64 v207, 0, 1, s22
	v_not_b32_e32 v211, v173
	v_cmp_gt_i32_e64 s22, 0, v173
	v_not_b32_e32 v173, v206
	v_lshlrev_b32_e32 v210, 26, v40
	v_cmp_ne_u32_e32 vcc_lo, 0, v207
	v_ashrrev_i32_e32 v211, 31, v211
	v_lshlrev_b32_e32 v207, 25, v40
	v_ashrrev_i32_e32 v173, 31, v173
	v_xor_b32_e32 v39, vcc_lo, v39
	v_cmp_gt_i32_e32 vcc_lo, 0, v206
	v_not_b32_e32 v206, v208
	v_xor_b32_e32 v211, s22, v211
	v_cmp_gt_i32_e64 s22, 0, v208
	v_and_b32_e32 v39, exec_lo, v39
	v_not_b32_e32 v208, v209
	v_ashrrev_i32_e32 v206, 31, v206
	v_xor_b32_e32 v173, vcc_lo, v173
	v_cmp_gt_i32_e32 vcc_lo, 0, v209
	v_and_b32_e32 v39, v39, v211
	v_not_b32_e32 v209, v210
	v_ashrrev_i32_e32 v208, 31, v208
	v_xor_b32_e32 v206, s22, v206
	v_cmp_gt_i32_e64 s22, 0, v210
	v_and_b32_e32 v39, v39, v173
	v_not_b32_e32 v173, v207
	v_ashrrev_i32_e32 v209, 31, v209
	v_xor_b32_e32 v208, vcc_lo, v208
	v_cmp_gt_i32_e32 vcc_lo, 0, v207
	v_and_b32_e32 v39, v39, v206
	v_ashrrev_i32_e32 v173, 31, v173
	v_xor_b32_e32 v206, s22, v209
	v_mad_u32_u24 v207, v40, 36, v135
	v_mul_u32_u24_e32 v40, 36, v40
	v_and_b32_e32 v39, v39, v208
	v_xor_b32_e32 v173, vcc_lo, v173
	ds_read_b32 v207, v207 offset:544
	v_and_b32_e32 v39, v39, v206
	; wave barrier
	v_and_b32_e32 v39, v39, v173
	v_add_nc_u32_e32 v173, v135, v40
	;; [unrolled: 63-line block ×3, first 2 shown]
	v_mbcnt_lo_u32_b32 v211, v39, 0
	v_cmp_ne_u32_e64 s22, 0, v39
	v_cmp_eq_u32_e32 vcc_lo, 0, v211
	s_and_b32 s23, s22, vcc_lo
	s_and_saveexec_b32 s22, s23
	s_cbranch_execz .LBB914_788
; %bb.787:                              ;   in Loop: Header=BB914_722 Depth=2
	s_waitcnt lgkmcnt(0)
	v_bcnt_u32_b32 v39, v39, v210
	ds_write_b32 v168, v39 offset:544
.LBB914_788:                            ;   in Loop: Header=BB914_722 Depth=2
	s_or_b32 exec_lo, exec_lo, s22
	v_xor_b32_e32 v209, 0x7fff, v42
	; wave barrier
	v_lshrrev_b32_sdwa v39, s41, v209 dst_sel:DWORD dst_unused:UNUSED_PAD src0_sel:DWORD src1_sel:WORD_0
	v_and_b32_e32 v40, s62, v39
	v_and_b32_e32 v39, 1, v40
	v_lshlrev_b32_e32 v42, 30, v40
	v_lshlrev_b32_e32 v212, 29, v40
	;; [unrolled: 1-line block ×4, first 2 shown]
	v_add_co_u32 v39, s22, v39, -1
	v_cndmask_b32_e64 v213, 0, 1, s22
	v_not_b32_e32 v217, v42
	v_cmp_gt_i32_e64 s22, 0, v42
	v_not_b32_e32 v42, v212
	v_lshlrev_b32_e32 v216, 26, v40
	v_cmp_ne_u32_e32 vcc_lo, 0, v213
	v_ashrrev_i32_e32 v217, 31, v217
	v_lshlrev_b32_e32 v213, 25, v40
	v_ashrrev_i32_e32 v42, 31, v42
	v_xor_b32_e32 v39, vcc_lo, v39
	v_cmp_gt_i32_e32 vcc_lo, 0, v212
	v_not_b32_e32 v212, v214
	v_xor_b32_e32 v217, s22, v217
	v_cmp_gt_i32_e64 s22, 0, v214
	v_and_b32_e32 v39, exec_lo, v39
	v_not_b32_e32 v214, v215
	v_ashrrev_i32_e32 v212, 31, v212
	v_xor_b32_e32 v42, vcc_lo, v42
	v_cmp_gt_i32_e32 vcc_lo, 0, v215
	v_and_b32_e32 v39, v39, v217
	v_not_b32_e32 v215, v216
	v_ashrrev_i32_e32 v214, 31, v214
	v_xor_b32_e32 v212, s22, v212
	v_cmp_gt_i32_e64 s22, 0, v216
	v_and_b32_e32 v39, v39, v42
	v_not_b32_e32 v42, v213
	v_ashrrev_i32_e32 v215, 31, v215
	v_xor_b32_e32 v214, vcc_lo, v214
	v_cmp_gt_i32_e32 vcc_lo, 0, v213
	v_and_b32_e32 v39, v39, v212
	v_ashrrev_i32_e32 v42, 31, v42
	v_xor_b32_e32 v212, s22, v215
	v_mad_u32_u24 v213, v40, 36, v135
	v_mul_u32_u24_e32 v40, 36, v40
	v_and_b32_e32 v39, v39, v214
	v_xor_b32_e32 v42, vcc_lo, v42
	ds_read_b32 v213, v213 offset:544
	v_add_nc_u32_e32 v215, v135, v40
	v_and_b32_e32 v39, v39, v212
	; wave barrier
	v_and_b32_e32 v39, v39, v42
	v_mbcnt_lo_u32_b32 v214, v39, 0
	v_cmp_ne_u32_e64 s22, 0, v39
	v_cmp_eq_u32_e32 vcc_lo, 0, v214
	s_and_b32 s23, s22, vcc_lo
	s_and_saveexec_b32 s22, s23
	s_cbranch_execz .LBB914_790
; %bb.789:                              ;   in Loop: Header=BB914_722 Depth=2
	s_waitcnt lgkmcnt(0)
	v_bcnt_u32_b32 v39, v39, v213
	ds_write_b32 v215, v39 offset:544
.LBB914_790:                            ;   in Loop: Header=BB914_722 Depth=2
	s_or_b32 exec_lo, exec_lo, s22
	v_xor_b32_e32 v212, 0x7fff, v41
	; wave barrier
	v_lshrrev_b32_sdwa v39, s41, v212 dst_sel:DWORD dst_unused:UNUSED_PAD src0_sel:DWORD src1_sel:WORD_0
	v_and_b32_e32 v40, s62, v39
	v_and_b32_e32 v39, 1, v40
	v_lshlrev_b32_e32 v41, 30, v40
	v_lshlrev_b32_e32 v42, 29, v40
	;; [unrolled: 1-line block ×4, first 2 shown]
	v_add_co_u32 v39, s22, v39, -1
	v_cndmask_b32_e64 v216, 0, 1, s22
	v_not_b32_e32 v220, v41
	v_cmp_gt_i32_e64 s22, 0, v41
	v_not_b32_e32 v41, v42
	v_lshlrev_b32_e32 v219, 26, v40
	v_cmp_ne_u32_e32 vcc_lo, 0, v216
	v_ashrrev_i32_e32 v220, 31, v220
	v_lshlrev_b32_e32 v216, 25, v40
	v_ashrrev_i32_e32 v41, 31, v41
	v_xor_b32_e32 v39, vcc_lo, v39
	v_cmp_gt_i32_e32 vcc_lo, 0, v42
	v_not_b32_e32 v42, v217
	v_xor_b32_e32 v220, s22, v220
	v_cmp_gt_i32_e64 s22, 0, v217
	v_and_b32_e32 v39, exec_lo, v39
	v_not_b32_e32 v217, v218
	v_ashrrev_i32_e32 v42, 31, v42
	v_xor_b32_e32 v41, vcc_lo, v41
	v_cmp_gt_i32_e32 vcc_lo, 0, v218
	v_and_b32_e32 v39, v39, v220
	v_not_b32_e32 v218, v219
	v_ashrrev_i32_e32 v217, 31, v217
	v_xor_b32_e32 v42, s22, v42
	v_cmp_gt_i32_e64 s22, 0, v219
	v_and_b32_e32 v39, v39, v41
	v_not_b32_e32 v41, v216
	v_ashrrev_i32_e32 v218, 31, v218
	v_xor_b32_e32 v217, vcc_lo, v217
	v_cmp_gt_i32_e32 vcc_lo, 0, v216
	v_and_b32_e32 v39, v39, v42
	v_ashrrev_i32_e32 v41, 31, v41
	v_xor_b32_e32 v42, s22, v218
	v_mad_u32_u24 v216, v40, 36, v135
	v_mul_u32_u24_e32 v40, 36, v40
	v_and_b32_e32 v39, v39, v217
	v_xor_b32_e32 v41, vcc_lo, v41
	ds_read_b32 v216, v216 offset:544
	v_add_nc_u32_e32 v218, v135, v40
	v_and_b32_e32 v39, v39, v42
	; wave barrier
	v_and_b32_e32 v39, v39, v41
	v_mbcnt_lo_u32_b32 v217, v39, 0
	v_cmp_ne_u32_e64 s22, 0, v39
	v_cmp_eq_u32_e32 vcc_lo, 0, v217
	s_and_b32 s23, s22, vcc_lo
	s_and_saveexec_b32 s22, s23
	s_cbranch_execz .LBB914_792
; %bb.791:                              ;   in Loop: Header=BB914_722 Depth=2
	s_waitcnt lgkmcnt(0)
	v_bcnt_u32_b32 v39, v39, v216
	ds_write_b32 v218, v39 offset:544
.LBB914_792:                            ;   in Loop: Header=BB914_722 Depth=2
	s_or_b32 exec_lo, exec_lo, s22
	v_lshrrev_b32_sdwa v39, s41, v3 dst_sel:DWORD dst_unused:UNUSED_PAD src0_sel:DWORD src1_sel:WORD_0
	; wave barrier
	v_and_b32_e32 v40, s62, v39
	v_and_b32_e32 v39, 1, v40
	v_lshlrev_b32_e32 v41, 30, v40
	v_lshlrev_b32_e32 v42, 29, v40
	;; [unrolled: 1-line block ×4, first 2 shown]
	v_add_co_u32 v39, s22, v39, -1
	v_cndmask_b32_e64 v219, 0, 1, s22
	v_not_b32_e32 v223, v41
	v_cmp_gt_i32_e64 s22, 0, v41
	v_not_b32_e32 v41, v42
	v_lshlrev_b32_e32 v222, 26, v40
	v_cmp_ne_u32_e32 vcc_lo, 0, v219
	v_ashrrev_i32_e32 v223, 31, v223
	v_lshlrev_b32_e32 v219, 25, v40
	v_ashrrev_i32_e32 v41, 31, v41
	v_xor_b32_e32 v39, vcc_lo, v39
	v_cmp_gt_i32_e32 vcc_lo, 0, v42
	v_not_b32_e32 v42, v220
	v_xor_b32_e32 v223, s22, v223
	v_cmp_gt_i32_e64 s22, 0, v220
	v_and_b32_e32 v39, exec_lo, v39
	v_not_b32_e32 v220, v221
	v_ashrrev_i32_e32 v42, 31, v42
	v_xor_b32_e32 v41, vcc_lo, v41
	v_cmp_gt_i32_e32 vcc_lo, 0, v221
	v_and_b32_e32 v39, v39, v223
	v_not_b32_e32 v221, v222
	v_ashrrev_i32_e32 v220, 31, v220
	v_xor_b32_e32 v42, s22, v42
	v_cmp_gt_i32_e64 s22, 0, v222
	v_and_b32_e32 v39, v39, v41
	v_not_b32_e32 v41, v219
	v_ashrrev_i32_e32 v221, 31, v221
	v_xor_b32_e32 v220, vcc_lo, v220
	v_cmp_gt_i32_e32 vcc_lo, 0, v219
	v_and_b32_e32 v39, v39, v42
	v_ashrrev_i32_e32 v41, 31, v41
	v_xor_b32_e32 v42, s22, v221
	v_mad_u32_u24 v219, v40, 36, v135
	v_mul_u32_u24_e32 v40, 36, v40
	v_and_b32_e32 v39, v39, v220
	v_xor_b32_e32 v41, vcc_lo, v41
	ds_read_b32 v219, v219 offset:544
	v_add_nc_u32_e32 v221, v135, v40
	v_and_b32_e32 v39, v39, v42
	; wave barrier
	v_and_b32_e32 v39, v39, v41
	v_mbcnt_lo_u32_b32 v220, v39, 0
	v_cmp_ne_u32_e64 s22, 0, v39
	v_cmp_eq_u32_e32 vcc_lo, 0, v220
	s_and_b32 s23, s22, vcc_lo
	s_and_saveexec_b32 s22, s23
	s_cbranch_execz .LBB914_794
; %bb.793:                              ;   in Loop: Header=BB914_722 Depth=2
	s_waitcnt lgkmcnt(0)
	v_bcnt_u32_b32 v39, v39, v219
	ds_write_b32 v221, v39 offset:544
.LBB914_794:                            ;   in Loop: Header=BB914_722 Depth=2
	s_or_b32 exec_lo, exec_lo, s22
	; wave barrier
	s_waitcnt lgkmcnt(0)
	s_barrier
	buffer_gl0_inv
	ds_read2_b32 v[41:42], v68 offset0:136 offset1:137
	ds_read2_b32 v[39:40], v68 offset0:138 offset1:139
	ds_read_b32 v222, v68 offset:560
	s_waitcnt lgkmcnt(1)
	v_add3_u32 v223, v42, v41, v39
	s_waitcnt lgkmcnt(0)
	v_add3_u32 v222, v223, v40, v222
	v_mov_b32_dpp v223, v222 row_shr:1 row_mask:0xf bank_mask:0xf
	v_cndmask_b32_e64 v223, v223, 0, s5
	v_add_nc_u32_e32 v222, v223, v222
	v_mov_b32_dpp v223, v222 row_shr:2 row_mask:0xf bank_mask:0xf
	v_cndmask_b32_e64 v223, 0, v223, s15
	v_add_nc_u32_e32 v222, v222, v223
	;; [unrolled: 3-line block ×4, first 2 shown]
	ds_swizzle_b32 v223, v222 offset:swizzle(BROADCAST,32,15)
	s_waitcnt lgkmcnt(0)
	v_cndmask_b32_e64 v223, v223, 0, s18
	v_add_nc_u32_e32 v222, v222, v223
	s_and_saveexec_b32 s22, s4
; %bb.795:                              ;   in Loop: Header=BB914_722 Depth=2
	ds_write_b32 v62, v222 offset:512
; %bb.796:                              ;   in Loop: Header=BB914_722 Depth=2
	s_or_b32 exec_lo, exec_lo, s22
	s_waitcnt lgkmcnt(0)
	s_barrier
	buffer_gl0_inv
	s_and_saveexec_b32 s22, s11
	s_cbranch_execz .LBB914_798
; %bb.797:                              ;   in Loop: Header=BB914_722 Depth=2
	ds_read_b32 v223, v69 offset:512
	s_waitcnt lgkmcnt(0)
	v_mov_b32_dpp v224, v223 row_shr:1 row_mask:0xf bank_mask:0xf
	v_cndmask_b32_e64 v224, v224, 0, s19
	v_add_nc_u32_e32 v223, v224, v223
	v_mov_b32_dpp v224, v223 row_shr:2 row_mask:0xf bank_mask:0xf
	v_cndmask_b32_e64 v224, 0, v224, s20
	v_add_nc_u32_e32 v223, v223, v224
	;; [unrolled: 3-line block ×3, first 2 shown]
	ds_write_b32 v69, v223 offset:512
.LBB914_798:                            ;   in Loop: Header=BB914_722 Depth=2
	s_or_b32 exec_lo, exec_lo, s22
	v_mov_b32_e32 v223, 0
	s_waitcnt lgkmcnt(0)
	s_barrier
	buffer_gl0_inv
	s_and_saveexec_b32 s22, s10
; %bb.799:                              ;   in Loop: Header=BB914_722 Depth=2
	ds_read_b32 v223, v62 offset:508
; %bb.800:                              ;   in Loop: Header=BB914_722 Depth=2
	s_or_b32 exec_lo, exec_lo, s22
	s_waitcnt lgkmcnt(0)
	v_add_nc_u32_e32 v222, v223, v222
	ds_bpermute_b32 v222, v125, v222
	s_waitcnt lgkmcnt(0)
	v_cndmask_b32_e64 v222, v222, v223, s14
	v_cndmask_b32_e64 v222, v222, 0, s12
	v_add_nc_u32_e32 v41, v222, v41
	v_add_nc_u32_e32 v42, v41, v42
	v_add_nc_u32_e32 v39, v42, v39
	v_add_nc_u32_e32 v40, v39, v40
	ds_write2_b32 v68, v222, v41 offset0:136 offset1:137
	ds_write2_b32 v68, v42, v39 offset0:138 offset1:139
	ds_write_b32 v68, v40 offset:560
	s_waitcnt lgkmcnt(0)
	s_barrier
	buffer_gl0_inv
	ds_read_b32 v41, v159 offset:544
	ds_read_b32 v42, v163 offset:544
	;; [unrolled: 1-line block ×17, first 2 shown]
	s_and_saveexec_b32 s22, s7
	s_cbranch_execz .LBB914_804
; %bb.801:                              ;   in Loop: Header=BB914_722 Depth=2
	ds_read_b32 v151, v71 offset:544
	v_mov_b32_e32 v154, 0x1100
	s_and_saveexec_b32 s23, s13
; %bb.802:                              ;   in Loop: Header=BB914_722 Depth=2
	ds_read_b32 v154, v70 offset:544
; %bb.803:                              ;   in Loop: Header=BB914_722 Depth=2
	s_or_b32 exec_lo, exec_lo, s23
	s_waitcnt lgkmcnt(0)
	v_sub_nc_u32_e32 v154, v154, v151
.LBB914_804:                            ;   in Loop: Header=BB914_722 Depth=2
	s_or_b32 exec_lo, exec_lo, s22
	s_waitcnt lgkmcnt(0)
	s_barrier
	buffer_gl0_inv
	s_and_saveexec_b32 s22, s7
	s_cbranch_execz .LBB914_806
; %bb.805:                              ;   in Loop: Header=BB914_722 Depth=2
	ds_read_b32 v168, v43
	s_waitcnt lgkmcnt(0)
	v_sub_nc_u32_e32 v168, v168, v151
	ds_write_b32 v43, v168
.LBB914_806:                            ;   in Loop: Header=BB914_722 Depth=2
	s_or_b32 exec_lo, exec_lo, s22
	v_add_nc_u32_e32 v178, v41, v158
	v_add3_u32 v177, v162, v161, v42
	v_add3_u32 v173, v166, v165, v163
	;; [unrolled: 1-line block ×5, first 2 shown]
	v_lshlrev_b32_e32 v175, 1, v178
	v_lshlrev_b32_e32 v176, 1, v177
	v_add3_u32 v161, v217, v216, v39
	v_lshlrev_b32_e32 v39, 1, v173
	v_add3_u32 v170, v181, v180, v183
	v_add3_u32 v167, v191, v190, v192
	v_add3_u32 v166, v194, v193, v195
	v_add3_u32 v158, v214, v213, v159
	v_add3_u32 v159, v220, v219, v40
	ds_write_b16 v175, v156 offset:512
	ds_write_b16 v176, v157 offset:512
	v_lshlrev_b32_e32 v40, 1, v172
	ds_write_b16 v39, v160 offset:512
	v_lshlrev_b32_e32 v39, 1, v168
	v_add3_u32 v165, v197, v196, v198
	v_lshlrev_b32_e32 v156, 1, v171
	v_add3_u32 v163, v201, v200, v202
	;; [unrolled: 2-line block ×3, first 2 shown]
	v_add3_u32 v42, v208, v207, v224
	ds_write_b16 v40, v164 offset:512
	ds_write_b16 v156, v169 offset:512
	;; [unrolled: 1-line block ×3, first 2 shown]
	v_lshlrev_b32_e32 v40, 1, v167
	ds_write_b16 v39, v179 offset:512
	v_lshlrev_b32_e32 v39, 1, v166
	v_lshlrev_b32_e32 v156, 1, v165
	;; [unrolled: 1-line block ×3, first 2 shown]
	v_add3_u32 v41, v211, v210, v225
	ds_write_b16 v40, v184 offset:512
	v_lshlrev_b32_e32 v40, 1, v162
	ds_write_b16 v39, v189 offset:512
	ds_write_b16 v156, v187 offset:512
	;; [unrolled: 1-line block ×3, first 2 shown]
	v_lshlrev_b32_e32 v39, 1, v42
	v_cmp_lt_u32_e32 vcc_lo, v0, v155
	v_lshlrev_b32_e32 v156, 1, v158
	ds_write_b16 v40, v199 offset:512
	v_lshlrev_b32_e32 v40, 1, v41
	ds_write_b16 v39, v203 offset:512
	v_lshlrev_b32_e32 v39, 1, v159
	v_lshlrev_b32_e32 v157, 1, v161
	ds_write_b16 v40, v206 offset:512
	ds_write_b16 v156, v209 offset:512
	;; [unrolled: 1-line block ×4, first 2 shown]
	s_waitcnt lgkmcnt(0)
	s_barrier
	buffer_gl0_inv
	s_and_saveexec_b32 s23, vcc_lo
	s_cbranch_execnz .LBB914_879
; %bb.807:                              ;   in Loop: Header=BB914_722 Depth=2
	s_or_b32 exec_lo, exec_lo, s23
	v_cmp_lt_u32_e64 s22, v44, v155
	s_and_saveexec_b32 s24, s22
	s_cbranch_execnz .LBB914_880
.LBB914_808:                            ;   in Loop: Header=BB914_722 Depth=2
	s_or_b32 exec_lo, exec_lo, s24
	v_cmp_lt_u32_e64 s23, v47, v155
	s_and_saveexec_b32 s25, s23
	s_cbranch_execnz .LBB914_881
.LBB914_809:                            ;   in Loop: Header=BB914_722 Depth=2
	s_or_b32 exec_lo, exec_lo, s25
	v_cmp_lt_u32_e64 s24, v48, v155
	s_and_saveexec_b32 s26, s24
	s_cbranch_execnz .LBB914_882
.LBB914_810:                            ;   in Loop: Header=BB914_722 Depth=2
	s_or_b32 exec_lo, exec_lo, s26
	v_cmp_lt_u32_e64 s25, v49, v155
	s_and_saveexec_b32 s27, s25
	s_cbranch_execnz .LBB914_883
.LBB914_811:                            ;   in Loop: Header=BB914_722 Depth=2
	s_or_b32 exec_lo, exec_lo, s27
	v_cmp_lt_u32_e64 s26, v50, v155
	s_and_saveexec_b32 s29, s26
	s_cbranch_execnz .LBB914_884
.LBB914_812:                            ;   in Loop: Header=BB914_722 Depth=2
	s_or_b32 exec_lo, exec_lo, s29
	v_cmp_lt_u32_e64 s27, v51, v155
	s_and_saveexec_b32 s30, s27
	s_cbranch_execnz .LBB914_885
.LBB914_813:                            ;   in Loop: Header=BB914_722 Depth=2
	s_or_b32 exec_lo, exec_lo, s30
	v_cmp_lt_u32_e64 s29, v52, v155
	s_and_saveexec_b32 s31, s29
	s_cbranch_execnz .LBB914_886
.LBB914_814:                            ;   in Loop: Header=BB914_722 Depth=2
	s_or_b32 exec_lo, exec_lo, s31
	v_cmp_lt_u32_e64 s30, v53, v155
	s_and_saveexec_b32 s33, s30
	s_cbranch_execnz .LBB914_887
.LBB914_815:                            ;   in Loop: Header=BB914_722 Depth=2
	s_or_b32 exec_lo, exec_lo, s33
	v_cmp_lt_u32_e64 s31, v54, v155
	s_and_saveexec_b32 s34, s31
	s_cbranch_execnz .LBB914_888
.LBB914_816:                            ;   in Loop: Header=BB914_722 Depth=2
	s_or_b32 exec_lo, exec_lo, s34
	v_cmp_lt_u32_e64 s33, v55, v155
	s_and_saveexec_b32 s35, s33
	s_cbranch_execnz .LBB914_889
.LBB914_817:                            ;   in Loop: Header=BB914_722 Depth=2
	s_or_b32 exec_lo, exec_lo, s35
	v_cmp_lt_u32_e64 s34, v56, v155
	s_and_saveexec_b32 s36, s34
	s_cbranch_execnz .LBB914_890
.LBB914_818:                            ;   in Loop: Header=BB914_722 Depth=2
	s_or_b32 exec_lo, exec_lo, s36
	v_cmp_lt_u32_e64 s35, v57, v155
	s_and_saveexec_b32 s37, s35
	s_cbranch_execnz .LBB914_891
.LBB914_819:                            ;   in Loop: Header=BB914_722 Depth=2
	s_or_b32 exec_lo, exec_lo, s37
	v_cmp_lt_u32_e64 s36, v58, v155
	s_and_saveexec_b32 s38, s36
	s_cbranch_execnz .LBB914_892
.LBB914_820:                            ;   in Loop: Header=BB914_722 Depth=2
	s_or_b32 exec_lo, exec_lo, s38
	v_cmp_lt_u32_e64 s37, v59, v155
	s_and_saveexec_b32 s39, s37
	s_cbranch_execnz .LBB914_893
.LBB914_821:                            ;   in Loop: Header=BB914_722 Depth=2
	s_or_b32 exec_lo, exec_lo, s39
	v_cmp_lt_u32_e64 s38, v60, v155
	s_and_saveexec_b32 s40, s38
	s_cbranch_execnz .LBB914_894
.LBB914_822:                            ;   in Loop: Header=BB914_722 Depth=2
	s_or_b32 exec_lo, exec_lo, s40
	v_cmp_lt_u32_e64 s39, v61, v155
	s_and_saveexec_b32 s65, s39
	s_cbranch_execz .LBB914_824
.LBB914_823:                            ;   in Loop: Header=BB914_722 Depth=2
	ds_read_u16 v156, v74 offset:8704
	s_waitcnt lgkmcnt(0)
	v_lshrrev_b32_sdwa v3, s41, v156 dst_sel:DWORD dst_unused:UNUSED_PAD src0_sel:DWORD src1_sel:WORD_0
	v_and_b32_e32 v3, s62, v3
	v_lshlrev_b32_e32 v3, 2, v3
	ds_read_b32 v3, v3
	s_waitcnt lgkmcnt(0)
	v_add_nc_u32_e32 v3, v3, v61
	v_lshlrev_b64 v[39:40], 1, v[3:4]
	v_xor_b32_e32 v3, 0x7fff, v156
	v_add_co_u32 v39, s40, s46, v39
	v_add_co_ci_u32_e64 v40, null, s47, v40, s40
	global_store_short v[39:40], v3, off
.LBB914_824:                            ;   in Loop: Header=BB914_722 Depth=2
	s_or_b32 exec_lo, exec_lo, s65
	s_lshl_b64 s[66:67], s[50:51], 3
	v_add_co_u32 v39, s40, v126, s66
	v_add_co_ci_u32_e64 v40, null, s67, v127, s40
	v_cmp_lt_u32_e64 s40, v94, v155
	s_and_saveexec_b32 s50, s40
	s_xor_b32 s40, exec_lo, s50
	s_cbranch_execnz .LBB914_895
; %bb.825:                              ;   in Loop: Header=BB914_722 Depth=2
	s_or_b32 exec_lo, exec_lo, s40
	s_mov_b32 s50, exec_lo
	v_cmpx_lt_u32_e64 v98, v155
	s_cbranch_execnz .LBB914_896
.LBB914_826:                            ;   in Loop: Header=BB914_722 Depth=2
	s_or_b32 exec_lo, exec_lo, s50
	s_mov_b32 s50, exec_lo
	v_cmpx_lt_u32_e64 v99, v155
	s_cbranch_execnz .LBB914_897
.LBB914_827:                            ;   in Loop: Header=BB914_722 Depth=2
	s_or_b32 exec_lo, exec_lo, s50
	s_mov_b32 s50, exec_lo
	v_cmpx_lt_u32_e64 v100, v155
	s_cbranch_execnz .LBB914_898
.LBB914_828:                            ;   in Loop: Header=BB914_722 Depth=2
	s_or_b32 exec_lo, exec_lo, s50
	s_mov_b32 s50, exec_lo
	v_cmpx_lt_u32_e64 v101, v155
	s_cbranch_execnz .LBB914_899
.LBB914_829:                            ;   in Loop: Header=BB914_722 Depth=2
	s_or_b32 exec_lo, exec_lo, s50
	s_mov_b32 s50, exec_lo
	v_cmpx_lt_u32_e64 v102, v155
	s_cbranch_execnz .LBB914_900
.LBB914_830:                            ;   in Loop: Header=BB914_722 Depth=2
	s_or_b32 exec_lo, exec_lo, s50
	s_mov_b32 s50, exec_lo
	v_cmpx_lt_u32_e64 v103, v155
	s_cbranch_execnz .LBB914_901
.LBB914_831:                            ;   in Loop: Header=BB914_722 Depth=2
	s_or_b32 exec_lo, exec_lo, s50
	s_mov_b32 s50, exec_lo
	v_cmpx_lt_u32_e64 v104, v155
	s_cbranch_execnz .LBB914_902
.LBB914_832:                            ;   in Loop: Header=BB914_722 Depth=2
	s_or_b32 exec_lo, exec_lo, s50
	s_mov_b32 s50, exec_lo
	v_cmpx_lt_u32_e64 v105, v155
	s_cbranch_execnz .LBB914_903
.LBB914_833:                            ;   in Loop: Header=BB914_722 Depth=2
	s_or_b32 exec_lo, exec_lo, s50
	s_mov_b32 s50, exec_lo
	v_cmpx_lt_u32_e64 v106, v155
	s_cbranch_execnz .LBB914_904
.LBB914_834:                            ;   in Loop: Header=BB914_722 Depth=2
	s_or_b32 exec_lo, exec_lo, s50
	s_mov_b32 s50, exec_lo
	v_cmpx_lt_u32_e64 v107, v155
	s_cbranch_execnz .LBB914_905
.LBB914_835:                            ;   in Loop: Header=BB914_722 Depth=2
	s_or_b32 exec_lo, exec_lo, s50
	s_mov_b32 s50, exec_lo
	v_cmpx_lt_u32_e64 v108, v155
	s_cbranch_execnz .LBB914_906
.LBB914_836:                            ;   in Loop: Header=BB914_722 Depth=2
	s_or_b32 exec_lo, exec_lo, s50
	s_mov_b32 s50, exec_lo
	v_cmpx_lt_u32_e64 v128, v155
	s_cbranch_execnz .LBB914_907
.LBB914_837:                            ;   in Loop: Header=BB914_722 Depth=2
	s_or_b32 exec_lo, exec_lo, s50
	s_mov_b32 s50, exec_lo
	v_cmpx_lt_u32_e64 v129, v155
	s_cbranch_execnz .LBB914_908
.LBB914_838:                            ;   in Loop: Header=BB914_722 Depth=2
	s_or_b32 exec_lo, exec_lo, s50
	s_mov_b32 s50, exec_lo
	v_cmpx_lt_u32_e64 v130, v155
	s_cbranch_execnz .LBB914_909
.LBB914_839:                            ;   in Loop: Header=BB914_722 Depth=2
	s_or_b32 exec_lo, exec_lo, s50
	s_mov_b32 s50, exec_lo
	v_cmpx_lt_u32_e64 v131, v155
	s_cbranch_execnz .LBB914_910
.LBB914_840:                            ;   in Loop: Header=BB914_722 Depth=2
	s_or_b32 exec_lo, exec_lo, s50
	s_mov_b32 s50, exec_lo
	v_cmpx_lt_u32_e64 v132, v155
	s_cbranch_execnz .LBB914_911
.LBB914_841:                            ;   in Loop: Header=BB914_722 Depth=2
	s_or_b32 exec_lo, exec_lo, s50
	s_and_saveexec_b32 s40, vcc_lo
	s_cbranch_execnz .LBB914_912
.LBB914_842:                            ;   in Loop: Header=BB914_722 Depth=2
	s_or_b32 exec_lo, exec_lo, s40
	s_and_saveexec_b32 s40, s22
	s_cbranch_execnz .LBB914_913
.LBB914_843:                            ;   in Loop: Header=BB914_722 Depth=2
	s_or_b32 exec_lo, exec_lo, s40
	s_and_saveexec_b32 s40, s23
	s_cbranch_execnz .LBB914_914
.LBB914_844:                            ;   in Loop: Header=BB914_722 Depth=2
	s_or_b32 exec_lo, exec_lo, s40
	s_and_saveexec_b32 s40, s24
	s_cbranch_execnz .LBB914_915
.LBB914_845:                            ;   in Loop: Header=BB914_722 Depth=2
	s_or_b32 exec_lo, exec_lo, s40
	s_and_saveexec_b32 s40, s25
	s_cbranch_execnz .LBB914_916
.LBB914_846:                            ;   in Loop: Header=BB914_722 Depth=2
	s_or_b32 exec_lo, exec_lo, s40
	s_and_saveexec_b32 s40, s26
	s_cbranch_execnz .LBB914_917
.LBB914_847:                            ;   in Loop: Header=BB914_722 Depth=2
	s_or_b32 exec_lo, exec_lo, s40
	s_and_saveexec_b32 s40, s27
	s_cbranch_execnz .LBB914_918
.LBB914_848:                            ;   in Loop: Header=BB914_722 Depth=2
	s_or_b32 exec_lo, exec_lo, s40
	s_and_saveexec_b32 s40, s29
	s_cbranch_execnz .LBB914_919
.LBB914_849:                            ;   in Loop: Header=BB914_722 Depth=2
	s_or_b32 exec_lo, exec_lo, s40
	s_and_saveexec_b32 s40, s30
	s_cbranch_execnz .LBB914_920
.LBB914_850:                            ;   in Loop: Header=BB914_722 Depth=2
	s_or_b32 exec_lo, exec_lo, s40
	s_and_saveexec_b32 s40, s31
	s_cbranch_execnz .LBB914_921
.LBB914_851:                            ;   in Loop: Header=BB914_722 Depth=2
	s_or_b32 exec_lo, exec_lo, s40
	s_and_saveexec_b32 s40, s33
	s_cbranch_execnz .LBB914_922
.LBB914_852:                            ;   in Loop: Header=BB914_722 Depth=2
	s_or_b32 exec_lo, exec_lo, s40
	s_and_saveexec_b32 s40, s34
	s_cbranch_execnz .LBB914_923
.LBB914_853:                            ;   in Loop: Header=BB914_722 Depth=2
	s_or_b32 exec_lo, exec_lo, s40
	s_and_saveexec_b32 s40, s35
	s_cbranch_execnz .LBB914_924
.LBB914_854:                            ;   in Loop: Header=BB914_722 Depth=2
	s_or_b32 exec_lo, exec_lo, s40
	s_and_saveexec_b32 s40, s36
	s_cbranch_execnz .LBB914_925
.LBB914_855:                            ;   in Loop: Header=BB914_722 Depth=2
	s_or_b32 exec_lo, exec_lo, s40
	s_and_saveexec_b32 s40, s37
	s_cbranch_execnz .LBB914_926
.LBB914_856:                            ;   in Loop: Header=BB914_722 Depth=2
	s_or_b32 exec_lo, exec_lo, s40
	s_and_saveexec_b32 s40, s38
	s_cbranch_execnz .LBB914_927
.LBB914_857:                            ;   in Loop: Header=BB914_722 Depth=2
	s_or_b32 exec_lo, exec_lo, s40
	s_and_saveexec_b32 s40, s39
	s_cbranch_execz .LBB914_859
.LBB914_858:                            ;   in Loop: Header=BB914_722 Depth=2
	ds_read_u16 v3, v74 offset:8704
	s_waitcnt lgkmcnt(0)
	v_lshrrev_b32_e32 v3, s41, v3
	v_and_b32_e32 v136, s62, v3
.LBB914_859:                            ;   in Loop: Header=BB914_722 Depth=2
	s_or_b32 exec_lo, exec_lo, s40
	v_lshlrev_b32_e32 v3, 3, v178
	v_lshlrev_b32_e32 v39, 3, v177
	s_waitcnt vmcnt(0)
	s_waitcnt_vscnt null, 0x0
	s_barrier
	buffer_gl0_inv
	ds_write_b64 v3, v[37:38] offset:512
	ds_write_b64 v39, v[35:36] offset:512
	v_lshlrev_b32_e32 v3, 3, v173
	v_lshlrev_b32_e32 v39, 3, v172
	v_lshlrev_b32_e32 v40, 3, v171
	v_lshlrev_b32_e32 v155, 3, v170
	v_lshlrev_b32_e32 v156, 3, v168
	ds_write_b64 v3, v[33:34] offset:512
	ds_write_b64 v39, v[31:32] offset:512
	ds_write_b64 v40, v[29:30] offset:512
	ds_write_b64 v155, v[25:26] offset:512
	ds_write_b64 v156, v[21:22] offset:512
	v_lshlrev_b32_e32 v3, 3, v167
	v_lshlrev_b32_e32 v39, 3, v166
	v_lshlrev_b32_e32 v40, 3, v165
	v_lshlrev_b32_e32 v155, 3, v163
	v_lshlrev_b32_e32 v156, 3, v162
	ds_write_b64 v3, v[17:18] offset:512
	ds_write_b64 v39, v[27:28] offset:512
	ds_write_b64 v40, v[23:24] offset:512
	;; [unrolled: 10-line block ×3, first 2 shown]
	ds_write_b64 v41, v[7:8] offset:512
	ds_write_b64 v42, v[5:6] offset:512
	s_waitcnt lgkmcnt(0)
	s_barrier
	buffer_gl0_inv
	s_and_saveexec_b32 s40, vcc_lo
	s_cbranch_execnz .LBB914_928
; %bb.860:                              ;   in Loop: Header=BB914_722 Depth=2
	s_or_b32 exec_lo, exec_lo, s40
	s_and_saveexec_b32 s40, s22
	s_cbranch_execnz .LBB914_929
.LBB914_861:                            ;   in Loop: Header=BB914_722 Depth=2
	s_or_b32 exec_lo, exec_lo, s40
	s_and_saveexec_b32 s22, s23
	s_cbranch_execnz .LBB914_930
.LBB914_862:                            ;   in Loop: Header=BB914_722 Depth=2
	s_or_b32 exec_lo, exec_lo, s22
	s_and_saveexec_b32 s22, s24
	s_cbranch_execnz .LBB914_931
.LBB914_863:                            ;   in Loop: Header=BB914_722 Depth=2
	s_or_b32 exec_lo, exec_lo, s22
	s_and_saveexec_b32 s22, s25
	s_cbranch_execnz .LBB914_932
.LBB914_864:                            ;   in Loop: Header=BB914_722 Depth=2
	s_or_b32 exec_lo, exec_lo, s22
	s_and_saveexec_b32 s22, s26
	s_cbranch_execnz .LBB914_933
.LBB914_865:                            ;   in Loop: Header=BB914_722 Depth=2
	s_or_b32 exec_lo, exec_lo, s22
	s_and_saveexec_b32 s22, s27
	s_cbranch_execnz .LBB914_934
.LBB914_866:                            ;   in Loop: Header=BB914_722 Depth=2
	s_or_b32 exec_lo, exec_lo, s22
	s_and_saveexec_b32 s22, s29
	s_cbranch_execnz .LBB914_935
.LBB914_867:                            ;   in Loop: Header=BB914_722 Depth=2
	s_or_b32 exec_lo, exec_lo, s22
	s_and_saveexec_b32 s22, s30
	s_cbranch_execnz .LBB914_936
.LBB914_868:                            ;   in Loop: Header=BB914_722 Depth=2
	s_or_b32 exec_lo, exec_lo, s22
	s_and_saveexec_b32 s22, s31
	s_cbranch_execnz .LBB914_937
.LBB914_869:                            ;   in Loop: Header=BB914_722 Depth=2
	s_or_b32 exec_lo, exec_lo, s22
	s_and_saveexec_b32 s22, s33
	s_cbranch_execnz .LBB914_938
.LBB914_870:                            ;   in Loop: Header=BB914_722 Depth=2
	s_or_b32 exec_lo, exec_lo, s22
	s_and_saveexec_b32 s22, s34
	s_cbranch_execnz .LBB914_939
.LBB914_871:                            ;   in Loop: Header=BB914_722 Depth=2
	s_or_b32 exec_lo, exec_lo, s22
	s_and_saveexec_b32 s22, s35
	s_cbranch_execnz .LBB914_940
.LBB914_872:                            ;   in Loop: Header=BB914_722 Depth=2
	s_or_b32 exec_lo, exec_lo, s22
	s_and_saveexec_b32 s22, s36
	s_cbranch_execnz .LBB914_941
.LBB914_873:                            ;   in Loop: Header=BB914_722 Depth=2
	s_or_b32 exec_lo, exec_lo, s22
	s_and_saveexec_b32 s22, s37
	s_cbranch_execnz .LBB914_942
.LBB914_874:                            ;   in Loop: Header=BB914_722 Depth=2
	s_or_b32 exec_lo, exec_lo, s22
	s_and_saveexec_b32 s22, s38
	s_cbranch_execnz .LBB914_943
.LBB914_875:                            ;   in Loop: Header=BB914_722 Depth=2
	s_or_b32 exec_lo, exec_lo, s22
	s_and_saveexec_b32 s22, s39
	s_cbranch_execz .LBB914_877
.LBB914_876:                            ;   in Loop: Header=BB914_722 Depth=2
	v_lshlrev_b32_e32 v3, 2, v136
	v_add_nc_u32_e32 v39, v74, v75
	ds_read_b32 v3, v3
	ds_read_b64 v[39:40], v39 offset:33280
	s_waitcnt lgkmcnt(1)
	v_add_nc_u32_e32 v3, v3, v61
	v_lshlrev_b64 v[41:42], 3, v[3:4]
	v_add_co_u32 v41, vcc_lo, s52, v41
	v_add_co_ci_u32_e64 v42, null, s53, v42, vcc_lo
	s_waitcnt lgkmcnt(0)
	global_store_dwordx2 v[41:42], v[39:40], off
.LBB914_877:                            ;   in Loop: Header=BB914_722 Depth=2
	s_or_b32 exec_lo, exec_lo, s22
	s_waitcnt_vscnt null, 0x0
	s_barrier
	buffer_gl0_inv
	s_and_saveexec_b32 s22, s7
	s_cbranch_execz .LBB914_721
; %bb.878:                              ;   in Loop: Header=BB914_722 Depth=2
	ds_read_b32 v3, v43
	s_waitcnt lgkmcnt(0)
	v_add3_u32 v3, v151, v154, v3
	ds_write_b32 v43, v3
	s_branch .LBB914_721
.LBB914_879:                            ;   in Loop: Header=BB914_722 Depth=2
	ds_read_u16 v156, v74 offset:512
	s_waitcnt lgkmcnt(0)
	v_lshrrev_b32_sdwa v3, s41, v156 dst_sel:DWORD dst_unused:UNUSED_PAD src0_sel:DWORD src1_sel:WORD_0
	v_and_b32_e32 v3, s62, v3
	v_lshlrev_b32_e32 v3, 2, v3
	ds_read_b32 v3, v3
	s_waitcnt lgkmcnt(0)
	v_add_nc_u32_e32 v3, v3, v0
	v_lshlrev_b64 v[39:40], 1, v[3:4]
	v_xor_b32_e32 v3, 0x7fff, v156
	v_add_co_u32 v39, s22, s46, v39
	v_add_co_ci_u32_e64 v40, null, s47, v40, s22
	global_store_short v[39:40], v3, off
	s_or_b32 exec_lo, exec_lo, s23
	v_cmp_lt_u32_e64 s22, v44, v155
	s_and_saveexec_b32 s24, s22
	s_cbranch_execz .LBB914_808
.LBB914_880:                            ;   in Loop: Header=BB914_722 Depth=2
	ds_read_u16 v156, v74 offset:1024
	s_waitcnt lgkmcnt(0)
	v_lshrrev_b32_sdwa v3, s41, v156 dst_sel:DWORD dst_unused:UNUSED_PAD src0_sel:DWORD src1_sel:WORD_0
	v_and_b32_e32 v3, s62, v3
	v_lshlrev_b32_e32 v3, 2, v3
	ds_read_b32 v3, v3
	s_waitcnt lgkmcnt(0)
	v_add_nc_u32_e32 v3, v3, v44
	v_lshlrev_b64 v[39:40], 1, v[3:4]
	v_xor_b32_e32 v3, 0x7fff, v156
	v_add_co_u32 v39, s23, s46, v39
	v_add_co_ci_u32_e64 v40, null, s47, v40, s23
	global_store_short v[39:40], v3, off
	s_or_b32 exec_lo, exec_lo, s24
	v_cmp_lt_u32_e64 s23, v47, v155
	s_and_saveexec_b32 s25, s23
	s_cbranch_execz .LBB914_809
.LBB914_881:                            ;   in Loop: Header=BB914_722 Depth=2
	ds_read_u16 v156, v74 offset:1536
	s_waitcnt lgkmcnt(0)
	v_lshrrev_b32_sdwa v3, s41, v156 dst_sel:DWORD dst_unused:UNUSED_PAD src0_sel:DWORD src1_sel:WORD_0
	v_and_b32_e32 v3, s62, v3
	v_lshlrev_b32_e32 v3, 2, v3
	ds_read_b32 v3, v3
	s_waitcnt lgkmcnt(0)
	v_add_nc_u32_e32 v3, v3, v47
	v_lshlrev_b64 v[39:40], 1, v[3:4]
	v_xor_b32_e32 v3, 0x7fff, v156
	v_add_co_u32 v39, s24, s46, v39
	v_add_co_ci_u32_e64 v40, null, s47, v40, s24
	global_store_short v[39:40], v3, off
	s_or_b32 exec_lo, exec_lo, s25
	v_cmp_lt_u32_e64 s24, v48, v155
	s_and_saveexec_b32 s26, s24
	s_cbranch_execz .LBB914_810
.LBB914_882:                            ;   in Loop: Header=BB914_722 Depth=2
	ds_read_u16 v156, v74 offset:2048
	s_waitcnt lgkmcnt(0)
	v_lshrrev_b32_sdwa v3, s41, v156 dst_sel:DWORD dst_unused:UNUSED_PAD src0_sel:DWORD src1_sel:WORD_0
	v_and_b32_e32 v3, s62, v3
	v_lshlrev_b32_e32 v3, 2, v3
	ds_read_b32 v3, v3
	s_waitcnt lgkmcnt(0)
	v_add_nc_u32_e32 v3, v3, v48
	v_lshlrev_b64 v[39:40], 1, v[3:4]
	v_xor_b32_e32 v3, 0x7fff, v156
	v_add_co_u32 v39, s25, s46, v39
	v_add_co_ci_u32_e64 v40, null, s47, v40, s25
	global_store_short v[39:40], v3, off
	s_or_b32 exec_lo, exec_lo, s26
	v_cmp_lt_u32_e64 s25, v49, v155
	s_and_saveexec_b32 s27, s25
	s_cbranch_execz .LBB914_811
.LBB914_883:                            ;   in Loop: Header=BB914_722 Depth=2
	ds_read_u16 v156, v74 offset:2560
	s_waitcnt lgkmcnt(0)
	v_lshrrev_b32_sdwa v3, s41, v156 dst_sel:DWORD dst_unused:UNUSED_PAD src0_sel:DWORD src1_sel:WORD_0
	v_and_b32_e32 v3, s62, v3
	v_lshlrev_b32_e32 v3, 2, v3
	ds_read_b32 v3, v3
	s_waitcnt lgkmcnt(0)
	v_add_nc_u32_e32 v3, v3, v49
	v_lshlrev_b64 v[39:40], 1, v[3:4]
	v_xor_b32_e32 v3, 0x7fff, v156
	v_add_co_u32 v39, s26, s46, v39
	v_add_co_ci_u32_e64 v40, null, s47, v40, s26
	global_store_short v[39:40], v3, off
	s_or_b32 exec_lo, exec_lo, s27
	v_cmp_lt_u32_e64 s26, v50, v155
	s_and_saveexec_b32 s29, s26
	s_cbranch_execz .LBB914_812
.LBB914_884:                            ;   in Loop: Header=BB914_722 Depth=2
	ds_read_u16 v156, v74 offset:3072
	s_waitcnt lgkmcnt(0)
	v_lshrrev_b32_sdwa v3, s41, v156 dst_sel:DWORD dst_unused:UNUSED_PAD src0_sel:DWORD src1_sel:WORD_0
	v_and_b32_e32 v3, s62, v3
	v_lshlrev_b32_e32 v3, 2, v3
	ds_read_b32 v3, v3
	s_waitcnt lgkmcnt(0)
	v_add_nc_u32_e32 v3, v3, v50
	v_lshlrev_b64 v[39:40], 1, v[3:4]
	v_xor_b32_e32 v3, 0x7fff, v156
	v_add_co_u32 v39, s27, s46, v39
	v_add_co_ci_u32_e64 v40, null, s47, v40, s27
	global_store_short v[39:40], v3, off
	s_or_b32 exec_lo, exec_lo, s29
	v_cmp_lt_u32_e64 s27, v51, v155
	s_and_saveexec_b32 s30, s27
	s_cbranch_execz .LBB914_813
.LBB914_885:                            ;   in Loop: Header=BB914_722 Depth=2
	ds_read_u16 v156, v74 offset:3584
	s_waitcnt lgkmcnt(0)
	v_lshrrev_b32_sdwa v3, s41, v156 dst_sel:DWORD dst_unused:UNUSED_PAD src0_sel:DWORD src1_sel:WORD_0
	v_and_b32_e32 v3, s62, v3
	v_lshlrev_b32_e32 v3, 2, v3
	ds_read_b32 v3, v3
	s_waitcnt lgkmcnt(0)
	v_add_nc_u32_e32 v3, v3, v51
	v_lshlrev_b64 v[39:40], 1, v[3:4]
	v_xor_b32_e32 v3, 0x7fff, v156
	v_add_co_u32 v39, s29, s46, v39
	v_add_co_ci_u32_e64 v40, null, s47, v40, s29
	global_store_short v[39:40], v3, off
	s_or_b32 exec_lo, exec_lo, s30
	v_cmp_lt_u32_e64 s29, v52, v155
	s_and_saveexec_b32 s31, s29
	s_cbranch_execz .LBB914_814
.LBB914_886:                            ;   in Loop: Header=BB914_722 Depth=2
	ds_read_u16 v156, v74 offset:4096
	s_waitcnt lgkmcnt(0)
	v_lshrrev_b32_sdwa v3, s41, v156 dst_sel:DWORD dst_unused:UNUSED_PAD src0_sel:DWORD src1_sel:WORD_0
	v_and_b32_e32 v3, s62, v3
	v_lshlrev_b32_e32 v3, 2, v3
	ds_read_b32 v3, v3
	s_waitcnt lgkmcnt(0)
	v_add_nc_u32_e32 v3, v3, v52
	v_lshlrev_b64 v[39:40], 1, v[3:4]
	v_xor_b32_e32 v3, 0x7fff, v156
	v_add_co_u32 v39, s30, s46, v39
	v_add_co_ci_u32_e64 v40, null, s47, v40, s30
	global_store_short v[39:40], v3, off
	s_or_b32 exec_lo, exec_lo, s31
	v_cmp_lt_u32_e64 s30, v53, v155
	s_and_saveexec_b32 s33, s30
	s_cbranch_execz .LBB914_815
.LBB914_887:                            ;   in Loop: Header=BB914_722 Depth=2
	ds_read_u16 v156, v74 offset:4608
	s_waitcnt lgkmcnt(0)
	v_lshrrev_b32_sdwa v3, s41, v156 dst_sel:DWORD dst_unused:UNUSED_PAD src0_sel:DWORD src1_sel:WORD_0
	v_and_b32_e32 v3, s62, v3
	v_lshlrev_b32_e32 v3, 2, v3
	ds_read_b32 v3, v3
	s_waitcnt lgkmcnt(0)
	v_add_nc_u32_e32 v3, v3, v53
	v_lshlrev_b64 v[39:40], 1, v[3:4]
	v_xor_b32_e32 v3, 0x7fff, v156
	v_add_co_u32 v39, s31, s46, v39
	v_add_co_ci_u32_e64 v40, null, s47, v40, s31
	global_store_short v[39:40], v3, off
	s_or_b32 exec_lo, exec_lo, s33
	v_cmp_lt_u32_e64 s31, v54, v155
	s_and_saveexec_b32 s34, s31
	s_cbranch_execz .LBB914_816
.LBB914_888:                            ;   in Loop: Header=BB914_722 Depth=2
	ds_read_u16 v156, v74 offset:5120
	s_waitcnt lgkmcnt(0)
	v_lshrrev_b32_sdwa v3, s41, v156 dst_sel:DWORD dst_unused:UNUSED_PAD src0_sel:DWORD src1_sel:WORD_0
	v_and_b32_e32 v3, s62, v3
	v_lshlrev_b32_e32 v3, 2, v3
	ds_read_b32 v3, v3
	s_waitcnt lgkmcnt(0)
	v_add_nc_u32_e32 v3, v3, v54
	v_lshlrev_b64 v[39:40], 1, v[3:4]
	v_xor_b32_e32 v3, 0x7fff, v156
	v_add_co_u32 v39, s33, s46, v39
	v_add_co_ci_u32_e64 v40, null, s47, v40, s33
	global_store_short v[39:40], v3, off
	s_or_b32 exec_lo, exec_lo, s34
	v_cmp_lt_u32_e64 s33, v55, v155
	s_and_saveexec_b32 s35, s33
	s_cbranch_execz .LBB914_817
.LBB914_889:                            ;   in Loop: Header=BB914_722 Depth=2
	ds_read_u16 v156, v74 offset:5632
	s_waitcnt lgkmcnt(0)
	v_lshrrev_b32_sdwa v3, s41, v156 dst_sel:DWORD dst_unused:UNUSED_PAD src0_sel:DWORD src1_sel:WORD_0
	v_and_b32_e32 v3, s62, v3
	v_lshlrev_b32_e32 v3, 2, v3
	ds_read_b32 v3, v3
	s_waitcnt lgkmcnt(0)
	v_add_nc_u32_e32 v3, v3, v55
	v_lshlrev_b64 v[39:40], 1, v[3:4]
	v_xor_b32_e32 v3, 0x7fff, v156
	v_add_co_u32 v39, s34, s46, v39
	v_add_co_ci_u32_e64 v40, null, s47, v40, s34
	global_store_short v[39:40], v3, off
	s_or_b32 exec_lo, exec_lo, s35
	v_cmp_lt_u32_e64 s34, v56, v155
	s_and_saveexec_b32 s36, s34
	s_cbranch_execz .LBB914_818
.LBB914_890:                            ;   in Loop: Header=BB914_722 Depth=2
	ds_read_u16 v156, v74 offset:6144
	s_waitcnt lgkmcnt(0)
	v_lshrrev_b32_sdwa v3, s41, v156 dst_sel:DWORD dst_unused:UNUSED_PAD src0_sel:DWORD src1_sel:WORD_0
	v_and_b32_e32 v3, s62, v3
	v_lshlrev_b32_e32 v3, 2, v3
	ds_read_b32 v3, v3
	s_waitcnt lgkmcnt(0)
	v_add_nc_u32_e32 v3, v3, v56
	v_lshlrev_b64 v[39:40], 1, v[3:4]
	v_xor_b32_e32 v3, 0x7fff, v156
	v_add_co_u32 v39, s35, s46, v39
	v_add_co_ci_u32_e64 v40, null, s47, v40, s35
	global_store_short v[39:40], v3, off
	s_or_b32 exec_lo, exec_lo, s36
	v_cmp_lt_u32_e64 s35, v57, v155
	s_and_saveexec_b32 s37, s35
	s_cbranch_execz .LBB914_819
.LBB914_891:                            ;   in Loop: Header=BB914_722 Depth=2
	ds_read_u16 v156, v74 offset:6656
	s_waitcnt lgkmcnt(0)
	v_lshrrev_b32_sdwa v3, s41, v156 dst_sel:DWORD dst_unused:UNUSED_PAD src0_sel:DWORD src1_sel:WORD_0
	v_and_b32_e32 v3, s62, v3
	v_lshlrev_b32_e32 v3, 2, v3
	ds_read_b32 v3, v3
	s_waitcnt lgkmcnt(0)
	v_add_nc_u32_e32 v3, v3, v57
	v_lshlrev_b64 v[39:40], 1, v[3:4]
	v_xor_b32_e32 v3, 0x7fff, v156
	v_add_co_u32 v39, s36, s46, v39
	v_add_co_ci_u32_e64 v40, null, s47, v40, s36
	global_store_short v[39:40], v3, off
	s_or_b32 exec_lo, exec_lo, s37
	v_cmp_lt_u32_e64 s36, v58, v155
	s_and_saveexec_b32 s38, s36
	s_cbranch_execz .LBB914_820
.LBB914_892:                            ;   in Loop: Header=BB914_722 Depth=2
	ds_read_u16 v156, v74 offset:7168
	s_waitcnt lgkmcnt(0)
	v_lshrrev_b32_sdwa v3, s41, v156 dst_sel:DWORD dst_unused:UNUSED_PAD src0_sel:DWORD src1_sel:WORD_0
	v_and_b32_e32 v3, s62, v3
	v_lshlrev_b32_e32 v3, 2, v3
	ds_read_b32 v3, v3
	s_waitcnt lgkmcnt(0)
	v_add_nc_u32_e32 v3, v3, v58
	v_lshlrev_b64 v[39:40], 1, v[3:4]
	v_xor_b32_e32 v3, 0x7fff, v156
	v_add_co_u32 v39, s37, s46, v39
	v_add_co_ci_u32_e64 v40, null, s47, v40, s37
	global_store_short v[39:40], v3, off
	s_or_b32 exec_lo, exec_lo, s38
	v_cmp_lt_u32_e64 s37, v59, v155
	s_and_saveexec_b32 s39, s37
	s_cbranch_execz .LBB914_821
.LBB914_893:                            ;   in Loop: Header=BB914_722 Depth=2
	ds_read_u16 v156, v74 offset:7680
	s_waitcnt lgkmcnt(0)
	v_lshrrev_b32_sdwa v3, s41, v156 dst_sel:DWORD dst_unused:UNUSED_PAD src0_sel:DWORD src1_sel:WORD_0
	v_and_b32_e32 v3, s62, v3
	v_lshlrev_b32_e32 v3, 2, v3
	ds_read_b32 v3, v3
	s_waitcnt lgkmcnt(0)
	v_add_nc_u32_e32 v3, v3, v59
	v_lshlrev_b64 v[39:40], 1, v[3:4]
	v_xor_b32_e32 v3, 0x7fff, v156
	v_add_co_u32 v39, s38, s46, v39
	v_add_co_ci_u32_e64 v40, null, s47, v40, s38
	global_store_short v[39:40], v3, off
	s_or_b32 exec_lo, exec_lo, s39
	v_cmp_lt_u32_e64 s38, v60, v155
	s_and_saveexec_b32 s40, s38
	s_cbranch_execz .LBB914_822
.LBB914_894:                            ;   in Loop: Header=BB914_722 Depth=2
	ds_read_u16 v156, v74 offset:8192
	s_waitcnt lgkmcnt(0)
	v_lshrrev_b32_sdwa v3, s41, v156 dst_sel:DWORD dst_unused:UNUSED_PAD src0_sel:DWORD src1_sel:WORD_0
	v_and_b32_e32 v3, s62, v3
	v_lshlrev_b32_e32 v3, 2, v3
	ds_read_b32 v3, v3
	s_waitcnt lgkmcnt(0)
	v_add_nc_u32_e32 v3, v3, v60
	v_lshlrev_b64 v[39:40], 1, v[3:4]
	v_xor_b32_e32 v3, 0x7fff, v156
	v_add_co_u32 v39, s39, s46, v39
	v_add_co_ci_u32_e64 v40, null, s47, v40, s39
	global_store_short v[39:40], v3, off
	s_or_b32 exec_lo, exec_lo, s40
	v_cmp_lt_u32_e64 s39, v61, v155
	s_and_saveexec_b32 s65, s39
	s_cbranch_execnz .LBB914_823
	s_branch .LBB914_824
.LBB914_895:                            ;   in Loop: Header=BB914_722 Depth=2
	global_load_dwordx2 v[37:38], v[39:40], off
	s_or_b32 exec_lo, exec_lo, s40
	s_mov_b32 s50, exec_lo
	v_cmpx_lt_u32_e64 v98, v155
	s_cbranch_execz .LBB914_826
.LBB914_896:                            ;   in Loop: Header=BB914_722 Depth=2
	global_load_dwordx2 v[35:36], v[39:40], off offset:256
	s_or_b32 exec_lo, exec_lo, s50
	s_mov_b32 s50, exec_lo
	v_cmpx_lt_u32_e64 v99, v155
	s_cbranch_execz .LBB914_827
.LBB914_897:                            ;   in Loop: Header=BB914_722 Depth=2
	global_load_dwordx2 v[33:34], v[39:40], off offset:512
	s_or_b32 exec_lo, exec_lo, s50
	s_mov_b32 s50, exec_lo
	v_cmpx_lt_u32_e64 v100, v155
	s_cbranch_execz .LBB914_828
.LBB914_898:                            ;   in Loop: Header=BB914_722 Depth=2
	global_load_dwordx2 v[31:32], v[39:40], off offset:768
	s_or_b32 exec_lo, exec_lo, s50
	s_mov_b32 s50, exec_lo
	v_cmpx_lt_u32_e64 v101, v155
	s_cbranch_execz .LBB914_829
.LBB914_899:                            ;   in Loop: Header=BB914_722 Depth=2
	global_load_dwordx2 v[29:30], v[39:40], off offset:1024
	s_or_b32 exec_lo, exec_lo, s50
	s_mov_b32 s50, exec_lo
	v_cmpx_lt_u32_e64 v102, v155
	s_cbranch_execz .LBB914_830
.LBB914_900:                            ;   in Loop: Header=BB914_722 Depth=2
	global_load_dwordx2 v[25:26], v[39:40], off offset:1280
	s_or_b32 exec_lo, exec_lo, s50
	s_mov_b32 s50, exec_lo
	v_cmpx_lt_u32_e64 v103, v155
	s_cbranch_execz .LBB914_831
.LBB914_901:                            ;   in Loop: Header=BB914_722 Depth=2
	global_load_dwordx2 v[21:22], v[39:40], off offset:1536
	s_or_b32 exec_lo, exec_lo, s50
	s_mov_b32 s50, exec_lo
	v_cmpx_lt_u32_e64 v104, v155
	s_cbranch_execz .LBB914_832
.LBB914_902:                            ;   in Loop: Header=BB914_722 Depth=2
	global_load_dwordx2 v[17:18], v[39:40], off offset:1792
	s_or_b32 exec_lo, exec_lo, s50
	s_mov_b32 s50, exec_lo
	v_cmpx_lt_u32_e64 v105, v155
	s_cbranch_execz .LBB914_833
.LBB914_903:                            ;   in Loop: Header=BB914_722 Depth=2
	v_add_co_u32 v27, s40, 0x800, v39
	v_add_co_ci_u32_e64 v28, null, 0, v40, s40
	global_load_dwordx2 v[27:28], v[27:28], off
	s_or_b32 exec_lo, exec_lo, s50
	s_mov_b32 s50, exec_lo
	v_cmpx_lt_u32_e64 v106, v155
	s_cbranch_execz .LBB914_834
.LBB914_904:                            ;   in Loop: Header=BB914_722 Depth=2
	v_add_co_u32 v23, s40, 0x800, v39
	v_add_co_ci_u32_e64 v24, null, 0, v40, s40
	global_load_dwordx2 v[23:24], v[23:24], off offset:256
	s_or_b32 exec_lo, exec_lo, s50
	s_mov_b32 s50, exec_lo
	v_cmpx_lt_u32_e64 v107, v155
	s_cbranch_execz .LBB914_835
.LBB914_905:                            ;   in Loop: Header=BB914_722 Depth=2
	v_add_co_u32 v19, s40, 0x800, v39
	v_add_co_ci_u32_e64 v20, null, 0, v40, s40
	global_load_dwordx2 v[19:20], v[19:20], off offset:512
	s_or_b32 exec_lo, exec_lo, s50
	s_mov_b32 s50, exec_lo
	v_cmpx_lt_u32_e64 v108, v155
	s_cbranch_execz .LBB914_836
.LBB914_906:                            ;   in Loop: Header=BB914_722 Depth=2
	v_add_co_u32 v15, s40, 0x800, v39
	v_add_co_ci_u32_e64 v16, null, 0, v40, s40
	global_load_dwordx2 v[15:16], v[15:16], off offset:768
	s_or_b32 exec_lo, exec_lo, s50
	s_mov_b32 s50, exec_lo
	v_cmpx_lt_u32_e64 v128, v155
	s_cbranch_execz .LBB914_837
.LBB914_907:                            ;   in Loop: Header=BB914_722 Depth=2
	v_add_co_u32 v13, s40, 0x800, v39
	v_add_co_ci_u32_e64 v14, null, 0, v40, s40
	global_load_dwordx2 v[13:14], v[13:14], off offset:1024
	s_or_b32 exec_lo, exec_lo, s50
	s_mov_b32 s50, exec_lo
	v_cmpx_lt_u32_e64 v129, v155
	s_cbranch_execz .LBB914_838
.LBB914_908:                            ;   in Loop: Header=BB914_722 Depth=2
	v_add_co_u32 v11, s40, 0x800, v39
	v_add_co_ci_u32_e64 v12, null, 0, v40, s40
	global_load_dwordx2 v[11:12], v[11:12], off offset:1280
	s_or_b32 exec_lo, exec_lo, s50
	s_mov_b32 s50, exec_lo
	v_cmpx_lt_u32_e64 v130, v155
	s_cbranch_execz .LBB914_839
.LBB914_909:                            ;   in Loop: Header=BB914_722 Depth=2
	v_add_co_u32 v9, s40, 0x800, v39
	v_add_co_ci_u32_e64 v10, null, 0, v40, s40
	global_load_dwordx2 v[9:10], v[9:10], off offset:1536
	s_or_b32 exec_lo, exec_lo, s50
	s_mov_b32 s50, exec_lo
	v_cmpx_lt_u32_e64 v131, v155
	s_cbranch_execz .LBB914_840
.LBB914_910:                            ;   in Loop: Header=BB914_722 Depth=2
	v_add_co_u32 v7, s40, 0x800, v39
	v_add_co_ci_u32_e64 v8, null, 0, v40, s40
	global_load_dwordx2 v[7:8], v[7:8], off offset:1792
	s_or_b32 exec_lo, exec_lo, s50
	s_mov_b32 s50, exec_lo
	v_cmpx_lt_u32_e64 v132, v155
	s_cbranch_execz .LBB914_841
.LBB914_911:                            ;   in Loop: Header=BB914_722 Depth=2
	v_add_co_u32 v5, s40, 0x1000, v39
	v_add_co_ci_u32_e64 v6, null, 0, v40, s40
	global_load_dwordx2 v[5:6], v[5:6], off
	s_or_b32 exec_lo, exec_lo, s50
	s_and_saveexec_b32 s40, vcc_lo
	s_cbranch_execz .LBB914_842
.LBB914_912:                            ;   in Loop: Header=BB914_722 Depth=2
	ds_read_u16 v3, v74 offset:512
	s_waitcnt lgkmcnt(0)
	v_lshrrev_b32_e32 v3, s41, v3
	v_and_b32_e32 v153, s62, v3
	s_or_b32 exec_lo, exec_lo, s40
	s_and_saveexec_b32 s40, s22
	s_cbranch_execz .LBB914_843
.LBB914_913:                            ;   in Loop: Header=BB914_722 Depth=2
	ds_read_u16 v3, v74 offset:1024
	s_waitcnt lgkmcnt(0)
	v_lshrrev_b32_e32 v3, s41, v3
	v_and_b32_e32 v152, s62, v3
	s_or_b32 exec_lo, exec_lo, s40
	s_and_saveexec_b32 s40, s23
	s_cbranch_execz .LBB914_844
.LBB914_914:                            ;   in Loop: Header=BB914_722 Depth=2
	ds_read_u16 v3, v74 offset:1536
	s_waitcnt lgkmcnt(0)
	v_lshrrev_b32_e32 v3, s41, v3
	v_and_b32_e32 v150, s62, v3
	s_or_b32 exec_lo, exec_lo, s40
	s_and_saveexec_b32 s40, s24
	s_cbranch_execz .LBB914_845
.LBB914_915:                            ;   in Loop: Header=BB914_722 Depth=2
	ds_read_u16 v3, v74 offset:2048
	s_waitcnt lgkmcnt(0)
	v_lshrrev_b32_e32 v3, s41, v3
	v_and_b32_e32 v149, s62, v3
	s_or_b32 exec_lo, exec_lo, s40
	s_and_saveexec_b32 s40, s25
	s_cbranch_execz .LBB914_846
.LBB914_916:                            ;   in Loop: Header=BB914_722 Depth=2
	ds_read_u16 v3, v74 offset:2560
	s_waitcnt lgkmcnt(0)
	v_lshrrev_b32_e32 v3, s41, v3
	v_and_b32_e32 v148, s62, v3
	s_or_b32 exec_lo, exec_lo, s40
	s_and_saveexec_b32 s40, s26
	s_cbranch_execz .LBB914_847
.LBB914_917:                            ;   in Loop: Header=BB914_722 Depth=2
	ds_read_u16 v3, v74 offset:3072
	s_waitcnt lgkmcnt(0)
	v_lshrrev_b32_e32 v3, s41, v3
	v_and_b32_e32 v147, s62, v3
	s_or_b32 exec_lo, exec_lo, s40
	s_and_saveexec_b32 s40, s27
	s_cbranch_execz .LBB914_848
.LBB914_918:                            ;   in Loop: Header=BB914_722 Depth=2
	ds_read_u16 v3, v74 offset:3584
	s_waitcnt lgkmcnt(0)
	v_lshrrev_b32_e32 v3, s41, v3
	v_and_b32_e32 v146, s62, v3
	s_or_b32 exec_lo, exec_lo, s40
	s_and_saveexec_b32 s40, s29
	s_cbranch_execz .LBB914_849
.LBB914_919:                            ;   in Loop: Header=BB914_722 Depth=2
	ds_read_u16 v3, v74 offset:4096
	s_waitcnt lgkmcnt(0)
	v_lshrrev_b32_e32 v3, s41, v3
	v_and_b32_e32 v145, s62, v3
	s_or_b32 exec_lo, exec_lo, s40
	s_and_saveexec_b32 s40, s30
	s_cbranch_execz .LBB914_850
.LBB914_920:                            ;   in Loop: Header=BB914_722 Depth=2
	ds_read_u16 v3, v74 offset:4608
	s_waitcnt lgkmcnt(0)
	v_lshrrev_b32_e32 v3, s41, v3
	v_and_b32_e32 v144, s62, v3
	s_or_b32 exec_lo, exec_lo, s40
	s_and_saveexec_b32 s40, s31
	s_cbranch_execz .LBB914_851
.LBB914_921:                            ;   in Loop: Header=BB914_722 Depth=2
	ds_read_u16 v3, v74 offset:5120
	s_waitcnt lgkmcnt(0)
	v_lshrrev_b32_e32 v3, s41, v3
	v_and_b32_e32 v143, s62, v3
	s_or_b32 exec_lo, exec_lo, s40
	s_and_saveexec_b32 s40, s33
	s_cbranch_execz .LBB914_852
.LBB914_922:                            ;   in Loop: Header=BB914_722 Depth=2
	ds_read_u16 v3, v74 offset:5632
	s_waitcnt lgkmcnt(0)
	v_lshrrev_b32_e32 v3, s41, v3
	v_and_b32_e32 v142, s62, v3
	s_or_b32 exec_lo, exec_lo, s40
	s_and_saveexec_b32 s40, s34
	s_cbranch_execz .LBB914_853
.LBB914_923:                            ;   in Loop: Header=BB914_722 Depth=2
	ds_read_u16 v3, v74 offset:6144
	s_waitcnt lgkmcnt(0)
	v_lshrrev_b32_e32 v3, s41, v3
	v_and_b32_e32 v141, s62, v3
	s_or_b32 exec_lo, exec_lo, s40
	s_and_saveexec_b32 s40, s35
	s_cbranch_execz .LBB914_854
.LBB914_924:                            ;   in Loop: Header=BB914_722 Depth=2
	ds_read_u16 v3, v74 offset:6656
	s_waitcnt lgkmcnt(0)
	v_lshrrev_b32_e32 v3, s41, v3
	v_and_b32_e32 v140, s62, v3
	s_or_b32 exec_lo, exec_lo, s40
	s_and_saveexec_b32 s40, s36
	s_cbranch_execz .LBB914_855
.LBB914_925:                            ;   in Loop: Header=BB914_722 Depth=2
	ds_read_u16 v3, v74 offset:7168
	s_waitcnt lgkmcnt(0)
	v_lshrrev_b32_e32 v3, s41, v3
	v_and_b32_e32 v139, s62, v3
	s_or_b32 exec_lo, exec_lo, s40
	s_and_saveexec_b32 s40, s37
	s_cbranch_execz .LBB914_856
.LBB914_926:                            ;   in Loop: Header=BB914_722 Depth=2
	ds_read_u16 v3, v74 offset:7680
	s_waitcnt lgkmcnt(0)
	v_lshrrev_b32_e32 v3, s41, v3
	v_and_b32_e32 v138, s62, v3
	s_or_b32 exec_lo, exec_lo, s40
	s_and_saveexec_b32 s40, s38
	s_cbranch_execz .LBB914_857
.LBB914_927:                            ;   in Loop: Header=BB914_722 Depth=2
	ds_read_u16 v3, v74 offset:8192
	s_waitcnt lgkmcnt(0)
	v_lshrrev_b32_e32 v3, s41, v3
	v_and_b32_e32 v137, s62, v3
	s_or_b32 exec_lo, exec_lo, s40
	s_and_saveexec_b32 s40, s39
	s_cbranch_execnz .LBB914_858
	s_branch .LBB914_859
.LBB914_928:                            ;   in Loop: Header=BB914_722 Depth=2
	v_lshlrev_b32_e32 v3, 2, v153
	v_add_nc_u32_e32 v39, v74, v75
	ds_read_b32 v3, v3
	ds_read_b64 v[39:40], v39 offset:512
	s_waitcnt lgkmcnt(1)
	v_add_nc_u32_e32 v3, v3, v0
	v_lshlrev_b64 v[41:42], 3, v[3:4]
	v_add_co_u32 v41, vcc_lo, s52, v41
	v_add_co_ci_u32_e64 v42, null, s53, v42, vcc_lo
	s_waitcnt lgkmcnt(0)
	global_store_dwordx2 v[41:42], v[39:40], off
	s_or_b32 exec_lo, exec_lo, s40
	s_and_saveexec_b32 s40, s22
	s_cbranch_execz .LBB914_861
.LBB914_929:                            ;   in Loop: Header=BB914_722 Depth=2
	v_lshlrev_b32_e32 v3, 2, v152
	v_add_nc_u32_e32 v39, v74, v75
	ds_read_b32 v3, v3
	ds_read_b64 v[39:40], v39 offset:2560
	s_waitcnt lgkmcnt(1)
	v_add_nc_u32_e32 v3, v3, v44
	v_lshlrev_b64 v[41:42], 3, v[3:4]
	v_add_co_u32 v41, vcc_lo, s52, v41
	v_add_co_ci_u32_e64 v42, null, s53, v42, vcc_lo
	s_waitcnt lgkmcnt(0)
	global_store_dwordx2 v[41:42], v[39:40], off
	s_or_b32 exec_lo, exec_lo, s40
	s_and_saveexec_b32 s22, s23
	s_cbranch_execz .LBB914_862
.LBB914_930:                            ;   in Loop: Header=BB914_722 Depth=2
	v_lshlrev_b32_e32 v3, 2, v150
	v_add_nc_u32_e32 v39, v74, v75
	ds_read_b32 v3, v3
	ds_read_b64 v[39:40], v39 offset:4608
	s_waitcnt lgkmcnt(1)
	v_add_nc_u32_e32 v3, v3, v47
	v_lshlrev_b64 v[41:42], 3, v[3:4]
	v_add_co_u32 v41, vcc_lo, s52, v41
	v_add_co_ci_u32_e64 v42, null, s53, v42, vcc_lo
	s_waitcnt lgkmcnt(0)
	global_store_dwordx2 v[41:42], v[39:40], off
	s_or_b32 exec_lo, exec_lo, s22
	s_and_saveexec_b32 s22, s24
	s_cbranch_execz .LBB914_863
.LBB914_931:                            ;   in Loop: Header=BB914_722 Depth=2
	v_lshlrev_b32_e32 v3, 2, v149
	v_add_nc_u32_e32 v39, v74, v75
	ds_read_b32 v3, v3
	ds_read_b64 v[39:40], v39 offset:6656
	s_waitcnt lgkmcnt(1)
	v_add_nc_u32_e32 v3, v3, v48
	v_lshlrev_b64 v[41:42], 3, v[3:4]
	v_add_co_u32 v41, vcc_lo, s52, v41
	v_add_co_ci_u32_e64 v42, null, s53, v42, vcc_lo
	s_waitcnt lgkmcnt(0)
	global_store_dwordx2 v[41:42], v[39:40], off
	s_or_b32 exec_lo, exec_lo, s22
	s_and_saveexec_b32 s22, s25
	s_cbranch_execz .LBB914_864
.LBB914_932:                            ;   in Loop: Header=BB914_722 Depth=2
	v_lshlrev_b32_e32 v3, 2, v148
	v_add_nc_u32_e32 v39, v74, v75
	ds_read_b32 v3, v3
	ds_read_b64 v[39:40], v39 offset:8704
	s_waitcnt lgkmcnt(1)
	v_add_nc_u32_e32 v3, v3, v49
	v_lshlrev_b64 v[41:42], 3, v[3:4]
	v_add_co_u32 v41, vcc_lo, s52, v41
	v_add_co_ci_u32_e64 v42, null, s53, v42, vcc_lo
	s_waitcnt lgkmcnt(0)
	global_store_dwordx2 v[41:42], v[39:40], off
	s_or_b32 exec_lo, exec_lo, s22
	s_and_saveexec_b32 s22, s26
	s_cbranch_execz .LBB914_865
.LBB914_933:                            ;   in Loop: Header=BB914_722 Depth=2
	v_lshlrev_b32_e32 v3, 2, v147
	v_add_nc_u32_e32 v39, v74, v75
	ds_read_b32 v3, v3
	ds_read_b64 v[39:40], v39 offset:10752
	s_waitcnt lgkmcnt(1)
	v_add_nc_u32_e32 v3, v3, v50
	v_lshlrev_b64 v[41:42], 3, v[3:4]
	v_add_co_u32 v41, vcc_lo, s52, v41
	v_add_co_ci_u32_e64 v42, null, s53, v42, vcc_lo
	s_waitcnt lgkmcnt(0)
	global_store_dwordx2 v[41:42], v[39:40], off
	s_or_b32 exec_lo, exec_lo, s22
	s_and_saveexec_b32 s22, s27
	s_cbranch_execz .LBB914_866
.LBB914_934:                            ;   in Loop: Header=BB914_722 Depth=2
	v_lshlrev_b32_e32 v3, 2, v146
	v_add_nc_u32_e32 v39, v74, v75
	ds_read_b32 v3, v3
	ds_read_b64 v[39:40], v39 offset:12800
	s_waitcnt lgkmcnt(1)
	v_add_nc_u32_e32 v3, v3, v51
	v_lshlrev_b64 v[41:42], 3, v[3:4]
	v_add_co_u32 v41, vcc_lo, s52, v41
	v_add_co_ci_u32_e64 v42, null, s53, v42, vcc_lo
	s_waitcnt lgkmcnt(0)
	global_store_dwordx2 v[41:42], v[39:40], off
	s_or_b32 exec_lo, exec_lo, s22
	s_and_saveexec_b32 s22, s29
	s_cbranch_execz .LBB914_867
.LBB914_935:                            ;   in Loop: Header=BB914_722 Depth=2
	v_lshlrev_b32_e32 v3, 2, v145
	v_add_nc_u32_e32 v39, v74, v75
	ds_read_b32 v3, v3
	ds_read_b64 v[39:40], v39 offset:14848
	s_waitcnt lgkmcnt(1)
	v_add_nc_u32_e32 v3, v3, v52
	v_lshlrev_b64 v[41:42], 3, v[3:4]
	v_add_co_u32 v41, vcc_lo, s52, v41
	v_add_co_ci_u32_e64 v42, null, s53, v42, vcc_lo
	s_waitcnt lgkmcnt(0)
	global_store_dwordx2 v[41:42], v[39:40], off
	s_or_b32 exec_lo, exec_lo, s22
	s_and_saveexec_b32 s22, s30
	s_cbranch_execz .LBB914_868
.LBB914_936:                            ;   in Loop: Header=BB914_722 Depth=2
	v_lshlrev_b32_e32 v3, 2, v144
	v_add_nc_u32_e32 v39, v74, v75
	ds_read_b32 v3, v3
	ds_read_b64 v[39:40], v39 offset:16896
	s_waitcnt lgkmcnt(1)
	v_add_nc_u32_e32 v3, v3, v53
	v_lshlrev_b64 v[41:42], 3, v[3:4]
	v_add_co_u32 v41, vcc_lo, s52, v41
	v_add_co_ci_u32_e64 v42, null, s53, v42, vcc_lo
	s_waitcnt lgkmcnt(0)
	global_store_dwordx2 v[41:42], v[39:40], off
	s_or_b32 exec_lo, exec_lo, s22
	s_and_saveexec_b32 s22, s31
	s_cbranch_execz .LBB914_869
.LBB914_937:                            ;   in Loop: Header=BB914_722 Depth=2
	v_lshlrev_b32_e32 v3, 2, v143
	v_add_nc_u32_e32 v39, v74, v75
	ds_read_b32 v3, v3
	ds_read_b64 v[39:40], v39 offset:18944
	s_waitcnt lgkmcnt(1)
	v_add_nc_u32_e32 v3, v3, v54
	v_lshlrev_b64 v[41:42], 3, v[3:4]
	v_add_co_u32 v41, vcc_lo, s52, v41
	v_add_co_ci_u32_e64 v42, null, s53, v42, vcc_lo
	s_waitcnt lgkmcnt(0)
	global_store_dwordx2 v[41:42], v[39:40], off
	s_or_b32 exec_lo, exec_lo, s22
	s_and_saveexec_b32 s22, s33
	s_cbranch_execz .LBB914_870
.LBB914_938:                            ;   in Loop: Header=BB914_722 Depth=2
	v_lshlrev_b32_e32 v3, 2, v142
	v_add_nc_u32_e32 v39, v74, v75
	ds_read_b32 v3, v3
	ds_read_b64 v[39:40], v39 offset:20992
	s_waitcnt lgkmcnt(1)
	v_add_nc_u32_e32 v3, v3, v55
	v_lshlrev_b64 v[41:42], 3, v[3:4]
	v_add_co_u32 v41, vcc_lo, s52, v41
	v_add_co_ci_u32_e64 v42, null, s53, v42, vcc_lo
	s_waitcnt lgkmcnt(0)
	global_store_dwordx2 v[41:42], v[39:40], off
	s_or_b32 exec_lo, exec_lo, s22
	s_and_saveexec_b32 s22, s34
	s_cbranch_execz .LBB914_871
.LBB914_939:                            ;   in Loop: Header=BB914_722 Depth=2
	v_lshlrev_b32_e32 v3, 2, v141
	v_add_nc_u32_e32 v39, v74, v75
	ds_read_b32 v3, v3
	ds_read_b64 v[39:40], v39 offset:23040
	s_waitcnt lgkmcnt(1)
	v_add_nc_u32_e32 v3, v3, v56
	v_lshlrev_b64 v[41:42], 3, v[3:4]
	v_add_co_u32 v41, vcc_lo, s52, v41
	v_add_co_ci_u32_e64 v42, null, s53, v42, vcc_lo
	s_waitcnt lgkmcnt(0)
	global_store_dwordx2 v[41:42], v[39:40], off
	s_or_b32 exec_lo, exec_lo, s22
	s_and_saveexec_b32 s22, s35
	s_cbranch_execz .LBB914_872
.LBB914_940:                            ;   in Loop: Header=BB914_722 Depth=2
	v_lshlrev_b32_e32 v3, 2, v140
	v_add_nc_u32_e32 v39, v74, v75
	ds_read_b32 v3, v3
	ds_read_b64 v[39:40], v39 offset:25088
	s_waitcnt lgkmcnt(1)
	v_add_nc_u32_e32 v3, v3, v57
	v_lshlrev_b64 v[41:42], 3, v[3:4]
	v_add_co_u32 v41, vcc_lo, s52, v41
	v_add_co_ci_u32_e64 v42, null, s53, v42, vcc_lo
	s_waitcnt lgkmcnt(0)
	global_store_dwordx2 v[41:42], v[39:40], off
	s_or_b32 exec_lo, exec_lo, s22
	s_and_saveexec_b32 s22, s36
	s_cbranch_execz .LBB914_873
.LBB914_941:                            ;   in Loop: Header=BB914_722 Depth=2
	v_lshlrev_b32_e32 v3, 2, v139
	v_add_nc_u32_e32 v39, v74, v75
	ds_read_b32 v3, v3
	ds_read_b64 v[39:40], v39 offset:27136
	s_waitcnt lgkmcnt(1)
	v_add_nc_u32_e32 v3, v3, v58
	v_lshlrev_b64 v[41:42], 3, v[3:4]
	v_add_co_u32 v41, vcc_lo, s52, v41
	v_add_co_ci_u32_e64 v42, null, s53, v42, vcc_lo
	s_waitcnt lgkmcnt(0)
	global_store_dwordx2 v[41:42], v[39:40], off
	s_or_b32 exec_lo, exec_lo, s22
	s_and_saveexec_b32 s22, s37
	s_cbranch_execz .LBB914_874
.LBB914_942:                            ;   in Loop: Header=BB914_722 Depth=2
	v_lshlrev_b32_e32 v3, 2, v138
	v_add_nc_u32_e32 v39, v74, v75
	ds_read_b32 v3, v3
	ds_read_b64 v[39:40], v39 offset:29184
	s_waitcnt lgkmcnt(1)
	v_add_nc_u32_e32 v3, v3, v59
	v_lshlrev_b64 v[41:42], 3, v[3:4]
	v_add_co_u32 v41, vcc_lo, s52, v41
	v_add_co_ci_u32_e64 v42, null, s53, v42, vcc_lo
	s_waitcnt lgkmcnt(0)
	global_store_dwordx2 v[41:42], v[39:40], off
	s_or_b32 exec_lo, exec_lo, s22
	s_and_saveexec_b32 s22, s38
	s_cbranch_execz .LBB914_875
.LBB914_943:                            ;   in Loop: Header=BB914_722 Depth=2
	v_lshlrev_b32_e32 v3, 2, v137
	v_add_nc_u32_e32 v39, v74, v75
	ds_read_b32 v3, v3
	ds_read_b64 v[39:40], v39 offset:31232
	s_waitcnt lgkmcnt(1)
	v_add_nc_u32_e32 v3, v3, v60
	v_lshlrev_b64 v[41:42], 3, v[3:4]
	v_add_co_u32 v41, vcc_lo, s52, v41
	v_add_co_ci_u32_e64 v42, null, s53, v42, vcc_lo
	s_waitcnt lgkmcnt(0)
	global_store_dwordx2 v[41:42], v[39:40], off
	s_or_b32 exec_lo, exec_lo, s22
	s_and_saveexec_b32 s22, s39
	s_cbranch_execnz .LBB914_876
	s_branch .LBB914_877
.LBB914_944:                            ;   in Loop: Header=BB914_12 Depth=1
	s_waitcnt lgkmcnt(0)
	s_mov_b32 s5, 0
	s_barrier
.LBB914_945:                            ;   in Loop: Header=BB914_12 Depth=1
	s_and_b32 vcc_lo, exec_lo, s5
	s_cbranch_vccz .LBB914_11
; %bb.946:                              ;   in Loop: Header=BB914_12 Depth=1
	s_mov_b32 s5, s60
	s_mov_b32 s50, s58
	s_barrier
	buffer_gl0_inv
                                        ; implicit-def: $vgpr3
                                        ; implicit-def: $vgpr5
                                        ; implicit-def: $vgpr6
                                        ; implicit-def: $vgpr7
                                        ; implicit-def: $vgpr8
                                        ; implicit-def: $vgpr9
                                        ; implicit-def: $vgpr10
                                        ; implicit-def: $vgpr11
                                        ; implicit-def: $vgpr12
                                        ; implicit-def: $vgpr13
                                        ; implicit-def: $vgpr14
                                        ; implicit-def: $vgpr15
                                        ; implicit-def: $vgpr16
                                        ; implicit-def: $vgpr17
                                        ; implicit-def: $vgpr18
                                        ; implicit-def: $vgpr19
                                        ; implicit-def: $vgpr20
	s_branch .LBB914_948
.LBB914_947:                            ;   in Loop: Header=BB914_948 Depth=2
	s_or_b32 exec_lo, exec_lo, s16
	s_addk_i32 s5, 0xef00
	s_cmp_ge_u32 s15, s59
	s_mov_b32 s50, s15
	s_cbranch_scc1 .LBB914_1020
.LBB914_948:                            ;   Parent Loop BB914_12 Depth=1
                                        ; =>  This Inner Loop Header: Depth=2
	s_add_i32 s15, s50, 0x1100
	s_mov_b32 s16, -1
	s_cmp_gt_u32 s15, s59
                                        ; implicit-def: $vgpr21
                                        ; implicit-def: $vgpr22
                                        ; implicit-def: $vgpr23
                                        ; implicit-def: $vgpr24
                                        ; implicit-def: $vgpr28
                                        ; implicit-def: $vgpr25
                                        ; implicit-def: $vgpr26
                                        ; implicit-def: $vgpr27
                                        ; implicit-def: $vgpr30
                                        ; implicit-def: $vgpr29
                                        ; implicit-def: $vgpr31
                                        ; implicit-def: $vgpr32
                                        ; implicit-def: $vgpr33
                                        ; implicit-def: $vgpr34
                                        ; implicit-def: $vgpr35
                                        ; implicit-def: $vgpr36
                                        ; implicit-def: $vgpr37
	s_cbranch_scc1 .LBB914_950
; %bb.949:                              ;   in Loop: Header=BB914_948 Depth=2
	s_lshl_b64 s[16:17], s[50:51], 1
	v_add_co_u32 v30, vcc_lo, v82, s16
	v_add_co_ci_u32_e64 v31, null, s17, v83, vcc_lo
	s_mov_b32 s16, 0
	v_add_co_u32 v27, vcc_lo, 0x800, v30
	v_add_co_ci_u32_e64 v28, null, 0, v31, vcc_lo
	v_add_co_u32 v32, vcc_lo, v30, 0x1000
	v_add_co_ci_u32_e64 v33, null, 0, v31, vcc_lo
	;; [unrolled: 2-line block ×5, first 2 shown]
	s_clause 0x10
	global_load_ushort v21, v[30:31], off
	global_load_ushort v22, v[30:31], off offset:512
	global_load_ushort v23, v[30:31], off offset:1024
	;; [unrolled: 1-line block ×7, first 2 shown]
	global_load_ushort v28, v[32:33], off offset:-2048
	global_load_ushort v30, v[32:33], off
	global_load_ushort v31, v[34:35], off offset:1024
	global_load_ushort v32, v[34:35], off offset:1536
	global_load_ushort v33, v[38:39], off offset:-2048
	global_load_ushort v34, v[36:37], off offset:512
	global_load_ushort v35, v[36:37], off offset:1024
	;; [unrolled: 1-line block ×3, first 2 shown]
	global_load_ushort v37, v[38:39], off
.LBB914_950:                            ;   in Loop: Header=BB914_948 Depth=2
	s_andn2_b32 vcc_lo, exec_lo, s16
	s_movk_i32 s16, 0x1100
	s_cbranch_vccnz .LBB914_970
; %bb.951:                              ;   in Loop: Header=BB914_948 Depth=2
	s_lshl_b64 s[16:17], s[50:51], 1
	s_mov_b32 s18, exec_lo
	s_add_u32 s16, s44, s16
	s_addc_u32 s17, s45, s17
	v_cmpx_gt_u32_e64 s5, v0
	s_cbranch_execnz .LBB914_1004
; %bb.952:                              ;   in Loop: Header=BB914_948 Depth=2
	s_or_b32 exec_lo, exec_lo, s18
	s_mov_b32 s18, exec_lo
	v_cmpx_gt_u32_e64 s5, v44
	s_cbranch_execnz .LBB914_1005
.LBB914_953:                            ;   in Loop: Header=BB914_948 Depth=2
	s_or_b32 exec_lo, exec_lo, s18
	s_mov_b32 s18, exec_lo
	v_cmpx_gt_u32_e64 s5, v47
	s_cbranch_execnz .LBB914_1006
.LBB914_954:                            ;   in Loop: Header=BB914_948 Depth=2
	s_or_b32 exec_lo, exec_lo, s18
	s_mov_b32 s18, exec_lo
	v_cmpx_gt_u32_e64 s5, v48
	s_cbranch_execnz .LBB914_1007
.LBB914_955:                            ;   in Loop: Header=BB914_948 Depth=2
	s_or_b32 exec_lo, exec_lo, s18
	s_mov_b32 s18, exec_lo
	v_cmpx_gt_u32_e64 s5, v49
	s_cbranch_execnz .LBB914_1008
.LBB914_956:                            ;   in Loop: Header=BB914_948 Depth=2
	s_or_b32 exec_lo, exec_lo, s18
	s_mov_b32 s18, exec_lo
	v_cmpx_gt_u32_e64 s5, v50
	s_cbranch_execnz .LBB914_1009
.LBB914_957:                            ;   in Loop: Header=BB914_948 Depth=2
	s_or_b32 exec_lo, exec_lo, s18
	s_mov_b32 s18, exec_lo
	v_cmpx_gt_u32_e64 s5, v51
	s_cbranch_execnz .LBB914_1010
.LBB914_958:                            ;   in Loop: Header=BB914_948 Depth=2
	s_or_b32 exec_lo, exec_lo, s18
	s_mov_b32 s18, exec_lo
	v_cmpx_gt_u32_e64 s5, v52
	s_cbranch_execnz .LBB914_1011
.LBB914_959:                            ;   in Loop: Header=BB914_948 Depth=2
	s_or_b32 exec_lo, exec_lo, s18
	s_mov_b32 s18, exec_lo
	v_cmpx_gt_u32_e64 s5, v53
	s_cbranch_execnz .LBB914_1012
.LBB914_960:                            ;   in Loop: Header=BB914_948 Depth=2
	s_or_b32 exec_lo, exec_lo, s18
	s_mov_b32 s18, exec_lo
	v_cmpx_gt_u32_e64 s5, v54
	s_cbranch_execnz .LBB914_1013
.LBB914_961:                            ;   in Loop: Header=BB914_948 Depth=2
	s_or_b32 exec_lo, exec_lo, s18
	s_mov_b32 s18, exec_lo
	v_cmpx_gt_u32_e64 s5, v55
	s_cbranch_execnz .LBB914_1014
.LBB914_962:                            ;   in Loop: Header=BB914_948 Depth=2
	s_or_b32 exec_lo, exec_lo, s18
	s_mov_b32 s18, exec_lo
	v_cmpx_gt_u32_e64 s5, v56
	s_cbranch_execnz .LBB914_1015
.LBB914_963:                            ;   in Loop: Header=BB914_948 Depth=2
	s_or_b32 exec_lo, exec_lo, s18
	s_mov_b32 s18, exec_lo
	v_cmpx_gt_u32_e64 s5, v57
	s_cbranch_execnz .LBB914_1016
.LBB914_964:                            ;   in Loop: Header=BB914_948 Depth=2
	s_or_b32 exec_lo, exec_lo, s18
	s_mov_b32 s18, exec_lo
	v_cmpx_gt_u32_e64 s5, v58
	s_cbranch_execnz .LBB914_1017
.LBB914_965:                            ;   in Loop: Header=BB914_948 Depth=2
	s_or_b32 exec_lo, exec_lo, s18
	s_mov_b32 s18, exec_lo
	v_cmpx_gt_u32_e64 s5, v59
	s_cbranch_execnz .LBB914_1018
.LBB914_966:                            ;   in Loop: Header=BB914_948 Depth=2
	s_or_b32 exec_lo, exec_lo, s18
	s_mov_b32 s18, exec_lo
	v_cmpx_gt_u32_e64 s5, v60
	s_cbranch_execnz .LBB914_1019
.LBB914_967:                            ;   in Loop: Header=BB914_948 Depth=2
	s_or_b32 exec_lo, exec_lo, s18
	s_mov_b32 s18, exec_lo
	v_cmpx_gt_u32_e64 s5, v61
	s_cbranch_execz .LBB914_969
.LBB914_968:                            ;   in Loop: Header=BB914_948 Depth=2
	global_load_ushort v3, v122, s[16:17]
.LBB914_969:                            ;   in Loop: Header=BB914_948 Depth=2
	s_or_b32 exec_lo, exec_lo, s18
	s_waitcnt vmcnt(0)
	v_mov_b32_e32 v21, v20
	v_mov_b32_e32 v22, v19
	;; [unrolled: 1-line block ×17, first 2 shown]
	s_mov_b32 s16, s5
.LBB914_970:                            ;   in Loop: Header=BB914_948 Depth=2
	s_waitcnt vmcnt(0)
	v_mov_b32_e32 v3, v37
	v_mov_b32_e32 v5, v36
	;; [unrolled: 1-line block ×17, first 2 shown]
	s_mov_b32 s17, exec_lo
	v_cmpx_gt_u32_e64 s16, v0
	s_cbranch_execnz .LBB914_987
; %bb.971:                              ;   in Loop: Header=BB914_948 Depth=2
	s_or_b32 exec_lo, exec_lo, s17
	s_mov_b32 s17, exec_lo
	v_cmpx_gt_u32_e64 s16, v44
	s_cbranch_execnz .LBB914_988
.LBB914_972:                            ;   in Loop: Header=BB914_948 Depth=2
	s_or_b32 exec_lo, exec_lo, s17
	s_mov_b32 s17, exec_lo
	v_cmpx_gt_u32_e64 s16, v47
	s_cbranch_execnz .LBB914_989
.LBB914_973:                            ;   in Loop: Header=BB914_948 Depth=2
	s_or_b32 exec_lo, exec_lo, s17
	s_mov_b32 s17, exec_lo
	v_cmpx_gt_u32_e64 s16, v48
	s_cbranch_execnz .LBB914_990
.LBB914_974:                            ;   in Loop: Header=BB914_948 Depth=2
	s_or_b32 exec_lo, exec_lo, s17
	s_mov_b32 s17, exec_lo
	v_cmpx_gt_u32_e64 s16, v49
	s_cbranch_execnz .LBB914_991
.LBB914_975:                            ;   in Loop: Header=BB914_948 Depth=2
	s_or_b32 exec_lo, exec_lo, s17
	s_mov_b32 s17, exec_lo
	v_cmpx_gt_u32_e64 s16, v50
	s_cbranch_execnz .LBB914_992
.LBB914_976:                            ;   in Loop: Header=BB914_948 Depth=2
	s_or_b32 exec_lo, exec_lo, s17
	s_mov_b32 s17, exec_lo
	v_cmpx_gt_u32_e64 s16, v51
	s_cbranch_execnz .LBB914_993
.LBB914_977:                            ;   in Loop: Header=BB914_948 Depth=2
	s_or_b32 exec_lo, exec_lo, s17
	s_mov_b32 s17, exec_lo
	v_cmpx_gt_u32_e64 s16, v52
	s_cbranch_execnz .LBB914_994
.LBB914_978:                            ;   in Loop: Header=BB914_948 Depth=2
	s_or_b32 exec_lo, exec_lo, s17
	s_mov_b32 s17, exec_lo
	v_cmpx_gt_u32_e64 s16, v53
	s_cbranch_execnz .LBB914_995
.LBB914_979:                            ;   in Loop: Header=BB914_948 Depth=2
	s_or_b32 exec_lo, exec_lo, s17
	s_mov_b32 s17, exec_lo
	v_cmpx_gt_u32_e64 s16, v54
	s_cbranch_execnz .LBB914_996
.LBB914_980:                            ;   in Loop: Header=BB914_948 Depth=2
	s_or_b32 exec_lo, exec_lo, s17
	s_mov_b32 s17, exec_lo
	v_cmpx_gt_u32_e64 s16, v55
	s_cbranch_execnz .LBB914_997
.LBB914_981:                            ;   in Loop: Header=BB914_948 Depth=2
	s_or_b32 exec_lo, exec_lo, s17
	s_mov_b32 s17, exec_lo
	v_cmpx_gt_u32_e64 s16, v56
	s_cbranch_execnz .LBB914_998
.LBB914_982:                            ;   in Loop: Header=BB914_948 Depth=2
	s_or_b32 exec_lo, exec_lo, s17
	s_mov_b32 s17, exec_lo
	v_cmpx_gt_u32_e64 s16, v57
	s_cbranch_execnz .LBB914_999
.LBB914_983:                            ;   in Loop: Header=BB914_948 Depth=2
	s_or_b32 exec_lo, exec_lo, s17
	s_mov_b32 s17, exec_lo
	v_cmpx_gt_u32_e64 s16, v58
	s_cbranch_execnz .LBB914_1000
.LBB914_984:                            ;   in Loop: Header=BB914_948 Depth=2
	s_or_b32 exec_lo, exec_lo, s17
	s_mov_b32 s17, exec_lo
	v_cmpx_gt_u32_e64 s16, v59
	s_cbranch_execnz .LBB914_1001
.LBB914_985:                            ;   in Loop: Header=BB914_948 Depth=2
	s_or_b32 exec_lo, exec_lo, s17
	s_mov_b32 s17, exec_lo
	v_cmpx_gt_u32_e64 s16, v60
	s_cbranch_execnz .LBB914_1002
.LBB914_986:                            ;   in Loop: Header=BB914_948 Depth=2
	s_or_b32 exec_lo, exec_lo, s17
	v_cmp_gt_u32_e32 vcc_lo, s16, v61
	s_and_saveexec_b32 s16, vcc_lo
	s_cbranch_execz .LBB914_947
	s_branch .LBB914_1003
.LBB914_987:                            ;   in Loop: Header=BB914_948 Depth=2
	v_xor_b32_e32 v21, 0x7fff, v20
	v_lshrrev_b32_sdwa v21, s41, v21 dst_sel:DWORD dst_unused:UNUSED_PAD src0_sel:DWORD src1_sel:WORD_0
	v_and_b32_e32 v21, s62, v21
	v_lshl_or_b32 v21, v21, 4, v63
	ds_add_u32 v21, v89
	s_or_b32 exec_lo, exec_lo, s17
	s_mov_b32 s17, exec_lo
	v_cmpx_gt_u32_e64 s16, v44
	s_cbranch_execz .LBB914_972
.LBB914_988:                            ;   in Loop: Header=BB914_948 Depth=2
	v_xor_b32_e32 v21, 0x7fff, v19
	v_lshrrev_b32_sdwa v21, s41, v21 dst_sel:DWORD dst_unused:UNUSED_PAD src0_sel:DWORD src1_sel:WORD_0
	v_and_b32_e32 v21, s62, v21
	v_lshl_or_b32 v21, v21, 4, v63
	ds_add_u32 v21, v89
	s_or_b32 exec_lo, exec_lo, s17
	s_mov_b32 s17, exec_lo
	v_cmpx_gt_u32_e64 s16, v47
	s_cbranch_execz .LBB914_973
.LBB914_989:                            ;   in Loop: Header=BB914_948 Depth=2
	v_xor_b32_e32 v21, 0x7fff, v18
	v_lshrrev_b32_sdwa v21, s41, v21 dst_sel:DWORD dst_unused:UNUSED_PAD src0_sel:DWORD src1_sel:WORD_0
	v_and_b32_e32 v21, s62, v21
	v_lshl_or_b32 v21, v21, 4, v63
	ds_add_u32 v21, v89
	s_or_b32 exec_lo, exec_lo, s17
	s_mov_b32 s17, exec_lo
	v_cmpx_gt_u32_e64 s16, v48
	s_cbranch_execz .LBB914_974
.LBB914_990:                            ;   in Loop: Header=BB914_948 Depth=2
	v_xor_b32_e32 v21, 0x7fff, v17
	v_lshrrev_b32_sdwa v21, s41, v21 dst_sel:DWORD dst_unused:UNUSED_PAD src0_sel:DWORD src1_sel:WORD_0
	v_and_b32_e32 v21, s62, v21
	v_lshl_or_b32 v21, v21, 4, v63
	ds_add_u32 v21, v89
	s_or_b32 exec_lo, exec_lo, s17
	s_mov_b32 s17, exec_lo
	v_cmpx_gt_u32_e64 s16, v49
	s_cbranch_execz .LBB914_975
.LBB914_991:                            ;   in Loop: Header=BB914_948 Depth=2
	v_xor_b32_e32 v21, 0x7fff, v16
	v_lshrrev_b32_sdwa v21, s41, v21 dst_sel:DWORD dst_unused:UNUSED_PAD src0_sel:DWORD src1_sel:WORD_0
	v_and_b32_e32 v21, s62, v21
	v_lshl_or_b32 v21, v21, 4, v63
	ds_add_u32 v21, v89
	s_or_b32 exec_lo, exec_lo, s17
	s_mov_b32 s17, exec_lo
	v_cmpx_gt_u32_e64 s16, v50
	s_cbranch_execz .LBB914_976
.LBB914_992:                            ;   in Loop: Header=BB914_948 Depth=2
	v_xor_b32_e32 v21, 0x7fff, v15
	v_lshrrev_b32_sdwa v21, s41, v21 dst_sel:DWORD dst_unused:UNUSED_PAD src0_sel:DWORD src1_sel:WORD_0
	v_and_b32_e32 v21, s62, v21
	v_lshl_or_b32 v21, v21, 4, v63
	ds_add_u32 v21, v89
	s_or_b32 exec_lo, exec_lo, s17
	s_mov_b32 s17, exec_lo
	v_cmpx_gt_u32_e64 s16, v51
	s_cbranch_execz .LBB914_977
.LBB914_993:                            ;   in Loop: Header=BB914_948 Depth=2
	v_xor_b32_e32 v21, 0x7fff, v14
	v_lshrrev_b32_sdwa v21, s41, v21 dst_sel:DWORD dst_unused:UNUSED_PAD src0_sel:DWORD src1_sel:WORD_0
	v_and_b32_e32 v21, s62, v21
	v_lshl_or_b32 v21, v21, 4, v63
	ds_add_u32 v21, v89
	s_or_b32 exec_lo, exec_lo, s17
	s_mov_b32 s17, exec_lo
	v_cmpx_gt_u32_e64 s16, v52
	s_cbranch_execz .LBB914_978
.LBB914_994:                            ;   in Loop: Header=BB914_948 Depth=2
	v_xor_b32_e32 v21, 0x7fff, v13
	v_lshrrev_b32_sdwa v21, s41, v21 dst_sel:DWORD dst_unused:UNUSED_PAD src0_sel:DWORD src1_sel:WORD_0
	v_and_b32_e32 v21, s62, v21
	v_lshl_or_b32 v21, v21, 4, v63
	ds_add_u32 v21, v89
	s_or_b32 exec_lo, exec_lo, s17
	s_mov_b32 s17, exec_lo
	v_cmpx_gt_u32_e64 s16, v53
	s_cbranch_execz .LBB914_979
.LBB914_995:                            ;   in Loop: Header=BB914_948 Depth=2
	v_xor_b32_e32 v21, 0x7fff, v12
	v_lshrrev_b32_sdwa v21, s41, v21 dst_sel:DWORD dst_unused:UNUSED_PAD src0_sel:DWORD src1_sel:WORD_0
	v_and_b32_e32 v21, s62, v21
	v_lshl_or_b32 v21, v21, 4, v63
	ds_add_u32 v21, v89
	s_or_b32 exec_lo, exec_lo, s17
	s_mov_b32 s17, exec_lo
	v_cmpx_gt_u32_e64 s16, v54
	s_cbranch_execz .LBB914_980
.LBB914_996:                            ;   in Loop: Header=BB914_948 Depth=2
	v_xor_b32_e32 v21, 0x7fff, v11
	v_lshrrev_b32_sdwa v21, s41, v21 dst_sel:DWORD dst_unused:UNUSED_PAD src0_sel:DWORD src1_sel:WORD_0
	v_and_b32_e32 v21, s62, v21
	v_lshl_or_b32 v21, v21, 4, v63
	ds_add_u32 v21, v89
	s_or_b32 exec_lo, exec_lo, s17
	s_mov_b32 s17, exec_lo
	v_cmpx_gt_u32_e64 s16, v55
	s_cbranch_execz .LBB914_981
.LBB914_997:                            ;   in Loop: Header=BB914_948 Depth=2
	v_xor_b32_e32 v21, 0x7fff, v10
	v_lshrrev_b32_sdwa v21, s41, v21 dst_sel:DWORD dst_unused:UNUSED_PAD src0_sel:DWORD src1_sel:WORD_0
	v_and_b32_e32 v21, s62, v21
	v_lshl_or_b32 v21, v21, 4, v63
	ds_add_u32 v21, v89
	s_or_b32 exec_lo, exec_lo, s17
	s_mov_b32 s17, exec_lo
	v_cmpx_gt_u32_e64 s16, v56
	s_cbranch_execz .LBB914_982
.LBB914_998:                            ;   in Loop: Header=BB914_948 Depth=2
	v_xor_b32_e32 v21, 0x7fff, v9
	v_lshrrev_b32_sdwa v21, s41, v21 dst_sel:DWORD dst_unused:UNUSED_PAD src0_sel:DWORD src1_sel:WORD_0
	v_and_b32_e32 v21, s62, v21
	v_lshl_or_b32 v21, v21, 4, v63
	ds_add_u32 v21, v89
	s_or_b32 exec_lo, exec_lo, s17
	s_mov_b32 s17, exec_lo
	v_cmpx_gt_u32_e64 s16, v57
	s_cbranch_execz .LBB914_983
.LBB914_999:                            ;   in Loop: Header=BB914_948 Depth=2
	v_xor_b32_e32 v21, 0x7fff, v8
	v_lshrrev_b32_sdwa v21, s41, v21 dst_sel:DWORD dst_unused:UNUSED_PAD src0_sel:DWORD src1_sel:WORD_0
	v_and_b32_e32 v21, s62, v21
	v_lshl_or_b32 v21, v21, 4, v63
	ds_add_u32 v21, v89
	s_or_b32 exec_lo, exec_lo, s17
	s_mov_b32 s17, exec_lo
	v_cmpx_gt_u32_e64 s16, v58
	s_cbranch_execz .LBB914_984
.LBB914_1000:                           ;   in Loop: Header=BB914_948 Depth=2
	v_xor_b32_e32 v21, 0x7fff, v7
	v_lshrrev_b32_sdwa v21, s41, v21 dst_sel:DWORD dst_unused:UNUSED_PAD src0_sel:DWORD src1_sel:WORD_0
	v_and_b32_e32 v21, s62, v21
	v_lshl_or_b32 v21, v21, 4, v63
	ds_add_u32 v21, v89
	s_or_b32 exec_lo, exec_lo, s17
	s_mov_b32 s17, exec_lo
	v_cmpx_gt_u32_e64 s16, v59
	s_cbranch_execz .LBB914_985
.LBB914_1001:                           ;   in Loop: Header=BB914_948 Depth=2
	v_xor_b32_e32 v21, 0x7fff, v6
	v_lshrrev_b32_sdwa v21, s41, v21 dst_sel:DWORD dst_unused:UNUSED_PAD src0_sel:DWORD src1_sel:WORD_0
	v_and_b32_e32 v21, s62, v21
	v_lshl_or_b32 v21, v21, 4, v63
	ds_add_u32 v21, v89
	s_or_b32 exec_lo, exec_lo, s17
	s_mov_b32 s17, exec_lo
	v_cmpx_gt_u32_e64 s16, v60
	s_cbranch_execz .LBB914_986
.LBB914_1002:                           ;   in Loop: Header=BB914_948 Depth=2
	v_xor_b32_e32 v21, 0x7fff, v5
	v_lshrrev_b32_sdwa v21, s41, v21 dst_sel:DWORD dst_unused:UNUSED_PAD src0_sel:DWORD src1_sel:WORD_0
	v_and_b32_e32 v21, s62, v21
	v_lshl_or_b32 v21, v21, 4, v63
	ds_add_u32 v21, v89
	s_or_b32 exec_lo, exec_lo, s17
	v_cmp_gt_u32_e32 vcc_lo, s16, v61
	s_and_saveexec_b32 s16, vcc_lo
	s_cbranch_execz .LBB914_947
.LBB914_1003:                           ;   in Loop: Header=BB914_948 Depth=2
	v_xor_b32_e32 v21, 0x7fff, v3
	v_lshrrev_b32_sdwa v21, s41, v21 dst_sel:DWORD dst_unused:UNUSED_PAD src0_sel:DWORD src1_sel:WORD_0
	v_and_b32_e32 v21, s62, v21
	v_lshl_or_b32 v21, v21, 4, v63
	ds_add_u32 v21, v89
	s_branch .LBB914_947
.LBB914_1004:                           ;   in Loop: Header=BB914_948 Depth=2
	global_load_ushort v20, v109, s[16:17]
	s_or_b32 exec_lo, exec_lo, s18
	s_mov_b32 s18, exec_lo
	v_cmpx_gt_u32_e64 s5, v44
	s_cbranch_execz .LBB914_953
.LBB914_1005:                           ;   in Loop: Header=BB914_948 Depth=2
	global_load_ushort v19, v109, s[16:17] offset:512
	s_or_b32 exec_lo, exec_lo, s18
	s_mov_b32 s18, exec_lo
	v_cmpx_gt_u32_e64 s5, v47
	s_cbranch_execz .LBB914_954
.LBB914_1006:                           ;   in Loop: Header=BB914_948 Depth=2
	global_load_ushort v18, v109, s[16:17] offset:1024
	s_or_b32 exec_lo, exec_lo, s18
	s_mov_b32 s18, exec_lo
	v_cmpx_gt_u32_e64 s5, v48
	s_cbranch_execz .LBB914_955
.LBB914_1007:                           ;   in Loop: Header=BB914_948 Depth=2
	global_load_ushort v17, v109, s[16:17] offset:1536
	s_or_b32 exec_lo, exec_lo, s18
	s_mov_b32 s18, exec_lo
	v_cmpx_gt_u32_e64 s5, v49
	s_cbranch_execz .LBB914_956
.LBB914_1008:                           ;   in Loop: Header=BB914_948 Depth=2
	global_load_ushort v16, v110, s[16:17]
	s_or_b32 exec_lo, exec_lo, s18
	s_mov_b32 s18, exec_lo
	v_cmpx_gt_u32_e64 s5, v50
	s_cbranch_execz .LBB914_957
.LBB914_1009:                           ;   in Loop: Header=BB914_948 Depth=2
	global_load_ushort v15, v111, s[16:17]
	s_or_b32 exec_lo, exec_lo, s18
	s_mov_b32 s18, exec_lo
	v_cmpx_gt_u32_e64 s5, v51
	s_cbranch_execz .LBB914_958
.LBB914_1010:                           ;   in Loop: Header=BB914_948 Depth=2
	global_load_ushort v14, v112, s[16:17]
	s_or_b32 exec_lo, exec_lo, s18
	s_mov_b32 s18, exec_lo
	v_cmpx_gt_u32_e64 s5, v52
	s_cbranch_execz .LBB914_959
.LBB914_1011:                           ;   in Loop: Header=BB914_948 Depth=2
	global_load_ushort v13, v113, s[16:17]
	s_or_b32 exec_lo, exec_lo, s18
	s_mov_b32 s18, exec_lo
	v_cmpx_gt_u32_e64 s5, v53
	s_cbranch_execz .LBB914_960
.LBB914_1012:                           ;   in Loop: Header=BB914_948 Depth=2
	global_load_ushort v12, v114, s[16:17]
	s_or_b32 exec_lo, exec_lo, s18
	s_mov_b32 s18, exec_lo
	v_cmpx_gt_u32_e64 s5, v54
	s_cbranch_execz .LBB914_961
.LBB914_1013:                           ;   in Loop: Header=BB914_948 Depth=2
	global_load_ushort v11, v115, s[16:17]
	s_or_b32 exec_lo, exec_lo, s18
	s_mov_b32 s18, exec_lo
	v_cmpx_gt_u32_e64 s5, v55
	s_cbranch_execz .LBB914_962
.LBB914_1014:                           ;   in Loop: Header=BB914_948 Depth=2
	global_load_ushort v10, v116, s[16:17]
	s_or_b32 exec_lo, exec_lo, s18
	s_mov_b32 s18, exec_lo
	v_cmpx_gt_u32_e64 s5, v56
	s_cbranch_execz .LBB914_963
.LBB914_1015:                           ;   in Loop: Header=BB914_948 Depth=2
	global_load_ushort v9, v117, s[16:17]
	s_or_b32 exec_lo, exec_lo, s18
	s_mov_b32 s18, exec_lo
	v_cmpx_gt_u32_e64 s5, v57
	s_cbranch_execz .LBB914_964
.LBB914_1016:                           ;   in Loop: Header=BB914_948 Depth=2
	global_load_ushort v8, v118, s[16:17]
	s_or_b32 exec_lo, exec_lo, s18
	s_mov_b32 s18, exec_lo
	v_cmpx_gt_u32_e64 s5, v58
	s_cbranch_execz .LBB914_965
.LBB914_1017:                           ;   in Loop: Header=BB914_948 Depth=2
	global_load_ushort v7, v119, s[16:17]
	s_or_b32 exec_lo, exec_lo, s18
	s_mov_b32 s18, exec_lo
	v_cmpx_gt_u32_e64 s5, v59
	s_cbranch_execz .LBB914_966
.LBB914_1018:                           ;   in Loop: Header=BB914_948 Depth=2
	global_load_ushort v6, v120, s[16:17]
	s_or_b32 exec_lo, exec_lo, s18
	s_mov_b32 s18, exec_lo
	v_cmpx_gt_u32_e64 s5, v60
	s_cbranch_execz .LBB914_967
.LBB914_1019:                           ;   in Loop: Header=BB914_948 Depth=2
	global_load_ushort v5, v121, s[16:17]
	s_or_b32 exec_lo, exec_lo, s18
	s_mov_b32 s18, exec_lo
	v_cmpx_gt_u32_e64 s5, v61
	s_cbranch_execnz .LBB914_968
	s_branch .LBB914_969
.LBB914_1020:                           ;   in Loop: Header=BB914_12 Depth=1
	v_mov_b32_e32 v3, 0
	s_waitcnt lgkmcnt(0)
	s_barrier
	buffer_gl0_inv
	s_and_saveexec_b32 s5, s7
	s_cbranch_execz .LBB914_1022
; %bb.1021:                             ;   in Loop: Header=BB914_12 Depth=1
	ds_read2_b64 v[5:8], v64 offset1:1
	s_waitcnt lgkmcnt(0)
	v_add_nc_u32_e32 v3, v6, v5
	v_add3_u32 v3, v3, v7, v8
.LBB914_1022:                           ;   in Loop: Header=BB914_12 Depth=1
	s_or_b32 exec_lo, exec_lo, s5
	v_mov_b32_dpp v5, v3 row_shr:1 row_mask:0xf bank_mask:0xf
	v_cmp_eq_u32_e64 s5, 0, v90
	v_cmp_lt_u32_e64 s15, 1, v90
	v_cmp_lt_u32_e64 s16, 3, v90
	v_cmp_lt_u32_e64 s17, 7, v90
	v_cmp_eq_u32_e64 s18, 0, v92
	v_cndmask_b32_e64 v5, v5, 0, s5
	v_add_nc_u32_e32 v3, v5, v3
	v_mov_b32_dpp v5, v3 row_shr:2 row_mask:0xf bank_mask:0xf
	v_cndmask_b32_e64 v5, 0, v5, s15
	v_add_nc_u32_e32 v3, v3, v5
	v_mov_b32_dpp v5, v3 row_shr:4 row_mask:0xf bank_mask:0xf
	;; [unrolled: 3-line block ×3, first 2 shown]
	v_cndmask_b32_e64 v5, 0, v5, s17
	v_add_nc_u32_e32 v3, v3, v5
	ds_swizzle_b32 v5, v3 offset:swizzle(BROADCAST,32,15)
	s_waitcnt lgkmcnt(0)
	v_and_b32_e32 v5, v91, v5
	v_add_nc_u32_e32 v3, v3, v5
	s_and_saveexec_b32 s19, s8
; %bb.1023:                             ;   in Loop: Header=BB914_12 Depth=1
	ds_write_b32 v65, v3
; %bb.1024:                             ;   in Loop: Header=BB914_12 Depth=1
	s_or_b32 exec_lo, exec_lo, s19
	s_waitcnt lgkmcnt(0)
	s_barrier
	buffer_gl0_inv
	s_and_saveexec_b32 s19, s9
	s_cbranch_execz .LBB914_1026
; %bb.1025:                             ;   in Loop: Header=BB914_12 Depth=1
	ds_read_b32 v5, v66
	v_cmp_ne_u32_e32 vcc_lo, 0, v93
	s_waitcnt lgkmcnt(0)
	v_mov_b32_dpp v6, v5 row_shr:1 row_mask:0xf bank_mask:0xf
	v_cndmask_b32_e32 v6, 0, v6, vcc_lo
	v_cmp_lt_u32_e32 vcc_lo, 1, v93
	v_add_nc_u32_e32 v5, v6, v5
	v_mov_b32_dpp v6, v5 row_shr:2 row_mask:0xf bank_mask:0xf
	v_cndmask_b32_e32 v6, 0, v6, vcc_lo
	v_add_nc_u32_e32 v5, v5, v6
	ds_write_b32 v66, v5
.LBB914_1026:                           ;   in Loop: Header=BB914_12 Depth=1
	s_or_b32 exec_lo, exec_lo, s19
	v_mov_b32_e32 v5, 0
	s_waitcnt lgkmcnt(0)
	s_barrier
	buffer_gl0_inv
	s_and_saveexec_b32 s19, s10
; %bb.1027:                             ;   in Loop: Header=BB914_12 Depth=1
	ds_read_b32 v5, v67
; %bb.1028:                             ;   in Loop: Header=BB914_12 Depth=1
	s_or_b32 exec_lo, exec_lo, s19
	v_cmp_gt_i32_e32 vcc_lo, 0, v95
	s_waitcnt lgkmcnt(0)
	v_add_nc_u32_e32 v3, v5, v3
	s_barrier
	buffer_gl0_inv
	v_cndmask_b32_e32 v6, v95, v86, vcc_lo
	v_lshlrev_b32_e32 v125, 2, v6
	ds_bpermute_b32 v3, v125, v3
	s_and_saveexec_b32 s19, s7
	s_cbranch_execz .LBB914_1030
; %bb.1029:                             ;   in Loop: Header=BB914_12 Depth=1
	s_waitcnt lgkmcnt(0)
	v_cndmask_b32_e64 v3, v3, v5, s14
	v_add_nc_u32_e32 v3, s58, v3
	ds_write_b32 v43, v3
.LBB914_1030:                           ;   in Loop: Header=BB914_12 Depth=1
	s_or_b32 exec_lo, exec_lo, s19
	s_load_dwordx2 s[20:21], s[56:57], 0x0
	v_add_co_u32 v126, vcc_lo, v84, v97
	v_add_co_ci_u32_e64 v127, null, 0, v85, vcc_lo
	v_add_nc_u32_e32 v128, 0x180, v94
	v_add_nc_u32_e32 v129, 0x1a0, v94
	;; [unrolled: 1-line block ×5, first 2 shown]
	s_mov_b32 s63, s60
	s_mov_b32 s50, s58
                                        ; implicit-def: $vgpr7_vgpr8
                                        ; implicit-def: $vgpr9_vgpr10
                                        ; implicit-def: $vgpr11_vgpr12
                                        ; implicit-def: $vgpr13_vgpr14
                                        ; implicit-def: $vgpr15_vgpr16
                                        ; implicit-def: $vgpr19_vgpr20
                                        ; implicit-def: $vgpr23_vgpr24
                                        ; implicit-def: $vgpr27_vgpr28
                                        ; implicit-def: $vgpr17_vgpr18
                                        ; implicit-def: $vgpr21_vgpr22
                                        ; implicit-def: $vgpr25_vgpr26
                                        ; implicit-def: $vgpr29_vgpr30
                                        ; implicit-def: $vgpr31_vgpr32
                                        ; implicit-def: $vgpr33_vgpr34
                                        ; implicit-def: $vgpr35_vgpr36
                                        ; implicit-def: $vgpr37_vgpr38
                                        ; implicit-def: $vgpr136
                                        ; implicit-def: $vgpr137
                                        ; implicit-def: $vgpr138
                                        ; implicit-def: $vgpr139
                                        ; implicit-def: $vgpr140
                                        ; implicit-def: $vgpr141
                                        ; implicit-def: $vgpr142
                                        ; implicit-def: $vgpr143
                                        ; implicit-def: $vgpr144
                                        ; implicit-def: $vgpr145
                                        ; implicit-def: $vgpr146
                                        ; implicit-def: $vgpr147
                                        ; implicit-def: $vgpr148
                                        ; implicit-def: $vgpr149
                                        ; implicit-def: $vgpr150
                                        ; implicit-def: $vgpr152
                                        ; implicit-def: $vgpr153
                                        ; implicit-def: $vgpr151
                                        ; implicit-def: $vgpr154
	s_waitcnt lgkmcnt(0)
	s_cmp_lt_u32 s28, s21
	s_cselect_b32 s19, 14, 20
	s_add_u32 s22, s56, s19
	s_addc_u32 s23, s57, 0
	s_cmp_lt_u32 s6, s20
	global_load_ushort v3, v4, s[22:23]
	s_cselect_b32 s19, 12, 18
	s_add_u32 s20, s56, s19
	s_addc_u32 s21, s57, 0
	v_cmp_eq_u32_e64 s19, 0, v96
	global_load_ushort v5, v4, s[20:21]
	v_cmp_lt_u32_e64 s20, 1, v96
	v_cmp_lt_u32_e64 s21, 3, v96
	s_waitcnt vmcnt(1)
	v_mad_u32_u24 v3, v2, v3, v1
	s_waitcnt vmcnt(0)
	v_mad_u64_u32 v[5:6], null, v3, v5, v[0:1]
	v_lshlrev_b32_e32 v3, 1, v86
	v_add_co_u32 v133, vcc_lo, v87, v3
	v_lshrrev_b32_e32 v5, 3, v5
	v_add_co_ci_u32_e64 v134, null, 0, v88, vcc_lo
	v_and_b32_e32 v135, 0x1ffffffc, v5
                                        ; implicit-def: $vgpr5_vgpr6
	s_branch .LBB914_1032
.LBB914_1031:                           ;   in Loop: Header=BB914_1032 Depth=2
	s_or_b32 exec_lo, exec_lo, s22
	s_addk_i32 s63, 0xef00
	s_cmp_lt_u32 s64, s59
	s_mov_b32 s50, s64
	s_cbranch_scc0 .LBB914_10
.LBB914_1032:                           ;   Parent Loop BB914_12 Depth=1
                                        ; =>  This Inner Loop Header: Depth=2
	s_add_i32 s64, s50, 0x1100
	s_cmp_gt_u32 s64, s59
	s_cbranch_scc1 .LBB914_1034
; %bb.1033:                             ;   in Loop: Header=BB914_1032 Depth=2
	s_lshl_b64 s[22:23], s[50:51], 1
	v_add_co_u32 v39, vcc_lo, v133, s22
	v_add_co_ci_u32_e64 v40, null, s23, v134, vcc_lo
	s_mov_b32 s22, -1
	s_clause 0xf
	global_load_ushort v156, v[39:40], off
	global_load_ushort v157, v[39:40], off offset:64
	global_load_ushort v160, v[39:40], off offset:128
	;; [unrolled: 1-line block ×15, first 2 shown]
	s_movk_i32 s23, 0x1100
	s_cbranch_execz .LBB914_1035
	s_branch .LBB914_1068
.LBB914_1034:                           ;   in Loop: Header=BB914_1032 Depth=2
	s_mov_b32 s22, 0
                                        ; implicit-def: $vgpr156
                                        ; implicit-def: $vgpr157
                                        ; implicit-def: $vgpr160
                                        ; implicit-def: $vgpr164
                                        ; implicit-def: $vgpr169
                                        ; implicit-def: $vgpr174
                                        ; implicit-def: $vgpr179
                                        ; implicit-def: $vgpr184
                                        ; implicit-def: $vgpr189
                                        ; implicit-def: $vgpr187
                                        ; implicit-def: $vgpr182
                                        ; implicit-def: $vgpr177
                                        ; implicit-def: $vgpr173
                                        ; implicit-def: $vgpr168
                                        ; implicit-def: $vgpr42
                                        ; implicit-def: $vgpr41
	s_movk_i32 s23, 0x1100
.LBB914_1035:                           ;   in Loop: Header=BB914_1032 Depth=2
	s_lshl_b64 s[22:23], s[50:51], 1
	s_waitcnt vmcnt(14)
	v_mov_b32_e32 v157, 0xffff8000
	v_add_co_u32 v39, vcc_lo, v133, s22
	v_add_co_ci_u32_e64 v40, null, s23, v134, vcc_lo
	v_mov_b32_e32 v156, 0xffff8000
	s_mov_b32 s22, exec_lo
	v_cmpx_gt_u32_e64 s63, v94
	s_cbranch_execz .LBB914_1037
; %bb.1036:                             ;   in Loop: Header=BB914_1032 Depth=2
	global_load_ushort v156, v[39:40], off
.LBB914_1037:                           ;   in Loop: Header=BB914_1032 Depth=2
	s_or_b32 exec_lo, exec_lo, s22
	s_mov_b32 s22, exec_lo
	v_cmpx_gt_u32_e64 s63, v98
	s_cbranch_execz .LBB914_1039
; %bb.1038:                             ;   in Loop: Header=BB914_1032 Depth=2
	global_load_ushort v157, v[39:40], off offset:64
.LBB914_1039:                           ;   in Loop: Header=BB914_1032 Depth=2
	s_or_b32 exec_lo, exec_lo, s22
	s_waitcnt vmcnt(12)
	v_mov_b32_e32 v164, 0xffff8000
	v_mov_b32_e32 v160, 0xffff8000
	s_mov_b32 s22, exec_lo
	v_cmpx_gt_u32_e64 s63, v99
	s_cbranch_execz .LBB914_1041
; %bb.1040:                             ;   in Loop: Header=BB914_1032 Depth=2
	global_load_ushort v160, v[39:40], off offset:128
.LBB914_1041:                           ;   in Loop: Header=BB914_1032 Depth=2
	s_or_b32 exec_lo, exec_lo, s22
	s_mov_b32 s22, exec_lo
	v_cmpx_gt_u32_e64 s63, v100
	s_cbranch_execz .LBB914_1043
; %bb.1042:                             ;   in Loop: Header=BB914_1032 Depth=2
	global_load_ushort v164, v[39:40], off offset:192
.LBB914_1043:                           ;   in Loop: Header=BB914_1032 Depth=2
	s_or_b32 exec_lo, exec_lo, s22
	s_waitcnt vmcnt(10)
	v_mov_b32_e32 v174, 0xffff8000
	v_mov_b32_e32 v169, 0xffff8000
	s_mov_b32 s22, exec_lo
	v_cmpx_gt_u32_e64 s63, v101
	s_cbranch_execz .LBB914_1045
; %bb.1044:                             ;   in Loop: Header=BB914_1032 Depth=2
	global_load_ushort v169, v[39:40], off offset:256
.LBB914_1045:                           ;   in Loop: Header=BB914_1032 Depth=2
	;; [unrolled: 17-line block ×7, first 2 shown]
	s_or_b32 exec_lo, exec_lo, s22
	s_mov_b32 s22, exec_lo
	v_cmpx_gt_u32_e64 s63, v131
	s_cbranch_execz .LBB914_1067
; %bb.1066:                             ;   in Loop: Header=BB914_1032 Depth=2
	global_load_ushort v41, v[39:40], off offset:960
.LBB914_1067:                           ;   in Loop: Header=BB914_1032 Depth=2
	s_or_b32 exec_lo, exec_lo, s22
	v_cmp_gt_u32_e64 s22, s63, v132
	s_sub_i32 s23, s59, s50
.LBB914_1068:                           ;   in Loop: Header=BB914_1032 Depth=2
	v_mov_b32_e32 v3, -1
	v_mov_b32_e32 v155, s63
	s_and_saveexec_b32 s24, s22
	s_cbranch_execz .LBB914_1070
; %bb.1069:                             ;   in Loop: Header=BB914_1032 Depth=2
	s_lshl_b64 s[26:27], s[50:51], 1
	v_mov_b32_e32 v155, s23
	v_add_co_u32 v39, vcc_lo, v133, s26
	v_add_co_ci_u32_e64 v40, null, s27, v134, vcc_lo
	global_load_ushort v3, v[39:40], off offset:1024
	s_waitcnt vmcnt(0)
	v_xor_b32_e32 v3, 0x7fff, v3
.LBB914_1070:                           ;   in Loop: Header=BB914_1032 Depth=2
	s_or_b32 exec_lo, exec_lo, s24
	s_waitcnt vmcnt(15)
	v_xor_b32_e32 v156, 0x7fff, v156
	ds_write2_b32 v68, v4, v4 offset0:136 offset1:137
	ds_write2_b32 v68, v4, v4 offset0:138 offset1:139
	ds_write_b32 v68, v4 offset:560
	s_waitcnt vmcnt(0) lgkmcnt(0)
	s_barrier
	v_lshrrev_b32_sdwa v39, s41, v156 dst_sel:DWORD dst_unused:UNUSED_PAD src0_sel:DWORD src1_sel:WORD_0
	buffer_gl0_inv
	; wave barrier
	v_and_b32_e32 v40, s62, v39
	v_and_b32_e32 v39, 1, v40
	v_lshlrev_b32_e32 v158, 30, v40
	v_lshlrev_b32_e32 v159, 29, v40
	;; [unrolled: 1-line block ×4, first 2 shown]
	v_add_co_u32 v39, s22, v39, -1
	v_cndmask_b32_e64 v161, 0, 1, s22
	v_not_b32_e32 v166, v158
	v_cmp_gt_i32_e64 s22, 0, v158
	v_not_b32_e32 v158, v159
	v_lshlrev_b32_e32 v165, 26, v40
	v_cmp_ne_u32_e32 vcc_lo, 0, v161
	v_ashrrev_i32_e32 v166, 31, v166
	v_lshlrev_b32_e32 v161, 25, v40
	v_ashrrev_i32_e32 v158, 31, v158
	v_mul_u32_u24_e32 v40, 36, v40
	v_xor_b32_e32 v39, vcc_lo, v39
	v_cmp_gt_i32_e32 vcc_lo, 0, v159
	v_not_b32_e32 v159, v162
	v_xor_b32_e32 v166, s22, v166
	v_cmp_gt_i32_e64 s22, 0, v162
	v_and_b32_e32 v39, exec_lo, v39
	v_not_b32_e32 v162, v163
	v_ashrrev_i32_e32 v159, 31, v159
	v_xor_b32_e32 v158, vcc_lo, v158
	v_cmp_gt_i32_e32 vcc_lo, 0, v163
	v_and_b32_e32 v39, v39, v166
	v_not_b32_e32 v163, v165
	v_ashrrev_i32_e32 v162, 31, v162
	v_xor_b32_e32 v159, s22, v159
	v_cmp_gt_i32_e64 s22, 0, v165
	v_and_b32_e32 v39, v39, v158
	v_not_b32_e32 v158, v161
	v_ashrrev_i32_e32 v163, 31, v163
	v_xor_b32_e32 v162, vcc_lo, v162
	v_cmp_gt_i32_e32 vcc_lo, 0, v161
	v_and_b32_e32 v39, v39, v159
	v_ashrrev_i32_e32 v158, 31, v158
	v_xor_b32_e32 v159, s22, v163
	v_and_b32_e32 v39, v39, v162
	v_xor_b32_e32 v158, vcc_lo, v158
	v_and_b32_e32 v39, v39, v159
	v_add_nc_u32_e32 v159, v135, v40
	v_and_b32_e32 v39, v39, v158
	v_mbcnt_lo_u32_b32 v158, v39, 0
	v_cmp_ne_u32_e64 s22, 0, v39
	v_cmp_eq_u32_e32 vcc_lo, 0, v158
	s_and_b32 s23, s22, vcc_lo
	s_and_saveexec_b32 s22, s23
; %bb.1071:                             ;   in Loop: Header=BB914_1032 Depth=2
	v_bcnt_u32_b32 v39, v39, 0
	ds_write_b32 v159, v39 offset:544
; %bb.1072:                             ;   in Loop: Header=BB914_1032 Depth=2
	s_or_b32 exec_lo, exec_lo, s22
	v_xor_b32_e32 v157, 0x7fff, v157
	; wave barrier
	v_lshrrev_b32_sdwa v39, s41, v157 dst_sel:DWORD dst_unused:UNUSED_PAD src0_sel:DWORD src1_sel:WORD_0
	v_and_b32_e32 v40, s62, v39
	v_and_b32_e32 v39, 1, v40
	v_lshlrev_b32_e32 v161, 30, v40
	v_lshlrev_b32_e32 v162, 29, v40
	v_lshlrev_b32_e32 v165, 28, v40
	v_lshlrev_b32_e32 v166, 27, v40
	v_add_co_u32 v39, s22, v39, -1
	v_cndmask_b32_e64 v163, 0, 1, s22
	v_not_b32_e32 v170, v161
	v_cmp_gt_i32_e64 s22, 0, v161
	v_not_b32_e32 v161, v162
	v_lshlrev_b32_e32 v167, 26, v40
	v_cmp_ne_u32_e32 vcc_lo, 0, v163
	v_ashrrev_i32_e32 v170, 31, v170
	v_lshlrev_b32_e32 v163, 25, v40
	v_ashrrev_i32_e32 v161, 31, v161
	v_xor_b32_e32 v39, vcc_lo, v39
	v_cmp_gt_i32_e32 vcc_lo, 0, v162
	v_not_b32_e32 v162, v165
	v_xor_b32_e32 v170, s22, v170
	v_cmp_gt_i32_e64 s22, 0, v165
	v_and_b32_e32 v39, exec_lo, v39
	v_not_b32_e32 v165, v166
	v_ashrrev_i32_e32 v162, 31, v162
	v_xor_b32_e32 v161, vcc_lo, v161
	v_cmp_gt_i32_e32 vcc_lo, 0, v166
	v_and_b32_e32 v39, v39, v170
	v_not_b32_e32 v166, v167
	v_ashrrev_i32_e32 v165, 31, v165
	v_xor_b32_e32 v162, s22, v162
	v_cmp_gt_i32_e64 s22, 0, v167
	v_and_b32_e32 v39, v39, v161
	v_not_b32_e32 v161, v163
	v_ashrrev_i32_e32 v166, 31, v166
	v_xor_b32_e32 v165, vcc_lo, v165
	v_cmp_gt_i32_e32 vcc_lo, 0, v163
	v_and_b32_e32 v39, v39, v162
	v_ashrrev_i32_e32 v161, 31, v161
	v_xor_b32_e32 v162, s22, v166
	v_mad_u32_u24 v163, v40, 36, v135
	v_mul_u32_u24_e32 v40, 36, v40
	v_and_b32_e32 v39, v39, v165
	v_xor_b32_e32 v165, vcc_lo, v161
	ds_read_b32 v161, v163 offset:544
	v_add_nc_u32_e32 v163, v135, v40
	v_and_b32_e32 v39, v39, v162
	; wave barrier
	v_and_b32_e32 v39, v39, v165
	v_mbcnt_lo_u32_b32 v162, v39, 0
	v_cmp_ne_u32_e64 s22, 0, v39
	v_cmp_eq_u32_e32 vcc_lo, 0, v162
	s_and_b32 s23, s22, vcc_lo
	s_and_saveexec_b32 s22, s23
	s_cbranch_execz .LBB914_1074
; %bb.1073:                             ;   in Loop: Header=BB914_1032 Depth=2
	s_waitcnt lgkmcnt(0)
	v_bcnt_u32_b32 v39, v39, v161
	ds_write_b32 v163, v39 offset:544
.LBB914_1074:                           ;   in Loop: Header=BB914_1032 Depth=2
	s_or_b32 exec_lo, exec_lo, s22
	v_xor_b32_e32 v160, 0x7fff, v160
	; wave barrier
	v_lshrrev_b32_sdwa v39, s41, v160 dst_sel:DWORD dst_unused:UNUSED_PAD src0_sel:DWORD src1_sel:WORD_0
	v_and_b32_e32 v40, s62, v39
	v_and_b32_e32 v39, 1, v40
	v_lshlrev_b32_e32 v165, 30, v40
	v_lshlrev_b32_e32 v166, 29, v40
	v_lshlrev_b32_e32 v170, 28, v40
	v_lshlrev_b32_e32 v171, 27, v40
	v_add_co_u32 v39, s22, v39, -1
	v_cndmask_b32_e64 v167, 0, 1, s22
	v_not_b32_e32 v175, v165
	v_cmp_gt_i32_e64 s22, 0, v165
	v_not_b32_e32 v165, v166
	v_lshlrev_b32_e32 v172, 26, v40
	v_cmp_ne_u32_e32 vcc_lo, 0, v167
	v_ashrrev_i32_e32 v175, 31, v175
	v_lshlrev_b32_e32 v167, 25, v40
	v_ashrrev_i32_e32 v165, 31, v165
	v_xor_b32_e32 v39, vcc_lo, v39
	v_cmp_gt_i32_e32 vcc_lo, 0, v166
	v_not_b32_e32 v166, v170
	v_xor_b32_e32 v175, s22, v175
	v_cmp_gt_i32_e64 s22, 0, v170
	v_and_b32_e32 v39, exec_lo, v39
	v_not_b32_e32 v170, v171
	v_ashrrev_i32_e32 v166, 31, v166
	v_xor_b32_e32 v165, vcc_lo, v165
	v_cmp_gt_i32_e32 vcc_lo, 0, v171
	v_and_b32_e32 v39, v39, v175
	v_not_b32_e32 v171, v172
	v_ashrrev_i32_e32 v170, 31, v170
	v_xor_b32_e32 v166, s22, v166
	v_cmp_gt_i32_e64 s22, 0, v172
	v_and_b32_e32 v39, v39, v165
	v_not_b32_e32 v165, v167
	v_ashrrev_i32_e32 v171, 31, v171
	v_xor_b32_e32 v170, vcc_lo, v170
	v_cmp_gt_i32_e32 vcc_lo, 0, v167
	v_and_b32_e32 v39, v39, v166
	v_ashrrev_i32_e32 v165, 31, v165
	v_xor_b32_e32 v166, s22, v171
	v_mad_u32_u24 v167, v40, 36, v135
	v_mul_u32_u24_e32 v40, 36, v40
	v_and_b32_e32 v39, v39, v170
	v_xor_b32_e32 v170, vcc_lo, v165
	ds_read_b32 v165, v167 offset:544
	v_add_nc_u32_e32 v167, v135, v40
	v_and_b32_e32 v39, v39, v166
	; wave barrier
	v_and_b32_e32 v39, v39, v170
	v_mbcnt_lo_u32_b32 v166, v39, 0
	v_cmp_ne_u32_e64 s22, 0, v39
	v_cmp_eq_u32_e32 vcc_lo, 0, v166
	s_and_b32 s23, s22, vcc_lo
	s_and_saveexec_b32 s22, s23
	s_cbranch_execz .LBB914_1076
; %bb.1075:                             ;   in Loop: Header=BB914_1032 Depth=2
	s_waitcnt lgkmcnt(0)
	v_bcnt_u32_b32 v39, v39, v165
	ds_write_b32 v167, v39 offset:544
.LBB914_1076:                           ;   in Loop: Header=BB914_1032 Depth=2
	;; [unrolled: 63-line block ×9, first 2 shown]
	s_or_b32 exec_lo, exec_lo, s22
	v_xor_b32_e32 v182, 0x7fff, v182
	; wave barrier
	v_lshrrev_b32_sdwa v39, s41, v182 dst_sel:DWORD dst_unused:UNUSED_PAD src0_sel:DWORD src1_sel:WORD_0
	v_and_b32_e32 v40, s62, v39
	v_and_b32_e32 v39, 1, v40
	v_lshlrev_b32_e32 v199, 30, v40
	v_lshlrev_b32_e32 v200, 29, v40
	;; [unrolled: 1-line block ×4, first 2 shown]
	v_add_co_u32 v39, s22, v39, -1
	v_cndmask_b32_e64 v201, 0, 1, s22
	v_not_b32_e32 v205, v199
	v_cmp_gt_i32_e64 s22, 0, v199
	v_not_b32_e32 v199, v200
	v_lshlrev_b32_e32 v204, 26, v40
	v_cmp_ne_u32_e32 vcc_lo, 0, v201
	v_ashrrev_i32_e32 v205, 31, v205
	v_lshlrev_b32_e32 v201, 25, v40
	v_ashrrev_i32_e32 v199, 31, v199
	v_xor_b32_e32 v39, vcc_lo, v39
	v_cmp_gt_i32_e32 vcc_lo, 0, v200
	v_not_b32_e32 v200, v202
	v_xor_b32_e32 v205, s22, v205
	v_cmp_gt_i32_e64 s22, 0, v202
	v_and_b32_e32 v39, exec_lo, v39
	v_not_b32_e32 v202, v203
	v_ashrrev_i32_e32 v200, 31, v200
	v_xor_b32_e32 v199, vcc_lo, v199
	v_cmp_gt_i32_e32 vcc_lo, 0, v203
	v_and_b32_e32 v39, v39, v205
	v_not_b32_e32 v203, v204
	v_ashrrev_i32_e32 v202, 31, v202
	v_xor_b32_e32 v200, s22, v200
	v_cmp_gt_i32_e64 s22, 0, v204
	v_and_b32_e32 v39, v39, v199
	v_not_b32_e32 v199, v201
	v_ashrrev_i32_e32 v203, 31, v203
	v_xor_b32_e32 v202, vcc_lo, v202
	v_cmp_gt_i32_e32 vcc_lo, 0, v201
	v_and_b32_e32 v39, v39, v200
	v_ashrrev_i32_e32 v199, 31, v199
	v_xor_b32_e32 v200, s22, v203
	v_mad_u32_u24 v201, v40, 36, v135
	v_mul_u32_u24_e32 v40, 36, v40
	v_and_b32_e32 v39, v39, v202
	v_xor_b32_e32 v199, vcc_lo, v199
	v_add_nc_u32_e32 v202, v135, v40
	v_and_b32_e32 v39, v39, v200
	ds_read_b32 v200, v201 offset:544
	; wave barrier
	v_and_b32_e32 v39, v39, v199
	v_mbcnt_lo_u32_b32 v201, v39, 0
	v_cmp_ne_u32_e64 s22, 0, v39
	v_cmp_eq_u32_e32 vcc_lo, 0, v201
	s_and_b32 s23, s22, vcc_lo
	s_and_saveexec_b32 s22, s23
	s_cbranch_execz .LBB914_1092
; %bb.1091:                             ;   in Loop: Header=BB914_1032 Depth=2
	s_waitcnt lgkmcnt(0)
	v_bcnt_u32_b32 v39, v39, v200
	ds_write_b32 v202, v39 offset:544
.LBB914_1092:                           ;   in Loop: Header=BB914_1032 Depth=2
	s_or_b32 exec_lo, exec_lo, s22
	v_xor_b32_e32 v199, 0x7fff, v177
	; wave barrier
	v_lshrrev_b32_sdwa v39, s41, v199 dst_sel:DWORD dst_unused:UNUSED_PAD src0_sel:DWORD src1_sel:WORD_0
	v_and_b32_e32 v40, s62, v39
	v_and_b32_e32 v39, 1, v40
	v_lshlrev_b32_e32 v177, 30, v40
	v_lshlrev_b32_e32 v203, 29, v40
	v_lshlrev_b32_e32 v205, 28, v40
	v_lshlrev_b32_e32 v206, 27, v40
	v_add_co_u32 v39, s22, v39, -1
	v_cndmask_b32_e64 v204, 0, 1, s22
	v_not_b32_e32 v208, v177
	v_cmp_gt_i32_e64 s22, 0, v177
	v_not_b32_e32 v177, v203
	v_lshlrev_b32_e32 v207, 26, v40
	v_cmp_ne_u32_e32 vcc_lo, 0, v204
	v_ashrrev_i32_e32 v208, 31, v208
	v_lshlrev_b32_e32 v204, 25, v40
	v_ashrrev_i32_e32 v177, 31, v177
	v_xor_b32_e32 v39, vcc_lo, v39
	v_cmp_gt_i32_e32 vcc_lo, 0, v203
	v_not_b32_e32 v203, v205
	v_xor_b32_e32 v208, s22, v208
	v_cmp_gt_i32_e64 s22, 0, v205
	v_and_b32_e32 v39, exec_lo, v39
	v_not_b32_e32 v205, v206
	v_ashrrev_i32_e32 v203, 31, v203
	v_xor_b32_e32 v177, vcc_lo, v177
	v_cmp_gt_i32_e32 vcc_lo, 0, v206
	v_and_b32_e32 v39, v39, v208
	v_not_b32_e32 v206, v207
	v_ashrrev_i32_e32 v205, 31, v205
	v_xor_b32_e32 v203, s22, v203
	v_cmp_gt_i32_e64 s22, 0, v207
	v_and_b32_e32 v39, v39, v177
	v_not_b32_e32 v177, v204
	v_ashrrev_i32_e32 v206, 31, v206
	v_xor_b32_e32 v205, vcc_lo, v205
	v_cmp_gt_i32_e32 vcc_lo, 0, v204
	v_and_b32_e32 v39, v39, v203
	v_ashrrev_i32_e32 v177, 31, v177
	v_xor_b32_e32 v203, s22, v206
	v_mad_u32_u24 v204, v40, 36, v135
	v_mul_u32_u24_e32 v40, 36, v40
	v_and_b32_e32 v39, v39, v205
	v_xor_b32_e32 v177, vcc_lo, v177
	ds_read_b32 v204, v204 offset:544
	v_and_b32_e32 v39, v39, v203
	; wave barrier
	v_and_b32_e32 v39, v39, v177
	v_add_nc_u32_e32 v177, v135, v40
	v_mbcnt_lo_u32_b32 v205, v39, 0
	v_cmp_ne_u32_e64 s22, 0, v39
	v_cmp_eq_u32_e32 vcc_lo, 0, v205
	s_and_b32 s23, s22, vcc_lo
	s_and_saveexec_b32 s22, s23
	s_cbranch_execz .LBB914_1094
; %bb.1093:                             ;   in Loop: Header=BB914_1032 Depth=2
	s_waitcnt lgkmcnt(0)
	v_bcnt_u32_b32 v39, v39, v204
	ds_write_b32 v177, v39 offset:544
.LBB914_1094:                           ;   in Loop: Header=BB914_1032 Depth=2
	s_or_b32 exec_lo, exec_lo, s22
	v_xor_b32_e32 v203, 0x7fff, v173
	; wave barrier
	v_lshrrev_b32_sdwa v39, s41, v203 dst_sel:DWORD dst_unused:UNUSED_PAD src0_sel:DWORD src1_sel:WORD_0
	v_and_b32_e32 v40, s62, v39
	v_and_b32_e32 v39, 1, v40
	v_lshlrev_b32_e32 v173, 30, v40
	v_lshlrev_b32_e32 v206, 29, v40
	v_lshlrev_b32_e32 v208, 28, v40
	v_lshlrev_b32_e32 v209, 27, v40
	v_add_co_u32 v39, s22, v39, -1
	v_cndmask_b32_e64 v207, 0, 1, s22
	v_not_b32_e32 v211, v173
	v_cmp_gt_i32_e64 s22, 0, v173
	v_not_b32_e32 v173, v206
	v_lshlrev_b32_e32 v210, 26, v40
	v_cmp_ne_u32_e32 vcc_lo, 0, v207
	v_ashrrev_i32_e32 v211, 31, v211
	v_lshlrev_b32_e32 v207, 25, v40
	v_ashrrev_i32_e32 v173, 31, v173
	v_xor_b32_e32 v39, vcc_lo, v39
	v_cmp_gt_i32_e32 vcc_lo, 0, v206
	v_not_b32_e32 v206, v208
	v_xor_b32_e32 v211, s22, v211
	v_cmp_gt_i32_e64 s22, 0, v208
	v_and_b32_e32 v39, exec_lo, v39
	v_not_b32_e32 v208, v209
	v_ashrrev_i32_e32 v206, 31, v206
	v_xor_b32_e32 v173, vcc_lo, v173
	v_cmp_gt_i32_e32 vcc_lo, 0, v209
	v_and_b32_e32 v39, v39, v211
	v_not_b32_e32 v209, v210
	v_ashrrev_i32_e32 v208, 31, v208
	v_xor_b32_e32 v206, s22, v206
	v_cmp_gt_i32_e64 s22, 0, v210
	v_and_b32_e32 v39, v39, v173
	v_not_b32_e32 v173, v207
	v_ashrrev_i32_e32 v209, 31, v209
	v_xor_b32_e32 v208, vcc_lo, v208
	v_cmp_gt_i32_e32 vcc_lo, 0, v207
	v_and_b32_e32 v39, v39, v206
	v_ashrrev_i32_e32 v173, 31, v173
	v_xor_b32_e32 v206, s22, v209
	v_mad_u32_u24 v207, v40, 36, v135
	v_mul_u32_u24_e32 v40, 36, v40
	v_and_b32_e32 v39, v39, v208
	v_xor_b32_e32 v173, vcc_lo, v173
	ds_read_b32 v207, v207 offset:544
	v_and_b32_e32 v39, v39, v206
	; wave barrier
	v_and_b32_e32 v39, v39, v173
	v_add_nc_u32_e32 v173, v135, v40
	;; [unrolled: 63-line block ×3, first 2 shown]
	v_mbcnt_lo_u32_b32 v211, v39, 0
	v_cmp_ne_u32_e64 s22, 0, v39
	v_cmp_eq_u32_e32 vcc_lo, 0, v211
	s_and_b32 s23, s22, vcc_lo
	s_and_saveexec_b32 s22, s23
	s_cbranch_execz .LBB914_1098
; %bb.1097:                             ;   in Loop: Header=BB914_1032 Depth=2
	s_waitcnt lgkmcnt(0)
	v_bcnt_u32_b32 v39, v39, v210
	ds_write_b32 v168, v39 offset:544
.LBB914_1098:                           ;   in Loop: Header=BB914_1032 Depth=2
	s_or_b32 exec_lo, exec_lo, s22
	v_xor_b32_e32 v209, 0x7fff, v42
	; wave barrier
	v_lshrrev_b32_sdwa v39, s41, v209 dst_sel:DWORD dst_unused:UNUSED_PAD src0_sel:DWORD src1_sel:WORD_0
	v_and_b32_e32 v40, s62, v39
	v_and_b32_e32 v39, 1, v40
	v_lshlrev_b32_e32 v42, 30, v40
	v_lshlrev_b32_e32 v212, 29, v40
	;; [unrolled: 1-line block ×4, first 2 shown]
	v_add_co_u32 v39, s22, v39, -1
	v_cndmask_b32_e64 v213, 0, 1, s22
	v_not_b32_e32 v217, v42
	v_cmp_gt_i32_e64 s22, 0, v42
	v_not_b32_e32 v42, v212
	v_lshlrev_b32_e32 v216, 26, v40
	v_cmp_ne_u32_e32 vcc_lo, 0, v213
	v_ashrrev_i32_e32 v217, 31, v217
	v_lshlrev_b32_e32 v213, 25, v40
	v_ashrrev_i32_e32 v42, 31, v42
	v_xor_b32_e32 v39, vcc_lo, v39
	v_cmp_gt_i32_e32 vcc_lo, 0, v212
	v_not_b32_e32 v212, v214
	v_xor_b32_e32 v217, s22, v217
	v_cmp_gt_i32_e64 s22, 0, v214
	v_and_b32_e32 v39, exec_lo, v39
	v_not_b32_e32 v214, v215
	v_ashrrev_i32_e32 v212, 31, v212
	v_xor_b32_e32 v42, vcc_lo, v42
	v_cmp_gt_i32_e32 vcc_lo, 0, v215
	v_and_b32_e32 v39, v39, v217
	v_not_b32_e32 v215, v216
	v_ashrrev_i32_e32 v214, 31, v214
	v_xor_b32_e32 v212, s22, v212
	v_cmp_gt_i32_e64 s22, 0, v216
	v_and_b32_e32 v39, v39, v42
	v_not_b32_e32 v42, v213
	v_ashrrev_i32_e32 v215, 31, v215
	v_xor_b32_e32 v214, vcc_lo, v214
	v_cmp_gt_i32_e32 vcc_lo, 0, v213
	v_and_b32_e32 v39, v39, v212
	v_ashrrev_i32_e32 v42, 31, v42
	v_xor_b32_e32 v212, s22, v215
	v_mad_u32_u24 v213, v40, 36, v135
	v_mul_u32_u24_e32 v40, 36, v40
	v_and_b32_e32 v39, v39, v214
	v_xor_b32_e32 v42, vcc_lo, v42
	ds_read_b32 v213, v213 offset:544
	v_add_nc_u32_e32 v215, v135, v40
	v_and_b32_e32 v39, v39, v212
	; wave barrier
	v_and_b32_e32 v39, v39, v42
	v_mbcnt_lo_u32_b32 v214, v39, 0
	v_cmp_ne_u32_e64 s22, 0, v39
	v_cmp_eq_u32_e32 vcc_lo, 0, v214
	s_and_b32 s23, s22, vcc_lo
	s_and_saveexec_b32 s22, s23
	s_cbranch_execz .LBB914_1100
; %bb.1099:                             ;   in Loop: Header=BB914_1032 Depth=2
	s_waitcnt lgkmcnt(0)
	v_bcnt_u32_b32 v39, v39, v213
	ds_write_b32 v215, v39 offset:544
.LBB914_1100:                           ;   in Loop: Header=BB914_1032 Depth=2
	s_or_b32 exec_lo, exec_lo, s22
	v_xor_b32_e32 v212, 0x7fff, v41
	; wave barrier
	v_lshrrev_b32_sdwa v39, s41, v212 dst_sel:DWORD dst_unused:UNUSED_PAD src0_sel:DWORD src1_sel:WORD_0
	v_and_b32_e32 v40, s62, v39
	v_and_b32_e32 v39, 1, v40
	v_lshlrev_b32_e32 v41, 30, v40
	v_lshlrev_b32_e32 v42, 29, v40
	;; [unrolled: 1-line block ×4, first 2 shown]
	v_add_co_u32 v39, s22, v39, -1
	v_cndmask_b32_e64 v216, 0, 1, s22
	v_not_b32_e32 v220, v41
	v_cmp_gt_i32_e64 s22, 0, v41
	v_not_b32_e32 v41, v42
	v_lshlrev_b32_e32 v219, 26, v40
	v_cmp_ne_u32_e32 vcc_lo, 0, v216
	v_ashrrev_i32_e32 v220, 31, v220
	v_lshlrev_b32_e32 v216, 25, v40
	v_ashrrev_i32_e32 v41, 31, v41
	v_xor_b32_e32 v39, vcc_lo, v39
	v_cmp_gt_i32_e32 vcc_lo, 0, v42
	v_not_b32_e32 v42, v217
	v_xor_b32_e32 v220, s22, v220
	v_cmp_gt_i32_e64 s22, 0, v217
	v_and_b32_e32 v39, exec_lo, v39
	v_not_b32_e32 v217, v218
	v_ashrrev_i32_e32 v42, 31, v42
	v_xor_b32_e32 v41, vcc_lo, v41
	v_cmp_gt_i32_e32 vcc_lo, 0, v218
	v_and_b32_e32 v39, v39, v220
	v_not_b32_e32 v218, v219
	v_ashrrev_i32_e32 v217, 31, v217
	v_xor_b32_e32 v42, s22, v42
	v_cmp_gt_i32_e64 s22, 0, v219
	v_and_b32_e32 v39, v39, v41
	v_not_b32_e32 v41, v216
	v_ashrrev_i32_e32 v218, 31, v218
	v_xor_b32_e32 v217, vcc_lo, v217
	v_cmp_gt_i32_e32 vcc_lo, 0, v216
	v_and_b32_e32 v39, v39, v42
	v_ashrrev_i32_e32 v41, 31, v41
	v_xor_b32_e32 v42, s22, v218
	v_mad_u32_u24 v216, v40, 36, v135
	v_mul_u32_u24_e32 v40, 36, v40
	v_and_b32_e32 v39, v39, v217
	v_xor_b32_e32 v41, vcc_lo, v41
	ds_read_b32 v216, v216 offset:544
	v_add_nc_u32_e32 v218, v135, v40
	v_and_b32_e32 v39, v39, v42
	; wave barrier
	v_and_b32_e32 v39, v39, v41
	v_mbcnt_lo_u32_b32 v217, v39, 0
	v_cmp_ne_u32_e64 s22, 0, v39
	v_cmp_eq_u32_e32 vcc_lo, 0, v217
	s_and_b32 s23, s22, vcc_lo
	s_and_saveexec_b32 s22, s23
	s_cbranch_execz .LBB914_1102
; %bb.1101:                             ;   in Loop: Header=BB914_1032 Depth=2
	s_waitcnt lgkmcnt(0)
	v_bcnt_u32_b32 v39, v39, v216
	ds_write_b32 v218, v39 offset:544
.LBB914_1102:                           ;   in Loop: Header=BB914_1032 Depth=2
	s_or_b32 exec_lo, exec_lo, s22
	v_lshrrev_b32_sdwa v39, s41, v3 dst_sel:DWORD dst_unused:UNUSED_PAD src0_sel:DWORD src1_sel:WORD_0
	; wave barrier
	v_and_b32_e32 v40, s62, v39
	v_and_b32_e32 v39, 1, v40
	v_lshlrev_b32_e32 v41, 30, v40
	v_lshlrev_b32_e32 v42, 29, v40
	;; [unrolled: 1-line block ×4, first 2 shown]
	v_add_co_u32 v39, s22, v39, -1
	v_cndmask_b32_e64 v219, 0, 1, s22
	v_not_b32_e32 v223, v41
	v_cmp_gt_i32_e64 s22, 0, v41
	v_not_b32_e32 v41, v42
	v_lshlrev_b32_e32 v222, 26, v40
	v_cmp_ne_u32_e32 vcc_lo, 0, v219
	v_ashrrev_i32_e32 v223, 31, v223
	v_lshlrev_b32_e32 v219, 25, v40
	v_ashrrev_i32_e32 v41, 31, v41
	v_xor_b32_e32 v39, vcc_lo, v39
	v_cmp_gt_i32_e32 vcc_lo, 0, v42
	v_not_b32_e32 v42, v220
	v_xor_b32_e32 v223, s22, v223
	v_cmp_gt_i32_e64 s22, 0, v220
	v_and_b32_e32 v39, exec_lo, v39
	v_not_b32_e32 v220, v221
	v_ashrrev_i32_e32 v42, 31, v42
	v_xor_b32_e32 v41, vcc_lo, v41
	v_cmp_gt_i32_e32 vcc_lo, 0, v221
	v_and_b32_e32 v39, v39, v223
	v_not_b32_e32 v221, v222
	v_ashrrev_i32_e32 v220, 31, v220
	v_xor_b32_e32 v42, s22, v42
	v_cmp_gt_i32_e64 s22, 0, v222
	v_and_b32_e32 v39, v39, v41
	v_not_b32_e32 v41, v219
	v_ashrrev_i32_e32 v221, 31, v221
	v_xor_b32_e32 v220, vcc_lo, v220
	v_cmp_gt_i32_e32 vcc_lo, 0, v219
	v_and_b32_e32 v39, v39, v42
	v_ashrrev_i32_e32 v41, 31, v41
	v_xor_b32_e32 v42, s22, v221
	v_mad_u32_u24 v219, v40, 36, v135
	v_mul_u32_u24_e32 v40, 36, v40
	v_and_b32_e32 v39, v39, v220
	v_xor_b32_e32 v41, vcc_lo, v41
	ds_read_b32 v219, v219 offset:544
	v_add_nc_u32_e32 v221, v135, v40
	v_and_b32_e32 v39, v39, v42
	; wave barrier
	v_and_b32_e32 v39, v39, v41
	v_mbcnt_lo_u32_b32 v220, v39, 0
	v_cmp_ne_u32_e64 s22, 0, v39
	v_cmp_eq_u32_e32 vcc_lo, 0, v220
	s_and_b32 s23, s22, vcc_lo
	s_and_saveexec_b32 s22, s23
	s_cbranch_execz .LBB914_1104
; %bb.1103:                             ;   in Loop: Header=BB914_1032 Depth=2
	s_waitcnt lgkmcnt(0)
	v_bcnt_u32_b32 v39, v39, v219
	ds_write_b32 v221, v39 offset:544
.LBB914_1104:                           ;   in Loop: Header=BB914_1032 Depth=2
	s_or_b32 exec_lo, exec_lo, s22
	; wave barrier
	s_waitcnt lgkmcnt(0)
	s_barrier
	buffer_gl0_inv
	ds_read2_b32 v[41:42], v68 offset0:136 offset1:137
	ds_read2_b32 v[39:40], v68 offset0:138 offset1:139
	ds_read_b32 v222, v68 offset:560
	s_waitcnt lgkmcnt(1)
	v_add3_u32 v223, v42, v41, v39
	s_waitcnt lgkmcnt(0)
	v_add3_u32 v222, v223, v40, v222
	v_mov_b32_dpp v223, v222 row_shr:1 row_mask:0xf bank_mask:0xf
	v_cndmask_b32_e64 v223, v223, 0, s5
	v_add_nc_u32_e32 v222, v223, v222
	v_mov_b32_dpp v223, v222 row_shr:2 row_mask:0xf bank_mask:0xf
	v_cndmask_b32_e64 v223, 0, v223, s15
	v_add_nc_u32_e32 v222, v222, v223
	;; [unrolled: 3-line block ×4, first 2 shown]
	ds_swizzle_b32 v223, v222 offset:swizzle(BROADCAST,32,15)
	s_waitcnt lgkmcnt(0)
	v_cndmask_b32_e64 v223, v223, 0, s18
	v_add_nc_u32_e32 v222, v222, v223
	s_and_saveexec_b32 s22, s4
; %bb.1105:                             ;   in Loop: Header=BB914_1032 Depth=2
	ds_write_b32 v62, v222 offset:512
; %bb.1106:                             ;   in Loop: Header=BB914_1032 Depth=2
	s_or_b32 exec_lo, exec_lo, s22
	s_waitcnt lgkmcnt(0)
	s_barrier
	buffer_gl0_inv
	s_and_saveexec_b32 s22, s11
	s_cbranch_execz .LBB914_1108
; %bb.1107:                             ;   in Loop: Header=BB914_1032 Depth=2
	ds_read_b32 v223, v69 offset:512
	s_waitcnt lgkmcnt(0)
	v_mov_b32_dpp v224, v223 row_shr:1 row_mask:0xf bank_mask:0xf
	v_cndmask_b32_e64 v224, v224, 0, s19
	v_add_nc_u32_e32 v223, v224, v223
	v_mov_b32_dpp v224, v223 row_shr:2 row_mask:0xf bank_mask:0xf
	v_cndmask_b32_e64 v224, 0, v224, s20
	v_add_nc_u32_e32 v223, v223, v224
	;; [unrolled: 3-line block ×3, first 2 shown]
	ds_write_b32 v69, v223 offset:512
.LBB914_1108:                           ;   in Loop: Header=BB914_1032 Depth=2
	s_or_b32 exec_lo, exec_lo, s22
	v_mov_b32_e32 v223, 0
	s_waitcnt lgkmcnt(0)
	s_barrier
	buffer_gl0_inv
	s_and_saveexec_b32 s22, s10
; %bb.1109:                             ;   in Loop: Header=BB914_1032 Depth=2
	ds_read_b32 v223, v62 offset:508
; %bb.1110:                             ;   in Loop: Header=BB914_1032 Depth=2
	s_or_b32 exec_lo, exec_lo, s22
	s_waitcnt lgkmcnt(0)
	v_add_nc_u32_e32 v222, v223, v222
	ds_bpermute_b32 v222, v125, v222
	s_waitcnt lgkmcnt(0)
	v_cndmask_b32_e64 v222, v222, v223, s14
	v_cndmask_b32_e64 v222, v222, 0, s12
	v_add_nc_u32_e32 v41, v222, v41
	v_add_nc_u32_e32 v42, v41, v42
	;; [unrolled: 1-line block ×4, first 2 shown]
	ds_write2_b32 v68, v222, v41 offset0:136 offset1:137
	ds_write2_b32 v68, v42, v39 offset0:138 offset1:139
	ds_write_b32 v68, v40 offset:560
	s_waitcnt lgkmcnt(0)
	s_barrier
	buffer_gl0_inv
	ds_read_b32 v41, v159 offset:544
	ds_read_b32 v42, v163 offset:544
	;; [unrolled: 1-line block ×17, first 2 shown]
	s_and_saveexec_b32 s22, s7
	s_cbranch_execz .LBB914_1114
; %bb.1111:                             ;   in Loop: Header=BB914_1032 Depth=2
	ds_read_b32 v151, v71 offset:544
	v_mov_b32_e32 v154, 0x1100
	s_and_saveexec_b32 s23, s13
; %bb.1112:                             ;   in Loop: Header=BB914_1032 Depth=2
	ds_read_b32 v154, v70 offset:544
; %bb.1113:                             ;   in Loop: Header=BB914_1032 Depth=2
	s_or_b32 exec_lo, exec_lo, s23
	s_waitcnt lgkmcnt(0)
	v_sub_nc_u32_e32 v154, v154, v151
.LBB914_1114:                           ;   in Loop: Header=BB914_1032 Depth=2
	s_or_b32 exec_lo, exec_lo, s22
	s_waitcnt lgkmcnt(0)
	s_barrier
	buffer_gl0_inv
	s_and_saveexec_b32 s22, s7
	s_cbranch_execz .LBB914_1116
; %bb.1115:                             ;   in Loop: Header=BB914_1032 Depth=2
	ds_read_b32 v168, v43
	s_waitcnt lgkmcnt(0)
	v_sub_nc_u32_e32 v168, v168, v151
	ds_write_b32 v43, v168
.LBB914_1116:                           ;   in Loop: Header=BB914_1032 Depth=2
	s_or_b32 exec_lo, exec_lo, s22
	v_add_nc_u32_e32 v178, v41, v158
	v_add3_u32 v177, v162, v161, v42
	v_add3_u32 v173, v166, v165, v163
	;; [unrolled: 1-line block ×5, first 2 shown]
	v_lshlrev_b32_e32 v175, 1, v178
	v_lshlrev_b32_e32 v176, 1, v177
	v_add3_u32 v161, v217, v216, v39
	v_lshlrev_b32_e32 v39, 1, v173
	v_add3_u32 v170, v181, v180, v183
	v_add3_u32 v167, v191, v190, v192
	v_add3_u32 v166, v194, v193, v195
	v_add3_u32 v158, v220, v219, v40
	ds_write_b16 v175, v156 offset:512
	ds_write_b16 v176, v157 offset:512
	v_lshlrev_b32_e32 v40, 1, v172
	ds_write_b16 v39, v160 offset:512
	v_lshlrev_b32_e32 v39, 1, v168
	v_add3_u32 v165, v197, v196, v198
	v_lshlrev_b32_e32 v156, 1, v171
	v_add3_u32 v163, v201, v200, v202
	;; [unrolled: 2-line block ×3, first 2 shown]
	v_add3_u32 v42, v208, v207, v224
	ds_write_b16 v40, v164 offset:512
	ds_write_b16 v156, v169 offset:512
	;; [unrolled: 1-line block ×3, first 2 shown]
	v_lshlrev_b32_e32 v40, 1, v167
	ds_write_b16 v39, v179 offset:512
	v_lshlrev_b32_e32 v39, 1, v166
	v_lshlrev_b32_e32 v156, 1, v165
	;; [unrolled: 1-line block ×3, first 2 shown]
	v_add3_u32 v41, v211, v210, v225
	ds_write_b16 v40, v184 offset:512
	v_lshlrev_b32_e32 v40, 1, v162
	ds_write_b16 v39, v189 offset:512
	ds_write_b16 v156, v187 offset:512
	;; [unrolled: 1-line block ×3, first 2 shown]
	v_lshlrev_b32_e32 v39, 1, v42
	v_add3_u32 v159, v214, v213, v159
	v_cmp_lt_u32_e32 vcc_lo, v0, v155
	ds_write_b16 v40, v199 offset:512
	v_lshlrev_b32_e32 v40, 1, v41
	ds_write_b16 v39, v203 offset:512
	v_lshlrev_b32_e32 v39, 1, v158
	v_lshlrev_b32_e32 v156, 1, v159
	;; [unrolled: 1-line block ×3, first 2 shown]
	ds_write_b16 v40, v206 offset:512
	ds_write_b16 v156, v209 offset:512
	;; [unrolled: 1-line block ×4, first 2 shown]
	s_waitcnt lgkmcnt(0)
	s_barrier
	buffer_gl0_inv
	s_and_saveexec_b32 s23, vcc_lo
	s_cbranch_execnz .LBB914_1189
; %bb.1117:                             ;   in Loop: Header=BB914_1032 Depth=2
	s_or_b32 exec_lo, exec_lo, s23
	v_cmp_lt_u32_e64 s22, v44, v155
	s_and_saveexec_b32 s24, s22
	s_cbranch_execnz .LBB914_1190
.LBB914_1118:                           ;   in Loop: Header=BB914_1032 Depth=2
	s_or_b32 exec_lo, exec_lo, s24
	v_cmp_lt_u32_e64 s23, v47, v155
	s_and_saveexec_b32 s25, s23
	s_cbranch_execnz .LBB914_1191
.LBB914_1119:                           ;   in Loop: Header=BB914_1032 Depth=2
	s_or_b32 exec_lo, exec_lo, s25
	v_cmp_lt_u32_e64 s24, v48, v155
	s_and_saveexec_b32 s26, s24
	s_cbranch_execnz .LBB914_1192
.LBB914_1120:                           ;   in Loop: Header=BB914_1032 Depth=2
	s_or_b32 exec_lo, exec_lo, s26
	v_cmp_lt_u32_e64 s25, v49, v155
	s_and_saveexec_b32 s27, s25
	s_cbranch_execnz .LBB914_1193
.LBB914_1121:                           ;   in Loop: Header=BB914_1032 Depth=2
	s_or_b32 exec_lo, exec_lo, s27
	v_cmp_lt_u32_e64 s26, v50, v155
	s_and_saveexec_b32 s29, s26
	s_cbranch_execnz .LBB914_1194
.LBB914_1122:                           ;   in Loop: Header=BB914_1032 Depth=2
	s_or_b32 exec_lo, exec_lo, s29
	v_cmp_lt_u32_e64 s27, v51, v155
	s_and_saveexec_b32 s30, s27
	s_cbranch_execnz .LBB914_1195
.LBB914_1123:                           ;   in Loop: Header=BB914_1032 Depth=2
	s_or_b32 exec_lo, exec_lo, s30
	v_cmp_lt_u32_e64 s29, v52, v155
	s_and_saveexec_b32 s31, s29
	s_cbranch_execnz .LBB914_1196
.LBB914_1124:                           ;   in Loop: Header=BB914_1032 Depth=2
	s_or_b32 exec_lo, exec_lo, s31
	v_cmp_lt_u32_e64 s30, v53, v155
	s_and_saveexec_b32 s33, s30
	s_cbranch_execnz .LBB914_1197
.LBB914_1125:                           ;   in Loop: Header=BB914_1032 Depth=2
	s_or_b32 exec_lo, exec_lo, s33
	v_cmp_lt_u32_e64 s31, v54, v155
	s_and_saveexec_b32 s34, s31
	s_cbranch_execnz .LBB914_1198
.LBB914_1126:                           ;   in Loop: Header=BB914_1032 Depth=2
	s_or_b32 exec_lo, exec_lo, s34
	v_cmp_lt_u32_e64 s33, v55, v155
	s_and_saveexec_b32 s35, s33
	s_cbranch_execnz .LBB914_1199
.LBB914_1127:                           ;   in Loop: Header=BB914_1032 Depth=2
	s_or_b32 exec_lo, exec_lo, s35
	v_cmp_lt_u32_e64 s34, v56, v155
	s_and_saveexec_b32 s36, s34
	s_cbranch_execnz .LBB914_1200
.LBB914_1128:                           ;   in Loop: Header=BB914_1032 Depth=2
	s_or_b32 exec_lo, exec_lo, s36
	v_cmp_lt_u32_e64 s35, v57, v155
	s_and_saveexec_b32 s37, s35
	s_cbranch_execnz .LBB914_1201
.LBB914_1129:                           ;   in Loop: Header=BB914_1032 Depth=2
	s_or_b32 exec_lo, exec_lo, s37
	v_cmp_lt_u32_e64 s36, v58, v155
	s_and_saveexec_b32 s38, s36
	s_cbranch_execnz .LBB914_1202
.LBB914_1130:                           ;   in Loop: Header=BB914_1032 Depth=2
	s_or_b32 exec_lo, exec_lo, s38
	v_cmp_lt_u32_e64 s37, v59, v155
	s_and_saveexec_b32 s39, s37
	s_cbranch_execnz .LBB914_1203
.LBB914_1131:                           ;   in Loop: Header=BB914_1032 Depth=2
	s_or_b32 exec_lo, exec_lo, s39
	v_cmp_lt_u32_e64 s38, v60, v155
	s_and_saveexec_b32 s40, s38
	s_cbranch_execnz .LBB914_1204
.LBB914_1132:                           ;   in Loop: Header=BB914_1032 Depth=2
	s_or_b32 exec_lo, exec_lo, s40
	v_cmp_lt_u32_e64 s39, v61, v155
	s_and_saveexec_b32 s65, s39
	s_cbranch_execz .LBB914_1134
.LBB914_1133:                           ;   in Loop: Header=BB914_1032 Depth=2
	ds_read_u16 v156, v74 offset:8704
	s_waitcnt lgkmcnt(0)
	v_lshrrev_b32_sdwa v3, s41, v156 dst_sel:DWORD dst_unused:UNUSED_PAD src0_sel:DWORD src1_sel:WORD_0
	v_and_b32_e32 v3, s62, v3
	v_lshlrev_b32_e32 v3, 2, v3
	ds_read_b32 v3, v3
	s_waitcnt lgkmcnt(0)
	v_add_nc_u32_e32 v3, v3, v61
	v_lshlrev_b64 v[39:40], 1, v[3:4]
	v_xor_b32_e32 v3, 0x7fff, v156
	v_add_co_u32 v39, s40, s48, v39
	v_add_co_ci_u32_e64 v40, null, s49, v40, s40
	global_store_short v[39:40], v3, off
.LBB914_1134:                           ;   in Loop: Header=BB914_1032 Depth=2
	s_or_b32 exec_lo, exec_lo, s65
	s_lshl_b64 s[66:67], s[50:51], 3
	v_add_co_u32 v39, s40, v126, s66
	v_add_co_ci_u32_e64 v40, null, s67, v127, s40
	v_cmp_lt_u32_e64 s40, v94, v155
	s_and_saveexec_b32 s50, s40
	s_xor_b32 s40, exec_lo, s50
	s_cbranch_execnz .LBB914_1205
; %bb.1135:                             ;   in Loop: Header=BB914_1032 Depth=2
	s_or_b32 exec_lo, exec_lo, s40
	s_mov_b32 s50, exec_lo
	v_cmpx_lt_u32_e64 v98, v155
	s_cbranch_execnz .LBB914_1206
.LBB914_1136:                           ;   in Loop: Header=BB914_1032 Depth=2
	s_or_b32 exec_lo, exec_lo, s50
	s_mov_b32 s50, exec_lo
	v_cmpx_lt_u32_e64 v99, v155
	s_cbranch_execnz .LBB914_1207
.LBB914_1137:                           ;   in Loop: Header=BB914_1032 Depth=2
	s_or_b32 exec_lo, exec_lo, s50
	s_mov_b32 s50, exec_lo
	v_cmpx_lt_u32_e64 v100, v155
	s_cbranch_execnz .LBB914_1208
.LBB914_1138:                           ;   in Loop: Header=BB914_1032 Depth=2
	s_or_b32 exec_lo, exec_lo, s50
	s_mov_b32 s50, exec_lo
	v_cmpx_lt_u32_e64 v101, v155
	s_cbranch_execnz .LBB914_1209
.LBB914_1139:                           ;   in Loop: Header=BB914_1032 Depth=2
	s_or_b32 exec_lo, exec_lo, s50
	s_mov_b32 s50, exec_lo
	v_cmpx_lt_u32_e64 v102, v155
	s_cbranch_execnz .LBB914_1210
.LBB914_1140:                           ;   in Loop: Header=BB914_1032 Depth=2
	s_or_b32 exec_lo, exec_lo, s50
	s_mov_b32 s50, exec_lo
	v_cmpx_lt_u32_e64 v103, v155
	s_cbranch_execnz .LBB914_1211
.LBB914_1141:                           ;   in Loop: Header=BB914_1032 Depth=2
	s_or_b32 exec_lo, exec_lo, s50
	s_mov_b32 s50, exec_lo
	v_cmpx_lt_u32_e64 v104, v155
	s_cbranch_execnz .LBB914_1212
.LBB914_1142:                           ;   in Loop: Header=BB914_1032 Depth=2
	s_or_b32 exec_lo, exec_lo, s50
	s_mov_b32 s50, exec_lo
	v_cmpx_lt_u32_e64 v105, v155
	s_cbranch_execnz .LBB914_1213
.LBB914_1143:                           ;   in Loop: Header=BB914_1032 Depth=2
	s_or_b32 exec_lo, exec_lo, s50
	s_mov_b32 s50, exec_lo
	v_cmpx_lt_u32_e64 v106, v155
	s_cbranch_execnz .LBB914_1214
.LBB914_1144:                           ;   in Loop: Header=BB914_1032 Depth=2
	s_or_b32 exec_lo, exec_lo, s50
	s_mov_b32 s50, exec_lo
	v_cmpx_lt_u32_e64 v107, v155
	s_cbranch_execnz .LBB914_1215
.LBB914_1145:                           ;   in Loop: Header=BB914_1032 Depth=2
	s_or_b32 exec_lo, exec_lo, s50
	s_mov_b32 s50, exec_lo
	v_cmpx_lt_u32_e64 v108, v155
	s_cbranch_execnz .LBB914_1216
.LBB914_1146:                           ;   in Loop: Header=BB914_1032 Depth=2
	s_or_b32 exec_lo, exec_lo, s50
	s_mov_b32 s50, exec_lo
	v_cmpx_lt_u32_e64 v128, v155
	s_cbranch_execnz .LBB914_1217
.LBB914_1147:                           ;   in Loop: Header=BB914_1032 Depth=2
	s_or_b32 exec_lo, exec_lo, s50
	s_mov_b32 s50, exec_lo
	v_cmpx_lt_u32_e64 v129, v155
	s_cbranch_execnz .LBB914_1218
.LBB914_1148:                           ;   in Loop: Header=BB914_1032 Depth=2
	s_or_b32 exec_lo, exec_lo, s50
	s_mov_b32 s50, exec_lo
	v_cmpx_lt_u32_e64 v130, v155
	s_cbranch_execnz .LBB914_1219
.LBB914_1149:                           ;   in Loop: Header=BB914_1032 Depth=2
	s_or_b32 exec_lo, exec_lo, s50
	s_mov_b32 s50, exec_lo
	v_cmpx_lt_u32_e64 v131, v155
	s_cbranch_execnz .LBB914_1220
.LBB914_1150:                           ;   in Loop: Header=BB914_1032 Depth=2
	s_or_b32 exec_lo, exec_lo, s50
	s_mov_b32 s50, exec_lo
	v_cmpx_lt_u32_e64 v132, v155
	s_cbranch_execnz .LBB914_1221
.LBB914_1151:                           ;   in Loop: Header=BB914_1032 Depth=2
	s_or_b32 exec_lo, exec_lo, s50
	s_and_saveexec_b32 s40, vcc_lo
	s_cbranch_execnz .LBB914_1222
.LBB914_1152:                           ;   in Loop: Header=BB914_1032 Depth=2
	s_or_b32 exec_lo, exec_lo, s40
	s_and_saveexec_b32 s40, s22
	s_cbranch_execnz .LBB914_1223
.LBB914_1153:                           ;   in Loop: Header=BB914_1032 Depth=2
	s_or_b32 exec_lo, exec_lo, s40
	s_and_saveexec_b32 s40, s23
	s_cbranch_execnz .LBB914_1224
.LBB914_1154:                           ;   in Loop: Header=BB914_1032 Depth=2
	s_or_b32 exec_lo, exec_lo, s40
	s_and_saveexec_b32 s40, s24
	s_cbranch_execnz .LBB914_1225
.LBB914_1155:                           ;   in Loop: Header=BB914_1032 Depth=2
	s_or_b32 exec_lo, exec_lo, s40
	s_and_saveexec_b32 s40, s25
	s_cbranch_execnz .LBB914_1226
.LBB914_1156:                           ;   in Loop: Header=BB914_1032 Depth=2
	s_or_b32 exec_lo, exec_lo, s40
	s_and_saveexec_b32 s40, s26
	s_cbranch_execnz .LBB914_1227
.LBB914_1157:                           ;   in Loop: Header=BB914_1032 Depth=2
	s_or_b32 exec_lo, exec_lo, s40
	s_and_saveexec_b32 s40, s27
	s_cbranch_execnz .LBB914_1228
.LBB914_1158:                           ;   in Loop: Header=BB914_1032 Depth=2
	s_or_b32 exec_lo, exec_lo, s40
	s_and_saveexec_b32 s40, s29
	s_cbranch_execnz .LBB914_1229
.LBB914_1159:                           ;   in Loop: Header=BB914_1032 Depth=2
	s_or_b32 exec_lo, exec_lo, s40
	s_and_saveexec_b32 s40, s30
	s_cbranch_execnz .LBB914_1230
.LBB914_1160:                           ;   in Loop: Header=BB914_1032 Depth=2
	s_or_b32 exec_lo, exec_lo, s40
	s_and_saveexec_b32 s40, s31
	s_cbranch_execnz .LBB914_1231
.LBB914_1161:                           ;   in Loop: Header=BB914_1032 Depth=2
	s_or_b32 exec_lo, exec_lo, s40
	s_and_saveexec_b32 s40, s33
	s_cbranch_execnz .LBB914_1232
.LBB914_1162:                           ;   in Loop: Header=BB914_1032 Depth=2
	s_or_b32 exec_lo, exec_lo, s40
	s_and_saveexec_b32 s40, s34
	s_cbranch_execnz .LBB914_1233
.LBB914_1163:                           ;   in Loop: Header=BB914_1032 Depth=2
	s_or_b32 exec_lo, exec_lo, s40
	s_and_saveexec_b32 s40, s35
	s_cbranch_execnz .LBB914_1234
.LBB914_1164:                           ;   in Loop: Header=BB914_1032 Depth=2
	s_or_b32 exec_lo, exec_lo, s40
	s_and_saveexec_b32 s40, s36
	s_cbranch_execnz .LBB914_1235
.LBB914_1165:                           ;   in Loop: Header=BB914_1032 Depth=2
	s_or_b32 exec_lo, exec_lo, s40
	s_and_saveexec_b32 s40, s37
	s_cbranch_execnz .LBB914_1236
.LBB914_1166:                           ;   in Loop: Header=BB914_1032 Depth=2
	s_or_b32 exec_lo, exec_lo, s40
	s_and_saveexec_b32 s40, s38
	s_cbranch_execnz .LBB914_1237
.LBB914_1167:                           ;   in Loop: Header=BB914_1032 Depth=2
	s_or_b32 exec_lo, exec_lo, s40
	s_and_saveexec_b32 s40, s39
	s_cbranch_execz .LBB914_1169
.LBB914_1168:                           ;   in Loop: Header=BB914_1032 Depth=2
	ds_read_u16 v3, v74 offset:8704
	s_waitcnt lgkmcnt(0)
	v_lshrrev_b32_e32 v3, s41, v3
	v_and_b32_e32 v136, s62, v3
.LBB914_1169:                           ;   in Loop: Header=BB914_1032 Depth=2
	s_or_b32 exec_lo, exec_lo, s40
	v_lshlrev_b32_e32 v3, 3, v178
	v_lshlrev_b32_e32 v39, 3, v177
	s_waitcnt vmcnt(0)
	s_waitcnt_vscnt null, 0x0
	s_barrier
	buffer_gl0_inv
	ds_write_b64 v3, v[37:38] offset:512
	v_lshlrev_b32_e32 v3, 3, v173
	ds_write_b64 v39, v[35:36] offset:512
	v_lshlrev_b32_e32 v39, 3, v172
	v_lshlrev_b32_e32 v40, 3, v171
	;; [unrolled: 1-line block ×3, first 2 shown]
	ds_write_b64 v3, v[33:34] offset:512
	v_lshlrev_b32_e32 v3, 3, v168
	ds_write_b64 v39, v[31:32] offset:512
	ds_write_b64 v40, v[29:30] offset:512
	;; [unrolled: 1-line block ×3, first 2 shown]
	v_lshlrev_b32_e32 v39, 3, v167
	v_lshlrev_b32_e32 v40, 3, v165
	;; [unrolled: 1-line block ×3, first 2 shown]
	ds_write_b64 v3, v[21:22] offset:512
	v_lshlrev_b32_e32 v3, 3, v166
	ds_write_b64 v39, v[17:18] offset:512
	v_lshlrev_b32_e32 v39, 3, v162
	ds_write_b64 v3, v[27:28] offset:512
	ds_write_b64 v40, v[23:24] offset:512
	;; [unrolled: 1-line block ×3, first 2 shown]
	v_lshlrev_b32_e32 v3, 3, v42
	ds_write_b64 v39, v[15:16] offset:512
	v_lshlrev_b32_e32 v39, 3, v41
	v_lshlrev_b32_e32 v40, 3, v159
	;; [unrolled: 1-line block ×3, first 2 shown]
	ds_write_b64 v3, v[13:14] offset:512
	v_lshlrev_b32_e32 v3, 3, v158
	ds_write_b64 v39, v[11:12] offset:512
	ds_write_b64 v40, v[9:10] offset:512
	;; [unrolled: 1-line block ×3, first 2 shown]
	v_add_nc_u32_e32 v39, v74, v75
	ds_write_b64 v3, v[5:6] offset:512
	s_waitcnt lgkmcnt(0)
	s_barrier
	buffer_gl0_inv
	s_and_saveexec_b32 s40, vcc_lo
	s_cbranch_execnz .LBB914_1238
; %bb.1170:                             ;   in Loop: Header=BB914_1032 Depth=2
	s_or_b32 exec_lo, exec_lo, s40
	s_and_saveexec_b32 s40, s22
	s_cbranch_execnz .LBB914_1239
.LBB914_1171:                           ;   in Loop: Header=BB914_1032 Depth=2
	s_or_b32 exec_lo, exec_lo, s40
	s_and_saveexec_b32 s22, s23
	s_cbranch_execnz .LBB914_1240
.LBB914_1172:                           ;   in Loop: Header=BB914_1032 Depth=2
	s_or_b32 exec_lo, exec_lo, s22
	s_and_saveexec_b32 s22, s24
	s_cbranch_execnz .LBB914_1241
.LBB914_1173:                           ;   in Loop: Header=BB914_1032 Depth=2
	s_or_b32 exec_lo, exec_lo, s22
	s_and_saveexec_b32 s22, s25
	s_cbranch_execnz .LBB914_1242
.LBB914_1174:                           ;   in Loop: Header=BB914_1032 Depth=2
	s_or_b32 exec_lo, exec_lo, s22
	s_and_saveexec_b32 s22, s26
	s_cbranch_execnz .LBB914_1243
.LBB914_1175:                           ;   in Loop: Header=BB914_1032 Depth=2
	s_or_b32 exec_lo, exec_lo, s22
	s_and_saveexec_b32 s22, s27
	s_cbranch_execnz .LBB914_1244
.LBB914_1176:                           ;   in Loop: Header=BB914_1032 Depth=2
	s_or_b32 exec_lo, exec_lo, s22
	s_and_saveexec_b32 s22, s29
	s_cbranch_execnz .LBB914_1245
.LBB914_1177:                           ;   in Loop: Header=BB914_1032 Depth=2
	s_or_b32 exec_lo, exec_lo, s22
	s_and_saveexec_b32 s22, s30
	s_cbranch_execnz .LBB914_1246
.LBB914_1178:                           ;   in Loop: Header=BB914_1032 Depth=2
	s_or_b32 exec_lo, exec_lo, s22
	s_and_saveexec_b32 s22, s31
	s_cbranch_execnz .LBB914_1247
.LBB914_1179:                           ;   in Loop: Header=BB914_1032 Depth=2
	s_or_b32 exec_lo, exec_lo, s22
	s_and_saveexec_b32 s22, s33
	s_cbranch_execnz .LBB914_1248
.LBB914_1180:                           ;   in Loop: Header=BB914_1032 Depth=2
	s_or_b32 exec_lo, exec_lo, s22
	s_and_saveexec_b32 s22, s34
	s_cbranch_execnz .LBB914_1249
.LBB914_1181:                           ;   in Loop: Header=BB914_1032 Depth=2
	s_or_b32 exec_lo, exec_lo, s22
	s_and_saveexec_b32 s22, s35
	s_cbranch_execnz .LBB914_1250
.LBB914_1182:                           ;   in Loop: Header=BB914_1032 Depth=2
	s_or_b32 exec_lo, exec_lo, s22
	s_and_saveexec_b32 s22, s36
	s_cbranch_execnz .LBB914_1251
.LBB914_1183:                           ;   in Loop: Header=BB914_1032 Depth=2
	s_or_b32 exec_lo, exec_lo, s22
	s_and_saveexec_b32 s22, s37
	s_cbranch_execnz .LBB914_1252
.LBB914_1184:                           ;   in Loop: Header=BB914_1032 Depth=2
	s_or_b32 exec_lo, exec_lo, s22
	s_and_saveexec_b32 s22, s38
	s_cbranch_execnz .LBB914_1253
.LBB914_1185:                           ;   in Loop: Header=BB914_1032 Depth=2
	s_or_b32 exec_lo, exec_lo, s22
	s_and_saveexec_b32 s22, s39
	s_cbranch_execz .LBB914_1187
.LBB914_1186:                           ;   in Loop: Header=BB914_1032 Depth=2
	v_lshlrev_b32_e32 v3, 2, v136
	ds_read_b32 v3, v3
	ds_read_b64 v[39:40], v39 offset:33280
	s_waitcnt lgkmcnt(1)
	v_add_nc_u32_e32 v3, v3, v61
	v_lshlrev_b64 v[41:42], 3, v[3:4]
	v_add_co_u32 v41, vcc_lo, s54, v41
	v_add_co_ci_u32_e64 v42, null, s55, v42, vcc_lo
	s_waitcnt lgkmcnt(0)
	global_store_dwordx2 v[41:42], v[39:40], off
.LBB914_1187:                           ;   in Loop: Header=BB914_1032 Depth=2
	s_or_b32 exec_lo, exec_lo, s22
	s_waitcnt_vscnt null, 0x0
	s_barrier
	buffer_gl0_inv
	s_and_saveexec_b32 s22, s7
	s_cbranch_execz .LBB914_1031
; %bb.1188:                             ;   in Loop: Header=BB914_1032 Depth=2
	ds_read_b32 v3, v43
	s_waitcnt lgkmcnt(0)
	v_add3_u32 v3, v151, v154, v3
	ds_write_b32 v43, v3
	s_branch .LBB914_1031
.LBB914_1189:                           ;   in Loop: Header=BB914_1032 Depth=2
	ds_read_u16 v156, v74 offset:512
	s_waitcnt lgkmcnt(0)
	v_lshrrev_b32_sdwa v3, s41, v156 dst_sel:DWORD dst_unused:UNUSED_PAD src0_sel:DWORD src1_sel:WORD_0
	v_and_b32_e32 v3, s62, v3
	v_lshlrev_b32_e32 v3, 2, v3
	ds_read_b32 v3, v3
	s_waitcnt lgkmcnt(0)
	v_add_nc_u32_e32 v3, v3, v0
	v_lshlrev_b64 v[39:40], 1, v[3:4]
	v_xor_b32_e32 v3, 0x7fff, v156
	v_add_co_u32 v39, s22, s48, v39
	v_add_co_ci_u32_e64 v40, null, s49, v40, s22
	global_store_short v[39:40], v3, off
	s_or_b32 exec_lo, exec_lo, s23
	v_cmp_lt_u32_e64 s22, v44, v155
	s_and_saveexec_b32 s24, s22
	s_cbranch_execz .LBB914_1118
.LBB914_1190:                           ;   in Loop: Header=BB914_1032 Depth=2
	ds_read_u16 v156, v74 offset:1024
	s_waitcnt lgkmcnt(0)
	v_lshrrev_b32_sdwa v3, s41, v156 dst_sel:DWORD dst_unused:UNUSED_PAD src0_sel:DWORD src1_sel:WORD_0
	v_and_b32_e32 v3, s62, v3
	v_lshlrev_b32_e32 v3, 2, v3
	ds_read_b32 v3, v3
	s_waitcnt lgkmcnt(0)
	v_add_nc_u32_e32 v3, v3, v44
	v_lshlrev_b64 v[39:40], 1, v[3:4]
	v_xor_b32_e32 v3, 0x7fff, v156
	v_add_co_u32 v39, s23, s48, v39
	v_add_co_ci_u32_e64 v40, null, s49, v40, s23
	global_store_short v[39:40], v3, off
	s_or_b32 exec_lo, exec_lo, s24
	v_cmp_lt_u32_e64 s23, v47, v155
	s_and_saveexec_b32 s25, s23
	s_cbranch_execz .LBB914_1119
.LBB914_1191:                           ;   in Loop: Header=BB914_1032 Depth=2
	ds_read_u16 v156, v74 offset:1536
	s_waitcnt lgkmcnt(0)
	v_lshrrev_b32_sdwa v3, s41, v156 dst_sel:DWORD dst_unused:UNUSED_PAD src0_sel:DWORD src1_sel:WORD_0
	v_and_b32_e32 v3, s62, v3
	v_lshlrev_b32_e32 v3, 2, v3
	ds_read_b32 v3, v3
	s_waitcnt lgkmcnt(0)
	v_add_nc_u32_e32 v3, v3, v47
	v_lshlrev_b64 v[39:40], 1, v[3:4]
	v_xor_b32_e32 v3, 0x7fff, v156
	v_add_co_u32 v39, s24, s48, v39
	v_add_co_ci_u32_e64 v40, null, s49, v40, s24
	global_store_short v[39:40], v3, off
	s_or_b32 exec_lo, exec_lo, s25
	v_cmp_lt_u32_e64 s24, v48, v155
	s_and_saveexec_b32 s26, s24
	s_cbranch_execz .LBB914_1120
.LBB914_1192:                           ;   in Loop: Header=BB914_1032 Depth=2
	ds_read_u16 v156, v74 offset:2048
	s_waitcnt lgkmcnt(0)
	v_lshrrev_b32_sdwa v3, s41, v156 dst_sel:DWORD dst_unused:UNUSED_PAD src0_sel:DWORD src1_sel:WORD_0
	v_and_b32_e32 v3, s62, v3
	v_lshlrev_b32_e32 v3, 2, v3
	ds_read_b32 v3, v3
	s_waitcnt lgkmcnt(0)
	v_add_nc_u32_e32 v3, v3, v48
	v_lshlrev_b64 v[39:40], 1, v[3:4]
	v_xor_b32_e32 v3, 0x7fff, v156
	v_add_co_u32 v39, s25, s48, v39
	v_add_co_ci_u32_e64 v40, null, s49, v40, s25
	global_store_short v[39:40], v3, off
	s_or_b32 exec_lo, exec_lo, s26
	v_cmp_lt_u32_e64 s25, v49, v155
	s_and_saveexec_b32 s27, s25
	s_cbranch_execz .LBB914_1121
.LBB914_1193:                           ;   in Loop: Header=BB914_1032 Depth=2
	ds_read_u16 v156, v74 offset:2560
	s_waitcnt lgkmcnt(0)
	v_lshrrev_b32_sdwa v3, s41, v156 dst_sel:DWORD dst_unused:UNUSED_PAD src0_sel:DWORD src1_sel:WORD_0
	v_and_b32_e32 v3, s62, v3
	v_lshlrev_b32_e32 v3, 2, v3
	ds_read_b32 v3, v3
	s_waitcnt lgkmcnt(0)
	v_add_nc_u32_e32 v3, v3, v49
	v_lshlrev_b64 v[39:40], 1, v[3:4]
	v_xor_b32_e32 v3, 0x7fff, v156
	v_add_co_u32 v39, s26, s48, v39
	v_add_co_ci_u32_e64 v40, null, s49, v40, s26
	global_store_short v[39:40], v3, off
	s_or_b32 exec_lo, exec_lo, s27
	v_cmp_lt_u32_e64 s26, v50, v155
	s_and_saveexec_b32 s29, s26
	s_cbranch_execz .LBB914_1122
.LBB914_1194:                           ;   in Loop: Header=BB914_1032 Depth=2
	ds_read_u16 v156, v74 offset:3072
	s_waitcnt lgkmcnt(0)
	v_lshrrev_b32_sdwa v3, s41, v156 dst_sel:DWORD dst_unused:UNUSED_PAD src0_sel:DWORD src1_sel:WORD_0
	v_and_b32_e32 v3, s62, v3
	v_lshlrev_b32_e32 v3, 2, v3
	ds_read_b32 v3, v3
	s_waitcnt lgkmcnt(0)
	v_add_nc_u32_e32 v3, v3, v50
	v_lshlrev_b64 v[39:40], 1, v[3:4]
	v_xor_b32_e32 v3, 0x7fff, v156
	v_add_co_u32 v39, s27, s48, v39
	v_add_co_ci_u32_e64 v40, null, s49, v40, s27
	global_store_short v[39:40], v3, off
	s_or_b32 exec_lo, exec_lo, s29
	v_cmp_lt_u32_e64 s27, v51, v155
	s_and_saveexec_b32 s30, s27
	s_cbranch_execz .LBB914_1123
.LBB914_1195:                           ;   in Loop: Header=BB914_1032 Depth=2
	ds_read_u16 v156, v74 offset:3584
	s_waitcnt lgkmcnt(0)
	v_lshrrev_b32_sdwa v3, s41, v156 dst_sel:DWORD dst_unused:UNUSED_PAD src0_sel:DWORD src1_sel:WORD_0
	v_and_b32_e32 v3, s62, v3
	v_lshlrev_b32_e32 v3, 2, v3
	ds_read_b32 v3, v3
	s_waitcnt lgkmcnt(0)
	v_add_nc_u32_e32 v3, v3, v51
	v_lshlrev_b64 v[39:40], 1, v[3:4]
	v_xor_b32_e32 v3, 0x7fff, v156
	v_add_co_u32 v39, s29, s48, v39
	v_add_co_ci_u32_e64 v40, null, s49, v40, s29
	global_store_short v[39:40], v3, off
	s_or_b32 exec_lo, exec_lo, s30
	v_cmp_lt_u32_e64 s29, v52, v155
	s_and_saveexec_b32 s31, s29
	s_cbranch_execz .LBB914_1124
.LBB914_1196:                           ;   in Loop: Header=BB914_1032 Depth=2
	ds_read_u16 v156, v74 offset:4096
	s_waitcnt lgkmcnt(0)
	v_lshrrev_b32_sdwa v3, s41, v156 dst_sel:DWORD dst_unused:UNUSED_PAD src0_sel:DWORD src1_sel:WORD_0
	v_and_b32_e32 v3, s62, v3
	v_lshlrev_b32_e32 v3, 2, v3
	ds_read_b32 v3, v3
	s_waitcnt lgkmcnt(0)
	v_add_nc_u32_e32 v3, v3, v52
	v_lshlrev_b64 v[39:40], 1, v[3:4]
	v_xor_b32_e32 v3, 0x7fff, v156
	v_add_co_u32 v39, s30, s48, v39
	v_add_co_ci_u32_e64 v40, null, s49, v40, s30
	global_store_short v[39:40], v3, off
	s_or_b32 exec_lo, exec_lo, s31
	v_cmp_lt_u32_e64 s30, v53, v155
	s_and_saveexec_b32 s33, s30
	s_cbranch_execz .LBB914_1125
.LBB914_1197:                           ;   in Loop: Header=BB914_1032 Depth=2
	ds_read_u16 v156, v74 offset:4608
	s_waitcnt lgkmcnt(0)
	v_lshrrev_b32_sdwa v3, s41, v156 dst_sel:DWORD dst_unused:UNUSED_PAD src0_sel:DWORD src1_sel:WORD_0
	v_and_b32_e32 v3, s62, v3
	v_lshlrev_b32_e32 v3, 2, v3
	ds_read_b32 v3, v3
	s_waitcnt lgkmcnt(0)
	v_add_nc_u32_e32 v3, v3, v53
	v_lshlrev_b64 v[39:40], 1, v[3:4]
	v_xor_b32_e32 v3, 0x7fff, v156
	v_add_co_u32 v39, s31, s48, v39
	v_add_co_ci_u32_e64 v40, null, s49, v40, s31
	global_store_short v[39:40], v3, off
	s_or_b32 exec_lo, exec_lo, s33
	v_cmp_lt_u32_e64 s31, v54, v155
	s_and_saveexec_b32 s34, s31
	s_cbranch_execz .LBB914_1126
.LBB914_1198:                           ;   in Loop: Header=BB914_1032 Depth=2
	ds_read_u16 v156, v74 offset:5120
	s_waitcnt lgkmcnt(0)
	v_lshrrev_b32_sdwa v3, s41, v156 dst_sel:DWORD dst_unused:UNUSED_PAD src0_sel:DWORD src1_sel:WORD_0
	v_and_b32_e32 v3, s62, v3
	v_lshlrev_b32_e32 v3, 2, v3
	ds_read_b32 v3, v3
	s_waitcnt lgkmcnt(0)
	v_add_nc_u32_e32 v3, v3, v54
	v_lshlrev_b64 v[39:40], 1, v[3:4]
	v_xor_b32_e32 v3, 0x7fff, v156
	v_add_co_u32 v39, s33, s48, v39
	v_add_co_ci_u32_e64 v40, null, s49, v40, s33
	global_store_short v[39:40], v3, off
	s_or_b32 exec_lo, exec_lo, s34
	v_cmp_lt_u32_e64 s33, v55, v155
	s_and_saveexec_b32 s35, s33
	s_cbranch_execz .LBB914_1127
.LBB914_1199:                           ;   in Loop: Header=BB914_1032 Depth=2
	ds_read_u16 v156, v74 offset:5632
	s_waitcnt lgkmcnt(0)
	v_lshrrev_b32_sdwa v3, s41, v156 dst_sel:DWORD dst_unused:UNUSED_PAD src0_sel:DWORD src1_sel:WORD_0
	v_and_b32_e32 v3, s62, v3
	v_lshlrev_b32_e32 v3, 2, v3
	ds_read_b32 v3, v3
	s_waitcnt lgkmcnt(0)
	v_add_nc_u32_e32 v3, v3, v55
	v_lshlrev_b64 v[39:40], 1, v[3:4]
	v_xor_b32_e32 v3, 0x7fff, v156
	v_add_co_u32 v39, s34, s48, v39
	v_add_co_ci_u32_e64 v40, null, s49, v40, s34
	global_store_short v[39:40], v3, off
	s_or_b32 exec_lo, exec_lo, s35
	v_cmp_lt_u32_e64 s34, v56, v155
	s_and_saveexec_b32 s36, s34
	s_cbranch_execz .LBB914_1128
.LBB914_1200:                           ;   in Loop: Header=BB914_1032 Depth=2
	ds_read_u16 v156, v74 offset:6144
	s_waitcnt lgkmcnt(0)
	v_lshrrev_b32_sdwa v3, s41, v156 dst_sel:DWORD dst_unused:UNUSED_PAD src0_sel:DWORD src1_sel:WORD_0
	v_and_b32_e32 v3, s62, v3
	v_lshlrev_b32_e32 v3, 2, v3
	ds_read_b32 v3, v3
	s_waitcnt lgkmcnt(0)
	v_add_nc_u32_e32 v3, v3, v56
	v_lshlrev_b64 v[39:40], 1, v[3:4]
	v_xor_b32_e32 v3, 0x7fff, v156
	v_add_co_u32 v39, s35, s48, v39
	v_add_co_ci_u32_e64 v40, null, s49, v40, s35
	global_store_short v[39:40], v3, off
	s_or_b32 exec_lo, exec_lo, s36
	v_cmp_lt_u32_e64 s35, v57, v155
	s_and_saveexec_b32 s37, s35
	s_cbranch_execz .LBB914_1129
.LBB914_1201:                           ;   in Loop: Header=BB914_1032 Depth=2
	ds_read_u16 v156, v74 offset:6656
	s_waitcnt lgkmcnt(0)
	v_lshrrev_b32_sdwa v3, s41, v156 dst_sel:DWORD dst_unused:UNUSED_PAD src0_sel:DWORD src1_sel:WORD_0
	v_and_b32_e32 v3, s62, v3
	v_lshlrev_b32_e32 v3, 2, v3
	ds_read_b32 v3, v3
	s_waitcnt lgkmcnt(0)
	v_add_nc_u32_e32 v3, v3, v57
	v_lshlrev_b64 v[39:40], 1, v[3:4]
	v_xor_b32_e32 v3, 0x7fff, v156
	v_add_co_u32 v39, s36, s48, v39
	v_add_co_ci_u32_e64 v40, null, s49, v40, s36
	global_store_short v[39:40], v3, off
	s_or_b32 exec_lo, exec_lo, s37
	v_cmp_lt_u32_e64 s36, v58, v155
	s_and_saveexec_b32 s38, s36
	s_cbranch_execz .LBB914_1130
.LBB914_1202:                           ;   in Loop: Header=BB914_1032 Depth=2
	ds_read_u16 v156, v74 offset:7168
	s_waitcnt lgkmcnt(0)
	v_lshrrev_b32_sdwa v3, s41, v156 dst_sel:DWORD dst_unused:UNUSED_PAD src0_sel:DWORD src1_sel:WORD_0
	v_and_b32_e32 v3, s62, v3
	v_lshlrev_b32_e32 v3, 2, v3
	ds_read_b32 v3, v3
	s_waitcnt lgkmcnt(0)
	v_add_nc_u32_e32 v3, v3, v58
	v_lshlrev_b64 v[39:40], 1, v[3:4]
	v_xor_b32_e32 v3, 0x7fff, v156
	v_add_co_u32 v39, s37, s48, v39
	v_add_co_ci_u32_e64 v40, null, s49, v40, s37
	global_store_short v[39:40], v3, off
	s_or_b32 exec_lo, exec_lo, s38
	v_cmp_lt_u32_e64 s37, v59, v155
	s_and_saveexec_b32 s39, s37
	s_cbranch_execz .LBB914_1131
.LBB914_1203:                           ;   in Loop: Header=BB914_1032 Depth=2
	ds_read_u16 v156, v74 offset:7680
	s_waitcnt lgkmcnt(0)
	v_lshrrev_b32_sdwa v3, s41, v156 dst_sel:DWORD dst_unused:UNUSED_PAD src0_sel:DWORD src1_sel:WORD_0
	v_and_b32_e32 v3, s62, v3
	v_lshlrev_b32_e32 v3, 2, v3
	ds_read_b32 v3, v3
	s_waitcnt lgkmcnt(0)
	v_add_nc_u32_e32 v3, v3, v59
	v_lshlrev_b64 v[39:40], 1, v[3:4]
	v_xor_b32_e32 v3, 0x7fff, v156
	v_add_co_u32 v39, s38, s48, v39
	v_add_co_ci_u32_e64 v40, null, s49, v40, s38
	global_store_short v[39:40], v3, off
	s_or_b32 exec_lo, exec_lo, s39
	v_cmp_lt_u32_e64 s38, v60, v155
	s_and_saveexec_b32 s40, s38
	s_cbranch_execz .LBB914_1132
.LBB914_1204:                           ;   in Loop: Header=BB914_1032 Depth=2
	ds_read_u16 v156, v74 offset:8192
	s_waitcnt lgkmcnt(0)
	v_lshrrev_b32_sdwa v3, s41, v156 dst_sel:DWORD dst_unused:UNUSED_PAD src0_sel:DWORD src1_sel:WORD_0
	v_and_b32_e32 v3, s62, v3
	v_lshlrev_b32_e32 v3, 2, v3
	ds_read_b32 v3, v3
	s_waitcnt lgkmcnt(0)
	v_add_nc_u32_e32 v3, v3, v60
	v_lshlrev_b64 v[39:40], 1, v[3:4]
	v_xor_b32_e32 v3, 0x7fff, v156
	v_add_co_u32 v39, s39, s48, v39
	v_add_co_ci_u32_e64 v40, null, s49, v40, s39
	global_store_short v[39:40], v3, off
	s_or_b32 exec_lo, exec_lo, s40
	v_cmp_lt_u32_e64 s39, v61, v155
	s_and_saveexec_b32 s65, s39
	s_cbranch_execnz .LBB914_1133
	s_branch .LBB914_1134
.LBB914_1205:                           ;   in Loop: Header=BB914_1032 Depth=2
	global_load_dwordx2 v[37:38], v[39:40], off
	s_or_b32 exec_lo, exec_lo, s40
	s_mov_b32 s50, exec_lo
	v_cmpx_lt_u32_e64 v98, v155
	s_cbranch_execz .LBB914_1136
.LBB914_1206:                           ;   in Loop: Header=BB914_1032 Depth=2
	global_load_dwordx2 v[35:36], v[39:40], off offset:256
	s_or_b32 exec_lo, exec_lo, s50
	s_mov_b32 s50, exec_lo
	v_cmpx_lt_u32_e64 v99, v155
	s_cbranch_execz .LBB914_1137
.LBB914_1207:                           ;   in Loop: Header=BB914_1032 Depth=2
	global_load_dwordx2 v[33:34], v[39:40], off offset:512
	s_or_b32 exec_lo, exec_lo, s50
	s_mov_b32 s50, exec_lo
	v_cmpx_lt_u32_e64 v100, v155
	s_cbranch_execz .LBB914_1138
.LBB914_1208:                           ;   in Loop: Header=BB914_1032 Depth=2
	global_load_dwordx2 v[31:32], v[39:40], off offset:768
	s_or_b32 exec_lo, exec_lo, s50
	s_mov_b32 s50, exec_lo
	v_cmpx_lt_u32_e64 v101, v155
	s_cbranch_execz .LBB914_1139
.LBB914_1209:                           ;   in Loop: Header=BB914_1032 Depth=2
	global_load_dwordx2 v[29:30], v[39:40], off offset:1024
	s_or_b32 exec_lo, exec_lo, s50
	s_mov_b32 s50, exec_lo
	v_cmpx_lt_u32_e64 v102, v155
	s_cbranch_execz .LBB914_1140
.LBB914_1210:                           ;   in Loop: Header=BB914_1032 Depth=2
	global_load_dwordx2 v[25:26], v[39:40], off offset:1280
	s_or_b32 exec_lo, exec_lo, s50
	s_mov_b32 s50, exec_lo
	v_cmpx_lt_u32_e64 v103, v155
	s_cbranch_execz .LBB914_1141
.LBB914_1211:                           ;   in Loop: Header=BB914_1032 Depth=2
	global_load_dwordx2 v[21:22], v[39:40], off offset:1536
	s_or_b32 exec_lo, exec_lo, s50
	s_mov_b32 s50, exec_lo
	v_cmpx_lt_u32_e64 v104, v155
	s_cbranch_execz .LBB914_1142
.LBB914_1212:                           ;   in Loop: Header=BB914_1032 Depth=2
	global_load_dwordx2 v[17:18], v[39:40], off offset:1792
	s_or_b32 exec_lo, exec_lo, s50
	s_mov_b32 s50, exec_lo
	v_cmpx_lt_u32_e64 v105, v155
	s_cbranch_execz .LBB914_1143
.LBB914_1213:                           ;   in Loop: Header=BB914_1032 Depth=2
	v_add_co_u32 v27, s40, 0x800, v39
	v_add_co_ci_u32_e64 v28, null, 0, v40, s40
	global_load_dwordx2 v[27:28], v[27:28], off
	s_or_b32 exec_lo, exec_lo, s50
	s_mov_b32 s50, exec_lo
	v_cmpx_lt_u32_e64 v106, v155
	s_cbranch_execz .LBB914_1144
.LBB914_1214:                           ;   in Loop: Header=BB914_1032 Depth=2
	v_add_co_u32 v23, s40, 0x800, v39
	v_add_co_ci_u32_e64 v24, null, 0, v40, s40
	global_load_dwordx2 v[23:24], v[23:24], off offset:256
	s_or_b32 exec_lo, exec_lo, s50
	s_mov_b32 s50, exec_lo
	v_cmpx_lt_u32_e64 v107, v155
	s_cbranch_execz .LBB914_1145
.LBB914_1215:                           ;   in Loop: Header=BB914_1032 Depth=2
	v_add_co_u32 v19, s40, 0x800, v39
	v_add_co_ci_u32_e64 v20, null, 0, v40, s40
	global_load_dwordx2 v[19:20], v[19:20], off offset:512
	s_or_b32 exec_lo, exec_lo, s50
	s_mov_b32 s50, exec_lo
	v_cmpx_lt_u32_e64 v108, v155
	s_cbranch_execz .LBB914_1146
.LBB914_1216:                           ;   in Loop: Header=BB914_1032 Depth=2
	v_add_co_u32 v15, s40, 0x800, v39
	v_add_co_ci_u32_e64 v16, null, 0, v40, s40
	global_load_dwordx2 v[15:16], v[15:16], off offset:768
	s_or_b32 exec_lo, exec_lo, s50
	s_mov_b32 s50, exec_lo
	v_cmpx_lt_u32_e64 v128, v155
	s_cbranch_execz .LBB914_1147
.LBB914_1217:                           ;   in Loop: Header=BB914_1032 Depth=2
	v_add_co_u32 v13, s40, 0x800, v39
	v_add_co_ci_u32_e64 v14, null, 0, v40, s40
	global_load_dwordx2 v[13:14], v[13:14], off offset:1024
	s_or_b32 exec_lo, exec_lo, s50
	s_mov_b32 s50, exec_lo
	v_cmpx_lt_u32_e64 v129, v155
	s_cbranch_execz .LBB914_1148
.LBB914_1218:                           ;   in Loop: Header=BB914_1032 Depth=2
	v_add_co_u32 v11, s40, 0x800, v39
	v_add_co_ci_u32_e64 v12, null, 0, v40, s40
	global_load_dwordx2 v[11:12], v[11:12], off offset:1280
	s_or_b32 exec_lo, exec_lo, s50
	s_mov_b32 s50, exec_lo
	v_cmpx_lt_u32_e64 v130, v155
	s_cbranch_execz .LBB914_1149
.LBB914_1219:                           ;   in Loop: Header=BB914_1032 Depth=2
	v_add_co_u32 v9, s40, 0x800, v39
	v_add_co_ci_u32_e64 v10, null, 0, v40, s40
	global_load_dwordx2 v[9:10], v[9:10], off offset:1536
	s_or_b32 exec_lo, exec_lo, s50
	s_mov_b32 s50, exec_lo
	v_cmpx_lt_u32_e64 v131, v155
	s_cbranch_execz .LBB914_1150
.LBB914_1220:                           ;   in Loop: Header=BB914_1032 Depth=2
	v_add_co_u32 v7, s40, 0x800, v39
	v_add_co_ci_u32_e64 v8, null, 0, v40, s40
	global_load_dwordx2 v[7:8], v[7:8], off offset:1792
	s_or_b32 exec_lo, exec_lo, s50
	s_mov_b32 s50, exec_lo
	v_cmpx_lt_u32_e64 v132, v155
	s_cbranch_execz .LBB914_1151
.LBB914_1221:                           ;   in Loop: Header=BB914_1032 Depth=2
	v_add_co_u32 v5, s40, 0x1000, v39
	v_add_co_ci_u32_e64 v6, null, 0, v40, s40
	global_load_dwordx2 v[5:6], v[5:6], off
	s_or_b32 exec_lo, exec_lo, s50
	s_and_saveexec_b32 s40, vcc_lo
	s_cbranch_execz .LBB914_1152
.LBB914_1222:                           ;   in Loop: Header=BB914_1032 Depth=2
	ds_read_u16 v3, v74 offset:512
	s_waitcnt lgkmcnt(0)
	v_lshrrev_b32_e32 v3, s41, v3
	v_and_b32_e32 v153, s62, v3
	s_or_b32 exec_lo, exec_lo, s40
	s_and_saveexec_b32 s40, s22
	s_cbranch_execz .LBB914_1153
.LBB914_1223:                           ;   in Loop: Header=BB914_1032 Depth=2
	ds_read_u16 v3, v74 offset:1024
	s_waitcnt lgkmcnt(0)
	v_lshrrev_b32_e32 v3, s41, v3
	v_and_b32_e32 v152, s62, v3
	s_or_b32 exec_lo, exec_lo, s40
	s_and_saveexec_b32 s40, s23
	s_cbranch_execz .LBB914_1154
.LBB914_1224:                           ;   in Loop: Header=BB914_1032 Depth=2
	ds_read_u16 v3, v74 offset:1536
	s_waitcnt lgkmcnt(0)
	v_lshrrev_b32_e32 v3, s41, v3
	v_and_b32_e32 v150, s62, v3
	s_or_b32 exec_lo, exec_lo, s40
	s_and_saveexec_b32 s40, s24
	s_cbranch_execz .LBB914_1155
.LBB914_1225:                           ;   in Loop: Header=BB914_1032 Depth=2
	ds_read_u16 v3, v74 offset:2048
	s_waitcnt lgkmcnt(0)
	v_lshrrev_b32_e32 v3, s41, v3
	v_and_b32_e32 v149, s62, v3
	s_or_b32 exec_lo, exec_lo, s40
	s_and_saveexec_b32 s40, s25
	s_cbranch_execz .LBB914_1156
.LBB914_1226:                           ;   in Loop: Header=BB914_1032 Depth=2
	ds_read_u16 v3, v74 offset:2560
	s_waitcnt lgkmcnt(0)
	v_lshrrev_b32_e32 v3, s41, v3
	v_and_b32_e32 v148, s62, v3
	s_or_b32 exec_lo, exec_lo, s40
	s_and_saveexec_b32 s40, s26
	s_cbranch_execz .LBB914_1157
.LBB914_1227:                           ;   in Loop: Header=BB914_1032 Depth=2
	ds_read_u16 v3, v74 offset:3072
	s_waitcnt lgkmcnt(0)
	v_lshrrev_b32_e32 v3, s41, v3
	v_and_b32_e32 v147, s62, v3
	s_or_b32 exec_lo, exec_lo, s40
	s_and_saveexec_b32 s40, s27
	s_cbranch_execz .LBB914_1158
.LBB914_1228:                           ;   in Loop: Header=BB914_1032 Depth=2
	ds_read_u16 v3, v74 offset:3584
	s_waitcnt lgkmcnt(0)
	v_lshrrev_b32_e32 v3, s41, v3
	v_and_b32_e32 v146, s62, v3
	s_or_b32 exec_lo, exec_lo, s40
	s_and_saveexec_b32 s40, s29
	s_cbranch_execz .LBB914_1159
.LBB914_1229:                           ;   in Loop: Header=BB914_1032 Depth=2
	ds_read_u16 v3, v74 offset:4096
	s_waitcnt lgkmcnt(0)
	v_lshrrev_b32_e32 v3, s41, v3
	v_and_b32_e32 v145, s62, v3
	s_or_b32 exec_lo, exec_lo, s40
	s_and_saveexec_b32 s40, s30
	s_cbranch_execz .LBB914_1160
.LBB914_1230:                           ;   in Loop: Header=BB914_1032 Depth=2
	ds_read_u16 v3, v74 offset:4608
	s_waitcnt lgkmcnt(0)
	v_lshrrev_b32_e32 v3, s41, v3
	v_and_b32_e32 v144, s62, v3
	s_or_b32 exec_lo, exec_lo, s40
	s_and_saveexec_b32 s40, s31
	s_cbranch_execz .LBB914_1161
.LBB914_1231:                           ;   in Loop: Header=BB914_1032 Depth=2
	ds_read_u16 v3, v74 offset:5120
	s_waitcnt lgkmcnt(0)
	v_lshrrev_b32_e32 v3, s41, v3
	v_and_b32_e32 v143, s62, v3
	s_or_b32 exec_lo, exec_lo, s40
	s_and_saveexec_b32 s40, s33
	s_cbranch_execz .LBB914_1162
.LBB914_1232:                           ;   in Loop: Header=BB914_1032 Depth=2
	ds_read_u16 v3, v74 offset:5632
	s_waitcnt lgkmcnt(0)
	v_lshrrev_b32_e32 v3, s41, v3
	v_and_b32_e32 v142, s62, v3
	s_or_b32 exec_lo, exec_lo, s40
	s_and_saveexec_b32 s40, s34
	s_cbranch_execz .LBB914_1163
.LBB914_1233:                           ;   in Loop: Header=BB914_1032 Depth=2
	ds_read_u16 v3, v74 offset:6144
	s_waitcnt lgkmcnt(0)
	v_lshrrev_b32_e32 v3, s41, v3
	v_and_b32_e32 v141, s62, v3
	s_or_b32 exec_lo, exec_lo, s40
	s_and_saveexec_b32 s40, s35
	s_cbranch_execz .LBB914_1164
.LBB914_1234:                           ;   in Loop: Header=BB914_1032 Depth=2
	ds_read_u16 v3, v74 offset:6656
	s_waitcnt lgkmcnt(0)
	v_lshrrev_b32_e32 v3, s41, v3
	v_and_b32_e32 v140, s62, v3
	s_or_b32 exec_lo, exec_lo, s40
	s_and_saveexec_b32 s40, s36
	s_cbranch_execz .LBB914_1165
.LBB914_1235:                           ;   in Loop: Header=BB914_1032 Depth=2
	ds_read_u16 v3, v74 offset:7168
	s_waitcnt lgkmcnt(0)
	v_lshrrev_b32_e32 v3, s41, v3
	v_and_b32_e32 v139, s62, v3
	s_or_b32 exec_lo, exec_lo, s40
	s_and_saveexec_b32 s40, s37
	s_cbranch_execz .LBB914_1166
.LBB914_1236:                           ;   in Loop: Header=BB914_1032 Depth=2
	ds_read_u16 v3, v74 offset:7680
	s_waitcnt lgkmcnt(0)
	v_lshrrev_b32_e32 v3, s41, v3
	v_and_b32_e32 v138, s62, v3
	s_or_b32 exec_lo, exec_lo, s40
	s_and_saveexec_b32 s40, s38
	s_cbranch_execz .LBB914_1167
.LBB914_1237:                           ;   in Loop: Header=BB914_1032 Depth=2
	ds_read_u16 v3, v74 offset:8192
	s_waitcnt lgkmcnt(0)
	v_lshrrev_b32_e32 v3, s41, v3
	v_and_b32_e32 v137, s62, v3
	s_or_b32 exec_lo, exec_lo, s40
	s_and_saveexec_b32 s40, s39
	s_cbranch_execnz .LBB914_1168
	s_branch .LBB914_1169
.LBB914_1238:                           ;   in Loop: Header=BB914_1032 Depth=2
	v_lshlrev_b32_e32 v3, 2, v153
	ds_read_b32 v3, v3
	ds_read_b64 v[40:41], v39 offset:512
	s_waitcnt lgkmcnt(1)
	v_add_nc_u32_e32 v3, v3, v0
	v_lshlrev_b64 v[155:156], 3, v[3:4]
	v_add_co_u32 v155, vcc_lo, s54, v155
	v_add_co_ci_u32_e64 v156, null, s55, v156, vcc_lo
	s_waitcnt lgkmcnt(0)
	global_store_dwordx2 v[155:156], v[40:41], off
	s_or_b32 exec_lo, exec_lo, s40
	s_and_saveexec_b32 s40, s22
	s_cbranch_execz .LBB914_1171
.LBB914_1239:                           ;   in Loop: Header=BB914_1032 Depth=2
	v_lshlrev_b32_e32 v3, 2, v152
	ds_read_b32 v3, v3
	ds_read_b64 v[40:41], v39 offset:2560
	s_waitcnt lgkmcnt(1)
	v_add_nc_u32_e32 v3, v3, v44
	v_lshlrev_b64 v[155:156], 3, v[3:4]
	v_add_co_u32 v155, vcc_lo, s54, v155
	v_add_co_ci_u32_e64 v156, null, s55, v156, vcc_lo
	s_waitcnt lgkmcnt(0)
	global_store_dwordx2 v[155:156], v[40:41], off
	s_or_b32 exec_lo, exec_lo, s40
	s_and_saveexec_b32 s22, s23
	s_cbranch_execz .LBB914_1172
.LBB914_1240:                           ;   in Loop: Header=BB914_1032 Depth=2
	v_lshlrev_b32_e32 v3, 2, v150
	ds_read_b32 v3, v3
	ds_read_b64 v[40:41], v39 offset:4608
	s_waitcnt lgkmcnt(1)
	v_add_nc_u32_e32 v3, v3, v47
	v_lshlrev_b64 v[155:156], 3, v[3:4]
	v_add_co_u32 v155, vcc_lo, s54, v155
	v_add_co_ci_u32_e64 v156, null, s55, v156, vcc_lo
	s_waitcnt lgkmcnt(0)
	global_store_dwordx2 v[155:156], v[40:41], off
	s_or_b32 exec_lo, exec_lo, s22
	s_and_saveexec_b32 s22, s24
	s_cbranch_execz .LBB914_1173
.LBB914_1241:                           ;   in Loop: Header=BB914_1032 Depth=2
	v_lshlrev_b32_e32 v3, 2, v149
	ds_read_b32 v3, v3
	ds_read_b64 v[40:41], v39 offset:6656
	s_waitcnt lgkmcnt(1)
	v_add_nc_u32_e32 v3, v3, v48
	v_lshlrev_b64 v[155:156], 3, v[3:4]
	v_add_co_u32 v155, vcc_lo, s54, v155
	v_add_co_ci_u32_e64 v156, null, s55, v156, vcc_lo
	s_waitcnt lgkmcnt(0)
	global_store_dwordx2 v[155:156], v[40:41], off
	s_or_b32 exec_lo, exec_lo, s22
	s_and_saveexec_b32 s22, s25
	s_cbranch_execz .LBB914_1174
.LBB914_1242:                           ;   in Loop: Header=BB914_1032 Depth=2
	v_lshlrev_b32_e32 v3, 2, v148
	ds_read_b32 v3, v3
	ds_read_b64 v[40:41], v39 offset:8704
	s_waitcnt lgkmcnt(1)
	v_add_nc_u32_e32 v3, v3, v49
	v_lshlrev_b64 v[155:156], 3, v[3:4]
	v_add_co_u32 v155, vcc_lo, s54, v155
	v_add_co_ci_u32_e64 v156, null, s55, v156, vcc_lo
	s_waitcnt lgkmcnt(0)
	global_store_dwordx2 v[155:156], v[40:41], off
	s_or_b32 exec_lo, exec_lo, s22
	s_and_saveexec_b32 s22, s26
	s_cbranch_execz .LBB914_1175
.LBB914_1243:                           ;   in Loop: Header=BB914_1032 Depth=2
	v_lshlrev_b32_e32 v3, 2, v147
	ds_read_b32 v3, v3
	ds_read_b64 v[40:41], v39 offset:10752
	s_waitcnt lgkmcnt(1)
	v_add_nc_u32_e32 v3, v3, v50
	v_lshlrev_b64 v[155:156], 3, v[3:4]
	v_add_co_u32 v155, vcc_lo, s54, v155
	v_add_co_ci_u32_e64 v156, null, s55, v156, vcc_lo
	s_waitcnt lgkmcnt(0)
	global_store_dwordx2 v[155:156], v[40:41], off
	s_or_b32 exec_lo, exec_lo, s22
	s_and_saveexec_b32 s22, s27
	s_cbranch_execz .LBB914_1176
.LBB914_1244:                           ;   in Loop: Header=BB914_1032 Depth=2
	v_lshlrev_b32_e32 v3, 2, v146
	ds_read_b32 v3, v3
	ds_read_b64 v[40:41], v39 offset:12800
	s_waitcnt lgkmcnt(1)
	v_add_nc_u32_e32 v3, v3, v51
	v_lshlrev_b64 v[155:156], 3, v[3:4]
	v_add_co_u32 v155, vcc_lo, s54, v155
	v_add_co_ci_u32_e64 v156, null, s55, v156, vcc_lo
	s_waitcnt lgkmcnt(0)
	global_store_dwordx2 v[155:156], v[40:41], off
	s_or_b32 exec_lo, exec_lo, s22
	s_and_saveexec_b32 s22, s29
	s_cbranch_execz .LBB914_1177
.LBB914_1245:                           ;   in Loop: Header=BB914_1032 Depth=2
	v_lshlrev_b32_e32 v3, 2, v145
	ds_read_b32 v3, v3
	ds_read_b64 v[40:41], v39 offset:14848
	s_waitcnt lgkmcnt(1)
	v_add_nc_u32_e32 v3, v3, v52
	v_lshlrev_b64 v[155:156], 3, v[3:4]
	v_add_co_u32 v155, vcc_lo, s54, v155
	v_add_co_ci_u32_e64 v156, null, s55, v156, vcc_lo
	s_waitcnt lgkmcnt(0)
	global_store_dwordx2 v[155:156], v[40:41], off
	s_or_b32 exec_lo, exec_lo, s22
	s_and_saveexec_b32 s22, s30
	s_cbranch_execz .LBB914_1178
.LBB914_1246:                           ;   in Loop: Header=BB914_1032 Depth=2
	v_lshlrev_b32_e32 v3, 2, v144
	ds_read_b32 v3, v3
	ds_read_b64 v[40:41], v39 offset:16896
	s_waitcnt lgkmcnt(1)
	v_add_nc_u32_e32 v3, v3, v53
	v_lshlrev_b64 v[155:156], 3, v[3:4]
	v_add_co_u32 v155, vcc_lo, s54, v155
	v_add_co_ci_u32_e64 v156, null, s55, v156, vcc_lo
	s_waitcnt lgkmcnt(0)
	global_store_dwordx2 v[155:156], v[40:41], off
	s_or_b32 exec_lo, exec_lo, s22
	s_and_saveexec_b32 s22, s31
	s_cbranch_execz .LBB914_1179
.LBB914_1247:                           ;   in Loop: Header=BB914_1032 Depth=2
	v_lshlrev_b32_e32 v3, 2, v143
	ds_read_b32 v3, v3
	ds_read_b64 v[40:41], v39 offset:18944
	s_waitcnt lgkmcnt(1)
	v_add_nc_u32_e32 v3, v3, v54
	v_lshlrev_b64 v[155:156], 3, v[3:4]
	v_add_co_u32 v155, vcc_lo, s54, v155
	v_add_co_ci_u32_e64 v156, null, s55, v156, vcc_lo
	s_waitcnt lgkmcnt(0)
	global_store_dwordx2 v[155:156], v[40:41], off
	s_or_b32 exec_lo, exec_lo, s22
	s_and_saveexec_b32 s22, s33
	s_cbranch_execz .LBB914_1180
.LBB914_1248:                           ;   in Loop: Header=BB914_1032 Depth=2
	v_lshlrev_b32_e32 v3, 2, v142
	ds_read_b32 v3, v3
	ds_read_b64 v[40:41], v39 offset:20992
	s_waitcnt lgkmcnt(1)
	v_add_nc_u32_e32 v3, v3, v55
	v_lshlrev_b64 v[155:156], 3, v[3:4]
	v_add_co_u32 v155, vcc_lo, s54, v155
	v_add_co_ci_u32_e64 v156, null, s55, v156, vcc_lo
	s_waitcnt lgkmcnt(0)
	global_store_dwordx2 v[155:156], v[40:41], off
	s_or_b32 exec_lo, exec_lo, s22
	s_and_saveexec_b32 s22, s34
	s_cbranch_execz .LBB914_1181
.LBB914_1249:                           ;   in Loop: Header=BB914_1032 Depth=2
	v_lshlrev_b32_e32 v3, 2, v141
	ds_read_b32 v3, v3
	ds_read_b64 v[40:41], v39 offset:23040
	s_waitcnt lgkmcnt(1)
	v_add_nc_u32_e32 v3, v3, v56
	v_lshlrev_b64 v[155:156], 3, v[3:4]
	v_add_co_u32 v155, vcc_lo, s54, v155
	v_add_co_ci_u32_e64 v156, null, s55, v156, vcc_lo
	s_waitcnt lgkmcnt(0)
	global_store_dwordx2 v[155:156], v[40:41], off
	s_or_b32 exec_lo, exec_lo, s22
	s_and_saveexec_b32 s22, s35
	s_cbranch_execz .LBB914_1182
.LBB914_1250:                           ;   in Loop: Header=BB914_1032 Depth=2
	v_lshlrev_b32_e32 v3, 2, v140
	ds_read_b32 v3, v3
	ds_read_b64 v[40:41], v39 offset:25088
	s_waitcnt lgkmcnt(1)
	v_add_nc_u32_e32 v3, v3, v57
	v_lshlrev_b64 v[155:156], 3, v[3:4]
	v_add_co_u32 v155, vcc_lo, s54, v155
	v_add_co_ci_u32_e64 v156, null, s55, v156, vcc_lo
	s_waitcnt lgkmcnt(0)
	global_store_dwordx2 v[155:156], v[40:41], off
	s_or_b32 exec_lo, exec_lo, s22
	s_and_saveexec_b32 s22, s36
	s_cbranch_execz .LBB914_1183
.LBB914_1251:                           ;   in Loop: Header=BB914_1032 Depth=2
	v_lshlrev_b32_e32 v3, 2, v139
	ds_read_b32 v3, v3
	ds_read_b64 v[40:41], v39 offset:27136
	s_waitcnt lgkmcnt(1)
	v_add_nc_u32_e32 v3, v3, v58
	v_lshlrev_b64 v[155:156], 3, v[3:4]
	v_add_co_u32 v155, vcc_lo, s54, v155
	v_add_co_ci_u32_e64 v156, null, s55, v156, vcc_lo
	s_waitcnt lgkmcnt(0)
	global_store_dwordx2 v[155:156], v[40:41], off
	s_or_b32 exec_lo, exec_lo, s22
	s_and_saveexec_b32 s22, s37
	s_cbranch_execz .LBB914_1184
.LBB914_1252:                           ;   in Loop: Header=BB914_1032 Depth=2
	v_lshlrev_b32_e32 v3, 2, v138
	ds_read_b32 v3, v3
	ds_read_b64 v[40:41], v39 offset:29184
	s_waitcnt lgkmcnt(1)
	v_add_nc_u32_e32 v3, v3, v59
	v_lshlrev_b64 v[155:156], 3, v[3:4]
	v_add_co_u32 v155, vcc_lo, s54, v155
	v_add_co_ci_u32_e64 v156, null, s55, v156, vcc_lo
	s_waitcnt lgkmcnt(0)
	global_store_dwordx2 v[155:156], v[40:41], off
	s_or_b32 exec_lo, exec_lo, s22
	s_and_saveexec_b32 s22, s38
	s_cbranch_execz .LBB914_1185
.LBB914_1253:                           ;   in Loop: Header=BB914_1032 Depth=2
	v_lshlrev_b32_e32 v3, 2, v137
	ds_read_b32 v3, v3
	ds_read_b64 v[40:41], v39 offset:31232
	s_waitcnt lgkmcnt(1)
	v_add_nc_u32_e32 v3, v3, v60
	v_lshlrev_b64 v[155:156], 3, v[3:4]
	v_add_co_u32 v155, vcc_lo, s54, v155
	v_add_co_ci_u32_e64 v156, null, s55, v156, vcc_lo
	s_waitcnt lgkmcnt(0)
	global_store_dwordx2 v[155:156], v[40:41], off
	s_or_b32 exec_lo, exec_lo, s22
	s_and_saveexec_b32 s22, s39
	s_cbranch_execnz .LBB914_1186
	s_branch .LBB914_1187
.LBB914_1254:
	s_endpgm
	.section	.rodata,"a",@progbits
	.p2align	6, 0x0
	.amdhsa_kernel _ZN7rocprim17ROCPRIM_400000_NS6detail17trampoline_kernelINS0_14default_configENS1_36segmented_radix_sort_config_selectorIslEEZNS1_25segmented_radix_sort_implIS3_Lb1EPKsPsPKlPlN2at6native12_GLOBAL__N_18offset_tEEE10hipError_tPvRmT1_PNSt15iterator_traitsISK_E10value_typeET2_T3_PNSL_ISQ_E10value_typeET4_jRbjT5_SW_jjP12ihipStream_tbEUlT_E_NS1_11comp_targetILNS1_3genE8ELNS1_11target_archE1030ELNS1_3gpuE2ELNS1_3repE0EEENS1_30default_config_static_selectorELNS0_4arch9wavefront6targetE0EEEvSK_
		.amdhsa_group_segment_fixed_size 35344
		.amdhsa_private_segment_fixed_size 196
		.amdhsa_kernarg_size 352
		.amdhsa_user_sgpr_count 6
		.amdhsa_user_sgpr_private_segment_buffer 1
		.amdhsa_user_sgpr_dispatch_ptr 0
		.amdhsa_user_sgpr_queue_ptr 0
		.amdhsa_user_sgpr_kernarg_segment_ptr 1
		.amdhsa_user_sgpr_dispatch_id 0
		.amdhsa_user_sgpr_flat_scratch_init 0
		.amdhsa_user_sgpr_private_segment_size 0
		.amdhsa_wavefront_size32 1
		.amdhsa_uses_dynamic_stack 0
		.amdhsa_system_sgpr_private_segment_wavefront_offset 1
		.amdhsa_system_sgpr_workgroup_id_x 1
		.amdhsa_system_sgpr_workgroup_id_y 1
		.amdhsa_system_sgpr_workgroup_id_z 0
		.amdhsa_system_sgpr_workgroup_info 0
		.amdhsa_system_vgpr_workitem_id 2
		.amdhsa_next_free_vgpr 248
		.amdhsa_next_free_sgpr 68
		.amdhsa_reserve_vcc 1
		.amdhsa_reserve_flat_scratch 0
		.amdhsa_float_round_mode_32 0
		.amdhsa_float_round_mode_16_64 0
		.amdhsa_float_denorm_mode_32 3
		.amdhsa_float_denorm_mode_16_64 3
		.amdhsa_dx10_clamp 1
		.amdhsa_ieee_mode 1
		.amdhsa_fp16_overflow 0
		.amdhsa_workgroup_processor_mode 1
		.amdhsa_memory_ordered 1
		.amdhsa_forward_progress 1
		.amdhsa_shared_vgpr_count 0
		.amdhsa_exception_fp_ieee_invalid_op 0
		.amdhsa_exception_fp_denorm_src 0
		.amdhsa_exception_fp_ieee_div_zero 0
		.amdhsa_exception_fp_ieee_overflow 0
		.amdhsa_exception_fp_ieee_underflow 0
		.amdhsa_exception_fp_ieee_inexact 0
		.amdhsa_exception_int_div_zero 0
	.end_amdhsa_kernel
	.section	.text._ZN7rocprim17ROCPRIM_400000_NS6detail17trampoline_kernelINS0_14default_configENS1_36segmented_radix_sort_config_selectorIslEEZNS1_25segmented_radix_sort_implIS3_Lb1EPKsPsPKlPlN2at6native12_GLOBAL__N_18offset_tEEE10hipError_tPvRmT1_PNSt15iterator_traitsISK_E10value_typeET2_T3_PNSL_ISQ_E10value_typeET4_jRbjT5_SW_jjP12ihipStream_tbEUlT_E_NS1_11comp_targetILNS1_3genE8ELNS1_11target_archE1030ELNS1_3gpuE2ELNS1_3repE0EEENS1_30default_config_static_selectorELNS0_4arch9wavefront6targetE0EEEvSK_,"axG",@progbits,_ZN7rocprim17ROCPRIM_400000_NS6detail17trampoline_kernelINS0_14default_configENS1_36segmented_radix_sort_config_selectorIslEEZNS1_25segmented_radix_sort_implIS3_Lb1EPKsPsPKlPlN2at6native12_GLOBAL__N_18offset_tEEE10hipError_tPvRmT1_PNSt15iterator_traitsISK_E10value_typeET2_T3_PNSL_ISQ_E10value_typeET4_jRbjT5_SW_jjP12ihipStream_tbEUlT_E_NS1_11comp_targetILNS1_3genE8ELNS1_11target_archE1030ELNS1_3gpuE2ELNS1_3repE0EEENS1_30default_config_static_selectorELNS0_4arch9wavefront6targetE0EEEvSK_,comdat
.Lfunc_end914:
	.size	_ZN7rocprim17ROCPRIM_400000_NS6detail17trampoline_kernelINS0_14default_configENS1_36segmented_radix_sort_config_selectorIslEEZNS1_25segmented_radix_sort_implIS3_Lb1EPKsPsPKlPlN2at6native12_GLOBAL__N_18offset_tEEE10hipError_tPvRmT1_PNSt15iterator_traitsISK_E10value_typeET2_T3_PNSL_ISQ_E10value_typeET4_jRbjT5_SW_jjP12ihipStream_tbEUlT_E_NS1_11comp_targetILNS1_3genE8ELNS1_11target_archE1030ELNS1_3gpuE2ELNS1_3repE0EEENS1_30default_config_static_selectorELNS0_4arch9wavefront6targetE0EEEvSK_, .Lfunc_end914-_ZN7rocprim17ROCPRIM_400000_NS6detail17trampoline_kernelINS0_14default_configENS1_36segmented_radix_sort_config_selectorIslEEZNS1_25segmented_radix_sort_implIS3_Lb1EPKsPsPKlPlN2at6native12_GLOBAL__N_18offset_tEEE10hipError_tPvRmT1_PNSt15iterator_traitsISK_E10value_typeET2_T3_PNSL_ISQ_E10value_typeET4_jRbjT5_SW_jjP12ihipStream_tbEUlT_E_NS1_11comp_targetILNS1_3genE8ELNS1_11target_archE1030ELNS1_3gpuE2ELNS1_3repE0EEENS1_30default_config_static_selectorELNS0_4arch9wavefront6targetE0EEEvSK_
                                        ; -- End function
	.set _ZN7rocprim17ROCPRIM_400000_NS6detail17trampoline_kernelINS0_14default_configENS1_36segmented_radix_sort_config_selectorIslEEZNS1_25segmented_radix_sort_implIS3_Lb1EPKsPsPKlPlN2at6native12_GLOBAL__N_18offset_tEEE10hipError_tPvRmT1_PNSt15iterator_traitsISK_E10value_typeET2_T3_PNSL_ISQ_E10value_typeET4_jRbjT5_SW_jjP12ihipStream_tbEUlT_E_NS1_11comp_targetILNS1_3genE8ELNS1_11target_archE1030ELNS1_3gpuE2ELNS1_3repE0EEENS1_30default_config_static_selectorELNS0_4arch9wavefront6targetE0EEEvSK_.num_vgpr, max(226, .L_ZN7rocprim17ROCPRIM_400000_NS6detail40segmented_radix_sort_single_block_helperIslLj256ELj17ELb1EE4sortIPKsPsPKlPlEEbT_T0_T1_T2_jjjjRNS3_12storage_typeE.num_vgpr)
	.set _ZN7rocprim17ROCPRIM_400000_NS6detail17trampoline_kernelINS0_14default_configENS1_36segmented_radix_sort_config_selectorIslEEZNS1_25segmented_radix_sort_implIS3_Lb1EPKsPsPKlPlN2at6native12_GLOBAL__N_18offset_tEEE10hipError_tPvRmT1_PNSt15iterator_traitsISK_E10value_typeET2_T3_PNSL_ISQ_E10value_typeET4_jRbjT5_SW_jjP12ihipStream_tbEUlT_E_NS1_11comp_targetILNS1_3genE8ELNS1_11target_archE1030ELNS1_3gpuE2ELNS1_3repE0EEENS1_30default_config_static_selectorELNS0_4arch9wavefront6targetE0EEEvSK_.num_agpr, max(0, .L_ZN7rocprim17ROCPRIM_400000_NS6detail40segmented_radix_sort_single_block_helperIslLj256ELj17ELb1EE4sortIPKsPsPKlPlEEbT_T0_T1_T2_jjjjRNS3_12storage_typeE.num_agpr)
	.set _ZN7rocprim17ROCPRIM_400000_NS6detail17trampoline_kernelINS0_14default_configENS1_36segmented_radix_sort_config_selectorIslEEZNS1_25segmented_radix_sort_implIS3_Lb1EPKsPsPKlPlN2at6native12_GLOBAL__N_18offset_tEEE10hipError_tPvRmT1_PNSt15iterator_traitsISK_E10value_typeET2_T3_PNSL_ISQ_E10value_typeET4_jRbjT5_SW_jjP12ihipStream_tbEUlT_E_NS1_11comp_targetILNS1_3genE8ELNS1_11target_archE1030ELNS1_3gpuE2ELNS1_3repE0EEENS1_30default_config_static_selectorELNS0_4arch9wavefront6targetE0EEEvSK_.numbered_sgpr, max(68, .L_ZN7rocprim17ROCPRIM_400000_NS6detail40segmented_radix_sort_single_block_helperIslLj256ELj17ELb1EE4sortIPKsPsPKlPlEEbT_T0_T1_T2_jjjjRNS3_12storage_typeE.numbered_sgpr)
	.set _ZN7rocprim17ROCPRIM_400000_NS6detail17trampoline_kernelINS0_14default_configENS1_36segmented_radix_sort_config_selectorIslEEZNS1_25segmented_radix_sort_implIS3_Lb1EPKsPsPKlPlN2at6native12_GLOBAL__N_18offset_tEEE10hipError_tPvRmT1_PNSt15iterator_traitsISK_E10value_typeET2_T3_PNSL_ISQ_E10value_typeET4_jRbjT5_SW_jjP12ihipStream_tbEUlT_E_NS1_11comp_targetILNS1_3genE8ELNS1_11target_archE1030ELNS1_3gpuE2ELNS1_3repE0EEENS1_30default_config_static_selectorELNS0_4arch9wavefront6targetE0EEEvSK_.num_named_barrier, max(0, .L_ZN7rocprim17ROCPRIM_400000_NS6detail40segmented_radix_sort_single_block_helperIslLj256ELj17ELb1EE4sortIPKsPsPKlPlEEbT_T0_T1_T2_jjjjRNS3_12storage_typeE.num_named_barrier)
	.set _ZN7rocprim17ROCPRIM_400000_NS6detail17trampoline_kernelINS0_14default_configENS1_36segmented_radix_sort_config_selectorIslEEZNS1_25segmented_radix_sort_implIS3_Lb1EPKsPsPKlPlN2at6native12_GLOBAL__N_18offset_tEEE10hipError_tPvRmT1_PNSt15iterator_traitsISK_E10value_typeET2_T3_PNSL_ISQ_E10value_typeET4_jRbjT5_SW_jjP12ihipStream_tbEUlT_E_NS1_11comp_targetILNS1_3genE8ELNS1_11target_archE1030ELNS1_3gpuE2ELNS1_3repE0EEENS1_30default_config_static_selectorELNS0_4arch9wavefront6targetE0EEEvSK_.private_seg_size, 0+max(.L_ZN7rocprim17ROCPRIM_400000_NS6detail40segmented_radix_sort_single_block_helperIslLj256ELj17ELb1EE4sortIPKsPsPKlPlEEbT_T0_T1_T2_jjjjRNS3_12storage_typeE.private_seg_size)
	.set _ZN7rocprim17ROCPRIM_400000_NS6detail17trampoline_kernelINS0_14default_configENS1_36segmented_radix_sort_config_selectorIslEEZNS1_25segmented_radix_sort_implIS3_Lb1EPKsPsPKlPlN2at6native12_GLOBAL__N_18offset_tEEE10hipError_tPvRmT1_PNSt15iterator_traitsISK_E10value_typeET2_T3_PNSL_ISQ_E10value_typeET4_jRbjT5_SW_jjP12ihipStream_tbEUlT_E_NS1_11comp_targetILNS1_3genE8ELNS1_11target_archE1030ELNS1_3gpuE2ELNS1_3repE0EEENS1_30default_config_static_selectorELNS0_4arch9wavefront6targetE0EEEvSK_.uses_vcc, or(1, .L_ZN7rocprim17ROCPRIM_400000_NS6detail40segmented_radix_sort_single_block_helperIslLj256ELj17ELb1EE4sortIPKsPsPKlPlEEbT_T0_T1_T2_jjjjRNS3_12storage_typeE.uses_vcc)
	.set _ZN7rocprim17ROCPRIM_400000_NS6detail17trampoline_kernelINS0_14default_configENS1_36segmented_radix_sort_config_selectorIslEEZNS1_25segmented_radix_sort_implIS3_Lb1EPKsPsPKlPlN2at6native12_GLOBAL__N_18offset_tEEE10hipError_tPvRmT1_PNSt15iterator_traitsISK_E10value_typeET2_T3_PNSL_ISQ_E10value_typeET4_jRbjT5_SW_jjP12ihipStream_tbEUlT_E_NS1_11comp_targetILNS1_3genE8ELNS1_11target_archE1030ELNS1_3gpuE2ELNS1_3repE0EEENS1_30default_config_static_selectorELNS0_4arch9wavefront6targetE0EEEvSK_.uses_flat_scratch, or(0, .L_ZN7rocprim17ROCPRIM_400000_NS6detail40segmented_radix_sort_single_block_helperIslLj256ELj17ELb1EE4sortIPKsPsPKlPlEEbT_T0_T1_T2_jjjjRNS3_12storage_typeE.uses_flat_scratch)
	.set _ZN7rocprim17ROCPRIM_400000_NS6detail17trampoline_kernelINS0_14default_configENS1_36segmented_radix_sort_config_selectorIslEEZNS1_25segmented_radix_sort_implIS3_Lb1EPKsPsPKlPlN2at6native12_GLOBAL__N_18offset_tEEE10hipError_tPvRmT1_PNSt15iterator_traitsISK_E10value_typeET2_T3_PNSL_ISQ_E10value_typeET4_jRbjT5_SW_jjP12ihipStream_tbEUlT_E_NS1_11comp_targetILNS1_3genE8ELNS1_11target_archE1030ELNS1_3gpuE2ELNS1_3repE0EEENS1_30default_config_static_selectorELNS0_4arch9wavefront6targetE0EEEvSK_.has_dyn_sized_stack, or(0, .L_ZN7rocprim17ROCPRIM_400000_NS6detail40segmented_radix_sort_single_block_helperIslLj256ELj17ELb1EE4sortIPKsPsPKlPlEEbT_T0_T1_T2_jjjjRNS3_12storage_typeE.has_dyn_sized_stack)
	.set _ZN7rocprim17ROCPRIM_400000_NS6detail17trampoline_kernelINS0_14default_configENS1_36segmented_radix_sort_config_selectorIslEEZNS1_25segmented_radix_sort_implIS3_Lb1EPKsPsPKlPlN2at6native12_GLOBAL__N_18offset_tEEE10hipError_tPvRmT1_PNSt15iterator_traitsISK_E10value_typeET2_T3_PNSL_ISQ_E10value_typeET4_jRbjT5_SW_jjP12ihipStream_tbEUlT_E_NS1_11comp_targetILNS1_3genE8ELNS1_11target_archE1030ELNS1_3gpuE2ELNS1_3repE0EEENS1_30default_config_static_selectorELNS0_4arch9wavefront6targetE0EEEvSK_.has_recursion, or(0, .L_ZN7rocprim17ROCPRIM_400000_NS6detail40segmented_radix_sort_single_block_helperIslLj256ELj17ELb1EE4sortIPKsPsPKlPlEEbT_T0_T1_T2_jjjjRNS3_12storage_typeE.has_recursion)
	.set _ZN7rocprim17ROCPRIM_400000_NS6detail17trampoline_kernelINS0_14default_configENS1_36segmented_radix_sort_config_selectorIslEEZNS1_25segmented_radix_sort_implIS3_Lb1EPKsPsPKlPlN2at6native12_GLOBAL__N_18offset_tEEE10hipError_tPvRmT1_PNSt15iterator_traitsISK_E10value_typeET2_T3_PNSL_ISQ_E10value_typeET4_jRbjT5_SW_jjP12ihipStream_tbEUlT_E_NS1_11comp_targetILNS1_3genE8ELNS1_11target_archE1030ELNS1_3gpuE2ELNS1_3repE0EEENS1_30default_config_static_selectorELNS0_4arch9wavefront6targetE0EEEvSK_.has_indirect_call, or(0, .L_ZN7rocprim17ROCPRIM_400000_NS6detail40segmented_radix_sort_single_block_helperIslLj256ELj17ELb1EE4sortIPKsPsPKlPlEEbT_T0_T1_T2_jjjjRNS3_12storage_typeE.has_indirect_call)
	.section	.AMDGPU.csdata,"",@progbits
; Kernel info:
; codeLenInByte = 64168
; TotalNumSgprs: 70
; NumVgprs: 248
; ScratchSize: 196
; MemoryBound: 0
; FloatMode: 240
; IeeeMode: 1
; LDSByteSize: 35344 bytes/workgroup (compile time only)
; SGPRBlocks: 0
; VGPRBlocks: 30
; NumSGPRsForWavesPerEU: 70
; NumVGPRsForWavesPerEU: 248
; Occupancy: 4
; WaveLimiterHint : 1
; COMPUTE_PGM_RSRC2:SCRATCH_EN: 1
; COMPUTE_PGM_RSRC2:USER_SGPR: 6
; COMPUTE_PGM_RSRC2:TRAP_HANDLER: 0
; COMPUTE_PGM_RSRC2:TGID_X_EN: 1
; COMPUTE_PGM_RSRC2:TGID_Y_EN: 1
; COMPUTE_PGM_RSRC2:TGID_Z_EN: 0
; COMPUTE_PGM_RSRC2:TIDIG_COMP_CNT: 2
	.section	.text._ZN7rocprim17ROCPRIM_400000_NS6detail17trampoline_kernelINS0_14default_configENS1_36segmented_radix_sort_config_selectorIslEEZNS1_25segmented_radix_sort_implIS3_Lb1EPKsPsPKlPlN2at6native12_GLOBAL__N_18offset_tEEE10hipError_tPvRmT1_PNSt15iterator_traitsISK_E10value_typeET2_T3_PNSL_ISQ_E10value_typeET4_jRbjT5_SW_jjP12ihipStream_tbEUlT_E0_NS1_11comp_targetILNS1_3genE0ELNS1_11target_archE4294967295ELNS1_3gpuE0ELNS1_3repE0EEENS1_60segmented_radix_sort_warp_sort_medium_config_static_selectorELNS0_4arch9wavefront6targetE0EEEvSK_,"axG",@progbits,_ZN7rocprim17ROCPRIM_400000_NS6detail17trampoline_kernelINS0_14default_configENS1_36segmented_radix_sort_config_selectorIslEEZNS1_25segmented_radix_sort_implIS3_Lb1EPKsPsPKlPlN2at6native12_GLOBAL__N_18offset_tEEE10hipError_tPvRmT1_PNSt15iterator_traitsISK_E10value_typeET2_T3_PNSL_ISQ_E10value_typeET4_jRbjT5_SW_jjP12ihipStream_tbEUlT_E0_NS1_11comp_targetILNS1_3genE0ELNS1_11target_archE4294967295ELNS1_3gpuE0ELNS1_3repE0EEENS1_60segmented_radix_sort_warp_sort_medium_config_static_selectorELNS0_4arch9wavefront6targetE0EEEvSK_,comdat
	.globl	_ZN7rocprim17ROCPRIM_400000_NS6detail17trampoline_kernelINS0_14default_configENS1_36segmented_radix_sort_config_selectorIslEEZNS1_25segmented_radix_sort_implIS3_Lb1EPKsPsPKlPlN2at6native12_GLOBAL__N_18offset_tEEE10hipError_tPvRmT1_PNSt15iterator_traitsISK_E10value_typeET2_T3_PNSL_ISQ_E10value_typeET4_jRbjT5_SW_jjP12ihipStream_tbEUlT_E0_NS1_11comp_targetILNS1_3genE0ELNS1_11target_archE4294967295ELNS1_3gpuE0ELNS1_3repE0EEENS1_60segmented_radix_sort_warp_sort_medium_config_static_selectorELNS0_4arch9wavefront6targetE0EEEvSK_ ; -- Begin function _ZN7rocprim17ROCPRIM_400000_NS6detail17trampoline_kernelINS0_14default_configENS1_36segmented_radix_sort_config_selectorIslEEZNS1_25segmented_radix_sort_implIS3_Lb1EPKsPsPKlPlN2at6native12_GLOBAL__N_18offset_tEEE10hipError_tPvRmT1_PNSt15iterator_traitsISK_E10value_typeET2_T3_PNSL_ISQ_E10value_typeET4_jRbjT5_SW_jjP12ihipStream_tbEUlT_E0_NS1_11comp_targetILNS1_3genE0ELNS1_11target_archE4294967295ELNS1_3gpuE0ELNS1_3repE0EEENS1_60segmented_radix_sort_warp_sort_medium_config_static_selectorELNS0_4arch9wavefront6targetE0EEEvSK_
	.p2align	8
	.type	_ZN7rocprim17ROCPRIM_400000_NS6detail17trampoline_kernelINS0_14default_configENS1_36segmented_radix_sort_config_selectorIslEEZNS1_25segmented_radix_sort_implIS3_Lb1EPKsPsPKlPlN2at6native12_GLOBAL__N_18offset_tEEE10hipError_tPvRmT1_PNSt15iterator_traitsISK_E10value_typeET2_T3_PNSL_ISQ_E10value_typeET4_jRbjT5_SW_jjP12ihipStream_tbEUlT_E0_NS1_11comp_targetILNS1_3genE0ELNS1_11target_archE4294967295ELNS1_3gpuE0ELNS1_3repE0EEENS1_60segmented_radix_sort_warp_sort_medium_config_static_selectorELNS0_4arch9wavefront6targetE0EEEvSK_,@function
_ZN7rocprim17ROCPRIM_400000_NS6detail17trampoline_kernelINS0_14default_configENS1_36segmented_radix_sort_config_selectorIslEEZNS1_25segmented_radix_sort_implIS3_Lb1EPKsPsPKlPlN2at6native12_GLOBAL__N_18offset_tEEE10hipError_tPvRmT1_PNSt15iterator_traitsISK_E10value_typeET2_T3_PNSL_ISQ_E10value_typeET4_jRbjT5_SW_jjP12ihipStream_tbEUlT_E0_NS1_11comp_targetILNS1_3genE0ELNS1_11target_archE4294967295ELNS1_3gpuE0ELNS1_3repE0EEENS1_60segmented_radix_sort_warp_sort_medium_config_static_selectorELNS0_4arch9wavefront6targetE0EEEvSK_: ; @_ZN7rocprim17ROCPRIM_400000_NS6detail17trampoline_kernelINS0_14default_configENS1_36segmented_radix_sort_config_selectorIslEEZNS1_25segmented_radix_sort_implIS3_Lb1EPKsPsPKlPlN2at6native12_GLOBAL__N_18offset_tEEE10hipError_tPvRmT1_PNSt15iterator_traitsISK_E10value_typeET2_T3_PNSL_ISQ_E10value_typeET4_jRbjT5_SW_jjP12ihipStream_tbEUlT_E0_NS1_11comp_targetILNS1_3genE0ELNS1_11target_archE4294967295ELNS1_3gpuE0ELNS1_3repE0EEENS1_60segmented_radix_sort_warp_sort_medium_config_static_selectorELNS0_4arch9wavefront6targetE0EEEvSK_
; %bb.0:
	.section	.rodata,"a",@progbits
	.p2align	6, 0x0
	.amdhsa_kernel _ZN7rocprim17ROCPRIM_400000_NS6detail17trampoline_kernelINS0_14default_configENS1_36segmented_radix_sort_config_selectorIslEEZNS1_25segmented_radix_sort_implIS3_Lb1EPKsPsPKlPlN2at6native12_GLOBAL__N_18offset_tEEE10hipError_tPvRmT1_PNSt15iterator_traitsISK_E10value_typeET2_T3_PNSL_ISQ_E10value_typeET4_jRbjT5_SW_jjP12ihipStream_tbEUlT_E0_NS1_11comp_targetILNS1_3genE0ELNS1_11target_archE4294967295ELNS1_3gpuE0ELNS1_3repE0EEENS1_60segmented_radix_sort_warp_sort_medium_config_static_selectorELNS0_4arch9wavefront6targetE0EEEvSK_
		.amdhsa_group_segment_fixed_size 0
		.amdhsa_private_segment_fixed_size 0
		.amdhsa_kernarg_size 88
		.amdhsa_user_sgpr_count 6
		.amdhsa_user_sgpr_private_segment_buffer 1
		.amdhsa_user_sgpr_dispatch_ptr 0
		.amdhsa_user_sgpr_queue_ptr 0
		.amdhsa_user_sgpr_kernarg_segment_ptr 1
		.amdhsa_user_sgpr_dispatch_id 0
		.amdhsa_user_sgpr_flat_scratch_init 0
		.amdhsa_user_sgpr_private_segment_size 0
		.amdhsa_wavefront_size32 1
		.amdhsa_uses_dynamic_stack 0
		.amdhsa_system_sgpr_private_segment_wavefront_offset 0
		.amdhsa_system_sgpr_workgroup_id_x 1
		.amdhsa_system_sgpr_workgroup_id_y 0
		.amdhsa_system_sgpr_workgroup_id_z 0
		.amdhsa_system_sgpr_workgroup_info 0
		.amdhsa_system_vgpr_workitem_id 0
		.amdhsa_next_free_vgpr 1
		.amdhsa_next_free_sgpr 1
		.amdhsa_reserve_vcc 0
		.amdhsa_reserve_flat_scratch 0
		.amdhsa_float_round_mode_32 0
		.amdhsa_float_round_mode_16_64 0
		.amdhsa_float_denorm_mode_32 3
		.amdhsa_float_denorm_mode_16_64 3
		.amdhsa_dx10_clamp 1
		.amdhsa_ieee_mode 1
		.amdhsa_fp16_overflow 0
		.amdhsa_workgroup_processor_mode 1
		.amdhsa_memory_ordered 1
		.amdhsa_forward_progress 1
		.amdhsa_shared_vgpr_count 0
		.amdhsa_exception_fp_ieee_invalid_op 0
		.amdhsa_exception_fp_denorm_src 0
		.amdhsa_exception_fp_ieee_div_zero 0
		.amdhsa_exception_fp_ieee_overflow 0
		.amdhsa_exception_fp_ieee_underflow 0
		.amdhsa_exception_fp_ieee_inexact 0
		.amdhsa_exception_int_div_zero 0
	.end_amdhsa_kernel
	.section	.text._ZN7rocprim17ROCPRIM_400000_NS6detail17trampoline_kernelINS0_14default_configENS1_36segmented_radix_sort_config_selectorIslEEZNS1_25segmented_radix_sort_implIS3_Lb1EPKsPsPKlPlN2at6native12_GLOBAL__N_18offset_tEEE10hipError_tPvRmT1_PNSt15iterator_traitsISK_E10value_typeET2_T3_PNSL_ISQ_E10value_typeET4_jRbjT5_SW_jjP12ihipStream_tbEUlT_E0_NS1_11comp_targetILNS1_3genE0ELNS1_11target_archE4294967295ELNS1_3gpuE0ELNS1_3repE0EEENS1_60segmented_radix_sort_warp_sort_medium_config_static_selectorELNS0_4arch9wavefront6targetE0EEEvSK_,"axG",@progbits,_ZN7rocprim17ROCPRIM_400000_NS6detail17trampoline_kernelINS0_14default_configENS1_36segmented_radix_sort_config_selectorIslEEZNS1_25segmented_radix_sort_implIS3_Lb1EPKsPsPKlPlN2at6native12_GLOBAL__N_18offset_tEEE10hipError_tPvRmT1_PNSt15iterator_traitsISK_E10value_typeET2_T3_PNSL_ISQ_E10value_typeET4_jRbjT5_SW_jjP12ihipStream_tbEUlT_E0_NS1_11comp_targetILNS1_3genE0ELNS1_11target_archE4294967295ELNS1_3gpuE0ELNS1_3repE0EEENS1_60segmented_radix_sort_warp_sort_medium_config_static_selectorELNS0_4arch9wavefront6targetE0EEEvSK_,comdat
.Lfunc_end915:
	.size	_ZN7rocprim17ROCPRIM_400000_NS6detail17trampoline_kernelINS0_14default_configENS1_36segmented_radix_sort_config_selectorIslEEZNS1_25segmented_radix_sort_implIS3_Lb1EPKsPsPKlPlN2at6native12_GLOBAL__N_18offset_tEEE10hipError_tPvRmT1_PNSt15iterator_traitsISK_E10value_typeET2_T3_PNSL_ISQ_E10value_typeET4_jRbjT5_SW_jjP12ihipStream_tbEUlT_E0_NS1_11comp_targetILNS1_3genE0ELNS1_11target_archE4294967295ELNS1_3gpuE0ELNS1_3repE0EEENS1_60segmented_radix_sort_warp_sort_medium_config_static_selectorELNS0_4arch9wavefront6targetE0EEEvSK_, .Lfunc_end915-_ZN7rocprim17ROCPRIM_400000_NS6detail17trampoline_kernelINS0_14default_configENS1_36segmented_radix_sort_config_selectorIslEEZNS1_25segmented_radix_sort_implIS3_Lb1EPKsPsPKlPlN2at6native12_GLOBAL__N_18offset_tEEE10hipError_tPvRmT1_PNSt15iterator_traitsISK_E10value_typeET2_T3_PNSL_ISQ_E10value_typeET4_jRbjT5_SW_jjP12ihipStream_tbEUlT_E0_NS1_11comp_targetILNS1_3genE0ELNS1_11target_archE4294967295ELNS1_3gpuE0ELNS1_3repE0EEENS1_60segmented_radix_sort_warp_sort_medium_config_static_selectorELNS0_4arch9wavefront6targetE0EEEvSK_
                                        ; -- End function
	.set _ZN7rocprim17ROCPRIM_400000_NS6detail17trampoline_kernelINS0_14default_configENS1_36segmented_radix_sort_config_selectorIslEEZNS1_25segmented_radix_sort_implIS3_Lb1EPKsPsPKlPlN2at6native12_GLOBAL__N_18offset_tEEE10hipError_tPvRmT1_PNSt15iterator_traitsISK_E10value_typeET2_T3_PNSL_ISQ_E10value_typeET4_jRbjT5_SW_jjP12ihipStream_tbEUlT_E0_NS1_11comp_targetILNS1_3genE0ELNS1_11target_archE4294967295ELNS1_3gpuE0ELNS1_3repE0EEENS1_60segmented_radix_sort_warp_sort_medium_config_static_selectorELNS0_4arch9wavefront6targetE0EEEvSK_.num_vgpr, 0
	.set _ZN7rocprim17ROCPRIM_400000_NS6detail17trampoline_kernelINS0_14default_configENS1_36segmented_radix_sort_config_selectorIslEEZNS1_25segmented_radix_sort_implIS3_Lb1EPKsPsPKlPlN2at6native12_GLOBAL__N_18offset_tEEE10hipError_tPvRmT1_PNSt15iterator_traitsISK_E10value_typeET2_T3_PNSL_ISQ_E10value_typeET4_jRbjT5_SW_jjP12ihipStream_tbEUlT_E0_NS1_11comp_targetILNS1_3genE0ELNS1_11target_archE4294967295ELNS1_3gpuE0ELNS1_3repE0EEENS1_60segmented_radix_sort_warp_sort_medium_config_static_selectorELNS0_4arch9wavefront6targetE0EEEvSK_.num_agpr, 0
	.set _ZN7rocprim17ROCPRIM_400000_NS6detail17trampoline_kernelINS0_14default_configENS1_36segmented_radix_sort_config_selectorIslEEZNS1_25segmented_radix_sort_implIS3_Lb1EPKsPsPKlPlN2at6native12_GLOBAL__N_18offset_tEEE10hipError_tPvRmT1_PNSt15iterator_traitsISK_E10value_typeET2_T3_PNSL_ISQ_E10value_typeET4_jRbjT5_SW_jjP12ihipStream_tbEUlT_E0_NS1_11comp_targetILNS1_3genE0ELNS1_11target_archE4294967295ELNS1_3gpuE0ELNS1_3repE0EEENS1_60segmented_radix_sort_warp_sort_medium_config_static_selectorELNS0_4arch9wavefront6targetE0EEEvSK_.numbered_sgpr, 0
	.set _ZN7rocprim17ROCPRIM_400000_NS6detail17trampoline_kernelINS0_14default_configENS1_36segmented_radix_sort_config_selectorIslEEZNS1_25segmented_radix_sort_implIS3_Lb1EPKsPsPKlPlN2at6native12_GLOBAL__N_18offset_tEEE10hipError_tPvRmT1_PNSt15iterator_traitsISK_E10value_typeET2_T3_PNSL_ISQ_E10value_typeET4_jRbjT5_SW_jjP12ihipStream_tbEUlT_E0_NS1_11comp_targetILNS1_3genE0ELNS1_11target_archE4294967295ELNS1_3gpuE0ELNS1_3repE0EEENS1_60segmented_radix_sort_warp_sort_medium_config_static_selectorELNS0_4arch9wavefront6targetE0EEEvSK_.num_named_barrier, 0
	.set _ZN7rocprim17ROCPRIM_400000_NS6detail17trampoline_kernelINS0_14default_configENS1_36segmented_radix_sort_config_selectorIslEEZNS1_25segmented_radix_sort_implIS3_Lb1EPKsPsPKlPlN2at6native12_GLOBAL__N_18offset_tEEE10hipError_tPvRmT1_PNSt15iterator_traitsISK_E10value_typeET2_T3_PNSL_ISQ_E10value_typeET4_jRbjT5_SW_jjP12ihipStream_tbEUlT_E0_NS1_11comp_targetILNS1_3genE0ELNS1_11target_archE4294967295ELNS1_3gpuE0ELNS1_3repE0EEENS1_60segmented_radix_sort_warp_sort_medium_config_static_selectorELNS0_4arch9wavefront6targetE0EEEvSK_.private_seg_size, 0
	.set _ZN7rocprim17ROCPRIM_400000_NS6detail17trampoline_kernelINS0_14default_configENS1_36segmented_radix_sort_config_selectorIslEEZNS1_25segmented_radix_sort_implIS3_Lb1EPKsPsPKlPlN2at6native12_GLOBAL__N_18offset_tEEE10hipError_tPvRmT1_PNSt15iterator_traitsISK_E10value_typeET2_T3_PNSL_ISQ_E10value_typeET4_jRbjT5_SW_jjP12ihipStream_tbEUlT_E0_NS1_11comp_targetILNS1_3genE0ELNS1_11target_archE4294967295ELNS1_3gpuE0ELNS1_3repE0EEENS1_60segmented_radix_sort_warp_sort_medium_config_static_selectorELNS0_4arch9wavefront6targetE0EEEvSK_.uses_vcc, 0
	.set _ZN7rocprim17ROCPRIM_400000_NS6detail17trampoline_kernelINS0_14default_configENS1_36segmented_radix_sort_config_selectorIslEEZNS1_25segmented_radix_sort_implIS3_Lb1EPKsPsPKlPlN2at6native12_GLOBAL__N_18offset_tEEE10hipError_tPvRmT1_PNSt15iterator_traitsISK_E10value_typeET2_T3_PNSL_ISQ_E10value_typeET4_jRbjT5_SW_jjP12ihipStream_tbEUlT_E0_NS1_11comp_targetILNS1_3genE0ELNS1_11target_archE4294967295ELNS1_3gpuE0ELNS1_3repE0EEENS1_60segmented_radix_sort_warp_sort_medium_config_static_selectorELNS0_4arch9wavefront6targetE0EEEvSK_.uses_flat_scratch, 0
	.set _ZN7rocprim17ROCPRIM_400000_NS6detail17trampoline_kernelINS0_14default_configENS1_36segmented_radix_sort_config_selectorIslEEZNS1_25segmented_radix_sort_implIS3_Lb1EPKsPsPKlPlN2at6native12_GLOBAL__N_18offset_tEEE10hipError_tPvRmT1_PNSt15iterator_traitsISK_E10value_typeET2_T3_PNSL_ISQ_E10value_typeET4_jRbjT5_SW_jjP12ihipStream_tbEUlT_E0_NS1_11comp_targetILNS1_3genE0ELNS1_11target_archE4294967295ELNS1_3gpuE0ELNS1_3repE0EEENS1_60segmented_radix_sort_warp_sort_medium_config_static_selectorELNS0_4arch9wavefront6targetE0EEEvSK_.has_dyn_sized_stack, 0
	.set _ZN7rocprim17ROCPRIM_400000_NS6detail17trampoline_kernelINS0_14default_configENS1_36segmented_radix_sort_config_selectorIslEEZNS1_25segmented_radix_sort_implIS3_Lb1EPKsPsPKlPlN2at6native12_GLOBAL__N_18offset_tEEE10hipError_tPvRmT1_PNSt15iterator_traitsISK_E10value_typeET2_T3_PNSL_ISQ_E10value_typeET4_jRbjT5_SW_jjP12ihipStream_tbEUlT_E0_NS1_11comp_targetILNS1_3genE0ELNS1_11target_archE4294967295ELNS1_3gpuE0ELNS1_3repE0EEENS1_60segmented_radix_sort_warp_sort_medium_config_static_selectorELNS0_4arch9wavefront6targetE0EEEvSK_.has_recursion, 0
	.set _ZN7rocprim17ROCPRIM_400000_NS6detail17trampoline_kernelINS0_14default_configENS1_36segmented_radix_sort_config_selectorIslEEZNS1_25segmented_radix_sort_implIS3_Lb1EPKsPsPKlPlN2at6native12_GLOBAL__N_18offset_tEEE10hipError_tPvRmT1_PNSt15iterator_traitsISK_E10value_typeET2_T3_PNSL_ISQ_E10value_typeET4_jRbjT5_SW_jjP12ihipStream_tbEUlT_E0_NS1_11comp_targetILNS1_3genE0ELNS1_11target_archE4294967295ELNS1_3gpuE0ELNS1_3repE0EEENS1_60segmented_radix_sort_warp_sort_medium_config_static_selectorELNS0_4arch9wavefront6targetE0EEEvSK_.has_indirect_call, 0
	.section	.AMDGPU.csdata,"",@progbits
; Kernel info:
; codeLenInByte = 0
; TotalNumSgprs: 0
; NumVgprs: 0
; ScratchSize: 0
; MemoryBound: 0
; FloatMode: 240
; IeeeMode: 1
; LDSByteSize: 0 bytes/workgroup (compile time only)
; SGPRBlocks: 0
; VGPRBlocks: 0
; NumSGPRsForWavesPerEU: 1
; NumVGPRsForWavesPerEU: 1
; Occupancy: 16
; WaveLimiterHint : 0
; COMPUTE_PGM_RSRC2:SCRATCH_EN: 0
; COMPUTE_PGM_RSRC2:USER_SGPR: 6
; COMPUTE_PGM_RSRC2:TRAP_HANDLER: 0
; COMPUTE_PGM_RSRC2:TGID_X_EN: 1
; COMPUTE_PGM_RSRC2:TGID_Y_EN: 0
; COMPUTE_PGM_RSRC2:TGID_Z_EN: 0
; COMPUTE_PGM_RSRC2:TIDIG_COMP_CNT: 0
	.section	.text._ZN7rocprim17ROCPRIM_400000_NS6detail17trampoline_kernelINS0_14default_configENS1_36segmented_radix_sort_config_selectorIslEEZNS1_25segmented_radix_sort_implIS3_Lb1EPKsPsPKlPlN2at6native12_GLOBAL__N_18offset_tEEE10hipError_tPvRmT1_PNSt15iterator_traitsISK_E10value_typeET2_T3_PNSL_ISQ_E10value_typeET4_jRbjT5_SW_jjP12ihipStream_tbEUlT_E0_NS1_11comp_targetILNS1_3genE5ELNS1_11target_archE942ELNS1_3gpuE9ELNS1_3repE0EEENS1_60segmented_radix_sort_warp_sort_medium_config_static_selectorELNS0_4arch9wavefront6targetE0EEEvSK_,"axG",@progbits,_ZN7rocprim17ROCPRIM_400000_NS6detail17trampoline_kernelINS0_14default_configENS1_36segmented_radix_sort_config_selectorIslEEZNS1_25segmented_radix_sort_implIS3_Lb1EPKsPsPKlPlN2at6native12_GLOBAL__N_18offset_tEEE10hipError_tPvRmT1_PNSt15iterator_traitsISK_E10value_typeET2_T3_PNSL_ISQ_E10value_typeET4_jRbjT5_SW_jjP12ihipStream_tbEUlT_E0_NS1_11comp_targetILNS1_3genE5ELNS1_11target_archE942ELNS1_3gpuE9ELNS1_3repE0EEENS1_60segmented_radix_sort_warp_sort_medium_config_static_selectorELNS0_4arch9wavefront6targetE0EEEvSK_,comdat
	.globl	_ZN7rocprim17ROCPRIM_400000_NS6detail17trampoline_kernelINS0_14default_configENS1_36segmented_radix_sort_config_selectorIslEEZNS1_25segmented_radix_sort_implIS3_Lb1EPKsPsPKlPlN2at6native12_GLOBAL__N_18offset_tEEE10hipError_tPvRmT1_PNSt15iterator_traitsISK_E10value_typeET2_T3_PNSL_ISQ_E10value_typeET4_jRbjT5_SW_jjP12ihipStream_tbEUlT_E0_NS1_11comp_targetILNS1_3genE5ELNS1_11target_archE942ELNS1_3gpuE9ELNS1_3repE0EEENS1_60segmented_radix_sort_warp_sort_medium_config_static_selectorELNS0_4arch9wavefront6targetE0EEEvSK_ ; -- Begin function _ZN7rocprim17ROCPRIM_400000_NS6detail17trampoline_kernelINS0_14default_configENS1_36segmented_radix_sort_config_selectorIslEEZNS1_25segmented_radix_sort_implIS3_Lb1EPKsPsPKlPlN2at6native12_GLOBAL__N_18offset_tEEE10hipError_tPvRmT1_PNSt15iterator_traitsISK_E10value_typeET2_T3_PNSL_ISQ_E10value_typeET4_jRbjT5_SW_jjP12ihipStream_tbEUlT_E0_NS1_11comp_targetILNS1_3genE5ELNS1_11target_archE942ELNS1_3gpuE9ELNS1_3repE0EEENS1_60segmented_radix_sort_warp_sort_medium_config_static_selectorELNS0_4arch9wavefront6targetE0EEEvSK_
	.p2align	8
	.type	_ZN7rocprim17ROCPRIM_400000_NS6detail17trampoline_kernelINS0_14default_configENS1_36segmented_radix_sort_config_selectorIslEEZNS1_25segmented_radix_sort_implIS3_Lb1EPKsPsPKlPlN2at6native12_GLOBAL__N_18offset_tEEE10hipError_tPvRmT1_PNSt15iterator_traitsISK_E10value_typeET2_T3_PNSL_ISQ_E10value_typeET4_jRbjT5_SW_jjP12ihipStream_tbEUlT_E0_NS1_11comp_targetILNS1_3genE5ELNS1_11target_archE942ELNS1_3gpuE9ELNS1_3repE0EEENS1_60segmented_radix_sort_warp_sort_medium_config_static_selectorELNS0_4arch9wavefront6targetE0EEEvSK_,@function
_ZN7rocprim17ROCPRIM_400000_NS6detail17trampoline_kernelINS0_14default_configENS1_36segmented_radix_sort_config_selectorIslEEZNS1_25segmented_radix_sort_implIS3_Lb1EPKsPsPKlPlN2at6native12_GLOBAL__N_18offset_tEEE10hipError_tPvRmT1_PNSt15iterator_traitsISK_E10value_typeET2_T3_PNSL_ISQ_E10value_typeET4_jRbjT5_SW_jjP12ihipStream_tbEUlT_E0_NS1_11comp_targetILNS1_3genE5ELNS1_11target_archE942ELNS1_3gpuE9ELNS1_3repE0EEENS1_60segmented_radix_sort_warp_sort_medium_config_static_selectorELNS0_4arch9wavefront6targetE0EEEvSK_: ; @_ZN7rocprim17ROCPRIM_400000_NS6detail17trampoline_kernelINS0_14default_configENS1_36segmented_radix_sort_config_selectorIslEEZNS1_25segmented_radix_sort_implIS3_Lb1EPKsPsPKlPlN2at6native12_GLOBAL__N_18offset_tEEE10hipError_tPvRmT1_PNSt15iterator_traitsISK_E10value_typeET2_T3_PNSL_ISQ_E10value_typeET4_jRbjT5_SW_jjP12ihipStream_tbEUlT_E0_NS1_11comp_targetILNS1_3genE5ELNS1_11target_archE942ELNS1_3gpuE9ELNS1_3repE0EEENS1_60segmented_radix_sort_warp_sort_medium_config_static_selectorELNS0_4arch9wavefront6targetE0EEEvSK_
; %bb.0:
	.section	.rodata,"a",@progbits
	.p2align	6, 0x0
	.amdhsa_kernel _ZN7rocprim17ROCPRIM_400000_NS6detail17trampoline_kernelINS0_14default_configENS1_36segmented_radix_sort_config_selectorIslEEZNS1_25segmented_radix_sort_implIS3_Lb1EPKsPsPKlPlN2at6native12_GLOBAL__N_18offset_tEEE10hipError_tPvRmT1_PNSt15iterator_traitsISK_E10value_typeET2_T3_PNSL_ISQ_E10value_typeET4_jRbjT5_SW_jjP12ihipStream_tbEUlT_E0_NS1_11comp_targetILNS1_3genE5ELNS1_11target_archE942ELNS1_3gpuE9ELNS1_3repE0EEENS1_60segmented_radix_sort_warp_sort_medium_config_static_selectorELNS0_4arch9wavefront6targetE0EEEvSK_
		.amdhsa_group_segment_fixed_size 0
		.amdhsa_private_segment_fixed_size 0
		.amdhsa_kernarg_size 88
		.amdhsa_user_sgpr_count 6
		.amdhsa_user_sgpr_private_segment_buffer 1
		.amdhsa_user_sgpr_dispatch_ptr 0
		.amdhsa_user_sgpr_queue_ptr 0
		.amdhsa_user_sgpr_kernarg_segment_ptr 1
		.amdhsa_user_sgpr_dispatch_id 0
		.amdhsa_user_sgpr_flat_scratch_init 0
		.amdhsa_user_sgpr_private_segment_size 0
		.amdhsa_wavefront_size32 1
		.amdhsa_uses_dynamic_stack 0
		.amdhsa_system_sgpr_private_segment_wavefront_offset 0
		.amdhsa_system_sgpr_workgroup_id_x 1
		.amdhsa_system_sgpr_workgroup_id_y 0
		.amdhsa_system_sgpr_workgroup_id_z 0
		.amdhsa_system_sgpr_workgroup_info 0
		.amdhsa_system_vgpr_workitem_id 0
		.amdhsa_next_free_vgpr 1
		.amdhsa_next_free_sgpr 1
		.amdhsa_reserve_vcc 0
		.amdhsa_reserve_flat_scratch 0
		.amdhsa_float_round_mode_32 0
		.amdhsa_float_round_mode_16_64 0
		.amdhsa_float_denorm_mode_32 3
		.amdhsa_float_denorm_mode_16_64 3
		.amdhsa_dx10_clamp 1
		.amdhsa_ieee_mode 1
		.amdhsa_fp16_overflow 0
		.amdhsa_workgroup_processor_mode 1
		.amdhsa_memory_ordered 1
		.amdhsa_forward_progress 1
		.amdhsa_shared_vgpr_count 0
		.amdhsa_exception_fp_ieee_invalid_op 0
		.amdhsa_exception_fp_denorm_src 0
		.amdhsa_exception_fp_ieee_div_zero 0
		.amdhsa_exception_fp_ieee_overflow 0
		.amdhsa_exception_fp_ieee_underflow 0
		.amdhsa_exception_fp_ieee_inexact 0
		.amdhsa_exception_int_div_zero 0
	.end_amdhsa_kernel
	.section	.text._ZN7rocprim17ROCPRIM_400000_NS6detail17trampoline_kernelINS0_14default_configENS1_36segmented_radix_sort_config_selectorIslEEZNS1_25segmented_radix_sort_implIS3_Lb1EPKsPsPKlPlN2at6native12_GLOBAL__N_18offset_tEEE10hipError_tPvRmT1_PNSt15iterator_traitsISK_E10value_typeET2_T3_PNSL_ISQ_E10value_typeET4_jRbjT5_SW_jjP12ihipStream_tbEUlT_E0_NS1_11comp_targetILNS1_3genE5ELNS1_11target_archE942ELNS1_3gpuE9ELNS1_3repE0EEENS1_60segmented_radix_sort_warp_sort_medium_config_static_selectorELNS0_4arch9wavefront6targetE0EEEvSK_,"axG",@progbits,_ZN7rocprim17ROCPRIM_400000_NS6detail17trampoline_kernelINS0_14default_configENS1_36segmented_radix_sort_config_selectorIslEEZNS1_25segmented_radix_sort_implIS3_Lb1EPKsPsPKlPlN2at6native12_GLOBAL__N_18offset_tEEE10hipError_tPvRmT1_PNSt15iterator_traitsISK_E10value_typeET2_T3_PNSL_ISQ_E10value_typeET4_jRbjT5_SW_jjP12ihipStream_tbEUlT_E0_NS1_11comp_targetILNS1_3genE5ELNS1_11target_archE942ELNS1_3gpuE9ELNS1_3repE0EEENS1_60segmented_radix_sort_warp_sort_medium_config_static_selectorELNS0_4arch9wavefront6targetE0EEEvSK_,comdat
.Lfunc_end916:
	.size	_ZN7rocprim17ROCPRIM_400000_NS6detail17trampoline_kernelINS0_14default_configENS1_36segmented_radix_sort_config_selectorIslEEZNS1_25segmented_radix_sort_implIS3_Lb1EPKsPsPKlPlN2at6native12_GLOBAL__N_18offset_tEEE10hipError_tPvRmT1_PNSt15iterator_traitsISK_E10value_typeET2_T3_PNSL_ISQ_E10value_typeET4_jRbjT5_SW_jjP12ihipStream_tbEUlT_E0_NS1_11comp_targetILNS1_3genE5ELNS1_11target_archE942ELNS1_3gpuE9ELNS1_3repE0EEENS1_60segmented_radix_sort_warp_sort_medium_config_static_selectorELNS0_4arch9wavefront6targetE0EEEvSK_, .Lfunc_end916-_ZN7rocprim17ROCPRIM_400000_NS6detail17trampoline_kernelINS0_14default_configENS1_36segmented_radix_sort_config_selectorIslEEZNS1_25segmented_radix_sort_implIS3_Lb1EPKsPsPKlPlN2at6native12_GLOBAL__N_18offset_tEEE10hipError_tPvRmT1_PNSt15iterator_traitsISK_E10value_typeET2_T3_PNSL_ISQ_E10value_typeET4_jRbjT5_SW_jjP12ihipStream_tbEUlT_E0_NS1_11comp_targetILNS1_3genE5ELNS1_11target_archE942ELNS1_3gpuE9ELNS1_3repE0EEENS1_60segmented_radix_sort_warp_sort_medium_config_static_selectorELNS0_4arch9wavefront6targetE0EEEvSK_
                                        ; -- End function
	.set _ZN7rocprim17ROCPRIM_400000_NS6detail17trampoline_kernelINS0_14default_configENS1_36segmented_radix_sort_config_selectorIslEEZNS1_25segmented_radix_sort_implIS3_Lb1EPKsPsPKlPlN2at6native12_GLOBAL__N_18offset_tEEE10hipError_tPvRmT1_PNSt15iterator_traitsISK_E10value_typeET2_T3_PNSL_ISQ_E10value_typeET4_jRbjT5_SW_jjP12ihipStream_tbEUlT_E0_NS1_11comp_targetILNS1_3genE5ELNS1_11target_archE942ELNS1_3gpuE9ELNS1_3repE0EEENS1_60segmented_radix_sort_warp_sort_medium_config_static_selectorELNS0_4arch9wavefront6targetE0EEEvSK_.num_vgpr, 0
	.set _ZN7rocprim17ROCPRIM_400000_NS6detail17trampoline_kernelINS0_14default_configENS1_36segmented_radix_sort_config_selectorIslEEZNS1_25segmented_radix_sort_implIS3_Lb1EPKsPsPKlPlN2at6native12_GLOBAL__N_18offset_tEEE10hipError_tPvRmT1_PNSt15iterator_traitsISK_E10value_typeET2_T3_PNSL_ISQ_E10value_typeET4_jRbjT5_SW_jjP12ihipStream_tbEUlT_E0_NS1_11comp_targetILNS1_3genE5ELNS1_11target_archE942ELNS1_3gpuE9ELNS1_3repE0EEENS1_60segmented_radix_sort_warp_sort_medium_config_static_selectorELNS0_4arch9wavefront6targetE0EEEvSK_.num_agpr, 0
	.set _ZN7rocprim17ROCPRIM_400000_NS6detail17trampoline_kernelINS0_14default_configENS1_36segmented_radix_sort_config_selectorIslEEZNS1_25segmented_radix_sort_implIS3_Lb1EPKsPsPKlPlN2at6native12_GLOBAL__N_18offset_tEEE10hipError_tPvRmT1_PNSt15iterator_traitsISK_E10value_typeET2_T3_PNSL_ISQ_E10value_typeET4_jRbjT5_SW_jjP12ihipStream_tbEUlT_E0_NS1_11comp_targetILNS1_3genE5ELNS1_11target_archE942ELNS1_3gpuE9ELNS1_3repE0EEENS1_60segmented_radix_sort_warp_sort_medium_config_static_selectorELNS0_4arch9wavefront6targetE0EEEvSK_.numbered_sgpr, 0
	.set _ZN7rocprim17ROCPRIM_400000_NS6detail17trampoline_kernelINS0_14default_configENS1_36segmented_radix_sort_config_selectorIslEEZNS1_25segmented_radix_sort_implIS3_Lb1EPKsPsPKlPlN2at6native12_GLOBAL__N_18offset_tEEE10hipError_tPvRmT1_PNSt15iterator_traitsISK_E10value_typeET2_T3_PNSL_ISQ_E10value_typeET4_jRbjT5_SW_jjP12ihipStream_tbEUlT_E0_NS1_11comp_targetILNS1_3genE5ELNS1_11target_archE942ELNS1_3gpuE9ELNS1_3repE0EEENS1_60segmented_radix_sort_warp_sort_medium_config_static_selectorELNS0_4arch9wavefront6targetE0EEEvSK_.num_named_barrier, 0
	.set _ZN7rocprim17ROCPRIM_400000_NS6detail17trampoline_kernelINS0_14default_configENS1_36segmented_radix_sort_config_selectorIslEEZNS1_25segmented_radix_sort_implIS3_Lb1EPKsPsPKlPlN2at6native12_GLOBAL__N_18offset_tEEE10hipError_tPvRmT1_PNSt15iterator_traitsISK_E10value_typeET2_T3_PNSL_ISQ_E10value_typeET4_jRbjT5_SW_jjP12ihipStream_tbEUlT_E0_NS1_11comp_targetILNS1_3genE5ELNS1_11target_archE942ELNS1_3gpuE9ELNS1_3repE0EEENS1_60segmented_radix_sort_warp_sort_medium_config_static_selectorELNS0_4arch9wavefront6targetE0EEEvSK_.private_seg_size, 0
	.set _ZN7rocprim17ROCPRIM_400000_NS6detail17trampoline_kernelINS0_14default_configENS1_36segmented_radix_sort_config_selectorIslEEZNS1_25segmented_radix_sort_implIS3_Lb1EPKsPsPKlPlN2at6native12_GLOBAL__N_18offset_tEEE10hipError_tPvRmT1_PNSt15iterator_traitsISK_E10value_typeET2_T3_PNSL_ISQ_E10value_typeET4_jRbjT5_SW_jjP12ihipStream_tbEUlT_E0_NS1_11comp_targetILNS1_3genE5ELNS1_11target_archE942ELNS1_3gpuE9ELNS1_3repE0EEENS1_60segmented_radix_sort_warp_sort_medium_config_static_selectorELNS0_4arch9wavefront6targetE0EEEvSK_.uses_vcc, 0
	.set _ZN7rocprim17ROCPRIM_400000_NS6detail17trampoline_kernelINS0_14default_configENS1_36segmented_radix_sort_config_selectorIslEEZNS1_25segmented_radix_sort_implIS3_Lb1EPKsPsPKlPlN2at6native12_GLOBAL__N_18offset_tEEE10hipError_tPvRmT1_PNSt15iterator_traitsISK_E10value_typeET2_T3_PNSL_ISQ_E10value_typeET4_jRbjT5_SW_jjP12ihipStream_tbEUlT_E0_NS1_11comp_targetILNS1_3genE5ELNS1_11target_archE942ELNS1_3gpuE9ELNS1_3repE0EEENS1_60segmented_radix_sort_warp_sort_medium_config_static_selectorELNS0_4arch9wavefront6targetE0EEEvSK_.uses_flat_scratch, 0
	.set _ZN7rocprim17ROCPRIM_400000_NS6detail17trampoline_kernelINS0_14default_configENS1_36segmented_radix_sort_config_selectorIslEEZNS1_25segmented_radix_sort_implIS3_Lb1EPKsPsPKlPlN2at6native12_GLOBAL__N_18offset_tEEE10hipError_tPvRmT1_PNSt15iterator_traitsISK_E10value_typeET2_T3_PNSL_ISQ_E10value_typeET4_jRbjT5_SW_jjP12ihipStream_tbEUlT_E0_NS1_11comp_targetILNS1_3genE5ELNS1_11target_archE942ELNS1_3gpuE9ELNS1_3repE0EEENS1_60segmented_radix_sort_warp_sort_medium_config_static_selectorELNS0_4arch9wavefront6targetE0EEEvSK_.has_dyn_sized_stack, 0
	.set _ZN7rocprim17ROCPRIM_400000_NS6detail17trampoline_kernelINS0_14default_configENS1_36segmented_radix_sort_config_selectorIslEEZNS1_25segmented_radix_sort_implIS3_Lb1EPKsPsPKlPlN2at6native12_GLOBAL__N_18offset_tEEE10hipError_tPvRmT1_PNSt15iterator_traitsISK_E10value_typeET2_T3_PNSL_ISQ_E10value_typeET4_jRbjT5_SW_jjP12ihipStream_tbEUlT_E0_NS1_11comp_targetILNS1_3genE5ELNS1_11target_archE942ELNS1_3gpuE9ELNS1_3repE0EEENS1_60segmented_radix_sort_warp_sort_medium_config_static_selectorELNS0_4arch9wavefront6targetE0EEEvSK_.has_recursion, 0
	.set _ZN7rocprim17ROCPRIM_400000_NS6detail17trampoline_kernelINS0_14default_configENS1_36segmented_radix_sort_config_selectorIslEEZNS1_25segmented_radix_sort_implIS3_Lb1EPKsPsPKlPlN2at6native12_GLOBAL__N_18offset_tEEE10hipError_tPvRmT1_PNSt15iterator_traitsISK_E10value_typeET2_T3_PNSL_ISQ_E10value_typeET4_jRbjT5_SW_jjP12ihipStream_tbEUlT_E0_NS1_11comp_targetILNS1_3genE5ELNS1_11target_archE942ELNS1_3gpuE9ELNS1_3repE0EEENS1_60segmented_radix_sort_warp_sort_medium_config_static_selectorELNS0_4arch9wavefront6targetE0EEEvSK_.has_indirect_call, 0
	.section	.AMDGPU.csdata,"",@progbits
; Kernel info:
; codeLenInByte = 0
; TotalNumSgprs: 0
; NumVgprs: 0
; ScratchSize: 0
; MemoryBound: 0
; FloatMode: 240
; IeeeMode: 1
; LDSByteSize: 0 bytes/workgroup (compile time only)
; SGPRBlocks: 0
; VGPRBlocks: 0
; NumSGPRsForWavesPerEU: 1
; NumVGPRsForWavesPerEU: 1
; Occupancy: 16
; WaveLimiterHint : 0
; COMPUTE_PGM_RSRC2:SCRATCH_EN: 0
; COMPUTE_PGM_RSRC2:USER_SGPR: 6
; COMPUTE_PGM_RSRC2:TRAP_HANDLER: 0
; COMPUTE_PGM_RSRC2:TGID_X_EN: 1
; COMPUTE_PGM_RSRC2:TGID_Y_EN: 0
; COMPUTE_PGM_RSRC2:TGID_Z_EN: 0
; COMPUTE_PGM_RSRC2:TIDIG_COMP_CNT: 0
	.section	.text._ZN7rocprim17ROCPRIM_400000_NS6detail17trampoline_kernelINS0_14default_configENS1_36segmented_radix_sort_config_selectorIslEEZNS1_25segmented_radix_sort_implIS3_Lb1EPKsPsPKlPlN2at6native12_GLOBAL__N_18offset_tEEE10hipError_tPvRmT1_PNSt15iterator_traitsISK_E10value_typeET2_T3_PNSL_ISQ_E10value_typeET4_jRbjT5_SW_jjP12ihipStream_tbEUlT_E0_NS1_11comp_targetILNS1_3genE4ELNS1_11target_archE910ELNS1_3gpuE8ELNS1_3repE0EEENS1_60segmented_radix_sort_warp_sort_medium_config_static_selectorELNS0_4arch9wavefront6targetE0EEEvSK_,"axG",@progbits,_ZN7rocprim17ROCPRIM_400000_NS6detail17trampoline_kernelINS0_14default_configENS1_36segmented_radix_sort_config_selectorIslEEZNS1_25segmented_radix_sort_implIS3_Lb1EPKsPsPKlPlN2at6native12_GLOBAL__N_18offset_tEEE10hipError_tPvRmT1_PNSt15iterator_traitsISK_E10value_typeET2_T3_PNSL_ISQ_E10value_typeET4_jRbjT5_SW_jjP12ihipStream_tbEUlT_E0_NS1_11comp_targetILNS1_3genE4ELNS1_11target_archE910ELNS1_3gpuE8ELNS1_3repE0EEENS1_60segmented_radix_sort_warp_sort_medium_config_static_selectorELNS0_4arch9wavefront6targetE0EEEvSK_,comdat
	.globl	_ZN7rocprim17ROCPRIM_400000_NS6detail17trampoline_kernelINS0_14default_configENS1_36segmented_radix_sort_config_selectorIslEEZNS1_25segmented_radix_sort_implIS3_Lb1EPKsPsPKlPlN2at6native12_GLOBAL__N_18offset_tEEE10hipError_tPvRmT1_PNSt15iterator_traitsISK_E10value_typeET2_T3_PNSL_ISQ_E10value_typeET4_jRbjT5_SW_jjP12ihipStream_tbEUlT_E0_NS1_11comp_targetILNS1_3genE4ELNS1_11target_archE910ELNS1_3gpuE8ELNS1_3repE0EEENS1_60segmented_radix_sort_warp_sort_medium_config_static_selectorELNS0_4arch9wavefront6targetE0EEEvSK_ ; -- Begin function _ZN7rocprim17ROCPRIM_400000_NS6detail17trampoline_kernelINS0_14default_configENS1_36segmented_radix_sort_config_selectorIslEEZNS1_25segmented_radix_sort_implIS3_Lb1EPKsPsPKlPlN2at6native12_GLOBAL__N_18offset_tEEE10hipError_tPvRmT1_PNSt15iterator_traitsISK_E10value_typeET2_T3_PNSL_ISQ_E10value_typeET4_jRbjT5_SW_jjP12ihipStream_tbEUlT_E0_NS1_11comp_targetILNS1_3genE4ELNS1_11target_archE910ELNS1_3gpuE8ELNS1_3repE0EEENS1_60segmented_radix_sort_warp_sort_medium_config_static_selectorELNS0_4arch9wavefront6targetE0EEEvSK_
	.p2align	8
	.type	_ZN7rocprim17ROCPRIM_400000_NS6detail17trampoline_kernelINS0_14default_configENS1_36segmented_radix_sort_config_selectorIslEEZNS1_25segmented_radix_sort_implIS3_Lb1EPKsPsPKlPlN2at6native12_GLOBAL__N_18offset_tEEE10hipError_tPvRmT1_PNSt15iterator_traitsISK_E10value_typeET2_T3_PNSL_ISQ_E10value_typeET4_jRbjT5_SW_jjP12ihipStream_tbEUlT_E0_NS1_11comp_targetILNS1_3genE4ELNS1_11target_archE910ELNS1_3gpuE8ELNS1_3repE0EEENS1_60segmented_radix_sort_warp_sort_medium_config_static_selectorELNS0_4arch9wavefront6targetE0EEEvSK_,@function
_ZN7rocprim17ROCPRIM_400000_NS6detail17trampoline_kernelINS0_14default_configENS1_36segmented_radix_sort_config_selectorIslEEZNS1_25segmented_radix_sort_implIS3_Lb1EPKsPsPKlPlN2at6native12_GLOBAL__N_18offset_tEEE10hipError_tPvRmT1_PNSt15iterator_traitsISK_E10value_typeET2_T3_PNSL_ISQ_E10value_typeET4_jRbjT5_SW_jjP12ihipStream_tbEUlT_E0_NS1_11comp_targetILNS1_3genE4ELNS1_11target_archE910ELNS1_3gpuE8ELNS1_3repE0EEENS1_60segmented_radix_sort_warp_sort_medium_config_static_selectorELNS0_4arch9wavefront6targetE0EEEvSK_: ; @_ZN7rocprim17ROCPRIM_400000_NS6detail17trampoline_kernelINS0_14default_configENS1_36segmented_radix_sort_config_selectorIslEEZNS1_25segmented_radix_sort_implIS3_Lb1EPKsPsPKlPlN2at6native12_GLOBAL__N_18offset_tEEE10hipError_tPvRmT1_PNSt15iterator_traitsISK_E10value_typeET2_T3_PNSL_ISQ_E10value_typeET4_jRbjT5_SW_jjP12ihipStream_tbEUlT_E0_NS1_11comp_targetILNS1_3genE4ELNS1_11target_archE910ELNS1_3gpuE8ELNS1_3repE0EEENS1_60segmented_radix_sort_warp_sort_medium_config_static_selectorELNS0_4arch9wavefront6targetE0EEEvSK_
; %bb.0:
	.section	.rodata,"a",@progbits
	.p2align	6, 0x0
	.amdhsa_kernel _ZN7rocprim17ROCPRIM_400000_NS6detail17trampoline_kernelINS0_14default_configENS1_36segmented_radix_sort_config_selectorIslEEZNS1_25segmented_radix_sort_implIS3_Lb1EPKsPsPKlPlN2at6native12_GLOBAL__N_18offset_tEEE10hipError_tPvRmT1_PNSt15iterator_traitsISK_E10value_typeET2_T3_PNSL_ISQ_E10value_typeET4_jRbjT5_SW_jjP12ihipStream_tbEUlT_E0_NS1_11comp_targetILNS1_3genE4ELNS1_11target_archE910ELNS1_3gpuE8ELNS1_3repE0EEENS1_60segmented_radix_sort_warp_sort_medium_config_static_selectorELNS0_4arch9wavefront6targetE0EEEvSK_
		.amdhsa_group_segment_fixed_size 0
		.amdhsa_private_segment_fixed_size 0
		.amdhsa_kernarg_size 88
		.amdhsa_user_sgpr_count 6
		.amdhsa_user_sgpr_private_segment_buffer 1
		.amdhsa_user_sgpr_dispatch_ptr 0
		.amdhsa_user_sgpr_queue_ptr 0
		.amdhsa_user_sgpr_kernarg_segment_ptr 1
		.amdhsa_user_sgpr_dispatch_id 0
		.amdhsa_user_sgpr_flat_scratch_init 0
		.amdhsa_user_sgpr_private_segment_size 0
		.amdhsa_wavefront_size32 1
		.amdhsa_uses_dynamic_stack 0
		.amdhsa_system_sgpr_private_segment_wavefront_offset 0
		.amdhsa_system_sgpr_workgroup_id_x 1
		.amdhsa_system_sgpr_workgroup_id_y 0
		.amdhsa_system_sgpr_workgroup_id_z 0
		.amdhsa_system_sgpr_workgroup_info 0
		.amdhsa_system_vgpr_workitem_id 0
		.amdhsa_next_free_vgpr 1
		.amdhsa_next_free_sgpr 1
		.amdhsa_reserve_vcc 0
		.amdhsa_reserve_flat_scratch 0
		.amdhsa_float_round_mode_32 0
		.amdhsa_float_round_mode_16_64 0
		.amdhsa_float_denorm_mode_32 3
		.amdhsa_float_denorm_mode_16_64 3
		.amdhsa_dx10_clamp 1
		.amdhsa_ieee_mode 1
		.amdhsa_fp16_overflow 0
		.amdhsa_workgroup_processor_mode 1
		.amdhsa_memory_ordered 1
		.amdhsa_forward_progress 1
		.amdhsa_shared_vgpr_count 0
		.amdhsa_exception_fp_ieee_invalid_op 0
		.amdhsa_exception_fp_denorm_src 0
		.amdhsa_exception_fp_ieee_div_zero 0
		.amdhsa_exception_fp_ieee_overflow 0
		.amdhsa_exception_fp_ieee_underflow 0
		.amdhsa_exception_fp_ieee_inexact 0
		.amdhsa_exception_int_div_zero 0
	.end_amdhsa_kernel
	.section	.text._ZN7rocprim17ROCPRIM_400000_NS6detail17trampoline_kernelINS0_14default_configENS1_36segmented_radix_sort_config_selectorIslEEZNS1_25segmented_radix_sort_implIS3_Lb1EPKsPsPKlPlN2at6native12_GLOBAL__N_18offset_tEEE10hipError_tPvRmT1_PNSt15iterator_traitsISK_E10value_typeET2_T3_PNSL_ISQ_E10value_typeET4_jRbjT5_SW_jjP12ihipStream_tbEUlT_E0_NS1_11comp_targetILNS1_3genE4ELNS1_11target_archE910ELNS1_3gpuE8ELNS1_3repE0EEENS1_60segmented_radix_sort_warp_sort_medium_config_static_selectorELNS0_4arch9wavefront6targetE0EEEvSK_,"axG",@progbits,_ZN7rocprim17ROCPRIM_400000_NS6detail17trampoline_kernelINS0_14default_configENS1_36segmented_radix_sort_config_selectorIslEEZNS1_25segmented_radix_sort_implIS3_Lb1EPKsPsPKlPlN2at6native12_GLOBAL__N_18offset_tEEE10hipError_tPvRmT1_PNSt15iterator_traitsISK_E10value_typeET2_T3_PNSL_ISQ_E10value_typeET4_jRbjT5_SW_jjP12ihipStream_tbEUlT_E0_NS1_11comp_targetILNS1_3genE4ELNS1_11target_archE910ELNS1_3gpuE8ELNS1_3repE0EEENS1_60segmented_radix_sort_warp_sort_medium_config_static_selectorELNS0_4arch9wavefront6targetE0EEEvSK_,comdat
.Lfunc_end917:
	.size	_ZN7rocprim17ROCPRIM_400000_NS6detail17trampoline_kernelINS0_14default_configENS1_36segmented_radix_sort_config_selectorIslEEZNS1_25segmented_radix_sort_implIS3_Lb1EPKsPsPKlPlN2at6native12_GLOBAL__N_18offset_tEEE10hipError_tPvRmT1_PNSt15iterator_traitsISK_E10value_typeET2_T3_PNSL_ISQ_E10value_typeET4_jRbjT5_SW_jjP12ihipStream_tbEUlT_E0_NS1_11comp_targetILNS1_3genE4ELNS1_11target_archE910ELNS1_3gpuE8ELNS1_3repE0EEENS1_60segmented_radix_sort_warp_sort_medium_config_static_selectorELNS0_4arch9wavefront6targetE0EEEvSK_, .Lfunc_end917-_ZN7rocprim17ROCPRIM_400000_NS6detail17trampoline_kernelINS0_14default_configENS1_36segmented_radix_sort_config_selectorIslEEZNS1_25segmented_radix_sort_implIS3_Lb1EPKsPsPKlPlN2at6native12_GLOBAL__N_18offset_tEEE10hipError_tPvRmT1_PNSt15iterator_traitsISK_E10value_typeET2_T3_PNSL_ISQ_E10value_typeET4_jRbjT5_SW_jjP12ihipStream_tbEUlT_E0_NS1_11comp_targetILNS1_3genE4ELNS1_11target_archE910ELNS1_3gpuE8ELNS1_3repE0EEENS1_60segmented_radix_sort_warp_sort_medium_config_static_selectorELNS0_4arch9wavefront6targetE0EEEvSK_
                                        ; -- End function
	.set _ZN7rocprim17ROCPRIM_400000_NS6detail17trampoline_kernelINS0_14default_configENS1_36segmented_radix_sort_config_selectorIslEEZNS1_25segmented_radix_sort_implIS3_Lb1EPKsPsPKlPlN2at6native12_GLOBAL__N_18offset_tEEE10hipError_tPvRmT1_PNSt15iterator_traitsISK_E10value_typeET2_T3_PNSL_ISQ_E10value_typeET4_jRbjT5_SW_jjP12ihipStream_tbEUlT_E0_NS1_11comp_targetILNS1_3genE4ELNS1_11target_archE910ELNS1_3gpuE8ELNS1_3repE0EEENS1_60segmented_radix_sort_warp_sort_medium_config_static_selectorELNS0_4arch9wavefront6targetE0EEEvSK_.num_vgpr, 0
	.set _ZN7rocprim17ROCPRIM_400000_NS6detail17trampoline_kernelINS0_14default_configENS1_36segmented_radix_sort_config_selectorIslEEZNS1_25segmented_radix_sort_implIS3_Lb1EPKsPsPKlPlN2at6native12_GLOBAL__N_18offset_tEEE10hipError_tPvRmT1_PNSt15iterator_traitsISK_E10value_typeET2_T3_PNSL_ISQ_E10value_typeET4_jRbjT5_SW_jjP12ihipStream_tbEUlT_E0_NS1_11comp_targetILNS1_3genE4ELNS1_11target_archE910ELNS1_3gpuE8ELNS1_3repE0EEENS1_60segmented_radix_sort_warp_sort_medium_config_static_selectorELNS0_4arch9wavefront6targetE0EEEvSK_.num_agpr, 0
	.set _ZN7rocprim17ROCPRIM_400000_NS6detail17trampoline_kernelINS0_14default_configENS1_36segmented_radix_sort_config_selectorIslEEZNS1_25segmented_radix_sort_implIS3_Lb1EPKsPsPKlPlN2at6native12_GLOBAL__N_18offset_tEEE10hipError_tPvRmT1_PNSt15iterator_traitsISK_E10value_typeET2_T3_PNSL_ISQ_E10value_typeET4_jRbjT5_SW_jjP12ihipStream_tbEUlT_E0_NS1_11comp_targetILNS1_3genE4ELNS1_11target_archE910ELNS1_3gpuE8ELNS1_3repE0EEENS1_60segmented_radix_sort_warp_sort_medium_config_static_selectorELNS0_4arch9wavefront6targetE0EEEvSK_.numbered_sgpr, 0
	.set _ZN7rocprim17ROCPRIM_400000_NS6detail17trampoline_kernelINS0_14default_configENS1_36segmented_radix_sort_config_selectorIslEEZNS1_25segmented_radix_sort_implIS3_Lb1EPKsPsPKlPlN2at6native12_GLOBAL__N_18offset_tEEE10hipError_tPvRmT1_PNSt15iterator_traitsISK_E10value_typeET2_T3_PNSL_ISQ_E10value_typeET4_jRbjT5_SW_jjP12ihipStream_tbEUlT_E0_NS1_11comp_targetILNS1_3genE4ELNS1_11target_archE910ELNS1_3gpuE8ELNS1_3repE0EEENS1_60segmented_radix_sort_warp_sort_medium_config_static_selectorELNS0_4arch9wavefront6targetE0EEEvSK_.num_named_barrier, 0
	.set _ZN7rocprim17ROCPRIM_400000_NS6detail17trampoline_kernelINS0_14default_configENS1_36segmented_radix_sort_config_selectorIslEEZNS1_25segmented_radix_sort_implIS3_Lb1EPKsPsPKlPlN2at6native12_GLOBAL__N_18offset_tEEE10hipError_tPvRmT1_PNSt15iterator_traitsISK_E10value_typeET2_T3_PNSL_ISQ_E10value_typeET4_jRbjT5_SW_jjP12ihipStream_tbEUlT_E0_NS1_11comp_targetILNS1_3genE4ELNS1_11target_archE910ELNS1_3gpuE8ELNS1_3repE0EEENS1_60segmented_radix_sort_warp_sort_medium_config_static_selectorELNS0_4arch9wavefront6targetE0EEEvSK_.private_seg_size, 0
	.set _ZN7rocprim17ROCPRIM_400000_NS6detail17trampoline_kernelINS0_14default_configENS1_36segmented_radix_sort_config_selectorIslEEZNS1_25segmented_radix_sort_implIS3_Lb1EPKsPsPKlPlN2at6native12_GLOBAL__N_18offset_tEEE10hipError_tPvRmT1_PNSt15iterator_traitsISK_E10value_typeET2_T3_PNSL_ISQ_E10value_typeET4_jRbjT5_SW_jjP12ihipStream_tbEUlT_E0_NS1_11comp_targetILNS1_3genE4ELNS1_11target_archE910ELNS1_3gpuE8ELNS1_3repE0EEENS1_60segmented_radix_sort_warp_sort_medium_config_static_selectorELNS0_4arch9wavefront6targetE0EEEvSK_.uses_vcc, 0
	.set _ZN7rocprim17ROCPRIM_400000_NS6detail17trampoline_kernelINS0_14default_configENS1_36segmented_radix_sort_config_selectorIslEEZNS1_25segmented_radix_sort_implIS3_Lb1EPKsPsPKlPlN2at6native12_GLOBAL__N_18offset_tEEE10hipError_tPvRmT1_PNSt15iterator_traitsISK_E10value_typeET2_T3_PNSL_ISQ_E10value_typeET4_jRbjT5_SW_jjP12ihipStream_tbEUlT_E0_NS1_11comp_targetILNS1_3genE4ELNS1_11target_archE910ELNS1_3gpuE8ELNS1_3repE0EEENS1_60segmented_radix_sort_warp_sort_medium_config_static_selectorELNS0_4arch9wavefront6targetE0EEEvSK_.uses_flat_scratch, 0
	.set _ZN7rocprim17ROCPRIM_400000_NS6detail17trampoline_kernelINS0_14default_configENS1_36segmented_radix_sort_config_selectorIslEEZNS1_25segmented_radix_sort_implIS3_Lb1EPKsPsPKlPlN2at6native12_GLOBAL__N_18offset_tEEE10hipError_tPvRmT1_PNSt15iterator_traitsISK_E10value_typeET2_T3_PNSL_ISQ_E10value_typeET4_jRbjT5_SW_jjP12ihipStream_tbEUlT_E0_NS1_11comp_targetILNS1_3genE4ELNS1_11target_archE910ELNS1_3gpuE8ELNS1_3repE0EEENS1_60segmented_radix_sort_warp_sort_medium_config_static_selectorELNS0_4arch9wavefront6targetE0EEEvSK_.has_dyn_sized_stack, 0
	.set _ZN7rocprim17ROCPRIM_400000_NS6detail17trampoline_kernelINS0_14default_configENS1_36segmented_radix_sort_config_selectorIslEEZNS1_25segmented_radix_sort_implIS3_Lb1EPKsPsPKlPlN2at6native12_GLOBAL__N_18offset_tEEE10hipError_tPvRmT1_PNSt15iterator_traitsISK_E10value_typeET2_T3_PNSL_ISQ_E10value_typeET4_jRbjT5_SW_jjP12ihipStream_tbEUlT_E0_NS1_11comp_targetILNS1_3genE4ELNS1_11target_archE910ELNS1_3gpuE8ELNS1_3repE0EEENS1_60segmented_radix_sort_warp_sort_medium_config_static_selectorELNS0_4arch9wavefront6targetE0EEEvSK_.has_recursion, 0
	.set _ZN7rocprim17ROCPRIM_400000_NS6detail17trampoline_kernelINS0_14default_configENS1_36segmented_radix_sort_config_selectorIslEEZNS1_25segmented_radix_sort_implIS3_Lb1EPKsPsPKlPlN2at6native12_GLOBAL__N_18offset_tEEE10hipError_tPvRmT1_PNSt15iterator_traitsISK_E10value_typeET2_T3_PNSL_ISQ_E10value_typeET4_jRbjT5_SW_jjP12ihipStream_tbEUlT_E0_NS1_11comp_targetILNS1_3genE4ELNS1_11target_archE910ELNS1_3gpuE8ELNS1_3repE0EEENS1_60segmented_radix_sort_warp_sort_medium_config_static_selectorELNS0_4arch9wavefront6targetE0EEEvSK_.has_indirect_call, 0
	.section	.AMDGPU.csdata,"",@progbits
; Kernel info:
; codeLenInByte = 0
; TotalNumSgprs: 0
; NumVgprs: 0
; ScratchSize: 0
; MemoryBound: 0
; FloatMode: 240
; IeeeMode: 1
; LDSByteSize: 0 bytes/workgroup (compile time only)
; SGPRBlocks: 0
; VGPRBlocks: 0
; NumSGPRsForWavesPerEU: 1
; NumVGPRsForWavesPerEU: 1
; Occupancy: 16
; WaveLimiterHint : 0
; COMPUTE_PGM_RSRC2:SCRATCH_EN: 0
; COMPUTE_PGM_RSRC2:USER_SGPR: 6
; COMPUTE_PGM_RSRC2:TRAP_HANDLER: 0
; COMPUTE_PGM_RSRC2:TGID_X_EN: 1
; COMPUTE_PGM_RSRC2:TGID_Y_EN: 0
; COMPUTE_PGM_RSRC2:TGID_Z_EN: 0
; COMPUTE_PGM_RSRC2:TIDIG_COMP_CNT: 0
	.section	.text._ZN7rocprim17ROCPRIM_400000_NS6detail17trampoline_kernelINS0_14default_configENS1_36segmented_radix_sort_config_selectorIslEEZNS1_25segmented_radix_sort_implIS3_Lb1EPKsPsPKlPlN2at6native12_GLOBAL__N_18offset_tEEE10hipError_tPvRmT1_PNSt15iterator_traitsISK_E10value_typeET2_T3_PNSL_ISQ_E10value_typeET4_jRbjT5_SW_jjP12ihipStream_tbEUlT_E0_NS1_11comp_targetILNS1_3genE3ELNS1_11target_archE908ELNS1_3gpuE7ELNS1_3repE0EEENS1_60segmented_radix_sort_warp_sort_medium_config_static_selectorELNS0_4arch9wavefront6targetE0EEEvSK_,"axG",@progbits,_ZN7rocprim17ROCPRIM_400000_NS6detail17trampoline_kernelINS0_14default_configENS1_36segmented_radix_sort_config_selectorIslEEZNS1_25segmented_radix_sort_implIS3_Lb1EPKsPsPKlPlN2at6native12_GLOBAL__N_18offset_tEEE10hipError_tPvRmT1_PNSt15iterator_traitsISK_E10value_typeET2_T3_PNSL_ISQ_E10value_typeET4_jRbjT5_SW_jjP12ihipStream_tbEUlT_E0_NS1_11comp_targetILNS1_3genE3ELNS1_11target_archE908ELNS1_3gpuE7ELNS1_3repE0EEENS1_60segmented_radix_sort_warp_sort_medium_config_static_selectorELNS0_4arch9wavefront6targetE0EEEvSK_,comdat
	.globl	_ZN7rocprim17ROCPRIM_400000_NS6detail17trampoline_kernelINS0_14default_configENS1_36segmented_radix_sort_config_selectorIslEEZNS1_25segmented_radix_sort_implIS3_Lb1EPKsPsPKlPlN2at6native12_GLOBAL__N_18offset_tEEE10hipError_tPvRmT1_PNSt15iterator_traitsISK_E10value_typeET2_T3_PNSL_ISQ_E10value_typeET4_jRbjT5_SW_jjP12ihipStream_tbEUlT_E0_NS1_11comp_targetILNS1_3genE3ELNS1_11target_archE908ELNS1_3gpuE7ELNS1_3repE0EEENS1_60segmented_radix_sort_warp_sort_medium_config_static_selectorELNS0_4arch9wavefront6targetE0EEEvSK_ ; -- Begin function _ZN7rocprim17ROCPRIM_400000_NS6detail17trampoline_kernelINS0_14default_configENS1_36segmented_radix_sort_config_selectorIslEEZNS1_25segmented_radix_sort_implIS3_Lb1EPKsPsPKlPlN2at6native12_GLOBAL__N_18offset_tEEE10hipError_tPvRmT1_PNSt15iterator_traitsISK_E10value_typeET2_T3_PNSL_ISQ_E10value_typeET4_jRbjT5_SW_jjP12ihipStream_tbEUlT_E0_NS1_11comp_targetILNS1_3genE3ELNS1_11target_archE908ELNS1_3gpuE7ELNS1_3repE0EEENS1_60segmented_radix_sort_warp_sort_medium_config_static_selectorELNS0_4arch9wavefront6targetE0EEEvSK_
	.p2align	8
	.type	_ZN7rocprim17ROCPRIM_400000_NS6detail17trampoline_kernelINS0_14default_configENS1_36segmented_radix_sort_config_selectorIslEEZNS1_25segmented_radix_sort_implIS3_Lb1EPKsPsPKlPlN2at6native12_GLOBAL__N_18offset_tEEE10hipError_tPvRmT1_PNSt15iterator_traitsISK_E10value_typeET2_T3_PNSL_ISQ_E10value_typeET4_jRbjT5_SW_jjP12ihipStream_tbEUlT_E0_NS1_11comp_targetILNS1_3genE3ELNS1_11target_archE908ELNS1_3gpuE7ELNS1_3repE0EEENS1_60segmented_radix_sort_warp_sort_medium_config_static_selectorELNS0_4arch9wavefront6targetE0EEEvSK_,@function
_ZN7rocprim17ROCPRIM_400000_NS6detail17trampoline_kernelINS0_14default_configENS1_36segmented_radix_sort_config_selectorIslEEZNS1_25segmented_radix_sort_implIS3_Lb1EPKsPsPKlPlN2at6native12_GLOBAL__N_18offset_tEEE10hipError_tPvRmT1_PNSt15iterator_traitsISK_E10value_typeET2_T3_PNSL_ISQ_E10value_typeET4_jRbjT5_SW_jjP12ihipStream_tbEUlT_E0_NS1_11comp_targetILNS1_3genE3ELNS1_11target_archE908ELNS1_3gpuE7ELNS1_3repE0EEENS1_60segmented_radix_sort_warp_sort_medium_config_static_selectorELNS0_4arch9wavefront6targetE0EEEvSK_: ; @_ZN7rocprim17ROCPRIM_400000_NS6detail17trampoline_kernelINS0_14default_configENS1_36segmented_radix_sort_config_selectorIslEEZNS1_25segmented_radix_sort_implIS3_Lb1EPKsPsPKlPlN2at6native12_GLOBAL__N_18offset_tEEE10hipError_tPvRmT1_PNSt15iterator_traitsISK_E10value_typeET2_T3_PNSL_ISQ_E10value_typeET4_jRbjT5_SW_jjP12ihipStream_tbEUlT_E0_NS1_11comp_targetILNS1_3genE3ELNS1_11target_archE908ELNS1_3gpuE7ELNS1_3repE0EEENS1_60segmented_radix_sort_warp_sort_medium_config_static_selectorELNS0_4arch9wavefront6targetE0EEEvSK_
; %bb.0:
	.section	.rodata,"a",@progbits
	.p2align	6, 0x0
	.amdhsa_kernel _ZN7rocprim17ROCPRIM_400000_NS6detail17trampoline_kernelINS0_14default_configENS1_36segmented_radix_sort_config_selectorIslEEZNS1_25segmented_radix_sort_implIS3_Lb1EPKsPsPKlPlN2at6native12_GLOBAL__N_18offset_tEEE10hipError_tPvRmT1_PNSt15iterator_traitsISK_E10value_typeET2_T3_PNSL_ISQ_E10value_typeET4_jRbjT5_SW_jjP12ihipStream_tbEUlT_E0_NS1_11comp_targetILNS1_3genE3ELNS1_11target_archE908ELNS1_3gpuE7ELNS1_3repE0EEENS1_60segmented_radix_sort_warp_sort_medium_config_static_selectorELNS0_4arch9wavefront6targetE0EEEvSK_
		.amdhsa_group_segment_fixed_size 0
		.amdhsa_private_segment_fixed_size 0
		.amdhsa_kernarg_size 88
		.amdhsa_user_sgpr_count 6
		.amdhsa_user_sgpr_private_segment_buffer 1
		.amdhsa_user_sgpr_dispatch_ptr 0
		.amdhsa_user_sgpr_queue_ptr 0
		.amdhsa_user_sgpr_kernarg_segment_ptr 1
		.amdhsa_user_sgpr_dispatch_id 0
		.amdhsa_user_sgpr_flat_scratch_init 0
		.amdhsa_user_sgpr_private_segment_size 0
		.amdhsa_wavefront_size32 1
		.amdhsa_uses_dynamic_stack 0
		.amdhsa_system_sgpr_private_segment_wavefront_offset 0
		.amdhsa_system_sgpr_workgroup_id_x 1
		.amdhsa_system_sgpr_workgroup_id_y 0
		.amdhsa_system_sgpr_workgroup_id_z 0
		.amdhsa_system_sgpr_workgroup_info 0
		.amdhsa_system_vgpr_workitem_id 0
		.amdhsa_next_free_vgpr 1
		.amdhsa_next_free_sgpr 1
		.amdhsa_reserve_vcc 0
		.amdhsa_reserve_flat_scratch 0
		.amdhsa_float_round_mode_32 0
		.amdhsa_float_round_mode_16_64 0
		.amdhsa_float_denorm_mode_32 3
		.amdhsa_float_denorm_mode_16_64 3
		.amdhsa_dx10_clamp 1
		.amdhsa_ieee_mode 1
		.amdhsa_fp16_overflow 0
		.amdhsa_workgroup_processor_mode 1
		.amdhsa_memory_ordered 1
		.amdhsa_forward_progress 1
		.amdhsa_shared_vgpr_count 0
		.amdhsa_exception_fp_ieee_invalid_op 0
		.amdhsa_exception_fp_denorm_src 0
		.amdhsa_exception_fp_ieee_div_zero 0
		.amdhsa_exception_fp_ieee_overflow 0
		.amdhsa_exception_fp_ieee_underflow 0
		.amdhsa_exception_fp_ieee_inexact 0
		.amdhsa_exception_int_div_zero 0
	.end_amdhsa_kernel
	.section	.text._ZN7rocprim17ROCPRIM_400000_NS6detail17trampoline_kernelINS0_14default_configENS1_36segmented_radix_sort_config_selectorIslEEZNS1_25segmented_radix_sort_implIS3_Lb1EPKsPsPKlPlN2at6native12_GLOBAL__N_18offset_tEEE10hipError_tPvRmT1_PNSt15iterator_traitsISK_E10value_typeET2_T3_PNSL_ISQ_E10value_typeET4_jRbjT5_SW_jjP12ihipStream_tbEUlT_E0_NS1_11comp_targetILNS1_3genE3ELNS1_11target_archE908ELNS1_3gpuE7ELNS1_3repE0EEENS1_60segmented_radix_sort_warp_sort_medium_config_static_selectorELNS0_4arch9wavefront6targetE0EEEvSK_,"axG",@progbits,_ZN7rocprim17ROCPRIM_400000_NS6detail17trampoline_kernelINS0_14default_configENS1_36segmented_radix_sort_config_selectorIslEEZNS1_25segmented_radix_sort_implIS3_Lb1EPKsPsPKlPlN2at6native12_GLOBAL__N_18offset_tEEE10hipError_tPvRmT1_PNSt15iterator_traitsISK_E10value_typeET2_T3_PNSL_ISQ_E10value_typeET4_jRbjT5_SW_jjP12ihipStream_tbEUlT_E0_NS1_11comp_targetILNS1_3genE3ELNS1_11target_archE908ELNS1_3gpuE7ELNS1_3repE0EEENS1_60segmented_radix_sort_warp_sort_medium_config_static_selectorELNS0_4arch9wavefront6targetE0EEEvSK_,comdat
.Lfunc_end918:
	.size	_ZN7rocprim17ROCPRIM_400000_NS6detail17trampoline_kernelINS0_14default_configENS1_36segmented_radix_sort_config_selectorIslEEZNS1_25segmented_radix_sort_implIS3_Lb1EPKsPsPKlPlN2at6native12_GLOBAL__N_18offset_tEEE10hipError_tPvRmT1_PNSt15iterator_traitsISK_E10value_typeET2_T3_PNSL_ISQ_E10value_typeET4_jRbjT5_SW_jjP12ihipStream_tbEUlT_E0_NS1_11comp_targetILNS1_3genE3ELNS1_11target_archE908ELNS1_3gpuE7ELNS1_3repE0EEENS1_60segmented_radix_sort_warp_sort_medium_config_static_selectorELNS0_4arch9wavefront6targetE0EEEvSK_, .Lfunc_end918-_ZN7rocprim17ROCPRIM_400000_NS6detail17trampoline_kernelINS0_14default_configENS1_36segmented_radix_sort_config_selectorIslEEZNS1_25segmented_radix_sort_implIS3_Lb1EPKsPsPKlPlN2at6native12_GLOBAL__N_18offset_tEEE10hipError_tPvRmT1_PNSt15iterator_traitsISK_E10value_typeET2_T3_PNSL_ISQ_E10value_typeET4_jRbjT5_SW_jjP12ihipStream_tbEUlT_E0_NS1_11comp_targetILNS1_3genE3ELNS1_11target_archE908ELNS1_3gpuE7ELNS1_3repE0EEENS1_60segmented_radix_sort_warp_sort_medium_config_static_selectorELNS0_4arch9wavefront6targetE0EEEvSK_
                                        ; -- End function
	.set _ZN7rocprim17ROCPRIM_400000_NS6detail17trampoline_kernelINS0_14default_configENS1_36segmented_radix_sort_config_selectorIslEEZNS1_25segmented_radix_sort_implIS3_Lb1EPKsPsPKlPlN2at6native12_GLOBAL__N_18offset_tEEE10hipError_tPvRmT1_PNSt15iterator_traitsISK_E10value_typeET2_T3_PNSL_ISQ_E10value_typeET4_jRbjT5_SW_jjP12ihipStream_tbEUlT_E0_NS1_11comp_targetILNS1_3genE3ELNS1_11target_archE908ELNS1_3gpuE7ELNS1_3repE0EEENS1_60segmented_radix_sort_warp_sort_medium_config_static_selectorELNS0_4arch9wavefront6targetE0EEEvSK_.num_vgpr, 0
	.set _ZN7rocprim17ROCPRIM_400000_NS6detail17trampoline_kernelINS0_14default_configENS1_36segmented_radix_sort_config_selectorIslEEZNS1_25segmented_radix_sort_implIS3_Lb1EPKsPsPKlPlN2at6native12_GLOBAL__N_18offset_tEEE10hipError_tPvRmT1_PNSt15iterator_traitsISK_E10value_typeET2_T3_PNSL_ISQ_E10value_typeET4_jRbjT5_SW_jjP12ihipStream_tbEUlT_E0_NS1_11comp_targetILNS1_3genE3ELNS1_11target_archE908ELNS1_3gpuE7ELNS1_3repE0EEENS1_60segmented_radix_sort_warp_sort_medium_config_static_selectorELNS0_4arch9wavefront6targetE0EEEvSK_.num_agpr, 0
	.set _ZN7rocprim17ROCPRIM_400000_NS6detail17trampoline_kernelINS0_14default_configENS1_36segmented_radix_sort_config_selectorIslEEZNS1_25segmented_radix_sort_implIS3_Lb1EPKsPsPKlPlN2at6native12_GLOBAL__N_18offset_tEEE10hipError_tPvRmT1_PNSt15iterator_traitsISK_E10value_typeET2_T3_PNSL_ISQ_E10value_typeET4_jRbjT5_SW_jjP12ihipStream_tbEUlT_E0_NS1_11comp_targetILNS1_3genE3ELNS1_11target_archE908ELNS1_3gpuE7ELNS1_3repE0EEENS1_60segmented_radix_sort_warp_sort_medium_config_static_selectorELNS0_4arch9wavefront6targetE0EEEvSK_.numbered_sgpr, 0
	.set _ZN7rocprim17ROCPRIM_400000_NS6detail17trampoline_kernelINS0_14default_configENS1_36segmented_radix_sort_config_selectorIslEEZNS1_25segmented_radix_sort_implIS3_Lb1EPKsPsPKlPlN2at6native12_GLOBAL__N_18offset_tEEE10hipError_tPvRmT1_PNSt15iterator_traitsISK_E10value_typeET2_T3_PNSL_ISQ_E10value_typeET4_jRbjT5_SW_jjP12ihipStream_tbEUlT_E0_NS1_11comp_targetILNS1_3genE3ELNS1_11target_archE908ELNS1_3gpuE7ELNS1_3repE0EEENS1_60segmented_radix_sort_warp_sort_medium_config_static_selectorELNS0_4arch9wavefront6targetE0EEEvSK_.num_named_barrier, 0
	.set _ZN7rocprim17ROCPRIM_400000_NS6detail17trampoline_kernelINS0_14default_configENS1_36segmented_radix_sort_config_selectorIslEEZNS1_25segmented_radix_sort_implIS3_Lb1EPKsPsPKlPlN2at6native12_GLOBAL__N_18offset_tEEE10hipError_tPvRmT1_PNSt15iterator_traitsISK_E10value_typeET2_T3_PNSL_ISQ_E10value_typeET4_jRbjT5_SW_jjP12ihipStream_tbEUlT_E0_NS1_11comp_targetILNS1_3genE3ELNS1_11target_archE908ELNS1_3gpuE7ELNS1_3repE0EEENS1_60segmented_radix_sort_warp_sort_medium_config_static_selectorELNS0_4arch9wavefront6targetE0EEEvSK_.private_seg_size, 0
	.set _ZN7rocprim17ROCPRIM_400000_NS6detail17trampoline_kernelINS0_14default_configENS1_36segmented_radix_sort_config_selectorIslEEZNS1_25segmented_radix_sort_implIS3_Lb1EPKsPsPKlPlN2at6native12_GLOBAL__N_18offset_tEEE10hipError_tPvRmT1_PNSt15iterator_traitsISK_E10value_typeET2_T3_PNSL_ISQ_E10value_typeET4_jRbjT5_SW_jjP12ihipStream_tbEUlT_E0_NS1_11comp_targetILNS1_3genE3ELNS1_11target_archE908ELNS1_3gpuE7ELNS1_3repE0EEENS1_60segmented_radix_sort_warp_sort_medium_config_static_selectorELNS0_4arch9wavefront6targetE0EEEvSK_.uses_vcc, 0
	.set _ZN7rocprim17ROCPRIM_400000_NS6detail17trampoline_kernelINS0_14default_configENS1_36segmented_radix_sort_config_selectorIslEEZNS1_25segmented_radix_sort_implIS3_Lb1EPKsPsPKlPlN2at6native12_GLOBAL__N_18offset_tEEE10hipError_tPvRmT1_PNSt15iterator_traitsISK_E10value_typeET2_T3_PNSL_ISQ_E10value_typeET4_jRbjT5_SW_jjP12ihipStream_tbEUlT_E0_NS1_11comp_targetILNS1_3genE3ELNS1_11target_archE908ELNS1_3gpuE7ELNS1_3repE0EEENS1_60segmented_radix_sort_warp_sort_medium_config_static_selectorELNS0_4arch9wavefront6targetE0EEEvSK_.uses_flat_scratch, 0
	.set _ZN7rocprim17ROCPRIM_400000_NS6detail17trampoline_kernelINS0_14default_configENS1_36segmented_radix_sort_config_selectorIslEEZNS1_25segmented_radix_sort_implIS3_Lb1EPKsPsPKlPlN2at6native12_GLOBAL__N_18offset_tEEE10hipError_tPvRmT1_PNSt15iterator_traitsISK_E10value_typeET2_T3_PNSL_ISQ_E10value_typeET4_jRbjT5_SW_jjP12ihipStream_tbEUlT_E0_NS1_11comp_targetILNS1_3genE3ELNS1_11target_archE908ELNS1_3gpuE7ELNS1_3repE0EEENS1_60segmented_radix_sort_warp_sort_medium_config_static_selectorELNS0_4arch9wavefront6targetE0EEEvSK_.has_dyn_sized_stack, 0
	.set _ZN7rocprim17ROCPRIM_400000_NS6detail17trampoline_kernelINS0_14default_configENS1_36segmented_radix_sort_config_selectorIslEEZNS1_25segmented_radix_sort_implIS3_Lb1EPKsPsPKlPlN2at6native12_GLOBAL__N_18offset_tEEE10hipError_tPvRmT1_PNSt15iterator_traitsISK_E10value_typeET2_T3_PNSL_ISQ_E10value_typeET4_jRbjT5_SW_jjP12ihipStream_tbEUlT_E0_NS1_11comp_targetILNS1_3genE3ELNS1_11target_archE908ELNS1_3gpuE7ELNS1_3repE0EEENS1_60segmented_radix_sort_warp_sort_medium_config_static_selectorELNS0_4arch9wavefront6targetE0EEEvSK_.has_recursion, 0
	.set _ZN7rocprim17ROCPRIM_400000_NS6detail17trampoline_kernelINS0_14default_configENS1_36segmented_radix_sort_config_selectorIslEEZNS1_25segmented_radix_sort_implIS3_Lb1EPKsPsPKlPlN2at6native12_GLOBAL__N_18offset_tEEE10hipError_tPvRmT1_PNSt15iterator_traitsISK_E10value_typeET2_T3_PNSL_ISQ_E10value_typeET4_jRbjT5_SW_jjP12ihipStream_tbEUlT_E0_NS1_11comp_targetILNS1_3genE3ELNS1_11target_archE908ELNS1_3gpuE7ELNS1_3repE0EEENS1_60segmented_radix_sort_warp_sort_medium_config_static_selectorELNS0_4arch9wavefront6targetE0EEEvSK_.has_indirect_call, 0
	.section	.AMDGPU.csdata,"",@progbits
; Kernel info:
; codeLenInByte = 0
; TotalNumSgprs: 0
; NumVgprs: 0
; ScratchSize: 0
; MemoryBound: 0
; FloatMode: 240
; IeeeMode: 1
; LDSByteSize: 0 bytes/workgroup (compile time only)
; SGPRBlocks: 0
; VGPRBlocks: 0
; NumSGPRsForWavesPerEU: 1
; NumVGPRsForWavesPerEU: 1
; Occupancy: 16
; WaveLimiterHint : 0
; COMPUTE_PGM_RSRC2:SCRATCH_EN: 0
; COMPUTE_PGM_RSRC2:USER_SGPR: 6
; COMPUTE_PGM_RSRC2:TRAP_HANDLER: 0
; COMPUTE_PGM_RSRC2:TGID_X_EN: 1
; COMPUTE_PGM_RSRC2:TGID_Y_EN: 0
; COMPUTE_PGM_RSRC2:TGID_Z_EN: 0
; COMPUTE_PGM_RSRC2:TIDIG_COMP_CNT: 0
	.section	.text._ZN7rocprim17ROCPRIM_400000_NS6detail17trampoline_kernelINS0_14default_configENS1_36segmented_radix_sort_config_selectorIslEEZNS1_25segmented_radix_sort_implIS3_Lb1EPKsPsPKlPlN2at6native12_GLOBAL__N_18offset_tEEE10hipError_tPvRmT1_PNSt15iterator_traitsISK_E10value_typeET2_T3_PNSL_ISQ_E10value_typeET4_jRbjT5_SW_jjP12ihipStream_tbEUlT_E0_NS1_11comp_targetILNS1_3genE2ELNS1_11target_archE906ELNS1_3gpuE6ELNS1_3repE0EEENS1_60segmented_radix_sort_warp_sort_medium_config_static_selectorELNS0_4arch9wavefront6targetE0EEEvSK_,"axG",@progbits,_ZN7rocprim17ROCPRIM_400000_NS6detail17trampoline_kernelINS0_14default_configENS1_36segmented_radix_sort_config_selectorIslEEZNS1_25segmented_radix_sort_implIS3_Lb1EPKsPsPKlPlN2at6native12_GLOBAL__N_18offset_tEEE10hipError_tPvRmT1_PNSt15iterator_traitsISK_E10value_typeET2_T3_PNSL_ISQ_E10value_typeET4_jRbjT5_SW_jjP12ihipStream_tbEUlT_E0_NS1_11comp_targetILNS1_3genE2ELNS1_11target_archE906ELNS1_3gpuE6ELNS1_3repE0EEENS1_60segmented_radix_sort_warp_sort_medium_config_static_selectorELNS0_4arch9wavefront6targetE0EEEvSK_,comdat
	.globl	_ZN7rocprim17ROCPRIM_400000_NS6detail17trampoline_kernelINS0_14default_configENS1_36segmented_radix_sort_config_selectorIslEEZNS1_25segmented_radix_sort_implIS3_Lb1EPKsPsPKlPlN2at6native12_GLOBAL__N_18offset_tEEE10hipError_tPvRmT1_PNSt15iterator_traitsISK_E10value_typeET2_T3_PNSL_ISQ_E10value_typeET4_jRbjT5_SW_jjP12ihipStream_tbEUlT_E0_NS1_11comp_targetILNS1_3genE2ELNS1_11target_archE906ELNS1_3gpuE6ELNS1_3repE0EEENS1_60segmented_radix_sort_warp_sort_medium_config_static_selectorELNS0_4arch9wavefront6targetE0EEEvSK_ ; -- Begin function _ZN7rocprim17ROCPRIM_400000_NS6detail17trampoline_kernelINS0_14default_configENS1_36segmented_radix_sort_config_selectorIslEEZNS1_25segmented_radix_sort_implIS3_Lb1EPKsPsPKlPlN2at6native12_GLOBAL__N_18offset_tEEE10hipError_tPvRmT1_PNSt15iterator_traitsISK_E10value_typeET2_T3_PNSL_ISQ_E10value_typeET4_jRbjT5_SW_jjP12ihipStream_tbEUlT_E0_NS1_11comp_targetILNS1_3genE2ELNS1_11target_archE906ELNS1_3gpuE6ELNS1_3repE0EEENS1_60segmented_radix_sort_warp_sort_medium_config_static_selectorELNS0_4arch9wavefront6targetE0EEEvSK_
	.p2align	8
	.type	_ZN7rocprim17ROCPRIM_400000_NS6detail17trampoline_kernelINS0_14default_configENS1_36segmented_radix_sort_config_selectorIslEEZNS1_25segmented_radix_sort_implIS3_Lb1EPKsPsPKlPlN2at6native12_GLOBAL__N_18offset_tEEE10hipError_tPvRmT1_PNSt15iterator_traitsISK_E10value_typeET2_T3_PNSL_ISQ_E10value_typeET4_jRbjT5_SW_jjP12ihipStream_tbEUlT_E0_NS1_11comp_targetILNS1_3genE2ELNS1_11target_archE906ELNS1_3gpuE6ELNS1_3repE0EEENS1_60segmented_radix_sort_warp_sort_medium_config_static_selectorELNS0_4arch9wavefront6targetE0EEEvSK_,@function
_ZN7rocprim17ROCPRIM_400000_NS6detail17trampoline_kernelINS0_14default_configENS1_36segmented_radix_sort_config_selectorIslEEZNS1_25segmented_radix_sort_implIS3_Lb1EPKsPsPKlPlN2at6native12_GLOBAL__N_18offset_tEEE10hipError_tPvRmT1_PNSt15iterator_traitsISK_E10value_typeET2_T3_PNSL_ISQ_E10value_typeET4_jRbjT5_SW_jjP12ihipStream_tbEUlT_E0_NS1_11comp_targetILNS1_3genE2ELNS1_11target_archE906ELNS1_3gpuE6ELNS1_3repE0EEENS1_60segmented_radix_sort_warp_sort_medium_config_static_selectorELNS0_4arch9wavefront6targetE0EEEvSK_: ; @_ZN7rocprim17ROCPRIM_400000_NS6detail17trampoline_kernelINS0_14default_configENS1_36segmented_radix_sort_config_selectorIslEEZNS1_25segmented_radix_sort_implIS3_Lb1EPKsPsPKlPlN2at6native12_GLOBAL__N_18offset_tEEE10hipError_tPvRmT1_PNSt15iterator_traitsISK_E10value_typeET2_T3_PNSL_ISQ_E10value_typeET4_jRbjT5_SW_jjP12ihipStream_tbEUlT_E0_NS1_11comp_targetILNS1_3genE2ELNS1_11target_archE906ELNS1_3gpuE6ELNS1_3repE0EEENS1_60segmented_radix_sort_warp_sort_medium_config_static_selectorELNS0_4arch9wavefront6targetE0EEEvSK_
; %bb.0:
	.section	.rodata,"a",@progbits
	.p2align	6, 0x0
	.amdhsa_kernel _ZN7rocprim17ROCPRIM_400000_NS6detail17trampoline_kernelINS0_14default_configENS1_36segmented_radix_sort_config_selectorIslEEZNS1_25segmented_radix_sort_implIS3_Lb1EPKsPsPKlPlN2at6native12_GLOBAL__N_18offset_tEEE10hipError_tPvRmT1_PNSt15iterator_traitsISK_E10value_typeET2_T3_PNSL_ISQ_E10value_typeET4_jRbjT5_SW_jjP12ihipStream_tbEUlT_E0_NS1_11comp_targetILNS1_3genE2ELNS1_11target_archE906ELNS1_3gpuE6ELNS1_3repE0EEENS1_60segmented_radix_sort_warp_sort_medium_config_static_selectorELNS0_4arch9wavefront6targetE0EEEvSK_
		.amdhsa_group_segment_fixed_size 0
		.amdhsa_private_segment_fixed_size 0
		.amdhsa_kernarg_size 88
		.amdhsa_user_sgpr_count 6
		.amdhsa_user_sgpr_private_segment_buffer 1
		.amdhsa_user_sgpr_dispatch_ptr 0
		.amdhsa_user_sgpr_queue_ptr 0
		.amdhsa_user_sgpr_kernarg_segment_ptr 1
		.amdhsa_user_sgpr_dispatch_id 0
		.amdhsa_user_sgpr_flat_scratch_init 0
		.amdhsa_user_sgpr_private_segment_size 0
		.amdhsa_wavefront_size32 1
		.amdhsa_uses_dynamic_stack 0
		.amdhsa_system_sgpr_private_segment_wavefront_offset 0
		.amdhsa_system_sgpr_workgroup_id_x 1
		.amdhsa_system_sgpr_workgroup_id_y 0
		.amdhsa_system_sgpr_workgroup_id_z 0
		.amdhsa_system_sgpr_workgroup_info 0
		.amdhsa_system_vgpr_workitem_id 0
		.amdhsa_next_free_vgpr 1
		.amdhsa_next_free_sgpr 1
		.amdhsa_reserve_vcc 0
		.amdhsa_reserve_flat_scratch 0
		.amdhsa_float_round_mode_32 0
		.amdhsa_float_round_mode_16_64 0
		.amdhsa_float_denorm_mode_32 3
		.amdhsa_float_denorm_mode_16_64 3
		.amdhsa_dx10_clamp 1
		.amdhsa_ieee_mode 1
		.amdhsa_fp16_overflow 0
		.amdhsa_workgroup_processor_mode 1
		.amdhsa_memory_ordered 1
		.amdhsa_forward_progress 1
		.amdhsa_shared_vgpr_count 0
		.amdhsa_exception_fp_ieee_invalid_op 0
		.amdhsa_exception_fp_denorm_src 0
		.amdhsa_exception_fp_ieee_div_zero 0
		.amdhsa_exception_fp_ieee_overflow 0
		.amdhsa_exception_fp_ieee_underflow 0
		.amdhsa_exception_fp_ieee_inexact 0
		.amdhsa_exception_int_div_zero 0
	.end_amdhsa_kernel
	.section	.text._ZN7rocprim17ROCPRIM_400000_NS6detail17trampoline_kernelINS0_14default_configENS1_36segmented_radix_sort_config_selectorIslEEZNS1_25segmented_radix_sort_implIS3_Lb1EPKsPsPKlPlN2at6native12_GLOBAL__N_18offset_tEEE10hipError_tPvRmT1_PNSt15iterator_traitsISK_E10value_typeET2_T3_PNSL_ISQ_E10value_typeET4_jRbjT5_SW_jjP12ihipStream_tbEUlT_E0_NS1_11comp_targetILNS1_3genE2ELNS1_11target_archE906ELNS1_3gpuE6ELNS1_3repE0EEENS1_60segmented_radix_sort_warp_sort_medium_config_static_selectorELNS0_4arch9wavefront6targetE0EEEvSK_,"axG",@progbits,_ZN7rocprim17ROCPRIM_400000_NS6detail17trampoline_kernelINS0_14default_configENS1_36segmented_radix_sort_config_selectorIslEEZNS1_25segmented_radix_sort_implIS3_Lb1EPKsPsPKlPlN2at6native12_GLOBAL__N_18offset_tEEE10hipError_tPvRmT1_PNSt15iterator_traitsISK_E10value_typeET2_T3_PNSL_ISQ_E10value_typeET4_jRbjT5_SW_jjP12ihipStream_tbEUlT_E0_NS1_11comp_targetILNS1_3genE2ELNS1_11target_archE906ELNS1_3gpuE6ELNS1_3repE0EEENS1_60segmented_radix_sort_warp_sort_medium_config_static_selectorELNS0_4arch9wavefront6targetE0EEEvSK_,comdat
.Lfunc_end919:
	.size	_ZN7rocprim17ROCPRIM_400000_NS6detail17trampoline_kernelINS0_14default_configENS1_36segmented_radix_sort_config_selectorIslEEZNS1_25segmented_radix_sort_implIS3_Lb1EPKsPsPKlPlN2at6native12_GLOBAL__N_18offset_tEEE10hipError_tPvRmT1_PNSt15iterator_traitsISK_E10value_typeET2_T3_PNSL_ISQ_E10value_typeET4_jRbjT5_SW_jjP12ihipStream_tbEUlT_E0_NS1_11comp_targetILNS1_3genE2ELNS1_11target_archE906ELNS1_3gpuE6ELNS1_3repE0EEENS1_60segmented_radix_sort_warp_sort_medium_config_static_selectorELNS0_4arch9wavefront6targetE0EEEvSK_, .Lfunc_end919-_ZN7rocprim17ROCPRIM_400000_NS6detail17trampoline_kernelINS0_14default_configENS1_36segmented_radix_sort_config_selectorIslEEZNS1_25segmented_radix_sort_implIS3_Lb1EPKsPsPKlPlN2at6native12_GLOBAL__N_18offset_tEEE10hipError_tPvRmT1_PNSt15iterator_traitsISK_E10value_typeET2_T3_PNSL_ISQ_E10value_typeET4_jRbjT5_SW_jjP12ihipStream_tbEUlT_E0_NS1_11comp_targetILNS1_3genE2ELNS1_11target_archE906ELNS1_3gpuE6ELNS1_3repE0EEENS1_60segmented_radix_sort_warp_sort_medium_config_static_selectorELNS0_4arch9wavefront6targetE0EEEvSK_
                                        ; -- End function
	.set _ZN7rocprim17ROCPRIM_400000_NS6detail17trampoline_kernelINS0_14default_configENS1_36segmented_radix_sort_config_selectorIslEEZNS1_25segmented_radix_sort_implIS3_Lb1EPKsPsPKlPlN2at6native12_GLOBAL__N_18offset_tEEE10hipError_tPvRmT1_PNSt15iterator_traitsISK_E10value_typeET2_T3_PNSL_ISQ_E10value_typeET4_jRbjT5_SW_jjP12ihipStream_tbEUlT_E0_NS1_11comp_targetILNS1_3genE2ELNS1_11target_archE906ELNS1_3gpuE6ELNS1_3repE0EEENS1_60segmented_radix_sort_warp_sort_medium_config_static_selectorELNS0_4arch9wavefront6targetE0EEEvSK_.num_vgpr, 0
	.set _ZN7rocprim17ROCPRIM_400000_NS6detail17trampoline_kernelINS0_14default_configENS1_36segmented_radix_sort_config_selectorIslEEZNS1_25segmented_radix_sort_implIS3_Lb1EPKsPsPKlPlN2at6native12_GLOBAL__N_18offset_tEEE10hipError_tPvRmT1_PNSt15iterator_traitsISK_E10value_typeET2_T3_PNSL_ISQ_E10value_typeET4_jRbjT5_SW_jjP12ihipStream_tbEUlT_E0_NS1_11comp_targetILNS1_3genE2ELNS1_11target_archE906ELNS1_3gpuE6ELNS1_3repE0EEENS1_60segmented_radix_sort_warp_sort_medium_config_static_selectorELNS0_4arch9wavefront6targetE0EEEvSK_.num_agpr, 0
	.set _ZN7rocprim17ROCPRIM_400000_NS6detail17trampoline_kernelINS0_14default_configENS1_36segmented_radix_sort_config_selectorIslEEZNS1_25segmented_radix_sort_implIS3_Lb1EPKsPsPKlPlN2at6native12_GLOBAL__N_18offset_tEEE10hipError_tPvRmT1_PNSt15iterator_traitsISK_E10value_typeET2_T3_PNSL_ISQ_E10value_typeET4_jRbjT5_SW_jjP12ihipStream_tbEUlT_E0_NS1_11comp_targetILNS1_3genE2ELNS1_11target_archE906ELNS1_3gpuE6ELNS1_3repE0EEENS1_60segmented_radix_sort_warp_sort_medium_config_static_selectorELNS0_4arch9wavefront6targetE0EEEvSK_.numbered_sgpr, 0
	.set _ZN7rocprim17ROCPRIM_400000_NS6detail17trampoline_kernelINS0_14default_configENS1_36segmented_radix_sort_config_selectorIslEEZNS1_25segmented_radix_sort_implIS3_Lb1EPKsPsPKlPlN2at6native12_GLOBAL__N_18offset_tEEE10hipError_tPvRmT1_PNSt15iterator_traitsISK_E10value_typeET2_T3_PNSL_ISQ_E10value_typeET4_jRbjT5_SW_jjP12ihipStream_tbEUlT_E0_NS1_11comp_targetILNS1_3genE2ELNS1_11target_archE906ELNS1_3gpuE6ELNS1_3repE0EEENS1_60segmented_radix_sort_warp_sort_medium_config_static_selectorELNS0_4arch9wavefront6targetE0EEEvSK_.num_named_barrier, 0
	.set _ZN7rocprim17ROCPRIM_400000_NS6detail17trampoline_kernelINS0_14default_configENS1_36segmented_radix_sort_config_selectorIslEEZNS1_25segmented_radix_sort_implIS3_Lb1EPKsPsPKlPlN2at6native12_GLOBAL__N_18offset_tEEE10hipError_tPvRmT1_PNSt15iterator_traitsISK_E10value_typeET2_T3_PNSL_ISQ_E10value_typeET4_jRbjT5_SW_jjP12ihipStream_tbEUlT_E0_NS1_11comp_targetILNS1_3genE2ELNS1_11target_archE906ELNS1_3gpuE6ELNS1_3repE0EEENS1_60segmented_radix_sort_warp_sort_medium_config_static_selectorELNS0_4arch9wavefront6targetE0EEEvSK_.private_seg_size, 0
	.set _ZN7rocprim17ROCPRIM_400000_NS6detail17trampoline_kernelINS0_14default_configENS1_36segmented_radix_sort_config_selectorIslEEZNS1_25segmented_radix_sort_implIS3_Lb1EPKsPsPKlPlN2at6native12_GLOBAL__N_18offset_tEEE10hipError_tPvRmT1_PNSt15iterator_traitsISK_E10value_typeET2_T3_PNSL_ISQ_E10value_typeET4_jRbjT5_SW_jjP12ihipStream_tbEUlT_E0_NS1_11comp_targetILNS1_3genE2ELNS1_11target_archE906ELNS1_3gpuE6ELNS1_3repE0EEENS1_60segmented_radix_sort_warp_sort_medium_config_static_selectorELNS0_4arch9wavefront6targetE0EEEvSK_.uses_vcc, 0
	.set _ZN7rocprim17ROCPRIM_400000_NS6detail17trampoline_kernelINS0_14default_configENS1_36segmented_radix_sort_config_selectorIslEEZNS1_25segmented_radix_sort_implIS3_Lb1EPKsPsPKlPlN2at6native12_GLOBAL__N_18offset_tEEE10hipError_tPvRmT1_PNSt15iterator_traitsISK_E10value_typeET2_T3_PNSL_ISQ_E10value_typeET4_jRbjT5_SW_jjP12ihipStream_tbEUlT_E0_NS1_11comp_targetILNS1_3genE2ELNS1_11target_archE906ELNS1_3gpuE6ELNS1_3repE0EEENS1_60segmented_radix_sort_warp_sort_medium_config_static_selectorELNS0_4arch9wavefront6targetE0EEEvSK_.uses_flat_scratch, 0
	.set _ZN7rocprim17ROCPRIM_400000_NS6detail17trampoline_kernelINS0_14default_configENS1_36segmented_radix_sort_config_selectorIslEEZNS1_25segmented_radix_sort_implIS3_Lb1EPKsPsPKlPlN2at6native12_GLOBAL__N_18offset_tEEE10hipError_tPvRmT1_PNSt15iterator_traitsISK_E10value_typeET2_T3_PNSL_ISQ_E10value_typeET4_jRbjT5_SW_jjP12ihipStream_tbEUlT_E0_NS1_11comp_targetILNS1_3genE2ELNS1_11target_archE906ELNS1_3gpuE6ELNS1_3repE0EEENS1_60segmented_radix_sort_warp_sort_medium_config_static_selectorELNS0_4arch9wavefront6targetE0EEEvSK_.has_dyn_sized_stack, 0
	.set _ZN7rocprim17ROCPRIM_400000_NS6detail17trampoline_kernelINS0_14default_configENS1_36segmented_radix_sort_config_selectorIslEEZNS1_25segmented_radix_sort_implIS3_Lb1EPKsPsPKlPlN2at6native12_GLOBAL__N_18offset_tEEE10hipError_tPvRmT1_PNSt15iterator_traitsISK_E10value_typeET2_T3_PNSL_ISQ_E10value_typeET4_jRbjT5_SW_jjP12ihipStream_tbEUlT_E0_NS1_11comp_targetILNS1_3genE2ELNS1_11target_archE906ELNS1_3gpuE6ELNS1_3repE0EEENS1_60segmented_radix_sort_warp_sort_medium_config_static_selectorELNS0_4arch9wavefront6targetE0EEEvSK_.has_recursion, 0
	.set _ZN7rocprim17ROCPRIM_400000_NS6detail17trampoline_kernelINS0_14default_configENS1_36segmented_radix_sort_config_selectorIslEEZNS1_25segmented_radix_sort_implIS3_Lb1EPKsPsPKlPlN2at6native12_GLOBAL__N_18offset_tEEE10hipError_tPvRmT1_PNSt15iterator_traitsISK_E10value_typeET2_T3_PNSL_ISQ_E10value_typeET4_jRbjT5_SW_jjP12ihipStream_tbEUlT_E0_NS1_11comp_targetILNS1_3genE2ELNS1_11target_archE906ELNS1_3gpuE6ELNS1_3repE0EEENS1_60segmented_radix_sort_warp_sort_medium_config_static_selectorELNS0_4arch9wavefront6targetE0EEEvSK_.has_indirect_call, 0
	.section	.AMDGPU.csdata,"",@progbits
; Kernel info:
; codeLenInByte = 0
; TotalNumSgprs: 0
; NumVgprs: 0
; ScratchSize: 0
; MemoryBound: 0
; FloatMode: 240
; IeeeMode: 1
; LDSByteSize: 0 bytes/workgroup (compile time only)
; SGPRBlocks: 0
; VGPRBlocks: 0
; NumSGPRsForWavesPerEU: 1
; NumVGPRsForWavesPerEU: 1
; Occupancy: 16
; WaveLimiterHint : 0
; COMPUTE_PGM_RSRC2:SCRATCH_EN: 0
; COMPUTE_PGM_RSRC2:USER_SGPR: 6
; COMPUTE_PGM_RSRC2:TRAP_HANDLER: 0
; COMPUTE_PGM_RSRC2:TGID_X_EN: 1
; COMPUTE_PGM_RSRC2:TGID_Y_EN: 0
; COMPUTE_PGM_RSRC2:TGID_Z_EN: 0
; COMPUTE_PGM_RSRC2:TIDIG_COMP_CNT: 0
	.section	.text._ZN7rocprim17ROCPRIM_400000_NS6detail17trampoline_kernelINS0_14default_configENS1_36segmented_radix_sort_config_selectorIslEEZNS1_25segmented_radix_sort_implIS3_Lb1EPKsPsPKlPlN2at6native12_GLOBAL__N_18offset_tEEE10hipError_tPvRmT1_PNSt15iterator_traitsISK_E10value_typeET2_T3_PNSL_ISQ_E10value_typeET4_jRbjT5_SW_jjP12ihipStream_tbEUlT_E0_NS1_11comp_targetILNS1_3genE10ELNS1_11target_archE1201ELNS1_3gpuE5ELNS1_3repE0EEENS1_60segmented_radix_sort_warp_sort_medium_config_static_selectorELNS0_4arch9wavefront6targetE0EEEvSK_,"axG",@progbits,_ZN7rocprim17ROCPRIM_400000_NS6detail17trampoline_kernelINS0_14default_configENS1_36segmented_radix_sort_config_selectorIslEEZNS1_25segmented_radix_sort_implIS3_Lb1EPKsPsPKlPlN2at6native12_GLOBAL__N_18offset_tEEE10hipError_tPvRmT1_PNSt15iterator_traitsISK_E10value_typeET2_T3_PNSL_ISQ_E10value_typeET4_jRbjT5_SW_jjP12ihipStream_tbEUlT_E0_NS1_11comp_targetILNS1_3genE10ELNS1_11target_archE1201ELNS1_3gpuE5ELNS1_3repE0EEENS1_60segmented_radix_sort_warp_sort_medium_config_static_selectorELNS0_4arch9wavefront6targetE0EEEvSK_,comdat
	.globl	_ZN7rocprim17ROCPRIM_400000_NS6detail17trampoline_kernelINS0_14default_configENS1_36segmented_radix_sort_config_selectorIslEEZNS1_25segmented_radix_sort_implIS3_Lb1EPKsPsPKlPlN2at6native12_GLOBAL__N_18offset_tEEE10hipError_tPvRmT1_PNSt15iterator_traitsISK_E10value_typeET2_T3_PNSL_ISQ_E10value_typeET4_jRbjT5_SW_jjP12ihipStream_tbEUlT_E0_NS1_11comp_targetILNS1_3genE10ELNS1_11target_archE1201ELNS1_3gpuE5ELNS1_3repE0EEENS1_60segmented_radix_sort_warp_sort_medium_config_static_selectorELNS0_4arch9wavefront6targetE0EEEvSK_ ; -- Begin function _ZN7rocprim17ROCPRIM_400000_NS6detail17trampoline_kernelINS0_14default_configENS1_36segmented_radix_sort_config_selectorIslEEZNS1_25segmented_radix_sort_implIS3_Lb1EPKsPsPKlPlN2at6native12_GLOBAL__N_18offset_tEEE10hipError_tPvRmT1_PNSt15iterator_traitsISK_E10value_typeET2_T3_PNSL_ISQ_E10value_typeET4_jRbjT5_SW_jjP12ihipStream_tbEUlT_E0_NS1_11comp_targetILNS1_3genE10ELNS1_11target_archE1201ELNS1_3gpuE5ELNS1_3repE0EEENS1_60segmented_radix_sort_warp_sort_medium_config_static_selectorELNS0_4arch9wavefront6targetE0EEEvSK_
	.p2align	8
	.type	_ZN7rocprim17ROCPRIM_400000_NS6detail17trampoline_kernelINS0_14default_configENS1_36segmented_radix_sort_config_selectorIslEEZNS1_25segmented_radix_sort_implIS3_Lb1EPKsPsPKlPlN2at6native12_GLOBAL__N_18offset_tEEE10hipError_tPvRmT1_PNSt15iterator_traitsISK_E10value_typeET2_T3_PNSL_ISQ_E10value_typeET4_jRbjT5_SW_jjP12ihipStream_tbEUlT_E0_NS1_11comp_targetILNS1_3genE10ELNS1_11target_archE1201ELNS1_3gpuE5ELNS1_3repE0EEENS1_60segmented_radix_sort_warp_sort_medium_config_static_selectorELNS0_4arch9wavefront6targetE0EEEvSK_,@function
_ZN7rocprim17ROCPRIM_400000_NS6detail17trampoline_kernelINS0_14default_configENS1_36segmented_radix_sort_config_selectorIslEEZNS1_25segmented_radix_sort_implIS3_Lb1EPKsPsPKlPlN2at6native12_GLOBAL__N_18offset_tEEE10hipError_tPvRmT1_PNSt15iterator_traitsISK_E10value_typeET2_T3_PNSL_ISQ_E10value_typeET4_jRbjT5_SW_jjP12ihipStream_tbEUlT_E0_NS1_11comp_targetILNS1_3genE10ELNS1_11target_archE1201ELNS1_3gpuE5ELNS1_3repE0EEENS1_60segmented_radix_sort_warp_sort_medium_config_static_selectorELNS0_4arch9wavefront6targetE0EEEvSK_: ; @_ZN7rocprim17ROCPRIM_400000_NS6detail17trampoline_kernelINS0_14default_configENS1_36segmented_radix_sort_config_selectorIslEEZNS1_25segmented_radix_sort_implIS3_Lb1EPKsPsPKlPlN2at6native12_GLOBAL__N_18offset_tEEE10hipError_tPvRmT1_PNSt15iterator_traitsISK_E10value_typeET2_T3_PNSL_ISQ_E10value_typeET4_jRbjT5_SW_jjP12ihipStream_tbEUlT_E0_NS1_11comp_targetILNS1_3genE10ELNS1_11target_archE1201ELNS1_3gpuE5ELNS1_3repE0EEENS1_60segmented_radix_sort_warp_sort_medium_config_static_selectorELNS0_4arch9wavefront6targetE0EEEvSK_
; %bb.0:
	.section	.rodata,"a",@progbits
	.p2align	6, 0x0
	.amdhsa_kernel _ZN7rocprim17ROCPRIM_400000_NS6detail17trampoline_kernelINS0_14default_configENS1_36segmented_radix_sort_config_selectorIslEEZNS1_25segmented_radix_sort_implIS3_Lb1EPKsPsPKlPlN2at6native12_GLOBAL__N_18offset_tEEE10hipError_tPvRmT1_PNSt15iterator_traitsISK_E10value_typeET2_T3_PNSL_ISQ_E10value_typeET4_jRbjT5_SW_jjP12ihipStream_tbEUlT_E0_NS1_11comp_targetILNS1_3genE10ELNS1_11target_archE1201ELNS1_3gpuE5ELNS1_3repE0EEENS1_60segmented_radix_sort_warp_sort_medium_config_static_selectorELNS0_4arch9wavefront6targetE0EEEvSK_
		.amdhsa_group_segment_fixed_size 0
		.amdhsa_private_segment_fixed_size 0
		.amdhsa_kernarg_size 88
		.amdhsa_user_sgpr_count 6
		.amdhsa_user_sgpr_private_segment_buffer 1
		.amdhsa_user_sgpr_dispatch_ptr 0
		.amdhsa_user_sgpr_queue_ptr 0
		.amdhsa_user_sgpr_kernarg_segment_ptr 1
		.amdhsa_user_sgpr_dispatch_id 0
		.amdhsa_user_sgpr_flat_scratch_init 0
		.amdhsa_user_sgpr_private_segment_size 0
		.amdhsa_wavefront_size32 1
		.amdhsa_uses_dynamic_stack 0
		.amdhsa_system_sgpr_private_segment_wavefront_offset 0
		.amdhsa_system_sgpr_workgroup_id_x 1
		.amdhsa_system_sgpr_workgroup_id_y 0
		.amdhsa_system_sgpr_workgroup_id_z 0
		.amdhsa_system_sgpr_workgroup_info 0
		.amdhsa_system_vgpr_workitem_id 0
		.amdhsa_next_free_vgpr 1
		.amdhsa_next_free_sgpr 1
		.amdhsa_reserve_vcc 0
		.amdhsa_reserve_flat_scratch 0
		.amdhsa_float_round_mode_32 0
		.amdhsa_float_round_mode_16_64 0
		.amdhsa_float_denorm_mode_32 3
		.amdhsa_float_denorm_mode_16_64 3
		.amdhsa_dx10_clamp 1
		.amdhsa_ieee_mode 1
		.amdhsa_fp16_overflow 0
		.amdhsa_workgroup_processor_mode 1
		.amdhsa_memory_ordered 1
		.amdhsa_forward_progress 1
		.amdhsa_shared_vgpr_count 0
		.amdhsa_exception_fp_ieee_invalid_op 0
		.amdhsa_exception_fp_denorm_src 0
		.amdhsa_exception_fp_ieee_div_zero 0
		.amdhsa_exception_fp_ieee_overflow 0
		.amdhsa_exception_fp_ieee_underflow 0
		.amdhsa_exception_fp_ieee_inexact 0
		.amdhsa_exception_int_div_zero 0
	.end_amdhsa_kernel
	.section	.text._ZN7rocprim17ROCPRIM_400000_NS6detail17trampoline_kernelINS0_14default_configENS1_36segmented_radix_sort_config_selectorIslEEZNS1_25segmented_radix_sort_implIS3_Lb1EPKsPsPKlPlN2at6native12_GLOBAL__N_18offset_tEEE10hipError_tPvRmT1_PNSt15iterator_traitsISK_E10value_typeET2_T3_PNSL_ISQ_E10value_typeET4_jRbjT5_SW_jjP12ihipStream_tbEUlT_E0_NS1_11comp_targetILNS1_3genE10ELNS1_11target_archE1201ELNS1_3gpuE5ELNS1_3repE0EEENS1_60segmented_radix_sort_warp_sort_medium_config_static_selectorELNS0_4arch9wavefront6targetE0EEEvSK_,"axG",@progbits,_ZN7rocprim17ROCPRIM_400000_NS6detail17trampoline_kernelINS0_14default_configENS1_36segmented_radix_sort_config_selectorIslEEZNS1_25segmented_radix_sort_implIS3_Lb1EPKsPsPKlPlN2at6native12_GLOBAL__N_18offset_tEEE10hipError_tPvRmT1_PNSt15iterator_traitsISK_E10value_typeET2_T3_PNSL_ISQ_E10value_typeET4_jRbjT5_SW_jjP12ihipStream_tbEUlT_E0_NS1_11comp_targetILNS1_3genE10ELNS1_11target_archE1201ELNS1_3gpuE5ELNS1_3repE0EEENS1_60segmented_radix_sort_warp_sort_medium_config_static_selectorELNS0_4arch9wavefront6targetE0EEEvSK_,comdat
.Lfunc_end920:
	.size	_ZN7rocprim17ROCPRIM_400000_NS6detail17trampoline_kernelINS0_14default_configENS1_36segmented_radix_sort_config_selectorIslEEZNS1_25segmented_radix_sort_implIS3_Lb1EPKsPsPKlPlN2at6native12_GLOBAL__N_18offset_tEEE10hipError_tPvRmT1_PNSt15iterator_traitsISK_E10value_typeET2_T3_PNSL_ISQ_E10value_typeET4_jRbjT5_SW_jjP12ihipStream_tbEUlT_E0_NS1_11comp_targetILNS1_3genE10ELNS1_11target_archE1201ELNS1_3gpuE5ELNS1_3repE0EEENS1_60segmented_radix_sort_warp_sort_medium_config_static_selectorELNS0_4arch9wavefront6targetE0EEEvSK_, .Lfunc_end920-_ZN7rocprim17ROCPRIM_400000_NS6detail17trampoline_kernelINS0_14default_configENS1_36segmented_radix_sort_config_selectorIslEEZNS1_25segmented_radix_sort_implIS3_Lb1EPKsPsPKlPlN2at6native12_GLOBAL__N_18offset_tEEE10hipError_tPvRmT1_PNSt15iterator_traitsISK_E10value_typeET2_T3_PNSL_ISQ_E10value_typeET4_jRbjT5_SW_jjP12ihipStream_tbEUlT_E0_NS1_11comp_targetILNS1_3genE10ELNS1_11target_archE1201ELNS1_3gpuE5ELNS1_3repE0EEENS1_60segmented_radix_sort_warp_sort_medium_config_static_selectorELNS0_4arch9wavefront6targetE0EEEvSK_
                                        ; -- End function
	.set _ZN7rocprim17ROCPRIM_400000_NS6detail17trampoline_kernelINS0_14default_configENS1_36segmented_radix_sort_config_selectorIslEEZNS1_25segmented_radix_sort_implIS3_Lb1EPKsPsPKlPlN2at6native12_GLOBAL__N_18offset_tEEE10hipError_tPvRmT1_PNSt15iterator_traitsISK_E10value_typeET2_T3_PNSL_ISQ_E10value_typeET4_jRbjT5_SW_jjP12ihipStream_tbEUlT_E0_NS1_11comp_targetILNS1_3genE10ELNS1_11target_archE1201ELNS1_3gpuE5ELNS1_3repE0EEENS1_60segmented_radix_sort_warp_sort_medium_config_static_selectorELNS0_4arch9wavefront6targetE0EEEvSK_.num_vgpr, 0
	.set _ZN7rocprim17ROCPRIM_400000_NS6detail17trampoline_kernelINS0_14default_configENS1_36segmented_radix_sort_config_selectorIslEEZNS1_25segmented_radix_sort_implIS3_Lb1EPKsPsPKlPlN2at6native12_GLOBAL__N_18offset_tEEE10hipError_tPvRmT1_PNSt15iterator_traitsISK_E10value_typeET2_T3_PNSL_ISQ_E10value_typeET4_jRbjT5_SW_jjP12ihipStream_tbEUlT_E0_NS1_11comp_targetILNS1_3genE10ELNS1_11target_archE1201ELNS1_3gpuE5ELNS1_3repE0EEENS1_60segmented_radix_sort_warp_sort_medium_config_static_selectorELNS0_4arch9wavefront6targetE0EEEvSK_.num_agpr, 0
	.set _ZN7rocprim17ROCPRIM_400000_NS6detail17trampoline_kernelINS0_14default_configENS1_36segmented_radix_sort_config_selectorIslEEZNS1_25segmented_radix_sort_implIS3_Lb1EPKsPsPKlPlN2at6native12_GLOBAL__N_18offset_tEEE10hipError_tPvRmT1_PNSt15iterator_traitsISK_E10value_typeET2_T3_PNSL_ISQ_E10value_typeET4_jRbjT5_SW_jjP12ihipStream_tbEUlT_E0_NS1_11comp_targetILNS1_3genE10ELNS1_11target_archE1201ELNS1_3gpuE5ELNS1_3repE0EEENS1_60segmented_radix_sort_warp_sort_medium_config_static_selectorELNS0_4arch9wavefront6targetE0EEEvSK_.numbered_sgpr, 0
	.set _ZN7rocprim17ROCPRIM_400000_NS6detail17trampoline_kernelINS0_14default_configENS1_36segmented_radix_sort_config_selectorIslEEZNS1_25segmented_radix_sort_implIS3_Lb1EPKsPsPKlPlN2at6native12_GLOBAL__N_18offset_tEEE10hipError_tPvRmT1_PNSt15iterator_traitsISK_E10value_typeET2_T3_PNSL_ISQ_E10value_typeET4_jRbjT5_SW_jjP12ihipStream_tbEUlT_E0_NS1_11comp_targetILNS1_3genE10ELNS1_11target_archE1201ELNS1_3gpuE5ELNS1_3repE0EEENS1_60segmented_radix_sort_warp_sort_medium_config_static_selectorELNS0_4arch9wavefront6targetE0EEEvSK_.num_named_barrier, 0
	.set _ZN7rocprim17ROCPRIM_400000_NS6detail17trampoline_kernelINS0_14default_configENS1_36segmented_radix_sort_config_selectorIslEEZNS1_25segmented_radix_sort_implIS3_Lb1EPKsPsPKlPlN2at6native12_GLOBAL__N_18offset_tEEE10hipError_tPvRmT1_PNSt15iterator_traitsISK_E10value_typeET2_T3_PNSL_ISQ_E10value_typeET4_jRbjT5_SW_jjP12ihipStream_tbEUlT_E0_NS1_11comp_targetILNS1_3genE10ELNS1_11target_archE1201ELNS1_3gpuE5ELNS1_3repE0EEENS1_60segmented_radix_sort_warp_sort_medium_config_static_selectorELNS0_4arch9wavefront6targetE0EEEvSK_.private_seg_size, 0
	.set _ZN7rocprim17ROCPRIM_400000_NS6detail17trampoline_kernelINS0_14default_configENS1_36segmented_radix_sort_config_selectorIslEEZNS1_25segmented_radix_sort_implIS3_Lb1EPKsPsPKlPlN2at6native12_GLOBAL__N_18offset_tEEE10hipError_tPvRmT1_PNSt15iterator_traitsISK_E10value_typeET2_T3_PNSL_ISQ_E10value_typeET4_jRbjT5_SW_jjP12ihipStream_tbEUlT_E0_NS1_11comp_targetILNS1_3genE10ELNS1_11target_archE1201ELNS1_3gpuE5ELNS1_3repE0EEENS1_60segmented_radix_sort_warp_sort_medium_config_static_selectorELNS0_4arch9wavefront6targetE0EEEvSK_.uses_vcc, 0
	.set _ZN7rocprim17ROCPRIM_400000_NS6detail17trampoline_kernelINS0_14default_configENS1_36segmented_radix_sort_config_selectorIslEEZNS1_25segmented_radix_sort_implIS3_Lb1EPKsPsPKlPlN2at6native12_GLOBAL__N_18offset_tEEE10hipError_tPvRmT1_PNSt15iterator_traitsISK_E10value_typeET2_T3_PNSL_ISQ_E10value_typeET4_jRbjT5_SW_jjP12ihipStream_tbEUlT_E0_NS1_11comp_targetILNS1_3genE10ELNS1_11target_archE1201ELNS1_3gpuE5ELNS1_3repE0EEENS1_60segmented_radix_sort_warp_sort_medium_config_static_selectorELNS0_4arch9wavefront6targetE0EEEvSK_.uses_flat_scratch, 0
	.set _ZN7rocprim17ROCPRIM_400000_NS6detail17trampoline_kernelINS0_14default_configENS1_36segmented_radix_sort_config_selectorIslEEZNS1_25segmented_radix_sort_implIS3_Lb1EPKsPsPKlPlN2at6native12_GLOBAL__N_18offset_tEEE10hipError_tPvRmT1_PNSt15iterator_traitsISK_E10value_typeET2_T3_PNSL_ISQ_E10value_typeET4_jRbjT5_SW_jjP12ihipStream_tbEUlT_E0_NS1_11comp_targetILNS1_3genE10ELNS1_11target_archE1201ELNS1_3gpuE5ELNS1_3repE0EEENS1_60segmented_radix_sort_warp_sort_medium_config_static_selectorELNS0_4arch9wavefront6targetE0EEEvSK_.has_dyn_sized_stack, 0
	.set _ZN7rocprim17ROCPRIM_400000_NS6detail17trampoline_kernelINS0_14default_configENS1_36segmented_radix_sort_config_selectorIslEEZNS1_25segmented_radix_sort_implIS3_Lb1EPKsPsPKlPlN2at6native12_GLOBAL__N_18offset_tEEE10hipError_tPvRmT1_PNSt15iterator_traitsISK_E10value_typeET2_T3_PNSL_ISQ_E10value_typeET4_jRbjT5_SW_jjP12ihipStream_tbEUlT_E0_NS1_11comp_targetILNS1_3genE10ELNS1_11target_archE1201ELNS1_3gpuE5ELNS1_3repE0EEENS1_60segmented_radix_sort_warp_sort_medium_config_static_selectorELNS0_4arch9wavefront6targetE0EEEvSK_.has_recursion, 0
	.set _ZN7rocprim17ROCPRIM_400000_NS6detail17trampoline_kernelINS0_14default_configENS1_36segmented_radix_sort_config_selectorIslEEZNS1_25segmented_radix_sort_implIS3_Lb1EPKsPsPKlPlN2at6native12_GLOBAL__N_18offset_tEEE10hipError_tPvRmT1_PNSt15iterator_traitsISK_E10value_typeET2_T3_PNSL_ISQ_E10value_typeET4_jRbjT5_SW_jjP12ihipStream_tbEUlT_E0_NS1_11comp_targetILNS1_3genE10ELNS1_11target_archE1201ELNS1_3gpuE5ELNS1_3repE0EEENS1_60segmented_radix_sort_warp_sort_medium_config_static_selectorELNS0_4arch9wavefront6targetE0EEEvSK_.has_indirect_call, 0
	.section	.AMDGPU.csdata,"",@progbits
; Kernel info:
; codeLenInByte = 0
; TotalNumSgprs: 0
; NumVgprs: 0
; ScratchSize: 0
; MemoryBound: 0
; FloatMode: 240
; IeeeMode: 1
; LDSByteSize: 0 bytes/workgroup (compile time only)
; SGPRBlocks: 0
; VGPRBlocks: 0
; NumSGPRsForWavesPerEU: 1
; NumVGPRsForWavesPerEU: 1
; Occupancy: 16
; WaveLimiterHint : 0
; COMPUTE_PGM_RSRC2:SCRATCH_EN: 0
; COMPUTE_PGM_RSRC2:USER_SGPR: 6
; COMPUTE_PGM_RSRC2:TRAP_HANDLER: 0
; COMPUTE_PGM_RSRC2:TGID_X_EN: 1
; COMPUTE_PGM_RSRC2:TGID_Y_EN: 0
; COMPUTE_PGM_RSRC2:TGID_Z_EN: 0
; COMPUTE_PGM_RSRC2:TIDIG_COMP_CNT: 0
	.section	.text._ZN7rocprim17ROCPRIM_400000_NS6detail17trampoline_kernelINS0_14default_configENS1_36segmented_radix_sort_config_selectorIslEEZNS1_25segmented_radix_sort_implIS3_Lb1EPKsPsPKlPlN2at6native12_GLOBAL__N_18offset_tEEE10hipError_tPvRmT1_PNSt15iterator_traitsISK_E10value_typeET2_T3_PNSL_ISQ_E10value_typeET4_jRbjT5_SW_jjP12ihipStream_tbEUlT_E0_NS1_11comp_targetILNS1_3genE10ELNS1_11target_archE1200ELNS1_3gpuE4ELNS1_3repE0EEENS1_60segmented_radix_sort_warp_sort_medium_config_static_selectorELNS0_4arch9wavefront6targetE0EEEvSK_,"axG",@progbits,_ZN7rocprim17ROCPRIM_400000_NS6detail17trampoline_kernelINS0_14default_configENS1_36segmented_radix_sort_config_selectorIslEEZNS1_25segmented_radix_sort_implIS3_Lb1EPKsPsPKlPlN2at6native12_GLOBAL__N_18offset_tEEE10hipError_tPvRmT1_PNSt15iterator_traitsISK_E10value_typeET2_T3_PNSL_ISQ_E10value_typeET4_jRbjT5_SW_jjP12ihipStream_tbEUlT_E0_NS1_11comp_targetILNS1_3genE10ELNS1_11target_archE1200ELNS1_3gpuE4ELNS1_3repE0EEENS1_60segmented_radix_sort_warp_sort_medium_config_static_selectorELNS0_4arch9wavefront6targetE0EEEvSK_,comdat
	.globl	_ZN7rocprim17ROCPRIM_400000_NS6detail17trampoline_kernelINS0_14default_configENS1_36segmented_radix_sort_config_selectorIslEEZNS1_25segmented_radix_sort_implIS3_Lb1EPKsPsPKlPlN2at6native12_GLOBAL__N_18offset_tEEE10hipError_tPvRmT1_PNSt15iterator_traitsISK_E10value_typeET2_T3_PNSL_ISQ_E10value_typeET4_jRbjT5_SW_jjP12ihipStream_tbEUlT_E0_NS1_11comp_targetILNS1_3genE10ELNS1_11target_archE1200ELNS1_3gpuE4ELNS1_3repE0EEENS1_60segmented_radix_sort_warp_sort_medium_config_static_selectorELNS0_4arch9wavefront6targetE0EEEvSK_ ; -- Begin function _ZN7rocprim17ROCPRIM_400000_NS6detail17trampoline_kernelINS0_14default_configENS1_36segmented_radix_sort_config_selectorIslEEZNS1_25segmented_radix_sort_implIS3_Lb1EPKsPsPKlPlN2at6native12_GLOBAL__N_18offset_tEEE10hipError_tPvRmT1_PNSt15iterator_traitsISK_E10value_typeET2_T3_PNSL_ISQ_E10value_typeET4_jRbjT5_SW_jjP12ihipStream_tbEUlT_E0_NS1_11comp_targetILNS1_3genE10ELNS1_11target_archE1200ELNS1_3gpuE4ELNS1_3repE0EEENS1_60segmented_radix_sort_warp_sort_medium_config_static_selectorELNS0_4arch9wavefront6targetE0EEEvSK_
	.p2align	8
	.type	_ZN7rocprim17ROCPRIM_400000_NS6detail17trampoline_kernelINS0_14default_configENS1_36segmented_radix_sort_config_selectorIslEEZNS1_25segmented_radix_sort_implIS3_Lb1EPKsPsPKlPlN2at6native12_GLOBAL__N_18offset_tEEE10hipError_tPvRmT1_PNSt15iterator_traitsISK_E10value_typeET2_T3_PNSL_ISQ_E10value_typeET4_jRbjT5_SW_jjP12ihipStream_tbEUlT_E0_NS1_11comp_targetILNS1_3genE10ELNS1_11target_archE1200ELNS1_3gpuE4ELNS1_3repE0EEENS1_60segmented_radix_sort_warp_sort_medium_config_static_selectorELNS0_4arch9wavefront6targetE0EEEvSK_,@function
_ZN7rocprim17ROCPRIM_400000_NS6detail17trampoline_kernelINS0_14default_configENS1_36segmented_radix_sort_config_selectorIslEEZNS1_25segmented_radix_sort_implIS3_Lb1EPKsPsPKlPlN2at6native12_GLOBAL__N_18offset_tEEE10hipError_tPvRmT1_PNSt15iterator_traitsISK_E10value_typeET2_T3_PNSL_ISQ_E10value_typeET4_jRbjT5_SW_jjP12ihipStream_tbEUlT_E0_NS1_11comp_targetILNS1_3genE10ELNS1_11target_archE1200ELNS1_3gpuE4ELNS1_3repE0EEENS1_60segmented_radix_sort_warp_sort_medium_config_static_selectorELNS0_4arch9wavefront6targetE0EEEvSK_: ; @_ZN7rocprim17ROCPRIM_400000_NS6detail17trampoline_kernelINS0_14default_configENS1_36segmented_radix_sort_config_selectorIslEEZNS1_25segmented_radix_sort_implIS3_Lb1EPKsPsPKlPlN2at6native12_GLOBAL__N_18offset_tEEE10hipError_tPvRmT1_PNSt15iterator_traitsISK_E10value_typeET2_T3_PNSL_ISQ_E10value_typeET4_jRbjT5_SW_jjP12ihipStream_tbEUlT_E0_NS1_11comp_targetILNS1_3genE10ELNS1_11target_archE1200ELNS1_3gpuE4ELNS1_3repE0EEENS1_60segmented_radix_sort_warp_sort_medium_config_static_selectorELNS0_4arch9wavefront6targetE0EEEvSK_
; %bb.0:
	.section	.rodata,"a",@progbits
	.p2align	6, 0x0
	.amdhsa_kernel _ZN7rocprim17ROCPRIM_400000_NS6detail17trampoline_kernelINS0_14default_configENS1_36segmented_radix_sort_config_selectorIslEEZNS1_25segmented_radix_sort_implIS3_Lb1EPKsPsPKlPlN2at6native12_GLOBAL__N_18offset_tEEE10hipError_tPvRmT1_PNSt15iterator_traitsISK_E10value_typeET2_T3_PNSL_ISQ_E10value_typeET4_jRbjT5_SW_jjP12ihipStream_tbEUlT_E0_NS1_11comp_targetILNS1_3genE10ELNS1_11target_archE1200ELNS1_3gpuE4ELNS1_3repE0EEENS1_60segmented_radix_sort_warp_sort_medium_config_static_selectorELNS0_4arch9wavefront6targetE0EEEvSK_
		.amdhsa_group_segment_fixed_size 0
		.amdhsa_private_segment_fixed_size 0
		.amdhsa_kernarg_size 88
		.amdhsa_user_sgpr_count 6
		.amdhsa_user_sgpr_private_segment_buffer 1
		.amdhsa_user_sgpr_dispatch_ptr 0
		.amdhsa_user_sgpr_queue_ptr 0
		.amdhsa_user_sgpr_kernarg_segment_ptr 1
		.amdhsa_user_sgpr_dispatch_id 0
		.amdhsa_user_sgpr_flat_scratch_init 0
		.amdhsa_user_sgpr_private_segment_size 0
		.amdhsa_wavefront_size32 1
		.amdhsa_uses_dynamic_stack 0
		.amdhsa_system_sgpr_private_segment_wavefront_offset 0
		.amdhsa_system_sgpr_workgroup_id_x 1
		.amdhsa_system_sgpr_workgroup_id_y 0
		.amdhsa_system_sgpr_workgroup_id_z 0
		.amdhsa_system_sgpr_workgroup_info 0
		.amdhsa_system_vgpr_workitem_id 0
		.amdhsa_next_free_vgpr 1
		.amdhsa_next_free_sgpr 1
		.amdhsa_reserve_vcc 0
		.amdhsa_reserve_flat_scratch 0
		.amdhsa_float_round_mode_32 0
		.amdhsa_float_round_mode_16_64 0
		.amdhsa_float_denorm_mode_32 3
		.amdhsa_float_denorm_mode_16_64 3
		.amdhsa_dx10_clamp 1
		.amdhsa_ieee_mode 1
		.amdhsa_fp16_overflow 0
		.amdhsa_workgroup_processor_mode 1
		.amdhsa_memory_ordered 1
		.amdhsa_forward_progress 1
		.amdhsa_shared_vgpr_count 0
		.amdhsa_exception_fp_ieee_invalid_op 0
		.amdhsa_exception_fp_denorm_src 0
		.amdhsa_exception_fp_ieee_div_zero 0
		.amdhsa_exception_fp_ieee_overflow 0
		.amdhsa_exception_fp_ieee_underflow 0
		.amdhsa_exception_fp_ieee_inexact 0
		.amdhsa_exception_int_div_zero 0
	.end_amdhsa_kernel
	.section	.text._ZN7rocprim17ROCPRIM_400000_NS6detail17trampoline_kernelINS0_14default_configENS1_36segmented_radix_sort_config_selectorIslEEZNS1_25segmented_radix_sort_implIS3_Lb1EPKsPsPKlPlN2at6native12_GLOBAL__N_18offset_tEEE10hipError_tPvRmT1_PNSt15iterator_traitsISK_E10value_typeET2_T3_PNSL_ISQ_E10value_typeET4_jRbjT5_SW_jjP12ihipStream_tbEUlT_E0_NS1_11comp_targetILNS1_3genE10ELNS1_11target_archE1200ELNS1_3gpuE4ELNS1_3repE0EEENS1_60segmented_radix_sort_warp_sort_medium_config_static_selectorELNS0_4arch9wavefront6targetE0EEEvSK_,"axG",@progbits,_ZN7rocprim17ROCPRIM_400000_NS6detail17trampoline_kernelINS0_14default_configENS1_36segmented_radix_sort_config_selectorIslEEZNS1_25segmented_radix_sort_implIS3_Lb1EPKsPsPKlPlN2at6native12_GLOBAL__N_18offset_tEEE10hipError_tPvRmT1_PNSt15iterator_traitsISK_E10value_typeET2_T3_PNSL_ISQ_E10value_typeET4_jRbjT5_SW_jjP12ihipStream_tbEUlT_E0_NS1_11comp_targetILNS1_3genE10ELNS1_11target_archE1200ELNS1_3gpuE4ELNS1_3repE0EEENS1_60segmented_radix_sort_warp_sort_medium_config_static_selectorELNS0_4arch9wavefront6targetE0EEEvSK_,comdat
.Lfunc_end921:
	.size	_ZN7rocprim17ROCPRIM_400000_NS6detail17trampoline_kernelINS0_14default_configENS1_36segmented_radix_sort_config_selectorIslEEZNS1_25segmented_radix_sort_implIS3_Lb1EPKsPsPKlPlN2at6native12_GLOBAL__N_18offset_tEEE10hipError_tPvRmT1_PNSt15iterator_traitsISK_E10value_typeET2_T3_PNSL_ISQ_E10value_typeET4_jRbjT5_SW_jjP12ihipStream_tbEUlT_E0_NS1_11comp_targetILNS1_3genE10ELNS1_11target_archE1200ELNS1_3gpuE4ELNS1_3repE0EEENS1_60segmented_radix_sort_warp_sort_medium_config_static_selectorELNS0_4arch9wavefront6targetE0EEEvSK_, .Lfunc_end921-_ZN7rocprim17ROCPRIM_400000_NS6detail17trampoline_kernelINS0_14default_configENS1_36segmented_radix_sort_config_selectorIslEEZNS1_25segmented_radix_sort_implIS3_Lb1EPKsPsPKlPlN2at6native12_GLOBAL__N_18offset_tEEE10hipError_tPvRmT1_PNSt15iterator_traitsISK_E10value_typeET2_T3_PNSL_ISQ_E10value_typeET4_jRbjT5_SW_jjP12ihipStream_tbEUlT_E0_NS1_11comp_targetILNS1_3genE10ELNS1_11target_archE1200ELNS1_3gpuE4ELNS1_3repE0EEENS1_60segmented_radix_sort_warp_sort_medium_config_static_selectorELNS0_4arch9wavefront6targetE0EEEvSK_
                                        ; -- End function
	.set _ZN7rocprim17ROCPRIM_400000_NS6detail17trampoline_kernelINS0_14default_configENS1_36segmented_radix_sort_config_selectorIslEEZNS1_25segmented_radix_sort_implIS3_Lb1EPKsPsPKlPlN2at6native12_GLOBAL__N_18offset_tEEE10hipError_tPvRmT1_PNSt15iterator_traitsISK_E10value_typeET2_T3_PNSL_ISQ_E10value_typeET4_jRbjT5_SW_jjP12ihipStream_tbEUlT_E0_NS1_11comp_targetILNS1_3genE10ELNS1_11target_archE1200ELNS1_3gpuE4ELNS1_3repE0EEENS1_60segmented_radix_sort_warp_sort_medium_config_static_selectorELNS0_4arch9wavefront6targetE0EEEvSK_.num_vgpr, 0
	.set _ZN7rocprim17ROCPRIM_400000_NS6detail17trampoline_kernelINS0_14default_configENS1_36segmented_radix_sort_config_selectorIslEEZNS1_25segmented_radix_sort_implIS3_Lb1EPKsPsPKlPlN2at6native12_GLOBAL__N_18offset_tEEE10hipError_tPvRmT1_PNSt15iterator_traitsISK_E10value_typeET2_T3_PNSL_ISQ_E10value_typeET4_jRbjT5_SW_jjP12ihipStream_tbEUlT_E0_NS1_11comp_targetILNS1_3genE10ELNS1_11target_archE1200ELNS1_3gpuE4ELNS1_3repE0EEENS1_60segmented_radix_sort_warp_sort_medium_config_static_selectorELNS0_4arch9wavefront6targetE0EEEvSK_.num_agpr, 0
	.set _ZN7rocprim17ROCPRIM_400000_NS6detail17trampoline_kernelINS0_14default_configENS1_36segmented_radix_sort_config_selectorIslEEZNS1_25segmented_radix_sort_implIS3_Lb1EPKsPsPKlPlN2at6native12_GLOBAL__N_18offset_tEEE10hipError_tPvRmT1_PNSt15iterator_traitsISK_E10value_typeET2_T3_PNSL_ISQ_E10value_typeET4_jRbjT5_SW_jjP12ihipStream_tbEUlT_E0_NS1_11comp_targetILNS1_3genE10ELNS1_11target_archE1200ELNS1_3gpuE4ELNS1_3repE0EEENS1_60segmented_radix_sort_warp_sort_medium_config_static_selectorELNS0_4arch9wavefront6targetE0EEEvSK_.numbered_sgpr, 0
	.set _ZN7rocprim17ROCPRIM_400000_NS6detail17trampoline_kernelINS0_14default_configENS1_36segmented_radix_sort_config_selectorIslEEZNS1_25segmented_radix_sort_implIS3_Lb1EPKsPsPKlPlN2at6native12_GLOBAL__N_18offset_tEEE10hipError_tPvRmT1_PNSt15iterator_traitsISK_E10value_typeET2_T3_PNSL_ISQ_E10value_typeET4_jRbjT5_SW_jjP12ihipStream_tbEUlT_E0_NS1_11comp_targetILNS1_3genE10ELNS1_11target_archE1200ELNS1_3gpuE4ELNS1_3repE0EEENS1_60segmented_radix_sort_warp_sort_medium_config_static_selectorELNS0_4arch9wavefront6targetE0EEEvSK_.num_named_barrier, 0
	.set _ZN7rocprim17ROCPRIM_400000_NS6detail17trampoline_kernelINS0_14default_configENS1_36segmented_radix_sort_config_selectorIslEEZNS1_25segmented_radix_sort_implIS3_Lb1EPKsPsPKlPlN2at6native12_GLOBAL__N_18offset_tEEE10hipError_tPvRmT1_PNSt15iterator_traitsISK_E10value_typeET2_T3_PNSL_ISQ_E10value_typeET4_jRbjT5_SW_jjP12ihipStream_tbEUlT_E0_NS1_11comp_targetILNS1_3genE10ELNS1_11target_archE1200ELNS1_3gpuE4ELNS1_3repE0EEENS1_60segmented_radix_sort_warp_sort_medium_config_static_selectorELNS0_4arch9wavefront6targetE0EEEvSK_.private_seg_size, 0
	.set _ZN7rocprim17ROCPRIM_400000_NS6detail17trampoline_kernelINS0_14default_configENS1_36segmented_radix_sort_config_selectorIslEEZNS1_25segmented_radix_sort_implIS3_Lb1EPKsPsPKlPlN2at6native12_GLOBAL__N_18offset_tEEE10hipError_tPvRmT1_PNSt15iterator_traitsISK_E10value_typeET2_T3_PNSL_ISQ_E10value_typeET4_jRbjT5_SW_jjP12ihipStream_tbEUlT_E0_NS1_11comp_targetILNS1_3genE10ELNS1_11target_archE1200ELNS1_3gpuE4ELNS1_3repE0EEENS1_60segmented_radix_sort_warp_sort_medium_config_static_selectorELNS0_4arch9wavefront6targetE0EEEvSK_.uses_vcc, 0
	.set _ZN7rocprim17ROCPRIM_400000_NS6detail17trampoline_kernelINS0_14default_configENS1_36segmented_radix_sort_config_selectorIslEEZNS1_25segmented_radix_sort_implIS3_Lb1EPKsPsPKlPlN2at6native12_GLOBAL__N_18offset_tEEE10hipError_tPvRmT1_PNSt15iterator_traitsISK_E10value_typeET2_T3_PNSL_ISQ_E10value_typeET4_jRbjT5_SW_jjP12ihipStream_tbEUlT_E0_NS1_11comp_targetILNS1_3genE10ELNS1_11target_archE1200ELNS1_3gpuE4ELNS1_3repE0EEENS1_60segmented_radix_sort_warp_sort_medium_config_static_selectorELNS0_4arch9wavefront6targetE0EEEvSK_.uses_flat_scratch, 0
	.set _ZN7rocprim17ROCPRIM_400000_NS6detail17trampoline_kernelINS0_14default_configENS1_36segmented_radix_sort_config_selectorIslEEZNS1_25segmented_radix_sort_implIS3_Lb1EPKsPsPKlPlN2at6native12_GLOBAL__N_18offset_tEEE10hipError_tPvRmT1_PNSt15iterator_traitsISK_E10value_typeET2_T3_PNSL_ISQ_E10value_typeET4_jRbjT5_SW_jjP12ihipStream_tbEUlT_E0_NS1_11comp_targetILNS1_3genE10ELNS1_11target_archE1200ELNS1_3gpuE4ELNS1_3repE0EEENS1_60segmented_radix_sort_warp_sort_medium_config_static_selectorELNS0_4arch9wavefront6targetE0EEEvSK_.has_dyn_sized_stack, 0
	.set _ZN7rocprim17ROCPRIM_400000_NS6detail17trampoline_kernelINS0_14default_configENS1_36segmented_radix_sort_config_selectorIslEEZNS1_25segmented_radix_sort_implIS3_Lb1EPKsPsPKlPlN2at6native12_GLOBAL__N_18offset_tEEE10hipError_tPvRmT1_PNSt15iterator_traitsISK_E10value_typeET2_T3_PNSL_ISQ_E10value_typeET4_jRbjT5_SW_jjP12ihipStream_tbEUlT_E0_NS1_11comp_targetILNS1_3genE10ELNS1_11target_archE1200ELNS1_3gpuE4ELNS1_3repE0EEENS1_60segmented_radix_sort_warp_sort_medium_config_static_selectorELNS0_4arch9wavefront6targetE0EEEvSK_.has_recursion, 0
	.set _ZN7rocprim17ROCPRIM_400000_NS6detail17trampoline_kernelINS0_14default_configENS1_36segmented_radix_sort_config_selectorIslEEZNS1_25segmented_radix_sort_implIS3_Lb1EPKsPsPKlPlN2at6native12_GLOBAL__N_18offset_tEEE10hipError_tPvRmT1_PNSt15iterator_traitsISK_E10value_typeET2_T3_PNSL_ISQ_E10value_typeET4_jRbjT5_SW_jjP12ihipStream_tbEUlT_E0_NS1_11comp_targetILNS1_3genE10ELNS1_11target_archE1200ELNS1_3gpuE4ELNS1_3repE0EEENS1_60segmented_radix_sort_warp_sort_medium_config_static_selectorELNS0_4arch9wavefront6targetE0EEEvSK_.has_indirect_call, 0
	.section	.AMDGPU.csdata,"",@progbits
; Kernel info:
; codeLenInByte = 0
; TotalNumSgprs: 0
; NumVgprs: 0
; ScratchSize: 0
; MemoryBound: 0
; FloatMode: 240
; IeeeMode: 1
; LDSByteSize: 0 bytes/workgroup (compile time only)
; SGPRBlocks: 0
; VGPRBlocks: 0
; NumSGPRsForWavesPerEU: 1
; NumVGPRsForWavesPerEU: 1
; Occupancy: 16
; WaveLimiterHint : 0
; COMPUTE_PGM_RSRC2:SCRATCH_EN: 0
; COMPUTE_PGM_RSRC2:USER_SGPR: 6
; COMPUTE_PGM_RSRC2:TRAP_HANDLER: 0
; COMPUTE_PGM_RSRC2:TGID_X_EN: 1
; COMPUTE_PGM_RSRC2:TGID_Y_EN: 0
; COMPUTE_PGM_RSRC2:TGID_Z_EN: 0
; COMPUTE_PGM_RSRC2:TIDIG_COMP_CNT: 0
	.section	.text._ZN7rocprim17ROCPRIM_400000_NS6detail17trampoline_kernelINS0_14default_configENS1_36segmented_radix_sort_config_selectorIslEEZNS1_25segmented_radix_sort_implIS3_Lb1EPKsPsPKlPlN2at6native12_GLOBAL__N_18offset_tEEE10hipError_tPvRmT1_PNSt15iterator_traitsISK_E10value_typeET2_T3_PNSL_ISQ_E10value_typeET4_jRbjT5_SW_jjP12ihipStream_tbEUlT_E0_NS1_11comp_targetILNS1_3genE9ELNS1_11target_archE1100ELNS1_3gpuE3ELNS1_3repE0EEENS1_60segmented_radix_sort_warp_sort_medium_config_static_selectorELNS0_4arch9wavefront6targetE0EEEvSK_,"axG",@progbits,_ZN7rocprim17ROCPRIM_400000_NS6detail17trampoline_kernelINS0_14default_configENS1_36segmented_radix_sort_config_selectorIslEEZNS1_25segmented_radix_sort_implIS3_Lb1EPKsPsPKlPlN2at6native12_GLOBAL__N_18offset_tEEE10hipError_tPvRmT1_PNSt15iterator_traitsISK_E10value_typeET2_T3_PNSL_ISQ_E10value_typeET4_jRbjT5_SW_jjP12ihipStream_tbEUlT_E0_NS1_11comp_targetILNS1_3genE9ELNS1_11target_archE1100ELNS1_3gpuE3ELNS1_3repE0EEENS1_60segmented_radix_sort_warp_sort_medium_config_static_selectorELNS0_4arch9wavefront6targetE0EEEvSK_,comdat
	.globl	_ZN7rocprim17ROCPRIM_400000_NS6detail17trampoline_kernelINS0_14default_configENS1_36segmented_radix_sort_config_selectorIslEEZNS1_25segmented_radix_sort_implIS3_Lb1EPKsPsPKlPlN2at6native12_GLOBAL__N_18offset_tEEE10hipError_tPvRmT1_PNSt15iterator_traitsISK_E10value_typeET2_T3_PNSL_ISQ_E10value_typeET4_jRbjT5_SW_jjP12ihipStream_tbEUlT_E0_NS1_11comp_targetILNS1_3genE9ELNS1_11target_archE1100ELNS1_3gpuE3ELNS1_3repE0EEENS1_60segmented_radix_sort_warp_sort_medium_config_static_selectorELNS0_4arch9wavefront6targetE0EEEvSK_ ; -- Begin function _ZN7rocprim17ROCPRIM_400000_NS6detail17trampoline_kernelINS0_14default_configENS1_36segmented_radix_sort_config_selectorIslEEZNS1_25segmented_radix_sort_implIS3_Lb1EPKsPsPKlPlN2at6native12_GLOBAL__N_18offset_tEEE10hipError_tPvRmT1_PNSt15iterator_traitsISK_E10value_typeET2_T3_PNSL_ISQ_E10value_typeET4_jRbjT5_SW_jjP12ihipStream_tbEUlT_E0_NS1_11comp_targetILNS1_3genE9ELNS1_11target_archE1100ELNS1_3gpuE3ELNS1_3repE0EEENS1_60segmented_radix_sort_warp_sort_medium_config_static_selectorELNS0_4arch9wavefront6targetE0EEEvSK_
	.p2align	8
	.type	_ZN7rocprim17ROCPRIM_400000_NS6detail17trampoline_kernelINS0_14default_configENS1_36segmented_radix_sort_config_selectorIslEEZNS1_25segmented_radix_sort_implIS3_Lb1EPKsPsPKlPlN2at6native12_GLOBAL__N_18offset_tEEE10hipError_tPvRmT1_PNSt15iterator_traitsISK_E10value_typeET2_T3_PNSL_ISQ_E10value_typeET4_jRbjT5_SW_jjP12ihipStream_tbEUlT_E0_NS1_11comp_targetILNS1_3genE9ELNS1_11target_archE1100ELNS1_3gpuE3ELNS1_3repE0EEENS1_60segmented_radix_sort_warp_sort_medium_config_static_selectorELNS0_4arch9wavefront6targetE0EEEvSK_,@function
_ZN7rocprim17ROCPRIM_400000_NS6detail17trampoline_kernelINS0_14default_configENS1_36segmented_radix_sort_config_selectorIslEEZNS1_25segmented_radix_sort_implIS3_Lb1EPKsPsPKlPlN2at6native12_GLOBAL__N_18offset_tEEE10hipError_tPvRmT1_PNSt15iterator_traitsISK_E10value_typeET2_T3_PNSL_ISQ_E10value_typeET4_jRbjT5_SW_jjP12ihipStream_tbEUlT_E0_NS1_11comp_targetILNS1_3genE9ELNS1_11target_archE1100ELNS1_3gpuE3ELNS1_3repE0EEENS1_60segmented_radix_sort_warp_sort_medium_config_static_selectorELNS0_4arch9wavefront6targetE0EEEvSK_: ; @_ZN7rocprim17ROCPRIM_400000_NS6detail17trampoline_kernelINS0_14default_configENS1_36segmented_radix_sort_config_selectorIslEEZNS1_25segmented_radix_sort_implIS3_Lb1EPKsPsPKlPlN2at6native12_GLOBAL__N_18offset_tEEE10hipError_tPvRmT1_PNSt15iterator_traitsISK_E10value_typeET2_T3_PNSL_ISQ_E10value_typeET4_jRbjT5_SW_jjP12ihipStream_tbEUlT_E0_NS1_11comp_targetILNS1_3genE9ELNS1_11target_archE1100ELNS1_3gpuE3ELNS1_3repE0EEENS1_60segmented_radix_sort_warp_sort_medium_config_static_selectorELNS0_4arch9wavefront6targetE0EEEvSK_
; %bb.0:
	.section	.rodata,"a",@progbits
	.p2align	6, 0x0
	.amdhsa_kernel _ZN7rocprim17ROCPRIM_400000_NS6detail17trampoline_kernelINS0_14default_configENS1_36segmented_radix_sort_config_selectorIslEEZNS1_25segmented_radix_sort_implIS3_Lb1EPKsPsPKlPlN2at6native12_GLOBAL__N_18offset_tEEE10hipError_tPvRmT1_PNSt15iterator_traitsISK_E10value_typeET2_T3_PNSL_ISQ_E10value_typeET4_jRbjT5_SW_jjP12ihipStream_tbEUlT_E0_NS1_11comp_targetILNS1_3genE9ELNS1_11target_archE1100ELNS1_3gpuE3ELNS1_3repE0EEENS1_60segmented_radix_sort_warp_sort_medium_config_static_selectorELNS0_4arch9wavefront6targetE0EEEvSK_
		.amdhsa_group_segment_fixed_size 0
		.amdhsa_private_segment_fixed_size 0
		.amdhsa_kernarg_size 88
		.amdhsa_user_sgpr_count 6
		.amdhsa_user_sgpr_private_segment_buffer 1
		.amdhsa_user_sgpr_dispatch_ptr 0
		.amdhsa_user_sgpr_queue_ptr 0
		.amdhsa_user_sgpr_kernarg_segment_ptr 1
		.amdhsa_user_sgpr_dispatch_id 0
		.amdhsa_user_sgpr_flat_scratch_init 0
		.amdhsa_user_sgpr_private_segment_size 0
		.amdhsa_wavefront_size32 1
		.amdhsa_uses_dynamic_stack 0
		.amdhsa_system_sgpr_private_segment_wavefront_offset 0
		.amdhsa_system_sgpr_workgroup_id_x 1
		.amdhsa_system_sgpr_workgroup_id_y 0
		.amdhsa_system_sgpr_workgroup_id_z 0
		.amdhsa_system_sgpr_workgroup_info 0
		.amdhsa_system_vgpr_workitem_id 0
		.amdhsa_next_free_vgpr 1
		.amdhsa_next_free_sgpr 1
		.amdhsa_reserve_vcc 0
		.amdhsa_reserve_flat_scratch 0
		.amdhsa_float_round_mode_32 0
		.amdhsa_float_round_mode_16_64 0
		.amdhsa_float_denorm_mode_32 3
		.amdhsa_float_denorm_mode_16_64 3
		.amdhsa_dx10_clamp 1
		.amdhsa_ieee_mode 1
		.amdhsa_fp16_overflow 0
		.amdhsa_workgroup_processor_mode 1
		.amdhsa_memory_ordered 1
		.amdhsa_forward_progress 1
		.amdhsa_shared_vgpr_count 0
		.amdhsa_exception_fp_ieee_invalid_op 0
		.amdhsa_exception_fp_denorm_src 0
		.amdhsa_exception_fp_ieee_div_zero 0
		.amdhsa_exception_fp_ieee_overflow 0
		.amdhsa_exception_fp_ieee_underflow 0
		.amdhsa_exception_fp_ieee_inexact 0
		.amdhsa_exception_int_div_zero 0
	.end_amdhsa_kernel
	.section	.text._ZN7rocprim17ROCPRIM_400000_NS6detail17trampoline_kernelINS0_14default_configENS1_36segmented_radix_sort_config_selectorIslEEZNS1_25segmented_radix_sort_implIS3_Lb1EPKsPsPKlPlN2at6native12_GLOBAL__N_18offset_tEEE10hipError_tPvRmT1_PNSt15iterator_traitsISK_E10value_typeET2_T3_PNSL_ISQ_E10value_typeET4_jRbjT5_SW_jjP12ihipStream_tbEUlT_E0_NS1_11comp_targetILNS1_3genE9ELNS1_11target_archE1100ELNS1_3gpuE3ELNS1_3repE0EEENS1_60segmented_radix_sort_warp_sort_medium_config_static_selectorELNS0_4arch9wavefront6targetE0EEEvSK_,"axG",@progbits,_ZN7rocprim17ROCPRIM_400000_NS6detail17trampoline_kernelINS0_14default_configENS1_36segmented_radix_sort_config_selectorIslEEZNS1_25segmented_radix_sort_implIS3_Lb1EPKsPsPKlPlN2at6native12_GLOBAL__N_18offset_tEEE10hipError_tPvRmT1_PNSt15iterator_traitsISK_E10value_typeET2_T3_PNSL_ISQ_E10value_typeET4_jRbjT5_SW_jjP12ihipStream_tbEUlT_E0_NS1_11comp_targetILNS1_3genE9ELNS1_11target_archE1100ELNS1_3gpuE3ELNS1_3repE0EEENS1_60segmented_radix_sort_warp_sort_medium_config_static_selectorELNS0_4arch9wavefront6targetE0EEEvSK_,comdat
.Lfunc_end922:
	.size	_ZN7rocprim17ROCPRIM_400000_NS6detail17trampoline_kernelINS0_14default_configENS1_36segmented_radix_sort_config_selectorIslEEZNS1_25segmented_radix_sort_implIS3_Lb1EPKsPsPKlPlN2at6native12_GLOBAL__N_18offset_tEEE10hipError_tPvRmT1_PNSt15iterator_traitsISK_E10value_typeET2_T3_PNSL_ISQ_E10value_typeET4_jRbjT5_SW_jjP12ihipStream_tbEUlT_E0_NS1_11comp_targetILNS1_3genE9ELNS1_11target_archE1100ELNS1_3gpuE3ELNS1_3repE0EEENS1_60segmented_radix_sort_warp_sort_medium_config_static_selectorELNS0_4arch9wavefront6targetE0EEEvSK_, .Lfunc_end922-_ZN7rocprim17ROCPRIM_400000_NS6detail17trampoline_kernelINS0_14default_configENS1_36segmented_radix_sort_config_selectorIslEEZNS1_25segmented_radix_sort_implIS3_Lb1EPKsPsPKlPlN2at6native12_GLOBAL__N_18offset_tEEE10hipError_tPvRmT1_PNSt15iterator_traitsISK_E10value_typeET2_T3_PNSL_ISQ_E10value_typeET4_jRbjT5_SW_jjP12ihipStream_tbEUlT_E0_NS1_11comp_targetILNS1_3genE9ELNS1_11target_archE1100ELNS1_3gpuE3ELNS1_3repE0EEENS1_60segmented_radix_sort_warp_sort_medium_config_static_selectorELNS0_4arch9wavefront6targetE0EEEvSK_
                                        ; -- End function
	.set _ZN7rocprim17ROCPRIM_400000_NS6detail17trampoline_kernelINS0_14default_configENS1_36segmented_radix_sort_config_selectorIslEEZNS1_25segmented_radix_sort_implIS3_Lb1EPKsPsPKlPlN2at6native12_GLOBAL__N_18offset_tEEE10hipError_tPvRmT1_PNSt15iterator_traitsISK_E10value_typeET2_T3_PNSL_ISQ_E10value_typeET4_jRbjT5_SW_jjP12ihipStream_tbEUlT_E0_NS1_11comp_targetILNS1_3genE9ELNS1_11target_archE1100ELNS1_3gpuE3ELNS1_3repE0EEENS1_60segmented_radix_sort_warp_sort_medium_config_static_selectorELNS0_4arch9wavefront6targetE0EEEvSK_.num_vgpr, 0
	.set _ZN7rocprim17ROCPRIM_400000_NS6detail17trampoline_kernelINS0_14default_configENS1_36segmented_radix_sort_config_selectorIslEEZNS1_25segmented_radix_sort_implIS3_Lb1EPKsPsPKlPlN2at6native12_GLOBAL__N_18offset_tEEE10hipError_tPvRmT1_PNSt15iterator_traitsISK_E10value_typeET2_T3_PNSL_ISQ_E10value_typeET4_jRbjT5_SW_jjP12ihipStream_tbEUlT_E0_NS1_11comp_targetILNS1_3genE9ELNS1_11target_archE1100ELNS1_3gpuE3ELNS1_3repE0EEENS1_60segmented_radix_sort_warp_sort_medium_config_static_selectorELNS0_4arch9wavefront6targetE0EEEvSK_.num_agpr, 0
	.set _ZN7rocprim17ROCPRIM_400000_NS6detail17trampoline_kernelINS0_14default_configENS1_36segmented_radix_sort_config_selectorIslEEZNS1_25segmented_radix_sort_implIS3_Lb1EPKsPsPKlPlN2at6native12_GLOBAL__N_18offset_tEEE10hipError_tPvRmT1_PNSt15iterator_traitsISK_E10value_typeET2_T3_PNSL_ISQ_E10value_typeET4_jRbjT5_SW_jjP12ihipStream_tbEUlT_E0_NS1_11comp_targetILNS1_3genE9ELNS1_11target_archE1100ELNS1_3gpuE3ELNS1_3repE0EEENS1_60segmented_radix_sort_warp_sort_medium_config_static_selectorELNS0_4arch9wavefront6targetE0EEEvSK_.numbered_sgpr, 0
	.set _ZN7rocprim17ROCPRIM_400000_NS6detail17trampoline_kernelINS0_14default_configENS1_36segmented_radix_sort_config_selectorIslEEZNS1_25segmented_radix_sort_implIS3_Lb1EPKsPsPKlPlN2at6native12_GLOBAL__N_18offset_tEEE10hipError_tPvRmT1_PNSt15iterator_traitsISK_E10value_typeET2_T3_PNSL_ISQ_E10value_typeET4_jRbjT5_SW_jjP12ihipStream_tbEUlT_E0_NS1_11comp_targetILNS1_3genE9ELNS1_11target_archE1100ELNS1_3gpuE3ELNS1_3repE0EEENS1_60segmented_radix_sort_warp_sort_medium_config_static_selectorELNS0_4arch9wavefront6targetE0EEEvSK_.num_named_barrier, 0
	.set _ZN7rocprim17ROCPRIM_400000_NS6detail17trampoline_kernelINS0_14default_configENS1_36segmented_radix_sort_config_selectorIslEEZNS1_25segmented_radix_sort_implIS3_Lb1EPKsPsPKlPlN2at6native12_GLOBAL__N_18offset_tEEE10hipError_tPvRmT1_PNSt15iterator_traitsISK_E10value_typeET2_T3_PNSL_ISQ_E10value_typeET4_jRbjT5_SW_jjP12ihipStream_tbEUlT_E0_NS1_11comp_targetILNS1_3genE9ELNS1_11target_archE1100ELNS1_3gpuE3ELNS1_3repE0EEENS1_60segmented_radix_sort_warp_sort_medium_config_static_selectorELNS0_4arch9wavefront6targetE0EEEvSK_.private_seg_size, 0
	.set _ZN7rocprim17ROCPRIM_400000_NS6detail17trampoline_kernelINS0_14default_configENS1_36segmented_radix_sort_config_selectorIslEEZNS1_25segmented_radix_sort_implIS3_Lb1EPKsPsPKlPlN2at6native12_GLOBAL__N_18offset_tEEE10hipError_tPvRmT1_PNSt15iterator_traitsISK_E10value_typeET2_T3_PNSL_ISQ_E10value_typeET4_jRbjT5_SW_jjP12ihipStream_tbEUlT_E0_NS1_11comp_targetILNS1_3genE9ELNS1_11target_archE1100ELNS1_3gpuE3ELNS1_3repE0EEENS1_60segmented_radix_sort_warp_sort_medium_config_static_selectorELNS0_4arch9wavefront6targetE0EEEvSK_.uses_vcc, 0
	.set _ZN7rocprim17ROCPRIM_400000_NS6detail17trampoline_kernelINS0_14default_configENS1_36segmented_radix_sort_config_selectorIslEEZNS1_25segmented_radix_sort_implIS3_Lb1EPKsPsPKlPlN2at6native12_GLOBAL__N_18offset_tEEE10hipError_tPvRmT1_PNSt15iterator_traitsISK_E10value_typeET2_T3_PNSL_ISQ_E10value_typeET4_jRbjT5_SW_jjP12ihipStream_tbEUlT_E0_NS1_11comp_targetILNS1_3genE9ELNS1_11target_archE1100ELNS1_3gpuE3ELNS1_3repE0EEENS1_60segmented_radix_sort_warp_sort_medium_config_static_selectorELNS0_4arch9wavefront6targetE0EEEvSK_.uses_flat_scratch, 0
	.set _ZN7rocprim17ROCPRIM_400000_NS6detail17trampoline_kernelINS0_14default_configENS1_36segmented_radix_sort_config_selectorIslEEZNS1_25segmented_radix_sort_implIS3_Lb1EPKsPsPKlPlN2at6native12_GLOBAL__N_18offset_tEEE10hipError_tPvRmT1_PNSt15iterator_traitsISK_E10value_typeET2_T3_PNSL_ISQ_E10value_typeET4_jRbjT5_SW_jjP12ihipStream_tbEUlT_E0_NS1_11comp_targetILNS1_3genE9ELNS1_11target_archE1100ELNS1_3gpuE3ELNS1_3repE0EEENS1_60segmented_radix_sort_warp_sort_medium_config_static_selectorELNS0_4arch9wavefront6targetE0EEEvSK_.has_dyn_sized_stack, 0
	.set _ZN7rocprim17ROCPRIM_400000_NS6detail17trampoline_kernelINS0_14default_configENS1_36segmented_radix_sort_config_selectorIslEEZNS1_25segmented_radix_sort_implIS3_Lb1EPKsPsPKlPlN2at6native12_GLOBAL__N_18offset_tEEE10hipError_tPvRmT1_PNSt15iterator_traitsISK_E10value_typeET2_T3_PNSL_ISQ_E10value_typeET4_jRbjT5_SW_jjP12ihipStream_tbEUlT_E0_NS1_11comp_targetILNS1_3genE9ELNS1_11target_archE1100ELNS1_3gpuE3ELNS1_3repE0EEENS1_60segmented_radix_sort_warp_sort_medium_config_static_selectorELNS0_4arch9wavefront6targetE0EEEvSK_.has_recursion, 0
	.set _ZN7rocprim17ROCPRIM_400000_NS6detail17trampoline_kernelINS0_14default_configENS1_36segmented_radix_sort_config_selectorIslEEZNS1_25segmented_radix_sort_implIS3_Lb1EPKsPsPKlPlN2at6native12_GLOBAL__N_18offset_tEEE10hipError_tPvRmT1_PNSt15iterator_traitsISK_E10value_typeET2_T3_PNSL_ISQ_E10value_typeET4_jRbjT5_SW_jjP12ihipStream_tbEUlT_E0_NS1_11comp_targetILNS1_3genE9ELNS1_11target_archE1100ELNS1_3gpuE3ELNS1_3repE0EEENS1_60segmented_radix_sort_warp_sort_medium_config_static_selectorELNS0_4arch9wavefront6targetE0EEEvSK_.has_indirect_call, 0
	.section	.AMDGPU.csdata,"",@progbits
; Kernel info:
; codeLenInByte = 0
; TotalNumSgprs: 0
; NumVgprs: 0
; ScratchSize: 0
; MemoryBound: 0
; FloatMode: 240
; IeeeMode: 1
; LDSByteSize: 0 bytes/workgroup (compile time only)
; SGPRBlocks: 0
; VGPRBlocks: 0
; NumSGPRsForWavesPerEU: 1
; NumVGPRsForWavesPerEU: 1
; Occupancy: 16
; WaveLimiterHint : 0
; COMPUTE_PGM_RSRC2:SCRATCH_EN: 0
; COMPUTE_PGM_RSRC2:USER_SGPR: 6
; COMPUTE_PGM_RSRC2:TRAP_HANDLER: 0
; COMPUTE_PGM_RSRC2:TGID_X_EN: 1
; COMPUTE_PGM_RSRC2:TGID_Y_EN: 0
; COMPUTE_PGM_RSRC2:TGID_Z_EN: 0
; COMPUTE_PGM_RSRC2:TIDIG_COMP_CNT: 0
	.text
	.p2align	2                               ; -- Begin function _ZN7rocprim17ROCPRIM_400000_NS6detail26segmented_warp_sort_helperINS1_20WarpSortHelperConfigILj32ELj4ELj256EEEslLi256ELb1EvE4sortIPKsPsPKlPlEEvT_T0_T1_T2_jjjjRNS5_12storage_typeE
	.type	_ZN7rocprim17ROCPRIM_400000_NS6detail26segmented_warp_sort_helperINS1_20WarpSortHelperConfigILj32ELj4ELj256EEEslLi256ELb1EvE4sortIPKsPsPKlPlEEvT_T0_T1_T2_jjjjRNS5_12storage_typeE,@function
_ZN7rocprim17ROCPRIM_400000_NS6detail26segmented_warp_sort_helperINS1_20WarpSortHelperConfigILj32ELj4ELj256EEEslLi256ELb1EvE4sortIPKsPsPKlPlEEvT_T0_T1_T2_jjjjRNS5_12storage_typeE: ; @_ZN7rocprim17ROCPRIM_400000_NS6detail26segmented_warp_sort_helperINS1_20WarpSortHelperConfigILj32ELj4ELj256EEEslLi256ELb1EvE4sortIPKsPsPKlPlEEvT_T0_T1_T2_jjjjRNS5_12storage_typeE
; %bb.0:
	s_waitcnt vmcnt(0) expcnt(0) lgkmcnt(0)
	v_mov_b32_e32 v14, v9
	v_mov_b32_e32 v9, 0
	v_mbcnt_lo_u32_b32 v15, -1, 0
	v_mov_b32_e32 v37, 0xffff8000
	v_mov_b32_e32 v39, 0xffff8000
	v_sub_nc_u32_e32 v14, v14, v8
	v_lshlrev_b64 v[32:33], 1, v[8:9]
	v_lshlrev_b32_e32 v16, 3, v15
	v_lshlrev_b32_e32 v30, 2, v15
	v_add_co_u32 v0, vcc_lo, v0, v32
	v_add_co_ci_u32_e64 v1, null, v1, v33, vcc_lo
	v_add_co_u32 v0, vcc_lo, v0, v16
	v_add_co_ci_u32_e64 v1, null, 0, v1, vcc_lo
	v_cmp_lt_u32_e32 vcc_lo, v30, v14
	s_and_saveexec_b32 s4, vcc_lo
	s_cbranch_execz .LBB923_2
; %bb.1:
	flat_load_ushort v39, v[0:1]
.LBB923_2:
	s_or_b32 exec_lo, exec_lo, s4
	v_or_b32_e32 v15, 1, v30
	v_cmp_lt_u32_e64 s4, v15, v14
	s_and_saveexec_b32 s5, s4
	s_cbranch_execz .LBB923_4
; %bb.3:
	flat_load_ushort v37, v[0:1] offset:2
.LBB923_4:
	s_or_b32 exec_lo, exec_lo, s5
	v_or_b32_e32 v15, 2, v30
	v_mov_b32_e32 v38, 0xffff8000
	v_mov_b32_e32 v24, 0xffff8000
	v_cmp_lt_u32_e64 s5, v15, v14
	s_and_saveexec_b32 s6, s5
	s_cbranch_execz .LBB923_6
; %bb.5:
	flat_load_ushort v24, v[0:1] offset:4
.LBB923_6:
	s_or_b32 exec_lo, exec_lo, s6
	v_or_b32_e32 v15, 3, v30
	v_cmp_lt_u32_e64 s6, v15, v14
	s_and_saveexec_b32 s7, s6
	s_cbranch_execz .LBB923_8
; %bb.7:
	flat_load_ushort v38, v[0:1] offset:6
.LBB923_8:
	s_or_b32 exec_lo, exec_lo, s7
	v_lshlrev_b64 v[0:1], 3, v[8:9]
	v_lshlrev_b32_e32 v36, 3, v30
	v_mov_b32_e32 v8, 0
	v_mov_b32_e32 v9, 0
	; wave barrier
	v_add_co_u32 v14, s7, v4, v0
	v_add_co_ci_u32_e64 v15, null, v5, v1, s7
	v_mov_b32_e32 v4, 0
	v_add_co_u32 v16, s7, v14, v36
	v_mov_b32_e32 v5, 0
	v_add_co_ci_u32_e64 v17, null, 0, v15, s7
	s_and_saveexec_b32 s7, vcc_lo
	s_cbranch_execz .LBB923_10
; %bb.9:
	flat_load_dwordx2 v[4:5], v[16:17]
.LBB923_10:
	s_or_b32 exec_lo, exec_lo, s7
	s_mov_b32 s7, 0
	v_mov_b32_e32 v18, s7
	v_mov_b32_e32 v19, s7
	;; [unrolled: 1-line block ×6, first 2 shown]
	s_and_saveexec_b32 s10, s4
	s_cbranch_execz .LBB923_12
; %bb.11:
	flat_load_dwordx2 v[18:19], v[16:17] offset:8
	v_mov_b32_e32 v22, s7
	v_mov_b32_e32 v23, s7
	;; [unrolled: 1-line block ×4, first 2 shown]
	s_waitcnt vmcnt(0) lgkmcnt(0)
	v_mov_b32_e32 v8, v18
	v_mov_b32_e32 v9, v19
.LBB923_12:
	s_or_b32 exec_lo, exec_lo, s10
	v_mov_b32_e32 v20, 0
	v_mov_b32_e32 v14, 0
	;; [unrolled: 1-line block ×4, first 2 shown]
	s_and_saveexec_b32 s7, s5
	s_cbranch_execz .LBB923_14
; %bb.13:
	flat_load_dwordx2 v[22:23], v[16:17] offset:16
	s_mov_b32 s10, 0
	v_mov_b32_e32 v34, s10
	v_mov_b32_e32 v35, s10
	s_waitcnt vmcnt(0) lgkmcnt(0)
	v_mov_b32_e32 v14, v22
	v_mov_b32_e32 v15, v23
.LBB923_14:
	s_or_b32 exec_lo, exec_lo, s7
	s_and_saveexec_b32 s7, s6
	s_cbranch_execz .LBB923_16
; %bb.15:
	flat_load_dwordx2 v[34:35], v[16:17] offset:24
	s_waitcnt vmcnt(0) lgkmcnt(0)
	v_mov_b32_e32 v20, v34
	v_mov_b32_e32 v21, v35
.LBB923_16:
	s_or_b32 exec_lo, exec_lo, s7
	v_cmp_ne_u32_e64 s7, 0, v10
	v_cmp_ne_u32_e64 s10, 16, v11
	v_bfe_u32 v17, v31, 10, 10
	v_bfe_u32 v25, v31, 20, 10
	v_and_b32_e32 v16, 0x3ff, v31
	s_or_b32 s7, s7, s10
	; wave barrier
	s_and_saveexec_b32 s10, s7
	s_xor_b32 s17, exec_lo, s10
	s_cbranch_execz .LBB923_80
; %bb.17:
	s_load_dwordx2 s[10:11], s[8:9], 0x0
	v_mov_b32_e32 v26, 0
	v_lshlrev_b32_e64 v10, v10, -1
	s_waitcnt lgkmcnt(0)
	s_cmp_lt_u32 s13, s11
	s_cselect_b32 s7, 14, 20
	s_add_u32 s14, s8, s7
	s_addc_u32 s15, s9, 0
	s_cmp_lt_u32 s12, s10
	global_load_ushort v27, v26, s[14:15]
	s_cselect_b32 s7, 12, 18
	s_add_u32 s10, s8, s7
	s_addc_u32 s11, s9, 0
	global_load_ushort v26, v26, s[10:11]
	s_mov_b32 s11, exec_lo
	s_waitcnt vmcnt(1)
	v_mad_u32_u24 v17, v25, v27, v17
	v_lshlrev_b32_e64 v25, v11, -1
	v_xor_b32_e32 v10, v25, v10
	s_waitcnt vmcnt(0)
	v_mul_lo_u32 v17, v17, v26
	v_add_lshl_u32 v11, v17, v16, 2
	v_cmpx_gt_u32_e32 0x400, v11
	s_cbranch_execz .LBB923_29
; %bb.18:
	v_and_b32_e32 v14, v37, v10
	v_and_b32_e32 v15, v39, v10
	;; [unrolled: 1-line block ×4, first 2 shown]
	v_mov_b32_e32 v31, v24
	s_mov_b32 s14, exec_lo
	v_cmp_gt_i16_e64 s7, v14, v15
	v_cndmask_b32_e64 v17, v19, v5, s7
	v_cndmask_b32_e64 v16, v18, v4, s7
	;; [unrolled: 1-line block ×4, first 2 shown]
	v_mov_b32_e32 v18, v22
	v_mov_b32_e32 v19, v23
	v_cmpx_gt_i16_e64 v9, v8
	s_cbranch_execz .LBB923_20
; %bb.19:
	v_mov_b32_e32 v18, v34
	v_mov_b32_e32 v19, v35
	;; [unrolled: 1-line block ×7, first 2 shown]
.LBB923_20:
	s_or_b32 exec_lo, exec_lo, s14
	v_cndmask_b32_e64 v5, v37, v39, s7
	v_mov_b32_e32 v20, v34
	v_mov_b32_e32 v29, v21
	;; [unrolled: 1-line block ×4, first 2 shown]
	v_and_b32_e32 v4, v5, v10
	v_mov_b32_e32 v28, v20
	v_mov_b32_e32 v27, v19
	;; [unrolled: 1-line block ×4, first 2 shown]
	v_cmp_le_i16_e64 s10, v8, v4
	v_mov_b32_e32 v24, v16
                                        ; implicit-def: $vgpr48
	s_and_saveexec_b32 s14, s10
	s_xor_b32 s10, exec_lo, s14
; %bb.21:
	v_and_b32_e32 v48, v31, v10
                                        ; implicit-def: $vgpr22_vgpr23_vgpr24_vgpr25_vgpr26_vgpr27_vgpr28_vgpr29
                                        ; implicit-def: $vgpr8
; %bb.22:
	s_or_saveexec_b32 s10, s10
	v_mov_b32_e32 v21, v35
	v_mov_b32_e32 v25, v5
	s_xor_b32 exec_lo, exec_lo, s10
	s_cbranch_execz .LBB923_24
; %bb.23:
	v_mov_b32_e32 v24, v18
	v_mov_b32_e32 v25, v19
	;; [unrolled: 1-line block ×18, first 2 shown]
.LBB923_24:
	s_or_b32 exec_lo, exec_lo, s10
	v_cndmask_b32_e64 v22, v39, v37, s7
	v_and_b32_e32 v23, v38, v10
	s_mov_b32 s14, exec_lo
	v_and_b32_e32 v5, v22, v10
	v_cmp_gt_i16_e64 s7, v4, v5
	v_cndmask_b32_e64 v9, v17, v15, s7
	v_cndmask_b32_e64 v8, v16, v14, s7
	;; [unrolled: 1-line block ×4, first 2 shown]
	v_mov_b32_e32 v16, v31
	v_cmpx_gt_i16_e64 v23, v48
	s_cbranch_execz .LBB923_26
; %bb.25:
	v_mov_b32_e32 v14, v18
	v_mov_b32_e32 v15, v19
	;; [unrolled: 1-line block ×9, first 2 shown]
.LBB923_26:
	s_or_b32 exec_lo, exec_lo, s14
	v_cndmask_b32_e64 v37, v25, v22, s7
	v_mov_b32_e32 v14, v18
	v_mov_b32_e32 v15, v19
	;; [unrolled: 1-line block ×3, first 2 shown]
	s_mov_b32 s14, exec_lo
	v_and_b32_e32 v17, v37, v10
	v_cmpx_gt_i16_e64 v48, v17
; %bb.27:
	v_mov_b32_e32 v15, v9
	v_mov_b32_e32 v14, v8
	;; [unrolled: 1-line block ×6, first 2 shown]
; %bb.28:
	s_or_b32 exec_lo, exec_lo, s14
	v_cndmask_b32_e64 v39, v22, v25, s7
.LBB923_29:
	s_or_b32 exec_lo, exec_lo, s11
	v_and_b32_e32 v17, 0xffffff80, v11
	v_or_b32_e32 v11, 4, v30
	v_mov_b32_e32 v18, 0
	v_and_b32_e32 v29, 0x78, v30
	s_mov_b32 s10, exec_lo
	v_sub_nc_u32_e64 v16, 0x400, v17 clamp
	v_lshlrev_b64 v[22:23], 3, v[17:18]
	v_lshlrev_b64 v[17:18], 1, v[17:18]
	v_min_u32_e32 v27, v16, v11
	v_and_b32_e32 v11, 4, v30
	v_add_nc_u32_e32 v19, 4, v27
	v_min_u32_e32 v31, v16, v11
	v_add_co_u32 v11, null, v12, v22
	v_add_co_u32 v12, s7, v12, v17
	v_min_u32_e32 v28, v16, v19
	v_add_co_ci_u32_e64 v13, null, v13, v18, s7
	v_add_co_u32 v11, null, 0x800, v11
	v_sub_nc_u32_e32 v18, v28, v27
	v_sub_nc_u32_e32 v19, v27, v29
	v_lshl_add_u32 v13, v30, 1, v12
	v_lshl_add_u32 v17, v30, 3, v11
	ds_write_b16 v13, v39
	ds_write_b16 v13, v37 offset:2
	ds_write2_b64 v17, v[4:5], v[8:9] offset1:1
	ds_write_b16 v13, v24 offset:4
	ds_write_b16 v13, v38 offset:6
	ds_write2_b64 v17, v[14:15], v[20:21] offset0:2 offset1:3
	v_sub_nc_u32_e64 v34, v31, v18 clamp
	v_min_u32_e32 v18, v31, v19
	; wave barrier
	v_cmpx_lt_u32_e64 v34, v18
	s_cbranch_execz .LBB923_33
; %bb.30:
	v_lshlrev_b32_e32 v19, 1, v29
	v_lshlrev_b32_e32 v22, 1, v27
	s_mov_b32 s11, 0
	v_add_co_u32 v19, null, v12, v19
	v_add_co_u32 v22, null, v12, v22
	.p2align	6
.LBB923_31:                             ; =>This Inner Loop Header: Depth=1
	v_add_nc_u32_e32 v23, v18, v34
	v_lshrrev_b32_e32 v25, 1, v23
	v_and_b32_e32 v23, -2, v23
	v_xad_u32 v26, v25, -1, v31
	v_add_nc_u32_e32 v23, v19, v23
	v_add_nc_u32_e32 v35, 1, v25
	v_lshl_add_u32 v26, v26, 1, v22
	ds_read_u16 v23, v23
	ds_read_u16 v26, v26
	s_waitcnt lgkmcnt(1)
	v_and_b32_e32 v23, v23, v10
	s_waitcnt lgkmcnt(0)
	v_and_b32_e32 v26, v26, v10
	v_cmp_gt_i16_e64 s7, v26, v23
	v_cndmask_b32_e64 v18, v18, v25, s7
	v_cndmask_b32_e64 v34, v35, v34, s7
	v_cmp_ge_u32_e64 s7, v34, v18
	s_or_b32 s11, s7, s11
	s_andn2_b32 exec_lo, exec_lo, s11
	s_cbranch_execnz .LBB923_31
; %bb.32:
	s_or_b32 exec_lo, exec_lo, s11
.LBB923_33:
	s_or_b32 exec_lo, exec_lo, s10
	v_add_nc_u32_e32 v31, v27, v31
	v_add_nc_u32_e32 v35, v34, v29
	;; [unrolled: 1-line block ×5, first 2 shown]
	v_sub_nc_u32_e32 v31, v31, v34
	v_cmp_le_u32_e64 s7, v35, v27
	v_add_nc_u32_e32 v26, 16, v17
	v_add_nc_u32_e32 v18, 6, v13
	;; [unrolled: 1-line block ×3, first 2 shown]
	v_cmp_le_u32_e64 s10, v31, v28
	s_or_b32 s7, s7, s10
	s_and_saveexec_b32 s18, s7
	s_cbranch_execz .LBB923_39
; %bb.34:
	v_cmp_lt_u32_e64 s7, v35, v27
                                        ; implicit-def: $vgpr24
	s_and_saveexec_b32 s10, s7
; %bb.35:
	v_lshl_add_u32 v4, v35, 1, v12
	ds_read_u16 v24, v4
; %bb.36:
	s_or_b32 exec_lo, exec_lo, s10
	v_cmp_ge_u32_e64 s10, v31, v28
	s_mov_b32 s14, exec_lo
                                        ; implicit-def: $vgpr29
	v_cmpx_lt_u32_e64 v31, v28
; %bb.37:
	v_lshl_add_u32 v4, v31, 1, v12
	ds_read_u16 v29, v4
; %bb.38:
	s_or_b32 exec_lo, exec_lo, s14
	s_waitcnt lgkmcnt(0)
	v_and_b32_e32 v4, v29, v10
	v_and_b32_e32 v5, v24, v10
	v_cmp_le_i16_e64 s11, v4, v5
	s_and_b32 s7, s7, s11
	s_or_b32 s7, s10, s7
	v_cndmask_b32_e64 v4, v31, v35, s7
	v_cndmask_b32_e64 v5, v28, v27, s7
	v_cndmask_b32_e64 v39, v29, v24, s7
	v_add_nc_u32_e32 v8, 1, v4
	v_add_nc_u32_e32 v5, -1, v5
	v_lshl_add_u32 v4, v4, 3, v11
	v_min_u32_e32 v5, v8, v5
	v_lshl_add_u32 v5, v5, 1, v12
	ds_read_u16 v5, v5
	s_waitcnt lgkmcnt(0)
	v_cndmask_b32_e64 v34, v5, v29, s7
	v_cndmask_b32_e64 v37, v24, v5, s7
	;; [unrolled: 1-line block ×4, first 2 shown]
	v_and_b32_e32 v9, v34, v10
	v_and_b32_e32 v14, v37, v10
	v_cmp_lt_u32_e64 s10, v5, v27
	v_cmp_ge_u32_e64 s14, v8, v28
	v_cmp_le_i16_e64 s11, v9, v14
	s_and_b32 s10, s10, s11
	s_or_b32 s10, s14, s10
	v_cndmask_b32_e64 v9, v8, v5, s10
	v_cndmask_b32_e64 v14, v28, v27, s10
	v_add_nc_u32_e32 v15, 1, v9
	v_add_nc_u32_e32 v14, -1, v14
	v_cndmask_b32_e64 v5, v5, v15, s10
	v_min_u32_e32 v14, v15, v14
	v_cndmask_b32_e64 v8, v15, v8, s10
	v_cmp_lt_u32_e64 s11, v5, v27
	v_lshl_add_u32 v14, v14, 1, v12
	v_cmp_ge_u32_e64 s15, v8, v28
	ds_read_u16 v14, v14
	s_waitcnt lgkmcnt(0)
	v_cndmask_b32_e64 v31, v14, v34, s10
	v_cndmask_b32_e64 v35, v37, v14, s10
	;; [unrolled: 1-line block ×3, first 2 shown]
	v_and_b32_e32 v14, v31, v10
	v_and_b32_e32 v20, v35, v10
	v_cmp_le_i16_e64 s14, v14, v20
	s_and_b32 s11, s11, s14
	s_or_b32 s11, s15, s11
	v_cndmask_b32_e64 v14, v8, v5, s11
	v_cndmask_b32_e64 v15, v28, v27, s11
	;; [unrolled: 1-line block ×3, first 2 shown]
	v_add_nc_u32_e32 v20, 1, v14
	v_add_nc_u32_e32 v15, -1, v15
	v_lshl_add_u32 v14, v14, 3, v11
	v_cndmask_b32_e64 v5, v5, v20, s11
	v_min_u32_e32 v15, v20, v15
	v_cndmask_b32_e64 v8, v20, v8, s11
	v_cmp_lt_u32_e64 s14, v5, v27
	v_lshl_add_u32 v15, v15, 1, v12
	v_cmp_ge_u32_e64 s16, v8, v28
	ds_read_u16 v15, v15
	s_waitcnt lgkmcnt(0)
	v_cndmask_b32_e64 v38, v15, v31, s11
	v_cndmask_b32_e64 v48, v35, v15, s11
	v_and_b32_e32 v15, v38, v10
	v_and_b32_e32 v21, v48, v10
	v_cmp_le_i16_e64 s15, v15, v21
	s_and_b32 s14, s14, s15
	s_or_b32 s14, s16, s14
	v_cndmask_b32_e64 v5, v8, v5, s14
	v_lshl_add_u32 v8, v9, 3, v11
	v_cndmask_b32_e64 v38, v38, v48, s14
	v_lshl_add_u32 v20, v5, 3, v11
	ds_read_b64 v[4:5], v4
	ds_read_b64 v[8:9], v8
	ds_read_b64 v[14:15], v14
	ds_read_b64 v[20:21], v20
.LBB923_39:
	s_or_b32 exec_lo, exec_lo, s18
	v_and_b32_e32 v29, 0x70, v30
	v_and_b32_e32 v31, 12, v30
	s_mov_b32 s10, exec_lo
	; wave barrier
	v_or_b32_e32 v27, 8, v29
	v_min_u32_e32 v31, v16, v31
	ds_write_b16 v13, v39
	s_waitcnt lgkmcnt(4)
	ds_write_b64 v17, v[4:5]
	ds_write_b16 v22, v37
	s_waitcnt lgkmcnt(5)
	ds_write_b64 v23, v[8:9]
	;; [unrolled: 3-line block ×4, first 2 shown]
	v_min_u32_e32 v27, v16, v27
	; wave barrier
	v_add_nc_u32_e32 v28, 8, v27
	v_sub_nc_u32_e32 v35, v27, v29
	v_min_u32_e32 v28, v16, v28
	v_min_u32_e32 v35, v31, v35
	v_sub_nc_u32_e32 v34, v28, v27
	v_sub_nc_u32_e64 v34, v31, v34 clamp
	v_cmpx_lt_u32_e64 v34, v35
	s_cbranch_execz .LBB923_43
; %bb.40:
	v_lshlrev_b32_e32 v48, 1, v29
	v_lshlrev_b32_e32 v49, 1, v27
	s_mov_b32 s11, 0
	v_add_co_u32 v48, null, v12, v48
	v_add_co_u32 v49, null, v12, v49
	.p2align	6
.LBB923_41:                             ; =>This Inner Loop Header: Depth=1
	v_add_nc_u32_e32 v50, v35, v34
	v_lshrrev_b32_e32 v51, 1, v50
	v_and_b32_e32 v50, -2, v50
	v_xad_u32 v52, v51, -1, v31
	v_add_nc_u32_e32 v50, v48, v50
	v_add_nc_u32_e32 v53, 1, v51
	v_lshl_add_u32 v52, v52, 1, v49
	ds_read_u16 v50, v50
	ds_read_u16 v52, v52
	s_waitcnt lgkmcnt(1)
	v_and_b32_e32 v50, v50, v10
	s_waitcnt lgkmcnt(0)
	v_and_b32_e32 v52, v52, v10
	v_cmp_gt_i16_e64 s7, v52, v50
	v_cndmask_b32_e64 v35, v35, v51, s7
	v_cndmask_b32_e64 v34, v53, v34, s7
	v_cmp_ge_u32_e64 s7, v34, v35
	s_or_b32 s11, s7, s11
	s_andn2_b32 exec_lo, exec_lo, s11
	s_cbranch_execnz .LBB923_41
; %bb.42:
	s_or_b32 exec_lo, exec_lo, s11
.LBB923_43:
	s_or_b32 exec_lo, exec_lo, s10
	v_add_nc_u32_e32 v31, v27, v31
	v_add_nc_u32_e32 v35, v34, v29
	v_sub_nc_u32_e32 v31, v31, v34
	v_cmp_le_u32_e64 s7, v35, v27
	v_cmp_le_u32_e64 s10, v31, v28
	s_or_b32 s7, s7, s10
	s_and_saveexec_b32 s18, s7
	s_cbranch_execz .LBB923_49
; %bb.44:
	v_cmp_lt_u32_e64 s7, v35, v27
                                        ; implicit-def: $vgpr24
	s_and_saveexec_b32 s10, s7
; %bb.45:
	v_lshl_add_u32 v4, v35, 1, v12
	ds_read_u16 v24, v4
; %bb.46:
	s_or_b32 exec_lo, exec_lo, s10
	v_cmp_ge_u32_e64 s10, v31, v28
	s_mov_b32 s14, exec_lo
                                        ; implicit-def: $vgpr29
	v_cmpx_lt_u32_e64 v31, v28
; %bb.47:
	v_lshl_add_u32 v4, v31, 1, v12
	ds_read_u16 v29, v4
; %bb.48:
	s_or_b32 exec_lo, exec_lo, s14
	s_waitcnt lgkmcnt(0)
	v_and_b32_e32 v4, v29, v10
	v_and_b32_e32 v5, v24, v10
	v_cmp_le_i16_e64 s11, v4, v5
	s_and_b32 s7, s7, s11
	s_or_b32 s7, s10, s7
	v_cndmask_b32_e64 v4, v31, v35, s7
	v_cndmask_b32_e64 v5, v28, v27, s7
	;; [unrolled: 1-line block ×3, first 2 shown]
	v_add_nc_u32_e32 v8, 1, v4
	v_add_nc_u32_e32 v5, -1, v5
	v_lshl_add_u32 v4, v4, 3, v11
	v_min_u32_e32 v5, v8, v5
	v_lshl_add_u32 v5, v5, 1, v12
	ds_read_u16 v5, v5
	s_waitcnt lgkmcnt(0)
	v_cndmask_b32_e64 v34, v5, v29, s7
	v_cndmask_b32_e64 v37, v24, v5, s7
	;; [unrolled: 1-line block ×4, first 2 shown]
	v_and_b32_e32 v9, v34, v10
	v_and_b32_e32 v14, v37, v10
	v_cmp_lt_u32_e64 s10, v5, v27
	v_cmp_ge_u32_e64 s14, v8, v28
	v_cmp_le_i16_e64 s11, v9, v14
	s_and_b32 s10, s10, s11
	s_or_b32 s10, s14, s10
	v_cndmask_b32_e64 v9, v8, v5, s10
	v_cndmask_b32_e64 v14, v28, v27, s10
	v_add_nc_u32_e32 v15, 1, v9
	v_add_nc_u32_e32 v14, -1, v14
	v_cndmask_b32_e64 v5, v5, v15, s10
	v_min_u32_e32 v14, v15, v14
	v_cndmask_b32_e64 v8, v15, v8, s10
	v_cmp_lt_u32_e64 s11, v5, v27
	v_lshl_add_u32 v14, v14, 1, v12
	v_cmp_ge_u32_e64 s15, v8, v28
	ds_read_u16 v14, v14
	s_waitcnt lgkmcnt(0)
	v_cndmask_b32_e64 v31, v14, v34, s10
	v_cndmask_b32_e64 v35, v37, v14, s10
	v_cndmask_b32_e64 v37, v34, v37, s10
	v_and_b32_e32 v14, v31, v10
	v_and_b32_e32 v20, v35, v10
	v_cmp_le_i16_e64 s14, v14, v20
	s_and_b32 s11, s11, s14
	s_or_b32 s11, s15, s11
	v_cndmask_b32_e64 v14, v8, v5, s11
	v_cndmask_b32_e64 v15, v28, v27, s11
	;; [unrolled: 1-line block ×3, first 2 shown]
	v_add_nc_u32_e32 v20, 1, v14
	v_add_nc_u32_e32 v15, -1, v15
	v_lshl_add_u32 v14, v14, 3, v11
	v_cndmask_b32_e64 v5, v5, v20, s11
	v_min_u32_e32 v15, v20, v15
	v_cndmask_b32_e64 v8, v20, v8, s11
	v_cmp_lt_u32_e64 s14, v5, v27
	v_lshl_add_u32 v15, v15, 1, v12
	v_cmp_ge_u32_e64 s16, v8, v28
	ds_read_u16 v15, v15
	s_waitcnt lgkmcnt(0)
	v_cndmask_b32_e64 v38, v15, v31, s11
	v_cndmask_b32_e64 v48, v35, v15, s11
	v_and_b32_e32 v15, v38, v10
	v_and_b32_e32 v21, v48, v10
	v_cmp_le_i16_e64 s15, v15, v21
	s_and_b32 s14, s14, s15
	s_or_b32 s14, s16, s14
	v_cndmask_b32_e64 v5, v8, v5, s14
	v_lshl_add_u32 v8, v9, 3, v11
	v_cndmask_b32_e64 v38, v38, v48, s14
	v_lshl_add_u32 v20, v5, 3, v11
	ds_read_b64 v[4:5], v4
	ds_read_b64 v[8:9], v8
	;; [unrolled: 1-line block ×4, first 2 shown]
.LBB923_49:
	s_or_b32 exec_lo, exec_lo, s18
	v_and_b32_e32 v29, 0x60, v30
	v_and_b32_e32 v31, 28, v30
	s_mov_b32 s10, exec_lo
	; wave barrier
	v_or_b32_e32 v27, 16, v29
	v_min_u32_e32 v31, v16, v31
	ds_write_b16 v13, v39
	s_waitcnt lgkmcnt(4)
	ds_write_b64 v17, v[4:5]
	ds_write_b16 v22, v37
	s_waitcnt lgkmcnt(5)
	ds_write_b64 v23, v[8:9]
	;; [unrolled: 3-line block ×4, first 2 shown]
	v_min_u32_e32 v27, v16, v27
	; wave barrier
	v_add_nc_u32_e32 v28, 16, v27
	v_sub_nc_u32_e32 v35, v27, v29
	v_min_u32_e32 v28, v16, v28
	v_min_u32_e32 v35, v31, v35
	v_sub_nc_u32_e32 v34, v28, v27
	v_sub_nc_u32_e64 v34, v31, v34 clamp
	v_cmpx_lt_u32_e64 v34, v35
	s_cbranch_execz .LBB923_53
; %bb.50:
	v_lshlrev_b32_e32 v48, 1, v29
	v_lshlrev_b32_e32 v49, 1, v27
	s_mov_b32 s11, 0
	v_add_co_u32 v48, null, v12, v48
	v_add_co_u32 v49, null, v12, v49
	.p2align	6
.LBB923_51:                             ; =>This Inner Loop Header: Depth=1
	v_add_nc_u32_e32 v50, v35, v34
	v_lshrrev_b32_e32 v51, 1, v50
	v_and_b32_e32 v50, -2, v50
	v_xad_u32 v52, v51, -1, v31
	v_add_nc_u32_e32 v50, v48, v50
	v_add_nc_u32_e32 v53, 1, v51
	v_lshl_add_u32 v52, v52, 1, v49
	ds_read_u16 v50, v50
	ds_read_u16 v52, v52
	s_waitcnt lgkmcnt(1)
	v_and_b32_e32 v50, v50, v10
	s_waitcnt lgkmcnt(0)
	v_and_b32_e32 v52, v52, v10
	v_cmp_gt_i16_e64 s7, v52, v50
	v_cndmask_b32_e64 v35, v35, v51, s7
	v_cndmask_b32_e64 v34, v53, v34, s7
	v_cmp_ge_u32_e64 s7, v34, v35
	s_or_b32 s11, s7, s11
	s_andn2_b32 exec_lo, exec_lo, s11
	s_cbranch_execnz .LBB923_51
; %bb.52:
	s_or_b32 exec_lo, exec_lo, s11
.LBB923_53:
	s_or_b32 exec_lo, exec_lo, s10
	v_add_nc_u32_e32 v31, v27, v31
	v_add_nc_u32_e32 v35, v34, v29
	v_sub_nc_u32_e32 v31, v31, v34
	v_cmp_le_u32_e64 s7, v35, v27
	v_cmp_le_u32_e64 s10, v31, v28
	s_or_b32 s7, s7, s10
	s_and_saveexec_b32 s18, s7
	s_cbranch_execz .LBB923_59
; %bb.54:
	v_cmp_lt_u32_e64 s7, v35, v27
                                        ; implicit-def: $vgpr24
	s_and_saveexec_b32 s10, s7
; %bb.55:
	v_lshl_add_u32 v4, v35, 1, v12
	ds_read_u16 v24, v4
; %bb.56:
	s_or_b32 exec_lo, exec_lo, s10
	v_cmp_ge_u32_e64 s10, v31, v28
	s_mov_b32 s14, exec_lo
                                        ; implicit-def: $vgpr29
	v_cmpx_lt_u32_e64 v31, v28
; %bb.57:
	v_lshl_add_u32 v4, v31, 1, v12
	ds_read_u16 v29, v4
; %bb.58:
	s_or_b32 exec_lo, exec_lo, s14
	s_waitcnt lgkmcnt(0)
	v_and_b32_e32 v4, v29, v10
	v_and_b32_e32 v5, v24, v10
	v_cmp_le_i16_e64 s11, v4, v5
	s_and_b32 s7, s7, s11
	s_or_b32 s7, s10, s7
	v_cndmask_b32_e64 v4, v31, v35, s7
	v_cndmask_b32_e64 v5, v28, v27, s7
	;; [unrolled: 1-line block ×3, first 2 shown]
	v_add_nc_u32_e32 v8, 1, v4
	v_add_nc_u32_e32 v5, -1, v5
	v_lshl_add_u32 v4, v4, 3, v11
	v_min_u32_e32 v5, v8, v5
	v_lshl_add_u32 v5, v5, 1, v12
	ds_read_u16 v5, v5
	s_waitcnt lgkmcnt(0)
	v_cndmask_b32_e64 v34, v5, v29, s7
	v_cndmask_b32_e64 v37, v24, v5, s7
	;; [unrolled: 1-line block ×4, first 2 shown]
	v_and_b32_e32 v9, v34, v10
	v_and_b32_e32 v14, v37, v10
	v_cmp_lt_u32_e64 s10, v5, v27
	v_cmp_ge_u32_e64 s14, v8, v28
	v_cmp_le_i16_e64 s11, v9, v14
	s_and_b32 s10, s10, s11
	s_or_b32 s10, s14, s10
	v_cndmask_b32_e64 v9, v8, v5, s10
	v_cndmask_b32_e64 v14, v28, v27, s10
	v_add_nc_u32_e32 v15, 1, v9
	v_add_nc_u32_e32 v14, -1, v14
	v_cndmask_b32_e64 v5, v5, v15, s10
	v_min_u32_e32 v14, v15, v14
	v_cndmask_b32_e64 v8, v15, v8, s10
	v_cmp_lt_u32_e64 s11, v5, v27
	v_lshl_add_u32 v14, v14, 1, v12
	v_cmp_ge_u32_e64 s15, v8, v28
	ds_read_u16 v14, v14
	s_waitcnt lgkmcnt(0)
	v_cndmask_b32_e64 v31, v14, v34, s10
	v_cndmask_b32_e64 v35, v37, v14, s10
	;; [unrolled: 1-line block ×3, first 2 shown]
	v_and_b32_e32 v14, v31, v10
	v_and_b32_e32 v20, v35, v10
	v_cmp_le_i16_e64 s14, v14, v20
	s_and_b32 s11, s11, s14
	s_or_b32 s11, s15, s11
	v_cndmask_b32_e64 v14, v8, v5, s11
	v_cndmask_b32_e64 v15, v28, v27, s11
	;; [unrolled: 1-line block ×3, first 2 shown]
	v_add_nc_u32_e32 v20, 1, v14
	v_add_nc_u32_e32 v15, -1, v15
	v_lshl_add_u32 v14, v14, 3, v11
	v_cndmask_b32_e64 v5, v5, v20, s11
	v_min_u32_e32 v15, v20, v15
	v_cndmask_b32_e64 v8, v20, v8, s11
	v_cmp_lt_u32_e64 s14, v5, v27
	v_lshl_add_u32 v15, v15, 1, v12
	v_cmp_ge_u32_e64 s16, v8, v28
	ds_read_u16 v15, v15
	s_waitcnt lgkmcnt(0)
	v_cndmask_b32_e64 v38, v15, v31, s11
	v_cndmask_b32_e64 v48, v35, v15, s11
	v_and_b32_e32 v15, v38, v10
	v_and_b32_e32 v21, v48, v10
	v_cmp_le_i16_e64 s15, v15, v21
	s_and_b32 s14, s14, s15
	s_or_b32 s14, s16, s14
	v_cndmask_b32_e64 v5, v8, v5, s14
	v_lshl_add_u32 v8, v9, 3, v11
	v_cndmask_b32_e64 v38, v38, v48, s14
	v_lshl_add_u32 v20, v5, 3, v11
	ds_read_b64 v[4:5], v4
	ds_read_b64 v[8:9], v8
	;; [unrolled: 1-line block ×4, first 2 shown]
.LBB923_59:
	s_or_b32 exec_lo, exec_lo, s18
	v_and_b32_e32 v29, 64, v30
	v_and_b32_e32 v31, 60, v30
	s_mov_b32 s10, exec_lo
	; wave barrier
	v_or_b32_e32 v27, 32, v29
	v_min_u32_e32 v31, v16, v31
	ds_write_b16 v13, v39
	s_waitcnt lgkmcnt(4)
	ds_write_b64 v17, v[4:5]
	ds_write_b16 v22, v37
	s_waitcnt lgkmcnt(5)
	ds_write_b64 v23, v[8:9]
	;; [unrolled: 3-line block ×4, first 2 shown]
	v_min_u32_e32 v27, v16, v27
	; wave barrier
	v_add_nc_u32_e32 v28, 32, v27
	v_sub_nc_u32_e32 v35, v27, v29
	v_min_u32_e32 v28, v16, v28
	v_min_u32_e32 v35, v31, v35
	v_sub_nc_u32_e32 v34, v28, v27
	v_sub_nc_u32_e64 v34, v31, v34 clamp
	v_cmpx_lt_u32_e64 v34, v35
	s_cbranch_execz .LBB923_63
; %bb.60:
	v_lshlrev_b32_e32 v48, 1, v29
	v_lshlrev_b32_e32 v49, 1, v27
	s_mov_b32 s11, 0
	v_add_co_u32 v48, null, v12, v48
	v_add_co_u32 v49, null, v12, v49
	.p2align	6
.LBB923_61:                             ; =>This Inner Loop Header: Depth=1
	v_add_nc_u32_e32 v50, v35, v34
	v_lshrrev_b32_e32 v51, 1, v50
	v_and_b32_e32 v50, -2, v50
	v_xad_u32 v52, v51, -1, v31
	v_add_nc_u32_e32 v50, v48, v50
	v_add_nc_u32_e32 v53, 1, v51
	v_lshl_add_u32 v52, v52, 1, v49
	ds_read_u16 v50, v50
	ds_read_u16 v52, v52
	s_waitcnt lgkmcnt(1)
	v_and_b32_e32 v50, v50, v10
	s_waitcnt lgkmcnt(0)
	v_and_b32_e32 v52, v52, v10
	v_cmp_gt_i16_e64 s7, v52, v50
	v_cndmask_b32_e64 v35, v35, v51, s7
	v_cndmask_b32_e64 v34, v53, v34, s7
	v_cmp_ge_u32_e64 s7, v34, v35
	s_or_b32 s11, s7, s11
	s_andn2_b32 exec_lo, exec_lo, s11
	s_cbranch_execnz .LBB923_61
; %bb.62:
	s_or_b32 exec_lo, exec_lo, s11
.LBB923_63:
	s_or_b32 exec_lo, exec_lo, s10
	v_add_nc_u32_e32 v31, v27, v31
	v_add_nc_u32_e32 v35, v34, v29
	v_sub_nc_u32_e32 v31, v31, v34
	v_cmp_le_u32_e64 s7, v35, v27
	v_cmp_le_u32_e64 s10, v31, v28
	s_or_b32 s7, s7, s10
	s_and_saveexec_b32 s18, s7
	s_cbranch_execz .LBB923_69
; %bb.64:
	v_cmp_lt_u32_e64 s7, v35, v27
                                        ; implicit-def: $vgpr24
	s_and_saveexec_b32 s10, s7
; %bb.65:
	v_lshl_add_u32 v4, v35, 1, v12
	ds_read_u16 v24, v4
; %bb.66:
	s_or_b32 exec_lo, exec_lo, s10
	v_cmp_ge_u32_e64 s10, v31, v28
	s_mov_b32 s14, exec_lo
                                        ; implicit-def: $vgpr29
	v_cmpx_lt_u32_e64 v31, v28
; %bb.67:
	v_lshl_add_u32 v4, v31, 1, v12
	ds_read_u16 v29, v4
; %bb.68:
	s_or_b32 exec_lo, exec_lo, s14
	s_waitcnt lgkmcnt(0)
	v_and_b32_e32 v4, v29, v10
	v_and_b32_e32 v5, v24, v10
	v_cmp_le_i16_e64 s11, v4, v5
	s_and_b32 s7, s7, s11
	s_or_b32 s7, s10, s7
	v_cndmask_b32_e64 v4, v31, v35, s7
	v_cndmask_b32_e64 v5, v28, v27, s7
	;; [unrolled: 1-line block ×3, first 2 shown]
	v_add_nc_u32_e32 v8, 1, v4
	v_add_nc_u32_e32 v5, -1, v5
	v_lshl_add_u32 v4, v4, 3, v11
	v_min_u32_e32 v5, v8, v5
	v_lshl_add_u32 v5, v5, 1, v12
	ds_read_u16 v5, v5
	s_waitcnt lgkmcnt(0)
	v_cndmask_b32_e64 v34, v5, v29, s7
	v_cndmask_b32_e64 v37, v24, v5, s7
	;; [unrolled: 1-line block ×4, first 2 shown]
	v_and_b32_e32 v9, v34, v10
	v_and_b32_e32 v14, v37, v10
	v_cmp_lt_u32_e64 s10, v5, v27
	v_cmp_ge_u32_e64 s14, v8, v28
	v_cmp_le_i16_e64 s11, v9, v14
	s_and_b32 s10, s10, s11
	s_or_b32 s10, s14, s10
	v_cndmask_b32_e64 v9, v8, v5, s10
	v_cndmask_b32_e64 v14, v28, v27, s10
	v_add_nc_u32_e32 v15, 1, v9
	v_add_nc_u32_e32 v14, -1, v14
	v_cndmask_b32_e64 v5, v5, v15, s10
	v_min_u32_e32 v14, v15, v14
	v_cndmask_b32_e64 v8, v15, v8, s10
	v_cmp_lt_u32_e64 s11, v5, v27
	v_lshl_add_u32 v14, v14, 1, v12
	v_cmp_ge_u32_e64 s15, v8, v28
	ds_read_u16 v14, v14
	s_waitcnt lgkmcnt(0)
	v_cndmask_b32_e64 v31, v14, v34, s10
	v_cndmask_b32_e64 v35, v37, v14, s10
	v_cndmask_b32_e64 v37, v34, v37, s10
	v_and_b32_e32 v14, v31, v10
	v_and_b32_e32 v20, v35, v10
	v_cmp_le_i16_e64 s14, v14, v20
	s_and_b32 s11, s11, s14
	s_or_b32 s11, s15, s11
	v_cndmask_b32_e64 v14, v8, v5, s11
	v_cndmask_b32_e64 v15, v28, v27, s11
	;; [unrolled: 1-line block ×3, first 2 shown]
	v_add_nc_u32_e32 v20, 1, v14
	v_add_nc_u32_e32 v15, -1, v15
	v_lshl_add_u32 v14, v14, 3, v11
	v_cndmask_b32_e64 v5, v5, v20, s11
	v_min_u32_e32 v15, v20, v15
	v_cndmask_b32_e64 v8, v20, v8, s11
	v_cmp_lt_u32_e64 s14, v5, v27
	v_lshl_add_u32 v15, v15, 1, v12
	v_cmp_ge_u32_e64 s16, v8, v28
	ds_read_u16 v15, v15
	s_waitcnt lgkmcnt(0)
	v_cndmask_b32_e64 v38, v15, v31, s11
	v_cndmask_b32_e64 v48, v35, v15, s11
	v_and_b32_e32 v15, v38, v10
	v_and_b32_e32 v21, v48, v10
	v_cmp_le_i16_e64 s15, v15, v21
	s_and_b32 s14, s14, s15
	s_or_b32 s14, s16, s14
	v_cndmask_b32_e64 v5, v8, v5, s14
	v_lshl_add_u32 v8, v9, 3, v11
	v_cndmask_b32_e64 v38, v38, v48, s14
	v_lshl_add_u32 v20, v5, 3, v11
	ds_read_b64 v[4:5], v4
	ds_read_b64 v[8:9], v8
	;; [unrolled: 1-line block ×4, first 2 shown]
.LBB923_69:
	s_or_b32 exec_lo, exec_lo, s18
	v_min_u32_e32 v27, 64, v16
	; wave barrier
	ds_write_b16 v13, v39
	s_waitcnt lgkmcnt(4)
	ds_write_b64 v17, v[4:5]
	s_mov_b32 s10, exec_lo
	v_add_nc_u32_e32 v28, 64, v27
	ds_write_b16 v22, v37
	s_waitcnt lgkmcnt(5)
	ds_write_b64 v23, v[8:9]
	ds_write_b16 v25, v24
	s_waitcnt lgkmcnt(6)
	ds_write_b64 v26, v[14:15]
	;; [unrolled: 3-line block ×3, first 2 shown]
	; wave barrier
	v_min_u32_e32 v28, v16, v28
	v_min_u32_e32 v16, v16, v30
	v_sub_nc_u32_e32 v29, v28, v27
	v_min_u32_e32 v17, v16, v27
	v_sub_nc_u32_e64 v13, v16, v29 clamp
	v_cmpx_lt_u32_e64 v13, v17
	s_cbranch_execz .LBB923_73
; %bb.70:
	v_lshlrev_b32_e32 v18, 1, v27
	s_mov_b32 s11, 0
	v_add_co_u32 v18, null, v12, v18
	.p2align	6
.LBB923_71:                             ; =>This Inner Loop Header: Depth=1
	v_add_nc_u32_e32 v19, v17, v13
	v_lshrrev_b32_e32 v22, 1, v19
	v_and_b32_e32 v19, -2, v19
	v_xad_u32 v23, v22, -1, v16
	v_add_nc_u32_e32 v19, v12, v19
	v_add_nc_u32_e32 v25, 1, v22
	v_lshl_add_u32 v23, v23, 1, v18
	ds_read_u16 v19, v19
	ds_read_u16 v23, v23
	s_waitcnt lgkmcnt(1)
	v_and_b32_e32 v19, v19, v10
	s_waitcnt lgkmcnt(0)
	v_and_b32_e32 v23, v23, v10
	v_cmp_gt_i16_e64 s7, v23, v19
	v_cndmask_b32_e64 v17, v17, v22, s7
	v_cndmask_b32_e64 v13, v25, v13, s7
	v_cmp_ge_u32_e64 s7, v13, v17
	s_or_b32 s11, s7, s11
	s_andn2_b32 exec_lo, exec_lo, s11
	s_cbranch_execnz .LBB923_71
; %bb.72:
	s_or_b32 exec_lo, exec_lo, s11
.LBB923_73:
	s_or_b32 exec_lo, exec_lo, s10
	v_add_nc_u32_e32 v16, v27, v16
	v_cmp_le_u32_e64 s7, v13, v27
	v_sub_nc_u32_e32 v18, v16, v13
	v_cmp_le_u32_e64 s10, v18, v28
	s_or_b32 s7, s7, s10
	s_and_saveexec_b32 s18, s7
	s_cbranch_execz .LBB923_79
; %bb.74:
	v_cmp_lt_u32_e64 s7, v13, v27
                                        ; implicit-def: $vgpr16
	s_and_saveexec_b32 s10, s7
; %bb.75:
	v_lshl_add_u32 v4, v13, 1, v12
	ds_read_u16 v16, v4
; %bb.76:
	s_or_b32 exec_lo, exec_lo, s10
	v_cmp_ge_u32_e64 s10, v18, v28
	s_mov_b32 s14, exec_lo
                                        ; implicit-def: $vgpr17
	v_cmpx_lt_u32_e64 v18, v28
; %bb.77:
	v_lshl_add_u32 v4, v18, 1, v12
	ds_read_u16 v17, v4
; %bb.78:
	s_or_b32 exec_lo, exec_lo, s14
	s_waitcnt lgkmcnt(0)
	v_and_b32_e32 v4, v17, v10
	v_and_b32_e32 v5, v16, v10
	v_cmp_le_i16_e64 s11, v4, v5
	s_and_b32 s7, s7, s11
	s_or_b32 s7, s10, s7
	v_cndmask_b32_e64 v4, v18, v13, s7
	v_cndmask_b32_e64 v5, v28, v27, s7
	;; [unrolled: 1-line block ×3, first 2 shown]
	v_add_nc_u32_e32 v8, 1, v4
	v_add_nc_u32_e32 v5, -1, v5
	v_lshl_add_u32 v4, v4, 3, v11
	v_min_u32_e32 v5, v8, v5
	v_lshl_add_u32 v5, v5, 1, v12
	ds_read_u16 v5, v5
	s_waitcnt lgkmcnt(0)
	v_cndmask_b32_e64 v19, v5, v17, s7
	v_cndmask_b32_e64 v22, v16, v5, s7
	;; [unrolled: 1-line block ×4, first 2 shown]
	v_and_b32_e32 v9, v19, v10
	v_and_b32_e32 v13, v22, v10
	v_cmp_lt_u32_e64 s10, v5, v27
	v_cmp_ge_u32_e64 s14, v8, v28
	v_cmp_le_i16_e64 s11, v9, v13
	s_and_b32 s10, s10, s11
	s_or_b32 s10, s14, s10
	v_cndmask_b32_e64 v9, v8, v5, s10
	v_cndmask_b32_e64 v13, v28, v27, s10
	v_cndmask_b32_e64 v37, v19, v22, s10
	v_add_nc_u32_e32 v14, 1, v9
	v_add_nc_u32_e32 v13, -1, v13
	v_cndmask_b32_e64 v5, v5, v14, s10
	v_min_u32_e32 v13, v14, v13
	v_cndmask_b32_e64 v8, v14, v8, s10
	v_cmp_lt_u32_e64 s11, v5, v27
	v_lshl_add_u32 v13, v13, 1, v12
	v_cmp_ge_u32_e64 s15, v8, v28
	ds_read_u16 v13, v13
	s_waitcnt lgkmcnt(0)
	v_cndmask_b32_e64 v18, v13, v19, s10
	v_cndmask_b32_e64 v13, v22, v13, s10
	v_and_b32_e32 v15, v18, v10
	v_and_b32_e32 v20, v13, v10
	v_cmp_le_i16_e64 s14, v15, v20
	s_and_b32 s11, s11, s14
	s_or_b32 s11, s15, s11
	v_cndmask_b32_e64 v14, v8, v5, s11
	v_cndmask_b32_e64 v15, v28, v27, s11
	;; [unrolled: 1-line block ×3, first 2 shown]
	v_add_nc_u32_e32 v20, 1, v14
	v_add_nc_u32_e32 v15, -1, v15
	v_cndmask_b32_e64 v5, v5, v20, s11
	v_min_u32_e32 v15, v20, v15
	v_cndmask_b32_e64 v8, v20, v8, s11
	v_cmp_lt_u32_e64 s14, v5, v27
	v_lshl_add_u32 v12, v15, 1, v12
	v_cmp_ge_u32_e64 s16, v8, v28
	ds_read_u16 v12, v12
	s_waitcnt lgkmcnt(0)
	v_cndmask_b32_e64 v23, v12, v18, s11
	v_cndmask_b32_e64 v12, v13, v12, s11
	v_and_b32_e32 v15, v23, v10
	v_and_b32_e32 v10, v12, v10
	v_cmp_le_i16_e64 s15, v15, v10
	v_lshl_add_u32 v10, v14, 3, v11
	s_and_b32 s14, s14, s15
	s_or_b32 s14, s16, s14
	v_cndmask_b32_e64 v5, v8, v5, s14
	v_lshl_add_u32 v8, v9, 3, v11
	v_cndmask_b32_e64 v38, v23, v12, s14
	v_lshl_add_u32 v11, v5, 3, v11
	ds_read_b64 v[4:5], v4
	ds_read_b64 v[8:9], v8
	;; [unrolled: 1-line block ×4, first 2 shown]
.LBB923_79:
	s_or_b32 exec_lo, exec_lo, s18
	; wave barrier
	s_waitcnt lgkmcnt(0)
	s_waitcnt_vscnt null, 0x0
	s_barrier
                                        ; implicit-def: $vgpr12
                                        ; implicit-def: $vgpr13
                                        ; implicit-def: $vgpr17
                                        ; implicit-def: $vgpr25
                                        ; implicit-def: $vgpr16
                                        ; implicit-def: $vgpr34_vgpr35
                                        ; implicit-def: $vgpr22_vgpr23
                                        ; implicit-def: $vgpr18_vgpr19
.LBB923_80:
	s_andn2_saveexec_b32 s14, s17
	s_cbranch_execz .LBB923_136
; %bb.81:
	s_load_dwordx2 s[10:11], s[8:9], 0x0
	v_mov_b32_e32 v11, 0
	s_waitcnt lgkmcnt(0)
	s_cmp_lt_u32 s13, s11
	s_cselect_b32 s7, 14, 20
	s_add_u32 s16, s8, s7
	s_addc_u32 s17, s9, 0
	s_cmp_lt_u32 s12, s10
	global_load_ushort v10, v11, s[16:17]
	s_cselect_b32 s7, 12, 18
	s_mov_b32 s10, exec_lo
	s_add_u32 s8, s8, s7
	s_addc_u32 s9, s9, 0
	global_load_ushort v26, v11, s[8:9]
	s_waitcnt vmcnt(1)
	v_mad_u32_u24 v10, v25, v10, v17
	s_waitcnt vmcnt(0)
	v_mul_lo_u32 v10, v10, v26
	v_add_lshl_u32 v10, v10, v16, 2
	v_cmpx_gt_u32_e32 0x400, v10
	s_cbranch_execz .LBB923_85
; %bb.82:
	v_cmp_gt_i16_e64 s7, v37, v39
	v_min_i16 v8, v37, v39
	v_cmp_gt_i16_e64 s8, v38, v24
	v_max_i16 v15, v38, v24
	v_max_i16 v16, v37, v39
	v_cndmask_b32_e64 v9, v5, v19, s7
	v_cndmask_b32_e64 v5, v19, v5, s7
	;; [unrolled: 1-line block ×3, first 2 shown]
	v_cmp_gt_i16_e64 s9, v15, v8
	v_min_i16 v17, v38, v24
	v_cndmask_b32_e64 v14, v4, v18, s7
	v_cndmask_b32_e64 v4, v18, v4, s7
	;; [unrolled: 1-line block ×6, first 2 shown]
	v_cmp_gt_i16_e64 s7, v15, v16
	v_min_i16 v19, v15, v8
	v_cmp_lt_i16_e64 s8, v8, v17
	v_max_i16 v18, v15, v8
	v_cndmask_b32_e64 v24, v21, v4, s9
	v_cndmask_b32_e64 v15, v4, v21, s9
	;; [unrolled: 1-line block ×13, first 2 shown]
	v_mov_b32_e32 v24, v22
	s_mov_b32 s11, exec_lo
	v_cmpx_gt_i16_e64 v22, v37
	s_cbranch_execz .LBB923_84
; %bb.83:
	v_mov_b32_e32 v26, v15
	v_mov_b32_e32 v25, v14
	;; [unrolled: 1-line block ×8, first 2 shown]
.LBB923_84:
	s_or_b32 exec_lo, exec_lo, s11
	v_cndmask_b32_e64 v39, v16, v18, s7
	v_cndmask_b32_e64 v38, v17, v19, s8
.LBB923_85:
	s_or_b32 exec_lo, exec_lo, s10
	v_and_b32_e32 v10, 0xffffff80, v10
	v_or_b32_e32 v17, 4, v30
	v_and_b32_e32 v22, 4, v30
	v_and_b32_e32 v28, 0x78, v30
	s_mov_b32 s8, exec_lo
	v_sub_nc_u32_e64 v16, 0x400, v10 clamp
	v_min_u32_e32 v26, v16, v17
	v_lshlrev_b64 v[17:18], 3, v[10:11]
	v_lshlrev_b64 v[18:19], 1, v[10:11]
	v_min_u32_e32 v29, v16, v22
	v_add_nc_u32_e32 v23, 4, v26
	v_add_co_u32 v10, null, v12, v17
	v_add_co_u32 v11, s7, v12, v18
	v_min_u32_e32 v27, v16, v23
	v_add_co_u32 v10, null, 0x800, v10
	v_sub_nc_u32_e32 v18, v26, v28
	v_add_co_ci_u32_e64 v12, null, v13, v19, s7
	v_sub_nc_u32_e32 v17, v27, v26
	v_lshl_add_u32 v12, v30, 1, v11
	v_lshl_add_u32 v13, v30, 3, v10
	ds_write_b16 v12, v39
	ds_write_b16 v12, v37 offset:2
	ds_write2_b64 v13, v[4:5], v[8:9] offset1:1
	ds_write_b16 v12, v24 offset:4
	ds_write_b16 v12, v38 offset:6
	ds_write2_b64 v13, v[14:15], v[20:21] offset0:2 offset1:3
	v_sub_nc_u32_e64 v31, v29, v17 clamp
	v_min_u32_e32 v17, v29, v18
	; wave barrier
	v_cmpx_lt_u32_e64 v31, v17
	s_cbranch_execz .LBB923_89
; %bb.86:
	v_lshlrev_b32_e32 v18, 1, v28
	v_lshlrev_b32_e32 v19, 1, v26
	s_mov_b32 s9, 0
	v_add_co_u32 v18, null, v11, v18
	v_add_co_u32 v19, null, v11, v19
	.p2align	6
.LBB923_87:                             ; =>This Inner Loop Header: Depth=1
	v_add_nc_u32_e32 v22, v17, v31
	v_lshrrev_b32_e32 v23, 1, v22
	v_and_b32_e32 v22, -2, v22
	v_xad_u32 v25, v23, -1, v29
	v_add_nc_u32_e32 v22, v18, v22
	v_add_nc_u32_e32 v34, 1, v23
	v_lshl_add_u32 v25, v25, 1, v19
	ds_read_u16 v22, v22
	ds_read_u16 v25, v25
	s_waitcnt lgkmcnt(0)
	v_cmp_gt_i16_e64 s7, v25, v22
	v_cndmask_b32_e64 v17, v17, v23, s7
	v_cndmask_b32_e64 v31, v34, v31, s7
	v_cmp_ge_u32_e64 s7, v31, v17
	s_or_b32 s9, s7, s9
	s_andn2_b32 exec_lo, exec_lo, s9
	s_cbranch_execnz .LBB923_87
; %bb.88:
	s_or_b32 exec_lo, exec_lo, s9
.LBB923_89:
	s_or_b32 exec_lo, exec_lo, s8
	v_add_nc_u32_e32 v29, v26, v29
	v_add_nc_u32_e32 v34, v31, v28
	;; [unrolled: 1-line block ×5, first 2 shown]
	v_sub_nc_u32_e32 v29, v29, v31
	v_cmp_le_u32_e64 s7, v34, v26
	v_add_nc_u32_e32 v25, 16, v13
	v_add_nc_u32_e32 v17, 6, v12
	;; [unrolled: 1-line block ×3, first 2 shown]
	v_cmp_le_u32_e64 s8, v29, v27
	s_or_b32 s7, s7, s8
	s_and_saveexec_b32 s13, s7
	s_cbranch_execz .LBB923_95
; %bb.90:
	v_cmp_lt_u32_e64 s7, v34, v26
                                        ; implicit-def: $vgpr24
	s_and_saveexec_b32 s8, s7
; %bb.91:
	v_lshl_add_u32 v4, v34, 1, v11
	ds_read_u16 v24, v4
; %bb.92:
	s_or_b32 exec_lo, exec_lo, s8
	v_cmp_ge_u32_e64 s8, v29, v27
	s_mov_b32 s10, exec_lo
                                        ; implicit-def: $vgpr28
	v_cmpx_lt_u32_e64 v29, v27
; %bb.93:
	v_lshl_add_u32 v4, v29, 1, v11
	ds_read_u16 v28, v4
; %bb.94:
	s_or_b32 exec_lo, exec_lo, s10
	s_waitcnt lgkmcnt(0)
	v_cmp_le_i16_e64 s9, v28, v24
	s_and_b32 s7, s7, s9
	s_or_b32 s7, s8, s7
	v_cndmask_b32_e64 v4, v29, v34, s7
	v_cndmask_b32_e64 v5, v27, v26, s7
	v_cndmask_b32_e64 v39, v28, v24, s7
	v_add_nc_u32_e32 v8, 1, v4
	v_add_nc_u32_e32 v5, -1, v5
	v_lshl_add_u32 v4, v4, 3, v10
	v_cndmask_b32_e64 v9, v34, v8, s7
	v_min_u32_e32 v5, v8, v5
	v_cmp_lt_u32_e64 s8, v9, v26
	v_lshl_add_u32 v5, v5, 1, v11
	ds_read_u16 v5, v5
	s_waitcnt lgkmcnt(0)
	v_cndmask_b32_e64 v31, v5, v28, s7
	v_cndmask_b32_e64 v34, v24, v5, s7
	;; [unrolled: 1-line block ×3, first 2 shown]
	v_cmp_le_i16_e64 s9, v31, v34
	v_cmp_ge_u32_e64 s10, v5, v27
	s_and_b32 s8, s8, s9
	s_or_b32 s8, s10, s8
	v_cndmask_b32_e64 v8, v5, v9, s8
	v_cndmask_b32_e64 v14, v27, v26, s8
	;; [unrolled: 1-line block ×3, first 2 shown]
	v_add_nc_u32_e32 v15, 1, v8
	v_add_nc_u32_e32 v14, -1, v14
	v_lshl_add_u32 v8, v8, 3, v10
	v_cndmask_b32_e64 v9, v9, v15, s8
	v_min_u32_e32 v14, v15, v14
	v_cndmask_b32_e64 v5, v15, v5, s8
	v_cmp_lt_u32_e64 s9, v9, v26
	v_lshl_add_u32 v14, v14, 1, v11
	v_cmp_ge_u32_e64 s11, v5, v27
	ds_read_u16 v14, v14
	s_waitcnt lgkmcnt(0)
	v_cndmask_b32_e64 v29, v14, v31, s8
	v_cndmask_b32_e64 v35, v34, v14, s8
	v_cmp_le_i16_e64 s10, v29, v35
	s_and_b32 s9, s9, s10
	s_or_b32 s9, s11, s9
	v_cndmask_b32_e64 v14, v5, v9, s9
	v_cndmask_b32_e64 v15, v27, v26, s9
	v_cndmask_b32_e64 v24, v29, v35, s9
	v_add_nc_u32_e32 v20, 1, v14
	v_add_nc_u32_e32 v15, -1, v15
	v_lshl_add_u32 v14, v14, 3, v10
	v_cndmask_b32_e64 v9, v9, v20, s9
	v_min_u32_e32 v15, v20, v15
	v_cndmask_b32_e64 v5, v20, v5, s9
	v_cmp_lt_u32_e64 s10, v9, v26
	v_lshl_add_u32 v15, v15, 1, v11
	v_cmp_ge_u32_e64 s12, v5, v27
	ds_read_u16 v15, v15
	s_waitcnt lgkmcnt(0)
	v_cndmask_b32_e64 v38, v15, v29, s9
	v_cndmask_b32_e64 v48, v35, v15, s9
	v_cmp_le_i16_e64 s11, v38, v48
	s_and_b32 s10, s10, s11
	s_or_b32 s10, s12, s10
	v_cndmask_b32_e64 v5, v5, v9, s10
	v_cndmask_b32_e64 v38, v38, v48, s10
	v_lshl_add_u32 v20, v5, 3, v10
	ds_read_b64 v[4:5], v4
	ds_read_b64 v[8:9], v8
	;; [unrolled: 1-line block ×4, first 2 shown]
.LBB923_95:
	s_or_b32 exec_lo, exec_lo, s13
	v_and_b32_e32 v28, 0x70, v30
	v_and_b32_e32 v29, 12, v30
	s_mov_b32 s8, exec_lo
	; wave barrier
	v_or_b32_e32 v26, 8, v28
	v_min_u32_e32 v29, v16, v29
	ds_write_b16 v12, v39
	s_waitcnt lgkmcnt(4)
	ds_write_b64 v13, v[4:5]
	ds_write_b16 v19, v37
	s_waitcnt lgkmcnt(5)
	ds_write_b64 v22, v[8:9]
	;; [unrolled: 3-line block ×4, first 2 shown]
	v_min_u32_e32 v26, v16, v26
	; wave barrier
	v_add_nc_u32_e32 v27, 8, v26
	v_sub_nc_u32_e32 v34, v26, v28
	v_min_u32_e32 v27, v16, v27
	v_min_u32_e32 v34, v29, v34
	v_sub_nc_u32_e32 v31, v27, v26
	v_sub_nc_u32_e64 v31, v29, v31 clamp
	v_cmpx_lt_u32_e64 v31, v34
	s_cbranch_execz .LBB923_99
; %bb.96:
	v_lshlrev_b32_e32 v35, 1, v28
	v_lshlrev_b32_e32 v48, 1, v26
	s_mov_b32 s9, 0
	v_add_co_u32 v35, null, v11, v35
	v_add_co_u32 v48, null, v11, v48
	.p2align	6
.LBB923_97:                             ; =>This Inner Loop Header: Depth=1
	v_add_nc_u32_e32 v49, v34, v31
	v_lshrrev_b32_e32 v50, 1, v49
	v_and_b32_e32 v49, -2, v49
	v_xad_u32 v51, v50, -1, v29
	v_add_nc_u32_e32 v49, v35, v49
	v_add_nc_u32_e32 v52, 1, v50
	v_lshl_add_u32 v51, v51, 1, v48
	ds_read_u16 v49, v49
	ds_read_u16 v51, v51
	s_waitcnt lgkmcnt(0)
	v_cmp_gt_i16_e64 s7, v51, v49
	v_cndmask_b32_e64 v34, v34, v50, s7
	v_cndmask_b32_e64 v31, v52, v31, s7
	v_cmp_ge_u32_e64 s7, v31, v34
	s_or_b32 s9, s7, s9
	s_andn2_b32 exec_lo, exec_lo, s9
	s_cbranch_execnz .LBB923_97
; %bb.98:
	s_or_b32 exec_lo, exec_lo, s9
.LBB923_99:
	s_or_b32 exec_lo, exec_lo, s8
	v_add_nc_u32_e32 v29, v26, v29
	v_add_nc_u32_e32 v34, v31, v28
	v_sub_nc_u32_e32 v29, v29, v31
	v_cmp_le_u32_e64 s7, v34, v26
	v_cmp_le_u32_e64 s8, v29, v27
	s_or_b32 s7, s7, s8
	s_and_saveexec_b32 s13, s7
	s_cbranch_execz .LBB923_105
; %bb.100:
	v_cmp_lt_u32_e64 s7, v34, v26
                                        ; implicit-def: $vgpr24
	s_and_saveexec_b32 s8, s7
; %bb.101:
	v_lshl_add_u32 v4, v34, 1, v11
	ds_read_u16 v24, v4
; %bb.102:
	s_or_b32 exec_lo, exec_lo, s8
	v_cmp_ge_u32_e64 s8, v29, v27
	s_mov_b32 s10, exec_lo
                                        ; implicit-def: $vgpr28
	v_cmpx_lt_u32_e64 v29, v27
; %bb.103:
	v_lshl_add_u32 v4, v29, 1, v11
	ds_read_u16 v28, v4
; %bb.104:
	s_or_b32 exec_lo, exec_lo, s10
	s_waitcnt lgkmcnt(0)
	v_cmp_le_i16_e64 s9, v28, v24
	s_and_b32 s7, s7, s9
	s_or_b32 s7, s8, s7
	v_cndmask_b32_e64 v4, v29, v34, s7
	v_cndmask_b32_e64 v5, v27, v26, s7
	;; [unrolled: 1-line block ×3, first 2 shown]
	v_add_nc_u32_e32 v8, 1, v4
	v_add_nc_u32_e32 v5, -1, v5
	v_lshl_add_u32 v4, v4, 3, v10
	v_cndmask_b32_e64 v9, v34, v8, s7
	v_min_u32_e32 v5, v8, v5
	v_cmp_lt_u32_e64 s8, v9, v26
	v_lshl_add_u32 v5, v5, 1, v11
	ds_read_u16 v5, v5
	s_waitcnt lgkmcnt(0)
	v_cndmask_b32_e64 v31, v5, v28, s7
	v_cndmask_b32_e64 v34, v24, v5, s7
	;; [unrolled: 1-line block ×3, first 2 shown]
	v_cmp_le_i16_e64 s9, v31, v34
	v_cmp_ge_u32_e64 s10, v5, v27
	s_and_b32 s8, s8, s9
	s_or_b32 s8, s10, s8
	v_cndmask_b32_e64 v8, v5, v9, s8
	v_cndmask_b32_e64 v14, v27, v26, s8
	;; [unrolled: 1-line block ×3, first 2 shown]
	v_add_nc_u32_e32 v15, 1, v8
	v_add_nc_u32_e32 v14, -1, v14
	v_lshl_add_u32 v8, v8, 3, v10
	v_cndmask_b32_e64 v9, v9, v15, s8
	v_min_u32_e32 v14, v15, v14
	v_cndmask_b32_e64 v5, v15, v5, s8
	v_cmp_lt_u32_e64 s9, v9, v26
	v_lshl_add_u32 v14, v14, 1, v11
	v_cmp_ge_u32_e64 s11, v5, v27
	ds_read_u16 v14, v14
	s_waitcnt lgkmcnt(0)
	v_cndmask_b32_e64 v29, v14, v31, s8
	v_cndmask_b32_e64 v35, v34, v14, s8
	v_cmp_le_i16_e64 s10, v29, v35
	s_and_b32 s9, s9, s10
	s_or_b32 s9, s11, s9
	v_cndmask_b32_e64 v14, v5, v9, s9
	v_cndmask_b32_e64 v15, v27, v26, s9
	;; [unrolled: 1-line block ×3, first 2 shown]
	v_add_nc_u32_e32 v20, 1, v14
	v_add_nc_u32_e32 v15, -1, v15
	v_lshl_add_u32 v14, v14, 3, v10
	v_cndmask_b32_e64 v9, v9, v20, s9
	v_min_u32_e32 v15, v20, v15
	v_cndmask_b32_e64 v5, v20, v5, s9
	v_cmp_lt_u32_e64 s10, v9, v26
	v_lshl_add_u32 v15, v15, 1, v11
	v_cmp_ge_u32_e64 s12, v5, v27
	ds_read_u16 v15, v15
	s_waitcnt lgkmcnt(0)
	v_cndmask_b32_e64 v38, v15, v29, s9
	v_cndmask_b32_e64 v48, v35, v15, s9
	v_cmp_le_i16_e64 s11, v38, v48
	s_and_b32 s10, s10, s11
	s_or_b32 s10, s12, s10
	v_cndmask_b32_e64 v5, v5, v9, s10
	v_cndmask_b32_e64 v38, v38, v48, s10
	v_lshl_add_u32 v20, v5, 3, v10
	ds_read_b64 v[4:5], v4
	ds_read_b64 v[8:9], v8
	;; [unrolled: 1-line block ×4, first 2 shown]
.LBB923_105:
	s_or_b32 exec_lo, exec_lo, s13
	v_and_b32_e32 v28, 0x60, v30
	v_and_b32_e32 v29, 28, v30
	s_mov_b32 s8, exec_lo
	; wave barrier
	v_or_b32_e32 v26, 16, v28
	v_min_u32_e32 v29, v16, v29
	ds_write_b16 v12, v39
	s_waitcnt lgkmcnt(4)
	ds_write_b64 v13, v[4:5]
	ds_write_b16 v19, v37
	s_waitcnt lgkmcnt(5)
	ds_write_b64 v22, v[8:9]
	;; [unrolled: 3-line block ×4, first 2 shown]
	v_min_u32_e32 v26, v16, v26
	; wave barrier
	v_add_nc_u32_e32 v27, 16, v26
	v_sub_nc_u32_e32 v34, v26, v28
	v_min_u32_e32 v27, v16, v27
	v_min_u32_e32 v34, v29, v34
	v_sub_nc_u32_e32 v31, v27, v26
	v_sub_nc_u32_e64 v31, v29, v31 clamp
	v_cmpx_lt_u32_e64 v31, v34
	s_cbranch_execz .LBB923_109
; %bb.106:
	v_lshlrev_b32_e32 v35, 1, v28
	v_lshlrev_b32_e32 v48, 1, v26
	s_mov_b32 s9, 0
	v_add_co_u32 v35, null, v11, v35
	v_add_co_u32 v48, null, v11, v48
	.p2align	6
.LBB923_107:                            ; =>This Inner Loop Header: Depth=1
	v_add_nc_u32_e32 v49, v34, v31
	v_lshrrev_b32_e32 v50, 1, v49
	v_and_b32_e32 v49, -2, v49
	v_xad_u32 v51, v50, -1, v29
	v_add_nc_u32_e32 v49, v35, v49
	v_add_nc_u32_e32 v52, 1, v50
	v_lshl_add_u32 v51, v51, 1, v48
	ds_read_u16 v49, v49
	ds_read_u16 v51, v51
	s_waitcnt lgkmcnt(0)
	v_cmp_gt_i16_e64 s7, v51, v49
	v_cndmask_b32_e64 v34, v34, v50, s7
	v_cndmask_b32_e64 v31, v52, v31, s7
	v_cmp_ge_u32_e64 s7, v31, v34
	s_or_b32 s9, s7, s9
	s_andn2_b32 exec_lo, exec_lo, s9
	s_cbranch_execnz .LBB923_107
; %bb.108:
	s_or_b32 exec_lo, exec_lo, s9
.LBB923_109:
	s_or_b32 exec_lo, exec_lo, s8
	v_add_nc_u32_e32 v29, v26, v29
	v_add_nc_u32_e32 v34, v31, v28
	v_sub_nc_u32_e32 v29, v29, v31
	v_cmp_le_u32_e64 s7, v34, v26
	v_cmp_le_u32_e64 s8, v29, v27
	s_or_b32 s7, s7, s8
	s_and_saveexec_b32 s13, s7
	s_cbranch_execz .LBB923_115
; %bb.110:
	v_cmp_lt_u32_e64 s7, v34, v26
                                        ; implicit-def: $vgpr24
	s_and_saveexec_b32 s8, s7
; %bb.111:
	v_lshl_add_u32 v4, v34, 1, v11
	ds_read_u16 v24, v4
; %bb.112:
	s_or_b32 exec_lo, exec_lo, s8
	v_cmp_ge_u32_e64 s8, v29, v27
	s_mov_b32 s10, exec_lo
                                        ; implicit-def: $vgpr28
	v_cmpx_lt_u32_e64 v29, v27
; %bb.113:
	v_lshl_add_u32 v4, v29, 1, v11
	ds_read_u16 v28, v4
; %bb.114:
	s_or_b32 exec_lo, exec_lo, s10
	s_waitcnt lgkmcnt(0)
	v_cmp_le_i16_e64 s9, v28, v24
	s_and_b32 s7, s7, s9
	s_or_b32 s7, s8, s7
	v_cndmask_b32_e64 v4, v29, v34, s7
	v_cndmask_b32_e64 v5, v27, v26, s7
	;; [unrolled: 1-line block ×3, first 2 shown]
	v_add_nc_u32_e32 v8, 1, v4
	v_add_nc_u32_e32 v5, -1, v5
	v_lshl_add_u32 v4, v4, 3, v10
	v_cndmask_b32_e64 v9, v34, v8, s7
	v_min_u32_e32 v5, v8, v5
	v_cmp_lt_u32_e64 s8, v9, v26
	v_lshl_add_u32 v5, v5, 1, v11
	ds_read_u16 v5, v5
	s_waitcnt lgkmcnt(0)
	v_cndmask_b32_e64 v31, v5, v28, s7
	v_cndmask_b32_e64 v34, v24, v5, s7
	;; [unrolled: 1-line block ×3, first 2 shown]
	v_cmp_le_i16_e64 s9, v31, v34
	v_cmp_ge_u32_e64 s10, v5, v27
	s_and_b32 s8, s8, s9
	s_or_b32 s8, s10, s8
	v_cndmask_b32_e64 v8, v5, v9, s8
	v_cndmask_b32_e64 v14, v27, v26, s8
	;; [unrolled: 1-line block ×3, first 2 shown]
	v_add_nc_u32_e32 v15, 1, v8
	v_add_nc_u32_e32 v14, -1, v14
	v_lshl_add_u32 v8, v8, 3, v10
	v_cndmask_b32_e64 v9, v9, v15, s8
	v_min_u32_e32 v14, v15, v14
	v_cndmask_b32_e64 v5, v15, v5, s8
	v_cmp_lt_u32_e64 s9, v9, v26
	v_lshl_add_u32 v14, v14, 1, v11
	v_cmp_ge_u32_e64 s11, v5, v27
	ds_read_u16 v14, v14
	s_waitcnt lgkmcnt(0)
	v_cndmask_b32_e64 v29, v14, v31, s8
	v_cndmask_b32_e64 v35, v34, v14, s8
	v_cmp_le_i16_e64 s10, v29, v35
	s_and_b32 s9, s9, s10
	s_or_b32 s9, s11, s9
	v_cndmask_b32_e64 v14, v5, v9, s9
	v_cndmask_b32_e64 v15, v27, v26, s9
	;; [unrolled: 1-line block ×3, first 2 shown]
	v_add_nc_u32_e32 v20, 1, v14
	v_add_nc_u32_e32 v15, -1, v15
	v_lshl_add_u32 v14, v14, 3, v10
	v_cndmask_b32_e64 v9, v9, v20, s9
	v_min_u32_e32 v15, v20, v15
	v_cndmask_b32_e64 v5, v20, v5, s9
	v_cmp_lt_u32_e64 s10, v9, v26
	v_lshl_add_u32 v15, v15, 1, v11
	v_cmp_ge_u32_e64 s12, v5, v27
	ds_read_u16 v15, v15
	s_waitcnt lgkmcnt(0)
	v_cndmask_b32_e64 v38, v15, v29, s9
	v_cndmask_b32_e64 v48, v35, v15, s9
	v_cmp_le_i16_e64 s11, v38, v48
	s_and_b32 s10, s10, s11
	s_or_b32 s10, s12, s10
	v_cndmask_b32_e64 v5, v5, v9, s10
	v_cndmask_b32_e64 v38, v38, v48, s10
	v_lshl_add_u32 v20, v5, 3, v10
	ds_read_b64 v[4:5], v4
	ds_read_b64 v[8:9], v8
	;; [unrolled: 1-line block ×4, first 2 shown]
.LBB923_115:
	s_or_b32 exec_lo, exec_lo, s13
	v_and_b32_e32 v28, 64, v30
	v_and_b32_e32 v29, 60, v30
	s_mov_b32 s8, exec_lo
	; wave barrier
	v_or_b32_e32 v26, 32, v28
	v_min_u32_e32 v29, v16, v29
	ds_write_b16 v12, v39
	s_waitcnt lgkmcnt(4)
	ds_write_b64 v13, v[4:5]
	ds_write_b16 v19, v37
	s_waitcnt lgkmcnt(5)
	ds_write_b64 v22, v[8:9]
	;; [unrolled: 3-line block ×4, first 2 shown]
	v_min_u32_e32 v26, v16, v26
	; wave barrier
	v_add_nc_u32_e32 v27, 32, v26
	v_sub_nc_u32_e32 v34, v26, v28
	v_min_u32_e32 v27, v16, v27
	v_min_u32_e32 v34, v29, v34
	v_sub_nc_u32_e32 v31, v27, v26
	v_sub_nc_u32_e64 v31, v29, v31 clamp
	v_cmpx_lt_u32_e64 v31, v34
	s_cbranch_execz .LBB923_119
; %bb.116:
	v_lshlrev_b32_e32 v35, 1, v28
	v_lshlrev_b32_e32 v48, 1, v26
	s_mov_b32 s9, 0
	v_add_co_u32 v35, null, v11, v35
	v_add_co_u32 v48, null, v11, v48
	.p2align	6
.LBB923_117:                            ; =>This Inner Loop Header: Depth=1
	v_add_nc_u32_e32 v49, v34, v31
	v_lshrrev_b32_e32 v50, 1, v49
	v_and_b32_e32 v49, -2, v49
	v_xad_u32 v51, v50, -1, v29
	v_add_nc_u32_e32 v49, v35, v49
	v_add_nc_u32_e32 v52, 1, v50
	v_lshl_add_u32 v51, v51, 1, v48
	ds_read_u16 v49, v49
	ds_read_u16 v51, v51
	s_waitcnt lgkmcnt(0)
	v_cmp_gt_i16_e64 s7, v51, v49
	v_cndmask_b32_e64 v34, v34, v50, s7
	v_cndmask_b32_e64 v31, v52, v31, s7
	v_cmp_ge_u32_e64 s7, v31, v34
	s_or_b32 s9, s7, s9
	s_andn2_b32 exec_lo, exec_lo, s9
	s_cbranch_execnz .LBB923_117
; %bb.118:
	s_or_b32 exec_lo, exec_lo, s9
.LBB923_119:
	s_or_b32 exec_lo, exec_lo, s8
	v_add_nc_u32_e32 v29, v26, v29
	v_add_nc_u32_e32 v34, v31, v28
	v_sub_nc_u32_e32 v29, v29, v31
	v_cmp_le_u32_e64 s7, v34, v26
	v_cmp_le_u32_e64 s8, v29, v27
	s_or_b32 s7, s7, s8
	s_and_saveexec_b32 s13, s7
	s_cbranch_execz .LBB923_125
; %bb.120:
	v_cmp_lt_u32_e64 s7, v34, v26
                                        ; implicit-def: $vgpr24
	s_and_saveexec_b32 s8, s7
; %bb.121:
	v_lshl_add_u32 v4, v34, 1, v11
	ds_read_u16 v24, v4
; %bb.122:
	s_or_b32 exec_lo, exec_lo, s8
	v_cmp_ge_u32_e64 s8, v29, v27
	s_mov_b32 s10, exec_lo
                                        ; implicit-def: $vgpr28
	v_cmpx_lt_u32_e64 v29, v27
; %bb.123:
	v_lshl_add_u32 v4, v29, 1, v11
	ds_read_u16 v28, v4
; %bb.124:
	s_or_b32 exec_lo, exec_lo, s10
	s_waitcnt lgkmcnt(0)
	v_cmp_le_i16_e64 s9, v28, v24
	s_and_b32 s7, s7, s9
	s_or_b32 s7, s8, s7
	v_cndmask_b32_e64 v4, v29, v34, s7
	v_cndmask_b32_e64 v5, v27, v26, s7
	v_cndmask_b32_e64 v39, v28, v24, s7
	v_add_nc_u32_e32 v8, 1, v4
	v_add_nc_u32_e32 v5, -1, v5
	v_lshl_add_u32 v4, v4, 3, v10
	v_cndmask_b32_e64 v9, v34, v8, s7
	v_min_u32_e32 v5, v8, v5
	v_cmp_lt_u32_e64 s8, v9, v26
	v_lshl_add_u32 v5, v5, 1, v11
	ds_read_u16 v5, v5
	s_waitcnt lgkmcnt(0)
	v_cndmask_b32_e64 v31, v5, v28, s7
	v_cndmask_b32_e64 v34, v24, v5, s7
	;; [unrolled: 1-line block ×3, first 2 shown]
	v_cmp_le_i16_e64 s9, v31, v34
	v_cmp_ge_u32_e64 s10, v5, v27
	s_and_b32 s8, s8, s9
	s_or_b32 s8, s10, s8
	v_cndmask_b32_e64 v8, v5, v9, s8
	v_cndmask_b32_e64 v14, v27, v26, s8
	v_cndmask_b32_e64 v37, v31, v34, s8
	v_add_nc_u32_e32 v15, 1, v8
	v_add_nc_u32_e32 v14, -1, v14
	v_lshl_add_u32 v8, v8, 3, v10
	v_cndmask_b32_e64 v9, v9, v15, s8
	v_min_u32_e32 v14, v15, v14
	v_cndmask_b32_e64 v5, v15, v5, s8
	v_cmp_lt_u32_e64 s9, v9, v26
	v_lshl_add_u32 v14, v14, 1, v11
	v_cmp_ge_u32_e64 s11, v5, v27
	ds_read_u16 v14, v14
	s_waitcnt lgkmcnt(0)
	v_cndmask_b32_e64 v29, v14, v31, s8
	v_cndmask_b32_e64 v35, v34, v14, s8
	v_cmp_le_i16_e64 s10, v29, v35
	s_and_b32 s9, s9, s10
	s_or_b32 s9, s11, s9
	v_cndmask_b32_e64 v14, v5, v9, s9
	v_cndmask_b32_e64 v15, v27, v26, s9
	v_cndmask_b32_e64 v24, v29, v35, s9
	v_add_nc_u32_e32 v20, 1, v14
	v_add_nc_u32_e32 v15, -1, v15
	v_lshl_add_u32 v14, v14, 3, v10
	v_cndmask_b32_e64 v9, v9, v20, s9
	v_min_u32_e32 v15, v20, v15
	v_cndmask_b32_e64 v5, v20, v5, s9
	v_cmp_lt_u32_e64 s10, v9, v26
	v_lshl_add_u32 v15, v15, 1, v11
	v_cmp_ge_u32_e64 s12, v5, v27
	ds_read_u16 v15, v15
	s_waitcnt lgkmcnt(0)
	v_cndmask_b32_e64 v38, v15, v29, s9
	v_cndmask_b32_e64 v48, v35, v15, s9
	v_cmp_le_i16_e64 s11, v38, v48
	s_and_b32 s10, s10, s11
	s_or_b32 s10, s12, s10
	v_cndmask_b32_e64 v5, v5, v9, s10
	v_cndmask_b32_e64 v38, v38, v48, s10
	v_lshl_add_u32 v20, v5, 3, v10
	ds_read_b64 v[4:5], v4
	ds_read_b64 v[8:9], v8
	;; [unrolled: 1-line block ×4, first 2 shown]
.LBB923_125:
	s_or_b32 exec_lo, exec_lo, s13
	v_min_u32_e32 v26, 64, v16
	; wave barrier
	ds_write_b16 v12, v39
	s_waitcnt lgkmcnt(4)
	ds_write_b64 v13, v[4:5]
	s_mov_b32 s8, exec_lo
	v_add_nc_u32_e32 v27, 64, v26
	ds_write_b16 v19, v37
	s_waitcnt lgkmcnt(5)
	ds_write_b64 v22, v[8:9]
	ds_write_b16 v23, v24
	s_waitcnt lgkmcnt(6)
	ds_write_b64 v25, v[14:15]
	;; [unrolled: 3-line block ×3, first 2 shown]
	; wave barrier
	v_min_u32_e32 v27, v16, v27
	v_min_u32_e32 v16, v16, v30
	v_sub_nc_u32_e32 v28, v27, v26
	v_min_u32_e32 v13, v16, v26
	v_sub_nc_u32_e64 v12, v16, v28 clamp
	v_cmpx_lt_u32_e64 v12, v13
	s_cbranch_execz .LBB923_129
; %bb.126:
	v_lshlrev_b32_e32 v17, 1, v26
	s_mov_b32 s9, 0
	v_add_co_u32 v17, null, v11, v17
	.p2align	6
.LBB923_127:                            ; =>This Inner Loop Header: Depth=1
	v_add_nc_u32_e32 v18, v13, v12
	v_lshrrev_b32_e32 v19, 1, v18
	v_and_b32_e32 v18, -2, v18
	v_xad_u32 v22, v19, -1, v16
	v_add_nc_u32_e32 v18, v11, v18
	v_add_nc_u32_e32 v23, 1, v19
	v_lshl_add_u32 v22, v22, 1, v17
	ds_read_u16 v18, v18
	ds_read_u16 v22, v22
	s_waitcnt lgkmcnt(0)
	v_cmp_gt_i16_e64 s7, v22, v18
	v_cndmask_b32_e64 v13, v13, v19, s7
	v_cndmask_b32_e64 v12, v23, v12, s7
	v_cmp_ge_u32_e64 s7, v12, v13
	s_or_b32 s9, s7, s9
	s_andn2_b32 exec_lo, exec_lo, s9
	s_cbranch_execnz .LBB923_127
; %bb.128:
	s_or_b32 exec_lo, exec_lo, s9
.LBB923_129:
	s_or_b32 exec_lo, exec_lo, s8
	v_add_nc_u32_e32 v13, v26, v16
	v_cmp_le_u32_e64 s7, v12, v26
	v_sub_nc_u32_e32 v17, v13, v12
	v_cmp_le_u32_e64 s8, v17, v27
	s_or_b32 s7, s7, s8
	s_and_saveexec_b32 s13, s7
	s_cbranch_execz .LBB923_135
; %bb.130:
	v_cmp_lt_u32_e64 s7, v12, v26
                                        ; implicit-def: $vgpr13
	s_and_saveexec_b32 s8, s7
; %bb.131:
	v_lshl_add_u32 v4, v12, 1, v11
	ds_read_u16 v13, v4
; %bb.132:
	s_or_b32 exec_lo, exec_lo, s8
	v_cmp_ge_u32_e64 s8, v17, v27
	s_mov_b32 s10, exec_lo
                                        ; implicit-def: $vgpr16
	v_cmpx_lt_u32_e64 v17, v27
; %bb.133:
	v_lshl_add_u32 v4, v17, 1, v11
	ds_read_u16 v16, v4
; %bb.134:
	s_or_b32 exec_lo, exec_lo, s10
	s_waitcnt lgkmcnt(0)
	v_cmp_le_i16_e64 s9, v16, v13
	s_and_b32 s7, s7, s9
	s_or_b32 s7, s8, s7
	v_cndmask_b32_e64 v4, v17, v12, s7
	v_cndmask_b32_e64 v5, v27, v26, s7
	;; [unrolled: 1-line block ×3, first 2 shown]
	v_add_nc_u32_e32 v8, 1, v4
	v_add_nc_u32_e32 v5, -1, v5
	v_lshl_add_u32 v4, v4, 3, v10
	v_cndmask_b32_e64 v9, v12, v8, s7
	v_min_u32_e32 v5, v8, v5
	v_cmp_lt_u32_e64 s8, v9, v26
	v_lshl_add_u32 v5, v5, 1, v11
	ds_read_u16 v5, v5
	s_waitcnt lgkmcnt(0)
	v_cndmask_b32_e64 v12, v5, v16, s7
	v_cndmask_b32_e64 v18, v13, v5, s7
	;; [unrolled: 1-line block ×3, first 2 shown]
	v_cmp_le_i16_e64 s9, v12, v18
	v_cmp_ge_u32_e64 s10, v5, v27
	s_and_b32 s8, s8, s9
	s_or_b32 s8, s10, s8
	v_cndmask_b32_e64 v8, v5, v9, s8
	v_cndmask_b32_e64 v14, v27, v26, s8
	;; [unrolled: 1-line block ×3, first 2 shown]
	v_add_nc_u32_e32 v15, 1, v8
	v_add_nc_u32_e32 v14, -1, v14
	v_lshl_add_u32 v8, v8, 3, v10
	v_cndmask_b32_e64 v9, v9, v15, s8
	v_min_u32_e32 v14, v15, v14
	v_cndmask_b32_e64 v5, v15, v5, s8
	v_cmp_lt_u32_e64 s9, v9, v26
	v_lshl_add_u32 v14, v14, 1, v11
	v_cmp_ge_u32_e64 s11, v5, v27
	ds_read_u16 v14, v14
	s_waitcnt lgkmcnt(0)
	v_cndmask_b32_e64 v17, v14, v12, s8
	v_cndmask_b32_e64 v19, v18, v14, s8
	v_cmp_le_i16_e64 s10, v17, v19
	s_and_b32 s9, s9, s10
	s_or_b32 s9, s11, s9
	v_cndmask_b32_e64 v14, v5, v9, s9
	v_cndmask_b32_e64 v15, v27, v26, s9
	v_cndmask_b32_e64 v24, v17, v19, s9
	v_add_nc_u32_e32 v20, 1, v14
	v_add_nc_u32_e32 v15, -1, v15
	v_lshl_add_u32 v14, v14, 3, v10
	v_cndmask_b32_e64 v9, v9, v20, s9
	v_min_u32_e32 v15, v20, v15
	v_cndmask_b32_e64 v5, v20, v5, s9
	v_cmp_lt_u32_e64 s10, v9, v26
	v_lshl_add_u32 v11, v15, 1, v11
	v_cmp_ge_u32_e64 s12, v5, v27
	ds_read_u16 v11, v11
	s_waitcnt lgkmcnt(0)
	v_cndmask_b32_e64 v22, v11, v17, s9
	v_cndmask_b32_e64 v11, v19, v11, s9
	v_cmp_le_i16_e64 s11, v22, v11
	s_and_b32 s10, s10, s11
	s_or_b32 s10, s12, s10
	v_cndmask_b32_e64 v5, v5, v9, s10
	v_cndmask_b32_e64 v38, v22, v11, s10
	v_lshl_add_u32 v10, v5, 3, v10
	ds_read_b64 v[4:5], v4
	ds_read_b64 v[8:9], v8
	;; [unrolled: 1-line block ×4, first 2 shown]
.LBB923_135:
	s_or_b32 exec_lo, exec_lo, s13
	; wave barrier
	s_waitcnt lgkmcnt(0)
	s_waitcnt_vscnt null, 0x0
	s_barrier
.LBB923_136:
	s_or_b32 exec_lo, exec_lo, s14
	v_lshlrev_b32_e32 v10, 1, v30
	v_add_co_u32 v2, s7, v2, v32
	v_add_co_ci_u32_e64 v3, null, v3, v33, s7
	s_waitcnt vmcnt(0) lgkmcnt(0)
	s_waitcnt_vscnt null, 0x0
	buffer_gl0_inv
	v_add_co_u32 v2, s7, v2, v10
	v_add_co_ci_u32_e64 v3, null, 0, v3, s7
	; wave barrier
	s_and_saveexec_b32 s7, vcc_lo
	s_cbranch_execnz .LBB923_146
; %bb.137:
	s_or_b32 exec_lo, exec_lo, s7
	s_and_saveexec_b32 s7, s4
	s_cbranch_execnz .LBB923_147
.LBB923_138:
	s_or_b32 exec_lo, exec_lo, s7
	s_and_saveexec_b32 s7, s5
	s_cbranch_execnz .LBB923_148
.LBB923_139:
	s_or_b32 exec_lo, exec_lo, s7
	s_and_saveexec_b32 s7, s6
	s_cbranch_execz .LBB923_141
.LBB923_140:
	flat_store_short v[2:3], v38 offset:6
.LBB923_141:
	s_or_b32 exec_lo, exec_lo, s7
	v_add_co_u32 v0, s7, v6, v0
	v_add_co_ci_u32_e64 v1, null, v7, v1, s7
	v_add_co_u32 v0, s7, v0, v36
	v_add_co_ci_u32_e64 v1, null, 0, v1, s7
	; wave barrier
	s_and_saveexec_b32 s7, vcc_lo
	s_cbranch_execnz .LBB923_149
; %bb.142:
	s_or_b32 exec_lo, exec_lo, s7
	s_and_saveexec_b32 s7, s4
	s_cbranch_execnz .LBB923_150
.LBB923_143:
	s_or_b32 exec_lo, exec_lo, s7
	s_and_saveexec_b32 s4, s5
	s_cbranch_execnz .LBB923_151
.LBB923_144:
	s_or_b32 exec_lo, exec_lo, s4
	s_and_saveexec_b32 s4, s6
	s_cbranch_execnz .LBB923_152
.LBB923_145:
	s_or_b32 exec_lo, exec_lo, s4
	s_waitcnt lgkmcnt(0)
	s_setpc_b64 s[30:31]
.LBB923_146:
	flat_store_short v[2:3], v39
	s_or_b32 exec_lo, exec_lo, s7
	s_and_saveexec_b32 s7, s4
	s_cbranch_execz .LBB923_138
.LBB923_147:
	flat_store_short v[2:3], v37 offset:2
	s_or_b32 exec_lo, exec_lo, s7
	s_and_saveexec_b32 s7, s5
	s_cbranch_execz .LBB923_139
.LBB923_148:
	flat_store_short v[2:3], v24 offset:4
	s_or_b32 exec_lo, exec_lo, s7
	s_and_saveexec_b32 s7, s6
	s_cbranch_execnz .LBB923_140
	s_branch .LBB923_141
.LBB923_149:
	flat_store_dwordx2 v[0:1], v[4:5]
	s_or_b32 exec_lo, exec_lo, s7
	s_and_saveexec_b32 s7, s4
	s_cbranch_execz .LBB923_143
.LBB923_150:
	flat_store_dwordx2 v[0:1], v[8:9] offset:8
	s_or_b32 exec_lo, exec_lo, s7
	s_and_saveexec_b32 s4, s5
	s_cbranch_execz .LBB923_144
.LBB923_151:
	flat_store_dwordx2 v[0:1], v[14:15] offset:16
	s_or_b32 exec_lo, exec_lo, s4
	s_and_saveexec_b32 s4, s6
	s_cbranch_execz .LBB923_145
.LBB923_152:
	flat_store_dwordx2 v[0:1], v[20:21] offset:24
	s_or_b32 exec_lo, exec_lo, s4
	s_waitcnt lgkmcnt(0)
	s_setpc_b64 s[30:31]
.Lfunc_end923:
	.size	_ZN7rocprim17ROCPRIM_400000_NS6detail26segmented_warp_sort_helperINS1_20WarpSortHelperConfigILj32ELj4ELj256EEEslLi256ELb1EvE4sortIPKsPsPKlPlEEvT_T0_T1_T2_jjjjRNS5_12storage_typeE, .Lfunc_end923-_ZN7rocprim17ROCPRIM_400000_NS6detail26segmented_warp_sort_helperINS1_20WarpSortHelperConfigILj32ELj4ELj256EEEslLi256ELb1EvE4sortIPKsPsPKlPlEEvT_T0_T1_T2_jjjjRNS5_12storage_typeE
                                        ; -- End function
	.set .L_ZN7rocprim17ROCPRIM_400000_NS6detail26segmented_warp_sort_helperINS1_20WarpSortHelperConfigILj32ELj4ELj256EEEslLi256ELb1EvE4sortIPKsPsPKlPlEEvT_T0_T1_T2_jjjjRNS5_12storage_typeE.num_vgpr, 54
	.set .L_ZN7rocprim17ROCPRIM_400000_NS6detail26segmented_warp_sort_helperINS1_20WarpSortHelperConfigILj32ELj4ELj256EEEslLi256ELb1EvE4sortIPKsPsPKlPlEEvT_T0_T1_T2_jjjjRNS5_12storage_typeE.num_agpr, 0
	.set .L_ZN7rocprim17ROCPRIM_400000_NS6detail26segmented_warp_sort_helperINS1_20WarpSortHelperConfigILj32ELj4ELj256EEEslLi256ELb1EvE4sortIPKsPsPKlPlEEvT_T0_T1_T2_jjjjRNS5_12storage_typeE.numbered_sgpr, 32
	.set .L_ZN7rocprim17ROCPRIM_400000_NS6detail26segmented_warp_sort_helperINS1_20WarpSortHelperConfigILj32ELj4ELj256EEEslLi256ELb1EvE4sortIPKsPsPKlPlEEvT_T0_T1_T2_jjjjRNS5_12storage_typeE.num_named_barrier, 0
	.set .L_ZN7rocprim17ROCPRIM_400000_NS6detail26segmented_warp_sort_helperINS1_20WarpSortHelperConfigILj32ELj4ELj256EEEslLi256ELb1EvE4sortIPKsPsPKlPlEEvT_T0_T1_T2_jjjjRNS5_12storage_typeE.private_seg_size, 0
	.set .L_ZN7rocprim17ROCPRIM_400000_NS6detail26segmented_warp_sort_helperINS1_20WarpSortHelperConfigILj32ELj4ELj256EEEslLi256ELb1EvE4sortIPKsPsPKlPlEEvT_T0_T1_T2_jjjjRNS5_12storage_typeE.uses_vcc, 1
	.set .L_ZN7rocprim17ROCPRIM_400000_NS6detail26segmented_warp_sort_helperINS1_20WarpSortHelperConfigILj32ELj4ELj256EEEslLi256ELb1EvE4sortIPKsPsPKlPlEEvT_T0_T1_T2_jjjjRNS5_12storage_typeE.uses_flat_scratch, 0
	.set .L_ZN7rocprim17ROCPRIM_400000_NS6detail26segmented_warp_sort_helperINS1_20WarpSortHelperConfigILj32ELj4ELj256EEEslLi256ELb1EvE4sortIPKsPsPKlPlEEvT_T0_T1_T2_jjjjRNS5_12storage_typeE.has_dyn_sized_stack, 0
	.set .L_ZN7rocprim17ROCPRIM_400000_NS6detail26segmented_warp_sort_helperINS1_20WarpSortHelperConfigILj32ELj4ELj256EEEslLi256ELb1EvE4sortIPKsPsPKlPlEEvT_T0_T1_T2_jjjjRNS5_12storage_typeE.has_recursion, 0
	.set .L_ZN7rocprim17ROCPRIM_400000_NS6detail26segmented_warp_sort_helperINS1_20WarpSortHelperConfigILj32ELj4ELj256EEEslLi256ELb1EvE4sortIPKsPsPKlPlEEvT_T0_T1_T2_jjjjRNS5_12storage_typeE.has_indirect_call, 0
	.section	.AMDGPU.csdata,"",@progbits
; Function info:
; codeLenInByte = 11212
; TotalNumSgprs: 34
; NumVgprs: 54
; ScratchSize: 0
; MemoryBound: 1
	.section	.text._ZN7rocprim17ROCPRIM_400000_NS6detail17trampoline_kernelINS0_14default_configENS1_36segmented_radix_sort_config_selectorIslEEZNS1_25segmented_radix_sort_implIS3_Lb1EPKsPsPKlPlN2at6native12_GLOBAL__N_18offset_tEEE10hipError_tPvRmT1_PNSt15iterator_traitsISK_E10value_typeET2_T3_PNSL_ISQ_E10value_typeET4_jRbjT5_SW_jjP12ihipStream_tbEUlT_E0_NS1_11comp_targetILNS1_3genE8ELNS1_11target_archE1030ELNS1_3gpuE2ELNS1_3repE0EEENS1_60segmented_radix_sort_warp_sort_medium_config_static_selectorELNS0_4arch9wavefront6targetE0EEEvSK_,"axG",@progbits,_ZN7rocprim17ROCPRIM_400000_NS6detail17trampoline_kernelINS0_14default_configENS1_36segmented_radix_sort_config_selectorIslEEZNS1_25segmented_radix_sort_implIS3_Lb1EPKsPsPKlPlN2at6native12_GLOBAL__N_18offset_tEEE10hipError_tPvRmT1_PNSt15iterator_traitsISK_E10value_typeET2_T3_PNSL_ISQ_E10value_typeET4_jRbjT5_SW_jjP12ihipStream_tbEUlT_E0_NS1_11comp_targetILNS1_3genE8ELNS1_11target_archE1030ELNS1_3gpuE2ELNS1_3repE0EEENS1_60segmented_radix_sort_warp_sort_medium_config_static_selectorELNS0_4arch9wavefront6targetE0EEEvSK_,comdat
	.globl	_ZN7rocprim17ROCPRIM_400000_NS6detail17trampoline_kernelINS0_14default_configENS1_36segmented_radix_sort_config_selectorIslEEZNS1_25segmented_radix_sort_implIS3_Lb1EPKsPsPKlPlN2at6native12_GLOBAL__N_18offset_tEEE10hipError_tPvRmT1_PNSt15iterator_traitsISK_E10value_typeET2_T3_PNSL_ISQ_E10value_typeET4_jRbjT5_SW_jjP12ihipStream_tbEUlT_E0_NS1_11comp_targetILNS1_3genE8ELNS1_11target_archE1030ELNS1_3gpuE2ELNS1_3repE0EEENS1_60segmented_radix_sort_warp_sort_medium_config_static_selectorELNS0_4arch9wavefront6targetE0EEEvSK_ ; -- Begin function _ZN7rocprim17ROCPRIM_400000_NS6detail17trampoline_kernelINS0_14default_configENS1_36segmented_radix_sort_config_selectorIslEEZNS1_25segmented_radix_sort_implIS3_Lb1EPKsPsPKlPlN2at6native12_GLOBAL__N_18offset_tEEE10hipError_tPvRmT1_PNSt15iterator_traitsISK_E10value_typeET2_T3_PNSL_ISQ_E10value_typeET4_jRbjT5_SW_jjP12ihipStream_tbEUlT_E0_NS1_11comp_targetILNS1_3genE8ELNS1_11target_archE1030ELNS1_3gpuE2ELNS1_3repE0EEENS1_60segmented_radix_sort_warp_sort_medium_config_static_selectorELNS0_4arch9wavefront6targetE0EEEvSK_
	.p2align	8
	.type	_ZN7rocprim17ROCPRIM_400000_NS6detail17trampoline_kernelINS0_14default_configENS1_36segmented_radix_sort_config_selectorIslEEZNS1_25segmented_radix_sort_implIS3_Lb1EPKsPsPKlPlN2at6native12_GLOBAL__N_18offset_tEEE10hipError_tPvRmT1_PNSt15iterator_traitsISK_E10value_typeET2_T3_PNSL_ISQ_E10value_typeET4_jRbjT5_SW_jjP12ihipStream_tbEUlT_E0_NS1_11comp_targetILNS1_3genE8ELNS1_11target_archE1030ELNS1_3gpuE2ELNS1_3repE0EEENS1_60segmented_radix_sort_warp_sort_medium_config_static_selectorELNS0_4arch9wavefront6targetE0EEEvSK_,@function
_ZN7rocprim17ROCPRIM_400000_NS6detail17trampoline_kernelINS0_14default_configENS1_36segmented_radix_sort_config_selectorIslEEZNS1_25segmented_radix_sort_implIS3_Lb1EPKsPsPKlPlN2at6native12_GLOBAL__N_18offset_tEEE10hipError_tPvRmT1_PNSt15iterator_traitsISK_E10value_typeET2_T3_PNSL_ISQ_E10value_typeET4_jRbjT5_SW_jjP12ihipStream_tbEUlT_E0_NS1_11comp_targetILNS1_3genE8ELNS1_11target_archE1030ELNS1_3gpuE2ELNS1_3repE0EEENS1_60segmented_radix_sort_warp_sort_medium_config_static_selectorELNS0_4arch9wavefront6targetE0EEEvSK_: ; @_ZN7rocprim17ROCPRIM_400000_NS6detail17trampoline_kernelINS0_14default_configENS1_36segmented_radix_sort_config_selectorIslEEZNS1_25segmented_radix_sort_implIS3_Lb1EPKsPsPKlPlN2at6native12_GLOBAL__N_18offset_tEEE10hipError_tPvRmT1_PNSt15iterator_traitsISK_E10value_typeET2_T3_PNSL_ISQ_E10value_typeET4_jRbjT5_SW_jjP12ihipStream_tbEUlT_E0_NS1_11comp_targetILNS1_3genE8ELNS1_11target_archE1030ELNS1_3gpuE2ELNS1_3repE0EEENS1_60segmented_radix_sort_warp_sort_medium_config_static_selectorELNS0_4arch9wavefront6targetE0EEEvSK_
; %bb.0:
	s_add_u32 s0, s0, s8
	s_load_dword s8, s[4:5], 0x64
	s_addc_u32 s1, s1, 0
	s_mov_b32 s32, 0
	s_waitcnt lgkmcnt(0)
	s_lshr_b32 s9, s8, 16
	s_and_b32 s8, s8, 0xffff
	v_mad_u32_u24 v3, v2, s9, v1
	s_load_dword s9, s[4:5], 0x34
	v_mad_u64_u32 v[3:4], null, v3, s8, v[0:1]
	s_mov_b32 s8, exec_lo
	v_lshrrev_b32_e32 v3, 5, v3
	v_lshl_add_u32 v3, s6, 3, v3
	s_waitcnt lgkmcnt(0)
	v_cmpx_gt_u32_e64 s9, v3
	s_cbranch_execz .LBB924_6
; %bb.1:
	s_clause 0x1
	s_load_dwordx2 s[12:13], s[4:5], 0x38
	s_load_dwordx4 s[8:11], s[4:5], 0x40
	v_mov_b32_e32 v4, 0
	v_lshlrev_b64 v[3:4], 2, v[3:4]
	s_waitcnt lgkmcnt(0)
	v_add_co_u32 v3, vcc_lo, s12, v3
	v_add_co_ci_u32_e64 v4, null, s13, v4, vcc_lo
	global_load_dword v3, v[3:4], off
	s_waitcnt vmcnt(0)
	v_add_nc_u32_e32 v4, s9, v3
	v_add_nc_u32_e32 v3, s11, v3
	v_mul_lo_u32 v40, v4, s8
	v_mul_lo_u32 v41, v3, s10
	v_cmp_gt_u32_e32 vcc_lo, v41, v40
	s_and_b32 exec_lo, exec_lo, vcc_lo
	s_cbranch_execz .LBB924_6
; %bb.2:
	s_clause 0x3
	s_load_dword s8, s[4:5], 0x30
	s_load_dwordx4 s[36:39], s[4:5], 0x20
	s_load_dwordx8 s[20:27], s[4:5], 0x0
	s_load_dwordx2 s[28:29], s[4:5], 0x50
	v_lshlrev_b32_e32 v43, 20, v2
	v_lshlrev_b32_e32 v44, 10, v1
	s_waitcnt lgkmcnt(0)
	s_bitcmp0_b32 s8, 0
	s_mov_b32 s8, -1
	s_cbranch_scc0 .LBB924_4
; %bb.3:
	s_mov_b64 s[10:11], src_shared_base
	v_or3_b32 v31, v0, v44, v43
	v_mov_b32_e32 v42, v0
	v_mov_b32_e32 v0, s20
	;; [unrolled: 1-line block ×15, first 2 shown]
	s_add_u32 s8, s4, 0x58
	s_addc_u32 s9, s5, 0
	s_getpc_b64 s[14:15]
	s_add_u32 s14, s14, _ZN7rocprim17ROCPRIM_400000_NS6detail26segmented_warp_sort_helperINS1_20WarpSortHelperConfigILj32ELj4ELj256EEEslLi256ELb1EvE4sortIPKsPsPKlPlEEvT_T0_T1_T2_jjjjRNS5_12storage_typeE@rel32@lo+4
	s_addc_u32 s15, s15, _ZN7rocprim17ROCPRIM_400000_NS6detail26segmented_warp_sort_helperINS1_20WarpSortHelperConfigILj32ELj4ELj256EEEslLi256ELb1EvE4sortIPKsPsPKlPlEEvT_T0_T1_T2_jjjjRNS5_12storage_typeE@rel32@hi+12
	s_mov_b32 s12, s6
	s_mov_b32 s13, s7
	s_mov_b64 s[22:23], s[4:5]
	s_mov_b32 s19, s7
	s_mov_b32 s33, s6
	s_swappc_b64 s[30:31], s[14:15]
	v_mov_b32_e32 v0, v42
	s_mov_b32 s6, s33
	s_mov_b32 s7, s19
	s_mov_b64 s[4:5], s[22:23]
	s_mov_b32 s8, 0
.LBB924_4:
	s_andn2_b32 vcc_lo, exec_lo, s8
	s_cbranch_vccnz .LBB924_6
; %bb.5:
	s_mov_b64 s[10:11], src_shared_base
	v_or3_b32 v31, v0, v44, v43
	v_mov_b32_e32 v0, s20
	v_mov_b32_e32 v1, s21
	;; [unrolled: 1-line block ×14, first 2 shown]
	s_add_u32 s8, s4, 0x58
	s_addc_u32 s9, s5, 0
	s_getpc_b64 s[4:5]
	s_add_u32 s4, s4, _ZN7rocprim17ROCPRIM_400000_NS6detail26segmented_warp_sort_helperINS1_20WarpSortHelperConfigILj32ELj4ELj256EEEslLi256ELb1EvE4sortIPKsPsPKlPlEEvT_T0_T1_T2_jjjjRNS5_12storage_typeE@rel32@lo+4
	s_addc_u32 s5, s5, _ZN7rocprim17ROCPRIM_400000_NS6detail26segmented_warp_sort_helperINS1_20WarpSortHelperConfigILj32ELj4ELj256EEEslLi256ELb1EvE4sortIPKsPsPKlPlEEvT_T0_T1_T2_jjjjRNS5_12storage_typeE@rel32@hi+12
	s_mov_b32 s12, s6
	s_mov_b32 s13, s7
	s_swappc_b64 s[30:31], s[4:5]
.LBB924_6:
	s_endpgm
	.section	.rodata,"a",@progbits
	.p2align	6, 0x0
	.amdhsa_kernel _ZN7rocprim17ROCPRIM_400000_NS6detail17trampoline_kernelINS0_14default_configENS1_36segmented_radix_sort_config_selectorIslEEZNS1_25segmented_radix_sort_implIS3_Lb1EPKsPsPKlPlN2at6native12_GLOBAL__N_18offset_tEEE10hipError_tPvRmT1_PNSt15iterator_traitsISK_E10value_typeET2_T3_PNSL_ISQ_E10value_typeET4_jRbjT5_SW_jjP12ihipStream_tbEUlT_E0_NS1_11comp_targetILNS1_3genE8ELNS1_11target_archE1030ELNS1_3gpuE2ELNS1_3repE0EEENS1_60segmented_radix_sort_warp_sort_medium_config_static_selectorELNS0_4arch9wavefront6targetE0EEEvSK_
		.amdhsa_group_segment_fixed_size 10240
		.amdhsa_private_segment_fixed_size 0
		.amdhsa_kernarg_size 344
		.amdhsa_user_sgpr_count 6
		.amdhsa_user_sgpr_private_segment_buffer 1
		.amdhsa_user_sgpr_dispatch_ptr 0
		.amdhsa_user_sgpr_queue_ptr 0
		.amdhsa_user_sgpr_kernarg_segment_ptr 1
		.amdhsa_user_sgpr_dispatch_id 0
		.amdhsa_user_sgpr_flat_scratch_init 0
		.amdhsa_user_sgpr_private_segment_size 0
		.amdhsa_wavefront_size32 1
		.amdhsa_uses_dynamic_stack 0
		.amdhsa_system_sgpr_private_segment_wavefront_offset 0
		.amdhsa_system_sgpr_workgroup_id_x 1
		.amdhsa_system_sgpr_workgroup_id_y 1
		.amdhsa_system_sgpr_workgroup_id_z 0
		.amdhsa_system_sgpr_workgroup_info 0
		.amdhsa_system_vgpr_workitem_id 2
		.amdhsa_next_free_vgpr 54
		.amdhsa_next_free_sgpr 40
		.amdhsa_reserve_vcc 1
		.amdhsa_reserve_flat_scratch 0
		.amdhsa_float_round_mode_32 0
		.amdhsa_float_round_mode_16_64 0
		.amdhsa_float_denorm_mode_32 3
		.amdhsa_float_denorm_mode_16_64 3
		.amdhsa_dx10_clamp 1
		.amdhsa_ieee_mode 1
		.amdhsa_fp16_overflow 0
		.amdhsa_workgroup_processor_mode 1
		.amdhsa_memory_ordered 1
		.amdhsa_forward_progress 1
		.amdhsa_shared_vgpr_count 0
		.amdhsa_exception_fp_ieee_invalid_op 0
		.amdhsa_exception_fp_denorm_src 0
		.amdhsa_exception_fp_ieee_div_zero 0
		.amdhsa_exception_fp_ieee_overflow 0
		.amdhsa_exception_fp_ieee_underflow 0
		.amdhsa_exception_fp_ieee_inexact 0
		.amdhsa_exception_int_div_zero 0
	.end_amdhsa_kernel
	.section	.text._ZN7rocprim17ROCPRIM_400000_NS6detail17trampoline_kernelINS0_14default_configENS1_36segmented_radix_sort_config_selectorIslEEZNS1_25segmented_radix_sort_implIS3_Lb1EPKsPsPKlPlN2at6native12_GLOBAL__N_18offset_tEEE10hipError_tPvRmT1_PNSt15iterator_traitsISK_E10value_typeET2_T3_PNSL_ISQ_E10value_typeET4_jRbjT5_SW_jjP12ihipStream_tbEUlT_E0_NS1_11comp_targetILNS1_3genE8ELNS1_11target_archE1030ELNS1_3gpuE2ELNS1_3repE0EEENS1_60segmented_radix_sort_warp_sort_medium_config_static_selectorELNS0_4arch9wavefront6targetE0EEEvSK_,"axG",@progbits,_ZN7rocprim17ROCPRIM_400000_NS6detail17trampoline_kernelINS0_14default_configENS1_36segmented_radix_sort_config_selectorIslEEZNS1_25segmented_radix_sort_implIS3_Lb1EPKsPsPKlPlN2at6native12_GLOBAL__N_18offset_tEEE10hipError_tPvRmT1_PNSt15iterator_traitsISK_E10value_typeET2_T3_PNSL_ISQ_E10value_typeET4_jRbjT5_SW_jjP12ihipStream_tbEUlT_E0_NS1_11comp_targetILNS1_3genE8ELNS1_11target_archE1030ELNS1_3gpuE2ELNS1_3repE0EEENS1_60segmented_radix_sort_warp_sort_medium_config_static_selectorELNS0_4arch9wavefront6targetE0EEEvSK_,comdat
.Lfunc_end924:
	.size	_ZN7rocprim17ROCPRIM_400000_NS6detail17trampoline_kernelINS0_14default_configENS1_36segmented_radix_sort_config_selectorIslEEZNS1_25segmented_radix_sort_implIS3_Lb1EPKsPsPKlPlN2at6native12_GLOBAL__N_18offset_tEEE10hipError_tPvRmT1_PNSt15iterator_traitsISK_E10value_typeET2_T3_PNSL_ISQ_E10value_typeET4_jRbjT5_SW_jjP12ihipStream_tbEUlT_E0_NS1_11comp_targetILNS1_3genE8ELNS1_11target_archE1030ELNS1_3gpuE2ELNS1_3repE0EEENS1_60segmented_radix_sort_warp_sort_medium_config_static_selectorELNS0_4arch9wavefront6targetE0EEEvSK_, .Lfunc_end924-_ZN7rocprim17ROCPRIM_400000_NS6detail17trampoline_kernelINS0_14default_configENS1_36segmented_radix_sort_config_selectorIslEEZNS1_25segmented_radix_sort_implIS3_Lb1EPKsPsPKlPlN2at6native12_GLOBAL__N_18offset_tEEE10hipError_tPvRmT1_PNSt15iterator_traitsISK_E10value_typeET2_T3_PNSL_ISQ_E10value_typeET4_jRbjT5_SW_jjP12ihipStream_tbEUlT_E0_NS1_11comp_targetILNS1_3genE8ELNS1_11target_archE1030ELNS1_3gpuE2ELNS1_3repE0EEENS1_60segmented_radix_sort_warp_sort_medium_config_static_selectorELNS0_4arch9wavefront6targetE0EEEvSK_
                                        ; -- End function
	.set _ZN7rocprim17ROCPRIM_400000_NS6detail17trampoline_kernelINS0_14default_configENS1_36segmented_radix_sort_config_selectorIslEEZNS1_25segmented_radix_sort_implIS3_Lb1EPKsPsPKlPlN2at6native12_GLOBAL__N_18offset_tEEE10hipError_tPvRmT1_PNSt15iterator_traitsISK_E10value_typeET2_T3_PNSL_ISQ_E10value_typeET4_jRbjT5_SW_jjP12ihipStream_tbEUlT_E0_NS1_11comp_targetILNS1_3genE8ELNS1_11target_archE1030ELNS1_3gpuE2ELNS1_3repE0EEENS1_60segmented_radix_sort_warp_sort_medium_config_static_selectorELNS0_4arch9wavefront6targetE0EEEvSK_.num_vgpr, max(45, .L_ZN7rocprim17ROCPRIM_400000_NS6detail26segmented_warp_sort_helperINS1_20WarpSortHelperConfigILj32ELj4ELj256EEEslLi256ELb1EvE4sortIPKsPsPKlPlEEvT_T0_T1_T2_jjjjRNS5_12storage_typeE.num_vgpr)
	.set _ZN7rocprim17ROCPRIM_400000_NS6detail17trampoline_kernelINS0_14default_configENS1_36segmented_radix_sort_config_selectorIslEEZNS1_25segmented_radix_sort_implIS3_Lb1EPKsPsPKlPlN2at6native12_GLOBAL__N_18offset_tEEE10hipError_tPvRmT1_PNSt15iterator_traitsISK_E10value_typeET2_T3_PNSL_ISQ_E10value_typeET4_jRbjT5_SW_jjP12ihipStream_tbEUlT_E0_NS1_11comp_targetILNS1_3genE8ELNS1_11target_archE1030ELNS1_3gpuE2ELNS1_3repE0EEENS1_60segmented_radix_sort_warp_sort_medium_config_static_selectorELNS0_4arch9wavefront6targetE0EEEvSK_.num_agpr, max(0, .L_ZN7rocprim17ROCPRIM_400000_NS6detail26segmented_warp_sort_helperINS1_20WarpSortHelperConfigILj32ELj4ELj256EEEslLi256ELb1EvE4sortIPKsPsPKlPlEEvT_T0_T1_T2_jjjjRNS5_12storage_typeE.num_agpr)
	.set _ZN7rocprim17ROCPRIM_400000_NS6detail17trampoline_kernelINS0_14default_configENS1_36segmented_radix_sort_config_selectorIslEEZNS1_25segmented_radix_sort_implIS3_Lb1EPKsPsPKlPlN2at6native12_GLOBAL__N_18offset_tEEE10hipError_tPvRmT1_PNSt15iterator_traitsISK_E10value_typeET2_T3_PNSL_ISQ_E10value_typeET4_jRbjT5_SW_jjP12ihipStream_tbEUlT_E0_NS1_11comp_targetILNS1_3genE8ELNS1_11target_archE1030ELNS1_3gpuE2ELNS1_3repE0EEENS1_60segmented_radix_sort_warp_sort_medium_config_static_selectorELNS0_4arch9wavefront6targetE0EEEvSK_.numbered_sgpr, max(40, .L_ZN7rocprim17ROCPRIM_400000_NS6detail26segmented_warp_sort_helperINS1_20WarpSortHelperConfigILj32ELj4ELj256EEEslLi256ELb1EvE4sortIPKsPsPKlPlEEvT_T0_T1_T2_jjjjRNS5_12storage_typeE.numbered_sgpr)
	.set _ZN7rocprim17ROCPRIM_400000_NS6detail17trampoline_kernelINS0_14default_configENS1_36segmented_radix_sort_config_selectorIslEEZNS1_25segmented_radix_sort_implIS3_Lb1EPKsPsPKlPlN2at6native12_GLOBAL__N_18offset_tEEE10hipError_tPvRmT1_PNSt15iterator_traitsISK_E10value_typeET2_T3_PNSL_ISQ_E10value_typeET4_jRbjT5_SW_jjP12ihipStream_tbEUlT_E0_NS1_11comp_targetILNS1_3genE8ELNS1_11target_archE1030ELNS1_3gpuE2ELNS1_3repE0EEENS1_60segmented_radix_sort_warp_sort_medium_config_static_selectorELNS0_4arch9wavefront6targetE0EEEvSK_.num_named_barrier, max(0, .L_ZN7rocprim17ROCPRIM_400000_NS6detail26segmented_warp_sort_helperINS1_20WarpSortHelperConfigILj32ELj4ELj256EEEslLi256ELb1EvE4sortIPKsPsPKlPlEEvT_T0_T1_T2_jjjjRNS5_12storage_typeE.num_named_barrier)
	.set _ZN7rocprim17ROCPRIM_400000_NS6detail17trampoline_kernelINS0_14default_configENS1_36segmented_radix_sort_config_selectorIslEEZNS1_25segmented_radix_sort_implIS3_Lb1EPKsPsPKlPlN2at6native12_GLOBAL__N_18offset_tEEE10hipError_tPvRmT1_PNSt15iterator_traitsISK_E10value_typeET2_T3_PNSL_ISQ_E10value_typeET4_jRbjT5_SW_jjP12ihipStream_tbEUlT_E0_NS1_11comp_targetILNS1_3genE8ELNS1_11target_archE1030ELNS1_3gpuE2ELNS1_3repE0EEENS1_60segmented_radix_sort_warp_sort_medium_config_static_selectorELNS0_4arch9wavefront6targetE0EEEvSK_.private_seg_size, 0+max(.L_ZN7rocprim17ROCPRIM_400000_NS6detail26segmented_warp_sort_helperINS1_20WarpSortHelperConfigILj32ELj4ELj256EEEslLi256ELb1EvE4sortIPKsPsPKlPlEEvT_T0_T1_T2_jjjjRNS5_12storage_typeE.private_seg_size)
	.set _ZN7rocprim17ROCPRIM_400000_NS6detail17trampoline_kernelINS0_14default_configENS1_36segmented_radix_sort_config_selectorIslEEZNS1_25segmented_radix_sort_implIS3_Lb1EPKsPsPKlPlN2at6native12_GLOBAL__N_18offset_tEEE10hipError_tPvRmT1_PNSt15iterator_traitsISK_E10value_typeET2_T3_PNSL_ISQ_E10value_typeET4_jRbjT5_SW_jjP12ihipStream_tbEUlT_E0_NS1_11comp_targetILNS1_3genE8ELNS1_11target_archE1030ELNS1_3gpuE2ELNS1_3repE0EEENS1_60segmented_radix_sort_warp_sort_medium_config_static_selectorELNS0_4arch9wavefront6targetE0EEEvSK_.uses_vcc, or(1, .L_ZN7rocprim17ROCPRIM_400000_NS6detail26segmented_warp_sort_helperINS1_20WarpSortHelperConfigILj32ELj4ELj256EEEslLi256ELb1EvE4sortIPKsPsPKlPlEEvT_T0_T1_T2_jjjjRNS5_12storage_typeE.uses_vcc)
	.set _ZN7rocprim17ROCPRIM_400000_NS6detail17trampoline_kernelINS0_14default_configENS1_36segmented_radix_sort_config_selectorIslEEZNS1_25segmented_radix_sort_implIS3_Lb1EPKsPsPKlPlN2at6native12_GLOBAL__N_18offset_tEEE10hipError_tPvRmT1_PNSt15iterator_traitsISK_E10value_typeET2_T3_PNSL_ISQ_E10value_typeET4_jRbjT5_SW_jjP12ihipStream_tbEUlT_E0_NS1_11comp_targetILNS1_3genE8ELNS1_11target_archE1030ELNS1_3gpuE2ELNS1_3repE0EEENS1_60segmented_radix_sort_warp_sort_medium_config_static_selectorELNS0_4arch9wavefront6targetE0EEEvSK_.uses_flat_scratch, or(0, .L_ZN7rocprim17ROCPRIM_400000_NS6detail26segmented_warp_sort_helperINS1_20WarpSortHelperConfigILj32ELj4ELj256EEEslLi256ELb1EvE4sortIPKsPsPKlPlEEvT_T0_T1_T2_jjjjRNS5_12storage_typeE.uses_flat_scratch)
	.set _ZN7rocprim17ROCPRIM_400000_NS6detail17trampoline_kernelINS0_14default_configENS1_36segmented_radix_sort_config_selectorIslEEZNS1_25segmented_radix_sort_implIS3_Lb1EPKsPsPKlPlN2at6native12_GLOBAL__N_18offset_tEEE10hipError_tPvRmT1_PNSt15iterator_traitsISK_E10value_typeET2_T3_PNSL_ISQ_E10value_typeET4_jRbjT5_SW_jjP12ihipStream_tbEUlT_E0_NS1_11comp_targetILNS1_3genE8ELNS1_11target_archE1030ELNS1_3gpuE2ELNS1_3repE0EEENS1_60segmented_radix_sort_warp_sort_medium_config_static_selectorELNS0_4arch9wavefront6targetE0EEEvSK_.has_dyn_sized_stack, or(0, .L_ZN7rocprim17ROCPRIM_400000_NS6detail26segmented_warp_sort_helperINS1_20WarpSortHelperConfigILj32ELj4ELj256EEEslLi256ELb1EvE4sortIPKsPsPKlPlEEvT_T0_T1_T2_jjjjRNS5_12storage_typeE.has_dyn_sized_stack)
	.set _ZN7rocprim17ROCPRIM_400000_NS6detail17trampoline_kernelINS0_14default_configENS1_36segmented_radix_sort_config_selectorIslEEZNS1_25segmented_radix_sort_implIS3_Lb1EPKsPsPKlPlN2at6native12_GLOBAL__N_18offset_tEEE10hipError_tPvRmT1_PNSt15iterator_traitsISK_E10value_typeET2_T3_PNSL_ISQ_E10value_typeET4_jRbjT5_SW_jjP12ihipStream_tbEUlT_E0_NS1_11comp_targetILNS1_3genE8ELNS1_11target_archE1030ELNS1_3gpuE2ELNS1_3repE0EEENS1_60segmented_radix_sort_warp_sort_medium_config_static_selectorELNS0_4arch9wavefront6targetE0EEEvSK_.has_recursion, or(0, .L_ZN7rocprim17ROCPRIM_400000_NS6detail26segmented_warp_sort_helperINS1_20WarpSortHelperConfigILj32ELj4ELj256EEEslLi256ELb1EvE4sortIPKsPsPKlPlEEvT_T0_T1_T2_jjjjRNS5_12storage_typeE.has_recursion)
	.set _ZN7rocprim17ROCPRIM_400000_NS6detail17trampoline_kernelINS0_14default_configENS1_36segmented_radix_sort_config_selectorIslEEZNS1_25segmented_radix_sort_implIS3_Lb1EPKsPsPKlPlN2at6native12_GLOBAL__N_18offset_tEEE10hipError_tPvRmT1_PNSt15iterator_traitsISK_E10value_typeET2_T3_PNSL_ISQ_E10value_typeET4_jRbjT5_SW_jjP12ihipStream_tbEUlT_E0_NS1_11comp_targetILNS1_3genE8ELNS1_11target_archE1030ELNS1_3gpuE2ELNS1_3repE0EEENS1_60segmented_radix_sort_warp_sort_medium_config_static_selectorELNS0_4arch9wavefront6targetE0EEEvSK_.has_indirect_call, or(0, .L_ZN7rocprim17ROCPRIM_400000_NS6detail26segmented_warp_sort_helperINS1_20WarpSortHelperConfigILj32ELj4ELj256EEEslLi256ELb1EvE4sortIPKsPsPKlPlEEvT_T0_T1_T2_jjjjRNS5_12storage_typeE.has_indirect_call)
	.section	.AMDGPU.csdata,"",@progbits
; Kernel info:
; codeLenInByte = 524
; TotalNumSgprs: 42
; NumVgprs: 54
; ScratchSize: 0
; MemoryBound: 0
; FloatMode: 240
; IeeeMode: 1
; LDSByteSize: 10240 bytes/workgroup (compile time only)
; SGPRBlocks: 0
; VGPRBlocks: 6
; NumSGPRsForWavesPerEU: 42
; NumVGPRsForWavesPerEU: 54
; Occupancy: 16
; WaveLimiterHint : 0
; COMPUTE_PGM_RSRC2:SCRATCH_EN: 0
; COMPUTE_PGM_RSRC2:USER_SGPR: 6
; COMPUTE_PGM_RSRC2:TRAP_HANDLER: 0
; COMPUTE_PGM_RSRC2:TGID_X_EN: 1
; COMPUTE_PGM_RSRC2:TGID_Y_EN: 1
; COMPUTE_PGM_RSRC2:TGID_Z_EN: 0
; COMPUTE_PGM_RSRC2:TIDIG_COMP_CNT: 2
	.section	.text._ZN7rocprim17ROCPRIM_400000_NS6detail17trampoline_kernelINS0_14default_configENS1_36segmented_radix_sort_config_selectorIslEEZNS1_25segmented_radix_sort_implIS3_Lb1EPKsPsPKlPlN2at6native12_GLOBAL__N_18offset_tEEE10hipError_tPvRmT1_PNSt15iterator_traitsISK_E10value_typeET2_T3_PNSL_ISQ_E10value_typeET4_jRbjT5_SW_jjP12ihipStream_tbEUlT_E1_NS1_11comp_targetILNS1_3genE0ELNS1_11target_archE4294967295ELNS1_3gpuE0ELNS1_3repE0EEENS1_59segmented_radix_sort_warp_sort_small_config_static_selectorELNS0_4arch9wavefront6targetE0EEEvSK_,"axG",@progbits,_ZN7rocprim17ROCPRIM_400000_NS6detail17trampoline_kernelINS0_14default_configENS1_36segmented_radix_sort_config_selectorIslEEZNS1_25segmented_radix_sort_implIS3_Lb1EPKsPsPKlPlN2at6native12_GLOBAL__N_18offset_tEEE10hipError_tPvRmT1_PNSt15iterator_traitsISK_E10value_typeET2_T3_PNSL_ISQ_E10value_typeET4_jRbjT5_SW_jjP12ihipStream_tbEUlT_E1_NS1_11comp_targetILNS1_3genE0ELNS1_11target_archE4294967295ELNS1_3gpuE0ELNS1_3repE0EEENS1_59segmented_radix_sort_warp_sort_small_config_static_selectorELNS0_4arch9wavefront6targetE0EEEvSK_,comdat
	.globl	_ZN7rocprim17ROCPRIM_400000_NS6detail17trampoline_kernelINS0_14default_configENS1_36segmented_radix_sort_config_selectorIslEEZNS1_25segmented_radix_sort_implIS3_Lb1EPKsPsPKlPlN2at6native12_GLOBAL__N_18offset_tEEE10hipError_tPvRmT1_PNSt15iterator_traitsISK_E10value_typeET2_T3_PNSL_ISQ_E10value_typeET4_jRbjT5_SW_jjP12ihipStream_tbEUlT_E1_NS1_11comp_targetILNS1_3genE0ELNS1_11target_archE4294967295ELNS1_3gpuE0ELNS1_3repE0EEENS1_59segmented_radix_sort_warp_sort_small_config_static_selectorELNS0_4arch9wavefront6targetE0EEEvSK_ ; -- Begin function _ZN7rocprim17ROCPRIM_400000_NS6detail17trampoline_kernelINS0_14default_configENS1_36segmented_radix_sort_config_selectorIslEEZNS1_25segmented_radix_sort_implIS3_Lb1EPKsPsPKlPlN2at6native12_GLOBAL__N_18offset_tEEE10hipError_tPvRmT1_PNSt15iterator_traitsISK_E10value_typeET2_T3_PNSL_ISQ_E10value_typeET4_jRbjT5_SW_jjP12ihipStream_tbEUlT_E1_NS1_11comp_targetILNS1_3genE0ELNS1_11target_archE4294967295ELNS1_3gpuE0ELNS1_3repE0EEENS1_59segmented_radix_sort_warp_sort_small_config_static_selectorELNS0_4arch9wavefront6targetE0EEEvSK_
	.p2align	8
	.type	_ZN7rocprim17ROCPRIM_400000_NS6detail17trampoline_kernelINS0_14default_configENS1_36segmented_radix_sort_config_selectorIslEEZNS1_25segmented_radix_sort_implIS3_Lb1EPKsPsPKlPlN2at6native12_GLOBAL__N_18offset_tEEE10hipError_tPvRmT1_PNSt15iterator_traitsISK_E10value_typeET2_T3_PNSL_ISQ_E10value_typeET4_jRbjT5_SW_jjP12ihipStream_tbEUlT_E1_NS1_11comp_targetILNS1_3genE0ELNS1_11target_archE4294967295ELNS1_3gpuE0ELNS1_3repE0EEENS1_59segmented_radix_sort_warp_sort_small_config_static_selectorELNS0_4arch9wavefront6targetE0EEEvSK_,@function
_ZN7rocprim17ROCPRIM_400000_NS6detail17trampoline_kernelINS0_14default_configENS1_36segmented_radix_sort_config_selectorIslEEZNS1_25segmented_radix_sort_implIS3_Lb1EPKsPsPKlPlN2at6native12_GLOBAL__N_18offset_tEEE10hipError_tPvRmT1_PNSt15iterator_traitsISK_E10value_typeET2_T3_PNSL_ISQ_E10value_typeET4_jRbjT5_SW_jjP12ihipStream_tbEUlT_E1_NS1_11comp_targetILNS1_3genE0ELNS1_11target_archE4294967295ELNS1_3gpuE0ELNS1_3repE0EEENS1_59segmented_radix_sort_warp_sort_small_config_static_selectorELNS0_4arch9wavefront6targetE0EEEvSK_: ; @_ZN7rocprim17ROCPRIM_400000_NS6detail17trampoline_kernelINS0_14default_configENS1_36segmented_radix_sort_config_selectorIslEEZNS1_25segmented_radix_sort_implIS3_Lb1EPKsPsPKlPlN2at6native12_GLOBAL__N_18offset_tEEE10hipError_tPvRmT1_PNSt15iterator_traitsISK_E10value_typeET2_T3_PNSL_ISQ_E10value_typeET4_jRbjT5_SW_jjP12ihipStream_tbEUlT_E1_NS1_11comp_targetILNS1_3genE0ELNS1_11target_archE4294967295ELNS1_3gpuE0ELNS1_3repE0EEENS1_59segmented_radix_sort_warp_sort_small_config_static_selectorELNS0_4arch9wavefront6targetE0EEEvSK_
; %bb.0:
	.section	.rodata,"a",@progbits
	.p2align	6, 0x0
	.amdhsa_kernel _ZN7rocprim17ROCPRIM_400000_NS6detail17trampoline_kernelINS0_14default_configENS1_36segmented_radix_sort_config_selectorIslEEZNS1_25segmented_radix_sort_implIS3_Lb1EPKsPsPKlPlN2at6native12_GLOBAL__N_18offset_tEEE10hipError_tPvRmT1_PNSt15iterator_traitsISK_E10value_typeET2_T3_PNSL_ISQ_E10value_typeET4_jRbjT5_SW_jjP12ihipStream_tbEUlT_E1_NS1_11comp_targetILNS1_3genE0ELNS1_11target_archE4294967295ELNS1_3gpuE0ELNS1_3repE0EEENS1_59segmented_radix_sort_warp_sort_small_config_static_selectorELNS0_4arch9wavefront6targetE0EEEvSK_
		.amdhsa_group_segment_fixed_size 0
		.amdhsa_private_segment_fixed_size 0
		.amdhsa_kernarg_size 88
		.amdhsa_user_sgpr_count 6
		.amdhsa_user_sgpr_private_segment_buffer 1
		.amdhsa_user_sgpr_dispatch_ptr 0
		.amdhsa_user_sgpr_queue_ptr 0
		.amdhsa_user_sgpr_kernarg_segment_ptr 1
		.amdhsa_user_sgpr_dispatch_id 0
		.amdhsa_user_sgpr_flat_scratch_init 0
		.amdhsa_user_sgpr_private_segment_size 0
		.amdhsa_wavefront_size32 1
		.amdhsa_uses_dynamic_stack 0
		.amdhsa_system_sgpr_private_segment_wavefront_offset 0
		.amdhsa_system_sgpr_workgroup_id_x 1
		.amdhsa_system_sgpr_workgroup_id_y 0
		.amdhsa_system_sgpr_workgroup_id_z 0
		.amdhsa_system_sgpr_workgroup_info 0
		.amdhsa_system_vgpr_workitem_id 0
		.amdhsa_next_free_vgpr 1
		.amdhsa_next_free_sgpr 1
		.amdhsa_reserve_vcc 0
		.amdhsa_reserve_flat_scratch 0
		.amdhsa_float_round_mode_32 0
		.amdhsa_float_round_mode_16_64 0
		.amdhsa_float_denorm_mode_32 3
		.amdhsa_float_denorm_mode_16_64 3
		.amdhsa_dx10_clamp 1
		.amdhsa_ieee_mode 1
		.amdhsa_fp16_overflow 0
		.amdhsa_workgroup_processor_mode 1
		.amdhsa_memory_ordered 1
		.amdhsa_forward_progress 1
		.amdhsa_shared_vgpr_count 0
		.amdhsa_exception_fp_ieee_invalid_op 0
		.amdhsa_exception_fp_denorm_src 0
		.amdhsa_exception_fp_ieee_div_zero 0
		.amdhsa_exception_fp_ieee_overflow 0
		.amdhsa_exception_fp_ieee_underflow 0
		.amdhsa_exception_fp_ieee_inexact 0
		.amdhsa_exception_int_div_zero 0
	.end_amdhsa_kernel
	.section	.text._ZN7rocprim17ROCPRIM_400000_NS6detail17trampoline_kernelINS0_14default_configENS1_36segmented_radix_sort_config_selectorIslEEZNS1_25segmented_radix_sort_implIS3_Lb1EPKsPsPKlPlN2at6native12_GLOBAL__N_18offset_tEEE10hipError_tPvRmT1_PNSt15iterator_traitsISK_E10value_typeET2_T3_PNSL_ISQ_E10value_typeET4_jRbjT5_SW_jjP12ihipStream_tbEUlT_E1_NS1_11comp_targetILNS1_3genE0ELNS1_11target_archE4294967295ELNS1_3gpuE0ELNS1_3repE0EEENS1_59segmented_radix_sort_warp_sort_small_config_static_selectorELNS0_4arch9wavefront6targetE0EEEvSK_,"axG",@progbits,_ZN7rocprim17ROCPRIM_400000_NS6detail17trampoline_kernelINS0_14default_configENS1_36segmented_radix_sort_config_selectorIslEEZNS1_25segmented_radix_sort_implIS3_Lb1EPKsPsPKlPlN2at6native12_GLOBAL__N_18offset_tEEE10hipError_tPvRmT1_PNSt15iterator_traitsISK_E10value_typeET2_T3_PNSL_ISQ_E10value_typeET4_jRbjT5_SW_jjP12ihipStream_tbEUlT_E1_NS1_11comp_targetILNS1_3genE0ELNS1_11target_archE4294967295ELNS1_3gpuE0ELNS1_3repE0EEENS1_59segmented_radix_sort_warp_sort_small_config_static_selectorELNS0_4arch9wavefront6targetE0EEEvSK_,comdat
.Lfunc_end925:
	.size	_ZN7rocprim17ROCPRIM_400000_NS6detail17trampoline_kernelINS0_14default_configENS1_36segmented_radix_sort_config_selectorIslEEZNS1_25segmented_radix_sort_implIS3_Lb1EPKsPsPKlPlN2at6native12_GLOBAL__N_18offset_tEEE10hipError_tPvRmT1_PNSt15iterator_traitsISK_E10value_typeET2_T3_PNSL_ISQ_E10value_typeET4_jRbjT5_SW_jjP12ihipStream_tbEUlT_E1_NS1_11comp_targetILNS1_3genE0ELNS1_11target_archE4294967295ELNS1_3gpuE0ELNS1_3repE0EEENS1_59segmented_radix_sort_warp_sort_small_config_static_selectorELNS0_4arch9wavefront6targetE0EEEvSK_, .Lfunc_end925-_ZN7rocprim17ROCPRIM_400000_NS6detail17trampoline_kernelINS0_14default_configENS1_36segmented_radix_sort_config_selectorIslEEZNS1_25segmented_radix_sort_implIS3_Lb1EPKsPsPKlPlN2at6native12_GLOBAL__N_18offset_tEEE10hipError_tPvRmT1_PNSt15iterator_traitsISK_E10value_typeET2_T3_PNSL_ISQ_E10value_typeET4_jRbjT5_SW_jjP12ihipStream_tbEUlT_E1_NS1_11comp_targetILNS1_3genE0ELNS1_11target_archE4294967295ELNS1_3gpuE0ELNS1_3repE0EEENS1_59segmented_radix_sort_warp_sort_small_config_static_selectorELNS0_4arch9wavefront6targetE0EEEvSK_
                                        ; -- End function
	.set _ZN7rocprim17ROCPRIM_400000_NS6detail17trampoline_kernelINS0_14default_configENS1_36segmented_radix_sort_config_selectorIslEEZNS1_25segmented_radix_sort_implIS3_Lb1EPKsPsPKlPlN2at6native12_GLOBAL__N_18offset_tEEE10hipError_tPvRmT1_PNSt15iterator_traitsISK_E10value_typeET2_T3_PNSL_ISQ_E10value_typeET4_jRbjT5_SW_jjP12ihipStream_tbEUlT_E1_NS1_11comp_targetILNS1_3genE0ELNS1_11target_archE4294967295ELNS1_3gpuE0ELNS1_3repE0EEENS1_59segmented_radix_sort_warp_sort_small_config_static_selectorELNS0_4arch9wavefront6targetE0EEEvSK_.num_vgpr, 0
	.set _ZN7rocprim17ROCPRIM_400000_NS6detail17trampoline_kernelINS0_14default_configENS1_36segmented_radix_sort_config_selectorIslEEZNS1_25segmented_radix_sort_implIS3_Lb1EPKsPsPKlPlN2at6native12_GLOBAL__N_18offset_tEEE10hipError_tPvRmT1_PNSt15iterator_traitsISK_E10value_typeET2_T3_PNSL_ISQ_E10value_typeET4_jRbjT5_SW_jjP12ihipStream_tbEUlT_E1_NS1_11comp_targetILNS1_3genE0ELNS1_11target_archE4294967295ELNS1_3gpuE0ELNS1_3repE0EEENS1_59segmented_radix_sort_warp_sort_small_config_static_selectorELNS0_4arch9wavefront6targetE0EEEvSK_.num_agpr, 0
	.set _ZN7rocprim17ROCPRIM_400000_NS6detail17trampoline_kernelINS0_14default_configENS1_36segmented_radix_sort_config_selectorIslEEZNS1_25segmented_radix_sort_implIS3_Lb1EPKsPsPKlPlN2at6native12_GLOBAL__N_18offset_tEEE10hipError_tPvRmT1_PNSt15iterator_traitsISK_E10value_typeET2_T3_PNSL_ISQ_E10value_typeET4_jRbjT5_SW_jjP12ihipStream_tbEUlT_E1_NS1_11comp_targetILNS1_3genE0ELNS1_11target_archE4294967295ELNS1_3gpuE0ELNS1_3repE0EEENS1_59segmented_radix_sort_warp_sort_small_config_static_selectorELNS0_4arch9wavefront6targetE0EEEvSK_.numbered_sgpr, 0
	.set _ZN7rocprim17ROCPRIM_400000_NS6detail17trampoline_kernelINS0_14default_configENS1_36segmented_radix_sort_config_selectorIslEEZNS1_25segmented_radix_sort_implIS3_Lb1EPKsPsPKlPlN2at6native12_GLOBAL__N_18offset_tEEE10hipError_tPvRmT1_PNSt15iterator_traitsISK_E10value_typeET2_T3_PNSL_ISQ_E10value_typeET4_jRbjT5_SW_jjP12ihipStream_tbEUlT_E1_NS1_11comp_targetILNS1_3genE0ELNS1_11target_archE4294967295ELNS1_3gpuE0ELNS1_3repE0EEENS1_59segmented_radix_sort_warp_sort_small_config_static_selectorELNS0_4arch9wavefront6targetE0EEEvSK_.num_named_barrier, 0
	.set _ZN7rocprim17ROCPRIM_400000_NS6detail17trampoline_kernelINS0_14default_configENS1_36segmented_radix_sort_config_selectorIslEEZNS1_25segmented_radix_sort_implIS3_Lb1EPKsPsPKlPlN2at6native12_GLOBAL__N_18offset_tEEE10hipError_tPvRmT1_PNSt15iterator_traitsISK_E10value_typeET2_T3_PNSL_ISQ_E10value_typeET4_jRbjT5_SW_jjP12ihipStream_tbEUlT_E1_NS1_11comp_targetILNS1_3genE0ELNS1_11target_archE4294967295ELNS1_3gpuE0ELNS1_3repE0EEENS1_59segmented_radix_sort_warp_sort_small_config_static_selectorELNS0_4arch9wavefront6targetE0EEEvSK_.private_seg_size, 0
	.set _ZN7rocprim17ROCPRIM_400000_NS6detail17trampoline_kernelINS0_14default_configENS1_36segmented_radix_sort_config_selectorIslEEZNS1_25segmented_radix_sort_implIS3_Lb1EPKsPsPKlPlN2at6native12_GLOBAL__N_18offset_tEEE10hipError_tPvRmT1_PNSt15iterator_traitsISK_E10value_typeET2_T3_PNSL_ISQ_E10value_typeET4_jRbjT5_SW_jjP12ihipStream_tbEUlT_E1_NS1_11comp_targetILNS1_3genE0ELNS1_11target_archE4294967295ELNS1_3gpuE0ELNS1_3repE0EEENS1_59segmented_radix_sort_warp_sort_small_config_static_selectorELNS0_4arch9wavefront6targetE0EEEvSK_.uses_vcc, 0
	.set _ZN7rocprim17ROCPRIM_400000_NS6detail17trampoline_kernelINS0_14default_configENS1_36segmented_radix_sort_config_selectorIslEEZNS1_25segmented_radix_sort_implIS3_Lb1EPKsPsPKlPlN2at6native12_GLOBAL__N_18offset_tEEE10hipError_tPvRmT1_PNSt15iterator_traitsISK_E10value_typeET2_T3_PNSL_ISQ_E10value_typeET4_jRbjT5_SW_jjP12ihipStream_tbEUlT_E1_NS1_11comp_targetILNS1_3genE0ELNS1_11target_archE4294967295ELNS1_3gpuE0ELNS1_3repE0EEENS1_59segmented_radix_sort_warp_sort_small_config_static_selectorELNS0_4arch9wavefront6targetE0EEEvSK_.uses_flat_scratch, 0
	.set _ZN7rocprim17ROCPRIM_400000_NS6detail17trampoline_kernelINS0_14default_configENS1_36segmented_radix_sort_config_selectorIslEEZNS1_25segmented_radix_sort_implIS3_Lb1EPKsPsPKlPlN2at6native12_GLOBAL__N_18offset_tEEE10hipError_tPvRmT1_PNSt15iterator_traitsISK_E10value_typeET2_T3_PNSL_ISQ_E10value_typeET4_jRbjT5_SW_jjP12ihipStream_tbEUlT_E1_NS1_11comp_targetILNS1_3genE0ELNS1_11target_archE4294967295ELNS1_3gpuE0ELNS1_3repE0EEENS1_59segmented_radix_sort_warp_sort_small_config_static_selectorELNS0_4arch9wavefront6targetE0EEEvSK_.has_dyn_sized_stack, 0
	.set _ZN7rocprim17ROCPRIM_400000_NS6detail17trampoline_kernelINS0_14default_configENS1_36segmented_radix_sort_config_selectorIslEEZNS1_25segmented_radix_sort_implIS3_Lb1EPKsPsPKlPlN2at6native12_GLOBAL__N_18offset_tEEE10hipError_tPvRmT1_PNSt15iterator_traitsISK_E10value_typeET2_T3_PNSL_ISQ_E10value_typeET4_jRbjT5_SW_jjP12ihipStream_tbEUlT_E1_NS1_11comp_targetILNS1_3genE0ELNS1_11target_archE4294967295ELNS1_3gpuE0ELNS1_3repE0EEENS1_59segmented_radix_sort_warp_sort_small_config_static_selectorELNS0_4arch9wavefront6targetE0EEEvSK_.has_recursion, 0
	.set _ZN7rocprim17ROCPRIM_400000_NS6detail17trampoline_kernelINS0_14default_configENS1_36segmented_radix_sort_config_selectorIslEEZNS1_25segmented_radix_sort_implIS3_Lb1EPKsPsPKlPlN2at6native12_GLOBAL__N_18offset_tEEE10hipError_tPvRmT1_PNSt15iterator_traitsISK_E10value_typeET2_T3_PNSL_ISQ_E10value_typeET4_jRbjT5_SW_jjP12ihipStream_tbEUlT_E1_NS1_11comp_targetILNS1_3genE0ELNS1_11target_archE4294967295ELNS1_3gpuE0ELNS1_3repE0EEENS1_59segmented_radix_sort_warp_sort_small_config_static_selectorELNS0_4arch9wavefront6targetE0EEEvSK_.has_indirect_call, 0
	.section	.AMDGPU.csdata,"",@progbits
; Kernel info:
; codeLenInByte = 0
; TotalNumSgprs: 0
; NumVgprs: 0
; ScratchSize: 0
; MemoryBound: 0
; FloatMode: 240
; IeeeMode: 1
; LDSByteSize: 0 bytes/workgroup (compile time only)
; SGPRBlocks: 0
; VGPRBlocks: 0
; NumSGPRsForWavesPerEU: 1
; NumVGPRsForWavesPerEU: 1
; Occupancy: 16
; WaveLimiterHint : 0
; COMPUTE_PGM_RSRC2:SCRATCH_EN: 0
; COMPUTE_PGM_RSRC2:USER_SGPR: 6
; COMPUTE_PGM_RSRC2:TRAP_HANDLER: 0
; COMPUTE_PGM_RSRC2:TGID_X_EN: 1
; COMPUTE_PGM_RSRC2:TGID_Y_EN: 0
; COMPUTE_PGM_RSRC2:TGID_Z_EN: 0
; COMPUTE_PGM_RSRC2:TIDIG_COMP_CNT: 0
	.section	.text._ZN7rocprim17ROCPRIM_400000_NS6detail17trampoline_kernelINS0_14default_configENS1_36segmented_radix_sort_config_selectorIslEEZNS1_25segmented_radix_sort_implIS3_Lb1EPKsPsPKlPlN2at6native12_GLOBAL__N_18offset_tEEE10hipError_tPvRmT1_PNSt15iterator_traitsISK_E10value_typeET2_T3_PNSL_ISQ_E10value_typeET4_jRbjT5_SW_jjP12ihipStream_tbEUlT_E1_NS1_11comp_targetILNS1_3genE5ELNS1_11target_archE942ELNS1_3gpuE9ELNS1_3repE0EEENS1_59segmented_radix_sort_warp_sort_small_config_static_selectorELNS0_4arch9wavefront6targetE0EEEvSK_,"axG",@progbits,_ZN7rocprim17ROCPRIM_400000_NS6detail17trampoline_kernelINS0_14default_configENS1_36segmented_radix_sort_config_selectorIslEEZNS1_25segmented_radix_sort_implIS3_Lb1EPKsPsPKlPlN2at6native12_GLOBAL__N_18offset_tEEE10hipError_tPvRmT1_PNSt15iterator_traitsISK_E10value_typeET2_T3_PNSL_ISQ_E10value_typeET4_jRbjT5_SW_jjP12ihipStream_tbEUlT_E1_NS1_11comp_targetILNS1_3genE5ELNS1_11target_archE942ELNS1_3gpuE9ELNS1_3repE0EEENS1_59segmented_radix_sort_warp_sort_small_config_static_selectorELNS0_4arch9wavefront6targetE0EEEvSK_,comdat
	.globl	_ZN7rocprim17ROCPRIM_400000_NS6detail17trampoline_kernelINS0_14default_configENS1_36segmented_radix_sort_config_selectorIslEEZNS1_25segmented_radix_sort_implIS3_Lb1EPKsPsPKlPlN2at6native12_GLOBAL__N_18offset_tEEE10hipError_tPvRmT1_PNSt15iterator_traitsISK_E10value_typeET2_T3_PNSL_ISQ_E10value_typeET4_jRbjT5_SW_jjP12ihipStream_tbEUlT_E1_NS1_11comp_targetILNS1_3genE5ELNS1_11target_archE942ELNS1_3gpuE9ELNS1_3repE0EEENS1_59segmented_radix_sort_warp_sort_small_config_static_selectorELNS0_4arch9wavefront6targetE0EEEvSK_ ; -- Begin function _ZN7rocprim17ROCPRIM_400000_NS6detail17trampoline_kernelINS0_14default_configENS1_36segmented_radix_sort_config_selectorIslEEZNS1_25segmented_radix_sort_implIS3_Lb1EPKsPsPKlPlN2at6native12_GLOBAL__N_18offset_tEEE10hipError_tPvRmT1_PNSt15iterator_traitsISK_E10value_typeET2_T3_PNSL_ISQ_E10value_typeET4_jRbjT5_SW_jjP12ihipStream_tbEUlT_E1_NS1_11comp_targetILNS1_3genE5ELNS1_11target_archE942ELNS1_3gpuE9ELNS1_3repE0EEENS1_59segmented_radix_sort_warp_sort_small_config_static_selectorELNS0_4arch9wavefront6targetE0EEEvSK_
	.p2align	8
	.type	_ZN7rocprim17ROCPRIM_400000_NS6detail17trampoline_kernelINS0_14default_configENS1_36segmented_radix_sort_config_selectorIslEEZNS1_25segmented_radix_sort_implIS3_Lb1EPKsPsPKlPlN2at6native12_GLOBAL__N_18offset_tEEE10hipError_tPvRmT1_PNSt15iterator_traitsISK_E10value_typeET2_T3_PNSL_ISQ_E10value_typeET4_jRbjT5_SW_jjP12ihipStream_tbEUlT_E1_NS1_11comp_targetILNS1_3genE5ELNS1_11target_archE942ELNS1_3gpuE9ELNS1_3repE0EEENS1_59segmented_radix_sort_warp_sort_small_config_static_selectorELNS0_4arch9wavefront6targetE0EEEvSK_,@function
_ZN7rocprim17ROCPRIM_400000_NS6detail17trampoline_kernelINS0_14default_configENS1_36segmented_radix_sort_config_selectorIslEEZNS1_25segmented_radix_sort_implIS3_Lb1EPKsPsPKlPlN2at6native12_GLOBAL__N_18offset_tEEE10hipError_tPvRmT1_PNSt15iterator_traitsISK_E10value_typeET2_T3_PNSL_ISQ_E10value_typeET4_jRbjT5_SW_jjP12ihipStream_tbEUlT_E1_NS1_11comp_targetILNS1_3genE5ELNS1_11target_archE942ELNS1_3gpuE9ELNS1_3repE0EEENS1_59segmented_radix_sort_warp_sort_small_config_static_selectorELNS0_4arch9wavefront6targetE0EEEvSK_: ; @_ZN7rocprim17ROCPRIM_400000_NS6detail17trampoline_kernelINS0_14default_configENS1_36segmented_radix_sort_config_selectorIslEEZNS1_25segmented_radix_sort_implIS3_Lb1EPKsPsPKlPlN2at6native12_GLOBAL__N_18offset_tEEE10hipError_tPvRmT1_PNSt15iterator_traitsISK_E10value_typeET2_T3_PNSL_ISQ_E10value_typeET4_jRbjT5_SW_jjP12ihipStream_tbEUlT_E1_NS1_11comp_targetILNS1_3genE5ELNS1_11target_archE942ELNS1_3gpuE9ELNS1_3repE0EEENS1_59segmented_radix_sort_warp_sort_small_config_static_selectorELNS0_4arch9wavefront6targetE0EEEvSK_
; %bb.0:
	.section	.rodata,"a",@progbits
	.p2align	6, 0x0
	.amdhsa_kernel _ZN7rocprim17ROCPRIM_400000_NS6detail17trampoline_kernelINS0_14default_configENS1_36segmented_radix_sort_config_selectorIslEEZNS1_25segmented_radix_sort_implIS3_Lb1EPKsPsPKlPlN2at6native12_GLOBAL__N_18offset_tEEE10hipError_tPvRmT1_PNSt15iterator_traitsISK_E10value_typeET2_T3_PNSL_ISQ_E10value_typeET4_jRbjT5_SW_jjP12ihipStream_tbEUlT_E1_NS1_11comp_targetILNS1_3genE5ELNS1_11target_archE942ELNS1_3gpuE9ELNS1_3repE0EEENS1_59segmented_radix_sort_warp_sort_small_config_static_selectorELNS0_4arch9wavefront6targetE0EEEvSK_
		.amdhsa_group_segment_fixed_size 0
		.amdhsa_private_segment_fixed_size 0
		.amdhsa_kernarg_size 88
		.amdhsa_user_sgpr_count 6
		.amdhsa_user_sgpr_private_segment_buffer 1
		.amdhsa_user_sgpr_dispatch_ptr 0
		.amdhsa_user_sgpr_queue_ptr 0
		.amdhsa_user_sgpr_kernarg_segment_ptr 1
		.amdhsa_user_sgpr_dispatch_id 0
		.amdhsa_user_sgpr_flat_scratch_init 0
		.amdhsa_user_sgpr_private_segment_size 0
		.amdhsa_wavefront_size32 1
		.amdhsa_uses_dynamic_stack 0
		.amdhsa_system_sgpr_private_segment_wavefront_offset 0
		.amdhsa_system_sgpr_workgroup_id_x 1
		.amdhsa_system_sgpr_workgroup_id_y 0
		.amdhsa_system_sgpr_workgroup_id_z 0
		.amdhsa_system_sgpr_workgroup_info 0
		.amdhsa_system_vgpr_workitem_id 0
		.amdhsa_next_free_vgpr 1
		.amdhsa_next_free_sgpr 1
		.amdhsa_reserve_vcc 0
		.amdhsa_reserve_flat_scratch 0
		.amdhsa_float_round_mode_32 0
		.amdhsa_float_round_mode_16_64 0
		.amdhsa_float_denorm_mode_32 3
		.amdhsa_float_denorm_mode_16_64 3
		.amdhsa_dx10_clamp 1
		.amdhsa_ieee_mode 1
		.amdhsa_fp16_overflow 0
		.amdhsa_workgroup_processor_mode 1
		.amdhsa_memory_ordered 1
		.amdhsa_forward_progress 1
		.amdhsa_shared_vgpr_count 0
		.amdhsa_exception_fp_ieee_invalid_op 0
		.amdhsa_exception_fp_denorm_src 0
		.amdhsa_exception_fp_ieee_div_zero 0
		.amdhsa_exception_fp_ieee_overflow 0
		.amdhsa_exception_fp_ieee_underflow 0
		.amdhsa_exception_fp_ieee_inexact 0
		.amdhsa_exception_int_div_zero 0
	.end_amdhsa_kernel
	.section	.text._ZN7rocprim17ROCPRIM_400000_NS6detail17trampoline_kernelINS0_14default_configENS1_36segmented_radix_sort_config_selectorIslEEZNS1_25segmented_radix_sort_implIS3_Lb1EPKsPsPKlPlN2at6native12_GLOBAL__N_18offset_tEEE10hipError_tPvRmT1_PNSt15iterator_traitsISK_E10value_typeET2_T3_PNSL_ISQ_E10value_typeET4_jRbjT5_SW_jjP12ihipStream_tbEUlT_E1_NS1_11comp_targetILNS1_3genE5ELNS1_11target_archE942ELNS1_3gpuE9ELNS1_3repE0EEENS1_59segmented_radix_sort_warp_sort_small_config_static_selectorELNS0_4arch9wavefront6targetE0EEEvSK_,"axG",@progbits,_ZN7rocprim17ROCPRIM_400000_NS6detail17trampoline_kernelINS0_14default_configENS1_36segmented_radix_sort_config_selectorIslEEZNS1_25segmented_radix_sort_implIS3_Lb1EPKsPsPKlPlN2at6native12_GLOBAL__N_18offset_tEEE10hipError_tPvRmT1_PNSt15iterator_traitsISK_E10value_typeET2_T3_PNSL_ISQ_E10value_typeET4_jRbjT5_SW_jjP12ihipStream_tbEUlT_E1_NS1_11comp_targetILNS1_3genE5ELNS1_11target_archE942ELNS1_3gpuE9ELNS1_3repE0EEENS1_59segmented_radix_sort_warp_sort_small_config_static_selectorELNS0_4arch9wavefront6targetE0EEEvSK_,comdat
.Lfunc_end926:
	.size	_ZN7rocprim17ROCPRIM_400000_NS6detail17trampoline_kernelINS0_14default_configENS1_36segmented_radix_sort_config_selectorIslEEZNS1_25segmented_radix_sort_implIS3_Lb1EPKsPsPKlPlN2at6native12_GLOBAL__N_18offset_tEEE10hipError_tPvRmT1_PNSt15iterator_traitsISK_E10value_typeET2_T3_PNSL_ISQ_E10value_typeET4_jRbjT5_SW_jjP12ihipStream_tbEUlT_E1_NS1_11comp_targetILNS1_3genE5ELNS1_11target_archE942ELNS1_3gpuE9ELNS1_3repE0EEENS1_59segmented_radix_sort_warp_sort_small_config_static_selectorELNS0_4arch9wavefront6targetE0EEEvSK_, .Lfunc_end926-_ZN7rocprim17ROCPRIM_400000_NS6detail17trampoline_kernelINS0_14default_configENS1_36segmented_radix_sort_config_selectorIslEEZNS1_25segmented_radix_sort_implIS3_Lb1EPKsPsPKlPlN2at6native12_GLOBAL__N_18offset_tEEE10hipError_tPvRmT1_PNSt15iterator_traitsISK_E10value_typeET2_T3_PNSL_ISQ_E10value_typeET4_jRbjT5_SW_jjP12ihipStream_tbEUlT_E1_NS1_11comp_targetILNS1_3genE5ELNS1_11target_archE942ELNS1_3gpuE9ELNS1_3repE0EEENS1_59segmented_radix_sort_warp_sort_small_config_static_selectorELNS0_4arch9wavefront6targetE0EEEvSK_
                                        ; -- End function
	.set _ZN7rocprim17ROCPRIM_400000_NS6detail17trampoline_kernelINS0_14default_configENS1_36segmented_radix_sort_config_selectorIslEEZNS1_25segmented_radix_sort_implIS3_Lb1EPKsPsPKlPlN2at6native12_GLOBAL__N_18offset_tEEE10hipError_tPvRmT1_PNSt15iterator_traitsISK_E10value_typeET2_T3_PNSL_ISQ_E10value_typeET4_jRbjT5_SW_jjP12ihipStream_tbEUlT_E1_NS1_11comp_targetILNS1_3genE5ELNS1_11target_archE942ELNS1_3gpuE9ELNS1_3repE0EEENS1_59segmented_radix_sort_warp_sort_small_config_static_selectorELNS0_4arch9wavefront6targetE0EEEvSK_.num_vgpr, 0
	.set _ZN7rocprim17ROCPRIM_400000_NS6detail17trampoline_kernelINS0_14default_configENS1_36segmented_radix_sort_config_selectorIslEEZNS1_25segmented_radix_sort_implIS3_Lb1EPKsPsPKlPlN2at6native12_GLOBAL__N_18offset_tEEE10hipError_tPvRmT1_PNSt15iterator_traitsISK_E10value_typeET2_T3_PNSL_ISQ_E10value_typeET4_jRbjT5_SW_jjP12ihipStream_tbEUlT_E1_NS1_11comp_targetILNS1_3genE5ELNS1_11target_archE942ELNS1_3gpuE9ELNS1_3repE0EEENS1_59segmented_radix_sort_warp_sort_small_config_static_selectorELNS0_4arch9wavefront6targetE0EEEvSK_.num_agpr, 0
	.set _ZN7rocprim17ROCPRIM_400000_NS6detail17trampoline_kernelINS0_14default_configENS1_36segmented_radix_sort_config_selectorIslEEZNS1_25segmented_radix_sort_implIS3_Lb1EPKsPsPKlPlN2at6native12_GLOBAL__N_18offset_tEEE10hipError_tPvRmT1_PNSt15iterator_traitsISK_E10value_typeET2_T3_PNSL_ISQ_E10value_typeET4_jRbjT5_SW_jjP12ihipStream_tbEUlT_E1_NS1_11comp_targetILNS1_3genE5ELNS1_11target_archE942ELNS1_3gpuE9ELNS1_3repE0EEENS1_59segmented_radix_sort_warp_sort_small_config_static_selectorELNS0_4arch9wavefront6targetE0EEEvSK_.numbered_sgpr, 0
	.set _ZN7rocprim17ROCPRIM_400000_NS6detail17trampoline_kernelINS0_14default_configENS1_36segmented_radix_sort_config_selectorIslEEZNS1_25segmented_radix_sort_implIS3_Lb1EPKsPsPKlPlN2at6native12_GLOBAL__N_18offset_tEEE10hipError_tPvRmT1_PNSt15iterator_traitsISK_E10value_typeET2_T3_PNSL_ISQ_E10value_typeET4_jRbjT5_SW_jjP12ihipStream_tbEUlT_E1_NS1_11comp_targetILNS1_3genE5ELNS1_11target_archE942ELNS1_3gpuE9ELNS1_3repE0EEENS1_59segmented_radix_sort_warp_sort_small_config_static_selectorELNS0_4arch9wavefront6targetE0EEEvSK_.num_named_barrier, 0
	.set _ZN7rocprim17ROCPRIM_400000_NS6detail17trampoline_kernelINS0_14default_configENS1_36segmented_radix_sort_config_selectorIslEEZNS1_25segmented_radix_sort_implIS3_Lb1EPKsPsPKlPlN2at6native12_GLOBAL__N_18offset_tEEE10hipError_tPvRmT1_PNSt15iterator_traitsISK_E10value_typeET2_T3_PNSL_ISQ_E10value_typeET4_jRbjT5_SW_jjP12ihipStream_tbEUlT_E1_NS1_11comp_targetILNS1_3genE5ELNS1_11target_archE942ELNS1_3gpuE9ELNS1_3repE0EEENS1_59segmented_radix_sort_warp_sort_small_config_static_selectorELNS0_4arch9wavefront6targetE0EEEvSK_.private_seg_size, 0
	.set _ZN7rocprim17ROCPRIM_400000_NS6detail17trampoline_kernelINS0_14default_configENS1_36segmented_radix_sort_config_selectorIslEEZNS1_25segmented_radix_sort_implIS3_Lb1EPKsPsPKlPlN2at6native12_GLOBAL__N_18offset_tEEE10hipError_tPvRmT1_PNSt15iterator_traitsISK_E10value_typeET2_T3_PNSL_ISQ_E10value_typeET4_jRbjT5_SW_jjP12ihipStream_tbEUlT_E1_NS1_11comp_targetILNS1_3genE5ELNS1_11target_archE942ELNS1_3gpuE9ELNS1_3repE0EEENS1_59segmented_radix_sort_warp_sort_small_config_static_selectorELNS0_4arch9wavefront6targetE0EEEvSK_.uses_vcc, 0
	.set _ZN7rocprim17ROCPRIM_400000_NS6detail17trampoline_kernelINS0_14default_configENS1_36segmented_radix_sort_config_selectorIslEEZNS1_25segmented_radix_sort_implIS3_Lb1EPKsPsPKlPlN2at6native12_GLOBAL__N_18offset_tEEE10hipError_tPvRmT1_PNSt15iterator_traitsISK_E10value_typeET2_T3_PNSL_ISQ_E10value_typeET4_jRbjT5_SW_jjP12ihipStream_tbEUlT_E1_NS1_11comp_targetILNS1_3genE5ELNS1_11target_archE942ELNS1_3gpuE9ELNS1_3repE0EEENS1_59segmented_radix_sort_warp_sort_small_config_static_selectorELNS0_4arch9wavefront6targetE0EEEvSK_.uses_flat_scratch, 0
	.set _ZN7rocprim17ROCPRIM_400000_NS6detail17trampoline_kernelINS0_14default_configENS1_36segmented_radix_sort_config_selectorIslEEZNS1_25segmented_radix_sort_implIS3_Lb1EPKsPsPKlPlN2at6native12_GLOBAL__N_18offset_tEEE10hipError_tPvRmT1_PNSt15iterator_traitsISK_E10value_typeET2_T3_PNSL_ISQ_E10value_typeET4_jRbjT5_SW_jjP12ihipStream_tbEUlT_E1_NS1_11comp_targetILNS1_3genE5ELNS1_11target_archE942ELNS1_3gpuE9ELNS1_3repE0EEENS1_59segmented_radix_sort_warp_sort_small_config_static_selectorELNS0_4arch9wavefront6targetE0EEEvSK_.has_dyn_sized_stack, 0
	.set _ZN7rocprim17ROCPRIM_400000_NS6detail17trampoline_kernelINS0_14default_configENS1_36segmented_radix_sort_config_selectorIslEEZNS1_25segmented_radix_sort_implIS3_Lb1EPKsPsPKlPlN2at6native12_GLOBAL__N_18offset_tEEE10hipError_tPvRmT1_PNSt15iterator_traitsISK_E10value_typeET2_T3_PNSL_ISQ_E10value_typeET4_jRbjT5_SW_jjP12ihipStream_tbEUlT_E1_NS1_11comp_targetILNS1_3genE5ELNS1_11target_archE942ELNS1_3gpuE9ELNS1_3repE0EEENS1_59segmented_radix_sort_warp_sort_small_config_static_selectorELNS0_4arch9wavefront6targetE0EEEvSK_.has_recursion, 0
	.set _ZN7rocprim17ROCPRIM_400000_NS6detail17trampoline_kernelINS0_14default_configENS1_36segmented_radix_sort_config_selectorIslEEZNS1_25segmented_radix_sort_implIS3_Lb1EPKsPsPKlPlN2at6native12_GLOBAL__N_18offset_tEEE10hipError_tPvRmT1_PNSt15iterator_traitsISK_E10value_typeET2_T3_PNSL_ISQ_E10value_typeET4_jRbjT5_SW_jjP12ihipStream_tbEUlT_E1_NS1_11comp_targetILNS1_3genE5ELNS1_11target_archE942ELNS1_3gpuE9ELNS1_3repE0EEENS1_59segmented_radix_sort_warp_sort_small_config_static_selectorELNS0_4arch9wavefront6targetE0EEEvSK_.has_indirect_call, 0
	.section	.AMDGPU.csdata,"",@progbits
; Kernel info:
; codeLenInByte = 0
; TotalNumSgprs: 0
; NumVgprs: 0
; ScratchSize: 0
; MemoryBound: 0
; FloatMode: 240
; IeeeMode: 1
; LDSByteSize: 0 bytes/workgroup (compile time only)
; SGPRBlocks: 0
; VGPRBlocks: 0
; NumSGPRsForWavesPerEU: 1
; NumVGPRsForWavesPerEU: 1
; Occupancy: 16
; WaveLimiterHint : 0
; COMPUTE_PGM_RSRC2:SCRATCH_EN: 0
; COMPUTE_PGM_RSRC2:USER_SGPR: 6
; COMPUTE_PGM_RSRC2:TRAP_HANDLER: 0
; COMPUTE_PGM_RSRC2:TGID_X_EN: 1
; COMPUTE_PGM_RSRC2:TGID_Y_EN: 0
; COMPUTE_PGM_RSRC2:TGID_Z_EN: 0
; COMPUTE_PGM_RSRC2:TIDIG_COMP_CNT: 0
	.section	.text._ZN7rocprim17ROCPRIM_400000_NS6detail17trampoline_kernelINS0_14default_configENS1_36segmented_radix_sort_config_selectorIslEEZNS1_25segmented_radix_sort_implIS3_Lb1EPKsPsPKlPlN2at6native12_GLOBAL__N_18offset_tEEE10hipError_tPvRmT1_PNSt15iterator_traitsISK_E10value_typeET2_T3_PNSL_ISQ_E10value_typeET4_jRbjT5_SW_jjP12ihipStream_tbEUlT_E1_NS1_11comp_targetILNS1_3genE4ELNS1_11target_archE910ELNS1_3gpuE8ELNS1_3repE0EEENS1_59segmented_radix_sort_warp_sort_small_config_static_selectorELNS0_4arch9wavefront6targetE0EEEvSK_,"axG",@progbits,_ZN7rocprim17ROCPRIM_400000_NS6detail17trampoline_kernelINS0_14default_configENS1_36segmented_radix_sort_config_selectorIslEEZNS1_25segmented_radix_sort_implIS3_Lb1EPKsPsPKlPlN2at6native12_GLOBAL__N_18offset_tEEE10hipError_tPvRmT1_PNSt15iterator_traitsISK_E10value_typeET2_T3_PNSL_ISQ_E10value_typeET4_jRbjT5_SW_jjP12ihipStream_tbEUlT_E1_NS1_11comp_targetILNS1_3genE4ELNS1_11target_archE910ELNS1_3gpuE8ELNS1_3repE0EEENS1_59segmented_radix_sort_warp_sort_small_config_static_selectorELNS0_4arch9wavefront6targetE0EEEvSK_,comdat
	.globl	_ZN7rocprim17ROCPRIM_400000_NS6detail17trampoline_kernelINS0_14default_configENS1_36segmented_radix_sort_config_selectorIslEEZNS1_25segmented_radix_sort_implIS3_Lb1EPKsPsPKlPlN2at6native12_GLOBAL__N_18offset_tEEE10hipError_tPvRmT1_PNSt15iterator_traitsISK_E10value_typeET2_T3_PNSL_ISQ_E10value_typeET4_jRbjT5_SW_jjP12ihipStream_tbEUlT_E1_NS1_11comp_targetILNS1_3genE4ELNS1_11target_archE910ELNS1_3gpuE8ELNS1_3repE0EEENS1_59segmented_radix_sort_warp_sort_small_config_static_selectorELNS0_4arch9wavefront6targetE0EEEvSK_ ; -- Begin function _ZN7rocprim17ROCPRIM_400000_NS6detail17trampoline_kernelINS0_14default_configENS1_36segmented_radix_sort_config_selectorIslEEZNS1_25segmented_radix_sort_implIS3_Lb1EPKsPsPKlPlN2at6native12_GLOBAL__N_18offset_tEEE10hipError_tPvRmT1_PNSt15iterator_traitsISK_E10value_typeET2_T3_PNSL_ISQ_E10value_typeET4_jRbjT5_SW_jjP12ihipStream_tbEUlT_E1_NS1_11comp_targetILNS1_3genE4ELNS1_11target_archE910ELNS1_3gpuE8ELNS1_3repE0EEENS1_59segmented_radix_sort_warp_sort_small_config_static_selectorELNS0_4arch9wavefront6targetE0EEEvSK_
	.p2align	8
	.type	_ZN7rocprim17ROCPRIM_400000_NS6detail17trampoline_kernelINS0_14default_configENS1_36segmented_radix_sort_config_selectorIslEEZNS1_25segmented_radix_sort_implIS3_Lb1EPKsPsPKlPlN2at6native12_GLOBAL__N_18offset_tEEE10hipError_tPvRmT1_PNSt15iterator_traitsISK_E10value_typeET2_T3_PNSL_ISQ_E10value_typeET4_jRbjT5_SW_jjP12ihipStream_tbEUlT_E1_NS1_11comp_targetILNS1_3genE4ELNS1_11target_archE910ELNS1_3gpuE8ELNS1_3repE0EEENS1_59segmented_radix_sort_warp_sort_small_config_static_selectorELNS0_4arch9wavefront6targetE0EEEvSK_,@function
_ZN7rocprim17ROCPRIM_400000_NS6detail17trampoline_kernelINS0_14default_configENS1_36segmented_radix_sort_config_selectorIslEEZNS1_25segmented_radix_sort_implIS3_Lb1EPKsPsPKlPlN2at6native12_GLOBAL__N_18offset_tEEE10hipError_tPvRmT1_PNSt15iterator_traitsISK_E10value_typeET2_T3_PNSL_ISQ_E10value_typeET4_jRbjT5_SW_jjP12ihipStream_tbEUlT_E1_NS1_11comp_targetILNS1_3genE4ELNS1_11target_archE910ELNS1_3gpuE8ELNS1_3repE0EEENS1_59segmented_radix_sort_warp_sort_small_config_static_selectorELNS0_4arch9wavefront6targetE0EEEvSK_: ; @_ZN7rocprim17ROCPRIM_400000_NS6detail17trampoline_kernelINS0_14default_configENS1_36segmented_radix_sort_config_selectorIslEEZNS1_25segmented_radix_sort_implIS3_Lb1EPKsPsPKlPlN2at6native12_GLOBAL__N_18offset_tEEE10hipError_tPvRmT1_PNSt15iterator_traitsISK_E10value_typeET2_T3_PNSL_ISQ_E10value_typeET4_jRbjT5_SW_jjP12ihipStream_tbEUlT_E1_NS1_11comp_targetILNS1_3genE4ELNS1_11target_archE910ELNS1_3gpuE8ELNS1_3repE0EEENS1_59segmented_radix_sort_warp_sort_small_config_static_selectorELNS0_4arch9wavefront6targetE0EEEvSK_
; %bb.0:
	.section	.rodata,"a",@progbits
	.p2align	6, 0x0
	.amdhsa_kernel _ZN7rocprim17ROCPRIM_400000_NS6detail17trampoline_kernelINS0_14default_configENS1_36segmented_radix_sort_config_selectorIslEEZNS1_25segmented_radix_sort_implIS3_Lb1EPKsPsPKlPlN2at6native12_GLOBAL__N_18offset_tEEE10hipError_tPvRmT1_PNSt15iterator_traitsISK_E10value_typeET2_T3_PNSL_ISQ_E10value_typeET4_jRbjT5_SW_jjP12ihipStream_tbEUlT_E1_NS1_11comp_targetILNS1_3genE4ELNS1_11target_archE910ELNS1_3gpuE8ELNS1_3repE0EEENS1_59segmented_radix_sort_warp_sort_small_config_static_selectorELNS0_4arch9wavefront6targetE0EEEvSK_
		.amdhsa_group_segment_fixed_size 0
		.amdhsa_private_segment_fixed_size 0
		.amdhsa_kernarg_size 88
		.amdhsa_user_sgpr_count 6
		.amdhsa_user_sgpr_private_segment_buffer 1
		.amdhsa_user_sgpr_dispatch_ptr 0
		.amdhsa_user_sgpr_queue_ptr 0
		.amdhsa_user_sgpr_kernarg_segment_ptr 1
		.amdhsa_user_sgpr_dispatch_id 0
		.amdhsa_user_sgpr_flat_scratch_init 0
		.amdhsa_user_sgpr_private_segment_size 0
		.amdhsa_wavefront_size32 1
		.amdhsa_uses_dynamic_stack 0
		.amdhsa_system_sgpr_private_segment_wavefront_offset 0
		.amdhsa_system_sgpr_workgroup_id_x 1
		.amdhsa_system_sgpr_workgroup_id_y 0
		.amdhsa_system_sgpr_workgroup_id_z 0
		.amdhsa_system_sgpr_workgroup_info 0
		.amdhsa_system_vgpr_workitem_id 0
		.amdhsa_next_free_vgpr 1
		.amdhsa_next_free_sgpr 1
		.amdhsa_reserve_vcc 0
		.amdhsa_reserve_flat_scratch 0
		.amdhsa_float_round_mode_32 0
		.amdhsa_float_round_mode_16_64 0
		.amdhsa_float_denorm_mode_32 3
		.amdhsa_float_denorm_mode_16_64 3
		.amdhsa_dx10_clamp 1
		.amdhsa_ieee_mode 1
		.amdhsa_fp16_overflow 0
		.amdhsa_workgroup_processor_mode 1
		.amdhsa_memory_ordered 1
		.amdhsa_forward_progress 1
		.amdhsa_shared_vgpr_count 0
		.amdhsa_exception_fp_ieee_invalid_op 0
		.amdhsa_exception_fp_denorm_src 0
		.amdhsa_exception_fp_ieee_div_zero 0
		.amdhsa_exception_fp_ieee_overflow 0
		.amdhsa_exception_fp_ieee_underflow 0
		.amdhsa_exception_fp_ieee_inexact 0
		.amdhsa_exception_int_div_zero 0
	.end_amdhsa_kernel
	.section	.text._ZN7rocprim17ROCPRIM_400000_NS6detail17trampoline_kernelINS0_14default_configENS1_36segmented_radix_sort_config_selectorIslEEZNS1_25segmented_radix_sort_implIS3_Lb1EPKsPsPKlPlN2at6native12_GLOBAL__N_18offset_tEEE10hipError_tPvRmT1_PNSt15iterator_traitsISK_E10value_typeET2_T3_PNSL_ISQ_E10value_typeET4_jRbjT5_SW_jjP12ihipStream_tbEUlT_E1_NS1_11comp_targetILNS1_3genE4ELNS1_11target_archE910ELNS1_3gpuE8ELNS1_3repE0EEENS1_59segmented_radix_sort_warp_sort_small_config_static_selectorELNS0_4arch9wavefront6targetE0EEEvSK_,"axG",@progbits,_ZN7rocprim17ROCPRIM_400000_NS6detail17trampoline_kernelINS0_14default_configENS1_36segmented_radix_sort_config_selectorIslEEZNS1_25segmented_radix_sort_implIS3_Lb1EPKsPsPKlPlN2at6native12_GLOBAL__N_18offset_tEEE10hipError_tPvRmT1_PNSt15iterator_traitsISK_E10value_typeET2_T3_PNSL_ISQ_E10value_typeET4_jRbjT5_SW_jjP12ihipStream_tbEUlT_E1_NS1_11comp_targetILNS1_3genE4ELNS1_11target_archE910ELNS1_3gpuE8ELNS1_3repE0EEENS1_59segmented_radix_sort_warp_sort_small_config_static_selectorELNS0_4arch9wavefront6targetE0EEEvSK_,comdat
.Lfunc_end927:
	.size	_ZN7rocprim17ROCPRIM_400000_NS6detail17trampoline_kernelINS0_14default_configENS1_36segmented_radix_sort_config_selectorIslEEZNS1_25segmented_radix_sort_implIS3_Lb1EPKsPsPKlPlN2at6native12_GLOBAL__N_18offset_tEEE10hipError_tPvRmT1_PNSt15iterator_traitsISK_E10value_typeET2_T3_PNSL_ISQ_E10value_typeET4_jRbjT5_SW_jjP12ihipStream_tbEUlT_E1_NS1_11comp_targetILNS1_3genE4ELNS1_11target_archE910ELNS1_3gpuE8ELNS1_3repE0EEENS1_59segmented_radix_sort_warp_sort_small_config_static_selectorELNS0_4arch9wavefront6targetE0EEEvSK_, .Lfunc_end927-_ZN7rocprim17ROCPRIM_400000_NS6detail17trampoline_kernelINS0_14default_configENS1_36segmented_radix_sort_config_selectorIslEEZNS1_25segmented_radix_sort_implIS3_Lb1EPKsPsPKlPlN2at6native12_GLOBAL__N_18offset_tEEE10hipError_tPvRmT1_PNSt15iterator_traitsISK_E10value_typeET2_T3_PNSL_ISQ_E10value_typeET4_jRbjT5_SW_jjP12ihipStream_tbEUlT_E1_NS1_11comp_targetILNS1_3genE4ELNS1_11target_archE910ELNS1_3gpuE8ELNS1_3repE0EEENS1_59segmented_radix_sort_warp_sort_small_config_static_selectorELNS0_4arch9wavefront6targetE0EEEvSK_
                                        ; -- End function
	.set _ZN7rocprim17ROCPRIM_400000_NS6detail17trampoline_kernelINS0_14default_configENS1_36segmented_radix_sort_config_selectorIslEEZNS1_25segmented_radix_sort_implIS3_Lb1EPKsPsPKlPlN2at6native12_GLOBAL__N_18offset_tEEE10hipError_tPvRmT1_PNSt15iterator_traitsISK_E10value_typeET2_T3_PNSL_ISQ_E10value_typeET4_jRbjT5_SW_jjP12ihipStream_tbEUlT_E1_NS1_11comp_targetILNS1_3genE4ELNS1_11target_archE910ELNS1_3gpuE8ELNS1_3repE0EEENS1_59segmented_radix_sort_warp_sort_small_config_static_selectorELNS0_4arch9wavefront6targetE0EEEvSK_.num_vgpr, 0
	.set _ZN7rocprim17ROCPRIM_400000_NS6detail17trampoline_kernelINS0_14default_configENS1_36segmented_radix_sort_config_selectorIslEEZNS1_25segmented_radix_sort_implIS3_Lb1EPKsPsPKlPlN2at6native12_GLOBAL__N_18offset_tEEE10hipError_tPvRmT1_PNSt15iterator_traitsISK_E10value_typeET2_T3_PNSL_ISQ_E10value_typeET4_jRbjT5_SW_jjP12ihipStream_tbEUlT_E1_NS1_11comp_targetILNS1_3genE4ELNS1_11target_archE910ELNS1_3gpuE8ELNS1_3repE0EEENS1_59segmented_radix_sort_warp_sort_small_config_static_selectorELNS0_4arch9wavefront6targetE0EEEvSK_.num_agpr, 0
	.set _ZN7rocprim17ROCPRIM_400000_NS6detail17trampoline_kernelINS0_14default_configENS1_36segmented_radix_sort_config_selectorIslEEZNS1_25segmented_radix_sort_implIS3_Lb1EPKsPsPKlPlN2at6native12_GLOBAL__N_18offset_tEEE10hipError_tPvRmT1_PNSt15iterator_traitsISK_E10value_typeET2_T3_PNSL_ISQ_E10value_typeET4_jRbjT5_SW_jjP12ihipStream_tbEUlT_E1_NS1_11comp_targetILNS1_3genE4ELNS1_11target_archE910ELNS1_3gpuE8ELNS1_3repE0EEENS1_59segmented_radix_sort_warp_sort_small_config_static_selectorELNS0_4arch9wavefront6targetE0EEEvSK_.numbered_sgpr, 0
	.set _ZN7rocprim17ROCPRIM_400000_NS6detail17trampoline_kernelINS0_14default_configENS1_36segmented_radix_sort_config_selectorIslEEZNS1_25segmented_radix_sort_implIS3_Lb1EPKsPsPKlPlN2at6native12_GLOBAL__N_18offset_tEEE10hipError_tPvRmT1_PNSt15iterator_traitsISK_E10value_typeET2_T3_PNSL_ISQ_E10value_typeET4_jRbjT5_SW_jjP12ihipStream_tbEUlT_E1_NS1_11comp_targetILNS1_3genE4ELNS1_11target_archE910ELNS1_3gpuE8ELNS1_3repE0EEENS1_59segmented_radix_sort_warp_sort_small_config_static_selectorELNS0_4arch9wavefront6targetE0EEEvSK_.num_named_barrier, 0
	.set _ZN7rocprim17ROCPRIM_400000_NS6detail17trampoline_kernelINS0_14default_configENS1_36segmented_radix_sort_config_selectorIslEEZNS1_25segmented_radix_sort_implIS3_Lb1EPKsPsPKlPlN2at6native12_GLOBAL__N_18offset_tEEE10hipError_tPvRmT1_PNSt15iterator_traitsISK_E10value_typeET2_T3_PNSL_ISQ_E10value_typeET4_jRbjT5_SW_jjP12ihipStream_tbEUlT_E1_NS1_11comp_targetILNS1_3genE4ELNS1_11target_archE910ELNS1_3gpuE8ELNS1_3repE0EEENS1_59segmented_radix_sort_warp_sort_small_config_static_selectorELNS0_4arch9wavefront6targetE0EEEvSK_.private_seg_size, 0
	.set _ZN7rocprim17ROCPRIM_400000_NS6detail17trampoline_kernelINS0_14default_configENS1_36segmented_radix_sort_config_selectorIslEEZNS1_25segmented_radix_sort_implIS3_Lb1EPKsPsPKlPlN2at6native12_GLOBAL__N_18offset_tEEE10hipError_tPvRmT1_PNSt15iterator_traitsISK_E10value_typeET2_T3_PNSL_ISQ_E10value_typeET4_jRbjT5_SW_jjP12ihipStream_tbEUlT_E1_NS1_11comp_targetILNS1_3genE4ELNS1_11target_archE910ELNS1_3gpuE8ELNS1_3repE0EEENS1_59segmented_radix_sort_warp_sort_small_config_static_selectorELNS0_4arch9wavefront6targetE0EEEvSK_.uses_vcc, 0
	.set _ZN7rocprim17ROCPRIM_400000_NS6detail17trampoline_kernelINS0_14default_configENS1_36segmented_radix_sort_config_selectorIslEEZNS1_25segmented_radix_sort_implIS3_Lb1EPKsPsPKlPlN2at6native12_GLOBAL__N_18offset_tEEE10hipError_tPvRmT1_PNSt15iterator_traitsISK_E10value_typeET2_T3_PNSL_ISQ_E10value_typeET4_jRbjT5_SW_jjP12ihipStream_tbEUlT_E1_NS1_11comp_targetILNS1_3genE4ELNS1_11target_archE910ELNS1_3gpuE8ELNS1_3repE0EEENS1_59segmented_radix_sort_warp_sort_small_config_static_selectorELNS0_4arch9wavefront6targetE0EEEvSK_.uses_flat_scratch, 0
	.set _ZN7rocprim17ROCPRIM_400000_NS6detail17trampoline_kernelINS0_14default_configENS1_36segmented_radix_sort_config_selectorIslEEZNS1_25segmented_radix_sort_implIS3_Lb1EPKsPsPKlPlN2at6native12_GLOBAL__N_18offset_tEEE10hipError_tPvRmT1_PNSt15iterator_traitsISK_E10value_typeET2_T3_PNSL_ISQ_E10value_typeET4_jRbjT5_SW_jjP12ihipStream_tbEUlT_E1_NS1_11comp_targetILNS1_3genE4ELNS1_11target_archE910ELNS1_3gpuE8ELNS1_3repE0EEENS1_59segmented_radix_sort_warp_sort_small_config_static_selectorELNS0_4arch9wavefront6targetE0EEEvSK_.has_dyn_sized_stack, 0
	.set _ZN7rocprim17ROCPRIM_400000_NS6detail17trampoline_kernelINS0_14default_configENS1_36segmented_radix_sort_config_selectorIslEEZNS1_25segmented_radix_sort_implIS3_Lb1EPKsPsPKlPlN2at6native12_GLOBAL__N_18offset_tEEE10hipError_tPvRmT1_PNSt15iterator_traitsISK_E10value_typeET2_T3_PNSL_ISQ_E10value_typeET4_jRbjT5_SW_jjP12ihipStream_tbEUlT_E1_NS1_11comp_targetILNS1_3genE4ELNS1_11target_archE910ELNS1_3gpuE8ELNS1_3repE0EEENS1_59segmented_radix_sort_warp_sort_small_config_static_selectorELNS0_4arch9wavefront6targetE0EEEvSK_.has_recursion, 0
	.set _ZN7rocprim17ROCPRIM_400000_NS6detail17trampoline_kernelINS0_14default_configENS1_36segmented_radix_sort_config_selectorIslEEZNS1_25segmented_radix_sort_implIS3_Lb1EPKsPsPKlPlN2at6native12_GLOBAL__N_18offset_tEEE10hipError_tPvRmT1_PNSt15iterator_traitsISK_E10value_typeET2_T3_PNSL_ISQ_E10value_typeET4_jRbjT5_SW_jjP12ihipStream_tbEUlT_E1_NS1_11comp_targetILNS1_3genE4ELNS1_11target_archE910ELNS1_3gpuE8ELNS1_3repE0EEENS1_59segmented_radix_sort_warp_sort_small_config_static_selectorELNS0_4arch9wavefront6targetE0EEEvSK_.has_indirect_call, 0
	.section	.AMDGPU.csdata,"",@progbits
; Kernel info:
; codeLenInByte = 0
; TotalNumSgprs: 0
; NumVgprs: 0
; ScratchSize: 0
; MemoryBound: 0
; FloatMode: 240
; IeeeMode: 1
; LDSByteSize: 0 bytes/workgroup (compile time only)
; SGPRBlocks: 0
; VGPRBlocks: 0
; NumSGPRsForWavesPerEU: 1
; NumVGPRsForWavesPerEU: 1
; Occupancy: 16
; WaveLimiterHint : 0
; COMPUTE_PGM_RSRC2:SCRATCH_EN: 0
; COMPUTE_PGM_RSRC2:USER_SGPR: 6
; COMPUTE_PGM_RSRC2:TRAP_HANDLER: 0
; COMPUTE_PGM_RSRC2:TGID_X_EN: 1
; COMPUTE_PGM_RSRC2:TGID_Y_EN: 0
; COMPUTE_PGM_RSRC2:TGID_Z_EN: 0
; COMPUTE_PGM_RSRC2:TIDIG_COMP_CNT: 0
	.section	.text._ZN7rocprim17ROCPRIM_400000_NS6detail17trampoline_kernelINS0_14default_configENS1_36segmented_radix_sort_config_selectorIslEEZNS1_25segmented_radix_sort_implIS3_Lb1EPKsPsPKlPlN2at6native12_GLOBAL__N_18offset_tEEE10hipError_tPvRmT1_PNSt15iterator_traitsISK_E10value_typeET2_T3_PNSL_ISQ_E10value_typeET4_jRbjT5_SW_jjP12ihipStream_tbEUlT_E1_NS1_11comp_targetILNS1_3genE3ELNS1_11target_archE908ELNS1_3gpuE7ELNS1_3repE0EEENS1_59segmented_radix_sort_warp_sort_small_config_static_selectorELNS0_4arch9wavefront6targetE0EEEvSK_,"axG",@progbits,_ZN7rocprim17ROCPRIM_400000_NS6detail17trampoline_kernelINS0_14default_configENS1_36segmented_radix_sort_config_selectorIslEEZNS1_25segmented_radix_sort_implIS3_Lb1EPKsPsPKlPlN2at6native12_GLOBAL__N_18offset_tEEE10hipError_tPvRmT1_PNSt15iterator_traitsISK_E10value_typeET2_T3_PNSL_ISQ_E10value_typeET4_jRbjT5_SW_jjP12ihipStream_tbEUlT_E1_NS1_11comp_targetILNS1_3genE3ELNS1_11target_archE908ELNS1_3gpuE7ELNS1_3repE0EEENS1_59segmented_radix_sort_warp_sort_small_config_static_selectorELNS0_4arch9wavefront6targetE0EEEvSK_,comdat
	.globl	_ZN7rocprim17ROCPRIM_400000_NS6detail17trampoline_kernelINS0_14default_configENS1_36segmented_radix_sort_config_selectorIslEEZNS1_25segmented_radix_sort_implIS3_Lb1EPKsPsPKlPlN2at6native12_GLOBAL__N_18offset_tEEE10hipError_tPvRmT1_PNSt15iterator_traitsISK_E10value_typeET2_T3_PNSL_ISQ_E10value_typeET4_jRbjT5_SW_jjP12ihipStream_tbEUlT_E1_NS1_11comp_targetILNS1_3genE3ELNS1_11target_archE908ELNS1_3gpuE7ELNS1_3repE0EEENS1_59segmented_radix_sort_warp_sort_small_config_static_selectorELNS0_4arch9wavefront6targetE0EEEvSK_ ; -- Begin function _ZN7rocprim17ROCPRIM_400000_NS6detail17trampoline_kernelINS0_14default_configENS1_36segmented_radix_sort_config_selectorIslEEZNS1_25segmented_radix_sort_implIS3_Lb1EPKsPsPKlPlN2at6native12_GLOBAL__N_18offset_tEEE10hipError_tPvRmT1_PNSt15iterator_traitsISK_E10value_typeET2_T3_PNSL_ISQ_E10value_typeET4_jRbjT5_SW_jjP12ihipStream_tbEUlT_E1_NS1_11comp_targetILNS1_3genE3ELNS1_11target_archE908ELNS1_3gpuE7ELNS1_3repE0EEENS1_59segmented_radix_sort_warp_sort_small_config_static_selectorELNS0_4arch9wavefront6targetE0EEEvSK_
	.p2align	8
	.type	_ZN7rocprim17ROCPRIM_400000_NS6detail17trampoline_kernelINS0_14default_configENS1_36segmented_radix_sort_config_selectorIslEEZNS1_25segmented_radix_sort_implIS3_Lb1EPKsPsPKlPlN2at6native12_GLOBAL__N_18offset_tEEE10hipError_tPvRmT1_PNSt15iterator_traitsISK_E10value_typeET2_T3_PNSL_ISQ_E10value_typeET4_jRbjT5_SW_jjP12ihipStream_tbEUlT_E1_NS1_11comp_targetILNS1_3genE3ELNS1_11target_archE908ELNS1_3gpuE7ELNS1_3repE0EEENS1_59segmented_radix_sort_warp_sort_small_config_static_selectorELNS0_4arch9wavefront6targetE0EEEvSK_,@function
_ZN7rocprim17ROCPRIM_400000_NS6detail17trampoline_kernelINS0_14default_configENS1_36segmented_radix_sort_config_selectorIslEEZNS1_25segmented_radix_sort_implIS3_Lb1EPKsPsPKlPlN2at6native12_GLOBAL__N_18offset_tEEE10hipError_tPvRmT1_PNSt15iterator_traitsISK_E10value_typeET2_T3_PNSL_ISQ_E10value_typeET4_jRbjT5_SW_jjP12ihipStream_tbEUlT_E1_NS1_11comp_targetILNS1_3genE3ELNS1_11target_archE908ELNS1_3gpuE7ELNS1_3repE0EEENS1_59segmented_radix_sort_warp_sort_small_config_static_selectorELNS0_4arch9wavefront6targetE0EEEvSK_: ; @_ZN7rocprim17ROCPRIM_400000_NS6detail17trampoline_kernelINS0_14default_configENS1_36segmented_radix_sort_config_selectorIslEEZNS1_25segmented_radix_sort_implIS3_Lb1EPKsPsPKlPlN2at6native12_GLOBAL__N_18offset_tEEE10hipError_tPvRmT1_PNSt15iterator_traitsISK_E10value_typeET2_T3_PNSL_ISQ_E10value_typeET4_jRbjT5_SW_jjP12ihipStream_tbEUlT_E1_NS1_11comp_targetILNS1_3genE3ELNS1_11target_archE908ELNS1_3gpuE7ELNS1_3repE0EEENS1_59segmented_radix_sort_warp_sort_small_config_static_selectorELNS0_4arch9wavefront6targetE0EEEvSK_
; %bb.0:
	.section	.rodata,"a",@progbits
	.p2align	6, 0x0
	.amdhsa_kernel _ZN7rocprim17ROCPRIM_400000_NS6detail17trampoline_kernelINS0_14default_configENS1_36segmented_radix_sort_config_selectorIslEEZNS1_25segmented_radix_sort_implIS3_Lb1EPKsPsPKlPlN2at6native12_GLOBAL__N_18offset_tEEE10hipError_tPvRmT1_PNSt15iterator_traitsISK_E10value_typeET2_T3_PNSL_ISQ_E10value_typeET4_jRbjT5_SW_jjP12ihipStream_tbEUlT_E1_NS1_11comp_targetILNS1_3genE3ELNS1_11target_archE908ELNS1_3gpuE7ELNS1_3repE0EEENS1_59segmented_radix_sort_warp_sort_small_config_static_selectorELNS0_4arch9wavefront6targetE0EEEvSK_
		.amdhsa_group_segment_fixed_size 0
		.amdhsa_private_segment_fixed_size 0
		.amdhsa_kernarg_size 88
		.amdhsa_user_sgpr_count 6
		.amdhsa_user_sgpr_private_segment_buffer 1
		.amdhsa_user_sgpr_dispatch_ptr 0
		.amdhsa_user_sgpr_queue_ptr 0
		.amdhsa_user_sgpr_kernarg_segment_ptr 1
		.amdhsa_user_sgpr_dispatch_id 0
		.amdhsa_user_sgpr_flat_scratch_init 0
		.amdhsa_user_sgpr_private_segment_size 0
		.amdhsa_wavefront_size32 1
		.amdhsa_uses_dynamic_stack 0
		.amdhsa_system_sgpr_private_segment_wavefront_offset 0
		.amdhsa_system_sgpr_workgroup_id_x 1
		.amdhsa_system_sgpr_workgroup_id_y 0
		.amdhsa_system_sgpr_workgroup_id_z 0
		.amdhsa_system_sgpr_workgroup_info 0
		.amdhsa_system_vgpr_workitem_id 0
		.amdhsa_next_free_vgpr 1
		.amdhsa_next_free_sgpr 1
		.amdhsa_reserve_vcc 0
		.amdhsa_reserve_flat_scratch 0
		.amdhsa_float_round_mode_32 0
		.amdhsa_float_round_mode_16_64 0
		.amdhsa_float_denorm_mode_32 3
		.amdhsa_float_denorm_mode_16_64 3
		.amdhsa_dx10_clamp 1
		.amdhsa_ieee_mode 1
		.amdhsa_fp16_overflow 0
		.amdhsa_workgroup_processor_mode 1
		.amdhsa_memory_ordered 1
		.amdhsa_forward_progress 1
		.amdhsa_shared_vgpr_count 0
		.amdhsa_exception_fp_ieee_invalid_op 0
		.amdhsa_exception_fp_denorm_src 0
		.amdhsa_exception_fp_ieee_div_zero 0
		.amdhsa_exception_fp_ieee_overflow 0
		.amdhsa_exception_fp_ieee_underflow 0
		.amdhsa_exception_fp_ieee_inexact 0
		.amdhsa_exception_int_div_zero 0
	.end_amdhsa_kernel
	.section	.text._ZN7rocprim17ROCPRIM_400000_NS6detail17trampoline_kernelINS0_14default_configENS1_36segmented_radix_sort_config_selectorIslEEZNS1_25segmented_radix_sort_implIS3_Lb1EPKsPsPKlPlN2at6native12_GLOBAL__N_18offset_tEEE10hipError_tPvRmT1_PNSt15iterator_traitsISK_E10value_typeET2_T3_PNSL_ISQ_E10value_typeET4_jRbjT5_SW_jjP12ihipStream_tbEUlT_E1_NS1_11comp_targetILNS1_3genE3ELNS1_11target_archE908ELNS1_3gpuE7ELNS1_3repE0EEENS1_59segmented_radix_sort_warp_sort_small_config_static_selectorELNS0_4arch9wavefront6targetE0EEEvSK_,"axG",@progbits,_ZN7rocprim17ROCPRIM_400000_NS6detail17trampoline_kernelINS0_14default_configENS1_36segmented_radix_sort_config_selectorIslEEZNS1_25segmented_radix_sort_implIS3_Lb1EPKsPsPKlPlN2at6native12_GLOBAL__N_18offset_tEEE10hipError_tPvRmT1_PNSt15iterator_traitsISK_E10value_typeET2_T3_PNSL_ISQ_E10value_typeET4_jRbjT5_SW_jjP12ihipStream_tbEUlT_E1_NS1_11comp_targetILNS1_3genE3ELNS1_11target_archE908ELNS1_3gpuE7ELNS1_3repE0EEENS1_59segmented_radix_sort_warp_sort_small_config_static_selectorELNS0_4arch9wavefront6targetE0EEEvSK_,comdat
.Lfunc_end928:
	.size	_ZN7rocprim17ROCPRIM_400000_NS6detail17trampoline_kernelINS0_14default_configENS1_36segmented_radix_sort_config_selectorIslEEZNS1_25segmented_radix_sort_implIS3_Lb1EPKsPsPKlPlN2at6native12_GLOBAL__N_18offset_tEEE10hipError_tPvRmT1_PNSt15iterator_traitsISK_E10value_typeET2_T3_PNSL_ISQ_E10value_typeET4_jRbjT5_SW_jjP12ihipStream_tbEUlT_E1_NS1_11comp_targetILNS1_3genE3ELNS1_11target_archE908ELNS1_3gpuE7ELNS1_3repE0EEENS1_59segmented_radix_sort_warp_sort_small_config_static_selectorELNS0_4arch9wavefront6targetE0EEEvSK_, .Lfunc_end928-_ZN7rocprim17ROCPRIM_400000_NS6detail17trampoline_kernelINS0_14default_configENS1_36segmented_radix_sort_config_selectorIslEEZNS1_25segmented_radix_sort_implIS3_Lb1EPKsPsPKlPlN2at6native12_GLOBAL__N_18offset_tEEE10hipError_tPvRmT1_PNSt15iterator_traitsISK_E10value_typeET2_T3_PNSL_ISQ_E10value_typeET4_jRbjT5_SW_jjP12ihipStream_tbEUlT_E1_NS1_11comp_targetILNS1_3genE3ELNS1_11target_archE908ELNS1_3gpuE7ELNS1_3repE0EEENS1_59segmented_radix_sort_warp_sort_small_config_static_selectorELNS0_4arch9wavefront6targetE0EEEvSK_
                                        ; -- End function
	.set _ZN7rocprim17ROCPRIM_400000_NS6detail17trampoline_kernelINS0_14default_configENS1_36segmented_radix_sort_config_selectorIslEEZNS1_25segmented_radix_sort_implIS3_Lb1EPKsPsPKlPlN2at6native12_GLOBAL__N_18offset_tEEE10hipError_tPvRmT1_PNSt15iterator_traitsISK_E10value_typeET2_T3_PNSL_ISQ_E10value_typeET4_jRbjT5_SW_jjP12ihipStream_tbEUlT_E1_NS1_11comp_targetILNS1_3genE3ELNS1_11target_archE908ELNS1_3gpuE7ELNS1_3repE0EEENS1_59segmented_radix_sort_warp_sort_small_config_static_selectorELNS0_4arch9wavefront6targetE0EEEvSK_.num_vgpr, 0
	.set _ZN7rocprim17ROCPRIM_400000_NS6detail17trampoline_kernelINS0_14default_configENS1_36segmented_radix_sort_config_selectorIslEEZNS1_25segmented_radix_sort_implIS3_Lb1EPKsPsPKlPlN2at6native12_GLOBAL__N_18offset_tEEE10hipError_tPvRmT1_PNSt15iterator_traitsISK_E10value_typeET2_T3_PNSL_ISQ_E10value_typeET4_jRbjT5_SW_jjP12ihipStream_tbEUlT_E1_NS1_11comp_targetILNS1_3genE3ELNS1_11target_archE908ELNS1_3gpuE7ELNS1_3repE0EEENS1_59segmented_radix_sort_warp_sort_small_config_static_selectorELNS0_4arch9wavefront6targetE0EEEvSK_.num_agpr, 0
	.set _ZN7rocprim17ROCPRIM_400000_NS6detail17trampoline_kernelINS0_14default_configENS1_36segmented_radix_sort_config_selectorIslEEZNS1_25segmented_radix_sort_implIS3_Lb1EPKsPsPKlPlN2at6native12_GLOBAL__N_18offset_tEEE10hipError_tPvRmT1_PNSt15iterator_traitsISK_E10value_typeET2_T3_PNSL_ISQ_E10value_typeET4_jRbjT5_SW_jjP12ihipStream_tbEUlT_E1_NS1_11comp_targetILNS1_3genE3ELNS1_11target_archE908ELNS1_3gpuE7ELNS1_3repE0EEENS1_59segmented_radix_sort_warp_sort_small_config_static_selectorELNS0_4arch9wavefront6targetE0EEEvSK_.numbered_sgpr, 0
	.set _ZN7rocprim17ROCPRIM_400000_NS6detail17trampoline_kernelINS0_14default_configENS1_36segmented_radix_sort_config_selectorIslEEZNS1_25segmented_radix_sort_implIS3_Lb1EPKsPsPKlPlN2at6native12_GLOBAL__N_18offset_tEEE10hipError_tPvRmT1_PNSt15iterator_traitsISK_E10value_typeET2_T3_PNSL_ISQ_E10value_typeET4_jRbjT5_SW_jjP12ihipStream_tbEUlT_E1_NS1_11comp_targetILNS1_3genE3ELNS1_11target_archE908ELNS1_3gpuE7ELNS1_3repE0EEENS1_59segmented_radix_sort_warp_sort_small_config_static_selectorELNS0_4arch9wavefront6targetE0EEEvSK_.num_named_barrier, 0
	.set _ZN7rocprim17ROCPRIM_400000_NS6detail17trampoline_kernelINS0_14default_configENS1_36segmented_radix_sort_config_selectorIslEEZNS1_25segmented_radix_sort_implIS3_Lb1EPKsPsPKlPlN2at6native12_GLOBAL__N_18offset_tEEE10hipError_tPvRmT1_PNSt15iterator_traitsISK_E10value_typeET2_T3_PNSL_ISQ_E10value_typeET4_jRbjT5_SW_jjP12ihipStream_tbEUlT_E1_NS1_11comp_targetILNS1_3genE3ELNS1_11target_archE908ELNS1_3gpuE7ELNS1_3repE0EEENS1_59segmented_radix_sort_warp_sort_small_config_static_selectorELNS0_4arch9wavefront6targetE0EEEvSK_.private_seg_size, 0
	.set _ZN7rocprim17ROCPRIM_400000_NS6detail17trampoline_kernelINS0_14default_configENS1_36segmented_radix_sort_config_selectorIslEEZNS1_25segmented_radix_sort_implIS3_Lb1EPKsPsPKlPlN2at6native12_GLOBAL__N_18offset_tEEE10hipError_tPvRmT1_PNSt15iterator_traitsISK_E10value_typeET2_T3_PNSL_ISQ_E10value_typeET4_jRbjT5_SW_jjP12ihipStream_tbEUlT_E1_NS1_11comp_targetILNS1_3genE3ELNS1_11target_archE908ELNS1_3gpuE7ELNS1_3repE0EEENS1_59segmented_radix_sort_warp_sort_small_config_static_selectorELNS0_4arch9wavefront6targetE0EEEvSK_.uses_vcc, 0
	.set _ZN7rocprim17ROCPRIM_400000_NS6detail17trampoline_kernelINS0_14default_configENS1_36segmented_radix_sort_config_selectorIslEEZNS1_25segmented_radix_sort_implIS3_Lb1EPKsPsPKlPlN2at6native12_GLOBAL__N_18offset_tEEE10hipError_tPvRmT1_PNSt15iterator_traitsISK_E10value_typeET2_T3_PNSL_ISQ_E10value_typeET4_jRbjT5_SW_jjP12ihipStream_tbEUlT_E1_NS1_11comp_targetILNS1_3genE3ELNS1_11target_archE908ELNS1_3gpuE7ELNS1_3repE0EEENS1_59segmented_radix_sort_warp_sort_small_config_static_selectorELNS0_4arch9wavefront6targetE0EEEvSK_.uses_flat_scratch, 0
	.set _ZN7rocprim17ROCPRIM_400000_NS6detail17trampoline_kernelINS0_14default_configENS1_36segmented_radix_sort_config_selectorIslEEZNS1_25segmented_radix_sort_implIS3_Lb1EPKsPsPKlPlN2at6native12_GLOBAL__N_18offset_tEEE10hipError_tPvRmT1_PNSt15iterator_traitsISK_E10value_typeET2_T3_PNSL_ISQ_E10value_typeET4_jRbjT5_SW_jjP12ihipStream_tbEUlT_E1_NS1_11comp_targetILNS1_3genE3ELNS1_11target_archE908ELNS1_3gpuE7ELNS1_3repE0EEENS1_59segmented_radix_sort_warp_sort_small_config_static_selectorELNS0_4arch9wavefront6targetE0EEEvSK_.has_dyn_sized_stack, 0
	.set _ZN7rocprim17ROCPRIM_400000_NS6detail17trampoline_kernelINS0_14default_configENS1_36segmented_radix_sort_config_selectorIslEEZNS1_25segmented_radix_sort_implIS3_Lb1EPKsPsPKlPlN2at6native12_GLOBAL__N_18offset_tEEE10hipError_tPvRmT1_PNSt15iterator_traitsISK_E10value_typeET2_T3_PNSL_ISQ_E10value_typeET4_jRbjT5_SW_jjP12ihipStream_tbEUlT_E1_NS1_11comp_targetILNS1_3genE3ELNS1_11target_archE908ELNS1_3gpuE7ELNS1_3repE0EEENS1_59segmented_radix_sort_warp_sort_small_config_static_selectorELNS0_4arch9wavefront6targetE0EEEvSK_.has_recursion, 0
	.set _ZN7rocprim17ROCPRIM_400000_NS6detail17trampoline_kernelINS0_14default_configENS1_36segmented_radix_sort_config_selectorIslEEZNS1_25segmented_radix_sort_implIS3_Lb1EPKsPsPKlPlN2at6native12_GLOBAL__N_18offset_tEEE10hipError_tPvRmT1_PNSt15iterator_traitsISK_E10value_typeET2_T3_PNSL_ISQ_E10value_typeET4_jRbjT5_SW_jjP12ihipStream_tbEUlT_E1_NS1_11comp_targetILNS1_3genE3ELNS1_11target_archE908ELNS1_3gpuE7ELNS1_3repE0EEENS1_59segmented_radix_sort_warp_sort_small_config_static_selectorELNS0_4arch9wavefront6targetE0EEEvSK_.has_indirect_call, 0
	.section	.AMDGPU.csdata,"",@progbits
; Kernel info:
; codeLenInByte = 0
; TotalNumSgprs: 0
; NumVgprs: 0
; ScratchSize: 0
; MemoryBound: 0
; FloatMode: 240
; IeeeMode: 1
; LDSByteSize: 0 bytes/workgroup (compile time only)
; SGPRBlocks: 0
; VGPRBlocks: 0
; NumSGPRsForWavesPerEU: 1
; NumVGPRsForWavesPerEU: 1
; Occupancy: 16
; WaveLimiterHint : 0
; COMPUTE_PGM_RSRC2:SCRATCH_EN: 0
; COMPUTE_PGM_RSRC2:USER_SGPR: 6
; COMPUTE_PGM_RSRC2:TRAP_HANDLER: 0
; COMPUTE_PGM_RSRC2:TGID_X_EN: 1
; COMPUTE_PGM_RSRC2:TGID_Y_EN: 0
; COMPUTE_PGM_RSRC2:TGID_Z_EN: 0
; COMPUTE_PGM_RSRC2:TIDIG_COMP_CNT: 0
	.section	.text._ZN7rocprim17ROCPRIM_400000_NS6detail17trampoline_kernelINS0_14default_configENS1_36segmented_radix_sort_config_selectorIslEEZNS1_25segmented_radix_sort_implIS3_Lb1EPKsPsPKlPlN2at6native12_GLOBAL__N_18offset_tEEE10hipError_tPvRmT1_PNSt15iterator_traitsISK_E10value_typeET2_T3_PNSL_ISQ_E10value_typeET4_jRbjT5_SW_jjP12ihipStream_tbEUlT_E1_NS1_11comp_targetILNS1_3genE2ELNS1_11target_archE906ELNS1_3gpuE6ELNS1_3repE0EEENS1_59segmented_radix_sort_warp_sort_small_config_static_selectorELNS0_4arch9wavefront6targetE0EEEvSK_,"axG",@progbits,_ZN7rocprim17ROCPRIM_400000_NS6detail17trampoline_kernelINS0_14default_configENS1_36segmented_radix_sort_config_selectorIslEEZNS1_25segmented_radix_sort_implIS3_Lb1EPKsPsPKlPlN2at6native12_GLOBAL__N_18offset_tEEE10hipError_tPvRmT1_PNSt15iterator_traitsISK_E10value_typeET2_T3_PNSL_ISQ_E10value_typeET4_jRbjT5_SW_jjP12ihipStream_tbEUlT_E1_NS1_11comp_targetILNS1_3genE2ELNS1_11target_archE906ELNS1_3gpuE6ELNS1_3repE0EEENS1_59segmented_radix_sort_warp_sort_small_config_static_selectorELNS0_4arch9wavefront6targetE0EEEvSK_,comdat
	.globl	_ZN7rocprim17ROCPRIM_400000_NS6detail17trampoline_kernelINS0_14default_configENS1_36segmented_radix_sort_config_selectorIslEEZNS1_25segmented_radix_sort_implIS3_Lb1EPKsPsPKlPlN2at6native12_GLOBAL__N_18offset_tEEE10hipError_tPvRmT1_PNSt15iterator_traitsISK_E10value_typeET2_T3_PNSL_ISQ_E10value_typeET4_jRbjT5_SW_jjP12ihipStream_tbEUlT_E1_NS1_11comp_targetILNS1_3genE2ELNS1_11target_archE906ELNS1_3gpuE6ELNS1_3repE0EEENS1_59segmented_radix_sort_warp_sort_small_config_static_selectorELNS0_4arch9wavefront6targetE0EEEvSK_ ; -- Begin function _ZN7rocprim17ROCPRIM_400000_NS6detail17trampoline_kernelINS0_14default_configENS1_36segmented_radix_sort_config_selectorIslEEZNS1_25segmented_radix_sort_implIS3_Lb1EPKsPsPKlPlN2at6native12_GLOBAL__N_18offset_tEEE10hipError_tPvRmT1_PNSt15iterator_traitsISK_E10value_typeET2_T3_PNSL_ISQ_E10value_typeET4_jRbjT5_SW_jjP12ihipStream_tbEUlT_E1_NS1_11comp_targetILNS1_3genE2ELNS1_11target_archE906ELNS1_3gpuE6ELNS1_3repE0EEENS1_59segmented_radix_sort_warp_sort_small_config_static_selectorELNS0_4arch9wavefront6targetE0EEEvSK_
	.p2align	8
	.type	_ZN7rocprim17ROCPRIM_400000_NS6detail17trampoline_kernelINS0_14default_configENS1_36segmented_radix_sort_config_selectorIslEEZNS1_25segmented_radix_sort_implIS3_Lb1EPKsPsPKlPlN2at6native12_GLOBAL__N_18offset_tEEE10hipError_tPvRmT1_PNSt15iterator_traitsISK_E10value_typeET2_T3_PNSL_ISQ_E10value_typeET4_jRbjT5_SW_jjP12ihipStream_tbEUlT_E1_NS1_11comp_targetILNS1_3genE2ELNS1_11target_archE906ELNS1_3gpuE6ELNS1_3repE0EEENS1_59segmented_radix_sort_warp_sort_small_config_static_selectorELNS0_4arch9wavefront6targetE0EEEvSK_,@function
_ZN7rocprim17ROCPRIM_400000_NS6detail17trampoline_kernelINS0_14default_configENS1_36segmented_radix_sort_config_selectorIslEEZNS1_25segmented_radix_sort_implIS3_Lb1EPKsPsPKlPlN2at6native12_GLOBAL__N_18offset_tEEE10hipError_tPvRmT1_PNSt15iterator_traitsISK_E10value_typeET2_T3_PNSL_ISQ_E10value_typeET4_jRbjT5_SW_jjP12ihipStream_tbEUlT_E1_NS1_11comp_targetILNS1_3genE2ELNS1_11target_archE906ELNS1_3gpuE6ELNS1_3repE0EEENS1_59segmented_radix_sort_warp_sort_small_config_static_selectorELNS0_4arch9wavefront6targetE0EEEvSK_: ; @_ZN7rocprim17ROCPRIM_400000_NS6detail17trampoline_kernelINS0_14default_configENS1_36segmented_radix_sort_config_selectorIslEEZNS1_25segmented_radix_sort_implIS3_Lb1EPKsPsPKlPlN2at6native12_GLOBAL__N_18offset_tEEE10hipError_tPvRmT1_PNSt15iterator_traitsISK_E10value_typeET2_T3_PNSL_ISQ_E10value_typeET4_jRbjT5_SW_jjP12ihipStream_tbEUlT_E1_NS1_11comp_targetILNS1_3genE2ELNS1_11target_archE906ELNS1_3gpuE6ELNS1_3repE0EEENS1_59segmented_radix_sort_warp_sort_small_config_static_selectorELNS0_4arch9wavefront6targetE0EEEvSK_
; %bb.0:
	.section	.rodata,"a",@progbits
	.p2align	6, 0x0
	.amdhsa_kernel _ZN7rocprim17ROCPRIM_400000_NS6detail17trampoline_kernelINS0_14default_configENS1_36segmented_radix_sort_config_selectorIslEEZNS1_25segmented_radix_sort_implIS3_Lb1EPKsPsPKlPlN2at6native12_GLOBAL__N_18offset_tEEE10hipError_tPvRmT1_PNSt15iterator_traitsISK_E10value_typeET2_T3_PNSL_ISQ_E10value_typeET4_jRbjT5_SW_jjP12ihipStream_tbEUlT_E1_NS1_11comp_targetILNS1_3genE2ELNS1_11target_archE906ELNS1_3gpuE6ELNS1_3repE0EEENS1_59segmented_radix_sort_warp_sort_small_config_static_selectorELNS0_4arch9wavefront6targetE0EEEvSK_
		.amdhsa_group_segment_fixed_size 0
		.amdhsa_private_segment_fixed_size 0
		.amdhsa_kernarg_size 88
		.amdhsa_user_sgpr_count 6
		.amdhsa_user_sgpr_private_segment_buffer 1
		.amdhsa_user_sgpr_dispatch_ptr 0
		.amdhsa_user_sgpr_queue_ptr 0
		.amdhsa_user_sgpr_kernarg_segment_ptr 1
		.amdhsa_user_sgpr_dispatch_id 0
		.amdhsa_user_sgpr_flat_scratch_init 0
		.amdhsa_user_sgpr_private_segment_size 0
		.amdhsa_wavefront_size32 1
		.amdhsa_uses_dynamic_stack 0
		.amdhsa_system_sgpr_private_segment_wavefront_offset 0
		.amdhsa_system_sgpr_workgroup_id_x 1
		.amdhsa_system_sgpr_workgroup_id_y 0
		.amdhsa_system_sgpr_workgroup_id_z 0
		.amdhsa_system_sgpr_workgroup_info 0
		.amdhsa_system_vgpr_workitem_id 0
		.amdhsa_next_free_vgpr 1
		.amdhsa_next_free_sgpr 1
		.amdhsa_reserve_vcc 0
		.amdhsa_reserve_flat_scratch 0
		.amdhsa_float_round_mode_32 0
		.amdhsa_float_round_mode_16_64 0
		.amdhsa_float_denorm_mode_32 3
		.amdhsa_float_denorm_mode_16_64 3
		.amdhsa_dx10_clamp 1
		.amdhsa_ieee_mode 1
		.amdhsa_fp16_overflow 0
		.amdhsa_workgroup_processor_mode 1
		.amdhsa_memory_ordered 1
		.amdhsa_forward_progress 1
		.amdhsa_shared_vgpr_count 0
		.amdhsa_exception_fp_ieee_invalid_op 0
		.amdhsa_exception_fp_denorm_src 0
		.amdhsa_exception_fp_ieee_div_zero 0
		.amdhsa_exception_fp_ieee_overflow 0
		.amdhsa_exception_fp_ieee_underflow 0
		.amdhsa_exception_fp_ieee_inexact 0
		.amdhsa_exception_int_div_zero 0
	.end_amdhsa_kernel
	.section	.text._ZN7rocprim17ROCPRIM_400000_NS6detail17trampoline_kernelINS0_14default_configENS1_36segmented_radix_sort_config_selectorIslEEZNS1_25segmented_radix_sort_implIS3_Lb1EPKsPsPKlPlN2at6native12_GLOBAL__N_18offset_tEEE10hipError_tPvRmT1_PNSt15iterator_traitsISK_E10value_typeET2_T3_PNSL_ISQ_E10value_typeET4_jRbjT5_SW_jjP12ihipStream_tbEUlT_E1_NS1_11comp_targetILNS1_3genE2ELNS1_11target_archE906ELNS1_3gpuE6ELNS1_3repE0EEENS1_59segmented_radix_sort_warp_sort_small_config_static_selectorELNS0_4arch9wavefront6targetE0EEEvSK_,"axG",@progbits,_ZN7rocprim17ROCPRIM_400000_NS6detail17trampoline_kernelINS0_14default_configENS1_36segmented_radix_sort_config_selectorIslEEZNS1_25segmented_radix_sort_implIS3_Lb1EPKsPsPKlPlN2at6native12_GLOBAL__N_18offset_tEEE10hipError_tPvRmT1_PNSt15iterator_traitsISK_E10value_typeET2_T3_PNSL_ISQ_E10value_typeET4_jRbjT5_SW_jjP12ihipStream_tbEUlT_E1_NS1_11comp_targetILNS1_3genE2ELNS1_11target_archE906ELNS1_3gpuE6ELNS1_3repE0EEENS1_59segmented_radix_sort_warp_sort_small_config_static_selectorELNS0_4arch9wavefront6targetE0EEEvSK_,comdat
.Lfunc_end929:
	.size	_ZN7rocprim17ROCPRIM_400000_NS6detail17trampoline_kernelINS0_14default_configENS1_36segmented_radix_sort_config_selectorIslEEZNS1_25segmented_radix_sort_implIS3_Lb1EPKsPsPKlPlN2at6native12_GLOBAL__N_18offset_tEEE10hipError_tPvRmT1_PNSt15iterator_traitsISK_E10value_typeET2_T3_PNSL_ISQ_E10value_typeET4_jRbjT5_SW_jjP12ihipStream_tbEUlT_E1_NS1_11comp_targetILNS1_3genE2ELNS1_11target_archE906ELNS1_3gpuE6ELNS1_3repE0EEENS1_59segmented_radix_sort_warp_sort_small_config_static_selectorELNS0_4arch9wavefront6targetE0EEEvSK_, .Lfunc_end929-_ZN7rocprim17ROCPRIM_400000_NS6detail17trampoline_kernelINS0_14default_configENS1_36segmented_radix_sort_config_selectorIslEEZNS1_25segmented_radix_sort_implIS3_Lb1EPKsPsPKlPlN2at6native12_GLOBAL__N_18offset_tEEE10hipError_tPvRmT1_PNSt15iterator_traitsISK_E10value_typeET2_T3_PNSL_ISQ_E10value_typeET4_jRbjT5_SW_jjP12ihipStream_tbEUlT_E1_NS1_11comp_targetILNS1_3genE2ELNS1_11target_archE906ELNS1_3gpuE6ELNS1_3repE0EEENS1_59segmented_radix_sort_warp_sort_small_config_static_selectorELNS0_4arch9wavefront6targetE0EEEvSK_
                                        ; -- End function
	.set _ZN7rocprim17ROCPRIM_400000_NS6detail17trampoline_kernelINS0_14default_configENS1_36segmented_radix_sort_config_selectorIslEEZNS1_25segmented_radix_sort_implIS3_Lb1EPKsPsPKlPlN2at6native12_GLOBAL__N_18offset_tEEE10hipError_tPvRmT1_PNSt15iterator_traitsISK_E10value_typeET2_T3_PNSL_ISQ_E10value_typeET4_jRbjT5_SW_jjP12ihipStream_tbEUlT_E1_NS1_11comp_targetILNS1_3genE2ELNS1_11target_archE906ELNS1_3gpuE6ELNS1_3repE0EEENS1_59segmented_radix_sort_warp_sort_small_config_static_selectorELNS0_4arch9wavefront6targetE0EEEvSK_.num_vgpr, 0
	.set _ZN7rocprim17ROCPRIM_400000_NS6detail17trampoline_kernelINS0_14default_configENS1_36segmented_radix_sort_config_selectorIslEEZNS1_25segmented_radix_sort_implIS3_Lb1EPKsPsPKlPlN2at6native12_GLOBAL__N_18offset_tEEE10hipError_tPvRmT1_PNSt15iterator_traitsISK_E10value_typeET2_T3_PNSL_ISQ_E10value_typeET4_jRbjT5_SW_jjP12ihipStream_tbEUlT_E1_NS1_11comp_targetILNS1_3genE2ELNS1_11target_archE906ELNS1_3gpuE6ELNS1_3repE0EEENS1_59segmented_radix_sort_warp_sort_small_config_static_selectorELNS0_4arch9wavefront6targetE0EEEvSK_.num_agpr, 0
	.set _ZN7rocprim17ROCPRIM_400000_NS6detail17trampoline_kernelINS0_14default_configENS1_36segmented_radix_sort_config_selectorIslEEZNS1_25segmented_radix_sort_implIS3_Lb1EPKsPsPKlPlN2at6native12_GLOBAL__N_18offset_tEEE10hipError_tPvRmT1_PNSt15iterator_traitsISK_E10value_typeET2_T3_PNSL_ISQ_E10value_typeET4_jRbjT5_SW_jjP12ihipStream_tbEUlT_E1_NS1_11comp_targetILNS1_3genE2ELNS1_11target_archE906ELNS1_3gpuE6ELNS1_3repE0EEENS1_59segmented_radix_sort_warp_sort_small_config_static_selectorELNS0_4arch9wavefront6targetE0EEEvSK_.numbered_sgpr, 0
	.set _ZN7rocprim17ROCPRIM_400000_NS6detail17trampoline_kernelINS0_14default_configENS1_36segmented_radix_sort_config_selectorIslEEZNS1_25segmented_radix_sort_implIS3_Lb1EPKsPsPKlPlN2at6native12_GLOBAL__N_18offset_tEEE10hipError_tPvRmT1_PNSt15iterator_traitsISK_E10value_typeET2_T3_PNSL_ISQ_E10value_typeET4_jRbjT5_SW_jjP12ihipStream_tbEUlT_E1_NS1_11comp_targetILNS1_3genE2ELNS1_11target_archE906ELNS1_3gpuE6ELNS1_3repE0EEENS1_59segmented_radix_sort_warp_sort_small_config_static_selectorELNS0_4arch9wavefront6targetE0EEEvSK_.num_named_barrier, 0
	.set _ZN7rocprim17ROCPRIM_400000_NS6detail17trampoline_kernelINS0_14default_configENS1_36segmented_radix_sort_config_selectorIslEEZNS1_25segmented_radix_sort_implIS3_Lb1EPKsPsPKlPlN2at6native12_GLOBAL__N_18offset_tEEE10hipError_tPvRmT1_PNSt15iterator_traitsISK_E10value_typeET2_T3_PNSL_ISQ_E10value_typeET4_jRbjT5_SW_jjP12ihipStream_tbEUlT_E1_NS1_11comp_targetILNS1_3genE2ELNS1_11target_archE906ELNS1_3gpuE6ELNS1_3repE0EEENS1_59segmented_radix_sort_warp_sort_small_config_static_selectorELNS0_4arch9wavefront6targetE0EEEvSK_.private_seg_size, 0
	.set _ZN7rocprim17ROCPRIM_400000_NS6detail17trampoline_kernelINS0_14default_configENS1_36segmented_radix_sort_config_selectorIslEEZNS1_25segmented_radix_sort_implIS3_Lb1EPKsPsPKlPlN2at6native12_GLOBAL__N_18offset_tEEE10hipError_tPvRmT1_PNSt15iterator_traitsISK_E10value_typeET2_T3_PNSL_ISQ_E10value_typeET4_jRbjT5_SW_jjP12ihipStream_tbEUlT_E1_NS1_11comp_targetILNS1_3genE2ELNS1_11target_archE906ELNS1_3gpuE6ELNS1_3repE0EEENS1_59segmented_radix_sort_warp_sort_small_config_static_selectorELNS0_4arch9wavefront6targetE0EEEvSK_.uses_vcc, 0
	.set _ZN7rocprim17ROCPRIM_400000_NS6detail17trampoline_kernelINS0_14default_configENS1_36segmented_radix_sort_config_selectorIslEEZNS1_25segmented_radix_sort_implIS3_Lb1EPKsPsPKlPlN2at6native12_GLOBAL__N_18offset_tEEE10hipError_tPvRmT1_PNSt15iterator_traitsISK_E10value_typeET2_T3_PNSL_ISQ_E10value_typeET4_jRbjT5_SW_jjP12ihipStream_tbEUlT_E1_NS1_11comp_targetILNS1_3genE2ELNS1_11target_archE906ELNS1_3gpuE6ELNS1_3repE0EEENS1_59segmented_radix_sort_warp_sort_small_config_static_selectorELNS0_4arch9wavefront6targetE0EEEvSK_.uses_flat_scratch, 0
	.set _ZN7rocprim17ROCPRIM_400000_NS6detail17trampoline_kernelINS0_14default_configENS1_36segmented_radix_sort_config_selectorIslEEZNS1_25segmented_radix_sort_implIS3_Lb1EPKsPsPKlPlN2at6native12_GLOBAL__N_18offset_tEEE10hipError_tPvRmT1_PNSt15iterator_traitsISK_E10value_typeET2_T3_PNSL_ISQ_E10value_typeET4_jRbjT5_SW_jjP12ihipStream_tbEUlT_E1_NS1_11comp_targetILNS1_3genE2ELNS1_11target_archE906ELNS1_3gpuE6ELNS1_3repE0EEENS1_59segmented_radix_sort_warp_sort_small_config_static_selectorELNS0_4arch9wavefront6targetE0EEEvSK_.has_dyn_sized_stack, 0
	.set _ZN7rocprim17ROCPRIM_400000_NS6detail17trampoline_kernelINS0_14default_configENS1_36segmented_radix_sort_config_selectorIslEEZNS1_25segmented_radix_sort_implIS3_Lb1EPKsPsPKlPlN2at6native12_GLOBAL__N_18offset_tEEE10hipError_tPvRmT1_PNSt15iterator_traitsISK_E10value_typeET2_T3_PNSL_ISQ_E10value_typeET4_jRbjT5_SW_jjP12ihipStream_tbEUlT_E1_NS1_11comp_targetILNS1_3genE2ELNS1_11target_archE906ELNS1_3gpuE6ELNS1_3repE0EEENS1_59segmented_radix_sort_warp_sort_small_config_static_selectorELNS0_4arch9wavefront6targetE0EEEvSK_.has_recursion, 0
	.set _ZN7rocprim17ROCPRIM_400000_NS6detail17trampoline_kernelINS0_14default_configENS1_36segmented_radix_sort_config_selectorIslEEZNS1_25segmented_radix_sort_implIS3_Lb1EPKsPsPKlPlN2at6native12_GLOBAL__N_18offset_tEEE10hipError_tPvRmT1_PNSt15iterator_traitsISK_E10value_typeET2_T3_PNSL_ISQ_E10value_typeET4_jRbjT5_SW_jjP12ihipStream_tbEUlT_E1_NS1_11comp_targetILNS1_3genE2ELNS1_11target_archE906ELNS1_3gpuE6ELNS1_3repE0EEENS1_59segmented_radix_sort_warp_sort_small_config_static_selectorELNS0_4arch9wavefront6targetE0EEEvSK_.has_indirect_call, 0
	.section	.AMDGPU.csdata,"",@progbits
; Kernel info:
; codeLenInByte = 0
; TotalNumSgprs: 0
; NumVgprs: 0
; ScratchSize: 0
; MemoryBound: 0
; FloatMode: 240
; IeeeMode: 1
; LDSByteSize: 0 bytes/workgroup (compile time only)
; SGPRBlocks: 0
; VGPRBlocks: 0
; NumSGPRsForWavesPerEU: 1
; NumVGPRsForWavesPerEU: 1
; Occupancy: 16
; WaveLimiterHint : 0
; COMPUTE_PGM_RSRC2:SCRATCH_EN: 0
; COMPUTE_PGM_RSRC2:USER_SGPR: 6
; COMPUTE_PGM_RSRC2:TRAP_HANDLER: 0
; COMPUTE_PGM_RSRC2:TGID_X_EN: 1
; COMPUTE_PGM_RSRC2:TGID_Y_EN: 0
; COMPUTE_PGM_RSRC2:TGID_Z_EN: 0
; COMPUTE_PGM_RSRC2:TIDIG_COMP_CNT: 0
	.section	.text._ZN7rocprim17ROCPRIM_400000_NS6detail17trampoline_kernelINS0_14default_configENS1_36segmented_radix_sort_config_selectorIslEEZNS1_25segmented_radix_sort_implIS3_Lb1EPKsPsPKlPlN2at6native12_GLOBAL__N_18offset_tEEE10hipError_tPvRmT1_PNSt15iterator_traitsISK_E10value_typeET2_T3_PNSL_ISQ_E10value_typeET4_jRbjT5_SW_jjP12ihipStream_tbEUlT_E1_NS1_11comp_targetILNS1_3genE10ELNS1_11target_archE1201ELNS1_3gpuE5ELNS1_3repE0EEENS1_59segmented_radix_sort_warp_sort_small_config_static_selectorELNS0_4arch9wavefront6targetE0EEEvSK_,"axG",@progbits,_ZN7rocprim17ROCPRIM_400000_NS6detail17trampoline_kernelINS0_14default_configENS1_36segmented_radix_sort_config_selectorIslEEZNS1_25segmented_radix_sort_implIS3_Lb1EPKsPsPKlPlN2at6native12_GLOBAL__N_18offset_tEEE10hipError_tPvRmT1_PNSt15iterator_traitsISK_E10value_typeET2_T3_PNSL_ISQ_E10value_typeET4_jRbjT5_SW_jjP12ihipStream_tbEUlT_E1_NS1_11comp_targetILNS1_3genE10ELNS1_11target_archE1201ELNS1_3gpuE5ELNS1_3repE0EEENS1_59segmented_radix_sort_warp_sort_small_config_static_selectorELNS0_4arch9wavefront6targetE0EEEvSK_,comdat
	.globl	_ZN7rocprim17ROCPRIM_400000_NS6detail17trampoline_kernelINS0_14default_configENS1_36segmented_radix_sort_config_selectorIslEEZNS1_25segmented_radix_sort_implIS3_Lb1EPKsPsPKlPlN2at6native12_GLOBAL__N_18offset_tEEE10hipError_tPvRmT1_PNSt15iterator_traitsISK_E10value_typeET2_T3_PNSL_ISQ_E10value_typeET4_jRbjT5_SW_jjP12ihipStream_tbEUlT_E1_NS1_11comp_targetILNS1_3genE10ELNS1_11target_archE1201ELNS1_3gpuE5ELNS1_3repE0EEENS1_59segmented_radix_sort_warp_sort_small_config_static_selectorELNS0_4arch9wavefront6targetE0EEEvSK_ ; -- Begin function _ZN7rocprim17ROCPRIM_400000_NS6detail17trampoline_kernelINS0_14default_configENS1_36segmented_radix_sort_config_selectorIslEEZNS1_25segmented_radix_sort_implIS3_Lb1EPKsPsPKlPlN2at6native12_GLOBAL__N_18offset_tEEE10hipError_tPvRmT1_PNSt15iterator_traitsISK_E10value_typeET2_T3_PNSL_ISQ_E10value_typeET4_jRbjT5_SW_jjP12ihipStream_tbEUlT_E1_NS1_11comp_targetILNS1_3genE10ELNS1_11target_archE1201ELNS1_3gpuE5ELNS1_3repE0EEENS1_59segmented_radix_sort_warp_sort_small_config_static_selectorELNS0_4arch9wavefront6targetE0EEEvSK_
	.p2align	8
	.type	_ZN7rocprim17ROCPRIM_400000_NS6detail17trampoline_kernelINS0_14default_configENS1_36segmented_radix_sort_config_selectorIslEEZNS1_25segmented_radix_sort_implIS3_Lb1EPKsPsPKlPlN2at6native12_GLOBAL__N_18offset_tEEE10hipError_tPvRmT1_PNSt15iterator_traitsISK_E10value_typeET2_T3_PNSL_ISQ_E10value_typeET4_jRbjT5_SW_jjP12ihipStream_tbEUlT_E1_NS1_11comp_targetILNS1_3genE10ELNS1_11target_archE1201ELNS1_3gpuE5ELNS1_3repE0EEENS1_59segmented_radix_sort_warp_sort_small_config_static_selectorELNS0_4arch9wavefront6targetE0EEEvSK_,@function
_ZN7rocprim17ROCPRIM_400000_NS6detail17trampoline_kernelINS0_14default_configENS1_36segmented_radix_sort_config_selectorIslEEZNS1_25segmented_radix_sort_implIS3_Lb1EPKsPsPKlPlN2at6native12_GLOBAL__N_18offset_tEEE10hipError_tPvRmT1_PNSt15iterator_traitsISK_E10value_typeET2_T3_PNSL_ISQ_E10value_typeET4_jRbjT5_SW_jjP12ihipStream_tbEUlT_E1_NS1_11comp_targetILNS1_3genE10ELNS1_11target_archE1201ELNS1_3gpuE5ELNS1_3repE0EEENS1_59segmented_radix_sort_warp_sort_small_config_static_selectorELNS0_4arch9wavefront6targetE0EEEvSK_: ; @_ZN7rocprim17ROCPRIM_400000_NS6detail17trampoline_kernelINS0_14default_configENS1_36segmented_radix_sort_config_selectorIslEEZNS1_25segmented_radix_sort_implIS3_Lb1EPKsPsPKlPlN2at6native12_GLOBAL__N_18offset_tEEE10hipError_tPvRmT1_PNSt15iterator_traitsISK_E10value_typeET2_T3_PNSL_ISQ_E10value_typeET4_jRbjT5_SW_jjP12ihipStream_tbEUlT_E1_NS1_11comp_targetILNS1_3genE10ELNS1_11target_archE1201ELNS1_3gpuE5ELNS1_3repE0EEENS1_59segmented_radix_sort_warp_sort_small_config_static_selectorELNS0_4arch9wavefront6targetE0EEEvSK_
; %bb.0:
	.section	.rodata,"a",@progbits
	.p2align	6, 0x0
	.amdhsa_kernel _ZN7rocprim17ROCPRIM_400000_NS6detail17trampoline_kernelINS0_14default_configENS1_36segmented_radix_sort_config_selectorIslEEZNS1_25segmented_radix_sort_implIS3_Lb1EPKsPsPKlPlN2at6native12_GLOBAL__N_18offset_tEEE10hipError_tPvRmT1_PNSt15iterator_traitsISK_E10value_typeET2_T3_PNSL_ISQ_E10value_typeET4_jRbjT5_SW_jjP12ihipStream_tbEUlT_E1_NS1_11comp_targetILNS1_3genE10ELNS1_11target_archE1201ELNS1_3gpuE5ELNS1_3repE0EEENS1_59segmented_radix_sort_warp_sort_small_config_static_selectorELNS0_4arch9wavefront6targetE0EEEvSK_
		.amdhsa_group_segment_fixed_size 0
		.amdhsa_private_segment_fixed_size 0
		.amdhsa_kernarg_size 88
		.amdhsa_user_sgpr_count 6
		.amdhsa_user_sgpr_private_segment_buffer 1
		.amdhsa_user_sgpr_dispatch_ptr 0
		.amdhsa_user_sgpr_queue_ptr 0
		.amdhsa_user_sgpr_kernarg_segment_ptr 1
		.amdhsa_user_sgpr_dispatch_id 0
		.amdhsa_user_sgpr_flat_scratch_init 0
		.amdhsa_user_sgpr_private_segment_size 0
		.amdhsa_wavefront_size32 1
		.amdhsa_uses_dynamic_stack 0
		.amdhsa_system_sgpr_private_segment_wavefront_offset 0
		.amdhsa_system_sgpr_workgroup_id_x 1
		.amdhsa_system_sgpr_workgroup_id_y 0
		.amdhsa_system_sgpr_workgroup_id_z 0
		.amdhsa_system_sgpr_workgroup_info 0
		.amdhsa_system_vgpr_workitem_id 0
		.amdhsa_next_free_vgpr 1
		.amdhsa_next_free_sgpr 1
		.amdhsa_reserve_vcc 0
		.amdhsa_reserve_flat_scratch 0
		.amdhsa_float_round_mode_32 0
		.amdhsa_float_round_mode_16_64 0
		.amdhsa_float_denorm_mode_32 3
		.amdhsa_float_denorm_mode_16_64 3
		.amdhsa_dx10_clamp 1
		.amdhsa_ieee_mode 1
		.amdhsa_fp16_overflow 0
		.amdhsa_workgroup_processor_mode 1
		.amdhsa_memory_ordered 1
		.amdhsa_forward_progress 1
		.amdhsa_shared_vgpr_count 0
		.amdhsa_exception_fp_ieee_invalid_op 0
		.amdhsa_exception_fp_denorm_src 0
		.amdhsa_exception_fp_ieee_div_zero 0
		.amdhsa_exception_fp_ieee_overflow 0
		.amdhsa_exception_fp_ieee_underflow 0
		.amdhsa_exception_fp_ieee_inexact 0
		.amdhsa_exception_int_div_zero 0
	.end_amdhsa_kernel
	.section	.text._ZN7rocprim17ROCPRIM_400000_NS6detail17trampoline_kernelINS0_14default_configENS1_36segmented_radix_sort_config_selectorIslEEZNS1_25segmented_radix_sort_implIS3_Lb1EPKsPsPKlPlN2at6native12_GLOBAL__N_18offset_tEEE10hipError_tPvRmT1_PNSt15iterator_traitsISK_E10value_typeET2_T3_PNSL_ISQ_E10value_typeET4_jRbjT5_SW_jjP12ihipStream_tbEUlT_E1_NS1_11comp_targetILNS1_3genE10ELNS1_11target_archE1201ELNS1_3gpuE5ELNS1_3repE0EEENS1_59segmented_radix_sort_warp_sort_small_config_static_selectorELNS0_4arch9wavefront6targetE0EEEvSK_,"axG",@progbits,_ZN7rocprim17ROCPRIM_400000_NS6detail17trampoline_kernelINS0_14default_configENS1_36segmented_radix_sort_config_selectorIslEEZNS1_25segmented_radix_sort_implIS3_Lb1EPKsPsPKlPlN2at6native12_GLOBAL__N_18offset_tEEE10hipError_tPvRmT1_PNSt15iterator_traitsISK_E10value_typeET2_T3_PNSL_ISQ_E10value_typeET4_jRbjT5_SW_jjP12ihipStream_tbEUlT_E1_NS1_11comp_targetILNS1_3genE10ELNS1_11target_archE1201ELNS1_3gpuE5ELNS1_3repE0EEENS1_59segmented_radix_sort_warp_sort_small_config_static_selectorELNS0_4arch9wavefront6targetE0EEEvSK_,comdat
.Lfunc_end930:
	.size	_ZN7rocprim17ROCPRIM_400000_NS6detail17trampoline_kernelINS0_14default_configENS1_36segmented_radix_sort_config_selectorIslEEZNS1_25segmented_radix_sort_implIS3_Lb1EPKsPsPKlPlN2at6native12_GLOBAL__N_18offset_tEEE10hipError_tPvRmT1_PNSt15iterator_traitsISK_E10value_typeET2_T3_PNSL_ISQ_E10value_typeET4_jRbjT5_SW_jjP12ihipStream_tbEUlT_E1_NS1_11comp_targetILNS1_3genE10ELNS1_11target_archE1201ELNS1_3gpuE5ELNS1_3repE0EEENS1_59segmented_radix_sort_warp_sort_small_config_static_selectorELNS0_4arch9wavefront6targetE0EEEvSK_, .Lfunc_end930-_ZN7rocprim17ROCPRIM_400000_NS6detail17trampoline_kernelINS0_14default_configENS1_36segmented_radix_sort_config_selectorIslEEZNS1_25segmented_radix_sort_implIS3_Lb1EPKsPsPKlPlN2at6native12_GLOBAL__N_18offset_tEEE10hipError_tPvRmT1_PNSt15iterator_traitsISK_E10value_typeET2_T3_PNSL_ISQ_E10value_typeET4_jRbjT5_SW_jjP12ihipStream_tbEUlT_E1_NS1_11comp_targetILNS1_3genE10ELNS1_11target_archE1201ELNS1_3gpuE5ELNS1_3repE0EEENS1_59segmented_radix_sort_warp_sort_small_config_static_selectorELNS0_4arch9wavefront6targetE0EEEvSK_
                                        ; -- End function
	.set _ZN7rocprim17ROCPRIM_400000_NS6detail17trampoline_kernelINS0_14default_configENS1_36segmented_radix_sort_config_selectorIslEEZNS1_25segmented_radix_sort_implIS3_Lb1EPKsPsPKlPlN2at6native12_GLOBAL__N_18offset_tEEE10hipError_tPvRmT1_PNSt15iterator_traitsISK_E10value_typeET2_T3_PNSL_ISQ_E10value_typeET4_jRbjT5_SW_jjP12ihipStream_tbEUlT_E1_NS1_11comp_targetILNS1_3genE10ELNS1_11target_archE1201ELNS1_3gpuE5ELNS1_3repE0EEENS1_59segmented_radix_sort_warp_sort_small_config_static_selectorELNS0_4arch9wavefront6targetE0EEEvSK_.num_vgpr, 0
	.set _ZN7rocprim17ROCPRIM_400000_NS6detail17trampoline_kernelINS0_14default_configENS1_36segmented_radix_sort_config_selectorIslEEZNS1_25segmented_radix_sort_implIS3_Lb1EPKsPsPKlPlN2at6native12_GLOBAL__N_18offset_tEEE10hipError_tPvRmT1_PNSt15iterator_traitsISK_E10value_typeET2_T3_PNSL_ISQ_E10value_typeET4_jRbjT5_SW_jjP12ihipStream_tbEUlT_E1_NS1_11comp_targetILNS1_3genE10ELNS1_11target_archE1201ELNS1_3gpuE5ELNS1_3repE0EEENS1_59segmented_radix_sort_warp_sort_small_config_static_selectorELNS0_4arch9wavefront6targetE0EEEvSK_.num_agpr, 0
	.set _ZN7rocprim17ROCPRIM_400000_NS6detail17trampoline_kernelINS0_14default_configENS1_36segmented_radix_sort_config_selectorIslEEZNS1_25segmented_radix_sort_implIS3_Lb1EPKsPsPKlPlN2at6native12_GLOBAL__N_18offset_tEEE10hipError_tPvRmT1_PNSt15iterator_traitsISK_E10value_typeET2_T3_PNSL_ISQ_E10value_typeET4_jRbjT5_SW_jjP12ihipStream_tbEUlT_E1_NS1_11comp_targetILNS1_3genE10ELNS1_11target_archE1201ELNS1_3gpuE5ELNS1_3repE0EEENS1_59segmented_radix_sort_warp_sort_small_config_static_selectorELNS0_4arch9wavefront6targetE0EEEvSK_.numbered_sgpr, 0
	.set _ZN7rocprim17ROCPRIM_400000_NS6detail17trampoline_kernelINS0_14default_configENS1_36segmented_radix_sort_config_selectorIslEEZNS1_25segmented_radix_sort_implIS3_Lb1EPKsPsPKlPlN2at6native12_GLOBAL__N_18offset_tEEE10hipError_tPvRmT1_PNSt15iterator_traitsISK_E10value_typeET2_T3_PNSL_ISQ_E10value_typeET4_jRbjT5_SW_jjP12ihipStream_tbEUlT_E1_NS1_11comp_targetILNS1_3genE10ELNS1_11target_archE1201ELNS1_3gpuE5ELNS1_3repE0EEENS1_59segmented_radix_sort_warp_sort_small_config_static_selectorELNS0_4arch9wavefront6targetE0EEEvSK_.num_named_barrier, 0
	.set _ZN7rocprim17ROCPRIM_400000_NS6detail17trampoline_kernelINS0_14default_configENS1_36segmented_radix_sort_config_selectorIslEEZNS1_25segmented_radix_sort_implIS3_Lb1EPKsPsPKlPlN2at6native12_GLOBAL__N_18offset_tEEE10hipError_tPvRmT1_PNSt15iterator_traitsISK_E10value_typeET2_T3_PNSL_ISQ_E10value_typeET4_jRbjT5_SW_jjP12ihipStream_tbEUlT_E1_NS1_11comp_targetILNS1_3genE10ELNS1_11target_archE1201ELNS1_3gpuE5ELNS1_3repE0EEENS1_59segmented_radix_sort_warp_sort_small_config_static_selectorELNS0_4arch9wavefront6targetE0EEEvSK_.private_seg_size, 0
	.set _ZN7rocprim17ROCPRIM_400000_NS6detail17trampoline_kernelINS0_14default_configENS1_36segmented_radix_sort_config_selectorIslEEZNS1_25segmented_radix_sort_implIS3_Lb1EPKsPsPKlPlN2at6native12_GLOBAL__N_18offset_tEEE10hipError_tPvRmT1_PNSt15iterator_traitsISK_E10value_typeET2_T3_PNSL_ISQ_E10value_typeET4_jRbjT5_SW_jjP12ihipStream_tbEUlT_E1_NS1_11comp_targetILNS1_3genE10ELNS1_11target_archE1201ELNS1_3gpuE5ELNS1_3repE0EEENS1_59segmented_radix_sort_warp_sort_small_config_static_selectorELNS0_4arch9wavefront6targetE0EEEvSK_.uses_vcc, 0
	.set _ZN7rocprim17ROCPRIM_400000_NS6detail17trampoline_kernelINS0_14default_configENS1_36segmented_radix_sort_config_selectorIslEEZNS1_25segmented_radix_sort_implIS3_Lb1EPKsPsPKlPlN2at6native12_GLOBAL__N_18offset_tEEE10hipError_tPvRmT1_PNSt15iterator_traitsISK_E10value_typeET2_T3_PNSL_ISQ_E10value_typeET4_jRbjT5_SW_jjP12ihipStream_tbEUlT_E1_NS1_11comp_targetILNS1_3genE10ELNS1_11target_archE1201ELNS1_3gpuE5ELNS1_3repE0EEENS1_59segmented_radix_sort_warp_sort_small_config_static_selectorELNS0_4arch9wavefront6targetE0EEEvSK_.uses_flat_scratch, 0
	.set _ZN7rocprim17ROCPRIM_400000_NS6detail17trampoline_kernelINS0_14default_configENS1_36segmented_radix_sort_config_selectorIslEEZNS1_25segmented_radix_sort_implIS3_Lb1EPKsPsPKlPlN2at6native12_GLOBAL__N_18offset_tEEE10hipError_tPvRmT1_PNSt15iterator_traitsISK_E10value_typeET2_T3_PNSL_ISQ_E10value_typeET4_jRbjT5_SW_jjP12ihipStream_tbEUlT_E1_NS1_11comp_targetILNS1_3genE10ELNS1_11target_archE1201ELNS1_3gpuE5ELNS1_3repE0EEENS1_59segmented_radix_sort_warp_sort_small_config_static_selectorELNS0_4arch9wavefront6targetE0EEEvSK_.has_dyn_sized_stack, 0
	.set _ZN7rocprim17ROCPRIM_400000_NS6detail17trampoline_kernelINS0_14default_configENS1_36segmented_radix_sort_config_selectorIslEEZNS1_25segmented_radix_sort_implIS3_Lb1EPKsPsPKlPlN2at6native12_GLOBAL__N_18offset_tEEE10hipError_tPvRmT1_PNSt15iterator_traitsISK_E10value_typeET2_T3_PNSL_ISQ_E10value_typeET4_jRbjT5_SW_jjP12ihipStream_tbEUlT_E1_NS1_11comp_targetILNS1_3genE10ELNS1_11target_archE1201ELNS1_3gpuE5ELNS1_3repE0EEENS1_59segmented_radix_sort_warp_sort_small_config_static_selectorELNS0_4arch9wavefront6targetE0EEEvSK_.has_recursion, 0
	.set _ZN7rocprim17ROCPRIM_400000_NS6detail17trampoline_kernelINS0_14default_configENS1_36segmented_radix_sort_config_selectorIslEEZNS1_25segmented_radix_sort_implIS3_Lb1EPKsPsPKlPlN2at6native12_GLOBAL__N_18offset_tEEE10hipError_tPvRmT1_PNSt15iterator_traitsISK_E10value_typeET2_T3_PNSL_ISQ_E10value_typeET4_jRbjT5_SW_jjP12ihipStream_tbEUlT_E1_NS1_11comp_targetILNS1_3genE10ELNS1_11target_archE1201ELNS1_3gpuE5ELNS1_3repE0EEENS1_59segmented_radix_sort_warp_sort_small_config_static_selectorELNS0_4arch9wavefront6targetE0EEEvSK_.has_indirect_call, 0
	.section	.AMDGPU.csdata,"",@progbits
; Kernel info:
; codeLenInByte = 0
; TotalNumSgprs: 0
; NumVgprs: 0
; ScratchSize: 0
; MemoryBound: 0
; FloatMode: 240
; IeeeMode: 1
; LDSByteSize: 0 bytes/workgroup (compile time only)
; SGPRBlocks: 0
; VGPRBlocks: 0
; NumSGPRsForWavesPerEU: 1
; NumVGPRsForWavesPerEU: 1
; Occupancy: 16
; WaveLimiterHint : 0
; COMPUTE_PGM_RSRC2:SCRATCH_EN: 0
; COMPUTE_PGM_RSRC2:USER_SGPR: 6
; COMPUTE_PGM_RSRC2:TRAP_HANDLER: 0
; COMPUTE_PGM_RSRC2:TGID_X_EN: 1
; COMPUTE_PGM_RSRC2:TGID_Y_EN: 0
; COMPUTE_PGM_RSRC2:TGID_Z_EN: 0
; COMPUTE_PGM_RSRC2:TIDIG_COMP_CNT: 0
	.section	.text._ZN7rocprim17ROCPRIM_400000_NS6detail17trampoline_kernelINS0_14default_configENS1_36segmented_radix_sort_config_selectorIslEEZNS1_25segmented_radix_sort_implIS3_Lb1EPKsPsPKlPlN2at6native12_GLOBAL__N_18offset_tEEE10hipError_tPvRmT1_PNSt15iterator_traitsISK_E10value_typeET2_T3_PNSL_ISQ_E10value_typeET4_jRbjT5_SW_jjP12ihipStream_tbEUlT_E1_NS1_11comp_targetILNS1_3genE10ELNS1_11target_archE1200ELNS1_3gpuE4ELNS1_3repE0EEENS1_59segmented_radix_sort_warp_sort_small_config_static_selectorELNS0_4arch9wavefront6targetE0EEEvSK_,"axG",@progbits,_ZN7rocprim17ROCPRIM_400000_NS6detail17trampoline_kernelINS0_14default_configENS1_36segmented_radix_sort_config_selectorIslEEZNS1_25segmented_radix_sort_implIS3_Lb1EPKsPsPKlPlN2at6native12_GLOBAL__N_18offset_tEEE10hipError_tPvRmT1_PNSt15iterator_traitsISK_E10value_typeET2_T3_PNSL_ISQ_E10value_typeET4_jRbjT5_SW_jjP12ihipStream_tbEUlT_E1_NS1_11comp_targetILNS1_3genE10ELNS1_11target_archE1200ELNS1_3gpuE4ELNS1_3repE0EEENS1_59segmented_radix_sort_warp_sort_small_config_static_selectorELNS0_4arch9wavefront6targetE0EEEvSK_,comdat
	.globl	_ZN7rocprim17ROCPRIM_400000_NS6detail17trampoline_kernelINS0_14default_configENS1_36segmented_radix_sort_config_selectorIslEEZNS1_25segmented_radix_sort_implIS3_Lb1EPKsPsPKlPlN2at6native12_GLOBAL__N_18offset_tEEE10hipError_tPvRmT1_PNSt15iterator_traitsISK_E10value_typeET2_T3_PNSL_ISQ_E10value_typeET4_jRbjT5_SW_jjP12ihipStream_tbEUlT_E1_NS1_11comp_targetILNS1_3genE10ELNS1_11target_archE1200ELNS1_3gpuE4ELNS1_3repE0EEENS1_59segmented_radix_sort_warp_sort_small_config_static_selectorELNS0_4arch9wavefront6targetE0EEEvSK_ ; -- Begin function _ZN7rocprim17ROCPRIM_400000_NS6detail17trampoline_kernelINS0_14default_configENS1_36segmented_radix_sort_config_selectorIslEEZNS1_25segmented_radix_sort_implIS3_Lb1EPKsPsPKlPlN2at6native12_GLOBAL__N_18offset_tEEE10hipError_tPvRmT1_PNSt15iterator_traitsISK_E10value_typeET2_T3_PNSL_ISQ_E10value_typeET4_jRbjT5_SW_jjP12ihipStream_tbEUlT_E1_NS1_11comp_targetILNS1_3genE10ELNS1_11target_archE1200ELNS1_3gpuE4ELNS1_3repE0EEENS1_59segmented_radix_sort_warp_sort_small_config_static_selectorELNS0_4arch9wavefront6targetE0EEEvSK_
	.p2align	8
	.type	_ZN7rocprim17ROCPRIM_400000_NS6detail17trampoline_kernelINS0_14default_configENS1_36segmented_radix_sort_config_selectorIslEEZNS1_25segmented_radix_sort_implIS3_Lb1EPKsPsPKlPlN2at6native12_GLOBAL__N_18offset_tEEE10hipError_tPvRmT1_PNSt15iterator_traitsISK_E10value_typeET2_T3_PNSL_ISQ_E10value_typeET4_jRbjT5_SW_jjP12ihipStream_tbEUlT_E1_NS1_11comp_targetILNS1_3genE10ELNS1_11target_archE1200ELNS1_3gpuE4ELNS1_3repE0EEENS1_59segmented_radix_sort_warp_sort_small_config_static_selectorELNS0_4arch9wavefront6targetE0EEEvSK_,@function
_ZN7rocprim17ROCPRIM_400000_NS6detail17trampoline_kernelINS0_14default_configENS1_36segmented_radix_sort_config_selectorIslEEZNS1_25segmented_radix_sort_implIS3_Lb1EPKsPsPKlPlN2at6native12_GLOBAL__N_18offset_tEEE10hipError_tPvRmT1_PNSt15iterator_traitsISK_E10value_typeET2_T3_PNSL_ISQ_E10value_typeET4_jRbjT5_SW_jjP12ihipStream_tbEUlT_E1_NS1_11comp_targetILNS1_3genE10ELNS1_11target_archE1200ELNS1_3gpuE4ELNS1_3repE0EEENS1_59segmented_radix_sort_warp_sort_small_config_static_selectorELNS0_4arch9wavefront6targetE0EEEvSK_: ; @_ZN7rocprim17ROCPRIM_400000_NS6detail17trampoline_kernelINS0_14default_configENS1_36segmented_radix_sort_config_selectorIslEEZNS1_25segmented_radix_sort_implIS3_Lb1EPKsPsPKlPlN2at6native12_GLOBAL__N_18offset_tEEE10hipError_tPvRmT1_PNSt15iterator_traitsISK_E10value_typeET2_T3_PNSL_ISQ_E10value_typeET4_jRbjT5_SW_jjP12ihipStream_tbEUlT_E1_NS1_11comp_targetILNS1_3genE10ELNS1_11target_archE1200ELNS1_3gpuE4ELNS1_3repE0EEENS1_59segmented_radix_sort_warp_sort_small_config_static_selectorELNS0_4arch9wavefront6targetE0EEEvSK_
; %bb.0:
	.section	.rodata,"a",@progbits
	.p2align	6, 0x0
	.amdhsa_kernel _ZN7rocprim17ROCPRIM_400000_NS6detail17trampoline_kernelINS0_14default_configENS1_36segmented_radix_sort_config_selectorIslEEZNS1_25segmented_radix_sort_implIS3_Lb1EPKsPsPKlPlN2at6native12_GLOBAL__N_18offset_tEEE10hipError_tPvRmT1_PNSt15iterator_traitsISK_E10value_typeET2_T3_PNSL_ISQ_E10value_typeET4_jRbjT5_SW_jjP12ihipStream_tbEUlT_E1_NS1_11comp_targetILNS1_3genE10ELNS1_11target_archE1200ELNS1_3gpuE4ELNS1_3repE0EEENS1_59segmented_radix_sort_warp_sort_small_config_static_selectorELNS0_4arch9wavefront6targetE0EEEvSK_
		.amdhsa_group_segment_fixed_size 0
		.amdhsa_private_segment_fixed_size 0
		.amdhsa_kernarg_size 88
		.amdhsa_user_sgpr_count 6
		.amdhsa_user_sgpr_private_segment_buffer 1
		.amdhsa_user_sgpr_dispatch_ptr 0
		.amdhsa_user_sgpr_queue_ptr 0
		.amdhsa_user_sgpr_kernarg_segment_ptr 1
		.amdhsa_user_sgpr_dispatch_id 0
		.amdhsa_user_sgpr_flat_scratch_init 0
		.amdhsa_user_sgpr_private_segment_size 0
		.amdhsa_wavefront_size32 1
		.amdhsa_uses_dynamic_stack 0
		.amdhsa_system_sgpr_private_segment_wavefront_offset 0
		.amdhsa_system_sgpr_workgroup_id_x 1
		.amdhsa_system_sgpr_workgroup_id_y 0
		.amdhsa_system_sgpr_workgroup_id_z 0
		.amdhsa_system_sgpr_workgroup_info 0
		.amdhsa_system_vgpr_workitem_id 0
		.amdhsa_next_free_vgpr 1
		.amdhsa_next_free_sgpr 1
		.amdhsa_reserve_vcc 0
		.amdhsa_reserve_flat_scratch 0
		.amdhsa_float_round_mode_32 0
		.amdhsa_float_round_mode_16_64 0
		.amdhsa_float_denorm_mode_32 3
		.amdhsa_float_denorm_mode_16_64 3
		.amdhsa_dx10_clamp 1
		.amdhsa_ieee_mode 1
		.amdhsa_fp16_overflow 0
		.amdhsa_workgroup_processor_mode 1
		.amdhsa_memory_ordered 1
		.amdhsa_forward_progress 1
		.amdhsa_shared_vgpr_count 0
		.amdhsa_exception_fp_ieee_invalid_op 0
		.amdhsa_exception_fp_denorm_src 0
		.amdhsa_exception_fp_ieee_div_zero 0
		.amdhsa_exception_fp_ieee_overflow 0
		.amdhsa_exception_fp_ieee_underflow 0
		.amdhsa_exception_fp_ieee_inexact 0
		.amdhsa_exception_int_div_zero 0
	.end_amdhsa_kernel
	.section	.text._ZN7rocprim17ROCPRIM_400000_NS6detail17trampoline_kernelINS0_14default_configENS1_36segmented_radix_sort_config_selectorIslEEZNS1_25segmented_radix_sort_implIS3_Lb1EPKsPsPKlPlN2at6native12_GLOBAL__N_18offset_tEEE10hipError_tPvRmT1_PNSt15iterator_traitsISK_E10value_typeET2_T3_PNSL_ISQ_E10value_typeET4_jRbjT5_SW_jjP12ihipStream_tbEUlT_E1_NS1_11comp_targetILNS1_3genE10ELNS1_11target_archE1200ELNS1_3gpuE4ELNS1_3repE0EEENS1_59segmented_radix_sort_warp_sort_small_config_static_selectorELNS0_4arch9wavefront6targetE0EEEvSK_,"axG",@progbits,_ZN7rocprim17ROCPRIM_400000_NS6detail17trampoline_kernelINS0_14default_configENS1_36segmented_radix_sort_config_selectorIslEEZNS1_25segmented_radix_sort_implIS3_Lb1EPKsPsPKlPlN2at6native12_GLOBAL__N_18offset_tEEE10hipError_tPvRmT1_PNSt15iterator_traitsISK_E10value_typeET2_T3_PNSL_ISQ_E10value_typeET4_jRbjT5_SW_jjP12ihipStream_tbEUlT_E1_NS1_11comp_targetILNS1_3genE10ELNS1_11target_archE1200ELNS1_3gpuE4ELNS1_3repE0EEENS1_59segmented_radix_sort_warp_sort_small_config_static_selectorELNS0_4arch9wavefront6targetE0EEEvSK_,comdat
.Lfunc_end931:
	.size	_ZN7rocprim17ROCPRIM_400000_NS6detail17trampoline_kernelINS0_14default_configENS1_36segmented_radix_sort_config_selectorIslEEZNS1_25segmented_radix_sort_implIS3_Lb1EPKsPsPKlPlN2at6native12_GLOBAL__N_18offset_tEEE10hipError_tPvRmT1_PNSt15iterator_traitsISK_E10value_typeET2_T3_PNSL_ISQ_E10value_typeET4_jRbjT5_SW_jjP12ihipStream_tbEUlT_E1_NS1_11comp_targetILNS1_3genE10ELNS1_11target_archE1200ELNS1_3gpuE4ELNS1_3repE0EEENS1_59segmented_radix_sort_warp_sort_small_config_static_selectorELNS0_4arch9wavefront6targetE0EEEvSK_, .Lfunc_end931-_ZN7rocprim17ROCPRIM_400000_NS6detail17trampoline_kernelINS0_14default_configENS1_36segmented_radix_sort_config_selectorIslEEZNS1_25segmented_radix_sort_implIS3_Lb1EPKsPsPKlPlN2at6native12_GLOBAL__N_18offset_tEEE10hipError_tPvRmT1_PNSt15iterator_traitsISK_E10value_typeET2_T3_PNSL_ISQ_E10value_typeET4_jRbjT5_SW_jjP12ihipStream_tbEUlT_E1_NS1_11comp_targetILNS1_3genE10ELNS1_11target_archE1200ELNS1_3gpuE4ELNS1_3repE0EEENS1_59segmented_radix_sort_warp_sort_small_config_static_selectorELNS0_4arch9wavefront6targetE0EEEvSK_
                                        ; -- End function
	.set _ZN7rocprim17ROCPRIM_400000_NS6detail17trampoline_kernelINS0_14default_configENS1_36segmented_radix_sort_config_selectorIslEEZNS1_25segmented_radix_sort_implIS3_Lb1EPKsPsPKlPlN2at6native12_GLOBAL__N_18offset_tEEE10hipError_tPvRmT1_PNSt15iterator_traitsISK_E10value_typeET2_T3_PNSL_ISQ_E10value_typeET4_jRbjT5_SW_jjP12ihipStream_tbEUlT_E1_NS1_11comp_targetILNS1_3genE10ELNS1_11target_archE1200ELNS1_3gpuE4ELNS1_3repE0EEENS1_59segmented_radix_sort_warp_sort_small_config_static_selectorELNS0_4arch9wavefront6targetE0EEEvSK_.num_vgpr, 0
	.set _ZN7rocprim17ROCPRIM_400000_NS6detail17trampoline_kernelINS0_14default_configENS1_36segmented_radix_sort_config_selectorIslEEZNS1_25segmented_radix_sort_implIS3_Lb1EPKsPsPKlPlN2at6native12_GLOBAL__N_18offset_tEEE10hipError_tPvRmT1_PNSt15iterator_traitsISK_E10value_typeET2_T3_PNSL_ISQ_E10value_typeET4_jRbjT5_SW_jjP12ihipStream_tbEUlT_E1_NS1_11comp_targetILNS1_3genE10ELNS1_11target_archE1200ELNS1_3gpuE4ELNS1_3repE0EEENS1_59segmented_radix_sort_warp_sort_small_config_static_selectorELNS0_4arch9wavefront6targetE0EEEvSK_.num_agpr, 0
	.set _ZN7rocprim17ROCPRIM_400000_NS6detail17trampoline_kernelINS0_14default_configENS1_36segmented_radix_sort_config_selectorIslEEZNS1_25segmented_radix_sort_implIS3_Lb1EPKsPsPKlPlN2at6native12_GLOBAL__N_18offset_tEEE10hipError_tPvRmT1_PNSt15iterator_traitsISK_E10value_typeET2_T3_PNSL_ISQ_E10value_typeET4_jRbjT5_SW_jjP12ihipStream_tbEUlT_E1_NS1_11comp_targetILNS1_3genE10ELNS1_11target_archE1200ELNS1_3gpuE4ELNS1_3repE0EEENS1_59segmented_radix_sort_warp_sort_small_config_static_selectorELNS0_4arch9wavefront6targetE0EEEvSK_.numbered_sgpr, 0
	.set _ZN7rocprim17ROCPRIM_400000_NS6detail17trampoline_kernelINS0_14default_configENS1_36segmented_radix_sort_config_selectorIslEEZNS1_25segmented_radix_sort_implIS3_Lb1EPKsPsPKlPlN2at6native12_GLOBAL__N_18offset_tEEE10hipError_tPvRmT1_PNSt15iterator_traitsISK_E10value_typeET2_T3_PNSL_ISQ_E10value_typeET4_jRbjT5_SW_jjP12ihipStream_tbEUlT_E1_NS1_11comp_targetILNS1_3genE10ELNS1_11target_archE1200ELNS1_3gpuE4ELNS1_3repE0EEENS1_59segmented_radix_sort_warp_sort_small_config_static_selectorELNS0_4arch9wavefront6targetE0EEEvSK_.num_named_barrier, 0
	.set _ZN7rocprim17ROCPRIM_400000_NS6detail17trampoline_kernelINS0_14default_configENS1_36segmented_radix_sort_config_selectorIslEEZNS1_25segmented_radix_sort_implIS3_Lb1EPKsPsPKlPlN2at6native12_GLOBAL__N_18offset_tEEE10hipError_tPvRmT1_PNSt15iterator_traitsISK_E10value_typeET2_T3_PNSL_ISQ_E10value_typeET4_jRbjT5_SW_jjP12ihipStream_tbEUlT_E1_NS1_11comp_targetILNS1_3genE10ELNS1_11target_archE1200ELNS1_3gpuE4ELNS1_3repE0EEENS1_59segmented_radix_sort_warp_sort_small_config_static_selectorELNS0_4arch9wavefront6targetE0EEEvSK_.private_seg_size, 0
	.set _ZN7rocprim17ROCPRIM_400000_NS6detail17trampoline_kernelINS0_14default_configENS1_36segmented_radix_sort_config_selectorIslEEZNS1_25segmented_radix_sort_implIS3_Lb1EPKsPsPKlPlN2at6native12_GLOBAL__N_18offset_tEEE10hipError_tPvRmT1_PNSt15iterator_traitsISK_E10value_typeET2_T3_PNSL_ISQ_E10value_typeET4_jRbjT5_SW_jjP12ihipStream_tbEUlT_E1_NS1_11comp_targetILNS1_3genE10ELNS1_11target_archE1200ELNS1_3gpuE4ELNS1_3repE0EEENS1_59segmented_radix_sort_warp_sort_small_config_static_selectorELNS0_4arch9wavefront6targetE0EEEvSK_.uses_vcc, 0
	.set _ZN7rocprim17ROCPRIM_400000_NS6detail17trampoline_kernelINS0_14default_configENS1_36segmented_radix_sort_config_selectorIslEEZNS1_25segmented_radix_sort_implIS3_Lb1EPKsPsPKlPlN2at6native12_GLOBAL__N_18offset_tEEE10hipError_tPvRmT1_PNSt15iterator_traitsISK_E10value_typeET2_T3_PNSL_ISQ_E10value_typeET4_jRbjT5_SW_jjP12ihipStream_tbEUlT_E1_NS1_11comp_targetILNS1_3genE10ELNS1_11target_archE1200ELNS1_3gpuE4ELNS1_3repE0EEENS1_59segmented_radix_sort_warp_sort_small_config_static_selectorELNS0_4arch9wavefront6targetE0EEEvSK_.uses_flat_scratch, 0
	.set _ZN7rocprim17ROCPRIM_400000_NS6detail17trampoline_kernelINS0_14default_configENS1_36segmented_radix_sort_config_selectorIslEEZNS1_25segmented_radix_sort_implIS3_Lb1EPKsPsPKlPlN2at6native12_GLOBAL__N_18offset_tEEE10hipError_tPvRmT1_PNSt15iterator_traitsISK_E10value_typeET2_T3_PNSL_ISQ_E10value_typeET4_jRbjT5_SW_jjP12ihipStream_tbEUlT_E1_NS1_11comp_targetILNS1_3genE10ELNS1_11target_archE1200ELNS1_3gpuE4ELNS1_3repE0EEENS1_59segmented_radix_sort_warp_sort_small_config_static_selectorELNS0_4arch9wavefront6targetE0EEEvSK_.has_dyn_sized_stack, 0
	.set _ZN7rocprim17ROCPRIM_400000_NS6detail17trampoline_kernelINS0_14default_configENS1_36segmented_radix_sort_config_selectorIslEEZNS1_25segmented_radix_sort_implIS3_Lb1EPKsPsPKlPlN2at6native12_GLOBAL__N_18offset_tEEE10hipError_tPvRmT1_PNSt15iterator_traitsISK_E10value_typeET2_T3_PNSL_ISQ_E10value_typeET4_jRbjT5_SW_jjP12ihipStream_tbEUlT_E1_NS1_11comp_targetILNS1_3genE10ELNS1_11target_archE1200ELNS1_3gpuE4ELNS1_3repE0EEENS1_59segmented_radix_sort_warp_sort_small_config_static_selectorELNS0_4arch9wavefront6targetE0EEEvSK_.has_recursion, 0
	.set _ZN7rocprim17ROCPRIM_400000_NS6detail17trampoline_kernelINS0_14default_configENS1_36segmented_radix_sort_config_selectorIslEEZNS1_25segmented_radix_sort_implIS3_Lb1EPKsPsPKlPlN2at6native12_GLOBAL__N_18offset_tEEE10hipError_tPvRmT1_PNSt15iterator_traitsISK_E10value_typeET2_T3_PNSL_ISQ_E10value_typeET4_jRbjT5_SW_jjP12ihipStream_tbEUlT_E1_NS1_11comp_targetILNS1_3genE10ELNS1_11target_archE1200ELNS1_3gpuE4ELNS1_3repE0EEENS1_59segmented_radix_sort_warp_sort_small_config_static_selectorELNS0_4arch9wavefront6targetE0EEEvSK_.has_indirect_call, 0
	.section	.AMDGPU.csdata,"",@progbits
; Kernel info:
; codeLenInByte = 0
; TotalNumSgprs: 0
; NumVgprs: 0
; ScratchSize: 0
; MemoryBound: 0
; FloatMode: 240
; IeeeMode: 1
; LDSByteSize: 0 bytes/workgroup (compile time only)
; SGPRBlocks: 0
; VGPRBlocks: 0
; NumSGPRsForWavesPerEU: 1
; NumVGPRsForWavesPerEU: 1
; Occupancy: 16
; WaveLimiterHint : 0
; COMPUTE_PGM_RSRC2:SCRATCH_EN: 0
; COMPUTE_PGM_RSRC2:USER_SGPR: 6
; COMPUTE_PGM_RSRC2:TRAP_HANDLER: 0
; COMPUTE_PGM_RSRC2:TGID_X_EN: 1
; COMPUTE_PGM_RSRC2:TGID_Y_EN: 0
; COMPUTE_PGM_RSRC2:TGID_Z_EN: 0
; COMPUTE_PGM_RSRC2:TIDIG_COMP_CNT: 0
	.section	.text._ZN7rocprim17ROCPRIM_400000_NS6detail17trampoline_kernelINS0_14default_configENS1_36segmented_radix_sort_config_selectorIslEEZNS1_25segmented_radix_sort_implIS3_Lb1EPKsPsPKlPlN2at6native12_GLOBAL__N_18offset_tEEE10hipError_tPvRmT1_PNSt15iterator_traitsISK_E10value_typeET2_T3_PNSL_ISQ_E10value_typeET4_jRbjT5_SW_jjP12ihipStream_tbEUlT_E1_NS1_11comp_targetILNS1_3genE9ELNS1_11target_archE1100ELNS1_3gpuE3ELNS1_3repE0EEENS1_59segmented_radix_sort_warp_sort_small_config_static_selectorELNS0_4arch9wavefront6targetE0EEEvSK_,"axG",@progbits,_ZN7rocprim17ROCPRIM_400000_NS6detail17trampoline_kernelINS0_14default_configENS1_36segmented_radix_sort_config_selectorIslEEZNS1_25segmented_radix_sort_implIS3_Lb1EPKsPsPKlPlN2at6native12_GLOBAL__N_18offset_tEEE10hipError_tPvRmT1_PNSt15iterator_traitsISK_E10value_typeET2_T3_PNSL_ISQ_E10value_typeET4_jRbjT5_SW_jjP12ihipStream_tbEUlT_E1_NS1_11comp_targetILNS1_3genE9ELNS1_11target_archE1100ELNS1_3gpuE3ELNS1_3repE0EEENS1_59segmented_radix_sort_warp_sort_small_config_static_selectorELNS0_4arch9wavefront6targetE0EEEvSK_,comdat
	.globl	_ZN7rocprim17ROCPRIM_400000_NS6detail17trampoline_kernelINS0_14default_configENS1_36segmented_radix_sort_config_selectorIslEEZNS1_25segmented_radix_sort_implIS3_Lb1EPKsPsPKlPlN2at6native12_GLOBAL__N_18offset_tEEE10hipError_tPvRmT1_PNSt15iterator_traitsISK_E10value_typeET2_T3_PNSL_ISQ_E10value_typeET4_jRbjT5_SW_jjP12ihipStream_tbEUlT_E1_NS1_11comp_targetILNS1_3genE9ELNS1_11target_archE1100ELNS1_3gpuE3ELNS1_3repE0EEENS1_59segmented_radix_sort_warp_sort_small_config_static_selectorELNS0_4arch9wavefront6targetE0EEEvSK_ ; -- Begin function _ZN7rocprim17ROCPRIM_400000_NS6detail17trampoline_kernelINS0_14default_configENS1_36segmented_radix_sort_config_selectorIslEEZNS1_25segmented_radix_sort_implIS3_Lb1EPKsPsPKlPlN2at6native12_GLOBAL__N_18offset_tEEE10hipError_tPvRmT1_PNSt15iterator_traitsISK_E10value_typeET2_T3_PNSL_ISQ_E10value_typeET4_jRbjT5_SW_jjP12ihipStream_tbEUlT_E1_NS1_11comp_targetILNS1_3genE9ELNS1_11target_archE1100ELNS1_3gpuE3ELNS1_3repE0EEENS1_59segmented_radix_sort_warp_sort_small_config_static_selectorELNS0_4arch9wavefront6targetE0EEEvSK_
	.p2align	8
	.type	_ZN7rocprim17ROCPRIM_400000_NS6detail17trampoline_kernelINS0_14default_configENS1_36segmented_radix_sort_config_selectorIslEEZNS1_25segmented_radix_sort_implIS3_Lb1EPKsPsPKlPlN2at6native12_GLOBAL__N_18offset_tEEE10hipError_tPvRmT1_PNSt15iterator_traitsISK_E10value_typeET2_T3_PNSL_ISQ_E10value_typeET4_jRbjT5_SW_jjP12ihipStream_tbEUlT_E1_NS1_11comp_targetILNS1_3genE9ELNS1_11target_archE1100ELNS1_3gpuE3ELNS1_3repE0EEENS1_59segmented_radix_sort_warp_sort_small_config_static_selectorELNS0_4arch9wavefront6targetE0EEEvSK_,@function
_ZN7rocprim17ROCPRIM_400000_NS6detail17trampoline_kernelINS0_14default_configENS1_36segmented_radix_sort_config_selectorIslEEZNS1_25segmented_radix_sort_implIS3_Lb1EPKsPsPKlPlN2at6native12_GLOBAL__N_18offset_tEEE10hipError_tPvRmT1_PNSt15iterator_traitsISK_E10value_typeET2_T3_PNSL_ISQ_E10value_typeET4_jRbjT5_SW_jjP12ihipStream_tbEUlT_E1_NS1_11comp_targetILNS1_3genE9ELNS1_11target_archE1100ELNS1_3gpuE3ELNS1_3repE0EEENS1_59segmented_radix_sort_warp_sort_small_config_static_selectorELNS0_4arch9wavefront6targetE0EEEvSK_: ; @_ZN7rocprim17ROCPRIM_400000_NS6detail17trampoline_kernelINS0_14default_configENS1_36segmented_radix_sort_config_selectorIslEEZNS1_25segmented_radix_sort_implIS3_Lb1EPKsPsPKlPlN2at6native12_GLOBAL__N_18offset_tEEE10hipError_tPvRmT1_PNSt15iterator_traitsISK_E10value_typeET2_T3_PNSL_ISQ_E10value_typeET4_jRbjT5_SW_jjP12ihipStream_tbEUlT_E1_NS1_11comp_targetILNS1_3genE9ELNS1_11target_archE1100ELNS1_3gpuE3ELNS1_3repE0EEENS1_59segmented_radix_sort_warp_sort_small_config_static_selectorELNS0_4arch9wavefront6targetE0EEEvSK_
; %bb.0:
	.section	.rodata,"a",@progbits
	.p2align	6, 0x0
	.amdhsa_kernel _ZN7rocprim17ROCPRIM_400000_NS6detail17trampoline_kernelINS0_14default_configENS1_36segmented_radix_sort_config_selectorIslEEZNS1_25segmented_radix_sort_implIS3_Lb1EPKsPsPKlPlN2at6native12_GLOBAL__N_18offset_tEEE10hipError_tPvRmT1_PNSt15iterator_traitsISK_E10value_typeET2_T3_PNSL_ISQ_E10value_typeET4_jRbjT5_SW_jjP12ihipStream_tbEUlT_E1_NS1_11comp_targetILNS1_3genE9ELNS1_11target_archE1100ELNS1_3gpuE3ELNS1_3repE0EEENS1_59segmented_radix_sort_warp_sort_small_config_static_selectorELNS0_4arch9wavefront6targetE0EEEvSK_
		.amdhsa_group_segment_fixed_size 0
		.amdhsa_private_segment_fixed_size 0
		.amdhsa_kernarg_size 88
		.amdhsa_user_sgpr_count 6
		.amdhsa_user_sgpr_private_segment_buffer 1
		.amdhsa_user_sgpr_dispatch_ptr 0
		.amdhsa_user_sgpr_queue_ptr 0
		.amdhsa_user_sgpr_kernarg_segment_ptr 1
		.amdhsa_user_sgpr_dispatch_id 0
		.amdhsa_user_sgpr_flat_scratch_init 0
		.amdhsa_user_sgpr_private_segment_size 0
		.amdhsa_wavefront_size32 1
		.amdhsa_uses_dynamic_stack 0
		.amdhsa_system_sgpr_private_segment_wavefront_offset 0
		.amdhsa_system_sgpr_workgroup_id_x 1
		.amdhsa_system_sgpr_workgroup_id_y 0
		.amdhsa_system_sgpr_workgroup_id_z 0
		.amdhsa_system_sgpr_workgroup_info 0
		.amdhsa_system_vgpr_workitem_id 0
		.amdhsa_next_free_vgpr 1
		.amdhsa_next_free_sgpr 1
		.amdhsa_reserve_vcc 0
		.amdhsa_reserve_flat_scratch 0
		.amdhsa_float_round_mode_32 0
		.amdhsa_float_round_mode_16_64 0
		.amdhsa_float_denorm_mode_32 3
		.amdhsa_float_denorm_mode_16_64 3
		.amdhsa_dx10_clamp 1
		.amdhsa_ieee_mode 1
		.amdhsa_fp16_overflow 0
		.amdhsa_workgroup_processor_mode 1
		.amdhsa_memory_ordered 1
		.amdhsa_forward_progress 1
		.amdhsa_shared_vgpr_count 0
		.amdhsa_exception_fp_ieee_invalid_op 0
		.amdhsa_exception_fp_denorm_src 0
		.amdhsa_exception_fp_ieee_div_zero 0
		.amdhsa_exception_fp_ieee_overflow 0
		.amdhsa_exception_fp_ieee_underflow 0
		.amdhsa_exception_fp_ieee_inexact 0
		.amdhsa_exception_int_div_zero 0
	.end_amdhsa_kernel
	.section	.text._ZN7rocprim17ROCPRIM_400000_NS6detail17trampoline_kernelINS0_14default_configENS1_36segmented_radix_sort_config_selectorIslEEZNS1_25segmented_radix_sort_implIS3_Lb1EPKsPsPKlPlN2at6native12_GLOBAL__N_18offset_tEEE10hipError_tPvRmT1_PNSt15iterator_traitsISK_E10value_typeET2_T3_PNSL_ISQ_E10value_typeET4_jRbjT5_SW_jjP12ihipStream_tbEUlT_E1_NS1_11comp_targetILNS1_3genE9ELNS1_11target_archE1100ELNS1_3gpuE3ELNS1_3repE0EEENS1_59segmented_radix_sort_warp_sort_small_config_static_selectorELNS0_4arch9wavefront6targetE0EEEvSK_,"axG",@progbits,_ZN7rocprim17ROCPRIM_400000_NS6detail17trampoline_kernelINS0_14default_configENS1_36segmented_radix_sort_config_selectorIslEEZNS1_25segmented_radix_sort_implIS3_Lb1EPKsPsPKlPlN2at6native12_GLOBAL__N_18offset_tEEE10hipError_tPvRmT1_PNSt15iterator_traitsISK_E10value_typeET2_T3_PNSL_ISQ_E10value_typeET4_jRbjT5_SW_jjP12ihipStream_tbEUlT_E1_NS1_11comp_targetILNS1_3genE9ELNS1_11target_archE1100ELNS1_3gpuE3ELNS1_3repE0EEENS1_59segmented_radix_sort_warp_sort_small_config_static_selectorELNS0_4arch9wavefront6targetE0EEEvSK_,comdat
.Lfunc_end932:
	.size	_ZN7rocprim17ROCPRIM_400000_NS6detail17trampoline_kernelINS0_14default_configENS1_36segmented_radix_sort_config_selectorIslEEZNS1_25segmented_radix_sort_implIS3_Lb1EPKsPsPKlPlN2at6native12_GLOBAL__N_18offset_tEEE10hipError_tPvRmT1_PNSt15iterator_traitsISK_E10value_typeET2_T3_PNSL_ISQ_E10value_typeET4_jRbjT5_SW_jjP12ihipStream_tbEUlT_E1_NS1_11comp_targetILNS1_3genE9ELNS1_11target_archE1100ELNS1_3gpuE3ELNS1_3repE0EEENS1_59segmented_radix_sort_warp_sort_small_config_static_selectorELNS0_4arch9wavefront6targetE0EEEvSK_, .Lfunc_end932-_ZN7rocprim17ROCPRIM_400000_NS6detail17trampoline_kernelINS0_14default_configENS1_36segmented_radix_sort_config_selectorIslEEZNS1_25segmented_radix_sort_implIS3_Lb1EPKsPsPKlPlN2at6native12_GLOBAL__N_18offset_tEEE10hipError_tPvRmT1_PNSt15iterator_traitsISK_E10value_typeET2_T3_PNSL_ISQ_E10value_typeET4_jRbjT5_SW_jjP12ihipStream_tbEUlT_E1_NS1_11comp_targetILNS1_3genE9ELNS1_11target_archE1100ELNS1_3gpuE3ELNS1_3repE0EEENS1_59segmented_radix_sort_warp_sort_small_config_static_selectorELNS0_4arch9wavefront6targetE0EEEvSK_
                                        ; -- End function
	.set _ZN7rocprim17ROCPRIM_400000_NS6detail17trampoline_kernelINS0_14default_configENS1_36segmented_radix_sort_config_selectorIslEEZNS1_25segmented_radix_sort_implIS3_Lb1EPKsPsPKlPlN2at6native12_GLOBAL__N_18offset_tEEE10hipError_tPvRmT1_PNSt15iterator_traitsISK_E10value_typeET2_T3_PNSL_ISQ_E10value_typeET4_jRbjT5_SW_jjP12ihipStream_tbEUlT_E1_NS1_11comp_targetILNS1_3genE9ELNS1_11target_archE1100ELNS1_3gpuE3ELNS1_3repE0EEENS1_59segmented_radix_sort_warp_sort_small_config_static_selectorELNS0_4arch9wavefront6targetE0EEEvSK_.num_vgpr, 0
	.set _ZN7rocprim17ROCPRIM_400000_NS6detail17trampoline_kernelINS0_14default_configENS1_36segmented_radix_sort_config_selectorIslEEZNS1_25segmented_radix_sort_implIS3_Lb1EPKsPsPKlPlN2at6native12_GLOBAL__N_18offset_tEEE10hipError_tPvRmT1_PNSt15iterator_traitsISK_E10value_typeET2_T3_PNSL_ISQ_E10value_typeET4_jRbjT5_SW_jjP12ihipStream_tbEUlT_E1_NS1_11comp_targetILNS1_3genE9ELNS1_11target_archE1100ELNS1_3gpuE3ELNS1_3repE0EEENS1_59segmented_radix_sort_warp_sort_small_config_static_selectorELNS0_4arch9wavefront6targetE0EEEvSK_.num_agpr, 0
	.set _ZN7rocprim17ROCPRIM_400000_NS6detail17trampoline_kernelINS0_14default_configENS1_36segmented_radix_sort_config_selectorIslEEZNS1_25segmented_radix_sort_implIS3_Lb1EPKsPsPKlPlN2at6native12_GLOBAL__N_18offset_tEEE10hipError_tPvRmT1_PNSt15iterator_traitsISK_E10value_typeET2_T3_PNSL_ISQ_E10value_typeET4_jRbjT5_SW_jjP12ihipStream_tbEUlT_E1_NS1_11comp_targetILNS1_3genE9ELNS1_11target_archE1100ELNS1_3gpuE3ELNS1_3repE0EEENS1_59segmented_radix_sort_warp_sort_small_config_static_selectorELNS0_4arch9wavefront6targetE0EEEvSK_.numbered_sgpr, 0
	.set _ZN7rocprim17ROCPRIM_400000_NS6detail17trampoline_kernelINS0_14default_configENS1_36segmented_radix_sort_config_selectorIslEEZNS1_25segmented_radix_sort_implIS3_Lb1EPKsPsPKlPlN2at6native12_GLOBAL__N_18offset_tEEE10hipError_tPvRmT1_PNSt15iterator_traitsISK_E10value_typeET2_T3_PNSL_ISQ_E10value_typeET4_jRbjT5_SW_jjP12ihipStream_tbEUlT_E1_NS1_11comp_targetILNS1_3genE9ELNS1_11target_archE1100ELNS1_3gpuE3ELNS1_3repE0EEENS1_59segmented_radix_sort_warp_sort_small_config_static_selectorELNS0_4arch9wavefront6targetE0EEEvSK_.num_named_barrier, 0
	.set _ZN7rocprim17ROCPRIM_400000_NS6detail17trampoline_kernelINS0_14default_configENS1_36segmented_radix_sort_config_selectorIslEEZNS1_25segmented_radix_sort_implIS3_Lb1EPKsPsPKlPlN2at6native12_GLOBAL__N_18offset_tEEE10hipError_tPvRmT1_PNSt15iterator_traitsISK_E10value_typeET2_T3_PNSL_ISQ_E10value_typeET4_jRbjT5_SW_jjP12ihipStream_tbEUlT_E1_NS1_11comp_targetILNS1_3genE9ELNS1_11target_archE1100ELNS1_3gpuE3ELNS1_3repE0EEENS1_59segmented_radix_sort_warp_sort_small_config_static_selectorELNS0_4arch9wavefront6targetE0EEEvSK_.private_seg_size, 0
	.set _ZN7rocprim17ROCPRIM_400000_NS6detail17trampoline_kernelINS0_14default_configENS1_36segmented_radix_sort_config_selectorIslEEZNS1_25segmented_radix_sort_implIS3_Lb1EPKsPsPKlPlN2at6native12_GLOBAL__N_18offset_tEEE10hipError_tPvRmT1_PNSt15iterator_traitsISK_E10value_typeET2_T3_PNSL_ISQ_E10value_typeET4_jRbjT5_SW_jjP12ihipStream_tbEUlT_E1_NS1_11comp_targetILNS1_3genE9ELNS1_11target_archE1100ELNS1_3gpuE3ELNS1_3repE0EEENS1_59segmented_radix_sort_warp_sort_small_config_static_selectorELNS0_4arch9wavefront6targetE0EEEvSK_.uses_vcc, 0
	.set _ZN7rocprim17ROCPRIM_400000_NS6detail17trampoline_kernelINS0_14default_configENS1_36segmented_radix_sort_config_selectorIslEEZNS1_25segmented_radix_sort_implIS3_Lb1EPKsPsPKlPlN2at6native12_GLOBAL__N_18offset_tEEE10hipError_tPvRmT1_PNSt15iterator_traitsISK_E10value_typeET2_T3_PNSL_ISQ_E10value_typeET4_jRbjT5_SW_jjP12ihipStream_tbEUlT_E1_NS1_11comp_targetILNS1_3genE9ELNS1_11target_archE1100ELNS1_3gpuE3ELNS1_3repE0EEENS1_59segmented_radix_sort_warp_sort_small_config_static_selectorELNS0_4arch9wavefront6targetE0EEEvSK_.uses_flat_scratch, 0
	.set _ZN7rocprim17ROCPRIM_400000_NS6detail17trampoline_kernelINS0_14default_configENS1_36segmented_radix_sort_config_selectorIslEEZNS1_25segmented_radix_sort_implIS3_Lb1EPKsPsPKlPlN2at6native12_GLOBAL__N_18offset_tEEE10hipError_tPvRmT1_PNSt15iterator_traitsISK_E10value_typeET2_T3_PNSL_ISQ_E10value_typeET4_jRbjT5_SW_jjP12ihipStream_tbEUlT_E1_NS1_11comp_targetILNS1_3genE9ELNS1_11target_archE1100ELNS1_3gpuE3ELNS1_3repE0EEENS1_59segmented_radix_sort_warp_sort_small_config_static_selectorELNS0_4arch9wavefront6targetE0EEEvSK_.has_dyn_sized_stack, 0
	.set _ZN7rocprim17ROCPRIM_400000_NS6detail17trampoline_kernelINS0_14default_configENS1_36segmented_radix_sort_config_selectorIslEEZNS1_25segmented_radix_sort_implIS3_Lb1EPKsPsPKlPlN2at6native12_GLOBAL__N_18offset_tEEE10hipError_tPvRmT1_PNSt15iterator_traitsISK_E10value_typeET2_T3_PNSL_ISQ_E10value_typeET4_jRbjT5_SW_jjP12ihipStream_tbEUlT_E1_NS1_11comp_targetILNS1_3genE9ELNS1_11target_archE1100ELNS1_3gpuE3ELNS1_3repE0EEENS1_59segmented_radix_sort_warp_sort_small_config_static_selectorELNS0_4arch9wavefront6targetE0EEEvSK_.has_recursion, 0
	.set _ZN7rocprim17ROCPRIM_400000_NS6detail17trampoline_kernelINS0_14default_configENS1_36segmented_radix_sort_config_selectorIslEEZNS1_25segmented_radix_sort_implIS3_Lb1EPKsPsPKlPlN2at6native12_GLOBAL__N_18offset_tEEE10hipError_tPvRmT1_PNSt15iterator_traitsISK_E10value_typeET2_T3_PNSL_ISQ_E10value_typeET4_jRbjT5_SW_jjP12ihipStream_tbEUlT_E1_NS1_11comp_targetILNS1_3genE9ELNS1_11target_archE1100ELNS1_3gpuE3ELNS1_3repE0EEENS1_59segmented_radix_sort_warp_sort_small_config_static_selectorELNS0_4arch9wavefront6targetE0EEEvSK_.has_indirect_call, 0
	.section	.AMDGPU.csdata,"",@progbits
; Kernel info:
; codeLenInByte = 0
; TotalNumSgprs: 0
; NumVgprs: 0
; ScratchSize: 0
; MemoryBound: 0
; FloatMode: 240
; IeeeMode: 1
; LDSByteSize: 0 bytes/workgroup (compile time only)
; SGPRBlocks: 0
; VGPRBlocks: 0
; NumSGPRsForWavesPerEU: 1
; NumVGPRsForWavesPerEU: 1
; Occupancy: 16
; WaveLimiterHint : 0
; COMPUTE_PGM_RSRC2:SCRATCH_EN: 0
; COMPUTE_PGM_RSRC2:USER_SGPR: 6
; COMPUTE_PGM_RSRC2:TRAP_HANDLER: 0
; COMPUTE_PGM_RSRC2:TGID_X_EN: 1
; COMPUTE_PGM_RSRC2:TGID_Y_EN: 0
; COMPUTE_PGM_RSRC2:TGID_Z_EN: 0
; COMPUTE_PGM_RSRC2:TIDIG_COMP_CNT: 0
	.section	.text._ZN7rocprim17ROCPRIM_400000_NS6detail17trampoline_kernelINS0_14default_configENS1_36segmented_radix_sort_config_selectorIslEEZNS1_25segmented_radix_sort_implIS3_Lb1EPKsPsPKlPlN2at6native12_GLOBAL__N_18offset_tEEE10hipError_tPvRmT1_PNSt15iterator_traitsISK_E10value_typeET2_T3_PNSL_ISQ_E10value_typeET4_jRbjT5_SW_jjP12ihipStream_tbEUlT_E1_NS1_11comp_targetILNS1_3genE8ELNS1_11target_archE1030ELNS1_3gpuE2ELNS1_3repE0EEENS1_59segmented_radix_sort_warp_sort_small_config_static_selectorELNS0_4arch9wavefront6targetE0EEEvSK_,"axG",@progbits,_ZN7rocprim17ROCPRIM_400000_NS6detail17trampoline_kernelINS0_14default_configENS1_36segmented_radix_sort_config_selectorIslEEZNS1_25segmented_radix_sort_implIS3_Lb1EPKsPsPKlPlN2at6native12_GLOBAL__N_18offset_tEEE10hipError_tPvRmT1_PNSt15iterator_traitsISK_E10value_typeET2_T3_PNSL_ISQ_E10value_typeET4_jRbjT5_SW_jjP12ihipStream_tbEUlT_E1_NS1_11comp_targetILNS1_3genE8ELNS1_11target_archE1030ELNS1_3gpuE2ELNS1_3repE0EEENS1_59segmented_radix_sort_warp_sort_small_config_static_selectorELNS0_4arch9wavefront6targetE0EEEvSK_,comdat
	.globl	_ZN7rocprim17ROCPRIM_400000_NS6detail17trampoline_kernelINS0_14default_configENS1_36segmented_radix_sort_config_selectorIslEEZNS1_25segmented_radix_sort_implIS3_Lb1EPKsPsPKlPlN2at6native12_GLOBAL__N_18offset_tEEE10hipError_tPvRmT1_PNSt15iterator_traitsISK_E10value_typeET2_T3_PNSL_ISQ_E10value_typeET4_jRbjT5_SW_jjP12ihipStream_tbEUlT_E1_NS1_11comp_targetILNS1_3genE8ELNS1_11target_archE1030ELNS1_3gpuE2ELNS1_3repE0EEENS1_59segmented_radix_sort_warp_sort_small_config_static_selectorELNS0_4arch9wavefront6targetE0EEEvSK_ ; -- Begin function _ZN7rocprim17ROCPRIM_400000_NS6detail17trampoline_kernelINS0_14default_configENS1_36segmented_radix_sort_config_selectorIslEEZNS1_25segmented_radix_sort_implIS3_Lb1EPKsPsPKlPlN2at6native12_GLOBAL__N_18offset_tEEE10hipError_tPvRmT1_PNSt15iterator_traitsISK_E10value_typeET2_T3_PNSL_ISQ_E10value_typeET4_jRbjT5_SW_jjP12ihipStream_tbEUlT_E1_NS1_11comp_targetILNS1_3genE8ELNS1_11target_archE1030ELNS1_3gpuE2ELNS1_3repE0EEENS1_59segmented_radix_sort_warp_sort_small_config_static_selectorELNS0_4arch9wavefront6targetE0EEEvSK_
	.p2align	8
	.type	_ZN7rocprim17ROCPRIM_400000_NS6detail17trampoline_kernelINS0_14default_configENS1_36segmented_radix_sort_config_selectorIslEEZNS1_25segmented_radix_sort_implIS3_Lb1EPKsPsPKlPlN2at6native12_GLOBAL__N_18offset_tEEE10hipError_tPvRmT1_PNSt15iterator_traitsISK_E10value_typeET2_T3_PNSL_ISQ_E10value_typeET4_jRbjT5_SW_jjP12ihipStream_tbEUlT_E1_NS1_11comp_targetILNS1_3genE8ELNS1_11target_archE1030ELNS1_3gpuE2ELNS1_3repE0EEENS1_59segmented_radix_sort_warp_sort_small_config_static_selectorELNS0_4arch9wavefront6targetE0EEEvSK_,@function
_ZN7rocprim17ROCPRIM_400000_NS6detail17trampoline_kernelINS0_14default_configENS1_36segmented_radix_sort_config_selectorIslEEZNS1_25segmented_radix_sort_implIS3_Lb1EPKsPsPKlPlN2at6native12_GLOBAL__N_18offset_tEEE10hipError_tPvRmT1_PNSt15iterator_traitsISK_E10value_typeET2_T3_PNSL_ISQ_E10value_typeET4_jRbjT5_SW_jjP12ihipStream_tbEUlT_E1_NS1_11comp_targetILNS1_3genE8ELNS1_11target_archE1030ELNS1_3gpuE2ELNS1_3repE0EEENS1_59segmented_radix_sort_warp_sort_small_config_static_selectorELNS0_4arch9wavefront6targetE0EEEvSK_: ; @_ZN7rocprim17ROCPRIM_400000_NS6detail17trampoline_kernelINS0_14default_configENS1_36segmented_radix_sort_config_selectorIslEEZNS1_25segmented_radix_sort_implIS3_Lb1EPKsPsPKlPlN2at6native12_GLOBAL__N_18offset_tEEE10hipError_tPvRmT1_PNSt15iterator_traitsISK_E10value_typeET2_T3_PNSL_ISQ_E10value_typeET4_jRbjT5_SW_jjP12ihipStream_tbEUlT_E1_NS1_11comp_targetILNS1_3genE8ELNS1_11target_archE1030ELNS1_3gpuE2ELNS1_3repE0EEENS1_59segmented_radix_sort_warp_sort_small_config_static_selectorELNS0_4arch9wavefront6targetE0EEEvSK_
; %bb.0:
	s_add_u32 s0, s0, s8
	s_load_dword s8, s[4:5], 0x64
	s_addc_u32 s1, s1, 0
	s_mov_b32 s32, 0
	s_waitcnt lgkmcnt(0)
	s_lshr_b32 s9, s8, 16
	s_and_b32 s8, s8, 0xffff
	v_mad_u32_u24 v3, v2, s9, v1
	s_load_dword s9, s[4:5], 0x34
	v_mad_u64_u32 v[3:4], null, v3, s8, v[0:1]
	s_mov_b32 s8, exec_lo
	v_lshrrev_b32_e32 v3, 5, v3
	v_lshl_add_u32 v3, s6, 3, v3
	s_waitcnt lgkmcnt(0)
	v_cmpx_gt_u32_e64 s9, v3
	s_cbranch_execz .LBB933_6
; %bb.1:
	s_clause 0x1
	s_load_dwordx2 s[12:13], s[4:5], 0x38
	s_load_dwordx4 s[8:11], s[4:5], 0x40
	v_mov_b32_e32 v4, 0
	v_lshlrev_b64 v[3:4], 2, v[3:4]
	s_waitcnt lgkmcnt(0)
	v_sub_co_u32 v3, vcc_lo, s12, v3
	v_sub_co_ci_u32_e64 v4, null, s13, v4, vcc_lo
	global_load_dword v3, v[3:4], off offset:-4
	s_waitcnt vmcnt(0)
	v_add_nc_u32_e32 v4, s9, v3
	v_add_nc_u32_e32 v3, s11, v3
	v_mul_lo_u32 v40, v4, s8
	v_mul_lo_u32 v41, v3, s10
	v_cmp_gt_u32_e32 vcc_lo, v41, v40
	s_and_b32 exec_lo, exec_lo, vcc_lo
	s_cbranch_execz .LBB933_6
; %bb.2:
	s_clause 0x3
	s_load_dword s8, s[4:5], 0x30
	s_load_dwordx4 s[36:39], s[4:5], 0x20
	s_load_dwordx8 s[20:27], s[4:5], 0x0
	s_load_dwordx2 s[28:29], s[4:5], 0x50
	v_lshlrev_b32_e32 v43, 20, v2
	v_lshlrev_b32_e32 v44, 10, v1
	s_waitcnt lgkmcnt(0)
	s_bitcmp0_b32 s8, 0
	s_mov_b32 s8, -1
	s_cbranch_scc0 .LBB933_4
; %bb.3:
	s_mov_b64 s[10:11], src_shared_base
	v_or3_b32 v31, v0, v44, v43
	v_mov_b32_e32 v42, v0
	v_mov_b32_e32 v0, s20
	;; [unrolled: 1-line block ×15, first 2 shown]
	s_add_u32 s8, s4, 0x58
	s_addc_u32 s9, s5, 0
	s_getpc_b64 s[14:15]
	s_add_u32 s14, s14, _ZN7rocprim17ROCPRIM_400000_NS6detail26segmented_warp_sort_helperINS1_20WarpSortHelperConfigILj32ELj4ELj256EEEslLi256ELb1EvE4sortIPKsPsPKlPlEEvT_T0_T1_T2_jjjjRNS5_12storage_typeE@rel32@lo+4
	s_addc_u32 s15, s15, _ZN7rocprim17ROCPRIM_400000_NS6detail26segmented_warp_sort_helperINS1_20WarpSortHelperConfigILj32ELj4ELj256EEEslLi256ELb1EvE4sortIPKsPsPKlPlEEvT_T0_T1_T2_jjjjRNS5_12storage_typeE@rel32@hi+12
	s_mov_b32 s12, s6
	s_mov_b32 s13, s7
	s_mov_b64 s[22:23], s[4:5]
	s_mov_b32 s19, s7
	s_mov_b32 s33, s6
	s_swappc_b64 s[30:31], s[14:15]
	v_mov_b32_e32 v0, v42
	s_mov_b32 s6, s33
	s_mov_b32 s7, s19
	s_mov_b64 s[4:5], s[22:23]
	s_mov_b32 s8, 0
.LBB933_4:
	s_andn2_b32 vcc_lo, exec_lo, s8
	s_cbranch_vccnz .LBB933_6
; %bb.5:
	s_mov_b64 s[10:11], src_shared_base
	v_or3_b32 v31, v0, v44, v43
	v_mov_b32_e32 v0, s20
	v_mov_b32_e32 v1, s21
	;; [unrolled: 1-line block ×14, first 2 shown]
	s_add_u32 s8, s4, 0x58
	s_addc_u32 s9, s5, 0
	s_getpc_b64 s[4:5]
	s_add_u32 s4, s4, _ZN7rocprim17ROCPRIM_400000_NS6detail26segmented_warp_sort_helperINS1_20WarpSortHelperConfigILj32ELj4ELj256EEEslLi256ELb1EvE4sortIPKsPsPKlPlEEvT_T0_T1_T2_jjjjRNS5_12storage_typeE@rel32@lo+4
	s_addc_u32 s5, s5, _ZN7rocprim17ROCPRIM_400000_NS6detail26segmented_warp_sort_helperINS1_20WarpSortHelperConfigILj32ELj4ELj256EEEslLi256ELb1EvE4sortIPKsPsPKlPlEEvT_T0_T1_T2_jjjjRNS5_12storage_typeE@rel32@hi+12
	s_mov_b32 s12, s6
	s_mov_b32 s13, s7
	s_swappc_b64 s[30:31], s[4:5]
.LBB933_6:
	s_endpgm
	.section	.rodata,"a",@progbits
	.p2align	6, 0x0
	.amdhsa_kernel _ZN7rocprim17ROCPRIM_400000_NS6detail17trampoline_kernelINS0_14default_configENS1_36segmented_radix_sort_config_selectorIslEEZNS1_25segmented_radix_sort_implIS3_Lb1EPKsPsPKlPlN2at6native12_GLOBAL__N_18offset_tEEE10hipError_tPvRmT1_PNSt15iterator_traitsISK_E10value_typeET2_T3_PNSL_ISQ_E10value_typeET4_jRbjT5_SW_jjP12ihipStream_tbEUlT_E1_NS1_11comp_targetILNS1_3genE8ELNS1_11target_archE1030ELNS1_3gpuE2ELNS1_3repE0EEENS1_59segmented_radix_sort_warp_sort_small_config_static_selectorELNS0_4arch9wavefront6targetE0EEEvSK_
		.amdhsa_group_segment_fixed_size 10240
		.amdhsa_private_segment_fixed_size 0
		.amdhsa_kernarg_size 344
		.amdhsa_user_sgpr_count 6
		.amdhsa_user_sgpr_private_segment_buffer 1
		.amdhsa_user_sgpr_dispatch_ptr 0
		.amdhsa_user_sgpr_queue_ptr 0
		.amdhsa_user_sgpr_kernarg_segment_ptr 1
		.amdhsa_user_sgpr_dispatch_id 0
		.amdhsa_user_sgpr_flat_scratch_init 0
		.amdhsa_user_sgpr_private_segment_size 0
		.amdhsa_wavefront_size32 1
		.amdhsa_uses_dynamic_stack 0
		.amdhsa_system_sgpr_private_segment_wavefront_offset 0
		.amdhsa_system_sgpr_workgroup_id_x 1
		.amdhsa_system_sgpr_workgroup_id_y 1
		.amdhsa_system_sgpr_workgroup_id_z 0
		.amdhsa_system_sgpr_workgroup_info 0
		.amdhsa_system_vgpr_workitem_id 2
		.amdhsa_next_free_vgpr 54
		.amdhsa_next_free_sgpr 40
		.amdhsa_reserve_vcc 1
		.amdhsa_reserve_flat_scratch 0
		.amdhsa_float_round_mode_32 0
		.amdhsa_float_round_mode_16_64 0
		.amdhsa_float_denorm_mode_32 3
		.amdhsa_float_denorm_mode_16_64 3
		.amdhsa_dx10_clamp 1
		.amdhsa_ieee_mode 1
		.amdhsa_fp16_overflow 0
		.amdhsa_workgroup_processor_mode 1
		.amdhsa_memory_ordered 1
		.amdhsa_forward_progress 1
		.amdhsa_shared_vgpr_count 0
		.amdhsa_exception_fp_ieee_invalid_op 0
		.amdhsa_exception_fp_denorm_src 0
		.amdhsa_exception_fp_ieee_div_zero 0
		.amdhsa_exception_fp_ieee_overflow 0
		.amdhsa_exception_fp_ieee_underflow 0
		.amdhsa_exception_fp_ieee_inexact 0
		.amdhsa_exception_int_div_zero 0
	.end_amdhsa_kernel
	.section	.text._ZN7rocprim17ROCPRIM_400000_NS6detail17trampoline_kernelINS0_14default_configENS1_36segmented_radix_sort_config_selectorIslEEZNS1_25segmented_radix_sort_implIS3_Lb1EPKsPsPKlPlN2at6native12_GLOBAL__N_18offset_tEEE10hipError_tPvRmT1_PNSt15iterator_traitsISK_E10value_typeET2_T3_PNSL_ISQ_E10value_typeET4_jRbjT5_SW_jjP12ihipStream_tbEUlT_E1_NS1_11comp_targetILNS1_3genE8ELNS1_11target_archE1030ELNS1_3gpuE2ELNS1_3repE0EEENS1_59segmented_radix_sort_warp_sort_small_config_static_selectorELNS0_4arch9wavefront6targetE0EEEvSK_,"axG",@progbits,_ZN7rocprim17ROCPRIM_400000_NS6detail17trampoline_kernelINS0_14default_configENS1_36segmented_radix_sort_config_selectorIslEEZNS1_25segmented_radix_sort_implIS3_Lb1EPKsPsPKlPlN2at6native12_GLOBAL__N_18offset_tEEE10hipError_tPvRmT1_PNSt15iterator_traitsISK_E10value_typeET2_T3_PNSL_ISQ_E10value_typeET4_jRbjT5_SW_jjP12ihipStream_tbEUlT_E1_NS1_11comp_targetILNS1_3genE8ELNS1_11target_archE1030ELNS1_3gpuE2ELNS1_3repE0EEENS1_59segmented_radix_sort_warp_sort_small_config_static_selectorELNS0_4arch9wavefront6targetE0EEEvSK_,comdat
.Lfunc_end933:
	.size	_ZN7rocprim17ROCPRIM_400000_NS6detail17trampoline_kernelINS0_14default_configENS1_36segmented_radix_sort_config_selectorIslEEZNS1_25segmented_radix_sort_implIS3_Lb1EPKsPsPKlPlN2at6native12_GLOBAL__N_18offset_tEEE10hipError_tPvRmT1_PNSt15iterator_traitsISK_E10value_typeET2_T3_PNSL_ISQ_E10value_typeET4_jRbjT5_SW_jjP12ihipStream_tbEUlT_E1_NS1_11comp_targetILNS1_3genE8ELNS1_11target_archE1030ELNS1_3gpuE2ELNS1_3repE0EEENS1_59segmented_radix_sort_warp_sort_small_config_static_selectorELNS0_4arch9wavefront6targetE0EEEvSK_, .Lfunc_end933-_ZN7rocprim17ROCPRIM_400000_NS6detail17trampoline_kernelINS0_14default_configENS1_36segmented_radix_sort_config_selectorIslEEZNS1_25segmented_radix_sort_implIS3_Lb1EPKsPsPKlPlN2at6native12_GLOBAL__N_18offset_tEEE10hipError_tPvRmT1_PNSt15iterator_traitsISK_E10value_typeET2_T3_PNSL_ISQ_E10value_typeET4_jRbjT5_SW_jjP12ihipStream_tbEUlT_E1_NS1_11comp_targetILNS1_3genE8ELNS1_11target_archE1030ELNS1_3gpuE2ELNS1_3repE0EEENS1_59segmented_radix_sort_warp_sort_small_config_static_selectorELNS0_4arch9wavefront6targetE0EEEvSK_
                                        ; -- End function
	.set _ZN7rocprim17ROCPRIM_400000_NS6detail17trampoline_kernelINS0_14default_configENS1_36segmented_radix_sort_config_selectorIslEEZNS1_25segmented_radix_sort_implIS3_Lb1EPKsPsPKlPlN2at6native12_GLOBAL__N_18offset_tEEE10hipError_tPvRmT1_PNSt15iterator_traitsISK_E10value_typeET2_T3_PNSL_ISQ_E10value_typeET4_jRbjT5_SW_jjP12ihipStream_tbEUlT_E1_NS1_11comp_targetILNS1_3genE8ELNS1_11target_archE1030ELNS1_3gpuE2ELNS1_3repE0EEENS1_59segmented_radix_sort_warp_sort_small_config_static_selectorELNS0_4arch9wavefront6targetE0EEEvSK_.num_vgpr, max(45, .L_ZN7rocprim17ROCPRIM_400000_NS6detail26segmented_warp_sort_helperINS1_20WarpSortHelperConfigILj32ELj4ELj256EEEslLi256ELb1EvE4sortIPKsPsPKlPlEEvT_T0_T1_T2_jjjjRNS5_12storage_typeE.num_vgpr)
	.set _ZN7rocprim17ROCPRIM_400000_NS6detail17trampoline_kernelINS0_14default_configENS1_36segmented_radix_sort_config_selectorIslEEZNS1_25segmented_radix_sort_implIS3_Lb1EPKsPsPKlPlN2at6native12_GLOBAL__N_18offset_tEEE10hipError_tPvRmT1_PNSt15iterator_traitsISK_E10value_typeET2_T3_PNSL_ISQ_E10value_typeET4_jRbjT5_SW_jjP12ihipStream_tbEUlT_E1_NS1_11comp_targetILNS1_3genE8ELNS1_11target_archE1030ELNS1_3gpuE2ELNS1_3repE0EEENS1_59segmented_radix_sort_warp_sort_small_config_static_selectorELNS0_4arch9wavefront6targetE0EEEvSK_.num_agpr, max(0, .L_ZN7rocprim17ROCPRIM_400000_NS6detail26segmented_warp_sort_helperINS1_20WarpSortHelperConfigILj32ELj4ELj256EEEslLi256ELb1EvE4sortIPKsPsPKlPlEEvT_T0_T1_T2_jjjjRNS5_12storage_typeE.num_agpr)
	.set _ZN7rocprim17ROCPRIM_400000_NS6detail17trampoline_kernelINS0_14default_configENS1_36segmented_radix_sort_config_selectorIslEEZNS1_25segmented_radix_sort_implIS3_Lb1EPKsPsPKlPlN2at6native12_GLOBAL__N_18offset_tEEE10hipError_tPvRmT1_PNSt15iterator_traitsISK_E10value_typeET2_T3_PNSL_ISQ_E10value_typeET4_jRbjT5_SW_jjP12ihipStream_tbEUlT_E1_NS1_11comp_targetILNS1_3genE8ELNS1_11target_archE1030ELNS1_3gpuE2ELNS1_3repE0EEENS1_59segmented_radix_sort_warp_sort_small_config_static_selectorELNS0_4arch9wavefront6targetE0EEEvSK_.numbered_sgpr, max(40, .L_ZN7rocprim17ROCPRIM_400000_NS6detail26segmented_warp_sort_helperINS1_20WarpSortHelperConfigILj32ELj4ELj256EEEslLi256ELb1EvE4sortIPKsPsPKlPlEEvT_T0_T1_T2_jjjjRNS5_12storage_typeE.numbered_sgpr)
	.set _ZN7rocprim17ROCPRIM_400000_NS6detail17trampoline_kernelINS0_14default_configENS1_36segmented_radix_sort_config_selectorIslEEZNS1_25segmented_radix_sort_implIS3_Lb1EPKsPsPKlPlN2at6native12_GLOBAL__N_18offset_tEEE10hipError_tPvRmT1_PNSt15iterator_traitsISK_E10value_typeET2_T3_PNSL_ISQ_E10value_typeET4_jRbjT5_SW_jjP12ihipStream_tbEUlT_E1_NS1_11comp_targetILNS1_3genE8ELNS1_11target_archE1030ELNS1_3gpuE2ELNS1_3repE0EEENS1_59segmented_radix_sort_warp_sort_small_config_static_selectorELNS0_4arch9wavefront6targetE0EEEvSK_.num_named_barrier, max(0, .L_ZN7rocprim17ROCPRIM_400000_NS6detail26segmented_warp_sort_helperINS1_20WarpSortHelperConfigILj32ELj4ELj256EEEslLi256ELb1EvE4sortIPKsPsPKlPlEEvT_T0_T1_T2_jjjjRNS5_12storage_typeE.num_named_barrier)
	.set _ZN7rocprim17ROCPRIM_400000_NS6detail17trampoline_kernelINS0_14default_configENS1_36segmented_radix_sort_config_selectorIslEEZNS1_25segmented_radix_sort_implIS3_Lb1EPKsPsPKlPlN2at6native12_GLOBAL__N_18offset_tEEE10hipError_tPvRmT1_PNSt15iterator_traitsISK_E10value_typeET2_T3_PNSL_ISQ_E10value_typeET4_jRbjT5_SW_jjP12ihipStream_tbEUlT_E1_NS1_11comp_targetILNS1_3genE8ELNS1_11target_archE1030ELNS1_3gpuE2ELNS1_3repE0EEENS1_59segmented_radix_sort_warp_sort_small_config_static_selectorELNS0_4arch9wavefront6targetE0EEEvSK_.private_seg_size, 0+max(.L_ZN7rocprim17ROCPRIM_400000_NS6detail26segmented_warp_sort_helperINS1_20WarpSortHelperConfigILj32ELj4ELj256EEEslLi256ELb1EvE4sortIPKsPsPKlPlEEvT_T0_T1_T2_jjjjRNS5_12storage_typeE.private_seg_size)
	.set _ZN7rocprim17ROCPRIM_400000_NS6detail17trampoline_kernelINS0_14default_configENS1_36segmented_radix_sort_config_selectorIslEEZNS1_25segmented_radix_sort_implIS3_Lb1EPKsPsPKlPlN2at6native12_GLOBAL__N_18offset_tEEE10hipError_tPvRmT1_PNSt15iterator_traitsISK_E10value_typeET2_T3_PNSL_ISQ_E10value_typeET4_jRbjT5_SW_jjP12ihipStream_tbEUlT_E1_NS1_11comp_targetILNS1_3genE8ELNS1_11target_archE1030ELNS1_3gpuE2ELNS1_3repE0EEENS1_59segmented_radix_sort_warp_sort_small_config_static_selectorELNS0_4arch9wavefront6targetE0EEEvSK_.uses_vcc, or(1, .L_ZN7rocprim17ROCPRIM_400000_NS6detail26segmented_warp_sort_helperINS1_20WarpSortHelperConfigILj32ELj4ELj256EEEslLi256ELb1EvE4sortIPKsPsPKlPlEEvT_T0_T1_T2_jjjjRNS5_12storage_typeE.uses_vcc)
	.set _ZN7rocprim17ROCPRIM_400000_NS6detail17trampoline_kernelINS0_14default_configENS1_36segmented_radix_sort_config_selectorIslEEZNS1_25segmented_radix_sort_implIS3_Lb1EPKsPsPKlPlN2at6native12_GLOBAL__N_18offset_tEEE10hipError_tPvRmT1_PNSt15iterator_traitsISK_E10value_typeET2_T3_PNSL_ISQ_E10value_typeET4_jRbjT5_SW_jjP12ihipStream_tbEUlT_E1_NS1_11comp_targetILNS1_3genE8ELNS1_11target_archE1030ELNS1_3gpuE2ELNS1_3repE0EEENS1_59segmented_radix_sort_warp_sort_small_config_static_selectorELNS0_4arch9wavefront6targetE0EEEvSK_.uses_flat_scratch, or(0, .L_ZN7rocprim17ROCPRIM_400000_NS6detail26segmented_warp_sort_helperINS1_20WarpSortHelperConfigILj32ELj4ELj256EEEslLi256ELb1EvE4sortIPKsPsPKlPlEEvT_T0_T1_T2_jjjjRNS5_12storage_typeE.uses_flat_scratch)
	.set _ZN7rocprim17ROCPRIM_400000_NS6detail17trampoline_kernelINS0_14default_configENS1_36segmented_radix_sort_config_selectorIslEEZNS1_25segmented_radix_sort_implIS3_Lb1EPKsPsPKlPlN2at6native12_GLOBAL__N_18offset_tEEE10hipError_tPvRmT1_PNSt15iterator_traitsISK_E10value_typeET2_T3_PNSL_ISQ_E10value_typeET4_jRbjT5_SW_jjP12ihipStream_tbEUlT_E1_NS1_11comp_targetILNS1_3genE8ELNS1_11target_archE1030ELNS1_3gpuE2ELNS1_3repE0EEENS1_59segmented_radix_sort_warp_sort_small_config_static_selectorELNS0_4arch9wavefront6targetE0EEEvSK_.has_dyn_sized_stack, or(0, .L_ZN7rocprim17ROCPRIM_400000_NS6detail26segmented_warp_sort_helperINS1_20WarpSortHelperConfigILj32ELj4ELj256EEEslLi256ELb1EvE4sortIPKsPsPKlPlEEvT_T0_T1_T2_jjjjRNS5_12storage_typeE.has_dyn_sized_stack)
	.set _ZN7rocprim17ROCPRIM_400000_NS6detail17trampoline_kernelINS0_14default_configENS1_36segmented_radix_sort_config_selectorIslEEZNS1_25segmented_radix_sort_implIS3_Lb1EPKsPsPKlPlN2at6native12_GLOBAL__N_18offset_tEEE10hipError_tPvRmT1_PNSt15iterator_traitsISK_E10value_typeET2_T3_PNSL_ISQ_E10value_typeET4_jRbjT5_SW_jjP12ihipStream_tbEUlT_E1_NS1_11comp_targetILNS1_3genE8ELNS1_11target_archE1030ELNS1_3gpuE2ELNS1_3repE0EEENS1_59segmented_radix_sort_warp_sort_small_config_static_selectorELNS0_4arch9wavefront6targetE0EEEvSK_.has_recursion, or(0, .L_ZN7rocprim17ROCPRIM_400000_NS6detail26segmented_warp_sort_helperINS1_20WarpSortHelperConfigILj32ELj4ELj256EEEslLi256ELb1EvE4sortIPKsPsPKlPlEEvT_T0_T1_T2_jjjjRNS5_12storage_typeE.has_recursion)
	.set _ZN7rocprim17ROCPRIM_400000_NS6detail17trampoline_kernelINS0_14default_configENS1_36segmented_radix_sort_config_selectorIslEEZNS1_25segmented_radix_sort_implIS3_Lb1EPKsPsPKlPlN2at6native12_GLOBAL__N_18offset_tEEE10hipError_tPvRmT1_PNSt15iterator_traitsISK_E10value_typeET2_T3_PNSL_ISQ_E10value_typeET4_jRbjT5_SW_jjP12ihipStream_tbEUlT_E1_NS1_11comp_targetILNS1_3genE8ELNS1_11target_archE1030ELNS1_3gpuE2ELNS1_3repE0EEENS1_59segmented_radix_sort_warp_sort_small_config_static_selectorELNS0_4arch9wavefront6targetE0EEEvSK_.has_indirect_call, or(0, .L_ZN7rocprim17ROCPRIM_400000_NS6detail26segmented_warp_sort_helperINS1_20WarpSortHelperConfigILj32ELj4ELj256EEEslLi256ELb1EvE4sortIPKsPsPKlPlEEvT_T0_T1_T2_jjjjRNS5_12storage_typeE.has_indirect_call)
	.section	.AMDGPU.csdata,"",@progbits
; Kernel info:
; codeLenInByte = 524
; TotalNumSgprs: 42
; NumVgprs: 54
; ScratchSize: 0
; MemoryBound: 0
; FloatMode: 240
; IeeeMode: 1
; LDSByteSize: 10240 bytes/workgroup (compile time only)
; SGPRBlocks: 0
; VGPRBlocks: 6
; NumSGPRsForWavesPerEU: 42
; NumVGPRsForWavesPerEU: 54
; Occupancy: 16
; WaveLimiterHint : 0
; COMPUTE_PGM_RSRC2:SCRATCH_EN: 0
; COMPUTE_PGM_RSRC2:USER_SGPR: 6
; COMPUTE_PGM_RSRC2:TRAP_HANDLER: 0
; COMPUTE_PGM_RSRC2:TGID_X_EN: 1
; COMPUTE_PGM_RSRC2:TGID_Y_EN: 1
; COMPUTE_PGM_RSRC2:TGID_Z_EN: 0
; COMPUTE_PGM_RSRC2:TIDIG_COMP_CNT: 2
	.section	.text._ZN7rocprim17ROCPRIM_400000_NS6detail17trampoline_kernelINS0_14default_configENS1_36segmented_radix_sort_config_selectorIslEEZNS1_25segmented_radix_sort_implIS3_Lb1EPKsPsPKlPlN2at6native12_GLOBAL__N_18offset_tEEE10hipError_tPvRmT1_PNSt15iterator_traitsISK_E10value_typeET2_T3_PNSL_ISQ_E10value_typeET4_jRbjT5_SW_jjP12ihipStream_tbEUlT_E2_NS1_11comp_targetILNS1_3genE0ELNS1_11target_archE4294967295ELNS1_3gpuE0ELNS1_3repE0EEENS1_30default_config_static_selectorELNS0_4arch9wavefront6targetE0EEEvSK_,"axG",@progbits,_ZN7rocprim17ROCPRIM_400000_NS6detail17trampoline_kernelINS0_14default_configENS1_36segmented_radix_sort_config_selectorIslEEZNS1_25segmented_radix_sort_implIS3_Lb1EPKsPsPKlPlN2at6native12_GLOBAL__N_18offset_tEEE10hipError_tPvRmT1_PNSt15iterator_traitsISK_E10value_typeET2_T3_PNSL_ISQ_E10value_typeET4_jRbjT5_SW_jjP12ihipStream_tbEUlT_E2_NS1_11comp_targetILNS1_3genE0ELNS1_11target_archE4294967295ELNS1_3gpuE0ELNS1_3repE0EEENS1_30default_config_static_selectorELNS0_4arch9wavefront6targetE0EEEvSK_,comdat
	.globl	_ZN7rocprim17ROCPRIM_400000_NS6detail17trampoline_kernelINS0_14default_configENS1_36segmented_radix_sort_config_selectorIslEEZNS1_25segmented_radix_sort_implIS3_Lb1EPKsPsPKlPlN2at6native12_GLOBAL__N_18offset_tEEE10hipError_tPvRmT1_PNSt15iterator_traitsISK_E10value_typeET2_T3_PNSL_ISQ_E10value_typeET4_jRbjT5_SW_jjP12ihipStream_tbEUlT_E2_NS1_11comp_targetILNS1_3genE0ELNS1_11target_archE4294967295ELNS1_3gpuE0ELNS1_3repE0EEENS1_30default_config_static_selectorELNS0_4arch9wavefront6targetE0EEEvSK_ ; -- Begin function _ZN7rocprim17ROCPRIM_400000_NS6detail17trampoline_kernelINS0_14default_configENS1_36segmented_radix_sort_config_selectorIslEEZNS1_25segmented_radix_sort_implIS3_Lb1EPKsPsPKlPlN2at6native12_GLOBAL__N_18offset_tEEE10hipError_tPvRmT1_PNSt15iterator_traitsISK_E10value_typeET2_T3_PNSL_ISQ_E10value_typeET4_jRbjT5_SW_jjP12ihipStream_tbEUlT_E2_NS1_11comp_targetILNS1_3genE0ELNS1_11target_archE4294967295ELNS1_3gpuE0ELNS1_3repE0EEENS1_30default_config_static_selectorELNS0_4arch9wavefront6targetE0EEEvSK_
	.p2align	8
	.type	_ZN7rocprim17ROCPRIM_400000_NS6detail17trampoline_kernelINS0_14default_configENS1_36segmented_radix_sort_config_selectorIslEEZNS1_25segmented_radix_sort_implIS3_Lb1EPKsPsPKlPlN2at6native12_GLOBAL__N_18offset_tEEE10hipError_tPvRmT1_PNSt15iterator_traitsISK_E10value_typeET2_T3_PNSL_ISQ_E10value_typeET4_jRbjT5_SW_jjP12ihipStream_tbEUlT_E2_NS1_11comp_targetILNS1_3genE0ELNS1_11target_archE4294967295ELNS1_3gpuE0ELNS1_3repE0EEENS1_30default_config_static_selectorELNS0_4arch9wavefront6targetE0EEEvSK_,@function
_ZN7rocprim17ROCPRIM_400000_NS6detail17trampoline_kernelINS0_14default_configENS1_36segmented_radix_sort_config_selectorIslEEZNS1_25segmented_radix_sort_implIS3_Lb1EPKsPsPKlPlN2at6native12_GLOBAL__N_18offset_tEEE10hipError_tPvRmT1_PNSt15iterator_traitsISK_E10value_typeET2_T3_PNSL_ISQ_E10value_typeET4_jRbjT5_SW_jjP12ihipStream_tbEUlT_E2_NS1_11comp_targetILNS1_3genE0ELNS1_11target_archE4294967295ELNS1_3gpuE0ELNS1_3repE0EEENS1_30default_config_static_selectorELNS0_4arch9wavefront6targetE0EEEvSK_: ; @_ZN7rocprim17ROCPRIM_400000_NS6detail17trampoline_kernelINS0_14default_configENS1_36segmented_radix_sort_config_selectorIslEEZNS1_25segmented_radix_sort_implIS3_Lb1EPKsPsPKlPlN2at6native12_GLOBAL__N_18offset_tEEE10hipError_tPvRmT1_PNSt15iterator_traitsISK_E10value_typeET2_T3_PNSL_ISQ_E10value_typeET4_jRbjT5_SW_jjP12ihipStream_tbEUlT_E2_NS1_11comp_targetILNS1_3genE0ELNS1_11target_archE4294967295ELNS1_3gpuE0ELNS1_3repE0EEENS1_30default_config_static_selectorELNS0_4arch9wavefront6targetE0EEEvSK_
; %bb.0:
	.section	.rodata,"a",@progbits
	.p2align	6, 0x0
	.amdhsa_kernel _ZN7rocprim17ROCPRIM_400000_NS6detail17trampoline_kernelINS0_14default_configENS1_36segmented_radix_sort_config_selectorIslEEZNS1_25segmented_radix_sort_implIS3_Lb1EPKsPsPKlPlN2at6native12_GLOBAL__N_18offset_tEEE10hipError_tPvRmT1_PNSt15iterator_traitsISK_E10value_typeET2_T3_PNSL_ISQ_E10value_typeET4_jRbjT5_SW_jjP12ihipStream_tbEUlT_E2_NS1_11comp_targetILNS1_3genE0ELNS1_11target_archE4294967295ELNS1_3gpuE0ELNS1_3repE0EEENS1_30default_config_static_selectorELNS0_4arch9wavefront6targetE0EEEvSK_
		.amdhsa_group_segment_fixed_size 0
		.amdhsa_private_segment_fixed_size 0
		.amdhsa_kernarg_size 80
		.amdhsa_user_sgpr_count 6
		.amdhsa_user_sgpr_private_segment_buffer 1
		.amdhsa_user_sgpr_dispatch_ptr 0
		.amdhsa_user_sgpr_queue_ptr 0
		.amdhsa_user_sgpr_kernarg_segment_ptr 1
		.amdhsa_user_sgpr_dispatch_id 0
		.amdhsa_user_sgpr_flat_scratch_init 0
		.amdhsa_user_sgpr_private_segment_size 0
		.amdhsa_wavefront_size32 1
		.amdhsa_uses_dynamic_stack 0
		.amdhsa_system_sgpr_private_segment_wavefront_offset 0
		.amdhsa_system_sgpr_workgroup_id_x 1
		.amdhsa_system_sgpr_workgroup_id_y 0
		.amdhsa_system_sgpr_workgroup_id_z 0
		.amdhsa_system_sgpr_workgroup_info 0
		.amdhsa_system_vgpr_workitem_id 0
		.amdhsa_next_free_vgpr 1
		.amdhsa_next_free_sgpr 1
		.amdhsa_reserve_vcc 0
		.amdhsa_reserve_flat_scratch 0
		.amdhsa_float_round_mode_32 0
		.amdhsa_float_round_mode_16_64 0
		.amdhsa_float_denorm_mode_32 3
		.amdhsa_float_denorm_mode_16_64 3
		.amdhsa_dx10_clamp 1
		.amdhsa_ieee_mode 1
		.amdhsa_fp16_overflow 0
		.amdhsa_workgroup_processor_mode 1
		.amdhsa_memory_ordered 1
		.amdhsa_forward_progress 1
		.amdhsa_shared_vgpr_count 0
		.amdhsa_exception_fp_ieee_invalid_op 0
		.amdhsa_exception_fp_denorm_src 0
		.amdhsa_exception_fp_ieee_div_zero 0
		.amdhsa_exception_fp_ieee_overflow 0
		.amdhsa_exception_fp_ieee_underflow 0
		.amdhsa_exception_fp_ieee_inexact 0
		.amdhsa_exception_int_div_zero 0
	.end_amdhsa_kernel
	.section	.text._ZN7rocprim17ROCPRIM_400000_NS6detail17trampoline_kernelINS0_14default_configENS1_36segmented_radix_sort_config_selectorIslEEZNS1_25segmented_radix_sort_implIS3_Lb1EPKsPsPKlPlN2at6native12_GLOBAL__N_18offset_tEEE10hipError_tPvRmT1_PNSt15iterator_traitsISK_E10value_typeET2_T3_PNSL_ISQ_E10value_typeET4_jRbjT5_SW_jjP12ihipStream_tbEUlT_E2_NS1_11comp_targetILNS1_3genE0ELNS1_11target_archE4294967295ELNS1_3gpuE0ELNS1_3repE0EEENS1_30default_config_static_selectorELNS0_4arch9wavefront6targetE0EEEvSK_,"axG",@progbits,_ZN7rocprim17ROCPRIM_400000_NS6detail17trampoline_kernelINS0_14default_configENS1_36segmented_radix_sort_config_selectorIslEEZNS1_25segmented_radix_sort_implIS3_Lb1EPKsPsPKlPlN2at6native12_GLOBAL__N_18offset_tEEE10hipError_tPvRmT1_PNSt15iterator_traitsISK_E10value_typeET2_T3_PNSL_ISQ_E10value_typeET4_jRbjT5_SW_jjP12ihipStream_tbEUlT_E2_NS1_11comp_targetILNS1_3genE0ELNS1_11target_archE4294967295ELNS1_3gpuE0ELNS1_3repE0EEENS1_30default_config_static_selectorELNS0_4arch9wavefront6targetE0EEEvSK_,comdat
.Lfunc_end934:
	.size	_ZN7rocprim17ROCPRIM_400000_NS6detail17trampoline_kernelINS0_14default_configENS1_36segmented_radix_sort_config_selectorIslEEZNS1_25segmented_radix_sort_implIS3_Lb1EPKsPsPKlPlN2at6native12_GLOBAL__N_18offset_tEEE10hipError_tPvRmT1_PNSt15iterator_traitsISK_E10value_typeET2_T3_PNSL_ISQ_E10value_typeET4_jRbjT5_SW_jjP12ihipStream_tbEUlT_E2_NS1_11comp_targetILNS1_3genE0ELNS1_11target_archE4294967295ELNS1_3gpuE0ELNS1_3repE0EEENS1_30default_config_static_selectorELNS0_4arch9wavefront6targetE0EEEvSK_, .Lfunc_end934-_ZN7rocprim17ROCPRIM_400000_NS6detail17trampoline_kernelINS0_14default_configENS1_36segmented_radix_sort_config_selectorIslEEZNS1_25segmented_radix_sort_implIS3_Lb1EPKsPsPKlPlN2at6native12_GLOBAL__N_18offset_tEEE10hipError_tPvRmT1_PNSt15iterator_traitsISK_E10value_typeET2_T3_PNSL_ISQ_E10value_typeET4_jRbjT5_SW_jjP12ihipStream_tbEUlT_E2_NS1_11comp_targetILNS1_3genE0ELNS1_11target_archE4294967295ELNS1_3gpuE0ELNS1_3repE0EEENS1_30default_config_static_selectorELNS0_4arch9wavefront6targetE0EEEvSK_
                                        ; -- End function
	.set _ZN7rocprim17ROCPRIM_400000_NS6detail17trampoline_kernelINS0_14default_configENS1_36segmented_radix_sort_config_selectorIslEEZNS1_25segmented_radix_sort_implIS3_Lb1EPKsPsPKlPlN2at6native12_GLOBAL__N_18offset_tEEE10hipError_tPvRmT1_PNSt15iterator_traitsISK_E10value_typeET2_T3_PNSL_ISQ_E10value_typeET4_jRbjT5_SW_jjP12ihipStream_tbEUlT_E2_NS1_11comp_targetILNS1_3genE0ELNS1_11target_archE4294967295ELNS1_3gpuE0ELNS1_3repE0EEENS1_30default_config_static_selectorELNS0_4arch9wavefront6targetE0EEEvSK_.num_vgpr, 0
	.set _ZN7rocprim17ROCPRIM_400000_NS6detail17trampoline_kernelINS0_14default_configENS1_36segmented_radix_sort_config_selectorIslEEZNS1_25segmented_radix_sort_implIS3_Lb1EPKsPsPKlPlN2at6native12_GLOBAL__N_18offset_tEEE10hipError_tPvRmT1_PNSt15iterator_traitsISK_E10value_typeET2_T3_PNSL_ISQ_E10value_typeET4_jRbjT5_SW_jjP12ihipStream_tbEUlT_E2_NS1_11comp_targetILNS1_3genE0ELNS1_11target_archE4294967295ELNS1_3gpuE0ELNS1_3repE0EEENS1_30default_config_static_selectorELNS0_4arch9wavefront6targetE0EEEvSK_.num_agpr, 0
	.set _ZN7rocprim17ROCPRIM_400000_NS6detail17trampoline_kernelINS0_14default_configENS1_36segmented_radix_sort_config_selectorIslEEZNS1_25segmented_radix_sort_implIS3_Lb1EPKsPsPKlPlN2at6native12_GLOBAL__N_18offset_tEEE10hipError_tPvRmT1_PNSt15iterator_traitsISK_E10value_typeET2_T3_PNSL_ISQ_E10value_typeET4_jRbjT5_SW_jjP12ihipStream_tbEUlT_E2_NS1_11comp_targetILNS1_3genE0ELNS1_11target_archE4294967295ELNS1_3gpuE0ELNS1_3repE0EEENS1_30default_config_static_selectorELNS0_4arch9wavefront6targetE0EEEvSK_.numbered_sgpr, 0
	.set _ZN7rocprim17ROCPRIM_400000_NS6detail17trampoline_kernelINS0_14default_configENS1_36segmented_radix_sort_config_selectorIslEEZNS1_25segmented_radix_sort_implIS3_Lb1EPKsPsPKlPlN2at6native12_GLOBAL__N_18offset_tEEE10hipError_tPvRmT1_PNSt15iterator_traitsISK_E10value_typeET2_T3_PNSL_ISQ_E10value_typeET4_jRbjT5_SW_jjP12ihipStream_tbEUlT_E2_NS1_11comp_targetILNS1_3genE0ELNS1_11target_archE4294967295ELNS1_3gpuE0ELNS1_3repE0EEENS1_30default_config_static_selectorELNS0_4arch9wavefront6targetE0EEEvSK_.num_named_barrier, 0
	.set _ZN7rocprim17ROCPRIM_400000_NS6detail17trampoline_kernelINS0_14default_configENS1_36segmented_radix_sort_config_selectorIslEEZNS1_25segmented_radix_sort_implIS3_Lb1EPKsPsPKlPlN2at6native12_GLOBAL__N_18offset_tEEE10hipError_tPvRmT1_PNSt15iterator_traitsISK_E10value_typeET2_T3_PNSL_ISQ_E10value_typeET4_jRbjT5_SW_jjP12ihipStream_tbEUlT_E2_NS1_11comp_targetILNS1_3genE0ELNS1_11target_archE4294967295ELNS1_3gpuE0ELNS1_3repE0EEENS1_30default_config_static_selectorELNS0_4arch9wavefront6targetE0EEEvSK_.private_seg_size, 0
	.set _ZN7rocprim17ROCPRIM_400000_NS6detail17trampoline_kernelINS0_14default_configENS1_36segmented_radix_sort_config_selectorIslEEZNS1_25segmented_radix_sort_implIS3_Lb1EPKsPsPKlPlN2at6native12_GLOBAL__N_18offset_tEEE10hipError_tPvRmT1_PNSt15iterator_traitsISK_E10value_typeET2_T3_PNSL_ISQ_E10value_typeET4_jRbjT5_SW_jjP12ihipStream_tbEUlT_E2_NS1_11comp_targetILNS1_3genE0ELNS1_11target_archE4294967295ELNS1_3gpuE0ELNS1_3repE0EEENS1_30default_config_static_selectorELNS0_4arch9wavefront6targetE0EEEvSK_.uses_vcc, 0
	.set _ZN7rocprim17ROCPRIM_400000_NS6detail17trampoline_kernelINS0_14default_configENS1_36segmented_radix_sort_config_selectorIslEEZNS1_25segmented_radix_sort_implIS3_Lb1EPKsPsPKlPlN2at6native12_GLOBAL__N_18offset_tEEE10hipError_tPvRmT1_PNSt15iterator_traitsISK_E10value_typeET2_T3_PNSL_ISQ_E10value_typeET4_jRbjT5_SW_jjP12ihipStream_tbEUlT_E2_NS1_11comp_targetILNS1_3genE0ELNS1_11target_archE4294967295ELNS1_3gpuE0ELNS1_3repE0EEENS1_30default_config_static_selectorELNS0_4arch9wavefront6targetE0EEEvSK_.uses_flat_scratch, 0
	.set _ZN7rocprim17ROCPRIM_400000_NS6detail17trampoline_kernelINS0_14default_configENS1_36segmented_radix_sort_config_selectorIslEEZNS1_25segmented_radix_sort_implIS3_Lb1EPKsPsPKlPlN2at6native12_GLOBAL__N_18offset_tEEE10hipError_tPvRmT1_PNSt15iterator_traitsISK_E10value_typeET2_T3_PNSL_ISQ_E10value_typeET4_jRbjT5_SW_jjP12ihipStream_tbEUlT_E2_NS1_11comp_targetILNS1_3genE0ELNS1_11target_archE4294967295ELNS1_3gpuE0ELNS1_3repE0EEENS1_30default_config_static_selectorELNS0_4arch9wavefront6targetE0EEEvSK_.has_dyn_sized_stack, 0
	.set _ZN7rocprim17ROCPRIM_400000_NS6detail17trampoline_kernelINS0_14default_configENS1_36segmented_radix_sort_config_selectorIslEEZNS1_25segmented_radix_sort_implIS3_Lb1EPKsPsPKlPlN2at6native12_GLOBAL__N_18offset_tEEE10hipError_tPvRmT1_PNSt15iterator_traitsISK_E10value_typeET2_T3_PNSL_ISQ_E10value_typeET4_jRbjT5_SW_jjP12ihipStream_tbEUlT_E2_NS1_11comp_targetILNS1_3genE0ELNS1_11target_archE4294967295ELNS1_3gpuE0ELNS1_3repE0EEENS1_30default_config_static_selectorELNS0_4arch9wavefront6targetE0EEEvSK_.has_recursion, 0
	.set _ZN7rocprim17ROCPRIM_400000_NS6detail17trampoline_kernelINS0_14default_configENS1_36segmented_radix_sort_config_selectorIslEEZNS1_25segmented_radix_sort_implIS3_Lb1EPKsPsPKlPlN2at6native12_GLOBAL__N_18offset_tEEE10hipError_tPvRmT1_PNSt15iterator_traitsISK_E10value_typeET2_T3_PNSL_ISQ_E10value_typeET4_jRbjT5_SW_jjP12ihipStream_tbEUlT_E2_NS1_11comp_targetILNS1_3genE0ELNS1_11target_archE4294967295ELNS1_3gpuE0ELNS1_3repE0EEENS1_30default_config_static_selectorELNS0_4arch9wavefront6targetE0EEEvSK_.has_indirect_call, 0
	.section	.AMDGPU.csdata,"",@progbits
; Kernel info:
; codeLenInByte = 0
; TotalNumSgprs: 0
; NumVgprs: 0
; ScratchSize: 0
; MemoryBound: 0
; FloatMode: 240
; IeeeMode: 1
; LDSByteSize: 0 bytes/workgroup (compile time only)
; SGPRBlocks: 0
; VGPRBlocks: 0
; NumSGPRsForWavesPerEU: 1
; NumVGPRsForWavesPerEU: 1
; Occupancy: 16
; WaveLimiterHint : 0
; COMPUTE_PGM_RSRC2:SCRATCH_EN: 0
; COMPUTE_PGM_RSRC2:USER_SGPR: 6
; COMPUTE_PGM_RSRC2:TRAP_HANDLER: 0
; COMPUTE_PGM_RSRC2:TGID_X_EN: 1
; COMPUTE_PGM_RSRC2:TGID_Y_EN: 0
; COMPUTE_PGM_RSRC2:TGID_Z_EN: 0
; COMPUTE_PGM_RSRC2:TIDIG_COMP_CNT: 0
	.section	.text._ZN7rocprim17ROCPRIM_400000_NS6detail17trampoline_kernelINS0_14default_configENS1_36segmented_radix_sort_config_selectorIslEEZNS1_25segmented_radix_sort_implIS3_Lb1EPKsPsPKlPlN2at6native12_GLOBAL__N_18offset_tEEE10hipError_tPvRmT1_PNSt15iterator_traitsISK_E10value_typeET2_T3_PNSL_ISQ_E10value_typeET4_jRbjT5_SW_jjP12ihipStream_tbEUlT_E2_NS1_11comp_targetILNS1_3genE5ELNS1_11target_archE942ELNS1_3gpuE9ELNS1_3repE0EEENS1_30default_config_static_selectorELNS0_4arch9wavefront6targetE0EEEvSK_,"axG",@progbits,_ZN7rocprim17ROCPRIM_400000_NS6detail17trampoline_kernelINS0_14default_configENS1_36segmented_radix_sort_config_selectorIslEEZNS1_25segmented_radix_sort_implIS3_Lb1EPKsPsPKlPlN2at6native12_GLOBAL__N_18offset_tEEE10hipError_tPvRmT1_PNSt15iterator_traitsISK_E10value_typeET2_T3_PNSL_ISQ_E10value_typeET4_jRbjT5_SW_jjP12ihipStream_tbEUlT_E2_NS1_11comp_targetILNS1_3genE5ELNS1_11target_archE942ELNS1_3gpuE9ELNS1_3repE0EEENS1_30default_config_static_selectorELNS0_4arch9wavefront6targetE0EEEvSK_,comdat
	.globl	_ZN7rocprim17ROCPRIM_400000_NS6detail17trampoline_kernelINS0_14default_configENS1_36segmented_radix_sort_config_selectorIslEEZNS1_25segmented_radix_sort_implIS3_Lb1EPKsPsPKlPlN2at6native12_GLOBAL__N_18offset_tEEE10hipError_tPvRmT1_PNSt15iterator_traitsISK_E10value_typeET2_T3_PNSL_ISQ_E10value_typeET4_jRbjT5_SW_jjP12ihipStream_tbEUlT_E2_NS1_11comp_targetILNS1_3genE5ELNS1_11target_archE942ELNS1_3gpuE9ELNS1_3repE0EEENS1_30default_config_static_selectorELNS0_4arch9wavefront6targetE0EEEvSK_ ; -- Begin function _ZN7rocprim17ROCPRIM_400000_NS6detail17trampoline_kernelINS0_14default_configENS1_36segmented_radix_sort_config_selectorIslEEZNS1_25segmented_radix_sort_implIS3_Lb1EPKsPsPKlPlN2at6native12_GLOBAL__N_18offset_tEEE10hipError_tPvRmT1_PNSt15iterator_traitsISK_E10value_typeET2_T3_PNSL_ISQ_E10value_typeET4_jRbjT5_SW_jjP12ihipStream_tbEUlT_E2_NS1_11comp_targetILNS1_3genE5ELNS1_11target_archE942ELNS1_3gpuE9ELNS1_3repE0EEENS1_30default_config_static_selectorELNS0_4arch9wavefront6targetE0EEEvSK_
	.p2align	8
	.type	_ZN7rocprim17ROCPRIM_400000_NS6detail17trampoline_kernelINS0_14default_configENS1_36segmented_radix_sort_config_selectorIslEEZNS1_25segmented_radix_sort_implIS3_Lb1EPKsPsPKlPlN2at6native12_GLOBAL__N_18offset_tEEE10hipError_tPvRmT1_PNSt15iterator_traitsISK_E10value_typeET2_T3_PNSL_ISQ_E10value_typeET4_jRbjT5_SW_jjP12ihipStream_tbEUlT_E2_NS1_11comp_targetILNS1_3genE5ELNS1_11target_archE942ELNS1_3gpuE9ELNS1_3repE0EEENS1_30default_config_static_selectorELNS0_4arch9wavefront6targetE0EEEvSK_,@function
_ZN7rocprim17ROCPRIM_400000_NS6detail17trampoline_kernelINS0_14default_configENS1_36segmented_radix_sort_config_selectorIslEEZNS1_25segmented_radix_sort_implIS3_Lb1EPKsPsPKlPlN2at6native12_GLOBAL__N_18offset_tEEE10hipError_tPvRmT1_PNSt15iterator_traitsISK_E10value_typeET2_T3_PNSL_ISQ_E10value_typeET4_jRbjT5_SW_jjP12ihipStream_tbEUlT_E2_NS1_11comp_targetILNS1_3genE5ELNS1_11target_archE942ELNS1_3gpuE9ELNS1_3repE0EEENS1_30default_config_static_selectorELNS0_4arch9wavefront6targetE0EEEvSK_: ; @_ZN7rocprim17ROCPRIM_400000_NS6detail17trampoline_kernelINS0_14default_configENS1_36segmented_radix_sort_config_selectorIslEEZNS1_25segmented_radix_sort_implIS3_Lb1EPKsPsPKlPlN2at6native12_GLOBAL__N_18offset_tEEE10hipError_tPvRmT1_PNSt15iterator_traitsISK_E10value_typeET2_T3_PNSL_ISQ_E10value_typeET4_jRbjT5_SW_jjP12ihipStream_tbEUlT_E2_NS1_11comp_targetILNS1_3genE5ELNS1_11target_archE942ELNS1_3gpuE9ELNS1_3repE0EEENS1_30default_config_static_selectorELNS0_4arch9wavefront6targetE0EEEvSK_
; %bb.0:
	.section	.rodata,"a",@progbits
	.p2align	6, 0x0
	.amdhsa_kernel _ZN7rocprim17ROCPRIM_400000_NS6detail17trampoline_kernelINS0_14default_configENS1_36segmented_radix_sort_config_selectorIslEEZNS1_25segmented_radix_sort_implIS3_Lb1EPKsPsPKlPlN2at6native12_GLOBAL__N_18offset_tEEE10hipError_tPvRmT1_PNSt15iterator_traitsISK_E10value_typeET2_T3_PNSL_ISQ_E10value_typeET4_jRbjT5_SW_jjP12ihipStream_tbEUlT_E2_NS1_11comp_targetILNS1_3genE5ELNS1_11target_archE942ELNS1_3gpuE9ELNS1_3repE0EEENS1_30default_config_static_selectorELNS0_4arch9wavefront6targetE0EEEvSK_
		.amdhsa_group_segment_fixed_size 0
		.amdhsa_private_segment_fixed_size 0
		.amdhsa_kernarg_size 80
		.amdhsa_user_sgpr_count 6
		.amdhsa_user_sgpr_private_segment_buffer 1
		.amdhsa_user_sgpr_dispatch_ptr 0
		.amdhsa_user_sgpr_queue_ptr 0
		.amdhsa_user_sgpr_kernarg_segment_ptr 1
		.amdhsa_user_sgpr_dispatch_id 0
		.amdhsa_user_sgpr_flat_scratch_init 0
		.amdhsa_user_sgpr_private_segment_size 0
		.amdhsa_wavefront_size32 1
		.amdhsa_uses_dynamic_stack 0
		.amdhsa_system_sgpr_private_segment_wavefront_offset 0
		.amdhsa_system_sgpr_workgroup_id_x 1
		.amdhsa_system_sgpr_workgroup_id_y 0
		.amdhsa_system_sgpr_workgroup_id_z 0
		.amdhsa_system_sgpr_workgroup_info 0
		.amdhsa_system_vgpr_workitem_id 0
		.amdhsa_next_free_vgpr 1
		.amdhsa_next_free_sgpr 1
		.amdhsa_reserve_vcc 0
		.amdhsa_reserve_flat_scratch 0
		.amdhsa_float_round_mode_32 0
		.amdhsa_float_round_mode_16_64 0
		.amdhsa_float_denorm_mode_32 3
		.amdhsa_float_denorm_mode_16_64 3
		.amdhsa_dx10_clamp 1
		.amdhsa_ieee_mode 1
		.amdhsa_fp16_overflow 0
		.amdhsa_workgroup_processor_mode 1
		.amdhsa_memory_ordered 1
		.amdhsa_forward_progress 1
		.amdhsa_shared_vgpr_count 0
		.amdhsa_exception_fp_ieee_invalid_op 0
		.amdhsa_exception_fp_denorm_src 0
		.amdhsa_exception_fp_ieee_div_zero 0
		.amdhsa_exception_fp_ieee_overflow 0
		.amdhsa_exception_fp_ieee_underflow 0
		.amdhsa_exception_fp_ieee_inexact 0
		.amdhsa_exception_int_div_zero 0
	.end_amdhsa_kernel
	.section	.text._ZN7rocprim17ROCPRIM_400000_NS6detail17trampoline_kernelINS0_14default_configENS1_36segmented_radix_sort_config_selectorIslEEZNS1_25segmented_radix_sort_implIS3_Lb1EPKsPsPKlPlN2at6native12_GLOBAL__N_18offset_tEEE10hipError_tPvRmT1_PNSt15iterator_traitsISK_E10value_typeET2_T3_PNSL_ISQ_E10value_typeET4_jRbjT5_SW_jjP12ihipStream_tbEUlT_E2_NS1_11comp_targetILNS1_3genE5ELNS1_11target_archE942ELNS1_3gpuE9ELNS1_3repE0EEENS1_30default_config_static_selectorELNS0_4arch9wavefront6targetE0EEEvSK_,"axG",@progbits,_ZN7rocprim17ROCPRIM_400000_NS6detail17trampoline_kernelINS0_14default_configENS1_36segmented_radix_sort_config_selectorIslEEZNS1_25segmented_radix_sort_implIS3_Lb1EPKsPsPKlPlN2at6native12_GLOBAL__N_18offset_tEEE10hipError_tPvRmT1_PNSt15iterator_traitsISK_E10value_typeET2_T3_PNSL_ISQ_E10value_typeET4_jRbjT5_SW_jjP12ihipStream_tbEUlT_E2_NS1_11comp_targetILNS1_3genE5ELNS1_11target_archE942ELNS1_3gpuE9ELNS1_3repE0EEENS1_30default_config_static_selectorELNS0_4arch9wavefront6targetE0EEEvSK_,comdat
.Lfunc_end935:
	.size	_ZN7rocprim17ROCPRIM_400000_NS6detail17trampoline_kernelINS0_14default_configENS1_36segmented_radix_sort_config_selectorIslEEZNS1_25segmented_radix_sort_implIS3_Lb1EPKsPsPKlPlN2at6native12_GLOBAL__N_18offset_tEEE10hipError_tPvRmT1_PNSt15iterator_traitsISK_E10value_typeET2_T3_PNSL_ISQ_E10value_typeET4_jRbjT5_SW_jjP12ihipStream_tbEUlT_E2_NS1_11comp_targetILNS1_3genE5ELNS1_11target_archE942ELNS1_3gpuE9ELNS1_3repE0EEENS1_30default_config_static_selectorELNS0_4arch9wavefront6targetE0EEEvSK_, .Lfunc_end935-_ZN7rocprim17ROCPRIM_400000_NS6detail17trampoline_kernelINS0_14default_configENS1_36segmented_radix_sort_config_selectorIslEEZNS1_25segmented_radix_sort_implIS3_Lb1EPKsPsPKlPlN2at6native12_GLOBAL__N_18offset_tEEE10hipError_tPvRmT1_PNSt15iterator_traitsISK_E10value_typeET2_T3_PNSL_ISQ_E10value_typeET4_jRbjT5_SW_jjP12ihipStream_tbEUlT_E2_NS1_11comp_targetILNS1_3genE5ELNS1_11target_archE942ELNS1_3gpuE9ELNS1_3repE0EEENS1_30default_config_static_selectorELNS0_4arch9wavefront6targetE0EEEvSK_
                                        ; -- End function
	.set _ZN7rocprim17ROCPRIM_400000_NS6detail17trampoline_kernelINS0_14default_configENS1_36segmented_radix_sort_config_selectorIslEEZNS1_25segmented_radix_sort_implIS3_Lb1EPKsPsPKlPlN2at6native12_GLOBAL__N_18offset_tEEE10hipError_tPvRmT1_PNSt15iterator_traitsISK_E10value_typeET2_T3_PNSL_ISQ_E10value_typeET4_jRbjT5_SW_jjP12ihipStream_tbEUlT_E2_NS1_11comp_targetILNS1_3genE5ELNS1_11target_archE942ELNS1_3gpuE9ELNS1_3repE0EEENS1_30default_config_static_selectorELNS0_4arch9wavefront6targetE0EEEvSK_.num_vgpr, 0
	.set _ZN7rocprim17ROCPRIM_400000_NS6detail17trampoline_kernelINS0_14default_configENS1_36segmented_radix_sort_config_selectorIslEEZNS1_25segmented_radix_sort_implIS3_Lb1EPKsPsPKlPlN2at6native12_GLOBAL__N_18offset_tEEE10hipError_tPvRmT1_PNSt15iterator_traitsISK_E10value_typeET2_T3_PNSL_ISQ_E10value_typeET4_jRbjT5_SW_jjP12ihipStream_tbEUlT_E2_NS1_11comp_targetILNS1_3genE5ELNS1_11target_archE942ELNS1_3gpuE9ELNS1_3repE0EEENS1_30default_config_static_selectorELNS0_4arch9wavefront6targetE0EEEvSK_.num_agpr, 0
	.set _ZN7rocprim17ROCPRIM_400000_NS6detail17trampoline_kernelINS0_14default_configENS1_36segmented_radix_sort_config_selectorIslEEZNS1_25segmented_radix_sort_implIS3_Lb1EPKsPsPKlPlN2at6native12_GLOBAL__N_18offset_tEEE10hipError_tPvRmT1_PNSt15iterator_traitsISK_E10value_typeET2_T3_PNSL_ISQ_E10value_typeET4_jRbjT5_SW_jjP12ihipStream_tbEUlT_E2_NS1_11comp_targetILNS1_3genE5ELNS1_11target_archE942ELNS1_3gpuE9ELNS1_3repE0EEENS1_30default_config_static_selectorELNS0_4arch9wavefront6targetE0EEEvSK_.numbered_sgpr, 0
	.set _ZN7rocprim17ROCPRIM_400000_NS6detail17trampoline_kernelINS0_14default_configENS1_36segmented_radix_sort_config_selectorIslEEZNS1_25segmented_radix_sort_implIS3_Lb1EPKsPsPKlPlN2at6native12_GLOBAL__N_18offset_tEEE10hipError_tPvRmT1_PNSt15iterator_traitsISK_E10value_typeET2_T3_PNSL_ISQ_E10value_typeET4_jRbjT5_SW_jjP12ihipStream_tbEUlT_E2_NS1_11comp_targetILNS1_3genE5ELNS1_11target_archE942ELNS1_3gpuE9ELNS1_3repE0EEENS1_30default_config_static_selectorELNS0_4arch9wavefront6targetE0EEEvSK_.num_named_barrier, 0
	.set _ZN7rocprim17ROCPRIM_400000_NS6detail17trampoline_kernelINS0_14default_configENS1_36segmented_radix_sort_config_selectorIslEEZNS1_25segmented_radix_sort_implIS3_Lb1EPKsPsPKlPlN2at6native12_GLOBAL__N_18offset_tEEE10hipError_tPvRmT1_PNSt15iterator_traitsISK_E10value_typeET2_T3_PNSL_ISQ_E10value_typeET4_jRbjT5_SW_jjP12ihipStream_tbEUlT_E2_NS1_11comp_targetILNS1_3genE5ELNS1_11target_archE942ELNS1_3gpuE9ELNS1_3repE0EEENS1_30default_config_static_selectorELNS0_4arch9wavefront6targetE0EEEvSK_.private_seg_size, 0
	.set _ZN7rocprim17ROCPRIM_400000_NS6detail17trampoline_kernelINS0_14default_configENS1_36segmented_radix_sort_config_selectorIslEEZNS1_25segmented_radix_sort_implIS3_Lb1EPKsPsPKlPlN2at6native12_GLOBAL__N_18offset_tEEE10hipError_tPvRmT1_PNSt15iterator_traitsISK_E10value_typeET2_T3_PNSL_ISQ_E10value_typeET4_jRbjT5_SW_jjP12ihipStream_tbEUlT_E2_NS1_11comp_targetILNS1_3genE5ELNS1_11target_archE942ELNS1_3gpuE9ELNS1_3repE0EEENS1_30default_config_static_selectorELNS0_4arch9wavefront6targetE0EEEvSK_.uses_vcc, 0
	.set _ZN7rocprim17ROCPRIM_400000_NS6detail17trampoline_kernelINS0_14default_configENS1_36segmented_radix_sort_config_selectorIslEEZNS1_25segmented_radix_sort_implIS3_Lb1EPKsPsPKlPlN2at6native12_GLOBAL__N_18offset_tEEE10hipError_tPvRmT1_PNSt15iterator_traitsISK_E10value_typeET2_T3_PNSL_ISQ_E10value_typeET4_jRbjT5_SW_jjP12ihipStream_tbEUlT_E2_NS1_11comp_targetILNS1_3genE5ELNS1_11target_archE942ELNS1_3gpuE9ELNS1_3repE0EEENS1_30default_config_static_selectorELNS0_4arch9wavefront6targetE0EEEvSK_.uses_flat_scratch, 0
	.set _ZN7rocprim17ROCPRIM_400000_NS6detail17trampoline_kernelINS0_14default_configENS1_36segmented_radix_sort_config_selectorIslEEZNS1_25segmented_radix_sort_implIS3_Lb1EPKsPsPKlPlN2at6native12_GLOBAL__N_18offset_tEEE10hipError_tPvRmT1_PNSt15iterator_traitsISK_E10value_typeET2_T3_PNSL_ISQ_E10value_typeET4_jRbjT5_SW_jjP12ihipStream_tbEUlT_E2_NS1_11comp_targetILNS1_3genE5ELNS1_11target_archE942ELNS1_3gpuE9ELNS1_3repE0EEENS1_30default_config_static_selectorELNS0_4arch9wavefront6targetE0EEEvSK_.has_dyn_sized_stack, 0
	.set _ZN7rocprim17ROCPRIM_400000_NS6detail17trampoline_kernelINS0_14default_configENS1_36segmented_radix_sort_config_selectorIslEEZNS1_25segmented_radix_sort_implIS3_Lb1EPKsPsPKlPlN2at6native12_GLOBAL__N_18offset_tEEE10hipError_tPvRmT1_PNSt15iterator_traitsISK_E10value_typeET2_T3_PNSL_ISQ_E10value_typeET4_jRbjT5_SW_jjP12ihipStream_tbEUlT_E2_NS1_11comp_targetILNS1_3genE5ELNS1_11target_archE942ELNS1_3gpuE9ELNS1_3repE0EEENS1_30default_config_static_selectorELNS0_4arch9wavefront6targetE0EEEvSK_.has_recursion, 0
	.set _ZN7rocprim17ROCPRIM_400000_NS6detail17trampoline_kernelINS0_14default_configENS1_36segmented_radix_sort_config_selectorIslEEZNS1_25segmented_radix_sort_implIS3_Lb1EPKsPsPKlPlN2at6native12_GLOBAL__N_18offset_tEEE10hipError_tPvRmT1_PNSt15iterator_traitsISK_E10value_typeET2_T3_PNSL_ISQ_E10value_typeET4_jRbjT5_SW_jjP12ihipStream_tbEUlT_E2_NS1_11comp_targetILNS1_3genE5ELNS1_11target_archE942ELNS1_3gpuE9ELNS1_3repE0EEENS1_30default_config_static_selectorELNS0_4arch9wavefront6targetE0EEEvSK_.has_indirect_call, 0
	.section	.AMDGPU.csdata,"",@progbits
; Kernel info:
; codeLenInByte = 0
; TotalNumSgprs: 0
; NumVgprs: 0
; ScratchSize: 0
; MemoryBound: 0
; FloatMode: 240
; IeeeMode: 1
; LDSByteSize: 0 bytes/workgroup (compile time only)
; SGPRBlocks: 0
; VGPRBlocks: 0
; NumSGPRsForWavesPerEU: 1
; NumVGPRsForWavesPerEU: 1
; Occupancy: 16
; WaveLimiterHint : 0
; COMPUTE_PGM_RSRC2:SCRATCH_EN: 0
; COMPUTE_PGM_RSRC2:USER_SGPR: 6
; COMPUTE_PGM_RSRC2:TRAP_HANDLER: 0
; COMPUTE_PGM_RSRC2:TGID_X_EN: 1
; COMPUTE_PGM_RSRC2:TGID_Y_EN: 0
; COMPUTE_PGM_RSRC2:TGID_Z_EN: 0
; COMPUTE_PGM_RSRC2:TIDIG_COMP_CNT: 0
	.section	.text._ZN7rocprim17ROCPRIM_400000_NS6detail17trampoline_kernelINS0_14default_configENS1_36segmented_radix_sort_config_selectorIslEEZNS1_25segmented_radix_sort_implIS3_Lb1EPKsPsPKlPlN2at6native12_GLOBAL__N_18offset_tEEE10hipError_tPvRmT1_PNSt15iterator_traitsISK_E10value_typeET2_T3_PNSL_ISQ_E10value_typeET4_jRbjT5_SW_jjP12ihipStream_tbEUlT_E2_NS1_11comp_targetILNS1_3genE4ELNS1_11target_archE910ELNS1_3gpuE8ELNS1_3repE0EEENS1_30default_config_static_selectorELNS0_4arch9wavefront6targetE0EEEvSK_,"axG",@progbits,_ZN7rocprim17ROCPRIM_400000_NS6detail17trampoline_kernelINS0_14default_configENS1_36segmented_radix_sort_config_selectorIslEEZNS1_25segmented_radix_sort_implIS3_Lb1EPKsPsPKlPlN2at6native12_GLOBAL__N_18offset_tEEE10hipError_tPvRmT1_PNSt15iterator_traitsISK_E10value_typeET2_T3_PNSL_ISQ_E10value_typeET4_jRbjT5_SW_jjP12ihipStream_tbEUlT_E2_NS1_11comp_targetILNS1_3genE4ELNS1_11target_archE910ELNS1_3gpuE8ELNS1_3repE0EEENS1_30default_config_static_selectorELNS0_4arch9wavefront6targetE0EEEvSK_,comdat
	.globl	_ZN7rocprim17ROCPRIM_400000_NS6detail17trampoline_kernelINS0_14default_configENS1_36segmented_radix_sort_config_selectorIslEEZNS1_25segmented_radix_sort_implIS3_Lb1EPKsPsPKlPlN2at6native12_GLOBAL__N_18offset_tEEE10hipError_tPvRmT1_PNSt15iterator_traitsISK_E10value_typeET2_T3_PNSL_ISQ_E10value_typeET4_jRbjT5_SW_jjP12ihipStream_tbEUlT_E2_NS1_11comp_targetILNS1_3genE4ELNS1_11target_archE910ELNS1_3gpuE8ELNS1_3repE0EEENS1_30default_config_static_selectorELNS0_4arch9wavefront6targetE0EEEvSK_ ; -- Begin function _ZN7rocprim17ROCPRIM_400000_NS6detail17trampoline_kernelINS0_14default_configENS1_36segmented_radix_sort_config_selectorIslEEZNS1_25segmented_radix_sort_implIS3_Lb1EPKsPsPKlPlN2at6native12_GLOBAL__N_18offset_tEEE10hipError_tPvRmT1_PNSt15iterator_traitsISK_E10value_typeET2_T3_PNSL_ISQ_E10value_typeET4_jRbjT5_SW_jjP12ihipStream_tbEUlT_E2_NS1_11comp_targetILNS1_3genE4ELNS1_11target_archE910ELNS1_3gpuE8ELNS1_3repE0EEENS1_30default_config_static_selectorELNS0_4arch9wavefront6targetE0EEEvSK_
	.p2align	8
	.type	_ZN7rocprim17ROCPRIM_400000_NS6detail17trampoline_kernelINS0_14default_configENS1_36segmented_radix_sort_config_selectorIslEEZNS1_25segmented_radix_sort_implIS3_Lb1EPKsPsPKlPlN2at6native12_GLOBAL__N_18offset_tEEE10hipError_tPvRmT1_PNSt15iterator_traitsISK_E10value_typeET2_T3_PNSL_ISQ_E10value_typeET4_jRbjT5_SW_jjP12ihipStream_tbEUlT_E2_NS1_11comp_targetILNS1_3genE4ELNS1_11target_archE910ELNS1_3gpuE8ELNS1_3repE0EEENS1_30default_config_static_selectorELNS0_4arch9wavefront6targetE0EEEvSK_,@function
_ZN7rocprim17ROCPRIM_400000_NS6detail17trampoline_kernelINS0_14default_configENS1_36segmented_radix_sort_config_selectorIslEEZNS1_25segmented_radix_sort_implIS3_Lb1EPKsPsPKlPlN2at6native12_GLOBAL__N_18offset_tEEE10hipError_tPvRmT1_PNSt15iterator_traitsISK_E10value_typeET2_T3_PNSL_ISQ_E10value_typeET4_jRbjT5_SW_jjP12ihipStream_tbEUlT_E2_NS1_11comp_targetILNS1_3genE4ELNS1_11target_archE910ELNS1_3gpuE8ELNS1_3repE0EEENS1_30default_config_static_selectorELNS0_4arch9wavefront6targetE0EEEvSK_: ; @_ZN7rocprim17ROCPRIM_400000_NS6detail17trampoline_kernelINS0_14default_configENS1_36segmented_radix_sort_config_selectorIslEEZNS1_25segmented_radix_sort_implIS3_Lb1EPKsPsPKlPlN2at6native12_GLOBAL__N_18offset_tEEE10hipError_tPvRmT1_PNSt15iterator_traitsISK_E10value_typeET2_T3_PNSL_ISQ_E10value_typeET4_jRbjT5_SW_jjP12ihipStream_tbEUlT_E2_NS1_11comp_targetILNS1_3genE4ELNS1_11target_archE910ELNS1_3gpuE8ELNS1_3repE0EEENS1_30default_config_static_selectorELNS0_4arch9wavefront6targetE0EEEvSK_
; %bb.0:
	.section	.rodata,"a",@progbits
	.p2align	6, 0x0
	.amdhsa_kernel _ZN7rocprim17ROCPRIM_400000_NS6detail17trampoline_kernelINS0_14default_configENS1_36segmented_radix_sort_config_selectorIslEEZNS1_25segmented_radix_sort_implIS3_Lb1EPKsPsPKlPlN2at6native12_GLOBAL__N_18offset_tEEE10hipError_tPvRmT1_PNSt15iterator_traitsISK_E10value_typeET2_T3_PNSL_ISQ_E10value_typeET4_jRbjT5_SW_jjP12ihipStream_tbEUlT_E2_NS1_11comp_targetILNS1_3genE4ELNS1_11target_archE910ELNS1_3gpuE8ELNS1_3repE0EEENS1_30default_config_static_selectorELNS0_4arch9wavefront6targetE0EEEvSK_
		.amdhsa_group_segment_fixed_size 0
		.amdhsa_private_segment_fixed_size 0
		.amdhsa_kernarg_size 80
		.amdhsa_user_sgpr_count 6
		.amdhsa_user_sgpr_private_segment_buffer 1
		.amdhsa_user_sgpr_dispatch_ptr 0
		.amdhsa_user_sgpr_queue_ptr 0
		.amdhsa_user_sgpr_kernarg_segment_ptr 1
		.amdhsa_user_sgpr_dispatch_id 0
		.amdhsa_user_sgpr_flat_scratch_init 0
		.amdhsa_user_sgpr_private_segment_size 0
		.amdhsa_wavefront_size32 1
		.amdhsa_uses_dynamic_stack 0
		.amdhsa_system_sgpr_private_segment_wavefront_offset 0
		.amdhsa_system_sgpr_workgroup_id_x 1
		.amdhsa_system_sgpr_workgroup_id_y 0
		.amdhsa_system_sgpr_workgroup_id_z 0
		.amdhsa_system_sgpr_workgroup_info 0
		.amdhsa_system_vgpr_workitem_id 0
		.amdhsa_next_free_vgpr 1
		.amdhsa_next_free_sgpr 1
		.amdhsa_reserve_vcc 0
		.amdhsa_reserve_flat_scratch 0
		.amdhsa_float_round_mode_32 0
		.amdhsa_float_round_mode_16_64 0
		.amdhsa_float_denorm_mode_32 3
		.amdhsa_float_denorm_mode_16_64 3
		.amdhsa_dx10_clamp 1
		.amdhsa_ieee_mode 1
		.amdhsa_fp16_overflow 0
		.amdhsa_workgroup_processor_mode 1
		.amdhsa_memory_ordered 1
		.amdhsa_forward_progress 1
		.amdhsa_shared_vgpr_count 0
		.amdhsa_exception_fp_ieee_invalid_op 0
		.amdhsa_exception_fp_denorm_src 0
		.amdhsa_exception_fp_ieee_div_zero 0
		.amdhsa_exception_fp_ieee_overflow 0
		.amdhsa_exception_fp_ieee_underflow 0
		.amdhsa_exception_fp_ieee_inexact 0
		.amdhsa_exception_int_div_zero 0
	.end_amdhsa_kernel
	.section	.text._ZN7rocprim17ROCPRIM_400000_NS6detail17trampoline_kernelINS0_14default_configENS1_36segmented_radix_sort_config_selectorIslEEZNS1_25segmented_radix_sort_implIS3_Lb1EPKsPsPKlPlN2at6native12_GLOBAL__N_18offset_tEEE10hipError_tPvRmT1_PNSt15iterator_traitsISK_E10value_typeET2_T3_PNSL_ISQ_E10value_typeET4_jRbjT5_SW_jjP12ihipStream_tbEUlT_E2_NS1_11comp_targetILNS1_3genE4ELNS1_11target_archE910ELNS1_3gpuE8ELNS1_3repE0EEENS1_30default_config_static_selectorELNS0_4arch9wavefront6targetE0EEEvSK_,"axG",@progbits,_ZN7rocprim17ROCPRIM_400000_NS6detail17trampoline_kernelINS0_14default_configENS1_36segmented_radix_sort_config_selectorIslEEZNS1_25segmented_radix_sort_implIS3_Lb1EPKsPsPKlPlN2at6native12_GLOBAL__N_18offset_tEEE10hipError_tPvRmT1_PNSt15iterator_traitsISK_E10value_typeET2_T3_PNSL_ISQ_E10value_typeET4_jRbjT5_SW_jjP12ihipStream_tbEUlT_E2_NS1_11comp_targetILNS1_3genE4ELNS1_11target_archE910ELNS1_3gpuE8ELNS1_3repE0EEENS1_30default_config_static_selectorELNS0_4arch9wavefront6targetE0EEEvSK_,comdat
.Lfunc_end936:
	.size	_ZN7rocprim17ROCPRIM_400000_NS6detail17trampoline_kernelINS0_14default_configENS1_36segmented_radix_sort_config_selectorIslEEZNS1_25segmented_radix_sort_implIS3_Lb1EPKsPsPKlPlN2at6native12_GLOBAL__N_18offset_tEEE10hipError_tPvRmT1_PNSt15iterator_traitsISK_E10value_typeET2_T3_PNSL_ISQ_E10value_typeET4_jRbjT5_SW_jjP12ihipStream_tbEUlT_E2_NS1_11comp_targetILNS1_3genE4ELNS1_11target_archE910ELNS1_3gpuE8ELNS1_3repE0EEENS1_30default_config_static_selectorELNS0_4arch9wavefront6targetE0EEEvSK_, .Lfunc_end936-_ZN7rocprim17ROCPRIM_400000_NS6detail17trampoline_kernelINS0_14default_configENS1_36segmented_radix_sort_config_selectorIslEEZNS1_25segmented_radix_sort_implIS3_Lb1EPKsPsPKlPlN2at6native12_GLOBAL__N_18offset_tEEE10hipError_tPvRmT1_PNSt15iterator_traitsISK_E10value_typeET2_T3_PNSL_ISQ_E10value_typeET4_jRbjT5_SW_jjP12ihipStream_tbEUlT_E2_NS1_11comp_targetILNS1_3genE4ELNS1_11target_archE910ELNS1_3gpuE8ELNS1_3repE0EEENS1_30default_config_static_selectorELNS0_4arch9wavefront6targetE0EEEvSK_
                                        ; -- End function
	.set _ZN7rocprim17ROCPRIM_400000_NS6detail17trampoline_kernelINS0_14default_configENS1_36segmented_radix_sort_config_selectorIslEEZNS1_25segmented_radix_sort_implIS3_Lb1EPKsPsPKlPlN2at6native12_GLOBAL__N_18offset_tEEE10hipError_tPvRmT1_PNSt15iterator_traitsISK_E10value_typeET2_T3_PNSL_ISQ_E10value_typeET4_jRbjT5_SW_jjP12ihipStream_tbEUlT_E2_NS1_11comp_targetILNS1_3genE4ELNS1_11target_archE910ELNS1_3gpuE8ELNS1_3repE0EEENS1_30default_config_static_selectorELNS0_4arch9wavefront6targetE0EEEvSK_.num_vgpr, 0
	.set _ZN7rocprim17ROCPRIM_400000_NS6detail17trampoline_kernelINS0_14default_configENS1_36segmented_radix_sort_config_selectorIslEEZNS1_25segmented_radix_sort_implIS3_Lb1EPKsPsPKlPlN2at6native12_GLOBAL__N_18offset_tEEE10hipError_tPvRmT1_PNSt15iterator_traitsISK_E10value_typeET2_T3_PNSL_ISQ_E10value_typeET4_jRbjT5_SW_jjP12ihipStream_tbEUlT_E2_NS1_11comp_targetILNS1_3genE4ELNS1_11target_archE910ELNS1_3gpuE8ELNS1_3repE0EEENS1_30default_config_static_selectorELNS0_4arch9wavefront6targetE0EEEvSK_.num_agpr, 0
	.set _ZN7rocprim17ROCPRIM_400000_NS6detail17trampoline_kernelINS0_14default_configENS1_36segmented_radix_sort_config_selectorIslEEZNS1_25segmented_radix_sort_implIS3_Lb1EPKsPsPKlPlN2at6native12_GLOBAL__N_18offset_tEEE10hipError_tPvRmT1_PNSt15iterator_traitsISK_E10value_typeET2_T3_PNSL_ISQ_E10value_typeET4_jRbjT5_SW_jjP12ihipStream_tbEUlT_E2_NS1_11comp_targetILNS1_3genE4ELNS1_11target_archE910ELNS1_3gpuE8ELNS1_3repE0EEENS1_30default_config_static_selectorELNS0_4arch9wavefront6targetE0EEEvSK_.numbered_sgpr, 0
	.set _ZN7rocprim17ROCPRIM_400000_NS6detail17trampoline_kernelINS0_14default_configENS1_36segmented_radix_sort_config_selectorIslEEZNS1_25segmented_radix_sort_implIS3_Lb1EPKsPsPKlPlN2at6native12_GLOBAL__N_18offset_tEEE10hipError_tPvRmT1_PNSt15iterator_traitsISK_E10value_typeET2_T3_PNSL_ISQ_E10value_typeET4_jRbjT5_SW_jjP12ihipStream_tbEUlT_E2_NS1_11comp_targetILNS1_3genE4ELNS1_11target_archE910ELNS1_3gpuE8ELNS1_3repE0EEENS1_30default_config_static_selectorELNS0_4arch9wavefront6targetE0EEEvSK_.num_named_barrier, 0
	.set _ZN7rocprim17ROCPRIM_400000_NS6detail17trampoline_kernelINS0_14default_configENS1_36segmented_radix_sort_config_selectorIslEEZNS1_25segmented_radix_sort_implIS3_Lb1EPKsPsPKlPlN2at6native12_GLOBAL__N_18offset_tEEE10hipError_tPvRmT1_PNSt15iterator_traitsISK_E10value_typeET2_T3_PNSL_ISQ_E10value_typeET4_jRbjT5_SW_jjP12ihipStream_tbEUlT_E2_NS1_11comp_targetILNS1_3genE4ELNS1_11target_archE910ELNS1_3gpuE8ELNS1_3repE0EEENS1_30default_config_static_selectorELNS0_4arch9wavefront6targetE0EEEvSK_.private_seg_size, 0
	.set _ZN7rocprim17ROCPRIM_400000_NS6detail17trampoline_kernelINS0_14default_configENS1_36segmented_radix_sort_config_selectorIslEEZNS1_25segmented_radix_sort_implIS3_Lb1EPKsPsPKlPlN2at6native12_GLOBAL__N_18offset_tEEE10hipError_tPvRmT1_PNSt15iterator_traitsISK_E10value_typeET2_T3_PNSL_ISQ_E10value_typeET4_jRbjT5_SW_jjP12ihipStream_tbEUlT_E2_NS1_11comp_targetILNS1_3genE4ELNS1_11target_archE910ELNS1_3gpuE8ELNS1_3repE0EEENS1_30default_config_static_selectorELNS0_4arch9wavefront6targetE0EEEvSK_.uses_vcc, 0
	.set _ZN7rocprim17ROCPRIM_400000_NS6detail17trampoline_kernelINS0_14default_configENS1_36segmented_radix_sort_config_selectorIslEEZNS1_25segmented_radix_sort_implIS3_Lb1EPKsPsPKlPlN2at6native12_GLOBAL__N_18offset_tEEE10hipError_tPvRmT1_PNSt15iterator_traitsISK_E10value_typeET2_T3_PNSL_ISQ_E10value_typeET4_jRbjT5_SW_jjP12ihipStream_tbEUlT_E2_NS1_11comp_targetILNS1_3genE4ELNS1_11target_archE910ELNS1_3gpuE8ELNS1_3repE0EEENS1_30default_config_static_selectorELNS0_4arch9wavefront6targetE0EEEvSK_.uses_flat_scratch, 0
	.set _ZN7rocprim17ROCPRIM_400000_NS6detail17trampoline_kernelINS0_14default_configENS1_36segmented_radix_sort_config_selectorIslEEZNS1_25segmented_radix_sort_implIS3_Lb1EPKsPsPKlPlN2at6native12_GLOBAL__N_18offset_tEEE10hipError_tPvRmT1_PNSt15iterator_traitsISK_E10value_typeET2_T3_PNSL_ISQ_E10value_typeET4_jRbjT5_SW_jjP12ihipStream_tbEUlT_E2_NS1_11comp_targetILNS1_3genE4ELNS1_11target_archE910ELNS1_3gpuE8ELNS1_3repE0EEENS1_30default_config_static_selectorELNS0_4arch9wavefront6targetE0EEEvSK_.has_dyn_sized_stack, 0
	.set _ZN7rocprim17ROCPRIM_400000_NS6detail17trampoline_kernelINS0_14default_configENS1_36segmented_radix_sort_config_selectorIslEEZNS1_25segmented_radix_sort_implIS3_Lb1EPKsPsPKlPlN2at6native12_GLOBAL__N_18offset_tEEE10hipError_tPvRmT1_PNSt15iterator_traitsISK_E10value_typeET2_T3_PNSL_ISQ_E10value_typeET4_jRbjT5_SW_jjP12ihipStream_tbEUlT_E2_NS1_11comp_targetILNS1_3genE4ELNS1_11target_archE910ELNS1_3gpuE8ELNS1_3repE0EEENS1_30default_config_static_selectorELNS0_4arch9wavefront6targetE0EEEvSK_.has_recursion, 0
	.set _ZN7rocprim17ROCPRIM_400000_NS6detail17trampoline_kernelINS0_14default_configENS1_36segmented_radix_sort_config_selectorIslEEZNS1_25segmented_radix_sort_implIS3_Lb1EPKsPsPKlPlN2at6native12_GLOBAL__N_18offset_tEEE10hipError_tPvRmT1_PNSt15iterator_traitsISK_E10value_typeET2_T3_PNSL_ISQ_E10value_typeET4_jRbjT5_SW_jjP12ihipStream_tbEUlT_E2_NS1_11comp_targetILNS1_3genE4ELNS1_11target_archE910ELNS1_3gpuE8ELNS1_3repE0EEENS1_30default_config_static_selectorELNS0_4arch9wavefront6targetE0EEEvSK_.has_indirect_call, 0
	.section	.AMDGPU.csdata,"",@progbits
; Kernel info:
; codeLenInByte = 0
; TotalNumSgprs: 0
; NumVgprs: 0
; ScratchSize: 0
; MemoryBound: 0
; FloatMode: 240
; IeeeMode: 1
; LDSByteSize: 0 bytes/workgroup (compile time only)
; SGPRBlocks: 0
; VGPRBlocks: 0
; NumSGPRsForWavesPerEU: 1
; NumVGPRsForWavesPerEU: 1
; Occupancy: 16
; WaveLimiterHint : 0
; COMPUTE_PGM_RSRC2:SCRATCH_EN: 0
; COMPUTE_PGM_RSRC2:USER_SGPR: 6
; COMPUTE_PGM_RSRC2:TRAP_HANDLER: 0
; COMPUTE_PGM_RSRC2:TGID_X_EN: 1
; COMPUTE_PGM_RSRC2:TGID_Y_EN: 0
; COMPUTE_PGM_RSRC2:TGID_Z_EN: 0
; COMPUTE_PGM_RSRC2:TIDIG_COMP_CNT: 0
	.section	.text._ZN7rocprim17ROCPRIM_400000_NS6detail17trampoline_kernelINS0_14default_configENS1_36segmented_radix_sort_config_selectorIslEEZNS1_25segmented_radix_sort_implIS3_Lb1EPKsPsPKlPlN2at6native12_GLOBAL__N_18offset_tEEE10hipError_tPvRmT1_PNSt15iterator_traitsISK_E10value_typeET2_T3_PNSL_ISQ_E10value_typeET4_jRbjT5_SW_jjP12ihipStream_tbEUlT_E2_NS1_11comp_targetILNS1_3genE3ELNS1_11target_archE908ELNS1_3gpuE7ELNS1_3repE0EEENS1_30default_config_static_selectorELNS0_4arch9wavefront6targetE0EEEvSK_,"axG",@progbits,_ZN7rocprim17ROCPRIM_400000_NS6detail17trampoline_kernelINS0_14default_configENS1_36segmented_radix_sort_config_selectorIslEEZNS1_25segmented_radix_sort_implIS3_Lb1EPKsPsPKlPlN2at6native12_GLOBAL__N_18offset_tEEE10hipError_tPvRmT1_PNSt15iterator_traitsISK_E10value_typeET2_T3_PNSL_ISQ_E10value_typeET4_jRbjT5_SW_jjP12ihipStream_tbEUlT_E2_NS1_11comp_targetILNS1_3genE3ELNS1_11target_archE908ELNS1_3gpuE7ELNS1_3repE0EEENS1_30default_config_static_selectorELNS0_4arch9wavefront6targetE0EEEvSK_,comdat
	.globl	_ZN7rocprim17ROCPRIM_400000_NS6detail17trampoline_kernelINS0_14default_configENS1_36segmented_radix_sort_config_selectorIslEEZNS1_25segmented_radix_sort_implIS3_Lb1EPKsPsPKlPlN2at6native12_GLOBAL__N_18offset_tEEE10hipError_tPvRmT1_PNSt15iterator_traitsISK_E10value_typeET2_T3_PNSL_ISQ_E10value_typeET4_jRbjT5_SW_jjP12ihipStream_tbEUlT_E2_NS1_11comp_targetILNS1_3genE3ELNS1_11target_archE908ELNS1_3gpuE7ELNS1_3repE0EEENS1_30default_config_static_selectorELNS0_4arch9wavefront6targetE0EEEvSK_ ; -- Begin function _ZN7rocprim17ROCPRIM_400000_NS6detail17trampoline_kernelINS0_14default_configENS1_36segmented_radix_sort_config_selectorIslEEZNS1_25segmented_radix_sort_implIS3_Lb1EPKsPsPKlPlN2at6native12_GLOBAL__N_18offset_tEEE10hipError_tPvRmT1_PNSt15iterator_traitsISK_E10value_typeET2_T3_PNSL_ISQ_E10value_typeET4_jRbjT5_SW_jjP12ihipStream_tbEUlT_E2_NS1_11comp_targetILNS1_3genE3ELNS1_11target_archE908ELNS1_3gpuE7ELNS1_3repE0EEENS1_30default_config_static_selectorELNS0_4arch9wavefront6targetE0EEEvSK_
	.p2align	8
	.type	_ZN7rocprim17ROCPRIM_400000_NS6detail17trampoline_kernelINS0_14default_configENS1_36segmented_radix_sort_config_selectorIslEEZNS1_25segmented_radix_sort_implIS3_Lb1EPKsPsPKlPlN2at6native12_GLOBAL__N_18offset_tEEE10hipError_tPvRmT1_PNSt15iterator_traitsISK_E10value_typeET2_T3_PNSL_ISQ_E10value_typeET4_jRbjT5_SW_jjP12ihipStream_tbEUlT_E2_NS1_11comp_targetILNS1_3genE3ELNS1_11target_archE908ELNS1_3gpuE7ELNS1_3repE0EEENS1_30default_config_static_selectorELNS0_4arch9wavefront6targetE0EEEvSK_,@function
_ZN7rocprim17ROCPRIM_400000_NS6detail17trampoline_kernelINS0_14default_configENS1_36segmented_radix_sort_config_selectorIslEEZNS1_25segmented_radix_sort_implIS3_Lb1EPKsPsPKlPlN2at6native12_GLOBAL__N_18offset_tEEE10hipError_tPvRmT1_PNSt15iterator_traitsISK_E10value_typeET2_T3_PNSL_ISQ_E10value_typeET4_jRbjT5_SW_jjP12ihipStream_tbEUlT_E2_NS1_11comp_targetILNS1_3genE3ELNS1_11target_archE908ELNS1_3gpuE7ELNS1_3repE0EEENS1_30default_config_static_selectorELNS0_4arch9wavefront6targetE0EEEvSK_: ; @_ZN7rocprim17ROCPRIM_400000_NS6detail17trampoline_kernelINS0_14default_configENS1_36segmented_radix_sort_config_selectorIslEEZNS1_25segmented_radix_sort_implIS3_Lb1EPKsPsPKlPlN2at6native12_GLOBAL__N_18offset_tEEE10hipError_tPvRmT1_PNSt15iterator_traitsISK_E10value_typeET2_T3_PNSL_ISQ_E10value_typeET4_jRbjT5_SW_jjP12ihipStream_tbEUlT_E2_NS1_11comp_targetILNS1_3genE3ELNS1_11target_archE908ELNS1_3gpuE7ELNS1_3repE0EEENS1_30default_config_static_selectorELNS0_4arch9wavefront6targetE0EEEvSK_
; %bb.0:
	.section	.rodata,"a",@progbits
	.p2align	6, 0x0
	.amdhsa_kernel _ZN7rocprim17ROCPRIM_400000_NS6detail17trampoline_kernelINS0_14default_configENS1_36segmented_radix_sort_config_selectorIslEEZNS1_25segmented_radix_sort_implIS3_Lb1EPKsPsPKlPlN2at6native12_GLOBAL__N_18offset_tEEE10hipError_tPvRmT1_PNSt15iterator_traitsISK_E10value_typeET2_T3_PNSL_ISQ_E10value_typeET4_jRbjT5_SW_jjP12ihipStream_tbEUlT_E2_NS1_11comp_targetILNS1_3genE3ELNS1_11target_archE908ELNS1_3gpuE7ELNS1_3repE0EEENS1_30default_config_static_selectorELNS0_4arch9wavefront6targetE0EEEvSK_
		.amdhsa_group_segment_fixed_size 0
		.amdhsa_private_segment_fixed_size 0
		.amdhsa_kernarg_size 80
		.amdhsa_user_sgpr_count 6
		.amdhsa_user_sgpr_private_segment_buffer 1
		.amdhsa_user_sgpr_dispatch_ptr 0
		.amdhsa_user_sgpr_queue_ptr 0
		.amdhsa_user_sgpr_kernarg_segment_ptr 1
		.amdhsa_user_sgpr_dispatch_id 0
		.amdhsa_user_sgpr_flat_scratch_init 0
		.amdhsa_user_sgpr_private_segment_size 0
		.amdhsa_wavefront_size32 1
		.amdhsa_uses_dynamic_stack 0
		.amdhsa_system_sgpr_private_segment_wavefront_offset 0
		.amdhsa_system_sgpr_workgroup_id_x 1
		.amdhsa_system_sgpr_workgroup_id_y 0
		.amdhsa_system_sgpr_workgroup_id_z 0
		.amdhsa_system_sgpr_workgroup_info 0
		.amdhsa_system_vgpr_workitem_id 0
		.amdhsa_next_free_vgpr 1
		.amdhsa_next_free_sgpr 1
		.amdhsa_reserve_vcc 0
		.amdhsa_reserve_flat_scratch 0
		.amdhsa_float_round_mode_32 0
		.amdhsa_float_round_mode_16_64 0
		.amdhsa_float_denorm_mode_32 3
		.amdhsa_float_denorm_mode_16_64 3
		.amdhsa_dx10_clamp 1
		.amdhsa_ieee_mode 1
		.amdhsa_fp16_overflow 0
		.amdhsa_workgroup_processor_mode 1
		.amdhsa_memory_ordered 1
		.amdhsa_forward_progress 1
		.amdhsa_shared_vgpr_count 0
		.amdhsa_exception_fp_ieee_invalid_op 0
		.amdhsa_exception_fp_denorm_src 0
		.amdhsa_exception_fp_ieee_div_zero 0
		.amdhsa_exception_fp_ieee_overflow 0
		.amdhsa_exception_fp_ieee_underflow 0
		.amdhsa_exception_fp_ieee_inexact 0
		.amdhsa_exception_int_div_zero 0
	.end_amdhsa_kernel
	.section	.text._ZN7rocprim17ROCPRIM_400000_NS6detail17trampoline_kernelINS0_14default_configENS1_36segmented_radix_sort_config_selectorIslEEZNS1_25segmented_radix_sort_implIS3_Lb1EPKsPsPKlPlN2at6native12_GLOBAL__N_18offset_tEEE10hipError_tPvRmT1_PNSt15iterator_traitsISK_E10value_typeET2_T3_PNSL_ISQ_E10value_typeET4_jRbjT5_SW_jjP12ihipStream_tbEUlT_E2_NS1_11comp_targetILNS1_3genE3ELNS1_11target_archE908ELNS1_3gpuE7ELNS1_3repE0EEENS1_30default_config_static_selectorELNS0_4arch9wavefront6targetE0EEEvSK_,"axG",@progbits,_ZN7rocprim17ROCPRIM_400000_NS6detail17trampoline_kernelINS0_14default_configENS1_36segmented_radix_sort_config_selectorIslEEZNS1_25segmented_radix_sort_implIS3_Lb1EPKsPsPKlPlN2at6native12_GLOBAL__N_18offset_tEEE10hipError_tPvRmT1_PNSt15iterator_traitsISK_E10value_typeET2_T3_PNSL_ISQ_E10value_typeET4_jRbjT5_SW_jjP12ihipStream_tbEUlT_E2_NS1_11comp_targetILNS1_3genE3ELNS1_11target_archE908ELNS1_3gpuE7ELNS1_3repE0EEENS1_30default_config_static_selectorELNS0_4arch9wavefront6targetE0EEEvSK_,comdat
.Lfunc_end937:
	.size	_ZN7rocprim17ROCPRIM_400000_NS6detail17trampoline_kernelINS0_14default_configENS1_36segmented_radix_sort_config_selectorIslEEZNS1_25segmented_radix_sort_implIS3_Lb1EPKsPsPKlPlN2at6native12_GLOBAL__N_18offset_tEEE10hipError_tPvRmT1_PNSt15iterator_traitsISK_E10value_typeET2_T3_PNSL_ISQ_E10value_typeET4_jRbjT5_SW_jjP12ihipStream_tbEUlT_E2_NS1_11comp_targetILNS1_3genE3ELNS1_11target_archE908ELNS1_3gpuE7ELNS1_3repE0EEENS1_30default_config_static_selectorELNS0_4arch9wavefront6targetE0EEEvSK_, .Lfunc_end937-_ZN7rocprim17ROCPRIM_400000_NS6detail17trampoline_kernelINS0_14default_configENS1_36segmented_radix_sort_config_selectorIslEEZNS1_25segmented_radix_sort_implIS3_Lb1EPKsPsPKlPlN2at6native12_GLOBAL__N_18offset_tEEE10hipError_tPvRmT1_PNSt15iterator_traitsISK_E10value_typeET2_T3_PNSL_ISQ_E10value_typeET4_jRbjT5_SW_jjP12ihipStream_tbEUlT_E2_NS1_11comp_targetILNS1_3genE3ELNS1_11target_archE908ELNS1_3gpuE7ELNS1_3repE0EEENS1_30default_config_static_selectorELNS0_4arch9wavefront6targetE0EEEvSK_
                                        ; -- End function
	.set _ZN7rocprim17ROCPRIM_400000_NS6detail17trampoline_kernelINS0_14default_configENS1_36segmented_radix_sort_config_selectorIslEEZNS1_25segmented_radix_sort_implIS3_Lb1EPKsPsPKlPlN2at6native12_GLOBAL__N_18offset_tEEE10hipError_tPvRmT1_PNSt15iterator_traitsISK_E10value_typeET2_T3_PNSL_ISQ_E10value_typeET4_jRbjT5_SW_jjP12ihipStream_tbEUlT_E2_NS1_11comp_targetILNS1_3genE3ELNS1_11target_archE908ELNS1_3gpuE7ELNS1_3repE0EEENS1_30default_config_static_selectorELNS0_4arch9wavefront6targetE0EEEvSK_.num_vgpr, 0
	.set _ZN7rocprim17ROCPRIM_400000_NS6detail17trampoline_kernelINS0_14default_configENS1_36segmented_radix_sort_config_selectorIslEEZNS1_25segmented_radix_sort_implIS3_Lb1EPKsPsPKlPlN2at6native12_GLOBAL__N_18offset_tEEE10hipError_tPvRmT1_PNSt15iterator_traitsISK_E10value_typeET2_T3_PNSL_ISQ_E10value_typeET4_jRbjT5_SW_jjP12ihipStream_tbEUlT_E2_NS1_11comp_targetILNS1_3genE3ELNS1_11target_archE908ELNS1_3gpuE7ELNS1_3repE0EEENS1_30default_config_static_selectorELNS0_4arch9wavefront6targetE0EEEvSK_.num_agpr, 0
	.set _ZN7rocprim17ROCPRIM_400000_NS6detail17trampoline_kernelINS0_14default_configENS1_36segmented_radix_sort_config_selectorIslEEZNS1_25segmented_radix_sort_implIS3_Lb1EPKsPsPKlPlN2at6native12_GLOBAL__N_18offset_tEEE10hipError_tPvRmT1_PNSt15iterator_traitsISK_E10value_typeET2_T3_PNSL_ISQ_E10value_typeET4_jRbjT5_SW_jjP12ihipStream_tbEUlT_E2_NS1_11comp_targetILNS1_3genE3ELNS1_11target_archE908ELNS1_3gpuE7ELNS1_3repE0EEENS1_30default_config_static_selectorELNS0_4arch9wavefront6targetE0EEEvSK_.numbered_sgpr, 0
	.set _ZN7rocprim17ROCPRIM_400000_NS6detail17trampoline_kernelINS0_14default_configENS1_36segmented_radix_sort_config_selectorIslEEZNS1_25segmented_radix_sort_implIS3_Lb1EPKsPsPKlPlN2at6native12_GLOBAL__N_18offset_tEEE10hipError_tPvRmT1_PNSt15iterator_traitsISK_E10value_typeET2_T3_PNSL_ISQ_E10value_typeET4_jRbjT5_SW_jjP12ihipStream_tbEUlT_E2_NS1_11comp_targetILNS1_3genE3ELNS1_11target_archE908ELNS1_3gpuE7ELNS1_3repE0EEENS1_30default_config_static_selectorELNS0_4arch9wavefront6targetE0EEEvSK_.num_named_barrier, 0
	.set _ZN7rocprim17ROCPRIM_400000_NS6detail17trampoline_kernelINS0_14default_configENS1_36segmented_radix_sort_config_selectorIslEEZNS1_25segmented_radix_sort_implIS3_Lb1EPKsPsPKlPlN2at6native12_GLOBAL__N_18offset_tEEE10hipError_tPvRmT1_PNSt15iterator_traitsISK_E10value_typeET2_T3_PNSL_ISQ_E10value_typeET4_jRbjT5_SW_jjP12ihipStream_tbEUlT_E2_NS1_11comp_targetILNS1_3genE3ELNS1_11target_archE908ELNS1_3gpuE7ELNS1_3repE0EEENS1_30default_config_static_selectorELNS0_4arch9wavefront6targetE0EEEvSK_.private_seg_size, 0
	.set _ZN7rocprim17ROCPRIM_400000_NS6detail17trampoline_kernelINS0_14default_configENS1_36segmented_radix_sort_config_selectorIslEEZNS1_25segmented_radix_sort_implIS3_Lb1EPKsPsPKlPlN2at6native12_GLOBAL__N_18offset_tEEE10hipError_tPvRmT1_PNSt15iterator_traitsISK_E10value_typeET2_T3_PNSL_ISQ_E10value_typeET4_jRbjT5_SW_jjP12ihipStream_tbEUlT_E2_NS1_11comp_targetILNS1_3genE3ELNS1_11target_archE908ELNS1_3gpuE7ELNS1_3repE0EEENS1_30default_config_static_selectorELNS0_4arch9wavefront6targetE0EEEvSK_.uses_vcc, 0
	.set _ZN7rocprim17ROCPRIM_400000_NS6detail17trampoline_kernelINS0_14default_configENS1_36segmented_radix_sort_config_selectorIslEEZNS1_25segmented_radix_sort_implIS3_Lb1EPKsPsPKlPlN2at6native12_GLOBAL__N_18offset_tEEE10hipError_tPvRmT1_PNSt15iterator_traitsISK_E10value_typeET2_T3_PNSL_ISQ_E10value_typeET4_jRbjT5_SW_jjP12ihipStream_tbEUlT_E2_NS1_11comp_targetILNS1_3genE3ELNS1_11target_archE908ELNS1_3gpuE7ELNS1_3repE0EEENS1_30default_config_static_selectorELNS0_4arch9wavefront6targetE0EEEvSK_.uses_flat_scratch, 0
	.set _ZN7rocprim17ROCPRIM_400000_NS6detail17trampoline_kernelINS0_14default_configENS1_36segmented_radix_sort_config_selectorIslEEZNS1_25segmented_radix_sort_implIS3_Lb1EPKsPsPKlPlN2at6native12_GLOBAL__N_18offset_tEEE10hipError_tPvRmT1_PNSt15iterator_traitsISK_E10value_typeET2_T3_PNSL_ISQ_E10value_typeET4_jRbjT5_SW_jjP12ihipStream_tbEUlT_E2_NS1_11comp_targetILNS1_3genE3ELNS1_11target_archE908ELNS1_3gpuE7ELNS1_3repE0EEENS1_30default_config_static_selectorELNS0_4arch9wavefront6targetE0EEEvSK_.has_dyn_sized_stack, 0
	.set _ZN7rocprim17ROCPRIM_400000_NS6detail17trampoline_kernelINS0_14default_configENS1_36segmented_radix_sort_config_selectorIslEEZNS1_25segmented_radix_sort_implIS3_Lb1EPKsPsPKlPlN2at6native12_GLOBAL__N_18offset_tEEE10hipError_tPvRmT1_PNSt15iterator_traitsISK_E10value_typeET2_T3_PNSL_ISQ_E10value_typeET4_jRbjT5_SW_jjP12ihipStream_tbEUlT_E2_NS1_11comp_targetILNS1_3genE3ELNS1_11target_archE908ELNS1_3gpuE7ELNS1_3repE0EEENS1_30default_config_static_selectorELNS0_4arch9wavefront6targetE0EEEvSK_.has_recursion, 0
	.set _ZN7rocprim17ROCPRIM_400000_NS6detail17trampoline_kernelINS0_14default_configENS1_36segmented_radix_sort_config_selectorIslEEZNS1_25segmented_radix_sort_implIS3_Lb1EPKsPsPKlPlN2at6native12_GLOBAL__N_18offset_tEEE10hipError_tPvRmT1_PNSt15iterator_traitsISK_E10value_typeET2_T3_PNSL_ISQ_E10value_typeET4_jRbjT5_SW_jjP12ihipStream_tbEUlT_E2_NS1_11comp_targetILNS1_3genE3ELNS1_11target_archE908ELNS1_3gpuE7ELNS1_3repE0EEENS1_30default_config_static_selectorELNS0_4arch9wavefront6targetE0EEEvSK_.has_indirect_call, 0
	.section	.AMDGPU.csdata,"",@progbits
; Kernel info:
; codeLenInByte = 0
; TotalNumSgprs: 0
; NumVgprs: 0
; ScratchSize: 0
; MemoryBound: 0
; FloatMode: 240
; IeeeMode: 1
; LDSByteSize: 0 bytes/workgroup (compile time only)
; SGPRBlocks: 0
; VGPRBlocks: 0
; NumSGPRsForWavesPerEU: 1
; NumVGPRsForWavesPerEU: 1
; Occupancy: 16
; WaveLimiterHint : 0
; COMPUTE_PGM_RSRC2:SCRATCH_EN: 0
; COMPUTE_PGM_RSRC2:USER_SGPR: 6
; COMPUTE_PGM_RSRC2:TRAP_HANDLER: 0
; COMPUTE_PGM_RSRC2:TGID_X_EN: 1
; COMPUTE_PGM_RSRC2:TGID_Y_EN: 0
; COMPUTE_PGM_RSRC2:TGID_Z_EN: 0
; COMPUTE_PGM_RSRC2:TIDIG_COMP_CNT: 0
	.section	.text._ZN7rocprim17ROCPRIM_400000_NS6detail17trampoline_kernelINS0_14default_configENS1_36segmented_radix_sort_config_selectorIslEEZNS1_25segmented_radix_sort_implIS3_Lb1EPKsPsPKlPlN2at6native12_GLOBAL__N_18offset_tEEE10hipError_tPvRmT1_PNSt15iterator_traitsISK_E10value_typeET2_T3_PNSL_ISQ_E10value_typeET4_jRbjT5_SW_jjP12ihipStream_tbEUlT_E2_NS1_11comp_targetILNS1_3genE2ELNS1_11target_archE906ELNS1_3gpuE6ELNS1_3repE0EEENS1_30default_config_static_selectorELNS0_4arch9wavefront6targetE0EEEvSK_,"axG",@progbits,_ZN7rocprim17ROCPRIM_400000_NS6detail17trampoline_kernelINS0_14default_configENS1_36segmented_radix_sort_config_selectorIslEEZNS1_25segmented_radix_sort_implIS3_Lb1EPKsPsPKlPlN2at6native12_GLOBAL__N_18offset_tEEE10hipError_tPvRmT1_PNSt15iterator_traitsISK_E10value_typeET2_T3_PNSL_ISQ_E10value_typeET4_jRbjT5_SW_jjP12ihipStream_tbEUlT_E2_NS1_11comp_targetILNS1_3genE2ELNS1_11target_archE906ELNS1_3gpuE6ELNS1_3repE0EEENS1_30default_config_static_selectorELNS0_4arch9wavefront6targetE0EEEvSK_,comdat
	.globl	_ZN7rocprim17ROCPRIM_400000_NS6detail17trampoline_kernelINS0_14default_configENS1_36segmented_radix_sort_config_selectorIslEEZNS1_25segmented_radix_sort_implIS3_Lb1EPKsPsPKlPlN2at6native12_GLOBAL__N_18offset_tEEE10hipError_tPvRmT1_PNSt15iterator_traitsISK_E10value_typeET2_T3_PNSL_ISQ_E10value_typeET4_jRbjT5_SW_jjP12ihipStream_tbEUlT_E2_NS1_11comp_targetILNS1_3genE2ELNS1_11target_archE906ELNS1_3gpuE6ELNS1_3repE0EEENS1_30default_config_static_selectorELNS0_4arch9wavefront6targetE0EEEvSK_ ; -- Begin function _ZN7rocprim17ROCPRIM_400000_NS6detail17trampoline_kernelINS0_14default_configENS1_36segmented_radix_sort_config_selectorIslEEZNS1_25segmented_radix_sort_implIS3_Lb1EPKsPsPKlPlN2at6native12_GLOBAL__N_18offset_tEEE10hipError_tPvRmT1_PNSt15iterator_traitsISK_E10value_typeET2_T3_PNSL_ISQ_E10value_typeET4_jRbjT5_SW_jjP12ihipStream_tbEUlT_E2_NS1_11comp_targetILNS1_3genE2ELNS1_11target_archE906ELNS1_3gpuE6ELNS1_3repE0EEENS1_30default_config_static_selectorELNS0_4arch9wavefront6targetE0EEEvSK_
	.p2align	8
	.type	_ZN7rocprim17ROCPRIM_400000_NS6detail17trampoline_kernelINS0_14default_configENS1_36segmented_radix_sort_config_selectorIslEEZNS1_25segmented_radix_sort_implIS3_Lb1EPKsPsPKlPlN2at6native12_GLOBAL__N_18offset_tEEE10hipError_tPvRmT1_PNSt15iterator_traitsISK_E10value_typeET2_T3_PNSL_ISQ_E10value_typeET4_jRbjT5_SW_jjP12ihipStream_tbEUlT_E2_NS1_11comp_targetILNS1_3genE2ELNS1_11target_archE906ELNS1_3gpuE6ELNS1_3repE0EEENS1_30default_config_static_selectorELNS0_4arch9wavefront6targetE0EEEvSK_,@function
_ZN7rocprim17ROCPRIM_400000_NS6detail17trampoline_kernelINS0_14default_configENS1_36segmented_radix_sort_config_selectorIslEEZNS1_25segmented_radix_sort_implIS3_Lb1EPKsPsPKlPlN2at6native12_GLOBAL__N_18offset_tEEE10hipError_tPvRmT1_PNSt15iterator_traitsISK_E10value_typeET2_T3_PNSL_ISQ_E10value_typeET4_jRbjT5_SW_jjP12ihipStream_tbEUlT_E2_NS1_11comp_targetILNS1_3genE2ELNS1_11target_archE906ELNS1_3gpuE6ELNS1_3repE0EEENS1_30default_config_static_selectorELNS0_4arch9wavefront6targetE0EEEvSK_: ; @_ZN7rocprim17ROCPRIM_400000_NS6detail17trampoline_kernelINS0_14default_configENS1_36segmented_radix_sort_config_selectorIslEEZNS1_25segmented_radix_sort_implIS3_Lb1EPKsPsPKlPlN2at6native12_GLOBAL__N_18offset_tEEE10hipError_tPvRmT1_PNSt15iterator_traitsISK_E10value_typeET2_T3_PNSL_ISQ_E10value_typeET4_jRbjT5_SW_jjP12ihipStream_tbEUlT_E2_NS1_11comp_targetILNS1_3genE2ELNS1_11target_archE906ELNS1_3gpuE6ELNS1_3repE0EEENS1_30default_config_static_selectorELNS0_4arch9wavefront6targetE0EEEvSK_
; %bb.0:
	.section	.rodata,"a",@progbits
	.p2align	6, 0x0
	.amdhsa_kernel _ZN7rocprim17ROCPRIM_400000_NS6detail17trampoline_kernelINS0_14default_configENS1_36segmented_radix_sort_config_selectorIslEEZNS1_25segmented_radix_sort_implIS3_Lb1EPKsPsPKlPlN2at6native12_GLOBAL__N_18offset_tEEE10hipError_tPvRmT1_PNSt15iterator_traitsISK_E10value_typeET2_T3_PNSL_ISQ_E10value_typeET4_jRbjT5_SW_jjP12ihipStream_tbEUlT_E2_NS1_11comp_targetILNS1_3genE2ELNS1_11target_archE906ELNS1_3gpuE6ELNS1_3repE0EEENS1_30default_config_static_selectorELNS0_4arch9wavefront6targetE0EEEvSK_
		.amdhsa_group_segment_fixed_size 0
		.amdhsa_private_segment_fixed_size 0
		.amdhsa_kernarg_size 80
		.amdhsa_user_sgpr_count 6
		.amdhsa_user_sgpr_private_segment_buffer 1
		.amdhsa_user_sgpr_dispatch_ptr 0
		.amdhsa_user_sgpr_queue_ptr 0
		.amdhsa_user_sgpr_kernarg_segment_ptr 1
		.amdhsa_user_sgpr_dispatch_id 0
		.amdhsa_user_sgpr_flat_scratch_init 0
		.amdhsa_user_sgpr_private_segment_size 0
		.amdhsa_wavefront_size32 1
		.amdhsa_uses_dynamic_stack 0
		.amdhsa_system_sgpr_private_segment_wavefront_offset 0
		.amdhsa_system_sgpr_workgroup_id_x 1
		.amdhsa_system_sgpr_workgroup_id_y 0
		.amdhsa_system_sgpr_workgroup_id_z 0
		.amdhsa_system_sgpr_workgroup_info 0
		.amdhsa_system_vgpr_workitem_id 0
		.amdhsa_next_free_vgpr 1
		.amdhsa_next_free_sgpr 1
		.amdhsa_reserve_vcc 0
		.amdhsa_reserve_flat_scratch 0
		.amdhsa_float_round_mode_32 0
		.amdhsa_float_round_mode_16_64 0
		.amdhsa_float_denorm_mode_32 3
		.amdhsa_float_denorm_mode_16_64 3
		.amdhsa_dx10_clamp 1
		.amdhsa_ieee_mode 1
		.amdhsa_fp16_overflow 0
		.amdhsa_workgroup_processor_mode 1
		.amdhsa_memory_ordered 1
		.amdhsa_forward_progress 1
		.amdhsa_shared_vgpr_count 0
		.amdhsa_exception_fp_ieee_invalid_op 0
		.amdhsa_exception_fp_denorm_src 0
		.amdhsa_exception_fp_ieee_div_zero 0
		.amdhsa_exception_fp_ieee_overflow 0
		.amdhsa_exception_fp_ieee_underflow 0
		.amdhsa_exception_fp_ieee_inexact 0
		.amdhsa_exception_int_div_zero 0
	.end_amdhsa_kernel
	.section	.text._ZN7rocprim17ROCPRIM_400000_NS6detail17trampoline_kernelINS0_14default_configENS1_36segmented_radix_sort_config_selectorIslEEZNS1_25segmented_radix_sort_implIS3_Lb1EPKsPsPKlPlN2at6native12_GLOBAL__N_18offset_tEEE10hipError_tPvRmT1_PNSt15iterator_traitsISK_E10value_typeET2_T3_PNSL_ISQ_E10value_typeET4_jRbjT5_SW_jjP12ihipStream_tbEUlT_E2_NS1_11comp_targetILNS1_3genE2ELNS1_11target_archE906ELNS1_3gpuE6ELNS1_3repE0EEENS1_30default_config_static_selectorELNS0_4arch9wavefront6targetE0EEEvSK_,"axG",@progbits,_ZN7rocprim17ROCPRIM_400000_NS6detail17trampoline_kernelINS0_14default_configENS1_36segmented_radix_sort_config_selectorIslEEZNS1_25segmented_radix_sort_implIS3_Lb1EPKsPsPKlPlN2at6native12_GLOBAL__N_18offset_tEEE10hipError_tPvRmT1_PNSt15iterator_traitsISK_E10value_typeET2_T3_PNSL_ISQ_E10value_typeET4_jRbjT5_SW_jjP12ihipStream_tbEUlT_E2_NS1_11comp_targetILNS1_3genE2ELNS1_11target_archE906ELNS1_3gpuE6ELNS1_3repE0EEENS1_30default_config_static_selectorELNS0_4arch9wavefront6targetE0EEEvSK_,comdat
.Lfunc_end938:
	.size	_ZN7rocprim17ROCPRIM_400000_NS6detail17trampoline_kernelINS0_14default_configENS1_36segmented_radix_sort_config_selectorIslEEZNS1_25segmented_radix_sort_implIS3_Lb1EPKsPsPKlPlN2at6native12_GLOBAL__N_18offset_tEEE10hipError_tPvRmT1_PNSt15iterator_traitsISK_E10value_typeET2_T3_PNSL_ISQ_E10value_typeET4_jRbjT5_SW_jjP12ihipStream_tbEUlT_E2_NS1_11comp_targetILNS1_3genE2ELNS1_11target_archE906ELNS1_3gpuE6ELNS1_3repE0EEENS1_30default_config_static_selectorELNS0_4arch9wavefront6targetE0EEEvSK_, .Lfunc_end938-_ZN7rocprim17ROCPRIM_400000_NS6detail17trampoline_kernelINS0_14default_configENS1_36segmented_radix_sort_config_selectorIslEEZNS1_25segmented_radix_sort_implIS3_Lb1EPKsPsPKlPlN2at6native12_GLOBAL__N_18offset_tEEE10hipError_tPvRmT1_PNSt15iterator_traitsISK_E10value_typeET2_T3_PNSL_ISQ_E10value_typeET4_jRbjT5_SW_jjP12ihipStream_tbEUlT_E2_NS1_11comp_targetILNS1_3genE2ELNS1_11target_archE906ELNS1_3gpuE6ELNS1_3repE0EEENS1_30default_config_static_selectorELNS0_4arch9wavefront6targetE0EEEvSK_
                                        ; -- End function
	.set _ZN7rocprim17ROCPRIM_400000_NS6detail17trampoline_kernelINS0_14default_configENS1_36segmented_radix_sort_config_selectorIslEEZNS1_25segmented_radix_sort_implIS3_Lb1EPKsPsPKlPlN2at6native12_GLOBAL__N_18offset_tEEE10hipError_tPvRmT1_PNSt15iterator_traitsISK_E10value_typeET2_T3_PNSL_ISQ_E10value_typeET4_jRbjT5_SW_jjP12ihipStream_tbEUlT_E2_NS1_11comp_targetILNS1_3genE2ELNS1_11target_archE906ELNS1_3gpuE6ELNS1_3repE0EEENS1_30default_config_static_selectorELNS0_4arch9wavefront6targetE0EEEvSK_.num_vgpr, 0
	.set _ZN7rocprim17ROCPRIM_400000_NS6detail17trampoline_kernelINS0_14default_configENS1_36segmented_radix_sort_config_selectorIslEEZNS1_25segmented_radix_sort_implIS3_Lb1EPKsPsPKlPlN2at6native12_GLOBAL__N_18offset_tEEE10hipError_tPvRmT1_PNSt15iterator_traitsISK_E10value_typeET2_T3_PNSL_ISQ_E10value_typeET4_jRbjT5_SW_jjP12ihipStream_tbEUlT_E2_NS1_11comp_targetILNS1_3genE2ELNS1_11target_archE906ELNS1_3gpuE6ELNS1_3repE0EEENS1_30default_config_static_selectorELNS0_4arch9wavefront6targetE0EEEvSK_.num_agpr, 0
	.set _ZN7rocprim17ROCPRIM_400000_NS6detail17trampoline_kernelINS0_14default_configENS1_36segmented_radix_sort_config_selectorIslEEZNS1_25segmented_radix_sort_implIS3_Lb1EPKsPsPKlPlN2at6native12_GLOBAL__N_18offset_tEEE10hipError_tPvRmT1_PNSt15iterator_traitsISK_E10value_typeET2_T3_PNSL_ISQ_E10value_typeET4_jRbjT5_SW_jjP12ihipStream_tbEUlT_E2_NS1_11comp_targetILNS1_3genE2ELNS1_11target_archE906ELNS1_3gpuE6ELNS1_3repE0EEENS1_30default_config_static_selectorELNS0_4arch9wavefront6targetE0EEEvSK_.numbered_sgpr, 0
	.set _ZN7rocprim17ROCPRIM_400000_NS6detail17trampoline_kernelINS0_14default_configENS1_36segmented_radix_sort_config_selectorIslEEZNS1_25segmented_radix_sort_implIS3_Lb1EPKsPsPKlPlN2at6native12_GLOBAL__N_18offset_tEEE10hipError_tPvRmT1_PNSt15iterator_traitsISK_E10value_typeET2_T3_PNSL_ISQ_E10value_typeET4_jRbjT5_SW_jjP12ihipStream_tbEUlT_E2_NS1_11comp_targetILNS1_3genE2ELNS1_11target_archE906ELNS1_3gpuE6ELNS1_3repE0EEENS1_30default_config_static_selectorELNS0_4arch9wavefront6targetE0EEEvSK_.num_named_barrier, 0
	.set _ZN7rocprim17ROCPRIM_400000_NS6detail17trampoline_kernelINS0_14default_configENS1_36segmented_radix_sort_config_selectorIslEEZNS1_25segmented_radix_sort_implIS3_Lb1EPKsPsPKlPlN2at6native12_GLOBAL__N_18offset_tEEE10hipError_tPvRmT1_PNSt15iterator_traitsISK_E10value_typeET2_T3_PNSL_ISQ_E10value_typeET4_jRbjT5_SW_jjP12ihipStream_tbEUlT_E2_NS1_11comp_targetILNS1_3genE2ELNS1_11target_archE906ELNS1_3gpuE6ELNS1_3repE0EEENS1_30default_config_static_selectorELNS0_4arch9wavefront6targetE0EEEvSK_.private_seg_size, 0
	.set _ZN7rocprim17ROCPRIM_400000_NS6detail17trampoline_kernelINS0_14default_configENS1_36segmented_radix_sort_config_selectorIslEEZNS1_25segmented_radix_sort_implIS3_Lb1EPKsPsPKlPlN2at6native12_GLOBAL__N_18offset_tEEE10hipError_tPvRmT1_PNSt15iterator_traitsISK_E10value_typeET2_T3_PNSL_ISQ_E10value_typeET4_jRbjT5_SW_jjP12ihipStream_tbEUlT_E2_NS1_11comp_targetILNS1_3genE2ELNS1_11target_archE906ELNS1_3gpuE6ELNS1_3repE0EEENS1_30default_config_static_selectorELNS0_4arch9wavefront6targetE0EEEvSK_.uses_vcc, 0
	.set _ZN7rocprim17ROCPRIM_400000_NS6detail17trampoline_kernelINS0_14default_configENS1_36segmented_radix_sort_config_selectorIslEEZNS1_25segmented_radix_sort_implIS3_Lb1EPKsPsPKlPlN2at6native12_GLOBAL__N_18offset_tEEE10hipError_tPvRmT1_PNSt15iterator_traitsISK_E10value_typeET2_T3_PNSL_ISQ_E10value_typeET4_jRbjT5_SW_jjP12ihipStream_tbEUlT_E2_NS1_11comp_targetILNS1_3genE2ELNS1_11target_archE906ELNS1_3gpuE6ELNS1_3repE0EEENS1_30default_config_static_selectorELNS0_4arch9wavefront6targetE0EEEvSK_.uses_flat_scratch, 0
	.set _ZN7rocprim17ROCPRIM_400000_NS6detail17trampoline_kernelINS0_14default_configENS1_36segmented_radix_sort_config_selectorIslEEZNS1_25segmented_radix_sort_implIS3_Lb1EPKsPsPKlPlN2at6native12_GLOBAL__N_18offset_tEEE10hipError_tPvRmT1_PNSt15iterator_traitsISK_E10value_typeET2_T3_PNSL_ISQ_E10value_typeET4_jRbjT5_SW_jjP12ihipStream_tbEUlT_E2_NS1_11comp_targetILNS1_3genE2ELNS1_11target_archE906ELNS1_3gpuE6ELNS1_3repE0EEENS1_30default_config_static_selectorELNS0_4arch9wavefront6targetE0EEEvSK_.has_dyn_sized_stack, 0
	.set _ZN7rocprim17ROCPRIM_400000_NS6detail17trampoline_kernelINS0_14default_configENS1_36segmented_radix_sort_config_selectorIslEEZNS1_25segmented_radix_sort_implIS3_Lb1EPKsPsPKlPlN2at6native12_GLOBAL__N_18offset_tEEE10hipError_tPvRmT1_PNSt15iterator_traitsISK_E10value_typeET2_T3_PNSL_ISQ_E10value_typeET4_jRbjT5_SW_jjP12ihipStream_tbEUlT_E2_NS1_11comp_targetILNS1_3genE2ELNS1_11target_archE906ELNS1_3gpuE6ELNS1_3repE0EEENS1_30default_config_static_selectorELNS0_4arch9wavefront6targetE0EEEvSK_.has_recursion, 0
	.set _ZN7rocprim17ROCPRIM_400000_NS6detail17trampoline_kernelINS0_14default_configENS1_36segmented_radix_sort_config_selectorIslEEZNS1_25segmented_radix_sort_implIS3_Lb1EPKsPsPKlPlN2at6native12_GLOBAL__N_18offset_tEEE10hipError_tPvRmT1_PNSt15iterator_traitsISK_E10value_typeET2_T3_PNSL_ISQ_E10value_typeET4_jRbjT5_SW_jjP12ihipStream_tbEUlT_E2_NS1_11comp_targetILNS1_3genE2ELNS1_11target_archE906ELNS1_3gpuE6ELNS1_3repE0EEENS1_30default_config_static_selectorELNS0_4arch9wavefront6targetE0EEEvSK_.has_indirect_call, 0
	.section	.AMDGPU.csdata,"",@progbits
; Kernel info:
; codeLenInByte = 0
; TotalNumSgprs: 0
; NumVgprs: 0
; ScratchSize: 0
; MemoryBound: 0
; FloatMode: 240
; IeeeMode: 1
; LDSByteSize: 0 bytes/workgroup (compile time only)
; SGPRBlocks: 0
; VGPRBlocks: 0
; NumSGPRsForWavesPerEU: 1
; NumVGPRsForWavesPerEU: 1
; Occupancy: 16
; WaveLimiterHint : 0
; COMPUTE_PGM_RSRC2:SCRATCH_EN: 0
; COMPUTE_PGM_RSRC2:USER_SGPR: 6
; COMPUTE_PGM_RSRC2:TRAP_HANDLER: 0
; COMPUTE_PGM_RSRC2:TGID_X_EN: 1
; COMPUTE_PGM_RSRC2:TGID_Y_EN: 0
; COMPUTE_PGM_RSRC2:TGID_Z_EN: 0
; COMPUTE_PGM_RSRC2:TIDIG_COMP_CNT: 0
	.section	.text._ZN7rocprim17ROCPRIM_400000_NS6detail17trampoline_kernelINS0_14default_configENS1_36segmented_radix_sort_config_selectorIslEEZNS1_25segmented_radix_sort_implIS3_Lb1EPKsPsPKlPlN2at6native12_GLOBAL__N_18offset_tEEE10hipError_tPvRmT1_PNSt15iterator_traitsISK_E10value_typeET2_T3_PNSL_ISQ_E10value_typeET4_jRbjT5_SW_jjP12ihipStream_tbEUlT_E2_NS1_11comp_targetILNS1_3genE10ELNS1_11target_archE1201ELNS1_3gpuE5ELNS1_3repE0EEENS1_30default_config_static_selectorELNS0_4arch9wavefront6targetE0EEEvSK_,"axG",@progbits,_ZN7rocprim17ROCPRIM_400000_NS6detail17trampoline_kernelINS0_14default_configENS1_36segmented_radix_sort_config_selectorIslEEZNS1_25segmented_radix_sort_implIS3_Lb1EPKsPsPKlPlN2at6native12_GLOBAL__N_18offset_tEEE10hipError_tPvRmT1_PNSt15iterator_traitsISK_E10value_typeET2_T3_PNSL_ISQ_E10value_typeET4_jRbjT5_SW_jjP12ihipStream_tbEUlT_E2_NS1_11comp_targetILNS1_3genE10ELNS1_11target_archE1201ELNS1_3gpuE5ELNS1_3repE0EEENS1_30default_config_static_selectorELNS0_4arch9wavefront6targetE0EEEvSK_,comdat
	.globl	_ZN7rocprim17ROCPRIM_400000_NS6detail17trampoline_kernelINS0_14default_configENS1_36segmented_radix_sort_config_selectorIslEEZNS1_25segmented_radix_sort_implIS3_Lb1EPKsPsPKlPlN2at6native12_GLOBAL__N_18offset_tEEE10hipError_tPvRmT1_PNSt15iterator_traitsISK_E10value_typeET2_T3_PNSL_ISQ_E10value_typeET4_jRbjT5_SW_jjP12ihipStream_tbEUlT_E2_NS1_11comp_targetILNS1_3genE10ELNS1_11target_archE1201ELNS1_3gpuE5ELNS1_3repE0EEENS1_30default_config_static_selectorELNS0_4arch9wavefront6targetE0EEEvSK_ ; -- Begin function _ZN7rocprim17ROCPRIM_400000_NS6detail17trampoline_kernelINS0_14default_configENS1_36segmented_radix_sort_config_selectorIslEEZNS1_25segmented_radix_sort_implIS3_Lb1EPKsPsPKlPlN2at6native12_GLOBAL__N_18offset_tEEE10hipError_tPvRmT1_PNSt15iterator_traitsISK_E10value_typeET2_T3_PNSL_ISQ_E10value_typeET4_jRbjT5_SW_jjP12ihipStream_tbEUlT_E2_NS1_11comp_targetILNS1_3genE10ELNS1_11target_archE1201ELNS1_3gpuE5ELNS1_3repE0EEENS1_30default_config_static_selectorELNS0_4arch9wavefront6targetE0EEEvSK_
	.p2align	8
	.type	_ZN7rocprim17ROCPRIM_400000_NS6detail17trampoline_kernelINS0_14default_configENS1_36segmented_radix_sort_config_selectorIslEEZNS1_25segmented_radix_sort_implIS3_Lb1EPKsPsPKlPlN2at6native12_GLOBAL__N_18offset_tEEE10hipError_tPvRmT1_PNSt15iterator_traitsISK_E10value_typeET2_T3_PNSL_ISQ_E10value_typeET4_jRbjT5_SW_jjP12ihipStream_tbEUlT_E2_NS1_11comp_targetILNS1_3genE10ELNS1_11target_archE1201ELNS1_3gpuE5ELNS1_3repE0EEENS1_30default_config_static_selectorELNS0_4arch9wavefront6targetE0EEEvSK_,@function
_ZN7rocprim17ROCPRIM_400000_NS6detail17trampoline_kernelINS0_14default_configENS1_36segmented_radix_sort_config_selectorIslEEZNS1_25segmented_radix_sort_implIS3_Lb1EPKsPsPKlPlN2at6native12_GLOBAL__N_18offset_tEEE10hipError_tPvRmT1_PNSt15iterator_traitsISK_E10value_typeET2_T3_PNSL_ISQ_E10value_typeET4_jRbjT5_SW_jjP12ihipStream_tbEUlT_E2_NS1_11comp_targetILNS1_3genE10ELNS1_11target_archE1201ELNS1_3gpuE5ELNS1_3repE0EEENS1_30default_config_static_selectorELNS0_4arch9wavefront6targetE0EEEvSK_: ; @_ZN7rocprim17ROCPRIM_400000_NS6detail17trampoline_kernelINS0_14default_configENS1_36segmented_radix_sort_config_selectorIslEEZNS1_25segmented_radix_sort_implIS3_Lb1EPKsPsPKlPlN2at6native12_GLOBAL__N_18offset_tEEE10hipError_tPvRmT1_PNSt15iterator_traitsISK_E10value_typeET2_T3_PNSL_ISQ_E10value_typeET4_jRbjT5_SW_jjP12ihipStream_tbEUlT_E2_NS1_11comp_targetILNS1_3genE10ELNS1_11target_archE1201ELNS1_3gpuE5ELNS1_3repE0EEENS1_30default_config_static_selectorELNS0_4arch9wavefront6targetE0EEEvSK_
; %bb.0:
	.section	.rodata,"a",@progbits
	.p2align	6, 0x0
	.amdhsa_kernel _ZN7rocprim17ROCPRIM_400000_NS6detail17trampoline_kernelINS0_14default_configENS1_36segmented_radix_sort_config_selectorIslEEZNS1_25segmented_radix_sort_implIS3_Lb1EPKsPsPKlPlN2at6native12_GLOBAL__N_18offset_tEEE10hipError_tPvRmT1_PNSt15iterator_traitsISK_E10value_typeET2_T3_PNSL_ISQ_E10value_typeET4_jRbjT5_SW_jjP12ihipStream_tbEUlT_E2_NS1_11comp_targetILNS1_3genE10ELNS1_11target_archE1201ELNS1_3gpuE5ELNS1_3repE0EEENS1_30default_config_static_selectorELNS0_4arch9wavefront6targetE0EEEvSK_
		.amdhsa_group_segment_fixed_size 0
		.amdhsa_private_segment_fixed_size 0
		.amdhsa_kernarg_size 80
		.amdhsa_user_sgpr_count 6
		.amdhsa_user_sgpr_private_segment_buffer 1
		.amdhsa_user_sgpr_dispatch_ptr 0
		.amdhsa_user_sgpr_queue_ptr 0
		.amdhsa_user_sgpr_kernarg_segment_ptr 1
		.amdhsa_user_sgpr_dispatch_id 0
		.amdhsa_user_sgpr_flat_scratch_init 0
		.amdhsa_user_sgpr_private_segment_size 0
		.amdhsa_wavefront_size32 1
		.amdhsa_uses_dynamic_stack 0
		.amdhsa_system_sgpr_private_segment_wavefront_offset 0
		.amdhsa_system_sgpr_workgroup_id_x 1
		.amdhsa_system_sgpr_workgroup_id_y 0
		.amdhsa_system_sgpr_workgroup_id_z 0
		.amdhsa_system_sgpr_workgroup_info 0
		.amdhsa_system_vgpr_workitem_id 0
		.amdhsa_next_free_vgpr 1
		.amdhsa_next_free_sgpr 1
		.amdhsa_reserve_vcc 0
		.amdhsa_reserve_flat_scratch 0
		.amdhsa_float_round_mode_32 0
		.amdhsa_float_round_mode_16_64 0
		.amdhsa_float_denorm_mode_32 3
		.amdhsa_float_denorm_mode_16_64 3
		.amdhsa_dx10_clamp 1
		.amdhsa_ieee_mode 1
		.amdhsa_fp16_overflow 0
		.amdhsa_workgroup_processor_mode 1
		.amdhsa_memory_ordered 1
		.amdhsa_forward_progress 1
		.amdhsa_shared_vgpr_count 0
		.amdhsa_exception_fp_ieee_invalid_op 0
		.amdhsa_exception_fp_denorm_src 0
		.amdhsa_exception_fp_ieee_div_zero 0
		.amdhsa_exception_fp_ieee_overflow 0
		.amdhsa_exception_fp_ieee_underflow 0
		.amdhsa_exception_fp_ieee_inexact 0
		.amdhsa_exception_int_div_zero 0
	.end_amdhsa_kernel
	.section	.text._ZN7rocprim17ROCPRIM_400000_NS6detail17trampoline_kernelINS0_14default_configENS1_36segmented_radix_sort_config_selectorIslEEZNS1_25segmented_radix_sort_implIS3_Lb1EPKsPsPKlPlN2at6native12_GLOBAL__N_18offset_tEEE10hipError_tPvRmT1_PNSt15iterator_traitsISK_E10value_typeET2_T3_PNSL_ISQ_E10value_typeET4_jRbjT5_SW_jjP12ihipStream_tbEUlT_E2_NS1_11comp_targetILNS1_3genE10ELNS1_11target_archE1201ELNS1_3gpuE5ELNS1_3repE0EEENS1_30default_config_static_selectorELNS0_4arch9wavefront6targetE0EEEvSK_,"axG",@progbits,_ZN7rocprim17ROCPRIM_400000_NS6detail17trampoline_kernelINS0_14default_configENS1_36segmented_radix_sort_config_selectorIslEEZNS1_25segmented_radix_sort_implIS3_Lb1EPKsPsPKlPlN2at6native12_GLOBAL__N_18offset_tEEE10hipError_tPvRmT1_PNSt15iterator_traitsISK_E10value_typeET2_T3_PNSL_ISQ_E10value_typeET4_jRbjT5_SW_jjP12ihipStream_tbEUlT_E2_NS1_11comp_targetILNS1_3genE10ELNS1_11target_archE1201ELNS1_3gpuE5ELNS1_3repE0EEENS1_30default_config_static_selectorELNS0_4arch9wavefront6targetE0EEEvSK_,comdat
.Lfunc_end939:
	.size	_ZN7rocprim17ROCPRIM_400000_NS6detail17trampoline_kernelINS0_14default_configENS1_36segmented_radix_sort_config_selectorIslEEZNS1_25segmented_radix_sort_implIS3_Lb1EPKsPsPKlPlN2at6native12_GLOBAL__N_18offset_tEEE10hipError_tPvRmT1_PNSt15iterator_traitsISK_E10value_typeET2_T3_PNSL_ISQ_E10value_typeET4_jRbjT5_SW_jjP12ihipStream_tbEUlT_E2_NS1_11comp_targetILNS1_3genE10ELNS1_11target_archE1201ELNS1_3gpuE5ELNS1_3repE0EEENS1_30default_config_static_selectorELNS0_4arch9wavefront6targetE0EEEvSK_, .Lfunc_end939-_ZN7rocprim17ROCPRIM_400000_NS6detail17trampoline_kernelINS0_14default_configENS1_36segmented_radix_sort_config_selectorIslEEZNS1_25segmented_radix_sort_implIS3_Lb1EPKsPsPKlPlN2at6native12_GLOBAL__N_18offset_tEEE10hipError_tPvRmT1_PNSt15iterator_traitsISK_E10value_typeET2_T3_PNSL_ISQ_E10value_typeET4_jRbjT5_SW_jjP12ihipStream_tbEUlT_E2_NS1_11comp_targetILNS1_3genE10ELNS1_11target_archE1201ELNS1_3gpuE5ELNS1_3repE0EEENS1_30default_config_static_selectorELNS0_4arch9wavefront6targetE0EEEvSK_
                                        ; -- End function
	.set _ZN7rocprim17ROCPRIM_400000_NS6detail17trampoline_kernelINS0_14default_configENS1_36segmented_radix_sort_config_selectorIslEEZNS1_25segmented_radix_sort_implIS3_Lb1EPKsPsPKlPlN2at6native12_GLOBAL__N_18offset_tEEE10hipError_tPvRmT1_PNSt15iterator_traitsISK_E10value_typeET2_T3_PNSL_ISQ_E10value_typeET4_jRbjT5_SW_jjP12ihipStream_tbEUlT_E2_NS1_11comp_targetILNS1_3genE10ELNS1_11target_archE1201ELNS1_3gpuE5ELNS1_3repE0EEENS1_30default_config_static_selectorELNS0_4arch9wavefront6targetE0EEEvSK_.num_vgpr, 0
	.set _ZN7rocprim17ROCPRIM_400000_NS6detail17trampoline_kernelINS0_14default_configENS1_36segmented_radix_sort_config_selectorIslEEZNS1_25segmented_radix_sort_implIS3_Lb1EPKsPsPKlPlN2at6native12_GLOBAL__N_18offset_tEEE10hipError_tPvRmT1_PNSt15iterator_traitsISK_E10value_typeET2_T3_PNSL_ISQ_E10value_typeET4_jRbjT5_SW_jjP12ihipStream_tbEUlT_E2_NS1_11comp_targetILNS1_3genE10ELNS1_11target_archE1201ELNS1_3gpuE5ELNS1_3repE0EEENS1_30default_config_static_selectorELNS0_4arch9wavefront6targetE0EEEvSK_.num_agpr, 0
	.set _ZN7rocprim17ROCPRIM_400000_NS6detail17trampoline_kernelINS0_14default_configENS1_36segmented_radix_sort_config_selectorIslEEZNS1_25segmented_radix_sort_implIS3_Lb1EPKsPsPKlPlN2at6native12_GLOBAL__N_18offset_tEEE10hipError_tPvRmT1_PNSt15iterator_traitsISK_E10value_typeET2_T3_PNSL_ISQ_E10value_typeET4_jRbjT5_SW_jjP12ihipStream_tbEUlT_E2_NS1_11comp_targetILNS1_3genE10ELNS1_11target_archE1201ELNS1_3gpuE5ELNS1_3repE0EEENS1_30default_config_static_selectorELNS0_4arch9wavefront6targetE0EEEvSK_.numbered_sgpr, 0
	.set _ZN7rocprim17ROCPRIM_400000_NS6detail17trampoline_kernelINS0_14default_configENS1_36segmented_radix_sort_config_selectorIslEEZNS1_25segmented_radix_sort_implIS3_Lb1EPKsPsPKlPlN2at6native12_GLOBAL__N_18offset_tEEE10hipError_tPvRmT1_PNSt15iterator_traitsISK_E10value_typeET2_T3_PNSL_ISQ_E10value_typeET4_jRbjT5_SW_jjP12ihipStream_tbEUlT_E2_NS1_11comp_targetILNS1_3genE10ELNS1_11target_archE1201ELNS1_3gpuE5ELNS1_3repE0EEENS1_30default_config_static_selectorELNS0_4arch9wavefront6targetE0EEEvSK_.num_named_barrier, 0
	.set _ZN7rocprim17ROCPRIM_400000_NS6detail17trampoline_kernelINS0_14default_configENS1_36segmented_radix_sort_config_selectorIslEEZNS1_25segmented_radix_sort_implIS3_Lb1EPKsPsPKlPlN2at6native12_GLOBAL__N_18offset_tEEE10hipError_tPvRmT1_PNSt15iterator_traitsISK_E10value_typeET2_T3_PNSL_ISQ_E10value_typeET4_jRbjT5_SW_jjP12ihipStream_tbEUlT_E2_NS1_11comp_targetILNS1_3genE10ELNS1_11target_archE1201ELNS1_3gpuE5ELNS1_3repE0EEENS1_30default_config_static_selectorELNS0_4arch9wavefront6targetE0EEEvSK_.private_seg_size, 0
	.set _ZN7rocprim17ROCPRIM_400000_NS6detail17trampoline_kernelINS0_14default_configENS1_36segmented_radix_sort_config_selectorIslEEZNS1_25segmented_radix_sort_implIS3_Lb1EPKsPsPKlPlN2at6native12_GLOBAL__N_18offset_tEEE10hipError_tPvRmT1_PNSt15iterator_traitsISK_E10value_typeET2_T3_PNSL_ISQ_E10value_typeET4_jRbjT5_SW_jjP12ihipStream_tbEUlT_E2_NS1_11comp_targetILNS1_3genE10ELNS1_11target_archE1201ELNS1_3gpuE5ELNS1_3repE0EEENS1_30default_config_static_selectorELNS0_4arch9wavefront6targetE0EEEvSK_.uses_vcc, 0
	.set _ZN7rocprim17ROCPRIM_400000_NS6detail17trampoline_kernelINS0_14default_configENS1_36segmented_radix_sort_config_selectorIslEEZNS1_25segmented_radix_sort_implIS3_Lb1EPKsPsPKlPlN2at6native12_GLOBAL__N_18offset_tEEE10hipError_tPvRmT1_PNSt15iterator_traitsISK_E10value_typeET2_T3_PNSL_ISQ_E10value_typeET4_jRbjT5_SW_jjP12ihipStream_tbEUlT_E2_NS1_11comp_targetILNS1_3genE10ELNS1_11target_archE1201ELNS1_3gpuE5ELNS1_3repE0EEENS1_30default_config_static_selectorELNS0_4arch9wavefront6targetE0EEEvSK_.uses_flat_scratch, 0
	.set _ZN7rocprim17ROCPRIM_400000_NS6detail17trampoline_kernelINS0_14default_configENS1_36segmented_radix_sort_config_selectorIslEEZNS1_25segmented_radix_sort_implIS3_Lb1EPKsPsPKlPlN2at6native12_GLOBAL__N_18offset_tEEE10hipError_tPvRmT1_PNSt15iterator_traitsISK_E10value_typeET2_T3_PNSL_ISQ_E10value_typeET4_jRbjT5_SW_jjP12ihipStream_tbEUlT_E2_NS1_11comp_targetILNS1_3genE10ELNS1_11target_archE1201ELNS1_3gpuE5ELNS1_3repE0EEENS1_30default_config_static_selectorELNS0_4arch9wavefront6targetE0EEEvSK_.has_dyn_sized_stack, 0
	.set _ZN7rocprim17ROCPRIM_400000_NS6detail17trampoline_kernelINS0_14default_configENS1_36segmented_radix_sort_config_selectorIslEEZNS1_25segmented_radix_sort_implIS3_Lb1EPKsPsPKlPlN2at6native12_GLOBAL__N_18offset_tEEE10hipError_tPvRmT1_PNSt15iterator_traitsISK_E10value_typeET2_T3_PNSL_ISQ_E10value_typeET4_jRbjT5_SW_jjP12ihipStream_tbEUlT_E2_NS1_11comp_targetILNS1_3genE10ELNS1_11target_archE1201ELNS1_3gpuE5ELNS1_3repE0EEENS1_30default_config_static_selectorELNS0_4arch9wavefront6targetE0EEEvSK_.has_recursion, 0
	.set _ZN7rocprim17ROCPRIM_400000_NS6detail17trampoline_kernelINS0_14default_configENS1_36segmented_radix_sort_config_selectorIslEEZNS1_25segmented_radix_sort_implIS3_Lb1EPKsPsPKlPlN2at6native12_GLOBAL__N_18offset_tEEE10hipError_tPvRmT1_PNSt15iterator_traitsISK_E10value_typeET2_T3_PNSL_ISQ_E10value_typeET4_jRbjT5_SW_jjP12ihipStream_tbEUlT_E2_NS1_11comp_targetILNS1_3genE10ELNS1_11target_archE1201ELNS1_3gpuE5ELNS1_3repE0EEENS1_30default_config_static_selectorELNS0_4arch9wavefront6targetE0EEEvSK_.has_indirect_call, 0
	.section	.AMDGPU.csdata,"",@progbits
; Kernel info:
; codeLenInByte = 0
; TotalNumSgprs: 0
; NumVgprs: 0
; ScratchSize: 0
; MemoryBound: 0
; FloatMode: 240
; IeeeMode: 1
; LDSByteSize: 0 bytes/workgroup (compile time only)
; SGPRBlocks: 0
; VGPRBlocks: 0
; NumSGPRsForWavesPerEU: 1
; NumVGPRsForWavesPerEU: 1
; Occupancy: 16
; WaveLimiterHint : 0
; COMPUTE_PGM_RSRC2:SCRATCH_EN: 0
; COMPUTE_PGM_RSRC2:USER_SGPR: 6
; COMPUTE_PGM_RSRC2:TRAP_HANDLER: 0
; COMPUTE_PGM_RSRC2:TGID_X_EN: 1
; COMPUTE_PGM_RSRC2:TGID_Y_EN: 0
; COMPUTE_PGM_RSRC2:TGID_Z_EN: 0
; COMPUTE_PGM_RSRC2:TIDIG_COMP_CNT: 0
	.section	.text._ZN7rocprim17ROCPRIM_400000_NS6detail17trampoline_kernelINS0_14default_configENS1_36segmented_radix_sort_config_selectorIslEEZNS1_25segmented_radix_sort_implIS3_Lb1EPKsPsPKlPlN2at6native12_GLOBAL__N_18offset_tEEE10hipError_tPvRmT1_PNSt15iterator_traitsISK_E10value_typeET2_T3_PNSL_ISQ_E10value_typeET4_jRbjT5_SW_jjP12ihipStream_tbEUlT_E2_NS1_11comp_targetILNS1_3genE10ELNS1_11target_archE1200ELNS1_3gpuE4ELNS1_3repE0EEENS1_30default_config_static_selectorELNS0_4arch9wavefront6targetE0EEEvSK_,"axG",@progbits,_ZN7rocprim17ROCPRIM_400000_NS6detail17trampoline_kernelINS0_14default_configENS1_36segmented_radix_sort_config_selectorIslEEZNS1_25segmented_radix_sort_implIS3_Lb1EPKsPsPKlPlN2at6native12_GLOBAL__N_18offset_tEEE10hipError_tPvRmT1_PNSt15iterator_traitsISK_E10value_typeET2_T3_PNSL_ISQ_E10value_typeET4_jRbjT5_SW_jjP12ihipStream_tbEUlT_E2_NS1_11comp_targetILNS1_3genE10ELNS1_11target_archE1200ELNS1_3gpuE4ELNS1_3repE0EEENS1_30default_config_static_selectorELNS0_4arch9wavefront6targetE0EEEvSK_,comdat
	.globl	_ZN7rocprim17ROCPRIM_400000_NS6detail17trampoline_kernelINS0_14default_configENS1_36segmented_radix_sort_config_selectorIslEEZNS1_25segmented_radix_sort_implIS3_Lb1EPKsPsPKlPlN2at6native12_GLOBAL__N_18offset_tEEE10hipError_tPvRmT1_PNSt15iterator_traitsISK_E10value_typeET2_T3_PNSL_ISQ_E10value_typeET4_jRbjT5_SW_jjP12ihipStream_tbEUlT_E2_NS1_11comp_targetILNS1_3genE10ELNS1_11target_archE1200ELNS1_3gpuE4ELNS1_3repE0EEENS1_30default_config_static_selectorELNS0_4arch9wavefront6targetE0EEEvSK_ ; -- Begin function _ZN7rocprim17ROCPRIM_400000_NS6detail17trampoline_kernelINS0_14default_configENS1_36segmented_radix_sort_config_selectorIslEEZNS1_25segmented_radix_sort_implIS3_Lb1EPKsPsPKlPlN2at6native12_GLOBAL__N_18offset_tEEE10hipError_tPvRmT1_PNSt15iterator_traitsISK_E10value_typeET2_T3_PNSL_ISQ_E10value_typeET4_jRbjT5_SW_jjP12ihipStream_tbEUlT_E2_NS1_11comp_targetILNS1_3genE10ELNS1_11target_archE1200ELNS1_3gpuE4ELNS1_3repE0EEENS1_30default_config_static_selectorELNS0_4arch9wavefront6targetE0EEEvSK_
	.p2align	8
	.type	_ZN7rocprim17ROCPRIM_400000_NS6detail17trampoline_kernelINS0_14default_configENS1_36segmented_radix_sort_config_selectorIslEEZNS1_25segmented_radix_sort_implIS3_Lb1EPKsPsPKlPlN2at6native12_GLOBAL__N_18offset_tEEE10hipError_tPvRmT1_PNSt15iterator_traitsISK_E10value_typeET2_T3_PNSL_ISQ_E10value_typeET4_jRbjT5_SW_jjP12ihipStream_tbEUlT_E2_NS1_11comp_targetILNS1_3genE10ELNS1_11target_archE1200ELNS1_3gpuE4ELNS1_3repE0EEENS1_30default_config_static_selectorELNS0_4arch9wavefront6targetE0EEEvSK_,@function
_ZN7rocprim17ROCPRIM_400000_NS6detail17trampoline_kernelINS0_14default_configENS1_36segmented_radix_sort_config_selectorIslEEZNS1_25segmented_radix_sort_implIS3_Lb1EPKsPsPKlPlN2at6native12_GLOBAL__N_18offset_tEEE10hipError_tPvRmT1_PNSt15iterator_traitsISK_E10value_typeET2_T3_PNSL_ISQ_E10value_typeET4_jRbjT5_SW_jjP12ihipStream_tbEUlT_E2_NS1_11comp_targetILNS1_3genE10ELNS1_11target_archE1200ELNS1_3gpuE4ELNS1_3repE0EEENS1_30default_config_static_selectorELNS0_4arch9wavefront6targetE0EEEvSK_: ; @_ZN7rocprim17ROCPRIM_400000_NS6detail17trampoline_kernelINS0_14default_configENS1_36segmented_radix_sort_config_selectorIslEEZNS1_25segmented_radix_sort_implIS3_Lb1EPKsPsPKlPlN2at6native12_GLOBAL__N_18offset_tEEE10hipError_tPvRmT1_PNSt15iterator_traitsISK_E10value_typeET2_T3_PNSL_ISQ_E10value_typeET4_jRbjT5_SW_jjP12ihipStream_tbEUlT_E2_NS1_11comp_targetILNS1_3genE10ELNS1_11target_archE1200ELNS1_3gpuE4ELNS1_3repE0EEENS1_30default_config_static_selectorELNS0_4arch9wavefront6targetE0EEEvSK_
; %bb.0:
	.section	.rodata,"a",@progbits
	.p2align	6, 0x0
	.amdhsa_kernel _ZN7rocprim17ROCPRIM_400000_NS6detail17trampoline_kernelINS0_14default_configENS1_36segmented_radix_sort_config_selectorIslEEZNS1_25segmented_radix_sort_implIS3_Lb1EPKsPsPKlPlN2at6native12_GLOBAL__N_18offset_tEEE10hipError_tPvRmT1_PNSt15iterator_traitsISK_E10value_typeET2_T3_PNSL_ISQ_E10value_typeET4_jRbjT5_SW_jjP12ihipStream_tbEUlT_E2_NS1_11comp_targetILNS1_3genE10ELNS1_11target_archE1200ELNS1_3gpuE4ELNS1_3repE0EEENS1_30default_config_static_selectorELNS0_4arch9wavefront6targetE0EEEvSK_
		.amdhsa_group_segment_fixed_size 0
		.amdhsa_private_segment_fixed_size 0
		.amdhsa_kernarg_size 80
		.amdhsa_user_sgpr_count 6
		.amdhsa_user_sgpr_private_segment_buffer 1
		.amdhsa_user_sgpr_dispatch_ptr 0
		.amdhsa_user_sgpr_queue_ptr 0
		.amdhsa_user_sgpr_kernarg_segment_ptr 1
		.amdhsa_user_sgpr_dispatch_id 0
		.amdhsa_user_sgpr_flat_scratch_init 0
		.amdhsa_user_sgpr_private_segment_size 0
		.amdhsa_wavefront_size32 1
		.amdhsa_uses_dynamic_stack 0
		.amdhsa_system_sgpr_private_segment_wavefront_offset 0
		.amdhsa_system_sgpr_workgroup_id_x 1
		.amdhsa_system_sgpr_workgroup_id_y 0
		.amdhsa_system_sgpr_workgroup_id_z 0
		.amdhsa_system_sgpr_workgroup_info 0
		.amdhsa_system_vgpr_workitem_id 0
		.amdhsa_next_free_vgpr 1
		.amdhsa_next_free_sgpr 1
		.amdhsa_reserve_vcc 0
		.amdhsa_reserve_flat_scratch 0
		.amdhsa_float_round_mode_32 0
		.amdhsa_float_round_mode_16_64 0
		.amdhsa_float_denorm_mode_32 3
		.amdhsa_float_denorm_mode_16_64 3
		.amdhsa_dx10_clamp 1
		.amdhsa_ieee_mode 1
		.amdhsa_fp16_overflow 0
		.amdhsa_workgroup_processor_mode 1
		.amdhsa_memory_ordered 1
		.amdhsa_forward_progress 1
		.amdhsa_shared_vgpr_count 0
		.amdhsa_exception_fp_ieee_invalid_op 0
		.amdhsa_exception_fp_denorm_src 0
		.amdhsa_exception_fp_ieee_div_zero 0
		.amdhsa_exception_fp_ieee_overflow 0
		.amdhsa_exception_fp_ieee_underflow 0
		.amdhsa_exception_fp_ieee_inexact 0
		.amdhsa_exception_int_div_zero 0
	.end_amdhsa_kernel
	.section	.text._ZN7rocprim17ROCPRIM_400000_NS6detail17trampoline_kernelINS0_14default_configENS1_36segmented_radix_sort_config_selectorIslEEZNS1_25segmented_radix_sort_implIS3_Lb1EPKsPsPKlPlN2at6native12_GLOBAL__N_18offset_tEEE10hipError_tPvRmT1_PNSt15iterator_traitsISK_E10value_typeET2_T3_PNSL_ISQ_E10value_typeET4_jRbjT5_SW_jjP12ihipStream_tbEUlT_E2_NS1_11comp_targetILNS1_3genE10ELNS1_11target_archE1200ELNS1_3gpuE4ELNS1_3repE0EEENS1_30default_config_static_selectorELNS0_4arch9wavefront6targetE0EEEvSK_,"axG",@progbits,_ZN7rocprim17ROCPRIM_400000_NS6detail17trampoline_kernelINS0_14default_configENS1_36segmented_radix_sort_config_selectorIslEEZNS1_25segmented_radix_sort_implIS3_Lb1EPKsPsPKlPlN2at6native12_GLOBAL__N_18offset_tEEE10hipError_tPvRmT1_PNSt15iterator_traitsISK_E10value_typeET2_T3_PNSL_ISQ_E10value_typeET4_jRbjT5_SW_jjP12ihipStream_tbEUlT_E2_NS1_11comp_targetILNS1_3genE10ELNS1_11target_archE1200ELNS1_3gpuE4ELNS1_3repE0EEENS1_30default_config_static_selectorELNS0_4arch9wavefront6targetE0EEEvSK_,comdat
.Lfunc_end940:
	.size	_ZN7rocprim17ROCPRIM_400000_NS6detail17trampoline_kernelINS0_14default_configENS1_36segmented_radix_sort_config_selectorIslEEZNS1_25segmented_radix_sort_implIS3_Lb1EPKsPsPKlPlN2at6native12_GLOBAL__N_18offset_tEEE10hipError_tPvRmT1_PNSt15iterator_traitsISK_E10value_typeET2_T3_PNSL_ISQ_E10value_typeET4_jRbjT5_SW_jjP12ihipStream_tbEUlT_E2_NS1_11comp_targetILNS1_3genE10ELNS1_11target_archE1200ELNS1_3gpuE4ELNS1_3repE0EEENS1_30default_config_static_selectorELNS0_4arch9wavefront6targetE0EEEvSK_, .Lfunc_end940-_ZN7rocprim17ROCPRIM_400000_NS6detail17trampoline_kernelINS0_14default_configENS1_36segmented_radix_sort_config_selectorIslEEZNS1_25segmented_radix_sort_implIS3_Lb1EPKsPsPKlPlN2at6native12_GLOBAL__N_18offset_tEEE10hipError_tPvRmT1_PNSt15iterator_traitsISK_E10value_typeET2_T3_PNSL_ISQ_E10value_typeET4_jRbjT5_SW_jjP12ihipStream_tbEUlT_E2_NS1_11comp_targetILNS1_3genE10ELNS1_11target_archE1200ELNS1_3gpuE4ELNS1_3repE0EEENS1_30default_config_static_selectorELNS0_4arch9wavefront6targetE0EEEvSK_
                                        ; -- End function
	.set _ZN7rocprim17ROCPRIM_400000_NS6detail17trampoline_kernelINS0_14default_configENS1_36segmented_radix_sort_config_selectorIslEEZNS1_25segmented_radix_sort_implIS3_Lb1EPKsPsPKlPlN2at6native12_GLOBAL__N_18offset_tEEE10hipError_tPvRmT1_PNSt15iterator_traitsISK_E10value_typeET2_T3_PNSL_ISQ_E10value_typeET4_jRbjT5_SW_jjP12ihipStream_tbEUlT_E2_NS1_11comp_targetILNS1_3genE10ELNS1_11target_archE1200ELNS1_3gpuE4ELNS1_3repE0EEENS1_30default_config_static_selectorELNS0_4arch9wavefront6targetE0EEEvSK_.num_vgpr, 0
	.set _ZN7rocprim17ROCPRIM_400000_NS6detail17trampoline_kernelINS0_14default_configENS1_36segmented_radix_sort_config_selectorIslEEZNS1_25segmented_radix_sort_implIS3_Lb1EPKsPsPKlPlN2at6native12_GLOBAL__N_18offset_tEEE10hipError_tPvRmT1_PNSt15iterator_traitsISK_E10value_typeET2_T3_PNSL_ISQ_E10value_typeET4_jRbjT5_SW_jjP12ihipStream_tbEUlT_E2_NS1_11comp_targetILNS1_3genE10ELNS1_11target_archE1200ELNS1_3gpuE4ELNS1_3repE0EEENS1_30default_config_static_selectorELNS0_4arch9wavefront6targetE0EEEvSK_.num_agpr, 0
	.set _ZN7rocprim17ROCPRIM_400000_NS6detail17trampoline_kernelINS0_14default_configENS1_36segmented_radix_sort_config_selectorIslEEZNS1_25segmented_radix_sort_implIS3_Lb1EPKsPsPKlPlN2at6native12_GLOBAL__N_18offset_tEEE10hipError_tPvRmT1_PNSt15iterator_traitsISK_E10value_typeET2_T3_PNSL_ISQ_E10value_typeET4_jRbjT5_SW_jjP12ihipStream_tbEUlT_E2_NS1_11comp_targetILNS1_3genE10ELNS1_11target_archE1200ELNS1_3gpuE4ELNS1_3repE0EEENS1_30default_config_static_selectorELNS0_4arch9wavefront6targetE0EEEvSK_.numbered_sgpr, 0
	.set _ZN7rocprim17ROCPRIM_400000_NS6detail17trampoline_kernelINS0_14default_configENS1_36segmented_radix_sort_config_selectorIslEEZNS1_25segmented_radix_sort_implIS3_Lb1EPKsPsPKlPlN2at6native12_GLOBAL__N_18offset_tEEE10hipError_tPvRmT1_PNSt15iterator_traitsISK_E10value_typeET2_T3_PNSL_ISQ_E10value_typeET4_jRbjT5_SW_jjP12ihipStream_tbEUlT_E2_NS1_11comp_targetILNS1_3genE10ELNS1_11target_archE1200ELNS1_3gpuE4ELNS1_3repE0EEENS1_30default_config_static_selectorELNS0_4arch9wavefront6targetE0EEEvSK_.num_named_barrier, 0
	.set _ZN7rocprim17ROCPRIM_400000_NS6detail17trampoline_kernelINS0_14default_configENS1_36segmented_radix_sort_config_selectorIslEEZNS1_25segmented_radix_sort_implIS3_Lb1EPKsPsPKlPlN2at6native12_GLOBAL__N_18offset_tEEE10hipError_tPvRmT1_PNSt15iterator_traitsISK_E10value_typeET2_T3_PNSL_ISQ_E10value_typeET4_jRbjT5_SW_jjP12ihipStream_tbEUlT_E2_NS1_11comp_targetILNS1_3genE10ELNS1_11target_archE1200ELNS1_3gpuE4ELNS1_3repE0EEENS1_30default_config_static_selectorELNS0_4arch9wavefront6targetE0EEEvSK_.private_seg_size, 0
	.set _ZN7rocprim17ROCPRIM_400000_NS6detail17trampoline_kernelINS0_14default_configENS1_36segmented_radix_sort_config_selectorIslEEZNS1_25segmented_radix_sort_implIS3_Lb1EPKsPsPKlPlN2at6native12_GLOBAL__N_18offset_tEEE10hipError_tPvRmT1_PNSt15iterator_traitsISK_E10value_typeET2_T3_PNSL_ISQ_E10value_typeET4_jRbjT5_SW_jjP12ihipStream_tbEUlT_E2_NS1_11comp_targetILNS1_3genE10ELNS1_11target_archE1200ELNS1_3gpuE4ELNS1_3repE0EEENS1_30default_config_static_selectorELNS0_4arch9wavefront6targetE0EEEvSK_.uses_vcc, 0
	.set _ZN7rocprim17ROCPRIM_400000_NS6detail17trampoline_kernelINS0_14default_configENS1_36segmented_radix_sort_config_selectorIslEEZNS1_25segmented_radix_sort_implIS3_Lb1EPKsPsPKlPlN2at6native12_GLOBAL__N_18offset_tEEE10hipError_tPvRmT1_PNSt15iterator_traitsISK_E10value_typeET2_T3_PNSL_ISQ_E10value_typeET4_jRbjT5_SW_jjP12ihipStream_tbEUlT_E2_NS1_11comp_targetILNS1_3genE10ELNS1_11target_archE1200ELNS1_3gpuE4ELNS1_3repE0EEENS1_30default_config_static_selectorELNS0_4arch9wavefront6targetE0EEEvSK_.uses_flat_scratch, 0
	.set _ZN7rocprim17ROCPRIM_400000_NS6detail17trampoline_kernelINS0_14default_configENS1_36segmented_radix_sort_config_selectorIslEEZNS1_25segmented_radix_sort_implIS3_Lb1EPKsPsPKlPlN2at6native12_GLOBAL__N_18offset_tEEE10hipError_tPvRmT1_PNSt15iterator_traitsISK_E10value_typeET2_T3_PNSL_ISQ_E10value_typeET4_jRbjT5_SW_jjP12ihipStream_tbEUlT_E2_NS1_11comp_targetILNS1_3genE10ELNS1_11target_archE1200ELNS1_3gpuE4ELNS1_3repE0EEENS1_30default_config_static_selectorELNS0_4arch9wavefront6targetE0EEEvSK_.has_dyn_sized_stack, 0
	.set _ZN7rocprim17ROCPRIM_400000_NS6detail17trampoline_kernelINS0_14default_configENS1_36segmented_radix_sort_config_selectorIslEEZNS1_25segmented_radix_sort_implIS3_Lb1EPKsPsPKlPlN2at6native12_GLOBAL__N_18offset_tEEE10hipError_tPvRmT1_PNSt15iterator_traitsISK_E10value_typeET2_T3_PNSL_ISQ_E10value_typeET4_jRbjT5_SW_jjP12ihipStream_tbEUlT_E2_NS1_11comp_targetILNS1_3genE10ELNS1_11target_archE1200ELNS1_3gpuE4ELNS1_3repE0EEENS1_30default_config_static_selectorELNS0_4arch9wavefront6targetE0EEEvSK_.has_recursion, 0
	.set _ZN7rocprim17ROCPRIM_400000_NS6detail17trampoline_kernelINS0_14default_configENS1_36segmented_radix_sort_config_selectorIslEEZNS1_25segmented_radix_sort_implIS3_Lb1EPKsPsPKlPlN2at6native12_GLOBAL__N_18offset_tEEE10hipError_tPvRmT1_PNSt15iterator_traitsISK_E10value_typeET2_T3_PNSL_ISQ_E10value_typeET4_jRbjT5_SW_jjP12ihipStream_tbEUlT_E2_NS1_11comp_targetILNS1_3genE10ELNS1_11target_archE1200ELNS1_3gpuE4ELNS1_3repE0EEENS1_30default_config_static_selectorELNS0_4arch9wavefront6targetE0EEEvSK_.has_indirect_call, 0
	.section	.AMDGPU.csdata,"",@progbits
; Kernel info:
; codeLenInByte = 0
; TotalNumSgprs: 0
; NumVgprs: 0
; ScratchSize: 0
; MemoryBound: 0
; FloatMode: 240
; IeeeMode: 1
; LDSByteSize: 0 bytes/workgroup (compile time only)
; SGPRBlocks: 0
; VGPRBlocks: 0
; NumSGPRsForWavesPerEU: 1
; NumVGPRsForWavesPerEU: 1
; Occupancy: 16
; WaveLimiterHint : 0
; COMPUTE_PGM_RSRC2:SCRATCH_EN: 0
; COMPUTE_PGM_RSRC2:USER_SGPR: 6
; COMPUTE_PGM_RSRC2:TRAP_HANDLER: 0
; COMPUTE_PGM_RSRC2:TGID_X_EN: 1
; COMPUTE_PGM_RSRC2:TGID_Y_EN: 0
; COMPUTE_PGM_RSRC2:TGID_Z_EN: 0
; COMPUTE_PGM_RSRC2:TIDIG_COMP_CNT: 0
	.section	.text._ZN7rocprim17ROCPRIM_400000_NS6detail17trampoline_kernelINS0_14default_configENS1_36segmented_radix_sort_config_selectorIslEEZNS1_25segmented_radix_sort_implIS3_Lb1EPKsPsPKlPlN2at6native12_GLOBAL__N_18offset_tEEE10hipError_tPvRmT1_PNSt15iterator_traitsISK_E10value_typeET2_T3_PNSL_ISQ_E10value_typeET4_jRbjT5_SW_jjP12ihipStream_tbEUlT_E2_NS1_11comp_targetILNS1_3genE9ELNS1_11target_archE1100ELNS1_3gpuE3ELNS1_3repE0EEENS1_30default_config_static_selectorELNS0_4arch9wavefront6targetE0EEEvSK_,"axG",@progbits,_ZN7rocprim17ROCPRIM_400000_NS6detail17trampoline_kernelINS0_14default_configENS1_36segmented_radix_sort_config_selectorIslEEZNS1_25segmented_radix_sort_implIS3_Lb1EPKsPsPKlPlN2at6native12_GLOBAL__N_18offset_tEEE10hipError_tPvRmT1_PNSt15iterator_traitsISK_E10value_typeET2_T3_PNSL_ISQ_E10value_typeET4_jRbjT5_SW_jjP12ihipStream_tbEUlT_E2_NS1_11comp_targetILNS1_3genE9ELNS1_11target_archE1100ELNS1_3gpuE3ELNS1_3repE0EEENS1_30default_config_static_selectorELNS0_4arch9wavefront6targetE0EEEvSK_,comdat
	.globl	_ZN7rocprim17ROCPRIM_400000_NS6detail17trampoline_kernelINS0_14default_configENS1_36segmented_radix_sort_config_selectorIslEEZNS1_25segmented_radix_sort_implIS3_Lb1EPKsPsPKlPlN2at6native12_GLOBAL__N_18offset_tEEE10hipError_tPvRmT1_PNSt15iterator_traitsISK_E10value_typeET2_T3_PNSL_ISQ_E10value_typeET4_jRbjT5_SW_jjP12ihipStream_tbEUlT_E2_NS1_11comp_targetILNS1_3genE9ELNS1_11target_archE1100ELNS1_3gpuE3ELNS1_3repE0EEENS1_30default_config_static_selectorELNS0_4arch9wavefront6targetE0EEEvSK_ ; -- Begin function _ZN7rocprim17ROCPRIM_400000_NS6detail17trampoline_kernelINS0_14default_configENS1_36segmented_radix_sort_config_selectorIslEEZNS1_25segmented_radix_sort_implIS3_Lb1EPKsPsPKlPlN2at6native12_GLOBAL__N_18offset_tEEE10hipError_tPvRmT1_PNSt15iterator_traitsISK_E10value_typeET2_T3_PNSL_ISQ_E10value_typeET4_jRbjT5_SW_jjP12ihipStream_tbEUlT_E2_NS1_11comp_targetILNS1_3genE9ELNS1_11target_archE1100ELNS1_3gpuE3ELNS1_3repE0EEENS1_30default_config_static_selectorELNS0_4arch9wavefront6targetE0EEEvSK_
	.p2align	8
	.type	_ZN7rocprim17ROCPRIM_400000_NS6detail17trampoline_kernelINS0_14default_configENS1_36segmented_radix_sort_config_selectorIslEEZNS1_25segmented_radix_sort_implIS3_Lb1EPKsPsPKlPlN2at6native12_GLOBAL__N_18offset_tEEE10hipError_tPvRmT1_PNSt15iterator_traitsISK_E10value_typeET2_T3_PNSL_ISQ_E10value_typeET4_jRbjT5_SW_jjP12ihipStream_tbEUlT_E2_NS1_11comp_targetILNS1_3genE9ELNS1_11target_archE1100ELNS1_3gpuE3ELNS1_3repE0EEENS1_30default_config_static_selectorELNS0_4arch9wavefront6targetE0EEEvSK_,@function
_ZN7rocprim17ROCPRIM_400000_NS6detail17trampoline_kernelINS0_14default_configENS1_36segmented_radix_sort_config_selectorIslEEZNS1_25segmented_radix_sort_implIS3_Lb1EPKsPsPKlPlN2at6native12_GLOBAL__N_18offset_tEEE10hipError_tPvRmT1_PNSt15iterator_traitsISK_E10value_typeET2_T3_PNSL_ISQ_E10value_typeET4_jRbjT5_SW_jjP12ihipStream_tbEUlT_E2_NS1_11comp_targetILNS1_3genE9ELNS1_11target_archE1100ELNS1_3gpuE3ELNS1_3repE0EEENS1_30default_config_static_selectorELNS0_4arch9wavefront6targetE0EEEvSK_: ; @_ZN7rocprim17ROCPRIM_400000_NS6detail17trampoline_kernelINS0_14default_configENS1_36segmented_radix_sort_config_selectorIslEEZNS1_25segmented_radix_sort_implIS3_Lb1EPKsPsPKlPlN2at6native12_GLOBAL__N_18offset_tEEE10hipError_tPvRmT1_PNSt15iterator_traitsISK_E10value_typeET2_T3_PNSL_ISQ_E10value_typeET4_jRbjT5_SW_jjP12ihipStream_tbEUlT_E2_NS1_11comp_targetILNS1_3genE9ELNS1_11target_archE1100ELNS1_3gpuE3ELNS1_3repE0EEENS1_30default_config_static_selectorELNS0_4arch9wavefront6targetE0EEEvSK_
; %bb.0:
	.section	.rodata,"a",@progbits
	.p2align	6, 0x0
	.amdhsa_kernel _ZN7rocprim17ROCPRIM_400000_NS6detail17trampoline_kernelINS0_14default_configENS1_36segmented_radix_sort_config_selectorIslEEZNS1_25segmented_radix_sort_implIS3_Lb1EPKsPsPKlPlN2at6native12_GLOBAL__N_18offset_tEEE10hipError_tPvRmT1_PNSt15iterator_traitsISK_E10value_typeET2_T3_PNSL_ISQ_E10value_typeET4_jRbjT5_SW_jjP12ihipStream_tbEUlT_E2_NS1_11comp_targetILNS1_3genE9ELNS1_11target_archE1100ELNS1_3gpuE3ELNS1_3repE0EEENS1_30default_config_static_selectorELNS0_4arch9wavefront6targetE0EEEvSK_
		.amdhsa_group_segment_fixed_size 0
		.amdhsa_private_segment_fixed_size 0
		.amdhsa_kernarg_size 80
		.amdhsa_user_sgpr_count 6
		.amdhsa_user_sgpr_private_segment_buffer 1
		.amdhsa_user_sgpr_dispatch_ptr 0
		.amdhsa_user_sgpr_queue_ptr 0
		.amdhsa_user_sgpr_kernarg_segment_ptr 1
		.amdhsa_user_sgpr_dispatch_id 0
		.amdhsa_user_sgpr_flat_scratch_init 0
		.amdhsa_user_sgpr_private_segment_size 0
		.amdhsa_wavefront_size32 1
		.amdhsa_uses_dynamic_stack 0
		.amdhsa_system_sgpr_private_segment_wavefront_offset 0
		.amdhsa_system_sgpr_workgroup_id_x 1
		.amdhsa_system_sgpr_workgroup_id_y 0
		.amdhsa_system_sgpr_workgroup_id_z 0
		.amdhsa_system_sgpr_workgroup_info 0
		.amdhsa_system_vgpr_workitem_id 0
		.amdhsa_next_free_vgpr 1
		.amdhsa_next_free_sgpr 1
		.amdhsa_reserve_vcc 0
		.amdhsa_reserve_flat_scratch 0
		.amdhsa_float_round_mode_32 0
		.amdhsa_float_round_mode_16_64 0
		.amdhsa_float_denorm_mode_32 3
		.amdhsa_float_denorm_mode_16_64 3
		.amdhsa_dx10_clamp 1
		.amdhsa_ieee_mode 1
		.amdhsa_fp16_overflow 0
		.amdhsa_workgroup_processor_mode 1
		.amdhsa_memory_ordered 1
		.amdhsa_forward_progress 1
		.amdhsa_shared_vgpr_count 0
		.amdhsa_exception_fp_ieee_invalid_op 0
		.amdhsa_exception_fp_denorm_src 0
		.amdhsa_exception_fp_ieee_div_zero 0
		.amdhsa_exception_fp_ieee_overflow 0
		.amdhsa_exception_fp_ieee_underflow 0
		.amdhsa_exception_fp_ieee_inexact 0
		.amdhsa_exception_int_div_zero 0
	.end_amdhsa_kernel
	.section	.text._ZN7rocprim17ROCPRIM_400000_NS6detail17trampoline_kernelINS0_14default_configENS1_36segmented_radix_sort_config_selectorIslEEZNS1_25segmented_radix_sort_implIS3_Lb1EPKsPsPKlPlN2at6native12_GLOBAL__N_18offset_tEEE10hipError_tPvRmT1_PNSt15iterator_traitsISK_E10value_typeET2_T3_PNSL_ISQ_E10value_typeET4_jRbjT5_SW_jjP12ihipStream_tbEUlT_E2_NS1_11comp_targetILNS1_3genE9ELNS1_11target_archE1100ELNS1_3gpuE3ELNS1_3repE0EEENS1_30default_config_static_selectorELNS0_4arch9wavefront6targetE0EEEvSK_,"axG",@progbits,_ZN7rocprim17ROCPRIM_400000_NS6detail17trampoline_kernelINS0_14default_configENS1_36segmented_radix_sort_config_selectorIslEEZNS1_25segmented_radix_sort_implIS3_Lb1EPKsPsPKlPlN2at6native12_GLOBAL__N_18offset_tEEE10hipError_tPvRmT1_PNSt15iterator_traitsISK_E10value_typeET2_T3_PNSL_ISQ_E10value_typeET4_jRbjT5_SW_jjP12ihipStream_tbEUlT_E2_NS1_11comp_targetILNS1_3genE9ELNS1_11target_archE1100ELNS1_3gpuE3ELNS1_3repE0EEENS1_30default_config_static_selectorELNS0_4arch9wavefront6targetE0EEEvSK_,comdat
.Lfunc_end941:
	.size	_ZN7rocprim17ROCPRIM_400000_NS6detail17trampoline_kernelINS0_14default_configENS1_36segmented_radix_sort_config_selectorIslEEZNS1_25segmented_radix_sort_implIS3_Lb1EPKsPsPKlPlN2at6native12_GLOBAL__N_18offset_tEEE10hipError_tPvRmT1_PNSt15iterator_traitsISK_E10value_typeET2_T3_PNSL_ISQ_E10value_typeET4_jRbjT5_SW_jjP12ihipStream_tbEUlT_E2_NS1_11comp_targetILNS1_3genE9ELNS1_11target_archE1100ELNS1_3gpuE3ELNS1_3repE0EEENS1_30default_config_static_selectorELNS0_4arch9wavefront6targetE0EEEvSK_, .Lfunc_end941-_ZN7rocprim17ROCPRIM_400000_NS6detail17trampoline_kernelINS0_14default_configENS1_36segmented_radix_sort_config_selectorIslEEZNS1_25segmented_radix_sort_implIS3_Lb1EPKsPsPKlPlN2at6native12_GLOBAL__N_18offset_tEEE10hipError_tPvRmT1_PNSt15iterator_traitsISK_E10value_typeET2_T3_PNSL_ISQ_E10value_typeET4_jRbjT5_SW_jjP12ihipStream_tbEUlT_E2_NS1_11comp_targetILNS1_3genE9ELNS1_11target_archE1100ELNS1_3gpuE3ELNS1_3repE0EEENS1_30default_config_static_selectorELNS0_4arch9wavefront6targetE0EEEvSK_
                                        ; -- End function
	.set _ZN7rocprim17ROCPRIM_400000_NS6detail17trampoline_kernelINS0_14default_configENS1_36segmented_radix_sort_config_selectorIslEEZNS1_25segmented_radix_sort_implIS3_Lb1EPKsPsPKlPlN2at6native12_GLOBAL__N_18offset_tEEE10hipError_tPvRmT1_PNSt15iterator_traitsISK_E10value_typeET2_T3_PNSL_ISQ_E10value_typeET4_jRbjT5_SW_jjP12ihipStream_tbEUlT_E2_NS1_11comp_targetILNS1_3genE9ELNS1_11target_archE1100ELNS1_3gpuE3ELNS1_3repE0EEENS1_30default_config_static_selectorELNS0_4arch9wavefront6targetE0EEEvSK_.num_vgpr, 0
	.set _ZN7rocprim17ROCPRIM_400000_NS6detail17trampoline_kernelINS0_14default_configENS1_36segmented_radix_sort_config_selectorIslEEZNS1_25segmented_radix_sort_implIS3_Lb1EPKsPsPKlPlN2at6native12_GLOBAL__N_18offset_tEEE10hipError_tPvRmT1_PNSt15iterator_traitsISK_E10value_typeET2_T3_PNSL_ISQ_E10value_typeET4_jRbjT5_SW_jjP12ihipStream_tbEUlT_E2_NS1_11comp_targetILNS1_3genE9ELNS1_11target_archE1100ELNS1_3gpuE3ELNS1_3repE0EEENS1_30default_config_static_selectorELNS0_4arch9wavefront6targetE0EEEvSK_.num_agpr, 0
	.set _ZN7rocprim17ROCPRIM_400000_NS6detail17trampoline_kernelINS0_14default_configENS1_36segmented_radix_sort_config_selectorIslEEZNS1_25segmented_radix_sort_implIS3_Lb1EPKsPsPKlPlN2at6native12_GLOBAL__N_18offset_tEEE10hipError_tPvRmT1_PNSt15iterator_traitsISK_E10value_typeET2_T3_PNSL_ISQ_E10value_typeET4_jRbjT5_SW_jjP12ihipStream_tbEUlT_E2_NS1_11comp_targetILNS1_3genE9ELNS1_11target_archE1100ELNS1_3gpuE3ELNS1_3repE0EEENS1_30default_config_static_selectorELNS0_4arch9wavefront6targetE0EEEvSK_.numbered_sgpr, 0
	.set _ZN7rocprim17ROCPRIM_400000_NS6detail17trampoline_kernelINS0_14default_configENS1_36segmented_radix_sort_config_selectorIslEEZNS1_25segmented_radix_sort_implIS3_Lb1EPKsPsPKlPlN2at6native12_GLOBAL__N_18offset_tEEE10hipError_tPvRmT1_PNSt15iterator_traitsISK_E10value_typeET2_T3_PNSL_ISQ_E10value_typeET4_jRbjT5_SW_jjP12ihipStream_tbEUlT_E2_NS1_11comp_targetILNS1_3genE9ELNS1_11target_archE1100ELNS1_3gpuE3ELNS1_3repE0EEENS1_30default_config_static_selectorELNS0_4arch9wavefront6targetE0EEEvSK_.num_named_barrier, 0
	.set _ZN7rocprim17ROCPRIM_400000_NS6detail17trampoline_kernelINS0_14default_configENS1_36segmented_radix_sort_config_selectorIslEEZNS1_25segmented_radix_sort_implIS3_Lb1EPKsPsPKlPlN2at6native12_GLOBAL__N_18offset_tEEE10hipError_tPvRmT1_PNSt15iterator_traitsISK_E10value_typeET2_T3_PNSL_ISQ_E10value_typeET4_jRbjT5_SW_jjP12ihipStream_tbEUlT_E2_NS1_11comp_targetILNS1_3genE9ELNS1_11target_archE1100ELNS1_3gpuE3ELNS1_3repE0EEENS1_30default_config_static_selectorELNS0_4arch9wavefront6targetE0EEEvSK_.private_seg_size, 0
	.set _ZN7rocprim17ROCPRIM_400000_NS6detail17trampoline_kernelINS0_14default_configENS1_36segmented_radix_sort_config_selectorIslEEZNS1_25segmented_radix_sort_implIS3_Lb1EPKsPsPKlPlN2at6native12_GLOBAL__N_18offset_tEEE10hipError_tPvRmT1_PNSt15iterator_traitsISK_E10value_typeET2_T3_PNSL_ISQ_E10value_typeET4_jRbjT5_SW_jjP12ihipStream_tbEUlT_E2_NS1_11comp_targetILNS1_3genE9ELNS1_11target_archE1100ELNS1_3gpuE3ELNS1_3repE0EEENS1_30default_config_static_selectorELNS0_4arch9wavefront6targetE0EEEvSK_.uses_vcc, 0
	.set _ZN7rocprim17ROCPRIM_400000_NS6detail17trampoline_kernelINS0_14default_configENS1_36segmented_radix_sort_config_selectorIslEEZNS1_25segmented_radix_sort_implIS3_Lb1EPKsPsPKlPlN2at6native12_GLOBAL__N_18offset_tEEE10hipError_tPvRmT1_PNSt15iterator_traitsISK_E10value_typeET2_T3_PNSL_ISQ_E10value_typeET4_jRbjT5_SW_jjP12ihipStream_tbEUlT_E2_NS1_11comp_targetILNS1_3genE9ELNS1_11target_archE1100ELNS1_3gpuE3ELNS1_3repE0EEENS1_30default_config_static_selectorELNS0_4arch9wavefront6targetE0EEEvSK_.uses_flat_scratch, 0
	.set _ZN7rocprim17ROCPRIM_400000_NS6detail17trampoline_kernelINS0_14default_configENS1_36segmented_radix_sort_config_selectorIslEEZNS1_25segmented_radix_sort_implIS3_Lb1EPKsPsPKlPlN2at6native12_GLOBAL__N_18offset_tEEE10hipError_tPvRmT1_PNSt15iterator_traitsISK_E10value_typeET2_T3_PNSL_ISQ_E10value_typeET4_jRbjT5_SW_jjP12ihipStream_tbEUlT_E2_NS1_11comp_targetILNS1_3genE9ELNS1_11target_archE1100ELNS1_3gpuE3ELNS1_3repE0EEENS1_30default_config_static_selectorELNS0_4arch9wavefront6targetE0EEEvSK_.has_dyn_sized_stack, 0
	.set _ZN7rocprim17ROCPRIM_400000_NS6detail17trampoline_kernelINS0_14default_configENS1_36segmented_radix_sort_config_selectorIslEEZNS1_25segmented_radix_sort_implIS3_Lb1EPKsPsPKlPlN2at6native12_GLOBAL__N_18offset_tEEE10hipError_tPvRmT1_PNSt15iterator_traitsISK_E10value_typeET2_T3_PNSL_ISQ_E10value_typeET4_jRbjT5_SW_jjP12ihipStream_tbEUlT_E2_NS1_11comp_targetILNS1_3genE9ELNS1_11target_archE1100ELNS1_3gpuE3ELNS1_3repE0EEENS1_30default_config_static_selectorELNS0_4arch9wavefront6targetE0EEEvSK_.has_recursion, 0
	.set _ZN7rocprim17ROCPRIM_400000_NS6detail17trampoline_kernelINS0_14default_configENS1_36segmented_radix_sort_config_selectorIslEEZNS1_25segmented_radix_sort_implIS3_Lb1EPKsPsPKlPlN2at6native12_GLOBAL__N_18offset_tEEE10hipError_tPvRmT1_PNSt15iterator_traitsISK_E10value_typeET2_T3_PNSL_ISQ_E10value_typeET4_jRbjT5_SW_jjP12ihipStream_tbEUlT_E2_NS1_11comp_targetILNS1_3genE9ELNS1_11target_archE1100ELNS1_3gpuE3ELNS1_3repE0EEENS1_30default_config_static_selectorELNS0_4arch9wavefront6targetE0EEEvSK_.has_indirect_call, 0
	.section	.AMDGPU.csdata,"",@progbits
; Kernel info:
; codeLenInByte = 0
; TotalNumSgprs: 0
; NumVgprs: 0
; ScratchSize: 0
; MemoryBound: 0
; FloatMode: 240
; IeeeMode: 1
; LDSByteSize: 0 bytes/workgroup (compile time only)
; SGPRBlocks: 0
; VGPRBlocks: 0
; NumSGPRsForWavesPerEU: 1
; NumVGPRsForWavesPerEU: 1
; Occupancy: 16
; WaveLimiterHint : 0
; COMPUTE_PGM_RSRC2:SCRATCH_EN: 0
; COMPUTE_PGM_RSRC2:USER_SGPR: 6
; COMPUTE_PGM_RSRC2:TRAP_HANDLER: 0
; COMPUTE_PGM_RSRC2:TGID_X_EN: 1
; COMPUTE_PGM_RSRC2:TGID_Y_EN: 0
; COMPUTE_PGM_RSRC2:TGID_Z_EN: 0
; COMPUTE_PGM_RSRC2:TIDIG_COMP_CNT: 0
	.section	.text._ZN7rocprim17ROCPRIM_400000_NS6detail17trampoline_kernelINS0_14default_configENS1_36segmented_radix_sort_config_selectorIslEEZNS1_25segmented_radix_sort_implIS3_Lb1EPKsPsPKlPlN2at6native12_GLOBAL__N_18offset_tEEE10hipError_tPvRmT1_PNSt15iterator_traitsISK_E10value_typeET2_T3_PNSL_ISQ_E10value_typeET4_jRbjT5_SW_jjP12ihipStream_tbEUlT_E2_NS1_11comp_targetILNS1_3genE8ELNS1_11target_archE1030ELNS1_3gpuE2ELNS1_3repE0EEENS1_30default_config_static_selectorELNS0_4arch9wavefront6targetE0EEEvSK_,"axG",@progbits,_ZN7rocprim17ROCPRIM_400000_NS6detail17trampoline_kernelINS0_14default_configENS1_36segmented_radix_sort_config_selectorIslEEZNS1_25segmented_radix_sort_implIS3_Lb1EPKsPsPKlPlN2at6native12_GLOBAL__N_18offset_tEEE10hipError_tPvRmT1_PNSt15iterator_traitsISK_E10value_typeET2_T3_PNSL_ISQ_E10value_typeET4_jRbjT5_SW_jjP12ihipStream_tbEUlT_E2_NS1_11comp_targetILNS1_3genE8ELNS1_11target_archE1030ELNS1_3gpuE2ELNS1_3repE0EEENS1_30default_config_static_selectorELNS0_4arch9wavefront6targetE0EEEvSK_,comdat
	.globl	_ZN7rocprim17ROCPRIM_400000_NS6detail17trampoline_kernelINS0_14default_configENS1_36segmented_radix_sort_config_selectorIslEEZNS1_25segmented_radix_sort_implIS3_Lb1EPKsPsPKlPlN2at6native12_GLOBAL__N_18offset_tEEE10hipError_tPvRmT1_PNSt15iterator_traitsISK_E10value_typeET2_T3_PNSL_ISQ_E10value_typeET4_jRbjT5_SW_jjP12ihipStream_tbEUlT_E2_NS1_11comp_targetILNS1_3genE8ELNS1_11target_archE1030ELNS1_3gpuE2ELNS1_3repE0EEENS1_30default_config_static_selectorELNS0_4arch9wavefront6targetE0EEEvSK_ ; -- Begin function _ZN7rocprim17ROCPRIM_400000_NS6detail17trampoline_kernelINS0_14default_configENS1_36segmented_radix_sort_config_selectorIslEEZNS1_25segmented_radix_sort_implIS3_Lb1EPKsPsPKlPlN2at6native12_GLOBAL__N_18offset_tEEE10hipError_tPvRmT1_PNSt15iterator_traitsISK_E10value_typeET2_T3_PNSL_ISQ_E10value_typeET4_jRbjT5_SW_jjP12ihipStream_tbEUlT_E2_NS1_11comp_targetILNS1_3genE8ELNS1_11target_archE1030ELNS1_3gpuE2ELNS1_3repE0EEENS1_30default_config_static_selectorELNS0_4arch9wavefront6targetE0EEEvSK_
	.p2align	8
	.type	_ZN7rocprim17ROCPRIM_400000_NS6detail17trampoline_kernelINS0_14default_configENS1_36segmented_radix_sort_config_selectorIslEEZNS1_25segmented_radix_sort_implIS3_Lb1EPKsPsPKlPlN2at6native12_GLOBAL__N_18offset_tEEE10hipError_tPvRmT1_PNSt15iterator_traitsISK_E10value_typeET2_T3_PNSL_ISQ_E10value_typeET4_jRbjT5_SW_jjP12ihipStream_tbEUlT_E2_NS1_11comp_targetILNS1_3genE8ELNS1_11target_archE1030ELNS1_3gpuE2ELNS1_3repE0EEENS1_30default_config_static_selectorELNS0_4arch9wavefront6targetE0EEEvSK_,@function
_ZN7rocprim17ROCPRIM_400000_NS6detail17trampoline_kernelINS0_14default_configENS1_36segmented_radix_sort_config_selectorIslEEZNS1_25segmented_radix_sort_implIS3_Lb1EPKsPsPKlPlN2at6native12_GLOBAL__N_18offset_tEEE10hipError_tPvRmT1_PNSt15iterator_traitsISK_E10value_typeET2_T3_PNSL_ISQ_E10value_typeET4_jRbjT5_SW_jjP12ihipStream_tbEUlT_E2_NS1_11comp_targetILNS1_3genE8ELNS1_11target_archE1030ELNS1_3gpuE2ELNS1_3repE0EEENS1_30default_config_static_selectorELNS0_4arch9wavefront6targetE0EEEvSK_: ; @_ZN7rocprim17ROCPRIM_400000_NS6detail17trampoline_kernelINS0_14default_configENS1_36segmented_radix_sort_config_selectorIslEEZNS1_25segmented_radix_sort_implIS3_Lb1EPKsPsPKlPlN2at6native12_GLOBAL__N_18offset_tEEE10hipError_tPvRmT1_PNSt15iterator_traitsISK_E10value_typeET2_T3_PNSL_ISQ_E10value_typeET4_jRbjT5_SW_jjP12ihipStream_tbEUlT_E2_NS1_11comp_targetILNS1_3genE8ELNS1_11target_archE1030ELNS1_3gpuE2ELNS1_3repE0EEENS1_30default_config_static_selectorELNS0_4arch9wavefront6targetE0EEEvSK_
; %bb.0:
	s_add_u32 s0, s0, s8
	s_load_dwordx4 s[8:11], s[4:5], 0x34
	s_addc_u32 s1, s1, 0
	s_mov_b32 s32, 0
	s_waitcnt lgkmcnt(0)
	s_add_i32 s58, s9, s6
	s_add_i32 s59, s11, s6
	s_mul_i32 s58, s58, s8
	s_mul_i32 s59, s59, s10
	s_cmp_le_u32 s59, s58
	s_cbranch_scc1 .LBB942_1262
; %bb.1:
	s_clause 0x3
	s_load_dword s8, s[4:5], 0x30
	s_load_dwordx4 s[52:55], s[4:5], 0x20
	s_load_dwordx4 s[40:43], s[4:5], 0x44
	s_load_dwordx8 s[44:51], s[4:5], 0x0
	s_waitcnt lgkmcnt(0)
	s_bitcmp1_b32 s8, 0
	s_mov_b32 s8, -1
	s_cselect_b32 s43, -1, 0
	s_sub_i32 s60, s59, s58
	s_cmpk_lt_u32 s60, 0x1101
	s_cbranch_scc0 .LBB942_15
; %bb.2:
	s_cmpk_lt_u32 s60, 0x81
	s_cbranch_scc0 .LBB942_9
; %bb.3:
	s_load_dword s8, s[4:5], 0x5c
	s_mov_b32 s19, exec_lo
	s_waitcnt lgkmcnt(0)
	s_lshr_b32 s9, s8, 16
	s_and_b32 s8, s8, 0xffff
	v_mad_u32_u24 v3, v2, s9, v1
	v_mad_u64_u32 v[3:4], null, v3, s8, v[0:1]
	v_cmpx_gt_u32_e32 32, v3
	s_cbranch_execz .LBB942_8
; %bb.4:
	v_cndmask_b32_e64 v3, 0, 1, s43
	s_and_b32 s8, s40, 1
	v_cmp_ne_u32_e32 vcc_lo, s8, v3
	s_mov_b32 s8, -1
	s_cbranch_vccnz .LBB942_6
; %bb.5:
	v_lshlrev_b32_e32 v3, 20, v2
	v_lshlrev_b32_e32 v4, 10, v1
	s_mov_b64 s[10:11], src_shared_base
	v_mov_b32_e32 v40, v0
	v_mov_b32_e32 v41, v1
	;; [unrolled: 1-line block ×3, first 2 shown]
	v_or3_b32 v31, v0, v4, v3
	v_mov_b32_e32 v0, s44
	v_mov_b32_e32 v42, v2
	v_mov_b32_e32 v2, s48
	v_mov_b32_e32 v3, s49
	v_mov_b32_e32 v4, s50
	v_mov_b32_e32 v5, s51
	v_mov_b32_e32 v6, s54
	v_mov_b32_e32 v7, s55
	v_mov_b32_e32 v8, s58
	v_mov_b32_e32 v9, s59
	v_mov_b32_e32 v10, s41
	v_mov_b32_e32 v11, s42
	v_mov_b32_e32 v12, 0
	v_mov_b32_e32 v13, s11
	s_add_u32 s8, s4, 0x50
	s_addc_u32 s9, s5, 0
	s_getpc_b64 s[14:15]
	s_add_u32 s14, s14, _ZN7rocprim17ROCPRIM_400000_NS6detail26segmented_warp_sort_helperINS1_20WarpSortHelperConfigILj32ELj4ELj256EEEslLi256ELb1EvE4sortIPKsPsPKlPlEEvT_T0_T1_T2_jjjjRNS5_12storage_typeE@rel32@lo+4
	s_addc_u32 s15, s15, _ZN7rocprim17ROCPRIM_400000_NS6detail26segmented_warp_sort_helperINS1_20WarpSortHelperConfigILj32ELj4ELj256EEEslLi256ELb1EvE4sortIPKsPsPKlPlEEvT_T0_T1_T2_jjjjRNS5_12storage_typeE@rel32@hi+12
	s_mov_b32 s12, s6
	s_mov_b32 s13, s7
	s_mov_b64 s[20:21], s[4:5]
	s_mov_b32 s22, s7
	s_mov_b32 s23, s6
	s_swappc_b64 s[30:31], s[14:15]
	v_mov_b32_e32 v1, v41
	v_mov_b32_e32 v2, v42
	;; [unrolled: 1-line block ×3, first 2 shown]
	s_mov_b32 s6, s23
	s_mov_b32 s7, s22
	s_mov_b64 s[4:5], s[20:21]
	s_mov_b32 s8, 0
.LBB942_6:
	s_andn2_b32 vcc_lo, exec_lo, s8
	s_cbranch_vccnz .LBB942_8
; %bb.7:
	v_lshlrev_b32_e32 v3, 20, v2
	v_lshlrev_b32_e32 v4, 10, v1
	s_mov_b64 s[10:11], src_shared_base
	v_mov_b32_e32 v40, v0
	v_mov_b32_e32 v41, v1
	v_mov_b32_e32 v1, s45
	v_or3_b32 v31, v0, v4, v3
	v_mov_b32_e32 v0, s44
	v_mov_b32_e32 v42, v2
	;; [unrolled: 1-line block ×14, first 2 shown]
	s_add_u32 s8, s4, 0x50
	s_addc_u32 s9, s5, 0
	s_getpc_b64 s[14:15]
	s_add_u32 s14, s14, _ZN7rocprim17ROCPRIM_400000_NS6detail26segmented_warp_sort_helperINS1_20WarpSortHelperConfigILj32ELj4ELj256EEEslLi256ELb1EvE4sortIPKsPsPKlPlEEvT_T0_T1_T2_jjjjRNS5_12storage_typeE@rel32@lo+4
	s_addc_u32 s15, s15, _ZN7rocprim17ROCPRIM_400000_NS6detail26segmented_warp_sort_helperINS1_20WarpSortHelperConfigILj32ELj4ELj256EEEslLi256ELb1EvE4sortIPKsPsPKlPlEEvT_T0_T1_T2_jjjjRNS5_12storage_typeE@rel32@hi+12
	s_mov_b32 s12, s6
	s_mov_b32 s13, s7
	s_mov_b64 s[20:21], s[4:5]
	s_mov_b32 s23, s7
	s_mov_b32 s22, s6
	s_swappc_b64 s[30:31], s[14:15]
	v_mov_b32_e32 v1, v41
	v_mov_b32_e32 v2, v42
	;; [unrolled: 1-line block ×3, first 2 shown]
	s_mov_b32 s6, s22
	s_mov_b32 s7, s23
	s_mov_b64 s[4:5], s[20:21]
.LBB942_8:
	s_or_b32 exec_lo, exec_lo, s19
	s_mov_b32 s8, 0
.LBB942_9:
	s_andn2_b32 vcc_lo, exec_lo, s8
	s_cbranch_vccnz .LBB942_14
; %bb.10:
	v_cndmask_b32_e64 v3, 0, 1, s43
	s_and_b32 s8, s40, 1
	v_lshlrev_b32_e32 v41, 20, v2
	v_lshlrev_b32_e32 v42, 10, v1
	v_cmp_ne_u32_e32 vcc_lo, s8, v3
	s_mov_b32 s8, -1
	s_cbranch_vccnz .LBB942_12
; %bb.11:
	s_mov_b64 s[10:11], src_shared_base
	v_or3_b32 v31, v0, v42, v41
	v_mov_b32_e32 v40, v0
	v_mov_b32_e32 v0, s44
	;; [unrolled: 1-line block ×17, first 2 shown]
	s_add_u32 s8, s4, 0x50
	s_addc_u32 s9, s5, 0
	s_getpc_b64 s[14:15]
	s_add_u32 s14, s14, _ZN7rocprim17ROCPRIM_400000_NS6detail40segmented_radix_sort_single_block_helperIslLj256ELj17ELb1EE4sortIPKsPsPKlPlEEbT_T0_T1_T2_jjjjRNS3_12storage_typeE@rel32@lo+4
	s_addc_u32 s15, s15, _ZN7rocprim17ROCPRIM_400000_NS6detail40segmented_radix_sort_single_block_helperIslLj256ELj17ELb1EE4sortIPKsPsPKlPlEEbT_T0_T1_T2_jjjjRNS3_12storage_typeE@rel32@hi+12
	s_mov_b32 s12, s6
	s_mov_b32 s13, s7
	s_mov_b64 s[28:29], s[4:5]
	s_mov_b32 s33, s7
	s_mov_b32 s34, s6
	s_swappc_b64 s[30:31], s[14:15]
	v_mov_b32_e32 v1, v43
	v_mov_b32_e32 v2, v44
	;; [unrolled: 1-line block ×3, first 2 shown]
	s_mov_b32 s6, s34
	s_mov_b32 s7, s33
	s_mov_b64 s[4:5], s[28:29]
	s_mov_b32 s8, 0
.LBB942_12:
	s_andn2_b32 vcc_lo, exec_lo, s8
	s_cbranch_vccnz .LBB942_14
; %bb.13:
	s_mov_b64 s[10:11], src_shared_base
	v_or3_b32 v31, v0, v42, v41
	v_mov_b32_e32 v40, v0
	v_mov_b32_e32 v0, s44
	;; [unrolled: 1-line block ×17, first 2 shown]
	s_add_u32 s8, s4, 0x50
	s_addc_u32 s9, s5, 0
	s_getpc_b64 s[14:15]
	s_add_u32 s14, s14, _ZN7rocprim17ROCPRIM_400000_NS6detail40segmented_radix_sort_single_block_helperIslLj256ELj17ELb1EE4sortIPKsPsPKlPlEEbT_T0_T1_T2_jjjjRNS3_12storage_typeE@rel32@lo+4
	s_addc_u32 s15, s15, _ZN7rocprim17ROCPRIM_400000_NS6detail40segmented_radix_sort_single_block_helperIslLj256ELj17ELb1EE4sortIPKsPsPKlPlEEbT_T0_T1_T2_jjjjRNS3_12storage_typeE@rel32@hi+12
	s_mov_b32 s12, s6
	s_mov_b32 s13, s7
	s_mov_b64 s[28:29], s[4:5]
	s_mov_b32 s34, s7
	s_mov_b32 s33, s6
	s_swappc_b64 s[30:31], s[14:15]
	v_mov_b32_e32 v1, v41
	v_mov_b32_e32 v2, v42
	;; [unrolled: 1-line block ×3, first 2 shown]
	s_mov_b32 s6, s33
	s_mov_b32 s7, s34
	s_mov_b64 s[4:5], s[28:29]
.LBB942_14:
	s_mov_b32 s8, 0
.LBB942_15:
	s_andn2_b32 vcc_lo, exec_lo, s8
	s_cbranch_vccnz .LBB942_1262
; %bb.16:
	s_cmp_ge_u32 s41, s42
	s_cbranch_scc1 .LBB942_1262
; %bb.17:
	v_and_b32_e32 v6, 0xe0, v0
	v_lshlrev_b32_e32 v43, 2, v0
	v_and_b32_e32 v5, 3, v0
	v_lshrrev_b32_e32 v8, 3, v0
	s_add_u32 s56, s4, 0x50
	v_min_u32_e32 v7, 0x60, v6
	v_mad_u32_u24 v64, v0, 12, v43
	v_lshlrev_b32_e32 v63, 2, v5
	v_mul_u32_u24_e32 v5, 17, v6
	v_or_b32_e32 v6, 31, v6
	v_or_b32_e32 v7, 31, v7
	v_add_nc_u32_e32 v68, v64, v43
	v_and_b32_e32 v62, 28, v8
	v_add_nc_u32_e32 v8, 1, v0
	v_cmp_eq_u32_e64 s4, v0, v6
	v_cmp_eq_u32_e64 s9, v0, v7
	v_lshlrev_b32_e32 v7, 4, v0
	v_lshlrev_b32_e32 v6, 3, v5
	;; [unrolled: 1-line block ×3, first 2 shown]
	v_mul_u32_u24_e32 v70, 36, v8
	v_cmp_ne_u32_e64 s14, 0x80, v8
	v_sub_nc_u32_e32 v69, v68, v7
	v_lshlrev_b32_e32 v7, 1, v5
	v_add_co_u32 v8, s15, s54, v6
	v_add_co_ci_u32_e64 v9, null, s55, 0, s15
	v_add_co_u32 v72, s15, s48, v7
	v_add_co_ci_u32_e64 v73, null, s49, 0, s15
	v_add_co_u32 v76, s15, s46, v3
	v_mbcnt_lo_u32_b32 v86, -1, 0
	v_add_co_ci_u32_e64 v77, null, s47, 0, s15
	v_add_co_u32 v78, s15, s52, v6
	v_add_co_ci_u32_e64 v79, null, s53, 0, s15
	v_add_co_u32 v80, s15, s46, v7
	v_lshlrev_b32_e32 v97, 3, v86
	v_add_co_ci_u32_e64 v81, null, s47, 0, s15
	v_add_co_u32 v82, s15, s44, v3
	v_or_b32_e32 v49, 0x400, v0
	v_or_b32_e32 v50, 0x500, v0
	;; [unrolled: 1-line block ×13, first 2 shown]
	v_lshl_add_u32 v71, v0, 5, v69
	v_or_b32_e32 v94, v86, v5
	v_add_co_ci_u32_e64 v83, null, s45, 0, s15
	v_add_co_u32 v84, s15, s50, v6
	v_add_co_u32 v45, s8, s48, v3
	v_add_co_ci_u32_e64 v85, null, s51, 0, s15
	v_add_co_u32 v87, s15, s44, v7
	v_add_co_u32 v123, vcc_lo, v8, v97
	v_mov_b32_e32 v4, 0
	v_or_b32_e32 v44, 0x100, v0
	v_add_co_ci_u32_e64 v46, null, s49, 0, s8
	v_or_b32_e32 v47, 0x200, v0
	v_or_b32_e32 v48, 0x300, v0
	v_cmp_gt_u32_e64 s8, 0x80, v0
	v_or_b32_e32 v65, 0x8a00, v62
	v_cmp_gt_u32_e64 s10, 4, v0
	v_add_nc_u32_e32 v66, 0x8a00, v43
	v_cmp_lt_u32_e64 s11, 31, v0
	v_add_nc_u32_e32 v67, 0x89fc, v62
	v_cmp_gt_u32_e64 s12, 8, v0
	v_cmp_eq_u32_e64 s13, 0, v0
	v_mad_i32_i24 v74, 0xffffffde, v0, v71
	v_mul_u32_u24_e32 v75, 6, v0
	v_add_co_ci_u32_e64 v88, null, s45, 0, s15
	v_mov_b32_e32 v89, 1
	v_and_b32_e32 v90, 15, v86
	v_bfe_i32 v91, v86, 4, 1
	v_and_b32_e32 v92, 16, v86
	v_and_b32_e32 v93, 3, v86
	v_sub_co_u32 v95, s15, v86, 1
	v_and_b32_e32 v96, 7, v86
	v_add_nc_u32_e32 v98, 32, v94
	v_add_nc_u32_e32 v99, 64, v94
	;; [unrolled: 1-line block ×11, first 2 shown]
	v_lshlrev_b32_e32 v109, 1, v0
	v_lshlrev_b32_e32 v110, 1, v49
	;; [unrolled: 1-line block ×14, first 2 shown]
	v_add_co_ci_u32_e64 v124, null, 0, v9, vcc_lo
	s_addc_u32 s57, s5, 0
	s_mov_b32 s51, 0
	s_mov_b32 s61, s41
	s_branch .LBB942_20
.LBB942_18:                             ;   in Loop: Header=BB942_20 Depth=1
	s_waitcnt lgkmcnt(0)
	s_barrier
.LBB942_19:                             ;   in Loop: Header=BB942_20 Depth=1
	s_add_i32 s61, s61, 7
	buffer_gl0_inv
	s_cmp_ge_u32 s61, s42
	s_cbranch_scc1 .LBB942_1262
.LBB942_20:                             ; =>This Loop Header: Depth=1
                                        ;     Child Loop BB942_24 Depth 2
                                        ;     Child Loop BB942_108 Depth 2
	;; [unrolled: 1-line block ×8, first 2 shown]
	s_sub_i32 s5, s42, s61
	s_xor_b32 s43, s43, -1
	s_min_u32 s5, s5, 7
	ds_write2st64_b32 v43, v4, v4 offset1:4
	s_lshl_b32 s5, -1, s5
	s_waitcnt lgkmcnt(0)
	s_waitcnt_vscnt null, 0x0
	s_not_b32 s62, s5
	s_cmp_lg_u32 s61, s41
	s_mov_b32 s5, -1
	s_cbranch_scc0 .LBB942_642
; %bb.21:                               ;   in Loop: Header=BB942_20 Depth=1
	s_and_b32 vcc_lo, exec_lo, s43
	s_cbranch_vccz .LBB942_331
; %bb.22:                               ;   in Loop: Header=BB942_20 Depth=1
	s_mov_b32 s5, s60
	s_mov_b32 s50, s58
	s_barrier
	buffer_gl0_inv
                                        ; implicit-def: $vgpr3
                                        ; implicit-def: $vgpr5
                                        ; implicit-def: $vgpr6
                                        ; implicit-def: $vgpr7
                                        ; implicit-def: $vgpr8
                                        ; implicit-def: $vgpr9
                                        ; implicit-def: $vgpr10
                                        ; implicit-def: $vgpr11
                                        ; implicit-def: $vgpr12
                                        ; implicit-def: $vgpr13
                                        ; implicit-def: $vgpr14
                                        ; implicit-def: $vgpr15
                                        ; implicit-def: $vgpr16
                                        ; implicit-def: $vgpr17
                                        ; implicit-def: $vgpr18
                                        ; implicit-def: $vgpr19
                                        ; implicit-def: $vgpr20
	s_branch .LBB942_24
.LBB942_23:                             ;   in Loop: Header=BB942_24 Depth=2
	s_or_b32 exec_lo, exec_lo, s16
	s_addk_i32 s5, 0xef00
	s_cmp_ge_u32 s18, s59
	s_mov_b32 s50, s18
	s_cbranch_scc1 .LBB942_96
.LBB942_24:                             ;   Parent Loop BB942_20 Depth=1
                                        ; =>  This Inner Loop Header: Depth=2
	s_add_i32 s18, s50, 0x1100
	s_mov_b32 s16, -1
	s_cmp_gt_u32 s18, s59
                                        ; implicit-def: $vgpr21
                                        ; implicit-def: $vgpr22
                                        ; implicit-def: $vgpr23
                                        ; implicit-def: $vgpr24
                                        ; implicit-def: $vgpr28
                                        ; implicit-def: $vgpr25
                                        ; implicit-def: $vgpr26
                                        ; implicit-def: $vgpr27
                                        ; implicit-def: $vgpr30
                                        ; implicit-def: $vgpr29
                                        ; implicit-def: $vgpr31
                                        ; implicit-def: $vgpr32
                                        ; implicit-def: $vgpr33
                                        ; implicit-def: $vgpr34
                                        ; implicit-def: $vgpr35
                                        ; implicit-def: $vgpr36
                                        ; implicit-def: $vgpr37
	s_cbranch_scc1 .LBB942_26
; %bb.25:                               ;   in Loop: Header=BB942_24 Depth=2
	s_lshl_b64 s[16:17], s[50:51], 1
	v_add_co_u32 v30, vcc_lo, v45, s16
	v_add_co_ci_u32_e64 v31, null, s17, v46, vcc_lo
	s_mov_b32 s16, 0
	v_add_co_u32 v27, vcc_lo, 0x800, v30
	v_add_co_ci_u32_e64 v28, null, 0, v31, vcc_lo
	v_add_co_u32 v32, vcc_lo, v30, 0x1000
	v_add_co_ci_u32_e64 v33, null, 0, v31, vcc_lo
	;; [unrolled: 2-line block ×5, first 2 shown]
	s_clause 0x10
	global_load_ushort v21, v[30:31], off
	global_load_ushort v22, v[30:31], off offset:512
	global_load_ushort v23, v[30:31], off offset:1024
	;; [unrolled: 1-line block ×7, first 2 shown]
	global_load_ushort v28, v[32:33], off offset:-2048
	global_load_ushort v30, v[32:33], off
	global_load_ushort v31, v[34:35], off offset:1024
	global_load_ushort v32, v[34:35], off offset:1536
	global_load_ushort v33, v[38:39], off offset:-2048
	global_load_ushort v34, v[36:37], off offset:512
	global_load_ushort v35, v[36:37], off offset:1024
	global_load_ushort v36, v[36:37], off offset:1536
	global_load_ushort v37, v[38:39], off
.LBB942_26:                             ;   in Loop: Header=BB942_24 Depth=2
	s_andn2_b32 vcc_lo, exec_lo, s16
	s_movk_i32 s16, 0x1100
	s_cbranch_vccnz .LBB942_46
; %bb.27:                               ;   in Loop: Header=BB942_24 Depth=2
	s_lshl_b64 s[16:17], s[50:51], 1
	s_mov_b32 s19, exec_lo
	s_add_u32 s16, s48, s16
	s_addc_u32 s17, s49, s17
	v_cmpx_gt_u32_e64 s5, v0
	s_cbranch_execnz .LBB942_80
; %bb.28:                               ;   in Loop: Header=BB942_24 Depth=2
	s_or_b32 exec_lo, exec_lo, s19
	s_mov_b32 s19, exec_lo
	v_cmpx_gt_u32_e64 s5, v44
	s_cbranch_execnz .LBB942_81
.LBB942_29:                             ;   in Loop: Header=BB942_24 Depth=2
	s_or_b32 exec_lo, exec_lo, s19
	s_mov_b32 s19, exec_lo
	v_cmpx_gt_u32_e64 s5, v47
	s_cbranch_execnz .LBB942_82
.LBB942_30:                             ;   in Loop: Header=BB942_24 Depth=2
	s_or_b32 exec_lo, exec_lo, s19
	s_mov_b32 s19, exec_lo
	v_cmpx_gt_u32_e64 s5, v48
	s_cbranch_execnz .LBB942_83
.LBB942_31:                             ;   in Loop: Header=BB942_24 Depth=2
	s_or_b32 exec_lo, exec_lo, s19
	s_mov_b32 s19, exec_lo
	v_cmpx_gt_u32_e64 s5, v49
	s_cbranch_execnz .LBB942_84
.LBB942_32:                             ;   in Loop: Header=BB942_24 Depth=2
	s_or_b32 exec_lo, exec_lo, s19
	s_mov_b32 s19, exec_lo
	v_cmpx_gt_u32_e64 s5, v50
	s_cbranch_execnz .LBB942_85
.LBB942_33:                             ;   in Loop: Header=BB942_24 Depth=2
	s_or_b32 exec_lo, exec_lo, s19
	s_mov_b32 s19, exec_lo
	v_cmpx_gt_u32_e64 s5, v51
	s_cbranch_execnz .LBB942_86
.LBB942_34:                             ;   in Loop: Header=BB942_24 Depth=2
	s_or_b32 exec_lo, exec_lo, s19
	s_mov_b32 s19, exec_lo
	v_cmpx_gt_u32_e64 s5, v52
	s_cbranch_execnz .LBB942_87
.LBB942_35:                             ;   in Loop: Header=BB942_24 Depth=2
	s_or_b32 exec_lo, exec_lo, s19
	s_mov_b32 s19, exec_lo
	v_cmpx_gt_u32_e64 s5, v53
	s_cbranch_execnz .LBB942_88
.LBB942_36:                             ;   in Loop: Header=BB942_24 Depth=2
	s_or_b32 exec_lo, exec_lo, s19
	s_mov_b32 s19, exec_lo
	v_cmpx_gt_u32_e64 s5, v54
	s_cbranch_execnz .LBB942_89
.LBB942_37:                             ;   in Loop: Header=BB942_24 Depth=2
	s_or_b32 exec_lo, exec_lo, s19
	s_mov_b32 s19, exec_lo
	v_cmpx_gt_u32_e64 s5, v55
	s_cbranch_execnz .LBB942_90
.LBB942_38:                             ;   in Loop: Header=BB942_24 Depth=2
	s_or_b32 exec_lo, exec_lo, s19
	s_mov_b32 s19, exec_lo
	v_cmpx_gt_u32_e64 s5, v56
	s_cbranch_execnz .LBB942_91
.LBB942_39:                             ;   in Loop: Header=BB942_24 Depth=2
	s_or_b32 exec_lo, exec_lo, s19
	s_mov_b32 s19, exec_lo
	v_cmpx_gt_u32_e64 s5, v57
	s_cbranch_execnz .LBB942_92
.LBB942_40:                             ;   in Loop: Header=BB942_24 Depth=2
	s_or_b32 exec_lo, exec_lo, s19
	s_mov_b32 s19, exec_lo
	v_cmpx_gt_u32_e64 s5, v58
	s_cbranch_execnz .LBB942_93
.LBB942_41:                             ;   in Loop: Header=BB942_24 Depth=2
	s_or_b32 exec_lo, exec_lo, s19
	s_mov_b32 s19, exec_lo
	v_cmpx_gt_u32_e64 s5, v59
	s_cbranch_execnz .LBB942_94
.LBB942_42:                             ;   in Loop: Header=BB942_24 Depth=2
	s_or_b32 exec_lo, exec_lo, s19
	s_mov_b32 s19, exec_lo
	v_cmpx_gt_u32_e64 s5, v60
	s_cbranch_execnz .LBB942_95
.LBB942_43:                             ;   in Loop: Header=BB942_24 Depth=2
	s_or_b32 exec_lo, exec_lo, s19
	s_mov_b32 s19, exec_lo
	v_cmpx_gt_u32_e64 s5, v61
	s_cbranch_execz .LBB942_45
.LBB942_44:                             ;   in Loop: Header=BB942_24 Depth=2
	global_load_ushort v3, v122, s[16:17]
.LBB942_45:                             ;   in Loop: Header=BB942_24 Depth=2
	s_or_b32 exec_lo, exec_lo, s19
	s_waitcnt vmcnt(0)
	v_mov_b32_e32 v21, v20
	v_mov_b32_e32 v22, v19
	;; [unrolled: 1-line block ×17, first 2 shown]
	s_mov_b32 s16, s5
.LBB942_46:                             ;   in Loop: Header=BB942_24 Depth=2
	s_waitcnt vmcnt(0)
	v_mov_b32_e32 v3, v37
	v_mov_b32_e32 v5, v36
	;; [unrolled: 1-line block ×17, first 2 shown]
	s_mov_b32 s17, exec_lo
	v_cmpx_gt_u32_e64 s16, v0
	s_cbranch_execnz .LBB942_63
; %bb.47:                               ;   in Loop: Header=BB942_24 Depth=2
	s_or_b32 exec_lo, exec_lo, s17
	s_mov_b32 s17, exec_lo
	v_cmpx_gt_u32_e64 s16, v44
	s_cbranch_execnz .LBB942_64
.LBB942_48:                             ;   in Loop: Header=BB942_24 Depth=2
	s_or_b32 exec_lo, exec_lo, s17
	s_mov_b32 s17, exec_lo
	v_cmpx_gt_u32_e64 s16, v47
	s_cbranch_execnz .LBB942_65
.LBB942_49:                             ;   in Loop: Header=BB942_24 Depth=2
	s_or_b32 exec_lo, exec_lo, s17
	s_mov_b32 s17, exec_lo
	v_cmpx_gt_u32_e64 s16, v48
	s_cbranch_execnz .LBB942_66
.LBB942_50:                             ;   in Loop: Header=BB942_24 Depth=2
	s_or_b32 exec_lo, exec_lo, s17
	s_mov_b32 s17, exec_lo
	v_cmpx_gt_u32_e64 s16, v49
	s_cbranch_execnz .LBB942_67
.LBB942_51:                             ;   in Loop: Header=BB942_24 Depth=2
	s_or_b32 exec_lo, exec_lo, s17
	s_mov_b32 s17, exec_lo
	v_cmpx_gt_u32_e64 s16, v50
	s_cbranch_execnz .LBB942_68
.LBB942_52:                             ;   in Loop: Header=BB942_24 Depth=2
	s_or_b32 exec_lo, exec_lo, s17
	s_mov_b32 s17, exec_lo
	v_cmpx_gt_u32_e64 s16, v51
	s_cbranch_execnz .LBB942_69
.LBB942_53:                             ;   in Loop: Header=BB942_24 Depth=2
	s_or_b32 exec_lo, exec_lo, s17
	s_mov_b32 s17, exec_lo
	v_cmpx_gt_u32_e64 s16, v52
	s_cbranch_execnz .LBB942_70
.LBB942_54:                             ;   in Loop: Header=BB942_24 Depth=2
	s_or_b32 exec_lo, exec_lo, s17
	s_mov_b32 s17, exec_lo
	v_cmpx_gt_u32_e64 s16, v53
	s_cbranch_execnz .LBB942_71
.LBB942_55:                             ;   in Loop: Header=BB942_24 Depth=2
	s_or_b32 exec_lo, exec_lo, s17
	s_mov_b32 s17, exec_lo
	v_cmpx_gt_u32_e64 s16, v54
	s_cbranch_execnz .LBB942_72
.LBB942_56:                             ;   in Loop: Header=BB942_24 Depth=2
	s_or_b32 exec_lo, exec_lo, s17
	s_mov_b32 s17, exec_lo
	v_cmpx_gt_u32_e64 s16, v55
	s_cbranch_execnz .LBB942_73
.LBB942_57:                             ;   in Loop: Header=BB942_24 Depth=2
	s_or_b32 exec_lo, exec_lo, s17
	s_mov_b32 s17, exec_lo
	v_cmpx_gt_u32_e64 s16, v56
	s_cbranch_execnz .LBB942_74
.LBB942_58:                             ;   in Loop: Header=BB942_24 Depth=2
	s_or_b32 exec_lo, exec_lo, s17
	s_mov_b32 s17, exec_lo
	v_cmpx_gt_u32_e64 s16, v57
	s_cbranch_execnz .LBB942_75
.LBB942_59:                             ;   in Loop: Header=BB942_24 Depth=2
	s_or_b32 exec_lo, exec_lo, s17
	s_mov_b32 s17, exec_lo
	v_cmpx_gt_u32_e64 s16, v58
	s_cbranch_execnz .LBB942_76
.LBB942_60:                             ;   in Loop: Header=BB942_24 Depth=2
	s_or_b32 exec_lo, exec_lo, s17
	s_mov_b32 s17, exec_lo
	v_cmpx_gt_u32_e64 s16, v59
	s_cbranch_execnz .LBB942_77
.LBB942_61:                             ;   in Loop: Header=BB942_24 Depth=2
	s_or_b32 exec_lo, exec_lo, s17
	s_mov_b32 s17, exec_lo
	v_cmpx_gt_u32_e64 s16, v60
	s_cbranch_execnz .LBB942_78
.LBB942_62:                             ;   in Loop: Header=BB942_24 Depth=2
	s_or_b32 exec_lo, exec_lo, s17
	v_cmp_gt_u32_e32 vcc_lo, s16, v61
	s_and_saveexec_b32 s16, vcc_lo
	s_cbranch_execz .LBB942_23
	s_branch .LBB942_79
.LBB942_63:                             ;   in Loop: Header=BB942_24 Depth=2
	v_xor_b32_e32 v21, 0x7fff, v20
	v_lshrrev_b32_sdwa v21, s61, v21 dst_sel:DWORD dst_unused:UNUSED_PAD src0_sel:DWORD src1_sel:WORD_0
	v_and_b32_e32 v21, s62, v21
	v_lshl_or_b32 v21, v21, 4, v63
	ds_add_u32 v21, v89
	s_or_b32 exec_lo, exec_lo, s17
	s_mov_b32 s17, exec_lo
	v_cmpx_gt_u32_e64 s16, v44
	s_cbranch_execz .LBB942_48
.LBB942_64:                             ;   in Loop: Header=BB942_24 Depth=2
	v_xor_b32_e32 v21, 0x7fff, v19
	v_lshrrev_b32_sdwa v21, s61, v21 dst_sel:DWORD dst_unused:UNUSED_PAD src0_sel:DWORD src1_sel:WORD_0
	v_and_b32_e32 v21, s62, v21
	v_lshl_or_b32 v21, v21, 4, v63
	ds_add_u32 v21, v89
	s_or_b32 exec_lo, exec_lo, s17
	s_mov_b32 s17, exec_lo
	v_cmpx_gt_u32_e64 s16, v47
	s_cbranch_execz .LBB942_49
.LBB942_65:                             ;   in Loop: Header=BB942_24 Depth=2
	v_xor_b32_e32 v21, 0x7fff, v18
	v_lshrrev_b32_sdwa v21, s61, v21 dst_sel:DWORD dst_unused:UNUSED_PAD src0_sel:DWORD src1_sel:WORD_0
	v_and_b32_e32 v21, s62, v21
	v_lshl_or_b32 v21, v21, 4, v63
	ds_add_u32 v21, v89
	s_or_b32 exec_lo, exec_lo, s17
	s_mov_b32 s17, exec_lo
	v_cmpx_gt_u32_e64 s16, v48
	s_cbranch_execz .LBB942_50
.LBB942_66:                             ;   in Loop: Header=BB942_24 Depth=2
	v_xor_b32_e32 v21, 0x7fff, v17
	v_lshrrev_b32_sdwa v21, s61, v21 dst_sel:DWORD dst_unused:UNUSED_PAD src0_sel:DWORD src1_sel:WORD_0
	v_and_b32_e32 v21, s62, v21
	v_lshl_or_b32 v21, v21, 4, v63
	ds_add_u32 v21, v89
	s_or_b32 exec_lo, exec_lo, s17
	s_mov_b32 s17, exec_lo
	v_cmpx_gt_u32_e64 s16, v49
	s_cbranch_execz .LBB942_51
.LBB942_67:                             ;   in Loop: Header=BB942_24 Depth=2
	v_xor_b32_e32 v21, 0x7fff, v16
	v_lshrrev_b32_sdwa v21, s61, v21 dst_sel:DWORD dst_unused:UNUSED_PAD src0_sel:DWORD src1_sel:WORD_0
	v_and_b32_e32 v21, s62, v21
	v_lshl_or_b32 v21, v21, 4, v63
	ds_add_u32 v21, v89
	s_or_b32 exec_lo, exec_lo, s17
	s_mov_b32 s17, exec_lo
	v_cmpx_gt_u32_e64 s16, v50
	s_cbranch_execz .LBB942_52
.LBB942_68:                             ;   in Loop: Header=BB942_24 Depth=2
	v_xor_b32_e32 v21, 0x7fff, v15
	v_lshrrev_b32_sdwa v21, s61, v21 dst_sel:DWORD dst_unused:UNUSED_PAD src0_sel:DWORD src1_sel:WORD_0
	v_and_b32_e32 v21, s62, v21
	v_lshl_or_b32 v21, v21, 4, v63
	ds_add_u32 v21, v89
	s_or_b32 exec_lo, exec_lo, s17
	s_mov_b32 s17, exec_lo
	v_cmpx_gt_u32_e64 s16, v51
	s_cbranch_execz .LBB942_53
.LBB942_69:                             ;   in Loop: Header=BB942_24 Depth=2
	v_xor_b32_e32 v21, 0x7fff, v14
	v_lshrrev_b32_sdwa v21, s61, v21 dst_sel:DWORD dst_unused:UNUSED_PAD src0_sel:DWORD src1_sel:WORD_0
	v_and_b32_e32 v21, s62, v21
	v_lshl_or_b32 v21, v21, 4, v63
	ds_add_u32 v21, v89
	s_or_b32 exec_lo, exec_lo, s17
	s_mov_b32 s17, exec_lo
	v_cmpx_gt_u32_e64 s16, v52
	s_cbranch_execz .LBB942_54
.LBB942_70:                             ;   in Loop: Header=BB942_24 Depth=2
	v_xor_b32_e32 v21, 0x7fff, v13
	v_lshrrev_b32_sdwa v21, s61, v21 dst_sel:DWORD dst_unused:UNUSED_PAD src0_sel:DWORD src1_sel:WORD_0
	v_and_b32_e32 v21, s62, v21
	v_lshl_or_b32 v21, v21, 4, v63
	ds_add_u32 v21, v89
	s_or_b32 exec_lo, exec_lo, s17
	s_mov_b32 s17, exec_lo
	v_cmpx_gt_u32_e64 s16, v53
	s_cbranch_execz .LBB942_55
.LBB942_71:                             ;   in Loop: Header=BB942_24 Depth=2
	v_xor_b32_e32 v21, 0x7fff, v12
	v_lshrrev_b32_sdwa v21, s61, v21 dst_sel:DWORD dst_unused:UNUSED_PAD src0_sel:DWORD src1_sel:WORD_0
	v_and_b32_e32 v21, s62, v21
	v_lshl_or_b32 v21, v21, 4, v63
	ds_add_u32 v21, v89
	s_or_b32 exec_lo, exec_lo, s17
	s_mov_b32 s17, exec_lo
	v_cmpx_gt_u32_e64 s16, v54
	s_cbranch_execz .LBB942_56
.LBB942_72:                             ;   in Loop: Header=BB942_24 Depth=2
	v_xor_b32_e32 v21, 0x7fff, v11
	v_lshrrev_b32_sdwa v21, s61, v21 dst_sel:DWORD dst_unused:UNUSED_PAD src0_sel:DWORD src1_sel:WORD_0
	v_and_b32_e32 v21, s62, v21
	v_lshl_or_b32 v21, v21, 4, v63
	ds_add_u32 v21, v89
	s_or_b32 exec_lo, exec_lo, s17
	s_mov_b32 s17, exec_lo
	v_cmpx_gt_u32_e64 s16, v55
	s_cbranch_execz .LBB942_57
.LBB942_73:                             ;   in Loop: Header=BB942_24 Depth=2
	v_xor_b32_e32 v21, 0x7fff, v10
	v_lshrrev_b32_sdwa v21, s61, v21 dst_sel:DWORD dst_unused:UNUSED_PAD src0_sel:DWORD src1_sel:WORD_0
	v_and_b32_e32 v21, s62, v21
	v_lshl_or_b32 v21, v21, 4, v63
	ds_add_u32 v21, v89
	s_or_b32 exec_lo, exec_lo, s17
	s_mov_b32 s17, exec_lo
	v_cmpx_gt_u32_e64 s16, v56
	s_cbranch_execz .LBB942_58
.LBB942_74:                             ;   in Loop: Header=BB942_24 Depth=2
	v_xor_b32_e32 v21, 0x7fff, v9
	v_lshrrev_b32_sdwa v21, s61, v21 dst_sel:DWORD dst_unused:UNUSED_PAD src0_sel:DWORD src1_sel:WORD_0
	v_and_b32_e32 v21, s62, v21
	v_lshl_or_b32 v21, v21, 4, v63
	ds_add_u32 v21, v89
	s_or_b32 exec_lo, exec_lo, s17
	s_mov_b32 s17, exec_lo
	v_cmpx_gt_u32_e64 s16, v57
	s_cbranch_execz .LBB942_59
.LBB942_75:                             ;   in Loop: Header=BB942_24 Depth=2
	v_xor_b32_e32 v21, 0x7fff, v8
	v_lshrrev_b32_sdwa v21, s61, v21 dst_sel:DWORD dst_unused:UNUSED_PAD src0_sel:DWORD src1_sel:WORD_0
	v_and_b32_e32 v21, s62, v21
	v_lshl_or_b32 v21, v21, 4, v63
	ds_add_u32 v21, v89
	s_or_b32 exec_lo, exec_lo, s17
	s_mov_b32 s17, exec_lo
	v_cmpx_gt_u32_e64 s16, v58
	s_cbranch_execz .LBB942_60
.LBB942_76:                             ;   in Loop: Header=BB942_24 Depth=2
	v_xor_b32_e32 v21, 0x7fff, v7
	v_lshrrev_b32_sdwa v21, s61, v21 dst_sel:DWORD dst_unused:UNUSED_PAD src0_sel:DWORD src1_sel:WORD_0
	v_and_b32_e32 v21, s62, v21
	v_lshl_or_b32 v21, v21, 4, v63
	ds_add_u32 v21, v89
	s_or_b32 exec_lo, exec_lo, s17
	s_mov_b32 s17, exec_lo
	v_cmpx_gt_u32_e64 s16, v59
	s_cbranch_execz .LBB942_61
.LBB942_77:                             ;   in Loop: Header=BB942_24 Depth=2
	v_xor_b32_e32 v21, 0x7fff, v6
	v_lshrrev_b32_sdwa v21, s61, v21 dst_sel:DWORD dst_unused:UNUSED_PAD src0_sel:DWORD src1_sel:WORD_0
	v_and_b32_e32 v21, s62, v21
	v_lshl_or_b32 v21, v21, 4, v63
	ds_add_u32 v21, v89
	s_or_b32 exec_lo, exec_lo, s17
	s_mov_b32 s17, exec_lo
	v_cmpx_gt_u32_e64 s16, v60
	s_cbranch_execz .LBB942_62
.LBB942_78:                             ;   in Loop: Header=BB942_24 Depth=2
	v_xor_b32_e32 v21, 0x7fff, v5
	v_lshrrev_b32_sdwa v21, s61, v21 dst_sel:DWORD dst_unused:UNUSED_PAD src0_sel:DWORD src1_sel:WORD_0
	v_and_b32_e32 v21, s62, v21
	v_lshl_or_b32 v21, v21, 4, v63
	ds_add_u32 v21, v89
	s_or_b32 exec_lo, exec_lo, s17
	v_cmp_gt_u32_e32 vcc_lo, s16, v61
	s_and_saveexec_b32 s16, vcc_lo
	s_cbranch_execz .LBB942_23
.LBB942_79:                             ;   in Loop: Header=BB942_24 Depth=2
	v_xor_b32_e32 v21, 0x7fff, v3
	v_lshrrev_b32_sdwa v21, s61, v21 dst_sel:DWORD dst_unused:UNUSED_PAD src0_sel:DWORD src1_sel:WORD_0
	v_and_b32_e32 v21, s62, v21
	v_lshl_or_b32 v21, v21, 4, v63
	ds_add_u32 v21, v89
	s_branch .LBB942_23
.LBB942_80:                             ;   in Loop: Header=BB942_24 Depth=2
	global_load_ushort v20, v109, s[16:17]
	s_or_b32 exec_lo, exec_lo, s19
	s_mov_b32 s19, exec_lo
	v_cmpx_gt_u32_e64 s5, v44
	s_cbranch_execz .LBB942_29
.LBB942_81:                             ;   in Loop: Header=BB942_24 Depth=2
	global_load_ushort v19, v109, s[16:17] offset:512
	s_or_b32 exec_lo, exec_lo, s19
	s_mov_b32 s19, exec_lo
	v_cmpx_gt_u32_e64 s5, v47
	s_cbranch_execz .LBB942_30
.LBB942_82:                             ;   in Loop: Header=BB942_24 Depth=2
	global_load_ushort v18, v109, s[16:17] offset:1024
	s_or_b32 exec_lo, exec_lo, s19
	s_mov_b32 s19, exec_lo
	v_cmpx_gt_u32_e64 s5, v48
	s_cbranch_execz .LBB942_31
.LBB942_83:                             ;   in Loop: Header=BB942_24 Depth=2
	global_load_ushort v17, v109, s[16:17] offset:1536
	s_or_b32 exec_lo, exec_lo, s19
	s_mov_b32 s19, exec_lo
	v_cmpx_gt_u32_e64 s5, v49
	s_cbranch_execz .LBB942_32
.LBB942_84:                             ;   in Loop: Header=BB942_24 Depth=2
	global_load_ushort v16, v110, s[16:17]
	s_or_b32 exec_lo, exec_lo, s19
	s_mov_b32 s19, exec_lo
	v_cmpx_gt_u32_e64 s5, v50
	s_cbranch_execz .LBB942_33
.LBB942_85:                             ;   in Loop: Header=BB942_24 Depth=2
	global_load_ushort v15, v111, s[16:17]
	s_or_b32 exec_lo, exec_lo, s19
	s_mov_b32 s19, exec_lo
	v_cmpx_gt_u32_e64 s5, v51
	s_cbranch_execz .LBB942_34
.LBB942_86:                             ;   in Loop: Header=BB942_24 Depth=2
	global_load_ushort v14, v112, s[16:17]
	s_or_b32 exec_lo, exec_lo, s19
	s_mov_b32 s19, exec_lo
	v_cmpx_gt_u32_e64 s5, v52
	s_cbranch_execz .LBB942_35
.LBB942_87:                             ;   in Loop: Header=BB942_24 Depth=2
	global_load_ushort v13, v113, s[16:17]
	s_or_b32 exec_lo, exec_lo, s19
	s_mov_b32 s19, exec_lo
	v_cmpx_gt_u32_e64 s5, v53
	s_cbranch_execz .LBB942_36
.LBB942_88:                             ;   in Loop: Header=BB942_24 Depth=2
	global_load_ushort v12, v114, s[16:17]
	s_or_b32 exec_lo, exec_lo, s19
	s_mov_b32 s19, exec_lo
	v_cmpx_gt_u32_e64 s5, v54
	s_cbranch_execz .LBB942_37
.LBB942_89:                             ;   in Loop: Header=BB942_24 Depth=2
	global_load_ushort v11, v115, s[16:17]
	s_or_b32 exec_lo, exec_lo, s19
	s_mov_b32 s19, exec_lo
	v_cmpx_gt_u32_e64 s5, v55
	s_cbranch_execz .LBB942_38
.LBB942_90:                             ;   in Loop: Header=BB942_24 Depth=2
	global_load_ushort v10, v116, s[16:17]
	s_or_b32 exec_lo, exec_lo, s19
	s_mov_b32 s19, exec_lo
	v_cmpx_gt_u32_e64 s5, v56
	s_cbranch_execz .LBB942_39
.LBB942_91:                             ;   in Loop: Header=BB942_24 Depth=2
	global_load_ushort v9, v117, s[16:17]
	s_or_b32 exec_lo, exec_lo, s19
	s_mov_b32 s19, exec_lo
	v_cmpx_gt_u32_e64 s5, v57
	s_cbranch_execz .LBB942_40
.LBB942_92:                             ;   in Loop: Header=BB942_24 Depth=2
	global_load_ushort v8, v118, s[16:17]
	s_or_b32 exec_lo, exec_lo, s19
	s_mov_b32 s19, exec_lo
	v_cmpx_gt_u32_e64 s5, v58
	s_cbranch_execz .LBB942_41
.LBB942_93:                             ;   in Loop: Header=BB942_24 Depth=2
	global_load_ushort v7, v119, s[16:17]
	s_or_b32 exec_lo, exec_lo, s19
	s_mov_b32 s19, exec_lo
	v_cmpx_gt_u32_e64 s5, v59
	s_cbranch_execz .LBB942_42
.LBB942_94:                             ;   in Loop: Header=BB942_24 Depth=2
	global_load_ushort v6, v120, s[16:17]
	s_or_b32 exec_lo, exec_lo, s19
	s_mov_b32 s19, exec_lo
	v_cmpx_gt_u32_e64 s5, v60
	s_cbranch_execz .LBB942_43
.LBB942_95:                             ;   in Loop: Header=BB942_24 Depth=2
	global_load_ushort v5, v121, s[16:17]
	s_or_b32 exec_lo, exec_lo, s19
	s_mov_b32 s19, exec_lo
	v_cmpx_gt_u32_e64 s5, v61
	s_cbranch_execnz .LBB942_44
	s_branch .LBB942_45
.LBB942_96:                             ;   in Loop: Header=BB942_20 Depth=1
	v_mov_b32_e32 v3, 0
	s_waitcnt lgkmcnt(0)
	s_barrier
	buffer_gl0_inv
	s_and_saveexec_b32 s5, s8
	s_cbranch_execz .LBB942_98
; %bb.97:                               ;   in Loop: Header=BB942_20 Depth=1
	ds_read2_b64 v[5:8], v64 offset1:1
	s_waitcnt lgkmcnt(0)
	v_add_nc_u32_e32 v3, v6, v5
	v_add3_u32 v3, v3, v7, v8
.LBB942_98:                             ;   in Loop: Header=BB942_20 Depth=1
	s_or_b32 exec_lo, exec_lo, s5
	v_mov_b32_dpp v5, v3 row_shr:1 row_mask:0xf bank_mask:0xf
	v_cmp_eq_u32_e64 s5, 0, v90
	v_cmp_lt_u32_e64 s16, 1, v90
	v_cmp_lt_u32_e64 s17, 3, v90
	;; [unrolled: 1-line block ×3, first 2 shown]
	v_cmp_eq_u32_e64 s19, 0, v92
	v_cndmask_b32_e64 v5, v5, 0, s5
	v_add_nc_u32_e32 v3, v5, v3
	v_mov_b32_dpp v5, v3 row_shr:2 row_mask:0xf bank_mask:0xf
	v_cndmask_b32_e64 v5, 0, v5, s16
	v_add_nc_u32_e32 v3, v3, v5
	v_mov_b32_dpp v5, v3 row_shr:4 row_mask:0xf bank_mask:0xf
	v_cndmask_b32_e64 v5, 0, v5, s17
	v_add_nc_u32_e32 v3, v3, v5
	v_mov_b32_dpp v5, v3 row_shr:8 row_mask:0xf bank_mask:0xf
	v_cndmask_b32_e64 v5, 0, v5, s18
	v_add_nc_u32_e32 v3, v3, v5
	ds_swizzle_b32 v5, v3 offset:swizzle(BROADCAST,32,15)
	s_waitcnt lgkmcnt(0)
	v_and_b32_e32 v5, v91, v5
	v_add_nc_u32_e32 v3, v3, v5
	s_and_saveexec_b32 s20, s9
; %bb.99:                               ;   in Loop: Header=BB942_20 Depth=1
	ds_write_b32 v65, v3
; %bb.100:                              ;   in Loop: Header=BB942_20 Depth=1
	s_or_b32 exec_lo, exec_lo, s20
	s_waitcnt lgkmcnt(0)
	s_barrier
	buffer_gl0_inv
	s_and_saveexec_b32 s20, s10
	s_cbranch_execz .LBB942_102
; %bb.101:                              ;   in Loop: Header=BB942_20 Depth=1
	ds_read_b32 v5, v66
	v_cmp_ne_u32_e32 vcc_lo, 0, v93
	s_waitcnt lgkmcnt(0)
	v_mov_b32_dpp v6, v5 row_shr:1 row_mask:0xf bank_mask:0xf
	v_cndmask_b32_e32 v6, 0, v6, vcc_lo
	v_cmp_lt_u32_e32 vcc_lo, 1, v93
	v_add_nc_u32_e32 v5, v6, v5
	v_mov_b32_dpp v6, v5 row_shr:2 row_mask:0xf bank_mask:0xf
	v_cndmask_b32_e32 v6, 0, v6, vcc_lo
	v_add_nc_u32_e32 v5, v5, v6
	ds_write_b32 v66, v5
.LBB942_102:                            ;   in Loop: Header=BB942_20 Depth=1
	s_or_b32 exec_lo, exec_lo, s20
	v_mov_b32_e32 v5, 0
	s_waitcnt lgkmcnt(0)
	s_barrier
	buffer_gl0_inv
	s_and_saveexec_b32 s20, s11
; %bb.103:                              ;   in Loop: Header=BB942_20 Depth=1
	ds_read_b32 v5, v67
; %bb.104:                              ;   in Loop: Header=BB942_20 Depth=1
	s_or_b32 exec_lo, exec_lo, s20
	v_cmp_gt_i32_e32 vcc_lo, 0, v95
	s_waitcnt lgkmcnt(0)
	v_add_nc_u32_e32 v3, v5, v3
	s_barrier
	buffer_gl0_inv
	v_cndmask_b32_e32 v6, v95, v86, vcc_lo
	v_lshlrev_b32_e32 v125, 2, v6
	ds_bpermute_b32 v3, v125, v3
	s_and_saveexec_b32 s20, s8
	s_cbranch_execz .LBB942_106
; %bb.105:                              ;   in Loop: Header=BB942_20 Depth=1
	s_waitcnt lgkmcnt(0)
	v_cndmask_b32_e64 v3, v3, v5, s15
	v_add_nc_u32_e32 v3, s58, v3
	ds_write_b32 v43, v3
.LBB942_106:                            ;   in Loop: Header=BB942_20 Depth=1
	s_or_b32 exec_lo, exec_lo, s20
	s_clause 0x1
	s_load_dword s20, s[56:57], 0x4
	s_load_dword s22, s[56:57], 0xc
	v_add_nc_u32_e32 v126, 0x180, v94
	v_add_nc_u32_e32 v127, 0x1a0, v94
	;; [unrolled: 1-line block ×5, first 2 shown]
	s_mov_b32 s63, s60
	s_mov_b32 s50, s58
                                        ; implicit-def: $vgpr7_vgpr8
                                        ; implicit-def: $vgpr9_vgpr10
                                        ; implicit-def: $vgpr11_vgpr12
                                        ; implicit-def: $vgpr13_vgpr14
                                        ; implicit-def: $vgpr15_vgpr16
                                        ; implicit-def: $vgpr19_vgpr20
                                        ; implicit-def: $vgpr23_vgpr24
                                        ; implicit-def: $vgpr27_vgpr28
                                        ; implicit-def: $vgpr17_vgpr18
                                        ; implicit-def: $vgpr21_vgpr22
                                        ; implicit-def: $vgpr25_vgpr26
                                        ; implicit-def: $vgpr29_vgpr30
                                        ; implicit-def: $vgpr31_vgpr32
                                        ; implicit-def: $vgpr33_vgpr34
                                        ; implicit-def: $vgpr35_vgpr36
                                        ; implicit-def: $vgpr37_vgpr38
                                        ; implicit-def: $vgpr134
                                        ; implicit-def: $vgpr135
                                        ; implicit-def: $vgpr136
                                        ; implicit-def: $vgpr137
                                        ; implicit-def: $vgpr138
                                        ; implicit-def: $vgpr139
                                        ; implicit-def: $vgpr140
                                        ; implicit-def: $vgpr141
                                        ; implicit-def: $vgpr142
                                        ; implicit-def: $vgpr143
                                        ; implicit-def: $vgpr144
                                        ; implicit-def: $vgpr145
                                        ; implicit-def: $vgpr146
                                        ; implicit-def: $vgpr147
                                        ; implicit-def: $vgpr148
                                        ; implicit-def: $vgpr150
                                        ; implicit-def: $vgpr151
                                        ; implicit-def: $vgpr149
                                        ; implicit-def: $vgpr152
	s_waitcnt lgkmcnt(0)
	s_cmp_lt_u32 s7, s20
	s_cselect_b32 s20, 14, 20
	s_add_u32 s20, s56, s20
	s_addc_u32 s21, s57, 0
	global_load_ushort v3, v4, s[20:21]
	s_and_b32 s21, s22, 0xffff
	v_cmp_eq_u32_e64 s20, 0, v96
	v_cmp_lt_u32_e64 s22, 3, v96
	s_waitcnt vmcnt(0)
	v_mad_u32_u24 v3, v2, v3, v1
	v_mad_u64_u32 v[5:6], null, v3, s21, v[0:1]
	v_lshlrev_b32_e32 v3, 1, v86
	v_cmp_lt_u32_e64 s21, 1, v96
	v_add_co_u32 v131, vcc_lo, v72, v3
	v_lshrrev_b32_e32 v5, 3, v5
	v_add_co_ci_u32_e64 v132, null, 0, v73, vcc_lo
	v_and_b32_e32 v133, 0x1ffffffc, v5
                                        ; implicit-def: $vgpr5_vgpr6
	s_branch .LBB942_108
.LBB942_107:                            ;   in Loop: Header=BB942_108 Depth=2
	s_or_b32 exec_lo, exec_lo, s23
	s_addk_i32 s63, 0xef00
	s_cmp_lt_u32 s64, s59
	s_mov_b32 s50, s64
	s_cbranch_scc0 .LBB942_330
.LBB942_108:                            ;   Parent Loop BB942_20 Depth=1
                                        ; =>  This Inner Loop Header: Depth=2
	s_add_i32 s64, s50, 0x1100
	s_cmp_gt_u32 s64, s59
	s_cbranch_scc1 .LBB942_110
; %bb.109:                              ;   in Loop: Header=BB942_108 Depth=2
	s_lshl_b64 s[24:25], s[50:51], 1
	s_mov_b32 s23, -1
	v_add_co_u32 v39, vcc_lo, v131, s24
	v_add_co_ci_u32_e64 v40, null, s25, v132, vcc_lo
	s_clause 0xf
	global_load_ushort v154, v[39:40], off
	global_load_ushort v155, v[39:40], off offset:64
	global_load_ushort v158, v[39:40], off offset:128
	;; [unrolled: 1-line block ×15, first 2 shown]
	s_movk_i32 s24, 0x1100
	s_cbranch_execz .LBB942_111
	s_branch .LBB942_144
.LBB942_110:                            ;   in Loop: Header=BB942_108 Depth=2
	s_mov_b32 s23, 0
                                        ; implicit-def: $vgpr154
                                        ; implicit-def: $vgpr155
                                        ; implicit-def: $vgpr158
                                        ; implicit-def: $vgpr162
                                        ; implicit-def: $vgpr167
                                        ; implicit-def: $vgpr172
                                        ; implicit-def: $vgpr177
                                        ; implicit-def: $vgpr182
                                        ; implicit-def: $vgpr187
                                        ; implicit-def: $vgpr185
                                        ; implicit-def: $vgpr180
                                        ; implicit-def: $vgpr175
                                        ; implicit-def: $vgpr171
                                        ; implicit-def: $vgpr166
                                        ; implicit-def: $vgpr42
                                        ; implicit-def: $vgpr41
	s_movk_i32 s24, 0x1100
.LBB942_111:                            ;   in Loop: Header=BB942_108 Depth=2
	s_lshl_b64 s[24:25], s[50:51], 1
	s_waitcnt vmcnt(14)
	v_mov_b32_e32 v155, 0xffff8000
	v_add_co_u32 v39, vcc_lo, v131, s24
	v_add_co_ci_u32_e64 v40, null, s25, v132, vcc_lo
	v_mov_b32_e32 v154, 0xffff8000
	s_mov_b32 s23, exec_lo
	v_cmpx_gt_u32_e64 s63, v94
	s_cbranch_execz .LBB942_113
; %bb.112:                              ;   in Loop: Header=BB942_108 Depth=2
	global_load_ushort v154, v[39:40], off
.LBB942_113:                            ;   in Loop: Header=BB942_108 Depth=2
	s_or_b32 exec_lo, exec_lo, s23
	s_mov_b32 s23, exec_lo
	v_cmpx_gt_u32_e64 s63, v98
	s_cbranch_execz .LBB942_115
; %bb.114:                              ;   in Loop: Header=BB942_108 Depth=2
	global_load_ushort v155, v[39:40], off offset:64
.LBB942_115:                            ;   in Loop: Header=BB942_108 Depth=2
	s_or_b32 exec_lo, exec_lo, s23
	s_waitcnt vmcnt(12)
	v_mov_b32_e32 v162, 0xffff8000
	v_mov_b32_e32 v158, 0xffff8000
	s_mov_b32 s23, exec_lo
	v_cmpx_gt_u32_e64 s63, v99
	s_cbranch_execz .LBB942_117
; %bb.116:                              ;   in Loop: Header=BB942_108 Depth=2
	global_load_ushort v158, v[39:40], off offset:128
.LBB942_117:                            ;   in Loop: Header=BB942_108 Depth=2
	s_or_b32 exec_lo, exec_lo, s23
	s_mov_b32 s23, exec_lo
	v_cmpx_gt_u32_e64 s63, v100
	s_cbranch_execz .LBB942_119
; %bb.118:                              ;   in Loop: Header=BB942_108 Depth=2
	global_load_ushort v162, v[39:40], off offset:192
.LBB942_119:                            ;   in Loop: Header=BB942_108 Depth=2
	s_or_b32 exec_lo, exec_lo, s23
	s_waitcnt vmcnt(10)
	v_mov_b32_e32 v172, 0xffff8000
	v_mov_b32_e32 v167, 0xffff8000
	s_mov_b32 s23, exec_lo
	v_cmpx_gt_u32_e64 s63, v101
	s_cbranch_execz .LBB942_121
; %bb.120:                              ;   in Loop: Header=BB942_108 Depth=2
	global_load_ushort v167, v[39:40], off offset:256
.LBB942_121:                            ;   in Loop: Header=BB942_108 Depth=2
	;; [unrolled: 17-line block ×7, first 2 shown]
	s_or_b32 exec_lo, exec_lo, s23
	s_mov_b32 s23, exec_lo
	v_cmpx_gt_u32_e64 s63, v129
	s_cbranch_execz .LBB942_143
; %bb.142:                              ;   in Loop: Header=BB942_108 Depth=2
	global_load_ushort v41, v[39:40], off offset:960
.LBB942_143:                            ;   in Loop: Header=BB942_108 Depth=2
	s_or_b32 exec_lo, exec_lo, s23
	v_cmp_gt_u32_e64 s23, s63, v130
	s_sub_i32 s24, s59, s50
.LBB942_144:                            ;   in Loop: Header=BB942_108 Depth=2
	v_mov_b32_e32 v3, -1
	v_mov_b32_e32 v153, s63
	s_and_saveexec_b32 s25, s23
	s_cbranch_execz .LBB942_146
; %bb.145:                              ;   in Loop: Header=BB942_108 Depth=2
	s_lshl_b64 s[26:27], s[50:51], 1
	v_mov_b32_e32 v153, s24
	v_add_co_u32 v39, vcc_lo, v131, s26
	v_add_co_ci_u32_e64 v40, null, s27, v132, vcc_lo
	global_load_ushort v3, v[39:40], off offset:1024
	s_waitcnt vmcnt(0)
	v_xor_b32_e32 v3, 0x7fff, v3
.LBB942_146:                            ;   in Loop: Header=BB942_108 Depth=2
	s_or_b32 exec_lo, exec_lo, s25
	s_waitcnt vmcnt(15)
	v_xor_b32_e32 v154, 0x7fff, v154
	ds_write2_b32 v68, v4, v4 offset0:136 offset1:137
	ds_write2_b32 v68, v4, v4 offset0:138 offset1:139
	ds_write_b32 v68, v4 offset:560
	s_waitcnt vmcnt(0) lgkmcnt(0)
	s_barrier
	v_lshrrev_b32_sdwa v39, s61, v154 dst_sel:DWORD dst_unused:UNUSED_PAD src0_sel:DWORD src1_sel:WORD_0
	buffer_gl0_inv
	; wave barrier
	v_and_b32_e32 v40, s62, v39
	v_and_b32_e32 v39, 1, v40
	v_lshlrev_b32_e32 v156, 30, v40
	v_lshlrev_b32_e32 v157, 29, v40
	v_lshlrev_b32_e32 v160, 28, v40
	v_lshlrev_b32_e32 v161, 27, v40
	v_add_co_u32 v39, s23, v39, -1
	v_cndmask_b32_e64 v159, 0, 1, s23
	v_not_b32_e32 v164, v156
	v_cmp_gt_i32_e64 s23, 0, v156
	v_not_b32_e32 v156, v157
	v_lshlrev_b32_e32 v163, 26, v40
	v_cmp_ne_u32_e32 vcc_lo, 0, v159
	v_ashrrev_i32_e32 v164, 31, v164
	v_lshlrev_b32_e32 v159, 25, v40
	v_ashrrev_i32_e32 v156, 31, v156
	v_mul_u32_u24_e32 v40, 36, v40
	v_xor_b32_e32 v39, vcc_lo, v39
	v_cmp_gt_i32_e32 vcc_lo, 0, v157
	v_not_b32_e32 v157, v160
	v_xor_b32_e32 v164, s23, v164
	v_cmp_gt_i32_e64 s23, 0, v160
	v_and_b32_e32 v39, exec_lo, v39
	v_not_b32_e32 v160, v161
	v_ashrrev_i32_e32 v157, 31, v157
	v_xor_b32_e32 v156, vcc_lo, v156
	v_cmp_gt_i32_e32 vcc_lo, 0, v161
	v_and_b32_e32 v39, v39, v164
	v_not_b32_e32 v161, v163
	v_ashrrev_i32_e32 v160, 31, v160
	v_xor_b32_e32 v157, s23, v157
	v_cmp_gt_i32_e64 s23, 0, v163
	v_and_b32_e32 v39, v39, v156
	v_not_b32_e32 v156, v159
	v_ashrrev_i32_e32 v161, 31, v161
	v_xor_b32_e32 v160, vcc_lo, v160
	v_cmp_gt_i32_e32 vcc_lo, 0, v159
	v_and_b32_e32 v39, v39, v157
	v_ashrrev_i32_e32 v156, 31, v156
	v_xor_b32_e32 v157, s23, v161
	v_and_b32_e32 v39, v39, v160
	v_xor_b32_e32 v156, vcc_lo, v156
	v_and_b32_e32 v39, v39, v157
	v_add_nc_u32_e32 v157, v133, v40
	v_and_b32_e32 v39, v39, v156
	v_mbcnt_lo_u32_b32 v156, v39, 0
	v_cmp_ne_u32_e64 s23, 0, v39
	v_cmp_eq_u32_e32 vcc_lo, 0, v156
	s_and_b32 s24, s23, vcc_lo
	s_and_saveexec_b32 s23, s24
; %bb.147:                              ;   in Loop: Header=BB942_108 Depth=2
	v_bcnt_u32_b32 v39, v39, 0
	ds_write_b32 v157, v39 offset:544
; %bb.148:                              ;   in Loop: Header=BB942_108 Depth=2
	s_or_b32 exec_lo, exec_lo, s23
	v_xor_b32_e32 v155, 0x7fff, v155
	; wave barrier
	v_lshrrev_b32_sdwa v39, s61, v155 dst_sel:DWORD dst_unused:UNUSED_PAD src0_sel:DWORD src1_sel:WORD_0
	v_and_b32_e32 v40, s62, v39
	v_and_b32_e32 v39, 1, v40
	v_lshlrev_b32_e32 v159, 30, v40
	v_lshlrev_b32_e32 v160, 29, v40
	v_lshlrev_b32_e32 v163, 28, v40
	v_lshlrev_b32_e32 v164, 27, v40
	v_add_co_u32 v39, s23, v39, -1
	v_cndmask_b32_e64 v161, 0, 1, s23
	v_not_b32_e32 v168, v159
	v_cmp_gt_i32_e64 s23, 0, v159
	v_not_b32_e32 v159, v160
	v_lshlrev_b32_e32 v165, 26, v40
	v_cmp_ne_u32_e32 vcc_lo, 0, v161
	v_ashrrev_i32_e32 v168, 31, v168
	v_lshlrev_b32_e32 v161, 25, v40
	v_ashrrev_i32_e32 v159, 31, v159
	v_xor_b32_e32 v39, vcc_lo, v39
	v_cmp_gt_i32_e32 vcc_lo, 0, v160
	v_not_b32_e32 v160, v163
	v_xor_b32_e32 v168, s23, v168
	v_cmp_gt_i32_e64 s23, 0, v163
	v_and_b32_e32 v39, exec_lo, v39
	v_not_b32_e32 v163, v164
	v_ashrrev_i32_e32 v160, 31, v160
	v_xor_b32_e32 v159, vcc_lo, v159
	v_cmp_gt_i32_e32 vcc_lo, 0, v164
	v_and_b32_e32 v39, v39, v168
	v_not_b32_e32 v164, v165
	v_ashrrev_i32_e32 v163, 31, v163
	v_xor_b32_e32 v160, s23, v160
	v_cmp_gt_i32_e64 s23, 0, v165
	v_and_b32_e32 v39, v39, v159
	v_not_b32_e32 v159, v161
	v_ashrrev_i32_e32 v164, 31, v164
	v_xor_b32_e32 v163, vcc_lo, v163
	v_cmp_gt_i32_e32 vcc_lo, 0, v161
	v_and_b32_e32 v39, v39, v160
	v_ashrrev_i32_e32 v159, 31, v159
	v_xor_b32_e32 v160, s23, v164
	v_mad_u32_u24 v161, v40, 36, v133
	v_mul_u32_u24_e32 v40, 36, v40
	v_and_b32_e32 v39, v39, v163
	v_xor_b32_e32 v163, vcc_lo, v159
	ds_read_b32 v159, v161 offset:544
	v_add_nc_u32_e32 v161, v133, v40
	v_and_b32_e32 v39, v39, v160
	; wave barrier
	v_and_b32_e32 v39, v39, v163
	v_mbcnt_lo_u32_b32 v160, v39, 0
	v_cmp_ne_u32_e64 s23, 0, v39
	v_cmp_eq_u32_e32 vcc_lo, 0, v160
	s_and_b32 s24, s23, vcc_lo
	s_and_saveexec_b32 s23, s24
	s_cbranch_execz .LBB942_150
; %bb.149:                              ;   in Loop: Header=BB942_108 Depth=2
	s_waitcnt lgkmcnt(0)
	v_bcnt_u32_b32 v39, v39, v159
	ds_write_b32 v161, v39 offset:544
.LBB942_150:                            ;   in Loop: Header=BB942_108 Depth=2
	s_or_b32 exec_lo, exec_lo, s23
	v_xor_b32_e32 v158, 0x7fff, v158
	; wave barrier
	v_lshrrev_b32_sdwa v39, s61, v158 dst_sel:DWORD dst_unused:UNUSED_PAD src0_sel:DWORD src1_sel:WORD_0
	v_and_b32_e32 v40, s62, v39
	v_and_b32_e32 v39, 1, v40
	v_lshlrev_b32_e32 v163, 30, v40
	v_lshlrev_b32_e32 v164, 29, v40
	v_lshlrev_b32_e32 v168, 28, v40
	v_lshlrev_b32_e32 v169, 27, v40
	v_add_co_u32 v39, s23, v39, -1
	v_cndmask_b32_e64 v165, 0, 1, s23
	v_not_b32_e32 v173, v163
	v_cmp_gt_i32_e64 s23, 0, v163
	v_not_b32_e32 v163, v164
	v_lshlrev_b32_e32 v170, 26, v40
	v_cmp_ne_u32_e32 vcc_lo, 0, v165
	v_ashrrev_i32_e32 v173, 31, v173
	v_lshlrev_b32_e32 v165, 25, v40
	v_ashrrev_i32_e32 v163, 31, v163
	v_xor_b32_e32 v39, vcc_lo, v39
	v_cmp_gt_i32_e32 vcc_lo, 0, v164
	v_not_b32_e32 v164, v168
	v_xor_b32_e32 v173, s23, v173
	v_cmp_gt_i32_e64 s23, 0, v168
	v_and_b32_e32 v39, exec_lo, v39
	v_not_b32_e32 v168, v169
	v_ashrrev_i32_e32 v164, 31, v164
	v_xor_b32_e32 v163, vcc_lo, v163
	v_cmp_gt_i32_e32 vcc_lo, 0, v169
	v_and_b32_e32 v39, v39, v173
	v_not_b32_e32 v169, v170
	v_ashrrev_i32_e32 v168, 31, v168
	v_xor_b32_e32 v164, s23, v164
	v_cmp_gt_i32_e64 s23, 0, v170
	v_and_b32_e32 v39, v39, v163
	v_not_b32_e32 v163, v165
	v_ashrrev_i32_e32 v169, 31, v169
	v_xor_b32_e32 v168, vcc_lo, v168
	v_cmp_gt_i32_e32 vcc_lo, 0, v165
	v_and_b32_e32 v39, v39, v164
	v_ashrrev_i32_e32 v163, 31, v163
	v_xor_b32_e32 v164, s23, v169
	v_mad_u32_u24 v165, v40, 36, v133
	v_mul_u32_u24_e32 v40, 36, v40
	v_and_b32_e32 v39, v39, v168
	v_xor_b32_e32 v168, vcc_lo, v163
	ds_read_b32 v163, v165 offset:544
	v_add_nc_u32_e32 v165, v133, v40
	v_and_b32_e32 v39, v39, v164
	; wave barrier
	v_and_b32_e32 v39, v39, v168
	v_mbcnt_lo_u32_b32 v164, v39, 0
	v_cmp_ne_u32_e64 s23, 0, v39
	v_cmp_eq_u32_e32 vcc_lo, 0, v164
	s_and_b32 s24, s23, vcc_lo
	s_and_saveexec_b32 s23, s24
	s_cbranch_execz .LBB942_152
; %bb.151:                              ;   in Loop: Header=BB942_108 Depth=2
	s_waitcnt lgkmcnt(0)
	v_bcnt_u32_b32 v39, v39, v163
	ds_write_b32 v165, v39 offset:544
.LBB942_152:                            ;   in Loop: Header=BB942_108 Depth=2
	;; [unrolled: 63-line block ×9, first 2 shown]
	s_or_b32 exec_lo, exec_lo, s23
	v_xor_b32_e32 v180, 0x7fff, v180
	; wave barrier
	v_lshrrev_b32_sdwa v39, s61, v180 dst_sel:DWORD dst_unused:UNUSED_PAD src0_sel:DWORD src1_sel:WORD_0
	v_and_b32_e32 v40, s62, v39
	v_and_b32_e32 v39, 1, v40
	v_lshlrev_b32_e32 v197, 30, v40
	v_lshlrev_b32_e32 v198, 29, v40
	;; [unrolled: 1-line block ×4, first 2 shown]
	v_add_co_u32 v39, s23, v39, -1
	v_cndmask_b32_e64 v199, 0, 1, s23
	v_not_b32_e32 v203, v197
	v_cmp_gt_i32_e64 s23, 0, v197
	v_not_b32_e32 v197, v198
	v_lshlrev_b32_e32 v202, 26, v40
	v_cmp_ne_u32_e32 vcc_lo, 0, v199
	v_ashrrev_i32_e32 v203, 31, v203
	v_lshlrev_b32_e32 v199, 25, v40
	v_ashrrev_i32_e32 v197, 31, v197
	v_xor_b32_e32 v39, vcc_lo, v39
	v_cmp_gt_i32_e32 vcc_lo, 0, v198
	v_not_b32_e32 v198, v200
	v_xor_b32_e32 v203, s23, v203
	v_cmp_gt_i32_e64 s23, 0, v200
	v_and_b32_e32 v39, exec_lo, v39
	v_not_b32_e32 v200, v201
	v_ashrrev_i32_e32 v198, 31, v198
	v_xor_b32_e32 v197, vcc_lo, v197
	v_cmp_gt_i32_e32 vcc_lo, 0, v201
	v_and_b32_e32 v39, v39, v203
	v_not_b32_e32 v201, v202
	v_ashrrev_i32_e32 v200, 31, v200
	v_xor_b32_e32 v198, s23, v198
	v_cmp_gt_i32_e64 s23, 0, v202
	v_and_b32_e32 v39, v39, v197
	v_not_b32_e32 v197, v199
	v_ashrrev_i32_e32 v201, 31, v201
	v_xor_b32_e32 v200, vcc_lo, v200
	v_cmp_gt_i32_e32 vcc_lo, 0, v199
	v_and_b32_e32 v39, v39, v198
	v_ashrrev_i32_e32 v197, 31, v197
	v_xor_b32_e32 v198, s23, v201
	v_mad_u32_u24 v199, v40, 36, v133
	v_mul_u32_u24_e32 v40, 36, v40
	v_and_b32_e32 v39, v39, v200
	v_xor_b32_e32 v197, vcc_lo, v197
	v_add_nc_u32_e32 v200, v133, v40
	v_and_b32_e32 v39, v39, v198
	ds_read_b32 v198, v199 offset:544
	; wave barrier
	v_and_b32_e32 v39, v39, v197
	v_mbcnt_lo_u32_b32 v199, v39, 0
	v_cmp_ne_u32_e64 s23, 0, v39
	v_cmp_eq_u32_e32 vcc_lo, 0, v199
	s_and_b32 s24, s23, vcc_lo
	s_and_saveexec_b32 s23, s24
	s_cbranch_execz .LBB942_168
; %bb.167:                              ;   in Loop: Header=BB942_108 Depth=2
	s_waitcnt lgkmcnt(0)
	v_bcnt_u32_b32 v39, v39, v198
	ds_write_b32 v200, v39 offset:544
.LBB942_168:                            ;   in Loop: Header=BB942_108 Depth=2
	s_or_b32 exec_lo, exec_lo, s23
	v_xor_b32_e32 v197, 0x7fff, v175
	; wave barrier
	v_lshrrev_b32_sdwa v39, s61, v197 dst_sel:DWORD dst_unused:UNUSED_PAD src0_sel:DWORD src1_sel:WORD_0
	v_and_b32_e32 v40, s62, v39
	v_and_b32_e32 v39, 1, v40
	v_lshlrev_b32_e32 v175, 30, v40
	v_lshlrev_b32_e32 v201, 29, v40
	v_lshlrev_b32_e32 v203, 28, v40
	v_lshlrev_b32_e32 v204, 27, v40
	v_add_co_u32 v39, s23, v39, -1
	v_cndmask_b32_e64 v202, 0, 1, s23
	v_not_b32_e32 v206, v175
	v_cmp_gt_i32_e64 s23, 0, v175
	v_not_b32_e32 v175, v201
	v_lshlrev_b32_e32 v205, 26, v40
	v_cmp_ne_u32_e32 vcc_lo, 0, v202
	v_ashrrev_i32_e32 v206, 31, v206
	v_lshlrev_b32_e32 v202, 25, v40
	v_ashrrev_i32_e32 v175, 31, v175
	v_xor_b32_e32 v39, vcc_lo, v39
	v_cmp_gt_i32_e32 vcc_lo, 0, v201
	v_not_b32_e32 v201, v203
	v_xor_b32_e32 v206, s23, v206
	v_cmp_gt_i32_e64 s23, 0, v203
	v_and_b32_e32 v39, exec_lo, v39
	v_not_b32_e32 v203, v204
	v_ashrrev_i32_e32 v201, 31, v201
	v_xor_b32_e32 v175, vcc_lo, v175
	v_cmp_gt_i32_e32 vcc_lo, 0, v204
	v_and_b32_e32 v39, v39, v206
	v_not_b32_e32 v204, v205
	v_ashrrev_i32_e32 v203, 31, v203
	v_xor_b32_e32 v201, s23, v201
	v_cmp_gt_i32_e64 s23, 0, v205
	v_and_b32_e32 v39, v39, v175
	v_not_b32_e32 v175, v202
	v_ashrrev_i32_e32 v204, 31, v204
	v_xor_b32_e32 v203, vcc_lo, v203
	v_cmp_gt_i32_e32 vcc_lo, 0, v202
	v_and_b32_e32 v39, v39, v201
	v_ashrrev_i32_e32 v175, 31, v175
	v_xor_b32_e32 v201, s23, v204
	v_mad_u32_u24 v202, v40, 36, v133
	v_mul_u32_u24_e32 v40, 36, v40
	v_and_b32_e32 v39, v39, v203
	v_xor_b32_e32 v175, vcc_lo, v175
	ds_read_b32 v202, v202 offset:544
	v_and_b32_e32 v39, v39, v201
	; wave barrier
	v_and_b32_e32 v39, v39, v175
	v_add_nc_u32_e32 v175, v133, v40
	v_mbcnt_lo_u32_b32 v203, v39, 0
	v_cmp_ne_u32_e64 s23, 0, v39
	v_cmp_eq_u32_e32 vcc_lo, 0, v203
	s_and_b32 s24, s23, vcc_lo
	s_and_saveexec_b32 s23, s24
	s_cbranch_execz .LBB942_170
; %bb.169:                              ;   in Loop: Header=BB942_108 Depth=2
	s_waitcnt lgkmcnt(0)
	v_bcnt_u32_b32 v39, v39, v202
	ds_write_b32 v175, v39 offset:544
.LBB942_170:                            ;   in Loop: Header=BB942_108 Depth=2
	s_or_b32 exec_lo, exec_lo, s23
	v_xor_b32_e32 v201, 0x7fff, v171
	; wave barrier
	v_lshrrev_b32_sdwa v39, s61, v201 dst_sel:DWORD dst_unused:UNUSED_PAD src0_sel:DWORD src1_sel:WORD_0
	v_and_b32_e32 v40, s62, v39
	v_and_b32_e32 v39, 1, v40
	v_lshlrev_b32_e32 v171, 30, v40
	v_lshlrev_b32_e32 v204, 29, v40
	v_lshlrev_b32_e32 v206, 28, v40
	v_lshlrev_b32_e32 v207, 27, v40
	v_add_co_u32 v39, s23, v39, -1
	v_cndmask_b32_e64 v205, 0, 1, s23
	v_not_b32_e32 v209, v171
	v_cmp_gt_i32_e64 s23, 0, v171
	v_not_b32_e32 v171, v204
	v_lshlrev_b32_e32 v208, 26, v40
	v_cmp_ne_u32_e32 vcc_lo, 0, v205
	v_ashrrev_i32_e32 v209, 31, v209
	v_lshlrev_b32_e32 v205, 25, v40
	v_ashrrev_i32_e32 v171, 31, v171
	v_xor_b32_e32 v39, vcc_lo, v39
	v_cmp_gt_i32_e32 vcc_lo, 0, v204
	v_not_b32_e32 v204, v206
	v_xor_b32_e32 v209, s23, v209
	v_cmp_gt_i32_e64 s23, 0, v206
	v_and_b32_e32 v39, exec_lo, v39
	v_not_b32_e32 v206, v207
	v_ashrrev_i32_e32 v204, 31, v204
	v_xor_b32_e32 v171, vcc_lo, v171
	v_cmp_gt_i32_e32 vcc_lo, 0, v207
	v_and_b32_e32 v39, v39, v209
	v_not_b32_e32 v207, v208
	v_ashrrev_i32_e32 v206, 31, v206
	v_xor_b32_e32 v204, s23, v204
	v_cmp_gt_i32_e64 s23, 0, v208
	v_and_b32_e32 v39, v39, v171
	v_not_b32_e32 v171, v205
	v_ashrrev_i32_e32 v207, 31, v207
	v_xor_b32_e32 v206, vcc_lo, v206
	v_cmp_gt_i32_e32 vcc_lo, 0, v205
	v_and_b32_e32 v39, v39, v204
	v_ashrrev_i32_e32 v171, 31, v171
	v_xor_b32_e32 v204, s23, v207
	v_mad_u32_u24 v205, v40, 36, v133
	v_mul_u32_u24_e32 v40, 36, v40
	v_and_b32_e32 v39, v39, v206
	v_xor_b32_e32 v171, vcc_lo, v171
	ds_read_b32 v205, v205 offset:544
	v_and_b32_e32 v39, v39, v204
	; wave barrier
	v_and_b32_e32 v39, v39, v171
	v_add_nc_u32_e32 v171, v133, v40
	;; [unrolled: 63-line block ×3, first 2 shown]
	v_mbcnt_lo_u32_b32 v209, v39, 0
	v_cmp_ne_u32_e64 s23, 0, v39
	v_cmp_eq_u32_e32 vcc_lo, 0, v209
	s_and_b32 s24, s23, vcc_lo
	s_and_saveexec_b32 s23, s24
	s_cbranch_execz .LBB942_174
; %bb.173:                              ;   in Loop: Header=BB942_108 Depth=2
	s_waitcnt lgkmcnt(0)
	v_bcnt_u32_b32 v39, v39, v208
	ds_write_b32 v166, v39 offset:544
.LBB942_174:                            ;   in Loop: Header=BB942_108 Depth=2
	s_or_b32 exec_lo, exec_lo, s23
	v_xor_b32_e32 v207, 0x7fff, v42
	; wave barrier
	v_lshrrev_b32_sdwa v39, s61, v207 dst_sel:DWORD dst_unused:UNUSED_PAD src0_sel:DWORD src1_sel:WORD_0
	v_and_b32_e32 v40, s62, v39
	v_and_b32_e32 v39, 1, v40
	v_lshlrev_b32_e32 v42, 30, v40
	v_lshlrev_b32_e32 v210, 29, v40
	;; [unrolled: 1-line block ×4, first 2 shown]
	v_add_co_u32 v39, s23, v39, -1
	v_cndmask_b32_e64 v211, 0, 1, s23
	v_not_b32_e32 v215, v42
	v_cmp_gt_i32_e64 s23, 0, v42
	v_not_b32_e32 v42, v210
	v_lshlrev_b32_e32 v214, 26, v40
	v_cmp_ne_u32_e32 vcc_lo, 0, v211
	v_ashrrev_i32_e32 v215, 31, v215
	v_lshlrev_b32_e32 v211, 25, v40
	v_ashrrev_i32_e32 v42, 31, v42
	v_xor_b32_e32 v39, vcc_lo, v39
	v_cmp_gt_i32_e32 vcc_lo, 0, v210
	v_not_b32_e32 v210, v212
	v_xor_b32_e32 v215, s23, v215
	v_cmp_gt_i32_e64 s23, 0, v212
	v_and_b32_e32 v39, exec_lo, v39
	v_not_b32_e32 v212, v213
	v_ashrrev_i32_e32 v210, 31, v210
	v_xor_b32_e32 v42, vcc_lo, v42
	v_cmp_gt_i32_e32 vcc_lo, 0, v213
	v_and_b32_e32 v39, v39, v215
	v_not_b32_e32 v213, v214
	v_ashrrev_i32_e32 v212, 31, v212
	v_xor_b32_e32 v210, s23, v210
	v_cmp_gt_i32_e64 s23, 0, v214
	v_and_b32_e32 v39, v39, v42
	v_not_b32_e32 v42, v211
	v_ashrrev_i32_e32 v213, 31, v213
	v_xor_b32_e32 v212, vcc_lo, v212
	v_cmp_gt_i32_e32 vcc_lo, 0, v211
	v_and_b32_e32 v39, v39, v210
	v_ashrrev_i32_e32 v42, 31, v42
	v_xor_b32_e32 v210, s23, v213
	v_mad_u32_u24 v211, v40, 36, v133
	v_mul_u32_u24_e32 v40, 36, v40
	v_and_b32_e32 v39, v39, v212
	v_xor_b32_e32 v42, vcc_lo, v42
	ds_read_b32 v211, v211 offset:544
	v_add_nc_u32_e32 v213, v133, v40
	v_and_b32_e32 v39, v39, v210
	; wave barrier
	v_and_b32_e32 v39, v39, v42
	v_mbcnt_lo_u32_b32 v212, v39, 0
	v_cmp_ne_u32_e64 s23, 0, v39
	v_cmp_eq_u32_e32 vcc_lo, 0, v212
	s_and_b32 s24, s23, vcc_lo
	s_and_saveexec_b32 s23, s24
	s_cbranch_execz .LBB942_176
; %bb.175:                              ;   in Loop: Header=BB942_108 Depth=2
	s_waitcnt lgkmcnt(0)
	v_bcnt_u32_b32 v39, v39, v211
	ds_write_b32 v213, v39 offset:544
.LBB942_176:                            ;   in Loop: Header=BB942_108 Depth=2
	s_or_b32 exec_lo, exec_lo, s23
	v_xor_b32_e32 v210, 0x7fff, v41
	; wave barrier
	v_lshrrev_b32_sdwa v39, s61, v210 dst_sel:DWORD dst_unused:UNUSED_PAD src0_sel:DWORD src1_sel:WORD_0
	v_and_b32_e32 v40, s62, v39
	v_and_b32_e32 v39, 1, v40
	v_lshlrev_b32_e32 v41, 30, v40
	v_lshlrev_b32_e32 v42, 29, v40
	v_lshlrev_b32_e32 v215, 28, v40
	v_lshlrev_b32_e32 v216, 27, v40
	v_add_co_u32 v39, s23, v39, -1
	v_cndmask_b32_e64 v214, 0, 1, s23
	v_not_b32_e32 v218, v41
	v_cmp_gt_i32_e64 s23, 0, v41
	v_not_b32_e32 v41, v42
	v_lshlrev_b32_e32 v217, 26, v40
	v_cmp_ne_u32_e32 vcc_lo, 0, v214
	v_ashrrev_i32_e32 v218, 31, v218
	v_lshlrev_b32_e32 v214, 25, v40
	v_ashrrev_i32_e32 v41, 31, v41
	v_xor_b32_e32 v39, vcc_lo, v39
	v_cmp_gt_i32_e32 vcc_lo, 0, v42
	v_not_b32_e32 v42, v215
	v_xor_b32_e32 v218, s23, v218
	v_cmp_gt_i32_e64 s23, 0, v215
	v_and_b32_e32 v39, exec_lo, v39
	v_not_b32_e32 v215, v216
	v_ashrrev_i32_e32 v42, 31, v42
	v_xor_b32_e32 v41, vcc_lo, v41
	v_cmp_gt_i32_e32 vcc_lo, 0, v216
	v_and_b32_e32 v39, v39, v218
	v_not_b32_e32 v216, v217
	v_ashrrev_i32_e32 v215, 31, v215
	v_xor_b32_e32 v42, s23, v42
	v_cmp_gt_i32_e64 s23, 0, v217
	v_and_b32_e32 v39, v39, v41
	v_not_b32_e32 v41, v214
	v_ashrrev_i32_e32 v216, 31, v216
	v_xor_b32_e32 v215, vcc_lo, v215
	v_cmp_gt_i32_e32 vcc_lo, 0, v214
	v_and_b32_e32 v39, v39, v42
	v_ashrrev_i32_e32 v41, 31, v41
	v_xor_b32_e32 v42, s23, v216
	v_mad_u32_u24 v214, v40, 36, v133
	v_mul_u32_u24_e32 v40, 36, v40
	v_and_b32_e32 v39, v39, v215
	v_xor_b32_e32 v41, vcc_lo, v41
	ds_read_b32 v214, v214 offset:544
	v_add_nc_u32_e32 v216, v133, v40
	v_and_b32_e32 v39, v39, v42
	; wave barrier
	v_and_b32_e32 v39, v39, v41
	v_mbcnt_lo_u32_b32 v215, v39, 0
	v_cmp_ne_u32_e64 s23, 0, v39
	v_cmp_eq_u32_e32 vcc_lo, 0, v215
	s_and_b32 s24, s23, vcc_lo
	s_and_saveexec_b32 s23, s24
	s_cbranch_execz .LBB942_178
; %bb.177:                              ;   in Loop: Header=BB942_108 Depth=2
	s_waitcnt lgkmcnt(0)
	v_bcnt_u32_b32 v39, v39, v214
	ds_write_b32 v216, v39 offset:544
.LBB942_178:                            ;   in Loop: Header=BB942_108 Depth=2
	s_or_b32 exec_lo, exec_lo, s23
	v_lshrrev_b32_sdwa v39, s61, v3 dst_sel:DWORD dst_unused:UNUSED_PAD src0_sel:DWORD src1_sel:WORD_0
	; wave barrier
	v_and_b32_e32 v40, s62, v39
	v_and_b32_e32 v39, 1, v40
	v_lshlrev_b32_e32 v41, 30, v40
	v_lshlrev_b32_e32 v42, 29, v40
	;; [unrolled: 1-line block ×4, first 2 shown]
	v_add_co_u32 v39, s23, v39, -1
	v_cndmask_b32_e64 v217, 0, 1, s23
	v_not_b32_e32 v221, v41
	v_cmp_gt_i32_e64 s23, 0, v41
	v_not_b32_e32 v41, v42
	v_lshlrev_b32_e32 v220, 26, v40
	v_cmp_ne_u32_e32 vcc_lo, 0, v217
	v_ashrrev_i32_e32 v221, 31, v221
	v_lshlrev_b32_e32 v217, 25, v40
	v_ashrrev_i32_e32 v41, 31, v41
	v_xor_b32_e32 v39, vcc_lo, v39
	v_cmp_gt_i32_e32 vcc_lo, 0, v42
	v_not_b32_e32 v42, v218
	v_xor_b32_e32 v221, s23, v221
	v_cmp_gt_i32_e64 s23, 0, v218
	v_and_b32_e32 v39, exec_lo, v39
	v_not_b32_e32 v218, v219
	v_ashrrev_i32_e32 v42, 31, v42
	v_xor_b32_e32 v41, vcc_lo, v41
	v_cmp_gt_i32_e32 vcc_lo, 0, v219
	v_and_b32_e32 v39, v39, v221
	v_not_b32_e32 v219, v220
	v_ashrrev_i32_e32 v218, 31, v218
	v_xor_b32_e32 v42, s23, v42
	v_cmp_gt_i32_e64 s23, 0, v220
	v_and_b32_e32 v39, v39, v41
	v_not_b32_e32 v41, v217
	v_ashrrev_i32_e32 v219, 31, v219
	v_xor_b32_e32 v218, vcc_lo, v218
	v_cmp_gt_i32_e32 vcc_lo, 0, v217
	v_and_b32_e32 v39, v39, v42
	v_ashrrev_i32_e32 v41, 31, v41
	v_xor_b32_e32 v42, s23, v219
	v_mad_u32_u24 v217, v40, 36, v133
	v_mul_u32_u24_e32 v40, 36, v40
	v_and_b32_e32 v39, v39, v218
	v_xor_b32_e32 v41, vcc_lo, v41
	ds_read_b32 v217, v217 offset:544
	v_add_nc_u32_e32 v219, v133, v40
	v_and_b32_e32 v39, v39, v42
	; wave barrier
	v_and_b32_e32 v39, v39, v41
	v_mbcnt_lo_u32_b32 v218, v39, 0
	v_cmp_ne_u32_e64 s23, 0, v39
	v_cmp_eq_u32_e32 vcc_lo, 0, v218
	s_and_b32 s24, s23, vcc_lo
	s_and_saveexec_b32 s23, s24
	s_cbranch_execz .LBB942_180
; %bb.179:                              ;   in Loop: Header=BB942_108 Depth=2
	s_waitcnt lgkmcnt(0)
	v_bcnt_u32_b32 v39, v39, v217
	ds_write_b32 v219, v39 offset:544
.LBB942_180:                            ;   in Loop: Header=BB942_108 Depth=2
	s_or_b32 exec_lo, exec_lo, s23
	; wave barrier
	s_waitcnt lgkmcnt(0)
	s_barrier
	buffer_gl0_inv
	ds_read2_b32 v[41:42], v68 offset0:136 offset1:137
	ds_read2_b32 v[39:40], v68 offset0:138 offset1:139
	ds_read_b32 v220, v68 offset:560
	s_waitcnt lgkmcnt(1)
	v_add3_u32 v221, v42, v41, v39
	s_waitcnt lgkmcnt(0)
	v_add3_u32 v220, v221, v40, v220
	v_mov_b32_dpp v221, v220 row_shr:1 row_mask:0xf bank_mask:0xf
	v_cndmask_b32_e64 v221, v221, 0, s5
	v_add_nc_u32_e32 v220, v221, v220
	v_mov_b32_dpp v221, v220 row_shr:2 row_mask:0xf bank_mask:0xf
	v_cndmask_b32_e64 v221, 0, v221, s16
	v_add_nc_u32_e32 v220, v220, v221
	;; [unrolled: 3-line block ×4, first 2 shown]
	ds_swizzle_b32 v221, v220 offset:swizzle(BROADCAST,32,15)
	s_waitcnt lgkmcnt(0)
	v_cndmask_b32_e64 v221, v221, 0, s19
	v_add_nc_u32_e32 v220, v220, v221
	s_and_saveexec_b32 s23, s4
; %bb.181:                              ;   in Loop: Header=BB942_108 Depth=2
	ds_write_b32 v62, v220 offset:512
; %bb.182:                              ;   in Loop: Header=BB942_108 Depth=2
	s_or_b32 exec_lo, exec_lo, s23
	s_waitcnt lgkmcnt(0)
	s_barrier
	buffer_gl0_inv
	s_and_saveexec_b32 s23, s12
	s_cbranch_execz .LBB942_184
; %bb.183:                              ;   in Loop: Header=BB942_108 Depth=2
	ds_read_b32 v221, v69 offset:512
	s_waitcnt lgkmcnt(0)
	v_mov_b32_dpp v222, v221 row_shr:1 row_mask:0xf bank_mask:0xf
	v_cndmask_b32_e64 v222, v222, 0, s20
	v_add_nc_u32_e32 v221, v222, v221
	v_mov_b32_dpp v222, v221 row_shr:2 row_mask:0xf bank_mask:0xf
	v_cndmask_b32_e64 v222, 0, v222, s21
	v_add_nc_u32_e32 v221, v221, v222
	;; [unrolled: 3-line block ×3, first 2 shown]
	ds_write_b32 v69, v221 offset:512
.LBB942_184:                            ;   in Loop: Header=BB942_108 Depth=2
	s_or_b32 exec_lo, exec_lo, s23
	v_mov_b32_e32 v221, 0
	s_waitcnt lgkmcnt(0)
	s_barrier
	buffer_gl0_inv
	s_and_saveexec_b32 s23, s11
; %bb.185:                              ;   in Loop: Header=BB942_108 Depth=2
	ds_read_b32 v221, v62 offset:508
; %bb.186:                              ;   in Loop: Header=BB942_108 Depth=2
	s_or_b32 exec_lo, exec_lo, s23
	s_waitcnt lgkmcnt(0)
	v_add_nc_u32_e32 v220, v221, v220
	ds_bpermute_b32 v220, v125, v220
	s_waitcnt lgkmcnt(0)
	v_cndmask_b32_e64 v220, v220, v221, s15
	v_cndmask_b32_e64 v220, v220, 0, s13
	v_add_nc_u32_e32 v41, v220, v41
	v_add_nc_u32_e32 v42, v41, v42
	;; [unrolled: 1-line block ×4, first 2 shown]
	ds_write2_b32 v68, v220, v41 offset0:136 offset1:137
	ds_write2_b32 v68, v42, v39 offset0:138 offset1:139
	ds_write_b32 v68, v40 offset:560
	s_waitcnt lgkmcnt(0)
	s_barrier
	buffer_gl0_inv
	ds_read_b32 v41, v157 offset:544
	ds_read_b32 v42, v161 offset:544
	ds_read_b32 v161, v165 offset:544
	ds_read_b32 v165, v170 offset:544
	ds_read_b32 v220, v176 offset:544
	ds_read_b32 v181, v181 offset:544
	ds_read_b32 v186, v186 offset:544
	ds_read_b32 v190, v190 offset:544
	ds_read_b32 v193, v193 offset:544
	ds_read_b32 v196, v196 offset:544
	ds_read_b32 v200, v200 offset:544
	ds_read_b32 v221, v175 offset:544
	ds_read_b32 v222, v171 offset:544
	ds_read_b32 v223, v166 offset:544
	ds_read_b32 v157, v213 offset:544
	ds_read_b32 v39, v216 offset:544
	ds_read_b32 v40, v219 offset:544
	s_and_saveexec_b32 s23, s8
	s_cbranch_execz .LBB942_190
; %bb.187:                              ;   in Loop: Header=BB942_108 Depth=2
	ds_read_b32 v149, v71 offset:544
	v_mov_b32_e32 v152, 0x1100
	s_and_saveexec_b32 s24, s14
; %bb.188:                              ;   in Loop: Header=BB942_108 Depth=2
	ds_read_b32 v152, v70 offset:544
; %bb.189:                              ;   in Loop: Header=BB942_108 Depth=2
	s_or_b32 exec_lo, exec_lo, s24
	s_waitcnt lgkmcnt(0)
	v_sub_nc_u32_e32 v152, v152, v149
.LBB942_190:                            ;   in Loop: Header=BB942_108 Depth=2
	s_or_b32 exec_lo, exec_lo, s23
	s_waitcnt lgkmcnt(0)
	s_barrier
	buffer_gl0_inv
	s_and_saveexec_b32 s23, s8
	s_cbranch_execz .LBB942_192
; %bb.191:                              ;   in Loop: Header=BB942_108 Depth=2
	ds_read_b32 v166, v43
	s_waitcnt lgkmcnt(0)
	v_sub_nc_u32_e32 v166, v166, v149
	ds_write_b32 v43, v166
.LBB942_192:                            ;   in Loop: Header=BB942_108 Depth=2
	s_or_b32 exec_lo, exec_lo, s23
	v_add_nc_u32_e32 v176, v41, v156
	v_add3_u32 v175, v160, v159, v42
	v_add3_u32 v171, v164, v163, v161
	;; [unrolled: 1-line block ×5, first 2 shown]
	v_lshlrev_b32_e32 v173, 1, v176
	v_lshlrev_b32_e32 v174, 1, v175
	v_add3_u32 v159, v215, v214, v39
	v_lshlrev_b32_e32 v39, 1, v171
	v_add3_u32 v168, v179, v178, v181
	v_add3_u32 v165, v189, v188, v190
	;; [unrolled: 1-line block ×5, first 2 shown]
	ds_write_b16 v173, v154 offset:512
	ds_write_b16 v174, v155 offset:512
	v_lshlrev_b32_e32 v40, 1, v170
	ds_write_b16 v39, v158 offset:512
	v_lshlrev_b32_e32 v39, 1, v166
	v_add3_u32 v163, v195, v194, v196
	v_lshlrev_b32_e32 v154, 1, v169
	v_add3_u32 v161, v199, v198, v200
	;; [unrolled: 2-line block ×3, first 2 shown]
	v_add3_u32 v42, v206, v205, v222
	ds_write_b16 v40, v162 offset:512
	ds_write_b16 v154, v167 offset:512
	ds_write_b16 v155, v172 offset:512
	v_lshlrev_b32_e32 v40, 1, v165
	ds_write_b16 v39, v177 offset:512
	v_lshlrev_b32_e32 v39, 1, v164
	v_lshlrev_b32_e32 v154, 1, v163
	;; [unrolled: 1-line block ×3, first 2 shown]
	v_add3_u32 v41, v209, v208, v223
	ds_write_b16 v40, v182 offset:512
	v_lshlrev_b32_e32 v40, 1, v160
	ds_write_b16 v39, v187 offset:512
	ds_write_b16 v154, v185 offset:512
	;; [unrolled: 1-line block ×3, first 2 shown]
	v_lshlrev_b32_e32 v39, 1, v42
	v_cmp_lt_u32_e32 vcc_lo, v0, v153
	v_lshlrev_b32_e32 v154, 1, v156
	ds_write_b16 v40, v197 offset:512
	v_lshlrev_b32_e32 v40, 1, v41
	ds_write_b16 v39, v201 offset:512
	v_lshlrev_b32_e32 v39, 1, v157
	v_lshlrev_b32_e32 v155, 1, v159
	ds_write_b16 v40, v204 offset:512
	ds_write_b16 v154, v207 offset:512
	;; [unrolled: 1-line block ×4, first 2 shown]
	s_waitcnt lgkmcnt(0)
	s_barrier
	buffer_gl0_inv
	s_and_saveexec_b32 s24, vcc_lo
	s_cbranch_execnz .LBB942_265
; %bb.193:                              ;   in Loop: Header=BB942_108 Depth=2
	s_or_b32 exec_lo, exec_lo, s24
	v_cmp_lt_u32_e64 s23, v44, v153
	s_and_saveexec_b32 s25, s23
	s_cbranch_execnz .LBB942_266
.LBB942_194:                            ;   in Loop: Header=BB942_108 Depth=2
	s_or_b32 exec_lo, exec_lo, s25
	v_cmp_lt_u32_e64 s24, v47, v153
	s_and_saveexec_b32 s26, s24
	s_cbranch_execnz .LBB942_267
.LBB942_195:                            ;   in Loop: Header=BB942_108 Depth=2
	s_or_b32 exec_lo, exec_lo, s26
	v_cmp_lt_u32_e64 s25, v48, v153
	s_and_saveexec_b32 s27, s25
	s_cbranch_execnz .LBB942_268
.LBB942_196:                            ;   in Loop: Header=BB942_108 Depth=2
	s_or_b32 exec_lo, exec_lo, s27
	v_cmp_lt_u32_e64 s26, v49, v153
	s_and_saveexec_b32 s28, s26
	s_cbranch_execnz .LBB942_269
.LBB942_197:                            ;   in Loop: Header=BB942_108 Depth=2
	s_or_b32 exec_lo, exec_lo, s28
	v_cmp_lt_u32_e64 s27, v50, v153
	s_and_saveexec_b32 s29, s27
	s_cbranch_execnz .LBB942_270
.LBB942_198:                            ;   in Loop: Header=BB942_108 Depth=2
	s_or_b32 exec_lo, exec_lo, s29
	v_cmp_lt_u32_e64 s28, v51, v153
	s_and_saveexec_b32 s30, s28
	s_cbranch_execnz .LBB942_271
.LBB942_199:                            ;   in Loop: Header=BB942_108 Depth=2
	s_or_b32 exec_lo, exec_lo, s30
	v_cmp_lt_u32_e64 s29, v52, v153
	s_and_saveexec_b32 s31, s29
	s_cbranch_execnz .LBB942_272
.LBB942_200:                            ;   in Loop: Header=BB942_108 Depth=2
	s_or_b32 exec_lo, exec_lo, s31
	v_cmp_lt_u32_e64 s30, v53, v153
	s_and_saveexec_b32 s33, s30
	s_cbranch_execnz .LBB942_273
.LBB942_201:                            ;   in Loop: Header=BB942_108 Depth=2
	s_or_b32 exec_lo, exec_lo, s33
	v_cmp_lt_u32_e64 s31, v54, v153
	s_and_saveexec_b32 s34, s31
	s_cbranch_execnz .LBB942_274
.LBB942_202:                            ;   in Loop: Header=BB942_108 Depth=2
	s_or_b32 exec_lo, exec_lo, s34
	v_cmp_lt_u32_e64 s33, v55, v153
	s_and_saveexec_b32 s35, s33
	s_cbranch_execnz .LBB942_275
.LBB942_203:                            ;   in Loop: Header=BB942_108 Depth=2
	s_or_b32 exec_lo, exec_lo, s35
	v_cmp_lt_u32_e64 s34, v56, v153
	s_and_saveexec_b32 s36, s34
	s_cbranch_execnz .LBB942_276
.LBB942_204:                            ;   in Loop: Header=BB942_108 Depth=2
	s_or_b32 exec_lo, exec_lo, s36
	v_cmp_lt_u32_e64 s35, v57, v153
	s_and_saveexec_b32 s37, s35
	s_cbranch_execnz .LBB942_277
.LBB942_205:                            ;   in Loop: Header=BB942_108 Depth=2
	s_or_b32 exec_lo, exec_lo, s37
	v_cmp_lt_u32_e64 s36, v58, v153
	s_and_saveexec_b32 s38, s36
	s_cbranch_execnz .LBB942_278
.LBB942_206:                            ;   in Loop: Header=BB942_108 Depth=2
	s_or_b32 exec_lo, exec_lo, s38
	v_cmp_lt_u32_e64 s37, v59, v153
	s_and_saveexec_b32 s39, s37
	s_cbranch_execnz .LBB942_279
.LBB942_207:                            ;   in Loop: Header=BB942_108 Depth=2
	s_or_b32 exec_lo, exec_lo, s39
	v_cmp_lt_u32_e64 s38, v60, v153
	s_and_saveexec_b32 s40, s38
	s_cbranch_execnz .LBB942_280
.LBB942_208:                            ;   in Loop: Header=BB942_108 Depth=2
	s_or_b32 exec_lo, exec_lo, s40
	v_cmp_lt_u32_e64 s39, v61, v153
	s_and_saveexec_b32 s65, s39
	s_cbranch_execz .LBB942_210
.LBB942_209:                            ;   in Loop: Header=BB942_108 Depth=2
	ds_read_u16 v154, v74 offset:8704
	s_waitcnt lgkmcnt(0)
	v_lshrrev_b32_sdwa v3, s61, v154 dst_sel:DWORD dst_unused:UNUSED_PAD src0_sel:DWORD src1_sel:WORD_0
	v_and_b32_e32 v3, s62, v3
	v_lshlrev_b32_e32 v3, 2, v3
	ds_read_b32 v3, v3
	s_waitcnt lgkmcnt(0)
	v_add_nc_u32_e32 v3, v3, v61
	v_lshlrev_b64 v[39:40], 1, v[3:4]
	v_xor_b32_e32 v3, 0x7fff, v154
	v_add_co_u32 v39, s40, s46, v39
	v_add_co_ci_u32_e64 v40, null, s47, v40, s40
	global_store_short v[39:40], v3, off
.LBB942_210:                            ;   in Loop: Header=BB942_108 Depth=2
	s_or_b32 exec_lo, exec_lo, s65
	s_lshl_b64 s[66:67], s[50:51], 3
	v_add_co_u32 v39, s40, v123, s66
	v_add_co_ci_u32_e64 v40, null, s67, v124, s40
	v_cmp_lt_u32_e64 s40, v94, v153
	s_and_saveexec_b32 s50, s40
	s_xor_b32 s40, exec_lo, s50
	s_cbranch_execnz .LBB942_281
; %bb.211:                              ;   in Loop: Header=BB942_108 Depth=2
	s_or_b32 exec_lo, exec_lo, s40
	s_mov_b32 s50, exec_lo
	v_cmpx_lt_u32_e64 v98, v153
	s_cbranch_execnz .LBB942_282
.LBB942_212:                            ;   in Loop: Header=BB942_108 Depth=2
	s_or_b32 exec_lo, exec_lo, s50
	s_mov_b32 s50, exec_lo
	v_cmpx_lt_u32_e64 v99, v153
	s_cbranch_execnz .LBB942_283
.LBB942_213:                            ;   in Loop: Header=BB942_108 Depth=2
	s_or_b32 exec_lo, exec_lo, s50
	s_mov_b32 s50, exec_lo
	v_cmpx_lt_u32_e64 v100, v153
	s_cbranch_execnz .LBB942_284
.LBB942_214:                            ;   in Loop: Header=BB942_108 Depth=2
	s_or_b32 exec_lo, exec_lo, s50
	s_mov_b32 s50, exec_lo
	v_cmpx_lt_u32_e64 v101, v153
	s_cbranch_execnz .LBB942_285
.LBB942_215:                            ;   in Loop: Header=BB942_108 Depth=2
	s_or_b32 exec_lo, exec_lo, s50
	s_mov_b32 s50, exec_lo
	v_cmpx_lt_u32_e64 v102, v153
	s_cbranch_execnz .LBB942_286
.LBB942_216:                            ;   in Loop: Header=BB942_108 Depth=2
	s_or_b32 exec_lo, exec_lo, s50
	s_mov_b32 s50, exec_lo
	v_cmpx_lt_u32_e64 v103, v153
	s_cbranch_execnz .LBB942_287
.LBB942_217:                            ;   in Loop: Header=BB942_108 Depth=2
	s_or_b32 exec_lo, exec_lo, s50
	s_mov_b32 s50, exec_lo
	v_cmpx_lt_u32_e64 v104, v153
	s_cbranch_execnz .LBB942_288
.LBB942_218:                            ;   in Loop: Header=BB942_108 Depth=2
	s_or_b32 exec_lo, exec_lo, s50
	s_mov_b32 s50, exec_lo
	v_cmpx_lt_u32_e64 v105, v153
	s_cbranch_execnz .LBB942_289
.LBB942_219:                            ;   in Loop: Header=BB942_108 Depth=2
	s_or_b32 exec_lo, exec_lo, s50
	s_mov_b32 s50, exec_lo
	v_cmpx_lt_u32_e64 v106, v153
	s_cbranch_execnz .LBB942_290
.LBB942_220:                            ;   in Loop: Header=BB942_108 Depth=2
	s_or_b32 exec_lo, exec_lo, s50
	s_mov_b32 s50, exec_lo
	v_cmpx_lt_u32_e64 v107, v153
	s_cbranch_execnz .LBB942_291
.LBB942_221:                            ;   in Loop: Header=BB942_108 Depth=2
	s_or_b32 exec_lo, exec_lo, s50
	s_mov_b32 s50, exec_lo
	v_cmpx_lt_u32_e64 v108, v153
	s_cbranch_execnz .LBB942_292
.LBB942_222:                            ;   in Loop: Header=BB942_108 Depth=2
	s_or_b32 exec_lo, exec_lo, s50
	s_mov_b32 s50, exec_lo
	v_cmpx_lt_u32_e64 v126, v153
	s_cbranch_execnz .LBB942_293
.LBB942_223:                            ;   in Loop: Header=BB942_108 Depth=2
	s_or_b32 exec_lo, exec_lo, s50
	s_mov_b32 s50, exec_lo
	v_cmpx_lt_u32_e64 v127, v153
	s_cbranch_execnz .LBB942_294
.LBB942_224:                            ;   in Loop: Header=BB942_108 Depth=2
	s_or_b32 exec_lo, exec_lo, s50
	s_mov_b32 s50, exec_lo
	v_cmpx_lt_u32_e64 v128, v153
	s_cbranch_execnz .LBB942_295
.LBB942_225:                            ;   in Loop: Header=BB942_108 Depth=2
	s_or_b32 exec_lo, exec_lo, s50
	s_mov_b32 s50, exec_lo
	v_cmpx_lt_u32_e64 v129, v153
	s_cbranch_execnz .LBB942_296
.LBB942_226:                            ;   in Loop: Header=BB942_108 Depth=2
	s_or_b32 exec_lo, exec_lo, s50
	s_mov_b32 s50, exec_lo
	v_cmpx_lt_u32_e64 v130, v153
	s_cbranch_execnz .LBB942_297
.LBB942_227:                            ;   in Loop: Header=BB942_108 Depth=2
	s_or_b32 exec_lo, exec_lo, s50
	s_and_saveexec_b32 s40, vcc_lo
	s_cbranch_execnz .LBB942_298
.LBB942_228:                            ;   in Loop: Header=BB942_108 Depth=2
	s_or_b32 exec_lo, exec_lo, s40
	s_and_saveexec_b32 s40, s23
	s_cbranch_execnz .LBB942_299
.LBB942_229:                            ;   in Loop: Header=BB942_108 Depth=2
	s_or_b32 exec_lo, exec_lo, s40
	s_and_saveexec_b32 s40, s24
	s_cbranch_execnz .LBB942_300
.LBB942_230:                            ;   in Loop: Header=BB942_108 Depth=2
	s_or_b32 exec_lo, exec_lo, s40
	s_and_saveexec_b32 s40, s25
	s_cbranch_execnz .LBB942_301
.LBB942_231:                            ;   in Loop: Header=BB942_108 Depth=2
	s_or_b32 exec_lo, exec_lo, s40
	s_and_saveexec_b32 s40, s26
	s_cbranch_execnz .LBB942_302
.LBB942_232:                            ;   in Loop: Header=BB942_108 Depth=2
	s_or_b32 exec_lo, exec_lo, s40
	s_and_saveexec_b32 s40, s27
	s_cbranch_execnz .LBB942_303
.LBB942_233:                            ;   in Loop: Header=BB942_108 Depth=2
	s_or_b32 exec_lo, exec_lo, s40
	s_and_saveexec_b32 s40, s28
	s_cbranch_execnz .LBB942_304
.LBB942_234:                            ;   in Loop: Header=BB942_108 Depth=2
	s_or_b32 exec_lo, exec_lo, s40
	s_and_saveexec_b32 s40, s29
	s_cbranch_execnz .LBB942_305
.LBB942_235:                            ;   in Loop: Header=BB942_108 Depth=2
	s_or_b32 exec_lo, exec_lo, s40
	s_and_saveexec_b32 s40, s30
	s_cbranch_execnz .LBB942_306
.LBB942_236:                            ;   in Loop: Header=BB942_108 Depth=2
	s_or_b32 exec_lo, exec_lo, s40
	s_and_saveexec_b32 s40, s31
	s_cbranch_execnz .LBB942_307
.LBB942_237:                            ;   in Loop: Header=BB942_108 Depth=2
	s_or_b32 exec_lo, exec_lo, s40
	s_and_saveexec_b32 s40, s33
	s_cbranch_execnz .LBB942_308
.LBB942_238:                            ;   in Loop: Header=BB942_108 Depth=2
	s_or_b32 exec_lo, exec_lo, s40
	s_and_saveexec_b32 s40, s34
	s_cbranch_execnz .LBB942_309
.LBB942_239:                            ;   in Loop: Header=BB942_108 Depth=2
	s_or_b32 exec_lo, exec_lo, s40
	s_and_saveexec_b32 s40, s35
	s_cbranch_execnz .LBB942_310
.LBB942_240:                            ;   in Loop: Header=BB942_108 Depth=2
	s_or_b32 exec_lo, exec_lo, s40
	s_and_saveexec_b32 s40, s36
	s_cbranch_execnz .LBB942_311
.LBB942_241:                            ;   in Loop: Header=BB942_108 Depth=2
	s_or_b32 exec_lo, exec_lo, s40
	s_and_saveexec_b32 s40, s37
	s_cbranch_execnz .LBB942_312
.LBB942_242:                            ;   in Loop: Header=BB942_108 Depth=2
	s_or_b32 exec_lo, exec_lo, s40
	s_and_saveexec_b32 s40, s38
	s_cbranch_execnz .LBB942_313
.LBB942_243:                            ;   in Loop: Header=BB942_108 Depth=2
	s_or_b32 exec_lo, exec_lo, s40
	s_and_saveexec_b32 s40, s39
	s_cbranch_execz .LBB942_245
.LBB942_244:                            ;   in Loop: Header=BB942_108 Depth=2
	ds_read_u16 v3, v74 offset:8704
	s_waitcnt lgkmcnt(0)
	v_lshrrev_b32_e32 v3, s61, v3
	v_and_b32_e32 v134, s62, v3
.LBB942_245:                            ;   in Loop: Header=BB942_108 Depth=2
	s_or_b32 exec_lo, exec_lo, s40
	v_lshlrev_b32_e32 v3, 3, v176
	v_lshlrev_b32_e32 v39, 3, v175
	s_waitcnt vmcnt(0)
	s_waitcnt_vscnt null, 0x0
	s_barrier
	buffer_gl0_inv
	ds_write_b64 v3, v[37:38] offset:512
	ds_write_b64 v39, v[35:36] offset:512
	v_lshlrev_b32_e32 v3, 3, v171
	v_lshlrev_b32_e32 v39, 3, v170
	v_lshlrev_b32_e32 v40, 3, v169
	v_lshlrev_b32_e32 v153, 3, v168
	v_lshlrev_b32_e32 v154, 3, v166
	ds_write_b64 v3, v[33:34] offset:512
	ds_write_b64 v39, v[31:32] offset:512
	ds_write_b64 v40, v[29:30] offset:512
	ds_write_b64 v153, v[25:26] offset:512
	ds_write_b64 v154, v[21:22] offset:512
	v_lshlrev_b32_e32 v3, 3, v165
	v_lshlrev_b32_e32 v39, 3, v164
	v_lshlrev_b32_e32 v40, 3, v163
	v_lshlrev_b32_e32 v153, 3, v161
	v_lshlrev_b32_e32 v154, 3, v160
	ds_write_b64 v3, v[17:18] offset:512
	ds_write_b64 v39, v[27:28] offset:512
	ds_write_b64 v40, v[23:24] offset:512
	;; [unrolled: 10-line block ×3, first 2 shown]
	ds_write_b64 v41, v[7:8] offset:512
	ds_write_b64 v42, v[5:6] offset:512
	s_waitcnt lgkmcnt(0)
	s_barrier
	buffer_gl0_inv
	s_and_saveexec_b32 s40, vcc_lo
	s_cbranch_execnz .LBB942_314
; %bb.246:                              ;   in Loop: Header=BB942_108 Depth=2
	s_or_b32 exec_lo, exec_lo, s40
	s_and_saveexec_b32 s40, s23
	s_cbranch_execnz .LBB942_315
.LBB942_247:                            ;   in Loop: Header=BB942_108 Depth=2
	s_or_b32 exec_lo, exec_lo, s40
	s_and_saveexec_b32 s23, s24
	s_cbranch_execnz .LBB942_316
.LBB942_248:                            ;   in Loop: Header=BB942_108 Depth=2
	s_or_b32 exec_lo, exec_lo, s23
	s_and_saveexec_b32 s23, s25
	s_cbranch_execnz .LBB942_317
.LBB942_249:                            ;   in Loop: Header=BB942_108 Depth=2
	s_or_b32 exec_lo, exec_lo, s23
	s_and_saveexec_b32 s23, s26
	s_cbranch_execnz .LBB942_318
.LBB942_250:                            ;   in Loop: Header=BB942_108 Depth=2
	s_or_b32 exec_lo, exec_lo, s23
	s_and_saveexec_b32 s23, s27
	s_cbranch_execnz .LBB942_319
.LBB942_251:                            ;   in Loop: Header=BB942_108 Depth=2
	s_or_b32 exec_lo, exec_lo, s23
	s_and_saveexec_b32 s23, s28
	s_cbranch_execnz .LBB942_320
.LBB942_252:                            ;   in Loop: Header=BB942_108 Depth=2
	s_or_b32 exec_lo, exec_lo, s23
	s_and_saveexec_b32 s23, s29
	s_cbranch_execnz .LBB942_321
.LBB942_253:                            ;   in Loop: Header=BB942_108 Depth=2
	s_or_b32 exec_lo, exec_lo, s23
	s_and_saveexec_b32 s23, s30
	s_cbranch_execnz .LBB942_322
.LBB942_254:                            ;   in Loop: Header=BB942_108 Depth=2
	s_or_b32 exec_lo, exec_lo, s23
	s_and_saveexec_b32 s23, s31
	s_cbranch_execnz .LBB942_323
.LBB942_255:                            ;   in Loop: Header=BB942_108 Depth=2
	s_or_b32 exec_lo, exec_lo, s23
	s_and_saveexec_b32 s23, s33
	s_cbranch_execnz .LBB942_324
.LBB942_256:                            ;   in Loop: Header=BB942_108 Depth=2
	s_or_b32 exec_lo, exec_lo, s23
	s_and_saveexec_b32 s23, s34
	s_cbranch_execnz .LBB942_325
.LBB942_257:                            ;   in Loop: Header=BB942_108 Depth=2
	s_or_b32 exec_lo, exec_lo, s23
	s_and_saveexec_b32 s23, s35
	s_cbranch_execnz .LBB942_326
.LBB942_258:                            ;   in Loop: Header=BB942_108 Depth=2
	s_or_b32 exec_lo, exec_lo, s23
	s_and_saveexec_b32 s23, s36
	s_cbranch_execnz .LBB942_327
.LBB942_259:                            ;   in Loop: Header=BB942_108 Depth=2
	s_or_b32 exec_lo, exec_lo, s23
	s_and_saveexec_b32 s23, s37
	s_cbranch_execnz .LBB942_328
.LBB942_260:                            ;   in Loop: Header=BB942_108 Depth=2
	s_or_b32 exec_lo, exec_lo, s23
	s_and_saveexec_b32 s23, s38
	s_cbranch_execnz .LBB942_329
.LBB942_261:                            ;   in Loop: Header=BB942_108 Depth=2
	s_or_b32 exec_lo, exec_lo, s23
	s_and_saveexec_b32 s23, s39
	s_cbranch_execz .LBB942_263
.LBB942_262:                            ;   in Loop: Header=BB942_108 Depth=2
	v_lshlrev_b32_e32 v3, 2, v134
	v_add_nc_u32_e32 v39, v74, v75
	ds_read_b32 v3, v3
	ds_read_b64 v[39:40], v39 offset:33280
	s_waitcnt lgkmcnt(1)
	v_add_nc_u32_e32 v3, v3, v61
	v_lshlrev_b64 v[41:42], 3, v[3:4]
	v_add_co_u32 v41, vcc_lo, s52, v41
	v_add_co_ci_u32_e64 v42, null, s53, v42, vcc_lo
	s_waitcnt lgkmcnt(0)
	global_store_dwordx2 v[41:42], v[39:40], off
.LBB942_263:                            ;   in Loop: Header=BB942_108 Depth=2
	s_or_b32 exec_lo, exec_lo, s23
	s_waitcnt_vscnt null, 0x0
	s_barrier
	buffer_gl0_inv
	s_and_saveexec_b32 s23, s8
	s_cbranch_execz .LBB942_107
; %bb.264:                              ;   in Loop: Header=BB942_108 Depth=2
	ds_read_b32 v3, v43
	s_waitcnt lgkmcnt(0)
	v_add3_u32 v3, v149, v152, v3
	ds_write_b32 v43, v3
	s_branch .LBB942_107
.LBB942_265:                            ;   in Loop: Header=BB942_108 Depth=2
	ds_read_u16 v154, v74 offset:512
	s_waitcnt lgkmcnt(0)
	v_lshrrev_b32_sdwa v3, s61, v154 dst_sel:DWORD dst_unused:UNUSED_PAD src0_sel:DWORD src1_sel:WORD_0
	v_and_b32_e32 v3, s62, v3
	v_lshlrev_b32_e32 v3, 2, v3
	ds_read_b32 v3, v3
	s_waitcnt lgkmcnt(0)
	v_add_nc_u32_e32 v3, v3, v0
	v_lshlrev_b64 v[39:40], 1, v[3:4]
	v_xor_b32_e32 v3, 0x7fff, v154
	v_add_co_u32 v39, s23, s46, v39
	v_add_co_ci_u32_e64 v40, null, s47, v40, s23
	global_store_short v[39:40], v3, off
	s_or_b32 exec_lo, exec_lo, s24
	v_cmp_lt_u32_e64 s23, v44, v153
	s_and_saveexec_b32 s25, s23
	s_cbranch_execz .LBB942_194
.LBB942_266:                            ;   in Loop: Header=BB942_108 Depth=2
	ds_read_u16 v154, v74 offset:1024
	s_waitcnt lgkmcnt(0)
	v_lshrrev_b32_sdwa v3, s61, v154 dst_sel:DWORD dst_unused:UNUSED_PAD src0_sel:DWORD src1_sel:WORD_0
	v_and_b32_e32 v3, s62, v3
	v_lshlrev_b32_e32 v3, 2, v3
	ds_read_b32 v3, v3
	s_waitcnt lgkmcnt(0)
	v_add_nc_u32_e32 v3, v3, v44
	v_lshlrev_b64 v[39:40], 1, v[3:4]
	v_xor_b32_e32 v3, 0x7fff, v154
	v_add_co_u32 v39, s24, s46, v39
	v_add_co_ci_u32_e64 v40, null, s47, v40, s24
	global_store_short v[39:40], v3, off
	s_or_b32 exec_lo, exec_lo, s25
	v_cmp_lt_u32_e64 s24, v47, v153
	s_and_saveexec_b32 s26, s24
	s_cbranch_execz .LBB942_195
.LBB942_267:                            ;   in Loop: Header=BB942_108 Depth=2
	ds_read_u16 v154, v74 offset:1536
	s_waitcnt lgkmcnt(0)
	v_lshrrev_b32_sdwa v3, s61, v154 dst_sel:DWORD dst_unused:UNUSED_PAD src0_sel:DWORD src1_sel:WORD_0
	v_and_b32_e32 v3, s62, v3
	v_lshlrev_b32_e32 v3, 2, v3
	ds_read_b32 v3, v3
	s_waitcnt lgkmcnt(0)
	v_add_nc_u32_e32 v3, v3, v47
	v_lshlrev_b64 v[39:40], 1, v[3:4]
	v_xor_b32_e32 v3, 0x7fff, v154
	v_add_co_u32 v39, s25, s46, v39
	v_add_co_ci_u32_e64 v40, null, s47, v40, s25
	global_store_short v[39:40], v3, off
	s_or_b32 exec_lo, exec_lo, s26
	v_cmp_lt_u32_e64 s25, v48, v153
	s_and_saveexec_b32 s27, s25
	s_cbranch_execz .LBB942_196
.LBB942_268:                            ;   in Loop: Header=BB942_108 Depth=2
	ds_read_u16 v154, v74 offset:2048
	s_waitcnt lgkmcnt(0)
	v_lshrrev_b32_sdwa v3, s61, v154 dst_sel:DWORD dst_unused:UNUSED_PAD src0_sel:DWORD src1_sel:WORD_0
	v_and_b32_e32 v3, s62, v3
	v_lshlrev_b32_e32 v3, 2, v3
	ds_read_b32 v3, v3
	s_waitcnt lgkmcnt(0)
	v_add_nc_u32_e32 v3, v3, v48
	v_lshlrev_b64 v[39:40], 1, v[3:4]
	v_xor_b32_e32 v3, 0x7fff, v154
	v_add_co_u32 v39, s26, s46, v39
	v_add_co_ci_u32_e64 v40, null, s47, v40, s26
	global_store_short v[39:40], v3, off
	s_or_b32 exec_lo, exec_lo, s27
	v_cmp_lt_u32_e64 s26, v49, v153
	s_and_saveexec_b32 s28, s26
	s_cbranch_execz .LBB942_197
.LBB942_269:                            ;   in Loop: Header=BB942_108 Depth=2
	ds_read_u16 v154, v74 offset:2560
	s_waitcnt lgkmcnt(0)
	v_lshrrev_b32_sdwa v3, s61, v154 dst_sel:DWORD dst_unused:UNUSED_PAD src0_sel:DWORD src1_sel:WORD_0
	v_and_b32_e32 v3, s62, v3
	v_lshlrev_b32_e32 v3, 2, v3
	ds_read_b32 v3, v3
	s_waitcnt lgkmcnt(0)
	v_add_nc_u32_e32 v3, v3, v49
	v_lshlrev_b64 v[39:40], 1, v[3:4]
	v_xor_b32_e32 v3, 0x7fff, v154
	v_add_co_u32 v39, s27, s46, v39
	v_add_co_ci_u32_e64 v40, null, s47, v40, s27
	global_store_short v[39:40], v3, off
	s_or_b32 exec_lo, exec_lo, s28
	v_cmp_lt_u32_e64 s27, v50, v153
	s_and_saveexec_b32 s29, s27
	s_cbranch_execz .LBB942_198
.LBB942_270:                            ;   in Loop: Header=BB942_108 Depth=2
	ds_read_u16 v154, v74 offset:3072
	s_waitcnt lgkmcnt(0)
	v_lshrrev_b32_sdwa v3, s61, v154 dst_sel:DWORD dst_unused:UNUSED_PAD src0_sel:DWORD src1_sel:WORD_0
	v_and_b32_e32 v3, s62, v3
	v_lshlrev_b32_e32 v3, 2, v3
	ds_read_b32 v3, v3
	s_waitcnt lgkmcnt(0)
	v_add_nc_u32_e32 v3, v3, v50
	v_lshlrev_b64 v[39:40], 1, v[3:4]
	v_xor_b32_e32 v3, 0x7fff, v154
	v_add_co_u32 v39, s28, s46, v39
	v_add_co_ci_u32_e64 v40, null, s47, v40, s28
	global_store_short v[39:40], v3, off
	s_or_b32 exec_lo, exec_lo, s29
	v_cmp_lt_u32_e64 s28, v51, v153
	s_and_saveexec_b32 s30, s28
	s_cbranch_execz .LBB942_199
.LBB942_271:                            ;   in Loop: Header=BB942_108 Depth=2
	ds_read_u16 v154, v74 offset:3584
	s_waitcnt lgkmcnt(0)
	v_lshrrev_b32_sdwa v3, s61, v154 dst_sel:DWORD dst_unused:UNUSED_PAD src0_sel:DWORD src1_sel:WORD_0
	v_and_b32_e32 v3, s62, v3
	v_lshlrev_b32_e32 v3, 2, v3
	ds_read_b32 v3, v3
	s_waitcnt lgkmcnt(0)
	v_add_nc_u32_e32 v3, v3, v51
	v_lshlrev_b64 v[39:40], 1, v[3:4]
	v_xor_b32_e32 v3, 0x7fff, v154
	v_add_co_u32 v39, s29, s46, v39
	v_add_co_ci_u32_e64 v40, null, s47, v40, s29
	global_store_short v[39:40], v3, off
	s_or_b32 exec_lo, exec_lo, s30
	v_cmp_lt_u32_e64 s29, v52, v153
	s_and_saveexec_b32 s31, s29
	s_cbranch_execz .LBB942_200
.LBB942_272:                            ;   in Loop: Header=BB942_108 Depth=2
	ds_read_u16 v154, v74 offset:4096
	s_waitcnt lgkmcnt(0)
	v_lshrrev_b32_sdwa v3, s61, v154 dst_sel:DWORD dst_unused:UNUSED_PAD src0_sel:DWORD src1_sel:WORD_0
	v_and_b32_e32 v3, s62, v3
	v_lshlrev_b32_e32 v3, 2, v3
	ds_read_b32 v3, v3
	s_waitcnt lgkmcnt(0)
	v_add_nc_u32_e32 v3, v3, v52
	v_lshlrev_b64 v[39:40], 1, v[3:4]
	v_xor_b32_e32 v3, 0x7fff, v154
	v_add_co_u32 v39, s30, s46, v39
	v_add_co_ci_u32_e64 v40, null, s47, v40, s30
	global_store_short v[39:40], v3, off
	s_or_b32 exec_lo, exec_lo, s31
	v_cmp_lt_u32_e64 s30, v53, v153
	s_and_saveexec_b32 s33, s30
	s_cbranch_execz .LBB942_201
.LBB942_273:                            ;   in Loop: Header=BB942_108 Depth=2
	ds_read_u16 v154, v74 offset:4608
	s_waitcnt lgkmcnt(0)
	v_lshrrev_b32_sdwa v3, s61, v154 dst_sel:DWORD dst_unused:UNUSED_PAD src0_sel:DWORD src1_sel:WORD_0
	v_and_b32_e32 v3, s62, v3
	v_lshlrev_b32_e32 v3, 2, v3
	ds_read_b32 v3, v3
	s_waitcnt lgkmcnt(0)
	v_add_nc_u32_e32 v3, v3, v53
	v_lshlrev_b64 v[39:40], 1, v[3:4]
	v_xor_b32_e32 v3, 0x7fff, v154
	v_add_co_u32 v39, s31, s46, v39
	v_add_co_ci_u32_e64 v40, null, s47, v40, s31
	global_store_short v[39:40], v3, off
	s_or_b32 exec_lo, exec_lo, s33
	v_cmp_lt_u32_e64 s31, v54, v153
	s_and_saveexec_b32 s34, s31
	s_cbranch_execz .LBB942_202
.LBB942_274:                            ;   in Loop: Header=BB942_108 Depth=2
	ds_read_u16 v154, v74 offset:5120
	s_waitcnt lgkmcnt(0)
	v_lshrrev_b32_sdwa v3, s61, v154 dst_sel:DWORD dst_unused:UNUSED_PAD src0_sel:DWORD src1_sel:WORD_0
	v_and_b32_e32 v3, s62, v3
	v_lshlrev_b32_e32 v3, 2, v3
	ds_read_b32 v3, v3
	s_waitcnt lgkmcnt(0)
	v_add_nc_u32_e32 v3, v3, v54
	v_lshlrev_b64 v[39:40], 1, v[3:4]
	v_xor_b32_e32 v3, 0x7fff, v154
	v_add_co_u32 v39, s33, s46, v39
	v_add_co_ci_u32_e64 v40, null, s47, v40, s33
	global_store_short v[39:40], v3, off
	s_or_b32 exec_lo, exec_lo, s34
	v_cmp_lt_u32_e64 s33, v55, v153
	s_and_saveexec_b32 s35, s33
	s_cbranch_execz .LBB942_203
.LBB942_275:                            ;   in Loop: Header=BB942_108 Depth=2
	ds_read_u16 v154, v74 offset:5632
	s_waitcnt lgkmcnt(0)
	v_lshrrev_b32_sdwa v3, s61, v154 dst_sel:DWORD dst_unused:UNUSED_PAD src0_sel:DWORD src1_sel:WORD_0
	v_and_b32_e32 v3, s62, v3
	v_lshlrev_b32_e32 v3, 2, v3
	ds_read_b32 v3, v3
	s_waitcnt lgkmcnt(0)
	v_add_nc_u32_e32 v3, v3, v55
	v_lshlrev_b64 v[39:40], 1, v[3:4]
	v_xor_b32_e32 v3, 0x7fff, v154
	v_add_co_u32 v39, s34, s46, v39
	v_add_co_ci_u32_e64 v40, null, s47, v40, s34
	global_store_short v[39:40], v3, off
	s_or_b32 exec_lo, exec_lo, s35
	v_cmp_lt_u32_e64 s34, v56, v153
	s_and_saveexec_b32 s36, s34
	s_cbranch_execz .LBB942_204
.LBB942_276:                            ;   in Loop: Header=BB942_108 Depth=2
	ds_read_u16 v154, v74 offset:6144
	s_waitcnt lgkmcnt(0)
	v_lshrrev_b32_sdwa v3, s61, v154 dst_sel:DWORD dst_unused:UNUSED_PAD src0_sel:DWORD src1_sel:WORD_0
	v_and_b32_e32 v3, s62, v3
	v_lshlrev_b32_e32 v3, 2, v3
	ds_read_b32 v3, v3
	s_waitcnt lgkmcnt(0)
	v_add_nc_u32_e32 v3, v3, v56
	v_lshlrev_b64 v[39:40], 1, v[3:4]
	v_xor_b32_e32 v3, 0x7fff, v154
	v_add_co_u32 v39, s35, s46, v39
	v_add_co_ci_u32_e64 v40, null, s47, v40, s35
	global_store_short v[39:40], v3, off
	s_or_b32 exec_lo, exec_lo, s36
	v_cmp_lt_u32_e64 s35, v57, v153
	s_and_saveexec_b32 s37, s35
	s_cbranch_execz .LBB942_205
.LBB942_277:                            ;   in Loop: Header=BB942_108 Depth=2
	ds_read_u16 v154, v74 offset:6656
	s_waitcnt lgkmcnt(0)
	v_lshrrev_b32_sdwa v3, s61, v154 dst_sel:DWORD dst_unused:UNUSED_PAD src0_sel:DWORD src1_sel:WORD_0
	v_and_b32_e32 v3, s62, v3
	v_lshlrev_b32_e32 v3, 2, v3
	ds_read_b32 v3, v3
	s_waitcnt lgkmcnt(0)
	v_add_nc_u32_e32 v3, v3, v57
	v_lshlrev_b64 v[39:40], 1, v[3:4]
	v_xor_b32_e32 v3, 0x7fff, v154
	v_add_co_u32 v39, s36, s46, v39
	v_add_co_ci_u32_e64 v40, null, s47, v40, s36
	global_store_short v[39:40], v3, off
	s_or_b32 exec_lo, exec_lo, s37
	v_cmp_lt_u32_e64 s36, v58, v153
	s_and_saveexec_b32 s38, s36
	s_cbranch_execz .LBB942_206
.LBB942_278:                            ;   in Loop: Header=BB942_108 Depth=2
	ds_read_u16 v154, v74 offset:7168
	s_waitcnt lgkmcnt(0)
	v_lshrrev_b32_sdwa v3, s61, v154 dst_sel:DWORD dst_unused:UNUSED_PAD src0_sel:DWORD src1_sel:WORD_0
	v_and_b32_e32 v3, s62, v3
	v_lshlrev_b32_e32 v3, 2, v3
	ds_read_b32 v3, v3
	s_waitcnt lgkmcnt(0)
	v_add_nc_u32_e32 v3, v3, v58
	v_lshlrev_b64 v[39:40], 1, v[3:4]
	v_xor_b32_e32 v3, 0x7fff, v154
	v_add_co_u32 v39, s37, s46, v39
	v_add_co_ci_u32_e64 v40, null, s47, v40, s37
	global_store_short v[39:40], v3, off
	s_or_b32 exec_lo, exec_lo, s38
	v_cmp_lt_u32_e64 s37, v59, v153
	s_and_saveexec_b32 s39, s37
	s_cbranch_execz .LBB942_207
.LBB942_279:                            ;   in Loop: Header=BB942_108 Depth=2
	ds_read_u16 v154, v74 offset:7680
	s_waitcnt lgkmcnt(0)
	v_lshrrev_b32_sdwa v3, s61, v154 dst_sel:DWORD dst_unused:UNUSED_PAD src0_sel:DWORD src1_sel:WORD_0
	v_and_b32_e32 v3, s62, v3
	v_lshlrev_b32_e32 v3, 2, v3
	ds_read_b32 v3, v3
	s_waitcnt lgkmcnt(0)
	v_add_nc_u32_e32 v3, v3, v59
	v_lshlrev_b64 v[39:40], 1, v[3:4]
	v_xor_b32_e32 v3, 0x7fff, v154
	v_add_co_u32 v39, s38, s46, v39
	v_add_co_ci_u32_e64 v40, null, s47, v40, s38
	global_store_short v[39:40], v3, off
	s_or_b32 exec_lo, exec_lo, s39
	v_cmp_lt_u32_e64 s38, v60, v153
	s_and_saveexec_b32 s40, s38
	s_cbranch_execz .LBB942_208
.LBB942_280:                            ;   in Loop: Header=BB942_108 Depth=2
	ds_read_u16 v154, v74 offset:8192
	s_waitcnt lgkmcnt(0)
	v_lshrrev_b32_sdwa v3, s61, v154 dst_sel:DWORD dst_unused:UNUSED_PAD src0_sel:DWORD src1_sel:WORD_0
	v_and_b32_e32 v3, s62, v3
	v_lshlrev_b32_e32 v3, 2, v3
	ds_read_b32 v3, v3
	s_waitcnt lgkmcnt(0)
	v_add_nc_u32_e32 v3, v3, v60
	v_lshlrev_b64 v[39:40], 1, v[3:4]
	v_xor_b32_e32 v3, 0x7fff, v154
	v_add_co_u32 v39, s39, s46, v39
	v_add_co_ci_u32_e64 v40, null, s47, v40, s39
	global_store_short v[39:40], v3, off
	s_or_b32 exec_lo, exec_lo, s40
	v_cmp_lt_u32_e64 s39, v61, v153
	s_and_saveexec_b32 s65, s39
	s_cbranch_execnz .LBB942_209
	s_branch .LBB942_210
.LBB942_281:                            ;   in Loop: Header=BB942_108 Depth=2
	global_load_dwordx2 v[37:38], v[39:40], off
	s_or_b32 exec_lo, exec_lo, s40
	s_mov_b32 s50, exec_lo
	v_cmpx_lt_u32_e64 v98, v153
	s_cbranch_execz .LBB942_212
.LBB942_282:                            ;   in Loop: Header=BB942_108 Depth=2
	global_load_dwordx2 v[35:36], v[39:40], off offset:256
	s_or_b32 exec_lo, exec_lo, s50
	s_mov_b32 s50, exec_lo
	v_cmpx_lt_u32_e64 v99, v153
	s_cbranch_execz .LBB942_213
.LBB942_283:                            ;   in Loop: Header=BB942_108 Depth=2
	global_load_dwordx2 v[33:34], v[39:40], off offset:512
	s_or_b32 exec_lo, exec_lo, s50
	s_mov_b32 s50, exec_lo
	v_cmpx_lt_u32_e64 v100, v153
	s_cbranch_execz .LBB942_214
.LBB942_284:                            ;   in Loop: Header=BB942_108 Depth=2
	global_load_dwordx2 v[31:32], v[39:40], off offset:768
	s_or_b32 exec_lo, exec_lo, s50
	s_mov_b32 s50, exec_lo
	v_cmpx_lt_u32_e64 v101, v153
	s_cbranch_execz .LBB942_215
.LBB942_285:                            ;   in Loop: Header=BB942_108 Depth=2
	global_load_dwordx2 v[29:30], v[39:40], off offset:1024
	s_or_b32 exec_lo, exec_lo, s50
	s_mov_b32 s50, exec_lo
	v_cmpx_lt_u32_e64 v102, v153
	s_cbranch_execz .LBB942_216
.LBB942_286:                            ;   in Loop: Header=BB942_108 Depth=2
	global_load_dwordx2 v[25:26], v[39:40], off offset:1280
	s_or_b32 exec_lo, exec_lo, s50
	s_mov_b32 s50, exec_lo
	v_cmpx_lt_u32_e64 v103, v153
	s_cbranch_execz .LBB942_217
.LBB942_287:                            ;   in Loop: Header=BB942_108 Depth=2
	global_load_dwordx2 v[21:22], v[39:40], off offset:1536
	s_or_b32 exec_lo, exec_lo, s50
	s_mov_b32 s50, exec_lo
	v_cmpx_lt_u32_e64 v104, v153
	s_cbranch_execz .LBB942_218
.LBB942_288:                            ;   in Loop: Header=BB942_108 Depth=2
	global_load_dwordx2 v[17:18], v[39:40], off offset:1792
	s_or_b32 exec_lo, exec_lo, s50
	s_mov_b32 s50, exec_lo
	v_cmpx_lt_u32_e64 v105, v153
	s_cbranch_execz .LBB942_219
.LBB942_289:                            ;   in Loop: Header=BB942_108 Depth=2
	v_add_co_u32 v27, s40, 0x800, v39
	v_add_co_ci_u32_e64 v28, null, 0, v40, s40
	global_load_dwordx2 v[27:28], v[27:28], off
	s_or_b32 exec_lo, exec_lo, s50
	s_mov_b32 s50, exec_lo
	v_cmpx_lt_u32_e64 v106, v153
	s_cbranch_execz .LBB942_220
.LBB942_290:                            ;   in Loop: Header=BB942_108 Depth=2
	v_add_co_u32 v23, s40, 0x800, v39
	v_add_co_ci_u32_e64 v24, null, 0, v40, s40
	global_load_dwordx2 v[23:24], v[23:24], off offset:256
	s_or_b32 exec_lo, exec_lo, s50
	s_mov_b32 s50, exec_lo
	v_cmpx_lt_u32_e64 v107, v153
	s_cbranch_execz .LBB942_221
.LBB942_291:                            ;   in Loop: Header=BB942_108 Depth=2
	v_add_co_u32 v19, s40, 0x800, v39
	v_add_co_ci_u32_e64 v20, null, 0, v40, s40
	global_load_dwordx2 v[19:20], v[19:20], off offset:512
	s_or_b32 exec_lo, exec_lo, s50
	s_mov_b32 s50, exec_lo
	v_cmpx_lt_u32_e64 v108, v153
	s_cbranch_execz .LBB942_222
.LBB942_292:                            ;   in Loop: Header=BB942_108 Depth=2
	v_add_co_u32 v15, s40, 0x800, v39
	v_add_co_ci_u32_e64 v16, null, 0, v40, s40
	global_load_dwordx2 v[15:16], v[15:16], off offset:768
	s_or_b32 exec_lo, exec_lo, s50
	s_mov_b32 s50, exec_lo
	v_cmpx_lt_u32_e64 v126, v153
	s_cbranch_execz .LBB942_223
.LBB942_293:                            ;   in Loop: Header=BB942_108 Depth=2
	v_add_co_u32 v13, s40, 0x800, v39
	v_add_co_ci_u32_e64 v14, null, 0, v40, s40
	global_load_dwordx2 v[13:14], v[13:14], off offset:1024
	s_or_b32 exec_lo, exec_lo, s50
	s_mov_b32 s50, exec_lo
	v_cmpx_lt_u32_e64 v127, v153
	s_cbranch_execz .LBB942_224
.LBB942_294:                            ;   in Loop: Header=BB942_108 Depth=2
	v_add_co_u32 v11, s40, 0x800, v39
	v_add_co_ci_u32_e64 v12, null, 0, v40, s40
	global_load_dwordx2 v[11:12], v[11:12], off offset:1280
	s_or_b32 exec_lo, exec_lo, s50
	s_mov_b32 s50, exec_lo
	v_cmpx_lt_u32_e64 v128, v153
	s_cbranch_execz .LBB942_225
.LBB942_295:                            ;   in Loop: Header=BB942_108 Depth=2
	v_add_co_u32 v9, s40, 0x800, v39
	v_add_co_ci_u32_e64 v10, null, 0, v40, s40
	global_load_dwordx2 v[9:10], v[9:10], off offset:1536
	s_or_b32 exec_lo, exec_lo, s50
	s_mov_b32 s50, exec_lo
	v_cmpx_lt_u32_e64 v129, v153
	s_cbranch_execz .LBB942_226
.LBB942_296:                            ;   in Loop: Header=BB942_108 Depth=2
	v_add_co_u32 v7, s40, 0x800, v39
	v_add_co_ci_u32_e64 v8, null, 0, v40, s40
	global_load_dwordx2 v[7:8], v[7:8], off offset:1792
	s_or_b32 exec_lo, exec_lo, s50
	s_mov_b32 s50, exec_lo
	v_cmpx_lt_u32_e64 v130, v153
	s_cbranch_execz .LBB942_227
.LBB942_297:                            ;   in Loop: Header=BB942_108 Depth=2
	v_add_co_u32 v5, s40, 0x1000, v39
	v_add_co_ci_u32_e64 v6, null, 0, v40, s40
	global_load_dwordx2 v[5:6], v[5:6], off
	s_or_b32 exec_lo, exec_lo, s50
	s_and_saveexec_b32 s40, vcc_lo
	s_cbranch_execz .LBB942_228
.LBB942_298:                            ;   in Loop: Header=BB942_108 Depth=2
	ds_read_u16 v3, v74 offset:512
	s_waitcnt lgkmcnt(0)
	v_lshrrev_b32_e32 v3, s61, v3
	v_and_b32_e32 v151, s62, v3
	s_or_b32 exec_lo, exec_lo, s40
	s_and_saveexec_b32 s40, s23
	s_cbranch_execz .LBB942_229
.LBB942_299:                            ;   in Loop: Header=BB942_108 Depth=2
	ds_read_u16 v3, v74 offset:1024
	s_waitcnt lgkmcnt(0)
	v_lshrrev_b32_e32 v3, s61, v3
	v_and_b32_e32 v150, s62, v3
	s_or_b32 exec_lo, exec_lo, s40
	s_and_saveexec_b32 s40, s24
	s_cbranch_execz .LBB942_230
.LBB942_300:                            ;   in Loop: Header=BB942_108 Depth=2
	ds_read_u16 v3, v74 offset:1536
	s_waitcnt lgkmcnt(0)
	v_lshrrev_b32_e32 v3, s61, v3
	v_and_b32_e32 v148, s62, v3
	s_or_b32 exec_lo, exec_lo, s40
	s_and_saveexec_b32 s40, s25
	s_cbranch_execz .LBB942_231
.LBB942_301:                            ;   in Loop: Header=BB942_108 Depth=2
	ds_read_u16 v3, v74 offset:2048
	s_waitcnt lgkmcnt(0)
	v_lshrrev_b32_e32 v3, s61, v3
	v_and_b32_e32 v147, s62, v3
	s_or_b32 exec_lo, exec_lo, s40
	s_and_saveexec_b32 s40, s26
	s_cbranch_execz .LBB942_232
.LBB942_302:                            ;   in Loop: Header=BB942_108 Depth=2
	ds_read_u16 v3, v74 offset:2560
	s_waitcnt lgkmcnt(0)
	v_lshrrev_b32_e32 v3, s61, v3
	v_and_b32_e32 v146, s62, v3
	s_or_b32 exec_lo, exec_lo, s40
	s_and_saveexec_b32 s40, s27
	s_cbranch_execz .LBB942_233
.LBB942_303:                            ;   in Loop: Header=BB942_108 Depth=2
	ds_read_u16 v3, v74 offset:3072
	s_waitcnt lgkmcnt(0)
	v_lshrrev_b32_e32 v3, s61, v3
	v_and_b32_e32 v145, s62, v3
	s_or_b32 exec_lo, exec_lo, s40
	s_and_saveexec_b32 s40, s28
	s_cbranch_execz .LBB942_234
.LBB942_304:                            ;   in Loop: Header=BB942_108 Depth=2
	ds_read_u16 v3, v74 offset:3584
	s_waitcnt lgkmcnt(0)
	v_lshrrev_b32_e32 v3, s61, v3
	v_and_b32_e32 v144, s62, v3
	s_or_b32 exec_lo, exec_lo, s40
	s_and_saveexec_b32 s40, s29
	s_cbranch_execz .LBB942_235
.LBB942_305:                            ;   in Loop: Header=BB942_108 Depth=2
	ds_read_u16 v3, v74 offset:4096
	s_waitcnt lgkmcnt(0)
	v_lshrrev_b32_e32 v3, s61, v3
	v_and_b32_e32 v143, s62, v3
	s_or_b32 exec_lo, exec_lo, s40
	s_and_saveexec_b32 s40, s30
	s_cbranch_execz .LBB942_236
.LBB942_306:                            ;   in Loop: Header=BB942_108 Depth=2
	ds_read_u16 v3, v74 offset:4608
	s_waitcnt lgkmcnt(0)
	v_lshrrev_b32_e32 v3, s61, v3
	v_and_b32_e32 v142, s62, v3
	s_or_b32 exec_lo, exec_lo, s40
	s_and_saveexec_b32 s40, s31
	s_cbranch_execz .LBB942_237
.LBB942_307:                            ;   in Loop: Header=BB942_108 Depth=2
	ds_read_u16 v3, v74 offset:5120
	s_waitcnt lgkmcnt(0)
	v_lshrrev_b32_e32 v3, s61, v3
	v_and_b32_e32 v141, s62, v3
	s_or_b32 exec_lo, exec_lo, s40
	s_and_saveexec_b32 s40, s33
	s_cbranch_execz .LBB942_238
.LBB942_308:                            ;   in Loop: Header=BB942_108 Depth=2
	ds_read_u16 v3, v74 offset:5632
	s_waitcnt lgkmcnt(0)
	v_lshrrev_b32_e32 v3, s61, v3
	v_and_b32_e32 v140, s62, v3
	s_or_b32 exec_lo, exec_lo, s40
	s_and_saveexec_b32 s40, s34
	s_cbranch_execz .LBB942_239
.LBB942_309:                            ;   in Loop: Header=BB942_108 Depth=2
	ds_read_u16 v3, v74 offset:6144
	s_waitcnt lgkmcnt(0)
	v_lshrrev_b32_e32 v3, s61, v3
	v_and_b32_e32 v139, s62, v3
	s_or_b32 exec_lo, exec_lo, s40
	s_and_saveexec_b32 s40, s35
	s_cbranch_execz .LBB942_240
.LBB942_310:                            ;   in Loop: Header=BB942_108 Depth=2
	ds_read_u16 v3, v74 offset:6656
	s_waitcnt lgkmcnt(0)
	v_lshrrev_b32_e32 v3, s61, v3
	v_and_b32_e32 v138, s62, v3
	s_or_b32 exec_lo, exec_lo, s40
	s_and_saveexec_b32 s40, s36
	s_cbranch_execz .LBB942_241
.LBB942_311:                            ;   in Loop: Header=BB942_108 Depth=2
	ds_read_u16 v3, v74 offset:7168
	s_waitcnt lgkmcnt(0)
	v_lshrrev_b32_e32 v3, s61, v3
	v_and_b32_e32 v137, s62, v3
	s_or_b32 exec_lo, exec_lo, s40
	s_and_saveexec_b32 s40, s37
	s_cbranch_execz .LBB942_242
.LBB942_312:                            ;   in Loop: Header=BB942_108 Depth=2
	ds_read_u16 v3, v74 offset:7680
	s_waitcnt lgkmcnt(0)
	v_lshrrev_b32_e32 v3, s61, v3
	v_and_b32_e32 v136, s62, v3
	s_or_b32 exec_lo, exec_lo, s40
	s_and_saveexec_b32 s40, s38
	s_cbranch_execz .LBB942_243
.LBB942_313:                            ;   in Loop: Header=BB942_108 Depth=2
	ds_read_u16 v3, v74 offset:8192
	s_waitcnt lgkmcnt(0)
	v_lshrrev_b32_e32 v3, s61, v3
	v_and_b32_e32 v135, s62, v3
	s_or_b32 exec_lo, exec_lo, s40
	s_and_saveexec_b32 s40, s39
	s_cbranch_execnz .LBB942_244
	s_branch .LBB942_245
.LBB942_314:                            ;   in Loop: Header=BB942_108 Depth=2
	v_lshlrev_b32_e32 v3, 2, v151
	v_add_nc_u32_e32 v39, v74, v75
	ds_read_b32 v3, v3
	ds_read_b64 v[39:40], v39 offset:512
	s_waitcnt lgkmcnt(1)
	v_add_nc_u32_e32 v3, v3, v0
	v_lshlrev_b64 v[41:42], 3, v[3:4]
	v_add_co_u32 v41, vcc_lo, s52, v41
	v_add_co_ci_u32_e64 v42, null, s53, v42, vcc_lo
	s_waitcnt lgkmcnt(0)
	global_store_dwordx2 v[41:42], v[39:40], off
	s_or_b32 exec_lo, exec_lo, s40
	s_and_saveexec_b32 s40, s23
	s_cbranch_execz .LBB942_247
.LBB942_315:                            ;   in Loop: Header=BB942_108 Depth=2
	v_lshlrev_b32_e32 v3, 2, v150
	v_add_nc_u32_e32 v39, v74, v75
	ds_read_b32 v3, v3
	ds_read_b64 v[39:40], v39 offset:2560
	s_waitcnt lgkmcnt(1)
	v_add_nc_u32_e32 v3, v3, v44
	v_lshlrev_b64 v[41:42], 3, v[3:4]
	v_add_co_u32 v41, vcc_lo, s52, v41
	v_add_co_ci_u32_e64 v42, null, s53, v42, vcc_lo
	s_waitcnt lgkmcnt(0)
	global_store_dwordx2 v[41:42], v[39:40], off
	s_or_b32 exec_lo, exec_lo, s40
	s_and_saveexec_b32 s23, s24
	s_cbranch_execz .LBB942_248
.LBB942_316:                            ;   in Loop: Header=BB942_108 Depth=2
	v_lshlrev_b32_e32 v3, 2, v148
	v_add_nc_u32_e32 v39, v74, v75
	ds_read_b32 v3, v3
	ds_read_b64 v[39:40], v39 offset:4608
	s_waitcnt lgkmcnt(1)
	v_add_nc_u32_e32 v3, v3, v47
	v_lshlrev_b64 v[41:42], 3, v[3:4]
	v_add_co_u32 v41, vcc_lo, s52, v41
	v_add_co_ci_u32_e64 v42, null, s53, v42, vcc_lo
	s_waitcnt lgkmcnt(0)
	global_store_dwordx2 v[41:42], v[39:40], off
	s_or_b32 exec_lo, exec_lo, s23
	s_and_saveexec_b32 s23, s25
	s_cbranch_execz .LBB942_249
.LBB942_317:                            ;   in Loop: Header=BB942_108 Depth=2
	v_lshlrev_b32_e32 v3, 2, v147
	v_add_nc_u32_e32 v39, v74, v75
	ds_read_b32 v3, v3
	ds_read_b64 v[39:40], v39 offset:6656
	s_waitcnt lgkmcnt(1)
	v_add_nc_u32_e32 v3, v3, v48
	v_lshlrev_b64 v[41:42], 3, v[3:4]
	v_add_co_u32 v41, vcc_lo, s52, v41
	v_add_co_ci_u32_e64 v42, null, s53, v42, vcc_lo
	s_waitcnt lgkmcnt(0)
	global_store_dwordx2 v[41:42], v[39:40], off
	s_or_b32 exec_lo, exec_lo, s23
	s_and_saveexec_b32 s23, s26
	s_cbranch_execz .LBB942_250
.LBB942_318:                            ;   in Loop: Header=BB942_108 Depth=2
	v_lshlrev_b32_e32 v3, 2, v146
	v_add_nc_u32_e32 v39, v74, v75
	ds_read_b32 v3, v3
	ds_read_b64 v[39:40], v39 offset:8704
	s_waitcnt lgkmcnt(1)
	v_add_nc_u32_e32 v3, v3, v49
	v_lshlrev_b64 v[41:42], 3, v[3:4]
	v_add_co_u32 v41, vcc_lo, s52, v41
	v_add_co_ci_u32_e64 v42, null, s53, v42, vcc_lo
	s_waitcnt lgkmcnt(0)
	global_store_dwordx2 v[41:42], v[39:40], off
	s_or_b32 exec_lo, exec_lo, s23
	s_and_saveexec_b32 s23, s27
	s_cbranch_execz .LBB942_251
.LBB942_319:                            ;   in Loop: Header=BB942_108 Depth=2
	v_lshlrev_b32_e32 v3, 2, v145
	v_add_nc_u32_e32 v39, v74, v75
	ds_read_b32 v3, v3
	ds_read_b64 v[39:40], v39 offset:10752
	s_waitcnt lgkmcnt(1)
	v_add_nc_u32_e32 v3, v3, v50
	v_lshlrev_b64 v[41:42], 3, v[3:4]
	v_add_co_u32 v41, vcc_lo, s52, v41
	v_add_co_ci_u32_e64 v42, null, s53, v42, vcc_lo
	s_waitcnt lgkmcnt(0)
	global_store_dwordx2 v[41:42], v[39:40], off
	s_or_b32 exec_lo, exec_lo, s23
	s_and_saveexec_b32 s23, s28
	s_cbranch_execz .LBB942_252
.LBB942_320:                            ;   in Loop: Header=BB942_108 Depth=2
	v_lshlrev_b32_e32 v3, 2, v144
	v_add_nc_u32_e32 v39, v74, v75
	ds_read_b32 v3, v3
	ds_read_b64 v[39:40], v39 offset:12800
	s_waitcnt lgkmcnt(1)
	v_add_nc_u32_e32 v3, v3, v51
	v_lshlrev_b64 v[41:42], 3, v[3:4]
	v_add_co_u32 v41, vcc_lo, s52, v41
	v_add_co_ci_u32_e64 v42, null, s53, v42, vcc_lo
	s_waitcnt lgkmcnt(0)
	global_store_dwordx2 v[41:42], v[39:40], off
	s_or_b32 exec_lo, exec_lo, s23
	s_and_saveexec_b32 s23, s29
	s_cbranch_execz .LBB942_253
.LBB942_321:                            ;   in Loop: Header=BB942_108 Depth=2
	v_lshlrev_b32_e32 v3, 2, v143
	v_add_nc_u32_e32 v39, v74, v75
	ds_read_b32 v3, v3
	ds_read_b64 v[39:40], v39 offset:14848
	s_waitcnt lgkmcnt(1)
	v_add_nc_u32_e32 v3, v3, v52
	v_lshlrev_b64 v[41:42], 3, v[3:4]
	v_add_co_u32 v41, vcc_lo, s52, v41
	v_add_co_ci_u32_e64 v42, null, s53, v42, vcc_lo
	s_waitcnt lgkmcnt(0)
	global_store_dwordx2 v[41:42], v[39:40], off
	s_or_b32 exec_lo, exec_lo, s23
	s_and_saveexec_b32 s23, s30
	s_cbranch_execz .LBB942_254
.LBB942_322:                            ;   in Loop: Header=BB942_108 Depth=2
	v_lshlrev_b32_e32 v3, 2, v142
	v_add_nc_u32_e32 v39, v74, v75
	ds_read_b32 v3, v3
	ds_read_b64 v[39:40], v39 offset:16896
	s_waitcnt lgkmcnt(1)
	v_add_nc_u32_e32 v3, v3, v53
	v_lshlrev_b64 v[41:42], 3, v[3:4]
	v_add_co_u32 v41, vcc_lo, s52, v41
	v_add_co_ci_u32_e64 v42, null, s53, v42, vcc_lo
	s_waitcnt lgkmcnt(0)
	global_store_dwordx2 v[41:42], v[39:40], off
	s_or_b32 exec_lo, exec_lo, s23
	s_and_saveexec_b32 s23, s31
	s_cbranch_execz .LBB942_255
.LBB942_323:                            ;   in Loop: Header=BB942_108 Depth=2
	v_lshlrev_b32_e32 v3, 2, v141
	v_add_nc_u32_e32 v39, v74, v75
	ds_read_b32 v3, v3
	ds_read_b64 v[39:40], v39 offset:18944
	s_waitcnt lgkmcnt(1)
	v_add_nc_u32_e32 v3, v3, v54
	v_lshlrev_b64 v[41:42], 3, v[3:4]
	v_add_co_u32 v41, vcc_lo, s52, v41
	v_add_co_ci_u32_e64 v42, null, s53, v42, vcc_lo
	s_waitcnt lgkmcnt(0)
	global_store_dwordx2 v[41:42], v[39:40], off
	s_or_b32 exec_lo, exec_lo, s23
	s_and_saveexec_b32 s23, s33
	s_cbranch_execz .LBB942_256
.LBB942_324:                            ;   in Loop: Header=BB942_108 Depth=2
	v_lshlrev_b32_e32 v3, 2, v140
	v_add_nc_u32_e32 v39, v74, v75
	ds_read_b32 v3, v3
	ds_read_b64 v[39:40], v39 offset:20992
	s_waitcnt lgkmcnt(1)
	v_add_nc_u32_e32 v3, v3, v55
	v_lshlrev_b64 v[41:42], 3, v[3:4]
	v_add_co_u32 v41, vcc_lo, s52, v41
	v_add_co_ci_u32_e64 v42, null, s53, v42, vcc_lo
	s_waitcnt lgkmcnt(0)
	global_store_dwordx2 v[41:42], v[39:40], off
	s_or_b32 exec_lo, exec_lo, s23
	s_and_saveexec_b32 s23, s34
	s_cbranch_execz .LBB942_257
.LBB942_325:                            ;   in Loop: Header=BB942_108 Depth=2
	v_lshlrev_b32_e32 v3, 2, v139
	v_add_nc_u32_e32 v39, v74, v75
	ds_read_b32 v3, v3
	ds_read_b64 v[39:40], v39 offset:23040
	s_waitcnt lgkmcnt(1)
	v_add_nc_u32_e32 v3, v3, v56
	v_lshlrev_b64 v[41:42], 3, v[3:4]
	v_add_co_u32 v41, vcc_lo, s52, v41
	v_add_co_ci_u32_e64 v42, null, s53, v42, vcc_lo
	s_waitcnt lgkmcnt(0)
	global_store_dwordx2 v[41:42], v[39:40], off
	s_or_b32 exec_lo, exec_lo, s23
	s_and_saveexec_b32 s23, s35
	s_cbranch_execz .LBB942_258
.LBB942_326:                            ;   in Loop: Header=BB942_108 Depth=2
	v_lshlrev_b32_e32 v3, 2, v138
	v_add_nc_u32_e32 v39, v74, v75
	ds_read_b32 v3, v3
	ds_read_b64 v[39:40], v39 offset:25088
	s_waitcnt lgkmcnt(1)
	v_add_nc_u32_e32 v3, v3, v57
	v_lshlrev_b64 v[41:42], 3, v[3:4]
	v_add_co_u32 v41, vcc_lo, s52, v41
	v_add_co_ci_u32_e64 v42, null, s53, v42, vcc_lo
	s_waitcnt lgkmcnt(0)
	global_store_dwordx2 v[41:42], v[39:40], off
	s_or_b32 exec_lo, exec_lo, s23
	s_and_saveexec_b32 s23, s36
	s_cbranch_execz .LBB942_259
.LBB942_327:                            ;   in Loop: Header=BB942_108 Depth=2
	v_lshlrev_b32_e32 v3, 2, v137
	v_add_nc_u32_e32 v39, v74, v75
	ds_read_b32 v3, v3
	ds_read_b64 v[39:40], v39 offset:27136
	s_waitcnt lgkmcnt(1)
	v_add_nc_u32_e32 v3, v3, v58
	v_lshlrev_b64 v[41:42], 3, v[3:4]
	v_add_co_u32 v41, vcc_lo, s52, v41
	v_add_co_ci_u32_e64 v42, null, s53, v42, vcc_lo
	s_waitcnt lgkmcnt(0)
	global_store_dwordx2 v[41:42], v[39:40], off
	s_or_b32 exec_lo, exec_lo, s23
	s_and_saveexec_b32 s23, s37
	s_cbranch_execz .LBB942_260
.LBB942_328:                            ;   in Loop: Header=BB942_108 Depth=2
	v_lshlrev_b32_e32 v3, 2, v136
	v_add_nc_u32_e32 v39, v74, v75
	ds_read_b32 v3, v3
	ds_read_b64 v[39:40], v39 offset:29184
	s_waitcnt lgkmcnt(1)
	v_add_nc_u32_e32 v3, v3, v59
	v_lshlrev_b64 v[41:42], 3, v[3:4]
	v_add_co_u32 v41, vcc_lo, s52, v41
	v_add_co_ci_u32_e64 v42, null, s53, v42, vcc_lo
	s_waitcnt lgkmcnt(0)
	global_store_dwordx2 v[41:42], v[39:40], off
	s_or_b32 exec_lo, exec_lo, s23
	s_and_saveexec_b32 s23, s38
	s_cbranch_execz .LBB942_261
.LBB942_329:                            ;   in Loop: Header=BB942_108 Depth=2
	v_lshlrev_b32_e32 v3, 2, v135
	v_add_nc_u32_e32 v39, v74, v75
	ds_read_b32 v3, v3
	ds_read_b64 v[39:40], v39 offset:31232
	s_waitcnt lgkmcnt(1)
	v_add_nc_u32_e32 v3, v3, v60
	v_lshlrev_b64 v[41:42], 3, v[3:4]
	v_add_co_u32 v41, vcc_lo, s52, v41
	v_add_co_ci_u32_e64 v42, null, s53, v42, vcc_lo
	s_waitcnt lgkmcnt(0)
	global_store_dwordx2 v[41:42], v[39:40], off
	s_or_b32 exec_lo, exec_lo, s23
	s_and_saveexec_b32 s23, s39
	s_cbranch_execnz .LBB942_262
	s_branch .LBB942_263
.LBB942_330:                            ;   in Loop: Header=BB942_20 Depth=1
	s_waitcnt lgkmcnt(0)
	s_mov_b32 s5, 0
	s_barrier
.LBB942_331:                            ;   in Loop: Header=BB942_20 Depth=1
	s_and_b32 vcc_lo, exec_lo, s5
	s_cbranch_vccz .LBB942_641
; %bb.332:                              ;   in Loop: Header=BB942_20 Depth=1
	s_mov_b32 s5, s60
	s_mov_b32 s50, s58
	s_barrier
	buffer_gl0_inv
                                        ; implicit-def: $vgpr3
                                        ; implicit-def: $vgpr5
                                        ; implicit-def: $vgpr6
                                        ; implicit-def: $vgpr7
                                        ; implicit-def: $vgpr8
                                        ; implicit-def: $vgpr9
                                        ; implicit-def: $vgpr10
                                        ; implicit-def: $vgpr11
                                        ; implicit-def: $vgpr12
                                        ; implicit-def: $vgpr13
                                        ; implicit-def: $vgpr14
                                        ; implicit-def: $vgpr15
                                        ; implicit-def: $vgpr16
                                        ; implicit-def: $vgpr17
                                        ; implicit-def: $vgpr18
                                        ; implicit-def: $vgpr19
                                        ; implicit-def: $vgpr20
	s_branch .LBB942_334
.LBB942_333:                            ;   in Loop: Header=BB942_334 Depth=2
	s_or_b32 exec_lo, exec_lo, s16
	s_addk_i32 s5, 0xef00
	s_cmp_ge_u32 s18, s59
	s_mov_b32 s50, s18
	s_cbranch_scc1 .LBB942_406
.LBB942_334:                            ;   Parent Loop BB942_20 Depth=1
                                        ; =>  This Inner Loop Header: Depth=2
	s_add_i32 s18, s50, 0x1100
	s_mov_b32 s16, -1
	s_cmp_gt_u32 s18, s59
                                        ; implicit-def: $vgpr21
                                        ; implicit-def: $vgpr22
                                        ; implicit-def: $vgpr23
                                        ; implicit-def: $vgpr24
                                        ; implicit-def: $vgpr28
                                        ; implicit-def: $vgpr25
                                        ; implicit-def: $vgpr26
                                        ; implicit-def: $vgpr27
                                        ; implicit-def: $vgpr30
                                        ; implicit-def: $vgpr29
                                        ; implicit-def: $vgpr31
                                        ; implicit-def: $vgpr32
                                        ; implicit-def: $vgpr33
                                        ; implicit-def: $vgpr34
                                        ; implicit-def: $vgpr35
                                        ; implicit-def: $vgpr36
                                        ; implicit-def: $vgpr37
	s_cbranch_scc1 .LBB942_336
; %bb.335:                              ;   in Loop: Header=BB942_334 Depth=2
	s_lshl_b64 s[16:17], s[50:51], 1
	v_add_co_u32 v30, vcc_lo, v76, s16
	v_add_co_ci_u32_e64 v31, null, s17, v77, vcc_lo
	s_mov_b32 s16, 0
	v_add_co_u32 v27, vcc_lo, 0x800, v30
	v_add_co_ci_u32_e64 v28, null, 0, v31, vcc_lo
	v_add_co_u32 v32, vcc_lo, v30, 0x1000
	v_add_co_ci_u32_e64 v33, null, 0, v31, vcc_lo
	;; [unrolled: 2-line block ×5, first 2 shown]
	s_clause 0x10
	global_load_ushort v21, v[30:31], off
	global_load_ushort v22, v[30:31], off offset:512
	global_load_ushort v23, v[30:31], off offset:1024
	;; [unrolled: 1-line block ×7, first 2 shown]
	global_load_ushort v28, v[32:33], off offset:-2048
	global_load_ushort v30, v[32:33], off
	global_load_ushort v31, v[34:35], off offset:1024
	global_load_ushort v32, v[34:35], off offset:1536
	global_load_ushort v33, v[38:39], off offset:-2048
	global_load_ushort v34, v[36:37], off offset:512
	global_load_ushort v35, v[36:37], off offset:1024
	;; [unrolled: 1-line block ×3, first 2 shown]
	global_load_ushort v37, v[38:39], off
.LBB942_336:                            ;   in Loop: Header=BB942_334 Depth=2
	s_andn2_b32 vcc_lo, exec_lo, s16
	s_movk_i32 s16, 0x1100
	s_cbranch_vccnz .LBB942_356
; %bb.337:                              ;   in Loop: Header=BB942_334 Depth=2
	s_lshl_b64 s[16:17], s[50:51], 1
	s_mov_b32 s19, exec_lo
	s_add_u32 s16, s46, s16
	s_addc_u32 s17, s47, s17
	v_cmpx_gt_u32_e64 s5, v0
	s_cbranch_execnz .LBB942_390
; %bb.338:                              ;   in Loop: Header=BB942_334 Depth=2
	s_or_b32 exec_lo, exec_lo, s19
	s_mov_b32 s19, exec_lo
	v_cmpx_gt_u32_e64 s5, v44
	s_cbranch_execnz .LBB942_391
.LBB942_339:                            ;   in Loop: Header=BB942_334 Depth=2
	s_or_b32 exec_lo, exec_lo, s19
	s_mov_b32 s19, exec_lo
	v_cmpx_gt_u32_e64 s5, v47
	s_cbranch_execnz .LBB942_392
.LBB942_340:                            ;   in Loop: Header=BB942_334 Depth=2
	s_or_b32 exec_lo, exec_lo, s19
	s_mov_b32 s19, exec_lo
	v_cmpx_gt_u32_e64 s5, v48
	s_cbranch_execnz .LBB942_393
.LBB942_341:                            ;   in Loop: Header=BB942_334 Depth=2
	s_or_b32 exec_lo, exec_lo, s19
	s_mov_b32 s19, exec_lo
	v_cmpx_gt_u32_e64 s5, v49
	s_cbranch_execnz .LBB942_394
.LBB942_342:                            ;   in Loop: Header=BB942_334 Depth=2
	s_or_b32 exec_lo, exec_lo, s19
	s_mov_b32 s19, exec_lo
	v_cmpx_gt_u32_e64 s5, v50
	s_cbranch_execnz .LBB942_395
.LBB942_343:                            ;   in Loop: Header=BB942_334 Depth=2
	s_or_b32 exec_lo, exec_lo, s19
	s_mov_b32 s19, exec_lo
	v_cmpx_gt_u32_e64 s5, v51
	s_cbranch_execnz .LBB942_396
.LBB942_344:                            ;   in Loop: Header=BB942_334 Depth=2
	s_or_b32 exec_lo, exec_lo, s19
	s_mov_b32 s19, exec_lo
	v_cmpx_gt_u32_e64 s5, v52
	s_cbranch_execnz .LBB942_397
.LBB942_345:                            ;   in Loop: Header=BB942_334 Depth=2
	s_or_b32 exec_lo, exec_lo, s19
	s_mov_b32 s19, exec_lo
	v_cmpx_gt_u32_e64 s5, v53
	s_cbranch_execnz .LBB942_398
.LBB942_346:                            ;   in Loop: Header=BB942_334 Depth=2
	s_or_b32 exec_lo, exec_lo, s19
	s_mov_b32 s19, exec_lo
	v_cmpx_gt_u32_e64 s5, v54
	s_cbranch_execnz .LBB942_399
.LBB942_347:                            ;   in Loop: Header=BB942_334 Depth=2
	s_or_b32 exec_lo, exec_lo, s19
	s_mov_b32 s19, exec_lo
	v_cmpx_gt_u32_e64 s5, v55
	s_cbranch_execnz .LBB942_400
.LBB942_348:                            ;   in Loop: Header=BB942_334 Depth=2
	s_or_b32 exec_lo, exec_lo, s19
	s_mov_b32 s19, exec_lo
	v_cmpx_gt_u32_e64 s5, v56
	s_cbranch_execnz .LBB942_401
.LBB942_349:                            ;   in Loop: Header=BB942_334 Depth=2
	s_or_b32 exec_lo, exec_lo, s19
	s_mov_b32 s19, exec_lo
	v_cmpx_gt_u32_e64 s5, v57
	s_cbranch_execnz .LBB942_402
.LBB942_350:                            ;   in Loop: Header=BB942_334 Depth=2
	s_or_b32 exec_lo, exec_lo, s19
	s_mov_b32 s19, exec_lo
	v_cmpx_gt_u32_e64 s5, v58
	s_cbranch_execnz .LBB942_403
.LBB942_351:                            ;   in Loop: Header=BB942_334 Depth=2
	s_or_b32 exec_lo, exec_lo, s19
	s_mov_b32 s19, exec_lo
	v_cmpx_gt_u32_e64 s5, v59
	s_cbranch_execnz .LBB942_404
.LBB942_352:                            ;   in Loop: Header=BB942_334 Depth=2
	s_or_b32 exec_lo, exec_lo, s19
	s_mov_b32 s19, exec_lo
	v_cmpx_gt_u32_e64 s5, v60
	s_cbranch_execnz .LBB942_405
.LBB942_353:                            ;   in Loop: Header=BB942_334 Depth=2
	s_or_b32 exec_lo, exec_lo, s19
	s_mov_b32 s19, exec_lo
	v_cmpx_gt_u32_e64 s5, v61
	s_cbranch_execz .LBB942_355
.LBB942_354:                            ;   in Loop: Header=BB942_334 Depth=2
	global_load_ushort v3, v122, s[16:17]
.LBB942_355:                            ;   in Loop: Header=BB942_334 Depth=2
	s_or_b32 exec_lo, exec_lo, s19
	s_waitcnt vmcnt(0)
	v_mov_b32_e32 v21, v20
	v_mov_b32_e32 v22, v19
	;; [unrolled: 1-line block ×17, first 2 shown]
	s_mov_b32 s16, s5
.LBB942_356:                            ;   in Loop: Header=BB942_334 Depth=2
	s_waitcnt vmcnt(0)
	v_mov_b32_e32 v3, v37
	v_mov_b32_e32 v5, v36
	;; [unrolled: 1-line block ×17, first 2 shown]
	s_mov_b32 s17, exec_lo
	v_cmpx_gt_u32_e64 s16, v0
	s_cbranch_execnz .LBB942_373
; %bb.357:                              ;   in Loop: Header=BB942_334 Depth=2
	s_or_b32 exec_lo, exec_lo, s17
	s_mov_b32 s17, exec_lo
	v_cmpx_gt_u32_e64 s16, v44
	s_cbranch_execnz .LBB942_374
.LBB942_358:                            ;   in Loop: Header=BB942_334 Depth=2
	s_or_b32 exec_lo, exec_lo, s17
	s_mov_b32 s17, exec_lo
	v_cmpx_gt_u32_e64 s16, v47
	s_cbranch_execnz .LBB942_375
.LBB942_359:                            ;   in Loop: Header=BB942_334 Depth=2
	s_or_b32 exec_lo, exec_lo, s17
	s_mov_b32 s17, exec_lo
	v_cmpx_gt_u32_e64 s16, v48
	s_cbranch_execnz .LBB942_376
.LBB942_360:                            ;   in Loop: Header=BB942_334 Depth=2
	s_or_b32 exec_lo, exec_lo, s17
	s_mov_b32 s17, exec_lo
	v_cmpx_gt_u32_e64 s16, v49
	s_cbranch_execnz .LBB942_377
.LBB942_361:                            ;   in Loop: Header=BB942_334 Depth=2
	s_or_b32 exec_lo, exec_lo, s17
	s_mov_b32 s17, exec_lo
	v_cmpx_gt_u32_e64 s16, v50
	s_cbranch_execnz .LBB942_378
.LBB942_362:                            ;   in Loop: Header=BB942_334 Depth=2
	s_or_b32 exec_lo, exec_lo, s17
	s_mov_b32 s17, exec_lo
	v_cmpx_gt_u32_e64 s16, v51
	s_cbranch_execnz .LBB942_379
.LBB942_363:                            ;   in Loop: Header=BB942_334 Depth=2
	s_or_b32 exec_lo, exec_lo, s17
	s_mov_b32 s17, exec_lo
	v_cmpx_gt_u32_e64 s16, v52
	s_cbranch_execnz .LBB942_380
.LBB942_364:                            ;   in Loop: Header=BB942_334 Depth=2
	s_or_b32 exec_lo, exec_lo, s17
	s_mov_b32 s17, exec_lo
	v_cmpx_gt_u32_e64 s16, v53
	s_cbranch_execnz .LBB942_381
.LBB942_365:                            ;   in Loop: Header=BB942_334 Depth=2
	s_or_b32 exec_lo, exec_lo, s17
	s_mov_b32 s17, exec_lo
	v_cmpx_gt_u32_e64 s16, v54
	s_cbranch_execnz .LBB942_382
.LBB942_366:                            ;   in Loop: Header=BB942_334 Depth=2
	s_or_b32 exec_lo, exec_lo, s17
	s_mov_b32 s17, exec_lo
	v_cmpx_gt_u32_e64 s16, v55
	s_cbranch_execnz .LBB942_383
.LBB942_367:                            ;   in Loop: Header=BB942_334 Depth=2
	s_or_b32 exec_lo, exec_lo, s17
	s_mov_b32 s17, exec_lo
	v_cmpx_gt_u32_e64 s16, v56
	s_cbranch_execnz .LBB942_384
.LBB942_368:                            ;   in Loop: Header=BB942_334 Depth=2
	s_or_b32 exec_lo, exec_lo, s17
	s_mov_b32 s17, exec_lo
	v_cmpx_gt_u32_e64 s16, v57
	s_cbranch_execnz .LBB942_385
.LBB942_369:                            ;   in Loop: Header=BB942_334 Depth=2
	s_or_b32 exec_lo, exec_lo, s17
	s_mov_b32 s17, exec_lo
	v_cmpx_gt_u32_e64 s16, v58
	s_cbranch_execnz .LBB942_386
.LBB942_370:                            ;   in Loop: Header=BB942_334 Depth=2
	s_or_b32 exec_lo, exec_lo, s17
	s_mov_b32 s17, exec_lo
	v_cmpx_gt_u32_e64 s16, v59
	s_cbranch_execnz .LBB942_387
.LBB942_371:                            ;   in Loop: Header=BB942_334 Depth=2
	s_or_b32 exec_lo, exec_lo, s17
	s_mov_b32 s17, exec_lo
	v_cmpx_gt_u32_e64 s16, v60
	s_cbranch_execnz .LBB942_388
.LBB942_372:                            ;   in Loop: Header=BB942_334 Depth=2
	s_or_b32 exec_lo, exec_lo, s17
	v_cmp_gt_u32_e32 vcc_lo, s16, v61
	s_and_saveexec_b32 s16, vcc_lo
	s_cbranch_execz .LBB942_333
	s_branch .LBB942_389
.LBB942_373:                            ;   in Loop: Header=BB942_334 Depth=2
	v_xor_b32_e32 v21, 0x7fff, v20
	v_lshrrev_b32_sdwa v21, s61, v21 dst_sel:DWORD dst_unused:UNUSED_PAD src0_sel:DWORD src1_sel:WORD_0
	v_and_b32_e32 v21, s62, v21
	v_lshl_or_b32 v21, v21, 4, v63
	ds_add_u32 v21, v89
	s_or_b32 exec_lo, exec_lo, s17
	s_mov_b32 s17, exec_lo
	v_cmpx_gt_u32_e64 s16, v44
	s_cbranch_execz .LBB942_358
.LBB942_374:                            ;   in Loop: Header=BB942_334 Depth=2
	v_xor_b32_e32 v21, 0x7fff, v19
	v_lshrrev_b32_sdwa v21, s61, v21 dst_sel:DWORD dst_unused:UNUSED_PAD src0_sel:DWORD src1_sel:WORD_0
	v_and_b32_e32 v21, s62, v21
	v_lshl_or_b32 v21, v21, 4, v63
	ds_add_u32 v21, v89
	s_or_b32 exec_lo, exec_lo, s17
	s_mov_b32 s17, exec_lo
	v_cmpx_gt_u32_e64 s16, v47
	s_cbranch_execz .LBB942_359
.LBB942_375:                            ;   in Loop: Header=BB942_334 Depth=2
	v_xor_b32_e32 v21, 0x7fff, v18
	v_lshrrev_b32_sdwa v21, s61, v21 dst_sel:DWORD dst_unused:UNUSED_PAD src0_sel:DWORD src1_sel:WORD_0
	v_and_b32_e32 v21, s62, v21
	v_lshl_or_b32 v21, v21, 4, v63
	ds_add_u32 v21, v89
	s_or_b32 exec_lo, exec_lo, s17
	s_mov_b32 s17, exec_lo
	v_cmpx_gt_u32_e64 s16, v48
	s_cbranch_execz .LBB942_360
.LBB942_376:                            ;   in Loop: Header=BB942_334 Depth=2
	v_xor_b32_e32 v21, 0x7fff, v17
	v_lshrrev_b32_sdwa v21, s61, v21 dst_sel:DWORD dst_unused:UNUSED_PAD src0_sel:DWORD src1_sel:WORD_0
	v_and_b32_e32 v21, s62, v21
	v_lshl_or_b32 v21, v21, 4, v63
	ds_add_u32 v21, v89
	s_or_b32 exec_lo, exec_lo, s17
	s_mov_b32 s17, exec_lo
	v_cmpx_gt_u32_e64 s16, v49
	s_cbranch_execz .LBB942_361
.LBB942_377:                            ;   in Loop: Header=BB942_334 Depth=2
	v_xor_b32_e32 v21, 0x7fff, v16
	v_lshrrev_b32_sdwa v21, s61, v21 dst_sel:DWORD dst_unused:UNUSED_PAD src0_sel:DWORD src1_sel:WORD_0
	v_and_b32_e32 v21, s62, v21
	v_lshl_or_b32 v21, v21, 4, v63
	ds_add_u32 v21, v89
	s_or_b32 exec_lo, exec_lo, s17
	s_mov_b32 s17, exec_lo
	v_cmpx_gt_u32_e64 s16, v50
	s_cbranch_execz .LBB942_362
.LBB942_378:                            ;   in Loop: Header=BB942_334 Depth=2
	v_xor_b32_e32 v21, 0x7fff, v15
	v_lshrrev_b32_sdwa v21, s61, v21 dst_sel:DWORD dst_unused:UNUSED_PAD src0_sel:DWORD src1_sel:WORD_0
	v_and_b32_e32 v21, s62, v21
	v_lshl_or_b32 v21, v21, 4, v63
	ds_add_u32 v21, v89
	s_or_b32 exec_lo, exec_lo, s17
	s_mov_b32 s17, exec_lo
	v_cmpx_gt_u32_e64 s16, v51
	s_cbranch_execz .LBB942_363
.LBB942_379:                            ;   in Loop: Header=BB942_334 Depth=2
	v_xor_b32_e32 v21, 0x7fff, v14
	v_lshrrev_b32_sdwa v21, s61, v21 dst_sel:DWORD dst_unused:UNUSED_PAD src0_sel:DWORD src1_sel:WORD_0
	v_and_b32_e32 v21, s62, v21
	v_lshl_or_b32 v21, v21, 4, v63
	ds_add_u32 v21, v89
	s_or_b32 exec_lo, exec_lo, s17
	s_mov_b32 s17, exec_lo
	v_cmpx_gt_u32_e64 s16, v52
	s_cbranch_execz .LBB942_364
.LBB942_380:                            ;   in Loop: Header=BB942_334 Depth=2
	v_xor_b32_e32 v21, 0x7fff, v13
	v_lshrrev_b32_sdwa v21, s61, v21 dst_sel:DWORD dst_unused:UNUSED_PAD src0_sel:DWORD src1_sel:WORD_0
	v_and_b32_e32 v21, s62, v21
	v_lshl_or_b32 v21, v21, 4, v63
	ds_add_u32 v21, v89
	s_or_b32 exec_lo, exec_lo, s17
	s_mov_b32 s17, exec_lo
	v_cmpx_gt_u32_e64 s16, v53
	s_cbranch_execz .LBB942_365
.LBB942_381:                            ;   in Loop: Header=BB942_334 Depth=2
	v_xor_b32_e32 v21, 0x7fff, v12
	v_lshrrev_b32_sdwa v21, s61, v21 dst_sel:DWORD dst_unused:UNUSED_PAD src0_sel:DWORD src1_sel:WORD_0
	v_and_b32_e32 v21, s62, v21
	v_lshl_or_b32 v21, v21, 4, v63
	ds_add_u32 v21, v89
	s_or_b32 exec_lo, exec_lo, s17
	s_mov_b32 s17, exec_lo
	v_cmpx_gt_u32_e64 s16, v54
	s_cbranch_execz .LBB942_366
.LBB942_382:                            ;   in Loop: Header=BB942_334 Depth=2
	v_xor_b32_e32 v21, 0x7fff, v11
	v_lshrrev_b32_sdwa v21, s61, v21 dst_sel:DWORD dst_unused:UNUSED_PAD src0_sel:DWORD src1_sel:WORD_0
	v_and_b32_e32 v21, s62, v21
	v_lshl_or_b32 v21, v21, 4, v63
	ds_add_u32 v21, v89
	s_or_b32 exec_lo, exec_lo, s17
	s_mov_b32 s17, exec_lo
	v_cmpx_gt_u32_e64 s16, v55
	s_cbranch_execz .LBB942_367
.LBB942_383:                            ;   in Loop: Header=BB942_334 Depth=2
	v_xor_b32_e32 v21, 0x7fff, v10
	v_lshrrev_b32_sdwa v21, s61, v21 dst_sel:DWORD dst_unused:UNUSED_PAD src0_sel:DWORD src1_sel:WORD_0
	v_and_b32_e32 v21, s62, v21
	v_lshl_or_b32 v21, v21, 4, v63
	ds_add_u32 v21, v89
	s_or_b32 exec_lo, exec_lo, s17
	s_mov_b32 s17, exec_lo
	v_cmpx_gt_u32_e64 s16, v56
	s_cbranch_execz .LBB942_368
.LBB942_384:                            ;   in Loop: Header=BB942_334 Depth=2
	v_xor_b32_e32 v21, 0x7fff, v9
	v_lshrrev_b32_sdwa v21, s61, v21 dst_sel:DWORD dst_unused:UNUSED_PAD src0_sel:DWORD src1_sel:WORD_0
	v_and_b32_e32 v21, s62, v21
	v_lshl_or_b32 v21, v21, 4, v63
	ds_add_u32 v21, v89
	s_or_b32 exec_lo, exec_lo, s17
	s_mov_b32 s17, exec_lo
	v_cmpx_gt_u32_e64 s16, v57
	s_cbranch_execz .LBB942_369
.LBB942_385:                            ;   in Loop: Header=BB942_334 Depth=2
	v_xor_b32_e32 v21, 0x7fff, v8
	v_lshrrev_b32_sdwa v21, s61, v21 dst_sel:DWORD dst_unused:UNUSED_PAD src0_sel:DWORD src1_sel:WORD_0
	v_and_b32_e32 v21, s62, v21
	v_lshl_or_b32 v21, v21, 4, v63
	ds_add_u32 v21, v89
	s_or_b32 exec_lo, exec_lo, s17
	s_mov_b32 s17, exec_lo
	v_cmpx_gt_u32_e64 s16, v58
	s_cbranch_execz .LBB942_370
.LBB942_386:                            ;   in Loop: Header=BB942_334 Depth=2
	v_xor_b32_e32 v21, 0x7fff, v7
	v_lshrrev_b32_sdwa v21, s61, v21 dst_sel:DWORD dst_unused:UNUSED_PAD src0_sel:DWORD src1_sel:WORD_0
	v_and_b32_e32 v21, s62, v21
	v_lshl_or_b32 v21, v21, 4, v63
	ds_add_u32 v21, v89
	s_or_b32 exec_lo, exec_lo, s17
	s_mov_b32 s17, exec_lo
	v_cmpx_gt_u32_e64 s16, v59
	s_cbranch_execz .LBB942_371
.LBB942_387:                            ;   in Loop: Header=BB942_334 Depth=2
	v_xor_b32_e32 v21, 0x7fff, v6
	v_lshrrev_b32_sdwa v21, s61, v21 dst_sel:DWORD dst_unused:UNUSED_PAD src0_sel:DWORD src1_sel:WORD_0
	v_and_b32_e32 v21, s62, v21
	v_lshl_or_b32 v21, v21, 4, v63
	ds_add_u32 v21, v89
	s_or_b32 exec_lo, exec_lo, s17
	s_mov_b32 s17, exec_lo
	v_cmpx_gt_u32_e64 s16, v60
	s_cbranch_execz .LBB942_372
.LBB942_388:                            ;   in Loop: Header=BB942_334 Depth=2
	v_xor_b32_e32 v21, 0x7fff, v5
	v_lshrrev_b32_sdwa v21, s61, v21 dst_sel:DWORD dst_unused:UNUSED_PAD src0_sel:DWORD src1_sel:WORD_0
	v_and_b32_e32 v21, s62, v21
	v_lshl_or_b32 v21, v21, 4, v63
	ds_add_u32 v21, v89
	s_or_b32 exec_lo, exec_lo, s17
	v_cmp_gt_u32_e32 vcc_lo, s16, v61
	s_and_saveexec_b32 s16, vcc_lo
	s_cbranch_execz .LBB942_333
.LBB942_389:                            ;   in Loop: Header=BB942_334 Depth=2
	v_xor_b32_e32 v21, 0x7fff, v3
	v_lshrrev_b32_sdwa v21, s61, v21 dst_sel:DWORD dst_unused:UNUSED_PAD src0_sel:DWORD src1_sel:WORD_0
	v_and_b32_e32 v21, s62, v21
	v_lshl_or_b32 v21, v21, 4, v63
	ds_add_u32 v21, v89
	s_branch .LBB942_333
.LBB942_390:                            ;   in Loop: Header=BB942_334 Depth=2
	global_load_ushort v20, v109, s[16:17]
	s_or_b32 exec_lo, exec_lo, s19
	s_mov_b32 s19, exec_lo
	v_cmpx_gt_u32_e64 s5, v44
	s_cbranch_execz .LBB942_339
.LBB942_391:                            ;   in Loop: Header=BB942_334 Depth=2
	global_load_ushort v19, v109, s[16:17] offset:512
	s_or_b32 exec_lo, exec_lo, s19
	s_mov_b32 s19, exec_lo
	v_cmpx_gt_u32_e64 s5, v47
	s_cbranch_execz .LBB942_340
.LBB942_392:                            ;   in Loop: Header=BB942_334 Depth=2
	global_load_ushort v18, v109, s[16:17] offset:1024
	s_or_b32 exec_lo, exec_lo, s19
	s_mov_b32 s19, exec_lo
	v_cmpx_gt_u32_e64 s5, v48
	s_cbranch_execz .LBB942_341
.LBB942_393:                            ;   in Loop: Header=BB942_334 Depth=2
	global_load_ushort v17, v109, s[16:17] offset:1536
	s_or_b32 exec_lo, exec_lo, s19
	s_mov_b32 s19, exec_lo
	v_cmpx_gt_u32_e64 s5, v49
	s_cbranch_execz .LBB942_342
.LBB942_394:                            ;   in Loop: Header=BB942_334 Depth=2
	global_load_ushort v16, v110, s[16:17]
	s_or_b32 exec_lo, exec_lo, s19
	s_mov_b32 s19, exec_lo
	v_cmpx_gt_u32_e64 s5, v50
	s_cbranch_execz .LBB942_343
.LBB942_395:                            ;   in Loop: Header=BB942_334 Depth=2
	global_load_ushort v15, v111, s[16:17]
	s_or_b32 exec_lo, exec_lo, s19
	s_mov_b32 s19, exec_lo
	v_cmpx_gt_u32_e64 s5, v51
	s_cbranch_execz .LBB942_344
.LBB942_396:                            ;   in Loop: Header=BB942_334 Depth=2
	global_load_ushort v14, v112, s[16:17]
	s_or_b32 exec_lo, exec_lo, s19
	s_mov_b32 s19, exec_lo
	v_cmpx_gt_u32_e64 s5, v52
	s_cbranch_execz .LBB942_345
.LBB942_397:                            ;   in Loop: Header=BB942_334 Depth=2
	global_load_ushort v13, v113, s[16:17]
	s_or_b32 exec_lo, exec_lo, s19
	s_mov_b32 s19, exec_lo
	v_cmpx_gt_u32_e64 s5, v53
	s_cbranch_execz .LBB942_346
.LBB942_398:                            ;   in Loop: Header=BB942_334 Depth=2
	global_load_ushort v12, v114, s[16:17]
	s_or_b32 exec_lo, exec_lo, s19
	s_mov_b32 s19, exec_lo
	v_cmpx_gt_u32_e64 s5, v54
	s_cbranch_execz .LBB942_347
.LBB942_399:                            ;   in Loop: Header=BB942_334 Depth=2
	global_load_ushort v11, v115, s[16:17]
	s_or_b32 exec_lo, exec_lo, s19
	s_mov_b32 s19, exec_lo
	v_cmpx_gt_u32_e64 s5, v55
	s_cbranch_execz .LBB942_348
.LBB942_400:                            ;   in Loop: Header=BB942_334 Depth=2
	global_load_ushort v10, v116, s[16:17]
	s_or_b32 exec_lo, exec_lo, s19
	s_mov_b32 s19, exec_lo
	v_cmpx_gt_u32_e64 s5, v56
	s_cbranch_execz .LBB942_349
.LBB942_401:                            ;   in Loop: Header=BB942_334 Depth=2
	global_load_ushort v9, v117, s[16:17]
	s_or_b32 exec_lo, exec_lo, s19
	s_mov_b32 s19, exec_lo
	v_cmpx_gt_u32_e64 s5, v57
	s_cbranch_execz .LBB942_350
.LBB942_402:                            ;   in Loop: Header=BB942_334 Depth=2
	global_load_ushort v8, v118, s[16:17]
	s_or_b32 exec_lo, exec_lo, s19
	s_mov_b32 s19, exec_lo
	v_cmpx_gt_u32_e64 s5, v58
	s_cbranch_execz .LBB942_351
.LBB942_403:                            ;   in Loop: Header=BB942_334 Depth=2
	global_load_ushort v7, v119, s[16:17]
	s_or_b32 exec_lo, exec_lo, s19
	s_mov_b32 s19, exec_lo
	v_cmpx_gt_u32_e64 s5, v59
	s_cbranch_execz .LBB942_352
.LBB942_404:                            ;   in Loop: Header=BB942_334 Depth=2
	global_load_ushort v6, v120, s[16:17]
	s_or_b32 exec_lo, exec_lo, s19
	s_mov_b32 s19, exec_lo
	v_cmpx_gt_u32_e64 s5, v60
	s_cbranch_execz .LBB942_353
.LBB942_405:                            ;   in Loop: Header=BB942_334 Depth=2
	global_load_ushort v5, v121, s[16:17]
	s_or_b32 exec_lo, exec_lo, s19
	s_mov_b32 s19, exec_lo
	v_cmpx_gt_u32_e64 s5, v61
	s_cbranch_execnz .LBB942_354
	s_branch .LBB942_355
.LBB942_406:                            ;   in Loop: Header=BB942_20 Depth=1
	v_mov_b32_e32 v3, 0
	s_waitcnt lgkmcnt(0)
	s_barrier
	buffer_gl0_inv
	s_and_saveexec_b32 s5, s8
	s_cbranch_execz .LBB942_408
; %bb.407:                              ;   in Loop: Header=BB942_20 Depth=1
	ds_read2_b64 v[5:8], v64 offset1:1
	s_waitcnt lgkmcnt(0)
	v_add_nc_u32_e32 v3, v6, v5
	v_add3_u32 v3, v3, v7, v8
.LBB942_408:                            ;   in Loop: Header=BB942_20 Depth=1
	s_or_b32 exec_lo, exec_lo, s5
	v_mov_b32_dpp v5, v3 row_shr:1 row_mask:0xf bank_mask:0xf
	v_cmp_eq_u32_e64 s5, 0, v90
	v_cmp_lt_u32_e64 s16, 1, v90
	v_cmp_lt_u32_e64 s17, 3, v90
	;; [unrolled: 1-line block ×3, first 2 shown]
	v_cmp_eq_u32_e64 s19, 0, v92
	v_cndmask_b32_e64 v5, v5, 0, s5
	v_add_nc_u32_e32 v3, v5, v3
	v_mov_b32_dpp v5, v3 row_shr:2 row_mask:0xf bank_mask:0xf
	v_cndmask_b32_e64 v5, 0, v5, s16
	v_add_nc_u32_e32 v3, v3, v5
	v_mov_b32_dpp v5, v3 row_shr:4 row_mask:0xf bank_mask:0xf
	v_cndmask_b32_e64 v5, 0, v5, s17
	v_add_nc_u32_e32 v3, v3, v5
	v_mov_b32_dpp v5, v3 row_shr:8 row_mask:0xf bank_mask:0xf
	v_cndmask_b32_e64 v5, 0, v5, s18
	v_add_nc_u32_e32 v3, v3, v5
	ds_swizzle_b32 v5, v3 offset:swizzle(BROADCAST,32,15)
	s_waitcnt lgkmcnt(0)
	v_and_b32_e32 v5, v91, v5
	v_add_nc_u32_e32 v3, v3, v5
	s_and_saveexec_b32 s20, s9
; %bb.409:                              ;   in Loop: Header=BB942_20 Depth=1
	ds_write_b32 v65, v3
; %bb.410:                              ;   in Loop: Header=BB942_20 Depth=1
	s_or_b32 exec_lo, exec_lo, s20
	s_waitcnt lgkmcnt(0)
	s_barrier
	buffer_gl0_inv
	s_and_saveexec_b32 s20, s10
	s_cbranch_execz .LBB942_412
; %bb.411:                              ;   in Loop: Header=BB942_20 Depth=1
	ds_read_b32 v5, v66
	v_cmp_ne_u32_e32 vcc_lo, 0, v93
	s_waitcnt lgkmcnt(0)
	v_mov_b32_dpp v6, v5 row_shr:1 row_mask:0xf bank_mask:0xf
	v_cndmask_b32_e32 v6, 0, v6, vcc_lo
	v_cmp_lt_u32_e32 vcc_lo, 1, v93
	v_add_nc_u32_e32 v5, v6, v5
	v_mov_b32_dpp v6, v5 row_shr:2 row_mask:0xf bank_mask:0xf
	v_cndmask_b32_e32 v6, 0, v6, vcc_lo
	v_add_nc_u32_e32 v5, v5, v6
	ds_write_b32 v66, v5
.LBB942_412:                            ;   in Loop: Header=BB942_20 Depth=1
	s_or_b32 exec_lo, exec_lo, s20
	v_mov_b32_e32 v5, 0
	s_waitcnt lgkmcnt(0)
	s_barrier
	buffer_gl0_inv
	s_and_saveexec_b32 s20, s11
; %bb.413:                              ;   in Loop: Header=BB942_20 Depth=1
	ds_read_b32 v5, v67
; %bb.414:                              ;   in Loop: Header=BB942_20 Depth=1
	s_or_b32 exec_lo, exec_lo, s20
	v_cmp_gt_i32_e32 vcc_lo, 0, v95
	s_waitcnt lgkmcnt(0)
	v_add_nc_u32_e32 v3, v5, v3
	s_barrier
	buffer_gl0_inv
	v_cndmask_b32_e32 v6, v95, v86, vcc_lo
	v_lshlrev_b32_e32 v125, 2, v6
	ds_bpermute_b32 v3, v125, v3
	s_and_saveexec_b32 s20, s8
	s_cbranch_execz .LBB942_416
; %bb.415:                              ;   in Loop: Header=BB942_20 Depth=1
	s_waitcnt lgkmcnt(0)
	v_cndmask_b32_e64 v3, v3, v5, s15
	v_add_nc_u32_e32 v3, s58, v3
	ds_write_b32 v43, v3
.LBB942_416:                            ;   in Loop: Header=BB942_20 Depth=1
	s_or_b32 exec_lo, exec_lo, s20
	s_load_dwordx2 s[20:21], s[56:57], 0x0
	v_add_co_u32 v126, vcc_lo, v78, v97
	v_add_co_ci_u32_e64 v127, null, 0, v79, vcc_lo
	v_add_nc_u32_e32 v128, 0x180, v94
	v_add_nc_u32_e32 v129, 0x1a0, v94
	;; [unrolled: 1-line block ×5, first 2 shown]
	s_mov_b32 s63, s60
	s_mov_b32 s50, s58
                                        ; implicit-def: $vgpr7_vgpr8
                                        ; implicit-def: $vgpr9_vgpr10
                                        ; implicit-def: $vgpr11_vgpr12
                                        ; implicit-def: $vgpr13_vgpr14
                                        ; implicit-def: $vgpr15_vgpr16
                                        ; implicit-def: $vgpr19_vgpr20
                                        ; implicit-def: $vgpr23_vgpr24
                                        ; implicit-def: $vgpr27_vgpr28
                                        ; implicit-def: $vgpr17_vgpr18
                                        ; implicit-def: $vgpr21_vgpr22
                                        ; implicit-def: $vgpr25_vgpr26
                                        ; implicit-def: $vgpr29_vgpr30
                                        ; implicit-def: $vgpr31_vgpr32
                                        ; implicit-def: $vgpr33_vgpr34
                                        ; implicit-def: $vgpr35_vgpr36
                                        ; implicit-def: $vgpr37_vgpr38
                                        ; implicit-def: $vgpr136
                                        ; implicit-def: $vgpr137
                                        ; implicit-def: $vgpr138
                                        ; implicit-def: $vgpr139
                                        ; implicit-def: $vgpr140
                                        ; implicit-def: $vgpr141
                                        ; implicit-def: $vgpr142
                                        ; implicit-def: $vgpr143
                                        ; implicit-def: $vgpr144
                                        ; implicit-def: $vgpr145
                                        ; implicit-def: $vgpr146
                                        ; implicit-def: $vgpr147
                                        ; implicit-def: $vgpr148
                                        ; implicit-def: $vgpr149
                                        ; implicit-def: $vgpr150
                                        ; implicit-def: $vgpr152
                                        ; implicit-def: $vgpr153
                                        ; implicit-def: $vgpr151
                                        ; implicit-def: $vgpr154
	s_waitcnt lgkmcnt(0)
	s_cmp_lt_u32 s7, s21
	s_cselect_b32 s21, 14, 20
	s_add_u32 s22, s56, s21
	s_addc_u32 s23, s57, 0
	s_cmp_lt_u32 s6, s20
	global_load_ushort v3, v4, s[22:23]
	s_cselect_b32 s20, 12, 18
	s_add_u32 s20, s56, s20
	s_addc_u32 s21, s57, 0
	global_load_ushort v5, v4, s[20:21]
	v_cmp_eq_u32_e64 s20, 0, v96
	v_cmp_lt_u32_e64 s21, 1, v96
	v_cmp_lt_u32_e64 s22, 3, v96
	s_waitcnt vmcnt(1)
	v_mad_u32_u24 v3, v2, v3, v1
	s_waitcnt vmcnt(0)
	v_mad_u64_u32 v[5:6], null, v3, v5, v[0:1]
	v_lshlrev_b32_e32 v3, 1, v86
	v_add_co_u32 v133, vcc_lo, v80, v3
	v_lshrrev_b32_e32 v5, 3, v5
	v_add_co_ci_u32_e64 v134, null, 0, v81, vcc_lo
	v_and_b32_e32 v135, 0x1ffffffc, v5
                                        ; implicit-def: $vgpr5_vgpr6
	s_branch .LBB942_418
.LBB942_417:                            ;   in Loop: Header=BB942_418 Depth=2
	s_or_b32 exec_lo, exec_lo, s23
	s_addk_i32 s63, 0xef00
	s_cmp_lt_u32 s64, s59
	s_mov_b32 s50, s64
	s_cbranch_scc0 .LBB942_640
.LBB942_418:                            ;   Parent Loop BB942_20 Depth=1
                                        ; =>  This Inner Loop Header: Depth=2
	s_add_i32 s64, s50, 0x1100
	s_cmp_gt_u32 s64, s59
	s_cbranch_scc1 .LBB942_420
; %bb.419:                              ;   in Loop: Header=BB942_418 Depth=2
	s_lshl_b64 s[24:25], s[50:51], 1
	s_mov_b32 s23, -1
	v_add_co_u32 v39, vcc_lo, v133, s24
	v_add_co_ci_u32_e64 v40, null, s25, v134, vcc_lo
	s_clause 0xf
	global_load_ushort v156, v[39:40], off
	global_load_ushort v157, v[39:40], off offset:64
	global_load_ushort v160, v[39:40], off offset:128
	;; [unrolled: 1-line block ×15, first 2 shown]
	s_movk_i32 s24, 0x1100
	s_cbranch_execz .LBB942_421
	s_branch .LBB942_454
.LBB942_420:                            ;   in Loop: Header=BB942_418 Depth=2
	s_mov_b32 s23, 0
                                        ; implicit-def: $vgpr156
                                        ; implicit-def: $vgpr157
                                        ; implicit-def: $vgpr160
                                        ; implicit-def: $vgpr164
                                        ; implicit-def: $vgpr169
                                        ; implicit-def: $vgpr174
                                        ; implicit-def: $vgpr179
                                        ; implicit-def: $vgpr184
                                        ; implicit-def: $vgpr189
                                        ; implicit-def: $vgpr187
                                        ; implicit-def: $vgpr182
                                        ; implicit-def: $vgpr177
                                        ; implicit-def: $vgpr173
                                        ; implicit-def: $vgpr168
                                        ; implicit-def: $vgpr42
                                        ; implicit-def: $vgpr41
	s_movk_i32 s24, 0x1100
.LBB942_421:                            ;   in Loop: Header=BB942_418 Depth=2
	s_lshl_b64 s[24:25], s[50:51], 1
	s_waitcnt vmcnt(14)
	v_mov_b32_e32 v157, 0xffff8000
	v_add_co_u32 v39, vcc_lo, v133, s24
	v_add_co_ci_u32_e64 v40, null, s25, v134, vcc_lo
	v_mov_b32_e32 v156, 0xffff8000
	s_mov_b32 s23, exec_lo
	v_cmpx_gt_u32_e64 s63, v94
	s_cbranch_execz .LBB942_423
; %bb.422:                              ;   in Loop: Header=BB942_418 Depth=2
	global_load_ushort v156, v[39:40], off
.LBB942_423:                            ;   in Loop: Header=BB942_418 Depth=2
	s_or_b32 exec_lo, exec_lo, s23
	s_mov_b32 s23, exec_lo
	v_cmpx_gt_u32_e64 s63, v98
	s_cbranch_execz .LBB942_425
; %bb.424:                              ;   in Loop: Header=BB942_418 Depth=2
	global_load_ushort v157, v[39:40], off offset:64
.LBB942_425:                            ;   in Loop: Header=BB942_418 Depth=2
	s_or_b32 exec_lo, exec_lo, s23
	s_waitcnt vmcnt(12)
	v_mov_b32_e32 v164, 0xffff8000
	v_mov_b32_e32 v160, 0xffff8000
	s_mov_b32 s23, exec_lo
	v_cmpx_gt_u32_e64 s63, v99
	s_cbranch_execz .LBB942_427
; %bb.426:                              ;   in Loop: Header=BB942_418 Depth=2
	global_load_ushort v160, v[39:40], off offset:128
.LBB942_427:                            ;   in Loop: Header=BB942_418 Depth=2
	s_or_b32 exec_lo, exec_lo, s23
	s_mov_b32 s23, exec_lo
	v_cmpx_gt_u32_e64 s63, v100
	s_cbranch_execz .LBB942_429
; %bb.428:                              ;   in Loop: Header=BB942_418 Depth=2
	global_load_ushort v164, v[39:40], off offset:192
.LBB942_429:                            ;   in Loop: Header=BB942_418 Depth=2
	s_or_b32 exec_lo, exec_lo, s23
	s_waitcnt vmcnt(10)
	v_mov_b32_e32 v174, 0xffff8000
	v_mov_b32_e32 v169, 0xffff8000
	s_mov_b32 s23, exec_lo
	v_cmpx_gt_u32_e64 s63, v101
	s_cbranch_execz .LBB942_431
; %bb.430:                              ;   in Loop: Header=BB942_418 Depth=2
	global_load_ushort v169, v[39:40], off offset:256
.LBB942_431:                            ;   in Loop: Header=BB942_418 Depth=2
	;; [unrolled: 17-line block ×7, first 2 shown]
	s_or_b32 exec_lo, exec_lo, s23
	s_mov_b32 s23, exec_lo
	v_cmpx_gt_u32_e64 s63, v131
	s_cbranch_execz .LBB942_453
; %bb.452:                              ;   in Loop: Header=BB942_418 Depth=2
	global_load_ushort v41, v[39:40], off offset:960
.LBB942_453:                            ;   in Loop: Header=BB942_418 Depth=2
	s_or_b32 exec_lo, exec_lo, s23
	v_cmp_gt_u32_e64 s23, s63, v132
	s_sub_i32 s24, s59, s50
.LBB942_454:                            ;   in Loop: Header=BB942_418 Depth=2
	v_mov_b32_e32 v3, -1
	v_mov_b32_e32 v155, s63
	s_and_saveexec_b32 s25, s23
	s_cbranch_execz .LBB942_456
; %bb.455:                              ;   in Loop: Header=BB942_418 Depth=2
	s_lshl_b64 s[26:27], s[50:51], 1
	v_mov_b32_e32 v155, s24
	v_add_co_u32 v39, vcc_lo, v133, s26
	v_add_co_ci_u32_e64 v40, null, s27, v134, vcc_lo
	global_load_ushort v3, v[39:40], off offset:1024
	s_waitcnt vmcnt(0)
	v_xor_b32_e32 v3, 0x7fff, v3
.LBB942_456:                            ;   in Loop: Header=BB942_418 Depth=2
	s_or_b32 exec_lo, exec_lo, s25
	s_waitcnt vmcnt(15)
	v_xor_b32_e32 v156, 0x7fff, v156
	ds_write2_b32 v68, v4, v4 offset0:136 offset1:137
	ds_write2_b32 v68, v4, v4 offset0:138 offset1:139
	ds_write_b32 v68, v4 offset:560
	s_waitcnt vmcnt(0) lgkmcnt(0)
	s_barrier
	v_lshrrev_b32_sdwa v39, s61, v156 dst_sel:DWORD dst_unused:UNUSED_PAD src0_sel:DWORD src1_sel:WORD_0
	buffer_gl0_inv
	; wave barrier
	v_and_b32_e32 v40, s62, v39
	v_and_b32_e32 v39, 1, v40
	v_lshlrev_b32_e32 v158, 30, v40
	v_lshlrev_b32_e32 v159, 29, v40
	;; [unrolled: 1-line block ×4, first 2 shown]
	v_add_co_u32 v39, s23, v39, -1
	v_cndmask_b32_e64 v161, 0, 1, s23
	v_not_b32_e32 v166, v158
	v_cmp_gt_i32_e64 s23, 0, v158
	v_not_b32_e32 v158, v159
	v_lshlrev_b32_e32 v165, 26, v40
	v_cmp_ne_u32_e32 vcc_lo, 0, v161
	v_ashrrev_i32_e32 v166, 31, v166
	v_lshlrev_b32_e32 v161, 25, v40
	v_ashrrev_i32_e32 v158, 31, v158
	v_mul_u32_u24_e32 v40, 36, v40
	v_xor_b32_e32 v39, vcc_lo, v39
	v_cmp_gt_i32_e32 vcc_lo, 0, v159
	v_not_b32_e32 v159, v162
	v_xor_b32_e32 v166, s23, v166
	v_cmp_gt_i32_e64 s23, 0, v162
	v_and_b32_e32 v39, exec_lo, v39
	v_not_b32_e32 v162, v163
	v_ashrrev_i32_e32 v159, 31, v159
	v_xor_b32_e32 v158, vcc_lo, v158
	v_cmp_gt_i32_e32 vcc_lo, 0, v163
	v_and_b32_e32 v39, v39, v166
	v_not_b32_e32 v163, v165
	v_ashrrev_i32_e32 v162, 31, v162
	v_xor_b32_e32 v159, s23, v159
	v_cmp_gt_i32_e64 s23, 0, v165
	v_and_b32_e32 v39, v39, v158
	v_not_b32_e32 v158, v161
	v_ashrrev_i32_e32 v163, 31, v163
	v_xor_b32_e32 v162, vcc_lo, v162
	v_cmp_gt_i32_e32 vcc_lo, 0, v161
	v_and_b32_e32 v39, v39, v159
	v_ashrrev_i32_e32 v158, 31, v158
	v_xor_b32_e32 v159, s23, v163
	v_and_b32_e32 v39, v39, v162
	v_xor_b32_e32 v158, vcc_lo, v158
	v_and_b32_e32 v39, v39, v159
	v_add_nc_u32_e32 v159, v135, v40
	v_and_b32_e32 v39, v39, v158
	v_mbcnt_lo_u32_b32 v158, v39, 0
	v_cmp_ne_u32_e64 s23, 0, v39
	v_cmp_eq_u32_e32 vcc_lo, 0, v158
	s_and_b32 s24, s23, vcc_lo
	s_and_saveexec_b32 s23, s24
; %bb.457:                              ;   in Loop: Header=BB942_418 Depth=2
	v_bcnt_u32_b32 v39, v39, 0
	ds_write_b32 v159, v39 offset:544
; %bb.458:                              ;   in Loop: Header=BB942_418 Depth=2
	s_or_b32 exec_lo, exec_lo, s23
	v_xor_b32_e32 v157, 0x7fff, v157
	; wave barrier
	v_lshrrev_b32_sdwa v39, s61, v157 dst_sel:DWORD dst_unused:UNUSED_PAD src0_sel:DWORD src1_sel:WORD_0
	v_and_b32_e32 v40, s62, v39
	v_and_b32_e32 v39, 1, v40
	v_lshlrev_b32_e32 v161, 30, v40
	v_lshlrev_b32_e32 v162, 29, v40
	v_lshlrev_b32_e32 v165, 28, v40
	v_lshlrev_b32_e32 v166, 27, v40
	v_add_co_u32 v39, s23, v39, -1
	v_cndmask_b32_e64 v163, 0, 1, s23
	v_not_b32_e32 v170, v161
	v_cmp_gt_i32_e64 s23, 0, v161
	v_not_b32_e32 v161, v162
	v_lshlrev_b32_e32 v167, 26, v40
	v_cmp_ne_u32_e32 vcc_lo, 0, v163
	v_ashrrev_i32_e32 v170, 31, v170
	v_lshlrev_b32_e32 v163, 25, v40
	v_ashrrev_i32_e32 v161, 31, v161
	v_xor_b32_e32 v39, vcc_lo, v39
	v_cmp_gt_i32_e32 vcc_lo, 0, v162
	v_not_b32_e32 v162, v165
	v_xor_b32_e32 v170, s23, v170
	v_cmp_gt_i32_e64 s23, 0, v165
	v_and_b32_e32 v39, exec_lo, v39
	v_not_b32_e32 v165, v166
	v_ashrrev_i32_e32 v162, 31, v162
	v_xor_b32_e32 v161, vcc_lo, v161
	v_cmp_gt_i32_e32 vcc_lo, 0, v166
	v_and_b32_e32 v39, v39, v170
	v_not_b32_e32 v166, v167
	v_ashrrev_i32_e32 v165, 31, v165
	v_xor_b32_e32 v162, s23, v162
	v_cmp_gt_i32_e64 s23, 0, v167
	v_and_b32_e32 v39, v39, v161
	v_not_b32_e32 v161, v163
	v_ashrrev_i32_e32 v166, 31, v166
	v_xor_b32_e32 v165, vcc_lo, v165
	v_cmp_gt_i32_e32 vcc_lo, 0, v163
	v_and_b32_e32 v39, v39, v162
	v_ashrrev_i32_e32 v161, 31, v161
	v_xor_b32_e32 v162, s23, v166
	v_mad_u32_u24 v163, v40, 36, v135
	v_mul_u32_u24_e32 v40, 36, v40
	v_and_b32_e32 v39, v39, v165
	v_xor_b32_e32 v165, vcc_lo, v161
	ds_read_b32 v161, v163 offset:544
	v_add_nc_u32_e32 v163, v135, v40
	v_and_b32_e32 v39, v39, v162
	; wave barrier
	v_and_b32_e32 v39, v39, v165
	v_mbcnt_lo_u32_b32 v162, v39, 0
	v_cmp_ne_u32_e64 s23, 0, v39
	v_cmp_eq_u32_e32 vcc_lo, 0, v162
	s_and_b32 s24, s23, vcc_lo
	s_and_saveexec_b32 s23, s24
	s_cbranch_execz .LBB942_460
; %bb.459:                              ;   in Loop: Header=BB942_418 Depth=2
	s_waitcnt lgkmcnt(0)
	v_bcnt_u32_b32 v39, v39, v161
	ds_write_b32 v163, v39 offset:544
.LBB942_460:                            ;   in Loop: Header=BB942_418 Depth=2
	s_or_b32 exec_lo, exec_lo, s23
	v_xor_b32_e32 v160, 0x7fff, v160
	; wave barrier
	v_lshrrev_b32_sdwa v39, s61, v160 dst_sel:DWORD dst_unused:UNUSED_PAD src0_sel:DWORD src1_sel:WORD_0
	v_and_b32_e32 v40, s62, v39
	v_and_b32_e32 v39, 1, v40
	v_lshlrev_b32_e32 v165, 30, v40
	v_lshlrev_b32_e32 v166, 29, v40
	v_lshlrev_b32_e32 v170, 28, v40
	v_lshlrev_b32_e32 v171, 27, v40
	v_add_co_u32 v39, s23, v39, -1
	v_cndmask_b32_e64 v167, 0, 1, s23
	v_not_b32_e32 v175, v165
	v_cmp_gt_i32_e64 s23, 0, v165
	v_not_b32_e32 v165, v166
	v_lshlrev_b32_e32 v172, 26, v40
	v_cmp_ne_u32_e32 vcc_lo, 0, v167
	v_ashrrev_i32_e32 v175, 31, v175
	v_lshlrev_b32_e32 v167, 25, v40
	v_ashrrev_i32_e32 v165, 31, v165
	v_xor_b32_e32 v39, vcc_lo, v39
	v_cmp_gt_i32_e32 vcc_lo, 0, v166
	v_not_b32_e32 v166, v170
	v_xor_b32_e32 v175, s23, v175
	v_cmp_gt_i32_e64 s23, 0, v170
	v_and_b32_e32 v39, exec_lo, v39
	v_not_b32_e32 v170, v171
	v_ashrrev_i32_e32 v166, 31, v166
	v_xor_b32_e32 v165, vcc_lo, v165
	v_cmp_gt_i32_e32 vcc_lo, 0, v171
	v_and_b32_e32 v39, v39, v175
	v_not_b32_e32 v171, v172
	v_ashrrev_i32_e32 v170, 31, v170
	v_xor_b32_e32 v166, s23, v166
	v_cmp_gt_i32_e64 s23, 0, v172
	v_and_b32_e32 v39, v39, v165
	v_not_b32_e32 v165, v167
	v_ashrrev_i32_e32 v171, 31, v171
	v_xor_b32_e32 v170, vcc_lo, v170
	v_cmp_gt_i32_e32 vcc_lo, 0, v167
	v_and_b32_e32 v39, v39, v166
	v_ashrrev_i32_e32 v165, 31, v165
	v_xor_b32_e32 v166, s23, v171
	v_mad_u32_u24 v167, v40, 36, v135
	v_mul_u32_u24_e32 v40, 36, v40
	v_and_b32_e32 v39, v39, v170
	v_xor_b32_e32 v170, vcc_lo, v165
	ds_read_b32 v165, v167 offset:544
	v_add_nc_u32_e32 v167, v135, v40
	v_and_b32_e32 v39, v39, v166
	; wave barrier
	v_and_b32_e32 v39, v39, v170
	v_mbcnt_lo_u32_b32 v166, v39, 0
	v_cmp_ne_u32_e64 s23, 0, v39
	v_cmp_eq_u32_e32 vcc_lo, 0, v166
	s_and_b32 s24, s23, vcc_lo
	s_and_saveexec_b32 s23, s24
	s_cbranch_execz .LBB942_462
; %bb.461:                              ;   in Loop: Header=BB942_418 Depth=2
	s_waitcnt lgkmcnt(0)
	v_bcnt_u32_b32 v39, v39, v165
	ds_write_b32 v167, v39 offset:544
.LBB942_462:                            ;   in Loop: Header=BB942_418 Depth=2
	;; [unrolled: 63-line block ×9, first 2 shown]
	s_or_b32 exec_lo, exec_lo, s23
	v_xor_b32_e32 v182, 0x7fff, v182
	; wave barrier
	v_lshrrev_b32_sdwa v39, s61, v182 dst_sel:DWORD dst_unused:UNUSED_PAD src0_sel:DWORD src1_sel:WORD_0
	v_and_b32_e32 v40, s62, v39
	v_and_b32_e32 v39, 1, v40
	v_lshlrev_b32_e32 v199, 30, v40
	v_lshlrev_b32_e32 v200, 29, v40
	;; [unrolled: 1-line block ×4, first 2 shown]
	v_add_co_u32 v39, s23, v39, -1
	v_cndmask_b32_e64 v201, 0, 1, s23
	v_not_b32_e32 v205, v199
	v_cmp_gt_i32_e64 s23, 0, v199
	v_not_b32_e32 v199, v200
	v_lshlrev_b32_e32 v204, 26, v40
	v_cmp_ne_u32_e32 vcc_lo, 0, v201
	v_ashrrev_i32_e32 v205, 31, v205
	v_lshlrev_b32_e32 v201, 25, v40
	v_ashrrev_i32_e32 v199, 31, v199
	v_xor_b32_e32 v39, vcc_lo, v39
	v_cmp_gt_i32_e32 vcc_lo, 0, v200
	v_not_b32_e32 v200, v202
	v_xor_b32_e32 v205, s23, v205
	v_cmp_gt_i32_e64 s23, 0, v202
	v_and_b32_e32 v39, exec_lo, v39
	v_not_b32_e32 v202, v203
	v_ashrrev_i32_e32 v200, 31, v200
	v_xor_b32_e32 v199, vcc_lo, v199
	v_cmp_gt_i32_e32 vcc_lo, 0, v203
	v_and_b32_e32 v39, v39, v205
	v_not_b32_e32 v203, v204
	v_ashrrev_i32_e32 v202, 31, v202
	v_xor_b32_e32 v200, s23, v200
	v_cmp_gt_i32_e64 s23, 0, v204
	v_and_b32_e32 v39, v39, v199
	v_not_b32_e32 v199, v201
	v_ashrrev_i32_e32 v203, 31, v203
	v_xor_b32_e32 v202, vcc_lo, v202
	v_cmp_gt_i32_e32 vcc_lo, 0, v201
	v_and_b32_e32 v39, v39, v200
	v_ashrrev_i32_e32 v199, 31, v199
	v_xor_b32_e32 v200, s23, v203
	v_mad_u32_u24 v201, v40, 36, v135
	v_mul_u32_u24_e32 v40, 36, v40
	v_and_b32_e32 v39, v39, v202
	v_xor_b32_e32 v199, vcc_lo, v199
	v_add_nc_u32_e32 v202, v135, v40
	v_and_b32_e32 v39, v39, v200
	ds_read_b32 v200, v201 offset:544
	; wave barrier
	v_and_b32_e32 v39, v39, v199
	v_mbcnt_lo_u32_b32 v201, v39, 0
	v_cmp_ne_u32_e64 s23, 0, v39
	v_cmp_eq_u32_e32 vcc_lo, 0, v201
	s_and_b32 s24, s23, vcc_lo
	s_and_saveexec_b32 s23, s24
	s_cbranch_execz .LBB942_478
; %bb.477:                              ;   in Loop: Header=BB942_418 Depth=2
	s_waitcnt lgkmcnt(0)
	v_bcnt_u32_b32 v39, v39, v200
	ds_write_b32 v202, v39 offset:544
.LBB942_478:                            ;   in Loop: Header=BB942_418 Depth=2
	s_or_b32 exec_lo, exec_lo, s23
	v_xor_b32_e32 v199, 0x7fff, v177
	; wave barrier
	v_lshrrev_b32_sdwa v39, s61, v199 dst_sel:DWORD dst_unused:UNUSED_PAD src0_sel:DWORD src1_sel:WORD_0
	v_and_b32_e32 v40, s62, v39
	v_and_b32_e32 v39, 1, v40
	v_lshlrev_b32_e32 v177, 30, v40
	v_lshlrev_b32_e32 v203, 29, v40
	v_lshlrev_b32_e32 v205, 28, v40
	v_lshlrev_b32_e32 v206, 27, v40
	v_add_co_u32 v39, s23, v39, -1
	v_cndmask_b32_e64 v204, 0, 1, s23
	v_not_b32_e32 v208, v177
	v_cmp_gt_i32_e64 s23, 0, v177
	v_not_b32_e32 v177, v203
	v_lshlrev_b32_e32 v207, 26, v40
	v_cmp_ne_u32_e32 vcc_lo, 0, v204
	v_ashrrev_i32_e32 v208, 31, v208
	v_lshlrev_b32_e32 v204, 25, v40
	v_ashrrev_i32_e32 v177, 31, v177
	v_xor_b32_e32 v39, vcc_lo, v39
	v_cmp_gt_i32_e32 vcc_lo, 0, v203
	v_not_b32_e32 v203, v205
	v_xor_b32_e32 v208, s23, v208
	v_cmp_gt_i32_e64 s23, 0, v205
	v_and_b32_e32 v39, exec_lo, v39
	v_not_b32_e32 v205, v206
	v_ashrrev_i32_e32 v203, 31, v203
	v_xor_b32_e32 v177, vcc_lo, v177
	v_cmp_gt_i32_e32 vcc_lo, 0, v206
	v_and_b32_e32 v39, v39, v208
	v_not_b32_e32 v206, v207
	v_ashrrev_i32_e32 v205, 31, v205
	v_xor_b32_e32 v203, s23, v203
	v_cmp_gt_i32_e64 s23, 0, v207
	v_and_b32_e32 v39, v39, v177
	v_not_b32_e32 v177, v204
	v_ashrrev_i32_e32 v206, 31, v206
	v_xor_b32_e32 v205, vcc_lo, v205
	v_cmp_gt_i32_e32 vcc_lo, 0, v204
	v_and_b32_e32 v39, v39, v203
	v_ashrrev_i32_e32 v177, 31, v177
	v_xor_b32_e32 v203, s23, v206
	v_mad_u32_u24 v204, v40, 36, v135
	v_mul_u32_u24_e32 v40, 36, v40
	v_and_b32_e32 v39, v39, v205
	v_xor_b32_e32 v177, vcc_lo, v177
	ds_read_b32 v204, v204 offset:544
	v_and_b32_e32 v39, v39, v203
	; wave barrier
	v_and_b32_e32 v39, v39, v177
	v_add_nc_u32_e32 v177, v135, v40
	v_mbcnt_lo_u32_b32 v205, v39, 0
	v_cmp_ne_u32_e64 s23, 0, v39
	v_cmp_eq_u32_e32 vcc_lo, 0, v205
	s_and_b32 s24, s23, vcc_lo
	s_and_saveexec_b32 s23, s24
	s_cbranch_execz .LBB942_480
; %bb.479:                              ;   in Loop: Header=BB942_418 Depth=2
	s_waitcnt lgkmcnt(0)
	v_bcnt_u32_b32 v39, v39, v204
	ds_write_b32 v177, v39 offset:544
.LBB942_480:                            ;   in Loop: Header=BB942_418 Depth=2
	s_or_b32 exec_lo, exec_lo, s23
	v_xor_b32_e32 v203, 0x7fff, v173
	; wave barrier
	v_lshrrev_b32_sdwa v39, s61, v203 dst_sel:DWORD dst_unused:UNUSED_PAD src0_sel:DWORD src1_sel:WORD_0
	v_and_b32_e32 v40, s62, v39
	v_and_b32_e32 v39, 1, v40
	v_lshlrev_b32_e32 v173, 30, v40
	v_lshlrev_b32_e32 v206, 29, v40
	v_lshlrev_b32_e32 v208, 28, v40
	v_lshlrev_b32_e32 v209, 27, v40
	v_add_co_u32 v39, s23, v39, -1
	v_cndmask_b32_e64 v207, 0, 1, s23
	v_not_b32_e32 v211, v173
	v_cmp_gt_i32_e64 s23, 0, v173
	v_not_b32_e32 v173, v206
	v_lshlrev_b32_e32 v210, 26, v40
	v_cmp_ne_u32_e32 vcc_lo, 0, v207
	v_ashrrev_i32_e32 v211, 31, v211
	v_lshlrev_b32_e32 v207, 25, v40
	v_ashrrev_i32_e32 v173, 31, v173
	v_xor_b32_e32 v39, vcc_lo, v39
	v_cmp_gt_i32_e32 vcc_lo, 0, v206
	v_not_b32_e32 v206, v208
	v_xor_b32_e32 v211, s23, v211
	v_cmp_gt_i32_e64 s23, 0, v208
	v_and_b32_e32 v39, exec_lo, v39
	v_not_b32_e32 v208, v209
	v_ashrrev_i32_e32 v206, 31, v206
	v_xor_b32_e32 v173, vcc_lo, v173
	v_cmp_gt_i32_e32 vcc_lo, 0, v209
	v_and_b32_e32 v39, v39, v211
	v_not_b32_e32 v209, v210
	v_ashrrev_i32_e32 v208, 31, v208
	v_xor_b32_e32 v206, s23, v206
	v_cmp_gt_i32_e64 s23, 0, v210
	v_and_b32_e32 v39, v39, v173
	v_not_b32_e32 v173, v207
	v_ashrrev_i32_e32 v209, 31, v209
	v_xor_b32_e32 v208, vcc_lo, v208
	v_cmp_gt_i32_e32 vcc_lo, 0, v207
	v_and_b32_e32 v39, v39, v206
	v_ashrrev_i32_e32 v173, 31, v173
	v_xor_b32_e32 v206, s23, v209
	v_mad_u32_u24 v207, v40, 36, v135
	v_mul_u32_u24_e32 v40, 36, v40
	v_and_b32_e32 v39, v39, v208
	v_xor_b32_e32 v173, vcc_lo, v173
	ds_read_b32 v207, v207 offset:544
	v_and_b32_e32 v39, v39, v206
	; wave barrier
	v_and_b32_e32 v39, v39, v173
	v_add_nc_u32_e32 v173, v135, v40
	;; [unrolled: 63-line block ×3, first 2 shown]
	v_mbcnt_lo_u32_b32 v211, v39, 0
	v_cmp_ne_u32_e64 s23, 0, v39
	v_cmp_eq_u32_e32 vcc_lo, 0, v211
	s_and_b32 s24, s23, vcc_lo
	s_and_saveexec_b32 s23, s24
	s_cbranch_execz .LBB942_484
; %bb.483:                              ;   in Loop: Header=BB942_418 Depth=2
	s_waitcnt lgkmcnt(0)
	v_bcnt_u32_b32 v39, v39, v210
	ds_write_b32 v168, v39 offset:544
.LBB942_484:                            ;   in Loop: Header=BB942_418 Depth=2
	s_or_b32 exec_lo, exec_lo, s23
	v_xor_b32_e32 v209, 0x7fff, v42
	; wave barrier
	v_lshrrev_b32_sdwa v39, s61, v209 dst_sel:DWORD dst_unused:UNUSED_PAD src0_sel:DWORD src1_sel:WORD_0
	v_and_b32_e32 v40, s62, v39
	v_and_b32_e32 v39, 1, v40
	v_lshlrev_b32_e32 v42, 30, v40
	v_lshlrev_b32_e32 v212, 29, v40
	;; [unrolled: 1-line block ×4, first 2 shown]
	v_add_co_u32 v39, s23, v39, -1
	v_cndmask_b32_e64 v213, 0, 1, s23
	v_not_b32_e32 v217, v42
	v_cmp_gt_i32_e64 s23, 0, v42
	v_not_b32_e32 v42, v212
	v_lshlrev_b32_e32 v216, 26, v40
	v_cmp_ne_u32_e32 vcc_lo, 0, v213
	v_ashrrev_i32_e32 v217, 31, v217
	v_lshlrev_b32_e32 v213, 25, v40
	v_ashrrev_i32_e32 v42, 31, v42
	v_xor_b32_e32 v39, vcc_lo, v39
	v_cmp_gt_i32_e32 vcc_lo, 0, v212
	v_not_b32_e32 v212, v214
	v_xor_b32_e32 v217, s23, v217
	v_cmp_gt_i32_e64 s23, 0, v214
	v_and_b32_e32 v39, exec_lo, v39
	v_not_b32_e32 v214, v215
	v_ashrrev_i32_e32 v212, 31, v212
	v_xor_b32_e32 v42, vcc_lo, v42
	v_cmp_gt_i32_e32 vcc_lo, 0, v215
	v_and_b32_e32 v39, v39, v217
	v_not_b32_e32 v215, v216
	v_ashrrev_i32_e32 v214, 31, v214
	v_xor_b32_e32 v212, s23, v212
	v_cmp_gt_i32_e64 s23, 0, v216
	v_and_b32_e32 v39, v39, v42
	v_not_b32_e32 v42, v213
	v_ashrrev_i32_e32 v215, 31, v215
	v_xor_b32_e32 v214, vcc_lo, v214
	v_cmp_gt_i32_e32 vcc_lo, 0, v213
	v_and_b32_e32 v39, v39, v212
	v_ashrrev_i32_e32 v42, 31, v42
	v_xor_b32_e32 v212, s23, v215
	v_mad_u32_u24 v213, v40, 36, v135
	v_mul_u32_u24_e32 v40, 36, v40
	v_and_b32_e32 v39, v39, v214
	v_xor_b32_e32 v42, vcc_lo, v42
	ds_read_b32 v213, v213 offset:544
	v_add_nc_u32_e32 v215, v135, v40
	v_and_b32_e32 v39, v39, v212
	; wave barrier
	v_and_b32_e32 v39, v39, v42
	v_mbcnt_lo_u32_b32 v214, v39, 0
	v_cmp_ne_u32_e64 s23, 0, v39
	v_cmp_eq_u32_e32 vcc_lo, 0, v214
	s_and_b32 s24, s23, vcc_lo
	s_and_saveexec_b32 s23, s24
	s_cbranch_execz .LBB942_486
; %bb.485:                              ;   in Loop: Header=BB942_418 Depth=2
	s_waitcnt lgkmcnt(0)
	v_bcnt_u32_b32 v39, v39, v213
	ds_write_b32 v215, v39 offset:544
.LBB942_486:                            ;   in Loop: Header=BB942_418 Depth=2
	s_or_b32 exec_lo, exec_lo, s23
	v_xor_b32_e32 v212, 0x7fff, v41
	; wave barrier
	v_lshrrev_b32_sdwa v39, s61, v212 dst_sel:DWORD dst_unused:UNUSED_PAD src0_sel:DWORD src1_sel:WORD_0
	v_and_b32_e32 v40, s62, v39
	v_and_b32_e32 v39, 1, v40
	v_lshlrev_b32_e32 v41, 30, v40
	v_lshlrev_b32_e32 v42, 29, v40
	;; [unrolled: 1-line block ×4, first 2 shown]
	v_add_co_u32 v39, s23, v39, -1
	v_cndmask_b32_e64 v216, 0, 1, s23
	v_not_b32_e32 v220, v41
	v_cmp_gt_i32_e64 s23, 0, v41
	v_not_b32_e32 v41, v42
	v_lshlrev_b32_e32 v219, 26, v40
	v_cmp_ne_u32_e32 vcc_lo, 0, v216
	v_ashrrev_i32_e32 v220, 31, v220
	v_lshlrev_b32_e32 v216, 25, v40
	v_ashrrev_i32_e32 v41, 31, v41
	v_xor_b32_e32 v39, vcc_lo, v39
	v_cmp_gt_i32_e32 vcc_lo, 0, v42
	v_not_b32_e32 v42, v217
	v_xor_b32_e32 v220, s23, v220
	v_cmp_gt_i32_e64 s23, 0, v217
	v_and_b32_e32 v39, exec_lo, v39
	v_not_b32_e32 v217, v218
	v_ashrrev_i32_e32 v42, 31, v42
	v_xor_b32_e32 v41, vcc_lo, v41
	v_cmp_gt_i32_e32 vcc_lo, 0, v218
	v_and_b32_e32 v39, v39, v220
	v_not_b32_e32 v218, v219
	v_ashrrev_i32_e32 v217, 31, v217
	v_xor_b32_e32 v42, s23, v42
	v_cmp_gt_i32_e64 s23, 0, v219
	v_and_b32_e32 v39, v39, v41
	v_not_b32_e32 v41, v216
	v_ashrrev_i32_e32 v218, 31, v218
	v_xor_b32_e32 v217, vcc_lo, v217
	v_cmp_gt_i32_e32 vcc_lo, 0, v216
	v_and_b32_e32 v39, v39, v42
	v_ashrrev_i32_e32 v41, 31, v41
	v_xor_b32_e32 v42, s23, v218
	v_mad_u32_u24 v216, v40, 36, v135
	v_mul_u32_u24_e32 v40, 36, v40
	v_and_b32_e32 v39, v39, v217
	v_xor_b32_e32 v41, vcc_lo, v41
	ds_read_b32 v216, v216 offset:544
	v_add_nc_u32_e32 v218, v135, v40
	v_and_b32_e32 v39, v39, v42
	; wave barrier
	v_and_b32_e32 v39, v39, v41
	v_mbcnt_lo_u32_b32 v217, v39, 0
	v_cmp_ne_u32_e64 s23, 0, v39
	v_cmp_eq_u32_e32 vcc_lo, 0, v217
	s_and_b32 s24, s23, vcc_lo
	s_and_saveexec_b32 s23, s24
	s_cbranch_execz .LBB942_488
; %bb.487:                              ;   in Loop: Header=BB942_418 Depth=2
	s_waitcnt lgkmcnt(0)
	v_bcnt_u32_b32 v39, v39, v216
	ds_write_b32 v218, v39 offset:544
.LBB942_488:                            ;   in Loop: Header=BB942_418 Depth=2
	s_or_b32 exec_lo, exec_lo, s23
	v_lshrrev_b32_sdwa v39, s61, v3 dst_sel:DWORD dst_unused:UNUSED_PAD src0_sel:DWORD src1_sel:WORD_0
	; wave barrier
	v_and_b32_e32 v40, s62, v39
	v_and_b32_e32 v39, 1, v40
	v_lshlrev_b32_e32 v41, 30, v40
	v_lshlrev_b32_e32 v42, 29, v40
	;; [unrolled: 1-line block ×4, first 2 shown]
	v_add_co_u32 v39, s23, v39, -1
	v_cndmask_b32_e64 v219, 0, 1, s23
	v_not_b32_e32 v223, v41
	v_cmp_gt_i32_e64 s23, 0, v41
	v_not_b32_e32 v41, v42
	v_lshlrev_b32_e32 v222, 26, v40
	v_cmp_ne_u32_e32 vcc_lo, 0, v219
	v_ashrrev_i32_e32 v223, 31, v223
	v_lshlrev_b32_e32 v219, 25, v40
	v_ashrrev_i32_e32 v41, 31, v41
	v_xor_b32_e32 v39, vcc_lo, v39
	v_cmp_gt_i32_e32 vcc_lo, 0, v42
	v_not_b32_e32 v42, v220
	v_xor_b32_e32 v223, s23, v223
	v_cmp_gt_i32_e64 s23, 0, v220
	v_and_b32_e32 v39, exec_lo, v39
	v_not_b32_e32 v220, v221
	v_ashrrev_i32_e32 v42, 31, v42
	v_xor_b32_e32 v41, vcc_lo, v41
	v_cmp_gt_i32_e32 vcc_lo, 0, v221
	v_and_b32_e32 v39, v39, v223
	v_not_b32_e32 v221, v222
	v_ashrrev_i32_e32 v220, 31, v220
	v_xor_b32_e32 v42, s23, v42
	v_cmp_gt_i32_e64 s23, 0, v222
	v_and_b32_e32 v39, v39, v41
	v_not_b32_e32 v41, v219
	v_ashrrev_i32_e32 v221, 31, v221
	v_xor_b32_e32 v220, vcc_lo, v220
	v_cmp_gt_i32_e32 vcc_lo, 0, v219
	v_and_b32_e32 v39, v39, v42
	v_ashrrev_i32_e32 v41, 31, v41
	v_xor_b32_e32 v42, s23, v221
	v_mad_u32_u24 v219, v40, 36, v135
	v_mul_u32_u24_e32 v40, 36, v40
	v_and_b32_e32 v39, v39, v220
	v_xor_b32_e32 v41, vcc_lo, v41
	ds_read_b32 v219, v219 offset:544
	v_add_nc_u32_e32 v221, v135, v40
	v_and_b32_e32 v39, v39, v42
	; wave barrier
	v_and_b32_e32 v39, v39, v41
	v_mbcnt_lo_u32_b32 v220, v39, 0
	v_cmp_ne_u32_e64 s23, 0, v39
	v_cmp_eq_u32_e32 vcc_lo, 0, v220
	s_and_b32 s24, s23, vcc_lo
	s_and_saveexec_b32 s23, s24
	s_cbranch_execz .LBB942_490
; %bb.489:                              ;   in Loop: Header=BB942_418 Depth=2
	s_waitcnt lgkmcnt(0)
	v_bcnt_u32_b32 v39, v39, v219
	ds_write_b32 v221, v39 offset:544
.LBB942_490:                            ;   in Loop: Header=BB942_418 Depth=2
	s_or_b32 exec_lo, exec_lo, s23
	; wave barrier
	s_waitcnt lgkmcnt(0)
	s_barrier
	buffer_gl0_inv
	ds_read2_b32 v[41:42], v68 offset0:136 offset1:137
	ds_read2_b32 v[39:40], v68 offset0:138 offset1:139
	ds_read_b32 v222, v68 offset:560
	s_waitcnt lgkmcnt(1)
	v_add3_u32 v223, v42, v41, v39
	s_waitcnt lgkmcnt(0)
	v_add3_u32 v222, v223, v40, v222
	v_mov_b32_dpp v223, v222 row_shr:1 row_mask:0xf bank_mask:0xf
	v_cndmask_b32_e64 v223, v223, 0, s5
	v_add_nc_u32_e32 v222, v223, v222
	v_mov_b32_dpp v223, v222 row_shr:2 row_mask:0xf bank_mask:0xf
	v_cndmask_b32_e64 v223, 0, v223, s16
	v_add_nc_u32_e32 v222, v222, v223
	;; [unrolled: 3-line block ×4, first 2 shown]
	ds_swizzle_b32 v223, v222 offset:swizzle(BROADCAST,32,15)
	s_waitcnt lgkmcnt(0)
	v_cndmask_b32_e64 v223, v223, 0, s19
	v_add_nc_u32_e32 v222, v222, v223
	s_and_saveexec_b32 s23, s4
; %bb.491:                              ;   in Loop: Header=BB942_418 Depth=2
	ds_write_b32 v62, v222 offset:512
; %bb.492:                              ;   in Loop: Header=BB942_418 Depth=2
	s_or_b32 exec_lo, exec_lo, s23
	s_waitcnt lgkmcnt(0)
	s_barrier
	buffer_gl0_inv
	s_and_saveexec_b32 s23, s12
	s_cbranch_execz .LBB942_494
; %bb.493:                              ;   in Loop: Header=BB942_418 Depth=2
	ds_read_b32 v223, v69 offset:512
	s_waitcnt lgkmcnt(0)
	v_mov_b32_dpp v224, v223 row_shr:1 row_mask:0xf bank_mask:0xf
	v_cndmask_b32_e64 v224, v224, 0, s20
	v_add_nc_u32_e32 v223, v224, v223
	v_mov_b32_dpp v224, v223 row_shr:2 row_mask:0xf bank_mask:0xf
	v_cndmask_b32_e64 v224, 0, v224, s21
	v_add_nc_u32_e32 v223, v223, v224
	;; [unrolled: 3-line block ×3, first 2 shown]
	ds_write_b32 v69, v223 offset:512
.LBB942_494:                            ;   in Loop: Header=BB942_418 Depth=2
	s_or_b32 exec_lo, exec_lo, s23
	v_mov_b32_e32 v223, 0
	s_waitcnt lgkmcnt(0)
	s_barrier
	buffer_gl0_inv
	s_and_saveexec_b32 s23, s11
; %bb.495:                              ;   in Loop: Header=BB942_418 Depth=2
	ds_read_b32 v223, v62 offset:508
; %bb.496:                              ;   in Loop: Header=BB942_418 Depth=2
	s_or_b32 exec_lo, exec_lo, s23
	s_waitcnt lgkmcnt(0)
	v_add_nc_u32_e32 v222, v223, v222
	ds_bpermute_b32 v222, v125, v222
	s_waitcnt lgkmcnt(0)
	v_cndmask_b32_e64 v222, v222, v223, s15
	v_cndmask_b32_e64 v222, v222, 0, s13
	v_add_nc_u32_e32 v41, v222, v41
	v_add_nc_u32_e32 v42, v41, v42
	;; [unrolled: 1-line block ×4, first 2 shown]
	ds_write2_b32 v68, v222, v41 offset0:136 offset1:137
	ds_write2_b32 v68, v42, v39 offset0:138 offset1:139
	ds_write_b32 v68, v40 offset:560
	s_waitcnt lgkmcnt(0)
	s_barrier
	buffer_gl0_inv
	ds_read_b32 v41, v159 offset:544
	ds_read_b32 v42, v163 offset:544
	;; [unrolled: 1-line block ×17, first 2 shown]
	s_and_saveexec_b32 s23, s8
	s_cbranch_execz .LBB942_500
; %bb.497:                              ;   in Loop: Header=BB942_418 Depth=2
	ds_read_b32 v151, v71 offset:544
	v_mov_b32_e32 v154, 0x1100
	s_and_saveexec_b32 s24, s14
; %bb.498:                              ;   in Loop: Header=BB942_418 Depth=2
	ds_read_b32 v154, v70 offset:544
; %bb.499:                              ;   in Loop: Header=BB942_418 Depth=2
	s_or_b32 exec_lo, exec_lo, s24
	s_waitcnt lgkmcnt(0)
	v_sub_nc_u32_e32 v154, v154, v151
.LBB942_500:                            ;   in Loop: Header=BB942_418 Depth=2
	s_or_b32 exec_lo, exec_lo, s23
	s_waitcnt lgkmcnt(0)
	s_barrier
	buffer_gl0_inv
	s_and_saveexec_b32 s23, s8
	s_cbranch_execz .LBB942_502
; %bb.501:                              ;   in Loop: Header=BB942_418 Depth=2
	ds_read_b32 v168, v43
	s_waitcnt lgkmcnt(0)
	v_sub_nc_u32_e32 v168, v168, v151
	ds_write_b32 v43, v168
.LBB942_502:                            ;   in Loop: Header=BB942_418 Depth=2
	s_or_b32 exec_lo, exec_lo, s23
	v_add_nc_u32_e32 v178, v41, v158
	v_add3_u32 v177, v162, v161, v42
	v_add3_u32 v173, v166, v165, v163
	;; [unrolled: 1-line block ×5, first 2 shown]
	v_lshlrev_b32_e32 v175, 1, v178
	v_lshlrev_b32_e32 v176, 1, v177
	v_add3_u32 v161, v217, v216, v39
	v_lshlrev_b32_e32 v39, 1, v173
	v_add3_u32 v170, v181, v180, v183
	v_add3_u32 v167, v191, v190, v192
	;; [unrolled: 1-line block ×5, first 2 shown]
	ds_write_b16 v175, v156 offset:512
	ds_write_b16 v176, v157 offset:512
	v_lshlrev_b32_e32 v40, 1, v172
	ds_write_b16 v39, v160 offset:512
	v_lshlrev_b32_e32 v39, 1, v168
	v_add3_u32 v165, v197, v196, v198
	v_lshlrev_b32_e32 v156, 1, v171
	v_add3_u32 v163, v201, v200, v202
	;; [unrolled: 2-line block ×3, first 2 shown]
	v_add3_u32 v42, v208, v207, v224
	ds_write_b16 v40, v164 offset:512
	ds_write_b16 v156, v169 offset:512
	;; [unrolled: 1-line block ×3, first 2 shown]
	v_lshlrev_b32_e32 v40, 1, v167
	ds_write_b16 v39, v179 offset:512
	v_lshlrev_b32_e32 v39, 1, v166
	v_lshlrev_b32_e32 v156, 1, v165
	v_lshlrev_b32_e32 v157, 1, v163
	v_add3_u32 v41, v211, v210, v225
	ds_write_b16 v40, v184 offset:512
	v_lshlrev_b32_e32 v40, 1, v162
	ds_write_b16 v39, v189 offset:512
	ds_write_b16 v156, v187 offset:512
	ds_write_b16 v157, v182 offset:512
	v_lshlrev_b32_e32 v39, 1, v42
	v_cmp_lt_u32_e32 vcc_lo, v0, v155
	v_lshlrev_b32_e32 v156, 1, v158
	ds_write_b16 v40, v199 offset:512
	v_lshlrev_b32_e32 v40, 1, v41
	ds_write_b16 v39, v203 offset:512
	v_lshlrev_b32_e32 v39, 1, v159
	v_lshlrev_b32_e32 v157, 1, v161
	ds_write_b16 v40, v206 offset:512
	ds_write_b16 v156, v209 offset:512
	;; [unrolled: 1-line block ×4, first 2 shown]
	s_waitcnt lgkmcnt(0)
	s_barrier
	buffer_gl0_inv
	s_and_saveexec_b32 s24, vcc_lo
	s_cbranch_execnz .LBB942_575
; %bb.503:                              ;   in Loop: Header=BB942_418 Depth=2
	s_or_b32 exec_lo, exec_lo, s24
	v_cmp_lt_u32_e64 s23, v44, v155
	s_and_saveexec_b32 s25, s23
	s_cbranch_execnz .LBB942_576
.LBB942_504:                            ;   in Loop: Header=BB942_418 Depth=2
	s_or_b32 exec_lo, exec_lo, s25
	v_cmp_lt_u32_e64 s24, v47, v155
	s_and_saveexec_b32 s26, s24
	s_cbranch_execnz .LBB942_577
.LBB942_505:                            ;   in Loop: Header=BB942_418 Depth=2
	s_or_b32 exec_lo, exec_lo, s26
	v_cmp_lt_u32_e64 s25, v48, v155
	s_and_saveexec_b32 s27, s25
	s_cbranch_execnz .LBB942_578
.LBB942_506:                            ;   in Loop: Header=BB942_418 Depth=2
	s_or_b32 exec_lo, exec_lo, s27
	v_cmp_lt_u32_e64 s26, v49, v155
	s_and_saveexec_b32 s28, s26
	s_cbranch_execnz .LBB942_579
.LBB942_507:                            ;   in Loop: Header=BB942_418 Depth=2
	s_or_b32 exec_lo, exec_lo, s28
	v_cmp_lt_u32_e64 s27, v50, v155
	s_and_saveexec_b32 s29, s27
	s_cbranch_execnz .LBB942_580
.LBB942_508:                            ;   in Loop: Header=BB942_418 Depth=2
	s_or_b32 exec_lo, exec_lo, s29
	v_cmp_lt_u32_e64 s28, v51, v155
	s_and_saveexec_b32 s30, s28
	s_cbranch_execnz .LBB942_581
.LBB942_509:                            ;   in Loop: Header=BB942_418 Depth=2
	s_or_b32 exec_lo, exec_lo, s30
	v_cmp_lt_u32_e64 s29, v52, v155
	s_and_saveexec_b32 s31, s29
	s_cbranch_execnz .LBB942_582
.LBB942_510:                            ;   in Loop: Header=BB942_418 Depth=2
	s_or_b32 exec_lo, exec_lo, s31
	v_cmp_lt_u32_e64 s30, v53, v155
	s_and_saveexec_b32 s33, s30
	s_cbranch_execnz .LBB942_583
.LBB942_511:                            ;   in Loop: Header=BB942_418 Depth=2
	s_or_b32 exec_lo, exec_lo, s33
	v_cmp_lt_u32_e64 s31, v54, v155
	s_and_saveexec_b32 s34, s31
	s_cbranch_execnz .LBB942_584
.LBB942_512:                            ;   in Loop: Header=BB942_418 Depth=2
	s_or_b32 exec_lo, exec_lo, s34
	v_cmp_lt_u32_e64 s33, v55, v155
	s_and_saveexec_b32 s35, s33
	s_cbranch_execnz .LBB942_585
.LBB942_513:                            ;   in Loop: Header=BB942_418 Depth=2
	s_or_b32 exec_lo, exec_lo, s35
	v_cmp_lt_u32_e64 s34, v56, v155
	s_and_saveexec_b32 s36, s34
	s_cbranch_execnz .LBB942_586
.LBB942_514:                            ;   in Loop: Header=BB942_418 Depth=2
	s_or_b32 exec_lo, exec_lo, s36
	v_cmp_lt_u32_e64 s35, v57, v155
	s_and_saveexec_b32 s37, s35
	s_cbranch_execnz .LBB942_587
.LBB942_515:                            ;   in Loop: Header=BB942_418 Depth=2
	s_or_b32 exec_lo, exec_lo, s37
	v_cmp_lt_u32_e64 s36, v58, v155
	s_and_saveexec_b32 s38, s36
	s_cbranch_execnz .LBB942_588
.LBB942_516:                            ;   in Loop: Header=BB942_418 Depth=2
	s_or_b32 exec_lo, exec_lo, s38
	v_cmp_lt_u32_e64 s37, v59, v155
	s_and_saveexec_b32 s39, s37
	s_cbranch_execnz .LBB942_589
.LBB942_517:                            ;   in Loop: Header=BB942_418 Depth=2
	s_or_b32 exec_lo, exec_lo, s39
	v_cmp_lt_u32_e64 s38, v60, v155
	s_and_saveexec_b32 s40, s38
	s_cbranch_execnz .LBB942_590
.LBB942_518:                            ;   in Loop: Header=BB942_418 Depth=2
	s_or_b32 exec_lo, exec_lo, s40
	v_cmp_lt_u32_e64 s39, v61, v155
	s_and_saveexec_b32 s65, s39
	s_cbranch_execz .LBB942_520
.LBB942_519:                            ;   in Loop: Header=BB942_418 Depth=2
	ds_read_u16 v156, v74 offset:8704
	s_waitcnt lgkmcnt(0)
	v_lshrrev_b32_sdwa v3, s61, v156 dst_sel:DWORD dst_unused:UNUSED_PAD src0_sel:DWORD src1_sel:WORD_0
	v_and_b32_e32 v3, s62, v3
	v_lshlrev_b32_e32 v3, 2, v3
	ds_read_b32 v3, v3
	s_waitcnt lgkmcnt(0)
	v_add_nc_u32_e32 v3, v3, v61
	v_lshlrev_b64 v[39:40], 1, v[3:4]
	v_xor_b32_e32 v3, 0x7fff, v156
	v_add_co_u32 v39, s40, s48, v39
	v_add_co_ci_u32_e64 v40, null, s49, v40, s40
	global_store_short v[39:40], v3, off
.LBB942_520:                            ;   in Loop: Header=BB942_418 Depth=2
	s_or_b32 exec_lo, exec_lo, s65
	s_lshl_b64 s[66:67], s[50:51], 3
	v_add_co_u32 v39, s40, v126, s66
	v_add_co_ci_u32_e64 v40, null, s67, v127, s40
	v_cmp_lt_u32_e64 s40, v94, v155
	s_and_saveexec_b32 s50, s40
	s_xor_b32 s40, exec_lo, s50
	s_cbranch_execnz .LBB942_591
; %bb.521:                              ;   in Loop: Header=BB942_418 Depth=2
	s_or_b32 exec_lo, exec_lo, s40
	s_mov_b32 s50, exec_lo
	v_cmpx_lt_u32_e64 v98, v155
	s_cbranch_execnz .LBB942_592
.LBB942_522:                            ;   in Loop: Header=BB942_418 Depth=2
	s_or_b32 exec_lo, exec_lo, s50
	s_mov_b32 s50, exec_lo
	v_cmpx_lt_u32_e64 v99, v155
	s_cbranch_execnz .LBB942_593
.LBB942_523:                            ;   in Loop: Header=BB942_418 Depth=2
	s_or_b32 exec_lo, exec_lo, s50
	s_mov_b32 s50, exec_lo
	v_cmpx_lt_u32_e64 v100, v155
	s_cbranch_execnz .LBB942_594
.LBB942_524:                            ;   in Loop: Header=BB942_418 Depth=2
	s_or_b32 exec_lo, exec_lo, s50
	s_mov_b32 s50, exec_lo
	v_cmpx_lt_u32_e64 v101, v155
	s_cbranch_execnz .LBB942_595
.LBB942_525:                            ;   in Loop: Header=BB942_418 Depth=2
	s_or_b32 exec_lo, exec_lo, s50
	s_mov_b32 s50, exec_lo
	v_cmpx_lt_u32_e64 v102, v155
	s_cbranch_execnz .LBB942_596
.LBB942_526:                            ;   in Loop: Header=BB942_418 Depth=2
	s_or_b32 exec_lo, exec_lo, s50
	s_mov_b32 s50, exec_lo
	v_cmpx_lt_u32_e64 v103, v155
	s_cbranch_execnz .LBB942_597
.LBB942_527:                            ;   in Loop: Header=BB942_418 Depth=2
	s_or_b32 exec_lo, exec_lo, s50
	s_mov_b32 s50, exec_lo
	v_cmpx_lt_u32_e64 v104, v155
	s_cbranch_execnz .LBB942_598
.LBB942_528:                            ;   in Loop: Header=BB942_418 Depth=2
	s_or_b32 exec_lo, exec_lo, s50
	s_mov_b32 s50, exec_lo
	v_cmpx_lt_u32_e64 v105, v155
	s_cbranch_execnz .LBB942_599
.LBB942_529:                            ;   in Loop: Header=BB942_418 Depth=2
	s_or_b32 exec_lo, exec_lo, s50
	s_mov_b32 s50, exec_lo
	v_cmpx_lt_u32_e64 v106, v155
	s_cbranch_execnz .LBB942_600
.LBB942_530:                            ;   in Loop: Header=BB942_418 Depth=2
	s_or_b32 exec_lo, exec_lo, s50
	s_mov_b32 s50, exec_lo
	v_cmpx_lt_u32_e64 v107, v155
	s_cbranch_execnz .LBB942_601
.LBB942_531:                            ;   in Loop: Header=BB942_418 Depth=2
	s_or_b32 exec_lo, exec_lo, s50
	s_mov_b32 s50, exec_lo
	v_cmpx_lt_u32_e64 v108, v155
	s_cbranch_execnz .LBB942_602
.LBB942_532:                            ;   in Loop: Header=BB942_418 Depth=2
	s_or_b32 exec_lo, exec_lo, s50
	s_mov_b32 s50, exec_lo
	v_cmpx_lt_u32_e64 v128, v155
	s_cbranch_execnz .LBB942_603
.LBB942_533:                            ;   in Loop: Header=BB942_418 Depth=2
	s_or_b32 exec_lo, exec_lo, s50
	s_mov_b32 s50, exec_lo
	v_cmpx_lt_u32_e64 v129, v155
	s_cbranch_execnz .LBB942_604
.LBB942_534:                            ;   in Loop: Header=BB942_418 Depth=2
	s_or_b32 exec_lo, exec_lo, s50
	s_mov_b32 s50, exec_lo
	v_cmpx_lt_u32_e64 v130, v155
	s_cbranch_execnz .LBB942_605
.LBB942_535:                            ;   in Loop: Header=BB942_418 Depth=2
	s_or_b32 exec_lo, exec_lo, s50
	s_mov_b32 s50, exec_lo
	v_cmpx_lt_u32_e64 v131, v155
	s_cbranch_execnz .LBB942_606
.LBB942_536:                            ;   in Loop: Header=BB942_418 Depth=2
	s_or_b32 exec_lo, exec_lo, s50
	s_mov_b32 s50, exec_lo
	v_cmpx_lt_u32_e64 v132, v155
	s_cbranch_execnz .LBB942_607
.LBB942_537:                            ;   in Loop: Header=BB942_418 Depth=2
	s_or_b32 exec_lo, exec_lo, s50
	s_and_saveexec_b32 s40, vcc_lo
	s_cbranch_execnz .LBB942_608
.LBB942_538:                            ;   in Loop: Header=BB942_418 Depth=2
	s_or_b32 exec_lo, exec_lo, s40
	s_and_saveexec_b32 s40, s23
	s_cbranch_execnz .LBB942_609
.LBB942_539:                            ;   in Loop: Header=BB942_418 Depth=2
	s_or_b32 exec_lo, exec_lo, s40
	s_and_saveexec_b32 s40, s24
	s_cbranch_execnz .LBB942_610
.LBB942_540:                            ;   in Loop: Header=BB942_418 Depth=2
	s_or_b32 exec_lo, exec_lo, s40
	s_and_saveexec_b32 s40, s25
	s_cbranch_execnz .LBB942_611
.LBB942_541:                            ;   in Loop: Header=BB942_418 Depth=2
	s_or_b32 exec_lo, exec_lo, s40
	s_and_saveexec_b32 s40, s26
	s_cbranch_execnz .LBB942_612
.LBB942_542:                            ;   in Loop: Header=BB942_418 Depth=2
	s_or_b32 exec_lo, exec_lo, s40
	s_and_saveexec_b32 s40, s27
	s_cbranch_execnz .LBB942_613
.LBB942_543:                            ;   in Loop: Header=BB942_418 Depth=2
	s_or_b32 exec_lo, exec_lo, s40
	s_and_saveexec_b32 s40, s28
	s_cbranch_execnz .LBB942_614
.LBB942_544:                            ;   in Loop: Header=BB942_418 Depth=2
	s_or_b32 exec_lo, exec_lo, s40
	s_and_saveexec_b32 s40, s29
	s_cbranch_execnz .LBB942_615
.LBB942_545:                            ;   in Loop: Header=BB942_418 Depth=2
	s_or_b32 exec_lo, exec_lo, s40
	s_and_saveexec_b32 s40, s30
	s_cbranch_execnz .LBB942_616
.LBB942_546:                            ;   in Loop: Header=BB942_418 Depth=2
	s_or_b32 exec_lo, exec_lo, s40
	s_and_saveexec_b32 s40, s31
	s_cbranch_execnz .LBB942_617
.LBB942_547:                            ;   in Loop: Header=BB942_418 Depth=2
	s_or_b32 exec_lo, exec_lo, s40
	s_and_saveexec_b32 s40, s33
	s_cbranch_execnz .LBB942_618
.LBB942_548:                            ;   in Loop: Header=BB942_418 Depth=2
	s_or_b32 exec_lo, exec_lo, s40
	s_and_saveexec_b32 s40, s34
	s_cbranch_execnz .LBB942_619
.LBB942_549:                            ;   in Loop: Header=BB942_418 Depth=2
	s_or_b32 exec_lo, exec_lo, s40
	s_and_saveexec_b32 s40, s35
	s_cbranch_execnz .LBB942_620
.LBB942_550:                            ;   in Loop: Header=BB942_418 Depth=2
	s_or_b32 exec_lo, exec_lo, s40
	s_and_saveexec_b32 s40, s36
	s_cbranch_execnz .LBB942_621
.LBB942_551:                            ;   in Loop: Header=BB942_418 Depth=2
	s_or_b32 exec_lo, exec_lo, s40
	s_and_saveexec_b32 s40, s37
	s_cbranch_execnz .LBB942_622
.LBB942_552:                            ;   in Loop: Header=BB942_418 Depth=2
	s_or_b32 exec_lo, exec_lo, s40
	s_and_saveexec_b32 s40, s38
	s_cbranch_execnz .LBB942_623
.LBB942_553:                            ;   in Loop: Header=BB942_418 Depth=2
	s_or_b32 exec_lo, exec_lo, s40
	s_and_saveexec_b32 s40, s39
	s_cbranch_execz .LBB942_555
.LBB942_554:                            ;   in Loop: Header=BB942_418 Depth=2
	ds_read_u16 v3, v74 offset:8704
	s_waitcnt lgkmcnt(0)
	v_lshrrev_b32_e32 v3, s61, v3
	v_and_b32_e32 v136, s62, v3
.LBB942_555:                            ;   in Loop: Header=BB942_418 Depth=2
	s_or_b32 exec_lo, exec_lo, s40
	v_lshlrev_b32_e32 v3, 3, v178
	v_lshlrev_b32_e32 v39, 3, v177
	s_waitcnt vmcnt(0)
	s_waitcnt_vscnt null, 0x0
	s_barrier
	buffer_gl0_inv
	ds_write_b64 v3, v[37:38] offset:512
	ds_write_b64 v39, v[35:36] offset:512
	v_lshlrev_b32_e32 v3, 3, v173
	v_lshlrev_b32_e32 v39, 3, v172
	v_lshlrev_b32_e32 v40, 3, v171
	v_lshlrev_b32_e32 v155, 3, v170
	v_lshlrev_b32_e32 v156, 3, v168
	ds_write_b64 v3, v[33:34] offset:512
	ds_write_b64 v39, v[31:32] offset:512
	ds_write_b64 v40, v[29:30] offset:512
	ds_write_b64 v155, v[25:26] offset:512
	ds_write_b64 v156, v[21:22] offset:512
	v_lshlrev_b32_e32 v3, 3, v167
	v_lshlrev_b32_e32 v39, 3, v166
	v_lshlrev_b32_e32 v40, 3, v165
	v_lshlrev_b32_e32 v155, 3, v163
	v_lshlrev_b32_e32 v156, 3, v162
	ds_write_b64 v3, v[17:18] offset:512
	ds_write_b64 v39, v[27:28] offset:512
	ds_write_b64 v40, v[23:24] offset:512
	;; [unrolled: 10-line block ×3, first 2 shown]
	ds_write_b64 v41, v[7:8] offset:512
	ds_write_b64 v42, v[5:6] offset:512
	s_waitcnt lgkmcnt(0)
	s_barrier
	buffer_gl0_inv
	s_and_saveexec_b32 s40, vcc_lo
	s_cbranch_execnz .LBB942_624
; %bb.556:                              ;   in Loop: Header=BB942_418 Depth=2
	s_or_b32 exec_lo, exec_lo, s40
	s_and_saveexec_b32 s40, s23
	s_cbranch_execnz .LBB942_625
.LBB942_557:                            ;   in Loop: Header=BB942_418 Depth=2
	s_or_b32 exec_lo, exec_lo, s40
	s_and_saveexec_b32 s23, s24
	s_cbranch_execnz .LBB942_626
.LBB942_558:                            ;   in Loop: Header=BB942_418 Depth=2
	s_or_b32 exec_lo, exec_lo, s23
	s_and_saveexec_b32 s23, s25
	s_cbranch_execnz .LBB942_627
.LBB942_559:                            ;   in Loop: Header=BB942_418 Depth=2
	s_or_b32 exec_lo, exec_lo, s23
	s_and_saveexec_b32 s23, s26
	s_cbranch_execnz .LBB942_628
.LBB942_560:                            ;   in Loop: Header=BB942_418 Depth=2
	s_or_b32 exec_lo, exec_lo, s23
	s_and_saveexec_b32 s23, s27
	s_cbranch_execnz .LBB942_629
.LBB942_561:                            ;   in Loop: Header=BB942_418 Depth=2
	s_or_b32 exec_lo, exec_lo, s23
	s_and_saveexec_b32 s23, s28
	s_cbranch_execnz .LBB942_630
.LBB942_562:                            ;   in Loop: Header=BB942_418 Depth=2
	s_or_b32 exec_lo, exec_lo, s23
	s_and_saveexec_b32 s23, s29
	s_cbranch_execnz .LBB942_631
.LBB942_563:                            ;   in Loop: Header=BB942_418 Depth=2
	s_or_b32 exec_lo, exec_lo, s23
	s_and_saveexec_b32 s23, s30
	s_cbranch_execnz .LBB942_632
.LBB942_564:                            ;   in Loop: Header=BB942_418 Depth=2
	s_or_b32 exec_lo, exec_lo, s23
	s_and_saveexec_b32 s23, s31
	s_cbranch_execnz .LBB942_633
.LBB942_565:                            ;   in Loop: Header=BB942_418 Depth=2
	s_or_b32 exec_lo, exec_lo, s23
	s_and_saveexec_b32 s23, s33
	s_cbranch_execnz .LBB942_634
.LBB942_566:                            ;   in Loop: Header=BB942_418 Depth=2
	s_or_b32 exec_lo, exec_lo, s23
	s_and_saveexec_b32 s23, s34
	s_cbranch_execnz .LBB942_635
.LBB942_567:                            ;   in Loop: Header=BB942_418 Depth=2
	s_or_b32 exec_lo, exec_lo, s23
	s_and_saveexec_b32 s23, s35
	s_cbranch_execnz .LBB942_636
.LBB942_568:                            ;   in Loop: Header=BB942_418 Depth=2
	s_or_b32 exec_lo, exec_lo, s23
	s_and_saveexec_b32 s23, s36
	s_cbranch_execnz .LBB942_637
.LBB942_569:                            ;   in Loop: Header=BB942_418 Depth=2
	s_or_b32 exec_lo, exec_lo, s23
	s_and_saveexec_b32 s23, s37
	s_cbranch_execnz .LBB942_638
.LBB942_570:                            ;   in Loop: Header=BB942_418 Depth=2
	s_or_b32 exec_lo, exec_lo, s23
	s_and_saveexec_b32 s23, s38
	s_cbranch_execnz .LBB942_639
.LBB942_571:                            ;   in Loop: Header=BB942_418 Depth=2
	s_or_b32 exec_lo, exec_lo, s23
	s_and_saveexec_b32 s23, s39
	s_cbranch_execz .LBB942_573
.LBB942_572:                            ;   in Loop: Header=BB942_418 Depth=2
	v_lshlrev_b32_e32 v3, 2, v136
	v_add_nc_u32_e32 v39, v74, v75
	ds_read_b32 v3, v3
	ds_read_b64 v[39:40], v39 offset:33280
	s_waitcnt lgkmcnt(1)
	v_add_nc_u32_e32 v3, v3, v61
	v_lshlrev_b64 v[41:42], 3, v[3:4]
	v_add_co_u32 v41, vcc_lo, s54, v41
	v_add_co_ci_u32_e64 v42, null, s55, v42, vcc_lo
	s_waitcnt lgkmcnt(0)
	global_store_dwordx2 v[41:42], v[39:40], off
.LBB942_573:                            ;   in Loop: Header=BB942_418 Depth=2
	s_or_b32 exec_lo, exec_lo, s23
	s_waitcnt_vscnt null, 0x0
	s_barrier
	buffer_gl0_inv
	s_and_saveexec_b32 s23, s8
	s_cbranch_execz .LBB942_417
; %bb.574:                              ;   in Loop: Header=BB942_418 Depth=2
	ds_read_b32 v3, v43
	s_waitcnt lgkmcnt(0)
	v_add3_u32 v3, v151, v154, v3
	ds_write_b32 v43, v3
	s_branch .LBB942_417
.LBB942_575:                            ;   in Loop: Header=BB942_418 Depth=2
	ds_read_u16 v156, v74 offset:512
	s_waitcnt lgkmcnt(0)
	v_lshrrev_b32_sdwa v3, s61, v156 dst_sel:DWORD dst_unused:UNUSED_PAD src0_sel:DWORD src1_sel:WORD_0
	v_and_b32_e32 v3, s62, v3
	v_lshlrev_b32_e32 v3, 2, v3
	ds_read_b32 v3, v3
	s_waitcnt lgkmcnt(0)
	v_add_nc_u32_e32 v3, v3, v0
	v_lshlrev_b64 v[39:40], 1, v[3:4]
	v_xor_b32_e32 v3, 0x7fff, v156
	v_add_co_u32 v39, s23, s48, v39
	v_add_co_ci_u32_e64 v40, null, s49, v40, s23
	global_store_short v[39:40], v3, off
	s_or_b32 exec_lo, exec_lo, s24
	v_cmp_lt_u32_e64 s23, v44, v155
	s_and_saveexec_b32 s25, s23
	s_cbranch_execz .LBB942_504
.LBB942_576:                            ;   in Loop: Header=BB942_418 Depth=2
	ds_read_u16 v156, v74 offset:1024
	s_waitcnt lgkmcnt(0)
	v_lshrrev_b32_sdwa v3, s61, v156 dst_sel:DWORD dst_unused:UNUSED_PAD src0_sel:DWORD src1_sel:WORD_0
	v_and_b32_e32 v3, s62, v3
	v_lshlrev_b32_e32 v3, 2, v3
	ds_read_b32 v3, v3
	s_waitcnt lgkmcnt(0)
	v_add_nc_u32_e32 v3, v3, v44
	v_lshlrev_b64 v[39:40], 1, v[3:4]
	v_xor_b32_e32 v3, 0x7fff, v156
	v_add_co_u32 v39, s24, s48, v39
	v_add_co_ci_u32_e64 v40, null, s49, v40, s24
	global_store_short v[39:40], v3, off
	s_or_b32 exec_lo, exec_lo, s25
	v_cmp_lt_u32_e64 s24, v47, v155
	s_and_saveexec_b32 s26, s24
	s_cbranch_execz .LBB942_505
.LBB942_577:                            ;   in Loop: Header=BB942_418 Depth=2
	ds_read_u16 v156, v74 offset:1536
	s_waitcnt lgkmcnt(0)
	v_lshrrev_b32_sdwa v3, s61, v156 dst_sel:DWORD dst_unused:UNUSED_PAD src0_sel:DWORD src1_sel:WORD_0
	v_and_b32_e32 v3, s62, v3
	v_lshlrev_b32_e32 v3, 2, v3
	ds_read_b32 v3, v3
	s_waitcnt lgkmcnt(0)
	v_add_nc_u32_e32 v3, v3, v47
	v_lshlrev_b64 v[39:40], 1, v[3:4]
	v_xor_b32_e32 v3, 0x7fff, v156
	v_add_co_u32 v39, s25, s48, v39
	v_add_co_ci_u32_e64 v40, null, s49, v40, s25
	global_store_short v[39:40], v3, off
	s_or_b32 exec_lo, exec_lo, s26
	v_cmp_lt_u32_e64 s25, v48, v155
	s_and_saveexec_b32 s27, s25
	s_cbranch_execz .LBB942_506
.LBB942_578:                            ;   in Loop: Header=BB942_418 Depth=2
	ds_read_u16 v156, v74 offset:2048
	s_waitcnt lgkmcnt(0)
	v_lshrrev_b32_sdwa v3, s61, v156 dst_sel:DWORD dst_unused:UNUSED_PAD src0_sel:DWORD src1_sel:WORD_0
	v_and_b32_e32 v3, s62, v3
	v_lshlrev_b32_e32 v3, 2, v3
	ds_read_b32 v3, v3
	s_waitcnt lgkmcnt(0)
	v_add_nc_u32_e32 v3, v3, v48
	v_lshlrev_b64 v[39:40], 1, v[3:4]
	v_xor_b32_e32 v3, 0x7fff, v156
	v_add_co_u32 v39, s26, s48, v39
	v_add_co_ci_u32_e64 v40, null, s49, v40, s26
	global_store_short v[39:40], v3, off
	s_or_b32 exec_lo, exec_lo, s27
	v_cmp_lt_u32_e64 s26, v49, v155
	s_and_saveexec_b32 s28, s26
	s_cbranch_execz .LBB942_507
.LBB942_579:                            ;   in Loop: Header=BB942_418 Depth=2
	ds_read_u16 v156, v74 offset:2560
	s_waitcnt lgkmcnt(0)
	v_lshrrev_b32_sdwa v3, s61, v156 dst_sel:DWORD dst_unused:UNUSED_PAD src0_sel:DWORD src1_sel:WORD_0
	v_and_b32_e32 v3, s62, v3
	v_lshlrev_b32_e32 v3, 2, v3
	ds_read_b32 v3, v3
	s_waitcnt lgkmcnt(0)
	v_add_nc_u32_e32 v3, v3, v49
	v_lshlrev_b64 v[39:40], 1, v[3:4]
	v_xor_b32_e32 v3, 0x7fff, v156
	v_add_co_u32 v39, s27, s48, v39
	v_add_co_ci_u32_e64 v40, null, s49, v40, s27
	global_store_short v[39:40], v3, off
	s_or_b32 exec_lo, exec_lo, s28
	v_cmp_lt_u32_e64 s27, v50, v155
	s_and_saveexec_b32 s29, s27
	s_cbranch_execz .LBB942_508
.LBB942_580:                            ;   in Loop: Header=BB942_418 Depth=2
	ds_read_u16 v156, v74 offset:3072
	s_waitcnt lgkmcnt(0)
	v_lshrrev_b32_sdwa v3, s61, v156 dst_sel:DWORD dst_unused:UNUSED_PAD src0_sel:DWORD src1_sel:WORD_0
	v_and_b32_e32 v3, s62, v3
	v_lshlrev_b32_e32 v3, 2, v3
	ds_read_b32 v3, v3
	s_waitcnt lgkmcnt(0)
	v_add_nc_u32_e32 v3, v3, v50
	v_lshlrev_b64 v[39:40], 1, v[3:4]
	v_xor_b32_e32 v3, 0x7fff, v156
	v_add_co_u32 v39, s28, s48, v39
	v_add_co_ci_u32_e64 v40, null, s49, v40, s28
	global_store_short v[39:40], v3, off
	s_or_b32 exec_lo, exec_lo, s29
	v_cmp_lt_u32_e64 s28, v51, v155
	s_and_saveexec_b32 s30, s28
	s_cbranch_execz .LBB942_509
.LBB942_581:                            ;   in Loop: Header=BB942_418 Depth=2
	ds_read_u16 v156, v74 offset:3584
	s_waitcnt lgkmcnt(0)
	v_lshrrev_b32_sdwa v3, s61, v156 dst_sel:DWORD dst_unused:UNUSED_PAD src0_sel:DWORD src1_sel:WORD_0
	v_and_b32_e32 v3, s62, v3
	v_lshlrev_b32_e32 v3, 2, v3
	ds_read_b32 v3, v3
	s_waitcnt lgkmcnt(0)
	v_add_nc_u32_e32 v3, v3, v51
	v_lshlrev_b64 v[39:40], 1, v[3:4]
	v_xor_b32_e32 v3, 0x7fff, v156
	v_add_co_u32 v39, s29, s48, v39
	v_add_co_ci_u32_e64 v40, null, s49, v40, s29
	global_store_short v[39:40], v3, off
	s_or_b32 exec_lo, exec_lo, s30
	v_cmp_lt_u32_e64 s29, v52, v155
	s_and_saveexec_b32 s31, s29
	s_cbranch_execz .LBB942_510
.LBB942_582:                            ;   in Loop: Header=BB942_418 Depth=2
	ds_read_u16 v156, v74 offset:4096
	s_waitcnt lgkmcnt(0)
	v_lshrrev_b32_sdwa v3, s61, v156 dst_sel:DWORD dst_unused:UNUSED_PAD src0_sel:DWORD src1_sel:WORD_0
	v_and_b32_e32 v3, s62, v3
	v_lshlrev_b32_e32 v3, 2, v3
	ds_read_b32 v3, v3
	s_waitcnt lgkmcnt(0)
	v_add_nc_u32_e32 v3, v3, v52
	v_lshlrev_b64 v[39:40], 1, v[3:4]
	v_xor_b32_e32 v3, 0x7fff, v156
	v_add_co_u32 v39, s30, s48, v39
	v_add_co_ci_u32_e64 v40, null, s49, v40, s30
	global_store_short v[39:40], v3, off
	s_or_b32 exec_lo, exec_lo, s31
	v_cmp_lt_u32_e64 s30, v53, v155
	s_and_saveexec_b32 s33, s30
	s_cbranch_execz .LBB942_511
.LBB942_583:                            ;   in Loop: Header=BB942_418 Depth=2
	ds_read_u16 v156, v74 offset:4608
	s_waitcnt lgkmcnt(0)
	v_lshrrev_b32_sdwa v3, s61, v156 dst_sel:DWORD dst_unused:UNUSED_PAD src0_sel:DWORD src1_sel:WORD_0
	v_and_b32_e32 v3, s62, v3
	v_lshlrev_b32_e32 v3, 2, v3
	ds_read_b32 v3, v3
	s_waitcnt lgkmcnt(0)
	v_add_nc_u32_e32 v3, v3, v53
	v_lshlrev_b64 v[39:40], 1, v[3:4]
	v_xor_b32_e32 v3, 0x7fff, v156
	v_add_co_u32 v39, s31, s48, v39
	v_add_co_ci_u32_e64 v40, null, s49, v40, s31
	global_store_short v[39:40], v3, off
	s_or_b32 exec_lo, exec_lo, s33
	v_cmp_lt_u32_e64 s31, v54, v155
	s_and_saveexec_b32 s34, s31
	s_cbranch_execz .LBB942_512
.LBB942_584:                            ;   in Loop: Header=BB942_418 Depth=2
	ds_read_u16 v156, v74 offset:5120
	s_waitcnt lgkmcnt(0)
	v_lshrrev_b32_sdwa v3, s61, v156 dst_sel:DWORD dst_unused:UNUSED_PAD src0_sel:DWORD src1_sel:WORD_0
	v_and_b32_e32 v3, s62, v3
	v_lshlrev_b32_e32 v3, 2, v3
	ds_read_b32 v3, v3
	s_waitcnt lgkmcnt(0)
	v_add_nc_u32_e32 v3, v3, v54
	v_lshlrev_b64 v[39:40], 1, v[3:4]
	v_xor_b32_e32 v3, 0x7fff, v156
	v_add_co_u32 v39, s33, s48, v39
	v_add_co_ci_u32_e64 v40, null, s49, v40, s33
	global_store_short v[39:40], v3, off
	s_or_b32 exec_lo, exec_lo, s34
	v_cmp_lt_u32_e64 s33, v55, v155
	s_and_saveexec_b32 s35, s33
	s_cbranch_execz .LBB942_513
.LBB942_585:                            ;   in Loop: Header=BB942_418 Depth=2
	ds_read_u16 v156, v74 offset:5632
	s_waitcnt lgkmcnt(0)
	v_lshrrev_b32_sdwa v3, s61, v156 dst_sel:DWORD dst_unused:UNUSED_PAD src0_sel:DWORD src1_sel:WORD_0
	v_and_b32_e32 v3, s62, v3
	v_lshlrev_b32_e32 v3, 2, v3
	ds_read_b32 v3, v3
	s_waitcnt lgkmcnt(0)
	v_add_nc_u32_e32 v3, v3, v55
	v_lshlrev_b64 v[39:40], 1, v[3:4]
	v_xor_b32_e32 v3, 0x7fff, v156
	v_add_co_u32 v39, s34, s48, v39
	v_add_co_ci_u32_e64 v40, null, s49, v40, s34
	global_store_short v[39:40], v3, off
	s_or_b32 exec_lo, exec_lo, s35
	v_cmp_lt_u32_e64 s34, v56, v155
	s_and_saveexec_b32 s36, s34
	s_cbranch_execz .LBB942_514
.LBB942_586:                            ;   in Loop: Header=BB942_418 Depth=2
	ds_read_u16 v156, v74 offset:6144
	s_waitcnt lgkmcnt(0)
	v_lshrrev_b32_sdwa v3, s61, v156 dst_sel:DWORD dst_unused:UNUSED_PAD src0_sel:DWORD src1_sel:WORD_0
	v_and_b32_e32 v3, s62, v3
	v_lshlrev_b32_e32 v3, 2, v3
	ds_read_b32 v3, v3
	s_waitcnt lgkmcnt(0)
	v_add_nc_u32_e32 v3, v3, v56
	v_lshlrev_b64 v[39:40], 1, v[3:4]
	v_xor_b32_e32 v3, 0x7fff, v156
	v_add_co_u32 v39, s35, s48, v39
	v_add_co_ci_u32_e64 v40, null, s49, v40, s35
	global_store_short v[39:40], v3, off
	s_or_b32 exec_lo, exec_lo, s36
	v_cmp_lt_u32_e64 s35, v57, v155
	s_and_saveexec_b32 s37, s35
	s_cbranch_execz .LBB942_515
.LBB942_587:                            ;   in Loop: Header=BB942_418 Depth=2
	ds_read_u16 v156, v74 offset:6656
	s_waitcnt lgkmcnt(0)
	v_lshrrev_b32_sdwa v3, s61, v156 dst_sel:DWORD dst_unused:UNUSED_PAD src0_sel:DWORD src1_sel:WORD_0
	v_and_b32_e32 v3, s62, v3
	v_lshlrev_b32_e32 v3, 2, v3
	ds_read_b32 v3, v3
	s_waitcnt lgkmcnt(0)
	v_add_nc_u32_e32 v3, v3, v57
	v_lshlrev_b64 v[39:40], 1, v[3:4]
	v_xor_b32_e32 v3, 0x7fff, v156
	v_add_co_u32 v39, s36, s48, v39
	v_add_co_ci_u32_e64 v40, null, s49, v40, s36
	global_store_short v[39:40], v3, off
	s_or_b32 exec_lo, exec_lo, s37
	v_cmp_lt_u32_e64 s36, v58, v155
	s_and_saveexec_b32 s38, s36
	s_cbranch_execz .LBB942_516
.LBB942_588:                            ;   in Loop: Header=BB942_418 Depth=2
	ds_read_u16 v156, v74 offset:7168
	s_waitcnt lgkmcnt(0)
	v_lshrrev_b32_sdwa v3, s61, v156 dst_sel:DWORD dst_unused:UNUSED_PAD src0_sel:DWORD src1_sel:WORD_0
	v_and_b32_e32 v3, s62, v3
	v_lshlrev_b32_e32 v3, 2, v3
	ds_read_b32 v3, v3
	s_waitcnt lgkmcnt(0)
	v_add_nc_u32_e32 v3, v3, v58
	v_lshlrev_b64 v[39:40], 1, v[3:4]
	v_xor_b32_e32 v3, 0x7fff, v156
	v_add_co_u32 v39, s37, s48, v39
	v_add_co_ci_u32_e64 v40, null, s49, v40, s37
	global_store_short v[39:40], v3, off
	s_or_b32 exec_lo, exec_lo, s38
	v_cmp_lt_u32_e64 s37, v59, v155
	s_and_saveexec_b32 s39, s37
	s_cbranch_execz .LBB942_517
.LBB942_589:                            ;   in Loop: Header=BB942_418 Depth=2
	ds_read_u16 v156, v74 offset:7680
	s_waitcnt lgkmcnt(0)
	v_lshrrev_b32_sdwa v3, s61, v156 dst_sel:DWORD dst_unused:UNUSED_PAD src0_sel:DWORD src1_sel:WORD_0
	v_and_b32_e32 v3, s62, v3
	v_lshlrev_b32_e32 v3, 2, v3
	ds_read_b32 v3, v3
	s_waitcnt lgkmcnt(0)
	v_add_nc_u32_e32 v3, v3, v59
	v_lshlrev_b64 v[39:40], 1, v[3:4]
	v_xor_b32_e32 v3, 0x7fff, v156
	v_add_co_u32 v39, s38, s48, v39
	v_add_co_ci_u32_e64 v40, null, s49, v40, s38
	global_store_short v[39:40], v3, off
	s_or_b32 exec_lo, exec_lo, s39
	v_cmp_lt_u32_e64 s38, v60, v155
	s_and_saveexec_b32 s40, s38
	s_cbranch_execz .LBB942_518
.LBB942_590:                            ;   in Loop: Header=BB942_418 Depth=2
	ds_read_u16 v156, v74 offset:8192
	s_waitcnt lgkmcnt(0)
	v_lshrrev_b32_sdwa v3, s61, v156 dst_sel:DWORD dst_unused:UNUSED_PAD src0_sel:DWORD src1_sel:WORD_0
	v_and_b32_e32 v3, s62, v3
	v_lshlrev_b32_e32 v3, 2, v3
	ds_read_b32 v3, v3
	s_waitcnt lgkmcnt(0)
	v_add_nc_u32_e32 v3, v3, v60
	v_lshlrev_b64 v[39:40], 1, v[3:4]
	v_xor_b32_e32 v3, 0x7fff, v156
	v_add_co_u32 v39, s39, s48, v39
	v_add_co_ci_u32_e64 v40, null, s49, v40, s39
	global_store_short v[39:40], v3, off
	s_or_b32 exec_lo, exec_lo, s40
	v_cmp_lt_u32_e64 s39, v61, v155
	s_and_saveexec_b32 s65, s39
	s_cbranch_execnz .LBB942_519
	s_branch .LBB942_520
.LBB942_591:                            ;   in Loop: Header=BB942_418 Depth=2
	global_load_dwordx2 v[37:38], v[39:40], off
	s_or_b32 exec_lo, exec_lo, s40
	s_mov_b32 s50, exec_lo
	v_cmpx_lt_u32_e64 v98, v155
	s_cbranch_execz .LBB942_522
.LBB942_592:                            ;   in Loop: Header=BB942_418 Depth=2
	global_load_dwordx2 v[35:36], v[39:40], off offset:256
	s_or_b32 exec_lo, exec_lo, s50
	s_mov_b32 s50, exec_lo
	v_cmpx_lt_u32_e64 v99, v155
	s_cbranch_execz .LBB942_523
.LBB942_593:                            ;   in Loop: Header=BB942_418 Depth=2
	global_load_dwordx2 v[33:34], v[39:40], off offset:512
	s_or_b32 exec_lo, exec_lo, s50
	s_mov_b32 s50, exec_lo
	v_cmpx_lt_u32_e64 v100, v155
	s_cbranch_execz .LBB942_524
.LBB942_594:                            ;   in Loop: Header=BB942_418 Depth=2
	global_load_dwordx2 v[31:32], v[39:40], off offset:768
	s_or_b32 exec_lo, exec_lo, s50
	s_mov_b32 s50, exec_lo
	v_cmpx_lt_u32_e64 v101, v155
	s_cbranch_execz .LBB942_525
.LBB942_595:                            ;   in Loop: Header=BB942_418 Depth=2
	global_load_dwordx2 v[29:30], v[39:40], off offset:1024
	s_or_b32 exec_lo, exec_lo, s50
	s_mov_b32 s50, exec_lo
	v_cmpx_lt_u32_e64 v102, v155
	s_cbranch_execz .LBB942_526
.LBB942_596:                            ;   in Loop: Header=BB942_418 Depth=2
	global_load_dwordx2 v[25:26], v[39:40], off offset:1280
	s_or_b32 exec_lo, exec_lo, s50
	s_mov_b32 s50, exec_lo
	v_cmpx_lt_u32_e64 v103, v155
	s_cbranch_execz .LBB942_527
.LBB942_597:                            ;   in Loop: Header=BB942_418 Depth=2
	global_load_dwordx2 v[21:22], v[39:40], off offset:1536
	s_or_b32 exec_lo, exec_lo, s50
	s_mov_b32 s50, exec_lo
	v_cmpx_lt_u32_e64 v104, v155
	s_cbranch_execz .LBB942_528
.LBB942_598:                            ;   in Loop: Header=BB942_418 Depth=2
	global_load_dwordx2 v[17:18], v[39:40], off offset:1792
	s_or_b32 exec_lo, exec_lo, s50
	s_mov_b32 s50, exec_lo
	v_cmpx_lt_u32_e64 v105, v155
	s_cbranch_execz .LBB942_529
.LBB942_599:                            ;   in Loop: Header=BB942_418 Depth=2
	v_add_co_u32 v27, s40, 0x800, v39
	v_add_co_ci_u32_e64 v28, null, 0, v40, s40
	global_load_dwordx2 v[27:28], v[27:28], off
	s_or_b32 exec_lo, exec_lo, s50
	s_mov_b32 s50, exec_lo
	v_cmpx_lt_u32_e64 v106, v155
	s_cbranch_execz .LBB942_530
.LBB942_600:                            ;   in Loop: Header=BB942_418 Depth=2
	v_add_co_u32 v23, s40, 0x800, v39
	v_add_co_ci_u32_e64 v24, null, 0, v40, s40
	global_load_dwordx2 v[23:24], v[23:24], off offset:256
	s_or_b32 exec_lo, exec_lo, s50
	s_mov_b32 s50, exec_lo
	v_cmpx_lt_u32_e64 v107, v155
	s_cbranch_execz .LBB942_531
.LBB942_601:                            ;   in Loop: Header=BB942_418 Depth=2
	v_add_co_u32 v19, s40, 0x800, v39
	v_add_co_ci_u32_e64 v20, null, 0, v40, s40
	global_load_dwordx2 v[19:20], v[19:20], off offset:512
	s_or_b32 exec_lo, exec_lo, s50
	s_mov_b32 s50, exec_lo
	v_cmpx_lt_u32_e64 v108, v155
	s_cbranch_execz .LBB942_532
.LBB942_602:                            ;   in Loop: Header=BB942_418 Depth=2
	v_add_co_u32 v15, s40, 0x800, v39
	v_add_co_ci_u32_e64 v16, null, 0, v40, s40
	global_load_dwordx2 v[15:16], v[15:16], off offset:768
	s_or_b32 exec_lo, exec_lo, s50
	s_mov_b32 s50, exec_lo
	v_cmpx_lt_u32_e64 v128, v155
	s_cbranch_execz .LBB942_533
.LBB942_603:                            ;   in Loop: Header=BB942_418 Depth=2
	v_add_co_u32 v13, s40, 0x800, v39
	v_add_co_ci_u32_e64 v14, null, 0, v40, s40
	global_load_dwordx2 v[13:14], v[13:14], off offset:1024
	s_or_b32 exec_lo, exec_lo, s50
	s_mov_b32 s50, exec_lo
	v_cmpx_lt_u32_e64 v129, v155
	s_cbranch_execz .LBB942_534
.LBB942_604:                            ;   in Loop: Header=BB942_418 Depth=2
	v_add_co_u32 v11, s40, 0x800, v39
	v_add_co_ci_u32_e64 v12, null, 0, v40, s40
	global_load_dwordx2 v[11:12], v[11:12], off offset:1280
	s_or_b32 exec_lo, exec_lo, s50
	s_mov_b32 s50, exec_lo
	v_cmpx_lt_u32_e64 v130, v155
	s_cbranch_execz .LBB942_535
.LBB942_605:                            ;   in Loop: Header=BB942_418 Depth=2
	v_add_co_u32 v9, s40, 0x800, v39
	v_add_co_ci_u32_e64 v10, null, 0, v40, s40
	global_load_dwordx2 v[9:10], v[9:10], off offset:1536
	s_or_b32 exec_lo, exec_lo, s50
	s_mov_b32 s50, exec_lo
	v_cmpx_lt_u32_e64 v131, v155
	s_cbranch_execz .LBB942_536
.LBB942_606:                            ;   in Loop: Header=BB942_418 Depth=2
	v_add_co_u32 v7, s40, 0x800, v39
	v_add_co_ci_u32_e64 v8, null, 0, v40, s40
	global_load_dwordx2 v[7:8], v[7:8], off offset:1792
	s_or_b32 exec_lo, exec_lo, s50
	s_mov_b32 s50, exec_lo
	v_cmpx_lt_u32_e64 v132, v155
	s_cbranch_execz .LBB942_537
.LBB942_607:                            ;   in Loop: Header=BB942_418 Depth=2
	v_add_co_u32 v5, s40, 0x1000, v39
	v_add_co_ci_u32_e64 v6, null, 0, v40, s40
	global_load_dwordx2 v[5:6], v[5:6], off
	s_or_b32 exec_lo, exec_lo, s50
	s_and_saveexec_b32 s40, vcc_lo
	s_cbranch_execz .LBB942_538
.LBB942_608:                            ;   in Loop: Header=BB942_418 Depth=2
	ds_read_u16 v3, v74 offset:512
	s_waitcnt lgkmcnt(0)
	v_lshrrev_b32_e32 v3, s61, v3
	v_and_b32_e32 v153, s62, v3
	s_or_b32 exec_lo, exec_lo, s40
	s_and_saveexec_b32 s40, s23
	s_cbranch_execz .LBB942_539
.LBB942_609:                            ;   in Loop: Header=BB942_418 Depth=2
	ds_read_u16 v3, v74 offset:1024
	s_waitcnt lgkmcnt(0)
	v_lshrrev_b32_e32 v3, s61, v3
	v_and_b32_e32 v152, s62, v3
	s_or_b32 exec_lo, exec_lo, s40
	s_and_saveexec_b32 s40, s24
	s_cbranch_execz .LBB942_540
.LBB942_610:                            ;   in Loop: Header=BB942_418 Depth=2
	ds_read_u16 v3, v74 offset:1536
	s_waitcnt lgkmcnt(0)
	v_lshrrev_b32_e32 v3, s61, v3
	v_and_b32_e32 v150, s62, v3
	s_or_b32 exec_lo, exec_lo, s40
	s_and_saveexec_b32 s40, s25
	s_cbranch_execz .LBB942_541
.LBB942_611:                            ;   in Loop: Header=BB942_418 Depth=2
	ds_read_u16 v3, v74 offset:2048
	s_waitcnt lgkmcnt(0)
	v_lshrrev_b32_e32 v3, s61, v3
	v_and_b32_e32 v149, s62, v3
	s_or_b32 exec_lo, exec_lo, s40
	s_and_saveexec_b32 s40, s26
	s_cbranch_execz .LBB942_542
.LBB942_612:                            ;   in Loop: Header=BB942_418 Depth=2
	ds_read_u16 v3, v74 offset:2560
	s_waitcnt lgkmcnt(0)
	v_lshrrev_b32_e32 v3, s61, v3
	v_and_b32_e32 v148, s62, v3
	s_or_b32 exec_lo, exec_lo, s40
	s_and_saveexec_b32 s40, s27
	s_cbranch_execz .LBB942_543
.LBB942_613:                            ;   in Loop: Header=BB942_418 Depth=2
	ds_read_u16 v3, v74 offset:3072
	s_waitcnt lgkmcnt(0)
	v_lshrrev_b32_e32 v3, s61, v3
	v_and_b32_e32 v147, s62, v3
	s_or_b32 exec_lo, exec_lo, s40
	s_and_saveexec_b32 s40, s28
	s_cbranch_execz .LBB942_544
.LBB942_614:                            ;   in Loop: Header=BB942_418 Depth=2
	ds_read_u16 v3, v74 offset:3584
	s_waitcnt lgkmcnt(0)
	v_lshrrev_b32_e32 v3, s61, v3
	v_and_b32_e32 v146, s62, v3
	s_or_b32 exec_lo, exec_lo, s40
	s_and_saveexec_b32 s40, s29
	s_cbranch_execz .LBB942_545
.LBB942_615:                            ;   in Loop: Header=BB942_418 Depth=2
	ds_read_u16 v3, v74 offset:4096
	s_waitcnt lgkmcnt(0)
	v_lshrrev_b32_e32 v3, s61, v3
	v_and_b32_e32 v145, s62, v3
	s_or_b32 exec_lo, exec_lo, s40
	s_and_saveexec_b32 s40, s30
	s_cbranch_execz .LBB942_546
.LBB942_616:                            ;   in Loop: Header=BB942_418 Depth=2
	ds_read_u16 v3, v74 offset:4608
	s_waitcnt lgkmcnt(0)
	v_lshrrev_b32_e32 v3, s61, v3
	v_and_b32_e32 v144, s62, v3
	s_or_b32 exec_lo, exec_lo, s40
	s_and_saveexec_b32 s40, s31
	s_cbranch_execz .LBB942_547
.LBB942_617:                            ;   in Loop: Header=BB942_418 Depth=2
	ds_read_u16 v3, v74 offset:5120
	s_waitcnt lgkmcnt(0)
	v_lshrrev_b32_e32 v3, s61, v3
	v_and_b32_e32 v143, s62, v3
	s_or_b32 exec_lo, exec_lo, s40
	s_and_saveexec_b32 s40, s33
	s_cbranch_execz .LBB942_548
.LBB942_618:                            ;   in Loop: Header=BB942_418 Depth=2
	ds_read_u16 v3, v74 offset:5632
	s_waitcnt lgkmcnt(0)
	v_lshrrev_b32_e32 v3, s61, v3
	v_and_b32_e32 v142, s62, v3
	s_or_b32 exec_lo, exec_lo, s40
	s_and_saveexec_b32 s40, s34
	s_cbranch_execz .LBB942_549
.LBB942_619:                            ;   in Loop: Header=BB942_418 Depth=2
	ds_read_u16 v3, v74 offset:6144
	s_waitcnt lgkmcnt(0)
	v_lshrrev_b32_e32 v3, s61, v3
	v_and_b32_e32 v141, s62, v3
	s_or_b32 exec_lo, exec_lo, s40
	s_and_saveexec_b32 s40, s35
	s_cbranch_execz .LBB942_550
.LBB942_620:                            ;   in Loop: Header=BB942_418 Depth=2
	ds_read_u16 v3, v74 offset:6656
	s_waitcnt lgkmcnt(0)
	v_lshrrev_b32_e32 v3, s61, v3
	v_and_b32_e32 v140, s62, v3
	s_or_b32 exec_lo, exec_lo, s40
	s_and_saveexec_b32 s40, s36
	s_cbranch_execz .LBB942_551
.LBB942_621:                            ;   in Loop: Header=BB942_418 Depth=2
	ds_read_u16 v3, v74 offset:7168
	s_waitcnt lgkmcnt(0)
	v_lshrrev_b32_e32 v3, s61, v3
	v_and_b32_e32 v139, s62, v3
	s_or_b32 exec_lo, exec_lo, s40
	s_and_saveexec_b32 s40, s37
	s_cbranch_execz .LBB942_552
.LBB942_622:                            ;   in Loop: Header=BB942_418 Depth=2
	ds_read_u16 v3, v74 offset:7680
	s_waitcnt lgkmcnt(0)
	v_lshrrev_b32_e32 v3, s61, v3
	v_and_b32_e32 v138, s62, v3
	s_or_b32 exec_lo, exec_lo, s40
	s_and_saveexec_b32 s40, s38
	s_cbranch_execz .LBB942_553
.LBB942_623:                            ;   in Loop: Header=BB942_418 Depth=2
	ds_read_u16 v3, v74 offset:8192
	s_waitcnt lgkmcnt(0)
	v_lshrrev_b32_e32 v3, s61, v3
	v_and_b32_e32 v137, s62, v3
	s_or_b32 exec_lo, exec_lo, s40
	s_and_saveexec_b32 s40, s39
	s_cbranch_execnz .LBB942_554
	s_branch .LBB942_555
.LBB942_624:                            ;   in Loop: Header=BB942_418 Depth=2
	v_lshlrev_b32_e32 v3, 2, v153
	v_add_nc_u32_e32 v39, v74, v75
	ds_read_b32 v3, v3
	ds_read_b64 v[39:40], v39 offset:512
	s_waitcnt lgkmcnt(1)
	v_add_nc_u32_e32 v3, v3, v0
	v_lshlrev_b64 v[41:42], 3, v[3:4]
	v_add_co_u32 v41, vcc_lo, s54, v41
	v_add_co_ci_u32_e64 v42, null, s55, v42, vcc_lo
	s_waitcnt lgkmcnt(0)
	global_store_dwordx2 v[41:42], v[39:40], off
	s_or_b32 exec_lo, exec_lo, s40
	s_and_saveexec_b32 s40, s23
	s_cbranch_execz .LBB942_557
.LBB942_625:                            ;   in Loop: Header=BB942_418 Depth=2
	v_lshlrev_b32_e32 v3, 2, v152
	v_add_nc_u32_e32 v39, v74, v75
	ds_read_b32 v3, v3
	ds_read_b64 v[39:40], v39 offset:2560
	s_waitcnt lgkmcnt(1)
	v_add_nc_u32_e32 v3, v3, v44
	v_lshlrev_b64 v[41:42], 3, v[3:4]
	v_add_co_u32 v41, vcc_lo, s54, v41
	v_add_co_ci_u32_e64 v42, null, s55, v42, vcc_lo
	s_waitcnt lgkmcnt(0)
	global_store_dwordx2 v[41:42], v[39:40], off
	s_or_b32 exec_lo, exec_lo, s40
	s_and_saveexec_b32 s23, s24
	s_cbranch_execz .LBB942_558
.LBB942_626:                            ;   in Loop: Header=BB942_418 Depth=2
	v_lshlrev_b32_e32 v3, 2, v150
	v_add_nc_u32_e32 v39, v74, v75
	ds_read_b32 v3, v3
	ds_read_b64 v[39:40], v39 offset:4608
	s_waitcnt lgkmcnt(1)
	v_add_nc_u32_e32 v3, v3, v47
	v_lshlrev_b64 v[41:42], 3, v[3:4]
	v_add_co_u32 v41, vcc_lo, s54, v41
	v_add_co_ci_u32_e64 v42, null, s55, v42, vcc_lo
	s_waitcnt lgkmcnt(0)
	global_store_dwordx2 v[41:42], v[39:40], off
	s_or_b32 exec_lo, exec_lo, s23
	s_and_saveexec_b32 s23, s25
	s_cbranch_execz .LBB942_559
.LBB942_627:                            ;   in Loop: Header=BB942_418 Depth=2
	v_lshlrev_b32_e32 v3, 2, v149
	v_add_nc_u32_e32 v39, v74, v75
	ds_read_b32 v3, v3
	ds_read_b64 v[39:40], v39 offset:6656
	s_waitcnt lgkmcnt(1)
	v_add_nc_u32_e32 v3, v3, v48
	v_lshlrev_b64 v[41:42], 3, v[3:4]
	v_add_co_u32 v41, vcc_lo, s54, v41
	v_add_co_ci_u32_e64 v42, null, s55, v42, vcc_lo
	s_waitcnt lgkmcnt(0)
	global_store_dwordx2 v[41:42], v[39:40], off
	s_or_b32 exec_lo, exec_lo, s23
	s_and_saveexec_b32 s23, s26
	s_cbranch_execz .LBB942_560
.LBB942_628:                            ;   in Loop: Header=BB942_418 Depth=2
	v_lshlrev_b32_e32 v3, 2, v148
	v_add_nc_u32_e32 v39, v74, v75
	ds_read_b32 v3, v3
	ds_read_b64 v[39:40], v39 offset:8704
	s_waitcnt lgkmcnt(1)
	v_add_nc_u32_e32 v3, v3, v49
	v_lshlrev_b64 v[41:42], 3, v[3:4]
	v_add_co_u32 v41, vcc_lo, s54, v41
	v_add_co_ci_u32_e64 v42, null, s55, v42, vcc_lo
	s_waitcnt lgkmcnt(0)
	global_store_dwordx2 v[41:42], v[39:40], off
	s_or_b32 exec_lo, exec_lo, s23
	s_and_saveexec_b32 s23, s27
	s_cbranch_execz .LBB942_561
.LBB942_629:                            ;   in Loop: Header=BB942_418 Depth=2
	v_lshlrev_b32_e32 v3, 2, v147
	v_add_nc_u32_e32 v39, v74, v75
	ds_read_b32 v3, v3
	ds_read_b64 v[39:40], v39 offset:10752
	s_waitcnt lgkmcnt(1)
	v_add_nc_u32_e32 v3, v3, v50
	v_lshlrev_b64 v[41:42], 3, v[3:4]
	v_add_co_u32 v41, vcc_lo, s54, v41
	v_add_co_ci_u32_e64 v42, null, s55, v42, vcc_lo
	s_waitcnt lgkmcnt(0)
	global_store_dwordx2 v[41:42], v[39:40], off
	s_or_b32 exec_lo, exec_lo, s23
	s_and_saveexec_b32 s23, s28
	s_cbranch_execz .LBB942_562
.LBB942_630:                            ;   in Loop: Header=BB942_418 Depth=2
	v_lshlrev_b32_e32 v3, 2, v146
	v_add_nc_u32_e32 v39, v74, v75
	ds_read_b32 v3, v3
	ds_read_b64 v[39:40], v39 offset:12800
	s_waitcnt lgkmcnt(1)
	v_add_nc_u32_e32 v3, v3, v51
	v_lshlrev_b64 v[41:42], 3, v[3:4]
	v_add_co_u32 v41, vcc_lo, s54, v41
	v_add_co_ci_u32_e64 v42, null, s55, v42, vcc_lo
	s_waitcnt lgkmcnt(0)
	global_store_dwordx2 v[41:42], v[39:40], off
	s_or_b32 exec_lo, exec_lo, s23
	s_and_saveexec_b32 s23, s29
	s_cbranch_execz .LBB942_563
.LBB942_631:                            ;   in Loop: Header=BB942_418 Depth=2
	v_lshlrev_b32_e32 v3, 2, v145
	v_add_nc_u32_e32 v39, v74, v75
	ds_read_b32 v3, v3
	ds_read_b64 v[39:40], v39 offset:14848
	s_waitcnt lgkmcnt(1)
	v_add_nc_u32_e32 v3, v3, v52
	v_lshlrev_b64 v[41:42], 3, v[3:4]
	v_add_co_u32 v41, vcc_lo, s54, v41
	v_add_co_ci_u32_e64 v42, null, s55, v42, vcc_lo
	s_waitcnt lgkmcnt(0)
	global_store_dwordx2 v[41:42], v[39:40], off
	s_or_b32 exec_lo, exec_lo, s23
	s_and_saveexec_b32 s23, s30
	s_cbranch_execz .LBB942_564
.LBB942_632:                            ;   in Loop: Header=BB942_418 Depth=2
	v_lshlrev_b32_e32 v3, 2, v144
	v_add_nc_u32_e32 v39, v74, v75
	ds_read_b32 v3, v3
	ds_read_b64 v[39:40], v39 offset:16896
	s_waitcnt lgkmcnt(1)
	v_add_nc_u32_e32 v3, v3, v53
	v_lshlrev_b64 v[41:42], 3, v[3:4]
	v_add_co_u32 v41, vcc_lo, s54, v41
	v_add_co_ci_u32_e64 v42, null, s55, v42, vcc_lo
	s_waitcnt lgkmcnt(0)
	global_store_dwordx2 v[41:42], v[39:40], off
	s_or_b32 exec_lo, exec_lo, s23
	s_and_saveexec_b32 s23, s31
	s_cbranch_execz .LBB942_565
.LBB942_633:                            ;   in Loop: Header=BB942_418 Depth=2
	v_lshlrev_b32_e32 v3, 2, v143
	v_add_nc_u32_e32 v39, v74, v75
	ds_read_b32 v3, v3
	ds_read_b64 v[39:40], v39 offset:18944
	s_waitcnt lgkmcnt(1)
	v_add_nc_u32_e32 v3, v3, v54
	v_lshlrev_b64 v[41:42], 3, v[3:4]
	v_add_co_u32 v41, vcc_lo, s54, v41
	v_add_co_ci_u32_e64 v42, null, s55, v42, vcc_lo
	s_waitcnt lgkmcnt(0)
	global_store_dwordx2 v[41:42], v[39:40], off
	s_or_b32 exec_lo, exec_lo, s23
	s_and_saveexec_b32 s23, s33
	s_cbranch_execz .LBB942_566
.LBB942_634:                            ;   in Loop: Header=BB942_418 Depth=2
	v_lshlrev_b32_e32 v3, 2, v142
	v_add_nc_u32_e32 v39, v74, v75
	ds_read_b32 v3, v3
	ds_read_b64 v[39:40], v39 offset:20992
	s_waitcnt lgkmcnt(1)
	v_add_nc_u32_e32 v3, v3, v55
	v_lshlrev_b64 v[41:42], 3, v[3:4]
	v_add_co_u32 v41, vcc_lo, s54, v41
	v_add_co_ci_u32_e64 v42, null, s55, v42, vcc_lo
	s_waitcnt lgkmcnt(0)
	global_store_dwordx2 v[41:42], v[39:40], off
	s_or_b32 exec_lo, exec_lo, s23
	s_and_saveexec_b32 s23, s34
	s_cbranch_execz .LBB942_567
.LBB942_635:                            ;   in Loop: Header=BB942_418 Depth=2
	v_lshlrev_b32_e32 v3, 2, v141
	v_add_nc_u32_e32 v39, v74, v75
	ds_read_b32 v3, v3
	ds_read_b64 v[39:40], v39 offset:23040
	s_waitcnt lgkmcnt(1)
	v_add_nc_u32_e32 v3, v3, v56
	v_lshlrev_b64 v[41:42], 3, v[3:4]
	v_add_co_u32 v41, vcc_lo, s54, v41
	v_add_co_ci_u32_e64 v42, null, s55, v42, vcc_lo
	s_waitcnt lgkmcnt(0)
	global_store_dwordx2 v[41:42], v[39:40], off
	s_or_b32 exec_lo, exec_lo, s23
	s_and_saveexec_b32 s23, s35
	s_cbranch_execz .LBB942_568
.LBB942_636:                            ;   in Loop: Header=BB942_418 Depth=2
	v_lshlrev_b32_e32 v3, 2, v140
	v_add_nc_u32_e32 v39, v74, v75
	ds_read_b32 v3, v3
	ds_read_b64 v[39:40], v39 offset:25088
	s_waitcnt lgkmcnt(1)
	v_add_nc_u32_e32 v3, v3, v57
	v_lshlrev_b64 v[41:42], 3, v[3:4]
	v_add_co_u32 v41, vcc_lo, s54, v41
	v_add_co_ci_u32_e64 v42, null, s55, v42, vcc_lo
	s_waitcnt lgkmcnt(0)
	global_store_dwordx2 v[41:42], v[39:40], off
	s_or_b32 exec_lo, exec_lo, s23
	s_and_saveexec_b32 s23, s36
	s_cbranch_execz .LBB942_569
.LBB942_637:                            ;   in Loop: Header=BB942_418 Depth=2
	v_lshlrev_b32_e32 v3, 2, v139
	v_add_nc_u32_e32 v39, v74, v75
	ds_read_b32 v3, v3
	ds_read_b64 v[39:40], v39 offset:27136
	s_waitcnt lgkmcnt(1)
	v_add_nc_u32_e32 v3, v3, v58
	v_lshlrev_b64 v[41:42], 3, v[3:4]
	v_add_co_u32 v41, vcc_lo, s54, v41
	v_add_co_ci_u32_e64 v42, null, s55, v42, vcc_lo
	s_waitcnt lgkmcnt(0)
	global_store_dwordx2 v[41:42], v[39:40], off
	s_or_b32 exec_lo, exec_lo, s23
	s_and_saveexec_b32 s23, s37
	s_cbranch_execz .LBB942_570
.LBB942_638:                            ;   in Loop: Header=BB942_418 Depth=2
	v_lshlrev_b32_e32 v3, 2, v138
	v_add_nc_u32_e32 v39, v74, v75
	ds_read_b32 v3, v3
	ds_read_b64 v[39:40], v39 offset:29184
	s_waitcnt lgkmcnt(1)
	v_add_nc_u32_e32 v3, v3, v59
	v_lshlrev_b64 v[41:42], 3, v[3:4]
	v_add_co_u32 v41, vcc_lo, s54, v41
	v_add_co_ci_u32_e64 v42, null, s55, v42, vcc_lo
	s_waitcnt lgkmcnt(0)
	global_store_dwordx2 v[41:42], v[39:40], off
	s_or_b32 exec_lo, exec_lo, s23
	s_and_saveexec_b32 s23, s38
	s_cbranch_execz .LBB942_571
.LBB942_639:                            ;   in Loop: Header=BB942_418 Depth=2
	v_lshlrev_b32_e32 v3, 2, v137
	v_add_nc_u32_e32 v39, v74, v75
	ds_read_b32 v3, v3
	ds_read_b64 v[39:40], v39 offset:31232
	s_waitcnt lgkmcnt(1)
	v_add_nc_u32_e32 v3, v3, v60
	v_lshlrev_b64 v[41:42], 3, v[3:4]
	v_add_co_u32 v41, vcc_lo, s54, v41
	v_add_co_ci_u32_e64 v42, null, s55, v42, vcc_lo
	s_waitcnt lgkmcnt(0)
	global_store_dwordx2 v[41:42], v[39:40], off
	s_or_b32 exec_lo, exec_lo, s23
	s_and_saveexec_b32 s23, s39
	s_cbranch_execnz .LBB942_572
	s_branch .LBB942_573
.LBB942_640:                            ;   in Loop: Header=BB942_20 Depth=1
	s_waitcnt lgkmcnt(0)
	s_barrier
.LBB942_641:                            ;   in Loop: Header=BB942_20 Depth=1
	s_mov_b32 s5, 0
.LBB942_642:                            ;   in Loop: Header=BB942_20 Depth=1
	s_andn2_b32 vcc_lo, exec_lo, s5
	s_cbranch_vccnz .LBB942_19
; %bb.643:                              ;   in Loop: Header=BB942_20 Depth=1
	s_and_b32 vcc_lo, exec_lo, s43
	s_mov_b32 s5, -1
	s_cbranch_vccz .LBB942_953
; %bb.644:                              ;   in Loop: Header=BB942_20 Depth=1
	s_mov_b32 s5, s60
	s_mov_b32 s50, s58
	s_barrier
	buffer_gl0_inv
                                        ; implicit-def: $vgpr3
                                        ; implicit-def: $vgpr5
                                        ; implicit-def: $vgpr6
                                        ; implicit-def: $vgpr7
                                        ; implicit-def: $vgpr8
                                        ; implicit-def: $vgpr9
                                        ; implicit-def: $vgpr10
                                        ; implicit-def: $vgpr11
                                        ; implicit-def: $vgpr12
                                        ; implicit-def: $vgpr13
                                        ; implicit-def: $vgpr14
                                        ; implicit-def: $vgpr15
                                        ; implicit-def: $vgpr16
                                        ; implicit-def: $vgpr17
                                        ; implicit-def: $vgpr18
                                        ; implicit-def: $vgpr19
                                        ; implicit-def: $vgpr20
	s_branch .LBB942_646
.LBB942_645:                            ;   in Loop: Header=BB942_646 Depth=2
	s_or_b32 exec_lo, exec_lo, s16
	s_addk_i32 s5, 0xef00
	s_cmp_ge_u32 s18, s59
	s_mov_b32 s50, s18
	s_cbranch_scc1 .LBB942_718
.LBB942_646:                            ;   Parent Loop BB942_20 Depth=1
                                        ; =>  This Inner Loop Header: Depth=2
	s_add_i32 s18, s50, 0x1100
	s_mov_b32 s16, -1
	s_cmp_gt_u32 s18, s59
                                        ; implicit-def: $vgpr21
                                        ; implicit-def: $vgpr22
                                        ; implicit-def: $vgpr23
                                        ; implicit-def: $vgpr24
                                        ; implicit-def: $vgpr28
                                        ; implicit-def: $vgpr25
                                        ; implicit-def: $vgpr26
                                        ; implicit-def: $vgpr27
                                        ; implicit-def: $vgpr30
                                        ; implicit-def: $vgpr29
                                        ; implicit-def: $vgpr31
                                        ; implicit-def: $vgpr32
                                        ; implicit-def: $vgpr33
                                        ; implicit-def: $vgpr34
                                        ; implicit-def: $vgpr35
                                        ; implicit-def: $vgpr36
                                        ; implicit-def: $vgpr37
	s_cbranch_scc1 .LBB942_648
; %bb.647:                              ;   in Loop: Header=BB942_646 Depth=2
	s_lshl_b64 s[16:17], s[50:51], 1
	v_add_co_u32 v30, vcc_lo, v82, s16
	v_add_co_ci_u32_e64 v31, null, s17, v83, vcc_lo
	s_mov_b32 s16, 0
	v_add_co_u32 v27, vcc_lo, 0x800, v30
	v_add_co_ci_u32_e64 v28, null, 0, v31, vcc_lo
	v_add_co_u32 v32, vcc_lo, v30, 0x1000
	v_add_co_ci_u32_e64 v33, null, 0, v31, vcc_lo
	;; [unrolled: 2-line block ×5, first 2 shown]
	s_clause 0x10
	global_load_ushort v21, v[30:31], off
	global_load_ushort v22, v[30:31], off offset:512
	global_load_ushort v23, v[30:31], off offset:1024
	;; [unrolled: 1-line block ×7, first 2 shown]
	global_load_ushort v28, v[32:33], off offset:-2048
	global_load_ushort v30, v[32:33], off
	global_load_ushort v31, v[34:35], off offset:1024
	global_load_ushort v32, v[34:35], off offset:1536
	global_load_ushort v33, v[38:39], off offset:-2048
	global_load_ushort v34, v[36:37], off offset:512
	global_load_ushort v35, v[36:37], off offset:1024
	global_load_ushort v36, v[36:37], off offset:1536
	global_load_ushort v37, v[38:39], off
.LBB942_648:                            ;   in Loop: Header=BB942_646 Depth=2
	s_andn2_b32 vcc_lo, exec_lo, s16
	s_movk_i32 s16, 0x1100
	s_cbranch_vccnz .LBB942_668
; %bb.649:                              ;   in Loop: Header=BB942_646 Depth=2
	s_lshl_b64 s[16:17], s[50:51], 1
	s_mov_b32 s19, exec_lo
	s_add_u32 s16, s44, s16
	s_addc_u32 s17, s45, s17
	v_cmpx_gt_u32_e64 s5, v0
	s_cbranch_execnz .LBB942_702
; %bb.650:                              ;   in Loop: Header=BB942_646 Depth=2
	s_or_b32 exec_lo, exec_lo, s19
	s_mov_b32 s19, exec_lo
	v_cmpx_gt_u32_e64 s5, v44
	s_cbranch_execnz .LBB942_703
.LBB942_651:                            ;   in Loop: Header=BB942_646 Depth=2
	s_or_b32 exec_lo, exec_lo, s19
	s_mov_b32 s19, exec_lo
	v_cmpx_gt_u32_e64 s5, v47
	s_cbranch_execnz .LBB942_704
.LBB942_652:                            ;   in Loop: Header=BB942_646 Depth=2
	s_or_b32 exec_lo, exec_lo, s19
	s_mov_b32 s19, exec_lo
	v_cmpx_gt_u32_e64 s5, v48
	s_cbranch_execnz .LBB942_705
.LBB942_653:                            ;   in Loop: Header=BB942_646 Depth=2
	s_or_b32 exec_lo, exec_lo, s19
	s_mov_b32 s19, exec_lo
	v_cmpx_gt_u32_e64 s5, v49
	s_cbranch_execnz .LBB942_706
.LBB942_654:                            ;   in Loop: Header=BB942_646 Depth=2
	s_or_b32 exec_lo, exec_lo, s19
	s_mov_b32 s19, exec_lo
	v_cmpx_gt_u32_e64 s5, v50
	s_cbranch_execnz .LBB942_707
.LBB942_655:                            ;   in Loop: Header=BB942_646 Depth=2
	s_or_b32 exec_lo, exec_lo, s19
	s_mov_b32 s19, exec_lo
	v_cmpx_gt_u32_e64 s5, v51
	s_cbranch_execnz .LBB942_708
.LBB942_656:                            ;   in Loop: Header=BB942_646 Depth=2
	s_or_b32 exec_lo, exec_lo, s19
	s_mov_b32 s19, exec_lo
	v_cmpx_gt_u32_e64 s5, v52
	s_cbranch_execnz .LBB942_709
.LBB942_657:                            ;   in Loop: Header=BB942_646 Depth=2
	s_or_b32 exec_lo, exec_lo, s19
	s_mov_b32 s19, exec_lo
	v_cmpx_gt_u32_e64 s5, v53
	s_cbranch_execnz .LBB942_710
.LBB942_658:                            ;   in Loop: Header=BB942_646 Depth=2
	s_or_b32 exec_lo, exec_lo, s19
	s_mov_b32 s19, exec_lo
	v_cmpx_gt_u32_e64 s5, v54
	s_cbranch_execnz .LBB942_711
.LBB942_659:                            ;   in Loop: Header=BB942_646 Depth=2
	s_or_b32 exec_lo, exec_lo, s19
	s_mov_b32 s19, exec_lo
	v_cmpx_gt_u32_e64 s5, v55
	s_cbranch_execnz .LBB942_712
.LBB942_660:                            ;   in Loop: Header=BB942_646 Depth=2
	s_or_b32 exec_lo, exec_lo, s19
	s_mov_b32 s19, exec_lo
	v_cmpx_gt_u32_e64 s5, v56
	s_cbranch_execnz .LBB942_713
.LBB942_661:                            ;   in Loop: Header=BB942_646 Depth=2
	s_or_b32 exec_lo, exec_lo, s19
	s_mov_b32 s19, exec_lo
	v_cmpx_gt_u32_e64 s5, v57
	s_cbranch_execnz .LBB942_714
.LBB942_662:                            ;   in Loop: Header=BB942_646 Depth=2
	s_or_b32 exec_lo, exec_lo, s19
	s_mov_b32 s19, exec_lo
	v_cmpx_gt_u32_e64 s5, v58
	s_cbranch_execnz .LBB942_715
.LBB942_663:                            ;   in Loop: Header=BB942_646 Depth=2
	s_or_b32 exec_lo, exec_lo, s19
	s_mov_b32 s19, exec_lo
	v_cmpx_gt_u32_e64 s5, v59
	s_cbranch_execnz .LBB942_716
.LBB942_664:                            ;   in Loop: Header=BB942_646 Depth=2
	s_or_b32 exec_lo, exec_lo, s19
	s_mov_b32 s19, exec_lo
	v_cmpx_gt_u32_e64 s5, v60
	s_cbranch_execnz .LBB942_717
.LBB942_665:                            ;   in Loop: Header=BB942_646 Depth=2
	s_or_b32 exec_lo, exec_lo, s19
	s_mov_b32 s19, exec_lo
	v_cmpx_gt_u32_e64 s5, v61
	s_cbranch_execz .LBB942_667
.LBB942_666:                            ;   in Loop: Header=BB942_646 Depth=2
	global_load_ushort v3, v122, s[16:17]
.LBB942_667:                            ;   in Loop: Header=BB942_646 Depth=2
	s_or_b32 exec_lo, exec_lo, s19
	s_waitcnt vmcnt(0)
	v_mov_b32_e32 v21, v20
	v_mov_b32_e32 v22, v19
	;; [unrolled: 1-line block ×17, first 2 shown]
	s_mov_b32 s16, s5
.LBB942_668:                            ;   in Loop: Header=BB942_646 Depth=2
	s_waitcnt vmcnt(0)
	v_mov_b32_e32 v3, v37
	v_mov_b32_e32 v5, v36
	;; [unrolled: 1-line block ×17, first 2 shown]
	s_mov_b32 s17, exec_lo
	v_cmpx_gt_u32_e64 s16, v0
	s_cbranch_execnz .LBB942_685
; %bb.669:                              ;   in Loop: Header=BB942_646 Depth=2
	s_or_b32 exec_lo, exec_lo, s17
	s_mov_b32 s17, exec_lo
	v_cmpx_gt_u32_e64 s16, v44
	s_cbranch_execnz .LBB942_686
.LBB942_670:                            ;   in Loop: Header=BB942_646 Depth=2
	s_or_b32 exec_lo, exec_lo, s17
	s_mov_b32 s17, exec_lo
	v_cmpx_gt_u32_e64 s16, v47
	s_cbranch_execnz .LBB942_687
.LBB942_671:                            ;   in Loop: Header=BB942_646 Depth=2
	s_or_b32 exec_lo, exec_lo, s17
	s_mov_b32 s17, exec_lo
	v_cmpx_gt_u32_e64 s16, v48
	s_cbranch_execnz .LBB942_688
.LBB942_672:                            ;   in Loop: Header=BB942_646 Depth=2
	s_or_b32 exec_lo, exec_lo, s17
	s_mov_b32 s17, exec_lo
	v_cmpx_gt_u32_e64 s16, v49
	s_cbranch_execnz .LBB942_689
.LBB942_673:                            ;   in Loop: Header=BB942_646 Depth=2
	s_or_b32 exec_lo, exec_lo, s17
	s_mov_b32 s17, exec_lo
	v_cmpx_gt_u32_e64 s16, v50
	s_cbranch_execnz .LBB942_690
.LBB942_674:                            ;   in Loop: Header=BB942_646 Depth=2
	s_or_b32 exec_lo, exec_lo, s17
	s_mov_b32 s17, exec_lo
	v_cmpx_gt_u32_e64 s16, v51
	s_cbranch_execnz .LBB942_691
.LBB942_675:                            ;   in Loop: Header=BB942_646 Depth=2
	s_or_b32 exec_lo, exec_lo, s17
	s_mov_b32 s17, exec_lo
	v_cmpx_gt_u32_e64 s16, v52
	s_cbranch_execnz .LBB942_692
.LBB942_676:                            ;   in Loop: Header=BB942_646 Depth=2
	s_or_b32 exec_lo, exec_lo, s17
	s_mov_b32 s17, exec_lo
	v_cmpx_gt_u32_e64 s16, v53
	s_cbranch_execnz .LBB942_693
.LBB942_677:                            ;   in Loop: Header=BB942_646 Depth=2
	s_or_b32 exec_lo, exec_lo, s17
	s_mov_b32 s17, exec_lo
	v_cmpx_gt_u32_e64 s16, v54
	s_cbranch_execnz .LBB942_694
.LBB942_678:                            ;   in Loop: Header=BB942_646 Depth=2
	s_or_b32 exec_lo, exec_lo, s17
	s_mov_b32 s17, exec_lo
	v_cmpx_gt_u32_e64 s16, v55
	s_cbranch_execnz .LBB942_695
.LBB942_679:                            ;   in Loop: Header=BB942_646 Depth=2
	s_or_b32 exec_lo, exec_lo, s17
	s_mov_b32 s17, exec_lo
	v_cmpx_gt_u32_e64 s16, v56
	s_cbranch_execnz .LBB942_696
.LBB942_680:                            ;   in Loop: Header=BB942_646 Depth=2
	s_or_b32 exec_lo, exec_lo, s17
	s_mov_b32 s17, exec_lo
	v_cmpx_gt_u32_e64 s16, v57
	s_cbranch_execnz .LBB942_697
.LBB942_681:                            ;   in Loop: Header=BB942_646 Depth=2
	s_or_b32 exec_lo, exec_lo, s17
	s_mov_b32 s17, exec_lo
	v_cmpx_gt_u32_e64 s16, v58
	s_cbranch_execnz .LBB942_698
.LBB942_682:                            ;   in Loop: Header=BB942_646 Depth=2
	s_or_b32 exec_lo, exec_lo, s17
	s_mov_b32 s17, exec_lo
	v_cmpx_gt_u32_e64 s16, v59
	s_cbranch_execnz .LBB942_699
.LBB942_683:                            ;   in Loop: Header=BB942_646 Depth=2
	s_or_b32 exec_lo, exec_lo, s17
	s_mov_b32 s17, exec_lo
	v_cmpx_gt_u32_e64 s16, v60
	s_cbranch_execnz .LBB942_700
.LBB942_684:                            ;   in Loop: Header=BB942_646 Depth=2
	s_or_b32 exec_lo, exec_lo, s17
	v_cmp_gt_u32_e32 vcc_lo, s16, v61
	s_and_saveexec_b32 s16, vcc_lo
	s_cbranch_execz .LBB942_645
	s_branch .LBB942_701
.LBB942_685:                            ;   in Loop: Header=BB942_646 Depth=2
	v_xor_b32_e32 v21, 0x7fff, v20
	v_lshrrev_b32_sdwa v21, s41, v21 dst_sel:DWORD dst_unused:UNUSED_PAD src0_sel:DWORD src1_sel:WORD_0
	v_and_b32_e32 v21, s62, v21
	v_lshl_or_b32 v21, v21, 4, v63
	ds_add_u32 v21, v89
	s_or_b32 exec_lo, exec_lo, s17
	s_mov_b32 s17, exec_lo
	v_cmpx_gt_u32_e64 s16, v44
	s_cbranch_execz .LBB942_670
.LBB942_686:                            ;   in Loop: Header=BB942_646 Depth=2
	v_xor_b32_e32 v21, 0x7fff, v19
	v_lshrrev_b32_sdwa v21, s41, v21 dst_sel:DWORD dst_unused:UNUSED_PAD src0_sel:DWORD src1_sel:WORD_0
	v_and_b32_e32 v21, s62, v21
	v_lshl_or_b32 v21, v21, 4, v63
	ds_add_u32 v21, v89
	s_or_b32 exec_lo, exec_lo, s17
	s_mov_b32 s17, exec_lo
	v_cmpx_gt_u32_e64 s16, v47
	s_cbranch_execz .LBB942_671
.LBB942_687:                            ;   in Loop: Header=BB942_646 Depth=2
	v_xor_b32_e32 v21, 0x7fff, v18
	v_lshrrev_b32_sdwa v21, s41, v21 dst_sel:DWORD dst_unused:UNUSED_PAD src0_sel:DWORD src1_sel:WORD_0
	v_and_b32_e32 v21, s62, v21
	v_lshl_or_b32 v21, v21, 4, v63
	ds_add_u32 v21, v89
	s_or_b32 exec_lo, exec_lo, s17
	s_mov_b32 s17, exec_lo
	v_cmpx_gt_u32_e64 s16, v48
	s_cbranch_execz .LBB942_672
.LBB942_688:                            ;   in Loop: Header=BB942_646 Depth=2
	v_xor_b32_e32 v21, 0x7fff, v17
	v_lshrrev_b32_sdwa v21, s41, v21 dst_sel:DWORD dst_unused:UNUSED_PAD src0_sel:DWORD src1_sel:WORD_0
	v_and_b32_e32 v21, s62, v21
	v_lshl_or_b32 v21, v21, 4, v63
	ds_add_u32 v21, v89
	s_or_b32 exec_lo, exec_lo, s17
	s_mov_b32 s17, exec_lo
	v_cmpx_gt_u32_e64 s16, v49
	s_cbranch_execz .LBB942_673
.LBB942_689:                            ;   in Loop: Header=BB942_646 Depth=2
	v_xor_b32_e32 v21, 0x7fff, v16
	v_lshrrev_b32_sdwa v21, s41, v21 dst_sel:DWORD dst_unused:UNUSED_PAD src0_sel:DWORD src1_sel:WORD_0
	v_and_b32_e32 v21, s62, v21
	v_lshl_or_b32 v21, v21, 4, v63
	ds_add_u32 v21, v89
	s_or_b32 exec_lo, exec_lo, s17
	s_mov_b32 s17, exec_lo
	v_cmpx_gt_u32_e64 s16, v50
	s_cbranch_execz .LBB942_674
.LBB942_690:                            ;   in Loop: Header=BB942_646 Depth=2
	v_xor_b32_e32 v21, 0x7fff, v15
	v_lshrrev_b32_sdwa v21, s41, v21 dst_sel:DWORD dst_unused:UNUSED_PAD src0_sel:DWORD src1_sel:WORD_0
	v_and_b32_e32 v21, s62, v21
	v_lshl_or_b32 v21, v21, 4, v63
	ds_add_u32 v21, v89
	s_or_b32 exec_lo, exec_lo, s17
	s_mov_b32 s17, exec_lo
	v_cmpx_gt_u32_e64 s16, v51
	s_cbranch_execz .LBB942_675
.LBB942_691:                            ;   in Loop: Header=BB942_646 Depth=2
	v_xor_b32_e32 v21, 0x7fff, v14
	v_lshrrev_b32_sdwa v21, s41, v21 dst_sel:DWORD dst_unused:UNUSED_PAD src0_sel:DWORD src1_sel:WORD_0
	v_and_b32_e32 v21, s62, v21
	v_lshl_or_b32 v21, v21, 4, v63
	ds_add_u32 v21, v89
	s_or_b32 exec_lo, exec_lo, s17
	s_mov_b32 s17, exec_lo
	v_cmpx_gt_u32_e64 s16, v52
	s_cbranch_execz .LBB942_676
.LBB942_692:                            ;   in Loop: Header=BB942_646 Depth=2
	v_xor_b32_e32 v21, 0x7fff, v13
	v_lshrrev_b32_sdwa v21, s41, v21 dst_sel:DWORD dst_unused:UNUSED_PAD src0_sel:DWORD src1_sel:WORD_0
	v_and_b32_e32 v21, s62, v21
	v_lshl_or_b32 v21, v21, 4, v63
	ds_add_u32 v21, v89
	s_or_b32 exec_lo, exec_lo, s17
	s_mov_b32 s17, exec_lo
	v_cmpx_gt_u32_e64 s16, v53
	s_cbranch_execz .LBB942_677
.LBB942_693:                            ;   in Loop: Header=BB942_646 Depth=2
	v_xor_b32_e32 v21, 0x7fff, v12
	v_lshrrev_b32_sdwa v21, s41, v21 dst_sel:DWORD dst_unused:UNUSED_PAD src0_sel:DWORD src1_sel:WORD_0
	v_and_b32_e32 v21, s62, v21
	v_lshl_or_b32 v21, v21, 4, v63
	ds_add_u32 v21, v89
	s_or_b32 exec_lo, exec_lo, s17
	s_mov_b32 s17, exec_lo
	v_cmpx_gt_u32_e64 s16, v54
	s_cbranch_execz .LBB942_678
.LBB942_694:                            ;   in Loop: Header=BB942_646 Depth=2
	v_xor_b32_e32 v21, 0x7fff, v11
	v_lshrrev_b32_sdwa v21, s41, v21 dst_sel:DWORD dst_unused:UNUSED_PAD src0_sel:DWORD src1_sel:WORD_0
	v_and_b32_e32 v21, s62, v21
	v_lshl_or_b32 v21, v21, 4, v63
	ds_add_u32 v21, v89
	s_or_b32 exec_lo, exec_lo, s17
	s_mov_b32 s17, exec_lo
	v_cmpx_gt_u32_e64 s16, v55
	s_cbranch_execz .LBB942_679
.LBB942_695:                            ;   in Loop: Header=BB942_646 Depth=2
	v_xor_b32_e32 v21, 0x7fff, v10
	v_lshrrev_b32_sdwa v21, s41, v21 dst_sel:DWORD dst_unused:UNUSED_PAD src0_sel:DWORD src1_sel:WORD_0
	v_and_b32_e32 v21, s62, v21
	v_lshl_or_b32 v21, v21, 4, v63
	ds_add_u32 v21, v89
	s_or_b32 exec_lo, exec_lo, s17
	s_mov_b32 s17, exec_lo
	v_cmpx_gt_u32_e64 s16, v56
	s_cbranch_execz .LBB942_680
.LBB942_696:                            ;   in Loop: Header=BB942_646 Depth=2
	v_xor_b32_e32 v21, 0x7fff, v9
	v_lshrrev_b32_sdwa v21, s41, v21 dst_sel:DWORD dst_unused:UNUSED_PAD src0_sel:DWORD src1_sel:WORD_0
	v_and_b32_e32 v21, s62, v21
	v_lshl_or_b32 v21, v21, 4, v63
	ds_add_u32 v21, v89
	s_or_b32 exec_lo, exec_lo, s17
	s_mov_b32 s17, exec_lo
	v_cmpx_gt_u32_e64 s16, v57
	s_cbranch_execz .LBB942_681
.LBB942_697:                            ;   in Loop: Header=BB942_646 Depth=2
	v_xor_b32_e32 v21, 0x7fff, v8
	v_lshrrev_b32_sdwa v21, s41, v21 dst_sel:DWORD dst_unused:UNUSED_PAD src0_sel:DWORD src1_sel:WORD_0
	v_and_b32_e32 v21, s62, v21
	v_lshl_or_b32 v21, v21, 4, v63
	ds_add_u32 v21, v89
	s_or_b32 exec_lo, exec_lo, s17
	s_mov_b32 s17, exec_lo
	v_cmpx_gt_u32_e64 s16, v58
	s_cbranch_execz .LBB942_682
.LBB942_698:                            ;   in Loop: Header=BB942_646 Depth=2
	v_xor_b32_e32 v21, 0x7fff, v7
	v_lshrrev_b32_sdwa v21, s41, v21 dst_sel:DWORD dst_unused:UNUSED_PAD src0_sel:DWORD src1_sel:WORD_0
	v_and_b32_e32 v21, s62, v21
	v_lshl_or_b32 v21, v21, 4, v63
	ds_add_u32 v21, v89
	s_or_b32 exec_lo, exec_lo, s17
	s_mov_b32 s17, exec_lo
	v_cmpx_gt_u32_e64 s16, v59
	s_cbranch_execz .LBB942_683
.LBB942_699:                            ;   in Loop: Header=BB942_646 Depth=2
	v_xor_b32_e32 v21, 0x7fff, v6
	v_lshrrev_b32_sdwa v21, s41, v21 dst_sel:DWORD dst_unused:UNUSED_PAD src0_sel:DWORD src1_sel:WORD_0
	v_and_b32_e32 v21, s62, v21
	v_lshl_or_b32 v21, v21, 4, v63
	ds_add_u32 v21, v89
	s_or_b32 exec_lo, exec_lo, s17
	s_mov_b32 s17, exec_lo
	v_cmpx_gt_u32_e64 s16, v60
	s_cbranch_execz .LBB942_684
.LBB942_700:                            ;   in Loop: Header=BB942_646 Depth=2
	v_xor_b32_e32 v21, 0x7fff, v5
	v_lshrrev_b32_sdwa v21, s41, v21 dst_sel:DWORD dst_unused:UNUSED_PAD src0_sel:DWORD src1_sel:WORD_0
	v_and_b32_e32 v21, s62, v21
	v_lshl_or_b32 v21, v21, 4, v63
	ds_add_u32 v21, v89
	s_or_b32 exec_lo, exec_lo, s17
	v_cmp_gt_u32_e32 vcc_lo, s16, v61
	s_and_saveexec_b32 s16, vcc_lo
	s_cbranch_execz .LBB942_645
.LBB942_701:                            ;   in Loop: Header=BB942_646 Depth=2
	v_xor_b32_e32 v21, 0x7fff, v3
	v_lshrrev_b32_sdwa v21, s41, v21 dst_sel:DWORD dst_unused:UNUSED_PAD src0_sel:DWORD src1_sel:WORD_0
	v_and_b32_e32 v21, s62, v21
	v_lshl_or_b32 v21, v21, 4, v63
	ds_add_u32 v21, v89
	s_branch .LBB942_645
.LBB942_702:                            ;   in Loop: Header=BB942_646 Depth=2
	global_load_ushort v20, v109, s[16:17]
	s_or_b32 exec_lo, exec_lo, s19
	s_mov_b32 s19, exec_lo
	v_cmpx_gt_u32_e64 s5, v44
	s_cbranch_execz .LBB942_651
.LBB942_703:                            ;   in Loop: Header=BB942_646 Depth=2
	global_load_ushort v19, v109, s[16:17] offset:512
	s_or_b32 exec_lo, exec_lo, s19
	s_mov_b32 s19, exec_lo
	v_cmpx_gt_u32_e64 s5, v47
	s_cbranch_execz .LBB942_652
.LBB942_704:                            ;   in Loop: Header=BB942_646 Depth=2
	global_load_ushort v18, v109, s[16:17] offset:1024
	s_or_b32 exec_lo, exec_lo, s19
	s_mov_b32 s19, exec_lo
	v_cmpx_gt_u32_e64 s5, v48
	s_cbranch_execz .LBB942_653
.LBB942_705:                            ;   in Loop: Header=BB942_646 Depth=2
	global_load_ushort v17, v109, s[16:17] offset:1536
	s_or_b32 exec_lo, exec_lo, s19
	s_mov_b32 s19, exec_lo
	v_cmpx_gt_u32_e64 s5, v49
	s_cbranch_execz .LBB942_654
.LBB942_706:                            ;   in Loop: Header=BB942_646 Depth=2
	global_load_ushort v16, v110, s[16:17]
	s_or_b32 exec_lo, exec_lo, s19
	s_mov_b32 s19, exec_lo
	v_cmpx_gt_u32_e64 s5, v50
	s_cbranch_execz .LBB942_655
.LBB942_707:                            ;   in Loop: Header=BB942_646 Depth=2
	global_load_ushort v15, v111, s[16:17]
	s_or_b32 exec_lo, exec_lo, s19
	s_mov_b32 s19, exec_lo
	v_cmpx_gt_u32_e64 s5, v51
	s_cbranch_execz .LBB942_656
.LBB942_708:                            ;   in Loop: Header=BB942_646 Depth=2
	global_load_ushort v14, v112, s[16:17]
	s_or_b32 exec_lo, exec_lo, s19
	s_mov_b32 s19, exec_lo
	v_cmpx_gt_u32_e64 s5, v52
	s_cbranch_execz .LBB942_657
.LBB942_709:                            ;   in Loop: Header=BB942_646 Depth=2
	global_load_ushort v13, v113, s[16:17]
	s_or_b32 exec_lo, exec_lo, s19
	s_mov_b32 s19, exec_lo
	v_cmpx_gt_u32_e64 s5, v53
	s_cbranch_execz .LBB942_658
.LBB942_710:                            ;   in Loop: Header=BB942_646 Depth=2
	global_load_ushort v12, v114, s[16:17]
	s_or_b32 exec_lo, exec_lo, s19
	s_mov_b32 s19, exec_lo
	v_cmpx_gt_u32_e64 s5, v54
	s_cbranch_execz .LBB942_659
.LBB942_711:                            ;   in Loop: Header=BB942_646 Depth=2
	global_load_ushort v11, v115, s[16:17]
	s_or_b32 exec_lo, exec_lo, s19
	s_mov_b32 s19, exec_lo
	v_cmpx_gt_u32_e64 s5, v55
	s_cbranch_execz .LBB942_660
.LBB942_712:                            ;   in Loop: Header=BB942_646 Depth=2
	global_load_ushort v10, v116, s[16:17]
	s_or_b32 exec_lo, exec_lo, s19
	s_mov_b32 s19, exec_lo
	v_cmpx_gt_u32_e64 s5, v56
	s_cbranch_execz .LBB942_661
.LBB942_713:                            ;   in Loop: Header=BB942_646 Depth=2
	global_load_ushort v9, v117, s[16:17]
	s_or_b32 exec_lo, exec_lo, s19
	s_mov_b32 s19, exec_lo
	v_cmpx_gt_u32_e64 s5, v57
	s_cbranch_execz .LBB942_662
.LBB942_714:                            ;   in Loop: Header=BB942_646 Depth=2
	global_load_ushort v8, v118, s[16:17]
	s_or_b32 exec_lo, exec_lo, s19
	s_mov_b32 s19, exec_lo
	v_cmpx_gt_u32_e64 s5, v58
	s_cbranch_execz .LBB942_663
.LBB942_715:                            ;   in Loop: Header=BB942_646 Depth=2
	global_load_ushort v7, v119, s[16:17]
	s_or_b32 exec_lo, exec_lo, s19
	s_mov_b32 s19, exec_lo
	v_cmpx_gt_u32_e64 s5, v59
	s_cbranch_execz .LBB942_664
.LBB942_716:                            ;   in Loop: Header=BB942_646 Depth=2
	global_load_ushort v6, v120, s[16:17]
	s_or_b32 exec_lo, exec_lo, s19
	s_mov_b32 s19, exec_lo
	v_cmpx_gt_u32_e64 s5, v60
	s_cbranch_execz .LBB942_665
.LBB942_717:                            ;   in Loop: Header=BB942_646 Depth=2
	global_load_ushort v5, v121, s[16:17]
	s_or_b32 exec_lo, exec_lo, s19
	s_mov_b32 s19, exec_lo
	v_cmpx_gt_u32_e64 s5, v61
	s_cbranch_execnz .LBB942_666
	s_branch .LBB942_667
.LBB942_718:                            ;   in Loop: Header=BB942_20 Depth=1
	v_mov_b32_e32 v3, 0
	s_waitcnt lgkmcnt(0)
	s_barrier
	buffer_gl0_inv
	s_and_saveexec_b32 s5, s8
	s_cbranch_execz .LBB942_720
; %bb.719:                              ;   in Loop: Header=BB942_20 Depth=1
	ds_read2_b64 v[5:8], v64 offset1:1
	s_waitcnt lgkmcnt(0)
	v_add_nc_u32_e32 v3, v6, v5
	v_add3_u32 v3, v3, v7, v8
.LBB942_720:                            ;   in Loop: Header=BB942_20 Depth=1
	s_or_b32 exec_lo, exec_lo, s5
	v_mov_b32_dpp v5, v3 row_shr:1 row_mask:0xf bank_mask:0xf
	v_cmp_eq_u32_e64 s5, 0, v90
	v_cmp_lt_u32_e64 s16, 1, v90
	v_cmp_lt_u32_e64 s17, 3, v90
	;; [unrolled: 1-line block ×3, first 2 shown]
	v_cmp_eq_u32_e64 s19, 0, v92
	v_cndmask_b32_e64 v5, v5, 0, s5
	v_add_nc_u32_e32 v3, v5, v3
	v_mov_b32_dpp v5, v3 row_shr:2 row_mask:0xf bank_mask:0xf
	v_cndmask_b32_e64 v5, 0, v5, s16
	v_add_nc_u32_e32 v3, v3, v5
	v_mov_b32_dpp v5, v3 row_shr:4 row_mask:0xf bank_mask:0xf
	;; [unrolled: 3-line block ×3, first 2 shown]
	v_cndmask_b32_e64 v5, 0, v5, s18
	v_add_nc_u32_e32 v3, v3, v5
	ds_swizzle_b32 v5, v3 offset:swizzle(BROADCAST,32,15)
	s_waitcnt lgkmcnt(0)
	v_and_b32_e32 v5, v91, v5
	v_add_nc_u32_e32 v3, v3, v5
	s_and_saveexec_b32 s20, s9
; %bb.721:                              ;   in Loop: Header=BB942_20 Depth=1
	ds_write_b32 v65, v3
; %bb.722:                              ;   in Loop: Header=BB942_20 Depth=1
	s_or_b32 exec_lo, exec_lo, s20
	s_waitcnt lgkmcnt(0)
	s_barrier
	buffer_gl0_inv
	s_and_saveexec_b32 s20, s10
	s_cbranch_execz .LBB942_724
; %bb.723:                              ;   in Loop: Header=BB942_20 Depth=1
	ds_read_b32 v5, v66
	v_cmp_ne_u32_e32 vcc_lo, 0, v93
	s_waitcnt lgkmcnt(0)
	v_mov_b32_dpp v6, v5 row_shr:1 row_mask:0xf bank_mask:0xf
	v_cndmask_b32_e32 v6, 0, v6, vcc_lo
	v_cmp_lt_u32_e32 vcc_lo, 1, v93
	v_add_nc_u32_e32 v5, v6, v5
	v_mov_b32_dpp v6, v5 row_shr:2 row_mask:0xf bank_mask:0xf
	v_cndmask_b32_e32 v6, 0, v6, vcc_lo
	v_add_nc_u32_e32 v5, v5, v6
	ds_write_b32 v66, v5
.LBB942_724:                            ;   in Loop: Header=BB942_20 Depth=1
	s_or_b32 exec_lo, exec_lo, s20
	v_mov_b32_e32 v5, 0
	s_waitcnt lgkmcnt(0)
	s_barrier
	buffer_gl0_inv
	s_and_saveexec_b32 s20, s11
; %bb.725:                              ;   in Loop: Header=BB942_20 Depth=1
	ds_read_b32 v5, v67
; %bb.726:                              ;   in Loop: Header=BB942_20 Depth=1
	s_or_b32 exec_lo, exec_lo, s20
	v_cmp_gt_i32_e32 vcc_lo, 0, v95
	s_waitcnt lgkmcnt(0)
	v_add_nc_u32_e32 v3, v5, v3
	s_barrier
	buffer_gl0_inv
	v_cndmask_b32_e32 v6, v95, v86, vcc_lo
	v_lshlrev_b32_e32 v125, 2, v6
	ds_bpermute_b32 v3, v125, v3
	s_and_saveexec_b32 s20, s8
	s_cbranch_execz .LBB942_728
; %bb.727:                              ;   in Loop: Header=BB942_20 Depth=1
	s_waitcnt lgkmcnt(0)
	v_cndmask_b32_e64 v3, v3, v5, s15
	v_add_nc_u32_e32 v3, s58, v3
	ds_write_b32 v43, v3
.LBB942_728:                            ;   in Loop: Header=BB942_20 Depth=1
	s_or_b32 exec_lo, exec_lo, s20
	s_load_dwordx2 s[20:21], s[56:57], 0x0
	v_add_co_u32 v126, vcc_lo, v84, v97
	v_add_co_ci_u32_e64 v127, null, 0, v85, vcc_lo
	v_add_nc_u32_e32 v128, 0x180, v94
	v_add_nc_u32_e32 v129, 0x1a0, v94
	;; [unrolled: 1-line block ×5, first 2 shown]
	s_mov_b32 s63, s60
	s_mov_b32 s50, s58
                                        ; implicit-def: $vgpr7_vgpr8
                                        ; implicit-def: $vgpr9_vgpr10
                                        ; implicit-def: $vgpr11_vgpr12
                                        ; implicit-def: $vgpr13_vgpr14
                                        ; implicit-def: $vgpr15_vgpr16
                                        ; implicit-def: $vgpr19_vgpr20
                                        ; implicit-def: $vgpr23_vgpr24
                                        ; implicit-def: $vgpr27_vgpr28
                                        ; implicit-def: $vgpr17_vgpr18
                                        ; implicit-def: $vgpr21_vgpr22
                                        ; implicit-def: $vgpr25_vgpr26
                                        ; implicit-def: $vgpr29_vgpr30
                                        ; implicit-def: $vgpr31_vgpr32
                                        ; implicit-def: $vgpr33_vgpr34
                                        ; implicit-def: $vgpr35_vgpr36
                                        ; implicit-def: $vgpr37_vgpr38
                                        ; implicit-def: $vgpr136
                                        ; implicit-def: $vgpr137
                                        ; implicit-def: $vgpr138
                                        ; implicit-def: $vgpr139
                                        ; implicit-def: $vgpr140
                                        ; implicit-def: $vgpr141
                                        ; implicit-def: $vgpr142
                                        ; implicit-def: $vgpr143
                                        ; implicit-def: $vgpr144
                                        ; implicit-def: $vgpr145
                                        ; implicit-def: $vgpr146
                                        ; implicit-def: $vgpr147
                                        ; implicit-def: $vgpr148
                                        ; implicit-def: $vgpr149
                                        ; implicit-def: $vgpr150
                                        ; implicit-def: $vgpr152
                                        ; implicit-def: $vgpr153
                                        ; implicit-def: $vgpr151
                                        ; implicit-def: $vgpr154
	s_waitcnt lgkmcnt(0)
	s_cmp_lt_u32 s7, s21
	s_cselect_b32 s21, 14, 20
	s_add_u32 s22, s56, s21
	s_addc_u32 s23, s57, 0
	s_cmp_lt_u32 s6, s20
	global_load_ushort v3, v4, s[22:23]
	s_cselect_b32 s20, 12, 18
	s_add_u32 s20, s56, s20
	s_addc_u32 s21, s57, 0
	global_load_ushort v5, v4, s[20:21]
	v_cmp_eq_u32_e64 s20, 0, v96
	v_cmp_lt_u32_e64 s21, 1, v96
	v_cmp_lt_u32_e64 s22, 3, v96
	s_waitcnt vmcnt(1)
	v_mad_u32_u24 v3, v2, v3, v1
	s_waitcnt vmcnt(0)
	v_mad_u64_u32 v[5:6], null, v3, v5, v[0:1]
	v_lshlrev_b32_e32 v3, 1, v86
	v_add_co_u32 v133, vcc_lo, v87, v3
	v_lshrrev_b32_e32 v5, 3, v5
	v_add_co_ci_u32_e64 v134, null, 0, v88, vcc_lo
	v_and_b32_e32 v135, 0x1ffffffc, v5
                                        ; implicit-def: $vgpr5_vgpr6
	s_branch .LBB942_730
.LBB942_729:                            ;   in Loop: Header=BB942_730 Depth=2
	s_or_b32 exec_lo, exec_lo, s23
	s_addk_i32 s63, 0xef00
	s_cmp_lt_u32 s64, s59
	s_mov_b32 s50, s64
	s_cbranch_scc0 .LBB942_952
.LBB942_730:                            ;   Parent Loop BB942_20 Depth=1
                                        ; =>  This Inner Loop Header: Depth=2
	s_add_i32 s64, s50, 0x1100
	s_cmp_gt_u32 s64, s59
	s_cbranch_scc1 .LBB942_732
; %bb.731:                              ;   in Loop: Header=BB942_730 Depth=2
	s_lshl_b64 s[24:25], s[50:51], 1
	s_mov_b32 s23, -1
	v_add_co_u32 v39, vcc_lo, v133, s24
	v_add_co_ci_u32_e64 v40, null, s25, v134, vcc_lo
	s_clause 0xf
	global_load_ushort v156, v[39:40], off
	global_load_ushort v157, v[39:40], off offset:64
	global_load_ushort v160, v[39:40], off offset:128
	;; [unrolled: 1-line block ×15, first 2 shown]
	s_movk_i32 s24, 0x1100
	s_cbranch_execz .LBB942_733
	s_branch .LBB942_766
.LBB942_732:                            ;   in Loop: Header=BB942_730 Depth=2
	s_mov_b32 s23, 0
                                        ; implicit-def: $vgpr156
                                        ; implicit-def: $vgpr157
                                        ; implicit-def: $vgpr160
                                        ; implicit-def: $vgpr164
                                        ; implicit-def: $vgpr169
                                        ; implicit-def: $vgpr174
                                        ; implicit-def: $vgpr179
                                        ; implicit-def: $vgpr184
                                        ; implicit-def: $vgpr189
                                        ; implicit-def: $vgpr187
                                        ; implicit-def: $vgpr182
                                        ; implicit-def: $vgpr177
                                        ; implicit-def: $vgpr173
                                        ; implicit-def: $vgpr168
                                        ; implicit-def: $vgpr42
                                        ; implicit-def: $vgpr41
	s_movk_i32 s24, 0x1100
.LBB942_733:                            ;   in Loop: Header=BB942_730 Depth=2
	s_lshl_b64 s[24:25], s[50:51], 1
	s_waitcnt vmcnt(14)
	v_mov_b32_e32 v157, 0xffff8000
	v_add_co_u32 v39, vcc_lo, v133, s24
	v_add_co_ci_u32_e64 v40, null, s25, v134, vcc_lo
	v_mov_b32_e32 v156, 0xffff8000
	s_mov_b32 s23, exec_lo
	v_cmpx_gt_u32_e64 s63, v94
	s_cbranch_execz .LBB942_735
; %bb.734:                              ;   in Loop: Header=BB942_730 Depth=2
	global_load_ushort v156, v[39:40], off
.LBB942_735:                            ;   in Loop: Header=BB942_730 Depth=2
	s_or_b32 exec_lo, exec_lo, s23
	s_mov_b32 s23, exec_lo
	v_cmpx_gt_u32_e64 s63, v98
	s_cbranch_execz .LBB942_737
; %bb.736:                              ;   in Loop: Header=BB942_730 Depth=2
	global_load_ushort v157, v[39:40], off offset:64
.LBB942_737:                            ;   in Loop: Header=BB942_730 Depth=2
	s_or_b32 exec_lo, exec_lo, s23
	s_waitcnt vmcnt(12)
	v_mov_b32_e32 v164, 0xffff8000
	v_mov_b32_e32 v160, 0xffff8000
	s_mov_b32 s23, exec_lo
	v_cmpx_gt_u32_e64 s63, v99
	s_cbranch_execz .LBB942_739
; %bb.738:                              ;   in Loop: Header=BB942_730 Depth=2
	global_load_ushort v160, v[39:40], off offset:128
.LBB942_739:                            ;   in Loop: Header=BB942_730 Depth=2
	s_or_b32 exec_lo, exec_lo, s23
	s_mov_b32 s23, exec_lo
	v_cmpx_gt_u32_e64 s63, v100
	s_cbranch_execz .LBB942_741
; %bb.740:                              ;   in Loop: Header=BB942_730 Depth=2
	global_load_ushort v164, v[39:40], off offset:192
.LBB942_741:                            ;   in Loop: Header=BB942_730 Depth=2
	s_or_b32 exec_lo, exec_lo, s23
	s_waitcnt vmcnt(10)
	v_mov_b32_e32 v174, 0xffff8000
	v_mov_b32_e32 v169, 0xffff8000
	s_mov_b32 s23, exec_lo
	v_cmpx_gt_u32_e64 s63, v101
	s_cbranch_execz .LBB942_743
; %bb.742:                              ;   in Loop: Header=BB942_730 Depth=2
	global_load_ushort v169, v[39:40], off offset:256
.LBB942_743:                            ;   in Loop: Header=BB942_730 Depth=2
	;; [unrolled: 17-line block ×7, first 2 shown]
	s_or_b32 exec_lo, exec_lo, s23
	s_mov_b32 s23, exec_lo
	v_cmpx_gt_u32_e64 s63, v131
	s_cbranch_execz .LBB942_765
; %bb.764:                              ;   in Loop: Header=BB942_730 Depth=2
	global_load_ushort v41, v[39:40], off offset:960
.LBB942_765:                            ;   in Loop: Header=BB942_730 Depth=2
	s_or_b32 exec_lo, exec_lo, s23
	v_cmp_gt_u32_e64 s23, s63, v132
	s_sub_i32 s24, s59, s50
.LBB942_766:                            ;   in Loop: Header=BB942_730 Depth=2
	v_mov_b32_e32 v3, -1
	v_mov_b32_e32 v155, s63
	s_and_saveexec_b32 s25, s23
	s_cbranch_execz .LBB942_768
; %bb.767:                              ;   in Loop: Header=BB942_730 Depth=2
	s_lshl_b64 s[26:27], s[50:51], 1
	v_mov_b32_e32 v155, s24
	v_add_co_u32 v39, vcc_lo, v133, s26
	v_add_co_ci_u32_e64 v40, null, s27, v134, vcc_lo
	global_load_ushort v3, v[39:40], off offset:1024
	s_waitcnt vmcnt(0)
	v_xor_b32_e32 v3, 0x7fff, v3
.LBB942_768:                            ;   in Loop: Header=BB942_730 Depth=2
	s_or_b32 exec_lo, exec_lo, s25
	s_waitcnt vmcnt(15)
	v_xor_b32_e32 v156, 0x7fff, v156
	ds_write2_b32 v68, v4, v4 offset0:136 offset1:137
	ds_write2_b32 v68, v4, v4 offset0:138 offset1:139
	ds_write_b32 v68, v4 offset:560
	s_waitcnt vmcnt(0) lgkmcnt(0)
	s_barrier
	v_lshrrev_b32_sdwa v39, s41, v156 dst_sel:DWORD dst_unused:UNUSED_PAD src0_sel:DWORD src1_sel:WORD_0
	buffer_gl0_inv
	; wave barrier
	v_and_b32_e32 v40, s62, v39
	v_and_b32_e32 v39, 1, v40
	v_lshlrev_b32_e32 v158, 30, v40
	v_lshlrev_b32_e32 v159, 29, v40
	;; [unrolled: 1-line block ×4, first 2 shown]
	v_add_co_u32 v39, s23, v39, -1
	v_cndmask_b32_e64 v161, 0, 1, s23
	v_not_b32_e32 v166, v158
	v_cmp_gt_i32_e64 s23, 0, v158
	v_not_b32_e32 v158, v159
	v_lshlrev_b32_e32 v165, 26, v40
	v_cmp_ne_u32_e32 vcc_lo, 0, v161
	v_ashrrev_i32_e32 v166, 31, v166
	v_lshlrev_b32_e32 v161, 25, v40
	v_ashrrev_i32_e32 v158, 31, v158
	v_mul_u32_u24_e32 v40, 36, v40
	v_xor_b32_e32 v39, vcc_lo, v39
	v_cmp_gt_i32_e32 vcc_lo, 0, v159
	v_not_b32_e32 v159, v162
	v_xor_b32_e32 v166, s23, v166
	v_cmp_gt_i32_e64 s23, 0, v162
	v_and_b32_e32 v39, exec_lo, v39
	v_not_b32_e32 v162, v163
	v_ashrrev_i32_e32 v159, 31, v159
	v_xor_b32_e32 v158, vcc_lo, v158
	v_cmp_gt_i32_e32 vcc_lo, 0, v163
	v_and_b32_e32 v39, v39, v166
	v_not_b32_e32 v163, v165
	v_ashrrev_i32_e32 v162, 31, v162
	v_xor_b32_e32 v159, s23, v159
	v_cmp_gt_i32_e64 s23, 0, v165
	v_and_b32_e32 v39, v39, v158
	v_not_b32_e32 v158, v161
	v_ashrrev_i32_e32 v163, 31, v163
	v_xor_b32_e32 v162, vcc_lo, v162
	v_cmp_gt_i32_e32 vcc_lo, 0, v161
	v_and_b32_e32 v39, v39, v159
	v_ashrrev_i32_e32 v158, 31, v158
	v_xor_b32_e32 v159, s23, v163
	v_and_b32_e32 v39, v39, v162
	v_xor_b32_e32 v158, vcc_lo, v158
	v_and_b32_e32 v39, v39, v159
	v_add_nc_u32_e32 v159, v135, v40
	v_and_b32_e32 v39, v39, v158
	v_mbcnt_lo_u32_b32 v158, v39, 0
	v_cmp_ne_u32_e64 s23, 0, v39
	v_cmp_eq_u32_e32 vcc_lo, 0, v158
	s_and_b32 s24, s23, vcc_lo
	s_and_saveexec_b32 s23, s24
; %bb.769:                              ;   in Loop: Header=BB942_730 Depth=2
	v_bcnt_u32_b32 v39, v39, 0
	ds_write_b32 v159, v39 offset:544
; %bb.770:                              ;   in Loop: Header=BB942_730 Depth=2
	s_or_b32 exec_lo, exec_lo, s23
	v_xor_b32_e32 v157, 0x7fff, v157
	; wave barrier
	v_lshrrev_b32_sdwa v39, s41, v157 dst_sel:DWORD dst_unused:UNUSED_PAD src0_sel:DWORD src1_sel:WORD_0
	v_and_b32_e32 v40, s62, v39
	v_and_b32_e32 v39, 1, v40
	v_lshlrev_b32_e32 v161, 30, v40
	v_lshlrev_b32_e32 v162, 29, v40
	v_lshlrev_b32_e32 v165, 28, v40
	v_lshlrev_b32_e32 v166, 27, v40
	v_add_co_u32 v39, s23, v39, -1
	v_cndmask_b32_e64 v163, 0, 1, s23
	v_not_b32_e32 v170, v161
	v_cmp_gt_i32_e64 s23, 0, v161
	v_not_b32_e32 v161, v162
	v_lshlrev_b32_e32 v167, 26, v40
	v_cmp_ne_u32_e32 vcc_lo, 0, v163
	v_ashrrev_i32_e32 v170, 31, v170
	v_lshlrev_b32_e32 v163, 25, v40
	v_ashrrev_i32_e32 v161, 31, v161
	v_xor_b32_e32 v39, vcc_lo, v39
	v_cmp_gt_i32_e32 vcc_lo, 0, v162
	v_not_b32_e32 v162, v165
	v_xor_b32_e32 v170, s23, v170
	v_cmp_gt_i32_e64 s23, 0, v165
	v_and_b32_e32 v39, exec_lo, v39
	v_not_b32_e32 v165, v166
	v_ashrrev_i32_e32 v162, 31, v162
	v_xor_b32_e32 v161, vcc_lo, v161
	v_cmp_gt_i32_e32 vcc_lo, 0, v166
	v_and_b32_e32 v39, v39, v170
	v_not_b32_e32 v166, v167
	v_ashrrev_i32_e32 v165, 31, v165
	v_xor_b32_e32 v162, s23, v162
	v_cmp_gt_i32_e64 s23, 0, v167
	v_and_b32_e32 v39, v39, v161
	v_not_b32_e32 v161, v163
	v_ashrrev_i32_e32 v166, 31, v166
	v_xor_b32_e32 v165, vcc_lo, v165
	v_cmp_gt_i32_e32 vcc_lo, 0, v163
	v_and_b32_e32 v39, v39, v162
	v_ashrrev_i32_e32 v161, 31, v161
	v_xor_b32_e32 v162, s23, v166
	v_mad_u32_u24 v163, v40, 36, v135
	v_mul_u32_u24_e32 v40, 36, v40
	v_and_b32_e32 v39, v39, v165
	v_xor_b32_e32 v165, vcc_lo, v161
	ds_read_b32 v161, v163 offset:544
	v_add_nc_u32_e32 v163, v135, v40
	v_and_b32_e32 v39, v39, v162
	; wave barrier
	v_and_b32_e32 v39, v39, v165
	v_mbcnt_lo_u32_b32 v162, v39, 0
	v_cmp_ne_u32_e64 s23, 0, v39
	v_cmp_eq_u32_e32 vcc_lo, 0, v162
	s_and_b32 s24, s23, vcc_lo
	s_and_saveexec_b32 s23, s24
	s_cbranch_execz .LBB942_772
; %bb.771:                              ;   in Loop: Header=BB942_730 Depth=2
	s_waitcnt lgkmcnt(0)
	v_bcnt_u32_b32 v39, v39, v161
	ds_write_b32 v163, v39 offset:544
.LBB942_772:                            ;   in Loop: Header=BB942_730 Depth=2
	s_or_b32 exec_lo, exec_lo, s23
	v_xor_b32_e32 v160, 0x7fff, v160
	; wave barrier
	v_lshrrev_b32_sdwa v39, s41, v160 dst_sel:DWORD dst_unused:UNUSED_PAD src0_sel:DWORD src1_sel:WORD_0
	v_and_b32_e32 v40, s62, v39
	v_and_b32_e32 v39, 1, v40
	v_lshlrev_b32_e32 v165, 30, v40
	v_lshlrev_b32_e32 v166, 29, v40
	v_lshlrev_b32_e32 v170, 28, v40
	v_lshlrev_b32_e32 v171, 27, v40
	v_add_co_u32 v39, s23, v39, -1
	v_cndmask_b32_e64 v167, 0, 1, s23
	v_not_b32_e32 v175, v165
	v_cmp_gt_i32_e64 s23, 0, v165
	v_not_b32_e32 v165, v166
	v_lshlrev_b32_e32 v172, 26, v40
	v_cmp_ne_u32_e32 vcc_lo, 0, v167
	v_ashrrev_i32_e32 v175, 31, v175
	v_lshlrev_b32_e32 v167, 25, v40
	v_ashrrev_i32_e32 v165, 31, v165
	v_xor_b32_e32 v39, vcc_lo, v39
	v_cmp_gt_i32_e32 vcc_lo, 0, v166
	v_not_b32_e32 v166, v170
	v_xor_b32_e32 v175, s23, v175
	v_cmp_gt_i32_e64 s23, 0, v170
	v_and_b32_e32 v39, exec_lo, v39
	v_not_b32_e32 v170, v171
	v_ashrrev_i32_e32 v166, 31, v166
	v_xor_b32_e32 v165, vcc_lo, v165
	v_cmp_gt_i32_e32 vcc_lo, 0, v171
	v_and_b32_e32 v39, v39, v175
	v_not_b32_e32 v171, v172
	v_ashrrev_i32_e32 v170, 31, v170
	v_xor_b32_e32 v166, s23, v166
	v_cmp_gt_i32_e64 s23, 0, v172
	v_and_b32_e32 v39, v39, v165
	v_not_b32_e32 v165, v167
	v_ashrrev_i32_e32 v171, 31, v171
	v_xor_b32_e32 v170, vcc_lo, v170
	v_cmp_gt_i32_e32 vcc_lo, 0, v167
	v_and_b32_e32 v39, v39, v166
	v_ashrrev_i32_e32 v165, 31, v165
	v_xor_b32_e32 v166, s23, v171
	v_mad_u32_u24 v167, v40, 36, v135
	v_mul_u32_u24_e32 v40, 36, v40
	v_and_b32_e32 v39, v39, v170
	v_xor_b32_e32 v170, vcc_lo, v165
	ds_read_b32 v165, v167 offset:544
	v_add_nc_u32_e32 v167, v135, v40
	v_and_b32_e32 v39, v39, v166
	; wave barrier
	v_and_b32_e32 v39, v39, v170
	v_mbcnt_lo_u32_b32 v166, v39, 0
	v_cmp_ne_u32_e64 s23, 0, v39
	v_cmp_eq_u32_e32 vcc_lo, 0, v166
	s_and_b32 s24, s23, vcc_lo
	s_and_saveexec_b32 s23, s24
	s_cbranch_execz .LBB942_774
; %bb.773:                              ;   in Loop: Header=BB942_730 Depth=2
	s_waitcnt lgkmcnt(0)
	v_bcnt_u32_b32 v39, v39, v165
	ds_write_b32 v167, v39 offset:544
.LBB942_774:                            ;   in Loop: Header=BB942_730 Depth=2
	;; [unrolled: 63-line block ×9, first 2 shown]
	s_or_b32 exec_lo, exec_lo, s23
	v_xor_b32_e32 v182, 0x7fff, v182
	; wave barrier
	v_lshrrev_b32_sdwa v39, s41, v182 dst_sel:DWORD dst_unused:UNUSED_PAD src0_sel:DWORD src1_sel:WORD_0
	v_and_b32_e32 v40, s62, v39
	v_and_b32_e32 v39, 1, v40
	v_lshlrev_b32_e32 v199, 30, v40
	v_lshlrev_b32_e32 v200, 29, v40
	;; [unrolled: 1-line block ×4, first 2 shown]
	v_add_co_u32 v39, s23, v39, -1
	v_cndmask_b32_e64 v201, 0, 1, s23
	v_not_b32_e32 v205, v199
	v_cmp_gt_i32_e64 s23, 0, v199
	v_not_b32_e32 v199, v200
	v_lshlrev_b32_e32 v204, 26, v40
	v_cmp_ne_u32_e32 vcc_lo, 0, v201
	v_ashrrev_i32_e32 v205, 31, v205
	v_lshlrev_b32_e32 v201, 25, v40
	v_ashrrev_i32_e32 v199, 31, v199
	v_xor_b32_e32 v39, vcc_lo, v39
	v_cmp_gt_i32_e32 vcc_lo, 0, v200
	v_not_b32_e32 v200, v202
	v_xor_b32_e32 v205, s23, v205
	v_cmp_gt_i32_e64 s23, 0, v202
	v_and_b32_e32 v39, exec_lo, v39
	v_not_b32_e32 v202, v203
	v_ashrrev_i32_e32 v200, 31, v200
	v_xor_b32_e32 v199, vcc_lo, v199
	v_cmp_gt_i32_e32 vcc_lo, 0, v203
	v_and_b32_e32 v39, v39, v205
	v_not_b32_e32 v203, v204
	v_ashrrev_i32_e32 v202, 31, v202
	v_xor_b32_e32 v200, s23, v200
	v_cmp_gt_i32_e64 s23, 0, v204
	v_and_b32_e32 v39, v39, v199
	v_not_b32_e32 v199, v201
	v_ashrrev_i32_e32 v203, 31, v203
	v_xor_b32_e32 v202, vcc_lo, v202
	v_cmp_gt_i32_e32 vcc_lo, 0, v201
	v_and_b32_e32 v39, v39, v200
	v_ashrrev_i32_e32 v199, 31, v199
	v_xor_b32_e32 v200, s23, v203
	v_mad_u32_u24 v201, v40, 36, v135
	v_mul_u32_u24_e32 v40, 36, v40
	v_and_b32_e32 v39, v39, v202
	v_xor_b32_e32 v199, vcc_lo, v199
	v_add_nc_u32_e32 v202, v135, v40
	v_and_b32_e32 v39, v39, v200
	ds_read_b32 v200, v201 offset:544
	; wave barrier
	v_and_b32_e32 v39, v39, v199
	v_mbcnt_lo_u32_b32 v201, v39, 0
	v_cmp_ne_u32_e64 s23, 0, v39
	v_cmp_eq_u32_e32 vcc_lo, 0, v201
	s_and_b32 s24, s23, vcc_lo
	s_and_saveexec_b32 s23, s24
	s_cbranch_execz .LBB942_790
; %bb.789:                              ;   in Loop: Header=BB942_730 Depth=2
	s_waitcnt lgkmcnt(0)
	v_bcnt_u32_b32 v39, v39, v200
	ds_write_b32 v202, v39 offset:544
.LBB942_790:                            ;   in Loop: Header=BB942_730 Depth=2
	s_or_b32 exec_lo, exec_lo, s23
	v_xor_b32_e32 v199, 0x7fff, v177
	; wave barrier
	v_lshrrev_b32_sdwa v39, s41, v199 dst_sel:DWORD dst_unused:UNUSED_PAD src0_sel:DWORD src1_sel:WORD_0
	v_and_b32_e32 v40, s62, v39
	v_and_b32_e32 v39, 1, v40
	v_lshlrev_b32_e32 v177, 30, v40
	v_lshlrev_b32_e32 v203, 29, v40
	v_lshlrev_b32_e32 v205, 28, v40
	v_lshlrev_b32_e32 v206, 27, v40
	v_add_co_u32 v39, s23, v39, -1
	v_cndmask_b32_e64 v204, 0, 1, s23
	v_not_b32_e32 v208, v177
	v_cmp_gt_i32_e64 s23, 0, v177
	v_not_b32_e32 v177, v203
	v_lshlrev_b32_e32 v207, 26, v40
	v_cmp_ne_u32_e32 vcc_lo, 0, v204
	v_ashrrev_i32_e32 v208, 31, v208
	v_lshlrev_b32_e32 v204, 25, v40
	v_ashrrev_i32_e32 v177, 31, v177
	v_xor_b32_e32 v39, vcc_lo, v39
	v_cmp_gt_i32_e32 vcc_lo, 0, v203
	v_not_b32_e32 v203, v205
	v_xor_b32_e32 v208, s23, v208
	v_cmp_gt_i32_e64 s23, 0, v205
	v_and_b32_e32 v39, exec_lo, v39
	v_not_b32_e32 v205, v206
	v_ashrrev_i32_e32 v203, 31, v203
	v_xor_b32_e32 v177, vcc_lo, v177
	v_cmp_gt_i32_e32 vcc_lo, 0, v206
	v_and_b32_e32 v39, v39, v208
	v_not_b32_e32 v206, v207
	v_ashrrev_i32_e32 v205, 31, v205
	v_xor_b32_e32 v203, s23, v203
	v_cmp_gt_i32_e64 s23, 0, v207
	v_and_b32_e32 v39, v39, v177
	v_not_b32_e32 v177, v204
	v_ashrrev_i32_e32 v206, 31, v206
	v_xor_b32_e32 v205, vcc_lo, v205
	v_cmp_gt_i32_e32 vcc_lo, 0, v204
	v_and_b32_e32 v39, v39, v203
	v_ashrrev_i32_e32 v177, 31, v177
	v_xor_b32_e32 v203, s23, v206
	v_mad_u32_u24 v204, v40, 36, v135
	v_mul_u32_u24_e32 v40, 36, v40
	v_and_b32_e32 v39, v39, v205
	v_xor_b32_e32 v177, vcc_lo, v177
	ds_read_b32 v204, v204 offset:544
	v_and_b32_e32 v39, v39, v203
	; wave barrier
	v_and_b32_e32 v39, v39, v177
	v_add_nc_u32_e32 v177, v135, v40
	v_mbcnt_lo_u32_b32 v205, v39, 0
	v_cmp_ne_u32_e64 s23, 0, v39
	v_cmp_eq_u32_e32 vcc_lo, 0, v205
	s_and_b32 s24, s23, vcc_lo
	s_and_saveexec_b32 s23, s24
	s_cbranch_execz .LBB942_792
; %bb.791:                              ;   in Loop: Header=BB942_730 Depth=2
	s_waitcnt lgkmcnt(0)
	v_bcnt_u32_b32 v39, v39, v204
	ds_write_b32 v177, v39 offset:544
.LBB942_792:                            ;   in Loop: Header=BB942_730 Depth=2
	s_or_b32 exec_lo, exec_lo, s23
	v_xor_b32_e32 v203, 0x7fff, v173
	; wave barrier
	v_lshrrev_b32_sdwa v39, s41, v203 dst_sel:DWORD dst_unused:UNUSED_PAD src0_sel:DWORD src1_sel:WORD_0
	v_and_b32_e32 v40, s62, v39
	v_and_b32_e32 v39, 1, v40
	v_lshlrev_b32_e32 v173, 30, v40
	v_lshlrev_b32_e32 v206, 29, v40
	v_lshlrev_b32_e32 v208, 28, v40
	v_lshlrev_b32_e32 v209, 27, v40
	v_add_co_u32 v39, s23, v39, -1
	v_cndmask_b32_e64 v207, 0, 1, s23
	v_not_b32_e32 v211, v173
	v_cmp_gt_i32_e64 s23, 0, v173
	v_not_b32_e32 v173, v206
	v_lshlrev_b32_e32 v210, 26, v40
	v_cmp_ne_u32_e32 vcc_lo, 0, v207
	v_ashrrev_i32_e32 v211, 31, v211
	v_lshlrev_b32_e32 v207, 25, v40
	v_ashrrev_i32_e32 v173, 31, v173
	v_xor_b32_e32 v39, vcc_lo, v39
	v_cmp_gt_i32_e32 vcc_lo, 0, v206
	v_not_b32_e32 v206, v208
	v_xor_b32_e32 v211, s23, v211
	v_cmp_gt_i32_e64 s23, 0, v208
	v_and_b32_e32 v39, exec_lo, v39
	v_not_b32_e32 v208, v209
	v_ashrrev_i32_e32 v206, 31, v206
	v_xor_b32_e32 v173, vcc_lo, v173
	v_cmp_gt_i32_e32 vcc_lo, 0, v209
	v_and_b32_e32 v39, v39, v211
	v_not_b32_e32 v209, v210
	v_ashrrev_i32_e32 v208, 31, v208
	v_xor_b32_e32 v206, s23, v206
	v_cmp_gt_i32_e64 s23, 0, v210
	v_and_b32_e32 v39, v39, v173
	v_not_b32_e32 v173, v207
	v_ashrrev_i32_e32 v209, 31, v209
	v_xor_b32_e32 v208, vcc_lo, v208
	v_cmp_gt_i32_e32 vcc_lo, 0, v207
	v_and_b32_e32 v39, v39, v206
	v_ashrrev_i32_e32 v173, 31, v173
	v_xor_b32_e32 v206, s23, v209
	v_mad_u32_u24 v207, v40, 36, v135
	v_mul_u32_u24_e32 v40, 36, v40
	v_and_b32_e32 v39, v39, v208
	v_xor_b32_e32 v173, vcc_lo, v173
	ds_read_b32 v207, v207 offset:544
	v_and_b32_e32 v39, v39, v206
	; wave barrier
	v_and_b32_e32 v39, v39, v173
	v_add_nc_u32_e32 v173, v135, v40
	;; [unrolled: 63-line block ×3, first 2 shown]
	v_mbcnt_lo_u32_b32 v211, v39, 0
	v_cmp_ne_u32_e64 s23, 0, v39
	v_cmp_eq_u32_e32 vcc_lo, 0, v211
	s_and_b32 s24, s23, vcc_lo
	s_and_saveexec_b32 s23, s24
	s_cbranch_execz .LBB942_796
; %bb.795:                              ;   in Loop: Header=BB942_730 Depth=2
	s_waitcnt lgkmcnt(0)
	v_bcnt_u32_b32 v39, v39, v210
	ds_write_b32 v168, v39 offset:544
.LBB942_796:                            ;   in Loop: Header=BB942_730 Depth=2
	s_or_b32 exec_lo, exec_lo, s23
	v_xor_b32_e32 v209, 0x7fff, v42
	; wave barrier
	v_lshrrev_b32_sdwa v39, s41, v209 dst_sel:DWORD dst_unused:UNUSED_PAD src0_sel:DWORD src1_sel:WORD_0
	v_and_b32_e32 v40, s62, v39
	v_and_b32_e32 v39, 1, v40
	v_lshlrev_b32_e32 v42, 30, v40
	v_lshlrev_b32_e32 v212, 29, v40
	;; [unrolled: 1-line block ×4, first 2 shown]
	v_add_co_u32 v39, s23, v39, -1
	v_cndmask_b32_e64 v213, 0, 1, s23
	v_not_b32_e32 v217, v42
	v_cmp_gt_i32_e64 s23, 0, v42
	v_not_b32_e32 v42, v212
	v_lshlrev_b32_e32 v216, 26, v40
	v_cmp_ne_u32_e32 vcc_lo, 0, v213
	v_ashrrev_i32_e32 v217, 31, v217
	v_lshlrev_b32_e32 v213, 25, v40
	v_ashrrev_i32_e32 v42, 31, v42
	v_xor_b32_e32 v39, vcc_lo, v39
	v_cmp_gt_i32_e32 vcc_lo, 0, v212
	v_not_b32_e32 v212, v214
	v_xor_b32_e32 v217, s23, v217
	v_cmp_gt_i32_e64 s23, 0, v214
	v_and_b32_e32 v39, exec_lo, v39
	v_not_b32_e32 v214, v215
	v_ashrrev_i32_e32 v212, 31, v212
	v_xor_b32_e32 v42, vcc_lo, v42
	v_cmp_gt_i32_e32 vcc_lo, 0, v215
	v_and_b32_e32 v39, v39, v217
	v_not_b32_e32 v215, v216
	v_ashrrev_i32_e32 v214, 31, v214
	v_xor_b32_e32 v212, s23, v212
	v_cmp_gt_i32_e64 s23, 0, v216
	v_and_b32_e32 v39, v39, v42
	v_not_b32_e32 v42, v213
	v_ashrrev_i32_e32 v215, 31, v215
	v_xor_b32_e32 v214, vcc_lo, v214
	v_cmp_gt_i32_e32 vcc_lo, 0, v213
	v_and_b32_e32 v39, v39, v212
	v_ashrrev_i32_e32 v42, 31, v42
	v_xor_b32_e32 v212, s23, v215
	v_mad_u32_u24 v213, v40, 36, v135
	v_mul_u32_u24_e32 v40, 36, v40
	v_and_b32_e32 v39, v39, v214
	v_xor_b32_e32 v42, vcc_lo, v42
	ds_read_b32 v213, v213 offset:544
	v_add_nc_u32_e32 v215, v135, v40
	v_and_b32_e32 v39, v39, v212
	; wave barrier
	v_and_b32_e32 v39, v39, v42
	v_mbcnt_lo_u32_b32 v214, v39, 0
	v_cmp_ne_u32_e64 s23, 0, v39
	v_cmp_eq_u32_e32 vcc_lo, 0, v214
	s_and_b32 s24, s23, vcc_lo
	s_and_saveexec_b32 s23, s24
	s_cbranch_execz .LBB942_798
; %bb.797:                              ;   in Loop: Header=BB942_730 Depth=2
	s_waitcnt lgkmcnt(0)
	v_bcnt_u32_b32 v39, v39, v213
	ds_write_b32 v215, v39 offset:544
.LBB942_798:                            ;   in Loop: Header=BB942_730 Depth=2
	s_or_b32 exec_lo, exec_lo, s23
	v_xor_b32_e32 v212, 0x7fff, v41
	; wave barrier
	v_lshrrev_b32_sdwa v39, s41, v212 dst_sel:DWORD dst_unused:UNUSED_PAD src0_sel:DWORD src1_sel:WORD_0
	v_and_b32_e32 v40, s62, v39
	v_and_b32_e32 v39, 1, v40
	v_lshlrev_b32_e32 v41, 30, v40
	v_lshlrev_b32_e32 v42, 29, v40
	;; [unrolled: 1-line block ×4, first 2 shown]
	v_add_co_u32 v39, s23, v39, -1
	v_cndmask_b32_e64 v216, 0, 1, s23
	v_not_b32_e32 v220, v41
	v_cmp_gt_i32_e64 s23, 0, v41
	v_not_b32_e32 v41, v42
	v_lshlrev_b32_e32 v219, 26, v40
	v_cmp_ne_u32_e32 vcc_lo, 0, v216
	v_ashrrev_i32_e32 v220, 31, v220
	v_lshlrev_b32_e32 v216, 25, v40
	v_ashrrev_i32_e32 v41, 31, v41
	v_xor_b32_e32 v39, vcc_lo, v39
	v_cmp_gt_i32_e32 vcc_lo, 0, v42
	v_not_b32_e32 v42, v217
	v_xor_b32_e32 v220, s23, v220
	v_cmp_gt_i32_e64 s23, 0, v217
	v_and_b32_e32 v39, exec_lo, v39
	v_not_b32_e32 v217, v218
	v_ashrrev_i32_e32 v42, 31, v42
	v_xor_b32_e32 v41, vcc_lo, v41
	v_cmp_gt_i32_e32 vcc_lo, 0, v218
	v_and_b32_e32 v39, v39, v220
	v_not_b32_e32 v218, v219
	v_ashrrev_i32_e32 v217, 31, v217
	v_xor_b32_e32 v42, s23, v42
	v_cmp_gt_i32_e64 s23, 0, v219
	v_and_b32_e32 v39, v39, v41
	v_not_b32_e32 v41, v216
	v_ashrrev_i32_e32 v218, 31, v218
	v_xor_b32_e32 v217, vcc_lo, v217
	v_cmp_gt_i32_e32 vcc_lo, 0, v216
	v_and_b32_e32 v39, v39, v42
	v_ashrrev_i32_e32 v41, 31, v41
	v_xor_b32_e32 v42, s23, v218
	v_mad_u32_u24 v216, v40, 36, v135
	v_mul_u32_u24_e32 v40, 36, v40
	v_and_b32_e32 v39, v39, v217
	v_xor_b32_e32 v41, vcc_lo, v41
	ds_read_b32 v216, v216 offset:544
	v_add_nc_u32_e32 v218, v135, v40
	v_and_b32_e32 v39, v39, v42
	; wave barrier
	v_and_b32_e32 v39, v39, v41
	v_mbcnt_lo_u32_b32 v217, v39, 0
	v_cmp_ne_u32_e64 s23, 0, v39
	v_cmp_eq_u32_e32 vcc_lo, 0, v217
	s_and_b32 s24, s23, vcc_lo
	s_and_saveexec_b32 s23, s24
	s_cbranch_execz .LBB942_800
; %bb.799:                              ;   in Loop: Header=BB942_730 Depth=2
	s_waitcnt lgkmcnt(0)
	v_bcnt_u32_b32 v39, v39, v216
	ds_write_b32 v218, v39 offset:544
.LBB942_800:                            ;   in Loop: Header=BB942_730 Depth=2
	s_or_b32 exec_lo, exec_lo, s23
	v_lshrrev_b32_sdwa v39, s41, v3 dst_sel:DWORD dst_unused:UNUSED_PAD src0_sel:DWORD src1_sel:WORD_0
	; wave barrier
	v_and_b32_e32 v40, s62, v39
	v_and_b32_e32 v39, 1, v40
	v_lshlrev_b32_e32 v41, 30, v40
	v_lshlrev_b32_e32 v42, 29, v40
	;; [unrolled: 1-line block ×4, first 2 shown]
	v_add_co_u32 v39, s23, v39, -1
	v_cndmask_b32_e64 v219, 0, 1, s23
	v_not_b32_e32 v223, v41
	v_cmp_gt_i32_e64 s23, 0, v41
	v_not_b32_e32 v41, v42
	v_lshlrev_b32_e32 v222, 26, v40
	v_cmp_ne_u32_e32 vcc_lo, 0, v219
	v_ashrrev_i32_e32 v223, 31, v223
	v_lshlrev_b32_e32 v219, 25, v40
	v_ashrrev_i32_e32 v41, 31, v41
	v_xor_b32_e32 v39, vcc_lo, v39
	v_cmp_gt_i32_e32 vcc_lo, 0, v42
	v_not_b32_e32 v42, v220
	v_xor_b32_e32 v223, s23, v223
	v_cmp_gt_i32_e64 s23, 0, v220
	v_and_b32_e32 v39, exec_lo, v39
	v_not_b32_e32 v220, v221
	v_ashrrev_i32_e32 v42, 31, v42
	v_xor_b32_e32 v41, vcc_lo, v41
	v_cmp_gt_i32_e32 vcc_lo, 0, v221
	v_and_b32_e32 v39, v39, v223
	v_not_b32_e32 v221, v222
	v_ashrrev_i32_e32 v220, 31, v220
	v_xor_b32_e32 v42, s23, v42
	v_cmp_gt_i32_e64 s23, 0, v222
	v_and_b32_e32 v39, v39, v41
	v_not_b32_e32 v41, v219
	v_ashrrev_i32_e32 v221, 31, v221
	v_xor_b32_e32 v220, vcc_lo, v220
	v_cmp_gt_i32_e32 vcc_lo, 0, v219
	v_and_b32_e32 v39, v39, v42
	v_ashrrev_i32_e32 v41, 31, v41
	v_xor_b32_e32 v42, s23, v221
	v_mad_u32_u24 v219, v40, 36, v135
	v_mul_u32_u24_e32 v40, 36, v40
	v_and_b32_e32 v39, v39, v220
	v_xor_b32_e32 v41, vcc_lo, v41
	ds_read_b32 v219, v219 offset:544
	v_add_nc_u32_e32 v221, v135, v40
	v_and_b32_e32 v39, v39, v42
	; wave barrier
	v_and_b32_e32 v39, v39, v41
	v_mbcnt_lo_u32_b32 v220, v39, 0
	v_cmp_ne_u32_e64 s23, 0, v39
	v_cmp_eq_u32_e32 vcc_lo, 0, v220
	s_and_b32 s24, s23, vcc_lo
	s_and_saveexec_b32 s23, s24
	s_cbranch_execz .LBB942_802
; %bb.801:                              ;   in Loop: Header=BB942_730 Depth=2
	s_waitcnt lgkmcnt(0)
	v_bcnt_u32_b32 v39, v39, v219
	ds_write_b32 v221, v39 offset:544
.LBB942_802:                            ;   in Loop: Header=BB942_730 Depth=2
	s_or_b32 exec_lo, exec_lo, s23
	; wave barrier
	s_waitcnt lgkmcnt(0)
	s_barrier
	buffer_gl0_inv
	ds_read2_b32 v[41:42], v68 offset0:136 offset1:137
	ds_read2_b32 v[39:40], v68 offset0:138 offset1:139
	ds_read_b32 v222, v68 offset:560
	s_waitcnt lgkmcnt(1)
	v_add3_u32 v223, v42, v41, v39
	s_waitcnt lgkmcnt(0)
	v_add3_u32 v222, v223, v40, v222
	v_mov_b32_dpp v223, v222 row_shr:1 row_mask:0xf bank_mask:0xf
	v_cndmask_b32_e64 v223, v223, 0, s5
	v_add_nc_u32_e32 v222, v223, v222
	v_mov_b32_dpp v223, v222 row_shr:2 row_mask:0xf bank_mask:0xf
	v_cndmask_b32_e64 v223, 0, v223, s16
	v_add_nc_u32_e32 v222, v222, v223
	;; [unrolled: 3-line block ×4, first 2 shown]
	ds_swizzle_b32 v223, v222 offset:swizzle(BROADCAST,32,15)
	s_waitcnt lgkmcnt(0)
	v_cndmask_b32_e64 v223, v223, 0, s19
	v_add_nc_u32_e32 v222, v222, v223
	s_and_saveexec_b32 s23, s4
; %bb.803:                              ;   in Loop: Header=BB942_730 Depth=2
	ds_write_b32 v62, v222 offset:512
; %bb.804:                              ;   in Loop: Header=BB942_730 Depth=2
	s_or_b32 exec_lo, exec_lo, s23
	s_waitcnt lgkmcnt(0)
	s_barrier
	buffer_gl0_inv
	s_and_saveexec_b32 s23, s12
	s_cbranch_execz .LBB942_806
; %bb.805:                              ;   in Loop: Header=BB942_730 Depth=2
	ds_read_b32 v223, v69 offset:512
	s_waitcnt lgkmcnt(0)
	v_mov_b32_dpp v224, v223 row_shr:1 row_mask:0xf bank_mask:0xf
	v_cndmask_b32_e64 v224, v224, 0, s20
	v_add_nc_u32_e32 v223, v224, v223
	v_mov_b32_dpp v224, v223 row_shr:2 row_mask:0xf bank_mask:0xf
	v_cndmask_b32_e64 v224, 0, v224, s21
	v_add_nc_u32_e32 v223, v223, v224
	;; [unrolled: 3-line block ×3, first 2 shown]
	ds_write_b32 v69, v223 offset:512
.LBB942_806:                            ;   in Loop: Header=BB942_730 Depth=2
	s_or_b32 exec_lo, exec_lo, s23
	v_mov_b32_e32 v223, 0
	s_waitcnt lgkmcnt(0)
	s_barrier
	buffer_gl0_inv
	s_and_saveexec_b32 s23, s11
; %bb.807:                              ;   in Loop: Header=BB942_730 Depth=2
	ds_read_b32 v223, v62 offset:508
; %bb.808:                              ;   in Loop: Header=BB942_730 Depth=2
	s_or_b32 exec_lo, exec_lo, s23
	s_waitcnt lgkmcnt(0)
	v_add_nc_u32_e32 v222, v223, v222
	ds_bpermute_b32 v222, v125, v222
	s_waitcnt lgkmcnt(0)
	v_cndmask_b32_e64 v222, v222, v223, s15
	v_cndmask_b32_e64 v222, v222, 0, s13
	v_add_nc_u32_e32 v41, v222, v41
	v_add_nc_u32_e32 v42, v41, v42
	;; [unrolled: 1-line block ×4, first 2 shown]
	ds_write2_b32 v68, v222, v41 offset0:136 offset1:137
	ds_write2_b32 v68, v42, v39 offset0:138 offset1:139
	ds_write_b32 v68, v40 offset:560
	s_waitcnt lgkmcnt(0)
	s_barrier
	buffer_gl0_inv
	ds_read_b32 v41, v159 offset:544
	ds_read_b32 v42, v163 offset:544
	ds_read_b32 v163, v167 offset:544
	ds_read_b32 v167, v172 offset:544
	ds_read_b32 v222, v178 offset:544
	ds_read_b32 v183, v183 offset:544
	ds_read_b32 v188, v188 offset:544
	ds_read_b32 v192, v192 offset:544
	ds_read_b32 v195, v195 offset:544
	ds_read_b32 v198, v198 offset:544
	ds_read_b32 v202, v202 offset:544
	ds_read_b32 v223, v177 offset:544
	ds_read_b32 v224, v173 offset:544
	ds_read_b32 v225, v168 offset:544
	ds_read_b32 v159, v215 offset:544
	ds_read_b32 v39, v218 offset:544
	ds_read_b32 v40, v221 offset:544
	s_and_saveexec_b32 s23, s8
	s_cbranch_execz .LBB942_812
; %bb.809:                              ;   in Loop: Header=BB942_730 Depth=2
	ds_read_b32 v151, v71 offset:544
	v_mov_b32_e32 v154, 0x1100
	s_and_saveexec_b32 s24, s14
; %bb.810:                              ;   in Loop: Header=BB942_730 Depth=2
	ds_read_b32 v154, v70 offset:544
; %bb.811:                              ;   in Loop: Header=BB942_730 Depth=2
	s_or_b32 exec_lo, exec_lo, s24
	s_waitcnt lgkmcnt(0)
	v_sub_nc_u32_e32 v154, v154, v151
.LBB942_812:                            ;   in Loop: Header=BB942_730 Depth=2
	s_or_b32 exec_lo, exec_lo, s23
	s_waitcnt lgkmcnt(0)
	s_barrier
	buffer_gl0_inv
	s_and_saveexec_b32 s23, s8
	s_cbranch_execz .LBB942_814
; %bb.813:                              ;   in Loop: Header=BB942_730 Depth=2
	ds_read_b32 v168, v43
	s_waitcnt lgkmcnt(0)
	v_sub_nc_u32_e32 v168, v168, v151
	ds_write_b32 v43, v168
.LBB942_814:                            ;   in Loop: Header=BB942_730 Depth=2
	s_or_b32 exec_lo, exec_lo, s23
	v_add_nc_u32_e32 v178, v41, v158
	v_add3_u32 v177, v162, v161, v42
	v_add3_u32 v173, v166, v165, v163
	v_add3_u32 v172, v171, v170, v167
	v_add3_u32 v171, v176, v175, v222
	v_add3_u32 v168, v186, v185, v188
	v_lshlrev_b32_e32 v175, 1, v178
	v_lshlrev_b32_e32 v176, 1, v177
	v_add3_u32 v161, v217, v216, v39
	v_lshlrev_b32_e32 v39, 1, v173
	v_add3_u32 v170, v181, v180, v183
	v_add3_u32 v167, v191, v190, v192
	;; [unrolled: 1-line block ×5, first 2 shown]
	ds_write_b16 v175, v156 offset:512
	ds_write_b16 v176, v157 offset:512
	v_lshlrev_b32_e32 v40, 1, v172
	ds_write_b16 v39, v160 offset:512
	v_lshlrev_b32_e32 v39, 1, v168
	v_add3_u32 v165, v197, v196, v198
	v_lshlrev_b32_e32 v156, 1, v171
	v_add3_u32 v163, v201, v200, v202
	;; [unrolled: 2-line block ×3, first 2 shown]
	v_add3_u32 v42, v208, v207, v224
	ds_write_b16 v40, v164 offset:512
	ds_write_b16 v156, v169 offset:512
	;; [unrolled: 1-line block ×3, first 2 shown]
	v_lshlrev_b32_e32 v40, 1, v167
	ds_write_b16 v39, v179 offset:512
	v_lshlrev_b32_e32 v39, 1, v166
	v_lshlrev_b32_e32 v156, 1, v165
	;; [unrolled: 1-line block ×3, first 2 shown]
	v_add3_u32 v41, v211, v210, v225
	ds_write_b16 v40, v184 offset:512
	v_lshlrev_b32_e32 v40, 1, v162
	ds_write_b16 v39, v189 offset:512
	ds_write_b16 v156, v187 offset:512
	;; [unrolled: 1-line block ×3, first 2 shown]
	v_lshlrev_b32_e32 v39, 1, v42
	v_cmp_lt_u32_e32 vcc_lo, v0, v155
	v_lshlrev_b32_e32 v156, 1, v158
	ds_write_b16 v40, v199 offset:512
	v_lshlrev_b32_e32 v40, 1, v41
	ds_write_b16 v39, v203 offset:512
	v_lshlrev_b32_e32 v39, 1, v159
	v_lshlrev_b32_e32 v157, 1, v161
	ds_write_b16 v40, v206 offset:512
	ds_write_b16 v156, v209 offset:512
	;; [unrolled: 1-line block ×4, first 2 shown]
	s_waitcnt lgkmcnt(0)
	s_barrier
	buffer_gl0_inv
	s_and_saveexec_b32 s24, vcc_lo
	s_cbranch_execnz .LBB942_887
; %bb.815:                              ;   in Loop: Header=BB942_730 Depth=2
	s_or_b32 exec_lo, exec_lo, s24
	v_cmp_lt_u32_e64 s23, v44, v155
	s_and_saveexec_b32 s25, s23
	s_cbranch_execnz .LBB942_888
.LBB942_816:                            ;   in Loop: Header=BB942_730 Depth=2
	s_or_b32 exec_lo, exec_lo, s25
	v_cmp_lt_u32_e64 s24, v47, v155
	s_and_saveexec_b32 s26, s24
	s_cbranch_execnz .LBB942_889
.LBB942_817:                            ;   in Loop: Header=BB942_730 Depth=2
	s_or_b32 exec_lo, exec_lo, s26
	v_cmp_lt_u32_e64 s25, v48, v155
	s_and_saveexec_b32 s27, s25
	s_cbranch_execnz .LBB942_890
.LBB942_818:                            ;   in Loop: Header=BB942_730 Depth=2
	s_or_b32 exec_lo, exec_lo, s27
	v_cmp_lt_u32_e64 s26, v49, v155
	s_and_saveexec_b32 s28, s26
	s_cbranch_execnz .LBB942_891
.LBB942_819:                            ;   in Loop: Header=BB942_730 Depth=2
	s_or_b32 exec_lo, exec_lo, s28
	v_cmp_lt_u32_e64 s27, v50, v155
	s_and_saveexec_b32 s29, s27
	s_cbranch_execnz .LBB942_892
.LBB942_820:                            ;   in Loop: Header=BB942_730 Depth=2
	s_or_b32 exec_lo, exec_lo, s29
	v_cmp_lt_u32_e64 s28, v51, v155
	s_and_saveexec_b32 s30, s28
	s_cbranch_execnz .LBB942_893
.LBB942_821:                            ;   in Loop: Header=BB942_730 Depth=2
	s_or_b32 exec_lo, exec_lo, s30
	v_cmp_lt_u32_e64 s29, v52, v155
	s_and_saveexec_b32 s31, s29
	s_cbranch_execnz .LBB942_894
.LBB942_822:                            ;   in Loop: Header=BB942_730 Depth=2
	s_or_b32 exec_lo, exec_lo, s31
	v_cmp_lt_u32_e64 s30, v53, v155
	s_and_saveexec_b32 s33, s30
	s_cbranch_execnz .LBB942_895
.LBB942_823:                            ;   in Loop: Header=BB942_730 Depth=2
	s_or_b32 exec_lo, exec_lo, s33
	v_cmp_lt_u32_e64 s31, v54, v155
	s_and_saveexec_b32 s34, s31
	s_cbranch_execnz .LBB942_896
.LBB942_824:                            ;   in Loop: Header=BB942_730 Depth=2
	s_or_b32 exec_lo, exec_lo, s34
	v_cmp_lt_u32_e64 s33, v55, v155
	s_and_saveexec_b32 s35, s33
	s_cbranch_execnz .LBB942_897
.LBB942_825:                            ;   in Loop: Header=BB942_730 Depth=2
	s_or_b32 exec_lo, exec_lo, s35
	v_cmp_lt_u32_e64 s34, v56, v155
	s_and_saveexec_b32 s36, s34
	s_cbranch_execnz .LBB942_898
.LBB942_826:                            ;   in Loop: Header=BB942_730 Depth=2
	s_or_b32 exec_lo, exec_lo, s36
	v_cmp_lt_u32_e64 s35, v57, v155
	s_and_saveexec_b32 s37, s35
	s_cbranch_execnz .LBB942_899
.LBB942_827:                            ;   in Loop: Header=BB942_730 Depth=2
	s_or_b32 exec_lo, exec_lo, s37
	v_cmp_lt_u32_e64 s36, v58, v155
	s_and_saveexec_b32 s38, s36
	s_cbranch_execnz .LBB942_900
.LBB942_828:                            ;   in Loop: Header=BB942_730 Depth=2
	s_or_b32 exec_lo, exec_lo, s38
	v_cmp_lt_u32_e64 s37, v59, v155
	s_and_saveexec_b32 s39, s37
	s_cbranch_execnz .LBB942_901
.LBB942_829:                            ;   in Loop: Header=BB942_730 Depth=2
	s_or_b32 exec_lo, exec_lo, s39
	v_cmp_lt_u32_e64 s38, v60, v155
	s_and_saveexec_b32 s40, s38
	s_cbranch_execnz .LBB942_902
.LBB942_830:                            ;   in Loop: Header=BB942_730 Depth=2
	s_or_b32 exec_lo, exec_lo, s40
	v_cmp_lt_u32_e64 s39, v61, v155
	s_and_saveexec_b32 s65, s39
	s_cbranch_execz .LBB942_832
.LBB942_831:                            ;   in Loop: Header=BB942_730 Depth=2
	ds_read_u16 v156, v74 offset:8704
	s_waitcnt lgkmcnt(0)
	v_lshrrev_b32_sdwa v3, s41, v156 dst_sel:DWORD dst_unused:UNUSED_PAD src0_sel:DWORD src1_sel:WORD_0
	v_and_b32_e32 v3, s62, v3
	v_lshlrev_b32_e32 v3, 2, v3
	ds_read_b32 v3, v3
	s_waitcnt lgkmcnt(0)
	v_add_nc_u32_e32 v3, v3, v61
	v_lshlrev_b64 v[39:40], 1, v[3:4]
	v_xor_b32_e32 v3, 0x7fff, v156
	v_add_co_u32 v39, s40, s46, v39
	v_add_co_ci_u32_e64 v40, null, s47, v40, s40
	global_store_short v[39:40], v3, off
.LBB942_832:                            ;   in Loop: Header=BB942_730 Depth=2
	s_or_b32 exec_lo, exec_lo, s65
	s_lshl_b64 s[66:67], s[50:51], 3
	v_add_co_u32 v39, s40, v126, s66
	v_add_co_ci_u32_e64 v40, null, s67, v127, s40
	v_cmp_lt_u32_e64 s40, v94, v155
	s_and_saveexec_b32 s50, s40
	s_xor_b32 s40, exec_lo, s50
	s_cbranch_execnz .LBB942_903
; %bb.833:                              ;   in Loop: Header=BB942_730 Depth=2
	s_or_b32 exec_lo, exec_lo, s40
	s_mov_b32 s50, exec_lo
	v_cmpx_lt_u32_e64 v98, v155
	s_cbranch_execnz .LBB942_904
.LBB942_834:                            ;   in Loop: Header=BB942_730 Depth=2
	s_or_b32 exec_lo, exec_lo, s50
	s_mov_b32 s50, exec_lo
	v_cmpx_lt_u32_e64 v99, v155
	s_cbranch_execnz .LBB942_905
.LBB942_835:                            ;   in Loop: Header=BB942_730 Depth=2
	s_or_b32 exec_lo, exec_lo, s50
	s_mov_b32 s50, exec_lo
	v_cmpx_lt_u32_e64 v100, v155
	s_cbranch_execnz .LBB942_906
.LBB942_836:                            ;   in Loop: Header=BB942_730 Depth=2
	s_or_b32 exec_lo, exec_lo, s50
	s_mov_b32 s50, exec_lo
	v_cmpx_lt_u32_e64 v101, v155
	s_cbranch_execnz .LBB942_907
.LBB942_837:                            ;   in Loop: Header=BB942_730 Depth=2
	s_or_b32 exec_lo, exec_lo, s50
	s_mov_b32 s50, exec_lo
	v_cmpx_lt_u32_e64 v102, v155
	s_cbranch_execnz .LBB942_908
.LBB942_838:                            ;   in Loop: Header=BB942_730 Depth=2
	s_or_b32 exec_lo, exec_lo, s50
	s_mov_b32 s50, exec_lo
	v_cmpx_lt_u32_e64 v103, v155
	s_cbranch_execnz .LBB942_909
.LBB942_839:                            ;   in Loop: Header=BB942_730 Depth=2
	s_or_b32 exec_lo, exec_lo, s50
	s_mov_b32 s50, exec_lo
	v_cmpx_lt_u32_e64 v104, v155
	s_cbranch_execnz .LBB942_910
.LBB942_840:                            ;   in Loop: Header=BB942_730 Depth=2
	s_or_b32 exec_lo, exec_lo, s50
	s_mov_b32 s50, exec_lo
	v_cmpx_lt_u32_e64 v105, v155
	s_cbranch_execnz .LBB942_911
.LBB942_841:                            ;   in Loop: Header=BB942_730 Depth=2
	s_or_b32 exec_lo, exec_lo, s50
	s_mov_b32 s50, exec_lo
	v_cmpx_lt_u32_e64 v106, v155
	s_cbranch_execnz .LBB942_912
.LBB942_842:                            ;   in Loop: Header=BB942_730 Depth=2
	s_or_b32 exec_lo, exec_lo, s50
	s_mov_b32 s50, exec_lo
	v_cmpx_lt_u32_e64 v107, v155
	s_cbranch_execnz .LBB942_913
.LBB942_843:                            ;   in Loop: Header=BB942_730 Depth=2
	s_or_b32 exec_lo, exec_lo, s50
	s_mov_b32 s50, exec_lo
	v_cmpx_lt_u32_e64 v108, v155
	s_cbranch_execnz .LBB942_914
.LBB942_844:                            ;   in Loop: Header=BB942_730 Depth=2
	s_or_b32 exec_lo, exec_lo, s50
	s_mov_b32 s50, exec_lo
	v_cmpx_lt_u32_e64 v128, v155
	s_cbranch_execnz .LBB942_915
.LBB942_845:                            ;   in Loop: Header=BB942_730 Depth=2
	s_or_b32 exec_lo, exec_lo, s50
	s_mov_b32 s50, exec_lo
	v_cmpx_lt_u32_e64 v129, v155
	s_cbranch_execnz .LBB942_916
.LBB942_846:                            ;   in Loop: Header=BB942_730 Depth=2
	s_or_b32 exec_lo, exec_lo, s50
	s_mov_b32 s50, exec_lo
	v_cmpx_lt_u32_e64 v130, v155
	s_cbranch_execnz .LBB942_917
.LBB942_847:                            ;   in Loop: Header=BB942_730 Depth=2
	s_or_b32 exec_lo, exec_lo, s50
	s_mov_b32 s50, exec_lo
	v_cmpx_lt_u32_e64 v131, v155
	s_cbranch_execnz .LBB942_918
.LBB942_848:                            ;   in Loop: Header=BB942_730 Depth=2
	s_or_b32 exec_lo, exec_lo, s50
	s_mov_b32 s50, exec_lo
	v_cmpx_lt_u32_e64 v132, v155
	s_cbranch_execnz .LBB942_919
.LBB942_849:                            ;   in Loop: Header=BB942_730 Depth=2
	s_or_b32 exec_lo, exec_lo, s50
	s_and_saveexec_b32 s40, vcc_lo
	s_cbranch_execnz .LBB942_920
.LBB942_850:                            ;   in Loop: Header=BB942_730 Depth=2
	s_or_b32 exec_lo, exec_lo, s40
	s_and_saveexec_b32 s40, s23
	s_cbranch_execnz .LBB942_921
.LBB942_851:                            ;   in Loop: Header=BB942_730 Depth=2
	s_or_b32 exec_lo, exec_lo, s40
	s_and_saveexec_b32 s40, s24
	s_cbranch_execnz .LBB942_922
.LBB942_852:                            ;   in Loop: Header=BB942_730 Depth=2
	s_or_b32 exec_lo, exec_lo, s40
	s_and_saveexec_b32 s40, s25
	s_cbranch_execnz .LBB942_923
.LBB942_853:                            ;   in Loop: Header=BB942_730 Depth=2
	s_or_b32 exec_lo, exec_lo, s40
	s_and_saveexec_b32 s40, s26
	s_cbranch_execnz .LBB942_924
.LBB942_854:                            ;   in Loop: Header=BB942_730 Depth=2
	s_or_b32 exec_lo, exec_lo, s40
	s_and_saveexec_b32 s40, s27
	s_cbranch_execnz .LBB942_925
.LBB942_855:                            ;   in Loop: Header=BB942_730 Depth=2
	s_or_b32 exec_lo, exec_lo, s40
	s_and_saveexec_b32 s40, s28
	s_cbranch_execnz .LBB942_926
.LBB942_856:                            ;   in Loop: Header=BB942_730 Depth=2
	s_or_b32 exec_lo, exec_lo, s40
	s_and_saveexec_b32 s40, s29
	s_cbranch_execnz .LBB942_927
.LBB942_857:                            ;   in Loop: Header=BB942_730 Depth=2
	s_or_b32 exec_lo, exec_lo, s40
	s_and_saveexec_b32 s40, s30
	s_cbranch_execnz .LBB942_928
.LBB942_858:                            ;   in Loop: Header=BB942_730 Depth=2
	s_or_b32 exec_lo, exec_lo, s40
	s_and_saveexec_b32 s40, s31
	s_cbranch_execnz .LBB942_929
.LBB942_859:                            ;   in Loop: Header=BB942_730 Depth=2
	s_or_b32 exec_lo, exec_lo, s40
	s_and_saveexec_b32 s40, s33
	s_cbranch_execnz .LBB942_930
.LBB942_860:                            ;   in Loop: Header=BB942_730 Depth=2
	s_or_b32 exec_lo, exec_lo, s40
	s_and_saveexec_b32 s40, s34
	s_cbranch_execnz .LBB942_931
.LBB942_861:                            ;   in Loop: Header=BB942_730 Depth=2
	s_or_b32 exec_lo, exec_lo, s40
	s_and_saveexec_b32 s40, s35
	s_cbranch_execnz .LBB942_932
.LBB942_862:                            ;   in Loop: Header=BB942_730 Depth=2
	s_or_b32 exec_lo, exec_lo, s40
	s_and_saveexec_b32 s40, s36
	s_cbranch_execnz .LBB942_933
.LBB942_863:                            ;   in Loop: Header=BB942_730 Depth=2
	s_or_b32 exec_lo, exec_lo, s40
	s_and_saveexec_b32 s40, s37
	s_cbranch_execnz .LBB942_934
.LBB942_864:                            ;   in Loop: Header=BB942_730 Depth=2
	s_or_b32 exec_lo, exec_lo, s40
	s_and_saveexec_b32 s40, s38
	s_cbranch_execnz .LBB942_935
.LBB942_865:                            ;   in Loop: Header=BB942_730 Depth=2
	s_or_b32 exec_lo, exec_lo, s40
	s_and_saveexec_b32 s40, s39
	s_cbranch_execz .LBB942_867
.LBB942_866:                            ;   in Loop: Header=BB942_730 Depth=2
	ds_read_u16 v3, v74 offset:8704
	s_waitcnt lgkmcnt(0)
	v_lshrrev_b32_e32 v3, s41, v3
	v_and_b32_e32 v136, s62, v3
.LBB942_867:                            ;   in Loop: Header=BB942_730 Depth=2
	s_or_b32 exec_lo, exec_lo, s40
	v_lshlrev_b32_e32 v3, 3, v178
	v_lshlrev_b32_e32 v39, 3, v177
	s_waitcnt vmcnt(0)
	s_waitcnt_vscnt null, 0x0
	s_barrier
	buffer_gl0_inv
	ds_write_b64 v3, v[37:38] offset:512
	ds_write_b64 v39, v[35:36] offset:512
	v_lshlrev_b32_e32 v3, 3, v173
	v_lshlrev_b32_e32 v39, 3, v172
	v_lshlrev_b32_e32 v40, 3, v171
	v_lshlrev_b32_e32 v155, 3, v170
	v_lshlrev_b32_e32 v156, 3, v168
	ds_write_b64 v3, v[33:34] offset:512
	ds_write_b64 v39, v[31:32] offset:512
	ds_write_b64 v40, v[29:30] offset:512
	ds_write_b64 v155, v[25:26] offset:512
	ds_write_b64 v156, v[21:22] offset:512
	v_lshlrev_b32_e32 v3, 3, v167
	v_lshlrev_b32_e32 v39, 3, v166
	v_lshlrev_b32_e32 v40, 3, v165
	v_lshlrev_b32_e32 v155, 3, v163
	v_lshlrev_b32_e32 v156, 3, v162
	ds_write_b64 v3, v[17:18] offset:512
	ds_write_b64 v39, v[27:28] offset:512
	ds_write_b64 v40, v[23:24] offset:512
	;; [unrolled: 10-line block ×3, first 2 shown]
	ds_write_b64 v41, v[7:8] offset:512
	ds_write_b64 v42, v[5:6] offset:512
	s_waitcnt lgkmcnt(0)
	s_barrier
	buffer_gl0_inv
	s_and_saveexec_b32 s40, vcc_lo
	s_cbranch_execnz .LBB942_936
; %bb.868:                              ;   in Loop: Header=BB942_730 Depth=2
	s_or_b32 exec_lo, exec_lo, s40
	s_and_saveexec_b32 s40, s23
	s_cbranch_execnz .LBB942_937
.LBB942_869:                            ;   in Loop: Header=BB942_730 Depth=2
	s_or_b32 exec_lo, exec_lo, s40
	s_and_saveexec_b32 s23, s24
	s_cbranch_execnz .LBB942_938
.LBB942_870:                            ;   in Loop: Header=BB942_730 Depth=2
	s_or_b32 exec_lo, exec_lo, s23
	s_and_saveexec_b32 s23, s25
	s_cbranch_execnz .LBB942_939
.LBB942_871:                            ;   in Loop: Header=BB942_730 Depth=2
	s_or_b32 exec_lo, exec_lo, s23
	s_and_saveexec_b32 s23, s26
	s_cbranch_execnz .LBB942_940
.LBB942_872:                            ;   in Loop: Header=BB942_730 Depth=2
	s_or_b32 exec_lo, exec_lo, s23
	s_and_saveexec_b32 s23, s27
	s_cbranch_execnz .LBB942_941
.LBB942_873:                            ;   in Loop: Header=BB942_730 Depth=2
	s_or_b32 exec_lo, exec_lo, s23
	s_and_saveexec_b32 s23, s28
	s_cbranch_execnz .LBB942_942
.LBB942_874:                            ;   in Loop: Header=BB942_730 Depth=2
	s_or_b32 exec_lo, exec_lo, s23
	s_and_saveexec_b32 s23, s29
	s_cbranch_execnz .LBB942_943
.LBB942_875:                            ;   in Loop: Header=BB942_730 Depth=2
	s_or_b32 exec_lo, exec_lo, s23
	s_and_saveexec_b32 s23, s30
	s_cbranch_execnz .LBB942_944
.LBB942_876:                            ;   in Loop: Header=BB942_730 Depth=2
	s_or_b32 exec_lo, exec_lo, s23
	s_and_saveexec_b32 s23, s31
	s_cbranch_execnz .LBB942_945
.LBB942_877:                            ;   in Loop: Header=BB942_730 Depth=2
	s_or_b32 exec_lo, exec_lo, s23
	s_and_saveexec_b32 s23, s33
	s_cbranch_execnz .LBB942_946
.LBB942_878:                            ;   in Loop: Header=BB942_730 Depth=2
	s_or_b32 exec_lo, exec_lo, s23
	s_and_saveexec_b32 s23, s34
	s_cbranch_execnz .LBB942_947
.LBB942_879:                            ;   in Loop: Header=BB942_730 Depth=2
	s_or_b32 exec_lo, exec_lo, s23
	s_and_saveexec_b32 s23, s35
	s_cbranch_execnz .LBB942_948
.LBB942_880:                            ;   in Loop: Header=BB942_730 Depth=2
	s_or_b32 exec_lo, exec_lo, s23
	s_and_saveexec_b32 s23, s36
	s_cbranch_execnz .LBB942_949
.LBB942_881:                            ;   in Loop: Header=BB942_730 Depth=2
	s_or_b32 exec_lo, exec_lo, s23
	s_and_saveexec_b32 s23, s37
	s_cbranch_execnz .LBB942_950
.LBB942_882:                            ;   in Loop: Header=BB942_730 Depth=2
	s_or_b32 exec_lo, exec_lo, s23
	s_and_saveexec_b32 s23, s38
	s_cbranch_execnz .LBB942_951
.LBB942_883:                            ;   in Loop: Header=BB942_730 Depth=2
	s_or_b32 exec_lo, exec_lo, s23
	s_and_saveexec_b32 s23, s39
	s_cbranch_execz .LBB942_885
.LBB942_884:                            ;   in Loop: Header=BB942_730 Depth=2
	v_lshlrev_b32_e32 v3, 2, v136
	v_add_nc_u32_e32 v39, v74, v75
	ds_read_b32 v3, v3
	ds_read_b64 v[39:40], v39 offset:33280
	s_waitcnt lgkmcnt(1)
	v_add_nc_u32_e32 v3, v3, v61
	v_lshlrev_b64 v[41:42], 3, v[3:4]
	v_add_co_u32 v41, vcc_lo, s52, v41
	v_add_co_ci_u32_e64 v42, null, s53, v42, vcc_lo
	s_waitcnt lgkmcnt(0)
	global_store_dwordx2 v[41:42], v[39:40], off
.LBB942_885:                            ;   in Loop: Header=BB942_730 Depth=2
	s_or_b32 exec_lo, exec_lo, s23
	s_waitcnt_vscnt null, 0x0
	s_barrier
	buffer_gl0_inv
	s_and_saveexec_b32 s23, s8
	s_cbranch_execz .LBB942_729
; %bb.886:                              ;   in Loop: Header=BB942_730 Depth=2
	ds_read_b32 v3, v43
	s_waitcnt lgkmcnt(0)
	v_add3_u32 v3, v151, v154, v3
	ds_write_b32 v43, v3
	s_branch .LBB942_729
.LBB942_887:                            ;   in Loop: Header=BB942_730 Depth=2
	ds_read_u16 v156, v74 offset:512
	s_waitcnt lgkmcnt(0)
	v_lshrrev_b32_sdwa v3, s41, v156 dst_sel:DWORD dst_unused:UNUSED_PAD src0_sel:DWORD src1_sel:WORD_0
	v_and_b32_e32 v3, s62, v3
	v_lshlrev_b32_e32 v3, 2, v3
	ds_read_b32 v3, v3
	s_waitcnt lgkmcnt(0)
	v_add_nc_u32_e32 v3, v3, v0
	v_lshlrev_b64 v[39:40], 1, v[3:4]
	v_xor_b32_e32 v3, 0x7fff, v156
	v_add_co_u32 v39, s23, s46, v39
	v_add_co_ci_u32_e64 v40, null, s47, v40, s23
	global_store_short v[39:40], v3, off
	s_or_b32 exec_lo, exec_lo, s24
	v_cmp_lt_u32_e64 s23, v44, v155
	s_and_saveexec_b32 s25, s23
	s_cbranch_execz .LBB942_816
.LBB942_888:                            ;   in Loop: Header=BB942_730 Depth=2
	ds_read_u16 v156, v74 offset:1024
	s_waitcnt lgkmcnt(0)
	v_lshrrev_b32_sdwa v3, s41, v156 dst_sel:DWORD dst_unused:UNUSED_PAD src0_sel:DWORD src1_sel:WORD_0
	v_and_b32_e32 v3, s62, v3
	v_lshlrev_b32_e32 v3, 2, v3
	ds_read_b32 v3, v3
	s_waitcnt lgkmcnt(0)
	v_add_nc_u32_e32 v3, v3, v44
	v_lshlrev_b64 v[39:40], 1, v[3:4]
	v_xor_b32_e32 v3, 0x7fff, v156
	v_add_co_u32 v39, s24, s46, v39
	v_add_co_ci_u32_e64 v40, null, s47, v40, s24
	global_store_short v[39:40], v3, off
	s_or_b32 exec_lo, exec_lo, s25
	v_cmp_lt_u32_e64 s24, v47, v155
	s_and_saveexec_b32 s26, s24
	s_cbranch_execz .LBB942_817
.LBB942_889:                            ;   in Loop: Header=BB942_730 Depth=2
	ds_read_u16 v156, v74 offset:1536
	s_waitcnt lgkmcnt(0)
	v_lshrrev_b32_sdwa v3, s41, v156 dst_sel:DWORD dst_unused:UNUSED_PAD src0_sel:DWORD src1_sel:WORD_0
	v_and_b32_e32 v3, s62, v3
	v_lshlrev_b32_e32 v3, 2, v3
	ds_read_b32 v3, v3
	s_waitcnt lgkmcnt(0)
	v_add_nc_u32_e32 v3, v3, v47
	v_lshlrev_b64 v[39:40], 1, v[3:4]
	v_xor_b32_e32 v3, 0x7fff, v156
	v_add_co_u32 v39, s25, s46, v39
	v_add_co_ci_u32_e64 v40, null, s47, v40, s25
	global_store_short v[39:40], v3, off
	s_or_b32 exec_lo, exec_lo, s26
	v_cmp_lt_u32_e64 s25, v48, v155
	s_and_saveexec_b32 s27, s25
	s_cbranch_execz .LBB942_818
.LBB942_890:                            ;   in Loop: Header=BB942_730 Depth=2
	ds_read_u16 v156, v74 offset:2048
	s_waitcnt lgkmcnt(0)
	v_lshrrev_b32_sdwa v3, s41, v156 dst_sel:DWORD dst_unused:UNUSED_PAD src0_sel:DWORD src1_sel:WORD_0
	v_and_b32_e32 v3, s62, v3
	v_lshlrev_b32_e32 v3, 2, v3
	ds_read_b32 v3, v3
	s_waitcnt lgkmcnt(0)
	v_add_nc_u32_e32 v3, v3, v48
	v_lshlrev_b64 v[39:40], 1, v[3:4]
	v_xor_b32_e32 v3, 0x7fff, v156
	v_add_co_u32 v39, s26, s46, v39
	v_add_co_ci_u32_e64 v40, null, s47, v40, s26
	global_store_short v[39:40], v3, off
	s_or_b32 exec_lo, exec_lo, s27
	v_cmp_lt_u32_e64 s26, v49, v155
	s_and_saveexec_b32 s28, s26
	s_cbranch_execz .LBB942_819
.LBB942_891:                            ;   in Loop: Header=BB942_730 Depth=2
	ds_read_u16 v156, v74 offset:2560
	s_waitcnt lgkmcnt(0)
	v_lshrrev_b32_sdwa v3, s41, v156 dst_sel:DWORD dst_unused:UNUSED_PAD src0_sel:DWORD src1_sel:WORD_0
	v_and_b32_e32 v3, s62, v3
	v_lshlrev_b32_e32 v3, 2, v3
	ds_read_b32 v3, v3
	s_waitcnt lgkmcnt(0)
	v_add_nc_u32_e32 v3, v3, v49
	v_lshlrev_b64 v[39:40], 1, v[3:4]
	v_xor_b32_e32 v3, 0x7fff, v156
	v_add_co_u32 v39, s27, s46, v39
	v_add_co_ci_u32_e64 v40, null, s47, v40, s27
	global_store_short v[39:40], v3, off
	s_or_b32 exec_lo, exec_lo, s28
	v_cmp_lt_u32_e64 s27, v50, v155
	s_and_saveexec_b32 s29, s27
	s_cbranch_execz .LBB942_820
.LBB942_892:                            ;   in Loop: Header=BB942_730 Depth=2
	ds_read_u16 v156, v74 offset:3072
	s_waitcnt lgkmcnt(0)
	v_lshrrev_b32_sdwa v3, s41, v156 dst_sel:DWORD dst_unused:UNUSED_PAD src0_sel:DWORD src1_sel:WORD_0
	v_and_b32_e32 v3, s62, v3
	v_lshlrev_b32_e32 v3, 2, v3
	ds_read_b32 v3, v3
	s_waitcnt lgkmcnt(0)
	v_add_nc_u32_e32 v3, v3, v50
	v_lshlrev_b64 v[39:40], 1, v[3:4]
	v_xor_b32_e32 v3, 0x7fff, v156
	v_add_co_u32 v39, s28, s46, v39
	v_add_co_ci_u32_e64 v40, null, s47, v40, s28
	global_store_short v[39:40], v3, off
	s_or_b32 exec_lo, exec_lo, s29
	v_cmp_lt_u32_e64 s28, v51, v155
	s_and_saveexec_b32 s30, s28
	s_cbranch_execz .LBB942_821
.LBB942_893:                            ;   in Loop: Header=BB942_730 Depth=2
	ds_read_u16 v156, v74 offset:3584
	s_waitcnt lgkmcnt(0)
	v_lshrrev_b32_sdwa v3, s41, v156 dst_sel:DWORD dst_unused:UNUSED_PAD src0_sel:DWORD src1_sel:WORD_0
	v_and_b32_e32 v3, s62, v3
	v_lshlrev_b32_e32 v3, 2, v3
	ds_read_b32 v3, v3
	s_waitcnt lgkmcnt(0)
	v_add_nc_u32_e32 v3, v3, v51
	v_lshlrev_b64 v[39:40], 1, v[3:4]
	v_xor_b32_e32 v3, 0x7fff, v156
	v_add_co_u32 v39, s29, s46, v39
	v_add_co_ci_u32_e64 v40, null, s47, v40, s29
	global_store_short v[39:40], v3, off
	s_or_b32 exec_lo, exec_lo, s30
	v_cmp_lt_u32_e64 s29, v52, v155
	s_and_saveexec_b32 s31, s29
	s_cbranch_execz .LBB942_822
.LBB942_894:                            ;   in Loop: Header=BB942_730 Depth=2
	ds_read_u16 v156, v74 offset:4096
	s_waitcnt lgkmcnt(0)
	v_lshrrev_b32_sdwa v3, s41, v156 dst_sel:DWORD dst_unused:UNUSED_PAD src0_sel:DWORD src1_sel:WORD_0
	v_and_b32_e32 v3, s62, v3
	v_lshlrev_b32_e32 v3, 2, v3
	ds_read_b32 v3, v3
	s_waitcnt lgkmcnt(0)
	v_add_nc_u32_e32 v3, v3, v52
	v_lshlrev_b64 v[39:40], 1, v[3:4]
	v_xor_b32_e32 v3, 0x7fff, v156
	v_add_co_u32 v39, s30, s46, v39
	v_add_co_ci_u32_e64 v40, null, s47, v40, s30
	global_store_short v[39:40], v3, off
	s_or_b32 exec_lo, exec_lo, s31
	v_cmp_lt_u32_e64 s30, v53, v155
	s_and_saveexec_b32 s33, s30
	s_cbranch_execz .LBB942_823
.LBB942_895:                            ;   in Loop: Header=BB942_730 Depth=2
	ds_read_u16 v156, v74 offset:4608
	s_waitcnt lgkmcnt(0)
	v_lshrrev_b32_sdwa v3, s41, v156 dst_sel:DWORD dst_unused:UNUSED_PAD src0_sel:DWORD src1_sel:WORD_0
	v_and_b32_e32 v3, s62, v3
	v_lshlrev_b32_e32 v3, 2, v3
	ds_read_b32 v3, v3
	s_waitcnt lgkmcnt(0)
	v_add_nc_u32_e32 v3, v3, v53
	v_lshlrev_b64 v[39:40], 1, v[3:4]
	v_xor_b32_e32 v3, 0x7fff, v156
	v_add_co_u32 v39, s31, s46, v39
	v_add_co_ci_u32_e64 v40, null, s47, v40, s31
	global_store_short v[39:40], v3, off
	s_or_b32 exec_lo, exec_lo, s33
	v_cmp_lt_u32_e64 s31, v54, v155
	s_and_saveexec_b32 s34, s31
	s_cbranch_execz .LBB942_824
.LBB942_896:                            ;   in Loop: Header=BB942_730 Depth=2
	ds_read_u16 v156, v74 offset:5120
	s_waitcnt lgkmcnt(0)
	v_lshrrev_b32_sdwa v3, s41, v156 dst_sel:DWORD dst_unused:UNUSED_PAD src0_sel:DWORD src1_sel:WORD_0
	v_and_b32_e32 v3, s62, v3
	v_lshlrev_b32_e32 v3, 2, v3
	ds_read_b32 v3, v3
	s_waitcnt lgkmcnt(0)
	v_add_nc_u32_e32 v3, v3, v54
	v_lshlrev_b64 v[39:40], 1, v[3:4]
	v_xor_b32_e32 v3, 0x7fff, v156
	v_add_co_u32 v39, s33, s46, v39
	v_add_co_ci_u32_e64 v40, null, s47, v40, s33
	global_store_short v[39:40], v3, off
	s_or_b32 exec_lo, exec_lo, s34
	v_cmp_lt_u32_e64 s33, v55, v155
	s_and_saveexec_b32 s35, s33
	s_cbranch_execz .LBB942_825
.LBB942_897:                            ;   in Loop: Header=BB942_730 Depth=2
	ds_read_u16 v156, v74 offset:5632
	s_waitcnt lgkmcnt(0)
	v_lshrrev_b32_sdwa v3, s41, v156 dst_sel:DWORD dst_unused:UNUSED_PAD src0_sel:DWORD src1_sel:WORD_0
	v_and_b32_e32 v3, s62, v3
	v_lshlrev_b32_e32 v3, 2, v3
	ds_read_b32 v3, v3
	s_waitcnt lgkmcnt(0)
	v_add_nc_u32_e32 v3, v3, v55
	v_lshlrev_b64 v[39:40], 1, v[3:4]
	v_xor_b32_e32 v3, 0x7fff, v156
	v_add_co_u32 v39, s34, s46, v39
	v_add_co_ci_u32_e64 v40, null, s47, v40, s34
	global_store_short v[39:40], v3, off
	s_or_b32 exec_lo, exec_lo, s35
	v_cmp_lt_u32_e64 s34, v56, v155
	s_and_saveexec_b32 s36, s34
	s_cbranch_execz .LBB942_826
.LBB942_898:                            ;   in Loop: Header=BB942_730 Depth=2
	ds_read_u16 v156, v74 offset:6144
	s_waitcnt lgkmcnt(0)
	v_lshrrev_b32_sdwa v3, s41, v156 dst_sel:DWORD dst_unused:UNUSED_PAD src0_sel:DWORD src1_sel:WORD_0
	v_and_b32_e32 v3, s62, v3
	v_lshlrev_b32_e32 v3, 2, v3
	ds_read_b32 v3, v3
	s_waitcnt lgkmcnt(0)
	v_add_nc_u32_e32 v3, v3, v56
	v_lshlrev_b64 v[39:40], 1, v[3:4]
	v_xor_b32_e32 v3, 0x7fff, v156
	v_add_co_u32 v39, s35, s46, v39
	v_add_co_ci_u32_e64 v40, null, s47, v40, s35
	global_store_short v[39:40], v3, off
	s_or_b32 exec_lo, exec_lo, s36
	v_cmp_lt_u32_e64 s35, v57, v155
	s_and_saveexec_b32 s37, s35
	s_cbranch_execz .LBB942_827
.LBB942_899:                            ;   in Loop: Header=BB942_730 Depth=2
	ds_read_u16 v156, v74 offset:6656
	s_waitcnt lgkmcnt(0)
	v_lshrrev_b32_sdwa v3, s41, v156 dst_sel:DWORD dst_unused:UNUSED_PAD src0_sel:DWORD src1_sel:WORD_0
	v_and_b32_e32 v3, s62, v3
	v_lshlrev_b32_e32 v3, 2, v3
	ds_read_b32 v3, v3
	s_waitcnt lgkmcnt(0)
	v_add_nc_u32_e32 v3, v3, v57
	v_lshlrev_b64 v[39:40], 1, v[3:4]
	v_xor_b32_e32 v3, 0x7fff, v156
	v_add_co_u32 v39, s36, s46, v39
	v_add_co_ci_u32_e64 v40, null, s47, v40, s36
	global_store_short v[39:40], v3, off
	s_or_b32 exec_lo, exec_lo, s37
	v_cmp_lt_u32_e64 s36, v58, v155
	s_and_saveexec_b32 s38, s36
	s_cbranch_execz .LBB942_828
.LBB942_900:                            ;   in Loop: Header=BB942_730 Depth=2
	ds_read_u16 v156, v74 offset:7168
	s_waitcnt lgkmcnt(0)
	v_lshrrev_b32_sdwa v3, s41, v156 dst_sel:DWORD dst_unused:UNUSED_PAD src0_sel:DWORD src1_sel:WORD_0
	v_and_b32_e32 v3, s62, v3
	v_lshlrev_b32_e32 v3, 2, v3
	ds_read_b32 v3, v3
	s_waitcnt lgkmcnt(0)
	v_add_nc_u32_e32 v3, v3, v58
	v_lshlrev_b64 v[39:40], 1, v[3:4]
	v_xor_b32_e32 v3, 0x7fff, v156
	v_add_co_u32 v39, s37, s46, v39
	v_add_co_ci_u32_e64 v40, null, s47, v40, s37
	global_store_short v[39:40], v3, off
	s_or_b32 exec_lo, exec_lo, s38
	v_cmp_lt_u32_e64 s37, v59, v155
	s_and_saveexec_b32 s39, s37
	s_cbranch_execz .LBB942_829
.LBB942_901:                            ;   in Loop: Header=BB942_730 Depth=2
	ds_read_u16 v156, v74 offset:7680
	s_waitcnt lgkmcnt(0)
	v_lshrrev_b32_sdwa v3, s41, v156 dst_sel:DWORD dst_unused:UNUSED_PAD src0_sel:DWORD src1_sel:WORD_0
	v_and_b32_e32 v3, s62, v3
	v_lshlrev_b32_e32 v3, 2, v3
	ds_read_b32 v3, v3
	s_waitcnt lgkmcnt(0)
	v_add_nc_u32_e32 v3, v3, v59
	v_lshlrev_b64 v[39:40], 1, v[3:4]
	v_xor_b32_e32 v3, 0x7fff, v156
	v_add_co_u32 v39, s38, s46, v39
	v_add_co_ci_u32_e64 v40, null, s47, v40, s38
	global_store_short v[39:40], v3, off
	s_or_b32 exec_lo, exec_lo, s39
	v_cmp_lt_u32_e64 s38, v60, v155
	s_and_saveexec_b32 s40, s38
	s_cbranch_execz .LBB942_830
.LBB942_902:                            ;   in Loop: Header=BB942_730 Depth=2
	ds_read_u16 v156, v74 offset:8192
	s_waitcnt lgkmcnt(0)
	v_lshrrev_b32_sdwa v3, s41, v156 dst_sel:DWORD dst_unused:UNUSED_PAD src0_sel:DWORD src1_sel:WORD_0
	v_and_b32_e32 v3, s62, v3
	v_lshlrev_b32_e32 v3, 2, v3
	ds_read_b32 v3, v3
	s_waitcnt lgkmcnt(0)
	v_add_nc_u32_e32 v3, v3, v60
	v_lshlrev_b64 v[39:40], 1, v[3:4]
	v_xor_b32_e32 v3, 0x7fff, v156
	v_add_co_u32 v39, s39, s46, v39
	v_add_co_ci_u32_e64 v40, null, s47, v40, s39
	global_store_short v[39:40], v3, off
	s_or_b32 exec_lo, exec_lo, s40
	v_cmp_lt_u32_e64 s39, v61, v155
	s_and_saveexec_b32 s65, s39
	s_cbranch_execnz .LBB942_831
	s_branch .LBB942_832
.LBB942_903:                            ;   in Loop: Header=BB942_730 Depth=2
	global_load_dwordx2 v[37:38], v[39:40], off
	s_or_b32 exec_lo, exec_lo, s40
	s_mov_b32 s50, exec_lo
	v_cmpx_lt_u32_e64 v98, v155
	s_cbranch_execz .LBB942_834
.LBB942_904:                            ;   in Loop: Header=BB942_730 Depth=2
	global_load_dwordx2 v[35:36], v[39:40], off offset:256
	s_or_b32 exec_lo, exec_lo, s50
	s_mov_b32 s50, exec_lo
	v_cmpx_lt_u32_e64 v99, v155
	s_cbranch_execz .LBB942_835
.LBB942_905:                            ;   in Loop: Header=BB942_730 Depth=2
	global_load_dwordx2 v[33:34], v[39:40], off offset:512
	s_or_b32 exec_lo, exec_lo, s50
	s_mov_b32 s50, exec_lo
	v_cmpx_lt_u32_e64 v100, v155
	s_cbranch_execz .LBB942_836
.LBB942_906:                            ;   in Loop: Header=BB942_730 Depth=2
	global_load_dwordx2 v[31:32], v[39:40], off offset:768
	s_or_b32 exec_lo, exec_lo, s50
	s_mov_b32 s50, exec_lo
	v_cmpx_lt_u32_e64 v101, v155
	s_cbranch_execz .LBB942_837
.LBB942_907:                            ;   in Loop: Header=BB942_730 Depth=2
	global_load_dwordx2 v[29:30], v[39:40], off offset:1024
	s_or_b32 exec_lo, exec_lo, s50
	s_mov_b32 s50, exec_lo
	v_cmpx_lt_u32_e64 v102, v155
	s_cbranch_execz .LBB942_838
.LBB942_908:                            ;   in Loop: Header=BB942_730 Depth=2
	global_load_dwordx2 v[25:26], v[39:40], off offset:1280
	s_or_b32 exec_lo, exec_lo, s50
	s_mov_b32 s50, exec_lo
	v_cmpx_lt_u32_e64 v103, v155
	s_cbranch_execz .LBB942_839
.LBB942_909:                            ;   in Loop: Header=BB942_730 Depth=2
	global_load_dwordx2 v[21:22], v[39:40], off offset:1536
	s_or_b32 exec_lo, exec_lo, s50
	s_mov_b32 s50, exec_lo
	v_cmpx_lt_u32_e64 v104, v155
	s_cbranch_execz .LBB942_840
.LBB942_910:                            ;   in Loop: Header=BB942_730 Depth=2
	global_load_dwordx2 v[17:18], v[39:40], off offset:1792
	s_or_b32 exec_lo, exec_lo, s50
	s_mov_b32 s50, exec_lo
	v_cmpx_lt_u32_e64 v105, v155
	s_cbranch_execz .LBB942_841
.LBB942_911:                            ;   in Loop: Header=BB942_730 Depth=2
	v_add_co_u32 v27, s40, 0x800, v39
	v_add_co_ci_u32_e64 v28, null, 0, v40, s40
	global_load_dwordx2 v[27:28], v[27:28], off
	s_or_b32 exec_lo, exec_lo, s50
	s_mov_b32 s50, exec_lo
	v_cmpx_lt_u32_e64 v106, v155
	s_cbranch_execz .LBB942_842
.LBB942_912:                            ;   in Loop: Header=BB942_730 Depth=2
	v_add_co_u32 v23, s40, 0x800, v39
	v_add_co_ci_u32_e64 v24, null, 0, v40, s40
	global_load_dwordx2 v[23:24], v[23:24], off offset:256
	s_or_b32 exec_lo, exec_lo, s50
	s_mov_b32 s50, exec_lo
	v_cmpx_lt_u32_e64 v107, v155
	s_cbranch_execz .LBB942_843
.LBB942_913:                            ;   in Loop: Header=BB942_730 Depth=2
	v_add_co_u32 v19, s40, 0x800, v39
	v_add_co_ci_u32_e64 v20, null, 0, v40, s40
	global_load_dwordx2 v[19:20], v[19:20], off offset:512
	s_or_b32 exec_lo, exec_lo, s50
	s_mov_b32 s50, exec_lo
	v_cmpx_lt_u32_e64 v108, v155
	s_cbranch_execz .LBB942_844
.LBB942_914:                            ;   in Loop: Header=BB942_730 Depth=2
	v_add_co_u32 v15, s40, 0x800, v39
	v_add_co_ci_u32_e64 v16, null, 0, v40, s40
	global_load_dwordx2 v[15:16], v[15:16], off offset:768
	s_or_b32 exec_lo, exec_lo, s50
	s_mov_b32 s50, exec_lo
	v_cmpx_lt_u32_e64 v128, v155
	s_cbranch_execz .LBB942_845
.LBB942_915:                            ;   in Loop: Header=BB942_730 Depth=2
	v_add_co_u32 v13, s40, 0x800, v39
	v_add_co_ci_u32_e64 v14, null, 0, v40, s40
	global_load_dwordx2 v[13:14], v[13:14], off offset:1024
	s_or_b32 exec_lo, exec_lo, s50
	s_mov_b32 s50, exec_lo
	v_cmpx_lt_u32_e64 v129, v155
	s_cbranch_execz .LBB942_846
.LBB942_916:                            ;   in Loop: Header=BB942_730 Depth=2
	v_add_co_u32 v11, s40, 0x800, v39
	v_add_co_ci_u32_e64 v12, null, 0, v40, s40
	global_load_dwordx2 v[11:12], v[11:12], off offset:1280
	s_or_b32 exec_lo, exec_lo, s50
	s_mov_b32 s50, exec_lo
	v_cmpx_lt_u32_e64 v130, v155
	s_cbranch_execz .LBB942_847
.LBB942_917:                            ;   in Loop: Header=BB942_730 Depth=2
	v_add_co_u32 v9, s40, 0x800, v39
	v_add_co_ci_u32_e64 v10, null, 0, v40, s40
	global_load_dwordx2 v[9:10], v[9:10], off offset:1536
	s_or_b32 exec_lo, exec_lo, s50
	s_mov_b32 s50, exec_lo
	v_cmpx_lt_u32_e64 v131, v155
	s_cbranch_execz .LBB942_848
.LBB942_918:                            ;   in Loop: Header=BB942_730 Depth=2
	v_add_co_u32 v7, s40, 0x800, v39
	v_add_co_ci_u32_e64 v8, null, 0, v40, s40
	global_load_dwordx2 v[7:8], v[7:8], off offset:1792
	s_or_b32 exec_lo, exec_lo, s50
	s_mov_b32 s50, exec_lo
	v_cmpx_lt_u32_e64 v132, v155
	s_cbranch_execz .LBB942_849
.LBB942_919:                            ;   in Loop: Header=BB942_730 Depth=2
	v_add_co_u32 v5, s40, 0x1000, v39
	v_add_co_ci_u32_e64 v6, null, 0, v40, s40
	global_load_dwordx2 v[5:6], v[5:6], off
	s_or_b32 exec_lo, exec_lo, s50
	s_and_saveexec_b32 s40, vcc_lo
	s_cbranch_execz .LBB942_850
.LBB942_920:                            ;   in Loop: Header=BB942_730 Depth=2
	ds_read_u16 v3, v74 offset:512
	s_waitcnt lgkmcnt(0)
	v_lshrrev_b32_e32 v3, s41, v3
	v_and_b32_e32 v153, s62, v3
	s_or_b32 exec_lo, exec_lo, s40
	s_and_saveexec_b32 s40, s23
	s_cbranch_execz .LBB942_851
.LBB942_921:                            ;   in Loop: Header=BB942_730 Depth=2
	ds_read_u16 v3, v74 offset:1024
	s_waitcnt lgkmcnt(0)
	v_lshrrev_b32_e32 v3, s41, v3
	v_and_b32_e32 v152, s62, v3
	s_or_b32 exec_lo, exec_lo, s40
	s_and_saveexec_b32 s40, s24
	s_cbranch_execz .LBB942_852
.LBB942_922:                            ;   in Loop: Header=BB942_730 Depth=2
	ds_read_u16 v3, v74 offset:1536
	s_waitcnt lgkmcnt(0)
	v_lshrrev_b32_e32 v3, s41, v3
	v_and_b32_e32 v150, s62, v3
	s_or_b32 exec_lo, exec_lo, s40
	s_and_saveexec_b32 s40, s25
	s_cbranch_execz .LBB942_853
.LBB942_923:                            ;   in Loop: Header=BB942_730 Depth=2
	ds_read_u16 v3, v74 offset:2048
	s_waitcnt lgkmcnt(0)
	v_lshrrev_b32_e32 v3, s41, v3
	v_and_b32_e32 v149, s62, v3
	s_or_b32 exec_lo, exec_lo, s40
	s_and_saveexec_b32 s40, s26
	s_cbranch_execz .LBB942_854
.LBB942_924:                            ;   in Loop: Header=BB942_730 Depth=2
	ds_read_u16 v3, v74 offset:2560
	s_waitcnt lgkmcnt(0)
	v_lshrrev_b32_e32 v3, s41, v3
	v_and_b32_e32 v148, s62, v3
	s_or_b32 exec_lo, exec_lo, s40
	s_and_saveexec_b32 s40, s27
	s_cbranch_execz .LBB942_855
.LBB942_925:                            ;   in Loop: Header=BB942_730 Depth=2
	ds_read_u16 v3, v74 offset:3072
	s_waitcnt lgkmcnt(0)
	v_lshrrev_b32_e32 v3, s41, v3
	v_and_b32_e32 v147, s62, v3
	s_or_b32 exec_lo, exec_lo, s40
	s_and_saveexec_b32 s40, s28
	s_cbranch_execz .LBB942_856
.LBB942_926:                            ;   in Loop: Header=BB942_730 Depth=2
	ds_read_u16 v3, v74 offset:3584
	s_waitcnt lgkmcnt(0)
	v_lshrrev_b32_e32 v3, s41, v3
	v_and_b32_e32 v146, s62, v3
	s_or_b32 exec_lo, exec_lo, s40
	s_and_saveexec_b32 s40, s29
	s_cbranch_execz .LBB942_857
.LBB942_927:                            ;   in Loop: Header=BB942_730 Depth=2
	ds_read_u16 v3, v74 offset:4096
	s_waitcnt lgkmcnt(0)
	v_lshrrev_b32_e32 v3, s41, v3
	v_and_b32_e32 v145, s62, v3
	s_or_b32 exec_lo, exec_lo, s40
	s_and_saveexec_b32 s40, s30
	s_cbranch_execz .LBB942_858
.LBB942_928:                            ;   in Loop: Header=BB942_730 Depth=2
	ds_read_u16 v3, v74 offset:4608
	s_waitcnt lgkmcnt(0)
	v_lshrrev_b32_e32 v3, s41, v3
	v_and_b32_e32 v144, s62, v3
	s_or_b32 exec_lo, exec_lo, s40
	s_and_saveexec_b32 s40, s31
	s_cbranch_execz .LBB942_859
.LBB942_929:                            ;   in Loop: Header=BB942_730 Depth=2
	ds_read_u16 v3, v74 offset:5120
	s_waitcnt lgkmcnt(0)
	v_lshrrev_b32_e32 v3, s41, v3
	v_and_b32_e32 v143, s62, v3
	s_or_b32 exec_lo, exec_lo, s40
	s_and_saveexec_b32 s40, s33
	s_cbranch_execz .LBB942_860
.LBB942_930:                            ;   in Loop: Header=BB942_730 Depth=2
	ds_read_u16 v3, v74 offset:5632
	s_waitcnt lgkmcnt(0)
	v_lshrrev_b32_e32 v3, s41, v3
	v_and_b32_e32 v142, s62, v3
	s_or_b32 exec_lo, exec_lo, s40
	s_and_saveexec_b32 s40, s34
	s_cbranch_execz .LBB942_861
.LBB942_931:                            ;   in Loop: Header=BB942_730 Depth=2
	ds_read_u16 v3, v74 offset:6144
	s_waitcnt lgkmcnt(0)
	v_lshrrev_b32_e32 v3, s41, v3
	v_and_b32_e32 v141, s62, v3
	s_or_b32 exec_lo, exec_lo, s40
	s_and_saveexec_b32 s40, s35
	s_cbranch_execz .LBB942_862
.LBB942_932:                            ;   in Loop: Header=BB942_730 Depth=2
	ds_read_u16 v3, v74 offset:6656
	s_waitcnt lgkmcnt(0)
	v_lshrrev_b32_e32 v3, s41, v3
	v_and_b32_e32 v140, s62, v3
	s_or_b32 exec_lo, exec_lo, s40
	s_and_saveexec_b32 s40, s36
	s_cbranch_execz .LBB942_863
.LBB942_933:                            ;   in Loop: Header=BB942_730 Depth=2
	ds_read_u16 v3, v74 offset:7168
	s_waitcnt lgkmcnt(0)
	v_lshrrev_b32_e32 v3, s41, v3
	v_and_b32_e32 v139, s62, v3
	s_or_b32 exec_lo, exec_lo, s40
	s_and_saveexec_b32 s40, s37
	s_cbranch_execz .LBB942_864
.LBB942_934:                            ;   in Loop: Header=BB942_730 Depth=2
	ds_read_u16 v3, v74 offset:7680
	s_waitcnt lgkmcnt(0)
	v_lshrrev_b32_e32 v3, s41, v3
	v_and_b32_e32 v138, s62, v3
	s_or_b32 exec_lo, exec_lo, s40
	s_and_saveexec_b32 s40, s38
	s_cbranch_execz .LBB942_865
.LBB942_935:                            ;   in Loop: Header=BB942_730 Depth=2
	ds_read_u16 v3, v74 offset:8192
	s_waitcnt lgkmcnt(0)
	v_lshrrev_b32_e32 v3, s41, v3
	v_and_b32_e32 v137, s62, v3
	s_or_b32 exec_lo, exec_lo, s40
	s_and_saveexec_b32 s40, s39
	s_cbranch_execnz .LBB942_866
	s_branch .LBB942_867
.LBB942_936:                            ;   in Loop: Header=BB942_730 Depth=2
	v_lshlrev_b32_e32 v3, 2, v153
	v_add_nc_u32_e32 v39, v74, v75
	ds_read_b32 v3, v3
	ds_read_b64 v[39:40], v39 offset:512
	s_waitcnt lgkmcnt(1)
	v_add_nc_u32_e32 v3, v3, v0
	v_lshlrev_b64 v[41:42], 3, v[3:4]
	v_add_co_u32 v41, vcc_lo, s52, v41
	v_add_co_ci_u32_e64 v42, null, s53, v42, vcc_lo
	s_waitcnt lgkmcnt(0)
	global_store_dwordx2 v[41:42], v[39:40], off
	s_or_b32 exec_lo, exec_lo, s40
	s_and_saveexec_b32 s40, s23
	s_cbranch_execz .LBB942_869
.LBB942_937:                            ;   in Loop: Header=BB942_730 Depth=2
	v_lshlrev_b32_e32 v3, 2, v152
	v_add_nc_u32_e32 v39, v74, v75
	ds_read_b32 v3, v3
	ds_read_b64 v[39:40], v39 offset:2560
	s_waitcnt lgkmcnt(1)
	v_add_nc_u32_e32 v3, v3, v44
	v_lshlrev_b64 v[41:42], 3, v[3:4]
	v_add_co_u32 v41, vcc_lo, s52, v41
	v_add_co_ci_u32_e64 v42, null, s53, v42, vcc_lo
	s_waitcnt lgkmcnt(0)
	global_store_dwordx2 v[41:42], v[39:40], off
	s_or_b32 exec_lo, exec_lo, s40
	s_and_saveexec_b32 s23, s24
	s_cbranch_execz .LBB942_870
.LBB942_938:                            ;   in Loop: Header=BB942_730 Depth=2
	v_lshlrev_b32_e32 v3, 2, v150
	v_add_nc_u32_e32 v39, v74, v75
	ds_read_b32 v3, v3
	ds_read_b64 v[39:40], v39 offset:4608
	s_waitcnt lgkmcnt(1)
	v_add_nc_u32_e32 v3, v3, v47
	v_lshlrev_b64 v[41:42], 3, v[3:4]
	v_add_co_u32 v41, vcc_lo, s52, v41
	v_add_co_ci_u32_e64 v42, null, s53, v42, vcc_lo
	s_waitcnt lgkmcnt(0)
	global_store_dwordx2 v[41:42], v[39:40], off
	s_or_b32 exec_lo, exec_lo, s23
	s_and_saveexec_b32 s23, s25
	s_cbranch_execz .LBB942_871
.LBB942_939:                            ;   in Loop: Header=BB942_730 Depth=2
	v_lshlrev_b32_e32 v3, 2, v149
	v_add_nc_u32_e32 v39, v74, v75
	ds_read_b32 v3, v3
	ds_read_b64 v[39:40], v39 offset:6656
	s_waitcnt lgkmcnt(1)
	v_add_nc_u32_e32 v3, v3, v48
	v_lshlrev_b64 v[41:42], 3, v[3:4]
	v_add_co_u32 v41, vcc_lo, s52, v41
	v_add_co_ci_u32_e64 v42, null, s53, v42, vcc_lo
	s_waitcnt lgkmcnt(0)
	global_store_dwordx2 v[41:42], v[39:40], off
	s_or_b32 exec_lo, exec_lo, s23
	s_and_saveexec_b32 s23, s26
	s_cbranch_execz .LBB942_872
.LBB942_940:                            ;   in Loop: Header=BB942_730 Depth=2
	v_lshlrev_b32_e32 v3, 2, v148
	v_add_nc_u32_e32 v39, v74, v75
	ds_read_b32 v3, v3
	ds_read_b64 v[39:40], v39 offset:8704
	s_waitcnt lgkmcnt(1)
	v_add_nc_u32_e32 v3, v3, v49
	v_lshlrev_b64 v[41:42], 3, v[3:4]
	v_add_co_u32 v41, vcc_lo, s52, v41
	v_add_co_ci_u32_e64 v42, null, s53, v42, vcc_lo
	s_waitcnt lgkmcnt(0)
	global_store_dwordx2 v[41:42], v[39:40], off
	s_or_b32 exec_lo, exec_lo, s23
	s_and_saveexec_b32 s23, s27
	s_cbranch_execz .LBB942_873
.LBB942_941:                            ;   in Loop: Header=BB942_730 Depth=2
	v_lshlrev_b32_e32 v3, 2, v147
	v_add_nc_u32_e32 v39, v74, v75
	ds_read_b32 v3, v3
	ds_read_b64 v[39:40], v39 offset:10752
	s_waitcnt lgkmcnt(1)
	v_add_nc_u32_e32 v3, v3, v50
	v_lshlrev_b64 v[41:42], 3, v[3:4]
	v_add_co_u32 v41, vcc_lo, s52, v41
	v_add_co_ci_u32_e64 v42, null, s53, v42, vcc_lo
	s_waitcnt lgkmcnt(0)
	global_store_dwordx2 v[41:42], v[39:40], off
	s_or_b32 exec_lo, exec_lo, s23
	s_and_saveexec_b32 s23, s28
	s_cbranch_execz .LBB942_874
.LBB942_942:                            ;   in Loop: Header=BB942_730 Depth=2
	v_lshlrev_b32_e32 v3, 2, v146
	v_add_nc_u32_e32 v39, v74, v75
	ds_read_b32 v3, v3
	ds_read_b64 v[39:40], v39 offset:12800
	s_waitcnt lgkmcnt(1)
	v_add_nc_u32_e32 v3, v3, v51
	v_lshlrev_b64 v[41:42], 3, v[3:4]
	v_add_co_u32 v41, vcc_lo, s52, v41
	v_add_co_ci_u32_e64 v42, null, s53, v42, vcc_lo
	s_waitcnt lgkmcnt(0)
	global_store_dwordx2 v[41:42], v[39:40], off
	s_or_b32 exec_lo, exec_lo, s23
	s_and_saveexec_b32 s23, s29
	s_cbranch_execz .LBB942_875
.LBB942_943:                            ;   in Loop: Header=BB942_730 Depth=2
	v_lshlrev_b32_e32 v3, 2, v145
	v_add_nc_u32_e32 v39, v74, v75
	ds_read_b32 v3, v3
	ds_read_b64 v[39:40], v39 offset:14848
	s_waitcnt lgkmcnt(1)
	v_add_nc_u32_e32 v3, v3, v52
	v_lshlrev_b64 v[41:42], 3, v[3:4]
	v_add_co_u32 v41, vcc_lo, s52, v41
	v_add_co_ci_u32_e64 v42, null, s53, v42, vcc_lo
	s_waitcnt lgkmcnt(0)
	global_store_dwordx2 v[41:42], v[39:40], off
	s_or_b32 exec_lo, exec_lo, s23
	s_and_saveexec_b32 s23, s30
	s_cbranch_execz .LBB942_876
.LBB942_944:                            ;   in Loop: Header=BB942_730 Depth=2
	v_lshlrev_b32_e32 v3, 2, v144
	v_add_nc_u32_e32 v39, v74, v75
	ds_read_b32 v3, v3
	ds_read_b64 v[39:40], v39 offset:16896
	s_waitcnt lgkmcnt(1)
	v_add_nc_u32_e32 v3, v3, v53
	v_lshlrev_b64 v[41:42], 3, v[3:4]
	v_add_co_u32 v41, vcc_lo, s52, v41
	v_add_co_ci_u32_e64 v42, null, s53, v42, vcc_lo
	s_waitcnt lgkmcnt(0)
	global_store_dwordx2 v[41:42], v[39:40], off
	s_or_b32 exec_lo, exec_lo, s23
	s_and_saveexec_b32 s23, s31
	s_cbranch_execz .LBB942_877
.LBB942_945:                            ;   in Loop: Header=BB942_730 Depth=2
	v_lshlrev_b32_e32 v3, 2, v143
	v_add_nc_u32_e32 v39, v74, v75
	ds_read_b32 v3, v3
	ds_read_b64 v[39:40], v39 offset:18944
	s_waitcnt lgkmcnt(1)
	v_add_nc_u32_e32 v3, v3, v54
	v_lshlrev_b64 v[41:42], 3, v[3:4]
	v_add_co_u32 v41, vcc_lo, s52, v41
	v_add_co_ci_u32_e64 v42, null, s53, v42, vcc_lo
	s_waitcnt lgkmcnt(0)
	global_store_dwordx2 v[41:42], v[39:40], off
	s_or_b32 exec_lo, exec_lo, s23
	s_and_saveexec_b32 s23, s33
	s_cbranch_execz .LBB942_878
.LBB942_946:                            ;   in Loop: Header=BB942_730 Depth=2
	v_lshlrev_b32_e32 v3, 2, v142
	v_add_nc_u32_e32 v39, v74, v75
	ds_read_b32 v3, v3
	ds_read_b64 v[39:40], v39 offset:20992
	s_waitcnt lgkmcnt(1)
	v_add_nc_u32_e32 v3, v3, v55
	v_lshlrev_b64 v[41:42], 3, v[3:4]
	v_add_co_u32 v41, vcc_lo, s52, v41
	v_add_co_ci_u32_e64 v42, null, s53, v42, vcc_lo
	s_waitcnt lgkmcnt(0)
	global_store_dwordx2 v[41:42], v[39:40], off
	s_or_b32 exec_lo, exec_lo, s23
	s_and_saveexec_b32 s23, s34
	s_cbranch_execz .LBB942_879
.LBB942_947:                            ;   in Loop: Header=BB942_730 Depth=2
	v_lshlrev_b32_e32 v3, 2, v141
	v_add_nc_u32_e32 v39, v74, v75
	ds_read_b32 v3, v3
	ds_read_b64 v[39:40], v39 offset:23040
	s_waitcnt lgkmcnt(1)
	v_add_nc_u32_e32 v3, v3, v56
	v_lshlrev_b64 v[41:42], 3, v[3:4]
	v_add_co_u32 v41, vcc_lo, s52, v41
	v_add_co_ci_u32_e64 v42, null, s53, v42, vcc_lo
	s_waitcnt lgkmcnt(0)
	global_store_dwordx2 v[41:42], v[39:40], off
	s_or_b32 exec_lo, exec_lo, s23
	s_and_saveexec_b32 s23, s35
	s_cbranch_execz .LBB942_880
.LBB942_948:                            ;   in Loop: Header=BB942_730 Depth=2
	v_lshlrev_b32_e32 v3, 2, v140
	v_add_nc_u32_e32 v39, v74, v75
	ds_read_b32 v3, v3
	ds_read_b64 v[39:40], v39 offset:25088
	s_waitcnt lgkmcnt(1)
	v_add_nc_u32_e32 v3, v3, v57
	v_lshlrev_b64 v[41:42], 3, v[3:4]
	v_add_co_u32 v41, vcc_lo, s52, v41
	v_add_co_ci_u32_e64 v42, null, s53, v42, vcc_lo
	s_waitcnt lgkmcnt(0)
	global_store_dwordx2 v[41:42], v[39:40], off
	s_or_b32 exec_lo, exec_lo, s23
	s_and_saveexec_b32 s23, s36
	s_cbranch_execz .LBB942_881
.LBB942_949:                            ;   in Loop: Header=BB942_730 Depth=2
	v_lshlrev_b32_e32 v3, 2, v139
	v_add_nc_u32_e32 v39, v74, v75
	ds_read_b32 v3, v3
	ds_read_b64 v[39:40], v39 offset:27136
	s_waitcnt lgkmcnt(1)
	v_add_nc_u32_e32 v3, v3, v58
	v_lshlrev_b64 v[41:42], 3, v[3:4]
	v_add_co_u32 v41, vcc_lo, s52, v41
	v_add_co_ci_u32_e64 v42, null, s53, v42, vcc_lo
	s_waitcnt lgkmcnt(0)
	global_store_dwordx2 v[41:42], v[39:40], off
	s_or_b32 exec_lo, exec_lo, s23
	s_and_saveexec_b32 s23, s37
	s_cbranch_execz .LBB942_882
.LBB942_950:                            ;   in Loop: Header=BB942_730 Depth=2
	v_lshlrev_b32_e32 v3, 2, v138
	v_add_nc_u32_e32 v39, v74, v75
	ds_read_b32 v3, v3
	ds_read_b64 v[39:40], v39 offset:29184
	s_waitcnt lgkmcnt(1)
	v_add_nc_u32_e32 v3, v3, v59
	v_lshlrev_b64 v[41:42], 3, v[3:4]
	v_add_co_u32 v41, vcc_lo, s52, v41
	v_add_co_ci_u32_e64 v42, null, s53, v42, vcc_lo
	s_waitcnt lgkmcnt(0)
	global_store_dwordx2 v[41:42], v[39:40], off
	s_or_b32 exec_lo, exec_lo, s23
	s_and_saveexec_b32 s23, s38
	s_cbranch_execz .LBB942_883
.LBB942_951:                            ;   in Loop: Header=BB942_730 Depth=2
	v_lshlrev_b32_e32 v3, 2, v137
	v_add_nc_u32_e32 v39, v74, v75
	ds_read_b32 v3, v3
	ds_read_b64 v[39:40], v39 offset:31232
	s_waitcnt lgkmcnt(1)
	v_add_nc_u32_e32 v3, v3, v60
	v_lshlrev_b64 v[41:42], 3, v[3:4]
	v_add_co_u32 v41, vcc_lo, s52, v41
	v_add_co_ci_u32_e64 v42, null, s53, v42, vcc_lo
	s_waitcnt lgkmcnt(0)
	global_store_dwordx2 v[41:42], v[39:40], off
	s_or_b32 exec_lo, exec_lo, s23
	s_and_saveexec_b32 s23, s39
	s_cbranch_execnz .LBB942_884
	s_branch .LBB942_885
.LBB942_952:                            ;   in Loop: Header=BB942_20 Depth=1
	s_waitcnt lgkmcnt(0)
	s_mov_b32 s5, 0
	s_barrier
.LBB942_953:                            ;   in Loop: Header=BB942_20 Depth=1
	s_and_b32 vcc_lo, exec_lo, s5
	s_cbranch_vccz .LBB942_19
; %bb.954:                              ;   in Loop: Header=BB942_20 Depth=1
	s_mov_b32 s5, s60
	s_mov_b32 s50, s58
	s_barrier
	buffer_gl0_inv
                                        ; implicit-def: $vgpr3
                                        ; implicit-def: $vgpr5
                                        ; implicit-def: $vgpr6
                                        ; implicit-def: $vgpr7
                                        ; implicit-def: $vgpr8
                                        ; implicit-def: $vgpr9
                                        ; implicit-def: $vgpr10
                                        ; implicit-def: $vgpr11
                                        ; implicit-def: $vgpr12
                                        ; implicit-def: $vgpr13
                                        ; implicit-def: $vgpr14
                                        ; implicit-def: $vgpr15
                                        ; implicit-def: $vgpr16
                                        ; implicit-def: $vgpr17
                                        ; implicit-def: $vgpr18
                                        ; implicit-def: $vgpr19
                                        ; implicit-def: $vgpr20
	s_branch .LBB942_956
.LBB942_955:                            ;   in Loop: Header=BB942_956 Depth=2
	s_or_b32 exec_lo, exec_lo, s16
	s_addk_i32 s5, 0xef00
	s_cmp_ge_u32 s18, s59
	s_mov_b32 s50, s18
	s_cbranch_scc1 .LBB942_1028
.LBB942_956:                            ;   Parent Loop BB942_20 Depth=1
                                        ; =>  This Inner Loop Header: Depth=2
	s_add_i32 s18, s50, 0x1100
	s_mov_b32 s16, -1
	s_cmp_gt_u32 s18, s59
                                        ; implicit-def: $vgpr21
                                        ; implicit-def: $vgpr22
                                        ; implicit-def: $vgpr23
                                        ; implicit-def: $vgpr24
                                        ; implicit-def: $vgpr28
                                        ; implicit-def: $vgpr25
                                        ; implicit-def: $vgpr26
                                        ; implicit-def: $vgpr27
                                        ; implicit-def: $vgpr30
                                        ; implicit-def: $vgpr29
                                        ; implicit-def: $vgpr31
                                        ; implicit-def: $vgpr32
                                        ; implicit-def: $vgpr33
                                        ; implicit-def: $vgpr34
                                        ; implicit-def: $vgpr35
                                        ; implicit-def: $vgpr36
                                        ; implicit-def: $vgpr37
	s_cbranch_scc1 .LBB942_958
; %bb.957:                              ;   in Loop: Header=BB942_956 Depth=2
	s_lshl_b64 s[16:17], s[50:51], 1
	v_add_co_u32 v30, vcc_lo, v82, s16
	v_add_co_ci_u32_e64 v31, null, s17, v83, vcc_lo
	s_mov_b32 s16, 0
	v_add_co_u32 v27, vcc_lo, 0x800, v30
	v_add_co_ci_u32_e64 v28, null, 0, v31, vcc_lo
	v_add_co_u32 v32, vcc_lo, v30, 0x1000
	v_add_co_ci_u32_e64 v33, null, 0, v31, vcc_lo
	;; [unrolled: 2-line block ×5, first 2 shown]
	s_clause 0x10
	global_load_ushort v21, v[30:31], off
	global_load_ushort v22, v[30:31], off offset:512
	global_load_ushort v23, v[30:31], off offset:1024
	;; [unrolled: 1-line block ×7, first 2 shown]
	global_load_ushort v28, v[32:33], off offset:-2048
	global_load_ushort v30, v[32:33], off
	global_load_ushort v31, v[34:35], off offset:1024
	global_load_ushort v32, v[34:35], off offset:1536
	global_load_ushort v33, v[38:39], off offset:-2048
	global_load_ushort v34, v[36:37], off offset:512
	global_load_ushort v35, v[36:37], off offset:1024
	;; [unrolled: 1-line block ×3, first 2 shown]
	global_load_ushort v37, v[38:39], off
.LBB942_958:                            ;   in Loop: Header=BB942_956 Depth=2
	s_andn2_b32 vcc_lo, exec_lo, s16
	s_movk_i32 s16, 0x1100
	s_cbranch_vccnz .LBB942_978
; %bb.959:                              ;   in Loop: Header=BB942_956 Depth=2
	s_lshl_b64 s[16:17], s[50:51], 1
	s_mov_b32 s19, exec_lo
	s_add_u32 s16, s44, s16
	s_addc_u32 s17, s45, s17
	v_cmpx_gt_u32_e64 s5, v0
	s_cbranch_execnz .LBB942_1012
; %bb.960:                              ;   in Loop: Header=BB942_956 Depth=2
	s_or_b32 exec_lo, exec_lo, s19
	s_mov_b32 s19, exec_lo
	v_cmpx_gt_u32_e64 s5, v44
	s_cbranch_execnz .LBB942_1013
.LBB942_961:                            ;   in Loop: Header=BB942_956 Depth=2
	s_or_b32 exec_lo, exec_lo, s19
	s_mov_b32 s19, exec_lo
	v_cmpx_gt_u32_e64 s5, v47
	s_cbranch_execnz .LBB942_1014
.LBB942_962:                            ;   in Loop: Header=BB942_956 Depth=2
	s_or_b32 exec_lo, exec_lo, s19
	s_mov_b32 s19, exec_lo
	v_cmpx_gt_u32_e64 s5, v48
	s_cbranch_execnz .LBB942_1015
.LBB942_963:                            ;   in Loop: Header=BB942_956 Depth=2
	s_or_b32 exec_lo, exec_lo, s19
	s_mov_b32 s19, exec_lo
	v_cmpx_gt_u32_e64 s5, v49
	s_cbranch_execnz .LBB942_1016
.LBB942_964:                            ;   in Loop: Header=BB942_956 Depth=2
	s_or_b32 exec_lo, exec_lo, s19
	s_mov_b32 s19, exec_lo
	v_cmpx_gt_u32_e64 s5, v50
	s_cbranch_execnz .LBB942_1017
.LBB942_965:                            ;   in Loop: Header=BB942_956 Depth=2
	s_or_b32 exec_lo, exec_lo, s19
	s_mov_b32 s19, exec_lo
	v_cmpx_gt_u32_e64 s5, v51
	s_cbranch_execnz .LBB942_1018
.LBB942_966:                            ;   in Loop: Header=BB942_956 Depth=2
	s_or_b32 exec_lo, exec_lo, s19
	s_mov_b32 s19, exec_lo
	v_cmpx_gt_u32_e64 s5, v52
	s_cbranch_execnz .LBB942_1019
.LBB942_967:                            ;   in Loop: Header=BB942_956 Depth=2
	s_or_b32 exec_lo, exec_lo, s19
	s_mov_b32 s19, exec_lo
	v_cmpx_gt_u32_e64 s5, v53
	s_cbranch_execnz .LBB942_1020
.LBB942_968:                            ;   in Loop: Header=BB942_956 Depth=2
	s_or_b32 exec_lo, exec_lo, s19
	s_mov_b32 s19, exec_lo
	v_cmpx_gt_u32_e64 s5, v54
	s_cbranch_execnz .LBB942_1021
.LBB942_969:                            ;   in Loop: Header=BB942_956 Depth=2
	s_or_b32 exec_lo, exec_lo, s19
	s_mov_b32 s19, exec_lo
	v_cmpx_gt_u32_e64 s5, v55
	s_cbranch_execnz .LBB942_1022
.LBB942_970:                            ;   in Loop: Header=BB942_956 Depth=2
	s_or_b32 exec_lo, exec_lo, s19
	s_mov_b32 s19, exec_lo
	v_cmpx_gt_u32_e64 s5, v56
	s_cbranch_execnz .LBB942_1023
.LBB942_971:                            ;   in Loop: Header=BB942_956 Depth=2
	s_or_b32 exec_lo, exec_lo, s19
	s_mov_b32 s19, exec_lo
	v_cmpx_gt_u32_e64 s5, v57
	s_cbranch_execnz .LBB942_1024
.LBB942_972:                            ;   in Loop: Header=BB942_956 Depth=2
	s_or_b32 exec_lo, exec_lo, s19
	s_mov_b32 s19, exec_lo
	v_cmpx_gt_u32_e64 s5, v58
	s_cbranch_execnz .LBB942_1025
.LBB942_973:                            ;   in Loop: Header=BB942_956 Depth=2
	s_or_b32 exec_lo, exec_lo, s19
	s_mov_b32 s19, exec_lo
	v_cmpx_gt_u32_e64 s5, v59
	s_cbranch_execnz .LBB942_1026
.LBB942_974:                            ;   in Loop: Header=BB942_956 Depth=2
	s_or_b32 exec_lo, exec_lo, s19
	s_mov_b32 s19, exec_lo
	v_cmpx_gt_u32_e64 s5, v60
	s_cbranch_execnz .LBB942_1027
.LBB942_975:                            ;   in Loop: Header=BB942_956 Depth=2
	s_or_b32 exec_lo, exec_lo, s19
	s_mov_b32 s19, exec_lo
	v_cmpx_gt_u32_e64 s5, v61
	s_cbranch_execz .LBB942_977
.LBB942_976:                            ;   in Loop: Header=BB942_956 Depth=2
	global_load_ushort v3, v122, s[16:17]
.LBB942_977:                            ;   in Loop: Header=BB942_956 Depth=2
	s_or_b32 exec_lo, exec_lo, s19
	s_waitcnt vmcnt(0)
	v_mov_b32_e32 v21, v20
	v_mov_b32_e32 v22, v19
	;; [unrolled: 1-line block ×17, first 2 shown]
	s_mov_b32 s16, s5
.LBB942_978:                            ;   in Loop: Header=BB942_956 Depth=2
	s_waitcnt vmcnt(0)
	v_mov_b32_e32 v3, v37
	v_mov_b32_e32 v5, v36
	;; [unrolled: 1-line block ×17, first 2 shown]
	s_mov_b32 s17, exec_lo
	v_cmpx_gt_u32_e64 s16, v0
	s_cbranch_execnz .LBB942_995
; %bb.979:                              ;   in Loop: Header=BB942_956 Depth=2
	s_or_b32 exec_lo, exec_lo, s17
	s_mov_b32 s17, exec_lo
	v_cmpx_gt_u32_e64 s16, v44
	s_cbranch_execnz .LBB942_996
.LBB942_980:                            ;   in Loop: Header=BB942_956 Depth=2
	s_or_b32 exec_lo, exec_lo, s17
	s_mov_b32 s17, exec_lo
	v_cmpx_gt_u32_e64 s16, v47
	s_cbranch_execnz .LBB942_997
.LBB942_981:                            ;   in Loop: Header=BB942_956 Depth=2
	s_or_b32 exec_lo, exec_lo, s17
	s_mov_b32 s17, exec_lo
	v_cmpx_gt_u32_e64 s16, v48
	s_cbranch_execnz .LBB942_998
.LBB942_982:                            ;   in Loop: Header=BB942_956 Depth=2
	s_or_b32 exec_lo, exec_lo, s17
	s_mov_b32 s17, exec_lo
	v_cmpx_gt_u32_e64 s16, v49
	s_cbranch_execnz .LBB942_999
.LBB942_983:                            ;   in Loop: Header=BB942_956 Depth=2
	s_or_b32 exec_lo, exec_lo, s17
	s_mov_b32 s17, exec_lo
	v_cmpx_gt_u32_e64 s16, v50
	s_cbranch_execnz .LBB942_1000
.LBB942_984:                            ;   in Loop: Header=BB942_956 Depth=2
	s_or_b32 exec_lo, exec_lo, s17
	s_mov_b32 s17, exec_lo
	v_cmpx_gt_u32_e64 s16, v51
	s_cbranch_execnz .LBB942_1001
.LBB942_985:                            ;   in Loop: Header=BB942_956 Depth=2
	s_or_b32 exec_lo, exec_lo, s17
	s_mov_b32 s17, exec_lo
	v_cmpx_gt_u32_e64 s16, v52
	s_cbranch_execnz .LBB942_1002
.LBB942_986:                            ;   in Loop: Header=BB942_956 Depth=2
	s_or_b32 exec_lo, exec_lo, s17
	s_mov_b32 s17, exec_lo
	v_cmpx_gt_u32_e64 s16, v53
	s_cbranch_execnz .LBB942_1003
.LBB942_987:                            ;   in Loop: Header=BB942_956 Depth=2
	s_or_b32 exec_lo, exec_lo, s17
	s_mov_b32 s17, exec_lo
	v_cmpx_gt_u32_e64 s16, v54
	s_cbranch_execnz .LBB942_1004
.LBB942_988:                            ;   in Loop: Header=BB942_956 Depth=2
	s_or_b32 exec_lo, exec_lo, s17
	s_mov_b32 s17, exec_lo
	v_cmpx_gt_u32_e64 s16, v55
	s_cbranch_execnz .LBB942_1005
.LBB942_989:                            ;   in Loop: Header=BB942_956 Depth=2
	s_or_b32 exec_lo, exec_lo, s17
	s_mov_b32 s17, exec_lo
	v_cmpx_gt_u32_e64 s16, v56
	s_cbranch_execnz .LBB942_1006
.LBB942_990:                            ;   in Loop: Header=BB942_956 Depth=2
	s_or_b32 exec_lo, exec_lo, s17
	s_mov_b32 s17, exec_lo
	v_cmpx_gt_u32_e64 s16, v57
	s_cbranch_execnz .LBB942_1007
.LBB942_991:                            ;   in Loop: Header=BB942_956 Depth=2
	s_or_b32 exec_lo, exec_lo, s17
	s_mov_b32 s17, exec_lo
	v_cmpx_gt_u32_e64 s16, v58
	s_cbranch_execnz .LBB942_1008
.LBB942_992:                            ;   in Loop: Header=BB942_956 Depth=2
	s_or_b32 exec_lo, exec_lo, s17
	s_mov_b32 s17, exec_lo
	v_cmpx_gt_u32_e64 s16, v59
	s_cbranch_execnz .LBB942_1009
.LBB942_993:                            ;   in Loop: Header=BB942_956 Depth=2
	s_or_b32 exec_lo, exec_lo, s17
	s_mov_b32 s17, exec_lo
	v_cmpx_gt_u32_e64 s16, v60
	s_cbranch_execnz .LBB942_1010
.LBB942_994:                            ;   in Loop: Header=BB942_956 Depth=2
	s_or_b32 exec_lo, exec_lo, s17
	v_cmp_gt_u32_e32 vcc_lo, s16, v61
	s_and_saveexec_b32 s16, vcc_lo
	s_cbranch_execz .LBB942_955
	s_branch .LBB942_1011
.LBB942_995:                            ;   in Loop: Header=BB942_956 Depth=2
	v_xor_b32_e32 v21, 0x7fff, v20
	v_lshrrev_b32_sdwa v21, s41, v21 dst_sel:DWORD dst_unused:UNUSED_PAD src0_sel:DWORD src1_sel:WORD_0
	v_and_b32_e32 v21, s62, v21
	v_lshl_or_b32 v21, v21, 4, v63
	ds_add_u32 v21, v89
	s_or_b32 exec_lo, exec_lo, s17
	s_mov_b32 s17, exec_lo
	v_cmpx_gt_u32_e64 s16, v44
	s_cbranch_execz .LBB942_980
.LBB942_996:                            ;   in Loop: Header=BB942_956 Depth=2
	v_xor_b32_e32 v21, 0x7fff, v19
	v_lshrrev_b32_sdwa v21, s41, v21 dst_sel:DWORD dst_unused:UNUSED_PAD src0_sel:DWORD src1_sel:WORD_0
	v_and_b32_e32 v21, s62, v21
	v_lshl_or_b32 v21, v21, 4, v63
	ds_add_u32 v21, v89
	s_or_b32 exec_lo, exec_lo, s17
	s_mov_b32 s17, exec_lo
	v_cmpx_gt_u32_e64 s16, v47
	s_cbranch_execz .LBB942_981
.LBB942_997:                            ;   in Loop: Header=BB942_956 Depth=2
	v_xor_b32_e32 v21, 0x7fff, v18
	v_lshrrev_b32_sdwa v21, s41, v21 dst_sel:DWORD dst_unused:UNUSED_PAD src0_sel:DWORD src1_sel:WORD_0
	v_and_b32_e32 v21, s62, v21
	v_lshl_or_b32 v21, v21, 4, v63
	ds_add_u32 v21, v89
	s_or_b32 exec_lo, exec_lo, s17
	s_mov_b32 s17, exec_lo
	v_cmpx_gt_u32_e64 s16, v48
	s_cbranch_execz .LBB942_982
.LBB942_998:                            ;   in Loop: Header=BB942_956 Depth=2
	v_xor_b32_e32 v21, 0x7fff, v17
	v_lshrrev_b32_sdwa v21, s41, v21 dst_sel:DWORD dst_unused:UNUSED_PAD src0_sel:DWORD src1_sel:WORD_0
	v_and_b32_e32 v21, s62, v21
	v_lshl_or_b32 v21, v21, 4, v63
	ds_add_u32 v21, v89
	s_or_b32 exec_lo, exec_lo, s17
	s_mov_b32 s17, exec_lo
	v_cmpx_gt_u32_e64 s16, v49
	s_cbranch_execz .LBB942_983
.LBB942_999:                            ;   in Loop: Header=BB942_956 Depth=2
	v_xor_b32_e32 v21, 0x7fff, v16
	v_lshrrev_b32_sdwa v21, s41, v21 dst_sel:DWORD dst_unused:UNUSED_PAD src0_sel:DWORD src1_sel:WORD_0
	v_and_b32_e32 v21, s62, v21
	v_lshl_or_b32 v21, v21, 4, v63
	ds_add_u32 v21, v89
	s_or_b32 exec_lo, exec_lo, s17
	s_mov_b32 s17, exec_lo
	v_cmpx_gt_u32_e64 s16, v50
	s_cbranch_execz .LBB942_984
.LBB942_1000:                           ;   in Loop: Header=BB942_956 Depth=2
	v_xor_b32_e32 v21, 0x7fff, v15
	v_lshrrev_b32_sdwa v21, s41, v21 dst_sel:DWORD dst_unused:UNUSED_PAD src0_sel:DWORD src1_sel:WORD_0
	v_and_b32_e32 v21, s62, v21
	v_lshl_or_b32 v21, v21, 4, v63
	ds_add_u32 v21, v89
	s_or_b32 exec_lo, exec_lo, s17
	s_mov_b32 s17, exec_lo
	v_cmpx_gt_u32_e64 s16, v51
	s_cbranch_execz .LBB942_985
.LBB942_1001:                           ;   in Loop: Header=BB942_956 Depth=2
	v_xor_b32_e32 v21, 0x7fff, v14
	v_lshrrev_b32_sdwa v21, s41, v21 dst_sel:DWORD dst_unused:UNUSED_PAD src0_sel:DWORD src1_sel:WORD_0
	v_and_b32_e32 v21, s62, v21
	v_lshl_or_b32 v21, v21, 4, v63
	ds_add_u32 v21, v89
	s_or_b32 exec_lo, exec_lo, s17
	s_mov_b32 s17, exec_lo
	v_cmpx_gt_u32_e64 s16, v52
	s_cbranch_execz .LBB942_986
.LBB942_1002:                           ;   in Loop: Header=BB942_956 Depth=2
	v_xor_b32_e32 v21, 0x7fff, v13
	v_lshrrev_b32_sdwa v21, s41, v21 dst_sel:DWORD dst_unused:UNUSED_PAD src0_sel:DWORD src1_sel:WORD_0
	v_and_b32_e32 v21, s62, v21
	v_lshl_or_b32 v21, v21, 4, v63
	ds_add_u32 v21, v89
	s_or_b32 exec_lo, exec_lo, s17
	s_mov_b32 s17, exec_lo
	v_cmpx_gt_u32_e64 s16, v53
	s_cbranch_execz .LBB942_987
.LBB942_1003:                           ;   in Loop: Header=BB942_956 Depth=2
	v_xor_b32_e32 v21, 0x7fff, v12
	v_lshrrev_b32_sdwa v21, s41, v21 dst_sel:DWORD dst_unused:UNUSED_PAD src0_sel:DWORD src1_sel:WORD_0
	v_and_b32_e32 v21, s62, v21
	v_lshl_or_b32 v21, v21, 4, v63
	ds_add_u32 v21, v89
	s_or_b32 exec_lo, exec_lo, s17
	s_mov_b32 s17, exec_lo
	v_cmpx_gt_u32_e64 s16, v54
	s_cbranch_execz .LBB942_988
.LBB942_1004:                           ;   in Loop: Header=BB942_956 Depth=2
	v_xor_b32_e32 v21, 0x7fff, v11
	v_lshrrev_b32_sdwa v21, s41, v21 dst_sel:DWORD dst_unused:UNUSED_PAD src0_sel:DWORD src1_sel:WORD_0
	v_and_b32_e32 v21, s62, v21
	v_lshl_or_b32 v21, v21, 4, v63
	ds_add_u32 v21, v89
	s_or_b32 exec_lo, exec_lo, s17
	s_mov_b32 s17, exec_lo
	v_cmpx_gt_u32_e64 s16, v55
	s_cbranch_execz .LBB942_989
.LBB942_1005:                           ;   in Loop: Header=BB942_956 Depth=2
	v_xor_b32_e32 v21, 0x7fff, v10
	v_lshrrev_b32_sdwa v21, s41, v21 dst_sel:DWORD dst_unused:UNUSED_PAD src0_sel:DWORD src1_sel:WORD_0
	v_and_b32_e32 v21, s62, v21
	v_lshl_or_b32 v21, v21, 4, v63
	ds_add_u32 v21, v89
	s_or_b32 exec_lo, exec_lo, s17
	s_mov_b32 s17, exec_lo
	v_cmpx_gt_u32_e64 s16, v56
	s_cbranch_execz .LBB942_990
.LBB942_1006:                           ;   in Loop: Header=BB942_956 Depth=2
	v_xor_b32_e32 v21, 0x7fff, v9
	v_lshrrev_b32_sdwa v21, s41, v21 dst_sel:DWORD dst_unused:UNUSED_PAD src0_sel:DWORD src1_sel:WORD_0
	v_and_b32_e32 v21, s62, v21
	v_lshl_or_b32 v21, v21, 4, v63
	ds_add_u32 v21, v89
	s_or_b32 exec_lo, exec_lo, s17
	s_mov_b32 s17, exec_lo
	v_cmpx_gt_u32_e64 s16, v57
	s_cbranch_execz .LBB942_991
.LBB942_1007:                           ;   in Loop: Header=BB942_956 Depth=2
	v_xor_b32_e32 v21, 0x7fff, v8
	v_lshrrev_b32_sdwa v21, s41, v21 dst_sel:DWORD dst_unused:UNUSED_PAD src0_sel:DWORD src1_sel:WORD_0
	v_and_b32_e32 v21, s62, v21
	v_lshl_or_b32 v21, v21, 4, v63
	ds_add_u32 v21, v89
	s_or_b32 exec_lo, exec_lo, s17
	s_mov_b32 s17, exec_lo
	v_cmpx_gt_u32_e64 s16, v58
	s_cbranch_execz .LBB942_992
.LBB942_1008:                           ;   in Loop: Header=BB942_956 Depth=2
	v_xor_b32_e32 v21, 0x7fff, v7
	v_lshrrev_b32_sdwa v21, s41, v21 dst_sel:DWORD dst_unused:UNUSED_PAD src0_sel:DWORD src1_sel:WORD_0
	v_and_b32_e32 v21, s62, v21
	v_lshl_or_b32 v21, v21, 4, v63
	ds_add_u32 v21, v89
	s_or_b32 exec_lo, exec_lo, s17
	s_mov_b32 s17, exec_lo
	v_cmpx_gt_u32_e64 s16, v59
	s_cbranch_execz .LBB942_993
.LBB942_1009:                           ;   in Loop: Header=BB942_956 Depth=2
	v_xor_b32_e32 v21, 0x7fff, v6
	v_lshrrev_b32_sdwa v21, s41, v21 dst_sel:DWORD dst_unused:UNUSED_PAD src0_sel:DWORD src1_sel:WORD_0
	v_and_b32_e32 v21, s62, v21
	v_lshl_or_b32 v21, v21, 4, v63
	ds_add_u32 v21, v89
	s_or_b32 exec_lo, exec_lo, s17
	s_mov_b32 s17, exec_lo
	v_cmpx_gt_u32_e64 s16, v60
	s_cbranch_execz .LBB942_994
.LBB942_1010:                           ;   in Loop: Header=BB942_956 Depth=2
	v_xor_b32_e32 v21, 0x7fff, v5
	v_lshrrev_b32_sdwa v21, s41, v21 dst_sel:DWORD dst_unused:UNUSED_PAD src0_sel:DWORD src1_sel:WORD_0
	v_and_b32_e32 v21, s62, v21
	v_lshl_or_b32 v21, v21, 4, v63
	ds_add_u32 v21, v89
	s_or_b32 exec_lo, exec_lo, s17
	v_cmp_gt_u32_e32 vcc_lo, s16, v61
	s_and_saveexec_b32 s16, vcc_lo
	s_cbranch_execz .LBB942_955
.LBB942_1011:                           ;   in Loop: Header=BB942_956 Depth=2
	v_xor_b32_e32 v21, 0x7fff, v3
	v_lshrrev_b32_sdwa v21, s41, v21 dst_sel:DWORD dst_unused:UNUSED_PAD src0_sel:DWORD src1_sel:WORD_0
	v_and_b32_e32 v21, s62, v21
	v_lshl_or_b32 v21, v21, 4, v63
	ds_add_u32 v21, v89
	s_branch .LBB942_955
.LBB942_1012:                           ;   in Loop: Header=BB942_956 Depth=2
	global_load_ushort v20, v109, s[16:17]
	s_or_b32 exec_lo, exec_lo, s19
	s_mov_b32 s19, exec_lo
	v_cmpx_gt_u32_e64 s5, v44
	s_cbranch_execz .LBB942_961
.LBB942_1013:                           ;   in Loop: Header=BB942_956 Depth=2
	global_load_ushort v19, v109, s[16:17] offset:512
	s_or_b32 exec_lo, exec_lo, s19
	s_mov_b32 s19, exec_lo
	v_cmpx_gt_u32_e64 s5, v47
	s_cbranch_execz .LBB942_962
.LBB942_1014:                           ;   in Loop: Header=BB942_956 Depth=2
	global_load_ushort v18, v109, s[16:17] offset:1024
	s_or_b32 exec_lo, exec_lo, s19
	s_mov_b32 s19, exec_lo
	v_cmpx_gt_u32_e64 s5, v48
	s_cbranch_execz .LBB942_963
.LBB942_1015:                           ;   in Loop: Header=BB942_956 Depth=2
	global_load_ushort v17, v109, s[16:17] offset:1536
	s_or_b32 exec_lo, exec_lo, s19
	s_mov_b32 s19, exec_lo
	v_cmpx_gt_u32_e64 s5, v49
	s_cbranch_execz .LBB942_964
.LBB942_1016:                           ;   in Loop: Header=BB942_956 Depth=2
	global_load_ushort v16, v110, s[16:17]
	s_or_b32 exec_lo, exec_lo, s19
	s_mov_b32 s19, exec_lo
	v_cmpx_gt_u32_e64 s5, v50
	s_cbranch_execz .LBB942_965
.LBB942_1017:                           ;   in Loop: Header=BB942_956 Depth=2
	global_load_ushort v15, v111, s[16:17]
	s_or_b32 exec_lo, exec_lo, s19
	s_mov_b32 s19, exec_lo
	v_cmpx_gt_u32_e64 s5, v51
	s_cbranch_execz .LBB942_966
.LBB942_1018:                           ;   in Loop: Header=BB942_956 Depth=2
	global_load_ushort v14, v112, s[16:17]
	s_or_b32 exec_lo, exec_lo, s19
	s_mov_b32 s19, exec_lo
	v_cmpx_gt_u32_e64 s5, v52
	s_cbranch_execz .LBB942_967
.LBB942_1019:                           ;   in Loop: Header=BB942_956 Depth=2
	global_load_ushort v13, v113, s[16:17]
	s_or_b32 exec_lo, exec_lo, s19
	s_mov_b32 s19, exec_lo
	v_cmpx_gt_u32_e64 s5, v53
	s_cbranch_execz .LBB942_968
.LBB942_1020:                           ;   in Loop: Header=BB942_956 Depth=2
	global_load_ushort v12, v114, s[16:17]
	s_or_b32 exec_lo, exec_lo, s19
	s_mov_b32 s19, exec_lo
	v_cmpx_gt_u32_e64 s5, v54
	s_cbranch_execz .LBB942_969
.LBB942_1021:                           ;   in Loop: Header=BB942_956 Depth=2
	global_load_ushort v11, v115, s[16:17]
	s_or_b32 exec_lo, exec_lo, s19
	s_mov_b32 s19, exec_lo
	v_cmpx_gt_u32_e64 s5, v55
	s_cbranch_execz .LBB942_970
.LBB942_1022:                           ;   in Loop: Header=BB942_956 Depth=2
	global_load_ushort v10, v116, s[16:17]
	s_or_b32 exec_lo, exec_lo, s19
	s_mov_b32 s19, exec_lo
	v_cmpx_gt_u32_e64 s5, v56
	s_cbranch_execz .LBB942_971
.LBB942_1023:                           ;   in Loop: Header=BB942_956 Depth=2
	global_load_ushort v9, v117, s[16:17]
	s_or_b32 exec_lo, exec_lo, s19
	s_mov_b32 s19, exec_lo
	v_cmpx_gt_u32_e64 s5, v57
	s_cbranch_execz .LBB942_972
.LBB942_1024:                           ;   in Loop: Header=BB942_956 Depth=2
	global_load_ushort v8, v118, s[16:17]
	s_or_b32 exec_lo, exec_lo, s19
	s_mov_b32 s19, exec_lo
	v_cmpx_gt_u32_e64 s5, v58
	s_cbranch_execz .LBB942_973
.LBB942_1025:                           ;   in Loop: Header=BB942_956 Depth=2
	global_load_ushort v7, v119, s[16:17]
	s_or_b32 exec_lo, exec_lo, s19
	s_mov_b32 s19, exec_lo
	v_cmpx_gt_u32_e64 s5, v59
	s_cbranch_execz .LBB942_974
.LBB942_1026:                           ;   in Loop: Header=BB942_956 Depth=2
	global_load_ushort v6, v120, s[16:17]
	s_or_b32 exec_lo, exec_lo, s19
	s_mov_b32 s19, exec_lo
	v_cmpx_gt_u32_e64 s5, v60
	s_cbranch_execz .LBB942_975
.LBB942_1027:                           ;   in Loop: Header=BB942_956 Depth=2
	global_load_ushort v5, v121, s[16:17]
	s_or_b32 exec_lo, exec_lo, s19
	s_mov_b32 s19, exec_lo
	v_cmpx_gt_u32_e64 s5, v61
	s_cbranch_execnz .LBB942_976
	s_branch .LBB942_977
.LBB942_1028:                           ;   in Loop: Header=BB942_20 Depth=1
	v_mov_b32_e32 v3, 0
	s_waitcnt lgkmcnt(0)
	s_barrier
	buffer_gl0_inv
	s_and_saveexec_b32 s5, s8
	s_cbranch_execz .LBB942_1030
; %bb.1029:                             ;   in Loop: Header=BB942_20 Depth=1
	ds_read2_b64 v[5:8], v64 offset1:1
	s_waitcnt lgkmcnt(0)
	v_add_nc_u32_e32 v3, v6, v5
	v_add3_u32 v3, v3, v7, v8
.LBB942_1030:                           ;   in Loop: Header=BB942_20 Depth=1
	s_or_b32 exec_lo, exec_lo, s5
	v_mov_b32_dpp v5, v3 row_shr:1 row_mask:0xf bank_mask:0xf
	v_cmp_eq_u32_e64 s5, 0, v90
	v_cmp_lt_u32_e64 s16, 1, v90
	v_cmp_lt_u32_e64 s17, 3, v90
	;; [unrolled: 1-line block ×3, first 2 shown]
	v_cmp_eq_u32_e64 s19, 0, v92
	v_cndmask_b32_e64 v5, v5, 0, s5
	v_add_nc_u32_e32 v3, v5, v3
	v_mov_b32_dpp v5, v3 row_shr:2 row_mask:0xf bank_mask:0xf
	v_cndmask_b32_e64 v5, 0, v5, s16
	v_add_nc_u32_e32 v3, v3, v5
	v_mov_b32_dpp v5, v3 row_shr:4 row_mask:0xf bank_mask:0xf
	;; [unrolled: 3-line block ×3, first 2 shown]
	v_cndmask_b32_e64 v5, 0, v5, s18
	v_add_nc_u32_e32 v3, v3, v5
	ds_swizzle_b32 v5, v3 offset:swizzle(BROADCAST,32,15)
	s_waitcnt lgkmcnt(0)
	v_and_b32_e32 v5, v91, v5
	v_add_nc_u32_e32 v3, v3, v5
	s_and_saveexec_b32 s20, s9
; %bb.1031:                             ;   in Loop: Header=BB942_20 Depth=1
	ds_write_b32 v65, v3
; %bb.1032:                             ;   in Loop: Header=BB942_20 Depth=1
	s_or_b32 exec_lo, exec_lo, s20
	s_waitcnt lgkmcnt(0)
	s_barrier
	buffer_gl0_inv
	s_and_saveexec_b32 s20, s10
	s_cbranch_execz .LBB942_1034
; %bb.1033:                             ;   in Loop: Header=BB942_20 Depth=1
	ds_read_b32 v5, v66
	v_cmp_ne_u32_e32 vcc_lo, 0, v93
	s_waitcnt lgkmcnt(0)
	v_mov_b32_dpp v6, v5 row_shr:1 row_mask:0xf bank_mask:0xf
	v_cndmask_b32_e32 v6, 0, v6, vcc_lo
	v_cmp_lt_u32_e32 vcc_lo, 1, v93
	v_add_nc_u32_e32 v5, v6, v5
	v_mov_b32_dpp v6, v5 row_shr:2 row_mask:0xf bank_mask:0xf
	v_cndmask_b32_e32 v6, 0, v6, vcc_lo
	v_add_nc_u32_e32 v5, v5, v6
	ds_write_b32 v66, v5
.LBB942_1034:                           ;   in Loop: Header=BB942_20 Depth=1
	s_or_b32 exec_lo, exec_lo, s20
	v_mov_b32_e32 v5, 0
	s_waitcnt lgkmcnt(0)
	s_barrier
	buffer_gl0_inv
	s_and_saveexec_b32 s20, s11
; %bb.1035:                             ;   in Loop: Header=BB942_20 Depth=1
	ds_read_b32 v5, v67
; %bb.1036:                             ;   in Loop: Header=BB942_20 Depth=1
	s_or_b32 exec_lo, exec_lo, s20
	v_cmp_gt_i32_e32 vcc_lo, 0, v95
	s_waitcnt lgkmcnt(0)
	v_add_nc_u32_e32 v3, v5, v3
	s_barrier
	buffer_gl0_inv
	v_cndmask_b32_e32 v6, v95, v86, vcc_lo
	v_lshlrev_b32_e32 v125, 2, v6
	ds_bpermute_b32 v3, v125, v3
	s_and_saveexec_b32 s20, s8
	s_cbranch_execz .LBB942_1038
; %bb.1037:                             ;   in Loop: Header=BB942_20 Depth=1
	s_waitcnt lgkmcnt(0)
	v_cndmask_b32_e64 v3, v3, v5, s15
	v_add_nc_u32_e32 v3, s58, v3
	ds_write_b32 v43, v3
.LBB942_1038:                           ;   in Loop: Header=BB942_20 Depth=1
	s_or_b32 exec_lo, exec_lo, s20
	s_load_dwordx2 s[20:21], s[56:57], 0x0
	v_add_co_u32 v126, vcc_lo, v84, v97
	v_add_co_ci_u32_e64 v127, null, 0, v85, vcc_lo
	v_add_nc_u32_e32 v128, 0x180, v94
	v_add_nc_u32_e32 v129, 0x1a0, v94
	;; [unrolled: 1-line block ×5, first 2 shown]
	s_mov_b32 s63, s60
	s_mov_b32 s50, s58
                                        ; implicit-def: $vgpr7_vgpr8
                                        ; implicit-def: $vgpr9_vgpr10
                                        ; implicit-def: $vgpr11_vgpr12
                                        ; implicit-def: $vgpr13_vgpr14
                                        ; implicit-def: $vgpr15_vgpr16
                                        ; implicit-def: $vgpr19_vgpr20
                                        ; implicit-def: $vgpr23_vgpr24
                                        ; implicit-def: $vgpr27_vgpr28
                                        ; implicit-def: $vgpr17_vgpr18
                                        ; implicit-def: $vgpr21_vgpr22
                                        ; implicit-def: $vgpr25_vgpr26
                                        ; implicit-def: $vgpr29_vgpr30
                                        ; implicit-def: $vgpr31_vgpr32
                                        ; implicit-def: $vgpr33_vgpr34
                                        ; implicit-def: $vgpr35_vgpr36
                                        ; implicit-def: $vgpr37_vgpr38
                                        ; implicit-def: $vgpr136
                                        ; implicit-def: $vgpr137
                                        ; implicit-def: $vgpr138
                                        ; implicit-def: $vgpr139
                                        ; implicit-def: $vgpr140
                                        ; implicit-def: $vgpr141
                                        ; implicit-def: $vgpr142
                                        ; implicit-def: $vgpr143
                                        ; implicit-def: $vgpr144
                                        ; implicit-def: $vgpr145
                                        ; implicit-def: $vgpr146
                                        ; implicit-def: $vgpr147
                                        ; implicit-def: $vgpr148
                                        ; implicit-def: $vgpr149
                                        ; implicit-def: $vgpr150
                                        ; implicit-def: $vgpr152
                                        ; implicit-def: $vgpr153
                                        ; implicit-def: $vgpr151
                                        ; implicit-def: $vgpr154
	s_waitcnt lgkmcnt(0)
	s_cmp_lt_u32 s7, s21
	s_cselect_b32 s21, 14, 20
	s_add_u32 s22, s56, s21
	s_addc_u32 s23, s57, 0
	s_cmp_lt_u32 s6, s20
	global_load_ushort v3, v4, s[22:23]
	s_cselect_b32 s20, 12, 18
	s_add_u32 s20, s56, s20
	s_addc_u32 s21, s57, 0
	global_load_ushort v5, v4, s[20:21]
	v_cmp_eq_u32_e64 s20, 0, v96
	v_cmp_lt_u32_e64 s21, 1, v96
	v_cmp_lt_u32_e64 s22, 3, v96
	s_waitcnt vmcnt(1)
	v_mad_u32_u24 v3, v2, v3, v1
	s_waitcnt vmcnt(0)
	v_mad_u64_u32 v[5:6], null, v3, v5, v[0:1]
	v_lshlrev_b32_e32 v3, 1, v86
	v_add_co_u32 v133, vcc_lo, v87, v3
	v_lshrrev_b32_e32 v5, 3, v5
	v_add_co_ci_u32_e64 v134, null, 0, v88, vcc_lo
	v_and_b32_e32 v135, 0x1ffffffc, v5
                                        ; implicit-def: $vgpr5_vgpr6
	s_branch .LBB942_1040
.LBB942_1039:                           ;   in Loop: Header=BB942_1040 Depth=2
	s_or_b32 exec_lo, exec_lo, s23
	s_addk_i32 s63, 0xef00
	s_cmp_lt_u32 s64, s59
	s_mov_b32 s50, s64
	s_cbranch_scc0 .LBB942_18
.LBB942_1040:                           ;   Parent Loop BB942_20 Depth=1
                                        ; =>  This Inner Loop Header: Depth=2
	s_add_i32 s64, s50, 0x1100
	s_cmp_gt_u32 s64, s59
	s_cbranch_scc1 .LBB942_1042
; %bb.1041:                             ;   in Loop: Header=BB942_1040 Depth=2
	s_lshl_b64 s[24:25], s[50:51], 1
	s_mov_b32 s23, -1
	v_add_co_u32 v39, vcc_lo, v133, s24
	v_add_co_ci_u32_e64 v40, null, s25, v134, vcc_lo
	s_clause 0xf
	global_load_ushort v156, v[39:40], off
	global_load_ushort v157, v[39:40], off offset:64
	global_load_ushort v160, v[39:40], off offset:128
	;; [unrolled: 1-line block ×15, first 2 shown]
	s_movk_i32 s24, 0x1100
	s_cbranch_execz .LBB942_1043
	s_branch .LBB942_1076
.LBB942_1042:                           ;   in Loop: Header=BB942_1040 Depth=2
	s_mov_b32 s23, 0
                                        ; implicit-def: $vgpr156
                                        ; implicit-def: $vgpr157
                                        ; implicit-def: $vgpr160
                                        ; implicit-def: $vgpr164
                                        ; implicit-def: $vgpr169
                                        ; implicit-def: $vgpr174
                                        ; implicit-def: $vgpr179
                                        ; implicit-def: $vgpr184
                                        ; implicit-def: $vgpr189
                                        ; implicit-def: $vgpr187
                                        ; implicit-def: $vgpr182
                                        ; implicit-def: $vgpr177
                                        ; implicit-def: $vgpr173
                                        ; implicit-def: $vgpr168
                                        ; implicit-def: $vgpr42
                                        ; implicit-def: $vgpr41
	s_movk_i32 s24, 0x1100
.LBB942_1043:                           ;   in Loop: Header=BB942_1040 Depth=2
	s_lshl_b64 s[24:25], s[50:51], 1
	s_waitcnt vmcnt(14)
	v_mov_b32_e32 v157, 0xffff8000
	v_add_co_u32 v39, vcc_lo, v133, s24
	v_add_co_ci_u32_e64 v40, null, s25, v134, vcc_lo
	v_mov_b32_e32 v156, 0xffff8000
	s_mov_b32 s23, exec_lo
	v_cmpx_gt_u32_e64 s63, v94
	s_cbranch_execz .LBB942_1045
; %bb.1044:                             ;   in Loop: Header=BB942_1040 Depth=2
	global_load_ushort v156, v[39:40], off
.LBB942_1045:                           ;   in Loop: Header=BB942_1040 Depth=2
	s_or_b32 exec_lo, exec_lo, s23
	s_mov_b32 s23, exec_lo
	v_cmpx_gt_u32_e64 s63, v98
	s_cbranch_execz .LBB942_1047
; %bb.1046:                             ;   in Loop: Header=BB942_1040 Depth=2
	global_load_ushort v157, v[39:40], off offset:64
.LBB942_1047:                           ;   in Loop: Header=BB942_1040 Depth=2
	s_or_b32 exec_lo, exec_lo, s23
	s_waitcnt vmcnt(12)
	v_mov_b32_e32 v164, 0xffff8000
	v_mov_b32_e32 v160, 0xffff8000
	s_mov_b32 s23, exec_lo
	v_cmpx_gt_u32_e64 s63, v99
	s_cbranch_execz .LBB942_1049
; %bb.1048:                             ;   in Loop: Header=BB942_1040 Depth=2
	global_load_ushort v160, v[39:40], off offset:128
.LBB942_1049:                           ;   in Loop: Header=BB942_1040 Depth=2
	s_or_b32 exec_lo, exec_lo, s23
	s_mov_b32 s23, exec_lo
	v_cmpx_gt_u32_e64 s63, v100
	s_cbranch_execz .LBB942_1051
; %bb.1050:                             ;   in Loop: Header=BB942_1040 Depth=2
	global_load_ushort v164, v[39:40], off offset:192
.LBB942_1051:                           ;   in Loop: Header=BB942_1040 Depth=2
	s_or_b32 exec_lo, exec_lo, s23
	s_waitcnt vmcnt(10)
	v_mov_b32_e32 v174, 0xffff8000
	v_mov_b32_e32 v169, 0xffff8000
	s_mov_b32 s23, exec_lo
	v_cmpx_gt_u32_e64 s63, v101
	s_cbranch_execz .LBB942_1053
; %bb.1052:                             ;   in Loop: Header=BB942_1040 Depth=2
	global_load_ushort v169, v[39:40], off offset:256
.LBB942_1053:                           ;   in Loop: Header=BB942_1040 Depth=2
	;; [unrolled: 17-line block ×7, first 2 shown]
	s_or_b32 exec_lo, exec_lo, s23
	s_mov_b32 s23, exec_lo
	v_cmpx_gt_u32_e64 s63, v131
	s_cbranch_execz .LBB942_1075
; %bb.1074:                             ;   in Loop: Header=BB942_1040 Depth=2
	global_load_ushort v41, v[39:40], off offset:960
.LBB942_1075:                           ;   in Loop: Header=BB942_1040 Depth=2
	s_or_b32 exec_lo, exec_lo, s23
	v_cmp_gt_u32_e64 s23, s63, v132
	s_sub_i32 s24, s59, s50
.LBB942_1076:                           ;   in Loop: Header=BB942_1040 Depth=2
	v_mov_b32_e32 v3, -1
	v_mov_b32_e32 v155, s63
	s_and_saveexec_b32 s25, s23
	s_cbranch_execz .LBB942_1078
; %bb.1077:                             ;   in Loop: Header=BB942_1040 Depth=2
	s_lshl_b64 s[26:27], s[50:51], 1
	v_mov_b32_e32 v155, s24
	v_add_co_u32 v39, vcc_lo, v133, s26
	v_add_co_ci_u32_e64 v40, null, s27, v134, vcc_lo
	global_load_ushort v3, v[39:40], off offset:1024
	s_waitcnt vmcnt(0)
	v_xor_b32_e32 v3, 0x7fff, v3
.LBB942_1078:                           ;   in Loop: Header=BB942_1040 Depth=2
	s_or_b32 exec_lo, exec_lo, s25
	s_waitcnt vmcnt(15)
	v_xor_b32_e32 v156, 0x7fff, v156
	ds_write2_b32 v68, v4, v4 offset0:136 offset1:137
	ds_write2_b32 v68, v4, v4 offset0:138 offset1:139
	ds_write_b32 v68, v4 offset:560
	s_waitcnt vmcnt(0) lgkmcnt(0)
	s_barrier
	v_lshrrev_b32_sdwa v39, s41, v156 dst_sel:DWORD dst_unused:UNUSED_PAD src0_sel:DWORD src1_sel:WORD_0
	buffer_gl0_inv
	; wave barrier
	v_and_b32_e32 v40, s62, v39
	v_and_b32_e32 v39, 1, v40
	v_lshlrev_b32_e32 v158, 30, v40
	v_lshlrev_b32_e32 v159, 29, v40
	;; [unrolled: 1-line block ×4, first 2 shown]
	v_add_co_u32 v39, s23, v39, -1
	v_cndmask_b32_e64 v161, 0, 1, s23
	v_not_b32_e32 v166, v158
	v_cmp_gt_i32_e64 s23, 0, v158
	v_not_b32_e32 v158, v159
	v_lshlrev_b32_e32 v165, 26, v40
	v_cmp_ne_u32_e32 vcc_lo, 0, v161
	v_ashrrev_i32_e32 v166, 31, v166
	v_lshlrev_b32_e32 v161, 25, v40
	v_ashrrev_i32_e32 v158, 31, v158
	v_mul_u32_u24_e32 v40, 36, v40
	v_xor_b32_e32 v39, vcc_lo, v39
	v_cmp_gt_i32_e32 vcc_lo, 0, v159
	v_not_b32_e32 v159, v162
	v_xor_b32_e32 v166, s23, v166
	v_cmp_gt_i32_e64 s23, 0, v162
	v_and_b32_e32 v39, exec_lo, v39
	v_not_b32_e32 v162, v163
	v_ashrrev_i32_e32 v159, 31, v159
	v_xor_b32_e32 v158, vcc_lo, v158
	v_cmp_gt_i32_e32 vcc_lo, 0, v163
	v_and_b32_e32 v39, v39, v166
	v_not_b32_e32 v163, v165
	v_ashrrev_i32_e32 v162, 31, v162
	v_xor_b32_e32 v159, s23, v159
	v_cmp_gt_i32_e64 s23, 0, v165
	v_and_b32_e32 v39, v39, v158
	v_not_b32_e32 v158, v161
	v_ashrrev_i32_e32 v163, 31, v163
	v_xor_b32_e32 v162, vcc_lo, v162
	v_cmp_gt_i32_e32 vcc_lo, 0, v161
	v_and_b32_e32 v39, v39, v159
	v_ashrrev_i32_e32 v158, 31, v158
	v_xor_b32_e32 v159, s23, v163
	v_and_b32_e32 v39, v39, v162
	v_xor_b32_e32 v158, vcc_lo, v158
	v_and_b32_e32 v39, v39, v159
	v_add_nc_u32_e32 v159, v135, v40
	v_and_b32_e32 v39, v39, v158
	v_mbcnt_lo_u32_b32 v158, v39, 0
	v_cmp_ne_u32_e64 s23, 0, v39
	v_cmp_eq_u32_e32 vcc_lo, 0, v158
	s_and_b32 s24, s23, vcc_lo
	s_and_saveexec_b32 s23, s24
; %bb.1079:                             ;   in Loop: Header=BB942_1040 Depth=2
	v_bcnt_u32_b32 v39, v39, 0
	ds_write_b32 v159, v39 offset:544
; %bb.1080:                             ;   in Loop: Header=BB942_1040 Depth=2
	s_or_b32 exec_lo, exec_lo, s23
	v_xor_b32_e32 v157, 0x7fff, v157
	; wave barrier
	v_lshrrev_b32_sdwa v39, s41, v157 dst_sel:DWORD dst_unused:UNUSED_PAD src0_sel:DWORD src1_sel:WORD_0
	v_and_b32_e32 v40, s62, v39
	v_and_b32_e32 v39, 1, v40
	v_lshlrev_b32_e32 v161, 30, v40
	v_lshlrev_b32_e32 v162, 29, v40
	v_lshlrev_b32_e32 v165, 28, v40
	v_lshlrev_b32_e32 v166, 27, v40
	v_add_co_u32 v39, s23, v39, -1
	v_cndmask_b32_e64 v163, 0, 1, s23
	v_not_b32_e32 v170, v161
	v_cmp_gt_i32_e64 s23, 0, v161
	v_not_b32_e32 v161, v162
	v_lshlrev_b32_e32 v167, 26, v40
	v_cmp_ne_u32_e32 vcc_lo, 0, v163
	v_ashrrev_i32_e32 v170, 31, v170
	v_lshlrev_b32_e32 v163, 25, v40
	v_ashrrev_i32_e32 v161, 31, v161
	v_xor_b32_e32 v39, vcc_lo, v39
	v_cmp_gt_i32_e32 vcc_lo, 0, v162
	v_not_b32_e32 v162, v165
	v_xor_b32_e32 v170, s23, v170
	v_cmp_gt_i32_e64 s23, 0, v165
	v_and_b32_e32 v39, exec_lo, v39
	v_not_b32_e32 v165, v166
	v_ashrrev_i32_e32 v162, 31, v162
	v_xor_b32_e32 v161, vcc_lo, v161
	v_cmp_gt_i32_e32 vcc_lo, 0, v166
	v_and_b32_e32 v39, v39, v170
	v_not_b32_e32 v166, v167
	v_ashrrev_i32_e32 v165, 31, v165
	v_xor_b32_e32 v162, s23, v162
	v_cmp_gt_i32_e64 s23, 0, v167
	v_and_b32_e32 v39, v39, v161
	v_not_b32_e32 v161, v163
	v_ashrrev_i32_e32 v166, 31, v166
	v_xor_b32_e32 v165, vcc_lo, v165
	v_cmp_gt_i32_e32 vcc_lo, 0, v163
	v_and_b32_e32 v39, v39, v162
	v_ashrrev_i32_e32 v161, 31, v161
	v_xor_b32_e32 v162, s23, v166
	v_mad_u32_u24 v163, v40, 36, v135
	v_mul_u32_u24_e32 v40, 36, v40
	v_and_b32_e32 v39, v39, v165
	v_xor_b32_e32 v165, vcc_lo, v161
	ds_read_b32 v161, v163 offset:544
	v_add_nc_u32_e32 v163, v135, v40
	v_and_b32_e32 v39, v39, v162
	; wave barrier
	v_and_b32_e32 v39, v39, v165
	v_mbcnt_lo_u32_b32 v162, v39, 0
	v_cmp_ne_u32_e64 s23, 0, v39
	v_cmp_eq_u32_e32 vcc_lo, 0, v162
	s_and_b32 s24, s23, vcc_lo
	s_and_saveexec_b32 s23, s24
	s_cbranch_execz .LBB942_1082
; %bb.1081:                             ;   in Loop: Header=BB942_1040 Depth=2
	s_waitcnt lgkmcnt(0)
	v_bcnt_u32_b32 v39, v39, v161
	ds_write_b32 v163, v39 offset:544
.LBB942_1082:                           ;   in Loop: Header=BB942_1040 Depth=2
	s_or_b32 exec_lo, exec_lo, s23
	v_xor_b32_e32 v160, 0x7fff, v160
	; wave barrier
	v_lshrrev_b32_sdwa v39, s41, v160 dst_sel:DWORD dst_unused:UNUSED_PAD src0_sel:DWORD src1_sel:WORD_0
	v_and_b32_e32 v40, s62, v39
	v_and_b32_e32 v39, 1, v40
	v_lshlrev_b32_e32 v165, 30, v40
	v_lshlrev_b32_e32 v166, 29, v40
	v_lshlrev_b32_e32 v170, 28, v40
	v_lshlrev_b32_e32 v171, 27, v40
	v_add_co_u32 v39, s23, v39, -1
	v_cndmask_b32_e64 v167, 0, 1, s23
	v_not_b32_e32 v175, v165
	v_cmp_gt_i32_e64 s23, 0, v165
	v_not_b32_e32 v165, v166
	v_lshlrev_b32_e32 v172, 26, v40
	v_cmp_ne_u32_e32 vcc_lo, 0, v167
	v_ashrrev_i32_e32 v175, 31, v175
	v_lshlrev_b32_e32 v167, 25, v40
	v_ashrrev_i32_e32 v165, 31, v165
	v_xor_b32_e32 v39, vcc_lo, v39
	v_cmp_gt_i32_e32 vcc_lo, 0, v166
	v_not_b32_e32 v166, v170
	v_xor_b32_e32 v175, s23, v175
	v_cmp_gt_i32_e64 s23, 0, v170
	v_and_b32_e32 v39, exec_lo, v39
	v_not_b32_e32 v170, v171
	v_ashrrev_i32_e32 v166, 31, v166
	v_xor_b32_e32 v165, vcc_lo, v165
	v_cmp_gt_i32_e32 vcc_lo, 0, v171
	v_and_b32_e32 v39, v39, v175
	v_not_b32_e32 v171, v172
	v_ashrrev_i32_e32 v170, 31, v170
	v_xor_b32_e32 v166, s23, v166
	v_cmp_gt_i32_e64 s23, 0, v172
	v_and_b32_e32 v39, v39, v165
	v_not_b32_e32 v165, v167
	v_ashrrev_i32_e32 v171, 31, v171
	v_xor_b32_e32 v170, vcc_lo, v170
	v_cmp_gt_i32_e32 vcc_lo, 0, v167
	v_and_b32_e32 v39, v39, v166
	v_ashrrev_i32_e32 v165, 31, v165
	v_xor_b32_e32 v166, s23, v171
	v_mad_u32_u24 v167, v40, 36, v135
	v_mul_u32_u24_e32 v40, 36, v40
	v_and_b32_e32 v39, v39, v170
	v_xor_b32_e32 v170, vcc_lo, v165
	ds_read_b32 v165, v167 offset:544
	v_add_nc_u32_e32 v167, v135, v40
	v_and_b32_e32 v39, v39, v166
	; wave barrier
	v_and_b32_e32 v39, v39, v170
	v_mbcnt_lo_u32_b32 v166, v39, 0
	v_cmp_ne_u32_e64 s23, 0, v39
	v_cmp_eq_u32_e32 vcc_lo, 0, v166
	s_and_b32 s24, s23, vcc_lo
	s_and_saveexec_b32 s23, s24
	s_cbranch_execz .LBB942_1084
; %bb.1083:                             ;   in Loop: Header=BB942_1040 Depth=2
	s_waitcnt lgkmcnt(0)
	v_bcnt_u32_b32 v39, v39, v165
	ds_write_b32 v167, v39 offset:544
.LBB942_1084:                           ;   in Loop: Header=BB942_1040 Depth=2
	;; [unrolled: 63-line block ×9, first 2 shown]
	s_or_b32 exec_lo, exec_lo, s23
	v_xor_b32_e32 v182, 0x7fff, v182
	; wave barrier
	v_lshrrev_b32_sdwa v39, s41, v182 dst_sel:DWORD dst_unused:UNUSED_PAD src0_sel:DWORD src1_sel:WORD_0
	v_and_b32_e32 v40, s62, v39
	v_and_b32_e32 v39, 1, v40
	v_lshlrev_b32_e32 v199, 30, v40
	v_lshlrev_b32_e32 v200, 29, v40
	;; [unrolled: 1-line block ×4, first 2 shown]
	v_add_co_u32 v39, s23, v39, -1
	v_cndmask_b32_e64 v201, 0, 1, s23
	v_not_b32_e32 v205, v199
	v_cmp_gt_i32_e64 s23, 0, v199
	v_not_b32_e32 v199, v200
	v_lshlrev_b32_e32 v204, 26, v40
	v_cmp_ne_u32_e32 vcc_lo, 0, v201
	v_ashrrev_i32_e32 v205, 31, v205
	v_lshlrev_b32_e32 v201, 25, v40
	v_ashrrev_i32_e32 v199, 31, v199
	v_xor_b32_e32 v39, vcc_lo, v39
	v_cmp_gt_i32_e32 vcc_lo, 0, v200
	v_not_b32_e32 v200, v202
	v_xor_b32_e32 v205, s23, v205
	v_cmp_gt_i32_e64 s23, 0, v202
	v_and_b32_e32 v39, exec_lo, v39
	v_not_b32_e32 v202, v203
	v_ashrrev_i32_e32 v200, 31, v200
	v_xor_b32_e32 v199, vcc_lo, v199
	v_cmp_gt_i32_e32 vcc_lo, 0, v203
	v_and_b32_e32 v39, v39, v205
	v_not_b32_e32 v203, v204
	v_ashrrev_i32_e32 v202, 31, v202
	v_xor_b32_e32 v200, s23, v200
	v_cmp_gt_i32_e64 s23, 0, v204
	v_and_b32_e32 v39, v39, v199
	v_not_b32_e32 v199, v201
	v_ashrrev_i32_e32 v203, 31, v203
	v_xor_b32_e32 v202, vcc_lo, v202
	v_cmp_gt_i32_e32 vcc_lo, 0, v201
	v_and_b32_e32 v39, v39, v200
	v_ashrrev_i32_e32 v199, 31, v199
	v_xor_b32_e32 v200, s23, v203
	v_mad_u32_u24 v201, v40, 36, v135
	v_mul_u32_u24_e32 v40, 36, v40
	v_and_b32_e32 v39, v39, v202
	v_xor_b32_e32 v199, vcc_lo, v199
	v_add_nc_u32_e32 v202, v135, v40
	v_and_b32_e32 v39, v39, v200
	ds_read_b32 v200, v201 offset:544
	; wave barrier
	v_and_b32_e32 v39, v39, v199
	v_mbcnt_lo_u32_b32 v201, v39, 0
	v_cmp_ne_u32_e64 s23, 0, v39
	v_cmp_eq_u32_e32 vcc_lo, 0, v201
	s_and_b32 s24, s23, vcc_lo
	s_and_saveexec_b32 s23, s24
	s_cbranch_execz .LBB942_1100
; %bb.1099:                             ;   in Loop: Header=BB942_1040 Depth=2
	s_waitcnt lgkmcnt(0)
	v_bcnt_u32_b32 v39, v39, v200
	ds_write_b32 v202, v39 offset:544
.LBB942_1100:                           ;   in Loop: Header=BB942_1040 Depth=2
	s_or_b32 exec_lo, exec_lo, s23
	v_xor_b32_e32 v199, 0x7fff, v177
	; wave barrier
	v_lshrrev_b32_sdwa v39, s41, v199 dst_sel:DWORD dst_unused:UNUSED_PAD src0_sel:DWORD src1_sel:WORD_0
	v_and_b32_e32 v40, s62, v39
	v_and_b32_e32 v39, 1, v40
	v_lshlrev_b32_e32 v177, 30, v40
	v_lshlrev_b32_e32 v203, 29, v40
	v_lshlrev_b32_e32 v205, 28, v40
	v_lshlrev_b32_e32 v206, 27, v40
	v_add_co_u32 v39, s23, v39, -1
	v_cndmask_b32_e64 v204, 0, 1, s23
	v_not_b32_e32 v208, v177
	v_cmp_gt_i32_e64 s23, 0, v177
	v_not_b32_e32 v177, v203
	v_lshlrev_b32_e32 v207, 26, v40
	v_cmp_ne_u32_e32 vcc_lo, 0, v204
	v_ashrrev_i32_e32 v208, 31, v208
	v_lshlrev_b32_e32 v204, 25, v40
	v_ashrrev_i32_e32 v177, 31, v177
	v_xor_b32_e32 v39, vcc_lo, v39
	v_cmp_gt_i32_e32 vcc_lo, 0, v203
	v_not_b32_e32 v203, v205
	v_xor_b32_e32 v208, s23, v208
	v_cmp_gt_i32_e64 s23, 0, v205
	v_and_b32_e32 v39, exec_lo, v39
	v_not_b32_e32 v205, v206
	v_ashrrev_i32_e32 v203, 31, v203
	v_xor_b32_e32 v177, vcc_lo, v177
	v_cmp_gt_i32_e32 vcc_lo, 0, v206
	v_and_b32_e32 v39, v39, v208
	v_not_b32_e32 v206, v207
	v_ashrrev_i32_e32 v205, 31, v205
	v_xor_b32_e32 v203, s23, v203
	v_cmp_gt_i32_e64 s23, 0, v207
	v_and_b32_e32 v39, v39, v177
	v_not_b32_e32 v177, v204
	v_ashrrev_i32_e32 v206, 31, v206
	v_xor_b32_e32 v205, vcc_lo, v205
	v_cmp_gt_i32_e32 vcc_lo, 0, v204
	v_and_b32_e32 v39, v39, v203
	v_ashrrev_i32_e32 v177, 31, v177
	v_xor_b32_e32 v203, s23, v206
	v_mad_u32_u24 v204, v40, 36, v135
	v_mul_u32_u24_e32 v40, 36, v40
	v_and_b32_e32 v39, v39, v205
	v_xor_b32_e32 v177, vcc_lo, v177
	ds_read_b32 v204, v204 offset:544
	v_and_b32_e32 v39, v39, v203
	; wave barrier
	v_and_b32_e32 v39, v39, v177
	v_add_nc_u32_e32 v177, v135, v40
	v_mbcnt_lo_u32_b32 v205, v39, 0
	v_cmp_ne_u32_e64 s23, 0, v39
	v_cmp_eq_u32_e32 vcc_lo, 0, v205
	s_and_b32 s24, s23, vcc_lo
	s_and_saveexec_b32 s23, s24
	s_cbranch_execz .LBB942_1102
; %bb.1101:                             ;   in Loop: Header=BB942_1040 Depth=2
	s_waitcnt lgkmcnt(0)
	v_bcnt_u32_b32 v39, v39, v204
	ds_write_b32 v177, v39 offset:544
.LBB942_1102:                           ;   in Loop: Header=BB942_1040 Depth=2
	s_or_b32 exec_lo, exec_lo, s23
	v_xor_b32_e32 v203, 0x7fff, v173
	; wave barrier
	v_lshrrev_b32_sdwa v39, s41, v203 dst_sel:DWORD dst_unused:UNUSED_PAD src0_sel:DWORD src1_sel:WORD_0
	v_and_b32_e32 v40, s62, v39
	v_and_b32_e32 v39, 1, v40
	v_lshlrev_b32_e32 v173, 30, v40
	v_lshlrev_b32_e32 v206, 29, v40
	v_lshlrev_b32_e32 v208, 28, v40
	v_lshlrev_b32_e32 v209, 27, v40
	v_add_co_u32 v39, s23, v39, -1
	v_cndmask_b32_e64 v207, 0, 1, s23
	v_not_b32_e32 v211, v173
	v_cmp_gt_i32_e64 s23, 0, v173
	v_not_b32_e32 v173, v206
	v_lshlrev_b32_e32 v210, 26, v40
	v_cmp_ne_u32_e32 vcc_lo, 0, v207
	v_ashrrev_i32_e32 v211, 31, v211
	v_lshlrev_b32_e32 v207, 25, v40
	v_ashrrev_i32_e32 v173, 31, v173
	v_xor_b32_e32 v39, vcc_lo, v39
	v_cmp_gt_i32_e32 vcc_lo, 0, v206
	v_not_b32_e32 v206, v208
	v_xor_b32_e32 v211, s23, v211
	v_cmp_gt_i32_e64 s23, 0, v208
	v_and_b32_e32 v39, exec_lo, v39
	v_not_b32_e32 v208, v209
	v_ashrrev_i32_e32 v206, 31, v206
	v_xor_b32_e32 v173, vcc_lo, v173
	v_cmp_gt_i32_e32 vcc_lo, 0, v209
	v_and_b32_e32 v39, v39, v211
	v_not_b32_e32 v209, v210
	v_ashrrev_i32_e32 v208, 31, v208
	v_xor_b32_e32 v206, s23, v206
	v_cmp_gt_i32_e64 s23, 0, v210
	v_and_b32_e32 v39, v39, v173
	v_not_b32_e32 v173, v207
	v_ashrrev_i32_e32 v209, 31, v209
	v_xor_b32_e32 v208, vcc_lo, v208
	v_cmp_gt_i32_e32 vcc_lo, 0, v207
	v_and_b32_e32 v39, v39, v206
	v_ashrrev_i32_e32 v173, 31, v173
	v_xor_b32_e32 v206, s23, v209
	v_mad_u32_u24 v207, v40, 36, v135
	v_mul_u32_u24_e32 v40, 36, v40
	v_and_b32_e32 v39, v39, v208
	v_xor_b32_e32 v173, vcc_lo, v173
	ds_read_b32 v207, v207 offset:544
	v_and_b32_e32 v39, v39, v206
	; wave barrier
	v_and_b32_e32 v39, v39, v173
	v_add_nc_u32_e32 v173, v135, v40
	v_mbcnt_lo_u32_b32 v208, v39, 0
	v_cmp_ne_u32_e64 s23, 0, v39
	v_cmp_eq_u32_e32 vcc_lo, 0, v208
	s_and_b32 s24, s23, vcc_lo
	s_and_saveexec_b32 s23, s24
	s_cbranch_execz .LBB942_1104
; %bb.1103:                             ;   in Loop: Header=BB942_1040 Depth=2
	s_waitcnt lgkmcnt(0)
	v_bcnt_u32_b32 v39, v39, v207
	ds_write_b32 v173, v39 offset:544
.LBB942_1104:                           ;   in Loop: Header=BB942_1040 Depth=2
	s_or_b32 exec_lo, exec_lo, s23
	v_xor_b32_e32 v206, 0x7fff, v168
	; wave barrier
	v_lshrrev_b32_sdwa v39, s41, v206 dst_sel:DWORD dst_unused:UNUSED_PAD src0_sel:DWORD src1_sel:WORD_0
	v_and_b32_e32 v40, s62, v39
	v_and_b32_e32 v39, 1, v40
	v_lshlrev_b32_e32 v168, 30, v40
	v_lshlrev_b32_e32 v209, 29, v40
	v_lshlrev_b32_e32 v211, 28, v40
	v_lshlrev_b32_e32 v212, 27, v40
	v_add_co_u32 v39, s23, v39, -1
	v_cndmask_b32_e64 v210, 0, 1, s23
	v_not_b32_e32 v214, v168
	v_cmp_gt_i32_e64 s23, 0, v168
	v_not_b32_e32 v168, v209
	v_lshlrev_b32_e32 v213, 26, v40
	v_cmp_ne_u32_e32 vcc_lo, 0, v210
	v_ashrrev_i32_e32 v214, 31, v214
	v_lshlrev_b32_e32 v210, 25, v40
	v_ashrrev_i32_e32 v168, 31, v168
	v_xor_b32_e32 v39, vcc_lo, v39
	v_cmp_gt_i32_e32 vcc_lo, 0, v209
	v_not_b32_e32 v209, v211
	v_xor_b32_e32 v214, s23, v214
	v_cmp_gt_i32_e64 s23, 0, v211
	v_and_b32_e32 v39, exec_lo, v39
	v_not_b32_e32 v211, v212
	v_ashrrev_i32_e32 v209, 31, v209
	v_xor_b32_e32 v168, vcc_lo, v168
	v_cmp_gt_i32_e32 vcc_lo, 0, v212
	v_and_b32_e32 v39, v39, v214
	v_not_b32_e32 v212, v213
	v_ashrrev_i32_e32 v211, 31, v211
	v_xor_b32_e32 v209, s23, v209
	v_cmp_gt_i32_e64 s23, 0, v213
	v_and_b32_e32 v39, v39, v168
	v_not_b32_e32 v168, v210
	v_ashrrev_i32_e32 v212, 31, v212
	v_xor_b32_e32 v211, vcc_lo, v211
	v_cmp_gt_i32_e32 vcc_lo, 0, v210
	v_and_b32_e32 v39, v39, v209
	v_ashrrev_i32_e32 v168, 31, v168
	v_xor_b32_e32 v209, s23, v212
	v_mad_u32_u24 v210, v40, 36, v135
	v_mul_u32_u24_e32 v40, 36, v40
	v_and_b32_e32 v39, v39, v211
	v_xor_b32_e32 v168, vcc_lo, v168
	ds_read_b32 v210, v210 offset:544
	v_and_b32_e32 v39, v39, v209
	; wave barrier
	v_and_b32_e32 v39, v39, v168
	v_add_nc_u32_e32 v168, v135, v40
	v_mbcnt_lo_u32_b32 v211, v39, 0
	v_cmp_ne_u32_e64 s23, 0, v39
	v_cmp_eq_u32_e32 vcc_lo, 0, v211
	s_and_b32 s24, s23, vcc_lo
	s_and_saveexec_b32 s23, s24
	s_cbranch_execz .LBB942_1106
; %bb.1105:                             ;   in Loop: Header=BB942_1040 Depth=2
	s_waitcnt lgkmcnt(0)
	v_bcnt_u32_b32 v39, v39, v210
	ds_write_b32 v168, v39 offset:544
.LBB942_1106:                           ;   in Loop: Header=BB942_1040 Depth=2
	s_or_b32 exec_lo, exec_lo, s23
	v_xor_b32_e32 v209, 0x7fff, v42
	; wave barrier
	v_lshrrev_b32_sdwa v39, s41, v209 dst_sel:DWORD dst_unused:UNUSED_PAD src0_sel:DWORD src1_sel:WORD_0
	v_and_b32_e32 v40, s62, v39
	v_and_b32_e32 v39, 1, v40
	v_lshlrev_b32_e32 v42, 30, v40
	v_lshlrev_b32_e32 v212, 29, v40
	;; [unrolled: 1-line block ×4, first 2 shown]
	v_add_co_u32 v39, s23, v39, -1
	v_cndmask_b32_e64 v213, 0, 1, s23
	v_not_b32_e32 v217, v42
	v_cmp_gt_i32_e64 s23, 0, v42
	v_not_b32_e32 v42, v212
	v_lshlrev_b32_e32 v216, 26, v40
	v_cmp_ne_u32_e32 vcc_lo, 0, v213
	v_ashrrev_i32_e32 v217, 31, v217
	v_lshlrev_b32_e32 v213, 25, v40
	v_ashrrev_i32_e32 v42, 31, v42
	v_xor_b32_e32 v39, vcc_lo, v39
	v_cmp_gt_i32_e32 vcc_lo, 0, v212
	v_not_b32_e32 v212, v214
	v_xor_b32_e32 v217, s23, v217
	v_cmp_gt_i32_e64 s23, 0, v214
	v_and_b32_e32 v39, exec_lo, v39
	v_not_b32_e32 v214, v215
	v_ashrrev_i32_e32 v212, 31, v212
	v_xor_b32_e32 v42, vcc_lo, v42
	v_cmp_gt_i32_e32 vcc_lo, 0, v215
	v_and_b32_e32 v39, v39, v217
	v_not_b32_e32 v215, v216
	v_ashrrev_i32_e32 v214, 31, v214
	v_xor_b32_e32 v212, s23, v212
	v_cmp_gt_i32_e64 s23, 0, v216
	v_and_b32_e32 v39, v39, v42
	v_not_b32_e32 v42, v213
	v_ashrrev_i32_e32 v215, 31, v215
	v_xor_b32_e32 v214, vcc_lo, v214
	v_cmp_gt_i32_e32 vcc_lo, 0, v213
	v_and_b32_e32 v39, v39, v212
	v_ashrrev_i32_e32 v42, 31, v42
	v_xor_b32_e32 v212, s23, v215
	v_mad_u32_u24 v213, v40, 36, v135
	v_mul_u32_u24_e32 v40, 36, v40
	v_and_b32_e32 v39, v39, v214
	v_xor_b32_e32 v42, vcc_lo, v42
	ds_read_b32 v213, v213 offset:544
	v_add_nc_u32_e32 v215, v135, v40
	v_and_b32_e32 v39, v39, v212
	; wave barrier
	v_and_b32_e32 v39, v39, v42
	v_mbcnt_lo_u32_b32 v214, v39, 0
	v_cmp_ne_u32_e64 s23, 0, v39
	v_cmp_eq_u32_e32 vcc_lo, 0, v214
	s_and_b32 s24, s23, vcc_lo
	s_and_saveexec_b32 s23, s24
	s_cbranch_execz .LBB942_1108
; %bb.1107:                             ;   in Loop: Header=BB942_1040 Depth=2
	s_waitcnt lgkmcnt(0)
	v_bcnt_u32_b32 v39, v39, v213
	ds_write_b32 v215, v39 offset:544
.LBB942_1108:                           ;   in Loop: Header=BB942_1040 Depth=2
	s_or_b32 exec_lo, exec_lo, s23
	v_xor_b32_e32 v212, 0x7fff, v41
	; wave barrier
	v_lshrrev_b32_sdwa v39, s41, v212 dst_sel:DWORD dst_unused:UNUSED_PAD src0_sel:DWORD src1_sel:WORD_0
	v_and_b32_e32 v40, s62, v39
	v_and_b32_e32 v39, 1, v40
	v_lshlrev_b32_e32 v41, 30, v40
	v_lshlrev_b32_e32 v42, 29, v40
	v_lshlrev_b32_e32 v217, 28, v40
	v_lshlrev_b32_e32 v218, 27, v40
	v_add_co_u32 v39, s23, v39, -1
	v_cndmask_b32_e64 v216, 0, 1, s23
	v_not_b32_e32 v220, v41
	v_cmp_gt_i32_e64 s23, 0, v41
	v_not_b32_e32 v41, v42
	v_lshlrev_b32_e32 v219, 26, v40
	v_cmp_ne_u32_e32 vcc_lo, 0, v216
	v_ashrrev_i32_e32 v220, 31, v220
	v_lshlrev_b32_e32 v216, 25, v40
	v_ashrrev_i32_e32 v41, 31, v41
	v_xor_b32_e32 v39, vcc_lo, v39
	v_cmp_gt_i32_e32 vcc_lo, 0, v42
	v_not_b32_e32 v42, v217
	v_xor_b32_e32 v220, s23, v220
	v_cmp_gt_i32_e64 s23, 0, v217
	v_and_b32_e32 v39, exec_lo, v39
	v_not_b32_e32 v217, v218
	v_ashrrev_i32_e32 v42, 31, v42
	v_xor_b32_e32 v41, vcc_lo, v41
	v_cmp_gt_i32_e32 vcc_lo, 0, v218
	v_and_b32_e32 v39, v39, v220
	v_not_b32_e32 v218, v219
	v_ashrrev_i32_e32 v217, 31, v217
	v_xor_b32_e32 v42, s23, v42
	v_cmp_gt_i32_e64 s23, 0, v219
	v_and_b32_e32 v39, v39, v41
	v_not_b32_e32 v41, v216
	v_ashrrev_i32_e32 v218, 31, v218
	v_xor_b32_e32 v217, vcc_lo, v217
	v_cmp_gt_i32_e32 vcc_lo, 0, v216
	v_and_b32_e32 v39, v39, v42
	v_ashrrev_i32_e32 v41, 31, v41
	v_xor_b32_e32 v42, s23, v218
	v_mad_u32_u24 v216, v40, 36, v135
	v_mul_u32_u24_e32 v40, 36, v40
	v_and_b32_e32 v39, v39, v217
	v_xor_b32_e32 v41, vcc_lo, v41
	ds_read_b32 v216, v216 offset:544
	v_add_nc_u32_e32 v218, v135, v40
	v_and_b32_e32 v39, v39, v42
	; wave barrier
	v_and_b32_e32 v39, v39, v41
	v_mbcnt_lo_u32_b32 v217, v39, 0
	v_cmp_ne_u32_e64 s23, 0, v39
	v_cmp_eq_u32_e32 vcc_lo, 0, v217
	s_and_b32 s24, s23, vcc_lo
	s_and_saveexec_b32 s23, s24
	s_cbranch_execz .LBB942_1110
; %bb.1109:                             ;   in Loop: Header=BB942_1040 Depth=2
	s_waitcnt lgkmcnt(0)
	v_bcnt_u32_b32 v39, v39, v216
	ds_write_b32 v218, v39 offset:544
.LBB942_1110:                           ;   in Loop: Header=BB942_1040 Depth=2
	s_or_b32 exec_lo, exec_lo, s23
	v_lshrrev_b32_sdwa v39, s41, v3 dst_sel:DWORD dst_unused:UNUSED_PAD src0_sel:DWORD src1_sel:WORD_0
	; wave barrier
	v_and_b32_e32 v40, s62, v39
	v_and_b32_e32 v39, 1, v40
	v_lshlrev_b32_e32 v41, 30, v40
	v_lshlrev_b32_e32 v42, 29, v40
	;; [unrolled: 1-line block ×4, first 2 shown]
	v_add_co_u32 v39, s23, v39, -1
	v_cndmask_b32_e64 v219, 0, 1, s23
	v_not_b32_e32 v223, v41
	v_cmp_gt_i32_e64 s23, 0, v41
	v_not_b32_e32 v41, v42
	v_lshlrev_b32_e32 v222, 26, v40
	v_cmp_ne_u32_e32 vcc_lo, 0, v219
	v_ashrrev_i32_e32 v223, 31, v223
	v_lshlrev_b32_e32 v219, 25, v40
	v_ashrrev_i32_e32 v41, 31, v41
	v_xor_b32_e32 v39, vcc_lo, v39
	v_cmp_gt_i32_e32 vcc_lo, 0, v42
	v_not_b32_e32 v42, v220
	v_xor_b32_e32 v223, s23, v223
	v_cmp_gt_i32_e64 s23, 0, v220
	v_and_b32_e32 v39, exec_lo, v39
	v_not_b32_e32 v220, v221
	v_ashrrev_i32_e32 v42, 31, v42
	v_xor_b32_e32 v41, vcc_lo, v41
	v_cmp_gt_i32_e32 vcc_lo, 0, v221
	v_and_b32_e32 v39, v39, v223
	v_not_b32_e32 v221, v222
	v_ashrrev_i32_e32 v220, 31, v220
	v_xor_b32_e32 v42, s23, v42
	v_cmp_gt_i32_e64 s23, 0, v222
	v_and_b32_e32 v39, v39, v41
	v_not_b32_e32 v41, v219
	v_ashrrev_i32_e32 v221, 31, v221
	v_xor_b32_e32 v220, vcc_lo, v220
	v_cmp_gt_i32_e32 vcc_lo, 0, v219
	v_and_b32_e32 v39, v39, v42
	v_ashrrev_i32_e32 v41, 31, v41
	v_xor_b32_e32 v42, s23, v221
	v_mad_u32_u24 v219, v40, 36, v135
	v_mul_u32_u24_e32 v40, 36, v40
	v_and_b32_e32 v39, v39, v220
	v_xor_b32_e32 v41, vcc_lo, v41
	ds_read_b32 v219, v219 offset:544
	v_add_nc_u32_e32 v221, v135, v40
	v_and_b32_e32 v39, v39, v42
	; wave barrier
	v_and_b32_e32 v39, v39, v41
	v_mbcnt_lo_u32_b32 v220, v39, 0
	v_cmp_ne_u32_e64 s23, 0, v39
	v_cmp_eq_u32_e32 vcc_lo, 0, v220
	s_and_b32 s24, s23, vcc_lo
	s_and_saveexec_b32 s23, s24
	s_cbranch_execz .LBB942_1112
; %bb.1111:                             ;   in Loop: Header=BB942_1040 Depth=2
	s_waitcnt lgkmcnt(0)
	v_bcnt_u32_b32 v39, v39, v219
	ds_write_b32 v221, v39 offset:544
.LBB942_1112:                           ;   in Loop: Header=BB942_1040 Depth=2
	s_or_b32 exec_lo, exec_lo, s23
	; wave barrier
	s_waitcnt lgkmcnt(0)
	s_barrier
	buffer_gl0_inv
	ds_read2_b32 v[41:42], v68 offset0:136 offset1:137
	ds_read2_b32 v[39:40], v68 offset0:138 offset1:139
	ds_read_b32 v222, v68 offset:560
	s_waitcnt lgkmcnt(1)
	v_add3_u32 v223, v42, v41, v39
	s_waitcnt lgkmcnt(0)
	v_add3_u32 v222, v223, v40, v222
	v_mov_b32_dpp v223, v222 row_shr:1 row_mask:0xf bank_mask:0xf
	v_cndmask_b32_e64 v223, v223, 0, s5
	v_add_nc_u32_e32 v222, v223, v222
	v_mov_b32_dpp v223, v222 row_shr:2 row_mask:0xf bank_mask:0xf
	v_cndmask_b32_e64 v223, 0, v223, s16
	v_add_nc_u32_e32 v222, v222, v223
	;; [unrolled: 3-line block ×4, first 2 shown]
	ds_swizzle_b32 v223, v222 offset:swizzle(BROADCAST,32,15)
	s_waitcnt lgkmcnt(0)
	v_cndmask_b32_e64 v223, v223, 0, s19
	v_add_nc_u32_e32 v222, v222, v223
	s_and_saveexec_b32 s23, s4
; %bb.1113:                             ;   in Loop: Header=BB942_1040 Depth=2
	ds_write_b32 v62, v222 offset:512
; %bb.1114:                             ;   in Loop: Header=BB942_1040 Depth=2
	s_or_b32 exec_lo, exec_lo, s23
	s_waitcnt lgkmcnt(0)
	s_barrier
	buffer_gl0_inv
	s_and_saveexec_b32 s23, s12
	s_cbranch_execz .LBB942_1116
; %bb.1115:                             ;   in Loop: Header=BB942_1040 Depth=2
	ds_read_b32 v223, v69 offset:512
	s_waitcnt lgkmcnt(0)
	v_mov_b32_dpp v224, v223 row_shr:1 row_mask:0xf bank_mask:0xf
	v_cndmask_b32_e64 v224, v224, 0, s20
	v_add_nc_u32_e32 v223, v224, v223
	v_mov_b32_dpp v224, v223 row_shr:2 row_mask:0xf bank_mask:0xf
	v_cndmask_b32_e64 v224, 0, v224, s21
	v_add_nc_u32_e32 v223, v223, v224
	;; [unrolled: 3-line block ×3, first 2 shown]
	ds_write_b32 v69, v223 offset:512
.LBB942_1116:                           ;   in Loop: Header=BB942_1040 Depth=2
	s_or_b32 exec_lo, exec_lo, s23
	v_mov_b32_e32 v223, 0
	s_waitcnt lgkmcnt(0)
	s_barrier
	buffer_gl0_inv
	s_and_saveexec_b32 s23, s11
; %bb.1117:                             ;   in Loop: Header=BB942_1040 Depth=2
	ds_read_b32 v223, v62 offset:508
; %bb.1118:                             ;   in Loop: Header=BB942_1040 Depth=2
	s_or_b32 exec_lo, exec_lo, s23
	s_waitcnt lgkmcnt(0)
	v_add_nc_u32_e32 v222, v223, v222
	ds_bpermute_b32 v222, v125, v222
	s_waitcnt lgkmcnt(0)
	v_cndmask_b32_e64 v222, v222, v223, s15
	v_cndmask_b32_e64 v222, v222, 0, s13
	v_add_nc_u32_e32 v41, v222, v41
	v_add_nc_u32_e32 v42, v41, v42
	;; [unrolled: 1-line block ×4, first 2 shown]
	ds_write2_b32 v68, v222, v41 offset0:136 offset1:137
	ds_write2_b32 v68, v42, v39 offset0:138 offset1:139
	ds_write_b32 v68, v40 offset:560
	s_waitcnt lgkmcnt(0)
	s_barrier
	buffer_gl0_inv
	ds_read_b32 v41, v159 offset:544
	ds_read_b32 v42, v163 offset:544
	;; [unrolled: 1-line block ×17, first 2 shown]
	s_and_saveexec_b32 s23, s8
	s_cbranch_execz .LBB942_1122
; %bb.1119:                             ;   in Loop: Header=BB942_1040 Depth=2
	ds_read_b32 v151, v71 offset:544
	v_mov_b32_e32 v154, 0x1100
	s_and_saveexec_b32 s24, s14
; %bb.1120:                             ;   in Loop: Header=BB942_1040 Depth=2
	ds_read_b32 v154, v70 offset:544
; %bb.1121:                             ;   in Loop: Header=BB942_1040 Depth=2
	s_or_b32 exec_lo, exec_lo, s24
	s_waitcnt lgkmcnt(0)
	v_sub_nc_u32_e32 v154, v154, v151
.LBB942_1122:                           ;   in Loop: Header=BB942_1040 Depth=2
	s_or_b32 exec_lo, exec_lo, s23
	s_waitcnt lgkmcnt(0)
	s_barrier
	buffer_gl0_inv
	s_and_saveexec_b32 s23, s8
	s_cbranch_execz .LBB942_1124
; %bb.1123:                             ;   in Loop: Header=BB942_1040 Depth=2
	ds_read_b32 v168, v43
	s_waitcnt lgkmcnt(0)
	v_sub_nc_u32_e32 v168, v168, v151
	ds_write_b32 v43, v168
.LBB942_1124:                           ;   in Loop: Header=BB942_1040 Depth=2
	s_or_b32 exec_lo, exec_lo, s23
	v_add_nc_u32_e32 v178, v41, v158
	v_add3_u32 v177, v162, v161, v42
	v_add3_u32 v173, v166, v165, v163
	;; [unrolled: 1-line block ×5, first 2 shown]
	v_lshlrev_b32_e32 v175, 1, v178
	v_lshlrev_b32_e32 v176, 1, v177
	v_add3_u32 v161, v217, v216, v39
	v_lshlrev_b32_e32 v39, 1, v173
	v_add3_u32 v170, v181, v180, v183
	v_add3_u32 v167, v191, v190, v192
	;; [unrolled: 1-line block ×4, first 2 shown]
	ds_write_b16 v175, v156 offset:512
	ds_write_b16 v176, v157 offset:512
	v_lshlrev_b32_e32 v40, 1, v172
	ds_write_b16 v39, v160 offset:512
	v_lshlrev_b32_e32 v39, 1, v168
	v_add3_u32 v165, v197, v196, v198
	v_lshlrev_b32_e32 v156, 1, v171
	v_add3_u32 v163, v201, v200, v202
	;; [unrolled: 2-line block ×3, first 2 shown]
	v_add3_u32 v42, v208, v207, v224
	ds_write_b16 v40, v164 offset:512
	ds_write_b16 v156, v169 offset:512
	;; [unrolled: 1-line block ×3, first 2 shown]
	v_lshlrev_b32_e32 v40, 1, v167
	ds_write_b16 v39, v179 offset:512
	v_lshlrev_b32_e32 v39, 1, v166
	v_lshlrev_b32_e32 v156, 1, v165
	;; [unrolled: 1-line block ×3, first 2 shown]
	v_add3_u32 v41, v211, v210, v225
	ds_write_b16 v40, v184 offset:512
	v_lshlrev_b32_e32 v40, 1, v162
	ds_write_b16 v39, v189 offset:512
	ds_write_b16 v156, v187 offset:512
	;; [unrolled: 1-line block ×3, first 2 shown]
	v_lshlrev_b32_e32 v39, 1, v42
	v_add3_u32 v159, v214, v213, v159
	v_cmp_lt_u32_e32 vcc_lo, v0, v155
	ds_write_b16 v40, v199 offset:512
	v_lshlrev_b32_e32 v40, 1, v41
	ds_write_b16 v39, v203 offset:512
	v_lshlrev_b32_e32 v39, 1, v158
	v_lshlrev_b32_e32 v156, 1, v159
	;; [unrolled: 1-line block ×3, first 2 shown]
	ds_write_b16 v40, v206 offset:512
	ds_write_b16 v156, v209 offset:512
	;; [unrolled: 1-line block ×4, first 2 shown]
	s_waitcnt lgkmcnt(0)
	s_barrier
	buffer_gl0_inv
	s_and_saveexec_b32 s24, vcc_lo
	s_cbranch_execnz .LBB942_1197
; %bb.1125:                             ;   in Loop: Header=BB942_1040 Depth=2
	s_or_b32 exec_lo, exec_lo, s24
	v_cmp_lt_u32_e64 s23, v44, v155
	s_and_saveexec_b32 s25, s23
	s_cbranch_execnz .LBB942_1198
.LBB942_1126:                           ;   in Loop: Header=BB942_1040 Depth=2
	s_or_b32 exec_lo, exec_lo, s25
	v_cmp_lt_u32_e64 s24, v47, v155
	s_and_saveexec_b32 s26, s24
	s_cbranch_execnz .LBB942_1199
.LBB942_1127:                           ;   in Loop: Header=BB942_1040 Depth=2
	s_or_b32 exec_lo, exec_lo, s26
	v_cmp_lt_u32_e64 s25, v48, v155
	s_and_saveexec_b32 s27, s25
	s_cbranch_execnz .LBB942_1200
.LBB942_1128:                           ;   in Loop: Header=BB942_1040 Depth=2
	s_or_b32 exec_lo, exec_lo, s27
	v_cmp_lt_u32_e64 s26, v49, v155
	s_and_saveexec_b32 s28, s26
	s_cbranch_execnz .LBB942_1201
.LBB942_1129:                           ;   in Loop: Header=BB942_1040 Depth=2
	s_or_b32 exec_lo, exec_lo, s28
	v_cmp_lt_u32_e64 s27, v50, v155
	s_and_saveexec_b32 s29, s27
	s_cbranch_execnz .LBB942_1202
.LBB942_1130:                           ;   in Loop: Header=BB942_1040 Depth=2
	s_or_b32 exec_lo, exec_lo, s29
	v_cmp_lt_u32_e64 s28, v51, v155
	s_and_saveexec_b32 s30, s28
	s_cbranch_execnz .LBB942_1203
.LBB942_1131:                           ;   in Loop: Header=BB942_1040 Depth=2
	s_or_b32 exec_lo, exec_lo, s30
	v_cmp_lt_u32_e64 s29, v52, v155
	s_and_saveexec_b32 s31, s29
	s_cbranch_execnz .LBB942_1204
.LBB942_1132:                           ;   in Loop: Header=BB942_1040 Depth=2
	s_or_b32 exec_lo, exec_lo, s31
	v_cmp_lt_u32_e64 s30, v53, v155
	s_and_saveexec_b32 s33, s30
	s_cbranch_execnz .LBB942_1205
.LBB942_1133:                           ;   in Loop: Header=BB942_1040 Depth=2
	s_or_b32 exec_lo, exec_lo, s33
	v_cmp_lt_u32_e64 s31, v54, v155
	s_and_saveexec_b32 s34, s31
	s_cbranch_execnz .LBB942_1206
.LBB942_1134:                           ;   in Loop: Header=BB942_1040 Depth=2
	s_or_b32 exec_lo, exec_lo, s34
	v_cmp_lt_u32_e64 s33, v55, v155
	s_and_saveexec_b32 s35, s33
	s_cbranch_execnz .LBB942_1207
.LBB942_1135:                           ;   in Loop: Header=BB942_1040 Depth=2
	s_or_b32 exec_lo, exec_lo, s35
	v_cmp_lt_u32_e64 s34, v56, v155
	s_and_saveexec_b32 s36, s34
	s_cbranch_execnz .LBB942_1208
.LBB942_1136:                           ;   in Loop: Header=BB942_1040 Depth=2
	s_or_b32 exec_lo, exec_lo, s36
	v_cmp_lt_u32_e64 s35, v57, v155
	s_and_saveexec_b32 s37, s35
	s_cbranch_execnz .LBB942_1209
.LBB942_1137:                           ;   in Loop: Header=BB942_1040 Depth=2
	s_or_b32 exec_lo, exec_lo, s37
	v_cmp_lt_u32_e64 s36, v58, v155
	s_and_saveexec_b32 s38, s36
	s_cbranch_execnz .LBB942_1210
.LBB942_1138:                           ;   in Loop: Header=BB942_1040 Depth=2
	s_or_b32 exec_lo, exec_lo, s38
	v_cmp_lt_u32_e64 s37, v59, v155
	s_and_saveexec_b32 s39, s37
	s_cbranch_execnz .LBB942_1211
.LBB942_1139:                           ;   in Loop: Header=BB942_1040 Depth=2
	s_or_b32 exec_lo, exec_lo, s39
	v_cmp_lt_u32_e64 s38, v60, v155
	s_and_saveexec_b32 s40, s38
	s_cbranch_execnz .LBB942_1212
.LBB942_1140:                           ;   in Loop: Header=BB942_1040 Depth=2
	s_or_b32 exec_lo, exec_lo, s40
	v_cmp_lt_u32_e64 s39, v61, v155
	s_and_saveexec_b32 s65, s39
	s_cbranch_execz .LBB942_1142
.LBB942_1141:                           ;   in Loop: Header=BB942_1040 Depth=2
	ds_read_u16 v156, v74 offset:8704
	s_waitcnt lgkmcnt(0)
	v_lshrrev_b32_sdwa v3, s41, v156 dst_sel:DWORD dst_unused:UNUSED_PAD src0_sel:DWORD src1_sel:WORD_0
	v_and_b32_e32 v3, s62, v3
	v_lshlrev_b32_e32 v3, 2, v3
	ds_read_b32 v3, v3
	s_waitcnt lgkmcnt(0)
	v_add_nc_u32_e32 v3, v3, v61
	v_lshlrev_b64 v[39:40], 1, v[3:4]
	v_xor_b32_e32 v3, 0x7fff, v156
	v_add_co_u32 v39, s40, s48, v39
	v_add_co_ci_u32_e64 v40, null, s49, v40, s40
	global_store_short v[39:40], v3, off
.LBB942_1142:                           ;   in Loop: Header=BB942_1040 Depth=2
	s_or_b32 exec_lo, exec_lo, s65
	s_lshl_b64 s[66:67], s[50:51], 3
	v_add_co_u32 v39, s40, v126, s66
	v_add_co_ci_u32_e64 v40, null, s67, v127, s40
	v_cmp_lt_u32_e64 s40, v94, v155
	s_and_saveexec_b32 s50, s40
	s_xor_b32 s40, exec_lo, s50
	s_cbranch_execnz .LBB942_1213
; %bb.1143:                             ;   in Loop: Header=BB942_1040 Depth=2
	s_or_b32 exec_lo, exec_lo, s40
	s_mov_b32 s50, exec_lo
	v_cmpx_lt_u32_e64 v98, v155
	s_cbranch_execnz .LBB942_1214
.LBB942_1144:                           ;   in Loop: Header=BB942_1040 Depth=2
	s_or_b32 exec_lo, exec_lo, s50
	s_mov_b32 s50, exec_lo
	v_cmpx_lt_u32_e64 v99, v155
	s_cbranch_execnz .LBB942_1215
.LBB942_1145:                           ;   in Loop: Header=BB942_1040 Depth=2
	s_or_b32 exec_lo, exec_lo, s50
	s_mov_b32 s50, exec_lo
	v_cmpx_lt_u32_e64 v100, v155
	s_cbranch_execnz .LBB942_1216
.LBB942_1146:                           ;   in Loop: Header=BB942_1040 Depth=2
	s_or_b32 exec_lo, exec_lo, s50
	s_mov_b32 s50, exec_lo
	v_cmpx_lt_u32_e64 v101, v155
	s_cbranch_execnz .LBB942_1217
.LBB942_1147:                           ;   in Loop: Header=BB942_1040 Depth=2
	s_or_b32 exec_lo, exec_lo, s50
	s_mov_b32 s50, exec_lo
	v_cmpx_lt_u32_e64 v102, v155
	s_cbranch_execnz .LBB942_1218
.LBB942_1148:                           ;   in Loop: Header=BB942_1040 Depth=2
	s_or_b32 exec_lo, exec_lo, s50
	s_mov_b32 s50, exec_lo
	v_cmpx_lt_u32_e64 v103, v155
	s_cbranch_execnz .LBB942_1219
.LBB942_1149:                           ;   in Loop: Header=BB942_1040 Depth=2
	s_or_b32 exec_lo, exec_lo, s50
	s_mov_b32 s50, exec_lo
	v_cmpx_lt_u32_e64 v104, v155
	s_cbranch_execnz .LBB942_1220
.LBB942_1150:                           ;   in Loop: Header=BB942_1040 Depth=2
	s_or_b32 exec_lo, exec_lo, s50
	s_mov_b32 s50, exec_lo
	v_cmpx_lt_u32_e64 v105, v155
	s_cbranch_execnz .LBB942_1221
.LBB942_1151:                           ;   in Loop: Header=BB942_1040 Depth=2
	s_or_b32 exec_lo, exec_lo, s50
	s_mov_b32 s50, exec_lo
	v_cmpx_lt_u32_e64 v106, v155
	s_cbranch_execnz .LBB942_1222
.LBB942_1152:                           ;   in Loop: Header=BB942_1040 Depth=2
	s_or_b32 exec_lo, exec_lo, s50
	s_mov_b32 s50, exec_lo
	v_cmpx_lt_u32_e64 v107, v155
	s_cbranch_execnz .LBB942_1223
.LBB942_1153:                           ;   in Loop: Header=BB942_1040 Depth=2
	s_or_b32 exec_lo, exec_lo, s50
	s_mov_b32 s50, exec_lo
	v_cmpx_lt_u32_e64 v108, v155
	s_cbranch_execnz .LBB942_1224
.LBB942_1154:                           ;   in Loop: Header=BB942_1040 Depth=2
	s_or_b32 exec_lo, exec_lo, s50
	s_mov_b32 s50, exec_lo
	v_cmpx_lt_u32_e64 v128, v155
	s_cbranch_execnz .LBB942_1225
.LBB942_1155:                           ;   in Loop: Header=BB942_1040 Depth=2
	s_or_b32 exec_lo, exec_lo, s50
	s_mov_b32 s50, exec_lo
	v_cmpx_lt_u32_e64 v129, v155
	s_cbranch_execnz .LBB942_1226
.LBB942_1156:                           ;   in Loop: Header=BB942_1040 Depth=2
	s_or_b32 exec_lo, exec_lo, s50
	s_mov_b32 s50, exec_lo
	v_cmpx_lt_u32_e64 v130, v155
	s_cbranch_execnz .LBB942_1227
.LBB942_1157:                           ;   in Loop: Header=BB942_1040 Depth=2
	s_or_b32 exec_lo, exec_lo, s50
	s_mov_b32 s50, exec_lo
	v_cmpx_lt_u32_e64 v131, v155
	s_cbranch_execnz .LBB942_1228
.LBB942_1158:                           ;   in Loop: Header=BB942_1040 Depth=2
	s_or_b32 exec_lo, exec_lo, s50
	s_mov_b32 s50, exec_lo
	v_cmpx_lt_u32_e64 v132, v155
	s_cbranch_execnz .LBB942_1229
.LBB942_1159:                           ;   in Loop: Header=BB942_1040 Depth=2
	s_or_b32 exec_lo, exec_lo, s50
	s_and_saveexec_b32 s40, vcc_lo
	s_cbranch_execnz .LBB942_1230
.LBB942_1160:                           ;   in Loop: Header=BB942_1040 Depth=2
	s_or_b32 exec_lo, exec_lo, s40
	s_and_saveexec_b32 s40, s23
	s_cbranch_execnz .LBB942_1231
.LBB942_1161:                           ;   in Loop: Header=BB942_1040 Depth=2
	s_or_b32 exec_lo, exec_lo, s40
	s_and_saveexec_b32 s40, s24
	s_cbranch_execnz .LBB942_1232
.LBB942_1162:                           ;   in Loop: Header=BB942_1040 Depth=2
	s_or_b32 exec_lo, exec_lo, s40
	s_and_saveexec_b32 s40, s25
	s_cbranch_execnz .LBB942_1233
.LBB942_1163:                           ;   in Loop: Header=BB942_1040 Depth=2
	s_or_b32 exec_lo, exec_lo, s40
	s_and_saveexec_b32 s40, s26
	s_cbranch_execnz .LBB942_1234
.LBB942_1164:                           ;   in Loop: Header=BB942_1040 Depth=2
	s_or_b32 exec_lo, exec_lo, s40
	s_and_saveexec_b32 s40, s27
	s_cbranch_execnz .LBB942_1235
.LBB942_1165:                           ;   in Loop: Header=BB942_1040 Depth=2
	s_or_b32 exec_lo, exec_lo, s40
	s_and_saveexec_b32 s40, s28
	s_cbranch_execnz .LBB942_1236
.LBB942_1166:                           ;   in Loop: Header=BB942_1040 Depth=2
	s_or_b32 exec_lo, exec_lo, s40
	s_and_saveexec_b32 s40, s29
	s_cbranch_execnz .LBB942_1237
.LBB942_1167:                           ;   in Loop: Header=BB942_1040 Depth=2
	s_or_b32 exec_lo, exec_lo, s40
	s_and_saveexec_b32 s40, s30
	s_cbranch_execnz .LBB942_1238
.LBB942_1168:                           ;   in Loop: Header=BB942_1040 Depth=2
	s_or_b32 exec_lo, exec_lo, s40
	s_and_saveexec_b32 s40, s31
	s_cbranch_execnz .LBB942_1239
.LBB942_1169:                           ;   in Loop: Header=BB942_1040 Depth=2
	s_or_b32 exec_lo, exec_lo, s40
	s_and_saveexec_b32 s40, s33
	s_cbranch_execnz .LBB942_1240
.LBB942_1170:                           ;   in Loop: Header=BB942_1040 Depth=2
	s_or_b32 exec_lo, exec_lo, s40
	s_and_saveexec_b32 s40, s34
	s_cbranch_execnz .LBB942_1241
.LBB942_1171:                           ;   in Loop: Header=BB942_1040 Depth=2
	s_or_b32 exec_lo, exec_lo, s40
	s_and_saveexec_b32 s40, s35
	s_cbranch_execnz .LBB942_1242
.LBB942_1172:                           ;   in Loop: Header=BB942_1040 Depth=2
	s_or_b32 exec_lo, exec_lo, s40
	s_and_saveexec_b32 s40, s36
	s_cbranch_execnz .LBB942_1243
.LBB942_1173:                           ;   in Loop: Header=BB942_1040 Depth=2
	s_or_b32 exec_lo, exec_lo, s40
	s_and_saveexec_b32 s40, s37
	s_cbranch_execnz .LBB942_1244
.LBB942_1174:                           ;   in Loop: Header=BB942_1040 Depth=2
	s_or_b32 exec_lo, exec_lo, s40
	s_and_saveexec_b32 s40, s38
	s_cbranch_execnz .LBB942_1245
.LBB942_1175:                           ;   in Loop: Header=BB942_1040 Depth=2
	s_or_b32 exec_lo, exec_lo, s40
	s_and_saveexec_b32 s40, s39
	s_cbranch_execz .LBB942_1177
.LBB942_1176:                           ;   in Loop: Header=BB942_1040 Depth=2
	ds_read_u16 v3, v74 offset:8704
	s_waitcnt lgkmcnt(0)
	v_lshrrev_b32_e32 v3, s41, v3
	v_and_b32_e32 v136, s62, v3
.LBB942_1177:                           ;   in Loop: Header=BB942_1040 Depth=2
	s_or_b32 exec_lo, exec_lo, s40
	v_lshlrev_b32_e32 v3, 3, v178
	v_lshlrev_b32_e32 v39, 3, v177
	s_waitcnt vmcnt(0)
	s_waitcnt_vscnt null, 0x0
	s_barrier
	buffer_gl0_inv
	ds_write_b64 v3, v[37:38] offset:512
	v_lshlrev_b32_e32 v3, 3, v173
	ds_write_b64 v39, v[35:36] offset:512
	v_lshlrev_b32_e32 v39, 3, v172
	v_lshlrev_b32_e32 v40, 3, v171
	;; [unrolled: 1-line block ×3, first 2 shown]
	ds_write_b64 v3, v[33:34] offset:512
	v_lshlrev_b32_e32 v3, 3, v168
	ds_write_b64 v39, v[31:32] offset:512
	ds_write_b64 v40, v[29:30] offset:512
	;; [unrolled: 1-line block ×3, first 2 shown]
	v_lshlrev_b32_e32 v39, 3, v167
	v_lshlrev_b32_e32 v40, 3, v165
	;; [unrolled: 1-line block ×3, first 2 shown]
	ds_write_b64 v3, v[21:22] offset:512
	v_lshlrev_b32_e32 v3, 3, v166
	ds_write_b64 v39, v[17:18] offset:512
	v_lshlrev_b32_e32 v39, 3, v162
	ds_write_b64 v3, v[27:28] offset:512
	ds_write_b64 v40, v[23:24] offset:512
	;; [unrolled: 1-line block ×3, first 2 shown]
	v_lshlrev_b32_e32 v3, 3, v42
	ds_write_b64 v39, v[15:16] offset:512
	v_lshlrev_b32_e32 v39, 3, v41
	v_lshlrev_b32_e32 v40, 3, v159
	;; [unrolled: 1-line block ×3, first 2 shown]
	ds_write_b64 v3, v[13:14] offset:512
	v_lshlrev_b32_e32 v3, 3, v158
	ds_write_b64 v39, v[11:12] offset:512
	ds_write_b64 v40, v[9:10] offset:512
	;; [unrolled: 1-line block ×3, first 2 shown]
	v_add_nc_u32_e32 v39, v74, v75
	ds_write_b64 v3, v[5:6] offset:512
	s_waitcnt lgkmcnt(0)
	s_barrier
	buffer_gl0_inv
	s_and_saveexec_b32 s40, vcc_lo
	s_cbranch_execnz .LBB942_1246
; %bb.1178:                             ;   in Loop: Header=BB942_1040 Depth=2
	s_or_b32 exec_lo, exec_lo, s40
	s_and_saveexec_b32 s40, s23
	s_cbranch_execnz .LBB942_1247
.LBB942_1179:                           ;   in Loop: Header=BB942_1040 Depth=2
	s_or_b32 exec_lo, exec_lo, s40
	s_and_saveexec_b32 s23, s24
	s_cbranch_execnz .LBB942_1248
.LBB942_1180:                           ;   in Loop: Header=BB942_1040 Depth=2
	s_or_b32 exec_lo, exec_lo, s23
	s_and_saveexec_b32 s23, s25
	s_cbranch_execnz .LBB942_1249
.LBB942_1181:                           ;   in Loop: Header=BB942_1040 Depth=2
	s_or_b32 exec_lo, exec_lo, s23
	s_and_saveexec_b32 s23, s26
	s_cbranch_execnz .LBB942_1250
.LBB942_1182:                           ;   in Loop: Header=BB942_1040 Depth=2
	s_or_b32 exec_lo, exec_lo, s23
	s_and_saveexec_b32 s23, s27
	s_cbranch_execnz .LBB942_1251
.LBB942_1183:                           ;   in Loop: Header=BB942_1040 Depth=2
	s_or_b32 exec_lo, exec_lo, s23
	s_and_saveexec_b32 s23, s28
	s_cbranch_execnz .LBB942_1252
.LBB942_1184:                           ;   in Loop: Header=BB942_1040 Depth=2
	s_or_b32 exec_lo, exec_lo, s23
	s_and_saveexec_b32 s23, s29
	s_cbranch_execnz .LBB942_1253
.LBB942_1185:                           ;   in Loop: Header=BB942_1040 Depth=2
	s_or_b32 exec_lo, exec_lo, s23
	s_and_saveexec_b32 s23, s30
	s_cbranch_execnz .LBB942_1254
.LBB942_1186:                           ;   in Loop: Header=BB942_1040 Depth=2
	s_or_b32 exec_lo, exec_lo, s23
	s_and_saveexec_b32 s23, s31
	s_cbranch_execnz .LBB942_1255
.LBB942_1187:                           ;   in Loop: Header=BB942_1040 Depth=2
	s_or_b32 exec_lo, exec_lo, s23
	s_and_saveexec_b32 s23, s33
	s_cbranch_execnz .LBB942_1256
.LBB942_1188:                           ;   in Loop: Header=BB942_1040 Depth=2
	s_or_b32 exec_lo, exec_lo, s23
	s_and_saveexec_b32 s23, s34
	s_cbranch_execnz .LBB942_1257
.LBB942_1189:                           ;   in Loop: Header=BB942_1040 Depth=2
	s_or_b32 exec_lo, exec_lo, s23
	s_and_saveexec_b32 s23, s35
	s_cbranch_execnz .LBB942_1258
.LBB942_1190:                           ;   in Loop: Header=BB942_1040 Depth=2
	s_or_b32 exec_lo, exec_lo, s23
	s_and_saveexec_b32 s23, s36
	s_cbranch_execnz .LBB942_1259
.LBB942_1191:                           ;   in Loop: Header=BB942_1040 Depth=2
	s_or_b32 exec_lo, exec_lo, s23
	s_and_saveexec_b32 s23, s37
	s_cbranch_execnz .LBB942_1260
.LBB942_1192:                           ;   in Loop: Header=BB942_1040 Depth=2
	s_or_b32 exec_lo, exec_lo, s23
	s_and_saveexec_b32 s23, s38
	s_cbranch_execnz .LBB942_1261
.LBB942_1193:                           ;   in Loop: Header=BB942_1040 Depth=2
	s_or_b32 exec_lo, exec_lo, s23
	s_and_saveexec_b32 s23, s39
	s_cbranch_execz .LBB942_1195
.LBB942_1194:                           ;   in Loop: Header=BB942_1040 Depth=2
	v_lshlrev_b32_e32 v3, 2, v136
	ds_read_b32 v3, v3
	ds_read_b64 v[39:40], v39 offset:33280
	s_waitcnt lgkmcnt(1)
	v_add_nc_u32_e32 v3, v3, v61
	v_lshlrev_b64 v[41:42], 3, v[3:4]
	v_add_co_u32 v41, vcc_lo, s54, v41
	v_add_co_ci_u32_e64 v42, null, s55, v42, vcc_lo
	s_waitcnt lgkmcnt(0)
	global_store_dwordx2 v[41:42], v[39:40], off
.LBB942_1195:                           ;   in Loop: Header=BB942_1040 Depth=2
	s_or_b32 exec_lo, exec_lo, s23
	s_waitcnt_vscnt null, 0x0
	s_barrier
	buffer_gl0_inv
	s_and_saveexec_b32 s23, s8
	s_cbranch_execz .LBB942_1039
; %bb.1196:                             ;   in Loop: Header=BB942_1040 Depth=2
	ds_read_b32 v3, v43
	s_waitcnt lgkmcnt(0)
	v_add3_u32 v3, v151, v154, v3
	ds_write_b32 v43, v3
	s_branch .LBB942_1039
.LBB942_1197:                           ;   in Loop: Header=BB942_1040 Depth=2
	ds_read_u16 v156, v74 offset:512
	s_waitcnt lgkmcnt(0)
	v_lshrrev_b32_sdwa v3, s41, v156 dst_sel:DWORD dst_unused:UNUSED_PAD src0_sel:DWORD src1_sel:WORD_0
	v_and_b32_e32 v3, s62, v3
	v_lshlrev_b32_e32 v3, 2, v3
	ds_read_b32 v3, v3
	s_waitcnt lgkmcnt(0)
	v_add_nc_u32_e32 v3, v3, v0
	v_lshlrev_b64 v[39:40], 1, v[3:4]
	v_xor_b32_e32 v3, 0x7fff, v156
	v_add_co_u32 v39, s23, s48, v39
	v_add_co_ci_u32_e64 v40, null, s49, v40, s23
	global_store_short v[39:40], v3, off
	s_or_b32 exec_lo, exec_lo, s24
	v_cmp_lt_u32_e64 s23, v44, v155
	s_and_saveexec_b32 s25, s23
	s_cbranch_execz .LBB942_1126
.LBB942_1198:                           ;   in Loop: Header=BB942_1040 Depth=2
	ds_read_u16 v156, v74 offset:1024
	s_waitcnt lgkmcnt(0)
	v_lshrrev_b32_sdwa v3, s41, v156 dst_sel:DWORD dst_unused:UNUSED_PAD src0_sel:DWORD src1_sel:WORD_0
	v_and_b32_e32 v3, s62, v3
	v_lshlrev_b32_e32 v3, 2, v3
	ds_read_b32 v3, v3
	s_waitcnt lgkmcnt(0)
	v_add_nc_u32_e32 v3, v3, v44
	v_lshlrev_b64 v[39:40], 1, v[3:4]
	v_xor_b32_e32 v3, 0x7fff, v156
	v_add_co_u32 v39, s24, s48, v39
	v_add_co_ci_u32_e64 v40, null, s49, v40, s24
	global_store_short v[39:40], v3, off
	s_or_b32 exec_lo, exec_lo, s25
	v_cmp_lt_u32_e64 s24, v47, v155
	s_and_saveexec_b32 s26, s24
	s_cbranch_execz .LBB942_1127
.LBB942_1199:                           ;   in Loop: Header=BB942_1040 Depth=2
	ds_read_u16 v156, v74 offset:1536
	s_waitcnt lgkmcnt(0)
	v_lshrrev_b32_sdwa v3, s41, v156 dst_sel:DWORD dst_unused:UNUSED_PAD src0_sel:DWORD src1_sel:WORD_0
	v_and_b32_e32 v3, s62, v3
	v_lshlrev_b32_e32 v3, 2, v3
	ds_read_b32 v3, v3
	s_waitcnt lgkmcnt(0)
	v_add_nc_u32_e32 v3, v3, v47
	v_lshlrev_b64 v[39:40], 1, v[3:4]
	v_xor_b32_e32 v3, 0x7fff, v156
	v_add_co_u32 v39, s25, s48, v39
	v_add_co_ci_u32_e64 v40, null, s49, v40, s25
	global_store_short v[39:40], v3, off
	s_or_b32 exec_lo, exec_lo, s26
	v_cmp_lt_u32_e64 s25, v48, v155
	s_and_saveexec_b32 s27, s25
	s_cbranch_execz .LBB942_1128
.LBB942_1200:                           ;   in Loop: Header=BB942_1040 Depth=2
	ds_read_u16 v156, v74 offset:2048
	s_waitcnt lgkmcnt(0)
	v_lshrrev_b32_sdwa v3, s41, v156 dst_sel:DWORD dst_unused:UNUSED_PAD src0_sel:DWORD src1_sel:WORD_0
	v_and_b32_e32 v3, s62, v3
	v_lshlrev_b32_e32 v3, 2, v3
	ds_read_b32 v3, v3
	s_waitcnt lgkmcnt(0)
	v_add_nc_u32_e32 v3, v3, v48
	v_lshlrev_b64 v[39:40], 1, v[3:4]
	v_xor_b32_e32 v3, 0x7fff, v156
	v_add_co_u32 v39, s26, s48, v39
	v_add_co_ci_u32_e64 v40, null, s49, v40, s26
	global_store_short v[39:40], v3, off
	s_or_b32 exec_lo, exec_lo, s27
	v_cmp_lt_u32_e64 s26, v49, v155
	s_and_saveexec_b32 s28, s26
	s_cbranch_execz .LBB942_1129
.LBB942_1201:                           ;   in Loop: Header=BB942_1040 Depth=2
	ds_read_u16 v156, v74 offset:2560
	s_waitcnt lgkmcnt(0)
	v_lshrrev_b32_sdwa v3, s41, v156 dst_sel:DWORD dst_unused:UNUSED_PAD src0_sel:DWORD src1_sel:WORD_0
	v_and_b32_e32 v3, s62, v3
	v_lshlrev_b32_e32 v3, 2, v3
	ds_read_b32 v3, v3
	s_waitcnt lgkmcnt(0)
	v_add_nc_u32_e32 v3, v3, v49
	v_lshlrev_b64 v[39:40], 1, v[3:4]
	v_xor_b32_e32 v3, 0x7fff, v156
	v_add_co_u32 v39, s27, s48, v39
	v_add_co_ci_u32_e64 v40, null, s49, v40, s27
	global_store_short v[39:40], v3, off
	s_or_b32 exec_lo, exec_lo, s28
	v_cmp_lt_u32_e64 s27, v50, v155
	s_and_saveexec_b32 s29, s27
	s_cbranch_execz .LBB942_1130
.LBB942_1202:                           ;   in Loop: Header=BB942_1040 Depth=2
	ds_read_u16 v156, v74 offset:3072
	s_waitcnt lgkmcnt(0)
	v_lshrrev_b32_sdwa v3, s41, v156 dst_sel:DWORD dst_unused:UNUSED_PAD src0_sel:DWORD src1_sel:WORD_0
	v_and_b32_e32 v3, s62, v3
	v_lshlrev_b32_e32 v3, 2, v3
	ds_read_b32 v3, v3
	s_waitcnt lgkmcnt(0)
	v_add_nc_u32_e32 v3, v3, v50
	v_lshlrev_b64 v[39:40], 1, v[3:4]
	v_xor_b32_e32 v3, 0x7fff, v156
	v_add_co_u32 v39, s28, s48, v39
	v_add_co_ci_u32_e64 v40, null, s49, v40, s28
	global_store_short v[39:40], v3, off
	s_or_b32 exec_lo, exec_lo, s29
	v_cmp_lt_u32_e64 s28, v51, v155
	s_and_saveexec_b32 s30, s28
	s_cbranch_execz .LBB942_1131
.LBB942_1203:                           ;   in Loop: Header=BB942_1040 Depth=2
	ds_read_u16 v156, v74 offset:3584
	s_waitcnt lgkmcnt(0)
	v_lshrrev_b32_sdwa v3, s41, v156 dst_sel:DWORD dst_unused:UNUSED_PAD src0_sel:DWORD src1_sel:WORD_0
	v_and_b32_e32 v3, s62, v3
	v_lshlrev_b32_e32 v3, 2, v3
	ds_read_b32 v3, v3
	s_waitcnt lgkmcnt(0)
	v_add_nc_u32_e32 v3, v3, v51
	v_lshlrev_b64 v[39:40], 1, v[3:4]
	v_xor_b32_e32 v3, 0x7fff, v156
	v_add_co_u32 v39, s29, s48, v39
	v_add_co_ci_u32_e64 v40, null, s49, v40, s29
	global_store_short v[39:40], v3, off
	s_or_b32 exec_lo, exec_lo, s30
	v_cmp_lt_u32_e64 s29, v52, v155
	s_and_saveexec_b32 s31, s29
	s_cbranch_execz .LBB942_1132
.LBB942_1204:                           ;   in Loop: Header=BB942_1040 Depth=2
	ds_read_u16 v156, v74 offset:4096
	s_waitcnt lgkmcnt(0)
	v_lshrrev_b32_sdwa v3, s41, v156 dst_sel:DWORD dst_unused:UNUSED_PAD src0_sel:DWORD src1_sel:WORD_0
	v_and_b32_e32 v3, s62, v3
	v_lshlrev_b32_e32 v3, 2, v3
	ds_read_b32 v3, v3
	s_waitcnt lgkmcnt(0)
	v_add_nc_u32_e32 v3, v3, v52
	v_lshlrev_b64 v[39:40], 1, v[3:4]
	v_xor_b32_e32 v3, 0x7fff, v156
	v_add_co_u32 v39, s30, s48, v39
	v_add_co_ci_u32_e64 v40, null, s49, v40, s30
	global_store_short v[39:40], v3, off
	s_or_b32 exec_lo, exec_lo, s31
	v_cmp_lt_u32_e64 s30, v53, v155
	s_and_saveexec_b32 s33, s30
	s_cbranch_execz .LBB942_1133
.LBB942_1205:                           ;   in Loop: Header=BB942_1040 Depth=2
	ds_read_u16 v156, v74 offset:4608
	s_waitcnt lgkmcnt(0)
	v_lshrrev_b32_sdwa v3, s41, v156 dst_sel:DWORD dst_unused:UNUSED_PAD src0_sel:DWORD src1_sel:WORD_0
	v_and_b32_e32 v3, s62, v3
	v_lshlrev_b32_e32 v3, 2, v3
	ds_read_b32 v3, v3
	s_waitcnt lgkmcnt(0)
	v_add_nc_u32_e32 v3, v3, v53
	v_lshlrev_b64 v[39:40], 1, v[3:4]
	v_xor_b32_e32 v3, 0x7fff, v156
	v_add_co_u32 v39, s31, s48, v39
	v_add_co_ci_u32_e64 v40, null, s49, v40, s31
	global_store_short v[39:40], v3, off
	s_or_b32 exec_lo, exec_lo, s33
	v_cmp_lt_u32_e64 s31, v54, v155
	s_and_saveexec_b32 s34, s31
	s_cbranch_execz .LBB942_1134
.LBB942_1206:                           ;   in Loop: Header=BB942_1040 Depth=2
	ds_read_u16 v156, v74 offset:5120
	s_waitcnt lgkmcnt(0)
	v_lshrrev_b32_sdwa v3, s41, v156 dst_sel:DWORD dst_unused:UNUSED_PAD src0_sel:DWORD src1_sel:WORD_0
	v_and_b32_e32 v3, s62, v3
	v_lshlrev_b32_e32 v3, 2, v3
	ds_read_b32 v3, v3
	s_waitcnt lgkmcnt(0)
	v_add_nc_u32_e32 v3, v3, v54
	v_lshlrev_b64 v[39:40], 1, v[3:4]
	v_xor_b32_e32 v3, 0x7fff, v156
	v_add_co_u32 v39, s33, s48, v39
	v_add_co_ci_u32_e64 v40, null, s49, v40, s33
	global_store_short v[39:40], v3, off
	s_or_b32 exec_lo, exec_lo, s34
	v_cmp_lt_u32_e64 s33, v55, v155
	s_and_saveexec_b32 s35, s33
	s_cbranch_execz .LBB942_1135
.LBB942_1207:                           ;   in Loop: Header=BB942_1040 Depth=2
	ds_read_u16 v156, v74 offset:5632
	s_waitcnt lgkmcnt(0)
	v_lshrrev_b32_sdwa v3, s41, v156 dst_sel:DWORD dst_unused:UNUSED_PAD src0_sel:DWORD src1_sel:WORD_0
	v_and_b32_e32 v3, s62, v3
	v_lshlrev_b32_e32 v3, 2, v3
	ds_read_b32 v3, v3
	s_waitcnt lgkmcnt(0)
	v_add_nc_u32_e32 v3, v3, v55
	v_lshlrev_b64 v[39:40], 1, v[3:4]
	v_xor_b32_e32 v3, 0x7fff, v156
	v_add_co_u32 v39, s34, s48, v39
	v_add_co_ci_u32_e64 v40, null, s49, v40, s34
	global_store_short v[39:40], v3, off
	s_or_b32 exec_lo, exec_lo, s35
	v_cmp_lt_u32_e64 s34, v56, v155
	s_and_saveexec_b32 s36, s34
	s_cbranch_execz .LBB942_1136
.LBB942_1208:                           ;   in Loop: Header=BB942_1040 Depth=2
	ds_read_u16 v156, v74 offset:6144
	s_waitcnt lgkmcnt(0)
	v_lshrrev_b32_sdwa v3, s41, v156 dst_sel:DWORD dst_unused:UNUSED_PAD src0_sel:DWORD src1_sel:WORD_0
	v_and_b32_e32 v3, s62, v3
	v_lshlrev_b32_e32 v3, 2, v3
	ds_read_b32 v3, v3
	s_waitcnt lgkmcnt(0)
	v_add_nc_u32_e32 v3, v3, v56
	v_lshlrev_b64 v[39:40], 1, v[3:4]
	v_xor_b32_e32 v3, 0x7fff, v156
	v_add_co_u32 v39, s35, s48, v39
	v_add_co_ci_u32_e64 v40, null, s49, v40, s35
	global_store_short v[39:40], v3, off
	s_or_b32 exec_lo, exec_lo, s36
	v_cmp_lt_u32_e64 s35, v57, v155
	s_and_saveexec_b32 s37, s35
	s_cbranch_execz .LBB942_1137
.LBB942_1209:                           ;   in Loop: Header=BB942_1040 Depth=2
	ds_read_u16 v156, v74 offset:6656
	s_waitcnt lgkmcnt(0)
	v_lshrrev_b32_sdwa v3, s41, v156 dst_sel:DWORD dst_unused:UNUSED_PAD src0_sel:DWORD src1_sel:WORD_0
	v_and_b32_e32 v3, s62, v3
	v_lshlrev_b32_e32 v3, 2, v3
	ds_read_b32 v3, v3
	s_waitcnt lgkmcnt(0)
	v_add_nc_u32_e32 v3, v3, v57
	v_lshlrev_b64 v[39:40], 1, v[3:4]
	v_xor_b32_e32 v3, 0x7fff, v156
	v_add_co_u32 v39, s36, s48, v39
	v_add_co_ci_u32_e64 v40, null, s49, v40, s36
	global_store_short v[39:40], v3, off
	s_or_b32 exec_lo, exec_lo, s37
	v_cmp_lt_u32_e64 s36, v58, v155
	s_and_saveexec_b32 s38, s36
	s_cbranch_execz .LBB942_1138
.LBB942_1210:                           ;   in Loop: Header=BB942_1040 Depth=2
	ds_read_u16 v156, v74 offset:7168
	s_waitcnt lgkmcnt(0)
	v_lshrrev_b32_sdwa v3, s41, v156 dst_sel:DWORD dst_unused:UNUSED_PAD src0_sel:DWORD src1_sel:WORD_0
	v_and_b32_e32 v3, s62, v3
	v_lshlrev_b32_e32 v3, 2, v3
	ds_read_b32 v3, v3
	s_waitcnt lgkmcnt(0)
	v_add_nc_u32_e32 v3, v3, v58
	v_lshlrev_b64 v[39:40], 1, v[3:4]
	v_xor_b32_e32 v3, 0x7fff, v156
	v_add_co_u32 v39, s37, s48, v39
	v_add_co_ci_u32_e64 v40, null, s49, v40, s37
	global_store_short v[39:40], v3, off
	s_or_b32 exec_lo, exec_lo, s38
	v_cmp_lt_u32_e64 s37, v59, v155
	s_and_saveexec_b32 s39, s37
	s_cbranch_execz .LBB942_1139
.LBB942_1211:                           ;   in Loop: Header=BB942_1040 Depth=2
	ds_read_u16 v156, v74 offset:7680
	s_waitcnt lgkmcnt(0)
	v_lshrrev_b32_sdwa v3, s41, v156 dst_sel:DWORD dst_unused:UNUSED_PAD src0_sel:DWORD src1_sel:WORD_0
	v_and_b32_e32 v3, s62, v3
	v_lshlrev_b32_e32 v3, 2, v3
	ds_read_b32 v3, v3
	s_waitcnt lgkmcnt(0)
	v_add_nc_u32_e32 v3, v3, v59
	v_lshlrev_b64 v[39:40], 1, v[3:4]
	v_xor_b32_e32 v3, 0x7fff, v156
	v_add_co_u32 v39, s38, s48, v39
	v_add_co_ci_u32_e64 v40, null, s49, v40, s38
	global_store_short v[39:40], v3, off
	s_or_b32 exec_lo, exec_lo, s39
	v_cmp_lt_u32_e64 s38, v60, v155
	s_and_saveexec_b32 s40, s38
	s_cbranch_execz .LBB942_1140
.LBB942_1212:                           ;   in Loop: Header=BB942_1040 Depth=2
	ds_read_u16 v156, v74 offset:8192
	s_waitcnt lgkmcnt(0)
	v_lshrrev_b32_sdwa v3, s41, v156 dst_sel:DWORD dst_unused:UNUSED_PAD src0_sel:DWORD src1_sel:WORD_0
	v_and_b32_e32 v3, s62, v3
	v_lshlrev_b32_e32 v3, 2, v3
	ds_read_b32 v3, v3
	s_waitcnt lgkmcnt(0)
	v_add_nc_u32_e32 v3, v3, v60
	v_lshlrev_b64 v[39:40], 1, v[3:4]
	v_xor_b32_e32 v3, 0x7fff, v156
	v_add_co_u32 v39, s39, s48, v39
	v_add_co_ci_u32_e64 v40, null, s49, v40, s39
	global_store_short v[39:40], v3, off
	s_or_b32 exec_lo, exec_lo, s40
	v_cmp_lt_u32_e64 s39, v61, v155
	s_and_saveexec_b32 s65, s39
	s_cbranch_execnz .LBB942_1141
	s_branch .LBB942_1142
.LBB942_1213:                           ;   in Loop: Header=BB942_1040 Depth=2
	global_load_dwordx2 v[37:38], v[39:40], off
	s_or_b32 exec_lo, exec_lo, s40
	s_mov_b32 s50, exec_lo
	v_cmpx_lt_u32_e64 v98, v155
	s_cbranch_execz .LBB942_1144
.LBB942_1214:                           ;   in Loop: Header=BB942_1040 Depth=2
	global_load_dwordx2 v[35:36], v[39:40], off offset:256
	s_or_b32 exec_lo, exec_lo, s50
	s_mov_b32 s50, exec_lo
	v_cmpx_lt_u32_e64 v99, v155
	s_cbranch_execz .LBB942_1145
.LBB942_1215:                           ;   in Loop: Header=BB942_1040 Depth=2
	global_load_dwordx2 v[33:34], v[39:40], off offset:512
	s_or_b32 exec_lo, exec_lo, s50
	s_mov_b32 s50, exec_lo
	v_cmpx_lt_u32_e64 v100, v155
	s_cbranch_execz .LBB942_1146
.LBB942_1216:                           ;   in Loop: Header=BB942_1040 Depth=2
	global_load_dwordx2 v[31:32], v[39:40], off offset:768
	s_or_b32 exec_lo, exec_lo, s50
	s_mov_b32 s50, exec_lo
	v_cmpx_lt_u32_e64 v101, v155
	s_cbranch_execz .LBB942_1147
.LBB942_1217:                           ;   in Loop: Header=BB942_1040 Depth=2
	global_load_dwordx2 v[29:30], v[39:40], off offset:1024
	s_or_b32 exec_lo, exec_lo, s50
	s_mov_b32 s50, exec_lo
	v_cmpx_lt_u32_e64 v102, v155
	s_cbranch_execz .LBB942_1148
.LBB942_1218:                           ;   in Loop: Header=BB942_1040 Depth=2
	global_load_dwordx2 v[25:26], v[39:40], off offset:1280
	s_or_b32 exec_lo, exec_lo, s50
	s_mov_b32 s50, exec_lo
	v_cmpx_lt_u32_e64 v103, v155
	s_cbranch_execz .LBB942_1149
.LBB942_1219:                           ;   in Loop: Header=BB942_1040 Depth=2
	global_load_dwordx2 v[21:22], v[39:40], off offset:1536
	s_or_b32 exec_lo, exec_lo, s50
	s_mov_b32 s50, exec_lo
	v_cmpx_lt_u32_e64 v104, v155
	s_cbranch_execz .LBB942_1150
.LBB942_1220:                           ;   in Loop: Header=BB942_1040 Depth=2
	global_load_dwordx2 v[17:18], v[39:40], off offset:1792
	s_or_b32 exec_lo, exec_lo, s50
	s_mov_b32 s50, exec_lo
	v_cmpx_lt_u32_e64 v105, v155
	s_cbranch_execz .LBB942_1151
.LBB942_1221:                           ;   in Loop: Header=BB942_1040 Depth=2
	v_add_co_u32 v27, s40, 0x800, v39
	v_add_co_ci_u32_e64 v28, null, 0, v40, s40
	global_load_dwordx2 v[27:28], v[27:28], off
	s_or_b32 exec_lo, exec_lo, s50
	s_mov_b32 s50, exec_lo
	v_cmpx_lt_u32_e64 v106, v155
	s_cbranch_execz .LBB942_1152
.LBB942_1222:                           ;   in Loop: Header=BB942_1040 Depth=2
	v_add_co_u32 v23, s40, 0x800, v39
	v_add_co_ci_u32_e64 v24, null, 0, v40, s40
	global_load_dwordx2 v[23:24], v[23:24], off offset:256
	s_or_b32 exec_lo, exec_lo, s50
	s_mov_b32 s50, exec_lo
	v_cmpx_lt_u32_e64 v107, v155
	s_cbranch_execz .LBB942_1153
.LBB942_1223:                           ;   in Loop: Header=BB942_1040 Depth=2
	v_add_co_u32 v19, s40, 0x800, v39
	v_add_co_ci_u32_e64 v20, null, 0, v40, s40
	global_load_dwordx2 v[19:20], v[19:20], off offset:512
	s_or_b32 exec_lo, exec_lo, s50
	s_mov_b32 s50, exec_lo
	v_cmpx_lt_u32_e64 v108, v155
	s_cbranch_execz .LBB942_1154
.LBB942_1224:                           ;   in Loop: Header=BB942_1040 Depth=2
	v_add_co_u32 v15, s40, 0x800, v39
	v_add_co_ci_u32_e64 v16, null, 0, v40, s40
	global_load_dwordx2 v[15:16], v[15:16], off offset:768
	s_or_b32 exec_lo, exec_lo, s50
	s_mov_b32 s50, exec_lo
	v_cmpx_lt_u32_e64 v128, v155
	s_cbranch_execz .LBB942_1155
.LBB942_1225:                           ;   in Loop: Header=BB942_1040 Depth=2
	v_add_co_u32 v13, s40, 0x800, v39
	v_add_co_ci_u32_e64 v14, null, 0, v40, s40
	global_load_dwordx2 v[13:14], v[13:14], off offset:1024
	s_or_b32 exec_lo, exec_lo, s50
	s_mov_b32 s50, exec_lo
	v_cmpx_lt_u32_e64 v129, v155
	s_cbranch_execz .LBB942_1156
.LBB942_1226:                           ;   in Loop: Header=BB942_1040 Depth=2
	v_add_co_u32 v11, s40, 0x800, v39
	v_add_co_ci_u32_e64 v12, null, 0, v40, s40
	global_load_dwordx2 v[11:12], v[11:12], off offset:1280
	s_or_b32 exec_lo, exec_lo, s50
	s_mov_b32 s50, exec_lo
	v_cmpx_lt_u32_e64 v130, v155
	s_cbranch_execz .LBB942_1157
.LBB942_1227:                           ;   in Loop: Header=BB942_1040 Depth=2
	v_add_co_u32 v9, s40, 0x800, v39
	v_add_co_ci_u32_e64 v10, null, 0, v40, s40
	global_load_dwordx2 v[9:10], v[9:10], off offset:1536
	s_or_b32 exec_lo, exec_lo, s50
	s_mov_b32 s50, exec_lo
	v_cmpx_lt_u32_e64 v131, v155
	s_cbranch_execz .LBB942_1158
.LBB942_1228:                           ;   in Loop: Header=BB942_1040 Depth=2
	v_add_co_u32 v7, s40, 0x800, v39
	v_add_co_ci_u32_e64 v8, null, 0, v40, s40
	global_load_dwordx2 v[7:8], v[7:8], off offset:1792
	s_or_b32 exec_lo, exec_lo, s50
	s_mov_b32 s50, exec_lo
	v_cmpx_lt_u32_e64 v132, v155
	s_cbranch_execz .LBB942_1159
.LBB942_1229:                           ;   in Loop: Header=BB942_1040 Depth=2
	v_add_co_u32 v5, s40, 0x1000, v39
	v_add_co_ci_u32_e64 v6, null, 0, v40, s40
	global_load_dwordx2 v[5:6], v[5:6], off
	s_or_b32 exec_lo, exec_lo, s50
	s_and_saveexec_b32 s40, vcc_lo
	s_cbranch_execz .LBB942_1160
.LBB942_1230:                           ;   in Loop: Header=BB942_1040 Depth=2
	ds_read_u16 v3, v74 offset:512
	s_waitcnt lgkmcnt(0)
	v_lshrrev_b32_e32 v3, s41, v3
	v_and_b32_e32 v153, s62, v3
	s_or_b32 exec_lo, exec_lo, s40
	s_and_saveexec_b32 s40, s23
	s_cbranch_execz .LBB942_1161
.LBB942_1231:                           ;   in Loop: Header=BB942_1040 Depth=2
	ds_read_u16 v3, v74 offset:1024
	s_waitcnt lgkmcnt(0)
	v_lshrrev_b32_e32 v3, s41, v3
	v_and_b32_e32 v152, s62, v3
	s_or_b32 exec_lo, exec_lo, s40
	s_and_saveexec_b32 s40, s24
	s_cbranch_execz .LBB942_1162
.LBB942_1232:                           ;   in Loop: Header=BB942_1040 Depth=2
	ds_read_u16 v3, v74 offset:1536
	s_waitcnt lgkmcnt(0)
	v_lshrrev_b32_e32 v3, s41, v3
	v_and_b32_e32 v150, s62, v3
	s_or_b32 exec_lo, exec_lo, s40
	s_and_saveexec_b32 s40, s25
	s_cbranch_execz .LBB942_1163
.LBB942_1233:                           ;   in Loop: Header=BB942_1040 Depth=2
	ds_read_u16 v3, v74 offset:2048
	s_waitcnt lgkmcnt(0)
	v_lshrrev_b32_e32 v3, s41, v3
	v_and_b32_e32 v149, s62, v3
	s_or_b32 exec_lo, exec_lo, s40
	s_and_saveexec_b32 s40, s26
	s_cbranch_execz .LBB942_1164
.LBB942_1234:                           ;   in Loop: Header=BB942_1040 Depth=2
	ds_read_u16 v3, v74 offset:2560
	s_waitcnt lgkmcnt(0)
	v_lshrrev_b32_e32 v3, s41, v3
	v_and_b32_e32 v148, s62, v3
	s_or_b32 exec_lo, exec_lo, s40
	s_and_saveexec_b32 s40, s27
	s_cbranch_execz .LBB942_1165
.LBB942_1235:                           ;   in Loop: Header=BB942_1040 Depth=2
	ds_read_u16 v3, v74 offset:3072
	s_waitcnt lgkmcnt(0)
	v_lshrrev_b32_e32 v3, s41, v3
	v_and_b32_e32 v147, s62, v3
	s_or_b32 exec_lo, exec_lo, s40
	s_and_saveexec_b32 s40, s28
	s_cbranch_execz .LBB942_1166
.LBB942_1236:                           ;   in Loop: Header=BB942_1040 Depth=2
	ds_read_u16 v3, v74 offset:3584
	s_waitcnt lgkmcnt(0)
	v_lshrrev_b32_e32 v3, s41, v3
	v_and_b32_e32 v146, s62, v3
	s_or_b32 exec_lo, exec_lo, s40
	s_and_saveexec_b32 s40, s29
	s_cbranch_execz .LBB942_1167
.LBB942_1237:                           ;   in Loop: Header=BB942_1040 Depth=2
	ds_read_u16 v3, v74 offset:4096
	s_waitcnt lgkmcnt(0)
	v_lshrrev_b32_e32 v3, s41, v3
	v_and_b32_e32 v145, s62, v3
	s_or_b32 exec_lo, exec_lo, s40
	s_and_saveexec_b32 s40, s30
	s_cbranch_execz .LBB942_1168
.LBB942_1238:                           ;   in Loop: Header=BB942_1040 Depth=2
	ds_read_u16 v3, v74 offset:4608
	s_waitcnt lgkmcnt(0)
	v_lshrrev_b32_e32 v3, s41, v3
	v_and_b32_e32 v144, s62, v3
	s_or_b32 exec_lo, exec_lo, s40
	s_and_saveexec_b32 s40, s31
	s_cbranch_execz .LBB942_1169
.LBB942_1239:                           ;   in Loop: Header=BB942_1040 Depth=2
	ds_read_u16 v3, v74 offset:5120
	s_waitcnt lgkmcnt(0)
	v_lshrrev_b32_e32 v3, s41, v3
	v_and_b32_e32 v143, s62, v3
	s_or_b32 exec_lo, exec_lo, s40
	s_and_saveexec_b32 s40, s33
	s_cbranch_execz .LBB942_1170
.LBB942_1240:                           ;   in Loop: Header=BB942_1040 Depth=2
	ds_read_u16 v3, v74 offset:5632
	s_waitcnt lgkmcnt(0)
	v_lshrrev_b32_e32 v3, s41, v3
	v_and_b32_e32 v142, s62, v3
	s_or_b32 exec_lo, exec_lo, s40
	s_and_saveexec_b32 s40, s34
	s_cbranch_execz .LBB942_1171
.LBB942_1241:                           ;   in Loop: Header=BB942_1040 Depth=2
	ds_read_u16 v3, v74 offset:6144
	s_waitcnt lgkmcnt(0)
	v_lshrrev_b32_e32 v3, s41, v3
	v_and_b32_e32 v141, s62, v3
	s_or_b32 exec_lo, exec_lo, s40
	s_and_saveexec_b32 s40, s35
	s_cbranch_execz .LBB942_1172
.LBB942_1242:                           ;   in Loop: Header=BB942_1040 Depth=2
	ds_read_u16 v3, v74 offset:6656
	s_waitcnt lgkmcnt(0)
	v_lshrrev_b32_e32 v3, s41, v3
	v_and_b32_e32 v140, s62, v3
	s_or_b32 exec_lo, exec_lo, s40
	s_and_saveexec_b32 s40, s36
	s_cbranch_execz .LBB942_1173
.LBB942_1243:                           ;   in Loop: Header=BB942_1040 Depth=2
	ds_read_u16 v3, v74 offset:7168
	s_waitcnt lgkmcnt(0)
	v_lshrrev_b32_e32 v3, s41, v3
	v_and_b32_e32 v139, s62, v3
	s_or_b32 exec_lo, exec_lo, s40
	s_and_saveexec_b32 s40, s37
	s_cbranch_execz .LBB942_1174
.LBB942_1244:                           ;   in Loop: Header=BB942_1040 Depth=2
	ds_read_u16 v3, v74 offset:7680
	s_waitcnt lgkmcnt(0)
	v_lshrrev_b32_e32 v3, s41, v3
	v_and_b32_e32 v138, s62, v3
	s_or_b32 exec_lo, exec_lo, s40
	s_and_saveexec_b32 s40, s38
	s_cbranch_execz .LBB942_1175
.LBB942_1245:                           ;   in Loop: Header=BB942_1040 Depth=2
	ds_read_u16 v3, v74 offset:8192
	s_waitcnt lgkmcnt(0)
	v_lshrrev_b32_e32 v3, s41, v3
	v_and_b32_e32 v137, s62, v3
	s_or_b32 exec_lo, exec_lo, s40
	s_and_saveexec_b32 s40, s39
	s_cbranch_execnz .LBB942_1176
	s_branch .LBB942_1177
.LBB942_1246:                           ;   in Loop: Header=BB942_1040 Depth=2
	v_lshlrev_b32_e32 v3, 2, v153
	ds_read_b32 v3, v3
	ds_read_b64 v[40:41], v39 offset:512
	s_waitcnt lgkmcnt(1)
	v_add_nc_u32_e32 v3, v3, v0
	v_lshlrev_b64 v[155:156], 3, v[3:4]
	v_add_co_u32 v155, vcc_lo, s54, v155
	v_add_co_ci_u32_e64 v156, null, s55, v156, vcc_lo
	s_waitcnt lgkmcnt(0)
	global_store_dwordx2 v[155:156], v[40:41], off
	s_or_b32 exec_lo, exec_lo, s40
	s_and_saveexec_b32 s40, s23
	s_cbranch_execz .LBB942_1179
.LBB942_1247:                           ;   in Loop: Header=BB942_1040 Depth=2
	v_lshlrev_b32_e32 v3, 2, v152
	ds_read_b32 v3, v3
	ds_read_b64 v[40:41], v39 offset:2560
	s_waitcnt lgkmcnt(1)
	v_add_nc_u32_e32 v3, v3, v44
	v_lshlrev_b64 v[155:156], 3, v[3:4]
	v_add_co_u32 v155, vcc_lo, s54, v155
	v_add_co_ci_u32_e64 v156, null, s55, v156, vcc_lo
	s_waitcnt lgkmcnt(0)
	global_store_dwordx2 v[155:156], v[40:41], off
	s_or_b32 exec_lo, exec_lo, s40
	s_and_saveexec_b32 s23, s24
	s_cbranch_execz .LBB942_1180
.LBB942_1248:                           ;   in Loop: Header=BB942_1040 Depth=2
	v_lshlrev_b32_e32 v3, 2, v150
	ds_read_b32 v3, v3
	ds_read_b64 v[40:41], v39 offset:4608
	s_waitcnt lgkmcnt(1)
	v_add_nc_u32_e32 v3, v3, v47
	v_lshlrev_b64 v[155:156], 3, v[3:4]
	v_add_co_u32 v155, vcc_lo, s54, v155
	v_add_co_ci_u32_e64 v156, null, s55, v156, vcc_lo
	s_waitcnt lgkmcnt(0)
	global_store_dwordx2 v[155:156], v[40:41], off
	s_or_b32 exec_lo, exec_lo, s23
	s_and_saveexec_b32 s23, s25
	s_cbranch_execz .LBB942_1181
.LBB942_1249:                           ;   in Loop: Header=BB942_1040 Depth=2
	v_lshlrev_b32_e32 v3, 2, v149
	ds_read_b32 v3, v3
	ds_read_b64 v[40:41], v39 offset:6656
	s_waitcnt lgkmcnt(1)
	v_add_nc_u32_e32 v3, v3, v48
	v_lshlrev_b64 v[155:156], 3, v[3:4]
	v_add_co_u32 v155, vcc_lo, s54, v155
	v_add_co_ci_u32_e64 v156, null, s55, v156, vcc_lo
	s_waitcnt lgkmcnt(0)
	global_store_dwordx2 v[155:156], v[40:41], off
	s_or_b32 exec_lo, exec_lo, s23
	s_and_saveexec_b32 s23, s26
	s_cbranch_execz .LBB942_1182
.LBB942_1250:                           ;   in Loop: Header=BB942_1040 Depth=2
	v_lshlrev_b32_e32 v3, 2, v148
	ds_read_b32 v3, v3
	ds_read_b64 v[40:41], v39 offset:8704
	s_waitcnt lgkmcnt(1)
	v_add_nc_u32_e32 v3, v3, v49
	v_lshlrev_b64 v[155:156], 3, v[3:4]
	v_add_co_u32 v155, vcc_lo, s54, v155
	v_add_co_ci_u32_e64 v156, null, s55, v156, vcc_lo
	s_waitcnt lgkmcnt(0)
	global_store_dwordx2 v[155:156], v[40:41], off
	s_or_b32 exec_lo, exec_lo, s23
	s_and_saveexec_b32 s23, s27
	s_cbranch_execz .LBB942_1183
.LBB942_1251:                           ;   in Loop: Header=BB942_1040 Depth=2
	v_lshlrev_b32_e32 v3, 2, v147
	ds_read_b32 v3, v3
	ds_read_b64 v[40:41], v39 offset:10752
	s_waitcnt lgkmcnt(1)
	v_add_nc_u32_e32 v3, v3, v50
	v_lshlrev_b64 v[155:156], 3, v[3:4]
	v_add_co_u32 v155, vcc_lo, s54, v155
	v_add_co_ci_u32_e64 v156, null, s55, v156, vcc_lo
	s_waitcnt lgkmcnt(0)
	global_store_dwordx2 v[155:156], v[40:41], off
	s_or_b32 exec_lo, exec_lo, s23
	s_and_saveexec_b32 s23, s28
	s_cbranch_execz .LBB942_1184
.LBB942_1252:                           ;   in Loop: Header=BB942_1040 Depth=2
	v_lshlrev_b32_e32 v3, 2, v146
	ds_read_b32 v3, v3
	ds_read_b64 v[40:41], v39 offset:12800
	s_waitcnt lgkmcnt(1)
	v_add_nc_u32_e32 v3, v3, v51
	v_lshlrev_b64 v[155:156], 3, v[3:4]
	v_add_co_u32 v155, vcc_lo, s54, v155
	v_add_co_ci_u32_e64 v156, null, s55, v156, vcc_lo
	s_waitcnt lgkmcnt(0)
	global_store_dwordx2 v[155:156], v[40:41], off
	s_or_b32 exec_lo, exec_lo, s23
	s_and_saveexec_b32 s23, s29
	s_cbranch_execz .LBB942_1185
.LBB942_1253:                           ;   in Loop: Header=BB942_1040 Depth=2
	v_lshlrev_b32_e32 v3, 2, v145
	ds_read_b32 v3, v3
	ds_read_b64 v[40:41], v39 offset:14848
	s_waitcnt lgkmcnt(1)
	v_add_nc_u32_e32 v3, v3, v52
	v_lshlrev_b64 v[155:156], 3, v[3:4]
	v_add_co_u32 v155, vcc_lo, s54, v155
	v_add_co_ci_u32_e64 v156, null, s55, v156, vcc_lo
	s_waitcnt lgkmcnt(0)
	global_store_dwordx2 v[155:156], v[40:41], off
	s_or_b32 exec_lo, exec_lo, s23
	s_and_saveexec_b32 s23, s30
	s_cbranch_execz .LBB942_1186
.LBB942_1254:                           ;   in Loop: Header=BB942_1040 Depth=2
	v_lshlrev_b32_e32 v3, 2, v144
	ds_read_b32 v3, v3
	ds_read_b64 v[40:41], v39 offset:16896
	s_waitcnt lgkmcnt(1)
	v_add_nc_u32_e32 v3, v3, v53
	v_lshlrev_b64 v[155:156], 3, v[3:4]
	v_add_co_u32 v155, vcc_lo, s54, v155
	v_add_co_ci_u32_e64 v156, null, s55, v156, vcc_lo
	s_waitcnt lgkmcnt(0)
	global_store_dwordx2 v[155:156], v[40:41], off
	s_or_b32 exec_lo, exec_lo, s23
	s_and_saveexec_b32 s23, s31
	s_cbranch_execz .LBB942_1187
.LBB942_1255:                           ;   in Loop: Header=BB942_1040 Depth=2
	v_lshlrev_b32_e32 v3, 2, v143
	ds_read_b32 v3, v3
	ds_read_b64 v[40:41], v39 offset:18944
	s_waitcnt lgkmcnt(1)
	v_add_nc_u32_e32 v3, v3, v54
	v_lshlrev_b64 v[155:156], 3, v[3:4]
	v_add_co_u32 v155, vcc_lo, s54, v155
	v_add_co_ci_u32_e64 v156, null, s55, v156, vcc_lo
	s_waitcnt lgkmcnt(0)
	global_store_dwordx2 v[155:156], v[40:41], off
	s_or_b32 exec_lo, exec_lo, s23
	s_and_saveexec_b32 s23, s33
	s_cbranch_execz .LBB942_1188
.LBB942_1256:                           ;   in Loop: Header=BB942_1040 Depth=2
	v_lshlrev_b32_e32 v3, 2, v142
	ds_read_b32 v3, v3
	ds_read_b64 v[40:41], v39 offset:20992
	s_waitcnt lgkmcnt(1)
	v_add_nc_u32_e32 v3, v3, v55
	v_lshlrev_b64 v[155:156], 3, v[3:4]
	v_add_co_u32 v155, vcc_lo, s54, v155
	v_add_co_ci_u32_e64 v156, null, s55, v156, vcc_lo
	s_waitcnt lgkmcnt(0)
	global_store_dwordx2 v[155:156], v[40:41], off
	s_or_b32 exec_lo, exec_lo, s23
	s_and_saveexec_b32 s23, s34
	s_cbranch_execz .LBB942_1189
.LBB942_1257:                           ;   in Loop: Header=BB942_1040 Depth=2
	v_lshlrev_b32_e32 v3, 2, v141
	ds_read_b32 v3, v3
	ds_read_b64 v[40:41], v39 offset:23040
	s_waitcnt lgkmcnt(1)
	v_add_nc_u32_e32 v3, v3, v56
	v_lshlrev_b64 v[155:156], 3, v[3:4]
	v_add_co_u32 v155, vcc_lo, s54, v155
	v_add_co_ci_u32_e64 v156, null, s55, v156, vcc_lo
	s_waitcnt lgkmcnt(0)
	global_store_dwordx2 v[155:156], v[40:41], off
	s_or_b32 exec_lo, exec_lo, s23
	s_and_saveexec_b32 s23, s35
	s_cbranch_execz .LBB942_1190
.LBB942_1258:                           ;   in Loop: Header=BB942_1040 Depth=2
	v_lshlrev_b32_e32 v3, 2, v140
	ds_read_b32 v3, v3
	ds_read_b64 v[40:41], v39 offset:25088
	s_waitcnt lgkmcnt(1)
	v_add_nc_u32_e32 v3, v3, v57
	v_lshlrev_b64 v[155:156], 3, v[3:4]
	v_add_co_u32 v155, vcc_lo, s54, v155
	v_add_co_ci_u32_e64 v156, null, s55, v156, vcc_lo
	s_waitcnt lgkmcnt(0)
	global_store_dwordx2 v[155:156], v[40:41], off
	s_or_b32 exec_lo, exec_lo, s23
	s_and_saveexec_b32 s23, s36
	s_cbranch_execz .LBB942_1191
.LBB942_1259:                           ;   in Loop: Header=BB942_1040 Depth=2
	v_lshlrev_b32_e32 v3, 2, v139
	ds_read_b32 v3, v3
	ds_read_b64 v[40:41], v39 offset:27136
	s_waitcnt lgkmcnt(1)
	v_add_nc_u32_e32 v3, v3, v58
	v_lshlrev_b64 v[155:156], 3, v[3:4]
	v_add_co_u32 v155, vcc_lo, s54, v155
	v_add_co_ci_u32_e64 v156, null, s55, v156, vcc_lo
	s_waitcnt lgkmcnt(0)
	global_store_dwordx2 v[155:156], v[40:41], off
	s_or_b32 exec_lo, exec_lo, s23
	s_and_saveexec_b32 s23, s37
	s_cbranch_execz .LBB942_1192
.LBB942_1260:                           ;   in Loop: Header=BB942_1040 Depth=2
	v_lshlrev_b32_e32 v3, 2, v138
	ds_read_b32 v3, v3
	ds_read_b64 v[40:41], v39 offset:29184
	s_waitcnt lgkmcnt(1)
	v_add_nc_u32_e32 v3, v3, v59
	v_lshlrev_b64 v[155:156], 3, v[3:4]
	v_add_co_u32 v155, vcc_lo, s54, v155
	v_add_co_ci_u32_e64 v156, null, s55, v156, vcc_lo
	s_waitcnt lgkmcnt(0)
	global_store_dwordx2 v[155:156], v[40:41], off
	s_or_b32 exec_lo, exec_lo, s23
	s_and_saveexec_b32 s23, s38
	s_cbranch_execz .LBB942_1193
.LBB942_1261:                           ;   in Loop: Header=BB942_1040 Depth=2
	v_lshlrev_b32_e32 v3, 2, v137
	ds_read_b32 v3, v3
	ds_read_b64 v[40:41], v39 offset:31232
	s_waitcnt lgkmcnt(1)
	v_add_nc_u32_e32 v3, v3, v60
	v_lshlrev_b64 v[155:156], 3, v[3:4]
	v_add_co_u32 v155, vcc_lo, s54, v155
	v_add_co_ci_u32_e64 v156, null, s55, v156, vcc_lo
	s_waitcnt lgkmcnt(0)
	global_store_dwordx2 v[155:156], v[40:41], off
	s_or_b32 exec_lo, exec_lo, s23
	s_and_saveexec_b32 s23, s39
	s_cbranch_execnz .LBB942_1194
	s_branch .LBB942_1195
.LBB942_1262:
	s_endpgm
	.section	.rodata,"a",@progbits
	.p2align	6, 0x0
	.amdhsa_kernel _ZN7rocprim17ROCPRIM_400000_NS6detail17trampoline_kernelINS0_14default_configENS1_36segmented_radix_sort_config_selectorIslEEZNS1_25segmented_radix_sort_implIS3_Lb1EPKsPsPKlPlN2at6native12_GLOBAL__N_18offset_tEEE10hipError_tPvRmT1_PNSt15iterator_traitsISK_E10value_typeET2_T3_PNSL_ISQ_E10value_typeET4_jRbjT5_SW_jjP12ihipStream_tbEUlT_E2_NS1_11comp_targetILNS1_3genE8ELNS1_11target_archE1030ELNS1_3gpuE2ELNS1_3repE0EEENS1_30default_config_static_selectorELNS0_4arch9wavefront6targetE0EEEvSK_
		.amdhsa_group_segment_fixed_size 35344
		.amdhsa_private_segment_fixed_size 196
		.amdhsa_kernarg_size 336
		.amdhsa_user_sgpr_count 6
		.amdhsa_user_sgpr_private_segment_buffer 1
		.amdhsa_user_sgpr_dispatch_ptr 0
		.amdhsa_user_sgpr_queue_ptr 0
		.amdhsa_user_sgpr_kernarg_segment_ptr 1
		.amdhsa_user_sgpr_dispatch_id 0
		.amdhsa_user_sgpr_flat_scratch_init 0
		.amdhsa_user_sgpr_private_segment_size 0
		.amdhsa_wavefront_size32 1
		.amdhsa_uses_dynamic_stack 0
		.amdhsa_system_sgpr_private_segment_wavefront_offset 1
		.amdhsa_system_sgpr_workgroup_id_x 1
		.amdhsa_system_sgpr_workgroup_id_y 1
		.amdhsa_system_sgpr_workgroup_id_z 0
		.amdhsa_system_sgpr_workgroup_info 0
		.amdhsa_system_vgpr_workitem_id 2
		.amdhsa_next_free_vgpr 248
		.amdhsa_next_free_sgpr 68
		.amdhsa_reserve_vcc 1
		.amdhsa_reserve_flat_scratch 0
		.amdhsa_float_round_mode_32 0
		.amdhsa_float_round_mode_16_64 0
		.amdhsa_float_denorm_mode_32 3
		.amdhsa_float_denorm_mode_16_64 3
		.amdhsa_dx10_clamp 1
		.amdhsa_ieee_mode 1
		.amdhsa_fp16_overflow 0
		.amdhsa_workgroup_processor_mode 1
		.amdhsa_memory_ordered 1
		.amdhsa_forward_progress 1
		.amdhsa_shared_vgpr_count 0
		.amdhsa_exception_fp_ieee_invalid_op 0
		.amdhsa_exception_fp_denorm_src 0
		.amdhsa_exception_fp_ieee_div_zero 0
		.amdhsa_exception_fp_ieee_overflow 0
		.amdhsa_exception_fp_ieee_underflow 0
		.amdhsa_exception_fp_ieee_inexact 0
		.amdhsa_exception_int_div_zero 0
	.end_amdhsa_kernel
	.section	.text._ZN7rocprim17ROCPRIM_400000_NS6detail17trampoline_kernelINS0_14default_configENS1_36segmented_radix_sort_config_selectorIslEEZNS1_25segmented_radix_sort_implIS3_Lb1EPKsPsPKlPlN2at6native12_GLOBAL__N_18offset_tEEE10hipError_tPvRmT1_PNSt15iterator_traitsISK_E10value_typeET2_T3_PNSL_ISQ_E10value_typeET4_jRbjT5_SW_jjP12ihipStream_tbEUlT_E2_NS1_11comp_targetILNS1_3genE8ELNS1_11target_archE1030ELNS1_3gpuE2ELNS1_3repE0EEENS1_30default_config_static_selectorELNS0_4arch9wavefront6targetE0EEEvSK_,"axG",@progbits,_ZN7rocprim17ROCPRIM_400000_NS6detail17trampoline_kernelINS0_14default_configENS1_36segmented_radix_sort_config_selectorIslEEZNS1_25segmented_radix_sort_implIS3_Lb1EPKsPsPKlPlN2at6native12_GLOBAL__N_18offset_tEEE10hipError_tPvRmT1_PNSt15iterator_traitsISK_E10value_typeET2_T3_PNSL_ISQ_E10value_typeET4_jRbjT5_SW_jjP12ihipStream_tbEUlT_E2_NS1_11comp_targetILNS1_3genE8ELNS1_11target_archE1030ELNS1_3gpuE2ELNS1_3repE0EEENS1_30default_config_static_selectorELNS0_4arch9wavefront6targetE0EEEvSK_,comdat
.Lfunc_end942:
	.size	_ZN7rocprim17ROCPRIM_400000_NS6detail17trampoline_kernelINS0_14default_configENS1_36segmented_radix_sort_config_selectorIslEEZNS1_25segmented_radix_sort_implIS3_Lb1EPKsPsPKlPlN2at6native12_GLOBAL__N_18offset_tEEE10hipError_tPvRmT1_PNSt15iterator_traitsISK_E10value_typeET2_T3_PNSL_ISQ_E10value_typeET4_jRbjT5_SW_jjP12ihipStream_tbEUlT_E2_NS1_11comp_targetILNS1_3genE8ELNS1_11target_archE1030ELNS1_3gpuE2ELNS1_3repE0EEENS1_30default_config_static_selectorELNS0_4arch9wavefront6targetE0EEEvSK_, .Lfunc_end942-_ZN7rocprim17ROCPRIM_400000_NS6detail17trampoline_kernelINS0_14default_configENS1_36segmented_radix_sort_config_selectorIslEEZNS1_25segmented_radix_sort_implIS3_Lb1EPKsPsPKlPlN2at6native12_GLOBAL__N_18offset_tEEE10hipError_tPvRmT1_PNSt15iterator_traitsISK_E10value_typeET2_T3_PNSL_ISQ_E10value_typeET4_jRbjT5_SW_jjP12ihipStream_tbEUlT_E2_NS1_11comp_targetILNS1_3genE8ELNS1_11target_archE1030ELNS1_3gpuE2ELNS1_3repE0EEENS1_30default_config_static_selectorELNS0_4arch9wavefront6targetE0EEEvSK_
                                        ; -- End function
	.set _ZN7rocprim17ROCPRIM_400000_NS6detail17trampoline_kernelINS0_14default_configENS1_36segmented_radix_sort_config_selectorIslEEZNS1_25segmented_radix_sort_implIS3_Lb1EPKsPsPKlPlN2at6native12_GLOBAL__N_18offset_tEEE10hipError_tPvRmT1_PNSt15iterator_traitsISK_E10value_typeET2_T3_PNSL_ISQ_E10value_typeET4_jRbjT5_SW_jjP12ihipStream_tbEUlT_E2_NS1_11comp_targetILNS1_3genE8ELNS1_11target_archE1030ELNS1_3gpuE2ELNS1_3repE0EEENS1_30default_config_static_selectorELNS0_4arch9wavefront6targetE0EEEvSK_.num_vgpr, max(226, .L_ZN7rocprim17ROCPRIM_400000_NS6detail26segmented_warp_sort_helperINS1_20WarpSortHelperConfigILj32ELj4ELj256EEEslLi256ELb1EvE4sortIPKsPsPKlPlEEvT_T0_T1_T2_jjjjRNS5_12storage_typeE.num_vgpr, .L_ZN7rocprim17ROCPRIM_400000_NS6detail40segmented_radix_sort_single_block_helperIslLj256ELj17ELb1EE4sortIPKsPsPKlPlEEbT_T0_T1_T2_jjjjRNS3_12storage_typeE.num_vgpr)
	.set _ZN7rocprim17ROCPRIM_400000_NS6detail17trampoline_kernelINS0_14default_configENS1_36segmented_radix_sort_config_selectorIslEEZNS1_25segmented_radix_sort_implIS3_Lb1EPKsPsPKlPlN2at6native12_GLOBAL__N_18offset_tEEE10hipError_tPvRmT1_PNSt15iterator_traitsISK_E10value_typeET2_T3_PNSL_ISQ_E10value_typeET4_jRbjT5_SW_jjP12ihipStream_tbEUlT_E2_NS1_11comp_targetILNS1_3genE8ELNS1_11target_archE1030ELNS1_3gpuE2ELNS1_3repE0EEENS1_30default_config_static_selectorELNS0_4arch9wavefront6targetE0EEEvSK_.num_agpr, max(0, .L_ZN7rocprim17ROCPRIM_400000_NS6detail26segmented_warp_sort_helperINS1_20WarpSortHelperConfigILj32ELj4ELj256EEEslLi256ELb1EvE4sortIPKsPsPKlPlEEvT_T0_T1_T2_jjjjRNS5_12storage_typeE.num_agpr, .L_ZN7rocprim17ROCPRIM_400000_NS6detail40segmented_radix_sort_single_block_helperIslLj256ELj17ELb1EE4sortIPKsPsPKlPlEEbT_T0_T1_T2_jjjjRNS3_12storage_typeE.num_agpr)
	.set _ZN7rocprim17ROCPRIM_400000_NS6detail17trampoline_kernelINS0_14default_configENS1_36segmented_radix_sort_config_selectorIslEEZNS1_25segmented_radix_sort_implIS3_Lb1EPKsPsPKlPlN2at6native12_GLOBAL__N_18offset_tEEE10hipError_tPvRmT1_PNSt15iterator_traitsISK_E10value_typeET2_T3_PNSL_ISQ_E10value_typeET4_jRbjT5_SW_jjP12ihipStream_tbEUlT_E2_NS1_11comp_targetILNS1_3genE8ELNS1_11target_archE1030ELNS1_3gpuE2ELNS1_3repE0EEENS1_30default_config_static_selectorELNS0_4arch9wavefront6targetE0EEEvSK_.numbered_sgpr, max(68, .L_ZN7rocprim17ROCPRIM_400000_NS6detail26segmented_warp_sort_helperINS1_20WarpSortHelperConfigILj32ELj4ELj256EEEslLi256ELb1EvE4sortIPKsPsPKlPlEEvT_T0_T1_T2_jjjjRNS5_12storage_typeE.numbered_sgpr, .L_ZN7rocprim17ROCPRIM_400000_NS6detail40segmented_radix_sort_single_block_helperIslLj256ELj17ELb1EE4sortIPKsPsPKlPlEEbT_T0_T1_T2_jjjjRNS3_12storage_typeE.numbered_sgpr)
	.set _ZN7rocprim17ROCPRIM_400000_NS6detail17trampoline_kernelINS0_14default_configENS1_36segmented_radix_sort_config_selectorIslEEZNS1_25segmented_radix_sort_implIS3_Lb1EPKsPsPKlPlN2at6native12_GLOBAL__N_18offset_tEEE10hipError_tPvRmT1_PNSt15iterator_traitsISK_E10value_typeET2_T3_PNSL_ISQ_E10value_typeET4_jRbjT5_SW_jjP12ihipStream_tbEUlT_E2_NS1_11comp_targetILNS1_3genE8ELNS1_11target_archE1030ELNS1_3gpuE2ELNS1_3repE0EEENS1_30default_config_static_selectorELNS0_4arch9wavefront6targetE0EEEvSK_.num_named_barrier, max(0, .L_ZN7rocprim17ROCPRIM_400000_NS6detail26segmented_warp_sort_helperINS1_20WarpSortHelperConfigILj32ELj4ELj256EEEslLi256ELb1EvE4sortIPKsPsPKlPlEEvT_T0_T1_T2_jjjjRNS5_12storage_typeE.num_named_barrier, .L_ZN7rocprim17ROCPRIM_400000_NS6detail40segmented_radix_sort_single_block_helperIslLj256ELj17ELb1EE4sortIPKsPsPKlPlEEbT_T0_T1_T2_jjjjRNS3_12storage_typeE.num_named_barrier)
	.set _ZN7rocprim17ROCPRIM_400000_NS6detail17trampoline_kernelINS0_14default_configENS1_36segmented_radix_sort_config_selectorIslEEZNS1_25segmented_radix_sort_implIS3_Lb1EPKsPsPKlPlN2at6native12_GLOBAL__N_18offset_tEEE10hipError_tPvRmT1_PNSt15iterator_traitsISK_E10value_typeET2_T3_PNSL_ISQ_E10value_typeET4_jRbjT5_SW_jjP12ihipStream_tbEUlT_E2_NS1_11comp_targetILNS1_3genE8ELNS1_11target_archE1030ELNS1_3gpuE2ELNS1_3repE0EEENS1_30default_config_static_selectorELNS0_4arch9wavefront6targetE0EEEvSK_.private_seg_size, 0+max(.L_ZN7rocprim17ROCPRIM_400000_NS6detail26segmented_warp_sort_helperINS1_20WarpSortHelperConfigILj32ELj4ELj256EEEslLi256ELb1EvE4sortIPKsPsPKlPlEEvT_T0_T1_T2_jjjjRNS5_12storage_typeE.private_seg_size, .L_ZN7rocprim17ROCPRIM_400000_NS6detail40segmented_radix_sort_single_block_helperIslLj256ELj17ELb1EE4sortIPKsPsPKlPlEEbT_T0_T1_T2_jjjjRNS3_12storage_typeE.private_seg_size)
	.set _ZN7rocprim17ROCPRIM_400000_NS6detail17trampoline_kernelINS0_14default_configENS1_36segmented_radix_sort_config_selectorIslEEZNS1_25segmented_radix_sort_implIS3_Lb1EPKsPsPKlPlN2at6native12_GLOBAL__N_18offset_tEEE10hipError_tPvRmT1_PNSt15iterator_traitsISK_E10value_typeET2_T3_PNSL_ISQ_E10value_typeET4_jRbjT5_SW_jjP12ihipStream_tbEUlT_E2_NS1_11comp_targetILNS1_3genE8ELNS1_11target_archE1030ELNS1_3gpuE2ELNS1_3repE0EEENS1_30default_config_static_selectorELNS0_4arch9wavefront6targetE0EEEvSK_.uses_vcc, or(1, .L_ZN7rocprim17ROCPRIM_400000_NS6detail26segmented_warp_sort_helperINS1_20WarpSortHelperConfigILj32ELj4ELj256EEEslLi256ELb1EvE4sortIPKsPsPKlPlEEvT_T0_T1_T2_jjjjRNS5_12storage_typeE.uses_vcc, .L_ZN7rocprim17ROCPRIM_400000_NS6detail40segmented_radix_sort_single_block_helperIslLj256ELj17ELb1EE4sortIPKsPsPKlPlEEbT_T0_T1_T2_jjjjRNS3_12storage_typeE.uses_vcc)
	.set _ZN7rocprim17ROCPRIM_400000_NS6detail17trampoline_kernelINS0_14default_configENS1_36segmented_radix_sort_config_selectorIslEEZNS1_25segmented_radix_sort_implIS3_Lb1EPKsPsPKlPlN2at6native12_GLOBAL__N_18offset_tEEE10hipError_tPvRmT1_PNSt15iterator_traitsISK_E10value_typeET2_T3_PNSL_ISQ_E10value_typeET4_jRbjT5_SW_jjP12ihipStream_tbEUlT_E2_NS1_11comp_targetILNS1_3genE8ELNS1_11target_archE1030ELNS1_3gpuE2ELNS1_3repE0EEENS1_30default_config_static_selectorELNS0_4arch9wavefront6targetE0EEEvSK_.uses_flat_scratch, or(0, .L_ZN7rocprim17ROCPRIM_400000_NS6detail26segmented_warp_sort_helperINS1_20WarpSortHelperConfigILj32ELj4ELj256EEEslLi256ELb1EvE4sortIPKsPsPKlPlEEvT_T0_T1_T2_jjjjRNS5_12storage_typeE.uses_flat_scratch, .L_ZN7rocprim17ROCPRIM_400000_NS6detail40segmented_radix_sort_single_block_helperIslLj256ELj17ELb1EE4sortIPKsPsPKlPlEEbT_T0_T1_T2_jjjjRNS3_12storage_typeE.uses_flat_scratch)
	.set _ZN7rocprim17ROCPRIM_400000_NS6detail17trampoline_kernelINS0_14default_configENS1_36segmented_radix_sort_config_selectorIslEEZNS1_25segmented_radix_sort_implIS3_Lb1EPKsPsPKlPlN2at6native12_GLOBAL__N_18offset_tEEE10hipError_tPvRmT1_PNSt15iterator_traitsISK_E10value_typeET2_T3_PNSL_ISQ_E10value_typeET4_jRbjT5_SW_jjP12ihipStream_tbEUlT_E2_NS1_11comp_targetILNS1_3genE8ELNS1_11target_archE1030ELNS1_3gpuE2ELNS1_3repE0EEENS1_30default_config_static_selectorELNS0_4arch9wavefront6targetE0EEEvSK_.has_dyn_sized_stack, or(0, .L_ZN7rocprim17ROCPRIM_400000_NS6detail26segmented_warp_sort_helperINS1_20WarpSortHelperConfigILj32ELj4ELj256EEEslLi256ELb1EvE4sortIPKsPsPKlPlEEvT_T0_T1_T2_jjjjRNS5_12storage_typeE.has_dyn_sized_stack, .L_ZN7rocprim17ROCPRIM_400000_NS6detail40segmented_radix_sort_single_block_helperIslLj256ELj17ELb1EE4sortIPKsPsPKlPlEEbT_T0_T1_T2_jjjjRNS3_12storage_typeE.has_dyn_sized_stack)
	.set _ZN7rocprim17ROCPRIM_400000_NS6detail17trampoline_kernelINS0_14default_configENS1_36segmented_radix_sort_config_selectorIslEEZNS1_25segmented_radix_sort_implIS3_Lb1EPKsPsPKlPlN2at6native12_GLOBAL__N_18offset_tEEE10hipError_tPvRmT1_PNSt15iterator_traitsISK_E10value_typeET2_T3_PNSL_ISQ_E10value_typeET4_jRbjT5_SW_jjP12ihipStream_tbEUlT_E2_NS1_11comp_targetILNS1_3genE8ELNS1_11target_archE1030ELNS1_3gpuE2ELNS1_3repE0EEENS1_30default_config_static_selectorELNS0_4arch9wavefront6targetE0EEEvSK_.has_recursion, or(0, .L_ZN7rocprim17ROCPRIM_400000_NS6detail26segmented_warp_sort_helperINS1_20WarpSortHelperConfigILj32ELj4ELj256EEEslLi256ELb1EvE4sortIPKsPsPKlPlEEvT_T0_T1_T2_jjjjRNS5_12storage_typeE.has_recursion, .L_ZN7rocprim17ROCPRIM_400000_NS6detail40segmented_radix_sort_single_block_helperIslLj256ELj17ELb1EE4sortIPKsPsPKlPlEEbT_T0_T1_T2_jjjjRNS3_12storage_typeE.has_recursion)
	.set _ZN7rocprim17ROCPRIM_400000_NS6detail17trampoline_kernelINS0_14default_configENS1_36segmented_radix_sort_config_selectorIslEEZNS1_25segmented_radix_sort_implIS3_Lb1EPKsPsPKlPlN2at6native12_GLOBAL__N_18offset_tEEE10hipError_tPvRmT1_PNSt15iterator_traitsISK_E10value_typeET2_T3_PNSL_ISQ_E10value_typeET4_jRbjT5_SW_jjP12ihipStream_tbEUlT_E2_NS1_11comp_targetILNS1_3genE8ELNS1_11target_archE1030ELNS1_3gpuE2ELNS1_3repE0EEENS1_30default_config_static_selectorELNS0_4arch9wavefront6targetE0EEEvSK_.has_indirect_call, or(0, .L_ZN7rocprim17ROCPRIM_400000_NS6detail26segmented_warp_sort_helperINS1_20WarpSortHelperConfigILj32ELj4ELj256EEEslLi256ELb1EvE4sortIPKsPsPKlPlEEvT_T0_T1_T2_jjjjRNS5_12storage_typeE.has_indirect_call, .L_ZN7rocprim17ROCPRIM_400000_NS6detail40segmented_radix_sort_single_block_helperIslLj256ELj17ELb1EE4sortIPKsPsPKlPlEEbT_T0_T1_T2_jjjjRNS3_12storage_typeE.has_indirect_call)
	.section	.AMDGPU.csdata,"",@progbits
; Kernel info:
; codeLenInByte = 64592
; TotalNumSgprs: 70
; NumVgprs: 248
; ScratchSize: 196
; MemoryBound: 0
; FloatMode: 240
; IeeeMode: 1
; LDSByteSize: 35344 bytes/workgroup (compile time only)
; SGPRBlocks: 0
; VGPRBlocks: 30
; NumSGPRsForWavesPerEU: 70
; NumVGPRsForWavesPerEU: 248
; Occupancy: 4
; WaveLimiterHint : 1
; COMPUTE_PGM_RSRC2:SCRATCH_EN: 1
; COMPUTE_PGM_RSRC2:USER_SGPR: 6
; COMPUTE_PGM_RSRC2:TRAP_HANDLER: 0
; COMPUTE_PGM_RSRC2:TGID_X_EN: 1
; COMPUTE_PGM_RSRC2:TGID_Y_EN: 1
; COMPUTE_PGM_RSRC2:TGID_Z_EN: 0
; COMPUTE_PGM_RSRC2:TIDIG_COMP_CNT: 2
	.section	.text._ZN7rocprim17ROCPRIM_400000_NS6detail17trampoline_kernelINS0_13select_configILj256ELj13ELNS0_17block_load_methodE3ELS4_3ELS4_3ELNS0_20block_scan_algorithmE0ELj4294967295EEENS1_25partition_config_selectorILNS1_17partition_subalgoE4EjNS0_10empty_typeEbEEZZNS1_14partition_implILS8_4ELb0ES6_15HIP_vector_typeIjLj2EENS0_17counting_iteratorIjlEEPS9_SG_NS0_5tupleIJPjSI_NS0_16reverse_iteratorISI_EEEEENSH_IJSG_SG_SG_EEES9_SI_JZNS1_25segmented_radix_sort_implINS0_14default_configELb0EPKsPsPKlPlN2at6native12_GLOBAL__N_18offset_tEEE10hipError_tPvRmT1_PNSt15iterator_traitsIS12_E10value_typeET2_T3_PNS13_IS18_E10value_typeET4_jRbjT5_S1E_jjP12ihipStream_tbEUljE_ZNSN_ISO_Lb0ESQ_SR_ST_SU_SY_EESZ_S10_S11_S12_S16_S17_S18_S1B_S1C_jS1D_jS1E_S1E_jjS1G_bEUljE0_EEESZ_S10_S11_S18_S1C_S1E_T6_T7_T9_mT8_S1G_bDpT10_ENKUlT_T0_E_clISt17integral_constantIbLb0EES1U_EEDaS1P_S1Q_EUlS1P_E_NS1_11comp_targetILNS1_3genE0ELNS1_11target_archE4294967295ELNS1_3gpuE0ELNS1_3repE0EEENS1_30default_config_static_selectorELNS0_4arch9wavefront6targetE0EEEvS12_,"axG",@progbits,_ZN7rocprim17ROCPRIM_400000_NS6detail17trampoline_kernelINS0_13select_configILj256ELj13ELNS0_17block_load_methodE3ELS4_3ELS4_3ELNS0_20block_scan_algorithmE0ELj4294967295EEENS1_25partition_config_selectorILNS1_17partition_subalgoE4EjNS0_10empty_typeEbEEZZNS1_14partition_implILS8_4ELb0ES6_15HIP_vector_typeIjLj2EENS0_17counting_iteratorIjlEEPS9_SG_NS0_5tupleIJPjSI_NS0_16reverse_iteratorISI_EEEEENSH_IJSG_SG_SG_EEES9_SI_JZNS1_25segmented_radix_sort_implINS0_14default_configELb0EPKsPsPKlPlN2at6native12_GLOBAL__N_18offset_tEEE10hipError_tPvRmT1_PNSt15iterator_traitsIS12_E10value_typeET2_T3_PNS13_IS18_E10value_typeET4_jRbjT5_S1E_jjP12ihipStream_tbEUljE_ZNSN_ISO_Lb0ESQ_SR_ST_SU_SY_EESZ_S10_S11_S12_S16_S17_S18_S1B_S1C_jS1D_jS1E_S1E_jjS1G_bEUljE0_EEESZ_S10_S11_S18_S1C_S1E_T6_T7_T9_mT8_S1G_bDpT10_ENKUlT_T0_E_clISt17integral_constantIbLb0EES1U_EEDaS1P_S1Q_EUlS1P_E_NS1_11comp_targetILNS1_3genE0ELNS1_11target_archE4294967295ELNS1_3gpuE0ELNS1_3repE0EEENS1_30default_config_static_selectorELNS0_4arch9wavefront6targetE0EEEvS12_,comdat
	.globl	_ZN7rocprim17ROCPRIM_400000_NS6detail17trampoline_kernelINS0_13select_configILj256ELj13ELNS0_17block_load_methodE3ELS4_3ELS4_3ELNS0_20block_scan_algorithmE0ELj4294967295EEENS1_25partition_config_selectorILNS1_17partition_subalgoE4EjNS0_10empty_typeEbEEZZNS1_14partition_implILS8_4ELb0ES6_15HIP_vector_typeIjLj2EENS0_17counting_iteratorIjlEEPS9_SG_NS0_5tupleIJPjSI_NS0_16reverse_iteratorISI_EEEEENSH_IJSG_SG_SG_EEES9_SI_JZNS1_25segmented_radix_sort_implINS0_14default_configELb0EPKsPsPKlPlN2at6native12_GLOBAL__N_18offset_tEEE10hipError_tPvRmT1_PNSt15iterator_traitsIS12_E10value_typeET2_T3_PNS13_IS18_E10value_typeET4_jRbjT5_S1E_jjP12ihipStream_tbEUljE_ZNSN_ISO_Lb0ESQ_SR_ST_SU_SY_EESZ_S10_S11_S12_S16_S17_S18_S1B_S1C_jS1D_jS1E_S1E_jjS1G_bEUljE0_EEESZ_S10_S11_S18_S1C_S1E_T6_T7_T9_mT8_S1G_bDpT10_ENKUlT_T0_E_clISt17integral_constantIbLb0EES1U_EEDaS1P_S1Q_EUlS1P_E_NS1_11comp_targetILNS1_3genE0ELNS1_11target_archE4294967295ELNS1_3gpuE0ELNS1_3repE0EEENS1_30default_config_static_selectorELNS0_4arch9wavefront6targetE0EEEvS12_ ; -- Begin function _ZN7rocprim17ROCPRIM_400000_NS6detail17trampoline_kernelINS0_13select_configILj256ELj13ELNS0_17block_load_methodE3ELS4_3ELS4_3ELNS0_20block_scan_algorithmE0ELj4294967295EEENS1_25partition_config_selectorILNS1_17partition_subalgoE4EjNS0_10empty_typeEbEEZZNS1_14partition_implILS8_4ELb0ES6_15HIP_vector_typeIjLj2EENS0_17counting_iteratorIjlEEPS9_SG_NS0_5tupleIJPjSI_NS0_16reverse_iteratorISI_EEEEENSH_IJSG_SG_SG_EEES9_SI_JZNS1_25segmented_radix_sort_implINS0_14default_configELb0EPKsPsPKlPlN2at6native12_GLOBAL__N_18offset_tEEE10hipError_tPvRmT1_PNSt15iterator_traitsIS12_E10value_typeET2_T3_PNS13_IS18_E10value_typeET4_jRbjT5_S1E_jjP12ihipStream_tbEUljE_ZNSN_ISO_Lb0ESQ_SR_ST_SU_SY_EESZ_S10_S11_S12_S16_S17_S18_S1B_S1C_jS1D_jS1E_S1E_jjS1G_bEUljE0_EEESZ_S10_S11_S18_S1C_S1E_T6_T7_T9_mT8_S1G_bDpT10_ENKUlT_T0_E_clISt17integral_constantIbLb0EES1U_EEDaS1P_S1Q_EUlS1P_E_NS1_11comp_targetILNS1_3genE0ELNS1_11target_archE4294967295ELNS1_3gpuE0ELNS1_3repE0EEENS1_30default_config_static_selectorELNS0_4arch9wavefront6targetE0EEEvS12_
	.p2align	8
	.type	_ZN7rocprim17ROCPRIM_400000_NS6detail17trampoline_kernelINS0_13select_configILj256ELj13ELNS0_17block_load_methodE3ELS4_3ELS4_3ELNS0_20block_scan_algorithmE0ELj4294967295EEENS1_25partition_config_selectorILNS1_17partition_subalgoE4EjNS0_10empty_typeEbEEZZNS1_14partition_implILS8_4ELb0ES6_15HIP_vector_typeIjLj2EENS0_17counting_iteratorIjlEEPS9_SG_NS0_5tupleIJPjSI_NS0_16reverse_iteratorISI_EEEEENSH_IJSG_SG_SG_EEES9_SI_JZNS1_25segmented_radix_sort_implINS0_14default_configELb0EPKsPsPKlPlN2at6native12_GLOBAL__N_18offset_tEEE10hipError_tPvRmT1_PNSt15iterator_traitsIS12_E10value_typeET2_T3_PNS13_IS18_E10value_typeET4_jRbjT5_S1E_jjP12ihipStream_tbEUljE_ZNSN_ISO_Lb0ESQ_SR_ST_SU_SY_EESZ_S10_S11_S12_S16_S17_S18_S1B_S1C_jS1D_jS1E_S1E_jjS1G_bEUljE0_EEESZ_S10_S11_S18_S1C_S1E_T6_T7_T9_mT8_S1G_bDpT10_ENKUlT_T0_E_clISt17integral_constantIbLb0EES1U_EEDaS1P_S1Q_EUlS1P_E_NS1_11comp_targetILNS1_3genE0ELNS1_11target_archE4294967295ELNS1_3gpuE0ELNS1_3repE0EEENS1_30default_config_static_selectorELNS0_4arch9wavefront6targetE0EEEvS12_,@function
_ZN7rocprim17ROCPRIM_400000_NS6detail17trampoline_kernelINS0_13select_configILj256ELj13ELNS0_17block_load_methodE3ELS4_3ELS4_3ELNS0_20block_scan_algorithmE0ELj4294967295EEENS1_25partition_config_selectorILNS1_17partition_subalgoE4EjNS0_10empty_typeEbEEZZNS1_14partition_implILS8_4ELb0ES6_15HIP_vector_typeIjLj2EENS0_17counting_iteratorIjlEEPS9_SG_NS0_5tupleIJPjSI_NS0_16reverse_iteratorISI_EEEEENSH_IJSG_SG_SG_EEES9_SI_JZNS1_25segmented_radix_sort_implINS0_14default_configELb0EPKsPsPKlPlN2at6native12_GLOBAL__N_18offset_tEEE10hipError_tPvRmT1_PNSt15iterator_traitsIS12_E10value_typeET2_T3_PNS13_IS18_E10value_typeET4_jRbjT5_S1E_jjP12ihipStream_tbEUljE_ZNSN_ISO_Lb0ESQ_SR_ST_SU_SY_EESZ_S10_S11_S12_S16_S17_S18_S1B_S1C_jS1D_jS1E_S1E_jjS1G_bEUljE0_EEESZ_S10_S11_S18_S1C_S1E_T6_T7_T9_mT8_S1G_bDpT10_ENKUlT_T0_E_clISt17integral_constantIbLb0EES1U_EEDaS1P_S1Q_EUlS1P_E_NS1_11comp_targetILNS1_3genE0ELNS1_11target_archE4294967295ELNS1_3gpuE0ELNS1_3repE0EEENS1_30default_config_static_selectorELNS0_4arch9wavefront6targetE0EEEvS12_: ; @_ZN7rocprim17ROCPRIM_400000_NS6detail17trampoline_kernelINS0_13select_configILj256ELj13ELNS0_17block_load_methodE3ELS4_3ELS4_3ELNS0_20block_scan_algorithmE0ELj4294967295EEENS1_25partition_config_selectorILNS1_17partition_subalgoE4EjNS0_10empty_typeEbEEZZNS1_14partition_implILS8_4ELb0ES6_15HIP_vector_typeIjLj2EENS0_17counting_iteratorIjlEEPS9_SG_NS0_5tupleIJPjSI_NS0_16reverse_iteratorISI_EEEEENSH_IJSG_SG_SG_EEES9_SI_JZNS1_25segmented_radix_sort_implINS0_14default_configELb0EPKsPsPKlPlN2at6native12_GLOBAL__N_18offset_tEEE10hipError_tPvRmT1_PNSt15iterator_traitsIS12_E10value_typeET2_T3_PNS13_IS18_E10value_typeET4_jRbjT5_S1E_jjP12ihipStream_tbEUljE_ZNSN_ISO_Lb0ESQ_SR_ST_SU_SY_EESZ_S10_S11_S12_S16_S17_S18_S1B_S1C_jS1D_jS1E_S1E_jjS1G_bEUljE0_EEESZ_S10_S11_S18_S1C_S1E_T6_T7_T9_mT8_S1G_bDpT10_ENKUlT_T0_E_clISt17integral_constantIbLb0EES1U_EEDaS1P_S1Q_EUlS1P_E_NS1_11comp_targetILNS1_3genE0ELNS1_11target_archE4294967295ELNS1_3gpuE0ELNS1_3repE0EEENS1_30default_config_static_selectorELNS0_4arch9wavefront6targetE0EEEvS12_
; %bb.0:
	.section	.rodata,"a",@progbits
	.p2align	6, 0x0
	.amdhsa_kernel _ZN7rocprim17ROCPRIM_400000_NS6detail17trampoline_kernelINS0_13select_configILj256ELj13ELNS0_17block_load_methodE3ELS4_3ELS4_3ELNS0_20block_scan_algorithmE0ELj4294967295EEENS1_25partition_config_selectorILNS1_17partition_subalgoE4EjNS0_10empty_typeEbEEZZNS1_14partition_implILS8_4ELb0ES6_15HIP_vector_typeIjLj2EENS0_17counting_iteratorIjlEEPS9_SG_NS0_5tupleIJPjSI_NS0_16reverse_iteratorISI_EEEEENSH_IJSG_SG_SG_EEES9_SI_JZNS1_25segmented_radix_sort_implINS0_14default_configELb0EPKsPsPKlPlN2at6native12_GLOBAL__N_18offset_tEEE10hipError_tPvRmT1_PNSt15iterator_traitsIS12_E10value_typeET2_T3_PNS13_IS18_E10value_typeET4_jRbjT5_S1E_jjP12ihipStream_tbEUljE_ZNSN_ISO_Lb0ESQ_SR_ST_SU_SY_EESZ_S10_S11_S12_S16_S17_S18_S1B_S1C_jS1D_jS1E_S1E_jjS1G_bEUljE0_EEESZ_S10_S11_S18_S1C_S1E_T6_T7_T9_mT8_S1G_bDpT10_ENKUlT_T0_E_clISt17integral_constantIbLb0EES1U_EEDaS1P_S1Q_EUlS1P_E_NS1_11comp_targetILNS1_3genE0ELNS1_11target_archE4294967295ELNS1_3gpuE0ELNS1_3repE0EEENS1_30default_config_static_selectorELNS0_4arch9wavefront6targetE0EEEvS12_
		.amdhsa_group_segment_fixed_size 0
		.amdhsa_private_segment_fixed_size 0
		.amdhsa_kernarg_size 176
		.amdhsa_user_sgpr_count 6
		.amdhsa_user_sgpr_private_segment_buffer 1
		.amdhsa_user_sgpr_dispatch_ptr 0
		.amdhsa_user_sgpr_queue_ptr 0
		.amdhsa_user_sgpr_kernarg_segment_ptr 1
		.amdhsa_user_sgpr_dispatch_id 0
		.amdhsa_user_sgpr_flat_scratch_init 0
		.amdhsa_user_sgpr_private_segment_size 0
		.amdhsa_wavefront_size32 1
		.amdhsa_uses_dynamic_stack 0
		.amdhsa_system_sgpr_private_segment_wavefront_offset 0
		.amdhsa_system_sgpr_workgroup_id_x 1
		.amdhsa_system_sgpr_workgroup_id_y 0
		.amdhsa_system_sgpr_workgroup_id_z 0
		.amdhsa_system_sgpr_workgroup_info 0
		.amdhsa_system_vgpr_workitem_id 0
		.amdhsa_next_free_vgpr 1
		.amdhsa_next_free_sgpr 1
		.amdhsa_reserve_vcc 0
		.amdhsa_reserve_flat_scratch 0
		.amdhsa_float_round_mode_32 0
		.amdhsa_float_round_mode_16_64 0
		.amdhsa_float_denorm_mode_32 3
		.amdhsa_float_denorm_mode_16_64 3
		.amdhsa_dx10_clamp 1
		.amdhsa_ieee_mode 1
		.amdhsa_fp16_overflow 0
		.amdhsa_workgroup_processor_mode 1
		.amdhsa_memory_ordered 1
		.amdhsa_forward_progress 1
		.amdhsa_shared_vgpr_count 0
		.amdhsa_exception_fp_ieee_invalid_op 0
		.amdhsa_exception_fp_denorm_src 0
		.amdhsa_exception_fp_ieee_div_zero 0
		.amdhsa_exception_fp_ieee_overflow 0
		.amdhsa_exception_fp_ieee_underflow 0
		.amdhsa_exception_fp_ieee_inexact 0
		.amdhsa_exception_int_div_zero 0
	.end_amdhsa_kernel
	.section	.text._ZN7rocprim17ROCPRIM_400000_NS6detail17trampoline_kernelINS0_13select_configILj256ELj13ELNS0_17block_load_methodE3ELS4_3ELS4_3ELNS0_20block_scan_algorithmE0ELj4294967295EEENS1_25partition_config_selectorILNS1_17partition_subalgoE4EjNS0_10empty_typeEbEEZZNS1_14partition_implILS8_4ELb0ES6_15HIP_vector_typeIjLj2EENS0_17counting_iteratorIjlEEPS9_SG_NS0_5tupleIJPjSI_NS0_16reverse_iteratorISI_EEEEENSH_IJSG_SG_SG_EEES9_SI_JZNS1_25segmented_radix_sort_implINS0_14default_configELb0EPKsPsPKlPlN2at6native12_GLOBAL__N_18offset_tEEE10hipError_tPvRmT1_PNSt15iterator_traitsIS12_E10value_typeET2_T3_PNS13_IS18_E10value_typeET4_jRbjT5_S1E_jjP12ihipStream_tbEUljE_ZNSN_ISO_Lb0ESQ_SR_ST_SU_SY_EESZ_S10_S11_S12_S16_S17_S18_S1B_S1C_jS1D_jS1E_S1E_jjS1G_bEUljE0_EEESZ_S10_S11_S18_S1C_S1E_T6_T7_T9_mT8_S1G_bDpT10_ENKUlT_T0_E_clISt17integral_constantIbLb0EES1U_EEDaS1P_S1Q_EUlS1P_E_NS1_11comp_targetILNS1_3genE0ELNS1_11target_archE4294967295ELNS1_3gpuE0ELNS1_3repE0EEENS1_30default_config_static_selectorELNS0_4arch9wavefront6targetE0EEEvS12_,"axG",@progbits,_ZN7rocprim17ROCPRIM_400000_NS6detail17trampoline_kernelINS0_13select_configILj256ELj13ELNS0_17block_load_methodE3ELS4_3ELS4_3ELNS0_20block_scan_algorithmE0ELj4294967295EEENS1_25partition_config_selectorILNS1_17partition_subalgoE4EjNS0_10empty_typeEbEEZZNS1_14partition_implILS8_4ELb0ES6_15HIP_vector_typeIjLj2EENS0_17counting_iteratorIjlEEPS9_SG_NS0_5tupleIJPjSI_NS0_16reverse_iteratorISI_EEEEENSH_IJSG_SG_SG_EEES9_SI_JZNS1_25segmented_radix_sort_implINS0_14default_configELb0EPKsPsPKlPlN2at6native12_GLOBAL__N_18offset_tEEE10hipError_tPvRmT1_PNSt15iterator_traitsIS12_E10value_typeET2_T3_PNS13_IS18_E10value_typeET4_jRbjT5_S1E_jjP12ihipStream_tbEUljE_ZNSN_ISO_Lb0ESQ_SR_ST_SU_SY_EESZ_S10_S11_S12_S16_S17_S18_S1B_S1C_jS1D_jS1E_S1E_jjS1G_bEUljE0_EEESZ_S10_S11_S18_S1C_S1E_T6_T7_T9_mT8_S1G_bDpT10_ENKUlT_T0_E_clISt17integral_constantIbLb0EES1U_EEDaS1P_S1Q_EUlS1P_E_NS1_11comp_targetILNS1_3genE0ELNS1_11target_archE4294967295ELNS1_3gpuE0ELNS1_3repE0EEENS1_30default_config_static_selectorELNS0_4arch9wavefront6targetE0EEEvS12_,comdat
.Lfunc_end943:
	.size	_ZN7rocprim17ROCPRIM_400000_NS6detail17trampoline_kernelINS0_13select_configILj256ELj13ELNS0_17block_load_methodE3ELS4_3ELS4_3ELNS0_20block_scan_algorithmE0ELj4294967295EEENS1_25partition_config_selectorILNS1_17partition_subalgoE4EjNS0_10empty_typeEbEEZZNS1_14partition_implILS8_4ELb0ES6_15HIP_vector_typeIjLj2EENS0_17counting_iteratorIjlEEPS9_SG_NS0_5tupleIJPjSI_NS0_16reverse_iteratorISI_EEEEENSH_IJSG_SG_SG_EEES9_SI_JZNS1_25segmented_radix_sort_implINS0_14default_configELb0EPKsPsPKlPlN2at6native12_GLOBAL__N_18offset_tEEE10hipError_tPvRmT1_PNSt15iterator_traitsIS12_E10value_typeET2_T3_PNS13_IS18_E10value_typeET4_jRbjT5_S1E_jjP12ihipStream_tbEUljE_ZNSN_ISO_Lb0ESQ_SR_ST_SU_SY_EESZ_S10_S11_S12_S16_S17_S18_S1B_S1C_jS1D_jS1E_S1E_jjS1G_bEUljE0_EEESZ_S10_S11_S18_S1C_S1E_T6_T7_T9_mT8_S1G_bDpT10_ENKUlT_T0_E_clISt17integral_constantIbLb0EES1U_EEDaS1P_S1Q_EUlS1P_E_NS1_11comp_targetILNS1_3genE0ELNS1_11target_archE4294967295ELNS1_3gpuE0ELNS1_3repE0EEENS1_30default_config_static_selectorELNS0_4arch9wavefront6targetE0EEEvS12_, .Lfunc_end943-_ZN7rocprim17ROCPRIM_400000_NS6detail17trampoline_kernelINS0_13select_configILj256ELj13ELNS0_17block_load_methodE3ELS4_3ELS4_3ELNS0_20block_scan_algorithmE0ELj4294967295EEENS1_25partition_config_selectorILNS1_17partition_subalgoE4EjNS0_10empty_typeEbEEZZNS1_14partition_implILS8_4ELb0ES6_15HIP_vector_typeIjLj2EENS0_17counting_iteratorIjlEEPS9_SG_NS0_5tupleIJPjSI_NS0_16reverse_iteratorISI_EEEEENSH_IJSG_SG_SG_EEES9_SI_JZNS1_25segmented_radix_sort_implINS0_14default_configELb0EPKsPsPKlPlN2at6native12_GLOBAL__N_18offset_tEEE10hipError_tPvRmT1_PNSt15iterator_traitsIS12_E10value_typeET2_T3_PNS13_IS18_E10value_typeET4_jRbjT5_S1E_jjP12ihipStream_tbEUljE_ZNSN_ISO_Lb0ESQ_SR_ST_SU_SY_EESZ_S10_S11_S12_S16_S17_S18_S1B_S1C_jS1D_jS1E_S1E_jjS1G_bEUljE0_EEESZ_S10_S11_S18_S1C_S1E_T6_T7_T9_mT8_S1G_bDpT10_ENKUlT_T0_E_clISt17integral_constantIbLb0EES1U_EEDaS1P_S1Q_EUlS1P_E_NS1_11comp_targetILNS1_3genE0ELNS1_11target_archE4294967295ELNS1_3gpuE0ELNS1_3repE0EEENS1_30default_config_static_selectorELNS0_4arch9wavefront6targetE0EEEvS12_
                                        ; -- End function
	.set _ZN7rocprim17ROCPRIM_400000_NS6detail17trampoline_kernelINS0_13select_configILj256ELj13ELNS0_17block_load_methodE3ELS4_3ELS4_3ELNS0_20block_scan_algorithmE0ELj4294967295EEENS1_25partition_config_selectorILNS1_17partition_subalgoE4EjNS0_10empty_typeEbEEZZNS1_14partition_implILS8_4ELb0ES6_15HIP_vector_typeIjLj2EENS0_17counting_iteratorIjlEEPS9_SG_NS0_5tupleIJPjSI_NS0_16reverse_iteratorISI_EEEEENSH_IJSG_SG_SG_EEES9_SI_JZNS1_25segmented_radix_sort_implINS0_14default_configELb0EPKsPsPKlPlN2at6native12_GLOBAL__N_18offset_tEEE10hipError_tPvRmT1_PNSt15iterator_traitsIS12_E10value_typeET2_T3_PNS13_IS18_E10value_typeET4_jRbjT5_S1E_jjP12ihipStream_tbEUljE_ZNSN_ISO_Lb0ESQ_SR_ST_SU_SY_EESZ_S10_S11_S12_S16_S17_S18_S1B_S1C_jS1D_jS1E_S1E_jjS1G_bEUljE0_EEESZ_S10_S11_S18_S1C_S1E_T6_T7_T9_mT8_S1G_bDpT10_ENKUlT_T0_E_clISt17integral_constantIbLb0EES1U_EEDaS1P_S1Q_EUlS1P_E_NS1_11comp_targetILNS1_3genE0ELNS1_11target_archE4294967295ELNS1_3gpuE0ELNS1_3repE0EEENS1_30default_config_static_selectorELNS0_4arch9wavefront6targetE0EEEvS12_.num_vgpr, 0
	.set _ZN7rocprim17ROCPRIM_400000_NS6detail17trampoline_kernelINS0_13select_configILj256ELj13ELNS0_17block_load_methodE3ELS4_3ELS4_3ELNS0_20block_scan_algorithmE0ELj4294967295EEENS1_25partition_config_selectorILNS1_17partition_subalgoE4EjNS0_10empty_typeEbEEZZNS1_14partition_implILS8_4ELb0ES6_15HIP_vector_typeIjLj2EENS0_17counting_iteratorIjlEEPS9_SG_NS0_5tupleIJPjSI_NS0_16reverse_iteratorISI_EEEEENSH_IJSG_SG_SG_EEES9_SI_JZNS1_25segmented_radix_sort_implINS0_14default_configELb0EPKsPsPKlPlN2at6native12_GLOBAL__N_18offset_tEEE10hipError_tPvRmT1_PNSt15iterator_traitsIS12_E10value_typeET2_T3_PNS13_IS18_E10value_typeET4_jRbjT5_S1E_jjP12ihipStream_tbEUljE_ZNSN_ISO_Lb0ESQ_SR_ST_SU_SY_EESZ_S10_S11_S12_S16_S17_S18_S1B_S1C_jS1D_jS1E_S1E_jjS1G_bEUljE0_EEESZ_S10_S11_S18_S1C_S1E_T6_T7_T9_mT8_S1G_bDpT10_ENKUlT_T0_E_clISt17integral_constantIbLb0EES1U_EEDaS1P_S1Q_EUlS1P_E_NS1_11comp_targetILNS1_3genE0ELNS1_11target_archE4294967295ELNS1_3gpuE0ELNS1_3repE0EEENS1_30default_config_static_selectorELNS0_4arch9wavefront6targetE0EEEvS12_.num_agpr, 0
	.set _ZN7rocprim17ROCPRIM_400000_NS6detail17trampoline_kernelINS0_13select_configILj256ELj13ELNS0_17block_load_methodE3ELS4_3ELS4_3ELNS0_20block_scan_algorithmE0ELj4294967295EEENS1_25partition_config_selectorILNS1_17partition_subalgoE4EjNS0_10empty_typeEbEEZZNS1_14partition_implILS8_4ELb0ES6_15HIP_vector_typeIjLj2EENS0_17counting_iteratorIjlEEPS9_SG_NS0_5tupleIJPjSI_NS0_16reverse_iteratorISI_EEEEENSH_IJSG_SG_SG_EEES9_SI_JZNS1_25segmented_radix_sort_implINS0_14default_configELb0EPKsPsPKlPlN2at6native12_GLOBAL__N_18offset_tEEE10hipError_tPvRmT1_PNSt15iterator_traitsIS12_E10value_typeET2_T3_PNS13_IS18_E10value_typeET4_jRbjT5_S1E_jjP12ihipStream_tbEUljE_ZNSN_ISO_Lb0ESQ_SR_ST_SU_SY_EESZ_S10_S11_S12_S16_S17_S18_S1B_S1C_jS1D_jS1E_S1E_jjS1G_bEUljE0_EEESZ_S10_S11_S18_S1C_S1E_T6_T7_T9_mT8_S1G_bDpT10_ENKUlT_T0_E_clISt17integral_constantIbLb0EES1U_EEDaS1P_S1Q_EUlS1P_E_NS1_11comp_targetILNS1_3genE0ELNS1_11target_archE4294967295ELNS1_3gpuE0ELNS1_3repE0EEENS1_30default_config_static_selectorELNS0_4arch9wavefront6targetE0EEEvS12_.numbered_sgpr, 0
	.set _ZN7rocprim17ROCPRIM_400000_NS6detail17trampoline_kernelINS0_13select_configILj256ELj13ELNS0_17block_load_methodE3ELS4_3ELS4_3ELNS0_20block_scan_algorithmE0ELj4294967295EEENS1_25partition_config_selectorILNS1_17partition_subalgoE4EjNS0_10empty_typeEbEEZZNS1_14partition_implILS8_4ELb0ES6_15HIP_vector_typeIjLj2EENS0_17counting_iteratorIjlEEPS9_SG_NS0_5tupleIJPjSI_NS0_16reverse_iteratorISI_EEEEENSH_IJSG_SG_SG_EEES9_SI_JZNS1_25segmented_radix_sort_implINS0_14default_configELb0EPKsPsPKlPlN2at6native12_GLOBAL__N_18offset_tEEE10hipError_tPvRmT1_PNSt15iterator_traitsIS12_E10value_typeET2_T3_PNS13_IS18_E10value_typeET4_jRbjT5_S1E_jjP12ihipStream_tbEUljE_ZNSN_ISO_Lb0ESQ_SR_ST_SU_SY_EESZ_S10_S11_S12_S16_S17_S18_S1B_S1C_jS1D_jS1E_S1E_jjS1G_bEUljE0_EEESZ_S10_S11_S18_S1C_S1E_T6_T7_T9_mT8_S1G_bDpT10_ENKUlT_T0_E_clISt17integral_constantIbLb0EES1U_EEDaS1P_S1Q_EUlS1P_E_NS1_11comp_targetILNS1_3genE0ELNS1_11target_archE4294967295ELNS1_3gpuE0ELNS1_3repE0EEENS1_30default_config_static_selectorELNS0_4arch9wavefront6targetE0EEEvS12_.num_named_barrier, 0
	.set _ZN7rocprim17ROCPRIM_400000_NS6detail17trampoline_kernelINS0_13select_configILj256ELj13ELNS0_17block_load_methodE3ELS4_3ELS4_3ELNS0_20block_scan_algorithmE0ELj4294967295EEENS1_25partition_config_selectorILNS1_17partition_subalgoE4EjNS0_10empty_typeEbEEZZNS1_14partition_implILS8_4ELb0ES6_15HIP_vector_typeIjLj2EENS0_17counting_iteratorIjlEEPS9_SG_NS0_5tupleIJPjSI_NS0_16reverse_iteratorISI_EEEEENSH_IJSG_SG_SG_EEES9_SI_JZNS1_25segmented_radix_sort_implINS0_14default_configELb0EPKsPsPKlPlN2at6native12_GLOBAL__N_18offset_tEEE10hipError_tPvRmT1_PNSt15iterator_traitsIS12_E10value_typeET2_T3_PNS13_IS18_E10value_typeET4_jRbjT5_S1E_jjP12ihipStream_tbEUljE_ZNSN_ISO_Lb0ESQ_SR_ST_SU_SY_EESZ_S10_S11_S12_S16_S17_S18_S1B_S1C_jS1D_jS1E_S1E_jjS1G_bEUljE0_EEESZ_S10_S11_S18_S1C_S1E_T6_T7_T9_mT8_S1G_bDpT10_ENKUlT_T0_E_clISt17integral_constantIbLb0EES1U_EEDaS1P_S1Q_EUlS1P_E_NS1_11comp_targetILNS1_3genE0ELNS1_11target_archE4294967295ELNS1_3gpuE0ELNS1_3repE0EEENS1_30default_config_static_selectorELNS0_4arch9wavefront6targetE0EEEvS12_.private_seg_size, 0
	.set _ZN7rocprim17ROCPRIM_400000_NS6detail17trampoline_kernelINS0_13select_configILj256ELj13ELNS0_17block_load_methodE3ELS4_3ELS4_3ELNS0_20block_scan_algorithmE0ELj4294967295EEENS1_25partition_config_selectorILNS1_17partition_subalgoE4EjNS0_10empty_typeEbEEZZNS1_14partition_implILS8_4ELb0ES6_15HIP_vector_typeIjLj2EENS0_17counting_iteratorIjlEEPS9_SG_NS0_5tupleIJPjSI_NS0_16reverse_iteratorISI_EEEEENSH_IJSG_SG_SG_EEES9_SI_JZNS1_25segmented_radix_sort_implINS0_14default_configELb0EPKsPsPKlPlN2at6native12_GLOBAL__N_18offset_tEEE10hipError_tPvRmT1_PNSt15iterator_traitsIS12_E10value_typeET2_T3_PNS13_IS18_E10value_typeET4_jRbjT5_S1E_jjP12ihipStream_tbEUljE_ZNSN_ISO_Lb0ESQ_SR_ST_SU_SY_EESZ_S10_S11_S12_S16_S17_S18_S1B_S1C_jS1D_jS1E_S1E_jjS1G_bEUljE0_EEESZ_S10_S11_S18_S1C_S1E_T6_T7_T9_mT8_S1G_bDpT10_ENKUlT_T0_E_clISt17integral_constantIbLb0EES1U_EEDaS1P_S1Q_EUlS1P_E_NS1_11comp_targetILNS1_3genE0ELNS1_11target_archE4294967295ELNS1_3gpuE0ELNS1_3repE0EEENS1_30default_config_static_selectorELNS0_4arch9wavefront6targetE0EEEvS12_.uses_vcc, 0
	.set _ZN7rocprim17ROCPRIM_400000_NS6detail17trampoline_kernelINS0_13select_configILj256ELj13ELNS0_17block_load_methodE3ELS4_3ELS4_3ELNS0_20block_scan_algorithmE0ELj4294967295EEENS1_25partition_config_selectorILNS1_17partition_subalgoE4EjNS0_10empty_typeEbEEZZNS1_14partition_implILS8_4ELb0ES6_15HIP_vector_typeIjLj2EENS0_17counting_iteratorIjlEEPS9_SG_NS0_5tupleIJPjSI_NS0_16reverse_iteratorISI_EEEEENSH_IJSG_SG_SG_EEES9_SI_JZNS1_25segmented_radix_sort_implINS0_14default_configELb0EPKsPsPKlPlN2at6native12_GLOBAL__N_18offset_tEEE10hipError_tPvRmT1_PNSt15iterator_traitsIS12_E10value_typeET2_T3_PNS13_IS18_E10value_typeET4_jRbjT5_S1E_jjP12ihipStream_tbEUljE_ZNSN_ISO_Lb0ESQ_SR_ST_SU_SY_EESZ_S10_S11_S12_S16_S17_S18_S1B_S1C_jS1D_jS1E_S1E_jjS1G_bEUljE0_EEESZ_S10_S11_S18_S1C_S1E_T6_T7_T9_mT8_S1G_bDpT10_ENKUlT_T0_E_clISt17integral_constantIbLb0EES1U_EEDaS1P_S1Q_EUlS1P_E_NS1_11comp_targetILNS1_3genE0ELNS1_11target_archE4294967295ELNS1_3gpuE0ELNS1_3repE0EEENS1_30default_config_static_selectorELNS0_4arch9wavefront6targetE0EEEvS12_.uses_flat_scratch, 0
	.set _ZN7rocprim17ROCPRIM_400000_NS6detail17trampoline_kernelINS0_13select_configILj256ELj13ELNS0_17block_load_methodE3ELS4_3ELS4_3ELNS0_20block_scan_algorithmE0ELj4294967295EEENS1_25partition_config_selectorILNS1_17partition_subalgoE4EjNS0_10empty_typeEbEEZZNS1_14partition_implILS8_4ELb0ES6_15HIP_vector_typeIjLj2EENS0_17counting_iteratorIjlEEPS9_SG_NS0_5tupleIJPjSI_NS0_16reverse_iteratorISI_EEEEENSH_IJSG_SG_SG_EEES9_SI_JZNS1_25segmented_radix_sort_implINS0_14default_configELb0EPKsPsPKlPlN2at6native12_GLOBAL__N_18offset_tEEE10hipError_tPvRmT1_PNSt15iterator_traitsIS12_E10value_typeET2_T3_PNS13_IS18_E10value_typeET4_jRbjT5_S1E_jjP12ihipStream_tbEUljE_ZNSN_ISO_Lb0ESQ_SR_ST_SU_SY_EESZ_S10_S11_S12_S16_S17_S18_S1B_S1C_jS1D_jS1E_S1E_jjS1G_bEUljE0_EEESZ_S10_S11_S18_S1C_S1E_T6_T7_T9_mT8_S1G_bDpT10_ENKUlT_T0_E_clISt17integral_constantIbLb0EES1U_EEDaS1P_S1Q_EUlS1P_E_NS1_11comp_targetILNS1_3genE0ELNS1_11target_archE4294967295ELNS1_3gpuE0ELNS1_3repE0EEENS1_30default_config_static_selectorELNS0_4arch9wavefront6targetE0EEEvS12_.has_dyn_sized_stack, 0
	.set _ZN7rocprim17ROCPRIM_400000_NS6detail17trampoline_kernelINS0_13select_configILj256ELj13ELNS0_17block_load_methodE3ELS4_3ELS4_3ELNS0_20block_scan_algorithmE0ELj4294967295EEENS1_25partition_config_selectorILNS1_17partition_subalgoE4EjNS0_10empty_typeEbEEZZNS1_14partition_implILS8_4ELb0ES6_15HIP_vector_typeIjLj2EENS0_17counting_iteratorIjlEEPS9_SG_NS0_5tupleIJPjSI_NS0_16reverse_iteratorISI_EEEEENSH_IJSG_SG_SG_EEES9_SI_JZNS1_25segmented_radix_sort_implINS0_14default_configELb0EPKsPsPKlPlN2at6native12_GLOBAL__N_18offset_tEEE10hipError_tPvRmT1_PNSt15iterator_traitsIS12_E10value_typeET2_T3_PNS13_IS18_E10value_typeET4_jRbjT5_S1E_jjP12ihipStream_tbEUljE_ZNSN_ISO_Lb0ESQ_SR_ST_SU_SY_EESZ_S10_S11_S12_S16_S17_S18_S1B_S1C_jS1D_jS1E_S1E_jjS1G_bEUljE0_EEESZ_S10_S11_S18_S1C_S1E_T6_T7_T9_mT8_S1G_bDpT10_ENKUlT_T0_E_clISt17integral_constantIbLb0EES1U_EEDaS1P_S1Q_EUlS1P_E_NS1_11comp_targetILNS1_3genE0ELNS1_11target_archE4294967295ELNS1_3gpuE0ELNS1_3repE0EEENS1_30default_config_static_selectorELNS0_4arch9wavefront6targetE0EEEvS12_.has_recursion, 0
	.set _ZN7rocprim17ROCPRIM_400000_NS6detail17trampoline_kernelINS0_13select_configILj256ELj13ELNS0_17block_load_methodE3ELS4_3ELS4_3ELNS0_20block_scan_algorithmE0ELj4294967295EEENS1_25partition_config_selectorILNS1_17partition_subalgoE4EjNS0_10empty_typeEbEEZZNS1_14partition_implILS8_4ELb0ES6_15HIP_vector_typeIjLj2EENS0_17counting_iteratorIjlEEPS9_SG_NS0_5tupleIJPjSI_NS0_16reverse_iteratorISI_EEEEENSH_IJSG_SG_SG_EEES9_SI_JZNS1_25segmented_radix_sort_implINS0_14default_configELb0EPKsPsPKlPlN2at6native12_GLOBAL__N_18offset_tEEE10hipError_tPvRmT1_PNSt15iterator_traitsIS12_E10value_typeET2_T3_PNS13_IS18_E10value_typeET4_jRbjT5_S1E_jjP12ihipStream_tbEUljE_ZNSN_ISO_Lb0ESQ_SR_ST_SU_SY_EESZ_S10_S11_S12_S16_S17_S18_S1B_S1C_jS1D_jS1E_S1E_jjS1G_bEUljE0_EEESZ_S10_S11_S18_S1C_S1E_T6_T7_T9_mT8_S1G_bDpT10_ENKUlT_T0_E_clISt17integral_constantIbLb0EES1U_EEDaS1P_S1Q_EUlS1P_E_NS1_11comp_targetILNS1_3genE0ELNS1_11target_archE4294967295ELNS1_3gpuE0ELNS1_3repE0EEENS1_30default_config_static_selectorELNS0_4arch9wavefront6targetE0EEEvS12_.has_indirect_call, 0
	.section	.AMDGPU.csdata,"",@progbits
; Kernel info:
; codeLenInByte = 0
; TotalNumSgprs: 0
; NumVgprs: 0
; ScratchSize: 0
; MemoryBound: 0
; FloatMode: 240
; IeeeMode: 1
; LDSByteSize: 0 bytes/workgroup (compile time only)
; SGPRBlocks: 0
; VGPRBlocks: 0
; NumSGPRsForWavesPerEU: 1
; NumVGPRsForWavesPerEU: 1
; Occupancy: 16
; WaveLimiterHint : 0
; COMPUTE_PGM_RSRC2:SCRATCH_EN: 0
; COMPUTE_PGM_RSRC2:USER_SGPR: 6
; COMPUTE_PGM_RSRC2:TRAP_HANDLER: 0
; COMPUTE_PGM_RSRC2:TGID_X_EN: 1
; COMPUTE_PGM_RSRC2:TGID_Y_EN: 0
; COMPUTE_PGM_RSRC2:TGID_Z_EN: 0
; COMPUTE_PGM_RSRC2:TIDIG_COMP_CNT: 0
	.section	.text._ZN7rocprim17ROCPRIM_400000_NS6detail17trampoline_kernelINS0_13select_configILj256ELj13ELNS0_17block_load_methodE3ELS4_3ELS4_3ELNS0_20block_scan_algorithmE0ELj4294967295EEENS1_25partition_config_selectorILNS1_17partition_subalgoE4EjNS0_10empty_typeEbEEZZNS1_14partition_implILS8_4ELb0ES6_15HIP_vector_typeIjLj2EENS0_17counting_iteratorIjlEEPS9_SG_NS0_5tupleIJPjSI_NS0_16reverse_iteratorISI_EEEEENSH_IJSG_SG_SG_EEES9_SI_JZNS1_25segmented_radix_sort_implINS0_14default_configELb0EPKsPsPKlPlN2at6native12_GLOBAL__N_18offset_tEEE10hipError_tPvRmT1_PNSt15iterator_traitsIS12_E10value_typeET2_T3_PNS13_IS18_E10value_typeET4_jRbjT5_S1E_jjP12ihipStream_tbEUljE_ZNSN_ISO_Lb0ESQ_SR_ST_SU_SY_EESZ_S10_S11_S12_S16_S17_S18_S1B_S1C_jS1D_jS1E_S1E_jjS1G_bEUljE0_EEESZ_S10_S11_S18_S1C_S1E_T6_T7_T9_mT8_S1G_bDpT10_ENKUlT_T0_E_clISt17integral_constantIbLb0EES1U_EEDaS1P_S1Q_EUlS1P_E_NS1_11comp_targetILNS1_3genE5ELNS1_11target_archE942ELNS1_3gpuE9ELNS1_3repE0EEENS1_30default_config_static_selectorELNS0_4arch9wavefront6targetE0EEEvS12_,"axG",@progbits,_ZN7rocprim17ROCPRIM_400000_NS6detail17trampoline_kernelINS0_13select_configILj256ELj13ELNS0_17block_load_methodE3ELS4_3ELS4_3ELNS0_20block_scan_algorithmE0ELj4294967295EEENS1_25partition_config_selectorILNS1_17partition_subalgoE4EjNS0_10empty_typeEbEEZZNS1_14partition_implILS8_4ELb0ES6_15HIP_vector_typeIjLj2EENS0_17counting_iteratorIjlEEPS9_SG_NS0_5tupleIJPjSI_NS0_16reverse_iteratorISI_EEEEENSH_IJSG_SG_SG_EEES9_SI_JZNS1_25segmented_radix_sort_implINS0_14default_configELb0EPKsPsPKlPlN2at6native12_GLOBAL__N_18offset_tEEE10hipError_tPvRmT1_PNSt15iterator_traitsIS12_E10value_typeET2_T3_PNS13_IS18_E10value_typeET4_jRbjT5_S1E_jjP12ihipStream_tbEUljE_ZNSN_ISO_Lb0ESQ_SR_ST_SU_SY_EESZ_S10_S11_S12_S16_S17_S18_S1B_S1C_jS1D_jS1E_S1E_jjS1G_bEUljE0_EEESZ_S10_S11_S18_S1C_S1E_T6_T7_T9_mT8_S1G_bDpT10_ENKUlT_T0_E_clISt17integral_constantIbLb0EES1U_EEDaS1P_S1Q_EUlS1P_E_NS1_11comp_targetILNS1_3genE5ELNS1_11target_archE942ELNS1_3gpuE9ELNS1_3repE0EEENS1_30default_config_static_selectorELNS0_4arch9wavefront6targetE0EEEvS12_,comdat
	.globl	_ZN7rocprim17ROCPRIM_400000_NS6detail17trampoline_kernelINS0_13select_configILj256ELj13ELNS0_17block_load_methodE3ELS4_3ELS4_3ELNS0_20block_scan_algorithmE0ELj4294967295EEENS1_25partition_config_selectorILNS1_17partition_subalgoE4EjNS0_10empty_typeEbEEZZNS1_14partition_implILS8_4ELb0ES6_15HIP_vector_typeIjLj2EENS0_17counting_iteratorIjlEEPS9_SG_NS0_5tupleIJPjSI_NS0_16reverse_iteratorISI_EEEEENSH_IJSG_SG_SG_EEES9_SI_JZNS1_25segmented_radix_sort_implINS0_14default_configELb0EPKsPsPKlPlN2at6native12_GLOBAL__N_18offset_tEEE10hipError_tPvRmT1_PNSt15iterator_traitsIS12_E10value_typeET2_T3_PNS13_IS18_E10value_typeET4_jRbjT5_S1E_jjP12ihipStream_tbEUljE_ZNSN_ISO_Lb0ESQ_SR_ST_SU_SY_EESZ_S10_S11_S12_S16_S17_S18_S1B_S1C_jS1D_jS1E_S1E_jjS1G_bEUljE0_EEESZ_S10_S11_S18_S1C_S1E_T6_T7_T9_mT8_S1G_bDpT10_ENKUlT_T0_E_clISt17integral_constantIbLb0EES1U_EEDaS1P_S1Q_EUlS1P_E_NS1_11comp_targetILNS1_3genE5ELNS1_11target_archE942ELNS1_3gpuE9ELNS1_3repE0EEENS1_30default_config_static_selectorELNS0_4arch9wavefront6targetE0EEEvS12_ ; -- Begin function _ZN7rocprim17ROCPRIM_400000_NS6detail17trampoline_kernelINS0_13select_configILj256ELj13ELNS0_17block_load_methodE3ELS4_3ELS4_3ELNS0_20block_scan_algorithmE0ELj4294967295EEENS1_25partition_config_selectorILNS1_17partition_subalgoE4EjNS0_10empty_typeEbEEZZNS1_14partition_implILS8_4ELb0ES6_15HIP_vector_typeIjLj2EENS0_17counting_iteratorIjlEEPS9_SG_NS0_5tupleIJPjSI_NS0_16reverse_iteratorISI_EEEEENSH_IJSG_SG_SG_EEES9_SI_JZNS1_25segmented_radix_sort_implINS0_14default_configELb0EPKsPsPKlPlN2at6native12_GLOBAL__N_18offset_tEEE10hipError_tPvRmT1_PNSt15iterator_traitsIS12_E10value_typeET2_T3_PNS13_IS18_E10value_typeET4_jRbjT5_S1E_jjP12ihipStream_tbEUljE_ZNSN_ISO_Lb0ESQ_SR_ST_SU_SY_EESZ_S10_S11_S12_S16_S17_S18_S1B_S1C_jS1D_jS1E_S1E_jjS1G_bEUljE0_EEESZ_S10_S11_S18_S1C_S1E_T6_T7_T9_mT8_S1G_bDpT10_ENKUlT_T0_E_clISt17integral_constantIbLb0EES1U_EEDaS1P_S1Q_EUlS1P_E_NS1_11comp_targetILNS1_3genE5ELNS1_11target_archE942ELNS1_3gpuE9ELNS1_3repE0EEENS1_30default_config_static_selectorELNS0_4arch9wavefront6targetE0EEEvS12_
	.p2align	8
	.type	_ZN7rocprim17ROCPRIM_400000_NS6detail17trampoline_kernelINS0_13select_configILj256ELj13ELNS0_17block_load_methodE3ELS4_3ELS4_3ELNS0_20block_scan_algorithmE0ELj4294967295EEENS1_25partition_config_selectorILNS1_17partition_subalgoE4EjNS0_10empty_typeEbEEZZNS1_14partition_implILS8_4ELb0ES6_15HIP_vector_typeIjLj2EENS0_17counting_iteratorIjlEEPS9_SG_NS0_5tupleIJPjSI_NS0_16reverse_iteratorISI_EEEEENSH_IJSG_SG_SG_EEES9_SI_JZNS1_25segmented_radix_sort_implINS0_14default_configELb0EPKsPsPKlPlN2at6native12_GLOBAL__N_18offset_tEEE10hipError_tPvRmT1_PNSt15iterator_traitsIS12_E10value_typeET2_T3_PNS13_IS18_E10value_typeET4_jRbjT5_S1E_jjP12ihipStream_tbEUljE_ZNSN_ISO_Lb0ESQ_SR_ST_SU_SY_EESZ_S10_S11_S12_S16_S17_S18_S1B_S1C_jS1D_jS1E_S1E_jjS1G_bEUljE0_EEESZ_S10_S11_S18_S1C_S1E_T6_T7_T9_mT8_S1G_bDpT10_ENKUlT_T0_E_clISt17integral_constantIbLb0EES1U_EEDaS1P_S1Q_EUlS1P_E_NS1_11comp_targetILNS1_3genE5ELNS1_11target_archE942ELNS1_3gpuE9ELNS1_3repE0EEENS1_30default_config_static_selectorELNS0_4arch9wavefront6targetE0EEEvS12_,@function
_ZN7rocprim17ROCPRIM_400000_NS6detail17trampoline_kernelINS0_13select_configILj256ELj13ELNS0_17block_load_methodE3ELS4_3ELS4_3ELNS0_20block_scan_algorithmE0ELj4294967295EEENS1_25partition_config_selectorILNS1_17partition_subalgoE4EjNS0_10empty_typeEbEEZZNS1_14partition_implILS8_4ELb0ES6_15HIP_vector_typeIjLj2EENS0_17counting_iteratorIjlEEPS9_SG_NS0_5tupleIJPjSI_NS0_16reverse_iteratorISI_EEEEENSH_IJSG_SG_SG_EEES9_SI_JZNS1_25segmented_radix_sort_implINS0_14default_configELb0EPKsPsPKlPlN2at6native12_GLOBAL__N_18offset_tEEE10hipError_tPvRmT1_PNSt15iterator_traitsIS12_E10value_typeET2_T3_PNS13_IS18_E10value_typeET4_jRbjT5_S1E_jjP12ihipStream_tbEUljE_ZNSN_ISO_Lb0ESQ_SR_ST_SU_SY_EESZ_S10_S11_S12_S16_S17_S18_S1B_S1C_jS1D_jS1E_S1E_jjS1G_bEUljE0_EEESZ_S10_S11_S18_S1C_S1E_T6_T7_T9_mT8_S1G_bDpT10_ENKUlT_T0_E_clISt17integral_constantIbLb0EES1U_EEDaS1P_S1Q_EUlS1P_E_NS1_11comp_targetILNS1_3genE5ELNS1_11target_archE942ELNS1_3gpuE9ELNS1_3repE0EEENS1_30default_config_static_selectorELNS0_4arch9wavefront6targetE0EEEvS12_: ; @_ZN7rocprim17ROCPRIM_400000_NS6detail17trampoline_kernelINS0_13select_configILj256ELj13ELNS0_17block_load_methodE3ELS4_3ELS4_3ELNS0_20block_scan_algorithmE0ELj4294967295EEENS1_25partition_config_selectorILNS1_17partition_subalgoE4EjNS0_10empty_typeEbEEZZNS1_14partition_implILS8_4ELb0ES6_15HIP_vector_typeIjLj2EENS0_17counting_iteratorIjlEEPS9_SG_NS0_5tupleIJPjSI_NS0_16reverse_iteratorISI_EEEEENSH_IJSG_SG_SG_EEES9_SI_JZNS1_25segmented_radix_sort_implINS0_14default_configELb0EPKsPsPKlPlN2at6native12_GLOBAL__N_18offset_tEEE10hipError_tPvRmT1_PNSt15iterator_traitsIS12_E10value_typeET2_T3_PNS13_IS18_E10value_typeET4_jRbjT5_S1E_jjP12ihipStream_tbEUljE_ZNSN_ISO_Lb0ESQ_SR_ST_SU_SY_EESZ_S10_S11_S12_S16_S17_S18_S1B_S1C_jS1D_jS1E_S1E_jjS1G_bEUljE0_EEESZ_S10_S11_S18_S1C_S1E_T6_T7_T9_mT8_S1G_bDpT10_ENKUlT_T0_E_clISt17integral_constantIbLb0EES1U_EEDaS1P_S1Q_EUlS1P_E_NS1_11comp_targetILNS1_3genE5ELNS1_11target_archE942ELNS1_3gpuE9ELNS1_3repE0EEENS1_30default_config_static_selectorELNS0_4arch9wavefront6targetE0EEEvS12_
; %bb.0:
	.section	.rodata,"a",@progbits
	.p2align	6, 0x0
	.amdhsa_kernel _ZN7rocprim17ROCPRIM_400000_NS6detail17trampoline_kernelINS0_13select_configILj256ELj13ELNS0_17block_load_methodE3ELS4_3ELS4_3ELNS0_20block_scan_algorithmE0ELj4294967295EEENS1_25partition_config_selectorILNS1_17partition_subalgoE4EjNS0_10empty_typeEbEEZZNS1_14partition_implILS8_4ELb0ES6_15HIP_vector_typeIjLj2EENS0_17counting_iteratorIjlEEPS9_SG_NS0_5tupleIJPjSI_NS0_16reverse_iteratorISI_EEEEENSH_IJSG_SG_SG_EEES9_SI_JZNS1_25segmented_radix_sort_implINS0_14default_configELb0EPKsPsPKlPlN2at6native12_GLOBAL__N_18offset_tEEE10hipError_tPvRmT1_PNSt15iterator_traitsIS12_E10value_typeET2_T3_PNS13_IS18_E10value_typeET4_jRbjT5_S1E_jjP12ihipStream_tbEUljE_ZNSN_ISO_Lb0ESQ_SR_ST_SU_SY_EESZ_S10_S11_S12_S16_S17_S18_S1B_S1C_jS1D_jS1E_S1E_jjS1G_bEUljE0_EEESZ_S10_S11_S18_S1C_S1E_T6_T7_T9_mT8_S1G_bDpT10_ENKUlT_T0_E_clISt17integral_constantIbLb0EES1U_EEDaS1P_S1Q_EUlS1P_E_NS1_11comp_targetILNS1_3genE5ELNS1_11target_archE942ELNS1_3gpuE9ELNS1_3repE0EEENS1_30default_config_static_selectorELNS0_4arch9wavefront6targetE0EEEvS12_
		.amdhsa_group_segment_fixed_size 0
		.amdhsa_private_segment_fixed_size 0
		.amdhsa_kernarg_size 176
		.amdhsa_user_sgpr_count 6
		.amdhsa_user_sgpr_private_segment_buffer 1
		.amdhsa_user_sgpr_dispatch_ptr 0
		.amdhsa_user_sgpr_queue_ptr 0
		.amdhsa_user_sgpr_kernarg_segment_ptr 1
		.amdhsa_user_sgpr_dispatch_id 0
		.amdhsa_user_sgpr_flat_scratch_init 0
		.amdhsa_user_sgpr_private_segment_size 0
		.amdhsa_wavefront_size32 1
		.amdhsa_uses_dynamic_stack 0
		.amdhsa_system_sgpr_private_segment_wavefront_offset 0
		.amdhsa_system_sgpr_workgroup_id_x 1
		.amdhsa_system_sgpr_workgroup_id_y 0
		.amdhsa_system_sgpr_workgroup_id_z 0
		.amdhsa_system_sgpr_workgroup_info 0
		.amdhsa_system_vgpr_workitem_id 0
		.amdhsa_next_free_vgpr 1
		.amdhsa_next_free_sgpr 1
		.amdhsa_reserve_vcc 0
		.amdhsa_reserve_flat_scratch 0
		.amdhsa_float_round_mode_32 0
		.amdhsa_float_round_mode_16_64 0
		.amdhsa_float_denorm_mode_32 3
		.amdhsa_float_denorm_mode_16_64 3
		.amdhsa_dx10_clamp 1
		.amdhsa_ieee_mode 1
		.amdhsa_fp16_overflow 0
		.amdhsa_workgroup_processor_mode 1
		.amdhsa_memory_ordered 1
		.amdhsa_forward_progress 1
		.amdhsa_shared_vgpr_count 0
		.amdhsa_exception_fp_ieee_invalid_op 0
		.amdhsa_exception_fp_denorm_src 0
		.amdhsa_exception_fp_ieee_div_zero 0
		.amdhsa_exception_fp_ieee_overflow 0
		.amdhsa_exception_fp_ieee_underflow 0
		.amdhsa_exception_fp_ieee_inexact 0
		.amdhsa_exception_int_div_zero 0
	.end_amdhsa_kernel
	.section	.text._ZN7rocprim17ROCPRIM_400000_NS6detail17trampoline_kernelINS0_13select_configILj256ELj13ELNS0_17block_load_methodE3ELS4_3ELS4_3ELNS0_20block_scan_algorithmE0ELj4294967295EEENS1_25partition_config_selectorILNS1_17partition_subalgoE4EjNS0_10empty_typeEbEEZZNS1_14partition_implILS8_4ELb0ES6_15HIP_vector_typeIjLj2EENS0_17counting_iteratorIjlEEPS9_SG_NS0_5tupleIJPjSI_NS0_16reverse_iteratorISI_EEEEENSH_IJSG_SG_SG_EEES9_SI_JZNS1_25segmented_radix_sort_implINS0_14default_configELb0EPKsPsPKlPlN2at6native12_GLOBAL__N_18offset_tEEE10hipError_tPvRmT1_PNSt15iterator_traitsIS12_E10value_typeET2_T3_PNS13_IS18_E10value_typeET4_jRbjT5_S1E_jjP12ihipStream_tbEUljE_ZNSN_ISO_Lb0ESQ_SR_ST_SU_SY_EESZ_S10_S11_S12_S16_S17_S18_S1B_S1C_jS1D_jS1E_S1E_jjS1G_bEUljE0_EEESZ_S10_S11_S18_S1C_S1E_T6_T7_T9_mT8_S1G_bDpT10_ENKUlT_T0_E_clISt17integral_constantIbLb0EES1U_EEDaS1P_S1Q_EUlS1P_E_NS1_11comp_targetILNS1_3genE5ELNS1_11target_archE942ELNS1_3gpuE9ELNS1_3repE0EEENS1_30default_config_static_selectorELNS0_4arch9wavefront6targetE0EEEvS12_,"axG",@progbits,_ZN7rocprim17ROCPRIM_400000_NS6detail17trampoline_kernelINS0_13select_configILj256ELj13ELNS0_17block_load_methodE3ELS4_3ELS4_3ELNS0_20block_scan_algorithmE0ELj4294967295EEENS1_25partition_config_selectorILNS1_17partition_subalgoE4EjNS0_10empty_typeEbEEZZNS1_14partition_implILS8_4ELb0ES6_15HIP_vector_typeIjLj2EENS0_17counting_iteratorIjlEEPS9_SG_NS0_5tupleIJPjSI_NS0_16reverse_iteratorISI_EEEEENSH_IJSG_SG_SG_EEES9_SI_JZNS1_25segmented_radix_sort_implINS0_14default_configELb0EPKsPsPKlPlN2at6native12_GLOBAL__N_18offset_tEEE10hipError_tPvRmT1_PNSt15iterator_traitsIS12_E10value_typeET2_T3_PNS13_IS18_E10value_typeET4_jRbjT5_S1E_jjP12ihipStream_tbEUljE_ZNSN_ISO_Lb0ESQ_SR_ST_SU_SY_EESZ_S10_S11_S12_S16_S17_S18_S1B_S1C_jS1D_jS1E_S1E_jjS1G_bEUljE0_EEESZ_S10_S11_S18_S1C_S1E_T6_T7_T9_mT8_S1G_bDpT10_ENKUlT_T0_E_clISt17integral_constantIbLb0EES1U_EEDaS1P_S1Q_EUlS1P_E_NS1_11comp_targetILNS1_3genE5ELNS1_11target_archE942ELNS1_3gpuE9ELNS1_3repE0EEENS1_30default_config_static_selectorELNS0_4arch9wavefront6targetE0EEEvS12_,comdat
.Lfunc_end944:
	.size	_ZN7rocprim17ROCPRIM_400000_NS6detail17trampoline_kernelINS0_13select_configILj256ELj13ELNS0_17block_load_methodE3ELS4_3ELS4_3ELNS0_20block_scan_algorithmE0ELj4294967295EEENS1_25partition_config_selectorILNS1_17partition_subalgoE4EjNS0_10empty_typeEbEEZZNS1_14partition_implILS8_4ELb0ES6_15HIP_vector_typeIjLj2EENS0_17counting_iteratorIjlEEPS9_SG_NS0_5tupleIJPjSI_NS0_16reverse_iteratorISI_EEEEENSH_IJSG_SG_SG_EEES9_SI_JZNS1_25segmented_radix_sort_implINS0_14default_configELb0EPKsPsPKlPlN2at6native12_GLOBAL__N_18offset_tEEE10hipError_tPvRmT1_PNSt15iterator_traitsIS12_E10value_typeET2_T3_PNS13_IS18_E10value_typeET4_jRbjT5_S1E_jjP12ihipStream_tbEUljE_ZNSN_ISO_Lb0ESQ_SR_ST_SU_SY_EESZ_S10_S11_S12_S16_S17_S18_S1B_S1C_jS1D_jS1E_S1E_jjS1G_bEUljE0_EEESZ_S10_S11_S18_S1C_S1E_T6_T7_T9_mT8_S1G_bDpT10_ENKUlT_T0_E_clISt17integral_constantIbLb0EES1U_EEDaS1P_S1Q_EUlS1P_E_NS1_11comp_targetILNS1_3genE5ELNS1_11target_archE942ELNS1_3gpuE9ELNS1_3repE0EEENS1_30default_config_static_selectorELNS0_4arch9wavefront6targetE0EEEvS12_, .Lfunc_end944-_ZN7rocprim17ROCPRIM_400000_NS6detail17trampoline_kernelINS0_13select_configILj256ELj13ELNS0_17block_load_methodE3ELS4_3ELS4_3ELNS0_20block_scan_algorithmE0ELj4294967295EEENS1_25partition_config_selectorILNS1_17partition_subalgoE4EjNS0_10empty_typeEbEEZZNS1_14partition_implILS8_4ELb0ES6_15HIP_vector_typeIjLj2EENS0_17counting_iteratorIjlEEPS9_SG_NS0_5tupleIJPjSI_NS0_16reverse_iteratorISI_EEEEENSH_IJSG_SG_SG_EEES9_SI_JZNS1_25segmented_radix_sort_implINS0_14default_configELb0EPKsPsPKlPlN2at6native12_GLOBAL__N_18offset_tEEE10hipError_tPvRmT1_PNSt15iterator_traitsIS12_E10value_typeET2_T3_PNS13_IS18_E10value_typeET4_jRbjT5_S1E_jjP12ihipStream_tbEUljE_ZNSN_ISO_Lb0ESQ_SR_ST_SU_SY_EESZ_S10_S11_S12_S16_S17_S18_S1B_S1C_jS1D_jS1E_S1E_jjS1G_bEUljE0_EEESZ_S10_S11_S18_S1C_S1E_T6_T7_T9_mT8_S1G_bDpT10_ENKUlT_T0_E_clISt17integral_constantIbLb0EES1U_EEDaS1P_S1Q_EUlS1P_E_NS1_11comp_targetILNS1_3genE5ELNS1_11target_archE942ELNS1_3gpuE9ELNS1_3repE0EEENS1_30default_config_static_selectorELNS0_4arch9wavefront6targetE0EEEvS12_
                                        ; -- End function
	.set _ZN7rocprim17ROCPRIM_400000_NS6detail17trampoline_kernelINS0_13select_configILj256ELj13ELNS0_17block_load_methodE3ELS4_3ELS4_3ELNS0_20block_scan_algorithmE0ELj4294967295EEENS1_25partition_config_selectorILNS1_17partition_subalgoE4EjNS0_10empty_typeEbEEZZNS1_14partition_implILS8_4ELb0ES6_15HIP_vector_typeIjLj2EENS0_17counting_iteratorIjlEEPS9_SG_NS0_5tupleIJPjSI_NS0_16reverse_iteratorISI_EEEEENSH_IJSG_SG_SG_EEES9_SI_JZNS1_25segmented_radix_sort_implINS0_14default_configELb0EPKsPsPKlPlN2at6native12_GLOBAL__N_18offset_tEEE10hipError_tPvRmT1_PNSt15iterator_traitsIS12_E10value_typeET2_T3_PNS13_IS18_E10value_typeET4_jRbjT5_S1E_jjP12ihipStream_tbEUljE_ZNSN_ISO_Lb0ESQ_SR_ST_SU_SY_EESZ_S10_S11_S12_S16_S17_S18_S1B_S1C_jS1D_jS1E_S1E_jjS1G_bEUljE0_EEESZ_S10_S11_S18_S1C_S1E_T6_T7_T9_mT8_S1G_bDpT10_ENKUlT_T0_E_clISt17integral_constantIbLb0EES1U_EEDaS1P_S1Q_EUlS1P_E_NS1_11comp_targetILNS1_3genE5ELNS1_11target_archE942ELNS1_3gpuE9ELNS1_3repE0EEENS1_30default_config_static_selectorELNS0_4arch9wavefront6targetE0EEEvS12_.num_vgpr, 0
	.set _ZN7rocprim17ROCPRIM_400000_NS6detail17trampoline_kernelINS0_13select_configILj256ELj13ELNS0_17block_load_methodE3ELS4_3ELS4_3ELNS0_20block_scan_algorithmE0ELj4294967295EEENS1_25partition_config_selectorILNS1_17partition_subalgoE4EjNS0_10empty_typeEbEEZZNS1_14partition_implILS8_4ELb0ES6_15HIP_vector_typeIjLj2EENS0_17counting_iteratorIjlEEPS9_SG_NS0_5tupleIJPjSI_NS0_16reverse_iteratorISI_EEEEENSH_IJSG_SG_SG_EEES9_SI_JZNS1_25segmented_radix_sort_implINS0_14default_configELb0EPKsPsPKlPlN2at6native12_GLOBAL__N_18offset_tEEE10hipError_tPvRmT1_PNSt15iterator_traitsIS12_E10value_typeET2_T3_PNS13_IS18_E10value_typeET4_jRbjT5_S1E_jjP12ihipStream_tbEUljE_ZNSN_ISO_Lb0ESQ_SR_ST_SU_SY_EESZ_S10_S11_S12_S16_S17_S18_S1B_S1C_jS1D_jS1E_S1E_jjS1G_bEUljE0_EEESZ_S10_S11_S18_S1C_S1E_T6_T7_T9_mT8_S1G_bDpT10_ENKUlT_T0_E_clISt17integral_constantIbLb0EES1U_EEDaS1P_S1Q_EUlS1P_E_NS1_11comp_targetILNS1_3genE5ELNS1_11target_archE942ELNS1_3gpuE9ELNS1_3repE0EEENS1_30default_config_static_selectorELNS0_4arch9wavefront6targetE0EEEvS12_.num_agpr, 0
	.set _ZN7rocprim17ROCPRIM_400000_NS6detail17trampoline_kernelINS0_13select_configILj256ELj13ELNS0_17block_load_methodE3ELS4_3ELS4_3ELNS0_20block_scan_algorithmE0ELj4294967295EEENS1_25partition_config_selectorILNS1_17partition_subalgoE4EjNS0_10empty_typeEbEEZZNS1_14partition_implILS8_4ELb0ES6_15HIP_vector_typeIjLj2EENS0_17counting_iteratorIjlEEPS9_SG_NS0_5tupleIJPjSI_NS0_16reverse_iteratorISI_EEEEENSH_IJSG_SG_SG_EEES9_SI_JZNS1_25segmented_radix_sort_implINS0_14default_configELb0EPKsPsPKlPlN2at6native12_GLOBAL__N_18offset_tEEE10hipError_tPvRmT1_PNSt15iterator_traitsIS12_E10value_typeET2_T3_PNS13_IS18_E10value_typeET4_jRbjT5_S1E_jjP12ihipStream_tbEUljE_ZNSN_ISO_Lb0ESQ_SR_ST_SU_SY_EESZ_S10_S11_S12_S16_S17_S18_S1B_S1C_jS1D_jS1E_S1E_jjS1G_bEUljE0_EEESZ_S10_S11_S18_S1C_S1E_T6_T7_T9_mT8_S1G_bDpT10_ENKUlT_T0_E_clISt17integral_constantIbLb0EES1U_EEDaS1P_S1Q_EUlS1P_E_NS1_11comp_targetILNS1_3genE5ELNS1_11target_archE942ELNS1_3gpuE9ELNS1_3repE0EEENS1_30default_config_static_selectorELNS0_4arch9wavefront6targetE0EEEvS12_.numbered_sgpr, 0
	.set _ZN7rocprim17ROCPRIM_400000_NS6detail17trampoline_kernelINS0_13select_configILj256ELj13ELNS0_17block_load_methodE3ELS4_3ELS4_3ELNS0_20block_scan_algorithmE0ELj4294967295EEENS1_25partition_config_selectorILNS1_17partition_subalgoE4EjNS0_10empty_typeEbEEZZNS1_14partition_implILS8_4ELb0ES6_15HIP_vector_typeIjLj2EENS0_17counting_iteratorIjlEEPS9_SG_NS0_5tupleIJPjSI_NS0_16reverse_iteratorISI_EEEEENSH_IJSG_SG_SG_EEES9_SI_JZNS1_25segmented_radix_sort_implINS0_14default_configELb0EPKsPsPKlPlN2at6native12_GLOBAL__N_18offset_tEEE10hipError_tPvRmT1_PNSt15iterator_traitsIS12_E10value_typeET2_T3_PNS13_IS18_E10value_typeET4_jRbjT5_S1E_jjP12ihipStream_tbEUljE_ZNSN_ISO_Lb0ESQ_SR_ST_SU_SY_EESZ_S10_S11_S12_S16_S17_S18_S1B_S1C_jS1D_jS1E_S1E_jjS1G_bEUljE0_EEESZ_S10_S11_S18_S1C_S1E_T6_T7_T9_mT8_S1G_bDpT10_ENKUlT_T0_E_clISt17integral_constantIbLb0EES1U_EEDaS1P_S1Q_EUlS1P_E_NS1_11comp_targetILNS1_3genE5ELNS1_11target_archE942ELNS1_3gpuE9ELNS1_3repE0EEENS1_30default_config_static_selectorELNS0_4arch9wavefront6targetE0EEEvS12_.num_named_barrier, 0
	.set _ZN7rocprim17ROCPRIM_400000_NS6detail17trampoline_kernelINS0_13select_configILj256ELj13ELNS0_17block_load_methodE3ELS4_3ELS4_3ELNS0_20block_scan_algorithmE0ELj4294967295EEENS1_25partition_config_selectorILNS1_17partition_subalgoE4EjNS0_10empty_typeEbEEZZNS1_14partition_implILS8_4ELb0ES6_15HIP_vector_typeIjLj2EENS0_17counting_iteratorIjlEEPS9_SG_NS0_5tupleIJPjSI_NS0_16reverse_iteratorISI_EEEEENSH_IJSG_SG_SG_EEES9_SI_JZNS1_25segmented_radix_sort_implINS0_14default_configELb0EPKsPsPKlPlN2at6native12_GLOBAL__N_18offset_tEEE10hipError_tPvRmT1_PNSt15iterator_traitsIS12_E10value_typeET2_T3_PNS13_IS18_E10value_typeET4_jRbjT5_S1E_jjP12ihipStream_tbEUljE_ZNSN_ISO_Lb0ESQ_SR_ST_SU_SY_EESZ_S10_S11_S12_S16_S17_S18_S1B_S1C_jS1D_jS1E_S1E_jjS1G_bEUljE0_EEESZ_S10_S11_S18_S1C_S1E_T6_T7_T9_mT8_S1G_bDpT10_ENKUlT_T0_E_clISt17integral_constantIbLb0EES1U_EEDaS1P_S1Q_EUlS1P_E_NS1_11comp_targetILNS1_3genE5ELNS1_11target_archE942ELNS1_3gpuE9ELNS1_3repE0EEENS1_30default_config_static_selectorELNS0_4arch9wavefront6targetE0EEEvS12_.private_seg_size, 0
	.set _ZN7rocprim17ROCPRIM_400000_NS6detail17trampoline_kernelINS0_13select_configILj256ELj13ELNS0_17block_load_methodE3ELS4_3ELS4_3ELNS0_20block_scan_algorithmE0ELj4294967295EEENS1_25partition_config_selectorILNS1_17partition_subalgoE4EjNS0_10empty_typeEbEEZZNS1_14partition_implILS8_4ELb0ES6_15HIP_vector_typeIjLj2EENS0_17counting_iteratorIjlEEPS9_SG_NS0_5tupleIJPjSI_NS0_16reverse_iteratorISI_EEEEENSH_IJSG_SG_SG_EEES9_SI_JZNS1_25segmented_radix_sort_implINS0_14default_configELb0EPKsPsPKlPlN2at6native12_GLOBAL__N_18offset_tEEE10hipError_tPvRmT1_PNSt15iterator_traitsIS12_E10value_typeET2_T3_PNS13_IS18_E10value_typeET4_jRbjT5_S1E_jjP12ihipStream_tbEUljE_ZNSN_ISO_Lb0ESQ_SR_ST_SU_SY_EESZ_S10_S11_S12_S16_S17_S18_S1B_S1C_jS1D_jS1E_S1E_jjS1G_bEUljE0_EEESZ_S10_S11_S18_S1C_S1E_T6_T7_T9_mT8_S1G_bDpT10_ENKUlT_T0_E_clISt17integral_constantIbLb0EES1U_EEDaS1P_S1Q_EUlS1P_E_NS1_11comp_targetILNS1_3genE5ELNS1_11target_archE942ELNS1_3gpuE9ELNS1_3repE0EEENS1_30default_config_static_selectorELNS0_4arch9wavefront6targetE0EEEvS12_.uses_vcc, 0
	.set _ZN7rocprim17ROCPRIM_400000_NS6detail17trampoline_kernelINS0_13select_configILj256ELj13ELNS0_17block_load_methodE3ELS4_3ELS4_3ELNS0_20block_scan_algorithmE0ELj4294967295EEENS1_25partition_config_selectorILNS1_17partition_subalgoE4EjNS0_10empty_typeEbEEZZNS1_14partition_implILS8_4ELb0ES6_15HIP_vector_typeIjLj2EENS0_17counting_iteratorIjlEEPS9_SG_NS0_5tupleIJPjSI_NS0_16reverse_iteratorISI_EEEEENSH_IJSG_SG_SG_EEES9_SI_JZNS1_25segmented_radix_sort_implINS0_14default_configELb0EPKsPsPKlPlN2at6native12_GLOBAL__N_18offset_tEEE10hipError_tPvRmT1_PNSt15iterator_traitsIS12_E10value_typeET2_T3_PNS13_IS18_E10value_typeET4_jRbjT5_S1E_jjP12ihipStream_tbEUljE_ZNSN_ISO_Lb0ESQ_SR_ST_SU_SY_EESZ_S10_S11_S12_S16_S17_S18_S1B_S1C_jS1D_jS1E_S1E_jjS1G_bEUljE0_EEESZ_S10_S11_S18_S1C_S1E_T6_T7_T9_mT8_S1G_bDpT10_ENKUlT_T0_E_clISt17integral_constantIbLb0EES1U_EEDaS1P_S1Q_EUlS1P_E_NS1_11comp_targetILNS1_3genE5ELNS1_11target_archE942ELNS1_3gpuE9ELNS1_3repE0EEENS1_30default_config_static_selectorELNS0_4arch9wavefront6targetE0EEEvS12_.uses_flat_scratch, 0
	.set _ZN7rocprim17ROCPRIM_400000_NS6detail17trampoline_kernelINS0_13select_configILj256ELj13ELNS0_17block_load_methodE3ELS4_3ELS4_3ELNS0_20block_scan_algorithmE0ELj4294967295EEENS1_25partition_config_selectorILNS1_17partition_subalgoE4EjNS0_10empty_typeEbEEZZNS1_14partition_implILS8_4ELb0ES6_15HIP_vector_typeIjLj2EENS0_17counting_iteratorIjlEEPS9_SG_NS0_5tupleIJPjSI_NS0_16reverse_iteratorISI_EEEEENSH_IJSG_SG_SG_EEES9_SI_JZNS1_25segmented_radix_sort_implINS0_14default_configELb0EPKsPsPKlPlN2at6native12_GLOBAL__N_18offset_tEEE10hipError_tPvRmT1_PNSt15iterator_traitsIS12_E10value_typeET2_T3_PNS13_IS18_E10value_typeET4_jRbjT5_S1E_jjP12ihipStream_tbEUljE_ZNSN_ISO_Lb0ESQ_SR_ST_SU_SY_EESZ_S10_S11_S12_S16_S17_S18_S1B_S1C_jS1D_jS1E_S1E_jjS1G_bEUljE0_EEESZ_S10_S11_S18_S1C_S1E_T6_T7_T9_mT8_S1G_bDpT10_ENKUlT_T0_E_clISt17integral_constantIbLb0EES1U_EEDaS1P_S1Q_EUlS1P_E_NS1_11comp_targetILNS1_3genE5ELNS1_11target_archE942ELNS1_3gpuE9ELNS1_3repE0EEENS1_30default_config_static_selectorELNS0_4arch9wavefront6targetE0EEEvS12_.has_dyn_sized_stack, 0
	.set _ZN7rocprim17ROCPRIM_400000_NS6detail17trampoline_kernelINS0_13select_configILj256ELj13ELNS0_17block_load_methodE3ELS4_3ELS4_3ELNS0_20block_scan_algorithmE0ELj4294967295EEENS1_25partition_config_selectorILNS1_17partition_subalgoE4EjNS0_10empty_typeEbEEZZNS1_14partition_implILS8_4ELb0ES6_15HIP_vector_typeIjLj2EENS0_17counting_iteratorIjlEEPS9_SG_NS0_5tupleIJPjSI_NS0_16reverse_iteratorISI_EEEEENSH_IJSG_SG_SG_EEES9_SI_JZNS1_25segmented_radix_sort_implINS0_14default_configELb0EPKsPsPKlPlN2at6native12_GLOBAL__N_18offset_tEEE10hipError_tPvRmT1_PNSt15iterator_traitsIS12_E10value_typeET2_T3_PNS13_IS18_E10value_typeET4_jRbjT5_S1E_jjP12ihipStream_tbEUljE_ZNSN_ISO_Lb0ESQ_SR_ST_SU_SY_EESZ_S10_S11_S12_S16_S17_S18_S1B_S1C_jS1D_jS1E_S1E_jjS1G_bEUljE0_EEESZ_S10_S11_S18_S1C_S1E_T6_T7_T9_mT8_S1G_bDpT10_ENKUlT_T0_E_clISt17integral_constantIbLb0EES1U_EEDaS1P_S1Q_EUlS1P_E_NS1_11comp_targetILNS1_3genE5ELNS1_11target_archE942ELNS1_3gpuE9ELNS1_3repE0EEENS1_30default_config_static_selectorELNS0_4arch9wavefront6targetE0EEEvS12_.has_recursion, 0
	.set _ZN7rocprim17ROCPRIM_400000_NS6detail17trampoline_kernelINS0_13select_configILj256ELj13ELNS0_17block_load_methodE3ELS4_3ELS4_3ELNS0_20block_scan_algorithmE0ELj4294967295EEENS1_25partition_config_selectorILNS1_17partition_subalgoE4EjNS0_10empty_typeEbEEZZNS1_14partition_implILS8_4ELb0ES6_15HIP_vector_typeIjLj2EENS0_17counting_iteratorIjlEEPS9_SG_NS0_5tupleIJPjSI_NS0_16reverse_iteratorISI_EEEEENSH_IJSG_SG_SG_EEES9_SI_JZNS1_25segmented_radix_sort_implINS0_14default_configELb0EPKsPsPKlPlN2at6native12_GLOBAL__N_18offset_tEEE10hipError_tPvRmT1_PNSt15iterator_traitsIS12_E10value_typeET2_T3_PNS13_IS18_E10value_typeET4_jRbjT5_S1E_jjP12ihipStream_tbEUljE_ZNSN_ISO_Lb0ESQ_SR_ST_SU_SY_EESZ_S10_S11_S12_S16_S17_S18_S1B_S1C_jS1D_jS1E_S1E_jjS1G_bEUljE0_EEESZ_S10_S11_S18_S1C_S1E_T6_T7_T9_mT8_S1G_bDpT10_ENKUlT_T0_E_clISt17integral_constantIbLb0EES1U_EEDaS1P_S1Q_EUlS1P_E_NS1_11comp_targetILNS1_3genE5ELNS1_11target_archE942ELNS1_3gpuE9ELNS1_3repE0EEENS1_30default_config_static_selectorELNS0_4arch9wavefront6targetE0EEEvS12_.has_indirect_call, 0
	.section	.AMDGPU.csdata,"",@progbits
; Kernel info:
; codeLenInByte = 0
; TotalNumSgprs: 0
; NumVgprs: 0
; ScratchSize: 0
; MemoryBound: 0
; FloatMode: 240
; IeeeMode: 1
; LDSByteSize: 0 bytes/workgroup (compile time only)
; SGPRBlocks: 0
; VGPRBlocks: 0
; NumSGPRsForWavesPerEU: 1
; NumVGPRsForWavesPerEU: 1
; Occupancy: 16
; WaveLimiterHint : 0
; COMPUTE_PGM_RSRC2:SCRATCH_EN: 0
; COMPUTE_PGM_RSRC2:USER_SGPR: 6
; COMPUTE_PGM_RSRC2:TRAP_HANDLER: 0
; COMPUTE_PGM_RSRC2:TGID_X_EN: 1
; COMPUTE_PGM_RSRC2:TGID_Y_EN: 0
; COMPUTE_PGM_RSRC2:TGID_Z_EN: 0
; COMPUTE_PGM_RSRC2:TIDIG_COMP_CNT: 0
	.section	.text._ZN7rocprim17ROCPRIM_400000_NS6detail17trampoline_kernelINS0_13select_configILj256ELj13ELNS0_17block_load_methodE3ELS4_3ELS4_3ELNS0_20block_scan_algorithmE0ELj4294967295EEENS1_25partition_config_selectorILNS1_17partition_subalgoE4EjNS0_10empty_typeEbEEZZNS1_14partition_implILS8_4ELb0ES6_15HIP_vector_typeIjLj2EENS0_17counting_iteratorIjlEEPS9_SG_NS0_5tupleIJPjSI_NS0_16reverse_iteratorISI_EEEEENSH_IJSG_SG_SG_EEES9_SI_JZNS1_25segmented_radix_sort_implINS0_14default_configELb0EPKsPsPKlPlN2at6native12_GLOBAL__N_18offset_tEEE10hipError_tPvRmT1_PNSt15iterator_traitsIS12_E10value_typeET2_T3_PNS13_IS18_E10value_typeET4_jRbjT5_S1E_jjP12ihipStream_tbEUljE_ZNSN_ISO_Lb0ESQ_SR_ST_SU_SY_EESZ_S10_S11_S12_S16_S17_S18_S1B_S1C_jS1D_jS1E_S1E_jjS1G_bEUljE0_EEESZ_S10_S11_S18_S1C_S1E_T6_T7_T9_mT8_S1G_bDpT10_ENKUlT_T0_E_clISt17integral_constantIbLb0EES1U_EEDaS1P_S1Q_EUlS1P_E_NS1_11comp_targetILNS1_3genE4ELNS1_11target_archE910ELNS1_3gpuE8ELNS1_3repE0EEENS1_30default_config_static_selectorELNS0_4arch9wavefront6targetE0EEEvS12_,"axG",@progbits,_ZN7rocprim17ROCPRIM_400000_NS6detail17trampoline_kernelINS0_13select_configILj256ELj13ELNS0_17block_load_methodE3ELS4_3ELS4_3ELNS0_20block_scan_algorithmE0ELj4294967295EEENS1_25partition_config_selectorILNS1_17partition_subalgoE4EjNS0_10empty_typeEbEEZZNS1_14partition_implILS8_4ELb0ES6_15HIP_vector_typeIjLj2EENS0_17counting_iteratorIjlEEPS9_SG_NS0_5tupleIJPjSI_NS0_16reverse_iteratorISI_EEEEENSH_IJSG_SG_SG_EEES9_SI_JZNS1_25segmented_radix_sort_implINS0_14default_configELb0EPKsPsPKlPlN2at6native12_GLOBAL__N_18offset_tEEE10hipError_tPvRmT1_PNSt15iterator_traitsIS12_E10value_typeET2_T3_PNS13_IS18_E10value_typeET4_jRbjT5_S1E_jjP12ihipStream_tbEUljE_ZNSN_ISO_Lb0ESQ_SR_ST_SU_SY_EESZ_S10_S11_S12_S16_S17_S18_S1B_S1C_jS1D_jS1E_S1E_jjS1G_bEUljE0_EEESZ_S10_S11_S18_S1C_S1E_T6_T7_T9_mT8_S1G_bDpT10_ENKUlT_T0_E_clISt17integral_constantIbLb0EES1U_EEDaS1P_S1Q_EUlS1P_E_NS1_11comp_targetILNS1_3genE4ELNS1_11target_archE910ELNS1_3gpuE8ELNS1_3repE0EEENS1_30default_config_static_selectorELNS0_4arch9wavefront6targetE0EEEvS12_,comdat
	.globl	_ZN7rocprim17ROCPRIM_400000_NS6detail17trampoline_kernelINS0_13select_configILj256ELj13ELNS0_17block_load_methodE3ELS4_3ELS4_3ELNS0_20block_scan_algorithmE0ELj4294967295EEENS1_25partition_config_selectorILNS1_17partition_subalgoE4EjNS0_10empty_typeEbEEZZNS1_14partition_implILS8_4ELb0ES6_15HIP_vector_typeIjLj2EENS0_17counting_iteratorIjlEEPS9_SG_NS0_5tupleIJPjSI_NS0_16reverse_iteratorISI_EEEEENSH_IJSG_SG_SG_EEES9_SI_JZNS1_25segmented_radix_sort_implINS0_14default_configELb0EPKsPsPKlPlN2at6native12_GLOBAL__N_18offset_tEEE10hipError_tPvRmT1_PNSt15iterator_traitsIS12_E10value_typeET2_T3_PNS13_IS18_E10value_typeET4_jRbjT5_S1E_jjP12ihipStream_tbEUljE_ZNSN_ISO_Lb0ESQ_SR_ST_SU_SY_EESZ_S10_S11_S12_S16_S17_S18_S1B_S1C_jS1D_jS1E_S1E_jjS1G_bEUljE0_EEESZ_S10_S11_S18_S1C_S1E_T6_T7_T9_mT8_S1G_bDpT10_ENKUlT_T0_E_clISt17integral_constantIbLb0EES1U_EEDaS1P_S1Q_EUlS1P_E_NS1_11comp_targetILNS1_3genE4ELNS1_11target_archE910ELNS1_3gpuE8ELNS1_3repE0EEENS1_30default_config_static_selectorELNS0_4arch9wavefront6targetE0EEEvS12_ ; -- Begin function _ZN7rocprim17ROCPRIM_400000_NS6detail17trampoline_kernelINS0_13select_configILj256ELj13ELNS0_17block_load_methodE3ELS4_3ELS4_3ELNS0_20block_scan_algorithmE0ELj4294967295EEENS1_25partition_config_selectorILNS1_17partition_subalgoE4EjNS0_10empty_typeEbEEZZNS1_14partition_implILS8_4ELb0ES6_15HIP_vector_typeIjLj2EENS0_17counting_iteratorIjlEEPS9_SG_NS0_5tupleIJPjSI_NS0_16reverse_iteratorISI_EEEEENSH_IJSG_SG_SG_EEES9_SI_JZNS1_25segmented_radix_sort_implINS0_14default_configELb0EPKsPsPKlPlN2at6native12_GLOBAL__N_18offset_tEEE10hipError_tPvRmT1_PNSt15iterator_traitsIS12_E10value_typeET2_T3_PNS13_IS18_E10value_typeET4_jRbjT5_S1E_jjP12ihipStream_tbEUljE_ZNSN_ISO_Lb0ESQ_SR_ST_SU_SY_EESZ_S10_S11_S12_S16_S17_S18_S1B_S1C_jS1D_jS1E_S1E_jjS1G_bEUljE0_EEESZ_S10_S11_S18_S1C_S1E_T6_T7_T9_mT8_S1G_bDpT10_ENKUlT_T0_E_clISt17integral_constantIbLb0EES1U_EEDaS1P_S1Q_EUlS1P_E_NS1_11comp_targetILNS1_3genE4ELNS1_11target_archE910ELNS1_3gpuE8ELNS1_3repE0EEENS1_30default_config_static_selectorELNS0_4arch9wavefront6targetE0EEEvS12_
	.p2align	8
	.type	_ZN7rocprim17ROCPRIM_400000_NS6detail17trampoline_kernelINS0_13select_configILj256ELj13ELNS0_17block_load_methodE3ELS4_3ELS4_3ELNS0_20block_scan_algorithmE0ELj4294967295EEENS1_25partition_config_selectorILNS1_17partition_subalgoE4EjNS0_10empty_typeEbEEZZNS1_14partition_implILS8_4ELb0ES6_15HIP_vector_typeIjLj2EENS0_17counting_iteratorIjlEEPS9_SG_NS0_5tupleIJPjSI_NS0_16reverse_iteratorISI_EEEEENSH_IJSG_SG_SG_EEES9_SI_JZNS1_25segmented_radix_sort_implINS0_14default_configELb0EPKsPsPKlPlN2at6native12_GLOBAL__N_18offset_tEEE10hipError_tPvRmT1_PNSt15iterator_traitsIS12_E10value_typeET2_T3_PNS13_IS18_E10value_typeET4_jRbjT5_S1E_jjP12ihipStream_tbEUljE_ZNSN_ISO_Lb0ESQ_SR_ST_SU_SY_EESZ_S10_S11_S12_S16_S17_S18_S1B_S1C_jS1D_jS1E_S1E_jjS1G_bEUljE0_EEESZ_S10_S11_S18_S1C_S1E_T6_T7_T9_mT8_S1G_bDpT10_ENKUlT_T0_E_clISt17integral_constantIbLb0EES1U_EEDaS1P_S1Q_EUlS1P_E_NS1_11comp_targetILNS1_3genE4ELNS1_11target_archE910ELNS1_3gpuE8ELNS1_3repE0EEENS1_30default_config_static_selectorELNS0_4arch9wavefront6targetE0EEEvS12_,@function
_ZN7rocprim17ROCPRIM_400000_NS6detail17trampoline_kernelINS0_13select_configILj256ELj13ELNS0_17block_load_methodE3ELS4_3ELS4_3ELNS0_20block_scan_algorithmE0ELj4294967295EEENS1_25partition_config_selectorILNS1_17partition_subalgoE4EjNS0_10empty_typeEbEEZZNS1_14partition_implILS8_4ELb0ES6_15HIP_vector_typeIjLj2EENS0_17counting_iteratorIjlEEPS9_SG_NS0_5tupleIJPjSI_NS0_16reverse_iteratorISI_EEEEENSH_IJSG_SG_SG_EEES9_SI_JZNS1_25segmented_radix_sort_implINS0_14default_configELb0EPKsPsPKlPlN2at6native12_GLOBAL__N_18offset_tEEE10hipError_tPvRmT1_PNSt15iterator_traitsIS12_E10value_typeET2_T3_PNS13_IS18_E10value_typeET4_jRbjT5_S1E_jjP12ihipStream_tbEUljE_ZNSN_ISO_Lb0ESQ_SR_ST_SU_SY_EESZ_S10_S11_S12_S16_S17_S18_S1B_S1C_jS1D_jS1E_S1E_jjS1G_bEUljE0_EEESZ_S10_S11_S18_S1C_S1E_T6_T7_T9_mT8_S1G_bDpT10_ENKUlT_T0_E_clISt17integral_constantIbLb0EES1U_EEDaS1P_S1Q_EUlS1P_E_NS1_11comp_targetILNS1_3genE4ELNS1_11target_archE910ELNS1_3gpuE8ELNS1_3repE0EEENS1_30default_config_static_selectorELNS0_4arch9wavefront6targetE0EEEvS12_: ; @_ZN7rocprim17ROCPRIM_400000_NS6detail17trampoline_kernelINS0_13select_configILj256ELj13ELNS0_17block_load_methodE3ELS4_3ELS4_3ELNS0_20block_scan_algorithmE0ELj4294967295EEENS1_25partition_config_selectorILNS1_17partition_subalgoE4EjNS0_10empty_typeEbEEZZNS1_14partition_implILS8_4ELb0ES6_15HIP_vector_typeIjLj2EENS0_17counting_iteratorIjlEEPS9_SG_NS0_5tupleIJPjSI_NS0_16reverse_iteratorISI_EEEEENSH_IJSG_SG_SG_EEES9_SI_JZNS1_25segmented_radix_sort_implINS0_14default_configELb0EPKsPsPKlPlN2at6native12_GLOBAL__N_18offset_tEEE10hipError_tPvRmT1_PNSt15iterator_traitsIS12_E10value_typeET2_T3_PNS13_IS18_E10value_typeET4_jRbjT5_S1E_jjP12ihipStream_tbEUljE_ZNSN_ISO_Lb0ESQ_SR_ST_SU_SY_EESZ_S10_S11_S12_S16_S17_S18_S1B_S1C_jS1D_jS1E_S1E_jjS1G_bEUljE0_EEESZ_S10_S11_S18_S1C_S1E_T6_T7_T9_mT8_S1G_bDpT10_ENKUlT_T0_E_clISt17integral_constantIbLb0EES1U_EEDaS1P_S1Q_EUlS1P_E_NS1_11comp_targetILNS1_3genE4ELNS1_11target_archE910ELNS1_3gpuE8ELNS1_3repE0EEENS1_30default_config_static_selectorELNS0_4arch9wavefront6targetE0EEEvS12_
; %bb.0:
	.section	.rodata,"a",@progbits
	.p2align	6, 0x0
	.amdhsa_kernel _ZN7rocprim17ROCPRIM_400000_NS6detail17trampoline_kernelINS0_13select_configILj256ELj13ELNS0_17block_load_methodE3ELS4_3ELS4_3ELNS0_20block_scan_algorithmE0ELj4294967295EEENS1_25partition_config_selectorILNS1_17partition_subalgoE4EjNS0_10empty_typeEbEEZZNS1_14partition_implILS8_4ELb0ES6_15HIP_vector_typeIjLj2EENS0_17counting_iteratorIjlEEPS9_SG_NS0_5tupleIJPjSI_NS0_16reverse_iteratorISI_EEEEENSH_IJSG_SG_SG_EEES9_SI_JZNS1_25segmented_radix_sort_implINS0_14default_configELb0EPKsPsPKlPlN2at6native12_GLOBAL__N_18offset_tEEE10hipError_tPvRmT1_PNSt15iterator_traitsIS12_E10value_typeET2_T3_PNS13_IS18_E10value_typeET4_jRbjT5_S1E_jjP12ihipStream_tbEUljE_ZNSN_ISO_Lb0ESQ_SR_ST_SU_SY_EESZ_S10_S11_S12_S16_S17_S18_S1B_S1C_jS1D_jS1E_S1E_jjS1G_bEUljE0_EEESZ_S10_S11_S18_S1C_S1E_T6_T7_T9_mT8_S1G_bDpT10_ENKUlT_T0_E_clISt17integral_constantIbLb0EES1U_EEDaS1P_S1Q_EUlS1P_E_NS1_11comp_targetILNS1_3genE4ELNS1_11target_archE910ELNS1_3gpuE8ELNS1_3repE0EEENS1_30default_config_static_selectorELNS0_4arch9wavefront6targetE0EEEvS12_
		.amdhsa_group_segment_fixed_size 0
		.amdhsa_private_segment_fixed_size 0
		.amdhsa_kernarg_size 176
		.amdhsa_user_sgpr_count 6
		.amdhsa_user_sgpr_private_segment_buffer 1
		.amdhsa_user_sgpr_dispatch_ptr 0
		.amdhsa_user_sgpr_queue_ptr 0
		.amdhsa_user_sgpr_kernarg_segment_ptr 1
		.amdhsa_user_sgpr_dispatch_id 0
		.amdhsa_user_sgpr_flat_scratch_init 0
		.amdhsa_user_sgpr_private_segment_size 0
		.amdhsa_wavefront_size32 1
		.amdhsa_uses_dynamic_stack 0
		.amdhsa_system_sgpr_private_segment_wavefront_offset 0
		.amdhsa_system_sgpr_workgroup_id_x 1
		.amdhsa_system_sgpr_workgroup_id_y 0
		.amdhsa_system_sgpr_workgroup_id_z 0
		.amdhsa_system_sgpr_workgroup_info 0
		.amdhsa_system_vgpr_workitem_id 0
		.amdhsa_next_free_vgpr 1
		.amdhsa_next_free_sgpr 1
		.amdhsa_reserve_vcc 0
		.amdhsa_reserve_flat_scratch 0
		.amdhsa_float_round_mode_32 0
		.amdhsa_float_round_mode_16_64 0
		.amdhsa_float_denorm_mode_32 3
		.amdhsa_float_denorm_mode_16_64 3
		.amdhsa_dx10_clamp 1
		.amdhsa_ieee_mode 1
		.amdhsa_fp16_overflow 0
		.amdhsa_workgroup_processor_mode 1
		.amdhsa_memory_ordered 1
		.amdhsa_forward_progress 1
		.amdhsa_shared_vgpr_count 0
		.amdhsa_exception_fp_ieee_invalid_op 0
		.amdhsa_exception_fp_denorm_src 0
		.amdhsa_exception_fp_ieee_div_zero 0
		.amdhsa_exception_fp_ieee_overflow 0
		.amdhsa_exception_fp_ieee_underflow 0
		.amdhsa_exception_fp_ieee_inexact 0
		.amdhsa_exception_int_div_zero 0
	.end_amdhsa_kernel
	.section	.text._ZN7rocprim17ROCPRIM_400000_NS6detail17trampoline_kernelINS0_13select_configILj256ELj13ELNS0_17block_load_methodE3ELS4_3ELS4_3ELNS0_20block_scan_algorithmE0ELj4294967295EEENS1_25partition_config_selectorILNS1_17partition_subalgoE4EjNS0_10empty_typeEbEEZZNS1_14partition_implILS8_4ELb0ES6_15HIP_vector_typeIjLj2EENS0_17counting_iteratorIjlEEPS9_SG_NS0_5tupleIJPjSI_NS0_16reverse_iteratorISI_EEEEENSH_IJSG_SG_SG_EEES9_SI_JZNS1_25segmented_radix_sort_implINS0_14default_configELb0EPKsPsPKlPlN2at6native12_GLOBAL__N_18offset_tEEE10hipError_tPvRmT1_PNSt15iterator_traitsIS12_E10value_typeET2_T3_PNS13_IS18_E10value_typeET4_jRbjT5_S1E_jjP12ihipStream_tbEUljE_ZNSN_ISO_Lb0ESQ_SR_ST_SU_SY_EESZ_S10_S11_S12_S16_S17_S18_S1B_S1C_jS1D_jS1E_S1E_jjS1G_bEUljE0_EEESZ_S10_S11_S18_S1C_S1E_T6_T7_T9_mT8_S1G_bDpT10_ENKUlT_T0_E_clISt17integral_constantIbLb0EES1U_EEDaS1P_S1Q_EUlS1P_E_NS1_11comp_targetILNS1_3genE4ELNS1_11target_archE910ELNS1_3gpuE8ELNS1_3repE0EEENS1_30default_config_static_selectorELNS0_4arch9wavefront6targetE0EEEvS12_,"axG",@progbits,_ZN7rocprim17ROCPRIM_400000_NS6detail17trampoline_kernelINS0_13select_configILj256ELj13ELNS0_17block_load_methodE3ELS4_3ELS4_3ELNS0_20block_scan_algorithmE0ELj4294967295EEENS1_25partition_config_selectorILNS1_17partition_subalgoE4EjNS0_10empty_typeEbEEZZNS1_14partition_implILS8_4ELb0ES6_15HIP_vector_typeIjLj2EENS0_17counting_iteratorIjlEEPS9_SG_NS0_5tupleIJPjSI_NS0_16reverse_iteratorISI_EEEEENSH_IJSG_SG_SG_EEES9_SI_JZNS1_25segmented_radix_sort_implINS0_14default_configELb0EPKsPsPKlPlN2at6native12_GLOBAL__N_18offset_tEEE10hipError_tPvRmT1_PNSt15iterator_traitsIS12_E10value_typeET2_T3_PNS13_IS18_E10value_typeET4_jRbjT5_S1E_jjP12ihipStream_tbEUljE_ZNSN_ISO_Lb0ESQ_SR_ST_SU_SY_EESZ_S10_S11_S12_S16_S17_S18_S1B_S1C_jS1D_jS1E_S1E_jjS1G_bEUljE0_EEESZ_S10_S11_S18_S1C_S1E_T6_T7_T9_mT8_S1G_bDpT10_ENKUlT_T0_E_clISt17integral_constantIbLb0EES1U_EEDaS1P_S1Q_EUlS1P_E_NS1_11comp_targetILNS1_3genE4ELNS1_11target_archE910ELNS1_3gpuE8ELNS1_3repE0EEENS1_30default_config_static_selectorELNS0_4arch9wavefront6targetE0EEEvS12_,comdat
.Lfunc_end945:
	.size	_ZN7rocprim17ROCPRIM_400000_NS6detail17trampoline_kernelINS0_13select_configILj256ELj13ELNS0_17block_load_methodE3ELS4_3ELS4_3ELNS0_20block_scan_algorithmE0ELj4294967295EEENS1_25partition_config_selectorILNS1_17partition_subalgoE4EjNS0_10empty_typeEbEEZZNS1_14partition_implILS8_4ELb0ES6_15HIP_vector_typeIjLj2EENS0_17counting_iteratorIjlEEPS9_SG_NS0_5tupleIJPjSI_NS0_16reverse_iteratorISI_EEEEENSH_IJSG_SG_SG_EEES9_SI_JZNS1_25segmented_radix_sort_implINS0_14default_configELb0EPKsPsPKlPlN2at6native12_GLOBAL__N_18offset_tEEE10hipError_tPvRmT1_PNSt15iterator_traitsIS12_E10value_typeET2_T3_PNS13_IS18_E10value_typeET4_jRbjT5_S1E_jjP12ihipStream_tbEUljE_ZNSN_ISO_Lb0ESQ_SR_ST_SU_SY_EESZ_S10_S11_S12_S16_S17_S18_S1B_S1C_jS1D_jS1E_S1E_jjS1G_bEUljE0_EEESZ_S10_S11_S18_S1C_S1E_T6_T7_T9_mT8_S1G_bDpT10_ENKUlT_T0_E_clISt17integral_constantIbLb0EES1U_EEDaS1P_S1Q_EUlS1P_E_NS1_11comp_targetILNS1_3genE4ELNS1_11target_archE910ELNS1_3gpuE8ELNS1_3repE0EEENS1_30default_config_static_selectorELNS0_4arch9wavefront6targetE0EEEvS12_, .Lfunc_end945-_ZN7rocprim17ROCPRIM_400000_NS6detail17trampoline_kernelINS0_13select_configILj256ELj13ELNS0_17block_load_methodE3ELS4_3ELS4_3ELNS0_20block_scan_algorithmE0ELj4294967295EEENS1_25partition_config_selectorILNS1_17partition_subalgoE4EjNS0_10empty_typeEbEEZZNS1_14partition_implILS8_4ELb0ES6_15HIP_vector_typeIjLj2EENS0_17counting_iteratorIjlEEPS9_SG_NS0_5tupleIJPjSI_NS0_16reverse_iteratorISI_EEEEENSH_IJSG_SG_SG_EEES9_SI_JZNS1_25segmented_radix_sort_implINS0_14default_configELb0EPKsPsPKlPlN2at6native12_GLOBAL__N_18offset_tEEE10hipError_tPvRmT1_PNSt15iterator_traitsIS12_E10value_typeET2_T3_PNS13_IS18_E10value_typeET4_jRbjT5_S1E_jjP12ihipStream_tbEUljE_ZNSN_ISO_Lb0ESQ_SR_ST_SU_SY_EESZ_S10_S11_S12_S16_S17_S18_S1B_S1C_jS1D_jS1E_S1E_jjS1G_bEUljE0_EEESZ_S10_S11_S18_S1C_S1E_T6_T7_T9_mT8_S1G_bDpT10_ENKUlT_T0_E_clISt17integral_constantIbLb0EES1U_EEDaS1P_S1Q_EUlS1P_E_NS1_11comp_targetILNS1_3genE4ELNS1_11target_archE910ELNS1_3gpuE8ELNS1_3repE0EEENS1_30default_config_static_selectorELNS0_4arch9wavefront6targetE0EEEvS12_
                                        ; -- End function
	.set _ZN7rocprim17ROCPRIM_400000_NS6detail17trampoline_kernelINS0_13select_configILj256ELj13ELNS0_17block_load_methodE3ELS4_3ELS4_3ELNS0_20block_scan_algorithmE0ELj4294967295EEENS1_25partition_config_selectorILNS1_17partition_subalgoE4EjNS0_10empty_typeEbEEZZNS1_14partition_implILS8_4ELb0ES6_15HIP_vector_typeIjLj2EENS0_17counting_iteratorIjlEEPS9_SG_NS0_5tupleIJPjSI_NS0_16reverse_iteratorISI_EEEEENSH_IJSG_SG_SG_EEES9_SI_JZNS1_25segmented_radix_sort_implINS0_14default_configELb0EPKsPsPKlPlN2at6native12_GLOBAL__N_18offset_tEEE10hipError_tPvRmT1_PNSt15iterator_traitsIS12_E10value_typeET2_T3_PNS13_IS18_E10value_typeET4_jRbjT5_S1E_jjP12ihipStream_tbEUljE_ZNSN_ISO_Lb0ESQ_SR_ST_SU_SY_EESZ_S10_S11_S12_S16_S17_S18_S1B_S1C_jS1D_jS1E_S1E_jjS1G_bEUljE0_EEESZ_S10_S11_S18_S1C_S1E_T6_T7_T9_mT8_S1G_bDpT10_ENKUlT_T0_E_clISt17integral_constantIbLb0EES1U_EEDaS1P_S1Q_EUlS1P_E_NS1_11comp_targetILNS1_3genE4ELNS1_11target_archE910ELNS1_3gpuE8ELNS1_3repE0EEENS1_30default_config_static_selectorELNS0_4arch9wavefront6targetE0EEEvS12_.num_vgpr, 0
	.set _ZN7rocprim17ROCPRIM_400000_NS6detail17trampoline_kernelINS0_13select_configILj256ELj13ELNS0_17block_load_methodE3ELS4_3ELS4_3ELNS0_20block_scan_algorithmE0ELj4294967295EEENS1_25partition_config_selectorILNS1_17partition_subalgoE4EjNS0_10empty_typeEbEEZZNS1_14partition_implILS8_4ELb0ES6_15HIP_vector_typeIjLj2EENS0_17counting_iteratorIjlEEPS9_SG_NS0_5tupleIJPjSI_NS0_16reverse_iteratorISI_EEEEENSH_IJSG_SG_SG_EEES9_SI_JZNS1_25segmented_radix_sort_implINS0_14default_configELb0EPKsPsPKlPlN2at6native12_GLOBAL__N_18offset_tEEE10hipError_tPvRmT1_PNSt15iterator_traitsIS12_E10value_typeET2_T3_PNS13_IS18_E10value_typeET4_jRbjT5_S1E_jjP12ihipStream_tbEUljE_ZNSN_ISO_Lb0ESQ_SR_ST_SU_SY_EESZ_S10_S11_S12_S16_S17_S18_S1B_S1C_jS1D_jS1E_S1E_jjS1G_bEUljE0_EEESZ_S10_S11_S18_S1C_S1E_T6_T7_T9_mT8_S1G_bDpT10_ENKUlT_T0_E_clISt17integral_constantIbLb0EES1U_EEDaS1P_S1Q_EUlS1P_E_NS1_11comp_targetILNS1_3genE4ELNS1_11target_archE910ELNS1_3gpuE8ELNS1_3repE0EEENS1_30default_config_static_selectorELNS0_4arch9wavefront6targetE0EEEvS12_.num_agpr, 0
	.set _ZN7rocprim17ROCPRIM_400000_NS6detail17trampoline_kernelINS0_13select_configILj256ELj13ELNS0_17block_load_methodE3ELS4_3ELS4_3ELNS0_20block_scan_algorithmE0ELj4294967295EEENS1_25partition_config_selectorILNS1_17partition_subalgoE4EjNS0_10empty_typeEbEEZZNS1_14partition_implILS8_4ELb0ES6_15HIP_vector_typeIjLj2EENS0_17counting_iteratorIjlEEPS9_SG_NS0_5tupleIJPjSI_NS0_16reverse_iteratorISI_EEEEENSH_IJSG_SG_SG_EEES9_SI_JZNS1_25segmented_radix_sort_implINS0_14default_configELb0EPKsPsPKlPlN2at6native12_GLOBAL__N_18offset_tEEE10hipError_tPvRmT1_PNSt15iterator_traitsIS12_E10value_typeET2_T3_PNS13_IS18_E10value_typeET4_jRbjT5_S1E_jjP12ihipStream_tbEUljE_ZNSN_ISO_Lb0ESQ_SR_ST_SU_SY_EESZ_S10_S11_S12_S16_S17_S18_S1B_S1C_jS1D_jS1E_S1E_jjS1G_bEUljE0_EEESZ_S10_S11_S18_S1C_S1E_T6_T7_T9_mT8_S1G_bDpT10_ENKUlT_T0_E_clISt17integral_constantIbLb0EES1U_EEDaS1P_S1Q_EUlS1P_E_NS1_11comp_targetILNS1_3genE4ELNS1_11target_archE910ELNS1_3gpuE8ELNS1_3repE0EEENS1_30default_config_static_selectorELNS0_4arch9wavefront6targetE0EEEvS12_.numbered_sgpr, 0
	.set _ZN7rocprim17ROCPRIM_400000_NS6detail17trampoline_kernelINS0_13select_configILj256ELj13ELNS0_17block_load_methodE3ELS4_3ELS4_3ELNS0_20block_scan_algorithmE0ELj4294967295EEENS1_25partition_config_selectorILNS1_17partition_subalgoE4EjNS0_10empty_typeEbEEZZNS1_14partition_implILS8_4ELb0ES6_15HIP_vector_typeIjLj2EENS0_17counting_iteratorIjlEEPS9_SG_NS0_5tupleIJPjSI_NS0_16reverse_iteratorISI_EEEEENSH_IJSG_SG_SG_EEES9_SI_JZNS1_25segmented_radix_sort_implINS0_14default_configELb0EPKsPsPKlPlN2at6native12_GLOBAL__N_18offset_tEEE10hipError_tPvRmT1_PNSt15iterator_traitsIS12_E10value_typeET2_T3_PNS13_IS18_E10value_typeET4_jRbjT5_S1E_jjP12ihipStream_tbEUljE_ZNSN_ISO_Lb0ESQ_SR_ST_SU_SY_EESZ_S10_S11_S12_S16_S17_S18_S1B_S1C_jS1D_jS1E_S1E_jjS1G_bEUljE0_EEESZ_S10_S11_S18_S1C_S1E_T6_T7_T9_mT8_S1G_bDpT10_ENKUlT_T0_E_clISt17integral_constantIbLb0EES1U_EEDaS1P_S1Q_EUlS1P_E_NS1_11comp_targetILNS1_3genE4ELNS1_11target_archE910ELNS1_3gpuE8ELNS1_3repE0EEENS1_30default_config_static_selectorELNS0_4arch9wavefront6targetE0EEEvS12_.num_named_barrier, 0
	.set _ZN7rocprim17ROCPRIM_400000_NS6detail17trampoline_kernelINS0_13select_configILj256ELj13ELNS0_17block_load_methodE3ELS4_3ELS4_3ELNS0_20block_scan_algorithmE0ELj4294967295EEENS1_25partition_config_selectorILNS1_17partition_subalgoE4EjNS0_10empty_typeEbEEZZNS1_14partition_implILS8_4ELb0ES6_15HIP_vector_typeIjLj2EENS0_17counting_iteratorIjlEEPS9_SG_NS0_5tupleIJPjSI_NS0_16reverse_iteratorISI_EEEEENSH_IJSG_SG_SG_EEES9_SI_JZNS1_25segmented_radix_sort_implINS0_14default_configELb0EPKsPsPKlPlN2at6native12_GLOBAL__N_18offset_tEEE10hipError_tPvRmT1_PNSt15iterator_traitsIS12_E10value_typeET2_T3_PNS13_IS18_E10value_typeET4_jRbjT5_S1E_jjP12ihipStream_tbEUljE_ZNSN_ISO_Lb0ESQ_SR_ST_SU_SY_EESZ_S10_S11_S12_S16_S17_S18_S1B_S1C_jS1D_jS1E_S1E_jjS1G_bEUljE0_EEESZ_S10_S11_S18_S1C_S1E_T6_T7_T9_mT8_S1G_bDpT10_ENKUlT_T0_E_clISt17integral_constantIbLb0EES1U_EEDaS1P_S1Q_EUlS1P_E_NS1_11comp_targetILNS1_3genE4ELNS1_11target_archE910ELNS1_3gpuE8ELNS1_3repE0EEENS1_30default_config_static_selectorELNS0_4arch9wavefront6targetE0EEEvS12_.private_seg_size, 0
	.set _ZN7rocprim17ROCPRIM_400000_NS6detail17trampoline_kernelINS0_13select_configILj256ELj13ELNS0_17block_load_methodE3ELS4_3ELS4_3ELNS0_20block_scan_algorithmE0ELj4294967295EEENS1_25partition_config_selectorILNS1_17partition_subalgoE4EjNS0_10empty_typeEbEEZZNS1_14partition_implILS8_4ELb0ES6_15HIP_vector_typeIjLj2EENS0_17counting_iteratorIjlEEPS9_SG_NS0_5tupleIJPjSI_NS0_16reverse_iteratorISI_EEEEENSH_IJSG_SG_SG_EEES9_SI_JZNS1_25segmented_radix_sort_implINS0_14default_configELb0EPKsPsPKlPlN2at6native12_GLOBAL__N_18offset_tEEE10hipError_tPvRmT1_PNSt15iterator_traitsIS12_E10value_typeET2_T3_PNS13_IS18_E10value_typeET4_jRbjT5_S1E_jjP12ihipStream_tbEUljE_ZNSN_ISO_Lb0ESQ_SR_ST_SU_SY_EESZ_S10_S11_S12_S16_S17_S18_S1B_S1C_jS1D_jS1E_S1E_jjS1G_bEUljE0_EEESZ_S10_S11_S18_S1C_S1E_T6_T7_T9_mT8_S1G_bDpT10_ENKUlT_T0_E_clISt17integral_constantIbLb0EES1U_EEDaS1P_S1Q_EUlS1P_E_NS1_11comp_targetILNS1_3genE4ELNS1_11target_archE910ELNS1_3gpuE8ELNS1_3repE0EEENS1_30default_config_static_selectorELNS0_4arch9wavefront6targetE0EEEvS12_.uses_vcc, 0
	.set _ZN7rocprim17ROCPRIM_400000_NS6detail17trampoline_kernelINS0_13select_configILj256ELj13ELNS0_17block_load_methodE3ELS4_3ELS4_3ELNS0_20block_scan_algorithmE0ELj4294967295EEENS1_25partition_config_selectorILNS1_17partition_subalgoE4EjNS0_10empty_typeEbEEZZNS1_14partition_implILS8_4ELb0ES6_15HIP_vector_typeIjLj2EENS0_17counting_iteratorIjlEEPS9_SG_NS0_5tupleIJPjSI_NS0_16reverse_iteratorISI_EEEEENSH_IJSG_SG_SG_EEES9_SI_JZNS1_25segmented_radix_sort_implINS0_14default_configELb0EPKsPsPKlPlN2at6native12_GLOBAL__N_18offset_tEEE10hipError_tPvRmT1_PNSt15iterator_traitsIS12_E10value_typeET2_T3_PNS13_IS18_E10value_typeET4_jRbjT5_S1E_jjP12ihipStream_tbEUljE_ZNSN_ISO_Lb0ESQ_SR_ST_SU_SY_EESZ_S10_S11_S12_S16_S17_S18_S1B_S1C_jS1D_jS1E_S1E_jjS1G_bEUljE0_EEESZ_S10_S11_S18_S1C_S1E_T6_T7_T9_mT8_S1G_bDpT10_ENKUlT_T0_E_clISt17integral_constantIbLb0EES1U_EEDaS1P_S1Q_EUlS1P_E_NS1_11comp_targetILNS1_3genE4ELNS1_11target_archE910ELNS1_3gpuE8ELNS1_3repE0EEENS1_30default_config_static_selectorELNS0_4arch9wavefront6targetE0EEEvS12_.uses_flat_scratch, 0
	.set _ZN7rocprim17ROCPRIM_400000_NS6detail17trampoline_kernelINS0_13select_configILj256ELj13ELNS0_17block_load_methodE3ELS4_3ELS4_3ELNS0_20block_scan_algorithmE0ELj4294967295EEENS1_25partition_config_selectorILNS1_17partition_subalgoE4EjNS0_10empty_typeEbEEZZNS1_14partition_implILS8_4ELb0ES6_15HIP_vector_typeIjLj2EENS0_17counting_iteratorIjlEEPS9_SG_NS0_5tupleIJPjSI_NS0_16reverse_iteratorISI_EEEEENSH_IJSG_SG_SG_EEES9_SI_JZNS1_25segmented_radix_sort_implINS0_14default_configELb0EPKsPsPKlPlN2at6native12_GLOBAL__N_18offset_tEEE10hipError_tPvRmT1_PNSt15iterator_traitsIS12_E10value_typeET2_T3_PNS13_IS18_E10value_typeET4_jRbjT5_S1E_jjP12ihipStream_tbEUljE_ZNSN_ISO_Lb0ESQ_SR_ST_SU_SY_EESZ_S10_S11_S12_S16_S17_S18_S1B_S1C_jS1D_jS1E_S1E_jjS1G_bEUljE0_EEESZ_S10_S11_S18_S1C_S1E_T6_T7_T9_mT8_S1G_bDpT10_ENKUlT_T0_E_clISt17integral_constantIbLb0EES1U_EEDaS1P_S1Q_EUlS1P_E_NS1_11comp_targetILNS1_3genE4ELNS1_11target_archE910ELNS1_3gpuE8ELNS1_3repE0EEENS1_30default_config_static_selectorELNS0_4arch9wavefront6targetE0EEEvS12_.has_dyn_sized_stack, 0
	.set _ZN7rocprim17ROCPRIM_400000_NS6detail17trampoline_kernelINS0_13select_configILj256ELj13ELNS0_17block_load_methodE3ELS4_3ELS4_3ELNS0_20block_scan_algorithmE0ELj4294967295EEENS1_25partition_config_selectorILNS1_17partition_subalgoE4EjNS0_10empty_typeEbEEZZNS1_14partition_implILS8_4ELb0ES6_15HIP_vector_typeIjLj2EENS0_17counting_iteratorIjlEEPS9_SG_NS0_5tupleIJPjSI_NS0_16reverse_iteratorISI_EEEEENSH_IJSG_SG_SG_EEES9_SI_JZNS1_25segmented_radix_sort_implINS0_14default_configELb0EPKsPsPKlPlN2at6native12_GLOBAL__N_18offset_tEEE10hipError_tPvRmT1_PNSt15iterator_traitsIS12_E10value_typeET2_T3_PNS13_IS18_E10value_typeET4_jRbjT5_S1E_jjP12ihipStream_tbEUljE_ZNSN_ISO_Lb0ESQ_SR_ST_SU_SY_EESZ_S10_S11_S12_S16_S17_S18_S1B_S1C_jS1D_jS1E_S1E_jjS1G_bEUljE0_EEESZ_S10_S11_S18_S1C_S1E_T6_T7_T9_mT8_S1G_bDpT10_ENKUlT_T0_E_clISt17integral_constantIbLb0EES1U_EEDaS1P_S1Q_EUlS1P_E_NS1_11comp_targetILNS1_3genE4ELNS1_11target_archE910ELNS1_3gpuE8ELNS1_3repE0EEENS1_30default_config_static_selectorELNS0_4arch9wavefront6targetE0EEEvS12_.has_recursion, 0
	.set _ZN7rocprim17ROCPRIM_400000_NS6detail17trampoline_kernelINS0_13select_configILj256ELj13ELNS0_17block_load_methodE3ELS4_3ELS4_3ELNS0_20block_scan_algorithmE0ELj4294967295EEENS1_25partition_config_selectorILNS1_17partition_subalgoE4EjNS0_10empty_typeEbEEZZNS1_14partition_implILS8_4ELb0ES6_15HIP_vector_typeIjLj2EENS0_17counting_iteratorIjlEEPS9_SG_NS0_5tupleIJPjSI_NS0_16reverse_iteratorISI_EEEEENSH_IJSG_SG_SG_EEES9_SI_JZNS1_25segmented_radix_sort_implINS0_14default_configELb0EPKsPsPKlPlN2at6native12_GLOBAL__N_18offset_tEEE10hipError_tPvRmT1_PNSt15iterator_traitsIS12_E10value_typeET2_T3_PNS13_IS18_E10value_typeET4_jRbjT5_S1E_jjP12ihipStream_tbEUljE_ZNSN_ISO_Lb0ESQ_SR_ST_SU_SY_EESZ_S10_S11_S12_S16_S17_S18_S1B_S1C_jS1D_jS1E_S1E_jjS1G_bEUljE0_EEESZ_S10_S11_S18_S1C_S1E_T6_T7_T9_mT8_S1G_bDpT10_ENKUlT_T0_E_clISt17integral_constantIbLb0EES1U_EEDaS1P_S1Q_EUlS1P_E_NS1_11comp_targetILNS1_3genE4ELNS1_11target_archE910ELNS1_3gpuE8ELNS1_3repE0EEENS1_30default_config_static_selectorELNS0_4arch9wavefront6targetE0EEEvS12_.has_indirect_call, 0
	.section	.AMDGPU.csdata,"",@progbits
; Kernel info:
; codeLenInByte = 0
; TotalNumSgprs: 0
; NumVgprs: 0
; ScratchSize: 0
; MemoryBound: 0
; FloatMode: 240
; IeeeMode: 1
; LDSByteSize: 0 bytes/workgroup (compile time only)
; SGPRBlocks: 0
; VGPRBlocks: 0
; NumSGPRsForWavesPerEU: 1
; NumVGPRsForWavesPerEU: 1
; Occupancy: 16
; WaveLimiterHint : 0
; COMPUTE_PGM_RSRC2:SCRATCH_EN: 0
; COMPUTE_PGM_RSRC2:USER_SGPR: 6
; COMPUTE_PGM_RSRC2:TRAP_HANDLER: 0
; COMPUTE_PGM_RSRC2:TGID_X_EN: 1
; COMPUTE_PGM_RSRC2:TGID_Y_EN: 0
; COMPUTE_PGM_RSRC2:TGID_Z_EN: 0
; COMPUTE_PGM_RSRC2:TIDIG_COMP_CNT: 0
	.section	.text._ZN7rocprim17ROCPRIM_400000_NS6detail17trampoline_kernelINS0_13select_configILj256ELj13ELNS0_17block_load_methodE3ELS4_3ELS4_3ELNS0_20block_scan_algorithmE0ELj4294967295EEENS1_25partition_config_selectorILNS1_17partition_subalgoE4EjNS0_10empty_typeEbEEZZNS1_14partition_implILS8_4ELb0ES6_15HIP_vector_typeIjLj2EENS0_17counting_iteratorIjlEEPS9_SG_NS0_5tupleIJPjSI_NS0_16reverse_iteratorISI_EEEEENSH_IJSG_SG_SG_EEES9_SI_JZNS1_25segmented_radix_sort_implINS0_14default_configELb0EPKsPsPKlPlN2at6native12_GLOBAL__N_18offset_tEEE10hipError_tPvRmT1_PNSt15iterator_traitsIS12_E10value_typeET2_T3_PNS13_IS18_E10value_typeET4_jRbjT5_S1E_jjP12ihipStream_tbEUljE_ZNSN_ISO_Lb0ESQ_SR_ST_SU_SY_EESZ_S10_S11_S12_S16_S17_S18_S1B_S1C_jS1D_jS1E_S1E_jjS1G_bEUljE0_EEESZ_S10_S11_S18_S1C_S1E_T6_T7_T9_mT8_S1G_bDpT10_ENKUlT_T0_E_clISt17integral_constantIbLb0EES1U_EEDaS1P_S1Q_EUlS1P_E_NS1_11comp_targetILNS1_3genE3ELNS1_11target_archE908ELNS1_3gpuE7ELNS1_3repE0EEENS1_30default_config_static_selectorELNS0_4arch9wavefront6targetE0EEEvS12_,"axG",@progbits,_ZN7rocprim17ROCPRIM_400000_NS6detail17trampoline_kernelINS0_13select_configILj256ELj13ELNS0_17block_load_methodE3ELS4_3ELS4_3ELNS0_20block_scan_algorithmE0ELj4294967295EEENS1_25partition_config_selectorILNS1_17partition_subalgoE4EjNS0_10empty_typeEbEEZZNS1_14partition_implILS8_4ELb0ES6_15HIP_vector_typeIjLj2EENS0_17counting_iteratorIjlEEPS9_SG_NS0_5tupleIJPjSI_NS0_16reverse_iteratorISI_EEEEENSH_IJSG_SG_SG_EEES9_SI_JZNS1_25segmented_radix_sort_implINS0_14default_configELb0EPKsPsPKlPlN2at6native12_GLOBAL__N_18offset_tEEE10hipError_tPvRmT1_PNSt15iterator_traitsIS12_E10value_typeET2_T3_PNS13_IS18_E10value_typeET4_jRbjT5_S1E_jjP12ihipStream_tbEUljE_ZNSN_ISO_Lb0ESQ_SR_ST_SU_SY_EESZ_S10_S11_S12_S16_S17_S18_S1B_S1C_jS1D_jS1E_S1E_jjS1G_bEUljE0_EEESZ_S10_S11_S18_S1C_S1E_T6_T7_T9_mT8_S1G_bDpT10_ENKUlT_T0_E_clISt17integral_constantIbLb0EES1U_EEDaS1P_S1Q_EUlS1P_E_NS1_11comp_targetILNS1_3genE3ELNS1_11target_archE908ELNS1_3gpuE7ELNS1_3repE0EEENS1_30default_config_static_selectorELNS0_4arch9wavefront6targetE0EEEvS12_,comdat
	.globl	_ZN7rocprim17ROCPRIM_400000_NS6detail17trampoline_kernelINS0_13select_configILj256ELj13ELNS0_17block_load_methodE3ELS4_3ELS4_3ELNS0_20block_scan_algorithmE0ELj4294967295EEENS1_25partition_config_selectorILNS1_17partition_subalgoE4EjNS0_10empty_typeEbEEZZNS1_14partition_implILS8_4ELb0ES6_15HIP_vector_typeIjLj2EENS0_17counting_iteratorIjlEEPS9_SG_NS0_5tupleIJPjSI_NS0_16reverse_iteratorISI_EEEEENSH_IJSG_SG_SG_EEES9_SI_JZNS1_25segmented_radix_sort_implINS0_14default_configELb0EPKsPsPKlPlN2at6native12_GLOBAL__N_18offset_tEEE10hipError_tPvRmT1_PNSt15iterator_traitsIS12_E10value_typeET2_T3_PNS13_IS18_E10value_typeET4_jRbjT5_S1E_jjP12ihipStream_tbEUljE_ZNSN_ISO_Lb0ESQ_SR_ST_SU_SY_EESZ_S10_S11_S12_S16_S17_S18_S1B_S1C_jS1D_jS1E_S1E_jjS1G_bEUljE0_EEESZ_S10_S11_S18_S1C_S1E_T6_T7_T9_mT8_S1G_bDpT10_ENKUlT_T0_E_clISt17integral_constantIbLb0EES1U_EEDaS1P_S1Q_EUlS1P_E_NS1_11comp_targetILNS1_3genE3ELNS1_11target_archE908ELNS1_3gpuE7ELNS1_3repE0EEENS1_30default_config_static_selectorELNS0_4arch9wavefront6targetE0EEEvS12_ ; -- Begin function _ZN7rocprim17ROCPRIM_400000_NS6detail17trampoline_kernelINS0_13select_configILj256ELj13ELNS0_17block_load_methodE3ELS4_3ELS4_3ELNS0_20block_scan_algorithmE0ELj4294967295EEENS1_25partition_config_selectorILNS1_17partition_subalgoE4EjNS0_10empty_typeEbEEZZNS1_14partition_implILS8_4ELb0ES6_15HIP_vector_typeIjLj2EENS0_17counting_iteratorIjlEEPS9_SG_NS0_5tupleIJPjSI_NS0_16reverse_iteratorISI_EEEEENSH_IJSG_SG_SG_EEES9_SI_JZNS1_25segmented_radix_sort_implINS0_14default_configELb0EPKsPsPKlPlN2at6native12_GLOBAL__N_18offset_tEEE10hipError_tPvRmT1_PNSt15iterator_traitsIS12_E10value_typeET2_T3_PNS13_IS18_E10value_typeET4_jRbjT5_S1E_jjP12ihipStream_tbEUljE_ZNSN_ISO_Lb0ESQ_SR_ST_SU_SY_EESZ_S10_S11_S12_S16_S17_S18_S1B_S1C_jS1D_jS1E_S1E_jjS1G_bEUljE0_EEESZ_S10_S11_S18_S1C_S1E_T6_T7_T9_mT8_S1G_bDpT10_ENKUlT_T0_E_clISt17integral_constantIbLb0EES1U_EEDaS1P_S1Q_EUlS1P_E_NS1_11comp_targetILNS1_3genE3ELNS1_11target_archE908ELNS1_3gpuE7ELNS1_3repE0EEENS1_30default_config_static_selectorELNS0_4arch9wavefront6targetE0EEEvS12_
	.p2align	8
	.type	_ZN7rocprim17ROCPRIM_400000_NS6detail17trampoline_kernelINS0_13select_configILj256ELj13ELNS0_17block_load_methodE3ELS4_3ELS4_3ELNS0_20block_scan_algorithmE0ELj4294967295EEENS1_25partition_config_selectorILNS1_17partition_subalgoE4EjNS0_10empty_typeEbEEZZNS1_14partition_implILS8_4ELb0ES6_15HIP_vector_typeIjLj2EENS0_17counting_iteratorIjlEEPS9_SG_NS0_5tupleIJPjSI_NS0_16reverse_iteratorISI_EEEEENSH_IJSG_SG_SG_EEES9_SI_JZNS1_25segmented_radix_sort_implINS0_14default_configELb0EPKsPsPKlPlN2at6native12_GLOBAL__N_18offset_tEEE10hipError_tPvRmT1_PNSt15iterator_traitsIS12_E10value_typeET2_T3_PNS13_IS18_E10value_typeET4_jRbjT5_S1E_jjP12ihipStream_tbEUljE_ZNSN_ISO_Lb0ESQ_SR_ST_SU_SY_EESZ_S10_S11_S12_S16_S17_S18_S1B_S1C_jS1D_jS1E_S1E_jjS1G_bEUljE0_EEESZ_S10_S11_S18_S1C_S1E_T6_T7_T9_mT8_S1G_bDpT10_ENKUlT_T0_E_clISt17integral_constantIbLb0EES1U_EEDaS1P_S1Q_EUlS1P_E_NS1_11comp_targetILNS1_3genE3ELNS1_11target_archE908ELNS1_3gpuE7ELNS1_3repE0EEENS1_30default_config_static_selectorELNS0_4arch9wavefront6targetE0EEEvS12_,@function
_ZN7rocprim17ROCPRIM_400000_NS6detail17trampoline_kernelINS0_13select_configILj256ELj13ELNS0_17block_load_methodE3ELS4_3ELS4_3ELNS0_20block_scan_algorithmE0ELj4294967295EEENS1_25partition_config_selectorILNS1_17partition_subalgoE4EjNS0_10empty_typeEbEEZZNS1_14partition_implILS8_4ELb0ES6_15HIP_vector_typeIjLj2EENS0_17counting_iteratorIjlEEPS9_SG_NS0_5tupleIJPjSI_NS0_16reverse_iteratorISI_EEEEENSH_IJSG_SG_SG_EEES9_SI_JZNS1_25segmented_radix_sort_implINS0_14default_configELb0EPKsPsPKlPlN2at6native12_GLOBAL__N_18offset_tEEE10hipError_tPvRmT1_PNSt15iterator_traitsIS12_E10value_typeET2_T3_PNS13_IS18_E10value_typeET4_jRbjT5_S1E_jjP12ihipStream_tbEUljE_ZNSN_ISO_Lb0ESQ_SR_ST_SU_SY_EESZ_S10_S11_S12_S16_S17_S18_S1B_S1C_jS1D_jS1E_S1E_jjS1G_bEUljE0_EEESZ_S10_S11_S18_S1C_S1E_T6_T7_T9_mT8_S1G_bDpT10_ENKUlT_T0_E_clISt17integral_constantIbLb0EES1U_EEDaS1P_S1Q_EUlS1P_E_NS1_11comp_targetILNS1_3genE3ELNS1_11target_archE908ELNS1_3gpuE7ELNS1_3repE0EEENS1_30default_config_static_selectorELNS0_4arch9wavefront6targetE0EEEvS12_: ; @_ZN7rocprim17ROCPRIM_400000_NS6detail17trampoline_kernelINS0_13select_configILj256ELj13ELNS0_17block_load_methodE3ELS4_3ELS4_3ELNS0_20block_scan_algorithmE0ELj4294967295EEENS1_25partition_config_selectorILNS1_17partition_subalgoE4EjNS0_10empty_typeEbEEZZNS1_14partition_implILS8_4ELb0ES6_15HIP_vector_typeIjLj2EENS0_17counting_iteratorIjlEEPS9_SG_NS0_5tupleIJPjSI_NS0_16reverse_iteratorISI_EEEEENSH_IJSG_SG_SG_EEES9_SI_JZNS1_25segmented_radix_sort_implINS0_14default_configELb0EPKsPsPKlPlN2at6native12_GLOBAL__N_18offset_tEEE10hipError_tPvRmT1_PNSt15iterator_traitsIS12_E10value_typeET2_T3_PNS13_IS18_E10value_typeET4_jRbjT5_S1E_jjP12ihipStream_tbEUljE_ZNSN_ISO_Lb0ESQ_SR_ST_SU_SY_EESZ_S10_S11_S12_S16_S17_S18_S1B_S1C_jS1D_jS1E_S1E_jjS1G_bEUljE0_EEESZ_S10_S11_S18_S1C_S1E_T6_T7_T9_mT8_S1G_bDpT10_ENKUlT_T0_E_clISt17integral_constantIbLb0EES1U_EEDaS1P_S1Q_EUlS1P_E_NS1_11comp_targetILNS1_3genE3ELNS1_11target_archE908ELNS1_3gpuE7ELNS1_3repE0EEENS1_30default_config_static_selectorELNS0_4arch9wavefront6targetE0EEEvS12_
; %bb.0:
	.section	.rodata,"a",@progbits
	.p2align	6, 0x0
	.amdhsa_kernel _ZN7rocprim17ROCPRIM_400000_NS6detail17trampoline_kernelINS0_13select_configILj256ELj13ELNS0_17block_load_methodE3ELS4_3ELS4_3ELNS0_20block_scan_algorithmE0ELj4294967295EEENS1_25partition_config_selectorILNS1_17partition_subalgoE4EjNS0_10empty_typeEbEEZZNS1_14partition_implILS8_4ELb0ES6_15HIP_vector_typeIjLj2EENS0_17counting_iteratorIjlEEPS9_SG_NS0_5tupleIJPjSI_NS0_16reverse_iteratorISI_EEEEENSH_IJSG_SG_SG_EEES9_SI_JZNS1_25segmented_radix_sort_implINS0_14default_configELb0EPKsPsPKlPlN2at6native12_GLOBAL__N_18offset_tEEE10hipError_tPvRmT1_PNSt15iterator_traitsIS12_E10value_typeET2_T3_PNS13_IS18_E10value_typeET4_jRbjT5_S1E_jjP12ihipStream_tbEUljE_ZNSN_ISO_Lb0ESQ_SR_ST_SU_SY_EESZ_S10_S11_S12_S16_S17_S18_S1B_S1C_jS1D_jS1E_S1E_jjS1G_bEUljE0_EEESZ_S10_S11_S18_S1C_S1E_T6_T7_T9_mT8_S1G_bDpT10_ENKUlT_T0_E_clISt17integral_constantIbLb0EES1U_EEDaS1P_S1Q_EUlS1P_E_NS1_11comp_targetILNS1_3genE3ELNS1_11target_archE908ELNS1_3gpuE7ELNS1_3repE0EEENS1_30default_config_static_selectorELNS0_4arch9wavefront6targetE0EEEvS12_
		.amdhsa_group_segment_fixed_size 0
		.amdhsa_private_segment_fixed_size 0
		.amdhsa_kernarg_size 176
		.amdhsa_user_sgpr_count 6
		.amdhsa_user_sgpr_private_segment_buffer 1
		.amdhsa_user_sgpr_dispatch_ptr 0
		.amdhsa_user_sgpr_queue_ptr 0
		.amdhsa_user_sgpr_kernarg_segment_ptr 1
		.amdhsa_user_sgpr_dispatch_id 0
		.amdhsa_user_sgpr_flat_scratch_init 0
		.amdhsa_user_sgpr_private_segment_size 0
		.amdhsa_wavefront_size32 1
		.amdhsa_uses_dynamic_stack 0
		.amdhsa_system_sgpr_private_segment_wavefront_offset 0
		.amdhsa_system_sgpr_workgroup_id_x 1
		.amdhsa_system_sgpr_workgroup_id_y 0
		.amdhsa_system_sgpr_workgroup_id_z 0
		.amdhsa_system_sgpr_workgroup_info 0
		.amdhsa_system_vgpr_workitem_id 0
		.amdhsa_next_free_vgpr 1
		.amdhsa_next_free_sgpr 1
		.amdhsa_reserve_vcc 0
		.amdhsa_reserve_flat_scratch 0
		.amdhsa_float_round_mode_32 0
		.amdhsa_float_round_mode_16_64 0
		.amdhsa_float_denorm_mode_32 3
		.amdhsa_float_denorm_mode_16_64 3
		.amdhsa_dx10_clamp 1
		.amdhsa_ieee_mode 1
		.amdhsa_fp16_overflow 0
		.amdhsa_workgroup_processor_mode 1
		.amdhsa_memory_ordered 1
		.amdhsa_forward_progress 1
		.amdhsa_shared_vgpr_count 0
		.amdhsa_exception_fp_ieee_invalid_op 0
		.amdhsa_exception_fp_denorm_src 0
		.amdhsa_exception_fp_ieee_div_zero 0
		.amdhsa_exception_fp_ieee_overflow 0
		.amdhsa_exception_fp_ieee_underflow 0
		.amdhsa_exception_fp_ieee_inexact 0
		.amdhsa_exception_int_div_zero 0
	.end_amdhsa_kernel
	.section	.text._ZN7rocprim17ROCPRIM_400000_NS6detail17trampoline_kernelINS0_13select_configILj256ELj13ELNS0_17block_load_methodE3ELS4_3ELS4_3ELNS0_20block_scan_algorithmE0ELj4294967295EEENS1_25partition_config_selectorILNS1_17partition_subalgoE4EjNS0_10empty_typeEbEEZZNS1_14partition_implILS8_4ELb0ES6_15HIP_vector_typeIjLj2EENS0_17counting_iteratorIjlEEPS9_SG_NS0_5tupleIJPjSI_NS0_16reverse_iteratorISI_EEEEENSH_IJSG_SG_SG_EEES9_SI_JZNS1_25segmented_radix_sort_implINS0_14default_configELb0EPKsPsPKlPlN2at6native12_GLOBAL__N_18offset_tEEE10hipError_tPvRmT1_PNSt15iterator_traitsIS12_E10value_typeET2_T3_PNS13_IS18_E10value_typeET4_jRbjT5_S1E_jjP12ihipStream_tbEUljE_ZNSN_ISO_Lb0ESQ_SR_ST_SU_SY_EESZ_S10_S11_S12_S16_S17_S18_S1B_S1C_jS1D_jS1E_S1E_jjS1G_bEUljE0_EEESZ_S10_S11_S18_S1C_S1E_T6_T7_T9_mT8_S1G_bDpT10_ENKUlT_T0_E_clISt17integral_constantIbLb0EES1U_EEDaS1P_S1Q_EUlS1P_E_NS1_11comp_targetILNS1_3genE3ELNS1_11target_archE908ELNS1_3gpuE7ELNS1_3repE0EEENS1_30default_config_static_selectorELNS0_4arch9wavefront6targetE0EEEvS12_,"axG",@progbits,_ZN7rocprim17ROCPRIM_400000_NS6detail17trampoline_kernelINS0_13select_configILj256ELj13ELNS0_17block_load_methodE3ELS4_3ELS4_3ELNS0_20block_scan_algorithmE0ELj4294967295EEENS1_25partition_config_selectorILNS1_17partition_subalgoE4EjNS0_10empty_typeEbEEZZNS1_14partition_implILS8_4ELb0ES6_15HIP_vector_typeIjLj2EENS0_17counting_iteratorIjlEEPS9_SG_NS0_5tupleIJPjSI_NS0_16reverse_iteratorISI_EEEEENSH_IJSG_SG_SG_EEES9_SI_JZNS1_25segmented_radix_sort_implINS0_14default_configELb0EPKsPsPKlPlN2at6native12_GLOBAL__N_18offset_tEEE10hipError_tPvRmT1_PNSt15iterator_traitsIS12_E10value_typeET2_T3_PNS13_IS18_E10value_typeET4_jRbjT5_S1E_jjP12ihipStream_tbEUljE_ZNSN_ISO_Lb0ESQ_SR_ST_SU_SY_EESZ_S10_S11_S12_S16_S17_S18_S1B_S1C_jS1D_jS1E_S1E_jjS1G_bEUljE0_EEESZ_S10_S11_S18_S1C_S1E_T6_T7_T9_mT8_S1G_bDpT10_ENKUlT_T0_E_clISt17integral_constantIbLb0EES1U_EEDaS1P_S1Q_EUlS1P_E_NS1_11comp_targetILNS1_3genE3ELNS1_11target_archE908ELNS1_3gpuE7ELNS1_3repE0EEENS1_30default_config_static_selectorELNS0_4arch9wavefront6targetE0EEEvS12_,comdat
.Lfunc_end946:
	.size	_ZN7rocprim17ROCPRIM_400000_NS6detail17trampoline_kernelINS0_13select_configILj256ELj13ELNS0_17block_load_methodE3ELS4_3ELS4_3ELNS0_20block_scan_algorithmE0ELj4294967295EEENS1_25partition_config_selectorILNS1_17partition_subalgoE4EjNS0_10empty_typeEbEEZZNS1_14partition_implILS8_4ELb0ES6_15HIP_vector_typeIjLj2EENS0_17counting_iteratorIjlEEPS9_SG_NS0_5tupleIJPjSI_NS0_16reverse_iteratorISI_EEEEENSH_IJSG_SG_SG_EEES9_SI_JZNS1_25segmented_radix_sort_implINS0_14default_configELb0EPKsPsPKlPlN2at6native12_GLOBAL__N_18offset_tEEE10hipError_tPvRmT1_PNSt15iterator_traitsIS12_E10value_typeET2_T3_PNS13_IS18_E10value_typeET4_jRbjT5_S1E_jjP12ihipStream_tbEUljE_ZNSN_ISO_Lb0ESQ_SR_ST_SU_SY_EESZ_S10_S11_S12_S16_S17_S18_S1B_S1C_jS1D_jS1E_S1E_jjS1G_bEUljE0_EEESZ_S10_S11_S18_S1C_S1E_T6_T7_T9_mT8_S1G_bDpT10_ENKUlT_T0_E_clISt17integral_constantIbLb0EES1U_EEDaS1P_S1Q_EUlS1P_E_NS1_11comp_targetILNS1_3genE3ELNS1_11target_archE908ELNS1_3gpuE7ELNS1_3repE0EEENS1_30default_config_static_selectorELNS0_4arch9wavefront6targetE0EEEvS12_, .Lfunc_end946-_ZN7rocprim17ROCPRIM_400000_NS6detail17trampoline_kernelINS0_13select_configILj256ELj13ELNS0_17block_load_methodE3ELS4_3ELS4_3ELNS0_20block_scan_algorithmE0ELj4294967295EEENS1_25partition_config_selectorILNS1_17partition_subalgoE4EjNS0_10empty_typeEbEEZZNS1_14partition_implILS8_4ELb0ES6_15HIP_vector_typeIjLj2EENS0_17counting_iteratorIjlEEPS9_SG_NS0_5tupleIJPjSI_NS0_16reverse_iteratorISI_EEEEENSH_IJSG_SG_SG_EEES9_SI_JZNS1_25segmented_radix_sort_implINS0_14default_configELb0EPKsPsPKlPlN2at6native12_GLOBAL__N_18offset_tEEE10hipError_tPvRmT1_PNSt15iterator_traitsIS12_E10value_typeET2_T3_PNS13_IS18_E10value_typeET4_jRbjT5_S1E_jjP12ihipStream_tbEUljE_ZNSN_ISO_Lb0ESQ_SR_ST_SU_SY_EESZ_S10_S11_S12_S16_S17_S18_S1B_S1C_jS1D_jS1E_S1E_jjS1G_bEUljE0_EEESZ_S10_S11_S18_S1C_S1E_T6_T7_T9_mT8_S1G_bDpT10_ENKUlT_T0_E_clISt17integral_constantIbLb0EES1U_EEDaS1P_S1Q_EUlS1P_E_NS1_11comp_targetILNS1_3genE3ELNS1_11target_archE908ELNS1_3gpuE7ELNS1_3repE0EEENS1_30default_config_static_selectorELNS0_4arch9wavefront6targetE0EEEvS12_
                                        ; -- End function
	.set _ZN7rocprim17ROCPRIM_400000_NS6detail17trampoline_kernelINS0_13select_configILj256ELj13ELNS0_17block_load_methodE3ELS4_3ELS4_3ELNS0_20block_scan_algorithmE0ELj4294967295EEENS1_25partition_config_selectorILNS1_17partition_subalgoE4EjNS0_10empty_typeEbEEZZNS1_14partition_implILS8_4ELb0ES6_15HIP_vector_typeIjLj2EENS0_17counting_iteratorIjlEEPS9_SG_NS0_5tupleIJPjSI_NS0_16reverse_iteratorISI_EEEEENSH_IJSG_SG_SG_EEES9_SI_JZNS1_25segmented_radix_sort_implINS0_14default_configELb0EPKsPsPKlPlN2at6native12_GLOBAL__N_18offset_tEEE10hipError_tPvRmT1_PNSt15iterator_traitsIS12_E10value_typeET2_T3_PNS13_IS18_E10value_typeET4_jRbjT5_S1E_jjP12ihipStream_tbEUljE_ZNSN_ISO_Lb0ESQ_SR_ST_SU_SY_EESZ_S10_S11_S12_S16_S17_S18_S1B_S1C_jS1D_jS1E_S1E_jjS1G_bEUljE0_EEESZ_S10_S11_S18_S1C_S1E_T6_T7_T9_mT8_S1G_bDpT10_ENKUlT_T0_E_clISt17integral_constantIbLb0EES1U_EEDaS1P_S1Q_EUlS1P_E_NS1_11comp_targetILNS1_3genE3ELNS1_11target_archE908ELNS1_3gpuE7ELNS1_3repE0EEENS1_30default_config_static_selectorELNS0_4arch9wavefront6targetE0EEEvS12_.num_vgpr, 0
	.set _ZN7rocprim17ROCPRIM_400000_NS6detail17trampoline_kernelINS0_13select_configILj256ELj13ELNS0_17block_load_methodE3ELS4_3ELS4_3ELNS0_20block_scan_algorithmE0ELj4294967295EEENS1_25partition_config_selectorILNS1_17partition_subalgoE4EjNS0_10empty_typeEbEEZZNS1_14partition_implILS8_4ELb0ES6_15HIP_vector_typeIjLj2EENS0_17counting_iteratorIjlEEPS9_SG_NS0_5tupleIJPjSI_NS0_16reverse_iteratorISI_EEEEENSH_IJSG_SG_SG_EEES9_SI_JZNS1_25segmented_radix_sort_implINS0_14default_configELb0EPKsPsPKlPlN2at6native12_GLOBAL__N_18offset_tEEE10hipError_tPvRmT1_PNSt15iterator_traitsIS12_E10value_typeET2_T3_PNS13_IS18_E10value_typeET4_jRbjT5_S1E_jjP12ihipStream_tbEUljE_ZNSN_ISO_Lb0ESQ_SR_ST_SU_SY_EESZ_S10_S11_S12_S16_S17_S18_S1B_S1C_jS1D_jS1E_S1E_jjS1G_bEUljE0_EEESZ_S10_S11_S18_S1C_S1E_T6_T7_T9_mT8_S1G_bDpT10_ENKUlT_T0_E_clISt17integral_constantIbLb0EES1U_EEDaS1P_S1Q_EUlS1P_E_NS1_11comp_targetILNS1_3genE3ELNS1_11target_archE908ELNS1_3gpuE7ELNS1_3repE0EEENS1_30default_config_static_selectorELNS0_4arch9wavefront6targetE0EEEvS12_.num_agpr, 0
	.set _ZN7rocprim17ROCPRIM_400000_NS6detail17trampoline_kernelINS0_13select_configILj256ELj13ELNS0_17block_load_methodE3ELS4_3ELS4_3ELNS0_20block_scan_algorithmE0ELj4294967295EEENS1_25partition_config_selectorILNS1_17partition_subalgoE4EjNS0_10empty_typeEbEEZZNS1_14partition_implILS8_4ELb0ES6_15HIP_vector_typeIjLj2EENS0_17counting_iteratorIjlEEPS9_SG_NS0_5tupleIJPjSI_NS0_16reverse_iteratorISI_EEEEENSH_IJSG_SG_SG_EEES9_SI_JZNS1_25segmented_radix_sort_implINS0_14default_configELb0EPKsPsPKlPlN2at6native12_GLOBAL__N_18offset_tEEE10hipError_tPvRmT1_PNSt15iterator_traitsIS12_E10value_typeET2_T3_PNS13_IS18_E10value_typeET4_jRbjT5_S1E_jjP12ihipStream_tbEUljE_ZNSN_ISO_Lb0ESQ_SR_ST_SU_SY_EESZ_S10_S11_S12_S16_S17_S18_S1B_S1C_jS1D_jS1E_S1E_jjS1G_bEUljE0_EEESZ_S10_S11_S18_S1C_S1E_T6_T7_T9_mT8_S1G_bDpT10_ENKUlT_T0_E_clISt17integral_constantIbLb0EES1U_EEDaS1P_S1Q_EUlS1P_E_NS1_11comp_targetILNS1_3genE3ELNS1_11target_archE908ELNS1_3gpuE7ELNS1_3repE0EEENS1_30default_config_static_selectorELNS0_4arch9wavefront6targetE0EEEvS12_.numbered_sgpr, 0
	.set _ZN7rocprim17ROCPRIM_400000_NS6detail17trampoline_kernelINS0_13select_configILj256ELj13ELNS0_17block_load_methodE3ELS4_3ELS4_3ELNS0_20block_scan_algorithmE0ELj4294967295EEENS1_25partition_config_selectorILNS1_17partition_subalgoE4EjNS0_10empty_typeEbEEZZNS1_14partition_implILS8_4ELb0ES6_15HIP_vector_typeIjLj2EENS0_17counting_iteratorIjlEEPS9_SG_NS0_5tupleIJPjSI_NS0_16reverse_iteratorISI_EEEEENSH_IJSG_SG_SG_EEES9_SI_JZNS1_25segmented_radix_sort_implINS0_14default_configELb0EPKsPsPKlPlN2at6native12_GLOBAL__N_18offset_tEEE10hipError_tPvRmT1_PNSt15iterator_traitsIS12_E10value_typeET2_T3_PNS13_IS18_E10value_typeET4_jRbjT5_S1E_jjP12ihipStream_tbEUljE_ZNSN_ISO_Lb0ESQ_SR_ST_SU_SY_EESZ_S10_S11_S12_S16_S17_S18_S1B_S1C_jS1D_jS1E_S1E_jjS1G_bEUljE0_EEESZ_S10_S11_S18_S1C_S1E_T6_T7_T9_mT8_S1G_bDpT10_ENKUlT_T0_E_clISt17integral_constantIbLb0EES1U_EEDaS1P_S1Q_EUlS1P_E_NS1_11comp_targetILNS1_3genE3ELNS1_11target_archE908ELNS1_3gpuE7ELNS1_3repE0EEENS1_30default_config_static_selectorELNS0_4arch9wavefront6targetE0EEEvS12_.num_named_barrier, 0
	.set _ZN7rocprim17ROCPRIM_400000_NS6detail17trampoline_kernelINS0_13select_configILj256ELj13ELNS0_17block_load_methodE3ELS4_3ELS4_3ELNS0_20block_scan_algorithmE0ELj4294967295EEENS1_25partition_config_selectorILNS1_17partition_subalgoE4EjNS0_10empty_typeEbEEZZNS1_14partition_implILS8_4ELb0ES6_15HIP_vector_typeIjLj2EENS0_17counting_iteratorIjlEEPS9_SG_NS0_5tupleIJPjSI_NS0_16reverse_iteratorISI_EEEEENSH_IJSG_SG_SG_EEES9_SI_JZNS1_25segmented_radix_sort_implINS0_14default_configELb0EPKsPsPKlPlN2at6native12_GLOBAL__N_18offset_tEEE10hipError_tPvRmT1_PNSt15iterator_traitsIS12_E10value_typeET2_T3_PNS13_IS18_E10value_typeET4_jRbjT5_S1E_jjP12ihipStream_tbEUljE_ZNSN_ISO_Lb0ESQ_SR_ST_SU_SY_EESZ_S10_S11_S12_S16_S17_S18_S1B_S1C_jS1D_jS1E_S1E_jjS1G_bEUljE0_EEESZ_S10_S11_S18_S1C_S1E_T6_T7_T9_mT8_S1G_bDpT10_ENKUlT_T0_E_clISt17integral_constantIbLb0EES1U_EEDaS1P_S1Q_EUlS1P_E_NS1_11comp_targetILNS1_3genE3ELNS1_11target_archE908ELNS1_3gpuE7ELNS1_3repE0EEENS1_30default_config_static_selectorELNS0_4arch9wavefront6targetE0EEEvS12_.private_seg_size, 0
	.set _ZN7rocprim17ROCPRIM_400000_NS6detail17trampoline_kernelINS0_13select_configILj256ELj13ELNS0_17block_load_methodE3ELS4_3ELS4_3ELNS0_20block_scan_algorithmE0ELj4294967295EEENS1_25partition_config_selectorILNS1_17partition_subalgoE4EjNS0_10empty_typeEbEEZZNS1_14partition_implILS8_4ELb0ES6_15HIP_vector_typeIjLj2EENS0_17counting_iteratorIjlEEPS9_SG_NS0_5tupleIJPjSI_NS0_16reverse_iteratorISI_EEEEENSH_IJSG_SG_SG_EEES9_SI_JZNS1_25segmented_radix_sort_implINS0_14default_configELb0EPKsPsPKlPlN2at6native12_GLOBAL__N_18offset_tEEE10hipError_tPvRmT1_PNSt15iterator_traitsIS12_E10value_typeET2_T3_PNS13_IS18_E10value_typeET4_jRbjT5_S1E_jjP12ihipStream_tbEUljE_ZNSN_ISO_Lb0ESQ_SR_ST_SU_SY_EESZ_S10_S11_S12_S16_S17_S18_S1B_S1C_jS1D_jS1E_S1E_jjS1G_bEUljE0_EEESZ_S10_S11_S18_S1C_S1E_T6_T7_T9_mT8_S1G_bDpT10_ENKUlT_T0_E_clISt17integral_constantIbLb0EES1U_EEDaS1P_S1Q_EUlS1P_E_NS1_11comp_targetILNS1_3genE3ELNS1_11target_archE908ELNS1_3gpuE7ELNS1_3repE0EEENS1_30default_config_static_selectorELNS0_4arch9wavefront6targetE0EEEvS12_.uses_vcc, 0
	.set _ZN7rocprim17ROCPRIM_400000_NS6detail17trampoline_kernelINS0_13select_configILj256ELj13ELNS0_17block_load_methodE3ELS4_3ELS4_3ELNS0_20block_scan_algorithmE0ELj4294967295EEENS1_25partition_config_selectorILNS1_17partition_subalgoE4EjNS0_10empty_typeEbEEZZNS1_14partition_implILS8_4ELb0ES6_15HIP_vector_typeIjLj2EENS0_17counting_iteratorIjlEEPS9_SG_NS0_5tupleIJPjSI_NS0_16reverse_iteratorISI_EEEEENSH_IJSG_SG_SG_EEES9_SI_JZNS1_25segmented_radix_sort_implINS0_14default_configELb0EPKsPsPKlPlN2at6native12_GLOBAL__N_18offset_tEEE10hipError_tPvRmT1_PNSt15iterator_traitsIS12_E10value_typeET2_T3_PNS13_IS18_E10value_typeET4_jRbjT5_S1E_jjP12ihipStream_tbEUljE_ZNSN_ISO_Lb0ESQ_SR_ST_SU_SY_EESZ_S10_S11_S12_S16_S17_S18_S1B_S1C_jS1D_jS1E_S1E_jjS1G_bEUljE0_EEESZ_S10_S11_S18_S1C_S1E_T6_T7_T9_mT8_S1G_bDpT10_ENKUlT_T0_E_clISt17integral_constantIbLb0EES1U_EEDaS1P_S1Q_EUlS1P_E_NS1_11comp_targetILNS1_3genE3ELNS1_11target_archE908ELNS1_3gpuE7ELNS1_3repE0EEENS1_30default_config_static_selectorELNS0_4arch9wavefront6targetE0EEEvS12_.uses_flat_scratch, 0
	.set _ZN7rocprim17ROCPRIM_400000_NS6detail17trampoline_kernelINS0_13select_configILj256ELj13ELNS0_17block_load_methodE3ELS4_3ELS4_3ELNS0_20block_scan_algorithmE0ELj4294967295EEENS1_25partition_config_selectorILNS1_17partition_subalgoE4EjNS0_10empty_typeEbEEZZNS1_14partition_implILS8_4ELb0ES6_15HIP_vector_typeIjLj2EENS0_17counting_iteratorIjlEEPS9_SG_NS0_5tupleIJPjSI_NS0_16reverse_iteratorISI_EEEEENSH_IJSG_SG_SG_EEES9_SI_JZNS1_25segmented_radix_sort_implINS0_14default_configELb0EPKsPsPKlPlN2at6native12_GLOBAL__N_18offset_tEEE10hipError_tPvRmT1_PNSt15iterator_traitsIS12_E10value_typeET2_T3_PNS13_IS18_E10value_typeET4_jRbjT5_S1E_jjP12ihipStream_tbEUljE_ZNSN_ISO_Lb0ESQ_SR_ST_SU_SY_EESZ_S10_S11_S12_S16_S17_S18_S1B_S1C_jS1D_jS1E_S1E_jjS1G_bEUljE0_EEESZ_S10_S11_S18_S1C_S1E_T6_T7_T9_mT8_S1G_bDpT10_ENKUlT_T0_E_clISt17integral_constantIbLb0EES1U_EEDaS1P_S1Q_EUlS1P_E_NS1_11comp_targetILNS1_3genE3ELNS1_11target_archE908ELNS1_3gpuE7ELNS1_3repE0EEENS1_30default_config_static_selectorELNS0_4arch9wavefront6targetE0EEEvS12_.has_dyn_sized_stack, 0
	.set _ZN7rocprim17ROCPRIM_400000_NS6detail17trampoline_kernelINS0_13select_configILj256ELj13ELNS0_17block_load_methodE3ELS4_3ELS4_3ELNS0_20block_scan_algorithmE0ELj4294967295EEENS1_25partition_config_selectorILNS1_17partition_subalgoE4EjNS0_10empty_typeEbEEZZNS1_14partition_implILS8_4ELb0ES6_15HIP_vector_typeIjLj2EENS0_17counting_iteratorIjlEEPS9_SG_NS0_5tupleIJPjSI_NS0_16reverse_iteratorISI_EEEEENSH_IJSG_SG_SG_EEES9_SI_JZNS1_25segmented_radix_sort_implINS0_14default_configELb0EPKsPsPKlPlN2at6native12_GLOBAL__N_18offset_tEEE10hipError_tPvRmT1_PNSt15iterator_traitsIS12_E10value_typeET2_T3_PNS13_IS18_E10value_typeET4_jRbjT5_S1E_jjP12ihipStream_tbEUljE_ZNSN_ISO_Lb0ESQ_SR_ST_SU_SY_EESZ_S10_S11_S12_S16_S17_S18_S1B_S1C_jS1D_jS1E_S1E_jjS1G_bEUljE0_EEESZ_S10_S11_S18_S1C_S1E_T6_T7_T9_mT8_S1G_bDpT10_ENKUlT_T0_E_clISt17integral_constantIbLb0EES1U_EEDaS1P_S1Q_EUlS1P_E_NS1_11comp_targetILNS1_3genE3ELNS1_11target_archE908ELNS1_3gpuE7ELNS1_3repE0EEENS1_30default_config_static_selectorELNS0_4arch9wavefront6targetE0EEEvS12_.has_recursion, 0
	.set _ZN7rocprim17ROCPRIM_400000_NS6detail17trampoline_kernelINS0_13select_configILj256ELj13ELNS0_17block_load_methodE3ELS4_3ELS4_3ELNS0_20block_scan_algorithmE0ELj4294967295EEENS1_25partition_config_selectorILNS1_17partition_subalgoE4EjNS0_10empty_typeEbEEZZNS1_14partition_implILS8_4ELb0ES6_15HIP_vector_typeIjLj2EENS0_17counting_iteratorIjlEEPS9_SG_NS0_5tupleIJPjSI_NS0_16reverse_iteratorISI_EEEEENSH_IJSG_SG_SG_EEES9_SI_JZNS1_25segmented_radix_sort_implINS0_14default_configELb0EPKsPsPKlPlN2at6native12_GLOBAL__N_18offset_tEEE10hipError_tPvRmT1_PNSt15iterator_traitsIS12_E10value_typeET2_T3_PNS13_IS18_E10value_typeET4_jRbjT5_S1E_jjP12ihipStream_tbEUljE_ZNSN_ISO_Lb0ESQ_SR_ST_SU_SY_EESZ_S10_S11_S12_S16_S17_S18_S1B_S1C_jS1D_jS1E_S1E_jjS1G_bEUljE0_EEESZ_S10_S11_S18_S1C_S1E_T6_T7_T9_mT8_S1G_bDpT10_ENKUlT_T0_E_clISt17integral_constantIbLb0EES1U_EEDaS1P_S1Q_EUlS1P_E_NS1_11comp_targetILNS1_3genE3ELNS1_11target_archE908ELNS1_3gpuE7ELNS1_3repE0EEENS1_30default_config_static_selectorELNS0_4arch9wavefront6targetE0EEEvS12_.has_indirect_call, 0
	.section	.AMDGPU.csdata,"",@progbits
; Kernel info:
; codeLenInByte = 0
; TotalNumSgprs: 0
; NumVgprs: 0
; ScratchSize: 0
; MemoryBound: 0
; FloatMode: 240
; IeeeMode: 1
; LDSByteSize: 0 bytes/workgroup (compile time only)
; SGPRBlocks: 0
; VGPRBlocks: 0
; NumSGPRsForWavesPerEU: 1
; NumVGPRsForWavesPerEU: 1
; Occupancy: 16
; WaveLimiterHint : 0
; COMPUTE_PGM_RSRC2:SCRATCH_EN: 0
; COMPUTE_PGM_RSRC2:USER_SGPR: 6
; COMPUTE_PGM_RSRC2:TRAP_HANDLER: 0
; COMPUTE_PGM_RSRC2:TGID_X_EN: 1
; COMPUTE_PGM_RSRC2:TGID_Y_EN: 0
; COMPUTE_PGM_RSRC2:TGID_Z_EN: 0
; COMPUTE_PGM_RSRC2:TIDIG_COMP_CNT: 0
	.section	.text._ZN7rocprim17ROCPRIM_400000_NS6detail17trampoline_kernelINS0_13select_configILj256ELj13ELNS0_17block_load_methodE3ELS4_3ELS4_3ELNS0_20block_scan_algorithmE0ELj4294967295EEENS1_25partition_config_selectorILNS1_17partition_subalgoE4EjNS0_10empty_typeEbEEZZNS1_14partition_implILS8_4ELb0ES6_15HIP_vector_typeIjLj2EENS0_17counting_iteratorIjlEEPS9_SG_NS0_5tupleIJPjSI_NS0_16reverse_iteratorISI_EEEEENSH_IJSG_SG_SG_EEES9_SI_JZNS1_25segmented_radix_sort_implINS0_14default_configELb0EPKsPsPKlPlN2at6native12_GLOBAL__N_18offset_tEEE10hipError_tPvRmT1_PNSt15iterator_traitsIS12_E10value_typeET2_T3_PNS13_IS18_E10value_typeET4_jRbjT5_S1E_jjP12ihipStream_tbEUljE_ZNSN_ISO_Lb0ESQ_SR_ST_SU_SY_EESZ_S10_S11_S12_S16_S17_S18_S1B_S1C_jS1D_jS1E_S1E_jjS1G_bEUljE0_EEESZ_S10_S11_S18_S1C_S1E_T6_T7_T9_mT8_S1G_bDpT10_ENKUlT_T0_E_clISt17integral_constantIbLb0EES1U_EEDaS1P_S1Q_EUlS1P_E_NS1_11comp_targetILNS1_3genE2ELNS1_11target_archE906ELNS1_3gpuE6ELNS1_3repE0EEENS1_30default_config_static_selectorELNS0_4arch9wavefront6targetE0EEEvS12_,"axG",@progbits,_ZN7rocprim17ROCPRIM_400000_NS6detail17trampoline_kernelINS0_13select_configILj256ELj13ELNS0_17block_load_methodE3ELS4_3ELS4_3ELNS0_20block_scan_algorithmE0ELj4294967295EEENS1_25partition_config_selectorILNS1_17partition_subalgoE4EjNS0_10empty_typeEbEEZZNS1_14partition_implILS8_4ELb0ES6_15HIP_vector_typeIjLj2EENS0_17counting_iteratorIjlEEPS9_SG_NS0_5tupleIJPjSI_NS0_16reverse_iteratorISI_EEEEENSH_IJSG_SG_SG_EEES9_SI_JZNS1_25segmented_radix_sort_implINS0_14default_configELb0EPKsPsPKlPlN2at6native12_GLOBAL__N_18offset_tEEE10hipError_tPvRmT1_PNSt15iterator_traitsIS12_E10value_typeET2_T3_PNS13_IS18_E10value_typeET4_jRbjT5_S1E_jjP12ihipStream_tbEUljE_ZNSN_ISO_Lb0ESQ_SR_ST_SU_SY_EESZ_S10_S11_S12_S16_S17_S18_S1B_S1C_jS1D_jS1E_S1E_jjS1G_bEUljE0_EEESZ_S10_S11_S18_S1C_S1E_T6_T7_T9_mT8_S1G_bDpT10_ENKUlT_T0_E_clISt17integral_constantIbLb0EES1U_EEDaS1P_S1Q_EUlS1P_E_NS1_11comp_targetILNS1_3genE2ELNS1_11target_archE906ELNS1_3gpuE6ELNS1_3repE0EEENS1_30default_config_static_selectorELNS0_4arch9wavefront6targetE0EEEvS12_,comdat
	.globl	_ZN7rocprim17ROCPRIM_400000_NS6detail17trampoline_kernelINS0_13select_configILj256ELj13ELNS0_17block_load_methodE3ELS4_3ELS4_3ELNS0_20block_scan_algorithmE0ELj4294967295EEENS1_25partition_config_selectorILNS1_17partition_subalgoE4EjNS0_10empty_typeEbEEZZNS1_14partition_implILS8_4ELb0ES6_15HIP_vector_typeIjLj2EENS0_17counting_iteratorIjlEEPS9_SG_NS0_5tupleIJPjSI_NS0_16reverse_iteratorISI_EEEEENSH_IJSG_SG_SG_EEES9_SI_JZNS1_25segmented_radix_sort_implINS0_14default_configELb0EPKsPsPKlPlN2at6native12_GLOBAL__N_18offset_tEEE10hipError_tPvRmT1_PNSt15iterator_traitsIS12_E10value_typeET2_T3_PNS13_IS18_E10value_typeET4_jRbjT5_S1E_jjP12ihipStream_tbEUljE_ZNSN_ISO_Lb0ESQ_SR_ST_SU_SY_EESZ_S10_S11_S12_S16_S17_S18_S1B_S1C_jS1D_jS1E_S1E_jjS1G_bEUljE0_EEESZ_S10_S11_S18_S1C_S1E_T6_T7_T9_mT8_S1G_bDpT10_ENKUlT_T0_E_clISt17integral_constantIbLb0EES1U_EEDaS1P_S1Q_EUlS1P_E_NS1_11comp_targetILNS1_3genE2ELNS1_11target_archE906ELNS1_3gpuE6ELNS1_3repE0EEENS1_30default_config_static_selectorELNS0_4arch9wavefront6targetE0EEEvS12_ ; -- Begin function _ZN7rocprim17ROCPRIM_400000_NS6detail17trampoline_kernelINS0_13select_configILj256ELj13ELNS0_17block_load_methodE3ELS4_3ELS4_3ELNS0_20block_scan_algorithmE0ELj4294967295EEENS1_25partition_config_selectorILNS1_17partition_subalgoE4EjNS0_10empty_typeEbEEZZNS1_14partition_implILS8_4ELb0ES6_15HIP_vector_typeIjLj2EENS0_17counting_iteratorIjlEEPS9_SG_NS0_5tupleIJPjSI_NS0_16reverse_iteratorISI_EEEEENSH_IJSG_SG_SG_EEES9_SI_JZNS1_25segmented_radix_sort_implINS0_14default_configELb0EPKsPsPKlPlN2at6native12_GLOBAL__N_18offset_tEEE10hipError_tPvRmT1_PNSt15iterator_traitsIS12_E10value_typeET2_T3_PNS13_IS18_E10value_typeET4_jRbjT5_S1E_jjP12ihipStream_tbEUljE_ZNSN_ISO_Lb0ESQ_SR_ST_SU_SY_EESZ_S10_S11_S12_S16_S17_S18_S1B_S1C_jS1D_jS1E_S1E_jjS1G_bEUljE0_EEESZ_S10_S11_S18_S1C_S1E_T6_T7_T9_mT8_S1G_bDpT10_ENKUlT_T0_E_clISt17integral_constantIbLb0EES1U_EEDaS1P_S1Q_EUlS1P_E_NS1_11comp_targetILNS1_3genE2ELNS1_11target_archE906ELNS1_3gpuE6ELNS1_3repE0EEENS1_30default_config_static_selectorELNS0_4arch9wavefront6targetE0EEEvS12_
	.p2align	8
	.type	_ZN7rocprim17ROCPRIM_400000_NS6detail17trampoline_kernelINS0_13select_configILj256ELj13ELNS0_17block_load_methodE3ELS4_3ELS4_3ELNS0_20block_scan_algorithmE0ELj4294967295EEENS1_25partition_config_selectorILNS1_17partition_subalgoE4EjNS0_10empty_typeEbEEZZNS1_14partition_implILS8_4ELb0ES6_15HIP_vector_typeIjLj2EENS0_17counting_iteratorIjlEEPS9_SG_NS0_5tupleIJPjSI_NS0_16reverse_iteratorISI_EEEEENSH_IJSG_SG_SG_EEES9_SI_JZNS1_25segmented_radix_sort_implINS0_14default_configELb0EPKsPsPKlPlN2at6native12_GLOBAL__N_18offset_tEEE10hipError_tPvRmT1_PNSt15iterator_traitsIS12_E10value_typeET2_T3_PNS13_IS18_E10value_typeET4_jRbjT5_S1E_jjP12ihipStream_tbEUljE_ZNSN_ISO_Lb0ESQ_SR_ST_SU_SY_EESZ_S10_S11_S12_S16_S17_S18_S1B_S1C_jS1D_jS1E_S1E_jjS1G_bEUljE0_EEESZ_S10_S11_S18_S1C_S1E_T6_T7_T9_mT8_S1G_bDpT10_ENKUlT_T0_E_clISt17integral_constantIbLb0EES1U_EEDaS1P_S1Q_EUlS1P_E_NS1_11comp_targetILNS1_3genE2ELNS1_11target_archE906ELNS1_3gpuE6ELNS1_3repE0EEENS1_30default_config_static_selectorELNS0_4arch9wavefront6targetE0EEEvS12_,@function
_ZN7rocprim17ROCPRIM_400000_NS6detail17trampoline_kernelINS0_13select_configILj256ELj13ELNS0_17block_load_methodE3ELS4_3ELS4_3ELNS0_20block_scan_algorithmE0ELj4294967295EEENS1_25partition_config_selectorILNS1_17partition_subalgoE4EjNS0_10empty_typeEbEEZZNS1_14partition_implILS8_4ELb0ES6_15HIP_vector_typeIjLj2EENS0_17counting_iteratorIjlEEPS9_SG_NS0_5tupleIJPjSI_NS0_16reverse_iteratorISI_EEEEENSH_IJSG_SG_SG_EEES9_SI_JZNS1_25segmented_radix_sort_implINS0_14default_configELb0EPKsPsPKlPlN2at6native12_GLOBAL__N_18offset_tEEE10hipError_tPvRmT1_PNSt15iterator_traitsIS12_E10value_typeET2_T3_PNS13_IS18_E10value_typeET4_jRbjT5_S1E_jjP12ihipStream_tbEUljE_ZNSN_ISO_Lb0ESQ_SR_ST_SU_SY_EESZ_S10_S11_S12_S16_S17_S18_S1B_S1C_jS1D_jS1E_S1E_jjS1G_bEUljE0_EEESZ_S10_S11_S18_S1C_S1E_T6_T7_T9_mT8_S1G_bDpT10_ENKUlT_T0_E_clISt17integral_constantIbLb0EES1U_EEDaS1P_S1Q_EUlS1P_E_NS1_11comp_targetILNS1_3genE2ELNS1_11target_archE906ELNS1_3gpuE6ELNS1_3repE0EEENS1_30default_config_static_selectorELNS0_4arch9wavefront6targetE0EEEvS12_: ; @_ZN7rocprim17ROCPRIM_400000_NS6detail17trampoline_kernelINS0_13select_configILj256ELj13ELNS0_17block_load_methodE3ELS4_3ELS4_3ELNS0_20block_scan_algorithmE0ELj4294967295EEENS1_25partition_config_selectorILNS1_17partition_subalgoE4EjNS0_10empty_typeEbEEZZNS1_14partition_implILS8_4ELb0ES6_15HIP_vector_typeIjLj2EENS0_17counting_iteratorIjlEEPS9_SG_NS0_5tupleIJPjSI_NS0_16reverse_iteratorISI_EEEEENSH_IJSG_SG_SG_EEES9_SI_JZNS1_25segmented_radix_sort_implINS0_14default_configELb0EPKsPsPKlPlN2at6native12_GLOBAL__N_18offset_tEEE10hipError_tPvRmT1_PNSt15iterator_traitsIS12_E10value_typeET2_T3_PNS13_IS18_E10value_typeET4_jRbjT5_S1E_jjP12ihipStream_tbEUljE_ZNSN_ISO_Lb0ESQ_SR_ST_SU_SY_EESZ_S10_S11_S12_S16_S17_S18_S1B_S1C_jS1D_jS1E_S1E_jjS1G_bEUljE0_EEESZ_S10_S11_S18_S1C_S1E_T6_T7_T9_mT8_S1G_bDpT10_ENKUlT_T0_E_clISt17integral_constantIbLb0EES1U_EEDaS1P_S1Q_EUlS1P_E_NS1_11comp_targetILNS1_3genE2ELNS1_11target_archE906ELNS1_3gpuE6ELNS1_3repE0EEENS1_30default_config_static_selectorELNS0_4arch9wavefront6targetE0EEEvS12_
; %bb.0:
	.section	.rodata,"a",@progbits
	.p2align	6, 0x0
	.amdhsa_kernel _ZN7rocprim17ROCPRIM_400000_NS6detail17trampoline_kernelINS0_13select_configILj256ELj13ELNS0_17block_load_methodE3ELS4_3ELS4_3ELNS0_20block_scan_algorithmE0ELj4294967295EEENS1_25partition_config_selectorILNS1_17partition_subalgoE4EjNS0_10empty_typeEbEEZZNS1_14partition_implILS8_4ELb0ES6_15HIP_vector_typeIjLj2EENS0_17counting_iteratorIjlEEPS9_SG_NS0_5tupleIJPjSI_NS0_16reverse_iteratorISI_EEEEENSH_IJSG_SG_SG_EEES9_SI_JZNS1_25segmented_radix_sort_implINS0_14default_configELb0EPKsPsPKlPlN2at6native12_GLOBAL__N_18offset_tEEE10hipError_tPvRmT1_PNSt15iterator_traitsIS12_E10value_typeET2_T3_PNS13_IS18_E10value_typeET4_jRbjT5_S1E_jjP12ihipStream_tbEUljE_ZNSN_ISO_Lb0ESQ_SR_ST_SU_SY_EESZ_S10_S11_S12_S16_S17_S18_S1B_S1C_jS1D_jS1E_S1E_jjS1G_bEUljE0_EEESZ_S10_S11_S18_S1C_S1E_T6_T7_T9_mT8_S1G_bDpT10_ENKUlT_T0_E_clISt17integral_constantIbLb0EES1U_EEDaS1P_S1Q_EUlS1P_E_NS1_11comp_targetILNS1_3genE2ELNS1_11target_archE906ELNS1_3gpuE6ELNS1_3repE0EEENS1_30default_config_static_selectorELNS0_4arch9wavefront6targetE0EEEvS12_
		.amdhsa_group_segment_fixed_size 0
		.amdhsa_private_segment_fixed_size 0
		.amdhsa_kernarg_size 176
		.amdhsa_user_sgpr_count 6
		.amdhsa_user_sgpr_private_segment_buffer 1
		.amdhsa_user_sgpr_dispatch_ptr 0
		.amdhsa_user_sgpr_queue_ptr 0
		.amdhsa_user_sgpr_kernarg_segment_ptr 1
		.amdhsa_user_sgpr_dispatch_id 0
		.amdhsa_user_sgpr_flat_scratch_init 0
		.amdhsa_user_sgpr_private_segment_size 0
		.amdhsa_wavefront_size32 1
		.amdhsa_uses_dynamic_stack 0
		.amdhsa_system_sgpr_private_segment_wavefront_offset 0
		.amdhsa_system_sgpr_workgroup_id_x 1
		.amdhsa_system_sgpr_workgroup_id_y 0
		.amdhsa_system_sgpr_workgroup_id_z 0
		.amdhsa_system_sgpr_workgroup_info 0
		.amdhsa_system_vgpr_workitem_id 0
		.amdhsa_next_free_vgpr 1
		.amdhsa_next_free_sgpr 1
		.amdhsa_reserve_vcc 0
		.amdhsa_reserve_flat_scratch 0
		.amdhsa_float_round_mode_32 0
		.amdhsa_float_round_mode_16_64 0
		.amdhsa_float_denorm_mode_32 3
		.amdhsa_float_denorm_mode_16_64 3
		.amdhsa_dx10_clamp 1
		.amdhsa_ieee_mode 1
		.amdhsa_fp16_overflow 0
		.amdhsa_workgroup_processor_mode 1
		.amdhsa_memory_ordered 1
		.amdhsa_forward_progress 1
		.amdhsa_shared_vgpr_count 0
		.amdhsa_exception_fp_ieee_invalid_op 0
		.amdhsa_exception_fp_denorm_src 0
		.amdhsa_exception_fp_ieee_div_zero 0
		.amdhsa_exception_fp_ieee_overflow 0
		.amdhsa_exception_fp_ieee_underflow 0
		.amdhsa_exception_fp_ieee_inexact 0
		.amdhsa_exception_int_div_zero 0
	.end_amdhsa_kernel
	.section	.text._ZN7rocprim17ROCPRIM_400000_NS6detail17trampoline_kernelINS0_13select_configILj256ELj13ELNS0_17block_load_methodE3ELS4_3ELS4_3ELNS0_20block_scan_algorithmE0ELj4294967295EEENS1_25partition_config_selectorILNS1_17partition_subalgoE4EjNS0_10empty_typeEbEEZZNS1_14partition_implILS8_4ELb0ES6_15HIP_vector_typeIjLj2EENS0_17counting_iteratorIjlEEPS9_SG_NS0_5tupleIJPjSI_NS0_16reverse_iteratorISI_EEEEENSH_IJSG_SG_SG_EEES9_SI_JZNS1_25segmented_radix_sort_implINS0_14default_configELb0EPKsPsPKlPlN2at6native12_GLOBAL__N_18offset_tEEE10hipError_tPvRmT1_PNSt15iterator_traitsIS12_E10value_typeET2_T3_PNS13_IS18_E10value_typeET4_jRbjT5_S1E_jjP12ihipStream_tbEUljE_ZNSN_ISO_Lb0ESQ_SR_ST_SU_SY_EESZ_S10_S11_S12_S16_S17_S18_S1B_S1C_jS1D_jS1E_S1E_jjS1G_bEUljE0_EEESZ_S10_S11_S18_S1C_S1E_T6_T7_T9_mT8_S1G_bDpT10_ENKUlT_T0_E_clISt17integral_constantIbLb0EES1U_EEDaS1P_S1Q_EUlS1P_E_NS1_11comp_targetILNS1_3genE2ELNS1_11target_archE906ELNS1_3gpuE6ELNS1_3repE0EEENS1_30default_config_static_selectorELNS0_4arch9wavefront6targetE0EEEvS12_,"axG",@progbits,_ZN7rocprim17ROCPRIM_400000_NS6detail17trampoline_kernelINS0_13select_configILj256ELj13ELNS0_17block_load_methodE3ELS4_3ELS4_3ELNS0_20block_scan_algorithmE0ELj4294967295EEENS1_25partition_config_selectorILNS1_17partition_subalgoE4EjNS0_10empty_typeEbEEZZNS1_14partition_implILS8_4ELb0ES6_15HIP_vector_typeIjLj2EENS0_17counting_iteratorIjlEEPS9_SG_NS0_5tupleIJPjSI_NS0_16reverse_iteratorISI_EEEEENSH_IJSG_SG_SG_EEES9_SI_JZNS1_25segmented_radix_sort_implINS0_14default_configELb0EPKsPsPKlPlN2at6native12_GLOBAL__N_18offset_tEEE10hipError_tPvRmT1_PNSt15iterator_traitsIS12_E10value_typeET2_T3_PNS13_IS18_E10value_typeET4_jRbjT5_S1E_jjP12ihipStream_tbEUljE_ZNSN_ISO_Lb0ESQ_SR_ST_SU_SY_EESZ_S10_S11_S12_S16_S17_S18_S1B_S1C_jS1D_jS1E_S1E_jjS1G_bEUljE0_EEESZ_S10_S11_S18_S1C_S1E_T6_T7_T9_mT8_S1G_bDpT10_ENKUlT_T0_E_clISt17integral_constantIbLb0EES1U_EEDaS1P_S1Q_EUlS1P_E_NS1_11comp_targetILNS1_3genE2ELNS1_11target_archE906ELNS1_3gpuE6ELNS1_3repE0EEENS1_30default_config_static_selectorELNS0_4arch9wavefront6targetE0EEEvS12_,comdat
.Lfunc_end947:
	.size	_ZN7rocprim17ROCPRIM_400000_NS6detail17trampoline_kernelINS0_13select_configILj256ELj13ELNS0_17block_load_methodE3ELS4_3ELS4_3ELNS0_20block_scan_algorithmE0ELj4294967295EEENS1_25partition_config_selectorILNS1_17partition_subalgoE4EjNS0_10empty_typeEbEEZZNS1_14partition_implILS8_4ELb0ES6_15HIP_vector_typeIjLj2EENS0_17counting_iteratorIjlEEPS9_SG_NS0_5tupleIJPjSI_NS0_16reverse_iteratorISI_EEEEENSH_IJSG_SG_SG_EEES9_SI_JZNS1_25segmented_radix_sort_implINS0_14default_configELb0EPKsPsPKlPlN2at6native12_GLOBAL__N_18offset_tEEE10hipError_tPvRmT1_PNSt15iterator_traitsIS12_E10value_typeET2_T3_PNS13_IS18_E10value_typeET4_jRbjT5_S1E_jjP12ihipStream_tbEUljE_ZNSN_ISO_Lb0ESQ_SR_ST_SU_SY_EESZ_S10_S11_S12_S16_S17_S18_S1B_S1C_jS1D_jS1E_S1E_jjS1G_bEUljE0_EEESZ_S10_S11_S18_S1C_S1E_T6_T7_T9_mT8_S1G_bDpT10_ENKUlT_T0_E_clISt17integral_constantIbLb0EES1U_EEDaS1P_S1Q_EUlS1P_E_NS1_11comp_targetILNS1_3genE2ELNS1_11target_archE906ELNS1_3gpuE6ELNS1_3repE0EEENS1_30default_config_static_selectorELNS0_4arch9wavefront6targetE0EEEvS12_, .Lfunc_end947-_ZN7rocprim17ROCPRIM_400000_NS6detail17trampoline_kernelINS0_13select_configILj256ELj13ELNS0_17block_load_methodE3ELS4_3ELS4_3ELNS0_20block_scan_algorithmE0ELj4294967295EEENS1_25partition_config_selectorILNS1_17partition_subalgoE4EjNS0_10empty_typeEbEEZZNS1_14partition_implILS8_4ELb0ES6_15HIP_vector_typeIjLj2EENS0_17counting_iteratorIjlEEPS9_SG_NS0_5tupleIJPjSI_NS0_16reverse_iteratorISI_EEEEENSH_IJSG_SG_SG_EEES9_SI_JZNS1_25segmented_radix_sort_implINS0_14default_configELb0EPKsPsPKlPlN2at6native12_GLOBAL__N_18offset_tEEE10hipError_tPvRmT1_PNSt15iterator_traitsIS12_E10value_typeET2_T3_PNS13_IS18_E10value_typeET4_jRbjT5_S1E_jjP12ihipStream_tbEUljE_ZNSN_ISO_Lb0ESQ_SR_ST_SU_SY_EESZ_S10_S11_S12_S16_S17_S18_S1B_S1C_jS1D_jS1E_S1E_jjS1G_bEUljE0_EEESZ_S10_S11_S18_S1C_S1E_T6_T7_T9_mT8_S1G_bDpT10_ENKUlT_T0_E_clISt17integral_constantIbLb0EES1U_EEDaS1P_S1Q_EUlS1P_E_NS1_11comp_targetILNS1_3genE2ELNS1_11target_archE906ELNS1_3gpuE6ELNS1_3repE0EEENS1_30default_config_static_selectorELNS0_4arch9wavefront6targetE0EEEvS12_
                                        ; -- End function
	.set _ZN7rocprim17ROCPRIM_400000_NS6detail17trampoline_kernelINS0_13select_configILj256ELj13ELNS0_17block_load_methodE3ELS4_3ELS4_3ELNS0_20block_scan_algorithmE0ELj4294967295EEENS1_25partition_config_selectorILNS1_17partition_subalgoE4EjNS0_10empty_typeEbEEZZNS1_14partition_implILS8_4ELb0ES6_15HIP_vector_typeIjLj2EENS0_17counting_iteratorIjlEEPS9_SG_NS0_5tupleIJPjSI_NS0_16reverse_iteratorISI_EEEEENSH_IJSG_SG_SG_EEES9_SI_JZNS1_25segmented_radix_sort_implINS0_14default_configELb0EPKsPsPKlPlN2at6native12_GLOBAL__N_18offset_tEEE10hipError_tPvRmT1_PNSt15iterator_traitsIS12_E10value_typeET2_T3_PNS13_IS18_E10value_typeET4_jRbjT5_S1E_jjP12ihipStream_tbEUljE_ZNSN_ISO_Lb0ESQ_SR_ST_SU_SY_EESZ_S10_S11_S12_S16_S17_S18_S1B_S1C_jS1D_jS1E_S1E_jjS1G_bEUljE0_EEESZ_S10_S11_S18_S1C_S1E_T6_T7_T9_mT8_S1G_bDpT10_ENKUlT_T0_E_clISt17integral_constantIbLb0EES1U_EEDaS1P_S1Q_EUlS1P_E_NS1_11comp_targetILNS1_3genE2ELNS1_11target_archE906ELNS1_3gpuE6ELNS1_3repE0EEENS1_30default_config_static_selectorELNS0_4arch9wavefront6targetE0EEEvS12_.num_vgpr, 0
	.set _ZN7rocprim17ROCPRIM_400000_NS6detail17trampoline_kernelINS0_13select_configILj256ELj13ELNS0_17block_load_methodE3ELS4_3ELS4_3ELNS0_20block_scan_algorithmE0ELj4294967295EEENS1_25partition_config_selectorILNS1_17partition_subalgoE4EjNS0_10empty_typeEbEEZZNS1_14partition_implILS8_4ELb0ES6_15HIP_vector_typeIjLj2EENS0_17counting_iteratorIjlEEPS9_SG_NS0_5tupleIJPjSI_NS0_16reverse_iteratorISI_EEEEENSH_IJSG_SG_SG_EEES9_SI_JZNS1_25segmented_radix_sort_implINS0_14default_configELb0EPKsPsPKlPlN2at6native12_GLOBAL__N_18offset_tEEE10hipError_tPvRmT1_PNSt15iterator_traitsIS12_E10value_typeET2_T3_PNS13_IS18_E10value_typeET4_jRbjT5_S1E_jjP12ihipStream_tbEUljE_ZNSN_ISO_Lb0ESQ_SR_ST_SU_SY_EESZ_S10_S11_S12_S16_S17_S18_S1B_S1C_jS1D_jS1E_S1E_jjS1G_bEUljE0_EEESZ_S10_S11_S18_S1C_S1E_T6_T7_T9_mT8_S1G_bDpT10_ENKUlT_T0_E_clISt17integral_constantIbLb0EES1U_EEDaS1P_S1Q_EUlS1P_E_NS1_11comp_targetILNS1_3genE2ELNS1_11target_archE906ELNS1_3gpuE6ELNS1_3repE0EEENS1_30default_config_static_selectorELNS0_4arch9wavefront6targetE0EEEvS12_.num_agpr, 0
	.set _ZN7rocprim17ROCPRIM_400000_NS6detail17trampoline_kernelINS0_13select_configILj256ELj13ELNS0_17block_load_methodE3ELS4_3ELS4_3ELNS0_20block_scan_algorithmE0ELj4294967295EEENS1_25partition_config_selectorILNS1_17partition_subalgoE4EjNS0_10empty_typeEbEEZZNS1_14partition_implILS8_4ELb0ES6_15HIP_vector_typeIjLj2EENS0_17counting_iteratorIjlEEPS9_SG_NS0_5tupleIJPjSI_NS0_16reverse_iteratorISI_EEEEENSH_IJSG_SG_SG_EEES9_SI_JZNS1_25segmented_radix_sort_implINS0_14default_configELb0EPKsPsPKlPlN2at6native12_GLOBAL__N_18offset_tEEE10hipError_tPvRmT1_PNSt15iterator_traitsIS12_E10value_typeET2_T3_PNS13_IS18_E10value_typeET4_jRbjT5_S1E_jjP12ihipStream_tbEUljE_ZNSN_ISO_Lb0ESQ_SR_ST_SU_SY_EESZ_S10_S11_S12_S16_S17_S18_S1B_S1C_jS1D_jS1E_S1E_jjS1G_bEUljE0_EEESZ_S10_S11_S18_S1C_S1E_T6_T7_T9_mT8_S1G_bDpT10_ENKUlT_T0_E_clISt17integral_constantIbLb0EES1U_EEDaS1P_S1Q_EUlS1P_E_NS1_11comp_targetILNS1_3genE2ELNS1_11target_archE906ELNS1_3gpuE6ELNS1_3repE0EEENS1_30default_config_static_selectorELNS0_4arch9wavefront6targetE0EEEvS12_.numbered_sgpr, 0
	.set _ZN7rocprim17ROCPRIM_400000_NS6detail17trampoline_kernelINS0_13select_configILj256ELj13ELNS0_17block_load_methodE3ELS4_3ELS4_3ELNS0_20block_scan_algorithmE0ELj4294967295EEENS1_25partition_config_selectorILNS1_17partition_subalgoE4EjNS0_10empty_typeEbEEZZNS1_14partition_implILS8_4ELb0ES6_15HIP_vector_typeIjLj2EENS0_17counting_iteratorIjlEEPS9_SG_NS0_5tupleIJPjSI_NS0_16reverse_iteratorISI_EEEEENSH_IJSG_SG_SG_EEES9_SI_JZNS1_25segmented_radix_sort_implINS0_14default_configELb0EPKsPsPKlPlN2at6native12_GLOBAL__N_18offset_tEEE10hipError_tPvRmT1_PNSt15iterator_traitsIS12_E10value_typeET2_T3_PNS13_IS18_E10value_typeET4_jRbjT5_S1E_jjP12ihipStream_tbEUljE_ZNSN_ISO_Lb0ESQ_SR_ST_SU_SY_EESZ_S10_S11_S12_S16_S17_S18_S1B_S1C_jS1D_jS1E_S1E_jjS1G_bEUljE0_EEESZ_S10_S11_S18_S1C_S1E_T6_T7_T9_mT8_S1G_bDpT10_ENKUlT_T0_E_clISt17integral_constantIbLb0EES1U_EEDaS1P_S1Q_EUlS1P_E_NS1_11comp_targetILNS1_3genE2ELNS1_11target_archE906ELNS1_3gpuE6ELNS1_3repE0EEENS1_30default_config_static_selectorELNS0_4arch9wavefront6targetE0EEEvS12_.num_named_barrier, 0
	.set _ZN7rocprim17ROCPRIM_400000_NS6detail17trampoline_kernelINS0_13select_configILj256ELj13ELNS0_17block_load_methodE3ELS4_3ELS4_3ELNS0_20block_scan_algorithmE0ELj4294967295EEENS1_25partition_config_selectorILNS1_17partition_subalgoE4EjNS0_10empty_typeEbEEZZNS1_14partition_implILS8_4ELb0ES6_15HIP_vector_typeIjLj2EENS0_17counting_iteratorIjlEEPS9_SG_NS0_5tupleIJPjSI_NS0_16reverse_iteratorISI_EEEEENSH_IJSG_SG_SG_EEES9_SI_JZNS1_25segmented_radix_sort_implINS0_14default_configELb0EPKsPsPKlPlN2at6native12_GLOBAL__N_18offset_tEEE10hipError_tPvRmT1_PNSt15iterator_traitsIS12_E10value_typeET2_T3_PNS13_IS18_E10value_typeET4_jRbjT5_S1E_jjP12ihipStream_tbEUljE_ZNSN_ISO_Lb0ESQ_SR_ST_SU_SY_EESZ_S10_S11_S12_S16_S17_S18_S1B_S1C_jS1D_jS1E_S1E_jjS1G_bEUljE0_EEESZ_S10_S11_S18_S1C_S1E_T6_T7_T9_mT8_S1G_bDpT10_ENKUlT_T0_E_clISt17integral_constantIbLb0EES1U_EEDaS1P_S1Q_EUlS1P_E_NS1_11comp_targetILNS1_3genE2ELNS1_11target_archE906ELNS1_3gpuE6ELNS1_3repE0EEENS1_30default_config_static_selectorELNS0_4arch9wavefront6targetE0EEEvS12_.private_seg_size, 0
	.set _ZN7rocprim17ROCPRIM_400000_NS6detail17trampoline_kernelINS0_13select_configILj256ELj13ELNS0_17block_load_methodE3ELS4_3ELS4_3ELNS0_20block_scan_algorithmE0ELj4294967295EEENS1_25partition_config_selectorILNS1_17partition_subalgoE4EjNS0_10empty_typeEbEEZZNS1_14partition_implILS8_4ELb0ES6_15HIP_vector_typeIjLj2EENS0_17counting_iteratorIjlEEPS9_SG_NS0_5tupleIJPjSI_NS0_16reverse_iteratorISI_EEEEENSH_IJSG_SG_SG_EEES9_SI_JZNS1_25segmented_radix_sort_implINS0_14default_configELb0EPKsPsPKlPlN2at6native12_GLOBAL__N_18offset_tEEE10hipError_tPvRmT1_PNSt15iterator_traitsIS12_E10value_typeET2_T3_PNS13_IS18_E10value_typeET4_jRbjT5_S1E_jjP12ihipStream_tbEUljE_ZNSN_ISO_Lb0ESQ_SR_ST_SU_SY_EESZ_S10_S11_S12_S16_S17_S18_S1B_S1C_jS1D_jS1E_S1E_jjS1G_bEUljE0_EEESZ_S10_S11_S18_S1C_S1E_T6_T7_T9_mT8_S1G_bDpT10_ENKUlT_T0_E_clISt17integral_constantIbLb0EES1U_EEDaS1P_S1Q_EUlS1P_E_NS1_11comp_targetILNS1_3genE2ELNS1_11target_archE906ELNS1_3gpuE6ELNS1_3repE0EEENS1_30default_config_static_selectorELNS0_4arch9wavefront6targetE0EEEvS12_.uses_vcc, 0
	.set _ZN7rocprim17ROCPRIM_400000_NS6detail17trampoline_kernelINS0_13select_configILj256ELj13ELNS0_17block_load_methodE3ELS4_3ELS4_3ELNS0_20block_scan_algorithmE0ELj4294967295EEENS1_25partition_config_selectorILNS1_17partition_subalgoE4EjNS0_10empty_typeEbEEZZNS1_14partition_implILS8_4ELb0ES6_15HIP_vector_typeIjLj2EENS0_17counting_iteratorIjlEEPS9_SG_NS0_5tupleIJPjSI_NS0_16reverse_iteratorISI_EEEEENSH_IJSG_SG_SG_EEES9_SI_JZNS1_25segmented_radix_sort_implINS0_14default_configELb0EPKsPsPKlPlN2at6native12_GLOBAL__N_18offset_tEEE10hipError_tPvRmT1_PNSt15iterator_traitsIS12_E10value_typeET2_T3_PNS13_IS18_E10value_typeET4_jRbjT5_S1E_jjP12ihipStream_tbEUljE_ZNSN_ISO_Lb0ESQ_SR_ST_SU_SY_EESZ_S10_S11_S12_S16_S17_S18_S1B_S1C_jS1D_jS1E_S1E_jjS1G_bEUljE0_EEESZ_S10_S11_S18_S1C_S1E_T6_T7_T9_mT8_S1G_bDpT10_ENKUlT_T0_E_clISt17integral_constantIbLb0EES1U_EEDaS1P_S1Q_EUlS1P_E_NS1_11comp_targetILNS1_3genE2ELNS1_11target_archE906ELNS1_3gpuE6ELNS1_3repE0EEENS1_30default_config_static_selectorELNS0_4arch9wavefront6targetE0EEEvS12_.uses_flat_scratch, 0
	.set _ZN7rocprim17ROCPRIM_400000_NS6detail17trampoline_kernelINS0_13select_configILj256ELj13ELNS0_17block_load_methodE3ELS4_3ELS4_3ELNS0_20block_scan_algorithmE0ELj4294967295EEENS1_25partition_config_selectorILNS1_17partition_subalgoE4EjNS0_10empty_typeEbEEZZNS1_14partition_implILS8_4ELb0ES6_15HIP_vector_typeIjLj2EENS0_17counting_iteratorIjlEEPS9_SG_NS0_5tupleIJPjSI_NS0_16reverse_iteratorISI_EEEEENSH_IJSG_SG_SG_EEES9_SI_JZNS1_25segmented_radix_sort_implINS0_14default_configELb0EPKsPsPKlPlN2at6native12_GLOBAL__N_18offset_tEEE10hipError_tPvRmT1_PNSt15iterator_traitsIS12_E10value_typeET2_T3_PNS13_IS18_E10value_typeET4_jRbjT5_S1E_jjP12ihipStream_tbEUljE_ZNSN_ISO_Lb0ESQ_SR_ST_SU_SY_EESZ_S10_S11_S12_S16_S17_S18_S1B_S1C_jS1D_jS1E_S1E_jjS1G_bEUljE0_EEESZ_S10_S11_S18_S1C_S1E_T6_T7_T9_mT8_S1G_bDpT10_ENKUlT_T0_E_clISt17integral_constantIbLb0EES1U_EEDaS1P_S1Q_EUlS1P_E_NS1_11comp_targetILNS1_3genE2ELNS1_11target_archE906ELNS1_3gpuE6ELNS1_3repE0EEENS1_30default_config_static_selectorELNS0_4arch9wavefront6targetE0EEEvS12_.has_dyn_sized_stack, 0
	.set _ZN7rocprim17ROCPRIM_400000_NS6detail17trampoline_kernelINS0_13select_configILj256ELj13ELNS0_17block_load_methodE3ELS4_3ELS4_3ELNS0_20block_scan_algorithmE0ELj4294967295EEENS1_25partition_config_selectorILNS1_17partition_subalgoE4EjNS0_10empty_typeEbEEZZNS1_14partition_implILS8_4ELb0ES6_15HIP_vector_typeIjLj2EENS0_17counting_iteratorIjlEEPS9_SG_NS0_5tupleIJPjSI_NS0_16reverse_iteratorISI_EEEEENSH_IJSG_SG_SG_EEES9_SI_JZNS1_25segmented_radix_sort_implINS0_14default_configELb0EPKsPsPKlPlN2at6native12_GLOBAL__N_18offset_tEEE10hipError_tPvRmT1_PNSt15iterator_traitsIS12_E10value_typeET2_T3_PNS13_IS18_E10value_typeET4_jRbjT5_S1E_jjP12ihipStream_tbEUljE_ZNSN_ISO_Lb0ESQ_SR_ST_SU_SY_EESZ_S10_S11_S12_S16_S17_S18_S1B_S1C_jS1D_jS1E_S1E_jjS1G_bEUljE0_EEESZ_S10_S11_S18_S1C_S1E_T6_T7_T9_mT8_S1G_bDpT10_ENKUlT_T0_E_clISt17integral_constantIbLb0EES1U_EEDaS1P_S1Q_EUlS1P_E_NS1_11comp_targetILNS1_3genE2ELNS1_11target_archE906ELNS1_3gpuE6ELNS1_3repE0EEENS1_30default_config_static_selectorELNS0_4arch9wavefront6targetE0EEEvS12_.has_recursion, 0
	.set _ZN7rocprim17ROCPRIM_400000_NS6detail17trampoline_kernelINS0_13select_configILj256ELj13ELNS0_17block_load_methodE3ELS4_3ELS4_3ELNS0_20block_scan_algorithmE0ELj4294967295EEENS1_25partition_config_selectorILNS1_17partition_subalgoE4EjNS0_10empty_typeEbEEZZNS1_14partition_implILS8_4ELb0ES6_15HIP_vector_typeIjLj2EENS0_17counting_iteratorIjlEEPS9_SG_NS0_5tupleIJPjSI_NS0_16reverse_iteratorISI_EEEEENSH_IJSG_SG_SG_EEES9_SI_JZNS1_25segmented_radix_sort_implINS0_14default_configELb0EPKsPsPKlPlN2at6native12_GLOBAL__N_18offset_tEEE10hipError_tPvRmT1_PNSt15iterator_traitsIS12_E10value_typeET2_T3_PNS13_IS18_E10value_typeET4_jRbjT5_S1E_jjP12ihipStream_tbEUljE_ZNSN_ISO_Lb0ESQ_SR_ST_SU_SY_EESZ_S10_S11_S12_S16_S17_S18_S1B_S1C_jS1D_jS1E_S1E_jjS1G_bEUljE0_EEESZ_S10_S11_S18_S1C_S1E_T6_T7_T9_mT8_S1G_bDpT10_ENKUlT_T0_E_clISt17integral_constantIbLb0EES1U_EEDaS1P_S1Q_EUlS1P_E_NS1_11comp_targetILNS1_3genE2ELNS1_11target_archE906ELNS1_3gpuE6ELNS1_3repE0EEENS1_30default_config_static_selectorELNS0_4arch9wavefront6targetE0EEEvS12_.has_indirect_call, 0
	.section	.AMDGPU.csdata,"",@progbits
; Kernel info:
; codeLenInByte = 0
; TotalNumSgprs: 0
; NumVgprs: 0
; ScratchSize: 0
; MemoryBound: 0
; FloatMode: 240
; IeeeMode: 1
; LDSByteSize: 0 bytes/workgroup (compile time only)
; SGPRBlocks: 0
; VGPRBlocks: 0
; NumSGPRsForWavesPerEU: 1
; NumVGPRsForWavesPerEU: 1
; Occupancy: 16
; WaveLimiterHint : 0
; COMPUTE_PGM_RSRC2:SCRATCH_EN: 0
; COMPUTE_PGM_RSRC2:USER_SGPR: 6
; COMPUTE_PGM_RSRC2:TRAP_HANDLER: 0
; COMPUTE_PGM_RSRC2:TGID_X_EN: 1
; COMPUTE_PGM_RSRC2:TGID_Y_EN: 0
; COMPUTE_PGM_RSRC2:TGID_Z_EN: 0
; COMPUTE_PGM_RSRC2:TIDIG_COMP_CNT: 0
	.section	.text._ZN7rocprim17ROCPRIM_400000_NS6detail17trampoline_kernelINS0_13select_configILj256ELj13ELNS0_17block_load_methodE3ELS4_3ELS4_3ELNS0_20block_scan_algorithmE0ELj4294967295EEENS1_25partition_config_selectorILNS1_17partition_subalgoE4EjNS0_10empty_typeEbEEZZNS1_14partition_implILS8_4ELb0ES6_15HIP_vector_typeIjLj2EENS0_17counting_iteratorIjlEEPS9_SG_NS0_5tupleIJPjSI_NS0_16reverse_iteratorISI_EEEEENSH_IJSG_SG_SG_EEES9_SI_JZNS1_25segmented_radix_sort_implINS0_14default_configELb0EPKsPsPKlPlN2at6native12_GLOBAL__N_18offset_tEEE10hipError_tPvRmT1_PNSt15iterator_traitsIS12_E10value_typeET2_T3_PNS13_IS18_E10value_typeET4_jRbjT5_S1E_jjP12ihipStream_tbEUljE_ZNSN_ISO_Lb0ESQ_SR_ST_SU_SY_EESZ_S10_S11_S12_S16_S17_S18_S1B_S1C_jS1D_jS1E_S1E_jjS1G_bEUljE0_EEESZ_S10_S11_S18_S1C_S1E_T6_T7_T9_mT8_S1G_bDpT10_ENKUlT_T0_E_clISt17integral_constantIbLb0EES1U_EEDaS1P_S1Q_EUlS1P_E_NS1_11comp_targetILNS1_3genE10ELNS1_11target_archE1200ELNS1_3gpuE4ELNS1_3repE0EEENS1_30default_config_static_selectorELNS0_4arch9wavefront6targetE0EEEvS12_,"axG",@progbits,_ZN7rocprim17ROCPRIM_400000_NS6detail17trampoline_kernelINS0_13select_configILj256ELj13ELNS0_17block_load_methodE3ELS4_3ELS4_3ELNS0_20block_scan_algorithmE0ELj4294967295EEENS1_25partition_config_selectorILNS1_17partition_subalgoE4EjNS0_10empty_typeEbEEZZNS1_14partition_implILS8_4ELb0ES6_15HIP_vector_typeIjLj2EENS0_17counting_iteratorIjlEEPS9_SG_NS0_5tupleIJPjSI_NS0_16reverse_iteratorISI_EEEEENSH_IJSG_SG_SG_EEES9_SI_JZNS1_25segmented_radix_sort_implINS0_14default_configELb0EPKsPsPKlPlN2at6native12_GLOBAL__N_18offset_tEEE10hipError_tPvRmT1_PNSt15iterator_traitsIS12_E10value_typeET2_T3_PNS13_IS18_E10value_typeET4_jRbjT5_S1E_jjP12ihipStream_tbEUljE_ZNSN_ISO_Lb0ESQ_SR_ST_SU_SY_EESZ_S10_S11_S12_S16_S17_S18_S1B_S1C_jS1D_jS1E_S1E_jjS1G_bEUljE0_EEESZ_S10_S11_S18_S1C_S1E_T6_T7_T9_mT8_S1G_bDpT10_ENKUlT_T0_E_clISt17integral_constantIbLb0EES1U_EEDaS1P_S1Q_EUlS1P_E_NS1_11comp_targetILNS1_3genE10ELNS1_11target_archE1200ELNS1_3gpuE4ELNS1_3repE0EEENS1_30default_config_static_selectorELNS0_4arch9wavefront6targetE0EEEvS12_,comdat
	.globl	_ZN7rocprim17ROCPRIM_400000_NS6detail17trampoline_kernelINS0_13select_configILj256ELj13ELNS0_17block_load_methodE3ELS4_3ELS4_3ELNS0_20block_scan_algorithmE0ELj4294967295EEENS1_25partition_config_selectorILNS1_17partition_subalgoE4EjNS0_10empty_typeEbEEZZNS1_14partition_implILS8_4ELb0ES6_15HIP_vector_typeIjLj2EENS0_17counting_iteratorIjlEEPS9_SG_NS0_5tupleIJPjSI_NS0_16reverse_iteratorISI_EEEEENSH_IJSG_SG_SG_EEES9_SI_JZNS1_25segmented_radix_sort_implINS0_14default_configELb0EPKsPsPKlPlN2at6native12_GLOBAL__N_18offset_tEEE10hipError_tPvRmT1_PNSt15iterator_traitsIS12_E10value_typeET2_T3_PNS13_IS18_E10value_typeET4_jRbjT5_S1E_jjP12ihipStream_tbEUljE_ZNSN_ISO_Lb0ESQ_SR_ST_SU_SY_EESZ_S10_S11_S12_S16_S17_S18_S1B_S1C_jS1D_jS1E_S1E_jjS1G_bEUljE0_EEESZ_S10_S11_S18_S1C_S1E_T6_T7_T9_mT8_S1G_bDpT10_ENKUlT_T0_E_clISt17integral_constantIbLb0EES1U_EEDaS1P_S1Q_EUlS1P_E_NS1_11comp_targetILNS1_3genE10ELNS1_11target_archE1200ELNS1_3gpuE4ELNS1_3repE0EEENS1_30default_config_static_selectorELNS0_4arch9wavefront6targetE0EEEvS12_ ; -- Begin function _ZN7rocprim17ROCPRIM_400000_NS6detail17trampoline_kernelINS0_13select_configILj256ELj13ELNS0_17block_load_methodE3ELS4_3ELS4_3ELNS0_20block_scan_algorithmE0ELj4294967295EEENS1_25partition_config_selectorILNS1_17partition_subalgoE4EjNS0_10empty_typeEbEEZZNS1_14partition_implILS8_4ELb0ES6_15HIP_vector_typeIjLj2EENS0_17counting_iteratorIjlEEPS9_SG_NS0_5tupleIJPjSI_NS0_16reverse_iteratorISI_EEEEENSH_IJSG_SG_SG_EEES9_SI_JZNS1_25segmented_radix_sort_implINS0_14default_configELb0EPKsPsPKlPlN2at6native12_GLOBAL__N_18offset_tEEE10hipError_tPvRmT1_PNSt15iterator_traitsIS12_E10value_typeET2_T3_PNS13_IS18_E10value_typeET4_jRbjT5_S1E_jjP12ihipStream_tbEUljE_ZNSN_ISO_Lb0ESQ_SR_ST_SU_SY_EESZ_S10_S11_S12_S16_S17_S18_S1B_S1C_jS1D_jS1E_S1E_jjS1G_bEUljE0_EEESZ_S10_S11_S18_S1C_S1E_T6_T7_T9_mT8_S1G_bDpT10_ENKUlT_T0_E_clISt17integral_constantIbLb0EES1U_EEDaS1P_S1Q_EUlS1P_E_NS1_11comp_targetILNS1_3genE10ELNS1_11target_archE1200ELNS1_3gpuE4ELNS1_3repE0EEENS1_30default_config_static_selectorELNS0_4arch9wavefront6targetE0EEEvS12_
	.p2align	8
	.type	_ZN7rocprim17ROCPRIM_400000_NS6detail17trampoline_kernelINS0_13select_configILj256ELj13ELNS0_17block_load_methodE3ELS4_3ELS4_3ELNS0_20block_scan_algorithmE0ELj4294967295EEENS1_25partition_config_selectorILNS1_17partition_subalgoE4EjNS0_10empty_typeEbEEZZNS1_14partition_implILS8_4ELb0ES6_15HIP_vector_typeIjLj2EENS0_17counting_iteratorIjlEEPS9_SG_NS0_5tupleIJPjSI_NS0_16reverse_iteratorISI_EEEEENSH_IJSG_SG_SG_EEES9_SI_JZNS1_25segmented_radix_sort_implINS0_14default_configELb0EPKsPsPKlPlN2at6native12_GLOBAL__N_18offset_tEEE10hipError_tPvRmT1_PNSt15iterator_traitsIS12_E10value_typeET2_T3_PNS13_IS18_E10value_typeET4_jRbjT5_S1E_jjP12ihipStream_tbEUljE_ZNSN_ISO_Lb0ESQ_SR_ST_SU_SY_EESZ_S10_S11_S12_S16_S17_S18_S1B_S1C_jS1D_jS1E_S1E_jjS1G_bEUljE0_EEESZ_S10_S11_S18_S1C_S1E_T6_T7_T9_mT8_S1G_bDpT10_ENKUlT_T0_E_clISt17integral_constantIbLb0EES1U_EEDaS1P_S1Q_EUlS1P_E_NS1_11comp_targetILNS1_3genE10ELNS1_11target_archE1200ELNS1_3gpuE4ELNS1_3repE0EEENS1_30default_config_static_selectorELNS0_4arch9wavefront6targetE0EEEvS12_,@function
_ZN7rocprim17ROCPRIM_400000_NS6detail17trampoline_kernelINS0_13select_configILj256ELj13ELNS0_17block_load_methodE3ELS4_3ELS4_3ELNS0_20block_scan_algorithmE0ELj4294967295EEENS1_25partition_config_selectorILNS1_17partition_subalgoE4EjNS0_10empty_typeEbEEZZNS1_14partition_implILS8_4ELb0ES6_15HIP_vector_typeIjLj2EENS0_17counting_iteratorIjlEEPS9_SG_NS0_5tupleIJPjSI_NS0_16reverse_iteratorISI_EEEEENSH_IJSG_SG_SG_EEES9_SI_JZNS1_25segmented_radix_sort_implINS0_14default_configELb0EPKsPsPKlPlN2at6native12_GLOBAL__N_18offset_tEEE10hipError_tPvRmT1_PNSt15iterator_traitsIS12_E10value_typeET2_T3_PNS13_IS18_E10value_typeET4_jRbjT5_S1E_jjP12ihipStream_tbEUljE_ZNSN_ISO_Lb0ESQ_SR_ST_SU_SY_EESZ_S10_S11_S12_S16_S17_S18_S1B_S1C_jS1D_jS1E_S1E_jjS1G_bEUljE0_EEESZ_S10_S11_S18_S1C_S1E_T6_T7_T9_mT8_S1G_bDpT10_ENKUlT_T0_E_clISt17integral_constantIbLb0EES1U_EEDaS1P_S1Q_EUlS1P_E_NS1_11comp_targetILNS1_3genE10ELNS1_11target_archE1200ELNS1_3gpuE4ELNS1_3repE0EEENS1_30default_config_static_selectorELNS0_4arch9wavefront6targetE0EEEvS12_: ; @_ZN7rocprim17ROCPRIM_400000_NS6detail17trampoline_kernelINS0_13select_configILj256ELj13ELNS0_17block_load_methodE3ELS4_3ELS4_3ELNS0_20block_scan_algorithmE0ELj4294967295EEENS1_25partition_config_selectorILNS1_17partition_subalgoE4EjNS0_10empty_typeEbEEZZNS1_14partition_implILS8_4ELb0ES6_15HIP_vector_typeIjLj2EENS0_17counting_iteratorIjlEEPS9_SG_NS0_5tupleIJPjSI_NS0_16reverse_iteratorISI_EEEEENSH_IJSG_SG_SG_EEES9_SI_JZNS1_25segmented_radix_sort_implINS0_14default_configELb0EPKsPsPKlPlN2at6native12_GLOBAL__N_18offset_tEEE10hipError_tPvRmT1_PNSt15iterator_traitsIS12_E10value_typeET2_T3_PNS13_IS18_E10value_typeET4_jRbjT5_S1E_jjP12ihipStream_tbEUljE_ZNSN_ISO_Lb0ESQ_SR_ST_SU_SY_EESZ_S10_S11_S12_S16_S17_S18_S1B_S1C_jS1D_jS1E_S1E_jjS1G_bEUljE0_EEESZ_S10_S11_S18_S1C_S1E_T6_T7_T9_mT8_S1G_bDpT10_ENKUlT_T0_E_clISt17integral_constantIbLb0EES1U_EEDaS1P_S1Q_EUlS1P_E_NS1_11comp_targetILNS1_3genE10ELNS1_11target_archE1200ELNS1_3gpuE4ELNS1_3repE0EEENS1_30default_config_static_selectorELNS0_4arch9wavefront6targetE0EEEvS12_
; %bb.0:
	.section	.rodata,"a",@progbits
	.p2align	6, 0x0
	.amdhsa_kernel _ZN7rocprim17ROCPRIM_400000_NS6detail17trampoline_kernelINS0_13select_configILj256ELj13ELNS0_17block_load_methodE3ELS4_3ELS4_3ELNS0_20block_scan_algorithmE0ELj4294967295EEENS1_25partition_config_selectorILNS1_17partition_subalgoE4EjNS0_10empty_typeEbEEZZNS1_14partition_implILS8_4ELb0ES6_15HIP_vector_typeIjLj2EENS0_17counting_iteratorIjlEEPS9_SG_NS0_5tupleIJPjSI_NS0_16reverse_iteratorISI_EEEEENSH_IJSG_SG_SG_EEES9_SI_JZNS1_25segmented_radix_sort_implINS0_14default_configELb0EPKsPsPKlPlN2at6native12_GLOBAL__N_18offset_tEEE10hipError_tPvRmT1_PNSt15iterator_traitsIS12_E10value_typeET2_T3_PNS13_IS18_E10value_typeET4_jRbjT5_S1E_jjP12ihipStream_tbEUljE_ZNSN_ISO_Lb0ESQ_SR_ST_SU_SY_EESZ_S10_S11_S12_S16_S17_S18_S1B_S1C_jS1D_jS1E_S1E_jjS1G_bEUljE0_EEESZ_S10_S11_S18_S1C_S1E_T6_T7_T9_mT8_S1G_bDpT10_ENKUlT_T0_E_clISt17integral_constantIbLb0EES1U_EEDaS1P_S1Q_EUlS1P_E_NS1_11comp_targetILNS1_3genE10ELNS1_11target_archE1200ELNS1_3gpuE4ELNS1_3repE0EEENS1_30default_config_static_selectorELNS0_4arch9wavefront6targetE0EEEvS12_
		.amdhsa_group_segment_fixed_size 0
		.amdhsa_private_segment_fixed_size 0
		.amdhsa_kernarg_size 176
		.amdhsa_user_sgpr_count 6
		.amdhsa_user_sgpr_private_segment_buffer 1
		.amdhsa_user_sgpr_dispatch_ptr 0
		.amdhsa_user_sgpr_queue_ptr 0
		.amdhsa_user_sgpr_kernarg_segment_ptr 1
		.amdhsa_user_sgpr_dispatch_id 0
		.amdhsa_user_sgpr_flat_scratch_init 0
		.amdhsa_user_sgpr_private_segment_size 0
		.amdhsa_wavefront_size32 1
		.amdhsa_uses_dynamic_stack 0
		.amdhsa_system_sgpr_private_segment_wavefront_offset 0
		.amdhsa_system_sgpr_workgroup_id_x 1
		.amdhsa_system_sgpr_workgroup_id_y 0
		.amdhsa_system_sgpr_workgroup_id_z 0
		.amdhsa_system_sgpr_workgroup_info 0
		.amdhsa_system_vgpr_workitem_id 0
		.amdhsa_next_free_vgpr 1
		.amdhsa_next_free_sgpr 1
		.amdhsa_reserve_vcc 0
		.amdhsa_reserve_flat_scratch 0
		.amdhsa_float_round_mode_32 0
		.amdhsa_float_round_mode_16_64 0
		.amdhsa_float_denorm_mode_32 3
		.amdhsa_float_denorm_mode_16_64 3
		.amdhsa_dx10_clamp 1
		.amdhsa_ieee_mode 1
		.amdhsa_fp16_overflow 0
		.amdhsa_workgroup_processor_mode 1
		.amdhsa_memory_ordered 1
		.amdhsa_forward_progress 1
		.amdhsa_shared_vgpr_count 0
		.amdhsa_exception_fp_ieee_invalid_op 0
		.amdhsa_exception_fp_denorm_src 0
		.amdhsa_exception_fp_ieee_div_zero 0
		.amdhsa_exception_fp_ieee_overflow 0
		.amdhsa_exception_fp_ieee_underflow 0
		.amdhsa_exception_fp_ieee_inexact 0
		.amdhsa_exception_int_div_zero 0
	.end_amdhsa_kernel
	.section	.text._ZN7rocprim17ROCPRIM_400000_NS6detail17trampoline_kernelINS0_13select_configILj256ELj13ELNS0_17block_load_methodE3ELS4_3ELS4_3ELNS0_20block_scan_algorithmE0ELj4294967295EEENS1_25partition_config_selectorILNS1_17partition_subalgoE4EjNS0_10empty_typeEbEEZZNS1_14partition_implILS8_4ELb0ES6_15HIP_vector_typeIjLj2EENS0_17counting_iteratorIjlEEPS9_SG_NS0_5tupleIJPjSI_NS0_16reverse_iteratorISI_EEEEENSH_IJSG_SG_SG_EEES9_SI_JZNS1_25segmented_radix_sort_implINS0_14default_configELb0EPKsPsPKlPlN2at6native12_GLOBAL__N_18offset_tEEE10hipError_tPvRmT1_PNSt15iterator_traitsIS12_E10value_typeET2_T3_PNS13_IS18_E10value_typeET4_jRbjT5_S1E_jjP12ihipStream_tbEUljE_ZNSN_ISO_Lb0ESQ_SR_ST_SU_SY_EESZ_S10_S11_S12_S16_S17_S18_S1B_S1C_jS1D_jS1E_S1E_jjS1G_bEUljE0_EEESZ_S10_S11_S18_S1C_S1E_T6_T7_T9_mT8_S1G_bDpT10_ENKUlT_T0_E_clISt17integral_constantIbLb0EES1U_EEDaS1P_S1Q_EUlS1P_E_NS1_11comp_targetILNS1_3genE10ELNS1_11target_archE1200ELNS1_3gpuE4ELNS1_3repE0EEENS1_30default_config_static_selectorELNS0_4arch9wavefront6targetE0EEEvS12_,"axG",@progbits,_ZN7rocprim17ROCPRIM_400000_NS6detail17trampoline_kernelINS0_13select_configILj256ELj13ELNS0_17block_load_methodE3ELS4_3ELS4_3ELNS0_20block_scan_algorithmE0ELj4294967295EEENS1_25partition_config_selectorILNS1_17partition_subalgoE4EjNS0_10empty_typeEbEEZZNS1_14partition_implILS8_4ELb0ES6_15HIP_vector_typeIjLj2EENS0_17counting_iteratorIjlEEPS9_SG_NS0_5tupleIJPjSI_NS0_16reverse_iteratorISI_EEEEENSH_IJSG_SG_SG_EEES9_SI_JZNS1_25segmented_radix_sort_implINS0_14default_configELb0EPKsPsPKlPlN2at6native12_GLOBAL__N_18offset_tEEE10hipError_tPvRmT1_PNSt15iterator_traitsIS12_E10value_typeET2_T3_PNS13_IS18_E10value_typeET4_jRbjT5_S1E_jjP12ihipStream_tbEUljE_ZNSN_ISO_Lb0ESQ_SR_ST_SU_SY_EESZ_S10_S11_S12_S16_S17_S18_S1B_S1C_jS1D_jS1E_S1E_jjS1G_bEUljE0_EEESZ_S10_S11_S18_S1C_S1E_T6_T7_T9_mT8_S1G_bDpT10_ENKUlT_T0_E_clISt17integral_constantIbLb0EES1U_EEDaS1P_S1Q_EUlS1P_E_NS1_11comp_targetILNS1_3genE10ELNS1_11target_archE1200ELNS1_3gpuE4ELNS1_3repE0EEENS1_30default_config_static_selectorELNS0_4arch9wavefront6targetE0EEEvS12_,comdat
.Lfunc_end948:
	.size	_ZN7rocprim17ROCPRIM_400000_NS6detail17trampoline_kernelINS0_13select_configILj256ELj13ELNS0_17block_load_methodE3ELS4_3ELS4_3ELNS0_20block_scan_algorithmE0ELj4294967295EEENS1_25partition_config_selectorILNS1_17partition_subalgoE4EjNS0_10empty_typeEbEEZZNS1_14partition_implILS8_4ELb0ES6_15HIP_vector_typeIjLj2EENS0_17counting_iteratorIjlEEPS9_SG_NS0_5tupleIJPjSI_NS0_16reverse_iteratorISI_EEEEENSH_IJSG_SG_SG_EEES9_SI_JZNS1_25segmented_radix_sort_implINS0_14default_configELb0EPKsPsPKlPlN2at6native12_GLOBAL__N_18offset_tEEE10hipError_tPvRmT1_PNSt15iterator_traitsIS12_E10value_typeET2_T3_PNS13_IS18_E10value_typeET4_jRbjT5_S1E_jjP12ihipStream_tbEUljE_ZNSN_ISO_Lb0ESQ_SR_ST_SU_SY_EESZ_S10_S11_S12_S16_S17_S18_S1B_S1C_jS1D_jS1E_S1E_jjS1G_bEUljE0_EEESZ_S10_S11_S18_S1C_S1E_T6_T7_T9_mT8_S1G_bDpT10_ENKUlT_T0_E_clISt17integral_constantIbLb0EES1U_EEDaS1P_S1Q_EUlS1P_E_NS1_11comp_targetILNS1_3genE10ELNS1_11target_archE1200ELNS1_3gpuE4ELNS1_3repE0EEENS1_30default_config_static_selectorELNS0_4arch9wavefront6targetE0EEEvS12_, .Lfunc_end948-_ZN7rocprim17ROCPRIM_400000_NS6detail17trampoline_kernelINS0_13select_configILj256ELj13ELNS0_17block_load_methodE3ELS4_3ELS4_3ELNS0_20block_scan_algorithmE0ELj4294967295EEENS1_25partition_config_selectorILNS1_17partition_subalgoE4EjNS0_10empty_typeEbEEZZNS1_14partition_implILS8_4ELb0ES6_15HIP_vector_typeIjLj2EENS0_17counting_iteratorIjlEEPS9_SG_NS0_5tupleIJPjSI_NS0_16reverse_iteratorISI_EEEEENSH_IJSG_SG_SG_EEES9_SI_JZNS1_25segmented_radix_sort_implINS0_14default_configELb0EPKsPsPKlPlN2at6native12_GLOBAL__N_18offset_tEEE10hipError_tPvRmT1_PNSt15iterator_traitsIS12_E10value_typeET2_T3_PNS13_IS18_E10value_typeET4_jRbjT5_S1E_jjP12ihipStream_tbEUljE_ZNSN_ISO_Lb0ESQ_SR_ST_SU_SY_EESZ_S10_S11_S12_S16_S17_S18_S1B_S1C_jS1D_jS1E_S1E_jjS1G_bEUljE0_EEESZ_S10_S11_S18_S1C_S1E_T6_T7_T9_mT8_S1G_bDpT10_ENKUlT_T0_E_clISt17integral_constantIbLb0EES1U_EEDaS1P_S1Q_EUlS1P_E_NS1_11comp_targetILNS1_3genE10ELNS1_11target_archE1200ELNS1_3gpuE4ELNS1_3repE0EEENS1_30default_config_static_selectorELNS0_4arch9wavefront6targetE0EEEvS12_
                                        ; -- End function
	.set _ZN7rocprim17ROCPRIM_400000_NS6detail17trampoline_kernelINS0_13select_configILj256ELj13ELNS0_17block_load_methodE3ELS4_3ELS4_3ELNS0_20block_scan_algorithmE0ELj4294967295EEENS1_25partition_config_selectorILNS1_17partition_subalgoE4EjNS0_10empty_typeEbEEZZNS1_14partition_implILS8_4ELb0ES6_15HIP_vector_typeIjLj2EENS0_17counting_iteratorIjlEEPS9_SG_NS0_5tupleIJPjSI_NS0_16reverse_iteratorISI_EEEEENSH_IJSG_SG_SG_EEES9_SI_JZNS1_25segmented_radix_sort_implINS0_14default_configELb0EPKsPsPKlPlN2at6native12_GLOBAL__N_18offset_tEEE10hipError_tPvRmT1_PNSt15iterator_traitsIS12_E10value_typeET2_T3_PNS13_IS18_E10value_typeET4_jRbjT5_S1E_jjP12ihipStream_tbEUljE_ZNSN_ISO_Lb0ESQ_SR_ST_SU_SY_EESZ_S10_S11_S12_S16_S17_S18_S1B_S1C_jS1D_jS1E_S1E_jjS1G_bEUljE0_EEESZ_S10_S11_S18_S1C_S1E_T6_T7_T9_mT8_S1G_bDpT10_ENKUlT_T0_E_clISt17integral_constantIbLb0EES1U_EEDaS1P_S1Q_EUlS1P_E_NS1_11comp_targetILNS1_3genE10ELNS1_11target_archE1200ELNS1_3gpuE4ELNS1_3repE0EEENS1_30default_config_static_selectorELNS0_4arch9wavefront6targetE0EEEvS12_.num_vgpr, 0
	.set _ZN7rocprim17ROCPRIM_400000_NS6detail17trampoline_kernelINS0_13select_configILj256ELj13ELNS0_17block_load_methodE3ELS4_3ELS4_3ELNS0_20block_scan_algorithmE0ELj4294967295EEENS1_25partition_config_selectorILNS1_17partition_subalgoE4EjNS0_10empty_typeEbEEZZNS1_14partition_implILS8_4ELb0ES6_15HIP_vector_typeIjLj2EENS0_17counting_iteratorIjlEEPS9_SG_NS0_5tupleIJPjSI_NS0_16reverse_iteratorISI_EEEEENSH_IJSG_SG_SG_EEES9_SI_JZNS1_25segmented_radix_sort_implINS0_14default_configELb0EPKsPsPKlPlN2at6native12_GLOBAL__N_18offset_tEEE10hipError_tPvRmT1_PNSt15iterator_traitsIS12_E10value_typeET2_T3_PNS13_IS18_E10value_typeET4_jRbjT5_S1E_jjP12ihipStream_tbEUljE_ZNSN_ISO_Lb0ESQ_SR_ST_SU_SY_EESZ_S10_S11_S12_S16_S17_S18_S1B_S1C_jS1D_jS1E_S1E_jjS1G_bEUljE0_EEESZ_S10_S11_S18_S1C_S1E_T6_T7_T9_mT8_S1G_bDpT10_ENKUlT_T0_E_clISt17integral_constantIbLb0EES1U_EEDaS1P_S1Q_EUlS1P_E_NS1_11comp_targetILNS1_3genE10ELNS1_11target_archE1200ELNS1_3gpuE4ELNS1_3repE0EEENS1_30default_config_static_selectorELNS0_4arch9wavefront6targetE0EEEvS12_.num_agpr, 0
	.set _ZN7rocprim17ROCPRIM_400000_NS6detail17trampoline_kernelINS0_13select_configILj256ELj13ELNS0_17block_load_methodE3ELS4_3ELS4_3ELNS0_20block_scan_algorithmE0ELj4294967295EEENS1_25partition_config_selectorILNS1_17partition_subalgoE4EjNS0_10empty_typeEbEEZZNS1_14partition_implILS8_4ELb0ES6_15HIP_vector_typeIjLj2EENS0_17counting_iteratorIjlEEPS9_SG_NS0_5tupleIJPjSI_NS0_16reverse_iteratorISI_EEEEENSH_IJSG_SG_SG_EEES9_SI_JZNS1_25segmented_radix_sort_implINS0_14default_configELb0EPKsPsPKlPlN2at6native12_GLOBAL__N_18offset_tEEE10hipError_tPvRmT1_PNSt15iterator_traitsIS12_E10value_typeET2_T3_PNS13_IS18_E10value_typeET4_jRbjT5_S1E_jjP12ihipStream_tbEUljE_ZNSN_ISO_Lb0ESQ_SR_ST_SU_SY_EESZ_S10_S11_S12_S16_S17_S18_S1B_S1C_jS1D_jS1E_S1E_jjS1G_bEUljE0_EEESZ_S10_S11_S18_S1C_S1E_T6_T7_T9_mT8_S1G_bDpT10_ENKUlT_T0_E_clISt17integral_constantIbLb0EES1U_EEDaS1P_S1Q_EUlS1P_E_NS1_11comp_targetILNS1_3genE10ELNS1_11target_archE1200ELNS1_3gpuE4ELNS1_3repE0EEENS1_30default_config_static_selectorELNS0_4arch9wavefront6targetE0EEEvS12_.numbered_sgpr, 0
	.set _ZN7rocprim17ROCPRIM_400000_NS6detail17trampoline_kernelINS0_13select_configILj256ELj13ELNS0_17block_load_methodE3ELS4_3ELS4_3ELNS0_20block_scan_algorithmE0ELj4294967295EEENS1_25partition_config_selectorILNS1_17partition_subalgoE4EjNS0_10empty_typeEbEEZZNS1_14partition_implILS8_4ELb0ES6_15HIP_vector_typeIjLj2EENS0_17counting_iteratorIjlEEPS9_SG_NS0_5tupleIJPjSI_NS0_16reverse_iteratorISI_EEEEENSH_IJSG_SG_SG_EEES9_SI_JZNS1_25segmented_radix_sort_implINS0_14default_configELb0EPKsPsPKlPlN2at6native12_GLOBAL__N_18offset_tEEE10hipError_tPvRmT1_PNSt15iterator_traitsIS12_E10value_typeET2_T3_PNS13_IS18_E10value_typeET4_jRbjT5_S1E_jjP12ihipStream_tbEUljE_ZNSN_ISO_Lb0ESQ_SR_ST_SU_SY_EESZ_S10_S11_S12_S16_S17_S18_S1B_S1C_jS1D_jS1E_S1E_jjS1G_bEUljE0_EEESZ_S10_S11_S18_S1C_S1E_T6_T7_T9_mT8_S1G_bDpT10_ENKUlT_T0_E_clISt17integral_constantIbLb0EES1U_EEDaS1P_S1Q_EUlS1P_E_NS1_11comp_targetILNS1_3genE10ELNS1_11target_archE1200ELNS1_3gpuE4ELNS1_3repE0EEENS1_30default_config_static_selectorELNS0_4arch9wavefront6targetE0EEEvS12_.num_named_barrier, 0
	.set _ZN7rocprim17ROCPRIM_400000_NS6detail17trampoline_kernelINS0_13select_configILj256ELj13ELNS0_17block_load_methodE3ELS4_3ELS4_3ELNS0_20block_scan_algorithmE0ELj4294967295EEENS1_25partition_config_selectorILNS1_17partition_subalgoE4EjNS0_10empty_typeEbEEZZNS1_14partition_implILS8_4ELb0ES6_15HIP_vector_typeIjLj2EENS0_17counting_iteratorIjlEEPS9_SG_NS0_5tupleIJPjSI_NS0_16reverse_iteratorISI_EEEEENSH_IJSG_SG_SG_EEES9_SI_JZNS1_25segmented_radix_sort_implINS0_14default_configELb0EPKsPsPKlPlN2at6native12_GLOBAL__N_18offset_tEEE10hipError_tPvRmT1_PNSt15iterator_traitsIS12_E10value_typeET2_T3_PNS13_IS18_E10value_typeET4_jRbjT5_S1E_jjP12ihipStream_tbEUljE_ZNSN_ISO_Lb0ESQ_SR_ST_SU_SY_EESZ_S10_S11_S12_S16_S17_S18_S1B_S1C_jS1D_jS1E_S1E_jjS1G_bEUljE0_EEESZ_S10_S11_S18_S1C_S1E_T6_T7_T9_mT8_S1G_bDpT10_ENKUlT_T0_E_clISt17integral_constantIbLb0EES1U_EEDaS1P_S1Q_EUlS1P_E_NS1_11comp_targetILNS1_3genE10ELNS1_11target_archE1200ELNS1_3gpuE4ELNS1_3repE0EEENS1_30default_config_static_selectorELNS0_4arch9wavefront6targetE0EEEvS12_.private_seg_size, 0
	.set _ZN7rocprim17ROCPRIM_400000_NS6detail17trampoline_kernelINS0_13select_configILj256ELj13ELNS0_17block_load_methodE3ELS4_3ELS4_3ELNS0_20block_scan_algorithmE0ELj4294967295EEENS1_25partition_config_selectorILNS1_17partition_subalgoE4EjNS0_10empty_typeEbEEZZNS1_14partition_implILS8_4ELb0ES6_15HIP_vector_typeIjLj2EENS0_17counting_iteratorIjlEEPS9_SG_NS0_5tupleIJPjSI_NS0_16reverse_iteratorISI_EEEEENSH_IJSG_SG_SG_EEES9_SI_JZNS1_25segmented_radix_sort_implINS0_14default_configELb0EPKsPsPKlPlN2at6native12_GLOBAL__N_18offset_tEEE10hipError_tPvRmT1_PNSt15iterator_traitsIS12_E10value_typeET2_T3_PNS13_IS18_E10value_typeET4_jRbjT5_S1E_jjP12ihipStream_tbEUljE_ZNSN_ISO_Lb0ESQ_SR_ST_SU_SY_EESZ_S10_S11_S12_S16_S17_S18_S1B_S1C_jS1D_jS1E_S1E_jjS1G_bEUljE0_EEESZ_S10_S11_S18_S1C_S1E_T6_T7_T9_mT8_S1G_bDpT10_ENKUlT_T0_E_clISt17integral_constantIbLb0EES1U_EEDaS1P_S1Q_EUlS1P_E_NS1_11comp_targetILNS1_3genE10ELNS1_11target_archE1200ELNS1_3gpuE4ELNS1_3repE0EEENS1_30default_config_static_selectorELNS0_4arch9wavefront6targetE0EEEvS12_.uses_vcc, 0
	.set _ZN7rocprim17ROCPRIM_400000_NS6detail17trampoline_kernelINS0_13select_configILj256ELj13ELNS0_17block_load_methodE3ELS4_3ELS4_3ELNS0_20block_scan_algorithmE0ELj4294967295EEENS1_25partition_config_selectorILNS1_17partition_subalgoE4EjNS0_10empty_typeEbEEZZNS1_14partition_implILS8_4ELb0ES6_15HIP_vector_typeIjLj2EENS0_17counting_iteratorIjlEEPS9_SG_NS0_5tupleIJPjSI_NS0_16reverse_iteratorISI_EEEEENSH_IJSG_SG_SG_EEES9_SI_JZNS1_25segmented_radix_sort_implINS0_14default_configELb0EPKsPsPKlPlN2at6native12_GLOBAL__N_18offset_tEEE10hipError_tPvRmT1_PNSt15iterator_traitsIS12_E10value_typeET2_T3_PNS13_IS18_E10value_typeET4_jRbjT5_S1E_jjP12ihipStream_tbEUljE_ZNSN_ISO_Lb0ESQ_SR_ST_SU_SY_EESZ_S10_S11_S12_S16_S17_S18_S1B_S1C_jS1D_jS1E_S1E_jjS1G_bEUljE0_EEESZ_S10_S11_S18_S1C_S1E_T6_T7_T9_mT8_S1G_bDpT10_ENKUlT_T0_E_clISt17integral_constantIbLb0EES1U_EEDaS1P_S1Q_EUlS1P_E_NS1_11comp_targetILNS1_3genE10ELNS1_11target_archE1200ELNS1_3gpuE4ELNS1_3repE0EEENS1_30default_config_static_selectorELNS0_4arch9wavefront6targetE0EEEvS12_.uses_flat_scratch, 0
	.set _ZN7rocprim17ROCPRIM_400000_NS6detail17trampoline_kernelINS0_13select_configILj256ELj13ELNS0_17block_load_methodE3ELS4_3ELS4_3ELNS0_20block_scan_algorithmE0ELj4294967295EEENS1_25partition_config_selectorILNS1_17partition_subalgoE4EjNS0_10empty_typeEbEEZZNS1_14partition_implILS8_4ELb0ES6_15HIP_vector_typeIjLj2EENS0_17counting_iteratorIjlEEPS9_SG_NS0_5tupleIJPjSI_NS0_16reverse_iteratorISI_EEEEENSH_IJSG_SG_SG_EEES9_SI_JZNS1_25segmented_radix_sort_implINS0_14default_configELb0EPKsPsPKlPlN2at6native12_GLOBAL__N_18offset_tEEE10hipError_tPvRmT1_PNSt15iterator_traitsIS12_E10value_typeET2_T3_PNS13_IS18_E10value_typeET4_jRbjT5_S1E_jjP12ihipStream_tbEUljE_ZNSN_ISO_Lb0ESQ_SR_ST_SU_SY_EESZ_S10_S11_S12_S16_S17_S18_S1B_S1C_jS1D_jS1E_S1E_jjS1G_bEUljE0_EEESZ_S10_S11_S18_S1C_S1E_T6_T7_T9_mT8_S1G_bDpT10_ENKUlT_T0_E_clISt17integral_constantIbLb0EES1U_EEDaS1P_S1Q_EUlS1P_E_NS1_11comp_targetILNS1_3genE10ELNS1_11target_archE1200ELNS1_3gpuE4ELNS1_3repE0EEENS1_30default_config_static_selectorELNS0_4arch9wavefront6targetE0EEEvS12_.has_dyn_sized_stack, 0
	.set _ZN7rocprim17ROCPRIM_400000_NS6detail17trampoline_kernelINS0_13select_configILj256ELj13ELNS0_17block_load_methodE3ELS4_3ELS4_3ELNS0_20block_scan_algorithmE0ELj4294967295EEENS1_25partition_config_selectorILNS1_17partition_subalgoE4EjNS0_10empty_typeEbEEZZNS1_14partition_implILS8_4ELb0ES6_15HIP_vector_typeIjLj2EENS0_17counting_iteratorIjlEEPS9_SG_NS0_5tupleIJPjSI_NS0_16reverse_iteratorISI_EEEEENSH_IJSG_SG_SG_EEES9_SI_JZNS1_25segmented_radix_sort_implINS0_14default_configELb0EPKsPsPKlPlN2at6native12_GLOBAL__N_18offset_tEEE10hipError_tPvRmT1_PNSt15iterator_traitsIS12_E10value_typeET2_T3_PNS13_IS18_E10value_typeET4_jRbjT5_S1E_jjP12ihipStream_tbEUljE_ZNSN_ISO_Lb0ESQ_SR_ST_SU_SY_EESZ_S10_S11_S12_S16_S17_S18_S1B_S1C_jS1D_jS1E_S1E_jjS1G_bEUljE0_EEESZ_S10_S11_S18_S1C_S1E_T6_T7_T9_mT8_S1G_bDpT10_ENKUlT_T0_E_clISt17integral_constantIbLb0EES1U_EEDaS1P_S1Q_EUlS1P_E_NS1_11comp_targetILNS1_3genE10ELNS1_11target_archE1200ELNS1_3gpuE4ELNS1_3repE0EEENS1_30default_config_static_selectorELNS0_4arch9wavefront6targetE0EEEvS12_.has_recursion, 0
	.set _ZN7rocprim17ROCPRIM_400000_NS6detail17trampoline_kernelINS0_13select_configILj256ELj13ELNS0_17block_load_methodE3ELS4_3ELS4_3ELNS0_20block_scan_algorithmE0ELj4294967295EEENS1_25partition_config_selectorILNS1_17partition_subalgoE4EjNS0_10empty_typeEbEEZZNS1_14partition_implILS8_4ELb0ES6_15HIP_vector_typeIjLj2EENS0_17counting_iteratorIjlEEPS9_SG_NS0_5tupleIJPjSI_NS0_16reverse_iteratorISI_EEEEENSH_IJSG_SG_SG_EEES9_SI_JZNS1_25segmented_radix_sort_implINS0_14default_configELb0EPKsPsPKlPlN2at6native12_GLOBAL__N_18offset_tEEE10hipError_tPvRmT1_PNSt15iterator_traitsIS12_E10value_typeET2_T3_PNS13_IS18_E10value_typeET4_jRbjT5_S1E_jjP12ihipStream_tbEUljE_ZNSN_ISO_Lb0ESQ_SR_ST_SU_SY_EESZ_S10_S11_S12_S16_S17_S18_S1B_S1C_jS1D_jS1E_S1E_jjS1G_bEUljE0_EEESZ_S10_S11_S18_S1C_S1E_T6_T7_T9_mT8_S1G_bDpT10_ENKUlT_T0_E_clISt17integral_constantIbLb0EES1U_EEDaS1P_S1Q_EUlS1P_E_NS1_11comp_targetILNS1_3genE10ELNS1_11target_archE1200ELNS1_3gpuE4ELNS1_3repE0EEENS1_30default_config_static_selectorELNS0_4arch9wavefront6targetE0EEEvS12_.has_indirect_call, 0
	.section	.AMDGPU.csdata,"",@progbits
; Kernel info:
; codeLenInByte = 0
; TotalNumSgprs: 0
; NumVgprs: 0
; ScratchSize: 0
; MemoryBound: 0
; FloatMode: 240
; IeeeMode: 1
; LDSByteSize: 0 bytes/workgroup (compile time only)
; SGPRBlocks: 0
; VGPRBlocks: 0
; NumSGPRsForWavesPerEU: 1
; NumVGPRsForWavesPerEU: 1
; Occupancy: 16
; WaveLimiterHint : 0
; COMPUTE_PGM_RSRC2:SCRATCH_EN: 0
; COMPUTE_PGM_RSRC2:USER_SGPR: 6
; COMPUTE_PGM_RSRC2:TRAP_HANDLER: 0
; COMPUTE_PGM_RSRC2:TGID_X_EN: 1
; COMPUTE_PGM_RSRC2:TGID_Y_EN: 0
; COMPUTE_PGM_RSRC2:TGID_Z_EN: 0
; COMPUTE_PGM_RSRC2:TIDIG_COMP_CNT: 0
	.section	.text._ZN7rocprim17ROCPRIM_400000_NS6detail17trampoline_kernelINS0_13select_configILj256ELj13ELNS0_17block_load_methodE3ELS4_3ELS4_3ELNS0_20block_scan_algorithmE0ELj4294967295EEENS1_25partition_config_selectorILNS1_17partition_subalgoE4EjNS0_10empty_typeEbEEZZNS1_14partition_implILS8_4ELb0ES6_15HIP_vector_typeIjLj2EENS0_17counting_iteratorIjlEEPS9_SG_NS0_5tupleIJPjSI_NS0_16reverse_iteratorISI_EEEEENSH_IJSG_SG_SG_EEES9_SI_JZNS1_25segmented_radix_sort_implINS0_14default_configELb0EPKsPsPKlPlN2at6native12_GLOBAL__N_18offset_tEEE10hipError_tPvRmT1_PNSt15iterator_traitsIS12_E10value_typeET2_T3_PNS13_IS18_E10value_typeET4_jRbjT5_S1E_jjP12ihipStream_tbEUljE_ZNSN_ISO_Lb0ESQ_SR_ST_SU_SY_EESZ_S10_S11_S12_S16_S17_S18_S1B_S1C_jS1D_jS1E_S1E_jjS1G_bEUljE0_EEESZ_S10_S11_S18_S1C_S1E_T6_T7_T9_mT8_S1G_bDpT10_ENKUlT_T0_E_clISt17integral_constantIbLb0EES1U_EEDaS1P_S1Q_EUlS1P_E_NS1_11comp_targetILNS1_3genE9ELNS1_11target_archE1100ELNS1_3gpuE3ELNS1_3repE0EEENS1_30default_config_static_selectorELNS0_4arch9wavefront6targetE0EEEvS12_,"axG",@progbits,_ZN7rocprim17ROCPRIM_400000_NS6detail17trampoline_kernelINS0_13select_configILj256ELj13ELNS0_17block_load_methodE3ELS4_3ELS4_3ELNS0_20block_scan_algorithmE0ELj4294967295EEENS1_25partition_config_selectorILNS1_17partition_subalgoE4EjNS0_10empty_typeEbEEZZNS1_14partition_implILS8_4ELb0ES6_15HIP_vector_typeIjLj2EENS0_17counting_iteratorIjlEEPS9_SG_NS0_5tupleIJPjSI_NS0_16reverse_iteratorISI_EEEEENSH_IJSG_SG_SG_EEES9_SI_JZNS1_25segmented_radix_sort_implINS0_14default_configELb0EPKsPsPKlPlN2at6native12_GLOBAL__N_18offset_tEEE10hipError_tPvRmT1_PNSt15iterator_traitsIS12_E10value_typeET2_T3_PNS13_IS18_E10value_typeET4_jRbjT5_S1E_jjP12ihipStream_tbEUljE_ZNSN_ISO_Lb0ESQ_SR_ST_SU_SY_EESZ_S10_S11_S12_S16_S17_S18_S1B_S1C_jS1D_jS1E_S1E_jjS1G_bEUljE0_EEESZ_S10_S11_S18_S1C_S1E_T6_T7_T9_mT8_S1G_bDpT10_ENKUlT_T0_E_clISt17integral_constantIbLb0EES1U_EEDaS1P_S1Q_EUlS1P_E_NS1_11comp_targetILNS1_3genE9ELNS1_11target_archE1100ELNS1_3gpuE3ELNS1_3repE0EEENS1_30default_config_static_selectorELNS0_4arch9wavefront6targetE0EEEvS12_,comdat
	.globl	_ZN7rocprim17ROCPRIM_400000_NS6detail17trampoline_kernelINS0_13select_configILj256ELj13ELNS0_17block_load_methodE3ELS4_3ELS4_3ELNS0_20block_scan_algorithmE0ELj4294967295EEENS1_25partition_config_selectorILNS1_17partition_subalgoE4EjNS0_10empty_typeEbEEZZNS1_14partition_implILS8_4ELb0ES6_15HIP_vector_typeIjLj2EENS0_17counting_iteratorIjlEEPS9_SG_NS0_5tupleIJPjSI_NS0_16reverse_iteratorISI_EEEEENSH_IJSG_SG_SG_EEES9_SI_JZNS1_25segmented_radix_sort_implINS0_14default_configELb0EPKsPsPKlPlN2at6native12_GLOBAL__N_18offset_tEEE10hipError_tPvRmT1_PNSt15iterator_traitsIS12_E10value_typeET2_T3_PNS13_IS18_E10value_typeET4_jRbjT5_S1E_jjP12ihipStream_tbEUljE_ZNSN_ISO_Lb0ESQ_SR_ST_SU_SY_EESZ_S10_S11_S12_S16_S17_S18_S1B_S1C_jS1D_jS1E_S1E_jjS1G_bEUljE0_EEESZ_S10_S11_S18_S1C_S1E_T6_T7_T9_mT8_S1G_bDpT10_ENKUlT_T0_E_clISt17integral_constantIbLb0EES1U_EEDaS1P_S1Q_EUlS1P_E_NS1_11comp_targetILNS1_3genE9ELNS1_11target_archE1100ELNS1_3gpuE3ELNS1_3repE0EEENS1_30default_config_static_selectorELNS0_4arch9wavefront6targetE0EEEvS12_ ; -- Begin function _ZN7rocprim17ROCPRIM_400000_NS6detail17trampoline_kernelINS0_13select_configILj256ELj13ELNS0_17block_load_methodE3ELS4_3ELS4_3ELNS0_20block_scan_algorithmE0ELj4294967295EEENS1_25partition_config_selectorILNS1_17partition_subalgoE4EjNS0_10empty_typeEbEEZZNS1_14partition_implILS8_4ELb0ES6_15HIP_vector_typeIjLj2EENS0_17counting_iteratorIjlEEPS9_SG_NS0_5tupleIJPjSI_NS0_16reverse_iteratorISI_EEEEENSH_IJSG_SG_SG_EEES9_SI_JZNS1_25segmented_radix_sort_implINS0_14default_configELb0EPKsPsPKlPlN2at6native12_GLOBAL__N_18offset_tEEE10hipError_tPvRmT1_PNSt15iterator_traitsIS12_E10value_typeET2_T3_PNS13_IS18_E10value_typeET4_jRbjT5_S1E_jjP12ihipStream_tbEUljE_ZNSN_ISO_Lb0ESQ_SR_ST_SU_SY_EESZ_S10_S11_S12_S16_S17_S18_S1B_S1C_jS1D_jS1E_S1E_jjS1G_bEUljE0_EEESZ_S10_S11_S18_S1C_S1E_T6_T7_T9_mT8_S1G_bDpT10_ENKUlT_T0_E_clISt17integral_constantIbLb0EES1U_EEDaS1P_S1Q_EUlS1P_E_NS1_11comp_targetILNS1_3genE9ELNS1_11target_archE1100ELNS1_3gpuE3ELNS1_3repE0EEENS1_30default_config_static_selectorELNS0_4arch9wavefront6targetE0EEEvS12_
	.p2align	8
	.type	_ZN7rocprim17ROCPRIM_400000_NS6detail17trampoline_kernelINS0_13select_configILj256ELj13ELNS0_17block_load_methodE3ELS4_3ELS4_3ELNS0_20block_scan_algorithmE0ELj4294967295EEENS1_25partition_config_selectorILNS1_17partition_subalgoE4EjNS0_10empty_typeEbEEZZNS1_14partition_implILS8_4ELb0ES6_15HIP_vector_typeIjLj2EENS0_17counting_iteratorIjlEEPS9_SG_NS0_5tupleIJPjSI_NS0_16reverse_iteratorISI_EEEEENSH_IJSG_SG_SG_EEES9_SI_JZNS1_25segmented_radix_sort_implINS0_14default_configELb0EPKsPsPKlPlN2at6native12_GLOBAL__N_18offset_tEEE10hipError_tPvRmT1_PNSt15iterator_traitsIS12_E10value_typeET2_T3_PNS13_IS18_E10value_typeET4_jRbjT5_S1E_jjP12ihipStream_tbEUljE_ZNSN_ISO_Lb0ESQ_SR_ST_SU_SY_EESZ_S10_S11_S12_S16_S17_S18_S1B_S1C_jS1D_jS1E_S1E_jjS1G_bEUljE0_EEESZ_S10_S11_S18_S1C_S1E_T6_T7_T9_mT8_S1G_bDpT10_ENKUlT_T0_E_clISt17integral_constantIbLb0EES1U_EEDaS1P_S1Q_EUlS1P_E_NS1_11comp_targetILNS1_3genE9ELNS1_11target_archE1100ELNS1_3gpuE3ELNS1_3repE0EEENS1_30default_config_static_selectorELNS0_4arch9wavefront6targetE0EEEvS12_,@function
_ZN7rocprim17ROCPRIM_400000_NS6detail17trampoline_kernelINS0_13select_configILj256ELj13ELNS0_17block_load_methodE3ELS4_3ELS4_3ELNS0_20block_scan_algorithmE0ELj4294967295EEENS1_25partition_config_selectorILNS1_17partition_subalgoE4EjNS0_10empty_typeEbEEZZNS1_14partition_implILS8_4ELb0ES6_15HIP_vector_typeIjLj2EENS0_17counting_iteratorIjlEEPS9_SG_NS0_5tupleIJPjSI_NS0_16reverse_iteratorISI_EEEEENSH_IJSG_SG_SG_EEES9_SI_JZNS1_25segmented_radix_sort_implINS0_14default_configELb0EPKsPsPKlPlN2at6native12_GLOBAL__N_18offset_tEEE10hipError_tPvRmT1_PNSt15iterator_traitsIS12_E10value_typeET2_T3_PNS13_IS18_E10value_typeET4_jRbjT5_S1E_jjP12ihipStream_tbEUljE_ZNSN_ISO_Lb0ESQ_SR_ST_SU_SY_EESZ_S10_S11_S12_S16_S17_S18_S1B_S1C_jS1D_jS1E_S1E_jjS1G_bEUljE0_EEESZ_S10_S11_S18_S1C_S1E_T6_T7_T9_mT8_S1G_bDpT10_ENKUlT_T0_E_clISt17integral_constantIbLb0EES1U_EEDaS1P_S1Q_EUlS1P_E_NS1_11comp_targetILNS1_3genE9ELNS1_11target_archE1100ELNS1_3gpuE3ELNS1_3repE0EEENS1_30default_config_static_selectorELNS0_4arch9wavefront6targetE0EEEvS12_: ; @_ZN7rocprim17ROCPRIM_400000_NS6detail17trampoline_kernelINS0_13select_configILj256ELj13ELNS0_17block_load_methodE3ELS4_3ELS4_3ELNS0_20block_scan_algorithmE0ELj4294967295EEENS1_25partition_config_selectorILNS1_17partition_subalgoE4EjNS0_10empty_typeEbEEZZNS1_14partition_implILS8_4ELb0ES6_15HIP_vector_typeIjLj2EENS0_17counting_iteratorIjlEEPS9_SG_NS0_5tupleIJPjSI_NS0_16reverse_iteratorISI_EEEEENSH_IJSG_SG_SG_EEES9_SI_JZNS1_25segmented_radix_sort_implINS0_14default_configELb0EPKsPsPKlPlN2at6native12_GLOBAL__N_18offset_tEEE10hipError_tPvRmT1_PNSt15iterator_traitsIS12_E10value_typeET2_T3_PNS13_IS18_E10value_typeET4_jRbjT5_S1E_jjP12ihipStream_tbEUljE_ZNSN_ISO_Lb0ESQ_SR_ST_SU_SY_EESZ_S10_S11_S12_S16_S17_S18_S1B_S1C_jS1D_jS1E_S1E_jjS1G_bEUljE0_EEESZ_S10_S11_S18_S1C_S1E_T6_T7_T9_mT8_S1G_bDpT10_ENKUlT_T0_E_clISt17integral_constantIbLb0EES1U_EEDaS1P_S1Q_EUlS1P_E_NS1_11comp_targetILNS1_3genE9ELNS1_11target_archE1100ELNS1_3gpuE3ELNS1_3repE0EEENS1_30default_config_static_selectorELNS0_4arch9wavefront6targetE0EEEvS12_
; %bb.0:
	.section	.rodata,"a",@progbits
	.p2align	6, 0x0
	.amdhsa_kernel _ZN7rocprim17ROCPRIM_400000_NS6detail17trampoline_kernelINS0_13select_configILj256ELj13ELNS0_17block_load_methodE3ELS4_3ELS4_3ELNS0_20block_scan_algorithmE0ELj4294967295EEENS1_25partition_config_selectorILNS1_17partition_subalgoE4EjNS0_10empty_typeEbEEZZNS1_14partition_implILS8_4ELb0ES6_15HIP_vector_typeIjLj2EENS0_17counting_iteratorIjlEEPS9_SG_NS0_5tupleIJPjSI_NS0_16reverse_iteratorISI_EEEEENSH_IJSG_SG_SG_EEES9_SI_JZNS1_25segmented_radix_sort_implINS0_14default_configELb0EPKsPsPKlPlN2at6native12_GLOBAL__N_18offset_tEEE10hipError_tPvRmT1_PNSt15iterator_traitsIS12_E10value_typeET2_T3_PNS13_IS18_E10value_typeET4_jRbjT5_S1E_jjP12ihipStream_tbEUljE_ZNSN_ISO_Lb0ESQ_SR_ST_SU_SY_EESZ_S10_S11_S12_S16_S17_S18_S1B_S1C_jS1D_jS1E_S1E_jjS1G_bEUljE0_EEESZ_S10_S11_S18_S1C_S1E_T6_T7_T9_mT8_S1G_bDpT10_ENKUlT_T0_E_clISt17integral_constantIbLb0EES1U_EEDaS1P_S1Q_EUlS1P_E_NS1_11comp_targetILNS1_3genE9ELNS1_11target_archE1100ELNS1_3gpuE3ELNS1_3repE0EEENS1_30default_config_static_selectorELNS0_4arch9wavefront6targetE0EEEvS12_
		.amdhsa_group_segment_fixed_size 0
		.amdhsa_private_segment_fixed_size 0
		.amdhsa_kernarg_size 176
		.amdhsa_user_sgpr_count 6
		.amdhsa_user_sgpr_private_segment_buffer 1
		.amdhsa_user_sgpr_dispatch_ptr 0
		.amdhsa_user_sgpr_queue_ptr 0
		.amdhsa_user_sgpr_kernarg_segment_ptr 1
		.amdhsa_user_sgpr_dispatch_id 0
		.amdhsa_user_sgpr_flat_scratch_init 0
		.amdhsa_user_sgpr_private_segment_size 0
		.amdhsa_wavefront_size32 1
		.amdhsa_uses_dynamic_stack 0
		.amdhsa_system_sgpr_private_segment_wavefront_offset 0
		.amdhsa_system_sgpr_workgroup_id_x 1
		.amdhsa_system_sgpr_workgroup_id_y 0
		.amdhsa_system_sgpr_workgroup_id_z 0
		.amdhsa_system_sgpr_workgroup_info 0
		.amdhsa_system_vgpr_workitem_id 0
		.amdhsa_next_free_vgpr 1
		.amdhsa_next_free_sgpr 1
		.amdhsa_reserve_vcc 0
		.amdhsa_reserve_flat_scratch 0
		.amdhsa_float_round_mode_32 0
		.amdhsa_float_round_mode_16_64 0
		.amdhsa_float_denorm_mode_32 3
		.amdhsa_float_denorm_mode_16_64 3
		.amdhsa_dx10_clamp 1
		.amdhsa_ieee_mode 1
		.amdhsa_fp16_overflow 0
		.amdhsa_workgroup_processor_mode 1
		.amdhsa_memory_ordered 1
		.amdhsa_forward_progress 1
		.amdhsa_shared_vgpr_count 0
		.amdhsa_exception_fp_ieee_invalid_op 0
		.amdhsa_exception_fp_denorm_src 0
		.amdhsa_exception_fp_ieee_div_zero 0
		.amdhsa_exception_fp_ieee_overflow 0
		.amdhsa_exception_fp_ieee_underflow 0
		.amdhsa_exception_fp_ieee_inexact 0
		.amdhsa_exception_int_div_zero 0
	.end_amdhsa_kernel
	.section	.text._ZN7rocprim17ROCPRIM_400000_NS6detail17trampoline_kernelINS0_13select_configILj256ELj13ELNS0_17block_load_methodE3ELS4_3ELS4_3ELNS0_20block_scan_algorithmE0ELj4294967295EEENS1_25partition_config_selectorILNS1_17partition_subalgoE4EjNS0_10empty_typeEbEEZZNS1_14partition_implILS8_4ELb0ES6_15HIP_vector_typeIjLj2EENS0_17counting_iteratorIjlEEPS9_SG_NS0_5tupleIJPjSI_NS0_16reverse_iteratorISI_EEEEENSH_IJSG_SG_SG_EEES9_SI_JZNS1_25segmented_radix_sort_implINS0_14default_configELb0EPKsPsPKlPlN2at6native12_GLOBAL__N_18offset_tEEE10hipError_tPvRmT1_PNSt15iterator_traitsIS12_E10value_typeET2_T3_PNS13_IS18_E10value_typeET4_jRbjT5_S1E_jjP12ihipStream_tbEUljE_ZNSN_ISO_Lb0ESQ_SR_ST_SU_SY_EESZ_S10_S11_S12_S16_S17_S18_S1B_S1C_jS1D_jS1E_S1E_jjS1G_bEUljE0_EEESZ_S10_S11_S18_S1C_S1E_T6_T7_T9_mT8_S1G_bDpT10_ENKUlT_T0_E_clISt17integral_constantIbLb0EES1U_EEDaS1P_S1Q_EUlS1P_E_NS1_11comp_targetILNS1_3genE9ELNS1_11target_archE1100ELNS1_3gpuE3ELNS1_3repE0EEENS1_30default_config_static_selectorELNS0_4arch9wavefront6targetE0EEEvS12_,"axG",@progbits,_ZN7rocprim17ROCPRIM_400000_NS6detail17trampoline_kernelINS0_13select_configILj256ELj13ELNS0_17block_load_methodE3ELS4_3ELS4_3ELNS0_20block_scan_algorithmE0ELj4294967295EEENS1_25partition_config_selectorILNS1_17partition_subalgoE4EjNS0_10empty_typeEbEEZZNS1_14partition_implILS8_4ELb0ES6_15HIP_vector_typeIjLj2EENS0_17counting_iteratorIjlEEPS9_SG_NS0_5tupleIJPjSI_NS0_16reverse_iteratorISI_EEEEENSH_IJSG_SG_SG_EEES9_SI_JZNS1_25segmented_radix_sort_implINS0_14default_configELb0EPKsPsPKlPlN2at6native12_GLOBAL__N_18offset_tEEE10hipError_tPvRmT1_PNSt15iterator_traitsIS12_E10value_typeET2_T3_PNS13_IS18_E10value_typeET4_jRbjT5_S1E_jjP12ihipStream_tbEUljE_ZNSN_ISO_Lb0ESQ_SR_ST_SU_SY_EESZ_S10_S11_S12_S16_S17_S18_S1B_S1C_jS1D_jS1E_S1E_jjS1G_bEUljE0_EEESZ_S10_S11_S18_S1C_S1E_T6_T7_T9_mT8_S1G_bDpT10_ENKUlT_T0_E_clISt17integral_constantIbLb0EES1U_EEDaS1P_S1Q_EUlS1P_E_NS1_11comp_targetILNS1_3genE9ELNS1_11target_archE1100ELNS1_3gpuE3ELNS1_3repE0EEENS1_30default_config_static_selectorELNS0_4arch9wavefront6targetE0EEEvS12_,comdat
.Lfunc_end949:
	.size	_ZN7rocprim17ROCPRIM_400000_NS6detail17trampoline_kernelINS0_13select_configILj256ELj13ELNS0_17block_load_methodE3ELS4_3ELS4_3ELNS0_20block_scan_algorithmE0ELj4294967295EEENS1_25partition_config_selectorILNS1_17partition_subalgoE4EjNS0_10empty_typeEbEEZZNS1_14partition_implILS8_4ELb0ES6_15HIP_vector_typeIjLj2EENS0_17counting_iteratorIjlEEPS9_SG_NS0_5tupleIJPjSI_NS0_16reverse_iteratorISI_EEEEENSH_IJSG_SG_SG_EEES9_SI_JZNS1_25segmented_radix_sort_implINS0_14default_configELb0EPKsPsPKlPlN2at6native12_GLOBAL__N_18offset_tEEE10hipError_tPvRmT1_PNSt15iterator_traitsIS12_E10value_typeET2_T3_PNS13_IS18_E10value_typeET4_jRbjT5_S1E_jjP12ihipStream_tbEUljE_ZNSN_ISO_Lb0ESQ_SR_ST_SU_SY_EESZ_S10_S11_S12_S16_S17_S18_S1B_S1C_jS1D_jS1E_S1E_jjS1G_bEUljE0_EEESZ_S10_S11_S18_S1C_S1E_T6_T7_T9_mT8_S1G_bDpT10_ENKUlT_T0_E_clISt17integral_constantIbLb0EES1U_EEDaS1P_S1Q_EUlS1P_E_NS1_11comp_targetILNS1_3genE9ELNS1_11target_archE1100ELNS1_3gpuE3ELNS1_3repE0EEENS1_30default_config_static_selectorELNS0_4arch9wavefront6targetE0EEEvS12_, .Lfunc_end949-_ZN7rocprim17ROCPRIM_400000_NS6detail17trampoline_kernelINS0_13select_configILj256ELj13ELNS0_17block_load_methodE3ELS4_3ELS4_3ELNS0_20block_scan_algorithmE0ELj4294967295EEENS1_25partition_config_selectorILNS1_17partition_subalgoE4EjNS0_10empty_typeEbEEZZNS1_14partition_implILS8_4ELb0ES6_15HIP_vector_typeIjLj2EENS0_17counting_iteratorIjlEEPS9_SG_NS0_5tupleIJPjSI_NS0_16reverse_iteratorISI_EEEEENSH_IJSG_SG_SG_EEES9_SI_JZNS1_25segmented_radix_sort_implINS0_14default_configELb0EPKsPsPKlPlN2at6native12_GLOBAL__N_18offset_tEEE10hipError_tPvRmT1_PNSt15iterator_traitsIS12_E10value_typeET2_T3_PNS13_IS18_E10value_typeET4_jRbjT5_S1E_jjP12ihipStream_tbEUljE_ZNSN_ISO_Lb0ESQ_SR_ST_SU_SY_EESZ_S10_S11_S12_S16_S17_S18_S1B_S1C_jS1D_jS1E_S1E_jjS1G_bEUljE0_EEESZ_S10_S11_S18_S1C_S1E_T6_T7_T9_mT8_S1G_bDpT10_ENKUlT_T0_E_clISt17integral_constantIbLb0EES1U_EEDaS1P_S1Q_EUlS1P_E_NS1_11comp_targetILNS1_3genE9ELNS1_11target_archE1100ELNS1_3gpuE3ELNS1_3repE0EEENS1_30default_config_static_selectorELNS0_4arch9wavefront6targetE0EEEvS12_
                                        ; -- End function
	.set _ZN7rocprim17ROCPRIM_400000_NS6detail17trampoline_kernelINS0_13select_configILj256ELj13ELNS0_17block_load_methodE3ELS4_3ELS4_3ELNS0_20block_scan_algorithmE0ELj4294967295EEENS1_25partition_config_selectorILNS1_17partition_subalgoE4EjNS0_10empty_typeEbEEZZNS1_14partition_implILS8_4ELb0ES6_15HIP_vector_typeIjLj2EENS0_17counting_iteratorIjlEEPS9_SG_NS0_5tupleIJPjSI_NS0_16reverse_iteratorISI_EEEEENSH_IJSG_SG_SG_EEES9_SI_JZNS1_25segmented_radix_sort_implINS0_14default_configELb0EPKsPsPKlPlN2at6native12_GLOBAL__N_18offset_tEEE10hipError_tPvRmT1_PNSt15iterator_traitsIS12_E10value_typeET2_T3_PNS13_IS18_E10value_typeET4_jRbjT5_S1E_jjP12ihipStream_tbEUljE_ZNSN_ISO_Lb0ESQ_SR_ST_SU_SY_EESZ_S10_S11_S12_S16_S17_S18_S1B_S1C_jS1D_jS1E_S1E_jjS1G_bEUljE0_EEESZ_S10_S11_S18_S1C_S1E_T6_T7_T9_mT8_S1G_bDpT10_ENKUlT_T0_E_clISt17integral_constantIbLb0EES1U_EEDaS1P_S1Q_EUlS1P_E_NS1_11comp_targetILNS1_3genE9ELNS1_11target_archE1100ELNS1_3gpuE3ELNS1_3repE0EEENS1_30default_config_static_selectorELNS0_4arch9wavefront6targetE0EEEvS12_.num_vgpr, 0
	.set _ZN7rocprim17ROCPRIM_400000_NS6detail17trampoline_kernelINS0_13select_configILj256ELj13ELNS0_17block_load_methodE3ELS4_3ELS4_3ELNS0_20block_scan_algorithmE0ELj4294967295EEENS1_25partition_config_selectorILNS1_17partition_subalgoE4EjNS0_10empty_typeEbEEZZNS1_14partition_implILS8_4ELb0ES6_15HIP_vector_typeIjLj2EENS0_17counting_iteratorIjlEEPS9_SG_NS0_5tupleIJPjSI_NS0_16reverse_iteratorISI_EEEEENSH_IJSG_SG_SG_EEES9_SI_JZNS1_25segmented_radix_sort_implINS0_14default_configELb0EPKsPsPKlPlN2at6native12_GLOBAL__N_18offset_tEEE10hipError_tPvRmT1_PNSt15iterator_traitsIS12_E10value_typeET2_T3_PNS13_IS18_E10value_typeET4_jRbjT5_S1E_jjP12ihipStream_tbEUljE_ZNSN_ISO_Lb0ESQ_SR_ST_SU_SY_EESZ_S10_S11_S12_S16_S17_S18_S1B_S1C_jS1D_jS1E_S1E_jjS1G_bEUljE0_EEESZ_S10_S11_S18_S1C_S1E_T6_T7_T9_mT8_S1G_bDpT10_ENKUlT_T0_E_clISt17integral_constantIbLb0EES1U_EEDaS1P_S1Q_EUlS1P_E_NS1_11comp_targetILNS1_3genE9ELNS1_11target_archE1100ELNS1_3gpuE3ELNS1_3repE0EEENS1_30default_config_static_selectorELNS0_4arch9wavefront6targetE0EEEvS12_.num_agpr, 0
	.set _ZN7rocprim17ROCPRIM_400000_NS6detail17trampoline_kernelINS0_13select_configILj256ELj13ELNS0_17block_load_methodE3ELS4_3ELS4_3ELNS0_20block_scan_algorithmE0ELj4294967295EEENS1_25partition_config_selectorILNS1_17partition_subalgoE4EjNS0_10empty_typeEbEEZZNS1_14partition_implILS8_4ELb0ES6_15HIP_vector_typeIjLj2EENS0_17counting_iteratorIjlEEPS9_SG_NS0_5tupleIJPjSI_NS0_16reverse_iteratorISI_EEEEENSH_IJSG_SG_SG_EEES9_SI_JZNS1_25segmented_radix_sort_implINS0_14default_configELb0EPKsPsPKlPlN2at6native12_GLOBAL__N_18offset_tEEE10hipError_tPvRmT1_PNSt15iterator_traitsIS12_E10value_typeET2_T3_PNS13_IS18_E10value_typeET4_jRbjT5_S1E_jjP12ihipStream_tbEUljE_ZNSN_ISO_Lb0ESQ_SR_ST_SU_SY_EESZ_S10_S11_S12_S16_S17_S18_S1B_S1C_jS1D_jS1E_S1E_jjS1G_bEUljE0_EEESZ_S10_S11_S18_S1C_S1E_T6_T7_T9_mT8_S1G_bDpT10_ENKUlT_T0_E_clISt17integral_constantIbLb0EES1U_EEDaS1P_S1Q_EUlS1P_E_NS1_11comp_targetILNS1_3genE9ELNS1_11target_archE1100ELNS1_3gpuE3ELNS1_3repE0EEENS1_30default_config_static_selectorELNS0_4arch9wavefront6targetE0EEEvS12_.numbered_sgpr, 0
	.set _ZN7rocprim17ROCPRIM_400000_NS6detail17trampoline_kernelINS0_13select_configILj256ELj13ELNS0_17block_load_methodE3ELS4_3ELS4_3ELNS0_20block_scan_algorithmE0ELj4294967295EEENS1_25partition_config_selectorILNS1_17partition_subalgoE4EjNS0_10empty_typeEbEEZZNS1_14partition_implILS8_4ELb0ES6_15HIP_vector_typeIjLj2EENS0_17counting_iteratorIjlEEPS9_SG_NS0_5tupleIJPjSI_NS0_16reverse_iteratorISI_EEEEENSH_IJSG_SG_SG_EEES9_SI_JZNS1_25segmented_radix_sort_implINS0_14default_configELb0EPKsPsPKlPlN2at6native12_GLOBAL__N_18offset_tEEE10hipError_tPvRmT1_PNSt15iterator_traitsIS12_E10value_typeET2_T3_PNS13_IS18_E10value_typeET4_jRbjT5_S1E_jjP12ihipStream_tbEUljE_ZNSN_ISO_Lb0ESQ_SR_ST_SU_SY_EESZ_S10_S11_S12_S16_S17_S18_S1B_S1C_jS1D_jS1E_S1E_jjS1G_bEUljE0_EEESZ_S10_S11_S18_S1C_S1E_T6_T7_T9_mT8_S1G_bDpT10_ENKUlT_T0_E_clISt17integral_constantIbLb0EES1U_EEDaS1P_S1Q_EUlS1P_E_NS1_11comp_targetILNS1_3genE9ELNS1_11target_archE1100ELNS1_3gpuE3ELNS1_3repE0EEENS1_30default_config_static_selectorELNS0_4arch9wavefront6targetE0EEEvS12_.num_named_barrier, 0
	.set _ZN7rocprim17ROCPRIM_400000_NS6detail17trampoline_kernelINS0_13select_configILj256ELj13ELNS0_17block_load_methodE3ELS4_3ELS4_3ELNS0_20block_scan_algorithmE0ELj4294967295EEENS1_25partition_config_selectorILNS1_17partition_subalgoE4EjNS0_10empty_typeEbEEZZNS1_14partition_implILS8_4ELb0ES6_15HIP_vector_typeIjLj2EENS0_17counting_iteratorIjlEEPS9_SG_NS0_5tupleIJPjSI_NS0_16reverse_iteratorISI_EEEEENSH_IJSG_SG_SG_EEES9_SI_JZNS1_25segmented_radix_sort_implINS0_14default_configELb0EPKsPsPKlPlN2at6native12_GLOBAL__N_18offset_tEEE10hipError_tPvRmT1_PNSt15iterator_traitsIS12_E10value_typeET2_T3_PNS13_IS18_E10value_typeET4_jRbjT5_S1E_jjP12ihipStream_tbEUljE_ZNSN_ISO_Lb0ESQ_SR_ST_SU_SY_EESZ_S10_S11_S12_S16_S17_S18_S1B_S1C_jS1D_jS1E_S1E_jjS1G_bEUljE0_EEESZ_S10_S11_S18_S1C_S1E_T6_T7_T9_mT8_S1G_bDpT10_ENKUlT_T0_E_clISt17integral_constantIbLb0EES1U_EEDaS1P_S1Q_EUlS1P_E_NS1_11comp_targetILNS1_3genE9ELNS1_11target_archE1100ELNS1_3gpuE3ELNS1_3repE0EEENS1_30default_config_static_selectorELNS0_4arch9wavefront6targetE0EEEvS12_.private_seg_size, 0
	.set _ZN7rocprim17ROCPRIM_400000_NS6detail17trampoline_kernelINS0_13select_configILj256ELj13ELNS0_17block_load_methodE3ELS4_3ELS4_3ELNS0_20block_scan_algorithmE0ELj4294967295EEENS1_25partition_config_selectorILNS1_17partition_subalgoE4EjNS0_10empty_typeEbEEZZNS1_14partition_implILS8_4ELb0ES6_15HIP_vector_typeIjLj2EENS0_17counting_iteratorIjlEEPS9_SG_NS0_5tupleIJPjSI_NS0_16reverse_iteratorISI_EEEEENSH_IJSG_SG_SG_EEES9_SI_JZNS1_25segmented_radix_sort_implINS0_14default_configELb0EPKsPsPKlPlN2at6native12_GLOBAL__N_18offset_tEEE10hipError_tPvRmT1_PNSt15iterator_traitsIS12_E10value_typeET2_T3_PNS13_IS18_E10value_typeET4_jRbjT5_S1E_jjP12ihipStream_tbEUljE_ZNSN_ISO_Lb0ESQ_SR_ST_SU_SY_EESZ_S10_S11_S12_S16_S17_S18_S1B_S1C_jS1D_jS1E_S1E_jjS1G_bEUljE0_EEESZ_S10_S11_S18_S1C_S1E_T6_T7_T9_mT8_S1G_bDpT10_ENKUlT_T0_E_clISt17integral_constantIbLb0EES1U_EEDaS1P_S1Q_EUlS1P_E_NS1_11comp_targetILNS1_3genE9ELNS1_11target_archE1100ELNS1_3gpuE3ELNS1_3repE0EEENS1_30default_config_static_selectorELNS0_4arch9wavefront6targetE0EEEvS12_.uses_vcc, 0
	.set _ZN7rocprim17ROCPRIM_400000_NS6detail17trampoline_kernelINS0_13select_configILj256ELj13ELNS0_17block_load_methodE3ELS4_3ELS4_3ELNS0_20block_scan_algorithmE0ELj4294967295EEENS1_25partition_config_selectorILNS1_17partition_subalgoE4EjNS0_10empty_typeEbEEZZNS1_14partition_implILS8_4ELb0ES6_15HIP_vector_typeIjLj2EENS0_17counting_iteratorIjlEEPS9_SG_NS0_5tupleIJPjSI_NS0_16reverse_iteratorISI_EEEEENSH_IJSG_SG_SG_EEES9_SI_JZNS1_25segmented_radix_sort_implINS0_14default_configELb0EPKsPsPKlPlN2at6native12_GLOBAL__N_18offset_tEEE10hipError_tPvRmT1_PNSt15iterator_traitsIS12_E10value_typeET2_T3_PNS13_IS18_E10value_typeET4_jRbjT5_S1E_jjP12ihipStream_tbEUljE_ZNSN_ISO_Lb0ESQ_SR_ST_SU_SY_EESZ_S10_S11_S12_S16_S17_S18_S1B_S1C_jS1D_jS1E_S1E_jjS1G_bEUljE0_EEESZ_S10_S11_S18_S1C_S1E_T6_T7_T9_mT8_S1G_bDpT10_ENKUlT_T0_E_clISt17integral_constantIbLb0EES1U_EEDaS1P_S1Q_EUlS1P_E_NS1_11comp_targetILNS1_3genE9ELNS1_11target_archE1100ELNS1_3gpuE3ELNS1_3repE0EEENS1_30default_config_static_selectorELNS0_4arch9wavefront6targetE0EEEvS12_.uses_flat_scratch, 0
	.set _ZN7rocprim17ROCPRIM_400000_NS6detail17trampoline_kernelINS0_13select_configILj256ELj13ELNS0_17block_load_methodE3ELS4_3ELS4_3ELNS0_20block_scan_algorithmE0ELj4294967295EEENS1_25partition_config_selectorILNS1_17partition_subalgoE4EjNS0_10empty_typeEbEEZZNS1_14partition_implILS8_4ELb0ES6_15HIP_vector_typeIjLj2EENS0_17counting_iteratorIjlEEPS9_SG_NS0_5tupleIJPjSI_NS0_16reverse_iteratorISI_EEEEENSH_IJSG_SG_SG_EEES9_SI_JZNS1_25segmented_radix_sort_implINS0_14default_configELb0EPKsPsPKlPlN2at6native12_GLOBAL__N_18offset_tEEE10hipError_tPvRmT1_PNSt15iterator_traitsIS12_E10value_typeET2_T3_PNS13_IS18_E10value_typeET4_jRbjT5_S1E_jjP12ihipStream_tbEUljE_ZNSN_ISO_Lb0ESQ_SR_ST_SU_SY_EESZ_S10_S11_S12_S16_S17_S18_S1B_S1C_jS1D_jS1E_S1E_jjS1G_bEUljE0_EEESZ_S10_S11_S18_S1C_S1E_T6_T7_T9_mT8_S1G_bDpT10_ENKUlT_T0_E_clISt17integral_constantIbLb0EES1U_EEDaS1P_S1Q_EUlS1P_E_NS1_11comp_targetILNS1_3genE9ELNS1_11target_archE1100ELNS1_3gpuE3ELNS1_3repE0EEENS1_30default_config_static_selectorELNS0_4arch9wavefront6targetE0EEEvS12_.has_dyn_sized_stack, 0
	.set _ZN7rocprim17ROCPRIM_400000_NS6detail17trampoline_kernelINS0_13select_configILj256ELj13ELNS0_17block_load_methodE3ELS4_3ELS4_3ELNS0_20block_scan_algorithmE0ELj4294967295EEENS1_25partition_config_selectorILNS1_17partition_subalgoE4EjNS0_10empty_typeEbEEZZNS1_14partition_implILS8_4ELb0ES6_15HIP_vector_typeIjLj2EENS0_17counting_iteratorIjlEEPS9_SG_NS0_5tupleIJPjSI_NS0_16reverse_iteratorISI_EEEEENSH_IJSG_SG_SG_EEES9_SI_JZNS1_25segmented_radix_sort_implINS0_14default_configELb0EPKsPsPKlPlN2at6native12_GLOBAL__N_18offset_tEEE10hipError_tPvRmT1_PNSt15iterator_traitsIS12_E10value_typeET2_T3_PNS13_IS18_E10value_typeET4_jRbjT5_S1E_jjP12ihipStream_tbEUljE_ZNSN_ISO_Lb0ESQ_SR_ST_SU_SY_EESZ_S10_S11_S12_S16_S17_S18_S1B_S1C_jS1D_jS1E_S1E_jjS1G_bEUljE0_EEESZ_S10_S11_S18_S1C_S1E_T6_T7_T9_mT8_S1G_bDpT10_ENKUlT_T0_E_clISt17integral_constantIbLb0EES1U_EEDaS1P_S1Q_EUlS1P_E_NS1_11comp_targetILNS1_3genE9ELNS1_11target_archE1100ELNS1_3gpuE3ELNS1_3repE0EEENS1_30default_config_static_selectorELNS0_4arch9wavefront6targetE0EEEvS12_.has_recursion, 0
	.set _ZN7rocprim17ROCPRIM_400000_NS6detail17trampoline_kernelINS0_13select_configILj256ELj13ELNS0_17block_load_methodE3ELS4_3ELS4_3ELNS0_20block_scan_algorithmE0ELj4294967295EEENS1_25partition_config_selectorILNS1_17partition_subalgoE4EjNS0_10empty_typeEbEEZZNS1_14partition_implILS8_4ELb0ES6_15HIP_vector_typeIjLj2EENS0_17counting_iteratorIjlEEPS9_SG_NS0_5tupleIJPjSI_NS0_16reverse_iteratorISI_EEEEENSH_IJSG_SG_SG_EEES9_SI_JZNS1_25segmented_radix_sort_implINS0_14default_configELb0EPKsPsPKlPlN2at6native12_GLOBAL__N_18offset_tEEE10hipError_tPvRmT1_PNSt15iterator_traitsIS12_E10value_typeET2_T3_PNS13_IS18_E10value_typeET4_jRbjT5_S1E_jjP12ihipStream_tbEUljE_ZNSN_ISO_Lb0ESQ_SR_ST_SU_SY_EESZ_S10_S11_S12_S16_S17_S18_S1B_S1C_jS1D_jS1E_S1E_jjS1G_bEUljE0_EEESZ_S10_S11_S18_S1C_S1E_T6_T7_T9_mT8_S1G_bDpT10_ENKUlT_T0_E_clISt17integral_constantIbLb0EES1U_EEDaS1P_S1Q_EUlS1P_E_NS1_11comp_targetILNS1_3genE9ELNS1_11target_archE1100ELNS1_3gpuE3ELNS1_3repE0EEENS1_30default_config_static_selectorELNS0_4arch9wavefront6targetE0EEEvS12_.has_indirect_call, 0
	.section	.AMDGPU.csdata,"",@progbits
; Kernel info:
; codeLenInByte = 0
; TotalNumSgprs: 0
; NumVgprs: 0
; ScratchSize: 0
; MemoryBound: 0
; FloatMode: 240
; IeeeMode: 1
; LDSByteSize: 0 bytes/workgroup (compile time only)
; SGPRBlocks: 0
; VGPRBlocks: 0
; NumSGPRsForWavesPerEU: 1
; NumVGPRsForWavesPerEU: 1
; Occupancy: 16
; WaveLimiterHint : 0
; COMPUTE_PGM_RSRC2:SCRATCH_EN: 0
; COMPUTE_PGM_RSRC2:USER_SGPR: 6
; COMPUTE_PGM_RSRC2:TRAP_HANDLER: 0
; COMPUTE_PGM_RSRC2:TGID_X_EN: 1
; COMPUTE_PGM_RSRC2:TGID_Y_EN: 0
; COMPUTE_PGM_RSRC2:TGID_Z_EN: 0
; COMPUTE_PGM_RSRC2:TIDIG_COMP_CNT: 0
	.section	.text._ZN7rocprim17ROCPRIM_400000_NS6detail17trampoline_kernelINS0_13select_configILj256ELj13ELNS0_17block_load_methodE3ELS4_3ELS4_3ELNS0_20block_scan_algorithmE0ELj4294967295EEENS1_25partition_config_selectorILNS1_17partition_subalgoE4EjNS0_10empty_typeEbEEZZNS1_14partition_implILS8_4ELb0ES6_15HIP_vector_typeIjLj2EENS0_17counting_iteratorIjlEEPS9_SG_NS0_5tupleIJPjSI_NS0_16reverse_iteratorISI_EEEEENSH_IJSG_SG_SG_EEES9_SI_JZNS1_25segmented_radix_sort_implINS0_14default_configELb0EPKsPsPKlPlN2at6native12_GLOBAL__N_18offset_tEEE10hipError_tPvRmT1_PNSt15iterator_traitsIS12_E10value_typeET2_T3_PNS13_IS18_E10value_typeET4_jRbjT5_S1E_jjP12ihipStream_tbEUljE_ZNSN_ISO_Lb0ESQ_SR_ST_SU_SY_EESZ_S10_S11_S12_S16_S17_S18_S1B_S1C_jS1D_jS1E_S1E_jjS1G_bEUljE0_EEESZ_S10_S11_S18_S1C_S1E_T6_T7_T9_mT8_S1G_bDpT10_ENKUlT_T0_E_clISt17integral_constantIbLb0EES1U_EEDaS1P_S1Q_EUlS1P_E_NS1_11comp_targetILNS1_3genE8ELNS1_11target_archE1030ELNS1_3gpuE2ELNS1_3repE0EEENS1_30default_config_static_selectorELNS0_4arch9wavefront6targetE0EEEvS12_,"axG",@progbits,_ZN7rocprim17ROCPRIM_400000_NS6detail17trampoline_kernelINS0_13select_configILj256ELj13ELNS0_17block_load_methodE3ELS4_3ELS4_3ELNS0_20block_scan_algorithmE0ELj4294967295EEENS1_25partition_config_selectorILNS1_17partition_subalgoE4EjNS0_10empty_typeEbEEZZNS1_14partition_implILS8_4ELb0ES6_15HIP_vector_typeIjLj2EENS0_17counting_iteratorIjlEEPS9_SG_NS0_5tupleIJPjSI_NS0_16reverse_iteratorISI_EEEEENSH_IJSG_SG_SG_EEES9_SI_JZNS1_25segmented_radix_sort_implINS0_14default_configELb0EPKsPsPKlPlN2at6native12_GLOBAL__N_18offset_tEEE10hipError_tPvRmT1_PNSt15iterator_traitsIS12_E10value_typeET2_T3_PNS13_IS18_E10value_typeET4_jRbjT5_S1E_jjP12ihipStream_tbEUljE_ZNSN_ISO_Lb0ESQ_SR_ST_SU_SY_EESZ_S10_S11_S12_S16_S17_S18_S1B_S1C_jS1D_jS1E_S1E_jjS1G_bEUljE0_EEESZ_S10_S11_S18_S1C_S1E_T6_T7_T9_mT8_S1G_bDpT10_ENKUlT_T0_E_clISt17integral_constantIbLb0EES1U_EEDaS1P_S1Q_EUlS1P_E_NS1_11comp_targetILNS1_3genE8ELNS1_11target_archE1030ELNS1_3gpuE2ELNS1_3repE0EEENS1_30default_config_static_selectorELNS0_4arch9wavefront6targetE0EEEvS12_,comdat
	.globl	_ZN7rocprim17ROCPRIM_400000_NS6detail17trampoline_kernelINS0_13select_configILj256ELj13ELNS0_17block_load_methodE3ELS4_3ELS4_3ELNS0_20block_scan_algorithmE0ELj4294967295EEENS1_25partition_config_selectorILNS1_17partition_subalgoE4EjNS0_10empty_typeEbEEZZNS1_14partition_implILS8_4ELb0ES6_15HIP_vector_typeIjLj2EENS0_17counting_iteratorIjlEEPS9_SG_NS0_5tupleIJPjSI_NS0_16reverse_iteratorISI_EEEEENSH_IJSG_SG_SG_EEES9_SI_JZNS1_25segmented_radix_sort_implINS0_14default_configELb0EPKsPsPKlPlN2at6native12_GLOBAL__N_18offset_tEEE10hipError_tPvRmT1_PNSt15iterator_traitsIS12_E10value_typeET2_T3_PNS13_IS18_E10value_typeET4_jRbjT5_S1E_jjP12ihipStream_tbEUljE_ZNSN_ISO_Lb0ESQ_SR_ST_SU_SY_EESZ_S10_S11_S12_S16_S17_S18_S1B_S1C_jS1D_jS1E_S1E_jjS1G_bEUljE0_EEESZ_S10_S11_S18_S1C_S1E_T6_T7_T9_mT8_S1G_bDpT10_ENKUlT_T0_E_clISt17integral_constantIbLb0EES1U_EEDaS1P_S1Q_EUlS1P_E_NS1_11comp_targetILNS1_3genE8ELNS1_11target_archE1030ELNS1_3gpuE2ELNS1_3repE0EEENS1_30default_config_static_selectorELNS0_4arch9wavefront6targetE0EEEvS12_ ; -- Begin function _ZN7rocprim17ROCPRIM_400000_NS6detail17trampoline_kernelINS0_13select_configILj256ELj13ELNS0_17block_load_methodE3ELS4_3ELS4_3ELNS0_20block_scan_algorithmE0ELj4294967295EEENS1_25partition_config_selectorILNS1_17partition_subalgoE4EjNS0_10empty_typeEbEEZZNS1_14partition_implILS8_4ELb0ES6_15HIP_vector_typeIjLj2EENS0_17counting_iteratorIjlEEPS9_SG_NS0_5tupleIJPjSI_NS0_16reverse_iteratorISI_EEEEENSH_IJSG_SG_SG_EEES9_SI_JZNS1_25segmented_radix_sort_implINS0_14default_configELb0EPKsPsPKlPlN2at6native12_GLOBAL__N_18offset_tEEE10hipError_tPvRmT1_PNSt15iterator_traitsIS12_E10value_typeET2_T3_PNS13_IS18_E10value_typeET4_jRbjT5_S1E_jjP12ihipStream_tbEUljE_ZNSN_ISO_Lb0ESQ_SR_ST_SU_SY_EESZ_S10_S11_S12_S16_S17_S18_S1B_S1C_jS1D_jS1E_S1E_jjS1G_bEUljE0_EEESZ_S10_S11_S18_S1C_S1E_T6_T7_T9_mT8_S1G_bDpT10_ENKUlT_T0_E_clISt17integral_constantIbLb0EES1U_EEDaS1P_S1Q_EUlS1P_E_NS1_11comp_targetILNS1_3genE8ELNS1_11target_archE1030ELNS1_3gpuE2ELNS1_3repE0EEENS1_30default_config_static_selectorELNS0_4arch9wavefront6targetE0EEEvS12_
	.p2align	8
	.type	_ZN7rocprim17ROCPRIM_400000_NS6detail17trampoline_kernelINS0_13select_configILj256ELj13ELNS0_17block_load_methodE3ELS4_3ELS4_3ELNS0_20block_scan_algorithmE0ELj4294967295EEENS1_25partition_config_selectorILNS1_17partition_subalgoE4EjNS0_10empty_typeEbEEZZNS1_14partition_implILS8_4ELb0ES6_15HIP_vector_typeIjLj2EENS0_17counting_iteratorIjlEEPS9_SG_NS0_5tupleIJPjSI_NS0_16reverse_iteratorISI_EEEEENSH_IJSG_SG_SG_EEES9_SI_JZNS1_25segmented_radix_sort_implINS0_14default_configELb0EPKsPsPKlPlN2at6native12_GLOBAL__N_18offset_tEEE10hipError_tPvRmT1_PNSt15iterator_traitsIS12_E10value_typeET2_T3_PNS13_IS18_E10value_typeET4_jRbjT5_S1E_jjP12ihipStream_tbEUljE_ZNSN_ISO_Lb0ESQ_SR_ST_SU_SY_EESZ_S10_S11_S12_S16_S17_S18_S1B_S1C_jS1D_jS1E_S1E_jjS1G_bEUljE0_EEESZ_S10_S11_S18_S1C_S1E_T6_T7_T9_mT8_S1G_bDpT10_ENKUlT_T0_E_clISt17integral_constantIbLb0EES1U_EEDaS1P_S1Q_EUlS1P_E_NS1_11comp_targetILNS1_3genE8ELNS1_11target_archE1030ELNS1_3gpuE2ELNS1_3repE0EEENS1_30default_config_static_selectorELNS0_4arch9wavefront6targetE0EEEvS12_,@function
_ZN7rocprim17ROCPRIM_400000_NS6detail17trampoline_kernelINS0_13select_configILj256ELj13ELNS0_17block_load_methodE3ELS4_3ELS4_3ELNS0_20block_scan_algorithmE0ELj4294967295EEENS1_25partition_config_selectorILNS1_17partition_subalgoE4EjNS0_10empty_typeEbEEZZNS1_14partition_implILS8_4ELb0ES6_15HIP_vector_typeIjLj2EENS0_17counting_iteratorIjlEEPS9_SG_NS0_5tupleIJPjSI_NS0_16reverse_iteratorISI_EEEEENSH_IJSG_SG_SG_EEES9_SI_JZNS1_25segmented_radix_sort_implINS0_14default_configELb0EPKsPsPKlPlN2at6native12_GLOBAL__N_18offset_tEEE10hipError_tPvRmT1_PNSt15iterator_traitsIS12_E10value_typeET2_T3_PNS13_IS18_E10value_typeET4_jRbjT5_S1E_jjP12ihipStream_tbEUljE_ZNSN_ISO_Lb0ESQ_SR_ST_SU_SY_EESZ_S10_S11_S12_S16_S17_S18_S1B_S1C_jS1D_jS1E_S1E_jjS1G_bEUljE0_EEESZ_S10_S11_S18_S1C_S1E_T6_T7_T9_mT8_S1G_bDpT10_ENKUlT_T0_E_clISt17integral_constantIbLb0EES1U_EEDaS1P_S1Q_EUlS1P_E_NS1_11comp_targetILNS1_3genE8ELNS1_11target_archE1030ELNS1_3gpuE2ELNS1_3repE0EEENS1_30default_config_static_selectorELNS0_4arch9wavefront6targetE0EEEvS12_: ; @_ZN7rocprim17ROCPRIM_400000_NS6detail17trampoline_kernelINS0_13select_configILj256ELj13ELNS0_17block_load_methodE3ELS4_3ELS4_3ELNS0_20block_scan_algorithmE0ELj4294967295EEENS1_25partition_config_selectorILNS1_17partition_subalgoE4EjNS0_10empty_typeEbEEZZNS1_14partition_implILS8_4ELb0ES6_15HIP_vector_typeIjLj2EENS0_17counting_iteratorIjlEEPS9_SG_NS0_5tupleIJPjSI_NS0_16reverse_iteratorISI_EEEEENSH_IJSG_SG_SG_EEES9_SI_JZNS1_25segmented_radix_sort_implINS0_14default_configELb0EPKsPsPKlPlN2at6native12_GLOBAL__N_18offset_tEEE10hipError_tPvRmT1_PNSt15iterator_traitsIS12_E10value_typeET2_T3_PNS13_IS18_E10value_typeET4_jRbjT5_S1E_jjP12ihipStream_tbEUljE_ZNSN_ISO_Lb0ESQ_SR_ST_SU_SY_EESZ_S10_S11_S12_S16_S17_S18_S1B_S1C_jS1D_jS1E_S1E_jjS1G_bEUljE0_EEESZ_S10_S11_S18_S1C_S1E_T6_T7_T9_mT8_S1G_bDpT10_ENKUlT_T0_E_clISt17integral_constantIbLb0EES1U_EEDaS1P_S1Q_EUlS1P_E_NS1_11comp_targetILNS1_3genE8ELNS1_11target_archE1030ELNS1_3gpuE2ELNS1_3repE0EEENS1_30default_config_static_selectorELNS0_4arch9wavefront6targetE0EEEvS12_
; %bb.0:
	s_clause 0x6
	s_load_dword s3, s[4:5], 0x80
	s_load_dwordx2 s[34:35], s[4:5], 0x10
	s_load_dwordx2 s[0:1], s[4:5], 0x68
	s_load_dword s7, s[4:5], 0x8
	s_load_dwordx4 s[24:27], s[4:5], 0x58
	s_load_dwordx2 s[40:41], s[4:5], 0xa8
	s_load_dwordx8 s[16:23], s[4:5], 0x88
	s_mul_i32 s42, s6, 0xd00
	s_waitcnt lgkmcnt(0)
	s_mul_i32 s2, s3, 0xd00
	s_add_i32 s3, s3, -1
	s_add_u32 s8, s34, s2
	s_addc_u32 s9, s35, 0
	s_load_dwordx4 s[28:31], s[26:27], 0x0
	s_cmp_eq_u32 s6, s3
	v_cmp_gt_u64_e64 s1, s[0:1], s[8:9]
	s_cselect_b32 s33, -1, 0
	s_cmp_lg_u32 s6, s3
	s_cselect_b32 s3, -1, 0
	s_add_i32 s7, s7, s42
	s_or_b32 s1, s3, s1
	s_add_i32 s7, s7, s34
	s_and_b32 vcc_lo, exec_lo, s1
	v_add_nc_u32_e32 v1, s7, v0
	s_mov_b32 s3, -1
	v_add_nc_u32_e32 v2, 0x100, v1
	v_add_nc_u32_e32 v3, 0x200, v1
	;; [unrolled: 1-line block ×12, first 2 shown]
	s_cbranch_vccz .LBB950_2
; %bb.1:
	v_lshlrev_b32_e32 v14, 2, v0
	s_mov_b32 s3, 0
	ds_write2st64_b32 v14, v1, v2 offset1:4
	ds_write2st64_b32 v14, v3, v4 offset0:8 offset1:12
	ds_write2st64_b32 v14, v5, v6 offset0:16 offset1:20
	ds_write2st64_b32 v14, v7, v8 offset0:24 offset1:28
	ds_write2st64_b32 v14, v9, v10 offset0:32 offset1:36
	ds_write2st64_b32 v14, v11, v12 offset0:40 offset1:44
	ds_write_b32 v14, v13 offset:12288
	s_waitcnt lgkmcnt(0)
	s_barrier
.LBB950_2:
	s_andn2_b32 vcc_lo, exec_lo, s3
	s_add_i32 s2, s2, s34
	s_cbranch_vccnz .LBB950_4
; %bb.3:
	v_lshlrev_b32_e32 v14, 2, v0
	ds_write2st64_b32 v14, v1, v2 offset1:4
	ds_write2st64_b32 v14, v3, v4 offset0:8 offset1:12
	ds_write2st64_b32 v14, v5, v6 offset0:16 offset1:20
	;; [unrolled: 1-line block ×5, first 2 shown]
	ds_write_b32 v14, v13 offset:12288
	s_waitcnt lgkmcnt(0)
	s_barrier
.LBB950_4:
	v_mul_u32_u24_e32 v29, 13, v0
	s_clause 0x1
	s_load_dwordx4 s[36:39], s[4:5], 0x28
	s_load_dwordx2 s[26:27], s[4:5], 0x38
	s_waitcnt lgkmcnt(0)
	buffer_gl0_inv
	v_cndmask_b32_e64 v27, 0, 1, s1
	s_sub_i32 s43, s0, s2
	v_lshlrev_b32_e32 v1, 2, v29
	s_andn2_b32 vcc_lo, exec_lo, s1
	ds_read_b32 v28, v1 offset:48
	ds_read2_b32 v[9:10], v1 offset0:10 offset1:11
	ds_read2_b32 v[11:12], v1 offset0:8 offset1:9
	;; [unrolled: 1-line block ×4, first 2 shown]
	ds_read2_b32 v[19:20], v1 offset1:1
	ds_read2_b32 v[17:18], v1 offset0:2 offset1:3
	s_waitcnt lgkmcnt(0)
	s_barrier
	buffer_gl0_inv
	s_cbranch_vccnz .LBB950_32
; %bb.5:
	v_add_nc_u32_e32 v1, s17, v19
	v_add_nc_u32_e32 v2, s19, v19
	s_mov_b32 s45, 0
	s_mov_b32 s44, 0
	s_mov_b32 s1, exec_lo
	v_mul_lo_u32 v1, v1, s16
	v_mul_lo_u32 v2, v2, s18
	v_sub_nc_u32_e32 v1, v1, v2
	v_cmp_lt_u32_e32 vcc_lo, s20, v1
	v_cmpx_ge_u32_e64 s20, v1
	s_cbranch_execz .LBB950_7
; %bb.6:
	v_add_nc_u32_e32 v1, s22, v19
	v_add_nc_u32_e32 v2, s40, v19
	v_mul_lo_u32 v1, v1, s21
	v_mul_lo_u32 v2, v2, s23
	v_sub_nc_u32_e32 v1, v1, v2
	v_cmp_lt_u32_e64 s0, s41, v1
	s_and_b32 s44, s0, exec_lo
.LBB950_7:
	s_or_b32 exec_lo, exec_lo, s1
	v_add_nc_u32_e32 v1, s17, v20
	v_add_nc_u32_e32 v2, s19, v20
	s_mov_b32 s2, exec_lo
	v_mul_lo_u32 v1, v1, s16
	v_mul_lo_u32 v2, v2, s18
	v_sub_nc_u32_e32 v1, v1, v2
	v_cmp_lt_u32_e64 s0, s20, v1
	v_cmpx_ge_u32_e64 s20, v1
	s_cbranch_execz .LBB950_9
; %bb.8:
	v_add_nc_u32_e32 v1, s22, v20
	v_add_nc_u32_e32 v2, s40, v20
	v_mul_lo_u32 v1, v1, s21
	v_mul_lo_u32 v2, v2, s23
	v_sub_nc_u32_e32 v1, v1, v2
	v_cmp_lt_u32_e64 s1, s41, v1
	s_and_b32 s45, s1, exec_lo
.LBB950_9:
	s_or_b32 exec_lo, exec_lo, s2
	v_add_nc_u32_e32 v1, s17, v17
	v_add_nc_u32_e32 v2, s19, v17
	s_mov_b32 s47, 0
	s_mov_b32 s46, 0
	s_mov_b32 s3, exec_lo
	v_mul_lo_u32 v1, v1, s16
	v_mul_lo_u32 v2, v2, s18
	v_sub_nc_u32_e32 v1, v1, v2
	v_cmp_lt_u32_e64 s1, s20, v1
	v_cmpx_ge_u32_e64 s20, v1
	s_cbranch_execz .LBB950_11
; %bb.10:
	v_add_nc_u32_e32 v1, s22, v17
	v_add_nc_u32_e32 v2, s40, v17
	v_mul_lo_u32 v1, v1, s21
	v_mul_lo_u32 v2, v2, s23
	v_sub_nc_u32_e32 v1, v1, v2
	v_cmp_lt_u32_e64 s2, s41, v1
	s_and_b32 s46, s2, exec_lo
.LBB950_11:
	s_or_b32 exec_lo, exec_lo, s3
	v_add_nc_u32_e32 v1, s17, v18
	v_add_nc_u32_e32 v2, s19, v18
	s_mov_b32 s7, exec_lo
	v_mul_lo_u32 v1, v1, s16
	v_mul_lo_u32 v2, v2, s18
	v_sub_nc_u32_e32 v1, v1, v2
	v_cmp_lt_u32_e64 s2, s20, v1
	v_cmpx_ge_u32_e64 s20, v1
	s_cbranch_execz .LBB950_13
; %bb.12:
	v_add_nc_u32_e32 v1, s22, v18
	v_add_nc_u32_e32 v2, s40, v18
	v_mul_lo_u32 v1, v1, s21
	v_mul_lo_u32 v2, v2, s23
	v_sub_nc_u32_e32 v1, v1, v2
	v_cmp_lt_u32_e64 s3, s41, v1
	s_and_b32 s47, s3, exec_lo
.LBB950_13:
	s_or_b32 exec_lo, exec_lo, s7
	v_add_nc_u32_e32 v1, s17, v15
	v_add_nc_u32_e32 v2, s19, v15
	s_mov_b32 s49, 0
	s_mov_b32 s48, 0
	s_mov_b32 s8, exec_lo
	v_mul_lo_u32 v1, v1, s16
	v_mul_lo_u32 v2, v2, s18
	v_sub_nc_u32_e32 v1, v1, v2
	v_cmp_lt_u32_e64 s3, s20, v1
	;; [unrolled: 40-line block ×6, first 2 shown]
	v_cmpx_ge_u32_e64 s20, v1
	s_cbranch_execz .LBB950_31
; %bb.30:
	v_add_nc_u32_e32 v1, s22, v28
	v_add_nc_u32_e32 v2, s40, v28
	v_mul_lo_u32 v1, v1, s21
	v_mul_lo_u32 v2, v2, s23
	v_sub_nc_u32_e32 v1, v1, v2
	v_cmp_lt_u32_e64 s15, s41, v1
	s_and_b32 s57, s15, exec_lo
.LBB950_31:
	s_or_b32 exec_lo, exec_lo, s58
	v_cndmask_b32_e64 v2, 0, 1, s0
	v_cndmask_b32_e64 v4, 0, 1, s2
	v_cndmask_b32_e64 v1, 0, 1, vcc_lo
	v_cndmask_b32_e64 v3, 0, 1, s1
	v_cndmask_b32_e64 v6, 0, 1, s7
	v_lshlrev_b16 v2, 8, v2
	v_lshlrev_b16 v4, 8, v4
	v_cndmask_b32_e64 v8, 0, 1, s9
	v_cndmask_b32_e64 v22, 0, 1, s11
	;; [unrolled: 1-line block ×3, first 2 shown]
	v_or_b32_e32 v1, v1, v2
	v_or_b32_sdwa v2, v3, v4 dst_sel:WORD_1 dst_unused:UNUSED_PAD src0_sel:DWORD src1_sel:DWORD
	v_cndmask_b32_e64 v3, 0, 1, s44
	v_cndmask_b32_e64 v5, 0, 1, s3
	;; [unrolled: 1-line block ×11, first 2 shown]
	v_or_b32_sdwa v30, v1, v2 dst_sel:DWORD dst_unused:UNUSED_PAD src0_sel:WORD_0 src1_sel:DWORD
	v_lshlrev_b16 v1, 8, v6
	v_lshlrev_b16 v2, 8, v8
	;; [unrolled: 1-line block ×5, first 2 shown]
	v_cndmask_b32_e64 v26, 0, 1, s53
	v_cndmask_b32_e64 v32, 0, 1, s51
	v_cndmask_b32_e64 v35, 0, 1, s49
	v_cndmask_b32_e64 v38, 0, 1, s47
	v_cndmask_b32_e64 v40, 0, 1, s45
	v_or_b32_e32 v1, v5, v1
	v_or_b32_sdwa v2, v7, v2 dst_sel:WORD_1 dst_unused:UNUSED_PAD src0_sel:DWORD src1_sel:DWORD
	v_or_b32_e32 v5, v21, v6
	v_or_b32_sdwa v6, v23, v8 dst_sel:WORD_1 dst_unused:UNUSED_PAD src0_sel:DWORD src1_sel:DWORD
	v_or_b32_e32 v3, v4, v3
	v_lshlrev_b16 v4, 8, v39
	v_lshlrev_b16 v7, 8, v36
	;; [unrolled: 1-line block ×5, first 2 shown]
	v_or_b32_sdwa v4, v40, v4 dst_sel:WORD_1 dst_unused:UNUSED_PAD src0_sel:DWORD src1_sel:DWORD
	v_or_b32_e32 v7, v38, v7
	v_or_b32_sdwa v8, v35, v8 dst_sel:WORD_1 dst_unused:UNUSED_PAD src0_sel:DWORD src1_sel:DWORD
	v_or_b32_e32 v21, v32, v21
	v_or_b32_sdwa v22, v26, v22 dst_sel:WORD_1 dst_unused:UNUSED_PAD src0_sel:DWORD src1_sel:DWORD
	v_cndmask_b32_e64 v34, 0, 1, s55
	v_cndmask_b32_e64 v37, 0, 1, s57
	v_or_b32_sdwa v32, v1, v2 dst_sel:DWORD dst_unused:UNUSED_PAD src0_sel:WORD_0 src1_sel:DWORD
	v_or_b32_sdwa v35, v5, v6 dst_sel:DWORD dst_unused:UNUSED_PAD src0_sel:WORD_0 src1_sel:DWORD
	;; [unrolled: 1-line block ×5, first 2 shown]
	s_load_dwordx2 s[4:5], s[4:5], 0x78
	s_and_b32 vcc_lo, exec_lo, s54
	s_add_i32 s7, s43, 0xd00
	s_cbranch_vccnz .LBB950_33
	s_branch .LBB950_110
.LBB950_32:
                                        ; implicit-def: $vgpr37
                                        ; implicit-def: $vgpr34
                                        ; implicit-def: $vgpr33
                                        ; implicit-def: $vgpr31
                                        ; implicit-def: $vgpr36
                                        ; implicit-def: $vgpr35
                                        ; implicit-def: $vgpr32
                                        ; implicit-def: $vgpr30
	s_load_dwordx2 s[4:5], s[4:5], 0x78
	s_add_i32 s7, s43, 0xd00
	s_cbranch_execz .LBB950_110
.LBB950_33:
	v_mov_b32_e32 v2, 0
	v_mov_b32_e32 v1, 0
	s_mov_b32 s1, exec_lo
	v_cmpx_gt_u32_e64 s7, v29
	s_cbranch_execz .LBB950_37
; %bb.34:
	v_add_nc_u32_e32 v1, s17, v19
	v_add_nc_u32_e32 v2, s19, v19
	s_mov_b32 s3, 0
	s_mov_b32 s2, exec_lo
	v_mul_lo_u32 v1, v1, s16
	v_mul_lo_u32 v2, v2, s18
	v_sub_nc_u32_e32 v1, v1, v2
	v_cmp_lt_u32_e32 vcc_lo, s20, v1
	v_cmpx_ge_u32_e64 s20, v1
	s_cbranch_execz .LBB950_36
; %bb.35:
	v_add_nc_u32_e32 v1, s22, v19
	v_add_nc_u32_e32 v2, s40, v19
	v_mul_lo_u32 v1, v1, s21
	v_mul_lo_u32 v2, v2, s23
	v_sub_nc_u32_e32 v1, v1, v2
	v_cmp_lt_u32_e64 s0, s41, v1
	s_and_b32 s3, s0, exec_lo
.LBB950_36:
	s_or_b32 exec_lo, exec_lo, s2
	v_cndmask_b32_e64 v2, 0, 1, s3
	v_cndmask_b32_e64 v1, 0, 1, vcc_lo
.LBB950_37:
	s_or_b32 exec_lo, exec_lo, s1
	v_add_nc_u32_e32 v3, 1, v29
	v_lshlrev_b16 v21, 8, v2
	v_and_b32_e32 v6, 0xff, v1
	v_lshlrev_b16 v7, 8, 0
                                        ; implicit-def: $vgpr5
                                        ; implicit-def: $vgpr8
                                        ; implicit-def: $vgpr2
                                        ; implicit-def: $vgpr4
	v_cmp_le_u32_e32 vcc_lo, s7, v3
                                        ; implicit-def: $vgpr3
	s_and_saveexec_b32 s0, vcc_lo
	s_xor_b32 s0, exec_lo, s0
	s_cbranch_execz .LBB950_39
; %bb.38:
	v_mov_b32_e32 v1, 8
	v_mov_b32_e32 v2, 0xff
	;; [unrolled: 1-line block ×3, first 2 shown]
	v_and_b32_e32 v4, 0xffff, v7
	v_and_b32_e32 v3, 0xffff, v7
	v_lshrrev_b32_sdwa v1, v1, v21 dst_sel:BYTE_1 dst_unused:UNUSED_PAD src0_sel:DWORD src1_sel:WORD_0
	v_and_b32_sdwa v2, v21, v2 dst_sel:DWORD dst_unused:UNUSED_PAD src0_sel:WORD_0 src1_sel:DWORD
                                        ; implicit-def: $vgpr21
	v_or_b32_e32 v1, v2, v1
	v_and_b32_e32 v2, 0xffff, v7
                                        ; implicit-def: $vgpr7
	v_and_b32_e32 v8, 0xffff, v1
                                        ; implicit-def: $vgpr1
.LBB950_39:
	s_andn2_saveexec_b32 s1, s0
	s_cbranch_execz .LBB950_43
; %bb.40:
	v_add_nc_u32_e32 v2, s17, v20
	v_add_nc_u32_e32 v3, s19, v20
	s_mov_b32 s2, 0
	s_mov_b32 s3, exec_lo
	v_mul_lo_u32 v2, v2, s16
	v_mul_lo_u32 v3, v3, s18
	v_sub_nc_u32_e32 v2, v2, v3
	v_cmp_lt_u32_e32 vcc_lo, s20, v2
	v_cmpx_ge_u32_e64 s20, v2
	s_cbranch_execz .LBB950_42
; %bb.41:
	v_add_nc_u32_e32 v2, s22, v20
	v_add_nc_u32_e32 v3, s40, v20
	v_mul_lo_u32 v2, v2, s21
	v_mul_lo_u32 v3, v3, s23
	v_sub_nc_u32_e32 v2, v2, v3
	v_cmp_lt_u32_e64 s0, s41, v2
	s_and_b32 s2, s0, exec_lo
.LBB950_42:
	s_or_b32 exec_lo, exec_lo, s3
	v_mov_b32_e32 v2, 0xff
	v_mov_b32_e32 v3, 8
	v_cndmask_b32_e64 v4, 0, 1, vcc_lo
	v_mov_b32_e32 v5, 0
	v_and_b32_sdwa v2, v21, v2 dst_sel:DWORD dst_unused:UNUSED_PAD src0_sel:WORD_0 src1_sel:DWORD
	v_lshrrev_b32_sdwa v3, v3, v21 dst_sel:BYTE_1 dst_unused:UNUSED_PAD src0_sel:DWORD src1_sel:WORD_0
	v_lshlrev_b16 v4, 8, v4
	v_or_b32_e32 v2, v2, v3
	v_cndmask_b32_e64 v3, 0, 1, s2
	v_or_b32_sdwa v1, v1, v4 dst_sel:DWORD dst_unused:UNUSED_PAD src0_sel:BYTE_0 src1_sel:DWORD
	v_and_b32_e32 v4, 0xffff, v7
	v_and_b32_e32 v8, 0xffff, v2
	v_mov_b32_e32 v2, 0
	v_and_b32_e32 v6, 0xffff, v1
	v_lshl_or_b32 v8, v3, 16, v8
	v_and_b32_e32 v3, 0xffff, v7
.LBB950_43:
	s_or_b32 exec_lo, exec_lo, s1
	v_add_nc_u32_e32 v1, 2, v29
                                        ; implicit-def: $vgpr7
	v_cmp_le_u32_e32 vcc_lo, s7, v1
                                        ; implicit-def: $vgpr1
	s_and_saveexec_b32 s0, vcc_lo
	s_xor_b32 s0, exec_lo, s0
	s_cbranch_execz .LBB950_45
; %bb.44:
	v_lshrrev_b32_e32 v1, 24, v6
	v_mov_b32_e32 v7, 8
	v_and_b32_e32 v21, 0xff0000, v8
	v_perm_b32 v4, v4, v4, 0x3060504
	v_perm_b32 v1, v1, v6, 0x40c0100
	v_lshrrev_b32_sdwa v6, v7, v1 dst_sel:BYTE_1 dst_unused:UNUSED_PAD src0_sel:DWORD src1_sel:DWORD
	v_or_b32_sdwa v6, v1, v6 dst_sel:DWORD dst_unused:UNUSED_PAD src0_sel:BYTE_0 src1_sel:DWORD
	v_and_b32_e32 v6, 0xffff, v6
	v_and_or_b32 v7, 0xff000000, v1, v6
	v_perm_b32 v1, v8, v21, 0x3020504
                                        ; implicit-def: $vgpr6
                                        ; implicit-def: $vgpr8
.LBB950_45:
	s_andn2_saveexec_b32 s1, s0
	s_cbranch_execz .LBB950_49
; %bb.46:
	v_add_nc_u32_e32 v1, s17, v17
	v_add_nc_u32_e32 v7, s19, v17
	s_mov_b32 s2, 0
	s_mov_b32 s3, exec_lo
	v_mul_lo_u32 v1, v1, s16
	v_mul_lo_u32 v7, v7, s18
	v_sub_nc_u32_e32 v1, v1, v7
	v_cmp_lt_u32_e32 vcc_lo, s20, v1
	v_cmpx_ge_u32_e64 s20, v1
	s_cbranch_execz .LBB950_48
; %bb.47:
	v_add_nc_u32_e32 v1, s22, v17
	v_add_nc_u32_e32 v7, s40, v17
	v_mul_lo_u32 v1, v1, s21
	v_mul_lo_u32 v7, v7, s23
	v_sub_nc_u32_e32 v1, v1, v7
	v_cmp_lt_u32_e64 s0, s41, v1
	s_and_b32 s2, s0, exec_lo
.LBB950_48:
	s_or_b32 exec_lo, exec_lo, s3
	v_mov_b32_e32 v1, 8
	v_mov_b32_e32 v7, 24
	v_cndmask_b32_e64 v22, 0, 1, s2
	v_mov_b32_e32 v23, 0xff
	v_cndmask_b32_e64 v21, 0, 1, vcc_lo
	v_lshrrev_b32_sdwa v24, v1, v6 dst_sel:BYTE_1 dst_unused:UNUSED_PAD src0_sel:DWORD src1_sel:DWORD
	v_lshrrev_b32_sdwa v7, v7, v6 dst_sel:BYTE_1 dst_unused:UNUSED_PAD src0_sel:DWORD src1_sel:DWORD
	;; [unrolled: 1-line block ×3, first 2 shown]
	v_lshlrev_b16 v22, 8, v22
	v_and_b32_sdwa v23, v8, v23 dst_sel:DWORD dst_unused:UNUSED_PAD src0_sel:WORD_1 src1_sel:DWORD
	v_or_b32_sdwa v6, v6, v24 dst_sel:DWORD dst_unused:UNUSED_PAD src0_sel:BYTE_0 src1_sel:DWORD
	v_or_b32_sdwa v7, v21, v7 dst_sel:WORD_1 dst_unused:UNUSED_PAD src0_sel:DWORD src1_sel:DWORD
	v_or_b32_sdwa v1, v8, v1 dst_sel:DWORD dst_unused:UNUSED_PAD src0_sel:BYTE_0 src1_sel:DWORD
	v_or_b32_sdwa v8, v23, v22 dst_sel:WORD_1 dst_unused:UNUSED_PAD src0_sel:DWORD src1_sel:DWORD
	v_or_b32_sdwa v7, v6, v7 dst_sel:DWORD dst_unused:UNUSED_PAD src0_sel:WORD_0 src1_sel:DWORD
	v_or_b32_sdwa v1, v1, v8 dst_sel:DWORD dst_unused:UNUSED_PAD src0_sel:WORD_0 src1_sel:DWORD
.LBB950_49:
	s_or_b32 exec_lo, exec_lo, s1
	v_add_nc_u32_e32 v6, 3, v29
                                        ; implicit-def: $vgpr30
	v_cmp_le_u32_e32 vcc_lo, s7, v6
                                        ; implicit-def: $vgpr6
	s_and_saveexec_b32 s0, vcc_lo
	s_xor_b32 s0, exec_lo, s0
	s_cbranch_execz .LBB950_51
; %bb.50:
	v_mov_b32_e32 v6, 24
	v_mov_b32_e32 v8, 0xff
	;; [unrolled: 1-line block ×3, first 2 shown]
	v_and_b32_e32 v22, 0xff0000, v7
	v_perm_b32 v4, v4, v4, 0x3060504
	v_lshrrev_b32_sdwa v6, v6, v5 dst_sel:BYTE_1 dst_unused:UNUSED_PAD src0_sel:DWORD src1_sel:DWORD
	v_and_b32_sdwa v8, v5, v8 dst_sel:DWORD dst_unused:UNUSED_PAD src0_sel:WORD_1 src1_sel:DWORD
	v_lshrrev_b32_sdwa v5, v21, v5 dst_sel:BYTE_1 dst_unused:UNUSED_PAD src0_sel:DWORD src1_sel:DWORD
	v_perm_b32 v30, v7, v22, 0x3020504
	v_perm_b32 v3, v3, v3, 0x3060504
                                        ; implicit-def: $vgpr7
	v_or_b32_sdwa v6, v8, v6 dst_sel:WORD_1 dst_unused:UNUSED_PAD src0_sel:DWORD src1_sel:DWORD
	v_or_b32_sdwa v6, v5, v6 dst_sel:DWORD dst_unused:UNUSED_PAD src0_sel:WORD_0 src1_sel:DWORD
                                        ; implicit-def: $vgpr5
.LBB950_51:
	s_andn2_saveexec_b32 s1, s0
	s_cbranch_execz .LBB950_55
; %bb.52:
	v_add_nc_u32_e32 v6, s17, v18
	v_add_nc_u32_e32 v8, s19, v18
	s_mov_b32 s2, 0
	s_mov_b32 s3, exec_lo
	v_mul_lo_u32 v6, v6, s16
	v_mul_lo_u32 v8, v8, s18
	v_sub_nc_u32_e32 v6, v6, v8
	v_cmp_lt_u32_e32 vcc_lo, s20, v6
	v_cmpx_ge_u32_e64 s20, v6
	s_cbranch_execz .LBB950_54
; %bb.53:
	v_add_nc_u32_e32 v6, s22, v18
	v_add_nc_u32_e32 v8, s40, v18
	v_mul_lo_u32 v6, v6, s21
	v_mul_lo_u32 v8, v8, s23
	v_sub_nc_u32_e32 v6, v6, v8
	v_cmp_lt_u32_e64 s0, s41, v6
	s_and_b32 s2, s0, exec_lo
.LBB950_54:
	s_or_b32 exec_lo, exec_lo, s3
	v_mov_b32_e32 v6, 8
	v_cndmask_b32_e64 v8, 0, 1, vcc_lo
	v_mov_b32_e32 v21, 0xff
	v_mov_b32_e32 v22, 24
	v_cndmask_b32_e64 v23, 0, 1, s2
	v_lshrrev_b32_sdwa v24, v6, v7 dst_sel:BYTE_1 dst_unused:UNUSED_PAD src0_sel:DWORD src1_sel:DWORD
	v_lshlrev_b16 v8, 8, v8
	v_and_b32_sdwa v25, v7, v21 dst_sel:DWORD dst_unused:UNUSED_PAD src0_sel:WORD_1 src1_sel:DWORD
	v_lshrrev_b32_sdwa v22, v22, v5 dst_sel:BYTE_1 dst_unused:UNUSED_PAD src0_sel:DWORD src1_sel:DWORD
	v_and_b32_sdwa v21, v5, v21 dst_sel:DWORD dst_unused:UNUSED_PAD src0_sel:WORD_1 src1_sel:DWORD
	v_lshrrev_b32_sdwa v5, v6, v5 dst_sel:BYTE_1 dst_unused:UNUSED_PAD src0_sel:DWORD src1_sel:DWORD
	v_or_b32_sdwa v6, v7, v24 dst_sel:DWORD dst_unused:UNUSED_PAD src0_sel:BYTE_0 src1_sel:DWORD
	v_or_b32_sdwa v7, v25, v8 dst_sel:WORD_1 dst_unused:UNUSED_PAD src0_sel:DWORD src1_sel:DWORD
	v_or_b32_sdwa v8, v21, v22 dst_sel:WORD_1 dst_unused:UNUSED_PAD src0_sel:DWORD src1_sel:DWORD
	v_or_b32_e32 v5, v23, v5
	v_or_b32_sdwa v30, v6, v7 dst_sel:DWORD dst_unused:UNUSED_PAD src0_sel:WORD_0 src1_sel:DWORD
	v_or_b32_sdwa v6, v5, v8 dst_sel:DWORD dst_unused:UNUSED_PAD src0_sel:WORD_0 src1_sel:DWORD
.LBB950_55:
	s_or_b32 exec_lo, exec_lo, s1
	v_add_nc_u32_e32 v5, 4, v29
                                        ; implicit-def: $vgpr7
	v_cmp_le_u32_e32 vcc_lo, s7, v5
                                        ; implicit-def: $vgpr5
	s_and_saveexec_b32 s0, vcc_lo
	s_xor_b32 s0, exec_lo, s0
	s_cbranch_execz .LBB950_57
; %bb.56:
	v_mov_b32_e32 v5, 24
	v_mov_b32_e32 v7, 0xff
	;; [unrolled: 1-line block ×3, first 2 shown]
	v_perm_b32 v3, v3, v3, 0x3060504
	v_lshrrev_b32_sdwa v21, v5, v4 dst_sel:BYTE_1 dst_unused:UNUSED_PAD src0_sel:DWORD src1_sel:DWORD
	v_and_b32_sdwa v22, v4, v7 dst_sel:DWORD dst_unused:UNUSED_PAD src0_sel:WORD_1 src1_sel:DWORD
	v_lshrrev_b32_sdwa v5, v5, v6 dst_sel:BYTE_1 dst_unused:UNUSED_PAD src0_sel:DWORD src1_sel:DWORD
	v_and_b32_sdwa v7, v6, v7 dst_sel:DWORD dst_unused:UNUSED_PAD src0_sel:WORD_1 src1_sel:DWORD
	v_lshrrev_b32_sdwa v4, v8, v4 dst_sel:BYTE_1 dst_unused:UNUSED_PAD src0_sel:DWORD src1_sel:DWORD
	v_or_b32_sdwa v8, v22, v21 dst_sel:WORD_1 dst_unused:UNUSED_PAD src0_sel:DWORD src1_sel:DWORD
	v_or_b32_e32 v7, v7, v5
	v_or_b32_sdwa v5, v4, v8 dst_sel:DWORD dst_unused:UNUSED_PAD src0_sel:WORD_0 src1_sel:DWORD
                                        ; implicit-def: $vgpr4
	v_perm_b32 v7, v7, v6, 0x5040c00
                                        ; implicit-def: $vgpr6
.LBB950_57:
	s_andn2_saveexec_b32 s1, s0
	s_cbranch_execz .LBB950_61
; %bb.58:
	v_add_nc_u32_e32 v5, s17, v15
	v_add_nc_u32_e32 v7, s19, v15
	s_mov_b32 s2, 0
	s_mov_b32 s3, exec_lo
	v_mul_lo_u32 v5, v5, s16
	v_mul_lo_u32 v7, v7, s18
	v_sub_nc_u32_e32 v5, v5, v7
	v_cmp_lt_u32_e32 vcc_lo, s20, v5
	v_cmpx_ge_u32_e64 s20, v5
	s_cbranch_execz .LBB950_60
; %bb.59:
	v_add_nc_u32_e32 v5, s22, v15
	v_add_nc_u32_e32 v7, s40, v15
	v_mul_lo_u32 v5, v5, s21
	v_mul_lo_u32 v7, v7, s23
	v_sub_nc_u32_e32 v5, v5, v7
	v_cmp_lt_u32_e64 s0, s41, v5
	s_and_b32 s2, s0, exec_lo
.LBB950_60:
	s_or_b32 exec_lo, exec_lo, s3
	v_mov_b32_e32 v5, 24
	v_mov_b32_e32 v7, 0xff
	v_mov_b32_e32 v8, 8
	v_cndmask_b32_e64 v21, 0, 1, s2
	v_cndmask_b32_e64 v22, 0, 1, vcc_lo
	v_lshrrev_b32_sdwa v23, v5, v4 dst_sel:BYTE_1 dst_unused:UNUSED_PAD src0_sel:DWORD src1_sel:DWORD
	v_and_b32_sdwa v24, v4, v7 dst_sel:DWORD dst_unused:UNUSED_PAD src0_sel:WORD_1 src1_sel:DWORD
	v_lshrrev_b32_sdwa v4, v8, v4 dst_sel:BYTE_1 dst_unused:UNUSED_PAD src0_sel:DWORD src1_sel:DWORD
	v_lshlrev_b16 v8, 8, v21
	v_lshrrev_b32_sdwa v5, v5, v6 dst_sel:BYTE_1 dst_unused:UNUSED_PAD src0_sel:DWORD src1_sel:DWORD
	v_and_b32_sdwa v7, v6, v7 dst_sel:DWORD dst_unused:UNUSED_PAD src0_sel:WORD_1 src1_sel:DWORD
	v_or_b32_sdwa v21, v24, v23 dst_sel:WORD_1 dst_unused:UNUSED_PAD src0_sel:DWORD src1_sel:DWORD
	v_or_b32_e32 v4, v22, v4
	v_or_b32_sdwa v6, v6, v8 dst_sel:DWORD dst_unused:UNUSED_PAD src0_sel:BYTE_0 src1_sel:DWORD
	v_or_b32_sdwa v7, v7, v5 dst_sel:WORD_1 dst_unused:UNUSED_PAD src0_sel:DWORD src1_sel:DWORD
	v_or_b32_sdwa v5, v4, v21 dst_sel:DWORD dst_unused:UNUSED_PAD src0_sel:WORD_0 src1_sel:DWORD
	v_or_b32_sdwa v7, v6, v7 dst_sel:DWORD dst_unused:UNUSED_PAD src0_sel:WORD_0 src1_sel:DWORD
.LBB950_61:
	s_or_b32 exec_lo, exec_lo, s1
	v_add_nc_u32_e32 v4, 5, v29
                                        ; implicit-def: $vgpr6
	v_cmp_le_u32_e32 vcc_lo, s7, v4
                                        ; implicit-def: $vgpr4
	s_and_saveexec_b32 s0, vcc_lo
	s_xor_b32 s0, exec_lo, s0
	s_cbranch_execz .LBB950_63
; %bb.62:
	v_lshrrev_b32_e32 v4, 24, v7
	v_mov_b32_e32 v6, 8
	v_mov_b32_e32 v8, 0xff
	v_perm_b32 v3, v3, v3, 0x3060504
	v_perm_b32 v4, v4, v7, 0x40c0100
	v_mov_b32_e32 v7, 24
	v_and_b32_sdwa v8, v5, v8 dst_sel:DWORD dst_unused:UNUSED_PAD src0_sel:WORD_1 src1_sel:DWORD
	v_lshrrev_b32_sdwa v6, v6, v4 dst_sel:BYTE_1 dst_unused:UNUSED_PAD src0_sel:DWORD src1_sel:DWORD
	v_lshrrev_b32_sdwa v7, v7, v5 dst_sel:BYTE_1 dst_unused:UNUSED_PAD src0_sel:DWORD src1_sel:DWORD
	v_or_b32_sdwa v6, v4, v6 dst_sel:DWORD dst_unused:UNUSED_PAD src0_sel:BYTE_0 src1_sel:DWORD
	v_or_b32_e32 v7, v8, v7
	v_and_b32_e32 v8, 0xffff, v6
	v_perm_b32 v6, v7, v5, 0x5040c00
                                        ; implicit-def: $vgpr5
                                        ; implicit-def: $vgpr7
	v_and_or_b32 v4, 0xff000000, v4, v8
.LBB950_63:
	s_andn2_saveexec_b32 s1, s0
	s_cbranch_execz .LBB950_67
; %bb.64:
	v_add_nc_u32_e32 v4, s17, v16
	v_add_nc_u32_e32 v6, s19, v16
	s_mov_b32 s2, 0
	s_mov_b32 s3, exec_lo
	v_mul_lo_u32 v4, v4, s16
	v_mul_lo_u32 v6, v6, s18
	v_sub_nc_u32_e32 v4, v4, v6
	v_cmp_lt_u32_e32 vcc_lo, s20, v4
	v_cmpx_ge_u32_e64 s20, v4
	s_cbranch_execz .LBB950_66
; %bb.65:
	v_add_nc_u32_e32 v4, s22, v16
	v_add_nc_u32_e32 v6, s40, v16
	v_mul_lo_u32 v4, v4, s21
	v_mul_lo_u32 v6, v6, s23
	v_sub_nc_u32_e32 v4, v4, v6
	v_cmp_lt_u32_e64 s0, s41, v4
	s_and_b32 s2, s0, exec_lo
.LBB950_66:
	s_or_b32 exec_lo, exec_lo, s3
	v_cndmask_b32_e64 v4, 0, 1, vcc_lo
	v_mov_b32_e32 v6, 24
	v_mov_b32_e32 v8, 0xff
	;; [unrolled: 1-line block ×3, first 2 shown]
	v_cndmask_b32_e64 v22, 0, 1, s2
	v_lshlrev_b16 v4, 8, v4
	v_lshrrev_b32_sdwa v23, v6, v5 dst_sel:BYTE_1 dst_unused:UNUSED_PAD src0_sel:DWORD src1_sel:DWORD
	v_and_b32_sdwa v8, v5, v8 dst_sel:DWORD dst_unused:UNUSED_PAD src0_sel:WORD_1 src1_sel:DWORD
	v_lshrrev_b32_sdwa v21, v21, v7 dst_sel:BYTE_1 dst_unused:UNUSED_PAD src0_sel:DWORD src1_sel:DWORD
	v_lshrrev_b32_sdwa v6, v6, v7 dst_sel:BYTE_1 dst_unused:UNUSED_PAD src0_sel:DWORD src1_sel:DWORD
	v_or_b32_sdwa v4, v5, v4 dst_sel:DWORD dst_unused:UNUSED_PAD src0_sel:BYTE_0 src1_sel:DWORD
	v_or_b32_sdwa v5, v8, v23 dst_sel:WORD_1 dst_unused:UNUSED_PAD src0_sel:DWORD src1_sel:DWORD
	v_or_b32_sdwa v7, v7, v21 dst_sel:DWORD dst_unused:UNUSED_PAD src0_sel:BYTE_0 src1_sel:DWORD
	v_or_b32_sdwa v8, v22, v6 dst_sel:WORD_1 dst_unused:UNUSED_PAD src0_sel:DWORD src1_sel:DWORD
	v_or_b32_sdwa v6, v4, v5 dst_sel:DWORD dst_unused:UNUSED_PAD src0_sel:WORD_0 src1_sel:DWORD
	v_or_b32_sdwa v4, v7, v8 dst_sel:DWORD dst_unused:UNUSED_PAD src0_sel:WORD_0 src1_sel:DWORD
.LBB950_67:
	s_or_b32 exec_lo, exec_lo, s1
	v_add_nc_u32_e32 v5, 6, v29
                                        ; implicit-def: $vgpr31
	v_cmp_le_u32_e32 vcc_lo, s7, v5
                                        ; implicit-def: $vgpr5
	s_and_saveexec_b32 s0, vcc_lo
	s_xor_b32 s0, exec_lo, s0
	s_cbranch_execz .LBB950_69
; %bb.68:
	v_lshrrev_b32_e32 v5, 24, v6
	v_mov_b32_e32 v7, 8
	v_perm_b32 v3, v3, v3, 0x3060504
	v_perm_b32 v5, v5, v6, 0x40c0100
	v_lshrrev_b32_sdwa v6, v7, v5 dst_sel:BYTE_1 dst_unused:UNUSED_PAD src0_sel:DWORD src1_sel:DWORD
	v_and_b32_e32 v7, 0xff0000, v4
	v_or_b32_sdwa v6, v5, v6 dst_sel:DWORD dst_unused:UNUSED_PAD src0_sel:BYTE_0 src1_sel:DWORD
	v_perm_b32 v31, v4, v7, 0x3020504
                                        ; implicit-def: $vgpr4
	v_and_b32_e32 v6, 0xffff, v6
	v_and_or_b32 v5, 0xff000000, v5, v6
                                        ; implicit-def: $vgpr6
.LBB950_69:
	s_andn2_saveexec_b32 s1, s0
	s_cbranch_execz .LBB950_73
; %bb.70:
	v_add_nc_u32_e32 v5, s17, v13
	v_add_nc_u32_e32 v7, s19, v13
	s_mov_b32 s2, 0
	s_mov_b32 s3, exec_lo
	v_mul_lo_u32 v5, v5, s16
	v_mul_lo_u32 v7, v7, s18
	v_sub_nc_u32_e32 v5, v5, v7
	v_cmp_lt_u32_e32 vcc_lo, s20, v5
	v_cmpx_ge_u32_e64 s20, v5
	s_cbranch_execz .LBB950_72
; %bb.71:
	v_add_nc_u32_e32 v5, s22, v13
	v_add_nc_u32_e32 v7, s40, v13
	v_mul_lo_u32 v5, v5, s21
	v_mul_lo_u32 v7, v7, s23
	v_sub_nc_u32_e32 v5, v5, v7
	v_cmp_lt_u32_e64 s0, s41, v5
	s_and_b32 s2, s0, exec_lo
.LBB950_72:
	s_or_b32 exec_lo, exec_lo, s3
	v_mov_b32_e32 v5, 8
	v_mov_b32_e32 v7, 24
	v_cndmask_b32_e64 v21, 0, 1, s2
	v_mov_b32_e32 v22, 0xff
	v_cndmask_b32_e64 v8, 0, 1, vcc_lo
	v_lshrrev_b32_sdwa v23, v5, v6 dst_sel:BYTE_1 dst_unused:UNUSED_PAD src0_sel:DWORD src1_sel:DWORD
	v_lshrrev_b32_sdwa v7, v7, v6 dst_sel:BYTE_1 dst_unused:UNUSED_PAD src0_sel:DWORD src1_sel:DWORD
	;; [unrolled: 1-line block ×3, first 2 shown]
	v_lshlrev_b16 v21, 8, v21
	v_and_b32_sdwa v22, v4, v22 dst_sel:DWORD dst_unused:UNUSED_PAD src0_sel:WORD_1 src1_sel:DWORD
	v_or_b32_sdwa v6, v6, v23 dst_sel:DWORD dst_unused:UNUSED_PAD src0_sel:BYTE_0 src1_sel:DWORD
	v_or_b32_sdwa v7, v8, v7 dst_sel:WORD_1 dst_unused:UNUSED_PAD src0_sel:DWORD src1_sel:DWORD
	v_or_b32_sdwa v4, v4, v5 dst_sel:DWORD dst_unused:UNUSED_PAD src0_sel:BYTE_0 src1_sel:DWORD
	v_or_b32_sdwa v8, v22, v21 dst_sel:WORD_1 dst_unused:UNUSED_PAD src0_sel:DWORD src1_sel:DWORD
	v_or_b32_sdwa v5, v6, v7 dst_sel:DWORD dst_unused:UNUSED_PAD src0_sel:WORD_0 src1_sel:DWORD
	v_or_b32_sdwa v31, v4, v8 dst_sel:DWORD dst_unused:UNUSED_PAD src0_sel:WORD_0 src1_sel:DWORD
.LBB950_73:
	s_or_b32 exec_lo, exec_lo, s1
	v_add_nc_u32_e32 v4, 7, v29
                                        ; implicit-def: $vgpr32
	v_cmp_le_u32_e32 vcc_lo, s7, v4
                                        ; implicit-def: $vgpr4
	s_and_saveexec_b32 s0, vcc_lo
	s_xor_b32 s0, exec_lo, s0
	s_cbranch_execz .LBB950_75
; %bb.74:
	v_mov_b32_e32 v4, 24
	v_mov_b32_e32 v6, 0xff
	;; [unrolled: 1-line block ×3, first 2 shown]
	v_lshrrev_b32_sdwa v4, v4, v3 dst_sel:BYTE_1 dst_unused:UNUSED_PAD src0_sel:DWORD src1_sel:DWORD
	v_and_b32_sdwa v6, v3, v6 dst_sel:DWORD dst_unused:UNUSED_PAD src0_sel:WORD_1 src1_sel:DWORD
	v_lshrrev_b32_sdwa v3, v7, v3 dst_sel:BYTE_1 dst_unused:UNUSED_PAD src0_sel:DWORD src1_sel:DWORD
	v_and_b32_e32 v7, 0xff0000, v5
	v_or_b32_sdwa v4, v6, v4 dst_sel:WORD_1 dst_unused:UNUSED_PAD src0_sel:DWORD src1_sel:DWORD
	v_perm_b32 v32, v5, v7, 0x3020504
                                        ; implicit-def: $vgpr5
	v_or_b32_sdwa v4, v3, v4 dst_sel:DWORD dst_unused:UNUSED_PAD src0_sel:WORD_0 src1_sel:DWORD
                                        ; implicit-def: $vgpr3
.LBB950_75:
	s_andn2_saveexec_b32 s1, s0
	s_cbranch_execz .LBB950_79
; %bb.76:
	v_add_nc_u32_e32 v4, s17, v14
	v_add_nc_u32_e32 v6, s19, v14
	s_mov_b32 s2, 0
	s_mov_b32 s3, exec_lo
	v_mul_lo_u32 v4, v4, s16
	v_mul_lo_u32 v6, v6, s18
	v_sub_nc_u32_e32 v4, v4, v6
	v_cmp_lt_u32_e32 vcc_lo, s20, v4
	v_cmpx_ge_u32_e64 s20, v4
	s_cbranch_execz .LBB950_78
; %bb.77:
	v_add_nc_u32_e32 v4, s22, v14
	v_add_nc_u32_e32 v6, s40, v14
	v_mul_lo_u32 v4, v4, s21
	v_mul_lo_u32 v6, v6, s23
	v_sub_nc_u32_e32 v4, v4, v6
	v_cmp_lt_u32_e64 s0, s41, v4
	s_and_b32 s2, s0, exec_lo
.LBB950_78:
	s_or_b32 exec_lo, exec_lo, s3
	v_mov_b32_e32 v4, 8
	v_cndmask_b32_e64 v6, 0, 1, vcc_lo
	v_mov_b32_e32 v7, 0xff
	v_mov_b32_e32 v8, 24
	v_cndmask_b32_e64 v21, 0, 1, s2
	v_lshrrev_b32_sdwa v22, v4, v5 dst_sel:BYTE_1 dst_unused:UNUSED_PAD src0_sel:DWORD src1_sel:DWORD
	v_lshlrev_b16 v6, 8, v6
	v_and_b32_sdwa v23, v5, v7 dst_sel:DWORD dst_unused:UNUSED_PAD src0_sel:WORD_1 src1_sel:DWORD
	v_lshrrev_b32_sdwa v8, v8, v3 dst_sel:BYTE_1 dst_unused:UNUSED_PAD src0_sel:DWORD src1_sel:DWORD
	v_and_b32_sdwa v7, v3, v7 dst_sel:DWORD dst_unused:UNUSED_PAD src0_sel:WORD_1 src1_sel:DWORD
	v_lshrrev_b32_sdwa v3, v4, v3 dst_sel:BYTE_1 dst_unused:UNUSED_PAD src0_sel:DWORD src1_sel:DWORD
	v_or_b32_sdwa v4, v5, v22 dst_sel:DWORD dst_unused:UNUSED_PAD src0_sel:BYTE_0 src1_sel:DWORD
	v_or_b32_sdwa v5, v23, v6 dst_sel:WORD_1 dst_unused:UNUSED_PAD src0_sel:DWORD src1_sel:DWORD
	v_or_b32_sdwa v6, v7, v8 dst_sel:WORD_1 dst_unused:UNUSED_PAD src0_sel:DWORD src1_sel:DWORD
	v_or_b32_e32 v3, v21, v3
	v_or_b32_sdwa v32, v4, v5 dst_sel:DWORD dst_unused:UNUSED_PAD src0_sel:WORD_0 src1_sel:DWORD
	v_or_b32_sdwa v4, v3, v6 dst_sel:DWORD dst_unused:UNUSED_PAD src0_sel:WORD_0 src1_sel:DWORD
.LBB950_79:
	s_or_b32 exec_lo, exec_lo, s1
	v_add_nc_u32_e32 v3, 8, v29
                                        ; implicit-def: $vgpr5
	v_cmp_le_u32_e32 vcc_lo, s7, v3
                                        ; implicit-def: $vgpr3
	s_and_saveexec_b32 s0, vcc_lo
	s_xor_b32 s0, exec_lo, s0
	s_cbranch_execz .LBB950_81
; %bb.80:
	v_mov_b32_e32 v3, 24
	v_mov_b32_e32 v5, 0xff
	;; [unrolled: 1-line block ×3, first 2 shown]
	v_perm_b32 v1, v1, v1, 0x3060504
	v_lshrrev_b32_sdwa v7, v3, v4 dst_sel:BYTE_1 dst_unused:UNUSED_PAD src0_sel:DWORD src1_sel:DWORD
	v_lshrrev_b32_sdwa v3, v3, v2 dst_sel:BYTE_1 dst_unused:UNUSED_PAD src0_sel:DWORD src1_sel:DWORD
	v_and_b32_sdwa v8, v2, v5 dst_sel:DWORD dst_unused:UNUSED_PAD src0_sel:WORD_1 src1_sel:DWORD
	v_and_b32_sdwa v5, v4, v5 dst_sel:DWORD dst_unused:UNUSED_PAD src0_sel:WORD_1 src1_sel:DWORD
	v_lshrrev_b32_sdwa v2, v6, v2 dst_sel:BYTE_1 dst_unused:UNUSED_PAD src0_sel:DWORD src1_sel:DWORD
	v_or_b32_sdwa v3, v8, v3 dst_sel:WORD_1 dst_unused:UNUSED_PAD src0_sel:DWORD src1_sel:DWORD
	v_or_b32_e32 v5, v5, v7
	v_or_b32_sdwa v3, v2, v3 dst_sel:DWORD dst_unused:UNUSED_PAD src0_sel:WORD_0 src1_sel:DWORD
	v_perm_b32 v5, v5, v4, 0x5040c00
                                        ; implicit-def: $vgpr2
                                        ; implicit-def: $vgpr4
.LBB950_81:
	s_andn2_saveexec_b32 s1, s0
	s_cbranch_execz .LBB950_85
; %bb.82:
	v_add_nc_u32_e32 v3, s17, v11
	v_add_nc_u32_e32 v5, s19, v11
	s_mov_b32 s2, 0
	s_mov_b32 s3, exec_lo
	v_mul_lo_u32 v3, v3, s16
	v_mul_lo_u32 v5, v5, s18
	v_sub_nc_u32_e32 v3, v3, v5
	v_cmp_lt_u32_e32 vcc_lo, s20, v3
	v_cmpx_ge_u32_e64 s20, v3
	s_cbranch_execz .LBB950_84
; %bb.83:
	v_add_nc_u32_e32 v3, s22, v11
	v_add_nc_u32_e32 v5, s40, v11
	v_mul_lo_u32 v3, v3, s21
	v_mul_lo_u32 v5, v5, s23
	v_sub_nc_u32_e32 v3, v3, v5
	v_cmp_lt_u32_e64 s0, s41, v3
	s_and_b32 s2, s0, exec_lo
.LBB950_84:
	s_or_b32 exec_lo, exec_lo, s3
	v_mov_b32_e32 v3, 24
	v_mov_b32_e32 v5, 0xff
	;; [unrolled: 1-line block ×3, first 2 shown]
	v_cndmask_b32_e64 v7, 0, 1, s2
	v_cndmask_b32_e64 v8, 0, 1, vcc_lo
	v_lshrrev_b32_sdwa v21, v3, v2 dst_sel:BYTE_1 dst_unused:UNUSED_PAD src0_sel:DWORD src1_sel:DWORD
	v_and_b32_sdwa v22, v2, v5 dst_sel:DWORD dst_unused:UNUSED_PAD src0_sel:WORD_1 src1_sel:DWORD
	v_lshrrev_b32_sdwa v2, v6, v2 dst_sel:BYTE_1 dst_unused:UNUSED_PAD src0_sel:DWORD src1_sel:DWORD
	v_lshlrev_b16 v6, 8, v7
	v_lshrrev_b32_sdwa v3, v3, v4 dst_sel:BYTE_1 dst_unused:UNUSED_PAD src0_sel:DWORD src1_sel:DWORD
	v_and_b32_sdwa v5, v4, v5 dst_sel:DWORD dst_unused:UNUSED_PAD src0_sel:WORD_1 src1_sel:DWORD
	v_or_b32_sdwa v7, v22, v21 dst_sel:WORD_1 dst_unused:UNUSED_PAD src0_sel:DWORD src1_sel:DWORD
	v_or_b32_e32 v2, v8, v2
	v_or_b32_sdwa v4, v4, v6 dst_sel:DWORD dst_unused:UNUSED_PAD src0_sel:BYTE_0 src1_sel:DWORD
	v_or_b32_sdwa v5, v5, v3 dst_sel:WORD_1 dst_unused:UNUSED_PAD src0_sel:DWORD src1_sel:DWORD
	v_or_b32_sdwa v3, v2, v7 dst_sel:DWORD dst_unused:UNUSED_PAD src0_sel:WORD_0 src1_sel:DWORD
	v_or_b32_sdwa v5, v4, v5 dst_sel:DWORD dst_unused:UNUSED_PAD src0_sel:WORD_0 src1_sel:DWORD
.LBB950_85:
	s_or_b32 exec_lo, exec_lo, s1
	v_add_nc_u32_e32 v2, 9, v29
                                        ; implicit-def: $vgpr4
	v_cmp_le_u32_e32 vcc_lo, s7, v2
                                        ; implicit-def: $vgpr2
	s_and_saveexec_b32 s0, vcc_lo
	s_xor_b32 s0, exec_lo, s0
	s_cbranch_execz .LBB950_87
; %bb.86:
	v_lshrrev_b32_e32 v2, 24, v5
	v_mov_b32_e32 v4, 8
	v_mov_b32_e32 v6, 0xff
	v_perm_b32 v1, v1, v1, 0x3060504
	v_perm_b32 v2, v2, v5, 0x40c0100
	v_mov_b32_e32 v5, 24
	v_and_b32_sdwa v6, v3, v6 dst_sel:DWORD dst_unused:UNUSED_PAD src0_sel:WORD_1 src1_sel:DWORD
	v_lshrrev_b32_sdwa v4, v4, v2 dst_sel:BYTE_1 dst_unused:UNUSED_PAD src0_sel:DWORD src1_sel:DWORD
	v_lshrrev_b32_sdwa v5, v5, v3 dst_sel:BYTE_1 dst_unused:UNUSED_PAD src0_sel:DWORD src1_sel:DWORD
	v_or_b32_sdwa v4, v2, v4 dst_sel:DWORD dst_unused:UNUSED_PAD src0_sel:BYTE_0 src1_sel:DWORD
	v_or_b32_e32 v5, v6, v5
	v_and_b32_e32 v6, 0xffff, v4
	v_perm_b32 v4, v5, v3, 0x5040c00
                                        ; implicit-def: $vgpr3
                                        ; implicit-def: $vgpr5
	v_and_or_b32 v2, 0xff000000, v2, v6
.LBB950_87:
	s_andn2_saveexec_b32 s1, s0
	s_cbranch_execz .LBB950_91
; %bb.88:
	v_add_nc_u32_e32 v2, s17, v12
	v_add_nc_u32_e32 v4, s19, v12
	s_mov_b32 s2, 0
	s_mov_b32 s3, exec_lo
	v_mul_lo_u32 v2, v2, s16
	v_mul_lo_u32 v4, v4, s18
	v_sub_nc_u32_e32 v2, v2, v4
	v_cmp_lt_u32_e32 vcc_lo, s20, v2
	v_cmpx_ge_u32_e64 s20, v2
	s_cbranch_execz .LBB950_90
; %bb.89:
	v_add_nc_u32_e32 v2, s22, v12
	v_add_nc_u32_e32 v4, s40, v12
	v_mul_lo_u32 v2, v2, s21
	v_mul_lo_u32 v4, v4, s23
	v_sub_nc_u32_e32 v2, v2, v4
	v_cmp_lt_u32_e64 s0, s41, v2
	s_and_b32 s2, s0, exec_lo
.LBB950_90:
	s_or_b32 exec_lo, exec_lo, s3
	v_cndmask_b32_e64 v2, 0, 1, vcc_lo
	v_mov_b32_e32 v4, 24
	v_mov_b32_e32 v6, 0xff
	;; [unrolled: 1-line block ×3, first 2 shown]
	v_cndmask_b32_e64 v8, 0, 1, s2
	v_lshlrev_b16 v2, 8, v2
	v_lshrrev_b32_sdwa v21, v4, v3 dst_sel:BYTE_1 dst_unused:UNUSED_PAD src0_sel:DWORD src1_sel:DWORD
	v_and_b32_sdwa v6, v3, v6 dst_sel:DWORD dst_unused:UNUSED_PAD src0_sel:WORD_1 src1_sel:DWORD
	v_lshrrev_b32_sdwa v7, v7, v5 dst_sel:BYTE_1 dst_unused:UNUSED_PAD src0_sel:DWORD src1_sel:DWORD
	v_lshrrev_b32_sdwa v4, v4, v5 dst_sel:BYTE_1 dst_unused:UNUSED_PAD src0_sel:DWORD src1_sel:DWORD
	v_or_b32_sdwa v2, v3, v2 dst_sel:DWORD dst_unused:UNUSED_PAD src0_sel:BYTE_0 src1_sel:DWORD
	v_or_b32_sdwa v3, v6, v21 dst_sel:WORD_1 dst_unused:UNUSED_PAD src0_sel:DWORD src1_sel:DWORD
	v_or_b32_sdwa v5, v5, v7 dst_sel:DWORD dst_unused:UNUSED_PAD src0_sel:BYTE_0 src1_sel:DWORD
	v_or_b32_sdwa v6, v8, v4 dst_sel:WORD_1 dst_unused:UNUSED_PAD src0_sel:DWORD src1_sel:DWORD
	v_or_b32_sdwa v4, v2, v3 dst_sel:DWORD dst_unused:UNUSED_PAD src0_sel:WORD_0 src1_sel:DWORD
	v_or_b32_sdwa v2, v5, v6 dst_sel:DWORD dst_unused:UNUSED_PAD src0_sel:WORD_0 src1_sel:DWORD
.LBB950_91:
	s_or_b32 exec_lo, exec_lo, s1
	v_add_nc_u32_e32 v3, 10, v29
                                        ; implicit-def: $vgpr33
	v_cmp_le_u32_e32 vcc_lo, s7, v3
                                        ; implicit-def: $vgpr3
	s_and_saveexec_b32 s0, vcc_lo
	s_xor_b32 s0, exec_lo, s0
	s_cbranch_execz .LBB950_93
; %bb.92:
	v_lshrrev_b32_e32 v3, 24, v4
	v_mov_b32_e32 v5, 8
	v_perm_b32 v1, v1, v1, 0x3060504
	v_perm_b32 v3, v3, v4, 0x40c0100
	v_lshrrev_b32_sdwa v4, v5, v3 dst_sel:BYTE_1 dst_unused:UNUSED_PAD src0_sel:DWORD src1_sel:DWORD
	v_and_b32_e32 v5, 0xff0000, v2
	v_or_b32_sdwa v4, v3, v4 dst_sel:DWORD dst_unused:UNUSED_PAD src0_sel:BYTE_0 src1_sel:DWORD
	v_perm_b32 v33, v2, v5, 0x3020504
                                        ; implicit-def: $vgpr2
	v_and_b32_e32 v4, 0xffff, v4
	v_and_or_b32 v3, 0xff000000, v3, v4
                                        ; implicit-def: $vgpr4
.LBB950_93:
	s_andn2_saveexec_b32 s1, s0
	s_cbranch_execz .LBB950_97
; %bb.94:
	v_add_nc_u32_e32 v3, s17, v9
	v_add_nc_u32_e32 v5, s19, v9
	s_mov_b32 s2, 0
	s_mov_b32 s3, exec_lo
	v_mul_lo_u32 v3, v3, s16
	v_mul_lo_u32 v5, v5, s18
	v_sub_nc_u32_e32 v3, v3, v5
	v_cmp_lt_u32_e32 vcc_lo, s20, v3
	v_cmpx_ge_u32_e64 s20, v3
	s_cbranch_execz .LBB950_96
; %bb.95:
	v_add_nc_u32_e32 v3, s22, v9
	v_add_nc_u32_e32 v5, s40, v9
	v_mul_lo_u32 v3, v3, s21
	v_mul_lo_u32 v5, v5, s23
	v_sub_nc_u32_e32 v3, v3, v5
	v_cmp_lt_u32_e64 s0, s41, v3
	s_and_b32 s2, s0, exec_lo
.LBB950_96:
	s_or_b32 exec_lo, exec_lo, s3
	v_mov_b32_e32 v3, 8
	v_mov_b32_e32 v5, 24
	v_cndmask_b32_e64 v7, 0, 1, s2
	v_mov_b32_e32 v8, 0xff
	v_cndmask_b32_e64 v6, 0, 1, vcc_lo
	v_lshrrev_b32_sdwa v21, v3, v4 dst_sel:BYTE_1 dst_unused:UNUSED_PAD src0_sel:DWORD src1_sel:DWORD
	v_lshrrev_b32_sdwa v5, v5, v4 dst_sel:BYTE_1 dst_unused:UNUSED_PAD src0_sel:DWORD src1_sel:DWORD
	;; [unrolled: 1-line block ×3, first 2 shown]
	v_lshlrev_b16 v7, 8, v7
	v_and_b32_sdwa v8, v2, v8 dst_sel:DWORD dst_unused:UNUSED_PAD src0_sel:WORD_1 src1_sel:DWORD
	v_or_b32_sdwa v4, v4, v21 dst_sel:DWORD dst_unused:UNUSED_PAD src0_sel:BYTE_0 src1_sel:DWORD
	v_or_b32_sdwa v5, v6, v5 dst_sel:WORD_1 dst_unused:UNUSED_PAD src0_sel:DWORD src1_sel:DWORD
	v_or_b32_sdwa v2, v2, v3 dst_sel:DWORD dst_unused:UNUSED_PAD src0_sel:BYTE_0 src1_sel:DWORD
	v_or_b32_sdwa v6, v8, v7 dst_sel:WORD_1 dst_unused:UNUSED_PAD src0_sel:DWORD src1_sel:DWORD
	v_or_b32_sdwa v3, v4, v5 dst_sel:DWORD dst_unused:UNUSED_PAD src0_sel:WORD_0 src1_sel:DWORD
	v_or_b32_sdwa v33, v2, v6 dst_sel:DWORD dst_unused:UNUSED_PAD src0_sel:WORD_0 src1_sel:DWORD
.LBB950_97:
	s_or_b32 exec_lo, exec_lo, s1
	v_add_nc_u32_e32 v2, 11, v29
	v_mov_b32_e32 v34, 0
	s_mov_b32 s0, exec_lo
                                        ; implicit-def: $vgpr35
	v_cmpx_le_u32_e64 s7, v2
	s_xor_b32 s0, exec_lo, s0
; %bb.98:
	v_and_b32_e32 v2, 0xff0000, v3
	v_perm_b32 v1, v1, v1, 0x3060504
	v_perm_b32 v35, v3, v2, 0x3020504
                                        ; implicit-def: $vgpr3
; %bb.99:
	s_andn2_saveexec_b32 s1, s0
	s_cbranch_execz .LBB950_103
; %bb.100:
	v_add_nc_u32_e32 v2, s17, v10
	v_add_nc_u32_e32 v4, s19, v10
	s_mov_b32 s2, 0
	s_mov_b32 s3, exec_lo
	v_mul_lo_u32 v2, v2, s16
	v_mul_lo_u32 v4, v4, s18
	v_sub_nc_u32_e32 v2, v2, v4
	v_cmp_lt_u32_e32 vcc_lo, s20, v2
	v_cmpx_ge_u32_e64 s20, v2
	s_cbranch_execz .LBB950_102
; %bb.101:
	v_add_nc_u32_e32 v2, s22, v10
	v_add_nc_u32_e32 v4, s40, v10
	v_mul_lo_u32 v2, v2, s21
	v_mul_lo_u32 v4, v4, s23
	v_sub_nc_u32_e32 v2, v2, v4
	v_cmp_lt_u32_e64 s0, s41, v2
	s_and_b32 s2, s0, exec_lo
.LBB950_102:
	s_or_b32 exec_lo, exec_lo, s3
	v_mov_b32_e32 v2, 8
	v_cndmask_b32_e64 v4, 0, 1, vcc_lo
	v_mov_b32_e32 v5, 0xff
	v_cndmask_b32_e64 v34, 0, 1, s2
	v_lshrrev_b32_sdwa v2, v2, v3 dst_sel:BYTE_1 dst_unused:UNUSED_PAD src0_sel:DWORD src1_sel:DWORD
	v_lshlrev_b16 v4, 8, v4
	v_and_b32_sdwa v5, v3, v5 dst_sel:DWORD dst_unused:UNUSED_PAD src0_sel:WORD_1 src1_sel:DWORD
	v_or_b32_sdwa v2, v3, v2 dst_sel:DWORD dst_unused:UNUSED_PAD src0_sel:BYTE_0 src1_sel:DWORD
	v_or_b32_sdwa v3, v5, v4 dst_sel:WORD_1 dst_unused:UNUSED_PAD src0_sel:DWORD src1_sel:DWORD
	v_or_b32_sdwa v35, v2, v3 dst_sel:DWORD dst_unused:UNUSED_PAD src0_sel:WORD_0 src1_sel:DWORD
.LBB950_103:
	s_or_b32 exec_lo, exec_lo, s1
	v_add_nc_u32_e32 v2, 12, v29
	s_mov_b32 s0, exec_lo
                                        ; implicit-def: $vgpr36
	v_cmpx_le_u32_e64 s7, v2
	s_xor_b32 s0, exec_lo, s0
	s_cbranch_execz .LBB950_105
; %bb.104:
	v_mov_b32_e32 v2, 24
	v_mov_b32_e32 v3, 0xff
	;; [unrolled: 1-line block ×3, first 2 shown]
	v_lshrrev_b32_sdwa v2, v2, v1 dst_sel:BYTE_1 dst_unused:UNUSED_PAD src0_sel:DWORD src1_sel:DWORD
	v_and_b32_sdwa v3, v1, v3 dst_sel:DWORD dst_unused:UNUSED_PAD src0_sel:WORD_1 src1_sel:DWORD
	v_lshrrev_b32_sdwa v1, v4, v1 dst_sel:BYTE_1 dst_unused:UNUSED_PAD src0_sel:DWORD src1_sel:DWORD
	v_or_b32_sdwa v2, v3, v2 dst_sel:WORD_1 dst_unused:UNUSED_PAD src0_sel:DWORD src1_sel:DWORD
	v_or_b32_sdwa v36, v1, v2 dst_sel:DWORD dst_unused:UNUSED_PAD src0_sel:WORD_0 src1_sel:DWORD
                                        ; implicit-def: $vgpr1
.LBB950_105:
	s_or_saveexec_b32 s1, s0
	v_mov_b32_e32 v37, 0
	s_xor_b32 exec_lo, exec_lo, s1
	s_cbranch_execz .LBB950_109
; %bb.106:
	v_add_nc_u32_e32 v2, s17, v28
	v_add_nc_u32_e32 v3, s19, v28
	s_mov_b32 s2, 0
	s_mov_b32 s3, exec_lo
	v_mul_lo_u32 v2, v2, s16
	v_mul_lo_u32 v3, v3, s18
	v_sub_nc_u32_e32 v2, v2, v3
	v_cmp_lt_u32_e32 vcc_lo, s20, v2
	v_cmpx_ge_u32_e64 s20, v2
	s_cbranch_execz .LBB950_108
; %bb.107:
	v_add_nc_u32_e32 v2, s22, v28
	v_add_nc_u32_e32 v3, s40, v28
	v_mul_lo_u32 v2, v2, s21
	v_mul_lo_u32 v3, v3, s23
	v_sub_nc_u32_e32 v2, v2, v3
	v_cmp_lt_u32_e64 s0, s41, v2
	s_and_b32 s2, s0, exec_lo
.LBB950_108:
	s_or_b32 exec_lo, exec_lo, s3
	v_mov_b32_e32 v2, 24
	v_mov_b32_e32 v3, 0xff
	;; [unrolled: 1-line block ×3, first 2 shown]
	v_cndmask_b32_e64 v5, 0, 1, vcc_lo
	v_cndmask_b32_e64 v37, 0, 1, s2
	v_lshrrev_b32_sdwa v2, v2, v1 dst_sel:BYTE_1 dst_unused:UNUSED_PAD src0_sel:DWORD src1_sel:DWORD
	v_and_b32_sdwa v3, v1, v3 dst_sel:DWORD dst_unused:UNUSED_PAD src0_sel:WORD_1 src1_sel:DWORD
	v_lshrrev_b32_sdwa v1, v4, v1 dst_sel:BYTE_1 dst_unused:UNUSED_PAD src0_sel:DWORD src1_sel:DWORD
	v_or_b32_sdwa v2, v3, v2 dst_sel:WORD_1 dst_unused:UNUSED_PAD src0_sel:DWORD src1_sel:DWORD
	v_or_b32_e32 v1, v5, v1
	v_or_b32_sdwa v36, v1, v2 dst_sel:DWORD dst_unused:UNUSED_PAD src0_sel:WORD_0 src1_sel:DWORD
.LBB950_109:
	s_or_b32 exec_lo, exec_lo, s1
.LBB950_110:
	v_and_b32_e32 v60, 0xff, v30
	v_bfe_u32 v61, v36, 8, 8
	v_bfe_u32 v57, v30, 8, 8
	;; [unrolled: 1-line block ×4, first 2 shown]
	v_lshrrev_b32_e32 v43, 24, v36
	v_lshrrev_b32_e32 v42, 24, v30
	v_and_b32_e32 v56, 0xff, v31
	v_and_b32_e32 v54, 0xff, v32
	v_bfe_u32 v55, v31, 8, 8
	v_add3_u32 v1, v57, v60, v59
	v_add3_u32 v2, v58, v61, v43
	v_bfe_u32 v52, v32, 8, 8
	v_bfe_u32 v53, v31, 16, 8
	;; [unrolled: 1-line block ×3, first 2 shown]
	v_lshrrev_b32_e32 v41, 24, v31
	v_add3_u32 v1, v1, v42, v54
	v_add3_u32 v2, v2, v56, v55
	v_lshrrev_b32_e32 v40, 24, v32
	v_and_b32_e32 v51, 0xff, v33
	v_and_b32_e32 v49, 0xff, v35
	v_bfe_u32 v50, v33, 8, 8
	v_add3_u32 v1, v1, v52, v46
	v_add3_u32 v2, v2, v53, v41
	v_bfe_u32 v47, v35, 8, 8
	v_bfe_u32 v48, v33, 16, 8
	v_bfe_u32 v45, v35, 16, 8
	v_lshrrev_b32_e32 v39, 24, v33
	v_add3_u32 v1, v1, v40, v49
	v_add3_u32 v2, v2, v51, v50
	v_mbcnt_lo_u32_b32 v62, -1, 0
	v_lshrrev_b32_e32 v38, 24, v35
	v_and_b32_e32 v44, 0xff, v34
	v_and_b32_e32 v3, 0xff, v36
	;; [unrolled: 1-line block ×3, first 2 shown]
	v_add3_u32 v1, v1, v47, v45
	v_add3_u32 v2, v2, v48, v39
	v_and_b32_e32 v64, 15, v62
	v_and_b32_e32 v66, 16, v62
	v_lshrrev_b32_e32 v63, 5, v0
	v_add3_u32 v67, v1, v38, v3
	v_add3_u32 v68, v2, v44, v4
	v_cmp_eq_u32_e64 s1, 0, v64
	v_cmp_lt_u32_e64 s0, 1, v64
	v_cmp_lt_u32_e64 s2, 3, v64
	v_or_b32_e32 v65, 31, v0
	s_cmp_lg_u32 s6, 0
	s_mov_b32 s3, -1
	v_cmp_lt_u32_e32 vcc_lo, 7, v64
	s_cbranch_scc0 .LBB950_132
; %bb.111:
	v_mov_b32_dpp v1, v68 row_shr:1 row_mask:0xf bank_mask:0xf
	v_mov_b32_dpp v2, v67 row_shr:1 row_mask:0xf bank_mask:0xf
	s_mov_b32 s3, exec_lo
	v_add_nc_u32_e32 v1, v1, v68
	v_add_nc_u32_e32 v2, v2, v67
	v_cndmask_b32_e64 v1, v1, v68, s1
	v_cndmask_b32_e64 v2, v2, v67, s1
	v_mov_b32_dpp v3, v1 row_shr:2 row_mask:0xf bank_mask:0xf
	v_mov_b32_dpp v4, v2 row_shr:2 row_mask:0xf bank_mask:0xf
	v_add_nc_u32_e32 v3, v1, v3
	v_add_nc_u32_e32 v4, v2, v4
	v_cndmask_b32_e64 v1, v1, v3, s0
	v_cndmask_b32_e64 v2, v2, v4, s0
	v_mov_b32_dpp v3, v1 row_shr:4 row_mask:0xf bank_mask:0xf
	v_mov_b32_dpp v4, v2 row_shr:4 row_mask:0xf bank_mask:0xf
	;; [unrolled: 6-line block ×3, first 2 shown]
	v_add_nc_u32_e32 v3, v1, v3
	v_add_nc_u32_e32 v4, v2, v4
	v_cndmask_b32_e32 v1, v1, v3, vcc_lo
	v_cndmask_b32_e32 v2, v2, v4, vcc_lo
	v_cmp_eq_u32_e32 vcc_lo, 0, v66
	ds_swizzle_b32 v3, v1 offset:swizzle(BROADCAST,32,15)
	ds_swizzle_b32 v4, v2 offset:swizzle(BROADCAST,32,15)
	s_waitcnt lgkmcnt(0)
	v_add_nc_u32_e32 v3, v1, v3
	v_add_nc_u32_e32 v4, v2, v4
	v_cmpx_eq_u32_e64 v0, v65
	s_cbranch_execz .LBB950_113
; %bb.112:
	v_lshlrev_b32_e32 v7, 3, v63
	v_cndmask_b32_e32 v6, v3, v1, vcc_lo
	v_cndmask_b32_e32 v5, v4, v2, vcc_lo
	ds_write_b64 v7, v[5:6]
.LBB950_113:
	s_or_b32 exec_lo, exec_lo, s3
	s_mov_b32 s3, exec_lo
	s_waitcnt lgkmcnt(0)
	s_barrier
	buffer_gl0_inv
	v_cmpx_gt_u32_e32 8, v0
	s_cbranch_execz .LBB950_115
; %bb.114:
	v_lshlrev_b32_e32 v7, 3, v0
	v_and_b32_e32 v22, 7, v62
	ds_read_b64 v[5:6], v7
	v_cmp_eq_u32_e64 s2, 0, v22
	s_waitcnt lgkmcnt(0)
	v_mov_b32_dpp v8, v5 row_shr:1 row_mask:0xf bank_mask:0xf
	v_mov_b32_dpp v21, v6 row_shr:1 row_mask:0xf bank_mask:0xf
	v_add_nc_u32_e32 v8, v8, v5
	v_add_nc_u32_e32 v21, v21, v6
	v_cndmask_b32_e64 v5, v8, v5, s2
	v_cndmask_b32_e64 v6, v21, v6, s2
	v_cmp_lt_u32_e64 s2, 1, v22
	v_mov_b32_dpp v8, v5 row_shr:2 row_mask:0xf bank_mask:0xf
	v_mov_b32_dpp v21, v6 row_shr:2 row_mask:0xf bank_mask:0xf
	v_add_nc_u32_e32 v8, v5, v8
	v_add_nc_u32_e32 v21, v6, v21
	v_cndmask_b32_e64 v5, v5, v8, s2
	v_cndmask_b32_e64 v6, v6, v21, s2
	v_cmp_lt_u32_e64 s2, 3, v22
	v_mov_b32_dpp v8, v5 row_shr:4 row_mask:0xf bank_mask:0xf
	v_mov_b32_dpp v21, v6 row_shr:4 row_mask:0xf bank_mask:0xf
	v_cndmask_b32_e64 v8, 0, v8, s2
	v_cndmask_b32_e64 v21, 0, v21, s2
	v_add_nc_u32_e32 v5, v8, v5
	v_add_nc_u32_e32 v6, v21, v6
	ds_write_b64 v7, v[5:6]
.LBB950_115:
	s_or_b32 exec_lo, exec_lo, s3
	v_cndmask_b32_e32 v1, v3, v1, vcc_lo
	v_cndmask_b32_e32 v2, v4, v2, vcc_lo
	s_mov_b32 s3, exec_lo
	v_cmp_gt_u32_e32 vcc_lo, 32, v0
	s_waitcnt lgkmcnt(0)
	s_barrier
	buffer_gl0_inv
                                        ; implicit-def: $vgpr21
	v_cmpx_lt_u32_e32 31, v0
	s_cbranch_execz .LBB950_117
; %bb.116:
	v_lshl_add_u32 v3, v63, 3, -8
	ds_read_b64 v[21:22], v3
	s_waitcnt lgkmcnt(0)
	v_add_nc_u32_e32 v1, v22, v1
	v_add_nc_u32_e32 v2, v21, v2
.LBB950_117:
	s_or_b32 exec_lo, exec_lo, s3
	v_sub_co_u32 v3, s2, v62, 1
	v_cmp_gt_i32_e64 s3, 0, v3
	v_cndmask_b32_e64 v3, v3, v62, s3
	v_lshlrev_b32_e32 v3, 2, v3
	ds_bpermute_b32 v69, v3, v2
	ds_bpermute_b32 v70, v3, v1
	s_and_saveexec_b32 s3, vcc_lo
	s_cbranch_execz .LBB950_137
; %bb.118:
	v_mov_b32_e32 v4, 0
	ds_read_b64 v[1:2], v4 offset:56
	s_and_saveexec_b32 s8, s2
	s_cbranch_execz .LBB950_120
; %bb.119:
	s_add_i32 s10, s6, 32
	s_mov_b32 s11, 0
	v_mov_b32_e32 v3, 1
	s_lshl_b64 s[10:11], s[10:11], 4
	s_add_u32 s10, s4, s10
	s_addc_u32 s11, s5, s11
	v_mov_b32_e32 v5, s10
	v_mov_b32_e32 v6, s11
	s_waitcnt lgkmcnt(0)
	;;#ASMSTART
	global_store_dwordx4 v[5:6], v[1:4] off	
s_waitcnt vmcnt(0)
	;;#ASMEND
.LBB950_120:
	s_or_b32 exec_lo, exec_lo, s8
	v_xad_u32 v23, v62, -1, s6
	s_mov_b32 s9, 0
	v_add_nc_u32_e32 v3, 32, v23
	v_lshlrev_b64 v[5:6], 4, v[3:4]
	v_add_co_u32 v24, vcc_lo, s4, v5
	v_add_co_ci_u32_e64 v25, null, s5, v6, vcc_lo
	;;#ASMSTART
	global_load_dwordx4 v[5:8], v[24:25] off glc dlc	
s_waitcnt vmcnt(0)
	;;#ASMEND
	v_cmp_eq_u16_sdwa s10, v7, v4 src0_sel:BYTE_0 src1_sel:DWORD
	s_and_saveexec_b32 s8, s10
	s_cbranch_execz .LBB950_124
; %bb.121:
	v_mov_b32_e32 v3, 0
.LBB950_122:                            ; =>This Inner Loop Header: Depth=1
	;;#ASMSTART
	global_load_dwordx4 v[5:8], v[24:25] off glc dlc	
s_waitcnt vmcnt(0)
	;;#ASMEND
	v_cmp_ne_u16_sdwa s10, v7, v3 src0_sel:BYTE_0 src1_sel:DWORD
	s_or_b32 s9, s10, s9
	s_andn2_b32 exec_lo, exec_lo, s9
	s_cbranch_execnz .LBB950_122
; %bb.123:
	s_or_b32 exec_lo, exec_lo, s9
.LBB950_124:
	s_or_b32 exec_lo, exec_lo, s8
	v_cmp_ne_u32_e32 vcc_lo, 31, v62
	v_mov_b32_e32 v72, 2
	v_lshlrev_b32_e64 v73, v62, -1
	v_add_nc_u32_e32 v75, 2, v62
	v_add_nc_u32_e32 v77, 4, v62
	v_add_co_ci_u32_e64 v3, null, 0, v62, vcc_lo
	v_cmp_eq_u16_sdwa s8, v7, v72 src0_sel:BYTE_0 src1_sel:DWORD
	v_cmp_gt_u32_e32 vcc_lo, 30, v62
	v_add_nc_u32_e32 v79, 8, v62
	v_lshlrev_b32_e32 v71, 2, v3
	v_lshl_or_b32 v80, v62, 2, 64
	v_and_b32_e32 v8, s8, v73
	v_cndmask_b32_e64 v24, 0, 2, vcc_lo
	v_add_nc_u32_e32 v81, 16, v62
	ds_bpermute_b32 v3, v71, v6
	ds_bpermute_b32 v4, v71, v5
	v_or_b32_e32 v8, 0x80000000, v8
	v_add_lshl_u32 v74, v24, v62, 2
	v_ffbl_b32_e32 v8, v8
	v_cmp_lt_u32_e32 vcc_lo, v62, v8
	s_waitcnt lgkmcnt(1)
	v_add_nc_u32_e32 v3, v3, v6
	s_waitcnt lgkmcnt(0)
	v_add_nc_u32_e32 v4, v4, v5
	v_cndmask_b32_e32 v3, v6, v3, vcc_lo
	v_cndmask_b32_e32 v4, v5, v4, vcc_lo
	v_cmp_gt_u32_e32 vcc_lo, 28, v62
	ds_bpermute_b32 v5, v74, v3
	ds_bpermute_b32 v6, v74, v4
	v_cndmask_b32_e64 v24, 0, 4, vcc_lo
	v_cmp_gt_u32_e32 vcc_lo, v75, v8
	v_add_lshl_u32 v76, v24, v62, 2
	s_waitcnt lgkmcnt(1)
	v_add_nc_u32_e32 v5, v3, v5
	s_waitcnt lgkmcnt(0)
	v_add_nc_u32_e32 v6, v4, v6
	v_cndmask_b32_e32 v3, v5, v3, vcc_lo
	v_cndmask_b32_e32 v4, v6, v4, vcc_lo
	v_cmp_gt_u32_e32 vcc_lo, 24, v62
	ds_bpermute_b32 v5, v76, v3
	ds_bpermute_b32 v6, v76, v4
	v_cndmask_b32_e64 v24, 0, 8, vcc_lo
	v_cmp_gt_u32_e32 vcc_lo, v77, v8
	v_add_lshl_u32 v78, v24, v62, 2
	v_mov_b32_e32 v24, 0
	s_waitcnt lgkmcnt(1)
	v_add_nc_u32_e32 v5, v3, v5
	s_waitcnt lgkmcnt(0)
	v_add_nc_u32_e32 v6, v4, v6
	v_cndmask_b32_e32 v3, v5, v3, vcc_lo
	v_cndmask_b32_e32 v4, v6, v4, vcc_lo
	v_cmp_gt_u32_e32 vcc_lo, v79, v8
	ds_bpermute_b32 v5, v78, v3
	ds_bpermute_b32 v6, v78, v4
	s_waitcnt lgkmcnt(1)
	v_add_nc_u32_e32 v5, v3, v5
	s_waitcnt lgkmcnt(0)
	v_add_nc_u32_e32 v6, v4, v6
	v_cndmask_b32_e32 v3, v5, v3, vcc_lo
	v_cndmask_b32_e32 v4, v6, v4, vcc_lo
	v_cmp_le_u32_e32 vcc_lo, v81, v8
	ds_bpermute_b32 v6, v80, v3
	ds_bpermute_b32 v5, v80, v4
	s_waitcnt lgkmcnt(1)
	v_cndmask_b32_e32 v6, 0, v6, vcc_lo
	s_waitcnt lgkmcnt(0)
	v_cndmask_b32_e32 v5, 0, v5, vcc_lo
	v_add_nc_u32_e32 v6, v6, v3
	v_add_nc_u32_e32 v5, v5, v4
	s_branch .LBB950_128
.LBB950_125:                            ;   in Loop: Header=BB950_128 Depth=1
	s_or_b32 exec_lo, exec_lo, s9
.LBB950_126:                            ;   in Loop: Header=BB950_128 Depth=1
	s_or_b32 exec_lo, exec_lo, s8
	ds_bpermute_b32 v8, v71, v5
	ds_bpermute_b32 v25, v71, v6
	v_cmp_eq_u16_sdwa s8, v7, v72 src0_sel:BYTE_0 src1_sel:DWORD
	v_subrev_nc_u32_e32 v23, 32, v23
	v_and_or_b32 v26, s8, v73, 0x80000000
	s_mov_b32 s8, 0
	v_ffbl_b32_e32 v26, v26
	v_cmp_lt_u32_e32 vcc_lo, v62, v26
	s_waitcnt lgkmcnt(1)
	v_add_nc_u32_e32 v8, v8, v5
	s_waitcnt lgkmcnt(0)
	v_add_nc_u32_e32 v25, v25, v6
	v_cndmask_b32_e32 v5, v5, v8, vcc_lo
	v_cndmask_b32_e32 v6, v6, v25, vcc_lo
	v_cmp_gt_u32_e32 vcc_lo, v75, v26
	ds_bpermute_b32 v8, v74, v5
	ds_bpermute_b32 v25, v74, v6
	s_waitcnt lgkmcnt(1)
	v_add_nc_u32_e32 v8, v5, v8
	s_waitcnt lgkmcnt(0)
	v_add_nc_u32_e32 v25, v6, v25
	v_cndmask_b32_e32 v5, v8, v5, vcc_lo
	v_cndmask_b32_e32 v6, v25, v6, vcc_lo
	v_cmp_gt_u32_e32 vcc_lo, v77, v26
	ds_bpermute_b32 v8, v76, v5
	ds_bpermute_b32 v25, v76, v6
	;; [unrolled: 9-line block ×3, first 2 shown]
	s_waitcnt lgkmcnt(1)
	v_add_nc_u32_e32 v8, v5, v8
	s_waitcnt lgkmcnt(0)
	v_add_nc_u32_e32 v25, v6, v25
	v_cndmask_b32_e32 v5, v8, v5, vcc_lo
	v_cndmask_b32_e32 v6, v25, v6, vcc_lo
	v_cmp_le_u32_e32 vcc_lo, v81, v26
	ds_bpermute_b32 v8, v80, v5
	ds_bpermute_b32 v25, v80, v6
	s_waitcnt lgkmcnt(1)
	v_cndmask_b32_e32 v8, 0, v8, vcc_lo
	s_waitcnt lgkmcnt(0)
	v_cndmask_b32_e32 v25, 0, v25, vcc_lo
	v_add3_u32 v5, v5, v3, v8
	v_add3_u32 v6, v6, v4, v25
.LBB950_127:                            ;   in Loop: Header=BB950_128 Depth=1
	s_and_b32 vcc_lo, exec_lo, s8
	s_cbranch_vccnz .LBB950_133
.LBB950_128:                            ; =>This Loop Header: Depth=1
                                        ;     Child Loop BB950_131 Depth 2
	v_cmp_ne_u16_sdwa s8, v7, v72 src0_sel:BYTE_0 src1_sel:DWORD
	v_mov_b32_e32 v3, v5
	v_mov_b32_e32 v4, v6
                                        ; implicit-def: $vgpr7
                                        ; implicit-def: $vgpr5_vgpr6
	s_cmp_lg_u32 s8, exec_lo
	s_mov_b32 s8, -1
	s_cbranch_scc1 .LBB950_127
; %bb.129:                              ;   in Loop: Header=BB950_128 Depth=1
	v_lshlrev_b64 v[5:6], 4, v[23:24]
	v_add_co_u32 v25, vcc_lo, s4, v5
	v_add_co_ci_u32_e64 v26, null, s5, v6, vcc_lo
	;;#ASMSTART
	global_load_dwordx4 v[5:8], v[25:26] off glc dlc	
s_waitcnt vmcnt(0)
	;;#ASMEND
	v_cmp_eq_u16_sdwa s9, v7, v24 src0_sel:BYTE_0 src1_sel:DWORD
	s_and_saveexec_b32 s8, s9
	s_cbranch_execz .LBB950_126
; %bb.130:                              ;   in Loop: Header=BB950_128 Depth=1
	s_mov_b32 s9, 0
.LBB950_131:                            ;   Parent Loop BB950_128 Depth=1
                                        ; =>  This Inner Loop Header: Depth=2
	;;#ASMSTART
	global_load_dwordx4 v[5:8], v[25:26] off glc dlc	
s_waitcnt vmcnt(0)
	;;#ASMEND
	v_cmp_ne_u16_sdwa s10, v7, v24 src0_sel:BYTE_0 src1_sel:DWORD
	s_or_b32 s9, s10, s9
	s_andn2_b32 exec_lo, exec_lo, s9
	s_cbranch_execnz .LBB950_131
	s_branch .LBB950_125
.LBB950_132:
                                        ; implicit-def: $vgpr23
                                        ; implicit-def: $vgpr3
                                        ; implicit-def: $vgpr24
	s_and_b32 vcc_lo, exec_lo, s3
	s_cbranch_vccnz .LBB950_138
	s_branch .LBB950_147
.LBB950_133:
	s_and_saveexec_b32 s8, s2
	s_cbranch_execnz .LBB950_375
; %bb.134:
	s_or_b32 exec_lo, exec_lo, s8
	s_and_saveexec_b32 s6, s2
	s_cbranch_execnz .LBB950_376
.LBB950_135:
	s_or_b32 exec_lo, exec_lo, s6
	v_cmp_eq_u32_e32 vcc_lo, 0, v0
	s_and_b32 exec_lo, exec_lo, vcc_lo
.LBB950_136:
	v_mov_b32_e32 v1, 0
	ds_write_b64 v1, v[3:4] offset:56
.LBB950_137:
	s_or_b32 exec_lo, exec_lo, s3
	v_mov_b32_e32 v1, 0
	s_waitcnt lgkmcnt(0)
	s_barrier
	buffer_gl0_inv
	v_cndmask_b32_e64 v7, v69, v21, s2
	ds_read_b64 v[5:6], v1 offset:56
	s_waitcnt lgkmcnt(0)
	s_barrier
	buffer_gl0_inv
	ds_read_b128 v[1:4], v1 offset:13312
	v_cndmask_b32_e64 v8, v70, v22, s2
	v_cmp_eq_u32_e32 vcc_lo, 0, v0
	v_add_nc_u32_e32 v7, v5, v7
	v_add_nc_u32_e32 v8, v6, v8
	v_cndmask_b32_e32 v24, v7, v5, vcc_lo
	v_cndmask_b32_e32 v23, v8, v6, vcc_lo
	s_branch .LBB950_147
.LBB950_138:
	s_waitcnt lgkmcnt(0)
	v_mov_b32_dpp v1, v67 row_shr:1 row_mask:0xf bank_mask:0xf
	v_mov_b32_dpp v2, v68 row_shr:1 row_mask:0xf bank_mask:0xf
	v_cmp_lt_u32_e32 vcc_lo, 3, v64
	v_add_nc_u32_e32 v1, v1, v67
	v_add_nc_u32_e32 v2, v2, v68
	v_cndmask_b32_e64 v1, v1, v67, s1
	v_cndmask_b32_e64 v2, v2, v68, s1
	s_mov_b32 s1, exec_lo
	v_mov_b32_dpp v3, v1 row_shr:2 row_mask:0xf bank_mask:0xf
	v_mov_b32_dpp v4, v2 row_shr:2 row_mask:0xf bank_mask:0xf
	v_add_nc_u32_e32 v3, v1, v3
	v_add_nc_u32_e32 v4, v2, v4
	v_cndmask_b32_e64 v1, v1, v3, s0
	v_cndmask_b32_e64 v2, v2, v4, s0
	v_mov_b32_dpp v3, v1 row_shr:4 row_mask:0xf bank_mask:0xf
	v_mov_b32_dpp v4, v2 row_shr:4 row_mask:0xf bank_mask:0xf
	v_add_nc_u32_e32 v3, v1, v3
	v_add_nc_u32_e32 v4, v2, v4
	v_cndmask_b32_e32 v3, v1, v3, vcc_lo
	v_cndmask_b32_e32 v2, v2, v4, vcc_lo
	v_cmp_lt_u32_e32 vcc_lo, 7, v64
	v_mov_b32_dpp v1, v3 row_shr:8 row_mask:0xf bank_mask:0xf
	v_mov_b32_dpp v4, v2 row_shr:8 row_mask:0xf bank_mask:0xf
	v_add_nc_u32_e32 v5, v3, v1
	v_add_nc_u32_e32 v1, v2, v4
	v_cndmask_b32_e32 v1, v2, v1, vcc_lo
	v_cndmask_b32_e32 v2, v3, v5, vcc_lo
	v_cmp_eq_u32_e32 vcc_lo, 0, v66
	ds_swizzle_b32 v3, v1 offset:swizzle(BROADCAST,32,15)
	ds_swizzle_b32 v4, v2 offset:swizzle(BROADCAST,32,15)
	s_waitcnt lgkmcnt(1)
	v_add_nc_u32_e32 v3, v1, v3
	s_waitcnt lgkmcnt(0)
	v_add_nc_u32_e32 v4, v2, v4
	v_cmpx_eq_u32_e64 v0, v65
	s_cbranch_execz .LBB950_140
; %bb.139:
	v_cndmask_b32_e32 v5, v4, v2, vcc_lo
	v_cndmask_b32_e32 v6, v3, v1, vcc_lo
	v_lshlrev_b32_e32 v7, 3, v63
	ds_write_b64 v7, v[5:6]
.LBB950_140:
	s_or_b32 exec_lo, exec_lo, s1
	s_mov_b32 s1, exec_lo
	s_waitcnt lgkmcnt(0)
	s_barrier
	buffer_gl0_inv
	v_cmpx_gt_u32_e32 8, v0
	s_cbranch_execz .LBB950_142
; %bb.141:
	v_lshlrev_b32_e32 v7, 3, v0
	v_and_b32_e32 v22, 7, v62
	ds_read_b64 v[5:6], v7
	v_cmp_eq_u32_e64 s0, 0, v22
	s_waitcnt lgkmcnt(0)
	v_mov_b32_dpp v8, v5 row_shr:1 row_mask:0xf bank_mask:0xf
	v_mov_b32_dpp v21, v6 row_shr:1 row_mask:0xf bank_mask:0xf
	v_add_nc_u32_e32 v8, v8, v5
	v_add_nc_u32_e32 v21, v21, v6
	v_cndmask_b32_e64 v5, v8, v5, s0
	v_cndmask_b32_e64 v6, v21, v6, s0
	v_cmp_lt_u32_e64 s0, 1, v22
	v_mov_b32_dpp v8, v5 row_shr:2 row_mask:0xf bank_mask:0xf
	v_mov_b32_dpp v21, v6 row_shr:2 row_mask:0xf bank_mask:0xf
	v_add_nc_u32_e32 v8, v5, v8
	v_add_nc_u32_e32 v21, v6, v21
	v_cndmask_b32_e64 v5, v5, v8, s0
	v_cndmask_b32_e64 v6, v6, v21, s0
	v_cmp_lt_u32_e64 s0, 3, v22
	v_mov_b32_dpp v8, v5 row_shr:4 row_mask:0xf bank_mask:0xf
	v_mov_b32_dpp v21, v6 row_shr:4 row_mask:0xf bank_mask:0xf
	v_cndmask_b32_e64 v8, 0, v8, s0
	v_cndmask_b32_e64 v21, 0, v21, s0
	v_add_nc_u32_e32 v5, v8, v5
	v_add_nc_u32_e32 v6, v21, v6
	ds_write_b64 v7, v[5:6]
.LBB950_142:
	s_or_b32 exec_lo, exec_lo, s1
	v_mov_b32_e32 v7, 0
	v_mov_b32_e32 v5, 0
	;; [unrolled: 1-line block ×3, first 2 shown]
	s_mov_b32 s1, exec_lo
	s_waitcnt lgkmcnt(0)
	s_barrier
	buffer_gl0_inv
	v_cmpx_lt_u32_e32 31, v0
; %bb.143:
	v_lshl_add_u32 v5, v63, 3, -8
	ds_read_b64 v[5:6], v5
; %bb.144:
	s_or_b32 exec_lo, exec_lo, s1
	v_sub_co_u32 v8, s0, v62, 1
	v_cndmask_b32_e32 v2, v4, v2, vcc_lo
	v_cndmask_b32_e32 v1, v3, v1, vcc_lo
	v_cmp_eq_u32_e32 vcc_lo, 0, v0
	v_cmp_gt_i32_e64 s1, 0, v8
	s_waitcnt lgkmcnt(0)
	v_add_nc_u32_e32 v2, v5, v2
	v_add_nc_u32_e32 v1, v6, v1
	v_cndmask_b32_e64 v4, v8, v62, s1
	v_lshlrev_b32_e32 v3, 2, v4
	ds_bpermute_b32 v8, v3, v2
	ds_bpermute_b32 v21, v3, v1
	ds_read_b64 v[1:2], v7 offset:56
	s_and_saveexec_b32 s1, vcc_lo
	s_cbranch_execz .LBB950_146
; %bb.145:
	s_add_u32 s2, s4, 0x200
	s_addc_u32 s3, s5, 0
	v_mov_b32_e32 v3, 2
	v_mov_b32_e32 v23, s3
	;; [unrolled: 1-line block ×4, first 2 shown]
	s_waitcnt lgkmcnt(0)
	;;#ASMSTART
	global_store_dwordx4 v[22:23], v[1:4] off	
s_waitcnt vmcnt(0)
	;;#ASMEND
.LBB950_146:
	s_or_b32 exec_lo, exec_lo, s1
	s_waitcnt lgkmcnt(1)
	v_cndmask_b32_e64 v3, v21, v6, s0
	v_cndmask_b32_e64 v5, v8, v5, s0
	v_mov_b32_e32 v4, 0
	s_waitcnt lgkmcnt(0)
	s_barrier
	v_cndmask_b32_e64 v23, v3, 0, vcc_lo
	v_cndmask_b32_e64 v24, v5, 0, vcc_lo
	v_mov_b32_e32 v3, 0
	buffer_gl0_inv
.LBB950_147:
	v_add_nc_u32_e32 v61, v23, v61
	v_add_nc_u32_e32 v60, v24, v60
	s_waitcnt lgkmcnt(0)
	v_sub_nc_u32_e32 v23, v23, v4
	v_lshrrev_b32_e32 v26, 8, v36
	v_lshlrev_b32_e32 v66, 1, v1
	v_add_nc_u32_e32 v58, v61, v58
	v_sub_nc_u32_e32 v61, v61, v4
	v_add_nc_u32_e32 v57, v60, v57
	v_sub_nc_u32_e32 v24, v24, v3
	v_sub_nc_u32_e32 v60, v60, v3
	v_add_nc_u32_e32 v23, v23, v1
	v_add_nc_u32_e32 v61, v61, v1
	v_and_b32_e32 v26, 1, v26
	v_mov_b32_e32 v68, 1
	v_add3_u32 v29, v66, v2, v29
	v_add_nc_u32_e32 v73, v24, v23
	v_add_nc_u32_e32 v72, v61, v60
	v_cmp_eq_u32_e32 vcc_lo, 1, v26
	v_and_b32_sdwa v71, v68, v36 dst_sel:DWORD dst_unused:UNUSED_PAD src0_sel:DWORD src1_sel:WORD_1
	v_lshrrev_b32_e32 v25, 8, v30
	v_sub_nc_u32_e32 v73, v29, v73
	v_sub_nc_u32_e32 v72, v29, v72
	v_and_b32_e32 v67, 1, v30
	v_add_nc_u32_e32 v62, v58, v43
	v_and_b32_e32 v25, 1, v25
	v_cndmask_b32_e32 v23, v73, v23, vcc_lo
	v_add_nc_u32_e32 v72, 1, v72
	v_cmp_eq_u32_e32 vcc_lo, 1, v71
	v_sub_nc_u32_e32 v58, v58, v4
	v_add_nc_u32_e32 v59, v57, v59
	v_sub_nc_u32_e32 v57, v57, v3
	v_add_co_u32 v5, s0, s28, v3
	v_cndmask_b32_e32 v26, v72, v61, vcc_lo
	v_cmp_eq_u32_e32 vcc_lo, 1, v67
	v_add_nc_u32_e32 v58, v58, v1
	v_add_co_ci_u32_e64 v6, null, s29, 0, s0
	v_sub_co_u32 v64, s0, s30, v1
	v_cndmask_b32_e32 v67, v23, v24, vcc_lo
	v_cmp_eq_u32_e32 vcc_lo, 1, v25
	v_sub_co_ci_u32_e64 v65, null, s31, 0, s0
	v_and_b32_e32 v43, 1, v43
	v_add_nc_u32_e32 v56, v62, v56
	v_cndmask_b32_e32 v25, v26, v60, vcc_lo
	v_add_nc_u32_e32 v26, v58, v57
	v_add_co_u32 v23, vcc_lo, v64, v4
	v_add_co_ci_u32_e64 v24, null, 0, v65, vcc_lo
	v_sub_nc_u32_e32 v26, v29, v26
	v_sub_nc_u32_e32 v62, v62, v4
	v_and_b32_sdwa v30, v68, v30 dst_sel:DWORD dst_unused:UNUSED_PAD src0_sel:DWORD src1_sel:WORD_1
	v_cmp_eq_u32_e32 vcc_lo, 1, v43
	v_add_nc_u32_e32 v63, v59, v42
	v_add_nc_u32_e32 v26, 2, v26
	v_sub_nc_u32_e32 v59, v59, v3
	v_add_nc_u32_e32 v62, v62, v1
	v_add_nc_u32_e32 v55, v56, v55
	v_lshlrev_b32_e32 v60, 2, v67
	v_cndmask_b32_e32 v26, v26, v58, vcc_lo
	v_cmp_eq_u32_e32 vcc_lo, 1, v30
	v_lshlrev_b32_e32 v25, 2, v25
	v_sub_nc_u32_e32 v56, v56, v4
	v_add_nc_u32_e32 v43, v59, v62
	v_sub_nc_u32_e32 v58, v63, v3
	v_cndmask_b32_e32 v26, v26, v57, vcc_lo
	ds_write_b32 v60, v19
	v_add_nc_u32_e32 v56, v56, v1
	v_sub_nc_u32_e32 v19, v29, v43
	ds_write_b32 v25, v20
	v_lshlrev_b32_e32 v25, 2, v26
	v_and_b32_e32 v26, 1, v31
	v_lshrrev_b32_e32 v22, 8, v31
	v_add_nc_u32_e32 v54, v63, v54
	v_add_nc_u32_e32 v20, v58, v56
	;; [unrolled: 1-line block ×3, first 2 shown]
	v_and_b32_e32 v30, 1, v42
	v_sub_nc_u32_e32 v42, v55, v4
	v_cmp_eq_u32_e32 vcc_lo, 1, v26
	v_sub_nc_u32_e32 v20, v29, v20
	v_and_b32_e32 v22, 1, v22
	v_sub_nc_u32_e32 v26, v54, v3
	v_add_nc_u32_e32 v42, v42, v1
	v_cndmask_b32_e32 v19, v19, v62, vcc_lo
	v_cmp_eq_u32_e32 vcc_lo, 1, v30
	v_add_nc_u32_e32 v20, 4, v20
	v_and_b32_e32 v30, 1, v32
	v_add_nc_u32_e32 v43, v26, v42
	v_lshrrev_b32_e32 v21, 8, v32
	v_cndmask_b32_e32 v19, v19, v59, vcc_lo
	v_cmp_eq_u32_e32 vcc_lo, 1, v22
	v_add_nc_u32_e32 v53, v55, v53
	ds_write_b32 v25, v17
	v_and_b32_sdwa v25, v68, v31 dst_sel:DWORD dst_unused:UNUSED_PAD src0_sel:DWORD src1_sel:WORD_1
	v_lshlrev_b32_e32 v17, 2, v19
	v_cndmask_b32_e32 v20, v20, v56, vcc_lo
	v_sub_nc_u32_e32 v19, v29, v43
	v_cmp_eq_u32_e32 vcc_lo, 1, v30
	v_add_nc_u32_e32 v52, v54, v52
	v_add_nc_u32_e32 v69, v53, v41
	v_and_b32_e32 v21, 1, v21
	v_sub_nc_u32_e32 v22, v53, v4
	v_cndmask_b32_e32 v20, v20, v58, vcc_lo
	v_add_nc_u32_e32 v19, 5, v19
	v_cmp_eq_u32_e32 vcc_lo, 1, v25
	v_add_nc_u32_e32 v46, v52, v46
	v_sub_nc_u32_e32 v30, v52, v3
	v_sub_nc_u32_e32 v31, v69, v4
	v_add_nc_u32_e32 v22, v22, v1
	v_cndmask_b32_e32 v19, v19, v42, vcc_lo
	v_cmp_eq_u32_e32 vcc_lo, 1, v21
	v_sub_nc_u32_e32 v25, v46, v3
	v_add_nc_u32_e32 v31, v31, v1
	v_lshlrev_b32_e32 v20, 2, v20
	v_add_nc_u32_e32 v42, v30, v22
	v_cndmask_b32_e32 v19, v19, v26, vcc_lo
	ds_write_b32 v17, v18
	v_add_nc_u32_e32 v21, v25, v31
	ds_write_b32 v20, v15
	v_sub_nc_u32_e32 v17, v29, v42
	v_lshlrev_b32_e32 v15, 2, v19
	v_and_b32_e32 v19, 1, v41
	v_sub_nc_u32_e32 v18, v29, v21
	v_and_b32_e32 v21, 1, v33
	v_add_nc_u32_e32 v17, 6, v17
	v_add_nc_u32_e32 v51, v69, v51
	v_cmp_eq_u32_e32 vcc_lo, 1, v19
	v_and_b32_sdwa v20, v68, v32 dst_sel:DWORD dst_unused:UNUSED_PAD src0_sel:DWORD src1_sel:WORD_1
	v_add_nc_u32_e32 v18, 7, v18
	v_add_nc_u32_e32 v70, v46, v40
	v_sub_nc_u32_e32 v19, v51, v4
	v_cndmask_b32_e32 v17, v17, v22, vcc_lo
	v_cmp_eq_u32_e32 vcc_lo, 1, v21
	v_and_b32_e32 v22, 1, v40
	v_add_nc_u32_e32 v50, v51, v50
	v_sub_nc_u32_e32 v21, v70, v3
	v_add_nc_u32_e32 v19, v19, v1
	v_cndmask_b32_e32 v18, v18, v31, vcc_lo
	v_cmp_eq_u32_e32 vcc_lo, 1, v20
	v_lshrrev_b32_e32 v8, 8, v33
	v_add_nc_u32_e32 v49, v70, v49
	v_add_nc_u32_e32 v20, v21, v19
	ds_write_b32 v15, v16
	v_cndmask_b32_e32 v17, v17, v30, vcc_lo
	v_cmp_eq_u32_e32 vcc_lo, 1, v22
	v_sub_nc_u32_e32 v15, v50, v4
	v_add_nc_u32_e32 v48, v50, v48
	v_and_b32_e32 v8, 1, v8
	v_lshlrev_b32_e32 v16, 2, v17
	v_cndmask_b32_e32 v18, v18, v25, vcc_lo
	v_add_nc_u32_e32 v15, v15, v1
	v_add_nc_u32_e32 v47, v49, v47
	v_cmp_eq_u32_e32 vcc_lo, 1, v8
	v_lshrrev_b32_e32 v7, 8, v35
	v_lshlrev_b32_e32 v17, 2, v18
	v_sub_nc_u32_e32 v18, v29, v20
	v_sub_nc_u32_e32 v20, v49, v3
	ds_write_b32 v16, v13
	ds_write_b32 v17, v14
	v_and_b32_e32 v16, 1, v35
	v_add_nc_u32_e32 v13, 8, v18
	v_add_nc_u32_e32 v14, v20, v15
	v_sub_nc_u32_e32 v17, v48, v4
	v_add_nc_u32_e32 v74, v48, v39
	v_add_nc_u32_e32 v45, v47, v45
	v_cndmask_b32_e32 v8, v13, v19, vcc_lo
	v_sub_nc_u32_e32 v13, v29, v14
	v_sub_nc_u32_e32 v14, v47, v3
	v_add_nc_u32_e32 v17, v17, v1
	v_cmp_eq_u32_e32 vcc_lo, 1, v16
	v_and_b32_sdwa v16, v68, v33 dst_sel:DWORD dst_unused:UNUSED_PAD src0_sel:DWORD src1_sel:WORD_1
	v_add_nc_u32_e32 v44, v74, v44
	v_add_nc_u32_e32 v13, 9, v13
	v_and_b32_e32 v7, 1, v7
	v_cndmask_b32_e32 v8, v8, v21, vcc_lo
	v_add_nc_u32_e32 v18, v14, v17
	v_sub_nc_u32_e32 v19, v74, v4
	v_cmp_eq_u32_e32 vcc_lo, 1, v16
	v_add_nc_u32_e32 v61, v45, v38
	v_and_b32_e32 v25, 1, v37
	v_sub_nc_u32_e32 v16, v29, v18
	v_sub_nc_u32_e32 v18, v45, v3
	v_cndmask_b32_e32 v13, v13, v15, vcc_lo
	v_sub_nc_u32_e32 v15, v44, v4
	v_add_nc_u32_e32 v19, v19, v1
	v_cmp_eq_u32_e32 vcc_lo, 1, v7
	v_sub_nc_u32_e32 v3, v61, v3
	v_add_nc_u32_e32 v16, 10, v16
	v_add_nc_u32_e32 v15, v15, v1
	v_and_b32_sdwa v22, v68, v35 dst_sel:DWORD dst_unused:UNUSED_PAD src0_sel:DWORD src1_sel:WORD_1
	v_cndmask_b32_e32 v7, v13, v20, vcc_lo
	v_add_nc_u32_e32 v13, v18, v19
	v_and_b32_e32 v20, 1, v39
	v_add_nc_u32_e32 v21, v3, v15
	v_lshlrev_b32_e32 v8, 2, v8
	v_lshlrev_b32_e32 v7, 2, v7
	v_sub_nc_u32_e32 v13, v29, v13
	v_cmp_eq_u32_e32 vcc_lo, 1, v20
	v_and_b32_e32 v20, 1, v34
	v_add_nc_u32_e32 v13, 11, v13
	v_cndmask_b32_e32 v16, v16, v17, vcc_lo
	v_sub_nc_u32_e32 v17, v29, v21
	v_cmp_eq_u32_e32 vcc_lo, 1, v20
	v_and_b32_e32 v21, 1, v38
	v_add_nc_u32_e32 v17, 12, v17
	v_cndmask_b32_e32 v13, v13, v19, vcc_lo
	v_cmp_eq_u32_e32 vcc_lo, 1, v25
	v_and_b32_e32 v19, 1, v36
	v_cndmask_b32_e32 v15, v17, v15, vcc_lo
	v_cmp_eq_u32_e32 vcc_lo, 1, v22
	v_cndmask_b32_e32 v14, v16, v14, vcc_lo
	v_cmp_eq_u32_e32 vcc_lo, 1, v21
	v_lshlrev_b32_e32 v14, 2, v14
	v_cndmask_b32_e32 v13, v13, v18, vcc_lo
	v_cmp_eq_u32_e32 vcc_lo, 1, v19
	v_lshlrev_b32_e32 v13, 2, v13
	v_cndmask_b32_e32 v3, v15, v3, vcc_lo
	v_lshlrev_b32_e32 v3, 2, v3
	ds_write_b32 v8, v11
	ds_write_b32 v7, v12
	;; [unrolled: 1-line block ×5, first 2 shown]
	v_add_co_u32 v3, s0, v2, v66
	v_add_co_ci_u32_e64 v7, null, 0, 0, s0
	s_add_u32 s0, s34, s42
	v_add_co_u32 v3, vcc_lo, v3, v23
	v_add_co_ci_u32_e64 v7, null, v7, v24, vcc_lo
	s_addc_u32 s1, s35, 0
	v_add_co_u32 v3, vcc_lo, v3, v5
	v_add_co_ci_u32_e64 v9, null, v7, v6, vcc_lo
	v_lshlrev_b64 v[7:8], 2, v[23:24]
	v_sub_co_u32 v3, vcc_lo, s0, v3
	v_sub_co_ci_u32_e64 v11, null, s1, v9, vcc_lo
	v_lshlrev_b64 v[9:10], 2, v[5:6]
	v_add_co_u32 v7, vcc_lo, s38, v7
	v_add_co_ci_u32_e64 v8, null, s39, v8, vcc_lo
	v_cmp_ne_u32_e32 vcc_lo, 1, v27
	v_add_co_u32 v9, s0, s36, v9
	v_add_nc_u32_e32 v12, v1, v2
	v_add_co_ci_u32_e64 v10, null, s37, v10, s0
	s_and_b32 vcc_lo, exec_lo, vcc_lo
	s_mov_b32 s0, -1
	s_waitcnt lgkmcnt(0)
	s_barrier
	buffer_gl0_inv
	s_cbranch_vccz .LBB950_151
; %bb.148:
	s_and_b32 vcc_lo, exec_lo, s0
	s_cbranch_vccnz .LBB950_256
.LBB950_149:
	v_cmp_eq_u32_e32 vcc_lo, 0, v0
	s_and_b32 s0, vcc_lo, s33
	s_and_saveexec_b32 s1, s0
	s_cbranch_execnz .LBB950_374
.LBB950_150:
	s_endpgm
.LBB950_151:
	s_mov_b32 s0, exec_lo
	v_cmpx_ge_u32_e64 v0, v1
	s_xor_b32 s0, exec_lo, s0
	s_cbranch_execz .LBB950_157
; %bb.152:
	s_mov_b32 s1, exec_lo
	v_cmpx_ge_u32_e64 v0, v12
	s_xor_b32 s1, exec_lo, s1
	s_cbranch_execz .LBB950_154
; %bb.153:
	v_lshlrev_b32_e32 v13, 2, v0
	ds_read_b32 v15, v13
	v_add_co_u32 v13, vcc_lo, v3, v0
	v_add_co_ci_u32_e64 v14, null, 0, v11, vcc_lo
	v_lshlrev_b64 v[13:14], 2, v[13:14]
	v_sub_co_u32 v13, vcc_lo, s26, v13
	v_sub_co_ci_u32_e64 v14, null, s27, v14, vcc_lo
	s_waitcnt lgkmcnt(0)
	global_store_dword v[13:14], v15, off offset:-4
.LBB950_154:
	s_andn2_saveexec_b32 s1, s1
	s_cbranch_execz .LBB950_156
; %bb.155:
	v_lshlrev_b32_e32 v13, 2, v0
	v_readfirstlane_b32 s2, v7
	v_readfirstlane_b32 s3, v8
	ds_read_b32 v14, v13
	s_waitcnt lgkmcnt(0)
	global_store_dword v13, v14, s[2:3]
.LBB950_156:
	s_or_b32 exec_lo, exec_lo, s1
.LBB950_157:
	s_andn2_saveexec_b32 s0, s0
	s_cbranch_execz .LBB950_159
; %bb.158:
	v_lshlrev_b32_e32 v13, 2, v0
	v_readfirstlane_b32 s2, v9
	v_readfirstlane_b32 s3, v10
	ds_read_b32 v14, v13
	s_waitcnt lgkmcnt(0)
	global_store_dword v13, v14, s[2:3]
.LBB950_159:
	s_or_b32 exec_lo, exec_lo, s0
	v_or_b32_e32 v13, 0x100, v0
	s_mov_b32 s0, exec_lo
	v_cmpx_ge_u32_e64 v13, v1
	s_xor_b32 s0, exec_lo, s0
	s_cbranch_execz .LBB950_165
; %bb.160:
	s_mov_b32 s1, exec_lo
	v_cmpx_ge_u32_e64 v13, v12
	s_xor_b32 s1, exec_lo, s1
	s_cbranch_execz .LBB950_162
; %bb.161:
	v_lshlrev_b32_e32 v13, 2, v0
	ds_read_b32 v15, v13 offset:1024
	v_add_co_u32 v13, vcc_lo, v3, v0
	v_add_co_ci_u32_e64 v14, null, 0, v11, vcc_lo
	v_lshlrev_b64 v[13:14], 2, v[13:14]
	v_sub_co_u32 v13, vcc_lo, s26, v13
	v_sub_co_ci_u32_e64 v14, null, s27, v14, vcc_lo
	s_waitcnt lgkmcnt(0)
	global_store_dword v[13:14], v15, off offset:-1028
.LBB950_162:
	s_andn2_saveexec_b32 s1, s1
	s_cbranch_execz .LBB950_164
; %bb.163:
	v_lshlrev_b32_e32 v13, 2, v0
	v_readfirstlane_b32 s2, v7
	v_readfirstlane_b32 s3, v8
	ds_read_b32 v14, v13 offset:1024
	s_waitcnt lgkmcnt(0)
	global_store_dword v13, v14, s[2:3] offset:1024
.LBB950_164:
	s_or_b32 exec_lo, exec_lo, s1
.LBB950_165:
	s_andn2_saveexec_b32 s0, s0
	s_cbranch_execz .LBB950_167
; %bb.166:
	v_lshlrev_b32_e32 v13, 2, v0
	v_readfirstlane_b32 s2, v9
	v_readfirstlane_b32 s3, v10
	ds_read_b32 v14, v13 offset:1024
	s_waitcnt lgkmcnt(0)
	global_store_dword v13, v14, s[2:3] offset:1024
.LBB950_167:
	s_or_b32 exec_lo, exec_lo, s0
	v_or_b32_e32 v13, 0x200, v0
	s_mov_b32 s0, exec_lo
	v_cmpx_ge_u32_e64 v13, v1
	s_xor_b32 s0, exec_lo, s0
	s_cbranch_execz .LBB950_173
; %bb.168:
	s_mov_b32 s1, exec_lo
	v_cmpx_ge_u32_e64 v13, v12
	s_xor_b32 s1, exec_lo, s1
	s_cbranch_execz .LBB950_170
; %bb.169:
	v_lshlrev_b32_e32 v15, 2, v0
	v_add_co_u32 v13, vcc_lo, v3, v0
	v_add_co_ci_u32_e64 v14, null, 0, v11, vcc_lo
	ds_read_b32 v15, v15 offset:2048
	v_lshlrev_b64 v[13:14], 2, v[13:14]
	v_sub_co_u32 v13, vcc_lo, s26, v13
	v_sub_co_ci_u32_e64 v14, null, s27, v14, vcc_lo
	v_add_co_u32 v13, vcc_lo, 0xfffff800, v13
	v_add_co_ci_u32_e64 v14, null, -1, v14, vcc_lo
	s_waitcnt lgkmcnt(0)
	global_store_dword v[13:14], v15, off offset:-4
                                        ; implicit-def: $vgpr13
.LBB950_170:
	s_andn2_saveexec_b32 s1, s1
	s_cbranch_execz .LBB950_172
; %bb.171:
	v_lshlrev_b32_e32 v14, 2, v0
	v_lshlrev_b32_e32 v13, 2, v13
	v_readfirstlane_b32 s2, v7
	v_readfirstlane_b32 s3, v8
	ds_read_b32 v14, v14 offset:2048
	s_waitcnt lgkmcnt(0)
	global_store_dword v13, v14, s[2:3]
.LBB950_172:
	s_or_b32 exec_lo, exec_lo, s1
                                        ; implicit-def: $vgpr13
.LBB950_173:
	s_andn2_saveexec_b32 s0, s0
	s_cbranch_execz .LBB950_175
; %bb.174:
	v_lshlrev_b32_e32 v14, 2, v0
	v_lshlrev_b32_e32 v13, 2, v13
	v_readfirstlane_b32 s2, v9
	v_readfirstlane_b32 s3, v10
	ds_read_b32 v14, v14 offset:2048
	s_waitcnt lgkmcnt(0)
	global_store_dword v13, v14, s[2:3]
.LBB950_175:
	s_or_b32 exec_lo, exec_lo, s0
	v_or_b32_e32 v13, 0x300, v0
	s_mov_b32 s0, exec_lo
	v_cmpx_ge_u32_e64 v13, v1
	s_xor_b32 s0, exec_lo, s0
	s_cbranch_execz .LBB950_181
; %bb.176:
	s_mov_b32 s1, exec_lo
	v_cmpx_ge_u32_e64 v13, v12
	s_xor_b32 s1, exec_lo, s1
	s_cbranch_execz .LBB950_178
; %bb.177:
	v_lshlrev_b32_e32 v14, 2, v0
	v_add_co_u32 v13, vcc_lo, v3, v13
	ds_read_b32 v15, v14 offset:3072
	v_add_co_ci_u32_e64 v14, null, 0, v11, vcc_lo
	v_lshlrev_b64 v[13:14], 2, v[13:14]
	v_sub_co_u32 v13, vcc_lo, s26, v13
	v_sub_co_ci_u32_e64 v14, null, s27, v14, vcc_lo
	s_waitcnt lgkmcnt(0)
	global_store_dword v[13:14], v15, off offset:-4
                                        ; implicit-def: $vgpr13
.LBB950_178:
	s_andn2_saveexec_b32 s1, s1
	s_cbranch_execz .LBB950_180
; %bb.179:
	v_lshlrev_b32_e32 v14, 2, v0
	v_lshlrev_b32_e32 v13, 2, v13
	v_readfirstlane_b32 s2, v7
	v_readfirstlane_b32 s3, v8
	ds_read_b32 v14, v14 offset:3072
	s_waitcnt lgkmcnt(0)
	global_store_dword v13, v14, s[2:3]
.LBB950_180:
	s_or_b32 exec_lo, exec_lo, s1
                                        ; implicit-def: $vgpr13
.LBB950_181:
	s_andn2_saveexec_b32 s0, s0
	s_cbranch_execz .LBB950_183
; %bb.182:
	v_lshlrev_b32_e32 v14, 2, v0
	v_lshlrev_b32_e32 v13, 2, v13
	v_readfirstlane_b32 s2, v9
	v_readfirstlane_b32 s3, v10
	ds_read_b32 v14, v14 offset:3072
	s_waitcnt lgkmcnt(0)
	global_store_dword v13, v14, s[2:3]
.LBB950_183:
	s_or_b32 exec_lo, exec_lo, s0
	v_or_b32_e32 v13, 0x400, v0
	s_mov_b32 s0, exec_lo
	v_cmpx_ge_u32_e64 v13, v1
	s_xor_b32 s0, exec_lo, s0
	s_cbranch_execz .LBB950_189
; %bb.184:
	s_mov_b32 s1, exec_lo
	v_cmpx_ge_u32_e64 v13, v12
	s_xor_b32 s1, exec_lo, s1
	s_cbranch_execz .LBB950_186
; %bb.185:
	v_lshlrev_b32_e32 v14, 2, v0
	v_add_co_u32 v13, vcc_lo, v3, v13
	ds_read_b32 v15, v14 offset:4096
	v_add_co_ci_u32_e64 v14, null, 0, v11, vcc_lo
	v_lshlrev_b64 v[13:14], 2, v[13:14]
	v_sub_co_u32 v13, vcc_lo, s26, v13
	v_sub_co_ci_u32_e64 v14, null, s27, v14, vcc_lo
	s_waitcnt lgkmcnt(0)
	global_store_dword v[13:14], v15, off offset:-4
                                        ; implicit-def: $vgpr13
.LBB950_186:
	s_andn2_saveexec_b32 s1, s1
	s_cbranch_execz .LBB950_188
; %bb.187:
	v_lshlrev_b32_e32 v14, 2, v0
	v_lshlrev_b32_e32 v13, 2, v13
	v_readfirstlane_b32 s2, v7
	v_readfirstlane_b32 s3, v8
	ds_read_b32 v14, v14 offset:4096
	s_waitcnt lgkmcnt(0)
	global_store_dword v13, v14, s[2:3]
.LBB950_188:
	s_or_b32 exec_lo, exec_lo, s1
                                        ; implicit-def: $vgpr13
.LBB950_189:
	;; [unrolled: 48-line block ×10, first 2 shown]
	s_andn2_saveexec_b32 s0, s0
	s_cbranch_execz .LBB950_255
; %bb.254:
	v_lshlrev_b32_e32 v14, 2, v0
	v_lshlrev_b32_e32 v13, 2, v13
	v_readfirstlane_b32 s2, v9
	v_readfirstlane_b32 s3, v10
	ds_read_b32 v14, v14 offset:12288
	s_waitcnt lgkmcnt(0)
	global_store_dword v13, v14, s[2:3]
.LBB950_255:
	s_or_b32 exec_lo, exec_lo, s0
	s_branch .LBB950_149
.LBB950_256:
	s_mov_b32 s0, exec_lo
	v_cmpx_gt_u32_e64 s7, v0
	s_cbranch_execz .LBB950_265
; %bb.257:
	s_mov_b32 s1, exec_lo
	v_cmpx_ge_u32_e64 v0, v1
	s_xor_b32 s1, exec_lo, s1
	s_cbranch_execz .LBB950_263
; %bb.258:
	s_mov_b32 s2, exec_lo
	v_cmpx_ge_u32_e64 v0, v12
	s_xor_b32 s2, exec_lo, s2
	s_cbranch_execz .LBB950_260
; %bb.259:
	v_lshlrev_b32_e32 v13, 2, v0
	ds_read_b32 v15, v13
	v_add_co_u32 v13, vcc_lo, v3, v0
	v_add_co_ci_u32_e64 v14, null, 0, v11, vcc_lo
	v_lshlrev_b64 v[13:14], 2, v[13:14]
	v_sub_co_u32 v13, vcc_lo, s26, v13
	v_sub_co_ci_u32_e64 v14, null, s27, v14, vcc_lo
	s_waitcnt lgkmcnt(0)
	global_store_dword v[13:14], v15, off offset:-4
.LBB950_260:
	s_andn2_saveexec_b32 s2, s2
	s_cbranch_execz .LBB950_262
; %bb.261:
	v_lshlrev_b32_e32 v13, 2, v0
	v_readfirstlane_b32 s4, v7
	v_readfirstlane_b32 s5, v8
	ds_read_b32 v14, v13
	s_waitcnt lgkmcnt(0)
	global_store_dword v13, v14, s[4:5]
.LBB950_262:
	s_or_b32 exec_lo, exec_lo, s2
.LBB950_263:
	s_andn2_saveexec_b32 s1, s1
	s_cbranch_execz .LBB950_265
; %bb.264:
	v_lshlrev_b32_e32 v13, 2, v0
	v_readfirstlane_b32 s2, v9
	v_readfirstlane_b32 s3, v10
	ds_read_b32 v14, v13
	s_waitcnt lgkmcnt(0)
	global_store_dword v13, v14, s[2:3]
.LBB950_265:
	s_or_b32 exec_lo, exec_lo, s0
	v_or_b32_e32 v13, 0x100, v0
	s_mov_b32 s0, exec_lo
	v_cmpx_gt_u32_e64 s7, v13
	s_cbranch_execz .LBB950_274
; %bb.266:
	s_mov_b32 s1, exec_lo
	v_cmpx_ge_u32_e64 v13, v1
	s_xor_b32 s1, exec_lo, s1
	s_cbranch_execz .LBB950_272
; %bb.267:
	s_mov_b32 s2, exec_lo
	v_cmpx_ge_u32_e64 v13, v12
	s_xor_b32 s2, exec_lo, s2
	s_cbranch_execz .LBB950_269
; %bb.268:
	v_lshlrev_b32_e32 v13, 2, v0
	ds_read_b32 v15, v13 offset:1024
	v_add_co_u32 v13, vcc_lo, v3, v0
	v_add_co_ci_u32_e64 v14, null, 0, v11, vcc_lo
	v_lshlrev_b64 v[13:14], 2, v[13:14]
	v_sub_co_u32 v13, vcc_lo, s26, v13
	v_sub_co_ci_u32_e64 v14, null, s27, v14, vcc_lo
	s_waitcnt lgkmcnt(0)
	global_store_dword v[13:14], v15, off offset:-1028
.LBB950_269:
	s_andn2_saveexec_b32 s2, s2
	s_cbranch_execz .LBB950_271
; %bb.270:
	v_lshlrev_b32_e32 v13, 2, v0
	v_readfirstlane_b32 s4, v7
	v_readfirstlane_b32 s5, v8
	ds_read_b32 v14, v13 offset:1024
	s_waitcnt lgkmcnt(0)
	global_store_dword v13, v14, s[4:5] offset:1024
.LBB950_271:
	s_or_b32 exec_lo, exec_lo, s2
.LBB950_272:
	s_andn2_saveexec_b32 s1, s1
	s_cbranch_execz .LBB950_274
; %bb.273:
	v_lshlrev_b32_e32 v13, 2, v0
	v_readfirstlane_b32 s2, v9
	v_readfirstlane_b32 s3, v10
	ds_read_b32 v14, v13 offset:1024
	s_waitcnt lgkmcnt(0)
	global_store_dword v13, v14, s[2:3] offset:1024
.LBB950_274:
	s_or_b32 exec_lo, exec_lo, s0
	v_or_b32_e32 v13, 0x200, v0
	s_mov_b32 s0, exec_lo
	v_cmpx_gt_u32_e64 s7, v13
	s_cbranch_execz .LBB950_283
; %bb.275:
	s_mov_b32 s1, exec_lo
	v_cmpx_ge_u32_e64 v13, v1
	s_xor_b32 s1, exec_lo, s1
	s_cbranch_execz .LBB950_281
; %bb.276:
	s_mov_b32 s2, exec_lo
	v_cmpx_ge_u32_e64 v13, v12
	s_xor_b32 s2, exec_lo, s2
	s_cbranch_execz .LBB950_278
; %bb.277:
	v_lshlrev_b32_e32 v15, 2, v0
	v_add_co_u32 v13, vcc_lo, v3, v0
	v_add_co_ci_u32_e64 v14, null, 0, v11, vcc_lo
	ds_read_b32 v15, v15 offset:2048
	v_lshlrev_b64 v[13:14], 2, v[13:14]
	v_sub_co_u32 v13, vcc_lo, s26, v13
	v_sub_co_ci_u32_e64 v14, null, s27, v14, vcc_lo
	v_add_co_u32 v13, vcc_lo, 0xfffff800, v13
	v_add_co_ci_u32_e64 v14, null, -1, v14, vcc_lo
	s_waitcnt lgkmcnt(0)
	global_store_dword v[13:14], v15, off offset:-4
                                        ; implicit-def: $vgpr13
.LBB950_278:
	s_andn2_saveexec_b32 s2, s2
	s_cbranch_execz .LBB950_280
; %bb.279:
	v_lshlrev_b32_e32 v14, 2, v0
	v_lshlrev_b32_e32 v13, 2, v13
	v_readfirstlane_b32 s4, v7
	v_readfirstlane_b32 s5, v8
	ds_read_b32 v14, v14 offset:2048
	s_waitcnt lgkmcnt(0)
	global_store_dword v13, v14, s[4:5]
.LBB950_280:
	s_or_b32 exec_lo, exec_lo, s2
                                        ; implicit-def: $vgpr13
.LBB950_281:
	s_andn2_saveexec_b32 s1, s1
	s_cbranch_execz .LBB950_283
; %bb.282:
	v_lshlrev_b32_e32 v14, 2, v0
	v_lshlrev_b32_e32 v13, 2, v13
	v_readfirstlane_b32 s2, v9
	v_readfirstlane_b32 s3, v10
	ds_read_b32 v14, v14 offset:2048
	s_waitcnt lgkmcnt(0)
	global_store_dword v13, v14, s[2:3]
.LBB950_283:
	s_or_b32 exec_lo, exec_lo, s0
	v_or_b32_e32 v13, 0x300, v0
	s_mov_b32 s0, exec_lo
	v_cmpx_gt_u32_e64 s7, v13
	s_cbranch_execz .LBB950_292
; %bb.284:
	s_mov_b32 s1, exec_lo
	v_cmpx_ge_u32_e64 v13, v1
	s_xor_b32 s1, exec_lo, s1
	s_cbranch_execz .LBB950_290
; %bb.285:
	s_mov_b32 s2, exec_lo
	v_cmpx_ge_u32_e64 v13, v12
	s_xor_b32 s2, exec_lo, s2
	s_cbranch_execz .LBB950_287
; %bb.286:
	v_lshlrev_b32_e32 v14, 2, v0
	v_add_co_u32 v13, vcc_lo, v3, v13
	ds_read_b32 v15, v14 offset:3072
	v_add_co_ci_u32_e64 v14, null, 0, v11, vcc_lo
	v_lshlrev_b64 v[13:14], 2, v[13:14]
	v_sub_co_u32 v13, vcc_lo, s26, v13
	v_sub_co_ci_u32_e64 v14, null, s27, v14, vcc_lo
	s_waitcnt lgkmcnt(0)
	global_store_dword v[13:14], v15, off offset:-4
                                        ; implicit-def: $vgpr13
.LBB950_287:
	s_andn2_saveexec_b32 s2, s2
	s_cbranch_execz .LBB950_289
; %bb.288:
	v_lshlrev_b32_e32 v14, 2, v0
	v_lshlrev_b32_e32 v13, 2, v13
	v_readfirstlane_b32 s4, v7
	v_readfirstlane_b32 s5, v8
	ds_read_b32 v14, v14 offset:3072
	s_waitcnt lgkmcnt(0)
	global_store_dword v13, v14, s[4:5]
.LBB950_289:
	s_or_b32 exec_lo, exec_lo, s2
                                        ; implicit-def: $vgpr13
.LBB950_290:
	s_andn2_saveexec_b32 s1, s1
	s_cbranch_execz .LBB950_292
; %bb.291:
	v_lshlrev_b32_e32 v14, 2, v0
	v_lshlrev_b32_e32 v13, 2, v13
	v_readfirstlane_b32 s2, v9
	v_readfirstlane_b32 s3, v10
	ds_read_b32 v14, v14 offset:3072
	s_waitcnt lgkmcnt(0)
	global_store_dword v13, v14, s[2:3]
.LBB950_292:
	s_or_b32 exec_lo, exec_lo, s0
	v_or_b32_e32 v13, 0x400, v0
	s_mov_b32 s0, exec_lo
	v_cmpx_gt_u32_e64 s7, v13
	s_cbranch_execz .LBB950_301
; %bb.293:
	s_mov_b32 s1, exec_lo
	v_cmpx_ge_u32_e64 v13, v1
	s_xor_b32 s1, exec_lo, s1
	s_cbranch_execz .LBB950_299
; %bb.294:
	s_mov_b32 s2, exec_lo
	v_cmpx_ge_u32_e64 v13, v12
	s_xor_b32 s2, exec_lo, s2
	s_cbranch_execz .LBB950_296
; %bb.295:
	v_lshlrev_b32_e32 v14, 2, v0
	v_add_co_u32 v13, vcc_lo, v3, v13
	ds_read_b32 v15, v14 offset:4096
	v_add_co_ci_u32_e64 v14, null, 0, v11, vcc_lo
	v_lshlrev_b64 v[13:14], 2, v[13:14]
	v_sub_co_u32 v13, vcc_lo, s26, v13
	v_sub_co_ci_u32_e64 v14, null, s27, v14, vcc_lo
	s_waitcnt lgkmcnt(0)
	global_store_dword v[13:14], v15, off offset:-4
                                        ; implicit-def: $vgpr13
.LBB950_296:
	s_andn2_saveexec_b32 s2, s2
	s_cbranch_execz .LBB950_298
; %bb.297:
	v_lshlrev_b32_e32 v14, 2, v0
	v_lshlrev_b32_e32 v13, 2, v13
	v_readfirstlane_b32 s4, v7
	v_readfirstlane_b32 s5, v8
	ds_read_b32 v14, v14 offset:4096
	s_waitcnt lgkmcnt(0)
	global_store_dword v13, v14, s[4:5]
.LBB950_298:
	s_or_b32 exec_lo, exec_lo, s2
                                        ; implicit-def: $vgpr13
.LBB950_299:
	s_andn2_saveexec_b32 s1, s1
	s_cbranch_execz .LBB950_301
; %bb.300:
	v_lshlrev_b32_e32 v14, 2, v0
	v_lshlrev_b32_e32 v13, 2, v13
	v_readfirstlane_b32 s2, v9
	v_readfirstlane_b32 s3, v10
	ds_read_b32 v14, v14 offset:4096
	s_waitcnt lgkmcnt(0)
	global_store_dword v13, v14, s[2:3]
.LBB950_301:
	;; [unrolled: 52-line block ×9, first 2 shown]
	s_or_b32 exec_lo, exec_lo, s0
	v_or_b32_e32 v13, 0xc00, v0
	s_mov_b32 s0, exec_lo
	v_cmpx_gt_u32_e64 s7, v13
	s_cbranch_execz .LBB950_373
; %bb.365:
	s_mov_b32 s1, exec_lo
	v_cmpx_ge_u32_e64 v13, v1
	s_xor_b32 s1, exec_lo, s1
	s_cbranch_execz .LBB950_371
; %bb.366:
	s_mov_b32 s2, exec_lo
	v_cmpx_ge_u32_e64 v13, v12
	s_xor_b32 s2, exec_lo, s2
	s_cbranch_execz .LBB950_368
; %bb.367:
	v_lshlrev_b32_e32 v7, 2, v0
	ds_read_b32 v9, v7 offset:12288
	v_add_co_u32 v7, vcc_lo, v3, v13
	v_add_co_ci_u32_e64 v8, null, 0, v11, vcc_lo
                                        ; implicit-def: $vgpr13
	v_lshlrev_b64 v[7:8], 2, v[7:8]
	v_sub_co_u32 v7, vcc_lo, s26, v7
	v_sub_co_ci_u32_e64 v8, null, s27, v8, vcc_lo
	s_waitcnt lgkmcnt(0)
	global_store_dword v[7:8], v9, off offset:-4
                                        ; implicit-def: $vgpr7_vgpr8
.LBB950_368:
	s_andn2_saveexec_b32 s2, s2
	s_cbranch_execz .LBB950_370
; %bb.369:
	v_lshlrev_b32_e32 v3, 2, v0
	v_lshlrev_b32_e32 v9, 2, v13
	v_readfirstlane_b32 s4, v7
	v_readfirstlane_b32 s5, v8
	ds_read_b32 v3, v3 offset:12288
	s_waitcnt lgkmcnt(0)
	global_store_dword v9, v3, s[4:5]
.LBB950_370:
	s_or_b32 exec_lo, exec_lo, s2
                                        ; implicit-def: $vgpr13
                                        ; implicit-def: $vgpr9_vgpr10
.LBB950_371:
	s_andn2_saveexec_b32 s1, s1
	s_cbranch_execz .LBB950_373
; %bb.372:
	v_lshlrev_b32_e32 v3, 2, v0
	v_lshlrev_b32_e32 v7, 2, v13
	v_readfirstlane_b32 s2, v9
	v_readfirstlane_b32 s3, v10
	ds_read_b32 v3, v3 offset:12288
	s_waitcnt lgkmcnt(0)
	global_store_dword v7, v3, s[2:3]
.LBB950_373:
	s_or_b32 exec_lo, exec_lo, s0
	v_cmp_eq_u32_e32 vcc_lo, 0, v0
	s_and_b32 s0, vcc_lo, s33
	s_and_saveexec_b32 s1, s0
	s_cbranch_execz .LBB950_150
.LBB950_374:
	v_add_co_u32 v0, s0, s30, v2
	v_add_co_ci_u32_e64 v3, null, s31, 0, s0
	v_mov_b32_e32 v7, 0
	v_add_co_u32 v2, vcc_lo, v0, v4
	v_add_co_ci_u32_e64 v3, null, 0, v3, vcc_lo
	v_add_co_u32 v0, vcc_lo, v5, v1
	v_add_co_ci_u32_e64 v1, null, 0, v6, vcc_lo
	global_store_dwordx4 v7, v[0:3], s[24:25]
	s_endpgm
.LBB950_375:
	s_add_i32 s10, s6, 32
	s_mov_b32 s11, 0
	v_add_nc_u32_e32 v6, v4, v2
	s_lshl_b64 s[10:11], s[10:11], 4
	v_add_nc_u32_e32 v5, v3, v1
	s_add_u32 s10, s4, s10
	s_addc_u32 s11, s5, s11
	v_mov_b32_e32 v7, 2
	v_mov_b32_e32 v24, s11
	v_mov_b32_e32 v8, 0
	v_mov_b32_e32 v23, s10
	;;#ASMSTART
	global_store_dwordx4 v[23:24], v[5:8] off	
s_waitcnt vmcnt(0)
	;;#ASMEND
	s_or_b32 exec_lo, exec_lo, s8
	s_and_saveexec_b32 s6, s2
	s_cbranch_execz .LBB950_135
.LBB950_376:
	v_mov_b32_e32 v5, 0
	ds_write_b128 v5, v[1:4] offset:13312
	s_or_b32 exec_lo, exec_lo, s6
	v_cmp_eq_u32_e32 vcc_lo, 0, v0
	s_and_b32 exec_lo, exec_lo, vcc_lo
	s_cbranch_execnz .LBB950_136
	s_branch .LBB950_137
	.section	.rodata,"a",@progbits
	.p2align	6, 0x0
	.amdhsa_kernel _ZN7rocprim17ROCPRIM_400000_NS6detail17trampoline_kernelINS0_13select_configILj256ELj13ELNS0_17block_load_methodE3ELS4_3ELS4_3ELNS0_20block_scan_algorithmE0ELj4294967295EEENS1_25partition_config_selectorILNS1_17partition_subalgoE4EjNS0_10empty_typeEbEEZZNS1_14partition_implILS8_4ELb0ES6_15HIP_vector_typeIjLj2EENS0_17counting_iteratorIjlEEPS9_SG_NS0_5tupleIJPjSI_NS0_16reverse_iteratorISI_EEEEENSH_IJSG_SG_SG_EEES9_SI_JZNS1_25segmented_radix_sort_implINS0_14default_configELb0EPKsPsPKlPlN2at6native12_GLOBAL__N_18offset_tEEE10hipError_tPvRmT1_PNSt15iterator_traitsIS12_E10value_typeET2_T3_PNS13_IS18_E10value_typeET4_jRbjT5_S1E_jjP12ihipStream_tbEUljE_ZNSN_ISO_Lb0ESQ_SR_ST_SU_SY_EESZ_S10_S11_S12_S16_S17_S18_S1B_S1C_jS1D_jS1E_S1E_jjS1G_bEUljE0_EEESZ_S10_S11_S18_S1C_S1E_T6_T7_T9_mT8_S1G_bDpT10_ENKUlT_T0_E_clISt17integral_constantIbLb0EES1U_EEDaS1P_S1Q_EUlS1P_E_NS1_11comp_targetILNS1_3genE8ELNS1_11target_archE1030ELNS1_3gpuE2ELNS1_3repE0EEENS1_30default_config_static_selectorELNS0_4arch9wavefront6targetE0EEEvS12_
		.amdhsa_group_segment_fixed_size 13328
		.amdhsa_private_segment_fixed_size 0
		.amdhsa_kernarg_size 176
		.amdhsa_user_sgpr_count 6
		.amdhsa_user_sgpr_private_segment_buffer 1
		.amdhsa_user_sgpr_dispatch_ptr 0
		.amdhsa_user_sgpr_queue_ptr 0
		.amdhsa_user_sgpr_kernarg_segment_ptr 1
		.amdhsa_user_sgpr_dispatch_id 0
		.amdhsa_user_sgpr_flat_scratch_init 0
		.amdhsa_user_sgpr_private_segment_size 0
		.amdhsa_wavefront_size32 1
		.amdhsa_uses_dynamic_stack 0
		.amdhsa_system_sgpr_private_segment_wavefront_offset 0
		.amdhsa_system_sgpr_workgroup_id_x 1
		.amdhsa_system_sgpr_workgroup_id_y 0
		.amdhsa_system_sgpr_workgroup_id_z 0
		.amdhsa_system_sgpr_workgroup_info 0
		.amdhsa_system_vgpr_workitem_id 0
		.amdhsa_next_free_vgpr 82
		.amdhsa_next_free_sgpr 59
		.amdhsa_reserve_vcc 1
		.amdhsa_reserve_flat_scratch 0
		.amdhsa_float_round_mode_32 0
		.amdhsa_float_round_mode_16_64 0
		.amdhsa_float_denorm_mode_32 3
		.amdhsa_float_denorm_mode_16_64 3
		.amdhsa_dx10_clamp 1
		.amdhsa_ieee_mode 1
		.amdhsa_fp16_overflow 0
		.amdhsa_workgroup_processor_mode 1
		.amdhsa_memory_ordered 1
		.amdhsa_forward_progress 1
		.amdhsa_shared_vgpr_count 0
		.amdhsa_exception_fp_ieee_invalid_op 0
		.amdhsa_exception_fp_denorm_src 0
		.amdhsa_exception_fp_ieee_div_zero 0
		.amdhsa_exception_fp_ieee_overflow 0
		.amdhsa_exception_fp_ieee_underflow 0
		.amdhsa_exception_fp_ieee_inexact 0
		.amdhsa_exception_int_div_zero 0
	.end_amdhsa_kernel
	.section	.text._ZN7rocprim17ROCPRIM_400000_NS6detail17trampoline_kernelINS0_13select_configILj256ELj13ELNS0_17block_load_methodE3ELS4_3ELS4_3ELNS0_20block_scan_algorithmE0ELj4294967295EEENS1_25partition_config_selectorILNS1_17partition_subalgoE4EjNS0_10empty_typeEbEEZZNS1_14partition_implILS8_4ELb0ES6_15HIP_vector_typeIjLj2EENS0_17counting_iteratorIjlEEPS9_SG_NS0_5tupleIJPjSI_NS0_16reverse_iteratorISI_EEEEENSH_IJSG_SG_SG_EEES9_SI_JZNS1_25segmented_radix_sort_implINS0_14default_configELb0EPKsPsPKlPlN2at6native12_GLOBAL__N_18offset_tEEE10hipError_tPvRmT1_PNSt15iterator_traitsIS12_E10value_typeET2_T3_PNS13_IS18_E10value_typeET4_jRbjT5_S1E_jjP12ihipStream_tbEUljE_ZNSN_ISO_Lb0ESQ_SR_ST_SU_SY_EESZ_S10_S11_S12_S16_S17_S18_S1B_S1C_jS1D_jS1E_S1E_jjS1G_bEUljE0_EEESZ_S10_S11_S18_S1C_S1E_T6_T7_T9_mT8_S1G_bDpT10_ENKUlT_T0_E_clISt17integral_constantIbLb0EES1U_EEDaS1P_S1Q_EUlS1P_E_NS1_11comp_targetILNS1_3genE8ELNS1_11target_archE1030ELNS1_3gpuE2ELNS1_3repE0EEENS1_30default_config_static_selectorELNS0_4arch9wavefront6targetE0EEEvS12_,"axG",@progbits,_ZN7rocprim17ROCPRIM_400000_NS6detail17trampoline_kernelINS0_13select_configILj256ELj13ELNS0_17block_load_methodE3ELS4_3ELS4_3ELNS0_20block_scan_algorithmE0ELj4294967295EEENS1_25partition_config_selectorILNS1_17partition_subalgoE4EjNS0_10empty_typeEbEEZZNS1_14partition_implILS8_4ELb0ES6_15HIP_vector_typeIjLj2EENS0_17counting_iteratorIjlEEPS9_SG_NS0_5tupleIJPjSI_NS0_16reverse_iteratorISI_EEEEENSH_IJSG_SG_SG_EEES9_SI_JZNS1_25segmented_radix_sort_implINS0_14default_configELb0EPKsPsPKlPlN2at6native12_GLOBAL__N_18offset_tEEE10hipError_tPvRmT1_PNSt15iterator_traitsIS12_E10value_typeET2_T3_PNS13_IS18_E10value_typeET4_jRbjT5_S1E_jjP12ihipStream_tbEUljE_ZNSN_ISO_Lb0ESQ_SR_ST_SU_SY_EESZ_S10_S11_S12_S16_S17_S18_S1B_S1C_jS1D_jS1E_S1E_jjS1G_bEUljE0_EEESZ_S10_S11_S18_S1C_S1E_T6_T7_T9_mT8_S1G_bDpT10_ENKUlT_T0_E_clISt17integral_constantIbLb0EES1U_EEDaS1P_S1Q_EUlS1P_E_NS1_11comp_targetILNS1_3genE8ELNS1_11target_archE1030ELNS1_3gpuE2ELNS1_3repE0EEENS1_30default_config_static_selectorELNS0_4arch9wavefront6targetE0EEEvS12_,comdat
.Lfunc_end950:
	.size	_ZN7rocprim17ROCPRIM_400000_NS6detail17trampoline_kernelINS0_13select_configILj256ELj13ELNS0_17block_load_methodE3ELS4_3ELS4_3ELNS0_20block_scan_algorithmE0ELj4294967295EEENS1_25partition_config_selectorILNS1_17partition_subalgoE4EjNS0_10empty_typeEbEEZZNS1_14partition_implILS8_4ELb0ES6_15HIP_vector_typeIjLj2EENS0_17counting_iteratorIjlEEPS9_SG_NS0_5tupleIJPjSI_NS0_16reverse_iteratorISI_EEEEENSH_IJSG_SG_SG_EEES9_SI_JZNS1_25segmented_radix_sort_implINS0_14default_configELb0EPKsPsPKlPlN2at6native12_GLOBAL__N_18offset_tEEE10hipError_tPvRmT1_PNSt15iterator_traitsIS12_E10value_typeET2_T3_PNS13_IS18_E10value_typeET4_jRbjT5_S1E_jjP12ihipStream_tbEUljE_ZNSN_ISO_Lb0ESQ_SR_ST_SU_SY_EESZ_S10_S11_S12_S16_S17_S18_S1B_S1C_jS1D_jS1E_S1E_jjS1G_bEUljE0_EEESZ_S10_S11_S18_S1C_S1E_T6_T7_T9_mT8_S1G_bDpT10_ENKUlT_T0_E_clISt17integral_constantIbLb0EES1U_EEDaS1P_S1Q_EUlS1P_E_NS1_11comp_targetILNS1_3genE8ELNS1_11target_archE1030ELNS1_3gpuE2ELNS1_3repE0EEENS1_30default_config_static_selectorELNS0_4arch9wavefront6targetE0EEEvS12_, .Lfunc_end950-_ZN7rocprim17ROCPRIM_400000_NS6detail17trampoline_kernelINS0_13select_configILj256ELj13ELNS0_17block_load_methodE3ELS4_3ELS4_3ELNS0_20block_scan_algorithmE0ELj4294967295EEENS1_25partition_config_selectorILNS1_17partition_subalgoE4EjNS0_10empty_typeEbEEZZNS1_14partition_implILS8_4ELb0ES6_15HIP_vector_typeIjLj2EENS0_17counting_iteratorIjlEEPS9_SG_NS0_5tupleIJPjSI_NS0_16reverse_iteratorISI_EEEEENSH_IJSG_SG_SG_EEES9_SI_JZNS1_25segmented_radix_sort_implINS0_14default_configELb0EPKsPsPKlPlN2at6native12_GLOBAL__N_18offset_tEEE10hipError_tPvRmT1_PNSt15iterator_traitsIS12_E10value_typeET2_T3_PNS13_IS18_E10value_typeET4_jRbjT5_S1E_jjP12ihipStream_tbEUljE_ZNSN_ISO_Lb0ESQ_SR_ST_SU_SY_EESZ_S10_S11_S12_S16_S17_S18_S1B_S1C_jS1D_jS1E_S1E_jjS1G_bEUljE0_EEESZ_S10_S11_S18_S1C_S1E_T6_T7_T9_mT8_S1G_bDpT10_ENKUlT_T0_E_clISt17integral_constantIbLb0EES1U_EEDaS1P_S1Q_EUlS1P_E_NS1_11comp_targetILNS1_3genE8ELNS1_11target_archE1030ELNS1_3gpuE2ELNS1_3repE0EEENS1_30default_config_static_selectorELNS0_4arch9wavefront6targetE0EEEvS12_
                                        ; -- End function
	.set _ZN7rocprim17ROCPRIM_400000_NS6detail17trampoline_kernelINS0_13select_configILj256ELj13ELNS0_17block_load_methodE3ELS4_3ELS4_3ELNS0_20block_scan_algorithmE0ELj4294967295EEENS1_25partition_config_selectorILNS1_17partition_subalgoE4EjNS0_10empty_typeEbEEZZNS1_14partition_implILS8_4ELb0ES6_15HIP_vector_typeIjLj2EENS0_17counting_iteratorIjlEEPS9_SG_NS0_5tupleIJPjSI_NS0_16reverse_iteratorISI_EEEEENSH_IJSG_SG_SG_EEES9_SI_JZNS1_25segmented_radix_sort_implINS0_14default_configELb0EPKsPsPKlPlN2at6native12_GLOBAL__N_18offset_tEEE10hipError_tPvRmT1_PNSt15iterator_traitsIS12_E10value_typeET2_T3_PNS13_IS18_E10value_typeET4_jRbjT5_S1E_jjP12ihipStream_tbEUljE_ZNSN_ISO_Lb0ESQ_SR_ST_SU_SY_EESZ_S10_S11_S12_S16_S17_S18_S1B_S1C_jS1D_jS1E_S1E_jjS1G_bEUljE0_EEESZ_S10_S11_S18_S1C_S1E_T6_T7_T9_mT8_S1G_bDpT10_ENKUlT_T0_E_clISt17integral_constantIbLb0EES1U_EEDaS1P_S1Q_EUlS1P_E_NS1_11comp_targetILNS1_3genE8ELNS1_11target_archE1030ELNS1_3gpuE2ELNS1_3repE0EEENS1_30default_config_static_selectorELNS0_4arch9wavefront6targetE0EEEvS12_.num_vgpr, 82
	.set _ZN7rocprim17ROCPRIM_400000_NS6detail17trampoline_kernelINS0_13select_configILj256ELj13ELNS0_17block_load_methodE3ELS4_3ELS4_3ELNS0_20block_scan_algorithmE0ELj4294967295EEENS1_25partition_config_selectorILNS1_17partition_subalgoE4EjNS0_10empty_typeEbEEZZNS1_14partition_implILS8_4ELb0ES6_15HIP_vector_typeIjLj2EENS0_17counting_iteratorIjlEEPS9_SG_NS0_5tupleIJPjSI_NS0_16reverse_iteratorISI_EEEEENSH_IJSG_SG_SG_EEES9_SI_JZNS1_25segmented_radix_sort_implINS0_14default_configELb0EPKsPsPKlPlN2at6native12_GLOBAL__N_18offset_tEEE10hipError_tPvRmT1_PNSt15iterator_traitsIS12_E10value_typeET2_T3_PNS13_IS18_E10value_typeET4_jRbjT5_S1E_jjP12ihipStream_tbEUljE_ZNSN_ISO_Lb0ESQ_SR_ST_SU_SY_EESZ_S10_S11_S12_S16_S17_S18_S1B_S1C_jS1D_jS1E_S1E_jjS1G_bEUljE0_EEESZ_S10_S11_S18_S1C_S1E_T6_T7_T9_mT8_S1G_bDpT10_ENKUlT_T0_E_clISt17integral_constantIbLb0EES1U_EEDaS1P_S1Q_EUlS1P_E_NS1_11comp_targetILNS1_3genE8ELNS1_11target_archE1030ELNS1_3gpuE2ELNS1_3repE0EEENS1_30default_config_static_selectorELNS0_4arch9wavefront6targetE0EEEvS12_.num_agpr, 0
	.set _ZN7rocprim17ROCPRIM_400000_NS6detail17trampoline_kernelINS0_13select_configILj256ELj13ELNS0_17block_load_methodE3ELS4_3ELS4_3ELNS0_20block_scan_algorithmE0ELj4294967295EEENS1_25partition_config_selectorILNS1_17partition_subalgoE4EjNS0_10empty_typeEbEEZZNS1_14partition_implILS8_4ELb0ES6_15HIP_vector_typeIjLj2EENS0_17counting_iteratorIjlEEPS9_SG_NS0_5tupleIJPjSI_NS0_16reverse_iteratorISI_EEEEENSH_IJSG_SG_SG_EEES9_SI_JZNS1_25segmented_radix_sort_implINS0_14default_configELb0EPKsPsPKlPlN2at6native12_GLOBAL__N_18offset_tEEE10hipError_tPvRmT1_PNSt15iterator_traitsIS12_E10value_typeET2_T3_PNS13_IS18_E10value_typeET4_jRbjT5_S1E_jjP12ihipStream_tbEUljE_ZNSN_ISO_Lb0ESQ_SR_ST_SU_SY_EESZ_S10_S11_S12_S16_S17_S18_S1B_S1C_jS1D_jS1E_S1E_jjS1G_bEUljE0_EEESZ_S10_S11_S18_S1C_S1E_T6_T7_T9_mT8_S1G_bDpT10_ENKUlT_T0_E_clISt17integral_constantIbLb0EES1U_EEDaS1P_S1Q_EUlS1P_E_NS1_11comp_targetILNS1_3genE8ELNS1_11target_archE1030ELNS1_3gpuE2ELNS1_3repE0EEENS1_30default_config_static_selectorELNS0_4arch9wavefront6targetE0EEEvS12_.numbered_sgpr, 59
	.set _ZN7rocprim17ROCPRIM_400000_NS6detail17trampoline_kernelINS0_13select_configILj256ELj13ELNS0_17block_load_methodE3ELS4_3ELS4_3ELNS0_20block_scan_algorithmE0ELj4294967295EEENS1_25partition_config_selectorILNS1_17partition_subalgoE4EjNS0_10empty_typeEbEEZZNS1_14partition_implILS8_4ELb0ES6_15HIP_vector_typeIjLj2EENS0_17counting_iteratorIjlEEPS9_SG_NS0_5tupleIJPjSI_NS0_16reverse_iteratorISI_EEEEENSH_IJSG_SG_SG_EEES9_SI_JZNS1_25segmented_radix_sort_implINS0_14default_configELb0EPKsPsPKlPlN2at6native12_GLOBAL__N_18offset_tEEE10hipError_tPvRmT1_PNSt15iterator_traitsIS12_E10value_typeET2_T3_PNS13_IS18_E10value_typeET4_jRbjT5_S1E_jjP12ihipStream_tbEUljE_ZNSN_ISO_Lb0ESQ_SR_ST_SU_SY_EESZ_S10_S11_S12_S16_S17_S18_S1B_S1C_jS1D_jS1E_S1E_jjS1G_bEUljE0_EEESZ_S10_S11_S18_S1C_S1E_T6_T7_T9_mT8_S1G_bDpT10_ENKUlT_T0_E_clISt17integral_constantIbLb0EES1U_EEDaS1P_S1Q_EUlS1P_E_NS1_11comp_targetILNS1_3genE8ELNS1_11target_archE1030ELNS1_3gpuE2ELNS1_3repE0EEENS1_30default_config_static_selectorELNS0_4arch9wavefront6targetE0EEEvS12_.num_named_barrier, 0
	.set _ZN7rocprim17ROCPRIM_400000_NS6detail17trampoline_kernelINS0_13select_configILj256ELj13ELNS0_17block_load_methodE3ELS4_3ELS4_3ELNS0_20block_scan_algorithmE0ELj4294967295EEENS1_25partition_config_selectorILNS1_17partition_subalgoE4EjNS0_10empty_typeEbEEZZNS1_14partition_implILS8_4ELb0ES6_15HIP_vector_typeIjLj2EENS0_17counting_iteratorIjlEEPS9_SG_NS0_5tupleIJPjSI_NS0_16reverse_iteratorISI_EEEEENSH_IJSG_SG_SG_EEES9_SI_JZNS1_25segmented_radix_sort_implINS0_14default_configELb0EPKsPsPKlPlN2at6native12_GLOBAL__N_18offset_tEEE10hipError_tPvRmT1_PNSt15iterator_traitsIS12_E10value_typeET2_T3_PNS13_IS18_E10value_typeET4_jRbjT5_S1E_jjP12ihipStream_tbEUljE_ZNSN_ISO_Lb0ESQ_SR_ST_SU_SY_EESZ_S10_S11_S12_S16_S17_S18_S1B_S1C_jS1D_jS1E_S1E_jjS1G_bEUljE0_EEESZ_S10_S11_S18_S1C_S1E_T6_T7_T9_mT8_S1G_bDpT10_ENKUlT_T0_E_clISt17integral_constantIbLb0EES1U_EEDaS1P_S1Q_EUlS1P_E_NS1_11comp_targetILNS1_3genE8ELNS1_11target_archE1030ELNS1_3gpuE2ELNS1_3repE0EEENS1_30default_config_static_selectorELNS0_4arch9wavefront6targetE0EEEvS12_.private_seg_size, 0
	.set _ZN7rocprim17ROCPRIM_400000_NS6detail17trampoline_kernelINS0_13select_configILj256ELj13ELNS0_17block_load_methodE3ELS4_3ELS4_3ELNS0_20block_scan_algorithmE0ELj4294967295EEENS1_25partition_config_selectorILNS1_17partition_subalgoE4EjNS0_10empty_typeEbEEZZNS1_14partition_implILS8_4ELb0ES6_15HIP_vector_typeIjLj2EENS0_17counting_iteratorIjlEEPS9_SG_NS0_5tupleIJPjSI_NS0_16reverse_iteratorISI_EEEEENSH_IJSG_SG_SG_EEES9_SI_JZNS1_25segmented_radix_sort_implINS0_14default_configELb0EPKsPsPKlPlN2at6native12_GLOBAL__N_18offset_tEEE10hipError_tPvRmT1_PNSt15iterator_traitsIS12_E10value_typeET2_T3_PNS13_IS18_E10value_typeET4_jRbjT5_S1E_jjP12ihipStream_tbEUljE_ZNSN_ISO_Lb0ESQ_SR_ST_SU_SY_EESZ_S10_S11_S12_S16_S17_S18_S1B_S1C_jS1D_jS1E_S1E_jjS1G_bEUljE0_EEESZ_S10_S11_S18_S1C_S1E_T6_T7_T9_mT8_S1G_bDpT10_ENKUlT_T0_E_clISt17integral_constantIbLb0EES1U_EEDaS1P_S1Q_EUlS1P_E_NS1_11comp_targetILNS1_3genE8ELNS1_11target_archE1030ELNS1_3gpuE2ELNS1_3repE0EEENS1_30default_config_static_selectorELNS0_4arch9wavefront6targetE0EEEvS12_.uses_vcc, 1
	.set _ZN7rocprim17ROCPRIM_400000_NS6detail17trampoline_kernelINS0_13select_configILj256ELj13ELNS0_17block_load_methodE3ELS4_3ELS4_3ELNS0_20block_scan_algorithmE0ELj4294967295EEENS1_25partition_config_selectorILNS1_17partition_subalgoE4EjNS0_10empty_typeEbEEZZNS1_14partition_implILS8_4ELb0ES6_15HIP_vector_typeIjLj2EENS0_17counting_iteratorIjlEEPS9_SG_NS0_5tupleIJPjSI_NS0_16reverse_iteratorISI_EEEEENSH_IJSG_SG_SG_EEES9_SI_JZNS1_25segmented_radix_sort_implINS0_14default_configELb0EPKsPsPKlPlN2at6native12_GLOBAL__N_18offset_tEEE10hipError_tPvRmT1_PNSt15iterator_traitsIS12_E10value_typeET2_T3_PNS13_IS18_E10value_typeET4_jRbjT5_S1E_jjP12ihipStream_tbEUljE_ZNSN_ISO_Lb0ESQ_SR_ST_SU_SY_EESZ_S10_S11_S12_S16_S17_S18_S1B_S1C_jS1D_jS1E_S1E_jjS1G_bEUljE0_EEESZ_S10_S11_S18_S1C_S1E_T6_T7_T9_mT8_S1G_bDpT10_ENKUlT_T0_E_clISt17integral_constantIbLb0EES1U_EEDaS1P_S1Q_EUlS1P_E_NS1_11comp_targetILNS1_3genE8ELNS1_11target_archE1030ELNS1_3gpuE2ELNS1_3repE0EEENS1_30default_config_static_selectorELNS0_4arch9wavefront6targetE0EEEvS12_.uses_flat_scratch, 0
	.set _ZN7rocprim17ROCPRIM_400000_NS6detail17trampoline_kernelINS0_13select_configILj256ELj13ELNS0_17block_load_methodE3ELS4_3ELS4_3ELNS0_20block_scan_algorithmE0ELj4294967295EEENS1_25partition_config_selectorILNS1_17partition_subalgoE4EjNS0_10empty_typeEbEEZZNS1_14partition_implILS8_4ELb0ES6_15HIP_vector_typeIjLj2EENS0_17counting_iteratorIjlEEPS9_SG_NS0_5tupleIJPjSI_NS0_16reverse_iteratorISI_EEEEENSH_IJSG_SG_SG_EEES9_SI_JZNS1_25segmented_radix_sort_implINS0_14default_configELb0EPKsPsPKlPlN2at6native12_GLOBAL__N_18offset_tEEE10hipError_tPvRmT1_PNSt15iterator_traitsIS12_E10value_typeET2_T3_PNS13_IS18_E10value_typeET4_jRbjT5_S1E_jjP12ihipStream_tbEUljE_ZNSN_ISO_Lb0ESQ_SR_ST_SU_SY_EESZ_S10_S11_S12_S16_S17_S18_S1B_S1C_jS1D_jS1E_S1E_jjS1G_bEUljE0_EEESZ_S10_S11_S18_S1C_S1E_T6_T7_T9_mT8_S1G_bDpT10_ENKUlT_T0_E_clISt17integral_constantIbLb0EES1U_EEDaS1P_S1Q_EUlS1P_E_NS1_11comp_targetILNS1_3genE8ELNS1_11target_archE1030ELNS1_3gpuE2ELNS1_3repE0EEENS1_30default_config_static_selectorELNS0_4arch9wavefront6targetE0EEEvS12_.has_dyn_sized_stack, 0
	.set _ZN7rocprim17ROCPRIM_400000_NS6detail17trampoline_kernelINS0_13select_configILj256ELj13ELNS0_17block_load_methodE3ELS4_3ELS4_3ELNS0_20block_scan_algorithmE0ELj4294967295EEENS1_25partition_config_selectorILNS1_17partition_subalgoE4EjNS0_10empty_typeEbEEZZNS1_14partition_implILS8_4ELb0ES6_15HIP_vector_typeIjLj2EENS0_17counting_iteratorIjlEEPS9_SG_NS0_5tupleIJPjSI_NS0_16reverse_iteratorISI_EEEEENSH_IJSG_SG_SG_EEES9_SI_JZNS1_25segmented_radix_sort_implINS0_14default_configELb0EPKsPsPKlPlN2at6native12_GLOBAL__N_18offset_tEEE10hipError_tPvRmT1_PNSt15iterator_traitsIS12_E10value_typeET2_T3_PNS13_IS18_E10value_typeET4_jRbjT5_S1E_jjP12ihipStream_tbEUljE_ZNSN_ISO_Lb0ESQ_SR_ST_SU_SY_EESZ_S10_S11_S12_S16_S17_S18_S1B_S1C_jS1D_jS1E_S1E_jjS1G_bEUljE0_EEESZ_S10_S11_S18_S1C_S1E_T6_T7_T9_mT8_S1G_bDpT10_ENKUlT_T0_E_clISt17integral_constantIbLb0EES1U_EEDaS1P_S1Q_EUlS1P_E_NS1_11comp_targetILNS1_3genE8ELNS1_11target_archE1030ELNS1_3gpuE2ELNS1_3repE0EEENS1_30default_config_static_selectorELNS0_4arch9wavefront6targetE0EEEvS12_.has_recursion, 0
	.set _ZN7rocprim17ROCPRIM_400000_NS6detail17trampoline_kernelINS0_13select_configILj256ELj13ELNS0_17block_load_methodE3ELS4_3ELS4_3ELNS0_20block_scan_algorithmE0ELj4294967295EEENS1_25partition_config_selectorILNS1_17partition_subalgoE4EjNS0_10empty_typeEbEEZZNS1_14partition_implILS8_4ELb0ES6_15HIP_vector_typeIjLj2EENS0_17counting_iteratorIjlEEPS9_SG_NS0_5tupleIJPjSI_NS0_16reverse_iteratorISI_EEEEENSH_IJSG_SG_SG_EEES9_SI_JZNS1_25segmented_radix_sort_implINS0_14default_configELb0EPKsPsPKlPlN2at6native12_GLOBAL__N_18offset_tEEE10hipError_tPvRmT1_PNSt15iterator_traitsIS12_E10value_typeET2_T3_PNS13_IS18_E10value_typeET4_jRbjT5_S1E_jjP12ihipStream_tbEUljE_ZNSN_ISO_Lb0ESQ_SR_ST_SU_SY_EESZ_S10_S11_S12_S16_S17_S18_S1B_S1C_jS1D_jS1E_S1E_jjS1G_bEUljE0_EEESZ_S10_S11_S18_S1C_S1E_T6_T7_T9_mT8_S1G_bDpT10_ENKUlT_T0_E_clISt17integral_constantIbLb0EES1U_EEDaS1P_S1Q_EUlS1P_E_NS1_11comp_targetILNS1_3genE8ELNS1_11target_archE1030ELNS1_3gpuE2ELNS1_3repE0EEENS1_30default_config_static_selectorELNS0_4arch9wavefront6targetE0EEEvS12_.has_indirect_call, 0
	.section	.AMDGPU.csdata,"",@progbits
; Kernel info:
; codeLenInByte = 16236
; TotalNumSgprs: 61
; NumVgprs: 82
; ScratchSize: 0
; MemoryBound: 0
; FloatMode: 240
; IeeeMode: 1
; LDSByteSize: 13328 bytes/workgroup (compile time only)
; SGPRBlocks: 0
; VGPRBlocks: 10
; NumSGPRsForWavesPerEU: 61
; NumVGPRsForWavesPerEU: 82
; Occupancy: 10
; WaveLimiterHint : 1
; COMPUTE_PGM_RSRC2:SCRATCH_EN: 0
; COMPUTE_PGM_RSRC2:USER_SGPR: 6
; COMPUTE_PGM_RSRC2:TRAP_HANDLER: 0
; COMPUTE_PGM_RSRC2:TGID_X_EN: 1
; COMPUTE_PGM_RSRC2:TGID_Y_EN: 0
; COMPUTE_PGM_RSRC2:TGID_Z_EN: 0
; COMPUTE_PGM_RSRC2:TIDIG_COMP_CNT: 0
	.section	.text._ZN7rocprim17ROCPRIM_400000_NS6detail17trampoline_kernelINS0_13select_configILj256ELj13ELNS0_17block_load_methodE3ELS4_3ELS4_3ELNS0_20block_scan_algorithmE0ELj4294967295EEENS1_25partition_config_selectorILNS1_17partition_subalgoE4EjNS0_10empty_typeEbEEZZNS1_14partition_implILS8_4ELb0ES6_15HIP_vector_typeIjLj2EENS0_17counting_iteratorIjlEEPS9_SG_NS0_5tupleIJPjSI_NS0_16reverse_iteratorISI_EEEEENSH_IJSG_SG_SG_EEES9_SI_JZNS1_25segmented_radix_sort_implINS0_14default_configELb0EPKsPsPKlPlN2at6native12_GLOBAL__N_18offset_tEEE10hipError_tPvRmT1_PNSt15iterator_traitsIS12_E10value_typeET2_T3_PNS13_IS18_E10value_typeET4_jRbjT5_S1E_jjP12ihipStream_tbEUljE_ZNSN_ISO_Lb0ESQ_SR_ST_SU_SY_EESZ_S10_S11_S12_S16_S17_S18_S1B_S1C_jS1D_jS1E_S1E_jjS1G_bEUljE0_EEESZ_S10_S11_S18_S1C_S1E_T6_T7_T9_mT8_S1G_bDpT10_ENKUlT_T0_E_clISt17integral_constantIbLb1EES1U_EEDaS1P_S1Q_EUlS1P_E_NS1_11comp_targetILNS1_3genE0ELNS1_11target_archE4294967295ELNS1_3gpuE0ELNS1_3repE0EEENS1_30default_config_static_selectorELNS0_4arch9wavefront6targetE0EEEvS12_,"axG",@progbits,_ZN7rocprim17ROCPRIM_400000_NS6detail17trampoline_kernelINS0_13select_configILj256ELj13ELNS0_17block_load_methodE3ELS4_3ELS4_3ELNS0_20block_scan_algorithmE0ELj4294967295EEENS1_25partition_config_selectorILNS1_17partition_subalgoE4EjNS0_10empty_typeEbEEZZNS1_14partition_implILS8_4ELb0ES6_15HIP_vector_typeIjLj2EENS0_17counting_iteratorIjlEEPS9_SG_NS0_5tupleIJPjSI_NS0_16reverse_iteratorISI_EEEEENSH_IJSG_SG_SG_EEES9_SI_JZNS1_25segmented_radix_sort_implINS0_14default_configELb0EPKsPsPKlPlN2at6native12_GLOBAL__N_18offset_tEEE10hipError_tPvRmT1_PNSt15iterator_traitsIS12_E10value_typeET2_T3_PNS13_IS18_E10value_typeET4_jRbjT5_S1E_jjP12ihipStream_tbEUljE_ZNSN_ISO_Lb0ESQ_SR_ST_SU_SY_EESZ_S10_S11_S12_S16_S17_S18_S1B_S1C_jS1D_jS1E_S1E_jjS1G_bEUljE0_EEESZ_S10_S11_S18_S1C_S1E_T6_T7_T9_mT8_S1G_bDpT10_ENKUlT_T0_E_clISt17integral_constantIbLb1EES1U_EEDaS1P_S1Q_EUlS1P_E_NS1_11comp_targetILNS1_3genE0ELNS1_11target_archE4294967295ELNS1_3gpuE0ELNS1_3repE0EEENS1_30default_config_static_selectorELNS0_4arch9wavefront6targetE0EEEvS12_,comdat
	.globl	_ZN7rocprim17ROCPRIM_400000_NS6detail17trampoline_kernelINS0_13select_configILj256ELj13ELNS0_17block_load_methodE3ELS4_3ELS4_3ELNS0_20block_scan_algorithmE0ELj4294967295EEENS1_25partition_config_selectorILNS1_17partition_subalgoE4EjNS0_10empty_typeEbEEZZNS1_14partition_implILS8_4ELb0ES6_15HIP_vector_typeIjLj2EENS0_17counting_iteratorIjlEEPS9_SG_NS0_5tupleIJPjSI_NS0_16reverse_iteratorISI_EEEEENSH_IJSG_SG_SG_EEES9_SI_JZNS1_25segmented_radix_sort_implINS0_14default_configELb0EPKsPsPKlPlN2at6native12_GLOBAL__N_18offset_tEEE10hipError_tPvRmT1_PNSt15iterator_traitsIS12_E10value_typeET2_T3_PNS13_IS18_E10value_typeET4_jRbjT5_S1E_jjP12ihipStream_tbEUljE_ZNSN_ISO_Lb0ESQ_SR_ST_SU_SY_EESZ_S10_S11_S12_S16_S17_S18_S1B_S1C_jS1D_jS1E_S1E_jjS1G_bEUljE0_EEESZ_S10_S11_S18_S1C_S1E_T6_T7_T9_mT8_S1G_bDpT10_ENKUlT_T0_E_clISt17integral_constantIbLb1EES1U_EEDaS1P_S1Q_EUlS1P_E_NS1_11comp_targetILNS1_3genE0ELNS1_11target_archE4294967295ELNS1_3gpuE0ELNS1_3repE0EEENS1_30default_config_static_selectorELNS0_4arch9wavefront6targetE0EEEvS12_ ; -- Begin function _ZN7rocprim17ROCPRIM_400000_NS6detail17trampoline_kernelINS0_13select_configILj256ELj13ELNS0_17block_load_methodE3ELS4_3ELS4_3ELNS0_20block_scan_algorithmE0ELj4294967295EEENS1_25partition_config_selectorILNS1_17partition_subalgoE4EjNS0_10empty_typeEbEEZZNS1_14partition_implILS8_4ELb0ES6_15HIP_vector_typeIjLj2EENS0_17counting_iteratorIjlEEPS9_SG_NS0_5tupleIJPjSI_NS0_16reverse_iteratorISI_EEEEENSH_IJSG_SG_SG_EEES9_SI_JZNS1_25segmented_radix_sort_implINS0_14default_configELb0EPKsPsPKlPlN2at6native12_GLOBAL__N_18offset_tEEE10hipError_tPvRmT1_PNSt15iterator_traitsIS12_E10value_typeET2_T3_PNS13_IS18_E10value_typeET4_jRbjT5_S1E_jjP12ihipStream_tbEUljE_ZNSN_ISO_Lb0ESQ_SR_ST_SU_SY_EESZ_S10_S11_S12_S16_S17_S18_S1B_S1C_jS1D_jS1E_S1E_jjS1G_bEUljE0_EEESZ_S10_S11_S18_S1C_S1E_T6_T7_T9_mT8_S1G_bDpT10_ENKUlT_T0_E_clISt17integral_constantIbLb1EES1U_EEDaS1P_S1Q_EUlS1P_E_NS1_11comp_targetILNS1_3genE0ELNS1_11target_archE4294967295ELNS1_3gpuE0ELNS1_3repE0EEENS1_30default_config_static_selectorELNS0_4arch9wavefront6targetE0EEEvS12_
	.p2align	8
	.type	_ZN7rocprim17ROCPRIM_400000_NS6detail17trampoline_kernelINS0_13select_configILj256ELj13ELNS0_17block_load_methodE3ELS4_3ELS4_3ELNS0_20block_scan_algorithmE0ELj4294967295EEENS1_25partition_config_selectorILNS1_17partition_subalgoE4EjNS0_10empty_typeEbEEZZNS1_14partition_implILS8_4ELb0ES6_15HIP_vector_typeIjLj2EENS0_17counting_iteratorIjlEEPS9_SG_NS0_5tupleIJPjSI_NS0_16reverse_iteratorISI_EEEEENSH_IJSG_SG_SG_EEES9_SI_JZNS1_25segmented_radix_sort_implINS0_14default_configELb0EPKsPsPKlPlN2at6native12_GLOBAL__N_18offset_tEEE10hipError_tPvRmT1_PNSt15iterator_traitsIS12_E10value_typeET2_T3_PNS13_IS18_E10value_typeET4_jRbjT5_S1E_jjP12ihipStream_tbEUljE_ZNSN_ISO_Lb0ESQ_SR_ST_SU_SY_EESZ_S10_S11_S12_S16_S17_S18_S1B_S1C_jS1D_jS1E_S1E_jjS1G_bEUljE0_EEESZ_S10_S11_S18_S1C_S1E_T6_T7_T9_mT8_S1G_bDpT10_ENKUlT_T0_E_clISt17integral_constantIbLb1EES1U_EEDaS1P_S1Q_EUlS1P_E_NS1_11comp_targetILNS1_3genE0ELNS1_11target_archE4294967295ELNS1_3gpuE0ELNS1_3repE0EEENS1_30default_config_static_selectorELNS0_4arch9wavefront6targetE0EEEvS12_,@function
_ZN7rocprim17ROCPRIM_400000_NS6detail17trampoline_kernelINS0_13select_configILj256ELj13ELNS0_17block_load_methodE3ELS4_3ELS4_3ELNS0_20block_scan_algorithmE0ELj4294967295EEENS1_25partition_config_selectorILNS1_17partition_subalgoE4EjNS0_10empty_typeEbEEZZNS1_14partition_implILS8_4ELb0ES6_15HIP_vector_typeIjLj2EENS0_17counting_iteratorIjlEEPS9_SG_NS0_5tupleIJPjSI_NS0_16reverse_iteratorISI_EEEEENSH_IJSG_SG_SG_EEES9_SI_JZNS1_25segmented_radix_sort_implINS0_14default_configELb0EPKsPsPKlPlN2at6native12_GLOBAL__N_18offset_tEEE10hipError_tPvRmT1_PNSt15iterator_traitsIS12_E10value_typeET2_T3_PNS13_IS18_E10value_typeET4_jRbjT5_S1E_jjP12ihipStream_tbEUljE_ZNSN_ISO_Lb0ESQ_SR_ST_SU_SY_EESZ_S10_S11_S12_S16_S17_S18_S1B_S1C_jS1D_jS1E_S1E_jjS1G_bEUljE0_EEESZ_S10_S11_S18_S1C_S1E_T6_T7_T9_mT8_S1G_bDpT10_ENKUlT_T0_E_clISt17integral_constantIbLb1EES1U_EEDaS1P_S1Q_EUlS1P_E_NS1_11comp_targetILNS1_3genE0ELNS1_11target_archE4294967295ELNS1_3gpuE0ELNS1_3repE0EEENS1_30default_config_static_selectorELNS0_4arch9wavefront6targetE0EEEvS12_: ; @_ZN7rocprim17ROCPRIM_400000_NS6detail17trampoline_kernelINS0_13select_configILj256ELj13ELNS0_17block_load_methodE3ELS4_3ELS4_3ELNS0_20block_scan_algorithmE0ELj4294967295EEENS1_25partition_config_selectorILNS1_17partition_subalgoE4EjNS0_10empty_typeEbEEZZNS1_14partition_implILS8_4ELb0ES6_15HIP_vector_typeIjLj2EENS0_17counting_iteratorIjlEEPS9_SG_NS0_5tupleIJPjSI_NS0_16reverse_iteratorISI_EEEEENSH_IJSG_SG_SG_EEES9_SI_JZNS1_25segmented_radix_sort_implINS0_14default_configELb0EPKsPsPKlPlN2at6native12_GLOBAL__N_18offset_tEEE10hipError_tPvRmT1_PNSt15iterator_traitsIS12_E10value_typeET2_T3_PNS13_IS18_E10value_typeET4_jRbjT5_S1E_jjP12ihipStream_tbEUljE_ZNSN_ISO_Lb0ESQ_SR_ST_SU_SY_EESZ_S10_S11_S12_S16_S17_S18_S1B_S1C_jS1D_jS1E_S1E_jjS1G_bEUljE0_EEESZ_S10_S11_S18_S1C_S1E_T6_T7_T9_mT8_S1G_bDpT10_ENKUlT_T0_E_clISt17integral_constantIbLb1EES1U_EEDaS1P_S1Q_EUlS1P_E_NS1_11comp_targetILNS1_3genE0ELNS1_11target_archE4294967295ELNS1_3gpuE0ELNS1_3repE0EEENS1_30default_config_static_selectorELNS0_4arch9wavefront6targetE0EEEvS12_
; %bb.0:
	.section	.rodata,"a",@progbits
	.p2align	6, 0x0
	.amdhsa_kernel _ZN7rocprim17ROCPRIM_400000_NS6detail17trampoline_kernelINS0_13select_configILj256ELj13ELNS0_17block_load_methodE3ELS4_3ELS4_3ELNS0_20block_scan_algorithmE0ELj4294967295EEENS1_25partition_config_selectorILNS1_17partition_subalgoE4EjNS0_10empty_typeEbEEZZNS1_14partition_implILS8_4ELb0ES6_15HIP_vector_typeIjLj2EENS0_17counting_iteratorIjlEEPS9_SG_NS0_5tupleIJPjSI_NS0_16reverse_iteratorISI_EEEEENSH_IJSG_SG_SG_EEES9_SI_JZNS1_25segmented_radix_sort_implINS0_14default_configELb0EPKsPsPKlPlN2at6native12_GLOBAL__N_18offset_tEEE10hipError_tPvRmT1_PNSt15iterator_traitsIS12_E10value_typeET2_T3_PNS13_IS18_E10value_typeET4_jRbjT5_S1E_jjP12ihipStream_tbEUljE_ZNSN_ISO_Lb0ESQ_SR_ST_SU_SY_EESZ_S10_S11_S12_S16_S17_S18_S1B_S1C_jS1D_jS1E_S1E_jjS1G_bEUljE0_EEESZ_S10_S11_S18_S1C_S1E_T6_T7_T9_mT8_S1G_bDpT10_ENKUlT_T0_E_clISt17integral_constantIbLb1EES1U_EEDaS1P_S1Q_EUlS1P_E_NS1_11comp_targetILNS1_3genE0ELNS1_11target_archE4294967295ELNS1_3gpuE0ELNS1_3repE0EEENS1_30default_config_static_selectorELNS0_4arch9wavefront6targetE0EEEvS12_
		.amdhsa_group_segment_fixed_size 0
		.amdhsa_private_segment_fixed_size 0
		.amdhsa_kernarg_size 184
		.amdhsa_user_sgpr_count 6
		.amdhsa_user_sgpr_private_segment_buffer 1
		.amdhsa_user_sgpr_dispatch_ptr 0
		.amdhsa_user_sgpr_queue_ptr 0
		.amdhsa_user_sgpr_kernarg_segment_ptr 1
		.amdhsa_user_sgpr_dispatch_id 0
		.amdhsa_user_sgpr_flat_scratch_init 0
		.amdhsa_user_sgpr_private_segment_size 0
		.amdhsa_wavefront_size32 1
		.amdhsa_uses_dynamic_stack 0
		.amdhsa_system_sgpr_private_segment_wavefront_offset 0
		.amdhsa_system_sgpr_workgroup_id_x 1
		.amdhsa_system_sgpr_workgroup_id_y 0
		.amdhsa_system_sgpr_workgroup_id_z 0
		.amdhsa_system_sgpr_workgroup_info 0
		.amdhsa_system_vgpr_workitem_id 0
		.amdhsa_next_free_vgpr 1
		.amdhsa_next_free_sgpr 1
		.amdhsa_reserve_vcc 0
		.amdhsa_reserve_flat_scratch 0
		.amdhsa_float_round_mode_32 0
		.amdhsa_float_round_mode_16_64 0
		.amdhsa_float_denorm_mode_32 3
		.amdhsa_float_denorm_mode_16_64 3
		.amdhsa_dx10_clamp 1
		.amdhsa_ieee_mode 1
		.amdhsa_fp16_overflow 0
		.amdhsa_workgroup_processor_mode 1
		.amdhsa_memory_ordered 1
		.amdhsa_forward_progress 1
		.amdhsa_shared_vgpr_count 0
		.amdhsa_exception_fp_ieee_invalid_op 0
		.amdhsa_exception_fp_denorm_src 0
		.amdhsa_exception_fp_ieee_div_zero 0
		.amdhsa_exception_fp_ieee_overflow 0
		.amdhsa_exception_fp_ieee_underflow 0
		.amdhsa_exception_fp_ieee_inexact 0
		.amdhsa_exception_int_div_zero 0
	.end_amdhsa_kernel
	.section	.text._ZN7rocprim17ROCPRIM_400000_NS6detail17trampoline_kernelINS0_13select_configILj256ELj13ELNS0_17block_load_methodE3ELS4_3ELS4_3ELNS0_20block_scan_algorithmE0ELj4294967295EEENS1_25partition_config_selectorILNS1_17partition_subalgoE4EjNS0_10empty_typeEbEEZZNS1_14partition_implILS8_4ELb0ES6_15HIP_vector_typeIjLj2EENS0_17counting_iteratorIjlEEPS9_SG_NS0_5tupleIJPjSI_NS0_16reverse_iteratorISI_EEEEENSH_IJSG_SG_SG_EEES9_SI_JZNS1_25segmented_radix_sort_implINS0_14default_configELb0EPKsPsPKlPlN2at6native12_GLOBAL__N_18offset_tEEE10hipError_tPvRmT1_PNSt15iterator_traitsIS12_E10value_typeET2_T3_PNS13_IS18_E10value_typeET4_jRbjT5_S1E_jjP12ihipStream_tbEUljE_ZNSN_ISO_Lb0ESQ_SR_ST_SU_SY_EESZ_S10_S11_S12_S16_S17_S18_S1B_S1C_jS1D_jS1E_S1E_jjS1G_bEUljE0_EEESZ_S10_S11_S18_S1C_S1E_T6_T7_T9_mT8_S1G_bDpT10_ENKUlT_T0_E_clISt17integral_constantIbLb1EES1U_EEDaS1P_S1Q_EUlS1P_E_NS1_11comp_targetILNS1_3genE0ELNS1_11target_archE4294967295ELNS1_3gpuE0ELNS1_3repE0EEENS1_30default_config_static_selectorELNS0_4arch9wavefront6targetE0EEEvS12_,"axG",@progbits,_ZN7rocprim17ROCPRIM_400000_NS6detail17trampoline_kernelINS0_13select_configILj256ELj13ELNS0_17block_load_methodE3ELS4_3ELS4_3ELNS0_20block_scan_algorithmE0ELj4294967295EEENS1_25partition_config_selectorILNS1_17partition_subalgoE4EjNS0_10empty_typeEbEEZZNS1_14partition_implILS8_4ELb0ES6_15HIP_vector_typeIjLj2EENS0_17counting_iteratorIjlEEPS9_SG_NS0_5tupleIJPjSI_NS0_16reverse_iteratorISI_EEEEENSH_IJSG_SG_SG_EEES9_SI_JZNS1_25segmented_radix_sort_implINS0_14default_configELb0EPKsPsPKlPlN2at6native12_GLOBAL__N_18offset_tEEE10hipError_tPvRmT1_PNSt15iterator_traitsIS12_E10value_typeET2_T3_PNS13_IS18_E10value_typeET4_jRbjT5_S1E_jjP12ihipStream_tbEUljE_ZNSN_ISO_Lb0ESQ_SR_ST_SU_SY_EESZ_S10_S11_S12_S16_S17_S18_S1B_S1C_jS1D_jS1E_S1E_jjS1G_bEUljE0_EEESZ_S10_S11_S18_S1C_S1E_T6_T7_T9_mT8_S1G_bDpT10_ENKUlT_T0_E_clISt17integral_constantIbLb1EES1U_EEDaS1P_S1Q_EUlS1P_E_NS1_11comp_targetILNS1_3genE0ELNS1_11target_archE4294967295ELNS1_3gpuE0ELNS1_3repE0EEENS1_30default_config_static_selectorELNS0_4arch9wavefront6targetE0EEEvS12_,comdat
.Lfunc_end951:
	.size	_ZN7rocprim17ROCPRIM_400000_NS6detail17trampoline_kernelINS0_13select_configILj256ELj13ELNS0_17block_load_methodE3ELS4_3ELS4_3ELNS0_20block_scan_algorithmE0ELj4294967295EEENS1_25partition_config_selectorILNS1_17partition_subalgoE4EjNS0_10empty_typeEbEEZZNS1_14partition_implILS8_4ELb0ES6_15HIP_vector_typeIjLj2EENS0_17counting_iteratorIjlEEPS9_SG_NS0_5tupleIJPjSI_NS0_16reverse_iteratorISI_EEEEENSH_IJSG_SG_SG_EEES9_SI_JZNS1_25segmented_radix_sort_implINS0_14default_configELb0EPKsPsPKlPlN2at6native12_GLOBAL__N_18offset_tEEE10hipError_tPvRmT1_PNSt15iterator_traitsIS12_E10value_typeET2_T3_PNS13_IS18_E10value_typeET4_jRbjT5_S1E_jjP12ihipStream_tbEUljE_ZNSN_ISO_Lb0ESQ_SR_ST_SU_SY_EESZ_S10_S11_S12_S16_S17_S18_S1B_S1C_jS1D_jS1E_S1E_jjS1G_bEUljE0_EEESZ_S10_S11_S18_S1C_S1E_T6_T7_T9_mT8_S1G_bDpT10_ENKUlT_T0_E_clISt17integral_constantIbLb1EES1U_EEDaS1P_S1Q_EUlS1P_E_NS1_11comp_targetILNS1_3genE0ELNS1_11target_archE4294967295ELNS1_3gpuE0ELNS1_3repE0EEENS1_30default_config_static_selectorELNS0_4arch9wavefront6targetE0EEEvS12_, .Lfunc_end951-_ZN7rocprim17ROCPRIM_400000_NS6detail17trampoline_kernelINS0_13select_configILj256ELj13ELNS0_17block_load_methodE3ELS4_3ELS4_3ELNS0_20block_scan_algorithmE0ELj4294967295EEENS1_25partition_config_selectorILNS1_17partition_subalgoE4EjNS0_10empty_typeEbEEZZNS1_14partition_implILS8_4ELb0ES6_15HIP_vector_typeIjLj2EENS0_17counting_iteratorIjlEEPS9_SG_NS0_5tupleIJPjSI_NS0_16reverse_iteratorISI_EEEEENSH_IJSG_SG_SG_EEES9_SI_JZNS1_25segmented_radix_sort_implINS0_14default_configELb0EPKsPsPKlPlN2at6native12_GLOBAL__N_18offset_tEEE10hipError_tPvRmT1_PNSt15iterator_traitsIS12_E10value_typeET2_T3_PNS13_IS18_E10value_typeET4_jRbjT5_S1E_jjP12ihipStream_tbEUljE_ZNSN_ISO_Lb0ESQ_SR_ST_SU_SY_EESZ_S10_S11_S12_S16_S17_S18_S1B_S1C_jS1D_jS1E_S1E_jjS1G_bEUljE0_EEESZ_S10_S11_S18_S1C_S1E_T6_T7_T9_mT8_S1G_bDpT10_ENKUlT_T0_E_clISt17integral_constantIbLb1EES1U_EEDaS1P_S1Q_EUlS1P_E_NS1_11comp_targetILNS1_3genE0ELNS1_11target_archE4294967295ELNS1_3gpuE0ELNS1_3repE0EEENS1_30default_config_static_selectorELNS0_4arch9wavefront6targetE0EEEvS12_
                                        ; -- End function
	.set _ZN7rocprim17ROCPRIM_400000_NS6detail17trampoline_kernelINS0_13select_configILj256ELj13ELNS0_17block_load_methodE3ELS4_3ELS4_3ELNS0_20block_scan_algorithmE0ELj4294967295EEENS1_25partition_config_selectorILNS1_17partition_subalgoE4EjNS0_10empty_typeEbEEZZNS1_14partition_implILS8_4ELb0ES6_15HIP_vector_typeIjLj2EENS0_17counting_iteratorIjlEEPS9_SG_NS0_5tupleIJPjSI_NS0_16reverse_iteratorISI_EEEEENSH_IJSG_SG_SG_EEES9_SI_JZNS1_25segmented_radix_sort_implINS0_14default_configELb0EPKsPsPKlPlN2at6native12_GLOBAL__N_18offset_tEEE10hipError_tPvRmT1_PNSt15iterator_traitsIS12_E10value_typeET2_T3_PNS13_IS18_E10value_typeET4_jRbjT5_S1E_jjP12ihipStream_tbEUljE_ZNSN_ISO_Lb0ESQ_SR_ST_SU_SY_EESZ_S10_S11_S12_S16_S17_S18_S1B_S1C_jS1D_jS1E_S1E_jjS1G_bEUljE0_EEESZ_S10_S11_S18_S1C_S1E_T6_T7_T9_mT8_S1G_bDpT10_ENKUlT_T0_E_clISt17integral_constantIbLb1EES1U_EEDaS1P_S1Q_EUlS1P_E_NS1_11comp_targetILNS1_3genE0ELNS1_11target_archE4294967295ELNS1_3gpuE0ELNS1_3repE0EEENS1_30default_config_static_selectorELNS0_4arch9wavefront6targetE0EEEvS12_.num_vgpr, 0
	.set _ZN7rocprim17ROCPRIM_400000_NS6detail17trampoline_kernelINS0_13select_configILj256ELj13ELNS0_17block_load_methodE3ELS4_3ELS4_3ELNS0_20block_scan_algorithmE0ELj4294967295EEENS1_25partition_config_selectorILNS1_17partition_subalgoE4EjNS0_10empty_typeEbEEZZNS1_14partition_implILS8_4ELb0ES6_15HIP_vector_typeIjLj2EENS0_17counting_iteratorIjlEEPS9_SG_NS0_5tupleIJPjSI_NS0_16reverse_iteratorISI_EEEEENSH_IJSG_SG_SG_EEES9_SI_JZNS1_25segmented_radix_sort_implINS0_14default_configELb0EPKsPsPKlPlN2at6native12_GLOBAL__N_18offset_tEEE10hipError_tPvRmT1_PNSt15iterator_traitsIS12_E10value_typeET2_T3_PNS13_IS18_E10value_typeET4_jRbjT5_S1E_jjP12ihipStream_tbEUljE_ZNSN_ISO_Lb0ESQ_SR_ST_SU_SY_EESZ_S10_S11_S12_S16_S17_S18_S1B_S1C_jS1D_jS1E_S1E_jjS1G_bEUljE0_EEESZ_S10_S11_S18_S1C_S1E_T6_T7_T9_mT8_S1G_bDpT10_ENKUlT_T0_E_clISt17integral_constantIbLb1EES1U_EEDaS1P_S1Q_EUlS1P_E_NS1_11comp_targetILNS1_3genE0ELNS1_11target_archE4294967295ELNS1_3gpuE0ELNS1_3repE0EEENS1_30default_config_static_selectorELNS0_4arch9wavefront6targetE0EEEvS12_.num_agpr, 0
	.set _ZN7rocprim17ROCPRIM_400000_NS6detail17trampoline_kernelINS0_13select_configILj256ELj13ELNS0_17block_load_methodE3ELS4_3ELS4_3ELNS0_20block_scan_algorithmE0ELj4294967295EEENS1_25partition_config_selectorILNS1_17partition_subalgoE4EjNS0_10empty_typeEbEEZZNS1_14partition_implILS8_4ELb0ES6_15HIP_vector_typeIjLj2EENS0_17counting_iteratorIjlEEPS9_SG_NS0_5tupleIJPjSI_NS0_16reverse_iteratorISI_EEEEENSH_IJSG_SG_SG_EEES9_SI_JZNS1_25segmented_radix_sort_implINS0_14default_configELb0EPKsPsPKlPlN2at6native12_GLOBAL__N_18offset_tEEE10hipError_tPvRmT1_PNSt15iterator_traitsIS12_E10value_typeET2_T3_PNS13_IS18_E10value_typeET4_jRbjT5_S1E_jjP12ihipStream_tbEUljE_ZNSN_ISO_Lb0ESQ_SR_ST_SU_SY_EESZ_S10_S11_S12_S16_S17_S18_S1B_S1C_jS1D_jS1E_S1E_jjS1G_bEUljE0_EEESZ_S10_S11_S18_S1C_S1E_T6_T7_T9_mT8_S1G_bDpT10_ENKUlT_T0_E_clISt17integral_constantIbLb1EES1U_EEDaS1P_S1Q_EUlS1P_E_NS1_11comp_targetILNS1_3genE0ELNS1_11target_archE4294967295ELNS1_3gpuE0ELNS1_3repE0EEENS1_30default_config_static_selectorELNS0_4arch9wavefront6targetE0EEEvS12_.numbered_sgpr, 0
	.set _ZN7rocprim17ROCPRIM_400000_NS6detail17trampoline_kernelINS0_13select_configILj256ELj13ELNS0_17block_load_methodE3ELS4_3ELS4_3ELNS0_20block_scan_algorithmE0ELj4294967295EEENS1_25partition_config_selectorILNS1_17partition_subalgoE4EjNS0_10empty_typeEbEEZZNS1_14partition_implILS8_4ELb0ES6_15HIP_vector_typeIjLj2EENS0_17counting_iteratorIjlEEPS9_SG_NS0_5tupleIJPjSI_NS0_16reverse_iteratorISI_EEEEENSH_IJSG_SG_SG_EEES9_SI_JZNS1_25segmented_radix_sort_implINS0_14default_configELb0EPKsPsPKlPlN2at6native12_GLOBAL__N_18offset_tEEE10hipError_tPvRmT1_PNSt15iterator_traitsIS12_E10value_typeET2_T3_PNS13_IS18_E10value_typeET4_jRbjT5_S1E_jjP12ihipStream_tbEUljE_ZNSN_ISO_Lb0ESQ_SR_ST_SU_SY_EESZ_S10_S11_S12_S16_S17_S18_S1B_S1C_jS1D_jS1E_S1E_jjS1G_bEUljE0_EEESZ_S10_S11_S18_S1C_S1E_T6_T7_T9_mT8_S1G_bDpT10_ENKUlT_T0_E_clISt17integral_constantIbLb1EES1U_EEDaS1P_S1Q_EUlS1P_E_NS1_11comp_targetILNS1_3genE0ELNS1_11target_archE4294967295ELNS1_3gpuE0ELNS1_3repE0EEENS1_30default_config_static_selectorELNS0_4arch9wavefront6targetE0EEEvS12_.num_named_barrier, 0
	.set _ZN7rocprim17ROCPRIM_400000_NS6detail17trampoline_kernelINS0_13select_configILj256ELj13ELNS0_17block_load_methodE3ELS4_3ELS4_3ELNS0_20block_scan_algorithmE0ELj4294967295EEENS1_25partition_config_selectorILNS1_17partition_subalgoE4EjNS0_10empty_typeEbEEZZNS1_14partition_implILS8_4ELb0ES6_15HIP_vector_typeIjLj2EENS0_17counting_iteratorIjlEEPS9_SG_NS0_5tupleIJPjSI_NS0_16reverse_iteratorISI_EEEEENSH_IJSG_SG_SG_EEES9_SI_JZNS1_25segmented_radix_sort_implINS0_14default_configELb0EPKsPsPKlPlN2at6native12_GLOBAL__N_18offset_tEEE10hipError_tPvRmT1_PNSt15iterator_traitsIS12_E10value_typeET2_T3_PNS13_IS18_E10value_typeET4_jRbjT5_S1E_jjP12ihipStream_tbEUljE_ZNSN_ISO_Lb0ESQ_SR_ST_SU_SY_EESZ_S10_S11_S12_S16_S17_S18_S1B_S1C_jS1D_jS1E_S1E_jjS1G_bEUljE0_EEESZ_S10_S11_S18_S1C_S1E_T6_T7_T9_mT8_S1G_bDpT10_ENKUlT_T0_E_clISt17integral_constantIbLb1EES1U_EEDaS1P_S1Q_EUlS1P_E_NS1_11comp_targetILNS1_3genE0ELNS1_11target_archE4294967295ELNS1_3gpuE0ELNS1_3repE0EEENS1_30default_config_static_selectorELNS0_4arch9wavefront6targetE0EEEvS12_.private_seg_size, 0
	.set _ZN7rocprim17ROCPRIM_400000_NS6detail17trampoline_kernelINS0_13select_configILj256ELj13ELNS0_17block_load_methodE3ELS4_3ELS4_3ELNS0_20block_scan_algorithmE0ELj4294967295EEENS1_25partition_config_selectorILNS1_17partition_subalgoE4EjNS0_10empty_typeEbEEZZNS1_14partition_implILS8_4ELb0ES6_15HIP_vector_typeIjLj2EENS0_17counting_iteratorIjlEEPS9_SG_NS0_5tupleIJPjSI_NS0_16reverse_iteratorISI_EEEEENSH_IJSG_SG_SG_EEES9_SI_JZNS1_25segmented_radix_sort_implINS0_14default_configELb0EPKsPsPKlPlN2at6native12_GLOBAL__N_18offset_tEEE10hipError_tPvRmT1_PNSt15iterator_traitsIS12_E10value_typeET2_T3_PNS13_IS18_E10value_typeET4_jRbjT5_S1E_jjP12ihipStream_tbEUljE_ZNSN_ISO_Lb0ESQ_SR_ST_SU_SY_EESZ_S10_S11_S12_S16_S17_S18_S1B_S1C_jS1D_jS1E_S1E_jjS1G_bEUljE0_EEESZ_S10_S11_S18_S1C_S1E_T6_T7_T9_mT8_S1G_bDpT10_ENKUlT_T0_E_clISt17integral_constantIbLb1EES1U_EEDaS1P_S1Q_EUlS1P_E_NS1_11comp_targetILNS1_3genE0ELNS1_11target_archE4294967295ELNS1_3gpuE0ELNS1_3repE0EEENS1_30default_config_static_selectorELNS0_4arch9wavefront6targetE0EEEvS12_.uses_vcc, 0
	.set _ZN7rocprim17ROCPRIM_400000_NS6detail17trampoline_kernelINS0_13select_configILj256ELj13ELNS0_17block_load_methodE3ELS4_3ELS4_3ELNS0_20block_scan_algorithmE0ELj4294967295EEENS1_25partition_config_selectorILNS1_17partition_subalgoE4EjNS0_10empty_typeEbEEZZNS1_14partition_implILS8_4ELb0ES6_15HIP_vector_typeIjLj2EENS0_17counting_iteratorIjlEEPS9_SG_NS0_5tupleIJPjSI_NS0_16reverse_iteratorISI_EEEEENSH_IJSG_SG_SG_EEES9_SI_JZNS1_25segmented_radix_sort_implINS0_14default_configELb0EPKsPsPKlPlN2at6native12_GLOBAL__N_18offset_tEEE10hipError_tPvRmT1_PNSt15iterator_traitsIS12_E10value_typeET2_T3_PNS13_IS18_E10value_typeET4_jRbjT5_S1E_jjP12ihipStream_tbEUljE_ZNSN_ISO_Lb0ESQ_SR_ST_SU_SY_EESZ_S10_S11_S12_S16_S17_S18_S1B_S1C_jS1D_jS1E_S1E_jjS1G_bEUljE0_EEESZ_S10_S11_S18_S1C_S1E_T6_T7_T9_mT8_S1G_bDpT10_ENKUlT_T0_E_clISt17integral_constantIbLb1EES1U_EEDaS1P_S1Q_EUlS1P_E_NS1_11comp_targetILNS1_3genE0ELNS1_11target_archE4294967295ELNS1_3gpuE0ELNS1_3repE0EEENS1_30default_config_static_selectorELNS0_4arch9wavefront6targetE0EEEvS12_.uses_flat_scratch, 0
	.set _ZN7rocprim17ROCPRIM_400000_NS6detail17trampoline_kernelINS0_13select_configILj256ELj13ELNS0_17block_load_methodE3ELS4_3ELS4_3ELNS0_20block_scan_algorithmE0ELj4294967295EEENS1_25partition_config_selectorILNS1_17partition_subalgoE4EjNS0_10empty_typeEbEEZZNS1_14partition_implILS8_4ELb0ES6_15HIP_vector_typeIjLj2EENS0_17counting_iteratorIjlEEPS9_SG_NS0_5tupleIJPjSI_NS0_16reverse_iteratorISI_EEEEENSH_IJSG_SG_SG_EEES9_SI_JZNS1_25segmented_radix_sort_implINS0_14default_configELb0EPKsPsPKlPlN2at6native12_GLOBAL__N_18offset_tEEE10hipError_tPvRmT1_PNSt15iterator_traitsIS12_E10value_typeET2_T3_PNS13_IS18_E10value_typeET4_jRbjT5_S1E_jjP12ihipStream_tbEUljE_ZNSN_ISO_Lb0ESQ_SR_ST_SU_SY_EESZ_S10_S11_S12_S16_S17_S18_S1B_S1C_jS1D_jS1E_S1E_jjS1G_bEUljE0_EEESZ_S10_S11_S18_S1C_S1E_T6_T7_T9_mT8_S1G_bDpT10_ENKUlT_T0_E_clISt17integral_constantIbLb1EES1U_EEDaS1P_S1Q_EUlS1P_E_NS1_11comp_targetILNS1_3genE0ELNS1_11target_archE4294967295ELNS1_3gpuE0ELNS1_3repE0EEENS1_30default_config_static_selectorELNS0_4arch9wavefront6targetE0EEEvS12_.has_dyn_sized_stack, 0
	.set _ZN7rocprim17ROCPRIM_400000_NS6detail17trampoline_kernelINS0_13select_configILj256ELj13ELNS0_17block_load_methodE3ELS4_3ELS4_3ELNS0_20block_scan_algorithmE0ELj4294967295EEENS1_25partition_config_selectorILNS1_17partition_subalgoE4EjNS0_10empty_typeEbEEZZNS1_14partition_implILS8_4ELb0ES6_15HIP_vector_typeIjLj2EENS0_17counting_iteratorIjlEEPS9_SG_NS0_5tupleIJPjSI_NS0_16reverse_iteratorISI_EEEEENSH_IJSG_SG_SG_EEES9_SI_JZNS1_25segmented_radix_sort_implINS0_14default_configELb0EPKsPsPKlPlN2at6native12_GLOBAL__N_18offset_tEEE10hipError_tPvRmT1_PNSt15iterator_traitsIS12_E10value_typeET2_T3_PNS13_IS18_E10value_typeET4_jRbjT5_S1E_jjP12ihipStream_tbEUljE_ZNSN_ISO_Lb0ESQ_SR_ST_SU_SY_EESZ_S10_S11_S12_S16_S17_S18_S1B_S1C_jS1D_jS1E_S1E_jjS1G_bEUljE0_EEESZ_S10_S11_S18_S1C_S1E_T6_T7_T9_mT8_S1G_bDpT10_ENKUlT_T0_E_clISt17integral_constantIbLb1EES1U_EEDaS1P_S1Q_EUlS1P_E_NS1_11comp_targetILNS1_3genE0ELNS1_11target_archE4294967295ELNS1_3gpuE0ELNS1_3repE0EEENS1_30default_config_static_selectorELNS0_4arch9wavefront6targetE0EEEvS12_.has_recursion, 0
	.set _ZN7rocprim17ROCPRIM_400000_NS6detail17trampoline_kernelINS0_13select_configILj256ELj13ELNS0_17block_load_methodE3ELS4_3ELS4_3ELNS0_20block_scan_algorithmE0ELj4294967295EEENS1_25partition_config_selectorILNS1_17partition_subalgoE4EjNS0_10empty_typeEbEEZZNS1_14partition_implILS8_4ELb0ES6_15HIP_vector_typeIjLj2EENS0_17counting_iteratorIjlEEPS9_SG_NS0_5tupleIJPjSI_NS0_16reverse_iteratorISI_EEEEENSH_IJSG_SG_SG_EEES9_SI_JZNS1_25segmented_radix_sort_implINS0_14default_configELb0EPKsPsPKlPlN2at6native12_GLOBAL__N_18offset_tEEE10hipError_tPvRmT1_PNSt15iterator_traitsIS12_E10value_typeET2_T3_PNS13_IS18_E10value_typeET4_jRbjT5_S1E_jjP12ihipStream_tbEUljE_ZNSN_ISO_Lb0ESQ_SR_ST_SU_SY_EESZ_S10_S11_S12_S16_S17_S18_S1B_S1C_jS1D_jS1E_S1E_jjS1G_bEUljE0_EEESZ_S10_S11_S18_S1C_S1E_T6_T7_T9_mT8_S1G_bDpT10_ENKUlT_T0_E_clISt17integral_constantIbLb1EES1U_EEDaS1P_S1Q_EUlS1P_E_NS1_11comp_targetILNS1_3genE0ELNS1_11target_archE4294967295ELNS1_3gpuE0ELNS1_3repE0EEENS1_30default_config_static_selectorELNS0_4arch9wavefront6targetE0EEEvS12_.has_indirect_call, 0
	.section	.AMDGPU.csdata,"",@progbits
; Kernel info:
; codeLenInByte = 0
; TotalNumSgprs: 0
; NumVgprs: 0
; ScratchSize: 0
; MemoryBound: 0
; FloatMode: 240
; IeeeMode: 1
; LDSByteSize: 0 bytes/workgroup (compile time only)
; SGPRBlocks: 0
; VGPRBlocks: 0
; NumSGPRsForWavesPerEU: 1
; NumVGPRsForWavesPerEU: 1
; Occupancy: 16
; WaveLimiterHint : 0
; COMPUTE_PGM_RSRC2:SCRATCH_EN: 0
; COMPUTE_PGM_RSRC2:USER_SGPR: 6
; COMPUTE_PGM_RSRC2:TRAP_HANDLER: 0
; COMPUTE_PGM_RSRC2:TGID_X_EN: 1
; COMPUTE_PGM_RSRC2:TGID_Y_EN: 0
; COMPUTE_PGM_RSRC2:TGID_Z_EN: 0
; COMPUTE_PGM_RSRC2:TIDIG_COMP_CNT: 0
	.section	.text._ZN7rocprim17ROCPRIM_400000_NS6detail17trampoline_kernelINS0_13select_configILj256ELj13ELNS0_17block_load_methodE3ELS4_3ELS4_3ELNS0_20block_scan_algorithmE0ELj4294967295EEENS1_25partition_config_selectorILNS1_17partition_subalgoE4EjNS0_10empty_typeEbEEZZNS1_14partition_implILS8_4ELb0ES6_15HIP_vector_typeIjLj2EENS0_17counting_iteratorIjlEEPS9_SG_NS0_5tupleIJPjSI_NS0_16reverse_iteratorISI_EEEEENSH_IJSG_SG_SG_EEES9_SI_JZNS1_25segmented_radix_sort_implINS0_14default_configELb0EPKsPsPKlPlN2at6native12_GLOBAL__N_18offset_tEEE10hipError_tPvRmT1_PNSt15iterator_traitsIS12_E10value_typeET2_T3_PNS13_IS18_E10value_typeET4_jRbjT5_S1E_jjP12ihipStream_tbEUljE_ZNSN_ISO_Lb0ESQ_SR_ST_SU_SY_EESZ_S10_S11_S12_S16_S17_S18_S1B_S1C_jS1D_jS1E_S1E_jjS1G_bEUljE0_EEESZ_S10_S11_S18_S1C_S1E_T6_T7_T9_mT8_S1G_bDpT10_ENKUlT_T0_E_clISt17integral_constantIbLb1EES1U_EEDaS1P_S1Q_EUlS1P_E_NS1_11comp_targetILNS1_3genE5ELNS1_11target_archE942ELNS1_3gpuE9ELNS1_3repE0EEENS1_30default_config_static_selectorELNS0_4arch9wavefront6targetE0EEEvS12_,"axG",@progbits,_ZN7rocprim17ROCPRIM_400000_NS6detail17trampoline_kernelINS0_13select_configILj256ELj13ELNS0_17block_load_methodE3ELS4_3ELS4_3ELNS0_20block_scan_algorithmE0ELj4294967295EEENS1_25partition_config_selectorILNS1_17partition_subalgoE4EjNS0_10empty_typeEbEEZZNS1_14partition_implILS8_4ELb0ES6_15HIP_vector_typeIjLj2EENS0_17counting_iteratorIjlEEPS9_SG_NS0_5tupleIJPjSI_NS0_16reverse_iteratorISI_EEEEENSH_IJSG_SG_SG_EEES9_SI_JZNS1_25segmented_radix_sort_implINS0_14default_configELb0EPKsPsPKlPlN2at6native12_GLOBAL__N_18offset_tEEE10hipError_tPvRmT1_PNSt15iterator_traitsIS12_E10value_typeET2_T3_PNS13_IS18_E10value_typeET4_jRbjT5_S1E_jjP12ihipStream_tbEUljE_ZNSN_ISO_Lb0ESQ_SR_ST_SU_SY_EESZ_S10_S11_S12_S16_S17_S18_S1B_S1C_jS1D_jS1E_S1E_jjS1G_bEUljE0_EEESZ_S10_S11_S18_S1C_S1E_T6_T7_T9_mT8_S1G_bDpT10_ENKUlT_T0_E_clISt17integral_constantIbLb1EES1U_EEDaS1P_S1Q_EUlS1P_E_NS1_11comp_targetILNS1_3genE5ELNS1_11target_archE942ELNS1_3gpuE9ELNS1_3repE0EEENS1_30default_config_static_selectorELNS0_4arch9wavefront6targetE0EEEvS12_,comdat
	.globl	_ZN7rocprim17ROCPRIM_400000_NS6detail17trampoline_kernelINS0_13select_configILj256ELj13ELNS0_17block_load_methodE3ELS4_3ELS4_3ELNS0_20block_scan_algorithmE0ELj4294967295EEENS1_25partition_config_selectorILNS1_17partition_subalgoE4EjNS0_10empty_typeEbEEZZNS1_14partition_implILS8_4ELb0ES6_15HIP_vector_typeIjLj2EENS0_17counting_iteratorIjlEEPS9_SG_NS0_5tupleIJPjSI_NS0_16reverse_iteratorISI_EEEEENSH_IJSG_SG_SG_EEES9_SI_JZNS1_25segmented_radix_sort_implINS0_14default_configELb0EPKsPsPKlPlN2at6native12_GLOBAL__N_18offset_tEEE10hipError_tPvRmT1_PNSt15iterator_traitsIS12_E10value_typeET2_T3_PNS13_IS18_E10value_typeET4_jRbjT5_S1E_jjP12ihipStream_tbEUljE_ZNSN_ISO_Lb0ESQ_SR_ST_SU_SY_EESZ_S10_S11_S12_S16_S17_S18_S1B_S1C_jS1D_jS1E_S1E_jjS1G_bEUljE0_EEESZ_S10_S11_S18_S1C_S1E_T6_T7_T9_mT8_S1G_bDpT10_ENKUlT_T0_E_clISt17integral_constantIbLb1EES1U_EEDaS1P_S1Q_EUlS1P_E_NS1_11comp_targetILNS1_3genE5ELNS1_11target_archE942ELNS1_3gpuE9ELNS1_3repE0EEENS1_30default_config_static_selectorELNS0_4arch9wavefront6targetE0EEEvS12_ ; -- Begin function _ZN7rocprim17ROCPRIM_400000_NS6detail17trampoline_kernelINS0_13select_configILj256ELj13ELNS0_17block_load_methodE3ELS4_3ELS4_3ELNS0_20block_scan_algorithmE0ELj4294967295EEENS1_25partition_config_selectorILNS1_17partition_subalgoE4EjNS0_10empty_typeEbEEZZNS1_14partition_implILS8_4ELb0ES6_15HIP_vector_typeIjLj2EENS0_17counting_iteratorIjlEEPS9_SG_NS0_5tupleIJPjSI_NS0_16reverse_iteratorISI_EEEEENSH_IJSG_SG_SG_EEES9_SI_JZNS1_25segmented_radix_sort_implINS0_14default_configELb0EPKsPsPKlPlN2at6native12_GLOBAL__N_18offset_tEEE10hipError_tPvRmT1_PNSt15iterator_traitsIS12_E10value_typeET2_T3_PNS13_IS18_E10value_typeET4_jRbjT5_S1E_jjP12ihipStream_tbEUljE_ZNSN_ISO_Lb0ESQ_SR_ST_SU_SY_EESZ_S10_S11_S12_S16_S17_S18_S1B_S1C_jS1D_jS1E_S1E_jjS1G_bEUljE0_EEESZ_S10_S11_S18_S1C_S1E_T6_T7_T9_mT8_S1G_bDpT10_ENKUlT_T0_E_clISt17integral_constantIbLb1EES1U_EEDaS1P_S1Q_EUlS1P_E_NS1_11comp_targetILNS1_3genE5ELNS1_11target_archE942ELNS1_3gpuE9ELNS1_3repE0EEENS1_30default_config_static_selectorELNS0_4arch9wavefront6targetE0EEEvS12_
	.p2align	8
	.type	_ZN7rocprim17ROCPRIM_400000_NS6detail17trampoline_kernelINS0_13select_configILj256ELj13ELNS0_17block_load_methodE3ELS4_3ELS4_3ELNS0_20block_scan_algorithmE0ELj4294967295EEENS1_25partition_config_selectorILNS1_17partition_subalgoE4EjNS0_10empty_typeEbEEZZNS1_14partition_implILS8_4ELb0ES6_15HIP_vector_typeIjLj2EENS0_17counting_iteratorIjlEEPS9_SG_NS0_5tupleIJPjSI_NS0_16reverse_iteratorISI_EEEEENSH_IJSG_SG_SG_EEES9_SI_JZNS1_25segmented_radix_sort_implINS0_14default_configELb0EPKsPsPKlPlN2at6native12_GLOBAL__N_18offset_tEEE10hipError_tPvRmT1_PNSt15iterator_traitsIS12_E10value_typeET2_T3_PNS13_IS18_E10value_typeET4_jRbjT5_S1E_jjP12ihipStream_tbEUljE_ZNSN_ISO_Lb0ESQ_SR_ST_SU_SY_EESZ_S10_S11_S12_S16_S17_S18_S1B_S1C_jS1D_jS1E_S1E_jjS1G_bEUljE0_EEESZ_S10_S11_S18_S1C_S1E_T6_T7_T9_mT8_S1G_bDpT10_ENKUlT_T0_E_clISt17integral_constantIbLb1EES1U_EEDaS1P_S1Q_EUlS1P_E_NS1_11comp_targetILNS1_3genE5ELNS1_11target_archE942ELNS1_3gpuE9ELNS1_3repE0EEENS1_30default_config_static_selectorELNS0_4arch9wavefront6targetE0EEEvS12_,@function
_ZN7rocprim17ROCPRIM_400000_NS6detail17trampoline_kernelINS0_13select_configILj256ELj13ELNS0_17block_load_methodE3ELS4_3ELS4_3ELNS0_20block_scan_algorithmE0ELj4294967295EEENS1_25partition_config_selectorILNS1_17partition_subalgoE4EjNS0_10empty_typeEbEEZZNS1_14partition_implILS8_4ELb0ES6_15HIP_vector_typeIjLj2EENS0_17counting_iteratorIjlEEPS9_SG_NS0_5tupleIJPjSI_NS0_16reverse_iteratorISI_EEEEENSH_IJSG_SG_SG_EEES9_SI_JZNS1_25segmented_radix_sort_implINS0_14default_configELb0EPKsPsPKlPlN2at6native12_GLOBAL__N_18offset_tEEE10hipError_tPvRmT1_PNSt15iterator_traitsIS12_E10value_typeET2_T3_PNS13_IS18_E10value_typeET4_jRbjT5_S1E_jjP12ihipStream_tbEUljE_ZNSN_ISO_Lb0ESQ_SR_ST_SU_SY_EESZ_S10_S11_S12_S16_S17_S18_S1B_S1C_jS1D_jS1E_S1E_jjS1G_bEUljE0_EEESZ_S10_S11_S18_S1C_S1E_T6_T7_T9_mT8_S1G_bDpT10_ENKUlT_T0_E_clISt17integral_constantIbLb1EES1U_EEDaS1P_S1Q_EUlS1P_E_NS1_11comp_targetILNS1_3genE5ELNS1_11target_archE942ELNS1_3gpuE9ELNS1_3repE0EEENS1_30default_config_static_selectorELNS0_4arch9wavefront6targetE0EEEvS12_: ; @_ZN7rocprim17ROCPRIM_400000_NS6detail17trampoline_kernelINS0_13select_configILj256ELj13ELNS0_17block_load_methodE3ELS4_3ELS4_3ELNS0_20block_scan_algorithmE0ELj4294967295EEENS1_25partition_config_selectorILNS1_17partition_subalgoE4EjNS0_10empty_typeEbEEZZNS1_14partition_implILS8_4ELb0ES6_15HIP_vector_typeIjLj2EENS0_17counting_iteratorIjlEEPS9_SG_NS0_5tupleIJPjSI_NS0_16reverse_iteratorISI_EEEEENSH_IJSG_SG_SG_EEES9_SI_JZNS1_25segmented_radix_sort_implINS0_14default_configELb0EPKsPsPKlPlN2at6native12_GLOBAL__N_18offset_tEEE10hipError_tPvRmT1_PNSt15iterator_traitsIS12_E10value_typeET2_T3_PNS13_IS18_E10value_typeET4_jRbjT5_S1E_jjP12ihipStream_tbEUljE_ZNSN_ISO_Lb0ESQ_SR_ST_SU_SY_EESZ_S10_S11_S12_S16_S17_S18_S1B_S1C_jS1D_jS1E_S1E_jjS1G_bEUljE0_EEESZ_S10_S11_S18_S1C_S1E_T6_T7_T9_mT8_S1G_bDpT10_ENKUlT_T0_E_clISt17integral_constantIbLb1EES1U_EEDaS1P_S1Q_EUlS1P_E_NS1_11comp_targetILNS1_3genE5ELNS1_11target_archE942ELNS1_3gpuE9ELNS1_3repE0EEENS1_30default_config_static_selectorELNS0_4arch9wavefront6targetE0EEEvS12_
; %bb.0:
	.section	.rodata,"a",@progbits
	.p2align	6, 0x0
	.amdhsa_kernel _ZN7rocprim17ROCPRIM_400000_NS6detail17trampoline_kernelINS0_13select_configILj256ELj13ELNS0_17block_load_methodE3ELS4_3ELS4_3ELNS0_20block_scan_algorithmE0ELj4294967295EEENS1_25partition_config_selectorILNS1_17partition_subalgoE4EjNS0_10empty_typeEbEEZZNS1_14partition_implILS8_4ELb0ES6_15HIP_vector_typeIjLj2EENS0_17counting_iteratorIjlEEPS9_SG_NS0_5tupleIJPjSI_NS0_16reverse_iteratorISI_EEEEENSH_IJSG_SG_SG_EEES9_SI_JZNS1_25segmented_radix_sort_implINS0_14default_configELb0EPKsPsPKlPlN2at6native12_GLOBAL__N_18offset_tEEE10hipError_tPvRmT1_PNSt15iterator_traitsIS12_E10value_typeET2_T3_PNS13_IS18_E10value_typeET4_jRbjT5_S1E_jjP12ihipStream_tbEUljE_ZNSN_ISO_Lb0ESQ_SR_ST_SU_SY_EESZ_S10_S11_S12_S16_S17_S18_S1B_S1C_jS1D_jS1E_S1E_jjS1G_bEUljE0_EEESZ_S10_S11_S18_S1C_S1E_T6_T7_T9_mT8_S1G_bDpT10_ENKUlT_T0_E_clISt17integral_constantIbLb1EES1U_EEDaS1P_S1Q_EUlS1P_E_NS1_11comp_targetILNS1_3genE5ELNS1_11target_archE942ELNS1_3gpuE9ELNS1_3repE0EEENS1_30default_config_static_selectorELNS0_4arch9wavefront6targetE0EEEvS12_
		.amdhsa_group_segment_fixed_size 0
		.amdhsa_private_segment_fixed_size 0
		.amdhsa_kernarg_size 184
		.amdhsa_user_sgpr_count 6
		.amdhsa_user_sgpr_private_segment_buffer 1
		.amdhsa_user_sgpr_dispatch_ptr 0
		.amdhsa_user_sgpr_queue_ptr 0
		.amdhsa_user_sgpr_kernarg_segment_ptr 1
		.amdhsa_user_sgpr_dispatch_id 0
		.amdhsa_user_sgpr_flat_scratch_init 0
		.amdhsa_user_sgpr_private_segment_size 0
		.amdhsa_wavefront_size32 1
		.amdhsa_uses_dynamic_stack 0
		.amdhsa_system_sgpr_private_segment_wavefront_offset 0
		.amdhsa_system_sgpr_workgroup_id_x 1
		.amdhsa_system_sgpr_workgroup_id_y 0
		.amdhsa_system_sgpr_workgroup_id_z 0
		.amdhsa_system_sgpr_workgroup_info 0
		.amdhsa_system_vgpr_workitem_id 0
		.amdhsa_next_free_vgpr 1
		.amdhsa_next_free_sgpr 1
		.amdhsa_reserve_vcc 0
		.amdhsa_reserve_flat_scratch 0
		.amdhsa_float_round_mode_32 0
		.amdhsa_float_round_mode_16_64 0
		.amdhsa_float_denorm_mode_32 3
		.amdhsa_float_denorm_mode_16_64 3
		.amdhsa_dx10_clamp 1
		.amdhsa_ieee_mode 1
		.amdhsa_fp16_overflow 0
		.amdhsa_workgroup_processor_mode 1
		.amdhsa_memory_ordered 1
		.amdhsa_forward_progress 1
		.amdhsa_shared_vgpr_count 0
		.amdhsa_exception_fp_ieee_invalid_op 0
		.amdhsa_exception_fp_denorm_src 0
		.amdhsa_exception_fp_ieee_div_zero 0
		.amdhsa_exception_fp_ieee_overflow 0
		.amdhsa_exception_fp_ieee_underflow 0
		.amdhsa_exception_fp_ieee_inexact 0
		.amdhsa_exception_int_div_zero 0
	.end_amdhsa_kernel
	.section	.text._ZN7rocprim17ROCPRIM_400000_NS6detail17trampoline_kernelINS0_13select_configILj256ELj13ELNS0_17block_load_methodE3ELS4_3ELS4_3ELNS0_20block_scan_algorithmE0ELj4294967295EEENS1_25partition_config_selectorILNS1_17partition_subalgoE4EjNS0_10empty_typeEbEEZZNS1_14partition_implILS8_4ELb0ES6_15HIP_vector_typeIjLj2EENS0_17counting_iteratorIjlEEPS9_SG_NS0_5tupleIJPjSI_NS0_16reverse_iteratorISI_EEEEENSH_IJSG_SG_SG_EEES9_SI_JZNS1_25segmented_radix_sort_implINS0_14default_configELb0EPKsPsPKlPlN2at6native12_GLOBAL__N_18offset_tEEE10hipError_tPvRmT1_PNSt15iterator_traitsIS12_E10value_typeET2_T3_PNS13_IS18_E10value_typeET4_jRbjT5_S1E_jjP12ihipStream_tbEUljE_ZNSN_ISO_Lb0ESQ_SR_ST_SU_SY_EESZ_S10_S11_S12_S16_S17_S18_S1B_S1C_jS1D_jS1E_S1E_jjS1G_bEUljE0_EEESZ_S10_S11_S18_S1C_S1E_T6_T7_T9_mT8_S1G_bDpT10_ENKUlT_T0_E_clISt17integral_constantIbLb1EES1U_EEDaS1P_S1Q_EUlS1P_E_NS1_11comp_targetILNS1_3genE5ELNS1_11target_archE942ELNS1_3gpuE9ELNS1_3repE0EEENS1_30default_config_static_selectorELNS0_4arch9wavefront6targetE0EEEvS12_,"axG",@progbits,_ZN7rocprim17ROCPRIM_400000_NS6detail17trampoline_kernelINS0_13select_configILj256ELj13ELNS0_17block_load_methodE3ELS4_3ELS4_3ELNS0_20block_scan_algorithmE0ELj4294967295EEENS1_25partition_config_selectorILNS1_17partition_subalgoE4EjNS0_10empty_typeEbEEZZNS1_14partition_implILS8_4ELb0ES6_15HIP_vector_typeIjLj2EENS0_17counting_iteratorIjlEEPS9_SG_NS0_5tupleIJPjSI_NS0_16reverse_iteratorISI_EEEEENSH_IJSG_SG_SG_EEES9_SI_JZNS1_25segmented_radix_sort_implINS0_14default_configELb0EPKsPsPKlPlN2at6native12_GLOBAL__N_18offset_tEEE10hipError_tPvRmT1_PNSt15iterator_traitsIS12_E10value_typeET2_T3_PNS13_IS18_E10value_typeET4_jRbjT5_S1E_jjP12ihipStream_tbEUljE_ZNSN_ISO_Lb0ESQ_SR_ST_SU_SY_EESZ_S10_S11_S12_S16_S17_S18_S1B_S1C_jS1D_jS1E_S1E_jjS1G_bEUljE0_EEESZ_S10_S11_S18_S1C_S1E_T6_T7_T9_mT8_S1G_bDpT10_ENKUlT_T0_E_clISt17integral_constantIbLb1EES1U_EEDaS1P_S1Q_EUlS1P_E_NS1_11comp_targetILNS1_3genE5ELNS1_11target_archE942ELNS1_3gpuE9ELNS1_3repE0EEENS1_30default_config_static_selectorELNS0_4arch9wavefront6targetE0EEEvS12_,comdat
.Lfunc_end952:
	.size	_ZN7rocprim17ROCPRIM_400000_NS6detail17trampoline_kernelINS0_13select_configILj256ELj13ELNS0_17block_load_methodE3ELS4_3ELS4_3ELNS0_20block_scan_algorithmE0ELj4294967295EEENS1_25partition_config_selectorILNS1_17partition_subalgoE4EjNS0_10empty_typeEbEEZZNS1_14partition_implILS8_4ELb0ES6_15HIP_vector_typeIjLj2EENS0_17counting_iteratorIjlEEPS9_SG_NS0_5tupleIJPjSI_NS0_16reverse_iteratorISI_EEEEENSH_IJSG_SG_SG_EEES9_SI_JZNS1_25segmented_radix_sort_implINS0_14default_configELb0EPKsPsPKlPlN2at6native12_GLOBAL__N_18offset_tEEE10hipError_tPvRmT1_PNSt15iterator_traitsIS12_E10value_typeET2_T3_PNS13_IS18_E10value_typeET4_jRbjT5_S1E_jjP12ihipStream_tbEUljE_ZNSN_ISO_Lb0ESQ_SR_ST_SU_SY_EESZ_S10_S11_S12_S16_S17_S18_S1B_S1C_jS1D_jS1E_S1E_jjS1G_bEUljE0_EEESZ_S10_S11_S18_S1C_S1E_T6_T7_T9_mT8_S1G_bDpT10_ENKUlT_T0_E_clISt17integral_constantIbLb1EES1U_EEDaS1P_S1Q_EUlS1P_E_NS1_11comp_targetILNS1_3genE5ELNS1_11target_archE942ELNS1_3gpuE9ELNS1_3repE0EEENS1_30default_config_static_selectorELNS0_4arch9wavefront6targetE0EEEvS12_, .Lfunc_end952-_ZN7rocprim17ROCPRIM_400000_NS6detail17trampoline_kernelINS0_13select_configILj256ELj13ELNS0_17block_load_methodE3ELS4_3ELS4_3ELNS0_20block_scan_algorithmE0ELj4294967295EEENS1_25partition_config_selectorILNS1_17partition_subalgoE4EjNS0_10empty_typeEbEEZZNS1_14partition_implILS8_4ELb0ES6_15HIP_vector_typeIjLj2EENS0_17counting_iteratorIjlEEPS9_SG_NS0_5tupleIJPjSI_NS0_16reverse_iteratorISI_EEEEENSH_IJSG_SG_SG_EEES9_SI_JZNS1_25segmented_radix_sort_implINS0_14default_configELb0EPKsPsPKlPlN2at6native12_GLOBAL__N_18offset_tEEE10hipError_tPvRmT1_PNSt15iterator_traitsIS12_E10value_typeET2_T3_PNS13_IS18_E10value_typeET4_jRbjT5_S1E_jjP12ihipStream_tbEUljE_ZNSN_ISO_Lb0ESQ_SR_ST_SU_SY_EESZ_S10_S11_S12_S16_S17_S18_S1B_S1C_jS1D_jS1E_S1E_jjS1G_bEUljE0_EEESZ_S10_S11_S18_S1C_S1E_T6_T7_T9_mT8_S1G_bDpT10_ENKUlT_T0_E_clISt17integral_constantIbLb1EES1U_EEDaS1P_S1Q_EUlS1P_E_NS1_11comp_targetILNS1_3genE5ELNS1_11target_archE942ELNS1_3gpuE9ELNS1_3repE0EEENS1_30default_config_static_selectorELNS0_4arch9wavefront6targetE0EEEvS12_
                                        ; -- End function
	.set _ZN7rocprim17ROCPRIM_400000_NS6detail17trampoline_kernelINS0_13select_configILj256ELj13ELNS0_17block_load_methodE3ELS4_3ELS4_3ELNS0_20block_scan_algorithmE0ELj4294967295EEENS1_25partition_config_selectorILNS1_17partition_subalgoE4EjNS0_10empty_typeEbEEZZNS1_14partition_implILS8_4ELb0ES6_15HIP_vector_typeIjLj2EENS0_17counting_iteratorIjlEEPS9_SG_NS0_5tupleIJPjSI_NS0_16reverse_iteratorISI_EEEEENSH_IJSG_SG_SG_EEES9_SI_JZNS1_25segmented_radix_sort_implINS0_14default_configELb0EPKsPsPKlPlN2at6native12_GLOBAL__N_18offset_tEEE10hipError_tPvRmT1_PNSt15iterator_traitsIS12_E10value_typeET2_T3_PNS13_IS18_E10value_typeET4_jRbjT5_S1E_jjP12ihipStream_tbEUljE_ZNSN_ISO_Lb0ESQ_SR_ST_SU_SY_EESZ_S10_S11_S12_S16_S17_S18_S1B_S1C_jS1D_jS1E_S1E_jjS1G_bEUljE0_EEESZ_S10_S11_S18_S1C_S1E_T6_T7_T9_mT8_S1G_bDpT10_ENKUlT_T0_E_clISt17integral_constantIbLb1EES1U_EEDaS1P_S1Q_EUlS1P_E_NS1_11comp_targetILNS1_3genE5ELNS1_11target_archE942ELNS1_3gpuE9ELNS1_3repE0EEENS1_30default_config_static_selectorELNS0_4arch9wavefront6targetE0EEEvS12_.num_vgpr, 0
	.set _ZN7rocprim17ROCPRIM_400000_NS6detail17trampoline_kernelINS0_13select_configILj256ELj13ELNS0_17block_load_methodE3ELS4_3ELS4_3ELNS0_20block_scan_algorithmE0ELj4294967295EEENS1_25partition_config_selectorILNS1_17partition_subalgoE4EjNS0_10empty_typeEbEEZZNS1_14partition_implILS8_4ELb0ES6_15HIP_vector_typeIjLj2EENS0_17counting_iteratorIjlEEPS9_SG_NS0_5tupleIJPjSI_NS0_16reverse_iteratorISI_EEEEENSH_IJSG_SG_SG_EEES9_SI_JZNS1_25segmented_radix_sort_implINS0_14default_configELb0EPKsPsPKlPlN2at6native12_GLOBAL__N_18offset_tEEE10hipError_tPvRmT1_PNSt15iterator_traitsIS12_E10value_typeET2_T3_PNS13_IS18_E10value_typeET4_jRbjT5_S1E_jjP12ihipStream_tbEUljE_ZNSN_ISO_Lb0ESQ_SR_ST_SU_SY_EESZ_S10_S11_S12_S16_S17_S18_S1B_S1C_jS1D_jS1E_S1E_jjS1G_bEUljE0_EEESZ_S10_S11_S18_S1C_S1E_T6_T7_T9_mT8_S1G_bDpT10_ENKUlT_T0_E_clISt17integral_constantIbLb1EES1U_EEDaS1P_S1Q_EUlS1P_E_NS1_11comp_targetILNS1_3genE5ELNS1_11target_archE942ELNS1_3gpuE9ELNS1_3repE0EEENS1_30default_config_static_selectorELNS0_4arch9wavefront6targetE0EEEvS12_.num_agpr, 0
	.set _ZN7rocprim17ROCPRIM_400000_NS6detail17trampoline_kernelINS0_13select_configILj256ELj13ELNS0_17block_load_methodE3ELS4_3ELS4_3ELNS0_20block_scan_algorithmE0ELj4294967295EEENS1_25partition_config_selectorILNS1_17partition_subalgoE4EjNS0_10empty_typeEbEEZZNS1_14partition_implILS8_4ELb0ES6_15HIP_vector_typeIjLj2EENS0_17counting_iteratorIjlEEPS9_SG_NS0_5tupleIJPjSI_NS0_16reverse_iteratorISI_EEEEENSH_IJSG_SG_SG_EEES9_SI_JZNS1_25segmented_radix_sort_implINS0_14default_configELb0EPKsPsPKlPlN2at6native12_GLOBAL__N_18offset_tEEE10hipError_tPvRmT1_PNSt15iterator_traitsIS12_E10value_typeET2_T3_PNS13_IS18_E10value_typeET4_jRbjT5_S1E_jjP12ihipStream_tbEUljE_ZNSN_ISO_Lb0ESQ_SR_ST_SU_SY_EESZ_S10_S11_S12_S16_S17_S18_S1B_S1C_jS1D_jS1E_S1E_jjS1G_bEUljE0_EEESZ_S10_S11_S18_S1C_S1E_T6_T7_T9_mT8_S1G_bDpT10_ENKUlT_T0_E_clISt17integral_constantIbLb1EES1U_EEDaS1P_S1Q_EUlS1P_E_NS1_11comp_targetILNS1_3genE5ELNS1_11target_archE942ELNS1_3gpuE9ELNS1_3repE0EEENS1_30default_config_static_selectorELNS0_4arch9wavefront6targetE0EEEvS12_.numbered_sgpr, 0
	.set _ZN7rocprim17ROCPRIM_400000_NS6detail17trampoline_kernelINS0_13select_configILj256ELj13ELNS0_17block_load_methodE3ELS4_3ELS4_3ELNS0_20block_scan_algorithmE0ELj4294967295EEENS1_25partition_config_selectorILNS1_17partition_subalgoE4EjNS0_10empty_typeEbEEZZNS1_14partition_implILS8_4ELb0ES6_15HIP_vector_typeIjLj2EENS0_17counting_iteratorIjlEEPS9_SG_NS0_5tupleIJPjSI_NS0_16reverse_iteratorISI_EEEEENSH_IJSG_SG_SG_EEES9_SI_JZNS1_25segmented_radix_sort_implINS0_14default_configELb0EPKsPsPKlPlN2at6native12_GLOBAL__N_18offset_tEEE10hipError_tPvRmT1_PNSt15iterator_traitsIS12_E10value_typeET2_T3_PNS13_IS18_E10value_typeET4_jRbjT5_S1E_jjP12ihipStream_tbEUljE_ZNSN_ISO_Lb0ESQ_SR_ST_SU_SY_EESZ_S10_S11_S12_S16_S17_S18_S1B_S1C_jS1D_jS1E_S1E_jjS1G_bEUljE0_EEESZ_S10_S11_S18_S1C_S1E_T6_T7_T9_mT8_S1G_bDpT10_ENKUlT_T0_E_clISt17integral_constantIbLb1EES1U_EEDaS1P_S1Q_EUlS1P_E_NS1_11comp_targetILNS1_3genE5ELNS1_11target_archE942ELNS1_3gpuE9ELNS1_3repE0EEENS1_30default_config_static_selectorELNS0_4arch9wavefront6targetE0EEEvS12_.num_named_barrier, 0
	.set _ZN7rocprim17ROCPRIM_400000_NS6detail17trampoline_kernelINS0_13select_configILj256ELj13ELNS0_17block_load_methodE3ELS4_3ELS4_3ELNS0_20block_scan_algorithmE0ELj4294967295EEENS1_25partition_config_selectorILNS1_17partition_subalgoE4EjNS0_10empty_typeEbEEZZNS1_14partition_implILS8_4ELb0ES6_15HIP_vector_typeIjLj2EENS0_17counting_iteratorIjlEEPS9_SG_NS0_5tupleIJPjSI_NS0_16reverse_iteratorISI_EEEEENSH_IJSG_SG_SG_EEES9_SI_JZNS1_25segmented_radix_sort_implINS0_14default_configELb0EPKsPsPKlPlN2at6native12_GLOBAL__N_18offset_tEEE10hipError_tPvRmT1_PNSt15iterator_traitsIS12_E10value_typeET2_T3_PNS13_IS18_E10value_typeET4_jRbjT5_S1E_jjP12ihipStream_tbEUljE_ZNSN_ISO_Lb0ESQ_SR_ST_SU_SY_EESZ_S10_S11_S12_S16_S17_S18_S1B_S1C_jS1D_jS1E_S1E_jjS1G_bEUljE0_EEESZ_S10_S11_S18_S1C_S1E_T6_T7_T9_mT8_S1G_bDpT10_ENKUlT_T0_E_clISt17integral_constantIbLb1EES1U_EEDaS1P_S1Q_EUlS1P_E_NS1_11comp_targetILNS1_3genE5ELNS1_11target_archE942ELNS1_3gpuE9ELNS1_3repE0EEENS1_30default_config_static_selectorELNS0_4arch9wavefront6targetE0EEEvS12_.private_seg_size, 0
	.set _ZN7rocprim17ROCPRIM_400000_NS6detail17trampoline_kernelINS0_13select_configILj256ELj13ELNS0_17block_load_methodE3ELS4_3ELS4_3ELNS0_20block_scan_algorithmE0ELj4294967295EEENS1_25partition_config_selectorILNS1_17partition_subalgoE4EjNS0_10empty_typeEbEEZZNS1_14partition_implILS8_4ELb0ES6_15HIP_vector_typeIjLj2EENS0_17counting_iteratorIjlEEPS9_SG_NS0_5tupleIJPjSI_NS0_16reverse_iteratorISI_EEEEENSH_IJSG_SG_SG_EEES9_SI_JZNS1_25segmented_radix_sort_implINS0_14default_configELb0EPKsPsPKlPlN2at6native12_GLOBAL__N_18offset_tEEE10hipError_tPvRmT1_PNSt15iterator_traitsIS12_E10value_typeET2_T3_PNS13_IS18_E10value_typeET4_jRbjT5_S1E_jjP12ihipStream_tbEUljE_ZNSN_ISO_Lb0ESQ_SR_ST_SU_SY_EESZ_S10_S11_S12_S16_S17_S18_S1B_S1C_jS1D_jS1E_S1E_jjS1G_bEUljE0_EEESZ_S10_S11_S18_S1C_S1E_T6_T7_T9_mT8_S1G_bDpT10_ENKUlT_T0_E_clISt17integral_constantIbLb1EES1U_EEDaS1P_S1Q_EUlS1P_E_NS1_11comp_targetILNS1_3genE5ELNS1_11target_archE942ELNS1_3gpuE9ELNS1_3repE0EEENS1_30default_config_static_selectorELNS0_4arch9wavefront6targetE0EEEvS12_.uses_vcc, 0
	.set _ZN7rocprim17ROCPRIM_400000_NS6detail17trampoline_kernelINS0_13select_configILj256ELj13ELNS0_17block_load_methodE3ELS4_3ELS4_3ELNS0_20block_scan_algorithmE0ELj4294967295EEENS1_25partition_config_selectorILNS1_17partition_subalgoE4EjNS0_10empty_typeEbEEZZNS1_14partition_implILS8_4ELb0ES6_15HIP_vector_typeIjLj2EENS0_17counting_iteratorIjlEEPS9_SG_NS0_5tupleIJPjSI_NS0_16reverse_iteratorISI_EEEEENSH_IJSG_SG_SG_EEES9_SI_JZNS1_25segmented_radix_sort_implINS0_14default_configELb0EPKsPsPKlPlN2at6native12_GLOBAL__N_18offset_tEEE10hipError_tPvRmT1_PNSt15iterator_traitsIS12_E10value_typeET2_T3_PNS13_IS18_E10value_typeET4_jRbjT5_S1E_jjP12ihipStream_tbEUljE_ZNSN_ISO_Lb0ESQ_SR_ST_SU_SY_EESZ_S10_S11_S12_S16_S17_S18_S1B_S1C_jS1D_jS1E_S1E_jjS1G_bEUljE0_EEESZ_S10_S11_S18_S1C_S1E_T6_T7_T9_mT8_S1G_bDpT10_ENKUlT_T0_E_clISt17integral_constantIbLb1EES1U_EEDaS1P_S1Q_EUlS1P_E_NS1_11comp_targetILNS1_3genE5ELNS1_11target_archE942ELNS1_3gpuE9ELNS1_3repE0EEENS1_30default_config_static_selectorELNS0_4arch9wavefront6targetE0EEEvS12_.uses_flat_scratch, 0
	.set _ZN7rocprim17ROCPRIM_400000_NS6detail17trampoline_kernelINS0_13select_configILj256ELj13ELNS0_17block_load_methodE3ELS4_3ELS4_3ELNS0_20block_scan_algorithmE0ELj4294967295EEENS1_25partition_config_selectorILNS1_17partition_subalgoE4EjNS0_10empty_typeEbEEZZNS1_14partition_implILS8_4ELb0ES6_15HIP_vector_typeIjLj2EENS0_17counting_iteratorIjlEEPS9_SG_NS0_5tupleIJPjSI_NS0_16reverse_iteratorISI_EEEEENSH_IJSG_SG_SG_EEES9_SI_JZNS1_25segmented_radix_sort_implINS0_14default_configELb0EPKsPsPKlPlN2at6native12_GLOBAL__N_18offset_tEEE10hipError_tPvRmT1_PNSt15iterator_traitsIS12_E10value_typeET2_T3_PNS13_IS18_E10value_typeET4_jRbjT5_S1E_jjP12ihipStream_tbEUljE_ZNSN_ISO_Lb0ESQ_SR_ST_SU_SY_EESZ_S10_S11_S12_S16_S17_S18_S1B_S1C_jS1D_jS1E_S1E_jjS1G_bEUljE0_EEESZ_S10_S11_S18_S1C_S1E_T6_T7_T9_mT8_S1G_bDpT10_ENKUlT_T0_E_clISt17integral_constantIbLb1EES1U_EEDaS1P_S1Q_EUlS1P_E_NS1_11comp_targetILNS1_3genE5ELNS1_11target_archE942ELNS1_3gpuE9ELNS1_3repE0EEENS1_30default_config_static_selectorELNS0_4arch9wavefront6targetE0EEEvS12_.has_dyn_sized_stack, 0
	.set _ZN7rocprim17ROCPRIM_400000_NS6detail17trampoline_kernelINS0_13select_configILj256ELj13ELNS0_17block_load_methodE3ELS4_3ELS4_3ELNS0_20block_scan_algorithmE0ELj4294967295EEENS1_25partition_config_selectorILNS1_17partition_subalgoE4EjNS0_10empty_typeEbEEZZNS1_14partition_implILS8_4ELb0ES6_15HIP_vector_typeIjLj2EENS0_17counting_iteratorIjlEEPS9_SG_NS0_5tupleIJPjSI_NS0_16reverse_iteratorISI_EEEEENSH_IJSG_SG_SG_EEES9_SI_JZNS1_25segmented_radix_sort_implINS0_14default_configELb0EPKsPsPKlPlN2at6native12_GLOBAL__N_18offset_tEEE10hipError_tPvRmT1_PNSt15iterator_traitsIS12_E10value_typeET2_T3_PNS13_IS18_E10value_typeET4_jRbjT5_S1E_jjP12ihipStream_tbEUljE_ZNSN_ISO_Lb0ESQ_SR_ST_SU_SY_EESZ_S10_S11_S12_S16_S17_S18_S1B_S1C_jS1D_jS1E_S1E_jjS1G_bEUljE0_EEESZ_S10_S11_S18_S1C_S1E_T6_T7_T9_mT8_S1G_bDpT10_ENKUlT_T0_E_clISt17integral_constantIbLb1EES1U_EEDaS1P_S1Q_EUlS1P_E_NS1_11comp_targetILNS1_3genE5ELNS1_11target_archE942ELNS1_3gpuE9ELNS1_3repE0EEENS1_30default_config_static_selectorELNS0_4arch9wavefront6targetE0EEEvS12_.has_recursion, 0
	.set _ZN7rocprim17ROCPRIM_400000_NS6detail17trampoline_kernelINS0_13select_configILj256ELj13ELNS0_17block_load_methodE3ELS4_3ELS4_3ELNS0_20block_scan_algorithmE0ELj4294967295EEENS1_25partition_config_selectorILNS1_17partition_subalgoE4EjNS0_10empty_typeEbEEZZNS1_14partition_implILS8_4ELb0ES6_15HIP_vector_typeIjLj2EENS0_17counting_iteratorIjlEEPS9_SG_NS0_5tupleIJPjSI_NS0_16reverse_iteratorISI_EEEEENSH_IJSG_SG_SG_EEES9_SI_JZNS1_25segmented_radix_sort_implINS0_14default_configELb0EPKsPsPKlPlN2at6native12_GLOBAL__N_18offset_tEEE10hipError_tPvRmT1_PNSt15iterator_traitsIS12_E10value_typeET2_T3_PNS13_IS18_E10value_typeET4_jRbjT5_S1E_jjP12ihipStream_tbEUljE_ZNSN_ISO_Lb0ESQ_SR_ST_SU_SY_EESZ_S10_S11_S12_S16_S17_S18_S1B_S1C_jS1D_jS1E_S1E_jjS1G_bEUljE0_EEESZ_S10_S11_S18_S1C_S1E_T6_T7_T9_mT8_S1G_bDpT10_ENKUlT_T0_E_clISt17integral_constantIbLb1EES1U_EEDaS1P_S1Q_EUlS1P_E_NS1_11comp_targetILNS1_3genE5ELNS1_11target_archE942ELNS1_3gpuE9ELNS1_3repE0EEENS1_30default_config_static_selectorELNS0_4arch9wavefront6targetE0EEEvS12_.has_indirect_call, 0
	.section	.AMDGPU.csdata,"",@progbits
; Kernel info:
; codeLenInByte = 0
; TotalNumSgprs: 0
; NumVgprs: 0
; ScratchSize: 0
; MemoryBound: 0
; FloatMode: 240
; IeeeMode: 1
; LDSByteSize: 0 bytes/workgroup (compile time only)
; SGPRBlocks: 0
; VGPRBlocks: 0
; NumSGPRsForWavesPerEU: 1
; NumVGPRsForWavesPerEU: 1
; Occupancy: 16
; WaveLimiterHint : 0
; COMPUTE_PGM_RSRC2:SCRATCH_EN: 0
; COMPUTE_PGM_RSRC2:USER_SGPR: 6
; COMPUTE_PGM_RSRC2:TRAP_HANDLER: 0
; COMPUTE_PGM_RSRC2:TGID_X_EN: 1
; COMPUTE_PGM_RSRC2:TGID_Y_EN: 0
; COMPUTE_PGM_RSRC2:TGID_Z_EN: 0
; COMPUTE_PGM_RSRC2:TIDIG_COMP_CNT: 0
	.section	.text._ZN7rocprim17ROCPRIM_400000_NS6detail17trampoline_kernelINS0_13select_configILj256ELj13ELNS0_17block_load_methodE3ELS4_3ELS4_3ELNS0_20block_scan_algorithmE0ELj4294967295EEENS1_25partition_config_selectorILNS1_17partition_subalgoE4EjNS0_10empty_typeEbEEZZNS1_14partition_implILS8_4ELb0ES6_15HIP_vector_typeIjLj2EENS0_17counting_iteratorIjlEEPS9_SG_NS0_5tupleIJPjSI_NS0_16reverse_iteratorISI_EEEEENSH_IJSG_SG_SG_EEES9_SI_JZNS1_25segmented_radix_sort_implINS0_14default_configELb0EPKsPsPKlPlN2at6native12_GLOBAL__N_18offset_tEEE10hipError_tPvRmT1_PNSt15iterator_traitsIS12_E10value_typeET2_T3_PNS13_IS18_E10value_typeET4_jRbjT5_S1E_jjP12ihipStream_tbEUljE_ZNSN_ISO_Lb0ESQ_SR_ST_SU_SY_EESZ_S10_S11_S12_S16_S17_S18_S1B_S1C_jS1D_jS1E_S1E_jjS1G_bEUljE0_EEESZ_S10_S11_S18_S1C_S1E_T6_T7_T9_mT8_S1G_bDpT10_ENKUlT_T0_E_clISt17integral_constantIbLb1EES1U_EEDaS1P_S1Q_EUlS1P_E_NS1_11comp_targetILNS1_3genE4ELNS1_11target_archE910ELNS1_3gpuE8ELNS1_3repE0EEENS1_30default_config_static_selectorELNS0_4arch9wavefront6targetE0EEEvS12_,"axG",@progbits,_ZN7rocprim17ROCPRIM_400000_NS6detail17trampoline_kernelINS0_13select_configILj256ELj13ELNS0_17block_load_methodE3ELS4_3ELS4_3ELNS0_20block_scan_algorithmE0ELj4294967295EEENS1_25partition_config_selectorILNS1_17partition_subalgoE4EjNS0_10empty_typeEbEEZZNS1_14partition_implILS8_4ELb0ES6_15HIP_vector_typeIjLj2EENS0_17counting_iteratorIjlEEPS9_SG_NS0_5tupleIJPjSI_NS0_16reverse_iteratorISI_EEEEENSH_IJSG_SG_SG_EEES9_SI_JZNS1_25segmented_radix_sort_implINS0_14default_configELb0EPKsPsPKlPlN2at6native12_GLOBAL__N_18offset_tEEE10hipError_tPvRmT1_PNSt15iterator_traitsIS12_E10value_typeET2_T3_PNS13_IS18_E10value_typeET4_jRbjT5_S1E_jjP12ihipStream_tbEUljE_ZNSN_ISO_Lb0ESQ_SR_ST_SU_SY_EESZ_S10_S11_S12_S16_S17_S18_S1B_S1C_jS1D_jS1E_S1E_jjS1G_bEUljE0_EEESZ_S10_S11_S18_S1C_S1E_T6_T7_T9_mT8_S1G_bDpT10_ENKUlT_T0_E_clISt17integral_constantIbLb1EES1U_EEDaS1P_S1Q_EUlS1P_E_NS1_11comp_targetILNS1_3genE4ELNS1_11target_archE910ELNS1_3gpuE8ELNS1_3repE0EEENS1_30default_config_static_selectorELNS0_4arch9wavefront6targetE0EEEvS12_,comdat
	.globl	_ZN7rocprim17ROCPRIM_400000_NS6detail17trampoline_kernelINS0_13select_configILj256ELj13ELNS0_17block_load_methodE3ELS4_3ELS4_3ELNS0_20block_scan_algorithmE0ELj4294967295EEENS1_25partition_config_selectorILNS1_17partition_subalgoE4EjNS0_10empty_typeEbEEZZNS1_14partition_implILS8_4ELb0ES6_15HIP_vector_typeIjLj2EENS0_17counting_iteratorIjlEEPS9_SG_NS0_5tupleIJPjSI_NS0_16reverse_iteratorISI_EEEEENSH_IJSG_SG_SG_EEES9_SI_JZNS1_25segmented_radix_sort_implINS0_14default_configELb0EPKsPsPKlPlN2at6native12_GLOBAL__N_18offset_tEEE10hipError_tPvRmT1_PNSt15iterator_traitsIS12_E10value_typeET2_T3_PNS13_IS18_E10value_typeET4_jRbjT5_S1E_jjP12ihipStream_tbEUljE_ZNSN_ISO_Lb0ESQ_SR_ST_SU_SY_EESZ_S10_S11_S12_S16_S17_S18_S1B_S1C_jS1D_jS1E_S1E_jjS1G_bEUljE0_EEESZ_S10_S11_S18_S1C_S1E_T6_T7_T9_mT8_S1G_bDpT10_ENKUlT_T0_E_clISt17integral_constantIbLb1EES1U_EEDaS1P_S1Q_EUlS1P_E_NS1_11comp_targetILNS1_3genE4ELNS1_11target_archE910ELNS1_3gpuE8ELNS1_3repE0EEENS1_30default_config_static_selectorELNS0_4arch9wavefront6targetE0EEEvS12_ ; -- Begin function _ZN7rocprim17ROCPRIM_400000_NS6detail17trampoline_kernelINS0_13select_configILj256ELj13ELNS0_17block_load_methodE3ELS4_3ELS4_3ELNS0_20block_scan_algorithmE0ELj4294967295EEENS1_25partition_config_selectorILNS1_17partition_subalgoE4EjNS0_10empty_typeEbEEZZNS1_14partition_implILS8_4ELb0ES6_15HIP_vector_typeIjLj2EENS0_17counting_iteratorIjlEEPS9_SG_NS0_5tupleIJPjSI_NS0_16reverse_iteratorISI_EEEEENSH_IJSG_SG_SG_EEES9_SI_JZNS1_25segmented_radix_sort_implINS0_14default_configELb0EPKsPsPKlPlN2at6native12_GLOBAL__N_18offset_tEEE10hipError_tPvRmT1_PNSt15iterator_traitsIS12_E10value_typeET2_T3_PNS13_IS18_E10value_typeET4_jRbjT5_S1E_jjP12ihipStream_tbEUljE_ZNSN_ISO_Lb0ESQ_SR_ST_SU_SY_EESZ_S10_S11_S12_S16_S17_S18_S1B_S1C_jS1D_jS1E_S1E_jjS1G_bEUljE0_EEESZ_S10_S11_S18_S1C_S1E_T6_T7_T9_mT8_S1G_bDpT10_ENKUlT_T0_E_clISt17integral_constantIbLb1EES1U_EEDaS1P_S1Q_EUlS1P_E_NS1_11comp_targetILNS1_3genE4ELNS1_11target_archE910ELNS1_3gpuE8ELNS1_3repE0EEENS1_30default_config_static_selectorELNS0_4arch9wavefront6targetE0EEEvS12_
	.p2align	8
	.type	_ZN7rocprim17ROCPRIM_400000_NS6detail17trampoline_kernelINS0_13select_configILj256ELj13ELNS0_17block_load_methodE3ELS4_3ELS4_3ELNS0_20block_scan_algorithmE0ELj4294967295EEENS1_25partition_config_selectorILNS1_17partition_subalgoE4EjNS0_10empty_typeEbEEZZNS1_14partition_implILS8_4ELb0ES6_15HIP_vector_typeIjLj2EENS0_17counting_iteratorIjlEEPS9_SG_NS0_5tupleIJPjSI_NS0_16reverse_iteratorISI_EEEEENSH_IJSG_SG_SG_EEES9_SI_JZNS1_25segmented_radix_sort_implINS0_14default_configELb0EPKsPsPKlPlN2at6native12_GLOBAL__N_18offset_tEEE10hipError_tPvRmT1_PNSt15iterator_traitsIS12_E10value_typeET2_T3_PNS13_IS18_E10value_typeET4_jRbjT5_S1E_jjP12ihipStream_tbEUljE_ZNSN_ISO_Lb0ESQ_SR_ST_SU_SY_EESZ_S10_S11_S12_S16_S17_S18_S1B_S1C_jS1D_jS1E_S1E_jjS1G_bEUljE0_EEESZ_S10_S11_S18_S1C_S1E_T6_T7_T9_mT8_S1G_bDpT10_ENKUlT_T0_E_clISt17integral_constantIbLb1EES1U_EEDaS1P_S1Q_EUlS1P_E_NS1_11comp_targetILNS1_3genE4ELNS1_11target_archE910ELNS1_3gpuE8ELNS1_3repE0EEENS1_30default_config_static_selectorELNS0_4arch9wavefront6targetE0EEEvS12_,@function
_ZN7rocprim17ROCPRIM_400000_NS6detail17trampoline_kernelINS0_13select_configILj256ELj13ELNS0_17block_load_methodE3ELS4_3ELS4_3ELNS0_20block_scan_algorithmE0ELj4294967295EEENS1_25partition_config_selectorILNS1_17partition_subalgoE4EjNS0_10empty_typeEbEEZZNS1_14partition_implILS8_4ELb0ES6_15HIP_vector_typeIjLj2EENS0_17counting_iteratorIjlEEPS9_SG_NS0_5tupleIJPjSI_NS0_16reverse_iteratorISI_EEEEENSH_IJSG_SG_SG_EEES9_SI_JZNS1_25segmented_radix_sort_implINS0_14default_configELb0EPKsPsPKlPlN2at6native12_GLOBAL__N_18offset_tEEE10hipError_tPvRmT1_PNSt15iterator_traitsIS12_E10value_typeET2_T3_PNS13_IS18_E10value_typeET4_jRbjT5_S1E_jjP12ihipStream_tbEUljE_ZNSN_ISO_Lb0ESQ_SR_ST_SU_SY_EESZ_S10_S11_S12_S16_S17_S18_S1B_S1C_jS1D_jS1E_S1E_jjS1G_bEUljE0_EEESZ_S10_S11_S18_S1C_S1E_T6_T7_T9_mT8_S1G_bDpT10_ENKUlT_T0_E_clISt17integral_constantIbLb1EES1U_EEDaS1P_S1Q_EUlS1P_E_NS1_11comp_targetILNS1_3genE4ELNS1_11target_archE910ELNS1_3gpuE8ELNS1_3repE0EEENS1_30default_config_static_selectorELNS0_4arch9wavefront6targetE0EEEvS12_: ; @_ZN7rocprim17ROCPRIM_400000_NS6detail17trampoline_kernelINS0_13select_configILj256ELj13ELNS0_17block_load_methodE3ELS4_3ELS4_3ELNS0_20block_scan_algorithmE0ELj4294967295EEENS1_25partition_config_selectorILNS1_17partition_subalgoE4EjNS0_10empty_typeEbEEZZNS1_14partition_implILS8_4ELb0ES6_15HIP_vector_typeIjLj2EENS0_17counting_iteratorIjlEEPS9_SG_NS0_5tupleIJPjSI_NS0_16reverse_iteratorISI_EEEEENSH_IJSG_SG_SG_EEES9_SI_JZNS1_25segmented_radix_sort_implINS0_14default_configELb0EPKsPsPKlPlN2at6native12_GLOBAL__N_18offset_tEEE10hipError_tPvRmT1_PNSt15iterator_traitsIS12_E10value_typeET2_T3_PNS13_IS18_E10value_typeET4_jRbjT5_S1E_jjP12ihipStream_tbEUljE_ZNSN_ISO_Lb0ESQ_SR_ST_SU_SY_EESZ_S10_S11_S12_S16_S17_S18_S1B_S1C_jS1D_jS1E_S1E_jjS1G_bEUljE0_EEESZ_S10_S11_S18_S1C_S1E_T6_T7_T9_mT8_S1G_bDpT10_ENKUlT_T0_E_clISt17integral_constantIbLb1EES1U_EEDaS1P_S1Q_EUlS1P_E_NS1_11comp_targetILNS1_3genE4ELNS1_11target_archE910ELNS1_3gpuE8ELNS1_3repE0EEENS1_30default_config_static_selectorELNS0_4arch9wavefront6targetE0EEEvS12_
; %bb.0:
	.section	.rodata,"a",@progbits
	.p2align	6, 0x0
	.amdhsa_kernel _ZN7rocprim17ROCPRIM_400000_NS6detail17trampoline_kernelINS0_13select_configILj256ELj13ELNS0_17block_load_methodE3ELS4_3ELS4_3ELNS0_20block_scan_algorithmE0ELj4294967295EEENS1_25partition_config_selectorILNS1_17partition_subalgoE4EjNS0_10empty_typeEbEEZZNS1_14partition_implILS8_4ELb0ES6_15HIP_vector_typeIjLj2EENS0_17counting_iteratorIjlEEPS9_SG_NS0_5tupleIJPjSI_NS0_16reverse_iteratorISI_EEEEENSH_IJSG_SG_SG_EEES9_SI_JZNS1_25segmented_radix_sort_implINS0_14default_configELb0EPKsPsPKlPlN2at6native12_GLOBAL__N_18offset_tEEE10hipError_tPvRmT1_PNSt15iterator_traitsIS12_E10value_typeET2_T3_PNS13_IS18_E10value_typeET4_jRbjT5_S1E_jjP12ihipStream_tbEUljE_ZNSN_ISO_Lb0ESQ_SR_ST_SU_SY_EESZ_S10_S11_S12_S16_S17_S18_S1B_S1C_jS1D_jS1E_S1E_jjS1G_bEUljE0_EEESZ_S10_S11_S18_S1C_S1E_T6_T7_T9_mT8_S1G_bDpT10_ENKUlT_T0_E_clISt17integral_constantIbLb1EES1U_EEDaS1P_S1Q_EUlS1P_E_NS1_11comp_targetILNS1_3genE4ELNS1_11target_archE910ELNS1_3gpuE8ELNS1_3repE0EEENS1_30default_config_static_selectorELNS0_4arch9wavefront6targetE0EEEvS12_
		.amdhsa_group_segment_fixed_size 0
		.amdhsa_private_segment_fixed_size 0
		.amdhsa_kernarg_size 184
		.amdhsa_user_sgpr_count 6
		.amdhsa_user_sgpr_private_segment_buffer 1
		.amdhsa_user_sgpr_dispatch_ptr 0
		.amdhsa_user_sgpr_queue_ptr 0
		.amdhsa_user_sgpr_kernarg_segment_ptr 1
		.amdhsa_user_sgpr_dispatch_id 0
		.amdhsa_user_sgpr_flat_scratch_init 0
		.amdhsa_user_sgpr_private_segment_size 0
		.amdhsa_wavefront_size32 1
		.amdhsa_uses_dynamic_stack 0
		.amdhsa_system_sgpr_private_segment_wavefront_offset 0
		.amdhsa_system_sgpr_workgroup_id_x 1
		.amdhsa_system_sgpr_workgroup_id_y 0
		.amdhsa_system_sgpr_workgroup_id_z 0
		.amdhsa_system_sgpr_workgroup_info 0
		.amdhsa_system_vgpr_workitem_id 0
		.amdhsa_next_free_vgpr 1
		.amdhsa_next_free_sgpr 1
		.amdhsa_reserve_vcc 0
		.amdhsa_reserve_flat_scratch 0
		.amdhsa_float_round_mode_32 0
		.amdhsa_float_round_mode_16_64 0
		.amdhsa_float_denorm_mode_32 3
		.amdhsa_float_denorm_mode_16_64 3
		.amdhsa_dx10_clamp 1
		.amdhsa_ieee_mode 1
		.amdhsa_fp16_overflow 0
		.amdhsa_workgroup_processor_mode 1
		.amdhsa_memory_ordered 1
		.amdhsa_forward_progress 1
		.amdhsa_shared_vgpr_count 0
		.amdhsa_exception_fp_ieee_invalid_op 0
		.amdhsa_exception_fp_denorm_src 0
		.amdhsa_exception_fp_ieee_div_zero 0
		.amdhsa_exception_fp_ieee_overflow 0
		.amdhsa_exception_fp_ieee_underflow 0
		.amdhsa_exception_fp_ieee_inexact 0
		.amdhsa_exception_int_div_zero 0
	.end_amdhsa_kernel
	.section	.text._ZN7rocprim17ROCPRIM_400000_NS6detail17trampoline_kernelINS0_13select_configILj256ELj13ELNS0_17block_load_methodE3ELS4_3ELS4_3ELNS0_20block_scan_algorithmE0ELj4294967295EEENS1_25partition_config_selectorILNS1_17partition_subalgoE4EjNS0_10empty_typeEbEEZZNS1_14partition_implILS8_4ELb0ES6_15HIP_vector_typeIjLj2EENS0_17counting_iteratorIjlEEPS9_SG_NS0_5tupleIJPjSI_NS0_16reverse_iteratorISI_EEEEENSH_IJSG_SG_SG_EEES9_SI_JZNS1_25segmented_radix_sort_implINS0_14default_configELb0EPKsPsPKlPlN2at6native12_GLOBAL__N_18offset_tEEE10hipError_tPvRmT1_PNSt15iterator_traitsIS12_E10value_typeET2_T3_PNS13_IS18_E10value_typeET4_jRbjT5_S1E_jjP12ihipStream_tbEUljE_ZNSN_ISO_Lb0ESQ_SR_ST_SU_SY_EESZ_S10_S11_S12_S16_S17_S18_S1B_S1C_jS1D_jS1E_S1E_jjS1G_bEUljE0_EEESZ_S10_S11_S18_S1C_S1E_T6_T7_T9_mT8_S1G_bDpT10_ENKUlT_T0_E_clISt17integral_constantIbLb1EES1U_EEDaS1P_S1Q_EUlS1P_E_NS1_11comp_targetILNS1_3genE4ELNS1_11target_archE910ELNS1_3gpuE8ELNS1_3repE0EEENS1_30default_config_static_selectorELNS0_4arch9wavefront6targetE0EEEvS12_,"axG",@progbits,_ZN7rocprim17ROCPRIM_400000_NS6detail17trampoline_kernelINS0_13select_configILj256ELj13ELNS0_17block_load_methodE3ELS4_3ELS4_3ELNS0_20block_scan_algorithmE0ELj4294967295EEENS1_25partition_config_selectorILNS1_17partition_subalgoE4EjNS0_10empty_typeEbEEZZNS1_14partition_implILS8_4ELb0ES6_15HIP_vector_typeIjLj2EENS0_17counting_iteratorIjlEEPS9_SG_NS0_5tupleIJPjSI_NS0_16reverse_iteratorISI_EEEEENSH_IJSG_SG_SG_EEES9_SI_JZNS1_25segmented_radix_sort_implINS0_14default_configELb0EPKsPsPKlPlN2at6native12_GLOBAL__N_18offset_tEEE10hipError_tPvRmT1_PNSt15iterator_traitsIS12_E10value_typeET2_T3_PNS13_IS18_E10value_typeET4_jRbjT5_S1E_jjP12ihipStream_tbEUljE_ZNSN_ISO_Lb0ESQ_SR_ST_SU_SY_EESZ_S10_S11_S12_S16_S17_S18_S1B_S1C_jS1D_jS1E_S1E_jjS1G_bEUljE0_EEESZ_S10_S11_S18_S1C_S1E_T6_T7_T9_mT8_S1G_bDpT10_ENKUlT_T0_E_clISt17integral_constantIbLb1EES1U_EEDaS1P_S1Q_EUlS1P_E_NS1_11comp_targetILNS1_3genE4ELNS1_11target_archE910ELNS1_3gpuE8ELNS1_3repE0EEENS1_30default_config_static_selectorELNS0_4arch9wavefront6targetE0EEEvS12_,comdat
.Lfunc_end953:
	.size	_ZN7rocprim17ROCPRIM_400000_NS6detail17trampoline_kernelINS0_13select_configILj256ELj13ELNS0_17block_load_methodE3ELS4_3ELS4_3ELNS0_20block_scan_algorithmE0ELj4294967295EEENS1_25partition_config_selectorILNS1_17partition_subalgoE4EjNS0_10empty_typeEbEEZZNS1_14partition_implILS8_4ELb0ES6_15HIP_vector_typeIjLj2EENS0_17counting_iteratorIjlEEPS9_SG_NS0_5tupleIJPjSI_NS0_16reverse_iteratorISI_EEEEENSH_IJSG_SG_SG_EEES9_SI_JZNS1_25segmented_radix_sort_implINS0_14default_configELb0EPKsPsPKlPlN2at6native12_GLOBAL__N_18offset_tEEE10hipError_tPvRmT1_PNSt15iterator_traitsIS12_E10value_typeET2_T3_PNS13_IS18_E10value_typeET4_jRbjT5_S1E_jjP12ihipStream_tbEUljE_ZNSN_ISO_Lb0ESQ_SR_ST_SU_SY_EESZ_S10_S11_S12_S16_S17_S18_S1B_S1C_jS1D_jS1E_S1E_jjS1G_bEUljE0_EEESZ_S10_S11_S18_S1C_S1E_T6_T7_T9_mT8_S1G_bDpT10_ENKUlT_T0_E_clISt17integral_constantIbLb1EES1U_EEDaS1P_S1Q_EUlS1P_E_NS1_11comp_targetILNS1_3genE4ELNS1_11target_archE910ELNS1_3gpuE8ELNS1_3repE0EEENS1_30default_config_static_selectorELNS0_4arch9wavefront6targetE0EEEvS12_, .Lfunc_end953-_ZN7rocprim17ROCPRIM_400000_NS6detail17trampoline_kernelINS0_13select_configILj256ELj13ELNS0_17block_load_methodE3ELS4_3ELS4_3ELNS0_20block_scan_algorithmE0ELj4294967295EEENS1_25partition_config_selectorILNS1_17partition_subalgoE4EjNS0_10empty_typeEbEEZZNS1_14partition_implILS8_4ELb0ES6_15HIP_vector_typeIjLj2EENS0_17counting_iteratorIjlEEPS9_SG_NS0_5tupleIJPjSI_NS0_16reverse_iteratorISI_EEEEENSH_IJSG_SG_SG_EEES9_SI_JZNS1_25segmented_radix_sort_implINS0_14default_configELb0EPKsPsPKlPlN2at6native12_GLOBAL__N_18offset_tEEE10hipError_tPvRmT1_PNSt15iterator_traitsIS12_E10value_typeET2_T3_PNS13_IS18_E10value_typeET4_jRbjT5_S1E_jjP12ihipStream_tbEUljE_ZNSN_ISO_Lb0ESQ_SR_ST_SU_SY_EESZ_S10_S11_S12_S16_S17_S18_S1B_S1C_jS1D_jS1E_S1E_jjS1G_bEUljE0_EEESZ_S10_S11_S18_S1C_S1E_T6_T7_T9_mT8_S1G_bDpT10_ENKUlT_T0_E_clISt17integral_constantIbLb1EES1U_EEDaS1P_S1Q_EUlS1P_E_NS1_11comp_targetILNS1_3genE4ELNS1_11target_archE910ELNS1_3gpuE8ELNS1_3repE0EEENS1_30default_config_static_selectorELNS0_4arch9wavefront6targetE0EEEvS12_
                                        ; -- End function
	.set _ZN7rocprim17ROCPRIM_400000_NS6detail17trampoline_kernelINS0_13select_configILj256ELj13ELNS0_17block_load_methodE3ELS4_3ELS4_3ELNS0_20block_scan_algorithmE0ELj4294967295EEENS1_25partition_config_selectorILNS1_17partition_subalgoE4EjNS0_10empty_typeEbEEZZNS1_14partition_implILS8_4ELb0ES6_15HIP_vector_typeIjLj2EENS0_17counting_iteratorIjlEEPS9_SG_NS0_5tupleIJPjSI_NS0_16reverse_iteratorISI_EEEEENSH_IJSG_SG_SG_EEES9_SI_JZNS1_25segmented_radix_sort_implINS0_14default_configELb0EPKsPsPKlPlN2at6native12_GLOBAL__N_18offset_tEEE10hipError_tPvRmT1_PNSt15iterator_traitsIS12_E10value_typeET2_T3_PNS13_IS18_E10value_typeET4_jRbjT5_S1E_jjP12ihipStream_tbEUljE_ZNSN_ISO_Lb0ESQ_SR_ST_SU_SY_EESZ_S10_S11_S12_S16_S17_S18_S1B_S1C_jS1D_jS1E_S1E_jjS1G_bEUljE0_EEESZ_S10_S11_S18_S1C_S1E_T6_T7_T9_mT8_S1G_bDpT10_ENKUlT_T0_E_clISt17integral_constantIbLb1EES1U_EEDaS1P_S1Q_EUlS1P_E_NS1_11comp_targetILNS1_3genE4ELNS1_11target_archE910ELNS1_3gpuE8ELNS1_3repE0EEENS1_30default_config_static_selectorELNS0_4arch9wavefront6targetE0EEEvS12_.num_vgpr, 0
	.set _ZN7rocprim17ROCPRIM_400000_NS6detail17trampoline_kernelINS0_13select_configILj256ELj13ELNS0_17block_load_methodE3ELS4_3ELS4_3ELNS0_20block_scan_algorithmE0ELj4294967295EEENS1_25partition_config_selectorILNS1_17partition_subalgoE4EjNS0_10empty_typeEbEEZZNS1_14partition_implILS8_4ELb0ES6_15HIP_vector_typeIjLj2EENS0_17counting_iteratorIjlEEPS9_SG_NS0_5tupleIJPjSI_NS0_16reverse_iteratorISI_EEEEENSH_IJSG_SG_SG_EEES9_SI_JZNS1_25segmented_radix_sort_implINS0_14default_configELb0EPKsPsPKlPlN2at6native12_GLOBAL__N_18offset_tEEE10hipError_tPvRmT1_PNSt15iterator_traitsIS12_E10value_typeET2_T3_PNS13_IS18_E10value_typeET4_jRbjT5_S1E_jjP12ihipStream_tbEUljE_ZNSN_ISO_Lb0ESQ_SR_ST_SU_SY_EESZ_S10_S11_S12_S16_S17_S18_S1B_S1C_jS1D_jS1E_S1E_jjS1G_bEUljE0_EEESZ_S10_S11_S18_S1C_S1E_T6_T7_T9_mT8_S1G_bDpT10_ENKUlT_T0_E_clISt17integral_constantIbLb1EES1U_EEDaS1P_S1Q_EUlS1P_E_NS1_11comp_targetILNS1_3genE4ELNS1_11target_archE910ELNS1_3gpuE8ELNS1_3repE0EEENS1_30default_config_static_selectorELNS0_4arch9wavefront6targetE0EEEvS12_.num_agpr, 0
	.set _ZN7rocprim17ROCPRIM_400000_NS6detail17trampoline_kernelINS0_13select_configILj256ELj13ELNS0_17block_load_methodE3ELS4_3ELS4_3ELNS0_20block_scan_algorithmE0ELj4294967295EEENS1_25partition_config_selectorILNS1_17partition_subalgoE4EjNS0_10empty_typeEbEEZZNS1_14partition_implILS8_4ELb0ES6_15HIP_vector_typeIjLj2EENS0_17counting_iteratorIjlEEPS9_SG_NS0_5tupleIJPjSI_NS0_16reverse_iteratorISI_EEEEENSH_IJSG_SG_SG_EEES9_SI_JZNS1_25segmented_radix_sort_implINS0_14default_configELb0EPKsPsPKlPlN2at6native12_GLOBAL__N_18offset_tEEE10hipError_tPvRmT1_PNSt15iterator_traitsIS12_E10value_typeET2_T3_PNS13_IS18_E10value_typeET4_jRbjT5_S1E_jjP12ihipStream_tbEUljE_ZNSN_ISO_Lb0ESQ_SR_ST_SU_SY_EESZ_S10_S11_S12_S16_S17_S18_S1B_S1C_jS1D_jS1E_S1E_jjS1G_bEUljE0_EEESZ_S10_S11_S18_S1C_S1E_T6_T7_T9_mT8_S1G_bDpT10_ENKUlT_T0_E_clISt17integral_constantIbLb1EES1U_EEDaS1P_S1Q_EUlS1P_E_NS1_11comp_targetILNS1_3genE4ELNS1_11target_archE910ELNS1_3gpuE8ELNS1_3repE0EEENS1_30default_config_static_selectorELNS0_4arch9wavefront6targetE0EEEvS12_.numbered_sgpr, 0
	.set _ZN7rocprim17ROCPRIM_400000_NS6detail17trampoline_kernelINS0_13select_configILj256ELj13ELNS0_17block_load_methodE3ELS4_3ELS4_3ELNS0_20block_scan_algorithmE0ELj4294967295EEENS1_25partition_config_selectorILNS1_17partition_subalgoE4EjNS0_10empty_typeEbEEZZNS1_14partition_implILS8_4ELb0ES6_15HIP_vector_typeIjLj2EENS0_17counting_iteratorIjlEEPS9_SG_NS0_5tupleIJPjSI_NS0_16reverse_iteratorISI_EEEEENSH_IJSG_SG_SG_EEES9_SI_JZNS1_25segmented_radix_sort_implINS0_14default_configELb0EPKsPsPKlPlN2at6native12_GLOBAL__N_18offset_tEEE10hipError_tPvRmT1_PNSt15iterator_traitsIS12_E10value_typeET2_T3_PNS13_IS18_E10value_typeET4_jRbjT5_S1E_jjP12ihipStream_tbEUljE_ZNSN_ISO_Lb0ESQ_SR_ST_SU_SY_EESZ_S10_S11_S12_S16_S17_S18_S1B_S1C_jS1D_jS1E_S1E_jjS1G_bEUljE0_EEESZ_S10_S11_S18_S1C_S1E_T6_T7_T9_mT8_S1G_bDpT10_ENKUlT_T0_E_clISt17integral_constantIbLb1EES1U_EEDaS1P_S1Q_EUlS1P_E_NS1_11comp_targetILNS1_3genE4ELNS1_11target_archE910ELNS1_3gpuE8ELNS1_3repE0EEENS1_30default_config_static_selectorELNS0_4arch9wavefront6targetE0EEEvS12_.num_named_barrier, 0
	.set _ZN7rocprim17ROCPRIM_400000_NS6detail17trampoline_kernelINS0_13select_configILj256ELj13ELNS0_17block_load_methodE3ELS4_3ELS4_3ELNS0_20block_scan_algorithmE0ELj4294967295EEENS1_25partition_config_selectorILNS1_17partition_subalgoE4EjNS0_10empty_typeEbEEZZNS1_14partition_implILS8_4ELb0ES6_15HIP_vector_typeIjLj2EENS0_17counting_iteratorIjlEEPS9_SG_NS0_5tupleIJPjSI_NS0_16reverse_iteratorISI_EEEEENSH_IJSG_SG_SG_EEES9_SI_JZNS1_25segmented_radix_sort_implINS0_14default_configELb0EPKsPsPKlPlN2at6native12_GLOBAL__N_18offset_tEEE10hipError_tPvRmT1_PNSt15iterator_traitsIS12_E10value_typeET2_T3_PNS13_IS18_E10value_typeET4_jRbjT5_S1E_jjP12ihipStream_tbEUljE_ZNSN_ISO_Lb0ESQ_SR_ST_SU_SY_EESZ_S10_S11_S12_S16_S17_S18_S1B_S1C_jS1D_jS1E_S1E_jjS1G_bEUljE0_EEESZ_S10_S11_S18_S1C_S1E_T6_T7_T9_mT8_S1G_bDpT10_ENKUlT_T0_E_clISt17integral_constantIbLb1EES1U_EEDaS1P_S1Q_EUlS1P_E_NS1_11comp_targetILNS1_3genE4ELNS1_11target_archE910ELNS1_3gpuE8ELNS1_3repE0EEENS1_30default_config_static_selectorELNS0_4arch9wavefront6targetE0EEEvS12_.private_seg_size, 0
	.set _ZN7rocprim17ROCPRIM_400000_NS6detail17trampoline_kernelINS0_13select_configILj256ELj13ELNS0_17block_load_methodE3ELS4_3ELS4_3ELNS0_20block_scan_algorithmE0ELj4294967295EEENS1_25partition_config_selectorILNS1_17partition_subalgoE4EjNS0_10empty_typeEbEEZZNS1_14partition_implILS8_4ELb0ES6_15HIP_vector_typeIjLj2EENS0_17counting_iteratorIjlEEPS9_SG_NS0_5tupleIJPjSI_NS0_16reverse_iteratorISI_EEEEENSH_IJSG_SG_SG_EEES9_SI_JZNS1_25segmented_radix_sort_implINS0_14default_configELb0EPKsPsPKlPlN2at6native12_GLOBAL__N_18offset_tEEE10hipError_tPvRmT1_PNSt15iterator_traitsIS12_E10value_typeET2_T3_PNS13_IS18_E10value_typeET4_jRbjT5_S1E_jjP12ihipStream_tbEUljE_ZNSN_ISO_Lb0ESQ_SR_ST_SU_SY_EESZ_S10_S11_S12_S16_S17_S18_S1B_S1C_jS1D_jS1E_S1E_jjS1G_bEUljE0_EEESZ_S10_S11_S18_S1C_S1E_T6_T7_T9_mT8_S1G_bDpT10_ENKUlT_T0_E_clISt17integral_constantIbLb1EES1U_EEDaS1P_S1Q_EUlS1P_E_NS1_11comp_targetILNS1_3genE4ELNS1_11target_archE910ELNS1_3gpuE8ELNS1_3repE0EEENS1_30default_config_static_selectorELNS0_4arch9wavefront6targetE0EEEvS12_.uses_vcc, 0
	.set _ZN7rocprim17ROCPRIM_400000_NS6detail17trampoline_kernelINS0_13select_configILj256ELj13ELNS0_17block_load_methodE3ELS4_3ELS4_3ELNS0_20block_scan_algorithmE0ELj4294967295EEENS1_25partition_config_selectorILNS1_17partition_subalgoE4EjNS0_10empty_typeEbEEZZNS1_14partition_implILS8_4ELb0ES6_15HIP_vector_typeIjLj2EENS0_17counting_iteratorIjlEEPS9_SG_NS0_5tupleIJPjSI_NS0_16reverse_iteratorISI_EEEEENSH_IJSG_SG_SG_EEES9_SI_JZNS1_25segmented_radix_sort_implINS0_14default_configELb0EPKsPsPKlPlN2at6native12_GLOBAL__N_18offset_tEEE10hipError_tPvRmT1_PNSt15iterator_traitsIS12_E10value_typeET2_T3_PNS13_IS18_E10value_typeET4_jRbjT5_S1E_jjP12ihipStream_tbEUljE_ZNSN_ISO_Lb0ESQ_SR_ST_SU_SY_EESZ_S10_S11_S12_S16_S17_S18_S1B_S1C_jS1D_jS1E_S1E_jjS1G_bEUljE0_EEESZ_S10_S11_S18_S1C_S1E_T6_T7_T9_mT8_S1G_bDpT10_ENKUlT_T0_E_clISt17integral_constantIbLb1EES1U_EEDaS1P_S1Q_EUlS1P_E_NS1_11comp_targetILNS1_3genE4ELNS1_11target_archE910ELNS1_3gpuE8ELNS1_3repE0EEENS1_30default_config_static_selectorELNS0_4arch9wavefront6targetE0EEEvS12_.uses_flat_scratch, 0
	.set _ZN7rocprim17ROCPRIM_400000_NS6detail17trampoline_kernelINS0_13select_configILj256ELj13ELNS0_17block_load_methodE3ELS4_3ELS4_3ELNS0_20block_scan_algorithmE0ELj4294967295EEENS1_25partition_config_selectorILNS1_17partition_subalgoE4EjNS0_10empty_typeEbEEZZNS1_14partition_implILS8_4ELb0ES6_15HIP_vector_typeIjLj2EENS0_17counting_iteratorIjlEEPS9_SG_NS0_5tupleIJPjSI_NS0_16reverse_iteratorISI_EEEEENSH_IJSG_SG_SG_EEES9_SI_JZNS1_25segmented_radix_sort_implINS0_14default_configELb0EPKsPsPKlPlN2at6native12_GLOBAL__N_18offset_tEEE10hipError_tPvRmT1_PNSt15iterator_traitsIS12_E10value_typeET2_T3_PNS13_IS18_E10value_typeET4_jRbjT5_S1E_jjP12ihipStream_tbEUljE_ZNSN_ISO_Lb0ESQ_SR_ST_SU_SY_EESZ_S10_S11_S12_S16_S17_S18_S1B_S1C_jS1D_jS1E_S1E_jjS1G_bEUljE0_EEESZ_S10_S11_S18_S1C_S1E_T6_T7_T9_mT8_S1G_bDpT10_ENKUlT_T0_E_clISt17integral_constantIbLb1EES1U_EEDaS1P_S1Q_EUlS1P_E_NS1_11comp_targetILNS1_3genE4ELNS1_11target_archE910ELNS1_3gpuE8ELNS1_3repE0EEENS1_30default_config_static_selectorELNS0_4arch9wavefront6targetE0EEEvS12_.has_dyn_sized_stack, 0
	.set _ZN7rocprim17ROCPRIM_400000_NS6detail17trampoline_kernelINS0_13select_configILj256ELj13ELNS0_17block_load_methodE3ELS4_3ELS4_3ELNS0_20block_scan_algorithmE0ELj4294967295EEENS1_25partition_config_selectorILNS1_17partition_subalgoE4EjNS0_10empty_typeEbEEZZNS1_14partition_implILS8_4ELb0ES6_15HIP_vector_typeIjLj2EENS0_17counting_iteratorIjlEEPS9_SG_NS0_5tupleIJPjSI_NS0_16reverse_iteratorISI_EEEEENSH_IJSG_SG_SG_EEES9_SI_JZNS1_25segmented_radix_sort_implINS0_14default_configELb0EPKsPsPKlPlN2at6native12_GLOBAL__N_18offset_tEEE10hipError_tPvRmT1_PNSt15iterator_traitsIS12_E10value_typeET2_T3_PNS13_IS18_E10value_typeET4_jRbjT5_S1E_jjP12ihipStream_tbEUljE_ZNSN_ISO_Lb0ESQ_SR_ST_SU_SY_EESZ_S10_S11_S12_S16_S17_S18_S1B_S1C_jS1D_jS1E_S1E_jjS1G_bEUljE0_EEESZ_S10_S11_S18_S1C_S1E_T6_T7_T9_mT8_S1G_bDpT10_ENKUlT_T0_E_clISt17integral_constantIbLb1EES1U_EEDaS1P_S1Q_EUlS1P_E_NS1_11comp_targetILNS1_3genE4ELNS1_11target_archE910ELNS1_3gpuE8ELNS1_3repE0EEENS1_30default_config_static_selectorELNS0_4arch9wavefront6targetE0EEEvS12_.has_recursion, 0
	.set _ZN7rocprim17ROCPRIM_400000_NS6detail17trampoline_kernelINS0_13select_configILj256ELj13ELNS0_17block_load_methodE3ELS4_3ELS4_3ELNS0_20block_scan_algorithmE0ELj4294967295EEENS1_25partition_config_selectorILNS1_17partition_subalgoE4EjNS0_10empty_typeEbEEZZNS1_14partition_implILS8_4ELb0ES6_15HIP_vector_typeIjLj2EENS0_17counting_iteratorIjlEEPS9_SG_NS0_5tupleIJPjSI_NS0_16reverse_iteratorISI_EEEEENSH_IJSG_SG_SG_EEES9_SI_JZNS1_25segmented_radix_sort_implINS0_14default_configELb0EPKsPsPKlPlN2at6native12_GLOBAL__N_18offset_tEEE10hipError_tPvRmT1_PNSt15iterator_traitsIS12_E10value_typeET2_T3_PNS13_IS18_E10value_typeET4_jRbjT5_S1E_jjP12ihipStream_tbEUljE_ZNSN_ISO_Lb0ESQ_SR_ST_SU_SY_EESZ_S10_S11_S12_S16_S17_S18_S1B_S1C_jS1D_jS1E_S1E_jjS1G_bEUljE0_EEESZ_S10_S11_S18_S1C_S1E_T6_T7_T9_mT8_S1G_bDpT10_ENKUlT_T0_E_clISt17integral_constantIbLb1EES1U_EEDaS1P_S1Q_EUlS1P_E_NS1_11comp_targetILNS1_3genE4ELNS1_11target_archE910ELNS1_3gpuE8ELNS1_3repE0EEENS1_30default_config_static_selectorELNS0_4arch9wavefront6targetE0EEEvS12_.has_indirect_call, 0
	.section	.AMDGPU.csdata,"",@progbits
; Kernel info:
; codeLenInByte = 0
; TotalNumSgprs: 0
; NumVgprs: 0
; ScratchSize: 0
; MemoryBound: 0
; FloatMode: 240
; IeeeMode: 1
; LDSByteSize: 0 bytes/workgroup (compile time only)
; SGPRBlocks: 0
; VGPRBlocks: 0
; NumSGPRsForWavesPerEU: 1
; NumVGPRsForWavesPerEU: 1
; Occupancy: 16
; WaveLimiterHint : 0
; COMPUTE_PGM_RSRC2:SCRATCH_EN: 0
; COMPUTE_PGM_RSRC2:USER_SGPR: 6
; COMPUTE_PGM_RSRC2:TRAP_HANDLER: 0
; COMPUTE_PGM_RSRC2:TGID_X_EN: 1
; COMPUTE_PGM_RSRC2:TGID_Y_EN: 0
; COMPUTE_PGM_RSRC2:TGID_Z_EN: 0
; COMPUTE_PGM_RSRC2:TIDIG_COMP_CNT: 0
	.section	.text._ZN7rocprim17ROCPRIM_400000_NS6detail17trampoline_kernelINS0_13select_configILj256ELj13ELNS0_17block_load_methodE3ELS4_3ELS4_3ELNS0_20block_scan_algorithmE0ELj4294967295EEENS1_25partition_config_selectorILNS1_17partition_subalgoE4EjNS0_10empty_typeEbEEZZNS1_14partition_implILS8_4ELb0ES6_15HIP_vector_typeIjLj2EENS0_17counting_iteratorIjlEEPS9_SG_NS0_5tupleIJPjSI_NS0_16reverse_iteratorISI_EEEEENSH_IJSG_SG_SG_EEES9_SI_JZNS1_25segmented_radix_sort_implINS0_14default_configELb0EPKsPsPKlPlN2at6native12_GLOBAL__N_18offset_tEEE10hipError_tPvRmT1_PNSt15iterator_traitsIS12_E10value_typeET2_T3_PNS13_IS18_E10value_typeET4_jRbjT5_S1E_jjP12ihipStream_tbEUljE_ZNSN_ISO_Lb0ESQ_SR_ST_SU_SY_EESZ_S10_S11_S12_S16_S17_S18_S1B_S1C_jS1D_jS1E_S1E_jjS1G_bEUljE0_EEESZ_S10_S11_S18_S1C_S1E_T6_T7_T9_mT8_S1G_bDpT10_ENKUlT_T0_E_clISt17integral_constantIbLb1EES1U_EEDaS1P_S1Q_EUlS1P_E_NS1_11comp_targetILNS1_3genE3ELNS1_11target_archE908ELNS1_3gpuE7ELNS1_3repE0EEENS1_30default_config_static_selectorELNS0_4arch9wavefront6targetE0EEEvS12_,"axG",@progbits,_ZN7rocprim17ROCPRIM_400000_NS6detail17trampoline_kernelINS0_13select_configILj256ELj13ELNS0_17block_load_methodE3ELS4_3ELS4_3ELNS0_20block_scan_algorithmE0ELj4294967295EEENS1_25partition_config_selectorILNS1_17partition_subalgoE4EjNS0_10empty_typeEbEEZZNS1_14partition_implILS8_4ELb0ES6_15HIP_vector_typeIjLj2EENS0_17counting_iteratorIjlEEPS9_SG_NS0_5tupleIJPjSI_NS0_16reverse_iteratorISI_EEEEENSH_IJSG_SG_SG_EEES9_SI_JZNS1_25segmented_radix_sort_implINS0_14default_configELb0EPKsPsPKlPlN2at6native12_GLOBAL__N_18offset_tEEE10hipError_tPvRmT1_PNSt15iterator_traitsIS12_E10value_typeET2_T3_PNS13_IS18_E10value_typeET4_jRbjT5_S1E_jjP12ihipStream_tbEUljE_ZNSN_ISO_Lb0ESQ_SR_ST_SU_SY_EESZ_S10_S11_S12_S16_S17_S18_S1B_S1C_jS1D_jS1E_S1E_jjS1G_bEUljE0_EEESZ_S10_S11_S18_S1C_S1E_T6_T7_T9_mT8_S1G_bDpT10_ENKUlT_T0_E_clISt17integral_constantIbLb1EES1U_EEDaS1P_S1Q_EUlS1P_E_NS1_11comp_targetILNS1_3genE3ELNS1_11target_archE908ELNS1_3gpuE7ELNS1_3repE0EEENS1_30default_config_static_selectorELNS0_4arch9wavefront6targetE0EEEvS12_,comdat
	.globl	_ZN7rocprim17ROCPRIM_400000_NS6detail17trampoline_kernelINS0_13select_configILj256ELj13ELNS0_17block_load_methodE3ELS4_3ELS4_3ELNS0_20block_scan_algorithmE0ELj4294967295EEENS1_25partition_config_selectorILNS1_17partition_subalgoE4EjNS0_10empty_typeEbEEZZNS1_14partition_implILS8_4ELb0ES6_15HIP_vector_typeIjLj2EENS0_17counting_iteratorIjlEEPS9_SG_NS0_5tupleIJPjSI_NS0_16reverse_iteratorISI_EEEEENSH_IJSG_SG_SG_EEES9_SI_JZNS1_25segmented_radix_sort_implINS0_14default_configELb0EPKsPsPKlPlN2at6native12_GLOBAL__N_18offset_tEEE10hipError_tPvRmT1_PNSt15iterator_traitsIS12_E10value_typeET2_T3_PNS13_IS18_E10value_typeET4_jRbjT5_S1E_jjP12ihipStream_tbEUljE_ZNSN_ISO_Lb0ESQ_SR_ST_SU_SY_EESZ_S10_S11_S12_S16_S17_S18_S1B_S1C_jS1D_jS1E_S1E_jjS1G_bEUljE0_EEESZ_S10_S11_S18_S1C_S1E_T6_T7_T9_mT8_S1G_bDpT10_ENKUlT_T0_E_clISt17integral_constantIbLb1EES1U_EEDaS1P_S1Q_EUlS1P_E_NS1_11comp_targetILNS1_3genE3ELNS1_11target_archE908ELNS1_3gpuE7ELNS1_3repE0EEENS1_30default_config_static_selectorELNS0_4arch9wavefront6targetE0EEEvS12_ ; -- Begin function _ZN7rocprim17ROCPRIM_400000_NS6detail17trampoline_kernelINS0_13select_configILj256ELj13ELNS0_17block_load_methodE3ELS4_3ELS4_3ELNS0_20block_scan_algorithmE0ELj4294967295EEENS1_25partition_config_selectorILNS1_17partition_subalgoE4EjNS0_10empty_typeEbEEZZNS1_14partition_implILS8_4ELb0ES6_15HIP_vector_typeIjLj2EENS0_17counting_iteratorIjlEEPS9_SG_NS0_5tupleIJPjSI_NS0_16reverse_iteratorISI_EEEEENSH_IJSG_SG_SG_EEES9_SI_JZNS1_25segmented_radix_sort_implINS0_14default_configELb0EPKsPsPKlPlN2at6native12_GLOBAL__N_18offset_tEEE10hipError_tPvRmT1_PNSt15iterator_traitsIS12_E10value_typeET2_T3_PNS13_IS18_E10value_typeET4_jRbjT5_S1E_jjP12ihipStream_tbEUljE_ZNSN_ISO_Lb0ESQ_SR_ST_SU_SY_EESZ_S10_S11_S12_S16_S17_S18_S1B_S1C_jS1D_jS1E_S1E_jjS1G_bEUljE0_EEESZ_S10_S11_S18_S1C_S1E_T6_T7_T9_mT8_S1G_bDpT10_ENKUlT_T0_E_clISt17integral_constantIbLb1EES1U_EEDaS1P_S1Q_EUlS1P_E_NS1_11comp_targetILNS1_3genE3ELNS1_11target_archE908ELNS1_3gpuE7ELNS1_3repE0EEENS1_30default_config_static_selectorELNS0_4arch9wavefront6targetE0EEEvS12_
	.p2align	8
	.type	_ZN7rocprim17ROCPRIM_400000_NS6detail17trampoline_kernelINS0_13select_configILj256ELj13ELNS0_17block_load_methodE3ELS4_3ELS4_3ELNS0_20block_scan_algorithmE0ELj4294967295EEENS1_25partition_config_selectorILNS1_17partition_subalgoE4EjNS0_10empty_typeEbEEZZNS1_14partition_implILS8_4ELb0ES6_15HIP_vector_typeIjLj2EENS0_17counting_iteratorIjlEEPS9_SG_NS0_5tupleIJPjSI_NS0_16reverse_iteratorISI_EEEEENSH_IJSG_SG_SG_EEES9_SI_JZNS1_25segmented_radix_sort_implINS0_14default_configELb0EPKsPsPKlPlN2at6native12_GLOBAL__N_18offset_tEEE10hipError_tPvRmT1_PNSt15iterator_traitsIS12_E10value_typeET2_T3_PNS13_IS18_E10value_typeET4_jRbjT5_S1E_jjP12ihipStream_tbEUljE_ZNSN_ISO_Lb0ESQ_SR_ST_SU_SY_EESZ_S10_S11_S12_S16_S17_S18_S1B_S1C_jS1D_jS1E_S1E_jjS1G_bEUljE0_EEESZ_S10_S11_S18_S1C_S1E_T6_T7_T9_mT8_S1G_bDpT10_ENKUlT_T0_E_clISt17integral_constantIbLb1EES1U_EEDaS1P_S1Q_EUlS1P_E_NS1_11comp_targetILNS1_3genE3ELNS1_11target_archE908ELNS1_3gpuE7ELNS1_3repE0EEENS1_30default_config_static_selectorELNS0_4arch9wavefront6targetE0EEEvS12_,@function
_ZN7rocprim17ROCPRIM_400000_NS6detail17trampoline_kernelINS0_13select_configILj256ELj13ELNS0_17block_load_methodE3ELS4_3ELS4_3ELNS0_20block_scan_algorithmE0ELj4294967295EEENS1_25partition_config_selectorILNS1_17partition_subalgoE4EjNS0_10empty_typeEbEEZZNS1_14partition_implILS8_4ELb0ES6_15HIP_vector_typeIjLj2EENS0_17counting_iteratorIjlEEPS9_SG_NS0_5tupleIJPjSI_NS0_16reverse_iteratorISI_EEEEENSH_IJSG_SG_SG_EEES9_SI_JZNS1_25segmented_radix_sort_implINS0_14default_configELb0EPKsPsPKlPlN2at6native12_GLOBAL__N_18offset_tEEE10hipError_tPvRmT1_PNSt15iterator_traitsIS12_E10value_typeET2_T3_PNS13_IS18_E10value_typeET4_jRbjT5_S1E_jjP12ihipStream_tbEUljE_ZNSN_ISO_Lb0ESQ_SR_ST_SU_SY_EESZ_S10_S11_S12_S16_S17_S18_S1B_S1C_jS1D_jS1E_S1E_jjS1G_bEUljE0_EEESZ_S10_S11_S18_S1C_S1E_T6_T7_T9_mT8_S1G_bDpT10_ENKUlT_T0_E_clISt17integral_constantIbLb1EES1U_EEDaS1P_S1Q_EUlS1P_E_NS1_11comp_targetILNS1_3genE3ELNS1_11target_archE908ELNS1_3gpuE7ELNS1_3repE0EEENS1_30default_config_static_selectorELNS0_4arch9wavefront6targetE0EEEvS12_: ; @_ZN7rocprim17ROCPRIM_400000_NS6detail17trampoline_kernelINS0_13select_configILj256ELj13ELNS0_17block_load_methodE3ELS4_3ELS4_3ELNS0_20block_scan_algorithmE0ELj4294967295EEENS1_25partition_config_selectorILNS1_17partition_subalgoE4EjNS0_10empty_typeEbEEZZNS1_14partition_implILS8_4ELb0ES6_15HIP_vector_typeIjLj2EENS0_17counting_iteratorIjlEEPS9_SG_NS0_5tupleIJPjSI_NS0_16reverse_iteratorISI_EEEEENSH_IJSG_SG_SG_EEES9_SI_JZNS1_25segmented_radix_sort_implINS0_14default_configELb0EPKsPsPKlPlN2at6native12_GLOBAL__N_18offset_tEEE10hipError_tPvRmT1_PNSt15iterator_traitsIS12_E10value_typeET2_T3_PNS13_IS18_E10value_typeET4_jRbjT5_S1E_jjP12ihipStream_tbEUljE_ZNSN_ISO_Lb0ESQ_SR_ST_SU_SY_EESZ_S10_S11_S12_S16_S17_S18_S1B_S1C_jS1D_jS1E_S1E_jjS1G_bEUljE0_EEESZ_S10_S11_S18_S1C_S1E_T6_T7_T9_mT8_S1G_bDpT10_ENKUlT_T0_E_clISt17integral_constantIbLb1EES1U_EEDaS1P_S1Q_EUlS1P_E_NS1_11comp_targetILNS1_3genE3ELNS1_11target_archE908ELNS1_3gpuE7ELNS1_3repE0EEENS1_30default_config_static_selectorELNS0_4arch9wavefront6targetE0EEEvS12_
; %bb.0:
	.section	.rodata,"a",@progbits
	.p2align	6, 0x0
	.amdhsa_kernel _ZN7rocprim17ROCPRIM_400000_NS6detail17trampoline_kernelINS0_13select_configILj256ELj13ELNS0_17block_load_methodE3ELS4_3ELS4_3ELNS0_20block_scan_algorithmE0ELj4294967295EEENS1_25partition_config_selectorILNS1_17partition_subalgoE4EjNS0_10empty_typeEbEEZZNS1_14partition_implILS8_4ELb0ES6_15HIP_vector_typeIjLj2EENS0_17counting_iteratorIjlEEPS9_SG_NS0_5tupleIJPjSI_NS0_16reverse_iteratorISI_EEEEENSH_IJSG_SG_SG_EEES9_SI_JZNS1_25segmented_radix_sort_implINS0_14default_configELb0EPKsPsPKlPlN2at6native12_GLOBAL__N_18offset_tEEE10hipError_tPvRmT1_PNSt15iterator_traitsIS12_E10value_typeET2_T3_PNS13_IS18_E10value_typeET4_jRbjT5_S1E_jjP12ihipStream_tbEUljE_ZNSN_ISO_Lb0ESQ_SR_ST_SU_SY_EESZ_S10_S11_S12_S16_S17_S18_S1B_S1C_jS1D_jS1E_S1E_jjS1G_bEUljE0_EEESZ_S10_S11_S18_S1C_S1E_T6_T7_T9_mT8_S1G_bDpT10_ENKUlT_T0_E_clISt17integral_constantIbLb1EES1U_EEDaS1P_S1Q_EUlS1P_E_NS1_11comp_targetILNS1_3genE3ELNS1_11target_archE908ELNS1_3gpuE7ELNS1_3repE0EEENS1_30default_config_static_selectorELNS0_4arch9wavefront6targetE0EEEvS12_
		.amdhsa_group_segment_fixed_size 0
		.amdhsa_private_segment_fixed_size 0
		.amdhsa_kernarg_size 184
		.amdhsa_user_sgpr_count 6
		.amdhsa_user_sgpr_private_segment_buffer 1
		.amdhsa_user_sgpr_dispatch_ptr 0
		.amdhsa_user_sgpr_queue_ptr 0
		.amdhsa_user_sgpr_kernarg_segment_ptr 1
		.amdhsa_user_sgpr_dispatch_id 0
		.amdhsa_user_sgpr_flat_scratch_init 0
		.amdhsa_user_sgpr_private_segment_size 0
		.amdhsa_wavefront_size32 1
		.amdhsa_uses_dynamic_stack 0
		.amdhsa_system_sgpr_private_segment_wavefront_offset 0
		.amdhsa_system_sgpr_workgroup_id_x 1
		.amdhsa_system_sgpr_workgroup_id_y 0
		.amdhsa_system_sgpr_workgroup_id_z 0
		.amdhsa_system_sgpr_workgroup_info 0
		.amdhsa_system_vgpr_workitem_id 0
		.amdhsa_next_free_vgpr 1
		.amdhsa_next_free_sgpr 1
		.amdhsa_reserve_vcc 0
		.amdhsa_reserve_flat_scratch 0
		.amdhsa_float_round_mode_32 0
		.amdhsa_float_round_mode_16_64 0
		.amdhsa_float_denorm_mode_32 3
		.amdhsa_float_denorm_mode_16_64 3
		.amdhsa_dx10_clamp 1
		.amdhsa_ieee_mode 1
		.amdhsa_fp16_overflow 0
		.amdhsa_workgroup_processor_mode 1
		.amdhsa_memory_ordered 1
		.amdhsa_forward_progress 1
		.amdhsa_shared_vgpr_count 0
		.amdhsa_exception_fp_ieee_invalid_op 0
		.amdhsa_exception_fp_denorm_src 0
		.amdhsa_exception_fp_ieee_div_zero 0
		.amdhsa_exception_fp_ieee_overflow 0
		.amdhsa_exception_fp_ieee_underflow 0
		.amdhsa_exception_fp_ieee_inexact 0
		.amdhsa_exception_int_div_zero 0
	.end_amdhsa_kernel
	.section	.text._ZN7rocprim17ROCPRIM_400000_NS6detail17trampoline_kernelINS0_13select_configILj256ELj13ELNS0_17block_load_methodE3ELS4_3ELS4_3ELNS0_20block_scan_algorithmE0ELj4294967295EEENS1_25partition_config_selectorILNS1_17partition_subalgoE4EjNS0_10empty_typeEbEEZZNS1_14partition_implILS8_4ELb0ES6_15HIP_vector_typeIjLj2EENS0_17counting_iteratorIjlEEPS9_SG_NS0_5tupleIJPjSI_NS0_16reverse_iteratorISI_EEEEENSH_IJSG_SG_SG_EEES9_SI_JZNS1_25segmented_radix_sort_implINS0_14default_configELb0EPKsPsPKlPlN2at6native12_GLOBAL__N_18offset_tEEE10hipError_tPvRmT1_PNSt15iterator_traitsIS12_E10value_typeET2_T3_PNS13_IS18_E10value_typeET4_jRbjT5_S1E_jjP12ihipStream_tbEUljE_ZNSN_ISO_Lb0ESQ_SR_ST_SU_SY_EESZ_S10_S11_S12_S16_S17_S18_S1B_S1C_jS1D_jS1E_S1E_jjS1G_bEUljE0_EEESZ_S10_S11_S18_S1C_S1E_T6_T7_T9_mT8_S1G_bDpT10_ENKUlT_T0_E_clISt17integral_constantIbLb1EES1U_EEDaS1P_S1Q_EUlS1P_E_NS1_11comp_targetILNS1_3genE3ELNS1_11target_archE908ELNS1_3gpuE7ELNS1_3repE0EEENS1_30default_config_static_selectorELNS0_4arch9wavefront6targetE0EEEvS12_,"axG",@progbits,_ZN7rocprim17ROCPRIM_400000_NS6detail17trampoline_kernelINS0_13select_configILj256ELj13ELNS0_17block_load_methodE3ELS4_3ELS4_3ELNS0_20block_scan_algorithmE0ELj4294967295EEENS1_25partition_config_selectorILNS1_17partition_subalgoE4EjNS0_10empty_typeEbEEZZNS1_14partition_implILS8_4ELb0ES6_15HIP_vector_typeIjLj2EENS0_17counting_iteratorIjlEEPS9_SG_NS0_5tupleIJPjSI_NS0_16reverse_iteratorISI_EEEEENSH_IJSG_SG_SG_EEES9_SI_JZNS1_25segmented_radix_sort_implINS0_14default_configELb0EPKsPsPKlPlN2at6native12_GLOBAL__N_18offset_tEEE10hipError_tPvRmT1_PNSt15iterator_traitsIS12_E10value_typeET2_T3_PNS13_IS18_E10value_typeET4_jRbjT5_S1E_jjP12ihipStream_tbEUljE_ZNSN_ISO_Lb0ESQ_SR_ST_SU_SY_EESZ_S10_S11_S12_S16_S17_S18_S1B_S1C_jS1D_jS1E_S1E_jjS1G_bEUljE0_EEESZ_S10_S11_S18_S1C_S1E_T6_T7_T9_mT8_S1G_bDpT10_ENKUlT_T0_E_clISt17integral_constantIbLb1EES1U_EEDaS1P_S1Q_EUlS1P_E_NS1_11comp_targetILNS1_3genE3ELNS1_11target_archE908ELNS1_3gpuE7ELNS1_3repE0EEENS1_30default_config_static_selectorELNS0_4arch9wavefront6targetE0EEEvS12_,comdat
.Lfunc_end954:
	.size	_ZN7rocprim17ROCPRIM_400000_NS6detail17trampoline_kernelINS0_13select_configILj256ELj13ELNS0_17block_load_methodE3ELS4_3ELS4_3ELNS0_20block_scan_algorithmE0ELj4294967295EEENS1_25partition_config_selectorILNS1_17partition_subalgoE4EjNS0_10empty_typeEbEEZZNS1_14partition_implILS8_4ELb0ES6_15HIP_vector_typeIjLj2EENS0_17counting_iteratorIjlEEPS9_SG_NS0_5tupleIJPjSI_NS0_16reverse_iteratorISI_EEEEENSH_IJSG_SG_SG_EEES9_SI_JZNS1_25segmented_radix_sort_implINS0_14default_configELb0EPKsPsPKlPlN2at6native12_GLOBAL__N_18offset_tEEE10hipError_tPvRmT1_PNSt15iterator_traitsIS12_E10value_typeET2_T3_PNS13_IS18_E10value_typeET4_jRbjT5_S1E_jjP12ihipStream_tbEUljE_ZNSN_ISO_Lb0ESQ_SR_ST_SU_SY_EESZ_S10_S11_S12_S16_S17_S18_S1B_S1C_jS1D_jS1E_S1E_jjS1G_bEUljE0_EEESZ_S10_S11_S18_S1C_S1E_T6_T7_T9_mT8_S1G_bDpT10_ENKUlT_T0_E_clISt17integral_constantIbLb1EES1U_EEDaS1P_S1Q_EUlS1P_E_NS1_11comp_targetILNS1_3genE3ELNS1_11target_archE908ELNS1_3gpuE7ELNS1_3repE0EEENS1_30default_config_static_selectorELNS0_4arch9wavefront6targetE0EEEvS12_, .Lfunc_end954-_ZN7rocprim17ROCPRIM_400000_NS6detail17trampoline_kernelINS0_13select_configILj256ELj13ELNS0_17block_load_methodE3ELS4_3ELS4_3ELNS0_20block_scan_algorithmE0ELj4294967295EEENS1_25partition_config_selectorILNS1_17partition_subalgoE4EjNS0_10empty_typeEbEEZZNS1_14partition_implILS8_4ELb0ES6_15HIP_vector_typeIjLj2EENS0_17counting_iteratorIjlEEPS9_SG_NS0_5tupleIJPjSI_NS0_16reverse_iteratorISI_EEEEENSH_IJSG_SG_SG_EEES9_SI_JZNS1_25segmented_radix_sort_implINS0_14default_configELb0EPKsPsPKlPlN2at6native12_GLOBAL__N_18offset_tEEE10hipError_tPvRmT1_PNSt15iterator_traitsIS12_E10value_typeET2_T3_PNS13_IS18_E10value_typeET4_jRbjT5_S1E_jjP12ihipStream_tbEUljE_ZNSN_ISO_Lb0ESQ_SR_ST_SU_SY_EESZ_S10_S11_S12_S16_S17_S18_S1B_S1C_jS1D_jS1E_S1E_jjS1G_bEUljE0_EEESZ_S10_S11_S18_S1C_S1E_T6_T7_T9_mT8_S1G_bDpT10_ENKUlT_T0_E_clISt17integral_constantIbLb1EES1U_EEDaS1P_S1Q_EUlS1P_E_NS1_11comp_targetILNS1_3genE3ELNS1_11target_archE908ELNS1_3gpuE7ELNS1_3repE0EEENS1_30default_config_static_selectorELNS0_4arch9wavefront6targetE0EEEvS12_
                                        ; -- End function
	.set _ZN7rocprim17ROCPRIM_400000_NS6detail17trampoline_kernelINS0_13select_configILj256ELj13ELNS0_17block_load_methodE3ELS4_3ELS4_3ELNS0_20block_scan_algorithmE0ELj4294967295EEENS1_25partition_config_selectorILNS1_17partition_subalgoE4EjNS0_10empty_typeEbEEZZNS1_14partition_implILS8_4ELb0ES6_15HIP_vector_typeIjLj2EENS0_17counting_iteratorIjlEEPS9_SG_NS0_5tupleIJPjSI_NS0_16reverse_iteratorISI_EEEEENSH_IJSG_SG_SG_EEES9_SI_JZNS1_25segmented_radix_sort_implINS0_14default_configELb0EPKsPsPKlPlN2at6native12_GLOBAL__N_18offset_tEEE10hipError_tPvRmT1_PNSt15iterator_traitsIS12_E10value_typeET2_T3_PNS13_IS18_E10value_typeET4_jRbjT5_S1E_jjP12ihipStream_tbEUljE_ZNSN_ISO_Lb0ESQ_SR_ST_SU_SY_EESZ_S10_S11_S12_S16_S17_S18_S1B_S1C_jS1D_jS1E_S1E_jjS1G_bEUljE0_EEESZ_S10_S11_S18_S1C_S1E_T6_T7_T9_mT8_S1G_bDpT10_ENKUlT_T0_E_clISt17integral_constantIbLb1EES1U_EEDaS1P_S1Q_EUlS1P_E_NS1_11comp_targetILNS1_3genE3ELNS1_11target_archE908ELNS1_3gpuE7ELNS1_3repE0EEENS1_30default_config_static_selectorELNS0_4arch9wavefront6targetE0EEEvS12_.num_vgpr, 0
	.set _ZN7rocprim17ROCPRIM_400000_NS6detail17trampoline_kernelINS0_13select_configILj256ELj13ELNS0_17block_load_methodE3ELS4_3ELS4_3ELNS0_20block_scan_algorithmE0ELj4294967295EEENS1_25partition_config_selectorILNS1_17partition_subalgoE4EjNS0_10empty_typeEbEEZZNS1_14partition_implILS8_4ELb0ES6_15HIP_vector_typeIjLj2EENS0_17counting_iteratorIjlEEPS9_SG_NS0_5tupleIJPjSI_NS0_16reverse_iteratorISI_EEEEENSH_IJSG_SG_SG_EEES9_SI_JZNS1_25segmented_radix_sort_implINS0_14default_configELb0EPKsPsPKlPlN2at6native12_GLOBAL__N_18offset_tEEE10hipError_tPvRmT1_PNSt15iterator_traitsIS12_E10value_typeET2_T3_PNS13_IS18_E10value_typeET4_jRbjT5_S1E_jjP12ihipStream_tbEUljE_ZNSN_ISO_Lb0ESQ_SR_ST_SU_SY_EESZ_S10_S11_S12_S16_S17_S18_S1B_S1C_jS1D_jS1E_S1E_jjS1G_bEUljE0_EEESZ_S10_S11_S18_S1C_S1E_T6_T7_T9_mT8_S1G_bDpT10_ENKUlT_T0_E_clISt17integral_constantIbLb1EES1U_EEDaS1P_S1Q_EUlS1P_E_NS1_11comp_targetILNS1_3genE3ELNS1_11target_archE908ELNS1_3gpuE7ELNS1_3repE0EEENS1_30default_config_static_selectorELNS0_4arch9wavefront6targetE0EEEvS12_.num_agpr, 0
	.set _ZN7rocprim17ROCPRIM_400000_NS6detail17trampoline_kernelINS0_13select_configILj256ELj13ELNS0_17block_load_methodE3ELS4_3ELS4_3ELNS0_20block_scan_algorithmE0ELj4294967295EEENS1_25partition_config_selectorILNS1_17partition_subalgoE4EjNS0_10empty_typeEbEEZZNS1_14partition_implILS8_4ELb0ES6_15HIP_vector_typeIjLj2EENS0_17counting_iteratorIjlEEPS9_SG_NS0_5tupleIJPjSI_NS0_16reverse_iteratorISI_EEEEENSH_IJSG_SG_SG_EEES9_SI_JZNS1_25segmented_radix_sort_implINS0_14default_configELb0EPKsPsPKlPlN2at6native12_GLOBAL__N_18offset_tEEE10hipError_tPvRmT1_PNSt15iterator_traitsIS12_E10value_typeET2_T3_PNS13_IS18_E10value_typeET4_jRbjT5_S1E_jjP12ihipStream_tbEUljE_ZNSN_ISO_Lb0ESQ_SR_ST_SU_SY_EESZ_S10_S11_S12_S16_S17_S18_S1B_S1C_jS1D_jS1E_S1E_jjS1G_bEUljE0_EEESZ_S10_S11_S18_S1C_S1E_T6_T7_T9_mT8_S1G_bDpT10_ENKUlT_T0_E_clISt17integral_constantIbLb1EES1U_EEDaS1P_S1Q_EUlS1P_E_NS1_11comp_targetILNS1_3genE3ELNS1_11target_archE908ELNS1_3gpuE7ELNS1_3repE0EEENS1_30default_config_static_selectorELNS0_4arch9wavefront6targetE0EEEvS12_.numbered_sgpr, 0
	.set _ZN7rocprim17ROCPRIM_400000_NS6detail17trampoline_kernelINS0_13select_configILj256ELj13ELNS0_17block_load_methodE3ELS4_3ELS4_3ELNS0_20block_scan_algorithmE0ELj4294967295EEENS1_25partition_config_selectorILNS1_17partition_subalgoE4EjNS0_10empty_typeEbEEZZNS1_14partition_implILS8_4ELb0ES6_15HIP_vector_typeIjLj2EENS0_17counting_iteratorIjlEEPS9_SG_NS0_5tupleIJPjSI_NS0_16reverse_iteratorISI_EEEEENSH_IJSG_SG_SG_EEES9_SI_JZNS1_25segmented_radix_sort_implINS0_14default_configELb0EPKsPsPKlPlN2at6native12_GLOBAL__N_18offset_tEEE10hipError_tPvRmT1_PNSt15iterator_traitsIS12_E10value_typeET2_T3_PNS13_IS18_E10value_typeET4_jRbjT5_S1E_jjP12ihipStream_tbEUljE_ZNSN_ISO_Lb0ESQ_SR_ST_SU_SY_EESZ_S10_S11_S12_S16_S17_S18_S1B_S1C_jS1D_jS1E_S1E_jjS1G_bEUljE0_EEESZ_S10_S11_S18_S1C_S1E_T6_T7_T9_mT8_S1G_bDpT10_ENKUlT_T0_E_clISt17integral_constantIbLb1EES1U_EEDaS1P_S1Q_EUlS1P_E_NS1_11comp_targetILNS1_3genE3ELNS1_11target_archE908ELNS1_3gpuE7ELNS1_3repE0EEENS1_30default_config_static_selectorELNS0_4arch9wavefront6targetE0EEEvS12_.num_named_barrier, 0
	.set _ZN7rocprim17ROCPRIM_400000_NS6detail17trampoline_kernelINS0_13select_configILj256ELj13ELNS0_17block_load_methodE3ELS4_3ELS4_3ELNS0_20block_scan_algorithmE0ELj4294967295EEENS1_25partition_config_selectorILNS1_17partition_subalgoE4EjNS0_10empty_typeEbEEZZNS1_14partition_implILS8_4ELb0ES6_15HIP_vector_typeIjLj2EENS0_17counting_iteratorIjlEEPS9_SG_NS0_5tupleIJPjSI_NS0_16reverse_iteratorISI_EEEEENSH_IJSG_SG_SG_EEES9_SI_JZNS1_25segmented_radix_sort_implINS0_14default_configELb0EPKsPsPKlPlN2at6native12_GLOBAL__N_18offset_tEEE10hipError_tPvRmT1_PNSt15iterator_traitsIS12_E10value_typeET2_T3_PNS13_IS18_E10value_typeET4_jRbjT5_S1E_jjP12ihipStream_tbEUljE_ZNSN_ISO_Lb0ESQ_SR_ST_SU_SY_EESZ_S10_S11_S12_S16_S17_S18_S1B_S1C_jS1D_jS1E_S1E_jjS1G_bEUljE0_EEESZ_S10_S11_S18_S1C_S1E_T6_T7_T9_mT8_S1G_bDpT10_ENKUlT_T0_E_clISt17integral_constantIbLb1EES1U_EEDaS1P_S1Q_EUlS1P_E_NS1_11comp_targetILNS1_3genE3ELNS1_11target_archE908ELNS1_3gpuE7ELNS1_3repE0EEENS1_30default_config_static_selectorELNS0_4arch9wavefront6targetE0EEEvS12_.private_seg_size, 0
	.set _ZN7rocprim17ROCPRIM_400000_NS6detail17trampoline_kernelINS0_13select_configILj256ELj13ELNS0_17block_load_methodE3ELS4_3ELS4_3ELNS0_20block_scan_algorithmE0ELj4294967295EEENS1_25partition_config_selectorILNS1_17partition_subalgoE4EjNS0_10empty_typeEbEEZZNS1_14partition_implILS8_4ELb0ES6_15HIP_vector_typeIjLj2EENS0_17counting_iteratorIjlEEPS9_SG_NS0_5tupleIJPjSI_NS0_16reverse_iteratorISI_EEEEENSH_IJSG_SG_SG_EEES9_SI_JZNS1_25segmented_radix_sort_implINS0_14default_configELb0EPKsPsPKlPlN2at6native12_GLOBAL__N_18offset_tEEE10hipError_tPvRmT1_PNSt15iterator_traitsIS12_E10value_typeET2_T3_PNS13_IS18_E10value_typeET4_jRbjT5_S1E_jjP12ihipStream_tbEUljE_ZNSN_ISO_Lb0ESQ_SR_ST_SU_SY_EESZ_S10_S11_S12_S16_S17_S18_S1B_S1C_jS1D_jS1E_S1E_jjS1G_bEUljE0_EEESZ_S10_S11_S18_S1C_S1E_T6_T7_T9_mT8_S1G_bDpT10_ENKUlT_T0_E_clISt17integral_constantIbLb1EES1U_EEDaS1P_S1Q_EUlS1P_E_NS1_11comp_targetILNS1_3genE3ELNS1_11target_archE908ELNS1_3gpuE7ELNS1_3repE0EEENS1_30default_config_static_selectorELNS0_4arch9wavefront6targetE0EEEvS12_.uses_vcc, 0
	.set _ZN7rocprim17ROCPRIM_400000_NS6detail17trampoline_kernelINS0_13select_configILj256ELj13ELNS0_17block_load_methodE3ELS4_3ELS4_3ELNS0_20block_scan_algorithmE0ELj4294967295EEENS1_25partition_config_selectorILNS1_17partition_subalgoE4EjNS0_10empty_typeEbEEZZNS1_14partition_implILS8_4ELb0ES6_15HIP_vector_typeIjLj2EENS0_17counting_iteratorIjlEEPS9_SG_NS0_5tupleIJPjSI_NS0_16reverse_iteratorISI_EEEEENSH_IJSG_SG_SG_EEES9_SI_JZNS1_25segmented_radix_sort_implINS0_14default_configELb0EPKsPsPKlPlN2at6native12_GLOBAL__N_18offset_tEEE10hipError_tPvRmT1_PNSt15iterator_traitsIS12_E10value_typeET2_T3_PNS13_IS18_E10value_typeET4_jRbjT5_S1E_jjP12ihipStream_tbEUljE_ZNSN_ISO_Lb0ESQ_SR_ST_SU_SY_EESZ_S10_S11_S12_S16_S17_S18_S1B_S1C_jS1D_jS1E_S1E_jjS1G_bEUljE0_EEESZ_S10_S11_S18_S1C_S1E_T6_T7_T9_mT8_S1G_bDpT10_ENKUlT_T0_E_clISt17integral_constantIbLb1EES1U_EEDaS1P_S1Q_EUlS1P_E_NS1_11comp_targetILNS1_3genE3ELNS1_11target_archE908ELNS1_3gpuE7ELNS1_3repE0EEENS1_30default_config_static_selectorELNS0_4arch9wavefront6targetE0EEEvS12_.uses_flat_scratch, 0
	.set _ZN7rocprim17ROCPRIM_400000_NS6detail17trampoline_kernelINS0_13select_configILj256ELj13ELNS0_17block_load_methodE3ELS4_3ELS4_3ELNS0_20block_scan_algorithmE0ELj4294967295EEENS1_25partition_config_selectorILNS1_17partition_subalgoE4EjNS0_10empty_typeEbEEZZNS1_14partition_implILS8_4ELb0ES6_15HIP_vector_typeIjLj2EENS0_17counting_iteratorIjlEEPS9_SG_NS0_5tupleIJPjSI_NS0_16reverse_iteratorISI_EEEEENSH_IJSG_SG_SG_EEES9_SI_JZNS1_25segmented_radix_sort_implINS0_14default_configELb0EPKsPsPKlPlN2at6native12_GLOBAL__N_18offset_tEEE10hipError_tPvRmT1_PNSt15iterator_traitsIS12_E10value_typeET2_T3_PNS13_IS18_E10value_typeET4_jRbjT5_S1E_jjP12ihipStream_tbEUljE_ZNSN_ISO_Lb0ESQ_SR_ST_SU_SY_EESZ_S10_S11_S12_S16_S17_S18_S1B_S1C_jS1D_jS1E_S1E_jjS1G_bEUljE0_EEESZ_S10_S11_S18_S1C_S1E_T6_T7_T9_mT8_S1G_bDpT10_ENKUlT_T0_E_clISt17integral_constantIbLb1EES1U_EEDaS1P_S1Q_EUlS1P_E_NS1_11comp_targetILNS1_3genE3ELNS1_11target_archE908ELNS1_3gpuE7ELNS1_3repE0EEENS1_30default_config_static_selectorELNS0_4arch9wavefront6targetE0EEEvS12_.has_dyn_sized_stack, 0
	.set _ZN7rocprim17ROCPRIM_400000_NS6detail17trampoline_kernelINS0_13select_configILj256ELj13ELNS0_17block_load_methodE3ELS4_3ELS4_3ELNS0_20block_scan_algorithmE0ELj4294967295EEENS1_25partition_config_selectorILNS1_17partition_subalgoE4EjNS0_10empty_typeEbEEZZNS1_14partition_implILS8_4ELb0ES6_15HIP_vector_typeIjLj2EENS0_17counting_iteratorIjlEEPS9_SG_NS0_5tupleIJPjSI_NS0_16reverse_iteratorISI_EEEEENSH_IJSG_SG_SG_EEES9_SI_JZNS1_25segmented_radix_sort_implINS0_14default_configELb0EPKsPsPKlPlN2at6native12_GLOBAL__N_18offset_tEEE10hipError_tPvRmT1_PNSt15iterator_traitsIS12_E10value_typeET2_T3_PNS13_IS18_E10value_typeET4_jRbjT5_S1E_jjP12ihipStream_tbEUljE_ZNSN_ISO_Lb0ESQ_SR_ST_SU_SY_EESZ_S10_S11_S12_S16_S17_S18_S1B_S1C_jS1D_jS1E_S1E_jjS1G_bEUljE0_EEESZ_S10_S11_S18_S1C_S1E_T6_T7_T9_mT8_S1G_bDpT10_ENKUlT_T0_E_clISt17integral_constantIbLb1EES1U_EEDaS1P_S1Q_EUlS1P_E_NS1_11comp_targetILNS1_3genE3ELNS1_11target_archE908ELNS1_3gpuE7ELNS1_3repE0EEENS1_30default_config_static_selectorELNS0_4arch9wavefront6targetE0EEEvS12_.has_recursion, 0
	.set _ZN7rocprim17ROCPRIM_400000_NS6detail17trampoline_kernelINS0_13select_configILj256ELj13ELNS0_17block_load_methodE3ELS4_3ELS4_3ELNS0_20block_scan_algorithmE0ELj4294967295EEENS1_25partition_config_selectorILNS1_17partition_subalgoE4EjNS0_10empty_typeEbEEZZNS1_14partition_implILS8_4ELb0ES6_15HIP_vector_typeIjLj2EENS0_17counting_iteratorIjlEEPS9_SG_NS0_5tupleIJPjSI_NS0_16reverse_iteratorISI_EEEEENSH_IJSG_SG_SG_EEES9_SI_JZNS1_25segmented_radix_sort_implINS0_14default_configELb0EPKsPsPKlPlN2at6native12_GLOBAL__N_18offset_tEEE10hipError_tPvRmT1_PNSt15iterator_traitsIS12_E10value_typeET2_T3_PNS13_IS18_E10value_typeET4_jRbjT5_S1E_jjP12ihipStream_tbEUljE_ZNSN_ISO_Lb0ESQ_SR_ST_SU_SY_EESZ_S10_S11_S12_S16_S17_S18_S1B_S1C_jS1D_jS1E_S1E_jjS1G_bEUljE0_EEESZ_S10_S11_S18_S1C_S1E_T6_T7_T9_mT8_S1G_bDpT10_ENKUlT_T0_E_clISt17integral_constantIbLb1EES1U_EEDaS1P_S1Q_EUlS1P_E_NS1_11comp_targetILNS1_3genE3ELNS1_11target_archE908ELNS1_3gpuE7ELNS1_3repE0EEENS1_30default_config_static_selectorELNS0_4arch9wavefront6targetE0EEEvS12_.has_indirect_call, 0
	.section	.AMDGPU.csdata,"",@progbits
; Kernel info:
; codeLenInByte = 0
; TotalNumSgprs: 0
; NumVgprs: 0
; ScratchSize: 0
; MemoryBound: 0
; FloatMode: 240
; IeeeMode: 1
; LDSByteSize: 0 bytes/workgroup (compile time only)
; SGPRBlocks: 0
; VGPRBlocks: 0
; NumSGPRsForWavesPerEU: 1
; NumVGPRsForWavesPerEU: 1
; Occupancy: 16
; WaveLimiterHint : 0
; COMPUTE_PGM_RSRC2:SCRATCH_EN: 0
; COMPUTE_PGM_RSRC2:USER_SGPR: 6
; COMPUTE_PGM_RSRC2:TRAP_HANDLER: 0
; COMPUTE_PGM_RSRC2:TGID_X_EN: 1
; COMPUTE_PGM_RSRC2:TGID_Y_EN: 0
; COMPUTE_PGM_RSRC2:TGID_Z_EN: 0
; COMPUTE_PGM_RSRC2:TIDIG_COMP_CNT: 0
	.section	.text._ZN7rocprim17ROCPRIM_400000_NS6detail17trampoline_kernelINS0_13select_configILj256ELj13ELNS0_17block_load_methodE3ELS4_3ELS4_3ELNS0_20block_scan_algorithmE0ELj4294967295EEENS1_25partition_config_selectorILNS1_17partition_subalgoE4EjNS0_10empty_typeEbEEZZNS1_14partition_implILS8_4ELb0ES6_15HIP_vector_typeIjLj2EENS0_17counting_iteratorIjlEEPS9_SG_NS0_5tupleIJPjSI_NS0_16reverse_iteratorISI_EEEEENSH_IJSG_SG_SG_EEES9_SI_JZNS1_25segmented_radix_sort_implINS0_14default_configELb0EPKsPsPKlPlN2at6native12_GLOBAL__N_18offset_tEEE10hipError_tPvRmT1_PNSt15iterator_traitsIS12_E10value_typeET2_T3_PNS13_IS18_E10value_typeET4_jRbjT5_S1E_jjP12ihipStream_tbEUljE_ZNSN_ISO_Lb0ESQ_SR_ST_SU_SY_EESZ_S10_S11_S12_S16_S17_S18_S1B_S1C_jS1D_jS1E_S1E_jjS1G_bEUljE0_EEESZ_S10_S11_S18_S1C_S1E_T6_T7_T9_mT8_S1G_bDpT10_ENKUlT_T0_E_clISt17integral_constantIbLb1EES1U_EEDaS1P_S1Q_EUlS1P_E_NS1_11comp_targetILNS1_3genE2ELNS1_11target_archE906ELNS1_3gpuE6ELNS1_3repE0EEENS1_30default_config_static_selectorELNS0_4arch9wavefront6targetE0EEEvS12_,"axG",@progbits,_ZN7rocprim17ROCPRIM_400000_NS6detail17trampoline_kernelINS0_13select_configILj256ELj13ELNS0_17block_load_methodE3ELS4_3ELS4_3ELNS0_20block_scan_algorithmE0ELj4294967295EEENS1_25partition_config_selectorILNS1_17partition_subalgoE4EjNS0_10empty_typeEbEEZZNS1_14partition_implILS8_4ELb0ES6_15HIP_vector_typeIjLj2EENS0_17counting_iteratorIjlEEPS9_SG_NS0_5tupleIJPjSI_NS0_16reverse_iteratorISI_EEEEENSH_IJSG_SG_SG_EEES9_SI_JZNS1_25segmented_radix_sort_implINS0_14default_configELb0EPKsPsPKlPlN2at6native12_GLOBAL__N_18offset_tEEE10hipError_tPvRmT1_PNSt15iterator_traitsIS12_E10value_typeET2_T3_PNS13_IS18_E10value_typeET4_jRbjT5_S1E_jjP12ihipStream_tbEUljE_ZNSN_ISO_Lb0ESQ_SR_ST_SU_SY_EESZ_S10_S11_S12_S16_S17_S18_S1B_S1C_jS1D_jS1E_S1E_jjS1G_bEUljE0_EEESZ_S10_S11_S18_S1C_S1E_T6_T7_T9_mT8_S1G_bDpT10_ENKUlT_T0_E_clISt17integral_constantIbLb1EES1U_EEDaS1P_S1Q_EUlS1P_E_NS1_11comp_targetILNS1_3genE2ELNS1_11target_archE906ELNS1_3gpuE6ELNS1_3repE0EEENS1_30default_config_static_selectorELNS0_4arch9wavefront6targetE0EEEvS12_,comdat
	.globl	_ZN7rocprim17ROCPRIM_400000_NS6detail17trampoline_kernelINS0_13select_configILj256ELj13ELNS0_17block_load_methodE3ELS4_3ELS4_3ELNS0_20block_scan_algorithmE0ELj4294967295EEENS1_25partition_config_selectorILNS1_17partition_subalgoE4EjNS0_10empty_typeEbEEZZNS1_14partition_implILS8_4ELb0ES6_15HIP_vector_typeIjLj2EENS0_17counting_iteratorIjlEEPS9_SG_NS0_5tupleIJPjSI_NS0_16reverse_iteratorISI_EEEEENSH_IJSG_SG_SG_EEES9_SI_JZNS1_25segmented_radix_sort_implINS0_14default_configELb0EPKsPsPKlPlN2at6native12_GLOBAL__N_18offset_tEEE10hipError_tPvRmT1_PNSt15iterator_traitsIS12_E10value_typeET2_T3_PNS13_IS18_E10value_typeET4_jRbjT5_S1E_jjP12ihipStream_tbEUljE_ZNSN_ISO_Lb0ESQ_SR_ST_SU_SY_EESZ_S10_S11_S12_S16_S17_S18_S1B_S1C_jS1D_jS1E_S1E_jjS1G_bEUljE0_EEESZ_S10_S11_S18_S1C_S1E_T6_T7_T9_mT8_S1G_bDpT10_ENKUlT_T0_E_clISt17integral_constantIbLb1EES1U_EEDaS1P_S1Q_EUlS1P_E_NS1_11comp_targetILNS1_3genE2ELNS1_11target_archE906ELNS1_3gpuE6ELNS1_3repE0EEENS1_30default_config_static_selectorELNS0_4arch9wavefront6targetE0EEEvS12_ ; -- Begin function _ZN7rocprim17ROCPRIM_400000_NS6detail17trampoline_kernelINS0_13select_configILj256ELj13ELNS0_17block_load_methodE3ELS4_3ELS4_3ELNS0_20block_scan_algorithmE0ELj4294967295EEENS1_25partition_config_selectorILNS1_17partition_subalgoE4EjNS0_10empty_typeEbEEZZNS1_14partition_implILS8_4ELb0ES6_15HIP_vector_typeIjLj2EENS0_17counting_iteratorIjlEEPS9_SG_NS0_5tupleIJPjSI_NS0_16reverse_iteratorISI_EEEEENSH_IJSG_SG_SG_EEES9_SI_JZNS1_25segmented_radix_sort_implINS0_14default_configELb0EPKsPsPKlPlN2at6native12_GLOBAL__N_18offset_tEEE10hipError_tPvRmT1_PNSt15iterator_traitsIS12_E10value_typeET2_T3_PNS13_IS18_E10value_typeET4_jRbjT5_S1E_jjP12ihipStream_tbEUljE_ZNSN_ISO_Lb0ESQ_SR_ST_SU_SY_EESZ_S10_S11_S12_S16_S17_S18_S1B_S1C_jS1D_jS1E_S1E_jjS1G_bEUljE0_EEESZ_S10_S11_S18_S1C_S1E_T6_T7_T9_mT8_S1G_bDpT10_ENKUlT_T0_E_clISt17integral_constantIbLb1EES1U_EEDaS1P_S1Q_EUlS1P_E_NS1_11comp_targetILNS1_3genE2ELNS1_11target_archE906ELNS1_3gpuE6ELNS1_3repE0EEENS1_30default_config_static_selectorELNS0_4arch9wavefront6targetE0EEEvS12_
	.p2align	8
	.type	_ZN7rocprim17ROCPRIM_400000_NS6detail17trampoline_kernelINS0_13select_configILj256ELj13ELNS0_17block_load_methodE3ELS4_3ELS4_3ELNS0_20block_scan_algorithmE0ELj4294967295EEENS1_25partition_config_selectorILNS1_17partition_subalgoE4EjNS0_10empty_typeEbEEZZNS1_14partition_implILS8_4ELb0ES6_15HIP_vector_typeIjLj2EENS0_17counting_iteratorIjlEEPS9_SG_NS0_5tupleIJPjSI_NS0_16reverse_iteratorISI_EEEEENSH_IJSG_SG_SG_EEES9_SI_JZNS1_25segmented_radix_sort_implINS0_14default_configELb0EPKsPsPKlPlN2at6native12_GLOBAL__N_18offset_tEEE10hipError_tPvRmT1_PNSt15iterator_traitsIS12_E10value_typeET2_T3_PNS13_IS18_E10value_typeET4_jRbjT5_S1E_jjP12ihipStream_tbEUljE_ZNSN_ISO_Lb0ESQ_SR_ST_SU_SY_EESZ_S10_S11_S12_S16_S17_S18_S1B_S1C_jS1D_jS1E_S1E_jjS1G_bEUljE0_EEESZ_S10_S11_S18_S1C_S1E_T6_T7_T9_mT8_S1G_bDpT10_ENKUlT_T0_E_clISt17integral_constantIbLb1EES1U_EEDaS1P_S1Q_EUlS1P_E_NS1_11comp_targetILNS1_3genE2ELNS1_11target_archE906ELNS1_3gpuE6ELNS1_3repE0EEENS1_30default_config_static_selectorELNS0_4arch9wavefront6targetE0EEEvS12_,@function
_ZN7rocprim17ROCPRIM_400000_NS6detail17trampoline_kernelINS0_13select_configILj256ELj13ELNS0_17block_load_methodE3ELS4_3ELS4_3ELNS0_20block_scan_algorithmE0ELj4294967295EEENS1_25partition_config_selectorILNS1_17partition_subalgoE4EjNS0_10empty_typeEbEEZZNS1_14partition_implILS8_4ELb0ES6_15HIP_vector_typeIjLj2EENS0_17counting_iteratorIjlEEPS9_SG_NS0_5tupleIJPjSI_NS0_16reverse_iteratorISI_EEEEENSH_IJSG_SG_SG_EEES9_SI_JZNS1_25segmented_radix_sort_implINS0_14default_configELb0EPKsPsPKlPlN2at6native12_GLOBAL__N_18offset_tEEE10hipError_tPvRmT1_PNSt15iterator_traitsIS12_E10value_typeET2_T3_PNS13_IS18_E10value_typeET4_jRbjT5_S1E_jjP12ihipStream_tbEUljE_ZNSN_ISO_Lb0ESQ_SR_ST_SU_SY_EESZ_S10_S11_S12_S16_S17_S18_S1B_S1C_jS1D_jS1E_S1E_jjS1G_bEUljE0_EEESZ_S10_S11_S18_S1C_S1E_T6_T7_T9_mT8_S1G_bDpT10_ENKUlT_T0_E_clISt17integral_constantIbLb1EES1U_EEDaS1P_S1Q_EUlS1P_E_NS1_11comp_targetILNS1_3genE2ELNS1_11target_archE906ELNS1_3gpuE6ELNS1_3repE0EEENS1_30default_config_static_selectorELNS0_4arch9wavefront6targetE0EEEvS12_: ; @_ZN7rocprim17ROCPRIM_400000_NS6detail17trampoline_kernelINS0_13select_configILj256ELj13ELNS0_17block_load_methodE3ELS4_3ELS4_3ELNS0_20block_scan_algorithmE0ELj4294967295EEENS1_25partition_config_selectorILNS1_17partition_subalgoE4EjNS0_10empty_typeEbEEZZNS1_14partition_implILS8_4ELb0ES6_15HIP_vector_typeIjLj2EENS0_17counting_iteratorIjlEEPS9_SG_NS0_5tupleIJPjSI_NS0_16reverse_iteratorISI_EEEEENSH_IJSG_SG_SG_EEES9_SI_JZNS1_25segmented_radix_sort_implINS0_14default_configELb0EPKsPsPKlPlN2at6native12_GLOBAL__N_18offset_tEEE10hipError_tPvRmT1_PNSt15iterator_traitsIS12_E10value_typeET2_T3_PNS13_IS18_E10value_typeET4_jRbjT5_S1E_jjP12ihipStream_tbEUljE_ZNSN_ISO_Lb0ESQ_SR_ST_SU_SY_EESZ_S10_S11_S12_S16_S17_S18_S1B_S1C_jS1D_jS1E_S1E_jjS1G_bEUljE0_EEESZ_S10_S11_S18_S1C_S1E_T6_T7_T9_mT8_S1G_bDpT10_ENKUlT_T0_E_clISt17integral_constantIbLb1EES1U_EEDaS1P_S1Q_EUlS1P_E_NS1_11comp_targetILNS1_3genE2ELNS1_11target_archE906ELNS1_3gpuE6ELNS1_3repE0EEENS1_30default_config_static_selectorELNS0_4arch9wavefront6targetE0EEEvS12_
; %bb.0:
	.section	.rodata,"a",@progbits
	.p2align	6, 0x0
	.amdhsa_kernel _ZN7rocprim17ROCPRIM_400000_NS6detail17trampoline_kernelINS0_13select_configILj256ELj13ELNS0_17block_load_methodE3ELS4_3ELS4_3ELNS0_20block_scan_algorithmE0ELj4294967295EEENS1_25partition_config_selectorILNS1_17partition_subalgoE4EjNS0_10empty_typeEbEEZZNS1_14partition_implILS8_4ELb0ES6_15HIP_vector_typeIjLj2EENS0_17counting_iteratorIjlEEPS9_SG_NS0_5tupleIJPjSI_NS0_16reverse_iteratorISI_EEEEENSH_IJSG_SG_SG_EEES9_SI_JZNS1_25segmented_radix_sort_implINS0_14default_configELb0EPKsPsPKlPlN2at6native12_GLOBAL__N_18offset_tEEE10hipError_tPvRmT1_PNSt15iterator_traitsIS12_E10value_typeET2_T3_PNS13_IS18_E10value_typeET4_jRbjT5_S1E_jjP12ihipStream_tbEUljE_ZNSN_ISO_Lb0ESQ_SR_ST_SU_SY_EESZ_S10_S11_S12_S16_S17_S18_S1B_S1C_jS1D_jS1E_S1E_jjS1G_bEUljE0_EEESZ_S10_S11_S18_S1C_S1E_T6_T7_T9_mT8_S1G_bDpT10_ENKUlT_T0_E_clISt17integral_constantIbLb1EES1U_EEDaS1P_S1Q_EUlS1P_E_NS1_11comp_targetILNS1_3genE2ELNS1_11target_archE906ELNS1_3gpuE6ELNS1_3repE0EEENS1_30default_config_static_selectorELNS0_4arch9wavefront6targetE0EEEvS12_
		.amdhsa_group_segment_fixed_size 0
		.amdhsa_private_segment_fixed_size 0
		.amdhsa_kernarg_size 184
		.amdhsa_user_sgpr_count 6
		.amdhsa_user_sgpr_private_segment_buffer 1
		.amdhsa_user_sgpr_dispatch_ptr 0
		.amdhsa_user_sgpr_queue_ptr 0
		.amdhsa_user_sgpr_kernarg_segment_ptr 1
		.amdhsa_user_sgpr_dispatch_id 0
		.amdhsa_user_sgpr_flat_scratch_init 0
		.amdhsa_user_sgpr_private_segment_size 0
		.amdhsa_wavefront_size32 1
		.amdhsa_uses_dynamic_stack 0
		.amdhsa_system_sgpr_private_segment_wavefront_offset 0
		.amdhsa_system_sgpr_workgroup_id_x 1
		.amdhsa_system_sgpr_workgroup_id_y 0
		.amdhsa_system_sgpr_workgroup_id_z 0
		.amdhsa_system_sgpr_workgroup_info 0
		.amdhsa_system_vgpr_workitem_id 0
		.amdhsa_next_free_vgpr 1
		.amdhsa_next_free_sgpr 1
		.amdhsa_reserve_vcc 0
		.amdhsa_reserve_flat_scratch 0
		.amdhsa_float_round_mode_32 0
		.amdhsa_float_round_mode_16_64 0
		.amdhsa_float_denorm_mode_32 3
		.amdhsa_float_denorm_mode_16_64 3
		.amdhsa_dx10_clamp 1
		.amdhsa_ieee_mode 1
		.amdhsa_fp16_overflow 0
		.amdhsa_workgroup_processor_mode 1
		.amdhsa_memory_ordered 1
		.amdhsa_forward_progress 1
		.amdhsa_shared_vgpr_count 0
		.amdhsa_exception_fp_ieee_invalid_op 0
		.amdhsa_exception_fp_denorm_src 0
		.amdhsa_exception_fp_ieee_div_zero 0
		.amdhsa_exception_fp_ieee_overflow 0
		.amdhsa_exception_fp_ieee_underflow 0
		.amdhsa_exception_fp_ieee_inexact 0
		.amdhsa_exception_int_div_zero 0
	.end_amdhsa_kernel
	.section	.text._ZN7rocprim17ROCPRIM_400000_NS6detail17trampoline_kernelINS0_13select_configILj256ELj13ELNS0_17block_load_methodE3ELS4_3ELS4_3ELNS0_20block_scan_algorithmE0ELj4294967295EEENS1_25partition_config_selectorILNS1_17partition_subalgoE4EjNS0_10empty_typeEbEEZZNS1_14partition_implILS8_4ELb0ES6_15HIP_vector_typeIjLj2EENS0_17counting_iteratorIjlEEPS9_SG_NS0_5tupleIJPjSI_NS0_16reverse_iteratorISI_EEEEENSH_IJSG_SG_SG_EEES9_SI_JZNS1_25segmented_radix_sort_implINS0_14default_configELb0EPKsPsPKlPlN2at6native12_GLOBAL__N_18offset_tEEE10hipError_tPvRmT1_PNSt15iterator_traitsIS12_E10value_typeET2_T3_PNS13_IS18_E10value_typeET4_jRbjT5_S1E_jjP12ihipStream_tbEUljE_ZNSN_ISO_Lb0ESQ_SR_ST_SU_SY_EESZ_S10_S11_S12_S16_S17_S18_S1B_S1C_jS1D_jS1E_S1E_jjS1G_bEUljE0_EEESZ_S10_S11_S18_S1C_S1E_T6_T7_T9_mT8_S1G_bDpT10_ENKUlT_T0_E_clISt17integral_constantIbLb1EES1U_EEDaS1P_S1Q_EUlS1P_E_NS1_11comp_targetILNS1_3genE2ELNS1_11target_archE906ELNS1_3gpuE6ELNS1_3repE0EEENS1_30default_config_static_selectorELNS0_4arch9wavefront6targetE0EEEvS12_,"axG",@progbits,_ZN7rocprim17ROCPRIM_400000_NS6detail17trampoline_kernelINS0_13select_configILj256ELj13ELNS0_17block_load_methodE3ELS4_3ELS4_3ELNS0_20block_scan_algorithmE0ELj4294967295EEENS1_25partition_config_selectorILNS1_17partition_subalgoE4EjNS0_10empty_typeEbEEZZNS1_14partition_implILS8_4ELb0ES6_15HIP_vector_typeIjLj2EENS0_17counting_iteratorIjlEEPS9_SG_NS0_5tupleIJPjSI_NS0_16reverse_iteratorISI_EEEEENSH_IJSG_SG_SG_EEES9_SI_JZNS1_25segmented_radix_sort_implINS0_14default_configELb0EPKsPsPKlPlN2at6native12_GLOBAL__N_18offset_tEEE10hipError_tPvRmT1_PNSt15iterator_traitsIS12_E10value_typeET2_T3_PNS13_IS18_E10value_typeET4_jRbjT5_S1E_jjP12ihipStream_tbEUljE_ZNSN_ISO_Lb0ESQ_SR_ST_SU_SY_EESZ_S10_S11_S12_S16_S17_S18_S1B_S1C_jS1D_jS1E_S1E_jjS1G_bEUljE0_EEESZ_S10_S11_S18_S1C_S1E_T6_T7_T9_mT8_S1G_bDpT10_ENKUlT_T0_E_clISt17integral_constantIbLb1EES1U_EEDaS1P_S1Q_EUlS1P_E_NS1_11comp_targetILNS1_3genE2ELNS1_11target_archE906ELNS1_3gpuE6ELNS1_3repE0EEENS1_30default_config_static_selectorELNS0_4arch9wavefront6targetE0EEEvS12_,comdat
.Lfunc_end955:
	.size	_ZN7rocprim17ROCPRIM_400000_NS6detail17trampoline_kernelINS0_13select_configILj256ELj13ELNS0_17block_load_methodE3ELS4_3ELS4_3ELNS0_20block_scan_algorithmE0ELj4294967295EEENS1_25partition_config_selectorILNS1_17partition_subalgoE4EjNS0_10empty_typeEbEEZZNS1_14partition_implILS8_4ELb0ES6_15HIP_vector_typeIjLj2EENS0_17counting_iteratorIjlEEPS9_SG_NS0_5tupleIJPjSI_NS0_16reverse_iteratorISI_EEEEENSH_IJSG_SG_SG_EEES9_SI_JZNS1_25segmented_radix_sort_implINS0_14default_configELb0EPKsPsPKlPlN2at6native12_GLOBAL__N_18offset_tEEE10hipError_tPvRmT1_PNSt15iterator_traitsIS12_E10value_typeET2_T3_PNS13_IS18_E10value_typeET4_jRbjT5_S1E_jjP12ihipStream_tbEUljE_ZNSN_ISO_Lb0ESQ_SR_ST_SU_SY_EESZ_S10_S11_S12_S16_S17_S18_S1B_S1C_jS1D_jS1E_S1E_jjS1G_bEUljE0_EEESZ_S10_S11_S18_S1C_S1E_T6_T7_T9_mT8_S1G_bDpT10_ENKUlT_T0_E_clISt17integral_constantIbLb1EES1U_EEDaS1P_S1Q_EUlS1P_E_NS1_11comp_targetILNS1_3genE2ELNS1_11target_archE906ELNS1_3gpuE6ELNS1_3repE0EEENS1_30default_config_static_selectorELNS0_4arch9wavefront6targetE0EEEvS12_, .Lfunc_end955-_ZN7rocprim17ROCPRIM_400000_NS6detail17trampoline_kernelINS0_13select_configILj256ELj13ELNS0_17block_load_methodE3ELS4_3ELS4_3ELNS0_20block_scan_algorithmE0ELj4294967295EEENS1_25partition_config_selectorILNS1_17partition_subalgoE4EjNS0_10empty_typeEbEEZZNS1_14partition_implILS8_4ELb0ES6_15HIP_vector_typeIjLj2EENS0_17counting_iteratorIjlEEPS9_SG_NS0_5tupleIJPjSI_NS0_16reverse_iteratorISI_EEEEENSH_IJSG_SG_SG_EEES9_SI_JZNS1_25segmented_radix_sort_implINS0_14default_configELb0EPKsPsPKlPlN2at6native12_GLOBAL__N_18offset_tEEE10hipError_tPvRmT1_PNSt15iterator_traitsIS12_E10value_typeET2_T3_PNS13_IS18_E10value_typeET4_jRbjT5_S1E_jjP12ihipStream_tbEUljE_ZNSN_ISO_Lb0ESQ_SR_ST_SU_SY_EESZ_S10_S11_S12_S16_S17_S18_S1B_S1C_jS1D_jS1E_S1E_jjS1G_bEUljE0_EEESZ_S10_S11_S18_S1C_S1E_T6_T7_T9_mT8_S1G_bDpT10_ENKUlT_T0_E_clISt17integral_constantIbLb1EES1U_EEDaS1P_S1Q_EUlS1P_E_NS1_11comp_targetILNS1_3genE2ELNS1_11target_archE906ELNS1_3gpuE6ELNS1_3repE0EEENS1_30default_config_static_selectorELNS0_4arch9wavefront6targetE0EEEvS12_
                                        ; -- End function
	.set _ZN7rocprim17ROCPRIM_400000_NS6detail17trampoline_kernelINS0_13select_configILj256ELj13ELNS0_17block_load_methodE3ELS4_3ELS4_3ELNS0_20block_scan_algorithmE0ELj4294967295EEENS1_25partition_config_selectorILNS1_17partition_subalgoE4EjNS0_10empty_typeEbEEZZNS1_14partition_implILS8_4ELb0ES6_15HIP_vector_typeIjLj2EENS0_17counting_iteratorIjlEEPS9_SG_NS0_5tupleIJPjSI_NS0_16reverse_iteratorISI_EEEEENSH_IJSG_SG_SG_EEES9_SI_JZNS1_25segmented_radix_sort_implINS0_14default_configELb0EPKsPsPKlPlN2at6native12_GLOBAL__N_18offset_tEEE10hipError_tPvRmT1_PNSt15iterator_traitsIS12_E10value_typeET2_T3_PNS13_IS18_E10value_typeET4_jRbjT5_S1E_jjP12ihipStream_tbEUljE_ZNSN_ISO_Lb0ESQ_SR_ST_SU_SY_EESZ_S10_S11_S12_S16_S17_S18_S1B_S1C_jS1D_jS1E_S1E_jjS1G_bEUljE0_EEESZ_S10_S11_S18_S1C_S1E_T6_T7_T9_mT8_S1G_bDpT10_ENKUlT_T0_E_clISt17integral_constantIbLb1EES1U_EEDaS1P_S1Q_EUlS1P_E_NS1_11comp_targetILNS1_3genE2ELNS1_11target_archE906ELNS1_3gpuE6ELNS1_3repE0EEENS1_30default_config_static_selectorELNS0_4arch9wavefront6targetE0EEEvS12_.num_vgpr, 0
	.set _ZN7rocprim17ROCPRIM_400000_NS6detail17trampoline_kernelINS0_13select_configILj256ELj13ELNS0_17block_load_methodE3ELS4_3ELS4_3ELNS0_20block_scan_algorithmE0ELj4294967295EEENS1_25partition_config_selectorILNS1_17partition_subalgoE4EjNS0_10empty_typeEbEEZZNS1_14partition_implILS8_4ELb0ES6_15HIP_vector_typeIjLj2EENS0_17counting_iteratorIjlEEPS9_SG_NS0_5tupleIJPjSI_NS0_16reverse_iteratorISI_EEEEENSH_IJSG_SG_SG_EEES9_SI_JZNS1_25segmented_radix_sort_implINS0_14default_configELb0EPKsPsPKlPlN2at6native12_GLOBAL__N_18offset_tEEE10hipError_tPvRmT1_PNSt15iterator_traitsIS12_E10value_typeET2_T3_PNS13_IS18_E10value_typeET4_jRbjT5_S1E_jjP12ihipStream_tbEUljE_ZNSN_ISO_Lb0ESQ_SR_ST_SU_SY_EESZ_S10_S11_S12_S16_S17_S18_S1B_S1C_jS1D_jS1E_S1E_jjS1G_bEUljE0_EEESZ_S10_S11_S18_S1C_S1E_T6_T7_T9_mT8_S1G_bDpT10_ENKUlT_T0_E_clISt17integral_constantIbLb1EES1U_EEDaS1P_S1Q_EUlS1P_E_NS1_11comp_targetILNS1_3genE2ELNS1_11target_archE906ELNS1_3gpuE6ELNS1_3repE0EEENS1_30default_config_static_selectorELNS0_4arch9wavefront6targetE0EEEvS12_.num_agpr, 0
	.set _ZN7rocprim17ROCPRIM_400000_NS6detail17trampoline_kernelINS0_13select_configILj256ELj13ELNS0_17block_load_methodE3ELS4_3ELS4_3ELNS0_20block_scan_algorithmE0ELj4294967295EEENS1_25partition_config_selectorILNS1_17partition_subalgoE4EjNS0_10empty_typeEbEEZZNS1_14partition_implILS8_4ELb0ES6_15HIP_vector_typeIjLj2EENS0_17counting_iteratorIjlEEPS9_SG_NS0_5tupleIJPjSI_NS0_16reverse_iteratorISI_EEEEENSH_IJSG_SG_SG_EEES9_SI_JZNS1_25segmented_radix_sort_implINS0_14default_configELb0EPKsPsPKlPlN2at6native12_GLOBAL__N_18offset_tEEE10hipError_tPvRmT1_PNSt15iterator_traitsIS12_E10value_typeET2_T3_PNS13_IS18_E10value_typeET4_jRbjT5_S1E_jjP12ihipStream_tbEUljE_ZNSN_ISO_Lb0ESQ_SR_ST_SU_SY_EESZ_S10_S11_S12_S16_S17_S18_S1B_S1C_jS1D_jS1E_S1E_jjS1G_bEUljE0_EEESZ_S10_S11_S18_S1C_S1E_T6_T7_T9_mT8_S1G_bDpT10_ENKUlT_T0_E_clISt17integral_constantIbLb1EES1U_EEDaS1P_S1Q_EUlS1P_E_NS1_11comp_targetILNS1_3genE2ELNS1_11target_archE906ELNS1_3gpuE6ELNS1_3repE0EEENS1_30default_config_static_selectorELNS0_4arch9wavefront6targetE0EEEvS12_.numbered_sgpr, 0
	.set _ZN7rocprim17ROCPRIM_400000_NS6detail17trampoline_kernelINS0_13select_configILj256ELj13ELNS0_17block_load_methodE3ELS4_3ELS4_3ELNS0_20block_scan_algorithmE0ELj4294967295EEENS1_25partition_config_selectorILNS1_17partition_subalgoE4EjNS0_10empty_typeEbEEZZNS1_14partition_implILS8_4ELb0ES6_15HIP_vector_typeIjLj2EENS0_17counting_iteratorIjlEEPS9_SG_NS0_5tupleIJPjSI_NS0_16reverse_iteratorISI_EEEEENSH_IJSG_SG_SG_EEES9_SI_JZNS1_25segmented_radix_sort_implINS0_14default_configELb0EPKsPsPKlPlN2at6native12_GLOBAL__N_18offset_tEEE10hipError_tPvRmT1_PNSt15iterator_traitsIS12_E10value_typeET2_T3_PNS13_IS18_E10value_typeET4_jRbjT5_S1E_jjP12ihipStream_tbEUljE_ZNSN_ISO_Lb0ESQ_SR_ST_SU_SY_EESZ_S10_S11_S12_S16_S17_S18_S1B_S1C_jS1D_jS1E_S1E_jjS1G_bEUljE0_EEESZ_S10_S11_S18_S1C_S1E_T6_T7_T9_mT8_S1G_bDpT10_ENKUlT_T0_E_clISt17integral_constantIbLb1EES1U_EEDaS1P_S1Q_EUlS1P_E_NS1_11comp_targetILNS1_3genE2ELNS1_11target_archE906ELNS1_3gpuE6ELNS1_3repE0EEENS1_30default_config_static_selectorELNS0_4arch9wavefront6targetE0EEEvS12_.num_named_barrier, 0
	.set _ZN7rocprim17ROCPRIM_400000_NS6detail17trampoline_kernelINS0_13select_configILj256ELj13ELNS0_17block_load_methodE3ELS4_3ELS4_3ELNS0_20block_scan_algorithmE0ELj4294967295EEENS1_25partition_config_selectorILNS1_17partition_subalgoE4EjNS0_10empty_typeEbEEZZNS1_14partition_implILS8_4ELb0ES6_15HIP_vector_typeIjLj2EENS0_17counting_iteratorIjlEEPS9_SG_NS0_5tupleIJPjSI_NS0_16reverse_iteratorISI_EEEEENSH_IJSG_SG_SG_EEES9_SI_JZNS1_25segmented_radix_sort_implINS0_14default_configELb0EPKsPsPKlPlN2at6native12_GLOBAL__N_18offset_tEEE10hipError_tPvRmT1_PNSt15iterator_traitsIS12_E10value_typeET2_T3_PNS13_IS18_E10value_typeET4_jRbjT5_S1E_jjP12ihipStream_tbEUljE_ZNSN_ISO_Lb0ESQ_SR_ST_SU_SY_EESZ_S10_S11_S12_S16_S17_S18_S1B_S1C_jS1D_jS1E_S1E_jjS1G_bEUljE0_EEESZ_S10_S11_S18_S1C_S1E_T6_T7_T9_mT8_S1G_bDpT10_ENKUlT_T0_E_clISt17integral_constantIbLb1EES1U_EEDaS1P_S1Q_EUlS1P_E_NS1_11comp_targetILNS1_3genE2ELNS1_11target_archE906ELNS1_3gpuE6ELNS1_3repE0EEENS1_30default_config_static_selectorELNS0_4arch9wavefront6targetE0EEEvS12_.private_seg_size, 0
	.set _ZN7rocprim17ROCPRIM_400000_NS6detail17trampoline_kernelINS0_13select_configILj256ELj13ELNS0_17block_load_methodE3ELS4_3ELS4_3ELNS0_20block_scan_algorithmE0ELj4294967295EEENS1_25partition_config_selectorILNS1_17partition_subalgoE4EjNS0_10empty_typeEbEEZZNS1_14partition_implILS8_4ELb0ES6_15HIP_vector_typeIjLj2EENS0_17counting_iteratorIjlEEPS9_SG_NS0_5tupleIJPjSI_NS0_16reverse_iteratorISI_EEEEENSH_IJSG_SG_SG_EEES9_SI_JZNS1_25segmented_radix_sort_implINS0_14default_configELb0EPKsPsPKlPlN2at6native12_GLOBAL__N_18offset_tEEE10hipError_tPvRmT1_PNSt15iterator_traitsIS12_E10value_typeET2_T3_PNS13_IS18_E10value_typeET4_jRbjT5_S1E_jjP12ihipStream_tbEUljE_ZNSN_ISO_Lb0ESQ_SR_ST_SU_SY_EESZ_S10_S11_S12_S16_S17_S18_S1B_S1C_jS1D_jS1E_S1E_jjS1G_bEUljE0_EEESZ_S10_S11_S18_S1C_S1E_T6_T7_T9_mT8_S1G_bDpT10_ENKUlT_T0_E_clISt17integral_constantIbLb1EES1U_EEDaS1P_S1Q_EUlS1P_E_NS1_11comp_targetILNS1_3genE2ELNS1_11target_archE906ELNS1_3gpuE6ELNS1_3repE0EEENS1_30default_config_static_selectorELNS0_4arch9wavefront6targetE0EEEvS12_.uses_vcc, 0
	.set _ZN7rocprim17ROCPRIM_400000_NS6detail17trampoline_kernelINS0_13select_configILj256ELj13ELNS0_17block_load_methodE3ELS4_3ELS4_3ELNS0_20block_scan_algorithmE0ELj4294967295EEENS1_25partition_config_selectorILNS1_17partition_subalgoE4EjNS0_10empty_typeEbEEZZNS1_14partition_implILS8_4ELb0ES6_15HIP_vector_typeIjLj2EENS0_17counting_iteratorIjlEEPS9_SG_NS0_5tupleIJPjSI_NS0_16reverse_iteratorISI_EEEEENSH_IJSG_SG_SG_EEES9_SI_JZNS1_25segmented_radix_sort_implINS0_14default_configELb0EPKsPsPKlPlN2at6native12_GLOBAL__N_18offset_tEEE10hipError_tPvRmT1_PNSt15iterator_traitsIS12_E10value_typeET2_T3_PNS13_IS18_E10value_typeET4_jRbjT5_S1E_jjP12ihipStream_tbEUljE_ZNSN_ISO_Lb0ESQ_SR_ST_SU_SY_EESZ_S10_S11_S12_S16_S17_S18_S1B_S1C_jS1D_jS1E_S1E_jjS1G_bEUljE0_EEESZ_S10_S11_S18_S1C_S1E_T6_T7_T9_mT8_S1G_bDpT10_ENKUlT_T0_E_clISt17integral_constantIbLb1EES1U_EEDaS1P_S1Q_EUlS1P_E_NS1_11comp_targetILNS1_3genE2ELNS1_11target_archE906ELNS1_3gpuE6ELNS1_3repE0EEENS1_30default_config_static_selectorELNS0_4arch9wavefront6targetE0EEEvS12_.uses_flat_scratch, 0
	.set _ZN7rocprim17ROCPRIM_400000_NS6detail17trampoline_kernelINS0_13select_configILj256ELj13ELNS0_17block_load_methodE3ELS4_3ELS4_3ELNS0_20block_scan_algorithmE0ELj4294967295EEENS1_25partition_config_selectorILNS1_17partition_subalgoE4EjNS0_10empty_typeEbEEZZNS1_14partition_implILS8_4ELb0ES6_15HIP_vector_typeIjLj2EENS0_17counting_iteratorIjlEEPS9_SG_NS0_5tupleIJPjSI_NS0_16reverse_iteratorISI_EEEEENSH_IJSG_SG_SG_EEES9_SI_JZNS1_25segmented_radix_sort_implINS0_14default_configELb0EPKsPsPKlPlN2at6native12_GLOBAL__N_18offset_tEEE10hipError_tPvRmT1_PNSt15iterator_traitsIS12_E10value_typeET2_T3_PNS13_IS18_E10value_typeET4_jRbjT5_S1E_jjP12ihipStream_tbEUljE_ZNSN_ISO_Lb0ESQ_SR_ST_SU_SY_EESZ_S10_S11_S12_S16_S17_S18_S1B_S1C_jS1D_jS1E_S1E_jjS1G_bEUljE0_EEESZ_S10_S11_S18_S1C_S1E_T6_T7_T9_mT8_S1G_bDpT10_ENKUlT_T0_E_clISt17integral_constantIbLb1EES1U_EEDaS1P_S1Q_EUlS1P_E_NS1_11comp_targetILNS1_3genE2ELNS1_11target_archE906ELNS1_3gpuE6ELNS1_3repE0EEENS1_30default_config_static_selectorELNS0_4arch9wavefront6targetE0EEEvS12_.has_dyn_sized_stack, 0
	.set _ZN7rocprim17ROCPRIM_400000_NS6detail17trampoline_kernelINS0_13select_configILj256ELj13ELNS0_17block_load_methodE3ELS4_3ELS4_3ELNS0_20block_scan_algorithmE0ELj4294967295EEENS1_25partition_config_selectorILNS1_17partition_subalgoE4EjNS0_10empty_typeEbEEZZNS1_14partition_implILS8_4ELb0ES6_15HIP_vector_typeIjLj2EENS0_17counting_iteratorIjlEEPS9_SG_NS0_5tupleIJPjSI_NS0_16reverse_iteratorISI_EEEEENSH_IJSG_SG_SG_EEES9_SI_JZNS1_25segmented_radix_sort_implINS0_14default_configELb0EPKsPsPKlPlN2at6native12_GLOBAL__N_18offset_tEEE10hipError_tPvRmT1_PNSt15iterator_traitsIS12_E10value_typeET2_T3_PNS13_IS18_E10value_typeET4_jRbjT5_S1E_jjP12ihipStream_tbEUljE_ZNSN_ISO_Lb0ESQ_SR_ST_SU_SY_EESZ_S10_S11_S12_S16_S17_S18_S1B_S1C_jS1D_jS1E_S1E_jjS1G_bEUljE0_EEESZ_S10_S11_S18_S1C_S1E_T6_T7_T9_mT8_S1G_bDpT10_ENKUlT_T0_E_clISt17integral_constantIbLb1EES1U_EEDaS1P_S1Q_EUlS1P_E_NS1_11comp_targetILNS1_3genE2ELNS1_11target_archE906ELNS1_3gpuE6ELNS1_3repE0EEENS1_30default_config_static_selectorELNS0_4arch9wavefront6targetE0EEEvS12_.has_recursion, 0
	.set _ZN7rocprim17ROCPRIM_400000_NS6detail17trampoline_kernelINS0_13select_configILj256ELj13ELNS0_17block_load_methodE3ELS4_3ELS4_3ELNS0_20block_scan_algorithmE0ELj4294967295EEENS1_25partition_config_selectorILNS1_17partition_subalgoE4EjNS0_10empty_typeEbEEZZNS1_14partition_implILS8_4ELb0ES6_15HIP_vector_typeIjLj2EENS0_17counting_iteratorIjlEEPS9_SG_NS0_5tupleIJPjSI_NS0_16reverse_iteratorISI_EEEEENSH_IJSG_SG_SG_EEES9_SI_JZNS1_25segmented_radix_sort_implINS0_14default_configELb0EPKsPsPKlPlN2at6native12_GLOBAL__N_18offset_tEEE10hipError_tPvRmT1_PNSt15iterator_traitsIS12_E10value_typeET2_T3_PNS13_IS18_E10value_typeET4_jRbjT5_S1E_jjP12ihipStream_tbEUljE_ZNSN_ISO_Lb0ESQ_SR_ST_SU_SY_EESZ_S10_S11_S12_S16_S17_S18_S1B_S1C_jS1D_jS1E_S1E_jjS1G_bEUljE0_EEESZ_S10_S11_S18_S1C_S1E_T6_T7_T9_mT8_S1G_bDpT10_ENKUlT_T0_E_clISt17integral_constantIbLb1EES1U_EEDaS1P_S1Q_EUlS1P_E_NS1_11comp_targetILNS1_3genE2ELNS1_11target_archE906ELNS1_3gpuE6ELNS1_3repE0EEENS1_30default_config_static_selectorELNS0_4arch9wavefront6targetE0EEEvS12_.has_indirect_call, 0
	.section	.AMDGPU.csdata,"",@progbits
; Kernel info:
; codeLenInByte = 0
; TotalNumSgprs: 0
; NumVgprs: 0
; ScratchSize: 0
; MemoryBound: 0
; FloatMode: 240
; IeeeMode: 1
; LDSByteSize: 0 bytes/workgroup (compile time only)
; SGPRBlocks: 0
; VGPRBlocks: 0
; NumSGPRsForWavesPerEU: 1
; NumVGPRsForWavesPerEU: 1
; Occupancy: 16
; WaveLimiterHint : 0
; COMPUTE_PGM_RSRC2:SCRATCH_EN: 0
; COMPUTE_PGM_RSRC2:USER_SGPR: 6
; COMPUTE_PGM_RSRC2:TRAP_HANDLER: 0
; COMPUTE_PGM_RSRC2:TGID_X_EN: 1
; COMPUTE_PGM_RSRC2:TGID_Y_EN: 0
; COMPUTE_PGM_RSRC2:TGID_Z_EN: 0
; COMPUTE_PGM_RSRC2:TIDIG_COMP_CNT: 0
	.section	.text._ZN7rocprim17ROCPRIM_400000_NS6detail17trampoline_kernelINS0_13select_configILj256ELj13ELNS0_17block_load_methodE3ELS4_3ELS4_3ELNS0_20block_scan_algorithmE0ELj4294967295EEENS1_25partition_config_selectorILNS1_17partition_subalgoE4EjNS0_10empty_typeEbEEZZNS1_14partition_implILS8_4ELb0ES6_15HIP_vector_typeIjLj2EENS0_17counting_iteratorIjlEEPS9_SG_NS0_5tupleIJPjSI_NS0_16reverse_iteratorISI_EEEEENSH_IJSG_SG_SG_EEES9_SI_JZNS1_25segmented_radix_sort_implINS0_14default_configELb0EPKsPsPKlPlN2at6native12_GLOBAL__N_18offset_tEEE10hipError_tPvRmT1_PNSt15iterator_traitsIS12_E10value_typeET2_T3_PNS13_IS18_E10value_typeET4_jRbjT5_S1E_jjP12ihipStream_tbEUljE_ZNSN_ISO_Lb0ESQ_SR_ST_SU_SY_EESZ_S10_S11_S12_S16_S17_S18_S1B_S1C_jS1D_jS1E_S1E_jjS1G_bEUljE0_EEESZ_S10_S11_S18_S1C_S1E_T6_T7_T9_mT8_S1G_bDpT10_ENKUlT_T0_E_clISt17integral_constantIbLb1EES1U_EEDaS1P_S1Q_EUlS1P_E_NS1_11comp_targetILNS1_3genE10ELNS1_11target_archE1200ELNS1_3gpuE4ELNS1_3repE0EEENS1_30default_config_static_selectorELNS0_4arch9wavefront6targetE0EEEvS12_,"axG",@progbits,_ZN7rocprim17ROCPRIM_400000_NS6detail17trampoline_kernelINS0_13select_configILj256ELj13ELNS0_17block_load_methodE3ELS4_3ELS4_3ELNS0_20block_scan_algorithmE0ELj4294967295EEENS1_25partition_config_selectorILNS1_17partition_subalgoE4EjNS0_10empty_typeEbEEZZNS1_14partition_implILS8_4ELb0ES6_15HIP_vector_typeIjLj2EENS0_17counting_iteratorIjlEEPS9_SG_NS0_5tupleIJPjSI_NS0_16reverse_iteratorISI_EEEEENSH_IJSG_SG_SG_EEES9_SI_JZNS1_25segmented_radix_sort_implINS0_14default_configELb0EPKsPsPKlPlN2at6native12_GLOBAL__N_18offset_tEEE10hipError_tPvRmT1_PNSt15iterator_traitsIS12_E10value_typeET2_T3_PNS13_IS18_E10value_typeET4_jRbjT5_S1E_jjP12ihipStream_tbEUljE_ZNSN_ISO_Lb0ESQ_SR_ST_SU_SY_EESZ_S10_S11_S12_S16_S17_S18_S1B_S1C_jS1D_jS1E_S1E_jjS1G_bEUljE0_EEESZ_S10_S11_S18_S1C_S1E_T6_T7_T9_mT8_S1G_bDpT10_ENKUlT_T0_E_clISt17integral_constantIbLb1EES1U_EEDaS1P_S1Q_EUlS1P_E_NS1_11comp_targetILNS1_3genE10ELNS1_11target_archE1200ELNS1_3gpuE4ELNS1_3repE0EEENS1_30default_config_static_selectorELNS0_4arch9wavefront6targetE0EEEvS12_,comdat
	.globl	_ZN7rocprim17ROCPRIM_400000_NS6detail17trampoline_kernelINS0_13select_configILj256ELj13ELNS0_17block_load_methodE3ELS4_3ELS4_3ELNS0_20block_scan_algorithmE0ELj4294967295EEENS1_25partition_config_selectorILNS1_17partition_subalgoE4EjNS0_10empty_typeEbEEZZNS1_14partition_implILS8_4ELb0ES6_15HIP_vector_typeIjLj2EENS0_17counting_iteratorIjlEEPS9_SG_NS0_5tupleIJPjSI_NS0_16reverse_iteratorISI_EEEEENSH_IJSG_SG_SG_EEES9_SI_JZNS1_25segmented_radix_sort_implINS0_14default_configELb0EPKsPsPKlPlN2at6native12_GLOBAL__N_18offset_tEEE10hipError_tPvRmT1_PNSt15iterator_traitsIS12_E10value_typeET2_T3_PNS13_IS18_E10value_typeET4_jRbjT5_S1E_jjP12ihipStream_tbEUljE_ZNSN_ISO_Lb0ESQ_SR_ST_SU_SY_EESZ_S10_S11_S12_S16_S17_S18_S1B_S1C_jS1D_jS1E_S1E_jjS1G_bEUljE0_EEESZ_S10_S11_S18_S1C_S1E_T6_T7_T9_mT8_S1G_bDpT10_ENKUlT_T0_E_clISt17integral_constantIbLb1EES1U_EEDaS1P_S1Q_EUlS1P_E_NS1_11comp_targetILNS1_3genE10ELNS1_11target_archE1200ELNS1_3gpuE4ELNS1_3repE0EEENS1_30default_config_static_selectorELNS0_4arch9wavefront6targetE0EEEvS12_ ; -- Begin function _ZN7rocprim17ROCPRIM_400000_NS6detail17trampoline_kernelINS0_13select_configILj256ELj13ELNS0_17block_load_methodE3ELS4_3ELS4_3ELNS0_20block_scan_algorithmE0ELj4294967295EEENS1_25partition_config_selectorILNS1_17partition_subalgoE4EjNS0_10empty_typeEbEEZZNS1_14partition_implILS8_4ELb0ES6_15HIP_vector_typeIjLj2EENS0_17counting_iteratorIjlEEPS9_SG_NS0_5tupleIJPjSI_NS0_16reverse_iteratorISI_EEEEENSH_IJSG_SG_SG_EEES9_SI_JZNS1_25segmented_radix_sort_implINS0_14default_configELb0EPKsPsPKlPlN2at6native12_GLOBAL__N_18offset_tEEE10hipError_tPvRmT1_PNSt15iterator_traitsIS12_E10value_typeET2_T3_PNS13_IS18_E10value_typeET4_jRbjT5_S1E_jjP12ihipStream_tbEUljE_ZNSN_ISO_Lb0ESQ_SR_ST_SU_SY_EESZ_S10_S11_S12_S16_S17_S18_S1B_S1C_jS1D_jS1E_S1E_jjS1G_bEUljE0_EEESZ_S10_S11_S18_S1C_S1E_T6_T7_T9_mT8_S1G_bDpT10_ENKUlT_T0_E_clISt17integral_constantIbLb1EES1U_EEDaS1P_S1Q_EUlS1P_E_NS1_11comp_targetILNS1_3genE10ELNS1_11target_archE1200ELNS1_3gpuE4ELNS1_3repE0EEENS1_30default_config_static_selectorELNS0_4arch9wavefront6targetE0EEEvS12_
	.p2align	8
	.type	_ZN7rocprim17ROCPRIM_400000_NS6detail17trampoline_kernelINS0_13select_configILj256ELj13ELNS0_17block_load_methodE3ELS4_3ELS4_3ELNS0_20block_scan_algorithmE0ELj4294967295EEENS1_25partition_config_selectorILNS1_17partition_subalgoE4EjNS0_10empty_typeEbEEZZNS1_14partition_implILS8_4ELb0ES6_15HIP_vector_typeIjLj2EENS0_17counting_iteratorIjlEEPS9_SG_NS0_5tupleIJPjSI_NS0_16reverse_iteratorISI_EEEEENSH_IJSG_SG_SG_EEES9_SI_JZNS1_25segmented_radix_sort_implINS0_14default_configELb0EPKsPsPKlPlN2at6native12_GLOBAL__N_18offset_tEEE10hipError_tPvRmT1_PNSt15iterator_traitsIS12_E10value_typeET2_T3_PNS13_IS18_E10value_typeET4_jRbjT5_S1E_jjP12ihipStream_tbEUljE_ZNSN_ISO_Lb0ESQ_SR_ST_SU_SY_EESZ_S10_S11_S12_S16_S17_S18_S1B_S1C_jS1D_jS1E_S1E_jjS1G_bEUljE0_EEESZ_S10_S11_S18_S1C_S1E_T6_T7_T9_mT8_S1G_bDpT10_ENKUlT_T0_E_clISt17integral_constantIbLb1EES1U_EEDaS1P_S1Q_EUlS1P_E_NS1_11comp_targetILNS1_3genE10ELNS1_11target_archE1200ELNS1_3gpuE4ELNS1_3repE0EEENS1_30default_config_static_selectorELNS0_4arch9wavefront6targetE0EEEvS12_,@function
_ZN7rocprim17ROCPRIM_400000_NS6detail17trampoline_kernelINS0_13select_configILj256ELj13ELNS0_17block_load_methodE3ELS4_3ELS4_3ELNS0_20block_scan_algorithmE0ELj4294967295EEENS1_25partition_config_selectorILNS1_17partition_subalgoE4EjNS0_10empty_typeEbEEZZNS1_14partition_implILS8_4ELb0ES6_15HIP_vector_typeIjLj2EENS0_17counting_iteratorIjlEEPS9_SG_NS0_5tupleIJPjSI_NS0_16reverse_iteratorISI_EEEEENSH_IJSG_SG_SG_EEES9_SI_JZNS1_25segmented_radix_sort_implINS0_14default_configELb0EPKsPsPKlPlN2at6native12_GLOBAL__N_18offset_tEEE10hipError_tPvRmT1_PNSt15iterator_traitsIS12_E10value_typeET2_T3_PNS13_IS18_E10value_typeET4_jRbjT5_S1E_jjP12ihipStream_tbEUljE_ZNSN_ISO_Lb0ESQ_SR_ST_SU_SY_EESZ_S10_S11_S12_S16_S17_S18_S1B_S1C_jS1D_jS1E_S1E_jjS1G_bEUljE0_EEESZ_S10_S11_S18_S1C_S1E_T6_T7_T9_mT8_S1G_bDpT10_ENKUlT_T0_E_clISt17integral_constantIbLb1EES1U_EEDaS1P_S1Q_EUlS1P_E_NS1_11comp_targetILNS1_3genE10ELNS1_11target_archE1200ELNS1_3gpuE4ELNS1_3repE0EEENS1_30default_config_static_selectorELNS0_4arch9wavefront6targetE0EEEvS12_: ; @_ZN7rocprim17ROCPRIM_400000_NS6detail17trampoline_kernelINS0_13select_configILj256ELj13ELNS0_17block_load_methodE3ELS4_3ELS4_3ELNS0_20block_scan_algorithmE0ELj4294967295EEENS1_25partition_config_selectorILNS1_17partition_subalgoE4EjNS0_10empty_typeEbEEZZNS1_14partition_implILS8_4ELb0ES6_15HIP_vector_typeIjLj2EENS0_17counting_iteratorIjlEEPS9_SG_NS0_5tupleIJPjSI_NS0_16reverse_iteratorISI_EEEEENSH_IJSG_SG_SG_EEES9_SI_JZNS1_25segmented_radix_sort_implINS0_14default_configELb0EPKsPsPKlPlN2at6native12_GLOBAL__N_18offset_tEEE10hipError_tPvRmT1_PNSt15iterator_traitsIS12_E10value_typeET2_T3_PNS13_IS18_E10value_typeET4_jRbjT5_S1E_jjP12ihipStream_tbEUljE_ZNSN_ISO_Lb0ESQ_SR_ST_SU_SY_EESZ_S10_S11_S12_S16_S17_S18_S1B_S1C_jS1D_jS1E_S1E_jjS1G_bEUljE0_EEESZ_S10_S11_S18_S1C_S1E_T6_T7_T9_mT8_S1G_bDpT10_ENKUlT_T0_E_clISt17integral_constantIbLb1EES1U_EEDaS1P_S1Q_EUlS1P_E_NS1_11comp_targetILNS1_3genE10ELNS1_11target_archE1200ELNS1_3gpuE4ELNS1_3repE0EEENS1_30default_config_static_selectorELNS0_4arch9wavefront6targetE0EEEvS12_
; %bb.0:
	.section	.rodata,"a",@progbits
	.p2align	6, 0x0
	.amdhsa_kernel _ZN7rocprim17ROCPRIM_400000_NS6detail17trampoline_kernelINS0_13select_configILj256ELj13ELNS0_17block_load_methodE3ELS4_3ELS4_3ELNS0_20block_scan_algorithmE0ELj4294967295EEENS1_25partition_config_selectorILNS1_17partition_subalgoE4EjNS0_10empty_typeEbEEZZNS1_14partition_implILS8_4ELb0ES6_15HIP_vector_typeIjLj2EENS0_17counting_iteratorIjlEEPS9_SG_NS0_5tupleIJPjSI_NS0_16reverse_iteratorISI_EEEEENSH_IJSG_SG_SG_EEES9_SI_JZNS1_25segmented_radix_sort_implINS0_14default_configELb0EPKsPsPKlPlN2at6native12_GLOBAL__N_18offset_tEEE10hipError_tPvRmT1_PNSt15iterator_traitsIS12_E10value_typeET2_T3_PNS13_IS18_E10value_typeET4_jRbjT5_S1E_jjP12ihipStream_tbEUljE_ZNSN_ISO_Lb0ESQ_SR_ST_SU_SY_EESZ_S10_S11_S12_S16_S17_S18_S1B_S1C_jS1D_jS1E_S1E_jjS1G_bEUljE0_EEESZ_S10_S11_S18_S1C_S1E_T6_T7_T9_mT8_S1G_bDpT10_ENKUlT_T0_E_clISt17integral_constantIbLb1EES1U_EEDaS1P_S1Q_EUlS1P_E_NS1_11comp_targetILNS1_3genE10ELNS1_11target_archE1200ELNS1_3gpuE4ELNS1_3repE0EEENS1_30default_config_static_selectorELNS0_4arch9wavefront6targetE0EEEvS12_
		.amdhsa_group_segment_fixed_size 0
		.amdhsa_private_segment_fixed_size 0
		.amdhsa_kernarg_size 184
		.amdhsa_user_sgpr_count 6
		.amdhsa_user_sgpr_private_segment_buffer 1
		.amdhsa_user_sgpr_dispatch_ptr 0
		.amdhsa_user_sgpr_queue_ptr 0
		.amdhsa_user_sgpr_kernarg_segment_ptr 1
		.amdhsa_user_sgpr_dispatch_id 0
		.amdhsa_user_sgpr_flat_scratch_init 0
		.amdhsa_user_sgpr_private_segment_size 0
		.amdhsa_wavefront_size32 1
		.amdhsa_uses_dynamic_stack 0
		.amdhsa_system_sgpr_private_segment_wavefront_offset 0
		.amdhsa_system_sgpr_workgroup_id_x 1
		.amdhsa_system_sgpr_workgroup_id_y 0
		.amdhsa_system_sgpr_workgroup_id_z 0
		.amdhsa_system_sgpr_workgroup_info 0
		.amdhsa_system_vgpr_workitem_id 0
		.amdhsa_next_free_vgpr 1
		.amdhsa_next_free_sgpr 1
		.amdhsa_reserve_vcc 0
		.amdhsa_reserve_flat_scratch 0
		.amdhsa_float_round_mode_32 0
		.amdhsa_float_round_mode_16_64 0
		.amdhsa_float_denorm_mode_32 3
		.amdhsa_float_denorm_mode_16_64 3
		.amdhsa_dx10_clamp 1
		.amdhsa_ieee_mode 1
		.amdhsa_fp16_overflow 0
		.amdhsa_workgroup_processor_mode 1
		.amdhsa_memory_ordered 1
		.amdhsa_forward_progress 1
		.amdhsa_shared_vgpr_count 0
		.amdhsa_exception_fp_ieee_invalid_op 0
		.amdhsa_exception_fp_denorm_src 0
		.amdhsa_exception_fp_ieee_div_zero 0
		.amdhsa_exception_fp_ieee_overflow 0
		.amdhsa_exception_fp_ieee_underflow 0
		.amdhsa_exception_fp_ieee_inexact 0
		.amdhsa_exception_int_div_zero 0
	.end_amdhsa_kernel
	.section	.text._ZN7rocprim17ROCPRIM_400000_NS6detail17trampoline_kernelINS0_13select_configILj256ELj13ELNS0_17block_load_methodE3ELS4_3ELS4_3ELNS0_20block_scan_algorithmE0ELj4294967295EEENS1_25partition_config_selectorILNS1_17partition_subalgoE4EjNS0_10empty_typeEbEEZZNS1_14partition_implILS8_4ELb0ES6_15HIP_vector_typeIjLj2EENS0_17counting_iteratorIjlEEPS9_SG_NS0_5tupleIJPjSI_NS0_16reverse_iteratorISI_EEEEENSH_IJSG_SG_SG_EEES9_SI_JZNS1_25segmented_radix_sort_implINS0_14default_configELb0EPKsPsPKlPlN2at6native12_GLOBAL__N_18offset_tEEE10hipError_tPvRmT1_PNSt15iterator_traitsIS12_E10value_typeET2_T3_PNS13_IS18_E10value_typeET4_jRbjT5_S1E_jjP12ihipStream_tbEUljE_ZNSN_ISO_Lb0ESQ_SR_ST_SU_SY_EESZ_S10_S11_S12_S16_S17_S18_S1B_S1C_jS1D_jS1E_S1E_jjS1G_bEUljE0_EEESZ_S10_S11_S18_S1C_S1E_T6_T7_T9_mT8_S1G_bDpT10_ENKUlT_T0_E_clISt17integral_constantIbLb1EES1U_EEDaS1P_S1Q_EUlS1P_E_NS1_11comp_targetILNS1_3genE10ELNS1_11target_archE1200ELNS1_3gpuE4ELNS1_3repE0EEENS1_30default_config_static_selectorELNS0_4arch9wavefront6targetE0EEEvS12_,"axG",@progbits,_ZN7rocprim17ROCPRIM_400000_NS6detail17trampoline_kernelINS0_13select_configILj256ELj13ELNS0_17block_load_methodE3ELS4_3ELS4_3ELNS0_20block_scan_algorithmE0ELj4294967295EEENS1_25partition_config_selectorILNS1_17partition_subalgoE4EjNS0_10empty_typeEbEEZZNS1_14partition_implILS8_4ELb0ES6_15HIP_vector_typeIjLj2EENS0_17counting_iteratorIjlEEPS9_SG_NS0_5tupleIJPjSI_NS0_16reverse_iteratorISI_EEEEENSH_IJSG_SG_SG_EEES9_SI_JZNS1_25segmented_radix_sort_implINS0_14default_configELb0EPKsPsPKlPlN2at6native12_GLOBAL__N_18offset_tEEE10hipError_tPvRmT1_PNSt15iterator_traitsIS12_E10value_typeET2_T3_PNS13_IS18_E10value_typeET4_jRbjT5_S1E_jjP12ihipStream_tbEUljE_ZNSN_ISO_Lb0ESQ_SR_ST_SU_SY_EESZ_S10_S11_S12_S16_S17_S18_S1B_S1C_jS1D_jS1E_S1E_jjS1G_bEUljE0_EEESZ_S10_S11_S18_S1C_S1E_T6_T7_T9_mT8_S1G_bDpT10_ENKUlT_T0_E_clISt17integral_constantIbLb1EES1U_EEDaS1P_S1Q_EUlS1P_E_NS1_11comp_targetILNS1_3genE10ELNS1_11target_archE1200ELNS1_3gpuE4ELNS1_3repE0EEENS1_30default_config_static_selectorELNS0_4arch9wavefront6targetE0EEEvS12_,comdat
.Lfunc_end956:
	.size	_ZN7rocprim17ROCPRIM_400000_NS6detail17trampoline_kernelINS0_13select_configILj256ELj13ELNS0_17block_load_methodE3ELS4_3ELS4_3ELNS0_20block_scan_algorithmE0ELj4294967295EEENS1_25partition_config_selectorILNS1_17partition_subalgoE4EjNS0_10empty_typeEbEEZZNS1_14partition_implILS8_4ELb0ES6_15HIP_vector_typeIjLj2EENS0_17counting_iteratorIjlEEPS9_SG_NS0_5tupleIJPjSI_NS0_16reverse_iteratorISI_EEEEENSH_IJSG_SG_SG_EEES9_SI_JZNS1_25segmented_radix_sort_implINS0_14default_configELb0EPKsPsPKlPlN2at6native12_GLOBAL__N_18offset_tEEE10hipError_tPvRmT1_PNSt15iterator_traitsIS12_E10value_typeET2_T3_PNS13_IS18_E10value_typeET4_jRbjT5_S1E_jjP12ihipStream_tbEUljE_ZNSN_ISO_Lb0ESQ_SR_ST_SU_SY_EESZ_S10_S11_S12_S16_S17_S18_S1B_S1C_jS1D_jS1E_S1E_jjS1G_bEUljE0_EEESZ_S10_S11_S18_S1C_S1E_T6_T7_T9_mT8_S1G_bDpT10_ENKUlT_T0_E_clISt17integral_constantIbLb1EES1U_EEDaS1P_S1Q_EUlS1P_E_NS1_11comp_targetILNS1_3genE10ELNS1_11target_archE1200ELNS1_3gpuE4ELNS1_3repE0EEENS1_30default_config_static_selectorELNS0_4arch9wavefront6targetE0EEEvS12_, .Lfunc_end956-_ZN7rocprim17ROCPRIM_400000_NS6detail17trampoline_kernelINS0_13select_configILj256ELj13ELNS0_17block_load_methodE3ELS4_3ELS4_3ELNS0_20block_scan_algorithmE0ELj4294967295EEENS1_25partition_config_selectorILNS1_17partition_subalgoE4EjNS0_10empty_typeEbEEZZNS1_14partition_implILS8_4ELb0ES6_15HIP_vector_typeIjLj2EENS0_17counting_iteratorIjlEEPS9_SG_NS0_5tupleIJPjSI_NS0_16reverse_iteratorISI_EEEEENSH_IJSG_SG_SG_EEES9_SI_JZNS1_25segmented_radix_sort_implINS0_14default_configELb0EPKsPsPKlPlN2at6native12_GLOBAL__N_18offset_tEEE10hipError_tPvRmT1_PNSt15iterator_traitsIS12_E10value_typeET2_T3_PNS13_IS18_E10value_typeET4_jRbjT5_S1E_jjP12ihipStream_tbEUljE_ZNSN_ISO_Lb0ESQ_SR_ST_SU_SY_EESZ_S10_S11_S12_S16_S17_S18_S1B_S1C_jS1D_jS1E_S1E_jjS1G_bEUljE0_EEESZ_S10_S11_S18_S1C_S1E_T6_T7_T9_mT8_S1G_bDpT10_ENKUlT_T0_E_clISt17integral_constantIbLb1EES1U_EEDaS1P_S1Q_EUlS1P_E_NS1_11comp_targetILNS1_3genE10ELNS1_11target_archE1200ELNS1_3gpuE4ELNS1_3repE0EEENS1_30default_config_static_selectorELNS0_4arch9wavefront6targetE0EEEvS12_
                                        ; -- End function
	.set _ZN7rocprim17ROCPRIM_400000_NS6detail17trampoline_kernelINS0_13select_configILj256ELj13ELNS0_17block_load_methodE3ELS4_3ELS4_3ELNS0_20block_scan_algorithmE0ELj4294967295EEENS1_25partition_config_selectorILNS1_17partition_subalgoE4EjNS0_10empty_typeEbEEZZNS1_14partition_implILS8_4ELb0ES6_15HIP_vector_typeIjLj2EENS0_17counting_iteratorIjlEEPS9_SG_NS0_5tupleIJPjSI_NS0_16reverse_iteratorISI_EEEEENSH_IJSG_SG_SG_EEES9_SI_JZNS1_25segmented_radix_sort_implINS0_14default_configELb0EPKsPsPKlPlN2at6native12_GLOBAL__N_18offset_tEEE10hipError_tPvRmT1_PNSt15iterator_traitsIS12_E10value_typeET2_T3_PNS13_IS18_E10value_typeET4_jRbjT5_S1E_jjP12ihipStream_tbEUljE_ZNSN_ISO_Lb0ESQ_SR_ST_SU_SY_EESZ_S10_S11_S12_S16_S17_S18_S1B_S1C_jS1D_jS1E_S1E_jjS1G_bEUljE0_EEESZ_S10_S11_S18_S1C_S1E_T6_T7_T9_mT8_S1G_bDpT10_ENKUlT_T0_E_clISt17integral_constantIbLb1EES1U_EEDaS1P_S1Q_EUlS1P_E_NS1_11comp_targetILNS1_3genE10ELNS1_11target_archE1200ELNS1_3gpuE4ELNS1_3repE0EEENS1_30default_config_static_selectorELNS0_4arch9wavefront6targetE0EEEvS12_.num_vgpr, 0
	.set _ZN7rocprim17ROCPRIM_400000_NS6detail17trampoline_kernelINS0_13select_configILj256ELj13ELNS0_17block_load_methodE3ELS4_3ELS4_3ELNS0_20block_scan_algorithmE0ELj4294967295EEENS1_25partition_config_selectorILNS1_17partition_subalgoE4EjNS0_10empty_typeEbEEZZNS1_14partition_implILS8_4ELb0ES6_15HIP_vector_typeIjLj2EENS0_17counting_iteratorIjlEEPS9_SG_NS0_5tupleIJPjSI_NS0_16reverse_iteratorISI_EEEEENSH_IJSG_SG_SG_EEES9_SI_JZNS1_25segmented_radix_sort_implINS0_14default_configELb0EPKsPsPKlPlN2at6native12_GLOBAL__N_18offset_tEEE10hipError_tPvRmT1_PNSt15iterator_traitsIS12_E10value_typeET2_T3_PNS13_IS18_E10value_typeET4_jRbjT5_S1E_jjP12ihipStream_tbEUljE_ZNSN_ISO_Lb0ESQ_SR_ST_SU_SY_EESZ_S10_S11_S12_S16_S17_S18_S1B_S1C_jS1D_jS1E_S1E_jjS1G_bEUljE0_EEESZ_S10_S11_S18_S1C_S1E_T6_T7_T9_mT8_S1G_bDpT10_ENKUlT_T0_E_clISt17integral_constantIbLb1EES1U_EEDaS1P_S1Q_EUlS1P_E_NS1_11comp_targetILNS1_3genE10ELNS1_11target_archE1200ELNS1_3gpuE4ELNS1_3repE0EEENS1_30default_config_static_selectorELNS0_4arch9wavefront6targetE0EEEvS12_.num_agpr, 0
	.set _ZN7rocprim17ROCPRIM_400000_NS6detail17trampoline_kernelINS0_13select_configILj256ELj13ELNS0_17block_load_methodE3ELS4_3ELS4_3ELNS0_20block_scan_algorithmE0ELj4294967295EEENS1_25partition_config_selectorILNS1_17partition_subalgoE4EjNS0_10empty_typeEbEEZZNS1_14partition_implILS8_4ELb0ES6_15HIP_vector_typeIjLj2EENS0_17counting_iteratorIjlEEPS9_SG_NS0_5tupleIJPjSI_NS0_16reverse_iteratorISI_EEEEENSH_IJSG_SG_SG_EEES9_SI_JZNS1_25segmented_radix_sort_implINS0_14default_configELb0EPKsPsPKlPlN2at6native12_GLOBAL__N_18offset_tEEE10hipError_tPvRmT1_PNSt15iterator_traitsIS12_E10value_typeET2_T3_PNS13_IS18_E10value_typeET4_jRbjT5_S1E_jjP12ihipStream_tbEUljE_ZNSN_ISO_Lb0ESQ_SR_ST_SU_SY_EESZ_S10_S11_S12_S16_S17_S18_S1B_S1C_jS1D_jS1E_S1E_jjS1G_bEUljE0_EEESZ_S10_S11_S18_S1C_S1E_T6_T7_T9_mT8_S1G_bDpT10_ENKUlT_T0_E_clISt17integral_constantIbLb1EES1U_EEDaS1P_S1Q_EUlS1P_E_NS1_11comp_targetILNS1_3genE10ELNS1_11target_archE1200ELNS1_3gpuE4ELNS1_3repE0EEENS1_30default_config_static_selectorELNS0_4arch9wavefront6targetE0EEEvS12_.numbered_sgpr, 0
	.set _ZN7rocprim17ROCPRIM_400000_NS6detail17trampoline_kernelINS0_13select_configILj256ELj13ELNS0_17block_load_methodE3ELS4_3ELS4_3ELNS0_20block_scan_algorithmE0ELj4294967295EEENS1_25partition_config_selectorILNS1_17partition_subalgoE4EjNS0_10empty_typeEbEEZZNS1_14partition_implILS8_4ELb0ES6_15HIP_vector_typeIjLj2EENS0_17counting_iteratorIjlEEPS9_SG_NS0_5tupleIJPjSI_NS0_16reverse_iteratorISI_EEEEENSH_IJSG_SG_SG_EEES9_SI_JZNS1_25segmented_radix_sort_implINS0_14default_configELb0EPKsPsPKlPlN2at6native12_GLOBAL__N_18offset_tEEE10hipError_tPvRmT1_PNSt15iterator_traitsIS12_E10value_typeET2_T3_PNS13_IS18_E10value_typeET4_jRbjT5_S1E_jjP12ihipStream_tbEUljE_ZNSN_ISO_Lb0ESQ_SR_ST_SU_SY_EESZ_S10_S11_S12_S16_S17_S18_S1B_S1C_jS1D_jS1E_S1E_jjS1G_bEUljE0_EEESZ_S10_S11_S18_S1C_S1E_T6_T7_T9_mT8_S1G_bDpT10_ENKUlT_T0_E_clISt17integral_constantIbLb1EES1U_EEDaS1P_S1Q_EUlS1P_E_NS1_11comp_targetILNS1_3genE10ELNS1_11target_archE1200ELNS1_3gpuE4ELNS1_3repE0EEENS1_30default_config_static_selectorELNS0_4arch9wavefront6targetE0EEEvS12_.num_named_barrier, 0
	.set _ZN7rocprim17ROCPRIM_400000_NS6detail17trampoline_kernelINS0_13select_configILj256ELj13ELNS0_17block_load_methodE3ELS4_3ELS4_3ELNS0_20block_scan_algorithmE0ELj4294967295EEENS1_25partition_config_selectorILNS1_17partition_subalgoE4EjNS0_10empty_typeEbEEZZNS1_14partition_implILS8_4ELb0ES6_15HIP_vector_typeIjLj2EENS0_17counting_iteratorIjlEEPS9_SG_NS0_5tupleIJPjSI_NS0_16reverse_iteratorISI_EEEEENSH_IJSG_SG_SG_EEES9_SI_JZNS1_25segmented_radix_sort_implINS0_14default_configELb0EPKsPsPKlPlN2at6native12_GLOBAL__N_18offset_tEEE10hipError_tPvRmT1_PNSt15iterator_traitsIS12_E10value_typeET2_T3_PNS13_IS18_E10value_typeET4_jRbjT5_S1E_jjP12ihipStream_tbEUljE_ZNSN_ISO_Lb0ESQ_SR_ST_SU_SY_EESZ_S10_S11_S12_S16_S17_S18_S1B_S1C_jS1D_jS1E_S1E_jjS1G_bEUljE0_EEESZ_S10_S11_S18_S1C_S1E_T6_T7_T9_mT8_S1G_bDpT10_ENKUlT_T0_E_clISt17integral_constantIbLb1EES1U_EEDaS1P_S1Q_EUlS1P_E_NS1_11comp_targetILNS1_3genE10ELNS1_11target_archE1200ELNS1_3gpuE4ELNS1_3repE0EEENS1_30default_config_static_selectorELNS0_4arch9wavefront6targetE0EEEvS12_.private_seg_size, 0
	.set _ZN7rocprim17ROCPRIM_400000_NS6detail17trampoline_kernelINS0_13select_configILj256ELj13ELNS0_17block_load_methodE3ELS4_3ELS4_3ELNS0_20block_scan_algorithmE0ELj4294967295EEENS1_25partition_config_selectorILNS1_17partition_subalgoE4EjNS0_10empty_typeEbEEZZNS1_14partition_implILS8_4ELb0ES6_15HIP_vector_typeIjLj2EENS0_17counting_iteratorIjlEEPS9_SG_NS0_5tupleIJPjSI_NS0_16reverse_iteratorISI_EEEEENSH_IJSG_SG_SG_EEES9_SI_JZNS1_25segmented_radix_sort_implINS0_14default_configELb0EPKsPsPKlPlN2at6native12_GLOBAL__N_18offset_tEEE10hipError_tPvRmT1_PNSt15iterator_traitsIS12_E10value_typeET2_T3_PNS13_IS18_E10value_typeET4_jRbjT5_S1E_jjP12ihipStream_tbEUljE_ZNSN_ISO_Lb0ESQ_SR_ST_SU_SY_EESZ_S10_S11_S12_S16_S17_S18_S1B_S1C_jS1D_jS1E_S1E_jjS1G_bEUljE0_EEESZ_S10_S11_S18_S1C_S1E_T6_T7_T9_mT8_S1G_bDpT10_ENKUlT_T0_E_clISt17integral_constantIbLb1EES1U_EEDaS1P_S1Q_EUlS1P_E_NS1_11comp_targetILNS1_3genE10ELNS1_11target_archE1200ELNS1_3gpuE4ELNS1_3repE0EEENS1_30default_config_static_selectorELNS0_4arch9wavefront6targetE0EEEvS12_.uses_vcc, 0
	.set _ZN7rocprim17ROCPRIM_400000_NS6detail17trampoline_kernelINS0_13select_configILj256ELj13ELNS0_17block_load_methodE3ELS4_3ELS4_3ELNS0_20block_scan_algorithmE0ELj4294967295EEENS1_25partition_config_selectorILNS1_17partition_subalgoE4EjNS0_10empty_typeEbEEZZNS1_14partition_implILS8_4ELb0ES6_15HIP_vector_typeIjLj2EENS0_17counting_iteratorIjlEEPS9_SG_NS0_5tupleIJPjSI_NS0_16reverse_iteratorISI_EEEEENSH_IJSG_SG_SG_EEES9_SI_JZNS1_25segmented_radix_sort_implINS0_14default_configELb0EPKsPsPKlPlN2at6native12_GLOBAL__N_18offset_tEEE10hipError_tPvRmT1_PNSt15iterator_traitsIS12_E10value_typeET2_T3_PNS13_IS18_E10value_typeET4_jRbjT5_S1E_jjP12ihipStream_tbEUljE_ZNSN_ISO_Lb0ESQ_SR_ST_SU_SY_EESZ_S10_S11_S12_S16_S17_S18_S1B_S1C_jS1D_jS1E_S1E_jjS1G_bEUljE0_EEESZ_S10_S11_S18_S1C_S1E_T6_T7_T9_mT8_S1G_bDpT10_ENKUlT_T0_E_clISt17integral_constantIbLb1EES1U_EEDaS1P_S1Q_EUlS1P_E_NS1_11comp_targetILNS1_3genE10ELNS1_11target_archE1200ELNS1_3gpuE4ELNS1_3repE0EEENS1_30default_config_static_selectorELNS0_4arch9wavefront6targetE0EEEvS12_.uses_flat_scratch, 0
	.set _ZN7rocprim17ROCPRIM_400000_NS6detail17trampoline_kernelINS0_13select_configILj256ELj13ELNS0_17block_load_methodE3ELS4_3ELS4_3ELNS0_20block_scan_algorithmE0ELj4294967295EEENS1_25partition_config_selectorILNS1_17partition_subalgoE4EjNS0_10empty_typeEbEEZZNS1_14partition_implILS8_4ELb0ES6_15HIP_vector_typeIjLj2EENS0_17counting_iteratorIjlEEPS9_SG_NS0_5tupleIJPjSI_NS0_16reverse_iteratorISI_EEEEENSH_IJSG_SG_SG_EEES9_SI_JZNS1_25segmented_radix_sort_implINS0_14default_configELb0EPKsPsPKlPlN2at6native12_GLOBAL__N_18offset_tEEE10hipError_tPvRmT1_PNSt15iterator_traitsIS12_E10value_typeET2_T3_PNS13_IS18_E10value_typeET4_jRbjT5_S1E_jjP12ihipStream_tbEUljE_ZNSN_ISO_Lb0ESQ_SR_ST_SU_SY_EESZ_S10_S11_S12_S16_S17_S18_S1B_S1C_jS1D_jS1E_S1E_jjS1G_bEUljE0_EEESZ_S10_S11_S18_S1C_S1E_T6_T7_T9_mT8_S1G_bDpT10_ENKUlT_T0_E_clISt17integral_constantIbLb1EES1U_EEDaS1P_S1Q_EUlS1P_E_NS1_11comp_targetILNS1_3genE10ELNS1_11target_archE1200ELNS1_3gpuE4ELNS1_3repE0EEENS1_30default_config_static_selectorELNS0_4arch9wavefront6targetE0EEEvS12_.has_dyn_sized_stack, 0
	.set _ZN7rocprim17ROCPRIM_400000_NS6detail17trampoline_kernelINS0_13select_configILj256ELj13ELNS0_17block_load_methodE3ELS4_3ELS4_3ELNS0_20block_scan_algorithmE0ELj4294967295EEENS1_25partition_config_selectorILNS1_17partition_subalgoE4EjNS0_10empty_typeEbEEZZNS1_14partition_implILS8_4ELb0ES6_15HIP_vector_typeIjLj2EENS0_17counting_iteratorIjlEEPS9_SG_NS0_5tupleIJPjSI_NS0_16reverse_iteratorISI_EEEEENSH_IJSG_SG_SG_EEES9_SI_JZNS1_25segmented_radix_sort_implINS0_14default_configELb0EPKsPsPKlPlN2at6native12_GLOBAL__N_18offset_tEEE10hipError_tPvRmT1_PNSt15iterator_traitsIS12_E10value_typeET2_T3_PNS13_IS18_E10value_typeET4_jRbjT5_S1E_jjP12ihipStream_tbEUljE_ZNSN_ISO_Lb0ESQ_SR_ST_SU_SY_EESZ_S10_S11_S12_S16_S17_S18_S1B_S1C_jS1D_jS1E_S1E_jjS1G_bEUljE0_EEESZ_S10_S11_S18_S1C_S1E_T6_T7_T9_mT8_S1G_bDpT10_ENKUlT_T0_E_clISt17integral_constantIbLb1EES1U_EEDaS1P_S1Q_EUlS1P_E_NS1_11comp_targetILNS1_3genE10ELNS1_11target_archE1200ELNS1_3gpuE4ELNS1_3repE0EEENS1_30default_config_static_selectorELNS0_4arch9wavefront6targetE0EEEvS12_.has_recursion, 0
	.set _ZN7rocprim17ROCPRIM_400000_NS6detail17trampoline_kernelINS0_13select_configILj256ELj13ELNS0_17block_load_methodE3ELS4_3ELS4_3ELNS0_20block_scan_algorithmE0ELj4294967295EEENS1_25partition_config_selectorILNS1_17partition_subalgoE4EjNS0_10empty_typeEbEEZZNS1_14partition_implILS8_4ELb0ES6_15HIP_vector_typeIjLj2EENS0_17counting_iteratorIjlEEPS9_SG_NS0_5tupleIJPjSI_NS0_16reverse_iteratorISI_EEEEENSH_IJSG_SG_SG_EEES9_SI_JZNS1_25segmented_radix_sort_implINS0_14default_configELb0EPKsPsPKlPlN2at6native12_GLOBAL__N_18offset_tEEE10hipError_tPvRmT1_PNSt15iterator_traitsIS12_E10value_typeET2_T3_PNS13_IS18_E10value_typeET4_jRbjT5_S1E_jjP12ihipStream_tbEUljE_ZNSN_ISO_Lb0ESQ_SR_ST_SU_SY_EESZ_S10_S11_S12_S16_S17_S18_S1B_S1C_jS1D_jS1E_S1E_jjS1G_bEUljE0_EEESZ_S10_S11_S18_S1C_S1E_T6_T7_T9_mT8_S1G_bDpT10_ENKUlT_T0_E_clISt17integral_constantIbLb1EES1U_EEDaS1P_S1Q_EUlS1P_E_NS1_11comp_targetILNS1_3genE10ELNS1_11target_archE1200ELNS1_3gpuE4ELNS1_3repE0EEENS1_30default_config_static_selectorELNS0_4arch9wavefront6targetE0EEEvS12_.has_indirect_call, 0
	.section	.AMDGPU.csdata,"",@progbits
; Kernel info:
; codeLenInByte = 0
; TotalNumSgprs: 0
; NumVgprs: 0
; ScratchSize: 0
; MemoryBound: 0
; FloatMode: 240
; IeeeMode: 1
; LDSByteSize: 0 bytes/workgroup (compile time only)
; SGPRBlocks: 0
; VGPRBlocks: 0
; NumSGPRsForWavesPerEU: 1
; NumVGPRsForWavesPerEU: 1
; Occupancy: 16
; WaveLimiterHint : 0
; COMPUTE_PGM_RSRC2:SCRATCH_EN: 0
; COMPUTE_PGM_RSRC2:USER_SGPR: 6
; COMPUTE_PGM_RSRC2:TRAP_HANDLER: 0
; COMPUTE_PGM_RSRC2:TGID_X_EN: 1
; COMPUTE_PGM_RSRC2:TGID_Y_EN: 0
; COMPUTE_PGM_RSRC2:TGID_Z_EN: 0
; COMPUTE_PGM_RSRC2:TIDIG_COMP_CNT: 0
	.section	.text._ZN7rocprim17ROCPRIM_400000_NS6detail17trampoline_kernelINS0_13select_configILj256ELj13ELNS0_17block_load_methodE3ELS4_3ELS4_3ELNS0_20block_scan_algorithmE0ELj4294967295EEENS1_25partition_config_selectorILNS1_17partition_subalgoE4EjNS0_10empty_typeEbEEZZNS1_14partition_implILS8_4ELb0ES6_15HIP_vector_typeIjLj2EENS0_17counting_iteratorIjlEEPS9_SG_NS0_5tupleIJPjSI_NS0_16reverse_iteratorISI_EEEEENSH_IJSG_SG_SG_EEES9_SI_JZNS1_25segmented_radix_sort_implINS0_14default_configELb0EPKsPsPKlPlN2at6native12_GLOBAL__N_18offset_tEEE10hipError_tPvRmT1_PNSt15iterator_traitsIS12_E10value_typeET2_T3_PNS13_IS18_E10value_typeET4_jRbjT5_S1E_jjP12ihipStream_tbEUljE_ZNSN_ISO_Lb0ESQ_SR_ST_SU_SY_EESZ_S10_S11_S12_S16_S17_S18_S1B_S1C_jS1D_jS1E_S1E_jjS1G_bEUljE0_EEESZ_S10_S11_S18_S1C_S1E_T6_T7_T9_mT8_S1G_bDpT10_ENKUlT_T0_E_clISt17integral_constantIbLb1EES1U_EEDaS1P_S1Q_EUlS1P_E_NS1_11comp_targetILNS1_3genE9ELNS1_11target_archE1100ELNS1_3gpuE3ELNS1_3repE0EEENS1_30default_config_static_selectorELNS0_4arch9wavefront6targetE0EEEvS12_,"axG",@progbits,_ZN7rocprim17ROCPRIM_400000_NS6detail17trampoline_kernelINS0_13select_configILj256ELj13ELNS0_17block_load_methodE3ELS4_3ELS4_3ELNS0_20block_scan_algorithmE0ELj4294967295EEENS1_25partition_config_selectorILNS1_17partition_subalgoE4EjNS0_10empty_typeEbEEZZNS1_14partition_implILS8_4ELb0ES6_15HIP_vector_typeIjLj2EENS0_17counting_iteratorIjlEEPS9_SG_NS0_5tupleIJPjSI_NS0_16reverse_iteratorISI_EEEEENSH_IJSG_SG_SG_EEES9_SI_JZNS1_25segmented_radix_sort_implINS0_14default_configELb0EPKsPsPKlPlN2at6native12_GLOBAL__N_18offset_tEEE10hipError_tPvRmT1_PNSt15iterator_traitsIS12_E10value_typeET2_T3_PNS13_IS18_E10value_typeET4_jRbjT5_S1E_jjP12ihipStream_tbEUljE_ZNSN_ISO_Lb0ESQ_SR_ST_SU_SY_EESZ_S10_S11_S12_S16_S17_S18_S1B_S1C_jS1D_jS1E_S1E_jjS1G_bEUljE0_EEESZ_S10_S11_S18_S1C_S1E_T6_T7_T9_mT8_S1G_bDpT10_ENKUlT_T0_E_clISt17integral_constantIbLb1EES1U_EEDaS1P_S1Q_EUlS1P_E_NS1_11comp_targetILNS1_3genE9ELNS1_11target_archE1100ELNS1_3gpuE3ELNS1_3repE0EEENS1_30default_config_static_selectorELNS0_4arch9wavefront6targetE0EEEvS12_,comdat
	.globl	_ZN7rocprim17ROCPRIM_400000_NS6detail17trampoline_kernelINS0_13select_configILj256ELj13ELNS0_17block_load_methodE3ELS4_3ELS4_3ELNS0_20block_scan_algorithmE0ELj4294967295EEENS1_25partition_config_selectorILNS1_17partition_subalgoE4EjNS0_10empty_typeEbEEZZNS1_14partition_implILS8_4ELb0ES6_15HIP_vector_typeIjLj2EENS0_17counting_iteratorIjlEEPS9_SG_NS0_5tupleIJPjSI_NS0_16reverse_iteratorISI_EEEEENSH_IJSG_SG_SG_EEES9_SI_JZNS1_25segmented_radix_sort_implINS0_14default_configELb0EPKsPsPKlPlN2at6native12_GLOBAL__N_18offset_tEEE10hipError_tPvRmT1_PNSt15iterator_traitsIS12_E10value_typeET2_T3_PNS13_IS18_E10value_typeET4_jRbjT5_S1E_jjP12ihipStream_tbEUljE_ZNSN_ISO_Lb0ESQ_SR_ST_SU_SY_EESZ_S10_S11_S12_S16_S17_S18_S1B_S1C_jS1D_jS1E_S1E_jjS1G_bEUljE0_EEESZ_S10_S11_S18_S1C_S1E_T6_T7_T9_mT8_S1G_bDpT10_ENKUlT_T0_E_clISt17integral_constantIbLb1EES1U_EEDaS1P_S1Q_EUlS1P_E_NS1_11comp_targetILNS1_3genE9ELNS1_11target_archE1100ELNS1_3gpuE3ELNS1_3repE0EEENS1_30default_config_static_selectorELNS0_4arch9wavefront6targetE0EEEvS12_ ; -- Begin function _ZN7rocprim17ROCPRIM_400000_NS6detail17trampoline_kernelINS0_13select_configILj256ELj13ELNS0_17block_load_methodE3ELS4_3ELS4_3ELNS0_20block_scan_algorithmE0ELj4294967295EEENS1_25partition_config_selectorILNS1_17partition_subalgoE4EjNS0_10empty_typeEbEEZZNS1_14partition_implILS8_4ELb0ES6_15HIP_vector_typeIjLj2EENS0_17counting_iteratorIjlEEPS9_SG_NS0_5tupleIJPjSI_NS0_16reverse_iteratorISI_EEEEENSH_IJSG_SG_SG_EEES9_SI_JZNS1_25segmented_radix_sort_implINS0_14default_configELb0EPKsPsPKlPlN2at6native12_GLOBAL__N_18offset_tEEE10hipError_tPvRmT1_PNSt15iterator_traitsIS12_E10value_typeET2_T3_PNS13_IS18_E10value_typeET4_jRbjT5_S1E_jjP12ihipStream_tbEUljE_ZNSN_ISO_Lb0ESQ_SR_ST_SU_SY_EESZ_S10_S11_S12_S16_S17_S18_S1B_S1C_jS1D_jS1E_S1E_jjS1G_bEUljE0_EEESZ_S10_S11_S18_S1C_S1E_T6_T7_T9_mT8_S1G_bDpT10_ENKUlT_T0_E_clISt17integral_constantIbLb1EES1U_EEDaS1P_S1Q_EUlS1P_E_NS1_11comp_targetILNS1_3genE9ELNS1_11target_archE1100ELNS1_3gpuE3ELNS1_3repE0EEENS1_30default_config_static_selectorELNS0_4arch9wavefront6targetE0EEEvS12_
	.p2align	8
	.type	_ZN7rocprim17ROCPRIM_400000_NS6detail17trampoline_kernelINS0_13select_configILj256ELj13ELNS0_17block_load_methodE3ELS4_3ELS4_3ELNS0_20block_scan_algorithmE0ELj4294967295EEENS1_25partition_config_selectorILNS1_17partition_subalgoE4EjNS0_10empty_typeEbEEZZNS1_14partition_implILS8_4ELb0ES6_15HIP_vector_typeIjLj2EENS0_17counting_iteratorIjlEEPS9_SG_NS0_5tupleIJPjSI_NS0_16reverse_iteratorISI_EEEEENSH_IJSG_SG_SG_EEES9_SI_JZNS1_25segmented_radix_sort_implINS0_14default_configELb0EPKsPsPKlPlN2at6native12_GLOBAL__N_18offset_tEEE10hipError_tPvRmT1_PNSt15iterator_traitsIS12_E10value_typeET2_T3_PNS13_IS18_E10value_typeET4_jRbjT5_S1E_jjP12ihipStream_tbEUljE_ZNSN_ISO_Lb0ESQ_SR_ST_SU_SY_EESZ_S10_S11_S12_S16_S17_S18_S1B_S1C_jS1D_jS1E_S1E_jjS1G_bEUljE0_EEESZ_S10_S11_S18_S1C_S1E_T6_T7_T9_mT8_S1G_bDpT10_ENKUlT_T0_E_clISt17integral_constantIbLb1EES1U_EEDaS1P_S1Q_EUlS1P_E_NS1_11comp_targetILNS1_3genE9ELNS1_11target_archE1100ELNS1_3gpuE3ELNS1_3repE0EEENS1_30default_config_static_selectorELNS0_4arch9wavefront6targetE0EEEvS12_,@function
_ZN7rocprim17ROCPRIM_400000_NS6detail17trampoline_kernelINS0_13select_configILj256ELj13ELNS0_17block_load_methodE3ELS4_3ELS4_3ELNS0_20block_scan_algorithmE0ELj4294967295EEENS1_25partition_config_selectorILNS1_17partition_subalgoE4EjNS0_10empty_typeEbEEZZNS1_14partition_implILS8_4ELb0ES6_15HIP_vector_typeIjLj2EENS0_17counting_iteratorIjlEEPS9_SG_NS0_5tupleIJPjSI_NS0_16reverse_iteratorISI_EEEEENSH_IJSG_SG_SG_EEES9_SI_JZNS1_25segmented_radix_sort_implINS0_14default_configELb0EPKsPsPKlPlN2at6native12_GLOBAL__N_18offset_tEEE10hipError_tPvRmT1_PNSt15iterator_traitsIS12_E10value_typeET2_T3_PNS13_IS18_E10value_typeET4_jRbjT5_S1E_jjP12ihipStream_tbEUljE_ZNSN_ISO_Lb0ESQ_SR_ST_SU_SY_EESZ_S10_S11_S12_S16_S17_S18_S1B_S1C_jS1D_jS1E_S1E_jjS1G_bEUljE0_EEESZ_S10_S11_S18_S1C_S1E_T6_T7_T9_mT8_S1G_bDpT10_ENKUlT_T0_E_clISt17integral_constantIbLb1EES1U_EEDaS1P_S1Q_EUlS1P_E_NS1_11comp_targetILNS1_3genE9ELNS1_11target_archE1100ELNS1_3gpuE3ELNS1_3repE0EEENS1_30default_config_static_selectorELNS0_4arch9wavefront6targetE0EEEvS12_: ; @_ZN7rocprim17ROCPRIM_400000_NS6detail17trampoline_kernelINS0_13select_configILj256ELj13ELNS0_17block_load_methodE3ELS4_3ELS4_3ELNS0_20block_scan_algorithmE0ELj4294967295EEENS1_25partition_config_selectorILNS1_17partition_subalgoE4EjNS0_10empty_typeEbEEZZNS1_14partition_implILS8_4ELb0ES6_15HIP_vector_typeIjLj2EENS0_17counting_iteratorIjlEEPS9_SG_NS0_5tupleIJPjSI_NS0_16reverse_iteratorISI_EEEEENSH_IJSG_SG_SG_EEES9_SI_JZNS1_25segmented_radix_sort_implINS0_14default_configELb0EPKsPsPKlPlN2at6native12_GLOBAL__N_18offset_tEEE10hipError_tPvRmT1_PNSt15iterator_traitsIS12_E10value_typeET2_T3_PNS13_IS18_E10value_typeET4_jRbjT5_S1E_jjP12ihipStream_tbEUljE_ZNSN_ISO_Lb0ESQ_SR_ST_SU_SY_EESZ_S10_S11_S12_S16_S17_S18_S1B_S1C_jS1D_jS1E_S1E_jjS1G_bEUljE0_EEESZ_S10_S11_S18_S1C_S1E_T6_T7_T9_mT8_S1G_bDpT10_ENKUlT_T0_E_clISt17integral_constantIbLb1EES1U_EEDaS1P_S1Q_EUlS1P_E_NS1_11comp_targetILNS1_3genE9ELNS1_11target_archE1100ELNS1_3gpuE3ELNS1_3repE0EEENS1_30default_config_static_selectorELNS0_4arch9wavefront6targetE0EEEvS12_
; %bb.0:
	.section	.rodata,"a",@progbits
	.p2align	6, 0x0
	.amdhsa_kernel _ZN7rocprim17ROCPRIM_400000_NS6detail17trampoline_kernelINS0_13select_configILj256ELj13ELNS0_17block_load_methodE3ELS4_3ELS4_3ELNS0_20block_scan_algorithmE0ELj4294967295EEENS1_25partition_config_selectorILNS1_17partition_subalgoE4EjNS0_10empty_typeEbEEZZNS1_14partition_implILS8_4ELb0ES6_15HIP_vector_typeIjLj2EENS0_17counting_iteratorIjlEEPS9_SG_NS0_5tupleIJPjSI_NS0_16reverse_iteratorISI_EEEEENSH_IJSG_SG_SG_EEES9_SI_JZNS1_25segmented_radix_sort_implINS0_14default_configELb0EPKsPsPKlPlN2at6native12_GLOBAL__N_18offset_tEEE10hipError_tPvRmT1_PNSt15iterator_traitsIS12_E10value_typeET2_T3_PNS13_IS18_E10value_typeET4_jRbjT5_S1E_jjP12ihipStream_tbEUljE_ZNSN_ISO_Lb0ESQ_SR_ST_SU_SY_EESZ_S10_S11_S12_S16_S17_S18_S1B_S1C_jS1D_jS1E_S1E_jjS1G_bEUljE0_EEESZ_S10_S11_S18_S1C_S1E_T6_T7_T9_mT8_S1G_bDpT10_ENKUlT_T0_E_clISt17integral_constantIbLb1EES1U_EEDaS1P_S1Q_EUlS1P_E_NS1_11comp_targetILNS1_3genE9ELNS1_11target_archE1100ELNS1_3gpuE3ELNS1_3repE0EEENS1_30default_config_static_selectorELNS0_4arch9wavefront6targetE0EEEvS12_
		.amdhsa_group_segment_fixed_size 0
		.amdhsa_private_segment_fixed_size 0
		.amdhsa_kernarg_size 184
		.amdhsa_user_sgpr_count 6
		.amdhsa_user_sgpr_private_segment_buffer 1
		.amdhsa_user_sgpr_dispatch_ptr 0
		.amdhsa_user_sgpr_queue_ptr 0
		.amdhsa_user_sgpr_kernarg_segment_ptr 1
		.amdhsa_user_sgpr_dispatch_id 0
		.amdhsa_user_sgpr_flat_scratch_init 0
		.amdhsa_user_sgpr_private_segment_size 0
		.amdhsa_wavefront_size32 1
		.amdhsa_uses_dynamic_stack 0
		.amdhsa_system_sgpr_private_segment_wavefront_offset 0
		.amdhsa_system_sgpr_workgroup_id_x 1
		.amdhsa_system_sgpr_workgroup_id_y 0
		.amdhsa_system_sgpr_workgroup_id_z 0
		.amdhsa_system_sgpr_workgroup_info 0
		.amdhsa_system_vgpr_workitem_id 0
		.amdhsa_next_free_vgpr 1
		.amdhsa_next_free_sgpr 1
		.amdhsa_reserve_vcc 0
		.amdhsa_reserve_flat_scratch 0
		.amdhsa_float_round_mode_32 0
		.amdhsa_float_round_mode_16_64 0
		.amdhsa_float_denorm_mode_32 3
		.amdhsa_float_denorm_mode_16_64 3
		.amdhsa_dx10_clamp 1
		.amdhsa_ieee_mode 1
		.amdhsa_fp16_overflow 0
		.amdhsa_workgroup_processor_mode 1
		.amdhsa_memory_ordered 1
		.amdhsa_forward_progress 1
		.amdhsa_shared_vgpr_count 0
		.amdhsa_exception_fp_ieee_invalid_op 0
		.amdhsa_exception_fp_denorm_src 0
		.amdhsa_exception_fp_ieee_div_zero 0
		.amdhsa_exception_fp_ieee_overflow 0
		.amdhsa_exception_fp_ieee_underflow 0
		.amdhsa_exception_fp_ieee_inexact 0
		.amdhsa_exception_int_div_zero 0
	.end_amdhsa_kernel
	.section	.text._ZN7rocprim17ROCPRIM_400000_NS6detail17trampoline_kernelINS0_13select_configILj256ELj13ELNS0_17block_load_methodE3ELS4_3ELS4_3ELNS0_20block_scan_algorithmE0ELj4294967295EEENS1_25partition_config_selectorILNS1_17partition_subalgoE4EjNS0_10empty_typeEbEEZZNS1_14partition_implILS8_4ELb0ES6_15HIP_vector_typeIjLj2EENS0_17counting_iteratorIjlEEPS9_SG_NS0_5tupleIJPjSI_NS0_16reverse_iteratorISI_EEEEENSH_IJSG_SG_SG_EEES9_SI_JZNS1_25segmented_radix_sort_implINS0_14default_configELb0EPKsPsPKlPlN2at6native12_GLOBAL__N_18offset_tEEE10hipError_tPvRmT1_PNSt15iterator_traitsIS12_E10value_typeET2_T3_PNS13_IS18_E10value_typeET4_jRbjT5_S1E_jjP12ihipStream_tbEUljE_ZNSN_ISO_Lb0ESQ_SR_ST_SU_SY_EESZ_S10_S11_S12_S16_S17_S18_S1B_S1C_jS1D_jS1E_S1E_jjS1G_bEUljE0_EEESZ_S10_S11_S18_S1C_S1E_T6_T7_T9_mT8_S1G_bDpT10_ENKUlT_T0_E_clISt17integral_constantIbLb1EES1U_EEDaS1P_S1Q_EUlS1P_E_NS1_11comp_targetILNS1_3genE9ELNS1_11target_archE1100ELNS1_3gpuE3ELNS1_3repE0EEENS1_30default_config_static_selectorELNS0_4arch9wavefront6targetE0EEEvS12_,"axG",@progbits,_ZN7rocprim17ROCPRIM_400000_NS6detail17trampoline_kernelINS0_13select_configILj256ELj13ELNS0_17block_load_methodE3ELS4_3ELS4_3ELNS0_20block_scan_algorithmE0ELj4294967295EEENS1_25partition_config_selectorILNS1_17partition_subalgoE4EjNS0_10empty_typeEbEEZZNS1_14partition_implILS8_4ELb0ES6_15HIP_vector_typeIjLj2EENS0_17counting_iteratorIjlEEPS9_SG_NS0_5tupleIJPjSI_NS0_16reverse_iteratorISI_EEEEENSH_IJSG_SG_SG_EEES9_SI_JZNS1_25segmented_radix_sort_implINS0_14default_configELb0EPKsPsPKlPlN2at6native12_GLOBAL__N_18offset_tEEE10hipError_tPvRmT1_PNSt15iterator_traitsIS12_E10value_typeET2_T3_PNS13_IS18_E10value_typeET4_jRbjT5_S1E_jjP12ihipStream_tbEUljE_ZNSN_ISO_Lb0ESQ_SR_ST_SU_SY_EESZ_S10_S11_S12_S16_S17_S18_S1B_S1C_jS1D_jS1E_S1E_jjS1G_bEUljE0_EEESZ_S10_S11_S18_S1C_S1E_T6_T7_T9_mT8_S1G_bDpT10_ENKUlT_T0_E_clISt17integral_constantIbLb1EES1U_EEDaS1P_S1Q_EUlS1P_E_NS1_11comp_targetILNS1_3genE9ELNS1_11target_archE1100ELNS1_3gpuE3ELNS1_3repE0EEENS1_30default_config_static_selectorELNS0_4arch9wavefront6targetE0EEEvS12_,comdat
.Lfunc_end957:
	.size	_ZN7rocprim17ROCPRIM_400000_NS6detail17trampoline_kernelINS0_13select_configILj256ELj13ELNS0_17block_load_methodE3ELS4_3ELS4_3ELNS0_20block_scan_algorithmE0ELj4294967295EEENS1_25partition_config_selectorILNS1_17partition_subalgoE4EjNS0_10empty_typeEbEEZZNS1_14partition_implILS8_4ELb0ES6_15HIP_vector_typeIjLj2EENS0_17counting_iteratorIjlEEPS9_SG_NS0_5tupleIJPjSI_NS0_16reverse_iteratorISI_EEEEENSH_IJSG_SG_SG_EEES9_SI_JZNS1_25segmented_radix_sort_implINS0_14default_configELb0EPKsPsPKlPlN2at6native12_GLOBAL__N_18offset_tEEE10hipError_tPvRmT1_PNSt15iterator_traitsIS12_E10value_typeET2_T3_PNS13_IS18_E10value_typeET4_jRbjT5_S1E_jjP12ihipStream_tbEUljE_ZNSN_ISO_Lb0ESQ_SR_ST_SU_SY_EESZ_S10_S11_S12_S16_S17_S18_S1B_S1C_jS1D_jS1E_S1E_jjS1G_bEUljE0_EEESZ_S10_S11_S18_S1C_S1E_T6_T7_T9_mT8_S1G_bDpT10_ENKUlT_T0_E_clISt17integral_constantIbLb1EES1U_EEDaS1P_S1Q_EUlS1P_E_NS1_11comp_targetILNS1_3genE9ELNS1_11target_archE1100ELNS1_3gpuE3ELNS1_3repE0EEENS1_30default_config_static_selectorELNS0_4arch9wavefront6targetE0EEEvS12_, .Lfunc_end957-_ZN7rocprim17ROCPRIM_400000_NS6detail17trampoline_kernelINS0_13select_configILj256ELj13ELNS0_17block_load_methodE3ELS4_3ELS4_3ELNS0_20block_scan_algorithmE0ELj4294967295EEENS1_25partition_config_selectorILNS1_17partition_subalgoE4EjNS0_10empty_typeEbEEZZNS1_14partition_implILS8_4ELb0ES6_15HIP_vector_typeIjLj2EENS0_17counting_iteratorIjlEEPS9_SG_NS0_5tupleIJPjSI_NS0_16reverse_iteratorISI_EEEEENSH_IJSG_SG_SG_EEES9_SI_JZNS1_25segmented_radix_sort_implINS0_14default_configELb0EPKsPsPKlPlN2at6native12_GLOBAL__N_18offset_tEEE10hipError_tPvRmT1_PNSt15iterator_traitsIS12_E10value_typeET2_T3_PNS13_IS18_E10value_typeET4_jRbjT5_S1E_jjP12ihipStream_tbEUljE_ZNSN_ISO_Lb0ESQ_SR_ST_SU_SY_EESZ_S10_S11_S12_S16_S17_S18_S1B_S1C_jS1D_jS1E_S1E_jjS1G_bEUljE0_EEESZ_S10_S11_S18_S1C_S1E_T6_T7_T9_mT8_S1G_bDpT10_ENKUlT_T0_E_clISt17integral_constantIbLb1EES1U_EEDaS1P_S1Q_EUlS1P_E_NS1_11comp_targetILNS1_3genE9ELNS1_11target_archE1100ELNS1_3gpuE3ELNS1_3repE0EEENS1_30default_config_static_selectorELNS0_4arch9wavefront6targetE0EEEvS12_
                                        ; -- End function
	.set _ZN7rocprim17ROCPRIM_400000_NS6detail17trampoline_kernelINS0_13select_configILj256ELj13ELNS0_17block_load_methodE3ELS4_3ELS4_3ELNS0_20block_scan_algorithmE0ELj4294967295EEENS1_25partition_config_selectorILNS1_17partition_subalgoE4EjNS0_10empty_typeEbEEZZNS1_14partition_implILS8_4ELb0ES6_15HIP_vector_typeIjLj2EENS0_17counting_iteratorIjlEEPS9_SG_NS0_5tupleIJPjSI_NS0_16reverse_iteratorISI_EEEEENSH_IJSG_SG_SG_EEES9_SI_JZNS1_25segmented_radix_sort_implINS0_14default_configELb0EPKsPsPKlPlN2at6native12_GLOBAL__N_18offset_tEEE10hipError_tPvRmT1_PNSt15iterator_traitsIS12_E10value_typeET2_T3_PNS13_IS18_E10value_typeET4_jRbjT5_S1E_jjP12ihipStream_tbEUljE_ZNSN_ISO_Lb0ESQ_SR_ST_SU_SY_EESZ_S10_S11_S12_S16_S17_S18_S1B_S1C_jS1D_jS1E_S1E_jjS1G_bEUljE0_EEESZ_S10_S11_S18_S1C_S1E_T6_T7_T9_mT8_S1G_bDpT10_ENKUlT_T0_E_clISt17integral_constantIbLb1EES1U_EEDaS1P_S1Q_EUlS1P_E_NS1_11comp_targetILNS1_3genE9ELNS1_11target_archE1100ELNS1_3gpuE3ELNS1_3repE0EEENS1_30default_config_static_selectorELNS0_4arch9wavefront6targetE0EEEvS12_.num_vgpr, 0
	.set _ZN7rocprim17ROCPRIM_400000_NS6detail17trampoline_kernelINS0_13select_configILj256ELj13ELNS0_17block_load_methodE3ELS4_3ELS4_3ELNS0_20block_scan_algorithmE0ELj4294967295EEENS1_25partition_config_selectorILNS1_17partition_subalgoE4EjNS0_10empty_typeEbEEZZNS1_14partition_implILS8_4ELb0ES6_15HIP_vector_typeIjLj2EENS0_17counting_iteratorIjlEEPS9_SG_NS0_5tupleIJPjSI_NS0_16reverse_iteratorISI_EEEEENSH_IJSG_SG_SG_EEES9_SI_JZNS1_25segmented_radix_sort_implINS0_14default_configELb0EPKsPsPKlPlN2at6native12_GLOBAL__N_18offset_tEEE10hipError_tPvRmT1_PNSt15iterator_traitsIS12_E10value_typeET2_T3_PNS13_IS18_E10value_typeET4_jRbjT5_S1E_jjP12ihipStream_tbEUljE_ZNSN_ISO_Lb0ESQ_SR_ST_SU_SY_EESZ_S10_S11_S12_S16_S17_S18_S1B_S1C_jS1D_jS1E_S1E_jjS1G_bEUljE0_EEESZ_S10_S11_S18_S1C_S1E_T6_T7_T9_mT8_S1G_bDpT10_ENKUlT_T0_E_clISt17integral_constantIbLb1EES1U_EEDaS1P_S1Q_EUlS1P_E_NS1_11comp_targetILNS1_3genE9ELNS1_11target_archE1100ELNS1_3gpuE3ELNS1_3repE0EEENS1_30default_config_static_selectorELNS0_4arch9wavefront6targetE0EEEvS12_.num_agpr, 0
	.set _ZN7rocprim17ROCPRIM_400000_NS6detail17trampoline_kernelINS0_13select_configILj256ELj13ELNS0_17block_load_methodE3ELS4_3ELS4_3ELNS0_20block_scan_algorithmE0ELj4294967295EEENS1_25partition_config_selectorILNS1_17partition_subalgoE4EjNS0_10empty_typeEbEEZZNS1_14partition_implILS8_4ELb0ES6_15HIP_vector_typeIjLj2EENS0_17counting_iteratorIjlEEPS9_SG_NS0_5tupleIJPjSI_NS0_16reverse_iteratorISI_EEEEENSH_IJSG_SG_SG_EEES9_SI_JZNS1_25segmented_radix_sort_implINS0_14default_configELb0EPKsPsPKlPlN2at6native12_GLOBAL__N_18offset_tEEE10hipError_tPvRmT1_PNSt15iterator_traitsIS12_E10value_typeET2_T3_PNS13_IS18_E10value_typeET4_jRbjT5_S1E_jjP12ihipStream_tbEUljE_ZNSN_ISO_Lb0ESQ_SR_ST_SU_SY_EESZ_S10_S11_S12_S16_S17_S18_S1B_S1C_jS1D_jS1E_S1E_jjS1G_bEUljE0_EEESZ_S10_S11_S18_S1C_S1E_T6_T7_T9_mT8_S1G_bDpT10_ENKUlT_T0_E_clISt17integral_constantIbLb1EES1U_EEDaS1P_S1Q_EUlS1P_E_NS1_11comp_targetILNS1_3genE9ELNS1_11target_archE1100ELNS1_3gpuE3ELNS1_3repE0EEENS1_30default_config_static_selectorELNS0_4arch9wavefront6targetE0EEEvS12_.numbered_sgpr, 0
	.set _ZN7rocprim17ROCPRIM_400000_NS6detail17trampoline_kernelINS0_13select_configILj256ELj13ELNS0_17block_load_methodE3ELS4_3ELS4_3ELNS0_20block_scan_algorithmE0ELj4294967295EEENS1_25partition_config_selectorILNS1_17partition_subalgoE4EjNS0_10empty_typeEbEEZZNS1_14partition_implILS8_4ELb0ES6_15HIP_vector_typeIjLj2EENS0_17counting_iteratorIjlEEPS9_SG_NS0_5tupleIJPjSI_NS0_16reverse_iteratorISI_EEEEENSH_IJSG_SG_SG_EEES9_SI_JZNS1_25segmented_radix_sort_implINS0_14default_configELb0EPKsPsPKlPlN2at6native12_GLOBAL__N_18offset_tEEE10hipError_tPvRmT1_PNSt15iterator_traitsIS12_E10value_typeET2_T3_PNS13_IS18_E10value_typeET4_jRbjT5_S1E_jjP12ihipStream_tbEUljE_ZNSN_ISO_Lb0ESQ_SR_ST_SU_SY_EESZ_S10_S11_S12_S16_S17_S18_S1B_S1C_jS1D_jS1E_S1E_jjS1G_bEUljE0_EEESZ_S10_S11_S18_S1C_S1E_T6_T7_T9_mT8_S1G_bDpT10_ENKUlT_T0_E_clISt17integral_constantIbLb1EES1U_EEDaS1P_S1Q_EUlS1P_E_NS1_11comp_targetILNS1_3genE9ELNS1_11target_archE1100ELNS1_3gpuE3ELNS1_3repE0EEENS1_30default_config_static_selectorELNS0_4arch9wavefront6targetE0EEEvS12_.num_named_barrier, 0
	.set _ZN7rocprim17ROCPRIM_400000_NS6detail17trampoline_kernelINS0_13select_configILj256ELj13ELNS0_17block_load_methodE3ELS4_3ELS4_3ELNS0_20block_scan_algorithmE0ELj4294967295EEENS1_25partition_config_selectorILNS1_17partition_subalgoE4EjNS0_10empty_typeEbEEZZNS1_14partition_implILS8_4ELb0ES6_15HIP_vector_typeIjLj2EENS0_17counting_iteratorIjlEEPS9_SG_NS0_5tupleIJPjSI_NS0_16reverse_iteratorISI_EEEEENSH_IJSG_SG_SG_EEES9_SI_JZNS1_25segmented_radix_sort_implINS0_14default_configELb0EPKsPsPKlPlN2at6native12_GLOBAL__N_18offset_tEEE10hipError_tPvRmT1_PNSt15iterator_traitsIS12_E10value_typeET2_T3_PNS13_IS18_E10value_typeET4_jRbjT5_S1E_jjP12ihipStream_tbEUljE_ZNSN_ISO_Lb0ESQ_SR_ST_SU_SY_EESZ_S10_S11_S12_S16_S17_S18_S1B_S1C_jS1D_jS1E_S1E_jjS1G_bEUljE0_EEESZ_S10_S11_S18_S1C_S1E_T6_T7_T9_mT8_S1G_bDpT10_ENKUlT_T0_E_clISt17integral_constantIbLb1EES1U_EEDaS1P_S1Q_EUlS1P_E_NS1_11comp_targetILNS1_3genE9ELNS1_11target_archE1100ELNS1_3gpuE3ELNS1_3repE0EEENS1_30default_config_static_selectorELNS0_4arch9wavefront6targetE0EEEvS12_.private_seg_size, 0
	.set _ZN7rocprim17ROCPRIM_400000_NS6detail17trampoline_kernelINS0_13select_configILj256ELj13ELNS0_17block_load_methodE3ELS4_3ELS4_3ELNS0_20block_scan_algorithmE0ELj4294967295EEENS1_25partition_config_selectorILNS1_17partition_subalgoE4EjNS0_10empty_typeEbEEZZNS1_14partition_implILS8_4ELb0ES6_15HIP_vector_typeIjLj2EENS0_17counting_iteratorIjlEEPS9_SG_NS0_5tupleIJPjSI_NS0_16reverse_iteratorISI_EEEEENSH_IJSG_SG_SG_EEES9_SI_JZNS1_25segmented_radix_sort_implINS0_14default_configELb0EPKsPsPKlPlN2at6native12_GLOBAL__N_18offset_tEEE10hipError_tPvRmT1_PNSt15iterator_traitsIS12_E10value_typeET2_T3_PNS13_IS18_E10value_typeET4_jRbjT5_S1E_jjP12ihipStream_tbEUljE_ZNSN_ISO_Lb0ESQ_SR_ST_SU_SY_EESZ_S10_S11_S12_S16_S17_S18_S1B_S1C_jS1D_jS1E_S1E_jjS1G_bEUljE0_EEESZ_S10_S11_S18_S1C_S1E_T6_T7_T9_mT8_S1G_bDpT10_ENKUlT_T0_E_clISt17integral_constantIbLb1EES1U_EEDaS1P_S1Q_EUlS1P_E_NS1_11comp_targetILNS1_3genE9ELNS1_11target_archE1100ELNS1_3gpuE3ELNS1_3repE0EEENS1_30default_config_static_selectorELNS0_4arch9wavefront6targetE0EEEvS12_.uses_vcc, 0
	.set _ZN7rocprim17ROCPRIM_400000_NS6detail17trampoline_kernelINS0_13select_configILj256ELj13ELNS0_17block_load_methodE3ELS4_3ELS4_3ELNS0_20block_scan_algorithmE0ELj4294967295EEENS1_25partition_config_selectorILNS1_17partition_subalgoE4EjNS0_10empty_typeEbEEZZNS1_14partition_implILS8_4ELb0ES6_15HIP_vector_typeIjLj2EENS0_17counting_iteratorIjlEEPS9_SG_NS0_5tupleIJPjSI_NS0_16reverse_iteratorISI_EEEEENSH_IJSG_SG_SG_EEES9_SI_JZNS1_25segmented_radix_sort_implINS0_14default_configELb0EPKsPsPKlPlN2at6native12_GLOBAL__N_18offset_tEEE10hipError_tPvRmT1_PNSt15iterator_traitsIS12_E10value_typeET2_T3_PNS13_IS18_E10value_typeET4_jRbjT5_S1E_jjP12ihipStream_tbEUljE_ZNSN_ISO_Lb0ESQ_SR_ST_SU_SY_EESZ_S10_S11_S12_S16_S17_S18_S1B_S1C_jS1D_jS1E_S1E_jjS1G_bEUljE0_EEESZ_S10_S11_S18_S1C_S1E_T6_T7_T9_mT8_S1G_bDpT10_ENKUlT_T0_E_clISt17integral_constantIbLb1EES1U_EEDaS1P_S1Q_EUlS1P_E_NS1_11comp_targetILNS1_3genE9ELNS1_11target_archE1100ELNS1_3gpuE3ELNS1_3repE0EEENS1_30default_config_static_selectorELNS0_4arch9wavefront6targetE0EEEvS12_.uses_flat_scratch, 0
	.set _ZN7rocprim17ROCPRIM_400000_NS6detail17trampoline_kernelINS0_13select_configILj256ELj13ELNS0_17block_load_methodE3ELS4_3ELS4_3ELNS0_20block_scan_algorithmE0ELj4294967295EEENS1_25partition_config_selectorILNS1_17partition_subalgoE4EjNS0_10empty_typeEbEEZZNS1_14partition_implILS8_4ELb0ES6_15HIP_vector_typeIjLj2EENS0_17counting_iteratorIjlEEPS9_SG_NS0_5tupleIJPjSI_NS0_16reverse_iteratorISI_EEEEENSH_IJSG_SG_SG_EEES9_SI_JZNS1_25segmented_radix_sort_implINS0_14default_configELb0EPKsPsPKlPlN2at6native12_GLOBAL__N_18offset_tEEE10hipError_tPvRmT1_PNSt15iterator_traitsIS12_E10value_typeET2_T3_PNS13_IS18_E10value_typeET4_jRbjT5_S1E_jjP12ihipStream_tbEUljE_ZNSN_ISO_Lb0ESQ_SR_ST_SU_SY_EESZ_S10_S11_S12_S16_S17_S18_S1B_S1C_jS1D_jS1E_S1E_jjS1G_bEUljE0_EEESZ_S10_S11_S18_S1C_S1E_T6_T7_T9_mT8_S1G_bDpT10_ENKUlT_T0_E_clISt17integral_constantIbLb1EES1U_EEDaS1P_S1Q_EUlS1P_E_NS1_11comp_targetILNS1_3genE9ELNS1_11target_archE1100ELNS1_3gpuE3ELNS1_3repE0EEENS1_30default_config_static_selectorELNS0_4arch9wavefront6targetE0EEEvS12_.has_dyn_sized_stack, 0
	.set _ZN7rocprim17ROCPRIM_400000_NS6detail17trampoline_kernelINS0_13select_configILj256ELj13ELNS0_17block_load_methodE3ELS4_3ELS4_3ELNS0_20block_scan_algorithmE0ELj4294967295EEENS1_25partition_config_selectorILNS1_17partition_subalgoE4EjNS0_10empty_typeEbEEZZNS1_14partition_implILS8_4ELb0ES6_15HIP_vector_typeIjLj2EENS0_17counting_iteratorIjlEEPS9_SG_NS0_5tupleIJPjSI_NS0_16reverse_iteratorISI_EEEEENSH_IJSG_SG_SG_EEES9_SI_JZNS1_25segmented_radix_sort_implINS0_14default_configELb0EPKsPsPKlPlN2at6native12_GLOBAL__N_18offset_tEEE10hipError_tPvRmT1_PNSt15iterator_traitsIS12_E10value_typeET2_T3_PNS13_IS18_E10value_typeET4_jRbjT5_S1E_jjP12ihipStream_tbEUljE_ZNSN_ISO_Lb0ESQ_SR_ST_SU_SY_EESZ_S10_S11_S12_S16_S17_S18_S1B_S1C_jS1D_jS1E_S1E_jjS1G_bEUljE0_EEESZ_S10_S11_S18_S1C_S1E_T6_T7_T9_mT8_S1G_bDpT10_ENKUlT_T0_E_clISt17integral_constantIbLb1EES1U_EEDaS1P_S1Q_EUlS1P_E_NS1_11comp_targetILNS1_3genE9ELNS1_11target_archE1100ELNS1_3gpuE3ELNS1_3repE0EEENS1_30default_config_static_selectorELNS0_4arch9wavefront6targetE0EEEvS12_.has_recursion, 0
	.set _ZN7rocprim17ROCPRIM_400000_NS6detail17trampoline_kernelINS0_13select_configILj256ELj13ELNS0_17block_load_methodE3ELS4_3ELS4_3ELNS0_20block_scan_algorithmE0ELj4294967295EEENS1_25partition_config_selectorILNS1_17partition_subalgoE4EjNS0_10empty_typeEbEEZZNS1_14partition_implILS8_4ELb0ES6_15HIP_vector_typeIjLj2EENS0_17counting_iteratorIjlEEPS9_SG_NS0_5tupleIJPjSI_NS0_16reverse_iteratorISI_EEEEENSH_IJSG_SG_SG_EEES9_SI_JZNS1_25segmented_radix_sort_implINS0_14default_configELb0EPKsPsPKlPlN2at6native12_GLOBAL__N_18offset_tEEE10hipError_tPvRmT1_PNSt15iterator_traitsIS12_E10value_typeET2_T3_PNS13_IS18_E10value_typeET4_jRbjT5_S1E_jjP12ihipStream_tbEUljE_ZNSN_ISO_Lb0ESQ_SR_ST_SU_SY_EESZ_S10_S11_S12_S16_S17_S18_S1B_S1C_jS1D_jS1E_S1E_jjS1G_bEUljE0_EEESZ_S10_S11_S18_S1C_S1E_T6_T7_T9_mT8_S1G_bDpT10_ENKUlT_T0_E_clISt17integral_constantIbLb1EES1U_EEDaS1P_S1Q_EUlS1P_E_NS1_11comp_targetILNS1_3genE9ELNS1_11target_archE1100ELNS1_3gpuE3ELNS1_3repE0EEENS1_30default_config_static_selectorELNS0_4arch9wavefront6targetE0EEEvS12_.has_indirect_call, 0
	.section	.AMDGPU.csdata,"",@progbits
; Kernel info:
; codeLenInByte = 0
; TotalNumSgprs: 0
; NumVgprs: 0
; ScratchSize: 0
; MemoryBound: 0
; FloatMode: 240
; IeeeMode: 1
; LDSByteSize: 0 bytes/workgroup (compile time only)
; SGPRBlocks: 0
; VGPRBlocks: 0
; NumSGPRsForWavesPerEU: 1
; NumVGPRsForWavesPerEU: 1
; Occupancy: 16
; WaveLimiterHint : 0
; COMPUTE_PGM_RSRC2:SCRATCH_EN: 0
; COMPUTE_PGM_RSRC2:USER_SGPR: 6
; COMPUTE_PGM_RSRC2:TRAP_HANDLER: 0
; COMPUTE_PGM_RSRC2:TGID_X_EN: 1
; COMPUTE_PGM_RSRC2:TGID_Y_EN: 0
; COMPUTE_PGM_RSRC2:TGID_Z_EN: 0
; COMPUTE_PGM_RSRC2:TIDIG_COMP_CNT: 0
	.section	.text._ZN7rocprim17ROCPRIM_400000_NS6detail17trampoline_kernelINS0_13select_configILj256ELj13ELNS0_17block_load_methodE3ELS4_3ELS4_3ELNS0_20block_scan_algorithmE0ELj4294967295EEENS1_25partition_config_selectorILNS1_17partition_subalgoE4EjNS0_10empty_typeEbEEZZNS1_14partition_implILS8_4ELb0ES6_15HIP_vector_typeIjLj2EENS0_17counting_iteratorIjlEEPS9_SG_NS0_5tupleIJPjSI_NS0_16reverse_iteratorISI_EEEEENSH_IJSG_SG_SG_EEES9_SI_JZNS1_25segmented_radix_sort_implINS0_14default_configELb0EPKsPsPKlPlN2at6native12_GLOBAL__N_18offset_tEEE10hipError_tPvRmT1_PNSt15iterator_traitsIS12_E10value_typeET2_T3_PNS13_IS18_E10value_typeET4_jRbjT5_S1E_jjP12ihipStream_tbEUljE_ZNSN_ISO_Lb0ESQ_SR_ST_SU_SY_EESZ_S10_S11_S12_S16_S17_S18_S1B_S1C_jS1D_jS1E_S1E_jjS1G_bEUljE0_EEESZ_S10_S11_S18_S1C_S1E_T6_T7_T9_mT8_S1G_bDpT10_ENKUlT_T0_E_clISt17integral_constantIbLb1EES1U_EEDaS1P_S1Q_EUlS1P_E_NS1_11comp_targetILNS1_3genE8ELNS1_11target_archE1030ELNS1_3gpuE2ELNS1_3repE0EEENS1_30default_config_static_selectorELNS0_4arch9wavefront6targetE0EEEvS12_,"axG",@progbits,_ZN7rocprim17ROCPRIM_400000_NS6detail17trampoline_kernelINS0_13select_configILj256ELj13ELNS0_17block_load_methodE3ELS4_3ELS4_3ELNS0_20block_scan_algorithmE0ELj4294967295EEENS1_25partition_config_selectorILNS1_17partition_subalgoE4EjNS0_10empty_typeEbEEZZNS1_14partition_implILS8_4ELb0ES6_15HIP_vector_typeIjLj2EENS0_17counting_iteratorIjlEEPS9_SG_NS0_5tupleIJPjSI_NS0_16reverse_iteratorISI_EEEEENSH_IJSG_SG_SG_EEES9_SI_JZNS1_25segmented_radix_sort_implINS0_14default_configELb0EPKsPsPKlPlN2at6native12_GLOBAL__N_18offset_tEEE10hipError_tPvRmT1_PNSt15iterator_traitsIS12_E10value_typeET2_T3_PNS13_IS18_E10value_typeET4_jRbjT5_S1E_jjP12ihipStream_tbEUljE_ZNSN_ISO_Lb0ESQ_SR_ST_SU_SY_EESZ_S10_S11_S12_S16_S17_S18_S1B_S1C_jS1D_jS1E_S1E_jjS1G_bEUljE0_EEESZ_S10_S11_S18_S1C_S1E_T6_T7_T9_mT8_S1G_bDpT10_ENKUlT_T0_E_clISt17integral_constantIbLb1EES1U_EEDaS1P_S1Q_EUlS1P_E_NS1_11comp_targetILNS1_3genE8ELNS1_11target_archE1030ELNS1_3gpuE2ELNS1_3repE0EEENS1_30default_config_static_selectorELNS0_4arch9wavefront6targetE0EEEvS12_,comdat
	.globl	_ZN7rocprim17ROCPRIM_400000_NS6detail17trampoline_kernelINS0_13select_configILj256ELj13ELNS0_17block_load_methodE3ELS4_3ELS4_3ELNS0_20block_scan_algorithmE0ELj4294967295EEENS1_25partition_config_selectorILNS1_17partition_subalgoE4EjNS0_10empty_typeEbEEZZNS1_14partition_implILS8_4ELb0ES6_15HIP_vector_typeIjLj2EENS0_17counting_iteratorIjlEEPS9_SG_NS0_5tupleIJPjSI_NS0_16reverse_iteratorISI_EEEEENSH_IJSG_SG_SG_EEES9_SI_JZNS1_25segmented_radix_sort_implINS0_14default_configELb0EPKsPsPKlPlN2at6native12_GLOBAL__N_18offset_tEEE10hipError_tPvRmT1_PNSt15iterator_traitsIS12_E10value_typeET2_T3_PNS13_IS18_E10value_typeET4_jRbjT5_S1E_jjP12ihipStream_tbEUljE_ZNSN_ISO_Lb0ESQ_SR_ST_SU_SY_EESZ_S10_S11_S12_S16_S17_S18_S1B_S1C_jS1D_jS1E_S1E_jjS1G_bEUljE0_EEESZ_S10_S11_S18_S1C_S1E_T6_T7_T9_mT8_S1G_bDpT10_ENKUlT_T0_E_clISt17integral_constantIbLb1EES1U_EEDaS1P_S1Q_EUlS1P_E_NS1_11comp_targetILNS1_3genE8ELNS1_11target_archE1030ELNS1_3gpuE2ELNS1_3repE0EEENS1_30default_config_static_selectorELNS0_4arch9wavefront6targetE0EEEvS12_ ; -- Begin function _ZN7rocprim17ROCPRIM_400000_NS6detail17trampoline_kernelINS0_13select_configILj256ELj13ELNS0_17block_load_methodE3ELS4_3ELS4_3ELNS0_20block_scan_algorithmE0ELj4294967295EEENS1_25partition_config_selectorILNS1_17partition_subalgoE4EjNS0_10empty_typeEbEEZZNS1_14partition_implILS8_4ELb0ES6_15HIP_vector_typeIjLj2EENS0_17counting_iteratorIjlEEPS9_SG_NS0_5tupleIJPjSI_NS0_16reverse_iteratorISI_EEEEENSH_IJSG_SG_SG_EEES9_SI_JZNS1_25segmented_radix_sort_implINS0_14default_configELb0EPKsPsPKlPlN2at6native12_GLOBAL__N_18offset_tEEE10hipError_tPvRmT1_PNSt15iterator_traitsIS12_E10value_typeET2_T3_PNS13_IS18_E10value_typeET4_jRbjT5_S1E_jjP12ihipStream_tbEUljE_ZNSN_ISO_Lb0ESQ_SR_ST_SU_SY_EESZ_S10_S11_S12_S16_S17_S18_S1B_S1C_jS1D_jS1E_S1E_jjS1G_bEUljE0_EEESZ_S10_S11_S18_S1C_S1E_T6_T7_T9_mT8_S1G_bDpT10_ENKUlT_T0_E_clISt17integral_constantIbLb1EES1U_EEDaS1P_S1Q_EUlS1P_E_NS1_11comp_targetILNS1_3genE8ELNS1_11target_archE1030ELNS1_3gpuE2ELNS1_3repE0EEENS1_30default_config_static_selectorELNS0_4arch9wavefront6targetE0EEEvS12_
	.p2align	8
	.type	_ZN7rocprim17ROCPRIM_400000_NS6detail17trampoline_kernelINS0_13select_configILj256ELj13ELNS0_17block_load_methodE3ELS4_3ELS4_3ELNS0_20block_scan_algorithmE0ELj4294967295EEENS1_25partition_config_selectorILNS1_17partition_subalgoE4EjNS0_10empty_typeEbEEZZNS1_14partition_implILS8_4ELb0ES6_15HIP_vector_typeIjLj2EENS0_17counting_iteratorIjlEEPS9_SG_NS0_5tupleIJPjSI_NS0_16reverse_iteratorISI_EEEEENSH_IJSG_SG_SG_EEES9_SI_JZNS1_25segmented_radix_sort_implINS0_14default_configELb0EPKsPsPKlPlN2at6native12_GLOBAL__N_18offset_tEEE10hipError_tPvRmT1_PNSt15iterator_traitsIS12_E10value_typeET2_T3_PNS13_IS18_E10value_typeET4_jRbjT5_S1E_jjP12ihipStream_tbEUljE_ZNSN_ISO_Lb0ESQ_SR_ST_SU_SY_EESZ_S10_S11_S12_S16_S17_S18_S1B_S1C_jS1D_jS1E_S1E_jjS1G_bEUljE0_EEESZ_S10_S11_S18_S1C_S1E_T6_T7_T9_mT8_S1G_bDpT10_ENKUlT_T0_E_clISt17integral_constantIbLb1EES1U_EEDaS1P_S1Q_EUlS1P_E_NS1_11comp_targetILNS1_3genE8ELNS1_11target_archE1030ELNS1_3gpuE2ELNS1_3repE0EEENS1_30default_config_static_selectorELNS0_4arch9wavefront6targetE0EEEvS12_,@function
_ZN7rocprim17ROCPRIM_400000_NS6detail17trampoline_kernelINS0_13select_configILj256ELj13ELNS0_17block_load_methodE3ELS4_3ELS4_3ELNS0_20block_scan_algorithmE0ELj4294967295EEENS1_25partition_config_selectorILNS1_17partition_subalgoE4EjNS0_10empty_typeEbEEZZNS1_14partition_implILS8_4ELb0ES6_15HIP_vector_typeIjLj2EENS0_17counting_iteratorIjlEEPS9_SG_NS0_5tupleIJPjSI_NS0_16reverse_iteratorISI_EEEEENSH_IJSG_SG_SG_EEES9_SI_JZNS1_25segmented_radix_sort_implINS0_14default_configELb0EPKsPsPKlPlN2at6native12_GLOBAL__N_18offset_tEEE10hipError_tPvRmT1_PNSt15iterator_traitsIS12_E10value_typeET2_T3_PNS13_IS18_E10value_typeET4_jRbjT5_S1E_jjP12ihipStream_tbEUljE_ZNSN_ISO_Lb0ESQ_SR_ST_SU_SY_EESZ_S10_S11_S12_S16_S17_S18_S1B_S1C_jS1D_jS1E_S1E_jjS1G_bEUljE0_EEESZ_S10_S11_S18_S1C_S1E_T6_T7_T9_mT8_S1G_bDpT10_ENKUlT_T0_E_clISt17integral_constantIbLb1EES1U_EEDaS1P_S1Q_EUlS1P_E_NS1_11comp_targetILNS1_3genE8ELNS1_11target_archE1030ELNS1_3gpuE2ELNS1_3repE0EEENS1_30default_config_static_selectorELNS0_4arch9wavefront6targetE0EEEvS12_: ; @_ZN7rocprim17ROCPRIM_400000_NS6detail17trampoline_kernelINS0_13select_configILj256ELj13ELNS0_17block_load_methodE3ELS4_3ELS4_3ELNS0_20block_scan_algorithmE0ELj4294967295EEENS1_25partition_config_selectorILNS1_17partition_subalgoE4EjNS0_10empty_typeEbEEZZNS1_14partition_implILS8_4ELb0ES6_15HIP_vector_typeIjLj2EENS0_17counting_iteratorIjlEEPS9_SG_NS0_5tupleIJPjSI_NS0_16reverse_iteratorISI_EEEEENSH_IJSG_SG_SG_EEES9_SI_JZNS1_25segmented_radix_sort_implINS0_14default_configELb0EPKsPsPKlPlN2at6native12_GLOBAL__N_18offset_tEEE10hipError_tPvRmT1_PNSt15iterator_traitsIS12_E10value_typeET2_T3_PNS13_IS18_E10value_typeET4_jRbjT5_S1E_jjP12ihipStream_tbEUljE_ZNSN_ISO_Lb0ESQ_SR_ST_SU_SY_EESZ_S10_S11_S12_S16_S17_S18_S1B_S1C_jS1D_jS1E_S1E_jjS1G_bEUljE0_EEESZ_S10_S11_S18_S1C_S1E_T6_T7_T9_mT8_S1G_bDpT10_ENKUlT_T0_E_clISt17integral_constantIbLb1EES1U_EEDaS1P_S1Q_EUlS1P_E_NS1_11comp_targetILNS1_3genE8ELNS1_11target_archE1030ELNS1_3gpuE2ELNS1_3repE0EEENS1_30default_config_static_selectorELNS0_4arch9wavefront6targetE0EEEvS12_
; %bb.0:
	s_endpgm
	.section	.rodata,"a",@progbits
	.p2align	6, 0x0
	.amdhsa_kernel _ZN7rocprim17ROCPRIM_400000_NS6detail17trampoline_kernelINS0_13select_configILj256ELj13ELNS0_17block_load_methodE3ELS4_3ELS4_3ELNS0_20block_scan_algorithmE0ELj4294967295EEENS1_25partition_config_selectorILNS1_17partition_subalgoE4EjNS0_10empty_typeEbEEZZNS1_14partition_implILS8_4ELb0ES6_15HIP_vector_typeIjLj2EENS0_17counting_iteratorIjlEEPS9_SG_NS0_5tupleIJPjSI_NS0_16reverse_iteratorISI_EEEEENSH_IJSG_SG_SG_EEES9_SI_JZNS1_25segmented_radix_sort_implINS0_14default_configELb0EPKsPsPKlPlN2at6native12_GLOBAL__N_18offset_tEEE10hipError_tPvRmT1_PNSt15iterator_traitsIS12_E10value_typeET2_T3_PNS13_IS18_E10value_typeET4_jRbjT5_S1E_jjP12ihipStream_tbEUljE_ZNSN_ISO_Lb0ESQ_SR_ST_SU_SY_EESZ_S10_S11_S12_S16_S17_S18_S1B_S1C_jS1D_jS1E_S1E_jjS1G_bEUljE0_EEESZ_S10_S11_S18_S1C_S1E_T6_T7_T9_mT8_S1G_bDpT10_ENKUlT_T0_E_clISt17integral_constantIbLb1EES1U_EEDaS1P_S1Q_EUlS1P_E_NS1_11comp_targetILNS1_3genE8ELNS1_11target_archE1030ELNS1_3gpuE2ELNS1_3repE0EEENS1_30default_config_static_selectorELNS0_4arch9wavefront6targetE0EEEvS12_
		.amdhsa_group_segment_fixed_size 0
		.amdhsa_private_segment_fixed_size 0
		.amdhsa_kernarg_size 184
		.amdhsa_user_sgpr_count 6
		.amdhsa_user_sgpr_private_segment_buffer 1
		.amdhsa_user_sgpr_dispatch_ptr 0
		.amdhsa_user_sgpr_queue_ptr 0
		.amdhsa_user_sgpr_kernarg_segment_ptr 1
		.amdhsa_user_sgpr_dispatch_id 0
		.amdhsa_user_sgpr_flat_scratch_init 0
		.amdhsa_user_sgpr_private_segment_size 0
		.amdhsa_wavefront_size32 1
		.amdhsa_uses_dynamic_stack 0
		.amdhsa_system_sgpr_private_segment_wavefront_offset 0
		.amdhsa_system_sgpr_workgroup_id_x 1
		.amdhsa_system_sgpr_workgroup_id_y 0
		.amdhsa_system_sgpr_workgroup_id_z 0
		.amdhsa_system_sgpr_workgroup_info 0
		.amdhsa_system_vgpr_workitem_id 0
		.amdhsa_next_free_vgpr 1
		.amdhsa_next_free_sgpr 1
		.amdhsa_reserve_vcc 0
		.amdhsa_reserve_flat_scratch 0
		.amdhsa_float_round_mode_32 0
		.amdhsa_float_round_mode_16_64 0
		.amdhsa_float_denorm_mode_32 3
		.amdhsa_float_denorm_mode_16_64 3
		.amdhsa_dx10_clamp 1
		.amdhsa_ieee_mode 1
		.amdhsa_fp16_overflow 0
		.amdhsa_workgroup_processor_mode 1
		.amdhsa_memory_ordered 1
		.amdhsa_forward_progress 1
		.amdhsa_shared_vgpr_count 0
		.amdhsa_exception_fp_ieee_invalid_op 0
		.amdhsa_exception_fp_denorm_src 0
		.amdhsa_exception_fp_ieee_div_zero 0
		.amdhsa_exception_fp_ieee_overflow 0
		.amdhsa_exception_fp_ieee_underflow 0
		.amdhsa_exception_fp_ieee_inexact 0
		.amdhsa_exception_int_div_zero 0
	.end_amdhsa_kernel
	.section	.text._ZN7rocprim17ROCPRIM_400000_NS6detail17trampoline_kernelINS0_13select_configILj256ELj13ELNS0_17block_load_methodE3ELS4_3ELS4_3ELNS0_20block_scan_algorithmE0ELj4294967295EEENS1_25partition_config_selectorILNS1_17partition_subalgoE4EjNS0_10empty_typeEbEEZZNS1_14partition_implILS8_4ELb0ES6_15HIP_vector_typeIjLj2EENS0_17counting_iteratorIjlEEPS9_SG_NS0_5tupleIJPjSI_NS0_16reverse_iteratorISI_EEEEENSH_IJSG_SG_SG_EEES9_SI_JZNS1_25segmented_radix_sort_implINS0_14default_configELb0EPKsPsPKlPlN2at6native12_GLOBAL__N_18offset_tEEE10hipError_tPvRmT1_PNSt15iterator_traitsIS12_E10value_typeET2_T3_PNS13_IS18_E10value_typeET4_jRbjT5_S1E_jjP12ihipStream_tbEUljE_ZNSN_ISO_Lb0ESQ_SR_ST_SU_SY_EESZ_S10_S11_S12_S16_S17_S18_S1B_S1C_jS1D_jS1E_S1E_jjS1G_bEUljE0_EEESZ_S10_S11_S18_S1C_S1E_T6_T7_T9_mT8_S1G_bDpT10_ENKUlT_T0_E_clISt17integral_constantIbLb1EES1U_EEDaS1P_S1Q_EUlS1P_E_NS1_11comp_targetILNS1_3genE8ELNS1_11target_archE1030ELNS1_3gpuE2ELNS1_3repE0EEENS1_30default_config_static_selectorELNS0_4arch9wavefront6targetE0EEEvS12_,"axG",@progbits,_ZN7rocprim17ROCPRIM_400000_NS6detail17trampoline_kernelINS0_13select_configILj256ELj13ELNS0_17block_load_methodE3ELS4_3ELS4_3ELNS0_20block_scan_algorithmE0ELj4294967295EEENS1_25partition_config_selectorILNS1_17partition_subalgoE4EjNS0_10empty_typeEbEEZZNS1_14partition_implILS8_4ELb0ES6_15HIP_vector_typeIjLj2EENS0_17counting_iteratorIjlEEPS9_SG_NS0_5tupleIJPjSI_NS0_16reverse_iteratorISI_EEEEENSH_IJSG_SG_SG_EEES9_SI_JZNS1_25segmented_radix_sort_implINS0_14default_configELb0EPKsPsPKlPlN2at6native12_GLOBAL__N_18offset_tEEE10hipError_tPvRmT1_PNSt15iterator_traitsIS12_E10value_typeET2_T3_PNS13_IS18_E10value_typeET4_jRbjT5_S1E_jjP12ihipStream_tbEUljE_ZNSN_ISO_Lb0ESQ_SR_ST_SU_SY_EESZ_S10_S11_S12_S16_S17_S18_S1B_S1C_jS1D_jS1E_S1E_jjS1G_bEUljE0_EEESZ_S10_S11_S18_S1C_S1E_T6_T7_T9_mT8_S1G_bDpT10_ENKUlT_T0_E_clISt17integral_constantIbLb1EES1U_EEDaS1P_S1Q_EUlS1P_E_NS1_11comp_targetILNS1_3genE8ELNS1_11target_archE1030ELNS1_3gpuE2ELNS1_3repE0EEENS1_30default_config_static_selectorELNS0_4arch9wavefront6targetE0EEEvS12_,comdat
.Lfunc_end958:
	.size	_ZN7rocprim17ROCPRIM_400000_NS6detail17trampoline_kernelINS0_13select_configILj256ELj13ELNS0_17block_load_methodE3ELS4_3ELS4_3ELNS0_20block_scan_algorithmE0ELj4294967295EEENS1_25partition_config_selectorILNS1_17partition_subalgoE4EjNS0_10empty_typeEbEEZZNS1_14partition_implILS8_4ELb0ES6_15HIP_vector_typeIjLj2EENS0_17counting_iteratorIjlEEPS9_SG_NS0_5tupleIJPjSI_NS0_16reverse_iteratorISI_EEEEENSH_IJSG_SG_SG_EEES9_SI_JZNS1_25segmented_radix_sort_implINS0_14default_configELb0EPKsPsPKlPlN2at6native12_GLOBAL__N_18offset_tEEE10hipError_tPvRmT1_PNSt15iterator_traitsIS12_E10value_typeET2_T3_PNS13_IS18_E10value_typeET4_jRbjT5_S1E_jjP12ihipStream_tbEUljE_ZNSN_ISO_Lb0ESQ_SR_ST_SU_SY_EESZ_S10_S11_S12_S16_S17_S18_S1B_S1C_jS1D_jS1E_S1E_jjS1G_bEUljE0_EEESZ_S10_S11_S18_S1C_S1E_T6_T7_T9_mT8_S1G_bDpT10_ENKUlT_T0_E_clISt17integral_constantIbLb1EES1U_EEDaS1P_S1Q_EUlS1P_E_NS1_11comp_targetILNS1_3genE8ELNS1_11target_archE1030ELNS1_3gpuE2ELNS1_3repE0EEENS1_30default_config_static_selectorELNS0_4arch9wavefront6targetE0EEEvS12_, .Lfunc_end958-_ZN7rocprim17ROCPRIM_400000_NS6detail17trampoline_kernelINS0_13select_configILj256ELj13ELNS0_17block_load_methodE3ELS4_3ELS4_3ELNS0_20block_scan_algorithmE0ELj4294967295EEENS1_25partition_config_selectorILNS1_17partition_subalgoE4EjNS0_10empty_typeEbEEZZNS1_14partition_implILS8_4ELb0ES6_15HIP_vector_typeIjLj2EENS0_17counting_iteratorIjlEEPS9_SG_NS0_5tupleIJPjSI_NS0_16reverse_iteratorISI_EEEEENSH_IJSG_SG_SG_EEES9_SI_JZNS1_25segmented_radix_sort_implINS0_14default_configELb0EPKsPsPKlPlN2at6native12_GLOBAL__N_18offset_tEEE10hipError_tPvRmT1_PNSt15iterator_traitsIS12_E10value_typeET2_T3_PNS13_IS18_E10value_typeET4_jRbjT5_S1E_jjP12ihipStream_tbEUljE_ZNSN_ISO_Lb0ESQ_SR_ST_SU_SY_EESZ_S10_S11_S12_S16_S17_S18_S1B_S1C_jS1D_jS1E_S1E_jjS1G_bEUljE0_EEESZ_S10_S11_S18_S1C_S1E_T6_T7_T9_mT8_S1G_bDpT10_ENKUlT_T0_E_clISt17integral_constantIbLb1EES1U_EEDaS1P_S1Q_EUlS1P_E_NS1_11comp_targetILNS1_3genE8ELNS1_11target_archE1030ELNS1_3gpuE2ELNS1_3repE0EEENS1_30default_config_static_selectorELNS0_4arch9wavefront6targetE0EEEvS12_
                                        ; -- End function
	.set _ZN7rocprim17ROCPRIM_400000_NS6detail17trampoline_kernelINS0_13select_configILj256ELj13ELNS0_17block_load_methodE3ELS4_3ELS4_3ELNS0_20block_scan_algorithmE0ELj4294967295EEENS1_25partition_config_selectorILNS1_17partition_subalgoE4EjNS0_10empty_typeEbEEZZNS1_14partition_implILS8_4ELb0ES6_15HIP_vector_typeIjLj2EENS0_17counting_iteratorIjlEEPS9_SG_NS0_5tupleIJPjSI_NS0_16reverse_iteratorISI_EEEEENSH_IJSG_SG_SG_EEES9_SI_JZNS1_25segmented_radix_sort_implINS0_14default_configELb0EPKsPsPKlPlN2at6native12_GLOBAL__N_18offset_tEEE10hipError_tPvRmT1_PNSt15iterator_traitsIS12_E10value_typeET2_T3_PNS13_IS18_E10value_typeET4_jRbjT5_S1E_jjP12ihipStream_tbEUljE_ZNSN_ISO_Lb0ESQ_SR_ST_SU_SY_EESZ_S10_S11_S12_S16_S17_S18_S1B_S1C_jS1D_jS1E_S1E_jjS1G_bEUljE0_EEESZ_S10_S11_S18_S1C_S1E_T6_T7_T9_mT8_S1G_bDpT10_ENKUlT_T0_E_clISt17integral_constantIbLb1EES1U_EEDaS1P_S1Q_EUlS1P_E_NS1_11comp_targetILNS1_3genE8ELNS1_11target_archE1030ELNS1_3gpuE2ELNS1_3repE0EEENS1_30default_config_static_selectorELNS0_4arch9wavefront6targetE0EEEvS12_.num_vgpr, 0
	.set _ZN7rocprim17ROCPRIM_400000_NS6detail17trampoline_kernelINS0_13select_configILj256ELj13ELNS0_17block_load_methodE3ELS4_3ELS4_3ELNS0_20block_scan_algorithmE0ELj4294967295EEENS1_25partition_config_selectorILNS1_17partition_subalgoE4EjNS0_10empty_typeEbEEZZNS1_14partition_implILS8_4ELb0ES6_15HIP_vector_typeIjLj2EENS0_17counting_iteratorIjlEEPS9_SG_NS0_5tupleIJPjSI_NS0_16reverse_iteratorISI_EEEEENSH_IJSG_SG_SG_EEES9_SI_JZNS1_25segmented_radix_sort_implINS0_14default_configELb0EPKsPsPKlPlN2at6native12_GLOBAL__N_18offset_tEEE10hipError_tPvRmT1_PNSt15iterator_traitsIS12_E10value_typeET2_T3_PNS13_IS18_E10value_typeET4_jRbjT5_S1E_jjP12ihipStream_tbEUljE_ZNSN_ISO_Lb0ESQ_SR_ST_SU_SY_EESZ_S10_S11_S12_S16_S17_S18_S1B_S1C_jS1D_jS1E_S1E_jjS1G_bEUljE0_EEESZ_S10_S11_S18_S1C_S1E_T6_T7_T9_mT8_S1G_bDpT10_ENKUlT_T0_E_clISt17integral_constantIbLb1EES1U_EEDaS1P_S1Q_EUlS1P_E_NS1_11comp_targetILNS1_3genE8ELNS1_11target_archE1030ELNS1_3gpuE2ELNS1_3repE0EEENS1_30default_config_static_selectorELNS0_4arch9wavefront6targetE0EEEvS12_.num_agpr, 0
	.set _ZN7rocprim17ROCPRIM_400000_NS6detail17trampoline_kernelINS0_13select_configILj256ELj13ELNS0_17block_load_methodE3ELS4_3ELS4_3ELNS0_20block_scan_algorithmE0ELj4294967295EEENS1_25partition_config_selectorILNS1_17partition_subalgoE4EjNS0_10empty_typeEbEEZZNS1_14partition_implILS8_4ELb0ES6_15HIP_vector_typeIjLj2EENS0_17counting_iteratorIjlEEPS9_SG_NS0_5tupleIJPjSI_NS0_16reverse_iteratorISI_EEEEENSH_IJSG_SG_SG_EEES9_SI_JZNS1_25segmented_radix_sort_implINS0_14default_configELb0EPKsPsPKlPlN2at6native12_GLOBAL__N_18offset_tEEE10hipError_tPvRmT1_PNSt15iterator_traitsIS12_E10value_typeET2_T3_PNS13_IS18_E10value_typeET4_jRbjT5_S1E_jjP12ihipStream_tbEUljE_ZNSN_ISO_Lb0ESQ_SR_ST_SU_SY_EESZ_S10_S11_S12_S16_S17_S18_S1B_S1C_jS1D_jS1E_S1E_jjS1G_bEUljE0_EEESZ_S10_S11_S18_S1C_S1E_T6_T7_T9_mT8_S1G_bDpT10_ENKUlT_T0_E_clISt17integral_constantIbLb1EES1U_EEDaS1P_S1Q_EUlS1P_E_NS1_11comp_targetILNS1_3genE8ELNS1_11target_archE1030ELNS1_3gpuE2ELNS1_3repE0EEENS1_30default_config_static_selectorELNS0_4arch9wavefront6targetE0EEEvS12_.numbered_sgpr, 0
	.set _ZN7rocprim17ROCPRIM_400000_NS6detail17trampoline_kernelINS0_13select_configILj256ELj13ELNS0_17block_load_methodE3ELS4_3ELS4_3ELNS0_20block_scan_algorithmE0ELj4294967295EEENS1_25partition_config_selectorILNS1_17partition_subalgoE4EjNS0_10empty_typeEbEEZZNS1_14partition_implILS8_4ELb0ES6_15HIP_vector_typeIjLj2EENS0_17counting_iteratorIjlEEPS9_SG_NS0_5tupleIJPjSI_NS0_16reverse_iteratorISI_EEEEENSH_IJSG_SG_SG_EEES9_SI_JZNS1_25segmented_radix_sort_implINS0_14default_configELb0EPKsPsPKlPlN2at6native12_GLOBAL__N_18offset_tEEE10hipError_tPvRmT1_PNSt15iterator_traitsIS12_E10value_typeET2_T3_PNS13_IS18_E10value_typeET4_jRbjT5_S1E_jjP12ihipStream_tbEUljE_ZNSN_ISO_Lb0ESQ_SR_ST_SU_SY_EESZ_S10_S11_S12_S16_S17_S18_S1B_S1C_jS1D_jS1E_S1E_jjS1G_bEUljE0_EEESZ_S10_S11_S18_S1C_S1E_T6_T7_T9_mT8_S1G_bDpT10_ENKUlT_T0_E_clISt17integral_constantIbLb1EES1U_EEDaS1P_S1Q_EUlS1P_E_NS1_11comp_targetILNS1_3genE8ELNS1_11target_archE1030ELNS1_3gpuE2ELNS1_3repE0EEENS1_30default_config_static_selectorELNS0_4arch9wavefront6targetE0EEEvS12_.num_named_barrier, 0
	.set _ZN7rocprim17ROCPRIM_400000_NS6detail17trampoline_kernelINS0_13select_configILj256ELj13ELNS0_17block_load_methodE3ELS4_3ELS4_3ELNS0_20block_scan_algorithmE0ELj4294967295EEENS1_25partition_config_selectorILNS1_17partition_subalgoE4EjNS0_10empty_typeEbEEZZNS1_14partition_implILS8_4ELb0ES6_15HIP_vector_typeIjLj2EENS0_17counting_iteratorIjlEEPS9_SG_NS0_5tupleIJPjSI_NS0_16reverse_iteratorISI_EEEEENSH_IJSG_SG_SG_EEES9_SI_JZNS1_25segmented_radix_sort_implINS0_14default_configELb0EPKsPsPKlPlN2at6native12_GLOBAL__N_18offset_tEEE10hipError_tPvRmT1_PNSt15iterator_traitsIS12_E10value_typeET2_T3_PNS13_IS18_E10value_typeET4_jRbjT5_S1E_jjP12ihipStream_tbEUljE_ZNSN_ISO_Lb0ESQ_SR_ST_SU_SY_EESZ_S10_S11_S12_S16_S17_S18_S1B_S1C_jS1D_jS1E_S1E_jjS1G_bEUljE0_EEESZ_S10_S11_S18_S1C_S1E_T6_T7_T9_mT8_S1G_bDpT10_ENKUlT_T0_E_clISt17integral_constantIbLb1EES1U_EEDaS1P_S1Q_EUlS1P_E_NS1_11comp_targetILNS1_3genE8ELNS1_11target_archE1030ELNS1_3gpuE2ELNS1_3repE0EEENS1_30default_config_static_selectorELNS0_4arch9wavefront6targetE0EEEvS12_.private_seg_size, 0
	.set _ZN7rocprim17ROCPRIM_400000_NS6detail17trampoline_kernelINS0_13select_configILj256ELj13ELNS0_17block_load_methodE3ELS4_3ELS4_3ELNS0_20block_scan_algorithmE0ELj4294967295EEENS1_25partition_config_selectorILNS1_17partition_subalgoE4EjNS0_10empty_typeEbEEZZNS1_14partition_implILS8_4ELb0ES6_15HIP_vector_typeIjLj2EENS0_17counting_iteratorIjlEEPS9_SG_NS0_5tupleIJPjSI_NS0_16reverse_iteratorISI_EEEEENSH_IJSG_SG_SG_EEES9_SI_JZNS1_25segmented_radix_sort_implINS0_14default_configELb0EPKsPsPKlPlN2at6native12_GLOBAL__N_18offset_tEEE10hipError_tPvRmT1_PNSt15iterator_traitsIS12_E10value_typeET2_T3_PNS13_IS18_E10value_typeET4_jRbjT5_S1E_jjP12ihipStream_tbEUljE_ZNSN_ISO_Lb0ESQ_SR_ST_SU_SY_EESZ_S10_S11_S12_S16_S17_S18_S1B_S1C_jS1D_jS1E_S1E_jjS1G_bEUljE0_EEESZ_S10_S11_S18_S1C_S1E_T6_T7_T9_mT8_S1G_bDpT10_ENKUlT_T0_E_clISt17integral_constantIbLb1EES1U_EEDaS1P_S1Q_EUlS1P_E_NS1_11comp_targetILNS1_3genE8ELNS1_11target_archE1030ELNS1_3gpuE2ELNS1_3repE0EEENS1_30default_config_static_selectorELNS0_4arch9wavefront6targetE0EEEvS12_.uses_vcc, 0
	.set _ZN7rocprim17ROCPRIM_400000_NS6detail17trampoline_kernelINS0_13select_configILj256ELj13ELNS0_17block_load_methodE3ELS4_3ELS4_3ELNS0_20block_scan_algorithmE0ELj4294967295EEENS1_25partition_config_selectorILNS1_17partition_subalgoE4EjNS0_10empty_typeEbEEZZNS1_14partition_implILS8_4ELb0ES6_15HIP_vector_typeIjLj2EENS0_17counting_iteratorIjlEEPS9_SG_NS0_5tupleIJPjSI_NS0_16reverse_iteratorISI_EEEEENSH_IJSG_SG_SG_EEES9_SI_JZNS1_25segmented_radix_sort_implINS0_14default_configELb0EPKsPsPKlPlN2at6native12_GLOBAL__N_18offset_tEEE10hipError_tPvRmT1_PNSt15iterator_traitsIS12_E10value_typeET2_T3_PNS13_IS18_E10value_typeET4_jRbjT5_S1E_jjP12ihipStream_tbEUljE_ZNSN_ISO_Lb0ESQ_SR_ST_SU_SY_EESZ_S10_S11_S12_S16_S17_S18_S1B_S1C_jS1D_jS1E_S1E_jjS1G_bEUljE0_EEESZ_S10_S11_S18_S1C_S1E_T6_T7_T9_mT8_S1G_bDpT10_ENKUlT_T0_E_clISt17integral_constantIbLb1EES1U_EEDaS1P_S1Q_EUlS1P_E_NS1_11comp_targetILNS1_3genE8ELNS1_11target_archE1030ELNS1_3gpuE2ELNS1_3repE0EEENS1_30default_config_static_selectorELNS0_4arch9wavefront6targetE0EEEvS12_.uses_flat_scratch, 0
	.set _ZN7rocprim17ROCPRIM_400000_NS6detail17trampoline_kernelINS0_13select_configILj256ELj13ELNS0_17block_load_methodE3ELS4_3ELS4_3ELNS0_20block_scan_algorithmE0ELj4294967295EEENS1_25partition_config_selectorILNS1_17partition_subalgoE4EjNS0_10empty_typeEbEEZZNS1_14partition_implILS8_4ELb0ES6_15HIP_vector_typeIjLj2EENS0_17counting_iteratorIjlEEPS9_SG_NS0_5tupleIJPjSI_NS0_16reverse_iteratorISI_EEEEENSH_IJSG_SG_SG_EEES9_SI_JZNS1_25segmented_radix_sort_implINS0_14default_configELb0EPKsPsPKlPlN2at6native12_GLOBAL__N_18offset_tEEE10hipError_tPvRmT1_PNSt15iterator_traitsIS12_E10value_typeET2_T3_PNS13_IS18_E10value_typeET4_jRbjT5_S1E_jjP12ihipStream_tbEUljE_ZNSN_ISO_Lb0ESQ_SR_ST_SU_SY_EESZ_S10_S11_S12_S16_S17_S18_S1B_S1C_jS1D_jS1E_S1E_jjS1G_bEUljE0_EEESZ_S10_S11_S18_S1C_S1E_T6_T7_T9_mT8_S1G_bDpT10_ENKUlT_T0_E_clISt17integral_constantIbLb1EES1U_EEDaS1P_S1Q_EUlS1P_E_NS1_11comp_targetILNS1_3genE8ELNS1_11target_archE1030ELNS1_3gpuE2ELNS1_3repE0EEENS1_30default_config_static_selectorELNS0_4arch9wavefront6targetE0EEEvS12_.has_dyn_sized_stack, 0
	.set _ZN7rocprim17ROCPRIM_400000_NS6detail17trampoline_kernelINS0_13select_configILj256ELj13ELNS0_17block_load_methodE3ELS4_3ELS4_3ELNS0_20block_scan_algorithmE0ELj4294967295EEENS1_25partition_config_selectorILNS1_17partition_subalgoE4EjNS0_10empty_typeEbEEZZNS1_14partition_implILS8_4ELb0ES6_15HIP_vector_typeIjLj2EENS0_17counting_iteratorIjlEEPS9_SG_NS0_5tupleIJPjSI_NS0_16reverse_iteratorISI_EEEEENSH_IJSG_SG_SG_EEES9_SI_JZNS1_25segmented_radix_sort_implINS0_14default_configELb0EPKsPsPKlPlN2at6native12_GLOBAL__N_18offset_tEEE10hipError_tPvRmT1_PNSt15iterator_traitsIS12_E10value_typeET2_T3_PNS13_IS18_E10value_typeET4_jRbjT5_S1E_jjP12ihipStream_tbEUljE_ZNSN_ISO_Lb0ESQ_SR_ST_SU_SY_EESZ_S10_S11_S12_S16_S17_S18_S1B_S1C_jS1D_jS1E_S1E_jjS1G_bEUljE0_EEESZ_S10_S11_S18_S1C_S1E_T6_T7_T9_mT8_S1G_bDpT10_ENKUlT_T0_E_clISt17integral_constantIbLb1EES1U_EEDaS1P_S1Q_EUlS1P_E_NS1_11comp_targetILNS1_3genE8ELNS1_11target_archE1030ELNS1_3gpuE2ELNS1_3repE0EEENS1_30default_config_static_selectorELNS0_4arch9wavefront6targetE0EEEvS12_.has_recursion, 0
	.set _ZN7rocprim17ROCPRIM_400000_NS6detail17trampoline_kernelINS0_13select_configILj256ELj13ELNS0_17block_load_methodE3ELS4_3ELS4_3ELNS0_20block_scan_algorithmE0ELj4294967295EEENS1_25partition_config_selectorILNS1_17partition_subalgoE4EjNS0_10empty_typeEbEEZZNS1_14partition_implILS8_4ELb0ES6_15HIP_vector_typeIjLj2EENS0_17counting_iteratorIjlEEPS9_SG_NS0_5tupleIJPjSI_NS0_16reverse_iteratorISI_EEEEENSH_IJSG_SG_SG_EEES9_SI_JZNS1_25segmented_radix_sort_implINS0_14default_configELb0EPKsPsPKlPlN2at6native12_GLOBAL__N_18offset_tEEE10hipError_tPvRmT1_PNSt15iterator_traitsIS12_E10value_typeET2_T3_PNS13_IS18_E10value_typeET4_jRbjT5_S1E_jjP12ihipStream_tbEUljE_ZNSN_ISO_Lb0ESQ_SR_ST_SU_SY_EESZ_S10_S11_S12_S16_S17_S18_S1B_S1C_jS1D_jS1E_S1E_jjS1G_bEUljE0_EEESZ_S10_S11_S18_S1C_S1E_T6_T7_T9_mT8_S1G_bDpT10_ENKUlT_T0_E_clISt17integral_constantIbLb1EES1U_EEDaS1P_S1Q_EUlS1P_E_NS1_11comp_targetILNS1_3genE8ELNS1_11target_archE1030ELNS1_3gpuE2ELNS1_3repE0EEENS1_30default_config_static_selectorELNS0_4arch9wavefront6targetE0EEEvS12_.has_indirect_call, 0
	.section	.AMDGPU.csdata,"",@progbits
; Kernel info:
; codeLenInByte = 4
; TotalNumSgprs: 0
; NumVgprs: 0
; ScratchSize: 0
; MemoryBound: 0
; FloatMode: 240
; IeeeMode: 1
; LDSByteSize: 0 bytes/workgroup (compile time only)
; SGPRBlocks: 0
; VGPRBlocks: 0
; NumSGPRsForWavesPerEU: 1
; NumVGPRsForWavesPerEU: 1
; Occupancy: 16
; WaveLimiterHint : 0
; COMPUTE_PGM_RSRC2:SCRATCH_EN: 0
; COMPUTE_PGM_RSRC2:USER_SGPR: 6
; COMPUTE_PGM_RSRC2:TRAP_HANDLER: 0
; COMPUTE_PGM_RSRC2:TGID_X_EN: 1
; COMPUTE_PGM_RSRC2:TGID_Y_EN: 0
; COMPUTE_PGM_RSRC2:TGID_Z_EN: 0
; COMPUTE_PGM_RSRC2:TIDIG_COMP_CNT: 0
	.section	.text._ZN7rocprim17ROCPRIM_400000_NS6detail17trampoline_kernelINS0_13select_configILj256ELj13ELNS0_17block_load_methodE3ELS4_3ELS4_3ELNS0_20block_scan_algorithmE0ELj4294967295EEENS1_25partition_config_selectorILNS1_17partition_subalgoE4EjNS0_10empty_typeEbEEZZNS1_14partition_implILS8_4ELb0ES6_15HIP_vector_typeIjLj2EENS0_17counting_iteratorIjlEEPS9_SG_NS0_5tupleIJPjSI_NS0_16reverse_iteratorISI_EEEEENSH_IJSG_SG_SG_EEES9_SI_JZNS1_25segmented_radix_sort_implINS0_14default_configELb0EPKsPsPKlPlN2at6native12_GLOBAL__N_18offset_tEEE10hipError_tPvRmT1_PNSt15iterator_traitsIS12_E10value_typeET2_T3_PNS13_IS18_E10value_typeET4_jRbjT5_S1E_jjP12ihipStream_tbEUljE_ZNSN_ISO_Lb0ESQ_SR_ST_SU_SY_EESZ_S10_S11_S12_S16_S17_S18_S1B_S1C_jS1D_jS1E_S1E_jjS1G_bEUljE0_EEESZ_S10_S11_S18_S1C_S1E_T6_T7_T9_mT8_S1G_bDpT10_ENKUlT_T0_E_clISt17integral_constantIbLb1EES1T_IbLb0EEEEDaS1P_S1Q_EUlS1P_E_NS1_11comp_targetILNS1_3genE0ELNS1_11target_archE4294967295ELNS1_3gpuE0ELNS1_3repE0EEENS1_30default_config_static_selectorELNS0_4arch9wavefront6targetE0EEEvS12_,"axG",@progbits,_ZN7rocprim17ROCPRIM_400000_NS6detail17trampoline_kernelINS0_13select_configILj256ELj13ELNS0_17block_load_methodE3ELS4_3ELS4_3ELNS0_20block_scan_algorithmE0ELj4294967295EEENS1_25partition_config_selectorILNS1_17partition_subalgoE4EjNS0_10empty_typeEbEEZZNS1_14partition_implILS8_4ELb0ES6_15HIP_vector_typeIjLj2EENS0_17counting_iteratorIjlEEPS9_SG_NS0_5tupleIJPjSI_NS0_16reverse_iteratorISI_EEEEENSH_IJSG_SG_SG_EEES9_SI_JZNS1_25segmented_radix_sort_implINS0_14default_configELb0EPKsPsPKlPlN2at6native12_GLOBAL__N_18offset_tEEE10hipError_tPvRmT1_PNSt15iterator_traitsIS12_E10value_typeET2_T3_PNS13_IS18_E10value_typeET4_jRbjT5_S1E_jjP12ihipStream_tbEUljE_ZNSN_ISO_Lb0ESQ_SR_ST_SU_SY_EESZ_S10_S11_S12_S16_S17_S18_S1B_S1C_jS1D_jS1E_S1E_jjS1G_bEUljE0_EEESZ_S10_S11_S18_S1C_S1E_T6_T7_T9_mT8_S1G_bDpT10_ENKUlT_T0_E_clISt17integral_constantIbLb1EES1T_IbLb0EEEEDaS1P_S1Q_EUlS1P_E_NS1_11comp_targetILNS1_3genE0ELNS1_11target_archE4294967295ELNS1_3gpuE0ELNS1_3repE0EEENS1_30default_config_static_selectorELNS0_4arch9wavefront6targetE0EEEvS12_,comdat
	.globl	_ZN7rocprim17ROCPRIM_400000_NS6detail17trampoline_kernelINS0_13select_configILj256ELj13ELNS0_17block_load_methodE3ELS4_3ELS4_3ELNS0_20block_scan_algorithmE0ELj4294967295EEENS1_25partition_config_selectorILNS1_17partition_subalgoE4EjNS0_10empty_typeEbEEZZNS1_14partition_implILS8_4ELb0ES6_15HIP_vector_typeIjLj2EENS0_17counting_iteratorIjlEEPS9_SG_NS0_5tupleIJPjSI_NS0_16reverse_iteratorISI_EEEEENSH_IJSG_SG_SG_EEES9_SI_JZNS1_25segmented_radix_sort_implINS0_14default_configELb0EPKsPsPKlPlN2at6native12_GLOBAL__N_18offset_tEEE10hipError_tPvRmT1_PNSt15iterator_traitsIS12_E10value_typeET2_T3_PNS13_IS18_E10value_typeET4_jRbjT5_S1E_jjP12ihipStream_tbEUljE_ZNSN_ISO_Lb0ESQ_SR_ST_SU_SY_EESZ_S10_S11_S12_S16_S17_S18_S1B_S1C_jS1D_jS1E_S1E_jjS1G_bEUljE0_EEESZ_S10_S11_S18_S1C_S1E_T6_T7_T9_mT8_S1G_bDpT10_ENKUlT_T0_E_clISt17integral_constantIbLb1EES1T_IbLb0EEEEDaS1P_S1Q_EUlS1P_E_NS1_11comp_targetILNS1_3genE0ELNS1_11target_archE4294967295ELNS1_3gpuE0ELNS1_3repE0EEENS1_30default_config_static_selectorELNS0_4arch9wavefront6targetE0EEEvS12_ ; -- Begin function _ZN7rocprim17ROCPRIM_400000_NS6detail17trampoline_kernelINS0_13select_configILj256ELj13ELNS0_17block_load_methodE3ELS4_3ELS4_3ELNS0_20block_scan_algorithmE0ELj4294967295EEENS1_25partition_config_selectorILNS1_17partition_subalgoE4EjNS0_10empty_typeEbEEZZNS1_14partition_implILS8_4ELb0ES6_15HIP_vector_typeIjLj2EENS0_17counting_iteratorIjlEEPS9_SG_NS0_5tupleIJPjSI_NS0_16reverse_iteratorISI_EEEEENSH_IJSG_SG_SG_EEES9_SI_JZNS1_25segmented_radix_sort_implINS0_14default_configELb0EPKsPsPKlPlN2at6native12_GLOBAL__N_18offset_tEEE10hipError_tPvRmT1_PNSt15iterator_traitsIS12_E10value_typeET2_T3_PNS13_IS18_E10value_typeET4_jRbjT5_S1E_jjP12ihipStream_tbEUljE_ZNSN_ISO_Lb0ESQ_SR_ST_SU_SY_EESZ_S10_S11_S12_S16_S17_S18_S1B_S1C_jS1D_jS1E_S1E_jjS1G_bEUljE0_EEESZ_S10_S11_S18_S1C_S1E_T6_T7_T9_mT8_S1G_bDpT10_ENKUlT_T0_E_clISt17integral_constantIbLb1EES1T_IbLb0EEEEDaS1P_S1Q_EUlS1P_E_NS1_11comp_targetILNS1_3genE0ELNS1_11target_archE4294967295ELNS1_3gpuE0ELNS1_3repE0EEENS1_30default_config_static_selectorELNS0_4arch9wavefront6targetE0EEEvS12_
	.p2align	8
	.type	_ZN7rocprim17ROCPRIM_400000_NS6detail17trampoline_kernelINS0_13select_configILj256ELj13ELNS0_17block_load_methodE3ELS4_3ELS4_3ELNS0_20block_scan_algorithmE0ELj4294967295EEENS1_25partition_config_selectorILNS1_17partition_subalgoE4EjNS0_10empty_typeEbEEZZNS1_14partition_implILS8_4ELb0ES6_15HIP_vector_typeIjLj2EENS0_17counting_iteratorIjlEEPS9_SG_NS0_5tupleIJPjSI_NS0_16reverse_iteratorISI_EEEEENSH_IJSG_SG_SG_EEES9_SI_JZNS1_25segmented_radix_sort_implINS0_14default_configELb0EPKsPsPKlPlN2at6native12_GLOBAL__N_18offset_tEEE10hipError_tPvRmT1_PNSt15iterator_traitsIS12_E10value_typeET2_T3_PNS13_IS18_E10value_typeET4_jRbjT5_S1E_jjP12ihipStream_tbEUljE_ZNSN_ISO_Lb0ESQ_SR_ST_SU_SY_EESZ_S10_S11_S12_S16_S17_S18_S1B_S1C_jS1D_jS1E_S1E_jjS1G_bEUljE0_EEESZ_S10_S11_S18_S1C_S1E_T6_T7_T9_mT8_S1G_bDpT10_ENKUlT_T0_E_clISt17integral_constantIbLb1EES1T_IbLb0EEEEDaS1P_S1Q_EUlS1P_E_NS1_11comp_targetILNS1_3genE0ELNS1_11target_archE4294967295ELNS1_3gpuE0ELNS1_3repE0EEENS1_30default_config_static_selectorELNS0_4arch9wavefront6targetE0EEEvS12_,@function
_ZN7rocprim17ROCPRIM_400000_NS6detail17trampoline_kernelINS0_13select_configILj256ELj13ELNS0_17block_load_methodE3ELS4_3ELS4_3ELNS0_20block_scan_algorithmE0ELj4294967295EEENS1_25partition_config_selectorILNS1_17partition_subalgoE4EjNS0_10empty_typeEbEEZZNS1_14partition_implILS8_4ELb0ES6_15HIP_vector_typeIjLj2EENS0_17counting_iteratorIjlEEPS9_SG_NS0_5tupleIJPjSI_NS0_16reverse_iteratorISI_EEEEENSH_IJSG_SG_SG_EEES9_SI_JZNS1_25segmented_radix_sort_implINS0_14default_configELb0EPKsPsPKlPlN2at6native12_GLOBAL__N_18offset_tEEE10hipError_tPvRmT1_PNSt15iterator_traitsIS12_E10value_typeET2_T3_PNS13_IS18_E10value_typeET4_jRbjT5_S1E_jjP12ihipStream_tbEUljE_ZNSN_ISO_Lb0ESQ_SR_ST_SU_SY_EESZ_S10_S11_S12_S16_S17_S18_S1B_S1C_jS1D_jS1E_S1E_jjS1G_bEUljE0_EEESZ_S10_S11_S18_S1C_S1E_T6_T7_T9_mT8_S1G_bDpT10_ENKUlT_T0_E_clISt17integral_constantIbLb1EES1T_IbLb0EEEEDaS1P_S1Q_EUlS1P_E_NS1_11comp_targetILNS1_3genE0ELNS1_11target_archE4294967295ELNS1_3gpuE0ELNS1_3repE0EEENS1_30default_config_static_selectorELNS0_4arch9wavefront6targetE0EEEvS12_: ; @_ZN7rocprim17ROCPRIM_400000_NS6detail17trampoline_kernelINS0_13select_configILj256ELj13ELNS0_17block_load_methodE3ELS4_3ELS4_3ELNS0_20block_scan_algorithmE0ELj4294967295EEENS1_25partition_config_selectorILNS1_17partition_subalgoE4EjNS0_10empty_typeEbEEZZNS1_14partition_implILS8_4ELb0ES6_15HIP_vector_typeIjLj2EENS0_17counting_iteratorIjlEEPS9_SG_NS0_5tupleIJPjSI_NS0_16reverse_iteratorISI_EEEEENSH_IJSG_SG_SG_EEES9_SI_JZNS1_25segmented_radix_sort_implINS0_14default_configELb0EPKsPsPKlPlN2at6native12_GLOBAL__N_18offset_tEEE10hipError_tPvRmT1_PNSt15iterator_traitsIS12_E10value_typeET2_T3_PNS13_IS18_E10value_typeET4_jRbjT5_S1E_jjP12ihipStream_tbEUljE_ZNSN_ISO_Lb0ESQ_SR_ST_SU_SY_EESZ_S10_S11_S12_S16_S17_S18_S1B_S1C_jS1D_jS1E_S1E_jjS1G_bEUljE0_EEESZ_S10_S11_S18_S1C_S1E_T6_T7_T9_mT8_S1G_bDpT10_ENKUlT_T0_E_clISt17integral_constantIbLb1EES1T_IbLb0EEEEDaS1P_S1Q_EUlS1P_E_NS1_11comp_targetILNS1_3genE0ELNS1_11target_archE4294967295ELNS1_3gpuE0ELNS1_3repE0EEENS1_30default_config_static_selectorELNS0_4arch9wavefront6targetE0EEEvS12_
; %bb.0:
	.section	.rodata,"a",@progbits
	.p2align	6, 0x0
	.amdhsa_kernel _ZN7rocprim17ROCPRIM_400000_NS6detail17trampoline_kernelINS0_13select_configILj256ELj13ELNS0_17block_load_methodE3ELS4_3ELS4_3ELNS0_20block_scan_algorithmE0ELj4294967295EEENS1_25partition_config_selectorILNS1_17partition_subalgoE4EjNS0_10empty_typeEbEEZZNS1_14partition_implILS8_4ELb0ES6_15HIP_vector_typeIjLj2EENS0_17counting_iteratorIjlEEPS9_SG_NS0_5tupleIJPjSI_NS0_16reverse_iteratorISI_EEEEENSH_IJSG_SG_SG_EEES9_SI_JZNS1_25segmented_radix_sort_implINS0_14default_configELb0EPKsPsPKlPlN2at6native12_GLOBAL__N_18offset_tEEE10hipError_tPvRmT1_PNSt15iterator_traitsIS12_E10value_typeET2_T3_PNS13_IS18_E10value_typeET4_jRbjT5_S1E_jjP12ihipStream_tbEUljE_ZNSN_ISO_Lb0ESQ_SR_ST_SU_SY_EESZ_S10_S11_S12_S16_S17_S18_S1B_S1C_jS1D_jS1E_S1E_jjS1G_bEUljE0_EEESZ_S10_S11_S18_S1C_S1E_T6_T7_T9_mT8_S1G_bDpT10_ENKUlT_T0_E_clISt17integral_constantIbLb1EES1T_IbLb0EEEEDaS1P_S1Q_EUlS1P_E_NS1_11comp_targetILNS1_3genE0ELNS1_11target_archE4294967295ELNS1_3gpuE0ELNS1_3repE0EEENS1_30default_config_static_selectorELNS0_4arch9wavefront6targetE0EEEvS12_
		.amdhsa_group_segment_fixed_size 0
		.amdhsa_private_segment_fixed_size 0
		.amdhsa_kernarg_size 176
		.amdhsa_user_sgpr_count 6
		.amdhsa_user_sgpr_private_segment_buffer 1
		.amdhsa_user_sgpr_dispatch_ptr 0
		.amdhsa_user_sgpr_queue_ptr 0
		.amdhsa_user_sgpr_kernarg_segment_ptr 1
		.amdhsa_user_sgpr_dispatch_id 0
		.amdhsa_user_sgpr_flat_scratch_init 0
		.amdhsa_user_sgpr_private_segment_size 0
		.amdhsa_wavefront_size32 1
		.amdhsa_uses_dynamic_stack 0
		.amdhsa_system_sgpr_private_segment_wavefront_offset 0
		.amdhsa_system_sgpr_workgroup_id_x 1
		.amdhsa_system_sgpr_workgroup_id_y 0
		.amdhsa_system_sgpr_workgroup_id_z 0
		.amdhsa_system_sgpr_workgroup_info 0
		.amdhsa_system_vgpr_workitem_id 0
		.amdhsa_next_free_vgpr 1
		.amdhsa_next_free_sgpr 1
		.amdhsa_reserve_vcc 0
		.amdhsa_reserve_flat_scratch 0
		.amdhsa_float_round_mode_32 0
		.amdhsa_float_round_mode_16_64 0
		.amdhsa_float_denorm_mode_32 3
		.amdhsa_float_denorm_mode_16_64 3
		.amdhsa_dx10_clamp 1
		.amdhsa_ieee_mode 1
		.amdhsa_fp16_overflow 0
		.amdhsa_workgroup_processor_mode 1
		.amdhsa_memory_ordered 1
		.amdhsa_forward_progress 1
		.amdhsa_shared_vgpr_count 0
		.amdhsa_exception_fp_ieee_invalid_op 0
		.amdhsa_exception_fp_denorm_src 0
		.amdhsa_exception_fp_ieee_div_zero 0
		.amdhsa_exception_fp_ieee_overflow 0
		.amdhsa_exception_fp_ieee_underflow 0
		.amdhsa_exception_fp_ieee_inexact 0
		.amdhsa_exception_int_div_zero 0
	.end_amdhsa_kernel
	.section	.text._ZN7rocprim17ROCPRIM_400000_NS6detail17trampoline_kernelINS0_13select_configILj256ELj13ELNS0_17block_load_methodE3ELS4_3ELS4_3ELNS0_20block_scan_algorithmE0ELj4294967295EEENS1_25partition_config_selectorILNS1_17partition_subalgoE4EjNS0_10empty_typeEbEEZZNS1_14partition_implILS8_4ELb0ES6_15HIP_vector_typeIjLj2EENS0_17counting_iteratorIjlEEPS9_SG_NS0_5tupleIJPjSI_NS0_16reverse_iteratorISI_EEEEENSH_IJSG_SG_SG_EEES9_SI_JZNS1_25segmented_radix_sort_implINS0_14default_configELb0EPKsPsPKlPlN2at6native12_GLOBAL__N_18offset_tEEE10hipError_tPvRmT1_PNSt15iterator_traitsIS12_E10value_typeET2_T3_PNS13_IS18_E10value_typeET4_jRbjT5_S1E_jjP12ihipStream_tbEUljE_ZNSN_ISO_Lb0ESQ_SR_ST_SU_SY_EESZ_S10_S11_S12_S16_S17_S18_S1B_S1C_jS1D_jS1E_S1E_jjS1G_bEUljE0_EEESZ_S10_S11_S18_S1C_S1E_T6_T7_T9_mT8_S1G_bDpT10_ENKUlT_T0_E_clISt17integral_constantIbLb1EES1T_IbLb0EEEEDaS1P_S1Q_EUlS1P_E_NS1_11comp_targetILNS1_3genE0ELNS1_11target_archE4294967295ELNS1_3gpuE0ELNS1_3repE0EEENS1_30default_config_static_selectorELNS0_4arch9wavefront6targetE0EEEvS12_,"axG",@progbits,_ZN7rocprim17ROCPRIM_400000_NS6detail17trampoline_kernelINS0_13select_configILj256ELj13ELNS0_17block_load_methodE3ELS4_3ELS4_3ELNS0_20block_scan_algorithmE0ELj4294967295EEENS1_25partition_config_selectorILNS1_17partition_subalgoE4EjNS0_10empty_typeEbEEZZNS1_14partition_implILS8_4ELb0ES6_15HIP_vector_typeIjLj2EENS0_17counting_iteratorIjlEEPS9_SG_NS0_5tupleIJPjSI_NS0_16reverse_iteratorISI_EEEEENSH_IJSG_SG_SG_EEES9_SI_JZNS1_25segmented_radix_sort_implINS0_14default_configELb0EPKsPsPKlPlN2at6native12_GLOBAL__N_18offset_tEEE10hipError_tPvRmT1_PNSt15iterator_traitsIS12_E10value_typeET2_T3_PNS13_IS18_E10value_typeET4_jRbjT5_S1E_jjP12ihipStream_tbEUljE_ZNSN_ISO_Lb0ESQ_SR_ST_SU_SY_EESZ_S10_S11_S12_S16_S17_S18_S1B_S1C_jS1D_jS1E_S1E_jjS1G_bEUljE0_EEESZ_S10_S11_S18_S1C_S1E_T6_T7_T9_mT8_S1G_bDpT10_ENKUlT_T0_E_clISt17integral_constantIbLb1EES1T_IbLb0EEEEDaS1P_S1Q_EUlS1P_E_NS1_11comp_targetILNS1_3genE0ELNS1_11target_archE4294967295ELNS1_3gpuE0ELNS1_3repE0EEENS1_30default_config_static_selectorELNS0_4arch9wavefront6targetE0EEEvS12_,comdat
.Lfunc_end959:
	.size	_ZN7rocprim17ROCPRIM_400000_NS6detail17trampoline_kernelINS0_13select_configILj256ELj13ELNS0_17block_load_methodE3ELS4_3ELS4_3ELNS0_20block_scan_algorithmE0ELj4294967295EEENS1_25partition_config_selectorILNS1_17partition_subalgoE4EjNS0_10empty_typeEbEEZZNS1_14partition_implILS8_4ELb0ES6_15HIP_vector_typeIjLj2EENS0_17counting_iteratorIjlEEPS9_SG_NS0_5tupleIJPjSI_NS0_16reverse_iteratorISI_EEEEENSH_IJSG_SG_SG_EEES9_SI_JZNS1_25segmented_radix_sort_implINS0_14default_configELb0EPKsPsPKlPlN2at6native12_GLOBAL__N_18offset_tEEE10hipError_tPvRmT1_PNSt15iterator_traitsIS12_E10value_typeET2_T3_PNS13_IS18_E10value_typeET4_jRbjT5_S1E_jjP12ihipStream_tbEUljE_ZNSN_ISO_Lb0ESQ_SR_ST_SU_SY_EESZ_S10_S11_S12_S16_S17_S18_S1B_S1C_jS1D_jS1E_S1E_jjS1G_bEUljE0_EEESZ_S10_S11_S18_S1C_S1E_T6_T7_T9_mT8_S1G_bDpT10_ENKUlT_T0_E_clISt17integral_constantIbLb1EES1T_IbLb0EEEEDaS1P_S1Q_EUlS1P_E_NS1_11comp_targetILNS1_3genE0ELNS1_11target_archE4294967295ELNS1_3gpuE0ELNS1_3repE0EEENS1_30default_config_static_selectorELNS0_4arch9wavefront6targetE0EEEvS12_, .Lfunc_end959-_ZN7rocprim17ROCPRIM_400000_NS6detail17trampoline_kernelINS0_13select_configILj256ELj13ELNS0_17block_load_methodE3ELS4_3ELS4_3ELNS0_20block_scan_algorithmE0ELj4294967295EEENS1_25partition_config_selectorILNS1_17partition_subalgoE4EjNS0_10empty_typeEbEEZZNS1_14partition_implILS8_4ELb0ES6_15HIP_vector_typeIjLj2EENS0_17counting_iteratorIjlEEPS9_SG_NS0_5tupleIJPjSI_NS0_16reverse_iteratorISI_EEEEENSH_IJSG_SG_SG_EEES9_SI_JZNS1_25segmented_radix_sort_implINS0_14default_configELb0EPKsPsPKlPlN2at6native12_GLOBAL__N_18offset_tEEE10hipError_tPvRmT1_PNSt15iterator_traitsIS12_E10value_typeET2_T3_PNS13_IS18_E10value_typeET4_jRbjT5_S1E_jjP12ihipStream_tbEUljE_ZNSN_ISO_Lb0ESQ_SR_ST_SU_SY_EESZ_S10_S11_S12_S16_S17_S18_S1B_S1C_jS1D_jS1E_S1E_jjS1G_bEUljE0_EEESZ_S10_S11_S18_S1C_S1E_T6_T7_T9_mT8_S1G_bDpT10_ENKUlT_T0_E_clISt17integral_constantIbLb1EES1T_IbLb0EEEEDaS1P_S1Q_EUlS1P_E_NS1_11comp_targetILNS1_3genE0ELNS1_11target_archE4294967295ELNS1_3gpuE0ELNS1_3repE0EEENS1_30default_config_static_selectorELNS0_4arch9wavefront6targetE0EEEvS12_
                                        ; -- End function
	.set _ZN7rocprim17ROCPRIM_400000_NS6detail17trampoline_kernelINS0_13select_configILj256ELj13ELNS0_17block_load_methodE3ELS4_3ELS4_3ELNS0_20block_scan_algorithmE0ELj4294967295EEENS1_25partition_config_selectorILNS1_17partition_subalgoE4EjNS0_10empty_typeEbEEZZNS1_14partition_implILS8_4ELb0ES6_15HIP_vector_typeIjLj2EENS0_17counting_iteratorIjlEEPS9_SG_NS0_5tupleIJPjSI_NS0_16reverse_iteratorISI_EEEEENSH_IJSG_SG_SG_EEES9_SI_JZNS1_25segmented_radix_sort_implINS0_14default_configELb0EPKsPsPKlPlN2at6native12_GLOBAL__N_18offset_tEEE10hipError_tPvRmT1_PNSt15iterator_traitsIS12_E10value_typeET2_T3_PNS13_IS18_E10value_typeET4_jRbjT5_S1E_jjP12ihipStream_tbEUljE_ZNSN_ISO_Lb0ESQ_SR_ST_SU_SY_EESZ_S10_S11_S12_S16_S17_S18_S1B_S1C_jS1D_jS1E_S1E_jjS1G_bEUljE0_EEESZ_S10_S11_S18_S1C_S1E_T6_T7_T9_mT8_S1G_bDpT10_ENKUlT_T0_E_clISt17integral_constantIbLb1EES1T_IbLb0EEEEDaS1P_S1Q_EUlS1P_E_NS1_11comp_targetILNS1_3genE0ELNS1_11target_archE4294967295ELNS1_3gpuE0ELNS1_3repE0EEENS1_30default_config_static_selectorELNS0_4arch9wavefront6targetE0EEEvS12_.num_vgpr, 0
	.set _ZN7rocprim17ROCPRIM_400000_NS6detail17trampoline_kernelINS0_13select_configILj256ELj13ELNS0_17block_load_methodE3ELS4_3ELS4_3ELNS0_20block_scan_algorithmE0ELj4294967295EEENS1_25partition_config_selectorILNS1_17partition_subalgoE4EjNS0_10empty_typeEbEEZZNS1_14partition_implILS8_4ELb0ES6_15HIP_vector_typeIjLj2EENS0_17counting_iteratorIjlEEPS9_SG_NS0_5tupleIJPjSI_NS0_16reverse_iteratorISI_EEEEENSH_IJSG_SG_SG_EEES9_SI_JZNS1_25segmented_radix_sort_implINS0_14default_configELb0EPKsPsPKlPlN2at6native12_GLOBAL__N_18offset_tEEE10hipError_tPvRmT1_PNSt15iterator_traitsIS12_E10value_typeET2_T3_PNS13_IS18_E10value_typeET4_jRbjT5_S1E_jjP12ihipStream_tbEUljE_ZNSN_ISO_Lb0ESQ_SR_ST_SU_SY_EESZ_S10_S11_S12_S16_S17_S18_S1B_S1C_jS1D_jS1E_S1E_jjS1G_bEUljE0_EEESZ_S10_S11_S18_S1C_S1E_T6_T7_T9_mT8_S1G_bDpT10_ENKUlT_T0_E_clISt17integral_constantIbLb1EES1T_IbLb0EEEEDaS1P_S1Q_EUlS1P_E_NS1_11comp_targetILNS1_3genE0ELNS1_11target_archE4294967295ELNS1_3gpuE0ELNS1_3repE0EEENS1_30default_config_static_selectorELNS0_4arch9wavefront6targetE0EEEvS12_.num_agpr, 0
	.set _ZN7rocprim17ROCPRIM_400000_NS6detail17trampoline_kernelINS0_13select_configILj256ELj13ELNS0_17block_load_methodE3ELS4_3ELS4_3ELNS0_20block_scan_algorithmE0ELj4294967295EEENS1_25partition_config_selectorILNS1_17partition_subalgoE4EjNS0_10empty_typeEbEEZZNS1_14partition_implILS8_4ELb0ES6_15HIP_vector_typeIjLj2EENS0_17counting_iteratorIjlEEPS9_SG_NS0_5tupleIJPjSI_NS0_16reverse_iteratorISI_EEEEENSH_IJSG_SG_SG_EEES9_SI_JZNS1_25segmented_radix_sort_implINS0_14default_configELb0EPKsPsPKlPlN2at6native12_GLOBAL__N_18offset_tEEE10hipError_tPvRmT1_PNSt15iterator_traitsIS12_E10value_typeET2_T3_PNS13_IS18_E10value_typeET4_jRbjT5_S1E_jjP12ihipStream_tbEUljE_ZNSN_ISO_Lb0ESQ_SR_ST_SU_SY_EESZ_S10_S11_S12_S16_S17_S18_S1B_S1C_jS1D_jS1E_S1E_jjS1G_bEUljE0_EEESZ_S10_S11_S18_S1C_S1E_T6_T7_T9_mT8_S1G_bDpT10_ENKUlT_T0_E_clISt17integral_constantIbLb1EES1T_IbLb0EEEEDaS1P_S1Q_EUlS1P_E_NS1_11comp_targetILNS1_3genE0ELNS1_11target_archE4294967295ELNS1_3gpuE0ELNS1_3repE0EEENS1_30default_config_static_selectorELNS0_4arch9wavefront6targetE0EEEvS12_.numbered_sgpr, 0
	.set _ZN7rocprim17ROCPRIM_400000_NS6detail17trampoline_kernelINS0_13select_configILj256ELj13ELNS0_17block_load_methodE3ELS4_3ELS4_3ELNS0_20block_scan_algorithmE0ELj4294967295EEENS1_25partition_config_selectorILNS1_17partition_subalgoE4EjNS0_10empty_typeEbEEZZNS1_14partition_implILS8_4ELb0ES6_15HIP_vector_typeIjLj2EENS0_17counting_iteratorIjlEEPS9_SG_NS0_5tupleIJPjSI_NS0_16reverse_iteratorISI_EEEEENSH_IJSG_SG_SG_EEES9_SI_JZNS1_25segmented_radix_sort_implINS0_14default_configELb0EPKsPsPKlPlN2at6native12_GLOBAL__N_18offset_tEEE10hipError_tPvRmT1_PNSt15iterator_traitsIS12_E10value_typeET2_T3_PNS13_IS18_E10value_typeET4_jRbjT5_S1E_jjP12ihipStream_tbEUljE_ZNSN_ISO_Lb0ESQ_SR_ST_SU_SY_EESZ_S10_S11_S12_S16_S17_S18_S1B_S1C_jS1D_jS1E_S1E_jjS1G_bEUljE0_EEESZ_S10_S11_S18_S1C_S1E_T6_T7_T9_mT8_S1G_bDpT10_ENKUlT_T0_E_clISt17integral_constantIbLb1EES1T_IbLb0EEEEDaS1P_S1Q_EUlS1P_E_NS1_11comp_targetILNS1_3genE0ELNS1_11target_archE4294967295ELNS1_3gpuE0ELNS1_3repE0EEENS1_30default_config_static_selectorELNS0_4arch9wavefront6targetE0EEEvS12_.num_named_barrier, 0
	.set _ZN7rocprim17ROCPRIM_400000_NS6detail17trampoline_kernelINS0_13select_configILj256ELj13ELNS0_17block_load_methodE3ELS4_3ELS4_3ELNS0_20block_scan_algorithmE0ELj4294967295EEENS1_25partition_config_selectorILNS1_17partition_subalgoE4EjNS0_10empty_typeEbEEZZNS1_14partition_implILS8_4ELb0ES6_15HIP_vector_typeIjLj2EENS0_17counting_iteratorIjlEEPS9_SG_NS0_5tupleIJPjSI_NS0_16reverse_iteratorISI_EEEEENSH_IJSG_SG_SG_EEES9_SI_JZNS1_25segmented_radix_sort_implINS0_14default_configELb0EPKsPsPKlPlN2at6native12_GLOBAL__N_18offset_tEEE10hipError_tPvRmT1_PNSt15iterator_traitsIS12_E10value_typeET2_T3_PNS13_IS18_E10value_typeET4_jRbjT5_S1E_jjP12ihipStream_tbEUljE_ZNSN_ISO_Lb0ESQ_SR_ST_SU_SY_EESZ_S10_S11_S12_S16_S17_S18_S1B_S1C_jS1D_jS1E_S1E_jjS1G_bEUljE0_EEESZ_S10_S11_S18_S1C_S1E_T6_T7_T9_mT8_S1G_bDpT10_ENKUlT_T0_E_clISt17integral_constantIbLb1EES1T_IbLb0EEEEDaS1P_S1Q_EUlS1P_E_NS1_11comp_targetILNS1_3genE0ELNS1_11target_archE4294967295ELNS1_3gpuE0ELNS1_3repE0EEENS1_30default_config_static_selectorELNS0_4arch9wavefront6targetE0EEEvS12_.private_seg_size, 0
	.set _ZN7rocprim17ROCPRIM_400000_NS6detail17trampoline_kernelINS0_13select_configILj256ELj13ELNS0_17block_load_methodE3ELS4_3ELS4_3ELNS0_20block_scan_algorithmE0ELj4294967295EEENS1_25partition_config_selectorILNS1_17partition_subalgoE4EjNS0_10empty_typeEbEEZZNS1_14partition_implILS8_4ELb0ES6_15HIP_vector_typeIjLj2EENS0_17counting_iteratorIjlEEPS9_SG_NS0_5tupleIJPjSI_NS0_16reverse_iteratorISI_EEEEENSH_IJSG_SG_SG_EEES9_SI_JZNS1_25segmented_radix_sort_implINS0_14default_configELb0EPKsPsPKlPlN2at6native12_GLOBAL__N_18offset_tEEE10hipError_tPvRmT1_PNSt15iterator_traitsIS12_E10value_typeET2_T3_PNS13_IS18_E10value_typeET4_jRbjT5_S1E_jjP12ihipStream_tbEUljE_ZNSN_ISO_Lb0ESQ_SR_ST_SU_SY_EESZ_S10_S11_S12_S16_S17_S18_S1B_S1C_jS1D_jS1E_S1E_jjS1G_bEUljE0_EEESZ_S10_S11_S18_S1C_S1E_T6_T7_T9_mT8_S1G_bDpT10_ENKUlT_T0_E_clISt17integral_constantIbLb1EES1T_IbLb0EEEEDaS1P_S1Q_EUlS1P_E_NS1_11comp_targetILNS1_3genE0ELNS1_11target_archE4294967295ELNS1_3gpuE0ELNS1_3repE0EEENS1_30default_config_static_selectorELNS0_4arch9wavefront6targetE0EEEvS12_.uses_vcc, 0
	.set _ZN7rocprim17ROCPRIM_400000_NS6detail17trampoline_kernelINS0_13select_configILj256ELj13ELNS0_17block_load_methodE3ELS4_3ELS4_3ELNS0_20block_scan_algorithmE0ELj4294967295EEENS1_25partition_config_selectorILNS1_17partition_subalgoE4EjNS0_10empty_typeEbEEZZNS1_14partition_implILS8_4ELb0ES6_15HIP_vector_typeIjLj2EENS0_17counting_iteratorIjlEEPS9_SG_NS0_5tupleIJPjSI_NS0_16reverse_iteratorISI_EEEEENSH_IJSG_SG_SG_EEES9_SI_JZNS1_25segmented_radix_sort_implINS0_14default_configELb0EPKsPsPKlPlN2at6native12_GLOBAL__N_18offset_tEEE10hipError_tPvRmT1_PNSt15iterator_traitsIS12_E10value_typeET2_T3_PNS13_IS18_E10value_typeET4_jRbjT5_S1E_jjP12ihipStream_tbEUljE_ZNSN_ISO_Lb0ESQ_SR_ST_SU_SY_EESZ_S10_S11_S12_S16_S17_S18_S1B_S1C_jS1D_jS1E_S1E_jjS1G_bEUljE0_EEESZ_S10_S11_S18_S1C_S1E_T6_T7_T9_mT8_S1G_bDpT10_ENKUlT_T0_E_clISt17integral_constantIbLb1EES1T_IbLb0EEEEDaS1P_S1Q_EUlS1P_E_NS1_11comp_targetILNS1_3genE0ELNS1_11target_archE4294967295ELNS1_3gpuE0ELNS1_3repE0EEENS1_30default_config_static_selectorELNS0_4arch9wavefront6targetE0EEEvS12_.uses_flat_scratch, 0
	.set _ZN7rocprim17ROCPRIM_400000_NS6detail17trampoline_kernelINS0_13select_configILj256ELj13ELNS0_17block_load_methodE3ELS4_3ELS4_3ELNS0_20block_scan_algorithmE0ELj4294967295EEENS1_25partition_config_selectorILNS1_17partition_subalgoE4EjNS0_10empty_typeEbEEZZNS1_14partition_implILS8_4ELb0ES6_15HIP_vector_typeIjLj2EENS0_17counting_iteratorIjlEEPS9_SG_NS0_5tupleIJPjSI_NS0_16reverse_iteratorISI_EEEEENSH_IJSG_SG_SG_EEES9_SI_JZNS1_25segmented_radix_sort_implINS0_14default_configELb0EPKsPsPKlPlN2at6native12_GLOBAL__N_18offset_tEEE10hipError_tPvRmT1_PNSt15iterator_traitsIS12_E10value_typeET2_T3_PNS13_IS18_E10value_typeET4_jRbjT5_S1E_jjP12ihipStream_tbEUljE_ZNSN_ISO_Lb0ESQ_SR_ST_SU_SY_EESZ_S10_S11_S12_S16_S17_S18_S1B_S1C_jS1D_jS1E_S1E_jjS1G_bEUljE0_EEESZ_S10_S11_S18_S1C_S1E_T6_T7_T9_mT8_S1G_bDpT10_ENKUlT_T0_E_clISt17integral_constantIbLb1EES1T_IbLb0EEEEDaS1P_S1Q_EUlS1P_E_NS1_11comp_targetILNS1_3genE0ELNS1_11target_archE4294967295ELNS1_3gpuE0ELNS1_3repE0EEENS1_30default_config_static_selectorELNS0_4arch9wavefront6targetE0EEEvS12_.has_dyn_sized_stack, 0
	.set _ZN7rocprim17ROCPRIM_400000_NS6detail17trampoline_kernelINS0_13select_configILj256ELj13ELNS0_17block_load_methodE3ELS4_3ELS4_3ELNS0_20block_scan_algorithmE0ELj4294967295EEENS1_25partition_config_selectorILNS1_17partition_subalgoE4EjNS0_10empty_typeEbEEZZNS1_14partition_implILS8_4ELb0ES6_15HIP_vector_typeIjLj2EENS0_17counting_iteratorIjlEEPS9_SG_NS0_5tupleIJPjSI_NS0_16reverse_iteratorISI_EEEEENSH_IJSG_SG_SG_EEES9_SI_JZNS1_25segmented_radix_sort_implINS0_14default_configELb0EPKsPsPKlPlN2at6native12_GLOBAL__N_18offset_tEEE10hipError_tPvRmT1_PNSt15iterator_traitsIS12_E10value_typeET2_T3_PNS13_IS18_E10value_typeET4_jRbjT5_S1E_jjP12ihipStream_tbEUljE_ZNSN_ISO_Lb0ESQ_SR_ST_SU_SY_EESZ_S10_S11_S12_S16_S17_S18_S1B_S1C_jS1D_jS1E_S1E_jjS1G_bEUljE0_EEESZ_S10_S11_S18_S1C_S1E_T6_T7_T9_mT8_S1G_bDpT10_ENKUlT_T0_E_clISt17integral_constantIbLb1EES1T_IbLb0EEEEDaS1P_S1Q_EUlS1P_E_NS1_11comp_targetILNS1_3genE0ELNS1_11target_archE4294967295ELNS1_3gpuE0ELNS1_3repE0EEENS1_30default_config_static_selectorELNS0_4arch9wavefront6targetE0EEEvS12_.has_recursion, 0
	.set _ZN7rocprim17ROCPRIM_400000_NS6detail17trampoline_kernelINS0_13select_configILj256ELj13ELNS0_17block_load_methodE3ELS4_3ELS4_3ELNS0_20block_scan_algorithmE0ELj4294967295EEENS1_25partition_config_selectorILNS1_17partition_subalgoE4EjNS0_10empty_typeEbEEZZNS1_14partition_implILS8_4ELb0ES6_15HIP_vector_typeIjLj2EENS0_17counting_iteratorIjlEEPS9_SG_NS0_5tupleIJPjSI_NS0_16reverse_iteratorISI_EEEEENSH_IJSG_SG_SG_EEES9_SI_JZNS1_25segmented_radix_sort_implINS0_14default_configELb0EPKsPsPKlPlN2at6native12_GLOBAL__N_18offset_tEEE10hipError_tPvRmT1_PNSt15iterator_traitsIS12_E10value_typeET2_T3_PNS13_IS18_E10value_typeET4_jRbjT5_S1E_jjP12ihipStream_tbEUljE_ZNSN_ISO_Lb0ESQ_SR_ST_SU_SY_EESZ_S10_S11_S12_S16_S17_S18_S1B_S1C_jS1D_jS1E_S1E_jjS1G_bEUljE0_EEESZ_S10_S11_S18_S1C_S1E_T6_T7_T9_mT8_S1G_bDpT10_ENKUlT_T0_E_clISt17integral_constantIbLb1EES1T_IbLb0EEEEDaS1P_S1Q_EUlS1P_E_NS1_11comp_targetILNS1_3genE0ELNS1_11target_archE4294967295ELNS1_3gpuE0ELNS1_3repE0EEENS1_30default_config_static_selectorELNS0_4arch9wavefront6targetE0EEEvS12_.has_indirect_call, 0
	.section	.AMDGPU.csdata,"",@progbits
; Kernel info:
; codeLenInByte = 0
; TotalNumSgprs: 0
; NumVgprs: 0
; ScratchSize: 0
; MemoryBound: 0
; FloatMode: 240
; IeeeMode: 1
; LDSByteSize: 0 bytes/workgroup (compile time only)
; SGPRBlocks: 0
; VGPRBlocks: 0
; NumSGPRsForWavesPerEU: 1
; NumVGPRsForWavesPerEU: 1
; Occupancy: 16
; WaveLimiterHint : 0
; COMPUTE_PGM_RSRC2:SCRATCH_EN: 0
; COMPUTE_PGM_RSRC2:USER_SGPR: 6
; COMPUTE_PGM_RSRC2:TRAP_HANDLER: 0
; COMPUTE_PGM_RSRC2:TGID_X_EN: 1
; COMPUTE_PGM_RSRC2:TGID_Y_EN: 0
; COMPUTE_PGM_RSRC2:TGID_Z_EN: 0
; COMPUTE_PGM_RSRC2:TIDIG_COMP_CNT: 0
	.section	.text._ZN7rocprim17ROCPRIM_400000_NS6detail17trampoline_kernelINS0_13select_configILj256ELj13ELNS0_17block_load_methodE3ELS4_3ELS4_3ELNS0_20block_scan_algorithmE0ELj4294967295EEENS1_25partition_config_selectorILNS1_17partition_subalgoE4EjNS0_10empty_typeEbEEZZNS1_14partition_implILS8_4ELb0ES6_15HIP_vector_typeIjLj2EENS0_17counting_iteratorIjlEEPS9_SG_NS0_5tupleIJPjSI_NS0_16reverse_iteratorISI_EEEEENSH_IJSG_SG_SG_EEES9_SI_JZNS1_25segmented_radix_sort_implINS0_14default_configELb0EPKsPsPKlPlN2at6native12_GLOBAL__N_18offset_tEEE10hipError_tPvRmT1_PNSt15iterator_traitsIS12_E10value_typeET2_T3_PNS13_IS18_E10value_typeET4_jRbjT5_S1E_jjP12ihipStream_tbEUljE_ZNSN_ISO_Lb0ESQ_SR_ST_SU_SY_EESZ_S10_S11_S12_S16_S17_S18_S1B_S1C_jS1D_jS1E_S1E_jjS1G_bEUljE0_EEESZ_S10_S11_S18_S1C_S1E_T6_T7_T9_mT8_S1G_bDpT10_ENKUlT_T0_E_clISt17integral_constantIbLb1EES1T_IbLb0EEEEDaS1P_S1Q_EUlS1P_E_NS1_11comp_targetILNS1_3genE5ELNS1_11target_archE942ELNS1_3gpuE9ELNS1_3repE0EEENS1_30default_config_static_selectorELNS0_4arch9wavefront6targetE0EEEvS12_,"axG",@progbits,_ZN7rocprim17ROCPRIM_400000_NS6detail17trampoline_kernelINS0_13select_configILj256ELj13ELNS0_17block_load_methodE3ELS4_3ELS4_3ELNS0_20block_scan_algorithmE0ELj4294967295EEENS1_25partition_config_selectorILNS1_17partition_subalgoE4EjNS0_10empty_typeEbEEZZNS1_14partition_implILS8_4ELb0ES6_15HIP_vector_typeIjLj2EENS0_17counting_iteratorIjlEEPS9_SG_NS0_5tupleIJPjSI_NS0_16reverse_iteratorISI_EEEEENSH_IJSG_SG_SG_EEES9_SI_JZNS1_25segmented_radix_sort_implINS0_14default_configELb0EPKsPsPKlPlN2at6native12_GLOBAL__N_18offset_tEEE10hipError_tPvRmT1_PNSt15iterator_traitsIS12_E10value_typeET2_T3_PNS13_IS18_E10value_typeET4_jRbjT5_S1E_jjP12ihipStream_tbEUljE_ZNSN_ISO_Lb0ESQ_SR_ST_SU_SY_EESZ_S10_S11_S12_S16_S17_S18_S1B_S1C_jS1D_jS1E_S1E_jjS1G_bEUljE0_EEESZ_S10_S11_S18_S1C_S1E_T6_T7_T9_mT8_S1G_bDpT10_ENKUlT_T0_E_clISt17integral_constantIbLb1EES1T_IbLb0EEEEDaS1P_S1Q_EUlS1P_E_NS1_11comp_targetILNS1_3genE5ELNS1_11target_archE942ELNS1_3gpuE9ELNS1_3repE0EEENS1_30default_config_static_selectorELNS0_4arch9wavefront6targetE0EEEvS12_,comdat
	.globl	_ZN7rocprim17ROCPRIM_400000_NS6detail17trampoline_kernelINS0_13select_configILj256ELj13ELNS0_17block_load_methodE3ELS4_3ELS4_3ELNS0_20block_scan_algorithmE0ELj4294967295EEENS1_25partition_config_selectorILNS1_17partition_subalgoE4EjNS0_10empty_typeEbEEZZNS1_14partition_implILS8_4ELb0ES6_15HIP_vector_typeIjLj2EENS0_17counting_iteratorIjlEEPS9_SG_NS0_5tupleIJPjSI_NS0_16reverse_iteratorISI_EEEEENSH_IJSG_SG_SG_EEES9_SI_JZNS1_25segmented_radix_sort_implINS0_14default_configELb0EPKsPsPKlPlN2at6native12_GLOBAL__N_18offset_tEEE10hipError_tPvRmT1_PNSt15iterator_traitsIS12_E10value_typeET2_T3_PNS13_IS18_E10value_typeET4_jRbjT5_S1E_jjP12ihipStream_tbEUljE_ZNSN_ISO_Lb0ESQ_SR_ST_SU_SY_EESZ_S10_S11_S12_S16_S17_S18_S1B_S1C_jS1D_jS1E_S1E_jjS1G_bEUljE0_EEESZ_S10_S11_S18_S1C_S1E_T6_T7_T9_mT8_S1G_bDpT10_ENKUlT_T0_E_clISt17integral_constantIbLb1EES1T_IbLb0EEEEDaS1P_S1Q_EUlS1P_E_NS1_11comp_targetILNS1_3genE5ELNS1_11target_archE942ELNS1_3gpuE9ELNS1_3repE0EEENS1_30default_config_static_selectorELNS0_4arch9wavefront6targetE0EEEvS12_ ; -- Begin function _ZN7rocprim17ROCPRIM_400000_NS6detail17trampoline_kernelINS0_13select_configILj256ELj13ELNS0_17block_load_methodE3ELS4_3ELS4_3ELNS0_20block_scan_algorithmE0ELj4294967295EEENS1_25partition_config_selectorILNS1_17partition_subalgoE4EjNS0_10empty_typeEbEEZZNS1_14partition_implILS8_4ELb0ES6_15HIP_vector_typeIjLj2EENS0_17counting_iteratorIjlEEPS9_SG_NS0_5tupleIJPjSI_NS0_16reverse_iteratorISI_EEEEENSH_IJSG_SG_SG_EEES9_SI_JZNS1_25segmented_radix_sort_implINS0_14default_configELb0EPKsPsPKlPlN2at6native12_GLOBAL__N_18offset_tEEE10hipError_tPvRmT1_PNSt15iterator_traitsIS12_E10value_typeET2_T3_PNS13_IS18_E10value_typeET4_jRbjT5_S1E_jjP12ihipStream_tbEUljE_ZNSN_ISO_Lb0ESQ_SR_ST_SU_SY_EESZ_S10_S11_S12_S16_S17_S18_S1B_S1C_jS1D_jS1E_S1E_jjS1G_bEUljE0_EEESZ_S10_S11_S18_S1C_S1E_T6_T7_T9_mT8_S1G_bDpT10_ENKUlT_T0_E_clISt17integral_constantIbLb1EES1T_IbLb0EEEEDaS1P_S1Q_EUlS1P_E_NS1_11comp_targetILNS1_3genE5ELNS1_11target_archE942ELNS1_3gpuE9ELNS1_3repE0EEENS1_30default_config_static_selectorELNS0_4arch9wavefront6targetE0EEEvS12_
	.p2align	8
	.type	_ZN7rocprim17ROCPRIM_400000_NS6detail17trampoline_kernelINS0_13select_configILj256ELj13ELNS0_17block_load_methodE3ELS4_3ELS4_3ELNS0_20block_scan_algorithmE0ELj4294967295EEENS1_25partition_config_selectorILNS1_17partition_subalgoE4EjNS0_10empty_typeEbEEZZNS1_14partition_implILS8_4ELb0ES6_15HIP_vector_typeIjLj2EENS0_17counting_iteratorIjlEEPS9_SG_NS0_5tupleIJPjSI_NS0_16reverse_iteratorISI_EEEEENSH_IJSG_SG_SG_EEES9_SI_JZNS1_25segmented_radix_sort_implINS0_14default_configELb0EPKsPsPKlPlN2at6native12_GLOBAL__N_18offset_tEEE10hipError_tPvRmT1_PNSt15iterator_traitsIS12_E10value_typeET2_T3_PNS13_IS18_E10value_typeET4_jRbjT5_S1E_jjP12ihipStream_tbEUljE_ZNSN_ISO_Lb0ESQ_SR_ST_SU_SY_EESZ_S10_S11_S12_S16_S17_S18_S1B_S1C_jS1D_jS1E_S1E_jjS1G_bEUljE0_EEESZ_S10_S11_S18_S1C_S1E_T6_T7_T9_mT8_S1G_bDpT10_ENKUlT_T0_E_clISt17integral_constantIbLb1EES1T_IbLb0EEEEDaS1P_S1Q_EUlS1P_E_NS1_11comp_targetILNS1_3genE5ELNS1_11target_archE942ELNS1_3gpuE9ELNS1_3repE0EEENS1_30default_config_static_selectorELNS0_4arch9wavefront6targetE0EEEvS12_,@function
_ZN7rocprim17ROCPRIM_400000_NS6detail17trampoline_kernelINS0_13select_configILj256ELj13ELNS0_17block_load_methodE3ELS4_3ELS4_3ELNS0_20block_scan_algorithmE0ELj4294967295EEENS1_25partition_config_selectorILNS1_17partition_subalgoE4EjNS0_10empty_typeEbEEZZNS1_14partition_implILS8_4ELb0ES6_15HIP_vector_typeIjLj2EENS0_17counting_iteratorIjlEEPS9_SG_NS0_5tupleIJPjSI_NS0_16reverse_iteratorISI_EEEEENSH_IJSG_SG_SG_EEES9_SI_JZNS1_25segmented_radix_sort_implINS0_14default_configELb0EPKsPsPKlPlN2at6native12_GLOBAL__N_18offset_tEEE10hipError_tPvRmT1_PNSt15iterator_traitsIS12_E10value_typeET2_T3_PNS13_IS18_E10value_typeET4_jRbjT5_S1E_jjP12ihipStream_tbEUljE_ZNSN_ISO_Lb0ESQ_SR_ST_SU_SY_EESZ_S10_S11_S12_S16_S17_S18_S1B_S1C_jS1D_jS1E_S1E_jjS1G_bEUljE0_EEESZ_S10_S11_S18_S1C_S1E_T6_T7_T9_mT8_S1G_bDpT10_ENKUlT_T0_E_clISt17integral_constantIbLb1EES1T_IbLb0EEEEDaS1P_S1Q_EUlS1P_E_NS1_11comp_targetILNS1_3genE5ELNS1_11target_archE942ELNS1_3gpuE9ELNS1_3repE0EEENS1_30default_config_static_selectorELNS0_4arch9wavefront6targetE0EEEvS12_: ; @_ZN7rocprim17ROCPRIM_400000_NS6detail17trampoline_kernelINS0_13select_configILj256ELj13ELNS0_17block_load_methodE3ELS4_3ELS4_3ELNS0_20block_scan_algorithmE0ELj4294967295EEENS1_25partition_config_selectorILNS1_17partition_subalgoE4EjNS0_10empty_typeEbEEZZNS1_14partition_implILS8_4ELb0ES6_15HIP_vector_typeIjLj2EENS0_17counting_iteratorIjlEEPS9_SG_NS0_5tupleIJPjSI_NS0_16reverse_iteratorISI_EEEEENSH_IJSG_SG_SG_EEES9_SI_JZNS1_25segmented_radix_sort_implINS0_14default_configELb0EPKsPsPKlPlN2at6native12_GLOBAL__N_18offset_tEEE10hipError_tPvRmT1_PNSt15iterator_traitsIS12_E10value_typeET2_T3_PNS13_IS18_E10value_typeET4_jRbjT5_S1E_jjP12ihipStream_tbEUljE_ZNSN_ISO_Lb0ESQ_SR_ST_SU_SY_EESZ_S10_S11_S12_S16_S17_S18_S1B_S1C_jS1D_jS1E_S1E_jjS1G_bEUljE0_EEESZ_S10_S11_S18_S1C_S1E_T6_T7_T9_mT8_S1G_bDpT10_ENKUlT_T0_E_clISt17integral_constantIbLb1EES1T_IbLb0EEEEDaS1P_S1Q_EUlS1P_E_NS1_11comp_targetILNS1_3genE5ELNS1_11target_archE942ELNS1_3gpuE9ELNS1_3repE0EEENS1_30default_config_static_selectorELNS0_4arch9wavefront6targetE0EEEvS12_
; %bb.0:
	.section	.rodata,"a",@progbits
	.p2align	6, 0x0
	.amdhsa_kernel _ZN7rocprim17ROCPRIM_400000_NS6detail17trampoline_kernelINS0_13select_configILj256ELj13ELNS0_17block_load_methodE3ELS4_3ELS4_3ELNS0_20block_scan_algorithmE0ELj4294967295EEENS1_25partition_config_selectorILNS1_17partition_subalgoE4EjNS0_10empty_typeEbEEZZNS1_14partition_implILS8_4ELb0ES6_15HIP_vector_typeIjLj2EENS0_17counting_iteratorIjlEEPS9_SG_NS0_5tupleIJPjSI_NS0_16reverse_iteratorISI_EEEEENSH_IJSG_SG_SG_EEES9_SI_JZNS1_25segmented_radix_sort_implINS0_14default_configELb0EPKsPsPKlPlN2at6native12_GLOBAL__N_18offset_tEEE10hipError_tPvRmT1_PNSt15iterator_traitsIS12_E10value_typeET2_T3_PNS13_IS18_E10value_typeET4_jRbjT5_S1E_jjP12ihipStream_tbEUljE_ZNSN_ISO_Lb0ESQ_SR_ST_SU_SY_EESZ_S10_S11_S12_S16_S17_S18_S1B_S1C_jS1D_jS1E_S1E_jjS1G_bEUljE0_EEESZ_S10_S11_S18_S1C_S1E_T6_T7_T9_mT8_S1G_bDpT10_ENKUlT_T0_E_clISt17integral_constantIbLb1EES1T_IbLb0EEEEDaS1P_S1Q_EUlS1P_E_NS1_11comp_targetILNS1_3genE5ELNS1_11target_archE942ELNS1_3gpuE9ELNS1_3repE0EEENS1_30default_config_static_selectorELNS0_4arch9wavefront6targetE0EEEvS12_
		.amdhsa_group_segment_fixed_size 0
		.amdhsa_private_segment_fixed_size 0
		.amdhsa_kernarg_size 176
		.amdhsa_user_sgpr_count 6
		.amdhsa_user_sgpr_private_segment_buffer 1
		.amdhsa_user_sgpr_dispatch_ptr 0
		.amdhsa_user_sgpr_queue_ptr 0
		.amdhsa_user_sgpr_kernarg_segment_ptr 1
		.amdhsa_user_sgpr_dispatch_id 0
		.amdhsa_user_sgpr_flat_scratch_init 0
		.amdhsa_user_sgpr_private_segment_size 0
		.amdhsa_wavefront_size32 1
		.amdhsa_uses_dynamic_stack 0
		.amdhsa_system_sgpr_private_segment_wavefront_offset 0
		.amdhsa_system_sgpr_workgroup_id_x 1
		.amdhsa_system_sgpr_workgroup_id_y 0
		.amdhsa_system_sgpr_workgroup_id_z 0
		.amdhsa_system_sgpr_workgroup_info 0
		.amdhsa_system_vgpr_workitem_id 0
		.amdhsa_next_free_vgpr 1
		.amdhsa_next_free_sgpr 1
		.amdhsa_reserve_vcc 0
		.amdhsa_reserve_flat_scratch 0
		.amdhsa_float_round_mode_32 0
		.amdhsa_float_round_mode_16_64 0
		.amdhsa_float_denorm_mode_32 3
		.amdhsa_float_denorm_mode_16_64 3
		.amdhsa_dx10_clamp 1
		.amdhsa_ieee_mode 1
		.amdhsa_fp16_overflow 0
		.amdhsa_workgroup_processor_mode 1
		.amdhsa_memory_ordered 1
		.amdhsa_forward_progress 1
		.amdhsa_shared_vgpr_count 0
		.amdhsa_exception_fp_ieee_invalid_op 0
		.amdhsa_exception_fp_denorm_src 0
		.amdhsa_exception_fp_ieee_div_zero 0
		.amdhsa_exception_fp_ieee_overflow 0
		.amdhsa_exception_fp_ieee_underflow 0
		.amdhsa_exception_fp_ieee_inexact 0
		.amdhsa_exception_int_div_zero 0
	.end_amdhsa_kernel
	.section	.text._ZN7rocprim17ROCPRIM_400000_NS6detail17trampoline_kernelINS0_13select_configILj256ELj13ELNS0_17block_load_methodE3ELS4_3ELS4_3ELNS0_20block_scan_algorithmE0ELj4294967295EEENS1_25partition_config_selectorILNS1_17partition_subalgoE4EjNS0_10empty_typeEbEEZZNS1_14partition_implILS8_4ELb0ES6_15HIP_vector_typeIjLj2EENS0_17counting_iteratorIjlEEPS9_SG_NS0_5tupleIJPjSI_NS0_16reverse_iteratorISI_EEEEENSH_IJSG_SG_SG_EEES9_SI_JZNS1_25segmented_radix_sort_implINS0_14default_configELb0EPKsPsPKlPlN2at6native12_GLOBAL__N_18offset_tEEE10hipError_tPvRmT1_PNSt15iterator_traitsIS12_E10value_typeET2_T3_PNS13_IS18_E10value_typeET4_jRbjT5_S1E_jjP12ihipStream_tbEUljE_ZNSN_ISO_Lb0ESQ_SR_ST_SU_SY_EESZ_S10_S11_S12_S16_S17_S18_S1B_S1C_jS1D_jS1E_S1E_jjS1G_bEUljE0_EEESZ_S10_S11_S18_S1C_S1E_T6_T7_T9_mT8_S1G_bDpT10_ENKUlT_T0_E_clISt17integral_constantIbLb1EES1T_IbLb0EEEEDaS1P_S1Q_EUlS1P_E_NS1_11comp_targetILNS1_3genE5ELNS1_11target_archE942ELNS1_3gpuE9ELNS1_3repE0EEENS1_30default_config_static_selectorELNS0_4arch9wavefront6targetE0EEEvS12_,"axG",@progbits,_ZN7rocprim17ROCPRIM_400000_NS6detail17trampoline_kernelINS0_13select_configILj256ELj13ELNS0_17block_load_methodE3ELS4_3ELS4_3ELNS0_20block_scan_algorithmE0ELj4294967295EEENS1_25partition_config_selectorILNS1_17partition_subalgoE4EjNS0_10empty_typeEbEEZZNS1_14partition_implILS8_4ELb0ES6_15HIP_vector_typeIjLj2EENS0_17counting_iteratorIjlEEPS9_SG_NS0_5tupleIJPjSI_NS0_16reverse_iteratorISI_EEEEENSH_IJSG_SG_SG_EEES9_SI_JZNS1_25segmented_radix_sort_implINS0_14default_configELb0EPKsPsPKlPlN2at6native12_GLOBAL__N_18offset_tEEE10hipError_tPvRmT1_PNSt15iterator_traitsIS12_E10value_typeET2_T3_PNS13_IS18_E10value_typeET4_jRbjT5_S1E_jjP12ihipStream_tbEUljE_ZNSN_ISO_Lb0ESQ_SR_ST_SU_SY_EESZ_S10_S11_S12_S16_S17_S18_S1B_S1C_jS1D_jS1E_S1E_jjS1G_bEUljE0_EEESZ_S10_S11_S18_S1C_S1E_T6_T7_T9_mT8_S1G_bDpT10_ENKUlT_T0_E_clISt17integral_constantIbLb1EES1T_IbLb0EEEEDaS1P_S1Q_EUlS1P_E_NS1_11comp_targetILNS1_3genE5ELNS1_11target_archE942ELNS1_3gpuE9ELNS1_3repE0EEENS1_30default_config_static_selectorELNS0_4arch9wavefront6targetE0EEEvS12_,comdat
.Lfunc_end960:
	.size	_ZN7rocprim17ROCPRIM_400000_NS6detail17trampoline_kernelINS0_13select_configILj256ELj13ELNS0_17block_load_methodE3ELS4_3ELS4_3ELNS0_20block_scan_algorithmE0ELj4294967295EEENS1_25partition_config_selectorILNS1_17partition_subalgoE4EjNS0_10empty_typeEbEEZZNS1_14partition_implILS8_4ELb0ES6_15HIP_vector_typeIjLj2EENS0_17counting_iteratorIjlEEPS9_SG_NS0_5tupleIJPjSI_NS0_16reverse_iteratorISI_EEEEENSH_IJSG_SG_SG_EEES9_SI_JZNS1_25segmented_radix_sort_implINS0_14default_configELb0EPKsPsPKlPlN2at6native12_GLOBAL__N_18offset_tEEE10hipError_tPvRmT1_PNSt15iterator_traitsIS12_E10value_typeET2_T3_PNS13_IS18_E10value_typeET4_jRbjT5_S1E_jjP12ihipStream_tbEUljE_ZNSN_ISO_Lb0ESQ_SR_ST_SU_SY_EESZ_S10_S11_S12_S16_S17_S18_S1B_S1C_jS1D_jS1E_S1E_jjS1G_bEUljE0_EEESZ_S10_S11_S18_S1C_S1E_T6_T7_T9_mT8_S1G_bDpT10_ENKUlT_T0_E_clISt17integral_constantIbLb1EES1T_IbLb0EEEEDaS1P_S1Q_EUlS1P_E_NS1_11comp_targetILNS1_3genE5ELNS1_11target_archE942ELNS1_3gpuE9ELNS1_3repE0EEENS1_30default_config_static_selectorELNS0_4arch9wavefront6targetE0EEEvS12_, .Lfunc_end960-_ZN7rocprim17ROCPRIM_400000_NS6detail17trampoline_kernelINS0_13select_configILj256ELj13ELNS0_17block_load_methodE3ELS4_3ELS4_3ELNS0_20block_scan_algorithmE0ELj4294967295EEENS1_25partition_config_selectorILNS1_17partition_subalgoE4EjNS0_10empty_typeEbEEZZNS1_14partition_implILS8_4ELb0ES6_15HIP_vector_typeIjLj2EENS0_17counting_iteratorIjlEEPS9_SG_NS0_5tupleIJPjSI_NS0_16reverse_iteratorISI_EEEEENSH_IJSG_SG_SG_EEES9_SI_JZNS1_25segmented_radix_sort_implINS0_14default_configELb0EPKsPsPKlPlN2at6native12_GLOBAL__N_18offset_tEEE10hipError_tPvRmT1_PNSt15iterator_traitsIS12_E10value_typeET2_T3_PNS13_IS18_E10value_typeET4_jRbjT5_S1E_jjP12ihipStream_tbEUljE_ZNSN_ISO_Lb0ESQ_SR_ST_SU_SY_EESZ_S10_S11_S12_S16_S17_S18_S1B_S1C_jS1D_jS1E_S1E_jjS1G_bEUljE0_EEESZ_S10_S11_S18_S1C_S1E_T6_T7_T9_mT8_S1G_bDpT10_ENKUlT_T0_E_clISt17integral_constantIbLb1EES1T_IbLb0EEEEDaS1P_S1Q_EUlS1P_E_NS1_11comp_targetILNS1_3genE5ELNS1_11target_archE942ELNS1_3gpuE9ELNS1_3repE0EEENS1_30default_config_static_selectorELNS0_4arch9wavefront6targetE0EEEvS12_
                                        ; -- End function
	.set _ZN7rocprim17ROCPRIM_400000_NS6detail17trampoline_kernelINS0_13select_configILj256ELj13ELNS0_17block_load_methodE3ELS4_3ELS4_3ELNS0_20block_scan_algorithmE0ELj4294967295EEENS1_25partition_config_selectorILNS1_17partition_subalgoE4EjNS0_10empty_typeEbEEZZNS1_14partition_implILS8_4ELb0ES6_15HIP_vector_typeIjLj2EENS0_17counting_iteratorIjlEEPS9_SG_NS0_5tupleIJPjSI_NS0_16reverse_iteratorISI_EEEEENSH_IJSG_SG_SG_EEES9_SI_JZNS1_25segmented_radix_sort_implINS0_14default_configELb0EPKsPsPKlPlN2at6native12_GLOBAL__N_18offset_tEEE10hipError_tPvRmT1_PNSt15iterator_traitsIS12_E10value_typeET2_T3_PNS13_IS18_E10value_typeET4_jRbjT5_S1E_jjP12ihipStream_tbEUljE_ZNSN_ISO_Lb0ESQ_SR_ST_SU_SY_EESZ_S10_S11_S12_S16_S17_S18_S1B_S1C_jS1D_jS1E_S1E_jjS1G_bEUljE0_EEESZ_S10_S11_S18_S1C_S1E_T6_T7_T9_mT8_S1G_bDpT10_ENKUlT_T0_E_clISt17integral_constantIbLb1EES1T_IbLb0EEEEDaS1P_S1Q_EUlS1P_E_NS1_11comp_targetILNS1_3genE5ELNS1_11target_archE942ELNS1_3gpuE9ELNS1_3repE0EEENS1_30default_config_static_selectorELNS0_4arch9wavefront6targetE0EEEvS12_.num_vgpr, 0
	.set _ZN7rocprim17ROCPRIM_400000_NS6detail17trampoline_kernelINS0_13select_configILj256ELj13ELNS0_17block_load_methodE3ELS4_3ELS4_3ELNS0_20block_scan_algorithmE0ELj4294967295EEENS1_25partition_config_selectorILNS1_17partition_subalgoE4EjNS0_10empty_typeEbEEZZNS1_14partition_implILS8_4ELb0ES6_15HIP_vector_typeIjLj2EENS0_17counting_iteratorIjlEEPS9_SG_NS0_5tupleIJPjSI_NS0_16reverse_iteratorISI_EEEEENSH_IJSG_SG_SG_EEES9_SI_JZNS1_25segmented_radix_sort_implINS0_14default_configELb0EPKsPsPKlPlN2at6native12_GLOBAL__N_18offset_tEEE10hipError_tPvRmT1_PNSt15iterator_traitsIS12_E10value_typeET2_T3_PNS13_IS18_E10value_typeET4_jRbjT5_S1E_jjP12ihipStream_tbEUljE_ZNSN_ISO_Lb0ESQ_SR_ST_SU_SY_EESZ_S10_S11_S12_S16_S17_S18_S1B_S1C_jS1D_jS1E_S1E_jjS1G_bEUljE0_EEESZ_S10_S11_S18_S1C_S1E_T6_T7_T9_mT8_S1G_bDpT10_ENKUlT_T0_E_clISt17integral_constantIbLb1EES1T_IbLb0EEEEDaS1P_S1Q_EUlS1P_E_NS1_11comp_targetILNS1_3genE5ELNS1_11target_archE942ELNS1_3gpuE9ELNS1_3repE0EEENS1_30default_config_static_selectorELNS0_4arch9wavefront6targetE0EEEvS12_.num_agpr, 0
	.set _ZN7rocprim17ROCPRIM_400000_NS6detail17trampoline_kernelINS0_13select_configILj256ELj13ELNS0_17block_load_methodE3ELS4_3ELS4_3ELNS0_20block_scan_algorithmE0ELj4294967295EEENS1_25partition_config_selectorILNS1_17partition_subalgoE4EjNS0_10empty_typeEbEEZZNS1_14partition_implILS8_4ELb0ES6_15HIP_vector_typeIjLj2EENS0_17counting_iteratorIjlEEPS9_SG_NS0_5tupleIJPjSI_NS0_16reverse_iteratorISI_EEEEENSH_IJSG_SG_SG_EEES9_SI_JZNS1_25segmented_radix_sort_implINS0_14default_configELb0EPKsPsPKlPlN2at6native12_GLOBAL__N_18offset_tEEE10hipError_tPvRmT1_PNSt15iterator_traitsIS12_E10value_typeET2_T3_PNS13_IS18_E10value_typeET4_jRbjT5_S1E_jjP12ihipStream_tbEUljE_ZNSN_ISO_Lb0ESQ_SR_ST_SU_SY_EESZ_S10_S11_S12_S16_S17_S18_S1B_S1C_jS1D_jS1E_S1E_jjS1G_bEUljE0_EEESZ_S10_S11_S18_S1C_S1E_T6_T7_T9_mT8_S1G_bDpT10_ENKUlT_T0_E_clISt17integral_constantIbLb1EES1T_IbLb0EEEEDaS1P_S1Q_EUlS1P_E_NS1_11comp_targetILNS1_3genE5ELNS1_11target_archE942ELNS1_3gpuE9ELNS1_3repE0EEENS1_30default_config_static_selectorELNS0_4arch9wavefront6targetE0EEEvS12_.numbered_sgpr, 0
	.set _ZN7rocprim17ROCPRIM_400000_NS6detail17trampoline_kernelINS0_13select_configILj256ELj13ELNS0_17block_load_methodE3ELS4_3ELS4_3ELNS0_20block_scan_algorithmE0ELj4294967295EEENS1_25partition_config_selectorILNS1_17partition_subalgoE4EjNS0_10empty_typeEbEEZZNS1_14partition_implILS8_4ELb0ES6_15HIP_vector_typeIjLj2EENS0_17counting_iteratorIjlEEPS9_SG_NS0_5tupleIJPjSI_NS0_16reverse_iteratorISI_EEEEENSH_IJSG_SG_SG_EEES9_SI_JZNS1_25segmented_radix_sort_implINS0_14default_configELb0EPKsPsPKlPlN2at6native12_GLOBAL__N_18offset_tEEE10hipError_tPvRmT1_PNSt15iterator_traitsIS12_E10value_typeET2_T3_PNS13_IS18_E10value_typeET4_jRbjT5_S1E_jjP12ihipStream_tbEUljE_ZNSN_ISO_Lb0ESQ_SR_ST_SU_SY_EESZ_S10_S11_S12_S16_S17_S18_S1B_S1C_jS1D_jS1E_S1E_jjS1G_bEUljE0_EEESZ_S10_S11_S18_S1C_S1E_T6_T7_T9_mT8_S1G_bDpT10_ENKUlT_T0_E_clISt17integral_constantIbLb1EES1T_IbLb0EEEEDaS1P_S1Q_EUlS1P_E_NS1_11comp_targetILNS1_3genE5ELNS1_11target_archE942ELNS1_3gpuE9ELNS1_3repE0EEENS1_30default_config_static_selectorELNS0_4arch9wavefront6targetE0EEEvS12_.num_named_barrier, 0
	.set _ZN7rocprim17ROCPRIM_400000_NS6detail17trampoline_kernelINS0_13select_configILj256ELj13ELNS0_17block_load_methodE3ELS4_3ELS4_3ELNS0_20block_scan_algorithmE0ELj4294967295EEENS1_25partition_config_selectorILNS1_17partition_subalgoE4EjNS0_10empty_typeEbEEZZNS1_14partition_implILS8_4ELb0ES6_15HIP_vector_typeIjLj2EENS0_17counting_iteratorIjlEEPS9_SG_NS0_5tupleIJPjSI_NS0_16reverse_iteratorISI_EEEEENSH_IJSG_SG_SG_EEES9_SI_JZNS1_25segmented_radix_sort_implINS0_14default_configELb0EPKsPsPKlPlN2at6native12_GLOBAL__N_18offset_tEEE10hipError_tPvRmT1_PNSt15iterator_traitsIS12_E10value_typeET2_T3_PNS13_IS18_E10value_typeET4_jRbjT5_S1E_jjP12ihipStream_tbEUljE_ZNSN_ISO_Lb0ESQ_SR_ST_SU_SY_EESZ_S10_S11_S12_S16_S17_S18_S1B_S1C_jS1D_jS1E_S1E_jjS1G_bEUljE0_EEESZ_S10_S11_S18_S1C_S1E_T6_T7_T9_mT8_S1G_bDpT10_ENKUlT_T0_E_clISt17integral_constantIbLb1EES1T_IbLb0EEEEDaS1P_S1Q_EUlS1P_E_NS1_11comp_targetILNS1_3genE5ELNS1_11target_archE942ELNS1_3gpuE9ELNS1_3repE0EEENS1_30default_config_static_selectorELNS0_4arch9wavefront6targetE0EEEvS12_.private_seg_size, 0
	.set _ZN7rocprim17ROCPRIM_400000_NS6detail17trampoline_kernelINS0_13select_configILj256ELj13ELNS0_17block_load_methodE3ELS4_3ELS4_3ELNS0_20block_scan_algorithmE0ELj4294967295EEENS1_25partition_config_selectorILNS1_17partition_subalgoE4EjNS0_10empty_typeEbEEZZNS1_14partition_implILS8_4ELb0ES6_15HIP_vector_typeIjLj2EENS0_17counting_iteratorIjlEEPS9_SG_NS0_5tupleIJPjSI_NS0_16reverse_iteratorISI_EEEEENSH_IJSG_SG_SG_EEES9_SI_JZNS1_25segmented_radix_sort_implINS0_14default_configELb0EPKsPsPKlPlN2at6native12_GLOBAL__N_18offset_tEEE10hipError_tPvRmT1_PNSt15iterator_traitsIS12_E10value_typeET2_T3_PNS13_IS18_E10value_typeET4_jRbjT5_S1E_jjP12ihipStream_tbEUljE_ZNSN_ISO_Lb0ESQ_SR_ST_SU_SY_EESZ_S10_S11_S12_S16_S17_S18_S1B_S1C_jS1D_jS1E_S1E_jjS1G_bEUljE0_EEESZ_S10_S11_S18_S1C_S1E_T6_T7_T9_mT8_S1G_bDpT10_ENKUlT_T0_E_clISt17integral_constantIbLb1EES1T_IbLb0EEEEDaS1P_S1Q_EUlS1P_E_NS1_11comp_targetILNS1_3genE5ELNS1_11target_archE942ELNS1_3gpuE9ELNS1_3repE0EEENS1_30default_config_static_selectorELNS0_4arch9wavefront6targetE0EEEvS12_.uses_vcc, 0
	.set _ZN7rocprim17ROCPRIM_400000_NS6detail17trampoline_kernelINS0_13select_configILj256ELj13ELNS0_17block_load_methodE3ELS4_3ELS4_3ELNS0_20block_scan_algorithmE0ELj4294967295EEENS1_25partition_config_selectorILNS1_17partition_subalgoE4EjNS0_10empty_typeEbEEZZNS1_14partition_implILS8_4ELb0ES6_15HIP_vector_typeIjLj2EENS0_17counting_iteratorIjlEEPS9_SG_NS0_5tupleIJPjSI_NS0_16reverse_iteratorISI_EEEEENSH_IJSG_SG_SG_EEES9_SI_JZNS1_25segmented_radix_sort_implINS0_14default_configELb0EPKsPsPKlPlN2at6native12_GLOBAL__N_18offset_tEEE10hipError_tPvRmT1_PNSt15iterator_traitsIS12_E10value_typeET2_T3_PNS13_IS18_E10value_typeET4_jRbjT5_S1E_jjP12ihipStream_tbEUljE_ZNSN_ISO_Lb0ESQ_SR_ST_SU_SY_EESZ_S10_S11_S12_S16_S17_S18_S1B_S1C_jS1D_jS1E_S1E_jjS1G_bEUljE0_EEESZ_S10_S11_S18_S1C_S1E_T6_T7_T9_mT8_S1G_bDpT10_ENKUlT_T0_E_clISt17integral_constantIbLb1EES1T_IbLb0EEEEDaS1P_S1Q_EUlS1P_E_NS1_11comp_targetILNS1_3genE5ELNS1_11target_archE942ELNS1_3gpuE9ELNS1_3repE0EEENS1_30default_config_static_selectorELNS0_4arch9wavefront6targetE0EEEvS12_.uses_flat_scratch, 0
	.set _ZN7rocprim17ROCPRIM_400000_NS6detail17trampoline_kernelINS0_13select_configILj256ELj13ELNS0_17block_load_methodE3ELS4_3ELS4_3ELNS0_20block_scan_algorithmE0ELj4294967295EEENS1_25partition_config_selectorILNS1_17partition_subalgoE4EjNS0_10empty_typeEbEEZZNS1_14partition_implILS8_4ELb0ES6_15HIP_vector_typeIjLj2EENS0_17counting_iteratorIjlEEPS9_SG_NS0_5tupleIJPjSI_NS0_16reverse_iteratorISI_EEEEENSH_IJSG_SG_SG_EEES9_SI_JZNS1_25segmented_radix_sort_implINS0_14default_configELb0EPKsPsPKlPlN2at6native12_GLOBAL__N_18offset_tEEE10hipError_tPvRmT1_PNSt15iterator_traitsIS12_E10value_typeET2_T3_PNS13_IS18_E10value_typeET4_jRbjT5_S1E_jjP12ihipStream_tbEUljE_ZNSN_ISO_Lb0ESQ_SR_ST_SU_SY_EESZ_S10_S11_S12_S16_S17_S18_S1B_S1C_jS1D_jS1E_S1E_jjS1G_bEUljE0_EEESZ_S10_S11_S18_S1C_S1E_T6_T7_T9_mT8_S1G_bDpT10_ENKUlT_T0_E_clISt17integral_constantIbLb1EES1T_IbLb0EEEEDaS1P_S1Q_EUlS1P_E_NS1_11comp_targetILNS1_3genE5ELNS1_11target_archE942ELNS1_3gpuE9ELNS1_3repE0EEENS1_30default_config_static_selectorELNS0_4arch9wavefront6targetE0EEEvS12_.has_dyn_sized_stack, 0
	.set _ZN7rocprim17ROCPRIM_400000_NS6detail17trampoline_kernelINS0_13select_configILj256ELj13ELNS0_17block_load_methodE3ELS4_3ELS4_3ELNS0_20block_scan_algorithmE0ELj4294967295EEENS1_25partition_config_selectorILNS1_17partition_subalgoE4EjNS0_10empty_typeEbEEZZNS1_14partition_implILS8_4ELb0ES6_15HIP_vector_typeIjLj2EENS0_17counting_iteratorIjlEEPS9_SG_NS0_5tupleIJPjSI_NS0_16reverse_iteratorISI_EEEEENSH_IJSG_SG_SG_EEES9_SI_JZNS1_25segmented_radix_sort_implINS0_14default_configELb0EPKsPsPKlPlN2at6native12_GLOBAL__N_18offset_tEEE10hipError_tPvRmT1_PNSt15iterator_traitsIS12_E10value_typeET2_T3_PNS13_IS18_E10value_typeET4_jRbjT5_S1E_jjP12ihipStream_tbEUljE_ZNSN_ISO_Lb0ESQ_SR_ST_SU_SY_EESZ_S10_S11_S12_S16_S17_S18_S1B_S1C_jS1D_jS1E_S1E_jjS1G_bEUljE0_EEESZ_S10_S11_S18_S1C_S1E_T6_T7_T9_mT8_S1G_bDpT10_ENKUlT_T0_E_clISt17integral_constantIbLb1EES1T_IbLb0EEEEDaS1P_S1Q_EUlS1P_E_NS1_11comp_targetILNS1_3genE5ELNS1_11target_archE942ELNS1_3gpuE9ELNS1_3repE0EEENS1_30default_config_static_selectorELNS0_4arch9wavefront6targetE0EEEvS12_.has_recursion, 0
	.set _ZN7rocprim17ROCPRIM_400000_NS6detail17trampoline_kernelINS0_13select_configILj256ELj13ELNS0_17block_load_methodE3ELS4_3ELS4_3ELNS0_20block_scan_algorithmE0ELj4294967295EEENS1_25partition_config_selectorILNS1_17partition_subalgoE4EjNS0_10empty_typeEbEEZZNS1_14partition_implILS8_4ELb0ES6_15HIP_vector_typeIjLj2EENS0_17counting_iteratorIjlEEPS9_SG_NS0_5tupleIJPjSI_NS0_16reverse_iteratorISI_EEEEENSH_IJSG_SG_SG_EEES9_SI_JZNS1_25segmented_radix_sort_implINS0_14default_configELb0EPKsPsPKlPlN2at6native12_GLOBAL__N_18offset_tEEE10hipError_tPvRmT1_PNSt15iterator_traitsIS12_E10value_typeET2_T3_PNS13_IS18_E10value_typeET4_jRbjT5_S1E_jjP12ihipStream_tbEUljE_ZNSN_ISO_Lb0ESQ_SR_ST_SU_SY_EESZ_S10_S11_S12_S16_S17_S18_S1B_S1C_jS1D_jS1E_S1E_jjS1G_bEUljE0_EEESZ_S10_S11_S18_S1C_S1E_T6_T7_T9_mT8_S1G_bDpT10_ENKUlT_T0_E_clISt17integral_constantIbLb1EES1T_IbLb0EEEEDaS1P_S1Q_EUlS1P_E_NS1_11comp_targetILNS1_3genE5ELNS1_11target_archE942ELNS1_3gpuE9ELNS1_3repE0EEENS1_30default_config_static_selectorELNS0_4arch9wavefront6targetE0EEEvS12_.has_indirect_call, 0
	.section	.AMDGPU.csdata,"",@progbits
; Kernel info:
; codeLenInByte = 0
; TotalNumSgprs: 0
; NumVgprs: 0
; ScratchSize: 0
; MemoryBound: 0
; FloatMode: 240
; IeeeMode: 1
; LDSByteSize: 0 bytes/workgroup (compile time only)
; SGPRBlocks: 0
; VGPRBlocks: 0
; NumSGPRsForWavesPerEU: 1
; NumVGPRsForWavesPerEU: 1
; Occupancy: 16
; WaveLimiterHint : 0
; COMPUTE_PGM_RSRC2:SCRATCH_EN: 0
; COMPUTE_PGM_RSRC2:USER_SGPR: 6
; COMPUTE_PGM_RSRC2:TRAP_HANDLER: 0
; COMPUTE_PGM_RSRC2:TGID_X_EN: 1
; COMPUTE_PGM_RSRC2:TGID_Y_EN: 0
; COMPUTE_PGM_RSRC2:TGID_Z_EN: 0
; COMPUTE_PGM_RSRC2:TIDIG_COMP_CNT: 0
	.section	.text._ZN7rocprim17ROCPRIM_400000_NS6detail17trampoline_kernelINS0_13select_configILj256ELj13ELNS0_17block_load_methodE3ELS4_3ELS4_3ELNS0_20block_scan_algorithmE0ELj4294967295EEENS1_25partition_config_selectorILNS1_17partition_subalgoE4EjNS0_10empty_typeEbEEZZNS1_14partition_implILS8_4ELb0ES6_15HIP_vector_typeIjLj2EENS0_17counting_iteratorIjlEEPS9_SG_NS0_5tupleIJPjSI_NS0_16reverse_iteratorISI_EEEEENSH_IJSG_SG_SG_EEES9_SI_JZNS1_25segmented_radix_sort_implINS0_14default_configELb0EPKsPsPKlPlN2at6native12_GLOBAL__N_18offset_tEEE10hipError_tPvRmT1_PNSt15iterator_traitsIS12_E10value_typeET2_T3_PNS13_IS18_E10value_typeET4_jRbjT5_S1E_jjP12ihipStream_tbEUljE_ZNSN_ISO_Lb0ESQ_SR_ST_SU_SY_EESZ_S10_S11_S12_S16_S17_S18_S1B_S1C_jS1D_jS1E_S1E_jjS1G_bEUljE0_EEESZ_S10_S11_S18_S1C_S1E_T6_T7_T9_mT8_S1G_bDpT10_ENKUlT_T0_E_clISt17integral_constantIbLb1EES1T_IbLb0EEEEDaS1P_S1Q_EUlS1P_E_NS1_11comp_targetILNS1_3genE4ELNS1_11target_archE910ELNS1_3gpuE8ELNS1_3repE0EEENS1_30default_config_static_selectorELNS0_4arch9wavefront6targetE0EEEvS12_,"axG",@progbits,_ZN7rocprim17ROCPRIM_400000_NS6detail17trampoline_kernelINS0_13select_configILj256ELj13ELNS0_17block_load_methodE3ELS4_3ELS4_3ELNS0_20block_scan_algorithmE0ELj4294967295EEENS1_25partition_config_selectorILNS1_17partition_subalgoE4EjNS0_10empty_typeEbEEZZNS1_14partition_implILS8_4ELb0ES6_15HIP_vector_typeIjLj2EENS0_17counting_iteratorIjlEEPS9_SG_NS0_5tupleIJPjSI_NS0_16reverse_iteratorISI_EEEEENSH_IJSG_SG_SG_EEES9_SI_JZNS1_25segmented_radix_sort_implINS0_14default_configELb0EPKsPsPKlPlN2at6native12_GLOBAL__N_18offset_tEEE10hipError_tPvRmT1_PNSt15iterator_traitsIS12_E10value_typeET2_T3_PNS13_IS18_E10value_typeET4_jRbjT5_S1E_jjP12ihipStream_tbEUljE_ZNSN_ISO_Lb0ESQ_SR_ST_SU_SY_EESZ_S10_S11_S12_S16_S17_S18_S1B_S1C_jS1D_jS1E_S1E_jjS1G_bEUljE0_EEESZ_S10_S11_S18_S1C_S1E_T6_T7_T9_mT8_S1G_bDpT10_ENKUlT_T0_E_clISt17integral_constantIbLb1EES1T_IbLb0EEEEDaS1P_S1Q_EUlS1P_E_NS1_11comp_targetILNS1_3genE4ELNS1_11target_archE910ELNS1_3gpuE8ELNS1_3repE0EEENS1_30default_config_static_selectorELNS0_4arch9wavefront6targetE0EEEvS12_,comdat
	.globl	_ZN7rocprim17ROCPRIM_400000_NS6detail17trampoline_kernelINS0_13select_configILj256ELj13ELNS0_17block_load_methodE3ELS4_3ELS4_3ELNS0_20block_scan_algorithmE0ELj4294967295EEENS1_25partition_config_selectorILNS1_17partition_subalgoE4EjNS0_10empty_typeEbEEZZNS1_14partition_implILS8_4ELb0ES6_15HIP_vector_typeIjLj2EENS0_17counting_iteratorIjlEEPS9_SG_NS0_5tupleIJPjSI_NS0_16reverse_iteratorISI_EEEEENSH_IJSG_SG_SG_EEES9_SI_JZNS1_25segmented_radix_sort_implINS0_14default_configELb0EPKsPsPKlPlN2at6native12_GLOBAL__N_18offset_tEEE10hipError_tPvRmT1_PNSt15iterator_traitsIS12_E10value_typeET2_T3_PNS13_IS18_E10value_typeET4_jRbjT5_S1E_jjP12ihipStream_tbEUljE_ZNSN_ISO_Lb0ESQ_SR_ST_SU_SY_EESZ_S10_S11_S12_S16_S17_S18_S1B_S1C_jS1D_jS1E_S1E_jjS1G_bEUljE0_EEESZ_S10_S11_S18_S1C_S1E_T6_T7_T9_mT8_S1G_bDpT10_ENKUlT_T0_E_clISt17integral_constantIbLb1EES1T_IbLb0EEEEDaS1P_S1Q_EUlS1P_E_NS1_11comp_targetILNS1_3genE4ELNS1_11target_archE910ELNS1_3gpuE8ELNS1_3repE0EEENS1_30default_config_static_selectorELNS0_4arch9wavefront6targetE0EEEvS12_ ; -- Begin function _ZN7rocprim17ROCPRIM_400000_NS6detail17trampoline_kernelINS0_13select_configILj256ELj13ELNS0_17block_load_methodE3ELS4_3ELS4_3ELNS0_20block_scan_algorithmE0ELj4294967295EEENS1_25partition_config_selectorILNS1_17partition_subalgoE4EjNS0_10empty_typeEbEEZZNS1_14partition_implILS8_4ELb0ES6_15HIP_vector_typeIjLj2EENS0_17counting_iteratorIjlEEPS9_SG_NS0_5tupleIJPjSI_NS0_16reverse_iteratorISI_EEEEENSH_IJSG_SG_SG_EEES9_SI_JZNS1_25segmented_radix_sort_implINS0_14default_configELb0EPKsPsPKlPlN2at6native12_GLOBAL__N_18offset_tEEE10hipError_tPvRmT1_PNSt15iterator_traitsIS12_E10value_typeET2_T3_PNS13_IS18_E10value_typeET4_jRbjT5_S1E_jjP12ihipStream_tbEUljE_ZNSN_ISO_Lb0ESQ_SR_ST_SU_SY_EESZ_S10_S11_S12_S16_S17_S18_S1B_S1C_jS1D_jS1E_S1E_jjS1G_bEUljE0_EEESZ_S10_S11_S18_S1C_S1E_T6_T7_T9_mT8_S1G_bDpT10_ENKUlT_T0_E_clISt17integral_constantIbLb1EES1T_IbLb0EEEEDaS1P_S1Q_EUlS1P_E_NS1_11comp_targetILNS1_3genE4ELNS1_11target_archE910ELNS1_3gpuE8ELNS1_3repE0EEENS1_30default_config_static_selectorELNS0_4arch9wavefront6targetE0EEEvS12_
	.p2align	8
	.type	_ZN7rocprim17ROCPRIM_400000_NS6detail17trampoline_kernelINS0_13select_configILj256ELj13ELNS0_17block_load_methodE3ELS4_3ELS4_3ELNS0_20block_scan_algorithmE0ELj4294967295EEENS1_25partition_config_selectorILNS1_17partition_subalgoE4EjNS0_10empty_typeEbEEZZNS1_14partition_implILS8_4ELb0ES6_15HIP_vector_typeIjLj2EENS0_17counting_iteratorIjlEEPS9_SG_NS0_5tupleIJPjSI_NS0_16reverse_iteratorISI_EEEEENSH_IJSG_SG_SG_EEES9_SI_JZNS1_25segmented_radix_sort_implINS0_14default_configELb0EPKsPsPKlPlN2at6native12_GLOBAL__N_18offset_tEEE10hipError_tPvRmT1_PNSt15iterator_traitsIS12_E10value_typeET2_T3_PNS13_IS18_E10value_typeET4_jRbjT5_S1E_jjP12ihipStream_tbEUljE_ZNSN_ISO_Lb0ESQ_SR_ST_SU_SY_EESZ_S10_S11_S12_S16_S17_S18_S1B_S1C_jS1D_jS1E_S1E_jjS1G_bEUljE0_EEESZ_S10_S11_S18_S1C_S1E_T6_T7_T9_mT8_S1G_bDpT10_ENKUlT_T0_E_clISt17integral_constantIbLb1EES1T_IbLb0EEEEDaS1P_S1Q_EUlS1P_E_NS1_11comp_targetILNS1_3genE4ELNS1_11target_archE910ELNS1_3gpuE8ELNS1_3repE0EEENS1_30default_config_static_selectorELNS0_4arch9wavefront6targetE0EEEvS12_,@function
_ZN7rocprim17ROCPRIM_400000_NS6detail17trampoline_kernelINS0_13select_configILj256ELj13ELNS0_17block_load_methodE3ELS4_3ELS4_3ELNS0_20block_scan_algorithmE0ELj4294967295EEENS1_25partition_config_selectorILNS1_17partition_subalgoE4EjNS0_10empty_typeEbEEZZNS1_14partition_implILS8_4ELb0ES6_15HIP_vector_typeIjLj2EENS0_17counting_iteratorIjlEEPS9_SG_NS0_5tupleIJPjSI_NS0_16reverse_iteratorISI_EEEEENSH_IJSG_SG_SG_EEES9_SI_JZNS1_25segmented_radix_sort_implINS0_14default_configELb0EPKsPsPKlPlN2at6native12_GLOBAL__N_18offset_tEEE10hipError_tPvRmT1_PNSt15iterator_traitsIS12_E10value_typeET2_T3_PNS13_IS18_E10value_typeET4_jRbjT5_S1E_jjP12ihipStream_tbEUljE_ZNSN_ISO_Lb0ESQ_SR_ST_SU_SY_EESZ_S10_S11_S12_S16_S17_S18_S1B_S1C_jS1D_jS1E_S1E_jjS1G_bEUljE0_EEESZ_S10_S11_S18_S1C_S1E_T6_T7_T9_mT8_S1G_bDpT10_ENKUlT_T0_E_clISt17integral_constantIbLb1EES1T_IbLb0EEEEDaS1P_S1Q_EUlS1P_E_NS1_11comp_targetILNS1_3genE4ELNS1_11target_archE910ELNS1_3gpuE8ELNS1_3repE0EEENS1_30default_config_static_selectorELNS0_4arch9wavefront6targetE0EEEvS12_: ; @_ZN7rocprim17ROCPRIM_400000_NS6detail17trampoline_kernelINS0_13select_configILj256ELj13ELNS0_17block_load_methodE3ELS4_3ELS4_3ELNS0_20block_scan_algorithmE0ELj4294967295EEENS1_25partition_config_selectorILNS1_17partition_subalgoE4EjNS0_10empty_typeEbEEZZNS1_14partition_implILS8_4ELb0ES6_15HIP_vector_typeIjLj2EENS0_17counting_iteratorIjlEEPS9_SG_NS0_5tupleIJPjSI_NS0_16reverse_iteratorISI_EEEEENSH_IJSG_SG_SG_EEES9_SI_JZNS1_25segmented_radix_sort_implINS0_14default_configELb0EPKsPsPKlPlN2at6native12_GLOBAL__N_18offset_tEEE10hipError_tPvRmT1_PNSt15iterator_traitsIS12_E10value_typeET2_T3_PNS13_IS18_E10value_typeET4_jRbjT5_S1E_jjP12ihipStream_tbEUljE_ZNSN_ISO_Lb0ESQ_SR_ST_SU_SY_EESZ_S10_S11_S12_S16_S17_S18_S1B_S1C_jS1D_jS1E_S1E_jjS1G_bEUljE0_EEESZ_S10_S11_S18_S1C_S1E_T6_T7_T9_mT8_S1G_bDpT10_ENKUlT_T0_E_clISt17integral_constantIbLb1EES1T_IbLb0EEEEDaS1P_S1Q_EUlS1P_E_NS1_11comp_targetILNS1_3genE4ELNS1_11target_archE910ELNS1_3gpuE8ELNS1_3repE0EEENS1_30default_config_static_selectorELNS0_4arch9wavefront6targetE0EEEvS12_
; %bb.0:
	.section	.rodata,"a",@progbits
	.p2align	6, 0x0
	.amdhsa_kernel _ZN7rocprim17ROCPRIM_400000_NS6detail17trampoline_kernelINS0_13select_configILj256ELj13ELNS0_17block_load_methodE3ELS4_3ELS4_3ELNS0_20block_scan_algorithmE0ELj4294967295EEENS1_25partition_config_selectorILNS1_17partition_subalgoE4EjNS0_10empty_typeEbEEZZNS1_14partition_implILS8_4ELb0ES6_15HIP_vector_typeIjLj2EENS0_17counting_iteratorIjlEEPS9_SG_NS0_5tupleIJPjSI_NS0_16reverse_iteratorISI_EEEEENSH_IJSG_SG_SG_EEES9_SI_JZNS1_25segmented_radix_sort_implINS0_14default_configELb0EPKsPsPKlPlN2at6native12_GLOBAL__N_18offset_tEEE10hipError_tPvRmT1_PNSt15iterator_traitsIS12_E10value_typeET2_T3_PNS13_IS18_E10value_typeET4_jRbjT5_S1E_jjP12ihipStream_tbEUljE_ZNSN_ISO_Lb0ESQ_SR_ST_SU_SY_EESZ_S10_S11_S12_S16_S17_S18_S1B_S1C_jS1D_jS1E_S1E_jjS1G_bEUljE0_EEESZ_S10_S11_S18_S1C_S1E_T6_T7_T9_mT8_S1G_bDpT10_ENKUlT_T0_E_clISt17integral_constantIbLb1EES1T_IbLb0EEEEDaS1P_S1Q_EUlS1P_E_NS1_11comp_targetILNS1_3genE4ELNS1_11target_archE910ELNS1_3gpuE8ELNS1_3repE0EEENS1_30default_config_static_selectorELNS0_4arch9wavefront6targetE0EEEvS12_
		.amdhsa_group_segment_fixed_size 0
		.amdhsa_private_segment_fixed_size 0
		.amdhsa_kernarg_size 176
		.amdhsa_user_sgpr_count 6
		.amdhsa_user_sgpr_private_segment_buffer 1
		.amdhsa_user_sgpr_dispatch_ptr 0
		.amdhsa_user_sgpr_queue_ptr 0
		.amdhsa_user_sgpr_kernarg_segment_ptr 1
		.amdhsa_user_sgpr_dispatch_id 0
		.amdhsa_user_sgpr_flat_scratch_init 0
		.amdhsa_user_sgpr_private_segment_size 0
		.amdhsa_wavefront_size32 1
		.amdhsa_uses_dynamic_stack 0
		.amdhsa_system_sgpr_private_segment_wavefront_offset 0
		.amdhsa_system_sgpr_workgroup_id_x 1
		.amdhsa_system_sgpr_workgroup_id_y 0
		.amdhsa_system_sgpr_workgroup_id_z 0
		.amdhsa_system_sgpr_workgroup_info 0
		.amdhsa_system_vgpr_workitem_id 0
		.amdhsa_next_free_vgpr 1
		.amdhsa_next_free_sgpr 1
		.amdhsa_reserve_vcc 0
		.amdhsa_reserve_flat_scratch 0
		.amdhsa_float_round_mode_32 0
		.amdhsa_float_round_mode_16_64 0
		.amdhsa_float_denorm_mode_32 3
		.amdhsa_float_denorm_mode_16_64 3
		.amdhsa_dx10_clamp 1
		.amdhsa_ieee_mode 1
		.amdhsa_fp16_overflow 0
		.amdhsa_workgroup_processor_mode 1
		.amdhsa_memory_ordered 1
		.amdhsa_forward_progress 1
		.amdhsa_shared_vgpr_count 0
		.amdhsa_exception_fp_ieee_invalid_op 0
		.amdhsa_exception_fp_denorm_src 0
		.amdhsa_exception_fp_ieee_div_zero 0
		.amdhsa_exception_fp_ieee_overflow 0
		.amdhsa_exception_fp_ieee_underflow 0
		.amdhsa_exception_fp_ieee_inexact 0
		.amdhsa_exception_int_div_zero 0
	.end_amdhsa_kernel
	.section	.text._ZN7rocprim17ROCPRIM_400000_NS6detail17trampoline_kernelINS0_13select_configILj256ELj13ELNS0_17block_load_methodE3ELS4_3ELS4_3ELNS0_20block_scan_algorithmE0ELj4294967295EEENS1_25partition_config_selectorILNS1_17partition_subalgoE4EjNS0_10empty_typeEbEEZZNS1_14partition_implILS8_4ELb0ES6_15HIP_vector_typeIjLj2EENS0_17counting_iteratorIjlEEPS9_SG_NS0_5tupleIJPjSI_NS0_16reverse_iteratorISI_EEEEENSH_IJSG_SG_SG_EEES9_SI_JZNS1_25segmented_radix_sort_implINS0_14default_configELb0EPKsPsPKlPlN2at6native12_GLOBAL__N_18offset_tEEE10hipError_tPvRmT1_PNSt15iterator_traitsIS12_E10value_typeET2_T3_PNS13_IS18_E10value_typeET4_jRbjT5_S1E_jjP12ihipStream_tbEUljE_ZNSN_ISO_Lb0ESQ_SR_ST_SU_SY_EESZ_S10_S11_S12_S16_S17_S18_S1B_S1C_jS1D_jS1E_S1E_jjS1G_bEUljE0_EEESZ_S10_S11_S18_S1C_S1E_T6_T7_T9_mT8_S1G_bDpT10_ENKUlT_T0_E_clISt17integral_constantIbLb1EES1T_IbLb0EEEEDaS1P_S1Q_EUlS1P_E_NS1_11comp_targetILNS1_3genE4ELNS1_11target_archE910ELNS1_3gpuE8ELNS1_3repE0EEENS1_30default_config_static_selectorELNS0_4arch9wavefront6targetE0EEEvS12_,"axG",@progbits,_ZN7rocprim17ROCPRIM_400000_NS6detail17trampoline_kernelINS0_13select_configILj256ELj13ELNS0_17block_load_methodE3ELS4_3ELS4_3ELNS0_20block_scan_algorithmE0ELj4294967295EEENS1_25partition_config_selectorILNS1_17partition_subalgoE4EjNS0_10empty_typeEbEEZZNS1_14partition_implILS8_4ELb0ES6_15HIP_vector_typeIjLj2EENS0_17counting_iteratorIjlEEPS9_SG_NS0_5tupleIJPjSI_NS0_16reverse_iteratorISI_EEEEENSH_IJSG_SG_SG_EEES9_SI_JZNS1_25segmented_radix_sort_implINS0_14default_configELb0EPKsPsPKlPlN2at6native12_GLOBAL__N_18offset_tEEE10hipError_tPvRmT1_PNSt15iterator_traitsIS12_E10value_typeET2_T3_PNS13_IS18_E10value_typeET4_jRbjT5_S1E_jjP12ihipStream_tbEUljE_ZNSN_ISO_Lb0ESQ_SR_ST_SU_SY_EESZ_S10_S11_S12_S16_S17_S18_S1B_S1C_jS1D_jS1E_S1E_jjS1G_bEUljE0_EEESZ_S10_S11_S18_S1C_S1E_T6_T7_T9_mT8_S1G_bDpT10_ENKUlT_T0_E_clISt17integral_constantIbLb1EES1T_IbLb0EEEEDaS1P_S1Q_EUlS1P_E_NS1_11comp_targetILNS1_3genE4ELNS1_11target_archE910ELNS1_3gpuE8ELNS1_3repE0EEENS1_30default_config_static_selectorELNS0_4arch9wavefront6targetE0EEEvS12_,comdat
.Lfunc_end961:
	.size	_ZN7rocprim17ROCPRIM_400000_NS6detail17trampoline_kernelINS0_13select_configILj256ELj13ELNS0_17block_load_methodE3ELS4_3ELS4_3ELNS0_20block_scan_algorithmE0ELj4294967295EEENS1_25partition_config_selectorILNS1_17partition_subalgoE4EjNS0_10empty_typeEbEEZZNS1_14partition_implILS8_4ELb0ES6_15HIP_vector_typeIjLj2EENS0_17counting_iteratorIjlEEPS9_SG_NS0_5tupleIJPjSI_NS0_16reverse_iteratorISI_EEEEENSH_IJSG_SG_SG_EEES9_SI_JZNS1_25segmented_radix_sort_implINS0_14default_configELb0EPKsPsPKlPlN2at6native12_GLOBAL__N_18offset_tEEE10hipError_tPvRmT1_PNSt15iterator_traitsIS12_E10value_typeET2_T3_PNS13_IS18_E10value_typeET4_jRbjT5_S1E_jjP12ihipStream_tbEUljE_ZNSN_ISO_Lb0ESQ_SR_ST_SU_SY_EESZ_S10_S11_S12_S16_S17_S18_S1B_S1C_jS1D_jS1E_S1E_jjS1G_bEUljE0_EEESZ_S10_S11_S18_S1C_S1E_T6_T7_T9_mT8_S1G_bDpT10_ENKUlT_T0_E_clISt17integral_constantIbLb1EES1T_IbLb0EEEEDaS1P_S1Q_EUlS1P_E_NS1_11comp_targetILNS1_3genE4ELNS1_11target_archE910ELNS1_3gpuE8ELNS1_3repE0EEENS1_30default_config_static_selectorELNS0_4arch9wavefront6targetE0EEEvS12_, .Lfunc_end961-_ZN7rocprim17ROCPRIM_400000_NS6detail17trampoline_kernelINS0_13select_configILj256ELj13ELNS0_17block_load_methodE3ELS4_3ELS4_3ELNS0_20block_scan_algorithmE0ELj4294967295EEENS1_25partition_config_selectorILNS1_17partition_subalgoE4EjNS0_10empty_typeEbEEZZNS1_14partition_implILS8_4ELb0ES6_15HIP_vector_typeIjLj2EENS0_17counting_iteratorIjlEEPS9_SG_NS0_5tupleIJPjSI_NS0_16reverse_iteratorISI_EEEEENSH_IJSG_SG_SG_EEES9_SI_JZNS1_25segmented_radix_sort_implINS0_14default_configELb0EPKsPsPKlPlN2at6native12_GLOBAL__N_18offset_tEEE10hipError_tPvRmT1_PNSt15iterator_traitsIS12_E10value_typeET2_T3_PNS13_IS18_E10value_typeET4_jRbjT5_S1E_jjP12ihipStream_tbEUljE_ZNSN_ISO_Lb0ESQ_SR_ST_SU_SY_EESZ_S10_S11_S12_S16_S17_S18_S1B_S1C_jS1D_jS1E_S1E_jjS1G_bEUljE0_EEESZ_S10_S11_S18_S1C_S1E_T6_T7_T9_mT8_S1G_bDpT10_ENKUlT_T0_E_clISt17integral_constantIbLb1EES1T_IbLb0EEEEDaS1P_S1Q_EUlS1P_E_NS1_11comp_targetILNS1_3genE4ELNS1_11target_archE910ELNS1_3gpuE8ELNS1_3repE0EEENS1_30default_config_static_selectorELNS0_4arch9wavefront6targetE0EEEvS12_
                                        ; -- End function
	.set _ZN7rocprim17ROCPRIM_400000_NS6detail17trampoline_kernelINS0_13select_configILj256ELj13ELNS0_17block_load_methodE3ELS4_3ELS4_3ELNS0_20block_scan_algorithmE0ELj4294967295EEENS1_25partition_config_selectorILNS1_17partition_subalgoE4EjNS0_10empty_typeEbEEZZNS1_14partition_implILS8_4ELb0ES6_15HIP_vector_typeIjLj2EENS0_17counting_iteratorIjlEEPS9_SG_NS0_5tupleIJPjSI_NS0_16reverse_iteratorISI_EEEEENSH_IJSG_SG_SG_EEES9_SI_JZNS1_25segmented_radix_sort_implINS0_14default_configELb0EPKsPsPKlPlN2at6native12_GLOBAL__N_18offset_tEEE10hipError_tPvRmT1_PNSt15iterator_traitsIS12_E10value_typeET2_T3_PNS13_IS18_E10value_typeET4_jRbjT5_S1E_jjP12ihipStream_tbEUljE_ZNSN_ISO_Lb0ESQ_SR_ST_SU_SY_EESZ_S10_S11_S12_S16_S17_S18_S1B_S1C_jS1D_jS1E_S1E_jjS1G_bEUljE0_EEESZ_S10_S11_S18_S1C_S1E_T6_T7_T9_mT8_S1G_bDpT10_ENKUlT_T0_E_clISt17integral_constantIbLb1EES1T_IbLb0EEEEDaS1P_S1Q_EUlS1P_E_NS1_11comp_targetILNS1_3genE4ELNS1_11target_archE910ELNS1_3gpuE8ELNS1_3repE0EEENS1_30default_config_static_selectorELNS0_4arch9wavefront6targetE0EEEvS12_.num_vgpr, 0
	.set _ZN7rocprim17ROCPRIM_400000_NS6detail17trampoline_kernelINS0_13select_configILj256ELj13ELNS0_17block_load_methodE3ELS4_3ELS4_3ELNS0_20block_scan_algorithmE0ELj4294967295EEENS1_25partition_config_selectorILNS1_17partition_subalgoE4EjNS0_10empty_typeEbEEZZNS1_14partition_implILS8_4ELb0ES6_15HIP_vector_typeIjLj2EENS0_17counting_iteratorIjlEEPS9_SG_NS0_5tupleIJPjSI_NS0_16reverse_iteratorISI_EEEEENSH_IJSG_SG_SG_EEES9_SI_JZNS1_25segmented_radix_sort_implINS0_14default_configELb0EPKsPsPKlPlN2at6native12_GLOBAL__N_18offset_tEEE10hipError_tPvRmT1_PNSt15iterator_traitsIS12_E10value_typeET2_T3_PNS13_IS18_E10value_typeET4_jRbjT5_S1E_jjP12ihipStream_tbEUljE_ZNSN_ISO_Lb0ESQ_SR_ST_SU_SY_EESZ_S10_S11_S12_S16_S17_S18_S1B_S1C_jS1D_jS1E_S1E_jjS1G_bEUljE0_EEESZ_S10_S11_S18_S1C_S1E_T6_T7_T9_mT8_S1G_bDpT10_ENKUlT_T0_E_clISt17integral_constantIbLb1EES1T_IbLb0EEEEDaS1P_S1Q_EUlS1P_E_NS1_11comp_targetILNS1_3genE4ELNS1_11target_archE910ELNS1_3gpuE8ELNS1_3repE0EEENS1_30default_config_static_selectorELNS0_4arch9wavefront6targetE0EEEvS12_.num_agpr, 0
	.set _ZN7rocprim17ROCPRIM_400000_NS6detail17trampoline_kernelINS0_13select_configILj256ELj13ELNS0_17block_load_methodE3ELS4_3ELS4_3ELNS0_20block_scan_algorithmE0ELj4294967295EEENS1_25partition_config_selectorILNS1_17partition_subalgoE4EjNS0_10empty_typeEbEEZZNS1_14partition_implILS8_4ELb0ES6_15HIP_vector_typeIjLj2EENS0_17counting_iteratorIjlEEPS9_SG_NS0_5tupleIJPjSI_NS0_16reverse_iteratorISI_EEEEENSH_IJSG_SG_SG_EEES9_SI_JZNS1_25segmented_radix_sort_implINS0_14default_configELb0EPKsPsPKlPlN2at6native12_GLOBAL__N_18offset_tEEE10hipError_tPvRmT1_PNSt15iterator_traitsIS12_E10value_typeET2_T3_PNS13_IS18_E10value_typeET4_jRbjT5_S1E_jjP12ihipStream_tbEUljE_ZNSN_ISO_Lb0ESQ_SR_ST_SU_SY_EESZ_S10_S11_S12_S16_S17_S18_S1B_S1C_jS1D_jS1E_S1E_jjS1G_bEUljE0_EEESZ_S10_S11_S18_S1C_S1E_T6_T7_T9_mT8_S1G_bDpT10_ENKUlT_T0_E_clISt17integral_constantIbLb1EES1T_IbLb0EEEEDaS1P_S1Q_EUlS1P_E_NS1_11comp_targetILNS1_3genE4ELNS1_11target_archE910ELNS1_3gpuE8ELNS1_3repE0EEENS1_30default_config_static_selectorELNS0_4arch9wavefront6targetE0EEEvS12_.numbered_sgpr, 0
	.set _ZN7rocprim17ROCPRIM_400000_NS6detail17trampoline_kernelINS0_13select_configILj256ELj13ELNS0_17block_load_methodE3ELS4_3ELS4_3ELNS0_20block_scan_algorithmE0ELj4294967295EEENS1_25partition_config_selectorILNS1_17partition_subalgoE4EjNS0_10empty_typeEbEEZZNS1_14partition_implILS8_4ELb0ES6_15HIP_vector_typeIjLj2EENS0_17counting_iteratorIjlEEPS9_SG_NS0_5tupleIJPjSI_NS0_16reverse_iteratorISI_EEEEENSH_IJSG_SG_SG_EEES9_SI_JZNS1_25segmented_radix_sort_implINS0_14default_configELb0EPKsPsPKlPlN2at6native12_GLOBAL__N_18offset_tEEE10hipError_tPvRmT1_PNSt15iterator_traitsIS12_E10value_typeET2_T3_PNS13_IS18_E10value_typeET4_jRbjT5_S1E_jjP12ihipStream_tbEUljE_ZNSN_ISO_Lb0ESQ_SR_ST_SU_SY_EESZ_S10_S11_S12_S16_S17_S18_S1B_S1C_jS1D_jS1E_S1E_jjS1G_bEUljE0_EEESZ_S10_S11_S18_S1C_S1E_T6_T7_T9_mT8_S1G_bDpT10_ENKUlT_T0_E_clISt17integral_constantIbLb1EES1T_IbLb0EEEEDaS1P_S1Q_EUlS1P_E_NS1_11comp_targetILNS1_3genE4ELNS1_11target_archE910ELNS1_3gpuE8ELNS1_3repE0EEENS1_30default_config_static_selectorELNS0_4arch9wavefront6targetE0EEEvS12_.num_named_barrier, 0
	.set _ZN7rocprim17ROCPRIM_400000_NS6detail17trampoline_kernelINS0_13select_configILj256ELj13ELNS0_17block_load_methodE3ELS4_3ELS4_3ELNS0_20block_scan_algorithmE0ELj4294967295EEENS1_25partition_config_selectorILNS1_17partition_subalgoE4EjNS0_10empty_typeEbEEZZNS1_14partition_implILS8_4ELb0ES6_15HIP_vector_typeIjLj2EENS0_17counting_iteratorIjlEEPS9_SG_NS0_5tupleIJPjSI_NS0_16reverse_iteratorISI_EEEEENSH_IJSG_SG_SG_EEES9_SI_JZNS1_25segmented_radix_sort_implINS0_14default_configELb0EPKsPsPKlPlN2at6native12_GLOBAL__N_18offset_tEEE10hipError_tPvRmT1_PNSt15iterator_traitsIS12_E10value_typeET2_T3_PNS13_IS18_E10value_typeET4_jRbjT5_S1E_jjP12ihipStream_tbEUljE_ZNSN_ISO_Lb0ESQ_SR_ST_SU_SY_EESZ_S10_S11_S12_S16_S17_S18_S1B_S1C_jS1D_jS1E_S1E_jjS1G_bEUljE0_EEESZ_S10_S11_S18_S1C_S1E_T6_T7_T9_mT8_S1G_bDpT10_ENKUlT_T0_E_clISt17integral_constantIbLb1EES1T_IbLb0EEEEDaS1P_S1Q_EUlS1P_E_NS1_11comp_targetILNS1_3genE4ELNS1_11target_archE910ELNS1_3gpuE8ELNS1_3repE0EEENS1_30default_config_static_selectorELNS0_4arch9wavefront6targetE0EEEvS12_.private_seg_size, 0
	.set _ZN7rocprim17ROCPRIM_400000_NS6detail17trampoline_kernelINS0_13select_configILj256ELj13ELNS0_17block_load_methodE3ELS4_3ELS4_3ELNS0_20block_scan_algorithmE0ELj4294967295EEENS1_25partition_config_selectorILNS1_17partition_subalgoE4EjNS0_10empty_typeEbEEZZNS1_14partition_implILS8_4ELb0ES6_15HIP_vector_typeIjLj2EENS0_17counting_iteratorIjlEEPS9_SG_NS0_5tupleIJPjSI_NS0_16reverse_iteratorISI_EEEEENSH_IJSG_SG_SG_EEES9_SI_JZNS1_25segmented_radix_sort_implINS0_14default_configELb0EPKsPsPKlPlN2at6native12_GLOBAL__N_18offset_tEEE10hipError_tPvRmT1_PNSt15iterator_traitsIS12_E10value_typeET2_T3_PNS13_IS18_E10value_typeET4_jRbjT5_S1E_jjP12ihipStream_tbEUljE_ZNSN_ISO_Lb0ESQ_SR_ST_SU_SY_EESZ_S10_S11_S12_S16_S17_S18_S1B_S1C_jS1D_jS1E_S1E_jjS1G_bEUljE0_EEESZ_S10_S11_S18_S1C_S1E_T6_T7_T9_mT8_S1G_bDpT10_ENKUlT_T0_E_clISt17integral_constantIbLb1EES1T_IbLb0EEEEDaS1P_S1Q_EUlS1P_E_NS1_11comp_targetILNS1_3genE4ELNS1_11target_archE910ELNS1_3gpuE8ELNS1_3repE0EEENS1_30default_config_static_selectorELNS0_4arch9wavefront6targetE0EEEvS12_.uses_vcc, 0
	.set _ZN7rocprim17ROCPRIM_400000_NS6detail17trampoline_kernelINS0_13select_configILj256ELj13ELNS0_17block_load_methodE3ELS4_3ELS4_3ELNS0_20block_scan_algorithmE0ELj4294967295EEENS1_25partition_config_selectorILNS1_17partition_subalgoE4EjNS0_10empty_typeEbEEZZNS1_14partition_implILS8_4ELb0ES6_15HIP_vector_typeIjLj2EENS0_17counting_iteratorIjlEEPS9_SG_NS0_5tupleIJPjSI_NS0_16reverse_iteratorISI_EEEEENSH_IJSG_SG_SG_EEES9_SI_JZNS1_25segmented_radix_sort_implINS0_14default_configELb0EPKsPsPKlPlN2at6native12_GLOBAL__N_18offset_tEEE10hipError_tPvRmT1_PNSt15iterator_traitsIS12_E10value_typeET2_T3_PNS13_IS18_E10value_typeET4_jRbjT5_S1E_jjP12ihipStream_tbEUljE_ZNSN_ISO_Lb0ESQ_SR_ST_SU_SY_EESZ_S10_S11_S12_S16_S17_S18_S1B_S1C_jS1D_jS1E_S1E_jjS1G_bEUljE0_EEESZ_S10_S11_S18_S1C_S1E_T6_T7_T9_mT8_S1G_bDpT10_ENKUlT_T0_E_clISt17integral_constantIbLb1EES1T_IbLb0EEEEDaS1P_S1Q_EUlS1P_E_NS1_11comp_targetILNS1_3genE4ELNS1_11target_archE910ELNS1_3gpuE8ELNS1_3repE0EEENS1_30default_config_static_selectorELNS0_4arch9wavefront6targetE0EEEvS12_.uses_flat_scratch, 0
	.set _ZN7rocprim17ROCPRIM_400000_NS6detail17trampoline_kernelINS0_13select_configILj256ELj13ELNS0_17block_load_methodE3ELS4_3ELS4_3ELNS0_20block_scan_algorithmE0ELj4294967295EEENS1_25partition_config_selectorILNS1_17partition_subalgoE4EjNS0_10empty_typeEbEEZZNS1_14partition_implILS8_4ELb0ES6_15HIP_vector_typeIjLj2EENS0_17counting_iteratorIjlEEPS9_SG_NS0_5tupleIJPjSI_NS0_16reverse_iteratorISI_EEEEENSH_IJSG_SG_SG_EEES9_SI_JZNS1_25segmented_radix_sort_implINS0_14default_configELb0EPKsPsPKlPlN2at6native12_GLOBAL__N_18offset_tEEE10hipError_tPvRmT1_PNSt15iterator_traitsIS12_E10value_typeET2_T3_PNS13_IS18_E10value_typeET4_jRbjT5_S1E_jjP12ihipStream_tbEUljE_ZNSN_ISO_Lb0ESQ_SR_ST_SU_SY_EESZ_S10_S11_S12_S16_S17_S18_S1B_S1C_jS1D_jS1E_S1E_jjS1G_bEUljE0_EEESZ_S10_S11_S18_S1C_S1E_T6_T7_T9_mT8_S1G_bDpT10_ENKUlT_T0_E_clISt17integral_constantIbLb1EES1T_IbLb0EEEEDaS1P_S1Q_EUlS1P_E_NS1_11comp_targetILNS1_3genE4ELNS1_11target_archE910ELNS1_3gpuE8ELNS1_3repE0EEENS1_30default_config_static_selectorELNS0_4arch9wavefront6targetE0EEEvS12_.has_dyn_sized_stack, 0
	.set _ZN7rocprim17ROCPRIM_400000_NS6detail17trampoline_kernelINS0_13select_configILj256ELj13ELNS0_17block_load_methodE3ELS4_3ELS4_3ELNS0_20block_scan_algorithmE0ELj4294967295EEENS1_25partition_config_selectorILNS1_17partition_subalgoE4EjNS0_10empty_typeEbEEZZNS1_14partition_implILS8_4ELb0ES6_15HIP_vector_typeIjLj2EENS0_17counting_iteratorIjlEEPS9_SG_NS0_5tupleIJPjSI_NS0_16reverse_iteratorISI_EEEEENSH_IJSG_SG_SG_EEES9_SI_JZNS1_25segmented_radix_sort_implINS0_14default_configELb0EPKsPsPKlPlN2at6native12_GLOBAL__N_18offset_tEEE10hipError_tPvRmT1_PNSt15iterator_traitsIS12_E10value_typeET2_T3_PNS13_IS18_E10value_typeET4_jRbjT5_S1E_jjP12ihipStream_tbEUljE_ZNSN_ISO_Lb0ESQ_SR_ST_SU_SY_EESZ_S10_S11_S12_S16_S17_S18_S1B_S1C_jS1D_jS1E_S1E_jjS1G_bEUljE0_EEESZ_S10_S11_S18_S1C_S1E_T6_T7_T9_mT8_S1G_bDpT10_ENKUlT_T0_E_clISt17integral_constantIbLb1EES1T_IbLb0EEEEDaS1P_S1Q_EUlS1P_E_NS1_11comp_targetILNS1_3genE4ELNS1_11target_archE910ELNS1_3gpuE8ELNS1_3repE0EEENS1_30default_config_static_selectorELNS0_4arch9wavefront6targetE0EEEvS12_.has_recursion, 0
	.set _ZN7rocprim17ROCPRIM_400000_NS6detail17trampoline_kernelINS0_13select_configILj256ELj13ELNS0_17block_load_methodE3ELS4_3ELS4_3ELNS0_20block_scan_algorithmE0ELj4294967295EEENS1_25partition_config_selectorILNS1_17partition_subalgoE4EjNS0_10empty_typeEbEEZZNS1_14partition_implILS8_4ELb0ES6_15HIP_vector_typeIjLj2EENS0_17counting_iteratorIjlEEPS9_SG_NS0_5tupleIJPjSI_NS0_16reverse_iteratorISI_EEEEENSH_IJSG_SG_SG_EEES9_SI_JZNS1_25segmented_radix_sort_implINS0_14default_configELb0EPKsPsPKlPlN2at6native12_GLOBAL__N_18offset_tEEE10hipError_tPvRmT1_PNSt15iterator_traitsIS12_E10value_typeET2_T3_PNS13_IS18_E10value_typeET4_jRbjT5_S1E_jjP12ihipStream_tbEUljE_ZNSN_ISO_Lb0ESQ_SR_ST_SU_SY_EESZ_S10_S11_S12_S16_S17_S18_S1B_S1C_jS1D_jS1E_S1E_jjS1G_bEUljE0_EEESZ_S10_S11_S18_S1C_S1E_T6_T7_T9_mT8_S1G_bDpT10_ENKUlT_T0_E_clISt17integral_constantIbLb1EES1T_IbLb0EEEEDaS1P_S1Q_EUlS1P_E_NS1_11comp_targetILNS1_3genE4ELNS1_11target_archE910ELNS1_3gpuE8ELNS1_3repE0EEENS1_30default_config_static_selectorELNS0_4arch9wavefront6targetE0EEEvS12_.has_indirect_call, 0
	.section	.AMDGPU.csdata,"",@progbits
; Kernel info:
; codeLenInByte = 0
; TotalNumSgprs: 0
; NumVgprs: 0
; ScratchSize: 0
; MemoryBound: 0
; FloatMode: 240
; IeeeMode: 1
; LDSByteSize: 0 bytes/workgroup (compile time only)
; SGPRBlocks: 0
; VGPRBlocks: 0
; NumSGPRsForWavesPerEU: 1
; NumVGPRsForWavesPerEU: 1
; Occupancy: 16
; WaveLimiterHint : 0
; COMPUTE_PGM_RSRC2:SCRATCH_EN: 0
; COMPUTE_PGM_RSRC2:USER_SGPR: 6
; COMPUTE_PGM_RSRC2:TRAP_HANDLER: 0
; COMPUTE_PGM_RSRC2:TGID_X_EN: 1
; COMPUTE_PGM_RSRC2:TGID_Y_EN: 0
; COMPUTE_PGM_RSRC2:TGID_Z_EN: 0
; COMPUTE_PGM_RSRC2:TIDIG_COMP_CNT: 0
	.section	.text._ZN7rocprim17ROCPRIM_400000_NS6detail17trampoline_kernelINS0_13select_configILj256ELj13ELNS0_17block_load_methodE3ELS4_3ELS4_3ELNS0_20block_scan_algorithmE0ELj4294967295EEENS1_25partition_config_selectorILNS1_17partition_subalgoE4EjNS0_10empty_typeEbEEZZNS1_14partition_implILS8_4ELb0ES6_15HIP_vector_typeIjLj2EENS0_17counting_iteratorIjlEEPS9_SG_NS0_5tupleIJPjSI_NS0_16reverse_iteratorISI_EEEEENSH_IJSG_SG_SG_EEES9_SI_JZNS1_25segmented_radix_sort_implINS0_14default_configELb0EPKsPsPKlPlN2at6native12_GLOBAL__N_18offset_tEEE10hipError_tPvRmT1_PNSt15iterator_traitsIS12_E10value_typeET2_T3_PNS13_IS18_E10value_typeET4_jRbjT5_S1E_jjP12ihipStream_tbEUljE_ZNSN_ISO_Lb0ESQ_SR_ST_SU_SY_EESZ_S10_S11_S12_S16_S17_S18_S1B_S1C_jS1D_jS1E_S1E_jjS1G_bEUljE0_EEESZ_S10_S11_S18_S1C_S1E_T6_T7_T9_mT8_S1G_bDpT10_ENKUlT_T0_E_clISt17integral_constantIbLb1EES1T_IbLb0EEEEDaS1P_S1Q_EUlS1P_E_NS1_11comp_targetILNS1_3genE3ELNS1_11target_archE908ELNS1_3gpuE7ELNS1_3repE0EEENS1_30default_config_static_selectorELNS0_4arch9wavefront6targetE0EEEvS12_,"axG",@progbits,_ZN7rocprim17ROCPRIM_400000_NS6detail17trampoline_kernelINS0_13select_configILj256ELj13ELNS0_17block_load_methodE3ELS4_3ELS4_3ELNS0_20block_scan_algorithmE0ELj4294967295EEENS1_25partition_config_selectorILNS1_17partition_subalgoE4EjNS0_10empty_typeEbEEZZNS1_14partition_implILS8_4ELb0ES6_15HIP_vector_typeIjLj2EENS0_17counting_iteratorIjlEEPS9_SG_NS0_5tupleIJPjSI_NS0_16reverse_iteratorISI_EEEEENSH_IJSG_SG_SG_EEES9_SI_JZNS1_25segmented_radix_sort_implINS0_14default_configELb0EPKsPsPKlPlN2at6native12_GLOBAL__N_18offset_tEEE10hipError_tPvRmT1_PNSt15iterator_traitsIS12_E10value_typeET2_T3_PNS13_IS18_E10value_typeET4_jRbjT5_S1E_jjP12ihipStream_tbEUljE_ZNSN_ISO_Lb0ESQ_SR_ST_SU_SY_EESZ_S10_S11_S12_S16_S17_S18_S1B_S1C_jS1D_jS1E_S1E_jjS1G_bEUljE0_EEESZ_S10_S11_S18_S1C_S1E_T6_T7_T9_mT8_S1G_bDpT10_ENKUlT_T0_E_clISt17integral_constantIbLb1EES1T_IbLb0EEEEDaS1P_S1Q_EUlS1P_E_NS1_11comp_targetILNS1_3genE3ELNS1_11target_archE908ELNS1_3gpuE7ELNS1_3repE0EEENS1_30default_config_static_selectorELNS0_4arch9wavefront6targetE0EEEvS12_,comdat
	.globl	_ZN7rocprim17ROCPRIM_400000_NS6detail17trampoline_kernelINS0_13select_configILj256ELj13ELNS0_17block_load_methodE3ELS4_3ELS4_3ELNS0_20block_scan_algorithmE0ELj4294967295EEENS1_25partition_config_selectorILNS1_17partition_subalgoE4EjNS0_10empty_typeEbEEZZNS1_14partition_implILS8_4ELb0ES6_15HIP_vector_typeIjLj2EENS0_17counting_iteratorIjlEEPS9_SG_NS0_5tupleIJPjSI_NS0_16reverse_iteratorISI_EEEEENSH_IJSG_SG_SG_EEES9_SI_JZNS1_25segmented_radix_sort_implINS0_14default_configELb0EPKsPsPKlPlN2at6native12_GLOBAL__N_18offset_tEEE10hipError_tPvRmT1_PNSt15iterator_traitsIS12_E10value_typeET2_T3_PNS13_IS18_E10value_typeET4_jRbjT5_S1E_jjP12ihipStream_tbEUljE_ZNSN_ISO_Lb0ESQ_SR_ST_SU_SY_EESZ_S10_S11_S12_S16_S17_S18_S1B_S1C_jS1D_jS1E_S1E_jjS1G_bEUljE0_EEESZ_S10_S11_S18_S1C_S1E_T6_T7_T9_mT8_S1G_bDpT10_ENKUlT_T0_E_clISt17integral_constantIbLb1EES1T_IbLb0EEEEDaS1P_S1Q_EUlS1P_E_NS1_11comp_targetILNS1_3genE3ELNS1_11target_archE908ELNS1_3gpuE7ELNS1_3repE0EEENS1_30default_config_static_selectorELNS0_4arch9wavefront6targetE0EEEvS12_ ; -- Begin function _ZN7rocprim17ROCPRIM_400000_NS6detail17trampoline_kernelINS0_13select_configILj256ELj13ELNS0_17block_load_methodE3ELS4_3ELS4_3ELNS0_20block_scan_algorithmE0ELj4294967295EEENS1_25partition_config_selectorILNS1_17partition_subalgoE4EjNS0_10empty_typeEbEEZZNS1_14partition_implILS8_4ELb0ES6_15HIP_vector_typeIjLj2EENS0_17counting_iteratorIjlEEPS9_SG_NS0_5tupleIJPjSI_NS0_16reverse_iteratorISI_EEEEENSH_IJSG_SG_SG_EEES9_SI_JZNS1_25segmented_radix_sort_implINS0_14default_configELb0EPKsPsPKlPlN2at6native12_GLOBAL__N_18offset_tEEE10hipError_tPvRmT1_PNSt15iterator_traitsIS12_E10value_typeET2_T3_PNS13_IS18_E10value_typeET4_jRbjT5_S1E_jjP12ihipStream_tbEUljE_ZNSN_ISO_Lb0ESQ_SR_ST_SU_SY_EESZ_S10_S11_S12_S16_S17_S18_S1B_S1C_jS1D_jS1E_S1E_jjS1G_bEUljE0_EEESZ_S10_S11_S18_S1C_S1E_T6_T7_T9_mT8_S1G_bDpT10_ENKUlT_T0_E_clISt17integral_constantIbLb1EES1T_IbLb0EEEEDaS1P_S1Q_EUlS1P_E_NS1_11comp_targetILNS1_3genE3ELNS1_11target_archE908ELNS1_3gpuE7ELNS1_3repE0EEENS1_30default_config_static_selectorELNS0_4arch9wavefront6targetE0EEEvS12_
	.p2align	8
	.type	_ZN7rocprim17ROCPRIM_400000_NS6detail17trampoline_kernelINS0_13select_configILj256ELj13ELNS0_17block_load_methodE3ELS4_3ELS4_3ELNS0_20block_scan_algorithmE0ELj4294967295EEENS1_25partition_config_selectorILNS1_17partition_subalgoE4EjNS0_10empty_typeEbEEZZNS1_14partition_implILS8_4ELb0ES6_15HIP_vector_typeIjLj2EENS0_17counting_iteratorIjlEEPS9_SG_NS0_5tupleIJPjSI_NS0_16reverse_iteratorISI_EEEEENSH_IJSG_SG_SG_EEES9_SI_JZNS1_25segmented_radix_sort_implINS0_14default_configELb0EPKsPsPKlPlN2at6native12_GLOBAL__N_18offset_tEEE10hipError_tPvRmT1_PNSt15iterator_traitsIS12_E10value_typeET2_T3_PNS13_IS18_E10value_typeET4_jRbjT5_S1E_jjP12ihipStream_tbEUljE_ZNSN_ISO_Lb0ESQ_SR_ST_SU_SY_EESZ_S10_S11_S12_S16_S17_S18_S1B_S1C_jS1D_jS1E_S1E_jjS1G_bEUljE0_EEESZ_S10_S11_S18_S1C_S1E_T6_T7_T9_mT8_S1G_bDpT10_ENKUlT_T0_E_clISt17integral_constantIbLb1EES1T_IbLb0EEEEDaS1P_S1Q_EUlS1P_E_NS1_11comp_targetILNS1_3genE3ELNS1_11target_archE908ELNS1_3gpuE7ELNS1_3repE0EEENS1_30default_config_static_selectorELNS0_4arch9wavefront6targetE0EEEvS12_,@function
_ZN7rocprim17ROCPRIM_400000_NS6detail17trampoline_kernelINS0_13select_configILj256ELj13ELNS0_17block_load_methodE3ELS4_3ELS4_3ELNS0_20block_scan_algorithmE0ELj4294967295EEENS1_25partition_config_selectorILNS1_17partition_subalgoE4EjNS0_10empty_typeEbEEZZNS1_14partition_implILS8_4ELb0ES6_15HIP_vector_typeIjLj2EENS0_17counting_iteratorIjlEEPS9_SG_NS0_5tupleIJPjSI_NS0_16reverse_iteratorISI_EEEEENSH_IJSG_SG_SG_EEES9_SI_JZNS1_25segmented_radix_sort_implINS0_14default_configELb0EPKsPsPKlPlN2at6native12_GLOBAL__N_18offset_tEEE10hipError_tPvRmT1_PNSt15iterator_traitsIS12_E10value_typeET2_T3_PNS13_IS18_E10value_typeET4_jRbjT5_S1E_jjP12ihipStream_tbEUljE_ZNSN_ISO_Lb0ESQ_SR_ST_SU_SY_EESZ_S10_S11_S12_S16_S17_S18_S1B_S1C_jS1D_jS1E_S1E_jjS1G_bEUljE0_EEESZ_S10_S11_S18_S1C_S1E_T6_T7_T9_mT8_S1G_bDpT10_ENKUlT_T0_E_clISt17integral_constantIbLb1EES1T_IbLb0EEEEDaS1P_S1Q_EUlS1P_E_NS1_11comp_targetILNS1_3genE3ELNS1_11target_archE908ELNS1_3gpuE7ELNS1_3repE0EEENS1_30default_config_static_selectorELNS0_4arch9wavefront6targetE0EEEvS12_: ; @_ZN7rocprim17ROCPRIM_400000_NS6detail17trampoline_kernelINS0_13select_configILj256ELj13ELNS0_17block_load_methodE3ELS4_3ELS4_3ELNS0_20block_scan_algorithmE0ELj4294967295EEENS1_25partition_config_selectorILNS1_17partition_subalgoE4EjNS0_10empty_typeEbEEZZNS1_14partition_implILS8_4ELb0ES6_15HIP_vector_typeIjLj2EENS0_17counting_iteratorIjlEEPS9_SG_NS0_5tupleIJPjSI_NS0_16reverse_iteratorISI_EEEEENSH_IJSG_SG_SG_EEES9_SI_JZNS1_25segmented_radix_sort_implINS0_14default_configELb0EPKsPsPKlPlN2at6native12_GLOBAL__N_18offset_tEEE10hipError_tPvRmT1_PNSt15iterator_traitsIS12_E10value_typeET2_T3_PNS13_IS18_E10value_typeET4_jRbjT5_S1E_jjP12ihipStream_tbEUljE_ZNSN_ISO_Lb0ESQ_SR_ST_SU_SY_EESZ_S10_S11_S12_S16_S17_S18_S1B_S1C_jS1D_jS1E_S1E_jjS1G_bEUljE0_EEESZ_S10_S11_S18_S1C_S1E_T6_T7_T9_mT8_S1G_bDpT10_ENKUlT_T0_E_clISt17integral_constantIbLb1EES1T_IbLb0EEEEDaS1P_S1Q_EUlS1P_E_NS1_11comp_targetILNS1_3genE3ELNS1_11target_archE908ELNS1_3gpuE7ELNS1_3repE0EEENS1_30default_config_static_selectorELNS0_4arch9wavefront6targetE0EEEvS12_
; %bb.0:
	.section	.rodata,"a",@progbits
	.p2align	6, 0x0
	.amdhsa_kernel _ZN7rocprim17ROCPRIM_400000_NS6detail17trampoline_kernelINS0_13select_configILj256ELj13ELNS0_17block_load_methodE3ELS4_3ELS4_3ELNS0_20block_scan_algorithmE0ELj4294967295EEENS1_25partition_config_selectorILNS1_17partition_subalgoE4EjNS0_10empty_typeEbEEZZNS1_14partition_implILS8_4ELb0ES6_15HIP_vector_typeIjLj2EENS0_17counting_iteratorIjlEEPS9_SG_NS0_5tupleIJPjSI_NS0_16reverse_iteratorISI_EEEEENSH_IJSG_SG_SG_EEES9_SI_JZNS1_25segmented_radix_sort_implINS0_14default_configELb0EPKsPsPKlPlN2at6native12_GLOBAL__N_18offset_tEEE10hipError_tPvRmT1_PNSt15iterator_traitsIS12_E10value_typeET2_T3_PNS13_IS18_E10value_typeET4_jRbjT5_S1E_jjP12ihipStream_tbEUljE_ZNSN_ISO_Lb0ESQ_SR_ST_SU_SY_EESZ_S10_S11_S12_S16_S17_S18_S1B_S1C_jS1D_jS1E_S1E_jjS1G_bEUljE0_EEESZ_S10_S11_S18_S1C_S1E_T6_T7_T9_mT8_S1G_bDpT10_ENKUlT_T0_E_clISt17integral_constantIbLb1EES1T_IbLb0EEEEDaS1P_S1Q_EUlS1P_E_NS1_11comp_targetILNS1_3genE3ELNS1_11target_archE908ELNS1_3gpuE7ELNS1_3repE0EEENS1_30default_config_static_selectorELNS0_4arch9wavefront6targetE0EEEvS12_
		.amdhsa_group_segment_fixed_size 0
		.amdhsa_private_segment_fixed_size 0
		.amdhsa_kernarg_size 176
		.amdhsa_user_sgpr_count 6
		.amdhsa_user_sgpr_private_segment_buffer 1
		.amdhsa_user_sgpr_dispatch_ptr 0
		.amdhsa_user_sgpr_queue_ptr 0
		.amdhsa_user_sgpr_kernarg_segment_ptr 1
		.amdhsa_user_sgpr_dispatch_id 0
		.amdhsa_user_sgpr_flat_scratch_init 0
		.amdhsa_user_sgpr_private_segment_size 0
		.amdhsa_wavefront_size32 1
		.amdhsa_uses_dynamic_stack 0
		.amdhsa_system_sgpr_private_segment_wavefront_offset 0
		.amdhsa_system_sgpr_workgroup_id_x 1
		.amdhsa_system_sgpr_workgroup_id_y 0
		.amdhsa_system_sgpr_workgroup_id_z 0
		.amdhsa_system_sgpr_workgroup_info 0
		.amdhsa_system_vgpr_workitem_id 0
		.amdhsa_next_free_vgpr 1
		.amdhsa_next_free_sgpr 1
		.amdhsa_reserve_vcc 0
		.amdhsa_reserve_flat_scratch 0
		.amdhsa_float_round_mode_32 0
		.amdhsa_float_round_mode_16_64 0
		.amdhsa_float_denorm_mode_32 3
		.amdhsa_float_denorm_mode_16_64 3
		.amdhsa_dx10_clamp 1
		.amdhsa_ieee_mode 1
		.amdhsa_fp16_overflow 0
		.amdhsa_workgroup_processor_mode 1
		.amdhsa_memory_ordered 1
		.amdhsa_forward_progress 1
		.amdhsa_shared_vgpr_count 0
		.amdhsa_exception_fp_ieee_invalid_op 0
		.amdhsa_exception_fp_denorm_src 0
		.amdhsa_exception_fp_ieee_div_zero 0
		.amdhsa_exception_fp_ieee_overflow 0
		.amdhsa_exception_fp_ieee_underflow 0
		.amdhsa_exception_fp_ieee_inexact 0
		.amdhsa_exception_int_div_zero 0
	.end_amdhsa_kernel
	.section	.text._ZN7rocprim17ROCPRIM_400000_NS6detail17trampoline_kernelINS0_13select_configILj256ELj13ELNS0_17block_load_methodE3ELS4_3ELS4_3ELNS0_20block_scan_algorithmE0ELj4294967295EEENS1_25partition_config_selectorILNS1_17partition_subalgoE4EjNS0_10empty_typeEbEEZZNS1_14partition_implILS8_4ELb0ES6_15HIP_vector_typeIjLj2EENS0_17counting_iteratorIjlEEPS9_SG_NS0_5tupleIJPjSI_NS0_16reverse_iteratorISI_EEEEENSH_IJSG_SG_SG_EEES9_SI_JZNS1_25segmented_radix_sort_implINS0_14default_configELb0EPKsPsPKlPlN2at6native12_GLOBAL__N_18offset_tEEE10hipError_tPvRmT1_PNSt15iterator_traitsIS12_E10value_typeET2_T3_PNS13_IS18_E10value_typeET4_jRbjT5_S1E_jjP12ihipStream_tbEUljE_ZNSN_ISO_Lb0ESQ_SR_ST_SU_SY_EESZ_S10_S11_S12_S16_S17_S18_S1B_S1C_jS1D_jS1E_S1E_jjS1G_bEUljE0_EEESZ_S10_S11_S18_S1C_S1E_T6_T7_T9_mT8_S1G_bDpT10_ENKUlT_T0_E_clISt17integral_constantIbLb1EES1T_IbLb0EEEEDaS1P_S1Q_EUlS1P_E_NS1_11comp_targetILNS1_3genE3ELNS1_11target_archE908ELNS1_3gpuE7ELNS1_3repE0EEENS1_30default_config_static_selectorELNS0_4arch9wavefront6targetE0EEEvS12_,"axG",@progbits,_ZN7rocprim17ROCPRIM_400000_NS6detail17trampoline_kernelINS0_13select_configILj256ELj13ELNS0_17block_load_methodE3ELS4_3ELS4_3ELNS0_20block_scan_algorithmE0ELj4294967295EEENS1_25partition_config_selectorILNS1_17partition_subalgoE4EjNS0_10empty_typeEbEEZZNS1_14partition_implILS8_4ELb0ES6_15HIP_vector_typeIjLj2EENS0_17counting_iteratorIjlEEPS9_SG_NS0_5tupleIJPjSI_NS0_16reverse_iteratorISI_EEEEENSH_IJSG_SG_SG_EEES9_SI_JZNS1_25segmented_radix_sort_implINS0_14default_configELb0EPKsPsPKlPlN2at6native12_GLOBAL__N_18offset_tEEE10hipError_tPvRmT1_PNSt15iterator_traitsIS12_E10value_typeET2_T3_PNS13_IS18_E10value_typeET4_jRbjT5_S1E_jjP12ihipStream_tbEUljE_ZNSN_ISO_Lb0ESQ_SR_ST_SU_SY_EESZ_S10_S11_S12_S16_S17_S18_S1B_S1C_jS1D_jS1E_S1E_jjS1G_bEUljE0_EEESZ_S10_S11_S18_S1C_S1E_T6_T7_T9_mT8_S1G_bDpT10_ENKUlT_T0_E_clISt17integral_constantIbLb1EES1T_IbLb0EEEEDaS1P_S1Q_EUlS1P_E_NS1_11comp_targetILNS1_3genE3ELNS1_11target_archE908ELNS1_3gpuE7ELNS1_3repE0EEENS1_30default_config_static_selectorELNS0_4arch9wavefront6targetE0EEEvS12_,comdat
.Lfunc_end962:
	.size	_ZN7rocprim17ROCPRIM_400000_NS6detail17trampoline_kernelINS0_13select_configILj256ELj13ELNS0_17block_load_methodE3ELS4_3ELS4_3ELNS0_20block_scan_algorithmE0ELj4294967295EEENS1_25partition_config_selectorILNS1_17partition_subalgoE4EjNS0_10empty_typeEbEEZZNS1_14partition_implILS8_4ELb0ES6_15HIP_vector_typeIjLj2EENS0_17counting_iteratorIjlEEPS9_SG_NS0_5tupleIJPjSI_NS0_16reverse_iteratorISI_EEEEENSH_IJSG_SG_SG_EEES9_SI_JZNS1_25segmented_radix_sort_implINS0_14default_configELb0EPKsPsPKlPlN2at6native12_GLOBAL__N_18offset_tEEE10hipError_tPvRmT1_PNSt15iterator_traitsIS12_E10value_typeET2_T3_PNS13_IS18_E10value_typeET4_jRbjT5_S1E_jjP12ihipStream_tbEUljE_ZNSN_ISO_Lb0ESQ_SR_ST_SU_SY_EESZ_S10_S11_S12_S16_S17_S18_S1B_S1C_jS1D_jS1E_S1E_jjS1G_bEUljE0_EEESZ_S10_S11_S18_S1C_S1E_T6_T7_T9_mT8_S1G_bDpT10_ENKUlT_T0_E_clISt17integral_constantIbLb1EES1T_IbLb0EEEEDaS1P_S1Q_EUlS1P_E_NS1_11comp_targetILNS1_3genE3ELNS1_11target_archE908ELNS1_3gpuE7ELNS1_3repE0EEENS1_30default_config_static_selectorELNS0_4arch9wavefront6targetE0EEEvS12_, .Lfunc_end962-_ZN7rocprim17ROCPRIM_400000_NS6detail17trampoline_kernelINS0_13select_configILj256ELj13ELNS0_17block_load_methodE3ELS4_3ELS4_3ELNS0_20block_scan_algorithmE0ELj4294967295EEENS1_25partition_config_selectorILNS1_17partition_subalgoE4EjNS0_10empty_typeEbEEZZNS1_14partition_implILS8_4ELb0ES6_15HIP_vector_typeIjLj2EENS0_17counting_iteratorIjlEEPS9_SG_NS0_5tupleIJPjSI_NS0_16reverse_iteratorISI_EEEEENSH_IJSG_SG_SG_EEES9_SI_JZNS1_25segmented_radix_sort_implINS0_14default_configELb0EPKsPsPKlPlN2at6native12_GLOBAL__N_18offset_tEEE10hipError_tPvRmT1_PNSt15iterator_traitsIS12_E10value_typeET2_T3_PNS13_IS18_E10value_typeET4_jRbjT5_S1E_jjP12ihipStream_tbEUljE_ZNSN_ISO_Lb0ESQ_SR_ST_SU_SY_EESZ_S10_S11_S12_S16_S17_S18_S1B_S1C_jS1D_jS1E_S1E_jjS1G_bEUljE0_EEESZ_S10_S11_S18_S1C_S1E_T6_T7_T9_mT8_S1G_bDpT10_ENKUlT_T0_E_clISt17integral_constantIbLb1EES1T_IbLb0EEEEDaS1P_S1Q_EUlS1P_E_NS1_11comp_targetILNS1_3genE3ELNS1_11target_archE908ELNS1_3gpuE7ELNS1_3repE0EEENS1_30default_config_static_selectorELNS0_4arch9wavefront6targetE0EEEvS12_
                                        ; -- End function
	.set _ZN7rocprim17ROCPRIM_400000_NS6detail17trampoline_kernelINS0_13select_configILj256ELj13ELNS0_17block_load_methodE3ELS4_3ELS4_3ELNS0_20block_scan_algorithmE0ELj4294967295EEENS1_25partition_config_selectorILNS1_17partition_subalgoE4EjNS0_10empty_typeEbEEZZNS1_14partition_implILS8_4ELb0ES6_15HIP_vector_typeIjLj2EENS0_17counting_iteratorIjlEEPS9_SG_NS0_5tupleIJPjSI_NS0_16reverse_iteratorISI_EEEEENSH_IJSG_SG_SG_EEES9_SI_JZNS1_25segmented_radix_sort_implINS0_14default_configELb0EPKsPsPKlPlN2at6native12_GLOBAL__N_18offset_tEEE10hipError_tPvRmT1_PNSt15iterator_traitsIS12_E10value_typeET2_T3_PNS13_IS18_E10value_typeET4_jRbjT5_S1E_jjP12ihipStream_tbEUljE_ZNSN_ISO_Lb0ESQ_SR_ST_SU_SY_EESZ_S10_S11_S12_S16_S17_S18_S1B_S1C_jS1D_jS1E_S1E_jjS1G_bEUljE0_EEESZ_S10_S11_S18_S1C_S1E_T6_T7_T9_mT8_S1G_bDpT10_ENKUlT_T0_E_clISt17integral_constantIbLb1EES1T_IbLb0EEEEDaS1P_S1Q_EUlS1P_E_NS1_11comp_targetILNS1_3genE3ELNS1_11target_archE908ELNS1_3gpuE7ELNS1_3repE0EEENS1_30default_config_static_selectorELNS0_4arch9wavefront6targetE0EEEvS12_.num_vgpr, 0
	.set _ZN7rocprim17ROCPRIM_400000_NS6detail17trampoline_kernelINS0_13select_configILj256ELj13ELNS0_17block_load_methodE3ELS4_3ELS4_3ELNS0_20block_scan_algorithmE0ELj4294967295EEENS1_25partition_config_selectorILNS1_17partition_subalgoE4EjNS0_10empty_typeEbEEZZNS1_14partition_implILS8_4ELb0ES6_15HIP_vector_typeIjLj2EENS0_17counting_iteratorIjlEEPS9_SG_NS0_5tupleIJPjSI_NS0_16reverse_iteratorISI_EEEEENSH_IJSG_SG_SG_EEES9_SI_JZNS1_25segmented_radix_sort_implINS0_14default_configELb0EPKsPsPKlPlN2at6native12_GLOBAL__N_18offset_tEEE10hipError_tPvRmT1_PNSt15iterator_traitsIS12_E10value_typeET2_T3_PNS13_IS18_E10value_typeET4_jRbjT5_S1E_jjP12ihipStream_tbEUljE_ZNSN_ISO_Lb0ESQ_SR_ST_SU_SY_EESZ_S10_S11_S12_S16_S17_S18_S1B_S1C_jS1D_jS1E_S1E_jjS1G_bEUljE0_EEESZ_S10_S11_S18_S1C_S1E_T6_T7_T9_mT8_S1G_bDpT10_ENKUlT_T0_E_clISt17integral_constantIbLb1EES1T_IbLb0EEEEDaS1P_S1Q_EUlS1P_E_NS1_11comp_targetILNS1_3genE3ELNS1_11target_archE908ELNS1_3gpuE7ELNS1_3repE0EEENS1_30default_config_static_selectorELNS0_4arch9wavefront6targetE0EEEvS12_.num_agpr, 0
	.set _ZN7rocprim17ROCPRIM_400000_NS6detail17trampoline_kernelINS0_13select_configILj256ELj13ELNS0_17block_load_methodE3ELS4_3ELS4_3ELNS0_20block_scan_algorithmE0ELj4294967295EEENS1_25partition_config_selectorILNS1_17partition_subalgoE4EjNS0_10empty_typeEbEEZZNS1_14partition_implILS8_4ELb0ES6_15HIP_vector_typeIjLj2EENS0_17counting_iteratorIjlEEPS9_SG_NS0_5tupleIJPjSI_NS0_16reverse_iteratorISI_EEEEENSH_IJSG_SG_SG_EEES9_SI_JZNS1_25segmented_radix_sort_implINS0_14default_configELb0EPKsPsPKlPlN2at6native12_GLOBAL__N_18offset_tEEE10hipError_tPvRmT1_PNSt15iterator_traitsIS12_E10value_typeET2_T3_PNS13_IS18_E10value_typeET4_jRbjT5_S1E_jjP12ihipStream_tbEUljE_ZNSN_ISO_Lb0ESQ_SR_ST_SU_SY_EESZ_S10_S11_S12_S16_S17_S18_S1B_S1C_jS1D_jS1E_S1E_jjS1G_bEUljE0_EEESZ_S10_S11_S18_S1C_S1E_T6_T7_T9_mT8_S1G_bDpT10_ENKUlT_T0_E_clISt17integral_constantIbLb1EES1T_IbLb0EEEEDaS1P_S1Q_EUlS1P_E_NS1_11comp_targetILNS1_3genE3ELNS1_11target_archE908ELNS1_3gpuE7ELNS1_3repE0EEENS1_30default_config_static_selectorELNS0_4arch9wavefront6targetE0EEEvS12_.numbered_sgpr, 0
	.set _ZN7rocprim17ROCPRIM_400000_NS6detail17trampoline_kernelINS0_13select_configILj256ELj13ELNS0_17block_load_methodE3ELS4_3ELS4_3ELNS0_20block_scan_algorithmE0ELj4294967295EEENS1_25partition_config_selectorILNS1_17partition_subalgoE4EjNS0_10empty_typeEbEEZZNS1_14partition_implILS8_4ELb0ES6_15HIP_vector_typeIjLj2EENS0_17counting_iteratorIjlEEPS9_SG_NS0_5tupleIJPjSI_NS0_16reverse_iteratorISI_EEEEENSH_IJSG_SG_SG_EEES9_SI_JZNS1_25segmented_radix_sort_implINS0_14default_configELb0EPKsPsPKlPlN2at6native12_GLOBAL__N_18offset_tEEE10hipError_tPvRmT1_PNSt15iterator_traitsIS12_E10value_typeET2_T3_PNS13_IS18_E10value_typeET4_jRbjT5_S1E_jjP12ihipStream_tbEUljE_ZNSN_ISO_Lb0ESQ_SR_ST_SU_SY_EESZ_S10_S11_S12_S16_S17_S18_S1B_S1C_jS1D_jS1E_S1E_jjS1G_bEUljE0_EEESZ_S10_S11_S18_S1C_S1E_T6_T7_T9_mT8_S1G_bDpT10_ENKUlT_T0_E_clISt17integral_constantIbLb1EES1T_IbLb0EEEEDaS1P_S1Q_EUlS1P_E_NS1_11comp_targetILNS1_3genE3ELNS1_11target_archE908ELNS1_3gpuE7ELNS1_3repE0EEENS1_30default_config_static_selectorELNS0_4arch9wavefront6targetE0EEEvS12_.num_named_barrier, 0
	.set _ZN7rocprim17ROCPRIM_400000_NS6detail17trampoline_kernelINS0_13select_configILj256ELj13ELNS0_17block_load_methodE3ELS4_3ELS4_3ELNS0_20block_scan_algorithmE0ELj4294967295EEENS1_25partition_config_selectorILNS1_17partition_subalgoE4EjNS0_10empty_typeEbEEZZNS1_14partition_implILS8_4ELb0ES6_15HIP_vector_typeIjLj2EENS0_17counting_iteratorIjlEEPS9_SG_NS0_5tupleIJPjSI_NS0_16reverse_iteratorISI_EEEEENSH_IJSG_SG_SG_EEES9_SI_JZNS1_25segmented_radix_sort_implINS0_14default_configELb0EPKsPsPKlPlN2at6native12_GLOBAL__N_18offset_tEEE10hipError_tPvRmT1_PNSt15iterator_traitsIS12_E10value_typeET2_T3_PNS13_IS18_E10value_typeET4_jRbjT5_S1E_jjP12ihipStream_tbEUljE_ZNSN_ISO_Lb0ESQ_SR_ST_SU_SY_EESZ_S10_S11_S12_S16_S17_S18_S1B_S1C_jS1D_jS1E_S1E_jjS1G_bEUljE0_EEESZ_S10_S11_S18_S1C_S1E_T6_T7_T9_mT8_S1G_bDpT10_ENKUlT_T0_E_clISt17integral_constantIbLb1EES1T_IbLb0EEEEDaS1P_S1Q_EUlS1P_E_NS1_11comp_targetILNS1_3genE3ELNS1_11target_archE908ELNS1_3gpuE7ELNS1_3repE0EEENS1_30default_config_static_selectorELNS0_4arch9wavefront6targetE0EEEvS12_.private_seg_size, 0
	.set _ZN7rocprim17ROCPRIM_400000_NS6detail17trampoline_kernelINS0_13select_configILj256ELj13ELNS0_17block_load_methodE3ELS4_3ELS4_3ELNS0_20block_scan_algorithmE0ELj4294967295EEENS1_25partition_config_selectorILNS1_17partition_subalgoE4EjNS0_10empty_typeEbEEZZNS1_14partition_implILS8_4ELb0ES6_15HIP_vector_typeIjLj2EENS0_17counting_iteratorIjlEEPS9_SG_NS0_5tupleIJPjSI_NS0_16reverse_iteratorISI_EEEEENSH_IJSG_SG_SG_EEES9_SI_JZNS1_25segmented_radix_sort_implINS0_14default_configELb0EPKsPsPKlPlN2at6native12_GLOBAL__N_18offset_tEEE10hipError_tPvRmT1_PNSt15iterator_traitsIS12_E10value_typeET2_T3_PNS13_IS18_E10value_typeET4_jRbjT5_S1E_jjP12ihipStream_tbEUljE_ZNSN_ISO_Lb0ESQ_SR_ST_SU_SY_EESZ_S10_S11_S12_S16_S17_S18_S1B_S1C_jS1D_jS1E_S1E_jjS1G_bEUljE0_EEESZ_S10_S11_S18_S1C_S1E_T6_T7_T9_mT8_S1G_bDpT10_ENKUlT_T0_E_clISt17integral_constantIbLb1EES1T_IbLb0EEEEDaS1P_S1Q_EUlS1P_E_NS1_11comp_targetILNS1_3genE3ELNS1_11target_archE908ELNS1_3gpuE7ELNS1_3repE0EEENS1_30default_config_static_selectorELNS0_4arch9wavefront6targetE0EEEvS12_.uses_vcc, 0
	.set _ZN7rocprim17ROCPRIM_400000_NS6detail17trampoline_kernelINS0_13select_configILj256ELj13ELNS0_17block_load_methodE3ELS4_3ELS4_3ELNS0_20block_scan_algorithmE0ELj4294967295EEENS1_25partition_config_selectorILNS1_17partition_subalgoE4EjNS0_10empty_typeEbEEZZNS1_14partition_implILS8_4ELb0ES6_15HIP_vector_typeIjLj2EENS0_17counting_iteratorIjlEEPS9_SG_NS0_5tupleIJPjSI_NS0_16reverse_iteratorISI_EEEEENSH_IJSG_SG_SG_EEES9_SI_JZNS1_25segmented_radix_sort_implINS0_14default_configELb0EPKsPsPKlPlN2at6native12_GLOBAL__N_18offset_tEEE10hipError_tPvRmT1_PNSt15iterator_traitsIS12_E10value_typeET2_T3_PNS13_IS18_E10value_typeET4_jRbjT5_S1E_jjP12ihipStream_tbEUljE_ZNSN_ISO_Lb0ESQ_SR_ST_SU_SY_EESZ_S10_S11_S12_S16_S17_S18_S1B_S1C_jS1D_jS1E_S1E_jjS1G_bEUljE0_EEESZ_S10_S11_S18_S1C_S1E_T6_T7_T9_mT8_S1G_bDpT10_ENKUlT_T0_E_clISt17integral_constantIbLb1EES1T_IbLb0EEEEDaS1P_S1Q_EUlS1P_E_NS1_11comp_targetILNS1_3genE3ELNS1_11target_archE908ELNS1_3gpuE7ELNS1_3repE0EEENS1_30default_config_static_selectorELNS0_4arch9wavefront6targetE0EEEvS12_.uses_flat_scratch, 0
	.set _ZN7rocprim17ROCPRIM_400000_NS6detail17trampoline_kernelINS0_13select_configILj256ELj13ELNS0_17block_load_methodE3ELS4_3ELS4_3ELNS0_20block_scan_algorithmE0ELj4294967295EEENS1_25partition_config_selectorILNS1_17partition_subalgoE4EjNS0_10empty_typeEbEEZZNS1_14partition_implILS8_4ELb0ES6_15HIP_vector_typeIjLj2EENS0_17counting_iteratorIjlEEPS9_SG_NS0_5tupleIJPjSI_NS0_16reverse_iteratorISI_EEEEENSH_IJSG_SG_SG_EEES9_SI_JZNS1_25segmented_radix_sort_implINS0_14default_configELb0EPKsPsPKlPlN2at6native12_GLOBAL__N_18offset_tEEE10hipError_tPvRmT1_PNSt15iterator_traitsIS12_E10value_typeET2_T3_PNS13_IS18_E10value_typeET4_jRbjT5_S1E_jjP12ihipStream_tbEUljE_ZNSN_ISO_Lb0ESQ_SR_ST_SU_SY_EESZ_S10_S11_S12_S16_S17_S18_S1B_S1C_jS1D_jS1E_S1E_jjS1G_bEUljE0_EEESZ_S10_S11_S18_S1C_S1E_T6_T7_T9_mT8_S1G_bDpT10_ENKUlT_T0_E_clISt17integral_constantIbLb1EES1T_IbLb0EEEEDaS1P_S1Q_EUlS1P_E_NS1_11comp_targetILNS1_3genE3ELNS1_11target_archE908ELNS1_3gpuE7ELNS1_3repE0EEENS1_30default_config_static_selectorELNS0_4arch9wavefront6targetE0EEEvS12_.has_dyn_sized_stack, 0
	.set _ZN7rocprim17ROCPRIM_400000_NS6detail17trampoline_kernelINS0_13select_configILj256ELj13ELNS0_17block_load_methodE3ELS4_3ELS4_3ELNS0_20block_scan_algorithmE0ELj4294967295EEENS1_25partition_config_selectorILNS1_17partition_subalgoE4EjNS0_10empty_typeEbEEZZNS1_14partition_implILS8_4ELb0ES6_15HIP_vector_typeIjLj2EENS0_17counting_iteratorIjlEEPS9_SG_NS0_5tupleIJPjSI_NS0_16reverse_iteratorISI_EEEEENSH_IJSG_SG_SG_EEES9_SI_JZNS1_25segmented_radix_sort_implINS0_14default_configELb0EPKsPsPKlPlN2at6native12_GLOBAL__N_18offset_tEEE10hipError_tPvRmT1_PNSt15iterator_traitsIS12_E10value_typeET2_T3_PNS13_IS18_E10value_typeET4_jRbjT5_S1E_jjP12ihipStream_tbEUljE_ZNSN_ISO_Lb0ESQ_SR_ST_SU_SY_EESZ_S10_S11_S12_S16_S17_S18_S1B_S1C_jS1D_jS1E_S1E_jjS1G_bEUljE0_EEESZ_S10_S11_S18_S1C_S1E_T6_T7_T9_mT8_S1G_bDpT10_ENKUlT_T0_E_clISt17integral_constantIbLb1EES1T_IbLb0EEEEDaS1P_S1Q_EUlS1P_E_NS1_11comp_targetILNS1_3genE3ELNS1_11target_archE908ELNS1_3gpuE7ELNS1_3repE0EEENS1_30default_config_static_selectorELNS0_4arch9wavefront6targetE0EEEvS12_.has_recursion, 0
	.set _ZN7rocprim17ROCPRIM_400000_NS6detail17trampoline_kernelINS0_13select_configILj256ELj13ELNS0_17block_load_methodE3ELS4_3ELS4_3ELNS0_20block_scan_algorithmE0ELj4294967295EEENS1_25partition_config_selectorILNS1_17partition_subalgoE4EjNS0_10empty_typeEbEEZZNS1_14partition_implILS8_4ELb0ES6_15HIP_vector_typeIjLj2EENS0_17counting_iteratorIjlEEPS9_SG_NS0_5tupleIJPjSI_NS0_16reverse_iteratorISI_EEEEENSH_IJSG_SG_SG_EEES9_SI_JZNS1_25segmented_radix_sort_implINS0_14default_configELb0EPKsPsPKlPlN2at6native12_GLOBAL__N_18offset_tEEE10hipError_tPvRmT1_PNSt15iterator_traitsIS12_E10value_typeET2_T3_PNS13_IS18_E10value_typeET4_jRbjT5_S1E_jjP12ihipStream_tbEUljE_ZNSN_ISO_Lb0ESQ_SR_ST_SU_SY_EESZ_S10_S11_S12_S16_S17_S18_S1B_S1C_jS1D_jS1E_S1E_jjS1G_bEUljE0_EEESZ_S10_S11_S18_S1C_S1E_T6_T7_T9_mT8_S1G_bDpT10_ENKUlT_T0_E_clISt17integral_constantIbLb1EES1T_IbLb0EEEEDaS1P_S1Q_EUlS1P_E_NS1_11comp_targetILNS1_3genE3ELNS1_11target_archE908ELNS1_3gpuE7ELNS1_3repE0EEENS1_30default_config_static_selectorELNS0_4arch9wavefront6targetE0EEEvS12_.has_indirect_call, 0
	.section	.AMDGPU.csdata,"",@progbits
; Kernel info:
; codeLenInByte = 0
; TotalNumSgprs: 0
; NumVgprs: 0
; ScratchSize: 0
; MemoryBound: 0
; FloatMode: 240
; IeeeMode: 1
; LDSByteSize: 0 bytes/workgroup (compile time only)
; SGPRBlocks: 0
; VGPRBlocks: 0
; NumSGPRsForWavesPerEU: 1
; NumVGPRsForWavesPerEU: 1
; Occupancy: 16
; WaveLimiterHint : 0
; COMPUTE_PGM_RSRC2:SCRATCH_EN: 0
; COMPUTE_PGM_RSRC2:USER_SGPR: 6
; COMPUTE_PGM_RSRC2:TRAP_HANDLER: 0
; COMPUTE_PGM_RSRC2:TGID_X_EN: 1
; COMPUTE_PGM_RSRC2:TGID_Y_EN: 0
; COMPUTE_PGM_RSRC2:TGID_Z_EN: 0
; COMPUTE_PGM_RSRC2:TIDIG_COMP_CNT: 0
	.section	.text._ZN7rocprim17ROCPRIM_400000_NS6detail17trampoline_kernelINS0_13select_configILj256ELj13ELNS0_17block_load_methodE3ELS4_3ELS4_3ELNS0_20block_scan_algorithmE0ELj4294967295EEENS1_25partition_config_selectorILNS1_17partition_subalgoE4EjNS0_10empty_typeEbEEZZNS1_14partition_implILS8_4ELb0ES6_15HIP_vector_typeIjLj2EENS0_17counting_iteratorIjlEEPS9_SG_NS0_5tupleIJPjSI_NS0_16reverse_iteratorISI_EEEEENSH_IJSG_SG_SG_EEES9_SI_JZNS1_25segmented_radix_sort_implINS0_14default_configELb0EPKsPsPKlPlN2at6native12_GLOBAL__N_18offset_tEEE10hipError_tPvRmT1_PNSt15iterator_traitsIS12_E10value_typeET2_T3_PNS13_IS18_E10value_typeET4_jRbjT5_S1E_jjP12ihipStream_tbEUljE_ZNSN_ISO_Lb0ESQ_SR_ST_SU_SY_EESZ_S10_S11_S12_S16_S17_S18_S1B_S1C_jS1D_jS1E_S1E_jjS1G_bEUljE0_EEESZ_S10_S11_S18_S1C_S1E_T6_T7_T9_mT8_S1G_bDpT10_ENKUlT_T0_E_clISt17integral_constantIbLb1EES1T_IbLb0EEEEDaS1P_S1Q_EUlS1P_E_NS1_11comp_targetILNS1_3genE2ELNS1_11target_archE906ELNS1_3gpuE6ELNS1_3repE0EEENS1_30default_config_static_selectorELNS0_4arch9wavefront6targetE0EEEvS12_,"axG",@progbits,_ZN7rocprim17ROCPRIM_400000_NS6detail17trampoline_kernelINS0_13select_configILj256ELj13ELNS0_17block_load_methodE3ELS4_3ELS4_3ELNS0_20block_scan_algorithmE0ELj4294967295EEENS1_25partition_config_selectorILNS1_17partition_subalgoE4EjNS0_10empty_typeEbEEZZNS1_14partition_implILS8_4ELb0ES6_15HIP_vector_typeIjLj2EENS0_17counting_iteratorIjlEEPS9_SG_NS0_5tupleIJPjSI_NS0_16reverse_iteratorISI_EEEEENSH_IJSG_SG_SG_EEES9_SI_JZNS1_25segmented_radix_sort_implINS0_14default_configELb0EPKsPsPKlPlN2at6native12_GLOBAL__N_18offset_tEEE10hipError_tPvRmT1_PNSt15iterator_traitsIS12_E10value_typeET2_T3_PNS13_IS18_E10value_typeET4_jRbjT5_S1E_jjP12ihipStream_tbEUljE_ZNSN_ISO_Lb0ESQ_SR_ST_SU_SY_EESZ_S10_S11_S12_S16_S17_S18_S1B_S1C_jS1D_jS1E_S1E_jjS1G_bEUljE0_EEESZ_S10_S11_S18_S1C_S1E_T6_T7_T9_mT8_S1G_bDpT10_ENKUlT_T0_E_clISt17integral_constantIbLb1EES1T_IbLb0EEEEDaS1P_S1Q_EUlS1P_E_NS1_11comp_targetILNS1_3genE2ELNS1_11target_archE906ELNS1_3gpuE6ELNS1_3repE0EEENS1_30default_config_static_selectorELNS0_4arch9wavefront6targetE0EEEvS12_,comdat
	.globl	_ZN7rocprim17ROCPRIM_400000_NS6detail17trampoline_kernelINS0_13select_configILj256ELj13ELNS0_17block_load_methodE3ELS4_3ELS4_3ELNS0_20block_scan_algorithmE0ELj4294967295EEENS1_25partition_config_selectorILNS1_17partition_subalgoE4EjNS0_10empty_typeEbEEZZNS1_14partition_implILS8_4ELb0ES6_15HIP_vector_typeIjLj2EENS0_17counting_iteratorIjlEEPS9_SG_NS0_5tupleIJPjSI_NS0_16reverse_iteratorISI_EEEEENSH_IJSG_SG_SG_EEES9_SI_JZNS1_25segmented_radix_sort_implINS0_14default_configELb0EPKsPsPKlPlN2at6native12_GLOBAL__N_18offset_tEEE10hipError_tPvRmT1_PNSt15iterator_traitsIS12_E10value_typeET2_T3_PNS13_IS18_E10value_typeET4_jRbjT5_S1E_jjP12ihipStream_tbEUljE_ZNSN_ISO_Lb0ESQ_SR_ST_SU_SY_EESZ_S10_S11_S12_S16_S17_S18_S1B_S1C_jS1D_jS1E_S1E_jjS1G_bEUljE0_EEESZ_S10_S11_S18_S1C_S1E_T6_T7_T9_mT8_S1G_bDpT10_ENKUlT_T0_E_clISt17integral_constantIbLb1EES1T_IbLb0EEEEDaS1P_S1Q_EUlS1P_E_NS1_11comp_targetILNS1_3genE2ELNS1_11target_archE906ELNS1_3gpuE6ELNS1_3repE0EEENS1_30default_config_static_selectorELNS0_4arch9wavefront6targetE0EEEvS12_ ; -- Begin function _ZN7rocprim17ROCPRIM_400000_NS6detail17trampoline_kernelINS0_13select_configILj256ELj13ELNS0_17block_load_methodE3ELS4_3ELS4_3ELNS0_20block_scan_algorithmE0ELj4294967295EEENS1_25partition_config_selectorILNS1_17partition_subalgoE4EjNS0_10empty_typeEbEEZZNS1_14partition_implILS8_4ELb0ES6_15HIP_vector_typeIjLj2EENS0_17counting_iteratorIjlEEPS9_SG_NS0_5tupleIJPjSI_NS0_16reverse_iteratorISI_EEEEENSH_IJSG_SG_SG_EEES9_SI_JZNS1_25segmented_radix_sort_implINS0_14default_configELb0EPKsPsPKlPlN2at6native12_GLOBAL__N_18offset_tEEE10hipError_tPvRmT1_PNSt15iterator_traitsIS12_E10value_typeET2_T3_PNS13_IS18_E10value_typeET4_jRbjT5_S1E_jjP12ihipStream_tbEUljE_ZNSN_ISO_Lb0ESQ_SR_ST_SU_SY_EESZ_S10_S11_S12_S16_S17_S18_S1B_S1C_jS1D_jS1E_S1E_jjS1G_bEUljE0_EEESZ_S10_S11_S18_S1C_S1E_T6_T7_T9_mT8_S1G_bDpT10_ENKUlT_T0_E_clISt17integral_constantIbLb1EES1T_IbLb0EEEEDaS1P_S1Q_EUlS1P_E_NS1_11comp_targetILNS1_3genE2ELNS1_11target_archE906ELNS1_3gpuE6ELNS1_3repE0EEENS1_30default_config_static_selectorELNS0_4arch9wavefront6targetE0EEEvS12_
	.p2align	8
	.type	_ZN7rocprim17ROCPRIM_400000_NS6detail17trampoline_kernelINS0_13select_configILj256ELj13ELNS0_17block_load_methodE3ELS4_3ELS4_3ELNS0_20block_scan_algorithmE0ELj4294967295EEENS1_25partition_config_selectorILNS1_17partition_subalgoE4EjNS0_10empty_typeEbEEZZNS1_14partition_implILS8_4ELb0ES6_15HIP_vector_typeIjLj2EENS0_17counting_iteratorIjlEEPS9_SG_NS0_5tupleIJPjSI_NS0_16reverse_iteratorISI_EEEEENSH_IJSG_SG_SG_EEES9_SI_JZNS1_25segmented_radix_sort_implINS0_14default_configELb0EPKsPsPKlPlN2at6native12_GLOBAL__N_18offset_tEEE10hipError_tPvRmT1_PNSt15iterator_traitsIS12_E10value_typeET2_T3_PNS13_IS18_E10value_typeET4_jRbjT5_S1E_jjP12ihipStream_tbEUljE_ZNSN_ISO_Lb0ESQ_SR_ST_SU_SY_EESZ_S10_S11_S12_S16_S17_S18_S1B_S1C_jS1D_jS1E_S1E_jjS1G_bEUljE0_EEESZ_S10_S11_S18_S1C_S1E_T6_T7_T9_mT8_S1G_bDpT10_ENKUlT_T0_E_clISt17integral_constantIbLb1EES1T_IbLb0EEEEDaS1P_S1Q_EUlS1P_E_NS1_11comp_targetILNS1_3genE2ELNS1_11target_archE906ELNS1_3gpuE6ELNS1_3repE0EEENS1_30default_config_static_selectorELNS0_4arch9wavefront6targetE0EEEvS12_,@function
_ZN7rocprim17ROCPRIM_400000_NS6detail17trampoline_kernelINS0_13select_configILj256ELj13ELNS0_17block_load_methodE3ELS4_3ELS4_3ELNS0_20block_scan_algorithmE0ELj4294967295EEENS1_25partition_config_selectorILNS1_17partition_subalgoE4EjNS0_10empty_typeEbEEZZNS1_14partition_implILS8_4ELb0ES6_15HIP_vector_typeIjLj2EENS0_17counting_iteratorIjlEEPS9_SG_NS0_5tupleIJPjSI_NS0_16reverse_iteratorISI_EEEEENSH_IJSG_SG_SG_EEES9_SI_JZNS1_25segmented_radix_sort_implINS0_14default_configELb0EPKsPsPKlPlN2at6native12_GLOBAL__N_18offset_tEEE10hipError_tPvRmT1_PNSt15iterator_traitsIS12_E10value_typeET2_T3_PNS13_IS18_E10value_typeET4_jRbjT5_S1E_jjP12ihipStream_tbEUljE_ZNSN_ISO_Lb0ESQ_SR_ST_SU_SY_EESZ_S10_S11_S12_S16_S17_S18_S1B_S1C_jS1D_jS1E_S1E_jjS1G_bEUljE0_EEESZ_S10_S11_S18_S1C_S1E_T6_T7_T9_mT8_S1G_bDpT10_ENKUlT_T0_E_clISt17integral_constantIbLb1EES1T_IbLb0EEEEDaS1P_S1Q_EUlS1P_E_NS1_11comp_targetILNS1_3genE2ELNS1_11target_archE906ELNS1_3gpuE6ELNS1_3repE0EEENS1_30default_config_static_selectorELNS0_4arch9wavefront6targetE0EEEvS12_: ; @_ZN7rocprim17ROCPRIM_400000_NS6detail17trampoline_kernelINS0_13select_configILj256ELj13ELNS0_17block_load_methodE3ELS4_3ELS4_3ELNS0_20block_scan_algorithmE0ELj4294967295EEENS1_25partition_config_selectorILNS1_17partition_subalgoE4EjNS0_10empty_typeEbEEZZNS1_14partition_implILS8_4ELb0ES6_15HIP_vector_typeIjLj2EENS0_17counting_iteratorIjlEEPS9_SG_NS0_5tupleIJPjSI_NS0_16reverse_iteratorISI_EEEEENSH_IJSG_SG_SG_EEES9_SI_JZNS1_25segmented_radix_sort_implINS0_14default_configELb0EPKsPsPKlPlN2at6native12_GLOBAL__N_18offset_tEEE10hipError_tPvRmT1_PNSt15iterator_traitsIS12_E10value_typeET2_T3_PNS13_IS18_E10value_typeET4_jRbjT5_S1E_jjP12ihipStream_tbEUljE_ZNSN_ISO_Lb0ESQ_SR_ST_SU_SY_EESZ_S10_S11_S12_S16_S17_S18_S1B_S1C_jS1D_jS1E_S1E_jjS1G_bEUljE0_EEESZ_S10_S11_S18_S1C_S1E_T6_T7_T9_mT8_S1G_bDpT10_ENKUlT_T0_E_clISt17integral_constantIbLb1EES1T_IbLb0EEEEDaS1P_S1Q_EUlS1P_E_NS1_11comp_targetILNS1_3genE2ELNS1_11target_archE906ELNS1_3gpuE6ELNS1_3repE0EEENS1_30default_config_static_selectorELNS0_4arch9wavefront6targetE0EEEvS12_
; %bb.0:
	.section	.rodata,"a",@progbits
	.p2align	6, 0x0
	.amdhsa_kernel _ZN7rocprim17ROCPRIM_400000_NS6detail17trampoline_kernelINS0_13select_configILj256ELj13ELNS0_17block_load_methodE3ELS4_3ELS4_3ELNS0_20block_scan_algorithmE0ELj4294967295EEENS1_25partition_config_selectorILNS1_17partition_subalgoE4EjNS0_10empty_typeEbEEZZNS1_14partition_implILS8_4ELb0ES6_15HIP_vector_typeIjLj2EENS0_17counting_iteratorIjlEEPS9_SG_NS0_5tupleIJPjSI_NS0_16reverse_iteratorISI_EEEEENSH_IJSG_SG_SG_EEES9_SI_JZNS1_25segmented_radix_sort_implINS0_14default_configELb0EPKsPsPKlPlN2at6native12_GLOBAL__N_18offset_tEEE10hipError_tPvRmT1_PNSt15iterator_traitsIS12_E10value_typeET2_T3_PNS13_IS18_E10value_typeET4_jRbjT5_S1E_jjP12ihipStream_tbEUljE_ZNSN_ISO_Lb0ESQ_SR_ST_SU_SY_EESZ_S10_S11_S12_S16_S17_S18_S1B_S1C_jS1D_jS1E_S1E_jjS1G_bEUljE0_EEESZ_S10_S11_S18_S1C_S1E_T6_T7_T9_mT8_S1G_bDpT10_ENKUlT_T0_E_clISt17integral_constantIbLb1EES1T_IbLb0EEEEDaS1P_S1Q_EUlS1P_E_NS1_11comp_targetILNS1_3genE2ELNS1_11target_archE906ELNS1_3gpuE6ELNS1_3repE0EEENS1_30default_config_static_selectorELNS0_4arch9wavefront6targetE0EEEvS12_
		.amdhsa_group_segment_fixed_size 0
		.amdhsa_private_segment_fixed_size 0
		.amdhsa_kernarg_size 176
		.amdhsa_user_sgpr_count 6
		.amdhsa_user_sgpr_private_segment_buffer 1
		.amdhsa_user_sgpr_dispatch_ptr 0
		.amdhsa_user_sgpr_queue_ptr 0
		.amdhsa_user_sgpr_kernarg_segment_ptr 1
		.amdhsa_user_sgpr_dispatch_id 0
		.amdhsa_user_sgpr_flat_scratch_init 0
		.amdhsa_user_sgpr_private_segment_size 0
		.amdhsa_wavefront_size32 1
		.amdhsa_uses_dynamic_stack 0
		.amdhsa_system_sgpr_private_segment_wavefront_offset 0
		.amdhsa_system_sgpr_workgroup_id_x 1
		.amdhsa_system_sgpr_workgroup_id_y 0
		.amdhsa_system_sgpr_workgroup_id_z 0
		.amdhsa_system_sgpr_workgroup_info 0
		.amdhsa_system_vgpr_workitem_id 0
		.amdhsa_next_free_vgpr 1
		.amdhsa_next_free_sgpr 1
		.amdhsa_reserve_vcc 0
		.amdhsa_reserve_flat_scratch 0
		.amdhsa_float_round_mode_32 0
		.amdhsa_float_round_mode_16_64 0
		.amdhsa_float_denorm_mode_32 3
		.amdhsa_float_denorm_mode_16_64 3
		.amdhsa_dx10_clamp 1
		.amdhsa_ieee_mode 1
		.amdhsa_fp16_overflow 0
		.amdhsa_workgroup_processor_mode 1
		.amdhsa_memory_ordered 1
		.amdhsa_forward_progress 1
		.amdhsa_shared_vgpr_count 0
		.amdhsa_exception_fp_ieee_invalid_op 0
		.amdhsa_exception_fp_denorm_src 0
		.amdhsa_exception_fp_ieee_div_zero 0
		.amdhsa_exception_fp_ieee_overflow 0
		.amdhsa_exception_fp_ieee_underflow 0
		.amdhsa_exception_fp_ieee_inexact 0
		.amdhsa_exception_int_div_zero 0
	.end_amdhsa_kernel
	.section	.text._ZN7rocprim17ROCPRIM_400000_NS6detail17trampoline_kernelINS0_13select_configILj256ELj13ELNS0_17block_load_methodE3ELS4_3ELS4_3ELNS0_20block_scan_algorithmE0ELj4294967295EEENS1_25partition_config_selectorILNS1_17partition_subalgoE4EjNS0_10empty_typeEbEEZZNS1_14partition_implILS8_4ELb0ES6_15HIP_vector_typeIjLj2EENS0_17counting_iteratorIjlEEPS9_SG_NS0_5tupleIJPjSI_NS0_16reverse_iteratorISI_EEEEENSH_IJSG_SG_SG_EEES9_SI_JZNS1_25segmented_radix_sort_implINS0_14default_configELb0EPKsPsPKlPlN2at6native12_GLOBAL__N_18offset_tEEE10hipError_tPvRmT1_PNSt15iterator_traitsIS12_E10value_typeET2_T3_PNS13_IS18_E10value_typeET4_jRbjT5_S1E_jjP12ihipStream_tbEUljE_ZNSN_ISO_Lb0ESQ_SR_ST_SU_SY_EESZ_S10_S11_S12_S16_S17_S18_S1B_S1C_jS1D_jS1E_S1E_jjS1G_bEUljE0_EEESZ_S10_S11_S18_S1C_S1E_T6_T7_T9_mT8_S1G_bDpT10_ENKUlT_T0_E_clISt17integral_constantIbLb1EES1T_IbLb0EEEEDaS1P_S1Q_EUlS1P_E_NS1_11comp_targetILNS1_3genE2ELNS1_11target_archE906ELNS1_3gpuE6ELNS1_3repE0EEENS1_30default_config_static_selectorELNS0_4arch9wavefront6targetE0EEEvS12_,"axG",@progbits,_ZN7rocprim17ROCPRIM_400000_NS6detail17trampoline_kernelINS0_13select_configILj256ELj13ELNS0_17block_load_methodE3ELS4_3ELS4_3ELNS0_20block_scan_algorithmE0ELj4294967295EEENS1_25partition_config_selectorILNS1_17partition_subalgoE4EjNS0_10empty_typeEbEEZZNS1_14partition_implILS8_4ELb0ES6_15HIP_vector_typeIjLj2EENS0_17counting_iteratorIjlEEPS9_SG_NS0_5tupleIJPjSI_NS0_16reverse_iteratorISI_EEEEENSH_IJSG_SG_SG_EEES9_SI_JZNS1_25segmented_radix_sort_implINS0_14default_configELb0EPKsPsPKlPlN2at6native12_GLOBAL__N_18offset_tEEE10hipError_tPvRmT1_PNSt15iterator_traitsIS12_E10value_typeET2_T3_PNS13_IS18_E10value_typeET4_jRbjT5_S1E_jjP12ihipStream_tbEUljE_ZNSN_ISO_Lb0ESQ_SR_ST_SU_SY_EESZ_S10_S11_S12_S16_S17_S18_S1B_S1C_jS1D_jS1E_S1E_jjS1G_bEUljE0_EEESZ_S10_S11_S18_S1C_S1E_T6_T7_T9_mT8_S1G_bDpT10_ENKUlT_T0_E_clISt17integral_constantIbLb1EES1T_IbLb0EEEEDaS1P_S1Q_EUlS1P_E_NS1_11comp_targetILNS1_3genE2ELNS1_11target_archE906ELNS1_3gpuE6ELNS1_3repE0EEENS1_30default_config_static_selectorELNS0_4arch9wavefront6targetE0EEEvS12_,comdat
.Lfunc_end963:
	.size	_ZN7rocprim17ROCPRIM_400000_NS6detail17trampoline_kernelINS0_13select_configILj256ELj13ELNS0_17block_load_methodE3ELS4_3ELS4_3ELNS0_20block_scan_algorithmE0ELj4294967295EEENS1_25partition_config_selectorILNS1_17partition_subalgoE4EjNS0_10empty_typeEbEEZZNS1_14partition_implILS8_4ELb0ES6_15HIP_vector_typeIjLj2EENS0_17counting_iteratorIjlEEPS9_SG_NS0_5tupleIJPjSI_NS0_16reverse_iteratorISI_EEEEENSH_IJSG_SG_SG_EEES9_SI_JZNS1_25segmented_radix_sort_implINS0_14default_configELb0EPKsPsPKlPlN2at6native12_GLOBAL__N_18offset_tEEE10hipError_tPvRmT1_PNSt15iterator_traitsIS12_E10value_typeET2_T3_PNS13_IS18_E10value_typeET4_jRbjT5_S1E_jjP12ihipStream_tbEUljE_ZNSN_ISO_Lb0ESQ_SR_ST_SU_SY_EESZ_S10_S11_S12_S16_S17_S18_S1B_S1C_jS1D_jS1E_S1E_jjS1G_bEUljE0_EEESZ_S10_S11_S18_S1C_S1E_T6_T7_T9_mT8_S1G_bDpT10_ENKUlT_T0_E_clISt17integral_constantIbLb1EES1T_IbLb0EEEEDaS1P_S1Q_EUlS1P_E_NS1_11comp_targetILNS1_3genE2ELNS1_11target_archE906ELNS1_3gpuE6ELNS1_3repE0EEENS1_30default_config_static_selectorELNS0_4arch9wavefront6targetE0EEEvS12_, .Lfunc_end963-_ZN7rocprim17ROCPRIM_400000_NS6detail17trampoline_kernelINS0_13select_configILj256ELj13ELNS0_17block_load_methodE3ELS4_3ELS4_3ELNS0_20block_scan_algorithmE0ELj4294967295EEENS1_25partition_config_selectorILNS1_17partition_subalgoE4EjNS0_10empty_typeEbEEZZNS1_14partition_implILS8_4ELb0ES6_15HIP_vector_typeIjLj2EENS0_17counting_iteratorIjlEEPS9_SG_NS0_5tupleIJPjSI_NS0_16reverse_iteratorISI_EEEEENSH_IJSG_SG_SG_EEES9_SI_JZNS1_25segmented_radix_sort_implINS0_14default_configELb0EPKsPsPKlPlN2at6native12_GLOBAL__N_18offset_tEEE10hipError_tPvRmT1_PNSt15iterator_traitsIS12_E10value_typeET2_T3_PNS13_IS18_E10value_typeET4_jRbjT5_S1E_jjP12ihipStream_tbEUljE_ZNSN_ISO_Lb0ESQ_SR_ST_SU_SY_EESZ_S10_S11_S12_S16_S17_S18_S1B_S1C_jS1D_jS1E_S1E_jjS1G_bEUljE0_EEESZ_S10_S11_S18_S1C_S1E_T6_T7_T9_mT8_S1G_bDpT10_ENKUlT_T0_E_clISt17integral_constantIbLb1EES1T_IbLb0EEEEDaS1P_S1Q_EUlS1P_E_NS1_11comp_targetILNS1_3genE2ELNS1_11target_archE906ELNS1_3gpuE6ELNS1_3repE0EEENS1_30default_config_static_selectorELNS0_4arch9wavefront6targetE0EEEvS12_
                                        ; -- End function
	.set _ZN7rocprim17ROCPRIM_400000_NS6detail17trampoline_kernelINS0_13select_configILj256ELj13ELNS0_17block_load_methodE3ELS4_3ELS4_3ELNS0_20block_scan_algorithmE0ELj4294967295EEENS1_25partition_config_selectorILNS1_17partition_subalgoE4EjNS0_10empty_typeEbEEZZNS1_14partition_implILS8_4ELb0ES6_15HIP_vector_typeIjLj2EENS0_17counting_iteratorIjlEEPS9_SG_NS0_5tupleIJPjSI_NS0_16reverse_iteratorISI_EEEEENSH_IJSG_SG_SG_EEES9_SI_JZNS1_25segmented_radix_sort_implINS0_14default_configELb0EPKsPsPKlPlN2at6native12_GLOBAL__N_18offset_tEEE10hipError_tPvRmT1_PNSt15iterator_traitsIS12_E10value_typeET2_T3_PNS13_IS18_E10value_typeET4_jRbjT5_S1E_jjP12ihipStream_tbEUljE_ZNSN_ISO_Lb0ESQ_SR_ST_SU_SY_EESZ_S10_S11_S12_S16_S17_S18_S1B_S1C_jS1D_jS1E_S1E_jjS1G_bEUljE0_EEESZ_S10_S11_S18_S1C_S1E_T6_T7_T9_mT8_S1G_bDpT10_ENKUlT_T0_E_clISt17integral_constantIbLb1EES1T_IbLb0EEEEDaS1P_S1Q_EUlS1P_E_NS1_11comp_targetILNS1_3genE2ELNS1_11target_archE906ELNS1_3gpuE6ELNS1_3repE0EEENS1_30default_config_static_selectorELNS0_4arch9wavefront6targetE0EEEvS12_.num_vgpr, 0
	.set _ZN7rocprim17ROCPRIM_400000_NS6detail17trampoline_kernelINS0_13select_configILj256ELj13ELNS0_17block_load_methodE3ELS4_3ELS4_3ELNS0_20block_scan_algorithmE0ELj4294967295EEENS1_25partition_config_selectorILNS1_17partition_subalgoE4EjNS0_10empty_typeEbEEZZNS1_14partition_implILS8_4ELb0ES6_15HIP_vector_typeIjLj2EENS0_17counting_iteratorIjlEEPS9_SG_NS0_5tupleIJPjSI_NS0_16reverse_iteratorISI_EEEEENSH_IJSG_SG_SG_EEES9_SI_JZNS1_25segmented_radix_sort_implINS0_14default_configELb0EPKsPsPKlPlN2at6native12_GLOBAL__N_18offset_tEEE10hipError_tPvRmT1_PNSt15iterator_traitsIS12_E10value_typeET2_T3_PNS13_IS18_E10value_typeET4_jRbjT5_S1E_jjP12ihipStream_tbEUljE_ZNSN_ISO_Lb0ESQ_SR_ST_SU_SY_EESZ_S10_S11_S12_S16_S17_S18_S1B_S1C_jS1D_jS1E_S1E_jjS1G_bEUljE0_EEESZ_S10_S11_S18_S1C_S1E_T6_T7_T9_mT8_S1G_bDpT10_ENKUlT_T0_E_clISt17integral_constantIbLb1EES1T_IbLb0EEEEDaS1P_S1Q_EUlS1P_E_NS1_11comp_targetILNS1_3genE2ELNS1_11target_archE906ELNS1_3gpuE6ELNS1_3repE0EEENS1_30default_config_static_selectorELNS0_4arch9wavefront6targetE0EEEvS12_.num_agpr, 0
	.set _ZN7rocprim17ROCPRIM_400000_NS6detail17trampoline_kernelINS0_13select_configILj256ELj13ELNS0_17block_load_methodE3ELS4_3ELS4_3ELNS0_20block_scan_algorithmE0ELj4294967295EEENS1_25partition_config_selectorILNS1_17partition_subalgoE4EjNS0_10empty_typeEbEEZZNS1_14partition_implILS8_4ELb0ES6_15HIP_vector_typeIjLj2EENS0_17counting_iteratorIjlEEPS9_SG_NS0_5tupleIJPjSI_NS0_16reverse_iteratorISI_EEEEENSH_IJSG_SG_SG_EEES9_SI_JZNS1_25segmented_radix_sort_implINS0_14default_configELb0EPKsPsPKlPlN2at6native12_GLOBAL__N_18offset_tEEE10hipError_tPvRmT1_PNSt15iterator_traitsIS12_E10value_typeET2_T3_PNS13_IS18_E10value_typeET4_jRbjT5_S1E_jjP12ihipStream_tbEUljE_ZNSN_ISO_Lb0ESQ_SR_ST_SU_SY_EESZ_S10_S11_S12_S16_S17_S18_S1B_S1C_jS1D_jS1E_S1E_jjS1G_bEUljE0_EEESZ_S10_S11_S18_S1C_S1E_T6_T7_T9_mT8_S1G_bDpT10_ENKUlT_T0_E_clISt17integral_constantIbLb1EES1T_IbLb0EEEEDaS1P_S1Q_EUlS1P_E_NS1_11comp_targetILNS1_3genE2ELNS1_11target_archE906ELNS1_3gpuE6ELNS1_3repE0EEENS1_30default_config_static_selectorELNS0_4arch9wavefront6targetE0EEEvS12_.numbered_sgpr, 0
	.set _ZN7rocprim17ROCPRIM_400000_NS6detail17trampoline_kernelINS0_13select_configILj256ELj13ELNS0_17block_load_methodE3ELS4_3ELS4_3ELNS0_20block_scan_algorithmE0ELj4294967295EEENS1_25partition_config_selectorILNS1_17partition_subalgoE4EjNS0_10empty_typeEbEEZZNS1_14partition_implILS8_4ELb0ES6_15HIP_vector_typeIjLj2EENS0_17counting_iteratorIjlEEPS9_SG_NS0_5tupleIJPjSI_NS0_16reverse_iteratorISI_EEEEENSH_IJSG_SG_SG_EEES9_SI_JZNS1_25segmented_radix_sort_implINS0_14default_configELb0EPKsPsPKlPlN2at6native12_GLOBAL__N_18offset_tEEE10hipError_tPvRmT1_PNSt15iterator_traitsIS12_E10value_typeET2_T3_PNS13_IS18_E10value_typeET4_jRbjT5_S1E_jjP12ihipStream_tbEUljE_ZNSN_ISO_Lb0ESQ_SR_ST_SU_SY_EESZ_S10_S11_S12_S16_S17_S18_S1B_S1C_jS1D_jS1E_S1E_jjS1G_bEUljE0_EEESZ_S10_S11_S18_S1C_S1E_T6_T7_T9_mT8_S1G_bDpT10_ENKUlT_T0_E_clISt17integral_constantIbLb1EES1T_IbLb0EEEEDaS1P_S1Q_EUlS1P_E_NS1_11comp_targetILNS1_3genE2ELNS1_11target_archE906ELNS1_3gpuE6ELNS1_3repE0EEENS1_30default_config_static_selectorELNS0_4arch9wavefront6targetE0EEEvS12_.num_named_barrier, 0
	.set _ZN7rocprim17ROCPRIM_400000_NS6detail17trampoline_kernelINS0_13select_configILj256ELj13ELNS0_17block_load_methodE3ELS4_3ELS4_3ELNS0_20block_scan_algorithmE0ELj4294967295EEENS1_25partition_config_selectorILNS1_17partition_subalgoE4EjNS0_10empty_typeEbEEZZNS1_14partition_implILS8_4ELb0ES6_15HIP_vector_typeIjLj2EENS0_17counting_iteratorIjlEEPS9_SG_NS0_5tupleIJPjSI_NS0_16reverse_iteratorISI_EEEEENSH_IJSG_SG_SG_EEES9_SI_JZNS1_25segmented_radix_sort_implINS0_14default_configELb0EPKsPsPKlPlN2at6native12_GLOBAL__N_18offset_tEEE10hipError_tPvRmT1_PNSt15iterator_traitsIS12_E10value_typeET2_T3_PNS13_IS18_E10value_typeET4_jRbjT5_S1E_jjP12ihipStream_tbEUljE_ZNSN_ISO_Lb0ESQ_SR_ST_SU_SY_EESZ_S10_S11_S12_S16_S17_S18_S1B_S1C_jS1D_jS1E_S1E_jjS1G_bEUljE0_EEESZ_S10_S11_S18_S1C_S1E_T6_T7_T9_mT8_S1G_bDpT10_ENKUlT_T0_E_clISt17integral_constantIbLb1EES1T_IbLb0EEEEDaS1P_S1Q_EUlS1P_E_NS1_11comp_targetILNS1_3genE2ELNS1_11target_archE906ELNS1_3gpuE6ELNS1_3repE0EEENS1_30default_config_static_selectorELNS0_4arch9wavefront6targetE0EEEvS12_.private_seg_size, 0
	.set _ZN7rocprim17ROCPRIM_400000_NS6detail17trampoline_kernelINS0_13select_configILj256ELj13ELNS0_17block_load_methodE3ELS4_3ELS4_3ELNS0_20block_scan_algorithmE0ELj4294967295EEENS1_25partition_config_selectorILNS1_17partition_subalgoE4EjNS0_10empty_typeEbEEZZNS1_14partition_implILS8_4ELb0ES6_15HIP_vector_typeIjLj2EENS0_17counting_iteratorIjlEEPS9_SG_NS0_5tupleIJPjSI_NS0_16reverse_iteratorISI_EEEEENSH_IJSG_SG_SG_EEES9_SI_JZNS1_25segmented_radix_sort_implINS0_14default_configELb0EPKsPsPKlPlN2at6native12_GLOBAL__N_18offset_tEEE10hipError_tPvRmT1_PNSt15iterator_traitsIS12_E10value_typeET2_T3_PNS13_IS18_E10value_typeET4_jRbjT5_S1E_jjP12ihipStream_tbEUljE_ZNSN_ISO_Lb0ESQ_SR_ST_SU_SY_EESZ_S10_S11_S12_S16_S17_S18_S1B_S1C_jS1D_jS1E_S1E_jjS1G_bEUljE0_EEESZ_S10_S11_S18_S1C_S1E_T6_T7_T9_mT8_S1G_bDpT10_ENKUlT_T0_E_clISt17integral_constantIbLb1EES1T_IbLb0EEEEDaS1P_S1Q_EUlS1P_E_NS1_11comp_targetILNS1_3genE2ELNS1_11target_archE906ELNS1_3gpuE6ELNS1_3repE0EEENS1_30default_config_static_selectorELNS0_4arch9wavefront6targetE0EEEvS12_.uses_vcc, 0
	.set _ZN7rocprim17ROCPRIM_400000_NS6detail17trampoline_kernelINS0_13select_configILj256ELj13ELNS0_17block_load_methodE3ELS4_3ELS4_3ELNS0_20block_scan_algorithmE0ELj4294967295EEENS1_25partition_config_selectorILNS1_17partition_subalgoE4EjNS0_10empty_typeEbEEZZNS1_14partition_implILS8_4ELb0ES6_15HIP_vector_typeIjLj2EENS0_17counting_iteratorIjlEEPS9_SG_NS0_5tupleIJPjSI_NS0_16reverse_iteratorISI_EEEEENSH_IJSG_SG_SG_EEES9_SI_JZNS1_25segmented_radix_sort_implINS0_14default_configELb0EPKsPsPKlPlN2at6native12_GLOBAL__N_18offset_tEEE10hipError_tPvRmT1_PNSt15iterator_traitsIS12_E10value_typeET2_T3_PNS13_IS18_E10value_typeET4_jRbjT5_S1E_jjP12ihipStream_tbEUljE_ZNSN_ISO_Lb0ESQ_SR_ST_SU_SY_EESZ_S10_S11_S12_S16_S17_S18_S1B_S1C_jS1D_jS1E_S1E_jjS1G_bEUljE0_EEESZ_S10_S11_S18_S1C_S1E_T6_T7_T9_mT8_S1G_bDpT10_ENKUlT_T0_E_clISt17integral_constantIbLb1EES1T_IbLb0EEEEDaS1P_S1Q_EUlS1P_E_NS1_11comp_targetILNS1_3genE2ELNS1_11target_archE906ELNS1_3gpuE6ELNS1_3repE0EEENS1_30default_config_static_selectorELNS0_4arch9wavefront6targetE0EEEvS12_.uses_flat_scratch, 0
	.set _ZN7rocprim17ROCPRIM_400000_NS6detail17trampoline_kernelINS0_13select_configILj256ELj13ELNS0_17block_load_methodE3ELS4_3ELS4_3ELNS0_20block_scan_algorithmE0ELj4294967295EEENS1_25partition_config_selectorILNS1_17partition_subalgoE4EjNS0_10empty_typeEbEEZZNS1_14partition_implILS8_4ELb0ES6_15HIP_vector_typeIjLj2EENS0_17counting_iteratorIjlEEPS9_SG_NS0_5tupleIJPjSI_NS0_16reverse_iteratorISI_EEEEENSH_IJSG_SG_SG_EEES9_SI_JZNS1_25segmented_radix_sort_implINS0_14default_configELb0EPKsPsPKlPlN2at6native12_GLOBAL__N_18offset_tEEE10hipError_tPvRmT1_PNSt15iterator_traitsIS12_E10value_typeET2_T3_PNS13_IS18_E10value_typeET4_jRbjT5_S1E_jjP12ihipStream_tbEUljE_ZNSN_ISO_Lb0ESQ_SR_ST_SU_SY_EESZ_S10_S11_S12_S16_S17_S18_S1B_S1C_jS1D_jS1E_S1E_jjS1G_bEUljE0_EEESZ_S10_S11_S18_S1C_S1E_T6_T7_T9_mT8_S1G_bDpT10_ENKUlT_T0_E_clISt17integral_constantIbLb1EES1T_IbLb0EEEEDaS1P_S1Q_EUlS1P_E_NS1_11comp_targetILNS1_3genE2ELNS1_11target_archE906ELNS1_3gpuE6ELNS1_3repE0EEENS1_30default_config_static_selectorELNS0_4arch9wavefront6targetE0EEEvS12_.has_dyn_sized_stack, 0
	.set _ZN7rocprim17ROCPRIM_400000_NS6detail17trampoline_kernelINS0_13select_configILj256ELj13ELNS0_17block_load_methodE3ELS4_3ELS4_3ELNS0_20block_scan_algorithmE0ELj4294967295EEENS1_25partition_config_selectorILNS1_17partition_subalgoE4EjNS0_10empty_typeEbEEZZNS1_14partition_implILS8_4ELb0ES6_15HIP_vector_typeIjLj2EENS0_17counting_iteratorIjlEEPS9_SG_NS0_5tupleIJPjSI_NS0_16reverse_iteratorISI_EEEEENSH_IJSG_SG_SG_EEES9_SI_JZNS1_25segmented_radix_sort_implINS0_14default_configELb0EPKsPsPKlPlN2at6native12_GLOBAL__N_18offset_tEEE10hipError_tPvRmT1_PNSt15iterator_traitsIS12_E10value_typeET2_T3_PNS13_IS18_E10value_typeET4_jRbjT5_S1E_jjP12ihipStream_tbEUljE_ZNSN_ISO_Lb0ESQ_SR_ST_SU_SY_EESZ_S10_S11_S12_S16_S17_S18_S1B_S1C_jS1D_jS1E_S1E_jjS1G_bEUljE0_EEESZ_S10_S11_S18_S1C_S1E_T6_T7_T9_mT8_S1G_bDpT10_ENKUlT_T0_E_clISt17integral_constantIbLb1EES1T_IbLb0EEEEDaS1P_S1Q_EUlS1P_E_NS1_11comp_targetILNS1_3genE2ELNS1_11target_archE906ELNS1_3gpuE6ELNS1_3repE0EEENS1_30default_config_static_selectorELNS0_4arch9wavefront6targetE0EEEvS12_.has_recursion, 0
	.set _ZN7rocprim17ROCPRIM_400000_NS6detail17trampoline_kernelINS0_13select_configILj256ELj13ELNS0_17block_load_methodE3ELS4_3ELS4_3ELNS0_20block_scan_algorithmE0ELj4294967295EEENS1_25partition_config_selectorILNS1_17partition_subalgoE4EjNS0_10empty_typeEbEEZZNS1_14partition_implILS8_4ELb0ES6_15HIP_vector_typeIjLj2EENS0_17counting_iteratorIjlEEPS9_SG_NS0_5tupleIJPjSI_NS0_16reverse_iteratorISI_EEEEENSH_IJSG_SG_SG_EEES9_SI_JZNS1_25segmented_radix_sort_implINS0_14default_configELb0EPKsPsPKlPlN2at6native12_GLOBAL__N_18offset_tEEE10hipError_tPvRmT1_PNSt15iterator_traitsIS12_E10value_typeET2_T3_PNS13_IS18_E10value_typeET4_jRbjT5_S1E_jjP12ihipStream_tbEUljE_ZNSN_ISO_Lb0ESQ_SR_ST_SU_SY_EESZ_S10_S11_S12_S16_S17_S18_S1B_S1C_jS1D_jS1E_S1E_jjS1G_bEUljE0_EEESZ_S10_S11_S18_S1C_S1E_T6_T7_T9_mT8_S1G_bDpT10_ENKUlT_T0_E_clISt17integral_constantIbLb1EES1T_IbLb0EEEEDaS1P_S1Q_EUlS1P_E_NS1_11comp_targetILNS1_3genE2ELNS1_11target_archE906ELNS1_3gpuE6ELNS1_3repE0EEENS1_30default_config_static_selectorELNS0_4arch9wavefront6targetE0EEEvS12_.has_indirect_call, 0
	.section	.AMDGPU.csdata,"",@progbits
; Kernel info:
; codeLenInByte = 0
; TotalNumSgprs: 0
; NumVgprs: 0
; ScratchSize: 0
; MemoryBound: 0
; FloatMode: 240
; IeeeMode: 1
; LDSByteSize: 0 bytes/workgroup (compile time only)
; SGPRBlocks: 0
; VGPRBlocks: 0
; NumSGPRsForWavesPerEU: 1
; NumVGPRsForWavesPerEU: 1
; Occupancy: 16
; WaveLimiterHint : 0
; COMPUTE_PGM_RSRC2:SCRATCH_EN: 0
; COMPUTE_PGM_RSRC2:USER_SGPR: 6
; COMPUTE_PGM_RSRC2:TRAP_HANDLER: 0
; COMPUTE_PGM_RSRC2:TGID_X_EN: 1
; COMPUTE_PGM_RSRC2:TGID_Y_EN: 0
; COMPUTE_PGM_RSRC2:TGID_Z_EN: 0
; COMPUTE_PGM_RSRC2:TIDIG_COMP_CNT: 0
	.section	.text._ZN7rocprim17ROCPRIM_400000_NS6detail17trampoline_kernelINS0_13select_configILj256ELj13ELNS0_17block_load_methodE3ELS4_3ELS4_3ELNS0_20block_scan_algorithmE0ELj4294967295EEENS1_25partition_config_selectorILNS1_17partition_subalgoE4EjNS0_10empty_typeEbEEZZNS1_14partition_implILS8_4ELb0ES6_15HIP_vector_typeIjLj2EENS0_17counting_iteratorIjlEEPS9_SG_NS0_5tupleIJPjSI_NS0_16reverse_iteratorISI_EEEEENSH_IJSG_SG_SG_EEES9_SI_JZNS1_25segmented_radix_sort_implINS0_14default_configELb0EPKsPsPKlPlN2at6native12_GLOBAL__N_18offset_tEEE10hipError_tPvRmT1_PNSt15iterator_traitsIS12_E10value_typeET2_T3_PNS13_IS18_E10value_typeET4_jRbjT5_S1E_jjP12ihipStream_tbEUljE_ZNSN_ISO_Lb0ESQ_SR_ST_SU_SY_EESZ_S10_S11_S12_S16_S17_S18_S1B_S1C_jS1D_jS1E_S1E_jjS1G_bEUljE0_EEESZ_S10_S11_S18_S1C_S1E_T6_T7_T9_mT8_S1G_bDpT10_ENKUlT_T0_E_clISt17integral_constantIbLb1EES1T_IbLb0EEEEDaS1P_S1Q_EUlS1P_E_NS1_11comp_targetILNS1_3genE10ELNS1_11target_archE1200ELNS1_3gpuE4ELNS1_3repE0EEENS1_30default_config_static_selectorELNS0_4arch9wavefront6targetE0EEEvS12_,"axG",@progbits,_ZN7rocprim17ROCPRIM_400000_NS6detail17trampoline_kernelINS0_13select_configILj256ELj13ELNS0_17block_load_methodE3ELS4_3ELS4_3ELNS0_20block_scan_algorithmE0ELj4294967295EEENS1_25partition_config_selectorILNS1_17partition_subalgoE4EjNS0_10empty_typeEbEEZZNS1_14partition_implILS8_4ELb0ES6_15HIP_vector_typeIjLj2EENS0_17counting_iteratorIjlEEPS9_SG_NS0_5tupleIJPjSI_NS0_16reverse_iteratorISI_EEEEENSH_IJSG_SG_SG_EEES9_SI_JZNS1_25segmented_radix_sort_implINS0_14default_configELb0EPKsPsPKlPlN2at6native12_GLOBAL__N_18offset_tEEE10hipError_tPvRmT1_PNSt15iterator_traitsIS12_E10value_typeET2_T3_PNS13_IS18_E10value_typeET4_jRbjT5_S1E_jjP12ihipStream_tbEUljE_ZNSN_ISO_Lb0ESQ_SR_ST_SU_SY_EESZ_S10_S11_S12_S16_S17_S18_S1B_S1C_jS1D_jS1E_S1E_jjS1G_bEUljE0_EEESZ_S10_S11_S18_S1C_S1E_T6_T7_T9_mT8_S1G_bDpT10_ENKUlT_T0_E_clISt17integral_constantIbLb1EES1T_IbLb0EEEEDaS1P_S1Q_EUlS1P_E_NS1_11comp_targetILNS1_3genE10ELNS1_11target_archE1200ELNS1_3gpuE4ELNS1_3repE0EEENS1_30default_config_static_selectorELNS0_4arch9wavefront6targetE0EEEvS12_,comdat
	.globl	_ZN7rocprim17ROCPRIM_400000_NS6detail17trampoline_kernelINS0_13select_configILj256ELj13ELNS0_17block_load_methodE3ELS4_3ELS4_3ELNS0_20block_scan_algorithmE0ELj4294967295EEENS1_25partition_config_selectorILNS1_17partition_subalgoE4EjNS0_10empty_typeEbEEZZNS1_14partition_implILS8_4ELb0ES6_15HIP_vector_typeIjLj2EENS0_17counting_iteratorIjlEEPS9_SG_NS0_5tupleIJPjSI_NS0_16reverse_iteratorISI_EEEEENSH_IJSG_SG_SG_EEES9_SI_JZNS1_25segmented_radix_sort_implINS0_14default_configELb0EPKsPsPKlPlN2at6native12_GLOBAL__N_18offset_tEEE10hipError_tPvRmT1_PNSt15iterator_traitsIS12_E10value_typeET2_T3_PNS13_IS18_E10value_typeET4_jRbjT5_S1E_jjP12ihipStream_tbEUljE_ZNSN_ISO_Lb0ESQ_SR_ST_SU_SY_EESZ_S10_S11_S12_S16_S17_S18_S1B_S1C_jS1D_jS1E_S1E_jjS1G_bEUljE0_EEESZ_S10_S11_S18_S1C_S1E_T6_T7_T9_mT8_S1G_bDpT10_ENKUlT_T0_E_clISt17integral_constantIbLb1EES1T_IbLb0EEEEDaS1P_S1Q_EUlS1P_E_NS1_11comp_targetILNS1_3genE10ELNS1_11target_archE1200ELNS1_3gpuE4ELNS1_3repE0EEENS1_30default_config_static_selectorELNS0_4arch9wavefront6targetE0EEEvS12_ ; -- Begin function _ZN7rocprim17ROCPRIM_400000_NS6detail17trampoline_kernelINS0_13select_configILj256ELj13ELNS0_17block_load_methodE3ELS4_3ELS4_3ELNS0_20block_scan_algorithmE0ELj4294967295EEENS1_25partition_config_selectorILNS1_17partition_subalgoE4EjNS0_10empty_typeEbEEZZNS1_14partition_implILS8_4ELb0ES6_15HIP_vector_typeIjLj2EENS0_17counting_iteratorIjlEEPS9_SG_NS0_5tupleIJPjSI_NS0_16reverse_iteratorISI_EEEEENSH_IJSG_SG_SG_EEES9_SI_JZNS1_25segmented_radix_sort_implINS0_14default_configELb0EPKsPsPKlPlN2at6native12_GLOBAL__N_18offset_tEEE10hipError_tPvRmT1_PNSt15iterator_traitsIS12_E10value_typeET2_T3_PNS13_IS18_E10value_typeET4_jRbjT5_S1E_jjP12ihipStream_tbEUljE_ZNSN_ISO_Lb0ESQ_SR_ST_SU_SY_EESZ_S10_S11_S12_S16_S17_S18_S1B_S1C_jS1D_jS1E_S1E_jjS1G_bEUljE0_EEESZ_S10_S11_S18_S1C_S1E_T6_T7_T9_mT8_S1G_bDpT10_ENKUlT_T0_E_clISt17integral_constantIbLb1EES1T_IbLb0EEEEDaS1P_S1Q_EUlS1P_E_NS1_11comp_targetILNS1_3genE10ELNS1_11target_archE1200ELNS1_3gpuE4ELNS1_3repE0EEENS1_30default_config_static_selectorELNS0_4arch9wavefront6targetE0EEEvS12_
	.p2align	8
	.type	_ZN7rocprim17ROCPRIM_400000_NS6detail17trampoline_kernelINS0_13select_configILj256ELj13ELNS0_17block_load_methodE3ELS4_3ELS4_3ELNS0_20block_scan_algorithmE0ELj4294967295EEENS1_25partition_config_selectorILNS1_17partition_subalgoE4EjNS0_10empty_typeEbEEZZNS1_14partition_implILS8_4ELb0ES6_15HIP_vector_typeIjLj2EENS0_17counting_iteratorIjlEEPS9_SG_NS0_5tupleIJPjSI_NS0_16reverse_iteratorISI_EEEEENSH_IJSG_SG_SG_EEES9_SI_JZNS1_25segmented_radix_sort_implINS0_14default_configELb0EPKsPsPKlPlN2at6native12_GLOBAL__N_18offset_tEEE10hipError_tPvRmT1_PNSt15iterator_traitsIS12_E10value_typeET2_T3_PNS13_IS18_E10value_typeET4_jRbjT5_S1E_jjP12ihipStream_tbEUljE_ZNSN_ISO_Lb0ESQ_SR_ST_SU_SY_EESZ_S10_S11_S12_S16_S17_S18_S1B_S1C_jS1D_jS1E_S1E_jjS1G_bEUljE0_EEESZ_S10_S11_S18_S1C_S1E_T6_T7_T9_mT8_S1G_bDpT10_ENKUlT_T0_E_clISt17integral_constantIbLb1EES1T_IbLb0EEEEDaS1P_S1Q_EUlS1P_E_NS1_11comp_targetILNS1_3genE10ELNS1_11target_archE1200ELNS1_3gpuE4ELNS1_3repE0EEENS1_30default_config_static_selectorELNS0_4arch9wavefront6targetE0EEEvS12_,@function
_ZN7rocprim17ROCPRIM_400000_NS6detail17trampoline_kernelINS0_13select_configILj256ELj13ELNS0_17block_load_methodE3ELS4_3ELS4_3ELNS0_20block_scan_algorithmE0ELj4294967295EEENS1_25partition_config_selectorILNS1_17partition_subalgoE4EjNS0_10empty_typeEbEEZZNS1_14partition_implILS8_4ELb0ES6_15HIP_vector_typeIjLj2EENS0_17counting_iteratorIjlEEPS9_SG_NS0_5tupleIJPjSI_NS0_16reverse_iteratorISI_EEEEENSH_IJSG_SG_SG_EEES9_SI_JZNS1_25segmented_radix_sort_implINS0_14default_configELb0EPKsPsPKlPlN2at6native12_GLOBAL__N_18offset_tEEE10hipError_tPvRmT1_PNSt15iterator_traitsIS12_E10value_typeET2_T3_PNS13_IS18_E10value_typeET4_jRbjT5_S1E_jjP12ihipStream_tbEUljE_ZNSN_ISO_Lb0ESQ_SR_ST_SU_SY_EESZ_S10_S11_S12_S16_S17_S18_S1B_S1C_jS1D_jS1E_S1E_jjS1G_bEUljE0_EEESZ_S10_S11_S18_S1C_S1E_T6_T7_T9_mT8_S1G_bDpT10_ENKUlT_T0_E_clISt17integral_constantIbLb1EES1T_IbLb0EEEEDaS1P_S1Q_EUlS1P_E_NS1_11comp_targetILNS1_3genE10ELNS1_11target_archE1200ELNS1_3gpuE4ELNS1_3repE0EEENS1_30default_config_static_selectorELNS0_4arch9wavefront6targetE0EEEvS12_: ; @_ZN7rocprim17ROCPRIM_400000_NS6detail17trampoline_kernelINS0_13select_configILj256ELj13ELNS0_17block_load_methodE3ELS4_3ELS4_3ELNS0_20block_scan_algorithmE0ELj4294967295EEENS1_25partition_config_selectorILNS1_17partition_subalgoE4EjNS0_10empty_typeEbEEZZNS1_14partition_implILS8_4ELb0ES6_15HIP_vector_typeIjLj2EENS0_17counting_iteratorIjlEEPS9_SG_NS0_5tupleIJPjSI_NS0_16reverse_iteratorISI_EEEEENSH_IJSG_SG_SG_EEES9_SI_JZNS1_25segmented_radix_sort_implINS0_14default_configELb0EPKsPsPKlPlN2at6native12_GLOBAL__N_18offset_tEEE10hipError_tPvRmT1_PNSt15iterator_traitsIS12_E10value_typeET2_T3_PNS13_IS18_E10value_typeET4_jRbjT5_S1E_jjP12ihipStream_tbEUljE_ZNSN_ISO_Lb0ESQ_SR_ST_SU_SY_EESZ_S10_S11_S12_S16_S17_S18_S1B_S1C_jS1D_jS1E_S1E_jjS1G_bEUljE0_EEESZ_S10_S11_S18_S1C_S1E_T6_T7_T9_mT8_S1G_bDpT10_ENKUlT_T0_E_clISt17integral_constantIbLb1EES1T_IbLb0EEEEDaS1P_S1Q_EUlS1P_E_NS1_11comp_targetILNS1_3genE10ELNS1_11target_archE1200ELNS1_3gpuE4ELNS1_3repE0EEENS1_30default_config_static_selectorELNS0_4arch9wavefront6targetE0EEEvS12_
; %bb.0:
	.section	.rodata,"a",@progbits
	.p2align	6, 0x0
	.amdhsa_kernel _ZN7rocprim17ROCPRIM_400000_NS6detail17trampoline_kernelINS0_13select_configILj256ELj13ELNS0_17block_load_methodE3ELS4_3ELS4_3ELNS0_20block_scan_algorithmE0ELj4294967295EEENS1_25partition_config_selectorILNS1_17partition_subalgoE4EjNS0_10empty_typeEbEEZZNS1_14partition_implILS8_4ELb0ES6_15HIP_vector_typeIjLj2EENS0_17counting_iteratorIjlEEPS9_SG_NS0_5tupleIJPjSI_NS0_16reverse_iteratorISI_EEEEENSH_IJSG_SG_SG_EEES9_SI_JZNS1_25segmented_radix_sort_implINS0_14default_configELb0EPKsPsPKlPlN2at6native12_GLOBAL__N_18offset_tEEE10hipError_tPvRmT1_PNSt15iterator_traitsIS12_E10value_typeET2_T3_PNS13_IS18_E10value_typeET4_jRbjT5_S1E_jjP12ihipStream_tbEUljE_ZNSN_ISO_Lb0ESQ_SR_ST_SU_SY_EESZ_S10_S11_S12_S16_S17_S18_S1B_S1C_jS1D_jS1E_S1E_jjS1G_bEUljE0_EEESZ_S10_S11_S18_S1C_S1E_T6_T7_T9_mT8_S1G_bDpT10_ENKUlT_T0_E_clISt17integral_constantIbLb1EES1T_IbLb0EEEEDaS1P_S1Q_EUlS1P_E_NS1_11comp_targetILNS1_3genE10ELNS1_11target_archE1200ELNS1_3gpuE4ELNS1_3repE0EEENS1_30default_config_static_selectorELNS0_4arch9wavefront6targetE0EEEvS12_
		.amdhsa_group_segment_fixed_size 0
		.amdhsa_private_segment_fixed_size 0
		.amdhsa_kernarg_size 176
		.amdhsa_user_sgpr_count 6
		.amdhsa_user_sgpr_private_segment_buffer 1
		.amdhsa_user_sgpr_dispatch_ptr 0
		.amdhsa_user_sgpr_queue_ptr 0
		.amdhsa_user_sgpr_kernarg_segment_ptr 1
		.amdhsa_user_sgpr_dispatch_id 0
		.amdhsa_user_sgpr_flat_scratch_init 0
		.amdhsa_user_sgpr_private_segment_size 0
		.amdhsa_wavefront_size32 1
		.amdhsa_uses_dynamic_stack 0
		.amdhsa_system_sgpr_private_segment_wavefront_offset 0
		.amdhsa_system_sgpr_workgroup_id_x 1
		.amdhsa_system_sgpr_workgroup_id_y 0
		.amdhsa_system_sgpr_workgroup_id_z 0
		.amdhsa_system_sgpr_workgroup_info 0
		.amdhsa_system_vgpr_workitem_id 0
		.amdhsa_next_free_vgpr 1
		.amdhsa_next_free_sgpr 1
		.amdhsa_reserve_vcc 0
		.amdhsa_reserve_flat_scratch 0
		.amdhsa_float_round_mode_32 0
		.amdhsa_float_round_mode_16_64 0
		.amdhsa_float_denorm_mode_32 3
		.amdhsa_float_denorm_mode_16_64 3
		.amdhsa_dx10_clamp 1
		.amdhsa_ieee_mode 1
		.amdhsa_fp16_overflow 0
		.amdhsa_workgroup_processor_mode 1
		.amdhsa_memory_ordered 1
		.amdhsa_forward_progress 1
		.amdhsa_shared_vgpr_count 0
		.amdhsa_exception_fp_ieee_invalid_op 0
		.amdhsa_exception_fp_denorm_src 0
		.amdhsa_exception_fp_ieee_div_zero 0
		.amdhsa_exception_fp_ieee_overflow 0
		.amdhsa_exception_fp_ieee_underflow 0
		.amdhsa_exception_fp_ieee_inexact 0
		.amdhsa_exception_int_div_zero 0
	.end_amdhsa_kernel
	.section	.text._ZN7rocprim17ROCPRIM_400000_NS6detail17trampoline_kernelINS0_13select_configILj256ELj13ELNS0_17block_load_methodE3ELS4_3ELS4_3ELNS0_20block_scan_algorithmE0ELj4294967295EEENS1_25partition_config_selectorILNS1_17partition_subalgoE4EjNS0_10empty_typeEbEEZZNS1_14partition_implILS8_4ELb0ES6_15HIP_vector_typeIjLj2EENS0_17counting_iteratorIjlEEPS9_SG_NS0_5tupleIJPjSI_NS0_16reverse_iteratorISI_EEEEENSH_IJSG_SG_SG_EEES9_SI_JZNS1_25segmented_radix_sort_implINS0_14default_configELb0EPKsPsPKlPlN2at6native12_GLOBAL__N_18offset_tEEE10hipError_tPvRmT1_PNSt15iterator_traitsIS12_E10value_typeET2_T3_PNS13_IS18_E10value_typeET4_jRbjT5_S1E_jjP12ihipStream_tbEUljE_ZNSN_ISO_Lb0ESQ_SR_ST_SU_SY_EESZ_S10_S11_S12_S16_S17_S18_S1B_S1C_jS1D_jS1E_S1E_jjS1G_bEUljE0_EEESZ_S10_S11_S18_S1C_S1E_T6_T7_T9_mT8_S1G_bDpT10_ENKUlT_T0_E_clISt17integral_constantIbLb1EES1T_IbLb0EEEEDaS1P_S1Q_EUlS1P_E_NS1_11comp_targetILNS1_3genE10ELNS1_11target_archE1200ELNS1_3gpuE4ELNS1_3repE0EEENS1_30default_config_static_selectorELNS0_4arch9wavefront6targetE0EEEvS12_,"axG",@progbits,_ZN7rocprim17ROCPRIM_400000_NS6detail17trampoline_kernelINS0_13select_configILj256ELj13ELNS0_17block_load_methodE3ELS4_3ELS4_3ELNS0_20block_scan_algorithmE0ELj4294967295EEENS1_25partition_config_selectorILNS1_17partition_subalgoE4EjNS0_10empty_typeEbEEZZNS1_14partition_implILS8_4ELb0ES6_15HIP_vector_typeIjLj2EENS0_17counting_iteratorIjlEEPS9_SG_NS0_5tupleIJPjSI_NS0_16reverse_iteratorISI_EEEEENSH_IJSG_SG_SG_EEES9_SI_JZNS1_25segmented_radix_sort_implINS0_14default_configELb0EPKsPsPKlPlN2at6native12_GLOBAL__N_18offset_tEEE10hipError_tPvRmT1_PNSt15iterator_traitsIS12_E10value_typeET2_T3_PNS13_IS18_E10value_typeET4_jRbjT5_S1E_jjP12ihipStream_tbEUljE_ZNSN_ISO_Lb0ESQ_SR_ST_SU_SY_EESZ_S10_S11_S12_S16_S17_S18_S1B_S1C_jS1D_jS1E_S1E_jjS1G_bEUljE0_EEESZ_S10_S11_S18_S1C_S1E_T6_T7_T9_mT8_S1G_bDpT10_ENKUlT_T0_E_clISt17integral_constantIbLb1EES1T_IbLb0EEEEDaS1P_S1Q_EUlS1P_E_NS1_11comp_targetILNS1_3genE10ELNS1_11target_archE1200ELNS1_3gpuE4ELNS1_3repE0EEENS1_30default_config_static_selectorELNS0_4arch9wavefront6targetE0EEEvS12_,comdat
.Lfunc_end964:
	.size	_ZN7rocprim17ROCPRIM_400000_NS6detail17trampoline_kernelINS0_13select_configILj256ELj13ELNS0_17block_load_methodE3ELS4_3ELS4_3ELNS0_20block_scan_algorithmE0ELj4294967295EEENS1_25partition_config_selectorILNS1_17partition_subalgoE4EjNS0_10empty_typeEbEEZZNS1_14partition_implILS8_4ELb0ES6_15HIP_vector_typeIjLj2EENS0_17counting_iteratorIjlEEPS9_SG_NS0_5tupleIJPjSI_NS0_16reverse_iteratorISI_EEEEENSH_IJSG_SG_SG_EEES9_SI_JZNS1_25segmented_radix_sort_implINS0_14default_configELb0EPKsPsPKlPlN2at6native12_GLOBAL__N_18offset_tEEE10hipError_tPvRmT1_PNSt15iterator_traitsIS12_E10value_typeET2_T3_PNS13_IS18_E10value_typeET4_jRbjT5_S1E_jjP12ihipStream_tbEUljE_ZNSN_ISO_Lb0ESQ_SR_ST_SU_SY_EESZ_S10_S11_S12_S16_S17_S18_S1B_S1C_jS1D_jS1E_S1E_jjS1G_bEUljE0_EEESZ_S10_S11_S18_S1C_S1E_T6_T7_T9_mT8_S1G_bDpT10_ENKUlT_T0_E_clISt17integral_constantIbLb1EES1T_IbLb0EEEEDaS1P_S1Q_EUlS1P_E_NS1_11comp_targetILNS1_3genE10ELNS1_11target_archE1200ELNS1_3gpuE4ELNS1_3repE0EEENS1_30default_config_static_selectorELNS0_4arch9wavefront6targetE0EEEvS12_, .Lfunc_end964-_ZN7rocprim17ROCPRIM_400000_NS6detail17trampoline_kernelINS0_13select_configILj256ELj13ELNS0_17block_load_methodE3ELS4_3ELS4_3ELNS0_20block_scan_algorithmE0ELj4294967295EEENS1_25partition_config_selectorILNS1_17partition_subalgoE4EjNS0_10empty_typeEbEEZZNS1_14partition_implILS8_4ELb0ES6_15HIP_vector_typeIjLj2EENS0_17counting_iteratorIjlEEPS9_SG_NS0_5tupleIJPjSI_NS0_16reverse_iteratorISI_EEEEENSH_IJSG_SG_SG_EEES9_SI_JZNS1_25segmented_radix_sort_implINS0_14default_configELb0EPKsPsPKlPlN2at6native12_GLOBAL__N_18offset_tEEE10hipError_tPvRmT1_PNSt15iterator_traitsIS12_E10value_typeET2_T3_PNS13_IS18_E10value_typeET4_jRbjT5_S1E_jjP12ihipStream_tbEUljE_ZNSN_ISO_Lb0ESQ_SR_ST_SU_SY_EESZ_S10_S11_S12_S16_S17_S18_S1B_S1C_jS1D_jS1E_S1E_jjS1G_bEUljE0_EEESZ_S10_S11_S18_S1C_S1E_T6_T7_T9_mT8_S1G_bDpT10_ENKUlT_T0_E_clISt17integral_constantIbLb1EES1T_IbLb0EEEEDaS1P_S1Q_EUlS1P_E_NS1_11comp_targetILNS1_3genE10ELNS1_11target_archE1200ELNS1_3gpuE4ELNS1_3repE0EEENS1_30default_config_static_selectorELNS0_4arch9wavefront6targetE0EEEvS12_
                                        ; -- End function
	.set _ZN7rocprim17ROCPRIM_400000_NS6detail17trampoline_kernelINS0_13select_configILj256ELj13ELNS0_17block_load_methodE3ELS4_3ELS4_3ELNS0_20block_scan_algorithmE0ELj4294967295EEENS1_25partition_config_selectorILNS1_17partition_subalgoE4EjNS0_10empty_typeEbEEZZNS1_14partition_implILS8_4ELb0ES6_15HIP_vector_typeIjLj2EENS0_17counting_iteratorIjlEEPS9_SG_NS0_5tupleIJPjSI_NS0_16reverse_iteratorISI_EEEEENSH_IJSG_SG_SG_EEES9_SI_JZNS1_25segmented_radix_sort_implINS0_14default_configELb0EPKsPsPKlPlN2at6native12_GLOBAL__N_18offset_tEEE10hipError_tPvRmT1_PNSt15iterator_traitsIS12_E10value_typeET2_T3_PNS13_IS18_E10value_typeET4_jRbjT5_S1E_jjP12ihipStream_tbEUljE_ZNSN_ISO_Lb0ESQ_SR_ST_SU_SY_EESZ_S10_S11_S12_S16_S17_S18_S1B_S1C_jS1D_jS1E_S1E_jjS1G_bEUljE0_EEESZ_S10_S11_S18_S1C_S1E_T6_T7_T9_mT8_S1G_bDpT10_ENKUlT_T0_E_clISt17integral_constantIbLb1EES1T_IbLb0EEEEDaS1P_S1Q_EUlS1P_E_NS1_11comp_targetILNS1_3genE10ELNS1_11target_archE1200ELNS1_3gpuE4ELNS1_3repE0EEENS1_30default_config_static_selectorELNS0_4arch9wavefront6targetE0EEEvS12_.num_vgpr, 0
	.set _ZN7rocprim17ROCPRIM_400000_NS6detail17trampoline_kernelINS0_13select_configILj256ELj13ELNS0_17block_load_methodE3ELS4_3ELS4_3ELNS0_20block_scan_algorithmE0ELj4294967295EEENS1_25partition_config_selectorILNS1_17partition_subalgoE4EjNS0_10empty_typeEbEEZZNS1_14partition_implILS8_4ELb0ES6_15HIP_vector_typeIjLj2EENS0_17counting_iteratorIjlEEPS9_SG_NS0_5tupleIJPjSI_NS0_16reverse_iteratorISI_EEEEENSH_IJSG_SG_SG_EEES9_SI_JZNS1_25segmented_radix_sort_implINS0_14default_configELb0EPKsPsPKlPlN2at6native12_GLOBAL__N_18offset_tEEE10hipError_tPvRmT1_PNSt15iterator_traitsIS12_E10value_typeET2_T3_PNS13_IS18_E10value_typeET4_jRbjT5_S1E_jjP12ihipStream_tbEUljE_ZNSN_ISO_Lb0ESQ_SR_ST_SU_SY_EESZ_S10_S11_S12_S16_S17_S18_S1B_S1C_jS1D_jS1E_S1E_jjS1G_bEUljE0_EEESZ_S10_S11_S18_S1C_S1E_T6_T7_T9_mT8_S1G_bDpT10_ENKUlT_T0_E_clISt17integral_constantIbLb1EES1T_IbLb0EEEEDaS1P_S1Q_EUlS1P_E_NS1_11comp_targetILNS1_3genE10ELNS1_11target_archE1200ELNS1_3gpuE4ELNS1_3repE0EEENS1_30default_config_static_selectorELNS0_4arch9wavefront6targetE0EEEvS12_.num_agpr, 0
	.set _ZN7rocprim17ROCPRIM_400000_NS6detail17trampoline_kernelINS0_13select_configILj256ELj13ELNS0_17block_load_methodE3ELS4_3ELS4_3ELNS0_20block_scan_algorithmE0ELj4294967295EEENS1_25partition_config_selectorILNS1_17partition_subalgoE4EjNS0_10empty_typeEbEEZZNS1_14partition_implILS8_4ELb0ES6_15HIP_vector_typeIjLj2EENS0_17counting_iteratorIjlEEPS9_SG_NS0_5tupleIJPjSI_NS0_16reverse_iteratorISI_EEEEENSH_IJSG_SG_SG_EEES9_SI_JZNS1_25segmented_radix_sort_implINS0_14default_configELb0EPKsPsPKlPlN2at6native12_GLOBAL__N_18offset_tEEE10hipError_tPvRmT1_PNSt15iterator_traitsIS12_E10value_typeET2_T3_PNS13_IS18_E10value_typeET4_jRbjT5_S1E_jjP12ihipStream_tbEUljE_ZNSN_ISO_Lb0ESQ_SR_ST_SU_SY_EESZ_S10_S11_S12_S16_S17_S18_S1B_S1C_jS1D_jS1E_S1E_jjS1G_bEUljE0_EEESZ_S10_S11_S18_S1C_S1E_T6_T7_T9_mT8_S1G_bDpT10_ENKUlT_T0_E_clISt17integral_constantIbLb1EES1T_IbLb0EEEEDaS1P_S1Q_EUlS1P_E_NS1_11comp_targetILNS1_3genE10ELNS1_11target_archE1200ELNS1_3gpuE4ELNS1_3repE0EEENS1_30default_config_static_selectorELNS0_4arch9wavefront6targetE0EEEvS12_.numbered_sgpr, 0
	.set _ZN7rocprim17ROCPRIM_400000_NS6detail17trampoline_kernelINS0_13select_configILj256ELj13ELNS0_17block_load_methodE3ELS4_3ELS4_3ELNS0_20block_scan_algorithmE0ELj4294967295EEENS1_25partition_config_selectorILNS1_17partition_subalgoE4EjNS0_10empty_typeEbEEZZNS1_14partition_implILS8_4ELb0ES6_15HIP_vector_typeIjLj2EENS0_17counting_iteratorIjlEEPS9_SG_NS0_5tupleIJPjSI_NS0_16reverse_iteratorISI_EEEEENSH_IJSG_SG_SG_EEES9_SI_JZNS1_25segmented_radix_sort_implINS0_14default_configELb0EPKsPsPKlPlN2at6native12_GLOBAL__N_18offset_tEEE10hipError_tPvRmT1_PNSt15iterator_traitsIS12_E10value_typeET2_T3_PNS13_IS18_E10value_typeET4_jRbjT5_S1E_jjP12ihipStream_tbEUljE_ZNSN_ISO_Lb0ESQ_SR_ST_SU_SY_EESZ_S10_S11_S12_S16_S17_S18_S1B_S1C_jS1D_jS1E_S1E_jjS1G_bEUljE0_EEESZ_S10_S11_S18_S1C_S1E_T6_T7_T9_mT8_S1G_bDpT10_ENKUlT_T0_E_clISt17integral_constantIbLb1EES1T_IbLb0EEEEDaS1P_S1Q_EUlS1P_E_NS1_11comp_targetILNS1_3genE10ELNS1_11target_archE1200ELNS1_3gpuE4ELNS1_3repE0EEENS1_30default_config_static_selectorELNS0_4arch9wavefront6targetE0EEEvS12_.num_named_barrier, 0
	.set _ZN7rocprim17ROCPRIM_400000_NS6detail17trampoline_kernelINS0_13select_configILj256ELj13ELNS0_17block_load_methodE3ELS4_3ELS4_3ELNS0_20block_scan_algorithmE0ELj4294967295EEENS1_25partition_config_selectorILNS1_17partition_subalgoE4EjNS0_10empty_typeEbEEZZNS1_14partition_implILS8_4ELb0ES6_15HIP_vector_typeIjLj2EENS0_17counting_iteratorIjlEEPS9_SG_NS0_5tupleIJPjSI_NS0_16reverse_iteratorISI_EEEEENSH_IJSG_SG_SG_EEES9_SI_JZNS1_25segmented_radix_sort_implINS0_14default_configELb0EPKsPsPKlPlN2at6native12_GLOBAL__N_18offset_tEEE10hipError_tPvRmT1_PNSt15iterator_traitsIS12_E10value_typeET2_T3_PNS13_IS18_E10value_typeET4_jRbjT5_S1E_jjP12ihipStream_tbEUljE_ZNSN_ISO_Lb0ESQ_SR_ST_SU_SY_EESZ_S10_S11_S12_S16_S17_S18_S1B_S1C_jS1D_jS1E_S1E_jjS1G_bEUljE0_EEESZ_S10_S11_S18_S1C_S1E_T6_T7_T9_mT8_S1G_bDpT10_ENKUlT_T0_E_clISt17integral_constantIbLb1EES1T_IbLb0EEEEDaS1P_S1Q_EUlS1P_E_NS1_11comp_targetILNS1_3genE10ELNS1_11target_archE1200ELNS1_3gpuE4ELNS1_3repE0EEENS1_30default_config_static_selectorELNS0_4arch9wavefront6targetE0EEEvS12_.private_seg_size, 0
	.set _ZN7rocprim17ROCPRIM_400000_NS6detail17trampoline_kernelINS0_13select_configILj256ELj13ELNS0_17block_load_methodE3ELS4_3ELS4_3ELNS0_20block_scan_algorithmE0ELj4294967295EEENS1_25partition_config_selectorILNS1_17partition_subalgoE4EjNS0_10empty_typeEbEEZZNS1_14partition_implILS8_4ELb0ES6_15HIP_vector_typeIjLj2EENS0_17counting_iteratorIjlEEPS9_SG_NS0_5tupleIJPjSI_NS0_16reverse_iteratorISI_EEEEENSH_IJSG_SG_SG_EEES9_SI_JZNS1_25segmented_radix_sort_implINS0_14default_configELb0EPKsPsPKlPlN2at6native12_GLOBAL__N_18offset_tEEE10hipError_tPvRmT1_PNSt15iterator_traitsIS12_E10value_typeET2_T3_PNS13_IS18_E10value_typeET4_jRbjT5_S1E_jjP12ihipStream_tbEUljE_ZNSN_ISO_Lb0ESQ_SR_ST_SU_SY_EESZ_S10_S11_S12_S16_S17_S18_S1B_S1C_jS1D_jS1E_S1E_jjS1G_bEUljE0_EEESZ_S10_S11_S18_S1C_S1E_T6_T7_T9_mT8_S1G_bDpT10_ENKUlT_T0_E_clISt17integral_constantIbLb1EES1T_IbLb0EEEEDaS1P_S1Q_EUlS1P_E_NS1_11comp_targetILNS1_3genE10ELNS1_11target_archE1200ELNS1_3gpuE4ELNS1_3repE0EEENS1_30default_config_static_selectorELNS0_4arch9wavefront6targetE0EEEvS12_.uses_vcc, 0
	.set _ZN7rocprim17ROCPRIM_400000_NS6detail17trampoline_kernelINS0_13select_configILj256ELj13ELNS0_17block_load_methodE3ELS4_3ELS4_3ELNS0_20block_scan_algorithmE0ELj4294967295EEENS1_25partition_config_selectorILNS1_17partition_subalgoE4EjNS0_10empty_typeEbEEZZNS1_14partition_implILS8_4ELb0ES6_15HIP_vector_typeIjLj2EENS0_17counting_iteratorIjlEEPS9_SG_NS0_5tupleIJPjSI_NS0_16reverse_iteratorISI_EEEEENSH_IJSG_SG_SG_EEES9_SI_JZNS1_25segmented_radix_sort_implINS0_14default_configELb0EPKsPsPKlPlN2at6native12_GLOBAL__N_18offset_tEEE10hipError_tPvRmT1_PNSt15iterator_traitsIS12_E10value_typeET2_T3_PNS13_IS18_E10value_typeET4_jRbjT5_S1E_jjP12ihipStream_tbEUljE_ZNSN_ISO_Lb0ESQ_SR_ST_SU_SY_EESZ_S10_S11_S12_S16_S17_S18_S1B_S1C_jS1D_jS1E_S1E_jjS1G_bEUljE0_EEESZ_S10_S11_S18_S1C_S1E_T6_T7_T9_mT8_S1G_bDpT10_ENKUlT_T0_E_clISt17integral_constantIbLb1EES1T_IbLb0EEEEDaS1P_S1Q_EUlS1P_E_NS1_11comp_targetILNS1_3genE10ELNS1_11target_archE1200ELNS1_3gpuE4ELNS1_3repE0EEENS1_30default_config_static_selectorELNS0_4arch9wavefront6targetE0EEEvS12_.uses_flat_scratch, 0
	.set _ZN7rocprim17ROCPRIM_400000_NS6detail17trampoline_kernelINS0_13select_configILj256ELj13ELNS0_17block_load_methodE3ELS4_3ELS4_3ELNS0_20block_scan_algorithmE0ELj4294967295EEENS1_25partition_config_selectorILNS1_17partition_subalgoE4EjNS0_10empty_typeEbEEZZNS1_14partition_implILS8_4ELb0ES6_15HIP_vector_typeIjLj2EENS0_17counting_iteratorIjlEEPS9_SG_NS0_5tupleIJPjSI_NS0_16reverse_iteratorISI_EEEEENSH_IJSG_SG_SG_EEES9_SI_JZNS1_25segmented_radix_sort_implINS0_14default_configELb0EPKsPsPKlPlN2at6native12_GLOBAL__N_18offset_tEEE10hipError_tPvRmT1_PNSt15iterator_traitsIS12_E10value_typeET2_T3_PNS13_IS18_E10value_typeET4_jRbjT5_S1E_jjP12ihipStream_tbEUljE_ZNSN_ISO_Lb0ESQ_SR_ST_SU_SY_EESZ_S10_S11_S12_S16_S17_S18_S1B_S1C_jS1D_jS1E_S1E_jjS1G_bEUljE0_EEESZ_S10_S11_S18_S1C_S1E_T6_T7_T9_mT8_S1G_bDpT10_ENKUlT_T0_E_clISt17integral_constantIbLb1EES1T_IbLb0EEEEDaS1P_S1Q_EUlS1P_E_NS1_11comp_targetILNS1_3genE10ELNS1_11target_archE1200ELNS1_3gpuE4ELNS1_3repE0EEENS1_30default_config_static_selectorELNS0_4arch9wavefront6targetE0EEEvS12_.has_dyn_sized_stack, 0
	.set _ZN7rocprim17ROCPRIM_400000_NS6detail17trampoline_kernelINS0_13select_configILj256ELj13ELNS0_17block_load_methodE3ELS4_3ELS4_3ELNS0_20block_scan_algorithmE0ELj4294967295EEENS1_25partition_config_selectorILNS1_17partition_subalgoE4EjNS0_10empty_typeEbEEZZNS1_14partition_implILS8_4ELb0ES6_15HIP_vector_typeIjLj2EENS0_17counting_iteratorIjlEEPS9_SG_NS0_5tupleIJPjSI_NS0_16reverse_iteratorISI_EEEEENSH_IJSG_SG_SG_EEES9_SI_JZNS1_25segmented_radix_sort_implINS0_14default_configELb0EPKsPsPKlPlN2at6native12_GLOBAL__N_18offset_tEEE10hipError_tPvRmT1_PNSt15iterator_traitsIS12_E10value_typeET2_T3_PNS13_IS18_E10value_typeET4_jRbjT5_S1E_jjP12ihipStream_tbEUljE_ZNSN_ISO_Lb0ESQ_SR_ST_SU_SY_EESZ_S10_S11_S12_S16_S17_S18_S1B_S1C_jS1D_jS1E_S1E_jjS1G_bEUljE0_EEESZ_S10_S11_S18_S1C_S1E_T6_T7_T9_mT8_S1G_bDpT10_ENKUlT_T0_E_clISt17integral_constantIbLb1EES1T_IbLb0EEEEDaS1P_S1Q_EUlS1P_E_NS1_11comp_targetILNS1_3genE10ELNS1_11target_archE1200ELNS1_3gpuE4ELNS1_3repE0EEENS1_30default_config_static_selectorELNS0_4arch9wavefront6targetE0EEEvS12_.has_recursion, 0
	.set _ZN7rocprim17ROCPRIM_400000_NS6detail17trampoline_kernelINS0_13select_configILj256ELj13ELNS0_17block_load_methodE3ELS4_3ELS4_3ELNS0_20block_scan_algorithmE0ELj4294967295EEENS1_25partition_config_selectorILNS1_17partition_subalgoE4EjNS0_10empty_typeEbEEZZNS1_14partition_implILS8_4ELb0ES6_15HIP_vector_typeIjLj2EENS0_17counting_iteratorIjlEEPS9_SG_NS0_5tupleIJPjSI_NS0_16reverse_iteratorISI_EEEEENSH_IJSG_SG_SG_EEES9_SI_JZNS1_25segmented_radix_sort_implINS0_14default_configELb0EPKsPsPKlPlN2at6native12_GLOBAL__N_18offset_tEEE10hipError_tPvRmT1_PNSt15iterator_traitsIS12_E10value_typeET2_T3_PNS13_IS18_E10value_typeET4_jRbjT5_S1E_jjP12ihipStream_tbEUljE_ZNSN_ISO_Lb0ESQ_SR_ST_SU_SY_EESZ_S10_S11_S12_S16_S17_S18_S1B_S1C_jS1D_jS1E_S1E_jjS1G_bEUljE0_EEESZ_S10_S11_S18_S1C_S1E_T6_T7_T9_mT8_S1G_bDpT10_ENKUlT_T0_E_clISt17integral_constantIbLb1EES1T_IbLb0EEEEDaS1P_S1Q_EUlS1P_E_NS1_11comp_targetILNS1_3genE10ELNS1_11target_archE1200ELNS1_3gpuE4ELNS1_3repE0EEENS1_30default_config_static_selectorELNS0_4arch9wavefront6targetE0EEEvS12_.has_indirect_call, 0
	.section	.AMDGPU.csdata,"",@progbits
; Kernel info:
; codeLenInByte = 0
; TotalNumSgprs: 0
; NumVgprs: 0
; ScratchSize: 0
; MemoryBound: 0
; FloatMode: 240
; IeeeMode: 1
; LDSByteSize: 0 bytes/workgroup (compile time only)
; SGPRBlocks: 0
; VGPRBlocks: 0
; NumSGPRsForWavesPerEU: 1
; NumVGPRsForWavesPerEU: 1
; Occupancy: 16
; WaveLimiterHint : 0
; COMPUTE_PGM_RSRC2:SCRATCH_EN: 0
; COMPUTE_PGM_RSRC2:USER_SGPR: 6
; COMPUTE_PGM_RSRC2:TRAP_HANDLER: 0
; COMPUTE_PGM_RSRC2:TGID_X_EN: 1
; COMPUTE_PGM_RSRC2:TGID_Y_EN: 0
; COMPUTE_PGM_RSRC2:TGID_Z_EN: 0
; COMPUTE_PGM_RSRC2:TIDIG_COMP_CNT: 0
	.section	.text._ZN7rocprim17ROCPRIM_400000_NS6detail17trampoline_kernelINS0_13select_configILj256ELj13ELNS0_17block_load_methodE3ELS4_3ELS4_3ELNS0_20block_scan_algorithmE0ELj4294967295EEENS1_25partition_config_selectorILNS1_17partition_subalgoE4EjNS0_10empty_typeEbEEZZNS1_14partition_implILS8_4ELb0ES6_15HIP_vector_typeIjLj2EENS0_17counting_iteratorIjlEEPS9_SG_NS0_5tupleIJPjSI_NS0_16reverse_iteratorISI_EEEEENSH_IJSG_SG_SG_EEES9_SI_JZNS1_25segmented_radix_sort_implINS0_14default_configELb0EPKsPsPKlPlN2at6native12_GLOBAL__N_18offset_tEEE10hipError_tPvRmT1_PNSt15iterator_traitsIS12_E10value_typeET2_T3_PNS13_IS18_E10value_typeET4_jRbjT5_S1E_jjP12ihipStream_tbEUljE_ZNSN_ISO_Lb0ESQ_SR_ST_SU_SY_EESZ_S10_S11_S12_S16_S17_S18_S1B_S1C_jS1D_jS1E_S1E_jjS1G_bEUljE0_EEESZ_S10_S11_S18_S1C_S1E_T6_T7_T9_mT8_S1G_bDpT10_ENKUlT_T0_E_clISt17integral_constantIbLb1EES1T_IbLb0EEEEDaS1P_S1Q_EUlS1P_E_NS1_11comp_targetILNS1_3genE9ELNS1_11target_archE1100ELNS1_3gpuE3ELNS1_3repE0EEENS1_30default_config_static_selectorELNS0_4arch9wavefront6targetE0EEEvS12_,"axG",@progbits,_ZN7rocprim17ROCPRIM_400000_NS6detail17trampoline_kernelINS0_13select_configILj256ELj13ELNS0_17block_load_methodE3ELS4_3ELS4_3ELNS0_20block_scan_algorithmE0ELj4294967295EEENS1_25partition_config_selectorILNS1_17partition_subalgoE4EjNS0_10empty_typeEbEEZZNS1_14partition_implILS8_4ELb0ES6_15HIP_vector_typeIjLj2EENS0_17counting_iteratorIjlEEPS9_SG_NS0_5tupleIJPjSI_NS0_16reverse_iteratorISI_EEEEENSH_IJSG_SG_SG_EEES9_SI_JZNS1_25segmented_radix_sort_implINS0_14default_configELb0EPKsPsPKlPlN2at6native12_GLOBAL__N_18offset_tEEE10hipError_tPvRmT1_PNSt15iterator_traitsIS12_E10value_typeET2_T3_PNS13_IS18_E10value_typeET4_jRbjT5_S1E_jjP12ihipStream_tbEUljE_ZNSN_ISO_Lb0ESQ_SR_ST_SU_SY_EESZ_S10_S11_S12_S16_S17_S18_S1B_S1C_jS1D_jS1E_S1E_jjS1G_bEUljE0_EEESZ_S10_S11_S18_S1C_S1E_T6_T7_T9_mT8_S1G_bDpT10_ENKUlT_T0_E_clISt17integral_constantIbLb1EES1T_IbLb0EEEEDaS1P_S1Q_EUlS1P_E_NS1_11comp_targetILNS1_3genE9ELNS1_11target_archE1100ELNS1_3gpuE3ELNS1_3repE0EEENS1_30default_config_static_selectorELNS0_4arch9wavefront6targetE0EEEvS12_,comdat
	.globl	_ZN7rocprim17ROCPRIM_400000_NS6detail17trampoline_kernelINS0_13select_configILj256ELj13ELNS0_17block_load_methodE3ELS4_3ELS4_3ELNS0_20block_scan_algorithmE0ELj4294967295EEENS1_25partition_config_selectorILNS1_17partition_subalgoE4EjNS0_10empty_typeEbEEZZNS1_14partition_implILS8_4ELb0ES6_15HIP_vector_typeIjLj2EENS0_17counting_iteratorIjlEEPS9_SG_NS0_5tupleIJPjSI_NS0_16reverse_iteratorISI_EEEEENSH_IJSG_SG_SG_EEES9_SI_JZNS1_25segmented_radix_sort_implINS0_14default_configELb0EPKsPsPKlPlN2at6native12_GLOBAL__N_18offset_tEEE10hipError_tPvRmT1_PNSt15iterator_traitsIS12_E10value_typeET2_T3_PNS13_IS18_E10value_typeET4_jRbjT5_S1E_jjP12ihipStream_tbEUljE_ZNSN_ISO_Lb0ESQ_SR_ST_SU_SY_EESZ_S10_S11_S12_S16_S17_S18_S1B_S1C_jS1D_jS1E_S1E_jjS1G_bEUljE0_EEESZ_S10_S11_S18_S1C_S1E_T6_T7_T9_mT8_S1G_bDpT10_ENKUlT_T0_E_clISt17integral_constantIbLb1EES1T_IbLb0EEEEDaS1P_S1Q_EUlS1P_E_NS1_11comp_targetILNS1_3genE9ELNS1_11target_archE1100ELNS1_3gpuE3ELNS1_3repE0EEENS1_30default_config_static_selectorELNS0_4arch9wavefront6targetE0EEEvS12_ ; -- Begin function _ZN7rocprim17ROCPRIM_400000_NS6detail17trampoline_kernelINS0_13select_configILj256ELj13ELNS0_17block_load_methodE3ELS4_3ELS4_3ELNS0_20block_scan_algorithmE0ELj4294967295EEENS1_25partition_config_selectorILNS1_17partition_subalgoE4EjNS0_10empty_typeEbEEZZNS1_14partition_implILS8_4ELb0ES6_15HIP_vector_typeIjLj2EENS0_17counting_iteratorIjlEEPS9_SG_NS0_5tupleIJPjSI_NS0_16reverse_iteratorISI_EEEEENSH_IJSG_SG_SG_EEES9_SI_JZNS1_25segmented_radix_sort_implINS0_14default_configELb0EPKsPsPKlPlN2at6native12_GLOBAL__N_18offset_tEEE10hipError_tPvRmT1_PNSt15iterator_traitsIS12_E10value_typeET2_T3_PNS13_IS18_E10value_typeET4_jRbjT5_S1E_jjP12ihipStream_tbEUljE_ZNSN_ISO_Lb0ESQ_SR_ST_SU_SY_EESZ_S10_S11_S12_S16_S17_S18_S1B_S1C_jS1D_jS1E_S1E_jjS1G_bEUljE0_EEESZ_S10_S11_S18_S1C_S1E_T6_T7_T9_mT8_S1G_bDpT10_ENKUlT_T0_E_clISt17integral_constantIbLb1EES1T_IbLb0EEEEDaS1P_S1Q_EUlS1P_E_NS1_11comp_targetILNS1_3genE9ELNS1_11target_archE1100ELNS1_3gpuE3ELNS1_3repE0EEENS1_30default_config_static_selectorELNS0_4arch9wavefront6targetE0EEEvS12_
	.p2align	8
	.type	_ZN7rocprim17ROCPRIM_400000_NS6detail17trampoline_kernelINS0_13select_configILj256ELj13ELNS0_17block_load_methodE3ELS4_3ELS4_3ELNS0_20block_scan_algorithmE0ELj4294967295EEENS1_25partition_config_selectorILNS1_17partition_subalgoE4EjNS0_10empty_typeEbEEZZNS1_14partition_implILS8_4ELb0ES6_15HIP_vector_typeIjLj2EENS0_17counting_iteratorIjlEEPS9_SG_NS0_5tupleIJPjSI_NS0_16reverse_iteratorISI_EEEEENSH_IJSG_SG_SG_EEES9_SI_JZNS1_25segmented_radix_sort_implINS0_14default_configELb0EPKsPsPKlPlN2at6native12_GLOBAL__N_18offset_tEEE10hipError_tPvRmT1_PNSt15iterator_traitsIS12_E10value_typeET2_T3_PNS13_IS18_E10value_typeET4_jRbjT5_S1E_jjP12ihipStream_tbEUljE_ZNSN_ISO_Lb0ESQ_SR_ST_SU_SY_EESZ_S10_S11_S12_S16_S17_S18_S1B_S1C_jS1D_jS1E_S1E_jjS1G_bEUljE0_EEESZ_S10_S11_S18_S1C_S1E_T6_T7_T9_mT8_S1G_bDpT10_ENKUlT_T0_E_clISt17integral_constantIbLb1EES1T_IbLb0EEEEDaS1P_S1Q_EUlS1P_E_NS1_11comp_targetILNS1_3genE9ELNS1_11target_archE1100ELNS1_3gpuE3ELNS1_3repE0EEENS1_30default_config_static_selectorELNS0_4arch9wavefront6targetE0EEEvS12_,@function
_ZN7rocprim17ROCPRIM_400000_NS6detail17trampoline_kernelINS0_13select_configILj256ELj13ELNS0_17block_load_methodE3ELS4_3ELS4_3ELNS0_20block_scan_algorithmE0ELj4294967295EEENS1_25partition_config_selectorILNS1_17partition_subalgoE4EjNS0_10empty_typeEbEEZZNS1_14partition_implILS8_4ELb0ES6_15HIP_vector_typeIjLj2EENS0_17counting_iteratorIjlEEPS9_SG_NS0_5tupleIJPjSI_NS0_16reverse_iteratorISI_EEEEENSH_IJSG_SG_SG_EEES9_SI_JZNS1_25segmented_radix_sort_implINS0_14default_configELb0EPKsPsPKlPlN2at6native12_GLOBAL__N_18offset_tEEE10hipError_tPvRmT1_PNSt15iterator_traitsIS12_E10value_typeET2_T3_PNS13_IS18_E10value_typeET4_jRbjT5_S1E_jjP12ihipStream_tbEUljE_ZNSN_ISO_Lb0ESQ_SR_ST_SU_SY_EESZ_S10_S11_S12_S16_S17_S18_S1B_S1C_jS1D_jS1E_S1E_jjS1G_bEUljE0_EEESZ_S10_S11_S18_S1C_S1E_T6_T7_T9_mT8_S1G_bDpT10_ENKUlT_T0_E_clISt17integral_constantIbLb1EES1T_IbLb0EEEEDaS1P_S1Q_EUlS1P_E_NS1_11comp_targetILNS1_3genE9ELNS1_11target_archE1100ELNS1_3gpuE3ELNS1_3repE0EEENS1_30default_config_static_selectorELNS0_4arch9wavefront6targetE0EEEvS12_: ; @_ZN7rocprim17ROCPRIM_400000_NS6detail17trampoline_kernelINS0_13select_configILj256ELj13ELNS0_17block_load_methodE3ELS4_3ELS4_3ELNS0_20block_scan_algorithmE0ELj4294967295EEENS1_25partition_config_selectorILNS1_17partition_subalgoE4EjNS0_10empty_typeEbEEZZNS1_14partition_implILS8_4ELb0ES6_15HIP_vector_typeIjLj2EENS0_17counting_iteratorIjlEEPS9_SG_NS0_5tupleIJPjSI_NS0_16reverse_iteratorISI_EEEEENSH_IJSG_SG_SG_EEES9_SI_JZNS1_25segmented_radix_sort_implINS0_14default_configELb0EPKsPsPKlPlN2at6native12_GLOBAL__N_18offset_tEEE10hipError_tPvRmT1_PNSt15iterator_traitsIS12_E10value_typeET2_T3_PNS13_IS18_E10value_typeET4_jRbjT5_S1E_jjP12ihipStream_tbEUljE_ZNSN_ISO_Lb0ESQ_SR_ST_SU_SY_EESZ_S10_S11_S12_S16_S17_S18_S1B_S1C_jS1D_jS1E_S1E_jjS1G_bEUljE0_EEESZ_S10_S11_S18_S1C_S1E_T6_T7_T9_mT8_S1G_bDpT10_ENKUlT_T0_E_clISt17integral_constantIbLb1EES1T_IbLb0EEEEDaS1P_S1Q_EUlS1P_E_NS1_11comp_targetILNS1_3genE9ELNS1_11target_archE1100ELNS1_3gpuE3ELNS1_3repE0EEENS1_30default_config_static_selectorELNS0_4arch9wavefront6targetE0EEEvS12_
; %bb.0:
	.section	.rodata,"a",@progbits
	.p2align	6, 0x0
	.amdhsa_kernel _ZN7rocprim17ROCPRIM_400000_NS6detail17trampoline_kernelINS0_13select_configILj256ELj13ELNS0_17block_load_methodE3ELS4_3ELS4_3ELNS0_20block_scan_algorithmE0ELj4294967295EEENS1_25partition_config_selectorILNS1_17partition_subalgoE4EjNS0_10empty_typeEbEEZZNS1_14partition_implILS8_4ELb0ES6_15HIP_vector_typeIjLj2EENS0_17counting_iteratorIjlEEPS9_SG_NS0_5tupleIJPjSI_NS0_16reverse_iteratorISI_EEEEENSH_IJSG_SG_SG_EEES9_SI_JZNS1_25segmented_radix_sort_implINS0_14default_configELb0EPKsPsPKlPlN2at6native12_GLOBAL__N_18offset_tEEE10hipError_tPvRmT1_PNSt15iterator_traitsIS12_E10value_typeET2_T3_PNS13_IS18_E10value_typeET4_jRbjT5_S1E_jjP12ihipStream_tbEUljE_ZNSN_ISO_Lb0ESQ_SR_ST_SU_SY_EESZ_S10_S11_S12_S16_S17_S18_S1B_S1C_jS1D_jS1E_S1E_jjS1G_bEUljE0_EEESZ_S10_S11_S18_S1C_S1E_T6_T7_T9_mT8_S1G_bDpT10_ENKUlT_T0_E_clISt17integral_constantIbLb1EES1T_IbLb0EEEEDaS1P_S1Q_EUlS1P_E_NS1_11comp_targetILNS1_3genE9ELNS1_11target_archE1100ELNS1_3gpuE3ELNS1_3repE0EEENS1_30default_config_static_selectorELNS0_4arch9wavefront6targetE0EEEvS12_
		.amdhsa_group_segment_fixed_size 0
		.amdhsa_private_segment_fixed_size 0
		.amdhsa_kernarg_size 176
		.amdhsa_user_sgpr_count 6
		.amdhsa_user_sgpr_private_segment_buffer 1
		.amdhsa_user_sgpr_dispatch_ptr 0
		.amdhsa_user_sgpr_queue_ptr 0
		.amdhsa_user_sgpr_kernarg_segment_ptr 1
		.amdhsa_user_sgpr_dispatch_id 0
		.amdhsa_user_sgpr_flat_scratch_init 0
		.amdhsa_user_sgpr_private_segment_size 0
		.amdhsa_wavefront_size32 1
		.amdhsa_uses_dynamic_stack 0
		.amdhsa_system_sgpr_private_segment_wavefront_offset 0
		.amdhsa_system_sgpr_workgroup_id_x 1
		.amdhsa_system_sgpr_workgroup_id_y 0
		.amdhsa_system_sgpr_workgroup_id_z 0
		.amdhsa_system_sgpr_workgroup_info 0
		.amdhsa_system_vgpr_workitem_id 0
		.amdhsa_next_free_vgpr 1
		.amdhsa_next_free_sgpr 1
		.amdhsa_reserve_vcc 0
		.amdhsa_reserve_flat_scratch 0
		.amdhsa_float_round_mode_32 0
		.amdhsa_float_round_mode_16_64 0
		.amdhsa_float_denorm_mode_32 3
		.amdhsa_float_denorm_mode_16_64 3
		.amdhsa_dx10_clamp 1
		.amdhsa_ieee_mode 1
		.amdhsa_fp16_overflow 0
		.amdhsa_workgroup_processor_mode 1
		.amdhsa_memory_ordered 1
		.amdhsa_forward_progress 1
		.amdhsa_shared_vgpr_count 0
		.amdhsa_exception_fp_ieee_invalid_op 0
		.amdhsa_exception_fp_denorm_src 0
		.amdhsa_exception_fp_ieee_div_zero 0
		.amdhsa_exception_fp_ieee_overflow 0
		.amdhsa_exception_fp_ieee_underflow 0
		.amdhsa_exception_fp_ieee_inexact 0
		.amdhsa_exception_int_div_zero 0
	.end_amdhsa_kernel
	.section	.text._ZN7rocprim17ROCPRIM_400000_NS6detail17trampoline_kernelINS0_13select_configILj256ELj13ELNS0_17block_load_methodE3ELS4_3ELS4_3ELNS0_20block_scan_algorithmE0ELj4294967295EEENS1_25partition_config_selectorILNS1_17partition_subalgoE4EjNS0_10empty_typeEbEEZZNS1_14partition_implILS8_4ELb0ES6_15HIP_vector_typeIjLj2EENS0_17counting_iteratorIjlEEPS9_SG_NS0_5tupleIJPjSI_NS0_16reverse_iteratorISI_EEEEENSH_IJSG_SG_SG_EEES9_SI_JZNS1_25segmented_radix_sort_implINS0_14default_configELb0EPKsPsPKlPlN2at6native12_GLOBAL__N_18offset_tEEE10hipError_tPvRmT1_PNSt15iterator_traitsIS12_E10value_typeET2_T3_PNS13_IS18_E10value_typeET4_jRbjT5_S1E_jjP12ihipStream_tbEUljE_ZNSN_ISO_Lb0ESQ_SR_ST_SU_SY_EESZ_S10_S11_S12_S16_S17_S18_S1B_S1C_jS1D_jS1E_S1E_jjS1G_bEUljE0_EEESZ_S10_S11_S18_S1C_S1E_T6_T7_T9_mT8_S1G_bDpT10_ENKUlT_T0_E_clISt17integral_constantIbLb1EES1T_IbLb0EEEEDaS1P_S1Q_EUlS1P_E_NS1_11comp_targetILNS1_3genE9ELNS1_11target_archE1100ELNS1_3gpuE3ELNS1_3repE0EEENS1_30default_config_static_selectorELNS0_4arch9wavefront6targetE0EEEvS12_,"axG",@progbits,_ZN7rocprim17ROCPRIM_400000_NS6detail17trampoline_kernelINS0_13select_configILj256ELj13ELNS0_17block_load_methodE3ELS4_3ELS4_3ELNS0_20block_scan_algorithmE0ELj4294967295EEENS1_25partition_config_selectorILNS1_17partition_subalgoE4EjNS0_10empty_typeEbEEZZNS1_14partition_implILS8_4ELb0ES6_15HIP_vector_typeIjLj2EENS0_17counting_iteratorIjlEEPS9_SG_NS0_5tupleIJPjSI_NS0_16reverse_iteratorISI_EEEEENSH_IJSG_SG_SG_EEES9_SI_JZNS1_25segmented_radix_sort_implINS0_14default_configELb0EPKsPsPKlPlN2at6native12_GLOBAL__N_18offset_tEEE10hipError_tPvRmT1_PNSt15iterator_traitsIS12_E10value_typeET2_T3_PNS13_IS18_E10value_typeET4_jRbjT5_S1E_jjP12ihipStream_tbEUljE_ZNSN_ISO_Lb0ESQ_SR_ST_SU_SY_EESZ_S10_S11_S12_S16_S17_S18_S1B_S1C_jS1D_jS1E_S1E_jjS1G_bEUljE0_EEESZ_S10_S11_S18_S1C_S1E_T6_T7_T9_mT8_S1G_bDpT10_ENKUlT_T0_E_clISt17integral_constantIbLb1EES1T_IbLb0EEEEDaS1P_S1Q_EUlS1P_E_NS1_11comp_targetILNS1_3genE9ELNS1_11target_archE1100ELNS1_3gpuE3ELNS1_3repE0EEENS1_30default_config_static_selectorELNS0_4arch9wavefront6targetE0EEEvS12_,comdat
.Lfunc_end965:
	.size	_ZN7rocprim17ROCPRIM_400000_NS6detail17trampoline_kernelINS0_13select_configILj256ELj13ELNS0_17block_load_methodE3ELS4_3ELS4_3ELNS0_20block_scan_algorithmE0ELj4294967295EEENS1_25partition_config_selectorILNS1_17partition_subalgoE4EjNS0_10empty_typeEbEEZZNS1_14partition_implILS8_4ELb0ES6_15HIP_vector_typeIjLj2EENS0_17counting_iteratorIjlEEPS9_SG_NS0_5tupleIJPjSI_NS0_16reverse_iteratorISI_EEEEENSH_IJSG_SG_SG_EEES9_SI_JZNS1_25segmented_radix_sort_implINS0_14default_configELb0EPKsPsPKlPlN2at6native12_GLOBAL__N_18offset_tEEE10hipError_tPvRmT1_PNSt15iterator_traitsIS12_E10value_typeET2_T3_PNS13_IS18_E10value_typeET4_jRbjT5_S1E_jjP12ihipStream_tbEUljE_ZNSN_ISO_Lb0ESQ_SR_ST_SU_SY_EESZ_S10_S11_S12_S16_S17_S18_S1B_S1C_jS1D_jS1E_S1E_jjS1G_bEUljE0_EEESZ_S10_S11_S18_S1C_S1E_T6_T7_T9_mT8_S1G_bDpT10_ENKUlT_T0_E_clISt17integral_constantIbLb1EES1T_IbLb0EEEEDaS1P_S1Q_EUlS1P_E_NS1_11comp_targetILNS1_3genE9ELNS1_11target_archE1100ELNS1_3gpuE3ELNS1_3repE0EEENS1_30default_config_static_selectorELNS0_4arch9wavefront6targetE0EEEvS12_, .Lfunc_end965-_ZN7rocprim17ROCPRIM_400000_NS6detail17trampoline_kernelINS0_13select_configILj256ELj13ELNS0_17block_load_methodE3ELS4_3ELS4_3ELNS0_20block_scan_algorithmE0ELj4294967295EEENS1_25partition_config_selectorILNS1_17partition_subalgoE4EjNS0_10empty_typeEbEEZZNS1_14partition_implILS8_4ELb0ES6_15HIP_vector_typeIjLj2EENS0_17counting_iteratorIjlEEPS9_SG_NS0_5tupleIJPjSI_NS0_16reverse_iteratorISI_EEEEENSH_IJSG_SG_SG_EEES9_SI_JZNS1_25segmented_radix_sort_implINS0_14default_configELb0EPKsPsPKlPlN2at6native12_GLOBAL__N_18offset_tEEE10hipError_tPvRmT1_PNSt15iterator_traitsIS12_E10value_typeET2_T3_PNS13_IS18_E10value_typeET4_jRbjT5_S1E_jjP12ihipStream_tbEUljE_ZNSN_ISO_Lb0ESQ_SR_ST_SU_SY_EESZ_S10_S11_S12_S16_S17_S18_S1B_S1C_jS1D_jS1E_S1E_jjS1G_bEUljE0_EEESZ_S10_S11_S18_S1C_S1E_T6_T7_T9_mT8_S1G_bDpT10_ENKUlT_T0_E_clISt17integral_constantIbLb1EES1T_IbLb0EEEEDaS1P_S1Q_EUlS1P_E_NS1_11comp_targetILNS1_3genE9ELNS1_11target_archE1100ELNS1_3gpuE3ELNS1_3repE0EEENS1_30default_config_static_selectorELNS0_4arch9wavefront6targetE0EEEvS12_
                                        ; -- End function
	.set _ZN7rocprim17ROCPRIM_400000_NS6detail17trampoline_kernelINS0_13select_configILj256ELj13ELNS0_17block_load_methodE3ELS4_3ELS4_3ELNS0_20block_scan_algorithmE0ELj4294967295EEENS1_25partition_config_selectorILNS1_17partition_subalgoE4EjNS0_10empty_typeEbEEZZNS1_14partition_implILS8_4ELb0ES6_15HIP_vector_typeIjLj2EENS0_17counting_iteratorIjlEEPS9_SG_NS0_5tupleIJPjSI_NS0_16reverse_iteratorISI_EEEEENSH_IJSG_SG_SG_EEES9_SI_JZNS1_25segmented_radix_sort_implINS0_14default_configELb0EPKsPsPKlPlN2at6native12_GLOBAL__N_18offset_tEEE10hipError_tPvRmT1_PNSt15iterator_traitsIS12_E10value_typeET2_T3_PNS13_IS18_E10value_typeET4_jRbjT5_S1E_jjP12ihipStream_tbEUljE_ZNSN_ISO_Lb0ESQ_SR_ST_SU_SY_EESZ_S10_S11_S12_S16_S17_S18_S1B_S1C_jS1D_jS1E_S1E_jjS1G_bEUljE0_EEESZ_S10_S11_S18_S1C_S1E_T6_T7_T9_mT8_S1G_bDpT10_ENKUlT_T0_E_clISt17integral_constantIbLb1EES1T_IbLb0EEEEDaS1P_S1Q_EUlS1P_E_NS1_11comp_targetILNS1_3genE9ELNS1_11target_archE1100ELNS1_3gpuE3ELNS1_3repE0EEENS1_30default_config_static_selectorELNS0_4arch9wavefront6targetE0EEEvS12_.num_vgpr, 0
	.set _ZN7rocprim17ROCPRIM_400000_NS6detail17trampoline_kernelINS0_13select_configILj256ELj13ELNS0_17block_load_methodE3ELS4_3ELS4_3ELNS0_20block_scan_algorithmE0ELj4294967295EEENS1_25partition_config_selectorILNS1_17partition_subalgoE4EjNS0_10empty_typeEbEEZZNS1_14partition_implILS8_4ELb0ES6_15HIP_vector_typeIjLj2EENS0_17counting_iteratorIjlEEPS9_SG_NS0_5tupleIJPjSI_NS0_16reverse_iteratorISI_EEEEENSH_IJSG_SG_SG_EEES9_SI_JZNS1_25segmented_radix_sort_implINS0_14default_configELb0EPKsPsPKlPlN2at6native12_GLOBAL__N_18offset_tEEE10hipError_tPvRmT1_PNSt15iterator_traitsIS12_E10value_typeET2_T3_PNS13_IS18_E10value_typeET4_jRbjT5_S1E_jjP12ihipStream_tbEUljE_ZNSN_ISO_Lb0ESQ_SR_ST_SU_SY_EESZ_S10_S11_S12_S16_S17_S18_S1B_S1C_jS1D_jS1E_S1E_jjS1G_bEUljE0_EEESZ_S10_S11_S18_S1C_S1E_T6_T7_T9_mT8_S1G_bDpT10_ENKUlT_T0_E_clISt17integral_constantIbLb1EES1T_IbLb0EEEEDaS1P_S1Q_EUlS1P_E_NS1_11comp_targetILNS1_3genE9ELNS1_11target_archE1100ELNS1_3gpuE3ELNS1_3repE0EEENS1_30default_config_static_selectorELNS0_4arch9wavefront6targetE0EEEvS12_.num_agpr, 0
	.set _ZN7rocprim17ROCPRIM_400000_NS6detail17trampoline_kernelINS0_13select_configILj256ELj13ELNS0_17block_load_methodE3ELS4_3ELS4_3ELNS0_20block_scan_algorithmE0ELj4294967295EEENS1_25partition_config_selectorILNS1_17partition_subalgoE4EjNS0_10empty_typeEbEEZZNS1_14partition_implILS8_4ELb0ES6_15HIP_vector_typeIjLj2EENS0_17counting_iteratorIjlEEPS9_SG_NS0_5tupleIJPjSI_NS0_16reverse_iteratorISI_EEEEENSH_IJSG_SG_SG_EEES9_SI_JZNS1_25segmented_radix_sort_implINS0_14default_configELb0EPKsPsPKlPlN2at6native12_GLOBAL__N_18offset_tEEE10hipError_tPvRmT1_PNSt15iterator_traitsIS12_E10value_typeET2_T3_PNS13_IS18_E10value_typeET4_jRbjT5_S1E_jjP12ihipStream_tbEUljE_ZNSN_ISO_Lb0ESQ_SR_ST_SU_SY_EESZ_S10_S11_S12_S16_S17_S18_S1B_S1C_jS1D_jS1E_S1E_jjS1G_bEUljE0_EEESZ_S10_S11_S18_S1C_S1E_T6_T7_T9_mT8_S1G_bDpT10_ENKUlT_T0_E_clISt17integral_constantIbLb1EES1T_IbLb0EEEEDaS1P_S1Q_EUlS1P_E_NS1_11comp_targetILNS1_3genE9ELNS1_11target_archE1100ELNS1_3gpuE3ELNS1_3repE0EEENS1_30default_config_static_selectorELNS0_4arch9wavefront6targetE0EEEvS12_.numbered_sgpr, 0
	.set _ZN7rocprim17ROCPRIM_400000_NS6detail17trampoline_kernelINS0_13select_configILj256ELj13ELNS0_17block_load_methodE3ELS4_3ELS4_3ELNS0_20block_scan_algorithmE0ELj4294967295EEENS1_25partition_config_selectorILNS1_17partition_subalgoE4EjNS0_10empty_typeEbEEZZNS1_14partition_implILS8_4ELb0ES6_15HIP_vector_typeIjLj2EENS0_17counting_iteratorIjlEEPS9_SG_NS0_5tupleIJPjSI_NS0_16reverse_iteratorISI_EEEEENSH_IJSG_SG_SG_EEES9_SI_JZNS1_25segmented_radix_sort_implINS0_14default_configELb0EPKsPsPKlPlN2at6native12_GLOBAL__N_18offset_tEEE10hipError_tPvRmT1_PNSt15iterator_traitsIS12_E10value_typeET2_T3_PNS13_IS18_E10value_typeET4_jRbjT5_S1E_jjP12ihipStream_tbEUljE_ZNSN_ISO_Lb0ESQ_SR_ST_SU_SY_EESZ_S10_S11_S12_S16_S17_S18_S1B_S1C_jS1D_jS1E_S1E_jjS1G_bEUljE0_EEESZ_S10_S11_S18_S1C_S1E_T6_T7_T9_mT8_S1G_bDpT10_ENKUlT_T0_E_clISt17integral_constantIbLb1EES1T_IbLb0EEEEDaS1P_S1Q_EUlS1P_E_NS1_11comp_targetILNS1_3genE9ELNS1_11target_archE1100ELNS1_3gpuE3ELNS1_3repE0EEENS1_30default_config_static_selectorELNS0_4arch9wavefront6targetE0EEEvS12_.num_named_barrier, 0
	.set _ZN7rocprim17ROCPRIM_400000_NS6detail17trampoline_kernelINS0_13select_configILj256ELj13ELNS0_17block_load_methodE3ELS4_3ELS4_3ELNS0_20block_scan_algorithmE0ELj4294967295EEENS1_25partition_config_selectorILNS1_17partition_subalgoE4EjNS0_10empty_typeEbEEZZNS1_14partition_implILS8_4ELb0ES6_15HIP_vector_typeIjLj2EENS0_17counting_iteratorIjlEEPS9_SG_NS0_5tupleIJPjSI_NS0_16reverse_iteratorISI_EEEEENSH_IJSG_SG_SG_EEES9_SI_JZNS1_25segmented_radix_sort_implINS0_14default_configELb0EPKsPsPKlPlN2at6native12_GLOBAL__N_18offset_tEEE10hipError_tPvRmT1_PNSt15iterator_traitsIS12_E10value_typeET2_T3_PNS13_IS18_E10value_typeET4_jRbjT5_S1E_jjP12ihipStream_tbEUljE_ZNSN_ISO_Lb0ESQ_SR_ST_SU_SY_EESZ_S10_S11_S12_S16_S17_S18_S1B_S1C_jS1D_jS1E_S1E_jjS1G_bEUljE0_EEESZ_S10_S11_S18_S1C_S1E_T6_T7_T9_mT8_S1G_bDpT10_ENKUlT_T0_E_clISt17integral_constantIbLb1EES1T_IbLb0EEEEDaS1P_S1Q_EUlS1P_E_NS1_11comp_targetILNS1_3genE9ELNS1_11target_archE1100ELNS1_3gpuE3ELNS1_3repE0EEENS1_30default_config_static_selectorELNS0_4arch9wavefront6targetE0EEEvS12_.private_seg_size, 0
	.set _ZN7rocprim17ROCPRIM_400000_NS6detail17trampoline_kernelINS0_13select_configILj256ELj13ELNS0_17block_load_methodE3ELS4_3ELS4_3ELNS0_20block_scan_algorithmE0ELj4294967295EEENS1_25partition_config_selectorILNS1_17partition_subalgoE4EjNS0_10empty_typeEbEEZZNS1_14partition_implILS8_4ELb0ES6_15HIP_vector_typeIjLj2EENS0_17counting_iteratorIjlEEPS9_SG_NS0_5tupleIJPjSI_NS0_16reverse_iteratorISI_EEEEENSH_IJSG_SG_SG_EEES9_SI_JZNS1_25segmented_radix_sort_implINS0_14default_configELb0EPKsPsPKlPlN2at6native12_GLOBAL__N_18offset_tEEE10hipError_tPvRmT1_PNSt15iterator_traitsIS12_E10value_typeET2_T3_PNS13_IS18_E10value_typeET4_jRbjT5_S1E_jjP12ihipStream_tbEUljE_ZNSN_ISO_Lb0ESQ_SR_ST_SU_SY_EESZ_S10_S11_S12_S16_S17_S18_S1B_S1C_jS1D_jS1E_S1E_jjS1G_bEUljE0_EEESZ_S10_S11_S18_S1C_S1E_T6_T7_T9_mT8_S1G_bDpT10_ENKUlT_T0_E_clISt17integral_constantIbLb1EES1T_IbLb0EEEEDaS1P_S1Q_EUlS1P_E_NS1_11comp_targetILNS1_3genE9ELNS1_11target_archE1100ELNS1_3gpuE3ELNS1_3repE0EEENS1_30default_config_static_selectorELNS0_4arch9wavefront6targetE0EEEvS12_.uses_vcc, 0
	.set _ZN7rocprim17ROCPRIM_400000_NS6detail17trampoline_kernelINS0_13select_configILj256ELj13ELNS0_17block_load_methodE3ELS4_3ELS4_3ELNS0_20block_scan_algorithmE0ELj4294967295EEENS1_25partition_config_selectorILNS1_17partition_subalgoE4EjNS0_10empty_typeEbEEZZNS1_14partition_implILS8_4ELb0ES6_15HIP_vector_typeIjLj2EENS0_17counting_iteratorIjlEEPS9_SG_NS0_5tupleIJPjSI_NS0_16reverse_iteratorISI_EEEEENSH_IJSG_SG_SG_EEES9_SI_JZNS1_25segmented_radix_sort_implINS0_14default_configELb0EPKsPsPKlPlN2at6native12_GLOBAL__N_18offset_tEEE10hipError_tPvRmT1_PNSt15iterator_traitsIS12_E10value_typeET2_T3_PNS13_IS18_E10value_typeET4_jRbjT5_S1E_jjP12ihipStream_tbEUljE_ZNSN_ISO_Lb0ESQ_SR_ST_SU_SY_EESZ_S10_S11_S12_S16_S17_S18_S1B_S1C_jS1D_jS1E_S1E_jjS1G_bEUljE0_EEESZ_S10_S11_S18_S1C_S1E_T6_T7_T9_mT8_S1G_bDpT10_ENKUlT_T0_E_clISt17integral_constantIbLb1EES1T_IbLb0EEEEDaS1P_S1Q_EUlS1P_E_NS1_11comp_targetILNS1_3genE9ELNS1_11target_archE1100ELNS1_3gpuE3ELNS1_3repE0EEENS1_30default_config_static_selectorELNS0_4arch9wavefront6targetE0EEEvS12_.uses_flat_scratch, 0
	.set _ZN7rocprim17ROCPRIM_400000_NS6detail17trampoline_kernelINS0_13select_configILj256ELj13ELNS0_17block_load_methodE3ELS4_3ELS4_3ELNS0_20block_scan_algorithmE0ELj4294967295EEENS1_25partition_config_selectorILNS1_17partition_subalgoE4EjNS0_10empty_typeEbEEZZNS1_14partition_implILS8_4ELb0ES6_15HIP_vector_typeIjLj2EENS0_17counting_iteratorIjlEEPS9_SG_NS0_5tupleIJPjSI_NS0_16reverse_iteratorISI_EEEEENSH_IJSG_SG_SG_EEES9_SI_JZNS1_25segmented_radix_sort_implINS0_14default_configELb0EPKsPsPKlPlN2at6native12_GLOBAL__N_18offset_tEEE10hipError_tPvRmT1_PNSt15iterator_traitsIS12_E10value_typeET2_T3_PNS13_IS18_E10value_typeET4_jRbjT5_S1E_jjP12ihipStream_tbEUljE_ZNSN_ISO_Lb0ESQ_SR_ST_SU_SY_EESZ_S10_S11_S12_S16_S17_S18_S1B_S1C_jS1D_jS1E_S1E_jjS1G_bEUljE0_EEESZ_S10_S11_S18_S1C_S1E_T6_T7_T9_mT8_S1G_bDpT10_ENKUlT_T0_E_clISt17integral_constantIbLb1EES1T_IbLb0EEEEDaS1P_S1Q_EUlS1P_E_NS1_11comp_targetILNS1_3genE9ELNS1_11target_archE1100ELNS1_3gpuE3ELNS1_3repE0EEENS1_30default_config_static_selectorELNS0_4arch9wavefront6targetE0EEEvS12_.has_dyn_sized_stack, 0
	.set _ZN7rocprim17ROCPRIM_400000_NS6detail17trampoline_kernelINS0_13select_configILj256ELj13ELNS0_17block_load_methodE3ELS4_3ELS4_3ELNS0_20block_scan_algorithmE0ELj4294967295EEENS1_25partition_config_selectorILNS1_17partition_subalgoE4EjNS0_10empty_typeEbEEZZNS1_14partition_implILS8_4ELb0ES6_15HIP_vector_typeIjLj2EENS0_17counting_iteratorIjlEEPS9_SG_NS0_5tupleIJPjSI_NS0_16reverse_iteratorISI_EEEEENSH_IJSG_SG_SG_EEES9_SI_JZNS1_25segmented_radix_sort_implINS0_14default_configELb0EPKsPsPKlPlN2at6native12_GLOBAL__N_18offset_tEEE10hipError_tPvRmT1_PNSt15iterator_traitsIS12_E10value_typeET2_T3_PNS13_IS18_E10value_typeET4_jRbjT5_S1E_jjP12ihipStream_tbEUljE_ZNSN_ISO_Lb0ESQ_SR_ST_SU_SY_EESZ_S10_S11_S12_S16_S17_S18_S1B_S1C_jS1D_jS1E_S1E_jjS1G_bEUljE0_EEESZ_S10_S11_S18_S1C_S1E_T6_T7_T9_mT8_S1G_bDpT10_ENKUlT_T0_E_clISt17integral_constantIbLb1EES1T_IbLb0EEEEDaS1P_S1Q_EUlS1P_E_NS1_11comp_targetILNS1_3genE9ELNS1_11target_archE1100ELNS1_3gpuE3ELNS1_3repE0EEENS1_30default_config_static_selectorELNS0_4arch9wavefront6targetE0EEEvS12_.has_recursion, 0
	.set _ZN7rocprim17ROCPRIM_400000_NS6detail17trampoline_kernelINS0_13select_configILj256ELj13ELNS0_17block_load_methodE3ELS4_3ELS4_3ELNS0_20block_scan_algorithmE0ELj4294967295EEENS1_25partition_config_selectorILNS1_17partition_subalgoE4EjNS0_10empty_typeEbEEZZNS1_14partition_implILS8_4ELb0ES6_15HIP_vector_typeIjLj2EENS0_17counting_iteratorIjlEEPS9_SG_NS0_5tupleIJPjSI_NS0_16reverse_iteratorISI_EEEEENSH_IJSG_SG_SG_EEES9_SI_JZNS1_25segmented_radix_sort_implINS0_14default_configELb0EPKsPsPKlPlN2at6native12_GLOBAL__N_18offset_tEEE10hipError_tPvRmT1_PNSt15iterator_traitsIS12_E10value_typeET2_T3_PNS13_IS18_E10value_typeET4_jRbjT5_S1E_jjP12ihipStream_tbEUljE_ZNSN_ISO_Lb0ESQ_SR_ST_SU_SY_EESZ_S10_S11_S12_S16_S17_S18_S1B_S1C_jS1D_jS1E_S1E_jjS1G_bEUljE0_EEESZ_S10_S11_S18_S1C_S1E_T6_T7_T9_mT8_S1G_bDpT10_ENKUlT_T0_E_clISt17integral_constantIbLb1EES1T_IbLb0EEEEDaS1P_S1Q_EUlS1P_E_NS1_11comp_targetILNS1_3genE9ELNS1_11target_archE1100ELNS1_3gpuE3ELNS1_3repE0EEENS1_30default_config_static_selectorELNS0_4arch9wavefront6targetE0EEEvS12_.has_indirect_call, 0
	.section	.AMDGPU.csdata,"",@progbits
; Kernel info:
; codeLenInByte = 0
; TotalNumSgprs: 0
; NumVgprs: 0
; ScratchSize: 0
; MemoryBound: 0
; FloatMode: 240
; IeeeMode: 1
; LDSByteSize: 0 bytes/workgroup (compile time only)
; SGPRBlocks: 0
; VGPRBlocks: 0
; NumSGPRsForWavesPerEU: 1
; NumVGPRsForWavesPerEU: 1
; Occupancy: 16
; WaveLimiterHint : 0
; COMPUTE_PGM_RSRC2:SCRATCH_EN: 0
; COMPUTE_PGM_RSRC2:USER_SGPR: 6
; COMPUTE_PGM_RSRC2:TRAP_HANDLER: 0
; COMPUTE_PGM_RSRC2:TGID_X_EN: 1
; COMPUTE_PGM_RSRC2:TGID_Y_EN: 0
; COMPUTE_PGM_RSRC2:TGID_Z_EN: 0
; COMPUTE_PGM_RSRC2:TIDIG_COMP_CNT: 0
	.section	.text._ZN7rocprim17ROCPRIM_400000_NS6detail17trampoline_kernelINS0_13select_configILj256ELj13ELNS0_17block_load_methodE3ELS4_3ELS4_3ELNS0_20block_scan_algorithmE0ELj4294967295EEENS1_25partition_config_selectorILNS1_17partition_subalgoE4EjNS0_10empty_typeEbEEZZNS1_14partition_implILS8_4ELb0ES6_15HIP_vector_typeIjLj2EENS0_17counting_iteratorIjlEEPS9_SG_NS0_5tupleIJPjSI_NS0_16reverse_iteratorISI_EEEEENSH_IJSG_SG_SG_EEES9_SI_JZNS1_25segmented_radix_sort_implINS0_14default_configELb0EPKsPsPKlPlN2at6native12_GLOBAL__N_18offset_tEEE10hipError_tPvRmT1_PNSt15iterator_traitsIS12_E10value_typeET2_T3_PNS13_IS18_E10value_typeET4_jRbjT5_S1E_jjP12ihipStream_tbEUljE_ZNSN_ISO_Lb0ESQ_SR_ST_SU_SY_EESZ_S10_S11_S12_S16_S17_S18_S1B_S1C_jS1D_jS1E_S1E_jjS1G_bEUljE0_EEESZ_S10_S11_S18_S1C_S1E_T6_T7_T9_mT8_S1G_bDpT10_ENKUlT_T0_E_clISt17integral_constantIbLb1EES1T_IbLb0EEEEDaS1P_S1Q_EUlS1P_E_NS1_11comp_targetILNS1_3genE8ELNS1_11target_archE1030ELNS1_3gpuE2ELNS1_3repE0EEENS1_30default_config_static_selectorELNS0_4arch9wavefront6targetE0EEEvS12_,"axG",@progbits,_ZN7rocprim17ROCPRIM_400000_NS6detail17trampoline_kernelINS0_13select_configILj256ELj13ELNS0_17block_load_methodE3ELS4_3ELS4_3ELNS0_20block_scan_algorithmE0ELj4294967295EEENS1_25partition_config_selectorILNS1_17partition_subalgoE4EjNS0_10empty_typeEbEEZZNS1_14partition_implILS8_4ELb0ES6_15HIP_vector_typeIjLj2EENS0_17counting_iteratorIjlEEPS9_SG_NS0_5tupleIJPjSI_NS0_16reverse_iteratorISI_EEEEENSH_IJSG_SG_SG_EEES9_SI_JZNS1_25segmented_radix_sort_implINS0_14default_configELb0EPKsPsPKlPlN2at6native12_GLOBAL__N_18offset_tEEE10hipError_tPvRmT1_PNSt15iterator_traitsIS12_E10value_typeET2_T3_PNS13_IS18_E10value_typeET4_jRbjT5_S1E_jjP12ihipStream_tbEUljE_ZNSN_ISO_Lb0ESQ_SR_ST_SU_SY_EESZ_S10_S11_S12_S16_S17_S18_S1B_S1C_jS1D_jS1E_S1E_jjS1G_bEUljE0_EEESZ_S10_S11_S18_S1C_S1E_T6_T7_T9_mT8_S1G_bDpT10_ENKUlT_T0_E_clISt17integral_constantIbLb1EES1T_IbLb0EEEEDaS1P_S1Q_EUlS1P_E_NS1_11comp_targetILNS1_3genE8ELNS1_11target_archE1030ELNS1_3gpuE2ELNS1_3repE0EEENS1_30default_config_static_selectorELNS0_4arch9wavefront6targetE0EEEvS12_,comdat
	.globl	_ZN7rocprim17ROCPRIM_400000_NS6detail17trampoline_kernelINS0_13select_configILj256ELj13ELNS0_17block_load_methodE3ELS4_3ELS4_3ELNS0_20block_scan_algorithmE0ELj4294967295EEENS1_25partition_config_selectorILNS1_17partition_subalgoE4EjNS0_10empty_typeEbEEZZNS1_14partition_implILS8_4ELb0ES6_15HIP_vector_typeIjLj2EENS0_17counting_iteratorIjlEEPS9_SG_NS0_5tupleIJPjSI_NS0_16reverse_iteratorISI_EEEEENSH_IJSG_SG_SG_EEES9_SI_JZNS1_25segmented_radix_sort_implINS0_14default_configELb0EPKsPsPKlPlN2at6native12_GLOBAL__N_18offset_tEEE10hipError_tPvRmT1_PNSt15iterator_traitsIS12_E10value_typeET2_T3_PNS13_IS18_E10value_typeET4_jRbjT5_S1E_jjP12ihipStream_tbEUljE_ZNSN_ISO_Lb0ESQ_SR_ST_SU_SY_EESZ_S10_S11_S12_S16_S17_S18_S1B_S1C_jS1D_jS1E_S1E_jjS1G_bEUljE0_EEESZ_S10_S11_S18_S1C_S1E_T6_T7_T9_mT8_S1G_bDpT10_ENKUlT_T0_E_clISt17integral_constantIbLb1EES1T_IbLb0EEEEDaS1P_S1Q_EUlS1P_E_NS1_11comp_targetILNS1_3genE8ELNS1_11target_archE1030ELNS1_3gpuE2ELNS1_3repE0EEENS1_30default_config_static_selectorELNS0_4arch9wavefront6targetE0EEEvS12_ ; -- Begin function _ZN7rocprim17ROCPRIM_400000_NS6detail17trampoline_kernelINS0_13select_configILj256ELj13ELNS0_17block_load_methodE3ELS4_3ELS4_3ELNS0_20block_scan_algorithmE0ELj4294967295EEENS1_25partition_config_selectorILNS1_17partition_subalgoE4EjNS0_10empty_typeEbEEZZNS1_14partition_implILS8_4ELb0ES6_15HIP_vector_typeIjLj2EENS0_17counting_iteratorIjlEEPS9_SG_NS0_5tupleIJPjSI_NS0_16reverse_iteratorISI_EEEEENSH_IJSG_SG_SG_EEES9_SI_JZNS1_25segmented_radix_sort_implINS0_14default_configELb0EPKsPsPKlPlN2at6native12_GLOBAL__N_18offset_tEEE10hipError_tPvRmT1_PNSt15iterator_traitsIS12_E10value_typeET2_T3_PNS13_IS18_E10value_typeET4_jRbjT5_S1E_jjP12ihipStream_tbEUljE_ZNSN_ISO_Lb0ESQ_SR_ST_SU_SY_EESZ_S10_S11_S12_S16_S17_S18_S1B_S1C_jS1D_jS1E_S1E_jjS1G_bEUljE0_EEESZ_S10_S11_S18_S1C_S1E_T6_T7_T9_mT8_S1G_bDpT10_ENKUlT_T0_E_clISt17integral_constantIbLb1EES1T_IbLb0EEEEDaS1P_S1Q_EUlS1P_E_NS1_11comp_targetILNS1_3genE8ELNS1_11target_archE1030ELNS1_3gpuE2ELNS1_3repE0EEENS1_30default_config_static_selectorELNS0_4arch9wavefront6targetE0EEEvS12_
	.p2align	8
	.type	_ZN7rocprim17ROCPRIM_400000_NS6detail17trampoline_kernelINS0_13select_configILj256ELj13ELNS0_17block_load_methodE3ELS4_3ELS4_3ELNS0_20block_scan_algorithmE0ELj4294967295EEENS1_25partition_config_selectorILNS1_17partition_subalgoE4EjNS0_10empty_typeEbEEZZNS1_14partition_implILS8_4ELb0ES6_15HIP_vector_typeIjLj2EENS0_17counting_iteratorIjlEEPS9_SG_NS0_5tupleIJPjSI_NS0_16reverse_iteratorISI_EEEEENSH_IJSG_SG_SG_EEES9_SI_JZNS1_25segmented_radix_sort_implINS0_14default_configELb0EPKsPsPKlPlN2at6native12_GLOBAL__N_18offset_tEEE10hipError_tPvRmT1_PNSt15iterator_traitsIS12_E10value_typeET2_T3_PNS13_IS18_E10value_typeET4_jRbjT5_S1E_jjP12ihipStream_tbEUljE_ZNSN_ISO_Lb0ESQ_SR_ST_SU_SY_EESZ_S10_S11_S12_S16_S17_S18_S1B_S1C_jS1D_jS1E_S1E_jjS1G_bEUljE0_EEESZ_S10_S11_S18_S1C_S1E_T6_T7_T9_mT8_S1G_bDpT10_ENKUlT_T0_E_clISt17integral_constantIbLb1EES1T_IbLb0EEEEDaS1P_S1Q_EUlS1P_E_NS1_11comp_targetILNS1_3genE8ELNS1_11target_archE1030ELNS1_3gpuE2ELNS1_3repE0EEENS1_30default_config_static_selectorELNS0_4arch9wavefront6targetE0EEEvS12_,@function
_ZN7rocprim17ROCPRIM_400000_NS6detail17trampoline_kernelINS0_13select_configILj256ELj13ELNS0_17block_load_methodE3ELS4_3ELS4_3ELNS0_20block_scan_algorithmE0ELj4294967295EEENS1_25partition_config_selectorILNS1_17partition_subalgoE4EjNS0_10empty_typeEbEEZZNS1_14partition_implILS8_4ELb0ES6_15HIP_vector_typeIjLj2EENS0_17counting_iteratorIjlEEPS9_SG_NS0_5tupleIJPjSI_NS0_16reverse_iteratorISI_EEEEENSH_IJSG_SG_SG_EEES9_SI_JZNS1_25segmented_radix_sort_implINS0_14default_configELb0EPKsPsPKlPlN2at6native12_GLOBAL__N_18offset_tEEE10hipError_tPvRmT1_PNSt15iterator_traitsIS12_E10value_typeET2_T3_PNS13_IS18_E10value_typeET4_jRbjT5_S1E_jjP12ihipStream_tbEUljE_ZNSN_ISO_Lb0ESQ_SR_ST_SU_SY_EESZ_S10_S11_S12_S16_S17_S18_S1B_S1C_jS1D_jS1E_S1E_jjS1G_bEUljE0_EEESZ_S10_S11_S18_S1C_S1E_T6_T7_T9_mT8_S1G_bDpT10_ENKUlT_T0_E_clISt17integral_constantIbLb1EES1T_IbLb0EEEEDaS1P_S1Q_EUlS1P_E_NS1_11comp_targetILNS1_3genE8ELNS1_11target_archE1030ELNS1_3gpuE2ELNS1_3repE0EEENS1_30default_config_static_selectorELNS0_4arch9wavefront6targetE0EEEvS12_: ; @_ZN7rocprim17ROCPRIM_400000_NS6detail17trampoline_kernelINS0_13select_configILj256ELj13ELNS0_17block_load_methodE3ELS4_3ELS4_3ELNS0_20block_scan_algorithmE0ELj4294967295EEENS1_25partition_config_selectorILNS1_17partition_subalgoE4EjNS0_10empty_typeEbEEZZNS1_14partition_implILS8_4ELb0ES6_15HIP_vector_typeIjLj2EENS0_17counting_iteratorIjlEEPS9_SG_NS0_5tupleIJPjSI_NS0_16reverse_iteratorISI_EEEEENSH_IJSG_SG_SG_EEES9_SI_JZNS1_25segmented_radix_sort_implINS0_14default_configELb0EPKsPsPKlPlN2at6native12_GLOBAL__N_18offset_tEEE10hipError_tPvRmT1_PNSt15iterator_traitsIS12_E10value_typeET2_T3_PNS13_IS18_E10value_typeET4_jRbjT5_S1E_jjP12ihipStream_tbEUljE_ZNSN_ISO_Lb0ESQ_SR_ST_SU_SY_EESZ_S10_S11_S12_S16_S17_S18_S1B_S1C_jS1D_jS1E_S1E_jjS1G_bEUljE0_EEESZ_S10_S11_S18_S1C_S1E_T6_T7_T9_mT8_S1G_bDpT10_ENKUlT_T0_E_clISt17integral_constantIbLb1EES1T_IbLb0EEEEDaS1P_S1Q_EUlS1P_E_NS1_11comp_targetILNS1_3genE8ELNS1_11target_archE1030ELNS1_3gpuE2ELNS1_3repE0EEENS1_30default_config_static_selectorELNS0_4arch9wavefront6targetE0EEEvS12_
; %bb.0:
	s_endpgm
	.section	.rodata,"a",@progbits
	.p2align	6, 0x0
	.amdhsa_kernel _ZN7rocprim17ROCPRIM_400000_NS6detail17trampoline_kernelINS0_13select_configILj256ELj13ELNS0_17block_load_methodE3ELS4_3ELS4_3ELNS0_20block_scan_algorithmE0ELj4294967295EEENS1_25partition_config_selectorILNS1_17partition_subalgoE4EjNS0_10empty_typeEbEEZZNS1_14partition_implILS8_4ELb0ES6_15HIP_vector_typeIjLj2EENS0_17counting_iteratorIjlEEPS9_SG_NS0_5tupleIJPjSI_NS0_16reverse_iteratorISI_EEEEENSH_IJSG_SG_SG_EEES9_SI_JZNS1_25segmented_radix_sort_implINS0_14default_configELb0EPKsPsPKlPlN2at6native12_GLOBAL__N_18offset_tEEE10hipError_tPvRmT1_PNSt15iterator_traitsIS12_E10value_typeET2_T3_PNS13_IS18_E10value_typeET4_jRbjT5_S1E_jjP12ihipStream_tbEUljE_ZNSN_ISO_Lb0ESQ_SR_ST_SU_SY_EESZ_S10_S11_S12_S16_S17_S18_S1B_S1C_jS1D_jS1E_S1E_jjS1G_bEUljE0_EEESZ_S10_S11_S18_S1C_S1E_T6_T7_T9_mT8_S1G_bDpT10_ENKUlT_T0_E_clISt17integral_constantIbLb1EES1T_IbLb0EEEEDaS1P_S1Q_EUlS1P_E_NS1_11comp_targetILNS1_3genE8ELNS1_11target_archE1030ELNS1_3gpuE2ELNS1_3repE0EEENS1_30default_config_static_selectorELNS0_4arch9wavefront6targetE0EEEvS12_
		.amdhsa_group_segment_fixed_size 0
		.amdhsa_private_segment_fixed_size 0
		.amdhsa_kernarg_size 176
		.amdhsa_user_sgpr_count 6
		.amdhsa_user_sgpr_private_segment_buffer 1
		.amdhsa_user_sgpr_dispatch_ptr 0
		.amdhsa_user_sgpr_queue_ptr 0
		.amdhsa_user_sgpr_kernarg_segment_ptr 1
		.amdhsa_user_sgpr_dispatch_id 0
		.amdhsa_user_sgpr_flat_scratch_init 0
		.amdhsa_user_sgpr_private_segment_size 0
		.amdhsa_wavefront_size32 1
		.amdhsa_uses_dynamic_stack 0
		.amdhsa_system_sgpr_private_segment_wavefront_offset 0
		.amdhsa_system_sgpr_workgroup_id_x 1
		.amdhsa_system_sgpr_workgroup_id_y 0
		.amdhsa_system_sgpr_workgroup_id_z 0
		.amdhsa_system_sgpr_workgroup_info 0
		.amdhsa_system_vgpr_workitem_id 0
		.amdhsa_next_free_vgpr 1
		.amdhsa_next_free_sgpr 1
		.amdhsa_reserve_vcc 0
		.amdhsa_reserve_flat_scratch 0
		.amdhsa_float_round_mode_32 0
		.amdhsa_float_round_mode_16_64 0
		.amdhsa_float_denorm_mode_32 3
		.amdhsa_float_denorm_mode_16_64 3
		.amdhsa_dx10_clamp 1
		.amdhsa_ieee_mode 1
		.amdhsa_fp16_overflow 0
		.amdhsa_workgroup_processor_mode 1
		.amdhsa_memory_ordered 1
		.amdhsa_forward_progress 1
		.amdhsa_shared_vgpr_count 0
		.amdhsa_exception_fp_ieee_invalid_op 0
		.amdhsa_exception_fp_denorm_src 0
		.amdhsa_exception_fp_ieee_div_zero 0
		.amdhsa_exception_fp_ieee_overflow 0
		.amdhsa_exception_fp_ieee_underflow 0
		.amdhsa_exception_fp_ieee_inexact 0
		.amdhsa_exception_int_div_zero 0
	.end_amdhsa_kernel
	.section	.text._ZN7rocprim17ROCPRIM_400000_NS6detail17trampoline_kernelINS0_13select_configILj256ELj13ELNS0_17block_load_methodE3ELS4_3ELS4_3ELNS0_20block_scan_algorithmE0ELj4294967295EEENS1_25partition_config_selectorILNS1_17partition_subalgoE4EjNS0_10empty_typeEbEEZZNS1_14partition_implILS8_4ELb0ES6_15HIP_vector_typeIjLj2EENS0_17counting_iteratorIjlEEPS9_SG_NS0_5tupleIJPjSI_NS0_16reverse_iteratorISI_EEEEENSH_IJSG_SG_SG_EEES9_SI_JZNS1_25segmented_radix_sort_implINS0_14default_configELb0EPKsPsPKlPlN2at6native12_GLOBAL__N_18offset_tEEE10hipError_tPvRmT1_PNSt15iterator_traitsIS12_E10value_typeET2_T3_PNS13_IS18_E10value_typeET4_jRbjT5_S1E_jjP12ihipStream_tbEUljE_ZNSN_ISO_Lb0ESQ_SR_ST_SU_SY_EESZ_S10_S11_S12_S16_S17_S18_S1B_S1C_jS1D_jS1E_S1E_jjS1G_bEUljE0_EEESZ_S10_S11_S18_S1C_S1E_T6_T7_T9_mT8_S1G_bDpT10_ENKUlT_T0_E_clISt17integral_constantIbLb1EES1T_IbLb0EEEEDaS1P_S1Q_EUlS1P_E_NS1_11comp_targetILNS1_3genE8ELNS1_11target_archE1030ELNS1_3gpuE2ELNS1_3repE0EEENS1_30default_config_static_selectorELNS0_4arch9wavefront6targetE0EEEvS12_,"axG",@progbits,_ZN7rocprim17ROCPRIM_400000_NS6detail17trampoline_kernelINS0_13select_configILj256ELj13ELNS0_17block_load_methodE3ELS4_3ELS4_3ELNS0_20block_scan_algorithmE0ELj4294967295EEENS1_25partition_config_selectorILNS1_17partition_subalgoE4EjNS0_10empty_typeEbEEZZNS1_14partition_implILS8_4ELb0ES6_15HIP_vector_typeIjLj2EENS0_17counting_iteratorIjlEEPS9_SG_NS0_5tupleIJPjSI_NS0_16reverse_iteratorISI_EEEEENSH_IJSG_SG_SG_EEES9_SI_JZNS1_25segmented_radix_sort_implINS0_14default_configELb0EPKsPsPKlPlN2at6native12_GLOBAL__N_18offset_tEEE10hipError_tPvRmT1_PNSt15iterator_traitsIS12_E10value_typeET2_T3_PNS13_IS18_E10value_typeET4_jRbjT5_S1E_jjP12ihipStream_tbEUljE_ZNSN_ISO_Lb0ESQ_SR_ST_SU_SY_EESZ_S10_S11_S12_S16_S17_S18_S1B_S1C_jS1D_jS1E_S1E_jjS1G_bEUljE0_EEESZ_S10_S11_S18_S1C_S1E_T6_T7_T9_mT8_S1G_bDpT10_ENKUlT_T0_E_clISt17integral_constantIbLb1EES1T_IbLb0EEEEDaS1P_S1Q_EUlS1P_E_NS1_11comp_targetILNS1_3genE8ELNS1_11target_archE1030ELNS1_3gpuE2ELNS1_3repE0EEENS1_30default_config_static_selectorELNS0_4arch9wavefront6targetE0EEEvS12_,comdat
.Lfunc_end966:
	.size	_ZN7rocprim17ROCPRIM_400000_NS6detail17trampoline_kernelINS0_13select_configILj256ELj13ELNS0_17block_load_methodE3ELS4_3ELS4_3ELNS0_20block_scan_algorithmE0ELj4294967295EEENS1_25partition_config_selectorILNS1_17partition_subalgoE4EjNS0_10empty_typeEbEEZZNS1_14partition_implILS8_4ELb0ES6_15HIP_vector_typeIjLj2EENS0_17counting_iteratorIjlEEPS9_SG_NS0_5tupleIJPjSI_NS0_16reverse_iteratorISI_EEEEENSH_IJSG_SG_SG_EEES9_SI_JZNS1_25segmented_radix_sort_implINS0_14default_configELb0EPKsPsPKlPlN2at6native12_GLOBAL__N_18offset_tEEE10hipError_tPvRmT1_PNSt15iterator_traitsIS12_E10value_typeET2_T3_PNS13_IS18_E10value_typeET4_jRbjT5_S1E_jjP12ihipStream_tbEUljE_ZNSN_ISO_Lb0ESQ_SR_ST_SU_SY_EESZ_S10_S11_S12_S16_S17_S18_S1B_S1C_jS1D_jS1E_S1E_jjS1G_bEUljE0_EEESZ_S10_S11_S18_S1C_S1E_T6_T7_T9_mT8_S1G_bDpT10_ENKUlT_T0_E_clISt17integral_constantIbLb1EES1T_IbLb0EEEEDaS1P_S1Q_EUlS1P_E_NS1_11comp_targetILNS1_3genE8ELNS1_11target_archE1030ELNS1_3gpuE2ELNS1_3repE0EEENS1_30default_config_static_selectorELNS0_4arch9wavefront6targetE0EEEvS12_, .Lfunc_end966-_ZN7rocprim17ROCPRIM_400000_NS6detail17trampoline_kernelINS0_13select_configILj256ELj13ELNS0_17block_load_methodE3ELS4_3ELS4_3ELNS0_20block_scan_algorithmE0ELj4294967295EEENS1_25partition_config_selectorILNS1_17partition_subalgoE4EjNS0_10empty_typeEbEEZZNS1_14partition_implILS8_4ELb0ES6_15HIP_vector_typeIjLj2EENS0_17counting_iteratorIjlEEPS9_SG_NS0_5tupleIJPjSI_NS0_16reverse_iteratorISI_EEEEENSH_IJSG_SG_SG_EEES9_SI_JZNS1_25segmented_radix_sort_implINS0_14default_configELb0EPKsPsPKlPlN2at6native12_GLOBAL__N_18offset_tEEE10hipError_tPvRmT1_PNSt15iterator_traitsIS12_E10value_typeET2_T3_PNS13_IS18_E10value_typeET4_jRbjT5_S1E_jjP12ihipStream_tbEUljE_ZNSN_ISO_Lb0ESQ_SR_ST_SU_SY_EESZ_S10_S11_S12_S16_S17_S18_S1B_S1C_jS1D_jS1E_S1E_jjS1G_bEUljE0_EEESZ_S10_S11_S18_S1C_S1E_T6_T7_T9_mT8_S1G_bDpT10_ENKUlT_T0_E_clISt17integral_constantIbLb1EES1T_IbLb0EEEEDaS1P_S1Q_EUlS1P_E_NS1_11comp_targetILNS1_3genE8ELNS1_11target_archE1030ELNS1_3gpuE2ELNS1_3repE0EEENS1_30default_config_static_selectorELNS0_4arch9wavefront6targetE0EEEvS12_
                                        ; -- End function
	.set _ZN7rocprim17ROCPRIM_400000_NS6detail17trampoline_kernelINS0_13select_configILj256ELj13ELNS0_17block_load_methodE3ELS4_3ELS4_3ELNS0_20block_scan_algorithmE0ELj4294967295EEENS1_25partition_config_selectorILNS1_17partition_subalgoE4EjNS0_10empty_typeEbEEZZNS1_14partition_implILS8_4ELb0ES6_15HIP_vector_typeIjLj2EENS0_17counting_iteratorIjlEEPS9_SG_NS0_5tupleIJPjSI_NS0_16reverse_iteratorISI_EEEEENSH_IJSG_SG_SG_EEES9_SI_JZNS1_25segmented_radix_sort_implINS0_14default_configELb0EPKsPsPKlPlN2at6native12_GLOBAL__N_18offset_tEEE10hipError_tPvRmT1_PNSt15iterator_traitsIS12_E10value_typeET2_T3_PNS13_IS18_E10value_typeET4_jRbjT5_S1E_jjP12ihipStream_tbEUljE_ZNSN_ISO_Lb0ESQ_SR_ST_SU_SY_EESZ_S10_S11_S12_S16_S17_S18_S1B_S1C_jS1D_jS1E_S1E_jjS1G_bEUljE0_EEESZ_S10_S11_S18_S1C_S1E_T6_T7_T9_mT8_S1G_bDpT10_ENKUlT_T0_E_clISt17integral_constantIbLb1EES1T_IbLb0EEEEDaS1P_S1Q_EUlS1P_E_NS1_11comp_targetILNS1_3genE8ELNS1_11target_archE1030ELNS1_3gpuE2ELNS1_3repE0EEENS1_30default_config_static_selectorELNS0_4arch9wavefront6targetE0EEEvS12_.num_vgpr, 0
	.set _ZN7rocprim17ROCPRIM_400000_NS6detail17trampoline_kernelINS0_13select_configILj256ELj13ELNS0_17block_load_methodE3ELS4_3ELS4_3ELNS0_20block_scan_algorithmE0ELj4294967295EEENS1_25partition_config_selectorILNS1_17partition_subalgoE4EjNS0_10empty_typeEbEEZZNS1_14partition_implILS8_4ELb0ES6_15HIP_vector_typeIjLj2EENS0_17counting_iteratorIjlEEPS9_SG_NS0_5tupleIJPjSI_NS0_16reverse_iteratorISI_EEEEENSH_IJSG_SG_SG_EEES9_SI_JZNS1_25segmented_radix_sort_implINS0_14default_configELb0EPKsPsPKlPlN2at6native12_GLOBAL__N_18offset_tEEE10hipError_tPvRmT1_PNSt15iterator_traitsIS12_E10value_typeET2_T3_PNS13_IS18_E10value_typeET4_jRbjT5_S1E_jjP12ihipStream_tbEUljE_ZNSN_ISO_Lb0ESQ_SR_ST_SU_SY_EESZ_S10_S11_S12_S16_S17_S18_S1B_S1C_jS1D_jS1E_S1E_jjS1G_bEUljE0_EEESZ_S10_S11_S18_S1C_S1E_T6_T7_T9_mT8_S1G_bDpT10_ENKUlT_T0_E_clISt17integral_constantIbLb1EES1T_IbLb0EEEEDaS1P_S1Q_EUlS1P_E_NS1_11comp_targetILNS1_3genE8ELNS1_11target_archE1030ELNS1_3gpuE2ELNS1_3repE0EEENS1_30default_config_static_selectorELNS0_4arch9wavefront6targetE0EEEvS12_.num_agpr, 0
	.set _ZN7rocprim17ROCPRIM_400000_NS6detail17trampoline_kernelINS0_13select_configILj256ELj13ELNS0_17block_load_methodE3ELS4_3ELS4_3ELNS0_20block_scan_algorithmE0ELj4294967295EEENS1_25partition_config_selectorILNS1_17partition_subalgoE4EjNS0_10empty_typeEbEEZZNS1_14partition_implILS8_4ELb0ES6_15HIP_vector_typeIjLj2EENS0_17counting_iteratorIjlEEPS9_SG_NS0_5tupleIJPjSI_NS0_16reverse_iteratorISI_EEEEENSH_IJSG_SG_SG_EEES9_SI_JZNS1_25segmented_radix_sort_implINS0_14default_configELb0EPKsPsPKlPlN2at6native12_GLOBAL__N_18offset_tEEE10hipError_tPvRmT1_PNSt15iterator_traitsIS12_E10value_typeET2_T3_PNS13_IS18_E10value_typeET4_jRbjT5_S1E_jjP12ihipStream_tbEUljE_ZNSN_ISO_Lb0ESQ_SR_ST_SU_SY_EESZ_S10_S11_S12_S16_S17_S18_S1B_S1C_jS1D_jS1E_S1E_jjS1G_bEUljE0_EEESZ_S10_S11_S18_S1C_S1E_T6_T7_T9_mT8_S1G_bDpT10_ENKUlT_T0_E_clISt17integral_constantIbLb1EES1T_IbLb0EEEEDaS1P_S1Q_EUlS1P_E_NS1_11comp_targetILNS1_3genE8ELNS1_11target_archE1030ELNS1_3gpuE2ELNS1_3repE0EEENS1_30default_config_static_selectorELNS0_4arch9wavefront6targetE0EEEvS12_.numbered_sgpr, 0
	.set _ZN7rocprim17ROCPRIM_400000_NS6detail17trampoline_kernelINS0_13select_configILj256ELj13ELNS0_17block_load_methodE3ELS4_3ELS4_3ELNS0_20block_scan_algorithmE0ELj4294967295EEENS1_25partition_config_selectorILNS1_17partition_subalgoE4EjNS0_10empty_typeEbEEZZNS1_14partition_implILS8_4ELb0ES6_15HIP_vector_typeIjLj2EENS0_17counting_iteratorIjlEEPS9_SG_NS0_5tupleIJPjSI_NS0_16reverse_iteratorISI_EEEEENSH_IJSG_SG_SG_EEES9_SI_JZNS1_25segmented_radix_sort_implINS0_14default_configELb0EPKsPsPKlPlN2at6native12_GLOBAL__N_18offset_tEEE10hipError_tPvRmT1_PNSt15iterator_traitsIS12_E10value_typeET2_T3_PNS13_IS18_E10value_typeET4_jRbjT5_S1E_jjP12ihipStream_tbEUljE_ZNSN_ISO_Lb0ESQ_SR_ST_SU_SY_EESZ_S10_S11_S12_S16_S17_S18_S1B_S1C_jS1D_jS1E_S1E_jjS1G_bEUljE0_EEESZ_S10_S11_S18_S1C_S1E_T6_T7_T9_mT8_S1G_bDpT10_ENKUlT_T0_E_clISt17integral_constantIbLb1EES1T_IbLb0EEEEDaS1P_S1Q_EUlS1P_E_NS1_11comp_targetILNS1_3genE8ELNS1_11target_archE1030ELNS1_3gpuE2ELNS1_3repE0EEENS1_30default_config_static_selectorELNS0_4arch9wavefront6targetE0EEEvS12_.num_named_barrier, 0
	.set _ZN7rocprim17ROCPRIM_400000_NS6detail17trampoline_kernelINS0_13select_configILj256ELj13ELNS0_17block_load_methodE3ELS4_3ELS4_3ELNS0_20block_scan_algorithmE0ELj4294967295EEENS1_25partition_config_selectorILNS1_17partition_subalgoE4EjNS0_10empty_typeEbEEZZNS1_14partition_implILS8_4ELb0ES6_15HIP_vector_typeIjLj2EENS0_17counting_iteratorIjlEEPS9_SG_NS0_5tupleIJPjSI_NS0_16reverse_iteratorISI_EEEEENSH_IJSG_SG_SG_EEES9_SI_JZNS1_25segmented_radix_sort_implINS0_14default_configELb0EPKsPsPKlPlN2at6native12_GLOBAL__N_18offset_tEEE10hipError_tPvRmT1_PNSt15iterator_traitsIS12_E10value_typeET2_T3_PNS13_IS18_E10value_typeET4_jRbjT5_S1E_jjP12ihipStream_tbEUljE_ZNSN_ISO_Lb0ESQ_SR_ST_SU_SY_EESZ_S10_S11_S12_S16_S17_S18_S1B_S1C_jS1D_jS1E_S1E_jjS1G_bEUljE0_EEESZ_S10_S11_S18_S1C_S1E_T6_T7_T9_mT8_S1G_bDpT10_ENKUlT_T0_E_clISt17integral_constantIbLb1EES1T_IbLb0EEEEDaS1P_S1Q_EUlS1P_E_NS1_11comp_targetILNS1_3genE8ELNS1_11target_archE1030ELNS1_3gpuE2ELNS1_3repE0EEENS1_30default_config_static_selectorELNS0_4arch9wavefront6targetE0EEEvS12_.private_seg_size, 0
	.set _ZN7rocprim17ROCPRIM_400000_NS6detail17trampoline_kernelINS0_13select_configILj256ELj13ELNS0_17block_load_methodE3ELS4_3ELS4_3ELNS0_20block_scan_algorithmE0ELj4294967295EEENS1_25partition_config_selectorILNS1_17partition_subalgoE4EjNS0_10empty_typeEbEEZZNS1_14partition_implILS8_4ELb0ES6_15HIP_vector_typeIjLj2EENS0_17counting_iteratorIjlEEPS9_SG_NS0_5tupleIJPjSI_NS0_16reverse_iteratorISI_EEEEENSH_IJSG_SG_SG_EEES9_SI_JZNS1_25segmented_radix_sort_implINS0_14default_configELb0EPKsPsPKlPlN2at6native12_GLOBAL__N_18offset_tEEE10hipError_tPvRmT1_PNSt15iterator_traitsIS12_E10value_typeET2_T3_PNS13_IS18_E10value_typeET4_jRbjT5_S1E_jjP12ihipStream_tbEUljE_ZNSN_ISO_Lb0ESQ_SR_ST_SU_SY_EESZ_S10_S11_S12_S16_S17_S18_S1B_S1C_jS1D_jS1E_S1E_jjS1G_bEUljE0_EEESZ_S10_S11_S18_S1C_S1E_T6_T7_T9_mT8_S1G_bDpT10_ENKUlT_T0_E_clISt17integral_constantIbLb1EES1T_IbLb0EEEEDaS1P_S1Q_EUlS1P_E_NS1_11comp_targetILNS1_3genE8ELNS1_11target_archE1030ELNS1_3gpuE2ELNS1_3repE0EEENS1_30default_config_static_selectorELNS0_4arch9wavefront6targetE0EEEvS12_.uses_vcc, 0
	.set _ZN7rocprim17ROCPRIM_400000_NS6detail17trampoline_kernelINS0_13select_configILj256ELj13ELNS0_17block_load_methodE3ELS4_3ELS4_3ELNS0_20block_scan_algorithmE0ELj4294967295EEENS1_25partition_config_selectorILNS1_17partition_subalgoE4EjNS0_10empty_typeEbEEZZNS1_14partition_implILS8_4ELb0ES6_15HIP_vector_typeIjLj2EENS0_17counting_iteratorIjlEEPS9_SG_NS0_5tupleIJPjSI_NS0_16reverse_iteratorISI_EEEEENSH_IJSG_SG_SG_EEES9_SI_JZNS1_25segmented_radix_sort_implINS0_14default_configELb0EPKsPsPKlPlN2at6native12_GLOBAL__N_18offset_tEEE10hipError_tPvRmT1_PNSt15iterator_traitsIS12_E10value_typeET2_T3_PNS13_IS18_E10value_typeET4_jRbjT5_S1E_jjP12ihipStream_tbEUljE_ZNSN_ISO_Lb0ESQ_SR_ST_SU_SY_EESZ_S10_S11_S12_S16_S17_S18_S1B_S1C_jS1D_jS1E_S1E_jjS1G_bEUljE0_EEESZ_S10_S11_S18_S1C_S1E_T6_T7_T9_mT8_S1G_bDpT10_ENKUlT_T0_E_clISt17integral_constantIbLb1EES1T_IbLb0EEEEDaS1P_S1Q_EUlS1P_E_NS1_11comp_targetILNS1_3genE8ELNS1_11target_archE1030ELNS1_3gpuE2ELNS1_3repE0EEENS1_30default_config_static_selectorELNS0_4arch9wavefront6targetE0EEEvS12_.uses_flat_scratch, 0
	.set _ZN7rocprim17ROCPRIM_400000_NS6detail17trampoline_kernelINS0_13select_configILj256ELj13ELNS0_17block_load_methodE3ELS4_3ELS4_3ELNS0_20block_scan_algorithmE0ELj4294967295EEENS1_25partition_config_selectorILNS1_17partition_subalgoE4EjNS0_10empty_typeEbEEZZNS1_14partition_implILS8_4ELb0ES6_15HIP_vector_typeIjLj2EENS0_17counting_iteratorIjlEEPS9_SG_NS0_5tupleIJPjSI_NS0_16reverse_iteratorISI_EEEEENSH_IJSG_SG_SG_EEES9_SI_JZNS1_25segmented_radix_sort_implINS0_14default_configELb0EPKsPsPKlPlN2at6native12_GLOBAL__N_18offset_tEEE10hipError_tPvRmT1_PNSt15iterator_traitsIS12_E10value_typeET2_T3_PNS13_IS18_E10value_typeET4_jRbjT5_S1E_jjP12ihipStream_tbEUljE_ZNSN_ISO_Lb0ESQ_SR_ST_SU_SY_EESZ_S10_S11_S12_S16_S17_S18_S1B_S1C_jS1D_jS1E_S1E_jjS1G_bEUljE0_EEESZ_S10_S11_S18_S1C_S1E_T6_T7_T9_mT8_S1G_bDpT10_ENKUlT_T0_E_clISt17integral_constantIbLb1EES1T_IbLb0EEEEDaS1P_S1Q_EUlS1P_E_NS1_11comp_targetILNS1_3genE8ELNS1_11target_archE1030ELNS1_3gpuE2ELNS1_3repE0EEENS1_30default_config_static_selectorELNS0_4arch9wavefront6targetE0EEEvS12_.has_dyn_sized_stack, 0
	.set _ZN7rocprim17ROCPRIM_400000_NS6detail17trampoline_kernelINS0_13select_configILj256ELj13ELNS0_17block_load_methodE3ELS4_3ELS4_3ELNS0_20block_scan_algorithmE0ELj4294967295EEENS1_25partition_config_selectorILNS1_17partition_subalgoE4EjNS0_10empty_typeEbEEZZNS1_14partition_implILS8_4ELb0ES6_15HIP_vector_typeIjLj2EENS0_17counting_iteratorIjlEEPS9_SG_NS0_5tupleIJPjSI_NS0_16reverse_iteratorISI_EEEEENSH_IJSG_SG_SG_EEES9_SI_JZNS1_25segmented_radix_sort_implINS0_14default_configELb0EPKsPsPKlPlN2at6native12_GLOBAL__N_18offset_tEEE10hipError_tPvRmT1_PNSt15iterator_traitsIS12_E10value_typeET2_T3_PNS13_IS18_E10value_typeET4_jRbjT5_S1E_jjP12ihipStream_tbEUljE_ZNSN_ISO_Lb0ESQ_SR_ST_SU_SY_EESZ_S10_S11_S12_S16_S17_S18_S1B_S1C_jS1D_jS1E_S1E_jjS1G_bEUljE0_EEESZ_S10_S11_S18_S1C_S1E_T6_T7_T9_mT8_S1G_bDpT10_ENKUlT_T0_E_clISt17integral_constantIbLb1EES1T_IbLb0EEEEDaS1P_S1Q_EUlS1P_E_NS1_11comp_targetILNS1_3genE8ELNS1_11target_archE1030ELNS1_3gpuE2ELNS1_3repE0EEENS1_30default_config_static_selectorELNS0_4arch9wavefront6targetE0EEEvS12_.has_recursion, 0
	.set _ZN7rocprim17ROCPRIM_400000_NS6detail17trampoline_kernelINS0_13select_configILj256ELj13ELNS0_17block_load_methodE3ELS4_3ELS4_3ELNS0_20block_scan_algorithmE0ELj4294967295EEENS1_25partition_config_selectorILNS1_17partition_subalgoE4EjNS0_10empty_typeEbEEZZNS1_14partition_implILS8_4ELb0ES6_15HIP_vector_typeIjLj2EENS0_17counting_iteratorIjlEEPS9_SG_NS0_5tupleIJPjSI_NS0_16reverse_iteratorISI_EEEEENSH_IJSG_SG_SG_EEES9_SI_JZNS1_25segmented_radix_sort_implINS0_14default_configELb0EPKsPsPKlPlN2at6native12_GLOBAL__N_18offset_tEEE10hipError_tPvRmT1_PNSt15iterator_traitsIS12_E10value_typeET2_T3_PNS13_IS18_E10value_typeET4_jRbjT5_S1E_jjP12ihipStream_tbEUljE_ZNSN_ISO_Lb0ESQ_SR_ST_SU_SY_EESZ_S10_S11_S12_S16_S17_S18_S1B_S1C_jS1D_jS1E_S1E_jjS1G_bEUljE0_EEESZ_S10_S11_S18_S1C_S1E_T6_T7_T9_mT8_S1G_bDpT10_ENKUlT_T0_E_clISt17integral_constantIbLb1EES1T_IbLb0EEEEDaS1P_S1Q_EUlS1P_E_NS1_11comp_targetILNS1_3genE8ELNS1_11target_archE1030ELNS1_3gpuE2ELNS1_3repE0EEENS1_30default_config_static_selectorELNS0_4arch9wavefront6targetE0EEEvS12_.has_indirect_call, 0
	.section	.AMDGPU.csdata,"",@progbits
; Kernel info:
; codeLenInByte = 4
; TotalNumSgprs: 0
; NumVgprs: 0
; ScratchSize: 0
; MemoryBound: 0
; FloatMode: 240
; IeeeMode: 1
; LDSByteSize: 0 bytes/workgroup (compile time only)
; SGPRBlocks: 0
; VGPRBlocks: 0
; NumSGPRsForWavesPerEU: 1
; NumVGPRsForWavesPerEU: 1
; Occupancy: 16
; WaveLimiterHint : 0
; COMPUTE_PGM_RSRC2:SCRATCH_EN: 0
; COMPUTE_PGM_RSRC2:USER_SGPR: 6
; COMPUTE_PGM_RSRC2:TRAP_HANDLER: 0
; COMPUTE_PGM_RSRC2:TGID_X_EN: 1
; COMPUTE_PGM_RSRC2:TGID_Y_EN: 0
; COMPUTE_PGM_RSRC2:TGID_Z_EN: 0
; COMPUTE_PGM_RSRC2:TIDIG_COMP_CNT: 0
	.section	.text._ZN7rocprim17ROCPRIM_400000_NS6detail17trampoline_kernelINS0_13select_configILj256ELj13ELNS0_17block_load_methodE3ELS4_3ELS4_3ELNS0_20block_scan_algorithmE0ELj4294967295EEENS1_25partition_config_selectorILNS1_17partition_subalgoE4EjNS0_10empty_typeEbEEZZNS1_14partition_implILS8_4ELb0ES6_15HIP_vector_typeIjLj2EENS0_17counting_iteratorIjlEEPS9_SG_NS0_5tupleIJPjSI_NS0_16reverse_iteratorISI_EEEEENSH_IJSG_SG_SG_EEES9_SI_JZNS1_25segmented_radix_sort_implINS0_14default_configELb0EPKsPsPKlPlN2at6native12_GLOBAL__N_18offset_tEEE10hipError_tPvRmT1_PNSt15iterator_traitsIS12_E10value_typeET2_T3_PNS13_IS18_E10value_typeET4_jRbjT5_S1E_jjP12ihipStream_tbEUljE_ZNSN_ISO_Lb0ESQ_SR_ST_SU_SY_EESZ_S10_S11_S12_S16_S17_S18_S1B_S1C_jS1D_jS1E_S1E_jjS1G_bEUljE0_EEESZ_S10_S11_S18_S1C_S1E_T6_T7_T9_mT8_S1G_bDpT10_ENKUlT_T0_E_clISt17integral_constantIbLb0EES1T_IbLb1EEEEDaS1P_S1Q_EUlS1P_E_NS1_11comp_targetILNS1_3genE0ELNS1_11target_archE4294967295ELNS1_3gpuE0ELNS1_3repE0EEENS1_30default_config_static_selectorELNS0_4arch9wavefront6targetE0EEEvS12_,"axG",@progbits,_ZN7rocprim17ROCPRIM_400000_NS6detail17trampoline_kernelINS0_13select_configILj256ELj13ELNS0_17block_load_methodE3ELS4_3ELS4_3ELNS0_20block_scan_algorithmE0ELj4294967295EEENS1_25partition_config_selectorILNS1_17partition_subalgoE4EjNS0_10empty_typeEbEEZZNS1_14partition_implILS8_4ELb0ES6_15HIP_vector_typeIjLj2EENS0_17counting_iteratorIjlEEPS9_SG_NS0_5tupleIJPjSI_NS0_16reverse_iteratorISI_EEEEENSH_IJSG_SG_SG_EEES9_SI_JZNS1_25segmented_radix_sort_implINS0_14default_configELb0EPKsPsPKlPlN2at6native12_GLOBAL__N_18offset_tEEE10hipError_tPvRmT1_PNSt15iterator_traitsIS12_E10value_typeET2_T3_PNS13_IS18_E10value_typeET4_jRbjT5_S1E_jjP12ihipStream_tbEUljE_ZNSN_ISO_Lb0ESQ_SR_ST_SU_SY_EESZ_S10_S11_S12_S16_S17_S18_S1B_S1C_jS1D_jS1E_S1E_jjS1G_bEUljE0_EEESZ_S10_S11_S18_S1C_S1E_T6_T7_T9_mT8_S1G_bDpT10_ENKUlT_T0_E_clISt17integral_constantIbLb0EES1T_IbLb1EEEEDaS1P_S1Q_EUlS1P_E_NS1_11comp_targetILNS1_3genE0ELNS1_11target_archE4294967295ELNS1_3gpuE0ELNS1_3repE0EEENS1_30default_config_static_selectorELNS0_4arch9wavefront6targetE0EEEvS12_,comdat
	.globl	_ZN7rocprim17ROCPRIM_400000_NS6detail17trampoline_kernelINS0_13select_configILj256ELj13ELNS0_17block_load_methodE3ELS4_3ELS4_3ELNS0_20block_scan_algorithmE0ELj4294967295EEENS1_25partition_config_selectorILNS1_17partition_subalgoE4EjNS0_10empty_typeEbEEZZNS1_14partition_implILS8_4ELb0ES6_15HIP_vector_typeIjLj2EENS0_17counting_iteratorIjlEEPS9_SG_NS0_5tupleIJPjSI_NS0_16reverse_iteratorISI_EEEEENSH_IJSG_SG_SG_EEES9_SI_JZNS1_25segmented_radix_sort_implINS0_14default_configELb0EPKsPsPKlPlN2at6native12_GLOBAL__N_18offset_tEEE10hipError_tPvRmT1_PNSt15iterator_traitsIS12_E10value_typeET2_T3_PNS13_IS18_E10value_typeET4_jRbjT5_S1E_jjP12ihipStream_tbEUljE_ZNSN_ISO_Lb0ESQ_SR_ST_SU_SY_EESZ_S10_S11_S12_S16_S17_S18_S1B_S1C_jS1D_jS1E_S1E_jjS1G_bEUljE0_EEESZ_S10_S11_S18_S1C_S1E_T6_T7_T9_mT8_S1G_bDpT10_ENKUlT_T0_E_clISt17integral_constantIbLb0EES1T_IbLb1EEEEDaS1P_S1Q_EUlS1P_E_NS1_11comp_targetILNS1_3genE0ELNS1_11target_archE4294967295ELNS1_3gpuE0ELNS1_3repE0EEENS1_30default_config_static_selectorELNS0_4arch9wavefront6targetE0EEEvS12_ ; -- Begin function _ZN7rocprim17ROCPRIM_400000_NS6detail17trampoline_kernelINS0_13select_configILj256ELj13ELNS0_17block_load_methodE3ELS4_3ELS4_3ELNS0_20block_scan_algorithmE0ELj4294967295EEENS1_25partition_config_selectorILNS1_17partition_subalgoE4EjNS0_10empty_typeEbEEZZNS1_14partition_implILS8_4ELb0ES6_15HIP_vector_typeIjLj2EENS0_17counting_iteratorIjlEEPS9_SG_NS0_5tupleIJPjSI_NS0_16reverse_iteratorISI_EEEEENSH_IJSG_SG_SG_EEES9_SI_JZNS1_25segmented_radix_sort_implINS0_14default_configELb0EPKsPsPKlPlN2at6native12_GLOBAL__N_18offset_tEEE10hipError_tPvRmT1_PNSt15iterator_traitsIS12_E10value_typeET2_T3_PNS13_IS18_E10value_typeET4_jRbjT5_S1E_jjP12ihipStream_tbEUljE_ZNSN_ISO_Lb0ESQ_SR_ST_SU_SY_EESZ_S10_S11_S12_S16_S17_S18_S1B_S1C_jS1D_jS1E_S1E_jjS1G_bEUljE0_EEESZ_S10_S11_S18_S1C_S1E_T6_T7_T9_mT8_S1G_bDpT10_ENKUlT_T0_E_clISt17integral_constantIbLb0EES1T_IbLb1EEEEDaS1P_S1Q_EUlS1P_E_NS1_11comp_targetILNS1_3genE0ELNS1_11target_archE4294967295ELNS1_3gpuE0ELNS1_3repE0EEENS1_30default_config_static_selectorELNS0_4arch9wavefront6targetE0EEEvS12_
	.p2align	8
	.type	_ZN7rocprim17ROCPRIM_400000_NS6detail17trampoline_kernelINS0_13select_configILj256ELj13ELNS0_17block_load_methodE3ELS4_3ELS4_3ELNS0_20block_scan_algorithmE0ELj4294967295EEENS1_25partition_config_selectorILNS1_17partition_subalgoE4EjNS0_10empty_typeEbEEZZNS1_14partition_implILS8_4ELb0ES6_15HIP_vector_typeIjLj2EENS0_17counting_iteratorIjlEEPS9_SG_NS0_5tupleIJPjSI_NS0_16reverse_iteratorISI_EEEEENSH_IJSG_SG_SG_EEES9_SI_JZNS1_25segmented_radix_sort_implINS0_14default_configELb0EPKsPsPKlPlN2at6native12_GLOBAL__N_18offset_tEEE10hipError_tPvRmT1_PNSt15iterator_traitsIS12_E10value_typeET2_T3_PNS13_IS18_E10value_typeET4_jRbjT5_S1E_jjP12ihipStream_tbEUljE_ZNSN_ISO_Lb0ESQ_SR_ST_SU_SY_EESZ_S10_S11_S12_S16_S17_S18_S1B_S1C_jS1D_jS1E_S1E_jjS1G_bEUljE0_EEESZ_S10_S11_S18_S1C_S1E_T6_T7_T9_mT8_S1G_bDpT10_ENKUlT_T0_E_clISt17integral_constantIbLb0EES1T_IbLb1EEEEDaS1P_S1Q_EUlS1P_E_NS1_11comp_targetILNS1_3genE0ELNS1_11target_archE4294967295ELNS1_3gpuE0ELNS1_3repE0EEENS1_30default_config_static_selectorELNS0_4arch9wavefront6targetE0EEEvS12_,@function
_ZN7rocprim17ROCPRIM_400000_NS6detail17trampoline_kernelINS0_13select_configILj256ELj13ELNS0_17block_load_methodE3ELS4_3ELS4_3ELNS0_20block_scan_algorithmE0ELj4294967295EEENS1_25partition_config_selectorILNS1_17partition_subalgoE4EjNS0_10empty_typeEbEEZZNS1_14partition_implILS8_4ELb0ES6_15HIP_vector_typeIjLj2EENS0_17counting_iteratorIjlEEPS9_SG_NS0_5tupleIJPjSI_NS0_16reverse_iteratorISI_EEEEENSH_IJSG_SG_SG_EEES9_SI_JZNS1_25segmented_radix_sort_implINS0_14default_configELb0EPKsPsPKlPlN2at6native12_GLOBAL__N_18offset_tEEE10hipError_tPvRmT1_PNSt15iterator_traitsIS12_E10value_typeET2_T3_PNS13_IS18_E10value_typeET4_jRbjT5_S1E_jjP12ihipStream_tbEUljE_ZNSN_ISO_Lb0ESQ_SR_ST_SU_SY_EESZ_S10_S11_S12_S16_S17_S18_S1B_S1C_jS1D_jS1E_S1E_jjS1G_bEUljE0_EEESZ_S10_S11_S18_S1C_S1E_T6_T7_T9_mT8_S1G_bDpT10_ENKUlT_T0_E_clISt17integral_constantIbLb0EES1T_IbLb1EEEEDaS1P_S1Q_EUlS1P_E_NS1_11comp_targetILNS1_3genE0ELNS1_11target_archE4294967295ELNS1_3gpuE0ELNS1_3repE0EEENS1_30default_config_static_selectorELNS0_4arch9wavefront6targetE0EEEvS12_: ; @_ZN7rocprim17ROCPRIM_400000_NS6detail17trampoline_kernelINS0_13select_configILj256ELj13ELNS0_17block_load_methodE3ELS4_3ELS4_3ELNS0_20block_scan_algorithmE0ELj4294967295EEENS1_25partition_config_selectorILNS1_17partition_subalgoE4EjNS0_10empty_typeEbEEZZNS1_14partition_implILS8_4ELb0ES6_15HIP_vector_typeIjLj2EENS0_17counting_iteratorIjlEEPS9_SG_NS0_5tupleIJPjSI_NS0_16reverse_iteratorISI_EEEEENSH_IJSG_SG_SG_EEES9_SI_JZNS1_25segmented_radix_sort_implINS0_14default_configELb0EPKsPsPKlPlN2at6native12_GLOBAL__N_18offset_tEEE10hipError_tPvRmT1_PNSt15iterator_traitsIS12_E10value_typeET2_T3_PNS13_IS18_E10value_typeET4_jRbjT5_S1E_jjP12ihipStream_tbEUljE_ZNSN_ISO_Lb0ESQ_SR_ST_SU_SY_EESZ_S10_S11_S12_S16_S17_S18_S1B_S1C_jS1D_jS1E_S1E_jjS1G_bEUljE0_EEESZ_S10_S11_S18_S1C_S1E_T6_T7_T9_mT8_S1G_bDpT10_ENKUlT_T0_E_clISt17integral_constantIbLb0EES1T_IbLb1EEEEDaS1P_S1Q_EUlS1P_E_NS1_11comp_targetILNS1_3genE0ELNS1_11target_archE4294967295ELNS1_3gpuE0ELNS1_3repE0EEENS1_30default_config_static_selectorELNS0_4arch9wavefront6targetE0EEEvS12_
; %bb.0:
	.section	.rodata,"a",@progbits
	.p2align	6, 0x0
	.amdhsa_kernel _ZN7rocprim17ROCPRIM_400000_NS6detail17trampoline_kernelINS0_13select_configILj256ELj13ELNS0_17block_load_methodE3ELS4_3ELS4_3ELNS0_20block_scan_algorithmE0ELj4294967295EEENS1_25partition_config_selectorILNS1_17partition_subalgoE4EjNS0_10empty_typeEbEEZZNS1_14partition_implILS8_4ELb0ES6_15HIP_vector_typeIjLj2EENS0_17counting_iteratorIjlEEPS9_SG_NS0_5tupleIJPjSI_NS0_16reverse_iteratorISI_EEEEENSH_IJSG_SG_SG_EEES9_SI_JZNS1_25segmented_radix_sort_implINS0_14default_configELb0EPKsPsPKlPlN2at6native12_GLOBAL__N_18offset_tEEE10hipError_tPvRmT1_PNSt15iterator_traitsIS12_E10value_typeET2_T3_PNS13_IS18_E10value_typeET4_jRbjT5_S1E_jjP12ihipStream_tbEUljE_ZNSN_ISO_Lb0ESQ_SR_ST_SU_SY_EESZ_S10_S11_S12_S16_S17_S18_S1B_S1C_jS1D_jS1E_S1E_jjS1G_bEUljE0_EEESZ_S10_S11_S18_S1C_S1E_T6_T7_T9_mT8_S1G_bDpT10_ENKUlT_T0_E_clISt17integral_constantIbLb0EES1T_IbLb1EEEEDaS1P_S1Q_EUlS1P_E_NS1_11comp_targetILNS1_3genE0ELNS1_11target_archE4294967295ELNS1_3gpuE0ELNS1_3repE0EEENS1_30default_config_static_selectorELNS0_4arch9wavefront6targetE0EEEvS12_
		.amdhsa_group_segment_fixed_size 0
		.amdhsa_private_segment_fixed_size 0
		.amdhsa_kernarg_size 184
		.amdhsa_user_sgpr_count 6
		.amdhsa_user_sgpr_private_segment_buffer 1
		.amdhsa_user_sgpr_dispatch_ptr 0
		.amdhsa_user_sgpr_queue_ptr 0
		.amdhsa_user_sgpr_kernarg_segment_ptr 1
		.amdhsa_user_sgpr_dispatch_id 0
		.amdhsa_user_sgpr_flat_scratch_init 0
		.amdhsa_user_sgpr_private_segment_size 0
		.amdhsa_wavefront_size32 1
		.amdhsa_uses_dynamic_stack 0
		.amdhsa_system_sgpr_private_segment_wavefront_offset 0
		.amdhsa_system_sgpr_workgroup_id_x 1
		.amdhsa_system_sgpr_workgroup_id_y 0
		.amdhsa_system_sgpr_workgroup_id_z 0
		.amdhsa_system_sgpr_workgroup_info 0
		.amdhsa_system_vgpr_workitem_id 0
		.amdhsa_next_free_vgpr 1
		.amdhsa_next_free_sgpr 1
		.amdhsa_reserve_vcc 0
		.amdhsa_reserve_flat_scratch 0
		.amdhsa_float_round_mode_32 0
		.amdhsa_float_round_mode_16_64 0
		.amdhsa_float_denorm_mode_32 3
		.amdhsa_float_denorm_mode_16_64 3
		.amdhsa_dx10_clamp 1
		.amdhsa_ieee_mode 1
		.amdhsa_fp16_overflow 0
		.amdhsa_workgroup_processor_mode 1
		.amdhsa_memory_ordered 1
		.amdhsa_forward_progress 1
		.amdhsa_shared_vgpr_count 0
		.amdhsa_exception_fp_ieee_invalid_op 0
		.amdhsa_exception_fp_denorm_src 0
		.amdhsa_exception_fp_ieee_div_zero 0
		.amdhsa_exception_fp_ieee_overflow 0
		.amdhsa_exception_fp_ieee_underflow 0
		.amdhsa_exception_fp_ieee_inexact 0
		.amdhsa_exception_int_div_zero 0
	.end_amdhsa_kernel
	.section	.text._ZN7rocprim17ROCPRIM_400000_NS6detail17trampoline_kernelINS0_13select_configILj256ELj13ELNS0_17block_load_methodE3ELS4_3ELS4_3ELNS0_20block_scan_algorithmE0ELj4294967295EEENS1_25partition_config_selectorILNS1_17partition_subalgoE4EjNS0_10empty_typeEbEEZZNS1_14partition_implILS8_4ELb0ES6_15HIP_vector_typeIjLj2EENS0_17counting_iteratorIjlEEPS9_SG_NS0_5tupleIJPjSI_NS0_16reverse_iteratorISI_EEEEENSH_IJSG_SG_SG_EEES9_SI_JZNS1_25segmented_radix_sort_implINS0_14default_configELb0EPKsPsPKlPlN2at6native12_GLOBAL__N_18offset_tEEE10hipError_tPvRmT1_PNSt15iterator_traitsIS12_E10value_typeET2_T3_PNS13_IS18_E10value_typeET4_jRbjT5_S1E_jjP12ihipStream_tbEUljE_ZNSN_ISO_Lb0ESQ_SR_ST_SU_SY_EESZ_S10_S11_S12_S16_S17_S18_S1B_S1C_jS1D_jS1E_S1E_jjS1G_bEUljE0_EEESZ_S10_S11_S18_S1C_S1E_T6_T7_T9_mT8_S1G_bDpT10_ENKUlT_T0_E_clISt17integral_constantIbLb0EES1T_IbLb1EEEEDaS1P_S1Q_EUlS1P_E_NS1_11comp_targetILNS1_3genE0ELNS1_11target_archE4294967295ELNS1_3gpuE0ELNS1_3repE0EEENS1_30default_config_static_selectorELNS0_4arch9wavefront6targetE0EEEvS12_,"axG",@progbits,_ZN7rocprim17ROCPRIM_400000_NS6detail17trampoline_kernelINS0_13select_configILj256ELj13ELNS0_17block_load_methodE3ELS4_3ELS4_3ELNS0_20block_scan_algorithmE0ELj4294967295EEENS1_25partition_config_selectorILNS1_17partition_subalgoE4EjNS0_10empty_typeEbEEZZNS1_14partition_implILS8_4ELb0ES6_15HIP_vector_typeIjLj2EENS0_17counting_iteratorIjlEEPS9_SG_NS0_5tupleIJPjSI_NS0_16reverse_iteratorISI_EEEEENSH_IJSG_SG_SG_EEES9_SI_JZNS1_25segmented_radix_sort_implINS0_14default_configELb0EPKsPsPKlPlN2at6native12_GLOBAL__N_18offset_tEEE10hipError_tPvRmT1_PNSt15iterator_traitsIS12_E10value_typeET2_T3_PNS13_IS18_E10value_typeET4_jRbjT5_S1E_jjP12ihipStream_tbEUljE_ZNSN_ISO_Lb0ESQ_SR_ST_SU_SY_EESZ_S10_S11_S12_S16_S17_S18_S1B_S1C_jS1D_jS1E_S1E_jjS1G_bEUljE0_EEESZ_S10_S11_S18_S1C_S1E_T6_T7_T9_mT8_S1G_bDpT10_ENKUlT_T0_E_clISt17integral_constantIbLb0EES1T_IbLb1EEEEDaS1P_S1Q_EUlS1P_E_NS1_11comp_targetILNS1_3genE0ELNS1_11target_archE4294967295ELNS1_3gpuE0ELNS1_3repE0EEENS1_30default_config_static_selectorELNS0_4arch9wavefront6targetE0EEEvS12_,comdat
.Lfunc_end967:
	.size	_ZN7rocprim17ROCPRIM_400000_NS6detail17trampoline_kernelINS0_13select_configILj256ELj13ELNS0_17block_load_methodE3ELS4_3ELS4_3ELNS0_20block_scan_algorithmE0ELj4294967295EEENS1_25partition_config_selectorILNS1_17partition_subalgoE4EjNS0_10empty_typeEbEEZZNS1_14partition_implILS8_4ELb0ES6_15HIP_vector_typeIjLj2EENS0_17counting_iteratorIjlEEPS9_SG_NS0_5tupleIJPjSI_NS0_16reverse_iteratorISI_EEEEENSH_IJSG_SG_SG_EEES9_SI_JZNS1_25segmented_radix_sort_implINS0_14default_configELb0EPKsPsPKlPlN2at6native12_GLOBAL__N_18offset_tEEE10hipError_tPvRmT1_PNSt15iterator_traitsIS12_E10value_typeET2_T3_PNS13_IS18_E10value_typeET4_jRbjT5_S1E_jjP12ihipStream_tbEUljE_ZNSN_ISO_Lb0ESQ_SR_ST_SU_SY_EESZ_S10_S11_S12_S16_S17_S18_S1B_S1C_jS1D_jS1E_S1E_jjS1G_bEUljE0_EEESZ_S10_S11_S18_S1C_S1E_T6_T7_T9_mT8_S1G_bDpT10_ENKUlT_T0_E_clISt17integral_constantIbLb0EES1T_IbLb1EEEEDaS1P_S1Q_EUlS1P_E_NS1_11comp_targetILNS1_3genE0ELNS1_11target_archE4294967295ELNS1_3gpuE0ELNS1_3repE0EEENS1_30default_config_static_selectorELNS0_4arch9wavefront6targetE0EEEvS12_, .Lfunc_end967-_ZN7rocprim17ROCPRIM_400000_NS6detail17trampoline_kernelINS0_13select_configILj256ELj13ELNS0_17block_load_methodE3ELS4_3ELS4_3ELNS0_20block_scan_algorithmE0ELj4294967295EEENS1_25partition_config_selectorILNS1_17partition_subalgoE4EjNS0_10empty_typeEbEEZZNS1_14partition_implILS8_4ELb0ES6_15HIP_vector_typeIjLj2EENS0_17counting_iteratorIjlEEPS9_SG_NS0_5tupleIJPjSI_NS0_16reverse_iteratorISI_EEEEENSH_IJSG_SG_SG_EEES9_SI_JZNS1_25segmented_radix_sort_implINS0_14default_configELb0EPKsPsPKlPlN2at6native12_GLOBAL__N_18offset_tEEE10hipError_tPvRmT1_PNSt15iterator_traitsIS12_E10value_typeET2_T3_PNS13_IS18_E10value_typeET4_jRbjT5_S1E_jjP12ihipStream_tbEUljE_ZNSN_ISO_Lb0ESQ_SR_ST_SU_SY_EESZ_S10_S11_S12_S16_S17_S18_S1B_S1C_jS1D_jS1E_S1E_jjS1G_bEUljE0_EEESZ_S10_S11_S18_S1C_S1E_T6_T7_T9_mT8_S1G_bDpT10_ENKUlT_T0_E_clISt17integral_constantIbLb0EES1T_IbLb1EEEEDaS1P_S1Q_EUlS1P_E_NS1_11comp_targetILNS1_3genE0ELNS1_11target_archE4294967295ELNS1_3gpuE0ELNS1_3repE0EEENS1_30default_config_static_selectorELNS0_4arch9wavefront6targetE0EEEvS12_
                                        ; -- End function
	.set _ZN7rocprim17ROCPRIM_400000_NS6detail17trampoline_kernelINS0_13select_configILj256ELj13ELNS0_17block_load_methodE3ELS4_3ELS4_3ELNS0_20block_scan_algorithmE0ELj4294967295EEENS1_25partition_config_selectorILNS1_17partition_subalgoE4EjNS0_10empty_typeEbEEZZNS1_14partition_implILS8_4ELb0ES6_15HIP_vector_typeIjLj2EENS0_17counting_iteratorIjlEEPS9_SG_NS0_5tupleIJPjSI_NS0_16reverse_iteratorISI_EEEEENSH_IJSG_SG_SG_EEES9_SI_JZNS1_25segmented_radix_sort_implINS0_14default_configELb0EPKsPsPKlPlN2at6native12_GLOBAL__N_18offset_tEEE10hipError_tPvRmT1_PNSt15iterator_traitsIS12_E10value_typeET2_T3_PNS13_IS18_E10value_typeET4_jRbjT5_S1E_jjP12ihipStream_tbEUljE_ZNSN_ISO_Lb0ESQ_SR_ST_SU_SY_EESZ_S10_S11_S12_S16_S17_S18_S1B_S1C_jS1D_jS1E_S1E_jjS1G_bEUljE0_EEESZ_S10_S11_S18_S1C_S1E_T6_T7_T9_mT8_S1G_bDpT10_ENKUlT_T0_E_clISt17integral_constantIbLb0EES1T_IbLb1EEEEDaS1P_S1Q_EUlS1P_E_NS1_11comp_targetILNS1_3genE0ELNS1_11target_archE4294967295ELNS1_3gpuE0ELNS1_3repE0EEENS1_30default_config_static_selectorELNS0_4arch9wavefront6targetE0EEEvS12_.num_vgpr, 0
	.set _ZN7rocprim17ROCPRIM_400000_NS6detail17trampoline_kernelINS0_13select_configILj256ELj13ELNS0_17block_load_methodE3ELS4_3ELS4_3ELNS0_20block_scan_algorithmE0ELj4294967295EEENS1_25partition_config_selectorILNS1_17partition_subalgoE4EjNS0_10empty_typeEbEEZZNS1_14partition_implILS8_4ELb0ES6_15HIP_vector_typeIjLj2EENS0_17counting_iteratorIjlEEPS9_SG_NS0_5tupleIJPjSI_NS0_16reverse_iteratorISI_EEEEENSH_IJSG_SG_SG_EEES9_SI_JZNS1_25segmented_radix_sort_implINS0_14default_configELb0EPKsPsPKlPlN2at6native12_GLOBAL__N_18offset_tEEE10hipError_tPvRmT1_PNSt15iterator_traitsIS12_E10value_typeET2_T3_PNS13_IS18_E10value_typeET4_jRbjT5_S1E_jjP12ihipStream_tbEUljE_ZNSN_ISO_Lb0ESQ_SR_ST_SU_SY_EESZ_S10_S11_S12_S16_S17_S18_S1B_S1C_jS1D_jS1E_S1E_jjS1G_bEUljE0_EEESZ_S10_S11_S18_S1C_S1E_T6_T7_T9_mT8_S1G_bDpT10_ENKUlT_T0_E_clISt17integral_constantIbLb0EES1T_IbLb1EEEEDaS1P_S1Q_EUlS1P_E_NS1_11comp_targetILNS1_3genE0ELNS1_11target_archE4294967295ELNS1_3gpuE0ELNS1_3repE0EEENS1_30default_config_static_selectorELNS0_4arch9wavefront6targetE0EEEvS12_.num_agpr, 0
	.set _ZN7rocprim17ROCPRIM_400000_NS6detail17trampoline_kernelINS0_13select_configILj256ELj13ELNS0_17block_load_methodE3ELS4_3ELS4_3ELNS0_20block_scan_algorithmE0ELj4294967295EEENS1_25partition_config_selectorILNS1_17partition_subalgoE4EjNS0_10empty_typeEbEEZZNS1_14partition_implILS8_4ELb0ES6_15HIP_vector_typeIjLj2EENS0_17counting_iteratorIjlEEPS9_SG_NS0_5tupleIJPjSI_NS0_16reverse_iteratorISI_EEEEENSH_IJSG_SG_SG_EEES9_SI_JZNS1_25segmented_radix_sort_implINS0_14default_configELb0EPKsPsPKlPlN2at6native12_GLOBAL__N_18offset_tEEE10hipError_tPvRmT1_PNSt15iterator_traitsIS12_E10value_typeET2_T3_PNS13_IS18_E10value_typeET4_jRbjT5_S1E_jjP12ihipStream_tbEUljE_ZNSN_ISO_Lb0ESQ_SR_ST_SU_SY_EESZ_S10_S11_S12_S16_S17_S18_S1B_S1C_jS1D_jS1E_S1E_jjS1G_bEUljE0_EEESZ_S10_S11_S18_S1C_S1E_T6_T7_T9_mT8_S1G_bDpT10_ENKUlT_T0_E_clISt17integral_constantIbLb0EES1T_IbLb1EEEEDaS1P_S1Q_EUlS1P_E_NS1_11comp_targetILNS1_3genE0ELNS1_11target_archE4294967295ELNS1_3gpuE0ELNS1_3repE0EEENS1_30default_config_static_selectorELNS0_4arch9wavefront6targetE0EEEvS12_.numbered_sgpr, 0
	.set _ZN7rocprim17ROCPRIM_400000_NS6detail17trampoline_kernelINS0_13select_configILj256ELj13ELNS0_17block_load_methodE3ELS4_3ELS4_3ELNS0_20block_scan_algorithmE0ELj4294967295EEENS1_25partition_config_selectorILNS1_17partition_subalgoE4EjNS0_10empty_typeEbEEZZNS1_14partition_implILS8_4ELb0ES6_15HIP_vector_typeIjLj2EENS0_17counting_iteratorIjlEEPS9_SG_NS0_5tupleIJPjSI_NS0_16reverse_iteratorISI_EEEEENSH_IJSG_SG_SG_EEES9_SI_JZNS1_25segmented_radix_sort_implINS0_14default_configELb0EPKsPsPKlPlN2at6native12_GLOBAL__N_18offset_tEEE10hipError_tPvRmT1_PNSt15iterator_traitsIS12_E10value_typeET2_T3_PNS13_IS18_E10value_typeET4_jRbjT5_S1E_jjP12ihipStream_tbEUljE_ZNSN_ISO_Lb0ESQ_SR_ST_SU_SY_EESZ_S10_S11_S12_S16_S17_S18_S1B_S1C_jS1D_jS1E_S1E_jjS1G_bEUljE0_EEESZ_S10_S11_S18_S1C_S1E_T6_T7_T9_mT8_S1G_bDpT10_ENKUlT_T0_E_clISt17integral_constantIbLb0EES1T_IbLb1EEEEDaS1P_S1Q_EUlS1P_E_NS1_11comp_targetILNS1_3genE0ELNS1_11target_archE4294967295ELNS1_3gpuE0ELNS1_3repE0EEENS1_30default_config_static_selectorELNS0_4arch9wavefront6targetE0EEEvS12_.num_named_barrier, 0
	.set _ZN7rocprim17ROCPRIM_400000_NS6detail17trampoline_kernelINS0_13select_configILj256ELj13ELNS0_17block_load_methodE3ELS4_3ELS4_3ELNS0_20block_scan_algorithmE0ELj4294967295EEENS1_25partition_config_selectorILNS1_17partition_subalgoE4EjNS0_10empty_typeEbEEZZNS1_14partition_implILS8_4ELb0ES6_15HIP_vector_typeIjLj2EENS0_17counting_iteratorIjlEEPS9_SG_NS0_5tupleIJPjSI_NS0_16reverse_iteratorISI_EEEEENSH_IJSG_SG_SG_EEES9_SI_JZNS1_25segmented_radix_sort_implINS0_14default_configELb0EPKsPsPKlPlN2at6native12_GLOBAL__N_18offset_tEEE10hipError_tPvRmT1_PNSt15iterator_traitsIS12_E10value_typeET2_T3_PNS13_IS18_E10value_typeET4_jRbjT5_S1E_jjP12ihipStream_tbEUljE_ZNSN_ISO_Lb0ESQ_SR_ST_SU_SY_EESZ_S10_S11_S12_S16_S17_S18_S1B_S1C_jS1D_jS1E_S1E_jjS1G_bEUljE0_EEESZ_S10_S11_S18_S1C_S1E_T6_T7_T9_mT8_S1G_bDpT10_ENKUlT_T0_E_clISt17integral_constantIbLb0EES1T_IbLb1EEEEDaS1P_S1Q_EUlS1P_E_NS1_11comp_targetILNS1_3genE0ELNS1_11target_archE4294967295ELNS1_3gpuE0ELNS1_3repE0EEENS1_30default_config_static_selectorELNS0_4arch9wavefront6targetE0EEEvS12_.private_seg_size, 0
	.set _ZN7rocprim17ROCPRIM_400000_NS6detail17trampoline_kernelINS0_13select_configILj256ELj13ELNS0_17block_load_methodE3ELS4_3ELS4_3ELNS0_20block_scan_algorithmE0ELj4294967295EEENS1_25partition_config_selectorILNS1_17partition_subalgoE4EjNS0_10empty_typeEbEEZZNS1_14partition_implILS8_4ELb0ES6_15HIP_vector_typeIjLj2EENS0_17counting_iteratorIjlEEPS9_SG_NS0_5tupleIJPjSI_NS0_16reverse_iteratorISI_EEEEENSH_IJSG_SG_SG_EEES9_SI_JZNS1_25segmented_radix_sort_implINS0_14default_configELb0EPKsPsPKlPlN2at6native12_GLOBAL__N_18offset_tEEE10hipError_tPvRmT1_PNSt15iterator_traitsIS12_E10value_typeET2_T3_PNS13_IS18_E10value_typeET4_jRbjT5_S1E_jjP12ihipStream_tbEUljE_ZNSN_ISO_Lb0ESQ_SR_ST_SU_SY_EESZ_S10_S11_S12_S16_S17_S18_S1B_S1C_jS1D_jS1E_S1E_jjS1G_bEUljE0_EEESZ_S10_S11_S18_S1C_S1E_T6_T7_T9_mT8_S1G_bDpT10_ENKUlT_T0_E_clISt17integral_constantIbLb0EES1T_IbLb1EEEEDaS1P_S1Q_EUlS1P_E_NS1_11comp_targetILNS1_3genE0ELNS1_11target_archE4294967295ELNS1_3gpuE0ELNS1_3repE0EEENS1_30default_config_static_selectorELNS0_4arch9wavefront6targetE0EEEvS12_.uses_vcc, 0
	.set _ZN7rocprim17ROCPRIM_400000_NS6detail17trampoline_kernelINS0_13select_configILj256ELj13ELNS0_17block_load_methodE3ELS4_3ELS4_3ELNS0_20block_scan_algorithmE0ELj4294967295EEENS1_25partition_config_selectorILNS1_17partition_subalgoE4EjNS0_10empty_typeEbEEZZNS1_14partition_implILS8_4ELb0ES6_15HIP_vector_typeIjLj2EENS0_17counting_iteratorIjlEEPS9_SG_NS0_5tupleIJPjSI_NS0_16reverse_iteratorISI_EEEEENSH_IJSG_SG_SG_EEES9_SI_JZNS1_25segmented_radix_sort_implINS0_14default_configELb0EPKsPsPKlPlN2at6native12_GLOBAL__N_18offset_tEEE10hipError_tPvRmT1_PNSt15iterator_traitsIS12_E10value_typeET2_T3_PNS13_IS18_E10value_typeET4_jRbjT5_S1E_jjP12ihipStream_tbEUljE_ZNSN_ISO_Lb0ESQ_SR_ST_SU_SY_EESZ_S10_S11_S12_S16_S17_S18_S1B_S1C_jS1D_jS1E_S1E_jjS1G_bEUljE0_EEESZ_S10_S11_S18_S1C_S1E_T6_T7_T9_mT8_S1G_bDpT10_ENKUlT_T0_E_clISt17integral_constantIbLb0EES1T_IbLb1EEEEDaS1P_S1Q_EUlS1P_E_NS1_11comp_targetILNS1_3genE0ELNS1_11target_archE4294967295ELNS1_3gpuE0ELNS1_3repE0EEENS1_30default_config_static_selectorELNS0_4arch9wavefront6targetE0EEEvS12_.uses_flat_scratch, 0
	.set _ZN7rocprim17ROCPRIM_400000_NS6detail17trampoline_kernelINS0_13select_configILj256ELj13ELNS0_17block_load_methodE3ELS4_3ELS4_3ELNS0_20block_scan_algorithmE0ELj4294967295EEENS1_25partition_config_selectorILNS1_17partition_subalgoE4EjNS0_10empty_typeEbEEZZNS1_14partition_implILS8_4ELb0ES6_15HIP_vector_typeIjLj2EENS0_17counting_iteratorIjlEEPS9_SG_NS0_5tupleIJPjSI_NS0_16reverse_iteratorISI_EEEEENSH_IJSG_SG_SG_EEES9_SI_JZNS1_25segmented_radix_sort_implINS0_14default_configELb0EPKsPsPKlPlN2at6native12_GLOBAL__N_18offset_tEEE10hipError_tPvRmT1_PNSt15iterator_traitsIS12_E10value_typeET2_T3_PNS13_IS18_E10value_typeET4_jRbjT5_S1E_jjP12ihipStream_tbEUljE_ZNSN_ISO_Lb0ESQ_SR_ST_SU_SY_EESZ_S10_S11_S12_S16_S17_S18_S1B_S1C_jS1D_jS1E_S1E_jjS1G_bEUljE0_EEESZ_S10_S11_S18_S1C_S1E_T6_T7_T9_mT8_S1G_bDpT10_ENKUlT_T0_E_clISt17integral_constantIbLb0EES1T_IbLb1EEEEDaS1P_S1Q_EUlS1P_E_NS1_11comp_targetILNS1_3genE0ELNS1_11target_archE4294967295ELNS1_3gpuE0ELNS1_3repE0EEENS1_30default_config_static_selectorELNS0_4arch9wavefront6targetE0EEEvS12_.has_dyn_sized_stack, 0
	.set _ZN7rocprim17ROCPRIM_400000_NS6detail17trampoline_kernelINS0_13select_configILj256ELj13ELNS0_17block_load_methodE3ELS4_3ELS4_3ELNS0_20block_scan_algorithmE0ELj4294967295EEENS1_25partition_config_selectorILNS1_17partition_subalgoE4EjNS0_10empty_typeEbEEZZNS1_14partition_implILS8_4ELb0ES6_15HIP_vector_typeIjLj2EENS0_17counting_iteratorIjlEEPS9_SG_NS0_5tupleIJPjSI_NS0_16reverse_iteratorISI_EEEEENSH_IJSG_SG_SG_EEES9_SI_JZNS1_25segmented_radix_sort_implINS0_14default_configELb0EPKsPsPKlPlN2at6native12_GLOBAL__N_18offset_tEEE10hipError_tPvRmT1_PNSt15iterator_traitsIS12_E10value_typeET2_T3_PNS13_IS18_E10value_typeET4_jRbjT5_S1E_jjP12ihipStream_tbEUljE_ZNSN_ISO_Lb0ESQ_SR_ST_SU_SY_EESZ_S10_S11_S12_S16_S17_S18_S1B_S1C_jS1D_jS1E_S1E_jjS1G_bEUljE0_EEESZ_S10_S11_S18_S1C_S1E_T6_T7_T9_mT8_S1G_bDpT10_ENKUlT_T0_E_clISt17integral_constantIbLb0EES1T_IbLb1EEEEDaS1P_S1Q_EUlS1P_E_NS1_11comp_targetILNS1_3genE0ELNS1_11target_archE4294967295ELNS1_3gpuE0ELNS1_3repE0EEENS1_30default_config_static_selectorELNS0_4arch9wavefront6targetE0EEEvS12_.has_recursion, 0
	.set _ZN7rocprim17ROCPRIM_400000_NS6detail17trampoline_kernelINS0_13select_configILj256ELj13ELNS0_17block_load_methodE3ELS4_3ELS4_3ELNS0_20block_scan_algorithmE0ELj4294967295EEENS1_25partition_config_selectorILNS1_17partition_subalgoE4EjNS0_10empty_typeEbEEZZNS1_14partition_implILS8_4ELb0ES6_15HIP_vector_typeIjLj2EENS0_17counting_iteratorIjlEEPS9_SG_NS0_5tupleIJPjSI_NS0_16reverse_iteratorISI_EEEEENSH_IJSG_SG_SG_EEES9_SI_JZNS1_25segmented_radix_sort_implINS0_14default_configELb0EPKsPsPKlPlN2at6native12_GLOBAL__N_18offset_tEEE10hipError_tPvRmT1_PNSt15iterator_traitsIS12_E10value_typeET2_T3_PNS13_IS18_E10value_typeET4_jRbjT5_S1E_jjP12ihipStream_tbEUljE_ZNSN_ISO_Lb0ESQ_SR_ST_SU_SY_EESZ_S10_S11_S12_S16_S17_S18_S1B_S1C_jS1D_jS1E_S1E_jjS1G_bEUljE0_EEESZ_S10_S11_S18_S1C_S1E_T6_T7_T9_mT8_S1G_bDpT10_ENKUlT_T0_E_clISt17integral_constantIbLb0EES1T_IbLb1EEEEDaS1P_S1Q_EUlS1P_E_NS1_11comp_targetILNS1_3genE0ELNS1_11target_archE4294967295ELNS1_3gpuE0ELNS1_3repE0EEENS1_30default_config_static_selectorELNS0_4arch9wavefront6targetE0EEEvS12_.has_indirect_call, 0
	.section	.AMDGPU.csdata,"",@progbits
; Kernel info:
; codeLenInByte = 0
; TotalNumSgprs: 0
; NumVgprs: 0
; ScratchSize: 0
; MemoryBound: 0
; FloatMode: 240
; IeeeMode: 1
; LDSByteSize: 0 bytes/workgroup (compile time only)
; SGPRBlocks: 0
; VGPRBlocks: 0
; NumSGPRsForWavesPerEU: 1
; NumVGPRsForWavesPerEU: 1
; Occupancy: 16
; WaveLimiterHint : 0
; COMPUTE_PGM_RSRC2:SCRATCH_EN: 0
; COMPUTE_PGM_RSRC2:USER_SGPR: 6
; COMPUTE_PGM_RSRC2:TRAP_HANDLER: 0
; COMPUTE_PGM_RSRC2:TGID_X_EN: 1
; COMPUTE_PGM_RSRC2:TGID_Y_EN: 0
; COMPUTE_PGM_RSRC2:TGID_Z_EN: 0
; COMPUTE_PGM_RSRC2:TIDIG_COMP_CNT: 0
	.section	.text._ZN7rocprim17ROCPRIM_400000_NS6detail17trampoline_kernelINS0_13select_configILj256ELj13ELNS0_17block_load_methodE3ELS4_3ELS4_3ELNS0_20block_scan_algorithmE0ELj4294967295EEENS1_25partition_config_selectorILNS1_17partition_subalgoE4EjNS0_10empty_typeEbEEZZNS1_14partition_implILS8_4ELb0ES6_15HIP_vector_typeIjLj2EENS0_17counting_iteratorIjlEEPS9_SG_NS0_5tupleIJPjSI_NS0_16reverse_iteratorISI_EEEEENSH_IJSG_SG_SG_EEES9_SI_JZNS1_25segmented_radix_sort_implINS0_14default_configELb0EPKsPsPKlPlN2at6native12_GLOBAL__N_18offset_tEEE10hipError_tPvRmT1_PNSt15iterator_traitsIS12_E10value_typeET2_T3_PNS13_IS18_E10value_typeET4_jRbjT5_S1E_jjP12ihipStream_tbEUljE_ZNSN_ISO_Lb0ESQ_SR_ST_SU_SY_EESZ_S10_S11_S12_S16_S17_S18_S1B_S1C_jS1D_jS1E_S1E_jjS1G_bEUljE0_EEESZ_S10_S11_S18_S1C_S1E_T6_T7_T9_mT8_S1G_bDpT10_ENKUlT_T0_E_clISt17integral_constantIbLb0EES1T_IbLb1EEEEDaS1P_S1Q_EUlS1P_E_NS1_11comp_targetILNS1_3genE5ELNS1_11target_archE942ELNS1_3gpuE9ELNS1_3repE0EEENS1_30default_config_static_selectorELNS0_4arch9wavefront6targetE0EEEvS12_,"axG",@progbits,_ZN7rocprim17ROCPRIM_400000_NS6detail17trampoline_kernelINS0_13select_configILj256ELj13ELNS0_17block_load_methodE3ELS4_3ELS4_3ELNS0_20block_scan_algorithmE0ELj4294967295EEENS1_25partition_config_selectorILNS1_17partition_subalgoE4EjNS0_10empty_typeEbEEZZNS1_14partition_implILS8_4ELb0ES6_15HIP_vector_typeIjLj2EENS0_17counting_iteratorIjlEEPS9_SG_NS0_5tupleIJPjSI_NS0_16reverse_iteratorISI_EEEEENSH_IJSG_SG_SG_EEES9_SI_JZNS1_25segmented_radix_sort_implINS0_14default_configELb0EPKsPsPKlPlN2at6native12_GLOBAL__N_18offset_tEEE10hipError_tPvRmT1_PNSt15iterator_traitsIS12_E10value_typeET2_T3_PNS13_IS18_E10value_typeET4_jRbjT5_S1E_jjP12ihipStream_tbEUljE_ZNSN_ISO_Lb0ESQ_SR_ST_SU_SY_EESZ_S10_S11_S12_S16_S17_S18_S1B_S1C_jS1D_jS1E_S1E_jjS1G_bEUljE0_EEESZ_S10_S11_S18_S1C_S1E_T6_T7_T9_mT8_S1G_bDpT10_ENKUlT_T0_E_clISt17integral_constantIbLb0EES1T_IbLb1EEEEDaS1P_S1Q_EUlS1P_E_NS1_11comp_targetILNS1_3genE5ELNS1_11target_archE942ELNS1_3gpuE9ELNS1_3repE0EEENS1_30default_config_static_selectorELNS0_4arch9wavefront6targetE0EEEvS12_,comdat
	.globl	_ZN7rocprim17ROCPRIM_400000_NS6detail17trampoline_kernelINS0_13select_configILj256ELj13ELNS0_17block_load_methodE3ELS4_3ELS4_3ELNS0_20block_scan_algorithmE0ELj4294967295EEENS1_25partition_config_selectorILNS1_17partition_subalgoE4EjNS0_10empty_typeEbEEZZNS1_14partition_implILS8_4ELb0ES6_15HIP_vector_typeIjLj2EENS0_17counting_iteratorIjlEEPS9_SG_NS0_5tupleIJPjSI_NS0_16reverse_iteratorISI_EEEEENSH_IJSG_SG_SG_EEES9_SI_JZNS1_25segmented_radix_sort_implINS0_14default_configELb0EPKsPsPKlPlN2at6native12_GLOBAL__N_18offset_tEEE10hipError_tPvRmT1_PNSt15iterator_traitsIS12_E10value_typeET2_T3_PNS13_IS18_E10value_typeET4_jRbjT5_S1E_jjP12ihipStream_tbEUljE_ZNSN_ISO_Lb0ESQ_SR_ST_SU_SY_EESZ_S10_S11_S12_S16_S17_S18_S1B_S1C_jS1D_jS1E_S1E_jjS1G_bEUljE0_EEESZ_S10_S11_S18_S1C_S1E_T6_T7_T9_mT8_S1G_bDpT10_ENKUlT_T0_E_clISt17integral_constantIbLb0EES1T_IbLb1EEEEDaS1P_S1Q_EUlS1P_E_NS1_11comp_targetILNS1_3genE5ELNS1_11target_archE942ELNS1_3gpuE9ELNS1_3repE0EEENS1_30default_config_static_selectorELNS0_4arch9wavefront6targetE0EEEvS12_ ; -- Begin function _ZN7rocprim17ROCPRIM_400000_NS6detail17trampoline_kernelINS0_13select_configILj256ELj13ELNS0_17block_load_methodE3ELS4_3ELS4_3ELNS0_20block_scan_algorithmE0ELj4294967295EEENS1_25partition_config_selectorILNS1_17partition_subalgoE4EjNS0_10empty_typeEbEEZZNS1_14partition_implILS8_4ELb0ES6_15HIP_vector_typeIjLj2EENS0_17counting_iteratorIjlEEPS9_SG_NS0_5tupleIJPjSI_NS0_16reverse_iteratorISI_EEEEENSH_IJSG_SG_SG_EEES9_SI_JZNS1_25segmented_radix_sort_implINS0_14default_configELb0EPKsPsPKlPlN2at6native12_GLOBAL__N_18offset_tEEE10hipError_tPvRmT1_PNSt15iterator_traitsIS12_E10value_typeET2_T3_PNS13_IS18_E10value_typeET4_jRbjT5_S1E_jjP12ihipStream_tbEUljE_ZNSN_ISO_Lb0ESQ_SR_ST_SU_SY_EESZ_S10_S11_S12_S16_S17_S18_S1B_S1C_jS1D_jS1E_S1E_jjS1G_bEUljE0_EEESZ_S10_S11_S18_S1C_S1E_T6_T7_T9_mT8_S1G_bDpT10_ENKUlT_T0_E_clISt17integral_constantIbLb0EES1T_IbLb1EEEEDaS1P_S1Q_EUlS1P_E_NS1_11comp_targetILNS1_3genE5ELNS1_11target_archE942ELNS1_3gpuE9ELNS1_3repE0EEENS1_30default_config_static_selectorELNS0_4arch9wavefront6targetE0EEEvS12_
	.p2align	8
	.type	_ZN7rocprim17ROCPRIM_400000_NS6detail17trampoline_kernelINS0_13select_configILj256ELj13ELNS0_17block_load_methodE3ELS4_3ELS4_3ELNS0_20block_scan_algorithmE0ELj4294967295EEENS1_25partition_config_selectorILNS1_17partition_subalgoE4EjNS0_10empty_typeEbEEZZNS1_14partition_implILS8_4ELb0ES6_15HIP_vector_typeIjLj2EENS0_17counting_iteratorIjlEEPS9_SG_NS0_5tupleIJPjSI_NS0_16reverse_iteratorISI_EEEEENSH_IJSG_SG_SG_EEES9_SI_JZNS1_25segmented_radix_sort_implINS0_14default_configELb0EPKsPsPKlPlN2at6native12_GLOBAL__N_18offset_tEEE10hipError_tPvRmT1_PNSt15iterator_traitsIS12_E10value_typeET2_T3_PNS13_IS18_E10value_typeET4_jRbjT5_S1E_jjP12ihipStream_tbEUljE_ZNSN_ISO_Lb0ESQ_SR_ST_SU_SY_EESZ_S10_S11_S12_S16_S17_S18_S1B_S1C_jS1D_jS1E_S1E_jjS1G_bEUljE0_EEESZ_S10_S11_S18_S1C_S1E_T6_T7_T9_mT8_S1G_bDpT10_ENKUlT_T0_E_clISt17integral_constantIbLb0EES1T_IbLb1EEEEDaS1P_S1Q_EUlS1P_E_NS1_11comp_targetILNS1_3genE5ELNS1_11target_archE942ELNS1_3gpuE9ELNS1_3repE0EEENS1_30default_config_static_selectorELNS0_4arch9wavefront6targetE0EEEvS12_,@function
_ZN7rocprim17ROCPRIM_400000_NS6detail17trampoline_kernelINS0_13select_configILj256ELj13ELNS0_17block_load_methodE3ELS4_3ELS4_3ELNS0_20block_scan_algorithmE0ELj4294967295EEENS1_25partition_config_selectorILNS1_17partition_subalgoE4EjNS0_10empty_typeEbEEZZNS1_14partition_implILS8_4ELb0ES6_15HIP_vector_typeIjLj2EENS0_17counting_iteratorIjlEEPS9_SG_NS0_5tupleIJPjSI_NS0_16reverse_iteratorISI_EEEEENSH_IJSG_SG_SG_EEES9_SI_JZNS1_25segmented_radix_sort_implINS0_14default_configELb0EPKsPsPKlPlN2at6native12_GLOBAL__N_18offset_tEEE10hipError_tPvRmT1_PNSt15iterator_traitsIS12_E10value_typeET2_T3_PNS13_IS18_E10value_typeET4_jRbjT5_S1E_jjP12ihipStream_tbEUljE_ZNSN_ISO_Lb0ESQ_SR_ST_SU_SY_EESZ_S10_S11_S12_S16_S17_S18_S1B_S1C_jS1D_jS1E_S1E_jjS1G_bEUljE0_EEESZ_S10_S11_S18_S1C_S1E_T6_T7_T9_mT8_S1G_bDpT10_ENKUlT_T0_E_clISt17integral_constantIbLb0EES1T_IbLb1EEEEDaS1P_S1Q_EUlS1P_E_NS1_11comp_targetILNS1_3genE5ELNS1_11target_archE942ELNS1_3gpuE9ELNS1_3repE0EEENS1_30default_config_static_selectorELNS0_4arch9wavefront6targetE0EEEvS12_: ; @_ZN7rocprim17ROCPRIM_400000_NS6detail17trampoline_kernelINS0_13select_configILj256ELj13ELNS0_17block_load_methodE3ELS4_3ELS4_3ELNS0_20block_scan_algorithmE0ELj4294967295EEENS1_25partition_config_selectorILNS1_17partition_subalgoE4EjNS0_10empty_typeEbEEZZNS1_14partition_implILS8_4ELb0ES6_15HIP_vector_typeIjLj2EENS0_17counting_iteratorIjlEEPS9_SG_NS0_5tupleIJPjSI_NS0_16reverse_iteratorISI_EEEEENSH_IJSG_SG_SG_EEES9_SI_JZNS1_25segmented_radix_sort_implINS0_14default_configELb0EPKsPsPKlPlN2at6native12_GLOBAL__N_18offset_tEEE10hipError_tPvRmT1_PNSt15iterator_traitsIS12_E10value_typeET2_T3_PNS13_IS18_E10value_typeET4_jRbjT5_S1E_jjP12ihipStream_tbEUljE_ZNSN_ISO_Lb0ESQ_SR_ST_SU_SY_EESZ_S10_S11_S12_S16_S17_S18_S1B_S1C_jS1D_jS1E_S1E_jjS1G_bEUljE0_EEESZ_S10_S11_S18_S1C_S1E_T6_T7_T9_mT8_S1G_bDpT10_ENKUlT_T0_E_clISt17integral_constantIbLb0EES1T_IbLb1EEEEDaS1P_S1Q_EUlS1P_E_NS1_11comp_targetILNS1_3genE5ELNS1_11target_archE942ELNS1_3gpuE9ELNS1_3repE0EEENS1_30default_config_static_selectorELNS0_4arch9wavefront6targetE0EEEvS12_
; %bb.0:
	.section	.rodata,"a",@progbits
	.p2align	6, 0x0
	.amdhsa_kernel _ZN7rocprim17ROCPRIM_400000_NS6detail17trampoline_kernelINS0_13select_configILj256ELj13ELNS0_17block_load_methodE3ELS4_3ELS4_3ELNS0_20block_scan_algorithmE0ELj4294967295EEENS1_25partition_config_selectorILNS1_17partition_subalgoE4EjNS0_10empty_typeEbEEZZNS1_14partition_implILS8_4ELb0ES6_15HIP_vector_typeIjLj2EENS0_17counting_iteratorIjlEEPS9_SG_NS0_5tupleIJPjSI_NS0_16reverse_iteratorISI_EEEEENSH_IJSG_SG_SG_EEES9_SI_JZNS1_25segmented_radix_sort_implINS0_14default_configELb0EPKsPsPKlPlN2at6native12_GLOBAL__N_18offset_tEEE10hipError_tPvRmT1_PNSt15iterator_traitsIS12_E10value_typeET2_T3_PNS13_IS18_E10value_typeET4_jRbjT5_S1E_jjP12ihipStream_tbEUljE_ZNSN_ISO_Lb0ESQ_SR_ST_SU_SY_EESZ_S10_S11_S12_S16_S17_S18_S1B_S1C_jS1D_jS1E_S1E_jjS1G_bEUljE0_EEESZ_S10_S11_S18_S1C_S1E_T6_T7_T9_mT8_S1G_bDpT10_ENKUlT_T0_E_clISt17integral_constantIbLb0EES1T_IbLb1EEEEDaS1P_S1Q_EUlS1P_E_NS1_11comp_targetILNS1_3genE5ELNS1_11target_archE942ELNS1_3gpuE9ELNS1_3repE0EEENS1_30default_config_static_selectorELNS0_4arch9wavefront6targetE0EEEvS12_
		.amdhsa_group_segment_fixed_size 0
		.amdhsa_private_segment_fixed_size 0
		.amdhsa_kernarg_size 184
		.amdhsa_user_sgpr_count 6
		.amdhsa_user_sgpr_private_segment_buffer 1
		.amdhsa_user_sgpr_dispatch_ptr 0
		.amdhsa_user_sgpr_queue_ptr 0
		.amdhsa_user_sgpr_kernarg_segment_ptr 1
		.amdhsa_user_sgpr_dispatch_id 0
		.amdhsa_user_sgpr_flat_scratch_init 0
		.amdhsa_user_sgpr_private_segment_size 0
		.amdhsa_wavefront_size32 1
		.amdhsa_uses_dynamic_stack 0
		.amdhsa_system_sgpr_private_segment_wavefront_offset 0
		.amdhsa_system_sgpr_workgroup_id_x 1
		.amdhsa_system_sgpr_workgroup_id_y 0
		.amdhsa_system_sgpr_workgroup_id_z 0
		.amdhsa_system_sgpr_workgroup_info 0
		.amdhsa_system_vgpr_workitem_id 0
		.amdhsa_next_free_vgpr 1
		.amdhsa_next_free_sgpr 1
		.amdhsa_reserve_vcc 0
		.amdhsa_reserve_flat_scratch 0
		.amdhsa_float_round_mode_32 0
		.amdhsa_float_round_mode_16_64 0
		.amdhsa_float_denorm_mode_32 3
		.amdhsa_float_denorm_mode_16_64 3
		.amdhsa_dx10_clamp 1
		.amdhsa_ieee_mode 1
		.amdhsa_fp16_overflow 0
		.amdhsa_workgroup_processor_mode 1
		.amdhsa_memory_ordered 1
		.amdhsa_forward_progress 1
		.amdhsa_shared_vgpr_count 0
		.amdhsa_exception_fp_ieee_invalid_op 0
		.amdhsa_exception_fp_denorm_src 0
		.amdhsa_exception_fp_ieee_div_zero 0
		.amdhsa_exception_fp_ieee_overflow 0
		.amdhsa_exception_fp_ieee_underflow 0
		.amdhsa_exception_fp_ieee_inexact 0
		.amdhsa_exception_int_div_zero 0
	.end_amdhsa_kernel
	.section	.text._ZN7rocprim17ROCPRIM_400000_NS6detail17trampoline_kernelINS0_13select_configILj256ELj13ELNS0_17block_load_methodE3ELS4_3ELS4_3ELNS0_20block_scan_algorithmE0ELj4294967295EEENS1_25partition_config_selectorILNS1_17partition_subalgoE4EjNS0_10empty_typeEbEEZZNS1_14partition_implILS8_4ELb0ES6_15HIP_vector_typeIjLj2EENS0_17counting_iteratorIjlEEPS9_SG_NS0_5tupleIJPjSI_NS0_16reverse_iteratorISI_EEEEENSH_IJSG_SG_SG_EEES9_SI_JZNS1_25segmented_radix_sort_implINS0_14default_configELb0EPKsPsPKlPlN2at6native12_GLOBAL__N_18offset_tEEE10hipError_tPvRmT1_PNSt15iterator_traitsIS12_E10value_typeET2_T3_PNS13_IS18_E10value_typeET4_jRbjT5_S1E_jjP12ihipStream_tbEUljE_ZNSN_ISO_Lb0ESQ_SR_ST_SU_SY_EESZ_S10_S11_S12_S16_S17_S18_S1B_S1C_jS1D_jS1E_S1E_jjS1G_bEUljE0_EEESZ_S10_S11_S18_S1C_S1E_T6_T7_T9_mT8_S1G_bDpT10_ENKUlT_T0_E_clISt17integral_constantIbLb0EES1T_IbLb1EEEEDaS1P_S1Q_EUlS1P_E_NS1_11comp_targetILNS1_3genE5ELNS1_11target_archE942ELNS1_3gpuE9ELNS1_3repE0EEENS1_30default_config_static_selectorELNS0_4arch9wavefront6targetE0EEEvS12_,"axG",@progbits,_ZN7rocprim17ROCPRIM_400000_NS6detail17trampoline_kernelINS0_13select_configILj256ELj13ELNS0_17block_load_methodE3ELS4_3ELS4_3ELNS0_20block_scan_algorithmE0ELj4294967295EEENS1_25partition_config_selectorILNS1_17partition_subalgoE4EjNS0_10empty_typeEbEEZZNS1_14partition_implILS8_4ELb0ES6_15HIP_vector_typeIjLj2EENS0_17counting_iteratorIjlEEPS9_SG_NS0_5tupleIJPjSI_NS0_16reverse_iteratorISI_EEEEENSH_IJSG_SG_SG_EEES9_SI_JZNS1_25segmented_radix_sort_implINS0_14default_configELb0EPKsPsPKlPlN2at6native12_GLOBAL__N_18offset_tEEE10hipError_tPvRmT1_PNSt15iterator_traitsIS12_E10value_typeET2_T3_PNS13_IS18_E10value_typeET4_jRbjT5_S1E_jjP12ihipStream_tbEUljE_ZNSN_ISO_Lb0ESQ_SR_ST_SU_SY_EESZ_S10_S11_S12_S16_S17_S18_S1B_S1C_jS1D_jS1E_S1E_jjS1G_bEUljE0_EEESZ_S10_S11_S18_S1C_S1E_T6_T7_T9_mT8_S1G_bDpT10_ENKUlT_T0_E_clISt17integral_constantIbLb0EES1T_IbLb1EEEEDaS1P_S1Q_EUlS1P_E_NS1_11comp_targetILNS1_3genE5ELNS1_11target_archE942ELNS1_3gpuE9ELNS1_3repE0EEENS1_30default_config_static_selectorELNS0_4arch9wavefront6targetE0EEEvS12_,comdat
.Lfunc_end968:
	.size	_ZN7rocprim17ROCPRIM_400000_NS6detail17trampoline_kernelINS0_13select_configILj256ELj13ELNS0_17block_load_methodE3ELS4_3ELS4_3ELNS0_20block_scan_algorithmE0ELj4294967295EEENS1_25partition_config_selectorILNS1_17partition_subalgoE4EjNS0_10empty_typeEbEEZZNS1_14partition_implILS8_4ELb0ES6_15HIP_vector_typeIjLj2EENS0_17counting_iteratorIjlEEPS9_SG_NS0_5tupleIJPjSI_NS0_16reverse_iteratorISI_EEEEENSH_IJSG_SG_SG_EEES9_SI_JZNS1_25segmented_radix_sort_implINS0_14default_configELb0EPKsPsPKlPlN2at6native12_GLOBAL__N_18offset_tEEE10hipError_tPvRmT1_PNSt15iterator_traitsIS12_E10value_typeET2_T3_PNS13_IS18_E10value_typeET4_jRbjT5_S1E_jjP12ihipStream_tbEUljE_ZNSN_ISO_Lb0ESQ_SR_ST_SU_SY_EESZ_S10_S11_S12_S16_S17_S18_S1B_S1C_jS1D_jS1E_S1E_jjS1G_bEUljE0_EEESZ_S10_S11_S18_S1C_S1E_T6_T7_T9_mT8_S1G_bDpT10_ENKUlT_T0_E_clISt17integral_constantIbLb0EES1T_IbLb1EEEEDaS1P_S1Q_EUlS1P_E_NS1_11comp_targetILNS1_3genE5ELNS1_11target_archE942ELNS1_3gpuE9ELNS1_3repE0EEENS1_30default_config_static_selectorELNS0_4arch9wavefront6targetE0EEEvS12_, .Lfunc_end968-_ZN7rocprim17ROCPRIM_400000_NS6detail17trampoline_kernelINS0_13select_configILj256ELj13ELNS0_17block_load_methodE3ELS4_3ELS4_3ELNS0_20block_scan_algorithmE0ELj4294967295EEENS1_25partition_config_selectorILNS1_17partition_subalgoE4EjNS0_10empty_typeEbEEZZNS1_14partition_implILS8_4ELb0ES6_15HIP_vector_typeIjLj2EENS0_17counting_iteratorIjlEEPS9_SG_NS0_5tupleIJPjSI_NS0_16reverse_iteratorISI_EEEEENSH_IJSG_SG_SG_EEES9_SI_JZNS1_25segmented_radix_sort_implINS0_14default_configELb0EPKsPsPKlPlN2at6native12_GLOBAL__N_18offset_tEEE10hipError_tPvRmT1_PNSt15iterator_traitsIS12_E10value_typeET2_T3_PNS13_IS18_E10value_typeET4_jRbjT5_S1E_jjP12ihipStream_tbEUljE_ZNSN_ISO_Lb0ESQ_SR_ST_SU_SY_EESZ_S10_S11_S12_S16_S17_S18_S1B_S1C_jS1D_jS1E_S1E_jjS1G_bEUljE0_EEESZ_S10_S11_S18_S1C_S1E_T6_T7_T9_mT8_S1G_bDpT10_ENKUlT_T0_E_clISt17integral_constantIbLb0EES1T_IbLb1EEEEDaS1P_S1Q_EUlS1P_E_NS1_11comp_targetILNS1_3genE5ELNS1_11target_archE942ELNS1_3gpuE9ELNS1_3repE0EEENS1_30default_config_static_selectorELNS0_4arch9wavefront6targetE0EEEvS12_
                                        ; -- End function
	.set _ZN7rocprim17ROCPRIM_400000_NS6detail17trampoline_kernelINS0_13select_configILj256ELj13ELNS0_17block_load_methodE3ELS4_3ELS4_3ELNS0_20block_scan_algorithmE0ELj4294967295EEENS1_25partition_config_selectorILNS1_17partition_subalgoE4EjNS0_10empty_typeEbEEZZNS1_14partition_implILS8_4ELb0ES6_15HIP_vector_typeIjLj2EENS0_17counting_iteratorIjlEEPS9_SG_NS0_5tupleIJPjSI_NS0_16reverse_iteratorISI_EEEEENSH_IJSG_SG_SG_EEES9_SI_JZNS1_25segmented_radix_sort_implINS0_14default_configELb0EPKsPsPKlPlN2at6native12_GLOBAL__N_18offset_tEEE10hipError_tPvRmT1_PNSt15iterator_traitsIS12_E10value_typeET2_T3_PNS13_IS18_E10value_typeET4_jRbjT5_S1E_jjP12ihipStream_tbEUljE_ZNSN_ISO_Lb0ESQ_SR_ST_SU_SY_EESZ_S10_S11_S12_S16_S17_S18_S1B_S1C_jS1D_jS1E_S1E_jjS1G_bEUljE0_EEESZ_S10_S11_S18_S1C_S1E_T6_T7_T9_mT8_S1G_bDpT10_ENKUlT_T0_E_clISt17integral_constantIbLb0EES1T_IbLb1EEEEDaS1P_S1Q_EUlS1P_E_NS1_11comp_targetILNS1_3genE5ELNS1_11target_archE942ELNS1_3gpuE9ELNS1_3repE0EEENS1_30default_config_static_selectorELNS0_4arch9wavefront6targetE0EEEvS12_.num_vgpr, 0
	.set _ZN7rocprim17ROCPRIM_400000_NS6detail17trampoline_kernelINS0_13select_configILj256ELj13ELNS0_17block_load_methodE3ELS4_3ELS4_3ELNS0_20block_scan_algorithmE0ELj4294967295EEENS1_25partition_config_selectorILNS1_17partition_subalgoE4EjNS0_10empty_typeEbEEZZNS1_14partition_implILS8_4ELb0ES6_15HIP_vector_typeIjLj2EENS0_17counting_iteratorIjlEEPS9_SG_NS0_5tupleIJPjSI_NS0_16reverse_iteratorISI_EEEEENSH_IJSG_SG_SG_EEES9_SI_JZNS1_25segmented_radix_sort_implINS0_14default_configELb0EPKsPsPKlPlN2at6native12_GLOBAL__N_18offset_tEEE10hipError_tPvRmT1_PNSt15iterator_traitsIS12_E10value_typeET2_T3_PNS13_IS18_E10value_typeET4_jRbjT5_S1E_jjP12ihipStream_tbEUljE_ZNSN_ISO_Lb0ESQ_SR_ST_SU_SY_EESZ_S10_S11_S12_S16_S17_S18_S1B_S1C_jS1D_jS1E_S1E_jjS1G_bEUljE0_EEESZ_S10_S11_S18_S1C_S1E_T6_T7_T9_mT8_S1G_bDpT10_ENKUlT_T0_E_clISt17integral_constantIbLb0EES1T_IbLb1EEEEDaS1P_S1Q_EUlS1P_E_NS1_11comp_targetILNS1_3genE5ELNS1_11target_archE942ELNS1_3gpuE9ELNS1_3repE0EEENS1_30default_config_static_selectorELNS0_4arch9wavefront6targetE0EEEvS12_.num_agpr, 0
	.set _ZN7rocprim17ROCPRIM_400000_NS6detail17trampoline_kernelINS0_13select_configILj256ELj13ELNS0_17block_load_methodE3ELS4_3ELS4_3ELNS0_20block_scan_algorithmE0ELj4294967295EEENS1_25partition_config_selectorILNS1_17partition_subalgoE4EjNS0_10empty_typeEbEEZZNS1_14partition_implILS8_4ELb0ES6_15HIP_vector_typeIjLj2EENS0_17counting_iteratorIjlEEPS9_SG_NS0_5tupleIJPjSI_NS0_16reverse_iteratorISI_EEEEENSH_IJSG_SG_SG_EEES9_SI_JZNS1_25segmented_radix_sort_implINS0_14default_configELb0EPKsPsPKlPlN2at6native12_GLOBAL__N_18offset_tEEE10hipError_tPvRmT1_PNSt15iterator_traitsIS12_E10value_typeET2_T3_PNS13_IS18_E10value_typeET4_jRbjT5_S1E_jjP12ihipStream_tbEUljE_ZNSN_ISO_Lb0ESQ_SR_ST_SU_SY_EESZ_S10_S11_S12_S16_S17_S18_S1B_S1C_jS1D_jS1E_S1E_jjS1G_bEUljE0_EEESZ_S10_S11_S18_S1C_S1E_T6_T7_T9_mT8_S1G_bDpT10_ENKUlT_T0_E_clISt17integral_constantIbLb0EES1T_IbLb1EEEEDaS1P_S1Q_EUlS1P_E_NS1_11comp_targetILNS1_3genE5ELNS1_11target_archE942ELNS1_3gpuE9ELNS1_3repE0EEENS1_30default_config_static_selectorELNS0_4arch9wavefront6targetE0EEEvS12_.numbered_sgpr, 0
	.set _ZN7rocprim17ROCPRIM_400000_NS6detail17trampoline_kernelINS0_13select_configILj256ELj13ELNS0_17block_load_methodE3ELS4_3ELS4_3ELNS0_20block_scan_algorithmE0ELj4294967295EEENS1_25partition_config_selectorILNS1_17partition_subalgoE4EjNS0_10empty_typeEbEEZZNS1_14partition_implILS8_4ELb0ES6_15HIP_vector_typeIjLj2EENS0_17counting_iteratorIjlEEPS9_SG_NS0_5tupleIJPjSI_NS0_16reverse_iteratorISI_EEEEENSH_IJSG_SG_SG_EEES9_SI_JZNS1_25segmented_radix_sort_implINS0_14default_configELb0EPKsPsPKlPlN2at6native12_GLOBAL__N_18offset_tEEE10hipError_tPvRmT1_PNSt15iterator_traitsIS12_E10value_typeET2_T3_PNS13_IS18_E10value_typeET4_jRbjT5_S1E_jjP12ihipStream_tbEUljE_ZNSN_ISO_Lb0ESQ_SR_ST_SU_SY_EESZ_S10_S11_S12_S16_S17_S18_S1B_S1C_jS1D_jS1E_S1E_jjS1G_bEUljE0_EEESZ_S10_S11_S18_S1C_S1E_T6_T7_T9_mT8_S1G_bDpT10_ENKUlT_T0_E_clISt17integral_constantIbLb0EES1T_IbLb1EEEEDaS1P_S1Q_EUlS1P_E_NS1_11comp_targetILNS1_3genE5ELNS1_11target_archE942ELNS1_3gpuE9ELNS1_3repE0EEENS1_30default_config_static_selectorELNS0_4arch9wavefront6targetE0EEEvS12_.num_named_barrier, 0
	.set _ZN7rocprim17ROCPRIM_400000_NS6detail17trampoline_kernelINS0_13select_configILj256ELj13ELNS0_17block_load_methodE3ELS4_3ELS4_3ELNS0_20block_scan_algorithmE0ELj4294967295EEENS1_25partition_config_selectorILNS1_17partition_subalgoE4EjNS0_10empty_typeEbEEZZNS1_14partition_implILS8_4ELb0ES6_15HIP_vector_typeIjLj2EENS0_17counting_iteratorIjlEEPS9_SG_NS0_5tupleIJPjSI_NS0_16reverse_iteratorISI_EEEEENSH_IJSG_SG_SG_EEES9_SI_JZNS1_25segmented_radix_sort_implINS0_14default_configELb0EPKsPsPKlPlN2at6native12_GLOBAL__N_18offset_tEEE10hipError_tPvRmT1_PNSt15iterator_traitsIS12_E10value_typeET2_T3_PNS13_IS18_E10value_typeET4_jRbjT5_S1E_jjP12ihipStream_tbEUljE_ZNSN_ISO_Lb0ESQ_SR_ST_SU_SY_EESZ_S10_S11_S12_S16_S17_S18_S1B_S1C_jS1D_jS1E_S1E_jjS1G_bEUljE0_EEESZ_S10_S11_S18_S1C_S1E_T6_T7_T9_mT8_S1G_bDpT10_ENKUlT_T0_E_clISt17integral_constantIbLb0EES1T_IbLb1EEEEDaS1P_S1Q_EUlS1P_E_NS1_11comp_targetILNS1_3genE5ELNS1_11target_archE942ELNS1_3gpuE9ELNS1_3repE0EEENS1_30default_config_static_selectorELNS0_4arch9wavefront6targetE0EEEvS12_.private_seg_size, 0
	.set _ZN7rocprim17ROCPRIM_400000_NS6detail17trampoline_kernelINS0_13select_configILj256ELj13ELNS0_17block_load_methodE3ELS4_3ELS4_3ELNS0_20block_scan_algorithmE0ELj4294967295EEENS1_25partition_config_selectorILNS1_17partition_subalgoE4EjNS0_10empty_typeEbEEZZNS1_14partition_implILS8_4ELb0ES6_15HIP_vector_typeIjLj2EENS0_17counting_iteratorIjlEEPS9_SG_NS0_5tupleIJPjSI_NS0_16reverse_iteratorISI_EEEEENSH_IJSG_SG_SG_EEES9_SI_JZNS1_25segmented_radix_sort_implINS0_14default_configELb0EPKsPsPKlPlN2at6native12_GLOBAL__N_18offset_tEEE10hipError_tPvRmT1_PNSt15iterator_traitsIS12_E10value_typeET2_T3_PNS13_IS18_E10value_typeET4_jRbjT5_S1E_jjP12ihipStream_tbEUljE_ZNSN_ISO_Lb0ESQ_SR_ST_SU_SY_EESZ_S10_S11_S12_S16_S17_S18_S1B_S1C_jS1D_jS1E_S1E_jjS1G_bEUljE0_EEESZ_S10_S11_S18_S1C_S1E_T6_T7_T9_mT8_S1G_bDpT10_ENKUlT_T0_E_clISt17integral_constantIbLb0EES1T_IbLb1EEEEDaS1P_S1Q_EUlS1P_E_NS1_11comp_targetILNS1_3genE5ELNS1_11target_archE942ELNS1_3gpuE9ELNS1_3repE0EEENS1_30default_config_static_selectorELNS0_4arch9wavefront6targetE0EEEvS12_.uses_vcc, 0
	.set _ZN7rocprim17ROCPRIM_400000_NS6detail17trampoline_kernelINS0_13select_configILj256ELj13ELNS0_17block_load_methodE3ELS4_3ELS4_3ELNS0_20block_scan_algorithmE0ELj4294967295EEENS1_25partition_config_selectorILNS1_17partition_subalgoE4EjNS0_10empty_typeEbEEZZNS1_14partition_implILS8_4ELb0ES6_15HIP_vector_typeIjLj2EENS0_17counting_iteratorIjlEEPS9_SG_NS0_5tupleIJPjSI_NS0_16reverse_iteratorISI_EEEEENSH_IJSG_SG_SG_EEES9_SI_JZNS1_25segmented_radix_sort_implINS0_14default_configELb0EPKsPsPKlPlN2at6native12_GLOBAL__N_18offset_tEEE10hipError_tPvRmT1_PNSt15iterator_traitsIS12_E10value_typeET2_T3_PNS13_IS18_E10value_typeET4_jRbjT5_S1E_jjP12ihipStream_tbEUljE_ZNSN_ISO_Lb0ESQ_SR_ST_SU_SY_EESZ_S10_S11_S12_S16_S17_S18_S1B_S1C_jS1D_jS1E_S1E_jjS1G_bEUljE0_EEESZ_S10_S11_S18_S1C_S1E_T6_T7_T9_mT8_S1G_bDpT10_ENKUlT_T0_E_clISt17integral_constantIbLb0EES1T_IbLb1EEEEDaS1P_S1Q_EUlS1P_E_NS1_11comp_targetILNS1_3genE5ELNS1_11target_archE942ELNS1_3gpuE9ELNS1_3repE0EEENS1_30default_config_static_selectorELNS0_4arch9wavefront6targetE0EEEvS12_.uses_flat_scratch, 0
	.set _ZN7rocprim17ROCPRIM_400000_NS6detail17trampoline_kernelINS0_13select_configILj256ELj13ELNS0_17block_load_methodE3ELS4_3ELS4_3ELNS0_20block_scan_algorithmE0ELj4294967295EEENS1_25partition_config_selectorILNS1_17partition_subalgoE4EjNS0_10empty_typeEbEEZZNS1_14partition_implILS8_4ELb0ES6_15HIP_vector_typeIjLj2EENS0_17counting_iteratorIjlEEPS9_SG_NS0_5tupleIJPjSI_NS0_16reverse_iteratorISI_EEEEENSH_IJSG_SG_SG_EEES9_SI_JZNS1_25segmented_radix_sort_implINS0_14default_configELb0EPKsPsPKlPlN2at6native12_GLOBAL__N_18offset_tEEE10hipError_tPvRmT1_PNSt15iterator_traitsIS12_E10value_typeET2_T3_PNS13_IS18_E10value_typeET4_jRbjT5_S1E_jjP12ihipStream_tbEUljE_ZNSN_ISO_Lb0ESQ_SR_ST_SU_SY_EESZ_S10_S11_S12_S16_S17_S18_S1B_S1C_jS1D_jS1E_S1E_jjS1G_bEUljE0_EEESZ_S10_S11_S18_S1C_S1E_T6_T7_T9_mT8_S1G_bDpT10_ENKUlT_T0_E_clISt17integral_constantIbLb0EES1T_IbLb1EEEEDaS1P_S1Q_EUlS1P_E_NS1_11comp_targetILNS1_3genE5ELNS1_11target_archE942ELNS1_3gpuE9ELNS1_3repE0EEENS1_30default_config_static_selectorELNS0_4arch9wavefront6targetE0EEEvS12_.has_dyn_sized_stack, 0
	.set _ZN7rocprim17ROCPRIM_400000_NS6detail17trampoline_kernelINS0_13select_configILj256ELj13ELNS0_17block_load_methodE3ELS4_3ELS4_3ELNS0_20block_scan_algorithmE0ELj4294967295EEENS1_25partition_config_selectorILNS1_17partition_subalgoE4EjNS0_10empty_typeEbEEZZNS1_14partition_implILS8_4ELb0ES6_15HIP_vector_typeIjLj2EENS0_17counting_iteratorIjlEEPS9_SG_NS0_5tupleIJPjSI_NS0_16reverse_iteratorISI_EEEEENSH_IJSG_SG_SG_EEES9_SI_JZNS1_25segmented_radix_sort_implINS0_14default_configELb0EPKsPsPKlPlN2at6native12_GLOBAL__N_18offset_tEEE10hipError_tPvRmT1_PNSt15iterator_traitsIS12_E10value_typeET2_T3_PNS13_IS18_E10value_typeET4_jRbjT5_S1E_jjP12ihipStream_tbEUljE_ZNSN_ISO_Lb0ESQ_SR_ST_SU_SY_EESZ_S10_S11_S12_S16_S17_S18_S1B_S1C_jS1D_jS1E_S1E_jjS1G_bEUljE0_EEESZ_S10_S11_S18_S1C_S1E_T6_T7_T9_mT8_S1G_bDpT10_ENKUlT_T0_E_clISt17integral_constantIbLb0EES1T_IbLb1EEEEDaS1P_S1Q_EUlS1P_E_NS1_11comp_targetILNS1_3genE5ELNS1_11target_archE942ELNS1_3gpuE9ELNS1_3repE0EEENS1_30default_config_static_selectorELNS0_4arch9wavefront6targetE0EEEvS12_.has_recursion, 0
	.set _ZN7rocprim17ROCPRIM_400000_NS6detail17trampoline_kernelINS0_13select_configILj256ELj13ELNS0_17block_load_methodE3ELS4_3ELS4_3ELNS0_20block_scan_algorithmE0ELj4294967295EEENS1_25partition_config_selectorILNS1_17partition_subalgoE4EjNS0_10empty_typeEbEEZZNS1_14partition_implILS8_4ELb0ES6_15HIP_vector_typeIjLj2EENS0_17counting_iteratorIjlEEPS9_SG_NS0_5tupleIJPjSI_NS0_16reverse_iteratorISI_EEEEENSH_IJSG_SG_SG_EEES9_SI_JZNS1_25segmented_radix_sort_implINS0_14default_configELb0EPKsPsPKlPlN2at6native12_GLOBAL__N_18offset_tEEE10hipError_tPvRmT1_PNSt15iterator_traitsIS12_E10value_typeET2_T3_PNS13_IS18_E10value_typeET4_jRbjT5_S1E_jjP12ihipStream_tbEUljE_ZNSN_ISO_Lb0ESQ_SR_ST_SU_SY_EESZ_S10_S11_S12_S16_S17_S18_S1B_S1C_jS1D_jS1E_S1E_jjS1G_bEUljE0_EEESZ_S10_S11_S18_S1C_S1E_T6_T7_T9_mT8_S1G_bDpT10_ENKUlT_T0_E_clISt17integral_constantIbLb0EES1T_IbLb1EEEEDaS1P_S1Q_EUlS1P_E_NS1_11comp_targetILNS1_3genE5ELNS1_11target_archE942ELNS1_3gpuE9ELNS1_3repE0EEENS1_30default_config_static_selectorELNS0_4arch9wavefront6targetE0EEEvS12_.has_indirect_call, 0
	.section	.AMDGPU.csdata,"",@progbits
; Kernel info:
; codeLenInByte = 0
; TotalNumSgprs: 0
; NumVgprs: 0
; ScratchSize: 0
; MemoryBound: 0
; FloatMode: 240
; IeeeMode: 1
; LDSByteSize: 0 bytes/workgroup (compile time only)
; SGPRBlocks: 0
; VGPRBlocks: 0
; NumSGPRsForWavesPerEU: 1
; NumVGPRsForWavesPerEU: 1
; Occupancy: 16
; WaveLimiterHint : 0
; COMPUTE_PGM_RSRC2:SCRATCH_EN: 0
; COMPUTE_PGM_RSRC2:USER_SGPR: 6
; COMPUTE_PGM_RSRC2:TRAP_HANDLER: 0
; COMPUTE_PGM_RSRC2:TGID_X_EN: 1
; COMPUTE_PGM_RSRC2:TGID_Y_EN: 0
; COMPUTE_PGM_RSRC2:TGID_Z_EN: 0
; COMPUTE_PGM_RSRC2:TIDIG_COMP_CNT: 0
	.section	.text._ZN7rocprim17ROCPRIM_400000_NS6detail17trampoline_kernelINS0_13select_configILj256ELj13ELNS0_17block_load_methodE3ELS4_3ELS4_3ELNS0_20block_scan_algorithmE0ELj4294967295EEENS1_25partition_config_selectorILNS1_17partition_subalgoE4EjNS0_10empty_typeEbEEZZNS1_14partition_implILS8_4ELb0ES6_15HIP_vector_typeIjLj2EENS0_17counting_iteratorIjlEEPS9_SG_NS0_5tupleIJPjSI_NS0_16reverse_iteratorISI_EEEEENSH_IJSG_SG_SG_EEES9_SI_JZNS1_25segmented_radix_sort_implINS0_14default_configELb0EPKsPsPKlPlN2at6native12_GLOBAL__N_18offset_tEEE10hipError_tPvRmT1_PNSt15iterator_traitsIS12_E10value_typeET2_T3_PNS13_IS18_E10value_typeET4_jRbjT5_S1E_jjP12ihipStream_tbEUljE_ZNSN_ISO_Lb0ESQ_SR_ST_SU_SY_EESZ_S10_S11_S12_S16_S17_S18_S1B_S1C_jS1D_jS1E_S1E_jjS1G_bEUljE0_EEESZ_S10_S11_S18_S1C_S1E_T6_T7_T9_mT8_S1G_bDpT10_ENKUlT_T0_E_clISt17integral_constantIbLb0EES1T_IbLb1EEEEDaS1P_S1Q_EUlS1P_E_NS1_11comp_targetILNS1_3genE4ELNS1_11target_archE910ELNS1_3gpuE8ELNS1_3repE0EEENS1_30default_config_static_selectorELNS0_4arch9wavefront6targetE0EEEvS12_,"axG",@progbits,_ZN7rocprim17ROCPRIM_400000_NS6detail17trampoline_kernelINS0_13select_configILj256ELj13ELNS0_17block_load_methodE3ELS4_3ELS4_3ELNS0_20block_scan_algorithmE0ELj4294967295EEENS1_25partition_config_selectorILNS1_17partition_subalgoE4EjNS0_10empty_typeEbEEZZNS1_14partition_implILS8_4ELb0ES6_15HIP_vector_typeIjLj2EENS0_17counting_iteratorIjlEEPS9_SG_NS0_5tupleIJPjSI_NS0_16reverse_iteratorISI_EEEEENSH_IJSG_SG_SG_EEES9_SI_JZNS1_25segmented_radix_sort_implINS0_14default_configELb0EPKsPsPKlPlN2at6native12_GLOBAL__N_18offset_tEEE10hipError_tPvRmT1_PNSt15iterator_traitsIS12_E10value_typeET2_T3_PNS13_IS18_E10value_typeET4_jRbjT5_S1E_jjP12ihipStream_tbEUljE_ZNSN_ISO_Lb0ESQ_SR_ST_SU_SY_EESZ_S10_S11_S12_S16_S17_S18_S1B_S1C_jS1D_jS1E_S1E_jjS1G_bEUljE0_EEESZ_S10_S11_S18_S1C_S1E_T6_T7_T9_mT8_S1G_bDpT10_ENKUlT_T0_E_clISt17integral_constantIbLb0EES1T_IbLb1EEEEDaS1P_S1Q_EUlS1P_E_NS1_11comp_targetILNS1_3genE4ELNS1_11target_archE910ELNS1_3gpuE8ELNS1_3repE0EEENS1_30default_config_static_selectorELNS0_4arch9wavefront6targetE0EEEvS12_,comdat
	.globl	_ZN7rocprim17ROCPRIM_400000_NS6detail17trampoline_kernelINS0_13select_configILj256ELj13ELNS0_17block_load_methodE3ELS4_3ELS4_3ELNS0_20block_scan_algorithmE0ELj4294967295EEENS1_25partition_config_selectorILNS1_17partition_subalgoE4EjNS0_10empty_typeEbEEZZNS1_14partition_implILS8_4ELb0ES6_15HIP_vector_typeIjLj2EENS0_17counting_iteratorIjlEEPS9_SG_NS0_5tupleIJPjSI_NS0_16reverse_iteratorISI_EEEEENSH_IJSG_SG_SG_EEES9_SI_JZNS1_25segmented_radix_sort_implINS0_14default_configELb0EPKsPsPKlPlN2at6native12_GLOBAL__N_18offset_tEEE10hipError_tPvRmT1_PNSt15iterator_traitsIS12_E10value_typeET2_T3_PNS13_IS18_E10value_typeET4_jRbjT5_S1E_jjP12ihipStream_tbEUljE_ZNSN_ISO_Lb0ESQ_SR_ST_SU_SY_EESZ_S10_S11_S12_S16_S17_S18_S1B_S1C_jS1D_jS1E_S1E_jjS1G_bEUljE0_EEESZ_S10_S11_S18_S1C_S1E_T6_T7_T9_mT8_S1G_bDpT10_ENKUlT_T0_E_clISt17integral_constantIbLb0EES1T_IbLb1EEEEDaS1P_S1Q_EUlS1P_E_NS1_11comp_targetILNS1_3genE4ELNS1_11target_archE910ELNS1_3gpuE8ELNS1_3repE0EEENS1_30default_config_static_selectorELNS0_4arch9wavefront6targetE0EEEvS12_ ; -- Begin function _ZN7rocprim17ROCPRIM_400000_NS6detail17trampoline_kernelINS0_13select_configILj256ELj13ELNS0_17block_load_methodE3ELS4_3ELS4_3ELNS0_20block_scan_algorithmE0ELj4294967295EEENS1_25partition_config_selectorILNS1_17partition_subalgoE4EjNS0_10empty_typeEbEEZZNS1_14partition_implILS8_4ELb0ES6_15HIP_vector_typeIjLj2EENS0_17counting_iteratorIjlEEPS9_SG_NS0_5tupleIJPjSI_NS0_16reverse_iteratorISI_EEEEENSH_IJSG_SG_SG_EEES9_SI_JZNS1_25segmented_radix_sort_implINS0_14default_configELb0EPKsPsPKlPlN2at6native12_GLOBAL__N_18offset_tEEE10hipError_tPvRmT1_PNSt15iterator_traitsIS12_E10value_typeET2_T3_PNS13_IS18_E10value_typeET4_jRbjT5_S1E_jjP12ihipStream_tbEUljE_ZNSN_ISO_Lb0ESQ_SR_ST_SU_SY_EESZ_S10_S11_S12_S16_S17_S18_S1B_S1C_jS1D_jS1E_S1E_jjS1G_bEUljE0_EEESZ_S10_S11_S18_S1C_S1E_T6_T7_T9_mT8_S1G_bDpT10_ENKUlT_T0_E_clISt17integral_constantIbLb0EES1T_IbLb1EEEEDaS1P_S1Q_EUlS1P_E_NS1_11comp_targetILNS1_3genE4ELNS1_11target_archE910ELNS1_3gpuE8ELNS1_3repE0EEENS1_30default_config_static_selectorELNS0_4arch9wavefront6targetE0EEEvS12_
	.p2align	8
	.type	_ZN7rocprim17ROCPRIM_400000_NS6detail17trampoline_kernelINS0_13select_configILj256ELj13ELNS0_17block_load_methodE3ELS4_3ELS4_3ELNS0_20block_scan_algorithmE0ELj4294967295EEENS1_25partition_config_selectorILNS1_17partition_subalgoE4EjNS0_10empty_typeEbEEZZNS1_14partition_implILS8_4ELb0ES6_15HIP_vector_typeIjLj2EENS0_17counting_iteratorIjlEEPS9_SG_NS0_5tupleIJPjSI_NS0_16reverse_iteratorISI_EEEEENSH_IJSG_SG_SG_EEES9_SI_JZNS1_25segmented_radix_sort_implINS0_14default_configELb0EPKsPsPKlPlN2at6native12_GLOBAL__N_18offset_tEEE10hipError_tPvRmT1_PNSt15iterator_traitsIS12_E10value_typeET2_T3_PNS13_IS18_E10value_typeET4_jRbjT5_S1E_jjP12ihipStream_tbEUljE_ZNSN_ISO_Lb0ESQ_SR_ST_SU_SY_EESZ_S10_S11_S12_S16_S17_S18_S1B_S1C_jS1D_jS1E_S1E_jjS1G_bEUljE0_EEESZ_S10_S11_S18_S1C_S1E_T6_T7_T9_mT8_S1G_bDpT10_ENKUlT_T0_E_clISt17integral_constantIbLb0EES1T_IbLb1EEEEDaS1P_S1Q_EUlS1P_E_NS1_11comp_targetILNS1_3genE4ELNS1_11target_archE910ELNS1_3gpuE8ELNS1_3repE0EEENS1_30default_config_static_selectorELNS0_4arch9wavefront6targetE0EEEvS12_,@function
_ZN7rocprim17ROCPRIM_400000_NS6detail17trampoline_kernelINS0_13select_configILj256ELj13ELNS0_17block_load_methodE3ELS4_3ELS4_3ELNS0_20block_scan_algorithmE0ELj4294967295EEENS1_25partition_config_selectorILNS1_17partition_subalgoE4EjNS0_10empty_typeEbEEZZNS1_14partition_implILS8_4ELb0ES6_15HIP_vector_typeIjLj2EENS0_17counting_iteratorIjlEEPS9_SG_NS0_5tupleIJPjSI_NS0_16reverse_iteratorISI_EEEEENSH_IJSG_SG_SG_EEES9_SI_JZNS1_25segmented_radix_sort_implINS0_14default_configELb0EPKsPsPKlPlN2at6native12_GLOBAL__N_18offset_tEEE10hipError_tPvRmT1_PNSt15iterator_traitsIS12_E10value_typeET2_T3_PNS13_IS18_E10value_typeET4_jRbjT5_S1E_jjP12ihipStream_tbEUljE_ZNSN_ISO_Lb0ESQ_SR_ST_SU_SY_EESZ_S10_S11_S12_S16_S17_S18_S1B_S1C_jS1D_jS1E_S1E_jjS1G_bEUljE0_EEESZ_S10_S11_S18_S1C_S1E_T6_T7_T9_mT8_S1G_bDpT10_ENKUlT_T0_E_clISt17integral_constantIbLb0EES1T_IbLb1EEEEDaS1P_S1Q_EUlS1P_E_NS1_11comp_targetILNS1_3genE4ELNS1_11target_archE910ELNS1_3gpuE8ELNS1_3repE0EEENS1_30default_config_static_selectorELNS0_4arch9wavefront6targetE0EEEvS12_: ; @_ZN7rocprim17ROCPRIM_400000_NS6detail17trampoline_kernelINS0_13select_configILj256ELj13ELNS0_17block_load_methodE3ELS4_3ELS4_3ELNS0_20block_scan_algorithmE0ELj4294967295EEENS1_25partition_config_selectorILNS1_17partition_subalgoE4EjNS0_10empty_typeEbEEZZNS1_14partition_implILS8_4ELb0ES6_15HIP_vector_typeIjLj2EENS0_17counting_iteratorIjlEEPS9_SG_NS0_5tupleIJPjSI_NS0_16reverse_iteratorISI_EEEEENSH_IJSG_SG_SG_EEES9_SI_JZNS1_25segmented_radix_sort_implINS0_14default_configELb0EPKsPsPKlPlN2at6native12_GLOBAL__N_18offset_tEEE10hipError_tPvRmT1_PNSt15iterator_traitsIS12_E10value_typeET2_T3_PNS13_IS18_E10value_typeET4_jRbjT5_S1E_jjP12ihipStream_tbEUljE_ZNSN_ISO_Lb0ESQ_SR_ST_SU_SY_EESZ_S10_S11_S12_S16_S17_S18_S1B_S1C_jS1D_jS1E_S1E_jjS1G_bEUljE0_EEESZ_S10_S11_S18_S1C_S1E_T6_T7_T9_mT8_S1G_bDpT10_ENKUlT_T0_E_clISt17integral_constantIbLb0EES1T_IbLb1EEEEDaS1P_S1Q_EUlS1P_E_NS1_11comp_targetILNS1_3genE4ELNS1_11target_archE910ELNS1_3gpuE8ELNS1_3repE0EEENS1_30default_config_static_selectorELNS0_4arch9wavefront6targetE0EEEvS12_
; %bb.0:
	.section	.rodata,"a",@progbits
	.p2align	6, 0x0
	.amdhsa_kernel _ZN7rocprim17ROCPRIM_400000_NS6detail17trampoline_kernelINS0_13select_configILj256ELj13ELNS0_17block_load_methodE3ELS4_3ELS4_3ELNS0_20block_scan_algorithmE0ELj4294967295EEENS1_25partition_config_selectorILNS1_17partition_subalgoE4EjNS0_10empty_typeEbEEZZNS1_14partition_implILS8_4ELb0ES6_15HIP_vector_typeIjLj2EENS0_17counting_iteratorIjlEEPS9_SG_NS0_5tupleIJPjSI_NS0_16reverse_iteratorISI_EEEEENSH_IJSG_SG_SG_EEES9_SI_JZNS1_25segmented_radix_sort_implINS0_14default_configELb0EPKsPsPKlPlN2at6native12_GLOBAL__N_18offset_tEEE10hipError_tPvRmT1_PNSt15iterator_traitsIS12_E10value_typeET2_T3_PNS13_IS18_E10value_typeET4_jRbjT5_S1E_jjP12ihipStream_tbEUljE_ZNSN_ISO_Lb0ESQ_SR_ST_SU_SY_EESZ_S10_S11_S12_S16_S17_S18_S1B_S1C_jS1D_jS1E_S1E_jjS1G_bEUljE0_EEESZ_S10_S11_S18_S1C_S1E_T6_T7_T9_mT8_S1G_bDpT10_ENKUlT_T0_E_clISt17integral_constantIbLb0EES1T_IbLb1EEEEDaS1P_S1Q_EUlS1P_E_NS1_11comp_targetILNS1_3genE4ELNS1_11target_archE910ELNS1_3gpuE8ELNS1_3repE0EEENS1_30default_config_static_selectorELNS0_4arch9wavefront6targetE0EEEvS12_
		.amdhsa_group_segment_fixed_size 0
		.amdhsa_private_segment_fixed_size 0
		.amdhsa_kernarg_size 184
		.amdhsa_user_sgpr_count 6
		.amdhsa_user_sgpr_private_segment_buffer 1
		.amdhsa_user_sgpr_dispatch_ptr 0
		.amdhsa_user_sgpr_queue_ptr 0
		.amdhsa_user_sgpr_kernarg_segment_ptr 1
		.amdhsa_user_sgpr_dispatch_id 0
		.amdhsa_user_sgpr_flat_scratch_init 0
		.amdhsa_user_sgpr_private_segment_size 0
		.amdhsa_wavefront_size32 1
		.amdhsa_uses_dynamic_stack 0
		.amdhsa_system_sgpr_private_segment_wavefront_offset 0
		.amdhsa_system_sgpr_workgroup_id_x 1
		.amdhsa_system_sgpr_workgroup_id_y 0
		.amdhsa_system_sgpr_workgroup_id_z 0
		.amdhsa_system_sgpr_workgroup_info 0
		.amdhsa_system_vgpr_workitem_id 0
		.amdhsa_next_free_vgpr 1
		.amdhsa_next_free_sgpr 1
		.amdhsa_reserve_vcc 0
		.amdhsa_reserve_flat_scratch 0
		.amdhsa_float_round_mode_32 0
		.amdhsa_float_round_mode_16_64 0
		.amdhsa_float_denorm_mode_32 3
		.amdhsa_float_denorm_mode_16_64 3
		.amdhsa_dx10_clamp 1
		.amdhsa_ieee_mode 1
		.amdhsa_fp16_overflow 0
		.amdhsa_workgroup_processor_mode 1
		.amdhsa_memory_ordered 1
		.amdhsa_forward_progress 1
		.amdhsa_shared_vgpr_count 0
		.amdhsa_exception_fp_ieee_invalid_op 0
		.amdhsa_exception_fp_denorm_src 0
		.amdhsa_exception_fp_ieee_div_zero 0
		.amdhsa_exception_fp_ieee_overflow 0
		.amdhsa_exception_fp_ieee_underflow 0
		.amdhsa_exception_fp_ieee_inexact 0
		.amdhsa_exception_int_div_zero 0
	.end_amdhsa_kernel
	.section	.text._ZN7rocprim17ROCPRIM_400000_NS6detail17trampoline_kernelINS0_13select_configILj256ELj13ELNS0_17block_load_methodE3ELS4_3ELS4_3ELNS0_20block_scan_algorithmE0ELj4294967295EEENS1_25partition_config_selectorILNS1_17partition_subalgoE4EjNS0_10empty_typeEbEEZZNS1_14partition_implILS8_4ELb0ES6_15HIP_vector_typeIjLj2EENS0_17counting_iteratorIjlEEPS9_SG_NS0_5tupleIJPjSI_NS0_16reverse_iteratorISI_EEEEENSH_IJSG_SG_SG_EEES9_SI_JZNS1_25segmented_radix_sort_implINS0_14default_configELb0EPKsPsPKlPlN2at6native12_GLOBAL__N_18offset_tEEE10hipError_tPvRmT1_PNSt15iterator_traitsIS12_E10value_typeET2_T3_PNS13_IS18_E10value_typeET4_jRbjT5_S1E_jjP12ihipStream_tbEUljE_ZNSN_ISO_Lb0ESQ_SR_ST_SU_SY_EESZ_S10_S11_S12_S16_S17_S18_S1B_S1C_jS1D_jS1E_S1E_jjS1G_bEUljE0_EEESZ_S10_S11_S18_S1C_S1E_T6_T7_T9_mT8_S1G_bDpT10_ENKUlT_T0_E_clISt17integral_constantIbLb0EES1T_IbLb1EEEEDaS1P_S1Q_EUlS1P_E_NS1_11comp_targetILNS1_3genE4ELNS1_11target_archE910ELNS1_3gpuE8ELNS1_3repE0EEENS1_30default_config_static_selectorELNS0_4arch9wavefront6targetE0EEEvS12_,"axG",@progbits,_ZN7rocprim17ROCPRIM_400000_NS6detail17trampoline_kernelINS0_13select_configILj256ELj13ELNS0_17block_load_methodE3ELS4_3ELS4_3ELNS0_20block_scan_algorithmE0ELj4294967295EEENS1_25partition_config_selectorILNS1_17partition_subalgoE4EjNS0_10empty_typeEbEEZZNS1_14partition_implILS8_4ELb0ES6_15HIP_vector_typeIjLj2EENS0_17counting_iteratorIjlEEPS9_SG_NS0_5tupleIJPjSI_NS0_16reverse_iteratorISI_EEEEENSH_IJSG_SG_SG_EEES9_SI_JZNS1_25segmented_radix_sort_implINS0_14default_configELb0EPKsPsPKlPlN2at6native12_GLOBAL__N_18offset_tEEE10hipError_tPvRmT1_PNSt15iterator_traitsIS12_E10value_typeET2_T3_PNS13_IS18_E10value_typeET4_jRbjT5_S1E_jjP12ihipStream_tbEUljE_ZNSN_ISO_Lb0ESQ_SR_ST_SU_SY_EESZ_S10_S11_S12_S16_S17_S18_S1B_S1C_jS1D_jS1E_S1E_jjS1G_bEUljE0_EEESZ_S10_S11_S18_S1C_S1E_T6_T7_T9_mT8_S1G_bDpT10_ENKUlT_T0_E_clISt17integral_constantIbLb0EES1T_IbLb1EEEEDaS1P_S1Q_EUlS1P_E_NS1_11comp_targetILNS1_3genE4ELNS1_11target_archE910ELNS1_3gpuE8ELNS1_3repE0EEENS1_30default_config_static_selectorELNS0_4arch9wavefront6targetE0EEEvS12_,comdat
.Lfunc_end969:
	.size	_ZN7rocprim17ROCPRIM_400000_NS6detail17trampoline_kernelINS0_13select_configILj256ELj13ELNS0_17block_load_methodE3ELS4_3ELS4_3ELNS0_20block_scan_algorithmE0ELj4294967295EEENS1_25partition_config_selectorILNS1_17partition_subalgoE4EjNS0_10empty_typeEbEEZZNS1_14partition_implILS8_4ELb0ES6_15HIP_vector_typeIjLj2EENS0_17counting_iteratorIjlEEPS9_SG_NS0_5tupleIJPjSI_NS0_16reverse_iteratorISI_EEEEENSH_IJSG_SG_SG_EEES9_SI_JZNS1_25segmented_radix_sort_implINS0_14default_configELb0EPKsPsPKlPlN2at6native12_GLOBAL__N_18offset_tEEE10hipError_tPvRmT1_PNSt15iterator_traitsIS12_E10value_typeET2_T3_PNS13_IS18_E10value_typeET4_jRbjT5_S1E_jjP12ihipStream_tbEUljE_ZNSN_ISO_Lb0ESQ_SR_ST_SU_SY_EESZ_S10_S11_S12_S16_S17_S18_S1B_S1C_jS1D_jS1E_S1E_jjS1G_bEUljE0_EEESZ_S10_S11_S18_S1C_S1E_T6_T7_T9_mT8_S1G_bDpT10_ENKUlT_T0_E_clISt17integral_constantIbLb0EES1T_IbLb1EEEEDaS1P_S1Q_EUlS1P_E_NS1_11comp_targetILNS1_3genE4ELNS1_11target_archE910ELNS1_3gpuE8ELNS1_3repE0EEENS1_30default_config_static_selectorELNS0_4arch9wavefront6targetE0EEEvS12_, .Lfunc_end969-_ZN7rocprim17ROCPRIM_400000_NS6detail17trampoline_kernelINS0_13select_configILj256ELj13ELNS0_17block_load_methodE3ELS4_3ELS4_3ELNS0_20block_scan_algorithmE0ELj4294967295EEENS1_25partition_config_selectorILNS1_17partition_subalgoE4EjNS0_10empty_typeEbEEZZNS1_14partition_implILS8_4ELb0ES6_15HIP_vector_typeIjLj2EENS0_17counting_iteratorIjlEEPS9_SG_NS0_5tupleIJPjSI_NS0_16reverse_iteratorISI_EEEEENSH_IJSG_SG_SG_EEES9_SI_JZNS1_25segmented_radix_sort_implINS0_14default_configELb0EPKsPsPKlPlN2at6native12_GLOBAL__N_18offset_tEEE10hipError_tPvRmT1_PNSt15iterator_traitsIS12_E10value_typeET2_T3_PNS13_IS18_E10value_typeET4_jRbjT5_S1E_jjP12ihipStream_tbEUljE_ZNSN_ISO_Lb0ESQ_SR_ST_SU_SY_EESZ_S10_S11_S12_S16_S17_S18_S1B_S1C_jS1D_jS1E_S1E_jjS1G_bEUljE0_EEESZ_S10_S11_S18_S1C_S1E_T6_T7_T9_mT8_S1G_bDpT10_ENKUlT_T0_E_clISt17integral_constantIbLb0EES1T_IbLb1EEEEDaS1P_S1Q_EUlS1P_E_NS1_11comp_targetILNS1_3genE4ELNS1_11target_archE910ELNS1_3gpuE8ELNS1_3repE0EEENS1_30default_config_static_selectorELNS0_4arch9wavefront6targetE0EEEvS12_
                                        ; -- End function
	.set _ZN7rocprim17ROCPRIM_400000_NS6detail17trampoline_kernelINS0_13select_configILj256ELj13ELNS0_17block_load_methodE3ELS4_3ELS4_3ELNS0_20block_scan_algorithmE0ELj4294967295EEENS1_25partition_config_selectorILNS1_17partition_subalgoE4EjNS0_10empty_typeEbEEZZNS1_14partition_implILS8_4ELb0ES6_15HIP_vector_typeIjLj2EENS0_17counting_iteratorIjlEEPS9_SG_NS0_5tupleIJPjSI_NS0_16reverse_iteratorISI_EEEEENSH_IJSG_SG_SG_EEES9_SI_JZNS1_25segmented_radix_sort_implINS0_14default_configELb0EPKsPsPKlPlN2at6native12_GLOBAL__N_18offset_tEEE10hipError_tPvRmT1_PNSt15iterator_traitsIS12_E10value_typeET2_T3_PNS13_IS18_E10value_typeET4_jRbjT5_S1E_jjP12ihipStream_tbEUljE_ZNSN_ISO_Lb0ESQ_SR_ST_SU_SY_EESZ_S10_S11_S12_S16_S17_S18_S1B_S1C_jS1D_jS1E_S1E_jjS1G_bEUljE0_EEESZ_S10_S11_S18_S1C_S1E_T6_T7_T9_mT8_S1G_bDpT10_ENKUlT_T0_E_clISt17integral_constantIbLb0EES1T_IbLb1EEEEDaS1P_S1Q_EUlS1P_E_NS1_11comp_targetILNS1_3genE4ELNS1_11target_archE910ELNS1_3gpuE8ELNS1_3repE0EEENS1_30default_config_static_selectorELNS0_4arch9wavefront6targetE0EEEvS12_.num_vgpr, 0
	.set _ZN7rocprim17ROCPRIM_400000_NS6detail17trampoline_kernelINS0_13select_configILj256ELj13ELNS0_17block_load_methodE3ELS4_3ELS4_3ELNS0_20block_scan_algorithmE0ELj4294967295EEENS1_25partition_config_selectorILNS1_17partition_subalgoE4EjNS0_10empty_typeEbEEZZNS1_14partition_implILS8_4ELb0ES6_15HIP_vector_typeIjLj2EENS0_17counting_iteratorIjlEEPS9_SG_NS0_5tupleIJPjSI_NS0_16reverse_iteratorISI_EEEEENSH_IJSG_SG_SG_EEES9_SI_JZNS1_25segmented_radix_sort_implINS0_14default_configELb0EPKsPsPKlPlN2at6native12_GLOBAL__N_18offset_tEEE10hipError_tPvRmT1_PNSt15iterator_traitsIS12_E10value_typeET2_T3_PNS13_IS18_E10value_typeET4_jRbjT5_S1E_jjP12ihipStream_tbEUljE_ZNSN_ISO_Lb0ESQ_SR_ST_SU_SY_EESZ_S10_S11_S12_S16_S17_S18_S1B_S1C_jS1D_jS1E_S1E_jjS1G_bEUljE0_EEESZ_S10_S11_S18_S1C_S1E_T6_T7_T9_mT8_S1G_bDpT10_ENKUlT_T0_E_clISt17integral_constantIbLb0EES1T_IbLb1EEEEDaS1P_S1Q_EUlS1P_E_NS1_11comp_targetILNS1_3genE4ELNS1_11target_archE910ELNS1_3gpuE8ELNS1_3repE0EEENS1_30default_config_static_selectorELNS0_4arch9wavefront6targetE0EEEvS12_.num_agpr, 0
	.set _ZN7rocprim17ROCPRIM_400000_NS6detail17trampoline_kernelINS0_13select_configILj256ELj13ELNS0_17block_load_methodE3ELS4_3ELS4_3ELNS0_20block_scan_algorithmE0ELj4294967295EEENS1_25partition_config_selectorILNS1_17partition_subalgoE4EjNS0_10empty_typeEbEEZZNS1_14partition_implILS8_4ELb0ES6_15HIP_vector_typeIjLj2EENS0_17counting_iteratorIjlEEPS9_SG_NS0_5tupleIJPjSI_NS0_16reverse_iteratorISI_EEEEENSH_IJSG_SG_SG_EEES9_SI_JZNS1_25segmented_radix_sort_implINS0_14default_configELb0EPKsPsPKlPlN2at6native12_GLOBAL__N_18offset_tEEE10hipError_tPvRmT1_PNSt15iterator_traitsIS12_E10value_typeET2_T3_PNS13_IS18_E10value_typeET4_jRbjT5_S1E_jjP12ihipStream_tbEUljE_ZNSN_ISO_Lb0ESQ_SR_ST_SU_SY_EESZ_S10_S11_S12_S16_S17_S18_S1B_S1C_jS1D_jS1E_S1E_jjS1G_bEUljE0_EEESZ_S10_S11_S18_S1C_S1E_T6_T7_T9_mT8_S1G_bDpT10_ENKUlT_T0_E_clISt17integral_constantIbLb0EES1T_IbLb1EEEEDaS1P_S1Q_EUlS1P_E_NS1_11comp_targetILNS1_3genE4ELNS1_11target_archE910ELNS1_3gpuE8ELNS1_3repE0EEENS1_30default_config_static_selectorELNS0_4arch9wavefront6targetE0EEEvS12_.numbered_sgpr, 0
	.set _ZN7rocprim17ROCPRIM_400000_NS6detail17trampoline_kernelINS0_13select_configILj256ELj13ELNS0_17block_load_methodE3ELS4_3ELS4_3ELNS0_20block_scan_algorithmE0ELj4294967295EEENS1_25partition_config_selectorILNS1_17partition_subalgoE4EjNS0_10empty_typeEbEEZZNS1_14partition_implILS8_4ELb0ES6_15HIP_vector_typeIjLj2EENS0_17counting_iteratorIjlEEPS9_SG_NS0_5tupleIJPjSI_NS0_16reverse_iteratorISI_EEEEENSH_IJSG_SG_SG_EEES9_SI_JZNS1_25segmented_radix_sort_implINS0_14default_configELb0EPKsPsPKlPlN2at6native12_GLOBAL__N_18offset_tEEE10hipError_tPvRmT1_PNSt15iterator_traitsIS12_E10value_typeET2_T3_PNS13_IS18_E10value_typeET4_jRbjT5_S1E_jjP12ihipStream_tbEUljE_ZNSN_ISO_Lb0ESQ_SR_ST_SU_SY_EESZ_S10_S11_S12_S16_S17_S18_S1B_S1C_jS1D_jS1E_S1E_jjS1G_bEUljE0_EEESZ_S10_S11_S18_S1C_S1E_T6_T7_T9_mT8_S1G_bDpT10_ENKUlT_T0_E_clISt17integral_constantIbLb0EES1T_IbLb1EEEEDaS1P_S1Q_EUlS1P_E_NS1_11comp_targetILNS1_3genE4ELNS1_11target_archE910ELNS1_3gpuE8ELNS1_3repE0EEENS1_30default_config_static_selectorELNS0_4arch9wavefront6targetE0EEEvS12_.num_named_barrier, 0
	.set _ZN7rocprim17ROCPRIM_400000_NS6detail17trampoline_kernelINS0_13select_configILj256ELj13ELNS0_17block_load_methodE3ELS4_3ELS4_3ELNS0_20block_scan_algorithmE0ELj4294967295EEENS1_25partition_config_selectorILNS1_17partition_subalgoE4EjNS0_10empty_typeEbEEZZNS1_14partition_implILS8_4ELb0ES6_15HIP_vector_typeIjLj2EENS0_17counting_iteratorIjlEEPS9_SG_NS0_5tupleIJPjSI_NS0_16reverse_iteratorISI_EEEEENSH_IJSG_SG_SG_EEES9_SI_JZNS1_25segmented_radix_sort_implINS0_14default_configELb0EPKsPsPKlPlN2at6native12_GLOBAL__N_18offset_tEEE10hipError_tPvRmT1_PNSt15iterator_traitsIS12_E10value_typeET2_T3_PNS13_IS18_E10value_typeET4_jRbjT5_S1E_jjP12ihipStream_tbEUljE_ZNSN_ISO_Lb0ESQ_SR_ST_SU_SY_EESZ_S10_S11_S12_S16_S17_S18_S1B_S1C_jS1D_jS1E_S1E_jjS1G_bEUljE0_EEESZ_S10_S11_S18_S1C_S1E_T6_T7_T9_mT8_S1G_bDpT10_ENKUlT_T0_E_clISt17integral_constantIbLb0EES1T_IbLb1EEEEDaS1P_S1Q_EUlS1P_E_NS1_11comp_targetILNS1_3genE4ELNS1_11target_archE910ELNS1_3gpuE8ELNS1_3repE0EEENS1_30default_config_static_selectorELNS0_4arch9wavefront6targetE0EEEvS12_.private_seg_size, 0
	.set _ZN7rocprim17ROCPRIM_400000_NS6detail17trampoline_kernelINS0_13select_configILj256ELj13ELNS0_17block_load_methodE3ELS4_3ELS4_3ELNS0_20block_scan_algorithmE0ELj4294967295EEENS1_25partition_config_selectorILNS1_17partition_subalgoE4EjNS0_10empty_typeEbEEZZNS1_14partition_implILS8_4ELb0ES6_15HIP_vector_typeIjLj2EENS0_17counting_iteratorIjlEEPS9_SG_NS0_5tupleIJPjSI_NS0_16reverse_iteratorISI_EEEEENSH_IJSG_SG_SG_EEES9_SI_JZNS1_25segmented_radix_sort_implINS0_14default_configELb0EPKsPsPKlPlN2at6native12_GLOBAL__N_18offset_tEEE10hipError_tPvRmT1_PNSt15iterator_traitsIS12_E10value_typeET2_T3_PNS13_IS18_E10value_typeET4_jRbjT5_S1E_jjP12ihipStream_tbEUljE_ZNSN_ISO_Lb0ESQ_SR_ST_SU_SY_EESZ_S10_S11_S12_S16_S17_S18_S1B_S1C_jS1D_jS1E_S1E_jjS1G_bEUljE0_EEESZ_S10_S11_S18_S1C_S1E_T6_T7_T9_mT8_S1G_bDpT10_ENKUlT_T0_E_clISt17integral_constantIbLb0EES1T_IbLb1EEEEDaS1P_S1Q_EUlS1P_E_NS1_11comp_targetILNS1_3genE4ELNS1_11target_archE910ELNS1_3gpuE8ELNS1_3repE0EEENS1_30default_config_static_selectorELNS0_4arch9wavefront6targetE0EEEvS12_.uses_vcc, 0
	.set _ZN7rocprim17ROCPRIM_400000_NS6detail17trampoline_kernelINS0_13select_configILj256ELj13ELNS0_17block_load_methodE3ELS4_3ELS4_3ELNS0_20block_scan_algorithmE0ELj4294967295EEENS1_25partition_config_selectorILNS1_17partition_subalgoE4EjNS0_10empty_typeEbEEZZNS1_14partition_implILS8_4ELb0ES6_15HIP_vector_typeIjLj2EENS0_17counting_iteratorIjlEEPS9_SG_NS0_5tupleIJPjSI_NS0_16reverse_iteratorISI_EEEEENSH_IJSG_SG_SG_EEES9_SI_JZNS1_25segmented_radix_sort_implINS0_14default_configELb0EPKsPsPKlPlN2at6native12_GLOBAL__N_18offset_tEEE10hipError_tPvRmT1_PNSt15iterator_traitsIS12_E10value_typeET2_T3_PNS13_IS18_E10value_typeET4_jRbjT5_S1E_jjP12ihipStream_tbEUljE_ZNSN_ISO_Lb0ESQ_SR_ST_SU_SY_EESZ_S10_S11_S12_S16_S17_S18_S1B_S1C_jS1D_jS1E_S1E_jjS1G_bEUljE0_EEESZ_S10_S11_S18_S1C_S1E_T6_T7_T9_mT8_S1G_bDpT10_ENKUlT_T0_E_clISt17integral_constantIbLb0EES1T_IbLb1EEEEDaS1P_S1Q_EUlS1P_E_NS1_11comp_targetILNS1_3genE4ELNS1_11target_archE910ELNS1_3gpuE8ELNS1_3repE0EEENS1_30default_config_static_selectorELNS0_4arch9wavefront6targetE0EEEvS12_.uses_flat_scratch, 0
	.set _ZN7rocprim17ROCPRIM_400000_NS6detail17trampoline_kernelINS0_13select_configILj256ELj13ELNS0_17block_load_methodE3ELS4_3ELS4_3ELNS0_20block_scan_algorithmE0ELj4294967295EEENS1_25partition_config_selectorILNS1_17partition_subalgoE4EjNS0_10empty_typeEbEEZZNS1_14partition_implILS8_4ELb0ES6_15HIP_vector_typeIjLj2EENS0_17counting_iteratorIjlEEPS9_SG_NS0_5tupleIJPjSI_NS0_16reverse_iteratorISI_EEEEENSH_IJSG_SG_SG_EEES9_SI_JZNS1_25segmented_radix_sort_implINS0_14default_configELb0EPKsPsPKlPlN2at6native12_GLOBAL__N_18offset_tEEE10hipError_tPvRmT1_PNSt15iterator_traitsIS12_E10value_typeET2_T3_PNS13_IS18_E10value_typeET4_jRbjT5_S1E_jjP12ihipStream_tbEUljE_ZNSN_ISO_Lb0ESQ_SR_ST_SU_SY_EESZ_S10_S11_S12_S16_S17_S18_S1B_S1C_jS1D_jS1E_S1E_jjS1G_bEUljE0_EEESZ_S10_S11_S18_S1C_S1E_T6_T7_T9_mT8_S1G_bDpT10_ENKUlT_T0_E_clISt17integral_constantIbLb0EES1T_IbLb1EEEEDaS1P_S1Q_EUlS1P_E_NS1_11comp_targetILNS1_3genE4ELNS1_11target_archE910ELNS1_3gpuE8ELNS1_3repE0EEENS1_30default_config_static_selectorELNS0_4arch9wavefront6targetE0EEEvS12_.has_dyn_sized_stack, 0
	.set _ZN7rocprim17ROCPRIM_400000_NS6detail17trampoline_kernelINS0_13select_configILj256ELj13ELNS0_17block_load_methodE3ELS4_3ELS4_3ELNS0_20block_scan_algorithmE0ELj4294967295EEENS1_25partition_config_selectorILNS1_17partition_subalgoE4EjNS0_10empty_typeEbEEZZNS1_14partition_implILS8_4ELb0ES6_15HIP_vector_typeIjLj2EENS0_17counting_iteratorIjlEEPS9_SG_NS0_5tupleIJPjSI_NS0_16reverse_iteratorISI_EEEEENSH_IJSG_SG_SG_EEES9_SI_JZNS1_25segmented_radix_sort_implINS0_14default_configELb0EPKsPsPKlPlN2at6native12_GLOBAL__N_18offset_tEEE10hipError_tPvRmT1_PNSt15iterator_traitsIS12_E10value_typeET2_T3_PNS13_IS18_E10value_typeET4_jRbjT5_S1E_jjP12ihipStream_tbEUljE_ZNSN_ISO_Lb0ESQ_SR_ST_SU_SY_EESZ_S10_S11_S12_S16_S17_S18_S1B_S1C_jS1D_jS1E_S1E_jjS1G_bEUljE0_EEESZ_S10_S11_S18_S1C_S1E_T6_T7_T9_mT8_S1G_bDpT10_ENKUlT_T0_E_clISt17integral_constantIbLb0EES1T_IbLb1EEEEDaS1P_S1Q_EUlS1P_E_NS1_11comp_targetILNS1_3genE4ELNS1_11target_archE910ELNS1_3gpuE8ELNS1_3repE0EEENS1_30default_config_static_selectorELNS0_4arch9wavefront6targetE0EEEvS12_.has_recursion, 0
	.set _ZN7rocprim17ROCPRIM_400000_NS6detail17trampoline_kernelINS0_13select_configILj256ELj13ELNS0_17block_load_methodE3ELS4_3ELS4_3ELNS0_20block_scan_algorithmE0ELj4294967295EEENS1_25partition_config_selectorILNS1_17partition_subalgoE4EjNS0_10empty_typeEbEEZZNS1_14partition_implILS8_4ELb0ES6_15HIP_vector_typeIjLj2EENS0_17counting_iteratorIjlEEPS9_SG_NS0_5tupleIJPjSI_NS0_16reverse_iteratorISI_EEEEENSH_IJSG_SG_SG_EEES9_SI_JZNS1_25segmented_radix_sort_implINS0_14default_configELb0EPKsPsPKlPlN2at6native12_GLOBAL__N_18offset_tEEE10hipError_tPvRmT1_PNSt15iterator_traitsIS12_E10value_typeET2_T3_PNS13_IS18_E10value_typeET4_jRbjT5_S1E_jjP12ihipStream_tbEUljE_ZNSN_ISO_Lb0ESQ_SR_ST_SU_SY_EESZ_S10_S11_S12_S16_S17_S18_S1B_S1C_jS1D_jS1E_S1E_jjS1G_bEUljE0_EEESZ_S10_S11_S18_S1C_S1E_T6_T7_T9_mT8_S1G_bDpT10_ENKUlT_T0_E_clISt17integral_constantIbLb0EES1T_IbLb1EEEEDaS1P_S1Q_EUlS1P_E_NS1_11comp_targetILNS1_3genE4ELNS1_11target_archE910ELNS1_3gpuE8ELNS1_3repE0EEENS1_30default_config_static_selectorELNS0_4arch9wavefront6targetE0EEEvS12_.has_indirect_call, 0
	.section	.AMDGPU.csdata,"",@progbits
; Kernel info:
; codeLenInByte = 0
; TotalNumSgprs: 0
; NumVgprs: 0
; ScratchSize: 0
; MemoryBound: 0
; FloatMode: 240
; IeeeMode: 1
; LDSByteSize: 0 bytes/workgroup (compile time only)
; SGPRBlocks: 0
; VGPRBlocks: 0
; NumSGPRsForWavesPerEU: 1
; NumVGPRsForWavesPerEU: 1
; Occupancy: 16
; WaveLimiterHint : 0
; COMPUTE_PGM_RSRC2:SCRATCH_EN: 0
; COMPUTE_PGM_RSRC2:USER_SGPR: 6
; COMPUTE_PGM_RSRC2:TRAP_HANDLER: 0
; COMPUTE_PGM_RSRC2:TGID_X_EN: 1
; COMPUTE_PGM_RSRC2:TGID_Y_EN: 0
; COMPUTE_PGM_RSRC2:TGID_Z_EN: 0
; COMPUTE_PGM_RSRC2:TIDIG_COMP_CNT: 0
	.section	.text._ZN7rocprim17ROCPRIM_400000_NS6detail17trampoline_kernelINS0_13select_configILj256ELj13ELNS0_17block_load_methodE3ELS4_3ELS4_3ELNS0_20block_scan_algorithmE0ELj4294967295EEENS1_25partition_config_selectorILNS1_17partition_subalgoE4EjNS0_10empty_typeEbEEZZNS1_14partition_implILS8_4ELb0ES6_15HIP_vector_typeIjLj2EENS0_17counting_iteratorIjlEEPS9_SG_NS0_5tupleIJPjSI_NS0_16reverse_iteratorISI_EEEEENSH_IJSG_SG_SG_EEES9_SI_JZNS1_25segmented_radix_sort_implINS0_14default_configELb0EPKsPsPKlPlN2at6native12_GLOBAL__N_18offset_tEEE10hipError_tPvRmT1_PNSt15iterator_traitsIS12_E10value_typeET2_T3_PNS13_IS18_E10value_typeET4_jRbjT5_S1E_jjP12ihipStream_tbEUljE_ZNSN_ISO_Lb0ESQ_SR_ST_SU_SY_EESZ_S10_S11_S12_S16_S17_S18_S1B_S1C_jS1D_jS1E_S1E_jjS1G_bEUljE0_EEESZ_S10_S11_S18_S1C_S1E_T6_T7_T9_mT8_S1G_bDpT10_ENKUlT_T0_E_clISt17integral_constantIbLb0EES1T_IbLb1EEEEDaS1P_S1Q_EUlS1P_E_NS1_11comp_targetILNS1_3genE3ELNS1_11target_archE908ELNS1_3gpuE7ELNS1_3repE0EEENS1_30default_config_static_selectorELNS0_4arch9wavefront6targetE0EEEvS12_,"axG",@progbits,_ZN7rocprim17ROCPRIM_400000_NS6detail17trampoline_kernelINS0_13select_configILj256ELj13ELNS0_17block_load_methodE3ELS4_3ELS4_3ELNS0_20block_scan_algorithmE0ELj4294967295EEENS1_25partition_config_selectorILNS1_17partition_subalgoE4EjNS0_10empty_typeEbEEZZNS1_14partition_implILS8_4ELb0ES6_15HIP_vector_typeIjLj2EENS0_17counting_iteratorIjlEEPS9_SG_NS0_5tupleIJPjSI_NS0_16reverse_iteratorISI_EEEEENSH_IJSG_SG_SG_EEES9_SI_JZNS1_25segmented_radix_sort_implINS0_14default_configELb0EPKsPsPKlPlN2at6native12_GLOBAL__N_18offset_tEEE10hipError_tPvRmT1_PNSt15iterator_traitsIS12_E10value_typeET2_T3_PNS13_IS18_E10value_typeET4_jRbjT5_S1E_jjP12ihipStream_tbEUljE_ZNSN_ISO_Lb0ESQ_SR_ST_SU_SY_EESZ_S10_S11_S12_S16_S17_S18_S1B_S1C_jS1D_jS1E_S1E_jjS1G_bEUljE0_EEESZ_S10_S11_S18_S1C_S1E_T6_T7_T9_mT8_S1G_bDpT10_ENKUlT_T0_E_clISt17integral_constantIbLb0EES1T_IbLb1EEEEDaS1P_S1Q_EUlS1P_E_NS1_11comp_targetILNS1_3genE3ELNS1_11target_archE908ELNS1_3gpuE7ELNS1_3repE0EEENS1_30default_config_static_selectorELNS0_4arch9wavefront6targetE0EEEvS12_,comdat
	.globl	_ZN7rocprim17ROCPRIM_400000_NS6detail17trampoline_kernelINS0_13select_configILj256ELj13ELNS0_17block_load_methodE3ELS4_3ELS4_3ELNS0_20block_scan_algorithmE0ELj4294967295EEENS1_25partition_config_selectorILNS1_17partition_subalgoE4EjNS0_10empty_typeEbEEZZNS1_14partition_implILS8_4ELb0ES6_15HIP_vector_typeIjLj2EENS0_17counting_iteratorIjlEEPS9_SG_NS0_5tupleIJPjSI_NS0_16reverse_iteratorISI_EEEEENSH_IJSG_SG_SG_EEES9_SI_JZNS1_25segmented_radix_sort_implINS0_14default_configELb0EPKsPsPKlPlN2at6native12_GLOBAL__N_18offset_tEEE10hipError_tPvRmT1_PNSt15iterator_traitsIS12_E10value_typeET2_T3_PNS13_IS18_E10value_typeET4_jRbjT5_S1E_jjP12ihipStream_tbEUljE_ZNSN_ISO_Lb0ESQ_SR_ST_SU_SY_EESZ_S10_S11_S12_S16_S17_S18_S1B_S1C_jS1D_jS1E_S1E_jjS1G_bEUljE0_EEESZ_S10_S11_S18_S1C_S1E_T6_T7_T9_mT8_S1G_bDpT10_ENKUlT_T0_E_clISt17integral_constantIbLb0EES1T_IbLb1EEEEDaS1P_S1Q_EUlS1P_E_NS1_11comp_targetILNS1_3genE3ELNS1_11target_archE908ELNS1_3gpuE7ELNS1_3repE0EEENS1_30default_config_static_selectorELNS0_4arch9wavefront6targetE0EEEvS12_ ; -- Begin function _ZN7rocprim17ROCPRIM_400000_NS6detail17trampoline_kernelINS0_13select_configILj256ELj13ELNS0_17block_load_methodE3ELS4_3ELS4_3ELNS0_20block_scan_algorithmE0ELj4294967295EEENS1_25partition_config_selectorILNS1_17partition_subalgoE4EjNS0_10empty_typeEbEEZZNS1_14partition_implILS8_4ELb0ES6_15HIP_vector_typeIjLj2EENS0_17counting_iteratorIjlEEPS9_SG_NS0_5tupleIJPjSI_NS0_16reverse_iteratorISI_EEEEENSH_IJSG_SG_SG_EEES9_SI_JZNS1_25segmented_radix_sort_implINS0_14default_configELb0EPKsPsPKlPlN2at6native12_GLOBAL__N_18offset_tEEE10hipError_tPvRmT1_PNSt15iterator_traitsIS12_E10value_typeET2_T3_PNS13_IS18_E10value_typeET4_jRbjT5_S1E_jjP12ihipStream_tbEUljE_ZNSN_ISO_Lb0ESQ_SR_ST_SU_SY_EESZ_S10_S11_S12_S16_S17_S18_S1B_S1C_jS1D_jS1E_S1E_jjS1G_bEUljE0_EEESZ_S10_S11_S18_S1C_S1E_T6_T7_T9_mT8_S1G_bDpT10_ENKUlT_T0_E_clISt17integral_constantIbLb0EES1T_IbLb1EEEEDaS1P_S1Q_EUlS1P_E_NS1_11comp_targetILNS1_3genE3ELNS1_11target_archE908ELNS1_3gpuE7ELNS1_3repE0EEENS1_30default_config_static_selectorELNS0_4arch9wavefront6targetE0EEEvS12_
	.p2align	8
	.type	_ZN7rocprim17ROCPRIM_400000_NS6detail17trampoline_kernelINS0_13select_configILj256ELj13ELNS0_17block_load_methodE3ELS4_3ELS4_3ELNS0_20block_scan_algorithmE0ELj4294967295EEENS1_25partition_config_selectorILNS1_17partition_subalgoE4EjNS0_10empty_typeEbEEZZNS1_14partition_implILS8_4ELb0ES6_15HIP_vector_typeIjLj2EENS0_17counting_iteratorIjlEEPS9_SG_NS0_5tupleIJPjSI_NS0_16reverse_iteratorISI_EEEEENSH_IJSG_SG_SG_EEES9_SI_JZNS1_25segmented_radix_sort_implINS0_14default_configELb0EPKsPsPKlPlN2at6native12_GLOBAL__N_18offset_tEEE10hipError_tPvRmT1_PNSt15iterator_traitsIS12_E10value_typeET2_T3_PNS13_IS18_E10value_typeET4_jRbjT5_S1E_jjP12ihipStream_tbEUljE_ZNSN_ISO_Lb0ESQ_SR_ST_SU_SY_EESZ_S10_S11_S12_S16_S17_S18_S1B_S1C_jS1D_jS1E_S1E_jjS1G_bEUljE0_EEESZ_S10_S11_S18_S1C_S1E_T6_T7_T9_mT8_S1G_bDpT10_ENKUlT_T0_E_clISt17integral_constantIbLb0EES1T_IbLb1EEEEDaS1P_S1Q_EUlS1P_E_NS1_11comp_targetILNS1_3genE3ELNS1_11target_archE908ELNS1_3gpuE7ELNS1_3repE0EEENS1_30default_config_static_selectorELNS0_4arch9wavefront6targetE0EEEvS12_,@function
_ZN7rocprim17ROCPRIM_400000_NS6detail17trampoline_kernelINS0_13select_configILj256ELj13ELNS0_17block_load_methodE3ELS4_3ELS4_3ELNS0_20block_scan_algorithmE0ELj4294967295EEENS1_25partition_config_selectorILNS1_17partition_subalgoE4EjNS0_10empty_typeEbEEZZNS1_14partition_implILS8_4ELb0ES6_15HIP_vector_typeIjLj2EENS0_17counting_iteratorIjlEEPS9_SG_NS0_5tupleIJPjSI_NS0_16reverse_iteratorISI_EEEEENSH_IJSG_SG_SG_EEES9_SI_JZNS1_25segmented_radix_sort_implINS0_14default_configELb0EPKsPsPKlPlN2at6native12_GLOBAL__N_18offset_tEEE10hipError_tPvRmT1_PNSt15iterator_traitsIS12_E10value_typeET2_T3_PNS13_IS18_E10value_typeET4_jRbjT5_S1E_jjP12ihipStream_tbEUljE_ZNSN_ISO_Lb0ESQ_SR_ST_SU_SY_EESZ_S10_S11_S12_S16_S17_S18_S1B_S1C_jS1D_jS1E_S1E_jjS1G_bEUljE0_EEESZ_S10_S11_S18_S1C_S1E_T6_T7_T9_mT8_S1G_bDpT10_ENKUlT_T0_E_clISt17integral_constantIbLb0EES1T_IbLb1EEEEDaS1P_S1Q_EUlS1P_E_NS1_11comp_targetILNS1_3genE3ELNS1_11target_archE908ELNS1_3gpuE7ELNS1_3repE0EEENS1_30default_config_static_selectorELNS0_4arch9wavefront6targetE0EEEvS12_: ; @_ZN7rocprim17ROCPRIM_400000_NS6detail17trampoline_kernelINS0_13select_configILj256ELj13ELNS0_17block_load_methodE3ELS4_3ELS4_3ELNS0_20block_scan_algorithmE0ELj4294967295EEENS1_25partition_config_selectorILNS1_17partition_subalgoE4EjNS0_10empty_typeEbEEZZNS1_14partition_implILS8_4ELb0ES6_15HIP_vector_typeIjLj2EENS0_17counting_iteratorIjlEEPS9_SG_NS0_5tupleIJPjSI_NS0_16reverse_iteratorISI_EEEEENSH_IJSG_SG_SG_EEES9_SI_JZNS1_25segmented_radix_sort_implINS0_14default_configELb0EPKsPsPKlPlN2at6native12_GLOBAL__N_18offset_tEEE10hipError_tPvRmT1_PNSt15iterator_traitsIS12_E10value_typeET2_T3_PNS13_IS18_E10value_typeET4_jRbjT5_S1E_jjP12ihipStream_tbEUljE_ZNSN_ISO_Lb0ESQ_SR_ST_SU_SY_EESZ_S10_S11_S12_S16_S17_S18_S1B_S1C_jS1D_jS1E_S1E_jjS1G_bEUljE0_EEESZ_S10_S11_S18_S1C_S1E_T6_T7_T9_mT8_S1G_bDpT10_ENKUlT_T0_E_clISt17integral_constantIbLb0EES1T_IbLb1EEEEDaS1P_S1Q_EUlS1P_E_NS1_11comp_targetILNS1_3genE3ELNS1_11target_archE908ELNS1_3gpuE7ELNS1_3repE0EEENS1_30default_config_static_selectorELNS0_4arch9wavefront6targetE0EEEvS12_
; %bb.0:
	.section	.rodata,"a",@progbits
	.p2align	6, 0x0
	.amdhsa_kernel _ZN7rocprim17ROCPRIM_400000_NS6detail17trampoline_kernelINS0_13select_configILj256ELj13ELNS0_17block_load_methodE3ELS4_3ELS4_3ELNS0_20block_scan_algorithmE0ELj4294967295EEENS1_25partition_config_selectorILNS1_17partition_subalgoE4EjNS0_10empty_typeEbEEZZNS1_14partition_implILS8_4ELb0ES6_15HIP_vector_typeIjLj2EENS0_17counting_iteratorIjlEEPS9_SG_NS0_5tupleIJPjSI_NS0_16reverse_iteratorISI_EEEEENSH_IJSG_SG_SG_EEES9_SI_JZNS1_25segmented_radix_sort_implINS0_14default_configELb0EPKsPsPKlPlN2at6native12_GLOBAL__N_18offset_tEEE10hipError_tPvRmT1_PNSt15iterator_traitsIS12_E10value_typeET2_T3_PNS13_IS18_E10value_typeET4_jRbjT5_S1E_jjP12ihipStream_tbEUljE_ZNSN_ISO_Lb0ESQ_SR_ST_SU_SY_EESZ_S10_S11_S12_S16_S17_S18_S1B_S1C_jS1D_jS1E_S1E_jjS1G_bEUljE0_EEESZ_S10_S11_S18_S1C_S1E_T6_T7_T9_mT8_S1G_bDpT10_ENKUlT_T0_E_clISt17integral_constantIbLb0EES1T_IbLb1EEEEDaS1P_S1Q_EUlS1P_E_NS1_11comp_targetILNS1_3genE3ELNS1_11target_archE908ELNS1_3gpuE7ELNS1_3repE0EEENS1_30default_config_static_selectorELNS0_4arch9wavefront6targetE0EEEvS12_
		.amdhsa_group_segment_fixed_size 0
		.amdhsa_private_segment_fixed_size 0
		.amdhsa_kernarg_size 184
		.amdhsa_user_sgpr_count 6
		.amdhsa_user_sgpr_private_segment_buffer 1
		.amdhsa_user_sgpr_dispatch_ptr 0
		.amdhsa_user_sgpr_queue_ptr 0
		.amdhsa_user_sgpr_kernarg_segment_ptr 1
		.amdhsa_user_sgpr_dispatch_id 0
		.amdhsa_user_sgpr_flat_scratch_init 0
		.amdhsa_user_sgpr_private_segment_size 0
		.amdhsa_wavefront_size32 1
		.amdhsa_uses_dynamic_stack 0
		.amdhsa_system_sgpr_private_segment_wavefront_offset 0
		.amdhsa_system_sgpr_workgroup_id_x 1
		.amdhsa_system_sgpr_workgroup_id_y 0
		.amdhsa_system_sgpr_workgroup_id_z 0
		.amdhsa_system_sgpr_workgroup_info 0
		.amdhsa_system_vgpr_workitem_id 0
		.amdhsa_next_free_vgpr 1
		.amdhsa_next_free_sgpr 1
		.amdhsa_reserve_vcc 0
		.amdhsa_reserve_flat_scratch 0
		.amdhsa_float_round_mode_32 0
		.amdhsa_float_round_mode_16_64 0
		.amdhsa_float_denorm_mode_32 3
		.amdhsa_float_denorm_mode_16_64 3
		.amdhsa_dx10_clamp 1
		.amdhsa_ieee_mode 1
		.amdhsa_fp16_overflow 0
		.amdhsa_workgroup_processor_mode 1
		.amdhsa_memory_ordered 1
		.amdhsa_forward_progress 1
		.amdhsa_shared_vgpr_count 0
		.amdhsa_exception_fp_ieee_invalid_op 0
		.amdhsa_exception_fp_denorm_src 0
		.amdhsa_exception_fp_ieee_div_zero 0
		.amdhsa_exception_fp_ieee_overflow 0
		.amdhsa_exception_fp_ieee_underflow 0
		.amdhsa_exception_fp_ieee_inexact 0
		.amdhsa_exception_int_div_zero 0
	.end_amdhsa_kernel
	.section	.text._ZN7rocprim17ROCPRIM_400000_NS6detail17trampoline_kernelINS0_13select_configILj256ELj13ELNS0_17block_load_methodE3ELS4_3ELS4_3ELNS0_20block_scan_algorithmE0ELj4294967295EEENS1_25partition_config_selectorILNS1_17partition_subalgoE4EjNS0_10empty_typeEbEEZZNS1_14partition_implILS8_4ELb0ES6_15HIP_vector_typeIjLj2EENS0_17counting_iteratorIjlEEPS9_SG_NS0_5tupleIJPjSI_NS0_16reverse_iteratorISI_EEEEENSH_IJSG_SG_SG_EEES9_SI_JZNS1_25segmented_radix_sort_implINS0_14default_configELb0EPKsPsPKlPlN2at6native12_GLOBAL__N_18offset_tEEE10hipError_tPvRmT1_PNSt15iterator_traitsIS12_E10value_typeET2_T3_PNS13_IS18_E10value_typeET4_jRbjT5_S1E_jjP12ihipStream_tbEUljE_ZNSN_ISO_Lb0ESQ_SR_ST_SU_SY_EESZ_S10_S11_S12_S16_S17_S18_S1B_S1C_jS1D_jS1E_S1E_jjS1G_bEUljE0_EEESZ_S10_S11_S18_S1C_S1E_T6_T7_T9_mT8_S1G_bDpT10_ENKUlT_T0_E_clISt17integral_constantIbLb0EES1T_IbLb1EEEEDaS1P_S1Q_EUlS1P_E_NS1_11comp_targetILNS1_3genE3ELNS1_11target_archE908ELNS1_3gpuE7ELNS1_3repE0EEENS1_30default_config_static_selectorELNS0_4arch9wavefront6targetE0EEEvS12_,"axG",@progbits,_ZN7rocprim17ROCPRIM_400000_NS6detail17trampoline_kernelINS0_13select_configILj256ELj13ELNS0_17block_load_methodE3ELS4_3ELS4_3ELNS0_20block_scan_algorithmE0ELj4294967295EEENS1_25partition_config_selectorILNS1_17partition_subalgoE4EjNS0_10empty_typeEbEEZZNS1_14partition_implILS8_4ELb0ES6_15HIP_vector_typeIjLj2EENS0_17counting_iteratorIjlEEPS9_SG_NS0_5tupleIJPjSI_NS0_16reverse_iteratorISI_EEEEENSH_IJSG_SG_SG_EEES9_SI_JZNS1_25segmented_radix_sort_implINS0_14default_configELb0EPKsPsPKlPlN2at6native12_GLOBAL__N_18offset_tEEE10hipError_tPvRmT1_PNSt15iterator_traitsIS12_E10value_typeET2_T3_PNS13_IS18_E10value_typeET4_jRbjT5_S1E_jjP12ihipStream_tbEUljE_ZNSN_ISO_Lb0ESQ_SR_ST_SU_SY_EESZ_S10_S11_S12_S16_S17_S18_S1B_S1C_jS1D_jS1E_S1E_jjS1G_bEUljE0_EEESZ_S10_S11_S18_S1C_S1E_T6_T7_T9_mT8_S1G_bDpT10_ENKUlT_T0_E_clISt17integral_constantIbLb0EES1T_IbLb1EEEEDaS1P_S1Q_EUlS1P_E_NS1_11comp_targetILNS1_3genE3ELNS1_11target_archE908ELNS1_3gpuE7ELNS1_3repE0EEENS1_30default_config_static_selectorELNS0_4arch9wavefront6targetE0EEEvS12_,comdat
.Lfunc_end970:
	.size	_ZN7rocprim17ROCPRIM_400000_NS6detail17trampoline_kernelINS0_13select_configILj256ELj13ELNS0_17block_load_methodE3ELS4_3ELS4_3ELNS0_20block_scan_algorithmE0ELj4294967295EEENS1_25partition_config_selectorILNS1_17partition_subalgoE4EjNS0_10empty_typeEbEEZZNS1_14partition_implILS8_4ELb0ES6_15HIP_vector_typeIjLj2EENS0_17counting_iteratorIjlEEPS9_SG_NS0_5tupleIJPjSI_NS0_16reverse_iteratorISI_EEEEENSH_IJSG_SG_SG_EEES9_SI_JZNS1_25segmented_radix_sort_implINS0_14default_configELb0EPKsPsPKlPlN2at6native12_GLOBAL__N_18offset_tEEE10hipError_tPvRmT1_PNSt15iterator_traitsIS12_E10value_typeET2_T3_PNS13_IS18_E10value_typeET4_jRbjT5_S1E_jjP12ihipStream_tbEUljE_ZNSN_ISO_Lb0ESQ_SR_ST_SU_SY_EESZ_S10_S11_S12_S16_S17_S18_S1B_S1C_jS1D_jS1E_S1E_jjS1G_bEUljE0_EEESZ_S10_S11_S18_S1C_S1E_T6_T7_T9_mT8_S1G_bDpT10_ENKUlT_T0_E_clISt17integral_constantIbLb0EES1T_IbLb1EEEEDaS1P_S1Q_EUlS1P_E_NS1_11comp_targetILNS1_3genE3ELNS1_11target_archE908ELNS1_3gpuE7ELNS1_3repE0EEENS1_30default_config_static_selectorELNS0_4arch9wavefront6targetE0EEEvS12_, .Lfunc_end970-_ZN7rocprim17ROCPRIM_400000_NS6detail17trampoline_kernelINS0_13select_configILj256ELj13ELNS0_17block_load_methodE3ELS4_3ELS4_3ELNS0_20block_scan_algorithmE0ELj4294967295EEENS1_25partition_config_selectorILNS1_17partition_subalgoE4EjNS0_10empty_typeEbEEZZNS1_14partition_implILS8_4ELb0ES6_15HIP_vector_typeIjLj2EENS0_17counting_iteratorIjlEEPS9_SG_NS0_5tupleIJPjSI_NS0_16reverse_iteratorISI_EEEEENSH_IJSG_SG_SG_EEES9_SI_JZNS1_25segmented_radix_sort_implINS0_14default_configELb0EPKsPsPKlPlN2at6native12_GLOBAL__N_18offset_tEEE10hipError_tPvRmT1_PNSt15iterator_traitsIS12_E10value_typeET2_T3_PNS13_IS18_E10value_typeET4_jRbjT5_S1E_jjP12ihipStream_tbEUljE_ZNSN_ISO_Lb0ESQ_SR_ST_SU_SY_EESZ_S10_S11_S12_S16_S17_S18_S1B_S1C_jS1D_jS1E_S1E_jjS1G_bEUljE0_EEESZ_S10_S11_S18_S1C_S1E_T6_T7_T9_mT8_S1G_bDpT10_ENKUlT_T0_E_clISt17integral_constantIbLb0EES1T_IbLb1EEEEDaS1P_S1Q_EUlS1P_E_NS1_11comp_targetILNS1_3genE3ELNS1_11target_archE908ELNS1_3gpuE7ELNS1_3repE0EEENS1_30default_config_static_selectorELNS0_4arch9wavefront6targetE0EEEvS12_
                                        ; -- End function
	.set _ZN7rocprim17ROCPRIM_400000_NS6detail17trampoline_kernelINS0_13select_configILj256ELj13ELNS0_17block_load_methodE3ELS4_3ELS4_3ELNS0_20block_scan_algorithmE0ELj4294967295EEENS1_25partition_config_selectorILNS1_17partition_subalgoE4EjNS0_10empty_typeEbEEZZNS1_14partition_implILS8_4ELb0ES6_15HIP_vector_typeIjLj2EENS0_17counting_iteratorIjlEEPS9_SG_NS0_5tupleIJPjSI_NS0_16reverse_iteratorISI_EEEEENSH_IJSG_SG_SG_EEES9_SI_JZNS1_25segmented_radix_sort_implINS0_14default_configELb0EPKsPsPKlPlN2at6native12_GLOBAL__N_18offset_tEEE10hipError_tPvRmT1_PNSt15iterator_traitsIS12_E10value_typeET2_T3_PNS13_IS18_E10value_typeET4_jRbjT5_S1E_jjP12ihipStream_tbEUljE_ZNSN_ISO_Lb0ESQ_SR_ST_SU_SY_EESZ_S10_S11_S12_S16_S17_S18_S1B_S1C_jS1D_jS1E_S1E_jjS1G_bEUljE0_EEESZ_S10_S11_S18_S1C_S1E_T6_T7_T9_mT8_S1G_bDpT10_ENKUlT_T0_E_clISt17integral_constantIbLb0EES1T_IbLb1EEEEDaS1P_S1Q_EUlS1P_E_NS1_11comp_targetILNS1_3genE3ELNS1_11target_archE908ELNS1_3gpuE7ELNS1_3repE0EEENS1_30default_config_static_selectorELNS0_4arch9wavefront6targetE0EEEvS12_.num_vgpr, 0
	.set _ZN7rocprim17ROCPRIM_400000_NS6detail17trampoline_kernelINS0_13select_configILj256ELj13ELNS0_17block_load_methodE3ELS4_3ELS4_3ELNS0_20block_scan_algorithmE0ELj4294967295EEENS1_25partition_config_selectorILNS1_17partition_subalgoE4EjNS0_10empty_typeEbEEZZNS1_14partition_implILS8_4ELb0ES6_15HIP_vector_typeIjLj2EENS0_17counting_iteratorIjlEEPS9_SG_NS0_5tupleIJPjSI_NS0_16reverse_iteratorISI_EEEEENSH_IJSG_SG_SG_EEES9_SI_JZNS1_25segmented_radix_sort_implINS0_14default_configELb0EPKsPsPKlPlN2at6native12_GLOBAL__N_18offset_tEEE10hipError_tPvRmT1_PNSt15iterator_traitsIS12_E10value_typeET2_T3_PNS13_IS18_E10value_typeET4_jRbjT5_S1E_jjP12ihipStream_tbEUljE_ZNSN_ISO_Lb0ESQ_SR_ST_SU_SY_EESZ_S10_S11_S12_S16_S17_S18_S1B_S1C_jS1D_jS1E_S1E_jjS1G_bEUljE0_EEESZ_S10_S11_S18_S1C_S1E_T6_T7_T9_mT8_S1G_bDpT10_ENKUlT_T0_E_clISt17integral_constantIbLb0EES1T_IbLb1EEEEDaS1P_S1Q_EUlS1P_E_NS1_11comp_targetILNS1_3genE3ELNS1_11target_archE908ELNS1_3gpuE7ELNS1_3repE0EEENS1_30default_config_static_selectorELNS0_4arch9wavefront6targetE0EEEvS12_.num_agpr, 0
	.set _ZN7rocprim17ROCPRIM_400000_NS6detail17trampoline_kernelINS0_13select_configILj256ELj13ELNS0_17block_load_methodE3ELS4_3ELS4_3ELNS0_20block_scan_algorithmE0ELj4294967295EEENS1_25partition_config_selectorILNS1_17partition_subalgoE4EjNS0_10empty_typeEbEEZZNS1_14partition_implILS8_4ELb0ES6_15HIP_vector_typeIjLj2EENS0_17counting_iteratorIjlEEPS9_SG_NS0_5tupleIJPjSI_NS0_16reverse_iteratorISI_EEEEENSH_IJSG_SG_SG_EEES9_SI_JZNS1_25segmented_radix_sort_implINS0_14default_configELb0EPKsPsPKlPlN2at6native12_GLOBAL__N_18offset_tEEE10hipError_tPvRmT1_PNSt15iterator_traitsIS12_E10value_typeET2_T3_PNS13_IS18_E10value_typeET4_jRbjT5_S1E_jjP12ihipStream_tbEUljE_ZNSN_ISO_Lb0ESQ_SR_ST_SU_SY_EESZ_S10_S11_S12_S16_S17_S18_S1B_S1C_jS1D_jS1E_S1E_jjS1G_bEUljE0_EEESZ_S10_S11_S18_S1C_S1E_T6_T7_T9_mT8_S1G_bDpT10_ENKUlT_T0_E_clISt17integral_constantIbLb0EES1T_IbLb1EEEEDaS1P_S1Q_EUlS1P_E_NS1_11comp_targetILNS1_3genE3ELNS1_11target_archE908ELNS1_3gpuE7ELNS1_3repE0EEENS1_30default_config_static_selectorELNS0_4arch9wavefront6targetE0EEEvS12_.numbered_sgpr, 0
	.set _ZN7rocprim17ROCPRIM_400000_NS6detail17trampoline_kernelINS0_13select_configILj256ELj13ELNS0_17block_load_methodE3ELS4_3ELS4_3ELNS0_20block_scan_algorithmE0ELj4294967295EEENS1_25partition_config_selectorILNS1_17partition_subalgoE4EjNS0_10empty_typeEbEEZZNS1_14partition_implILS8_4ELb0ES6_15HIP_vector_typeIjLj2EENS0_17counting_iteratorIjlEEPS9_SG_NS0_5tupleIJPjSI_NS0_16reverse_iteratorISI_EEEEENSH_IJSG_SG_SG_EEES9_SI_JZNS1_25segmented_radix_sort_implINS0_14default_configELb0EPKsPsPKlPlN2at6native12_GLOBAL__N_18offset_tEEE10hipError_tPvRmT1_PNSt15iterator_traitsIS12_E10value_typeET2_T3_PNS13_IS18_E10value_typeET4_jRbjT5_S1E_jjP12ihipStream_tbEUljE_ZNSN_ISO_Lb0ESQ_SR_ST_SU_SY_EESZ_S10_S11_S12_S16_S17_S18_S1B_S1C_jS1D_jS1E_S1E_jjS1G_bEUljE0_EEESZ_S10_S11_S18_S1C_S1E_T6_T7_T9_mT8_S1G_bDpT10_ENKUlT_T0_E_clISt17integral_constantIbLb0EES1T_IbLb1EEEEDaS1P_S1Q_EUlS1P_E_NS1_11comp_targetILNS1_3genE3ELNS1_11target_archE908ELNS1_3gpuE7ELNS1_3repE0EEENS1_30default_config_static_selectorELNS0_4arch9wavefront6targetE0EEEvS12_.num_named_barrier, 0
	.set _ZN7rocprim17ROCPRIM_400000_NS6detail17trampoline_kernelINS0_13select_configILj256ELj13ELNS0_17block_load_methodE3ELS4_3ELS4_3ELNS0_20block_scan_algorithmE0ELj4294967295EEENS1_25partition_config_selectorILNS1_17partition_subalgoE4EjNS0_10empty_typeEbEEZZNS1_14partition_implILS8_4ELb0ES6_15HIP_vector_typeIjLj2EENS0_17counting_iteratorIjlEEPS9_SG_NS0_5tupleIJPjSI_NS0_16reverse_iteratorISI_EEEEENSH_IJSG_SG_SG_EEES9_SI_JZNS1_25segmented_radix_sort_implINS0_14default_configELb0EPKsPsPKlPlN2at6native12_GLOBAL__N_18offset_tEEE10hipError_tPvRmT1_PNSt15iterator_traitsIS12_E10value_typeET2_T3_PNS13_IS18_E10value_typeET4_jRbjT5_S1E_jjP12ihipStream_tbEUljE_ZNSN_ISO_Lb0ESQ_SR_ST_SU_SY_EESZ_S10_S11_S12_S16_S17_S18_S1B_S1C_jS1D_jS1E_S1E_jjS1G_bEUljE0_EEESZ_S10_S11_S18_S1C_S1E_T6_T7_T9_mT8_S1G_bDpT10_ENKUlT_T0_E_clISt17integral_constantIbLb0EES1T_IbLb1EEEEDaS1P_S1Q_EUlS1P_E_NS1_11comp_targetILNS1_3genE3ELNS1_11target_archE908ELNS1_3gpuE7ELNS1_3repE0EEENS1_30default_config_static_selectorELNS0_4arch9wavefront6targetE0EEEvS12_.private_seg_size, 0
	.set _ZN7rocprim17ROCPRIM_400000_NS6detail17trampoline_kernelINS0_13select_configILj256ELj13ELNS0_17block_load_methodE3ELS4_3ELS4_3ELNS0_20block_scan_algorithmE0ELj4294967295EEENS1_25partition_config_selectorILNS1_17partition_subalgoE4EjNS0_10empty_typeEbEEZZNS1_14partition_implILS8_4ELb0ES6_15HIP_vector_typeIjLj2EENS0_17counting_iteratorIjlEEPS9_SG_NS0_5tupleIJPjSI_NS0_16reverse_iteratorISI_EEEEENSH_IJSG_SG_SG_EEES9_SI_JZNS1_25segmented_radix_sort_implINS0_14default_configELb0EPKsPsPKlPlN2at6native12_GLOBAL__N_18offset_tEEE10hipError_tPvRmT1_PNSt15iterator_traitsIS12_E10value_typeET2_T3_PNS13_IS18_E10value_typeET4_jRbjT5_S1E_jjP12ihipStream_tbEUljE_ZNSN_ISO_Lb0ESQ_SR_ST_SU_SY_EESZ_S10_S11_S12_S16_S17_S18_S1B_S1C_jS1D_jS1E_S1E_jjS1G_bEUljE0_EEESZ_S10_S11_S18_S1C_S1E_T6_T7_T9_mT8_S1G_bDpT10_ENKUlT_T0_E_clISt17integral_constantIbLb0EES1T_IbLb1EEEEDaS1P_S1Q_EUlS1P_E_NS1_11comp_targetILNS1_3genE3ELNS1_11target_archE908ELNS1_3gpuE7ELNS1_3repE0EEENS1_30default_config_static_selectorELNS0_4arch9wavefront6targetE0EEEvS12_.uses_vcc, 0
	.set _ZN7rocprim17ROCPRIM_400000_NS6detail17trampoline_kernelINS0_13select_configILj256ELj13ELNS0_17block_load_methodE3ELS4_3ELS4_3ELNS0_20block_scan_algorithmE0ELj4294967295EEENS1_25partition_config_selectorILNS1_17partition_subalgoE4EjNS0_10empty_typeEbEEZZNS1_14partition_implILS8_4ELb0ES6_15HIP_vector_typeIjLj2EENS0_17counting_iteratorIjlEEPS9_SG_NS0_5tupleIJPjSI_NS0_16reverse_iteratorISI_EEEEENSH_IJSG_SG_SG_EEES9_SI_JZNS1_25segmented_radix_sort_implINS0_14default_configELb0EPKsPsPKlPlN2at6native12_GLOBAL__N_18offset_tEEE10hipError_tPvRmT1_PNSt15iterator_traitsIS12_E10value_typeET2_T3_PNS13_IS18_E10value_typeET4_jRbjT5_S1E_jjP12ihipStream_tbEUljE_ZNSN_ISO_Lb0ESQ_SR_ST_SU_SY_EESZ_S10_S11_S12_S16_S17_S18_S1B_S1C_jS1D_jS1E_S1E_jjS1G_bEUljE0_EEESZ_S10_S11_S18_S1C_S1E_T6_T7_T9_mT8_S1G_bDpT10_ENKUlT_T0_E_clISt17integral_constantIbLb0EES1T_IbLb1EEEEDaS1P_S1Q_EUlS1P_E_NS1_11comp_targetILNS1_3genE3ELNS1_11target_archE908ELNS1_3gpuE7ELNS1_3repE0EEENS1_30default_config_static_selectorELNS0_4arch9wavefront6targetE0EEEvS12_.uses_flat_scratch, 0
	.set _ZN7rocprim17ROCPRIM_400000_NS6detail17trampoline_kernelINS0_13select_configILj256ELj13ELNS0_17block_load_methodE3ELS4_3ELS4_3ELNS0_20block_scan_algorithmE0ELj4294967295EEENS1_25partition_config_selectorILNS1_17partition_subalgoE4EjNS0_10empty_typeEbEEZZNS1_14partition_implILS8_4ELb0ES6_15HIP_vector_typeIjLj2EENS0_17counting_iteratorIjlEEPS9_SG_NS0_5tupleIJPjSI_NS0_16reverse_iteratorISI_EEEEENSH_IJSG_SG_SG_EEES9_SI_JZNS1_25segmented_radix_sort_implINS0_14default_configELb0EPKsPsPKlPlN2at6native12_GLOBAL__N_18offset_tEEE10hipError_tPvRmT1_PNSt15iterator_traitsIS12_E10value_typeET2_T3_PNS13_IS18_E10value_typeET4_jRbjT5_S1E_jjP12ihipStream_tbEUljE_ZNSN_ISO_Lb0ESQ_SR_ST_SU_SY_EESZ_S10_S11_S12_S16_S17_S18_S1B_S1C_jS1D_jS1E_S1E_jjS1G_bEUljE0_EEESZ_S10_S11_S18_S1C_S1E_T6_T7_T9_mT8_S1G_bDpT10_ENKUlT_T0_E_clISt17integral_constantIbLb0EES1T_IbLb1EEEEDaS1P_S1Q_EUlS1P_E_NS1_11comp_targetILNS1_3genE3ELNS1_11target_archE908ELNS1_3gpuE7ELNS1_3repE0EEENS1_30default_config_static_selectorELNS0_4arch9wavefront6targetE0EEEvS12_.has_dyn_sized_stack, 0
	.set _ZN7rocprim17ROCPRIM_400000_NS6detail17trampoline_kernelINS0_13select_configILj256ELj13ELNS0_17block_load_methodE3ELS4_3ELS4_3ELNS0_20block_scan_algorithmE0ELj4294967295EEENS1_25partition_config_selectorILNS1_17partition_subalgoE4EjNS0_10empty_typeEbEEZZNS1_14partition_implILS8_4ELb0ES6_15HIP_vector_typeIjLj2EENS0_17counting_iteratorIjlEEPS9_SG_NS0_5tupleIJPjSI_NS0_16reverse_iteratorISI_EEEEENSH_IJSG_SG_SG_EEES9_SI_JZNS1_25segmented_radix_sort_implINS0_14default_configELb0EPKsPsPKlPlN2at6native12_GLOBAL__N_18offset_tEEE10hipError_tPvRmT1_PNSt15iterator_traitsIS12_E10value_typeET2_T3_PNS13_IS18_E10value_typeET4_jRbjT5_S1E_jjP12ihipStream_tbEUljE_ZNSN_ISO_Lb0ESQ_SR_ST_SU_SY_EESZ_S10_S11_S12_S16_S17_S18_S1B_S1C_jS1D_jS1E_S1E_jjS1G_bEUljE0_EEESZ_S10_S11_S18_S1C_S1E_T6_T7_T9_mT8_S1G_bDpT10_ENKUlT_T0_E_clISt17integral_constantIbLb0EES1T_IbLb1EEEEDaS1P_S1Q_EUlS1P_E_NS1_11comp_targetILNS1_3genE3ELNS1_11target_archE908ELNS1_3gpuE7ELNS1_3repE0EEENS1_30default_config_static_selectorELNS0_4arch9wavefront6targetE0EEEvS12_.has_recursion, 0
	.set _ZN7rocprim17ROCPRIM_400000_NS6detail17trampoline_kernelINS0_13select_configILj256ELj13ELNS0_17block_load_methodE3ELS4_3ELS4_3ELNS0_20block_scan_algorithmE0ELj4294967295EEENS1_25partition_config_selectorILNS1_17partition_subalgoE4EjNS0_10empty_typeEbEEZZNS1_14partition_implILS8_4ELb0ES6_15HIP_vector_typeIjLj2EENS0_17counting_iteratorIjlEEPS9_SG_NS0_5tupleIJPjSI_NS0_16reverse_iteratorISI_EEEEENSH_IJSG_SG_SG_EEES9_SI_JZNS1_25segmented_radix_sort_implINS0_14default_configELb0EPKsPsPKlPlN2at6native12_GLOBAL__N_18offset_tEEE10hipError_tPvRmT1_PNSt15iterator_traitsIS12_E10value_typeET2_T3_PNS13_IS18_E10value_typeET4_jRbjT5_S1E_jjP12ihipStream_tbEUljE_ZNSN_ISO_Lb0ESQ_SR_ST_SU_SY_EESZ_S10_S11_S12_S16_S17_S18_S1B_S1C_jS1D_jS1E_S1E_jjS1G_bEUljE0_EEESZ_S10_S11_S18_S1C_S1E_T6_T7_T9_mT8_S1G_bDpT10_ENKUlT_T0_E_clISt17integral_constantIbLb0EES1T_IbLb1EEEEDaS1P_S1Q_EUlS1P_E_NS1_11comp_targetILNS1_3genE3ELNS1_11target_archE908ELNS1_3gpuE7ELNS1_3repE0EEENS1_30default_config_static_selectorELNS0_4arch9wavefront6targetE0EEEvS12_.has_indirect_call, 0
	.section	.AMDGPU.csdata,"",@progbits
; Kernel info:
; codeLenInByte = 0
; TotalNumSgprs: 0
; NumVgprs: 0
; ScratchSize: 0
; MemoryBound: 0
; FloatMode: 240
; IeeeMode: 1
; LDSByteSize: 0 bytes/workgroup (compile time only)
; SGPRBlocks: 0
; VGPRBlocks: 0
; NumSGPRsForWavesPerEU: 1
; NumVGPRsForWavesPerEU: 1
; Occupancy: 16
; WaveLimiterHint : 0
; COMPUTE_PGM_RSRC2:SCRATCH_EN: 0
; COMPUTE_PGM_RSRC2:USER_SGPR: 6
; COMPUTE_PGM_RSRC2:TRAP_HANDLER: 0
; COMPUTE_PGM_RSRC2:TGID_X_EN: 1
; COMPUTE_PGM_RSRC2:TGID_Y_EN: 0
; COMPUTE_PGM_RSRC2:TGID_Z_EN: 0
; COMPUTE_PGM_RSRC2:TIDIG_COMP_CNT: 0
	.section	.text._ZN7rocprim17ROCPRIM_400000_NS6detail17trampoline_kernelINS0_13select_configILj256ELj13ELNS0_17block_load_methodE3ELS4_3ELS4_3ELNS0_20block_scan_algorithmE0ELj4294967295EEENS1_25partition_config_selectorILNS1_17partition_subalgoE4EjNS0_10empty_typeEbEEZZNS1_14partition_implILS8_4ELb0ES6_15HIP_vector_typeIjLj2EENS0_17counting_iteratorIjlEEPS9_SG_NS0_5tupleIJPjSI_NS0_16reverse_iteratorISI_EEEEENSH_IJSG_SG_SG_EEES9_SI_JZNS1_25segmented_radix_sort_implINS0_14default_configELb0EPKsPsPKlPlN2at6native12_GLOBAL__N_18offset_tEEE10hipError_tPvRmT1_PNSt15iterator_traitsIS12_E10value_typeET2_T3_PNS13_IS18_E10value_typeET4_jRbjT5_S1E_jjP12ihipStream_tbEUljE_ZNSN_ISO_Lb0ESQ_SR_ST_SU_SY_EESZ_S10_S11_S12_S16_S17_S18_S1B_S1C_jS1D_jS1E_S1E_jjS1G_bEUljE0_EEESZ_S10_S11_S18_S1C_S1E_T6_T7_T9_mT8_S1G_bDpT10_ENKUlT_T0_E_clISt17integral_constantIbLb0EES1T_IbLb1EEEEDaS1P_S1Q_EUlS1P_E_NS1_11comp_targetILNS1_3genE2ELNS1_11target_archE906ELNS1_3gpuE6ELNS1_3repE0EEENS1_30default_config_static_selectorELNS0_4arch9wavefront6targetE0EEEvS12_,"axG",@progbits,_ZN7rocprim17ROCPRIM_400000_NS6detail17trampoline_kernelINS0_13select_configILj256ELj13ELNS0_17block_load_methodE3ELS4_3ELS4_3ELNS0_20block_scan_algorithmE0ELj4294967295EEENS1_25partition_config_selectorILNS1_17partition_subalgoE4EjNS0_10empty_typeEbEEZZNS1_14partition_implILS8_4ELb0ES6_15HIP_vector_typeIjLj2EENS0_17counting_iteratorIjlEEPS9_SG_NS0_5tupleIJPjSI_NS0_16reverse_iteratorISI_EEEEENSH_IJSG_SG_SG_EEES9_SI_JZNS1_25segmented_radix_sort_implINS0_14default_configELb0EPKsPsPKlPlN2at6native12_GLOBAL__N_18offset_tEEE10hipError_tPvRmT1_PNSt15iterator_traitsIS12_E10value_typeET2_T3_PNS13_IS18_E10value_typeET4_jRbjT5_S1E_jjP12ihipStream_tbEUljE_ZNSN_ISO_Lb0ESQ_SR_ST_SU_SY_EESZ_S10_S11_S12_S16_S17_S18_S1B_S1C_jS1D_jS1E_S1E_jjS1G_bEUljE0_EEESZ_S10_S11_S18_S1C_S1E_T6_T7_T9_mT8_S1G_bDpT10_ENKUlT_T0_E_clISt17integral_constantIbLb0EES1T_IbLb1EEEEDaS1P_S1Q_EUlS1P_E_NS1_11comp_targetILNS1_3genE2ELNS1_11target_archE906ELNS1_3gpuE6ELNS1_3repE0EEENS1_30default_config_static_selectorELNS0_4arch9wavefront6targetE0EEEvS12_,comdat
	.globl	_ZN7rocprim17ROCPRIM_400000_NS6detail17trampoline_kernelINS0_13select_configILj256ELj13ELNS0_17block_load_methodE3ELS4_3ELS4_3ELNS0_20block_scan_algorithmE0ELj4294967295EEENS1_25partition_config_selectorILNS1_17partition_subalgoE4EjNS0_10empty_typeEbEEZZNS1_14partition_implILS8_4ELb0ES6_15HIP_vector_typeIjLj2EENS0_17counting_iteratorIjlEEPS9_SG_NS0_5tupleIJPjSI_NS0_16reverse_iteratorISI_EEEEENSH_IJSG_SG_SG_EEES9_SI_JZNS1_25segmented_radix_sort_implINS0_14default_configELb0EPKsPsPKlPlN2at6native12_GLOBAL__N_18offset_tEEE10hipError_tPvRmT1_PNSt15iterator_traitsIS12_E10value_typeET2_T3_PNS13_IS18_E10value_typeET4_jRbjT5_S1E_jjP12ihipStream_tbEUljE_ZNSN_ISO_Lb0ESQ_SR_ST_SU_SY_EESZ_S10_S11_S12_S16_S17_S18_S1B_S1C_jS1D_jS1E_S1E_jjS1G_bEUljE0_EEESZ_S10_S11_S18_S1C_S1E_T6_T7_T9_mT8_S1G_bDpT10_ENKUlT_T0_E_clISt17integral_constantIbLb0EES1T_IbLb1EEEEDaS1P_S1Q_EUlS1P_E_NS1_11comp_targetILNS1_3genE2ELNS1_11target_archE906ELNS1_3gpuE6ELNS1_3repE0EEENS1_30default_config_static_selectorELNS0_4arch9wavefront6targetE0EEEvS12_ ; -- Begin function _ZN7rocprim17ROCPRIM_400000_NS6detail17trampoline_kernelINS0_13select_configILj256ELj13ELNS0_17block_load_methodE3ELS4_3ELS4_3ELNS0_20block_scan_algorithmE0ELj4294967295EEENS1_25partition_config_selectorILNS1_17partition_subalgoE4EjNS0_10empty_typeEbEEZZNS1_14partition_implILS8_4ELb0ES6_15HIP_vector_typeIjLj2EENS0_17counting_iteratorIjlEEPS9_SG_NS0_5tupleIJPjSI_NS0_16reverse_iteratorISI_EEEEENSH_IJSG_SG_SG_EEES9_SI_JZNS1_25segmented_radix_sort_implINS0_14default_configELb0EPKsPsPKlPlN2at6native12_GLOBAL__N_18offset_tEEE10hipError_tPvRmT1_PNSt15iterator_traitsIS12_E10value_typeET2_T3_PNS13_IS18_E10value_typeET4_jRbjT5_S1E_jjP12ihipStream_tbEUljE_ZNSN_ISO_Lb0ESQ_SR_ST_SU_SY_EESZ_S10_S11_S12_S16_S17_S18_S1B_S1C_jS1D_jS1E_S1E_jjS1G_bEUljE0_EEESZ_S10_S11_S18_S1C_S1E_T6_T7_T9_mT8_S1G_bDpT10_ENKUlT_T0_E_clISt17integral_constantIbLb0EES1T_IbLb1EEEEDaS1P_S1Q_EUlS1P_E_NS1_11comp_targetILNS1_3genE2ELNS1_11target_archE906ELNS1_3gpuE6ELNS1_3repE0EEENS1_30default_config_static_selectorELNS0_4arch9wavefront6targetE0EEEvS12_
	.p2align	8
	.type	_ZN7rocprim17ROCPRIM_400000_NS6detail17trampoline_kernelINS0_13select_configILj256ELj13ELNS0_17block_load_methodE3ELS4_3ELS4_3ELNS0_20block_scan_algorithmE0ELj4294967295EEENS1_25partition_config_selectorILNS1_17partition_subalgoE4EjNS0_10empty_typeEbEEZZNS1_14partition_implILS8_4ELb0ES6_15HIP_vector_typeIjLj2EENS0_17counting_iteratorIjlEEPS9_SG_NS0_5tupleIJPjSI_NS0_16reverse_iteratorISI_EEEEENSH_IJSG_SG_SG_EEES9_SI_JZNS1_25segmented_radix_sort_implINS0_14default_configELb0EPKsPsPKlPlN2at6native12_GLOBAL__N_18offset_tEEE10hipError_tPvRmT1_PNSt15iterator_traitsIS12_E10value_typeET2_T3_PNS13_IS18_E10value_typeET4_jRbjT5_S1E_jjP12ihipStream_tbEUljE_ZNSN_ISO_Lb0ESQ_SR_ST_SU_SY_EESZ_S10_S11_S12_S16_S17_S18_S1B_S1C_jS1D_jS1E_S1E_jjS1G_bEUljE0_EEESZ_S10_S11_S18_S1C_S1E_T6_T7_T9_mT8_S1G_bDpT10_ENKUlT_T0_E_clISt17integral_constantIbLb0EES1T_IbLb1EEEEDaS1P_S1Q_EUlS1P_E_NS1_11comp_targetILNS1_3genE2ELNS1_11target_archE906ELNS1_3gpuE6ELNS1_3repE0EEENS1_30default_config_static_selectorELNS0_4arch9wavefront6targetE0EEEvS12_,@function
_ZN7rocprim17ROCPRIM_400000_NS6detail17trampoline_kernelINS0_13select_configILj256ELj13ELNS0_17block_load_methodE3ELS4_3ELS4_3ELNS0_20block_scan_algorithmE0ELj4294967295EEENS1_25partition_config_selectorILNS1_17partition_subalgoE4EjNS0_10empty_typeEbEEZZNS1_14partition_implILS8_4ELb0ES6_15HIP_vector_typeIjLj2EENS0_17counting_iteratorIjlEEPS9_SG_NS0_5tupleIJPjSI_NS0_16reverse_iteratorISI_EEEEENSH_IJSG_SG_SG_EEES9_SI_JZNS1_25segmented_radix_sort_implINS0_14default_configELb0EPKsPsPKlPlN2at6native12_GLOBAL__N_18offset_tEEE10hipError_tPvRmT1_PNSt15iterator_traitsIS12_E10value_typeET2_T3_PNS13_IS18_E10value_typeET4_jRbjT5_S1E_jjP12ihipStream_tbEUljE_ZNSN_ISO_Lb0ESQ_SR_ST_SU_SY_EESZ_S10_S11_S12_S16_S17_S18_S1B_S1C_jS1D_jS1E_S1E_jjS1G_bEUljE0_EEESZ_S10_S11_S18_S1C_S1E_T6_T7_T9_mT8_S1G_bDpT10_ENKUlT_T0_E_clISt17integral_constantIbLb0EES1T_IbLb1EEEEDaS1P_S1Q_EUlS1P_E_NS1_11comp_targetILNS1_3genE2ELNS1_11target_archE906ELNS1_3gpuE6ELNS1_3repE0EEENS1_30default_config_static_selectorELNS0_4arch9wavefront6targetE0EEEvS12_: ; @_ZN7rocprim17ROCPRIM_400000_NS6detail17trampoline_kernelINS0_13select_configILj256ELj13ELNS0_17block_load_methodE3ELS4_3ELS4_3ELNS0_20block_scan_algorithmE0ELj4294967295EEENS1_25partition_config_selectorILNS1_17partition_subalgoE4EjNS0_10empty_typeEbEEZZNS1_14partition_implILS8_4ELb0ES6_15HIP_vector_typeIjLj2EENS0_17counting_iteratorIjlEEPS9_SG_NS0_5tupleIJPjSI_NS0_16reverse_iteratorISI_EEEEENSH_IJSG_SG_SG_EEES9_SI_JZNS1_25segmented_radix_sort_implINS0_14default_configELb0EPKsPsPKlPlN2at6native12_GLOBAL__N_18offset_tEEE10hipError_tPvRmT1_PNSt15iterator_traitsIS12_E10value_typeET2_T3_PNS13_IS18_E10value_typeET4_jRbjT5_S1E_jjP12ihipStream_tbEUljE_ZNSN_ISO_Lb0ESQ_SR_ST_SU_SY_EESZ_S10_S11_S12_S16_S17_S18_S1B_S1C_jS1D_jS1E_S1E_jjS1G_bEUljE0_EEESZ_S10_S11_S18_S1C_S1E_T6_T7_T9_mT8_S1G_bDpT10_ENKUlT_T0_E_clISt17integral_constantIbLb0EES1T_IbLb1EEEEDaS1P_S1Q_EUlS1P_E_NS1_11comp_targetILNS1_3genE2ELNS1_11target_archE906ELNS1_3gpuE6ELNS1_3repE0EEENS1_30default_config_static_selectorELNS0_4arch9wavefront6targetE0EEEvS12_
; %bb.0:
	.section	.rodata,"a",@progbits
	.p2align	6, 0x0
	.amdhsa_kernel _ZN7rocprim17ROCPRIM_400000_NS6detail17trampoline_kernelINS0_13select_configILj256ELj13ELNS0_17block_load_methodE3ELS4_3ELS4_3ELNS0_20block_scan_algorithmE0ELj4294967295EEENS1_25partition_config_selectorILNS1_17partition_subalgoE4EjNS0_10empty_typeEbEEZZNS1_14partition_implILS8_4ELb0ES6_15HIP_vector_typeIjLj2EENS0_17counting_iteratorIjlEEPS9_SG_NS0_5tupleIJPjSI_NS0_16reverse_iteratorISI_EEEEENSH_IJSG_SG_SG_EEES9_SI_JZNS1_25segmented_radix_sort_implINS0_14default_configELb0EPKsPsPKlPlN2at6native12_GLOBAL__N_18offset_tEEE10hipError_tPvRmT1_PNSt15iterator_traitsIS12_E10value_typeET2_T3_PNS13_IS18_E10value_typeET4_jRbjT5_S1E_jjP12ihipStream_tbEUljE_ZNSN_ISO_Lb0ESQ_SR_ST_SU_SY_EESZ_S10_S11_S12_S16_S17_S18_S1B_S1C_jS1D_jS1E_S1E_jjS1G_bEUljE0_EEESZ_S10_S11_S18_S1C_S1E_T6_T7_T9_mT8_S1G_bDpT10_ENKUlT_T0_E_clISt17integral_constantIbLb0EES1T_IbLb1EEEEDaS1P_S1Q_EUlS1P_E_NS1_11comp_targetILNS1_3genE2ELNS1_11target_archE906ELNS1_3gpuE6ELNS1_3repE0EEENS1_30default_config_static_selectorELNS0_4arch9wavefront6targetE0EEEvS12_
		.amdhsa_group_segment_fixed_size 0
		.amdhsa_private_segment_fixed_size 0
		.amdhsa_kernarg_size 184
		.amdhsa_user_sgpr_count 6
		.amdhsa_user_sgpr_private_segment_buffer 1
		.amdhsa_user_sgpr_dispatch_ptr 0
		.amdhsa_user_sgpr_queue_ptr 0
		.amdhsa_user_sgpr_kernarg_segment_ptr 1
		.amdhsa_user_sgpr_dispatch_id 0
		.amdhsa_user_sgpr_flat_scratch_init 0
		.amdhsa_user_sgpr_private_segment_size 0
		.amdhsa_wavefront_size32 1
		.amdhsa_uses_dynamic_stack 0
		.amdhsa_system_sgpr_private_segment_wavefront_offset 0
		.amdhsa_system_sgpr_workgroup_id_x 1
		.amdhsa_system_sgpr_workgroup_id_y 0
		.amdhsa_system_sgpr_workgroup_id_z 0
		.amdhsa_system_sgpr_workgroup_info 0
		.amdhsa_system_vgpr_workitem_id 0
		.amdhsa_next_free_vgpr 1
		.amdhsa_next_free_sgpr 1
		.amdhsa_reserve_vcc 0
		.amdhsa_reserve_flat_scratch 0
		.amdhsa_float_round_mode_32 0
		.amdhsa_float_round_mode_16_64 0
		.amdhsa_float_denorm_mode_32 3
		.amdhsa_float_denorm_mode_16_64 3
		.amdhsa_dx10_clamp 1
		.amdhsa_ieee_mode 1
		.amdhsa_fp16_overflow 0
		.amdhsa_workgroup_processor_mode 1
		.amdhsa_memory_ordered 1
		.amdhsa_forward_progress 1
		.amdhsa_shared_vgpr_count 0
		.amdhsa_exception_fp_ieee_invalid_op 0
		.amdhsa_exception_fp_denorm_src 0
		.amdhsa_exception_fp_ieee_div_zero 0
		.amdhsa_exception_fp_ieee_overflow 0
		.amdhsa_exception_fp_ieee_underflow 0
		.amdhsa_exception_fp_ieee_inexact 0
		.amdhsa_exception_int_div_zero 0
	.end_amdhsa_kernel
	.section	.text._ZN7rocprim17ROCPRIM_400000_NS6detail17trampoline_kernelINS0_13select_configILj256ELj13ELNS0_17block_load_methodE3ELS4_3ELS4_3ELNS0_20block_scan_algorithmE0ELj4294967295EEENS1_25partition_config_selectorILNS1_17partition_subalgoE4EjNS0_10empty_typeEbEEZZNS1_14partition_implILS8_4ELb0ES6_15HIP_vector_typeIjLj2EENS0_17counting_iteratorIjlEEPS9_SG_NS0_5tupleIJPjSI_NS0_16reverse_iteratorISI_EEEEENSH_IJSG_SG_SG_EEES9_SI_JZNS1_25segmented_radix_sort_implINS0_14default_configELb0EPKsPsPKlPlN2at6native12_GLOBAL__N_18offset_tEEE10hipError_tPvRmT1_PNSt15iterator_traitsIS12_E10value_typeET2_T3_PNS13_IS18_E10value_typeET4_jRbjT5_S1E_jjP12ihipStream_tbEUljE_ZNSN_ISO_Lb0ESQ_SR_ST_SU_SY_EESZ_S10_S11_S12_S16_S17_S18_S1B_S1C_jS1D_jS1E_S1E_jjS1G_bEUljE0_EEESZ_S10_S11_S18_S1C_S1E_T6_T7_T9_mT8_S1G_bDpT10_ENKUlT_T0_E_clISt17integral_constantIbLb0EES1T_IbLb1EEEEDaS1P_S1Q_EUlS1P_E_NS1_11comp_targetILNS1_3genE2ELNS1_11target_archE906ELNS1_3gpuE6ELNS1_3repE0EEENS1_30default_config_static_selectorELNS0_4arch9wavefront6targetE0EEEvS12_,"axG",@progbits,_ZN7rocprim17ROCPRIM_400000_NS6detail17trampoline_kernelINS0_13select_configILj256ELj13ELNS0_17block_load_methodE3ELS4_3ELS4_3ELNS0_20block_scan_algorithmE0ELj4294967295EEENS1_25partition_config_selectorILNS1_17partition_subalgoE4EjNS0_10empty_typeEbEEZZNS1_14partition_implILS8_4ELb0ES6_15HIP_vector_typeIjLj2EENS0_17counting_iteratorIjlEEPS9_SG_NS0_5tupleIJPjSI_NS0_16reverse_iteratorISI_EEEEENSH_IJSG_SG_SG_EEES9_SI_JZNS1_25segmented_radix_sort_implINS0_14default_configELb0EPKsPsPKlPlN2at6native12_GLOBAL__N_18offset_tEEE10hipError_tPvRmT1_PNSt15iterator_traitsIS12_E10value_typeET2_T3_PNS13_IS18_E10value_typeET4_jRbjT5_S1E_jjP12ihipStream_tbEUljE_ZNSN_ISO_Lb0ESQ_SR_ST_SU_SY_EESZ_S10_S11_S12_S16_S17_S18_S1B_S1C_jS1D_jS1E_S1E_jjS1G_bEUljE0_EEESZ_S10_S11_S18_S1C_S1E_T6_T7_T9_mT8_S1G_bDpT10_ENKUlT_T0_E_clISt17integral_constantIbLb0EES1T_IbLb1EEEEDaS1P_S1Q_EUlS1P_E_NS1_11comp_targetILNS1_3genE2ELNS1_11target_archE906ELNS1_3gpuE6ELNS1_3repE0EEENS1_30default_config_static_selectorELNS0_4arch9wavefront6targetE0EEEvS12_,comdat
.Lfunc_end971:
	.size	_ZN7rocprim17ROCPRIM_400000_NS6detail17trampoline_kernelINS0_13select_configILj256ELj13ELNS0_17block_load_methodE3ELS4_3ELS4_3ELNS0_20block_scan_algorithmE0ELj4294967295EEENS1_25partition_config_selectorILNS1_17partition_subalgoE4EjNS0_10empty_typeEbEEZZNS1_14partition_implILS8_4ELb0ES6_15HIP_vector_typeIjLj2EENS0_17counting_iteratorIjlEEPS9_SG_NS0_5tupleIJPjSI_NS0_16reverse_iteratorISI_EEEEENSH_IJSG_SG_SG_EEES9_SI_JZNS1_25segmented_radix_sort_implINS0_14default_configELb0EPKsPsPKlPlN2at6native12_GLOBAL__N_18offset_tEEE10hipError_tPvRmT1_PNSt15iterator_traitsIS12_E10value_typeET2_T3_PNS13_IS18_E10value_typeET4_jRbjT5_S1E_jjP12ihipStream_tbEUljE_ZNSN_ISO_Lb0ESQ_SR_ST_SU_SY_EESZ_S10_S11_S12_S16_S17_S18_S1B_S1C_jS1D_jS1E_S1E_jjS1G_bEUljE0_EEESZ_S10_S11_S18_S1C_S1E_T6_T7_T9_mT8_S1G_bDpT10_ENKUlT_T0_E_clISt17integral_constantIbLb0EES1T_IbLb1EEEEDaS1P_S1Q_EUlS1P_E_NS1_11comp_targetILNS1_3genE2ELNS1_11target_archE906ELNS1_3gpuE6ELNS1_3repE0EEENS1_30default_config_static_selectorELNS0_4arch9wavefront6targetE0EEEvS12_, .Lfunc_end971-_ZN7rocprim17ROCPRIM_400000_NS6detail17trampoline_kernelINS0_13select_configILj256ELj13ELNS0_17block_load_methodE3ELS4_3ELS4_3ELNS0_20block_scan_algorithmE0ELj4294967295EEENS1_25partition_config_selectorILNS1_17partition_subalgoE4EjNS0_10empty_typeEbEEZZNS1_14partition_implILS8_4ELb0ES6_15HIP_vector_typeIjLj2EENS0_17counting_iteratorIjlEEPS9_SG_NS0_5tupleIJPjSI_NS0_16reverse_iteratorISI_EEEEENSH_IJSG_SG_SG_EEES9_SI_JZNS1_25segmented_radix_sort_implINS0_14default_configELb0EPKsPsPKlPlN2at6native12_GLOBAL__N_18offset_tEEE10hipError_tPvRmT1_PNSt15iterator_traitsIS12_E10value_typeET2_T3_PNS13_IS18_E10value_typeET4_jRbjT5_S1E_jjP12ihipStream_tbEUljE_ZNSN_ISO_Lb0ESQ_SR_ST_SU_SY_EESZ_S10_S11_S12_S16_S17_S18_S1B_S1C_jS1D_jS1E_S1E_jjS1G_bEUljE0_EEESZ_S10_S11_S18_S1C_S1E_T6_T7_T9_mT8_S1G_bDpT10_ENKUlT_T0_E_clISt17integral_constantIbLb0EES1T_IbLb1EEEEDaS1P_S1Q_EUlS1P_E_NS1_11comp_targetILNS1_3genE2ELNS1_11target_archE906ELNS1_3gpuE6ELNS1_3repE0EEENS1_30default_config_static_selectorELNS0_4arch9wavefront6targetE0EEEvS12_
                                        ; -- End function
	.set _ZN7rocprim17ROCPRIM_400000_NS6detail17trampoline_kernelINS0_13select_configILj256ELj13ELNS0_17block_load_methodE3ELS4_3ELS4_3ELNS0_20block_scan_algorithmE0ELj4294967295EEENS1_25partition_config_selectorILNS1_17partition_subalgoE4EjNS0_10empty_typeEbEEZZNS1_14partition_implILS8_4ELb0ES6_15HIP_vector_typeIjLj2EENS0_17counting_iteratorIjlEEPS9_SG_NS0_5tupleIJPjSI_NS0_16reverse_iteratorISI_EEEEENSH_IJSG_SG_SG_EEES9_SI_JZNS1_25segmented_radix_sort_implINS0_14default_configELb0EPKsPsPKlPlN2at6native12_GLOBAL__N_18offset_tEEE10hipError_tPvRmT1_PNSt15iterator_traitsIS12_E10value_typeET2_T3_PNS13_IS18_E10value_typeET4_jRbjT5_S1E_jjP12ihipStream_tbEUljE_ZNSN_ISO_Lb0ESQ_SR_ST_SU_SY_EESZ_S10_S11_S12_S16_S17_S18_S1B_S1C_jS1D_jS1E_S1E_jjS1G_bEUljE0_EEESZ_S10_S11_S18_S1C_S1E_T6_T7_T9_mT8_S1G_bDpT10_ENKUlT_T0_E_clISt17integral_constantIbLb0EES1T_IbLb1EEEEDaS1P_S1Q_EUlS1P_E_NS1_11comp_targetILNS1_3genE2ELNS1_11target_archE906ELNS1_3gpuE6ELNS1_3repE0EEENS1_30default_config_static_selectorELNS0_4arch9wavefront6targetE0EEEvS12_.num_vgpr, 0
	.set _ZN7rocprim17ROCPRIM_400000_NS6detail17trampoline_kernelINS0_13select_configILj256ELj13ELNS0_17block_load_methodE3ELS4_3ELS4_3ELNS0_20block_scan_algorithmE0ELj4294967295EEENS1_25partition_config_selectorILNS1_17partition_subalgoE4EjNS0_10empty_typeEbEEZZNS1_14partition_implILS8_4ELb0ES6_15HIP_vector_typeIjLj2EENS0_17counting_iteratorIjlEEPS9_SG_NS0_5tupleIJPjSI_NS0_16reverse_iteratorISI_EEEEENSH_IJSG_SG_SG_EEES9_SI_JZNS1_25segmented_radix_sort_implINS0_14default_configELb0EPKsPsPKlPlN2at6native12_GLOBAL__N_18offset_tEEE10hipError_tPvRmT1_PNSt15iterator_traitsIS12_E10value_typeET2_T3_PNS13_IS18_E10value_typeET4_jRbjT5_S1E_jjP12ihipStream_tbEUljE_ZNSN_ISO_Lb0ESQ_SR_ST_SU_SY_EESZ_S10_S11_S12_S16_S17_S18_S1B_S1C_jS1D_jS1E_S1E_jjS1G_bEUljE0_EEESZ_S10_S11_S18_S1C_S1E_T6_T7_T9_mT8_S1G_bDpT10_ENKUlT_T0_E_clISt17integral_constantIbLb0EES1T_IbLb1EEEEDaS1P_S1Q_EUlS1P_E_NS1_11comp_targetILNS1_3genE2ELNS1_11target_archE906ELNS1_3gpuE6ELNS1_3repE0EEENS1_30default_config_static_selectorELNS0_4arch9wavefront6targetE0EEEvS12_.num_agpr, 0
	.set _ZN7rocprim17ROCPRIM_400000_NS6detail17trampoline_kernelINS0_13select_configILj256ELj13ELNS0_17block_load_methodE3ELS4_3ELS4_3ELNS0_20block_scan_algorithmE0ELj4294967295EEENS1_25partition_config_selectorILNS1_17partition_subalgoE4EjNS0_10empty_typeEbEEZZNS1_14partition_implILS8_4ELb0ES6_15HIP_vector_typeIjLj2EENS0_17counting_iteratorIjlEEPS9_SG_NS0_5tupleIJPjSI_NS0_16reverse_iteratorISI_EEEEENSH_IJSG_SG_SG_EEES9_SI_JZNS1_25segmented_radix_sort_implINS0_14default_configELb0EPKsPsPKlPlN2at6native12_GLOBAL__N_18offset_tEEE10hipError_tPvRmT1_PNSt15iterator_traitsIS12_E10value_typeET2_T3_PNS13_IS18_E10value_typeET4_jRbjT5_S1E_jjP12ihipStream_tbEUljE_ZNSN_ISO_Lb0ESQ_SR_ST_SU_SY_EESZ_S10_S11_S12_S16_S17_S18_S1B_S1C_jS1D_jS1E_S1E_jjS1G_bEUljE0_EEESZ_S10_S11_S18_S1C_S1E_T6_T7_T9_mT8_S1G_bDpT10_ENKUlT_T0_E_clISt17integral_constantIbLb0EES1T_IbLb1EEEEDaS1P_S1Q_EUlS1P_E_NS1_11comp_targetILNS1_3genE2ELNS1_11target_archE906ELNS1_3gpuE6ELNS1_3repE0EEENS1_30default_config_static_selectorELNS0_4arch9wavefront6targetE0EEEvS12_.numbered_sgpr, 0
	.set _ZN7rocprim17ROCPRIM_400000_NS6detail17trampoline_kernelINS0_13select_configILj256ELj13ELNS0_17block_load_methodE3ELS4_3ELS4_3ELNS0_20block_scan_algorithmE0ELj4294967295EEENS1_25partition_config_selectorILNS1_17partition_subalgoE4EjNS0_10empty_typeEbEEZZNS1_14partition_implILS8_4ELb0ES6_15HIP_vector_typeIjLj2EENS0_17counting_iteratorIjlEEPS9_SG_NS0_5tupleIJPjSI_NS0_16reverse_iteratorISI_EEEEENSH_IJSG_SG_SG_EEES9_SI_JZNS1_25segmented_radix_sort_implINS0_14default_configELb0EPKsPsPKlPlN2at6native12_GLOBAL__N_18offset_tEEE10hipError_tPvRmT1_PNSt15iterator_traitsIS12_E10value_typeET2_T3_PNS13_IS18_E10value_typeET4_jRbjT5_S1E_jjP12ihipStream_tbEUljE_ZNSN_ISO_Lb0ESQ_SR_ST_SU_SY_EESZ_S10_S11_S12_S16_S17_S18_S1B_S1C_jS1D_jS1E_S1E_jjS1G_bEUljE0_EEESZ_S10_S11_S18_S1C_S1E_T6_T7_T9_mT8_S1G_bDpT10_ENKUlT_T0_E_clISt17integral_constantIbLb0EES1T_IbLb1EEEEDaS1P_S1Q_EUlS1P_E_NS1_11comp_targetILNS1_3genE2ELNS1_11target_archE906ELNS1_3gpuE6ELNS1_3repE0EEENS1_30default_config_static_selectorELNS0_4arch9wavefront6targetE0EEEvS12_.num_named_barrier, 0
	.set _ZN7rocprim17ROCPRIM_400000_NS6detail17trampoline_kernelINS0_13select_configILj256ELj13ELNS0_17block_load_methodE3ELS4_3ELS4_3ELNS0_20block_scan_algorithmE0ELj4294967295EEENS1_25partition_config_selectorILNS1_17partition_subalgoE4EjNS0_10empty_typeEbEEZZNS1_14partition_implILS8_4ELb0ES6_15HIP_vector_typeIjLj2EENS0_17counting_iteratorIjlEEPS9_SG_NS0_5tupleIJPjSI_NS0_16reverse_iteratorISI_EEEEENSH_IJSG_SG_SG_EEES9_SI_JZNS1_25segmented_radix_sort_implINS0_14default_configELb0EPKsPsPKlPlN2at6native12_GLOBAL__N_18offset_tEEE10hipError_tPvRmT1_PNSt15iterator_traitsIS12_E10value_typeET2_T3_PNS13_IS18_E10value_typeET4_jRbjT5_S1E_jjP12ihipStream_tbEUljE_ZNSN_ISO_Lb0ESQ_SR_ST_SU_SY_EESZ_S10_S11_S12_S16_S17_S18_S1B_S1C_jS1D_jS1E_S1E_jjS1G_bEUljE0_EEESZ_S10_S11_S18_S1C_S1E_T6_T7_T9_mT8_S1G_bDpT10_ENKUlT_T0_E_clISt17integral_constantIbLb0EES1T_IbLb1EEEEDaS1P_S1Q_EUlS1P_E_NS1_11comp_targetILNS1_3genE2ELNS1_11target_archE906ELNS1_3gpuE6ELNS1_3repE0EEENS1_30default_config_static_selectorELNS0_4arch9wavefront6targetE0EEEvS12_.private_seg_size, 0
	.set _ZN7rocprim17ROCPRIM_400000_NS6detail17trampoline_kernelINS0_13select_configILj256ELj13ELNS0_17block_load_methodE3ELS4_3ELS4_3ELNS0_20block_scan_algorithmE0ELj4294967295EEENS1_25partition_config_selectorILNS1_17partition_subalgoE4EjNS0_10empty_typeEbEEZZNS1_14partition_implILS8_4ELb0ES6_15HIP_vector_typeIjLj2EENS0_17counting_iteratorIjlEEPS9_SG_NS0_5tupleIJPjSI_NS0_16reverse_iteratorISI_EEEEENSH_IJSG_SG_SG_EEES9_SI_JZNS1_25segmented_radix_sort_implINS0_14default_configELb0EPKsPsPKlPlN2at6native12_GLOBAL__N_18offset_tEEE10hipError_tPvRmT1_PNSt15iterator_traitsIS12_E10value_typeET2_T3_PNS13_IS18_E10value_typeET4_jRbjT5_S1E_jjP12ihipStream_tbEUljE_ZNSN_ISO_Lb0ESQ_SR_ST_SU_SY_EESZ_S10_S11_S12_S16_S17_S18_S1B_S1C_jS1D_jS1E_S1E_jjS1G_bEUljE0_EEESZ_S10_S11_S18_S1C_S1E_T6_T7_T9_mT8_S1G_bDpT10_ENKUlT_T0_E_clISt17integral_constantIbLb0EES1T_IbLb1EEEEDaS1P_S1Q_EUlS1P_E_NS1_11comp_targetILNS1_3genE2ELNS1_11target_archE906ELNS1_3gpuE6ELNS1_3repE0EEENS1_30default_config_static_selectorELNS0_4arch9wavefront6targetE0EEEvS12_.uses_vcc, 0
	.set _ZN7rocprim17ROCPRIM_400000_NS6detail17trampoline_kernelINS0_13select_configILj256ELj13ELNS0_17block_load_methodE3ELS4_3ELS4_3ELNS0_20block_scan_algorithmE0ELj4294967295EEENS1_25partition_config_selectorILNS1_17partition_subalgoE4EjNS0_10empty_typeEbEEZZNS1_14partition_implILS8_4ELb0ES6_15HIP_vector_typeIjLj2EENS0_17counting_iteratorIjlEEPS9_SG_NS0_5tupleIJPjSI_NS0_16reverse_iteratorISI_EEEEENSH_IJSG_SG_SG_EEES9_SI_JZNS1_25segmented_radix_sort_implINS0_14default_configELb0EPKsPsPKlPlN2at6native12_GLOBAL__N_18offset_tEEE10hipError_tPvRmT1_PNSt15iterator_traitsIS12_E10value_typeET2_T3_PNS13_IS18_E10value_typeET4_jRbjT5_S1E_jjP12ihipStream_tbEUljE_ZNSN_ISO_Lb0ESQ_SR_ST_SU_SY_EESZ_S10_S11_S12_S16_S17_S18_S1B_S1C_jS1D_jS1E_S1E_jjS1G_bEUljE0_EEESZ_S10_S11_S18_S1C_S1E_T6_T7_T9_mT8_S1G_bDpT10_ENKUlT_T0_E_clISt17integral_constantIbLb0EES1T_IbLb1EEEEDaS1P_S1Q_EUlS1P_E_NS1_11comp_targetILNS1_3genE2ELNS1_11target_archE906ELNS1_3gpuE6ELNS1_3repE0EEENS1_30default_config_static_selectorELNS0_4arch9wavefront6targetE0EEEvS12_.uses_flat_scratch, 0
	.set _ZN7rocprim17ROCPRIM_400000_NS6detail17trampoline_kernelINS0_13select_configILj256ELj13ELNS0_17block_load_methodE3ELS4_3ELS4_3ELNS0_20block_scan_algorithmE0ELj4294967295EEENS1_25partition_config_selectorILNS1_17partition_subalgoE4EjNS0_10empty_typeEbEEZZNS1_14partition_implILS8_4ELb0ES6_15HIP_vector_typeIjLj2EENS0_17counting_iteratorIjlEEPS9_SG_NS0_5tupleIJPjSI_NS0_16reverse_iteratorISI_EEEEENSH_IJSG_SG_SG_EEES9_SI_JZNS1_25segmented_radix_sort_implINS0_14default_configELb0EPKsPsPKlPlN2at6native12_GLOBAL__N_18offset_tEEE10hipError_tPvRmT1_PNSt15iterator_traitsIS12_E10value_typeET2_T3_PNS13_IS18_E10value_typeET4_jRbjT5_S1E_jjP12ihipStream_tbEUljE_ZNSN_ISO_Lb0ESQ_SR_ST_SU_SY_EESZ_S10_S11_S12_S16_S17_S18_S1B_S1C_jS1D_jS1E_S1E_jjS1G_bEUljE0_EEESZ_S10_S11_S18_S1C_S1E_T6_T7_T9_mT8_S1G_bDpT10_ENKUlT_T0_E_clISt17integral_constantIbLb0EES1T_IbLb1EEEEDaS1P_S1Q_EUlS1P_E_NS1_11comp_targetILNS1_3genE2ELNS1_11target_archE906ELNS1_3gpuE6ELNS1_3repE0EEENS1_30default_config_static_selectorELNS0_4arch9wavefront6targetE0EEEvS12_.has_dyn_sized_stack, 0
	.set _ZN7rocprim17ROCPRIM_400000_NS6detail17trampoline_kernelINS0_13select_configILj256ELj13ELNS0_17block_load_methodE3ELS4_3ELS4_3ELNS0_20block_scan_algorithmE0ELj4294967295EEENS1_25partition_config_selectorILNS1_17partition_subalgoE4EjNS0_10empty_typeEbEEZZNS1_14partition_implILS8_4ELb0ES6_15HIP_vector_typeIjLj2EENS0_17counting_iteratorIjlEEPS9_SG_NS0_5tupleIJPjSI_NS0_16reverse_iteratorISI_EEEEENSH_IJSG_SG_SG_EEES9_SI_JZNS1_25segmented_radix_sort_implINS0_14default_configELb0EPKsPsPKlPlN2at6native12_GLOBAL__N_18offset_tEEE10hipError_tPvRmT1_PNSt15iterator_traitsIS12_E10value_typeET2_T3_PNS13_IS18_E10value_typeET4_jRbjT5_S1E_jjP12ihipStream_tbEUljE_ZNSN_ISO_Lb0ESQ_SR_ST_SU_SY_EESZ_S10_S11_S12_S16_S17_S18_S1B_S1C_jS1D_jS1E_S1E_jjS1G_bEUljE0_EEESZ_S10_S11_S18_S1C_S1E_T6_T7_T9_mT8_S1G_bDpT10_ENKUlT_T0_E_clISt17integral_constantIbLb0EES1T_IbLb1EEEEDaS1P_S1Q_EUlS1P_E_NS1_11comp_targetILNS1_3genE2ELNS1_11target_archE906ELNS1_3gpuE6ELNS1_3repE0EEENS1_30default_config_static_selectorELNS0_4arch9wavefront6targetE0EEEvS12_.has_recursion, 0
	.set _ZN7rocprim17ROCPRIM_400000_NS6detail17trampoline_kernelINS0_13select_configILj256ELj13ELNS0_17block_load_methodE3ELS4_3ELS4_3ELNS0_20block_scan_algorithmE0ELj4294967295EEENS1_25partition_config_selectorILNS1_17partition_subalgoE4EjNS0_10empty_typeEbEEZZNS1_14partition_implILS8_4ELb0ES6_15HIP_vector_typeIjLj2EENS0_17counting_iteratorIjlEEPS9_SG_NS0_5tupleIJPjSI_NS0_16reverse_iteratorISI_EEEEENSH_IJSG_SG_SG_EEES9_SI_JZNS1_25segmented_radix_sort_implINS0_14default_configELb0EPKsPsPKlPlN2at6native12_GLOBAL__N_18offset_tEEE10hipError_tPvRmT1_PNSt15iterator_traitsIS12_E10value_typeET2_T3_PNS13_IS18_E10value_typeET4_jRbjT5_S1E_jjP12ihipStream_tbEUljE_ZNSN_ISO_Lb0ESQ_SR_ST_SU_SY_EESZ_S10_S11_S12_S16_S17_S18_S1B_S1C_jS1D_jS1E_S1E_jjS1G_bEUljE0_EEESZ_S10_S11_S18_S1C_S1E_T6_T7_T9_mT8_S1G_bDpT10_ENKUlT_T0_E_clISt17integral_constantIbLb0EES1T_IbLb1EEEEDaS1P_S1Q_EUlS1P_E_NS1_11comp_targetILNS1_3genE2ELNS1_11target_archE906ELNS1_3gpuE6ELNS1_3repE0EEENS1_30default_config_static_selectorELNS0_4arch9wavefront6targetE0EEEvS12_.has_indirect_call, 0
	.section	.AMDGPU.csdata,"",@progbits
; Kernel info:
; codeLenInByte = 0
; TotalNumSgprs: 0
; NumVgprs: 0
; ScratchSize: 0
; MemoryBound: 0
; FloatMode: 240
; IeeeMode: 1
; LDSByteSize: 0 bytes/workgroup (compile time only)
; SGPRBlocks: 0
; VGPRBlocks: 0
; NumSGPRsForWavesPerEU: 1
; NumVGPRsForWavesPerEU: 1
; Occupancy: 16
; WaveLimiterHint : 0
; COMPUTE_PGM_RSRC2:SCRATCH_EN: 0
; COMPUTE_PGM_RSRC2:USER_SGPR: 6
; COMPUTE_PGM_RSRC2:TRAP_HANDLER: 0
; COMPUTE_PGM_RSRC2:TGID_X_EN: 1
; COMPUTE_PGM_RSRC2:TGID_Y_EN: 0
; COMPUTE_PGM_RSRC2:TGID_Z_EN: 0
; COMPUTE_PGM_RSRC2:TIDIG_COMP_CNT: 0
	.section	.text._ZN7rocprim17ROCPRIM_400000_NS6detail17trampoline_kernelINS0_13select_configILj256ELj13ELNS0_17block_load_methodE3ELS4_3ELS4_3ELNS0_20block_scan_algorithmE0ELj4294967295EEENS1_25partition_config_selectorILNS1_17partition_subalgoE4EjNS0_10empty_typeEbEEZZNS1_14partition_implILS8_4ELb0ES6_15HIP_vector_typeIjLj2EENS0_17counting_iteratorIjlEEPS9_SG_NS0_5tupleIJPjSI_NS0_16reverse_iteratorISI_EEEEENSH_IJSG_SG_SG_EEES9_SI_JZNS1_25segmented_radix_sort_implINS0_14default_configELb0EPKsPsPKlPlN2at6native12_GLOBAL__N_18offset_tEEE10hipError_tPvRmT1_PNSt15iterator_traitsIS12_E10value_typeET2_T3_PNS13_IS18_E10value_typeET4_jRbjT5_S1E_jjP12ihipStream_tbEUljE_ZNSN_ISO_Lb0ESQ_SR_ST_SU_SY_EESZ_S10_S11_S12_S16_S17_S18_S1B_S1C_jS1D_jS1E_S1E_jjS1G_bEUljE0_EEESZ_S10_S11_S18_S1C_S1E_T6_T7_T9_mT8_S1G_bDpT10_ENKUlT_T0_E_clISt17integral_constantIbLb0EES1T_IbLb1EEEEDaS1P_S1Q_EUlS1P_E_NS1_11comp_targetILNS1_3genE10ELNS1_11target_archE1200ELNS1_3gpuE4ELNS1_3repE0EEENS1_30default_config_static_selectorELNS0_4arch9wavefront6targetE0EEEvS12_,"axG",@progbits,_ZN7rocprim17ROCPRIM_400000_NS6detail17trampoline_kernelINS0_13select_configILj256ELj13ELNS0_17block_load_methodE3ELS4_3ELS4_3ELNS0_20block_scan_algorithmE0ELj4294967295EEENS1_25partition_config_selectorILNS1_17partition_subalgoE4EjNS0_10empty_typeEbEEZZNS1_14partition_implILS8_4ELb0ES6_15HIP_vector_typeIjLj2EENS0_17counting_iteratorIjlEEPS9_SG_NS0_5tupleIJPjSI_NS0_16reverse_iteratorISI_EEEEENSH_IJSG_SG_SG_EEES9_SI_JZNS1_25segmented_radix_sort_implINS0_14default_configELb0EPKsPsPKlPlN2at6native12_GLOBAL__N_18offset_tEEE10hipError_tPvRmT1_PNSt15iterator_traitsIS12_E10value_typeET2_T3_PNS13_IS18_E10value_typeET4_jRbjT5_S1E_jjP12ihipStream_tbEUljE_ZNSN_ISO_Lb0ESQ_SR_ST_SU_SY_EESZ_S10_S11_S12_S16_S17_S18_S1B_S1C_jS1D_jS1E_S1E_jjS1G_bEUljE0_EEESZ_S10_S11_S18_S1C_S1E_T6_T7_T9_mT8_S1G_bDpT10_ENKUlT_T0_E_clISt17integral_constantIbLb0EES1T_IbLb1EEEEDaS1P_S1Q_EUlS1P_E_NS1_11comp_targetILNS1_3genE10ELNS1_11target_archE1200ELNS1_3gpuE4ELNS1_3repE0EEENS1_30default_config_static_selectorELNS0_4arch9wavefront6targetE0EEEvS12_,comdat
	.globl	_ZN7rocprim17ROCPRIM_400000_NS6detail17trampoline_kernelINS0_13select_configILj256ELj13ELNS0_17block_load_methodE3ELS4_3ELS4_3ELNS0_20block_scan_algorithmE0ELj4294967295EEENS1_25partition_config_selectorILNS1_17partition_subalgoE4EjNS0_10empty_typeEbEEZZNS1_14partition_implILS8_4ELb0ES6_15HIP_vector_typeIjLj2EENS0_17counting_iteratorIjlEEPS9_SG_NS0_5tupleIJPjSI_NS0_16reverse_iteratorISI_EEEEENSH_IJSG_SG_SG_EEES9_SI_JZNS1_25segmented_radix_sort_implINS0_14default_configELb0EPKsPsPKlPlN2at6native12_GLOBAL__N_18offset_tEEE10hipError_tPvRmT1_PNSt15iterator_traitsIS12_E10value_typeET2_T3_PNS13_IS18_E10value_typeET4_jRbjT5_S1E_jjP12ihipStream_tbEUljE_ZNSN_ISO_Lb0ESQ_SR_ST_SU_SY_EESZ_S10_S11_S12_S16_S17_S18_S1B_S1C_jS1D_jS1E_S1E_jjS1G_bEUljE0_EEESZ_S10_S11_S18_S1C_S1E_T6_T7_T9_mT8_S1G_bDpT10_ENKUlT_T0_E_clISt17integral_constantIbLb0EES1T_IbLb1EEEEDaS1P_S1Q_EUlS1P_E_NS1_11comp_targetILNS1_3genE10ELNS1_11target_archE1200ELNS1_3gpuE4ELNS1_3repE0EEENS1_30default_config_static_selectorELNS0_4arch9wavefront6targetE0EEEvS12_ ; -- Begin function _ZN7rocprim17ROCPRIM_400000_NS6detail17trampoline_kernelINS0_13select_configILj256ELj13ELNS0_17block_load_methodE3ELS4_3ELS4_3ELNS0_20block_scan_algorithmE0ELj4294967295EEENS1_25partition_config_selectorILNS1_17partition_subalgoE4EjNS0_10empty_typeEbEEZZNS1_14partition_implILS8_4ELb0ES6_15HIP_vector_typeIjLj2EENS0_17counting_iteratorIjlEEPS9_SG_NS0_5tupleIJPjSI_NS0_16reverse_iteratorISI_EEEEENSH_IJSG_SG_SG_EEES9_SI_JZNS1_25segmented_radix_sort_implINS0_14default_configELb0EPKsPsPKlPlN2at6native12_GLOBAL__N_18offset_tEEE10hipError_tPvRmT1_PNSt15iterator_traitsIS12_E10value_typeET2_T3_PNS13_IS18_E10value_typeET4_jRbjT5_S1E_jjP12ihipStream_tbEUljE_ZNSN_ISO_Lb0ESQ_SR_ST_SU_SY_EESZ_S10_S11_S12_S16_S17_S18_S1B_S1C_jS1D_jS1E_S1E_jjS1G_bEUljE0_EEESZ_S10_S11_S18_S1C_S1E_T6_T7_T9_mT8_S1G_bDpT10_ENKUlT_T0_E_clISt17integral_constantIbLb0EES1T_IbLb1EEEEDaS1P_S1Q_EUlS1P_E_NS1_11comp_targetILNS1_3genE10ELNS1_11target_archE1200ELNS1_3gpuE4ELNS1_3repE0EEENS1_30default_config_static_selectorELNS0_4arch9wavefront6targetE0EEEvS12_
	.p2align	8
	.type	_ZN7rocprim17ROCPRIM_400000_NS6detail17trampoline_kernelINS0_13select_configILj256ELj13ELNS0_17block_load_methodE3ELS4_3ELS4_3ELNS0_20block_scan_algorithmE0ELj4294967295EEENS1_25partition_config_selectorILNS1_17partition_subalgoE4EjNS0_10empty_typeEbEEZZNS1_14partition_implILS8_4ELb0ES6_15HIP_vector_typeIjLj2EENS0_17counting_iteratorIjlEEPS9_SG_NS0_5tupleIJPjSI_NS0_16reverse_iteratorISI_EEEEENSH_IJSG_SG_SG_EEES9_SI_JZNS1_25segmented_radix_sort_implINS0_14default_configELb0EPKsPsPKlPlN2at6native12_GLOBAL__N_18offset_tEEE10hipError_tPvRmT1_PNSt15iterator_traitsIS12_E10value_typeET2_T3_PNS13_IS18_E10value_typeET4_jRbjT5_S1E_jjP12ihipStream_tbEUljE_ZNSN_ISO_Lb0ESQ_SR_ST_SU_SY_EESZ_S10_S11_S12_S16_S17_S18_S1B_S1C_jS1D_jS1E_S1E_jjS1G_bEUljE0_EEESZ_S10_S11_S18_S1C_S1E_T6_T7_T9_mT8_S1G_bDpT10_ENKUlT_T0_E_clISt17integral_constantIbLb0EES1T_IbLb1EEEEDaS1P_S1Q_EUlS1P_E_NS1_11comp_targetILNS1_3genE10ELNS1_11target_archE1200ELNS1_3gpuE4ELNS1_3repE0EEENS1_30default_config_static_selectorELNS0_4arch9wavefront6targetE0EEEvS12_,@function
_ZN7rocprim17ROCPRIM_400000_NS6detail17trampoline_kernelINS0_13select_configILj256ELj13ELNS0_17block_load_methodE3ELS4_3ELS4_3ELNS0_20block_scan_algorithmE0ELj4294967295EEENS1_25partition_config_selectorILNS1_17partition_subalgoE4EjNS0_10empty_typeEbEEZZNS1_14partition_implILS8_4ELb0ES6_15HIP_vector_typeIjLj2EENS0_17counting_iteratorIjlEEPS9_SG_NS0_5tupleIJPjSI_NS0_16reverse_iteratorISI_EEEEENSH_IJSG_SG_SG_EEES9_SI_JZNS1_25segmented_radix_sort_implINS0_14default_configELb0EPKsPsPKlPlN2at6native12_GLOBAL__N_18offset_tEEE10hipError_tPvRmT1_PNSt15iterator_traitsIS12_E10value_typeET2_T3_PNS13_IS18_E10value_typeET4_jRbjT5_S1E_jjP12ihipStream_tbEUljE_ZNSN_ISO_Lb0ESQ_SR_ST_SU_SY_EESZ_S10_S11_S12_S16_S17_S18_S1B_S1C_jS1D_jS1E_S1E_jjS1G_bEUljE0_EEESZ_S10_S11_S18_S1C_S1E_T6_T7_T9_mT8_S1G_bDpT10_ENKUlT_T0_E_clISt17integral_constantIbLb0EES1T_IbLb1EEEEDaS1P_S1Q_EUlS1P_E_NS1_11comp_targetILNS1_3genE10ELNS1_11target_archE1200ELNS1_3gpuE4ELNS1_3repE0EEENS1_30default_config_static_selectorELNS0_4arch9wavefront6targetE0EEEvS12_: ; @_ZN7rocprim17ROCPRIM_400000_NS6detail17trampoline_kernelINS0_13select_configILj256ELj13ELNS0_17block_load_methodE3ELS4_3ELS4_3ELNS0_20block_scan_algorithmE0ELj4294967295EEENS1_25partition_config_selectorILNS1_17partition_subalgoE4EjNS0_10empty_typeEbEEZZNS1_14partition_implILS8_4ELb0ES6_15HIP_vector_typeIjLj2EENS0_17counting_iteratorIjlEEPS9_SG_NS0_5tupleIJPjSI_NS0_16reverse_iteratorISI_EEEEENSH_IJSG_SG_SG_EEES9_SI_JZNS1_25segmented_radix_sort_implINS0_14default_configELb0EPKsPsPKlPlN2at6native12_GLOBAL__N_18offset_tEEE10hipError_tPvRmT1_PNSt15iterator_traitsIS12_E10value_typeET2_T3_PNS13_IS18_E10value_typeET4_jRbjT5_S1E_jjP12ihipStream_tbEUljE_ZNSN_ISO_Lb0ESQ_SR_ST_SU_SY_EESZ_S10_S11_S12_S16_S17_S18_S1B_S1C_jS1D_jS1E_S1E_jjS1G_bEUljE0_EEESZ_S10_S11_S18_S1C_S1E_T6_T7_T9_mT8_S1G_bDpT10_ENKUlT_T0_E_clISt17integral_constantIbLb0EES1T_IbLb1EEEEDaS1P_S1Q_EUlS1P_E_NS1_11comp_targetILNS1_3genE10ELNS1_11target_archE1200ELNS1_3gpuE4ELNS1_3repE0EEENS1_30default_config_static_selectorELNS0_4arch9wavefront6targetE0EEEvS12_
; %bb.0:
	.section	.rodata,"a",@progbits
	.p2align	6, 0x0
	.amdhsa_kernel _ZN7rocprim17ROCPRIM_400000_NS6detail17trampoline_kernelINS0_13select_configILj256ELj13ELNS0_17block_load_methodE3ELS4_3ELS4_3ELNS0_20block_scan_algorithmE0ELj4294967295EEENS1_25partition_config_selectorILNS1_17partition_subalgoE4EjNS0_10empty_typeEbEEZZNS1_14partition_implILS8_4ELb0ES6_15HIP_vector_typeIjLj2EENS0_17counting_iteratorIjlEEPS9_SG_NS0_5tupleIJPjSI_NS0_16reverse_iteratorISI_EEEEENSH_IJSG_SG_SG_EEES9_SI_JZNS1_25segmented_radix_sort_implINS0_14default_configELb0EPKsPsPKlPlN2at6native12_GLOBAL__N_18offset_tEEE10hipError_tPvRmT1_PNSt15iterator_traitsIS12_E10value_typeET2_T3_PNS13_IS18_E10value_typeET4_jRbjT5_S1E_jjP12ihipStream_tbEUljE_ZNSN_ISO_Lb0ESQ_SR_ST_SU_SY_EESZ_S10_S11_S12_S16_S17_S18_S1B_S1C_jS1D_jS1E_S1E_jjS1G_bEUljE0_EEESZ_S10_S11_S18_S1C_S1E_T6_T7_T9_mT8_S1G_bDpT10_ENKUlT_T0_E_clISt17integral_constantIbLb0EES1T_IbLb1EEEEDaS1P_S1Q_EUlS1P_E_NS1_11comp_targetILNS1_3genE10ELNS1_11target_archE1200ELNS1_3gpuE4ELNS1_3repE0EEENS1_30default_config_static_selectorELNS0_4arch9wavefront6targetE0EEEvS12_
		.amdhsa_group_segment_fixed_size 0
		.amdhsa_private_segment_fixed_size 0
		.amdhsa_kernarg_size 184
		.amdhsa_user_sgpr_count 6
		.amdhsa_user_sgpr_private_segment_buffer 1
		.amdhsa_user_sgpr_dispatch_ptr 0
		.amdhsa_user_sgpr_queue_ptr 0
		.amdhsa_user_sgpr_kernarg_segment_ptr 1
		.amdhsa_user_sgpr_dispatch_id 0
		.amdhsa_user_sgpr_flat_scratch_init 0
		.amdhsa_user_sgpr_private_segment_size 0
		.amdhsa_wavefront_size32 1
		.amdhsa_uses_dynamic_stack 0
		.amdhsa_system_sgpr_private_segment_wavefront_offset 0
		.amdhsa_system_sgpr_workgroup_id_x 1
		.amdhsa_system_sgpr_workgroup_id_y 0
		.amdhsa_system_sgpr_workgroup_id_z 0
		.amdhsa_system_sgpr_workgroup_info 0
		.amdhsa_system_vgpr_workitem_id 0
		.amdhsa_next_free_vgpr 1
		.amdhsa_next_free_sgpr 1
		.amdhsa_reserve_vcc 0
		.amdhsa_reserve_flat_scratch 0
		.amdhsa_float_round_mode_32 0
		.amdhsa_float_round_mode_16_64 0
		.amdhsa_float_denorm_mode_32 3
		.amdhsa_float_denorm_mode_16_64 3
		.amdhsa_dx10_clamp 1
		.amdhsa_ieee_mode 1
		.amdhsa_fp16_overflow 0
		.amdhsa_workgroup_processor_mode 1
		.amdhsa_memory_ordered 1
		.amdhsa_forward_progress 1
		.amdhsa_shared_vgpr_count 0
		.amdhsa_exception_fp_ieee_invalid_op 0
		.amdhsa_exception_fp_denorm_src 0
		.amdhsa_exception_fp_ieee_div_zero 0
		.amdhsa_exception_fp_ieee_overflow 0
		.amdhsa_exception_fp_ieee_underflow 0
		.amdhsa_exception_fp_ieee_inexact 0
		.amdhsa_exception_int_div_zero 0
	.end_amdhsa_kernel
	.section	.text._ZN7rocprim17ROCPRIM_400000_NS6detail17trampoline_kernelINS0_13select_configILj256ELj13ELNS0_17block_load_methodE3ELS4_3ELS4_3ELNS0_20block_scan_algorithmE0ELj4294967295EEENS1_25partition_config_selectorILNS1_17partition_subalgoE4EjNS0_10empty_typeEbEEZZNS1_14partition_implILS8_4ELb0ES6_15HIP_vector_typeIjLj2EENS0_17counting_iteratorIjlEEPS9_SG_NS0_5tupleIJPjSI_NS0_16reverse_iteratorISI_EEEEENSH_IJSG_SG_SG_EEES9_SI_JZNS1_25segmented_radix_sort_implINS0_14default_configELb0EPKsPsPKlPlN2at6native12_GLOBAL__N_18offset_tEEE10hipError_tPvRmT1_PNSt15iterator_traitsIS12_E10value_typeET2_T3_PNS13_IS18_E10value_typeET4_jRbjT5_S1E_jjP12ihipStream_tbEUljE_ZNSN_ISO_Lb0ESQ_SR_ST_SU_SY_EESZ_S10_S11_S12_S16_S17_S18_S1B_S1C_jS1D_jS1E_S1E_jjS1G_bEUljE0_EEESZ_S10_S11_S18_S1C_S1E_T6_T7_T9_mT8_S1G_bDpT10_ENKUlT_T0_E_clISt17integral_constantIbLb0EES1T_IbLb1EEEEDaS1P_S1Q_EUlS1P_E_NS1_11comp_targetILNS1_3genE10ELNS1_11target_archE1200ELNS1_3gpuE4ELNS1_3repE0EEENS1_30default_config_static_selectorELNS0_4arch9wavefront6targetE0EEEvS12_,"axG",@progbits,_ZN7rocprim17ROCPRIM_400000_NS6detail17trampoline_kernelINS0_13select_configILj256ELj13ELNS0_17block_load_methodE3ELS4_3ELS4_3ELNS0_20block_scan_algorithmE0ELj4294967295EEENS1_25partition_config_selectorILNS1_17partition_subalgoE4EjNS0_10empty_typeEbEEZZNS1_14partition_implILS8_4ELb0ES6_15HIP_vector_typeIjLj2EENS0_17counting_iteratorIjlEEPS9_SG_NS0_5tupleIJPjSI_NS0_16reverse_iteratorISI_EEEEENSH_IJSG_SG_SG_EEES9_SI_JZNS1_25segmented_radix_sort_implINS0_14default_configELb0EPKsPsPKlPlN2at6native12_GLOBAL__N_18offset_tEEE10hipError_tPvRmT1_PNSt15iterator_traitsIS12_E10value_typeET2_T3_PNS13_IS18_E10value_typeET4_jRbjT5_S1E_jjP12ihipStream_tbEUljE_ZNSN_ISO_Lb0ESQ_SR_ST_SU_SY_EESZ_S10_S11_S12_S16_S17_S18_S1B_S1C_jS1D_jS1E_S1E_jjS1G_bEUljE0_EEESZ_S10_S11_S18_S1C_S1E_T6_T7_T9_mT8_S1G_bDpT10_ENKUlT_T0_E_clISt17integral_constantIbLb0EES1T_IbLb1EEEEDaS1P_S1Q_EUlS1P_E_NS1_11comp_targetILNS1_3genE10ELNS1_11target_archE1200ELNS1_3gpuE4ELNS1_3repE0EEENS1_30default_config_static_selectorELNS0_4arch9wavefront6targetE0EEEvS12_,comdat
.Lfunc_end972:
	.size	_ZN7rocprim17ROCPRIM_400000_NS6detail17trampoline_kernelINS0_13select_configILj256ELj13ELNS0_17block_load_methodE3ELS4_3ELS4_3ELNS0_20block_scan_algorithmE0ELj4294967295EEENS1_25partition_config_selectorILNS1_17partition_subalgoE4EjNS0_10empty_typeEbEEZZNS1_14partition_implILS8_4ELb0ES6_15HIP_vector_typeIjLj2EENS0_17counting_iteratorIjlEEPS9_SG_NS0_5tupleIJPjSI_NS0_16reverse_iteratorISI_EEEEENSH_IJSG_SG_SG_EEES9_SI_JZNS1_25segmented_radix_sort_implINS0_14default_configELb0EPKsPsPKlPlN2at6native12_GLOBAL__N_18offset_tEEE10hipError_tPvRmT1_PNSt15iterator_traitsIS12_E10value_typeET2_T3_PNS13_IS18_E10value_typeET4_jRbjT5_S1E_jjP12ihipStream_tbEUljE_ZNSN_ISO_Lb0ESQ_SR_ST_SU_SY_EESZ_S10_S11_S12_S16_S17_S18_S1B_S1C_jS1D_jS1E_S1E_jjS1G_bEUljE0_EEESZ_S10_S11_S18_S1C_S1E_T6_T7_T9_mT8_S1G_bDpT10_ENKUlT_T0_E_clISt17integral_constantIbLb0EES1T_IbLb1EEEEDaS1P_S1Q_EUlS1P_E_NS1_11comp_targetILNS1_3genE10ELNS1_11target_archE1200ELNS1_3gpuE4ELNS1_3repE0EEENS1_30default_config_static_selectorELNS0_4arch9wavefront6targetE0EEEvS12_, .Lfunc_end972-_ZN7rocprim17ROCPRIM_400000_NS6detail17trampoline_kernelINS0_13select_configILj256ELj13ELNS0_17block_load_methodE3ELS4_3ELS4_3ELNS0_20block_scan_algorithmE0ELj4294967295EEENS1_25partition_config_selectorILNS1_17partition_subalgoE4EjNS0_10empty_typeEbEEZZNS1_14partition_implILS8_4ELb0ES6_15HIP_vector_typeIjLj2EENS0_17counting_iteratorIjlEEPS9_SG_NS0_5tupleIJPjSI_NS0_16reverse_iteratorISI_EEEEENSH_IJSG_SG_SG_EEES9_SI_JZNS1_25segmented_radix_sort_implINS0_14default_configELb0EPKsPsPKlPlN2at6native12_GLOBAL__N_18offset_tEEE10hipError_tPvRmT1_PNSt15iterator_traitsIS12_E10value_typeET2_T3_PNS13_IS18_E10value_typeET4_jRbjT5_S1E_jjP12ihipStream_tbEUljE_ZNSN_ISO_Lb0ESQ_SR_ST_SU_SY_EESZ_S10_S11_S12_S16_S17_S18_S1B_S1C_jS1D_jS1E_S1E_jjS1G_bEUljE0_EEESZ_S10_S11_S18_S1C_S1E_T6_T7_T9_mT8_S1G_bDpT10_ENKUlT_T0_E_clISt17integral_constantIbLb0EES1T_IbLb1EEEEDaS1P_S1Q_EUlS1P_E_NS1_11comp_targetILNS1_3genE10ELNS1_11target_archE1200ELNS1_3gpuE4ELNS1_3repE0EEENS1_30default_config_static_selectorELNS0_4arch9wavefront6targetE0EEEvS12_
                                        ; -- End function
	.set _ZN7rocprim17ROCPRIM_400000_NS6detail17trampoline_kernelINS0_13select_configILj256ELj13ELNS0_17block_load_methodE3ELS4_3ELS4_3ELNS0_20block_scan_algorithmE0ELj4294967295EEENS1_25partition_config_selectorILNS1_17partition_subalgoE4EjNS0_10empty_typeEbEEZZNS1_14partition_implILS8_4ELb0ES6_15HIP_vector_typeIjLj2EENS0_17counting_iteratorIjlEEPS9_SG_NS0_5tupleIJPjSI_NS0_16reverse_iteratorISI_EEEEENSH_IJSG_SG_SG_EEES9_SI_JZNS1_25segmented_radix_sort_implINS0_14default_configELb0EPKsPsPKlPlN2at6native12_GLOBAL__N_18offset_tEEE10hipError_tPvRmT1_PNSt15iterator_traitsIS12_E10value_typeET2_T3_PNS13_IS18_E10value_typeET4_jRbjT5_S1E_jjP12ihipStream_tbEUljE_ZNSN_ISO_Lb0ESQ_SR_ST_SU_SY_EESZ_S10_S11_S12_S16_S17_S18_S1B_S1C_jS1D_jS1E_S1E_jjS1G_bEUljE0_EEESZ_S10_S11_S18_S1C_S1E_T6_T7_T9_mT8_S1G_bDpT10_ENKUlT_T0_E_clISt17integral_constantIbLb0EES1T_IbLb1EEEEDaS1P_S1Q_EUlS1P_E_NS1_11comp_targetILNS1_3genE10ELNS1_11target_archE1200ELNS1_3gpuE4ELNS1_3repE0EEENS1_30default_config_static_selectorELNS0_4arch9wavefront6targetE0EEEvS12_.num_vgpr, 0
	.set _ZN7rocprim17ROCPRIM_400000_NS6detail17trampoline_kernelINS0_13select_configILj256ELj13ELNS0_17block_load_methodE3ELS4_3ELS4_3ELNS0_20block_scan_algorithmE0ELj4294967295EEENS1_25partition_config_selectorILNS1_17partition_subalgoE4EjNS0_10empty_typeEbEEZZNS1_14partition_implILS8_4ELb0ES6_15HIP_vector_typeIjLj2EENS0_17counting_iteratorIjlEEPS9_SG_NS0_5tupleIJPjSI_NS0_16reverse_iteratorISI_EEEEENSH_IJSG_SG_SG_EEES9_SI_JZNS1_25segmented_radix_sort_implINS0_14default_configELb0EPKsPsPKlPlN2at6native12_GLOBAL__N_18offset_tEEE10hipError_tPvRmT1_PNSt15iterator_traitsIS12_E10value_typeET2_T3_PNS13_IS18_E10value_typeET4_jRbjT5_S1E_jjP12ihipStream_tbEUljE_ZNSN_ISO_Lb0ESQ_SR_ST_SU_SY_EESZ_S10_S11_S12_S16_S17_S18_S1B_S1C_jS1D_jS1E_S1E_jjS1G_bEUljE0_EEESZ_S10_S11_S18_S1C_S1E_T6_T7_T9_mT8_S1G_bDpT10_ENKUlT_T0_E_clISt17integral_constantIbLb0EES1T_IbLb1EEEEDaS1P_S1Q_EUlS1P_E_NS1_11comp_targetILNS1_3genE10ELNS1_11target_archE1200ELNS1_3gpuE4ELNS1_3repE0EEENS1_30default_config_static_selectorELNS0_4arch9wavefront6targetE0EEEvS12_.num_agpr, 0
	.set _ZN7rocprim17ROCPRIM_400000_NS6detail17trampoline_kernelINS0_13select_configILj256ELj13ELNS0_17block_load_methodE3ELS4_3ELS4_3ELNS0_20block_scan_algorithmE0ELj4294967295EEENS1_25partition_config_selectorILNS1_17partition_subalgoE4EjNS0_10empty_typeEbEEZZNS1_14partition_implILS8_4ELb0ES6_15HIP_vector_typeIjLj2EENS0_17counting_iteratorIjlEEPS9_SG_NS0_5tupleIJPjSI_NS0_16reverse_iteratorISI_EEEEENSH_IJSG_SG_SG_EEES9_SI_JZNS1_25segmented_radix_sort_implINS0_14default_configELb0EPKsPsPKlPlN2at6native12_GLOBAL__N_18offset_tEEE10hipError_tPvRmT1_PNSt15iterator_traitsIS12_E10value_typeET2_T3_PNS13_IS18_E10value_typeET4_jRbjT5_S1E_jjP12ihipStream_tbEUljE_ZNSN_ISO_Lb0ESQ_SR_ST_SU_SY_EESZ_S10_S11_S12_S16_S17_S18_S1B_S1C_jS1D_jS1E_S1E_jjS1G_bEUljE0_EEESZ_S10_S11_S18_S1C_S1E_T6_T7_T9_mT8_S1G_bDpT10_ENKUlT_T0_E_clISt17integral_constantIbLb0EES1T_IbLb1EEEEDaS1P_S1Q_EUlS1P_E_NS1_11comp_targetILNS1_3genE10ELNS1_11target_archE1200ELNS1_3gpuE4ELNS1_3repE0EEENS1_30default_config_static_selectorELNS0_4arch9wavefront6targetE0EEEvS12_.numbered_sgpr, 0
	.set _ZN7rocprim17ROCPRIM_400000_NS6detail17trampoline_kernelINS0_13select_configILj256ELj13ELNS0_17block_load_methodE3ELS4_3ELS4_3ELNS0_20block_scan_algorithmE0ELj4294967295EEENS1_25partition_config_selectorILNS1_17partition_subalgoE4EjNS0_10empty_typeEbEEZZNS1_14partition_implILS8_4ELb0ES6_15HIP_vector_typeIjLj2EENS0_17counting_iteratorIjlEEPS9_SG_NS0_5tupleIJPjSI_NS0_16reverse_iteratorISI_EEEEENSH_IJSG_SG_SG_EEES9_SI_JZNS1_25segmented_radix_sort_implINS0_14default_configELb0EPKsPsPKlPlN2at6native12_GLOBAL__N_18offset_tEEE10hipError_tPvRmT1_PNSt15iterator_traitsIS12_E10value_typeET2_T3_PNS13_IS18_E10value_typeET4_jRbjT5_S1E_jjP12ihipStream_tbEUljE_ZNSN_ISO_Lb0ESQ_SR_ST_SU_SY_EESZ_S10_S11_S12_S16_S17_S18_S1B_S1C_jS1D_jS1E_S1E_jjS1G_bEUljE0_EEESZ_S10_S11_S18_S1C_S1E_T6_T7_T9_mT8_S1G_bDpT10_ENKUlT_T0_E_clISt17integral_constantIbLb0EES1T_IbLb1EEEEDaS1P_S1Q_EUlS1P_E_NS1_11comp_targetILNS1_3genE10ELNS1_11target_archE1200ELNS1_3gpuE4ELNS1_3repE0EEENS1_30default_config_static_selectorELNS0_4arch9wavefront6targetE0EEEvS12_.num_named_barrier, 0
	.set _ZN7rocprim17ROCPRIM_400000_NS6detail17trampoline_kernelINS0_13select_configILj256ELj13ELNS0_17block_load_methodE3ELS4_3ELS4_3ELNS0_20block_scan_algorithmE0ELj4294967295EEENS1_25partition_config_selectorILNS1_17partition_subalgoE4EjNS0_10empty_typeEbEEZZNS1_14partition_implILS8_4ELb0ES6_15HIP_vector_typeIjLj2EENS0_17counting_iteratorIjlEEPS9_SG_NS0_5tupleIJPjSI_NS0_16reverse_iteratorISI_EEEEENSH_IJSG_SG_SG_EEES9_SI_JZNS1_25segmented_radix_sort_implINS0_14default_configELb0EPKsPsPKlPlN2at6native12_GLOBAL__N_18offset_tEEE10hipError_tPvRmT1_PNSt15iterator_traitsIS12_E10value_typeET2_T3_PNS13_IS18_E10value_typeET4_jRbjT5_S1E_jjP12ihipStream_tbEUljE_ZNSN_ISO_Lb0ESQ_SR_ST_SU_SY_EESZ_S10_S11_S12_S16_S17_S18_S1B_S1C_jS1D_jS1E_S1E_jjS1G_bEUljE0_EEESZ_S10_S11_S18_S1C_S1E_T6_T7_T9_mT8_S1G_bDpT10_ENKUlT_T0_E_clISt17integral_constantIbLb0EES1T_IbLb1EEEEDaS1P_S1Q_EUlS1P_E_NS1_11comp_targetILNS1_3genE10ELNS1_11target_archE1200ELNS1_3gpuE4ELNS1_3repE0EEENS1_30default_config_static_selectorELNS0_4arch9wavefront6targetE0EEEvS12_.private_seg_size, 0
	.set _ZN7rocprim17ROCPRIM_400000_NS6detail17trampoline_kernelINS0_13select_configILj256ELj13ELNS0_17block_load_methodE3ELS4_3ELS4_3ELNS0_20block_scan_algorithmE0ELj4294967295EEENS1_25partition_config_selectorILNS1_17partition_subalgoE4EjNS0_10empty_typeEbEEZZNS1_14partition_implILS8_4ELb0ES6_15HIP_vector_typeIjLj2EENS0_17counting_iteratorIjlEEPS9_SG_NS0_5tupleIJPjSI_NS0_16reverse_iteratorISI_EEEEENSH_IJSG_SG_SG_EEES9_SI_JZNS1_25segmented_radix_sort_implINS0_14default_configELb0EPKsPsPKlPlN2at6native12_GLOBAL__N_18offset_tEEE10hipError_tPvRmT1_PNSt15iterator_traitsIS12_E10value_typeET2_T3_PNS13_IS18_E10value_typeET4_jRbjT5_S1E_jjP12ihipStream_tbEUljE_ZNSN_ISO_Lb0ESQ_SR_ST_SU_SY_EESZ_S10_S11_S12_S16_S17_S18_S1B_S1C_jS1D_jS1E_S1E_jjS1G_bEUljE0_EEESZ_S10_S11_S18_S1C_S1E_T6_T7_T9_mT8_S1G_bDpT10_ENKUlT_T0_E_clISt17integral_constantIbLb0EES1T_IbLb1EEEEDaS1P_S1Q_EUlS1P_E_NS1_11comp_targetILNS1_3genE10ELNS1_11target_archE1200ELNS1_3gpuE4ELNS1_3repE0EEENS1_30default_config_static_selectorELNS0_4arch9wavefront6targetE0EEEvS12_.uses_vcc, 0
	.set _ZN7rocprim17ROCPRIM_400000_NS6detail17trampoline_kernelINS0_13select_configILj256ELj13ELNS0_17block_load_methodE3ELS4_3ELS4_3ELNS0_20block_scan_algorithmE0ELj4294967295EEENS1_25partition_config_selectorILNS1_17partition_subalgoE4EjNS0_10empty_typeEbEEZZNS1_14partition_implILS8_4ELb0ES6_15HIP_vector_typeIjLj2EENS0_17counting_iteratorIjlEEPS9_SG_NS0_5tupleIJPjSI_NS0_16reverse_iteratorISI_EEEEENSH_IJSG_SG_SG_EEES9_SI_JZNS1_25segmented_radix_sort_implINS0_14default_configELb0EPKsPsPKlPlN2at6native12_GLOBAL__N_18offset_tEEE10hipError_tPvRmT1_PNSt15iterator_traitsIS12_E10value_typeET2_T3_PNS13_IS18_E10value_typeET4_jRbjT5_S1E_jjP12ihipStream_tbEUljE_ZNSN_ISO_Lb0ESQ_SR_ST_SU_SY_EESZ_S10_S11_S12_S16_S17_S18_S1B_S1C_jS1D_jS1E_S1E_jjS1G_bEUljE0_EEESZ_S10_S11_S18_S1C_S1E_T6_T7_T9_mT8_S1G_bDpT10_ENKUlT_T0_E_clISt17integral_constantIbLb0EES1T_IbLb1EEEEDaS1P_S1Q_EUlS1P_E_NS1_11comp_targetILNS1_3genE10ELNS1_11target_archE1200ELNS1_3gpuE4ELNS1_3repE0EEENS1_30default_config_static_selectorELNS0_4arch9wavefront6targetE0EEEvS12_.uses_flat_scratch, 0
	.set _ZN7rocprim17ROCPRIM_400000_NS6detail17trampoline_kernelINS0_13select_configILj256ELj13ELNS0_17block_load_methodE3ELS4_3ELS4_3ELNS0_20block_scan_algorithmE0ELj4294967295EEENS1_25partition_config_selectorILNS1_17partition_subalgoE4EjNS0_10empty_typeEbEEZZNS1_14partition_implILS8_4ELb0ES6_15HIP_vector_typeIjLj2EENS0_17counting_iteratorIjlEEPS9_SG_NS0_5tupleIJPjSI_NS0_16reverse_iteratorISI_EEEEENSH_IJSG_SG_SG_EEES9_SI_JZNS1_25segmented_radix_sort_implINS0_14default_configELb0EPKsPsPKlPlN2at6native12_GLOBAL__N_18offset_tEEE10hipError_tPvRmT1_PNSt15iterator_traitsIS12_E10value_typeET2_T3_PNS13_IS18_E10value_typeET4_jRbjT5_S1E_jjP12ihipStream_tbEUljE_ZNSN_ISO_Lb0ESQ_SR_ST_SU_SY_EESZ_S10_S11_S12_S16_S17_S18_S1B_S1C_jS1D_jS1E_S1E_jjS1G_bEUljE0_EEESZ_S10_S11_S18_S1C_S1E_T6_T7_T9_mT8_S1G_bDpT10_ENKUlT_T0_E_clISt17integral_constantIbLb0EES1T_IbLb1EEEEDaS1P_S1Q_EUlS1P_E_NS1_11comp_targetILNS1_3genE10ELNS1_11target_archE1200ELNS1_3gpuE4ELNS1_3repE0EEENS1_30default_config_static_selectorELNS0_4arch9wavefront6targetE0EEEvS12_.has_dyn_sized_stack, 0
	.set _ZN7rocprim17ROCPRIM_400000_NS6detail17trampoline_kernelINS0_13select_configILj256ELj13ELNS0_17block_load_methodE3ELS4_3ELS4_3ELNS0_20block_scan_algorithmE0ELj4294967295EEENS1_25partition_config_selectorILNS1_17partition_subalgoE4EjNS0_10empty_typeEbEEZZNS1_14partition_implILS8_4ELb0ES6_15HIP_vector_typeIjLj2EENS0_17counting_iteratorIjlEEPS9_SG_NS0_5tupleIJPjSI_NS0_16reverse_iteratorISI_EEEEENSH_IJSG_SG_SG_EEES9_SI_JZNS1_25segmented_radix_sort_implINS0_14default_configELb0EPKsPsPKlPlN2at6native12_GLOBAL__N_18offset_tEEE10hipError_tPvRmT1_PNSt15iterator_traitsIS12_E10value_typeET2_T3_PNS13_IS18_E10value_typeET4_jRbjT5_S1E_jjP12ihipStream_tbEUljE_ZNSN_ISO_Lb0ESQ_SR_ST_SU_SY_EESZ_S10_S11_S12_S16_S17_S18_S1B_S1C_jS1D_jS1E_S1E_jjS1G_bEUljE0_EEESZ_S10_S11_S18_S1C_S1E_T6_T7_T9_mT8_S1G_bDpT10_ENKUlT_T0_E_clISt17integral_constantIbLb0EES1T_IbLb1EEEEDaS1P_S1Q_EUlS1P_E_NS1_11comp_targetILNS1_3genE10ELNS1_11target_archE1200ELNS1_3gpuE4ELNS1_3repE0EEENS1_30default_config_static_selectorELNS0_4arch9wavefront6targetE0EEEvS12_.has_recursion, 0
	.set _ZN7rocprim17ROCPRIM_400000_NS6detail17trampoline_kernelINS0_13select_configILj256ELj13ELNS0_17block_load_methodE3ELS4_3ELS4_3ELNS0_20block_scan_algorithmE0ELj4294967295EEENS1_25partition_config_selectorILNS1_17partition_subalgoE4EjNS0_10empty_typeEbEEZZNS1_14partition_implILS8_4ELb0ES6_15HIP_vector_typeIjLj2EENS0_17counting_iteratorIjlEEPS9_SG_NS0_5tupleIJPjSI_NS0_16reverse_iteratorISI_EEEEENSH_IJSG_SG_SG_EEES9_SI_JZNS1_25segmented_radix_sort_implINS0_14default_configELb0EPKsPsPKlPlN2at6native12_GLOBAL__N_18offset_tEEE10hipError_tPvRmT1_PNSt15iterator_traitsIS12_E10value_typeET2_T3_PNS13_IS18_E10value_typeET4_jRbjT5_S1E_jjP12ihipStream_tbEUljE_ZNSN_ISO_Lb0ESQ_SR_ST_SU_SY_EESZ_S10_S11_S12_S16_S17_S18_S1B_S1C_jS1D_jS1E_S1E_jjS1G_bEUljE0_EEESZ_S10_S11_S18_S1C_S1E_T6_T7_T9_mT8_S1G_bDpT10_ENKUlT_T0_E_clISt17integral_constantIbLb0EES1T_IbLb1EEEEDaS1P_S1Q_EUlS1P_E_NS1_11comp_targetILNS1_3genE10ELNS1_11target_archE1200ELNS1_3gpuE4ELNS1_3repE0EEENS1_30default_config_static_selectorELNS0_4arch9wavefront6targetE0EEEvS12_.has_indirect_call, 0
	.section	.AMDGPU.csdata,"",@progbits
; Kernel info:
; codeLenInByte = 0
; TotalNumSgprs: 0
; NumVgprs: 0
; ScratchSize: 0
; MemoryBound: 0
; FloatMode: 240
; IeeeMode: 1
; LDSByteSize: 0 bytes/workgroup (compile time only)
; SGPRBlocks: 0
; VGPRBlocks: 0
; NumSGPRsForWavesPerEU: 1
; NumVGPRsForWavesPerEU: 1
; Occupancy: 16
; WaveLimiterHint : 0
; COMPUTE_PGM_RSRC2:SCRATCH_EN: 0
; COMPUTE_PGM_RSRC2:USER_SGPR: 6
; COMPUTE_PGM_RSRC2:TRAP_HANDLER: 0
; COMPUTE_PGM_RSRC2:TGID_X_EN: 1
; COMPUTE_PGM_RSRC2:TGID_Y_EN: 0
; COMPUTE_PGM_RSRC2:TGID_Z_EN: 0
; COMPUTE_PGM_RSRC2:TIDIG_COMP_CNT: 0
	.section	.text._ZN7rocprim17ROCPRIM_400000_NS6detail17trampoline_kernelINS0_13select_configILj256ELj13ELNS0_17block_load_methodE3ELS4_3ELS4_3ELNS0_20block_scan_algorithmE0ELj4294967295EEENS1_25partition_config_selectorILNS1_17partition_subalgoE4EjNS0_10empty_typeEbEEZZNS1_14partition_implILS8_4ELb0ES6_15HIP_vector_typeIjLj2EENS0_17counting_iteratorIjlEEPS9_SG_NS0_5tupleIJPjSI_NS0_16reverse_iteratorISI_EEEEENSH_IJSG_SG_SG_EEES9_SI_JZNS1_25segmented_radix_sort_implINS0_14default_configELb0EPKsPsPKlPlN2at6native12_GLOBAL__N_18offset_tEEE10hipError_tPvRmT1_PNSt15iterator_traitsIS12_E10value_typeET2_T3_PNS13_IS18_E10value_typeET4_jRbjT5_S1E_jjP12ihipStream_tbEUljE_ZNSN_ISO_Lb0ESQ_SR_ST_SU_SY_EESZ_S10_S11_S12_S16_S17_S18_S1B_S1C_jS1D_jS1E_S1E_jjS1G_bEUljE0_EEESZ_S10_S11_S18_S1C_S1E_T6_T7_T9_mT8_S1G_bDpT10_ENKUlT_T0_E_clISt17integral_constantIbLb0EES1T_IbLb1EEEEDaS1P_S1Q_EUlS1P_E_NS1_11comp_targetILNS1_3genE9ELNS1_11target_archE1100ELNS1_3gpuE3ELNS1_3repE0EEENS1_30default_config_static_selectorELNS0_4arch9wavefront6targetE0EEEvS12_,"axG",@progbits,_ZN7rocprim17ROCPRIM_400000_NS6detail17trampoline_kernelINS0_13select_configILj256ELj13ELNS0_17block_load_methodE3ELS4_3ELS4_3ELNS0_20block_scan_algorithmE0ELj4294967295EEENS1_25partition_config_selectorILNS1_17partition_subalgoE4EjNS0_10empty_typeEbEEZZNS1_14partition_implILS8_4ELb0ES6_15HIP_vector_typeIjLj2EENS0_17counting_iteratorIjlEEPS9_SG_NS0_5tupleIJPjSI_NS0_16reverse_iteratorISI_EEEEENSH_IJSG_SG_SG_EEES9_SI_JZNS1_25segmented_radix_sort_implINS0_14default_configELb0EPKsPsPKlPlN2at6native12_GLOBAL__N_18offset_tEEE10hipError_tPvRmT1_PNSt15iterator_traitsIS12_E10value_typeET2_T3_PNS13_IS18_E10value_typeET4_jRbjT5_S1E_jjP12ihipStream_tbEUljE_ZNSN_ISO_Lb0ESQ_SR_ST_SU_SY_EESZ_S10_S11_S12_S16_S17_S18_S1B_S1C_jS1D_jS1E_S1E_jjS1G_bEUljE0_EEESZ_S10_S11_S18_S1C_S1E_T6_T7_T9_mT8_S1G_bDpT10_ENKUlT_T0_E_clISt17integral_constantIbLb0EES1T_IbLb1EEEEDaS1P_S1Q_EUlS1P_E_NS1_11comp_targetILNS1_3genE9ELNS1_11target_archE1100ELNS1_3gpuE3ELNS1_3repE0EEENS1_30default_config_static_selectorELNS0_4arch9wavefront6targetE0EEEvS12_,comdat
	.globl	_ZN7rocprim17ROCPRIM_400000_NS6detail17trampoline_kernelINS0_13select_configILj256ELj13ELNS0_17block_load_methodE3ELS4_3ELS4_3ELNS0_20block_scan_algorithmE0ELj4294967295EEENS1_25partition_config_selectorILNS1_17partition_subalgoE4EjNS0_10empty_typeEbEEZZNS1_14partition_implILS8_4ELb0ES6_15HIP_vector_typeIjLj2EENS0_17counting_iteratorIjlEEPS9_SG_NS0_5tupleIJPjSI_NS0_16reverse_iteratorISI_EEEEENSH_IJSG_SG_SG_EEES9_SI_JZNS1_25segmented_radix_sort_implINS0_14default_configELb0EPKsPsPKlPlN2at6native12_GLOBAL__N_18offset_tEEE10hipError_tPvRmT1_PNSt15iterator_traitsIS12_E10value_typeET2_T3_PNS13_IS18_E10value_typeET4_jRbjT5_S1E_jjP12ihipStream_tbEUljE_ZNSN_ISO_Lb0ESQ_SR_ST_SU_SY_EESZ_S10_S11_S12_S16_S17_S18_S1B_S1C_jS1D_jS1E_S1E_jjS1G_bEUljE0_EEESZ_S10_S11_S18_S1C_S1E_T6_T7_T9_mT8_S1G_bDpT10_ENKUlT_T0_E_clISt17integral_constantIbLb0EES1T_IbLb1EEEEDaS1P_S1Q_EUlS1P_E_NS1_11comp_targetILNS1_3genE9ELNS1_11target_archE1100ELNS1_3gpuE3ELNS1_3repE0EEENS1_30default_config_static_selectorELNS0_4arch9wavefront6targetE0EEEvS12_ ; -- Begin function _ZN7rocprim17ROCPRIM_400000_NS6detail17trampoline_kernelINS0_13select_configILj256ELj13ELNS0_17block_load_methodE3ELS4_3ELS4_3ELNS0_20block_scan_algorithmE0ELj4294967295EEENS1_25partition_config_selectorILNS1_17partition_subalgoE4EjNS0_10empty_typeEbEEZZNS1_14partition_implILS8_4ELb0ES6_15HIP_vector_typeIjLj2EENS0_17counting_iteratorIjlEEPS9_SG_NS0_5tupleIJPjSI_NS0_16reverse_iteratorISI_EEEEENSH_IJSG_SG_SG_EEES9_SI_JZNS1_25segmented_radix_sort_implINS0_14default_configELb0EPKsPsPKlPlN2at6native12_GLOBAL__N_18offset_tEEE10hipError_tPvRmT1_PNSt15iterator_traitsIS12_E10value_typeET2_T3_PNS13_IS18_E10value_typeET4_jRbjT5_S1E_jjP12ihipStream_tbEUljE_ZNSN_ISO_Lb0ESQ_SR_ST_SU_SY_EESZ_S10_S11_S12_S16_S17_S18_S1B_S1C_jS1D_jS1E_S1E_jjS1G_bEUljE0_EEESZ_S10_S11_S18_S1C_S1E_T6_T7_T9_mT8_S1G_bDpT10_ENKUlT_T0_E_clISt17integral_constantIbLb0EES1T_IbLb1EEEEDaS1P_S1Q_EUlS1P_E_NS1_11comp_targetILNS1_3genE9ELNS1_11target_archE1100ELNS1_3gpuE3ELNS1_3repE0EEENS1_30default_config_static_selectorELNS0_4arch9wavefront6targetE0EEEvS12_
	.p2align	8
	.type	_ZN7rocprim17ROCPRIM_400000_NS6detail17trampoline_kernelINS0_13select_configILj256ELj13ELNS0_17block_load_methodE3ELS4_3ELS4_3ELNS0_20block_scan_algorithmE0ELj4294967295EEENS1_25partition_config_selectorILNS1_17partition_subalgoE4EjNS0_10empty_typeEbEEZZNS1_14partition_implILS8_4ELb0ES6_15HIP_vector_typeIjLj2EENS0_17counting_iteratorIjlEEPS9_SG_NS0_5tupleIJPjSI_NS0_16reverse_iteratorISI_EEEEENSH_IJSG_SG_SG_EEES9_SI_JZNS1_25segmented_radix_sort_implINS0_14default_configELb0EPKsPsPKlPlN2at6native12_GLOBAL__N_18offset_tEEE10hipError_tPvRmT1_PNSt15iterator_traitsIS12_E10value_typeET2_T3_PNS13_IS18_E10value_typeET4_jRbjT5_S1E_jjP12ihipStream_tbEUljE_ZNSN_ISO_Lb0ESQ_SR_ST_SU_SY_EESZ_S10_S11_S12_S16_S17_S18_S1B_S1C_jS1D_jS1E_S1E_jjS1G_bEUljE0_EEESZ_S10_S11_S18_S1C_S1E_T6_T7_T9_mT8_S1G_bDpT10_ENKUlT_T0_E_clISt17integral_constantIbLb0EES1T_IbLb1EEEEDaS1P_S1Q_EUlS1P_E_NS1_11comp_targetILNS1_3genE9ELNS1_11target_archE1100ELNS1_3gpuE3ELNS1_3repE0EEENS1_30default_config_static_selectorELNS0_4arch9wavefront6targetE0EEEvS12_,@function
_ZN7rocprim17ROCPRIM_400000_NS6detail17trampoline_kernelINS0_13select_configILj256ELj13ELNS0_17block_load_methodE3ELS4_3ELS4_3ELNS0_20block_scan_algorithmE0ELj4294967295EEENS1_25partition_config_selectorILNS1_17partition_subalgoE4EjNS0_10empty_typeEbEEZZNS1_14partition_implILS8_4ELb0ES6_15HIP_vector_typeIjLj2EENS0_17counting_iteratorIjlEEPS9_SG_NS0_5tupleIJPjSI_NS0_16reverse_iteratorISI_EEEEENSH_IJSG_SG_SG_EEES9_SI_JZNS1_25segmented_radix_sort_implINS0_14default_configELb0EPKsPsPKlPlN2at6native12_GLOBAL__N_18offset_tEEE10hipError_tPvRmT1_PNSt15iterator_traitsIS12_E10value_typeET2_T3_PNS13_IS18_E10value_typeET4_jRbjT5_S1E_jjP12ihipStream_tbEUljE_ZNSN_ISO_Lb0ESQ_SR_ST_SU_SY_EESZ_S10_S11_S12_S16_S17_S18_S1B_S1C_jS1D_jS1E_S1E_jjS1G_bEUljE0_EEESZ_S10_S11_S18_S1C_S1E_T6_T7_T9_mT8_S1G_bDpT10_ENKUlT_T0_E_clISt17integral_constantIbLb0EES1T_IbLb1EEEEDaS1P_S1Q_EUlS1P_E_NS1_11comp_targetILNS1_3genE9ELNS1_11target_archE1100ELNS1_3gpuE3ELNS1_3repE0EEENS1_30default_config_static_selectorELNS0_4arch9wavefront6targetE0EEEvS12_: ; @_ZN7rocprim17ROCPRIM_400000_NS6detail17trampoline_kernelINS0_13select_configILj256ELj13ELNS0_17block_load_methodE3ELS4_3ELS4_3ELNS0_20block_scan_algorithmE0ELj4294967295EEENS1_25partition_config_selectorILNS1_17partition_subalgoE4EjNS0_10empty_typeEbEEZZNS1_14partition_implILS8_4ELb0ES6_15HIP_vector_typeIjLj2EENS0_17counting_iteratorIjlEEPS9_SG_NS0_5tupleIJPjSI_NS0_16reverse_iteratorISI_EEEEENSH_IJSG_SG_SG_EEES9_SI_JZNS1_25segmented_radix_sort_implINS0_14default_configELb0EPKsPsPKlPlN2at6native12_GLOBAL__N_18offset_tEEE10hipError_tPvRmT1_PNSt15iterator_traitsIS12_E10value_typeET2_T3_PNS13_IS18_E10value_typeET4_jRbjT5_S1E_jjP12ihipStream_tbEUljE_ZNSN_ISO_Lb0ESQ_SR_ST_SU_SY_EESZ_S10_S11_S12_S16_S17_S18_S1B_S1C_jS1D_jS1E_S1E_jjS1G_bEUljE0_EEESZ_S10_S11_S18_S1C_S1E_T6_T7_T9_mT8_S1G_bDpT10_ENKUlT_T0_E_clISt17integral_constantIbLb0EES1T_IbLb1EEEEDaS1P_S1Q_EUlS1P_E_NS1_11comp_targetILNS1_3genE9ELNS1_11target_archE1100ELNS1_3gpuE3ELNS1_3repE0EEENS1_30default_config_static_selectorELNS0_4arch9wavefront6targetE0EEEvS12_
; %bb.0:
	.section	.rodata,"a",@progbits
	.p2align	6, 0x0
	.amdhsa_kernel _ZN7rocprim17ROCPRIM_400000_NS6detail17trampoline_kernelINS0_13select_configILj256ELj13ELNS0_17block_load_methodE3ELS4_3ELS4_3ELNS0_20block_scan_algorithmE0ELj4294967295EEENS1_25partition_config_selectorILNS1_17partition_subalgoE4EjNS0_10empty_typeEbEEZZNS1_14partition_implILS8_4ELb0ES6_15HIP_vector_typeIjLj2EENS0_17counting_iteratorIjlEEPS9_SG_NS0_5tupleIJPjSI_NS0_16reverse_iteratorISI_EEEEENSH_IJSG_SG_SG_EEES9_SI_JZNS1_25segmented_radix_sort_implINS0_14default_configELb0EPKsPsPKlPlN2at6native12_GLOBAL__N_18offset_tEEE10hipError_tPvRmT1_PNSt15iterator_traitsIS12_E10value_typeET2_T3_PNS13_IS18_E10value_typeET4_jRbjT5_S1E_jjP12ihipStream_tbEUljE_ZNSN_ISO_Lb0ESQ_SR_ST_SU_SY_EESZ_S10_S11_S12_S16_S17_S18_S1B_S1C_jS1D_jS1E_S1E_jjS1G_bEUljE0_EEESZ_S10_S11_S18_S1C_S1E_T6_T7_T9_mT8_S1G_bDpT10_ENKUlT_T0_E_clISt17integral_constantIbLb0EES1T_IbLb1EEEEDaS1P_S1Q_EUlS1P_E_NS1_11comp_targetILNS1_3genE9ELNS1_11target_archE1100ELNS1_3gpuE3ELNS1_3repE0EEENS1_30default_config_static_selectorELNS0_4arch9wavefront6targetE0EEEvS12_
		.amdhsa_group_segment_fixed_size 0
		.amdhsa_private_segment_fixed_size 0
		.amdhsa_kernarg_size 184
		.amdhsa_user_sgpr_count 6
		.amdhsa_user_sgpr_private_segment_buffer 1
		.amdhsa_user_sgpr_dispatch_ptr 0
		.amdhsa_user_sgpr_queue_ptr 0
		.amdhsa_user_sgpr_kernarg_segment_ptr 1
		.amdhsa_user_sgpr_dispatch_id 0
		.amdhsa_user_sgpr_flat_scratch_init 0
		.amdhsa_user_sgpr_private_segment_size 0
		.amdhsa_wavefront_size32 1
		.amdhsa_uses_dynamic_stack 0
		.amdhsa_system_sgpr_private_segment_wavefront_offset 0
		.amdhsa_system_sgpr_workgroup_id_x 1
		.amdhsa_system_sgpr_workgroup_id_y 0
		.amdhsa_system_sgpr_workgroup_id_z 0
		.amdhsa_system_sgpr_workgroup_info 0
		.amdhsa_system_vgpr_workitem_id 0
		.amdhsa_next_free_vgpr 1
		.amdhsa_next_free_sgpr 1
		.amdhsa_reserve_vcc 0
		.amdhsa_reserve_flat_scratch 0
		.amdhsa_float_round_mode_32 0
		.amdhsa_float_round_mode_16_64 0
		.amdhsa_float_denorm_mode_32 3
		.amdhsa_float_denorm_mode_16_64 3
		.amdhsa_dx10_clamp 1
		.amdhsa_ieee_mode 1
		.amdhsa_fp16_overflow 0
		.amdhsa_workgroup_processor_mode 1
		.amdhsa_memory_ordered 1
		.amdhsa_forward_progress 1
		.amdhsa_shared_vgpr_count 0
		.amdhsa_exception_fp_ieee_invalid_op 0
		.amdhsa_exception_fp_denorm_src 0
		.amdhsa_exception_fp_ieee_div_zero 0
		.amdhsa_exception_fp_ieee_overflow 0
		.amdhsa_exception_fp_ieee_underflow 0
		.amdhsa_exception_fp_ieee_inexact 0
		.amdhsa_exception_int_div_zero 0
	.end_amdhsa_kernel
	.section	.text._ZN7rocprim17ROCPRIM_400000_NS6detail17trampoline_kernelINS0_13select_configILj256ELj13ELNS0_17block_load_methodE3ELS4_3ELS4_3ELNS0_20block_scan_algorithmE0ELj4294967295EEENS1_25partition_config_selectorILNS1_17partition_subalgoE4EjNS0_10empty_typeEbEEZZNS1_14partition_implILS8_4ELb0ES6_15HIP_vector_typeIjLj2EENS0_17counting_iteratorIjlEEPS9_SG_NS0_5tupleIJPjSI_NS0_16reverse_iteratorISI_EEEEENSH_IJSG_SG_SG_EEES9_SI_JZNS1_25segmented_radix_sort_implINS0_14default_configELb0EPKsPsPKlPlN2at6native12_GLOBAL__N_18offset_tEEE10hipError_tPvRmT1_PNSt15iterator_traitsIS12_E10value_typeET2_T3_PNS13_IS18_E10value_typeET4_jRbjT5_S1E_jjP12ihipStream_tbEUljE_ZNSN_ISO_Lb0ESQ_SR_ST_SU_SY_EESZ_S10_S11_S12_S16_S17_S18_S1B_S1C_jS1D_jS1E_S1E_jjS1G_bEUljE0_EEESZ_S10_S11_S18_S1C_S1E_T6_T7_T9_mT8_S1G_bDpT10_ENKUlT_T0_E_clISt17integral_constantIbLb0EES1T_IbLb1EEEEDaS1P_S1Q_EUlS1P_E_NS1_11comp_targetILNS1_3genE9ELNS1_11target_archE1100ELNS1_3gpuE3ELNS1_3repE0EEENS1_30default_config_static_selectorELNS0_4arch9wavefront6targetE0EEEvS12_,"axG",@progbits,_ZN7rocprim17ROCPRIM_400000_NS6detail17trampoline_kernelINS0_13select_configILj256ELj13ELNS0_17block_load_methodE3ELS4_3ELS4_3ELNS0_20block_scan_algorithmE0ELj4294967295EEENS1_25partition_config_selectorILNS1_17partition_subalgoE4EjNS0_10empty_typeEbEEZZNS1_14partition_implILS8_4ELb0ES6_15HIP_vector_typeIjLj2EENS0_17counting_iteratorIjlEEPS9_SG_NS0_5tupleIJPjSI_NS0_16reverse_iteratorISI_EEEEENSH_IJSG_SG_SG_EEES9_SI_JZNS1_25segmented_radix_sort_implINS0_14default_configELb0EPKsPsPKlPlN2at6native12_GLOBAL__N_18offset_tEEE10hipError_tPvRmT1_PNSt15iterator_traitsIS12_E10value_typeET2_T3_PNS13_IS18_E10value_typeET4_jRbjT5_S1E_jjP12ihipStream_tbEUljE_ZNSN_ISO_Lb0ESQ_SR_ST_SU_SY_EESZ_S10_S11_S12_S16_S17_S18_S1B_S1C_jS1D_jS1E_S1E_jjS1G_bEUljE0_EEESZ_S10_S11_S18_S1C_S1E_T6_T7_T9_mT8_S1G_bDpT10_ENKUlT_T0_E_clISt17integral_constantIbLb0EES1T_IbLb1EEEEDaS1P_S1Q_EUlS1P_E_NS1_11comp_targetILNS1_3genE9ELNS1_11target_archE1100ELNS1_3gpuE3ELNS1_3repE0EEENS1_30default_config_static_selectorELNS0_4arch9wavefront6targetE0EEEvS12_,comdat
.Lfunc_end973:
	.size	_ZN7rocprim17ROCPRIM_400000_NS6detail17trampoline_kernelINS0_13select_configILj256ELj13ELNS0_17block_load_methodE3ELS4_3ELS4_3ELNS0_20block_scan_algorithmE0ELj4294967295EEENS1_25partition_config_selectorILNS1_17partition_subalgoE4EjNS0_10empty_typeEbEEZZNS1_14partition_implILS8_4ELb0ES6_15HIP_vector_typeIjLj2EENS0_17counting_iteratorIjlEEPS9_SG_NS0_5tupleIJPjSI_NS0_16reverse_iteratorISI_EEEEENSH_IJSG_SG_SG_EEES9_SI_JZNS1_25segmented_radix_sort_implINS0_14default_configELb0EPKsPsPKlPlN2at6native12_GLOBAL__N_18offset_tEEE10hipError_tPvRmT1_PNSt15iterator_traitsIS12_E10value_typeET2_T3_PNS13_IS18_E10value_typeET4_jRbjT5_S1E_jjP12ihipStream_tbEUljE_ZNSN_ISO_Lb0ESQ_SR_ST_SU_SY_EESZ_S10_S11_S12_S16_S17_S18_S1B_S1C_jS1D_jS1E_S1E_jjS1G_bEUljE0_EEESZ_S10_S11_S18_S1C_S1E_T6_T7_T9_mT8_S1G_bDpT10_ENKUlT_T0_E_clISt17integral_constantIbLb0EES1T_IbLb1EEEEDaS1P_S1Q_EUlS1P_E_NS1_11comp_targetILNS1_3genE9ELNS1_11target_archE1100ELNS1_3gpuE3ELNS1_3repE0EEENS1_30default_config_static_selectorELNS0_4arch9wavefront6targetE0EEEvS12_, .Lfunc_end973-_ZN7rocprim17ROCPRIM_400000_NS6detail17trampoline_kernelINS0_13select_configILj256ELj13ELNS0_17block_load_methodE3ELS4_3ELS4_3ELNS0_20block_scan_algorithmE0ELj4294967295EEENS1_25partition_config_selectorILNS1_17partition_subalgoE4EjNS0_10empty_typeEbEEZZNS1_14partition_implILS8_4ELb0ES6_15HIP_vector_typeIjLj2EENS0_17counting_iteratorIjlEEPS9_SG_NS0_5tupleIJPjSI_NS0_16reverse_iteratorISI_EEEEENSH_IJSG_SG_SG_EEES9_SI_JZNS1_25segmented_radix_sort_implINS0_14default_configELb0EPKsPsPKlPlN2at6native12_GLOBAL__N_18offset_tEEE10hipError_tPvRmT1_PNSt15iterator_traitsIS12_E10value_typeET2_T3_PNS13_IS18_E10value_typeET4_jRbjT5_S1E_jjP12ihipStream_tbEUljE_ZNSN_ISO_Lb0ESQ_SR_ST_SU_SY_EESZ_S10_S11_S12_S16_S17_S18_S1B_S1C_jS1D_jS1E_S1E_jjS1G_bEUljE0_EEESZ_S10_S11_S18_S1C_S1E_T6_T7_T9_mT8_S1G_bDpT10_ENKUlT_T0_E_clISt17integral_constantIbLb0EES1T_IbLb1EEEEDaS1P_S1Q_EUlS1P_E_NS1_11comp_targetILNS1_3genE9ELNS1_11target_archE1100ELNS1_3gpuE3ELNS1_3repE0EEENS1_30default_config_static_selectorELNS0_4arch9wavefront6targetE0EEEvS12_
                                        ; -- End function
	.set _ZN7rocprim17ROCPRIM_400000_NS6detail17trampoline_kernelINS0_13select_configILj256ELj13ELNS0_17block_load_methodE3ELS4_3ELS4_3ELNS0_20block_scan_algorithmE0ELj4294967295EEENS1_25partition_config_selectorILNS1_17partition_subalgoE4EjNS0_10empty_typeEbEEZZNS1_14partition_implILS8_4ELb0ES6_15HIP_vector_typeIjLj2EENS0_17counting_iteratorIjlEEPS9_SG_NS0_5tupleIJPjSI_NS0_16reverse_iteratorISI_EEEEENSH_IJSG_SG_SG_EEES9_SI_JZNS1_25segmented_radix_sort_implINS0_14default_configELb0EPKsPsPKlPlN2at6native12_GLOBAL__N_18offset_tEEE10hipError_tPvRmT1_PNSt15iterator_traitsIS12_E10value_typeET2_T3_PNS13_IS18_E10value_typeET4_jRbjT5_S1E_jjP12ihipStream_tbEUljE_ZNSN_ISO_Lb0ESQ_SR_ST_SU_SY_EESZ_S10_S11_S12_S16_S17_S18_S1B_S1C_jS1D_jS1E_S1E_jjS1G_bEUljE0_EEESZ_S10_S11_S18_S1C_S1E_T6_T7_T9_mT8_S1G_bDpT10_ENKUlT_T0_E_clISt17integral_constantIbLb0EES1T_IbLb1EEEEDaS1P_S1Q_EUlS1P_E_NS1_11comp_targetILNS1_3genE9ELNS1_11target_archE1100ELNS1_3gpuE3ELNS1_3repE0EEENS1_30default_config_static_selectorELNS0_4arch9wavefront6targetE0EEEvS12_.num_vgpr, 0
	.set _ZN7rocprim17ROCPRIM_400000_NS6detail17trampoline_kernelINS0_13select_configILj256ELj13ELNS0_17block_load_methodE3ELS4_3ELS4_3ELNS0_20block_scan_algorithmE0ELj4294967295EEENS1_25partition_config_selectorILNS1_17partition_subalgoE4EjNS0_10empty_typeEbEEZZNS1_14partition_implILS8_4ELb0ES6_15HIP_vector_typeIjLj2EENS0_17counting_iteratorIjlEEPS9_SG_NS0_5tupleIJPjSI_NS0_16reverse_iteratorISI_EEEEENSH_IJSG_SG_SG_EEES9_SI_JZNS1_25segmented_radix_sort_implINS0_14default_configELb0EPKsPsPKlPlN2at6native12_GLOBAL__N_18offset_tEEE10hipError_tPvRmT1_PNSt15iterator_traitsIS12_E10value_typeET2_T3_PNS13_IS18_E10value_typeET4_jRbjT5_S1E_jjP12ihipStream_tbEUljE_ZNSN_ISO_Lb0ESQ_SR_ST_SU_SY_EESZ_S10_S11_S12_S16_S17_S18_S1B_S1C_jS1D_jS1E_S1E_jjS1G_bEUljE0_EEESZ_S10_S11_S18_S1C_S1E_T6_T7_T9_mT8_S1G_bDpT10_ENKUlT_T0_E_clISt17integral_constantIbLb0EES1T_IbLb1EEEEDaS1P_S1Q_EUlS1P_E_NS1_11comp_targetILNS1_3genE9ELNS1_11target_archE1100ELNS1_3gpuE3ELNS1_3repE0EEENS1_30default_config_static_selectorELNS0_4arch9wavefront6targetE0EEEvS12_.num_agpr, 0
	.set _ZN7rocprim17ROCPRIM_400000_NS6detail17trampoline_kernelINS0_13select_configILj256ELj13ELNS0_17block_load_methodE3ELS4_3ELS4_3ELNS0_20block_scan_algorithmE0ELj4294967295EEENS1_25partition_config_selectorILNS1_17partition_subalgoE4EjNS0_10empty_typeEbEEZZNS1_14partition_implILS8_4ELb0ES6_15HIP_vector_typeIjLj2EENS0_17counting_iteratorIjlEEPS9_SG_NS0_5tupleIJPjSI_NS0_16reverse_iteratorISI_EEEEENSH_IJSG_SG_SG_EEES9_SI_JZNS1_25segmented_radix_sort_implINS0_14default_configELb0EPKsPsPKlPlN2at6native12_GLOBAL__N_18offset_tEEE10hipError_tPvRmT1_PNSt15iterator_traitsIS12_E10value_typeET2_T3_PNS13_IS18_E10value_typeET4_jRbjT5_S1E_jjP12ihipStream_tbEUljE_ZNSN_ISO_Lb0ESQ_SR_ST_SU_SY_EESZ_S10_S11_S12_S16_S17_S18_S1B_S1C_jS1D_jS1E_S1E_jjS1G_bEUljE0_EEESZ_S10_S11_S18_S1C_S1E_T6_T7_T9_mT8_S1G_bDpT10_ENKUlT_T0_E_clISt17integral_constantIbLb0EES1T_IbLb1EEEEDaS1P_S1Q_EUlS1P_E_NS1_11comp_targetILNS1_3genE9ELNS1_11target_archE1100ELNS1_3gpuE3ELNS1_3repE0EEENS1_30default_config_static_selectorELNS0_4arch9wavefront6targetE0EEEvS12_.numbered_sgpr, 0
	.set _ZN7rocprim17ROCPRIM_400000_NS6detail17trampoline_kernelINS0_13select_configILj256ELj13ELNS0_17block_load_methodE3ELS4_3ELS4_3ELNS0_20block_scan_algorithmE0ELj4294967295EEENS1_25partition_config_selectorILNS1_17partition_subalgoE4EjNS0_10empty_typeEbEEZZNS1_14partition_implILS8_4ELb0ES6_15HIP_vector_typeIjLj2EENS0_17counting_iteratorIjlEEPS9_SG_NS0_5tupleIJPjSI_NS0_16reverse_iteratorISI_EEEEENSH_IJSG_SG_SG_EEES9_SI_JZNS1_25segmented_radix_sort_implINS0_14default_configELb0EPKsPsPKlPlN2at6native12_GLOBAL__N_18offset_tEEE10hipError_tPvRmT1_PNSt15iterator_traitsIS12_E10value_typeET2_T3_PNS13_IS18_E10value_typeET4_jRbjT5_S1E_jjP12ihipStream_tbEUljE_ZNSN_ISO_Lb0ESQ_SR_ST_SU_SY_EESZ_S10_S11_S12_S16_S17_S18_S1B_S1C_jS1D_jS1E_S1E_jjS1G_bEUljE0_EEESZ_S10_S11_S18_S1C_S1E_T6_T7_T9_mT8_S1G_bDpT10_ENKUlT_T0_E_clISt17integral_constantIbLb0EES1T_IbLb1EEEEDaS1P_S1Q_EUlS1P_E_NS1_11comp_targetILNS1_3genE9ELNS1_11target_archE1100ELNS1_3gpuE3ELNS1_3repE0EEENS1_30default_config_static_selectorELNS0_4arch9wavefront6targetE0EEEvS12_.num_named_barrier, 0
	.set _ZN7rocprim17ROCPRIM_400000_NS6detail17trampoline_kernelINS0_13select_configILj256ELj13ELNS0_17block_load_methodE3ELS4_3ELS4_3ELNS0_20block_scan_algorithmE0ELj4294967295EEENS1_25partition_config_selectorILNS1_17partition_subalgoE4EjNS0_10empty_typeEbEEZZNS1_14partition_implILS8_4ELb0ES6_15HIP_vector_typeIjLj2EENS0_17counting_iteratorIjlEEPS9_SG_NS0_5tupleIJPjSI_NS0_16reverse_iteratorISI_EEEEENSH_IJSG_SG_SG_EEES9_SI_JZNS1_25segmented_radix_sort_implINS0_14default_configELb0EPKsPsPKlPlN2at6native12_GLOBAL__N_18offset_tEEE10hipError_tPvRmT1_PNSt15iterator_traitsIS12_E10value_typeET2_T3_PNS13_IS18_E10value_typeET4_jRbjT5_S1E_jjP12ihipStream_tbEUljE_ZNSN_ISO_Lb0ESQ_SR_ST_SU_SY_EESZ_S10_S11_S12_S16_S17_S18_S1B_S1C_jS1D_jS1E_S1E_jjS1G_bEUljE0_EEESZ_S10_S11_S18_S1C_S1E_T6_T7_T9_mT8_S1G_bDpT10_ENKUlT_T0_E_clISt17integral_constantIbLb0EES1T_IbLb1EEEEDaS1P_S1Q_EUlS1P_E_NS1_11comp_targetILNS1_3genE9ELNS1_11target_archE1100ELNS1_3gpuE3ELNS1_3repE0EEENS1_30default_config_static_selectorELNS0_4arch9wavefront6targetE0EEEvS12_.private_seg_size, 0
	.set _ZN7rocprim17ROCPRIM_400000_NS6detail17trampoline_kernelINS0_13select_configILj256ELj13ELNS0_17block_load_methodE3ELS4_3ELS4_3ELNS0_20block_scan_algorithmE0ELj4294967295EEENS1_25partition_config_selectorILNS1_17partition_subalgoE4EjNS0_10empty_typeEbEEZZNS1_14partition_implILS8_4ELb0ES6_15HIP_vector_typeIjLj2EENS0_17counting_iteratorIjlEEPS9_SG_NS0_5tupleIJPjSI_NS0_16reverse_iteratorISI_EEEEENSH_IJSG_SG_SG_EEES9_SI_JZNS1_25segmented_radix_sort_implINS0_14default_configELb0EPKsPsPKlPlN2at6native12_GLOBAL__N_18offset_tEEE10hipError_tPvRmT1_PNSt15iterator_traitsIS12_E10value_typeET2_T3_PNS13_IS18_E10value_typeET4_jRbjT5_S1E_jjP12ihipStream_tbEUljE_ZNSN_ISO_Lb0ESQ_SR_ST_SU_SY_EESZ_S10_S11_S12_S16_S17_S18_S1B_S1C_jS1D_jS1E_S1E_jjS1G_bEUljE0_EEESZ_S10_S11_S18_S1C_S1E_T6_T7_T9_mT8_S1G_bDpT10_ENKUlT_T0_E_clISt17integral_constantIbLb0EES1T_IbLb1EEEEDaS1P_S1Q_EUlS1P_E_NS1_11comp_targetILNS1_3genE9ELNS1_11target_archE1100ELNS1_3gpuE3ELNS1_3repE0EEENS1_30default_config_static_selectorELNS0_4arch9wavefront6targetE0EEEvS12_.uses_vcc, 0
	.set _ZN7rocprim17ROCPRIM_400000_NS6detail17trampoline_kernelINS0_13select_configILj256ELj13ELNS0_17block_load_methodE3ELS4_3ELS4_3ELNS0_20block_scan_algorithmE0ELj4294967295EEENS1_25partition_config_selectorILNS1_17partition_subalgoE4EjNS0_10empty_typeEbEEZZNS1_14partition_implILS8_4ELb0ES6_15HIP_vector_typeIjLj2EENS0_17counting_iteratorIjlEEPS9_SG_NS0_5tupleIJPjSI_NS0_16reverse_iteratorISI_EEEEENSH_IJSG_SG_SG_EEES9_SI_JZNS1_25segmented_radix_sort_implINS0_14default_configELb0EPKsPsPKlPlN2at6native12_GLOBAL__N_18offset_tEEE10hipError_tPvRmT1_PNSt15iterator_traitsIS12_E10value_typeET2_T3_PNS13_IS18_E10value_typeET4_jRbjT5_S1E_jjP12ihipStream_tbEUljE_ZNSN_ISO_Lb0ESQ_SR_ST_SU_SY_EESZ_S10_S11_S12_S16_S17_S18_S1B_S1C_jS1D_jS1E_S1E_jjS1G_bEUljE0_EEESZ_S10_S11_S18_S1C_S1E_T6_T7_T9_mT8_S1G_bDpT10_ENKUlT_T0_E_clISt17integral_constantIbLb0EES1T_IbLb1EEEEDaS1P_S1Q_EUlS1P_E_NS1_11comp_targetILNS1_3genE9ELNS1_11target_archE1100ELNS1_3gpuE3ELNS1_3repE0EEENS1_30default_config_static_selectorELNS0_4arch9wavefront6targetE0EEEvS12_.uses_flat_scratch, 0
	.set _ZN7rocprim17ROCPRIM_400000_NS6detail17trampoline_kernelINS0_13select_configILj256ELj13ELNS0_17block_load_methodE3ELS4_3ELS4_3ELNS0_20block_scan_algorithmE0ELj4294967295EEENS1_25partition_config_selectorILNS1_17partition_subalgoE4EjNS0_10empty_typeEbEEZZNS1_14partition_implILS8_4ELb0ES6_15HIP_vector_typeIjLj2EENS0_17counting_iteratorIjlEEPS9_SG_NS0_5tupleIJPjSI_NS0_16reverse_iteratorISI_EEEEENSH_IJSG_SG_SG_EEES9_SI_JZNS1_25segmented_radix_sort_implINS0_14default_configELb0EPKsPsPKlPlN2at6native12_GLOBAL__N_18offset_tEEE10hipError_tPvRmT1_PNSt15iterator_traitsIS12_E10value_typeET2_T3_PNS13_IS18_E10value_typeET4_jRbjT5_S1E_jjP12ihipStream_tbEUljE_ZNSN_ISO_Lb0ESQ_SR_ST_SU_SY_EESZ_S10_S11_S12_S16_S17_S18_S1B_S1C_jS1D_jS1E_S1E_jjS1G_bEUljE0_EEESZ_S10_S11_S18_S1C_S1E_T6_T7_T9_mT8_S1G_bDpT10_ENKUlT_T0_E_clISt17integral_constantIbLb0EES1T_IbLb1EEEEDaS1P_S1Q_EUlS1P_E_NS1_11comp_targetILNS1_3genE9ELNS1_11target_archE1100ELNS1_3gpuE3ELNS1_3repE0EEENS1_30default_config_static_selectorELNS0_4arch9wavefront6targetE0EEEvS12_.has_dyn_sized_stack, 0
	.set _ZN7rocprim17ROCPRIM_400000_NS6detail17trampoline_kernelINS0_13select_configILj256ELj13ELNS0_17block_load_methodE3ELS4_3ELS4_3ELNS0_20block_scan_algorithmE0ELj4294967295EEENS1_25partition_config_selectorILNS1_17partition_subalgoE4EjNS0_10empty_typeEbEEZZNS1_14partition_implILS8_4ELb0ES6_15HIP_vector_typeIjLj2EENS0_17counting_iteratorIjlEEPS9_SG_NS0_5tupleIJPjSI_NS0_16reverse_iteratorISI_EEEEENSH_IJSG_SG_SG_EEES9_SI_JZNS1_25segmented_radix_sort_implINS0_14default_configELb0EPKsPsPKlPlN2at6native12_GLOBAL__N_18offset_tEEE10hipError_tPvRmT1_PNSt15iterator_traitsIS12_E10value_typeET2_T3_PNS13_IS18_E10value_typeET4_jRbjT5_S1E_jjP12ihipStream_tbEUljE_ZNSN_ISO_Lb0ESQ_SR_ST_SU_SY_EESZ_S10_S11_S12_S16_S17_S18_S1B_S1C_jS1D_jS1E_S1E_jjS1G_bEUljE0_EEESZ_S10_S11_S18_S1C_S1E_T6_T7_T9_mT8_S1G_bDpT10_ENKUlT_T0_E_clISt17integral_constantIbLb0EES1T_IbLb1EEEEDaS1P_S1Q_EUlS1P_E_NS1_11comp_targetILNS1_3genE9ELNS1_11target_archE1100ELNS1_3gpuE3ELNS1_3repE0EEENS1_30default_config_static_selectorELNS0_4arch9wavefront6targetE0EEEvS12_.has_recursion, 0
	.set _ZN7rocprim17ROCPRIM_400000_NS6detail17trampoline_kernelINS0_13select_configILj256ELj13ELNS0_17block_load_methodE3ELS4_3ELS4_3ELNS0_20block_scan_algorithmE0ELj4294967295EEENS1_25partition_config_selectorILNS1_17partition_subalgoE4EjNS0_10empty_typeEbEEZZNS1_14partition_implILS8_4ELb0ES6_15HIP_vector_typeIjLj2EENS0_17counting_iteratorIjlEEPS9_SG_NS0_5tupleIJPjSI_NS0_16reverse_iteratorISI_EEEEENSH_IJSG_SG_SG_EEES9_SI_JZNS1_25segmented_radix_sort_implINS0_14default_configELb0EPKsPsPKlPlN2at6native12_GLOBAL__N_18offset_tEEE10hipError_tPvRmT1_PNSt15iterator_traitsIS12_E10value_typeET2_T3_PNS13_IS18_E10value_typeET4_jRbjT5_S1E_jjP12ihipStream_tbEUljE_ZNSN_ISO_Lb0ESQ_SR_ST_SU_SY_EESZ_S10_S11_S12_S16_S17_S18_S1B_S1C_jS1D_jS1E_S1E_jjS1G_bEUljE0_EEESZ_S10_S11_S18_S1C_S1E_T6_T7_T9_mT8_S1G_bDpT10_ENKUlT_T0_E_clISt17integral_constantIbLb0EES1T_IbLb1EEEEDaS1P_S1Q_EUlS1P_E_NS1_11comp_targetILNS1_3genE9ELNS1_11target_archE1100ELNS1_3gpuE3ELNS1_3repE0EEENS1_30default_config_static_selectorELNS0_4arch9wavefront6targetE0EEEvS12_.has_indirect_call, 0
	.section	.AMDGPU.csdata,"",@progbits
; Kernel info:
; codeLenInByte = 0
; TotalNumSgprs: 0
; NumVgprs: 0
; ScratchSize: 0
; MemoryBound: 0
; FloatMode: 240
; IeeeMode: 1
; LDSByteSize: 0 bytes/workgroup (compile time only)
; SGPRBlocks: 0
; VGPRBlocks: 0
; NumSGPRsForWavesPerEU: 1
; NumVGPRsForWavesPerEU: 1
; Occupancy: 16
; WaveLimiterHint : 0
; COMPUTE_PGM_RSRC2:SCRATCH_EN: 0
; COMPUTE_PGM_RSRC2:USER_SGPR: 6
; COMPUTE_PGM_RSRC2:TRAP_HANDLER: 0
; COMPUTE_PGM_RSRC2:TGID_X_EN: 1
; COMPUTE_PGM_RSRC2:TGID_Y_EN: 0
; COMPUTE_PGM_RSRC2:TGID_Z_EN: 0
; COMPUTE_PGM_RSRC2:TIDIG_COMP_CNT: 0
	.section	.text._ZN7rocprim17ROCPRIM_400000_NS6detail17trampoline_kernelINS0_13select_configILj256ELj13ELNS0_17block_load_methodE3ELS4_3ELS4_3ELNS0_20block_scan_algorithmE0ELj4294967295EEENS1_25partition_config_selectorILNS1_17partition_subalgoE4EjNS0_10empty_typeEbEEZZNS1_14partition_implILS8_4ELb0ES6_15HIP_vector_typeIjLj2EENS0_17counting_iteratorIjlEEPS9_SG_NS0_5tupleIJPjSI_NS0_16reverse_iteratorISI_EEEEENSH_IJSG_SG_SG_EEES9_SI_JZNS1_25segmented_radix_sort_implINS0_14default_configELb0EPKsPsPKlPlN2at6native12_GLOBAL__N_18offset_tEEE10hipError_tPvRmT1_PNSt15iterator_traitsIS12_E10value_typeET2_T3_PNS13_IS18_E10value_typeET4_jRbjT5_S1E_jjP12ihipStream_tbEUljE_ZNSN_ISO_Lb0ESQ_SR_ST_SU_SY_EESZ_S10_S11_S12_S16_S17_S18_S1B_S1C_jS1D_jS1E_S1E_jjS1G_bEUljE0_EEESZ_S10_S11_S18_S1C_S1E_T6_T7_T9_mT8_S1G_bDpT10_ENKUlT_T0_E_clISt17integral_constantIbLb0EES1T_IbLb1EEEEDaS1P_S1Q_EUlS1P_E_NS1_11comp_targetILNS1_3genE8ELNS1_11target_archE1030ELNS1_3gpuE2ELNS1_3repE0EEENS1_30default_config_static_selectorELNS0_4arch9wavefront6targetE0EEEvS12_,"axG",@progbits,_ZN7rocprim17ROCPRIM_400000_NS6detail17trampoline_kernelINS0_13select_configILj256ELj13ELNS0_17block_load_methodE3ELS4_3ELS4_3ELNS0_20block_scan_algorithmE0ELj4294967295EEENS1_25partition_config_selectorILNS1_17partition_subalgoE4EjNS0_10empty_typeEbEEZZNS1_14partition_implILS8_4ELb0ES6_15HIP_vector_typeIjLj2EENS0_17counting_iteratorIjlEEPS9_SG_NS0_5tupleIJPjSI_NS0_16reverse_iteratorISI_EEEEENSH_IJSG_SG_SG_EEES9_SI_JZNS1_25segmented_radix_sort_implINS0_14default_configELb0EPKsPsPKlPlN2at6native12_GLOBAL__N_18offset_tEEE10hipError_tPvRmT1_PNSt15iterator_traitsIS12_E10value_typeET2_T3_PNS13_IS18_E10value_typeET4_jRbjT5_S1E_jjP12ihipStream_tbEUljE_ZNSN_ISO_Lb0ESQ_SR_ST_SU_SY_EESZ_S10_S11_S12_S16_S17_S18_S1B_S1C_jS1D_jS1E_S1E_jjS1G_bEUljE0_EEESZ_S10_S11_S18_S1C_S1E_T6_T7_T9_mT8_S1G_bDpT10_ENKUlT_T0_E_clISt17integral_constantIbLb0EES1T_IbLb1EEEEDaS1P_S1Q_EUlS1P_E_NS1_11comp_targetILNS1_3genE8ELNS1_11target_archE1030ELNS1_3gpuE2ELNS1_3repE0EEENS1_30default_config_static_selectorELNS0_4arch9wavefront6targetE0EEEvS12_,comdat
	.globl	_ZN7rocprim17ROCPRIM_400000_NS6detail17trampoline_kernelINS0_13select_configILj256ELj13ELNS0_17block_load_methodE3ELS4_3ELS4_3ELNS0_20block_scan_algorithmE0ELj4294967295EEENS1_25partition_config_selectorILNS1_17partition_subalgoE4EjNS0_10empty_typeEbEEZZNS1_14partition_implILS8_4ELb0ES6_15HIP_vector_typeIjLj2EENS0_17counting_iteratorIjlEEPS9_SG_NS0_5tupleIJPjSI_NS0_16reverse_iteratorISI_EEEEENSH_IJSG_SG_SG_EEES9_SI_JZNS1_25segmented_radix_sort_implINS0_14default_configELb0EPKsPsPKlPlN2at6native12_GLOBAL__N_18offset_tEEE10hipError_tPvRmT1_PNSt15iterator_traitsIS12_E10value_typeET2_T3_PNS13_IS18_E10value_typeET4_jRbjT5_S1E_jjP12ihipStream_tbEUljE_ZNSN_ISO_Lb0ESQ_SR_ST_SU_SY_EESZ_S10_S11_S12_S16_S17_S18_S1B_S1C_jS1D_jS1E_S1E_jjS1G_bEUljE0_EEESZ_S10_S11_S18_S1C_S1E_T6_T7_T9_mT8_S1G_bDpT10_ENKUlT_T0_E_clISt17integral_constantIbLb0EES1T_IbLb1EEEEDaS1P_S1Q_EUlS1P_E_NS1_11comp_targetILNS1_3genE8ELNS1_11target_archE1030ELNS1_3gpuE2ELNS1_3repE0EEENS1_30default_config_static_selectorELNS0_4arch9wavefront6targetE0EEEvS12_ ; -- Begin function _ZN7rocprim17ROCPRIM_400000_NS6detail17trampoline_kernelINS0_13select_configILj256ELj13ELNS0_17block_load_methodE3ELS4_3ELS4_3ELNS0_20block_scan_algorithmE0ELj4294967295EEENS1_25partition_config_selectorILNS1_17partition_subalgoE4EjNS0_10empty_typeEbEEZZNS1_14partition_implILS8_4ELb0ES6_15HIP_vector_typeIjLj2EENS0_17counting_iteratorIjlEEPS9_SG_NS0_5tupleIJPjSI_NS0_16reverse_iteratorISI_EEEEENSH_IJSG_SG_SG_EEES9_SI_JZNS1_25segmented_radix_sort_implINS0_14default_configELb0EPKsPsPKlPlN2at6native12_GLOBAL__N_18offset_tEEE10hipError_tPvRmT1_PNSt15iterator_traitsIS12_E10value_typeET2_T3_PNS13_IS18_E10value_typeET4_jRbjT5_S1E_jjP12ihipStream_tbEUljE_ZNSN_ISO_Lb0ESQ_SR_ST_SU_SY_EESZ_S10_S11_S12_S16_S17_S18_S1B_S1C_jS1D_jS1E_S1E_jjS1G_bEUljE0_EEESZ_S10_S11_S18_S1C_S1E_T6_T7_T9_mT8_S1G_bDpT10_ENKUlT_T0_E_clISt17integral_constantIbLb0EES1T_IbLb1EEEEDaS1P_S1Q_EUlS1P_E_NS1_11comp_targetILNS1_3genE8ELNS1_11target_archE1030ELNS1_3gpuE2ELNS1_3repE0EEENS1_30default_config_static_selectorELNS0_4arch9wavefront6targetE0EEEvS12_
	.p2align	8
	.type	_ZN7rocprim17ROCPRIM_400000_NS6detail17trampoline_kernelINS0_13select_configILj256ELj13ELNS0_17block_load_methodE3ELS4_3ELS4_3ELNS0_20block_scan_algorithmE0ELj4294967295EEENS1_25partition_config_selectorILNS1_17partition_subalgoE4EjNS0_10empty_typeEbEEZZNS1_14partition_implILS8_4ELb0ES6_15HIP_vector_typeIjLj2EENS0_17counting_iteratorIjlEEPS9_SG_NS0_5tupleIJPjSI_NS0_16reverse_iteratorISI_EEEEENSH_IJSG_SG_SG_EEES9_SI_JZNS1_25segmented_radix_sort_implINS0_14default_configELb0EPKsPsPKlPlN2at6native12_GLOBAL__N_18offset_tEEE10hipError_tPvRmT1_PNSt15iterator_traitsIS12_E10value_typeET2_T3_PNS13_IS18_E10value_typeET4_jRbjT5_S1E_jjP12ihipStream_tbEUljE_ZNSN_ISO_Lb0ESQ_SR_ST_SU_SY_EESZ_S10_S11_S12_S16_S17_S18_S1B_S1C_jS1D_jS1E_S1E_jjS1G_bEUljE0_EEESZ_S10_S11_S18_S1C_S1E_T6_T7_T9_mT8_S1G_bDpT10_ENKUlT_T0_E_clISt17integral_constantIbLb0EES1T_IbLb1EEEEDaS1P_S1Q_EUlS1P_E_NS1_11comp_targetILNS1_3genE8ELNS1_11target_archE1030ELNS1_3gpuE2ELNS1_3repE0EEENS1_30default_config_static_selectorELNS0_4arch9wavefront6targetE0EEEvS12_,@function
_ZN7rocprim17ROCPRIM_400000_NS6detail17trampoline_kernelINS0_13select_configILj256ELj13ELNS0_17block_load_methodE3ELS4_3ELS4_3ELNS0_20block_scan_algorithmE0ELj4294967295EEENS1_25partition_config_selectorILNS1_17partition_subalgoE4EjNS0_10empty_typeEbEEZZNS1_14partition_implILS8_4ELb0ES6_15HIP_vector_typeIjLj2EENS0_17counting_iteratorIjlEEPS9_SG_NS0_5tupleIJPjSI_NS0_16reverse_iteratorISI_EEEEENSH_IJSG_SG_SG_EEES9_SI_JZNS1_25segmented_radix_sort_implINS0_14default_configELb0EPKsPsPKlPlN2at6native12_GLOBAL__N_18offset_tEEE10hipError_tPvRmT1_PNSt15iterator_traitsIS12_E10value_typeET2_T3_PNS13_IS18_E10value_typeET4_jRbjT5_S1E_jjP12ihipStream_tbEUljE_ZNSN_ISO_Lb0ESQ_SR_ST_SU_SY_EESZ_S10_S11_S12_S16_S17_S18_S1B_S1C_jS1D_jS1E_S1E_jjS1G_bEUljE0_EEESZ_S10_S11_S18_S1C_S1E_T6_T7_T9_mT8_S1G_bDpT10_ENKUlT_T0_E_clISt17integral_constantIbLb0EES1T_IbLb1EEEEDaS1P_S1Q_EUlS1P_E_NS1_11comp_targetILNS1_3genE8ELNS1_11target_archE1030ELNS1_3gpuE2ELNS1_3repE0EEENS1_30default_config_static_selectorELNS0_4arch9wavefront6targetE0EEEvS12_: ; @_ZN7rocprim17ROCPRIM_400000_NS6detail17trampoline_kernelINS0_13select_configILj256ELj13ELNS0_17block_load_methodE3ELS4_3ELS4_3ELNS0_20block_scan_algorithmE0ELj4294967295EEENS1_25partition_config_selectorILNS1_17partition_subalgoE4EjNS0_10empty_typeEbEEZZNS1_14partition_implILS8_4ELb0ES6_15HIP_vector_typeIjLj2EENS0_17counting_iteratorIjlEEPS9_SG_NS0_5tupleIJPjSI_NS0_16reverse_iteratorISI_EEEEENSH_IJSG_SG_SG_EEES9_SI_JZNS1_25segmented_radix_sort_implINS0_14default_configELb0EPKsPsPKlPlN2at6native12_GLOBAL__N_18offset_tEEE10hipError_tPvRmT1_PNSt15iterator_traitsIS12_E10value_typeET2_T3_PNS13_IS18_E10value_typeET4_jRbjT5_S1E_jjP12ihipStream_tbEUljE_ZNSN_ISO_Lb0ESQ_SR_ST_SU_SY_EESZ_S10_S11_S12_S16_S17_S18_S1B_S1C_jS1D_jS1E_S1E_jjS1G_bEUljE0_EEESZ_S10_S11_S18_S1C_S1E_T6_T7_T9_mT8_S1G_bDpT10_ENKUlT_T0_E_clISt17integral_constantIbLb0EES1T_IbLb1EEEEDaS1P_S1Q_EUlS1P_E_NS1_11comp_targetILNS1_3genE8ELNS1_11target_archE1030ELNS1_3gpuE2ELNS1_3repE0EEENS1_30default_config_static_selectorELNS0_4arch9wavefront6targetE0EEEvS12_
; %bb.0:
	s_clause 0x7
	s_load_dwordx2 s[34:35], s[4:5], 0x10
	s_load_dwordx4 s[28:31], s[4:5], 0x28
	s_load_dwordx2 s[14:15], s[4:5], 0x38
	s_load_dwordx4 s[24:27], s[4:5], 0x58
	s_load_dwordx2 s[2:3], s[4:5], 0x68
	s_load_dwordx2 s[36:37], s[4:5], 0x78
	;; [unrolled: 1-line block ×3, first 2 shown]
	s_load_dwordx8 s[16:23], s[4:5], 0x90
	v_cmp_eq_u32_e64 s0, 0, v0
	s_and_saveexec_b32 s1, s0
	s_cbranch_execz .LBB974_4
; %bb.1:
	s_mov_b32 s7, exec_lo
	s_mov_b32 s6, exec_lo
	v_mbcnt_lo_u32_b32 v1, s7, 0
                                        ; implicit-def: $vgpr2
	v_cmpx_eq_u32_e32 0, v1
	s_cbranch_execz .LBB974_3
; %bb.2:
	s_load_dwordx2 s[8:9], s[4:5], 0x88
	s_bcnt1_i32_b32 s7, s7
	v_mov_b32_e32 v2, 0
	v_mov_b32_e32 v3, s7
	s_waitcnt lgkmcnt(0)
	global_atomic_add v2, v2, v3, s[8:9] glc
.LBB974_3:
	s_or_b32 exec_lo, exec_lo, s6
	s_waitcnt vmcnt(0)
	v_readfirstlane_b32 s6, v2
	v_mov_b32_e32 v2, 0
	v_add_nc_u32_e32 v1, s6, v1
	ds_write_b32 v2, v1
.LBB974_4:
	s_or_b32 exec_lo, exec_lo, s1
	v_mov_b32_e32 v1, 0
	s_clause 0x1
	s_load_dword s6, s[4:5], 0x8
	s_load_dword s1, s[4:5], 0x80
	s_waitcnt lgkmcnt(0)
	s_barrier
	buffer_gl0_inv
	ds_read_b32 v5, v1
	s_waitcnt lgkmcnt(0)
	s_barrier
	buffer_gl0_inv
	global_load_dwordx4 v[1:4], v1, s[26:27]
	s_add_i32 s5, s6, s34
	s_mul_i32 s4, s1, 0xd00
	s_add_i32 s1, s1, -1
	s_add_u32 s6, s34, s4
	s_addc_u32 s7, s35, 0
	v_mul_lo_u32 v31, 0xd00, v5
	v_readfirstlane_b32 s27, v5
	v_cmp_gt_u64_e64 s3, s[2:3], s[6:7]
	v_cmp_ne_u32_e32 vcc_lo, s1, v5
	s_cmp_eq_u32 s27, s1
	s_cselect_b32 s26, -1, 0
	v_add3_u32 v5, v31, s5, v0
	s_or_b32 s1, s3, vcc_lo
	s_mov_b32 s3, -1
	s_and_b32 vcc_lo, exec_lo, s1
	v_add_nc_u32_e32 v6, 0x100, v5
	v_add_nc_u32_e32 v7, 0x200, v5
	;; [unrolled: 1-line block ×12, first 2 shown]
	s_cbranch_vccz .LBB974_6
; %bb.5:
	v_lshlrev_b32_e32 v18, 2, v0
	s_mov_b32 s3, 0
	ds_write2st64_b32 v18, v5, v6 offset1:4
	ds_write2st64_b32 v18, v7, v8 offset0:8 offset1:12
	ds_write2st64_b32 v18, v9, v10 offset0:16 offset1:20
	;; [unrolled: 1-line block ×5, first 2 shown]
	ds_write_b32 v18, v17 offset:12288
	s_waitcnt vmcnt(0) lgkmcnt(0)
	s_barrier
.LBB974_6:
	s_andn2_b32 vcc_lo, exec_lo, s3
	s_add_i32 s4, s4, s34
	s_cbranch_vccnz .LBB974_8
; %bb.7:
	v_lshlrev_b32_e32 v18, 2, v0
	ds_write2st64_b32 v18, v5, v6 offset1:4
	ds_write2st64_b32 v18, v7, v8 offset0:8 offset1:12
	ds_write2st64_b32 v18, v9, v10 offset0:16 offset1:20
	;; [unrolled: 1-line block ×5, first 2 shown]
	ds_write_b32 v18, v17 offset:12288
	s_waitcnt vmcnt(0) lgkmcnt(0)
	s_barrier
.LBB974_8:
	v_mul_u32_u24_e32 v34, 13, v0
	s_waitcnt vmcnt(0)
	buffer_gl0_inv
	v_cndmask_b32_e64 v32, 0, 1, s1
	s_sub_i32 s33, s2, s4
	s_andn2_b32 vcc_lo, exec_lo, s1
	v_lshlrev_b32_e32 v5, 2, v34
	ds_read_b32 v33, v5 offset:48
	ds_read2_b32 v[13:14], v5 offset0:10 offset1:11
	ds_read2_b32 v[15:16], v5 offset0:8 offset1:9
	;; [unrolled: 1-line block ×4, first 2 shown]
	ds_read2_b32 v[23:24], v5 offset1:1
	ds_read2_b32 v[21:22], v5 offset0:2 offset1:3
	s_waitcnt lgkmcnt(0)
	s_barrier
	buffer_gl0_inv
	s_cbranch_vccnz .LBB974_36
; %bb.9:
	v_add_nc_u32_e32 v5, s17, v23
	v_add_nc_u32_e32 v6, s19, v23
	s_mov_b32 s41, 0
	s_mov_b32 s40, 0
	s_mov_b32 s2, exec_lo
	v_mul_lo_u32 v5, v5, s16
	v_mul_lo_u32 v6, v6, s18
	v_sub_nc_u32_e32 v5, v5, v6
	v_cmp_lt_u32_e32 vcc_lo, s20, v5
	v_cmpx_ge_u32_e64 s20, v5
	s_cbranch_execz .LBB974_11
; %bb.10:
	v_add_nc_u32_e32 v5, s22, v23
	v_add_nc_u32_e32 v6, s38, v23
	v_mul_lo_u32 v5, v5, s21
	v_mul_lo_u32 v6, v6, s23
	v_sub_nc_u32_e32 v5, v5, v6
	v_cmp_lt_u32_e64 s1, s39, v5
	s_and_b32 s40, s1, exec_lo
.LBB974_11:
	s_or_b32 exec_lo, exec_lo, s2
	v_add_nc_u32_e32 v5, s17, v24
	v_add_nc_u32_e32 v6, s19, v24
	s_mov_b32 s3, exec_lo
	v_mul_lo_u32 v5, v5, s16
	v_mul_lo_u32 v6, v6, s18
	v_sub_nc_u32_e32 v5, v5, v6
	v_cmp_lt_u32_e64 s1, s20, v5
	v_cmpx_ge_u32_e64 s20, v5
	s_cbranch_execz .LBB974_13
; %bb.12:
	v_add_nc_u32_e32 v5, s22, v24
	v_add_nc_u32_e32 v6, s38, v24
	v_mul_lo_u32 v5, v5, s21
	v_mul_lo_u32 v6, v6, s23
	v_sub_nc_u32_e32 v5, v5, v6
	v_cmp_lt_u32_e64 s2, s39, v5
	s_and_b32 s41, s2, exec_lo
.LBB974_13:
	s_or_b32 exec_lo, exec_lo, s3
	v_add_nc_u32_e32 v5, s17, v21
	v_add_nc_u32_e32 v6, s19, v21
	s_mov_b32 s43, 0
	s_mov_b32 s42, 0
	s_mov_b32 s4, exec_lo
	v_mul_lo_u32 v5, v5, s16
	v_mul_lo_u32 v6, v6, s18
	v_sub_nc_u32_e32 v5, v5, v6
	v_cmp_lt_u32_e64 s2, s20, v5
	v_cmpx_ge_u32_e64 s20, v5
	s_cbranch_execz .LBB974_15
; %bb.14:
	v_add_nc_u32_e32 v5, s22, v21
	v_add_nc_u32_e32 v6, s38, v21
	v_mul_lo_u32 v5, v5, s21
	v_mul_lo_u32 v6, v6, s23
	v_sub_nc_u32_e32 v5, v5, v6
	v_cmp_lt_u32_e64 s3, s39, v5
	s_and_b32 s42, s3, exec_lo
.LBB974_15:
	s_or_b32 exec_lo, exec_lo, s4
	v_add_nc_u32_e32 v5, s17, v22
	v_add_nc_u32_e32 v6, s19, v22
	s_mov_b32 s5, exec_lo
	v_mul_lo_u32 v5, v5, s16
	v_mul_lo_u32 v6, v6, s18
	v_sub_nc_u32_e32 v5, v5, v6
	v_cmp_lt_u32_e64 s3, s20, v5
	v_cmpx_ge_u32_e64 s20, v5
	s_cbranch_execz .LBB974_17
; %bb.16:
	v_add_nc_u32_e32 v5, s22, v22
	v_add_nc_u32_e32 v6, s38, v22
	v_mul_lo_u32 v5, v5, s21
	v_mul_lo_u32 v6, v6, s23
	v_sub_nc_u32_e32 v5, v5, v6
	v_cmp_lt_u32_e64 s4, s39, v5
	s_and_b32 s43, s4, exec_lo
.LBB974_17:
	s_or_b32 exec_lo, exec_lo, s5
	v_add_nc_u32_e32 v5, s17, v19
	v_add_nc_u32_e32 v6, s19, v19
	s_mov_b32 s45, 0
	s_mov_b32 s44, 0
	s_mov_b32 s6, exec_lo
	v_mul_lo_u32 v5, v5, s16
	v_mul_lo_u32 v6, v6, s18
	v_sub_nc_u32_e32 v5, v5, v6
	v_cmp_lt_u32_e64 s4, s20, v5
	;; [unrolled: 40-line block ×6, first 2 shown]
	v_cmpx_ge_u32_e64 s20, v5
	s_cbranch_execz .LBB974_35
; %bb.34:
	v_add_nc_u32_e32 v5, s22, v33
	v_add_nc_u32_e32 v6, s38, v33
	v_mul_lo_u32 v5, v5, s21
	v_mul_lo_u32 v6, v6, s23
	v_sub_nc_u32_e32 v5, v5, v6
	v_cmp_lt_u32_e64 s13, s39, v5
	s_and_b32 s53, s13, exec_lo
.LBB974_35:
	s_or_b32 exec_lo, exec_lo, s54
	v_cndmask_b32_e64 v6, 0, 1, s1
	v_cndmask_b32_e64 v8, 0, 1, s3
	v_cndmask_b32_e64 v5, 0, 1, vcc_lo
	v_cndmask_b32_e64 v7, 0, 1, s2
	v_cndmask_b32_e64 v10, 0, 1, s5
	v_lshlrev_b16 v6, 8, v6
	v_lshlrev_b16 v8, 8, v8
	v_cndmask_b32_e64 v12, 0, 1, s7
	v_cndmask_b32_e64 v26, 0, 1, s9
	;; [unrolled: 1-line block ×3, first 2 shown]
	v_or_b32_e32 v5, v5, v6
	v_or_b32_sdwa v6, v7, v8 dst_sel:WORD_1 dst_unused:UNUSED_PAD src0_sel:DWORD src1_sel:DWORD
	v_cndmask_b32_e64 v7, 0, 1, s40
	v_cndmask_b32_e64 v9, 0, 1, s4
	;; [unrolled: 1-line block ×11, first 2 shown]
	v_or_b32_sdwa v35, v5, v6 dst_sel:DWORD dst_unused:UNUSED_PAD src0_sel:WORD_0 src1_sel:DWORD
	v_lshlrev_b16 v5, 8, v10
	v_lshlrev_b16 v6, 8, v12
	;; [unrolled: 1-line block ×5, first 2 shown]
	v_cndmask_b32_e64 v30, 0, 1, s49
	v_cndmask_b32_e64 v37, 0, 1, s47
	;; [unrolled: 1-line block ×5, first 2 shown]
	v_or_b32_e32 v5, v9, v5
	v_or_b32_sdwa v6, v11, v6 dst_sel:WORD_1 dst_unused:UNUSED_PAD src0_sel:DWORD src1_sel:DWORD
	v_or_b32_e32 v9, v25, v10
	v_or_b32_sdwa v10, v27, v12 dst_sel:WORD_1 dst_unused:UNUSED_PAD src0_sel:DWORD src1_sel:DWORD
	v_or_b32_e32 v7, v8, v7
	v_lshlrev_b16 v8, 8, v44
	v_lshlrev_b16 v11, 8, v41
	;; [unrolled: 1-line block ×5, first 2 shown]
	v_or_b32_sdwa v8, v45, v8 dst_sel:WORD_1 dst_unused:UNUSED_PAD src0_sel:DWORD src1_sel:DWORD
	v_or_b32_e32 v11, v43, v11
	v_or_b32_sdwa v12, v40, v12 dst_sel:WORD_1 dst_unused:UNUSED_PAD src0_sel:DWORD src1_sel:DWORD
	v_or_b32_e32 v25, v37, v25
	v_or_b32_sdwa v26, v30, v26 dst_sel:WORD_1 dst_unused:UNUSED_PAD src0_sel:DWORD src1_sel:DWORD
	v_cndmask_b32_e64 v39, 0, 1, s51
	v_cndmask_b32_e64 v42, 0, 1, s53
	v_or_b32_sdwa v37, v5, v6 dst_sel:DWORD dst_unused:UNUSED_PAD src0_sel:WORD_0 src1_sel:DWORD
	v_or_b32_sdwa v40, v9, v10 dst_sel:DWORD dst_unused:UNUSED_PAD src0_sel:WORD_0 src1_sel:DWORD
	;; [unrolled: 1-line block ×5, first 2 shown]
	s_and_b32 vcc_lo, exec_lo, s50
	s_add_i32 s5, s33, 0xd00
	s_cbranch_vccnz .LBB974_37
	s_branch .LBB974_114
.LBB974_36:
                                        ; implicit-def: $vgpr42
                                        ; implicit-def: $vgpr39
                                        ; implicit-def: $vgpr38
                                        ; implicit-def: $vgpr36
                                        ; implicit-def: $vgpr41
                                        ; implicit-def: $vgpr40
                                        ; implicit-def: $vgpr37
                                        ; implicit-def: $vgpr35
	s_add_i32 s5, s33, 0xd00
	s_cbranch_execz .LBB974_114
.LBB974_37:
	v_mov_b32_e32 v6, 0
	v_mov_b32_e32 v5, 0
	s_mov_b32 s2, exec_lo
	v_cmpx_gt_u32_e64 s5, v34
	s_cbranch_execz .LBB974_41
; %bb.38:
	v_add_nc_u32_e32 v5, s17, v23
	v_add_nc_u32_e32 v6, s19, v23
	s_mov_b32 s4, 0
	s_mov_b32 s3, exec_lo
	v_mul_lo_u32 v5, v5, s16
	v_mul_lo_u32 v6, v6, s18
	v_sub_nc_u32_e32 v5, v5, v6
	v_cmp_lt_u32_e32 vcc_lo, s20, v5
	v_cmpx_ge_u32_e64 s20, v5
	s_cbranch_execz .LBB974_40
; %bb.39:
	v_add_nc_u32_e32 v5, s22, v23
	v_add_nc_u32_e32 v6, s38, v23
	v_mul_lo_u32 v5, v5, s21
	v_mul_lo_u32 v6, v6, s23
	v_sub_nc_u32_e32 v5, v5, v6
	v_cmp_lt_u32_e64 s1, s39, v5
	s_and_b32 s4, s1, exec_lo
.LBB974_40:
	s_or_b32 exec_lo, exec_lo, s3
	v_cndmask_b32_e64 v6, 0, 1, s4
	v_cndmask_b32_e64 v5, 0, 1, vcc_lo
.LBB974_41:
	s_or_b32 exec_lo, exec_lo, s2
	v_add_nc_u32_e32 v7, 1, v34
	v_lshlrev_b16 v25, 8, v6
	v_and_b32_e32 v10, 0xff, v5
	v_lshlrev_b16 v11, 8, 0
                                        ; implicit-def: $vgpr9
                                        ; implicit-def: $vgpr12
                                        ; implicit-def: $vgpr6
                                        ; implicit-def: $vgpr8
	v_cmp_le_u32_e32 vcc_lo, s5, v7
                                        ; implicit-def: $vgpr7
	s_and_saveexec_b32 s1, vcc_lo
	s_xor_b32 s1, exec_lo, s1
	s_cbranch_execz .LBB974_43
; %bb.42:
	v_mov_b32_e32 v5, 8
	v_mov_b32_e32 v6, 0xff
	;; [unrolled: 1-line block ×3, first 2 shown]
	v_and_b32_e32 v8, 0xffff, v11
	v_and_b32_e32 v7, 0xffff, v11
	v_lshrrev_b32_sdwa v5, v5, v25 dst_sel:BYTE_1 dst_unused:UNUSED_PAD src0_sel:DWORD src1_sel:WORD_0
	v_and_b32_sdwa v6, v25, v6 dst_sel:DWORD dst_unused:UNUSED_PAD src0_sel:WORD_0 src1_sel:DWORD
                                        ; implicit-def: $vgpr25
	v_or_b32_e32 v5, v6, v5
	v_and_b32_e32 v6, 0xffff, v11
                                        ; implicit-def: $vgpr11
	v_and_b32_e32 v12, 0xffff, v5
                                        ; implicit-def: $vgpr5
.LBB974_43:
	s_andn2_saveexec_b32 s2, s1
	s_cbranch_execz .LBB974_47
; %bb.44:
	v_add_nc_u32_e32 v6, s17, v24
	v_add_nc_u32_e32 v7, s19, v24
	s_mov_b32 s3, 0
	s_mov_b32 s4, exec_lo
	v_mul_lo_u32 v6, v6, s16
	v_mul_lo_u32 v7, v7, s18
	v_sub_nc_u32_e32 v6, v6, v7
	v_cmp_lt_u32_e32 vcc_lo, s20, v6
	v_cmpx_ge_u32_e64 s20, v6
	s_cbranch_execz .LBB974_46
; %bb.45:
	v_add_nc_u32_e32 v6, s22, v24
	v_add_nc_u32_e32 v7, s38, v24
	v_mul_lo_u32 v6, v6, s21
	v_mul_lo_u32 v7, v7, s23
	v_sub_nc_u32_e32 v6, v6, v7
	v_cmp_lt_u32_e64 s1, s39, v6
	s_and_b32 s3, s1, exec_lo
.LBB974_46:
	s_or_b32 exec_lo, exec_lo, s4
	v_mov_b32_e32 v6, 0xff
	v_mov_b32_e32 v7, 8
	v_cndmask_b32_e64 v8, 0, 1, vcc_lo
	v_mov_b32_e32 v9, 0
	v_and_b32_sdwa v6, v25, v6 dst_sel:DWORD dst_unused:UNUSED_PAD src0_sel:WORD_0 src1_sel:DWORD
	v_lshrrev_b32_sdwa v7, v7, v25 dst_sel:BYTE_1 dst_unused:UNUSED_PAD src0_sel:DWORD src1_sel:WORD_0
	v_lshlrev_b16 v8, 8, v8
	v_or_b32_e32 v6, v6, v7
	v_cndmask_b32_e64 v7, 0, 1, s3
	v_or_b32_sdwa v5, v5, v8 dst_sel:DWORD dst_unused:UNUSED_PAD src0_sel:BYTE_0 src1_sel:DWORD
	v_and_b32_e32 v8, 0xffff, v11
	v_and_b32_e32 v12, 0xffff, v6
	v_mov_b32_e32 v6, 0
	v_and_b32_e32 v10, 0xffff, v5
	v_lshl_or_b32 v12, v7, 16, v12
	v_and_b32_e32 v7, 0xffff, v11
.LBB974_47:
	s_or_b32 exec_lo, exec_lo, s2
	v_add_nc_u32_e32 v5, 2, v34
                                        ; implicit-def: $vgpr11
	v_cmp_le_u32_e32 vcc_lo, s5, v5
                                        ; implicit-def: $vgpr5
	s_and_saveexec_b32 s1, vcc_lo
	s_xor_b32 s1, exec_lo, s1
	s_cbranch_execz .LBB974_49
; %bb.48:
	v_lshrrev_b32_e32 v5, 24, v10
	v_mov_b32_e32 v11, 8
	v_and_b32_e32 v25, 0xff0000, v12
	v_perm_b32 v8, v8, v8, 0x3060504
	v_perm_b32 v5, v5, v10, 0x40c0100
	v_lshrrev_b32_sdwa v10, v11, v5 dst_sel:BYTE_1 dst_unused:UNUSED_PAD src0_sel:DWORD src1_sel:DWORD
	v_or_b32_sdwa v10, v5, v10 dst_sel:DWORD dst_unused:UNUSED_PAD src0_sel:BYTE_0 src1_sel:DWORD
	v_and_b32_e32 v10, 0xffff, v10
	v_and_or_b32 v11, 0xff000000, v5, v10
	v_perm_b32 v5, v12, v25, 0x3020504
                                        ; implicit-def: $vgpr10
                                        ; implicit-def: $vgpr12
.LBB974_49:
	s_andn2_saveexec_b32 s2, s1
	s_cbranch_execz .LBB974_53
; %bb.50:
	v_add_nc_u32_e32 v5, s17, v21
	v_add_nc_u32_e32 v11, s19, v21
	s_mov_b32 s3, 0
	s_mov_b32 s4, exec_lo
	v_mul_lo_u32 v5, v5, s16
	v_mul_lo_u32 v11, v11, s18
	v_sub_nc_u32_e32 v5, v5, v11
	v_cmp_lt_u32_e32 vcc_lo, s20, v5
	v_cmpx_ge_u32_e64 s20, v5
	s_cbranch_execz .LBB974_52
; %bb.51:
	v_add_nc_u32_e32 v5, s22, v21
	v_add_nc_u32_e32 v11, s38, v21
	v_mul_lo_u32 v5, v5, s21
	v_mul_lo_u32 v11, v11, s23
	v_sub_nc_u32_e32 v5, v5, v11
	v_cmp_lt_u32_e64 s1, s39, v5
	s_and_b32 s3, s1, exec_lo
.LBB974_52:
	s_or_b32 exec_lo, exec_lo, s4
	v_mov_b32_e32 v5, 8
	v_mov_b32_e32 v11, 24
	v_cndmask_b32_e64 v26, 0, 1, s3
	v_mov_b32_e32 v27, 0xff
	v_cndmask_b32_e64 v25, 0, 1, vcc_lo
	v_lshrrev_b32_sdwa v28, v5, v10 dst_sel:BYTE_1 dst_unused:UNUSED_PAD src0_sel:DWORD src1_sel:DWORD
	v_lshrrev_b32_sdwa v11, v11, v10 dst_sel:BYTE_1 dst_unused:UNUSED_PAD src0_sel:DWORD src1_sel:DWORD
	;; [unrolled: 1-line block ×3, first 2 shown]
	v_lshlrev_b16 v26, 8, v26
	v_and_b32_sdwa v27, v12, v27 dst_sel:DWORD dst_unused:UNUSED_PAD src0_sel:WORD_1 src1_sel:DWORD
	v_or_b32_sdwa v10, v10, v28 dst_sel:DWORD dst_unused:UNUSED_PAD src0_sel:BYTE_0 src1_sel:DWORD
	v_or_b32_sdwa v11, v25, v11 dst_sel:WORD_1 dst_unused:UNUSED_PAD src0_sel:DWORD src1_sel:DWORD
	v_or_b32_sdwa v5, v12, v5 dst_sel:DWORD dst_unused:UNUSED_PAD src0_sel:BYTE_0 src1_sel:DWORD
	v_or_b32_sdwa v12, v27, v26 dst_sel:WORD_1 dst_unused:UNUSED_PAD src0_sel:DWORD src1_sel:DWORD
	v_or_b32_sdwa v11, v10, v11 dst_sel:DWORD dst_unused:UNUSED_PAD src0_sel:WORD_0 src1_sel:DWORD
	v_or_b32_sdwa v5, v5, v12 dst_sel:DWORD dst_unused:UNUSED_PAD src0_sel:WORD_0 src1_sel:DWORD
.LBB974_53:
	s_or_b32 exec_lo, exec_lo, s2
	v_add_nc_u32_e32 v10, 3, v34
                                        ; implicit-def: $vgpr35
	v_cmp_le_u32_e32 vcc_lo, s5, v10
                                        ; implicit-def: $vgpr10
	s_and_saveexec_b32 s1, vcc_lo
	s_xor_b32 s1, exec_lo, s1
	s_cbranch_execz .LBB974_55
; %bb.54:
	v_mov_b32_e32 v10, 24
	v_mov_b32_e32 v12, 0xff
	;; [unrolled: 1-line block ×3, first 2 shown]
	v_and_b32_e32 v26, 0xff0000, v11
	v_perm_b32 v8, v8, v8, 0x3060504
	v_lshrrev_b32_sdwa v10, v10, v9 dst_sel:BYTE_1 dst_unused:UNUSED_PAD src0_sel:DWORD src1_sel:DWORD
	v_and_b32_sdwa v12, v9, v12 dst_sel:DWORD dst_unused:UNUSED_PAD src0_sel:WORD_1 src1_sel:DWORD
	v_lshrrev_b32_sdwa v9, v25, v9 dst_sel:BYTE_1 dst_unused:UNUSED_PAD src0_sel:DWORD src1_sel:DWORD
	v_perm_b32 v35, v11, v26, 0x3020504
	v_perm_b32 v7, v7, v7, 0x3060504
                                        ; implicit-def: $vgpr11
	v_or_b32_sdwa v10, v12, v10 dst_sel:WORD_1 dst_unused:UNUSED_PAD src0_sel:DWORD src1_sel:DWORD
	v_or_b32_sdwa v10, v9, v10 dst_sel:DWORD dst_unused:UNUSED_PAD src0_sel:WORD_0 src1_sel:DWORD
                                        ; implicit-def: $vgpr9
.LBB974_55:
	s_andn2_saveexec_b32 s2, s1
	s_cbranch_execz .LBB974_59
; %bb.56:
	v_add_nc_u32_e32 v10, s17, v22
	v_add_nc_u32_e32 v12, s19, v22
	s_mov_b32 s3, 0
	s_mov_b32 s4, exec_lo
	v_mul_lo_u32 v10, v10, s16
	v_mul_lo_u32 v12, v12, s18
	v_sub_nc_u32_e32 v10, v10, v12
	v_cmp_lt_u32_e32 vcc_lo, s20, v10
	v_cmpx_ge_u32_e64 s20, v10
	s_cbranch_execz .LBB974_58
; %bb.57:
	v_add_nc_u32_e32 v10, s22, v22
	v_add_nc_u32_e32 v12, s38, v22
	v_mul_lo_u32 v10, v10, s21
	v_mul_lo_u32 v12, v12, s23
	v_sub_nc_u32_e32 v10, v10, v12
	v_cmp_lt_u32_e64 s1, s39, v10
	s_and_b32 s3, s1, exec_lo
.LBB974_58:
	s_or_b32 exec_lo, exec_lo, s4
	v_mov_b32_e32 v10, 8
	v_cndmask_b32_e64 v12, 0, 1, vcc_lo
	v_mov_b32_e32 v25, 0xff
	v_mov_b32_e32 v26, 24
	v_cndmask_b32_e64 v27, 0, 1, s3
	v_lshrrev_b32_sdwa v28, v10, v11 dst_sel:BYTE_1 dst_unused:UNUSED_PAD src0_sel:DWORD src1_sel:DWORD
	v_lshlrev_b16 v12, 8, v12
	v_and_b32_sdwa v29, v11, v25 dst_sel:DWORD dst_unused:UNUSED_PAD src0_sel:WORD_1 src1_sel:DWORD
	v_lshrrev_b32_sdwa v26, v26, v9 dst_sel:BYTE_1 dst_unused:UNUSED_PAD src0_sel:DWORD src1_sel:DWORD
	v_and_b32_sdwa v25, v9, v25 dst_sel:DWORD dst_unused:UNUSED_PAD src0_sel:WORD_1 src1_sel:DWORD
	v_lshrrev_b32_sdwa v9, v10, v9 dst_sel:BYTE_1 dst_unused:UNUSED_PAD src0_sel:DWORD src1_sel:DWORD
	v_or_b32_sdwa v10, v11, v28 dst_sel:DWORD dst_unused:UNUSED_PAD src0_sel:BYTE_0 src1_sel:DWORD
	v_or_b32_sdwa v11, v29, v12 dst_sel:WORD_1 dst_unused:UNUSED_PAD src0_sel:DWORD src1_sel:DWORD
	v_or_b32_sdwa v12, v25, v26 dst_sel:WORD_1 dst_unused:UNUSED_PAD src0_sel:DWORD src1_sel:DWORD
	v_or_b32_e32 v9, v27, v9
	v_or_b32_sdwa v35, v10, v11 dst_sel:DWORD dst_unused:UNUSED_PAD src0_sel:WORD_0 src1_sel:DWORD
	v_or_b32_sdwa v10, v9, v12 dst_sel:DWORD dst_unused:UNUSED_PAD src0_sel:WORD_0 src1_sel:DWORD
.LBB974_59:
	s_or_b32 exec_lo, exec_lo, s2
	v_add_nc_u32_e32 v9, 4, v34
                                        ; implicit-def: $vgpr11
	v_cmp_le_u32_e32 vcc_lo, s5, v9
                                        ; implicit-def: $vgpr9
	s_and_saveexec_b32 s1, vcc_lo
	s_xor_b32 s1, exec_lo, s1
	s_cbranch_execz .LBB974_61
; %bb.60:
	v_mov_b32_e32 v9, 24
	v_mov_b32_e32 v11, 0xff
	;; [unrolled: 1-line block ×3, first 2 shown]
	v_perm_b32 v7, v7, v7, 0x3060504
	v_lshrrev_b32_sdwa v25, v9, v8 dst_sel:BYTE_1 dst_unused:UNUSED_PAD src0_sel:DWORD src1_sel:DWORD
	v_and_b32_sdwa v26, v8, v11 dst_sel:DWORD dst_unused:UNUSED_PAD src0_sel:WORD_1 src1_sel:DWORD
	v_lshrrev_b32_sdwa v9, v9, v10 dst_sel:BYTE_1 dst_unused:UNUSED_PAD src0_sel:DWORD src1_sel:DWORD
	v_and_b32_sdwa v11, v10, v11 dst_sel:DWORD dst_unused:UNUSED_PAD src0_sel:WORD_1 src1_sel:DWORD
	v_lshrrev_b32_sdwa v8, v12, v8 dst_sel:BYTE_1 dst_unused:UNUSED_PAD src0_sel:DWORD src1_sel:DWORD
	v_or_b32_sdwa v12, v26, v25 dst_sel:WORD_1 dst_unused:UNUSED_PAD src0_sel:DWORD src1_sel:DWORD
	v_or_b32_e32 v11, v11, v9
	v_or_b32_sdwa v9, v8, v12 dst_sel:DWORD dst_unused:UNUSED_PAD src0_sel:WORD_0 src1_sel:DWORD
                                        ; implicit-def: $vgpr8
	v_perm_b32 v11, v11, v10, 0x5040c00
                                        ; implicit-def: $vgpr10
.LBB974_61:
	s_andn2_saveexec_b32 s2, s1
	s_cbranch_execz .LBB974_65
; %bb.62:
	v_add_nc_u32_e32 v9, s17, v19
	v_add_nc_u32_e32 v11, s19, v19
	s_mov_b32 s3, 0
	s_mov_b32 s4, exec_lo
	v_mul_lo_u32 v9, v9, s16
	v_mul_lo_u32 v11, v11, s18
	v_sub_nc_u32_e32 v9, v9, v11
	v_cmp_lt_u32_e32 vcc_lo, s20, v9
	v_cmpx_ge_u32_e64 s20, v9
	s_cbranch_execz .LBB974_64
; %bb.63:
	v_add_nc_u32_e32 v9, s22, v19
	v_add_nc_u32_e32 v11, s38, v19
	v_mul_lo_u32 v9, v9, s21
	v_mul_lo_u32 v11, v11, s23
	v_sub_nc_u32_e32 v9, v9, v11
	v_cmp_lt_u32_e64 s1, s39, v9
	s_and_b32 s3, s1, exec_lo
.LBB974_64:
	s_or_b32 exec_lo, exec_lo, s4
	v_mov_b32_e32 v9, 24
	v_mov_b32_e32 v11, 0xff
	;; [unrolled: 1-line block ×3, first 2 shown]
	v_cndmask_b32_e64 v25, 0, 1, s3
	v_cndmask_b32_e64 v26, 0, 1, vcc_lo
	v_lshrrev_b32_sdwa v27, v9, v8 dst_sel:BYTE_1 dst_unused:UNUSED_PAD src0_sel:DWORD src1_sel:DWORD
	v_and_b32_sdwa v28, v8, v11 dst_sel:DWORD dst_unused:UNUSED_PAD src0_sel:WORD_1 src1_sel:DWORD
	v_lshrrev_b32_sdwa v8, v12, v8 dst_sel:BYTE_1 dst_unused:UNUSED_PAD src0_sel:DWORD src1_sel:DWORD
	v_lshlrev_b16 v12, 8, v25
	v_lshrrev_b32_sdwa v9, v9, v10 dst_sel:BYTE_1 dst_unused:UNUSED_PAD src0_sel:DWORD src1_sel:DWORD
	v_and_b32_sdwa v11, v10, v11 dst_sel:DWORD dst_unused:UNUSED_PAD src0_sel:WORD_1 src1_sel:DWORD
	v_or_b32_sdwa v25, v28, v27 dst_sel:WORD_1 dst_unused:UNUSED_PAD src0_sel:DWORD src1_sel:DWORD
	v_or_b32_e32 v8, v26, v8
	v_or_b32_sdwa v10, v10, v12 dst_sel:DWORD dst_unused:UNUSED_PAD src0_sel:BYTE_0 src1_sel:DWORD
	v_or_b32_sdwa v11, v11, v9 dst_sel:WORD_1 dst_unused:UNUSED_PAD src0_sel:DWORD src1_sel:DWORD
	v_or_b32_sdwa v9, v8, v25 dst_sel:DWORD dst_unused:UNUSED_PAD src0_sel:WORD_0 src1_sel:DWORD
	v_or_b32_sdwa v11, v10, v11 dst_sel:DWORD dst_unused:UNUSED_PAD src0_sel:WORD_0 src1_sel:DWORD
.LBB974_65:
	s_or_b32 exec_lo, exec_lo, s2
	v_add_nc_u32_e32 v8, 5, v34
                                        ; implicit-def: $vgpr10
	v_cmp_le_u32_e32 vcc_lo, s5, v8
                                        ; implicit-def: $vgpr8
	s_and_saveexec_b32 s1, vcc_lo
	s_xor_b32 s1, exec_lo, s1
	s_cbranch_execz .LBB974_67
; %bb.66:
	v_lshrrev_b32_e32 v8, 24, v11
	v_mov_b32_e32 v10, 8
	v_mov_b32_e32 v12, 0xff
	v_perm_b32 v7, v7, v7, 0x3060504
	v_perm_b32 v8, v8, v11, 0x40c0100
	v_mov_b32_e32 v11, 24
	v_and_b32_sdwa v12, v9, v12 dst_sel:DWORD dst_unused:UNUSED_PAD src0_sel:WORD_1 src1_sel:DWORD
	v_lshrrev_b32_sdwa v10, v10, v8 dst_sel:BYTE_1 dst_unused:UNUSED_PAD src0_sel:DWORD src1_sel:DWORD
	v_lshrrev_b32_sdwa v11, v11, v9 dst_sel:BYTE_1 dst_unused:UNUSED_PAD src0_sel:DWORD src1_sel:DWORD
	v_or_b32_sdwa v10, v8, v10 dst_sel:DWORD dst_unused:UNUSED_PAD src0_sel:BYTE_0 src1_sel:DWORD
	v_or_b32_e32 v11, v12, v11
	v_and_b32_e32 v12, 0xffff, v10
	v_perm_b32 v10, v11, v9, 0x5040c00
                                        ; implicit-def: $vgpr9
                                        ; implicit-def: $vgpr11
	v_and_or_b32 v8, 0xff000000, v8, v12
.LBB974_67:
	s_andn2_saveexec_b32 s2, s1
	s_cbranch_execz .LBB974_71
; %bb.68:
	v_add_nc_u32_e32 v8, s17, v20
	v_add_nc_u32_e32 v10, s19, v20
	s_mov_b32 s3, 0
	s_mov_b32 s4, exec_lo
	v_mul_lo_u32 v8, v8, s16
	v_mul_lo_u32 v10, v10, s18
	v_sub_nc_u32_e32 v8, v8, v10
	v_cmp_lt_u32_e32 vcc_lo, s20, v8
	v_cmpx_ge_u32_e64 s20, v8
	s_cbranch_execz .LBB974_70
; %bb.69:
	v_add_nc_u32_e32 v8, s22, v20
	v_add_nc_u32_e32 v10, s38, v20
	v_mul_lo_u32 v8, v8, s21
	v_mul_lo_u32 v10, v10, s23
	v_sub_nc_u32_e32 v8, v8, v10
	v_cmp_lt_u32_e64 s1, s39, v8
	s_and_b32 s3, s1, exec_lo
.LBB974_70:
	s_or_b32 exec_lo, exec_lo, s4
	v_cndmask_b32_e64 v8, 0, 1, vcc_lo
	v_mov_b32_e32 v10, 24
	v_mov_b32_e32 v12, 0xff
	;; [unrolled: 1-line block ×3, first 2 shown]
	v_cndmask_b32_e64 v26, 0, 1, s3
	v_lshlrev_b16 v8, 8, v8
	v_lshrrev_b32_sdwa v27, v10, v9 dst_sel:BYTE_1 dst_unused:UNUSED_PAD src0_sel:DWORD src1_sel:DWORD
	v_and_b32_sdwa v12, v9, v12 dst_sel:DWORD dst_unused:UNUSED_PAD src0_sel:WORD_1 src1_sel:DWORD
	v_lshrrev_b32_sdwa v25, v25, v11 dst_sel:BYTE_1 dst_unused:UNUSED_PAD src0_sel:DWORD src1_sel:DWORD
	v_lshrrev_b32_sdwa v10, v10, v11 dst_sel:BYTE_1 dst_unused:UNUSED_PAD src0_sel:DWORD src1_sel:DWORD
	v_or_b32_sdwa v8, v9, v8 dst_sel:DWORD dst_unused:UNUSED_PAD src0_sel:BYTE_0 src1_sel:DWORD
	v_or_b32_sdwa v9, v12, v27 dst_sel:WORD_1 dst_unused:UNUSED_PAD src0_sel:DWORD src1_sel:DWORD
	v_or_b32_sdwa v11, v11, v25 dst_sel:DWORD dst_unused:UNUSED_PAD src0_sel:BYTE_0 src1_sel:DWORD
	v_or_b32_sdwa v12, v26, v10 dst_sel:WORD_1 dst_unused:UNUSED_PAD src0_sel:DWORD src1_sel:DWORD
	v_or_b32_sdwa v10, v8, v9 dst_sel:DWORD dst_unused:UNUSED_PAD src0_sel:WORD_0 src1_sel:DWORD
	v_or_b32_sdwa v8, v11, v12 dst_sel:DWORD dst_unused:UNUSED_PAD src0_sel:WORD_0 src1_sel:DWORD
.LBB974_71:
	s_or_b32 exec_lo, exec_lo, s2
	v_add_nc_u32_e32 v9, 6, v34
                                        ; implicit-def: $vgpr36
	v_cmp_le_u32_e32 vcc_lo, s5, v9
                                        ; implicit-def: $vgpr9
	s_and_saveexec_b32 s1, vcc_lo
	s_xor_b32 s1, exec_lo, s1
	s_cbranch_execz .LBB974_73
; %bb.72:
	v_lshrrev_b32_e32 v9, 24, v10
	v_mov_b32_e32 v11, 8
	v_perm_b32 v7, v7, v7, 0x3060504
	v_perm_b32 v9, v9, v10, 0x40c0100
	v_lshrrev_b32_sdwa v10, v11, v9 dst_sel:BYTE_1 dst_unused:UNUSED_PAD src0_sel:DWORD src1_sel:DWORD
	v_and_b32_e32 v11, 0xff0000, v8
	v_or_b32_sdwa v10, v9, v10 dst_sel:DWORD dst_unused:UNUSED_PAD src0_sel:BYTE_0 src1_sel:DWORD
	v_perm_b32 v36, v8, v11, 0x3020504
                                        ; implicit-def: $vgpr8
	v_and_b32_e32 v10, 0xffff, v10
	v_and_or_b32 v9, 0xff000000, v9, v10
                                        ; implicit-def: $vgpr10
.LBB974_73:
	s_andn2_saveexec_b32 s2, s1
	s_cbranch_execz .LBB974_77
; %bb.74:
	v_add_nc_u32_e32 v9, s17, v17
	v_add_nc_u32_e32 v11, s19, v17
	s_mov_b32 s3, 0
	s_mov_b32 s4, exec_lo
	v_mul_lo_u32 v9, v9, s16
	v_mul_lo_u32 v11, v11, s18
	v_sub_nc_u32_e32 v9, v9, v11
	v_cmp_lt_u32_e32 vcc_lo, s20, v9
	v_cmpx_ge_u32_e64 s20, v9
	s_cbranch_execz .LBB974_76
; %bb.75:
	v_add_nc_u32_e32 v9, s22, v17
	v_add_nc_u32_e32 v11, s38, v17
	v_mul_lo_u32 v9, v9, s21
	v_mul_lo_u32 v11, v11, s23
	v_sub_nc_u32_e32 v9, v9, v11
	v_cmp_lt_u32_e64 s1, s39, v9
	s_and_b32 s3, s1, exec_lo
.LBB974_76:
	s_or_b32 exec_lo, exec_lo, s4
	v_mov_b32_e32 v9, 8
	v_mov_b32_e32 v11, 24
	v_cndmask_b32_e64 v25, 0, 1, s3
	v_mov_b32_e32 v26, 0xff
	v_cndmask_b32_e64 v12, 0, 1, vcc_lo
	v_lshrrev_b32_sdwa v27, v9, v10 dst_sel:BYTE_1 dst_unused:UNUSED_PAD src0_sel:DWORD src1_sel:DWORD
	v_lshrrev_b32_sdwa v11, v11, v10 dst_sel:BYTE_1 dst_unused:UNUSED_PAD src0_sel:DWORD src1_sel:DWORD
	;; [unrolled: 1-line block ×3, first 2 shown]
	v_lshlrev_b16 v25, 8, v25
	v_and_b32_sdwa v26, v8, v26 dst_sel:DWORD dst_unused:UNUSED_PAD src0_sel:WORD_1 src1_sel:DWORD
	v_or_b32_sdwa v10, v10, v27 dst_sel:DWORD dst_unused:UNUSED_PAD src0_sel:BYTE_0 src1_sel:DWORD
	v_or_b32_sdwa v11, v12, v11 dst_sel:WORD_1 dst_unused:UNUSED_PAD src0_sel:DWORD src1_sel:DWORD
	v_or_b32_sdwa v8, v8, v9 dst_sel:DWORD dst_unused:UNUSED_PAD src0_sel:BYTE_0 src1_sel:DWORD
	v_or_b32_sdwa v12, v26, v25 dst_sel:WORD_1 dst_unused:UNUSED_PAD src0_sel:DWORD src1_sel:DWORD
	v_or_b32_sdwa v9, v10, v11 dst_sel:DWORD dst_unused:UNUSED_PAD src0_sel:WORD_0 src1_sel:DWORD
	v_or_b32_sdwa v36, v8, v12 dst_sel:DWORD dst_unused:UNUSED_PAD src0_sel:WORD_0 src1_sel:DWORD
.LBB974_77:
	s_or_b32 exec_lo, exec_lo, s2
	v_add_nc_u32_e32 v8, 7, v34
                                        ; implicit-def: $vgpr37
	v_cmp_le_u32_e32 vcc_lo, s5, v8
                                        ; implicit-def: $vgpr8
	s_and_saveexec_b32 s1, vcc_lo
	s_xor_b32 s1, exec_lo, s1
	s_cbranch_execz .LBB974_79
; %bb.78:
	v_mov_b32_e32 v8, 24
	v_mov_b32_e32 v10, 0xff
	;; [unrolled: 1-line block ×3, first 2 shown]
	v_lshrrev_b32_sdwa v8, v8, v7 dst_sel:BYTE_1 dst_unused:UNUSED_PAD src0_sel:DWORD src1_sel:DWORD
	v_and_b32_sdwa v10, v7, v10 dst_sel:DWORD dst_unused:UNUSED_PAD src0_sel:WORD_1 src1_sel:DWORD
	v_lshrrev_b32_sdwa v7, v11, v7 dst_sel:BYTE_1 dst_unused:UNUSED_PAD src0_sel:DWORD src1_sel:DWORD
	v_and_b32_e32 v11, 0xff0000, v9
	v_or_b32_sdwa v8, v10, v8 dst_sel:WORD_1 dst_unused:UNUSED_PAD src0_sel:DWORD src1_sel:DWORD
	v_perm_b32 v37, v9, v11, 0x3020504
                                        ; implicit-def: $vgpr9
	v_or_b32_sdwa v8, v7, v8 dst_sel:DWORD dst_unused:UNUSED_PAD src0_sel:WORD_0 src1_sel:DWORD
                                        ; implicit-def: $vgpr7
.LBB974_79:
	s_andn2_saveexec_b32 s2, s1
	s_cbranch_execz .LBB974_83
; %bb.80:
	v_add_nc_u32_e32 v8, s17, v18
	v_add_nc_u32_e32 v10, s19, v18
	s_mov_b32 s3, 0
	s_mov_b32 s4, exec_lo
	v_mul_lo_u32 v8, v8, s16
	v_mul_lo_u32 v10, v10, s18
	v_sub_nc_u32_e32 v8, v8, v10
	v_cmp_lt_u32_e32 vcc_lo, s20, v8
	v_cmpx_ge_u32_e64 s20, v8
	s_cbranch_execz .LBB974_82
; %bb.81:
	v_add_nc_u32_e32 v8, s22, v18
	v_add_nc_u32_e32 v10, s38, v18
	v_mul_lo_u32 v8, v8, s21
	v_mul_lo_u32 v10, v10, s23
	v_sub_nc_u32_e32 v8, v8, v10
	v_cmp_lt_u32_e64 s1, s39, v8
	s_and_b32 s3, s1, exec_lo
.LBB974_82:
	s_or_b32 exec_lo, exec_lo, s4
	v_mov_b32_e32 v8, 8
	v_cndmask_b32_e64 v10, 0, 1, vcc_lo
	v_mov_b32_e32 v11, 0xff
	v_mov_b32_e32 v12, 24
	v_cndmask_b32_e64 v25, 0, 1, s3
	v_lshrrev_b32_sdwa v26, v8, v9 dst_sel:BYTE_1 dst_unused:UNUSED_PAD src0_sel:DWORD src1_sel:DWORD
	v_lshlrev_b16 v10, 8, v10
	v_and_b32_sdwa v27, v9, v11 dst_sel:DWORD dst_unused:UNUSED_PAD src0_sel:WORD_1 src1_sel:DWORD
	v_lshrrev_b32_sdwa v12, v12, v7 dst_sel:BYTE_1 dst_unused:UNUSED_PAD src0_sel:DWORD src1_sel:DWORD
	v_and_b32_sdwa v11, v7, v11 dst_sel:DWORD dst_unused:UNUSED_PAD src0_sel:WORD_1 src1_sel:DWORD
	v_lshrrev_b32_sdwa v7, v8, v7 dst_sel:BYTE_1 dst_unused:UNUSED_PAD src0_sel:DWORD src1_sel:DWORD
	v_or_b32_sdwa v8, v9, v26 dst_sel:DWORD dst_unused:UNUSED_PAD src0_sel:BYTE_0 src1_sel:DWORD
	v_or_b32_sdwa v9, v27, v10 dst_sel:WORD_1 dst_unused:UNUSED_PAD src0_sel:DWORD src1_sel:DWORD
	v_or_b32_sdwa v10, v11, v12 dst_sel:WORD_1 dst_unused:UNUSED_PAD src0_sel:DWORD src1_sel:DWORD
	v_or_b32_e32 v7, v25, v7
	v_or_b32_sdwa v37, v8, v9 dst_sel:DWORD dst_unused:UNUSED_PAD src0_sel:WORD_0 src1_sel:DWORD
	v_or_b32_sdwa v8, v7, v10 dst_sel:DWORD dst_unused:UNUSED_PAD src0_sel:WORD_0 src1_sel:DWORD
.LBB974_83:
	s_or_b32 exec_lo, exec_lo, s2
	v_add_nc_u32_e32 v7, 8, v34
                                        ; implicit-def: $vgpr9
	v_cmp_le_u32_e32 vcc_lo, s5, v7
                                        ; implicit-def: $vgpr7
	s_and_saveexec_b32 s1, vcc_lo
	s_xor_b32 s1, exec_lo, s1
	s_cbranch_execz .LBB974_85
; %bb.84:
	v_mov_b32_e32 v7, 24
	v_mov_b32_e32 v9, 0xff
	;; [unrolled: 1-line block ×3, first 2 shown]
	v_perm_b32 v5, v5, v5, 0x3060504
	v_lshrrev_b32_sdwa v11, v7, v8 dst_sel:BYTE_1 dst_unused:UNUSED_PAD src0_sel:DWORD src1_sel:DWORD
	v_lshrrev_b32_sdwa v7, v7, v6 dst_sel:BYTE_1 dst_unused:UNUSED_PAD src0_sel:DWORD src1_sel:DWORD
	v_and_b32_sdwa v12, v6, v9 dst_sel:DWORD dst_unused:UNUSED_PAD src0_sel:WORD_1 src1_sel:DWORD
	v_and_b32_sdwa v9, v8, v9 dst_sel:DWORD dst_unused:UNUSED_PAD src0_sel:WORD_1 src1_sel:DWORD
	v_lshrrev_b32_sdwa v6, v10, v6 dst_sel:BYTE_1 dst_unused:UNUSED_PAD src0_sel:DWORD src1_sel:DWORD
	v_or_b32_sdwa v7, v12, v7 dst_sel:WORD_1 dst_unused:UNUSED_PAD src0_sel:DWORD src1_sel:DWORD
	v_or_b32_e32 v9, v9, v11
	v_or_b32_sdwa v7, v6, v7 dst_sel:DWORD dst_unused:UNUSED_PAD src0_sel:WORD_0 src1_sel:DWORD
	v_perm_b32 v9, v9, v8, 0x5040c00
                                        ; implicit-def: $vgpr6
                                        ; implicit-def: $vgpr8
.LBB974_85:
	s_andn2_saveexec_b32 s2, s1
	s_cbranch_execz .LBB974_89
; %bb.86:
	v_add_nc_u32_e32 v7, s17, v15
	v_add_nc_u32_e32 v9, s19, v15
	s_mov_b32 s3, 0
	s_mov_b32 s4, exec_lo
	v_mul_lo_u32 v7, v7, s16
	v_mul_lo_u32 v9, v9, s18
	v_sub_nc_u32_e32 v7, v7, v9
	v_cmp_lt_u32_e32 vcc_lo, s20, v7
	v_cmpx_ge_u32_e64 s20, v7
	s_cbranch_execz .LBB974_88
; %bb.87:
	v_add_nc_u32_e32 v7, s22, v15
	v_add_nc_u32_e32 v9, s38, v15
	v_mul_lo_u32 v7, v7, s21
	v_mul_lo_u32 v9, v9, s23
	v_sub_nc_u32_e32 v7, v7, v9
	v_cmp_lt_u32_e64 s1, s39, v7
	s_and_b32 s3, s1, exec_lo
.LBB974_88:
	s_or_b32 exec_lo, exec_lo, s4
	v_mov_b32_e32 v7, 24
	v_mov_b32_e32 v9, 0xff
	;; [unrolled: 1-line block ×3, first 2 shown]
	v_cndmask_b32_e64 v11, 0, 1, s3
	v_cndmask_b32_e64 v12, 0, 1, vcc_lo
	v_lshrrev_b32_sdwa v25, v7, v6 dst_sel:BYTE_1 dst_unused:UNUSED_PAD src0_sel:DWORD src1_sel:DWORD
	v_and_b32_sdwa v26, v6, v9 dst_sel:DWORD dst_unused:UNUSED_PAD src0_sel:WORD_1 src1_sel:DWORD
	v_lshrrev_b32_sdwa v6, v10, v6 dst_sel:BYTE_1 dst_unused:UNUSED_PAD src0_sel:DWORD src1_sel:DWORD
	v_lshlrev_b16 v10, 8, v11
	v_lshrrev_b32_sdwa v7, v7, v8 dst_sel:BYTE_1 dst_unused:UNUSED_PAD src0_sel:DWORD src1_sel:DWORD
	v_and_b32_sdwa v9, v8, v9 dst_sel:DWORD dst_unused:UNUSED_PAD src0_sel:WORD_1 src1_sel:DWORD
	v_or_b32_sdwa v11, v26, v25 dst_sel:WORD_1 dst_unused:UNUSED_PAD src0_sel:DWORD src1_sel:DWORD
	v_or_b32_e32 v6, v12, v6
	v_or_b32_sdwa v8, v8, v10 dst_sel:DWORD dst_unused:UNUSED_PAD src0_sel:BYTE_0 src1_sel:DWORD
	v_or_b32_sdwa v9, v9, v7 dst_sel:WORD_1 dst_unused:UNUSED_PAD src0_sel:DWORD src1_sel:DWORD
	v_or_b32_sdwa v7, v6, v11 dst_sel:DWORD dst_unused:UNUSED_PAD src0_sel:WORD_0 src1_sel:DWORD
	v_or_b32_sdwa v9, v8, v9 dst_sel:DWORD dst_unused:UNUSED_PAD src0_sel:WORD_0 src1_sel:DWORD
.LBB974_89:
	s_or_b32 exec_lo, exec_lo, s2
	v_add_nc_u32_e32 v6, 9, v34
                                        ; implicit-def: $vgpr8
	v_cmp_le_u32_e32 vcc_lo, s5, v6
                                        ; implicit-def: $vgpr6
	s_and_saveexec_b32 s1, vcc_lo
	s_xor_b32 s1, exec_lo, s1
	s_cbranch_execz .LBB974_91
; %bb.90:
	v_lshrrev_b32_e32 v6, 24, v9
	v_mov_b32_e32 v8, 8
	v_mov_b32_e32 v10, 0xff
	v_perm_b32 v5, v5, v5, 0x3060504
	v_perm_b32 v6, v6, v9, 0x40c0100
	v_mov_b32_e32 v9, 24
	v_and_b32_sdwa v10, v7, v10 dst_sel:DWORD dst_unused:UNUSED_PAD src0_sel:WORD_1 src1_sel:DWORD
	v_lshrrev_b32_sdwa v8, v8, v6 dst_sel:BYTE_1 dst_unused:UNUSED_PAD src0_sel:DWORD src1_sel:DWORD
	v_lshrrev_b32_sdwa v9, v9, v7 dst_sel:BYTE_1 dst_unused:UNUSED_PAD src0_sel:DWORD src1_sel:DWORD
	v_or_b32_sdwa v8, v6, v8 dst_sel:DWORD dst_unused:UNUSED_PAD src0_sel:BYTE_0 src1_sel:DWORD
	v_or_b32_e32 v9, v10, v9
	v_and_b32_e32 v10, 0xffff, v8
	v_perm_b32 v8, v9, v7, 0x5040c00
                                        ; implicit-def: $vgpr7
                                        ; implicit-def: $vgpr9
	v_and_or_b32 v6, 0xff000000, v6, v10
.LBB974_91:
	s_andn2_saveexec_b32 s2, s1
	s_cbranch_execz .LBB974_95
; %bb.92:
	v_add_nc_u32_e32 v6, s17, v16
	v_add_nc_u32_e32 v8, s19, v16
	s_mov_b32 s3, 0
	s_mov_b32 s4, exec_lo
	v_mul_lo_u32 v6, v6, s16
	v_mul_lo_u32 v8, v8, s18
	v_sub_nc_u32_e32 v6, v6, v8
	v_cmp_lt_u32_e32 vcc_lo, s20, v6
	v_cmpx_ge_u32_e64 s20, v6
	s_cbranch_execz .LBB974_94
; %bb.93:
	v_add_nc_u32_e32 v6, s22, v16
	v_add_nc_u32_e32 v8, s38, v16
	v_mul_lo_u32 v6, v6, s21
	v_mul_lo_u32 v8, v8, s23
	v_sub_nc_u32_e32 v6, v6, v8
	v_cmp_lt_u32_e64 s1, s39, v6
	s_and_b32 s3, s1, exec_lo
.LBB974_94:
	s_or_b32 exec_lo, exec_lo, s4
	v_cndmask_b32_e64 v6, 0, 1, vcc_lo
	v_mov_b32_e32 v8, 24
	v_mov_b32_e32 v10, 0xff
	;; [unrolled: 1-line block ×3, first 2 shown]
	v_cndmask_b32_e64 v12, 0, 1, s3
	v_lshlrev_b16 v6, 8, v6
	v_lshrrev_b32_sdwa v25, v8, v7 dst_sel:BYTE_1 dst_unused:UNUSED_PAD src0_sel:DWORD src1_sel:DWORD
	v_and_b32_sdwa v10, v7, v10 dst_sel:DWORD dst_unused:UNUSED_PAD src0_sel:WORD_1 src1_sel:DWORD
	v_lshrrev_b32_sdwa v11, v11, v9 dst_sel:BYTE_1 dst_unused:UNUSED_PAD src0_sel:DWORD src1_sel:DWORD
	v_lshrrev_b32_sdwa v8, v8, v9 dst_sel:BYTE_1 dst_unused:UNUSED_PAD src0_sel:DWORD src1_sel:DWORD
	v_or_b32_sdwa v6, v7, v6 dst_sel:DWORD dst_unused:UNUSED_PAD src0_sel:BYTE_0 src1_sel:DWORD
	v_or_b32_sdwa v7, v10, v25 dst_sel:WORD_1 dst_unused:UNUSED_PAD src0_sel:DWORD src1_sel:DWORD
	v_or_b32_sdwa v9, v9, v11 dst_sel:DWORD dst_unused:UNUSED_PAD src0_sel:BYTE_0 src1_sel:DWORD
	v_or_b32_sdwa v10, v12, v8 dst_sel:WORD_1 dst_unused:UNUSED_PAD src0_sel:DWORD src1_sel:DWORD
	v_or_b32_sdwa v8, v6, v7 dst_sel:DWORD dst_unused:UNUSED_PAD src0_sel:WORD_0 src1_sel:DWORD
	v_or_b32_sdwa v6, v9, v10 dst_sel:DWORD dst_unused:UNUSED_PAD src0_sel:WORD_0 src1_sel:DWORD
.LBB974_95:
	s_or_b32 exec_lo, exec_lo, s2
	v_add_nc_u32_e32 v7, 10, v34
                                        ; implicit-def: $vgpr38
	v_cmp_le_u32_e32 vcc_lo, s5, v7
                                        ; implicit-def: $vgpr7
	s_and_saveexec_b32 s1, vcc_lo
	s_xor_b32 s1, exec_lo, s1
	s_cbranch_execz .LBB974_97
; %bb.96:
	v_lshrrev_b32_e32 v7, 24, v8
	v_mov_b32_e32 v9, 8
	v_perm_b32 v5, v5, v5, 0x3060504
	v_perm_b32 v7, v7, v8, 0x40c0100
	v_lshrrev_b32_sdwa v8, v9, v7 dst_sel:BYTE_1 dst_unused:UNUSED_PAD src0_sel:DWORD src1_sel:DWORD
	v_and_b32_e32 v9, 0xff0000, v6
	v_or_b32_sdwa v8, v7, v8 dst_sel:DWORD dst_unused:UNUSED_PAD src0_sel:BYTE_0 src1_sel:DWORD
	v_perm_b32 v38, v6, v9, 0x3020504
                                        ; implicit-def: $vgpr6
	v_and_b32_e32 v8, 0xffff, v8
	v_and_or_b32 v7, 0xff000000, v7, v8
                                        ; implicit-def: $vgpr8
.LBB974_97:
	s_andn2_saveexec_b32 s2, s1
	s_cbranch_execz .LBB974_101
; %bb.98:
	v_add_nc_u32_e32 v7, s17, v13
	v_add_nc_u32_e32 v9, s19, v13
	s_mov_b32 s3, 0
	s_mov_b32 s4, exec_lo
	v_mul_lo_u32 v7, v7, s16
	v_mul_lo_u32 v9, v9, s18
	v_sub_nc_u32_e32 v7, v7, v9
	v_cmp_lt_u32_e32 vcc_lo, s20, v7
	v_cmpx_ge_u32_e64 s20, v7
	s_cbranch_execz .LBB974_100
; %bb.99:
	v_add_nc_u32_e32 v7, s22, v13
	v_add_nc_u32_e32 v9, s38, v13
	v_mul_lo_u32 v7, v7, s21
	v_mul_lo_u32 v9, v9, s23
	v_sub_nc_u32_e32 v7, v7, v9
	v_cmp_lt_u32_e64 s1, s39, v7
	s_and_b32 s3, s1, exec_lo
.LBB974_100:
	s_or_b32 exec_lo, exec_lo, s4
	v_mov_b32_e32 v7, 8
	v_mov_b32_e32 v9, 24
	v_cndmask_b32_e64 v11, 0, 1, s3
	v_mov_b32_e32 v12, 0xff
	v_cndmask_b32_e64 v10, 0, 1, vcc_lo
	v_lshrrev_b32_sdwa v25, v7, v8 dst_sel:BYTE_1 dst_unused:UNUSED_PAD src0_sel:DWORD src1_sel:DWORD
	v_lshrrev_b32_sdwa v9, v9, v8 dst_sel:BYTE_1 dst_unused:UNUSED_PAD src0_sel:DWORD src1_sel:DWORD
	;; [unrolled: 1-line block ×3, first 2 shown]
	v_lshlrev_b16 v11, 8, v11
	v_and_b32_sdwa v12, v6, v12 dst_sel:DWORD dst_unused:UNUSED_PAD src0_sel:WORD_1 src1_sel:DWORD
	v_or_b32_sdwa v8, v8, v25 dst_sel:DWORD dst_unused:UNUSED_PAD src0_sel:BYTE_0 src1_sel:DWORD
	v_or_b32_sdwa v9, v10, v9 dst_sel:WORD_1 dst_unused:UNUSED_PAD src0_sel:DWORD src1_sel:DWORD
	v_or_b32_sdwa v6, v6, v7 dst_sel:DWORD dst_unused:UNUSED_PAD src0_sel:BYTE_0 src1_sel:DWORD
	v_or_b32_sdwa v10, v12, v11 dst_sel:WORD_1 dst_unused:UNUSED_PAD src0_sel:DWORD src1_sel:DWORD
	v_or_b32_sdwa v7, v8, v9 dst_sel:DWORD dst_unused:UNUSED_PAD src0_sel:WORD_0 src1_sel:DWORD
	v_or_b32_sdwa v38, v6, v10 dst_sel:DWORD dst_unused:UNUSED_PAD src0_sel:WORD_0 src1_sel:DWORD
.LBB974_101:
	s_or_b32 exec_lo, exec_lo, s2
	v_add_nc_u32_e32 v6, 11, v34
	v_mov_b32_e32 v39, 0
	s_mov_b32 s1, exec_lo
                                        ; implicit-def: $vgpr40
	v_cmpx_le_u32_e64 s5, v6
	s_xor_b32 s1, exec_lo, s1
; %bb.102:
	v_and_b32_e32 v6, 0xff0000, v7
	v_perm_b32 v5, v5, v5, 0x3060504
	v_perm_b32 v40, v7, v6, 0x3020504
                                        ; implicit-def: $vgpr7
; %bb.103:
	s_andn2_saveexec_b32 s2, s1
	s_cbranch_execz .LBB974_107
; %bb.104:
	v_add_nc_u32_e32 v6, s17, v14
	v_add_nc_u32_e32 v8, s19, v14
	s_mov_b32 s3, 0
	s_mov_b32 s4, exec_lo
	v_mul_lo_u32 v6, v6, s16
	v_mul_lo_u32 v8, v8, s18
	v_sub_nc_u32_e32 v6, v6, v8
	v_cmp_lt_u32_e32 vcc_lo, s20, v6
	v_cmpx_ge_u32_e64 s20, v6
	s_cbranch_execz .LBB974_106
; %bb.105:
	v_add_nc_u32_e32 v6, s22, v14
	v_add_nc_u32_e32 v8, s38, v14
	v_mul_lo_u32 v6, v6, s21
	v_mul_lo_u32 v8, v8, s23
	v_sub_nc_u32_e32 v6, v6, v8
	v_cmp_lt_u32_e64 s1, s39, v6
	s_and_b32 s3, s1, exec_lo
.LBB974_106:
	s_or_b32 exec_lo, exec_lo, s4
	v_mov_b32_e32 v6, 8
	v_cndmask_b32_e64 v8, 0, 1, vcc_lo
	v_mov_b32_e32 v9, 0xff
	v_cndmask_b32_e64 v39, 0, 1, s3
	v_lshrrev_b32_sdwa v6, v6, v7 dst_sel:BYTE_1 dst_unused:UNUSED_PAD src0_sel:DWORD src1_sel:DWORD
	v_lshlrev_b16 v8, 8, v8
	v_and_b32_sdwa v9, v7, v9 dst_sel:DWORD dst_unused:UNUSED_PAD src0_sel:WORD_1 src1_sel:DWORD
	v_or_b32_sdwa v6, v7, v6 dst_sel:DWORD dst_unused:UNUSED_PAD src0_sel:BYTE_0 src1_sel:DWORD
	v_or_b32_sdwa v7, v9, v8 dst_sel:WORD_1 dst_unused:UNUSED_PAD src0_sel:DWORD src1_sel:DWORD
	v_or_b32_sdwa v40, v6, v7 dst_sel:DWORD dst_unused:UNUSED_PAD src0_sel:WORD_0 src1_sel:DWORD
.LBB974_107:
	s_or_b32 exec_lo, exec_lo, s2
	v_add_nc_u32_e32 v6, 12, v34
	s_mov_b32 s1, exec_lo
                                        ; implicit-def: $vgpr41
	v_cmpx_le_u32_e64 s5, v6
	s_xor_b32 s1, exec_lo, s1
	s_cbranch_execz .LBB974_109
; %bb.108:
	v_mov_b32_e32 v6, 24
	v_mov_b32_e32 v7, 0xff
	;; [unrolled: 1-line block ×3, first 2 shown]
	v_lshrrev_b32_sdwa v6, v6, v5 dst_sel:BYTE_1 dst_unused:UNUSED_PAD src0_sel:DWORD src1_sel:DWORD
	v_and_b32_sdwa v7, v5, v7 dst_sel:DWORD dst_unused:UNUSED_PAD src0_sel:WORD_1 src1_sel:DWORD
	v_lshrrev_b32_sdwa v5, v8, v5 dst_sel:BYTE_1 dst_unused:UNUSED_PAD src0_sel:DWORD src1_sel:DWORD
	v_or_b32_sdwa v6, v7, v6 dst_sel:WORD_1 dst_unused:UNUSED_PAD src0_sel:DWORD src1_sel:DWORD
	v_or_b32_sdwa v41, v5, v6 dst_sel:DWORD dst_unused:UNUSED_PAD src0_sel:WORD_0 src1_sel:DWORD
                                        ; implicit-def: $vgpr5
.LBB974_109:
	s_or_saveexec_b32 s2, s1
	v_mov_b32_e32 v42, 0
	s_xor_b32 exec_lo, exec_lo, s2
	s_cbranch_execz .LBB974_113
; %bb.110:
	v_add_nc_u32_e32 v6, s17, v33
	v_add_nc_u32_e32 v7, s19, v33
	s_mov_b32 s3, 0
	s_mov_b32 s4, exec_lo
	v_mul_lo_u32 v6, v6, s16
	v_mul_lo_u32 v7, v7, s18
	v_sub_nc_u32_e32 v6, v6, v7
	v_cmp_lt_u32_e32 vcc_lo, s20, v6
	v_cmpx_ge_u32_e64 s20, v6
	s_cbranch_execz .LBB974_112
; %bb.111:
	v_add_nc_u32_e32 v6, s22, v33
	v_add_nc_u32_e32 v7, s38, v33
	v_mul_lo_u32 v6, v6, s21
	v_mul_lo_u32 v7, v7, s23
	v_sub_nc_u32_e32 v6, v6, v7
	v_cmp_lt_u32_e64 s1, s39, v6
	s_and_b32 s3, s1, exec_lo
.LBB974_112:
	s_or_b32 exec_lo, exec_lo, s4
	v_mov_b32_e32 v6, 24
	v_mov_b32_e32 v7, 0xff
	;; [unrolled: 1-line block ×3, first 2 shown]
	v_cndmask_b32_e64 v9, 0, 1, vcc_lo
	v_cndmask_b32_e64 v42, 0, 1, s3
	v_lshrrev_b32_sdwa v6, v6, v5 dst_sel:BYTE_1 dst_unused:UNUSED_PAD src0_sel:DWORD src1_sel:DWORD
	v_and_b32_sdwa v7, v5, v7 dst_sel:DWORD dst_unused:UNUSED_PAD src0_sel:WORD_1 src1_sel:DWORD
	v_lshrrev_b32_sdwa v5, v8, v5 dst_sel:BYTE_1 dst_unused:UNUSED_PAD src0_sel:DWORD src1_sel:DWORD
	v_or_b32_sdwa v6, v7, v6 dst_sel:WORD_1 dst_unused:UNUSED_PAD src0_sel:DWORD src1_sel:DWORD
	v_or_b32_e32 v5, v9, v5
	v_or_b32_sdwa v41, v5, v6 dst_sel:DWORD dst_unused:UNUSED_PAD src0_sel:WORD_0 src1_sel:DWORD
.LBB974_113:
	s_or_b32 exec_lo, exec_lo, s2
.LBB974_114:
	v_and_b32_e32 v65, 0xff, v35
	v_bfe_u32 v66, v41, 8, 8
	v_bfe_u32 v62, v35, 8, 8
	;; [unrolled: 1-line block ×4, first 2 shown]
	v_lshrrev_b32_e32 v48, 24, v41
	v_lshrrev_b32_e32 v47, 24, v35
	v_and_b32_e32 v61, 0xff, v36
	v_and_b32_e32 v59, 0xff, v37
	v_bfe_u32 v60, v36, 8, 8
	v_add3_u32 v5, v62, v65, v64
	v_add3_u32 v6, v63, v66, v48
	v_bfe_u32 v57, v37, 8, 8
	v_bfe_u32 v58, v36, 16, 8
	;; [unrolled: 1-line block ×3, first 2 shown]
	v_lshrrev_b32_e32 v46, 24, v36
	v_add3_u32 v5, v5, v47, v59
	v_add3_u32 v6, v6, v61, v60
	v_lshrrev_b32_e32 v45, 24, v37
	v_and_b32_e32 v56, 0xff, v38
	v_and_b32_e32 v54, 0xff, v40
	v_bfe_u32 v55, v38, 8, 8
	v_add3_u32 v5, v5, v57, v52
	v_add3_u32 v6, v6, v58, v46
	v_bfe_u32 v51, v40, 8, 8
	v_bfe_u32 v53, v38, 16, 8
	;; [unrolled: 1-line block ×3, first 2 shown]
	v_lshrrev_b32_e32 v44, 24, v38
	v_add3_u32 v5, v5, v45, v54
	v_add3_u32 v6, v6, v56, v55
	v_mbcnt_lo_u32_b32 v67, -1, 0
	v_lshrrev_b32_e32 v43, 24, v40
	v_and_b32_e32 v50, 0xff, v39
	v_and_b32_e32 v7, 0xff, v41
	;; [unrolled: 1-line block ×3, first 2 shown]
	v_add3_u32 v5, v5, v51, v49
	v_add3_u32 v6, v6, v53, v44
	v_and_b32_e32 v69, 15, v67
	v_and_b32_e32 v71, 16, v67
	v_lshrrev_b32_e32 v68, 5, v0
	v_add3_u32 v72, v5, v43, v7
	v_add3_u32 v73, v6, v50, v8
	v_cmp_eq_u32_e64 s2, 0, v69
	v_cmp_lt_u32_e64 s1, 1, v69
	v_cmp_lt_u32_e64 s3, 3, v69
	v_or_b32_e32 v70, 31, v0
	s_cmp_lg_u32 s27, 0
	s_mov_b32 s4, -1
	v_cmp_lt_u32_e32 vcc_lo, 7, v69
	s_cbranch_scc0 .LBB974_136
; %bb.115:
	v_mov_b32_dpp v5, v73 row_shr:1 row_mask:0xf bank_mask:0xf
	v_mov_b32_dpp v6, v72 row_shr:1 row_mask:0xf bank_mask:0xf
	s_mov_b32 s4, exec_lo
	v_add_nc_u32_e32 v5, v5, v73
	v_add_nc_u32_e32 v6, v6, v72
	v_cndmask_b32_e64 v5, v5, v73, s2
	v_cndmask_b32_e64 v6, v6, v72, s2
	v_mov_b32_dpp v7, v5 row_shr:2 row_mask:0xf bank_mask:0xf
	v_mov_b32_dpp v8, v6 row_shr:2 row_mask:0xf bank_mask:0xf
	v_add_nc_u32_e32 v7, v5, v7
	v_add_nc_u32_e32 v8, v6, v8
	v_cndmask_b32_e64 v5, v5, v7, s1
	v_cndmask_b32_e64 v6, v6, v8, s1
	v_mov_b32_dpp v7, v5 row_shr:4 row_mask:0xf bank_mask:0xf
	v_mov_b32_dpp v8, v6 row_shr:4 row_mask:0xf bank_mask:0xf
	;; [unrolled: 6-line block ×3, first 2 shown]
	v_add_nc_u32_e32 v7, v5, v7
	v_add_nc_u32_e32 v8, v6, v8
	v_cndmask_b32_e32 v5, v5, v7, vcc_lo
	v_cndmask_b32_e32 v6, v6, v8, vcc_lo
	v_cmp_eq_u32_e32 vcc_lo, 0, v71
	ds_swizzle_b32 v7, v5 offset:swizzle(BROADCAST,32,15)
	ds_swizzle_b32 v8, v6 offset:swizzle(BROADCAST,32,15)
	s_waitcnt lgkmcnt(1)
	v_add_nc_u32_e32 v7, v5, v7
	s_waitcnt lgkmcnt(0)
	v_add_nc_u32_e32 v8, v6, v8
	v_cmpx_eq_u32_e64 v0, v70
	s_cbranch_execz .LBB974_117
; %bb.116:
	v_lshlrev_b32_e32 v11, 3, v68
	v_cndmask_b32_e32 v10, v7, v5, vcc_lo
	v_cndmask_b32_e32 v9, v8, v6, vcc_lo
	ds_write_b64 v11, v[9:10]
.LBB974_117:
	s_or_b32 exec_lo, exec_lo, s4
	s_mov_b32 s4, exec_lo
	s_waitcnt lgkmcnt(0)
	s_barrier
	buffer_gl0_inv
	v_cmpx_gt_u32_e32 8, v0
	s_cbranch_execz .LBB974_119
; %bb.118:
	v_lshlrev_b32_e32 v11, 3, v0
	v_and_b32_e32 v26, 7, v67
	ds_read_b64 v[9:10], v11
	v_cmp_eq_u32_e64 s3, 0, v26
	s_waitcnt lgkmcnt(0)
	v_mov_b32_dpp v12, v9 row_shr:1 row_mask:0xf bank_mask:0xf
	v_mov_b32_dpp v25, v10 row_shr:1 row_mask:0xf bank_mask:0xf
	v_add_nc_u32_e32 v12, v12, v9
	v_add_nc_u32_e32 v25, v25, v10
	v_cndmask_b32_e64 v9, v12, v9, s3
	v_cndmask_b32_e64 v10, v25, v10, s3
	v_cmp_lt_u32_e64 s3, 1, v26
	v_mov_b32_dpp v12, v9 row_shr:2 row_mask:0xf bank_mask:0xf
	v_mov_b32_dpp v25, v10 row_shr:2 row_mask:0xf bank_mask:0xf
	v_add_nc_u32_e32 v12, v9, v12
	v_add_nc_u32_e32 v25, v10, v25
	v_cndmask_b32_e64 v9, v9, v12, s3
	v_cndmask_b32_e64 v10, v10, v25, s3
	v_cmp_lt_u32_e64 s3, 3, v26
	v_mov_b32_dpp v12, v9 row_shr:4 row_mask:0xf bank_mask:0xf
	v_mov_b32_dpp v25, v10 row_shr:4 row_mask:0xf bank_mask:0xf
	v_cndmask_b32_e64 v12, 0, v12, s3
	v_cndmask_b32_e64 v25, 0, v25, s3
	v_add_nc_u32_e32 v9, v12, v9
	v_add_nc_u32_e32 v10, v25, v10
	ds_write_b64 v11, v[9:10]
.LBB974_119:
	s_or_b32 exec_lo, exec_lo, s4
	v_cndmask_b32_e32 v5, v7, v5, vcc_lo
	v_cndmask_b32_e32 v6, v8, v6, vcc_lo
	s_mov_b32 s4, exec_lo
	v_cmp_gt_u32_e32 vcc_lo, 32, v0
	s_waitcnt lgkmcnt(0)
	s_barrier
	buffer_gl0_inv
                                        ; implicit-def: $vgpr25
	v_cmpx_lt_u32_e32 31, v0
	s_cbranch_execz .LBB974_121
; %bb.120:
	v_lshl_add_u32 v7, v68, 3, -8
	ds_read_b64 v[25:26], v7
	s_waitcnt lgkmcnt(0)
	v_add_nc_u32_e32 v5, v26, v5
	v_add_nc_u32_e32 v6, v25, v6
.LBB974_121:
	s_or_b32 exec_lo, exec_lo, s4
	v_sub_co_u32 v7, s3, v67, 1
	v_cmp_gt_i32_e64 s4, 0, v7
	v_cndmask_b32_e64 v7, v7, v67, s4
	v_lshlrev_b32_e32 v7, 2, v7
	ds_bpermute_b32 v74, v7, v6
	ds_bpermute_b32 v75, v7, v5
	s_and_saveexec_b32 s4, vcc_lo
	s_cbranch_execz .LBB974_141
; %bb.122:
	v_mov_b32_e32 v8, 0
	ds_read_b64 v[5:6], v8 offset:56
	s_and_saveexec_b32 s6, s3
	s_cbranch_execz .LBB974_124
; %bb.123:
	s_add_i32 s8, s27, 32
	s_mov_b32 s9, 0
	v_mov_b32_e32 v7, 1
	s_lshl_b64 s[8:9], s[8:9], 4
	s_add_u32 s8, s36, s8
	s_addc_u32 s9, s37, s9
	v_mov_b32_e32 v10, s9
	v_mov_b32_e32 v9, s8
	s_waitcnt lgkmcnt(0)
	;;#ASMSTART
	global_store_dwordx4 v[9:10], v[5:8] off	
s_waitcnt vmcnt(0)
	;;#ASMEND
.LBB974_124:
	s_or_b32 exec_lo, exec_lo, s6
	v_xad_u32 v27, v67, -1, s27
	s_mov_b32 s7, 0
	v_add_nc_u32_e32 v7, 32, v27
	v_lshlrev_b64 v[9:10], 4, v[7:8]
	v_add_co_u32 v28, vcc_lo, s36, v9
	v_add_co_ci_u32_e64 v29, null, s37, v10, vcc_lo
	;;#ASMSTART
	global_load_dwordx4 v[9:12], v[28:29] off glc dlc	
s_waitcnt vmcnt(0)
	;;#ASMEND
	v_cmp_eq_u16_sdwa s8, v11, v8 src0_sel:BYTE_0 src1_sel:DWORD
	s_and_saveexec_b32 s6, s8
	s_cbranch_execz .LBB974_128
; %bb.125:
	v_mov_b32_e32 v7, 0
.LBB974_126:                            ; =>This Inner Loop Header: Depth=1
	;;#ASMSTART
	global_load_dwordx4 v[9:12], v[28:29] off glc dlc	
s_waitcnt vmcnt(0)
	;;#ASMEND
	v_cmp_ne_u16_sdwa s8, v11, v7 src0_sel:BYTE_0 src1_sel:DWORD
	s_or_b32 s7, s8, s7
	s_andn2_b32 exec_lo, exec_lo, s7
	s_cbranch_execnz .LBB974_126
; %bb.127:
	s_or_b32 exec_lo, exec_lo, s7
.LBB974_128:
	s_or_b32 exec_lo, exec_lo, s6
	v_cmp_ne_u32_e32 vcc_lo, 31, v67
	v_mov_b32_e32 v77, 2
	v_lshlrev_b32_e64 v78, v67, -1
	v_add_nc_u32_e32 v80, 2, v67
	v_add_nc_u32_e32 v82, 4, v67
	v_add_co_ci_u32_e64 v7, null, 0, v67, vcc_lo
	v_cmp_eq_u16_sdwa s6, v11, v77 src0_sel:BYTE_0 src1_sel:DWORD
	v_cmp_gt_u32_e32 vcc_lo, 30, v67
	v_add_nc_u32_e32 v84, 8, v67
	v_lshlrev_b32_e32 v76, 2, v7
	v_lshl_or_b32 v85, v67, 2, 64
	v_and_b32_e32 v12, s6, v78
	v_cndmask_b32_e64 v28, 0, 2, vcc_lo
	v_add_nc_u32_e32 v86, 16, v67
	ds_bpermute_b32 v7, v76, v10
	ds_bpermute_b32 v8, v76, v9
	v_or_b32_e32 v12, 0x80000000, v12
	v_add_lshl_u32 v79, v28, v67, 2
	v_ffbl_b32_e32 v12, v12
	v_cmp_lt_u32_e32 vcc_lo, v67, v12
	s_waitcnt lgkmcnt(1)
	v_add_nc_u32_e32 v7, v7, v10
	s_waitcnt lgkmcnt(0)
	v_add_nc_u32_e32 v8, v8, v9
	v_cndmask_b32_e32 v7, v10, v7, vcc_lo
	v_cndmask_b32_e32 v8, v9, v8, vcc_lo
	v_cmp_gt_u32_e32 vcc_lo, 28, v67
	ds_bpermute_b32 v9, v79, v7
	ds_bpermute_b32 v10, v79, v8
	v_cndmask_b32_e64 v28, 0, 4, vcc_lo
	v_cmp_gt_u32_e32 vcc_lo, v80, v12
	v_add_lshl_u32 v81, v28, v67, 2
	s_waitcnt lgkmcnt(1)
	v_add_nc_u32_e32 v9, v7, v9
	s_waitcnt lgkmcnt(0)
	v_add_nc_u32_e32 v10, v8, v10
	v_cndmask_b32_e32 v7, v9, v7, vcc_lo
	v_cndmask_b32_e32 v8, v10, v8, vcc_lo
	v_cmp_gt_u32_e32 vcc_lo, 24, v67
	ds_bpermute_b32 v9, v81, v7
	ds_bpermute_b32 v10, v81, v8
	v_cndmask_b32_e64 v28, 0, 8, vcc_lo
	v_cmp_gt_u32_e32 vcc_lo, v82, v12
	v_add_lshl_u32 v83, v28, v67, 2
	v_mov_b32_e32 v28, 0
	s_waitcnt lgkmcnt(1)
	v_add_nc_u32_e32 v9, v7, v9
	s_waitcnt lgkmcnt(0)
	v_add_nc_u32_e32 v10, v8, v10
	v_cndmask_b32_e32 v7, v9, v7, vcc_lo
	v_cndmask_b32_e32 v8, v10, v8, vcc_lo
	v_cmp_gt_u32_e32 vcc_lo, v84, v12
	ds_bpermute_b32 v9, v83, v7
	ds_bpermute_b32 v10, v83, v8
	s_waitcnt lgkmcnt(1)
	v_add_nc_u32_e32 v9, v7, v9
	s_waitcnt lgkmcnt(0)
	v_add_nc_u32_e32 v10, v8, v10
	v_cndmask_b32_e32 v7, v9, v7, vcc_lo
	v_cndmask_b32_e32 v8, v10, v8, vcc_lo
	v_cmp_le_u32_e32 vcc_lo, v86, v12
	ds_bpermute_b32 v10, v85, v7
	ds_bpermute_b32 v9, v85, v8
	s_waitcnt lgkmcnt(1)
	v_cndmask_b32_e32 v10, 0, v10, vcc_lo
	s_waitcnt lgkmcnt(0)
	v_cndmask_b32_e32 v9, 0, v9, vcc_lo
	v_add_nc_u32_e32 v10, v10, v7
	v_add_nc_u32_e32 v9, v9, v8
	s_branch .LBB974_132
.LBB974_129:                            ;   in Loop: Header=BB974_132 Depth=1
	s_or_b32 exec_lo, exec_lo, s7
.LBB974_130:                            ;   in Loop: Header=BB974_132 Depth=1
	s_or_b32 exec_lo, exec_lo, s6
	ds_bpermute_b32 v12, v76, v9
	ds_bpermute_b32 v29, v76, v10
	v_cmp_eq_u16_sdwa s6, v11, v77 src0_sel:BYTE_0 src1_sel:DWORD
	v_subrev_nc_u32_e32 v27, 32, v27
	v_and_or_b32 v30, s6, v78, 0x80000000
	s_mov_b32 s6, 0
	v_ffbl_b32_e32 v30, v30
	v_cmp_lt_u32_e32 vcc_lo, v67, v30
	s_waitcnt lgkmcnt(1)
	v_add_nc_u32_e32 v12, v12, v9
	s_waitcnt lgkmcnt(0)
	v_add_nc_u32_e32 v29, v29, v10
	v_cndmask_b32_e32 v9, v9, v12, vcc_lo
	v_cndmask_b32_e32 v10, v10, v29, vcc_lo
	v_cmp_gt_u32_e32 vcc_lo, v80, v30
	ds_bpermute_b32 v12, v79, v9
	ds_bpermute_b32 v29, v79, v10
	s_waitcnt lgkmcnt(1)
	v_add_nc_u32_e32 v12, v9, v12
	s_waitcnt lgkmcnt(0)
	v_add_nc_u32_e32 v29, v10, v29
	v_cndmask_b32_e32 v9, v12, v9, vcc_lo
	v_cndmask_b32_e32 v10, v29, v10, vcc_lo
	v_cmp_gt_u32_e32 vcc_lo, v82, v30
	ds_bpermute_b32 v12, v81, v9
	ds_bpermute_b32 v29, v81, v10
	s_waitcnt lgkmcnt(1)
	v_add_nc_u32_e32 v12, v9, v12
	s_waitcnt lgkmcnt(0)
	v_add_nc_u32_e32 v29, v10, v29
	v_cndmask_b32_e32 v9, v12, v9, vcc_lo
	v_cndmask_b32_e32 v10, v29, v10, vcc_lo
	v_cmp_gt_u32_e32 vcc_lo, v84, v30
	ds_bpermute_b32 v12, v83, v9
	ds_bpermute_b32 v29, v83, v10
	s_waitcnt lgkmcnt(1)
	v_add_nc_u32_e32 v12, v9, v12
	s_waitcnt lgkmcnt(0)
	v_add_nc_u32_e32 v29, v10, v29
	v_cndmask_b32_e32 v9, v12, v9, vcc_lo
	v_cndmask_b32_e32 v10, v29, v10, vcc_lo
	v_cmp_le_u32_e32 vcc_lo, v86, v30
	ds_bpermute_b32 v12, v85, v9
	ds_bpermute_b32 v29, v85, v10
	s_waitcnt lgkmcnt(1)
	v_cndmask_b32_e32 v12, 0, v12, vcc_lo
	s_waitcnt lgkmcnt(0)
	v_cndmask_b32_e32 v29, 0, v29, vcc_lo
	v_add3_u32 v9, v9, v7, v12
	v_add3_u32 v10, v10, v8, v29
.LBB974_131:                            ;   in Loop: Header=BB974_132 Depth=1
	s_and_b32 vcc_lo, exec_lo, s6
	s_cbranch_vccnz .LBB974_137
.LBB974_132:                            ; =>This Loop Header: Depth=1
                                        ;     Child Loop BB974_135 Depth 2
	v_cmp_ne_u16_sdwa s6, v11, v77 src0_sel:BYTE_0 src1_sel:DWORD
	v_mov_b32_e32 v7, v9
	v_mov_b32_e32 v8, v10
                                        ; implicit-def: $vgpr11
                                        ; implicit-def: $vgpr9_vgpr10
	s_cmp_lg_u32 s6, exec_lo
	s_mov_b32 s6, -1
	s_cbranch_scc1 .LBB974_131
; %bb.133:                              ;   in Loop: Header=BB974_132 Depth=1
	v_lshlrev_b64 v[9:10], 4, v[27:28]
	v_add_co_u32 v29, vcc_lo, s36, v9
	v_add_co_ci_u32_e64 v30, null, s37, v10, vcc_lo
	;;#ASMSTART
	global_load_dwordx4 v[9:12], v[29:30] off glc dlc	
s_waitcnt vmcnt(0)
	;;#ASMEND
	v_cmp_eq_u16_sdwa s7, v11, v28 src0_sel:BYTE_0 src1_sel:DWORD
	s_and_saveexec_b32 s6, s7
	s_cbranch_execz .LBB974_130
; %bb.134:                              ;   in Loop: Header=BB974_132 Depth=1
	s_mov_b32 s7, 0
.LBB974_135:                            ;   Parent Loop BB974_132 Depth=1
                                        ; =>  This Inner Loop Header: Depth=2
	;;#ASMSTART
	global_load_dwordx4 v[9:12], v[29:30] off glc dlc	
s_waitcnt vmcnt(0)
	;;#ASMEND
	v_cmp_ne_u16_sdwa s8, v11, v28 src0_sel:BYTE_0 src1_sel:DWORD
	s_or_b32 s7, s8, s7
	s_andn2_b32 exec_lo, exec_lo, s7
	s_cbranch_execnz .LBB974_135
	s_branch .LBB974_129
.LBB974_136:
                                        ; implicit-def: $vgpr25
                                        ; implicit-def: $vgpr7
                                        ; implicit-def: $vgpr26
	s_and_b32 vcc_lo, exec_lo, s4
	s_cbranch_vccnz .LBB974_142
	s_branch .LBB974_151
.LBB974_137:
	s_and_saveexec_b32 s6, s3
	s_cbranch_execnz .LBB974_379
; %bb.138:
	s_or_b32 exec_lo, exec_lo, s6
	s_and_saveexec_b32 s6, s3
	s_cbranch_execnz .LBB974_380
.LBB974_139:
	s_or_b32 exec_lo, exec_lo, s6
	s_and_b32 exec_lo, exec_lo, s0
.LBB974_140:
	v_mov_b32_e32 v5, 0
	ds_write_b64 v5, v[7:8] offset:56
.LBB974_141:
	s_or_b32 exec_lo, exec_lo, s4
	v_mov_b32_e32 v5, 0
	s_waitcnt lgkmcnt(0)
	s_barrier
	buffer_gl0_inv
	v_cndmask_b32_e64 v11, v75, v26, s3
	ds_read_b64 v[9:10], v5 offset:56
	s_waitcnt lgkmcnt(0)
	s_barrier
	buffer_gl0_inv
	ds_read_b128 v[5:8], v5 offset:13312
	v_cndmask_b32_e64 v12, v74, v25, s3
	v_add_nc_u32_e32 v11, v10, v11
	v_add_nc_u32_e32 v12, v9, v12
	v_cndmask_b32_e64 v25, v11, v10, s0
	v_cndmask_b32_e64 v26, v12, v9, s0
	s_branch .LBB974_151
.LBB974_142:
	s_waitcnt lgkmcnt(0)
	v_mov_b32_dpp v5, v72 row_shr:1 row_mask:0xf bank_mask:0xf
	v_mov_b32_dpp v6, v73 row_shr:1 row_mask:0xf bank_mask:0xf
	v_cmp_lt_u32_e32 vcc_lo, 3, v69
	v_add_nc_u32_e32 v5, v5, v72
	v_add_nc_u32_e32 v6, v6, v73
	v_cndmask_b32_e64 v5, v5, v72, s2
	v_cndmask_b32_e64 v6, v6, v73, s2
	s_mov_b32 s2, exec_lo
	v_mov_b32_dpp v7, v5 row_shr:2 row_mask:0xf bank_mask:0xf
	v_mov_b32_dpp v8, v6 row_shr:2 row_mask:0xf bank_mask:0xf
	v_add_nc_u32_e32 v7, v5, v7
	v_add_nc_u32_e32 v8, v6, v8
	v_cndmask_b32_e64 v5, v5, v7, s1
	v_cndmask_b32_e64 v6, v6, v8, s1
	v_mov_b32_dpp v7, v5 row_shr:4 row_mask:0xf bank_mask:0xf
	v_mov_b32_dpp v8, v6 row_shr:4 row_mask:0xf bank_mask:0xf
	v_add_nc_u32_e32 v7, v5, v7
	v_add_nc_u32_e32 v8, v6, v8
	v_cndmask_b32_e32 v7, v5, v7, vcc_lo
	v_cndmask_b32_e32 v6, v6, v8, vcc_lo
	v_cmp_lt_u32_e32 vcc_lo, 7, v69
	v_mov_b32_dpp v5, v7 row_shr:8 row_mask:0xf bank_mask:0xf
	v_mov_b32_dpp v8, v6 row_shr:8 row_mask:0xf bank_mask:0xf
	v_add_nc_u32_e32 v9, v7, v5
	v_add_nc_u32_e32 v5, v6, v8
	v_cndmask_b32_e32 v5, v6, v5, vcc_lo
	v_cndmask_b32_e32 v6, v7, v9, vcc_lo
	v_cmp_eq_u32_e32 vcc_lo, 0, v71
	ds_swizzle_b32 v7, v5 offset:swizzle(BROADCAST,32,15)
	ds_swizzle_b32 v8, v6 offset:swizzle(BROADCAST,32,15)
	s_waitcnt lgkmcnt(1)
	v_add_nc_u32_e32 v7, v5, v7
	s_waitcnt lgkmcnt(0)
	v_add_nc_u32_e32 v8, v6, v8
	v_cmpx_eq_u32_e64 v0, v70
	s_cbranch_execz .LBB974_144
; %bb.143:
	v_cndmask_b32_e32 v9, v8, v6, vcc_lo
	v_cndmask_b32_e32 v10, v7, v5, vcc_lo
	v_lshlrev_b32_e32 v11, 3, v68
	ds_write_b64 v11, v[9:10]
.LBB974_144:
	s_or_b32 exec_lo, exec_lo, s2
	s_mov_b32 s2, exec_lo
	s_waitcnt lgkmcnt(0)
	s_barrier
	buffer_gl0_inv
	v_cmpx_gt_u32_e32 8, v0
	s_cbranch_execz .LBB974_146
; %bb.145:
	v_lshlrev_b32_e32 v11, 3, v0
	v_and_b32_e32 v26, 7, v67
	ds_read_b64 v[9:10], v11
	v_cmp_eq_u32_e64 s1, 0, v26
	s_waitcnt lgkmcnt(0)
	v_mov_b32_dpp v12, v9 row_shr:1 row_mask:0xf bank_mask:0xf
	v_mov_b32_dpp v25, v10 row_shr:1 row_mask:0xf bank_mask:0xf
	v_add_nc_u32_e32 v12, v12, v9
	v_add_nc_u32_e32 v25, v25, v10
	v_cndmask_b32_e64 v9, v12, v9, s1
	v_cndmask_b32_e64 v10, v25, v10, s1
	v_cmp_lt_u32_e64 s1, 1, v26
	v_mov_b32_dpp v12, v9 row_shr:2 row_mask:0xf bank_mask:0xf
	v_mov_b32_dpp v25, v10 row_shr:2 row_mask:0xf bank_mask:0xf
	v_add_nc_u32_e32 v12, v9, v12
	v_add_nc_u32_e32 v25, v10, v25
	v_cndmask_b32_e64 v9, v9, v12, s1
	v_cndmask_b32_e64 v10, v10, v25, s1
	v_cmp_lt_u32_e64 s1, 3, v26
	v_mov_b32_dpp v12, v9 row_shr:4 row_mask:0xf bank_mask:0xf
	v_mov_b32_dpp v25, v10 row_shr:4 row_mask:0xf bank_mask:0xf
	v_cndmask_b32_e64 v12, 0, v12, s1
	v_cndmask_b32_e64 v25, 0, v25, s1
	v_add_nc_u32_e32 v9, v12, v9
	v_add_nc_u32_e32 v10, v25, v10
	ds_write_b64 v11, v[9:10]
.LBB974_146:
	s_or_b32 exec_lo, exec_lo, s2
	v_mov_b32_e32 v11, 0
	v_mov_b32_e32 v9, 0
	;; [unrolled: 1-line block ×3, first 2 shown]
	s_mov_b32 s2, exec_lo
	s_waitcnt lgkmcnt(0)
	s_barrier
	buffer_gl0_inv
	v_cmpx_lt_u32_e32 31, v0
; %bb.147:
	v_lshl_add_u32 v9, v68, 3, -8
	ds_read_b64 v[9:10], v9
; %bb.148:
	s_or_b32 exec_lo, exec_lo, s2
	v_sub_co_u32 v12, s1, v67, 1
	v_cndmask_b32_e32 v6, v8, v6, vcc_lo
	v_cndmask_b32_e32 v5, v7, v5, vcc_lo
	v_cmp_gt_i32_e64 s2, 0, v12
	s_waitcnt lgkmcnt(0)
	v_add_nc_u32_e32 v6, v9, v6
	v_add_nc_u32_e32 v5, v10, v5
	v_cndmask_b32_e64 v8, v12, v67, s2
	v_lshlrev_b32_e32 v7, 2, v8
	ds_bpermute_b32 v12, v7, v6
	ds_bpermute_b32 v25, v7, v5
	ds_read_b64 v[5:6], v11 offset:56
	s_and_saveexec_b32 s2, s0
	s_cbranch_execz .LBB974_150
; %bb.149:
	s_add_u32 s6, s36, 0x200
	s_addc_u32 s7, s37, 0
	v_mov_b32_e32 v7, 2
	v_mov_b32_e32 v27, s7
	;; [unrolled: 1-line block ×4, first 2 shown]
	s_waitcnt lgkmcnt(0)
	;;#ASMSTART
	global_store_dwordx4 v[26:27], v[5:8] off	
s_waitcnt vmcnt(0)
	;;#ASMEND
.LBB974_150:
	s_or_b32 exec_lo, exec_lo, s2
	s_waitcnt lgkmcnt(1)
	v_cndmask_b32_e64 v7, v25, v10, s1
	v_cndmask_b32_e64 v9, v12, v9, s1
	v_mov_b32_e32 v8, 0
	s_waitcnt lgkmcnt(0)
	s_barrier
	v_cndmask_b32_e64 v25, v7, 0, s0
	v_cndmask_b32_e64 v26, v9, 0, s0
	v_mov_b32_e32 v7, 0
	buffer_gl0_inv
.LBB974_151:
	v_add_nc_u32_e32 v30, v25, v66
	v_add_nc_u32_e32 v29, v26, v65
	s_waitcnt lgkmcnt(0)
	v_sub_nc_u32_e32 v25, v25, v8
	v_lshrrev_b32_e32 v28, 8, v41
	v_lshlrev_b32_e32 v69, 1, v5
	v_add_nc_u32_e32 v63, v30, v63
	v_sub_nc_u32_e32 v30, v30, v8
	v_add_nc_u32_e32 v62, v29, v62
	v_sub_nc_u32_e32 v26, v26, v7
	;; [unrolled: 2-line block ×3, first 2 shown]
	v_add_nc_u32_e32 v30, v30, v5
	v_and_b32_e32 v28, 1, v28
	v_mov_b32_e32 v71, 1
	v_add3_u32 v34, v69, v6, v34
	v_add_nc_u32_e32 v75, v26, v25
	v_add_nc_u32_e32 v76, v30, v29
	v_add_co_u32 v1, vcc_lo, v1, v7
	v_add_co_ci_u32_e64 v2, null, 0, v2, vcc_lo
	v_sub_co_u32 v67, vcc_lo, v3, v5
	v_subrev_co_ci_u32_e64 v68, null, 0, v4, vcc_lo
	v_and_b32_sdwa v74, v71, v41 dst_sel:DWORD dst_unused:UNUSED_PAD src0_sel:DWORD src1_sel:WORD_1
	v_sub_nc_u32_e32 v76, v34, v76
	v_sub_nc_u32_e32 v75, v34, v75
	v_cmp_eq_u32_e32 vcc_lo, 1, v28
	v_lshrrev_b32_e32 v27, 8, v35
	v_add_nc_u32_e32 v65, v63, v48
	v_and_b32_e32 v70, 1, v35
	v_sub_nc_u32_e32 v63, v63, v8
	v_add_nc_u32_e32 v76, 1, v76
	v_cndmask_b32_e32 v25, v75, v25, vcc_lo
	v_cmp_eq_u32_e32 vcc_lo, 1, v74
	v_add_nc_u32_e32 v64, v62, v64
	v_and_b32_e32 v27, 1, v27
	v_sub_nc_u32_e32 v62, v62, v7
	v_add_nc_u32_e32 v63, v63, v5
	v_cndmask_b32_e32 v30, v76, v30, vcc_lo
	v_cmp_eq_u32_e32 vcc_lo, 1, v70
	v_and_b32_e32 v48, 1, v48
	v_add_nc_u32_e32 v61, v65, v61
	v_add_nc_u32_e32 v74, v63, v62
	v_and_b32_sdwa v35, v71, v35 dst_sel:DWORD dst_unused:UNUSED_PAD src0_sel:DWORD src1_sel:WORD_1
	v_cndmask_b32_e32 v70, v25, v26, vcc_lo
	v_cmp_eq_u32_e32 vcc_lo, 1, v27
	v_sub_nc_u32_e32 v65, v65, v8
	v_add_nc_u32_e32 v66, v64, v47
	v_add_nc_u32_e32 v60, v61, v60
	v_sub_nc_u32_e32 v61, v61, v8
	v_cndmask_b32_e32 v27, v30, v29, vcc_lo
	v_sub_nc_u32_e32 v29, v34, v74
	v_add_co_u32 v25, vcc_lo, v67, v8
	v_add_co_ci_u32_e64 v26, null, 0, v68, vcc_lo
	v_add_nc_u32_e32 v29, 2, v29
	v_cmp_eq_u32_e32 vcc_lo, 1, v48
	v_sub_nc_u32_e32 v48, v64, v7
	v_lshlrev_b32_e32 v30, 2, v70
	v_add_nc_u32_e32 v61, v61, v5
	v_lshlrev_b32_e32 v27, 2, v27
	v_cndmask_b32_e32 v29, v29, v63, vcc_lo
	v_add_nc_u32_e32 v63, v65, v5
	v_cmp_eq_u32_e32 vcc_lo, 1, v35
	v_sub_nc_u32_e32 v35, v66, v7
	v_lshrrev_b32_e32 v12, 8, v36
	ds_write_b32 v30, v23
	ds_write_b32 v27, v24
	v_and_b32_e32 v30, 1, v36
	v_cndmask_b32_e32 v29, v29, v62, vcc_lo
	v_add_nc_u32_e32 v62, v48, v63
	v_add_nc_u32_e32 v24, v35, v61
	;; [unrolled: 1-line block ×3, first 2 shown]
	v_and_b32_e32 v12, 1, v12
	v_lshlrev_b32_e32 v23, 2, v29
	v_sub_nc_u32_e32 v27, v34, v62
	v_and_b32_e32 v29, 1, v47
	v_sub_nc_u32_e32 v47, v60, v8
	v_sub_nc_u32_e32 v24, v34, v24
	v_cmp_eq_u32_e32 vcc_lo, 1, v30
	v_add_nc_u32_e32 v27, 3, v27
	v_add_nc_u32_e32 v57, v59, v57
	v_sub_nc_u32_e32 v59, v59, v7
	v_add_nc_u32_e32 v47, v47, v5
	v_add_nc_u32_e32 v24, 4, v24
	v_cndmask_b32_e32 v27, v27, v63, vcc_lo
	v_cmp_eq_u32_e32 vcc_lo, 1, v12
	v_add_nc_u32_e32 v58, v60, v58
	v_and_b32_e32 v30, 1, v37
	v_add_nc_u32_e32 v60, v59, v47
	v_lshrrev_b32_e32 v11, 8, v37
	v_cndmask_b32_e32 v12, v24, v61, vcc_lo
	v_cmp_eq_u32_e32 vcc_lo, 1, v29
	ds_write_b32 v23, v21
	v_and_b32_sdwa v23, v71, v36 dst_sel:DWORD dst_unused:UNUSED_PAD src0_sel:DWORD src1_sel:WORD_1
	v_add_nc_u32_e32 v72, v58, v46
	v_and_b32_e32 v11, 1, v11
	v_cndmask_b32_e32 v24, v27, v48, vcc_lo
	v_sub_nc_u32_e32 v27, v34, v60
	v_cmp_eq_u32_e32 vcc_lo, 1, v30
	v_add_nc_u32_e32 v52, v57, v52
	v_sub_nc_u32_e32 v29, v72, v8
	v_lshlrev_b32_e32 v21, 2, v24
	v_add_nc_u32_e32 v24, 5, v27
	v_cndmask_b32_e32 v12, v12, v35, vcc_lo
	v_sub_nc_u32_e32 v27, v58, v8
	v_cmp_eq_u32_e32 vcc_lo, 1, v23
	v_add_nc_u32_e32 v29, v29, v5
	v_add_nc_u32_e32 v56, v72, v56
	v_lshlrev_b32_e32 v12, 2, v12
	v_add_nc_u32_e32 v27, v27, v5
	v_cndmask_b32_e32 v23, v24, v47, vcc_lo
	v_sub_nc_u32_e32 v24, v57, v7
	v_cmp_eq_u32_e32 vcc_lo, 1, v11
	ds_write_b32 v21, v22
	ds_write_b32 v12, v19
	v_and_b32_e32 v22, 1, v46
	v_and_b32_e32 v35, 1, v38
	v_add_nc_u32_e32 v30, v24, v27
	v_cndmask_b32_e32 v11, v23, v59, vcc_lo
	v_sub_nc_u32_e32 v23, v52, v7
	v_cmp_eq_u32_e32 vcc_lo, 1, v22
	v_add_nc_u32_e32 v73, v52, v45
	v_sub_nc_u32_e32 v19, v34, v30
	v_sub_nc_u32_e32 v30, v56, v8
	v_add_nc_u32_e32 v12, v23, v29
	v_and_b32_sdwa v21, v71, v37 dst_sel:DWORD dst_unused:UNUSED_PAD src0_sel:DWORD src1_sel:WORD_1
	v_sub_nc_u32_e32 v36, v73, v7
	v_add_nc_u32_e32 v19, 6, v19
	v_add_nc_u32_e32 v30, v30, v5
	v_sub_nc_u32_e32 v12, v34, v12
	v_and_b32_e32 v22, 1, v45
	v_lshrrev_b32_e32 v10, 8, v38
	v_cndmask_b32_e32 v19, v19, v27, vcc_lo
	v_cmp_eq_u32_e32 vcc_lo, 1, v35
	v_add_nc_u32_e32 v12, 7, v12
	v_add_nc_u32_e32 v55, v56, v55
	;; [unrolled: 1-line block ×4, first 2 shown]
	v_and_b32_e32 v10, 1, v10
	v_cndmask_b32_e32 v12, v12, v29, vcc_lo
	v_cmp_eq_u32_e32 vcc_lo, 1, v21
	v_sub_nc_u32_e32 v21, v34, v27
	v_add_nc_u32_e32 v53, v55, v53
	v_lshlrev_b32_e32 v11, 2, v11
	v_add_nc_u32_e32 v51, v54, v51
	v_cndmask_b32_e32 v19, v19, v24, vcc_lo
	v_cmp_eq_u32_e32 vcc_lo, 1, v22
	v_sub_nc_u32_e32 v22, v55, v8
	v_add_nc_u32_e32 v21, 8, v21
	v_sub_nc_u32_e32 v24, v54, v7
	v_lshlrev_b32_e32 v19, 2, v19
	v_cndmask_b32_e32 v12, v12, v23, vcc_lo
	v_add_nc_u32_e32 v22, v22, v5
	v_cmp_eq_u32_e32 vcc_lo, 1, v10
	v_add_nc_u32_e32 v77, v53, v44
	v_and_b32_e32 v23, 1, v40
	v_lshlrev_b32_e32 v12, 2, v12
	ds_write_b32 v11, v20
	ds_write_b32 v19, v17
	;; [unrolled: 1-line block ×3, first 2 shown]
	v_cndmask_b32_e32 v10, v21, v30, vcc_lo
	v_add_nc_u32_e32 v21, v24, v22
	v_sub_nc_u32_e32 v12, v53, v8
	v_lshrrev_b32_e32 v9, 8, v40
	v_add_nc_u32_e32 v49, v51, v49
	v_cmp_eq_u32_e32 vcc_lo, 1, v23
	v_sub_nc_u32_e32 v11, v34, v21
	v_and_b32_sdwa v17, v71, v38 dst_sel:DWORD dst_unused:UNUSED_PAD src0_sel:DWORD src1_sel:WORD_1
	v_sub_nc_u32_e32 v18, v51, v7
	v_sub_nc_u32_e32 v19, v77, v8
	v_add_nc_u32_e32 v12, v12, v5
	v_cndmask_b32_e32 v10, v10, v36, vcc_lo
	v_and_b32_e32 v9, 1, v9
	v_add_nc_u32_e32 v11, 9, v11
	v_cmp_eq_u32_e32 vcc_lo, 1, v17
	v_sub_nc_u32_e32 v17, v49, v7
	v_add_nc_u32_e32 v19, v19, v5
	v_add_nc_u32_e32 v20, v18, v12
	;; [unrolled: 1-line block ×3, first 2 shown]
	v_cndmask_b32_e32 v11, v11, v22, vcc_lo
	v_cmp_eq_u32_e32 vcc_lo, 1, v9
	v_add_nc_u32_e32 v21, v17, v19
	v_sub_nc_u32_e32 v20, v34, v20
	v_and_b32_e32 v23, 1, v44
	v_add_nc_u32_e32 v50, v49, v43
	v_cndmask_b32_e32 v9, v11, v24, vcc_lo
	v_sub_nc_u32_e32 v11, v28, v8
	v_sub_nc_u32_e32 v21, v34, v21
	v_add_nc_u32_e32 v20, 10, v20
	v_and_b32_e32 v24, 1, v39
	v_cmp_eq_u32_e32 vcc_lo, 1, v23
	v_and_b32_sdwa v22, v71, v40 dst_sel:DWORD dst_unused:UNUSED_PAD src0_sel:DWORD src1_sel:WORD_1
	v_sub_nc_u32_e32 v7, v50, v7
	v_add_nc_u32_e32 v11, v11, v5
	v_add_nc_u32_e32 v21, 11, v21
	v_cndmask_b32_e32 v12, v20, v12, vcc_lo
	v_cmp_eq_u32_e32 vcc_lo, 1, v24
	v_and_b32_e32 v20, 1, v43
	v_add_nc_u32_e32 v27, v7, v11
	v_lshlrev_b32_e32 v10, 2, v10
	v_lshlrev_b32_e32 v9, 2, v9
	v_cndmask_b32_e32 v19, v21, v19, vcc_lo
	v_cmp_eq_u32_e32 vcc_lo, 1, v22
	v_sub_nc_u32_e32 v23, v34, v27
	v_cndmask_b32_e32 v12, v12, v18, vcc_lo
	v_and_b32_e32 v18, 1, v42
	v_cmp_eq_u32_e32 vcc_lo, 1, v20
	v_add_nc_u32_e32 v21, 12, v23
	v_lshlrev_b32_e32 v12, 2, v12
	v_cndmask_b32_e32 v17, v19, v17, vcc_lo
	v_and_b32_e32 v19, 1, v41
	v_cmp_eq_u32_e32 vcc_lo, 1, v18
	v_lshlrev_b32_e32 v17, 2, v17
	ds_write_b32 v10, v15
	ds_write_b32 v9, v16
	;; [unrolled: 1-line block ×4, first 2 shown]
	v_cndmask_b32_e32 v11, v21, v11, vcc_lo
	v_cmp_eq_u32_e32 vcc_lo, 1, v19
	v_add_co_u32 v9, s1, v6, v69
	v_add_co_ci_u32_e64 v10, null, 0, 0, s1
	v_cndmask_b32_e32 v7, v11, v7, vcc_lo
	v_add_co_u32 v11, s1, s34, v31
	v_add_co_ci_u32_e64 v12, null, s35, 0, s1
	v_lshlrev_b32_e32 v7, 2, v7
	v_add_nc_u32_e32 v14, v5, v6
	ds_write_b32 v7, v33
	v_add_co_u32 v7, vcc_lo, v9, v25
	v_add_co_ci_u32_e64 v9, null, v10, v26, vcc_lo
	s_waitcnt lgkmcnt(0)
	v_add_co_u32 v7, vcc_lo, v7, v1
	v_add_co_ci_u32_e64 v13, null, v9, v2, vcc_lo
	v_lshlrev_b64 v[9:10], 2, v[25:26]
	v_sub_co_u32 v7, vcc_lo, v11, v7
	v_sub_co_ci_u32_e64 v13, null, v12, v13, vcc_lo
	v_lshlrev_b64 v[11:12], 2, v[1:2]
	v_add_co_u32 v9, vcc_lo, s30, v9
	v_add_co_ci_u32_e64 v10, null, s31, v10, vcc_lo
	v_cmp_ne_u32_e32 vcc_lo, 1, v32
	v_add_co_u32 v11, s1, s28, v11
	v_add_co_ci_u32_e64 v12, null, s29, v12, s1
	s_mov_b32 s1, -1
	s_barrier
	buffer_gl0_inv
	s_cbranch_vccz .LBB974_155
; %bb.152:
	s_and_b32 vcc_lo, exec_lo, s1
	s_cbranch_vccnz .LBB974_260
.LBB974_153:
	s_and_b32 s0, s0, s26
	s_and_saveexec_b32 s1, s0
	s_cbranch_execnz .LBB974_378
.LBB974_154:
	s_endpgm
.LBB974_155:
	s_mov_b32 s1, exec_lo
	v_cmpx_ge_u32_e64 v0, v5
	s_xor_b32 s1, exec_lo, s1
	s_cbranch_execz .LBB974_161
; %bb.156:
	s_mov_b32 s2, exec_lo
	v_cmpx_ge_u32_e64 v0, v14
	s_xor_b32 s2, exec_lo, s2
	s_cbranch_execz .LBB974_158
; %bb.157:
	v_lshlrev_b32_e32 v15, 2, v0
	ds_read_b32 v17, v15
	v_add_co_u32 v15, vcc_lo, v7, v0
	v_add_co_ci_u32_e64 v16, null, 0, v13, vcc_lo
	v_lshlrev_b64 v[15:16], 2, v[15:16]
	v_sub_co_u32 v15, vcc_lo, s14, v15
	v_sub_co_ci_u32_e64 v16, null, s15, v16, vcc_lo
	s_waitcnt lgkmcnt(0)
	global_store_dword v[15:16], v17, off offset:-4
.LBB974_158:
	s_andn2_saveexec_b32 s2, s2
	s_cbranch_execz .LBB974_160
; %bb.159:
	v_lshlrev_b32_e32 v15, 2, v0
	v_readfirstlane_b32 s6, v9
	v_readfirstlane_b32 s7, v10
	ds_read_b32 v16, v15
	s_waitcnt lgkmcnt(0)
	global_store_dword v15, v16, s[6:7]
.LBB974_160:
	s_or_b32 exec_lo, exec_lo, s2
.LBB974_161:
	s_andn2_saveexec_b32 s1, s1
	s_cbranch_execz .LBB974_163
; %bb.162:
	v_lshlrev_b32_e32 v15, 2, v0
	v_readfirstlane_b32 s2, v11
	v_readfirstlane_b32 s3, v12
	ds_read_b32 v16, v15
	s_waitcnt lgkmcnt(0)
	global_store_dword v15, v16, s[2:3]
.LBB974_163:
	s_or_b32 exec_lo, exec_lo, s1
	v_or_b32_e32 v15, 0x100, v0
	s_mov_b32 s1, exec_lo
	v_cmpx_ge_u32_e64 v15, v5
	s_xor_b32 s1, exec_lo, s1
	s_cbranch_execz .LBB974_169
; %bb.164:
	s_mov_b32 s2, exec_lo
	v_cmpx_ge_u32_e64 v15, v14
	s_xor_b32 s2, exec_lo, s2
	s_cbranch_execz .LBB974_166
; %bb.165:
	v_lshlrev_b32_e32 v15, 2, v0
	ds_read_b32 v17, v15 offset:1024
	v_add_co_u32 v15, vcc_lo, v7, v0
	v_add_co_ci_u32_e64 v16, null, 0, v13, vcc_lo
	v_lshlrev_b64 v[15:16], 2, v[15:16]
	v_sub_co_u32 v15, vcc_lo, s14, v15
	v_sub_co_ci_u32_e64 v16, null, s15, v16, vcc_lo
	s_waitcnt lgkmcnt(0)
	global_store_dword v[15:16], v17, off offset:-1028
.LBB974_166:
	s_andn2_saveexec_b32 s2, s2
	s_cbranch_execz .LBB974_168
; %bb.167:
	v_lshlrev_b32_e32 v15, 2, v0
	v_readfirstlane_b32 s6, v9
	v_readfirstlane_b32 s7, v10
	ds_read_b32 v16, v15 offset:1024
	s_waitcnt lgkmcnt(0)
	global_store_dword v15, v16, s[6:7] offset:1024
.LBB974_168:
	s_or_b32 exec_lo, exec_lo, s2
.LBB974_169:
	s_andn2_saveexec_b32 s1, s1
	s_cbranch_execz .LBB974_171
; %bb.170:
	v_lshlrev_b32_e32 v15, 2, v0
	v_readfirstlane_b32 s2, v11
	v_readfirstlane_b32 s3, v12
	ds_read_b32 v16, v15 offset:1024
	s_waitcnt lgkmcnt(0)
	global_store_dword v15, v16, s[2:3] offset:1024
.LBB974_171:
	s_or_b32 exec_lo, exec_lo, s1
	v_or_b32_e32 v15, 0x200, v0
	s_mov_b32 s1, exec_lo
	v_cmpx_ge_u32_e64 v15, v5
	s_xor_b32 s1, exec_lo, s1
	s_cbranch_execz .LBB974_177
; %bb.172:
	s_mov_b32 s2, exec_lo
	v_cmpx_ge_u32_e64 v15, v14
	s_xor_b32 s2, exec_lo, s2
	s_cbranch_execz .LBB974_174
; %bb.173:
	v_lshlrev_b32_e32 v17, 2, v0
	v_add_co_u32 v15, vcc_lo, v7, v0
	v_add_co_ci_u32_e64 v16, null, 0, v13, vcc_lo
	ds_read_b32 v17, v17 offset:2048
	v_lshlrev_b64 v[15:16], 2, v[15:16]
	v_sub_co_u32 v15, vcc_lo, s14, v15
	v_sub_co_ci_u32_e64 v16, null, s15, v16, vcc_lo
	v_add_co_u32 v15, vcc_lo, 0xfffff800, v15
	v_add_co_ci_u32_e64 v16, null, -1, v16, vcc_lo
	s_waitcnt lgkmcnt(0)
	global_store_dword v[15:16], v17, off offset:-4
                                        ; implicit-def: $vgpr15
.LBB974_174:
	s_andn2_saveexec_b32 s2, s2
	s_cbranch_execz .LBB974_176
; %bb.175:
	v_lshlrev_b32_e32 v16, 2, v0
	v_lshlrev_b32_e32 v15, 2, v15
	v_readfirstlane_b32 s6, v9
	v_readfirstlane_b32 s7, v10
	ds_read_b32 v16, v16 offset:2048
	s_waitcnt lgkmcnt(0)
	global_store_dword v15, v16, s[6:7]
.LBB974_176:
	s_or_b32 exec_lo, exec_lo, s2
                                        ; implicit-def: $vgpr15
.LBB974_177:
	s_andn2_saveexec_b32 s1, s1
	s_cbranch_execz .LBB974_179
; %bb.178:
	v_lshlrev_b32_e32 v16, 2, v0
	v_lshlrev_b32_e32 v15, 2, v15
	v_readfirstlane_b32 s2, v11
	v_readfirstlane_b32 s3, v12
	ds_read_b32 v16, v16 offset:2048
	s_waitcnt lgkmcnt(0)
	global_store_dword v15, v16, s[2:3]
.LBB974_179:
	s_or_b32 exec_lo, exec_lo, s1
	v_or_b32_e32 v15, 0x300, v0
	s_mov_b32 s1, exec_lo
	v_cmpx_ge_u32_e64 v15, v5
	s_xor_b32 s1, exec_lo, s1
	s_cbranch_execz .LBB974_185
; %bb.180:
	s_mov_b32 s2, exec_lo
	v_cmpx_ge_u32_e64 v15, v14
	s_xor_b32 s2, exec_lo, s2
	s_cbranch_execz .LBB974_182
; %bb.181:
	v_lshlrev_b32_e32 v16, 2, v0
	v_add_co_u32 v15, vcc_lo, v7, v15
	ds_read_b32 v17, v16 offset:3072
	v_add_co_ci_u32_e64 v16, null, 0, v13, vcc_lo
	v_lshlrev_b64 v[15:16], 2, v[15:16]
	v_sub_co_u32 v15, vcc_lo, s14, v15
	v_sub_co_ci_u32_e64 v16, null, s15, v16, vcc_lo
	s_waitcnt lgkmcnt(0)
	global_store_dword v[15:16], v17, off offset:-4
                                        ; implicit-def: $vgpr15
.LBB974_182:
	s_andn2_saveexec_b32 s2, s2
	s_cbranch_execz .LBB974_184
; %bb.183:
	v_lshlrev_b32_e32 v16, 2, v0
	v_lshlrev_b32_e32 v15, 2, v15
	v_readfirstlane_b32 s6, v9
	v_readfirstlane_b32 s7, v10
	ds_read_b32 v16, v16 offset:3072
	s_waitcnt lgkmcnt(0)
	global_store_dword v15, v16, s[6:7]
.LBB974_184:
	s_or_b32 exec_lo, exec_lo, s2
                                        ; implicit-def: $vgpr15
.LBB974_185:
	s_andn2_saveexec_b32 s1, s1
	s_cbranch_execz .LBB974_187
; %bb.186:
	v_lshlrev_b32_e32 v16, 2, v0
	v_lshlrev_b32_e32 v15, 2, v15
	v_readfirstlane_b32 s2, v11
	v_readfirstlane_b32 s3, v12
	ds_read_b32 v16, v16 offset:3072
	s_waitcnt lgkmcnt(0)
	global_store_dword v15, v16, s[2:3]
.LBB974_187:
	s_or_b32 exec_lo, exec_lo, s1
	v_or_b32_e32 v15, 0x400, v0
	s_mov_b32 s1, exec_lo
	v_cmpx_ge_u32_e64 v15, v5
	s_xor_b32 s1, exec_lo, s1
	s_cbranch_execz .LBB974_193
; %bb.188:
	s_mov_b32 s2, exec_lo
	v_cmpx_ge_u32_e64 v15, v14
	s_xor_b32 s2, exec_lo, s2
	s_cbranch_execz .LBB974_190
; %bb.189:
	v_lshlrev_b32_e32 v16, 2, v0
	v_add_co_u32 v15, vcc_lo, v7, v15
	ds_read_b32 v17, v16 offset:4096
	v_add_co_ci_u32_e64 v16, null, 0, v13, vcc_lo
	v_lshlrev_b64 v[15:16], 2, v[15:16]
	v_sub_co_u32 v15, vcc_lo, s14, v15
	v_sub_co_ci_u32_e64 v16, null, s15, v16, vcc_lo
	s_waitcnt lgkmcnt(0)
	global_store_dword v[15:16], v17, off offset:-4
                                        ; implicit-def: $vgpr15
.LBB974_190:
	s_andn2_saveexec_b32 s2, s2
	s_cbranch_execz .LBB974_192
; %bb.191:
	v_lshlrev_b32_e32 v16, 2, v0
	v_lshlrev_b32_e32 v15, 2, v15
	v_readfirstlane_b32 s6, v9
	v_readfirstlane_b32 s7, v10
	ds_read_b32 v16, v16 offset:4096
	s_waitcnt lgkmcnt(0)
	global_store_dword v15, v16, s[6:7]
.LBB974_192:
	s_or_b32 exec_lo, exec_lo, s2
                                        ; implicit-def: $vgpr15
.LBB974_193:
	s_andn2_saveexec_b32 s1, s1
	s_cbranch_execz .LBB974_195
; %bb.194:
	v_lshlrev_b32_e32 v16, 2, v0
	v_lshlrev_b32_e32 v15, 2, v15
	v_readfirstlane_b32 s2, v11
	v_readfirstlane_b32 s3, v12
	ds_read_b32 v16, v16 offset:4096
	s_waitcnt lgkmcnt(0)
	global_store_dword v15, v16, s[2:3]
.LBB974_195:
	s_or_b32 exec_lo, exec_lo, s1
	v_or_b32_e32 v15, 0x500, v0
	s_mov_b32 s1, exec_lo
	v_cmpx_ge_u32_e64 v15, v5
	s_xor_b32 s1, exec_lo, s1
	s_cbranch_execz .LBB974_201
; %bb.196:
	s_mov_b32 s2, exec_lo
	v_cmpx_ge_u32_e64 v15, v14
	s_xor_b32 s2, exec_lo, s2
	s_cbranch_execz .LBB974_198
; %bb.197:
	v_lshlrev_b32_e32 v16, 2, v0
	v_add_co_u32 v15, vcc_lo, v7, v15
	ds_read_b32 v17, v16 offset:5120
	v_add_co_ci_u32_e64 v16, null, 0, v13, vcc_lo
	v_lshlrev_b64 v[15:16], 2, v[15:16]
	v_sub_co_u32 v15, vcc_lo, s14, v15
	v_sub_co_ci_u32_e64 v16, null, s15, v16, vcc_lo
	s_waitcnt lgkmcnt(0)
	global_store_dword v[15:16], v17, off offset:-4
                                        ; implicit-def: $vgpr15
.LBB974_198:
	s_andn2_saveexec_b32 s2, s2
	s_cbranch_execz .LBB974_200
; %bb.199:
	v_lshlrev_b32_e32 v16, 2, v0
	v_lshlrev_b32_e32 v15, 2, v15
	v_readfirstlane_b32 s6, v9
	v_readfirstlane_b32 s7, v10
	ds_read_b32 v16, v16 offset:5120
	s_waitcnt lgkmcnt(0)
	global_store_dword v15, v16, s[6:7]
.LBB974_200:
	s_or_b32 exec_lo, exec_lo, s2
                                        ; implicit-def: $vgpr15
.LBB974_201:
	s_andn2_saveexec_b32 s1, s1
	s_cbranch_execz .LBB974_203
; %bb.202:
	v_lshlrev_b32_e32 v16, 2, v0
	v_lshlrev_b32_e32 v15, 2, v15
	v_readfirstlane_b32 s2, v11
	v_readfirstlane_b32 s3, v12
	ds_read_b32 v16, v16 offset:5120
	s_waitcnt lgkmcnt(0)
	global_store_dword v15, v16, s[2:3]
.LBB974_203:
	s_or_b32 exec_lo, exec_lo, s1
	v_or_b32_e32 v15, 0x600, v0
	s_mov_b32 s1, exec_lo
	v_cmpx_ge_u32_e64 v15, v5
	s_xor_b32 s1, exec_lo, s1
	s_cbranch_execz .LBB974_209
; %bb.204:
	s_mov_b32 s2, exec_lo
	v_cmpx_ge_u32_e64 v15, v14
	s_xor_b32 s2, exec_lo, s2
	s_cbranch_execz .LBB974_206
; %bb.205:
	v_lshlrev_b32_e32 v16, 2, v0
	v_add_co_u32 v15, vcc_lo, v7, v15
	ds_read_b32 v17, v16 offset:6144
	v_add_co_ci_u32_e64 v16, null, 0, v13, vcc_lo
	v_lshlrev_b64 v[15:16], 2, v[15:16]
	v_sub_co_u32 v15, vcc_lo, s14, v15
	v_sub_co_ci_u32_e64 v16, null, s15, v16, vcc_lo
	s_waitcnt lgkmcnt(0)
	global_store_dword v[15:16], v17, off offset:-4
                                        ; implicit-def: $vgpr15
.LBB974_206:
	s_andn2_saveexec_b32 s2, s2
	s_cbranch_execz .LBB974_208
; %bb.207:
	v_lshlrev_b32_e32 v16, 2, v0
	v_lshlrev_b32_e32 v15, 2, v15
	v_readfirstlane_b32 s6, v9
	v_readfirstlane_b32 s7, v10
	ds_read_b32 v16, v16 offset:6144
	s_waitcnt lgkmcnt(0)
	global_store_dword v15, v16, s[6:7]
.LBB974_208:
	s_or_b32 exec_lo, exec_lo, s2
                                        ; implicit-def: $vgpr15
.LBB974_209:
	s_andn2_saveexec_b32 s1, s1
	s_cbranch_execz .LBB974_211
; %bb.210:
	v_lshlrev_b32_e32 v16, 2, v0
	v_lshlrev_b32_e32 v15, 2, v15
	v_readfirstlane_b32 s2, v11
	v_readfirstlane_b32 s3, v12
	ds_read_b32 v16, v16 offset:6144
	s_waitcnt lgkmcnt(0)
	global_store_dword v15, v16, s[2:3]
.LBB974_211:
	s_or_b32 exec_lo, exec_lo, s1
	v_or_b32_e32 v15, 0x700, v0
	s_mov_b32 s1, exec_lo
	v_cmpx_ge_u32_e64 v15, v5
	s_xor_b32 s1, exec_lo, s1
	s_cbranch_execz .LBB974_217
; %bb.212:
	s_mov_b32 s2, exec_lo
	v_cmpx_ge_u32_e64 v15, v14
	s_xor_b32 s2, exec_lo, s2
	s_cbranch_execz .LBB974_214
; %bb.213:
	v_lshlrev_b32_e32 v16, 2, v0
	v_add_co_u32 v15, vcc_lo, v7, v15
	ds_read_b32 v17, v16 offset:7168
	v_add_co_ci_u32_e64 v16, null, 0, v13, vcc_lo
	v_lshlrev_b64 v[15:16], 2, v[15:16]
	v_sub_co_u32 v15, vcc_lo, s14, v15
	v_sub_co_ci_u32_e64 v16, null, s15, v16, vcc_lo
	s_waitcnt lgkmcnt(0)
	global_store_dword v[15:16], v17, off offset:-4
                                        ; implicit-def: $vgpr15
.LBB974_214:
	s_andn2_saveexec_b32 s2, s2
	s_cbranch_execz .LBB974_216
; %bb.215:
	v_lshlrev_b32_e32 v16, 2, v0
	v_lshlrev_b32_e32 v15, 2, v15
	v_readfirstlane_b32 s6, v9
	v_readfirstlane_b32 s7, v10
	ds_read_b32 v16, v16 offset:7168
	s_waitcnt lgkmcnt(0)
	global_store_dword v15, v16, s[6:7]
.LBB974_216:
	s_or_b32 exec_lo, exec_lo, s2
                                        ; implicit-def: $vgpr15
.LBB974_217:
	s_andn2_saveexec_b32 s1, s1
	s_cbranch_execz .LBB974_219
; %bb.218:
	v_lshlrev_b32_e32 v16, 2, v0
	v_lshlrev_b32_e32 v15, 2, v15
	v_readfirstlane_b32 s2, v11
	v_readfirstlane_b32 s3, v12
	ds_read_b32 v16, v16 offset:7168
	s_waitcnt lgkmcnt(0)
	global_store_dword v15, v16, s[2:3]
.LBB974_219:
	s_or_b32 exec_lo, exec_lo, s1
	v_or_b32_e32 v15, 0x800, v0
	s_mov_b32 s1, exec_lo
	v_cmpx_ge_u32_e64 v15, v5
	s_xor_b32 s1, exec_lo, s1
	s_cbranch_execz .LBB974_225
; %bb.220:
	s_mov_b32 s2, exec_lo
	v_cmpx_ge_u32_e64 v15, v14
	s_xor_b32 s2, exec_lo, s2
	s_cbranch_execz .LBB974_222
; %bb.221:
	v_lshlrev_b32_e32 v16, 2, v0
	v_add_co_u32 v15, vcc_lo, v7, v15
	ds_read_b32 v17, v16 offset:8192
	v_add_co_ci_u32_e64 v16, null, 0, v13, vcc_lo
	v_lshlrev_b64 v[15:16], 2, v[15:16]
	v_sub_co_u32 v15, vcc_lo, s14, v15
	v_sub_co_ci_u32_e64 v16, null, s15, v16, vcc_lo
	s_waitcnt lgkmcnt(0)
	global_store_dword v[15:16], v17, off offset:-4
                                        ; implicit-def: $vgpr15
.LBB974_222:
	s_andn2_saveexec_b32 s2, s2
	s_cbranch_execz .LBB974_224
; %bb.223:
	v_lshlrev_b32_e32 v16, 2, v0
	v_lshlrev_b32_e32 v15, 2, v15
	v_readfirstlane_b32 s6, v9
	v_readfirstlane_b32 s7, v10
	ds_read_b32 v16, v16 offset:8192
	s_waitcnt lgkmcnt(0)
	global_store_dword v15, v16, s[6:7]
.LBB974_224:
	s_or_b32 exec_lo, exec_lo, s2
                                        ; implicit-def: $vgpr15
.LBB974_225:
	s_andn2_saveexec_b32 s1, s1
	s_cbranch_execz .LBB974_227
; %bb.226:
	v_lshlrev_b32_e32 v16, 2, v0
	v_lshlrev_b32_e32 v15, 2, v15
	v_readfirstlane_b32 s2, v11
	v_readfirstlane_b32 s3, v12
	ds_read_b32 v16, v16 offset:8192
	s_waitcnt lgkmcnt(0)
	global_store_dword v15, v16, s[2:3]
.LBB974_227:
	s_or_b32 exec_lo, exec_lo, s1
	v_or_b32_e32 v15, 0x900, v0
	s_mov_b32 s1, exec_lo
	v_cmpx_ge_u32_e64 v15, v5
	s_xor_b32 s1, exec_lo, s1
	s_cbranch_execz .LBB974_233
; %bb.228:
	s_mov_b32 s2, exec_lo
	v_cmpx_ge_u32_e64 v15, v14
	s_xor_b32 s2, exec_lo, s2
	s_cbranch_execz .LBB974_230
; %bb.229:
	v_lshlrev_b32_e32 v16, 2, v0
	v_add_co_u32 v15, vcc_lo, v7, v15
	ds_read_b32 v17, v16 offset:9216
	v_add_co_ci_u32_e64 v16, null, 0, v13, vcc_lo
	v_lshlrev_b64 v[15:16], 2, v[15:16]
	v_sub_co_u32 v15, vcc_lo, s14, v15
	v_sub_co_ci_u32_e64 v16, null, s15, v16, vcc_lo
	s_waitcnt lgkmcnt(0)
	global_store_dword v[15:16], v17, off offset:-4
                                        ; implicit-def: $vgpr15
.LBB974_230:
	s_andn2_saveexec_b32 s2, s2
	s_cbranch_execz .LBB974_232
; %bb.231:
	v_lshlrev_b32_e32 v16, 2, v0
	v_lshlrev_b32_e32 v15, 2, v15
	v_readfirstlane_b32 s6, v9
	v_readfirstlane_b32 s7, v10
	ds_read_b32 v16, v16 offset:9216
	s_waitcnt lgkmcnt(0)
	global_store_dword v15, v16, s[6:7]
.LBB974_232:
	s_or_b32 exec_lo, exec_lo, s2
                                        ; implicit-def: $vgpr15
.LBB974_233:
	s_andn2_saveexec_b32 s1, s1
	s_cbranch_execz .LBB974_235
; %bb.234:
	v_lshlrev_b32_e32 v16, 2, v0
	v_lshlrev_b32_e32 v15, 2, v15
	v_readfirstlane_b32 s2, v11
	v_readfirstlane_b32 s3, v12
	ds_read_b32 v16, v16 offset:9216
	s_waitcnt lgkmcnt(0)
	global_store_dword v15, v16, s[2:3]
.LBB974_235:
	s_or_b32 exec_lo, exec_lo, s1
	v_or_b32_e32 v15, 0xa00, v0
	s_mov_b32 s1, exec_lo
	v_cmpx_ge_u32_e64 v15, v5
	s_xor_b32 s1, exec_lo, s1
	s_cbranch_execz .LBB974_241
; %bb.236:
	s_mov_b32 s2, exec_lo
	v_cmpx_ge_u32_e64 v15, v14
	s_xor_b32 s2, exec_lo, s2
	s_cbranch_execz .LBB974_238
; %bb.237:
	v_lshlrev_b32_e32 v16, 2, v0
	v_add_co_u32 v15, vcc_lo, v7, v15
	ds_read_b32 v17, v16 offset:10240
	v_add_co_ci_u32_e64 v16, null, 0, v13, vcc_lo
	v_lshlrev_b64 v[15:16], 2, v[15:16]
	v_sub_co_u32 v15, vcc_lo, s14, v15
	v_sub_co_ci_u32_e64 v16, null, s15, v16, vcc_lo
	s_waitcnt lgkmcnt(0)
	global_store_dword v[15:16], v17, off offset:-4
                                        ; implicit-def: $vgpr15
.LBB974_238:
	s_andn2_saveexec_b32 s2, s2
	s_cbranch_execz .LBB974_240
; %bb.239:
	v_lshlrev_b32_e32 v16, 2, v0
	v_lshlrev_b32_e32 v15, 2, v15
	v_readfirstlane_b32 s6, v9
	v_readfirstlane_b32 s7, v10
	ds_read_b32 v16, v16 offset:10240
	s_waitcnt lgkmcnt(0)
	global_store_dword v15, v16, s[6:7]
.LBB974_240:
	s_or_b32 exec_lo, exec_lo, s2
                                        ; implicit-def: $vgpr15
.LBB974_241:
	s_andn2_saveexec_b32 s1, s1
	s_cbranch_execz .LBB974_243
; %bb.242:
	v_lshlrev_b32_e32 v16, 2, v0
	v_lshlrev_b32_e32 v15, 2, v15
	v_readfirstlane_b32 s2, v11
	v_readfirstlane_b32 s3, v12
	ds_read_b32 v16, v16 offset:10240
	s_waitcnt lgkmcnt(0)
	global_store_dword v15, v16, s[2:3]
.LBB974_243:
	s_or_b32 exec_lo, exec_lo, s1
	v_or_b32_e32 v15, 0xb00, v0
	s_mov_b32 s1, exec_lo
	v_cmpx_ge_u32_e64 v15, v5
	s_xor_b32 s1, exec_lo, s1
	s_cbranch_execz .LBB974_249
; %bb.244:
	s_mov_b32 s2, exec_lo
	v_cmpx_ge_u32_e64 v15, v14
	s_xor_b32 s2, exec_lo, s2
	s_cbranch_execz .LBB974_246
; %bb.245:
	v_lshlrev_b32_e32 v16, 2, v0
	v_add_co_u32 v15, vcc_lo, v7, v15
	ds_read_b32 v17, v16 offset:11264
	v_add_co_ci_u32_e64 v16, null, 0, v13, vcc_lo
	v_lshlrev_b64 v[15:16], 2, v[15:16]
	v_sub_co_u32 v15, vcc_lo, s14, v15
	v_sub_co_ci_u32_e64 v16, null, s15, v16, vcc_lo
	s_waitcnt lgkmcnt(0)
	global_store_dword v[15:16], v17, off offset:-4
                                        ; implicit-def: $vgpr15
.LBB974_246:
	s_andn2_saveexec_b32 s2, s2
	s_cbranch_execz .LBB974_248
; %bb.247:
	v_lshlrev_b32_e32 v16, 2, v0
	v_lshlrev_b32_e32 v15, 2, v15
	v_readfirstlane_b32 s6, v9
	v_readfirstlane_b32 s7, v10
	ds_read_b32 v16, v16 offset:11264
	s_waitcnt lgkmcnt(0)
	global_store_dword v15, v16, s[6:7]
.LBB974_248:
	s_or_b32 exec_lo, exec_lo, s2
                                        ; implicit-def: $vgpr15
.LBB974_249:
	s_andn2_saveexec_b32 s1, s1
	s_cbranch_execz .LBB974_251
; %bb.250:
	v_lshlrev_b32_e32 v16, 2, v0
	v_lshlrev_b32_e32 v15, 2, v15
	v_readfirstlane_b32 s2, v11
	v_readfirstlane_b32 s3, v12
	ds_read_b32 v16, v16 offset:11264
	s_waitcnt lgkmcnt(0)
	global_store_dword v15, v16, s[2:3]
.LBB974_251:
	s_or_b32 exec_lo, exec_lo, s1
	v_or_b32_e32 v15, 0xc00, v0
	s_mov_b32 s1, exec_lo
	v_cmpx_ge_u32_e64 v15, v5
	s_xor_b32 s1, exec_lo, s1
	s_cbranch_execz .LBB974_257
; %bb.252:
	s_mov_b32 s2, exec_lo
	v_cmpx_ge_u32_e64 v15, v14
	s_xor_b32 s2, exec_lo, s2
	s_cbranch_execz .LBB974_254
; %bb.253:
	v_lshlrev_b32_e32 v16, 2, v0
	v_add_co_u32 v15, vcc_lo, v7, v15
	ds_read_b32 v17, v16 offset:12288
	v_add_co_ci_u32_e64 v16, null, 0, v13, vcc_lo
	v_lshlrev_b64 v[15:16], 2, v[15:16]
	v_sub_co_u32 v15, vcc_lo, s14, v15
	v_sub_co_ci_u32_e64 v16, null, s15, v16, vcc_lo
	s_waitcnt lgkmcnt(0)
	global_store_dword v[15:16], v17, off offset:-4
                                        ; implicit-def: $vgpr15
.LBB974_254:
	s_andn2_saveexec_b32 s2, s2
	s_cbranch_execz .LBB974_256
; %bb.255:
	v_lshlrev_b32_e32 v16, 2, v0
	v_lshlrev_b32_e32 v15, 2, v15
	v_readfirstlane_b32 s6, v9
	v_readfirstlane_b32 s7, v10
	ds_read_b32 v16, v16 offset:12288
	s_waitcnt lgkmcnt(0)
	global_store_dword v15, v16, s[6:7]
.LBB974_256:
	s_or_b32 exec_lo, exec_lo, s2
                                        ; implicit-def: $vgpr15
.LBB974_257:
	s_andn2_saveexec_b32 s1, s1
	s_cbranch_execz .LBB974_259
; %bb.258:
	v_lshlrev_b32_e32 v16, 2, v0
	v_lshlrev_b32_e32 v15, 2, v15
	v_readfirstlane_b32 s2, v11
	v_readfirstlane_b32 s3, v12
	ds_read_b32 v16, v16 offset:12288
	s_waitcnt lgkmcnt(0)
	global_store_dword v15, v16, s[2:3]
.LBB974_259:
	s_or_b32 exec_lo, exec_lo, s1
	s_branch .LBB974_153
.LBB974_260:
	s_mov_b32 s1, exec_lo
	v_cmpx_gt_u32_e64 s5, v0
	s_cbranch_execz .LBB974_269
; %bb.261:
	s_mov_b32 s2, exec_lo
	v_cmpx_ge_u32_e64 v0, v5
	s_xor_b32 s2, exec_lo, s2
	s_cbranch_execz .LBB974_267
; %bb.262:
	s_mov_b32 s3, exec_lo
	v_cmpx_ge_u32_e64 v0, v14
	s_xor_b32 s3, exec_lo, s3
	s_cbranch_execz .LBB974_264
; %bb.263:
	v_lshlrev_b32_e32 v15, 2, v0
	ds_read_b32 v17, v15
	v_add_co_u32 v15, vcc_lo, v7, v0
	v_add_co_ci_u32_e64 v16, null, 0, v13, vcc_lo
	v_lshlrev_b64 v[15:16], 2, v[15:16]
	v_sub_co_u32 v15, vcc_lo, s14, v15
	v_sub_co_ci_u32_e64 v16, null, s15, v16, vcc_lo
	s_waitcnt lgkmcnt(0)
	global_store_dword v[15:16], v17, off offset:-4
.LBB974_264:
	s_andn2_saveexec_b32 s3, s3
	s_cbranch_execz .LBB974_266
; %bb.265:
	v_lshlrev_b32_e32 v15, 2, v0
	v_readfirstlane_b32 s6, v9
	v_readfirstlane_b32 s7, v10
	ds_read_b32 v16, v15
	s_waitcnt lgkmcnt(0)
	global_store_dword v15, v16, s[6:7]
.LBB974_266:
	s_or_b32 exec_lo, exec_lo, s3
.LBB974_267:
	s_andn2_saveexec_b32 s2, s2
	s_cbranch_execz .LBB974_269
; %bb.268:
	v_lshlrev_b32_e32 v15, 2, v0
	v_readfirstlane_b32 s2, v11
	v_readfirstlane_b32 s3, v12
	ds_read_b32 v16, v15
	s_waitcnt lgkmcnt(0)
	global_store_dword v15, v16, s[2:3]
.LBB974_269:
	s_or_b32 exec_lo, exec_lo, s1
	v_or_b32_e32 v15, 0x100, v0
	s_mov_b32 s1, exec_lo
	v_cmpx_gt_u32_e64 s5, v15
	s_cbranch_execz .LBB974_278
; %bb.270:
	s_mov_b32 s2, exec_lo
	v_cmpx_ge_u32_e64 v15, v5
	s_xor_b32 s2, exec_lo, s2
	s_cbranch_execz .LBB974_276
; %bb.271:
	s_mov_b32 s3, exec_lo
	v_cmpx_ge_u32_e64 v15, v14
	s_xor_b32 s3, exec_lo, s3
	s_cbranch_execz .LBB974_273
; %bb.272:
	v_lshlrev_b32_e32 v15, 2, v0
	ds_read_b32 v17, v15 offset:1024
	v_add_co_u32 v15, vcc_lo, v7, v0
	v_add_co_ci_u32_e64 v16, null, 0, v13, vcc_lo
	v_lshlrev_b64 v[15:16], 2, v[15:16]
	v_sub_co_u32 v15, vcc_lo, s14, v15
	v_sub_co_ci_u32_e64 v16, null, s15, v16, vcc_lo
	s_waitcnt lgkmcnt(0)
	global_store_dword v[15:16], v17, off offset:-1028
.LBB974_273:
	s_andn2_saveexec_b32 s3, s3
	s_cbranch_execz .LBB974_275
; %bb.274:
	v_lshlrev_b32_e32 v15, 2, v0
	v_readfirstlane_b32 s6, v9
	v_readfirstlane_b32 s7, v10
	ds_read_b32 v16, v15 offset:1024
	s_waitcnt lgkmcnt(0)
	global_store_dword v15, v16, s[6:7] offset:1024
.LBB974_275:
	s_or_b32 exec_lo, exec_lo, s3
.LBB974_276:
	s_andn2_saveexec_b32 s2, s2
	s_cbranch_execz .LBB974_278
; %bb.277:
	v_lshlrev_b32_e32 v15, 2, v0
	v_readfirstlane_b32 s2, v11
	v_readfirstlane_b32 s3, v12
	ds_read_b32 v16, v15 offset:1024
	s_waitcnt lgkmcnt(0)
	global_store_dword v15, v16, s[2:3] offset:1024
.LBB974_278:
	s_or_b32 exec_lo, exec_lo, s1
	v_or_b32_e32 v15, 0x200, v0
	s_mov_b32 s1, exec_lo
	v_cmpx_gt_u32_e64 s5, v15
	s_cbranch_execz .LBB974_287
; %bb.279:
	s_mov_b32 s2, exec_lo
	v_cmpx_ge_u32_e64 v15, v5
	s_xor_b32 s2, exec_lo, s2
	s_cbranch_execz .LBB974_285
; %bb.280:
	s_mov_b32 s3, exec_lo
	v_cmpx_ge_u32_e64 v15, v14
	s_xor_b32 s3, exec_lo, s3
	s_cbranch_execz .LBB974_282
; %bb.281:
	v_lshlrev_b32_e32 v17, 2, v0
	v_add_co_u32 v15, vcc_lo, v7, v0
	v_add_co_ci_u32_e64 v16, null, 0, v13, vcc_lo
	ds_read_b32 v17, v17 offset:2048
	v_lshlrev_b64 v[15:16], 2, v[15:16]
	v_sub_co_u32 v15, vcc_lo, s14, v15
	v_sub_co_ci_u32_e64 v16, null, s15, v16, vcc_lo
	v_add_co_u32 v15, vcc_lo, 0xfffff800, v15
	v_add_co_ci_u32_e64 v16, null, -1, v16, vcc_lo
	s_waitcnt lgkmcnt(0)
	global_store_dword v[15:16], v17, off offset:-4
                                        ; implicit-def: $vgpr15
.LBB974_282:
	s_andn2_saveexec_b32 s3, s3
	s_cbranch_execz .LBB974_284
; %bb.283:
	v_lshlrev_b32_e32 v16, 2, v0
	v_lshlrev_b32_e32 v15, 2, v15
	v_readfirstlane_b32 s6, v9
	v_readfirstlane_b32 s7, v10
	ds_read_b32 v16, v16 offset:2048
	s_waitcnt lgkmcnt(0)
	global_store_dword v15, v16, s[6:7]
.LBB974_284:
	s_or_b32 exec_lo, exec_lo, s3
                                        ; implicit-def: $vgpr15
.LBB974_285:
	s_andn2_saveexec_b32 s2, s2
	s_cbranch_execz .LBB974_287
; %bb.286:
	v_lshlrev_b32_e32 v16, 2, v0
	v_lshlrev_b32_e32 v15, 2, v15
	v_readfirstlane_b32 s2, v11
	v_readfirstlane_b32 s3, v12
	ds_read_b32 v16, v16 offset:2048
	s_waitcnt lgkmcnt(0)
	global_store_dword v15, v16, s[2:3]
.LBB974_287:
	s_or_b32 exec_lo, exec_lo, s1
	v_or_b32_e32 v15, 0x300, v0
	s_mov_b32 s1, exec_lo
	v_cmpx_gt_u32_e64 s5, v15
	s_cbranch_execz .LBB974_296
; %bb.288:
	s_mov_b32 s2, exec_lo
	v_cmpx_ge_u32_e64 v15, v5
	s_xor_b32 s2, exec_lo, s2
	s_cbranch_execz .LBB974_294
; %bb.289:
	s_mov_b32 s3, exec_lo
	v_cmpx_ge_u32_e64 v15, v14
	s_xor_b32 s3, exec_lo, s3
	s_cbranch_execz .LBB974_291
; %bb.290:
	v_lshlrev_b32_e32 v16, 2, v0
	v_add_co_u32 v15, vcc_lo, v7, v15
	ds_read_b32 v17, v16 offset:3072
	v_add_co_ci_u32_e64 v16, null, 0, v13, vcc_lo
	v_lshlrev_b64 v[15:16], 2, v[15:16]
	v_sub_co_u32 v15, vcc_lo, s14, v15
	v_sub_co_ci_u32_e64 v16, null, s15, v16, vcc_lo
	s_waitcnt lgkmcnt(0)
	global_store_dword v[15:16], v17, off offset:-4
                                        ; implicit-def: $vgpr15
.LBB974_291:
	s_andn2_saveexec_b32 s3, s3
	s_cbranch_execz .LBB974_293
; %bb.292:
	v_lshlrev_b32_e32 v16, 2, v0
	v_lshlrev_b32_e32 v15, 2, v15
	v_readfirstlane_b32 s6, v9
	v_readfirstlane_b32 s7, v10
	ds_read_b32 v16, v16 offset:3072
	s_waitcnt lgkmcnt(0)
	global_store_dword v15, v16, s[6:7]
.LBB974_293:
	s_or_b32 exec_lo, exec_lo, s3
                                        ; implicit-def: $vgpr15
.LBB974_294:
	s_andn2_saveexec_b32 s2, s2
	s_cbranch_execz .LBB974_296
; %bb.295:
	v_lshlrev_b32_e32 v16, 2, v0
	v_lshlrev_b32_e32 v15, 2, v15
	v_readfirstlane_b32 s2, v11
	v_readfirstlane_b32 s3, v12
	ds_read_b32 v16, v16 offset:3072
	s_waitcnt lgkmcnt(0)
	global_store_dword v15, v16, s[2:3]
.LBB974_296:
	s_or_b32 exec_lo, exec_lo, s1
	v_or_b32_e32 v15, 0x400, v0
	s_mov_b32 s1, exec_lo
	v_cmpx_gt_u32_e64 s5, v15
	s_cbranch_execz .LBB974_305
; %bb.297:
	s_mov_b32 s2, exec_lo
	v_cmpx_ge_u32_e64 v15, v5
	s_xor_b32 s2, exec_lo, s2
	s_cbranch_execz .LBB974_303
; %bb.298:
	s_mov_b32 s3, exec_lo
	v_cmpx_ge_u32_e64 v15, v14
	s_xor_b32 s3, exec_lo, s3
	s_cbranch_execz .LBB974_300
; %bb.299:
	v_lshlrev_b32_e32 v16, 2, v0
	v_add_co_u32 v15, vcc_lo, v7, v15
	ds_read_b32 v17, v16 offset:4096
	v_add_co_ci_u32_e64 v16, null, 0, v13, vcc_lo
	v_lshlrev_b64 v[15:16], 2, v[15:16]
	v_sub_co_u32 v15, vcc_lo, s14, v15
	v_sub_co_ci_u32_e64 v16, null, s15, v16, vcc_lo
	s_waitcnt lgkmcnt(0)
	global_store_dword v[15:16], v17, off offset:-4
                                        ; implicit-def: $vgpr15
.LBB974_300:
	s_andn2_saveexec_b32 s3, s3
	s_cbranch_execz .LBB974_302
; %bb.301:
	v_lshlrev_b32_e32 v16, 2, v0
	v_lshlrev_b32_e32 v15, 2, v15
	v_readfirstlane_b32 s6, v9
	v_readfirstlane_b32 s7, v10
	ds_read_b32 v16, v16 offset:4096
	s_waitcnt lgkmcnt(0)
	global_store_dword v15, v16, s[6:7]
.LBB974_302:
	s_or_b32 exec_lo, exec_lo, s3
                                        ; implicit-def: $vgpr15
.LBB974_303:
	s_andn2_saveexec_b32 s2, s2
	s_cbranch_execz .LBB974_305
; %bb.304:
	v_lshlrev_b32_e32 v16, 2, v0
	v_lshlrev_b32_e32 v15, 2, v15
	v_readfirstlane_b32 s2, v11
	v_readfirstlane_b32 s3, v12
	ds_read_b32 v16, v16 offset:4096
	s_waitcnt lgkmcnt(0)
	global_store_dword v15, v16, s[2:3]
.LBB974_305:
	;; [unrolled: 52-line block ×9, first 2 shown]
	s_or_b32 exec_lo, exec_lo, s1
	v_or_b32_e32 v15, 0xc00, v0
	s_mov_b32 s1, exec_lo
	v_cmpx_gt_u32_e64 s5, v15
	s_cbranch_execz .LBB974_377
; %bb.369:
	s_mov_b32 s2, exec_lo
	v_cmpx_ge_u32_e64 v15, v5
	s_xor_b32 s2, exec_lo, s2
	s_cbranch_execz .LBB974_375
; %bb.370:
	s_mov_b32 s3, exec_lo
	v_cmpx_ge_u32_e64 v15, v14
	s_xor_b32 s3, exec_lo, s3
	s_cbranch_execz .LBB974_372
; %bb.371:
	v_lshlrev_b32_e32 v0, 2, v0
	v_add_co_u32 v9, vcc_lo, v7, v15
	v_add_co_ci_u32_e64 v10, null, 0, v13, vcc_lo
	ds_read_b32 v0, v0 offset:12288
                                        ; implicit-def: $vgpr15
	v_lshlrev_b64 v[9:10], 2, v[9:10]
	v_sub_co_u32 v9, vcc_lo, s14, v9
	v_sub_co_ci_u32_e64 v10, null, s15, v10, vcc_lo
	s_waitcnt lgkmcnt(0)
	global_store_dword v[9:10], v0, off offset:-4
                                        ; implicit-def: $vgpr0
                                        ; implicit-def: $vgpr9_vgpr10
.LBB974_372:
	s_andn2_saveexec_b32 s3, s3
	s_cbranch_execz .LBB974_374
; %bb.373:
	v_lshlrev_b32_e32 v0, 2, v0
	v_lshlrev_b32_e32 v7, 2, v15
	v_readfirstlane_b32 s4, v9
	v_readfirstlane_b32 s5, v10
	ds_read_b32 v0, v0 offset:12288
	s_waitcnt lgkmcnt(0)
	global_store_dword v7, v0, s[4:5]
.LBB974_374:
	s_or_b32 exec_lo, exec_lo, s3
                                        ; implicit-def: $vgpr0
                                        ; implicit-def: $vgpr15
                                        ; implicit-def: $vgpr11_vgpr12
.LBB974_375:
	s_andn2_saveexec_b32 s2, s2
	s_cbranch_execz .LBB974_377
; %bb.376:
	v_lshlrev_b32_e32 v0, 2, v0
	v_lshlrev_b32_e32 v7, 2, v15
	v_readfirstlane_b32 s2, v11
	v_readfirstlane_b32 s3, v12
	ds_read_b32 v0, v0 offset:12288
	s_waitcnt lgkmcnt(0)
	global_store_dword v7, v0, s[2:3]
.LBB974_377:
	s_or_b32 exec_lo, exec_lo, s1
	s_and_b32 s0, s0, s26
	s_and_saveexec_b32 s1, s0
	s_cbranch_execz .LBB974_154
.LBB974_378:
	v_add_co_u32 v0, vcc_lo, v3, v6
	v_add_co_ci_u32_e64 v4, null, 0, v4, vcc_lo
	v_mov_b32_e32 v6, 0
	v_add_co_u32 v3, vcc_lo, v0, v8
	v_add_co_ci_u32_e64 v4, null, 0, v4, vcc_lo
	v_add_co_u32 v1, vcc_lo, v1, v5
	v_add_co_ci_u32_e64 v2, null, 0, v2, vcc_lo
	global_store_dwordx4 v6, v[1:4], s[24:25]
	s_endpgm
.LBB974_379:
	s_add_i32 s8, s27, 32
	s_mov_b32 s9, 0
	v_add_nc_u32_e32 v10, v8, v6
	s_lshl_b64 s[8:9], s[8:9], 4
	v_add_nc_u32_e32 v9, v7, v5
	s_add_u32 s8, s36, s8
	s_addc_u32 s9, s37, s9
	v_mov_b32_e32 v11, 2
	v_mov_b32_e32 v28, s9
	;; [unrolled: 1-line block ×4, first 2 shown]
	;;#ASMSTART
	global_store_dwordx4 v[27:28], v[9:12] off	
s_waitcnt vmcnt(0)
	;;#ASMEND
	s_or_b32 exec_lo, exec_lo, s6
	s_and_saveexec_b32 s6, s3
	s_cbranch_execz .LBB974_139
.LBB974_380:
	v_mov_b32_e32 v9, 0
	ds_write_b128 v9, v[5:8] offset:13312
	s_or_b32 exec_lo, exec_lo, s6
	s_and_b32 exec_lo, exec_lo, s0
	s_cbranch_execnz .LBB974_140
	s_branch .LBB974_141
	.section	.rodata,"a",@progbits
	.p2align	6, 0x0
	.amdhsa_kernel _ZN7rocprim17ROCPRIM_400000_NS6detail17trampoline_kernelINS0_13select_configILj256ELj13ELNS0_17block_load_methodE3ELS4_3ELS4_3ELNS0_20block_scan_algorithmE0ELj4294967295EEENS1_25partition_config_selectorILNS1_17partition_subalgoE4EjNS0_10empty_typeEbEEZZNS1_14partition_implILS8_4ELb0ES6_15HIP_vector_typeIjLj2EENS0_17counting_iteratorIjlEEPS9_SG_NS0_5tupleIJPjSI_NS0_16reverse_iteratorISI_EEEEENSH_IJSG_SG_SG_EEES9_SI_JZNS1_25segmented_radix_sort_implINS0_14default_configELb0EPKsPsPKlPlN2at6native12_GLOBAL__N_18offset_tEEE10hipError_tPvRmT1_PNSt15iterator_traitsIS12_E10value_typeET2_T3_PNS13_IS18_E10value_typeET4_jRbjT5_S1E_jjP12ihipStream_tbEUljE_ZNSN_ISO_Lb0ESQ_SR_ST_SU_SY_EESZ_S10_S11_S12_S16_S17_S18_S1B_S1C_jS1D_jS1E_S1E_jjS1G_bEUljE0_EEESZ_S10_S11_S18_S1C_S1E_T6_T7_T9_mT8_S1G_bDpT10_ENKUlT_T0_E_clISt17integral_constantIbLb0EES1T_IbLb1EEEEDaS1P_S1Q_EUlS1P_E_NS1_11comp_targetILNS1_3genE8ELNS1_11target_archE1030ELNS1_3gpuE2ELNS1_3repE0EEENS1_30default_config_static_selectorELNS0_4arch9wavefront6targetE0EEEvS12_
		.amdhsa_group_segment_fixed_size 13328
		.amdhsa_private_segment_fixed_size 0
		.amdhsa_kernarg_size 184
		.amdhsa_user_sgpr_count 6
		.amdhsa_user_sgpr_private_segment_buffer 1
		.amdhsa_user_sgpr_dispatch_ptr 0
		.amdhsa_user_sgpr_queue_ptr 0
		.amdhsa_user_sgpr_kernarg_segment_ptr 1
		.amdhsa_user_sgpr_dispatch_id 0
		.amdhsa_user_sgpr_flat_scratch_init 0
		.amdhsa_user_sgpr_private_segment_size 0
		.amdhsa_wavefront_size32 1
		.amdhsa_uses_dynamic_stack 0
		.amdhsa_system_sgpr_private_segment_wavefront_offset 0
		.amdhsa_system_sgpr_workgroup_id_x 1
		.amdhsa_system_sgpr_workgroup_id_y 0
		.amdhsa_system_sgpr_workgroup_id_z 0
		.amdhsa_system_sgpr_workgroup_info 0
		.amdhsa_system_vgpr_workitem_id 0
		.amdhsa_next_free_vgpr 87
		.amdhsa_next_free_sgpr 55
		.amdhsa_reserve_vcc 1
		.amdhsa_reserve_flat_scratch 0
		.amdhsa_float_round_mode_32 0
		.amdhsa_float_round_mode_16_64 0
		.amdhsa_float_denorm_mode_32 3
		.amdhsa_float_denorm_mode_16_64 3
		.amdhsa_dx10_clamp 1
		.amdhsa_ieee_mode 1
		.amdhsa_fp16_overflow 0
		.amdhsa_workgroup_processor_mode 1
		.amdhsa_memory_ordered 1
		.amdhsa_forward_progress 1
		.amdhsa_shared_vgpr_count 0
		.amdhsa_exception_fp_ieee_invalid_op 0
		.amdhsa_exception_fp_denorm_src 0
		.amdhsa_exception_fp_ieee_div_zero 0
		.amdhsa_exception_fp_ieee_overflow 0
		.amdhsa_exception_fp_ieee_underflow 0
		.amdhsa_exception_fp_ieee_inexact 0
		.amdhsa_exception_int_div_zero 0
	.end_amdhsa_kernel
	.section	.text._ZN7rocprim17ROCPRIM_400000_NS6detail17trampoline_kernelINS0_13select_configILj256ELj13ELNS0_17block_load_methodE3ELS4_3ELS4_3ELNS0_20block_scan_algorithmE0ELj4294967295EEENS1_25partition_config_selectorILNS1_17partition_subalgoE4EjNS0_10empty_typeEbEEZZNS1_14partition_implILS8_4ELb0ES6_15HIP_vector_typeIjLj2EENS0_17counting_iteratorIjlEEPS9_SG_NS0_5tupleIJPjSI_NS0_16reverse_iteratorISI_EEEEENSH_IJSG_SG_SG_EEES9_SI_JZNS1_25segmented_radix_sort_implINS0_14default_configELb0EPKsPsPKlPlN2at6native12_GLOBAL__N_18offset_tEEE10hipError_tPvRmT1_PNSt15iterator_traitsIS12_E10value_typeET2_T3_PNS13_IS18_E10value_typeET4_jRbjT5_S1E_jjP12ihipStream_tbEUljE_ZNSN_ISO_Lb0ESQ_SR_ST_SU_SY_EESZ_S10_S11_S12_S16_S17_S18_S1B_S1C_jS1D_jS1E_S1E_jjS1G_bEUljE0_EEESZ_S10_S11_S18_S1C_S1E_T6_T7_T9_mT8_S1G_bDpT10_ENKUlT_T0_E_clISt17integral_constantIbLb0EES1T_IbLb1EEEEDaS1P_S1Q_EUlS1P_E_NS1_11comp_targetILNS1_3genE8ELNS1_11target_archE1030ELNS1_3gpuE2ELNS1_3repE0EEENS1_30default_config_static_selectorELNS0_4arch9wavefront6targetE0EEEvS12_,"axG",@progbits,_ZN7rocprim17ROCPRIM_400000_NS6detail17trampoline_kernelINS0_13select_configILj256ELj13ELNS0_17block_load_methodE3ELS4_3ELS4_3ELNS0_20block_scan_algorithmE0ELj4294967295EEENS1_25partition_config_selectorILNS1_17partition_subalgoE4EjNS0_10empty_typeEbEEZZNS1_14partition_implILS8_4ELb0ES6_15HIP_vector_typeIjLj2EENS0_17counting_iteratorIjlEEPS9_SG_NS0_5tupleIJPjSI_NS0_16reverse_iteratorISI_EEEEENSH_IJSG_SG_SG_EEES9_SI_JZNS1_25segmented_radix_sort_implINS0_14default_configELb0EPKsPsPKlPlN2at6native12_GLOBAL__N_18offset_tEEE10hipError_tPvRmT1_PNSt15iterator_traitsIS12_E10value_typeET2_T3_PNS13_IS18_E10value_typeET4_jRbjT5_S1E_jjP12ihipStream_tbEUljE_ZNSN_ISO_Lb0ESQ_SR_ST_SU_SY_EESZ_S10_S11_S12_S16_S17_S18_S1B_S1C_jS1D_jS1E_S1E_jjS1G_bEUljE0_EEESZ_S10_S11_S18_S1C_S1E_T6_T7_T9_mT8_S1G_bDpT10_ENKUlT_T0_E_clISt17integral_constantIbLb0EES1T_IbLb1EEEEDaS1P_S1Q_EUlS1P_E_NS1_11comp_targetILNS1_3genE8ELNS1_11target_archE1030ELNS1_3gpuE2ELNS1_3repE0EEENS1_30default_config_static_selectorELNS0_4arch9wavefront6targetE0EEEvS12_,comdat
.Lfunc_end974:
	.size	_ZN7rocprim17ROCPRIM_400000_NS6detail17trampoline_kernelINS0_13select_configILj256ELj13ELNS0_17block_load_methodE3ELS4_3ELS4_3ELNS0_20block_scan_algorithmE0ELj4294967295EEENS1_25partition_config_selectorILNS1_17partition_subalgoE4EjNS0_10empty_typeEbEEZZNS1_14partition_implILS8_4ELb0ES6_15HIP_vector_typeIjLj2EENS0_17counting_iteratorIjlEEPS9_SG_NS0_5tupleIJPjSI_NS0_16reverse_iteratorISI_EEEEENSH_IJSG_SG_SG_EEES9_SI_JZNS1_25segmented_radix_sort_implINS0_14default_configELb0EPKsPsPKlPlN2at6native12_GLOBAL__N_18offset_tEEE10hipError_tPvRmT1_PNSt15iterator_traitsIS12_E10value_typeET2_T3_PNS13_IS18_E10value_typeET4_jRbjT5_S1E_jjP12ihipStream_tbEUljE_ZNSN_ISO_Lb0ESQ_SR_ST_SU_SY_EESZ_S10_S11_S12_S16_S17_S18_S1B_S1C_jS1D_jS1E_S1E_jjS1G_bEUljE0_EEESZ_S10_S11_S18_S1C_S1E_T6_T7_T9_mT8_S1G_bDpT10_ENKUlT_T0_E_clISt17integral_constantIbLb0EES1T_IbLb1EEEEDaS1P_S1Q_EUlS1P_E_NS1_11comp_targetILNS1_3genE8ELNS1_11target_archE1030ELNS1_3gpuE2ELNS1_3repE0EEENS1_30default_config_static_selectorELNS0_4arch9wavefront6targetE0EEEvS12_, .Lfunc_end974-_ZN7rocprim17ROCPRIM_400000_NS6detail17trampoline_kernelINS0_13select_configILj256ELj13ELNS0_17block_load_methodE3ELS4_3ELS4_3ELNS0_20block_scan_algorithmE0ELj4294967295EEENS1_25partition_config_selectorILNS1_17partition_subalgoE4EjNS0_10empty_typeEbEEZZNS1_14partition_implILS8_4ELb0ES6_15HIP_vector_typeIjLj2EENS0_17counting_iteratorIjlEEPS9_SG_NS0_5tupleIJPjSI_NS0_16reverse_iteratorISI_EEEEENSH_IJSG_SG_SG_EEES9_SI_JZNS1_25segmented_radix_sort_implINS0_14default_configELb0EPKsPsPKlPlN2at6native12_GLOBAL__N_18offset_tEEE10hipError_tPvRmT1_PNSt15iterator_traitsIS12_E10value_typeET2_T3_PNS13_IS18_E10value_typeET4_jRbjT5_S1E_jjP12ihipStream_tbEUljE_ZNSN_ISO_Lb0ESQ_SR_ST_SU_SY_EESZ_S10_S11_S12_S16_S17_S18_S1B_S1C_jS1D_jS1E_S1E_jjS1G_bEUljE0_EEESZ_S10_S11_S18_S1C_S1E_T6_T7_T9_mT8_S1G_bDpT10_ENKUlT_T0_E_clISt17integral_constantIbLb0EES1T_IbLb1EEEEDaS1P_S1Q_EUlS1P_E_NS1_11comp_targetILNS1_3genE8ELNS1_11target_archE1030ELNS1_3gpuE2ELNS1_3repE0EEENS1_30default_config_static_selectorELNS0_4arch9wavefront6targetE0EEEvS12_
                                        ; -- End function
	.set _ZN7rocprim17ROCPRIM_400000_NS6detail17trampoline_kernelINS0_13select_configILj256ELj13ELNS0_17block_load_methodE3ELS4_3ELS4_3ELNS0_20block_scan_algorithmE0ELj4294967295EEENS1_25partition_config_selectorILNS1_17partition_subalgoE4EjNS0_10empty_typeEbEEZZNS1_14partition_implILS8_4ELb0ES6_15HIP_vector_typeIjLj2EENS0_17counting_iteratorIjlEEPS9_SG_NS0_5tupleIJPjSI_NS0_16reverse_iteratorISI_EEEEENSH_IJSG_SG_SG_EEES9_SI_JZNS1_25segmented_radix_sort_implINS0_14default_configELb0EPKsPsPKlPlN2at6native12_GLOBAL__N_18offset_tEEE10hipError_tPvRmT1_PNSt15iterator_traitsIS12_E10value_typeET2_T3_PNS13_IS18_E10value_typeET4_jRbjT5_S1E_jjP12ihipStream_tbEUljE_ZNSN_ISO_Lb0ESQ_SR_ST_SU_SY_EESZ_S10_S11_S12_S16_S17_S18_S1B_S1C_jS1D_jS1E_S1E_jjS1G_bEUljE0_EEESZ_S10_S11_S18_S1C_S1E_T6_T7_T9_mT8_S1G_bDpT10_ENKUlT_T0_E_clISt17integral_constantIbLb0EES1T_IbLb1EEEEDaS1P_S1Q_EUlS1P_E_NS1_11comp_targetILNS1_3genE8ELNS1_11target_archE1030ELNS1_3gpuE2ELNS1_3repE0EEENS1_30default_config_static_selectorELNS0_4arch9wavefront6targetE0EEEvS12_.num_vgpr, 87
	.set _ZN7rocprim17ROCPRIM_400000_NS6detail17trampoline_kernelINS0_13select_configILj256ELj13ELNS0_17block_load_methodE3ELS4_3ELS4_3ELNS0_20block_scan_algorithmE0ELj4294967295EEENS1_25partition_config_selectorILNS1_17partition_subalgoE4EjNS0_10empty_typeEbEEZZNS1_14partition_implILS8_4ELb0ES6_15HIP_vector_typeIjLj2EENS0_17counting_iteratorIjlEEPS9_SG_NS0_5tupleIJPjSI_NS0_16reverse_iteratorISI_EEEEENSH_IJSG_SG_SG_EEES9_SI_JZNS1_25segmented_radix_sort_implINS0_14default_configELb0EPKsPsPKlPlN2at6native12_GLOBAL__N_18offset_tEEE10hipError_tPvRmT1_PNSt15iterator_traitsIS12_E10value_typeET2_T3_PNS13_IS18_E10value_typeET4_jRbjT5_S1E_jjP12ihipStream_tbEUljE_ZNSN_ISO_Lb0ESQ_SR_ST_SU_SY_EESZ_S10_S11_S12_S16_S17_S18_S1B_S1C_jS1D_jS1E_S1E_jjS1G_bEUljE0_EEESZ_S10_S11_S18_S1C_S1E_T6_T7_T9_mT8_S1G_bDpT10_ENKUlT_T0_E_clISt17integral_constantIbLb0EES1T_IbLb1EEEEDaS1P_S1Q_EUlS1P_E_NS1_11comp_targetILNS1_3genE8ELNS1_11target_archE1030ELNS1_3gpuE2ELNS1_3repE0EEENS1_30default_config_static_selectorELNS0_4arch9wavefront6targetE0EEEvS12_.num_agpr, 0
	.set _ZN7rocprim17ROCPRIM_400000_NS6detail17trampoline_kernelINS0_13select_configILj256ELj13ELNS0_17block_load_methodE3ELS4_3ELS4_3ELNS0_20block_scan_algorithmE0ELj4294967295EEENS1_25partition_config_selectorILNS1_17partition_subalgoE4EjNS0_10empty_typeEbEEZZNS1_14partition_implILS8_4ELb0ES6_15HIP_vector_typeIjLj2EENS0_17counting_iteratorIjlEEPS9_SG_NS0_5tupleIJPjSI_NS0_16reverse_iteratorISI_EEEEENSH_IJSG_SG_SG_EEES9_SI_JZNS1_25segmented_radix_sort_implINS0_14default_configELb0EPKsPsPKlPlN2at6native12_GLOBAL__N_18offset_tEEE10hipError_tPvRmT1_PNSt15iterator_traitsIS12_E10value_typeET2_T3_PNS13_IS18_E10value_typeET4_jRbjT5_S1E_jjP12ihipStream_tbEUljE_ZNSN_ISO_Lb0ESQ_SR_ST_SU_SY_EESZ_S10_S11_S12_S16_S17_S18_S1B_S1C_jS1D_jS1E_S1E_jjS1G_bEUljE0_EEESZ_S10_S11_S18_S1C_S1E_T6_T7_T9_mT8_S1G_bDpT10_ENKUlT_T0_E_clISt17integral_constantIbLb0EES1T_IbLb1EEEEDaS1P_S1Q_EUlS1P_E_NS1_11comp_targetILNS1_3genE8ELNS1_11target_archE1030ELNS1_3gpuE2ELNS1_3repE0EEENS1_30default_config_static_selectorELNS0_4arch9wavefront6targetE0EEEvS12_.numbered_sgpr, 55
	.set _ZN7rocprim17ROCPRIM_400000_NS6detail17trampoline_kernelINS0_13select_configILj256ELj13ELNS0_17block_load_methodE3ELS4_3ELS4_3ELNS0_20block_scan_algorithmE0ELj4294967295EEENS1_25partition_config_selectorILNS1_17partition_subalgoE4EjNS0_10empty_typeEbEEZZNS1_14partition_implILS8_4ELb0ES6_15HIP_vector_typeIjLj2EENS0_17counting_iteratorIjlEEPS9_SG_NS0_5tupleIJPjSI_NS0_16reverse_iteratorISI_EEEEENSH_IJSG_SG_SG_EEES9_SI_JZNS1_25segmented_radix_sort_implINS0_14default_configELb0EPKsPsPKlPlN2at6native12_GLOBAL__N_18offset_tEEE10hipError_tPvRmT1_PNSt15iterator_traitsIS12_E10value_typeET2_T3_PNS13_IS18_E10value_typeET4_jRbjT5_S1E_jjP12ihipStream_tbEUljE_ZNSN_ISO_Lb0ESQ_SR_ST_SU_SY_EESZ_S10_S11_S12_S16_S17_S18_S1B_S1C_jS1D_jS1E_S1E_jjS1G_bEUljE0_EEESZ_S10_S11_S18_S1C_S1E_T6_T7_T9_mT8_S1G_bDpT10_ENKUlT_T0_E_clISt17integral_constantIbLb0EES1T_IbLb1EEEEDaS1P_S1Q_EUlS1P_E_NS1_11comp_targetILNS1_3genE8ELNS1_11target_archE1030ELNS1_3gpuE2ELNS1_3repE0EEENS1_30default_config_static_selectorELNS0_4arch9wavefront6targetE0EEEvS12_.num_named_barrier, 0
	.set _ZN7rocprim17ROCPRIM_400000_NS6detail17trampoline_kernelINS0_13select_configILj256ELj13ELNS0_17block_load_methodE3ELS4_3ELS4_3ELNS0_20block_scan_algorithmE0ELj4294967295EEENS1_25partition_config_selectorILNS1_17partition_subalgoE4EjNS0_10empty_typeEbEEZZNS1_14partition_implILS8_4ELb0ES6_15HIP_vector_typeIjLj2EENS0_17counting_iteratorIjlEEPS9_SG_NS0_5tupleIJPjSI_NS0_16reverse_iteratorISI_EEEEENSH_IJSG_SG_SG_EEES9_SI_JZNS1_25segmented_radix_sort_implINS0_14default_configELb0EPKsPsPKlPlN2at6native12_GLOBAL__N_18offset_tEEE10hipError_tPvRmT1_PNSt15iterator_traitsIS12_E10value_typeET2_T3_PNS13_IS18_E10value_typeET4_jRbjT5_S1E_jjP12ihipStream_tbEUljE_ZNSN_ISO_Lb0ESQ_SR_ST_SU_SY_EESZ_S10_S11_S12_S16_S17_S18_S1B_S1C_jS1D_jS1E_S1E_jjS1G_bEUljE0_EEESZ_S10_S11_S18_S1C_S1E_T6_T7_T9_mT8_S1G_bDpT10_ENKUlT_T0_E_clISt17integral_constantIbLb0EES1T_IbLb1EEEEDaS1P_S1Q_EUlS1P_E_NS1_11comp_targetILNS1_3genE8ELNS1_11target_archE1030ELNS1_3gpuE2ELNS1_3repE0EEENS1_30default_config_static_selectorELNS0_4arch9wavefront6targetE0EEEvS12_.private_seg_size, 0
	.set _ZN7rocprim17ROCPRIM_400000_NS6detail17trampoline_kernelINS0_13select_configILj256ELj13ELNS0_17block_load_methodE3ELS4_3ELS4_3ELNS0_20block_scan_algorithmE0ELj4294967295EEENS1_25partition_config_selectorILNS1_17partition_subalgoE4EjNS0_10empty_typeEbEEZZNS1_14partition_implILS8_4ELb0ES6_15HIP_vector_typeIjLj2EENS0_17counting_iteratorIjlEEPS9_SG_NS0_5tupleIJPjSI_NS0_16reverse_iteratorISI_EEEEENSH_IJSG_SG_SG_EEES9_SI_JZNS1_25segmented_radix_sort_implINS0_14default_configELb0EPKsPsPKlPlN2at6native12_GLOBAL__N_18offset_tEEE10hipError_tPvRmT1_PNSt15iterator_traitsIS12_E10value_typeET2_T3_PNS13_IS18_E10value_typeET4_jRbjT5_S1E_jjP12ihipStream_tbEUljE_ZNSN_ISO_Lb0ESQ_SR_ST_SU_SY_EESZ_S10_S11_S12_S16_S17_S18_S1B_S1C_jS1D_jS1E_S1E_jjS1G_bEUljE0_EEESZ_S10_S11_S18_S1C_S1E_T6_T7_T9_mT8_S1G_bDpT10_ENKUlT_T0_E_clISt17integral_constantIbLb0EES1T_IbLb1EEEEDaS1P_S1Q_EUlS1P_E_NS1_11comp_targetILNS1_3genE8ELNS1_11target_archE1030ELNS1_3gpuE2ELNS1_3repE0EEENS1_30default_config_static_selectorELNS0_4arch9wavefront6targetE0EEEvS12_.uses_vcc, 1
	.set _ZN7rocprim17ROCPRIM_400000_NS6detail17trampoline_kernelINS0_13select_configILj256ELj13ELNS0_17block_load_methodE3ELS4_3ELS4_3ELNS0_20block_scan_algorithmE0ELj4294967295EEENS1_25partition_config_selectorILNS1_17partition_subalgoE4EjNS0_10empty_typeEbEEZZNS1_14partition_implILS8_4ELb0ES6_15HIP_vector_typeIjLj2EENS0_17counting_iteratorIjlEEPS9_SG_NS0_5tupleIJPjSI_NS0_16reverse_iteratorISI_EEEEENSH_IJSG_SG_SG_EEES9_SI_JZNS1_25segmented_radix_sort_implINS0_14default_configELb0EPKsPsPKlPlN2at6native12_GLOBAL__N_18offset_tEEE10hipError_tPvRmT1_PNSt15iterator_traitsIS12_E10value_typeET2_T3_PNS13_IS18_E10value_typeET4_jRbjT5_S1E_jjP12ihipStream_tbEUljE_ZNSN_ISO_Lb0ESQ_SR_ST_SU_SY_EESZ_S10_S11_S12_S16_S17_S18_S1B_S1C_jS1D_jS1E_S1E_jjS1G_bEUljE0_EEESZ_S10_S11_S18_S1C_S1E_T6_T7_T9_mT8_S1G_bDpT10_ENKUlT_T0_E_clISt17integral_constantIbLb0EES1T_IbLb1EEEEDaS1P_S1Q_EUlS1P_E_NS1_11comp_targetILNS1_3genE8ELNS1_11target_archE1030ELNS1_3gpuE2ELNS1_3repE0EEENS1_30default_config_static_selectorELNS0_4arch9wavefront6targetE0EEEvS12_.uses_flat_scratch, 0
	.set _ZN7rocprim17ROCPRIM_400000_NS6detail17trampoline_kernelINS0_13select_configILj256ELj13ELNS0_17block_load_methodE3ELS4_3ELS4_3ELNS0_20block_scan_algorithmE0ELj4294967295EEENS1_25partition_config_selectorILNS1_17partition_subalgoE4EjNS0_10empty_typeEbEEZZNS1_14partition_implILS8_4ELb0ES6_15HIP_vector_typeIjLj2EENS0_17counting_iteratorIjlEEPS9_SG_NS0_5tupleIJPjSI_NS0_16reverse_iteratorISI_EEEEENSH_IJSG_SG_SG_EEES9_SI_JZNS1_25segmented_radix_sort_implINS0_14default_configELb0EPKsPsPKlPlN2at6native12_GLOBAL__N_18offset_tEEE10hipError_tPvRmT1_PNSt15iterator_traitsIS12_E10value_typeET2_T3_PNS13_IS18_E10value_typeET4_jRbjT5_S1E_jjP12ihipStream_tbEUljE_ZNSN_ISO_Lb0ESQ_SR_ST_SU_SY_EESZ_S10_S11_S12_S16_S17_S18_S1B_S1C_jS1D_jS1E_S1E_jjS1G_bEUljE0_EEESZ_S10_S11_S18_S1C_S1E_T6_T7_T9_mT8_S1G_bDpT10_ENKUlT_T0_E_clISt17integral_constantIbLb0EES1T_IbLb1EEEEDaS1P_S1Q_EUlS1P_E_NS1_11comp_targetILNS1_3genE8ELNS1_11target_archE1030ELNS1_3gpuE2ELNS1_3repE0EEENS1_30default_config_static_selectorELNS0_4arch9wavefront6targetE0EEEvS12_.has_dyn_sized_stack, 0
	.set _ZN7rocprim17ROCPRIM_400000_NS6detail17trampoline_kernelINS0_13select_configILj256ELj13ELNS0_17block_load_methodE3ELS4_3ELS4_3ELNS0_20block_scan_algorithmE0ELj4294967295EEENS1_25partition_config_selectorILNS1_17partition_subalgoE4EjNS0_10empty_typeEbEEZZNS1_14partition_implILS8_4ELb0ES6_15HIP_vector_typeIjLj2EENS0_17counting_iteratorIjlEEPS9_SG_NS0_5tupleIJPjSI_NS0_16reverse_iteratorISI_EEEEENSH_IJSG_SG_SG_EEES9_SI_JZNS1_25segmented_radix_sort_implINS0_14default_configELb0EPKsPsPKlPlN2at6native12_GLOBAL__N_18offset_tEEE10hipError_tPvRmT1_PNSt15iterator_traitsIS12_E10value_typeET2_T3_PNS13_IS18_E10value_typeET4_jRbjT5_S1E_jjP12ihipStream_tbEUljE_ZNSN_ISO_Lb0ESQ_SR_ST_SU_SY_EESZ_S10_S11_S12_S16_S17_S18_S1B_S1C_jS1D_jS1E_S1E_jjS1G_bEUljE0_EEESZ_S10_S11_S18_S1C_S1E_T6_T7_T9_mT8_S1G_bDpT10_ENKUlT_T0_E_clISt17integral_constantIbLb0EES1T_IbLb1EEEEDaS1P_S1Q_EUlS1P_E_NS1_11comp_targetILNS1_3genE8ELNS1_11target_archE1030ELNS1_3gpuE2ELNS1_3repE0EEENS1_30default_config_static_selectorELNS0_4arch9wavefront6targetE0EEEvS12_.has_recursion, 0
	.set _ZN7rocprim17ROCPRIM_400000_NS6detail17trampoline_kernelINS0_13select_configILj256ELj13ELNS0_17block_load_methodE3ELS4_3ELS4_3ELNS0_20block_scan_algorithmE0ELj4294967295EEENS1_25partition_config_selectorILNS1_17partition_subalgoE4EjNS0_10empty_typeEbEEZZNS1_14partition_implILS8_4ELb0ES6_15HIP_vector_typeIjLj2EENS0_17counting_iteratorIjlEEPS9_SG_NS0_5tupleIJPjSI_NS0_16reverse_iteratorISI_EEEEENSH_IJSG_SG_SG_EEES9_SI_JZNS1_25segmented_radix_sort_implINS0_14default_configELb0EPKsPsPKlPlN2at6native12_GLOBAL__N_18offset_tEEE10hipError_tPvRmT1_PNSt15iterator_traitsIS12_E10value_typeET2_T3_PNS13_IS18_E10value_typeET4_jRbjT5_S1E_jjP12ihipStream_tbEUljE_ZNSN_ISO_Lb0ESQ_SR_ST_SU_SY_EESZ_S10_S11_S12_S16_S17_S18_S1B_S1C_jS1D_jS1E_S1E_jjS1G_bEUljE0_EEESZ_S10_S11_S18_S1C_S1E_T6_T7_T9_mT8_S1G_bDpT10_ENKUlT_T0_E_clISt17integral_constantIbLb0EES1T_IbLb1EEEEDaS1P_S1Q_EUlS1P_E_NS1_11comp_targetILNS1_3genE8ELNS1_11target_archE1030ELNS1_3gpuE2ELNS1_3repE0EEENS1_30default_config_static_selectorELNS0_4arch9wavefront6targetE0EEEvS12_.has_indirect_call, 0
	.section	.AMDGPU.csdata,"",@progbits
; Kernel info:
; codeLenInByte = 16368
; TotalNumSgprs: 57
; NumVgprs: 87
; ScratchSize: 0
; MemoryBound: 0
; FloatMode: 240
; IeeeMode: 1
; LDSByteSize: 13328 bytes/workgroup (compile time only)
; SGPRBlocks: 0
; VGPRBlocks: 10
; NumSGPRsForWavesPerEU: 57
; NumVGPRsForWavesPerEU: 87
; Occupancy: 10
; WaveLimiterHint : 1
; COMPUTE_PGM_RSRC2:SCRATCH_EN: 0
; COMPUTE_PGM_RSRC2:USER_SGPR: 6
; COMPUTE_PGM_RSRC2:TRAP_HANDLER: 0
; COMPUTE_PGM_RSRC2:TGID_X_EN: 1
; COMPUTE_PGM_RSRC2:TGID_Y_EN: 0
; COMPUTE_PGM_RSRC2:TGID_Z_EN: 0
; COMPUTE_PGM_RSRC2:TIDIG_COMP_CNT: 0
	.section	.text._ZN7rocprim17ROCPRIM_400000_NS6detail17trampoline_kernelINS0_13select_configILj256ELj13ELNS0_17block_load_methodE3ELS4_3ELS4_3ELNS0_20block_scan_algorithmE0ELj4294967295EEENS1_25partition_config_selectorILNS1_17partition_subalgoE3EjNS0_10empty_typeEbEEZZNS1_14partition_implILS8_3ELb0ES6_jNS0_17counting_iteratorIjlEEPS9_SE_NS0_5tupleIJPjSE_EEENSF_IJSE_SE_EEES9_SG_JZNS1_25segmented_radix_sort_implINS0_14default_configELb0EPKsPsPKlPlN2at6native12_GLOBAL__N_18offset_tEEE10hipError_tPvRmT1_PNSt15iterator_traitsISY_E10value_typeET2_T3_PNSZ_IS14_E10value_typeET4_jRbjT5_S1A_jjP12ihipStream_tbEUljE_EEESV_SW_SX_S14_S18_S1A_T6_T7_T9_mT8_S1C_bDpT10_ENKUlT_T0_E_clISt17integral_constantIbLb0EES1P_EEDaS1K_S1L_EUlS1K_E_NS1_11comp_targetILNS1_3genE0ELNS1_11target_archE4294967295ELNS1_3gpuE0ELNS1_3repE0EEENS1_30default_config_static_selectorELNS0_4arch9wavefront6targetE0EEEvSY_,"axG",@progbits,_ZN7rocprim17ROCPRIM_400000_NS6detail17trampoline_kernelINS0_13select_configILj256ELj13ELNS0_17block_load_methodE3ELS4_3ELS4_3ELNS0_20block_scan_algorithmE0ELj4294967295EEENS1_25partition_config_selectorILNS1_17partition_subalgoE3EjNS0_10empty_typeEbEEZZNS1_14partition_implILS8_3ELb0ES6_jNS0_17counting_iteratorIjlEEPS9_SE_NS0_5tupleIJPjSE_EEENSF_IJSE_SE_EEES9_SG_JZNS1_25segmented_radix_sort_implINS0_14default_configELb0EPKsPsPKlPlN2at6native12_GLOBAL__N_18offset_tEEE10hipError_tPvRmT1_PNSt15iterator_traitsISY_E10value_typeET2_T3_PNSZ_IS14_E10value_typeET4_jRbjT5_S1A_jjP12ihipStream_tbEUljE_EEESV_SW_SX_S14_S18_S1A_T6_T7_T9_mT8_S1C_bDpT10_ENKUlT_T0_E_clISt17integral_constantIbLb0EES1P_EEDaS1K_S1L_EUlS1K_E_NS1_11comp_targetILNS1_3genE0ELNS1_11target_archE4294967295ELNS1_3gpuE0ELNS1_3repE0EEENS1_30default_config_static_selectorELNS0_4arch9wavefront6targetE0EEEvSY_,comdat
	.globl	_ZN7rocprim17ROCPRIM_400000_NS6detail17trampoline_kernelINS0_13select_configILj256ELj13ELNS0_17block_load_methodE3ELS4_3ELS4_3ELNS0_20block_scan_algorithmE0ELj4294967295EEENS1_25partition_config_selectorILNS1_17partition_subalgoE3EjNS0_10empty_typeEbEEZZNS1_14partition_implILS8_3ELb0ES6_jNS0_17counting_iteratorIjlEEPS9_SE_NS0_5tupleIJPjSE_EEENSF_IJSE_SE_EEES9_SG_JZNS1_25segmented_radix_sort_implINS0_14default_configELb0EPKsPsPKlPlN2at6native12_GLOBAL__N_18offset_tEEE10hipError_tPvRmT1_PNSt15iterator_traitsISY_E10value_typeET2_T3_PNSZ_IS14_E10value_typeET4_jRbjT5_S1A_jjP12ihipStream_tbEUljE_EEESV_SW_SX_S14_S18_S1A_T6_T7_T9_mT8_S1C_bDpT10_ENKUlT_T0_E_clISt17integral_constantIbLb0EES1P_EEDaS1K_S1L_EUlS1K_E_NS1_11comp_targetILNS1_3genE0ELNS1_11target_archE4294967295ELNS1_3gpuE0ELNS1_3repE0EEENS1_30default_config_static_selectorELNS0_4arch9wavefront6targetE0EEEvSY_ ; -- Begin function _ZN7rocprim17ROCPRIM_400000_NS6detail17trampoline_kernelINS0_13select_configILj256ELj13ELNS0_17block_load_methodE3ELS4_3ELS4_3ELNS0_20block_scan_algorithmE0ELj4294967295EEENS1_25partition_config_selectorILNS1_17partition_subalgoE3EjNS0_10empty_typeEbEEZZNS1_14partition_implILS8_3ELb0ES6_jNS0_17counting_iteratorIjlEEPS9_SE_NS0_5tupleIJPjSE_EEENSF_IJSE_SE_EEES9_SG_JZNS1_25segmented_radix_sort_implINS0_14default_configELb0EPKsPsPKlPlN2at6native12_GLOBAL__N_18offset_tEEE10hipError_tPvRmT1_PNSt15iterator_traitsISY_E10value_typeET2_T3_PNSZ_IS14_E10value_typeET4_jRbjT5_S1A_jjP12ihipStream_tbEUljE_EEESV_SW_SX_S14_S18_S1A_T6_T7_T9_mT8_S1C_bDpT10_ENKUlT_T0_E_clISt17integral_constantIbLb0EES1P_EEDaS1K_S1L_EUlS1K_E_NS1_11comp_targetILNS1_3genE0ELNS1_11target_archE4294967295ELNS1_3gpuE0ELNS1_3repE0EEENS1_30default_config_static_selectorELNS0_4arch9wavefront6targetE0EEEvSY_
	.p2align	8
	.type	_ZN7rocprim17ROCPRIM_400000_NS6detail17trampoline_kernelINS0_13select_configILj256ELj13ELNS0_17block_load_methodE3ELS4_3ELS4_3ELNS0_20block_scan_algorithmE0ELj4294967295EEENS1_25partition_config_selectorILNS1_17partition_subalgoE3EjNS0_10empty_typeEbEEZZNS1_14partition_implILS8_3ELb0ES6_jNS0_17counting_iteratorIjlEEPS9_SE_NS0_5tupleIJPjSE_EEENSF_IJSE_SE_EEES9_SG_JZNS1_25segmented_radix_sort_implINS0_14default_configELb0EPKsPsPKlPlN2at6native12_GLOBAL__N_18offset_tEEE10hipError_tPvRmT1_PNSt15iterator_traitsISY_E10value_typeET2_T3_PNSZ_IS14_E10value_typeET4_jRbjT5_S1A_jjP12ihipStream_tbEUljE_EEESV_SW_SX_S14_S18_S1A_T6_T7_T9_mT8_S1C_bDpT10_ENKUlT_T0_E_clISt17integral_constantIbLb0EES1P_EEDaS1K_S1L_EUlS1K_E_NS1_11comp_targetILNS1_3genE0ELNS1_11target_archE4294967295ELNS1_3gpuE0ELNS1_3repE0EEENS1_30default_config_static_selectorELNS0_4arch9wavefront6targetE0EEEvSY_,@function
_ZN7rocprim17ROCPRIM_400000_NS6detail17trampoline_kernelINS0_13select_configILj256ELj13ELNS0_17block_load_methodE3ELS4_3ELS4_3ELNS0_20block_scan_algorithmE0ELj4294967295EEENS1_25partition_config_selectorILNS1_17partition_subalgoE3EjNS0_10empty_typeEbEEZZNS1_14partition_implILS8_3ELb0ES6_jNS0_17counting_iteratorIjlEEPS9_SE_NS0_5tupleIJPjSE_EEENSF_IJSE_SE_EEES9_SG_JZNS1_25segmented_radix_sort_implINS0_14default_configELb0EPKsPsPKlPlN2at6native12_GLOBAL__N_18offset_tEEE10hipError_tPvRmT1_PNSt15iterator_traitsISY_E10value_typeET2_T3_PNSZ_IS14_E10value_typeET4_jRbjT5_S1A_jjP12ihipStream_tbEUljE_EEESV_SW_SX_S14_S18_S1A_T6_T7_T9_mT8_S1C_bDpT10_ENKUlT_T0_E_clISt17integral_constantIbLb0EES1P_EEDaS1K_S1L_EUlS1K_E_NS1_11comp_targetILNS1_3genE0ELNS1_11target_archE4294967295ELNS1_3gpuE0ELNS1_3repE0EEENS1_30default_config_static_selectorELNS0_4arch9wavefront6targetE0EEEvSY_: ; @_ZN7rocprim17ROCPRIM_400000_NS6detail17trampoline_kernelINS0_13select_configILj256ELj13ELNS0_17block_load_methodE3ELS4_3ELS4_3ELNS0_20block_scan_algorithmE0ELj4294967295EEENS1_25partition_config_selectorILNS1_17partition_subalgoE3EjNS0_10empty_typeEbEEZZNS1_14partition_implILS8_3ELb0ES6_jNS0_17counting_iteratorIjlEEPS9_SE_NS0_5tupleIJPjSE_EEENSF_IJSE_SE_EEES9_SG_JZNS1_25segmented_radix_sort_implINS0_14default_configELb0EPKsPsPKlPlN2at6native12_GLOBAL__N_18offset_tEEE10hipError_tPvRmT1_PNSt15iterator_traitsISY_E10value_typeET2_T3_PNSZ_IS14_E10value_typeET4_jRbjT5_S1A_jjP12ihipStream_tbEUljE_EEESV_SW_SX_S14_S18_S1A_T6_T7_T9_mT8_S1C_bDpT10_ENKUlT_T0_E_clISt17integral_constantIbLb0EES1P_EEDaS1K_S1L_EUlS1K_E_NS1_11comp_targetILNS1_3genE0ELNS1_11target_archE4294967295ELNS1_3gpuE0ELNS1_3repE0EEENS1_30default_config_static_selectorELNS0_4arch9wavefront6targetE0EEEvSY_
; %bb.0:
	.section	.rodata,"a",@progbits
	.p2align	6, 0x0
	.amdhsa_kernel _ZN7rocprim17ROCPRIM_400000_NS6detail17trampoline_kernelINS0_13select_configILj256ELj13ELNS0_17block_load_methodE3ELS4_3ELS4_3ELNS0_20block_scan_algorithmE0ELj4294967295EEENS1_25partition_config_selectorILNS1_17partition_subalgoE3EjNS0_10empty_typeEbEEZZNS1_14partition_implILS8_3ELb0ES6_jNS0_17counting_iteratorIjlEEPS9_SE_NS0_5tupleIJPjSE_EEENSF_IJSE_SE_EEES9_SG_JZNS1_25segmented_radix_sort_implINS0_14default_configELb0EPKsPsPKlPlN2at6native12_GLOBAL__N_18offset_tEEE10hipError_tPvRmT1_PNSt15iterator_traitsISY_E10value_typeET2_T3_PNSZ_IS14_E10value_typeET4_jRbjT5_S1A_jjP12ihipStream_tbEUljE_EEESV_SW_SX_S14_S18_S1A_T6_T7_T9_mT8_S1C_bDpT10_ENKUlT_T0_E_clISt17integral_constantIbLb0EES1P_EEDaS1K_S1L_EUlS1K_E_NS1_11comp_targetILNS1_3genE0ELNS1_11target_archE4294967295ELNS1_3gpuE0ELNS1_3repE0EEENS1_30default_config_static_selectorELNS0_4arch9wavefront6targetE0EEEvSY_
		.amdhsa_group_segment_fixed_size 0
		.amdhsa_private_segment_fixed_size 0
		.amdhsa_kernarg_size 144
		.amdhsa_user_sgpr_count 6
		.amdhsa_user_sgpr_private_segment_buffer 1
		.amdhsa_user_sgpr_dispatch_ptr 0
		.amdhsa_user_sgpr_queue_ptr 0
		.amdhsa_user_sgpr_kernarg_segment_ptr 1
		.amdhsa_user_sgpr_dispatch_id 0
		.amdhsa_user_sgpr_flat_scratch_init 0
		.amdhsa_user_sgpr_private_segment_size 0
		.amdhsa_wavefront_size32 1
		.amdhsa_uses_dynamic_stack 0
		.amdhsa_system_sgpr_private_segment_wavefront_offset 0
		.amdhsa_system_sgpr_workgroup_id_x 1
		.amdhsa_system_sgpr_workgroup_id_y 0
		.amdhsa_system_sgpr_workgroup_id_z 0
		.amdhsa_system_sgpr_workgroup_info 0
		.amdhsa_system_vgpr_workitem_id 0
		.amdhsa_next_free_vgpr 1
		.amdhsa_next_free_sgpr 1
		.amdhsa_reserve_vcc 0
		.amdhsa_reserve_flat_scratch 0
		.amdhsa_float_round_mode_32 0
		.amdhsa_float_round_mode_16_64 0
		.amdhsa_float_denorm_mode_32 3
		.amdhsa_float_denorm_mode_16_64 3
		.amdhsa_dx10_clamp 1
		.amdhsa_ieee_mode 1
		.amdhsa_fp16_overflow 0
		.amdhsa_workgroup_processor_mode 1
		.amdhsa_memory_ordered 1
		.amdhsa_forward_progress 1
		.amdhsa_shared_vgpr_count 0
		.amdhsa_exception_fp_ieee_invalid_op 0
		.amdhsa_exception_fp_denorm_src 0
		.amdhsa_exception_fp_ieee_div_zero 0
		.amdhsa_exception_fp_ieee_overflow 0
		.amdhsa_exception_fp_ieee_underflow 0
		.amdhsa_exception_fp_ieee_inexact 0
		.amdhsa_exception_int_div_zero 0
	.end_amdhsa_kernel
	.section	.text._ZN7rocprim17ROCPRIM_400000_NS6detail17trampoline_kernelINS0_13select_configILj256ELj13ELNS0_17block_load_methodE3ELS4_3ELS4_3ELNS0_20block_scan_algorithmE0ELj4294967295EEENS1_25partition_config_selectorILNS1_17partition_subalgoE3EjNS0_10empty_typeEbEEZZNS1_14partition_implILS8_3ELb0ES6_jNS0_17counting_iteratorIjlEEPS9_SE_NS0_5tupleIJPjSE_EEENSF_IJSE_SE_EEES9_SG_JZNS1_25segmented_radix_sort_implINS0_14default_configELb0EPKsPsPKlPlN2at6native12_GLOBAL__N_18offset_tEEE10hipError_tPvRmT1_PNSt15iterator_traitsISY_E10value_typeET2_T3_PNSZ_IS14_E10value_typeET4_jRbjT5_S1A_jjP12ihipStream_tbEUljE_EEESV_SW_SX_S14_S18_S1A_T6_T7_T9_mT8_S1C_bDpT10_ENKUlT_T0_E_clISt17integral_constantIbLb0EES1P_EEDaS1K_S1L_EUlS1K_E_NS1_11comp_targetILNS1_3genE0ELNS1_11target_archE4294967295ELNS1_3gpuE0ELNS1_3repE0EEENS1_30default_config_static_selectorELNS0_4arch9wavefront6targetE0EEEvSY_,"axG",@progbits,_ZN7rocprim17ROCPRIM_400000_NS6detail17trampoline_kernelINS0_13select_configILj256ELj13ELNS0_17block_load_methodE3ELS4_3ELS4_3ELNS0_20block_scan_algorithmE0ELj4294967295EEENS1_25partition_config_selectorILNS1_17partition_subalgoE3EjNS0_10empty_typeEbEEZZNS1_14partition_implILS8_3ELb0ES6_jNS0_17counting_iteratorIjlEEPS9_SE_NS0_5tupleIJPjSE_EEENSF_IJSE_SE_EEES9_SG_JZNS1_25segmented_radix_sort_implINS0_14default_configELb0EPKsPsPKlPlN2at6native12_GLOBAL__N_18offset_tEEE10hipError_tPvRmT1_PNSt15iterator_traitsISY_E10value_typeET2_T3_PNSZ_IS14_E10value_typeET4_jRbjT5_S1A_jjP12ihipStream_tbEUljE_EEESV_SW_SX_S14_S18_S1A_T6_T7_T9_mT8_S1C_bDpT10_ENKUlT_T0_E_clISt17integral_constantIbLb0EES1P_EEDaS1K_S1L_EUlS1K_E_NS1_11comp_targetILNS1_3genE0ELNS1_11target_archE4294967295ELNS1_3gpuE0ELNS1_3repE0EEENS1_30default_config_static_selectorELNS0_4arch9wavefront6targetE0EEEvSY_,comdat
.Lfunc_end975:
	.size	_ZN7rocprim17ROCPRIM_400000_NS6detail17trampoline_kernelINS0_13select_configILj256ELj13ELNS0_17block_load_methodE3ELS4_3ELS4_3ELNS0_20block_scan_algorithmE0ELj4294967295EEENS1_25partition_config_selectorILNS1_17partition_subalgoE3EjNS0_10empty_typeEbEEZZNS1_14partition_implILS8_3ELb0ES6_jNS0_17counting_iteratorIjlEEPS9_SE_NS0_5tupleIJPjSE_EEENSF_IJSE_SE_EEES9_SG_JZNS1_25segmented_radix_sort_implINS0_14default_configELb0EPKsPsPKlPlN2at6native12_GLOBAL__N_18offset_tEEE10hipError_tPvRmT1_PNSt15iterator_traitsISY_E10value_typeET2_T3_PNSZ_IS14_E10value_typeET4_jRbjT5_S1A_jjP12ihipStream_tbEUljE_EEESV_SW_SX_S14_S18_S1A_T6_T7_T9_mT8_S1C_bDpT10_ENKUlT_T0_E_clISt17integral_constantIbLb0EES1P_EEDaS1K_S1L_EUlS1K_E_NS1_11comp_targetILNS1_3genE0ELNS1_11target_archE4294967295ELNS1_3gpuE0ELNS1_3repE0EEENS1_30default_config_static_selectorELNS0_4arch9wavefront6targetE0EEEvSY_, .Lfunc_end975-_ZN7rocprim17ROCPRIM_400000_NS6detail17trampoline_kernelINS0_13select_configILj256ELj13ELNS0_17block_load_methodE3ELS4_3ELS4_3ELNS0_20block_scan_algorithmE0ELj4294967295EEENS1_25partition_config_selectorILNS1_17partition_subalgoE3EjNS0_10empty_typeEbEEZZNS1_14partition_implILS8_3ELb0ES6_jNS0_17counting_iteratorIjlEEPS9_SE_NS0_5tupleIJPjSE_EEENSF_IJSE_SE_EEES9_SG_JZNS1_25segmented_radix_sort_implINS0_14default_configELb0EPKsPsPKlPlN2at6native12_GLOBAL__N_18offset_tEEE10hipError_tPvRmT1_PNSt15iterator_traitsISY_E10value_typeET2_T3_PNSZ_IS14_E10value_typeET4_jRbjT5_S1A_jjP12ihipStream_tbEUljE_EEESV_SW_SX_S14_S18_S1A_T6_T7_T9_mT8_S1C_bDpT10_ENKUlT_T0_E_clISt17integral_constantIbLb0EES1P_EEDaS1K_S1L_EUlS1K_E_NS1_11comp_targetILNS1_3genE0ELNS1_11target_archE4294967295ELNS1_3gpuE0ELNS1_3repE0EEENS1_30default_config_static_selectorELNS0_4arch9wavefront6targetE0EEEvSY_
                                        ; -- End function
	.set _ZN7rocprim17ROCPRIM_400000_NS6detail17trampoline_kernelINS0_13select_configILj256ELj13ELNS0_17block_load_methodE3ELS4_3ELS4_3ELNS0_20block_scan_algorithmE0ELj4294967295EEENS1_25partition_config_selectorILNS1_17partition_subalgoE3EjNS0_10empty_typeEbEEZZNS1_14partition_implILS8_3ELb0ES6_jNS0_17counting_iteratorIjlEEPS9_SE_NS0_5tupleIJPjSE_EEENSF_IJSE_SE_EEES9_SG_JZNS1_25segmented_radix_sort_implINS0_14default_configELb0EPKsPsPKlPlN2at6native12_GLOBAL__N_18offset_tEEE10hipError_tPvRmT1_PNSt15iterator_traitsISY_E10value_typeET2_T3_PNSZ_IS14_E10value_typeET4_jRbjT5_S1A_jjP12ihipStream_tbEUljE_EEESV_SW_SX_S14_S18_S1A_T6_T7_T9_mT8_S1C_bDpT10_ENKUlT_T0_E_clISt17integral_constantIbLb0EES1P_EEDaS1K_S1L_EUlS1K_E_NS1_11comp_targetILNS1_3genE0ELNS1_11target_archE4294967295ELNS1_3gpuE0ELNS1_3repE0EEENS1_30default_config_static_selectorELNS0_4arch9wavefront6targetE0EEEvSY_.num_vgpr, 0
	.set _ZN7rocprim17ROCPRIM_400000_NS6detail17trampoline_kernelINS0_13select_configILj256ELj13ELNS0_17block_load_methodE3ELS4_3ELS4_3ELNS0_20block_scan_algorithmE0ELj4294967295EEENS1_25partition_config_selectorILNS1_17partition_subalgoE3EjNS0_10empty_typeEbEEZZNS1_14partition_implILS8_3ELb0ES6_jNS0_17counting_iteratorIjlEEPS9_SE_NS0_5tupleIJPjSE_EEENSF_IJSE_SE_EEES9_SG_JZNS1_25segmented_radix_sort_implINS0_14default_configELb0EPKsPsPKlPlN2at6native12_GLOBAL__N_18offset_tEEE10hipError_tPvRmT1_PNSt15iterator_traitsISY_E10value_typeET2_T3_PNSZ_IS14_E10value_typeET4_jRbjT5_S1A_jjP12ihipStream_tbEUljE_EEESV_SW_SX_S14_S18_S1A_T6_T7_T9_mT8_S1C_bDpT10_ENKUlT_T0_E_clISt17integral_constantIbLb0EES1P_EEDaS1K_S1L_EUlS1K_E_NS1_11comp_targetILNS1_3genE0ELNS1_11target_archE4294967295ELNS1_3gpuE0ELNS1_3repE0EEENS1_30default_config_static_selectorELNS0_4arch9wavefront6targetE0EEEvSY_.num_agpr, 0
	.set _ZN7rocprim17ROCPRIM_400000_NS6detail17trampoline_kernelINS0_13select_configILj256ELj13ELNS0_17block_load_methodE3ELS4_3ELS4_3ELNS0_20block_scan_algorithmE0ELj4294967295EEENS1_25partition_config_selectorILNS1_17partition_subalgoE3EjNS0_10empty_typeEbEEZZNS1_14partition_implILS8_3ELb0ES6_jNS0_17counting_iteratorIjlEEPS9_SE_NS0_5tupleIJPjSE_EEENSF_IJSE_SE_EEES9_SG_JZNS1_25segmented_radix_sort_implINS0_14default_configELb0EPKsPsPKlPlN2at6native12_GLOBAL__N_18offset_tEEE10hipError_tPvRmT1_PNSt15iterator_traitsISY_E10value_typeET2_T3_PNSZ_IS14_E10value_typeET4_jRbjT5_S1A_jjP12ihipStream_tbEUljE_EEESV_SW_SX_S14_S18_S1A_T6_T7_T9_mT8_S1C_bDpT10_ENKUlT_T0_E_clISt17integral_constantIbLb0EES1P_EEDaS1K_S1L_EUlS1K_E_NS1_11comp_targetILNS1_3genE0ELNS1_11target_archE4294967295ELNS1_3gpuE0ELNS1_3repE0EEENS1_30default_config_static_selectorELNS0_4arch9wavefront6targetE0EEEvSY_.numbered_sgpr, 0
	.set _ZN7rocprim17ROCPRIM_400000_NS6detail17trampoline_kernelINS0_13select_configILj256ELj13ELNS0_17block_load_methodE3ELS4_3ELS4_3ELNS0_20block_scan_algorithmE0ELj4294967295EEENS1_25partition_config_selectorILNS1_17partition_subalgoE3EjNS0_10empty_typeEbEEZZNS1_14partition_implILS8_3ELb0ES6_jNS0_17counting_iteratorIjlEEPS9_SE_NS0_5tupleIJPjSE_EEENSF_IJSE_SE_EEES9_SG_JZNS1_25segmented_radix_sort_implINS0_14default_configELb0EPKsPsPKlPlN2at6native12_GLOBAL__N_18offset_tEEE10hipError_tPvRmT1_PNSt15iterator_traitsISY_E10value_typeET2_T3_PNSZ_IS14_E10value_typeET4_jRbjT5_S1A_jjP12ihipStream_tbEUljE_EEESV_SW_SX_S14_S18_S1A_T6_T7_T9_mT8_S1C_bDpT10_ENKUlT_T0_E_clISt17integral_constantIbLb0EES1P_EEDaS1K_S1L_EUlS1K_E_NS1_11comp_targetILNS1_3genE0ELNS1_11target_archE4294967295ELNS1_3gpuE0ELNS1_3repE0EEENS1_30default_config_static_selectorELNS0_4arch9wavefront6targetE0EEEvSY_.num_named_barrier, 0
	.set _ZN7rocprim17ROCPRIM_400000_NS6detail17trampoline_kernelINS0_13select_configILj256ELj13ELNS0_17block_load_methodE3ELS4_3ELS4_3ELNS0_20block_scan_algorithmE0ELj4294967295EEENS1_25partition_config_selectorILNS1_17partition_subalgoE3EjNS0_10empty_typeEbEEZZNS1_14partition_implILS8_3ELb0ES6_jNS0_17counting_iteratorIjlEEPS9_SE_NS0_5tupleIJPjSE_EEENSF_IJSE_SE_EEES9_SG_JZNS1_25segmented_radix_sort_implINS0_14default_configELb0EPKsPsPKlPlN2at6native12_GLOBAL__N_18offset_tEEE10hipError_tPvRmT1_PNSt15iterator_traitsISY_E10value_typeET2_T3_PNSZ_IS14_E10value_typeET4_jRbjT5_S1A_jjP12ihipStream_tbEUljE_EEESV_SW_SX_S14_S18_S1A_T6_T7_T9_mT8_S1C_bDpT10_ENKUlT_T0_E_clISt17integral_constantIbLb0EES1P_EEDaS1K_S1L_EUlS1K_E_NS1_11comp_targetILNS1_3genE0ELNS1_11target_archE4294967295ELNS1_3gpuE0ELNS1_3repE0EEENS1_30default_config_static_selectorELNS0_4arch9wavefront6targetE0EEEvSY_.private_seg_size, 0
	.set _ZN7rocprim17ROCPRIM_400000_NS6detail17trampoline_kernelINS0_13select_configILj256ELj13ELNS0_17block_load_methodE3ELS4_3ELS4_3ELNS0_20block_scan_algorithmE0ELj4294967295EEENS1_25partition_config_selectorILNS1_17partition_subalgoE3EjNS0_10empty_typeEbEEZZNS1_14partition_implILS8_3ELb0ES6_jNS0_17counting_iteratorIjlEEPS9_SE_NS0_5tupleIJPjSE_EEENSF_IJSE_SE_EEES9_SG_JZNS1_25segmented_radix_sort_implINS0_14default_configELb0EPKsPsPKlPlN2at6native12_GLOBAL__N_18offset_tEEE10hipError_tPvRmT1_PNSt15iterator_traitsISY_E10value_typeET2_T3_PNSZ_IS14_E10value_typeET4_jRbjT5_S1A_jjP12ihipStream_tbEUljE_EEESV_SW_SX_S14_S18_S1A_T6_T7_T9_mT8_S1C_bDpT10_ENKUlT_T0_E_clISt17integral_constantIbLb0EES1P_EEDaS1K_S1L_EUlS1K_E_NS1_11comp_targetILNS1_3genE0ELNS1_11target_archE4294967295ELNS1_3gpuE0ELNS1_3repE0EEENS1_30default_config_static_selectorELNS0_4arch9wavefront6targetE0EEEvSY_.uses_vcc, 0
	.set _ZN7rocprim17ROCPRIM_400000_NS6detail17trampoline_kernelINS0_13select_configILj256ELj13ELNS0_17block_load_methodE3ELS4_3ELS4_3ELNS0_20block_scan_algorithmE0ELj4294967295EEENS1_25partition_config_selectorILNS1_17partition_subalgoE3EjNS0_10empty_typeEbEEZZNS1_14partition_implILS8_3ELb0ES6_jNS0_17counting_iteratorIjlEEPS9_SE_NS0_5tupleIJPjSE_EEENSF_IJSE_SE_EEES9_SG_JZNS1_25segmented_radix_sort_implINS0_14default_configELb0EPKsPsPKlPlN2at6native12_GLOBAL__N_18offset_tEEE10hipError_tPvRmT1_PNSt15iterator_traitsISY_E10value_typeET2_T3_PNSZ_IS14_E10value_typeET4_jRbjT5_S1A_jjP12ihipStream_tbEUljE_EEESV_SW_SX_S14_S18_S1A_T6_T7_T9_mT8_S1C_bDpT10_ENKUlT_T0_E_clISt17integral_constantIbLb0EES1P_EEDaS1K_S1L_EUlS1K_E_NS1_11comp_targetILNS1_3genE0ELNS1_11target_archE4294967295ELNS1_3gpuE0ELNS1_3repE0EEENS1_30default_config_static_selectorELNS0_4arch9wavefront6targetE0EEEvSY_.uses_flat_scratch, 0
	.set _ZN7rocprim17ROCPRIM_400000_NS6detail17trampoline_kernelINS0_13select_configILj256ELj13ELNS0_17block_load_methodE3ELS4_3ELS4_3ELNS0_20block_scan_algorithmE0ELj4294967295EEENS1_25partition_config_selectorILNS1_17partition_subalgoE3EjNS0_10empty_typeEbEEZZNS1_14partition_implILS8_3ELb0ES6_jNS0_17counting_iteratorIjlEEPS9_SE_NS0_5tupleIJPjSE_EEENSF_IJSE_SE_EEES9_SG_JZNS1_25segmented_radix_sort_implINS0_14default_configELb0EPKsPsPKlPlN2at6native12_GLOBAL__N_18offset_tEEE10hipError_tPvRmT1_PNSt15iterator_traitsISY_E10value_typeET2_T3_PNSZ_IS14_E10value_typeET4_jRbjT5_S1A_jjP12ihipStream_tbEUljE_EEESV_SW_SX_S14_S18_S1A_T6_T7_T9_mT8_S1C_bDpT10_ENKUlT_T0_E_clISt17integral_constantIbLb0EES1P_EEDaS1K_S1L_EUlS1K_E_NS1_11comp_targetILNS1_3genE0ELNS1_11target_archE4294967295ELNS1_3gpuE0ELNS1_3repE0EEENS1_30default_config_static_selectorELNS0_4arch9wavefront6targetE0EEEvSY_.has_dyn_sized_stack, 0
	.set _ZN7rocprim17ROCPRIM_400000_NS6detail17trampoline_kernelINS0_13select_configILj256ELj13ELNS0_17block_load_methodE3ELS4_3ELS4_3ELNS0_20block_scan_algorithmE0ELj4294967295EEENS1_25partition_config_selectorILNS1_17partition_subalgoE3EjNS0_10empty_typeEbEEZZNS1_14partition_implILS8_3ELb0ES6_jNS0_17counting_iteratorIjlEEPS9_SE_NS0_5tupleIJPjSE_EEENSF_IJSE_SE_EEES9_SG_JZNS1_25segmented_radix_sort_implINS0_14default_configELb0EPKsPsPKlPlN2at6native12_GLOBAL__N_18offset_tEEE10hipError_tPvRmT1_PNSt15iterator_traitsISY_E10value_typeET2_T3_PNSZ_IS14_E10value_typeET4_jRbjT5_S1A_jjP12ihipStream_tbEUljE_EEESV_SW_SX_S14_S18_S1A_T6_T7_T9_mT8_S1C_bDpT10_ENKUlT_T0_E_clISt17integral_constantIbLb0EES1P_EEDaS1K_S1L_EUlS1K_E_NS1_11comp_targetILNS1_3genE0ELNS1_11target_archE4294967295ELNS1_3gpuE0ELNS1_3repE0EEENS1_30default_config_static_selectorELNS0_4arch9wavefront6targetE0EEEvSY_.has_recursion, 0
	.set _ZN7rocprim17ROCPRIM_400000_NS6detail17trampoline_kernelINS0_13select_configILj256ELj13ELNS0_17block_load_methodE3ELS4_3ELS4_3ELNS0_20block_scan_algorithmE0ELj4294967295EEENS1_25partition_config_selectorILNS1_17partition_subalgoE3EjNS0_10empty_typeEbEEZZNS1_14partition_implILS8_3ELb0ES6_jNS0_17counting_iteratorIjlEEPS9_SE_NS0_5tupleIJPjSE_EEENSF_IJSE_SE_EEES9_SG_JZNS1_25segmented_radix_sort_implINS0_14default_configELb0EPKsPsPKlPlN2at6native12_GLOBAL__N_18offset_tEEE10hipError_tPvRmT1_PNSt15iterator_traitsISY_E10value_typeET2_T3_PNSZ_IS14_E10value_typeET4_jRbjT5_S1A_jjP12ihipStream_tbEUljE_EEESV_SW_SX_S14_S18_S1A_T6_T7_T9_mT8_S1C_bDpT10_ENKUlT_T0_E_clISt17integral_constantIbLb0EES1P_EEDaS1K_S1L_EUlS1K_E_NS1_11comp_targetILNS1_3genE0ELNS1_11target_archE4294967295ELNS1_3gpuE0ELNS1_3repE0EEENS1_30default_config_static_selectorELNS0_4arch9wavefront6targetE0EEEvSY_.has_indirect_call, 0
	.section	.AMDGPU.csdata,"",@progbits
; Kernel info:
; codeLenInByte = 0
; TotalNumSgprs: 0
; NumVgprs: 0
; ScratchSize: 0
; MemoryBound: 0
; FloatMode: 240
; IeeeMode: 1
; LDSByteSize: 0 bytes/workgroup (compile time only)
; SGPRBlocks: 0
; VGPRBlocks: 0
; NumSGPRsForWavesPerEU: 1
; NumVGPRsForWavesPerEU: 1
; Occupancy: 16
; WaveLimiterHint : 0
; COMPUTE_PGM_RSRC2:SCRATCH_EN: 0
; COMPUTE_PGM_RSRC2:USER_SGPR: 6
; COMPUTE_PGM_RSRC2:TRAP_HANDLER: 0
; COMPUTE_PGM_RSRC2:TGID_X_EN: 1
; COMPUTE_PGM_RSRC2:TGID_Y_EN: 0
; COMPUTE_PGM_RSRC2:TGID_Z_EN: 0
; COMPUTE_PGM_RSRC2:TIDIG_COMP_CNT: 0
	.section	.text._ZN7rocprim17ROCPRIM_400000_NS6detail17trampoline_kernelINS0_13select_configILj256ELj13ELNS0_17block_load_methodE3ELS4_3ELS4_3ELNS0_20block_scan_algorithmE0ELj4294967295EEENS1_25partition_config_selectorILNS1_17partition_subalgoE3EjNS0_10empty_typeEbEEZZNS1_14partition_implILS8_3ELb0ES6_jNS0_17counting_iteratorIjlEEPS9_SE_NS0_5tupleIJPjSE_EEENSF_IJSE_SE_EEES9_SG_JZNS1_25segmented_radix_sort_implINS0_14default_configELb0EPKsPsPKlPlN2at6native12_GLOBAL__N_18offset_tEEE10hipError_tPvRmT1_PNSt15iterator_traitsISY_E10value_typeET2_T3_PNSZ_IS14_E10value_typeET4_jRbjT5_S1A_jjP12ihipStream_tbEUljE_EEESV_SW_SX_S14_S18_S1A_T6_T7_T9_mT8_S1C_bDpT10_ENKUlT_T0_E_clISt17integral_constantIbLb0EES1P_EEDaS1K_S1L_EUlS1K_E_NS1_11comp_targetILNS1_3genE5ELNS1_11target_archE942ELNS1_3gpuE9ELNS1_3repE0EEENS1_30default_config_static_selectorELNS0_4arch9wavefront6targetE0EEEvSY_,"axG",@progbits,_ZN7rocprim17ROCPRIM_400000_NS6detail17trampoline_kernelINS0_13select_configILj256ELj13ELNS0_17block_load_methodE3ELS4_3ELS4_3ELNS0_20block_scan_algorithmE0ELj4294967295EEENS1_25partition_config_selectorILNS1_17partition_subalgoE3EjNS0_10empty_typeEbEEZZNS1_14partition_implILS8_3ELb0ES6_jNS0_17counting_iteratorIjlEEPS9_SE_NS0_5tupleIJPjSE_EEENSF_IJSE_SE_EEES9_SG_JZNS1_25segmented_radix_sort_implINS0_14default_configELb0EPKsPsPKlPlN2at6native12_GLOBAL__N_18offset_tEEE10hipError_tPvRmT1_PNSt15iterator_traitsISY_E10value_typeET2_T3_PNSZ_IS14_E10value_typeET4_jRbjT5_S1A_jjP12ihipStream_tbEUljE_EEESV_SW_SX_S14_S18_S1A_T6_T7_T9_mT8_S1C_bDpT10_ENKUlT_T0_E_clISt17integral_constantIbLb0EES1P_EEDaS1K_S1L_EUlS1K_E_NS1_11comp_targetILNS1_3genE5ELNS1_11target_archE942ELNS1_3gpuE9ELNS1_3repE0EEENS1_30default_config_static_selectorELNS0_4arch9wavefront6targetE0EEEvSY_,comdat
	.globl	_ZN7rocprim17ROCPRIM_400000_NS6detail17trampoline_kernelINS0_13select_configILj256ELj13ELNS0_17block_load_methodE3ELS4_3ELS4_3ELNS0_20block_scan_algorithmE0ELj4294967295EEENS1_25partition_config_selectorILNS1_17partition_subalgoE3EjNS0_10empty_typeEbEEZZNS1_14partition_implILS8_3ELb0ES6_jNS0_17counting_iteratorIjlEEPS9_SE_NS0_5tupleIJPjSE_EEENSF_IJSE_SE_EEES9_SG_JZNS1_25segmented_radix_sort_implINS0_14default_configELb0EPKsPsPKlPlN2at6native12_GLOBAL__N_18offset_tEEE10hipError_tPvRmT1_PNSt15iterator_traitsISY_E10value_typeET2_T3_PNSZ_IS14_E10value_typeET4_jRbjT5_S1A_jjP12ihipStream_tbEUljE_EEESV_SW_SX_S14_S18_S1A_T6_T7_T9_mT8_S1C_bDpT10_ENKUlT_T0_E_clISt17integral_constantIbLb0EES1P_EEDaS1K_S1L_EUlS1K_E_NS1_11comp_targetILNS1_3genE5ELNS1_11target_archE942ELNS1_3gpuE9ELNS1_3repE0EEENS1_30default_config_static_selectorELNS0_4arch9wavefront6targetE0EEEvSY_ ; -- Begin function _ZN7rocprim17ROCPRIM_400000_NS6detail17trampoline_kernelINS0_13select_configILj256ELj13ELNS0_17block_load_methodE3ELS4_3ELS4_3ELNS0_20block_scan_algorithmE0ELj4294967295EEENS1_25partition_config_selectorILNS1_17partition_subalgoE3EjNS0_10empty_typeEbEEZZNS1_14partition_implILS8_3ELb0ES6_jNS0_17counting_iteratorIjlEEPS9_SE_NS0_5tupleIJPjSE_EEENSF_IJSE_SE_EEES9_SG_JZNS1_25segmented_radix_sort_implINS0_14default_configELb0EPKsPsPKlPlN2at6native12_GLOBAL__N_18offset_tEEE10hipError_tPvRmT1_PNSt15iterator_traitsISY_E10value_typeET2_T3_PNSZ_IS14_E10value_typeET4_jRbjT5_S1A_jjP12ihipStream_tbEUljE_EEESV_SW_SX_S14_S18_S1A_T6_T7_T9_mT8_S1C_bDpT10_ENKUlT_T0_E_clISt17integral_constantIbLb0EES1P_EEDaS1K_S1L_EUlS1K_E_NS1_11comp_targetILNS1_3genE5ELNS1_11target_archE942ELNS1_3gpuE9ELNS1_3repE0EEENS1_30default_config_static_selectorELNS0_4arch9wavefront6targetE0EEEvSY_
	.p2align	8
	.type	_ZN7rocprim17ROCPRIM_400000_NS6detail17trampoline_kernelINS0_13select_configILj256ELj13ELNS0_17block_load_methodE3ELS4_3ELS4_3ELNS0_20block_scan_algorithmE0ELj4294967295EEENS1_25partition_config_selectorILNS1_17partition_subalgoE3EjNS0_10empty_typeEbEEZZNS1_14partition_implILS8_3ELb0ES6_jNS0_17counting_iteratorIjlEEPS9_SE_NS0_5tupleIJPjSE_EEENSF_IJSE_SE_EEES9_SG_JZNS1_25segmented_radix_sort_implINS0_14default_configELb0EPKsPsPKlPlN2at6native12_GLOBAL__N_18offset_tEEE10hipError_tPvRmT1_PNSt15iterator_traitsISY_E10value_typeET2_T3_PNSZ_IS14_E10value_typeET4_jRbjT5_S1A_jjP12ihipStream_tbEUljE_EEESV_SW_SX_S14_S18_S1A_T6_T7_T9_mT8_S1C_bDpT10_ENKUlT_T0_E_clISt17integral_constantIbLb0EES1P_EEDaS1K_S1L_EUlS1K_E_NS1_11comp_targetILNS1_3genE5ELNS1_11target_archE942ELNS1_3gpuE9ELNS1_3repE0EEENS1_30default_config_static_selectorELNS0_4arch9wavefront6targetE0EEEvSY_,@function
_ZN7rocprim17ROCPRIM_400000_NS6detail17trampoline_kernelINS0_13select_configILj256ELj13ELNS0_17block_load_methodE3ELS4_3ELS4_3ELNS0_20block_scan_algorithmE0ELj4294967295EEENS1_25partition_config_selectorILNS1_17partition_subalgoE3EjNS0_10empty_typeEbEEZZNS1_14partition_implILS8_3ELb0ES6_jNS0_17counting_iteratorIjlEEPS9_SE_NS0_5tupleIJPjSE_EEENSF_IJSE_SE_EEES9_SG_JZNS1_25segmented_radix_sort_implINS0_14default_configELb0EPKsPsPKlPlN2at6native12_GLOBAL__N_18offset_tEEE10hipError_tPvRmT1_PNSt15iterator_traitsISY_E10value_typeET2_T3_PNSZ_IS14_E10value_typeET4_jRbjT5_S1A_jjP12ihipStream_tbEUljE_EEESV_SW_SX_S14_S18_S1A_T6_T7_T9_mT8_S1C_bDpT10_ENKUlT_T0_E_clISt17integral_constantIbLb0EES1P_EEDaS1K_S1L_EUlS1K_E_NS1_11comp_targetILNS1_3genE5ELNS1_11target_archE942ELNS1_3gpuE9ELNS1_3repE0EEENS1_30default_config_static_selectorELNS0_4arch9wavefront6targetE0EEEvSY_: ; @_ZN7rocprim17ROCPRIM_400000_NS6detail17trampoline_kernelINS0_13select_configILj256ELj13ELNS0_17block_load_methodE3ELS4_3ELS4_3ELNS0_20block_scan_algorithmE0ELj4294967295EEENS1_25partition_config_selectorILNS1_17partition_subalgoE3EjNS0_10empty_typeEbEEZZNS1_14partition_implILS8_3ELb0ES6_jNS0_17counting_iteratorIjlEEPS9_SE_NS0_5tupleIJPjSE_EEENSF_IJSE_SE_EEES9_SG_JZNS1_25segmented_radix_sort_implINS0_14default_configELb0EPKsPsPKlPlN2at6native12_GLOBAL__N_18offset_tEEE10hipError_tPvRmT1_PNSt15iterator_traitsISY_E10value_typeET2_T3_PNSZ_IS14_E10value_typeET4_jRbjT5_S1A_jjP12ihipStream_tbEUljE_EEESV_SW_SX_S14_S18_S1A_T6_T7_T9_mT8_S1C_bDpT10_ENKUlT_T0_E_clISt17integral_constantIbLb0EES1P_EEDaS1K_S1L_EUlS1K_E_NS1_11comp_targetILNS1_3genE5ELNS1_11target_archE942ELNS1_3gpuE9ELNS1_3repE0EEENS1_30default_config_static_selectorELNS0_4arch9wavefront6targetE0EEEvSY_
; %bb.0:
	.section	.rodata,"a",@progbits
	.p2align	6, 0x0
	.amdhsa_kernel _ZN7rocprim17ROCPRIM_400000_NS6detail17trampoline_kernelINS0_13select_configILj256ELj13ELNS0_17block_load_methodE3ELS4_3ELS4_3ELNS0_20block_scan_algorithmE0ELj4294967295EEENS1_25partition_config_selectorILNS1_17partition_subalgoE3EjNS0_10empty_typeEbEEZZNS1_14partition_implILS8_3ELb0ES6_jNS0_17counting_iteratorIjlEEPS9_SE_NS0_5tupleIJPjSE_EEENSF_IJSE_SE_EEES9_SG_JZNS1_25segmented_radix_sort_implINS0_14default_configELb0EPKsPsPKlPlN2at6native12_GLOBAL__N_18offset_tEEE10hipError_tPvRmT1_PNSt15iterator_traitsISY_E10value_typeET2_T3_PNSZ_IS14_E10value_typeET4_jRbjT5_S1A_jjP12ihipStream_tbEUljE_EEESV_SW_SX_S14_S18_S1A_T6_T7_T9_mT8_S1C_bDpT10_ENKUlT_T0_E_clISt17integral_constantIbLb0EES1P_EEDaS1K_S1L_EUlS1K_E_NS1_11comp_targetILNS1_3genE5ELNS1_11target_archE942ELNS1_3gpuE9ELNS1_3repE0EEENS1_30default_config_static_selectorELNS0_4arch9wavefront6targetE0EEEvSY_
		.amdhsa_group_segment_fixed_size 0
		.amdhsa_private_segment_fixed_size 0
		.amdhsa_kernarg_size 144
		.amdhsa_user_sgpr_count 6
		.amdhsa_user_sgpr_private_segment_buffer 1
		.amdhsa_user_sgpr_dispatch_ptr 0
		.amdhsa_user_sgpr_queue_ptr 0
		.amdhsa_user_sgpr_kernarg_segment_ptr 1
		.amdhsa_user_sgpr_dispatch_id 0
		.amdhsa_user_sgpr_flat_scratch_init 0
		.amdhsa_user_sgpr_private_segment_size 0
		.amdhsa_wavefront_size32 1
		.amdhsa_uses_dynamic_stack 0
		.amdhsa_system_sgpr_private_segment_wavefront_offset 0
		.amdhsa_system_sgpr_workgroup_id_x 1
		.amdhsa_system_sgpr_workgroup_id_y 0
		.amdhsa_system_sgpr_workgroup_id_z 0
		.amdhsa_system_sgpr_workgroup_info 0
		.amdhsa_system_vgpr_workitem_id 0
		.amdhsa_next_free_vgpr 1
		.amdhsa_next_free_sgpr 1
		.amdhsa_reserve_vcc 0
		.amdhsa_reserve_flat_scratch 0
		.amdhsa_float_round_mode_32 0
		.amdhsa_float_round_mode_16_64 0
		.amdhsa_float_denorm_mode_32 3
		.amdhsa_float_denorm_mode_16_64 3
		.amdhsa_dx10_clamp 1
		.amdhsa_ieee_mode 1
		.amdhsa_fp16_overflow 0
		.amdhsa_workgroup_processor_mode 1
		.amdhsa_memory_ordered 1
		.amdhsa_forward_progress 1
		.amdhsa_shared_vgpr_count 0
		.amdhsa_exception_fp_ieee_invalid_op 0
		.amdhsa_exception_fp_denorm_src 0
		.amdhsa_exception_fp_ieee_div_zero 0
		.amdhsa_exception_fp_ieee_overflow 0
		.amdhsa_exception_fp_ieee_underflow 0
		.amdhsa_exception_fp_ieee_inexact 0
		.amdhsa_exception_int_div_zero 0
	.end_amdhsa_kernel
	.section	.text._ZN7rocprim17ROCPRIM_400000_NS6detail17trampoline_kernelINS0_13select_configILj256ELj13ELNS0_17block_load_methodE3ELS4_3ELS4_3ELNS0_20block_scan_algorithmE0ELj4294967295EEENS1_25partition_config_selectorILNS1_17partition_subalgoE3EjNS0_10empty_typeEbEEZZNS1_14partition_implILS8_3ELb0ES6_jNS0_17counting_iteratorIjlEEPS9_SE_NS0_5tupleIJPjSE_EEENSF_IJSE_SE_EEES9_SG_JZNS1_25segmented_radix_sort_implINS0_14default_configELb0EPKsPsPKlPlN2at6native12_GLOBAL__N_18offset_tEEE10hipError_tPvRmT1_PNSt15iterator_traitsISY_E10value_typeET2_T3_PNSZ_IS14_E10value_typeET4_jRbjT5_S1A_jjP12ihipStream_tbEUljE_EEESV_SW_SX_S14_S18_S1A_T6_T7_T9_mT8_S1C_bDpT10_ENKUlT_T0_E_clISt17integral_constantIbLb0EES1P_EEDaS1K_S1L_EUlS1K_E_NS1_11comp_targetILNS1_3genE5ELNS1_11target_archE942ELNS1_3gpuE9ELNS1_3repE0EEENS1_30default_config_static_selectorELNS0_4arch9wavefront6targetE0EEEvSY_,"axG",@progbits,_ZN7rocprim17ROCPRIM_400000_NS6detail17trampoline_kernelINS0_13select_configILj256ELj13ELNS0_17block_load_methodE3ELS4_3ELS4_3ELNS0_20block_scan_algorithmE0ELj4294967295EEENS1_25partition_config_selectorILNS1_17partition_subalgoE3EjNS0_10empty_typeEbEEZZNS1_14partition_implILS8_3ELb0ES6_jNS0_17counting_iteratorIjlEEPS9_SE_NS0_5tupleIJPjSE_EEENSF_IJSE_SE_EEES9_SG_JZNS1_25segmented_radix_sort_implINS0_14default_configELb0EPKsPsPKlPlN2at6native12_GLOBAL__N_18offset_tEEE10hipError_tPvRmT1_PNSt15iterator_traitsISY_E10value_typeET2_T3_PNSZ_IS14_E10value_typeET4_jRbjT5_S1A_jjP12ihipStream_tbEUljE_EEESV_SW_SX_S14_S18_S1A_T6_T7_T9_mT8_S1C_bDpT10_ENKUlT_T0_E_clISt17integral_constantIbLb0EES1P_EEDaS1K_S1L_EUlS1K_E_NS1_11comp_targetILNS1_3genE5ELNS1_11target_archE942ELNS1_3gpuE9ELNS1_3repE0EEENS1_30default_config_static_selectorELNS0_4arch9wavefront6targetE0EEEvSY_,comdat
.Lfunc_end976:
	.size	_ZN7rocprim17ROCPRIM_400000_NS6detail17trampoline_kernelINS0_13select_configILj256ELj13ELNS0_17block_load_methodE3ELS4_3ELS4_3ELNS0_20block_scan_algorithmE0ELj4294967295EEENS1_25partition_config_selectorILNS1_17partition_subalgoE3EjNS0_10empty_typeEbEEZZNS1_14partition_implILS8_3ELb0ES6_jNS0_17counting_iteratorIjlEEPS9_SE_NS0_5tupleIJPjSE_EEENSF_IJSE_SE_EEES9_SG_JZNS1_25segmented_radix_sort_implINS0_14default_configELb0EPKsPsPKlPlN2at6native12_GLOBAL__N_18offset_tEEE10hipError_tPvRmT1_PNSt15iterator_traitsISY_E10value_typeET2_T3_PNSZ_IS14_E10value_typeET4_jRbjT5_S1A_jjP12ihipStream_tbEUljE_EEESV_SW_SX_S14_S18_S1A_T6_T7_T9_mT8_S1C_bDpT10_ENKUlT_T0_E_clISt17integral_constantIbLb0EES1P_EEDaS1K_S1L_EUlS1K_E_NS1_11comp_targetILNS1_3genE5ELNS1_11target_archE942ELNS1_3gpuE9ELNS1_3repE0EEENS1_30default_config_static_selectorELNS0_4arch9wavefront6targetE0EEEvSY_, .Lfunc_end976-_ZN7rocprim17ROCPRIM_400000_NS6detail17trampoline_kernelINS0_13select_configILj256ELj13ELNS0_17block_load_methodE3ELS4_3ELS4_3ELNS0_20block_scan_algorithmE0ELj4294967295EEENS1_25partition_config_selectorILNS1_17partition_subalgoE3EjNS0_10empty_typeEbEEZZNS1_14partition_implILS8_3ELb0ES6_jNS0_17counting_iteratorIjlEEPS9_SE_NS0_5tupleIJPjSE_EEENSF_IJSE_SE_EEES9_SG_JZNS1_25segmented_radix_sort_implINS0_14default_configELb0EPKsPsPKlPlN2at6native12_GLOBAL__N_18offset_tEEE10hipError_tPvRmT1_PNSt15iterator_traitsISY_E10value_typeET2_T3_PNSZ_IS14_E10value_typeET4_jRbjT5_S1A_jjP12ihipStream_tbEUljE_EEESV_SW_SX_S14_S18_S1A_T6_T7_T9_mT8_S1C_bDpT10_ENKUlT_T0_E_clISt17integral_constantIbLb0EES1P_EEDaS1K_S1L_EUlS1K_E_NS1_11comp_targetILNS1_3genE5ELNS1_11target_archE942ELNS1_3gpuE9ELNS1_3repE0EEENS1_30default_config_static_selectorELNS0_4arch9wavefront6targetE0EEEvSY_
                                        ; -- End function
	.set _ZN7rocprim17ROCPRIM_400000_NS6detail17trampoline_kernelINS0_13select_configILj256ELj13ELNS0_17block_load_methodE3ELS4_3ELS4_3ELNS0_20block_scan_algorithmE0ELj4294967295EEENS1_25partition_config_selectorILNS1_17partition_subalgoE3EjNS0_10empty_typeEbEEZZNS1_14partition_implILS8_3ELb0ES6_jNS0_17counting_iteratorIjlEEPS9_SE_NS0_5tupleIJPjSE_EEENSF_IJSE_SE_EEES9_SG_JZNS1_25segmented_radix_sort_implINS0_14default_configELb0EPKsPsPKlPlN2at6native12_GLOBAL__N_18offset_tEEE10hipError_tPvRmT1_PNSt15iterator_traitsISY_E10value_typeET2_T3_PNSZ_IS14_E10value_typeET4_jRbjT5_S1A_jjP12ihipStream_tbEUljE_EEESV_SW_SX_S14_S18_S1A_T6_T7_T9_mT8_S1C_bDpT10_ENKUlT_T0_E_clISt17integral_constantIbLb0EES1P_EEDaS1K_S1L_EUlS1K_E_NS1_11comp_targetILNS1_3genE5ELNS1_11target_archE942ELNS1_3gpuE9ELNS1_3repE0EEENS1_30default_config_static_selectorELNS0_4arch9wavefront6targetE0EEEvSY_.num_vgpr, 0
	.set _ZN7rocprim17ROCPRIM_400000_NS6detail17trampoline_kernelINS0_13select_configILj256ELj13ELNS0_17block_load_methodE3ELS4_3ELS4_3ELNS0_20block_scan_algorithmE0ELj4294967295EEENS1_25partition_config_selectorILNS1_17partition_subalgoE3EjNS0_10empty_typeEbEEZZNS1_14partition_implILS8_3ELb0ES6_jNS0_17counting_iteratorIjlEEPS9_SE_NS0_5tupleIJPjSE_EEENSF_IJSE_SE_EEES9_SG_JZNS1_25segmented_radix_sort_implINS0_14default_configELb0EPKsPsPKlPlN2at6native12_GLOBAL__N_18offset_tEEE10hipError_tPvRmT1_PNSt15iterator_traitsISY_E10value_typeET2_T3_PNSZ_IS14_E10value_typeET4_jRbjT5_S1A_jjP12ihipStream_tbEUljE_EEESV_SW_SX_S14_S18_S1A_T6_T7_T9_mT8_S1C_bDpT10_ENKUlT_T0_E_clISt17integral_constantIbLb0EES1P_EEDaS1K_S1L_EUlS1K_E_NS1_11comp_targetILNS1_3genE5ELNS1_11target_archE942ELNS1_3gpuE9ELNS1_3repE0EEENS1_30default_config_static_selectorELNS0_4arch9wavefront6targetE0EEEvSY_.num_agpr, 0
	.set _ZN7rocprim17ROCPRIM_400000_NS6detail17trampoline_kernelINS0_13select_configILj256ELj13ELNS0_17block_load_methodE3ELS4_3ELS4_3ELNS0_20block_scan_algorithmE0ELj4294967295EEENS1_25partition_config_selectorILNS1_17partition_subalgoE3EjNS0_10empty_typeEbEEZZNS1_14partition_implILS8_3ELb0ES6_jNS0_17counting_iteratorIjlEEPS9_SE_NS0_5tupleIJPjSE_EEENSF_IJSE_SE_EEES9_SG_JZNS1_25segmented_radix_sort_implINS0_14default_configELb0EPKsPsPKlPlN2at6native12_GLOBAL__N_18offset_tEEE10hipError_tPvRmT1_PNSt15iterator_traitsISY_E10value_typeET2_T3_PNSZ_IS14_E10value_typeET4_jRbjT5_S1A_jjP12ihipStream_tbEUljE_EEESV_SW_SX_S14_S18_S1A_T6_T7_T9_mT8_S1C_bDpT10_ENKUlT_T0_E_clISt17integral_constantIbLb0EES1P_EEDaS1K_S1L_EUlS1K_E_NS1_11comp_targetILNS1_3genE5ELNS1_11target_archE942ELNS1_3gpuE9ELNS1_3repE0EEENS1_30default_config_static_selectorELNS0_4arch9wavefront6targetE0EEEvSY_.numbered_sgpr, 0
	.set _ZN7rocprim17ROCPRIM_400000_NS6detail17trampoline_kernelINS0_13select_configILj256ELj13ELNS0_17block_load_methodE3ELS4_3ELS4_3ELNS0_20block_scan_algorithmE0ELj4294967295EEENS1_25partition_config_selectorILNS1_17partition_subalgoE3EjNS0_10empty_typeEbEEZZNS1_14partition_implILS8_3ELb0ES6_jNS0_17counting_iteratorIjlEEPS9_SE_NS0_5tupleIJPjSE_EEENSF_IJSE_SE_EEES9_SG_JZNS1_25segmented_radix_sort_implINS0_14default_configELb0EPKsPsPKlPlN2at6native12_GLOBAL__N_18offset_tEEE10hipError_tPvRmT1_PNSt15iterator_traitsISY_E10value_typeET2_T3_PNSZ_IS14_E10value_typeET4_jRbjT5_S1A_jjP12ihipStream_tbEUljE_EEESV_SW_SX_S14_S18_S1A_T6_T7_T9_mT8_S1C_bDpT10_ENKUlT_T0_E_clISt17integral_constantIbLb0EES1P_EEDaS1K_S1L_EUlS1K_E_NS1_11comp_targetILNS1_3genE5ELNS1_11target_archE942ELNS1_3gpuE9ELNS1_3repE0EEENS1_30default_config_static_selectorELNS0_4arch9wavefront6targetE0EEEvSY_.num_named_barrier, 0
	.set _ZN7rocprim17ROCPRIM_400000_NS6detail17trampoline_kernelINS0_13select_configILj256ELj13ELNS0_17block_load_methodE3ELS4_3ELS4_3ELNS0_20block_scan_algorithmE0ELj4294967295EEENS1_25partition_config_selectorILNS1_17partition_subalgoE3EjNS0_10empty_typeEbEEZZNS1_14partition_implILS8_3ELb0ES6_jNS0_17counting_iteratorIjlEEPS9_SE_NS0_5tupleIJPjSE_EEENSF_IJSE_SE_EEES9_SG_JZNS1_25segmented_radix_sort_implINS0_14default_configELb0EPKsPsPKlPlN2at6native12_GLOBAL__N_18offset_tEEE10hipError_tPvRmT1_PNSt15iterator_traitsISY_E10value_typeET2_T3_PNSZ_IS14_E10value_typeET4_jRbjT5_S1A_jjP12ihipStream_tbEUljE_EEESV_SW_SX_S14_S18_S1A_T6_T7_T9_mT8_S1C_bDpT10_ENKUlT_T0_E_clISt17integral_constantIbLb0EES1P_EEDaS1K_S1L_EUlS1K_E_NS1_11comp_targetILNS1_3genE5ELNS1_11target_archE942ELNS1_3gpuE9ELNS1_3repE0EEENS1_30default_config_static_selectorELNS0_4arch9wavefront6targetE0EEEvSY_.private_seg_size, 0
	.set _ZN7rocprim17ROCPRIM_400000_NS6detail17trampoline_kernelINS0_13select_configILj256ELj13ELNS0_17block_load_methodE3ELS4_3ELS4_3ELNS0_20block_scan_algorithmE0ELj4294967295EEENS1_25partition_config_selectorILNS1_17partition_subalgoE3EjNS0_10empty_typeEbEEZZNS1_14partition_implILS8_3ELb0ES6_jNS0_17counting_iteratorIjlEEPS9_SE_NS0_5tupleIJPjSE_EEENSF_IJSE_SE_EEES9_SG_JZNS1_25segmented_radix_sort_implINS0_14default_configELb0EPKsPsPKlPlN2at6native12_GLOBAL__N_18offset_tEEE10hipError_tPvRmT1_PNSt15iterator_traitsISY_E10value_typeET2_T3_PNSZ_IS14_E10value_typeET4_jRbjT5_S1A_jjP12ihipStream_tbEUljE_EEESV_SW_SX_S14_S18_S1A_T6_T7_T9_mT8_S1C_bDpT10_ENKUlT_T0_E_clISt17integral_constantIbLb0EES1P_EEDaS1K_S1L_EUlS1K_E_NS1_11comp_targetILNS1_3genE5ELNS1_11target_archE942ELNS1_3gpuE9ELNS1_3repE0EEENS1_30default_config_static_selectorELNS0_4arch9wavefront6targetE0EEEvSY_.uses_vcc, 0
	.set _ZN7rocprim17ROCPRIM_400000_NS6detail17trampoline_kernelINS0_13select_configILj256ELj13ELNS0_17block_load_methodE3ELS4_3ELS4_3ELNS0_20block_scan_algorithmE0ELj4294967295EEENS1_25partition_config_selectorILNS1_17partition_subalgoE3EjNS0_10empty_typeEbEEZZNS1_14partition_implILS8_3ELb0ES6_jNS0_17counting_iteratorIjlEEPS9_SE_NS0_5tupleIJPjSE_EEENSF_IJSE_SE_EEES9_SG_JZNS1_25segmented_radix_sort_implINS0_14default_configELb0EPKsPsPKlPlN2at6native12_GLOBAL__N_18offset_tEEE10hipError_tPvRmT1_PNSt15iterator_traitsISY_E10value_typeET2_T3_PNSZ_IS14_E10value_typeET4_jRbjT5_S1A_jjP12ihipStream_tbEUljE_EEESV_SW_SX_S14_S18_S1A_T6_T7_T9_mT8_S1C_bDpT10_ENKUlT_T0_E_clISt17integral_constantIbLb0EES1P_EEDaS1K_S1L_EUlS1K_E_NS1_11comp_targetILNS1_3genE5ELNS1_11target_archE942ELNS1_3gpuE9ELNS1_3repE0EEENS1_30default_config_static_selectorELNS0_4arch9wavefront6targetE0EEEvSY_.uses_flat_scratch, 0
	.set _ZN7rocprim17ROCPRIM_400000_NS6detail17trampoline_kernelINS0_13select_configILj256ELj13ELNS0_17block_load_methodE3ELS4_3ELS4_3ELNS0_20block_scan_algorithmE0ELj4294967295EEENS1_25partition_config_selectorILNS1_17partition_subalgoE3EjNS0_10empty_typeEbEEZZNS1_14partition_implILS8_3ELb0ES6_jNS0_17counting_iteratorIjlEEPS9_SE_NS0_5tupleIJPjSE_EEENSF_IJSE_SE_EEES9_SG_JZNS1_25segmented_radix_sort_implINS0_14default_configELb0EPKsPsPKlPlN2at6native12_GLOBAL__N_18offset_tEEE10hipError_tPvRmT1_PNSt15iterator_traitsISY_E10value_typeET2_T3_PNSZ_IS14_E10value_typeET4_jRbjT5_S1A_jjP12ihipStream_tbEUljE_EEESV_SW_SX_S14_S18_S1A_T6_T7_T9_mT8_S1C_bDpT10_ENKUlT_T0_E_clISt17integral_constantIbLb0EES1P_EEDaS1K_S1L_EUlS1K_E_NS1_11comp_targetILNS1_3genE5ELNS1_11target_archE942ELNS1_3gpuE9ELNS1_3repE0EEENS1_30default_config_static_selectorELNS0_4arch9wavefront6targetE0EEEvSY_.has_dyn_sized_stack, 0
	.set _ZN7rocprim17ROCPRIM_400000_NS6detail17trampoline_kernelINS0_13select_configILj256ELj13ELNS0_17block_load_methodE3ELS4_3ELS4_3ELNS0_20block_scan_algorithmE0ELj4294967295EEENS1_25partition_config_selectorILNS1_17partition_subalgoE3EjNS0_10empty_typeEbEEZZNS1_14partition_implILS8_3ELb0ES6_jNS0_17counting_iteratorIjlEEPS9_SE_NS0_5tupleIJPjSE_EEENSF_IJSE_SE_EEES9_SG_JZNS1_25segmented_radix_sort_implINS0_14default_configELb0EPKsPsPKlPlN2at6native12_GLOBAL__N_18offset_tEEE10hipError_tPvRmT1_PNSt15iterator_traitsISY_E10value_typeET2_T3_PNSZ_IS14_E10value_typeET4_jRbjT5_S1A_jjP12ihipStream_tbEUljE_EEESV_SW_SX_S14_S18_S1A_T6_T7_T9_mT8_S1C_bDpT10_ENKUlT_T0_E_clISt17integral_constantIbLb0EES1P_EEDaS1K_S1L_EUlS1K_E_NS1_11comp_targetILNS1_3genE5ELNS1_11target_archE942ELNS1_3gpuE9ELNS1_3repE0EEENS1_30default_config_static_selectorELNS0_4arch9wavefront6targetE0EEEvSY_.has_recursion, 0
	.set _ZN7rocprim17ROCPRIM_400000_NS6detail17trampoline_kernelINS0_13select_configILj256ELj13ELNS0_17block_load_methodE3ELS4_3ELS4_3ELNS0_20block_scan_algorithmE0ELj4294967295EEENS1_25partition_config_selectorILNS1_17partition_subalgoE3EjNS0_10empty_typeEbEEZZNS1_14partition_implILS8_3ELb0ES6_jNS0_17counting_iteratorIjlEEPS9_SE_NS0_5tupleIJPjSE_EEENSF_IJSE_SE_EEES9_SG_JZNS1_25segmented_radix_sort_implINS0_14default_configELb0EPKsPsPKlPlN2at6native12_GLOBAL__N_18offset_tEEE10hipError_tPvRmT1_PNSt15iterator_traitsISY_E10value_typeET2_T3_PNSZ_IS14_E10value_typeET4_jRbjT5_S1A_jjP12ihipStream_tbEUljE_EEESV_SW_SX_S14_S18_S1A_T6_T7_T9_mT8_S1C_bDpT10_ENKUlT_T0_E_clISt17integral_constantIbLb0EES1P_EEDaS1K_S1L_EUlS1K_E_NS1_11comp_targetILNS1_3genE5ELNS1_11target_archE942ELNS1_3gpuE9ELNS1_3repE0EEENS1_30default_config_static_selectorELNS0_4arch9wavefront6targetE0EEEvSY_.has_indirect_call, 0
	.section	.AMDGPU.csdata,"",@progbits
; Kernel info:
; codeLenInByte = 0
; TotalNumSgprs: 0
; NumVgprs: 0
; ScratchSize: 0
; MemoryBound: 0
; FloatMode: 240
; IeeeMode: 1
; LDSByteSize: 0 bytes/workgroup (compile time only)
; SGPRBlocks: 0
; VGPRBlocks: 0
; NumSGPRsForWavesPerEU: 1
; NumVGPRsForWavesPerEU: 1
; Occupancy: 16
; WaveLimiterHint : 0
; COMPUTE_PGM_RSRC2:SCRATCH_EN: 0
; COMPUTE_PGM_RSRC2:USER_SGPR: 6
; COMPUTE_PGM_RSRC2:TRAP_HANDLER: 0
; COMPUTE_PGM_RSRC2:TGID_X_EN: 1
; COMPUTE_PGM_RSRC2:TGID_Y_EN: 0
; COMPUTE_PGM_RSRC2:TGID_Z_EN: 0
; COMPUTE_PGM_RSRC2:TIDIG_COMP_CNT: 0
	.section	.text._ZN7rocprim17ROCPRIM_400000_NS6detail17trampoline_kernelINS0_13select_configILj256ELj13ELNS0_17block_load_methodE3ELS4_3ELS4_3ELNS0_20block_scan_algorithmE0ELj4294967295EEENS1_25partition_config_selectorILNS1_17partition_subalgoE3EjNS0_10empty_typeEbEEZZNS1_14partition_implILS8_3ELb0ES6_jNS0_17counting_iteratorIjlEEPS9_SE_NS0_5tupleIJPjSE_EEENSF_IJSE_SE_EEES9_SG_JZNS1_25segmented_radix_sort_implINS0_14default_configELb0EPKsPsPKlPlN2at6native12_GLOBAL__N_18offset_tEEE10hipError_tPvRmT1_PNSt15iterator_traitsISY_E10value_typeET2_T3_PNSZ_IS14_E10value_typeET4_jRbjT5_S1A_jjP12ihipStream_tbEUljE_EEESV_SW_SX_S14_S18_S1A_T6_T7_T9_mT8_S1C_bDpT10_ENKUlT_T0_E_clISt17integral_constantIbLb0EES1P_EEDaS1K_S1L_EUlS1K_E_NS1_11comp_targetILNS1_3genE4ELNS1_11target_archE910ELNS1_3gpuE8ELNS1_3repE0EEENS1_30default_config_static_selectorELNS0_4arch9wavefront6targetE0EEEvSY_,"axG",@progbits,_ZN7rocprim17ROCPRIM_400000_NS6detail17trampoline_kernelINS0_13select_configILj256ELj13ELNS0_17block_load_methodE3ELS4_3ELS4_3ELNS0_20block_scan_algorithmE0ELj4294967295EEENS1_25partition_config_selectorILNS1_17partition_subalgoE3EjNS0_10empty_typeEbEEZZNS1_14partition_implILS8_3ELb0ES6_jNS0_17counting_iteratorIjlEEPS9_SE_NS0_5tupleIJPjSE_EEENSF_IJSE_SE_EEES9_SG_JZNS1_25segmented_radix_sort_implINS0_14default_configELb0EPKsPsPKlPlN2at6native12_GLOBAL__N_18offset_tEEE10hipError_tPvRmT1_PNSt15iterator_traitsISY_E10value_typeET2_T3_PNSZ_IS14_E10value_typeET4_jRbjT5_S1A_jjP12ihipStream_tbEUljE_EEESV_SW_SX_S14_S18_S1A_T6_T7_T9_mT8_S1C_bDpT10_ENKUlT_T0_E_clISt17integral_constantIbLb0EES1P_EEDaS1K_S1L_EUlS1K_E_NS1_11comp_targetILNS1_3genE4ELNS1_11target_archE910ELNS1_3gpuE8ELNS1_3repE0EEENS1_30default_config_static_selectorELNS0_4arch9wavefront6targetE0EEEvSY_,comdat
	.globl	_ZN7rocprim17ROCPRIM_400000_NS6detail17trampoline_kernelINS0_13select_configILj256ELj13ELNS0_17block_load_methodE3ELS4_3ELS4_3ELNS0_20block_scan_algorithmE0ELj4294967295EEENS1_25partition_config_selectorILNS1_17partition_subalgoE3EjNS0_10empty_typeEbEEZZNS1_14partition_implILS8_3ELb0ES6_jNS0_17counting_iteratorIjlEEPS9_SE_NS0_5tupleIJPjSE_EEENSF_IJSE_SE_EEES9_SG_JZNS1_25segmented_radix_sort_implINS0_14default_configELb0EPKsPsPKlPlN2at6native12_GLOBAL__N_18offset_tEEE10hipError_tPvRmT1_PNSt15iterator_traitsISY_E10value_typeET2_T3_PNSZ_IS14_E10value_typeET4_jRbjT5_S1A_jjP12ihipStream_tbEUljE_EEESV_SW_SX_S14_S18_S1A_T6_T7_T9_mT8_S1C_bDpT10_ENKUlT_T0_E_clISt17integral_constantIbLb0EES1P_EEDaS1K_S1L_EUlS1K_E_NS1_11comp_targetILNS1_3genE4ELNS1_11target_archE910ELNS1_3gpuE8ELNS1_3repE0EEENS1_30default_config_static_selectorELNS0_4arch9wavefront6targetE0EEEvSY_ ; -- Begin function _ZN7rocprim17ROCPRIM_400000_NS6detail17trampoline_kernelINS0_13select_configILj256ELj13ELNS0_17block_load_methodE3ELS4_3ELS4_3ELNS0_20block_scan_algorithmE0ELj4294967295EEENS1_25partition_config_selectorILNS1_17partition_subalgoE3EjNS0_10empty_typeEbEEZZNS1_14partition_implILS8_3ELb0ES6_jNS0_17counting_iteratorIjlEEPS9_SE_NS0_5tupleIJPjSE_EEENSF_IJSE_SE_EEES9_SG_JZNS1_25segmented_radix_sort_implINS0_14default_configELb0EPKsPsPKlPlN2at6native12_GLOBAL__N_18offset_tEEE10hipError_tPvRmT1_PNSt15iterator_traitsISY_E10value_typeET2_T3_PNSZ_IS14_E10value_typeET4_jRbjT5_S1A_jjP12ihipStream_tbEUljE_EEESV_SW_SX_S14_S18_S1A_T6_T7_T9_mT8_S1C_bDpT10_ENKUlT_T0_E_clISt17integral_constantIbLb0EES1P_EEDaS1K_S1L_EUlS1K_E_NS1_11comp_targetILNS1_3genE4ELNS1_11target_archE910ELNS1_3gpuE8ELNS1_3repE0EEENS1_30default_config_static_selectorELNS0_4arch9wavefront6targetE0EEEvSY_
	.p2align	8
	.type	_ZN7rocprim17ROCPRIM_400000_NS6detail17trampoline_kernelINS0_13select_configILj256ELj13ELNS0_17block_load_methodE3ELS4_3ELS4_3ELNS0_20block_scan_algorithmE0ELj4294967295EEENS1_25partition_config_selectorILNS1_17partition_subalgoE3EjNS0_10empty_typeEbEEZZNS1_14partition_implILS8_3ELb0ES6_jNS0_17counting_iteratorIjlEEPS9_SE_NS0_5tupleIJPjSE_EEENSF_IJSE_SE_EEES9_SG_JZNS1_25segmented_radix_sort_implINS0_14default_configELb0EPKsPsPKlPlN2at6native12_GLOBAL__N_18offset_tEEE10hipError_tPvRmT1_PNSt15iterator_traitsISY_E10value_typeET2_T3_PNSZ_IS14_E10value_typeET4_jRbjT5_S1A_jjP12ihipStream_tbEUljE_EEESV_SW_SX_S14_S18_S1A_T6_T7_T9_mT8_S1C_bDpT10_ENKUlT_T0_E_clISt17integral_constantIbLb0EES1P_EEDaS1K_S1L_EUlS1K_E_NS1_11comp_targetILNS1_3genE4ELNS1_11target_archE910ELNS1_3gpuE8ELNS1_3repE0EEENS1_30default_config_static_selectorELNS0_4arch9wavefront6targetE0EEEvSY_,@function
_ZN7rocprim17ROCPRIM_400000_NS6detail17trampoline_kernelINS0_13select_configILj256ELj13ELNS0_17block_load_methodE3ELS4_3ELS4_3ELNS0_20block_scan_algorithmE0ELj4294967295EEENS1_25partition_config_selectorILNS1_17partition_subalgoE3EjNS0_10empty_typeEbEEZZNS1_14partition_implILS8_3ELb0ES6_jNS0_17counting_iteratorIjlEEPS9_SE_NS0_5tupleIJPjSE_EEENSF_IJSE_SE_EEES9_SG_JZNS1_25segmented_radix_sort_implINS0_14default_configELb0EPKsPsPKlPlN2at6native12_GLOBAL__N_18offset_tEEE10hipError_tPvRmT1_PNSt15iterator_traitsISY_E10value_typeET2_T3_PNSZ_IS14_E10value_typeET4_jRbjT5_S1A_jjP12ihipStream_tbEUljE_EEESV_SW_SX_S14_S18_S1A_T6_T7_T9_mT8_S1C_bDpT10_ENKUlT_T0_E_clISt17integral_constantIbLb0EES1P_EEDaS1K_S1L_EUlS1K_E_NS1_11comp_targetILNS1_3genE4ELNS1_11target_archE910ELNS1_3gpuE8ELNS1_3repE0EEENS1_30default_config_static_selectorELNS0_4arch9wavefront6targetE0EEEvSY_: ; @_ZN7rocprim17ROCPRIM_400000_NS6detail17trampoline_kernelINS0_13select_configILj256ELj13ELNS0_17block_load_methodE3ELS4_3ELS4_3ELNS0_20block_scan_algorithmE0ELj4294967295EEENS1_25partition_config_selectorILNS1_17partition_subalgoE3EjNS0_10empty_typeEbEEZZNS1_14partition_implILS8_3ELb0ES6_jNS0_17counting_iteratorIjlEEPS9_SE_NS0_5tupleIJPjSE_EEENSF_IJSE_SE_EEES9_SG_JZNS1_25segmented_radix_sort_implINS0_14default_configELb0EPKsPsPKlPlN2at6native12_GLOBAL__N_18offset_tEEE10hipError_tPvRmT1_PNSt15iterator_traitsISY_E10value_typeET2_T3_PNSZ_IS14_E10value_typeET4_jRbjT5_S1A_jjP12ihipStream_tbEUljE_EEESV_SW_SX_S14_S18_S1A_T6_T7_T9_mT8_S1C_bDpT10_ENKUlT_T0_E_clISt17integral_constantIbLb0EES1P_EEDaS1K_S1L_EUlS1K_E_NS1_11comp_targetILNS1_3genE4ELNS1_11target_archE910ELNS1_3gpuE8ELNS1_3repE0EEENS1_30default_config_static_selectorELNS0_4arch9wavefront6targetE0EEEvSY_
; %bb.0:
	.section	.rodata,"a",@progbits
	.p2align	6, 0x0
	.amdhsa_kernel _ZN7rocprim17ROCPRIM_400000_NS6detail17trampoline_kernelINS0_13select_configILj256ELj13ELNS0_17block_load_methodE3ELS4_3ELS4_3ELNS0_20block_scan_algorithmE0ELj4294967295EEENS1_25partition_config_selectorILNS1_17partition_subalgoE3EjNS0_10empty_typeEbEEZZNS1_14partition_implILS8_3ELb0ES6_jNS0_17counting_iteratorIjlEEPS9_SE_NS0_5tupleIJPjSE_EEENSF_IJSE_SE_EEES9_SG_JZNS1_25segmented_radix_sort_implINS0_14default_configELb0EPKsPsPKlPlN2at6native12_GLOBAL__N_18offset_tEEE10hipError_tPvRmT1_PNSt15iterator_traitsISY_E10value_typeET2_T3_PNSZ_IS14_E10value_typeET4_jRbjT5_S1A_jjP12ihipStream_tbEUljE_EEESV_SW_SX_S14_S18_S1A_T6_T7_T9_mT8_S1C_bDpT10_ENKUlT_T0_E_clISt17integral_constantIbLb0EES1P_EEDaS1K_S1L_EUlS1K_E_NS1_11comp_targetILNS1_3genE4ELNS1_11target_archE910ELNS1_3gpuE8ELNS1_3repE0EEENS1_30default_config_static_selectorELNS0_4arch9wavefront6targetE0EEEvSY_
		.amdhsa_group_segment_fixed_size 0
		.amdhsa_private_segment_fixed_size 0
		.amdhsa_kernarg_size 144
		.amdhsa_user_sgpr_count 6
		.amdhsa_user_sgpr_private_segment_buffer 1
		.amdhsa_user_sgpr_dispatch_ptr 0
		.amdhsa_user_sgpr_queue_ptr 0
		.amdhsa_user_sgpr_kernarg_segment_ptr 1
		.amdhsa_user_sgpr_dispatch_id 0
		.amdhsa_user_sgpr_flat_scratch_init 0
		.amdhsa_user_sgpr_private_segment_size 0
		.amdhsa_wavefront_size32 1
		.amdhsa_uses_dynamic_stack 0
		.amdhsa_system_sgpr_private_segment_wavefront_offset 0
		.amdhsa_system_sgpr_workgroup_id_x 1
		.amdhsa_system_sgpr_workgroup_id_y 0
		.amdhsa_system_sgpr_workgroup_id_z 0
		.amdhsa_system_sgpr_workgroup_info 0
		.amdhsa_system_vgpr_workitem_id 0
		.amdhsa_next_free_vgpr 1
		.amdhsa_next_free_sgpr 1
		.amdhsa_reserve_vcc 0
		.amdhsa_reserve_flat_scratch 0
		.amdhsa_float_round_mode_32 0
		.amdhsa_float_round_mode_16_64 0
		.amdhsa_float_denorm_mode_32 3
		.amdhsa_float_denorm_mode_16_64 3
		.amdhsa_dx10_clamp 1
		.amdhsa_ieee_mode 1
		.amdhsa_fp16_overflow 0
		.amdhsa_workgroup_processor_mode 1
		.amdhsa_memory_ordered 1
		.amdhsa_forward_progress 1
		.amdhsa_shared_vgpr_count 0
		.amdhsa_exception_fp_ieee_invalid_op 0
		.amdhsa_exception_fp_denorm_src 0
		.amdhsa_exception_fp_ieee_div_zero 0
		.amdhsa_exception_fp_ieee_overflow 0
		.amdhsa_exception_fp_ieee_underflow 0
		.amdhsa_exception_fp_ieee_inexact 0
		.amdhsa_exception_int_div_zero 0
	.end_amdhsa_kernel
	.section	.text._ZN7rocprim17ROCPRIM_400000_NS6detail17trampoline_kernelINS0_13select_configILj256ELj13ELNS0_17block_load_methodE3ELS4_3ELS4_3ELNS0_20block_scan_algorithmE0ELj4294967295EEENS1_25partition_config_selectorILNS1_17partition_subalgoE3EjNS0_10empty_typeEbEEZZNS1_14partition_implILS8_3ELb0ES6_jNS0_17counting_iteratorIjlEEPS9_SE_NS0_5tupleIJPjSE_EEENSF_IJSE_SE_EEES9_SG_JZNS1_25segmented_radix_sort_implINS0_14default_configELb0EPKsPsPKlPlN2at6native12_GLOBAL__N_18offset_tEEE10hipError_tPvRmT1_PNSt15iterator_traitsISY_E10value_typeET2_T3_PNSZ_IS14_E10value_typeET4_jRbjT5_S1A_jjP12ihipStream_tbEUljE_EEESV_SW_SX_S14_S18_S1A_T6_T7_T9_mT8_S1C_bDpT10_ENKUlT_T0_E_clISt17integral_constantIbLb0EES1P_EEDaS1K_S1L_EUlS1K_E_NS1_11comp_targetILNS1_3genE4ELNS1_11target_archE910ELNS1_3gpuE8ELNS1_3repE0EEENS1_30default_config_static_selectorELNS0_4arch9wavefront6targetE0EEEvSY_,"axG",@progbits,_ZN7rocprim17ROCPRIM_400000_NS6detail17trampoline_kernelINS0_13select_configILj256ELj13ELNS0_17block_load_methodE3ELS4_3ELS4_3ELNS0_20block_scan_algorithmE0ELj4294967295EEENS1_25partition_config_selectorILNS1_17partition_subalgoE3EjNS0_10empty_typeEbEEZZNS1_14partition_implILS8_3ELb0ES6_jNS0_17counting_iteratorIjlEEPS9_SE_NS0_5tupleIJPjSE_EEENSF_IJSE_SE_EEES9_SG_JZNS1_25segmented_radix_sort_implINS0_14default_configELb0EPKsPsPKlPlN2at6native12_GLOBAL__N_18offset_tEEE10hipError_tPvRmT1_PNSt15iterator_traitsISY_E10value_typeET2_T3_PNSZ_IS14_E10value_typeET4_jRbjT5_S1A_jjP12ihipStream_tbEUljE_EEESV_SW_SX_S14_S18_S1A_T6_T7_T9_mT8_S1C_bDpT10_ENKUlT_T0_E_clISt17integral_constantIbLb0EES1P_EEDaS1K_S1L_EUlS1K_E_NS1_11comp_targetILNS1_3genE4ELNS1_11target_archE910ELNS1_3gpuE8ELNS1_3repE0EEENS1_30default_config_static_selectorELNS0_4arch9wavefront6targetE0EEEvSY_,comdat
.Lfunc_end977:
	.size	_ZN7rocprim17ROCPRIM_400000_NS6detail17trampoline_kernelINS0_13select_configILj256ELj13ELNS0_17block_load_methodE3ELS4_3ELS4_3ELNS0_20block_scan_algorithmE0ELj4294967295EEENS1_25partition_config_selectorILNS1_17partition_subalgoE3EjNS0_10empty_typeEbEEZZNS1_14partition_implILS8_3ELb0ES6_jNS0_17counting_iteratorIjlEEPS9_SE_NS0_5tupleIJPjSE_EEENSF_IJSE_SE_EEES9_SG_JZNS1_25segmented_radix_sort_implINS0_14default_configELb0EPKsPsPKlPlN2at6native12_GLOBAL__N_18offset_tEEE10hipError_tPvRmT1_PNSt15iterator_traitsISY_E10value_typeET2_T3_PNSZ_IS14_E10value_typeET4_jRbjT5_S1A_jjP12ihipStream_tbEUljE_EEESV_SW_SX_S14_S18_S1A_T6_T7_T9_mT8_S1C_bDpT10_ENKUlT_T0_E_clISt17integral_constantIbLb0EES1P_EEDaS1K_S1L_EUlS1K_E_NS1_11comp_targetILNS1_3genE4ELNS1_11target_archE910ELNS1_3gpuE8ELNS1_3repE0EEENS1_30default_config_static_selectorELNS0_4arch9wavefront6targetE0EEEvSY_, .Lfunc_end977-_ZN7rocprim17ROCPRIM_400000_NS6detail17trampoline_kernelINS0_13select_configILj256ELj13ELNS0_17block_load_methodE3ELS4_3ELS4_3ELNS0_20block_scan_algorithmE0ELj4294967295EEENS1_25partition_config_selectorILNS1_17partition_subalgoE3EjNS0_10empty_typeEbEEZZNS1_14partition_implILS8_3ELb0ES6_jNS0_17counting_iteratorIjlEEPS9_SE_NS0_5tupleIJPjSE_EEENSF_IJSE_SE_EEES9_SG_JZNS1_25segmented_radix_sort_implINS0_14default_configELb0EPKsPsPKlPlN2at6native12_GLOBAL__N_18offset_tEEE10hipError_tPvRmT1_PNSt15iterator_traitsISY_E10value_typeET2_T3_PNSZ_IS14_E10value_typeET4_jRbjT5_S1A_jjP12ihipStream_tbEUljE_EEESV_SW_SX_S14_S18_S1A_T6_T7_T9_mT8_S1C_bDpT10_ENKUlT_T0_E_clISt17integral_constantIbLb0EES1P_EEDaS1K_S1L_EUlS1K_E_NS1_11comp_targetILNS1_3genE4ELNS1_11target_archE910ELNS1_3gpuE8ELNS1_3repE0EEENS1_30default_config_static_selectorELNS0_4arch9wavefront6targetE0EEEvSY_
                                        ; -- End function
	.set _ZN7rocprim17ROCPRIM_400000_NS6detail17trampoline_kernelINS0_13select_configILj256ELj13ELNS0_17block_load_methodE3ELS4_3ELS4_3ELNS0_20block_scan_algorithmE0ELj4294967295EEENS1_25partition_config_selectorILNS1_17partition_subalgoE3EjNS0_10empty_typeEbEEZZNS1_14partition_implILS8_3ELb0ES6_jNS0_17counting_iteratorIjlEEPS9_SE_NS0_5tupleIJPjSE_EEENSF_IJSE_SE_EEES9_SG_JZNS1_25segmented_radix_sort_implINS0_14default_configELb0EPKsPsPKlPlN2at6native12_GLOBAL__N_18offset_tEEE10hipError_tPvRmT1_PNSt15iterator_traitsISY_E10value_typeET2_T3_PNSZ_IS14_E10value_typeET4_jRbjT5_S1A_jjP12ihipStream_tbEUljE_EEESV_SW_SX_S14_S18_S1A_T6_T7_T9_mT8_S1C_bDpT10_ENKUlT_T0_E_clISt17integral_constantIbLb0EES1P_EEDaS1K_S1L_EUlS1K_E_NS1_11comp_targetILNS1_3genE4ELNS1_11target_archE910ELNS1_3gpuE8ELNS1_3repE0EEENS1_30default_config_static_selectorELNS0_4arch9wavefront6targetE0EEEvSY_.num_vgpr, 0
	.set _ZN7rocprim17ROCPRIM_400000_NS6detail17trampoline_kernelINS0_13select_configILj256ELj13ELNS0_17block_load_methodE3ELS4_3ELS4_3ELNS0_20block_scan_algorithmE0ELj4294967295EEENS1_25partition_config_selectorILNS1_17partition_subalgoE3EjNS0_10empty_typeEbEEZZNS1_14partition_implILS8_3ELb0ES6_jNS0_17counting_iteratorIjlEEPS9_SE_NS0_5tupleIJPjSE_EEENSF_IJSE_SE_EEES9_SG_JZNS1_25segmented_radix_sort_implINS0_14default_configELb0EPKsPsPKlPlN2at6native12_GLOBAL__N_18offset_tEEE10hipError_tPvRmT1_PNSt15iterator_traitsISY_E10value_typeET2_T3_PNSZ_IS14_E10value_typeET4_jRbjT5_S1A_jjP12ihipStream_tbEUljE_EEESV_SW_SX_S14_S18_S1A_T6_T7_T9_mT8_S1C_bDpT10_ENKUlT_T0_E_clISt17integral_constantIbLb0EES1P_EEDaS1K_S1L_EUlS1K_E_NS1_11comp_targetILNS1_3genE4ELNS1_11target_archE910ELNS1_3gpuE8ELNS1_3repE0EEENS1_30default_config_static_selectorELNS0_4arch9wavefront6targetE0EEEvSY_.num_agpr, 0
	.set _ZN7rocprim17ROCPRIM_400000_NS6detail17trampoline_kernelINS0_13select_configILj256ELj13ELNS0_17block_load_methodE3ELS4_3ELS4_3ELNS0_20block_scan_algorithmE0ELj4294967295EEENS1_25partition_config_selectorILNS1_17partition_subalgoE3EjNS0_10empty_typeEbEEZZNS1_14partition_implILS8_3ELb0ES6_jNS0_17counting_iteratorIjlEEPS9_SE_NS0_5tupleIJPjSE_EEENSF_IJSE_SE_EEES9_SG_JZNS1_25segmented_radix_sort_implINS0_14default_configELb0EPKsPsPKlPlN2at6native12_GLOBAL__N_18offset_tEEE10hipError_tPvRmT1_PNSt15iterator_traitsISY_E10value_typeET2_T3_PNSZ_IS14_E10value_typeET4_jRbjT5_S1A_jjP12ihipStream_tbEUljE_EEESV_SW_SX_S14_S18_S1A_T6_T7_T9_mT8_S1C_bDpT10_ENKUlT_T0_E_clISt17integral_constantIbLb0EES1P_EEDaS1K_S1L_EUlS1K_E_NS1_11comp_targetILNS1_3genE4ELNS1_11target_archE910ELNS1_3gpuE8ELNS1_3repE0EEENS1_30default_config_static_selectorELNS0_4arch9wavefront6targetE0EEEvSY_.numbered_sgpr, 0
	.set _ZN7rocprim17ROCPRIM_400000_NS6detail17trampoline_kernelINS0_13select_configILj256ELj13ELNS0_17block_load_methodE3ELS4_3ELS4_3ELNS0_20block_scan_algorithmE0ELj4294967295EEENS1_25partition_config_selectorILNS1_17partition_subalgoE3EjNS0_10empty_typeEbEEZZNS1_14partition_implILS8_3ELb0ES6_jNS0_17counting_iteratorIjlEEPS9_SE_NS0_5tupleIJPjSE_EEENSF_IJSE_SE_EEES9_SG_JZNS1_25segmented_radix_sort_implINS0_14default_configELb0EPKsPsPKlPlN2at6native12_GLOBAL__N_18offset_tEEE10hipError_tPvRmT1_PNSt15iterator_traitsISY_E10value_typeET2_T3_PNSZ_IS14_E10value_typeET4_jRbjT5_S1A_jjP12ihipStream_tbEUljE_EEESV_SW_SX_S14_S18_S1A_T6_T7_T9_mT8_S1C_bDpT10_ENKUlT_T0_E_clISt17integral_constantIbLb0EES1P_EEDaS1K_S1L_EUlS1K_E_NS1_11comp_targetILNS1_3genE4ELNS1_11target_archE910ELNS1_3gpuE8ELNS1_3repE0EEENS1_30default_config_static_selectorELNS0_4arch9wavefront6targetE0EEEvSY_.num_named_barrier, 0
	.set _ZN7rocprim17ROCPRIM_400000_NS6detail17trampoline_kernelINS0_13select_configILj256ELj13ELNS0_17block_load_methodE3ELS4_3ELS4_3ELNS0_20block_scan_algorithmE0ELj4294967295EEENS1_25partition_config_selectorILNS1_17partition_subalgoE3EjNS0_10empty_typeEbEEZZNS1_14partition_implILS8_3ELb0ES6_jNS0_17counting_iteratorIjlEEPS9_SE_NS0_5tupleIJPjSE_EEENSF_IJSE_SE_EEES9_SG_JZNS1_25segmented_radix_sort_implINS0_14default_configELb0EPKsPsPKlPlN2at6native12_GLOBAL__N_18offset_tEEE10hipError_tPvRmT1_PNSt15iterator_traitsISY_E10value_typeET2_T3_PNSZ_IS14_E10value_typeET4_jRbjT5_S1A_jjP12ihipStream_tbEUljE_EEESV_SW_SX_S14_S18_S1A_T6_T7_T9_mT8_S1C_bDpT10_ENKUlT_T0_E_clISt17integral_constantIbLb0EES1P_EEDaS1K_S1L_EUlS1K_E_NS1_11comp_targetILNS1_3genE4ELNS1_11target_archE910ELNS1_3gpuE8ELNS1_3repE0EEENS1_30default_config_static_selectorELNS0_4arch9wavefront6targetE0EEEvSY_.private_seg_size, 0
	.set _ZN7rocprim17ROCPRIM_400000_NS6detail17trampoline_kernelINS0_13select_configILj256ELj13ELNS0_17block_load_methodE3ELS4_3ELS4_3ELNS0_20block_scan_algorithmE0ELj4294967295EEENS1_25partition_config_selectorILNS1_17partition_subalgoE3EjNS0_10empty_typeEbEEZZNS1_14partition_implILS8_3ELb0ES6_jNS0_17counting_iteratorIjlEEPS9_SE_NS0_5tupleIJPjSE_EEENSF_IJSE_SE_EEES9_SG_JZNS1_25segmented_radix_sort_implINS0_14default_configELb0EPKsPsPKlPlN2at6native12_GLOBAL__N_18offset_tEEE10hipError_tPvRmT1_PNSt15iterator_traitsISY_E10value_typeET2_T3_PNSZ_IS14_E10value_typeET4_jRbjT5_S1A_jjP12ihipStream_tbEUljE_EEESV_SW_SX_S14_S18_S1A_T6_T7_T9_mT8_S1C_bDpT10_ENKUlT_T0_E_clISt17integral_constantIbLb0EES1P_EEDaS1K_S1L_EUlS1K_E_NS1_11comp_targetILNS1_3genE4ELNS1_11target_archE910ELNS1_3gpuE8ELNS1_3repE0EEENS1_30default_config_static_selectorELNS0_4arch9wavefront6targetE0EEEvSY_.uses_vcc, 0
	.set _ZN7rocprim17ROCPRIM_400000_NS6detail17trampoline_kernelINS0_13select_configILj256ELj13ELNS0_17block_load_methodE3ELS4_3ELS4_3ELNS0_20block_scan_algorithmE0ELj4294967295EEENS1_25partition_config_selectorILNS1_17partition_subalgoE3EjNS0_10empty_typeEbEEZZNS1_14partition_implILS8_3ELb0ES6_jNS0_17counting_iteratorIjlEEPS9_SE_NS0_5tupleIJPjSE_EEENSF_IJSE_SE_EEES9_SG_JZNS1_25segmented_radix_sort_implINS0_14default_configELb0EPKsPsPKlPlN2at6native12_GLOBAL__N_18offset_tEEE10hipError_tPvRmT1_PNSt15iterator_traitsISY_E10value_typeET2_T3_PNSZ_IS14_E10value_typeET4_jRbjT5_S1A_jjP12ihipStream_tbEUljE_EEESV_SW_SX_S14_S18_S1A_T6_T7_T9_mT8_S1C_bDpT10_ENKUlT_T0_E_clISt17integral_constantIbLb0EES1P_EEDaS1K_S1L_EUlS1K_E_NS1_11comp_targetILNS1_3genE4ELNS1_11target_archE910ELNS1_3gpuE8ELNS1_3repE0EEENS1_30default_config_static_selectorELNS0_4arch9wavefront6targetE0EEEvSY_.uses_flat_scratch, 0
	.set _ZN7rocprim17ROCPRIM_400000_NS6detail17trampoline_kernelINS0_13select_configILj256ELj13ELNS0_17block_load_methodE3ELS4_3ELS4_3ELNS0_20block_scan_algorithmE0ELj4294967295EEENS1_25partition_config_selectorILNS1_17partition_subalgoE3EjNS0_10empty_typeEbEEZZNS1_14partition_implILS8_3ELb0ES6_jNS0_17counting_iteratorIjlEEPS9_SE_NS0_5tupleIJPjSE_EEENSF_IJSE_SE_EEES9_SG_JZNS1_25segmented_radix_sort_implINS0_14default_configELb0EPKsPsPKlPlN2at6native12_GLOBAL__N_18offset_tEEE10hipError_tPvRmT1_PNSt15iterator_traitsISY_E10value_typeET2_T3_PNSZ_IS14_E10value_typeET4_jRbjT5_S1A_jjP12ihipStream_tbEUljE_EEESV_SW_SX_S14_S18_S1A_T6_T7_T9_mT8_S1C_bDpT10_ENKUlT_T0_E_clISt17integral_constantIbLb0EES1P_EEDaS1K_S1L_EUlS1K_E_NS1_11comp_targetILNS1_3genE4ELNS1_11target_archE910ELNS1_3gpuE8ELNS1_3repE0EEENS1_30default_config_static_selectorELNS0_4arch9wavefront6targetE0EEEvSY_.has_dyn_sized_stack, 0
	.set _ZN7rocprim17ROCPRIM_400000_NS6detail17trampoline_kernelINS0_13select_configILj256ELj13ELNS0_17block_load_methodE3ELS4_3ELS4_3ELNS0_20block_scan_algorithmE0ELj4294967295EEENS1_25partition_config_selectorILNS1_17partition_subalgoE3EjNS0_10empty_typeEbEEZZNS1_14partition_implILS8_3ELb0ES6_jNS0_17counting_iteratorIjlEEPS9_SE_NS0_5tupleIJPjSE_EEENSF_IJSE_SE_EEES9_SG_JZNS1_25segmented_radix_sort_implINS0_14default_configELb0EPKsPsPKlPlN2at6native12_GLOBAL__N_18offset_tEEE10hipError_tPvRmT1_PNSt15iterator_traitsISY_E10value_typeET2_T3_PNSZ_IS14_E10value_typeET4_jRbjT5_S1A_jjP12ihipStream_tbEUljE_EEESV_SW_SX_S14_S18_S1A_T6_T7_T9_mT8_S1C_bDpT10_ENKUlT_T0_E_clISt17integral_constantIbLb0EES1P_EEDaS1K_S1L_EUlS1K_E_NS1_11comp_targetILNS1_3genE4ELNS1_11target_archE910ELNS1_3gpuE8ELNS1_3repE0EEENS1_30default_config_static_selectorELNS0_4arch9wavefront6targetE0EEEvSY_.has_recursion, 0
	.set _ZN7rocprim17ROCPRIM_400000_NS6detail17trampoline_kernelINS0_13select_configILj256ELj13ELNS0_17block_load_methodE3ELS4_3ELS4_3ELNS0_20block_scan_algorithmE0ELj4294967295EEENS1_25partition_config_selectorILNS1_17partition_subalgoE3EjNS0_10empty_typeEbEEZZNS1_14partition_implILS8_3ELb0ES6_jNS0_17counting_iteratorIjlEEPS9_SE_NS0_5tupleIJPjSE_EEENSF_IJSE_SE_EEES9_SG_JZNS1_25segmented_radix_sort_implINS0_14default_configELb0EPKsPsPKlPlN2at6native12_GLOBAL__N_18offset_tEEE10hipError_tPvRmT1_PNSt15iterator_traitsISY_E10value_typeET2_T3_PNSZ_IS14_E10value_typeET4_jRbjT5_S1A_jjP12ihipStream_tbEUljE_EEESV_SW_SX_S14_S18_S1A_T6_T7_T9_mT8_S1C_bDpT10_ENKUlT_T0_E_clISt17integral_constantIbLb0EES1P_EEDaS1K_S1L_EUlS1K_E_NS1_11comp_targetILNS1_3genE4ELNS1_11target_archE910ELNS1_3gpuE8ELNS1_3repE0EEENS1_30default_config_static_selectorELNS0_4arch9wavefront6targetE0EEEvSY_.has_indirect_call, 0
	.section	.AMDGPU.csdata,"",@progbits
; Kernel info:
; codeLenInByte = 0
; TotalNumSgprs: 0
; NumVgprs: 0
; ScratchSize: 0
; MemoryBound: 0
; FloatMode: 240
; IeeeMode: 1
; LDSByteSize: 0 bytes/workgroup (compile time only)
; SGPRBlocks: 0
; VGPRBlocks: 0
; NumSGPRsForWavesPerEU: 1
; NumVGPRsForWavesPerEU: 1
; Occupancy: 16
; WaveLimiterHint : 0
; COMPUTE_PGM_RSRC2:SCRATCH_EN: 0
; COMPUTE_PGM_RSRC2:USER_SGPR: 6
; COMPUTE_PGM_RSRC2:TRAP_HANDLER: 0
; COMPUTE_PGM_RSRC2:TGID_X_EN: 1
; COMPUTE_PGM_RSRC2:TGID_Y_EN: 0
; COMPUTE_PGM_RSRC2:TGID_Z_EN: 0
; COMPUTE_PGM_RSRC2:TIDIG_COMP_CNT: 0
	.section	.text._ZN7rocprim17ROCPRIM_400000_NS6detail17trampoline_kernelINS0_13select_configILj256ELj13ELNS0_17block_load_methodE3ELS4_3ELS4_3ELNS0_20block_scan_algorithmE0ELj4294967295EEENS1_25partition_config_selectorILNS1_17partition_subalgoE3EjNS0_10empty_typeEbEEZZNS1_14partition_implILS8_3ELb0ES6_jNS0_17counting_iteratorIjlEEPS9_SE_NS0_5tupleIJPjSE_EEENSF_IJSE_SE_EEES9_SG_JZNS1_25segmented_radix_sort_implINS0_14default_configELb0EPKsPsPKlPlN2at6native12_GLOBAL__N_18offset_tEEE10hipError_tPvRmT1_PNSt15iterator_traitsISY_E10value_typeET2_T3_PNSZ_IS14_E10value_typeET4_jRbjT5_S1A_jjP12ihipStream_tbEUljE_EEESV_SW_SX_S14_S18_S1A_T6_T7_T9_mT8_S1C_bDpT10_ENKUlT_T0_E_clISt17integral_constantIbLb0EES1P_EEDaS1K_S1L_EUlS1K_E_NS1_11comp_targetILNS1_3genE3ELNS1_11target_archE908ELNS1_3gpuE7ELNS1_3repE0EEENS1_30default_config_static_selectorELNS0_4arch9wavefront6targetE0EEEvSY_,"axG",@progbits,_ZN7rocprim17ROCPRIM_400000_NS6detail17trampoline_kernelINS0_13select_configILj256ELj13ELNS0_17block_load_methodE3ELS4_3ELS4_3ELNS0_20block_scan_algorithmE0ELj4294967295EEENS1_25partition_config_selectorILNS1_17partition_subalgoE3EjNS0_10empty_typeEbEEZZNS1_14partition_implILS8_3ELb0ES6_jNS0_17counting_iteratorIjlEEPS9_SE_NS0_5tupleIJPjSE_EEENSF_IJSE_SE_EEES9_SG_JZNS1_25segmented_radix_sort_implINS0_14default_configELb0EPKsPsPKlPlN2at6native12_GLOBAL__N_18offset_tEEE10hipError_tPvRmT1_PNSt15iterator_traitsISY_E10value_typeET2_T3_PNSZ_IS14_E10value_typeET4_jRbjT5_S1A_jjP12ihipStream_tbEUljE_EEESV_SW_SX_S14_S18_S1A_T6_T7_T9_mT8_S1C_bDpT10_ENKUlT_T0_E_clISt17integral_constantIbLb0EES1P_EEDaS1K_S1L_EUlS1K_E_NS1_11comp_targetILNS1_3genE3ELNS1_11target_archE908ELNS1_3gpuE7ELNS1_3repE0EEENS1_30default_config_static_selectorELNS0_4arch9wavefront6targetE0EEEvSY_,comdat
	.globl	_ZN7rocprim17ROCPRIM_400000_NS6detail17trampoline_kernelINS0_13select_configILj256ELj13ELNS0_17block_load_methodE3ELS4_3ELS4_3ELNS0_20block_scan_algorithmE0ELj4294967295EEENS1_25partition_config_selectorILNS1_17partition_subalgoE3EjNS0_10empty_typeEbEEZZNS1_14partition_implILS8_3ELb0ES6_jNS0_17counting_iteratorIjlEEPS9_SE_NS0_5tupleIJPjSE_EEENSF_IJSE_SE_EEES9_SG_JZNS1_25segmented_radix_sort_implINS0_14default_configELb0EPKsPsPKlPlN2at6native12_GLOBAL__N_18offset_tEEE10hipError_tPvRmT1_PNSt15iterator_traitsISY_E10value_typeET2_T3_PNSZ_IS14_E10value_typeET4_jRbjT5_S1A_jjP12ihipStream_tbEUljE_EEESV_SW_SX_S14_S18_S1A_T6_T7_T9_mT8_S1C_bDpT10_ENKUlT_T0_E_clISt17integral_constantIbLb0EES1P_EEDaS1K_S1L_EUlS1K_E_NS1_11comp_targetILNS1_3genE3ELNS1_11target_archE908ELNS1_3gpuE7ELNS1_3repE0EEENS1_30default_config_static_selectorELNS0_4arch9wavefront6targetE0EEEvSY_ ; -- Begin function _ZN7rocprim17ROCPRIM_400000_NS6detail17trampoline_kernelINS0_13select_configILj256ELj13ELNS0_17block_load_methodE3ELS4_3ELS4_3ELNS0_20block_scan_algorithmE0ELj4294967295EEENS1_25partition_config_selectorILNS1_17partition_subalgoE3EjNS0_10empty_typeEbEEZZNS1_14partition_implILS8_3ELb0ES6_jNS0_17counting_iteratorIjlEEPS9_SE_NS0_5tupleIJPjSE_EEENSF_IJSE_SE_EEES9_SG_JZNS1_25segmented_radix_sort_implINS0_14default_configELb0EPKsPsPKlPlN2at6native12_GLOBAL__N_18offset_tEEE10hipError_tPvRmT1_PNSt15iterator_traitsISY_E10value_typeET2_T3_PNSZ_IS14_E10value_typeET4_jRbjT5_S1A_jjP12ihipStream_tbEUljE_EEESV_SW_SX_S14_S18_S1A_T6_T7_T9_mT8_S1C_bDpT10_ENKUlT_T0_E_clISt17integral_constantIbLb0EES1P_EEDaS1K_S1L_EUlS1K_E_NS1_11comp_targetILNS1_3genE3ELNS1_11target_archE908ELNS1_3gpuE7ELNS1_3repE0EEENS1_30default_config_static_selectorELNS0_4arch9wavefront6targetE0EEEvSY_
	.p2align	8
	.type	_ZN7rocprim17ROCPRIM_400000_NS6detail17trampoline_kernelINS0_13select_configILj256ELj13ELNS0_17block_load_methodE3ELS4_3ELS4_3ELNS0_20block_scan_algorithmE0ELj4294967295EEENS1_25partition_config_selectorILNS1_17partition_subalgoE3EjNS0_10empty_typeEbEEZZNS1_14partition_implILS8_3ELb0ES6_jNS0_17counting_iteratorIjlEEPS9_SE_NS0_5tupleIJPjSE_EEENSF_IJSE_SE_EEES9_SG_JZNS1_25segmented_radix_sort_implINS0_14default_configELb0EPKsPsPKlPlN2at6native12_GLOBAL__N_18offset_tEEE10hipError_tPvRmT1_PNSt15iterator_traitsISY_E10value_typeET2_T3_PNSZ_IS14_E10value_typeET4_jRbjT5_S1A_jjP12ihipStream_tbEUljE_EEESV_SW_SX_S14_S18_S1A_T6_T7_T9_mT8_S1C_bDpT10_ENKUlT_T0_E_clISt17integral_constantIbLb0EES1P_EEDaS1K_S1L_EUlS1K_E_NS1_11comp_targetILNS1_3genE3ELNS1_11target_archE908ELNS1_3gpuE7ELNS1_3repE0EEENS1_30default_config_static_selectorELNS0_4arch9wavefront6targetE0EEEvSY_,@function
_ZN7rocprim17ROCPRIM_400000_NS6detail17trampoline_kernelINS0_13select_configILj256ELj13ELNS0_17block_load_methodE3ELS4_3ELS4_3ELNS0_20block_scan_algorithmE0ELj4294967295EEENS1_25partition_config_selectorILNS1_17partition_subalgoE3EjNS0_10empty_typeEbEEZZNS1_14partition_implILS8_3ELb0ES6_jNS0_17counting_iteratorIjlEEPS9_SE_NS0_5tupleIJPjSE_EEENSF_IJSE_SE_EEES9_SG_JZNS1_25segmented_radix_sort_implINS0_14default_configELb0EPKsPsPKlPlN2at6native12_GLOBAL__N_18offset_tEEE10hipError_tPvRmT1_PNSt15iterator_traitsISY_E10value_typeET2_T3_PNSZ_IS14_E10value_typeET4_jRbjT5_S1A_jjP12ihipStream_tbEUljE_EEESV_SW_SX_S14_S18_S1A_T6_T7_T9_mT8_S1C_bDpT10_ENKUlT_T0_E_clISt17integral_constantIbLb0EES1P_EEDaS1K_S1L_EUlS1K_E_NS1_11comp_targetILNS1_3genE3ELNS1_11target_archE908ELNS1_3gpuE7ELNS1_3repE0EEENS1_30default_config_static_selectorELNS0_4arch9wavefront6targetE0EEEvSY_: ; @_ZN7rocprim17ROCPRIM_400000_NS6detail17trampoline_kernelINS0_13select_configILj256ELj13ELNS0_17block_load_methodE3ELS4_3ELS4_3ELNS0_20block_scan_algorithmE0ELj4294967295EEENS1_25partition_config_selectorILNS1_17partition_subalgoE3EjNS0_10empty_typeEbEEZZNS1_14partition_implILS8_3ELb0ES6_jNS0_17counting_iteratorIjlEEPS9_SE_NS0_5tupleIJPjSE_EEENSF_IJSE_SE_EEES9_SG_JZNS1_25segmented_radix_sort_implINS0_14default_configELb0EPKsPsPKlPlN2at6native12_GLOBAL__N_18offset_tEEE10hipError_tPvRmT1_PNSt15iterator_traitsISY_E10value_typeET2_T3_PNSZ_IS14_E10value_typeET4_jRbjT5_S1A_jjP12ihipStream_tbEUljE_EEESV_SW_SX_S14_S18_S1A_T6_T7_T9_mT8_S1C_bDpT10_ENKUlT_T0_E_clISt17integral_constantIbLb0EES1P_EEDaS1K_S1L_EUlS1K_E_NS1_11comp_targetILNS1_3genE3ELNS1_11target_archE908ELNS1_3gpuE7ELNS1_3repE0EEENS1_30default_config_static_selectorELNS0_4arch9wavefront6targetE0EEEvSY_
; %bb.0:
	.section	.rodata,"a",@progbits
	.p2align	6, 0x0
	.amdhsa_kernel _ZN7rocprim17ROCPRIM_400000_NS6detail17trampoline_kernelINS0_13select_configILj256ELj13ELNS0_17block_load_methodE3ELS4_3ELS4_3ELNS0_20block_scan_algorithmE0ELj4294967295EEENS1_25partition_config_selectorILNS1_17partition_subalgoE3EjNS0_10empty_typeEbEEZZNS1_14partition_implILS8_3ELb0ES6_jNS0_17counting_iteratorIjlEEPS9_SE_NS0_5tupleIJPjSE_EEENSF_IJSE_SE_EEES9_SG_JZNS1_25segmented_radix_sort_implINS0_14default_configELb0EPKsPsPKlPlN2at6native12_GLOBAL__N_18offset_tEEE10hipError_tPvRmT1_PNSt15iterator_traitsISY_E10value_typeET2_T3_PNSZ_IS14_E10value_typeET4_jRbjT5_S1A_jjP12ihipStream_tbEUljE_EEESV_SW_SX_S14_S18_S1A_T6_T7_T9_mT8_S1C_bDpT10_ENKUlT_T0_E_clISt17integral_constantIbLb0EES1P_EEDaS1K_S1L_EUlS1K_E_NS1_11comp_targetILNS1_3genE3ELNS1_11target_archE908ELNS1_3gpuE7ELNS1_3repE0EEENS1_30default_config_static_selectorELNS0_4arch9wavefront6targetE0EEEvSY_
		.amdhsa_group_segment_fixed_size 0
		.amdhsa_private_segment_fixed_size 0
		.amdhsa_kernarg_size 144
		.amdhsa_user_sgpr_count 6
		.amdhsa_user_sgpr_private_segment_buffer 1
		.amdhsa_user_sgpr_dispatch_ptr 0
		.amdhsa_user_sgpr_queue_ptr 0
		.amdhsa_user_sgpr_kernarg_segment_ptr 1
		.amdhsa_user_sgpr_dispatch_id 0
		.amdhsa_user_sgpr_flat_scratch_init 0
		.amdhsa_user_sgpr_private_segment_size 0
		.amdhsa_wavefront_size32 1
		.amdhsa_uses_dynamic_stack 0
		.amdhsa_system_sgpr_private_segment_wavefront_offset 0
		.amdhsa_system_sgpr_workgroup_id_x 1
		.amdhsa_system_sgpr_workgroup_id_y 0
		.amdhsa_system_sgpr_workgroup_id_z 0
		.amdhsa_system_sgpr_workgroup_info 0
		.amdhsa_system_vgpr_workitem_id 0
		.amdhsa_next_free_vgpr 1
		.amdhsa_next_free_sgpr 1
		.amdhsa_reserve_vcc 0
		.amdhsa_reserve_flat_scratch 0
		.amdhsa_float_round_mode_32 0
		.amdhsa_float_round_mode_16_64 0
		.amdhsa_float_denorm_mode_32 3
		.amdhsa_float_denorm_mode_16_64 3
		.amdhsa_dx10_clamp 1
		.amdhsa_ieee_mode 1
		.amdhsa_fp16_overflow 0
		.amdhsa_workgroup_processor_mode 1
		.amdhsa_memory_ordered 1
		.amdhsa_forward_progress 1
		.amdhsa_shared_vgpr_count 0
		.amdhsa_exception_fp_ieee_invalid_op 0
		.amdhsa_exception_fp_denorm_src 0
		.amdhsa_exception_fp_ieee_div_zero 0
		.amdhsa_exception_fp_ieee_overflow 0
		.amdhsa_exception_fp_ieee_underflow 0
		.amdhsa_exception_fp_ieee_inexact 0
		.amdhsa_exception_int_div_zero 0
	.end_amdhsa_kernel
	.section	.text._ZN7rocprim17ROCPRIM_400000_NS6detail17trampoline_kernelINS0_13select_configILj256ELj13ELNS0_17block_load_methodE3ELS4_3ELS4_3ELNS0_20block_scan_algorithmE0ELj4294967295EEENS1_25partition_config_selectorILNS1_17partition_subalgoE3EjNS0_10empty_typeEbEEZZNS1_14partition_implILS8_3ELb0ES6_jNS0_17counting_iteratorIjlEEPS9_SE_NS0_5tupleIJPjSE_EEENSF_IJSE_SE_EEES9_SG_JZNS1_25segmented_radix_sort_implINS0_14default_configELb0EPKsPsPKlPlN2at6native12_GLOBAL__N_18offset_tEEE10hipError_tPvRmT1_PNSt15iterator_traitsISY_E10value_typeET2_T3_PNSZ_IS14_E10value_typeET4_jRbjT5_S1A_jjP12ihipStream_tbEUljE_EEESV_SW_SX_S14_S18_S1A_T6_T7_T9_mT8_S1C_bDpT10_ENKUlT_T0_E_clISt17integral_constantIbLb0EES1P_EEDaS1K_S1L_EUlS1K_E_NS1_11comp_targetILNS1_3genE3ELNS1_11target_archE908ELNS1_3gpuE7ELNS1_3repE0EEENS1_30default_config_static_selectorELNS0_4arch9wavefront6targetE0EEEvSY_,"axG",@progbits,_ZN7rocprim17ROCPRIM_400000_NS6detail17trampoline_kernelINS0_13select_configILj256ELj13ELNS0_17block_load_methodE3ELS4_3ELS4_3ELNS0_20block_scan_algorithmE0ELj4294967295EEENS1_25partition_config_selectorILNS1_17partition_subalgoE3EjNS0_10empty_typeEbEEZZNS1_14partition_implILS8_3ELb0ES6_jNS0_17counting_iteratorIjlEEPS9_SE_NS0_5tupleIJPjSE_EEENSF_IJSE_SE_EEES9_SG_JZNS1_25segmented_radix_sort_implINS0_14default_configELb0EPKsPsPKlPlN2at6native12_GLOBAL__N_18offset_tEEE10hipError_tPvRmT1_PNSt15iterator_traitsISY_E10value_typeET2_T3_PNSZ_IS14_E10value_typeET4_jRbjT5_S1A_jjP12ihipStream_tbEUljE_EEESV_SW_SX_S14_S18_S1A_T6_T7_T9_mT8_S1C_bDpT10_ENKUlT_T0_E_clISt17integral_constantIbLb0EES1P_EEDaS1K_S1L_EUlS1K_E_NS1_11comp_targetILNS1_3genE3ELNS1_11target_archE908ELNS1_3gpuE7ELNS1_3repE0EEENS1_30default_config_static_selectorELNS0_4arch9wavefront6targetE0EEEvSY_,comdat
.Lfunc_end978:
	.size	_ZN7rocprim17ROCPRIM_400000_NS6detail17trampoline_kernelINS0_13select_configILj256ELj13ELNS0_17block_load_methodE3ELS4_3ELS4_3ELNS0_20block_scan_algorithmE0ELj4294967295EEENS1_25partition_config_selectorILNS1_17partition_subalgoE3EjNS0_10empty_typeEbEEZZNS1_14partition_implILS8_3ELb0ES6_jNS0_17counting_iteratorIjlEEPS9_SE_NS0_5tupleIJPjSE_EEENSF_IJSE_SE_EEES9_SG_JZNS1_25segmented_radix_sort_implINS0_14default_configELb0EPKsPsPKlPlN2at6native12_GLOBAL__N_18offset_tEEE10hipError_tPvRmT1_PNSt15iterator_traitsISY_E10value_typeET2_T3_PNSZ_IS14_E10value_typeET4_jRbjT5_S1A_jjP12ihipStream_tbEUljE_EEESV_SW_SX_S14_S18_S1A_T6_T7_T9_mT8_S1C_bDpT10_ENKUlT_T0_E_clISt17integral_constantIbLb0EES1P_EEDaS1K_S1L_EUlS1K_E_NS1_11comp_targetILNS1_3genE3ELNS1_11target_archE908ELNS1_3gpuE7ELNS1_3repE0EEENS1_30default_config_static_selectorELNS0_4arch9wavefront6targetE0EEEvSY_, .Lfunc_end978-_ZN7rocprim17ROCPRIM_400000_NS6detail17trampoline_kernelINS0_13select_configILj256ELj13ELNS0_17block_load_methodE3ELS4_3ELS4_3ELNS0_20block_scan_algorithmE0ELj4294967295EEENS1_25partition_config_selectorILNS1_17partition_subalgoE3EjNS0_10empty_typeEbEEZZNS1_14partition_implILS8_3ELb0ES6_jNS0_17counting_iteratorIjlEEPS9_SE_NS0_5tupleIJPjSE_EEENSF_IJSE_SE_EEES9_SG_JZNS1_25segmented_radix_sort_implINS0_14default_configELb0EPKsPsPKlPlN2at6native12_GLOBAL__N_18offset_tEEE10hipError_tPvRmT1_PNSt15iterator_traitsISY_E10value_typeET2_T3_PNSZ_IS14_E10value_typeET4_jRbjT5_S1A_jjP12ihipStream_tbEUljE_EEESV_SW_SX_S14_S18_S1A_T6_T7_T9_mT8_S1C_bDpT10_ENKUlT_T0_E_clISt17integral_constantIbLb0EES1P_EEDaS1K_S1L_EUlS1K_E_NS1_11comp_targetILNS1_3genE3ELNS1_11target_archE908ELNS1_3gpuE7ELNS1_3repE0EEENS1_30default_config_static_selectorELNS0_4arch9wavefront6targetE0EEEvSY_
                                        ; -- End function
	.set _ZN7rocprim17ROCPRIM_400000_NS6detail17trampoline_kernelINS0_13select_configILj256ELj13ELNS0_17block_load_methodE3ELS4_3ELS4_3ELNS0_20block_scan_algorithmE0ELj4294967295EEENS1_25partition_config_selectorILNS1_17partition_subalgoE3EjNS0_10empty_typeEbEEZZNS1_14partition_implILS8_3ELb0ES6_jNS0_17counting_iteratorIjlEEPS9_SE_NS0_5tupleIJPjSE_EEENSF_IJSE_SE_EEES9_SG_JZNS1_25segmented_radix_sort_implINS0_14default_configELb0EPKsPsPKlPlN2at6native12_GLOBAL__N_18offset_tEEE10hipError_tPvRmT1_PNSt15iterator_traitsISY_E10value_typeET2_T3_PNSZ_IS14_E10value_typeET4_jRbjT5_S1A_jjP12ihipStream_tbEUljE_EEESV_SW_SX_S14_S18_S1A_T6_T7_T9_mT8_S1C_bDpT10_ENKUlT_T0_E_clISt17integral_constantIbLb0EES1P_EEDaS1K_S1L_EUlS1K_E_NS1_11comp_targetILNS1_3genE3ELNS1_11target_archE908ELNS1_3gpuE7ELNS1_3repE0EEENS1_30default_config_static_selectorELNS0_4arch9wavefront6targetE0EEEvSY_.num_vgpr, 0
	.set _ZN7rocprim17ROCPRIM_400000_NS6detail17trampoline_kernelINS0_13select_configILj256ELj13ELNS0_17block_load_methodE3ELS4_3ELS4_3ELNS0_20block_scan_algorithmE0ELj4294967295EEENS1_25partition_config_selectorILNS1_17partition_subalgoE3EjNS0_10empty_typeEbEEZZNS1_14partition_implILS8_3ELb0ES6_jNS0_17counting_iteratorIjlEEPS9_SE_NS0_5tupleIJPjSE_EEENSF_IJSE_SE_EEES9_SG_JZNS1_25segmented_radix_sort_implINS0_14default_configELb0EPKsPsPKlPlN2at6native12_GLOBAL__N_18offset_tEEE10hipError_tPvRmT1_PNSt15iterator_traitsISY_E10value_typeET2_T3_PNSZ_IS14_E10value_typeET4_jRbjT5_S1A_jjP12ihipStream_tbEUljE_EEESV_SW_SX_S14_S18_S1A_T6_T7_T9_mT8_S1C_bDpT10_ENKUlT_T0_E_clISt17integral_constantIbLb0EES1P_EEDaS1K_S1L_EUlS1K_E_NS1_11comp_targetILNS1_3genE3ELNS1_11target_archE908ELNS1_3gpuE7ELNS1_3repE0EEENS1_30default_config_static_selectorELNS0_4arch9wavefront6targetE0EEEvSY_.num_agpr, 0
	.set _ZN7rocprim17ROCPRIM_400000_NS6detail17trampoline_kernelINS0_13select_configILj256ELj13ELNS0_17block_load_methodE3ELS4_3ELS4_3ELNS0_20block_scan_algorithmE0ELj4294967295EEENS1_25partition_config_selectorILNS1_17partition_subalgoE3EjNS0_10empty_typeEbEEZZNS1_14partition_implILS8_3ELb0ES6_jNS0_17counting_iteratorIjlEEPS9_SE_NS0_5tupleIJPjSE_EEENSF_IJSE_SE_EEES9_SG_JZNS1_25segmented_radix_sort_implINS0_14default_configELb0EPKsPsPKlPlN2at6native12_GLOBAL__N_18offset_tEEE10hipError_tPvRmT1_PNSt15iterator_traitsISY_E10value_typeET2_T3_PNSZ_IS14_E10value_typeET4_jRbjT5_S1A_jjP12ihipStream_tbEUljE_EEESV_SW_SX_S14_S18_S1A_T6_T7_T9_mT8_S1C_bDpT10_ENKUlT_T0_E_clISt17integral_constantIbLb0EES1P_EEDaS1K_S1L_EUlS1K_E_NS1_11comp_targetILNS1_3genE3ELNS1_11target_archE908ELNS1_3gpuE7ELNS1_3repE0EEENS1_30default_config_static_selectorELNS0_4arch9wavefront6targetE0EEEvSY_.numbered_sgpr, 0
	.set _ZN7rocprim17ROCPRIM_400000_NS6detail17trampoline_kernelINS0_13select_configILj256ELj13ELNS0_17block_load_methodE3ELS4_3ELS4_3ELNS0_20block_scan_algorithmE0ELj4294967295EEENS1_25partition_config_selectorILNS1_17partition_subalgoE3EjNS0_10empty_typeEbEEZZNS1_14partition_implILS8_3ELb0ES6_jNS0_17counting_iteratorIjlEEPS9_SE_NS0_5tupleIJPjSE_EEENSF_IJSE_SE_EEES9_SG_JZNS1_25segmented_radix_sort_implINS0_14default_configELb0EPKsPsPKlPlN2at6native12_GLOBAL__N_18offset_tEEE10hipError_tPvRmT1_PNSt15iterator_traitsISY_E10value_typeET2_T3_PNSZ_IS14_E10value_typeET4_jRbjT5_S1A_jjP12ihipStream_tbEUljE_EEESV_SW_SX_S14_S18_S1A_T6_T7_T9_mT8_S1C_bDpT10_ENKUlT_T0_E_clISt17integral_constantIbLb0EES1P_EEDaS1K_S1L_EUlS1K_E_NS1_11comp_targetILNS1_3genE3ELNS1_11target_archE908ELNS1_3gpuE7ELNS1_3repE0EEENS1_30default_config_static_selectorELNS0_4arch9wavefront6targetE0EEEvSY_.num_named_barrier, 0
	.set _ZN7rocprim17ROCPRIM_400000_NS6detail17trampoline_kernelINS0_13select_configILj256ELj13ELNS0_17block_load_methodE3ELS4_3ELS4_3ELNS0_20block_scan_algorithmE0ELj4294967295EEENS1_25partition_config_selectorILNS1_17partition_subalgoE3EjNS0_10empty_typeEbEEZZNS1_14partition_implILS8_3ELb0ES6_jNS0_17counting_iteratorIjlEEPS9_SE_NS0_5tupleIJPjSE_EEENSF_IJSE_SE_EEES9_SG_JZNS1_25segmented_radix_sort_implINS0_14default_configELb0EPKsPsPKlPlN2at6native12_GLOBAL__N_18offset_tEEE10hipError_tPvRmT1_PNSt15iterator_traitsISY_E10value_typeET2_T3_PNSZ_IS14_E10value_typeET4_jRbjT5_S1A_jjP12ihipStream_tbEUljE_EEESV_SW_SX_S14_S18_S1A_T6_T7_T9_mT8_S1C_bDpT10_ENKUlT_T0_E_clISt17integral_constantIbLb0EES1P_EEDaS1K_S1L_EUlS1K_E_NS1_11comp_targetILNS1_3genE3ELNS1_11target_archE908ELNS1_3gpuE7ELNS1_3repE0EEENS1_30default_config_static_selectorELNS0_4arch9wavefront6targetE0EEEvSY_.private_seg_size, 0
	.set _ZN7rocprim17ROCPRIM_400000_NS6detail17trampoline_kernelINS0_13select_configILj256ELj13ELNS0_17block_load_methodE3ELS4_3ELS4_3ELNS0_20block_scan_algorithmE0ELj4294967295EEENS1_25partition_config_selectorILNS1_17partition_subalgoE3EjNS0_10empty_typeEbEEZZNS1_14partition_implILS8_3ELb0ES6_jNS0_17counting_iteratorIjlEEPS9_SE_NS0_5tupleIJPjSE_EEENSF_IJSE_SE_EEES9_SG_JZNS1_25segmented_radix_sort_implINS0_14default_configELb0EPKsPsPKlPlN2at6native12_GLOBAL__N_18offset_tEEE10hipError_tPvRmT1_PNSt15iterator_traitsISY_E10value_typeET2_T3_PNSZ_IS14_E10value_typeET4_jRbjT5_S1A_jjP12ihipStream_tbEUljE_EEESV_SW_SX_S14_S18_S1A_T6_T7_T9_mT8_S1C_bDpT10_ENKUlT_T0_E_clISt17integral_constantIbLb0EES1P_EEDaS1K_S1L_EUlS1K_E_NS1_11comp_targetILNS1_3genE3ELNS1_11target_archE908ELNS1_3gpuE7ELNS1_3repE0EEENS1_30default_config_static_selectorELNS0_4arch9wavefront6targetE0EEEvSY_.uses_vcc, 0
	.set _ZN7rocprim17ROCPRIM_400000_NS6detail17trampoline_kernelINS0_13select_configILj256ELj13ELNS0_17block_load_methodE3ELS4_3ELS4_3ELNS0_20block_scan_algorithmE0ELj4294967295EEENS1_25partition_config_selectorILNS1_17partition_subalgoE3EjNS0_10empty_typeEbEEZZNS1_14partition_implILS8_3ELb0ES6_jNS0_17counting_iteratorIjlEEPS9_SE_NS0_5tupleIJPjSE_EEENSF_IJSE_SE_EEES9_SG_JZNS1_25segmented_radix_sort_implINS0_14default_configELb0EPKsPsPKlPlN2at6native12_GLOBAL__N_18offset_tEEE10hipError_tPvRmT1_PNSt15iterator_traitsISY_E10value_typeET2_T3_PNSZ_IS14_E10value_typeET4_jRbjT5_S1A_jjP12ihipStream_tbEUljE_EEESV_SW_SX_S14_S18_S1A_T6_T7_T9_mT8_S1C_bDpT10_ENKUlT_T0_E_clISt17integral_constantIbLb0EES1P_EEDaS1K_S1L_EUlS1K_E_NS1_11comp_targetILNS1_3genE3ELNS1_11target_archE908ELNS1_3gpuE7ELNS1_3repE0EEENS1_30default_config_static_selectorELNS0_4arch9wavefront6targetE0EEEvSY_.uses_flat_scratch, 0
	.set _ZN7rocprim17ROCPRIM_400000_NS6detail17trampoline_kernelINS0_13select_configILj256ELj13ELNS0_17block_load_methodE3ELS4_3ELS4_3ELNS0_20block_scan_algorithmE0ELj4294967295EEENS1_25partition_config_selectorILNS1_17partition_subalgoE3EjNS0_10empty_typeEbEEZZNS1_14partition_implILS8_3ELb0ES6_jNS0_17counting_iteratorIjlEEPS9_SE_NS0_5tupleIJPjSE_EEENSF_IJSE_SE_EEES9_SG_JZNS1_25segmented_radix_sort_implINS0_14default_configELb0EPKsPsPKlPlN2at6native12_GLOBAL__N_18offset_tEEE10hipError_tPvRmT1_PNSt15iterator_traitsISY_E10value_typeET2_T3_PNSZ_IS14_E10value_typeET4_jRbjT5_S1A_jjP12ihipStream_tbEUljE_EEESV_SW_SX_S14_S18_S1A_T6_T7_T9_mT8_S1C_bDpT10_ENKUlT_T0_E_clISt17integral_constantIbLb0EES1P_EEDaS1K_S1L_EUlS1K_E_NS1_11comp_targetILNS1_3genE3ELNS1_11target_archE908ELNS1_3gpuE7ELNS1_3repE0EEENS1_30default_config_static_selectorELNS0_4arch9wavefront6targetE0EEEvSY_.has_dyn_sized_stack, 0
	.set _ZN7rocprim17ROCPRIM_400000_NS6detail17trampoline_kernelINS0_13select_configILj256ELj13ELNS0_17block_load_methodE3ELS4_3ELS4_3ELNS0_20block_scan_algorithmE0ELj4294967295EEENS1_25partition_config_selectorILNS1_17partition_subalgoE3EjNS0_10empty_typeEbEEZZNS1_14partition_implILS8_3ELb0ES6_jNS0_17counting_iteratorIjlEEPS9_SE_NS0_5tupleIJPjSE_EEENSF_IJSE_SE_EEES9_SG_JZNS1_25segmented_radix_sort_implINS0_14default_configELb0EPKsPsPKlPlN2at6native12_GLOBAL__N_18offset_tEEE10hipError_tPvRmT1_PNSt15iterator_traitsISY_E10value_typeET2_T3_PNSZ_IS14_E10value_typeET4_jRbjT5_S1A_jjP12ihipStream_tbEUljE_EEESV_SW_SX_S14_S18_S1A_T6_T7_T9_mT8_S1C_bDpT10_ENKUlT_T0_E_clISt17integral_constantIbLb0EES1P_EEDaS1K_S1L_EUlS1K_E_NS1_11comp_targetILNS1_3genE3ELNS1_11target_archE908ELNS1_3gpuE7ELNS1_3repE0EEENS1_30default_config_static_selectorELNS0_4arch9wavefront6targetE0EEEvSY_.has_recursion, 0
	.set _ZN7rocprim17ROCPRIM_400000_NS6detail17trampoline_kernelINS0_13select_configILj256ELj13ELNS0_17block_load_methodE3ELS4_3ELS4_3ELNS0_20block_scan_algorithmE0ELj4294967295EEENS1_25partition_config_selectorILNS1_17partition_subalgoE3EjNS0_10empty_typeEbEEZZNS1_14partition_implILS8_3ELb0ES6_jNS0_17counting_iteratorIjlEEPS9_SE_NS0_5tupleIJPjSE_EEENSF_IJSE_SE_EEES9_SG_JZNS1_25segmented_radix_sort_implINS0_14default_configELb0EPKsPsPKlPlN2at6native12_GLOBAL__N_18offset_tEEE10hipError_tPvRmT1_PNSt15iterator_traitsISY_E10value_typeET2_T3_PNSZ_IS14_E10value_typeET4_jRbjT5_S1A_jjP12ihipStream_tbEUljE_EEESV_SW_SX_S14_S18_S1A_T6_T7_T9_mT8_S1C_bDpT10_ENKUlT_T0_E_clISt17integral_constantIbLb0EES1P_EEDaS1K_S1L_EUlS1K_E_NS1_11comp_targetILNS1_3genE3ELNS1_11target_archE908ELNS1_3gpuE7ELNS1_3repE0EEENS1_30default_config_static_selectorELNS0_4arch9wavefront6targetE0EEEvSY_.has_indirect_call, 0
	.section	.AMDGPU.csdata,"",@progbits
; Kernel info:
; codeLenInByte = 0
; TotalNumSgprs: 0
; NumVgprs: 0
; ScratchSize: 0
; MemoryBound: 0
; FloatMode: 240
; IeeeMode: 1
; LDSByteSize: 0 bytes/workgroup (compile time only)
; SGPRBlocks: 0
; VGPRBlocks: 0
; NumSGPRsForWavesPerEU: 1
; NumVGPRsForWavesPerEU: 1
; Occupancy: 16
; WaveLimiterHint : 0
; COMPUTE_PGM_RSRC2:SCRATCH_EN: 0
; COMPUTE_PGM_RSRC2:USER_SGPR: 6
; COMPUTE_PGM_RSRC2:TRAP_HANDLER: 0
; COMPUTE_PGM_RSRC2:TGID_X_EN: 1
; COMPUTE_PGM_RSRC2:TGID_Y_EN: 0
; COMPUTE_PGM_RSRC2:TGID_Z_EN: 0
; COMPUTE_PGM_RSRC2:TIDIG_COMP_CNT: 0
	.section	.text._ZN7rocprim17ROCPRIM_400000_NS6detail17trampoline_kernelINS0_13select_configILj256ELj13ELNS0_17block_load_methodE3ELS4_3ELS4_3ELNS0_20block_scan_algorithmE0ELj4294967295EEENS1_25partition_config_selectorILNS1_17partition_subalgoE3EjNS0_10empty_typeEbEEZZNS1_14partition_implILS8_3ELb0ES6_jNS0_17counting_iteratorIjlEEPS9_SE_NS0_5tupleIJPjSE_EEENSF_IJSE_SE_EEES9_SG_JZNS1_25segmented_radix_sort_implINS0_14default_configELb0EPKsPsPKlPlN2at6native12_GLOBAL__N_18offset_tEEE10hipError_tPvRmT1_PNSt15iterator_traitsISY_E10value_typeET2_T3_PNSZ_IS14_E10value_typeET4_jRbjT5_S1A_jjP12ihipStream_tbEUljE_EEESV_SW_SX_S14_S18_S1A_T6_T7_T9_mT8_S1C_bDpT10_ENKUlT_T0_E_clISt17integral_constantIbLb0EES1P_EEDaS1K_S1L_EUlS1K_E_NS1_11comp_targetILNS1_3genE2ELNS1_11target_archE906ELNS1_3gpuE6ELNS1_3repE0EEENS1_30default_config_static_selectorELNS0_4arch9wavefront6targetE0EEEvSY_,"axG",@progbits,_ZN7rocprim17ROCPRIM_400000_NS6detail17trampoline_kernelINS0_13select_configILj256ELj13ELNS0_17block_load_methodE3ELS4_3ELS4_3ELNS0_20block_scan_algorithmE0ELj4294967295EEENS1_25partition_config_selectorILNS1_17partition_subalgoE3EjNS0_10empty_typeEbEEZZNS1_14partition_implILS8_3ELb0ES6_jNS0_17counting_iteratorIjlEEPS9_SE_NS0_5tupleIJPjSE_EEENSF_IJSE_SE_EEES9_SG_JZNS1_25segmented_radix_sort_implINS0_14default_configELb0EPKsPsPKlPlN2at6native12_GLOBAL__N_18offset_tEEE10hipError_tPvRmT1_PNSt15iterator_traitsISY_E10value_typeET2_T3_PNSZ_IS14_E10value_typeET4_jRbjT5_S1A_jjP12ihipStream_tbEUljE_EEESV_SW_SX_S14_S18_S1A_T6_T7_T9_mT8_S1C_bDpT10_ENKUlT_T0_E_clISt17integral_constantIbLb0EES1P_EEDaS1K_S1L_EUlS1K_E_NS1_11comp_targetILNS1_3genE2ELNS1_11target_archE906ELNS1_3gpuE6ELNS1_3repE0EEENS1_30default_config_static_selectorELNS0_4arch9wavefront6targetE0EEEvSY_,comdat
	.globl	_ZN7rocprim17ROCPRIM_400000_NS6detail17trampoline_kernelINS0_13select_configILj256ELj13ELNS0_17block_load_methodE3ELS4_3ELS4_3ELNS0_20block_scan_algorithmE0ELj4294967295EEENS1_25partition_config_selectorILNS1_17partition_subalgoE3EjNS0_10empty_typeEbEEZZNS1_14partition_implILS8_3ELb0ES6_jNS0_17counting_iteratorIjlEEPS9_SE_NS0_5tupleIJPjSE_EEENSF_IJSE_SE_EEES9_SG_JZNS1_25segmented_radix_sort_implINS0_14default_configELb0EPKsPsPKlPlN2at6native12_GLOBAL__N_18offset_tEEE10hipError_tPvRmT1_PNSt15iterator_traitsISY_E10value_typeET2_T3_PNSZ_IS14_E10value_typeET4_jRbjT5_S1A_jjP12ihipStream_tbEUljE_EEESV_SW_SX_S14_S18_S1A_T6_T7_T9_mT8_S1C_bDpT10_ENKUlT_T0_E_clISt17integral_constantIbLb0EES1P_EEDaS1K_S1L_EUlS1K_E_NS1_11comp_targetILNS1_3genE2ELNS1_11target_archE906ELNS1_3gpuE6ELNS1_3repE0EEENS1_30default_config_static_selectorELNS0_4arch9wavefront6targetE0EEEvSY_ ; -- Begin function _ZN7rocprim17ROCPRIM_400000_NS6detail17trampoline_kernelINS0_13select_configILj256ELj13ELNS0_17block_load_methodE3ELS4_3ELS4_3ELNS0_20block_scan_algorithmE0ELj4294967295EEENS1_25partition_config_selectorILNS1_17partition_subalgoE3EjNS0_10empty_typeEbEEZZNS1_14partition_implILS8_3ELb0ES6_jNS0_17counting_iteratorIjlEEPS9_SE_NS0_5tupleIJPjSE_EEENSF_IJSE_SE_EEES9_SG_JZNS1_25segmented_radix_sort_implINS0_14default_configELb0EPKsPsPKlPlN2at6native12_GLOBAL__N_18offset_tEEE10hipError_tPvRmT1_PNSt15iterator_traitsISY_E10value_typeET2_T3_PNSZ_IS14_E10value_typeET4_jRbjT5_S1A_jjP12ihipStream_tbEUljE_EEESV_SW_SX_S14_S18_S1A_T6_T7_T9_mT8_S1C_bDpT10_ENKUlT_T0_E_clISt17integral_constantIbLb0EES1P_EEDaS1K_S1L_EUlS1K_E_NS1_11comp_targetILNS1_3genE2ELNS1_11target_archE906ELNS1_3gpuE6ELNS1_3repE0EEENS1_30default_config_static_selectorELNS0_4arch9wavefront6targetE0EEEvSY_
	.p2align	8
	.type	_ZN7rocprim17ROCPRIM_400000_NS6detail17trampoline_kernelINS0_13select_configILj256ELj13ELNS0_17block_load_methodE3ELS4_3ELS4_3ELNS0_20block_scan_algorithmE0ELj4294967295EEENS1_25partition_config_selectorILNS1_17partition_subalgoE3EjNS0_10empty_typeEbEEZZNS1_14partition_implILS8_3ELb0ES6_jNS0_17counting_iteratorIjlEEPS9_SE_NS0_5tupleIJPjSE_EEENSF_IJSE_SE_EEES9_SG_JZNS1_25segmented_radix_sort_implINS0_14default_configELb0EPKsPsPKlPlN2at6native12_GLOBAL__N_18offset_tEEE10hipError_tPvRmT1_PNSt15iterator_traitsISY_E10value_typeET2_T3_PNSZ_IS14_E10value_typeET4_jRbjT5_S1A_jjP12ihipStream_tbEUljE_EEESV_SW_SX_S14_S18_S1A_T6_T7_T9_mT8_S1C_bDpT10_ENKUlT_T0_E_clISt17integral_constantIbLb0EES1P_EEDaS1K_S1L_EUlS1K_E_NS1_11comp_targetILNS1_3genE2ELNS1_11target_archE906ELNS1_3gpuE6ELNS1_3repE0EEENS1_30default_config_static_selectorELNS0_4arch9wavefront6targetE0EEEvSY_,@function
_ZN7rocprim17ROCPRIM_400000_NS6detail17trampoline_kernelINS0_13select_configILj256ELj13ELNS0_17block_load_methodE3ELS4_3ELS4_3ELNS0_20block_scan_algorithmE0ELj4294967295EEENS1_25partition_config_selectorILNS1_17partition_subalgoE3EjNS0_10empty_typeEbEEZZNS1_14partition_implILS8_3ELb0ES6_jNS0_17counting_iteratorIjlEEPS9_SE_NS0_5tupleIJPjSE_EEENSF_IJSE_SE_EEES9_SG_JZNS1_25segmented_radix_sort_implINS0_14default_configELb0EPKsPsPKlPlN2at6native12_GLOBAL__N_18offset_tEEE10hipError_tPvRmT1_PNSt15iterator_traitsISY_E10value_typeET2_T3_PNSZ_IS14_E10value_typeET4_jRbjT5_S1A_jjP12ihipStream_tbEUljE_EEESV_SW_SX_S14_S18_S1A_T6_T7_T9_mT8_S1C_bDpT10_ENKUlT_T0_E_clISt17integral_constantIbLb0EES1P_EEDaS1K_S1L_EUlS1K_E_NS1_11comp_targetILNS1_3genE2ELNS1_11target_archE906ELNS1_3gpuE6ELNS1_3repE0EEENS1_30default_config_static_selectorELNS0_4arch9wavefront6targetE0EEEvSY_: ; @_ZN7rocprim17ROCPRIM_400000_NS6detail17trampoline_kernelINS0_13select_configILj256ELj13ELNS0_17block_load_methodE3ELS4_3ELS4_3ELNS0_20block_scan_algorithmE0ELj4294967295EEENS1_25partition_config_selectorILNS1_17partition_subalgoE3EjNS0_10empty_typeEbEEZZNS1_14partition_implILS8_3ELb0ES6_jNS0_17counting_iteratorIjlEEPS9_SE_NS0_5tupleIJPjSE_EEENSF_IJSE_SE_EEES9_SG_JZNS1_25segmented_radix_sort_implINS0_14default_configELb0EPKsPsPKlPlN2at6native12_GLOBAL__N_18offset_tEEE10hipError_tPvRmT1_PNSt15iterator_traitsISY_E10value_typeET2_T3_PNSZ_IS14_E10value_typeET4_jRbjT5_S1A_jjP12ihipStream_tbEUljE_EEESV_SW_SX_S14_S18_S1A_T6_T7_T9_mT8_S1C_bDpT10_ENKUlT_T0_E_clISt17integral_constantIbLb0EES1P_EEDaS1K_S1L_EUlS1K_E_NS1_11comp_targetILNS1_3genE2ELNS1_11target_archE906ELNS1_3gpuE6ELNS1_3repE0EEENS1_30default_config_static_selectorELNS0_4arch9wavefront6targetE0EEEvSY_
; %bb.0:
	.section	.rodata,"a",@progbits
	.p2align	6, 0x0
	.amdhsa_kernel _ZN7rocprim17ROCPRIM_400000_NS6detail17trampoline_kernelINS0_13select_configILj256ELj13ELNS0_17block_load_methodE3ELS4_3ELS4_3ELNS0_20block_scan_algorithmE0ELj4294967295EEENS1_25partition_config_selectorILNS1_17partition_subalgoE3EjNS0_10empty_typeEbEEZZNS1_14partition_implILS8_3ELb0ES6_jNS0_17counting_iteratorIjlEEPS9_SE_NS0_5tupleIJPjSE_EEENSF_IJSE_SE_EEES9_SG_JZNS1_25segmented_radix_sort_implINS0_14default_configELb0EPKsPsPKlPlN2at6native12_GLOBAL__N_18offset_tEEE10hipError_tPvRmT1_PNSt15iterator_traitsISY_E10value_typeET2_T3_PNSZ_IS14_E10value_typeET4_jRbjT5_S1A_jjP12ihipStream_tbEUljE_EEESV_SW_SX_S14_S18_S1A_T6_T7_T9_mT8_S1C_bDpT10_ENKUlT_T0_E_clISt17integral_constantIbLb0EES1P_EEDaS1K_S1L_EUlS1K_E_NS1_11comp_targetILNS1_3genE2ELNS1_11target_archE906ELNS1_3gpuE6ELNS1_3repE0EEENS1_30default_config_static_selectorELNS0_4arch9wavefront6targetE0EEEvSY_
		.amdhsa_group_segment_fixed_size 0
		.amdhsa_private_segment_fixed_size 0
		.amdhsa_kernarg_size 144
		.amdhsa_user_sgpr_count 6
		.amdhsa_user_sgpr_private_segment_buffer 1
		.amdhsa_user_sgpr_dispatch_ptr 0
		.amdhsa_user_sgpr_queue_ptr 0
		.amdhsa_user_sgpr_kernarg_segment_ptr 1
		.amdhsa_user_sgpr_dispatch_id 0
		.amdhsa_user_sgpr_flat_scratch_init 0
		.amdhsa_user_sgpr_private_segment_size 0
		.amdhsa_wavefront_size32 1
		.amdhsa_uses_dynamic_stack 0
		.amdhsa_system_sgpr_private_segment_wavefront_offset 0
		.amdhsa_system_sgpr_workgroup_id_x 1
		.amdhsa_system_sgpr_workgroup_id_y 0
		.amdhsa_system_sgpr_workgroup_id_z 0
		.amdhsa_system_sgpr_workgroup_info 0
		.amdhsa_system_vgpr_workitem_id 0
		.amdhsa_next_free_vgpr 1
		.amdhsa_next_free_sgpr 1
		.amdhsa_reserve_vcc 0
		.amdhsa_reserve_flat_scratch 0
		.amdhsa_float_round_mode_32 0
		.amdhsa_float_round_mode_16_64 0
		.amdhsa_float_denorm_mode_32 3
		.amdhsa_float_denorm_mode_16_64 3
		.amdhsa_dx10_clamp 1
		.amdhsa_ieee_mode 1
		.amdhsa_fp16_overflow 0
		.amdhsa_workgroup_processor_mode 1
		.amdhsa_memory_ordered 1
		.amdhsa_forward_progress 1
		.amdhsa_shared_vgpr_count 0
		.amdhsa_exception_fp_ieee_invalid_op 0
		.amdhsa_exception_fp_denorm_src 0
		.amdhsa_exception_fp_ieee_div_zero 0
		.amdhsa_exception_fp_ieee_overflow 0
		.amdhsa_exception_fp_ieee_underflow 0
		.amdhsa_exception_fp_ieee_inexact 0
		.amdhsa_exception_int_div_zero 0
	.end_amdhsa_kernel
	.section	.text._ZN7rocprim17ROCPRIM_400000_NS6detail17trampoline_kernelINS0_13select_configILj256ELj13ELNS0_17block_load_methodE3ELS4_3ELS4_3ELNS0_20block_scan_algorithmE0ELj4294967295EEENS1_25partition_config_selectorILNS1_17partition_subalgoE3EjNS0_10empty_typeEbEEZZNS1_14partition_implILS8_3ELb0ES6_jNS0_17counting_iteratorIjlEEPS9_SE_NS0_5tupleIJPjSE_EEENSF_IJSE_SE_EEES9_SG_JZNS1_25segmented_radix_sort_implINS0_14default_configELb0EPKsPsPKlPlN2at6native12_GLOBAL__N_18offset_tEEE10hipError_tPvRmT1_PNSt15iterator_traitsISY_E10value_typeET2_T3_PNSZ_IS14_E10value_typeET4_jRbjT5_S1A_jjP12ihipStream_tbEUljE_EEESV_SW_SX_S14_S18_S1A_T6_T7_T9_mT8_S1C_bDpT10_ENKUlT_T0_E_clISt17integral_constantIbLb0EES1P_EEDaS1K_S1L_EUlS1K_E_NS1_11comp_targetILNS1_3genE2ELNS1_11target_archE906ELNS1_3gpuE6ELNS1_3repE0EEENS1_30default_config_static_selectorELNS0_4arch9wavefront6targetE0EEEvSY_,"axG",@progbits,_ZN7rocprim17ROCPRIM_400000_NS6detail17trampoline_kernelINS0_13select_configILj256ELj13ELNS0_17block_load_methodE3ELS4_3ELS4_3ELNS0_20block_scan_algorithmE0ELj4294967295EEENS1_25partition_config_selectorILNS1_17partition_subalgoE3EjNS0_10empty_typeEbEEZZNS1_14partition_implILS8_3ELb0ES6_jNS0_17counting_iteratorIjlEEPS9_SE_NS0_5tupleIJPjSE_EEENSF_IJSE_SE_EEES9_SG_JZNS1_25segmented_radix_sort_implINS0_14default_configELb0EPKsPsPKlPlN2at6native12_GLOBAL__N_18offset_tEEE10hipError_tPvRmT1_PNSt15iterator_traitsISY_E10value_typeET2_T3_PNSZ_IS14_E10value_typeET4_jRbjT5_S1A_jjP12ihipStream_tbEUljE_EEESV_SW_SX_S14_S18_S1A_T6_T7_T9_mT8_S1C_bDpT10_ENKUlT_T0_E_clISt17integral_constantIbLb0EES1P_EEDaS1K_S1L_EUlS1K_E_NS1_11comp_targetILNS1_3genE2ELNS1_11target_archE906ELNS1_3gpuE6ELNS1_3repE0EEENS1_30default_config_static_selectorELNS0_4arch9wavefront6targetE0EEEvSY_,comdat
.Lfunc_end979:
	.size	_ZN7rocprim17ROCPRIM_400000_NS6detail17trampoline_kernelINS0_13select_configILj256ELj13ELNS0_17block_load_methodE3ELS4_3ELS4_3ELNS0_20block_scan_algorithmE0ELj4294967295EEENS1_25partition_config_selectorILNS1_17partition_subalgoE3EjNS0_10empty_typeEbEEZZNS1_14partition_implILS8_3ELb0ES6_jNS0_17counting_iteratorIjlEEPS9_SE_NS0_5tupleIJPjSE_EEENSF_IJSE_SE_EEES9_SG_JZNS1_25segmented_radix_sort_implINS0_14default_configELb0EPKsPsPKlPlN2at6native12_GLOBAL__N_18offset_tEEE10hipError_tPvRmT1_PNSt15iterator_traitsISY_E10value_typeET2_T3_PNSZ_IS14_E10value_typeET4_jRbjT5_S1A_jjP12ihipStream_tbEUljE_EEESV_SW_SX_S14_S18_S1A_T6_T7_T9_mT8_S1C_bDpT10_ENKUlT_T0_E_clISt17integral_constantIbLb0EES1P_EEDaS1K_S1L_EUlS1K_E_NS1_11comp_targetILNS1_3genE2ELNS1_11target_archE906ELNS1_3gpuE6ELNS1_3repE0EEENS1_30default_config_static_selectorELNS0_4arch9wavefront6targetE0EEEvSY_, .Lfunc_end979-_ZN7rocprim17ROCPRIM_400000_NS6detail17trampoline_kernelINS0_13select_configILj256ELj13ELNS0_17block_load_methodE3ELS4_3ELS4_3ELNS0_20block_scan_algorithmE0ELj4294967295EEENS1_25partition_config_selectorILNS1_17partition_subalgoE3EjNS0_10empty_typeEbEEZZNS1_14partition_implILS8_3ELb0ES6_jNS0_17counting_iteratorIjlEEPS9_SE_NS0_5tupleIJPjSE_EEENSF_IJSE_SE_EEES9_SG_JZNS1_25segmented_radix_sort_implINS0_14default_configELb0EPKsPsPKlPlN2at6native12_GLOBAL__N_18offset_tEEE10hipError_tPvRmT1_PNSt15iterator_traitsISY_E10value_typeET2_T3_PNSZ_IS14_E10value_typeET4_jRbjT5_S1A_jjP12ihipStream_tbEUljE_EEESV_SW_SX_S14_S18_S1A_T6_T7_T9_mT8_S1C_bDpT10_ENKUlT_T0_E_clISt17integral_constantIbLb0EES1P_EEDaS1K_S1L_EUlS1K_E_NS1_11comp_targetILNS1_3genE2ELNS1_11target_archE906ELNS1_3gpuE6ELNS1_3repE0EEENS1_30default_config_static_selectorELNS0_4arch9wavefront6targetE0EEEvSY_
                                        ; -- End function
	.set _ZN7rocprim17ROCPRIM_400000_NS6detail17trampoline_kernelINS0_13select_configILj256ELj13ELNS0_17block_load_methodE3ELS4_3ELS4_3ELNS0_20block_scan_algorithmE0ELj4294967295EEENS1_25partition_config_selectorILNS1_17partition_subalgoE3EjNS0_10empty_typeEbEEZZNS1_14partition_implILS8_3ELb0ES6_jNS0_17counting_iteratorIjlEEPS9_SE_NS0_5tupleIJPjSE_EEENSF_IJSE_SE_EEES9_SG_JZNS1_25segmented_radix_sort_implINS0_14default_configELb0EPKsPsPKlPlN2at6native12_GLOBAL__N_18offset_tEEE10hipError_tPvRmT1_PNSt15iterator_traitsISY_E10value_typeET2_T3_PNSZ_IS14_E10value_typeET4_jRbjT5_S1A_jjP12ihipStream_tbEUljE_EEESV_SW_SX_S14_S18_S1A_T6_T7_T9_mT8_S1C_bDpT10_ENKUlT_T0_E_clISt17integral_constantIbLb0EES1P_EEDaS1K_S1L_EUlS1K_E_NS1_11comp_targetILNS1_3genE2ELNS1_11target_archE906ELNS1_3gpuE6ELNS1_3repE0EEENS1_30default_config_static_selectorELNS0_4arch9wavefront6targetE0EEEvSY_.num_vgpr, 0
	.set _ZN7rocprim17ROCPRIM_400000_NS6detail17trampoline_kernelINS0_13select_configILj256ELj13ELNS0_17block_load_methodE3ELS4_3ELS4_3ELNS0_20block_scan_algorithmE0ELj4294967295EEENS1_25partition_config_selectorILNS1_17partition_subalgoE3EjNS0_10empty_typeEbEEZZNS1_14partition_implILS8_3ELb0ES6_jNS0_17counting_iteratorIjlEEPS9_SE_NS0_5tupleIJPjSE_EEENSF_IJSE_SE_EEES9_SG_JZNS1_25segmented_radix_sort_implINS0_14default_configELb0EPKsPsPKlPlN2at6native12_GLOBAL__N_18offset_tEEE10hipError_tPvRmT1_PNSt15iterator_traitsISY_E10value_typeET2_T3_PNSZ_IS14_E10value_typeET4_jRbjT5_S1A_jjP12ihipStream_tbEUljE_EEESV_SW_SX_S14_S18_S1A_T6_T7_T9_mT8_S1C_bDpT10_ENKUlT_T0_E_clISt17integral_constantIbLb0EES1P_EEDaS1K_S1L_EUlS1K_E_NS1_11comp_targetILNS1_3genE2ELNS1_11target_archE906ELNS1_3gpuE6ELNS1_3repE0EEENS1_30default_config_static_selectorELNS0_4arch9wavefront6targetE0EEEvSY_.num_agpr, 0
	.set _ZN7rocprim17ROCPRIM_400000_NS6detail17trampoline_kernelINS0_13select_configILj256ELj13ELNS0_17block_load_methodE3ELS4_3ELS4_3ELNS0_20block_scan_algorithmE0ELj4294967295EEENS1_25partition_config_selectorILNS1_17partition_subalgoE3EjNS0_10empty_typeEbEEZZNS1_14partition_implILS8_3ELb0ES6_jNS0_17counting_iteratorIjlEEPS9_SE_NS0_5tupleIJPjSE_EEENSF_IJSE_SE_EEES9_SG_JZNS1_25segmented_radix_sort_implINS0_14default_configELb0EPKsPsPKlPlN2at6native12_GLOBAL__N_18offset_tEEE10hipError_tPvRmT1_PNSt15iterator_traitsISY_E10value_typeET2_T3_PNSZ_IS14_E10value_typeET4_jRbjT5_S1A_jjP12ihipStream_tbEUljE_EEESV_SW_SX_S14_S18_S1A_T6_T7_T9_mT8_S1C_bDpT10_ENKUlT_T0_E_clISt17integral_constantIbLb0EES1P_EEDaS1K_S1L_EUlS1K_E_NS1_11comp_targetILNS1_3genE2ELNS1_11target_archE906ELNS1_3gpuE6ELNS1_3repE0EEENS1_30default_config_static_selectorELNS0_4arch9wavefront6targetE0EEEvSY_.numbered_sgpr, 0
	.set _ZN7rocprim17ROCPRIM_400000_NS6detail17trampoline_kernelINS0_13select_configILj256ELj13ELNS0_17block_load_methodE3ELS4_3ELS4_3ELNS0_20block_scan_algorithmE0ELj4294967295EEENS1_25partition_config_selectorILNS1_17partition_subalgoE3EjNS0_10empty_typeEbEEZZNS1_14partition_implILS8_3ELb0ES6_jNS0_17counting_iteratorIjlEEPS9_SE_NS0_5tupleIJPjSE_EEENSF_IJSE_SE_EEES9_SG_JZNS1_25segmented_radix_sort_implINS0_14default_configELb0EPKsPsPKlPlN2at6native12_GLOBAL__N_18offset_tEEE10hipError_tPvRmT1_PNSt15iterator_traitsISY_E10value_typeET2_T3_PNSZ_IS14_E10value_typeET4_jRbjT5_S1A_jjP12ihipStream_tbEUljE_EEESV_SW_SX_S14_S18_S1A_T6_T7_T9_mT8_S1C_bDpT10_ENKUlT_T0_E_clISt17integral_constantIbLb0EES1P_EEDaS1K_S1L_EUlS1K_E_NS1_11comp_targetILNS1_3genE2ELNS1_11target_archE906ELNS1_3gpuE6ELNS1_3repE0EEENS1_30default_config_static_selectorELNS0_4arch9wavefront6targetE0EEEvSY_.num_named_barrier, 0
	.set _ZN7rocprim17ROCPRIM_400000_NS6detail17trampoline_kernelINS0_13select_configILj256ELj13ELNS0_17block_load_methodE3ELS4_3ELS4_3ELNS0_20block_scan_algorithmE0ELj4294967295EEENS1_25partition_config_selectorILNS1_17partition_subalgoE3EjNS0_10empty_typeEbEEZZNS1_14partition_implILS8_3ELb0ES6_jNS0_17counting_iteratorIjlEEPS9_SE_NS0_5tupleIJPjSE_EEENSF_IJSE_SE_EEES9_SG_JZNS1_25segmented_radix_sort_implINS0_14default_configELb0EPKsPsPKlPlN2at6native12_GLOBAL__N_18offset_tEEE10hipError_tPvRmT1_PNSt15iterator_traitsISY_E10value_typeET2_T3_PNSZ_IS14_E10value_typeET4_jRbjT5_S1A_jjP12ihipStream_tbEUljE_EEESV_SW_SX_S14_S18_S1A_T6_T7_T9_mT8_S1C_bDpT10_ENKUlT_T0_E_clISt17integral_constantIbLb0EES1P_EEDaS1K_S1L_EUlS1K_E_NS1_11comp_targetILNS1_3genE2ELNS1_11target_archE906ELNS1_3gpuE6ELNS1_3repE0EEENS1_30default_config_static_selectorELNS0_4arch9wavefront6targetE0EEEvSY_.private_seg_size, 0
	.set _ZN7rocprim17ROCPRIM_400000_NS6detail17trampoline_kernelINS0_13select_configILj256ELj13ELNS0_17block_load_methodE3ELS4_3ELS4_3ELNS0_20block_scan_algorithmE0ELj4294967295EEENS1_25partition_config_selectorILNS1_17partition_subalgoE3EjNS0_10empty_typeEbEEZZNS1_14partition_implILS8_3ELb0ES6_jNS0_17counting_iteratorIjlEEPS9_SE_NS0_5tupleIJPjSE_EEENSF_IJSE_SE_EEES9_SG_JZNS1_25segmented_radix_sort_implINS0_14default_configELb0EPKsPsPKlPlN2at6native12_GLOBAL__N_18offset_tEEE10hipError_tPvRmT1_PNSt15iterator_traitsISY_E10value_typeET2_T3_PNSZ_IS14_E10value_typeET4_jRbjT5_S1A_jjP12ihipStream_tbEUljE_EEESV_SW_SX_S14_S18_S1A_T6_T7_T9_mT8_S1C_bDpT10_ENKUlT_T0_E_clISt17integral_constantIbLb0EES1P_EEDaS1K_S1L_EUlS1K_E_NS1_11comp_targetILNS1_3genE2ELNS1_11target_archE906ELNS1_3gpuE6ELNS1_3repE0EEENS1_30default_config_static_selectorELNS0_4arch9wavefront6targetE0EEEvSY_.uses_vcc, 0
	.set _ZN7rocprim17ROCPRIM_400000_NS6detail17trampoline_kernelINS0_13select_configILj256ELj13ELNS0_17block_load_methodE3ELS4_3ELS4_3ELNS0_20block_scan_algorithmE0ELj4294967295EEENS1_25partition_config_selectorILNS1_17partition_subalgoE3EjNS0_10empty_typeEbEEZZNS1_14partition_implILS8_3ELb0ES6_jNS0_17counting_iteratorIjlEEPS9_SE_NS0_5tupleIJPjSE_EEENSF_IJSE_SE_EEES9_SG_JZNS1_25segmented_radix_sort_implINS0_14default_configELb0EPKsPsPKlPlN2at6native12_GLOBAL__N_18offset_tEEE10hipError_tPvRmT1_PNSt15iterator_traitsISY_E10value_typeET2_T3_PNSZ_IS14_E10value_typeET4_jRbjT5_S1A_jjP12ihipStream_tbEUljE_EEESV_SW_SX_S14_S18_S1A_T6_T7_T9_mT8_S1C_bDpT10_ENKUlT_T0_E_clISt17integral_constantIbLb0EES1P_EEDaS1K_S1L_EUlS1K_E_NS1_11comp_targetILNS1_3genE2ELNS1_11target_archE906ELNS1_3gpuE6ELNS1_3repE0EEENS1_30default_config_static_selectorELNS0_4arch9wavefront6targetE0EEEvSY_.uses_flat_scratch, 0
	.set _ZN7rocprim17ROCPRIM_400000_NS6detail17trampoline_kernelINS0_13select_configILj256ELj13ELNS0_17block_load_methodE3ELS4_3ELS4_3ELNS0_20block_scan_algorithmE0ELj4294967295EEENS1_25partition_config_selectorILNS1_17partition_subalgoE3EjNS0_10empty_typeEbEEZZNS1_14partition_implILS8_3ELb0ES6_jNS0_17counting_iteratorIjlEEPS9_SE_NS0_5tupleIJPjSE_EEENSF_IJSE_SE_EEES9_SG_JZNS1_25segmented_radix_sort_implINS0_14default_configELb0EPKsPsPKlPlN2at6native12_GLOBAL__N_18offset_tEEE10hipError_tPvRmT1_PNSt15iterator_traitsISY_E10value_typeET2_T3_PNSZ_IS14_E10value_typeET4_jRbjT5_S1A_jjP12ihipStream_tbEUljE_EEESV_SW_SX_S14_S18_S1A_T6_T7_T9_mT8_S1C_bDpT10_ENKUlT_T0_E_clISt17integral_constantIbLb0EES1P_EEDaS1K_S1L_EUlS1K_E_NS1_11comp_targetILNS1_3genE2ELNS1_11target_archE906ELNS1_3gpuE6ELNS1_3repE0EEENS1_30default_config_static_selectorELNS0_4arch9wavefront6targetE0EEEvSY_.has_dyn_sized_stack, 0
	.set _ZN7rocprim17ROCPRIM_400000_NS6detail17trampoline_kernelINS0_13select_configILj256ELj13ELNS0_17block_load_methodE3ELS4_3ELS4_3ELNS0_20block_scan_algorithmE0ELj4294967295EEENS1_25partition_config_selectorILNS1_17partition_subalgoE3EjNS0_10empty_typeEbEEZZNS1_14partition_implILS8_3ELb0ES6_jNS0_17counting_iteratorIjlEEPS9_SE_NS0_5tupleIJPjSE_EEENSF_IJSE_SE_EEES9_SG_JZNS1_25segmented_radix_sort_implINS0_14default_configELb0EPKsPsPKlPlN2at6native12_GLOBAL__N_18offset_tEEE10hipError_tPvRmT1_PNSt15iterator_traitsISY_E10value_typeET2_T3_PNSZ_IS14_E10value_typeET4_jRbjT5_S1A_jjP12ihipStream_tbEUljE_EEESV_SW_SX_S14_S18_S1A_T6_T7_T9_mT8_S1C_bDpT10_ENKUlT_T0_E_clISt17integral_constantIbLb0EES1P_EEDaS1K_S1L_EUlS1K_E_NS1_11comp_targetILNS1_3genE2ELNS1_11target_archE906ELNS1_3gpuE6ELNS1_3repE0EEENS1_30default_config_static_selectorELNS0_4arch9wavefront6targetE0EEEvSY_.has_recursion, 0
	.set _ZN7rocprim17ROCPRIM_400000_NS6detail17trampoline_kernelINS0_13select_configILj256ELj13ELNS0_17block_load_methodE3ELS4_3ELS4_3ELNS0_20block_scan_algorithmE0ELj4294967295EEENS1_25partition_config_selectorILNS1_17partition_subalgoE3EjNS0_10empty_typeEbEEZZNS1_14partition_implILS8_3ELb0ES6_jNS0_17counting_iteratorIjlEEPS9_SE_NS0_5tupleIJPjSE_EEENSF_IJSE_SE_EEES9_SG_JZNS1_25segmented_radix_sort_implINS0_14default_configELb0EPKsPsPKlPlN2at6native12_GLOBAL__N_18offset_tEEE10hipError_tPvRmT1_PNSt15iterator_traitsISY_E10value_typeET2_T3_PNSZ_IS14_E10value_typeET4_jRbjT5_S1A_jjP12ihipStream_tbEUljE_EEESV_SW_SX_S14_S18_S1A_T6_T7_T9_mT8_S1C_bDpT10_ENKUlT_T0_E_clISt17integral_constantIbLb0EES1P_EEDaS1K_S1L_EUlS1K_E_NS1_11comp_targetILNS1_3genE2ELNS1_11target_archE906ELNS1_3gpuE6ELNS1_3repE0EEENS1_30default_config_static_selectorELNS0_4arch9wavefront6targetE0EEEvSY_.has_indirect_call, 0
	.section	.AMDGPU.csdata,"",@progbits
; Kernel info:
; codeLenInByte = 0
; TotalNumSgprs: 0
; NumVgprs: 0
; ScratchSize: 0
; MemoryBound: 0
; FloatMode: 240
; IeeeMode: 1
; LDSByteSize: 0 bytes/workgroup (compile time only)
; SGPRBlocks: 0
; VGPRBlocks: 0
; NumSGPRsForWavesPerEU: 1
; NumVGPRsForWavesPerEU: 1
; Occupancy: 16
; WaveLimiterHint : 0
; COMPUTE_PGM_RSRC2:SCRATCH_EN: 0
; COMPUTE_PGM_RSRC2:USER_SGPR: 6
; COMPUTE_PGM_RSRC2:TRAP_HANDLER: 0
; COMPUTE_PGM_RSRC2:TGID_X_EN: 1
; COMPUTE_PGM_RSRC2:TGID_Y_EN: 0
; COMPUTE_PGM_RSRC2:TGID_Z_EN: 0
; COMPUTE_PGM_RSRC2:TIDIG_COMP_CNT: 0
	.section	.text._ZN7rocprim17ROCPRIM_400000_NS6detail17trampoline_kernelINS0_13select_configILj256ELj13ELNS0_17block_load_methodE3ELS4_3ELS4_3ELNS0_20block_scan_algorithmE0ELj4294967295EEENS1_25partition_config_selectorILNS1_17partition_subalgoE3EjNS0_10empty_typeEbEEZZNS1_14partition_implILS8_3ELb0ES6_jNS0_17counting_iteratorIjlEEPS9_SE_NS0_5tupleIJPjSE_EEENSF_IJSE_SE_EEES9_SG_JZNS1_25segmented_radix_sort_implINS0_14default_configELb0EPKsPsPKlPlN2at6native12_GLOBAL__N_18offset_tEEE10hipError_tPvRmT1_PNSt15iterator_traitsISY_E10value_typeET2_T3_PNSZ_IS14_E10value_typeET4_jRbjT5_S1A_jjP12ihipStream_tbEUljE_EEESV_SW_SX_S14_S18_S1A_T6_T7_T9_mT8_S1C_bDpT10_ENKUlT_T0_E_clISt17integral_constantIbLb0EES1P_EEDaS1K_S1L_EUlS1K_E_NS1_11comp_targetILNS1_3genE10ELNS1_11target_archE1200ELNS1_3gpuE4ELNS1_3repE0EEENS1_30default_config_static_selectorELNS0_4arch9wavefront6targetE0EEEvSY_,"axG",@progbits,_ZN7rocprim17ROCPRIM_400000_NS6detail17trampoline_kernelINS0_13select_configILj256ELj13ELNS0_17block_load_methodE3ELS4_3ELS4_3ELNS0_20block_scan_algorithmE0ELj4294967295EEENS1_25partition_config_selectorILNS1_17partition_subalgoE3EjNS0_10empty_typeEbEEZZNS1_14partition_implILS8_3ELb0ES6_jNS0_17counting_iteratorIjlEEPS9_SE_NS0_5tupleIJPjSE_EEENSF_IJSE_SE_EEES9_SG_JZNS1_25segmented_radix_sort_implINS0_14default_configELb0EPKsPsPKlPlN2at6native12_GLOBAL__N_18offset_tEEE10hipError_tPvRmT1_PNSt15iterator_traitsISY_E10value_typeET2_T3_PNSZ_IS14_E10value_typeET4_jRbjT5_S1A_jjP12ihipStream_tbEUljE_EEESV_SW_SX_S14_S18_S1A_T6_T7_T9_mT8_S1C_bDpT10_ENKUlT_T0_E_clISt17integral_constantIbLb0EES1P_EEDaS1K_S1L_EUlS1K_E_NS1_11comp_targetILNS1_3genE10ELNS1_11target_archE1200ELNS1_3gpuE4ELNS1_3repE0EEENS1_30default_config_static_selectorELNS0_4arch9wavefront6targetE0EEEvSY_,comdat
	.globl	_ZN7rocprim17ROCPRIM_400000_NS6detail17trampoline_kernelINS0_13select_configILj256ELj13ELNS0_17block_load_methodE3ELS4_3ELS4_3ELNS0_20block_scan_algorithmE0ELj4294967295EEENS1_25partition_config_selectorILNS1_17partition_subalgoE3EjNS0_10empty_typeEbEEZZNS1_14partition_implILS8_3ELb0ES6_jNS0_17counting_iteratorIjlEEPS9_SE_NS0_5tupleIJPjSE_EEENSF_IJSE_SE_EEES9_SG_JZNS1_25segmented_radix_sort_implINS0_14default_configELb0EPKsPsPKlPlN2at6native12_GLOBAL__N_18offset_tEEE10hipError_tPvRmT1_PNSt15iterator_traitsISY_E10value_typeET2_T3_PNSZ_IS14_E10value_typeET4_jRbjT5_S1A_jjP12ihipStream_tbEUljE_EEESV_SW_SX_S14_S18_S1A_T6_T7_T9_mT8_S1C_bDpT10_ENKUlT_T0_E_clISt17integral_constantIbLb0EES1P_EEDaS1K_S1L_EUlS1K_E_NS1_11comp_targetILNS1_3genE10ELNS1_11target_archE1200ELNS1_3gpuE4ELNS1_3repE0EEENS1_30default_config_static_selectorELNS0_4arch9wavefront6targetE0EEEvSY_ ; -- Begin function _ZN7rocprim17ROCPRIM_400000_NS6detail17trampoline_kernelINS0_13select_configILj256ELj13ELNS0_17block_load_methodE3ELS4_3ELS4_3ELNS0_20block_scan_algorithmE0ELj4294967295EEENS1_25partition_config_selectorILNS1_17partition_subalgoE3EjNS0_10empty_typeEbEEZZNS1_14partition_implILS8_3ELb0ES6_jNS0_17counting_iteratorIjlEEPS9_SE_NS0_5tupleIJPjSE_EEENSF_IJSE_SE_EEES9_SG_JZNS1_25segmented_radix_sort_implINS0_14default_configELb0EPKsPsPKlPlN2at6native12_GLOBAL__N_18offset_tEEE10hipError_tPvRmT1_PNSt15iterator_traitsISY_E10value_typeET2_T3_PNSZ_IS14_E10value_typeET4_jRbjT5_S1A_jjP12ihipStream_tbEUljE_EEESV_SW_SX_S14_S18_S1A_T6_T7_T9_mT8_S1C_bDpT10_ENKUlT_T0_E_clISt17integral_constantIbLb0EES1P_EEDaS1K_S1L_EUlS1K_E_NS1_11comp_targetILNS1_3genE10ELNS1_11target_archE1200ELNS1_3gpuE4ELNS1_3repE0EEENS1_30default_config_static_selectorELNS0_4arch9wavefront6targetE0EEEvSY_
	.p2align	8
	.type	_ZN7rocprim17ROCPRIM_400000_NS6detail17trampoline_kernelINS0_13select_configILj256ELj13ELNS0_17block_load_methodE3ELS4_3ELS4_3ELNS0_20block_scan_algorithmE0ELj4294967295EEENS1_25partition_config_selectorILNS1_17partition_subalgoE3EjNS0_10empty_typeEbEEZZNS1_14partition_implILS8_3ELb0ES6_jNS0_17counting_iteratorIjlEEPS9_SE_NS0_5tupleIJPjSE_EEENSF_IJSE_SE_EEES9_SG_JZNS1_25segmented_radix_sort_implINS0_14default_configELb0EPKsPsPKlPlN2at6native12_GLOBAL__N_18offset_tEEE10hipError_tPvRmT1_PNSt15iterator_traitsISY_E10value_typeET2_T3_PNSZ_IS14_E10value_typeET4_jRbjT5_S1A_jjP12ihipStream_tbEUljE_EEESV_SW_SX_S14_S18_S1A_T6_T7_T9_mT8_S1C_bDpT10_ENKUlT_T0_E_clISt17integral_constantIbLb0EES1P_EEDaS1K_S1L_EUlS1K_E_NS1_11comp_targetILNS1_3genE10ELNS1_11target_archE1200ELNS1_3gpuE4ELNS1_3repE0EEENS1_30default_config_static_selectorELNS0_4arch9wavefront6targetE0EEEvSY_,@function
_ZN7rocprim17ROCPRIM_400000_NS6detail17trampoline_kernelINS0_13select_configILj256ELj13ELNS0_17block_load_methodE3ELS4_3ELS4_3ELNS0_20block_scan_algorithmE0ELj4294967295EEENS1_25partition_config_selectorILNS1_17partition_subalgoE3EjNS0_10empty_typeEbEEZZNS1_14partition_implILS8_3ELb0ES6_jNS0_17counting_iteratorIjlEEPS9_SE_NS0_5tupleIJPjSE_EEENSF_IJSE_SE_EEES9_SG_JZNS1_25segmented_radix_sort_implINS0_14default_configELb0EPKsPsPKlPlN2at6native12_GLOBAL__N_18offset_tEEE10hipError_tPvRmT1_PNSt15iterator_traitsISY_E10value_typeET2_T3_PNSZ_IS14_E10value_typeET4_jRbjT5_S1A_jjP12ihipStream_tbEUljE_EEESV_SW_SX_S14_S18_S1A_T6_T7_T9_mT8_S1C_bDpT10_ENKUlT_T0_E_clISt17integral_constantIbLb0EES1P_EEDaS1K_S1L_EUlS1K_E_NS1_11comp_targetILNS1_3genE10ELNS1_11target_archE1200ELNS1_3gpuE4ELNS1_3repE0EEENS1_30default_config_static_selectorELNS0_4arch9wavefront6targetE0EEEvSY_: ; @_ZN7rocprim17ROCPRIM_400000_NS6detail17trampoline_kernelINS0_13select_configILj256ELj13ELNS0_17block_load_methodE3ELS4_3ELS4_3ELNS0_20block_scan_algorithmE0ELj4294967295EEENS1_25partition_config_selectorILNS1_17partition_subalgoE3EjNS0_10empty_typeEbEEZZNS1_14partition_implILS8_3ELb0ES6_jNS0_17counting_iteratorIjlEEPS9_SE_NS0_5tupleIJPjSE_EEENSF_IJSE_SE_EEES9_SG_JZNS1_25segmented_radix_sort_implINS0_14default_configELb0EPKsPsPKlPlN2at6native12_GLOBAL__N_18offset_tEEE10hipError_tPvRmT1_PNSt15iterator_traitsISY_E10value_typeET2_T3_PNSZ_IS14_E10value_typeET4_jRbjT5_S1A_jjP12ihipStream_tbEUljE_EEESV_SW_SX_S14_S18_S1A_T6_T7_T9_mT8_S1C_bDpT10_ENKUlT_T0_E_clISt17integral_constantIbLb0EES1P_EEDaS1K_S1L_EUlS1K_E_NS1_11comp_targetILNS1_3genE10ELNS1_11target_archE1200ELNS1_3gpuE4ELNS1_3repE0EEENS1_30default_config_static_selectorELNS0_4arch9wavefront6targetE0EEEvSY_
; %bb.0:
	.section	.rodata,"a",@progbits
	.p2align	6, 0x0
	.amdhsa_kernel _ZN7rocprim17ROCPRIM_400000_NS6detail17trampoline_kernelINS0_13select_configILj256ELj13ELNS0_17block_load_methodE3ELS4_3ELS4_3ELNS0_20block_scan_algorithmE0ELj4294967295EEENS1_25partition_config_selectorILNS1_17partition_subalgoE3EjNS0_10empty_typeEbEEZZNS1_14partition_implILS8_3ELb0ES6_jNS0_17counting_iteratorIjlEEPS9_SE_NS0_5tupleIJPjSE_EEENSF_IJSE_SE_EEES9_SG_JZNS1_25segmented_radix_sort_implINS0_14default_configELb0EPKsPsPKlPlN2at6native12_GLOBAL__N_18offset_tEEE10hipError_tPvRmT1_PNSt15iterator_traitsISY_E10value_typeET2_T3_PNSZ_IS14_E10value_typeET4_jRbjT5_S1A_jjP12ihipStream_tbEUljE_EEESV_SW_SX_S14_S18_S1A_T6_T7_T9_mT8_S1C_bDpT10_ENKUlT_T0_E_clISt17integral_constantIbLb0EES1P_EEDaS1K_S1L_EUlS1K_E_NS1_11comp_targetILNS1_3genE10ELNS1_11target_archE1200ELNS1_3gpuE4ELNS1_3repE0EEENS1_30default_config_static_selectorELNS0_4arch9wavefront6targetE0EEEvSY_
		.amdhsa_group_segment_fixed_size 0
		.amdhsa_private_segment_fixed_size 0
		.amdhsa_kernarg_size 144
		.amdhsa_user_sgpr_count 6
		.amdhsa_user_sgpr_private_segment_buffer 1
		.amdhsa_user_sgpr_dispatch_ptr 0
		.amdhsa_user_sgpr_queue_ptr 0
		.amdhsa_user_sgpr_kernarg_segment_ptr 1
		.amdhsa_user_sgpr_dispatch_id 0
		.amdhsa_user_sgpr_flat_scratch_init 0
		.amdhsa_user_sgpr_private_segment_size 0
		.amdhsa_wavefront_size32 1
		.amdhsa_uses_dynamic_stack 0
		.amdhsa_system_sgpr_private_segment_wavefront_offset 0
		.amdhsa_system_sgpr_workgroup_id_x 1
		.amdhsa_system_sgpr_workgroup_id_y 0
		.amdhsa_system_sgpr_workgroup_id_z 0
		.amdhsa_system_sgpr_workgroup_info 0
		.amdhsa_system_vgpr_workitem_id 0
		.amdhsa_next_free_vgpr 1
		.amdhsa_next_free_sgpr 1
		.amdhsa_reserve_vcc 0
		.amdhsa_reserve_flat_scratch 0
		.amdhsa_float_round_mode_32 0
		.amdhsa_float_round_mode_16_64 0
		.amdhsa_float_denorm_mode_32 3
		.amdhsa_float_denorm_mode_16_64 3
		.amdhsa_dx10_clamp 1
		.amdhsa_ieee_mode 1
		.amdhsa_fp16_overflow 0
		.amdhsa_workgroup_processor_mode 1
		.amdhsa_memory_ordered 1
		.amdhsa_forward_progress 1
		.amdhsa_shared_vgpr_count 0
		.amdhsa_exception_fp_ieee_invalid_op 0
		.amdhsa_exception_fp_denorm_src 0
		.amdhsa_exception_fp_ieee_div_zero 0
		.amdhsa_exception_fp_ieee_overflow 0
		.amdhsa_exception_fp_ieee_underflow 0
		.amdhsa_exception_fp_ieee_inexact 0
		.amdhsa_exception_int_div_zero 0
	.end_amdhsa_kernel
	.section	.text._ZN7rocprim17ROCPRIM_400000_NS6detail17trampoline_kernelINS0_13select_configILj256ELj13ELNS0_17block_load_methodE3ELS4_3ELS4_3ELNS0_20block_scan_algorithmE0ELj4294967295EEENS1_25partition_config_selectorILNS1_17partition_subalgoE3EjNS0_10empty_typeEbEEZZNS1_14partition_implILS8_3ELb0ES6_jNS0_17counting_iteratorIjlEEPS9_SE_NS0_5tupleIJPjSE_EEENSF_IJSE_SE_EEES9_SG_JZNS1_25segmented_radix_sort_implINS0_14default_configELb0EPKsPsPKlPlN2at6native12_GLOBAL__N_18offset_tEEE10hipError_tPvRmT1_PNSt15iterator_traitsISY_E10value_typeET2_T3_PNSZ_IS14_E10value_typeET4_jRbjT5_S1A_jjP12ihipStream_tbEUljE_EEESV_SW_SX_S14_S18_S1A_T6_T7_T9_mT8_S1C_bDpT10_ENKUlT_T0_E_clISt17integral_constantIbLb0EES1P_EEDaS1K_S1L_EUlS1K_E_NS1_11comp_targetILNS1_3genE10ELNS1_11target_archE1200ELNS1_3gpuE4ELNS1_3repE0EEENS1_30default_config_static_selectorELNS0_4arch9wavefront6targetE0EEEvSY_,"axG",@progbits,_ZN7rocprim17ROCPRIM_400000_NS6detail17trampoline_kernelINS0_13select_configILj256ELj13ELNS0_17block_load_methodE3ELS4_3ELS4_3ELNS0_20block_scan_algorithmE0ELj4294967295EEENS1_25partition_config_selectorILNS1_17partition_subalgoE3EjNS0_10empty_typeEbEEZZNS1_14partition_implILS8_3ELb0ES6_jNS0_17counting_iteratorIjlEEPS9_SE_NS0_5tupleIJPjSE_EEENSF_IJSE_SE_EEES9_SG_JZNS1_25segmented_radix_sort_implINS0_14default_configELb0EPKsPsPKlPlN2at6native12_GLOBAL__N_18offset_tEEE10hipError_tPvRmT1_PNSt15iterator_traitsISY_E10value_typeET2_T3_PNSZ_IS14_E10value_typeET4_jRbjT5_S1A_jjP12ihipStream_tbEUljE_EEESV_SW_SX_S14_S18_S1A_T6_T7_T9_mT8_S1C_bDpT10_ENKUlT_T0_E_clISt17integral_constantIbLb0EES1P_EEDaS1K_S1L_EUlS1K_E_NS1_11comp_targetILNS1_3genE10ELNS1_11target_archE1200ELNS1_3gpuE4ELNS1_3repE0EEENS1_30default_config_static_selectorELNS0_4arch9wavefront6targetE0EEEvSY_,comdat
.Lfunc_end980:
	.size	_ZN7rocprim17ROCPRIM_400000_NS6detail17trampoline_kernelINS0_13select_configILj256ELj13ELNS0_17block_load_methodE3ELS4_3ELS4_3ELNS0_20block_scan_algorithmE0ELj4294967295EEENS1_25partition_config_selectorILNS1_17partition_subalgoE3EjNS0_10empty_typeEbEEZZNS1_14partition_implILS8_3ELb0ES6_jNS0_17counting_iteratorIjlEEPS9_SE_NS0_5tupleIJPjSE_EEENSF_IJSE_SE_EEES9_SG_JZNS1_25segmented_radix_sort_implINS0_14default_configELb0EPKsPsPKlPlN2at6native12_GLOBAL__N_18offset_tEEE10hipError_tPvRmT1_PNSt15iterator_traitsISY_E10value_typeET2_T3_PNSZ_IS14_E10value_typeET4_jRbjT5_S1A_jjP12ihipStream_tbEUljE_EEESV_SW_SX_S14_S18_S1A_T6_T7_T9_mT8_S1C_bDpT10_ENKUlT_T0_E_clISt17integral_constantIbLb0EES1P_EEDaS1K_S1L_EUlS1K_E_NS1_11comp_targetILNS1_3genE10ELNS1_11target_archE1200ELNS1_3gpuE4ELNS1_3repE0EEENS1_30default_config_static_selectorELNS0_4arch9wavefront6targetE0EEEvSY_, .Lfunc_end980-_ZN7rocprim17ROCPRIM_400000_NS6detail17trampoline_kernelINS0_13select_configILj256ELj13ELNS0_17block_load_methodE3ELS4_3ELS4_3ELNS0_20block_scan_algorithmE0ELj4294967295EEENS1_25partition_config_selectorILNS1_17partition_subalgoE3EjNS0_10empty_typeEbEEZZNS1_14partition_implILS8_3ELb0ES6_jNS0_17counting_iteratorIjlEEPS9_SE_NS0_5tupleIJPjSE_EEENSF_IJSE_SE_EEES9_SG_JZNS1_25segmented_radix_sort_implINS0_14default_configELb0EPKsPsPKlPlN2at6native12_GLOBAL__N_18offset_tEEE10hipError_tPvRmT1_PNSt15iterator_traitsISY_E10value_typeET2_T3_PNSZ_IS14_E10value_typeET4_jRbjT5_S1A_jjP12ihipStream_tbEUljE_EEESV_SW_SX_S14_S18_S1A_T6_T7_T9_mT8_S1C_bDpT10_ENKUlT_T0_E_clISt17integral_constantIbLb0EES1P_EEDaS1K_S1L_EUlS1K_E_NS1_11comp_targetILNS1_3genE10ELNS1_11target_archE1200ELNS1_3gpuE4ELNS1_3repE0EEENS1_30default_config_static_selectorELNS0_4arch9wavefront6targetE0EEEvSY_
                                        ; -- End function
	.set _ZN7rocprim17ROCPRIM_400000_NS6detail17trampoline_kernelINS0_13select_configILj256ELj13ELNS0_17block_load_methodE3ELS4_3ELS4_3ELNS0_20block_scan_algorithmE0ELj4294967295EEENS1_25partition_config_selectorILNS1_17partition_subalgoE3EjNS0_10empty_typeEbEEZZNS1_14partition_implILS8_3ELb0ES6_jNS0_17counting_iteratorIjlEEPS9_SE_NS0_5tupleIJPjSE_EEENSF_IJSE_SE_EEES9_SG_JZNS1_25segmented_radix_sort_implINS0_14default_configELb0EPKsPsPKlPlN2at6native12_GLOBAL__N_18offset_tEEE10hipError_tPvRmT1_PNSt15iterator_traitsISY_E10value_typeET2_T3_PNSZ_IS14_E10value_typeET4_jRbjT5_S1A_jjP12ihipStream_tbEUljE_EEESV_SW_SX_S14_S18_S1A_T6_T7_T9_mT8_S1C_bDpT10_ENKUlT_T0_E_clISt17integral_constantIbLb0EES1P_EEDaS1K_S1L_EUlS1K_E_NS1_11comp_targetILNS1_3genE10ELNS1_11target_archE1200ELNS1_3gpuE4ELNS1_3repE0EEENS1_30default_config_static_selectorELNS0_4arch9wavefront6targetE0EEEvSY_.num_vgpr, 0
	.set _ZN7rocprim17ROCPRIM_400000_NS6detail17trampoline_kernelINS0_13select_configILj256ELj13ELNS0_17block_load_methodE3ELS4_3ELS4_3ELNS0_20block_scan_algorithmE0ELj4294967295EEENS1_25partition_config_selectorILNS1_17partition_subalgoE3EjNS0_10empty_typeEbEEZZNS1_14partition_implILS8_3ELb0ES6_jNS0_17counting_iteratorIjlEEPS9_SE_NS0_5tupleIJPjSE_EEENSF_IJSE_SE_EEES9_SG_JZNS1_25segmented_radix_sort_implINS0_14default_configELb0EPKsPsPKlPlN2at6native12_GLOBAL__N_18offset_tEEE10hipError_tPvRmT1_PNSt15iterator_traitsISY_E10value_typeET2_T3_PNSZ_IS14_E10value_typeET4_jRbjT5_S1A_jjP12ihipStream_tbEUljE_EEESV_SW_SX_S14_S18_S1A_T6_T7_T9_mT8_S1C_bDpT10_ENKUlT_T0_E_clISt17integral_constantIbLb0EES1P_EEDaS1K_S1L_EUlS1K_E_NS1_11comp_targetILNS1_3genE10ELNS1_11target_archE1200ELNS1_3gpuE4ELNS1_3repE0EEENS1_30default_config_static_selectorELNS0_4arch9wavefront6targetE0EEEvSY_.num_agpr, 0
	.set _ZN7rocprim17ROCPRIM_400000_NS6detail17trampoline_kernelINS0_13select_configILj256ELj13ELNS0_17block_load_methodE3ELS4_3ELS4_3ELNS0_20block_scan_algorithmE0ELj4294967295EEENS1_25partition_config_selectorILNS1_17partition_subalgoE3EjNS0_10empty_typeEbEEZZNS1_14partition_implILS8_3ELb0ES6_jNS0_17counting_iteratorIjlEEPS9_SE_NS0_5tupleIJPjSE_EEENSF_IJSE_SE_EEES9_SG_JZNS1_25segmented_radix_sort_implINS0_14default_configELb0EPKsPsPKlPlN2at6native12_GLOBAL__N_18offset_tEEE10hipError_tPvRmT1_PNSt15iterator_traitsISY_E10value_typeET2_T3_PNSZ_IS14_E10value_typeET4_jRbjT5_S1A_jjP12ihipStream_tbEUljE_EEESV_SW_SX_S14_S18_S1A_T6_T7_T9_mT8_S1C_bDpT10_ENKUlT_T0_E_clISt17integral_constantIbLb0EES1P_EEDaS1K_S1L_EUlS1K_E_NS1_11comp_targetILNS1_3genE10ELNS1_11target_archE1200ELNS1_3gpuE4ELNS1_3repE0EEENS1_30default_config_static_selectorELNS0_4arch9wavefront6targetE0EEEvSY_.numbered_sgpr, 0
	.set _ZN7rocprim17ROCPRIM_400000_NS6detail17trampoline_kernelINS0_13select_configILj256ELj13ELNS0_17block_load_methodE3ELS4_3ELS4_3ELNS0_20block_scan_algorithmE0ELj4294967295EEENS1_25partition_config_selectorILNS1_17partition_subalgoE3EjNS0_10empty_typeEbEEZZNS1_14partition_implILS8_3ELb0ES6_jNS0_17counting_iteratorIjlEEPS9_SE_NS0_5tupleIJPjSE_EEENSF_IJSE_SE_EEES9_SG_JZNS1_25segmented_radix_sort_implINS0_14default_configELb0EPKsPsPKlPlN2at6native12_GLOBAL__N_18offset_tEEE10hipError_tPvRmT1_PNSt15iterator_traitsISY_E10value_typeET2_T3_PNSZ_IS14_E10value_typeET4_jRbjT5_S1A_jjP12ihipStream_tbEUljE_EEESV_SW_SX_S14_S18_S1A_T6_T7_T9_mT8_S1C_bDpT10_ENKUlT_T0_E_clISt17integral_constantIbLb0EES1P_EEDaS1K_S1L_EUlS1K_E_NS1_11comp_targetILNS1_3genE10ELNS1_11target_archE1200ELNS1_3gpuE4ELNS1_3repE0EEENS1_30default_config_static_selectorELNS0_4arch9wavefront6targetE0EEEvSY_.num_named_barrier, 0
	.set _ZN7rocprim17ROCPRIM_400000_NS6detail17trampoline_kernelINS0_13select_configILj256ELj13ELNS0_17block_load_methodE3ELS4_3ELS4_3ELNS0_20block_scan_algorithmE0ELj4294967295EEENS1_25partition_config_selectorILNS1_17partition_subalgoE3EjNS0_10empty_typeEbEEZZNS1_14partition_implILS8_3ELb0ES6_jNS0_17counting_iteratorIjlEEPS9_SE_NS0_5tupleIJPjSE_EEENSF_IJSE_SE_EEES9_SG_JZNS1_25segmented_radix_sort_implINS0_14default_configELb0EPKsPsPKlPlN2at6native12_GLOBAL__N_18offset_tEEE10hipError_tPvRmT1_PNSt15iterator_traitsISY_E10value_typeET2_T3_PNSZ_IS14_E10value_typeET4_jRbjT5_S1A_jjP12ihipStream_tbEUljE_EEESV_SW_SX_S14_S18_S1A_T6_T7_T9_mT8_S1C_bDpT10_ENKUlT_T0_E_clISt17integral_constantIbLb0EES1P_EEDaS1K_S1L_EUlS1K_E_NS1_11comp_targetILNS1_3genE10ELNS1_11target_archE1200ELNS1_3gpuE4ELNS1_3repE0EEENS1_30default_config_static_selectorELNS0_4arch9wavefront6targetE0EEEvSY_.private_seg_size, 0
	.set _ZN7rocprim17ROCPRIM_400000_NS6detail17trampoline_kernelINS0_13select_configILj256ELj13ELNS0_17block_load_methodE3ELS4_3ELS4_3ELNS0_20block_scan_algorithmE0ELj4294967295EEENS1_25partition_config_selectorILNS1_17partition_subalgoE3EjNS0_10empty_typeEbEEZZNS1_14partition_implILS8_3ELb0ES6_jNS0_17counting_iteratorIjlEEPS9_SE_NS0_5tupleIJPjSE_EEENSF_IJSE_SE_EEES9_SG_JZNS1_25segmented_radix_sort_implINS0_14default_configELb0EPKsPsPKlPlN2at6native12_GLOBAL__N_18offset_tEEE10hipError_tPvRmT1_PNSt15iterator_traitsISY_E10value_typeET2_T3_PNSZ_IS14_E10value_typeET4_jRbjT5_S1A_jjP12ihipStream_tbEUljE_EEESV_SW_SX_S14_S18_S1A_T6_T7_T9_mT8_S1C_bDpT10_ENKUlT_T0_E_clISt17integral_constantIbLb0EES1P_EEDaS1K_S1L_EUlS1K_E_NS1_11comp_targetILNS1_3genE10ELNS1_11target_archE1200ELNS1_3gpuE4ELNS1_3repE0EEENS1_30default_config_static_selectorELNS0_4arch9wavefront6targetE0EEEvSY_.uses_vcc, 0
	.set _ZN7rocprim17ROCPRIM_400000_NS6detail17trampoline_kernelINS0_13select_configILj256ELj13ELNS0_17block_load_methodE3ELS4_3ELS4_3ELNS0_20block_scan_algorithmE0ELj4294967295EEENS1_25partition_config_selectorILNS1_17partition_subalgoE3EjNS0_10empty_typeEbEEZZNS1_14partition_implILS8_3ELb0ES6_jNS0_17counting_iteratorIjlEEPS9_SE_NS0_5tupleIJPjSE_EEENSF_IJSE_SE_EEES9_SG_JZNS1_25segmented_radix_sort_implINS0_14default_configELb0EPKsPsPKlPlN2at6native12_GLOBAL__N_18offset_tEEE10hipError_tPvRmT1_PNSt15iterator_traitsISY_E10value_typeET2_T3_PNSZ_IS14_E10value_typeET4_jRbjT5_S1A_jjP12ihipStream_tbEUljE_EEESV_SW_SX_S14_S18_S1A_T6_T7_T9_mT8_S1C_bDpT10_ENKUlT_T0_E_clISt17integral_constantIbLb0EES1P_EEDaS1K_S1L_EUlS1K_E_NS1_11comp_targetILNS1_3genE10ELNS1_11target_archE1200ELNS1_3gpuE4ELNS1_3repE0EEENS1_30default_config_static_selectorELNS0_4arch9wavefront6targetE0EEEvSY_.uses_flat_scratch, 0
	.set _ZN7rocprim17ROCPRIM_400000_NS6detail17trampoline_kernelINS0_13select_configILj256ELj13ELNS0_17block_load_methodE3ELS4_3ELS4_3ELNS0_20block_scan_algorithmE0ELj4294967295EEENS1_25partition_config_selectorILNS1_17partition_subalgoE3EjNS0_10empty_typeEbEEZZNS1_14partition_implILS8_3ELb0ES6_jNS0_17counting_iteratorIjlEEPS9_SE_NS0_5tupleIJPjSE_EEENSF_IJSE_SE_EEES9_SG_JZNS1_25segmented_radix_sort_implINS0_14default_configELb0EPKsPsPKlPlN2at6native12_GLOBAL__N_18offset_tEEE10hipError_tPvRmT1_PNSt15iterator_traitsISY_E10value_typeET2_T3_PNSZ_IS14_E10value_typeET4_jRbjT5_S1A_jjP12ihipStream_tbEUljE_EEESV_SW_SX_S14_S18_S1A_T6_T7_T9_mT8_S1C_bDpT10_ENKUlT_T0_E_clISt17integral_constantIbLb0EES1P_EEDaS1K_S1L_EUlS1K_E_NS1_11comp_targetILNS1_3genE10ELNS1_11target_archE1200ELNS1_3gpuE4ELNS1_3repE0EEENS1_30default_config_static_selectorELNS0_4arch9wavefront6targetE0EEEvSY_.has_dyn_sized_stack, 0
	.set _ZN7rocprim17ROCPRIM_400000_NS6detail17trampoline_kernelINS0_13select_configILj256ELj13ELNS0_17block_load_methodE3ELS4_3ELS4_3ELNS0_20block_scan_algorithmE0ELj4294967295EEENS1_25partition_config_selectorILNS1_17partition_subalgoE3EjNS0_10empty_typeEbEEZZNS1_14partition_implILS8_3ELb0ES6_jNS0_17counting_iteratorIjlEEPS9_SE_NS0_5tupleIJPjSE_EEENSF_IJSE_SE_EEES9_SG_JZNS1_25segmented_radix_sort_implINS0_14default_configELb0EPKsPsPKlPlN2at6native12_GLOBAL__N_18offset_tEEE10hipError_tPvRmT1_PNSt15iterator_traitsISY_E10value_typeET2_T3_PNSZ_IS14_E10value_typeET4_jRbjT5_S1A_jjP12ihipStream_tbEUljE_EEESV_SW_SX_S14_S18_S1A_T6_T7_T9_mT8_S1C_bDpT10_ENKUlT_T0_E_clISt17integral_constantIbLb0EES1P_EEDaS1K_S1L_EUlS1K_E_NS1_11comp_targetILNS1_3genE10ELNS1_11target_archE1200ELNS1_3gpuE4ELNS1_3repE0EEENS1_30default_config_static_selectorELNS0_4arch9wavefront6targetE0EEEvSY_.has_recursion, 0
	.set _ZN7rocprim17ROCPRIM_400000_NS6detail17trampoline_kernelINS0_13select_configILj256ELj13ELNS0_17block_load_methodE3ELS4_3ELS4_3ELNS0_20block_scan_algorithmE0ELj4294967295EEENS1_25partition_config_selectorILNS1_17partition_subalgoE3EjNS0_10empty_typeEbEEZZNS1_14partition_implILS8_3ELb0ES6_jNS0_17counting_iteratorIjlEEPS9_SE_NS0_5tupleIJPjSE_EEENSF_IJSE_SE_EEES9_SG_JZNS1_25segmented_radix_sort_implINS0_14default_configELb0EPKsPsPKlPlN2at6native12_GLOBAL__N_18offset_tEEE10hipError_tPvRmT1_PNSt15iterator_traitsISY_E10value_typeET2_T3_PNSZ_IS14_E10value_typeET4_jRbjT5_S1A_jjP12ihipStream_tbEUljE_EEESV_SW_SX_S14_S18_S1A_T6_T7_T9_mT8_S1C_bDpT10_ENKUlT_T0_E_clISt17integral_constantIbLb0EES1P_EEDaS1K_S1L_EUlS1K_E_NS1_11comp_targetILNS1_3genE10ELNS1_11target_archE1200ELNS1_3gpuE4ELNS1_3repE0EEENS1_30default_config_static_selectorELNS0_4arch9wavefront6targetE0EEEvSY_.has_indirect_call, 0
	.section	.AMDGPU.csdata,"",@progbits
; Kernel info:
; codeLenInByte = 0
; TotalNumSgprs: 0
; NumVgprs: 0
; ScratchSize: 0
; MemoryBound: 0
; FloatMode: 240
; IeeeMode: 1
; LDSByteSize: 0 bytes/workgroup (compile time only)
; SGPRBlocks: 0
; VGPRBlocks: 0
; NumSGPRsForWavesPerEU: 1
; NumVGPRsForWavesPerEU: 1
; Occupancy: 16
; WaveLimiterHint : 0
; COMPUTE_PGM_RSRC2:SCRATCH_EN: 0
; COMPUTE_PGM_RSRC2:USER_SGPR: 6
; COMPUTE_PGM_RSRC2:TRAP_HANDLER: 0
; COMPUTE_PGM_RSRC2:TGID_X_EN: 1
; COMPUTE_PGM_RSRC2:TGID_Y_EN: 0
; COMPUTE_PGM_RSRC2:TGID_Z_EN: 0
; COMPUTE_PGM_RSRC2:TIDIG_COMP_CNT: 0
	.section	.text._ZN7rocprim17ROCPRIM_400000_NS6detail17trampoline_kernelINS0_13select_configILj256ELj13ELNS0_17block_load_methodE3ELS4_3ELS4_3ELNS0_20block_scan_algorithmE0ELj4294967295EEENS1_25partition_config_selectorILNS1_17partition_subalgoE3EjNS0_10empty_typeEbEEZZNS1_14partition_implILS8_3ELb0ES6_jNS0_17counting_iteratorIjlEEPS9_SE_NS0_5tupleIJPjSE_EEENSF_IJSE_SE_EEES9_SG_JZNS1_25segmented_radix_sort_implINS0_14default_configELb0EPKsPsPKlPlN2at6native12_GLOBAL__N_18offset_tEEE10hipError_tPvRmT1_PNSt15iterator_traitsISY_E10value_typeET2_T3_PNSZ_IS14_E10value_typeET4_jRbjT5_S1A_jjP12ihipStream_tbEUljE_EEESV_SW_SX_S14_S18_S1A_T6_T7_T9_mT8_S1C_bDpT10_ENKUlT_T0_E_clISt17integral_constantIbLb0EES1P_EEDaS1K_S1L_EUlS1K_E_NS1_11comp_targetILNS1_3genE9ELNS1_11target_archE1100ELNS1_3gpuE3ELNS1_3repE0EEENS1_30default_config_static_selectorELNS0_4arch9wavefront6targetE0EEEvSY_,"axG",@progbits,_ZN7rocprim17ROCPRIM_400000_NS6detail17trampoline_kernelINS0_13select_configILj256ELj13ELNS0_17block_load_methodE3ELS4_3ELS4_3ELNS0_20block_scan_algorithmE0ELj4294967295EEENS1_25partition_config_selectorILNS1_17partition_subalgoE3EjNS0_10empty_typeEbEEZZNS1_14partition_implILS8_3ELb0ES6_jNS0_17counting_iteratorIjlEEPS9_SE_NS0_5tupleIJPjSE_EEENSF_IJSE_SE_EEES9_SG_JZNS1_25segmented_radix_sort_implINS0_14default_configELb0EPKsPsPKlPlN2at6native12_GLOBAL__N_18offset_tEEE10hipError_tPvRmT1_PNSt15iterator_traitsISY_E10value_typeET2_T3_PNSZ_IS14_E10value_typeET4_jRbjT5_S1A_jjP12ihipStream_tbEUljE_EEESV_SW_SX_S14_S18_S1A_T6_T7_T9_mT8_S1C_bDpT10_ENKUlT_T0_E_clISt17integral_constantIbLb0EES1P_EEDaS1K_S1L_EUlS1K_E_NS1_11comp_targetILNS1_3genE9ELNS1_11target_archE1100ELNS1_3gpuE3ELNS1_3repE0EEENS1_30default_config_static_selectorELNS0_4arch9wavefront6targetE0EEEvSY_,comdat
	.globl	_ZN7rocprim17ROCPRIM_400000_NS6detail17trampoline_kernelINS0_13select_configILj256ELj13ELNS0_17block_load_methodE3ELS4_3ELS4_3ELNS0_20block_scan_algorithmE0ELj4294967295EEENS1_25partition_config_selectorILNS1_17partition_subalgoE3EjNS0_10empty_typeEbEEZZNS1_14partition_implILS8_3ELb0ES6_jNS0_17counting_iteratorIjlEEPS9_SE_NS0_5tupleIJPjSE_EEENSF_IJSE_SE_EEES9_SG_JZNS1_25segmented_radix_sort_implINS0_14default_configELb0EPKsPsPKlPlN2at6native12_GLOBAL__N_18offset_tEEE10hipError_tPvRmT1_PNSt15iterator_traitsISY_E10value_typeET2_T3_PNSZ_IS14_E10value_typeET4_jRbjT5_S1A_jjP12ihipStream_tbEUljE_EEESV_SW_SX_S14_S18_S1A_T6_T7_T9_mT8_S1C_bDpT10_ENKUlT_T0_E_clISt17integral_constantIbLb0EES1P_EEDaS1K_S1L_EUlS1K_E_NS1_11comp_targetILNS1_3genE9ELNS1_11target_archE1100ELNS1_3gpuE3ELNS1_3repE0EEENS1_30default_config_static_selectorELNS0_4arch9wavefront6targetE0EEEvSY_ ; -- Begin function _ZN7rocprim17ROCPRIM_400000_NS6detail17trampoline_kernelINS0_13select_configILj256ELj13ELNS0_17block_load_methodE3ELS4_3ELS4_3ELNS0_20block_scan_algorithmE0ELj4294967295EEENS1_25partition_config_selectorILNS1_17partition_subalgoE3EjNS0_10empty_typeEbEEZZNS1_14partition_implILS8_3ELb0ES6_jNS0_17counting_iteratorIjlEEPS9_SE_NS0_5tupleIJPjSE_EEENSF_IJSE_SE_EEES9_SG_JZNS1_25segmented_radix_sort_implINS0_14default_configELb0EPKsPsPKlPlN2at6native12_GLOBAL__N_18offset_tEEE10hipError_tPvRmT1_PNSt15iterator_traitsISY_E10value_typeET2_T3_PNSZ_IS14_E10value_typeET4_jRbjT5_S1A_jjP12ihipStream_tbEUljE_EEESV_SW_SX_S14_S18_S1A_T6_T7_T9_mT8_S1C_bDpT10_ENKUlT_T0_E_clISt17integral_constantIbLb0EES1P_EEDaS1K_S1L_EUlS1K_E_NS1_11comp_targetILNS1_3genE9ELNS1_11target_archE1100ELNS1_3gpuE3ELNS1_3repE0EEENS1_30default_config_static_selectorELNS0_4arch9wavefront6targetE0EEEvSY_
	.p2align	8
	.type	_ZN7rocprim17ROCPRIM_400000_NS6detail17trampoline_kernelINS0_13select_configILj256ELj13ELNS0_17block_load_methodE3ELS4_3ELS4_3ELNS0_20block_scan_algorithmE0ELj4294967295EEENS1_25partition_config_selectorILNS1_17partition_subalgoE3EjNS0_10empty_typeEbEEZZNS1_14partition_implILS8_3ELb0ES6_jNS0_17counting_iteratorIjlEEPS9_SE_NS0_5tupleIJPjSE_EEENSF_IJSE_SE_EEES9_SG_JZNS1_25segmented_radix_sort_implINS0_14default_configELb0EPKsPsPKlPlN2at6native12_GLOBAL__N_18offset_tEEE10hipError_tPvRmT1_PNSt15iterator_traitsISY_E10value_typeET2_T3_PNSZ_IS14_E10value_typeET4_jRbjT5_S1A_jjP12ihipStream_tbEUljE_EEESV_SW_SX_S14_S18_S1A_T6_T7_T9_mT8_S1C_bDpT10_ENKUlT_T0_E_clISt17integral_constantIbLb0EES1P_EEDaS1K_S1L_EUlS1K_E_NS1_11comp_targetILNS1_3genE9ELNS1_11target_archE1100ELNS1_3gpuE3ELNS1_3repE0EEENS1_30default_config_static_selectorELNS0_4arch9wavefront6targetE0EEEvSY_,@function
_ZN7rocprim17ROCPRIM_400000_NS6detail17trampoline_kernelINS0_13select_configILj256ELj13ELNS0_17block_load_methodE3ELS4_3ELS4_3ELNS0_20block_scan_algorithmE0ELj4294967295EEENS1_25partition_config_selectorILNS1_17partition_subalgoE3EjNS0_10empty_typeEbEEZZNS1_14partition_implILS8_3ELb0ES6_jNS0_17counting_iteratorIjlEEPS9_SE_NS0_5tupleIJPjSE_EEENSF_IJSE_SE_EEES9_SG_JZNS1_25segmented_radix_sort_implINS0_14default_configELb0EPKsPsPKlPlN2at6native12_GLOBAL__N_18offset_tEEE10hipError_tPvRmT1_PNSt15iterator_traitsISY_E10value_typeET2_T3_PNSZ_IS14_E10value_typeET4_jRbjT5_S1A_jjP12ihipStream_tbEUljE_EEESV_SW_SX_S14_S18_S1A_T6_T7_T9_mT8_S1C_bDpT10_ENKUlT_T0_E_clISt17integral_constantIbLb0EES1P_EEDaS1K_S1L_EUlS1K_E_NS1_11comp_targetILNS1_3genE9ELNS1_11target_archE1100ELNS1_3gpuE3ELNS1_3repE0EEENS1_30default_config_static_selectorELNS0_4arch9wavefront6targetE0EEEvSY_: ; @_ZN7rocprim17ROCPRIM_400000_NS6detail17trampoline_kernelINS0_13select_configILj256ELj13ELNS0_17block_load_methodE3ELS4_3ELS4_3ELNS0_20block_scan_algorithmE0ELj4294967295EEENS1_25partition_config_selectorILNS1_17partition_subalgoE3EjNS0_10empty_typeEbEEZZNS1_14partition_implILS8_3ELb0ES6_jNS0_17counting_iteratorIjlEEPS9_SE_NS0_5tupleIJPjSE_EEENSF_IJSE_SE_EEES9_SG_JZNS1_25segmented_radix_sort_implINS0_14default_configELb0EPKsPsPKlPlN2at6native12_GLOBAL__N_18offset_tEEE10hipError_tPvRmT1_PNSt15iterator_traitsISY_E10value_typeET2_T3_PNSZ_IS14_E10value_typeET4_jRbjT5_S1A_jjP12ihipStream_tbEUljE_EEESV_SW_SX_S14_S18_S1A_T6_T7_T9_mT8_S1C_bDpT10_ENKUlT_T0_E_clISt17integral_constantIbLb0EES1P_EEDaS1K_S1L_EUlS1K_E_NS1_11comp_targetILNS1_3genE9ELNS1_11target_archE1100ELNS1_3gpuE3ELNS1_3repE0EEENS1_30default_config_static_selectorELNS0_4arch9wavefront6targetE0EEEvSY_
; %bb.0:
	.section	.rodata,"a",@progbits
	.p2align	6, 0x0
	.amdhsa_kernel _ZN7rocprim17ROCPRIM_400000_NS6detail17trampoline_kernelINS0_13select_configILj256ELj13ELNS0_17block_load_methodE3ELS4_3ELS4_3ELNS0_20block_scan_algorithmE0ELj4294967295EEENS1_25partition_config_selectorILNS1_17partition_subalgoE3EjNS0_10empty_typeEbEEZZNS1_14partition_implILS8_3ELb0ES6_jNS0_17counting_iteratorIjlEEPS9_SE_NS0_5tupleIJPjSE_EEENSF_IJSE_SE_EEES9_SG_JZNS1_25segmented_radix_sort_implINS0_14default_configELb0EPKsPsPKlPlN2at6native12_GLOBAL__N_18offset_tEEE10hipError_tPvRmT1_PNSt15iterator_traitsISY_E10value_typeET2_T3_PNSZ_IS14_E10value_typeET4_jRbjT5_S1A_jjP12ihipStream_tbEUljE_EEESV_SW_SX_S14_S18_S1A_T6_T7_T9_mT8_S1C_bDpT10_ENKUlT_T0_E_clISt17integral_constantIbLb0EES1P_EEDaS1K_S1L_EUlS1K_E_NS1_11comp_targetILNS1_3genE9ELNS1_11target_archE1100ELNS1_3gpuE3ELNS1_3repE0EEENS1_30default_config_static_selectorELNS0_4arch9wavefront6targetE0EEEvSY_
		.amdhsa_group_segment_fixed_size 0
		.amdhsa_private_segment_fixed_size 0
		.amdhsa_kernarg_size 144
		.amdhsa_user_sgpr_count 6
		.amdhsa_user_sgpr_private_segment_buffer 1
		.amdhsa_user_sgpr_dispatch_ptr 0
		.amdhsa_user_sgpr_queue_ptr 0
		.amdhsa_user_sgpr_kernarg_segment_ptr 1
		.amdhsa_user_sgpr_dispatch_id 0
		.amdhsa_user_sgpr_flat_scratch_init 0
		.amdhsa_user_sgpr_private_segment_size 0
		.amdhsa_wavefront_size32 1
		.amdhsa_uses_dynamic_stack 0
		.amdhsa_system_sgpr_private_segment_wavefront_offset 0
		.amdhsa_system_sgpr_workgroup_id_x 1
		.amdhsa_system_sgpr_workgroup_id_y 0
		.amdhsa_system_sgpr_workgroup_id_z 0
		.amdhsa_system_sgpr_workgroup_info 0
		.amdhsa_system_vgpr_workitem_id 0
		.amdhsa_next_free_vgpr 1
		.amdhsa_next_free_sgpr 1
		.amdhsa_reserve_vcc 0
		.amdhsa_reserve_flat_scratch 0
		.amdhsa_float_round_mode_32 0
		.amdhsa_float_round_mode_16_64 0
		.amdhsa_float_denorm_mode_32 3
		.amdhsa_float_denorm_mode_16_64 3
		.amdhsa_dx10_clamp 1
		.amdhsa_ieee_mode 1
		.amdhsa_fp16_overflow 0
		.amdhsa_workgroup_processor_mode 1
		.amdhsa_memory_ordered 1
		.amdhsa_forward_progress 1
		.amdhsa_shared_vgpr_count 0
		.amdhsa_exception_fp_ieee_invalid_op 0
		.amdhsa_exception_fp_denorm_src 0
		.amdhsa_exception_fp_ieee_div_zero 0
		.amdhsa_exception_fp_ieee_overflow 0
		.amdhsa_exception_fp_ieee_underflow 0
		.amdhsa_exception_fp_ieee_inexact 0
		.amdhsa_exception_int_div_zero 0
	.end_amdhsa_kernel
	.section	.text._ZN7rocprim17ROCPRIM_400000_NS6detail17trampoline_kernelINS0_13select_configILj256ELj13ELNS0_17block_load_methodE3ELS4_3ELS4_3ELNS0_20block_scan_algorithmE0ELj4294967295EEENS1_25partition_config_selectorILNS1_17partition_subalgoE3EjNS0_10empty_typeEbEEZZNS1_14partition_implILS8_3ELb0ES6_jNS0_17counting_iteratorIjlEEPS9_SE_NS0_5tupleIJPjSE_EEENSF_IJSE_SE_EEES9_SG_JZNS1_25segmented_radix_sort_implINS0_14default_configELb0EPKsPsPKlPlN2at6native12_GLOBAL__N_18offset_tEEE10hipError_tPvRmT1_PNSt15iterator_traitsISY_E10value_typeET2_T3_PNSZ_IS14_E10value_typeET4_jRbjT5_S1A_jjP12ihipStream_tbEUljE_EEESV_SW_SX_S14_S18_S1A_T6_T7_T9_mT8_S1C_bDpT10_ENKUlT_T0_E_clISt17integral_constantIbLb0EES1P_EEDaS1K_S1L_EUlS1K_E_NS1_11comp_targetILNS1_3genE9ELNS1_11target_archE1100ELNS1_3gpuE3ELNS1_3repE0EEENS1_30default_config_static_selectorELNS0_4arch9wavefront6targetE0EEEvSY_,"axG",@progbits,_ZN7rocprim17ROCPRIM_400000_NS6detail17trampoline_kernelINS0_13select_configILj256ELj13ELNS0_17block_load_methodE3ELS4_3ELS4_3ELNS0_20block_scan_algorithmE0ELj4294967295EEENS1_25partition_config_selectorILNS1_17partition_subalgoE3EjNS0_10empty_typeEbEEZZNS1_14partition_implILS8_3ELb0ES6_jNS0_17counting_iteratorIjlEEPS9_SE_NS0_5tupleIJPjSE_EEENSF_IJSE_SE_EEES9_SG_JZNS1_25segmented_radix_sort_implINS0_14default_configELb0EPKsPsPKlPlN2at6native12_GLOBAL__N_18offset_tEEE10hipError_tPvRmT1_PNSt15iterator_traitsISY_E10value_typeET2_T3_PNSZ_IS14_E10value_typeET4_jRbjT5_S1A_jjP12ihipStream_tbEUljE_EEESV_SW_SX_S14_S18_S1A_T6_T7_T9_mT8_S1C_bDpT10_ENKUlT_T0_E_clISt17integral_constantIbLb0EES1P_EEDaS1K_S1L_EUlS1K_E_NS1_11comp_targetILNS1_3genE9ELNS1_11target_archE1100ELNS1_3gpuE3ELNS1_3repE0EEENS1_30default_config_static_selectorELNS0_4arch9wavefront6targetE0EEEvSY_,comdat
.Lfunc_end981:
	.size	_ZN7rocprim17ROCPRIM_400000_NS6detail17trampoline_kernelINS0_13select_configILj256ELj13ELNS0_17block_load_methodE3ELS4_3ELS4_3ELNS0_20block_scan_algorithmE0ELj4294967295EEENS1_25partition_config_selectorILNS1_17partition_subalgoE3EjNS0_10empty_typeEbEEZZNS1_14partition_implILS8_3ELb0ES6_jNS0_17counting_iteratorIjlEEPS9_SE_NS0_5tupleIJPjSE_EEENSF_IJSE_SE_EEES9_SG_JZNS1_25segmented_radix_sort_implINS0_14default_configELb0EPKsPsPKlPlN2at6native12_GLOBAL__N_18offset_tEEE10hipError_tPvRmT1_PNSt15iterator_traitsISY_E10value_typeET2_T3_PNSZ_IS14_E10value_typeET4_jRbjT5_S1A_jjP12ihipStream_tbEUljE_EEESV_SW_SX_S14_S18_S1A_T6_T7_T9_mT8_S1C_bDpT10_ENKUlT_T0_E_clISt17integral_constantIbLb0EES1P_EEDaS1K_S1L_EUlS1K_E_NS1_11comp_targetILNS1_3genE9ELNS1_11target_archE1100ELNS1_3gpuE3ELNS1_3repE0EEENS1_30default_config_static_selectorELNS0_4arch9wavefront6targetE0EEEvSY_, .Lfunc_end981-_ZN7rocprim17ROCPRIM_400000_NS6detail17trampoline_kernelINS0_13select_configILj256ELj13ELNS0_17block_load_methodE3ELS4_3ELS4_3ELNS0_20block_scan_algorithmE0ELj4294967295EEENS1_25partition_config_selectorILNS1_17partition_subalgoE3EjNS0_10empty_typeEbEEZZNS1_14partition_implILS8_3ELb0ES6_jNS0_17counting_iteratorIjlEEPS9_SE_NS0_5tupleIJPjSE_EEENSF_IJSE_SE_EEES9_SG_JZNS1_25segmented_radix_sort_implINS0_14default_configELb0EPKsPsPKlPlN2at6native12_GLOBAL__N_18offset_tEEE10hipError_tPvRmT1_PNSt15iterator_traitsISY_E10value_typeET2_T3_PNSZ_IS14_E10value_typeET4_jRbjT5_S1A_jjP12ihipStream_tbEUljE_EEESV_SW_SX_S14_S18_S1A_T6_T7_T9_mT8_S1C_bDpT10_ENKUlT_T0_E_clISt17integral_constantIbLb0EES1P_EEDaS1K_S1L_EUlS1K_E_NS1_11comp_targetILNS1_3genE9ELNS1_11target_archE1100ELNS1_3gpuE3ELNS1_3repE0EEENS1_30default_config_static_selectorELNS0_4arch9wavefront6targetE0EEEvSY_
                                        ; -- End function
	.set _ZN7rocprim17ROCPRIM_400000_NS6detail17trampoline_kernelINS0_13select_configILj256ELj13ELNS0_17block_load_methodE3ELS4_3ELS4_3ELNS0_20block_scan_algorithmE0ELj4294967295EEENS1_25partition_config_selectorILNS1_17partition_subalgoE3EjNS0_10empty_typeEbEEZZNS1_14partition_implILS8_3ELb0ES6_jNS0_17counting_iteratorIjlEEPS9_SE_NS0_5tupleIJPjSE_EEENSF_IJSE_SE_EEES9_SG_JZNS1_25segmented_radix_sort_implINS0_14default_configELb0EPKsPsPKlPlN2at6native12_GLOBAL__N_18offset_tEEE10hipError_tPvRmT1_PNSt15iterator_traitsISY_E10value_typeET2_T3_PNSZ_IS14_E10value_typeET4_jRbjT5_S1A_jjP12ihipStream_tbEUljE_EEESV_SW_SX_S14_S18_S1A_T6_T7_T9_mT8_S1C_bDpT10_ENKUlT_T0_E_clISt17integral_constantIbLb0EES1P_EEDaS1K_S1L_EUlS1K_E_NS1_11comp_targetILNS1_3genE9ELNS1_11target_archE1100ELNS1_3gpuE3ELNS1_3repE0EEENS1_30default_config_static_selectorELNS0_4arch9wavefront6targetE0EEEvSY_.num_vgpr, 0
	.set _ZN7rocprim17ROCPRIM_400000_NS6detail17trampoline_kernelINS0_13select_configILj256ELj13ELNS0_17block_load_methodE3ELS4_3ELS4_3ELNS0_20block_scan_algorithmE0ELj4294967295EEENS1_25partition_config_selectorILNS1_17partition_subalgoE3EjNS0_10empty_typeEbEEZZNS1_14partition_implILS8_3ELb0ES6_jNS0_17counting_iteratorIjlEEPS9_SE_NS0_5tupleIJPjSE_EEENSF_IJSE_SE_EEES9_SG_JZNS1_25segmented_radix_sort_implINS0_14default_configELb0EPKsPsPKlPlN2at6native12_GLOBAL__N_18offset_tEEE10hipError_tPvRmT1_PNSt15iterator_traitsISY_E10value_typeET2_T3_PNSZ_IS14_E10value_typeET4_jRbjT5_S1A_jjP12ihipStream_tbEUljE_EEESV_SW_SX_S14_S18_S1A_T6_T7_T9_mT8_S1C_bDpT10_ENKUlT_T0_E_clISt17integral_constantIbLb0EES1P_EEDaS1K_S1L_EUlS1K_E_NS1_11comp_targetILNS1_3genE9ELNS1_11target_archE1100ELNS1_3gpuE3ELNS1_3repE0EEENS1_30default_config_static_selectorELNS0_4arch9wavefront6targetE0EEEvSY_.num_agpr, 0
	.set _ZN7rocprim17ROCPRIM_400000_NS6detail17trampoline_kernelINS0_13select_configILj256ELj13ELNS0_17block_load_methodE3ELS4_3ELS4_3ELNS0_20block_scan_algorithmE0ELj4294967295EEENS1_25partition_config_selectorILNS1_17partition_subalgoE3EjNS0_10empty_typeEbEEZZNS1_14partition_implILS8_3ELb0ES6_jNS0_17counting_iteratorIjlEEPS9_SE_NS0_5tupleIJPjSE_EEENSF_IJSE_SE_EEES9_SG_JZNS1_25segmented_radix_sort_implINS0_14default_configELb0EPKsPsPKlPlN2at6native12_GLOBAL__N_18offset_tEEE10hipError_tPvRmT1_PNSt15iterator_traitsISY_E10value_typeET2_T3_PNSZ_IS14_E10value_typeET4_jRbjT5_S1A_jjP12ihipStream_tbEUljE_EEESV_SW_SX_S14_S18_S1A_T6_T7_T9_mT8_S1C_bDpT10_ENKUlT_T0_E_clISt17integral_constantIbLb0EES1P_EEDaS1K_S1L_EUlS1K_E_NS1_11comp_targetILNS1_3genE9ELNS1_11target_archE1100ELNS1_3gpuE3ELNS1_3repE0EEENS1_30default_config_static_selectorELNS0_4arch9wavefront6targetE0EEEvSY_.numbered_sgpr, 0
	.set _ZN7rocprim17ROCPRIM_400000_NS6detail17trampoline_kernelINS0_13select_configILj256ELj13ELNS0_17block_load_methodE3ELS4_3ELS4_3ELNS0_20block_scan_algorithmE0ELj4294967295EEENS1_25partition_config_selectorILNS1_17partition_subalgoE3EjNS0_10empty_typeEbEEZZNS1_14partition_implILS8_3ELb0ES6_jNS0_17counting_iteratorIjlEEPS9_SE_NS0_5tupleIJPjSE_EEENSF_IJSE_SE_EEES9_SG_JZNS1_25segmented_radix_sort_implINS0_14default_configELb0EPKsPsPKlPlN2at6native12_GLOBAL__N_18offset_tEEE10hipError_tPvRmT1_PNSt15iterator_traitsISY_E10value_typeET2_T3_PNSZ_IS14_E10value_typeET4_jRbjT5_S1A_jjP12ihipStream_tbEUljE_EEESV_SW_SX_S14_S18_S1A_T6_T7_T9_mT8_S1C_bDpT10_ENKUlT_T0_E_clISt17integral_constantIbLb0EES1P_EEDaS1K_S1L_EUlS1K_E_NS1_11comp_targetILNS1_3genE9ELNS1_11target_archE1100ELNS1_3gpuE3ELNS1_3repE0EEENS1_30default_config_static_selectorELNS0_4arch9wavefront6targetE0EEEvSY_.num_named_barrier, 0
	.set _ZN7rocprim17ROCPRIM_400000_NS6detail17trampoline_kernelINS0_13select_configILj256ELj13ELNS0_17block_load_methodE3ELS4_3ELS4_3ELNS0_20block_scan_algorithmE0ELj4294967295EEENS1_25partition_config_selectorILNS1_17partition_subalgoE3EjNS0_10empty_typeEbEEZZNS1_14partition_implILS8_3ELb0ES6_jNS0_17counting_iteratorIjlEEPS9_SE_NS0_5tupleIJPjSE_EEENSF_IJSE_SE_EEES9_SG_JZNS1_25segmented_radix_sort_implINS0_14default_configELb0EPKsPsPKlPlN2at6native12_GLOBAL__N_18offset_tEEE10hipError_tPvRmT1_PNSt15iterator_traitsISY_E10value_typeET2_T3_PNSZ_IS14_E10value_typeET4_jRbjT5_S1A_jjP12ihipStream_tbEUljE_EEESV_SW_SX_S14_S18_S1A_T6_T7_T9_mT8_S1C_bDpT10_ENKUlT_T0_E_clISt17integral_constantIbLb0EES1P_EEDaS1K_S1L_EUlS1K_E_NS1_11comp_targetILNS1_3genE9ELNS1_11target_archE1100ELNS1_3gpuE3ELNS1_3repE0EEENS1_30default_config_static_selectorELNS0_4arch9wavefront6targetE0EEEvSY_.private_seg_size, 0
	.set _ZN7rocprim17ROCPRIM_400000_NS6detail17trampoline_kernelINS0_13select_configILj256ELj13ELNS0_17block_load_methodE3ELS4_3ELS4_3ELNS0_20block_scan_algorithmE0ELj4294967295EEENS1_25partition_config_selectorILNS1_17partition_subalgoE3EjNS0_10empty_typeEbEEZZNS1_14partition_implILS8_3ELb0ES6_jNS0_17counting_iteratorIjlEEPS9_SE_NS0_5tupleIJPjSE_EEENSF_IJSE_SE_EEES9_SG_JZNS1_25segmented_radix_sort_implINS0_14default_configELb0EPKsPsPKlPlN2at6native12_GLOBAL__N_18offset_tEEE10hipError_tPvRmT1_PNSt15iterator_traitsISY_E10value_typeET2_T3_PNSZ_IS14_E10value_typeET4_jRbjT5_S1A_jjP12ihipStream_tbEUljE_EEESV_SW_SX_S14_S18_S1A_T6_T7_T9_mT8_S1C_bDpT10_ENKUlT_T0_E_clISt17integral_constantIbLb0EES1P_EEDaS1K_S1L_EUlS1K_E_NS1_11comp_targetILNS1_3genE9ELNS1_11target_archE1100ELNS1_3gpuE3ELNS1_3repE0EEENS1_30default_config_static_selectorELNS0_4arch9wavefront6targetE0EEEvSY_.uses_vcc, 0
	.set _ZN7rocprim17ROCPRIM_400000_NS6detail17trampoline_kernelINS0_13select_configILj256ELj13ELNS0_17block_load_methodE3ELS4_3ELS4_3ELNS0_20block_scan_algorithmE0ELj4294967295EEENS1_25partition_config_selectorILNS1_17partition_subalgoE3EjNS0_10empty_typeEbEEZZNS1_14partition_implILS8_3ELb0ES6_jNS0_17counting_iteratorIjlEEPS9_SE_NS0_5tupleIJPjSE_EEENSF_IJSE_SE_EEES9_SG_JZNS1_25segmented_radix_sort_implINS0_14default_configELb0EPKsPsPKlPlN2at6native12_GLOBAL__N_18offset_tEEE10hipError_tPvRmT1_PNSt15iterator_traitsISY_E10value_typeET2_T3_PNSZ_IS14_E10value_typeET4_jRbjT5_S1A_jjP12ihipStream_tbEUljE_EEESV_SW_SX_S14_S18_S1A_T6_T7_T9_mT8_S1C_bDpT10_ENKUlT_T0_E_clISt17integral_constantIbLb0EES1P_EEDaS1K_S1L_EUlS1K_E_NS1_11comp_targetILNS1_3genE9ELNS1_11target_archE1100ELNS1_3gpuE3ELNS1_3repE0EEENS1_30default_config_static_selectorELNS0_4arch9wavefront6targetE0EEEvSY_.uses_flat_scratch, 0
	.set _ZN7rocprim17ROCPRIM_400000_NS6detail17trampoline_kernelINS0_13select_configILj256ELj13ELNS0_17block_load_methodE3ELS4_3ELS4_3ELNS0_20block_scan_algorithmE0ELj4294967295EEENS1_25partition_config_selectorILNS1_17partition_subalgoE3EjNS0_10empty_typeEbEEZZNS1_14partition_implILS8_3ELb0ES6_jNS0_17counting_iteratorIjlEEPS9_SE_NS0_5tupleIJPjSE_EEENSF_IJSE_SE_EEES9_SG_JZNS1_25segmented_radix_sort_implINS0_14default_configELb0EPKsPsPKlPlN2at6native12_GLOBAL__N_18offset_tEEE10hipError_tPvRmT1_PNSt15iterator_traitsISY_E10value_typeET2_T3_PNSZ_IS14_E10value_typeET4_jRbjT5_S1A_jjP12ihipStream_tbEUljE_EEESV_SW_SX_S14_S18_S1A_T6_T7_T9_mT8_S1C_bDpT10_ENKUlT_T0_E_clISt17integral_constantIbLb0EES1P_EEDaS1K_S1L_EUlS1K_E_NS1_11comp_targetILNS1_3genE9ELNS1_11target_archE1100ELNS1_3gpuE3ELNS1_3repE0EEENS1_30default_config_static_selectorELNS0_4arch9wavefront6targetE0EEEvSY_.has_dyn_sized_stack, 0
	.set _ZN7rocprim17ROCPRIM_400000_NS6detail17trampoline_kernelINS0_13select_configILj256ELj13ELNS0_17block_load_methodE3ELS4_3ELS4_3ELNS0_20block_scan_algorithmE0ELj4294967295EEENS1_25partition_config_selectorILNS1_17partition_subalgoE3EjNS0_10empty_typeEbEEZZNS1_14partition_implILS8_3ELb0ES6_jNS0_17counting_iteratorIjlEEPS9_SE_NS0_5tupleIJPjSE_EEENSF_IJSE_SE_EEES9_SG_JZNS1_25segmented_radix_sort_implINS0_14default_configELb0EPKsPsPKlPlN2at6native12_GLOBAL__N_18offset_tEEE10hipError_tPvRmT1_PNSt15iterator_traitsISY_E10value_typeET2_T3_PNSZ_IS14_E10value_typeET4_jRbjT5_S1A_jjP12ihipStream_tbEUljE_EEESV_SW_SX_S14_S18_S1A_T6_T7_T9_mT8_S1C_bDpT10_ENKUlT_T0_E_clISt17integral_constantIbLb0EES1P_EEDaS1K_S1L_EUlS1K_E_NS1_11comp_targetILNS1_3genE9ELNS1_11target_archE1100ELNS1_3gpuE3ELNS1_3repE0EEENS1_30default_config_static_selectorELNS0_4arch9wavefront6targetE0EEEvSY_.has_recursion, 0
	.set _ZN7rocprim17ROCPRIM_400000_NS6detail17trampoline_kernelINS0_13select_configILj256ELj13ELNS0_17block_load_methodE3ELS4_3ELS4_3ELNS0_20block_scan_algorithmE0ELj4294967295EEENS1_25partition_config_selectorILNS1_17partition_subalgoE3EjNS0_10empty_typeEbEEZZNS1_14partition_implILS8_3ELb0ES6_jNS0_17counting_iteratorIjlEEPS9_SE_NS0_5tupleIJPjSE_EEENSF_IJSE_SE_EEES9_SG_JZNS1_25segmented_radix_sort_implINS0_14default_configELb0EPKsPsPKlPlN2at6native12_GLOBAL__N_18offset_tEEE10hipError_tPvRmT1_PNSt15iterator_traitsISY_E10value_typeET2_T3_PNSZ_IS14_E10value_typeET4_jRbjT5_S1A_jjP12ihipStream_tbEUljE_EEESV_SW_SX_S14_S18_S1A_T6_T7_T9_mT8_S1C_bDpT10_ENKUlT_T0_E_clISt17integral_constantIbLb0EES1P_EEDaS1K_S1L_EUlS1K_E_NS1_11comp_targetILNS1_3genE9ELNS1_11target_archE1100ELNS1_3gpuE3ELNS1_3repE0EEENS1_30default_config_static_selectorELNS0_4arch9wavefront6targetE0EEEvSY_.has_indirect_call, 0
	.section	.AMDGPU.csdata,"",@progbits
; Kernel info:
; codeLenInByte = 0
; TotalNumSgprs: 0
; NumVgprs: 0
; ScratchSize: 0
; MemoryBound: 0
; FloatMode: 240
; IeeeMode: 1
; LDSByteSize: 0 bytes/workgroup (compile time only)
; SGPRBlocks: 0
; VGPRBlocks: 0
; NumSGPRsForWavesPerEU: 1
; NumVGPRsForWavesPerEU: 1
; Occupancy: 16
; WaveLimiterHint : 0
; COMPUTE_PGM_RSRC2:SCRATCH_EN: 0
; COMPUTE_PGM_RSRC2:USER_SGPR: 6
; COMPUTE_PGM_RSRC2:TRAP_HANDLER: 0
; COMPUTE_PGM_RSRC2:TGID_X_EN: 1
; COMPUTE_PGM_RSRC2:TGID_Y_EN: 0
; COMPUTE_PGM_RSRC2:TGID_Z_EN: 0
; COMPUTE_PGM_RSRC2:TIDIG_COMP_CNT: 0
	.section	.text._ZN7rocprim17ROCPRIM_400000_NS6detail17trampoline_kernelINS0_13select_configILj256ELj13ELNS0_17block_load_methodE3ELS4_3ELS4_3ELNS0_20block_scan_algorithmE0ELj4294967295EEENS1_25partition_config_selectorILNS1_17partition_subalgoE3EjNS0_10empty_typeEbEEZZNS1_14partition_implILS8_3ELb0ES6_jNS0_17counting_iteratorIjlEEPS9_SE_NS0_5tupleIJPjSE_EEENSF_IJSE_SE_EEES9_SG_JZNS1_25segmented_radix_sort_implINS0_14default_configELb0EPKsPsPKlPlN2at6native12_GLOBAL__N_18offset_tEEE10hipError_tPvRmT1_PNSt15iterator_traitsISY_E10value_typeET2_T3_PNSZ_IS14_E10value_typeET4_jRbjT5_S1A_jjP12ihipStream_tbEUljE_EEESV_SW_SX_S14_S18_S1A_T6_T7_T9_mT8_S1C_bDpT10_ENKUlT_T0_E_clISt17integral_constantIbLb0EES1P_EEDaS1K_S1L_EUlS1K_E_NS1_11comp_targetILNS1_3genE8ELNS1_11target_archE1030ELNS1_3gpuE2ELNS1_3repE0EEENS1_30default_config_static_selectorELNS0_4arch9wavefront6targetE0EEEvSY_,"axG",@progbits,_ZN7rocprim17ROCPRIM_400000_NS6detail17trampoline_kernelINS0_13select_configILj256ELj13ELNS0_17block_load_methodE3ELS4_3ELS4_3ELNS0_20block_scan_algorithmE0ELj4294967295EEENS1_25partition_config_selectorILNS1_17partition_subalgoE3EjNS0_10empty_typeEbEEZZNS1_14partition_implILS8_3ELb0ES6_jNS0_17counting_iteratorIjlEEPS9_SE_NS0_5tupleIJPjSE_EEENSF_IJSE_SE_EEES9_SG_JZNS1_25segmented_radix_sort_implINS0_14default_configELb0EPKsPsPKlPlN2at6native12_GLOBAL__N_18offset_tEEE10hipError_tPvRmT1_PNSt15iterator_traitsISY_E10value_typeET2_T3_PNSZ_IS14_E10value_typeET4_jRbjT5_S1A_jjP12ihipStream_tbEUljE_EEESV_SW_SX_S14_S18_S1A_T6_T7_T9_mT8_S1C_bDpT10_ENKUlT_T0_E_clISt17integral_constantIbLb0EES1P_EEDaS1K_S1L_EUlS1K_E_NS1_11comp_targetILNS1_3genE8ELNS1_11target_archE1030ELNS1_3gpuE2ELNS1_3repE0EEENS1_30default_config_static_selectorELNS0_4arch9wavefront6targetE0EEEvSY_,comdat
	.globl	_ZN7rocprim17ROCPRIM_400000_NS6detail17trampoline_kernelINS0_13select_configILj256ELj13ELNS0_17block_load_methodE3ELS4_3ELS4_3ELNS0_20block_scan_algorithmE0ELj4294967295EEENS1_25partition_config_selectorILNS1_17partition_subalgoE3EjNS0_10empty_typeEbEEZZNS1_14partition_implILS8_3ELb0ES6_jNS0_17counting_iteratorIjlEEPS9_SE_NS0_5tupleIJPjSE_EEENSF_IJSE_SE_EEES9_SG_JZNS1_25segmented_radix_sort_implINS0_14default_configELb0EPKsPsPKlPlN2at6native12_GLOBAL__N_18offset_tEEE10hipError_tPvRmT1_PNSt15iterator_traitsISY_E10value_typeET2_T3_PNSZ_IS14_E10value_typeET4_jRbjT5_S1A_jjP12ihipStream_tbEUljE_EEESV_SW_SX_S14_S18_S1A_T6_T7_T9_mT8_S1C_bDpT10_ENKUlT_T0_E_clISt17integral_constantIbLb0EES1P_EEDaS1K_S1L_EUlS1K_E_NS1_11comp_targetILNS1_3genE8ELNS1_11target_archE1030ELNS1_3gpuE2ELNS1_3repE0EEENS1_30default_config_static_selectorELNS0_4arch9wavefront6targetE0EEEvSY_ ; -- Begin function _ZN7rocprim17ROCPRIM_400000_NS6detail17trampoline_kernelINS0_13select_configILj256ELj13ELNS0_17block_load_methodE3ELS4_3ELS4_3ELNS0_20block_scan_algorithmE0ELj4294967295EEENS1_25partition_config_selectorILNS1_17partition_subalgoE3EjNS0_10empty_typeEbEEZZNS1_14partition_implILS8_3ELb0ES6_jNS0_17counting_iteratorIjlEEPS9_SE_NS0_5tupleIJPjSE_EEENSF_IJSE_SE_EEES9_SG_JZNS1_25segmented_radix_sort_implINS0_14default_configELb0EPKsPsPKlPlN2at6native12_GLOBAL__N_18offset_tEEE10hipError_tPvRmT1_PNSt15iterator_traitsISY_E10value_typeET2_T3_PNSZ_IS14_E10value_typeET4_jRbjT5_S1A_jjP12ihipStream_tbEUljE_EEESV_SW_SX_S14_S18_S1A_T6_T7_T9_mT8_S1C_bDpT10_ENKUlT_T0_E_clISt17integral_constantIbLb0EES1P_EEDaS1K_S1L_EUlS1K_E_NS1_11comp_targetILNS1_3genE8ELNS1_11target_archE1030ELNS1_3gpuE2ELNS1_3repE0EEENS1_30default_config_static_selectorELNS0_4arch9wavefront6targetE0EEEvSY_
	.p2align	8
	.type	_ZN7rocprim17ROCPRIM_400000_NS6detail17trampoline_kernelINS0_13select_configILj256ELj13ELNS0_17block_load_methodE3ELS4_3ELS4_3ELNS0_20block_scan_algorithmE0ELj4294967295EEENS1_25partition_config_selectorILNS1_17partition_subalgoE3EjNS0_10empty_typeEbEEZZNS1_14partition_implILS8_3ELb0ES6_jNS0_17counting_iteratorIjlEEPS9_SE_NS0_5tupleIJPjSE_EEENSF_IJSE_SE_EEES9_SG_JZNS1_25segmented_radix_sort_implINS0_14default_configELb0EPKsPsPKlPlN2at6native12_GLOBAL__N_18offset_tEEE10hipError_tPvRmT1_PNSt15iterator_traitsISY_E10value_typeET2_T3_PNSZ_IS14_E10value_typeET4_jRbjT5_S1A_jjP12ihipStream_tbEUljE_EEESV_SW_SX_S14_S18_S1A_T6_T7_T9_mT8_S1C_bDpT10_ENKUlT_T0_E_clISt17integral_constantIbLb0EES1P_EEDaS1K_S1L_EUlS1K_E_NS1_11comp_targetILNS1_3genE8ELNS1_11target_archE1030ELNS1_3gpuE2ELNS1_3repE0EEENS1_30default_config_static_selectorELNS0_4arch9wavefront6targetE0EEEvSY_,@function
_ZN7rocprim17ROCPRIM_400000_NS6detail17trampoline_kernelINS0_13select_configILj256ELj13ELNS0_17block_load_methodE3ELS4_3ELS4_3ELNS0_20block_scan_algorithmE0ELj4294967295EEENS1_25partition_config_selectorILNS1_17partition_subalgoE3EjNS0_10empty_typeEbEEZZNS1_14partition_implILS8_3ELb0ES6_jNS0_17counting_iteratorIjlEEPS9_SE_NS0_5tupleIJPjSE_EEENSF_IJSE_SE_EEES9_SG_JZNS1_25segmented_radix_sort_implINS0_14default_configELb0EPKsPsPKlPlN2at6native12_GLOBAL__N_18offset_tEEE10hipError_tPvRmT1_PNSt15iterator_traitsISY_E10value_typeET2_T3_PNSZ_IS14_E10value_typeET4_jRbjT5_S1A_jjP12ihipStream_tbEUljE_EEESV_SW_SX_S14_S18_S1A_T6_T7_T9_mT8_S1C_bDpT10_ENKUlT_T0_E_clISt17integral_constantIbLb0EES1P_EEDaS1K_S1L_EUlS1K_E_NS1_11comp_targetILNS1_3genE8ELNS1_11target_archE1030ELNS1_3gpuE2ELNS1_3repE0EEENS1_30default_config_static_selectorELNS0_4arch9wavefront6targetE0EEEvSY_: ; @_ZN7rocprim17ROCPRIM_400000_NS6detail17trampoline_kernelINS0_13select_configILj256ELj13ELNS0_17block_load_methodE3ELS4_3ELS4_3ELNS0_20block_scan_algorithmE0ELj4294967295EEENS1_25partition_config_selectorILNS1_17partition_subalgoE3EjNS0_10empty_typeEbEEZZNS1_14partition_implILS8_3ELb0ES6_jNS0_17counting_iteratorIjlEEPS9_SE_NS0_5tupleIJPjSE_EEENSF_IJSE_SE_EEES9_SG_JZNS1_25segmented_radix_sort_implINS0_14default_configELb0EPKsPsPKlPlN2at6native12_GLOBAL__N_18offset_tEEE10hipError_tPvRmT1_PNSt15iterator_traitsISY_E10value_typeET2_T3_PNSZ_IS14_E10value_typeET4_jRbjT5_S1A_jjP12ihipStream_tbEUljE_EEESV_SW_SX_S14_S18_S1A_T6_T7_T9_mT8_S1C_bDpT10_ENKUlT_T0_E_clISt17integral_constantIbLb0EES1P_EEDaS1K_S1L_EUlS1K_E_NS1_11comp_targetILNS1_3genE8ELNS1_11target_archE1030ELNS1_3gpuE2ELNS1_3repE0EEENS1_30default_config_static_selectorELNS0_4arch9wavefront6targetE0EEEvSY_
; %bb.0:
	s_clause 0x6
	s_load_dword s0, s[4:5], 0x70
	s_load_dwordx2 s[16:17], s[4:5], 0x10
	s_load_dwordx4 s[12:15], s[4:5], 0x48
	s_load_dwordx2 s[18:19], s[4:5], 0x58
	s_load_dword s7, s[4:5], 0x8
	s_load_dwordx4 s[8:11], s[4:5], 0x78
	s_load_dword s1, s[4:5], 0x88
	s_mul_i32 s26, s6, 0xd00
	v_lshlrev_b32_e32 v42, 2, v0
	s_waitcnt lgkmcnt(0)
	s_mul_i32 s2, s0, 0xd00
	s_add_i32 s0, s0, -1
	s_add_i32 s3, s2, s16
	s_load_dwordx2 s[20:21], s[14:15], 0x0
	s_sub_i32 s25, s18, s3
	s_addk_i32 s25, 0xd00
	s_add_u32 s2, s16, s2
	s_addc_u32 s3, s17, 0
	s_cmp_eq_u32 s6, s0
	v_cmp_gt_u64_e64 s2, s[18:19], s[2:3]
	s_cselect_b32 s24, -1, 0
	s_cmp_lg_u32 s6, s0
	s_cselect_b32 s0, -1, 0
	s_add_i32 s3, s7, s26
	s_or_b32 s2, s0, s2
	s_add_i32 s3, s3, s16
	s_and_b32 vcc_lo, exec_lo, s2
	v_add_nc_u32_e32 v1, s3, v0
	s_mov_b32 s7, -1
	s_cbranch_vccz .LBB982_2
; %bb.1:
	v_add_nc_u32_e32 v2, 0x100, v1
	v_add_nc_u32_e32 v3, 0x200, v1
	;; [unrolled: 1-line block ×12, first 2 shown]
	ds_write2st64_b32 v42, v1, v2 offset1:4
	ds_write2st64_b32 v42, v3, v4 offset0:8 offset1:12
	ds_write2st64_b32 v42, v5, v6 offset0:16 offset1:20
	;; [unrolled: 1-line block ×5, first 2 shown]
	ds_write_b32 v42, v13 offset:12288
	s_waitcnt lgkmcnt(0)
	s_mov_b32 s7, 0
	s_barrier
.LBB982_2:
	v_cmp_gt_u32_e64 s0, s25, v0
	v_or_b32_e32 v41, 0x100, v0
	v_or_b32_e32 v40, 0x200, v0
	;; [unrolled: 1-line block ×12, first 2 shown]
	s_andn2_b32 vcc_lo, exec_lo, s7
	s_cbranch_vccnz .LBB982_4
; %bb.3:
	v_add_nc_u32_e32 v2, s3, v41
	v_cmp_gt_u32_e32 vcc_lo, s25, v41
	v_add_nc_u32_e32 v3, s3, v40
	v_add_nc_u32_e32 v4, s3, v39
	;; [unrolled: 1-line block ×4, first 2 shown]
	v_cndmask_b32_e32 v2, 0, v2, vcc_lo
	v_cmp_gt_u32_e32 vcc_lo, s25, v40
	v_add_nc_u32_e32 v7, s3, v36
	v_add_nc_u32_e32 v8, s3, v35
	;; [unrolled: 1-line block ×4, first 2 shown]
	v_cndmask_b32_e32 v3, 0, v3, vcc_lo
	v_cmp_gt_u32_e32 vcc_lo, s25, v39
	v_add_nc_u32_e32 v11, s3, v32
	v_add_nc_u32_e32 v12, s3, v31
	v_cndmask_b32_e64 v1, 0, v1, s0
	v_add_nc_u32_e32 v13, s3, v30
	v_cndmask_b32_e32 v4, 0, v4, vcc_lo
	v_cmp_gt_u32_e32 vcc_lo, s25, v38
	v_cndmask_b32_e32 v5, 0, v5, vcc_lo
	v_cmp_gt_u32_e32 vcc_lo, s25, v37
	v_cndmask_b32_e32 v6, 0, v6, vcc_lo
	v_cmp_gt_u32_e32 vcc_lo, s25, v36
	v_cndmask_b32_e32 v7, 0, v7, vcc_lo
	v_cmp_gt_u32_e32 vcc_lo, s25, v35
	v_cndmask_b32_e32 v8, 0, v8, vcc_lo
	v_cmp_gt_u32_e32 vcc_lo, s25, v34
	v_cndmask_b32_e32 v9, 0, v9, vcc_lo
	v_cmp_gt_u32_e32 vcc_lo, s25, v33
	v_cndmask_b32_e32 v10, 0, v10, vcc_lo
	v_cmp_gt_u32_e32 vcc_lo, s25, v32
	v_cndmask_b32_e32 v11, 0, v11, vcc_lo
	v_cmp_gt_u32_e32 vcc_lo, s25, v31
	v_cndmask_b32_e32 v12, 0, v12, vcc_lo
	v_cmp_gt_u32_e32 vcc_lo, s25, v30
	v_cndmask_b32_e32 v13, 0, v13, vcc_lo
	ds_write2st64_b32 v42, v1, v2 offset1:4
	ds_write2st64_b32 v42, v3, v4 offset0:8 offset1:12
	ds_write2st64_b32 v42, v5, v6 offset0:16 offset1:20
	;; [unrolled: 1-line block ×5, first 2 shown]
	ds_write_b32 v42, v13 offset:12288
	s_waitcnt lgkmcnt(0)
	s_barrier
.LBB982_4:
	v_mul_u32_u24_e32 v45, 13, v0
	s_waitcnt lgkmcnt(0)
	buffer_gl0_inv
	v_cndmask_b32_e64 v43, 0, 1, s2
	s_andn2_b32 vcc_lo, exec_lo, s2
	v_lshlrev_b32_e32 v1, 2, v45
	ds_read2_b32 v[26:27], v1 offset0:2 offset1:3
	ds_read2_b32 v[22:23], v1 offset0:6 offset1:7
	;; [unrolled: 1-line block ×3, first 2 shown]
	ds_read2_b32 v[28:29], v1 offset1:1
	ds_read2_b32 v[18:19], v1 offset0:10 offset1:11
	ds_read_b32 v44, v1 offset:48
	ds_read2_b32 v[20:21], v1 offset0:8 offset1:9
	s_waitcnt lgkmcnt(0)
	s_barrier
	buffer_gl0_inv
	s_cbranch_vccnz .LBB982_6
; %bb.5:
	v_add_nc_u32_e32 v1, s9, v27
	v_add_nc_u32_e32 v4, s9, v26
	;; [unrolled: 1-line block ×6, first 2 shown]
	v_mul_lo_u32 v4, v4, s8
	v_mul_lo_u32 v1, v1, s8
	;; [unrolled: 1-line block ×4, first 2 shown]
	v_add_nc_u32_e32 v3, s9, v28
	v_add_nc_u32_e32 v7, s11, v28
	v_mul_lo_u32 v2, v2, s8
	v_mul_lo_u32 v6, v6, s10
	v_add_nc_u32_e32 v10, s11, v25
	v_mul_lo_u32 v3, v3, s8
	v_mul_lo_u32 v7, v7, s10
	v_sub_nc_u32_e32 v1, v1, v5
	v_sub_nc_u32_e32 v4, v4, v8
	v_add_nc_u32_e32 v5, s9, v23
	v_add_nc_u32_e32 v8, s11, v23
	v_sub_nc_u32_e32 v2, v2, v6
	v_add_nc_u32_e32 v6, s9, v25
	v_add_nc_u32_e32 v9, s9, v22
	v_mul_lo_u32 v5, v5, s8
	v_mul_lo_u32 v8, v8, s10
	v_sub_nc_u32_e32 v3, v3, v7
	v_add_nc_u32_e32 v7, s9, v24
	v_add_nc_u32_e32 v11, s11, v22
	v_mul_lo_u32 v6, v6, s8
	v_mul_lo_u32 v10, v10, s10
	v_add_nc_u32_e32 v12, s11, v24
	v_mul_lo_u32 v9, v9, s8
	v_mul_lo_u32 v7, v7, s8
	;; [unrolled: 1-line block ×3, first 2 shown]
	v_sub_nc_u32_e32 v5, v5, v8
	v_mul_lo_u32 v8, v12, s10
	v_cmp_lt_u32_e32 vcc_lo, s1, v1
	v_sub_nc_u32_e32 v6, v6, v10
	v_add_nc_u32_e32 v10, s9, v19
	v_add_nc_u32_e32 v14, s11, v19
	v_add_nc_u32_e32 v15, s11, v21
	v_cndmask_b32_e64 v1, 0, 1, vcc_lo
	v_cmp_lt_u32_e32 vcc_lo, s1, v2
	v_sub_nc_u32_e32 v7, v7, v8
	v_sub_nc_u32_e32 v8, v9, v11
	v_add_nc_u32_e32 v11, s9, v21
	v_mul_lo_u32 v10, v10, s8
	v_mul_lo_u32 v14, v14, s10
	v_cndmask_b32_e64 v2, 0, 1, vcc_lo
	v_cmp_lt_u32_e32 vcc_lo, s1, v5
	v_mul_lo_u32 v11, v11, s8
	v_mul_lo_u32 v15, v15, s10
	v_mov_b32_e32 v9, 8
	v_lshlrev_b16 v2, 8, v2
	v_cndmask_b32_e64 v5, 0, 1, vcc_lo
	v_cmp_lt_u32_e32 vcc_lo, s1, v6
	v_sub_nc_u32_e32 v10, v10, v14
	v_add_nc_u32_e32 v12, s9, v20
	v_add_nc_u32_e32 v16, s11, v20
	v_sub_nc_u32_e32 v11, v11, v15
	v_cndmask_b32_e64 v6, 0, 1, vcc_lo
	v_cmp_lt_u32_e32 vcc_lo, s1, v10
	v_lshrrev_b32_sdwa v2, v9, v2 dst_sel:BYTE_1 dst_unused:UNUSED_PAD src0_sel:DWORD src1_sel:DWORD
	v_add_nc_u32_e32 v13, s9, v18
	v_add_nc_u32_e32 v17, s11, v18
	v_mul_lo_u32 v12, v12, s8
	v_cndmask_b32_e64 v10, 0, 1, vcc_lo
	v_cmp_lt_u32_e32 vcc_lo, s1, v11
	v_mul_lo_u32 v16, v16, s10
	v_mul_lo_u32 v13, v13, s8
	;; [unrolled: 1-line block ×3, first 2 shown]
	v_add_nc_u32_e32 v14, s9, v44
	v_cndmask_b32_e64 v11, 0, 1, vcc_lo
	v_cmp_lt_u32_e32 vcc_lo, s1, v3
	v_add_nc_u32_e32 v15, s11, v44
	v_lshlrev_b16 v1, 8, v1
	v_sub_nc_u32_e32 v12, v12, v16
	v_lshlrev_b16 v11, 8, v11
	v_cndmask_b32_e64 v3, 0, 1, vcc_lo
	v_cmp_lt_u32_e32 vcc_lo, s1, v4
	v_sub_nc_u32_e32 v13, v13, v17
	v_mul_lo_u32 v14, v14, s8
	v_mul_lo_u32 v15, v15, s10
	v_or_b32_e32 v2, v3, v2
	v_cndmask_b32_e64 v3, 0, 1, vcc_lo
	v_cmp_lt_u32_e32 vcc_lo, s1, v7
	v_lshlrev_b16 v6, 8, v6
	v_lshlrev_b16 v10, 8, v10
	v_lshlrev_b16 v5, 8, v5
	v_lshrrev_b32_sdwa v1, v9, v1 dst_sel:BYTE_1 dst_unused:UNUSED_PAD src0_sel:DWORD src1_sel:DWORD
	v_cndmask_b32_e64 v4, 0, 1, vcc_lo
	v_cmp_lt_u32_e32 vcc_lo, s1, v8
	v_lshrrev_b32_sdwa v8, v9, v11 dst_sel:BYTE_1 dst_unused:UNUSED_PAD src0_sel:DWORD src1_sel:DWORD
	v_lshrrev_b32_sdwa v6, v9, v6 dst_sel:BYTE_1 dst_unused:UNUSED_PAD src0_sel:DWORD src1_sel:DWORD
	v_sub_nc_u32_e32 v14, v14, v15
	v_lshrrev_b32_sdwa v9, v9, v10 dst_sel:BYTE_1 dst_unused:UNUSED_PAD src0_sel:DWORD src1_sel:DWORD
	v_cndmask_b32_e64 v7, 0, 1, vcc_lo
	v_cmp_lt_u32_e32 vcc_lo, s1, v12
	v_or_b32_sdwa v1, v3, v1 dst_sel:WORD_1 dst_unused:UNUSED_PAD src0_sel:DWORD src1_sel:DWORD
	v_or_b32_e32 v3, v4, v6
	v_or_b32_sdwa v4, v7, v5 dst_sel:WORD_1 dst_unused:UNUSED_PAD src0_sel:DWORD src1_sel:DWORD
	v_cndmask_b32_e64 v11, 0, 1, vcc_lo
	v_cmp_lt_u32_e32 vcc_lo, s1, v13
	v_or_b32_sdwa v50, v2, v1 dst_sel:DWORD dst_unused:UNUSED_PAD src0_sel:WORD_0 src1_sel:DWORD
	v_or_b32_sdwa v48, v3, v4 dst_sel:DWORD dst_unused:UNUSED_PAD src0_sel:WORD_0 src1_sel:DWORD
	v_or_b32_e32 v5, v11, v8
	v_cndmask_b32_e64 v10, 0, 1, vcc_lo
	v_cmp_lt_u32_e32 vcc_lo, s1, v14
	v_or_b32_sdwa v6, v10, v9 dst_sel:WORD_1 dst_unused:UNUSED_PAD src0_sel:DWORD src1_sel:DWORD
	v_cndmask_b32_e64 v46, 0, 1, vcc_lo
	v_or_b32_sdwa v47, v5, v6 dst_sel:DWORD dst_unused:UNUSED_PAD src0_sel:WORD_0 src1_sel:DWORD
	s_clause 0x1
	s_load_dwordx2 s[14:15], s[4:5], 0x28
	s_load_dwordx2 s[22:23], s[4:5], 0x68
	s_cbranch_execz .LBB982_7
	s_branch .LBB982_34
.LBB982_6:
                                        ; implicit-def: $vgpr46
                                        ; implicit-def: $vgpr47
                                        ; implicit-def: $vgpr48
                                        ; implicit-def: $vgpr50
	s_clause 0x1
	s_load_dwordx2 s[14:15], s[4:5], 0x28
	s_load_dwordx2 s[22:23], s[4:5], 0x68
.LBB982_7:
	v_mov_b32_e32 v2, 0
	v_mov_b32_e32 v1, 0
	s_mov_b32 s0, exec_lo
	v_cmpx_gt_u32_e64 s25, v45
	s_cbranch_execz .LBB982_9
; %bb.8:
	v_add_nc_u32_e32 v1, s9, v28
	v_add_nc_u32_e32 v3, s11, v28
	v_mul_lo_u32 v1, v1, s8
	v_mul_lo_u32 v3, v3, s10
	v_sub_nc_u32_e32 v1, v1, v3
	v_cmp_lt_u32_e32 vcc_lo, s1, v1
	v_cndmask_b32_e64 v1, 0, 1, vcc_lo
.LBB982_9:
	s_or_b32 exec_lo, exec_lo, s0
	v_add_nc_u32_e32 v3, 1, v45
	s_mov_b32 s0, exec_lo
	v_cmpx_gt_u32_e64 s25, v3
	s_cbranch_execz .LBB982_11
; %bb.10:
	v_add_nc_u32_e32 v2, s9, v29
	v_add_nc_u32_e32 v3, s11, v29
	v_mul_lo_u32 v2, v2, s8
	v_mul_lo_u32 v3, v3, s10
	v_sub_nc_u32_e32 v2, v2, v3
	v_cmp_lt_u32_e32 vcc_lo, s1, v2
	v_cndmask_b32_e64 v2, 0, 1, vcc_lo
.LBB982_11:
	s_or_b32 exec_lo, exec_lo, s0
	v_add_nc_u32_e32 v3, 2, v45
	v_mov_b32_e32 v4, 0
	v_cmp_gt_u32_e32 vcc_lo, s25, v3
	v_mov_b32_e32 v3, 0
	s_and_saveexec_b32 s0, vcc_lo
	s_cbranch_execz .LBB982_13
; %bb.12:
	v_add_nc_u32_e32 v3, s9, v26
	v_add_nc_u32_e32 v5, s11, v26
	v_mul_lo_u32 v3, v3, s8
	v_mul_lo_u32 v5, v5, s10
	v_sub_nc_u32_e32 v3, v3, v5
	v_cmp_lt_u32_e32 vcc_lo, s1, v3
	v_cndmask_b32_e64 v3, 0, 1, vcc_lo
.LBB982_13:
	s_or_b32 exec_lo, exec_lo, s0
	v_add_nc_u32_e32 v5, 3, v45
	s_mov_b32 s0, exec_lo
	v_cmpx_gt_u32_e64 s25, v5
	s_cbranch_execz .LBB982_15
; %bb.14:
	v_add_nc_u32_e32 v4, s9, v27
	v_add_nc_u32_e32 v5, s11, v27
	v_mul_lo_u32 v4, v4, s8
	v_mul_lo_u32 v5, v5, s10
	v_sub_nc_u32_e32 v4, v4, v5
	v_cmp_lt_u32_e32 vcc_lo, s1, v4
	v_cndmask_b32_e64 v4, 0, 1, vcc_lo
.LBB982_15:
	s_or_b32 exec_lo, exec_lo, s0
	v_add_nc_u32_e32 v5, 4, v45
	v_mov_b32_e32 v6, 0
	v_cmp_gt_u32_e32 vcc_lo, s25, v5
	v_mov_b32_e32 v5, 0
	s_and_saveexec_b32 s0, vcc_lo
	;; [unrolled: 30-line block ×5, first 2 shown]
	s_cbranch_execz .LBB982_29
; %bb.28:
	v_add_nc_u32_e32 v11, s9, v18
	v_add_nc_u32_e32 v13, s11, v18
	v_mul_lo_u32 v11, v11, s8
	v_mul_lo_u32 v13, v13, s10
	v_sub_nc_u32_e32 v11, v11, v13
	v_cmp_lt_u32_e32 vcc_lo, s1, v11
	v_cndmask_b32_e64 v11, 0, 1, vcc_lo
.LBB982_29:
	s_or_b32 exec_lo, exec_lo, s0
	v_add_nc_u32_e32 v13, 11, v45
	s_mov_b32 s0, exec_lo
	v_cmpx_gt_u32_e64 s25, v13
	s_cbranch_execz .LBB982_31
; %bb.30:
	v_add_nc_u32_e32 v12, s9, v19
	v_add_nc_u32_e32 v13, s11, v19
	v_mul_lo_u32 v12, v12, s8
	v_mul_lo_u32 v13, v13, s10
	v_sub_nc_u32_e32 v12, v12, v13
	v_cmp_lt_u32_e32 vcc_lo, s1, v12
	v_cndmask_b32_e64 v12, 0, 1, vcc_lo
.LBB982_31:
	s_or_b32 exec_lo, exec_lo, s0
	v_add_nc_u32_e32 v13, 12, v45
	v_mov_b32_e32 v46, 0
	s_mov_b32 s0, exec_lo
	v_cmpx_gt_u32_e64 s25, v13
	s_cbranch_execz .LBB982_33
; %bb.32:
	v_add_nc_u32_e32 v13, s9, v44
	v_add_nc_u32_e32 v14, s11, v44
	v_mul_lo_u32 v13, v13, s8
	v_mul_lo_u32 v14, v14, s10
	v_sub_nc_u32_e32 v13, v13, v14
	v_cmp_lt_u32_e32 vcc_lo, s1, v13
	v_cndmask_b32_e64 v46, 0, 1, vcc_lo
.LBB982_33:
	s_or_b32 exec_lo, exec_lo, s0
	v_lshlrev_b16 v2, 8, v2
	v_lshlrev_b16 v4, 8, v4
	;; [unrolled: 1-line block ×5, first 2 shown]
	v_or_b32_e32 v1, v1, v2
	v_lshlrev_b16 v2, 8, v12
	v_or_b32_sdwa v3, v3, v4 dst_sel:WORD_1 dst_unused:UNUSED_PAD src0_sel:DWORD src1_sel:DWORD
	v_or_b32_e32 v4, v5, v6
	v_or_b32_sdwa v5, v7, v8 dst_sel:WORD_1 dst_unused:UNUSED_PAD src0_sel:DWORD src1_sel:DWORD
	v_or_b32_e32 v6, v9, v10
	v_or_b32_sdwa v2, v11, v2 dst_sel:WORD_1 dst_unused:UNUSED_PAD src0_sel:DWORD src1_sel:DWORD
	v_or_b32_sdwa v50, v1, v3 dst_sel:DWORD dst_unused:UNUSED_PAD src0_sel:WORD_0 src1_sel:DWORD
	v_or_b32_sdwa v48, v4, v5 dst_sel:DWORD dst_unused:UNUSED_PAD src0_sel:WORD_0 src1_sel:DWORD
	;; [unrolled: 1-line block ×3, first 2 shown]
.LBB982_34:
	v_and_b32_e32 v53, 0xff, v50
	v_bfe_u32 v54, v50, 8, 8
	v_bfe_u32 v55, v50, 16, 8
	v_lshrrev_b32_e32 v52, 24, v50
	v_and_b32_e32 v56, 0xff, v48
	v_bfe_u32 v57, v48, 8, 8
	v_bfe_u32 v58, v48, 16, 8
	v_add3_u32 v1, v54, v53, v55
	v_lshrrev_b32_e32 v51, 24, v48
	v_and_b32_e32 v59, 0xff, v47
	v_bfe_u32 v60, v47, 8, 8
	v_mbcnt_lo_u32_b32 v62, -1, 0
	v_add3_u32 v1, v1, v52, v56
	v_bfe_u32 v61, v47, 16, 8
	v_lshrrev_b32_e32 v49, 24, v47
	v_and_b32_e32 v2, 0xff, v46
	v_and_b32_e32 v3, 15, v62
	v_add3_u32 v1, v1, v57, v58
	v_or_b32_e32 v4, 31, v0
	v_and_b32_e32 v5, 16, v62
	v_lshrrev_b32_e32 v63, 5, v0
	v_cmp_eq_u32_e64 s5, 0, v3
	v_add3_u32 v1, v1, v51, v59
	v_cmp_lt_u32_e64 s4, 1, v3
	v_cmp_lt_u32_e64 s3, 3, v3
	;; [unrolled: 1-line block ×3, first 2 shown]
	v_cmp_eq_u32_e64 s1, 0, v5
	v_add3_u32 v1, v1, v60, v61
	v_cmp_eq_u32_e64 s0, v0, v4
	s_cmp_lg_u32 s6, 0
	s_mov_b32 s7, -1
	v_add3_u32 v64, v1, v49, v2
	s_cbranch_scc0 .LBB982_56
; %bb.35:
	v_mov_b32_dpp v1, v64 row_shr:1 row_mask:0xf bank_mask:0xf
	v_cndmask_b32_e64 v1, v1, 0, s5
	v_add_nc_u32_e32 v1, v1, v64
	v_mov_b32_dpp v2, v1 row_shr:2 row_mask:0xf bank_mask:0xf
	v_cndmask_b32_e64 v2, 0, v2, s4
	v_add_nc_u32_e32 v1, v1, v2
	;; [unrolled: 3-line block ×4, first 2 shown]
	ds_swizzle_b32 v2, v1 offset:swizzle(BROADCAST,32,15)
	s_waitcnt lgkmcnt(0)
	v_cndmask_b32_e64 v2, v2, 0, s1
	v_add_nc_u32_e32 v1, v1, v2
	s_and_saveexec_b32 s7, s0
; %bb.36:
	v_lshlrev_b32_e32 v2, 2, v63
	ds_write_b32 v2, v1
; %bb.37:
	s_or_b32 exec_lo, exec_lo, s7
	s_mov_b32 s7, exec_lo
	s_waitcnt lgkmcnt(0)
	s_barrier
	buffer_gl0_inv
	v_cmpx_gt_u32_e32 8, v0
	s_cbranch_execz .LBB982_39
; %bb.38:
	ds_read_b32 v2, v42
	v_and_b32_e32 v3, 7, v62
	v_cmp_ne_u32_e32 vcc_lo, 0, v3
	s_waitcnt lgkmcnt(0)
	v_mov_b32_dpp v4, v2 row_shr:1 row_mask:0xf bank_mask:0xf
	v_cndmask_b32_e32 v4, 0, v4, vcc_lo
	v_cmp_lt_u32_e32 vcc_lo, 1, v3
	v_add_nc_u32_e32 v2, v4, v2
	v_mov_b32_dpp v4, v2 row_shr:2 row_mask:0xf bank_mask:0xf
	v_cndmask_b32_e32 v4, 0, v4, vcc_lo
	v_cmp_lt_u32_e32 vcc_lo, 3, v3
	v_add_nc_u32_e32 v2, v2, v4
	v_mov_b32_dpp v4, v2 row_shr:4 row_mask:0xf bank_mask:0xf
	v_cndmask_b32_e32 v3, 0, v4, vcc_lo
	v_add_nc_u32_e32 v2, v2, v3
	ds_write_b32 v42, v2
.LBB982_39:
	s_or_b32 exec_lo, exec_lo, s7
	s_mov_b32 s8, exec_lo
	v_cmp_gt_u32_e32 vcc_lo, 32, v0
	s_waitcnt lgkmcnt(0)
	s_barrier
	buffer_gl0_inv
                                        ; implicit-def: $vgpr10
	v_cmpx_lt_u32_e32 31, v0
	s_cbranch_execz .LBB982_41
; %bb.40:
	v_lshl_add_u32 v2, v63, 2, -4
	ds_read_b32 v10, v2
	s_waitcnt lgkmcnt(0)
	v_add_nc_u32_e32 v1, v10, v1
.LBB982_41:
	s_or_b32 exec_lo, exec_lo, s8
	v_sub_co_u32 v2, s7, v62, 1
	v_cmp_gt_i32_e64 s8, 0, v2
	v_cndmask_b32_e64 v2, v2, v62, s8
	v_lshlrev_b32_e32 v2, 2, v2
	ds_bpermute_b32 v11, v2, v1
	s_and_saveexec_b32 s8, vcc_lo
	s_cbranch_execz .LBB982_61
; %bb.42:
	v_mov_b32_e32 v7, 0
	ds_read_b32 v1, v7 offset:28
	s_and_saveexec_b32 s9, s7
	s_cbranch_execz .LBB982_44
; %bb.43:
	s_add_i32 s10, s6, 32
	s_mov_b32 s11, 0
	v_mov_b32_e32 v2, 1
	s_lshl_b64 s[10:11], s[10:11], 3
	s_add_u32 s10, s22, s10
	s_addc_u32 s11, s23, s11
	s_waitcnt lgkmcnt(0)
	global_store_dwordx2 v7, v[1:2], s[10:11]
.LBB982_44:
	s_or_b32 exec_lo, exec_lo, s9
	v_xad_u32 v3, v62, -1, s6
	s_mov_b32 s10, 0
	v_add_nc_u32_e32 v6, 32, v3
	v_lshlrev_b64 v[4:5], 3, v[6:7]
	v_add_co_u32 v8, vcc_lo, s22, v4
	v_add_co_ci_u32_e64 v9, null, s23, v5, vcc_lo
	global_load_dwordx2 v[5:6], v[8:9], off glc dlc
	s_waitcnt vmcnt(0)
	v_cmp_eq_u16_sdwa s11, v6, v7 src0_sel:BYTE_0 src1_sel:DWORD
	s_and_saveexec_b32 s9, s11
	s_cbranch_execz .LBB982_48
; %bb.45:
	v_mov_b32_e32 v2, 0
.LBB982_46:                             ; =>This Inner Loop Header: Depth=1
	global_load_dwordx2 v[5:6], v[8:9], off glc dlc
	s_waitcnt vmcnt(0)
	v_cmp_ne_u16_sdwa s11, v6, v2 src0_sel:BYTE_0 src1_sel:DWORD
	s_or_b32 s10, s11, s10
	s_andn2_b32 exec_lo, exec_lo, s10
	s_cbranch_execnz .LBB982_46
; %bb.47:
	s_or_b32 exec_lo, exec_lo, s10
.LBB982_48:
	s_or_b32 exec_lo, exec_lo, s9
	v_cmp_ne_u32_e32 vcc_lo, 31, v62
	v_mov_b32_e32 v12, 2
	v_lshlrev_b32_e64 v13, v62, -1
	v_add_nc_u32_e32 v15, 2, v62
	v_add_nc_u32_e32 v17, 4, v62
	v_add_co_ci_u32_e64 v2, null, 0, v62, vcc_lo
	v_cmp_eq_u16_sdwa s9, v6, v12 src0_sel:BYTE_0 src1_sel:DWORD
	v_cmp_gt_u32_e32 vcc_lo, 30, v62
	v_add_nc_u32_e32 v66, 8, v62
	v_lshlrev_b32_e32 v9, 2, v2
	v_lshl_or_b32 v67, v62, 2, 64
	v_and_or_b32 v4, s9, v13, 0x80000000
	v_cndmask_b32_e64 v7, 0, 2, vcc_lo
	v_add_nc_u32_e32 v68, 16, v62
	ds_bpermute_b32 v2, v9, v5
	v_ffbl_b32_e32 v4, v4
	v_add_lshl_u32 v14, v7, v62, 2
	v_cmp_lt_u32_e32 vcc_lo, v62, v4
	s_waitcnt lgkmcnt(0)
	v_cndmask_b32_e32 v2, 0, v2, vcc_lo
	v_cmp_gt_u32_e32 vcc_lo, 28, v62
	v_add_nc_u32_e32 v2, v2, v5
	v_cndmask_b32_e64 v7, 0, 4, vcc_lo
	v_cmp_le_u32_e32 vcc_lo, v15, v4
	ds_bpermute_b32 v5, v14, v2
	v_add_lshl_u32 v16, v7, v62, 2
	s_waitcnt lgkmcnt(0)
	v_cndmask_b32_e32 v5, 0, v5, vcc_lo
	v_cmp_gt_u32_e32 vcc_lo, 24, v62
	v_add_nc_u32_e32 v2, v2, v5
	v_cndmask_b32_e64 v7, 0, 8, vcc_lo
	v_cmp_le_u32_e32 vcc_lo, v17, v4
	ds_bpermute_b32 v5, v16, v2
	v_add_lshl_u32 v65, v7, v62, 2
	s_waitcnt lgkmcnt(0)
	v_cndmask_b32_e32 v5, 0, v5, vcc_lo
	v_cmp_le_u32_e32 vcc_lo, v66, v4
	v_add_nc_u32_e32 v2, v2, v5
	ds_bpermute_b32 v5, v65, v2
	s_waitcnt lgkmcnt(0)
	v_cndmask_b32_e32 v5, 0, v5, vcc_lo
	v_cmp_le_u32_e32 vcc_lo, v68, v4
	v_add_nc_u32_e32 v2, v2, v5
	ds_bpermute_b32 v5, v67, v2
	s_waitcnt lgkmcnt(0)
	v_cndmask_b32_e32 v4, 0, v5, vcc_lo
	v_add_nc_u32_e32 v5, v2, v4
	v_mov_b32_e32 v4, 0
	s_branch .LBB982_52
.LBB982_49:                             ;   in Loop: Header=BB982_52 Depth=1
	s_or_b32 exec_lo, exec_lo, s10
.LBB982_50:                             ;   in Loop: Header=BB982_52 Depth=1
	s_or_b32 exec_lo, exec_lo, s9
	ds_bpermute_b32 v7, v9, v5
	v_cmp_eq_u16_sdwa s9, v6, v12 src0_sel:BYTE_0 src1_sel:DWORD
	v_subrev_nc_u32_e32 v3, 32, v3
	v_and_or_b32 v8, s9, v13, 0x80000000
	s_mov_b32 s9, 0
	v_ffbl_b32_e32 v8, v8
	v_cmp_lt_u32_e32 vcc_lo, v62, v8
	s_waitcnt lgkmcnt(0)
	v_cndmask_b32_e32 v7, 0, v7, vcc_lo
	v_cmp_le_u32_e32 vcc_lo, v15, v8
	v_add_nc_u32_e32 v5, v7, v5
	ds_bpermute_b32 v7, v14, v5
	s_waitcnt lgkmcnt(0)
	v_cndmask_b32_e32 v7, 0, v7, vcc_lo
	v_cmp_le_u32_e32 vcc_lo, v17, v8
	v_add_nc_u32_e32 v5, v5, v7
	ds_bpermute_b32 v7, v16, v5
	s_waitcnt lgkmcnt(0)
	v_cndmask_b32_e32 v7, 0, v7, vcc_lo
	v_cmp_le_u32_e32 vcc_lo, v66, v8
	v_add_nc_u32_e32 v5, v5, v7
	ds_bpermute_b32 v7, v65, v5
	s_waitcnt lgkmcnt(0)
	v_cndmask_b32_e32 v7, 0, v7, vcc_lo
	v_cmp_le_u32_e32 vcc_lo, v68, v8
	v_add_nc_u32_e32 v5, v5, v7
	ds_bpermute_b32 v7, v67, v5
	s_waitcnt lgkmcnt(0)
	v_cndmask_b32_e32 v7, 0, v7, vcc_lo
	v_add3_u32 v5, v7, v2, v5
.LBB982_51:                             ;   in Loop: Header=BB982_52 Depth=1
	s_and_b32 vcc_lo, exec_lo, s9
	s_cbranch_vccnz .LBB982_57
.LBB982_52:                             ; =>This Loop Header: Depth=1
                                        ;     Child Loop BB982_55 Depth 2
	v_cmp_ne_u16_sdwa s9, v6, v12 src0_sel:BYTE_0 src1_sel:DWORD
	v_mov_b32_e32 v2, v5
                                        ; implicit-def: $vgpr5
                                        ; implicit-def: $vgpr6
	s_cmp_lg_u32 s9, exec_lo
	s_mov_b32 s9, -1
	s_cbranch_scc1 .LBB982_51
; %bb.53:                               ;   in Loop: Header=BB982_52 Depth=1
	v_lshlrev_b64 v[5:6], 3, v[3:4]
	v_add_co_u32 v7, vcc_lo, s22, v5
	v_add_co_ci_u32_e64 v8, null, s23, v6, vcc_lo
	global_load_dwordx2 v[5:6], v[7:8], off glc dlc
	s_waitcnt vmcnt(0)
	v_cmp_eq_u16_sdwa s10, v6, v4 src0_sel:BYTE_0 src1_sel:DWORD
	s_and_saveexec_b32 s9, s10
	s_cbranch_execz .LBB982_50
; %bb.54:                               ;   in Loop: Header=BB982_52 Depth=1
	s_mov_b32 s10, 0
.LBB982_55:                             ;   Parent Loop BB982_52 Depth=1
                                        ; =>  This Inner Loop Header: Depth=2
	global_load_dwordx2 v[5:6], v[7:8], off glc dlc
	s_waitcnt vmcnt(0)
	v_cmp_ne_u16_sdwa s11, v6, v4 src0_sel:BYTE_0 src1_sel:DWORD
	s_or_b32 s10, s11, s10
	s_andn2_b32 exec_lo, exec_lo, s10
	s_cbranch_execnz .LBB982_55
	s_branch .LBB982_49
.LBB982_56:
                                        ; implicit-def: $vgpr17
                                        ; implicit-def: $vgpr1_vgpr2_vgpr3_vgpr4_vgpr5_vgpr6_vgpr7_vgpr8_vgpr9_vgpr10_vgpr11_vgpr12_vgpr13_vgpr14_vgpr15_vgpr16
	s_and_b32 vcc_lo, exec_lo, s7
	s_cbranch_vccnz .LBB982_62
	s_branch .LBB982_71
.LBB982_57:
	s_and_saveexec_b32 s9, s7
	s_cbranch_execz .LBB982_59
; %bb.58:
	s_add_i32 s10, s6, 32
	s_mov_b32 s11, 0
	v_add_nc_u32_e32 v3, v2, v1
	v_mov_b32_e32 v4, 2
	s_lshl_b64 s[10:11], s[10:11], 3
	v_mov_b32_e32 v5, 0
	s_add_u32 s10, s22, s10
	s_addc_u32 s11, s23, s11
	global_store_dwordx2 v5, v[3:4], s[10:11]
	ds_write_b64 v5, v[1:2] offset:13312
.LBB982_59:
	s_or_b32 exec_lo, exec_lo, s9
	v_cmp_eq_u32_e32 vcc_lo, 0, v0
	s_and_b32 exec_lo, exec_lo, vcc_lo
; %bb.60:
	v_mov_b32_e32 v1, 0
	ds_write_b32 v1, v2 offset:28
.LBB982_61:
	s_or_b32 exec_lo, exec_lo, s8
	v_mov_b32_e32 v12, 0
	s_waitcnt lgkmcnt(0)
	s_waitcnt_vscnt null, 0x0
	s_barrier
	buffer_gl0_inv
	v_cndmask_b32_e64 v2, v11, v10, s7
	ds_read_b32 v1, v12 offset:28
	v_cmp_ne_u32_e32 vcc_lo, 0, v0
	s_waitcnt lgkmcnt(0)
	s_barrier
	buffer_gl0_inv
	ds_read_b64 v[16:17], v12 offset:13312
	v_cndmask_b32_e32 v2, 0, v2, vcc_lo
	v_add_nc_u32_e32 v1, v1, v2
	v_add_nc_u32_e32 v2, v1, v53
	;; [unrolled: 1-line block ×13, first 2 shown]
	s_branch .LBB982_71
.LBB982_62:
	v_mov_b32_dpp v1, v64 row_shr:1 row_mask:0xf bank_mask:0xf
	v_cndmask_b32_e64 v1, v1, 0, s5
	v_add_nc_u32_e32 v1, v1, v64
	v_mov_b32_dpp v2, v1 row_shr:2 row_mask:0xf bank_mask:0xf
	v_cndmask_b32_e64 v2, 0, v2, s4
	v_add_nc_u32_e32 v1, v1, v2
	;; [unrolled: 3-line block ×4, first 2 shown]
	ds_swizzle_b32 v2, v1 offset:swizzle(BROADCAST,32,15)
	s_waitcnt lgkmcnt(0)
	v_cndmask_b32_e64 v2, v2, 0, s1
	v_add_nc_u32_e32 v1, v1, v2
	s_and_saveexec_b32 s1, s0
; %bb.63:
	v_lshlrev_b32_e32 v2, 2, v63
	ds_write_b32 v2, v1
; %bb.64:
	s_or_b32 exec_lo, exec_lo, s1
	s_mov_b32 s0, exec_lo
	s_waitcnt lgkmcnt(0)
	s_barrier
	buffer_gl0_inv
	v_cmpx_gt_u32_e32 8, v0
	s_cbranch_execz .LBB982_66
; %bb.65:
	ds_read_b32 v2, v42
	v_and_b32_e32 v3, 7, v62
	v_cmp_ne_u32_e32 vcc_lo, 0, v3
	s_waitcnt lgkmcnt(0)
	v_mov_b32_dpp v4, v2 row_shr:1 row_mask:0xf bank_mask:0xf
	v_cndmask_b32_e32 v4, 0, v4, vcc_lo
	v_cmp_lt_u32_e32 vcc_lo, 1, v3
	v_add_nc_u32_e32 v2, v4, v2
	v_mov_b32_dpp v4, v2 row_shr:2 row_mask:0xf bank_mask:0xf
	v_cndmask_b32_e32 v4, 0, v4, vcc_lo
	v_cmp_lt_u32_e32 vcc_lo, 3, v3
	v_add_nc_u32_e32 v2, v2, v4
	v_mov_b32_dpp v4, v2 row_shr:4 row_mask:0xf bank_mask:0xf
	v_cndmask_b32_e32 v3, 0, v4, vcc_lo
	v_add_nc_u32_e32 v2, v2, v3
	ds_write_b32 v42, v2
.LBB982_66:
	s_or_b32 exec_lo, exec_lo, s0
	v_mov_b32_e32 v3, 0
	v_mov_b32_e32 v2, 0
	s_mov_b32 s0, exec_lo
	s_waitcnt lgkmcnt(0)
	s_barrier
	buffer_gl0_inv
	v_cmpx_lt_u32_e32 31, v0
; %bb.67:
	v_lshl_add_u32 v2, v63, 2, -4
	ds_read_b32 v2, v2
; %bb.68:
	s_or_b32 exec_lo, exec_lo, s0
	v_sub_co_u32 v4, vcc_lo, v62, 1
	s_waitcnt lgkmcnt(0)
	v_add_nc_u32_e32 v1, v2, v1
	ds_read_b32 v16, v3 offset:28
	v_cmp_gt_i32_e64 s0, 0, v4
	v_cndmask_b32_e64 v4, v4, v62, s0
	v_cmp_eq_u32_e64 s0, 0, v0
	v_lshlrev_b32_e32 v4, 2, v4
	ds_bpermute_b32 v1, v4, v1
	s_and_saveexec_b32 s1, s0
	s_cbranch_execz .LBB982_70
; %bb.69:
	v_mov_b32_e32 v3, 0
	v_mov_b32_e32 v17, 2
	s_waitcnt lgkmcnt(1)
	global_store_dwordx2 v3, v[16:17], s[22:23] offset:256
.LBB982_70:
	s_or_b32 exec_lo, exec_lo, s1
	s_waitcnt lgkmcnt(0)
	v_cndmask_b32_e32 v1, v1, v2, vcc_lo
	v_mov_b32_e32 v17, 0
	s_waitcnt_vscnt null, 0x0
	s_barrier
	buffer_gl0_inv
	v_cndmask_b32_e64 v1, v1, 0, s0
	v_add_nc_u32_e32 v2, v1, v53
	v_add_nc_u32_e32 v3, v2, v54
	;; [unrolled: 1-line block ×12, first 2 shown]
.LBB982_71:
	s_waitcnt lgkmcnt(0)
	v_add_nc_u32_e32 v45, v16, v45
	v_sub_nc_u32_e32 v1, v1, v17
	v_and_b32_e32 v54, 1, v50
	v_lshrrev_b32_e32 v53, 8, v50
	v_sub_nc_u32_e32 v2, v2, v17
	v_sub_nc_u32_e32 v3, v3, v17
	;; [unrolled: 1-line block ×3, first 2 shown]
	v_cmp_eq_u32_e32 vcc_lo, 1, v54
	v_and_b32_e32 v53, 1, v53
	v_mov_b32_e32 v56, 1
	v_sub_nc_u32_e32 v54, v45, v2
	v_sub_nc_u32_e32 v4, v4, v17
	v_cndmask_b32_e32 v1, v55, v1, vcc_lo
	v_sub_nc_u32_e32 v55, v45, v3
	v_and_b32_sdwa v50, v56, v50 dst_sel:DWORD dst_unused:UNUSED_PAD src0_sel:DWORD src1_sel:WORD_1
	v_add_nc_u32_e32 v54, 1, v54
	v_cmp_eq_u32_e32 vcc_lo, 1, v53
	v_lshlrev_b32_e32 v1, 2, v1
	v_and_b32_e32 v52, 1, v52
	v_sub_nc_u32_e32 v57, v45, v4
	v_add_nc_u32_e32 v55, 2, v55
	v_lshrrev_b32_e32 v15, 8, v48
	ds_write_b32 v1, v28
	v_cndmask_b32_e32 v1, v54, v2, vcc_lo
	v_cmp_eq_u32_e32 vcc_lo, 1, v50
	v_add_nc_u32_e32 v57, 3, v57
	v_lshrrev_b32_e32 v14, 8, v47
	v_lshlrev_b32_e32 v1, 2, v1
	v_cndmask_b32_e32 v2, v55, v3, vcc_lo
	v_cmp_eq_u32_e32 vcc_lo, 1, v52
	ds_write_b32 v1, v29
	v_lshlrev_b32_e32 v2, 2, v2
	v_cndmask_b32_e32 v3, v57, v4, vcc_lo
	v_sub_nc_u32_e32 v4, v5, v17
	v_sub_nc_u32_e32 v5, v6, v17
	v_lshlrev_b32_e32 v3, 2, v3
	v_sub_nc_u32_e32 v1, v45, v4
	v_sub_nc_u32_e32 v6, v45, v5
	ds_write_b32 v2, v26
	ds_write_b32 v3, v27
	v_and_b32_e32 v2, 1, v48
	v_add_nc_u32_e32 v1, 4, v1
	v_add_nc_u32_e32 v3, 5, v6
	v_sub_nc_u32_e32 v6, v7, v17
	v_and_b32_e32 v7, 1, v15
	v_cmp_eq_u32_e32 vcc_lo, 1, v2
	v_sub_nc_u32_e32 v2, v8, v17
	v_and_b32_e32 v8, 1, v51
	v_add_co_u32 v15, s0, s20, v17
	v_cndmask_b32_e32 v1, v1, v4, vcc_lo
	v_sub_nc_u32_e32 v4, v45, v6
	v_cmp_eq_u32_e32 vcc_lo, 1, v7
	v_and_b32_sdwa v7, v56, v48 dst_sel:DWORD dst_unused:UNUSED_PAD src0_sel:DWORD src1_sel:WORD_1
	v_lshlrev_b32_e32 v1, 2, v1
	v_add_nc_u32_e32 v4, 6, v4
	v_cndmask_b32_e32 v3, v3, v5, vcc_lo
	v_sub_nc_u32_e32 v5, v45, v2
	v_cmp_eq_u32_e32 vcc_lo, 1, v7
	v_sub_nc_u32_e32 v7, v13, v17
	v_lshlrev_b32_e32 v3, 2, v3
	v_add_nc_u32_e32 v5, 7, v5
	v_cndmask_b32_e32 v4, v4, v6, vcc_lo
	v_cmp_eq_u32_e32 vcc_lo, 1, v8
	v_sub_nc_u32_e32 v6, v9, v17
	ds_write_b32 v1, v24
	ds_write_b32 v3, v25
	v_lshlrev_b32_e32 v3, 2, v4
	v_cndmask_b32_e32 v2, v5, v2, vcc_lo
	v_sub_nc_u32_e32 v1, v45, v6
	v_and_b32_e32 v5, 1, v47
	v_sub_nc_u32_e32 v4, v10, v17
	v_and_b32_e32 v10, 1, v49
	v_lshlrev_b32_e32 v2, 2, v2
	v_add_nc_u32_e32 v1, 8, v1
	ds_write_b32 v3, v22
	ds_write_b32 v2, v23
	v_cmp_eq_u32_e32 vcc_lo, 1, v5
	v_sub_nc_u32_e32 v3, v11, v17
	v_sub_nc_u32_e32 v2, v45, v4
	;; [unrolled: 1-line block ×3, first 2 shown]
	v_and_b32_e32 v11, 1, v46
	v_cndmask_b32_e32 v1, v1, v6, vcc_lo
	v_and_b32_e32 v6, 1, v14
	v_sub_nc_u32_e32 v8, v45, v3
	v_add_nc_u32_e32 v2, 9, v2
	v_sub_nc_u32_e32 v9, v45, v5
	v_lshlrev_b32_e32 v1, 2, v1
	v_cmp_eq_u32_e32 vcc_lo, 1, v6
	v_add_nc_u32_e32 v6, 10, v8
	v_and_b32_sdwa v8, v56, v47 dst_sel:DWORD dst_unused:UNUSED_PAD src0_sel:DWORD src1_sel:WORD_1
	v_add_nc_u32_e32 v9, 11, v9
	v_add_co_ci_u32_e64 v17, null, s21, 0, s0
	v_cndmask_b32_e32 v2, v2, v4, vcc_lo
	v_cmp_eq_u32_e32 vcc_lo, 1, v8
	v_sub_nc_u32_e32 v4, v45, v7
	v_lshlrev_b32_e32 v2, 2, v2
	v_cndmask_b32_e32 v3, v6, v3, vcc_lo
	v_cmp_eq_u32_e32 vcc_lo, 1, v10
	v_add_nc_u32_e32 v4, 12, v4
	v_lshlrev_b32_e32 v3, 2, v3
	v_cndmask_b32_e32 v5, v9, v5, vcc_lo
	v_cmp_eq_u32_e32 vcc_lo, 1, v11
	v_lshlrev_b32_e32 v5, 2, v5
	v_cndmask_b32_e32 v4, v4, v7, vcc_lo
	v_cmp_ne_u32_e32 vcc_lo, 1, v43
	v_lshlrev_b32_e32 v4, 2, v4
	ds_write_b32 v1, v20
	ds_write_b32 v2, v21
	;; [unrolled: 1-line block ×5, first 2 shown]
	s_waitcnt lgkmcnt(0)
	s_barrier
	buffer_gl0_inv
	ds_read2st64_b32 v[11:12], v42 offset1:4
	ds_read2st64_b32 v[9:10], v42 offset0:8 offset1:12
	ds_read2st64_b32 v[7:8], v42 offset0:16 offset1:20
	;; [unrolled: 1-line block ×5, first 2 shown]
	ds_read_b32 v18, v42 offset:12288
	s_cbranch_vccnz .LBB982_125
; %bb.72:
	s_sub_u32 s0, s18, s26
	v_sub_co_u32 v13, vcc_lo, v15, s16
	s_subb_u32 s1, s19, 0
	v_add_co_u32 v19, s0, s0, v16
	v_subrev_co_ci_u32_e64 v14, null, s17, v17, vcc_lo
	v_add_co_ci_u32_e64 v20, null, s1, 0, s0
	v_add_co_u32 v19, vcc_lo, v19, v13
	s_mov_b32 s0, exec_lo
	v_add_co_ci_u32_e64 v20, null, v20, v14, vcc_lo
                                        ; implicit-def: $vgpr13_vgpr14
	v_cmpx_ge_u32_e64 v0, v16
	s_xor_b32 s0, exec_lo, s0
; %bb.73:
	v_not_b32_e32 v13, v0
	v_ashrrev_i32_e32 v14, 31, v13
	v_add_co_u32 v13, vcc_lo, v19, v13
	v_add_co_ci_u32_e64 v14, null, v20, v14, vcc_lo
; %bb.74:
	s_andn2_saveexec_b32 s0, s0
; %bb.75:
	v_add_co_u32 v13, vcc_lo, v15, v0
	v_add_co_ci_u32_e64 v14, null, 0, v17, vcc_lo
; %bb.76:
	s_or_b32 exec_lo, exec_lo, s0
	v_lshlrev_b64 v[13:14], 2, v[13:14]
	s_mov_b32 s0, exec_lo
	v_add_co_u32 v13, vcc_lo, s14, v13
	v_add_co_ci_u32_e64 v14, null, s15, v14, vcc_lo
	s_waitcnt lgkmcnt(6)
	global_store_dword v[13:14], v11, off
                                        ; implicit-def: $vgpr13_vgpr14
	v_cmpx_ge_u32_e64 v41, v16
	s_xor_b32 s0, exec_lo, s0
; %bb.77:
	v_xor_b32_e32 v13, 0xfffffeff, v0
	v_ashrrev_i32_e32 v14, 31, v13
	v_add_co_u32 v13, vcc_lo, v19, v13
	v_add_co_ci_u32_e64 v14, null, v20, v14, vcc_lo
; %bb.78:
	s_andn2_saveexec_b32 s0, s0
; %bb.79:
	v_add_co_u32 v13, vcc_lo, v15, v41
	v_add_co_ci_u32_e64 v14, null, 0, v17, vcc_lo
; %bb.80:
	s_or_b32 exec_lo, exec_lo, s0
	v_lshlrev_b64 v[13:14], 2, v[13:14]
	s_mov_b32 s0, exec_lo
	v_add_co_u32 v13, vcc_lo, s14, v13
	v_add_co_ci_u32_e64 v14, null, s15, v14, vcc_lo
	global_store_dword v[13:14], v12, off
                                        ; implicit-def: $vgpr13_vgpr14
	v_cmpx_ge_u32_e64 v40, v16
	s_xor_b32 s0, exec_lo, s0
; %bb.81:
	v_xor_b32_e32 v13, 0xfffffdff, v0
	v_ashrrev_i32_e32 v14, 31, v13
	v_add_co_u32 v13, vcc_lo, v19, v13
	v_add_co_ci_u32_e64 v14, null, v20, v14, vcc_lo
; %bb.82:
	s_andn2_saveexec_b32 s0, s0
; %bb.83:
	v_add_co_u32 v13, vcc_lo, v15, v40
	v_add_co_ci_u32_e64 v14, null, 0, v17, vcc_lo
; %bb.84:
	s_or_b32 exec_lo, exec_lo, s0
	v_lshlrev_b64 v[13:14], 2, v[13:14]
	s_mov_b32 s0, exec_lo
	v_add_co_u32 v13, vcc_lo, s14, v13
	v_add_co_ci_u32_e64 v14, null, s15, v14, vcc_lo
	s_waitcnt lgkmcnt(5)
	global_store_dword v[13:14], v9, off
                                        ; implicit-def: $vgpr13_vgpr14
	v_cmpx_ge_u32_e64 v39, v16
	s_xor_b32 s0, exec_lo, s0
; %bb.85:
	v_xor_b32_e32 v13, 0xfffffcff, v0
	v_ashrrev_i32_e32 v14, 31, v13
	v_add_co_u32 v13, vcc_lo, v19, v13
	v_add_co_ci_u32_e64 v14, null, v20, v14, vcc_lo
; %bb.86:
	s_andn2_saveexec_b32 s0, s0
; %bb.87:
	v_add_co_u32 v13, vcc_lo, v15, v39
	v_add_co_ci_u32_e64 v14, null, 0, v17, vcc_lo
; %bb.88:
	s_or_b32 exec_lo, exec_lo, s0
	v_lshlrev_b64 v[13:14], 2, v[13:14]
	s_mov_b32 s0, exec_lo
	v_add_co_u32 v13, vcc_lo, s14, v13
	v_add_co_ci_u32_e64 v14, null, s15, v14, vcc_lo
	global_store_dword v[13:14], v10, off
                                        ; implicit-def: $vgpr13_vgpr14
	v_cmpx_ge_u32_e64 v38, v16
	s_xor_b32 s0, exec_lo, s0
; %bb.89:
	v_xor_b32_e32 v13, 0xfffffbff, v0
	v_ashrrev_i32_e32 v14, 31, v13
	v_add_co_u32 v13, vcc_lo, v19, v13
	v_add_co_ci_u32_e64 v14, null, v20, v14, vcc_lo
; %bb.90:
	s_andn2_saveexec_b32 s0, s0
; %bb.91:
	v_add_co_u32 v13, vcc_lo, v15, v38
	v_add_co_ci_u32_e64 v14, null, 0, v17, vcc_lo
; %bb.92:
	s_or_b32 exec_lo, exec_lo, s0
	v_lshlrev_b64 v[13:14], 2, v[13:14]
	s_mov_b32 s0, exec_lo
	v_add_co_u32 v13, vcc_lo, s14, v13
	v_add_co_ci_u32_e64 v14, null, s15, v14, vcc_lo
	s_waitcnt lgkmcnt(4)
	global_store_dword v[13:14], v7, off
                                        ; implicit-def: $vgpr13_vgpr14
	v_cmpx_ge_u32_e64 v37, v16
	s_xor_b32 s0, exec_lo, s0
; %bb.93:
	v_xor_b32_e32 v13, 0xfffffaff, v0
	v_ashrrev_i32_e32 v14, 31, v13
	v_add_co_u32 v13, vcc_lo, v19, v13
	v_add_co_ci_u32_e64 v14, null, v20, v14, vcc_lo
; %bb.94:
	s_andn2_saveexec_b32 s0, s0
; %bb.95:
	v_add_co_u32 v13, vcc_lo, v15, v37
	v_add_co_ci_u32_e64 v14, null, 0, v17, vcc_lo
; %bb.96:
	s_or_b32 exec_lo, exec_lo, s0
	v_lshlrev_b64 v[13:14], 2, v[13:14]
	s_mov_b32 s0, exec_lo
	v_add_co_u32 v13, vcc_lo, s14, v13
	v_add_co_ci_u32_e64 v14, null, s15, v14, vcc_lo
	global_store_dword v[13:14], v8, off
                                        ; implicit-def: $vgpr13_vgpr14
	v_cmpx_ge_u32_e64 v36, v16
	s_xor_b32 s0, exec_lo, s0
; %bb.97:
	v_xor_b32_e32 v13, 0xfffff9ff, v0
	v_ashrrev_i32_e32 v14, 31, v13
	v_add_co_u32 v13, vcc_lo, v19, v13
	v_add_co_ci_u32_e64 v14, null, v20, v14, vcc_lo
; %bb.98:
	s_andn2_saveexec_b32 s0, s0
; %bb.99:
	v_add_co_u32 v13, vcc_lo, v15, v36
	v_add_co_ci_u32_e64 v14, null, 0, v17, vcc_lo
; %bb.100:
	s_or_b32 exec_lo, exec_lo, s0
	v_lshlrev_b64 v[13:14], 2, v[13:14]
	s_mov_b32 s0, exec_lo
	v_add_co_u32 v13, vcc_lo, s14, v13
	v_add_co_ci_u32_e64 v14, null, s15, v14, vcc_lo
	s_waitcnt lgkmcnt(3)
	global_store_dword v[13:14], v5, off
                                        ; implicit-def: $vgpr13_vgpr14
	v_cmpx_ge_u32_e64 v35, v16
	s_xor_b32 s0, exec_lo, s0
; %bb.101:
	v_xor_b32_e32 v13, 0xfffff8ff, v0
	v_ashrrev_i32_e32 v14, 31, v13
	v_add_co_u32 v13, vcc_lo, v19, v13
	v_add_co_ci_u32_e64 v14, null, v20, v14, vcc_lo
; %bb.102:
	s_andn2_saveexec_b32 s0, s0
; %bb.103:
	v_add_co_u32 v13, vcc_lo, v15, v35
	v_add_co_ci_u32_e64 v14, null, 0, v17, vcc_lo
; %bb.104:
	s_or_b32 exec_lo, exec_lo, s0
	v_lshlrev_b64 v[13:14], 2, v[13:14]
	s_mov_b32 s0, exec_lo
	v_add_co_u32 v13, vcc_lo, s14, v13
	v_add_co_ci_u32_e64 v14, null, s15, v14, vcc_lo
	global_store_dword v[13:14], v6, off
                                        ; implicit-def: $vgpr13_vgpr14
	v_cmpx_ge_u32_e64 v34, v16
	s_xor_b32 s0, exec_lo, s0
; %bb.105:
	v_xor_b32_e32 v13, 0xfffff7ff, v0
	v_ashrrev_i32_e32 v14, 31, v13
	v_add_co_u32 v13, vcc_lo, v19, v13
	v_add_co_ci_u32_e64 v14, null, v20, v14, vcc_lo
; %bb.106:
	s_andn2_saveexec_b32 s0, s0
; %bb.107:
	v_add_co_u32 v13, vcc_lo, v15, v34
	v_add_co_ci_u32_e64 v14, null, 0, v17, vcc_lo
; %bb.108:
	s_or_b32 exec_lo, exec_lo, s0
	v_lshlrev_b64 v[13:14], 2, v[13:14]
	s_mov_b32 s0, exec_lo
	v_add_co_u32 v13, vcc_lo, s14, v13
	v_add_co_ci_u32_e64 v14, null, s15, v14, vcc_lo
	s_waitcnt lgkmcnt(2)
	global_store_dword v[13:14], v3, off
                                        ; implicit-def: $vgpr13_vgpr14
	v_cmpx_ge_u32_e64 v33, v16
	s_xor_b32 s0, exec_lo, s0
; %bb.109:
	v_xor_b32_e32 v13, 0xfffff6ff, v0
	v_ashrrev_i32_e32 v14, 31, v13
	v_add_co_u32 v13, vcc_lo, v19, v13
	v_add_co_ci_u32_e64 v14, null, v20, v14, vcc_lo
; %bb.110:
	s_andn2_saveexec_b32 s0, s0
; %bb.111:
	v_add_co_u32 v13, vcc_lo, v15, v33
	v_add_co_ci_u32_e64 v14, null, 0, v17, vcc_lo
; %bb.112:
	s_or_b32 exec_lo, exec_lo, s0
	v_lshlrev_b64 v[13:14], 2, v[13:14]
	s_mov_b32 s0, exec_lo
	v_add_co_u32 v13, vcc_lo, s14, v13
	v_add_co_ci_u32_e64 v14, null, s15, v14, vcc_lo
	global_store_dword v[13:14], v4, off
                                        ; implicit-def: $vgpr13_vgpr14
	v_cmpx_ge_u32_e64 v32, v16
	s_xor_b32 s0, exec_lo, s0
; %bb.113:
	v_xor_b32_e32 v13, 0xfffff5ff, v0
	v_ashrrev_i32_e32 v14, 31, v13
	v_add_co_u32 v13, vcc_lo, v19, v13
	v_add_co_ci_u32_e64 v14, null, v20, v14, vcc_lo
; %bb.114:
	s_andn2_saveexec_b32 s0, s0
; %bb.115:
	v_add_co_u32 v13, vcc_lo, v15, v32
	v_add_co_ci_u32_e64 v14, null, 0, v17, vcc_lo
; %bb.116:
	s_or_b32 exec_lo, exec_lo, s0
	v_lshlrev_b64 v[13:14], 2, v[13:14]
	s_mov_b32 s0, exec_lo
	v_add_co_u32 v13, vcc_lo, s14, v13
	v_add_co_ci_u32_e64 v14, null, s15, v14, vcc_lo
	s_waitcnt lgkmcnt(1)
	global_store_dword v[13:14], v1, off
                                        ; implicit-def: $vgpr13_vgpr14
	v_cmpx_ge_u32_e64 v31, v16
	s_xor_b32 s0, exec_lo, s0
; %bb.117:
	v_xor_b32_e32 v13, 0xfffff4ff, v0
	v_ashrrev_i32_e32 v14, 31, v13
	v_add_co_u32 v13, vcc_lo, v19, v13
	v_add_co_ci_u32_e64 v14, null, v20, v14, vcc_lo
; %bb.118:
	s_andn2_saveexec_b32 s0, s0
; %bb.119:
	v_add_co_u32 v13, vcc_lo, v15, v31
	v_add_co_ci_u32_e64 v14, null, 0, v17, vcc_lo
; %bb.120:
	s_or_b32 exec_lo, exec_lo, s0
	v_lshlrev_b64 v[13:14], 2, v[13:14]
	s_mov_b32 s0, exec_lo
	v_add_co_u32 v13, vcc_lo, s14, v13
	v_add_co_ci_u32_e64 v14, null, s15, v14, vcc_lo
	global_store_dword v[13:14], v2, off
                                        ; implicit-def: $vgpr13_vgpr14
	v_cmpx_ge_u32_e64 v30, v16
	s_xor_b32 s0, exec_lo, s0
; %bb.121:
	v_xor_b32_e32 v13, 0xfffff3ff, v0
	v_ashrrev_i32_e32 v14, 31, v13
	v_add_co_u32 v13, vcc_lo, v19, v13
	v_add_co_ci_u32_e64 v14, null, v20, v14, vcc_lo
; %bb.122:
	s_andn2_saveexec_b32 s0, s0
; %bb.123:
	v_add_co_u32 v13, vcc_lo, v15, v30
	v_add_co_ci_u32_e64 v14, null, 0, v17, vcc_lo
; %bb.124:
	s_or_b32 exec_lo, exec_lo, s0
	s_mov_b32 s0, -1
	s_branch .LBB982_205
.LBB982_125:
	s_mov_b32 s0, 0
                                        ; implicit-def: $vgpr13_vgpr14
	s_cbranch_execz .LBB982_205
; %bb.126:
	s_add_u32 s1, s16, s26
	s_addc_u32 s2, s17, 0
	s_sub_u32 s1, s18, s1
	s_subb_u32 s2, s19, s2
	v_add_co_u32 v13, s1, s1, v16
	v_add_co_ci_u32_e64 v14, null, s2, 0, s1
	s_mov_b32 s1, exec_lo
	v_add_co_u32 v19, vcc_lo, v13, v15
	v_add_co_ci_u32_e64 v20, null, v14, v17, vcc_lo
	v_cmpx_gt_u32_e64 s25, v0
	s_cbranch_execz .LBB982_162
; %bb.127:
	s_mov_b32 s2, exec_lo
                                        ; implicit-def: $vgpr13_vgpr14
	v_cmpx_ge_u32_e64 v0, v16
	s_xor_b32 s2, exec_lo, s2
; %bb.128:
	v_not_b32_e32 v13, v0
	v_ashrrev_i32_e32 v14, 31, v13
	v_add_co_u32 v13, vcc_lo, v19, v13
	v_add_co_ci_u32_e64 v14, null, v20, v14, vcc_lo
; %bb.129:
	s_andn2_saveexec_b32 s2, s2
; %bb.130:
	v_add_co_u32 v13, vcc_lo, v15, v0
	v_add_co_ci_u32_e64 v14, null, 0, v17, vcc_lo
; %bb.131:
	s_or_b32 exec_lo, exec_lo, s2
	v_lshlrev_b64 v[13:14], 2, v[13:14]
	v_add_co_u32 v13, vcc_lo, s14, v13
	v_add_co_ci_u32_e64 v14, null, s15, v14, vcc_lo
	s_waitcnt lgkmcnt(6)
	global_store_dword v[13:14], v11, off
	s_or_b32 exec_lo, exec_lo, s1
	s_mov_b32 s1, exec_lo
	v_cmpx_gt_u32_e64 s25, v41
	s_cbranch_execnz .LBB982_163
.LBB982_132:
	s_or_b32 exec_lo, exec_lo, s1
	s_mov_b32 s1, exec_lo
	v_cmpx_gt_u32_e64 s25, v40
	s_cbranch_execz .LBB982_168
.LBB982_133:
	s_mov_b32 s2, exec_lo
                                        ; implicit-def: $vgpr11_vgpr12
	v_cmpx_ge_u32_e64 v40, v16
	s_xor_b32 s2, exec_lo, s2
	s_cbranch_execz .LBB982_135
; %bb.134:
	s_waitcnt lgkmcnt(6)
	v_xor_b32_e32 v11, 0xfffffdff, v0
                                        ; implicit-def: $vgpr40
	v_ashrrev_i32_e32 v12, 31, v11
	v_add_co_u32 v11, vcc_lo, v19, v11
	v_add_co_ci_u32_e64 v12, null, v20, v12, vcc_lo
.LBB982_135:
	s_andn2_saveexec_b32 s2, s2
	s_cbranch_execz .LBB982_137
; %bb.136:
	s_waitcnt lgkmcnt(6)
	v_add_co_u32 v11, vcc_lo, v15, v40
	v_add_co_ci_u32_e64 v12, null, 0, v17, vcc_lo
.LBB982_137:
	s_or_b32 exec_lo, exec_lo, s2
	s_waitcnt lgkmcnt(6)
	v_lshlrev_b64 v[11:12], 2, v[11:12]
	v_add_co_u32 v11, vcc_lo, s14, v11
	v_add_co_ci_u32_e64 v12, null, s15, v12, vcc_lo
	s_waitcnt lgkmcnt(5)
	global_store_dword v[11:12], v9, off
	s_or_b32 exec_lo, exec_lo, s1
	s_mov_b32 s1, exec_lo
	v_cmpx_gt_u32_e64 s25, v39
	s_cbranch_execnz .LBB982_169
.LBB982_138:
	s_or_b32 exec_lo, exec_lo, s1
	s_mov_b32 s1, exec_lo
	v_cmpx_gt_u32_e64 s25, v38
	s_cbranch_execz .LBB982_174
.LBB982_139:
	s_mov_b32 s2, exec_lo
                                        ; implicit-def: $vgpr9_vgpr10
	v_cmpx_ge_u32_e64 v38, v16
	s_xor_b32 s2, exec_lo, s2
	s_cbranch_execz .LBB982_141
; %bb.140:
	s_waitcnt lgkmcnt(5)
	v_xor_b32_e32 v9, 0xfffffbff, v0
                                        ; implicit-def: $vgpr38
	v_ashrrev_i32_e32 v10, 31, v9
	v_add_co_u32 v9, vcc_lo, v19, v9
	v_add_co_ci_u32_e64 v10, null, v20, v10, vcc_lo
.LBB982_141:
	s_andn2_saveexec_b32 s2, s2
	s_cbranch_execz .LBB982_143
; %bb.142:
	s_waitcnt lgkmcnt(5)
	v_add_co_u32 v9, vcc_lo, v15, v38
	v_add_co_ci_u32_e64 v10, null, 0, v17, vcc_lo
.LBB982_143:
	s_or_b32 exec_lo, exec_lo, s2
	s_waitcnt lgkmcnt(5)
	v_lshlrev_b64 v[9:10], 2, v[9:10]
	v_add_co_u32 v9, vcc_lo, s14, v9
	v_add_co_ci_u32_e64 v10, null, s15, v10, vcc_lo
	s_waitcnt lgkmcnt(4)
	global_store_dword v[9:10], v7, off
	s_or_b32 exec_lo, exec_lo, s1
	s_mov_b32 s1, exec_lo
	v_cmpx_gt_u32_e64 s25, v37
	s_cbranch_execnz .LBB982_175
.LBB982_144:
	s_or_b32 exec_lo, exec_lo, s1
	s_mov_b32 s1, exec_lo
	v_cmpx_gt_u32_e64 s25, v36
	s_cbranch_execz .LBB982_180
.LBB982_145:
	s_mov_b32 s2, exec_lo
                                        ; implicit-def: $vgpr7_vgpr8
	v_cmpx_ge_u32_e64 v36, v16
	s_xor_b32 s2, exec_lo, s2
	s_cbranch_execz .LBB982_147
; %bb.146:
	s_waitcnt lgkmcnt(4)
	v_xor_b32_e32 v7, 0xfffff9ff, v0
                                        ; implicit-def: $vgpr36
	v_ashrrev_i32_e32 v8, 31, v7
	v_add_co_u32 v7, vcc_lo, v19, v7
	v_add_co_ci_u32_e64 v8, null, v20, v8, vcc_lo
.LBB982_147:
	s_andn2_saveexec_b32 s2, s2
	s_cbranch_execz .LBB982_149
; %bb.148:
	s_waitcnt lgkmcnt(4)
	v_add_co_u32 v7, vcc_lo, v15, v36
	v_add_co_ci_u32_e64 v8, null, 0, v17, vcc_lo
.LBB982_149:
	s_or_b32 exec_lo, exec_lo, s2
	s_waitcnt lgkmcnt(4)
	v_lshlrev_b64 v[7:8], 2, v[7:8]
	v_add_co_u32 v7, vcc_lo, s14, v7
	v_add_co_ci_u32_e64 v8, null, s15, v8, vcc_lo
	s_waitcnt lgkmcnt(3)
	global_store_dword v[7:8], v5, off
	s_or_b32 exec_lo, exec_lo, s1
	s_mov_b32 s1, exec_lo
	v_cmpx_gt_u32_e64 s25, v35
	s_cbranch_execnz .LBB982_181
.LBB982_150:
	s_or_b32 exec_lo, exec_lo, s1
	s_mov_b32 s1, exec_lo
	v_cmpx_gt_u32_e64 s25, v34
	s_cbranch_execz .LBB982_186
.LBB982_151:
	s_mov_b32 s2, exec_lo
                                        ; implicit-def: $vgpr5_vgpr6
	v_cmpx_ge_u32_e64 v34, v16
	s_xor_b32 s2, exec_lo, s2
	s_cbranch_execz .LBB982_153
; %bb.152:
	s_waitcnt lgkmcnt(3)
	v_xor_b32_e32 v5, 0xfffff7ff, v0
                                        ; implicit-def: $vgpr34
	v_ashrrev_i32_e32 v6, 31, v5
	v_add_co_u32 v5, vcc_lo, v19, v5
	v_add_co_ci_u32_e64 v6, null, v20, v6, vcc_lo
.LBB982_153:
	s_andn2_saveexec_b32 s2, s2
	s_cbranch_execz .LBB982_155
; %bb.154:
	s_waitcnt lgkmcnt(3)
	v_add_co_u32 v5, vcc_lo, v15, v34
	v_add_co_ci_u32_e64 v6, null, 0, v17, vcc_lo
.LBB982_155:
	s_or_b32 exec_lo, exec_lo, s2
	s_waitcnt lgkmcnt(3)
	v_lshlrev_b64 v[5:6], 2, v[5:6]
	v_add_co_u32 v5, vcc_lo, s14, v5
	v_add_co_ci_u32_e64 v6, null, s15, v6, vcc_lo
	s_waitcnt lgkmcnt(2)
	global_store_dword v[5:6], v3, off
	s_or_b32 exec_lo, exec_lo, s1
	s_mov_b32 s1, exec_lo
	v_cmpx_gt_u32_e64 s25, v33
	s_cbranch_execnz .LBB982_187
.LBB982_156:
	s_or_b32 exec_lo, exec_lo, s1
	s_mov_b32 s1, exec_lo
	v_cmpx_gt_u32_e64 s25, v32
	s_cbranch_execz .LBB982_192
.LBB982_157:
	s_mov_b32 s2, exec_lo
                                        ; implicit-def: $vgpr3_vgpr4
	v_cmpx_ge_u32_e64 v32, v16
	s_xor_b32 s2, exec_lo, s2
	s_cbranch_execz .LBB982_159
; %bb.158:
	s_waitcnt lgkmcnt(2)
	v_xor_b32_e32 v3, 0xfffff5ff, v0
                                        ; implicit-def: $vgpr32
	v_ashrrev_i32_e32 v4, 31, v3
	v_add_co_u32 v3, vcc_lo, v19, v3
	v_add_co_ci_u32_e64 v4, null, v20, v4, vcc_lo
.LBB982_159:
	s_andn2_saveexec_b32 s2, s2
	s_cbranch_execz .LBB982_161
; %bb.160:
	s_waitcnt lgkmcnt(2)
	v_add_co_u32 v3, vcc_lo, v15, v32
	v_add_co_ci_u32_e64 v4, null, 0, v17, vcc_lo
.LBB982_161:
	s_or_b32 exec_lo, exec_lo, s2
	s_waitcnt lgkmcnt(2)
	v_lshlrev_b64 v[3:4], 2, v[3:4]
	v_add_co_u32 v3, vcc_lo, s14, v3
	v_add_co_ci_u32_e64 v4, null, s15, v4, vcc_lo
	s_waitcnt lgkmcnt(1)
	global_store_dword v[3:4], v1, off
	s_or_b32 exec_lo, exec_lo, s1
	s_mov_b32 s1, exec_lo
	v_cmpx_gt_u32_e64 s25, v31
	s_cbranch_execz .LBB982_198
	s_branch .LBB982_193
.LBB982_162:
	s_or_b32 exec_lo, exec_lo, s1
	s_mov_b32 s1, exec_lo
	v_cmpx_gt_u32_e64 s25, v41
	s_cbranch_execz .LBB982_132
.LBB982_163:
	s_mov_b32 s2, exec_lo
                                        ; implicit-def: $vgpr13_vgpr14
	v_cmpx_ge_u32_e64 v41, v16
	s_xor_b32 s2, exec_lo, s2
	s_cbranch_execz .LBB982_165
; %bb.164:
	s_waitcnt lgkmcnt(6)
	v_xor_b32_e32 v11, 0xfffffeff, v0
                                        ; implicit-def: $vgpr41
	v_ashrrev_i32_e32 v14, 31, v11
	v_add_co_u32 v13, vcc_lo, v19, v11
	v_add_co_ci_u32_e64 v14, null, v20, v14, vcc_lo
.LBB982_165:
	s_andn2_saveexec_b32 s2, s2
; %bb.166:
	v_add_co_u32 v13, vcc_lo, v15, v41
	v_add_co_ci_u32_e64 v14, null, 0, v17, vcc_lo
; %bb.167:
	s_or_b32 exec_lo, exec_lo, s2
	v_lshlrev_b64 v[13:14], 2, v[13:14]
	v_add_co_u32 v13, vcc_lo, s14, v13
	v_add_co_ci_u32_e64 v14, null, s15, v14, vcc_lo
	s_waitcnt lgkmcnt(6)
	global_store_dword v[13:14], v12, off
	s_or_b32 exec_lo, exec_lo, s1
	s_mov_b32 s1, exec_lo
	v_cmpx_gt_u32_e64 s25, v40
	s_cbranch_execnz .LBB982_133
.LBB982_168:
	s_or_b32 exec_lo, exec_lo, s1
	s_mov_b32 s1, exec_lo
	v_cmpx_gt_u32_e64 s25, v39
	s_cbranch_execz .LBB982_138
.LBB982_169:
	s_mov_b32 s2, exec_lo
                                        ; implicit-def: $vgpr11_vgpr12
	v_cmpx_ge_u32_e64 v39, v16
	s_xor_b32 s2, exec_lo, s2
	s_cbranch_execz .LBB982_171
; %bb.170:
	s_waitcnt lgkmcnt(5)
	v_xor_b32_e32 v9, 0xfffffcff, v0
                                        ; implicit-def: $vgpr39
	v_ashrrev_i32_e32 v12, 31, v9
	v_add_co_u32 v11, vcc_lo, v19, v9
	v_add_co_ci_u32_e64 v12, null, v20, v12, vcc_lo
.LBB982_171:
	s_andn2_saveexec_b32 s2, s2
	s_cbranch_execz .LBB982_173
; %bb.172:
	s_waitcnt lgkmcnt(6)
	v_add_co_u32 v11, vcc_lo, v15, v39
	v_add_co_ci_u32_e64 v12, null, 0, v17, vcc_lo
.LBB982_173:
	s_or_b32 exec_lo, exec_lo, s2
	s_waitcnt lgkmcnt(6)
	v_lshlrev_b64 v[11:12], 2, v[11:12]
	v_add_co_u32 v11, vcc_lo, s14, v11
	v_add_co_ci_u32_e64 v12, null, s15, v12, vcc_lo
	s_waitcnt lgkmcnt(5)
	global_store_dword v[11:12], v10, off
	s_or_b32 exec_lo, exec_lo, s1
	s_mov_b32 s1, exec_lo
	v_cmpx_gt_u32_e64 s25, v38
	s_cbranch_execnz .LBB982_139
.LBB982_174:
	s_or_b32 exec_lo, exec_lo, s1
	s_mov_b32 s1, exec_lo
	v_cmpx_gt_u32_e64 s25, v37
	s_cbranch_execz .LBB982_144
.LBB982_175:
	s_mov_b32 s2, exec_lo
                                        ; implicit-def: $vgpr9_vgpr10
	v_cmpx_ge_u32_e64 v37, v16
	s_xor_b32 s2, exec_lo, s2
	s_cbranch_execz .LBB982_177
; %bb.176:
	s_waitcnt lgkmcnt(4)
	v_xor_b32_e32 v7, 0xfffffaff, v0
                                        ; implicit-def: $vgpr37
	v_ashrrev_i32_e32 v10, 31, v7
	v_add_co_u32 v9, vcc_lo, v19, v7
	v_add_co_ci_u32_e64 v10, null, v20, v10, vcc_lo
.LBB982_177:
	s_andn2_saveexec_b32 s2, s2
	s_cbranch_execz .LBB982_179
; %bb.178:
	s_waitcnt lgkmcnt(5)
	v_add_co_u32 v9, vcc_lo, v15, v37
	v_add_co_ci_u32_e64 v10, null, 0, v17, vcc_lo
.LBB982_179:
	s_or_b32 exec_lo, exec_lo, s2
	s_waitcnt lgkmcnt(5)
	v_lshlrev_b64 v[9:10], 2, v[9:10]
	v_add_co_u32 v9, vcc_lo, s14, v9
	v_add_co_ci_u32_e64 v10, null, s15, v10, vcc_lo
	s_waitcnt lgkmcnt(4)
	global_store_dword v[9:10], v8, off
	s_or_b32 exec_lo, exec_lo, s1
	s_mov_b32 s1, exec_lo
	v_cmpx_gt_u32_e64 s25, v36
	s_cbranch_execnz .LBB982_145
.LBB982_180:
	s_or_b32 exec_lo, exec_lo, s1
	s_mov_b32 s1, exec_lo
	v_cmpx_gt_u32_e64 s25, v35
	s_cbranch_execz .LBB982_150
.LBB982_181:
	s_mov_b32 s2, exec_lo
                                        ; implicit-def: $vgpr7_vgpr8
	v_cmpx_ge_u32_e64 v35, v16
	s_xor_b32 s2, exec_lo, s2
	s_cbranch_execz .LBB982_183
; %bb.182:
	s_waitcnt lgkmcnt(3)
	v_xor_b32_e32 v5, 0xfffff8ff, v0
                                        ; implicit-def: $vgpr35
	v_ashrrev_i32_e32 v8, 31, v5
	v_add_co_u32 v7, vcc_lo, v19, v5
	v_add_co_ci_u32_e64 v8, null, v20, v8, vcc_lo
.LBB982_183:
	s_andn2_saveexec_b32 s2, s2
	s_cbranch_execz .LBB982_185
; %bb.184:
	s_waitcnt lgkmcnt(4)
	v_add_co_u32 v7, vcc_lo, v15, v35
	v_add_co_ci_u32_e64 v8, null, 0, v17, vcc_lo
.LBB982_185:
	s_or_b32 exec_lo, exec_lo, s2
	s_waitcnt lgkmcnt(4)
	v_lshlrev_b64 v[7:8], 2, v[7:8]
	v_add_co_u32 v7, vcc_lo, s14, v7
	v_add_co_ci_u32_e64 v8, null, s15, v8, vcc_lo
	s_waitcnt lgkmcnt(3)
	global_store_dword v[7:8], v6, off
	s_or_b32 exec_lo, exec_lo, s1
	s_mov_b32 s1, exec_lo
	v_cmpx_gt_u32_e64 s25, v34
	s_cbranch_execnz .LBB982_151
.LBB982_186:
	s_or_b32 exec_lo, exec_lo, s1
	s_mov_b32 s1, exec_lo
	v_cmpx_gt_u32_e64 s25, v33
	s_cbranch_execz .LBB982_156
.LBB982_187:
	s_mov_b32 s2, exec_lo
                                        ; implicit-def: $vgpr5_vgpr6
	v_cmpx_ge_u32_e64 v33, v16
	s_xor_b32 s2, exec_lo, s2
	s_cbranch_execz .LBB982_189
; %bb.188:
	s_waitcnt lgkmcnt(2)
	v_xor_b32_e32 v3, 0xfffff6ff, v0
                                        ; implicit-def: $vgpr33
	v_ashrrev_i32_e32 v6, 31, v3
	v_add_co_u32 v5, vcc_lo, v19, v3
	v_add_co_ci_u32_e64 v6, null, v20, v6, vcc_lo
.LBB982_189:
	s_andn2_saveexec_b32 s2, s2
	s_cbranch_execz .LBB982_191
; %bb.190:
	s_waitcnt lgkmcnt(3)
	v_add_co_u32 v5, vcc_lo, v15, v33
	v_add_co_ci_u32_e64 v6, null, 0, v17, vcc_lo
.LBB982_191:
	s_or_b32 exec_lo, exec_lo, s2
	s_waitcnt lgkmcnt(3)
	v_lshlrev_b64 v[5:6], 2, v[5:6]
	v_add_co_u32 v5, vcc_lo, s14, v5
	v_add_co_ci_u32_e64 v6, null, s15, v6, vcc_lo
	s_waitcnt lgkmcnt(2)
	global_store_dword v[5:6], v4, off
	s_or_b32 exec_lo, exec_lo, s1
	s_mov_b32 s1, exec_lo
	v_cmpx_gt_u32_e64 s25, v32
	s_cbranch_execnz .LBB982_157
.LBB982_192:
	s_or_b32 exec_lo, exec_lo, s1
	s_mov_b32 s1, exec_lo
	v_cmpx_gt_u32_e64 s25, v31
	s_cbranch_execz .LBB982_198
.LBB982_193:
	s_mov_b32 s2, exec_lo
                                        ; implicit-def: $vgpr3_vgpr4
	v_cmpx_ge_u32_e64 v31, v16
	s_xor_b32 s2, exec_lo, s2
	s_cbranch_execz .LBB982_195
; %bb.194:
	s_waitcnt lgkmcnt(1)
	v_xor_b32_e32 v1, 0xfffff4ff, v0
                                        ; implicit-def: $vgpr31
	v_ashrrev_i32_e32 v4, 31, v1
	v_add_co_u32 v3, vcc_lo, v19, v1
	v_add_co_ci_u32_e64 v4, null, v20, v4, vcc_lo
.LBB982_195:
	s_andn2_saveexec_b32 s2, s2
	s_cbranch_execz .LBB982_197
; %bb.196:
	s_waitcnt lgkmcnt(2)
	v_add_co_u32 v3, vcc_lo, v15, v31
	v_add_co_ci_u32_e64 v4, null, 0, v17, vcc_lo
.LBB982_197:
	s_or_b32 exec_lo, exec_lo, s2
	s_waitcnt lgkmcnt(2)
	v_lshlrev_b64 v[3:4], 2, v[3:4]
	v_add_co_u32 v3, vcc_lo, s14, v3
	v_add_co_ci_u32_e64 v4, null, s15, v4, vcc_lo
	s_waitcnt lgkmcnt(1)
	global_store_dword v[3:4], v2, off
.LBB982_198:
	s_or_b32 exec_lo, exec_lo, s1
	s_mov_b32 s1, exec_lo
                                        ; implicit-def: $vgpr13_vgpr14
	v_cmpx_gt_u32_e64 s25, v30
	s_cbranch_execz .LBB982_204
; %bb.199:
	s_mov_b32 s2, exec_lo
                                        ; implicit-def: $vgpr13_vgpr14
	v_cmpx_ge_u32_e64 v30, v16
	s_xor_b32 s2, exec_lo, s2
	s_cbranch_execz .LBB982_201
; %bb.200:
	s_waitcnt lgkmcnt(1)
	v_xor_b32_e32 v1, 0xfffff3ff, v0
                                        ; implicit-def: $vgpr30
	v_ashrrev_i32_e32 v2, 31, v1
	v_add_co_u32 v13, vcc_lo, v19, v1
	v_add_co_ci_u32_e64 v14, null, v20, v2, vcc_lo
.LBB982_201:
	s_andn2_saveexec_b32 s2, s2
; %bb.202:
	v_add_co_u32 v13, vcc_lo, v15, v30
	v_add_co_ci_u32_e64 v14, null, 0, v17, vcc_lo
; %bb.203:
	s_or_b32 exec_lo, exec_lo, s2
	s_or_b32 s0, s0, exec_lo
.LBB982_204:
	s_or_b32 exec_lo, exec_lo, s1
.LBB982_205:
	s_and_saveexec_b32 s1, s0
	s_cbranch_execz .LBB982_207
; %bb.206:
	s_waitcnt lgkmcnt(1)
	v_lshlrev_b64 v[1:2], 2, v[13:14]
	v_add_co_u32 v1, vcc_lo, s14, v1
	v_add_co_ci_u32_e64 v2, null, s15, v2, vcc_lo
	s_waitcnt lgkmcnt(0)
	global_store_dword v[1:2], v18, off
.LBB982_207:
	s_or_b32 exec_lo, exec_lo, s1
	v_cmp_eq_u32_e32 vcc_lo, 0, v0
	s_and_b32 s0, vcc_lo, s24
	s_and_saveexec_b32 s1, s0
	s_cbranch_execz .LBB982_209
; %bb.208:
	v_add_co_u32 v0, vcc_lo, v15, v16
	s_waitcnt lgkmcnt(1)
	v_mov_b32_e32 v2, 0
	v_add_co_ci_u32_e64 v1, null, 0, v17, vcc_lo
	global_store_dwordx2 v2, v[0:1], s[12:13]
.LBB982_209:
	s_endpgm
	.section	.rodata,"a",@progbits
	.p2align	6, 0x0
	.amdhsa_kernel _ZN7rocprim17ROCPRIM_400000_NS6detail17trampoline_kernelINS0_13select_configILj256ELj13ELNS0_17block_load_methodE3ELS4_3ELS4_3ELNS0_20block_scan_algorithmE0ELj4294967295EEENS1_25partition_config_selectorILNS1_17partition_subalgoE3EjNS0_10empty_typeEbEEZZNS1_14partition_implILS8_3ELb0ES6_jNS0_17counting_iteratorIjlEEPS9_SE_NS0_5tupleIJPjSE_EEENSF_IJSE_SE_EEES9_SG_JZNS1_25segmented_radix_sort_implINS0_14default_configELb0EPKsPsPKlPlN2at6native12_GLOBAL__N_18offset_tEEE10hipError_tPvRmT1_PNSt15iterator_traitsISY_E10value_typeET2_T3_PNSZ_IS14_E10value_typeET4_jRbjT5_S1A_jjP12ihipStream_tbEUljE_EEESV_SW_SX_S14_S18_S1A_T6_T7_T9_mT8_S1C_bDpT10_ENKUlT_T0_E_clISt17integral_constantIbLb0EES1P_EEDaS1K_S1L_EUlS1K_E_NS1_11comp_targetILNS1_3genE8ELNS1_11target_archE1030ELNS1_3gpuE2ELNS1_3repE0EEENS1_30default_config_static_selectorELNS0_4arch9wavefront6targetE0EEEvSY_
		.amdhsa_group_segment_fixed_size 13320
		.amdhsa_private_segment_fixed_size 0
		.amdhsa_kernarg_size 144
		.amdhsa_user_sgpr_count 6
		.amdhsa_user_sgpr_private_segment_buffer 1
		.amdhsa_user_sgpr_dispatch_ptr 0
		.amdhsa_user_sgpr_queue_ptr 0
		.amdhsa_user_sgpr_kernarg_segment_ptr 1
		.amdhsa_user_sgpr_dispatch_id 0
		.amdhsa_user_sgpr_flat_scratch_init 0
		.amdhsa_user_sgpr_private_segment_size 0
		.amdhsa_wavefront_size32 1
		.amdhsa_uses_dynamic_stack 0
		.amdhsa_system_sgpr_private_segment_wavefront_offset 0
		.amdhsa_system_sgpr_workgroup_id_x 1
		.amdhsa_system_sgpr_workgroup_id_y 0
		.amdhsa_system_sgpr_workgroup_id_z 0
		.amdhsa_system_sgpr_workgroup_info 0
		.amdhsa_system_vgpr_workitem_id 0
		.amdhsa_next_free_vgpr 69
		.amdhsa_next_free_sgpr 27
		.amdhsa_reserve_vcc 1
		.amdhsa_reserve_flat_scratch 0
		.amdhsa_float_round_mode_32 0
		.amdhsa_float_round_mode_16_64 0
		.amdhsa_float_denorm_mode_32 3
		.amdhsa_float_denorm_mode_16_64 3
		.amdhsa_dx10_clamp 1
		.amdhsa_ieee_mode 1
		.amdhsa_fp16_overflow 0
		.amdhsa_workgroup_processor_mode 1
		.amdhsa_memory_ordered 1
		.amdhsa_forward_progress 1
		.amdhsa_shared_vgpr_count 0
		.amdhsa_exception_fp_ieee_invalid_op 0
		.amdhsa_exception_fp_denorm_src 0
		.amdhsa_exception_fp_ieee_div_zero 0
		.amdhsa_exception_fp_ieee_overflow 0
		.amdhsa_exception_fp_ieee_underflow 0
		.amdhsa_exception_fp_ieee_inexact 0
		.amdhsa_exception_int_div_zero 0
	.end_amdhsa_kernel
	.section	.text._ZN7rocprim17ROCPRIM_400000_NS6detail17trampoline_kernelINS0_13select_configILj256ELj13ELNS0_17block_load_methodE3ELS4_3ELS4_3ELNS0_20block_scan_algorithmE0ELj4294967295EEENS1_25partition_config_selectorILNS1_17partition_subalgoE3EjNS0_10empty_typeEbEEZZNS1_14partition_implILS8_3ELb0ES6_jNS0_17counting_iteratorIjlEEPS9_SE_NS0_5tupleIJPjSE_EEENSF_IJSE_SE_EEES9_SG_JZNS1_25segmented_radix_sort_implINS0_14default_configELb0EPKsPsPKlPlN2at6native12_GLOBAL__N_18offset_tEEE10hipError_tPvRmT1_PNSt15iterator_traitsISY_E10value_typeET2_T3_PNSZ_IS14_E10value_typeET4_jRbjT5_S1A_jjP12ihipStream_tbEUljE_EEESV_SW_SX_S14_S18_S1A_T6_T7_T9_mT8_S1C_bDpT10_ENKUlT_T0_E_clISt17integral_constantIbLb0EES1P_EEDaS1K_S1L_EUlS1K_E_NS1_11comp_targetILNS1_3genE8ELNS1_11target_archE1030ELNS1_3gpuE2ELNS1_3repE0EEENS1_30default_config_static_selectorELNS0_4arch9wavefront6targetE0EEEvSY_,"axG",@progbits,_ZN7rocprim17ROCPRIM_400000_NS6detail17trampoline_kernelINS0_13select_configILj256ELj13ELNS0_17block_load_methodE3ELS4_3ELS4_3ELNS0_20block_scan_algorithmE0ELj4294967295EEENS1_25partition_config_selectorILNS1_17partition_subalgoE3EjNS0_10empty_typeEbEEZZNS1_14partition_implILS8_3ELb0ES6_jNS0_17counting_iteratorIjlEEPS9_SE_NS0_5tupleIJPjSE_EEENSF_IJSE_SE_EEES9_SG_JZNS1_25segmented_radix_sort_implINS0_14default_configELb0EPKsPsPKlPlN2at6native12_GLOBAL__N_18offset_tEEE10hipError_tPvRmT1_PNSt15iterator_traitsISY_E10value_typeET2_T3_PNSZ_IS14_E10value_typeET4_jRbjT5_S1A_jjP12ihipStream_tbEUljE_EEESV_SW_SX_S14_S18_S1A_T6_T7_T9_mT8_S1C_bDpT10_ENKUlT_T0_E_clISt17integral_constantIbLb0EES1P_EEDaS1K_S1L_EUlS1K_E_NS1_11comp_targetILNS1_3genE8ELNS1_11target_archE1030ELNS1_3gpuE2ELNS1_3repE0EEENS1_30default_config_static_selectorELNS0_4arch9wavefront6targetE0EEEvSY_,comdat
.Lfunc_end982:
	.size	_ZN7rocprim17ROCPRIM_400000_NS6detail17trampoline_kernelINS0_13select_configILj256ELj13ELNS0_17block_load_methodE3ELS4_3ELS4_3ELNS0_20block_scan_algorithmE0ELj4294967295EEENS1_25partition_config_selectorILNS1_17partition_subalgoE3EjNS0_10empty_typeEbEEZZNS1_14partition_implILS8_3ELb0ES6_jNS0_17counting_iteratorIjlEEPS9_SE_NS0_5tupleIJPjSE_EEENSF_IJSE_SE_EEES9_SG_JZNS1_25segmented_radix_sort_implINS0_14default_configELb0EPKsPsPKlPlN2at6native12_GLOBAL__N_18offset_tEEE10hipError_tPvRmT1_PNSt15iterator_traitsISY_E10value_typeET2_T3_PNSZ_IS14_E10value_typeET4_jRbjT5_S1A_jjP12ihipStream_tbEUljE_EEESV_SW_SX_S14_S18_S1A_T6_T7_T9_mT8_S1C_bDpT10_ENKUlT_T0_E_clISt17integral_constantIbLb0EES1P_EEDaS1K_S1L_EUlS1K_E_NS1_11comp_targetILNS1_3genE8ELNS1_11target_archE1030ELNS1_3gpuE2ELNS1_3repE0EEENS1_30default_config_static_selectorELNS0_4arch9wavefront6targetE0EEEvSY_, .Lfunc_end982-_ZN7rocprim17ROCPRIM_400000_NS6detail17trampoline_kernelINS0_13select_configILj256ELj13ELNS0_17block_load_methodE3ELS4_3ELS4_3ELNS0_20block_scan_algorithmE0ELj4294967295EEENS1_25partition_config_selectorILNS1_17partition_subalgoE3EjNS0_10empty_typeEbEEZZNS1_14partition_implILS8_3ELb0ES6_jNS0_17counting_iteratorIjlEEPS9_SE_NS0_5tupleIJPjSE_EEENSF_IJSE_SE_EEES9_SG_JZNS1_25segmented_radix_sort_implINS0_14default_configELb0EPKsPsPKlPlN2at6native12_GLOBAL__N_18offset_tEEE10hipError_tPvRmT1_PNSt15iterator_traitsISY_E10value_typeET2_T3_PNSZ_IS14_E10value_typeET4_jRbjT5_S1A_jjP12ihipStream_tbEUljE_EEESV_SW_SX_S14_S18_S1A_T6_T7_T9_mT8_S1C_bDpT10_ENKUlT_T0_E_clISt17integral_constantIbLb0EES1P_EEDaS1K_S1L_EUlS1K_E_NS1_11comp_targetILNS1_3genE8ELNS1_11target_archE1030ELNS1_3gpuE2ELNS1_3repE0EEENS1_30default_config_static_selectorELNS0_4arch9wavefront6targetE0EEEvSY_
                                        ; -- End function
	.set _ZN7rocprim17ROCPRIM_400000_NS6detail17trampoline_kernelINS0_13select_configILj256ELj13ELNS0_17block_load_methodE3ELS4_3ELS4_3ELNS0_20block_scan_algorithmE0ELj4294967295EEENS1_25partition_config_selectorILNS1_17partition_subalgoE3EjNS0_10empty_typeEbEEZZNS1_14partition_implILS8_3ELb0ES6_jNS0_17counting_iteratorIjlEEPS9_SE_NS0_5tupleIJPjSE_EEENSF_IJSE_SE_EEES9_SG_JZNS1_25segmented_radix_sort_implINS0_14default_configELb0EPKsPsPKlPlN2at6native12_GLOBAL__N_18offset_tEEE10hipError_tPvRmT1_PNSt15iterator_traitsISY_E10value_typeET2_T3_PNSZ_IS14_E10value_typeET4_jRbjT5_S1A_jjP12ihipStream_tbEUljE_EEESV_SW_SX_S14_S18_S1A_T6_T7_T9_mT8_S1C_bDpT10_ENKUlT_T0_E_clISt17integral_constantIbLb0EES1P_EEDaS1K_S1L_EUlS1K_E_NS1_11comp_targetILNS1_3genE8ELNS1_11target_archE1030ELNS1_3gpuE2ELNS1_3repE0EEENS1_30default_config_static_selectorELNS0_4arch9wavefront6targetE0EEEvSY_.num_vgpr, 69
	.set _ZN7rocprim17ROCPRIM_400000_NS6detail17trampoline_kernelINS0_13select_configILj256ELj13ELNS0_17block_load_methodE3ELS4_3ELS4_3ELNS0_20block_scan_algorithmE0ELj4294967295EEENS1_25partition_config_selectorILNS1_17partition_subalgoE3EjNS0_10empty_typeEbEEZZNS1_14partition_implILS8_3ELb0ES6_jNS0_17counting_iteratorIjlEEPS9_SE_NS0_5tupleIJPjSE_EEENSF_IJSE_SE_EEES9_SG_JZNS1_25segmented_radix_sort_implINS0_14default_configELb0EPKsPsPKlPlN2at6native12_GLOBAL__N_18offset_tEEE10hipError_tPvRmT1_PNSt15iterator_traitsISY_E10value_typeET2_T3_PNSZ_IS14_E10value_typeET4_jRbjT5_S1A_jjP12ihipStream_tbEUljE_EEESV_SW_SX_S14_S18_S1A_T6_T7_T9_mT8_S1C_bDpT10_ENKUlT_T0_E_clISt17integral_constantIbLb0EES1P_EEDaS1K_S1L_EUlS1K_E_NS1_11comp_targetILNS1_3genE8ELNS1_11target_archE1030ELNS1_3gpuE2ELNS1_3repE0EEENS1_30default_config_static_selectorELNS0_4arch9wavefront6targetE0EEEvSY_.num_agpr, 0
	.set _ZN7rocprim17ROCPRIM_400000_NS6detail17trampoline_kernelINS0_13select_configILj256ELj13ELNS0_17block_load_methodE3ELS4_3ELS4_3ELNS0_20block_scan_algorithmE0ELj4294967295EEENS1_25partition_config_selectorILNS1_17partition_subalgoE3EjNS0_10empty_typeEbEEZZNS1_14partition_implILS8_3ELb0ES6_jNS0_17counting_iteratorIjlEEPS9_SE_NS0_5tupleIJPjSE_EEENSF_IJSE_SE_EEES9_SG_JZNS1_25segmented_radix_sort_implINS0_14default_configELb0EPKsPsPKlPlN2at6native12_GLOBAL__N_18offset_tEEE10hipError_tPvRmT1_PNSt15iterator_traitsISY_E10value_typeET2_T3_PNSZ_IS14_E10value_typeET4_jRbjT5_S1A_jjP12ihipStream_tbEUljE_EEESV_SW_SX_S14_S18_S1A_T6_T7_T9_mT8_S1C_bDpT10_ENKUlT_T0_E_clISt17integral_constantIbLb0EES1P_EEDaS1K_S1L_EUlS1K_E_NS1_11comp_targetILNS1_3genE8ELNS1_11target_archE1030ELNS1_3gpuE2ELNS1_3repE0EEENS1_30default_config_static_selectorELNS0_4arch9wavefront6targetE0EEEvSY_.numbered_sgpr, 27
	.set _ZN7rocprim17ROCPRIM_400000_NS6detail17trampoline_kernelINS0_13select_configILj256ELj13ELNS0_17block_load_methodE3ELS4_3ELS4_3ELNS0_20block_scan_algorithmE0ELj4294967295EEENS1_25partition_config_selectorILNS1_17partition_subalgoE3EjNS0_10empty_typeEbEEZZNS1_14partition_implILS8_3ELb0ES6_jNS0_17counting_iteratorIjlEEPS9_SE_NS0_5tupleIJPjSE_EEENSF_IJSE_SE_EEES9_SG_JZNS1_25segmented_radix_sort_implINS0_14default_configELb0EPKsPsPKlPlN2at6native12_GLOBAL__N_18offset_tEEE10hipError_tPvRmT1_PNSt15iterator_traitsISY_E10value_typeET2_T3_PNSZ_IS14_E10value_typeET4_jRbjT5_S1A_jjP12ihipStream_tbEUljE_EEESV_SW_SX_S14_S18_S1A_T6_T7_T9_mT8_S1C_bDpT10_ENKUlT_T0_E_clISt17integral_constantIbLb0EES1P_EEDaS1K_S1L_EUlS1K_E_NS1_11comp_targetILNS1_3genE8ELNS1_11target_archE1030ELNS1_3gpuE2ELNS1_3repE0EEENS1_30default_config_static_selectorELNS0_4arch9wavefront6targetE0EEEvSY_.num_named_barrier, 0
	.set _ZN7rocprim17ROCPRIM_400000_NS6detail17trampoline_kernelINS0_13select_configILj256ELj13ELNS0_17block_load_methodE3ELS4_3ELS4_3ELNS0_20block_scan_algorithmE0ELj4294967295EEENS1_25partition_config_selectorILNS1_17partition_subalgoE3EjNS0_10empty_typeEbEEZZNS1_14partition_implILS8_3ELb0ES6_jNS0_17counting_iteratorIjlEEPS9_SE_NS0_5tupleIJPjSE_EEENSF_IJSE_SE_EEES9_SG_JZNS1_25segmented_radix_sort_implINS0_14default_configELb0EPKsPsPKlPlN2at6native12_GLOBAL__N_18offset_tEEE10hipError_tPvRmT1_PNSt15iterator_traitsISY_E10value_typeET2_T3_PNSZ_IS14_E10value_typeET4_jRbjT5_S1A_jjP12ihipStream_tbEUljE_EEESV_SW_SX_S14_S18_S1A_T6_T7_T9_mT8_S1C_bDpT10_ENKUlT_T0_E_clISt17integral_constantIbLb0EES1P_EEDaS1K_S1L_EUlS1K_E_NS1_11comp_targetILNS1_3genE8ELNS1_11target_archE1030ELNS1_3gpuE2ELNS1_3repE0EEENS1_30default_config_static_selectorELNS0_4arch9wavefront6targetE0EEEvSY_.private_seg_size, 0
	.set _ZN7rocprim17ROCPRIM_400000_NS6detail17trampoline_kernelINS0_13select_configILj256ELj13ELNS0_17block_load_methodE3ELS4_3ELS4_3ELNS0_20block_scan_algorithmE0ELj4294967295EEENS1_25partition_config_selectorILNS1_17partition_subalgoE3EjNS0_10empty_typeEbEEZZNS1_14partition_implILS8_3ELb0ES6_jNS0_17counting_iteratorIjlEEPS9_SE_NS0_5tupleIJPjSE_EEENSF_IJSE_SE_EEES9_SG_JZNS1_25segmented_radix_sort_implINS0_14default_configELb0EPKsPsPKlPlN2at6native12_GLOBAL__N_18offset_tEEE10hipError_tPvRmT1_PNSt15iterator_traitsISY_E10value_typeET2_T3_PNSZ_IS14_E10value_typeET4_jRbjT5_S1A_jjP12ihipStream_tbEUljE_EEESV_SW_SX_S14_S18_S1A_T6_T7_T9_mT8_S1C_bDpT10_ENKUlT_T0_E_clISt17integral_constantIbLb0EES1P_EEDaS1K_S1L_EUlS1K_E_NS1_11comp_targetILNS1_3genE8ELNS1_11target_archE1030ELNS1_3gpuE2ELNS1_3repE0EEENS1_30default_config_static_selectorELNS0_4arch9wavefront6targetE0EEEvSY_.uses_vcc, 1
	.set _ZN7rocprim17ROCPRIM_400000_NS6detail17trampoline_kernelINS0_13select_configILj256ELj13ELNS0_17block_load_methodE3ELS4_3ELS4_3ELNS0_20block_scan_algorithmE0ELj4294967295EEENS1_25partition_config_selectorILNS1_17partition_subalgoE3EjNS0_10empty_typeEbEEZZNS1_14partition_implILS8_3ELb0ES6_jNS0_17counting_iteratorIjlEEPS9_SE_NS0_5tupleIJPjSE_EEENSF_IJSE_SE_EEES9_SG_JZNS1_25segmented_radix_sort_implINS0_14default_configELb0EPKsPsPKlPlN2at6native12_GLOBAL__N_18offset_tEEE10hipError_tPvRmT1_PNSt15iterator_traitsISY_E10value_typeET2_T3_PNSZ_IS14_E10value_typeET4_jRbjT5_S1A_jjP12ihipStream_tbEUljE_EEESV_SW_SX_S14_S18_S1A_T6_T7_T9_mT8_S1C_bDpT10_ENKUlT_T0_E_clISt17integral_constantIbLb0EES1P_EEDaS1K_S1L_EUlS1K_E_NS1_11comp_targetILNS1_3genE8ELNS1_11target_archE1030ELNS1_3gpuE2ELNS1_3repE0EEENS1_30default_config_static_selectorELNS0_4arch9wavefront6targetE0EEEvSY_.uses_flat_scratch, 0
	.set _ZN7rocprim17ROCPRIM_400000_NS6detail17trampoline_kernelINS0_13select_configILj256ELj13ELNS0_17block_load_methodE3ELS4_3ELS4_3ELNS0_20block_scan_algorithmE0ELj4294967295EEENS1_25partition_config_selectorILNS1_17partition_subalgoE3EjNS0_10empty_typeEbEEZZNS1_14partition_implILS8_3ELb0ES6_jNS0_17counting_iteratorIjlEEPS9_SE_NS0_5tupleIJPjSE_EEENSF_IJSE_SE_EEES9_SG_JZNS1_25segmented_radix_sort_implINS0_14default_configELb0EPKsPsPKlPlN2at6native12_GLOBAL__N_18offset_tEEE10hipError_tPvRmT1_PNSt15iterator_traitsISY_E10value_typeET2_T3_PNSZ_IS14_E10value_typeET4_jRbjT5_S1A_jjP12ihipStream_tbEUljE_EEESV_SW_SX_S14_S18_S1A_T6_T7_T9_mT8_S1C_bDpT10_ENKUlT_T0_E_clISt17integral_constantIbLb0EES1P_EEDaS1K_S1L_EUlS1K_E_NS1_11comp_targetILNS1_3genE8ELNS1_11target_archE1030ELNS1_3gpuE2ELNS1_3repE0EEENS1_30default_config_static_selectorELNS0_4arch9wavefront6targetE0EEEvSY_.has_dyn_sized_stack, 0
	.set _ZN7rocprim17ROCPRIM_400000_NS6detail17trampoline_kernelINS0_13select_configILj256ELj13ELNS0_17block_load_methodE3ELS4_3ELS4_3ELNS0_20block_scan_algorithmE0ELj4294967295EEENS1_25partition_config_selectorILNS1_17partition_subalgoE3EjNS0_10empty_typeEbEEZZNS1_14partition_implILS8_3ELb0ES6_jNS0_17counting_iteratorIjlEEPS9_SE_NS0_5tupleIJPjSE_EEENSF_IJSE_SE_EEES9_SG_JZNS1_25segmented_radix_sort_implINS0_14default_configELb0EPKsPsPKlPlN2at6native12_GLOBAL__N_18offset_tEEE10hipError_tPvRmT1_PNSt15iterator_traitsISY_E10value_typeET2_T3_PNSZ_IS14_E10value_typeET4_jRbjT5_S1A_jjP12ihipStream_tbEUljE_EEESV_SW_SX_S14_S18_S1A_T6_T7_T9_mT8_S1C_bDpT10_ENKUlT_T0_E_clISt17integral_constantIbLb0EES1P_EEDaS1K_S1L_EUlS1K_E_NS1_11comp_targetILNS1_3genE8ELNS1_11target_archE1030ELNS1_3gpuE2ELNS1_3repE0EEENS1_30default_config_static_selectorELNS0_4arch9wavefront6targetE0EEEvSY_.has_recursion, 0
	.set _ZN7rocprim17ROCPRIM_400000_NS6detail17trampoline_kernelINS0_13select_configILj256ELj13ELNS0_17block_load_methodE3ELS4_3ELS4_3ELNS0_20block_scan_algorithmE0ELj4294967295EEENS1_25partition_config_selectorILNS1_17partition_subalgoE3EjNS0_10empty_typeEbEEZZNS1_14partition_implILS8_3ELb0ES6_jNS0_17counting_iteratorIjlEEPS9_SE_NS0_5tupleIJPjSE_EEENSF_IJSE_SE_EEES9_SG_JZNS1_25segmented_radix_sort_implINS0_14default_configELb0EPKsPsPKlPlN2at6native12_GLOBAL__N_18offset_tEEE10hipError_tPvRmT1_PNSt15iterator_traitsISY_E10value_typeET2_T3_PNSZ_IS14_E10value_typeET4_jRbjT5_S1A_jjP12ihipStream_tbEUljE_EEESV_SW_SX_S14_S18_S1A_T6_T7_T9_mT8_S1C_bDpT10_ENKUlT_T0_E_clISt17integral_constantIbLb0EES1P_EEDaS1K_S1L_EUlS1K_E_NS1_11comp_targetILNS1_3genE8ELNS1_11target_archE1030ELNS1_3gpuE2ELNS1_3repE0EEENS1_30default_config_static_selectorELNS0_4arch9wavefront6targetE0EEEvSY_.has_indirect_call, 0
	.section	.AMDGPU.csdata,"",@progbits
; Kernel info:
; codeLenInByte = 8564
; TotalNumSgprs: 29
; NumVgprs: 69
; ScratchSize: 0
; MemoryBound: 0
; FloatMode: 240
; IeeeMode: 1
; LDSByteSize: 13320 bytes/workgroup (compile time only)
; SGPRBlocks: 0
; VGPRBlocks: 8
; NumSGPRsForWavesPerEU: 29
; NumVGPRsForWavesPerEU: 69
; Occupancy: 12
; WaveLimiterHint : 0
; COMPUTE_PGM_RSRC2:SCRATCH_EN: 0
; COMPUTE_PGM_RSRC2:USER_SGPR: 6
; COMPUTE_PGM_RSRC2:TRAP_HANDLER: 0
; COMPUTE_PGM_RSRC2:TGID_X_EN: 1
; COMPUTE_PGM_RSRC2:TGID_Y_EN: 0
; COMPUTE_PGM_RSRC2:TGID_Z_EN: 0
; COMPUTE_PGM_RSRC2:TIDIG_COMP_CNT: 0
	.section	.text._ZN7rocprim17ROCPRIM_400000_NS6detail17trampoline_kernelINS0_13select_configILj256ELj13ELNS0_17block_load_methodE3ELS4_3ELS4_3ELNS0_20block_scan_algorithmE0ELj4294967295EEENS1_25partition_config_selectorILNS1_17partition_subalgoE3EjNS0_10empty_typeEbEEZZNS1_14partition_implILS8_3ELb0ES6_jNS0_17counting_iteratorIjlEEPS9_SE_NS0_5tupleIJPjSE_EEENSF_IJSE_SE_EEES9_SG_JZNS1_25segmented_radix_sort_implINS0_14default_configELb0EPKsPsPKlPlN2at6native12_GLOBAL__N_18offset_tEEE10hipError_tPvRmT1_PNSt15iterator_traitsISY_E10value_typeET2_T3_PNSZ_IS14_E10value_typeET4_jRbjT5_S1A_jjP12ihipStream_tbEUljE_EEESV_SW_SX_S14_S18_S1A_T6_T7_T9_mT8_S1C_bDpT10_ENKUlT_T0_E_clISt17integral_constantIbLb1EES1P_EEDaS1K_S1L_EUlS1K_E_NS1_11comp_targetILNS1_3genE0ELNS1_11target_archE4294967295ELNS1_3gpuE0ELNS1_3repE0EEENS1_30default_config_static_selectorELNS0_4arch9wavefront6targetE0EEEvSY_,"axG",@progbits,_ZN7rocprim17ROCPRIM_400000_NS6detail17trampoline_kernelINS0_13select_configILj256ELj13ELNS0_17block_load_methodE3ELS4_3ELS4_3ELNS0_20block_scan_algorithmE0ELj4294967295EEENS1_25partition_config_selectorILNS1_17partition_subalgoE3EjNS0_10empty_typeEbEEZZNS1_14partition_implILS8_3ELb0ES6_jNS0_17counting_iteratorIjlEEPS9_SE_NS0_5tupleIJPjSE_EEENSF_IJSE_SE_EEES9_SG_JZNS1_25segmented_radix_sort_implINS0_14default_configELb0EPKsPsPKlPlN2at6native12_GLOBAL__N_18offset_tEEE10hipError_tPvRmT1_PNSt15iterator_traitsISY_E10value_typeET2_T3_PNSZ_IS14_E10value_typeET4_jRbjT5_S1A_jjP12ihipStream_tbEUljE_EEESV_SW_SX_S14_S18_S1A_T6_T7_T9_mT8_S1C_bDpT10_ENKUlT_T0_E_clISt17integral_constantIbLb1EES1P_EEDaS1K_S1L_EUlS1K_E_NS1_11comp_targetILNS1_3genE0ELNS1_11target_archE4294967295ELNS1_3gpuE0ELNS1_3repE0EEENS1_30default_config_static_selectorELNS0_4arch9wavefront6targetE0EEEvSY_,comdat
	.globl	_ZN7rocprim17ROCPRIM_400000_NS6detail17trampoline_kernelINS0_13select_configILj256ELj13ELNS0_17block_load_methodE3ELS4_3ELS4_3ELNS0_20block_scan_algorithmE0ELj4294967295EEENS1_25partition_config_selectorILNS1_17partition_subalgoE3EjNS0_10empty_typeEbEEZZNS1_14partition_implILS8_3ELb0ES6_jNS0_17counting_iteratorIjlEEPS9_SE_NS0_5tupleIJPjSE_EEENSF_IJSE_SE_EEES9_SG_JZNS1_25segmented_radix_sort_implINS0_14default_configELb0EPKsPsPKlPlN2at6native12_GLOBAL__N_18offset_tEEE10hipError_tPvRmT1_PNSt15iterator_traitsISY_E10value_typeET2_T3_PNSZ_IS14_E10value_typeET4_jRbjT5_S1A_jjP12ihipStream_tbEUljE_EEESV_SW_SX_S14_S18_S1A_T6_T7_T9_mT8_S1C_bDpT10_ENKUlT_T0_E_clISt17integral_constantIbLb1EES1P_EEDaS1K_S1L_EUlS1K_E_NS1_11comp_targetILNS1_3genE0ELNS1_11target_archE4294967295ELNS1_3gpuE0ELNS1_3repE0EEENS1_30default_config_static_selectorELNS0_4arch9wavefront6targetE0EEEvSY_ ; -- Begin function _ZN7rocprim17ROCPRIM_400000_NS6detail17trampoline_kernelINS0_13select_configILj256ELj13ELNS0_17block_load_methodE3ELS4_3ELS4_3ELNS0_20block_scan_algorithmE0ELj4294967295EEENS1_25partition_config_selectorILNS1_17partition_subalgoE3EjNS0_10empty_typeEbEEZZNS1_14partition_implILS8_3ELb0ES6_jNS0_17counting_iteratorIjlEEPS9_SE_NS0_5tupleIJPjSE_EEENSF_IJSE_SE_EEES9_SG_JZNS1_25segmented_radix_sort_implINS0_14default_configELb0EPKsPsPKlPlN2at6native12_GLOBAL__N_18offset_tEEE10hipError_tPvRmT1_PNSt15iterator_traitsISY_E10value_typeET2_T3_PNSZ_IS14_E10value_typeET4_jRbjT5_S1A_jjP12ihipStream_tbEUljE_EEESV_SW_SX_S14_S18_S1A_T6_T7_T9_mT8_S1C_bDpT10_ENKUlT_T0_E_clISt17integral_constantIbLb1EES1P_EEDaS1K_S1L_EUlS1K_E_NS1_11comp_targetILNS1_3genE0ELNS1_11target_archE4294967295ELNS1_3gpuE0ELNS1_3repE0EEENS1_30default_config_static_selectorELNS0_4arch9wavefront6targetE0EEEvSY_
	.p2align	8
	.type	_ZN7rocprim17ROCPRIM_400000_NS6detail17trampoline_kernelINS0_13select_configILj256ELj13ELNS0_17block_load_methodE3ELS4_3ELS4_3ELNS0_20block_scan_algorithmE0ELj4294967295EEENS1_25partition_config_selectorILNS1_17partition_subalgoE3EjNS0_10empty_typeEbEEZZNS1_14partition_implILS8_3ELb0ES6_jNS0_17counting_iteratorIjlEEPS9_SE_NS0_5tupleIJPjSE_EEENSF_IJSE_SE_EEES9_SG_JZNS1_25segmented_radix_sort_implINS0_14default_configELb0EPKsPsPKlPlN2at6native12_GLOBAL__N_18offset_tEEE10hipError_tPvRmT1_PNSt15iterator_traitsISY_E10value_typeET2_T3_PNSZ_IS14_E10value_typeET4_jRbjT5_S1A_jjP12ihipStream_tbEUljE_EEESV_SW_SX_S14_S18_S1A_T6_T7_T9_mT8_S1C_bDpT10_ENKUlT_T0_E_clISt17integral_constantIbLb1EES1P_EEDaS1K_S1L_EUlS1K_E_NS1_11comp_targetILNS1_3genE0ELNS1_11target_archE4294967295ELNS1_3gpuE0ELNS1_3repE0EEENS1_30default_config_static_selectorELNS0_4arch9wavefront6targetE0EEEvSY_,@function
_ZN7rocprim17ROCPRIM_400000_NS6detail17trampoline_kernelINS0_13select_configILj256ELj13ELNS0_17block_load_methodE3ELS4_3ELS4_3ELNS0_20block_scan_algorithmE0ELj4294967295EEENS1_25partition_config_selectorILNS1_17partition_subalgoE3EjNS0_10empty_typeEbEEZZNS1_14partition_implILS8_3ELb0ES6_jNS0_17counting_iteratorIjlEEPS9_SE_NS0_5tupleIJPjSE_EEENSF_IJSE_SE_EEES9_SG_JZNS1_25segmented_radix_sort_implINS0_14default_configELb0EPKsPsPKlPlN2at6native12_GLOBAL__N_18offset_tEEE10hipError_tPvRmT1_PNSt15iterator_traitsISY_E10value_typeET2_T3_PNSZ_IS14_E10value_typeET4_jRbjT5_S1A_jjP12ihipStream_tbEUljE_EEESV_SW_SX_S14_S18_S1A_T6_T7_T9_mT8_S1C_bDpT10_ENKUlT_T0_E_clISt17integral_constantIbLb1EES1P_EEDaS1K_S1L_EUlS1K_E_NS1_11comp_targetILNS1_3genE0ELNS1_11target_archE4294967295ELNS1_3gpuE0ELNS1_3repE0EEENS1_30default_config_static_selectorELNS0_4arch9wavefront6targetE0EEEvSY_: ; @_ZN7rocprim17ROCPRIM_400000_NS6detail17trampoline_kernelINS0_13select_configILj256ELj13ELNS0_17block_load_methodE3ELS4_3ELS4_3ELNS0_20block_scan_algorithmE0ELj4294967295EEENS1_25partition_config_selectorILNS1_17partition_subalgoE3EjNS0_10empty_typeEbEEZZNS1_14partition_implILS8_3ELb0ES6_jNS0_17counting_iteratorIjlEEPS9_SE_NS0_5tupleIJPjSE_EEENSF_IJSE_SE_EEES9_SG_JZNS1_25segmented_radix_sort_implINS0_14default_configELb0EPKsPsPKlPlN2at6native12_GLOBAL__N_18offset_tEEE10hipError_tPvRmT1_PNSt15iterator_traitsISY_E10value_typeET2_T3_PNSZ_IS14_E10value_typeET4_jRbjT5_S1A_jjP12ihipStream_tbEUljE_EEESV_SW_SX_S14_S18_S1A_T6_T7_T9_mT8_S1C_bDpT10_ENKUlT_T0_E_clISt17integral_constantIbLb1EES1P_EEDaS1K_S1L_EUlS1K_E_NS1_11comp_targetILNS1_3genE0ELNS1_11target_archE4294967295ELNS1_3gpuE0ELNS1_3repE0EEENS1_30default_config_static_selectorELNS0_4arch9wavefront6targetE0EEEvSY_
; %bb.0:
	.section	.rodata,"a",@progbits
	.p2align	6, 0x0
	.amdhsa_kernel _ZN7rocprim17ROCPRIM_400000_NS6detail17trampoline_kernelINS0_13select_configILj256ELj13ELNS0_17block_load_methodE3ELS4_3ELS4_3ELNS0_20block_scan_algorithmE0ELj4294967295EEENS1_25partition_config_selectorILNS1_17partition_subalgoE3EjNS0_10empty_typeEbEEZZNS1_14partition_implILS8_3ELb0ES6_jNS0_17counting_iteratorIjlEEPS9_SE_NS0_5tupleIJPjSE_EEENSF_IJSE_SE_EEES9_SG_JZNS1_25segmented_radix_sort_implINS0_14default_configELb0EPKsPsPKlPlN2at6native12_GLOBAL__N_18offset_tEEE10hipError_tPvRmT1_PNSt15iterator_traitsISY_E10value_typeET2_T3_PNSZ_IS14_E10value_typeET4_jRbjT5_S1A_jjP12ihipStream_tbEUljE_EEESV_SW_SX_S14_S18_S1A_T6_T7_T9_mT8_S1C_bDpT10_ENKUlT_T0_E_clISt17integral_constantIbLb1EES1P_EEDaS1K_S1L_EUlS1K_E_NS1_11comp_targetILNS1_3genE0ELNS1_11target_archE4294967295ELNS1_3gpuE0ELNS1_3repE0EEENS1_30default_config_static_selectorELNS0_4arch9wavefront6targetE0EEEvSY_
		.amdhsa_group_segment_fixed_size 0
		.amdhsa_private_segment_fixed_size 0
		.amdhsa_kernarg_size 152
		.amdhsa_user_sgpr_count 6
		.amdhsa_user_sgpr_private_segment_buffer 1
		.amdhsa_user_sgpr_dispatch_ptr 0
		.amdhsa_user_sgpr_queue_ptr 0
		.amdhsa_user_sgpr_kernarg_segment_ptr 1
		.amdhsa_user_sgpr_dispatch_id 0
		.amdhsa_user_sgpr_flat_scratch_init 0
		.amdhsa_user_sgpr_private_segment_size 0
		.amdhsa_wavefront_size32 1
		.amdhsa_uses_dynamic_stack 0
		.amdhsa_system_sgpr_private_segment_wavefront_offset 0
		.amdhsa_system_sgpr_workgroup_id_x 1
		.amdhsa_system_sgpr_workgroup_id_y 0
		.amdhsa_system_sgpr_workgroup_id_z 0
		.amdhsa_system_sgpr_workgroup_info 0
		.amdhsa_system_vgpr_workitem_id 0
		.amdhsa_next_free_vgpr 1
		.amdhsa_next_free_sgpr 1
		.amdhsa_reserve_vcc 0
		.amdhsa_reserve_flat_scratch 0
		.amdhsa_float_round_mode_32 0
		.amdhsa_float_round_mode_16_64 0
		.amdhsa_float_denorm_mode_32 3
		.amdhsa_float_denorm_mode_16_64 3
		.amdhsa_dx10_clamp 1
		.amdhsa_ieee_mode 1
		.amdhsa_fp16_overflow 0
		.amdhsa_workgroup_processor_mode 1
		.amdhsa_memory_ordered 1
		.amdhsa_forward_progress 1
		.amdhsa_shared_vgpr_count 0
		.amdhsa_exception_fp_ieee_invalid_op 0
		.amdhsa_exception_fp_denorm_src 0
		.amdhsa_exception_fp_ieee_div_zero 0
		.amdhsa_exception_fp_ieee_overflow 0
		.amdhsa_exception_fp_ieee_underflow 0
		.amdhsa_exception_fp_ieee_inexact 0
		.amdhsa_exception_int_div_zero 0
	.end_amdhsa_kernel
	.section	.text._ZN7rocprim17ROCPRIM_400000_NS6detail17trampoline_kernelINS0_13select_configILj256ELj13ELNS0_17block_load_methodE3ELS4_3ELS4_3ELNS0_20block_scan_algorithmE0ELj4294967295EEENS1_25partition_config_selectorILNS1_17partition_subalgoE3EjNS0_10empty_typeEbEEZZNS1_14partition_implILS8_3ELb0ES6_jNS0_17counting_iteratorIjlEEPS9_SE_NS0_5tupleIJPjSE_EEENSF_IJSE_SE_EEES9_SG_JZNS1_25segmented_radix_sort_implINS0_14default_configELb0EPKsPsPKlPlN2at6native12_GLOBAL__N_18offset_tEEE10hipError_tPvRmT1_PNSt15iterator_traitsISY_E10value_typeET2_T3_PNSZ_IS14_E10value_typeET4_jRbjT5_S1A_jjP12ihipStream_tbEUljE_EEESV_SW_SX_S14_S18_S1A_T6_T7_T9_mT8_S1C_bDpT10_ENKUlT_T0_E_clISt17integral_constantIbLb1EES1P_EEDaS1K_S1L_EUlS1K_E_NS1_11comp_targetILNS1_3genE0ELNS1_11target_archE4294967295ELNS1_3gpuE0ELNS1_3repE0EEENS1_30default_config_static_selectorELNS0_4arch9wavefront6targetE0EEEvSY_,"axG",@progbits,_ZN7rocprim17ROCPRIM_400000_NS6detail17trampoline_kernelINS0_13select_configILj256ELj13ELNS0_17block_load_methodE3ELS4_3ELS4_3ELNS0_20block_scan_algorithmE0ELj4294967295EEENS1_25partition_config_selectorILNS1_17partition_subalgoE3EjNS0_10empty_typeEbEEZZNS1_14partition_implILS8_3ELb0ES6_jNS0_17counting_iteratorIjlEEPS9_SE_NS0_5tupleIJPjSE_EEENSF_IJSE_SE_EEES9_SG_JZNS1_25segmented_radix_sort_implINS0_14default_configELb0EPKsPsPKlPlN2at6native12_GLOBAL__N_18offset_tEEE10hipError_tPvRmT1_PNSt15iterator_traitsISY_E10value_typeET2_T3_PNSZ_IS14_E10value_typeET4_jRbjT5_S1A_jjP12ihipStream_tbEUljE_EEESV_SW_SX_S14_S18_S1A_T6_T7_T9_mT8_S1C_bDpT10_ENKUlT_T0_E_clISt17integral_constantIbLb1EES1P_EEDaS1K_S1L_EUlS1K_E_NS1_11comp_targetILNS1_3genE0ELNS1_11target_archE4294967295ELNS1_3gpuE0ELNS1_3repE0EEENS1_30default_config_static_selectorELNS0_4arch9wavefront6targetE0EEEvSY_,comdat
.Lfunc_end983:
	.size	_ZN7rocprim17ROCPRIM_400000_NS6detail17trampoline_kernelINS0_13select_configILj256ELj13ELNS0_17block_load_methodE3ELS4_3ELS4_3ELNS0_20block_scan_algorithmE0ELj4294967295EEENS1_25partition_config_selectorILNS1_17partition_subalgoE3EjNS0_10empty_typeEbEEZZNS1_14partition_implILS8_3ELb0ES6_jNS0_17counting_iteratorIjlEEPS9_SE_NS0_5tupleIJPjSE_EEENSF_IJSE_SE_EEES9_SG_JZNS1_25segmented_radix_sort_implINS0_14default_configELb0EPKsPsPKlPlN2at6native12_GLOBAL__N_18offset_tEEE10hipError_tPvRmT1_PNSt15iterator_traitsISY_E10value_typeET2_T3_PNSZ_IS14_E10value_typeET4_jRbjT5_S1A_jjP12ihipStream_tbEUljE_EEESV_SW_SX_S14_S18_S1A_T6_T7_T9_mT8_S1C_bDpT10_ENKUlT_T0_E_clISt17integral_constantIbLb1EES1P_EEDaS1K_S1L_EUlS1K_E_NS1_11comp_targetILNS1_3genE0ELNS1_11target_archE4294967295ELNS1_3gpuE0ELNS1_3repE0EEENS1_30default_config_static_selectorELNS0_4arch9wavefront6targetE0EEEvSY_, .Lfunc_end983-_ZN7rocprim17ROCPRIM_400000_NS6detail17trampoline_kernelINS0_13select_configILj256ELj13ELNS0_17block_load_methodE3ELS4_3ELS4_3ELNS0_20block_scan_algorithmE0ELj4294967295EEENS1_25partition_config_selectorILNS1_17partition_subalgoE3EjNS0_10empty_typeEbEEZZNS1_14partition_implILS8_3ELb0ES6_jNS0_17counting_iteratorIjlEEPS9_SE_NS0_5tupleIJPjSE_EEENSF_IJSE_SE_EEES9_SG_JZNS1_25segmented_radix_sort_implINS0_14default_configELb0EPKsPsPKlPlN2at6native12_GLOBAL__N_18offset_tEEE10hipError_tPvRmT1_PNSt15iterator_traitsISY_E10value_typeET2_T3_PNSZ_IS14_E10value_typeET4_jRbjT5_S1A_jjP12ihipStream_tbEUljE_EEESV_SW_SX_S14_S18_S1A_T6_T7_T9_mT8_S1C_bDpT10_ENKUlT_T0_E_clISt17integral_constantIbLb1EES1P_EEDaS1K_S1L_EUlS1K_E_NS1_11comp_targetILNS1_3genE0ELNS1_11target_archE4294967295ELNS1_3gpuE0ELNS1_3repE0EEENS1_30default_config_static_selectorELNS0_4arch9wavefront6targetE0EEEvSY_
                                        ; -- End function
	.set _ZN7rocprim17ROCPRIM_400000_NS6detail17trampoline_kernelINS0_13select_configILj256ELj13ELNS0_17block_load_methodE3ELS4_3ELS4_3ELNS0_20block_scan_algorithmE0ELj4294967295EEENS1_25partition_config_selectorILNS1_17partition_subalgoE3EjNS0_10empty_typeEbEEZZNS1_14partition_implILS8_3ELb0ES6_jNS0_17counting_iteratorIjlEEPS9_SE_NS0_5tupleIJPjSE_EEENSF_IJSE_SE_EEES9_SG_JZNS1_25segmented_radix_sort_implINS0_14default_configELb0EPKsPsPKlPlN2at6native12_GLOBAL__N_18offset_tEEE10hipError_tPvRmT1_PNSt15iterator_traitsISY_E10value_typeET2_T3_PNSZ_IS14_E10value_typeET4_jRbjT5_S1A_jjP12ihipStream_tbEUljE_EEESV_SW_SX_S14_S18_S1A_T6_T7_T9_mT8_S1C_bDpT10_ENKUlT_T0_E_clISt17integral_constantIbLb1EES1P_EEDaS1K_S1L_EUlS1K_E_NS1_11comp_targetILNS1_3genE0ELNS1_11target_archE4294967295ELNS1_3gpuE0ELNS1_3repE0EEENS1_30default_config_static_selectorELNS0_4arch9wavefront6targetE0EEEvSY_.num_vgpr, 0
	.set _ZN7rocprim17ROCPRIM_400000_NS6detail17trampoline_kernelINS0_13select_configILj256ELj13ELNS0_17block_load_methodE3ELS4_3ELS4_3ELNS0_20block_scan_algorithmE0ELj4294967295EEENS1_25partition_config_selectorILNS1_17partition_subalgoE3EjNS0_10empty_typeEbEEZZNS1_14partition_implILS8_3ELb0ES6_jNS0_17counting_iteratorIjlEEPS9_SE_NS0_5tupleIJPjSE_EEENSF_IJSE_SE_EEES9_SG_JZNS1_25segmented_radix_sort_implINS0_14default_configELb0EPKsPsPKlPlN2at6native12_GLOBAL__N_18offset_tEEE10hipError_tPvRmT1_PNSt15iterator_traitsISY_E10value_typeET2_T3_PNSZ_IS14_E10value_typeET4_jRbjT5_S1A_jjP12ihipStream_tbEUljE_EEESV_SW_SX_S14_S18_S1A_T6_T7_T9_mT8_S1C_bDpT10_ENKUlT_T0_E_clISt17integral_constantIbLb1EES1P_EEDaS1K_S1L_EUlS1K_E_NS1_11comp_targetILNS1_3genE0ELNS1_11target_archE4294967295ELNS1_3gpuE0ELNS1_3repE0EEENS1_30default_config_static_selectorELNS0_4arch9wavefront6targetE0EEEvSY_.num_agpr, 0
	.set _ZN7rocprim17ROCPRIM_400000_NS6detail17trampoline_kernelINS0_13select_configILj256ELj13ELNS0_17block_load_methodE3ELS4_3ELS4_3ELNS0_20block_scan_algorithmE0ELj4294967295EEENS1_25partition_config_selectorILNS1_17partition_subalgoE3EjNS0_10empty_typeEbEEZZNS1_14partition_implILS8_3ELb0ES6_jNS0_17counting_iteratorIjlEEPS9_SE_NS0_5tupleIJPjSE_EEENSF_IJSE_SE_EEES9_SG_JZNS1_25segmented_radix_sort_implINS0_14default_configELb0EPKsPsPKlPlN2at6native12_GLOBAL__N_18offset_tEEE10hipError_tPvRmT1_PNSt15iterator_traitsISY_E10value_typeET2_T3_PNSZ_IS14_E10value_typeET4_jRbjT5_S1A_jjP12ihipStream_tbEUljE_EEESV_SW_SX_S14_S18_S1A_T6_T7_T9_mT8_S1C_bDpT10_ENKUlT_T0_E_clISt17integral_constantIbLb1EES1P_EEDaS1K_S1L_EUlS1K_E_NS1_11comp_targetILNS1_3genE0ELNS1_11target_archE4294967295ELNS1_3gpuE0ELNS1_3repE0EEENS1_30default_config_static_selectorELNS0_4arch9wavefront6targetE0EEEvSY_.numbered_sgpr, 0
	.set _ZN7rocprim17ROCPRIM_400000_NS6detail17trampoline_kernelINS0_13select_configILj256ELj13ELNS0_17block_load_methodE3ELS4_3ELS4_3ELNS0_20block_scan_algorithmE0ELj4294967295EEENS1_25partition_config_selectorILNS1_17partition_subalgoE3EjNS0_10empty_typeEbEEZZNS1_14partition_implILS8_3ELb0ES6_jNS0_17counting_iteratorIjlEEPS9_SE_NS0_5tupleIJPjSE_EEENSF_IJSE_SE_EEES9_SG_JZNS1_25segmented_radix_sort_implINS0_14default_configELb0EPKsPsPKlPlN2at6native12_GLOBAL__N_18offset_tEEE10hipError_tPvRmT1_PNSt15iterator_traitsISY_E10value_typeET2_T3_PNSZ_IS14_E10value_typeET4_jRbjT5_S1A_jjP12ihipStream_tbEUljE_EEESV_SW_SX_S14_S18_S1A_T6_T7_T9_mT8_S1C_bDpT10_ENKUlT_T0_E_clISt17integral_constantIbLb1EES1P_EEDaS1K_S1L_EUlS1K_E_NS1_11comp_targetILNS1_3genE0ELNS1_11target_archE4294967295ELNS1_3gpuE0ELNS1_3repE0EEENS1_30default_config_static_selectorELNS0_4arch9wavefront6targetE0EEEvSY_.num_named_barrier, 0
	.set _ZN7rocprim17ROCPRIM_400000_NS6detail17trampoline_kernelINS0_13select_configILj256ELj13ELNS0_17block_load_methodE3ELS4_3ELS4_3ELNS0_20block_scan_algorithmE0ELj4294967295EEENS1_25partition_config_selectorILNS1_17partition_subalgoE3EjNS0_10empty_typeEbEEZZNS1_14partition_implILS8_3ELb0ES6_jNS0_17counting_iteratorIjlEEPS9_SE_NS0_5tupleIJPjSE_EEENSF_IJSE_SE_EEES9_SG_JZNS1_25segmented_radix_sort_implINS0_14default_configELb0EPKsPsPKlPlN2at6native12_GLOBAL__N_18offset_tEEE10hipError_tPvRmT1_PNSt15iterator_traitsISY_E10value_typeET2_T3_PNSZ_IS14_E10value_typeET4_jRbjT5_S1A_jjP12ihipStream_tbEUljE_EEESV_SW_SX_S14_S18_S1A_T6_T7_T9_mT8_S1C_bDpT10_ENKUlT_T0_E_clISt17integral_constantIbLb1EES1P_EEDaS1K_S1L_EUlS1K_E_NS1_11comp_targetILNS1_3genE0ELNS1_11target_archE4294967295ELNS1_3gpuE0ELNS1_3repE0EEENS1_30default_config_static_selectorELNS0_4arch9wavefront6targetE0EEEvSY_.private_seg_size, 0
	.set _ZN7rocprim17ROCPRIM_400000_NS6detail17trampoline_kernelINS0_13select_configILj256ELj13ELNS0_17block_load_methodE3ELS4_3ELS4_3ELNS0_20block_scan_algorithmE0ELj4294967295EEENS1_25partition_config_selectorILNS1_17partition_subalgoE3EjNS0_10empty_typeEbEEZZNS1_14partition_implILS8_3ELb0ES6_jNS0_17counting_iteratorIjlEEPS9_SE_NS0_5tupleIJPjSE_EEENSF_IJSE_SE_EEES9_SG_JZNS1_25segmented_radix_sort_implINS0_14default_configELb0EPKsPsPKlPlN2at6native12_GLOBAL__N_18offset_tEEE10hipError_tPvRmT1_PNSt15iterator_traitsISY_E10value_typeET2_T3_PNSZ_IS14_E10value_typeET4_jRbjT5_S1A_jjP12ihipStream_tbEUljE_EEESV_SW_SX_S14_S18_S1A_T6_T7_T9_mT8_S1C_bDpT10_ENKUlT_T0_E_clISt17integral_constantIbLb1EES1P_EEDaS1K_S1L_EUlS1K_E_NS1_11comp_targetILNS1_3genE0ELNS1_11target_archE4294967295ELNS1_3gpuE0ELNS1_3repE0EEENS1_30default_config_static_selectorELNS0_4arch9wavefront6targetE0EEEvSY_.uses_vcc, 0
	.set _ZN7rocprim17ROCPRIM_400000_NS6detail17trampoline_kernelINS0_13select_configILj256ELj13ELNS0_17block_load_methodE3ELS4_3ELS4_3ELNS0_20block_scan_algorithmE0ELj4294967295EEENS1_25partition_config_selectorILNS1_17partition_subalgoE3EjNS0_10empty_typeEbEEZZNS1_14partition_implILS8_3ELb0ES6_jNS0_17counting_iteratorIjlEEPS9_SE_NS0_5tupleIJPjSE_EEENSF_IJSE_SE_EEES9_SG_JZNS1_25segmented_radix_sort_implINS0_14default_configELb0EPKsPsPKlPlN2at6native12_GLOBAL__N_18offset_tEEE10hipError_tPvRmT1_PNSt15iterator_traitsISY_E10value_typeET2_T3_PNSZ_IS14_E10value_typeET4_jRbjT5_S1A_jjP12ihipStream_tbEUljE_EEESV_SW_SX_S14_S18_S1A_T6_T7_T9_mT8_S1C_bDpT10_ENKUlT_T0_E_clISt17integral_constantIbLb1EES1P_EEDaS1K_S1L_EUlS1K_E_NS1_11comp_targetILNS1_3genE0ELNS1_11target_archE4294967295ELNS1_3gpuE0ELNS1_3repE0EEENS1_30default_config_static_selectorELNS0_4arch9wavefront6targetE0EEEvSY_.uses_flat_scratch, 0
	.set _ZN7rocprim17ROCPRIM_400000_NS6detail17trampoline_kernelINS0_13select_configILj256ELj13ELNS0_17block_load_methodE3ELS4_3ELS4_3ELNS0_20block_scan_algorithmE0ELj4294967295EEENS1_25partition_config_selectorILNS1_17partition_subalgoE3EjNS0_10empty_typeEbEEZZNS1_14partition_implILS8_3ELb0ES6_jNS0_17counting_iteratorIjlEEPS9_SE_NS0_5tupleIJPjSE_EEENSF_IJSE_SE_EEES9_SG_JZNS1_25segmented_radix_sort_implINS0_14default_configELb0EPKsPsPKlPlN2at6native12_GLOBAL__N_18offset_tEEE10hipError_tPvRmT1_PNSt15iterator_traitsISY_E10value_typeET2_T3_PNSZ_IS14_E10value_typeET4_jRbjT5_S1A_jjP12ihipStream_tbEUljE_EEESV_SW_SX_S14_S18_S1A_T6_T7_T9_mT8_S1C_bDpT10_ENKUlT_T0_E_clISt17integral_constantIbLb1EES1P_EEDaS1K_S1L_EUlS1K_E_NS1_11comp_targetILNS1_3genE0ELNS1_11target_archE4294967295ELNS1_3gpuE0ELNS1_3repE0EEENS1_30default_config_static_selectorELNS0_4arch9wavefront6targetE0EEEvSY_.has_dyn_sized_stack, 0
	.set _ZN7rocprim17ROCPRIM_400000_NS6detail17trampoline_kernelINS0_13select_configILj256ELj13ELNS0_17block_load_methodE3ELS4_3ELS4_3ELNS0_20block_scan_algorithmE0ELj4294967295EEENS1_25partition_config_selectorILNS1_17partition_subalgoE3EjNS0_10empty_typeEbEEZZNS1_14partition_implILS8_3ELb0ES6_jNS0_17counting_iteratorIjlEEPS9_SE_NS0_5tupleIJPjSE_EEENSF_IJSE_SE_EEES9_SG_JZNS1_25segmented_radix_sort_implINS0_14default_configELb0EPKsPsPKlPlN2at6native12_GLOBAL__N_18offset_tEEE10hipError_tPvRmT1_PNSt15iterator_traitsISY_E10value_typeET2_T3_PNSZ_IS14_E10value_typeET4_jRbjT5_S1A_jjP12ihipStream_tbEUljE_EEESV_SW_SX_S14_S18_S1A_T6_T7_T9_mT8_S1C_bDpT10_ENKUlT_T0_E_clISt17integral_constantIbLb1EES1P_EEDaS1K_S1L_EUlS1K_E_NS1_11comp_targetILNS1_3genE0ELNS1_11target_archE4294967295ELNS1_3gpuE0ELNS1_3repE0EEENS1_30default_config_static_selectorELNS0_4arch9wavefront6targetE0EEEvSY_.has_recursion, 0
	.set _ZN7rocprim17ROCPRIM_400000_NS6detail17trampoline_kernelINS0_13select_configILj256ELj13ELNS0_17block_load_methodE3ELS4_3ELS4_3ELNS0_20block_scan_algorithmE0ELj4294967295EEENS1_25partition_config_selectorILNS1_17partition_subalgoE3EjNS0_10empty_typeEbEEZZNS1_14partition_implILS8_3ELb0ES6_jNS0_17counting_iteratorIjlEEPS9_SE_NS0_5tupleIJPjSE_EEENSF_IJSE_SE_EEES9_SG_JZNS1_25segmented_radix_sort_implINS0_14default_configELb0EPKsPsPKlPlN2at6native12_GLOBAL__N_18offset_tEEE10hipError_tPvRmT1_PNSt15iterator_traitsISY_E10value_typeET2_T3_PNSZ_IS14_E10value_typeET4_jRbjT5_S1A_jjP12ihipStream_tbEUljE_EEESV_SW_SX_S14_S18_S1A_T6_T7_T9_mT8_S1C_bDpT10_ENKUlT_T0_E_clISt17integral_constantIbLb1EES1P_EEDaS1K_S1L_EUlS1K_E_NS1_11comp_targetILNS1_3genE0ELNS1_11target_archE4294967295ELNS1_3gpuE0ELNS1_3repE0EEENS1_30default_config_static_selectorELNS0_4arch9wavefront6targetE0EEEvSY_.has_indirect_call, 0
	.section	.AMDGPU.csdata,"",@progbits
; Kernel info:
; codeLenInByte = 0
; TotalNumSgprs: 0
; NumVgprs: 0
; ScratchSize: 0
; MemoryBound: 0
; FloatMode: 240
; IeeeMode: 1
; LDSByteSize: 0 bytes/workgroup (compile time only)
; SGPRBlocks: 0
; VGPRBlocks: 0
; NumSGPRsForWavesPerEU: 1
; NumVGPRsForWavesPerEU: 1
; Occupancy: 16
; WaveLimiterHint : 0
; COMPUTE_PGM_RSRC2:SCRATCH_EN: 0
; COMPUTE_PGM_RSRC2:USER_SGPR: 6
; COMPUTE_PGM_RSRC2:TRAP_HANDLER: 0
; COMPUTE_PGM_RSRC2:TGID_X_EN: 1
; COMPUTE_PGM_RSRC2:TGID_Y_EN: 0
; COMPUTE_PGM_RSRC2:TGID_Z_EN: 0
; COMPUTE_PGM_RSRC2:TIDIG_COMP_CNT: 0
	.section	.text._ZN7rocprim17ROCPRIM_400000_NS6detail17trampoline_kernelINS0_13select_configILj256ELj13ELNS0_17block_load_methodE3ELS4_3ELS4_3ELNS0_20block_scan_algorithmE0ELj4294967295EEENS1_25partition_config_selectorILNS1_17partition_subalgoE3EjNS0_10empty_typeEbEEZZNS1_14partition_implILS8_3ELb0ES6_jNS0_17counting_iteratorIjlEEPS9_SE_NS0_5tupleIJPjSE_EEENSF_IJSE_SE_EEES9_SG_JZNS1_25segmented_radix_sort_implINS0_14default_configELb0EPKsPsPKlPlN2at6native12_GLOBAL__N_18offset_tEEE10hipError_tPvRmT1_PNSt15iterator_traitsISY_E10value_typeET2_T3_PNSZ_IS14_E10value_typeET4_jRbjT5_S1A_jjP12ihipStream_tbEUljE_EEESV_SW_SX_S14_S18_S1A_T6_T7_T9_mT8_S1C_bDpT10_ENKUlT_T0_E_clISt17integral_constantIbLb1EES1P_EEDaS1K_S1L_EUlS1K_E_NS1_11comp_targetILNS1_3genE5ELNS1_11target_archE942ELNS1_3gpuE9ELNS1_3repE0EEENS1_30default_config_static_selectorELNS0_4arch9wavefront6targetE0EEEvSY_,"axG",@progbits,_ZN7rocprim17ROCPRIM_400000_NS6detail17trampoline_kernelINS0_13select_configILj256ELj13ELNS0_17block_load_methodE3ELS4_3ELS4_3ELNS0_20block_scan_algorithmE0ELj4294967295EEENS1_25partition_config_selectorILNS1_17partition_subalgoE3EjNS0_10empty_typeEbEEZZNS1_14partition_implILS8_3ELb0ES6_jNS0_17counting_iteratorIjlEEPS9_SE_NS0_5tupleIJPjSE_EEENSF_IJSE_SE_EEES9_SG_JZNS1_25segmented_radix_sort_implINS0_14default_configELb0EPKsPsPKlPlN2at6native12_GLOBAL__N_18offset_tEEE10hipError_tPvRmT1_PNSt15iterator_traitsISY_E10value_typeET2_T3_PNSZ_IS14_E10value_typeET4_jRbjT5_S1A_jjP12ihipStream_tbEUljE_EEESV_SW_SX_S14_S18_S1A_T6_T7_T9_mT8_S1C_bDpT10_ENKUlT_T0_E_clISt17integral_constantIbLb1EES1P_EEDaS1K_S1L_EUlS1K_E_NS1_11comp_targetILNS1_3genE5ELNS1_11target_archE942ELNS1_3gpuE9ELNS1_3repE0EEENS1_30default_config_static_selectorELNS0_4arch9wavefront6targetE0EEEvSY_,comdat
	.globl	_ZN7rocprim17ROCPRIM_400000_NS6detail17trampoline_kernelINS0_13select_configILj256ELj13ELNS0_17block_load_methodE3ELS4_3ELS4_3ELNS0_20block_scan_algorithmE0ELj4294967295EEENS1_25partition_config_selectorILNS1_17partition_subalgoE3EjNS0_10empty_typeEbEEZZNS1_14partition_implILS8_3ELb0ES6_jNS0_17counting_iteratorIjlEEPS9_SE_NS0_5tupleIJPjSE_EEENSF_IJSE_SE_EEES9_SG_JZNS1_25segmented_radix_sort_implINS0_14default_configELb0EPKsPsPKlPlN2at6native12_GLOBAL__N_18offset_tEEE10hipError_tPvRmT1_PNSt15iterator_traitsISY_E10value_typeET2_T3_PNSZ_IS14_E10value_typeET4_jRbjT5_S1A_jjP12ihipStream_tbEUljE_EEESV_SW_SX_S14_S18_S1A_T6_T7_T9_mT8_S1C_bDpT10_ENKUlT_T0_E_clISt17integral_constantIbLb1EES1P_EEDaS1K_S1L_EUlS1K_E_NS1_11comp_targetILNS1_3genE5ELNS1_11target_archE942ELNS1_3gpuE9ELNS1_3repE0EEENS1_30default_config_static_selectorELNS0_4arch9wavefront6targetE0EEEvSY_ ; -- Begin function _ZN7rocprim17ROCPRIM_400000_NS6detail17trampoline_kernelINS0_13select_configILj256ELj13ELNS0_17block_load_methodE3ELS4_3ELS4_3ELNS0_20block_scan_algorithmE0ELj4294967295EEENS1_25partition_config_selectorILNS1_17partition_subalgoE3EjNS0_10empty_typeEbEEZZNS1_14partition_implILS8_3ELb0ES6_jNS0_17counting_iteratorIjlEEPS9_SE_NS0_5tupleIJPjSE_EEENSF_IJSE_SE_EEES9_SG_JZNS1_25segmented_radix_sort_implINS0_14default_configELb0EPKsPsPKlPlN2at6native12_GLOBAL__N_18offset_tEEE10hipError_tPvRmT1_PNSt15iterator_traitsISY_E10value_typeET2_T3_PNSZ_IS14_E10value_typeET4_jRbjT5_S1A_jjP12ihipStream_tbEUljE_EEESV_SW_SX_S14_S18_S1A_T6_T7_T9_mT8_S1C_bDpT10_ENKUlT_T0_E_clISt17integral_constantIbLb1EES1P_EEDaS1K_S1L_EUlS1K_E_NS1_11comp_targetILNS1_3genE5ELNS1_11target_archE942ELNS1_3gpuE9ELNS1_3repE0EEENS1_30default_config_static_selectorELNS0_4arch9wavefront6targetE0EEEvSY_
	.p2align	8
	.type	_ZN7rocprim17ROCPRIM_400000_NS6detail17trampoline_kernelINS0_13select_configILj256ELj13ELNS0_17block_load_methodE3ELS4_3ELS4_3ELNS0_20block_scan_algorithmE0ELj4294967295EEENS1_25partition_config_selectorILNS1_17partition_subalgoE3EjNS0_10empty_typeEbEEZZNS1_14partition_implILS8_3ELb0ES6_jNS0_17counting_iteratorIjlEEPS9_SE_NS0_5tupleIJPjSE_EEENSF_IJSE_SE_EEES9_SG_JZNS1_25segmented_radix_sort_implINS0_14default_configELb0EPKsPsPKlPlN2at6native12_GLOBAL__N_18offset_tEEE10hipError_tPvRmT1_PNSt15iterator_traitsISY_E10value_typeET2_T3_PNSZ_IS14_E10value_typeET4_jRbjT5_S1A_jjP12ihipStream_tbEUljE_EEESV_SW_SX_S14_S18_S1A_T6_T7_T9_mT8_S1C_bDpT10_ENKUlT_T0_E_clISt17integral_constantIbLb1EES1P_EEDaS1K_S1L_EUlS1K_E_NS1_11comp_targetILNS1_3genE5ELNS1_11target_archE942ELNS1_3gpuE9ELNS1_3repE0EEENS1_30default_config_static_selectorELNS0_4arch9wavefront6targetE0EEEvSY_,@function
_ZN7rocprim17ROCPRIM_400000_NS6detail17trampoline_kernelINS0_13select_configILj256ELj13ELNS0_17block_load_methodE3ELS4_3ELS4_3ELNS0_20block_scan_algorithmE0ELj4294967295EEENS1_25partition_config_selectorILNS1_17partition_subalgoE3EjNS0_10empty_typeEbEEZZNS1_14partition_implILS8_3ELb0ES6_jNS0_17counting_iteratorIjlEEPS9_SE_NS0_5tupleIJPjSE_EEENSF_IJSE_SE_EEES9_SG_JZNS1_25segmented_radix_sort_implINS0_14default_configELb0EPKsPsPKlPlN2at6native12_GLOBAL__N_18offset_tEEE10hipError_tPvRmT1_PNSt15iterator_traitsISY_E10value_typeET2_T3_PNSZ_IS14_E10value_typeET4_jRbjT5_S1A_jjP12ihipStream_tbEUljE_EEESV_SW_SX_S14_S18_S1A_T6_T7_T9_mT8_S1C_bDpT10_ENKUlT_T0_E_clISt17integral_constantIbLb1EES1P_EEDaS1K_S1L_EUlS1K_E_NS1_11comp_targetILNS1_3genE5ELNS1_11target_archE942ELNS1_3gpuE9ELNS1_3repE0EEENS1_30default_config_static_selectorELNS0_4arch9wavefront6targetE0EEEvSY_: ; @_ZN7rocprim17ROCPRIM_400000_NS6detail17trampoline_kernelINS0_13select_configILj256ELj13ELNS0_17block_load_methodE3ELS4_3ELS4_3ELNS0_20block_scan_algorithmE0ELj4294967295EEENS1_25partition_config_selectorILNS1_17partition_subalgoE3EjNS0_10empty_typeEbEEZZNS1_14partition_implILS8_3ELb0ES6_jNS0_17counting_iteratorIjlEEPS9_SE_NS0_5tupleIJPjSE_EEENSF_IJSE_SE_EEES9_SG_JZNS1_25segmented_radix_sort_implINS0_14default_configELb0EPKsPsPKlPlN2at6native12_GLOBAL__N_18offset_tEEE10hipError_tPvRmT1_PNSt15iterator_traitsISY_E10value_typeET2_T3_PNSZ_IS14_E10value_typeET4_jRbjT5_S1A_jjP12ihipStream_tbEUljE_EEESV_SW_SX_S14_S18_S1A_T6_T7_T9_mT8_S1C_bDpT10_ENKUlT_T0_E_clISt17integral_constantIbLb1EES1P_EEDaS1K_S1L_EUlS1K_E_NS1_11comp_targetILNS1_3genE5ELNS1_11target_archE942ELNS1_3gpuE9ELNS1_3repE0EEENS1_30default_config_static_selectorELNS0_4arch9wavefront6targetE0EEEvSY_
; %bb.0:
	.section	.rodata,"a",@progbits
	.p2align	6, 0x0
	.amdhsa_kernel _ZN7rocprim17ROCPRIM_400000_NS6detail17trampoline_kernelINS0_13select_configILj256ELj13ELNS0_17block_load_methodE3ELS4_3ELS4_3ELNS0_20block_scan_algorithmE0ELj4294967295EEENS1_25partition_config_selectorILNS1_17partition_subalgoE3EjNS0_10empty_typeEbEEZZNS1_14partition_implILS8_3ELb0ES6_jNS0_17counting_iteratorIjlEEPS9_SE_NS0_5tupleIJPjSE_EEENSF_IJSE_SE_EEES9_SG_JZNS1_25segmented_radix_sort_implINS0_14default_configELb0EPKsPsPKlPlN2at6native12_GLOBAL__N_18offset_tEEE10hipError_tPvRmT1_PNSt15iterator_traitsISY_E10value_typeET2_T3_PNSZ_IS14_E10value_typeET4_jRbjT5_S1A_jjP12ihipStream_tbEUljE_EEESV_SW_SX_S14_S18_S1A_T6_T7_T9_mT8_S1C_bDpT10_ENKUlT_T0_E_clISt17integral_constantIbLb1EES1P_EEDaS1K_S1L_EUlS1K_E_NS1_11comp_targetILNS1_3genE5ELNS1_11target_archE942ELNS1_3gpuE9ELNS1_3repE0EEENS1_30default_config_static_selectorELNS0_4arch9wavefront6targetE0EEEvSY_
		.amdhsa_group_segment_fixed_size 0
		.amdhsa_private_segment_fixed_size 0
		.amdhsa_kernarg_size 152
		.amdhsa_user_sgpr_count 6
		.amdhsa_user_sgpr_private_segment_buffer 1
		.amdhsa_user_sgpr_dispatch_ptr 0
		.amdhsa_user_sgpr_queue_ptr 0
		.amdhsa_user_sgpr_kernarg_segment_ptr 1
		.amdhsa_user_sgpr_dispatch_id 0
		.amdhsa_user_sgpr_flat_scratch_init 0
		.amdhsa_user_sgpr_private_segment_size 0
		.amdhsa_wavefront_size32 1
		.amdhsa_uses_dynamic_stack 0
		.amdhsa_system_sgpr_private_segment_wavefront_offset 0
		.amdhsa_system_sgpr_workgroup_id_x 1
		.amdhsa_system_sgpr_workgroup_id_y 0
		.amdhsa_system_sgpr_workgroup_id_z 0
		.amdhsa_system_sgpr_workgroup_info 0
		.amdhsa_system_vgpr_workitem_id 0
		.amdhsa_next_free_vgpr 1
		.amdhsa_next_free_sgpr 1
		.amdhsa_reserve_vcc 0
		.amdhsa_reserve_flat_scratch 0
		.amdhsa_float_round_mode_32 0
		.amdhsa_float_round_mode_16_64 0
		.amdhsa_float_denorm_mode_32 3
		.amdhsa_float_denorm_mode_16_64 3
		.amdhsa_dx10_clamp 1
		.amdhsa_ieee_mode 1
		.amdhsa_fp16_overflow 0
		.amdhsa_workgroup_processor_mode 1
		.amdhsa_memory_ordered 1
		.amdhsa_forward_progress 1
		.amdhsa_shared_vgpr_count 0
		.amdhsa_exception_fp_ieee_invalid_op 0
		.amdhsa_exception_fp_denorm_src 0
		.amdhsa_exception_fp_ieee_div_zero 0
		.amdhsa_exception_fp_ieee_overflow 0
		.amdhsa_exception_fp_ieee_underflow 0
		.amdhsa_exception_fp_ieee_inexact 0
		.amdhsa_exception_int_div_zero 0
	.end_amdhsa_kernel
	.section	.text._ZN7rocprim17ROCPRIM_400000_NS6detail17trampoline_kernelINS0_13select_configILj256ELj13ELNS0_17block_load_methodE3ELS4_3ELS4_3ELNS0_20block_scan_algorithmE0ELj4294967295EEENS1_25partition_config_selectorILNS1_17partition_subalgoE3EjNS0_10empty_typeEbEEZZNS1_14partition_implILS8_3ELb0ES6_jNS0_17counting_iteratorIjlEEPS9_SE_NS0_5tupleIJPjSE_EEENSF_IJSE_SE_EEES9_SG_JZNS1_25segmented_radix_sort_implINS0_14default_configELb0EPKsPsPKlPlN2at6native12_GLOBAL__N_18offset_tEEE10hipError_tPvRmT1_PNSt15iterator_traitsISY_E10value_typeET2_T3_PNSZ_IS14_E10value_typeET4_jRbjT5_S1A_jjP12ihipStream_tbEUljE_EEESV_SW_SX_S14_S18_S1A_T6_T7_T9_mT8_S1C_bDpT10_ENKUlT_T0_E_clISt17integral_constantIbLb1EES1P_EEDaS1K_S1L_EUlS1K_E_NS1_11comp_targetILNS1_3genE5ELNS1_11target_archE942ELNS1_3gpuE9ELNS1_3repE0EEENS1_30default_config_static_selectorELNS0_4arch9wavefront6targetE0EEEvSY_,"axG",@progbits,_ZN7rocprim17ROCPRIM_400000_NS6detail17trampoline_kernelINS0_13select_configILj256ELj13ELNS0_17block_load_methodE3ELS4_3ELS4_3ELNS0_20block_scan_algorithmE0ELj4294967295EEENS1_25partition_config_selectorILNS1_17partition_subalgoE3EjNS0_10empty_typeEbEEZZNS1_14partition_implILS8_3ELb0ES6_jNS0_17counting_iteratorIjlEEPS9_SE_NS0_5tupleIJPjSE_EEENSF_IJSE_SE_EEES9_SG_JZNS1_25segmented_radix_sort_implINS0_14default_configELb0EPKsPsPKlPlN2at6native12_GLOBAL__N_18offset_tEEE10hipError_tPvRmT1_PNSt15iterator_traitsISY_E10value_typeET2_T3_PNSZ_IS14_E10value_typeET4_jRbjT5_S1A_jjP12ihipStream_tbEUljE_EEESV_SW_SX_S14_S18_S1A_T6_T7_T9_mT8_S1C_bDpT10_ENKUlT_T0_E_clISt17integral_constantIbLb1EES1P_EEDaS1K_S1L_EUlS1K_E_NS1_11comp_targetILNS1_3genE5ELNS1_11target_archE942ELNS1_3gpuE9ELNS1_3repE0EEENS1_30default_config_static_selectorELNS0_4arch9wavefront6targetE0EEEvSY_,comdat
.Lfunc_end984:
	.size	_ZN7rocprim17ROCPRIM_400000_NS6detail17trampoline_kernelINS0_13select_configILj256ELj13ELNS0_17block_load_methodE3ELS4_3ELS4_3ELNS0_20block_scan_algorithmE0ELj4294967295EEENS1_25partition_config_selectorILNS1_17partition_subalgoE3EjNS0_10empty_typeEbEEZZNS1_14partition_implILS8_3ELb0ES6_jNS0_17counting_iteratorIjlEEPS9_SE_NS0_5tupleIJPjSE_EEENSF_IJSE_SE_EEES9_SG_JZNS1_25segmented_radix_sort_implINS0_14default_configELb0EPKsPsPKlPlN2at6native12_GLOBAL__N_18offset_tEEE10hipError_tPvRmT1_PNSt15iterator_traitsISY_E10value_typeET2_T3_PNSZ_IS14_E10value_typeET4_jRbjT5_S1A_jjP12ihipStream_tbEUljE_EEESV_SW_SX_S14_S18_S1A_T6_T7_T9_mT8_S1C_bDpT10_ENKUlT_T0_E_clISt17integral_constantIbLb1EES1P_EEDaS1K_S1L_EUlS1K_E_NS1_11comp_targetILNS1_3genE5ELNS1_11target_archE942ELNS1_3gpuE9ELNS1_3repE0EEENS1_30default_config_static_selectorELNS0_4arch9wavefront6targetE0EEEvSY_, .Lfunc_end984-_ZN7rocprim17ROCPRIM_400000_NS6detail17trampoline_kernelINS0_13select_configILj256ELj13ELNS0_17block_load_methodE3ELS4_3ELS4_3ELNS0_20block_scan_algorithmE0ELj4294967295EEENS1_25partition_config_selectorILNS1_17partition_subalgoE3EjNS0_10empty_typeEbEEZZNS1_14partition_implILS8_3ELb0ES6_jNS0_17counting_iteratorIjlEEPS9_SE_NS0_5tupleIJPjSE_EEENSF_IJSE_SE_EEES9_SG_JZNS1_25segmented_radix_sort_implINS0_14default_configELb0EPKsPsPKlPlN2at6native12_GLOBAL__N_18offset_tEEE10hipError_tPvRmT1_PNSt15iterator_traitsISY_E10value_typeET2_T3_PNSZ_IS14_E10value_typeET4_jRbjT5_S1A_jjP12ihipStream_tbEUljE_EEESV_SW_SX_S14_S18_S1A_T6_T7_T9_mT8_S1C_bDpT10_ENKUlT_T0_E_clISt17integral_constantIbLb1EES1P_EEDaS1K_S1L_EUlS1K_E_NS1_11comp_targetILNS1_3genE5ELNS1_11target_archE942ELNS1_3gpuE9ELNS1_3repE0EEENS1_30default_config_static_selectorELNS0_4arch9wavefront6targetE0EEEvSY_
                                        ; -- End function
	.set _ZN7rocprim17ROCPRIM_400000_NS6detail17trampoline_kernelINS0_13select_configILj256ELj13ELNS0_17block_load_methodE3ELS4_3ELS4_3ELNS0_20block_scan_algorithmE0ELj4294967295EEENS1_25partition_config_selectorILNS1_17partition_subalgoE3EjNS0_10empty_typeEbEEZZNS1_14partition_implILS8_3ELb0ES6_jNS0_17counting_iteratorIjlEEPS9_SE_NS0_5tupleIJPjSE_EEENSF_IJSE_SE_EEES9_SG_JZNS1_25segmented_radix_sort_implINS0_14default_configELb0EPKsPsPKlPlN2at6native12_GLOBAL__N_18offset_tEEE10hipError_tPvRmT1_PNSt15iterator_traitsISY_E10value_typeET2_T3_PNSZ_IS14_E10value_typeET4_jRbjT5_S1A_jjP12ihipStream_tbEUljE_EEESV_SW_SX_S14_S18_S1A_T6_T7_T9_mT8_S1C_bDpT10_ENKUlT_T0_E_clISt17integral_constantIbLb1EES1P_EEDaS1K_S1L_EUlS1K_E_NS1_11comp_targetILNS1_3genE5ELNS1_11target_archE942ELNS1_3gpuE9ELNS1_3repE0EEENS1_30default_config_static_selectorELNS0_4arch9wavefront6targetE0EEEvSY_.num_vgpr, 0
	.set _ZN7rocprim17ROCPRIM_400000_NS6detail17trampoline_kernelINS0_13select_configILj256ELj13ELNS0_17block_load_methodE3ELS4_3ELS4_3ELNS0_20block_scan_algorithmE0ELj4294967295EEENS1_25partition_config_selectorILNS1_17partition_subalgoE3EjNS0_10empty_typeEbEEZZNS1_14partition_implILS8_3ELb0ES6_jNS0_17counting_iteratorIjlEEPS9_SE_NS0_5tupleIJPjSE_EEENSF_IJSE_SE_EEES9_SG_JZNS1_25segmented_radix_sort_implINS0_14default_configELb0EPKsPsPKlPlN2at6native12_GLOBAL__N_18offset_tEEE10hipError_tPvRmT1_PNSt15iterator_traitsISY_E10value_typeET2_T3_PNSZ_IS14_E10value_typeET4_jRbjT5_S1A_jjP12ihipStream_tbEUljE_EEESV_SW_SX_S14_S18_S1A_T6_T7_T9_mT8_S1C_bDpT10_ENKUlT_T0_E_clISt17integral_constantIbLb1EES1P_EEDaS1K_S1L_EUlS1K_E_NS1_11comp_targetILNS1_3genE5ELNS1_11target_archE942ELNS1_3gpuE9ELNS1_3repE0EEENS1_30default_config_static_selectorELNS0_4arch9wavefront6targetE0EEEvSY_.num_agpr, 0
	.set _ZN7rocprim17ROCPRIM_400000_NS6detail17trampoline_kernelINS0_13select_configILj256ELj13ELNS0_17block_load_methodE3ELS4_3ELS4_3ELNS0_20block_scan_algorithmE0ELj4294967295EEENS1_25partition_config_selectorILNS1_17partition_subalgoE3EjNS0_10empty_typeEbEEZZNS1_14partition_implILS8_3ELb0ES6_jNS0_17counting_iteratorIjlEEPS9_SE_NS0_5tupleIJPjSE_EEENSF_IJSE_SE_EEES9_SG_JZNS1_25segmented_radix_sort_implINS0_14default_configELb0EPKsPsPKlPlN2at6native12_GLOBAL__N_18offset_tEEE10hipError_tPvRmT1_PNSt15iterator_traitsISY_E10value_typeET2_T3_PNSZ_IS14_E10value_typeET4_jRbjT5_S1A_jjP12ihipStream_tbEUljE_EEESV_SW_SX_S14_S18_S1A_T6_T7_T9_mT8_S1C_bDpT10_ENKUlT_T0_E_clISt17integral_constantIbLb1EES1P_EEDaS1K_S1L_EUlS1K_E_NS1_11comp_targetILNS1_3genE5ELNS1_11target_archE942ELNS1_3gpuE9ELNS1_3repE0EEENS1_30default_config_static_selectorELNS0_4arch9wavefront6targetE0EEEvSY_.numbered_sgpr, 0
	.set _ZN7rocprim17ROCPRIM_400000_NS6detail17trampoline_kernelINS0_13select_configILj256ELj13ELNS0_17block_load_methodE3ELS4_3ELS4_3ELNS0_20block_scan_algorithmE0ELj4294967295EEENS1_25partition_config_selectorILNS1_17partition_subalgoE3EjNS0_10empty_typeEbEEZZNS1_14partition_implILS8_3ELb0ES6_jNS0_17counting_iteratorIjlEEPS9_SE_NS0_5tupleIJPjSE_EEENSF_IJSE_SE_EEES9_SG_JZNS1_25segmented_radix_sort_implINS0_14default_configELb0EPKsPsPKlPlN2at6native12_GLOBAL__N_18offset_tEEE10hipError_tPvRmT1_PNSt15iterator_traitsISY_E10value_typeET2_T3_PNSZ_IS14_E10value_typeET4_jRbjT5_S1A_jjP12ihipStream_tbEUljE_EEESV_SW_SX_S14_S18_S1A_T6_T7_T9_mT8_S1C_bDpT10_ENKUlT_T0_E_clISt17integral_constantIbLb1EES1P_EEDaS1K_S1L_EUlS1K_E_NS1_11comp_targetILNS1_3genE5ELNS1_11target_archE942ELNS1_3gpuE9ELNS1_3repE0EEENS1_30default_config_static_selectorELNS0_4arch9wavefront6targetE0EEEvSY_.num_named_barrier, 0
	.set _ZN7rocprim17ROCPRIM_400000_NS6detail17trampoline_kernelINS0_13select_configILj256ELj13ELNS0_17block_load_methodE3ELS4_3ELS4_3ELNS0_20block_scan_algorithmE0ELj4294967295EEENS1_25partition_config_selectorILNS1_17partition_subalgoE3EjNS0_10empty_typeEbEEZZNS1_14partition_implILS8_3ELb0ES6_jNS0_17counting_iteratorIjlEEPS9_SE_NS0_5tupleIJPjSE_EEENSF_IJSE_SE_EEES9_SG_JZNS1_25segmented_radix_sort_implINS0_14default_configELb0EPKsPsPKlPlN2at6native12_GLOBAL__N_18offset_tEEE10hipError_tPvRmT1_PNSt15iterator_traitsISY_E10value_typeET2_T3_PNSZ_IS14_E10value_typeET4_jRbjT5_S1A_jjP12ihipStream_tbEUljE_EEESV_SW_SX_S14_S18_S1A_T6_T7_T9_mT8_S1C_bDpT10_ENKUlT_T0_E_clISt17integral_constantIbLb1EES1P_EEDaS1K_S1L_EUlS1K_E_NS1_11comp_targetILNS1_3genE5ELNS1_11target_archE942ELNS1_3gpuE9ELNS1_3repE0EEENS1_30default_config_static_selectorELNS0_4arch9wavefront6targetE0EEEvSY_.private_seg_size, 0
	.set _ZN7rocprim17ROCPRIM_400000_NS6detail17trampoline_kernelINS0_13select_configILj256ELj13ELNS0_17block_load_methodE3ELS4_3ELS4_3ELNS0_20block_scan_algorithmE0ELj4294967295EEENS1_25partition_config_selectorILNS1_17partition_subalgoE3EjNS0_10empty_typeEbEEZZNS1_14partition_implILS8_3ELb0ES6_jNS0_17counting_iteratorIjlEEPS9_SE_NS0_5tupleIJPjSE_EEENSF_IJSE_SE_EEES9_SG_JZNS1_25segmented_radix_sort_implINS0_14default_configELb0EPKsPsPKlPlN2at6native12_GLOBAL__N_18offset_tEEE10hipError_tPvRmT1_PNSt15iterator_traitsISY_E10value_typeET2_T3_PNSZ_IS14_E10value_typeET4_jRbjT5_S1A_jjP12ihipStream_tbEUljE_EEESV_SW_SX_S14_S18_S1A_T6_T7_T9_mT8_S1C_bDpT10_ENKUlT_T0_E_clISt17integral_constantIbLb1EES1P_EEDaS1K_S1L_EUlS1K_E_NS1_11comp_targetILNS1_3genE5ELNS1_11target_archE942ELNS1_3gpuE9ELNS1_3repE0EEENS1_30default_config_static_selectorELNS0_4arch9wavefront6targetE0EEEvSY_.uses_vcc, 0
	.set _ZN7rocprim17ROCPRIM_400000_NS6detail17trampoline_kernelINS0_13select_configILj256ELj13ELNS0_17block_load_methodE3ELS4_3ELS4_3ELNS0_20block_scan_algorithmE0ELj4294967295EEENS1_25partition_config_selectorILNS1_17partition_subalgoE3EjNS0_10empty_typeEbEEZZNS1_14partition_implILS8_3ELb0ES6_jNS0_17counting_iteratorIjlEEPS9_SE_NS0_5tupleIJPjSE_EEENSF_IJSE_SE_EEES9_SG_JZNS1_25segmented_radix_sort_implINS0_14default_configELb0EPKsPsPKlPlN2at6native12_GLOBAL__N_18offset_tEEE10hipError_tPvRmT1_PNSt15iterator_traitsISY_E10value_typeET2_T3_PNSZ_IS14_E10value_typeET4_jRbjT5_S1A_jjP12ihipStream_tbEUljE_EEESV_SW_SX_S14_S18_S1A_T6_T7_T9_mT8_S1C_bDpT10_ENKUlT_T0_E_clISt17integral_constantIbLb1EES1P_EEDaS1K_S1L_EUlS1K_E_NS1_11comp_targetILNS1_3genE5ELNS1_11target_archE942ELNS1_3gpuE9ELNS1_3repE0EEENS1_30default_config_static_selectorELNS0_4arch9wavefront6targetE0EEEvSY_.uses_flat_scratch, 0
	.set _ZN7rocprim17ROCPRIM_400000_NS6detail17trampoline_kernelINS0_13select_configILj256ELj13ELNS0_17block_load_methodE3ELS4_3ELS4_3ELNS0_20block_scan_algorithmE0ELj4294967295EEENS1_25partition_config_selectorILNS1_17partition_subalgoE3EjNS0_10empty_typeEbEEZZNS1_14partition_implILS8_3ELb0ES6_jNS0_17counting_iteratorIjlEEPS9_SE_NS0_5tupleIJPjSE_EEENSF_IJSE_SE_EEES9_SG_JZNS1_25segmented_radix_sort_implINS0_14default_configELb0EPKsPsPKlPlN2at6native12_GLOBAL__N_18offset_tEEE10hipError_tPvRmT1_PNSt15iterator_traitsISY_E10value_typeET2_T3_PNSZ_IS14_E10value_typeET4_jRbjT5_S1A_jjP12ihipStream_tbEUljE_EEESV_SW_SX_S14_S18_S1A_T6_T7_T9_mT8_S1C_bDpT10_ENKUlT_T0_E_clISt17integral_constantIbLb1EES1P_EEDaS1K_S1L_EUlS1K_E_NS1_11comp_targetILNS1_3genE5ELNS1_11target_archE942ELNS1_3gpuE9ELNS1_3repE0EEENS1_30default_config_static_selectorELNS0_4arch9wavefront6targetE0EEEvSY_.has_dyn_sized_stack, 0
	.set _ZN7rocprim17ROCPRIM_400000_NS6detail17trampoline_kernelINS0_13select_configILj256ELj13ELNS0_17block_load_methodE3ELS4_3ELS4_3ELNS0_20block_scan_algorithmE0ELj4294967295EEENS1_25partition_config_selectorILNS1_17partition_subalgoE3EjNS0_10empty_typeEbEEZZNS1_14partition_implILS8_3ELb0ES6_jNS0_17counting_iteratorIjlEEPS9_SE_NS0_5tupleIJPjSE_EEENSF_IJSE_SE_EEES9_SG_JZNS1_25segmented_radix_sort_implINS0_14default_configELb0EPKsPsPKlPlN2at6native12_GLOBAL__N_18offset_tEEE10hipError_tPvRmT1_PNSt15iterator_traitsISY_E10value_typeET2_T3_PNSZ_IS14_E10value_typeET4_jRbjT5_S1A_jjP12ihipStream_tbEUljE_EEESV_SW_SX_S14_S18_S1A_T6_T7_T9_mT8_S1C_bDpT10_ENKUlT_T0_E_clISt17integral_constantIbLb1EES1P_EEDaS1K_S1L_EUlS1K_E_NS1_11comp_targetILNS1_3genE5ELNS1_11target_archE942ELNS1_3gpuE9ELNS1_3repE0EEENS1_30default_config_static_selectorELNS0_4arch9wavefront6targetE0EEEvSY_.has_recursion, 0
	.set _ZN7rocprim17ROCPRIM_400000_NS6detail17trampoline_kernelINS0_13select_configILj256ELj13ELNS0_17block_load_methodE3ELS4_3ELS4_3ELNS0_20block_scan_algorithmE0ELj4294967295EEENS1_25partition_config_selectorILNS1_17partition_subalgoE3EjNS0_10empty_typeEbEEZZNS1_14partition_implILS8_3ELb0ES6_jNS0_17counting_iteratorIjlEEPS9_SE_NS0_5tupleIJPjSE_EEENSF_IJSE_SE_EEES9_SG_JZNS1_25segmented_radix_sort_implINS0_14default_configELb0EPKsPsPKlPlN2at6native12_GLOBAL__N_18offset_tEEE10hipError_tPvRmT1_PNSt15iterator_traitsISY_E10value_typeET2_T3_PNSZ_IS14_E10value_typeET4_jRbjT5_S1A_jjP12ihipStream_tbEUljE_EEESV_SW_SX_S14_S18_S1A_T6_T7_T9_mT8_S1C_bDpT10_ENKUlT_T0_E_clISt17integral_constantIbLb1EES1P_EEDaS1K_S1L_EUlS1K_E_NS1_11comp_targetILNS1_3genE5ELNS1_11target_archE942ELNS1_3gpuE9ELNS1_3repE0EEENS1_30default_config_static_selectorELNS0_4arch9wavefront6targetE0EEEvSY_.has_indirect_call, 0
	.section	.AMDGPU.csdata,"",@progbits
; Kernel info:
; codeLenInByte = 0
; TotalNumSgprs: 0
; NumVgprs: 0
; ScratchSize: 0
; MemoryBound: 0
; FloatMode: 240
; IeeeMode: 1
; LDSByteSize: 0 bytes/workgroup (compile time only)
; SGPRBlocks: 0
; VGPRBlocks: 0
; NumSGPRsForWavesPerEU: 1
; NumVGPRsForWavesPerEU: 1
; Occupancy: 16
; WaveLimiterHint : 0
; COMPUTE_PGM_RSRC2:SCRATCH_EN: 0
; COMPUTE_PGM_RSRC2:USER_SGPR: 6
; COMPUTE_PGM_RSRC2:TRAP_HANDLER: 0
; COMPUTE_PGM_RSRC2:TGID_X_EN: 1
; COMPUTE_PGM_RSRC2:TGID_Y_EN: 0
; COMPUTE_PGM_RSRC2:TGID_Z_EN: 0
; COMPUTE_PGM_RSRC2:TIDIG_COMP_CNT: 0
	.section	.text._ZN7rocprim17ROCPRIM_400000_NS6detail17trampoline_kernelINS0_13select_configILj256ELj13ELNS0_17block_load_methodE3ELS4_3ELS4_3ELNS0_20block_scan_algorithmE0ELj4294967295EEENS1_25partition_config_selectorILNS1_17partition_subalgoE3EjNS0_10empty_typeEbEEZZNS1_14partition_implILS8_3ELb0ES6_jNS0_17counting_iteratorIjlEEPS9_SE_NS0_5tupleIJPjSE_EEENSF_IJSE_SE_EEES9_SG_JZNS1_25segmented_radix_sort_implINS0_14default_configELb0EPKsPsPKlPlN2at6native12_GLOBAL__N_18offset_tEEE10hipError_tPvRmT1_PNSt15iterator_traitsISY_E10value_typeET2_T3_PNSZ_IS14_E10value_typeET4_jRbjT5_S1A_jjP12ihipStream_tbEUljE_EEESV_SW_SX_S14_S18_S1A_T6_T7_T9_mT8_S1C_bDpT10_ENKUlT_T0_E_clISt17integral_constantIbLb1EES1P_EEDaS1K_S1L_EUlS1K_E_NS1_11comp_targetILNS1_3genE4ELNS1_11target_archE910ELNS1_3gpuE8ELNS1_3repE0EEENS1_30default_config_static_selectorELNS0_4arch9wavefront6targetE0EEEvSY_,"axG",@progbits,_ZN7rocprim17ROCPRIM_400000_NS6detail17trampoline_kernelINS0_13select_configILj256ELj13ELNS0_17block_load_methodE3ELS4_3ELS4_3ELNS0_20block_scan_algorithmE0ELj4294967295EEENS1_25partition_config_selectorILNS1_17partition_subalgoE3EjNS0_10empty_typeEbEEZZNS1_14partition_implILS8_3ELb0ES6_jNS0_17counting_iteratorIjlEEPS9_SE_NS0_5tupleIJPjSE_EEENSF_IJSE_SE_EEES9_SG_JZNS1_25segmented_radix_sort_implINS0_14default_configELb0EPKsPsPKlPlN2at6native12_GLOBAL__N_18offset_tEEE10hipError_tPvRmT1_PNSt15iterator_traitsISY_E10value_typeET2_T3_PNSZ_IS14_E10value_typeET4_jRbjT5_S1A_jjP12ihipStream_tbEUljE_EEESV_SW_SX_S14_S18_S1A_T6_T7_T9_mT8_S1C_bDpT10_ENKUlT_T0_E_clISt17integral_constantIbLb1EES1P_EEDaS1K_S1L_EUlS1K_E_NS1_11comp_targetILNS1_3genE4ELNS1_11target_archE910ELNS1_3gpuE8ELNS1_3repE0EEENS1_30default_config_static_selectorELNS0_4arch9wavefront6targetE0EEEvSY_,comdat
	.globl	_ZN7rocprim17ROCPRIM_400000_NS6detail17trampoline_kernelINS0_13select_configILj256ELj13ELNS0_17block_load_methodE3ELS4_3ELS4_3ELNS0_20block_scan_algorithmE0ELj4294967295EEENS1_25partition_config_selectorILNS1_17partition_subalgoE3EjNS0_10empty_typeEbEEZZNS1_14partition_implILS8_3ELb0ES6_jNS0_17counting_iteratorIjlEEPS9_SE_NS0_5tupleIJPjSE_EEENSF_IJSE_SE_EEES9_SG_JZNS1_25segmented_radix_sort_implINS0_14default_configELb0EPKsPsPKlPlN2at6native12_GLOBAL__N_18offset_tEEE10hipError_tPvRmT1_PNSt15iterator_traitsISY_E10value_typeET2_T3_PNSZ_IS14_E10value_typeET4_jRbjT5_S1A_jjP12ihipStream_tbEUljE_EEESV_SW_SX_S14_S18_S1A_T6_T7_T9_mT8_S1C_bDpT10_ENKUlT_T0_E_clISt17integral_constantIbLb1EES1P_EEDaS1K_S1L_EUlS1K_E_NS1_11comp_targetILNS1_3genE4ELNS1_11target_archE910ELNS1_3gpuE8ELNS1_3repE0EEENS1_30default_config_static_selectorELNS0_4arch9wavefront6targetE0EEEvSY_ ; -- Begin function _ZN7rocprim17ROCPRIM_400000_NS6detail17trampoline_kernelINS0_13select_configILj256ELj13ELNS0_17block_load_methodE3ELS4_3ELS4_3ELNS0_20block_scan_algorithmE0ELj4294967295EEENS1_25partition_config_selectorILNS1_17partition_subalgoE3EjNS0_10empty_typeEbEEZZNS1_14partition_implILS8_3ELb0ES6_jNS0_17counting_iteratorIjlEEPS9_SE_NS0_5tupleIJPjSE_EEENSF_IJSE_SE_EEES9_SG_JZNS1_25segmented_radix_sort_implINS0_14default_configELb0EPKsPsPKlPlN2at6native12_GLOBAL__N_18offset_tEEE10hipError_tPvRmT1_PNSt15iterator_traitsISY_E10value_typeET2_T3_PNSZ_IS14_E10value_typeET4_jRbjT5_S1A_jjP12ihipStream_tbEUljE_EEESV_SW_SX_S14_S18_S1A_T6_T7_T9_mT8_S1C_bDpT10_ENKUlT_T0_E_clISt17integral_constantIbLb1EES1P_EEDaS1K_S1L_EUlS1K_E_NS1_11comp_targetILNS1_3genE4ELNS1_11target_archE910ELNS1_3gpuE8ELNS1_3repE0EEENS1_30default_config_static_selectorELNS0_4arch9wavefront6targetE0EEEvSY_
	.p2align	8
	.type	_ZN7rocprim17ROCPRIM_400000_NS6detail17trampoline_kernelINS0_13select_configILj256ELj13ELNS0_17block_load_methodE3ELS4_3ELS4_3ELNS0_20block_scan_algorithmE0ELj4294967295EEENS1_25partition_config_selectorILNS1_17partition_subalgoE3EjNS0_10empty_typeEbEEZZNS1_14partition_implILS8_3ELb0ES6_jNS0_17counting_iteratorIjlEEPS9_SE_NS0_5tupleIJPjSE_EEENSF_IJSE_SE_EEES9_SG_JZNS1_25segmented_radix_sort_implINS0_14default_configELb0EPKsPsPKlPlN2at6native12_GLOBAL__N_18offset_tEEE10hipError_tPvRmT1_PNSt15iterator_traitsISY_E10value_typeET2_T3_PNSZ_IS14_E10value_typeET4_jRbjT5_S1A_jjP12ihipStream_tbEUljE_EEESV_SW_SX_S14_S18_S1A_T6_T7_T9_mT8_S1C_bDpT10_ENKUlT_T0_E_clISt17integral_constantIbLb1EES1P_EEDaS1K_S1L_EUlS1K_E_NS1_11comp_targetILNS1_3genE4ELNS1_11target_archE910ELNS1_3gpuE8ELNS1_3repE0EEENS1_30default_config_static_selectorELNS0_4arch9wavefront6targetE0EEEvSY_,@function
_ZN7rocprim17ROCPRIM_400000_NS6detail17trampoline_kernelINS0_13select_configILj256ELj13ELNS0_17block_load_methodE3ELS4_3ELS4_3ELNS0_20block_scan_algorithmE0ELj4294967295EEENS1_25partition_config_selectorILNS1_17partition_subalgoE3EjNS0_10empty_typeEbEEZZNS1_14partition_implILS8_3ELb0ES6_jNS0_17counting_iteratorIjlEEPS9_SE_NS0_5tupleIJPjSE_EEENSF_IJSE_SE_EEES9_SG_JZNS1_25segmented_radix_sort_implINS0_14default_configELb0EPKsPsPKlPlN2at6native12_GLOBAL__N_18offset_tEEE10hipError_tPvRmT1_PNSt15iterator_traitsISY_E10value_typeET2_T3_PNSZ_IS14_E10value_typeET4_jRbjT5_S1A_jjP12ihipStream_tbEUljE_EEESV_SW_SX_S14_S18_S1A_T6_T7_T9_mT8_S1C_bDpT10_ENKUlT_T0_E_clISt17integral_constantIbLb1EES1P_EEDaS1K_S1L_EUlS1K_E_NS1_11comp_targetILNS1_3genE4ELNS1_11target_archE910ELNS1_3gpuE8ELNS1_3repE0EEENS1_30default_config_static_selectorELNS0_4arch9wavefront6targetE0EEEvSY_: ; @_ZN7rocprim17ROCPRIM_400000_NS6detail17trampoline_kernelINS0_13select_configILj256ELj13ELNS0_17block_load_methodE3ELS4_3ELS4_3ELNS0_20block_scan_algorithmE0ELj4294967295EEENS1_25partition_config_selectorILNS1_17partition_subalgoE3EjNS0_10empty_typeEbEEZZNS1_14partition_implILS8_3ELb0ES6_jNS0_17counting_iteratorIjlEEPS9_SE_NS0_5tupleIJPjSE_EEENSF_IJSE_SE_EEES9_SG_JZNS1_25segmented_radix_sort_implINS0_14default_configELb0EPKsPsPKlPlN2at6native12_GLOBAL__N_18offset_tEEE10hipError_tPvRmT1_PNSt15iterator_traitsISY_E10value_typeET2_T3_PNSZ_IS14_E10value_typeET4_jRbjT5_S1A_jjP12ihipStream_tbEUljE_EEESV_SW_SX_S14_S18_S1A_T6_T7_T9_mT8_S1C_bDpT10_ENKUlT_T0_E_clISt17integral_constantIbLb1EES1P_EEDaS1K_S1L_EUlS1K_E_NS1_11comp_targetILNS1_3genE4ELNS1_11target_archE910ELNS1_3gpuE8ELNS1_3repE0EEENS1_30default_config_static_selectorELNS0_4arch9wavefront6targetE0EEEvSY_
; %bb.0:
	.section	.rodata,"a",@progbits
	.p2align	6, 0x0
	.amdhsa_kernel _ZN7rocprim17ROCPRIM_400000_NS6detail17trampoline_kernelINS0_13select_configILj256ELj13ELNS0_17block_load_methodE3ELS4_3ELS4_3ELNS0_20block_scan_algorithmE0ELj4294967295EEENS1_25partition_config_selectorILNS1_17partition_subalgoE3EjNS0_10empty_typeEbEEZZNS1_14partition_implILS8_3ELb0ES6_jNS0_17counting_iteratorIjlEEPS9_SE_NS0_5tupleIJPjSE_EEENSF_IJSE_SE_EEES9_SG_JZNS1_25segmented_radix_sort_implINS0_14default_configELb0EPKsPsPKlPlN2at6native12_GLOBAL__N_18offset_tEEE10hipError_tPvRmT1_PNSt15iterator_traitsISY_E10value_typeET2_T3_PNSZ_IS14_E10value_typeET4_jRbjT5_S1A_jjP12ihipStream_tbEUljE_EEESV_SW_SX_S14_S18_S1A_T6_T7_T9_mT8_S1C_bDpT10_ENKUlT_T0_E_clISt17integral_constantIbLb1EES1P_EEDaS1K_S1L_EUlS1K_E_NS1_11comp_targetILNS1_3genE4ELNS1_11target_archE910ELNS1_3gpuE8ELNS1_3repE0EEENS1_30default_config_static_selectorELNS0_4arch9wavefront6targetE0EEEvSY_
		.amdhsa_group_segment_fixed_size 0
		.amdhsa_private_segment_fixed_size 0
		.amdhsa_kernarg_size 152
		.amdhsa_user_sgpr_count 6
		.amdhsa_user_sgpr_private_segment_buffer 1
		.amdhsa_user_sgpr_dispatch_ptr 0
		.amdhsa_user_sgpr_queue_ptr 0
		.amdhsa_user_sgpr_kernarg_segment_ptr 1
		.amdhsa_user_sgpr_dispatch_id 0
		.amdhsa_user_sgpr_flat_scratch_init 0
		.amdhsa_user_sgpr_private_segment_size 0
		.amdhsa_wavefront_size32 1
		.amdhsa_uses_dynamic_stack 0
		.amdhsa_system_sgpr_private_segment_wavefront_offset 0
		.amdhsa_system_sgpr_workgroup_id_x 1
		.amdhsa_system_sgpr_workgroup_id_y 0
		.amdhsa_system_sgpr_workgroup_id_z 0
		.amdhsa_system_sgpr_workgroup_info 0
		.amdhsa_system_vgpr_workitem_id 0
		.amdhsa_next_free_vgpr 1
		.amdhsa_next_free_sgpr 1
		.amdhsa_reserve_vcc 0
		.amdhsa_reserve_flat_scratch 0
		.amdhsa_float_round_mode_32 0
		.amdhsa_float_round_mode_16_64 0
		.amdhsa_float_denorm_mode_32 3
		.amdhsa_float_denorm_mode_16_64 3
		.amdhsa_dx10_clamp 1
		.amdhsa_ieee_mode 1
		.amdhsa_fp16_overflow 0
		.amdhsa_workgroup_processor_mode 1
		.amdhsa_memory_ordered 1
		.amdhsa_forward_progress 1
		.amdhsa_shared_vgpr_count 0
		.amdhsa_exception_fp_ieee_invalid_op 0
		.amdhsa_exception_fp_denorm_src 0
		.amdhsa_exception_fp_ieee_div_zero 0
		.amdhsa_exception_fp_ieee_overflow 0
		.amdhsa_exception_fp_ieee_underflow 0
		.amdhsa_exception_fp_ieee_inexact 0
		.amdhsa_exception_int_div_zero 0
	.end_amdhsa_kernel
	.section	.text._ZN7rocprim17ROCPRIM_400000_NS6detail17trampoline_kernelINS0_13select_configILj256ELj13ELNS0_17block_load_methodE3ELS4_3ELS4_3ELNS0_20block_scan_algorithmE0ELj4294967295EEENS1_25partition_config_selectorILNS1_17partition_subalgoE3EjNS0_10empty_typeEbEEZZNS1_14partition_implILS8_3ELb0ES6_jNS0_17counting_iteratorIjlEEPS9_SE_NS0_5tupleIJPjSE_EEENSF_IJSE_SE_EEES9_SG_JZNS1_25segmented_radix_sort_implINS0_14default_configELb0EPKsPsPKlPlN2at6native12_GLOBAL__N_18offset_tEEE10hipError_tPvRmT1_PNSt15iterator_traitsISY_E10value_typeET2_T3_PNSZ_IS14_E10value_typeET4_jRbjT5_S1A_jjP12ihipStream_tbEUljE_EEESV_SW_SX_S14_S18_S1A_T6_T7_T9_mT8_S1C_bDpT10_ENKUlT_T0_E_clISt17integral_constantIbLb1EES1P_EEDaS1K_S1L_EUlS1K_E_NS1_11comp_targetILNS1_3genE4ELNS1_11target_archE910ELNS1_3gpuE8ELNS1_3repE0EEENS1_30default_config_static_selectorELNS0_4arch9wavefront6targetE0EEEvSY_,"axG",@progbits,_ZN7rocprim17ROCPRIM_400000_NS6detail17trampoline_kernelINS0_13select_configILj256ELj13ELNS0_17block_load_methodE3ELS4_3ELS4_3ELNS0_20block_scan_algorithmE0ELj4294967295EEENS1_25partition_config_selectorILNS1_17partition_subalgoE3EjNS0_10empty_typeEbEEZZNS1_14partition_implILS8_3ELb0ES6_jNS0_17counting_iteratorIjlEEPS9_SE_NS0_5tupleIJPjSE_EEENSF_IJSE_SE_EEES9_SG_JZNS1_25segmented_radix_sort_implINS0_14default_configELb0EPKsPsPKlPlN2at6native12_GLOBAL__N_18offset_tEEE10hipError_tPvRmT1_PNSt15iterator_traitsISY_E10value_typeET2_T3_PNSZ_IS14_E10value_typeET4_jRbjT5_S1A_jjP12ihipStream_tbEUljE_EEESV_SW_SX_S14_S18_S1A_T6_T7_T9_mT8_S1C_bDpT10_ENKUlT_T0_E_clISt17integral_constantIbLb1EES1P_EEDaS1K_S1L_EUlS1K_E_NS1_11comp_targetILNS1_3genE4ELNS1_11target_archE910ELNS1_3gpuE8ELNS1_3repE0EEENS1_30default_config_static_selectorELNS0_4arch9wavefront6targetE0EEEvSY_,comdat
.Lfunc_end985:
	.size	_ZN7rocprim17ROCPRIM_400000_NS6detail17trampoline_kernelINS0_13select_configILj256ELj13ELNS0_17block_load_methodE3ELS4_3ELS4_3ELNS0_20block_scan_algorithmE0ELj4294967295EEENS1_25partition_config_selectorILNS1_17partition_subalgoE3EjNS0_10empty_typeEbEEZZNS1_14partition_implILS8_3ELb0ES6_jNS0_17counting_iteratorIjlEEPS9_SE_NS0_5tupleIJPjSE_EEENSF_IJSE_SE_EEES9_SG_JZNS1_25segmented_radix_sort_implINS0_14default_configELb0EPKsPsPKlPlN2at6native12_GLOBAL__N_18offset_tEEE10hipError_tPvRmT1_PNSt15iterator_traitsISY_E10value_typeET2_T3_PNSZ_IS14_E10value_typeET4_jRbjT5_S1A_jjP12ihipStream_tbEUljE_EEESV_SW_SX_S14_S18_S1A_T6_T7_T9_mT8_S1C_bDpT10_ENKUlT_T0_E_clISt17integral_constantIbLb1EES1P_EEDaS1K_S1L_EUlS1K_E_NS1_11comp_targetILNS1_3genE4ELNS1_11target_archE910ELNS1_3gpuE8ELNS1_3repE0EEENS1_30default_config_static_selectorELNS0_4arch9wavefront6targetE0EEEvSY_, .Lfunc_end985-_ZN7rocprim17ROCPRIM_400000_NS6detail17trampoline_kernelINS0_13select_configILj256ELj13ELNS0_17block_load_methodE3ELS4_3ELS4_3ELNS0_20block_scan_algorithmE0ELj4294967295EEENS1_25partition_config_selectorILNS1_17partition_subalgoE3EjNS0_10empty_typeEbEEZZNS1_14partition_implILS8_3ELb0ES6_jNS0_17counting_iteratorIjlEEPS9_SE_NS0_5tupleIJPjSE_EEENSF_IJSE_SE_EEES9_SG_JZNS1_25segmented_radix_sort_implINS0_14default_configELb0EPKsPsPKlPlN2at6native12_GLOBAL__N_18offset_tEEE10hipError_tPvRmT1_PNSt15iterator_traitsISY_E10value_typeET2_T3_PNSZ_IS14_E10value_typeET4_jRbjT5_S1A_jjP12ihipStream_tbEUljE_EEESV_SW_SX_S14_S18_S1A_T6_T7_T9_mT8_S1C_bDpT10_ENKUlT_T0_E_clISt17integral_constantIbLb1EES1P_EEDaS1K_S1L_EUlS1K_E_NS1_11comp_targetILNS1_3genE4ELNS1_11target_archE910ELNS1_3gpuE8ELNS1_3repE0EEENS1_30default_config_static_selectorELNS0_4arch9wavefront6targetE0EEEvSY_
                                        ; -- End function
	.set _ZN7rocprim17ROCPRIM_400000_NS6detail17trampoline_kernelINS0_13select_configILj256ELj13ELNS0_17block_load_methodE3ELS4_3ELS4_3ELNS0_20block_scan_algorithmE0ELj4294967295EEENS1_25partition_config_selectorILNS1_17partition_subalgoE3EjNS0_10empty_typeEbEEZZNS1_14partition_implILS8_3ELb0ES6_jNS0_17counting_iteratorIjlEEPS9_SE_NS0_5tupleIJPjSE_EEENSF_IJSE_SE_EEES9_SG_JZNS1_25segmented_radix_sort_implINS0_14default_configELb0EPKsPsPKlPlN2at6native12_GLOBAL__N_18offset_tEEE10hipError_tPvRmT1_PNSt15iterator_traitsISY_E10value_typeET2_T3_PNSZ_IS14_E10value_typeET4_jRbjT5_S1A_jjP12ihipStream_tbEUljE_EEESV_SW_SX_S14_S18_S1A_T6_T7_T9_mT8_S1C_bDpT10_ENKUlT_T0_E_clISt17integral_constantIbLb1EES1P_EEDaS1K_S1L_EUlS1K_E_NS1_11comp_targetILNS1_3genE4ELNS1_11target_archE910ELNS1_3gpuE8ELNS1_3repE0EEENS1_30default_config_static_selectorELNS0_4arch9wavefront6targetE0EEEvSY_.num_vgpr, 0
	.set _ZN7rocprim17ROCPRIM_400000_NS6detail17trampoline_kernelINS0_13select_configILj256ELj13ELNS0_17block_load_methodE3ELS4_3ELS4_3ELNS0_20block_scan_algorithmE0ELj4294967295EEENS1_25partition_config_selectorILNS1_17partition_subalgoE3EjNS0_10empty_typeEbEEZZNS1_14partition_implILS8_3ELb0ES6_jNS0_17counting_iteratorIjlEEPS9_SE_NS0_5tupleIJPjSE_EEENSF_IJSE_SE_EEES9_SG_JZNS1_25segmented_radix_sort_implINS0_14default_configELb0EPKsPsPKlPlN2at6native12_GLOBAL__N_18offset_tEEE10hipError_tPvRmT1_PNSt15iterator_traitsISY_E10value_typeET2_T3_PNSZ_IS14_E10value_typeET4_jRbjT5_S1A_jjP12ihipStream_tbEUljE_EEESV_SW_SX_S14_S18_S1A_T6_T7_T9_mT8_S1C_bDpT10_ENKUlT_T0_E_clISt17integral_constantIbLb1EES1P_EEDaS1K_S1L_EUlS1K_E_NS1_11comp_targetILNS1_3genE4ELNS1_11target_archE910ELNS1_3gpuE8ELNS1_3repE0EEENS1_30default_config_static_selectorELNS0_4arch9wavefront6targetE0EEEvSY_.num_agpr, 0
	.set _ZN7rocprim17ROCPRIM_400000_NS6detail17trampoline_kernelINS0_13select_configILj256ELj13ELNS0_17block_load_methodE3ELS4_3ELS4_3ELNS0_20block_scan_algorithmE0ELj4294967295EEENS1_25partition_config_selectorILNS1_17partition_subalgoE3EjNS0_10empty_typeEbEEZZNS1_14partition_implILS8_3ELb0ES6_jNS0_17counting_iteratorIjlEEPS9_SE_NS0_5tupleIJPjSE_EEENSF_IJSE_SE_EEES9_SG_JZNS1_25segmented_radix_sort_implINS0_14default_configELb0EPKsPsPKlPlN2at6native12_GLOBAL__N_18offset_tEEE10hipError_tPvRmT1_PNSt15iterator_traitsISY_E10value_typeET2_T3_PNSZ_IS14_E10value_typeET4_jRbjT5_S1A_jjP12ihipStream_tbEUljE_EEESV_SW_SX_S14_S18_S1A_T6_T7_T9_mT8_S1C_bDpT10_ENKUlT_T0_E_clISt17integral_constantIbLb1EES1P_EEDaS1K_S1L_EUlS1K_E_NS1_11comp_targetILNS1_3genE4ELNS1_11target_archE910ELNS1_3gpuE8ELNS1_3repE0EEENS1_30default_config_static_selectorELNS0_4arch9wavefront6targetE0EEEvSY_.numbered_sgpr, 0
	.set _ZN7rocprim17ROCPRIM_400000_NS6detail17trampoline_kernelINS0_13select_configILj256ELj13ELNS0_17block_load_methodE3ELS4_3ELS4_3ELNS0_20block_scan_algorithmE0ELj4294967295EEENS1_25partition_config_selectorILNS1_17partition_subalgoE3EjNS0_10empty_typeEbEEZZNS1_14partition_implILS8_3ELb0ES6_jNS0_17counting_iteratorIjlEEPS9_SE_NS0_5tupleIJPjSE_EEENSF_IJSE_SE_EEES9_SG_JZNS1_25segmented_radix_sort_implINS0_14default_configELb0EPKsPsPKlPlN2at6native12_GLOBAL__N_18offset_tEEE10hipError_tPvRmT1_PNSt15iterator_traitsISY_E10value_typeET2_T3_PNSZ_IS14_E10value_typeET4_jRbjT5_S1A_jjP12ihipStream_tbEUljE_EEESV_SW_SX_S14_S18_S1A_T6_T7_T9_mT8_S1C_bDpT10_ENKUlT_T0_E_clISt17integral_constantIbLb1EES1P_EEDaS1K_S1L_EUlS1K_E_NS1_11comp_targetILNS1_3genE4ELNS1_11target_archE910ELNS1_3gpuE8ELNS1_3repE0EEENS1_30default_config_static_selectorELNS0_4arch9wavefront6targetE0EEEvSY_.num_named_barrier, 0
	.set _ZN7rocprim17ROCPRIM_400000_NS6detail17trampoline_kernelINS0_13select_configILj256ELj13ELNS0_17block_load_methodE3ELS4_3ELS4_3ELNS0_20block_scan_algorithmE0ELj4294967295EEENS1_25partition_config_selectorILNS1_17partition_subalgoE3EjNS0_10empty_typeEbEEZZNS1_14partition_implILS8_3ELb0ES6_jNS0_17counting_iteratorIjlEEPS9_SE_NS0_5tupleIJPjSE_EEENSF_IJSE_SE_EEES9_SG_JZNS1_25segmented_radix_sort_implINS0_14default_configELb0EPKsPsPKlPlN2at6native12_GLOBAL__N_18offset_tEEE10hipError_tPvRmT1_PNSt15iterator_traitsISY_E10value_typeET2_T3_PNSZ_IS14_E10value_typeET4_jRbjT5_S1A_jjP12ihipStream_tbEUljE_EEESV_SW_SX_S14_S18_S1A_T6_T7_T9_mT8_S1C_bDpT10_ENKUlT_T0_E_clISt17integral_constantIbLb1EES1P_EEDaS1K_S1L_EUlS1K_E_NS1_11comp_targetILNS1_3genE4ELNS1_11target_archE910ELNS1_3gpuE8ELNS1_3repE0EEENS1_30default_config_static_selectorELNS0_4arch9wavefront6targetE0EEEvSY_.private_seg_size, 0
	.set _ZN7rocprim17ROCPRIM_400000_NS6detail17trampoline_kernelINS0_13select_configILj256ELj13ELNS0_17block_load_methodE3ELS4_3ELS4_3ELNS0_20block_scan_algorithmE0ELj4294967295EEENS1_25partition_config_selectorILNS1_17partition_subalgoE3EjNS0_10empty_typeEbEEZZNS1_14partition_implILS8_3ELb0ES6_jNS0_17counting_iteratorIjlEEPS9_SE_NS0_5tupleIJPjSE_EEENSF_IJSE_SE_EEES9_SG_JZNS1_25segmented_radix_sort_implINS0_14default_configELb0EPKsPsPKlPlN2at6native12_GLOBAL__N_18offset_tEEE10hipError_tPvRmT1_PNSt15iterator_traitsISY_E10value_typeET2_T3_PNSZ_IS14_E10value_typeET4_jRbjT5_S1A_jjP12ihipStream_tbEUljE_EEESV_SW_SX_S14_S18_S1A_T6_T7_T9_mT8_S1C_bDpT10_ENKUlT_T0_E_clISt17integral_constantIbLb1EES1P_EEDaS1K_S1L_EUlS1K_E_NS1_11comp_targetILNS1_3genE4ELNS1_11target_archE910ELNS1_3gpuE8ELNS1_3repE0EEENS1_30default_config_static_selectorELNS0_4arch9wavefront6targetE0EEEvSY_.uses_vcc, 0
	.set _ZN7rocprim17ROCPRIM_400000_NS6detail17trampoline_kernelINS0_13select_configILj256ELj13ELNS0_17block_load_methodE3ELS4_3ELS4_3ELNS0_20block_scan_algorithmE0ELj4294967295EEENS1_25partition_config_selectorILNS1_17partition_subalgoE3EjNS0_10empty_typeEbEEZZNS1_14partition_implILS8_3ELb0ES6_jNS0_17counting_iteratorIjlEEPS9_SE_NS0_5tupleIJPjSE_EEENSF_IJSE_SE_EEES9_SG_JZNS1_25segmented_radix_sort_implINS0_14default_configELb0EPKsPsPKlPlN2at6native12_GLOBAL__N_18offset_tEEE10hipError_tPvRmT1_PNSt15iterator_traitsISY_E10value_typeET2_T3_PNSZ_IS14_E10value_typeET4_jRbjT5_S1A_jjP12ihipStream_tbEUljE_EEESV_SW_SX_S14_S18_S1A_T6_T7_T9_mT8_S1C_bDpT10_ENKUlT_T0_E_clISt17integral_constantIbLb1EES1P_EEDaS1K_S1L_EUlS1K_E_NS1_11comp_targetILNS1_3genE4ELNS1_11target_archE910ELNS1_3gpuE8ELNS1_3repE0EEENS1_30default_config_static_selectorELNS0_4arch9wavefront6targetE0EEEvSY_.uses_flat_scratch, 0
	.set _ZN7rocprim17ROCPRIM_400000_NS6detail17trampoline_kernelINS0_13select_configILj256ELj13ELNS0_17block_load_methodE3ELS4_3ELS4_3ELNS0_20block_scan_algorithmE0ELj4294967295EEENS1_25partition_config_selectorILNS1_17partition_subalgoE3EjNS0_10empty_typeEbEEZZNS1_14partition_implILS8_3ELb0ES6_jNS0_17counting_iteratorIjlEEPS9_SE_NS0_5tupleIJPjSE_EEENSF_IJSE_SE_EEES9_SG_JZNS1_25segmented_radix_sort_implINS0_14default_configELb0EPKsPsPKlPlN2at6native12_GLOBAL__N_18offset_tEEE10hipError_tPvRmT1_PNSt15iterator_traitsISY_E10value_typeET2_T3_PNSZ_IS14_E10value_typeET4_jRbjT5_S1A_jjP12ihipStream_tbEUljE_EEESV_SW_SX_S14_S18_S1A_T6_T7_T9_mT8_S1C_bDpT10_ENKUlT_T0_E_clISt17integral_constantIbLb1EES1P_EEDaS1K_S1L_EUlS1K_E_NS1_11comp_targetILNS1_3genE4ELNS1_11target_archE910ELNS1_3gpuE8ELNS1_3repE0EEENS1_30default_config_static_selectorELNS0_4arch9wavefront6targetE0EEEvSY_.has_dyn_sized_stack, 0
	.set _ZN7rocprim17ROCPRIM_400000_NS6detail17trampoline_kernelINS0_13select_configILj256ELj13ELNS0_17block_load_methodE3ELS4_3ELS4_3ELNS0_20block_scan_algorithmE0ELj4294967295EEENS1_25partition_config_selectorILNS1_17partition_subalgoE3EjNS0_10empty_typeEbEEZZNS1_14partition_implILS8_3ELb0ES6_jNS0_17counting_iteratorIjlEEPS9_SE_NS0_5tupleIJPjSE_EEENSF_IJSE_SE_EEES9_SG_JZNS1_25segmented_radix_sort_implINS0_14default_configELb0EPKsPsPKlPlN2at6native12_GLOBAL__N_18offset_tEEE10hipError_tPvRmT1_PNSt15iterator_traitsISY_E10value_typeET2_T3_PNSZ_IS14_E10value_typeET4_jRbjT5_S1A_jjP12ihipStream_tbEUljE_EEESV_SW_SX_S14_S18_S1A_T6_T7_T9_mT8_S1C_bDpT10_ENKUlT_T0_E_clISt17integral_constantIbLb1EES1P_EEDaS1K_S1L_EUlS1K_E_NS1_11comp_targetILNS1_3genE4ELNS1_11target_archE910ELNS1_3gpuE8ELNS1_3repE0EEENS1_30default_config_static_selectorELNS0_4arch9wavefront6targetE0EEEvSY_.has_recursion, 0
	.set _ZN7rocprim17ROCPRIM_400000_NS6detail17trampoline_kernelINS0_13select_configILj256ELj13ELNS0_17block_load_methodE3ELS4_3ELS4_3ELNS0_20block_scan_algorithmE0ELj4294967295EEENS1_25partition_config_selectorILNS1_17partition_subalgoE3EjNS0_10empty_typeEbEEZZNS1_14partition_implILS8_3ELb0ES6_jNS0_17counting_iteratorIjlEEPS9_SE_NS0_5tupleIJPjSE_EEENSF_IJSE_SE_EEES9_SG_JZNS1_25segmented_radix_sort_implINS0_14default_configELb0EPKsPsPKlPlN2at6native12_GLOBAL__N_18offset_tEEE10hipError_tPvRmT1_PNSt15iterator_traitsISY_E10value_typeET2_T3_PNSZ_IS14_E10value_typeET4_jRbjT5_S1A_jjP12ihipStream_tbEUljE_EEESV_SW_SX_S14_S18_S1A_T6_T7_T9_mT8_S1C_bDpT10_ENKUlT_T0_E_clISt17integral_constantIbLb1EES1P_EEDaS1K_S1L_EUlS1K_E_NS1_11comp_targetILNS1_3genE4ELNS1_11target_archE910ELNS1_3gpuE8ELNS1_3repE0EEENS1_30default_config_static_selectorELNS0_4arch9wavefront6targetE0EEEvSY_.has_indirect_call, 0
	.section	.AMDGPU.csdata,"",@progbits
; Kernel info:
; codeLenInByte = 0
; TotalNumSgprs: 0
; NumVgprs: 0
; ScratchSize: 0
; MemoryBound: 0
; FloatMode: 240
; IeeeMode: 1
; LDSByteSize: 0 bytes/workgroup (compile time only)
; SGPRBlocks: 0
; VGPRBlocks: 0
; NumSGPRsForWavesPerEU: 1
; NumVGPRsForWavesPerEU: 1
; Occupancy: 16
; WaveLimiterHint : 0
; COMPUTE_PGM_RSRC2:SCRATCH_EN: 0
; COMPUTE_PGM_RSRC2:USER_SGPR: 6
; COMPUTE_PGM_RSRC2:TRAP_HANDLER: 0
; COMPUTE_PGM_RSRC2:TGID_X_EN: 1
; COMPUTE_PGM_RSRC2:TGID_Y_EN: 0
; COMPUTE_PGM_RSRC2:TGID_Z_EN: 0
; COMPUTE_PGM_RSRC2:TIDIG_COMP_CNT: 0
	.section	.text._ZN7rocprim17ROCPRIM_400000_NS6detail17trampoline_kernelINS0_13select_configILj256ELj13ELNS0_17block_load_methodE3ELS4_3ELS4_3ELNS0_20block_scan_algorithmE0ELj4294967295EEENS1_25partition_config_selectorILNS1_17partition_subalgoE3EjNS0_10empty_typeEbEEZZNS1_14partition_implILS8_3ELb0ES6_jNS0_17counting_iteratorIjlEEPS9_SE_NS0_5tupleIJPjSE_EEENSF_IJSE_SE_EEES9_SG_JZNS1_25segmented_radix_sort_implINS0_14default_configELb0EPKsPsPKlPlN2at6native12_GLOBAL__N_18offset_tEEE10hipError_tPvRmT1_PNSt15iterator_traitsISY_E10value_typeET2_T3_PNSZ_IS14_E10value_typeET4_jRbjT5_S1A_jjP12ihipStream_tbEUljE_EEESV_SW_SX_S14_S18_S1A_T6_T7_T9_mT8_S1C_bDpT10_ENKUlT_T0_E_clISt17integral_constantIbLb1EES1P_EEDaS1K_S1L_EUlS1K_E_NS1_11comp_targetILNS1_3genE3ELNS1_11target_archE908ELNS1_3gpuE7ELNS1_3repE0EEENS1_30default_config_static_selectorELNS0_4arch9wavefront6targetE0EEEvSY_,"axG",@progbits,_ZN7rocprim17ROCPRIM_400000_NS6detail17trampoline_kernelINS0_13select_configILj256ELj13ELNS0_17block_load_methodE3ELS4_3ELS4_3ELNS0_20block_scan_algorithmE0ELj4294967295EEENS1_25partition_config_selectorILNS1_17partition_subalgoE3EjNS0_10empty_typeEbEEZZNS1_14partition_implILS8_3ELb0ES6_jNS0_17counting_iteratorIjlEEPS9_SE_NS0_5tupleIJPjSE_EEENSF_IJSE_SE_EEES9_SG_JZNS1_25segmented_radix_sort_implINS0_14default_configELb0EPKsPsPKlPlN2at6native12_GLOBAL__N_18offset_tEEE10hipError_tPvRmT1_PNSt15iterator_traitsISY_E10value_typeET2_T3_PNSZ_IS14_E10value_typeET4_jRbjT5_S1A_jjP12ihipStream_tbEUljE_EEESV_SW_SX_S14_S18_S1A_T6_T7_T9_mT8_S1C_bDpT10_ENKUlT_T0_E_clISt17integral_constantIbLb1EES1P_EEDaS1K_S1L_EUlS1K_E_NS1_11comp_targetILNS1_3genE3ELNS1_11target_archE908ELNS1_3gpuE7ELNS1_3repE0EEENS1_30default_config_static_selectorELNS0_4arch9wavefront6targetE0EEEvSY_,comdat
	.globl	_ZN7rocprim17ROCPRIM_400000_NS6detail17trampoline_kernelINS0_13select_configILj256ELj13ELNS0_17block_load_methodE3ELS4_3ELS4_3ELNS0_20block_scan_algorithmE0ELj4294967295EEENS1_25partition_config_selectorILNS1_17partition_subalgoE3EjNS0_10empty_typeEbEEZZNS1_14partition_implILS8_3ELb0ES6_jNS0_17counting_iteratorIjlEEPS9_SE_NS0_5tupleIJPjSE_EEENSF_IJSE_SE_EEES9_SG_JZNS1_25segmented_radix_sort_implINS0_14default_configELb0EPKsPsPKlPlN2at6native12_GLOBAL__N_18offset_tEEE10hipError_tPvRmT1_PNSt15iterator_traitsISY_E10value_typeET2_T3_PNSZ_IS14_E10value_typeET4_jRbjT5_S1A_jjP12ihipStream_tbEUljE_EEESV_SW_SX_S14_S18_S1A_T6_T7_T9_mT8_S1C_bDpT10_ENKUlT_T0_E_clISt17integral_constantIbLb1EES1P_EEDaS1K_S1L_EUlS1K_E_NS1_11comp_targetILNS1_3genE3ELNS1_11target_archE908ELNS1_3gpuE7ELNS1_3repE0EEENS1_30default_config_static_selectorELNS0_4arch9wavefront6targetE0EEEvSY_ ; -- Begin function _ZN7rocprim17ROCPRIM_400000_NS6detail17trampoline_kernelINS0_13select_configILj256ELj13ELNS0_17block_load_methodE3ELS4_3ELS4_3ELNS0_20block_scan_algorithmE0ELj4294967295EEENS1_25partition_config_selectorILNS1_17partition_subalgoE3EjNS0_10empty_typeEbEEZZNS1_14partition_implILS8_3ELb0ES6_jNS0_17counting_iteratorIjlEEPS9_SE_NS0_5tupleIJPjSE_EEENSF_IJSE_SE_EEES9_SG_JZNS1_25segmented_radix_sort_implINS0_14default_configELb0EPKsPsPKlPlN2at6native12_GLOBAL__N_18offset_tEEE10hipError_tPvRmT1_PNSt15iterator_traitsISY_E10value_typeET2_T3_PNSZ_IS14_E10value_typeET4_jRbjT5_S1A_jjP12ihipStream_tbEUljE_EEESV_SW_SX_S14_S18_S1A_T6_T7_T9_mT8_S1C_bDpT10_ENKUlT_T0_E_clISt17integral_constantIbLb1EES1P_EEDaS1K_S1L_EUlS1K_E_NS1_11comp_targetILNS1_3genE3ELNS1_11target_archE908ELNS1_3gpuE7ELNS1_3repE0EEENS1_30default_config_static_selectorELNS0_4arch9wavefront6targetE0EEEvSY_
	.p2align	8
	.type	_ZN7rocprim17ROCPRIM_400000_NS6detail17trampoline_kernelINS0_13select_configILj256ELj13ELNS0_17block_load_methodE3ELS4_3ELS4_3ELNS0_20block_scan_algorithmE0ELj4294967295EEENS1_25partition_config_selectorILNS1_17partition_subalgoE3EjNS0_10empty_typeEbEEZZNS1_14partition_implILS8_3ELb0ES6_jNS0_17counting_iteratorIjlEEPS9_SE_NS0_5tupleIJPjSE_EEENSF_IJSE_SE_EEES9_SG_JZNS1_25segmented_radix_sort_implINS0_14default_configELb0EPKsPsPKlPlN2at6native12_GLOBAL__N_18offset_tEEE10hipError_tPvRmT1_PNSt15iterator_traitsISY_E10value_typeET2_T3_PNSZ_IS14_E10value_typeET4_jRbjT5_S1A_jjP12ihipStream_tbEUljE_EEESV_SW_SX_S14_S18_S1A_T6_T7_T9_mT8_S1C_bDpT10_ENKUlT_T0_E_clISt17integral_constantIbLb1EES1P_EEDaS1K_S1L_EUlS1K_E_NS1_11comp_targetILNS1_3genE3ELNS1_11target_archE908ELNS1_3gpuE7ELNS1_3repE0EEENS1_30default_config_static_selectorELNS0_4arch9wavefront6targetE0EEEvSY_,@function
_ZN7rocprim17ROCPRIM_400000_NS6detail17trampoline_kernelINS0_13select_configILj256ELj13ELNS0_17block_load_methodE3ELS4_3ELS4_3ELNS0_20block_scan_algorithmE0ELj4294967295EEENS1_25partition_config_selectorILNS1_17partition_subalgoE3EjNS0_10empty_typeEbEEZZNS1_14partition_implILS8_3ELb0ES6_jNS0_17counting_iteratorIjlEEPS9_SE_NS0_5tupleIJPjSE_EEENSF_IJSE_SE_EEES9_SG_JZNS1_25segmented_radix_sort_implINS0_14default_configELb0EPKsPsPKlPlN2at6native12_GLOBAL__N_18offset_tEEE10hipError_tPvRmT1_PNSt15iterator_traitsISY_E10value_typeET2_T3_PNSZ_IS14_E10value_typeET4_jRbjT5_S1A_jjP12ihipStream_tbEUljE_EEESV_SW_SX_S14_S18_S1A_T6_T7_T9_mT8_S1C_bDpT10_ENKUlT_T0_E_clISt17integral_constantIbLb1EES1P_EEDaS1K_S1L_EUlS1K_E_NS1_11comp_targetILNS1_3genE3ELNS1_11target_archE908ELNS1_3gpuE7ELNS1_3repE0EEENS1_30default_config_static_selectorELNS0_4arch9wavefront6targetE0EEEvSY_: ; @_ZN7rocprim17ROCPRIM_400000_NS6detail17trampoline_kernelINS0_13select_configILj256ELj13ELNS0_17block_load_methodE3ELS4_3ELS4_3ELNS0_20block_scan_algorithmE0ELj4294967295EEENS1_25partition_config_selectorILNS1_17partition_subalgoE3EjNS0_10empty_typeEbEEZZNS1_14partition_implILS8_3ELb0ES6_jNS0_17counting_iteratorIjlEEPS9_SE_NS0_5tupleIJPjSE_EEENSF_IJSE_SE_EEES9_SG_JZNS1_25segmented_radix_sort_implINS0_14default_configELb0EPKsPsPKlPlN2at6native12_GLOBAL__N_18offset_tEEE10hipError_tPvRmT1_PNSt15iterator_traitsISY_E10value_typeET2_T3_PNSZ_IS14_E10value_typeET4_jRbjT5_S1A_jjP12ihipStream_tbEUljE_EEESV_SW_SX_S14_S18_S1A_T6_T7_T9_mT8_S1C_bDpT10_ENKUlT_T0_E_clISt17integral_constantIbLb1EES1P_EEDaS1K_S1L_EUlS1K_E_NS1_11comp_targetILNS1_3genE3ELNS1_11target_archE908ELNS1_3gpuE7ELNS1_3repE0EEENS1_30default_config_static_selectorELNS0_4arch9wavefront6targetE0EEEvSY_
; %bb.0:
	.section	.rodata,"a",@progbits
	.p2align	6, 0x0
	.amdhsa_kernel _ZN7rocprim17ROCPRIM_400000_NS6detail17trampoline_kernelINS0_13select_configILj256ELj13ELNS0_17block_load_methodE3ELS4_3ELS4_3ELNS0_20block_scan_algorithmE0ELj4294967295EEENS1_25partition_config_selectorILNS1_17partition_subalgoE3EjNS0_10empty_typeEbEEZZNS1_14partition_implILS8_3ELb0ES6_jNS0_17counting_iteratorIjlEEPS9_SE_NS0_5tupleIJPjSE_EEENSF_IJSE_SE_EEES9_SG_JZNS1_25segmented_radix_sort_implINS0_14default_configELb0EPKsPsPKlPlN2at6native12_GLOBAL__N_18offset_tEEE10hipError_tPvRmT1_PNSt15iterator_traitsISY_E10value_typeET2_T3_PNSZ_IS14_E10value_typeET4_jRbjT5_S1A_jjP12ihipStream_tbEUljE_EEESV_SW_SX_S14_S18_S1A_T6_T7_T9_mT8_S1C_bDpT10_ENKUlT_T0_E_clISt17integral_constantIbLb1EES1P_EEDaS1K_S1L_EUlS1K_E_NS1_11comp_targetILNS1_3genE3ELNS1_11target_archE908ELNS1_3gpuE7ELNS1_3repE0EEENS1_30default_config_static_selectorELNS0_4arch9wavefront6targetE0EEEvSY_
		.amdhsa_group_segment_fixed_size 0
		.amdhsa_private_segment_fixed_size 0
		.amdhsa_kernarg_size 152
		.amdhsa_user_sgpr_count 6
		.amdhsa_user_sgpr_private_segment_buffer 1
		.amdhsa_user_sgpr_dispatch_ptr 0
		.amdhsa_user_sgpr_queue_ptr 0
		.amdhsa_user_sgpr_kernarg_segment_ptr 1
		.amdhsa_user_sgpr_dispatch_id 0
		.amdhsa_user_sgpr_flat_scratch_init 0
		.amdhsa_user_sgpr_private_segment_size 0
		.amdhsa_wavefront_size32 1
		.amdhsa_uses_dynamic_stack 0
		.amdhsa_system_sgpr_private_segment_wavefront_offset 0
		.amdhsa_system_sgpr_workgroup_id_x 1
		.amdhsa_system_sgpr_workgroup_id_y 0
		.amdhsa_system_sgpr_workgroup_id_z 0
		.amdhsa_system_sgpr_workgroup_info 0
		.amdhsa_system_vgpr_workitem_id 0
		.amdhsa_next_free_vgpr 1
		.amdhsa_next_free_sgpr 1
		.amdhsa_reserve_vcc 0
		.amdhsa_reserve_flat_scratch 0
		.amdhsa_float_round_mode_32 0
		.amdhsa_float_round_mode_16_64 0
		.amdhsa_float_denorm_mode_32 3
		.amdhsa_float_denorm_mode_16_64 3
		.amdhsa_dx10_clamp 1
		.amdhsa_ieee_mode 1
		.amdhsa_fp16_overflow 0
		.amdhsa_workgroup_processor_mode 1
		.amdhsa_memory_ordered 1
		.amdhsa_forward_progress 1
		.amdhsa_shared_vgpr_count 0
		.amdhsa_exception_fp_ieee_invalid_op 0
		.amdhsa_exception_fp_denorm_src 0
		.amdhsa_exception_fp_ieee_div_zero 0
		.amdhsa_exception_fp_ieee_overflow 0
		.amdhsa_exception_fp_ieee_underflow 0
		.amdhsa_exception_fp_ieee_inexact 0
		.amdhsa_exception_int_div_zero 0
	.end_amdhsa_kernel
	.section	.text._ZN7rocprim17ROCPRIM_400000_NS6detail17trampoline_kernelINS0_13select_configILj256ELj13ELNS0_17block_load_methodE3ELS4_3ELS4_3ELNS0_20block_scan_algorithmE0ELj4294967295EEENS1_25partition_config_selectorILNS1_17partition_subalgoE3EjNS0_10empty_typeEbEEZZNS1_14partition_implILS8_3ELb0ES6_jNS0_17counting_iteratorIjlEEPS9_SE_NS0_5tupleIJPjSE_EEENSF_IJSE_SE_EEES9_SG_JZNS1_25segmented_radix_sort_implINS0_14default_configELb0EPKsPsPKlPlN2at6native12_GLOBAL__N_18offset_tEEE10hipError_tPvRmT1_PNSt15iterator_traitsISY_E10value_typeET2_T3_PNSZ_IS14_E10value_typeET4_jRbjT5_S1A_jjP12ihipStream_tbEUljE_EEESV_SW_SX_S14_S18_S1A_T6_T7_T9_mT8_S1C_bDpT10_ENKUlT_T0_E_clISt17integral_constantIbLb1EES1P_EEDaS1K_S1L_EUlS1K_E_NS1_11comp_targetILNS1_3genE3ELNS1_11target_archE908ELNS1_3gpuE7ELNS1_3repE0EEENS1_30default_config_static_selectorELNS0_4arch9wavefront6targetE0EEEvSY_,"axG",@progbits,_ZN7rocprim17ROCPRIM_400000_NS6detail17trampoline_kernelINS0_13select_configILj256ELj13ELNS0_17block_load_methodE3ELS4_3ELS4_3ELNS0_20block_scan_algorithmE0ELj4294967295EEENS1_25partition_config_selectorILNS1_17partition_subalgoE3EjNS0_10empty_typeEbEEZZNS1_14partition_implILS8_3ELb0ES6_jNS0_17counting_iteratorIjlEEPS9_SE_NS0_5tupleIJPjSE_EEENSF_IJSE_SE_EEES9_SG_JZNS1_25segmented_radix_sort_implINS0_14default_configELb0EPKsPsPKlPlN2at6native12_GLOBAL__N_18offset_tEEE10hipError_tPvRmT1_PNSt15iterator_traitsISY_E10value_typeET2_T3_PNSZ_IS14_E10value_typeET4_jRbjT5_S1A_jjP12ihipStream_tbEUljE_EEESV_SW_SX_S14_S18_S1A_T6_T7_T9_mT8_S1C_bDpT10_ENKUlT_T0_E_clISt17integral_constantIbLb1EES1P_EEDaS1K_S1L_EUlS1K_E_NS1_11comp_targetILNS1_3genE3ELNS1_11target_archE908ELNS1_3gpuE7ELNS1_3repE0EEENS1_30default_config_static_selectorELNS0_4arch9wavefront6targetE0EEEvSY_,comdat
.Lfunc_end986:
	.size	_ZN7rocprim17ROCPRIM_400000_NS6detail17trampoline_kernelINS0_13select_configILj256ELj13ELNS0_17block_load_methodE3ELS4_3ELS4_3ELNS0_20block_scan_algorithmE0ELj4294967295EEENS1_25partition_config_selectorILNS1_17partition_subalgoE3EjNS0_10empty_typeEbEEZZNS1_14partition_implILS8_3ELb0ES6_jNS0_17counting_iteratorIjlEEPS9_SE_NS0_5tupleIJPjSE_EEENSF_IJSE_SE_EEES9_SG_JZNS1_25segmented_radix_sort_implINS0_14default_configELb0EPKsPsPKlPlN2at6native12_GLOBAL__N_18offset_tEEE10hipError_tPvRmT1_PNSt15iterator_traitsISY_E10value_typeET2_T3_PNSZ_IS14_E10value_typeET4_jRbjT5_S1A_jjP12ihipStream_tbEUljE_EEESV_SW_SX_S14_S18_S1A_T6_T7_T9_mT8_S1C_bDpT10_ENKUlT_T0_E_clISt17integral_constantIbLb1EES1P_EEDaS1K_S1L_EUlS1K_E_NS1_11comp_targetILNS1_3genE3ELNS1_11target_archE908ELNS1_3gpuE7ELNS1_3repE0EEENS1_30default_config_static_selectorELNS0_4arch9wavefront6targetE0EEEvSY_, .Lfunc_end986-_ZN7rocprim17ROCPRIM_400000_NS6detail17trampoline_kernelINS0_13select_configILj256ELj13ELNS0_17block_load_methodE3ELS4_3ELS4_3ELNS0_20block_scan_algorithmE0ELj4294967295EEENS1_25partition_config_selectorILNS1_17partition_subalgoE3EjNS0_10empty_typeEbEEZZNS1_14partition_implILS8_3ELb0ES6_jNS0_17counting_iteratorIjlEEPS9_SE_NS0_5tupleIJPjSE_EEENSF_IJSE_SE_EEES9_SG_JZNS1_25segmented_radix_sort_implINS0_14default_configELb0EPKsPsPKlPlN2at6native12_GLOBAL__N_18offset_tEEE10hipError_tPvRmT1_PNSt15iterator_traitsISY_E10value_typeET2_T3_PNSZ_IS14_E10value_typeET4_jRbjT5_S1A_jjP12ihipStream_tbEUljE_EEESV_SW_SX_S14_S18_S1A_T6_T7_T9_mT8_S1C_bDpT10_ENKUlT_T0_E_clISt17integral_constantIbLb1EES1P_EEDaS1K_S1L_EUlS1K_E_NS1_11comp_targetILNS1_3genE3ELNS1_11target_archE908ELNS1_3gpuE7ELNS1_3repE0EEENS1_30default_config_static_selectorELNS0_4arch9wavefront6targetE0EEEvSY_
                                        ; -- End function
	.set _ZN7rocprim17ROCPRIM_400000_NS6detail17trampoline_kernelINS0_13select_configILj256ELj13ELNS0_17block_load_methodE3ELS4_3ELS4_3ELNS0_20block_scan_algorithmE0ELj4294967295EEENS1_25partition_config_selectorILNS1_17partition_subalgoE3EjNS0_10empty_typeEbEEZZNS1_14partition_implILS8_3ELb0ES6_jNS0_17counting_iteratorIjlEEPS9_SE_NS0_5tupleIJPjSE_EEENSF_IJSE_SE_EEES9_SG_JZNS1_25segmented_radix_sort_implINS0_14default_configELb0EPKsPsPKlPlN2at6native12_GLOBAL__N_18offset_tEEE10hipError_tPvRmT1_PNSt15iterator_traitsISY_E10value_typeET2_T3_PNSZ_IS14_E10value_typeET4_jRbjT5_S1A_jjP12ihipStream_tbEUljE_EEESV_SW_SX_S14_S18_S1A_T6_T7_T9_mT8_S1C_bDpT10_ENKUlT_T0_E_clISt17integral_constantIbLb1EES1P_EEDaS1K_S1L_EUlS1K_E_NS1_11comp_targetILNS1_3genE3ELNS1_11target_archE908ELNS1_3gpuE7ELNS1_3repE0EEENS1_30default_config_static_selectorELNS0_4arch9wavefront6targetE0EEEvSY_.num_vgpr, 0
	.set _ZN7rocprim17ROCPRIM_400000_NS6detail17trampoline_kernelINS0_13select_configILj256ELj13ELNS0_17block_load_methodE3ELS4_3ELS4_3ELNS0_20block_scan_algorithmE0ELj4294967295EEENS1_25partition_config_selectorILNS1_17partition_subalgoE3EjNS0_10empty_typeEbEEZZNS1_14partition_implILS8_3ELb0ES6_jNS0_17counting_iteratorIjlEEPS9_SE_NS0_5tupleIJPjSE_EEENSF_IJSE_SE_EEES9_SG_JZNS1_25segmented_radix_sort_implINS0_14default_configELb0EPKsPsPKlPlN2at6native12_GLOBAL__N_18offset_tEEE10hipError_tPvRmT1_PNSt15iterator_traitsISY_E10value_typeET2_T3_PNSZ_IS14_E10value_typeET4_jRbjT5_S1A_jjP12ihipStream_tbEUljE_EEESV_SW_SX_S14_S18_S1A_T6_T7_T9_mT8_S1C_bDpT10_ENKUlT_T0_E_clISt17integral_constantIbLb1EES1P_EEDaS1K_S1L_EUlS1K_E_NS1_11comp_targetILNS1_3genE3ELNS1_11target_archE908ELNS1_3gpuE7ELNS1_3repE0EEENS1_30default_config_static_selectorELNS0_4arch9wavefront6targetE0EEEvSY_.num_agpr, 0
	.set _ZN7rocprim17ROCPRIM_400000_NS6detail17trampoline_kernelINS0_13select_configILj256ELj13ELNS0_17block_load_methodE3ELS4_3ELS4_3ELNS0_20block_scan_algorithmE0ELj4294967295EEENS1_25partition_config_selectorILNS1_17partition_subalgoE3EjNS0_10empty_typeEbEEZZNS1_14partition_implILS8_3ELb0ES6_jNS0_17counting_iteratorIjlEEPS9_SE_NS0_5tupleIJPjSE_EEENSF_IJSE_SE_EEES9_SG_JZNS1_25segmented_radix_sort_implINS0_14default_configELb0EPKsPsPKlPlN2at6native12_GLOBAL__N_18offset_tEEE10hipError_tPvRmT1_PNSt15iterator_traitsISY_E10value_typeET2_T3_PNSZ_IS14_E10value_typeET4_jRbjT5_S1A_jjP12ihipStream_tbEUljE_EEESV_SW_SX_S14_S18_S1A_T6_T7_T9_mT8_S1C_bDpT10_ENKUlT_T0_E_clISt17integral_constantIbLb1EES1P_EEDaS1K_S1L_EUlS1K_E_NS1_11comp_targetILNS1_3genE3ELNS1_11target_archE908ELNS1_3gpuE7ELNS1_3repE0EEENS1_30default_config_static_selectorELNS0_4arch9wavefront6targetE0EEEvSY_.numbered_sgpr, 0
	.set _ZN7rocprim17ROCPRIM_400000_NS6detail17trampoline_kernelINS0_13select_configILj256ELj13ELNS0_17block_load_methodE3ELS4_3ELS4_3ELNS0_20block_scan_algorithmE0ELj4294967295EEENS1_25partition_config_selectorILNS1_17partition_subalgoE3EjNS0_10empty_typeEbEEZZNS1_14partition_implILS8_3ELb0ES6_jNS0_17counting_iteratorIjlEEPS9_SE_NS0_5tupleIJPjSE_EEENSF_IJSE_SE_EEES9_SG_JZNS1_25segmented_radix_sort_implINS0_14default_configELb0EPKsPsPKlPlN2at6native12_GLOBAL__N_18offset_tEEE10hipError_tPvRmT1_PNSt15iterator_traitsISY_E10value_typeET2_T3_PNSZ_IS14_E10value_typeET4_jRbjT5_S1A_jjP12ihipStream_tbEUljE_EEESV_SW_SX_S14_S18_S1A_T6_T7_T9_mT8_S1C_bDpT10_ENKUlT_T0_E_clISt17integral_constantIbLb1EES1P_EEDaS1K_S1L_EUlS1K_E_NS1_11comp_targetILNS1_3genE3ELNS1_11target_archE908ELNS1_3gpuE7ELNS1_3repE0EEENS1_30default_config_static_selectorELNS0_4arch9wavefront6targetE0EEEvSY_.num_named_barrier, 0
	.set _ZN7rocprim17ROCPRIM_400000_NS6detail17trampoline_kernelINS0_13select_configILj256ELj13ELNS0_17block_load_methodE3ELS4_3ELS4_3ELNS0_20block_scan_algorithmE0ELj4294967295EEENS1_25partition_config_selectorILNS1_17partition_subalgoE3EjNS0_10empty_typeEbEEZZNS1_14partition_implILS8_3ELb0ES6_jNS0_17counting_iteratorIjlEEPS9_SE_NS0_5tupleIJPjSE_EEENSF_IJSE_SE_EEES9_SG_JZNS1_25segmented_radix_sort_implINS0_14default_configELb0EPKsPsPKlPlN2at6native12_GLOBAL__N_18offset_tEEE10hipError_tPvRmT1_PNSt15iterator_traitsISY_E10value_typeET2_T3_PNSZ_IS14_E10value_typeET4_jRbjT5_S1A_jjP12ihipStream_tbEUljE_EEESV_SW_SX_S14_S18_S1A_T6_T7_T9_mT8_S1C_bDpT10_ENKUlT_T0_E_clISt17integral_constantIbLb1EES1P_EEDaS1K_S1L_EUlS1K_E_NS1_11comp_targetILNS1_3genE3ELNS1_11target_archE908ELNS1_3gpuE7ELNS1_3repE0EEENS1_30default_config_static_selectorELNS0_4arch9wavefront6targetE0EEEvSY_.private_seg_size, 0
	.set _ZN7rocprim17ROCPRIM_400000_NS6detail17trampoline_kernelINS0_13select_configILj256ELj13ELNS0_17block_load_methodE3ELS4_3ELS4_3ELNS0_20block_scan_algorithmE0ELj4294967295EEENS1_25partition_config_selectorILNS1_17partition_subalgoE3EjNS0_10empty_typeEbEEZZNS1_14partition_implILS8_3ELb0ES6_jNS0_17counting_iteratorIjlEEPS9_SE_NS0_5tupleIJPjSE_EEENSF_IJSE_SE_EEES9_SG_JZNS1_25segmented_radix_sort_implINS0_14default_configELb0EPKsPsPKlPlN2at6native12_GLOBAL__N_18offset_tEEE10hipError_tPvRmT1_PNSt15iterator_traitsISY_E10value_typeET2_T3_PNSZ_IS14_E10value_typeET4_jRbjT5_S1A_jjP12ihipStream_tbEUljE_EEESV_SW_SX_S14_S18_S1A_T6_T7_T9_mT8_S1C_bDpT10_ENKUlT_T0_E_clISt17integral_constantIbLb1EES1P_EEDaS1K_S1L_EUlS1K_E_NS1_11comp_targetILNS1_3genE3ELNS1_11target_archE908ELNS1_3gpuE7ELNS1_3repE0EEENS1_30default_config_static_selectorELNS0_4arch9wavefront6targetE0EEEvSY_.uses_vcc, 0
	.set _ZN7rocprim17ROCPRIM_400000_NS6detail17trampoline_kernelINS0_13select_configILj256ELj13ELNS0_17block_load_methodE3ELS4_3ELS4_3ELNS0_20block_scan_algorithmE0ELj4294967295EEENS1_25partition_config_selectorILNS1_17partition_subalgoE3EjNS0_10empty_typeEbEEZZNS1_14partition_implILS8_3ELb0ES6_jNS0_17counting_iteratorIjlEEPS9_SE_NS0_5tupleIJPjSE_EEENSF_IJSE_SE_EEES9_SG_JZNS1_25segmented_radix_sort_implINS0_14default_configELb0EPKsPsPKlPlN2at6native12_GLOBAL__N_18offset_tEEE10hipError_tPvRmT1_PNSt15iterator_traitsISY_E10value_typeET2_T3_PNSZ_IS14_E10value_typeET4_jRbjT5_S1A_jjP12ihipStream_tbEUljE_EEESV_SW_SX_S14_S18_S1A_T6_T7_T9_mT8_S1C_bDpT10_ENKUlT_T0_E_clISt17integral_constantIbLb1EES1P_EEDaS1K_S1L_EUlS1K_E_NS1_11comp_targetILNS1_3genE3ELNS1_11target_archE908ELNS1_3gpuE7ELNS1_3repE0EEENS1_30default_config_static_selectorELNS0_4arch9wavefront6targetE0EEEvSY_.uses_flat_scratch, 0
	.set _ZN7rocprim17ROCPRIM_400000_NS6detail17trampoline_kernelINS0_13select_configILj256ELj13ELNS0_17block_load_methodE3ELS4_3ELS4_3ELNS0_20block_scan_algorithmE0ELj4294967295EEENS1_25partition_config_selectorILNS1_17partition_subalgoE3EjNS0_10empty_typeEbEEZZNS1_14partition_implILS8_3ELb0ES6_jNS0_17counting_iteratorIjlEEPS9_SE_NS0_5tupleIJPjSE_EEENSF_IJSE_SE_EEES9_SG_JZNS1_25segmented_radix_sort_implINS0_14default_configELb0EPKsPsPKlPlN2at6native12_GLOBAL__N_18offset_tEEE10hipError_tPvRmT1_PNSt15iterator_traitsISY_E10value_typeET2_T3_PNSZ_IS14_E10value_typeET4_jRbjT5_S1A_jjP12ihipStream_tbEUljE_EEESV_SW_SX_S14_S18_S1A_T6_T7_T9_mT8_S1C_bDpT10_ENKUlT_T0_E_clISt17integral_constantIbLb1EES1P_EEDaS1K_S1L_EUlS1K_E_NS1_11comp_targetILNS1_3genE3ELNS1_11target_archE908ELNS1_3gpuE7ELNS1_3repE0EEENS1_30default_config_static_selectorELNS0_4arch9wavefront6targetE0EEEvSY_.has_dyn_sized_stack, 0
	.set _ZN7rocprim17ROCPRIM_400000_NS6detail17trampoline_kernelINS0_13select_configILj256ELj13ELNS0_17block_load_methodE3ELS4_3ELS4_3ELNS0_20block_scan_algorithmE0ELj4294967295EEENS1_25partition_config_selectorILNS1_17partition_subalgoE3EjNS0_10empty_typeEbEEZZNS1_14partition_implILS8_3ELb0ES6_jNS0_17counting_iteratorIjlEEPS9_SE_NS0_5tupleIJPjSE_EEENSF_IJSE_SE_EEES9_SG_JZNS1_25segmented_radix_sort_implINS0_14default_configELb0EPKsPsPKlPlN2at6native12_GLOBAL__N_18offset_tEEE10hipError_tPvRmT1_PNSt15iterator_traitsISY_E10value_typeET2_T3_PNSZ_IS14_E10value_typeET4_jRbjT5_S1A_jjP12ihipStream_tbEUljE_EEESV_SW_SX_S14_S18_S1A_T6_T7_T9_mT8_S1C_bDpT10_ENKUlT_T0_E_clISt17integral_constantIbLb1EES1P_EEDaS1K_S1L_EUlS1K_E_NS1_11comp_targetILNS1_3genE3ELNS1_11target_archE908ELNS1_3gpuE7ELNS1_3repE0EEENS1_30default_config_static_selectorELNS0_4arch9wavefront6targetE0EEEvSY_.has_recursion, 0
	.set _ZN7rocprim17ROCPRIM_400000_NS6detail17trampoline_kernelINS0_13select_configILj256ELj13ELNS0_17block_load_methodE3ELS4_3ELS4_3ELNS0_20block_scan_algorithmE0ELj4294967295EEENS1_25partition_config_selectorILNS1_17partition_subalgoE3EjNS0_10empty_typeEbEEZZNS1_14partition_implILS8_3ELb0ES6_jNS0_17counting_iteratorIjlEEPS9_SE_NS0_5tupleIJPjSE_EEENSF_IJSE_SE_EEES9_SG_JZNS1_25segmented_radix_sort_implINS0_14default_configELb0EPKsPsPKlPlN2at6native12_GLOBAL__N_18offset_tEEE10hipError_tPvRmT1_PNSt15iterator_traitsISY_E10value_typeET2_T3_PNSZ_IS14_E10value_typeET4_jRbjT5_S1A_jjP12ihipStream_tbEUljE_EEESV_SW_SX_S14_S18_S1A_T6_T7_T9_mT8_S1C_bDpT10_ENKUlT_T0_E_clISt17integral_constantIbLb1EES1P_EEDaS1K_S1L_EUlS1K_E_NS1_11comp_targetILNS1_3genE3ELNS1_11target_archE908ELNS1_3gpuE7ELNS1_3repE0EEENS1_30default_config_static_selectorELNS0_4arch9wavefront6targetE0EEEvSY_.has_indirect_call, 0
	.section	.AMDGPU.csdata,"",@progbits
; Kernel info:
; codeLenInByte = 0
; TotalNumSgprs: 0
; NumVgprs: 0
; ScratchSize: 0
; MemoryBound: 0
; FloatMode: 240
; IeeeMode: 1
; LDSByteSize: 0 bytes/workgroup (compile time only)
; SGPRBlocks: 0
; VGPRBlocks: 0
; NumSGPRsForWavesPerEU: 1
; NumVGPRsForWavesPerEU: 1
; Occupancy: 16
; WaveLimiterHint : 0
; COMPUTE_PGM_RSRC2:SCRATCH_EN: 0
; COMPUTE_PGM_RSRC2:USER_SGPR: 6
; COMPUTE_PGM_RSRC2:TRAP_HANDLER: 0
; COMPUTE_PGM_RSRC2:TGID_X_EN: 1
; COMPUTE_PGM_RSRC2:TGID_Y_EN: 0
; COMPUTE_PGM_RSRC2:TGID_Z_EN: 0
; COMPUTE_PGM_RSRC2:TIDIG_COMP_CNT: 0
	.section	.text._ZN7rocprim17ROCPRIM_400000_NS6detail17trampoline_kernelINS0_13select_configILj256ELj13ELNS0_17block_load_methodE3ELS4_3ELS4_3ELNS0_20block_scan_algorithmE0ELj4294967295EEENS1_25partition_config_selectorILNS1_17partition_subalgoE3EjNS0_10empty_typeEbEEZZNS1_14partition_implILS8_3ELb0ES6_jNS0_17counting_iteratorIjlEEPS9_SE_NS0_5tupleIJPjSE_EEENSF_IJSE_SE_EEES9_SG_JZNS1_25segmented_radix_sort_implINS0_14default_configELb0EPKsPsPKlPlN2at6native12_GLOBAL__N_18offset_tEEE10hipError_tPvRmT1_PNSt15iterator_traitsISY_E10value_typeET2_T3_PNSZ_IS14_E10value_typeET4_jRbjT5_S1A_jjP12ihipStream_tbEUljE_EEESV_SW_SX_S14_S18_S1A_T6_T7_T9_mT8_S1C_bDpT10_ENKUlT_T0_E_clISt17integral_constantIbLb1EES1P_EEDaS1K_S1L_EUlS1K_E_NS1_11comp_targetILNS1_3genE2ELNS1_11target_archE906ELNS1_3gpuE6ELNS1_3repE0EEENS1_30default_config_static_selectorELNS0_4arch9wavefront6targetE0EEEvSY_,"axG",@progbits,_ZN7rocprim17ROCPRIM_400000_NS6detail17trampoline_kernelINS0_13select_configILj256ELj13ELNS0_17block_load_methodE3ELS4_3ELS4_3ELNS0_20block_scan_algorithmE0ELj4294967295EEENS1_25partition_config_selectorILNS1_17partition_subalgoE3EjNS0_10empty_typeEbEEZZNS1_14partition_implILS8_3ELb0ES6_jNS0_17counting_iteratorIjlEEPS9_SE_NS0_5tupleIJPjSE_EEENSF_IJSE_SE_EEES9_SG_JZNS1_25segmented_radix_sort_implINS0_14default_configELb0EPKsPsPKlPlN2at6native12_GLOBAL__N_18offset_tEEE10hipError_tPvRmT1_PNSt15iterator_traitsISY_E10value_typeET2_T3_PNSZ_IS14_E10value_typeET4_jRbjT5_S1A_jjP12ihipStream_tbEUljE_EEESV_SW_SX_S14_S18_S1A_T6_T7_T9_mT8_S1C_bDpT10_ENKUlT_T0_E_clISt17integral_constantIbLb1EES1P_EEDaS1K_S1L_EUlS1K_E_NS1_11comp_targetILNS1_3genE2ELNS1_11target_archE906ELNS1_3gpuE6ELNS1_3repE0EEENS1_30default_config_static_selectorELNS0_4arch9wavefront6targetE0EEEvSY_,comdat
	.globl	_ZN7rocprim17ROCPRIM_400000_NS6detail17trampoline_kernelINS0_13select_configILj256ELj13ELNS0_17block_load_methodE3ELS4_3ELS4_3ELNS0_20block_scan_algorithmE0ELj4294967295EEENS1_25partition_config_selectorILNS1_17partition_subalgoE3EjNS0_10empty_typeEbEEZZNS1_14partition_implILS8_3ELb0ES6_jNS0_17counting_iteratorIjlEEPS9_SE_NS0_5tupleIJPjSE_EEENSF_IJSE_SE_EEES9_SG_JZNS1_25segmented_radix_sort_implINS0_14default_configELb0EPKsPsPKlPlN2at6native12_GLOBAL__N_18offset_tEEE10hipError_tPvRmT1_PNSt15iterator_traitsISY_E10value_typeET2_T3_PNSZ_IS14_E10value_typeET4_jRbjT5_S1A_jjP12ihipStream_tbEUljE_EEESV_SW_SX_S14_S18_S1A_T6_T7_T9_mT8_S1C_bDpT10_ENKUlT_T0_E_clISt17integral_constantIbLb1EES1P_EEDaS1K_S1L_EUlS1K_E_NS1_11comp_targetILNS1_3genE2ELNS1_11target_archE906ELNS1_3gpuE6ELNS1_3repE0EEENS1_30default_config_static_selectorELNS0_4arch9wavefront6targetE0EEEvSY_ ; -- Begin function _ZN7rocprim17ROCPRIM_400000_NS6detail17trampoline_kernelINS0_13select_configILj256ELj13ELNS0_17block_load_methodE3ELS4_3ELS4_3ELNS0_20block_scan_algorithmE0ELj4294967295EEENS1_25partition_config_selectorILNS1_17partition_subalgoE3EjNS0_10empty_typeEbEEZZNS1_14partition_implILS8_3ELb0ES6_jNS0_17counting_iteratorIjlEEPS9_SE_NS0_5tupleIJPjSE_EEENSF_IJSE_SE_EEES9_SG_JZNS1_25segmented_radix_sort_implINS0_14default_configELb0EPKsPsPKlPlN2at6native12_GLOBAL__N_18offset_tEEE10hipError_tPvRmT1_PNSt15iterator_traitsISY_E10value_typeET2_T3_PNSZ_IS14_E10value_typeET4_jRbjT5_S1A_jjP12ihipStream_tbEUljE_EEESV_SW_SX_S14_S18_S1A_T6_T7_T9_mT8_S1C_bDpT10_ENKUlT_T0_E_clISt17integral_constantIbLb1EES1P_EEDaS1K_S1L_EUlS1K_E_NS1_11comp_targetILNS1_3genE2ELNS1_11target_archE906ELNS1_3gpuE6ELNS1_3repE0EEENS1_30default_config_static_selectorELNS0_4arch9wavefront6targetE0EEEvSY_
	.p2align	8
	.type	_ZN7rocprim17ROCPRIM_400000_NS6detail17trampoline_kernelINS0_13select_configILj256ELj13ELNS0_17block_load_methodE3ELS4_3ELS4_3ELNS0_20block_scan_algorithmE0ELj4294967295EEENS1_25partition_config_selectorILNS1_17partition_subalgoE3EjNS0_10empty_typeEbEEZZNS1_14partition_implILS8_3ELb0ES6_jNS0_17counting_iteratorIjlEEPS9_SE_NS0_5tupleIJPjSE_EEENSF_IJSE_SE_EEES9_SG_JZNS1_25segmented_radix_sort_implINS0_14default_configELb0EPKsPsPKlPlN2at6native12_GLOBAL__N_18offset_tEEE10hipError_tPvRmT1_PNSt15iterator_traitsISY_E10value_typeET2_T3_PNSZ_IS14_E10value_typeET4_jRbjT5_S1A_jjP12ihipStream_tbEUljE_EEESV_SW_SX_S14_S18_S1A_T6_T7_T9_mT8_S1C_bDpT10_ENKUlT_T0_E_clISt17integral_constantIbLb1EES1P_EEDaS1K_S1L_EUlS1K_E_NS1_11comp_targetILNS1_3genE2ELNS1_11target_archE906ELNS1_3gpuE6ELNS1_3repE0EEENS1_30default_config_static_selectorELNS0_4arch9wavefront6targetE0EEEvSY_,@function
_ZN7rocprim17ROCPRIM_400000_NS6detail17trampoline_kernelINS0_13select_configILj256ELj13ELNS0_17block_load_methodE3ELS4_3ELS4_3ELNS0_20block_scan_algorithmE0ELj4294967295EEENS1_25partition_config_selectorILNS1_17partition_subalgoE3EjNS0_10empty_typeEbEEZZNS1_14partition_implILS8_3ELb0ES6_jNS0_17counting_iteratorIjlEEPS9_SE_NS0_5tupleIJPjSE_EEENSF_IJSE_SE_EEES9_SG_JZNS1_25segmented_radix_sort_implINS0_14default_configELb0EPKsPsPKlPlN2at6native12_GLOBAL__N_18offset_tEEE10hipError_tPvRmT1_PNSt15iterator_traitsISY_E10value_typeET2_T3_PNSZ_IS14_E10value_typeET4_jRbjT5_S1A_jjP12ihipStream_tbEUljE_EEESV_SW_SX_S14_S18_S1A_T6_T7_T9_mT8_S1C_bDpT10_ENKUlT_T0_E_clISt17integral_constantIbLb1EES1P_EEDaS1K_S1L_EUlS1K_E_NS1_11comp_targetILNS1_3genE2ELNS1_11target_archE906ELNS1_3gpuE6ELNS1_3repE0EEENS1_30default_config_static_selectorELNS0_4arch9wavefront6targetE0EEEvSY_: ; @_ZN7rocprim17ROCPRIM_400000_NS6detail17trampoline_kernelINS0_13select_configILj256ELj13ELNS0_17block_load_methodE3ELS4_3ELS4_3ELNS0_20block_scan_algorithmE0ELj4294967295EEENS1_25partition_config_selectorILNS1_17partition_subalgoE3EjNS0_10empty_typeEbEEZZNS1_14partition_implILS8_3ELb0ES6_jNS0_17counting_iteratorIjlEEPS9_SE_NS0_5tupleIJPjSE_EEENSF_IJSE_SE_EEES9_SG_JZNS1_25segmented_radix_sort_implINS0_14default_configELb0EPKsPsPKlPlN2at6native12_GLOBAL__N_18offset_tEEE10hipError_tPvRmT1_PNSt15iterator_traitsISY_E10value_typeET2_T3_PNSZ_IS14_E10value_typeET4_jRbjT5_S1A_jjP12ihipStream_tbEUljE_EEESV_SW_SX_S14_S18_S1A_T6_T7_T9_mT8_S1C_bDpT10_ENKUlT_T0_E_clISt17integral_constantIbLb1EES1P_EEDaS1K_S1L_EUlS1K_E_NS1_11comp_targetILNS1_3genE2ELNS1_11target_archE906ELNS1_3gpuE6ELNS1_3repE0EEENS1_30default_config_static_selectorELNS0_4arch9wavefront6targetE0EEEvSY_
; %bb.0:
	.section	.rodata,"a",@progbits
	.p2align	6, 0x0
	.amdhsa_kernel _ZN7rocprim17ROCPRIM_400000_NS6detail17trampoline_kernelINS0_13select_configILj256ELj13ELNS0_17block_load_methodE3ELS4_3ELS4_3ELNS0_20block_scan_algorithmE0ELj4294967295EEENS1_25partition_config_selectorILNS1_17partition_subalgoE3EjNS0_10empty_typeEbEEZZNS1_14partition_implILS8_3ELb0ES6_jNS0_17counting_iteratorIjlEEPS9_SE_NS0_5tupleIJPjSE_EEENSF_IJSE_SE_EEES9_SG_JZNS1_25segmented_radix_sort_implINS0_14default_configELb0EPKsPsPKlPlN2at6native12_GLOBAL__N_18offset_tEEE10hipError_tPvRmT1_PNSt15iterator_traitsISY_E10value_typeET2_T3_PNSZ_IS14_E10value_typeET4_jRbjT5_S1A_jjP12ihipStream_tbEUljE_EEESV_SW_SX_S14_S18_S1A_T6_T7_T9_mT8_S1C_bDpT10_ENKUlT_T0_E_clISt17integral_constantIbLb1EES1P_EEDaS1K_S1L_EUlS1K_E_NS1_11comp_targetILNS1_3genE2ELNS1_11target_archE906ELNS1_3gpuE6ELNS1_3repE0EEENS1_30default_config_static_selectorELNS0_4arch9wavefront6targetE0EEEvSY_
		.amdhsa_group_segment_fixed_size 0
		.amdhsa_private_segment_fixed_size 0
		.amdhsa_kernarg_size 152
		.amdhsa_user_sgpr_count 6
		.amdhsa_user_sgpr_private_segment_buffer 1
		.amdhsa_user_sgpr_dispatch_ptr 0
		.amdhsa_user_sgpr_queue_ptr 0
		.amdhsa_user_sgpr_kernarg_segment_ptr 1
		.amdhsa_user_sgpr_dispatch_id 0
		.amdhsa_user_sgpr_flat_scratch_init 0
		.amdhsa_user_sgpr_private_segment_size 0
		.amdhsa_wavefront_size32 1
		.amdhsa_uses_dynamic_stack 0
		.amdhsa_system_sgpr_private_segment_wavefront_offset 0
		.amdhsa_system_sgpr_workgroup_id_x 1
		.amdhsa_system_sgpr_workgroup_id_y 0
		.amdhsa_system_sgpr_workgroup_id_z 0
		.amdhsa_system_sgpr_workgroup_info 0
		.amdhsa_system_vgpr_workitem_id 0
		.amdhsa_next_free_vgpr 1
		.amdhsa_next_free_sgpr 1
		.amdhsa_reserve_vcc 0
		.amdhsa_reserve_flat_scratch 0
		.amdhsa_float_round_mode_32 0
		.amdhsa_float_round_mode_16_64 0
		.amdhsa_float_denorm_mode_32 3
		.amdhsa_float_denorm_mode_16_64 3
		.amdhsa_dx10_clamp 1
		.amdhsa_ieee_mode 1
		.amdhsa_fp16_overflow 0
		.amdhsa_workgroup_processor_mode 1
		.amdhsa_memory_ordered 1
		.amdhsa_forward_progress 1
		.amdhsa_shared_vgpr_count 0
		.amdhsa_exception_fp_ieee_invalid_op 0
		.amdhsa_exception_fp_denorm_src 0
		.amdhsa_exception_fp_ieee_div_zero 0
		.amdhsa_exception_fp_ieee_overflow 0
		.amdhsa_exception_fp_ieee_underflow 0
		.amdhsa_exception_fp_ieee_inexact 0
		.amdhsa_exception_int_div_zero 0
	.end_amdhsa_kernel
	.section	.text._ZN7rocprim17ROCPRIM_400000_NS6detail17trampoline_kernelINS0_13select_configILj256ELj13ELNS0_17block_load_methodE3ELS4_3ELS4_3ELNS0_20block_scan_algorithmE0ELj4294967295EEENS1_25partition_config_selectorILNS1_17partition_subalgoE3EjNS0_10empty_typeEbEEZZNS1_14partition_implILS8_3ELb0ES6_jNS0_17counting_iteratorIjlEEPS9_SE_NS0_5tupleIJPjSE_EEENSF_IJSE_SE_EEES9_SG_JZNS1_25segmented_radix_sort_implINS0_14default_configELb0EPKsPsPKlPlN2at6native12_GLOBAL__N_18offset_tEEE10hipError_tPvRmT1_PNSt15iterator_traitsISY_E10value_typeET2_T3_PNSZ_IS14_E10value_typeET4_jRbjT5_S1A_jjP12ihipStream_tbEUljE_EEESV_SW_SX_S14_S18_S1A_T6_T7_T9_mT8_S1C_bDpT10_ENKUlT_T0_E_clISt17integral_constantIbLb1EES1P_EEDaS1K_S1L_EUlS1K_E_NS1_11comp_targetILNS1_3genE2ELNS1_11target_archE906ELNS1_3gpuE6ELNS1_3repE0EEENS1_30default_config_static_selectorELNS0_4arch9wavefront6targetE0EEEvSY_,"axG",@progbits,_ZN7rocprim17ROCPRIM_400000_NS6detail17trampoline_kernelINS0_13select_configILj256ELj13ELNS0_17block_load_methodE3ELS4_3ELS4_3ELNS0_20block_scan_algorithmE0ELj4294967295EEENS1_25partition_config_selectorILNS1_17partition_subalgoE3EjNS0_10empty_typeEbEEZZNS1_14partition_implILS8_3ELb0ES6_jNS0_17counting_iteratorIjlEEPS9_SE_NS0_5tupleIJPjSE_EEENSF_IJSE_SE_EEES9_SG_JZNS1_25segmented_radix_sort_implINS0_14default_configELb0EPKsPsPKlPlN2at6native12_GLOBAL__N_18offset_tEEE10hipError_tPvRmT1_PNSt15iterator_traitsISY_E10value_typeET2_T3_PNSZ_IS14_E10value_typeET4_jRbjT5_S1A_jjP12ihipStream_tbEUljE_EEESV_SW_SX_S14_S18_S1A_T6_T7_T9_mT8_S1C_bDpT10_ENKUlT_T0_E_clISt17integral_constantIbLb1EES1P_EEDaS1K_S1L_EUlS1K_E_NS1_11comp_targetILNS1_3genE2ELNS1_11target_archE906ELNS1_3gpuE6ELNS1_3repE0EEENS1_30default_config_static_selectorELNS0_4arch9wavefront6targetE0EEEvSY_,comdat
.Lfunc_end987:
	.size	_ZN7rocprim17ROCPRIM_400000_NS6detail17trampoline_kernelINS0_13select_configILj256ELj13ELNS0_17block_load_methodE3ELS4_3ELS4_3ELNS0_20block_scan_algorithmE0ELj4294967295EEENS1_25partition_config_selectorILNS1_17partition_subalgoE3EjNS0_10empty_typeEbEEZZNS1_14partition_implILS8_3ELb0ES6_jNS0_17counting_iteratorIjlEEPS9_SE_NS0_5tupleIJPjSE_EEENSF_IJSE_SE_EEES9_SG_JZNS1_25segmented_radix_sort_implINS0_14default_configELb0EPKsPsPKlPlN2at6native12_GLOBAL__N_18offset_tEEE10hipError_tPvRmT1_PNSt15iterator_traitsISY_E10value_typeET2_T3_PNSZ_IS14_E10value_typeET4_jRbjT5_S1A_jjP12ihipStream_tbEUljE_EEESV_SW_SX_S14_S18_S1A_T6_T7_T9_mT8_S1C_bDpT10_ENKUlT_T0_E_clISt17integral_constantIbLb1EES1P_EEDaS1K_S1L_EUlS1K_E_NS1_11comp_targetILNS1_3genE2ELNS1_11target_archE906ELNS1_3gpuE6ELNS1_3repE0EEENS1_30default_config_static_selectorELNS0_4arch9wavefront6targetE0EEEvSY_, .Lfunc_end987-_ZN7rocprim17ROCPRIM_400000_NS6detail17trampoline_kernelINS0_13select_configILj256ELj13ELNS0_17block_load_methodE3ELS4_3ELS4_3ELNS0_20block_scan_algorithmE0ELj4294967295EEENS1_25partition_config_selectorILNS1_17partition_subalgoE3EjNS0_10empty_typeEbEEZZNS1_14partition_implILS8_3ELb0ES6_jNS0_17counting_iteratorIjlEEPS9_SE_NS0_5tupleIJPjSE_EEENSF_IJSE_SE_EEES9_SG_JZNS1_25segmented_radix_sort_implINS0_14default_configELb0EPKsPsPKlPlN2at6native12_GLOBAL__N_18offset_tEEE10hipError_tPvRmT1_PNSt15iterator_traitsISY_E10value_typeET2_T3_PNSZ_IS14_E10value_typeET4_jRbjT5_S1A_jjP12ihipStream_tbEUljE_EEESV_SW_SX_S14_S18_S1A_T6_T7_T9_mT8_S1C_bDpT10_ENKUlT_T0_E_clISt17integral_constantIbLb1EES1P_EEDaS1K_S1L_EUlS1K_E_NS1_11comp_targetILNS1_3genE2ELNS1_11target_archE906ELNS1_3gpuE6ELNS1_3repE0EEENS1_30default_config_static_selectorELNS0_4arch9wavefront6targetE0EEEvSY_
                                        ; -- End function
	.set _ZN7rocprim17ROCPRIM_400000_NS6detail17trampoline_kernelINS0_13select_configILj256ELj13ELNS0_17block_load_methodE3ELS4_3ELS4_3ELNS0_20block_scan_algorithmE0ELj4294967295EEENS1_25partition_config_selectorILNS1_17partition_subalgoE3EjNS0_10empty_typeEbEEZZNS1_14partition_implILS8_3ELb0ES6_jNS0_17counting_iteratorIjlEEPS9_SE_NS0_5tupleIJPjSE_EEENSF_IJSE_SE_EEES9_SG_JZNS1_25segmented_radix_sort_implINS0_14default_configELb0EPKsPsPKlPlN2at6native12_GLOBAL__N_18offset_tEEE10hipError_tPvRmT1_PNSt15iterator_traitsISY_E10value_typeET2_T3_PNSZ_IS14_E10value_typeET4_jRbjT5_S1A_jjP12ihipStream_tbEUljE_EEESV_SW_SX_S14_S18_S1A_T6_T7_T9_mT8_S1C_bDpT10_ENKUlT_T0_E_clISt17integral_constantIbLb1EES1P_EEDaS1K_S1L_EUlS1K_E_NS1_11comp_targetILNS1_3genE2ELNS1_11target_archE906ELNS1_3gpuE6ELNS1_3repE0EEENS1_30default_config_static_selectorELNS0_4arch9wavefront6targetE0EEEvSY_.num_vgpr, 0
	.set _ZN7rocprim17ROCPRIM_400000_NS6detail17trampoline_kernelINS0_13select_configILj256ELj13ELNS0_17block_load_methodE3ELS4_3ELS4_3ELNS0_20block_scan_algorithmE0ELj4294967295EEENS1_25partition_config_selectorILNS1_17partition_subalgoE3EjNS0_10empty_typeEbEEZZNS1_14partition_implILS8_3ELb0ES6_jNS0_17counting_iteratorIjlEEPS9_SE_NS0_5tupleIJPjSE_EEENSF_IJSE_SE_EEES9_SG_JZNS1_25segmented_radix_sort_implINS0_14default_configELb0EPKsPsPKlPlN2at6native12_GLOBAL__N_18offset_tEEE10hipError_tPvRmT1_PNSt15iterator_traitsISY_E10value_typeET2_T3_PNSZ_IS14_E10value_typeET4_jRbjT5_S1A_jjP12ihipStream_tbEUljE_EEESV_SW_SX_S14_S18_S1A_T6_T7_T9_mT8_S1C_bDpT10_ENKUlT_T0_E_clISt17integral_constantIbLb1EES1P_EEDaS1K_S1L_EUlS1K_E_NS1_11comp_targetILNS1_3genE2ELNS1_11target_archE906ELNS1_3gpuE6ELNS1_3repE0EEENS1_30default_config_static_selectorELNS0_4arch9wavefront6targetE0EEEvSY_.num_agpr, 0
	.set _ZN7rocprim17ROCPRIM_400000_NS6detail17trampoline_kernelINS0_13select_configILj256ELj13ELNS0_17block_load_methodE3ELS4_3ELS4_3ELNS0_20block_scan_algorithmE0ELj4294967295EEENS1_25partition_config_selectorILNS1_17partition_subalgoE3EjNS0_10empty_typeEbEEZZNS1_14partition_implILS8_3ELb0ES6_jNS0_17counting_iteratorIjlEEPS9_SE_NS0_5tupleIJPjSE_EEENSF_IJSE_SE_EEES9_SG_JZNS1_25segmented_radix_sort_implINS0_14default_configELb0EPKsPsPKlPlN2at6native12_GLOBAL__N_18offset_tEEE10hipError_tPvRmT1_PNSt15iterator_traitsISY_E10value_typeET2_T3_PNSZ_IS14_E10value_typeET4_jRbjT5_S1A_jjP12ihipStream_tbEUljE_EEESV_SW_SX_S14_S18_S1A_T6_T7_T9_mT8_S1C_bDpT10_ENKUlT_T0_E_clISt17integral_constantIbLb1EES1P_EEDaS1K_S1L_EUlS1K_E_NS1_11comp_targetILNS1_3genE2ELNS1_11target_archE906ELNS1_3gpuE6ELNS1_3repE0EEENS1_30default_config_static_selectorELNS0_4arch9wavefront6targetE0EEEvSY_.numbered_sgpr, 0
	.set _ZN7rocprim17ROCPRIM_400000_NS6detail17trampoline_kernelINS0_13select_configILj256ELj13ELNS0_17block_load_methodE3ELS4_3ELS4_3ELNS0_20block_scan_algorithmE0ELj4294967295EEENS1_25partition_config_selectorILNS1_17partition_subalgoE3EjNS0_10empty_typeEbEEZZNS1_14partition_implILS8_3ELb0ES6_jNS0_17counting_iteratorIjlEEPS9_SE_NS0_5tupleIJPjSE_EEENSF_IJSE_SE_EEES9_SG_JZNS1_25segmented_radix_sort_implINS0_14default_configELb0EPKsPsPKlPlN2at6native12_GLOBAL__N_18offset_tEEE10hipError_tPvRmT1_PNSt15iterator_traitsISY_E10value_typeET2_T3_PNSZ_IS14_E10value_typeET4_jRbjT5_S1A_jjP12ihipStream_tbEUljE_EEESV_SW_SX_S14_S18_S1A_T6_T7_T9_mT8_S1C_bDpT10_ENKUlT_T0_E_clISt17integral_constantIbLb1EES1P_EEDaS1K_S1L_EUlS1K_E_NS1_11comp_targetILNS1_3genE2ELNS1_11target_archE906ELNS1_3gpuE6ELNS1_3repE0EEENS1_30default_config_static_selectorELNS0_4arch9wavefront6targetE0EEEvSY_.num_named_barrier, 0
	.set _ZN7rocprim17ROCPRIM_400000_NS6detail17trampoline_kernelINS0_13select_configILj256ELj13ELNS0_17block_load_methodE3ELS4_3ELS4_3ELNS0_20block_scan_algorithmE0ELj4294967295EEENS1_25partition_config_selectorILNS1_17partition_subalgoE3EjNS0_10empty_typeEbEEZZNS1_14partition_implILS8_3ELb0ES6_jNS0_17counting_iteratorIjlEEPS9_SE_NS0_5tupleIJPjSE_EEENSF_IJSE_SE_EEES9_SG_JZNS1_25segmented_radix_sort_implINS0_14default_configELb0EPKsPsPKlPlN2at6native12_GLOBAL__N_18offset_tEEE10hipError_tPvRmT1_PNSt15iterator_traitsISY_E10value_typeET2_T3_PNSZ_IS14_E10value_typeET4_jRbjT5_S1A_jjP12ihipStream_tbEUljE_EEESV_SW_SX_S14_S18_S1A_T6_T7_T9_mT8_S1C_bDpT10_ENKUlT_T0_E_clISt17integral_constantIbLb1EES1P_EEDaS1K_S1L_EUlS1K_E_NS1_11comp_targetILNS1_3genE2ELNS1_11target_archE906ELNS1_3gpuE6ELNS1_3repE0EEENS1_30default_config_static_selectorELNS0_4arch9wavefront6targetE0EEEvSY_.private_seg_size, 0
	.set _ZN7rocprim17ROCPRIM_400000_NS6detail17trampoline_kernelINS0_13select_configILj256ELj13ELNS0_17block_load_methodE3ELS4_3ELS4_3ELNS0_20block_scan_algorithmE0ELj4294967295EEENS1_25partition_config_selectorILNS1_17partition_subalgoE3EjNS0_10empty_typeEbEEZZNS1_14partition_implILS8_3ELb0ES6_jNS0_17counting_iteratorIjlEEPS9_SE_NS0_5tupleIJPjSE_EEENSF_IJSE_SE_EEES9_SG_JZNS1_25segmented_radix_sort_implINS0_14default_configELb0EPKsPsPKlPlN2at6native12_GLOBAL__N_18offset_tEEE10hipError_tPvRmT1_PNSt15iterator_traitsISY_E10value_typeET2_T3_PNSZ_IS14_E10value_typeET4_jRbjT5_S1A_jjP12ihipStream_tbEUljE_EEESV_SW_SX_S14_S18_S1A_T6_T7_T9_mT8_S1C_bDpT10_ENKUlT_T0_E_clISt17integral_constantIbLb1EES1P_EEDaS1K_S1L_EUlS1K_E_NS1_11comp_targetILNS1_3genE2ELNS1_11target_archE906ELNS1_3gpuE6ELNS1_3repE0EEENS1_30default_config_static_selectorELNS0_4arch9wavefront6targetE0EEEvSY_.uses_vcc, 0
	.set _ZN7rocprim17ROCPRIM_400000_NS6detail17trampoline_kernelINS0_13select_configILj256ELj13ELNS0_17block_load_methodE3ELS4_3ELS4_3ELNS0_20block_scan_algorithmE0ELj4294967295EEENS1_25partition_config_selectorILNS1_17partition_subalgoE3EjNS0_10empty_typeEbEEZZNS1_14partition_implILS8_3ELb0ES6_jNS0_17counting_iteratorIjlEEPS9_SE_NS0_5tupleIJPjSE_EEENSF_IJSE_SE_EEES9_SG_JZNS1_25segmented_radix_sort_implINS0_14default_configELb0EPKsPsPKlPlN2at6native12_GLOBAL__N_18offset_tEEE10hipError_tPvRmT1_PNSt15iterator_traitsISY_E10value_typeET2_T3_PNSZ_IS14_E10value_typeET4_jRbjT5_S1A_jjP12ihipStream_tbEUljE_EEESV_SW_SX_S14_S18_S1A_T6_T7_T9_mT8_S1C_bDpT10_ENKUlT_T0_E_clISt17integral_constantIbLb1EES1P_EEDaS1K_S1L_EUlS1K_E_NS1_11comp_targetILNS1_3genE2ELNS1_11target_archE906ELNS1_3gpuE6ELNS1_3repE0EEENS1_30default_config_static_selectorELNS0_4arch9wavefront6targetE0EEEvSY_.uses_flat_scratch, 0
	.set _ZN7rocprim17ROCPRIM_400000_NS6detail17trampoline_kernelINS0_13select_configILj256ELj13ELNS0_17block_load_methodE3ELS4_3ELS4_3ELNS0_20block_scan_algorithmE0ELj4294967295EEENS1_25partition_config_selectorILNS1_17partition_subalgoE3EjNS0_10empty_typeEbEEZZNS1_14partition_implILS8_3ELb0ES6_jNS0_17counting_iteratorIjlEEPS9_SE_NS0_5tupleIJPjSE_EEENSF_IJSE_SE_EEES9_SG_JZNS1_25segmented_radix_sort_implINS0_14default_configELb0EPKsPsPKlPlN2at6native12_GLOBAL__N_18offset_tEEE10hipError_tPvRmT1_PNSt15iterator_traitsISY_E10value_typeET2_T3_PNSZ_IS14_E10value_typeET4_jRbjT5_S1A_jjP12ihipStream_tbEUljE_EEESV_SW_SX_S14_S18_S1A_T6_T7_T9_mT8_S1C_bDpT10_ENKUlT_T0_E_clISt17integral_constantIbLb1EES1P_EEDaS1K_S1L_EUlS1K_E_NS1_11comp_targetILNS1_3genE2ELNS1_11target_archE906ELNS1_3gpuE6ELNS1_3repE0EEENS1_30default_config_static_selectorELNS0_4arch9wavefront6targetE0EEEvSY_.has_dyn_sized_stack, 0
	.set _ZN7rocprim17ROCPRIM_400000_NS6detail17trampoline_kernelINS0_13select_configILj256ELj13ELNS0_17block_load_methodE3ELS4_3ELS4_3ELNS0_20block_scan_algorithmE0ELj4294967295EEENS1_25partition_config_selectorILNS1_17partition_subalgoE3EjNS0_10empty_typeEbEEZZNS1_14partition_implILS8_3ELb0ES6_jNS0_17counting_iteratorIjlEEPS9_SE_NS0_5tupleIJPjSE_EEENSF_IJSE_SE_EEES9_SG_JZNS1_25segmented_radix_sort_implINS0_14default_configELb0EPKsPsPKlPlN2at6native12_GLOBAL__N_18offset_tEEE10hipError_tPvRmT1_PNSt15iterator_traitsISY_E10value_typeET2_T3_PNSZ_IS14_E10value_typeET4_jRbjT5_S1A_jjP12ihipStream_tbEUljE_EEESV_SW_SX_S14_S18_S1A_T6_T7_T9_mT8_S1C_bDpT10_ENKUlT_T0_E_clISt17integral_constantIbLb1EES1P_EEDaS1K_S1L_EUlS1K_E_NS1_11comp_targetILNS1_3genE2ELNS1_11target_archE906ELNS1_3gpuE6ELNS1_3repE0EEENS1_30default_config_static_selectorELNS0_4arch9wavefront6targetE0EEEvSY_.has_recursion, 0
	.set _ZN7rocprim17ROCPRIM_400000_NS6detail17trampoline_kernelINS0_13select_configILj256ELj13ELNS0_17block_load_methodE3ELS4_3ELS4_3ELNS0_20block_scan_algorithmE0ELj4294967295EEENS1_25partition_config_selectorILNS1_17partition_subalgoE3EjNS0_10empty_typeEbEEZZNS1_14partition_implILS8_3ELb0ES6_jNS0_17counting_iteratorIjlEEPS9_SE_NS0_5tupleIJPjSE_EEENSF_IJSE_SE_EEES9_SG_JZNS1_25segmented_radix_sort_implINS0_14default_configELb0EPKsPsPKlPlN2at6native12_GLOBAL__N_18offset_tEEE10hipError_tPvRmT1_PNSt15iterator_traitsISY_E10value_typeET2_T3_PNSZ_IS14_E10value_typeET4_jRbjT5_S1A_jjP12ihipStream_tbEUljE_EEESV_SW_SX_S14_S18_S1A_T6_T7_T9_mT8_S1C_bDpT10_ENKUlT_T0_E_clISt17integral_constantIbLb1EES1P_EEDaS1K_S1L_EUlS1K_E_NS1_11comp_targetILNS1_3genE2ELNS1_11target_archE906ELNS1_3gpuE6ELNS1_3repE0EEENS1_30default_config_static_selectorELNS0_4arch9wavefront6targetE0EEEvSY_.has_indirect_call, 0
	.section	.AMDGPU.csdata,"",@progbits
; Kernel info:
; codeLenInByte = 0
; TotalNumSgprs: 0
; NumVgprs: 0
; ScratchSize: 0
; MemoryBound: 0
; FloatMode: 240
; IeeeMode: 1
; LDSByteSize: 0 bytes/workgroup (compile time only)
; SGPRBlocks: 0
; VGPRBlocks: 0
; NumSGPRsForWavesPerEU: 1
; NumVGPRsForWavesPerEU: 1
; Occupancy: 16
; WaveLimiterHint : 0
; COMPUTE_PGM_RSRC2:SCRATCH_EN: 0
; COMPUTE_PGM_RSRC2:USER_SGPR: 6
; COMPUTE_PGM_RSRC2:TRAP_HANDLER: 0
; COMPUTE_PGM_RSRC2:TGID_X_EN: 1
; COMPUTE_PGM_RSRC2:TGID_Y_EN: 0
; COMPUTE_PGM_RSRC2:TGID_Z_EN: 0
; COMPUTE_PGM_RSRC2:TIDIG_COMP_CNT: 0
	.section	.text._ZN7rocprim17ROCPRIM_400000_NS6detail17trampoline_kernelINS0_13select_configILj256ELj13ELNS0_17block_load_methodE3ELS4_3ELS4_3ELNS0_20block_scan_algorithmE0ELj4294967295EEENS1_25partition_config_selectorILNS1_17partition_subalgoE3EjNS0_10empty_typeEbEEZZNS1_14partition_implILS8_3ELb0ES6_jNS0_17counting_iteratorIjlEEPS9_SE_NS0_5tupleIJPjSE_EEENSF_IJSE_SE_EEES9_SG_JZNS1_25segmented_radix_sort_implINS0_14default_configELb0EPKsPsPKlPlN2at6native12_GLOBAL__N_18offset_tEEE10hipError_tPvRmT1_PNSt15iterator_traitsISY_E10value_typeET2_T3_PNSZ_IS14_E10value_typeET4_jRbjT5_S1A_jjP12ihipStream_tbEUljE_EEESV_SW_SX_S14_S18_S1A_T6_T7_T9_mT8_S1C_bDpT10_ENKUlT_T0_E_clISt17integral_constantIbLb1EES1P_EEDaS1K_S1L_EUlS1K_E_NS1_11comp_targetILNS1_3genE10ELNS1_11target_archE1200ELNS1_3gpuE4ELNS1_3repE0EEENS1_30default_config_static_selectorELNS0_4arch9wavefront6targetE0EEEvSY_,"axG",@progbits,_ZN7rocprim17ROCPRIM_400000_NS6detail17trampoline_kernelINS0_13select_configILj256ELj13ELNS0_17block_load_methodE3ELS4_3ELS4_3ELNS0_20block_scan_algorithmE0ELj4294967295EEENS1_25partition_config_selectorILNS1_17partition_subalgoE3EjNS0_10empty_typeEbEEZZNS1_14partition_implILS8_3ELb0ES6_jNS0_17counting_iteratorIjlEEPS9_SE_NS0_5tupleIJPjSE_EEENSF_IJSE_SE_EEES9_SG_JZNS1_25segmented_radix_sort_implINS0_14default_configELb0EPKsPsPKlPlN2at6native12_GLOBAL__N_18offset_tEEE10hipError_tPvRmT1_PNSt15iterator_traitsISY_E10value_typeET2_T3_PNSZ_IS14_E10value_typeET4_jRbjT5_S1A_jjP12ihipStream_tbEUljE_EEESV_SW_SX_S14_S18_S1A_T6_T7_T9_mT8_S1C_bDpT10_ENKUlT_T0_E_clISt17integral_constantIbLb1EES1P_EEDaS1K_S1L_EUlS1K_E_NS1_11comp_targetILNS1_3genE10ELNS1_11target_archE1200ELNS1_3gpuE4ELNS1_3repE0EEENS1_30default_config_static_selectorELNS0_4arch9wavefront6targetE0EEEvSY_,comdat
	.globl	_ZN7rocprim17ROCPRIM_400000_NS6detail17trampoline_kernelINS0_13select_configILj256ELj13ELNS0_17block_load_methodE3ELS4_3ELS4_3ELNS0_20block_scan_algorithmE0ELj4294967295EEENS1_25partition_config_selectorILNS1_17partition_subalgoE3EjNS0_10empty_typeEbEEZZNS1_14partition_implILS8_3ELb0ES6_jNS0_17counting_iteratorIjlEEPS9_SE_NS0_5tupleIJPjSE_EEENSF_IJSE_SE_EEES9_SG_JZNS1_25segmented_radix_sort_implINS0_14default_configELb0EPKsPsPKlPlN2at6native12_GLOBAL__N_18offset_tEEE10hipError_tPvRmT1_PNSt15iterator_traitsISY_E10value_typeET2_T3_PNSZ_IS14_E10value_typeET4_jRbjT5_S1A_jjP12ihipStream_tbEUljE_EEESV_SW_SX_S14_S18_S1A_T6_T7_T9_mT8_S1C_bDpT10_ENKUlT_T0_E_clISt17integral_constantIbLb1EES1P_EEDaS1K_S1L_EUlS1K_E_NS1_11comp_targetILNS1_3genE10ELNS1_11target_archE1200ELNS1_3gpuE4ELNS1_3repE0EEENS1_30default_config_static_selectorELNS0_4arch9wavefront6targetE0EEEvSY_ ; -- Begin function _ZN7rocprim17ROCPRIM_400000_NS6detail17trampoline_kernelINS0_13select_configILj256ELj13ELNS0_17block_load_methodE3ELS4_3ELS4_3ELNS0_20block_scan_algorithmE0ELj4294967295EEENS1_25partition_config_selectorILNS1_17partition_subalgoE3EjNS0_10empty_typeEbEEZZNS1_14partition_implILS8_3ELb0ES6_jNS0_17counting_iteratorIjlEEPS9_SE_NS0_5tupleIJPjSE_EEENSF_IJSE_SE_EEES9_SG_JZNS1_25segmented_radix_sort_implINS0_14default_configELb0EPKsPsPKlPlN2at6native12_GLOBAL__N_18offset_tEEE10hipError_tPvRmT1_PNSt15iterator_traitsISY_E10value_typeET2_T3_PNSZ_IS14_E10value_typeET4_jRbjT5_S1A_jjP12ihipStream_tbEUljE_EEESV_SW_SX_S14_S18_S1A_T6_T7_T9_mT8_S1C_bDpT10_ENKUlT_T0_E_clISt17integral_constantIbLb1EES1P_EEDaS1K_S1L_EUlS1K_E_NS1_11comp_targetILNS1_3genE10ELNS1_11target_archE1200ELNS1_3gpuE4ELNS1_3repE0EEENS1_30default_config_static_selectorELNS0_4arch9wavefront6targetE0EEEvSY_
	.p2align	8
	.type	_ZN7rocprim17ROCPRIM_400000_NS6detail17trampoline_kernelINS0_13select_configILj256ELj13ELNS0_17block_load_methodE3ELS4_3ELS4_3ELNS0_20block_scan_algorithmE0ELj4294967295EEENS1_25partition_config_selectorILNS1_17partition_subalgoE3EjNS0_10empty_typeEbEEZZNS1_14partition_implILS8_3ELb0ES6_jNS0_17counting_iteratorIjlEEPS9_SE_NS0_5tupleIJPjSE_EEENSF_IJSE_SE_EEES9_SG_JZNS1_25segmented_radix_sort_implINS0_14default_configELb0EPKsPsPKlPlN2at6native12_GLOBAL__N_18offset_tEEE10hipError_tPvRmT1_PNSt15iterator_traitsISY_E10value_typeET2_T3_PNSZ_IS14_E10value_typeET4_jRbjT5_S1A_jjP12ihipStream_tbEUljE_EEESV_SW_SX_S14_S18_S1A_T6_T7_T9_mT8_S1C_bDpT10_ENKUlT_T0_E_clISt17integral_constantIbLb1EES1P_EEDaS1K_S1L_EUlS1K_E_NS1_11comp_targetILNS1_3genE10ELNS1_11target_archE1200ELNS1_3gpuE4ELNS1_3repE0EEENS1_30default_config_static_selectorELNS0_4arch9wavefront6targetE0EEEvSY_,@function
_ZN7rocprim17ROCPRIM_400000_NS6detail17trampoline_kernelINS0_13select_configILj256ELj13ELNS0_17block_load_methodE3ELS4_3ELS4_3ELNS0_20block_scan_algorithmE0ELj4294967295EEENS1_25partition_config_selectorILNS1_17partition_subalgoE3EjNS0_10empty_typeEbEEZZNS1_14partition_implILS8_3ELb0ES6_jNS0_17counting_iteratorIjlEEPS9_SE_NS0_5tupleIJPjSE_EEENSF_IJSE_SE_EEES9_SG_JZNS1_25segmented_radix_sort_implINS0_14default_configELb0EPKsPsPKlPlN2at6native12_GLOBAL__N_18offset_tEEE10hipError_tPvRmT1_PNSt15iterator_traitsISY_E10value_typeET2_T3_PNSZ_IS14_E10value_typeET4_jRbjT5_S1A_jjP12ihipStream_tbEUljE_EEESV_SW_SX_S14_S18_S1A_T6_T7_T9_mT8_S1C_bDpT10_ENKUlT_T0_E_clISt17integral_constantIbLb1EES1P_EEDaS1K_S1L_EUlS1K_E_NS1_11comp_targetILNS1_3genE10ELNS1_11target_archE1200ELNS1_3gpuE4ELNS1_3repE0EEENS1_30default_config_static_selectorELNS0_4arch9wavefront6targetE0EEEvSY_: ; @_ZN7rocprim17ROCPRIM_400000_NS6detail17trampoline_kernelINS0_13select_configILj256ELj13ELNS0_17block_load_methodE3ELS4_3ELS4_3ELNS0_20block_scan_algorithmE0ELj4294967295EEENS1_25partition_config_selectorILNS1_17partition_subalgoE3EjNS0_10empty_typeEbEEZZNS1_14partition_implILS8_3ELb0ES6_jNS0_17counting_iteratorIjlEEPS9_SE_NS0_5tupleIJPjSE_EEENSF_IJSE_SE_EEES9_SG_JZNS1_25segmented_radix_sort_implINS0_14default_configELb0EPKsPsPKlPlN2at6native12_GLOBAL__N_18offset_tEEE10hipError_tPvRmT1_PNSt15iterator_traitsISY_E10value_typeET2_T3_PNSZ_IS14_E10value_typeET4_jRbjT5_S1A_jjP12ihipStream_tbEUljE_EEESV_SW_SX_S14_S18_S1A_T6_T7_T9_mT8_S1C_bDpT10_ENKUlT_T0_E_clISt17integral_constantIbLb1EES1P_EEDaS1K_S1L_EUlS1K_E_NS1_11comp_targetILNS1_3genE10ELNS1_11target_archE1200ELNS1_3gpuE4ELNS1_3repE0EEENS1_30default_config_static_selectorELNS0_4arch9wavefront6targetE0EEEvSY_
; %bb.0:
	.section	.rodata,"a",@progbits
	.p2align	6, 0x0
	.amdhsa_kernel _ZN7rocprim17ROCPRIM_400000_NS6detail17trampoline_kernelINS0_13select_configILj256ELj13ELNS0_17block_load_methodE3ELS4_3ELS4_3ELNS0_20block_scan_algorithmE0ELj4294967295EEENS1_25partition_config_selectorILNS1_17partition_subalgoE3EjNS0_10empty_typeEbEEZZNS1_14partition_implILS8_3ELb0ES6_jNS0_17counting_iteratorIjlEEPS9_SE_NS0_5tupleIJPjSE_EEENSF_IJSE_SE_EEES9_SG_JZNS1_25segmented_radix_sort_implINS0_14default_configELb0EPKsPsPKlPlN2at6native12_GLOBAL__N_18offset_tEEE10hipError_tPvRmT1_PNSt15iterator_traitsISY_E10value_typeET2_T3_PNSZ_IS14_E10value_typeET4_jRbjT5_S1A_jjP12ihipStream_tbEUljE_EEESV_SW_SX_S14_S18_S1A_T6_T7_T9_mT8_S1C_bDpT10_ENKUlT_T0_E_clISt17integral_constantIbLb1EES1P_EEDaS1K_S1L_EUlS1K_E_NS1_11comp_targetILNS1_3genE10ELNS1_11target_archE1200ELNS1_3gpuE4ELNS1_3repE0EEENS1_30default_config_static_selectorELNS0_4arch9wavefront6targetE0EEEvSY_
		.amdhsa_group_segment_fixed_size 0
		.amdhsa_private_segment_fixed_size 0
		.amdhsa_kernarg_size 152
		.amdhsa_user_sgpr_count 6
		.amdhsa_user_sgpr_private_segment_buffer 1
		.amdhsa_user_sgpr_dispatch_ptr 0
		.amdhsa_user_sgpr_queue_ptr 0
		.amdhsa_user_sgpr_kernarg_segment_ptr 1
		.amdhsa_user_sgpr_dispatch_id 0
		.amdhsa_user_sgpr_flat_scratch_init 0
		.amdhsa_user_sgpr_private_segment_size 0
		.amdhsa_wavefront_size32 1
		.amdhsa_uses_dynamic_stack 0
		.amdhsa_system_sgpr_private_segment_wavefront_offset 0
		.amdhsa_system_sgpr_workgroup_id_x 1
		.amdhsa_system_sgpr_workgroup_id_y 0
		.amdhsa_system_sgpr_workgroup_id_z 0
		.amdhsa_system_sgpr_workgroup_info 0
		.amdhsa_system_vgpr_workitem_id 0
		.amdhsa_next_free_vgpr 1
		.amdhsa_next_free_sgpr 1
		.amdhsa_reserve_vcc 0
		.amdhsa_reserve_flat_scratch 0
		.amdhsa_float_round_mode_32 0
		.amdhsa_float_round_mode_16_64 0
		.amdhsa_float_denorm_mode_32 3
		.amdhsa_float_denorm_mode_16_64 3
		.amdhsa_dx10_clamp 1
		.amdhsa_ieee_mode 1
		.amdhsa_fp16_overflow 0
		.amdhsa_workgroup_processor_mode 1
		.amdhsa_memory_ordered 1
		.amdhsa_forward_progress 1
		.amdhsa_shared_vgpr_count 0
		.amdhsa_exception_fp_ieee_invalid_op 0
		.amdhsa_exception_fp_denorm_src 0
		.amdhsa_exception_fp_ieee_div_zero 0
		.amdhsa_exception_fp_ieee_overflow 0
		.amdhsa_exception_fp_ieee_underflow 0
		.amdhsa_exception_fp_ieee_inexact 0
		.amdhsa_exception_int_div_zero 0
	.end_amdhsa_kernel
	.section	.text._ZN7rocprim17ROCPRIM_400000_NS6detail17trampoline_kernelINS0_13select_configILj256ELj13ELNS0_17block_load_methodE3ELS4_3ELS4_3ELNS0_20block_scan_algorithmE0ELj4294967295EEENS1_25partition_config_selectorILNS1_17partition_subalgoE3EjNS0_10empty_typeEbEEZZNS1_14partition_implILS8_3ELb0ES6_jNS0_17counting_iteratorIjlEEPS9_SE_NS0_5tupleIJPjSE_EEENSF_IJSE_SE_EEES9_SG_JZNS1_25segmented_radix_sort_implINS0_14default_configELb0EPKsPsPKlPlN2at6native12_GLOBAL__N_18offset_tEEE10hipError_tPvRmT1_PNSt15iterator_traitsISY_E10value_typeET2_T3_PNSZ_IS14_E10value_typeET4_jRbjT5_S1A_jjP12ihipStream_tbEUljE_EEESV_SW_SX_S14_S18_S1A_T6_T7_T9_mT8_S1C_bDpT10_ENKUlT_T0_E_clISt17integral_constantIbLb1EES1P_EEDaS1K_S1L_EUlS1K_E_NS1_11comp_targetILNS1_3genE10ELNS1_11target_archE1200ELNS1_3gpuE4ELNS1_3repE0EEENS1_30default_config_static_selectorELNS0_4arch9wavefront6targetE0EEEvSY_,"axG",@progbits,_ZN7rocprim17ROCPRIM_400000_NS6detail17trampoline_kernelINS0_13select_configILj256ELj13ELNS0_17block_load_methodE3ELS4_3ELS4_3ELNS0_20block_scan_algorithmE0ELj4294967295EEENS1_25partition_config_selectorILNS1_17partition_subalgoE3EjNS0_10empty_typeEbEEZZNS1_14partition_implILS8_3ELb0ES6_jNS0_17counting_iteratorIjlEEPS9_SE_NS0_5tupleIJPjSE_EEENSF_IJSE_SE_EEES9_SG_JZNS1_25segmented_radix_sort_implINS0_14default_configELb0EPKsPsPKlPlN2at6native12_GLOBAL__N_18offset_tEEE10hipError_tPvRmT1_PNSt15iterator_traitsISY_E10value_typeET2_T3_PNSZ_IS14_E10value_typeET4_jRbjT5_S1A_jjP12ihipStream_tbEUljE_EEESV_SW_SX_S14_S18_S1A_T6_T7_T9_mT8_S1C_bDpT10_ENKUlT_T0_E_clISt17integral_constantIbLb1EES1P_EEDaS1K_S1L_EUlS1K_E_NS1_11comp_targetILNS1_3genE10ELNS1_11target_archE1200ELNS1_3gpuE4ELNS1_3repE0EEENS1_30default_config_static_selectorELNS0_4arch9wavefront6targetE0EEEvSY_,comdat
.Lfunc_end988:
	.size	_ZN7rocprim17ROCPRIM_400000_NS6detail17trampoline_kernelINS0_13select_configILj256ELj13ELNS0_17block_load_methodE3ELS4_3ELS4_3ELNS0_20block_scan_algorithmE0ELj4294967295EEENS1_25partition_config_selectorILNS1_17partition_subalgoE3EjNS0_10empty_typeEbEEZZNS1_14partition_implILS8_3ELb0ES6_jNS0_17counting_iteratorIjlEEPS9_SE_NS0_5tupleIJPjSE_EEENSF_IJSE_SE_EEES9_SG_JZNS1_25segmented_radix_sort_implINS0_14default_configELb0EPKsPsPKlPlN2at6native12_GLOBAL__N_18offset_tEEE10hipError_tPvRmT1_PNSt15iterator_traitsISY_E10value_typeET2_T3_PNSZ_IS14_E10value_typeET4_jRbjT5_S1A_jjP12ihipStream_tbEUljE_EEESV_SW_SX_S14_S18_S1A_T6_T7_T9_mT8_S1C_bDpT10_ENKUlT_T0_E_clISt17integral_constantIbLb1EES1P_EEDaS1K_S1L_EUlS1K_E_NS1_11comp_targetILNS1_3genE10ELNS1_11target_archE1200ELNS1_3gpuE4ELNS1_3repE0EEENS1_30default_config_static_selectorELNS0_4arch9wavefront6targetE0EEEvSY_, .Lfunc_end988-_ZN7rocprim17ROCPRIM_400000_NS6detail17trampoline_kernelINS0_13select_configILj256ELj13ELNS0_17block_load_methodE3ELS4_3ELS4_3ELNS0_20block_scan_algorithmE0ELj4294967295EEENS1_25partition_config_selectorILNS1_17partition_subalgoE3EjNS0_10empty_typeEbEEZZNS1_14partition_implILS8_3ELb0ES6_jNS0_17counting_iteratorIjlEEPS9_SE_NS0_5tupleIJPjSE_EEENSF_IJSE_SE_EEES9_SG_JZNS1_25segmented_radix_sort_implINS0_14default_configELb0EPKsPsPKlPlN2at6native12_GLOBAL__N_18offset_tEEE10hipError_tPvRmT1_PNSt15iterator_traitsISY_E10value_typeET2_T3_PNSZ_IS14_E10value_typeET4_jRbjT5_S1A_jjP12ihipStream_tbEUljE_EEESV_SW_SX_S14_S18_S1A_T6_T7_T9_mT8_S1C_bDpT10_ENKUlT_T0_E_clISt17integral_constantIbLb1EES1P_EEDaS1K_S1L_EUlS1K_E_NS1_11comp_targetILNS1_3genE10ELNS1_11target_archE1200ELNS1_3gpuE4ELNS1_3repE0EEENS1_30default_config_static_selectorELNS0_4arch9wavefront6targetE0EEEvSY_
                                        ; -- End function
	.set _ZN7rocprim17ROCPRIM_400000_NS6detail17trampoline_kernelINS0_13select_configILj256ELj13ELNS0_17block_load_methodE3ELS4_3ELS4_3ELNS0_20block_scan_algorithmE0ELj4294967295EEENS1_25partition_config_selectorILNS1_17partition_subalgoE3EjNS0_10empty_typeEbEEZZNS1_14partition_implILS8_3ELb0ES6_jNS0_17counting_iteratorIjlEEPS9_SE_NS0_5tupleIJPjSE_EEENSF_IJSE_SE_EEES9_SG_JZNS1_25segmented_radix_sort_implINS0_14default_configELb0EPKsPsPKlPlN2at6native12_GLOBAL__N_18offset_tEEE10hipError_tPvRmT1_PNSt15iterator_traitsISY_E10value_typeET2_T3_PNSZ_IS14_E10value_typeET4_jRbjT5_S1A_jjP12ihipStream_tbEUljE_EEESV_SW_SX_S14_S18_S1A_T6_T7_T9_mT8_S1C_bDpT10_ENKUlT_T0_E_clISt17integral_constantIbLb1EES1P_EEDaS1K_S1L_EUlS1K_E_NS1_11comp_targetILNS1_3genE10ELNS1_11target_archE1200ELNS1_3gpuE4ELNS1_3repE0EEENS1_30default_config_static_selectorELNS0_4arch9wavefront6targetE0EEEvSY_.num_vgpr, 0
	.set _ZN7rocprim17ROCPRIM_400000_NS6detail17trampoline_kernelINS0_13select_configILj256ELj13ELNS0_17block_load_methodE3ELS4_3ELS4_3ELNS0_20block_scan_algorithmE0ELj4294967295EEENS1_25partition_config_selectorILNS1_17partition_subalgoE3EjNS0_10empty_typeEbEEZZNS1_14partition_implILS8_3ELb0ES6_jNS0_17counting_iteratorIjlEEPS9_SE_NS0_5tupleIJPjSE_EEENSF_IJSE_SE_EEES9_SG_JZNS1_25segmented_radix_sort_implINS0_14default_configELb0EPKsPsPKlPlN2at6native12_GLOBAL__N_18offset_tEEE10hipError_tPvRmT1_PNSt15iterator_traitsISY_E10value_typeET2_T3_PNSZ_IS14_E10value_typeET4_jRbjT5_S1A_jjP12ihipStream_tbEUljE_EEESV_SW_SX_S14_S18_S1A_T6_T7_T9_mT8_S1C_bDpT10_ENKUlT_T0_E_clISt17integral_constantIbLb1EES1P_EEDaS1K_S1L_EUlS1K_E_NS1_11comp_targetILNS1_3genE10ELNS1_11target_archE1200ELNS1_3gpuE4ELNS1_3repE0EEENS1_30default_config_static_selectorELNS0_4arch9wavefront6targetE0EEEvSY_.num_agpr, 0
	.set _ZN7rocprim17ROCPRIM_400000_NS6detail17trampoline_kernelINS0_13select_configILj256ELj13ELNS0_17block_load_methodE3ELS4_3ELS4_3ELNS0_20block_scan_algorithmE0ELj4294967295EEENS1_25partition_config_selectorILNS1_17partition_subalgoE3EjNS0_10empty_typeEbEEZZNS1_14partition_implILS8_3ELb0ES6_jNS0_17counting_iteratorIjlEEPS9_SE_NS0_5tupleIJPjSE_EEENSF_IJSE_SE_EEES9_SG_JZNS1_25segmented_radix_sort_implINS0_14default_configELb0EPKsPsPKlPlN2at6native12_GLOBAL__N_18offset_tEEE10hipError_tPvRmT1_PNSt15iterator_traitsISY_E10value_typeET2_T3_PNSZ_IS14_E10value_typeET4_jRbjT5_S1A_jjP12ihipStream_tbEUljE_EEESV_SW_SX_S14_S18_S1A_T6_T7_T9_mT8_S1C_bDpT10_ENKUlT_T0_E_clISt17integral_constantIbLb1EES1P_EEDaS1K_S1L_EUlS1K_E_NS1_11comp_targetILNS1_3genE10ELNS1_11target_archE1200ELNS1_3gpuE4ELNS1_3repE0EEENS1_30default_config_static_selectorELNS0_4arch9wavefront6targetE0EEEvSY_.numbered_sgpr, 0
	.set _ZN7rocprim17ROCPRIM_400000_NS6detail17trampoline_kernelINS0_13select_configILj256ELj13ELNS0_17block_load_methodE3ELS4_3ELS4_3ELNS0_20block_scan_algorithmE0ELj4294967295EEENS1_25partition_config_selectorILNS1_17partition_subalgoE3EjNS0_10empty_typeEbEEZZNS1_14partition_implILS8_3ELb0ES6_jNS0_17counting_iteratorIjlEEPS9_SE_NS0_5tupleIJPjSE_EEENSF_IJSE_SE_EEES9_SG_JZNS1_25segmented_radix_sort_implINS0_14default_configELb0EPKsPsPKlPlN2at6native12_GLOBAL__N_18offset_tEEE10hipError_tPvRmT1_PNSt15iterator_traitsISY_E10value_typeET2_T3_PNSZ_IS14_E10value_typeET4_jRbjT5_S1A_jjP12ihipStream_tbEUljE_EEESV_SW_SX_S14_S18_S1A_T6_T7_T9_mT8_S1C_bDpT10_ENKUlT_T0_E_clISt17integral_constantIbLb1EES1P_EEDaS1K_S1L_EUlS1K_E_NS1_11comp_targetILNS1_3genE10ELNS1_11target_archE1200ELNS1_3gpuE4ELNS1_3repE0EEENS1_30default_config_static_selectorELNS0_4arch9wavefront6targetE0EEEvSY_.num_named_barrier, 0
	.set _ZN7rocprim17ROCPRIM_400000_NS6detail17trampoline_kernelINS0_13select_configILj256ELj13ELNS0_17block_load_methodE3ELS4_3ELS4_3ELNS0_20block_scan_algorithmE0ELj4294967295EEENS1_25partition_config_selectorILNS1_17partition_subalgoE3EjNS0_10empty_typeEbEEZZNS1_14partition_implILS8_3ELb0ES6_jNS0_17counting_iteratorIjlEEPS9_SE_NS0_5tupleIJPjSE_EEENSF_IJSE_SE_EEES9_SG_JZNS1_25segmented_radix_sort_implINS0_14default_configELb0EPKsPsPKlPlN2at6native12_GLOBAL__N_18offset_tEEE10hipError_tPvRmT1_PNSt15iterator_traitsISY_E10value_typeET2_T3_PNSZ_IS14_E10value_typeET4_jRbjT5_S1A_jjP12ihipStream_tbEUljE_EEESV_SW_SX_S14_S18_S1A_T6_T7_T9_mT8_S1C_bDpT10_ENKUlT_T0_E_clISt17integral_constantIbLb1EES1P_EEDaS1K_S1L_EUlS1K_E_NS1_11comp_targetILNS1_3genE10ELNS1_11target_archE1200ELNS1_3gpuE4ELNS1_3repE0EEENS1_30default_config_static_selectorELNS0_4arch9wavefront6targetE0EEEvSY_.private_seg_size, 0
	.set _ZN7rocprim17ROCPRIM_400000_NS6detail17trampoline_kernelINS0_13select_configILj256ELj13ELNS0_17block_load_methodE3ELS4_3ELS4_3ELNS0_20block_scan_algorithmE0ELj4294967295EEENS1_25partition_config_selectorILNS1_17partition_subalgoE3EjNS0_10empty_typeEbEEZZNS1_14partition_implILS8_3ELb0ES6_jNS0_17counting_iteratorIjlEEPS9_SE_NS0_5tupleIJPjSE_EEENSF_IJSE_SE_EEES9_SG_JZNS1_25segmented_radix_sort_implINS0_14default_configELb0EPKsPsPKlPlN2at6native12_GLOBAL__N_18offset_tEEE10hipError_tPvRmT1_PNSt15iterator_traitsISY_E10value_typeET2_T3_PNSZ_IS14_E10value_typeET4_jRbjT5_S1A_jjP12ihipStream_tbEUljE_EEESV_SW_SX_S14_S18_S1A_T6_T7_T9_mT8_S1C_bDpT10_ENKUlT_T0_E_clISt17integral_constantIbLb1EES1P_EEDaS1K_S1L_EUlS1K_E_NS1_11comp_targetILNS1_3genE10ELNS1_11target_archE1200ELNS1_3gpuE4ELNS1_3repE0EEENS1_30default_config_static_selectorELNS0_4arch9wavefront6targetE0EEEvSY_.uses_vcc, 0
	.set _ZN7rocprim17ROCPRIM_400000_NS6detail17trampoline_kernelINS0_13select_configILj256ELj13ELNS0_17block_load_methodE3ELS4_3ELS4_3ELNS0_20block_scan_algorithmE0ELj4294967295EEENS1_25partition_config_selectorILNS1_17partition_subalgoE3EjNS0_10empty_typeEbEEZZNS1_14partition_implILS8_3ELb0ES6_jNS0_17counting_iteratorIjlEEPS9_SE_NS0_5tupleIJPjSE_EEENSF_IJSE_SE_EEES9_SG_JZNS1_25segmented_radix_sort_implINS0_14default_configELb0EPKsPsPKlPlN2at6native12_GLOBAL__N_18offset_tEEE10hipError_tPvRmT1_PNSt15iterator_traitsISY_E10value_typeET2_T3_PNSZ_IS14_E10value_typeET4_jRbjT5_S1A_jjP12ihipStream_tbEUljE_EEESV_SW_SX_S14_S18_S1A_T6_T7_T9_mT8_S1C_bDpT10_ENKUlT_T0_E_clISt17integral_constantIbLb1EES1P_EEDaS1K_S1L_EUlS1K_E_NS1_11comp_targetILNS1_3genE10ELNS1_11target_archE1200ELNS1_3gpuE4ELNS1_3repE0EEENS1_30default_config_static_selectorELNS0_4arch9wavefront6targetE0EEEvSY_.uses_flat_scratch, 0
	.set _ZN7rocprim17ROCPRIM_400000_NS6detail17trampoline_kernelINS0_13select_configILj256ELj13ELNS0_17block_load_methodE3ELS4_3ELS4_3ELNS0_20block_scan_algorithmE0ELj4294967295EEENS1_25partition_config_selectorILNS1_17partition_subalgoE3EjNS0_10empty_typeEbEEZZNS1_14partition_implILS8_3ELb0ES6_jNS0_17counting_iteratorIjlEEPS9_SE_NS0_5tupleIJPjSE_EEENSF_IJSE_SE_EEES9_SG_JZNS1_25segmented_radix_sort_implINS0_14default_configELb0EPKsPsPKlPlN2at6native12_GLOBAL__N_18offset_tEEE10hipError_tPvRmT1_PNSt15iterator_traitsISY_E10value_typeET2_T3_PNSZ_IS14_E10value_typeET4_jRbjT5_S1A_jjP12ihipStream_tbEUljE_EEESV_SW_SX_S14_S18_S1A_T6_T7_T9_mT8_S1C_bDpT10_ENKUlT_T0_E_clISt17integral_constantIbLb1EES1P_EEDaS1K_S1L_EUlS1K_E_NS1_11comp_targetILNS1_3genE10ELNS1_11target_archE1200ELNS1_3gpuE4ELNS1_3repE0EEENS1_30default_config_static_selectorELNS0_4arch9wavefront6targetE0EEEvSY_.has_dyn_sized_stack, 0
	.set _ZN7rocprim17ROCPRIM_400000_NS6detail17trampoline_kernelINS0_13select_configILj256ELj13ELNS0_17block_load_methodE3ELS4_3ELS4_3ELNS0_20block_scan_algorithmE0ELj4294967295EEENS1_25partition_config_selectorILNS1_17partition_subalgoE3EjNS0_10empty_typeEbEEZZNS1_14partition_implILS8_3ELb0ES6_jNS0_17counting_iteratorIjlEEPS9_SE_NS0_5tupleIJPjSE_EEENSF_IJSE_SE_EEES9_SG_JZNS1_25segmented_radix_sort_implINS0_14default_configELb0EPKsPsPKlPlN2at6native12_GLOBAL__N_18offset_tEEE10hipError_tPvRmT1_PNSt15iterator_traitsISY_E10value_typeET2_T3_PNSZ_IS14_E10value_typeET4_jRbjT5_S1A_jjP12ihipStream_tbEUljE_EEESV_SW_SX_S14_S18_S1A_T6_T7_T9_mT8_S1C_bDpT10_ENKUlT_T0_E_clISt17integral_constantIbLb1EES1P_EEDaS1K_S1L_EUlS1K_E_NS1_11comp_targetILNS1_3genE10ELNS1_11target_archE1200ELNS1_3gpuE4ELNS1_3repE0EEENS1_30default_config_static_selectorELNS0_4arch9wavefront6targetE0EEEvSY_.has_recursion, 0
	.set _ZN7rocprim17ROCPRIM_400000_NS6detail17trampoline_kernelINS0_13select_configILj256ELj13ELNS0_17block_load_methodE3ELS4_3ELS4_3ELNS0_20block_scan_algorithmE0ELj4294967295EEENS1_25partition_config_selectorILNS1_17partition_subalgoE3EjNS0_10empty_typeEbEEZZNS1_14partition_implILS8_3ELb0ES6_jNS0_17counting_iteratorIjlEEPS9_SE_NS0_5tupleIJPjSE_EEENSF_IJSE_SE_EEES9_SG_JZNS1_25segmented_radix_sort_implINS0_14default_configELb0EPKsPsPKlPlN2at6native12_GLOBAL__N_18offset_tEEE10hipError_tPvRmT1_PNSt15iterator_traitsISY_E10value_typeET2_T3_PNSZ_IS14_E10value_typeET4_jRbjT5_S1A_jjP12ihipStream_tbEUljE_EEESV_SW_SX_S14_S18_S1A_T6_T7_T9_mT8_S1C_bDpT10_ENKUlT_T0_E_clISt17integral_constantIbLb1EES1P_EEDaS1K_S1L_EUlS1K_E_NS1_11comp_targetILNS1_3genE10ELNS1_11target_archE1200ELNS1_3gpuE4ELNS1_3repE0EEENS1_30default_config_static_selectorELNS0_4arch9wavefront6targetE0EEEvSY_.has_indirect_call, 0
	.section	.AMDGPU.csdata,"",@progbits
; Kernel info:
; codeLenInByte = 0
; TotalNumSgprs: 0
; NumVgprs: 0
; ScratchSize: 0
; MemoryBound: 0
; FloatMode: 240
; IeeeMode: 1
; LDSByteSize: 0 bytes/workgroup (compile time only)
; SGPRBlocks: 0
; VGPRBlocks: 0
; NumSGPRsForWavesPerEU: 1
; NumVGPRsForWavesPerEU: 1
; Occupancy: 16
; WaveLimiterHint : 0
; COMPUTE_PGM_RSRC2:SCRATCH_EN: 0
; COMPUTE_PGM_RSRC2:USER_SGPR: 6
; COMPUTE_PGM_RSRC2:TRAP_HANDLER: 0
; COMPUTE_PGM_RSRC2:TGID_X_EN: 1
; COMPUTE_PGM_RSRC2:TGID_Y_EN: 0
; COMPUTE_PGM_RSRC2:TGID_Z_EN: 0
; COMPUTE_PGM_RSRC2:TIDIG_COMP_CNT: 0
	.section	.text._ZN7rocprim17ROCPRIM_400000_NS6detail17trampoline_kernelINS0_13select_configILj256ELj13ELNS0_17block_load_methodE3ELS4_3ELS4_3ELNS0_20block_scan_algorithmE0ELj4294967295EEENS1_25partition_config_selectorILNS1_17partition_subalgoE3EjNS0_10empty_typeEbEEZZNS1_14partition_implILS8_3ELb0ES6_jNS0_17counting_iteratorIjlEEPS9_SE_NS0_5tupleIJPjSE_EEENSF_IJSE_SE_EEES9_SG_JZNS1_25segmented_radix_sort_implINS0_14default_configELb0EPKsPsPKlPlN2at6native12_GLOBAL__N_18offset_tEEE10hipError_tPvRmT1_PNSt15iterator_traitsISY_E10value_typeET2_T3_PNSZ_IS14_E10value_typeET4_jRbjT5_S1A_jjP12ihipStream_tbEUljE_EEESV_SW_SX_S14_S18_S1A_T6_T7_T9_mT8_S1C_bDpT10_ENKUlT_T0_E_clISt17integral_constantIbLb1EES1P_EEDaS1K_S1L_EUlS1K_E_NS1_11comp_targetILNS1_3genE9ELNS1_11target_archE1100ELNS1_3gpuE3ELNS1_3repE0EEENS1_30default_config_static_selectorELNS0_4arch9wavefront6targetE0EEEvSY_,"axG",@progbits,_ZN7rocprim17ROCPRIM_400000_NS6detail17trampoline_kernelINS0_13select_configILj256ELj13ELNS0_17block_load_methodE3ELS4_3ELS4_3ELNS0_20block_scan_algorithmE0ELj4294967295EEENS1_25partition_config_selectorILNS1_17partition_subalgoE3EjNS0_10empty_typeEbEEZZNS1_14partition_implILS8_3ELb0ES6_jNS0_17counting_iteratorIjlEEPS9_SE_NS0_5tupleIJPjSE_EEENSF_IJSE_SE_EEES9_SG_JZNS1_25segmented_radix_sort_implINS0_14default_configELb0EPKsPsPKlPlN2at6native12_GLOBAL__N_18offset_tEEE10hipError_tPvRmT1_PNSt15iterator_traitsISY_E10value_typeET2_T3_PNSZ_IS14_E10value_typeET4_jRbjT5_S1A_jjP12ihipStream_tbEUljE_EEESV_SW_SX_S14_S18_S1A_T6_T7_T9_mT8_S1C_bDpT10_ENKUlT_T0_E_clISt17integral_constantIbLb1EES1P_EEDaS1K_S1L_EUlS1K_E_NS1_11comp_targetILNS1_3genE9ELNS1_11target_archE1100ELNS1_3gpuE3ELNS1_3repE0EEENS1_30default_config_static_selectorELNS0_4arch9wavefront6targetE0EEEvSY_,comdat
	.globl	_ZN7rocprim17ROCPRIM_400000_NS6detail17trampoline_kernelINS0_13select_configILj256ELj13ELNS0_17block_load_methodE3ELS4_3ELS4_3ELNS0_20block_scan_algorithmE0ELj4294967295EEENS1_25partition_config_selectorILNS1_17partition_subalgoE3EjNS0_10empty_typeEbEEZZNS1_14partition_implILS8_3ELb0ES6_jNS0_17counting_iteratorIjlEEPS9_SE_NS0_5tupleIJPjSE_EEENSF_IJSE_SE_EEES9_SG_JZNS1_25segmented_radix_sort_implINS0_14default_configELb0EPKsPsPKlPlN2at6native12_GLOBAL__N_18offset_tEEE10hipError_tPvRmT1_PNSt15iterator_traitsISY_E10value_typeET2_T3_PNSZ_IS14_E10value_typeET4_jRbjT5_S1A_jjP12ihipStream_tbEUljE_EEESV_SW_SX_S14_S18_S1A_T6_T7_T9_mT8_S1C_bDpT10_ENKUlT_T0_E_clISt17integral_constantIbLb1EES1P_EEDaS1K_S1L_EUlS1K_E_NS1_11comp_targetILNS1_3genE9ELNS1_11target_archE1100ELNS1_3gpuE3ELNS1_3repE0EEENS1_30default_config_static_selectorELNS0_4arch9wavefront6targetE0EEEvSY_ ; -- Begin function _ZN7rocprim17ROCPRIM_400000_NS6detail17trampoline_kernelINS0_13select_configILj256ELj13ELNS0_17block_load_methodE3ELS4_3ELS4_3ELNS0_20block_scan_algorithmE0ELj4294967295EEENS1_25partition_config_selectorILNS1_17partition_subalgoE3EjNS0_10empty_typeEbEEZZNS1_14partition_implILS8_3ELb0ES6_jNS0_17counting_iteratorIjlEEPS9_SE_NS0_5tupleIJPjSE_EEENSF_IJSE_SE_EEES9_SG_JZNS1_25segmented_radix_sort_implINS0_14default_configELb0EPKsPsPKlPlN2at6native12_GLOBAL__N_18offset_tEEE10hipError_tPvRmT1_PNSt15iterator_traitsISY_E10value_typeET2_T3_PNSZ_IS14_E10value_typeET4_jRbjT5_S1A_jjP12ihipStream_tbEUljE_EEESV_SW_SX_S14_S18_S1A_T6_T7_T9_mT8_S1C_bDpT10_ENKUlT_T0_E_clISt17integral_constantIbLb1EES1P_EEDaS1K_S1L_EUlS1K_E_NS1_11comp_targetILNS1_3genE9ELNS1_11target_archE1100ELNS1_3gpuE3ELNS1_3repE0EEENS1_30default_config_static_selectorELNS0_4arch9wavefront6targetE0EEEvSY_
	.p2align	8
	.type	_ZN7rocprim17ROCPRIM_400000_NS6detail17trampoline_kernelINS0_13select_configILj256ELj13ELNS0_17block_load_methodE3ELS4_3ELS4_3ELNS0_20block_scan_algorithmE0ELj4294967295EEENS1_25partition_config_selectorILNS1_17partition_subalgoE3EjNS0_10empty_typeEbEEZZNS1_14partition_implILS8_3ELb0ES6_jNS0_17counting_iteratorIjlEEPS9_SE_NS0_5tupleIJPjSE_EEENSF_IJSE_SE_EEES9_SG_JZNS1_25segmented_radix_sort_implINS0_14default_configELb0EPKsPsPKlPlN2at6native12_GLOBAL__N_18offset_tEEE10hipError_tPvRmT1_PNSt15iterator_traitsISY_E10value_typeET2_T3_PNSZ_IS14_E10value_typeET4_jRbjT5_S1A_jjP12ihipStream_tbEUljE_EEESV_SW_SX_S14_S18_S1A_T6_T7_T9_mT8_S1C_bDpT10_ENKUlT_T0_E_clISt17integral_constantIbLb1EES1P_EEDaS1K_S1L_EUlS1K_E_NS1_11comp_targetILNS1_3genE9ELNS1_11target_archE1100ELNS1_3gpuE3ELNS1_3repE0EEENS1_30default_config_static_selectorELNS0_4arch9wavefront6targetE0EEEvSY_,@function
_ZN7rocprim17ROCPRIM_400000_NS6detail17trampoline_kernelINS0_13select_configILj256ELj13ELNS0_17block_load_methodE3ELS4_3ELS4_3ELNS0_20block_scan_algorithmE0ELj4294967295EEENS1_25partition_config_selectorILNS1_17partition_subalgoE3EjNS0_10empty_typeEbEEZZNS1_14partition_implILS8_3ELb0ES6_jNS0_17counting_iteratorIjlEEPS9_SE_NS0_5tupleIJPjSE_EEENSF_IJSE_SE_EEES9_SG_JZNS1_25segmented_radix_sort_implINS0_14default_configELb0EPKsPsPKlPlN2at6native12_GLOBAL__N_18offset_tEEE10hipError_tPvRmT1_PNSt15iterator_traitsISY_E10value_typeET2_T3_PNSZ_IS14_E10value_typeET4_jRbjT5_S1A_jjP12ihipStream_tbEUljE_EEESV_SW_SX_S14_S18_S1A_T6_T7_T9_mT8_S1C_bDpT10_ENKUlT_T0_E_clISt17integral_constantIbLb1EES1P_EEDaS1K_S1L_EUlS1K_E_NS1_11comp_targetILNS1_3genE9ELNS1_11target_archE1100ELNS1_3gpuE3ELNS1_3repE0EEENS1_30default_config_static_selectorELNS0_4arch9wavefront6targetE0EEEvSY_: ; @_ZN7rocprim17ROCPRIM_400000_NS6detail17trampoline_kernelINS0_13select_configILj256ELj13ELNS0_17block_load_methodE3ELS4_3ELS4_3ELNS0_20block_scan_algorithmE0ELj4294967295EEENS1_25partition_config_selectorILNS1_17partition_subalgoE3EjNS0_10empty_typeEbEEZZNS1_14partition_implILS8_3ELb0ES6_jNS0_17counting_iteratorIjlEEPS9_SE_NS0_5tupleIJPjSE_EEENSF_IJSE_SE_EEES9_SG_JZNS1_25segmented_radix_sort_implINS0_14default_configELb0EPKsPsPKlPlN2at6native12_GLOBAL__N_18offset_tEEE10hipError_tPvRmT1_PNSt15iterator_traitsISY_E10value_typeET2_T3_PNSZ_IS14_E10value_typeET4_jRbjT5_S1A_jjP12ihipStream_tbEUljE_EEESV_SW_SX_S14_S18_S1A_T6_T7_T9_mT8_S1C_bDpT10_ENKUlT_T0_E_clISt17integral_constantIbLb1EES1P_EEDaS1K_S1L_EUlS1K_E_NS1_11comp_targetILNS1_3genE9ELNS1_11target_archE1100ELNS1_3gpuE3ELNS1_3repE0EEENS1_30default_config_static_selectorELNS0_4arch9wavefront6targetE0EEEvSY_
; %bb.0:
	.section	.rodata,"a",@progbits
	.p2align	6, 0x0
	.amdhsa_kernel _ZN7rocprim17ROCPRIM_400000_NS6detail17trampoline_kernelINS0_13select_configILj256ELj13ELNS0_17block_load_methodE3ELS4_3ELS4_3ELNS0_20block_scan_algorithmE0ELj4294967295EEENS1_25partition_config_selectorILNS1_17partition_subalgoE3EjNS0_10empty_typeEbEEZZNS1_14partition_implILS8_3ELb0ES6_jNS0_17counting_iteratorIjlEEPS9_SE_NS0_5tupleIJPjSE_EEENSF_IJSE_SE_EEES9_SG_JZNS1_25segmented_radix_sort_implINS0_14default_configELb0EPKsPsPKlPlN2at6native12_GLOBAL__N_18offset_tEEE10hipError_tPvRmT1_PNSt15iterator_traitsISY_E10value_typeET2_T3_PNSZ_IS14_E10value_typeET4_jRbjT5_S1A_jjP12ihipStream_tbEUljE_EEESV_SW_SX_S14_S18_S1A_T6_T7_T9_mT8_S1C_bDpT10_ENKUlT_T0_E_clISt17integral_constantIbLb1EES1P_EEDaS1K_S1L_EUlS1K_E_NS1_11comp_targetILNS1_3genE9ELNS1_11target_archE1100ELNS1_3gpuE3ELNS1_3repE0EEENS1_30default_config_static_selectorELNS0_4arch9wavefront6targetE0EEEvSY_
		.amdhsa_group_segment_fixed_size 0
		.amdhsa_private_segment_fixed_size 0
		.amdhsa_kernarg_size 152
		.amdhsa_user_sgpr_count 6
		.amdhsa_user_sgpr_private_segment_buffer 1
		.amdhsa_user_sgpr_dispatch_ptr 0
		.amdhsa_user_sgpr_queue_ptr 0
		.amdhsa_user_sgpr_kernarg_segment_ptr 1
		.amdhsa_user_sgpr_dispatch_id 0
		.amdhsa_user_sgpr_flat_scratch_init 0
		.amdhsa_user_sgpr_private_segment_size 0
		.amdhsa_wavefront_size32 1
		.amdhsa_uses_dynamic_stack 0
		.amdhsa_system_sgpr_private_segment_wavefront_offset 0
		.amdhsa_system_sgpr_workgroup_id_x 1
		.amdhsa_system_sgpr_workgroup_id_y 0
		.amdhsa_system_sgpr_workgroup_id_z 0
		.amdhsa_system_sgpr_workgroup_info 0
		.amdhsa_system_vgpr_workitem_id 0
		.amdhsa_next_free_vgpr 1
		.amdhsa_next_free_sgpr 1
		.amdhsa_reserve_vcc 0
		.amdhsa_reserve_flat_scratch 0
		.amdhsa_float_round_mode_32 0
		.amdhsa_float_round_mode_16_64 0
		.amdhsa_float_denorm_mode_32 3
		.amdhsa_float_denorm_mode_16_64 3
		.amdhsa_dx10_clamp 1
		.amdhsa_ieee_mode 1
		.amdhsa_fp16_overflow 0
		.amdhsa_workgroup_processor_mode 1
		.amdhsa_memory_ordered 1
		.amdhsa_forward_progress 1
		.amdhsa_shared_vgpr_count 0
		.amdhsa_exception_fp_ieee_invalid_op 0
		.amdhsa_exception_fp_denorm_src 0
		.amdhsa_exception_fp_ieee_div_zero 0
		.amdhsa_exception_fp_ieee_overflow 0
		.amdhsa_exception_fp_ieee_underflow 0
		.amdhsa_exception_fp_ieee_inexact 0
		.amdhsa_exception_int_div_zero 0
	.end_amdhsa_kernel
	.section	.text._ZN7rocprim17ROCPRIM_400000_NS6detail17trampoline_kernelINS0_13select_configILj256ELj13ELNS0_17block_load_methodE3ELS4_3ELS4_3ELNS0_20block_scan_algorithmE0ELj4294967295EEENS1_25partition_config_selectorILNS1_17partition_subalgoE3EjNS0_10empty_typeEbEEZZNS1_14partition_implILS8_3ELb0ES6_jNS0_17counting_iteratorIjlEEPS9_SE_NS0_5tupleIJPjSE_EEENSF_IJSE_SE_EEES9_SG_JZNS1_25segmented_radix_sort_implINS0_14default_configELb0EPKsPsPKlPlN2at6native12_GLOBAL__N_18offset_tEEE10hipError_tPvRmT1_PNSt15iterator_traitsISY_E10value_typeET2_T3_PNSZ_IS14_E10value_typeET4_jRbjT5_S1A_jjP12ihipStream_tbEUljE_EEESV_SW_SX_S14_S18_S1A_T6_T7_T9_mT8_S1C_bDpT10_ENKUlT_T0_E_clISt17integral_constantIbLb1EES1P_EEDaS1K_S1L_EUlS1K_E_NS1_11comp_targetILNS1_3genE9ELNS1_11target_archE1100ELNS1_3gpuE3ELNS1_3repE0EEENS1_30default_config_static_selectorELNS0_4arch9wavefront6targetE0EEEvSY_,"axG",@progbits,_ZN7rocprim17ROCPRIM_400000_NS6detail17trampoline_kernelINS0_13select_configILj256ELj13ELNS0_17block_load_methodE3ELS4_3ELS4_3ELNS0_20block_scan_algorithmE0ELj4294967295EEENS1_25partition_config_selectorILNS1_17partition_subalgoE3EjNS0_10empty_typeEbEEZZNS1_14partition_implILS8_3ELb0ES6_jNS0_17counting_iteratorIjlEEPS9_SE_NS0_5tupleIJPjSE_EEENSF_IJSE_SE_EEES9_SG_JZNS1_25segmented_radix_sort_implINS0_14default_configELb0EPKsPsPKlPlN2at6native12_GLOBAL__N_18offset_tEEE10hipError_tPvRmT1_PNSt15iterator_traitsISY_E10value_typeET2_T3_PNSZ_IS14_E10value_typeET4_jRbjT5_S1A_jjP12ihipStream_tbEUljE_EEESV_SW_SX_S14_S18_S1A_T6_T7_T9_mT8_S1C_bDpT10_ENKUlT_T0_E_clISt17integral_constantIbLb1EES1P_EEDaS1K_S1L_EUlS1K_E_NS1_11comp_targetILNS1_3genE9ELNS1_11target_archE1100ELNS1_3gpuE3ELNS1_3repE0EEENS1_30default_config_static_selectorELNS0_4arch9wavefront6targetE0EEEvSY_,comdat
.Lfunc_end989:
	.size	_ZN7rocprim17ROCPRIM_400000_NS6detail17trampoline_kernelINS0_13select_configILj256ELj13ELNS0_17block_load_methodE3ELS4_3ELS4_3ELNS0_20block_scan_algorithmE0ELj4294967295EEENS1_25partition_config_selectorILNS1_17partition_subalgoE3EjNS0_10empty_typeEbEEZZNS1_14partition_implILS8_3ELb0ES6_jNS0_17counting_iteratorIjlEEPS9_SE_NS0_5tupleIJPjSE_EEENSF_IJSE_SE_EEES9_SG_JZNS1_25segmented_radix_sort_implINS0_14default_configELb0EPKsPsPKlPlN2at6native12_GLOBAL__N_18offset_tEEE10hipError_tPvRmT1_PNSt15iterator_traitsISY_E10value_typeET2_T3_PNSZ_IS14_E10value_typeET4_jRbjT5_S1A_jjP12ihipStream_tbEUljE_EEESV_SW_SX_S14_S18_S1A_T6_T7_T9_mT8_S1C_bDpT10_ENKUlT_T0_E_clISt17integral_constantIbLb1EES1P_EEDaS1K_S1L_EUlS1K_E_NS1_11comp_targetILNS1_3genE9ELNS1_11target_archE1100ELNS1_3gpuE3ELNS1_3repE0EEENS1_30default_config_static_selectorELNS0_4arch9wavefront6targetE0EEEvSY_, .Lfunc_end989-_ZN7rocprim17ROCPRIM_400000_NS6detail17trampoline_kernelINS0_13select_configILj256ELj13ELNS0_17block_load_methodE3ELS4_3ELS4_3ELNS0_20block_scan_algorithmE0ELj4294967295EEENS1_25partition_config_selectorILNS1_17partition_subalgoE3EjNS0_10empty_typeEbEEZZNS1_14partition_implILS8_3ELb0ES6_jNS0_17counting_iteratorIjlEEPS9_SE_NS0_5tupleIJPjSE_EEENSF_IJSE_SE_EEES9_SG_JZNS1_25segmented_radix_sort_implINS0_14default_configELb0EPKsPsPKlPlN2at6native12_GLOBAL__N_18offset_tEEE10hipError_tPvRmT1_PNSt15iterator_traitsISY_E10value_typeET2_T3_PNSZ_IS14_E10value_typeET4_jRbjT5_S1A_jjP12ihipStream_tbEUljE_EEESV_SW_SX_S14_S18_S1A_T6_T7_T9_mT8_S1C_bDpT10_ENKUlT_T0_E_clISt17integral_constantIbLb1EES1P_EEDaS1K_S1L_EUlS1K_E_NS1_11comp_targetILNS1_3genE9ELNS1_11target_archE1100ELNS1_3gpuE3ELNS1_3repE0EEENS1_30default_config_static_selectorELNS0_4arch9wavefront6targetE0EEEvSY_
                                        ; -- End function
	.set _ZN7rocprim17ROCPRIM_400000_NS6detail17trampoline_kernelINS0_13select_configILj256ELj13ELNS0_17block_load_methodE3ELS4_3ELS4_3ELNS0_20block_scan_algorithmE0ELj4294967295EEENS1_25partition_config_selectorILNS1_17partition_subalgoE3EjNS0_10empty_typeEbEEZZNS1_14partition_implILS8_3ELb0ES6_jNS0_17counting_iteratorIjlEEPS9_SE_NS0_5tupleIJPjSE_EEENSF_IJSE_SE_EEES9_SG_JZNS1_25segmented_radix_sort_implINS0_14default_configELb0EPKsPsPKlPlN2at6native12_GLOBAL__N_18offset_tEEE10hipError_tPvRmT1_PNSt15iterator_traitsISY_E10value_typeET2_T3_PNSZ_IS14_E10value_typeET4_jRbjT5_S1A_jjP12ihipStream_tbEUljE_EEESV_SW_SX_S14_S18_S1A_T6_T7_T9_mT8_S1C_bDpT10_ENKUlT_T0_E_clISt17integral_constantIbLb1EES1P_EEDaS1K_S1L_EUlS1K_E_NS1_11comp_targetILNS1_3genE9ELNS1_11target_archE1100ELNS1_3gpuE3ELNS1_3repE0EEENS1_30default_config_static_selectorELNS0_4arch9wavefront6targetE0EEEvSY_.num_vgpr, 0
	.set _ZN7rocprim17ROCPRIM_400000_NS6detail17trampoline_kernelINS0_13select_configILj256ELj13ELNS0_17block_load_methodE3ELS4_3ELS4_3ELNS0_20block_scan_algorithmE0ELj4294967295EEENS1_25partition_config_selectorILNS1_17partition_subalgoE3EjNS0_10empty_typeEbEEZZNS1_14partition_implILS8_3ELb0ES6_jNS0_17counting_iteratorIjlEEPS9_SE_NS0_5tupleIJPjSE_EEENSF_IJSE_SE_EEES9_SG_JZNS1_25segmented_radix_sort_implINS0_14default_configELb0EPKsPsPKlPlN2at6native12_GLOBAL__N_18offset_tEEE10hipError_tPvRmT1_PNSt15iterator_traitsISY_E10value_typeET2_T3_PNSZ_IS14_E10value_typeET4_jRbjT5_S1A_jjP12ihipStream_tbEUljE_EEESV_SW_SX_S14_S18_S1A_T6_T7_T9_mT8_S1C_bDpT10_ENKUlT_T0_E_clISt17integral_constantIbLb1EES1P_EEDaS1K_S1L_EUlS1K_E_NS1_11comp_targetILNS1_3genE9ELNS1_11target_archE1100ELNS1_3gpuE3ELNS1_3repE0EEENS1_30default_config_static_selectorELNS0_4arch9wavefront6targetE0EEEvSY_.num_agpr, 0
	.set _ZN7rocprim17ROCPRIM_400000_NS6detail17trampoline_kernelINS0_13select_configILj256ELj13ELNS0_17block_load_methodE3ELS4_3ELS4_3ELNS0_20block_scan_algorithmE0ELj4294967295EEENS1_25partition_config_selectorILNS1_17partition_subalgoE3EjNS0_10empty_typeEbEEZZNS1_14partition_implILS8_3ELb0ES6_jNS0_17counting_iteratorIjlEEPS9_SE_NS0_5tupleIJPjSE_EEENSF_IJSE_SE_EEES9_SG_JZNS1_25segmented_radix_sort_implINS0_14default_configELb0EPKsPsPKlPlN2at6native12_GLOBAL__N_18offset_tEEE10hipError_tPvRmT1_PNSt15iterator_traitsISY_E10value_typeET2_T3_PNSZ_IS14_E10value_typeET4_jRbjT5_S1A_jjP12ihipStream_tbEUljE_EEESV_SW_SX_S14_S18_S1A_T6_T7_T9_mT8_S1C_bDpT10_ENKUlT_T0_E_clISt17integral_constantIbLb1EES1P_EEDaS1K_S1L_EUlS1K_E_NS1_11comp_targetILNS1_3genE9ELNS1_11target_archE1100ELNS1_3gpuE3ELNS1_3repE0EEENS1_30default_config_static_selectorELNS0_4arch9wavefront6targetE0EEEvSY_.numbered_sgpr, 0
	.set _ZN7rocprim17ROCPRIM_400000_NS6detail17trampoline_kernelINS0_13select_configILj256ELj13ELNS0_17block_load_methodE3ELS4_3ELS4_3ELNS0_20block_scan_algorithmE0ELj4294967295EEENS1_25partition_config_selectorILNS1_17partition_subalgoE3EjNS0_10empty_typeEbEEZZNS1_14partition_implILS8_3ELb0ES6_jNS0_17counting_iteratorIjlEEPS9_SE_NS0_5tupleIJPjSE_EEENSF_IJSE_SE_EEES9_SG_JZNS1_25segmented_radix_sort_implINS0_14default_configELb0EPKsPsPKlPlN2at6native12_GLOBAL__N_18offset_tEEE10hipError_tPvRmT1_PNSt15iterator_traitsISY_E10value_typeET2_T3_PNSZ_IS14_E10value_typeET4_jRbjT5_S1A_jjP12ihipStream_tbEUljE_EEESV_SW_SX_S14_S18_S1A_T6_T7_T9_mT8_S1C_bDpT10_ENKUlT_T0_E_clISt17integral_constantIbLb1EES1P_EEDaS1K_S1L_EUlS1K_E_NS1_11comp_targetILNS1_3genE9ELNS1_11target_archE1100ELNS1_3gpuE3ELNS1_3repE0EEENS1_30default_config_static_selectorELNS0_4arch9wavefront6targetE0EEEvSY_.num_named_barrier, 0
	.set _ZN7rocprim17ROCPRIM_400000_NS6detail17trampoline_kernelINS0_13select_configILj256ELj13ELNS0_17block_load_methodE3ELS4_3ELS4_3ELNS0_20block_scan_algorithmE0ELj4294967295EEENS1_25partition_config_selectorILNS1_17partition_subalgoE3EjNS0_10empty_typeEbEEZZNS1_14partition_implILS8_3ELb0ES6_jNS0_17counting_iteratorIjlEEPS9_SE_NS0_5tupleIJPjSE_EEENSF_IJSE_SE_EEES9_SG_JZNS1_25segmented_radix_sort_implINS0_14default_configELb0EPKsPsPKlPlN2at6native12_GLOBAL__N_18offset_tEEE10hipError_tPvRmT1_PNSt15iterator_traitsISY_E10value_typeET2_T3_PNSZ_IS14_E10value_typeET4_jRbjT5_S1A_jjP12ihipStream_tbEUljE_EEESV_SW_SX_S14_S18_S1A_T6_T7_T9_mT8_S1C_bDpT10_ENKUlT_T0_E_clISt17integral_constantIbLb1EES1P_EEDaS1K_S1L_EUlS1K_E_NS1_11comp_targetILNS1_3genE9ELNS1_11target_archE1100ELNS1_3gpuE3ELNS1_3repE0EEENS1_30default_config_static_selectorELNS0_4arch9wavefront6targetE0EEEvSY_.private_seg_size, 0
	.set _ZN7rocprim17ROCPRIM_400000_NS6detail17trampoline_kernelINS0_13select_configILj256ELj13ELNS0_17block_load_methodE3ELS4_3ELS4_3ELNS0_20block_scan_algorithmE0ELj4294967295EEENS1_25partition_config_selectorILNS1_17partition_subalgoE3EjNS0_10empty_typeEbEEZZNS1_14partition_implILS8_3ELb0ES6_jNS0_17counting_iteratorIjlEEPS9_SE_NS0_5tupleIJPjSE_EEENSF_IJSE_SE_EEES9_SG_JZNS1_25segmented_radix_sort_implINS0_14default_configELb0EPKsPsPKlPlN2at6native12_GLOBAL__N_18offset_tEEE10hipError_tPvRmT1_PNSt15iterator_traitsISY_E10value_typeET2_T3_PNSZ_IS14_E10value_typeET4_jRbjT5_S1A_jjP12ihipStream_tbEUljE_EEESV_SW_SX_S14_S18_S1A_T6_T7_T9_mT8_S1C_bDpT10_ENKUlT_T0_E_clISt17integral_constantIbLb1EES1P_EEDaS1K_S1L_EUlS1K_E_NS1_11comp_targetILNS1_3genE9ELNS1_11target_archE1100ELNS1_3gpuE3ELNS1_3repE0EEENS1_30default_config_static_selectorELNS0_4arch9wavefront6targetE0EEEvSY_.uses_vcc, 0
	.set _ZN7rocprim17ROCPRIM_400000_NS6detail17trampoline_kernelINS0_13select_configILj256ELj13ELNS0_17block_load_methodE3ELS4_3ELS4_3ELNS0_20block_scan_algorithmE0ELj4294967295EEENS1_25partition_config_selectorILNS1_17partition_subalgoE3EjNS0_10empty_typeEbEEZZNS1_14partition_implILS8_3ELb0ES6_jNS0_17counting_iteratorIjlEEPS9_SE_NS0_5tupleIJPjSE_EEENSF_IJSE_SE_EEES9_SG_JZNS1_25segmented_radix_sort_implINS0_14default_configELb0EPKsPsPKlPlN2at6native12_GLOBAL__N_18offset_tEEE10hipError_tPvRmT1_PNSt15iterator_traitsISY_E10value_typeET2_T3_PNSZ_IS14_E10value_typeET4_jRbjT5_S1A_jjP12ihipStream_tbEUljE_EEESV_SW_SX_S14_S18_S1A_T6_T7_T9_mT8_S1C_bDpT10_ENKUlT_T0_E_clISt17integral_constantIbLb1EES1P_EEDaS1K_S1L_EUlS1K_E_NS1_11comp_targetILNS1_3genE9ELNS1_11target_archE1100ELNS1_3gpuE3ELNS1_3repE0EEENS1_30default_config_static_selectorELNS0_4arch9wavefront6targetE0EEEvSY_.uses_flat_scratch, 0
	.set _ZN7rocprim17ROCPRIM_400000_NS6detail17trampoline_kernelINS0_13select_configILj256ELj13ELNS0_17block_load_methodE3ELS4_3ELS4_3ELNS0_20block_scan_algorithmE0ELj4294967295EEENS1_25partition_config_selectorILNS1_17partition_subalgoE3EjNS0_10empty_typeEbEEZZNS1_14partition_implILS8_3ELb0ES6_jNS0_17counting_iteratorIjlEEPS9_SE_NS0_5tupleIJPjSE_EEENSF_IJSE_SE_EEES9_SG_JZNS1_25segmented_radix_sort_implINS0_14default_configELb0EPKsPsPKlPlN2at6native12_GLOBAL__N_18offset_tEEE10hipError_tPvRmT1_PNSt15iterator_traitsISY_E10value_typeET2_T3_PNSZ_IS14_E10value_typeET4_jRbjT5_S1A_jjP12ihipStream_tbEUljE_EEESV_SW_SX_S14_S18_S1A_T6_T7_T9_mT8_S1C_bDpT10_ENKUlT_T0_E_clISt17integral_constantIbLb1EES1P_EEDaS1K_S1L_EUlS1K_E_NS1_11comp_targetILNS1_3genE9ELNS1_11target_archE1100ELNS1_3gpuE3ELNS1_3repE0EEENS1_30default_config_static_selectorELNS0_4arch9wavefront6targetE0EEEvSY_.has_dyn_sized_stack, 0
	.set _ZN7rocprim17ROCPRIM_400000_NS6detail17trampoline_kernelINS0_13select_configILj256ELj13ELNS0_17block_load_methodE3ELS4_3ELS4_3ELNS0_20block_scan_algorithmE0ELj4294967295EEENS1_25partition_config_selectorILNS1_17partition_subalgoE3EjNS0_10empty_typeEbEEZZNS1_14partition_implILS8_3ELb0ES6_jNS0_17counting_iteratorIjlEEPS9_SE_NS0_5tupleIJPjSE_EEENSF_IJSE_SE_EEES9_SG_JZNS1_25segmented_radix_sort_implINS0_14default_configELb0EPKsPsPKlPlN2at6native12_GLOBAL__N_18offset_tEEE10hipError_tPvRmT1_PNSt15iterator_traitsISY_E10value_typeET2_T3_PNSZ_IS14_E10value_typeET4_jRbjT5_S1A_jjP12ihipStream_tbEUljE_EEESV_SW_SX_S14_S18_S1A_T6_T7_T9_mT8_S1C_bDpT10_ENKUlT_T0_E_clISt17integral_constantIbLb1EES1P_EEDaS1K_S1L_EUlS1K_E_NS1_11comp_targetILNS1_3genE9ELNS1_11target_archE1100ELNS1_3gpuE3ELNS1_3repE0EEENS1_30default_config_static_selectorELNS0_4arch9wavefront6targetE0EEEvSY_.has_recursion, 0
	.set _ZN7rocprim17ROCPRIM_400000_NS6detail17trampoline_kernelINS0_13select_configILj256ELj13ELNS0_17block_load_methodE3ELS4_3ELS4_3ELNS0_20block_scan_algorithmE0ELj4294967295EEENS1_25partition_config_selectorILNS1_17partition_subalgoE3EjNS0_10empty_typeEbEEZZNS1_14partition_implILS8_3ELb0ES6_jNS0_17counting_iteratorIjlEEPS9_SE_NS0_5tupleIJPjSE_EEENSF_IJSE_SE_EEES9_SG_JZNS1_25segmented_radix_sort_implINS0_14default_configELb0EPKsPsPKlPlN2at6native12_GLOBAL__N_18offset_tEEE10hipError_tPvRmT1_PNSt15iterator_traitsISY_E10value_typeET2_T3_PNSZ_IS14_E10value_typeET4_jRbjT5_S1A_jjP12ihipStream_tbEUljE_EEESV_SW_SX_S14_S18_S1A_T6_T7_T9_mT8_S1C_bDpT10_ENKUlT_T0_E_clISt17integral_constantIbLb1EES1P_EEDaS1K_S1L_EUlS1K_E_NS1_11comp_targetILNS1_3genE9ELNS1_11target_archE1100ELNS1_3gpuE3ELNS1_3repE0EEENS1_30default_config_static_selectorELNS0_4arch9wavefront6targetE0EEEvSY_.has_indirect_call, 0
	.section	.AMDGPU.csdata,"",@progbits
; Kernel info:
; codeLenInByte = 0
; TotalNumSgprs: 0
; NumVgprs: 0
; ScratchSize: 0
; MemoryBound: 0
; FloatMode: 240
; IeeeMode: 1
; LDSByteSize: 0 bytes/workgroup (compile time only)
; SGPRBlocks: 0
; VGPRBlocks: 0
; NumSGPRsForWavesPerEU: 1
; NumVGPRsForWavesPerEU: 1
; Occupancy: 16
; WaveLimiterHint : 0
; COMPUTE_PGM_RSRC2:SCRATCH_EN: 0
; COMPUTE_PGM_RSRC2:USER_SGPR: 6
; COMPUTE_PGM_RSRC2:TRAP_HANDLER: 0
; COMPUTE_PGM_RSRC2:TGID_X_EN: 1
; COMPUTE_PGM_RSRC2:TGID_Y_EN: 0
; COMPUTE_PGM_RSRC2:TGID_Z_EN: 0
; COMPUTE_PGM_RSRC2:TIDIG_COMP_CNT: 0
	.section	.text._ZN7rocprim17ROCPRIM_400000_NS6detail17trampoline_kernelINS0_13select_configILj256ELj13ELNS0_17block_load_methodE3ELS4_3ELS4_3ELNS0_20block_scan_algorithmE0ELj4294967295EEENS1_25partition_config_selectorILNS1_17partition_subalgoE3EjNS0_10empty_typeEbEEZZNS1_14partition_implILS8_3ELb0ES6_jNS0_17counting_iteratorIjlEEPS9_SE_NS0_5tupleIJPjSE_EEENSF_IJSE_SE_EEES9_SG_JZNS1_25segmented_radix_sort_implINS0_14default_configELb0EPKsPsPKlPlN2at6native12_GLOBAL__N_18offset_tEEE10hipError_tPvRmT1_PNSt15iterator_traitsISY_E10value_typeET2_T3_PNSZ_IS14_E10value_typeET4_jRbjT5_S1A_jjP12ihipStream_tbEUljE_EEESV_SW_SX_S14_S18_S1A_T6_T7_T9_mT8_S1C_bDpT10_ENKUlT_T0_E_clISt17integral_constantIbLb1EES1P_EEDaS1K_S1L_EUlS1K_E_NS1_11comp_targetILNS1_3genE8ELNS1_11target_archE1030ELNS1_3gpuE2ELNS1_3repE0EEENS1_30default_config_static_selectorELNS0_4arch9wavefront6targetE0EEEvSY_,"axG",@progbits,_ZN7rocprim17ROCPRIM_400000_NS6detail17trampoline_kernelINS0_13select_configILj256ELj13ELNS0_17block_load_methodE3ELS4_3ELS4_3ELNS0_20block_scan_algorithmE0ELj4294967295EEENS1_25partition_config_selectorILNS1_17partition_subalgoE3EjNS0_10empty_typeEbEEZZNS1_14partition_implILS8_3ELb0ES6_jNS0_17counting_iteratorIjlEEPS9_SE_NS0_5tupleIJPjSE_EEENSF_IJSE_SE_EEES9_SG_JZNS1_25segmented_radix_sort_implINS0_14default_configELb0EPKsPsPKlPlN2at6native12_GLOBAL__N_18offset_tEEE10hipError_tPvRmT1_PNSt15iterator_traitsISY_E10value_typeET2_T3_PNSZ_IS14_E10value_typeET4_jRbjT5_S1A_jjP12ihipStream_tbEUljE_EEESV_SW_SX_S14_S18_S1A_T6_T7_T9_mT8_S1C_bDpT10_ENKUlT_T0_E_clISt17integral_constantIbLb1EES1P_EEDaS1K_S1L_EUlS1K_E_NS1_11comp_targetILNS1_3genE8ELNS1_11target_archE1030ELNS1_3gpuE2ELNS1_3repE0EEENS1_30default_config_static_selectorELNS0_4arch9wavefront6targetE0EEEvSY_,comdat
	.globl	_ZN7rocprim17ROCPRIM_400000_NS6detail17trampoline_kernelINS0_13select_configILj256ELj13ELNS0_17block_load_methodE3ELS4_3ELS4_3ELNS0_20block_scan_algorithmE0ELj4294967295EEENS1_25partition_config_selectorILNS1_17partition_subalgoE3EjNS0_10empty_typeEbEEZZNS1_14partition_implILS8_3ELb0ES6_jNS0_17counting_iteratorIjlEEPS9_SE_NS0_5tupleIJPjSE_EEENSF_IJSE_SE_EEES9_SG_JZNS1_25segmented_radix_sort_implINS0_14default_configELb0EPKsPsPKlPlN2at6native12_GLOBAL__N_18offset_tEEE10hipError_tPvRmT1_PNSt15iterator_traitsISY_E10value_typeET2_T3_PNSZ_IS14_E10value_typeET4_jRbjT5_S1A_jjP12ihipStream_tbEUljE_EEESV_SW_SX_S14_S18_S1A_T6_T7_T9_mT8_S1C_bDpT10_ENKUlT_T0_E_clISt17integral_constantIbLb1EES1P_EEDaS1K_S1L_EUlS1K_E_NS1_11comp_targetILNS1_3genE8ELNS1_11target_archE1030ELNS1_3gpuE2ELNS1_3repE0EEENS1_30default_config_static_selectorELNS0_4arch9wavefront6targetE0EEEvSY_ ; -- Begin function _ZN7rocprim17ROCPRIM_400000_NS6detail17trampoline_kernelINS0_13select_configILj256ELj13ELNS0_17block_load_methodE3ELS4_3ELS4_3ELNS0_20block_scan_algorithmE0ELj4294967295EEENS1_25partition_config_selectorILNS1_17partition_subalgoE3EjNS0_10empty_typeEbEEZZNS1_14partition_implILS8_3ELb0ES6_jNS0_17counting_iteratorIjlEEPS9_SE_NS0_5tupleIJPjSE_EEENSF_IJSE_SE_EEES9_SG_JZNS1_25segmented_radix_sort_implINS0_14default_configELb0EPKsPsPKlPlN2at6native12_GLOBAL__N_18offset_tEEE10hipError_tPvRmT1_PNSt15iterator_traitsISY_E10value_typeET2_T3_PNSZ_IS14_E10value_typeET4_jRbjT5_S1A_jjP12ihipStream_tbEUljE_EEESV_SW_SX_S14_S18_S1A_T6_T7_T9_mT8_S1C_bDpT10_ENKUlT_T0_E_clISt17integral_constantIbLb1EES1P_EEDaS1K_S1L_EUlS1K_E_NS1_11comp_targetILNS1_3genE8ELNS1_11target_archE1030ELNS1_3gpuE2ELNS1_3repE0EEENS1_30default_config_static_selectorELNS0_4arch9wavefront6targetE0EEEvSY_
	.p2align	8
	.type	_ZN7rocprim17ROCPRIM_400000_NS6detail17trampoline_kernelINS0_13select_configILj256ELj13ELNS0_17block_load_methodE3ELS4_3ELS4_3ELNS0_20block_scan_algorithmE0ELj4294967295EEENS1_25partition_config_selectorILNS1_17partition_subalgoE3EjNS0_10empty_typeEbEEZZNS1_14partition_implILS8_3ELb0ES6_jNS0_17counting_iteratorIjlEEPS9_SE_NS0_5tupleIJPjSE_EEENSF_IJSE_SE_EEES9_SG_JZNS1_25segmented_radix_sort_implINS0_14default_configELb0EPKsPsPKlPlN2at6native12_GLOBAL__N_18offset_tEEE10hipError_tPvRmT1_PNSt15iterator_traitsISY_E10value_typeET2_T3_PNSZ_IS14_E10value_typeET4_jRbjT5_S1A_jjP12ihipStream_tbEUljE_EEESV_SW_SX_S14_S18_S1A_T6_T7_T9_mT8_S1C_bDpT10_ENKUlT_T0_E_clISt17integral_constantIbLb1EES1P_EEDaS1K_S1L_EUlS1K_E_NS1_11comp_targetILNS1_3genE8ELNS1_11target_archE1030ELNS1_3gpuE2ELNS1_3repE0EEENS1_30default_config_static_selectorELNS0_4arch9wavefront6targetE0EEEvSY_,@function
_ZN7rocprim17ROCPRIM_400000_NS6detail17trampoline_kernelINS0_13select_configILj256ELj13ELNS0_17block_load_methodE3ELS4_3ELS4_3ELNS0_20block_scan_algorithmE0ELj4294967295EEENS1_25partition_config_selectorILNS1_17partition_subalgoE3EjNS0_10empty_typeEbEEZZNS1_14partition_implILS8_3ELb0ES6_jNS0_17counting_iteratorIjlEEPS9_SE_NS0_5tupleIJPjSE_EEENSF_IJSE_SE_EEES9_SG_JZNS1_25segmented_radix_sort_implINS0_14default_configELb0EPKsPsPKlPlN2at6native12_GLOBAL__N_18offset_tEEE10hipError_tPvRmT1_PNSt15iterator_traitsISY_E10value_typeET2_T3_PNSZ_IS14_E10value_typeET4_jRbjT5_S1A_jjP12ihipStream_tbEUljE_EEESV_SW_SX_S14_S18_S1A_T6_T7_T9_mT8_S1C_bDpT10_ENKUlT_T0_E_clISt17integral_constantIbLb1EES1P_EEDaS1K_S1L_EUlS1K_E_NS1_11comp_targetILNS1_3genE8ELNS1_11target_archE1030ELNS1_3gpuE2ELNS1_3repE0EEENS1_30default_config_static_selectorELNS0_4arch9wavefront6targetE0EEEvSY_: ; @_ZN7rocprim17ROCPRIM_400000_NS6detail17trampoline_kernelINS0_13select_configILj256ELj13ELNS0_17block_load_methodE3ELS4_3ELS4_3ELNS0_20block_scan_algorithmE0ELj4294967295EEENS1_25partition_config_selectorILNS1_17partition_subalgoE3EjNS0_10empty_typeEbEEZZNS1_14partition_implILS8_3ELb0ES6_jNS0_17counting_iteratorIjlEEPS9_SE_NS0_5tupleIJPjSE_EEENSF_IJSE_SE_EEES9_SG_JZNS1_25segmented_radix_sort_implINS0_14default_configELb0EPKsPsPKlPlN2at6native12_GLOBAL__N_18offset_tEEE10hipError_tPvRmT1_PNSt15iterator_traitsISY_E10value_typeET2_T3_PNSZ_IS14_E10value_typeET4_jRbjT5_S1A_jjP12ihipStream_tbEUljE_EEESV_SW_SX_S14_S18_S1A_T6_T7_T9_mT8_S1C_bDpT10_ENKUlT_T0_E_clISt17integral_constantIbLb1EES1P_EEDaS1K_S1L_EUlS1K_E_NS1_11comp_targetILNS1_3genE8ELNS1_11target_archE1030ELNS1_3gpuE2ELNS1_3repE0EEENS1_30default_config_static_selectorELNS0_4arch9wavefront6targetE0EEEvSY_
; %bb.0:
	s_endpgm
	.section	.rodata,"a",@progbits
	.p2align	6, 0x0
	.amdhsa_kernel _ZN7rocprim17ROCPRIM_400000_NS6detail17trampoline_kernelINS0_13select_configILj256ELj13ELNS0_17block_load_methodE3ELS4_3ELS4_3ELNS0_20block_scan_algorithmE0ELj4294967295EEENS1_25partition_config_selectorILNS1_17partition_subalgoE3EjNS0_10empty_typeEbEEZZNS1_14partition_implILS8_3ELb0ES6_jNS0_17counting_iteratorIjlEEPS9_SE_NS0_5tupleIJPjSE_EEENSF_IJSE_SE_EEES9_SG_JZNS1_25segmented_radix_sort_implINS0_14default_configELb0EPKsPsPKlPlN2at6native12_GLOBAL__N_18offset_tEEE10hipError_tPvRmT1_PNSt15iterator_traitsISY_E10value_typeET2_T3_PNSZ_IS14_E10value_typeET4_jRbjT5_S1A_jjP12ihipStream_tbEUljE_EEESV_SW_SX_S14_S18_S1A_T6_T7_T9_mT8_S1C_bDpT10_ENKUlT_T0_E_clISt17integral_constantIbLb1EES1P_EEDaS1K_S1L_EUlS1K_E_NS1_11comp_targetILNS1_3genE8ELNS1_11target_archE1030ELNS1_3gpuE2ELNS1_3repE0EEENS1_30default_config_static_selectorELNS0_4arch9wavefront6targetE0EEEvSY_
		.amdhsa_group_segment_fixed_size 0
		.amdhsa_private_segment_fixed_size 0
		.amdhsa_kernarg_size 152
		.amdhsa_user_sgpr_count 6
		.amdhsa_user_sgpr_private_segment_buffer 1
		.amdhsa_user_sgpr_dispatch_ptr 0
		.amdhsa_user_sgpr_queue_ptr 0
		.amdhsa_user_sgpr_kernarg_segment_ptr 1
		.amdhsa_user_sgpr_dispatch_id 0
		.amdhsa_user_sgpr_flat_scratch_init 0
		.amdhsa_user_sgpr_private_segment_size 0
		.amdhsa_wavefront_size32 1
		.amdhsa_uses_dynamic_stack 0
		.amdhsa_system_sgpr_private_segment_wavefront_offset 0
		.amdhsa_system_sgpr_workgroup_id_x 1
		.amdhsa_system_sgpr_workgroup_id_y 0
		.amdhsa_system_sgpr_workgroup_id_z 0
		.amdhsa_system_sgpr_workgroup_info 0
		.amdhsa_system_vgpr_workitem_id 0
		.amdhsa_next_free_vgpr 1
		.amdhsa_next_free_sgpr 1
		.amdhsa_reserve_vcc 0
		.amdhsa_reserve_flat_scratch 0
		.amdhsa_float_round_mode_32 0
		.amdhsa_float_round_mode_16_64 0
		.amdhsa_float_denorm_mode_32 3
		.amdhsa_float_denorm_mode_16_64 3
		.amdhsa_dx10_clamp 1
		.amdhsa_ieee_mode 1
		.amdhsa_fp16_overflow 0
		.amdhsa_workgroup_processor_mode 1
		.amdhsa_memory_ordered 1
		.amdhsa_forward_progress 1
		.amdhsa_shared_vgpr_count 0
		.amdhsa_exception_fp_ieee_invalid_op 0
		.amdhsa_exception_fp_denorm_src 0
		.amdhsa_exception_fp_ieee_div_zero 0
		.amdhsa_exception_fp_ieee_overflow 0
		.amdhsa_exception_fp_ieee_underflow 0
		.amdhsa_exception_fp_ieee_inexact 0
		.amdhsa_exception_int_div_zero 0
	.end_amdhsa_kernel
	.section	.text._ZN7rocprim17ROCPRIM_400000_NS6detail17trampoline_kernelINS0_13select_configILj256ELj13ELNS0_17block_load_methodE3ELS4_3ELS4_3ELNS0_20block_scan_algorithmE0ELj4294967295EEENS1_25partition_config_selectorILNS1_17partition_subalgoE3EjNS0_10empty_typeEbEEZZNS1_14partition_implILS8_3ELb0ES6_jNS0_17counting_iteratorIjlEEPS9_SE_NS0_5tupleIJPjSE_EEENSF_IJSE_SE_EEES9_SG_JZNS1_25segmented_radix_sort_implINS0_14default_configELb0EPKsPsPKlPlN2at6native12_GLOBAL__N_18offset_tEEE10hipError_tPvRmT1_PNSt15iterator_traitsISY_E10value_typeET2_T3_PNSZ_IS14_E10value_typeET4_jRbjT5_S1A_jjP12ihipStream_tbEUljE_EEESV_SW_SX_S14_S18_S1A_T6_T7_T9_mT8_S1C_bDpT10_ENKUlT_T0_E_clISt17integral_constantIbLb1EES1P_EEDaS1K_S1L_EUlS1K_E_NS1_11comp_targetILNS1_3genE8ELNS1_11target_archE1030ELNS1_3gpuE2ELNS1_3repE0EEENS1_30default_config_static_selectorELNS0_4arch9wavefront6targetE0EEEvSY_,"axG",@progbits,_ZN7rocprim17ROCPRIM_400000_NS6detail17trampoline_kernelINS0_13select_configILj256ELj13ELNS0_17block_load_methodE3ELS4_3ELS4_3ELNS0_20block_scan_algorithmE0ELj4294967295EEENS1_25partition_config_selectorILNS1_17partition_subalgoE3EjNS0_10empty_typeEbEEZZNS1_14partition_implILS8_3ELb0ES6_jNS0_17counting_iteratorIjlEEPS9_SE_NS0_5tupleIJPjSE_EEENSF_IJSE_SE_EEES9_SG_JZNS1_25segmented_radix_sort_implINS0_14default_configELb0EPKsPsPKlPlN2at6native12_GLOBAL__N_18offset_tEEE10hipError_tPvRmT1_PNSt15iterator_traitsISY_E10value_typeET2_T3_PNSZ_IS14_E10value_typeET4_jRbjT5_S1A_jjP12ihipStream_tbEUljE_EEESV_SW_SX_S14_S18_S1A_T6_T7_T9_mT8_S1C_bDpT10_ENKUlT_T0_E_clISt17integral_constantIbLb1EES1P_EEDaS1K_S1L_EUlS1K_E_NS1_11comp_targetILNS1_3genE8ELNS1_11target_archE1030ELNS1_3gpuE2ELNS1_3repE0EEENS1_30default_config_static_selectorELNS0_4arch9wavefront6targetE0EEEvSY_,comdat
.Lfunc_end990:
	.size	_ZN7rocprim17ROCPRIM_400000_NS6detail17trampoline_kernelINS0_13select_configILj256ELj13ELNS0_17block_load_methodE3ELS4_3ELS4_3ELNS0_20block_scan_algorithmE0ELj4294967295EEENS1_25partition_config_selectorILNS1_17partition_subalgoE3EjNS0_10empty_typeEbEEZZNS1_14partition_implILS8_3ELb0ES6_jNS0_17counting_iteratorIjlEEPS9_SE_NS0_5tupleIJPjSE_EEENSF_IJSE_SE_EEES9_SG_JZNS1_25segmented_radix_sort_implINS0_14default_configELb0EPKsPsPKlPlN2at6native12_GLOBAL__N_18offset_tEEE10hipError_tPvRmT1_PNSt15iterator_traitsISY_E10value_typeET2_T3_PNSZ_IS14_E10value_typeET4_jRbjT5_S1A_jjP12ihipStream_tbEUljE_EEESV_SW_SX_S14_S18_S1A_T6_T7_T9_mT8_S1C_bDpT10_ENKUlT_T0_E_clISt17integral_constantIbLb1EES1P_EEDaS1K_S1L_EUlS1K_E_NS1_11comp_targetILNS1_3genE8ELNS1_11target_archE1030ELNS1_3gpuE2ELNS1_3repE0EEENS1_30default_config_static_selectorELNS0_4arch9wavefront6targetE0EEEvSY_, .Lfunc_end990-_ZN7rocprim17ROCPRIM_400000_NS6detail17trampoline_kernelINS0_13select_configILj256ELj13ELNS0_17block_load_methodE3ELS4_3ELS4_3ELNS0_20block_scan_algorithmE0ELj4294967295EEENS1_25partition_config_selectorILNS1_17partition_subalgoE3EjNS0_10empty_typeEbEEZZNS1_14partition_implILS8_3ELb0ES6_jNS0_17counting_iteratorIjlEEPS9_SE_NS0_5tupleIJPjSE_EEENSF_IJSE_SE_EEES9_SG_JZNS1_25segmented_radix_sort_implINS0_14default_configELb0EPKsPsPKlPlN2at6native12_GLOBAL__N_18offset_tEEE10hipError_tPvRmT1_PNSt15iterator_traitsISY_E10value_typeET2_T3_PNSZ_IS14_E10value_typeET4_jRbjT5_S1A_jjP12ihipStream_tbEUljE_EEESV_SW_SX_S14_S18_S1A_T6_T7_T9_mT8_S1C_bDpT10_ENKUlT_T0_E_clISt17integral_constantIbLb1EES1P_EEDaS1K_S1L_EUlS1K_E_NS1_11comp_targetILNS1_3genE8ELNS1_11target_archE1030ELNS1_3gpuE2ELNS1_3repE0EEENS1_30default_config_static_selectorELNS0_4arch9wavefront6targetE0EEEvSY_
                                        ; -- End function
	.set _ZN7rocprim17ROCPRIM_400000_NS6detail17trampoline_kernelINS0_13select_configILj256ELj13ELNS0_17block_load_methodE3ELS4_3ELS4_3ELNS0_20block_scan_algorithmE0ELj4294967295EEENS1_25partition_config_selectorILNS1_17partition_subalgoE3EjNS0_10empty_typeEbEEZZNS1_14partition_implILS8_3ELb0ES6_jNS0_17counting_iteratorIjlEEPS9_SE_NS0_5tupleIJPjSE_EEENSF_IJSE_SE_EEES9_SG_JZNS1_25segmented_radix_sort_implINS0_14default_configELb0EPKsPsPKlPlN2at6native12_GLOBAL__N_18offset_tEEE10hipError_tPvRmT1_PNSt15iterator_traitsISY_E10value_typeET2_T3_PNSZ_IS14_E10value_typeET4_jRbjT5_S1A_jjP12ihipStream_tbEUljE_EEESV_SW_SX_S14_S18_S1A_T6_T7_T9_mT8_S1C_bDpT10_ENKUlT_T0_E_clISt17integral_constantIbLb1EES1P_EEDaS1K_S1L_EUlS1K_E_NS1_11comp_targetILNS1_3genE8ELNS1_11target_archE1030ELNS1_3gpuE2ELNS1_3repE0EEENS1_30default_config_static_selectorELNS0_4arch9wavefront6targetE0EEEvSY_.num_vgpr, 0
	.set _ZN7rocprim17ROCPRIM_400000_NS6detail17trampoline_kernelINS0_13select_configILj256ELj13ELNS0_17block_load_methodE3ELS4_3ELS4_3ELNS0_20block_scan_algorithmE0ELj4294967295EEENS1_25partition_config_selectorILNS1_17partition_subalgoE3EjNS0_10empty_typeEbEEZZNS1_14partition_implILS8_3ELb0ES6_jNS0_17counting_iteratorIjlEEPS9_SE_NS0_5tupleIJPjSE_EEENSF_IJSE_SE_EEES9_SG_JZNS1_25segmented_radix_sort_implINS0_14default_configELb0EPKsPsPKlPlN2at6native12_GLOBAL__N_18offset_tEEE10hipError_tPvRmT1_PNSt15iterator_traitsISY_E10value_typeET2_T3_PNSZ_IS14_E10value_typeET4_jRbjT5_S1A_jjP12ihipStream_tbEUljE_EEESV_SW_SX_S14_S18_S1A_T6_T7_T9_mT8_S1C_bDpT10_ENKUlT_T0_E_clISt17integral_constantIbLb1EES1P_EEDaS1K_S1L_EUlS1K_E_NS1_11comp_targetILNS1_3genE8ELNS1_11target_archE1030ELNS1_3gpuE2ELNS1_3repE0EEENS1_30default_config_static_selectorELNS0_4arch9wavefront6targetE0EEEvSY_.num_agpr, 0
	.set _ZN7rocprim17ROCPRIM_400000_NS6detail17trampoline_kernelINS0_13select_configILj256ELj13ELNS0_17block_load_methodE3ELS4_3ELS4_3ELNS0_20block_scan_algorithmE0ELj4294967295EEENS1_25partition_config_selectorILNS1_17partition_subalgoE3EjNS0_10empty_typeEbEEZZNS1_14partition_implILS8_3ELb0ES6_jNS0_17counting_iteratorIjlEEPS9_SE_NS0_5tupleIJPjSE_EEENSF_IJSE_SE_EEES9_SG_JZNS1_25segmented_radix_sort_implINS0_14default_configELb0EPKsPsPKlPlN2at6native12_GLOBAL__N_18offset_tEEE10hipError_tPvRmT1_PNSt15iterator_traitsISY_E10value_typeET2_T3_PNSZ_IS14_E10value_typeET4_jRbjT5_S1A_jjP12ihipStream_tbEUljE_EEESV_SW_SX_S14_S18_S1A_T6_T7_T9_mT8_S1C_bDpT10_ENKUlT_T0_E_clISt17integral_constantIbLb1EES1P_EEDaS1K_S1L_EUlS1K_E_NS1_11comp_targetILNS1_3genE8ELNS1_11target_archE1030ELNS1_3gpuE2ELNS1_3repE0EEENS1_30default_config_static_selectorELNS0_4arch9wavefront6targetE0EEEvSY_.numbered_sgpr, 0
	.set _ZN7rocprim17ROCPRIM_400000_NS6detail17trampoline_kernelINS0_13select_configILj256ELj13ELNS0_17block_load_methodE3ELS4_3ELS4_3ELNS0_20block_scan_algorithmE0ELj4294967295EEENS1_25partition_config_selectorILNS1_17partition_subalgoE3EjNS0_10empty_typeEbEEZZNS1_14partition_implILS8_3ELb0ES6_jNS0_17counting_iteratorIjlEEPS9_SE_NS0_5tupleIJPjSE_EEENSF_IJSE_SE_EEES9_SG_JZNS1_25segmented_radix_sort_implINS0_14default_configELb0EPKsPsPKlPlN2at6native12_GLOBAL__N_18offset_tEEE10hipError_tPvRmT1_PNSt15iterator_traitsISY_E10value_typeET2_T3_PNSZ_IS14_E10value_typeET4_jRbjT5_S1A_jjP12ihipStream_tbEUljE_EEESV_SW_SX_S14_S18_S1A_T6_T7_T9_mT8_S1C_bDpT10_ENKUlT_T0_E_clISt17integral_constantIbLb1EES1P_EEDaS1K_S1L_EUlS1K_E_NS1_11comp_targetILNS1_3genE8ELNS1_11target_archE1030ELNS1_3gpuE2ELNS1_3repE0EEENS1_30default_config_static_selectorELNS0_4arch9wavefront6targetE0EEEvSY_.num_named_barrier, 0
	.set _ZN7rocprim17ROCPRIM_400000_NS6detail17trampoline_kernelINS0_13select_configILj256ELj13ELNS0_17block_load_methodE3ELS4_3ELS4_3ELNS0_20block_scan_algorithmE0ELj4294967295EEENS1_25partition_config_selectorILNS1_17partition_subalgoE3EjNS0_10empty_typeEbEEZZNS1_14partition_implILS8_3ELb0ES6_jNS0_17counting_iteratorIjlEEPS9_SE_NS0_5tupleIJPjSE_EEENSF_IJSE_SE_EEES9_SG_JZNS1_25segmented_radix_sort_implINS0_14default_configELb0EPKsPsPKlPlN2at6native12_GLOBAL__N_18offset_tEEE10hipError_tPvRmT1_PNSt15iterator_traitsISY_E10value_typeET2_T3_PNSZ_IS14_E10value_typeET4_jRbjT5_S1A_jjP12ihipStream_tbEUljE_EEESV_SW_SX_S14_S18_S1A_T6_T7_T9_mT8_S1C_bDpT10_ENKUlT_T0_E_clISt17integral_constantIbLb1EES1P_EEDaS1K_S1L_EUlS1K_E_NS1_11comp_targetILNS1_3genE8ELNS1_11target_archE1030ELNS1_3gpuE2ELNS1_3repE0EEENS1_30default_config_static_selectorELNS0_4arch9wavefront6targetE0EEEvSY_.private_seg_size, 0
	.set _ZN7rocprim17ROCPRIM_400000_NS6detail17trampoline_kernelINS0_13select_configILj256ELj13ELNS0_17block_load_methodE3ELS4_3ELS4_3ELNS0_20block_scan_algorithmE0ELj4294967295EEENS1_25partition_config_selectorILNS1_17partition_subalgoE3EjNS0_10empty_typeEbEEZZNS1_14partition_implILS8_3ELb0ES6_jNS0_17counting_iteratorIjlEEPS9_SE_NS0_5tupleIJPjSE_EEENSF_IJSE_SE_EEES9_SG_JZNS1_25segmented_radix_sort_implINS0_14default_configELb0EPKsPsPKlPlN2at6native12_GLOBAL__N_18offset_tEEE10hipError_tPvRmT1_PNSt15iterator_traitsISY_E10value_typeET2_T3_PNSZ_IS14_E10value_typeET4_jRbjT5_S1A_jjP12ihipStream_tbEUljE_EEESV_SW_SX_S14_S18_S1A_T6_T7_T9_mT8_S1C_bDpT10_ENKUlT_T0_E_clISt17integral_constantIbLb1EES1P_EEDaS1K_S1L_EUlS1K_E_NS1_11comp_targetILNS1_3genE8ELNS1_11target_archE1030ELNS1_3gpuE2ELNS1_3repE0EEENS1_30default_config_static_selectorELNS0_4arch9wavefront6targetE0EEEvSY_.uses_vcc, 0
	.set _ZN7rocprim17ROCPRIM_400000_NS6detail17trampoline_kernelINS0_13select_configILj256ELj13ELNS0_17block_load_methodE3ELS4_3ELS4_3ELNS0_20block_scan_algorithmE0ELj4294967295EEENS1_25partition_config_selectorILNS1_17partition_subalgoE3EjNS0_10empty_typeEbEEZZNS1_14partition_implILS8_3ELb0ES6_jNS0_17counting_iteratorIjlEEPS9_SE_NS0_5tupleIJPjSE_EEENSF_IJSE_SE_EEES9_SG_JZNS1_25segmented_radix_sort_implINS0_14default_configELb0EPKsPsPKlPlN2at6native12_GLOBAL__N_18offset_tEEE10hipError_tPvRmT1_PNSt15iterator_traitsISY_E10value_typeET2_T3_PNSZ_IS14_E10value_typeET4_jRbjT5_S1A_jjP12ihipStream_tbEUljE_EEESV_SW_SX_S14_S18_S1A_T6_T7_T9_mT8_S1C_bDpT10_ENKUlT_T0_E_clISt17integral_constantIbLb1EES1P_EEDaS1K_S1L_EUlS1K_E_NS1_11comp_targetILNS1_3genE8ELNS1_11target_archE1030ELNS1_3gpuE2ELNS1_3repE0EEENS1_30default_config_static_selectorELNS0_4arch9wavefront6targetE0EEEvSY_.uses_flat_scratch, 0
	.set _ZN7rocprim17ROCPRIM_400000_NS6detail17trampoline_kernelINS0_13select_configILj256ELj13ELNS0_17block_load_methodE3ELS4_3ELS4_3ELNS0_20block_scan_algorithmE0ELj4294967295EEENS1_25partition_config_selectorILNS1_17partition_subalgoE3EjNS0_10empty_typeEbEEZZNS1_14partition_implILS8_3ELb0ES6_jNS0_17counting_iteratorIjlEEPS9_SE_NS0_5tupleIJPjSE_EEENSF_IJSE_SE_EEES9_SG_JZNS1_25segmented_radix_sort_implINS0_14default_configELb0EPKsPsPKlPlN2at6native12_GLOBAL__N_18offset_tEEE10hipError_tPvRmT1_PNSt15iterator_traitsISY_E10value_typeET2_T3_PNSZ_IS14_E10value_typeET4_jRbjT5_S1A_jjP12ihipStream_tbEUljE_EEESV_SW_SX_S14_S18_S1A_T6_T7_T9_mT8_S1C_bDpT10_ENKUlT_T0_E_clISt17integral_constantIbLb1EES1P_EEDaS1K_S1L_EUlS1K_E_NS1_11comp_targetILNS1_3genE8ELNS1_11target_archE1030ELNS1_3gpuE2ELNS1_3repE0EEENS1_30default_config_static_selectorELNS0_4arch9wavefront6targetE0EEEvSY_.has_dyn_sized_stack, 0
	.set _ZN7rocprim17ROCPRIM_400000_NS6detail17trampoline_kernelINS0_13select_configILj256ELj13ELNS0_17block_load_methodE3ELS4_3ELS4_3ELNS0_20block_scan_algorithmE0ELj4294967295EEENS1_25partition_config_selectorILNS1_17partition_subalgoE3EjNS0_10empty_typeEbEEZZNS1_14partition_implILS8_3ELb0ES6_jNS0_17counting_iteratorIjlEEPS9_SE_NS0_5tupleIJPjSE_EEENSF_IJSE_SE_EEES9_SG_JZNS1_25segmented_radix_sort_implINS0_14default_configELb0EPKsPsPKlPlN2at6native12_GLOBAL__N_18offset_tEEE10hipError_tPvRmT1_PNSt15iterator_traitsISY_E10value_typeET2_T3_PNSZ_IS14_E10value_typeET4_jRbjT5_S1A_jjP12ihipStream_tbEUljE_EEESV_SW_SX_S14_S18_S1A_T6_T7_T9_mT8_S1C_bDpT10_ENKUlT_T0_E_clISt17integral_constantIbLb1EES1P_EEDaS1K_S1L_EUlS1K_E_NS1_11comp_targetILNS1_3genE8ELNS1_11target_archE1030ELNS1_3gpuE2ELNS1_3repE0EEENS1_30default_config_static_selectorELNS0_4arch9wavefront6targetE0EEEvSY_.has_recursion, 0
	.set _ZN7rocprim17ROCPRIM_400000_NS6detail17trampoline_kernelINS0_13select_configILj256ELj13ELNS0_17block_load_methodE3ELS4_3ELS4_3ELNS0_20block_scan_algorithmE0ELj4294967295EEENS1_25partition_config_selectorILNS1_17partition_subalgoE3EjNS0_10empty_typeEbEEZZNS1_14partition_implILS8_3ELb0ES6_jNS0_17counting_iteratorIjlEEPS9_SE_NS0_5tupleIJPjSE_EEENSF_IJSE_SE_EEES9_SG_JZNS1_25segmented_radix_sort_implINS0_14default_configELb0EPKsPsPKlPlN2at6native12_GLOBAL__N_18offset_tEEE10hipError_tPvRmT1_PNSt15iterator_traitsISY_E10value_typeET2_T3_PNSZ_IS14_E10value_typeET4_jRbjT5_S1A_jjP12ihipStream_tbEUljE_EEESV_SW_SX_S14_S18_S1A_T6_T7_T9_mT8_S1C_bDpT10_ENKUlT_T0_E_clISt17integral_constantIbLb1EES1P_EEDaS1K_S1L_EUlS1K_E_NS1_11comp_targetILNS1_3genE8ELNS1_11target_archE1030ELNS1_3gpuE2ELNS1_3repE0EEENS1_30default_config_static_selectorELNS0_4arch9wavefront6targetE0EEEvSY_.has_indirect_call, 0
	.section	.AMDGPU.csdata,"",@progbits
; Kernel info:
; codeLenInByte = 4
; TotalNumSgprs: 0
; NumVgprs: 0
; ScratchSize: 0
; MemoryBound: 0
; FloatMode: 240
; IeeeMode: 1
; LDSByteSize: 0 bytes/workgroup (compile time only)
; SGPRBlocks: 0
; VGPRBlocks: 0
; NumSGPRsForWavesPerEU: 1
; NumVGPRsForWavesPerEU: 1
; Occupancy: 16
; WaveLimiterHint : 0
; COMPUTE_PGM_RSRC2:SCRATCH_EN: 0
; COMPUTE_PGM_RSRC2:USER_SGPR: 6
; COMPUTE_PGM_RSRC2:TRAP_HANDLER: 0
; COMPUTE_PGM_RSRC2:TGID_X_EN: 1
; COMPUTE_PGM_RSRC2:TGID_Y_EN: 0
; COMPUTE_PGM_RSRC2:TGID_Z_EN: 0
; COMPUTE_PGM_RSRC2:TIDIG_COMP_CNT: 0
	.section	.text._ZN7rocprim17ROCPRIM_400000_NS6detail17trampoline_kernelINS0_13select_configILj256ELj13ELNS0_17block_load_methodE3ELS4_3ELS4_3ELNS0_20block_scan_algorithmE0ELj4294967295EEENS1_25partition_config_selectorILNS1_17partition_subalgoE3EjNS0_10empty_typeEbEEZZNS1_14partition_implILS8_3ELb0ES6_jNS0_17counting_iteratorIjlEEPS9_SE_NS0_5tupleIJPjSE_EEENSF_IJSE_SE_EEES9_SG_JZNS1_25segmented_radix_sort_implINS0_14default_configELb0EPKsPsPKlPlN2at6native12_GLOBAL__N_18offset_tEEE10hipError_tPvRmT1_PNSt15iterator_traitsISY_E10value_typeET2_T3_PNSZ_IS14_E10value_typeET4_jRbjT5_S1A_jjP12ihipStream_tbEUljE_EEESV_SW_SX_S14_S18_S1A_T6_T7_T9_mT8_S1C_bDpT10_ENKUlT_T0_E_clISt17integral_constantIbLb1EES1O_IbLb0EEEEDaS1K_S1L_EUlS1K_E_NS1_11comp_targetILNS1_3genE0ELNS1_11target_archE4294967295ELNS1_3gpuE0ELNS1_3repE0EEENS1_30default_config_static_selectorELNS0_4arch9wavefront6targetE0EEEvSY_,"axG",@progbits,_ZN7rocprim17ROCPRIM_400000_NS6detail17trampoline_kernelINS0_13select_configILj256ELj13ELNS0_17block_load_methodE3ELS4_3ELS4_3ELNS0_20block_scan_algorithmE0ELj4294967295EEENS1_25partition_config_selectorILNS1_17partition_subalgoE3EjNS0_10empty_typeEbEEZZNS1_14partition_implILS8_3ELb0ES6_jNS0_17counting_iteratorIjlEEPS9_SE_NS0_5tupleIJPjSE_EEENSF_IJSE_SE_EEES9_SG_JZNS1_25segmented_radix_sort_implINS0_14default_configELb0EPKsPsPKlPlN2at6native12_GLOBAL__N_18offset_tEEE10hipError_tPvRmT1_PNSt15iterator_traitsISY_E10value_typeET2_T3_PNSZ_IS14_E10value_typeET4_jRbjT5_S1A_jjP12ihipStream_tbEUljE_EEESV_SW_SX_S14_S18_S1A_T6_T7_T9_mT8_S1C_bDpT10_ENKUlT_T0_E_clISt17integral_constantIbLb1EES1O_IbLb0EEEEDaS1K_S1L_EUlS1K_E_NS1_11comp_targetILNS1_3genE0ELNS1_11target_archE4294967295ELNS1_3gpuE0ELNS1_3repE0EEENS1_30default_config_static_selectorELNS0_4arch9wavefront6targetE0EEEvSY_,comdat
	.globl	_ZN7rocprim17ROCPRIM_400000_NS6detail17trampoline_kernelINS0_13select_configILj256ELj13ELNS0_17block_load_methodE3ELS4_3ELS4_3ELNS0_20block_scan_algorithmE0ELj4294967295EEENS1_25partition_config_selectorILNS1_17partition_subalgoE3EjNS0_10empty_typeEbEEZZNS1_14partition_implILS8_3ELb0ES6_jNS0_17counting_iteratorIjlEEPS9_SE_NS0_5tupleIJPjSE_EEENSF_IJSE_SE_EEES9_SG_JZNS1_25segmented_radix_sort_implINS0_14default_configELb0EPKsPsPKlPlN2at6native12_GLOBAL__N_18offset_tEEE10hipError_tPvRmT1_PNSt15iterator_traitsISY_E10value_typeET2_T3_PNSZ_IS14_E10value_typeET4_jRbjT5_S1A_jjP12ihipStream_tbEUljE_EEESV_SW_SX_S14_S18_S1A_T6_T7_T9_mT8_S1C_bDpT10_ENKUlT_T0_E_clISt17integral_constantIbLb1EES1O_IbLb0EEEEDaS1K_S1L_EUlS1K_E_NS1_11comp_targetILNS1_3genE0ELNS1_11target_archE4294967295ELNS1_3gpuE0ELNS1_3repE0EEENS1_30default_config_static_selectorELNS0_4arch9wavefront6targetE0EEEvSY_ ; -- Begin function _ZN7rocprim17ROCPRIM_400000_NS6detail17trampoline_kernelINS0_13select_configILj256ELj13ELNS0_17block_load_methodE3ELS4_3ELS4_3ELNS0_20block_scan_algorithmE0ELj4294967295EEENS1_25partition_config_selectorILNS1_17partition_subalgoE3EjNS0_10empty_typeEbEEZZNS1_14partition_implILS8_3ELb0ES6_jNS0_17counting_iteratorIjlEEPS9_SE_NS0_5tupleIJPjSE_EEENSF_IJSE_SE_EEES9_SG_JZNS1_25segmented_radix_sort_implINS0_14default_configELb0EPKsPsPKlPlN2at6native12_GLOBAL__N_18offset_tEEE10hipError_tPvRmT1_PNSt15iterator_traitsISY_E10value_typeET2_T3_PNSZ_IS14_E10value_typeET4_jRbjT5_S1A_jjP12ihipStream_tbEUljE_EEESV_SW_SX_S14_S18_S1A_T6_T7_T9_mT8_S1C_bDpT10_ENKUlT_T0_E_clISt17integral_constantIbLb1EES1O_IbLb0EEEEDaS1K_S1L_EUlS1K_E_NS1_11comp_targetILNS1_3genE0ELNS1_11target_archE4294967295ELNS1_3gpuE0ELNS1_3repE0EEENS1_30default_config_static_selectorELNS0_4arch9wavefront6targetE0EEEvSY_
	.p2align	8
	.type	_ZN7rocprim17ROCPRIM_400000_NS6detail17trampoline_kernelINS0_13select_configILj256ELj13ELNS0_17block_load_methodE3ELS4_3ELS4_3ELNS0_20block_scan_algorithmE0ELj4294967295EEENS1_25partition_config_selectorILNS1_17partition_subalgoE3EjNS0_10empty_typeEbEEZZNS1_14partition_implILS8_3ELb0ES6_jNS0_17counting_iteratorIjlEEPS9_SE_NS0_5tupleIJPjSE_EEENSF_IJSE_SE_EEES9_SG_JZNS1_25segmented_radix_sort_implINS0_14default_configELb0EPKsPsPKlPlN2at6native12_GLOBAL__N_18offset_tEEE10hipError_tPvRmT1_PNSt15iterator_traitsISY_E10value_typeET2_T3_PNSZ_IS14_E10value_typeET4_jRbjT5_S1A_jjP12ihipStream_tbEUljE_EEESV_SW_SX_S14_S18_S1A_T6_T7_T9_mT8_S1C_bDpT10_ENKUlT_T0_E_clISt17integral_constantIbLb1EES1O_IbLb0EEEEDaS1K_S1L_EUlS1K_E_NS1_11comp_targetILNS1_3genE0ELNS1_11target_archE4294967295ELNS1_3gpuE0ELNS1_3repE0EEENS1_30default_config_static_selectorELNS0_4arch9wavefront6targetE0EEEvSY_,@function
_ZN7rocprim17ROCPRIM_400000_NS6detail17trampoline_kernelINS0_13select_configILj256ELj13ELNS0_17block_load_methodE3ELS4_3ELS4_3ELNS0_20block_scan_algorithmE0ELj4294967295EEENS1_25partition_config_selectorILNS1_17partition_subalgoE3EjNS0_10empty_typeEbEEZZNS1_14partition_implILS8_3ELb0ES6_jNS0_17counting_iteratorIjlEEPS9_SE_NS0_5tupleIJPjSE_EEENSF_IJSE_SE_EEES9_SG_JZNS1_25segmented_radix_sort_implINS0_14default_configELb0EPKsPsPKlPlN2at6native12_GLOBAL__N_18offset_tEEE10hipError_tPvRmT1_PNSt15iterator_traitsISY_E10value_typeET2_T3_PNSZ_IS14_E10value_typeET4_jRbjT5_S1A_jjP12ihipStream_tbEUljE_EEESV_SW_SX_S14_S18_S1A_T6_T7_T9_mT8_S1C_bDpT10_ENKUlT_T0_E_clISt17integral_constantIbLb1EES1O_IbLb0EEEEDaS1K_S1L_EUlS1K_E_NS1_11comp_targetILNS1_3genE0ELNS1_11target_archE4294967295ELNS1_3gpuE0ELNS1_3repE0EEENS1_30default_config_static_selectorELNS0_4arch9wavefront6targetE0EEEvSY_: ; @_ZN7rocprim17ROCPRIM_400000_NS6detail17trampoline_kernelINS0_13select_configILj256ELj13ELNS0_17block_load_methodE3ELS4_3ELS4_3ELNS0_20block_scan_algorithmE0ELj4294967295EEENS1_25partition_config_selectorILNS1_17partition_subalgoE3EjNS0_10empty_typeEbEEZZNS1_14partition_implILS8_3ELb0ES6_jNS0_17counting_iteratorIjlEEPS9_SE_NS0_5tupleIJPjSE_EEENSF_IJSE_SE_EEES9_SG_JZNS1_25segmented_radix_sort_implINS0_14default_configELb0EPKsPsPKlPlN2at6native12_GLOBAL__N_18offset_tEEE10hipError_tPvRmT1_PNSt15iterator_traitsISY_E10value_typeET2_T3_PNSZ_IS14_E10value_typeET4_jRbjT5_S1A_jjP12ihipStream_tbEUljE_EEESV_SW_SX_S14_S18_S1A_T6_T7_T9_mT8_S1C_bDpT10_ENKUlT_T0_E_clISt17integral_constantIbLb1EES1O_IbLb0EEEEDaS1K_S1L_EUlS1K_E_NS1_11comp_targetILNS1_3genE0ELNS1_11target_archE4294967295ELNS1_3gpuE0ELNS1_3repE0EEENS1_30default_config_static_selectorELNS0_4arch9wavefront6targetE0EEEvSY_
; %bb.0:
	.section	.rodata,"a",@progbits
	.p2align	6, 0x0
	.amdhsa_kernel _ZN7rocprim17ROCPRIM_400000_NS6detail17trampoline_kernelINS0_13select_configILj256ELj13ELNS0_17block_load_methodE3ELS4_3ELS4_3ELNS0_20block_scan_algorithmE0ELj4294967295EEENS1_25partition_config_selectorILNS1_17partition_subalgoE3EjNS0_10empty_typeEbEEZZNS1_14partition_implILS8_3ELb0ES6_jNS0_17counting_iteratorIjlEEPS9_SE_NS0_5tupleIJPjSE_EEENSF_IJSE_SE_EEES9_SG_JZNS1_25segmented_radix_sort_implINS0_14default_configELb0EPKsPsPKlPlN2at6native12_GLOBAL__N_18offset_tEEE10hipError_tPvRmT1_PNSt15iterator_traitsISY_E10value_typeET2_T3_PNSZ_IS14_E10value_typeET4_jRbjT5_S1A_jjP12ihipStream_tbEUljE_EEESV_SW_SX_S14_S18_S1A_T6_T7_T9_mT8_S1C_bDpT10_ENKUlT_T0_E_clISt17integral_constantIbLb1EES1O_IbLb0EEEEDaS1K_S1L_EUlS1K_E_NS1_11comp_targetILNS1_3genE0ELNS1_11target_archE4294967295ELNS1_3gpuE0ELNS1_3repE0EEENS1_30default_config_static_selectorELNS0_4arch9wavefront6targetE0EEEvSY_
		.amdhsa_group_segment_fixed_size 0
		.amdhsa_private_segment_fixed_size 0
		.amdhsa_kernarg_size 144
		.amdhsa_user_sgpr_count 6
		.amdhsa_user_sgpr_private_segment_buffer 1
		.amdhsa_user_sgpr_dispatch_ptr 0
		.amdhsa_user_sgpr_queue_ptr 0
		.amdhsa_user_sgpr_kernarg_segment_ptr 1
		.amdhsa_user_sgpr_dispatch_id 0
		.amdhsa_user_sgpr_flat_scratch_init 0
		.amdhsa_user_sgpr_private_segment_size 0
		.amdhsa_wavefront_size32 1
		.amdhsa_uses_dynamic_stack 0
		.amdhsa_system_sgpr_private_segment_wavefront_offset 0
		.amdhsa_system_sgpr_workgroup_id_x 1
		.amdhsa_system_sgpr_workgroup_id_y 0
		.amdhsa_system_sgpr_workgroup_id_z 0
		.amdhsa_system_sgpr_workgroup_info 0
		.amdhsa_system_vgpr_workitem_id 0
		.amdhsa_next_free_vgpr 1
		.amdhsa_next_free_sgpr 1
		.amdhsa_reserve_vcc 0
		.amdhsa_reserve_flat_scratch 0
		.amdhsa_float_round_mode_32 0
		.amdhsa_float_round_mode_16_64 0
		.amdhsa_float_denorm_mode_32 3
		.amdhsa_float_denorm_mode_16_64 3
		.amdhsa_dx10_clamp 1
		.amdhsa_ieee_mode 1
		.amdhsa_fp16_overflow 0
		.amdhsa_workgroup_processor_mode 1
		.amdhsa_memory_ordered 1
		.amdhsa_forward_progress 1
		.amdhsa_shared_vgpr_count 0
		.amdhsa_exception_fp_ieee_invalid_op 0
		.amdhsa_exception_fp_denorm_src 0
		.amdhsa_exception_fp_ieee_div_zero 0
		.amdhsa_exception_fp_ieee_overflow 0
		.amdhsa_exception_fp_ieee_underflow 0
		.amdhsa_exception_fp_ieee_inexact 0
		.amdhsa_exception_int_div_zero 0
	.end_amdhsa_kernel
	.section	.text._ZN7rocprim17ROCPRIM_400000_NS6detail17trampoline_kernelINS0_13select_configILj256ELj13ELNS0_17block_load_methodE3ELS4_3ELS4_3ELNS0_20block_scan_algorithmE0ELj4294967295EEENS1_25partition_config_selectorILNS1_17partition_subalgoE3EjNS0_10empty_typeEbEEZZNS1_14partition_implILS8_3ELb0ES6_jNS0_17counting_iteratorIjlEEPS9_SE_NS0_5tupleIJPjSE_EEENSF_IJSE_SE_EEES9_SG_JZNS1_25segmented_radix_sort_implINS0_14default_configELb0EPKsPsPKlPlN2at6native12_GLOBAL__N_18offset_tEEE10hipError_tPvRmT1_PNSt15iterator_traitsISY_E10value_typeET2_T3_PNSZ_IS14_E10value_typeET4_jRbjT5_S1A_jjP12ihipStream_tbEUljE_EEESV_SW_SX_S14_S18_S1A_T6_T7_T9_mT8_S1C_bDpT10_ENKUlT_T0_E_clISt17integral_constantIbLb1EES1O_IbLb0EEEEDaS1K_S1L_EUlS1K_E_NS1_11comp_targetILNS1_3genE0ELNS1_11target_archE4294967295ELNS1_3gpuE0ELNS1_3repE0EEENS1_30default_config_static_selectorELNS0_4arch9wavefront6targetE0EEEvSY_,"axG",@progbits,_ZN7rocprim17ROCPRIM_400000_NS6detail17trampoline_kernelINS0_13select_configILj256ELj13ELNS0_17block_load_methodE3ELS4_3ELS4_3ELNS0_20block_scan_algorithmE0ELj4294967295EEENS1_25partition_config_selectorILNS1_17partition_subalgoE3EjNS0_10empty_typeEbEEZZNS1_14partition_implILS8_3ELb0ES6_jNS0_17counting_iteratorIjlEEPS9_SE_NS0_5tupleIJPjSE_EEENSF_IJSE_SE_EEES9_SG_JZNS1_25segmented_radix_sort_implINS0_14default_configELb0EPKsPsPKlPlN2at6native12_GLOBAL__N_18offset_tEEE10hipError_tPvRmT1_PNSt15iterator_traitsISY_E10value_typeET2_T3_PNSZ_IS14_E10value_typeET4_jRbjT5_S1A_jjP12ihipStream_tbEUljE_EEESV_SW_SX_S14_S18_S1A_T6_T7_T9_mT8_S1C_bDpT10_ENKUlT_T0_E_clISt17integral_constantIbLb1EES1O_IbLb0EEEEDaS1K_S1L_EUlS1K_E_NS1_11comp_targetILNS1_3genE0ELNS1_11target_archE4294967295ELNS1_3gpuE0ELNS1_3repE0EEENS1_30default_config_static_selectorELNS0_4arch9wavefront6targetE0EEEvSY_,comdat
.Lfunc_end991:
	.size	_ZN7rocprim17ROCPRIM_400000_NS6detail17trampoline_kernelINS0_13select_configILj256ELj13ELNS0_17block_load_methodE3ELS4_3ELS4_3ELNS0_20block_scan_algorithmE0ELj4294967295EEENS1_25partition_config_selectorILNS1_17partition_subalgoE3EjNS0_10empty_typeEbEEZZNS1_14partition_implILS8_3ELb0ES6_jNS0_17counting_iteratorIjlEEPS9_SE_NS0_5tupleIJPjSE_EEENSF_IJSE_SE_EEES9_SG_JZNS1_25segmented_radix_sort_implINS0_14default_configELb0EPKsPsPKlPlN2at6native12_GLOBAL__N_18offset_tEEE10hipError_tPvRmT1_PNSt15iterator_traitsISY_E10value_typeET2_T3_PNSZ_IS14_E10value_typeET4_jRbjT5_S1A_jjP12ihipStream_tbEUljE_EEESV_SW_SX_S14_S18_S1A_T6_T7_T9_mT8_S1C_bDpT10_ENKUlT_T0_E_clISt17integral_constantIbLb1EES1O_IbLb0EEEEDaS1K_S1L_EUlS1K_E_NS1_11comp_targetILNS1_3genE0ELNS1_11target_archE4294967295ELNS1_3gpuE0ELNS1_3repE0EEENS1_30default_config_static_selectorELNS0_4arch9wavefront6targetE0EEEvSY_, .Lfunc_end991-_ZN7rocprim17ROCPRIM_400000_NS6detail17trampoline_kernelINS0_13select_configILj256ELj13ELNS0_17block_load_methodE3ELS4_3ELS4_3ELNS0_20block_scan_algorithmE0ELj4294967295EEENS1_25partition_config_selectorILNS1_17partition_subalgoE3EjNS0_10empty_typeEbEEZZNS1_14partition_implILS8_3ELb0ES6_jNS0_17counting_iteratorIjlEEPS9_SE_NS0_5tupleIJPjSE_EEENSF_IJSE_SE_EEES9_SG_JZNS1_25segmented_radix_sort_implINS0_14default_configELb0EPKsPsPKlPlN2at6native12_GLOBAL__N_18offset_tEEE10hipError_tPvRmT1_PNSt15iterator_traitsISY_E10value_typeET2_T3_PNSZ_IS14_E10value_typeET4_jRbjT5_S1A_jjP12ihipStream_tbEUljE_EEESV_SW_SX_S14_S18_S1A_T6_T7_T9_mT8_S1C_bDpT10_ENKUlT_T0_E_clISt17integral_constantIbLb1EES1O_IbLb0EEEEDaS1K_S1L_EUlS1K_E_NS1_11comp_targetILNS1_3genE0ELNS1_11target_archE4294967295ELNS1_3gpuE0ELNS1_3repE0EEENS1_30default_config_static_selectorELNS0_4arch9wavefront6targetE0EEEvSY_
                                        ; -- End function
	.set _ZN7rocprim17ROCPRIM_400000_NS6detail17trampoline_kernelINS0_13select_configILj256ELj13ELNS0_17block_load_methodE3ELS4_3ELS4_3ELNS0_20block_scan_algorithmE0ELj4294967295EEENS1_25partition_config_selectorILNS1_17partition_subalgoE3EjNS0_10empty_typeEbEEZZNS1_14partition_implILS8_3ELb0ES6_jNS0_17counting_iteratorIjlEEPS9_SE_NS0_5tupleIJPjSE_EEENSF_IJSE_SE_EEES9_SG_JZNS1_25segmented_radix_sort_implINS0_14default_configELb0EPKsPsPKlPlN2at6native12_GLOBAL__N_18offset_tEEE10hipError_tPvRmT1_PNSt15iterator_traitsISY_E10value_typeET2_T3_PNSZ_IS14_E10value_typeET4_jRbjT5_S1A_jjP12ihipStream_tbEUljE_EEESV_SW_SX_S14_S18_S1A_T6_T7_T9_mT8_S1C_bDpT10_ENKUlT_T0_E_clISt17integral_constantIbLb1EES1O_IbLb0EEEEDaS1K_S1L_EUlS1K_E_NS1_11comp_targetILNS1_3genE0ELNS1_11target_archE4294967295ELNS1_3gpuE0ELNS1_3repE0EEENS1_30default_config_static_selectorELNS0_4arch9wavefront6targetE0EEEvSY_.num_vgpr, 0
	.set _ZN7rocprim17ROCPRIM_400000_NS6detail17trampoline_kernelINS0_13select_configILj256ELj13ELNS0_17block_load_methodE3ELS4_3ELS4_3ELNS0_20block_scan_algorithmE0ELj4294967295EEENS1_25partition_config_selectorILNS1_17partition_subalgoE3EjNS0_10empty_typeEbEEZZNS1_14partition_implILS8_3ELb0ES6_jNS0_17counting_iteratorIjlEEPS9_SE_NS0_5tupleIJPjSE_EEENSF_IJSE_SE_EEES9_SG_JZNS1_25segmented_radix_sort_implINS0_14default_configELb0EPKsPsPKlPlN2at6native12_GLOBAL__N_18offset_tEEE10hipError_tPvRmT1_PNSt15iterator_traitsISY_E10value_typeET2_T3_PNSZ_IS14_E10value_typeET4_jRbjT5_S1A_jjP12ihipStream_tbEUljE_EEESV_SW_SX_S14_S18_S1A_T6_T7_T9_mT8_S1C_bDpT10_ENKUlT_T0_E_clISt17integral_constantIbLb1EES1O_IbLb0EEEEDaS1K_S1L_EUlS1K_E_NS1_11comp_targetILNS1_3genE0ELNS1_11target_archE4294967295ELNS1_3gpuE0ELNS1_3repE0EEENS1_30default_config_static_selectorELNS0_4arch9wavefront6targetE0EEEvSY_.num_agpr, 0
	.set _ZN7rocprim17ROCPRIM_400000_NS6detail17trampoline_kernelINS0_13select_configILj256ELj13ELNS0_17block_load_methodE3ELS4_3ELS4_3ELNS0_20block_scan_algorithmE0ELj4294967295EEENS1_25partition_config_selectorILNS1_17partition_subalgoE3EjNS0_10empty_typeEbEEZZNS1_14partition_implILS8_3ELb0ES6_jNS0_17counting_iteratorIjlEEPS9_SE_NS0_5tupleIJPjSE_EEENSF_IJSE_SE_EEES9_SG_JZNS1_25segmented_radix_sort_implINS0_14default_configELb0EPKsPsPKlPlN2at6native12_GLOBAL__N_18offset_tEEE10hipError_tPvRmT1_PNSt15iterator_traitsISY_E10value_typeET2_T3_PNSZ_IS14_E10value_typeET4_jRbjT5_S1A_jjP12ihipStream_tbEUljE_EEESV_SW_SX_S14_S18_S1A_T6_T7_T9_mT8_S1C_bDpT10_ENKUlT_T0_E_clISt17integral_constantIbLb1EES1O_IbLb0EEEEDaS1K_S1L_EUlS1K_E_NS1_11comp_targetILNS1_3genE0ELNS1_11target_archE4294967295ELNS1_3gpuE0ELNS1_3repE0EEENS1_30default_config_static_selectorELNS0_4arch9wavefront6targetE0EEEvSY_.numbered_sgpr, 0
	.set _ZN7rocprim17ROCPRIM_400000_NS6detail17trampoline_kernelINS0_13select_configILj256ELj13ELNS0_17block_load_methodE3ELS4_3ELS4_3ELNS0_20block_scan_algorithmE0ELj4294967295EEENS1_25partition_config_selectorILNS1_17partition_subalgoE3EjNS0_10empty_typeEbEEZZNS1_14partition_implILS8_3ELb0ES6_jNS0_17counting_iteratorIjlEEPS9_SE_NS0_5tupleIJPjSE_EEENSF_IJSE_SE_EEES9_SG_JZNS1_25segmented_radix_sort_implINS0_14default_configELb0EPKsPsPKlPlN2at6native12_GLOBAL__N_18offset_tEEE10hipError_tPvRmT1_PNSt15iterator_traitsISY_E10value_typeET2_T3_PNSZ_IS14_E10value_typeET4_jRbjT5_S1A_jjP12ihipStream_tbEUljE_EEESV_SW_SX_S14_S18_S1A_T6_T7_T9_mT8_S1C_bDpT10_ENKUlT_T0_E_clISt17integral_constantIbLb1EES1O_IbLb0EEEEDaS1K_S1L_EUlS1K_E_NS1_11comp_targetILNS1_3genE0ELNS1_11target_archE4294967295ELNS1_3gpuE0ELNS1_3repE0EEENS1_30default_config_static_selectorELNS0_4arch9wavefront6targetE0EEEvSY_.num_named_barrier, 0
	.set _ZN7rocprim17ROCPRIM_400000_NS6detail17trampoline_kernelINS0_13select_configILj256ELj13ELNS0_17block_load_methodE3ELS4_3ELS4_3ELNS0_20block_scan_algorithmE0ELj4294967295EEENS1_25partition_config_selectorILNS1_17partition_subalgoE3EjNS0_10empty_typeEbEEZZNS1_14partition_implILS8_3ELb0ES6_jNS0_17counting_iteratorIjlEEPS9_SE_NS0_5tupleIJPjSE_EEENSF_IJSE_SE_EEES9_SG_JZNS1_25segmented_radix_sort_implINS0_14default_configELb0EPKsPsPKlPlN2at6native12_GLOBAL__N_18offset_tEEE10hipError_tPvRmT1_PNSt15iterator_traitsISY_E10value_typeET2_T3_PNSZ_IS14_E10value_typeET4_jRbjT5_S1A_jjP12ihipStream_tbEUljE_EEESV_SW_SX_S14_S18_S1A_T6_T7_T9_mT8_S1C_bDpT10_ENKUlT_T0_E_clISt17integral_constantIbLb1EES1O_IbLb0EEEEDaS1K_S1L_EUlS1K_E_NS1_11comp_targetILNS1_3genE0ELNS1_11target_archE4294967295ELNS1_3gpuE0ELNS1_3repE0EEENS1_30default_config_static_selectorELNS0_4arch9wavefront6targetE0EEEvSY_.private_seg_size, 0
	.set _ZN7rocprim17ROCPRIM_400000_NS6detail17trampoline_kernelINS0_13select_configILj256ELj13ELNS0_17block_load_methodE3ELS4_3ELS4_3ELNS0_20block_scan_algorithmE0ELj4294967295EEENS1_25partition_config_selectorILNS1_17partition_subalgoE3EjNS0_10empty_typeEbEEZZNS1_14partition_implILS8_3ELb0ES6_jNS0_17counting_iteratorIjlEEPS9_SE_NS0_5tupleIJPjSE_EEENSF_IJSE_SE_EEES9_SG_JZNS1_25segmented_radix_sort_implINS0_14default_configELb0EPKsPsPKlPlN2at6native12_GLOBAL__N_18offset_tEEE10hipError_tPvRmT1_PNSt15iterator_traitsISY_E10value_typeET2_T3_PNSZ_IS14_E10value_typeET4_jRbjT5_S1A_jjP12ihipStream_tbEUljE_EEESV_SW_SX_S14_S18_S1A_T6_T7_T9_mT8_S1C_bDpT10_ENKUlT_T0_E_clISt17integral_constantIbLb1EES1O_IbLb0EEEEDaS1K_S1L_EUlS1K_E_NS1_11comp_targetILNS1_3genE0ELNS1_11target_archE4294967295ELNS1_3gpuE0ELNS1_3repE0EEENS1_30default_config_static_selectorELNS0_4arch9wavefront6targetE0EEEvSY_.uses_vcc, 0
	.set _ZN7rocprim17ROCPRIM_400000_NS6detail17trampoline_kernelINS0_13select_configILj256ELj13ELNS0_17block_load_methodE3ELS4_3ELS4_3ELNS0_20block_scan_algorithmE0ELj4294967295EEENS1_25partition_config_selectorILNS1_17partition_subalgoE3EjNS0_10empty_typeEbEEZZNS1_14partition_implILS8_3ELb0ES6_jNS0_17counting_iteratorIjlEEPS9_SE_NS0_5tupleIJPjSE_EEENSF_IJSE_SE_EEES9_SG_JZNS1_25segmented_radix_sort_implINS0_14default_configELb0EPKsPsPKlPlN2at6native12_GLOBAL__N_18offset_tEEE10hipError_tPvRmT1_PNSt15iterator_traitsISY_E10value_typeET2_T3_PNSZ_IS14_E10value_typeET4_jRbjT5_S1A_jjP12ihipStream_tbEUljE_EEESV_SW_SX_S14_S18_S1A_T6_T7_T9_mT8_S1C_bDpT10_ENKUlT_T0_E_clISt17integral_constantIbLb1EES1O_IbLb0EEEEDaS1K_S1L_EUlS1K_E_NS1_11comp_targetILNS1_3genE0ELNS1_11target_archE4294967295ELNS1_3gpuE0ELNS1_3repE0EEENS1_30default_config_static_selectorELNS0_4arch9wavefront6targetE0EEEvSY_.uses_flat_scratch, 0
	.set _ZN7rocprim17ROCPRIM_400000_NS6detail17trampoline_kernelINS0_13select_configILj256ELj13ELNS0_17block_load_methodE3ELS4_3ELS4_3ELNS0_20block_scan_algorithmE0ELj4294967295EEENS1_25partition_config_selectorILNS1_17partition_subalgoE3EjNS0_10empty_typeEbEEZZNS1_14partition_implILS8_3ELb0ES6_jNS0_17counting_iteratorIjlEEPS9_SE_NS0_5tupleIJPjSE_EEENSF_IJSE_SE_EEES9_SG_JZNS1_25segmented_radix_sort_implINS0_14default_configELb0EPKsPsPKlPlN2at6native12_GLOBAL__N_18offset_tEEE10hipError_tPvRmT1_PNSt15iterator_traitsISY_E10value_typeET2_T3_PNSZ_IS14_E10value_typeET4_jRbjT5_S1A_jjP12ihipStream_tbEUljE_EEESV_SW_SX_S14_S18_S1A_T6_T7_T9_mT8_S1C_bDpT10_ENKUlT_T0_E_clISt17integral_constantIbLb1EES1O_IbLb0EEEEDaS1K_S1L_EUlS1K_E_NS1_11comp_targetILNS1_3genE0ELNS1_11target_archE4294967295ELNS1_3gpuE0ELNS1_3repE0EEENS1_30default_config_static_selectorELNS0_4arch9wavefront6targetE0EEEvSY_.has_dyn_sized_stack, 0
	.set _ZN7rocprim17ROCPRIM_400000_NS6detail17trampoline_kernelINS0_13select_configILj256ELj13ELNS0_17block_load_methodE3ELS4_3ELS4_3ELNS0_20block_scan_algorithmE0ELj4294967295EEENS1_25partition_config_selectorILNS1_17partition_subalgoE3EjNS0_10empty_typeEbEEZZNS1_14partition_implILS8_3ELb0ES6_jNS0_17counting_iteratorIjlEEPS9_SE_NS0_5tupleIJPjSE_EEENSF_IJSE_SE_EEES9_SG_JZNS1_25segmented_radix_sort_implINS0_14default_configELb0EPKsPsPKlPlN2at6native12_GLOBAL__N_18offset_tEEE10hipError_tPvRmT1_PNSt15iterator_traitsISY_E10value_typeET2_T3_PNSZ_IS14_E10value_typeET4_jRbjT5_S1A_jjP12ihipStream_tbEUljE_EEESV_SW_SX_S14_S18_S1A_T6_T7_T9_mT8_S1C_bDpT10_ENKUlT_T0_E_clISt17integral_constantIbLb1EES1O_IbLb0EEEEDaS1K_S1L_EUlS1K_E_NS1_11comp_targetILNS1_3genE0ELNS1_11target_archE4294967295ELNS1_3gpuE0ELNS1_3repE0EEENS1_30default_config_static_selectorELNS0_4arch9wavefront6targetE0EEEvSY_.has_recursion, 0
	.set _ZN7rocprim17ROCPRIM_400000_NS6detail17trampoline_kernelINS0_13select_configILj256ELj13ELNS0_17block_load_methodE3ELS4_3ELS4_3ELNS0_20block_scan_algorithmE0ELj4294967295EEENS1_25partition_config_selectorILNS1_17partition_subalgoE3EjNS0_10empty_typeEbEEZZNS1_14partition_implILS8_3ELb0ES6_jNS0_17counting_iteratorIjlEEPS9_SE_NS0_5tupleIJPjSE_EEENSF_IJSE_SE_EEES9_SG_JZNS1_25segmented_radix_sort_implINS0_14default_configELb0EPKsPsPKlPlN2at6native12_GLOBAL__N_18offset_tEEE10hipError_tPvRmT1_PNSt15iterator_traitsISY_E10value_typeET2_T3_PNSZ_IS14_E10value_typeET4_jRbjT5_S1A_jjP12ihipStream_tbEUljE_EEESV_SW_SX_S14_S18_S1A_T6_T7_T9_mT8_S1C_bDpT10_ENKUlT_T0_E_clISt17integral_constantIbLb1EES1O_IbLb0EEEEDaS1K_S1L_EUlS1K_E_NS1_11comp_targetILNS1_3genE0ELNS1_11target_archE4294967295ELNS1_3gpuE0ELNS1_3repE0EEENS1_30default_config_static_selectorELNS0_4arch9wavefront6targetE0EEEvSY_.has_indirect_call, 0
	.section	.AMDGPU.csdata,"",@progbits
; Kernel info:
; codeLenInByte = 0
; TotalNumSgprs: 0
; NumVgprs: 0
; ScratchSize: 0
; MemoryBound: 0
; FloatMode: 240
; IeeeMode: 1
; LDSByteSize: 0 bytes/workgroup (compile time only)
; SGPRBlocks: 0
; VGPRBlocks: 0
; NumSGPRsForWavesPerEU: 1
; NumVGPRsForWavesPerEU: 1
; Occupancy: 16
; WaveLimiterHint : 0
; COMPUTE_PGM_RSRC2:SCRATCH_EN: 0
; COMPUTE_PGM_RSRC2:USER_SGPR: 6
; COMPUTE_PGM_RSRC2:TRAP_HANDLER: 0
; COMPUTE_PGM_RSRC2:TGID_X_EN: 1
; COMPUTE_PGM_RSRC2:TGID_Y_EN: 0
; COMPUTE_PGM_RSRC2:TGID_Z_EN: 0
; COMPUTE_PGM_RSRC2:TIDIG_COMP_CNT: 0
	.section	.text._ZN7rocprim17ROCPRIM_400000_NS6detail17trampoline_kernelINS0_13select_configILj256ELj13ELNS0_17block_load_methodE3ELS4_3ELS4_3ELNS0_20block_scan_algorithmE0ELj4294967295EEENS1_25partition_config_selectorILNS1_17partition_subalgoE3EjNS0_10empty_typeEbEEZZNS1_14partition_implILS8_3ELb0ES6_jNS0_17counting_iteratorIjlEEPS9_SE_NS0_5tupleIJPjSE_EEENSF_IJSE_SE_EEES9_SG_JZNS1_25segmented_radix_sort_implINS0_14default_configELb0EPKsPsPKlPlN2at6native12_GLOBAL__N_18offset_tEEE10hipError_tPvRmT1_PNSt15iterator_traitsISY_E10value_typeET2_T3_PNSZ_IS14_E10value_typeET4_jRbjT5_S1A_jjP12ihipStream_tbEUljE_EEESV_SW_SX_S14_S18_S1A_T6_T7_T9_mT8_S1C_bDpT10_ENKUlT_T0_E_clISt17integral_constantIbLb1EES1O_IbLb0EEEEDaS1K_S1L_EUlS1K_E_NS1_11comp_targetILNS1_3genE5ELNS1_11target_archE942ELNS1_3gpuE9ELNS1_3repE0EEENS1_30default_config_static_selectorELNS0_4arch9wavefront6targetE0EEEvSY_,"axG",@progbits,_ZN7rocprim17ROCPRIM_400000_NS6detail17trampoline_kernelINS0_13select_configILj256ELj13ELNS0_17block_load_methodE3ELS4_3ELS4_3ELNS0_20block_scan_algorithmE0ELj4294967295EEENS1_25partition_config_selectorILNS1_17partition_subalgoE3EjNS0_10empty_typeEbEEZZNS1_14partition_implILS8_3ELb0ES6_jNS0_17counting_iteratorIjlEEPS9_SE_NS0_5tupleIJPjSE_EEENSF_IJSE_SE_EEES9_SG_JZNS1_25segmented_radix_sort_implINS0_14default_configELb0EPKsPsPKlPlN2at6native12_GLOBAL__N_18offset_tEEE10hipError_tPvRmT1_PNSt15iterator_traitsISY_E10value_typeET2_T3_PNSZ_IS14_E10value_typeET4_jRbjT5_S1A_jjP12ihipStream_tbEUljE_EEESV_SW_SX_S14_S18_S1A_T6_T7_T9_mT8_S1C_bDpT10_ENKUlT_T0_E_clISt17integral_constantIbLb1EES1O_IbLb0EEEEDaS1K_S1L_EUlS1K_E_NS1_11comp_targetILNS1_3genE5ELNS1_11target_archE942ELNS1_3gpuE9ELNS1_3repE0EEENS1_30default_config_static_selectorELNS0_4arch9wavefront6targetE0EEEvSY_,comdat
	.globl	_ZN7rocprim17ROCPRIM_400000_NS6detail17trampoline_kernelINS0_13select_configILj256ELj13ELNS0_17block_load_methodE3ELS4_3ELS4_3ELNS0_20block_scan_algorithmE0ELj4294967295EEENS1_25partition_config_selectorILNS1_17partition_subalgoE3EjNS0_10empty_typeEbEEZZNS1_14partition_implILS8_3ELb0ES6_jNS0_17counting_iteratorIjlEEPS9_SE_NS0_5tupleIJPjSE_EEENSF_IJSE_SE_EEES9_SG_JZNS1_25segmented_radix_sort_implINS0_14default_configELb0EPKsPsPKlPlN2at6native12_GLOBAL__N_18offset_tEEE10hipError_tPvRmT1_PNSt15iterator_traitsISY_E10value_typeET2_T3_PNSZ_IS14_E10value_typeET4_jRbjT5_S1A_jjP12ihipStream_tbEUljE_EEESV_SW_SX_S14_S18_S1A_T6_T7_T9_mT8_S1C_bDpT10_ENKUlT_T0_E_clISt17integral_constantIbLb1EES1O_IbLb0EEEEDaS1K_S1L_EUlS1K_E_NS1_11comp_targetILNS1_3genE5ELNS1_11target_archE942ELNS1_3gpuE9ELNS1_3repE0EEENS1_30default_config_static_selectorELNS0_4arch9wavefront6targetE0EEEvSY_ ; -- Begin function _ZN7rocprim17ROCPRIM_400000_NS6detail17trampoline_kernelINS0_13select_configILj256ELj13ELNS0_17block_load_methodE3ELS4_3ELS4_3ELNS0_20block_scan_algorithmE0ELj4294967295EEENS1_25partition_config_selectorILNS1_17partition_subalgoE3EjNS0_10empty_typeEbEEZZNS1_14partition_implILS8_3ELb0ES6_jNS0_17counting_iteratorIjlEEPS9_SE_NS0_5tupleIJPjSE_EEENSF_IJSE_SE_EEES9_SG_JZNS1_25segmented_radix_sort_implINS0_14default_configELb0EPKsPsPKlPlN2at6native12_GLOBAL__N_18offset_tEEE10hipError_tPvRmT1_PNSt15iterator_traitsISY_E10value_typeET2_T3_PNSZ_IS14_E10value_typeET4_jRbjT5_S1A_jjP12ihipStream_tbEUljE_EEESV_SW_SX_S14_S18_S1A_T6_T7_T9_mT8_S1C_bDpT10_ENKUlT_T0_E_clISt17integral_constantIbLb1EES1O_IbLb0EEEEDaS1K_S1L_EUlS1K_E_NS1_11comp_targetILNS1_3genE5ELNS1_11target_archE942ELNS1_3gpuE9ELNS1_3repE0EEENS1_30default_config_static_selectorELNS0_4arch9wavefront6targetE0EEEvSY_
	.p2align	8
	.type	_ZN7rocprim17ROCPRIM_400000_NS6detail17trampoline_kernelINS0_13select_configILj256ELj13ELNS0_17block_load_methodE3ELS4_3ELS4_3ELNS0_20block_scan_algorithmE0ELj4294967295EEENS1_25partition_config_selectorILNS1_17partition_subalgoE3EjNS0_10empty_typeEbEEZZNS1_14partition_implILS8_3ELb0ES6_jNS0_17counting_iteratorIjlEEPS9_SE_NS0_5tupleIJPjSE_EEENSF_IJSE_SE_EEES9_SG_JZNS1_25segmented_radix_sort_implINS0_14default_configELb0EPKsPsPKlPlN2at6native12_GLOBAL__N_18offset_tEEE10hipError_tPvRmT1_PNSt15iterator_traitsISY_E10value_typeET2_T3_PNSZ_IS14_E10value_typeET4_jRbjT5_S1A_jjP12ihipStream_tbEUljE_EEESV_SW_SX_S14_S18_S1A_T6_T7_T9_mT8_S1C_bDpT10_ENKUlT_T0_E_clISt17integral_constantIbLb1EES1O_IbLb0EEEEDaS1K_S1L_EUlS1K_E_NS1_11comp_targetILNS1_3genE5ELNS1_11target_archE942ELNS1_3gpuE9ELNS1_3repE0EEENS1_30default_config_static_selectorELNS0_4arch9wavefront6targetE0EEEvSY_,@function
_ZN7rocprim17ROCPRIM_400000_NS6detail17trampoline_kernelINS0_13select_configILj256ELj13ELNS0_17block_load_methodE3ELS4_3ELS4_3ELNS0_20block_scan_algorithmE0ELj4294967295EEENS1_25partition_config_selectorILNS1_17partition_subalgoE3EjNS0_10empty_typeEbEEZZNS1_14partition_implILS8_3ELb0ES6_jNS0_17counting_iteratorIjlEEPS9_SE_NS0_5tupleIJPjSE_EEENSF_IJSE_SE_EEES9_SG_JZNS1_25segmented_radix_sort_implINS0_14default_configELb0EPKsPsPKlPlN2at6native12_GLOBAL__N_18offset_tEEE10hipError_tPvRmT1_PNSt15iterator_traitsISY_E10value_typeET2_T3_PNSZ_IS14_E10value_typeET4_jRbjT5_S1A_jjP12ihipStream_tbEUljE_EEESV_SW_SX_S14_S18_S1A_T6_T7_T9_mT8_S1C_bDpT10_ENKUlT_T0_E_clISt17integral_constantIbLb1EES1O_IbLb0EEEEDaS1K_S1L_EUlS1K_E_NS1_11comp_targetILNS1_3genE5ELNS1_11target_archE942ELNS1_3gpuE9ELNS1_3repE0EEENS1_30default_config_static_selectorELNS0_4arch9wavefront6targetE0EEEvSY_: ; @_ZN7rocprim17ROCPRIM_400000_NS6detail17trampoline_kernelINS0_13select_configILj256ELj13ELNS0_17block_load_methodE3ELS4_3ELS4_3ELNS0_20block_scan_algorithmE0ELj4294967295EEENS1_25partition_config_selectorILNS1_17partition_subalgoE3EjNS0_10empty_typeEbEEZZNS1_14partition_implILS8_3ELb0ES6_jNS0_17counting_iteratorIjlEEPS9_SE_NS0_5tupleIJPjSE_EEENSF_IJSE_SE_EEES9_SG_JZNS1_25segmented_radix_sort_implINS0_14default_configELb0EPKsPsPKlPlN2at6native12_GLOBAL__N_18offset_tEEE10hipError_tPvRmT1_PNSt15iterator_traitsISY_E10value_typeET2_T3_PNSZ_IS14_E10value_typeET4_jRbjT5_S1A_jjP12ihipStream_tbEUljE_EEESV_SW_SX_S14_S18_S1A_T6_T7_T9_mT8_S1C_bDpT10_ENKUlT_T0_E_clISt17integral_constantIbLb1EES1O_IbLb0EEEEDaS1K_S1L_EUlS1K_E_NS1_11comp_targetILNS1_3genE5ELNS1_11target_archE942ELNS1_3gpuE9ELNS1_3repE0EEENS1_30default_config_static_selectorELNS0_4arch9wavefront6targetE0EEEvSY_
; %bb.0:
	.section	.rodata,"a",@progbits
	.p2align	6, 0x0
	.amdhsa_kernel _ZN7rocprim17ROCPRIM_400000_NS6detail17trampoline_kernelINS0_13select_configILj256ELj13ELNS0_17block_load_methodE3ELS4_3ELS4_3ELNS0_20block_scan_algorithmE0ELj4294967295EEENS1_25partition_config_selectorILNS1_17partition_subalgoE3EjNS0_10empty_typeEbEEZZNS1_14partition_implILS8_3ELb0ES6_jNS0_17counting_iteratorIjlEEPS9_SE_NS0_5tupleIJPjSE_EEENSF_IJSE_SE_EEES9_SG_JZNS1_25segmented_radix_sort_implINS0_14default_configELb0EPKsPsPKlPlN2at6native12_GLOBAL__N_18offset_tEEE10hipError_tPvRmT1_PNSt15iterator_traitsISY_E10value_typeET2_T3_PNSZ_IS14_E10value_typeET4_jRbjT5_S1A_jjP12ihipStream_tbEUljE_EEESV_SW_SX_S14_S18_S1A_T6_T7_T9_mT8_S1C_bDpT10_ENKUlT_T0_E_clISt17integral_constantIbLb1EES1O_IbLb0EEEEDaS1K_S1L_EUlS1K_E_NS1_11comp_targetILNS1_3genE5ELNS1_11target_archE942ELNS1_3gpuE9ELNS1_3repE0EEENS1_30default_config_static_selectorELNS0_4arch9wavefront6targetE0EEEvSY_
		.amdhsa_group_segment_fixed_size 0
		.amdhsa_private_segment_fixed_size 0
		.amdhsa_kernarg_size 144
		.amdhsa_user_sgpr_count 6
		.amdhsa_user_sgpr_private_segment_buffer 1
		.amdhsa_user_sgpr_dispatch_ptr 0
		.amdhsa_user_sgpr_queue_ptr 0
		.amdhsa_user_sgpr_kernarg_segment_ptr 1
		.amdhsa_user_sgpr_dispatch_id 0
		.amdhsa_user_sgpr_flat_scratch_init 0
		.amdhsa_user_sgpr_private_segment_size 0
		.amdhsa_wavefront_size32 1
		.amdhsa_uses_dynamic_stack 0
		.amdhsa_system_sgpr_private_segment_wavefront_offset 0
		.amdhsa_system_sgpr_workgroup_id_x 1
		.amdhsa_system_sgpr_workgroup_id_y 0
		.amdhsa_system_sgpr_workgroup_id_z 0
		.amdhsa_system_sgpr_workgroup_info 0
		.amdhsa_system_vgpr_workitem_id 0
		.amdhsa_next_free_vgpr 1
		.amdhsa_next_free_sgpr 1
		.amdhsa_reserve_vcc 0
		.amdhsa_reserve_flat_scratch 0
		.amdhsa_float_round_mode_32 0
		.amdhsa_float_round_mode_16_64 0
		.amdhsa_float_denorm_mode_32 3
		.amdhsa_float_denorm_mode_16_64 3
		.amdhsa_dx10_clamp 1
		.amdhsa_ieee_mode 1
		.amdhsa_fp16_overflow 0
		.amdhsa_workgroup_processor_mode 1
		.amdhsa_memory_ordered 1
		.amdhsa_forward_progress 1
		.amdhsa_shared_vgpr_count 0
		.amdhsa_exception_fp_ieee_invalid_op 0
		.amdhsa_exception_fp_denorm_src 0
		.amdhsa_exception_fp_ieee_div_zero 0
		.amdhsa_exception_fp_ieee_overflow 0
		.amdhsa_exception_fp_ieee_underflow 0
		.amdhsa_exception_fp_ieee_inexact 0
		.amdhsa_exception_int_div_zero 0
	.end_amdhsa_kernel
	.section	.text._ZN7rocprim17ROCPRIM_400000_NS6detail17trampoline_kernelINS0_13select_configILj256ELj13ELNS0_17block_load_methodE3ELS4_3ELS4_3ELNS0_20block_scan_algorithmE0ELj4294967295EEENS1_25partition_config_selectorILNS1_17partition_subalgoE3EjNS0_10empty_typeEbEEZZNS1_14partition_implILS8_3ELb0ES6_jNS0_17counting_iteratorIjlEEPS9_SE_NS0_5tupleIJPjSE_EEENSF_IJSE_SE_EEES9_SG_JZNS1_25segmented_radix_sort_implINS0_14default_configELb0EPKsPsPKlPlN2at6native12_GLOBAL__N_18offset_tEEE10hipError_tPvRmT1_PNSt15iterator_traitsISY_E10value_typeET2_T3_PNSZ_IS14_E10value_typeET4_jRbjT5_S1A_jjP12ihipStream_tbEUljE_EEESV_SW_SX_S14_S18_S1A_T6_T7_T9_mT8_S1C_bDpT10_ENKUlT_T0_E_clISt17integral_constantIbLb1EES1O_IbLb0EEEEDaS1K_S1L_EUlS1K_E_NS1_11comp_targetILNS1_3genE5ELNS1_11target_archE942ELNS1_3gpuE9ELNS1_3repE0EEENS1_30default_config_static_selectorELNS0_4arch9wavefront6targetE0EEEvSY_,"axG",@progbits,_ZN7rocprim17ROCPRIM_400000_NS6detail17trampoline_kernelINS0_13select_configILj256ELj13ELNS0_17block_load_methodE3ELS4_3ELS4_3ELNS0_20block_scan_algorithmE0ELj4294967295EEENS1_25partition_config_selectorILNS1_17partition_subalgoE3EjNS0_10empty_typeEbEEZZNS1_14partition_implILS8_3ELb0ES6_jNS0_17counting_iteratorIjlEEPS9_SE_NS0_5tupleIJPjSE_EEENSF_IJSE_SE_EEES9_SG_JZNS1_25segmented_radix_sort_implINS0_14default_configELb0EPKsPsPKlPlN2at6native12_GLOBAL__N_18offset_tEEE10hipError_tPvRmT1_PNSt15iterator_traitsISY_E10value_typeET2_T3_PNSZ_IS14_E10value_typeET4_jRbjT5_S1A_jjP12ihipStream_tbEUljE_EEESV_SW_SX_S14_S18_S1A_T6_T7_T9_mT8_S1C_bDpT10_ENKUlT_T0_E_clISt17integral_constantIbLb1EES1O_IbLb0EEEEDaS1K_S1L_EUlS1K_E_NS1_11comp_targetILNS1_3genE5ELNS1_11target_archE942ELNS1_3gpuE9ELNS1_3repE0EEENS1_30default_config_static_selectorELNS0_4arch9wavefront6targetE0EEEvSY_,comdat
.Lfunc_end992:
	.size	_ZN7rocprim17ROCPRIM_400000_NS6detail17trampoline_kernelINS0_13select_configILj256ELj13ELNS0_17block_load_methodE3ELS4_3ELS4_3ELNS0_20block_scan_algorithmE0ELj4294967295EEENS1_25partition_config_selectorILNS1_17partition_subalgoE3EjNS0_10empty_typeEbEEZZNS1_14partition_implILS8_3ELb0ES6_jNS0_17counting_iteratorIjlEEPS9_SE_NS0_5tupleIJPjSE_EEENSF_IJSE_SE_EEES9_SG_JZNS1_25segmented_radix_sort_implINS0_14default_configELb0EPKsPsPKlPlN2at6native12_GLOBAL__N_18offset_tEEE10hipError_tPvRmT1_PNSt15iterator_traitsISY_E10value_typeET2_T3_PNSZ_IS14_E10value_typeET4_jRbjT5_S1A_jjP12ihipStream_tbEUljE_EEESV_SW_SX_S14_S18_S1A_T6_T7_T9_mT8_S1C_bDpT10_ENKUlT_T0_E_clISt17integral_constantIbLb1EES1O_IbLb0EEEEDaS1K_S1L_EUlS1K_E_NS1_11comp_targetILNS1_3genE5ELNS1_11target_archE942ELNS1_3gpuE9ELNS1_3repE0EEENS1_30default_config_static_selectorELNS0_4arch9wavefront6targetE0EEEvSY_, .Lfunc_end992-_ZN7rocprim17ROCPRIM_400000_NS6detail17trampoline_kernelINS0_13select_configILj256ELj13ELNS0_17block_load_methodE3ELS4_3ELS4_3ELNS0_20block_scan_algorithmE0ELj4294967295EEENS1_25partition_config_selectorILNS1_17partition_subalgoE3EjNS0_10empty_typeEbEEZZNS1_14partition_implILS8_3ELb0ES6_jNS0_17counting_iteratorIjlEEPS9_SE_NS0_5tupleIJPjSE_EEENSF_IJSE_SE_EEES9_SG_JZNS1_25segmented_radix_sort_implINS0_14default_configELb0EPKsPsPKlPlN2at6native12_GLOBAL__N_18offset_tEEE10hipError_tPvRmT1_PNSt15iterator_traitsISY_E10value_typeET2_T3_PNSZ_IS14_E10value_typeET4_jRbjT5_S1A_jjP12ihipStream_tbEUljE_EEESV_SW_SX_S14_S18_S1A_T6_T7_T9_mT8_S1C_bDpT10_ENKUlT_T0_E_clISt17integral_constantIbLb1EES1O_IbLb0EEEEDaS1K_S1L_EUlS1K_E_NS1_11comp_targetILNS1_3genE5ELNS1_11target_archE942ELNS1_3gpuE9ELNS1_3repE0EEENS1_30default_config_static_selectorELNS0_4arch9wavefront6targetE0EEEvSY_
                                        ; -- End function
	.set _ZN7rocprim17ROCPRIM_400000_NS6detail17trampoline_kernelINS0_13select_configILj256ELj13ELNS0_17block_load_methodE3ELS4_3ELS4_3ELNS0_20block_scan_algorithmE0ELj4294967295EEENS1_25partition_config_selectorILNS1_17partition_subalgoE3EjNS0_10empty_typeEbEEZZNS1_14partition_implILS8_3ELb0ES6_jNS0_17counting_iteratorIjlEEPS9_SE_NS0_5tupleIJPjSE_EEENSF_IJSE_SE_EEES9_SG_JZNS1_25segmented_radix_sort_implINS0_14default_configELb0EPKsPsPKlPlN2at6native12_GLOBAL__N_18offset_tEEE10hipError_tPvRmT1_PNSt15iterator_traitsISY_E10value_typeET2_T3_PNSZ_IS14_E10value_typeET4_jRbjT5_S1A_jjP12ihipStream_tbEUljE_EEESV_SW_SX_S14_S18_S1A_T6_T7_T9_mT8_S1C_bDpT10_ENKUlT_T0_E_clISt17integral_constantIbLb1EES1O_IbLb0EEEEDaS1K_S1L_EUlS1K_E_NS1_11comp_targetILNS1_3genE5ELNS1_11target_archE942ELNS1_3gpuE9ELNS1_3repE0EEENS1_30default_config_static_selectorELNS0_4arch9wavefront6targetE0EEEvSY_.num_vgpr, 0
	.set _ZN7rocprim17ROCPRIM_400000_NS6detail17trampoline_kernelINS0_13select_configILj256ELj13ELNS0_17block_load_methodE3ELS4_3ELS4_3ELNS0_20block_scan_algorithmE0ELj4294967295EEENS1_25partition_config_selectorILNS1_17partition_subalgoE3EjNS0_10empty_typeEbEEZZNS1_14partition_implILS8_3ELb0ES6_jNS0_17counting_iteratorIjlEEPS9_SE_NS0_5tupleIJPjSE_EEENSF_IJSE_SE_EEES9_SG_JZNS1_25segmented_radix_sort_implINS0_14default_configELb0EPKsPsPKlPlN2at6native12_GLOBAL__N_18offset_tEEE10hipError_tPvRmT1_PNSt15iterator_traitsISY_E10value_typeET2_T3_PNSZ_IS14_E10value_typeET4_jRbjT5_S1A_jjP12ihipStream_tbEUljE_EEESV_SW_SX_S14_S18_S1A_T6_T7_T9_mT8_S1C_bDpT10_ENKUlT_T0_E_clISt17integral_constantIbLb1EES1O_IbLb0EEEEDaS1K_S1L_EUlS1K_E_NS1_11comp_targetILNS1_3genE5ELNS1_11target_archE942ELNS1_3gpuE9ELNS1_3repE0EEENS1_30default_config_static_selectorELNS0_4arch9wavefront6targetE0EEEvSY_.num_agpr, 0
	.set _ZN7rocprim17ROCPRIM_400000_NS6detail17trampoline_kernelINS0_13select_configILj256ELj13ELNS0_17block_load_methodE3ELS4_3ELS4_3ELNS0_20block_scan_algorithmE0ELj4294967295EEENS1_25partition_config_selectorILNS1_17partition_subalgoE3EjNS0_10empty_typeEbEEZZNS1_14partition_implILS8_3ELb0ES6_jNS0_17counting_iteratorIjlEEPS9_SE_NS0_5tupleIJPjSE_EEENSF_IJSE_SE_EEES9_SG_JZNS1_25segmented_radix_sort_implINS0_14default_configELb0EPKsPsPKlPlN2at6native12_GLOBAL__N_18offset_tEEE10hipError_tPvRmT1_PNSt15iterator_traitsISY_E10value_typeET2_T3_PNSZ_IS14_E10value_typeET4_jRbjT5_S1A_jjP12ihipStream_tbEUljE_EEESV_SW_SX_S14_S18_S1A_T6_T7_T9_mT8_S1C_bDpT10_ENKUlT_T0_E_clISt17integral_constantIbLb1EES1O_IbLb0EEEEDaS1K_S1L_EUlS1K_E_NS1_11comp_targetILNS1_3genE5ELNS1_11target_archE942ELNS1_3gpuE9ELNS1_3repE0EEENS1_30default_config_static_selectorELNS0_4arch9wavefront6targetE0EEEvSY_.numbered_sgpr, 0
	.set _ZN7rocprim17ROCPRIM_400000_NS6detail17trampoline_kernelINS0_13select_configILj256ELj13ELNS0_17block_load_methodE3ELS4_3ELS4_3ELNS0_20block_scan_algorithmE0ELj4294967295EEENS1_25partition_config_selectorILNS1_17partition_subalgoE3EjNS0_10empty_typeEbEEZZNS1_14partition_implILS8_3ELb0ES6_jNS0_17counting_iteratorIjlEEPS9_SE_NS0_5tupleIJPjSE_EEENSF_IJSE_SE_EEES9_SG_JZNS1_25segmented_radix_sort_implINS0_14default_configELb0EPKsPsPKlPlN2at6native12_GLOBAL__N_18offset_tEEE10hipError_tPvRmT1_PNSt15iterator_traitsISY_E10value_typeET2_T3_PNSZ_IS14_E10value_typeET4_jRbjT5_S1A_jjP12ihipStream_tbEUljE_EEESV_SW_SX_S14_S18_S1A_T6_T7_T9_mT8_S1C_bDpT10_ENKUlT_T0_E_clISt17integral_constantIbLb1EES1O_IbLb0EEEEDaS1K_S1L_EUlS1K_E_NS1_11comp_targetILNS1_3genE5ELNS1_11target_archE942ELNS1_3gpuE9ELNS1_3repE0EEENS1_30default_config_static_selectorELNS0_4arch9wavefront6targetE0EEEvSY_.num_named_barrier, 0
	.set _ZN7rocprim17ROCPRIM_400000_NS6detail17trampoline_kernelINS0_13select_configILj256ELj13ELNS0_17block_load_methodE3ELS4_3ELS4_3ELNS0_20block_scan_algorithmE0ELj4294967295EEENS1_25partition_config_selectorILNS1_17partition_subalgoE3EjNS0_10empty_typeEbEEZZNS1_14partition_implILS8_3ELb0ES6_jNS0_17counting_iteratorIjlEEPS9_SE_NS0_5tupleIJPjSE_EEENSF_IJSE_SE_EEES9_SG_JZNS1_25segmented_radix_sort_implINS0_14default_configELb0EPKsPsPKlPlN2at6native12_GLOBAL__N_18offset_tEEE10hipError_tPvRmT1_PNSt15iterator_traitsISY_E10value_typeET2_T3_PNSZ_IS14_E10value_typeET4_jRbjT5_S1A_jjP12ihipStream_tbEUljE_EEESV_SW_SX_S14_S18_S1A_T6_T7_T9_mT8_S1C_bDpT10_ENKUlT_T0_E_clISt17integral_constantIbLb1EES1O_IbLb0EEEEDaS1K_S1L_EUlS1K_E_NS1_11comp_targetILNS1_3genE5ELNS1_11target_archE942ELNS1_3gpuE9ELNS1_3repE0EEENS1_30default_config_static_selectorELNS0_4arch9wavefront6targetE0EEEvSY_.private_seg_size, 0
	.set _ZN7rocprim17ROCPRIM_400000_NS6detail17trampoline_kernelINS0_13select_configILj256ELj13ELNS0_17block_load_methodE3ELS4_3ELS4_3ELNS0_20block_scan_algorithmE0ELj4294967295EEENS1_25partition_config_selectorILNS1_17partition_subalgoE3EjNS0_10empty_typeEbEEZZNS1_14partition_implILS8_3ELb0ES6_jNS0_17counting_iteratorIjlEEPS9_SE_NS0_5tupleIJPjSE_EEENSF_IJSE_SE_EEES9_SG_JZNS1_25segmented_radix_sort_implINS0_14default_configELb0EPKsPsPKlPlN2at6native12_GLOBAL__N_18offset_tEEE10hipError_tPvRmT1_PNSt15iterator_traitsISY_E10value_typeET2_T3_PNSZ_IS14_E10value_typeET4_jRbjT5_S1A_jjP12ihipStream_tbEUljE_EEESV_SW_SX_S14_S18_S1A_T6_T7_T9_mT8_S1C_bDpT10_ENKUlT_T0_E_clISt17integral_constantIbLb1EES1O_IbLb0EEEEDaS1K_S1L_EUlS1K_E_NS1_11comp_targetILNS1_3genE5ELNS1_11target_archE942ELNS1_3gpuE9ELNS1_3repE0EEENS1_30default_config_static_selectorELNS0_4arch9wavefront6targetE0EEEvSY_.uses_vcc, 0
	.set _ZN7rocprim17ROCPRIM_400000_NS6detail17trampoline_kernelINS0_13select_configILj256ELj13ELNS0_17block_load_methodE3ELS4_3ELS4_3ELNS0_20block_scan_algorithmE0ELj4294967295EEENS1_25partition_config_selectorILNS1_17partition_subalgoE3EjNS0_10empty_typeEbEEZZNS1_14partition_implILS8_3ELb0ES6_jNS0_17counting_iteratorIjlEEPS9_SE_NS0_5tupleIJPjSE_EEENSF_IJSE_SE_EEES9_SG_JZNS1_25segmented_radix_sort_implINS0_14default_configELb0EPKsPsPKlPlN2at6native12_GLOBAL__N_18offset_tEEE10hipError_tPvRmT1_PNSt15iterator_traitsISY_E10value_typeET2_T3_PNSZ_IS14_E10value_typeET4_jRbjT5_S1A_jjP12ihipStream_tbEUljE_EEESV_SW_SX_S14_S18_S1A_T6_T7_T9_mT8_S1C_bDpT10_ENKUlT_T0_E_clISt17integral_constantIbLb1EES1O_IbLb0EEEEDaS1K_S1L_EUlS1K_E_NS1_11comp_targetILNS1_3genE5ELNS1_11target_archE942ELNS1_3gpuE9ELNS1_3repE0EEENS1_30default_config_static_selectorELNS0_4arch9wavefront6targetE0EEEvSY_.uses_flat_scratch, 0
	.set _ZN7rocprim17ROCPRIM_400000_NS6detail17trampoline_kernelINS0_13select_configILj256ELj13ELNS0_17block_load_methodE3ELS4_3ELS4_3ELNS0_20block_scan_algorithmE0ELj4294967295EEENS1_25partition_config_selectorILNS1_17partition_subalgoE3EjNS0_10empty_typeEbEEZZNS1_14partition_implILS8_3ELb0ES6_jNS0_17counting_iteratorIjlEEPS9_SE_NS0_5tupleIJPjSE_EEENSF_IJSE_SE_EEES9_SG_JZNS1_25segmented_radix_sort_implINS0_14default_configELb0EPKsPsPKlPlN2at6native12_GLOBAL__N_18offset_tEEE10hipError_tPvRmT1_PNSt15iterator_traitsISY_E10value_typeET2_T3_PNSZ_IS14_E10value_typeET4_jRbjT5_S1A_jjP12ihipStream_tbEUljE_EEESV_SW_SX_S14_S18_S1A_T6_T7_T9_mT8_S1C_bDpT10_ENKUlT_T0_E_clISt17integral_constantIbLb1EES1O_IbLb0EEEEDaS1K_S1L_EUlS1K_E_NS1_11comp_targetILNS1_3genE5ELNS1_11target_archE942ELNS1_3gpuE9ELNS1_3repE0EEENS1_30default_config_static_selectorELNS0_4arch9wavefront6targetE0EEEvSY_.has_dyn_sized_stack, 0
	.set _ZN7rocprim17ROCPRIM_400000_NS6detail17trampoline_kernelINS0_13select_configILj256ELj13ELNS0_17block_load_methodE3ELS4_3ELS4_3ELNS0_20block_scan_algorithmE0ELj4294967295EEENS1_25partition_config_selectorILNS1_17partition_subalgoE3EjNS0_10empty_typeEbEEZZNS1_14partition_implILS8_3ELb0ES6_jNS0_17counting_iteratorIjlEEPS9_SE_NS0_5tupleIJPjSE_EEENSF_IJSE_SE_EEES9_SG_JZNS1_25segmented_radix_sort_implINS0_14default_configELb0EPKsPsPKlPlN2at6native12_GLOBAL__N_18offset_tEEE10hipError_tPvRmT1_PNSt15iterator_traitsISY_E10value_typeET2_T3_PNSZ_IS14_E10value_typeET4_jRbjT5_S1A_jjP12ihipStream_tbEUljE_EEESV_SW_SX_S14_S18_S1A_T6_T7_T9_mT8_S1C_bDpT10_ENKUlT_T0_E_clISt17integral_constantIbLb1EES1O_IbLb0EEEEDaS1K_S1L_EUlS1K_E_NS1_11comp_targetILNS1_3genE5ELNS1_11target_archE942ELNS1_3gpuE9ELNS1_3repE0EEENS1_30default_config_static_selectorELNS0_4arch9wavefront6targetE0EEEvSY_.has_recursion, 0
	.set _ZN7rocprim17ROCPRIM_400000_NS6detail17trampoline_kernelINS0_13select_configILj256ELj13ELNS0_17block_load_methodE3ELS4_3ELS4_3ELNS0_20block_scan_algorithmE0ELj4294967295EEENS1_25partition_config_selectorILNS1_17partition_subalgoE3EjNS0_10empty_typeEbEEZZNS1_14partition_implILS8_3ELb0ES6_jNS0_17counting_iteratorIjlEEPS9_SE_NS0_5tupleIJPjSE_EEENSF_IJSE_SE_EEES9_SG_JZNS1_25segmented_radix_sort_implINS0_14default_configELb0EPKsPsPKlPlN2at6native12_GLOBAL__N_18offset_tEEE10hipError_tPvRmT1_PNSt15iterator_traitsISY_E10value_typeET2_T3_PNSZ_IS14_E10value_typeET4_jRbjT5_S1A_jjP12ihipStream_tbEUljE_EEESV_SW_SX_S14_S18_S1A_T6_T7_T9_mT8_S1C_bDpT10_ENKUlT_T0_E_clISt17integral_constantIbLb1EES1O_IbLb0EEEEDaS1K_S1L_EUlS1K_E_NS1_11comp_targetILNS1_3genE5ELNS1_11target_archE942ELNS1_3gpuE9ELNS1_3repE0EEENS1_30default_config_static_selectorELNS0_4arch9wavefront6targetE0EEEvSY_.has_indirect_call, 0
	.section	.AMDGPU.csdata,"",@progbits
; Kernel info:
; codeLenInByte = 0
; TotalNumSgprs: 0
; NumVgprs: 0
; ScratchSize: 0
; MemoryBound: 0
; FloatMode: 240
; IeeeMode: 1
; LDSByteSize: 0 bytes/workgroup (compile time only)
; SGPRBlocks: 0
; VGPRBlocks: 0
; NumSGPRsForWavesPerEU: 1
; NumVGPRsForWavesPerEU: 1
; Occupancy: 16
; WaveLimiterHint : 0
; COMPUTE_PGM_RSRC2:SCRATCH_EN: 0
; COMPUTE_PGM_RSRC2:USER_SGPR: 6
; COMPUTE_PGM_RSRC2:TRAP_HANDLER: 0
; COMPUTE_PGM_RSRC2:TGID_X_EN: 1
; COMPUTE_PGM_RSRC2:TGID_Y_EN: 0
; COMPUTE_PGM_RSRC2:TGID_Z_EN: 0
; COMPUTE_PGM_RSRC2:TIDIG_COMP_CNT: 0
	.section	.text._ZN7rocprim17ROCPRIM_400000_NS6detail17trampoline_kernelINS0_13select_configILj256ELj13ELNS0_17block_load_methodE3ELS4_3ELS4_3ELNS0_20block_scan_algorithmE0ELj4294967295EEENS1_25partition_config_selectorILNS1_17partition_subalgoE3EjNS0_10empty_typeEbEEZZNS1_14partition_implILS8_3ELb0ES6_jNS0_17counting_iteratorIjlEEPS9_SE_NS0_5tupleIJPjSE_EEENSF_IJSE_SE_EEES9_SG_JZNS1_25segmented_radix_sort_implINS0_14default_configELb0EPKsPsPKlPlN2at6native12_GLOBAL__N_18offset_tEEE10hipError_tPvRmT1_PNSt15iterator_traitsISY_E10value_typeET2_T3_PNSZ_IS14_E10value_typeET4_jRbjT5_S1A_jjP12ihipStream_tbEUljE_EEESV_SW_SX_S14_S18_S1A_T6_T7_T9_mT8_S1C_bDpT10_ENKUlT_T0_E_clISt17integral_constantIbLb1EES1O_IbLb0EEEEDaS1K_S1L_EUlS1K_E_NS1_11comp_targetILNS1_3genE4ELNS1_11target_archE910ELNS1_3gpuE8ELNS1_3repE0EEENS1_30default_config_static_selectorELNS0_4arch9wavefront6targetE0EEEvSY_,"axG",@progbits,_ZN7rocprim17ROCPRIM_400000_NS6detail17trampoline_kernelINS0_13select_configILj256ELj13ELNS0_17block_load_methodE3ELS4_3ELS4_3ELNS0_20block_scan_algorithmE0ELj4294967295EEENS1_25partition_config_selectorILNS1_17partition_subalgoE3EjNS0_10empty_typeEbEEZZNS1_14partition_implILS8_3ELb0ES6_jNS0_17counting_iteratorIjlEEPS9_SE_NS0_5tupleIJPjSE_EEENSF_IJSE_SE_EEES9_SG_JZNS1_25segmented_radix_sort_implINS0_14default_configELb0EPKsPsPKlPlN2at6native12_GLOBAL__N_18offset_tEEE10hipError_tPvRmT1_PNSt15iterator_traitsISY_E10value_typeET2_T3_PNSZ_IS14_E10value_typeET4_jRbjT5_S1A_jjP12ihipStream_tbEUljE_EEESV_SW_SX_S14_S18_S1A_T6_T7_T9_mT8_S1C_bDpT10_ENKUlT_T0_E_clISt17integral_constantIbLb1EES1O_IbLb0EEEEDaS1K_S1L_EUlS1K_E_NS1_11comp_targetILNS1_3genE4ELNS1_11target_archE910ELNS1_3gpuE8ELNS1_3repE0EEENS1_30default_config_static_selectorELNS0_4arch9wavefront6targetE0EEEvSY_,comdat
	.globl	_ZN7rocprim17ROCPRIM_400000_NS6detail17trampoline_kernelINS0_13select_configILj256ELj13ELNS0_17block_load_methodE3ELS4_3ELS4_3ELNS0_20block_scan_algorithmE0ELj4294967295EEENS1_25partition_config_selectorILNS1_17partition_subalgoE3EjNS0_10empty_typeEbEEZZNS1_14partition_implILS8_3ELb0ES6_jNS0_17counting_iteratorIjlEEPS9_SE_NS0_5tupleIJPjSE_EEENSF_IJSE_SE_EEES9_SG_JZNS1_25segmented_radix_sort_implINS0_14default_configELb0EPKsPsPKlPlN2at6native12_GLOBAL__N_18offset_tEEE10hipError_tPvRmT1_PNSt15iterator_traitsISY_E10value_typeET2_T3_PNSZ_IS14_E10value_typeET4_jRbjT5_S1A_jjP12ihipStream_tbEUljE_EEESV_SW_SX_S14_S18_S1A_T6_T7_T9_mT8_S1C_bDpT10_ENKUlT_T0_E_clISt17integral_constantIbLb1EES1O_IbLb0EEEEDaS1K_S1L_EUlS1K_E_NS1_11comp_targetILNS1_3genE4ELNS1_11target_archE910ELNS1_3gpuE8ELNS1_3repE0EEENS1_30default_config_static_selectorELNS0_4arch9wavefront6targetE0EEEvSY_ ; -- Begin function _ZN7rocprim17ROCPRIM_400000_NS6detail17trampoline_kernelINS0_13select_configILj256ELj13ELNS0_17block_load_methodE3ELS4_3ELS4_3ELNS0_20block_scan_algorithmE0ELj4294967295EEENS1_25partition_config_selectorILNS1_17partition_subalgoE3EjNS0_10empty_typeEbEEZZNS1_14partition_implILS8_3ELb0ES6_jNS0_17counting_iteratorIjlEEPS9_SE_NS0_5tupleIJPjSE_EEENSF_IJSE_SE_EEES9_SG_JZNS1_25segmented_radix_sort_implINS0_14default_configELb0EPKsPsPKlPlN2at6native12_GLOBAL__N_18offset_tEEE10hipError_tPvRmT1_PNSt15iterator_traitsISY_E10value_typeET2_T3_PNSZ_IS14_E10value_typeET4_jRbjT5_S1A_jjP12ihipStream_tbEUljE_EEESV_SW_SX_S14_S18_S1A_T6_T7_T9_mT8_S1C_bDpT10_ENKUlT_T0_E_clISt17integral_constantIbLb1EES1O_IbLb0EEEEDaS1K_S1L_EUlS1K_E_NS1_11comp_targetILNS1_3genE4ELNS1_11target_archE910ELNS1_3gpuE8ELNS1_3repE0EEENS1_30default_config_static_selectorELNS0_4arch9wavefront6targetE0EEEvSY_
	.p2align	8
	.type	_ZN7rocprim17ROCPRIM_400000_NS6detail17trampoline_kernelINS0_13select_configILj256ELj13ELNS0_17block_load_methodE3ELS4_3ELS4_3ELNS0_20block_scan_algorithmE0ELj4294967295EEENS1_25partition_config_selectorILNS1_17partition_subalgoE3EjNS0_10empty_typeEbEEZZNS1_14partition_implILS8_3ELb0ES6_jNS0_17counting_iteratorIjlEEPS9_SE_NS0_5tupleIJPjSE_EEENSF_IJSE_SE_EEES9_SG_JZNS1_25segmented_radix_sort_implINS0_14default_configELb0EPKsPsPKlPlN2at6native12_GLOBAL__N_18offset_tEEE10hipError_tPvRmT1_PNSt15iterator_traitsISY_E10value_typeET2_T3_PNSZ_IS14_E10value_typeET4_jRbjT5_S1A_jjP12ihipStream_tbEUljE_EEESV_SW_SX_S14_S18_S1A_T6_T7_T9_mT8_S1C_bDpT10_ENKUlT_T0_E_clISt17integral_constantIbLb1EES1O_IbLb0EEEEDaS1K_S1L_EUlS1K_E_NS1_11comp_targetILNS1_3genE4ELNS1_11target_archE910ELNS1_3gpuE8ELNS1_3repE0EEENS1_30default_config_static_selectorELNS0_4arch9wavefront6targetE0EEEvSY_,@function
_ZN7rocprim17ROCPRIM_400000_NS6detail17trampoline_kernelINS0_13select_configILj256ELj13ELNS0_17block_load_methodE3ELS4_3ELS4_3ELNS0_20block_scan_algorithmE0ELj4294967295EEENS1_25partition_config_selectorILNS1_17partition_subalgoE3EjNS0_10empty_typeEbEEZZNS1_14partition_implILS8_3ELb0ES6_jNS0_17counting_iteratorIjlEEPS9_SE_NS0_5tupleIJPjSE_EEENSF_IJSE_SE_EEES9_SG_JZNS1_25segmented_radix_sort_implINS0_14default_configELb0EPKsPsPKlPlN2at6native12_GLOBAL__N_18offset_tEEE10hipError_tPvRmT1_PNSt15iterator_traitsISY_E10value_typeET2_T3_PNSZ_IS14_E10value_typeET4_jRbjT5_S1A_jjP12ihipStream_tbEUljE_EEESV_SW_SX_S14_S18_S1A_T6_T7_T9_mT8_S1C_bDpT10_ENKUlT_T0_E_clISt17integral_constantIbLb1EES1O_IbLb0EEEEDaS1K_S1L_EUlS1K_E_NS1_11comp_targetILNS1_3genE4ELNS1_11target_archE910ELNS1_3gpuE8ELNS1_3repE0EEENS1_30default_config_static_selectorELNS0_4arch9wavefront6targetE0EEEvSY_: ; @_ZN7rocprim17ROCPRIM_400000_NS6detail17trampoline_kernelINS0_13select_configILj256ELj13ELNS0_17block_load_methodE3ELS4_3ELS4_3ELNS0_20block_scan_algorithmE0ELj4294967295EEENS1_25partition_config_selectorILNS1_17partition_subalgoE3EjNS0_10empty_typeEbEEZZNS1_14partition_implILS8_3ELb0ES6_jNS0_17counting_iteratorIjlEEPS9_SE_NS0_5tupleIJPjSE_EEENSF_IJSE_SE_EEES9_SG_JZNS1_25segmented_radix_sort_implINS0_14default_configELb0EPKsPsPKlPlN2at6native12_GLOBAL__N_18offset_tEEE10hipError_tPvRmT1_PNSt15iterator_traitsISY_E10value_typeET2_T3_PNSZ_IS14_E10value_typeET4_jRbjT5_S1A_jjP12ihipStream_tbEUljE_EEESV_SW_SX_S14_S18_S1A_T6_T7_T9_mT8_S1C_bDpT10_ENKUlT_T0_E_clISt17integral_constantIbLb1EES1O_IbLb0EEEEDaS1K_S1L_EUlS1K_E_NS1_11comp_targetILNS1_3genE4ELNS1_11target_archE910ELNS1_3gpuE8ELNS1_3repE0EEENS1_30default_config_static_selectorELNS0_4arch9wavefront6targetE0EEEvSY_
; %bb.0:
	.section	.rodata,"a",@progbits
	.p2align	6, 0x0
	.amdhsa_kernel _ZN7rocprim17ROCPRIM_400000_NS6detail17trampoline_kernelINS0_13select_configILj256ELj13ELNS0_17block_load_methodE3ELS4_3ELS4_3ELNS0_20block_scan_algorithmE0ELj4294967295EEENS1_25partition_config_selectorILNS1_17partition_subalgoE3EjNS0_10empty_typeEbEEZZNS1_14partition_implILS8_3ELb0ES6_jNS0_17counting_iteratorIjlEEPS9_SE_NS0_5tupleIJPjSE_EEENSF_IJSE_SE_EEES9_SG_JZNS1_25segmented_radix_sort_implINS0_14default_configELb0EPKsPsPKlPlN2at6native12_GLOBAL__N_18offset_tEEE10hipError_tPvRmT1_PNSt15iterator_traitsISY_E10value_typeET2_T3_PNSZ_IS14_E10value_typeET4_jRbjT5_S1A_jjP12ihipStream_tbEUljE_EEESV_SW_SX_S14_S18_S1A_T6_T7_T9_mT8_S1C_bDpT10_ENKUlT_T0_E_clISt17integral_constantIbLb1EES1O_IbLb0EEEEDaS1K_S1L_EUlS1K_E_NS1_11comp_targetILNS1_3genE4ELNS1_11target_archE910ELNS1_3gpuE8ELNS1_3repE0EEENS1_30default_config_static_selectorELNS0_4arch9wavefront6targetE0EEEvSY_
		.amdhsa_group_segment_fixed_size 0
		.amdhsa_private_segment_fixed_size 0
		.amdhsa_kernarg_size 144
		.amdhsa_user_sgpr_count 6
		.amdhsa_user_sgpr_private_segment_buffer 1
		.amdhsa_user_sgpr_dispatch_ptr 0
		.amdhsa_user_sgpr_queue_ptr 0
		.amdhsa_user_sgpr_kernarg_segment_ptr 1
		.amdhsa_user_sgpr_dispatch_id 0
		.amdhsa_user_sgpr_flat_scratch_init 0
		.amdhsa_user_sgpr_private_segment_size 0
		.amdhsa_wavefront_size32 1
		.amdhsa_uses_dynamic_stack 0
		.amdhsa_system_sgpr_private_segment_wavefront_offset 0
		.amdhsa_system_sgpr_workgroup_id_x 1
		.amdhsa_system_sgpr_workgroup_id_y 0
		.amdhsa_system_sgpr_workgroup_id_z 0
		.amdhsa_system_sgpr_workgroup_info 0
		.amdhsa_system_vgpr_workitem_id 0
		.amdhsa_next_free_vgpr 1
		.amdhsa_next_free_sgpr 1
		.amdhsa_reserve_vcc 0
		.amdhsa_reserve_flat_scratch 0
		.amdhsa_float_round_mode_32 0
		.amdhsa_float_round_mode_16_64 0
		.amdhsa_float_denorm_mode_32 3
		.amdhsa_float_denorm_mode_16_64 3
		.amdhsa_dx10_clamp 1
		.amdhsa_ieee_mode 1
		.amdhsa_fp16_overflow 0
		.amdhsa_workgroup_processor_mode 1
		.amdhsa_memory_ordered 1
		.amdhsa_forward_progress 1
		.amdhsa_shared_vgpr_count 0
		.amdhsa_exception_fp_ieee_invalid_op 0
		.amdhsa_exception_fp_denorm_src 0
		.amdhsa_exception_fp_ieee_div_zero 0
		.amdhsa_exception_fp_ieee_overflow 0
		.amdhsa_exception_fp_ieee_underflow 0
		.amdhsa_exception_fp_ieee_inexact 0
		.amdhsa_exception_int_div_zero 0
	.end_amdhsa_kernel
	.section	.text._ZN7rocprim17ROCPRIM_400000_NS6detail17trampoline_kernelINS0_13select_configILj256ELj13ELNS0_17block_load_methodE3ELS4_3ELS4_3ELNS0_20block_scan_algorithmE0ELj4294967295EEENS1_25partition_config_selectorILNS1_17partition_subalgoE3EjNS0_10empty_typeEbEEZZNS1_14partition_implILS8_3ELb0ES6_jNS0_17counting_iteratorIjlEEPS9_SE_NS0_5tupleIJPjSE_EEENSF_IJSE_SE_EEES9_SG_JZNS1_25segmented_radix_sort_implINS0_14default_configELb0EPKsPsPKlPlN2at6native12_GLOBAL__N_18offset_tEEE10hipError_tPvRmT1_PNSt15iterator_traitsISY_E10value_typeET2_T3_PNSZ_IS14_E10value_typeET4_jRbjT5_S1A_jjP12ihipStream_tbEUljE_EEESV_SW_SX_S14_S18_S1A_T6_T7_T9_mT8_S1C_bDpT10_ENKUlT_T0_E_clISt17integral_constantIbLb1EES1O_IbLb0EEEEDaS1K_S1L_EUlS1K_E_NS1_11comp_targetILNS1_3genE4ELNS1_11target_archE910ELNS1_3gpuE8ELNS1_3repE0EEENS1_30default_config_static_selectorELNS0_4arch9wavefront6targetE0EEEvSY_,"axG",@progbits,_ZN7rocprim17ROCPRIM_400000_NS6detail17trampoline_kernelINS0_13select_configILj256ELj13ELNS0_17block_load_methodE3ELS4_3ELS4_3ELNS0_20block_scan_algorithmE0ELj4294967295EEENS1_25partition_config_selectorILNS1_17partition_subalgoE3EjNS0_10empty_typeEbEEZZNS1_14partition_implILS8_3ELb0ES6_jNS0_17counting_iteratorIjlEEPS9_SE_NS0_5tupleIJPjSE_EEENSF_IJSE_SE_EEES9_SG_JZNS1_25segmented_radix_sort_implINS0_14default_configELb0EPKsPsPKlPlN2at6native12_GLOBAL__N_18offset_tEEE10hipError_tPvRmT1_PNSt15iterator_traitsISY_E10value_typeET2_T3_PNSZ_IS14_E10value_typeET4_jRbjT5_S1A_jjP12ihipStream_tbEUljE_EEESV_SW_SX_S14_S18_S1A_T6_T7_T9_mT8_S1C_bDpT10_ENKUlT_T0_E_clISt17integral_constantIbLb1EES1O_IbLb0EEEEDaS1K_S1L_EUlS1K_E_NS1_11comp_targetILNS1_3genE4ELNS1_11target_archE910ELNS1_3gpuE8ELNS1_3repE0EEENS1_30default_config_static_selectorELNS0_4arch9wavefront6targetE0EEEvSY_,comdat
.Lfunc_end993:
	.size	_ZN7rocprim17ROCPRIM_400000_NS6detail17trampoline_kernelINS0_13select_configILj256ELj13ELNS0_17block_load_methodE3ELS4_3ELS4_3ELNS0_20block_scan_algorithmE0ELj4294967295EEENS1_25partition_config_selectorILNS1_17partition_subalgoE3EjNS0_10empty_typeEbEEZZNS1_14partition_implILS8_3ELb0ES6_jNS0_17counting_iteratorIjlEEPS9_SE_NS0_5tupleIJPjSE_EEENSF_IJSE_SE_EEES9_SG_JZNS1_25segmented_radix_sort_implINS0_14default_configELb0EPKsPsPKlPlN2at6native12_GLOBAL__N_18offset_tEEE10hipError_tPvRmT1_PNSt15iterator_traitsISY_E10value_typeET2_T3_PNSZ_IS14_E10value_typeET4_jRbjT5_S1A_jjP12ihipStream_tbEUljE_EEESV_SW_SX_S14_S18_S1A_T6_T7_T9_mT8_S1C_bDpT10_ENKUlT_T0_E_clISt17integral_constantIbLb1EES1O_IbLb0EEEEDaS1K_S1L_EUlS1K_E_NS1_11comp_targetILNS1_3genE4ELNS1_11target_archE910ELNS1_3gpuE8ELNS1_3repE0EEENS1_30default_config_static_selectorELNS0_4arch9wavefront6targetE0EEEvSY_, .Lfunc_end993-_ZN7rocprim17ROCPRIM_400000_NS6detail17trampoline_kernelINS0_13select_configILj256ELj13ELNS0_17block_load_methodE3ELS4_3ELS4_3ELNS0_20block_scan_algorithmE0ELj4294967295EEENS1_25partition_config_selectorILNS1_17partition_subalgoE3EjNS0_10empty_typeEbEEZZNS1_14partition_implILS8_3ELb0ES6_jNS0_17counting_iteratorIjlEEPS9_SE_NS0_5tupleIJPjSE_EEENSF_IJSE_SE_EEES9_SG_JZNS1_25segmented_radix_sort_implINS0_14default_configELb0EPKsPsPKlPlN2at6native12_GLOBAL__N_18offset_tEEE10hipError_tPvRmT1_PNSt15iterator_traitsISY_E10value_typeET2_T3_PNSZ_IS14_E10value_typeET4_jRbjT5_S1A_jjP12ihipStream_tbEUljE_EEESV_SW_SX_S14_S18_S1A_T6_T7_T9_mT8_S1C_bDpT10_ENKUlT_T0_E_clISt17integral_constantIbLb1EES1O_IbLb0EEEEDaS1K_S1L_EUlS1K_E_NS1_11comp_targetILNS1_3genE4ELNS1_11target_archE910ELNS1_3gpuE8ELNS1_3repE0EEENS1_30default_config_static_selectorELNS0_4arch9wavefront6targetE0EEEvSY_
                                        ; -- End function
	.set _ZN7rocprim17ROCPRIM_400000_NS6detail17trampoline_kernelINS0_13select_configILj256ELj13ELNS0_17block_load_methodE3ELS4_3ELS4_3ELNS0_20block_scan_algorithmE0ELj4294967295EEENS1_25partition_config_selectorILNS1_17partition_subalgoE3EjNS0_10empty_typeEbEEZZNS1_14partition_implILS8_3ELb0ES6_jNS0_17counting_iteratorIjlEEPS9_SE_NS0_5tupleIJPjSE_EEENSF_IJSE_SE_EEES9_SG_JZNS1_25segmented_radix_sort_implINS0_14default_configELb0EPKsPsPKlPlN2at6native12_GLOBAL__N_18offset_tEEE10hipError_tPvRmT1_PNSt15iterator_traitsISY_E10value_typeET2_T3_PNSZ_IS14_E10value_typeET4_jRbjT5_S1A_jjP12ihipStream_tbEUljE_EEESV_SW_SX_S14_S18_S1A_T6_T7_T9_mT8_S1C_bDpT10_ENKUlT_T0_E_clISt17integral_constantIbLb1EES1O_IbLb0EEEEDaS1K_S1L_EUlS1K_E_NS1_11comp_targetILNS1_3genE4ELNS1_11target_archE910ELNS1_3gpuE8ELNS1_3repE0EEENS1_30default_config_static_selectorELNS0_4arch9wavefront6targetE0EEEvSY_.num_vgpr, 0
	.set _ZN7rocprim17ROCPRIM_400000_NS6detail17trampoline_kernelINS0_13select_configILj256ELj13ELNS0_17block_load_methodE3ELS4_3ELS4_3ELNS0_20block_scan_algorithmE0ELj4294967295EEENS1_25partition_config_selectorILNS1_17partition_subalgoE3EjNS0_10empty_typeEbEEZZNS1_14partition_implILS8_3ELb0ES6_jNS0_17counting_iteratorIjlEEPS9_SE_NS0_5tupleIJPjSE_EEENSF_IJSE_SE_EEES9_SG_JZNS1_25segmented_radix_sort_implINS0_14default_configELb0EPKsPsPKlPlN2at6native12_GLOBAL__N_18offset_tEEE10hipError_tPvRmT1_PNSt15iterator_traitsISY_E10value_typeET2_T3_PNSZ_IS14_E10value_typeET4_jRbjT5_S1A_jjP12ihipStream_tbEUljE_EEESV_SW_SX_S14_S18_S1A_T6_T7_T9_mT8_S1C_bDpT10_ENKUlT_T0_E_clISt17integral_constantIbLb1EES1O_IbLb0EEEEDaS1K_S1L_EUlS1K_E_NS1_11comp_targetILNS1_3genE4ELNS1_11target_archE910ELNS1_3gpuE8ELNS1_3repE0EEENS1_30default_config_static_selectorELNS0_4arch9wavefront6targetE0EEEvSY_.num_agpr, 0
	.set _ZN7rocprim17ROCPRIM_400000_NS6detail17trampoline_kernelINS0_13select_configILj256ELj13ELNS0_17block_load_methodE3ELS4_3ELS4_3ELNS0_20block_scan_algorithmE0ELj4294967295EEENS1_25partition_config_selectorILNS1_17partition_subalgoE3EjNS0_10empty_typeEbEEZZNS1_14partition_implILS8_3ELb0ES6_jNS0_17counting_iteratorIjlEEPS9_SE_NS0_5tupleIJPjSE_EEENSF_IJSE_SE_EEES9_SG_JZNS1_25segmented_radix_sort_implINS0_14default_configELb0EPKsPsPKlPlN2at6native12_GLOBAL__N_18offset_tEEE10hipError_tPvRmT1_PNSt15iterator_traitsISY_E10value_typeET2_T3_PNSZ_IS14_E10value_typeET4_jRbjT5_S1A_jjP12ihipStream_tbEUljE_EEESV_SW_SX_S14_S18_S1A_T6_T7_T9_mT8_S1C_bDpT10_ENKUlT_T0_E_clISt17integral_constantIbLb1EES1O_IbLb0EEEEDaS1K_S1L_EUlS1K_E_NS1_11comp_targetILNS1_3genE4ELNS1_11target_archE910ELNS1_3gpuE8ELNS1_3repE0EEENS1_30default_config_static_selectorELNS0_4arch9wavefront6targetE0EEEvSY_.numbered_sgpr, 0
	.set _ZN7rocprim17ROCPRIM_400000_NS6detail17trampoline_kernelINS0_13select_configILj256ELj13ELNS0_17block_load_methodE3ELS4_3ELS4_3ELNS0_20block_scan_algorithmE0ELj4294967295EEENS1_25partition_config_selectorILNS1_17partition_subalgoE3EjNS0_10empty_typeEbEEZZNS1_14partition_implILS8_3ELb0ES6_jNS0_17counting_iteratorIjlEEPS9_SE_NS0_5tupleIJPjSE_EEENSF_IJSE_SE_EEES9_SG_JZNS1_25segmented_radix_sort_implINS0_14default_configELb0EPKsPsPKlPlN2at6native12_GLOBAL__N_18offset_tEEE10hipError_tPvRmT1_PNSt15iterator_traitsISY_E10value_typeET2_T3_PNSZ_IS14_E10value_typeET4_jRbjT5_S1A_jjP12ihipStream_tbEUljE_EEESV_SW_SX_S14_S18_S1A_T6_T7_T9_mT8_S1C_bDpT10_ENKUlT_T0_E_clISt17integral_constantIbLb1EES1O_IbLb0EEEEDaS1K_S1L_EUlS1K_E_NS1_11comp_targetILNS1_3genE4ELNS1_11target_archE910ELNS1_3gpuE8ELNS1_3repE0EEENS1_30default_config_static_selectorELNS0_4arch9wavefront6targetE0EEEvSY_.num_named_barrier, 0
	.set _ZN7rocprim17ROCPRIM_400000_NS6detail17trampoline_kernelINS0_13select_configILj256ELj13ELNS0_17block_load_methodE3ELS4_3ELS4_3ELNS0_20block_scan_algorithmE0ELj4294967295EEENS1_25partition_config_selectorILNS1_17partition_subalgoE3EjNS0_10empty_typeEbEEZZNS1_14partition_implILS8_3ELb0ES6_jNS0_17counting_iteratorIjlEEPS9_SE_NS0_5tupleIJPjSE_EEENSF_IJSE_SE_EEES9_SG_JZNS1_25segmented_radix_sort_implINS0_14default_configELb0EPKsPsPKlPlN2at6native12_GLOBAL__N_18offset_tEEE10hipError_tPvRmT1_PNSt15iterator_traitsISY_E10value_typeET2_T3_PNSZ_IS14_E10value_typeET4_jRbjT5_S1A_jjP12ihipStream_tbEUljE_EEESV_SW_SX_S14_S18_S1A_T6_T7_T9_mT8_S1C_bDpT10_ENKUlT_T0_E_clISt17integral_constantIbLb1EES1O_IbLb0EEEEDaS1K_S1L_EUlS1K_E_NS1_11comp_targetILNS1_3genE4ELNS1_11target_archE910ELNS1_3gpuE8ELNS1_3repE0EEENS1_30default_config_static_selectorELNS0_4arch9wavefront6targetE0EEEvSY_.private_seg_size, 0
	.set _ZN7rocprim17ROCPRIM_400000_NS6detail17trampoline_kernelINS0_13select_configILj256ELj13ELNS0_17block_load_methodE3ELS4_3ELS4_3ELNS0_20block_scan_algorithmE0ELj4294967295EEENS1_25partition_config_selectorILNS1_17partition_subalgoE3EjNS0_10empty_typeEbEEZZNS1_14partition_implILS8_3ELb0ES6_jNS0_17counting_iteratorIjlEEPS9_SE_NS0_5tupleIJPjSE_EEENSF_IJSE_SE_EEES9_SG_JZNS1_25segmented_radix_sort_implINS0_14default_configELb0EPKsPsPKlPlN2at6native12_GLOBAL__N_18offset_tEEE10hipError_tPvRmT1_PNSt15iterator_traitsISY_E10value_typeET2_T3_PNSZ_IS14_E10value_typeET4_jRbjT5_S1A_jjP12ihipStream_tbEUljE_EEESV_SW_SX_S14_S18_S1A_T6_T7_T9_mT8_S1C_bDpT10_ENKUlT_T0_E_clISt17integral_constantIbLb1EES1O_IbLb0EEEEDaS1K_S1L_EUlS1K_E_NS1_11comp_targetILNS1_3genE4ELNS1_11target_archE910ELNS1_3gpuE8ELNS1_3repE0EEENS1_30default_config_static_selectorELNS0_4arch9wavefront6targetE0EEEvSY_.uses_vcc, 0
	.set _ZN7rocprim17ROCPRIM_400000_NS6detail17trampoline_kernelINS0_13select_configILj256ELj13ELNS0_17block_load_methodE3ELS4_3ELS4_3ELNS0_20block_scan_algorithmE0ELj4294967295EEENS1_25partition_config_selectorILNS1_17partition_subalgoE3EjNS0_10empty_typeEbEEZZNS1_14partition_implILS8_3ELb0ES6_jNS0_17counting_iteratorIjlEEPS9_SE_NS0_5tupleIJPjSE_EEENSF_IJSE_SE_EEES9_SG_JZNS1_25segmented_radix_sort_implINS0_14default_configELb0EPKsPsPKlPlN2at6native12_GLOBAL__N_18offset_tEEE10hipError_tPvRmT1_PNSt15iterator_traitsISY_E10value_typeET2_T3_PNSZ_IS14_E10value_typeET4_jRbjT5_S1A_jjP12ihipStream_tbEUljE_EEESV_SW_SX_S14_S18_S1A_T6_T7_T9_mT8_S1C_bDpT10_ENKUlT_T0_E_clISt17integral_constantIbLb1EES1O_IbLb0EEEEDaS1K_S1L_EUlS1K_E_NS1_11comp_targetILNS1_3genE4ELNS1_11target_archE910ELNS1_3gpuE8ELNS1_3repE0EEENS1_30default_config_static_selectorELNS0_4arch9wavefront6targetE0EEEvSY_.uses_flat_scratch, 0
	.set _ZN7rocprim17ROCPRIM_400000_NS6detail17trampoline_kernelINS0_13select_configILj256ELj13ELNS0_17block_load_methodE3ELS4_3ELS4_3ELNS0_20block_scan_algorithmE0ELj4294967295EEENS1_25partition_config_selectorILNS1_17partition_subalgoE3EjNS0_10empty_typeEbEEZZNS1_14partition_implILS8_3ELb0ES6_jNS0_17counting_iteratorIjlEEPS9_SE_NS0_5tupleIJPjSE_EEENSF_IJSE_SE_EEES9_SG_JZNS1_25segmented_radix_sort_implINS0_14default_configELb0EPKsPsPKlPlN2at6native12_GLOBAL__N_18offset_tEEE10hipError_tPvRmT1_PNSt15iterator_traitsISY_E10value_typeET2_T3_PNSZ_IS14_E10value_typeET4_jRbjT5_S1A_jjP12ihipStream_tbEUljE_EEESV_SW_SX_S14_S18_S1A_T6_T7_T9_mT8_S1C_bDpT10_ENKUlT_T0_E_clISt17integral_constantIbLb1EES1O_IbLb0EEEEDaS1K_S1L_EUlS1K_E_NS1_11comp_targetILNS1_3genE4ELNS1_11target_archE910ELNS1_3gpuE8ELNS1_3repE0EEENS1_30default_config_static_selectorELNS0_4arch9wavefront6targetE0EEEvSY_.has_dyn_sized_stack, 0
	.set _ZN7rocprim17ROCPRIM_400000_NS6detail17trampoline_kernelINS0_13select_configILj256ELj13ELNS0_17block_load_methodE3ELS4_3ELS4_3ELNS0_20block_scan_algorithmE0ELj4294967295EEENS1_25partition_config_selectorILNS1_17partition_subalgoE3EjNS0_10empty_typeEbEEZZNS1_14partition_implILS8_3ELb0ES6_jNS0_17counting_iteratorIjlEEPS9_SE_NS0_5tupleIJPjSE_EEENSF_IJSE_SE_EEES9_SG_JZNS1_25segmented_radix_sort_implINS0_14default_configELb0EPKsPsPKlPlN2at6native12_GLOBAL__N_18offset_tEEE10hipError_tPvRmT1_PNSt15iterator_traitsISY_E10value_typeET2_T3_PNSZ_IS14_E10value_typeET4_jRbjT5_S1A_jjP12ihipStream_tbEUljE_EEESV_SW_SX_S14_S18_S1A_T6_T7_T9_mT8_S1C_bDpT10_ENKUlT_T0_E_clISt17integral_constantIbLb1EES1O_IbLb0EEEEDaS1K_S1L_EUlS1K_E_NS1_11comp_targetILNS1_3genE4ELNS1_11target_archE910ELNS1_3gpuE8ELNS1_3repE0EEENS1_30default_config_static_selectorELNS0_4arch9wavefront6targetE0EEEvSY_.has_recursion, 0
	.set _ZN7rocprim17ROCPRIM_400000_NS6detail17trampoline_kernelINS0_13select_configILj256ELj13ELNS0_17block_load_methodE3ELS4_3ELS4_3ELNS0_20block_scan_algorithmE0ELj4294967295EEENS1_25partition_config_selectorILNS1_17partition_subalgoE3EjNS0_10empty_typeEbEEZZNS1_14partition_implILS8_3ELb0ES6_jNS0_17counting_iteratorIjlEEPS9_SE_NS0_5tupleIJPjSE_EEENSF_IJSE_SE_EEES9_SG_JZNS1_25segmented_radix_sort_implINS0_14default_configELb0EPKsPsPKlPlN2at6native12_GLOBAL__N_18offset_tEEE10hipError_tPvRmT1_PNSt15iterator_traitsISY_E10value_typeET2_T3_PNSZ_IS14_E10value_typeET4_jRbjT5_S1A_jjP12ihipStream_tbEUljE_EEESV_SW_SX_S14_S18_S1A_T6_T7_T9_mT8_S1C_bDpT10_ENKUlT_T0_E_clISt17integral_constantIbLb1EES1O_IbLb0EEEEDaS1K_S1L_EUlS1K_E_NS1_11comp_targetILNS1_3genE4ELNS1_11target_archE910ELNS1_3gpuE8ELNS1_3repE0EEENS1_30default_config_static_selectorELNS0_4arch9wavefront6targetE0EEEvSY_.has_indirect_call, 0
	.section	.AMDGPU.csdata,"",@progbits
; Kernel info:
; codeLenInByte = 0
; TotalNumSgprs: 0
; NumVgprs: 0
; ScratchSize: 0
; MemoryBound: 0
; FloatMode: 240
; IeeeMode: 1
; LDSByteSize: 0 bytes/workgroup (compile time only)
; SGPRBlocks: 0
; VGPRBlocks: 0
; NumSGPRsForWavesPerEU: 1
; NumVGPRsForWavesPerEU: 1
; Occupancy: 16
; WaveLimiterHint : 0
; COMPUTE_PGM_RSRC2:SCRATCH_EN: 0
; COMPUTE_PGM_RSRC2:USER_SGPR: 6
; COMPUTE_PGM_RSRC2:TRAP_HANDLER: 0
; COMPUTE_PGM_RSRC2:TGID_X_EN: 1
; COMPUTE_PGM_RSRC2:TGID_Y_EN: 0
; COMPUTE_PGM_RSRC2:TGID_Z_EN: 0
; COMPUTE_PGM_RSRC2:TIDIG_COMP_CNT: 0
	.section	.text._ZN7rocprim17ROCPRIM_400000_NS6detail17trampoline_kernelINS0_13select_configILj256ELj13ELNS0_17block_load_methodE3ELS4_3ELS4_3ELNS0_20block_scan_algorithmE0ELj4294967295EEENS1_25partition_config_selectorILNS1_17partition_subalgoE3EjNS0_10empty_typeEbEEZZNS1_14partition_implILS8_3ELb0ES6_jNS0_17counting_iteratorIjlEEPS9_SE_NS0_5tupleIJPjSE_EEENSF_IJSE_SE_EEES9_SG_JZNS1_25segmented_radix_sort_implINS0_14default_configELb0EPKsPsPKlPlN2at6native12_GLOBAL__N_18offset_tEEE10hipError_tPvRmT1_PNSt15iterator_traitsISY_E10value_typeET2_T3_PNSZ_IS14_E10value_typeET4_jRbjT5_S1A_jjP12ihipStream_tbEUljE_EEESV_SW_SX_S14_S18_S1A_T6_T7_T9_mT8_S1C_bDpT10_ENKUlT_T0_E_clISt17integral_constantIbLb1EES1O_IbLb0EEEEDaS1K_S1L_EUlS1K_E_NS1_11comp_targetILNS1_3genE3ELNS1_11target_archE908ELNS1_3gpuE7ELNS1_3repE0EEENS1_30default_config_static_selectorELNS0_4arch9wavefront6targetE0EEEvSY_,"axG",@progbits,_ZN7rocprim17ROCPRIM_400000_NS6detail17trampoline_kernelINS0_13select_configILj256ELj13ELNS0_17block_load_methodE3ELS4_3ELS4_3ELNS0_20block_scan_algorithmE0ELj4294967295EEENS1_25partition_config_selectorILNS1_17partition_subalgoE3EjNS0_10empty_typeEbEEZZNS1_14partition_implILS8_3ELb0ES6_jNS0_17counting_iteratorIjlEEPS9_SE_NS0_5tupleIJPjSE_EEENSF_IJSE_SE_EEES9_SG_JZNS1_25segmented_radix_sort_implINS0_14default_configELb0EPKsPsPKlPlN2at6native12_GLOBAL__N_18offset_tEEE10hipError_tPvRmT1_PNSt15iterator_traitsISY_E10value_typeET2_T3_PNSZ_IS14_E10value_typeET4_jRbjT5_S1A_jjP12ihipStream_tbEUljE_EEESV_SW_SX_S14_S18_S1A_T6_T7_T9_mT8_S1C_bDpT10_ENKUlT_T0_E_clISt17integral_constantIbLb1EES1O_IbLb0EEEEDaS1K_S1L_EUlS1K_E_NS1_11comp_targetILNS1_3genE3ELNS1_11target_archE908ELNS1_3gpuE7ELNS1_3repE0EEENS1_30default_config_static_selectorELNS0_4arch9wavefront6targetE0EEEvSY_,comdat
	.globl	_ZN7rocprim17ROCPRIM_400000_NS6detail17trampoline_kernelINS0_13select_configILj256ELj13ELNS0_17block_load_methodE3ELS4_3ELS4_3ELNS0_20block_scan_algorithmE0ELj4294967295EEENS1_25partition_config_selectorILNS1_17partition_subalgoE3EjNS0_10empty_typeEbEEZZNS1_14partition_implILS8_3ELb0ES6_jNS0_17counting_iteratorIjlEEPS9_SE_NS0_5tupleIJPjSE_EEENSF_IJSE_SE_EEES9_SG_JZNS1_25segmented_radix_sort_implINS0_14default_configELb0EPKsPsPKlPlN2at6native12_GLOBAL__N_18offset_tEEE10hipError_tPvRmT1_PNSt15iterator_traitsISY_E10value_typeET2_T3_PNSZ_IS14_E10value_typeET4_jRbjT5_S1A_jjP12ihipStream_tbEUljE_EEESV_SW_SX_S14_S18_S1A_T6_T7_T9_mT8_S1C_bDpT10_ENKUlT_T0_E_clISt17integral_constantIbLb1EES1O_IbLb0EEEEDaS1K_S1L_EUlS1K_E_NS1_11comp_targetILNS1_3genE3ELNS1_11target_archE908ELNS1_3gpuE7ELNS1_3repE0EEENS1_30default_config_static_selectorELNS0_4arch9wavefront6targetE0EEEvSY_ ; -- Begin function _ZN7rocprim17ROCPRIM_400000_NS6detail17trampoline_kernelINS0_13select_configILj256ELj13ELNS0_17block_load_methodE3ELS4_3ELS4_3ELNS0_20block_scan_algorithmE0ELj4294967295EEENS1_25partition_config_selectorILNS1_17partition_subalgoE3EjNS0_10empty_typeEbEEZZNS1_14partition_implILS8_3ELb0ES6_jNS0_17counting_iteratorIjlEEPS9_SE_NS0_5tupleIJPjSE_EEENSF_IJSE_SE_EEES9_SG_JZNS1_25segmented_radix_sort_implINS0_14default_configELb0EPKsPsPKlPlN2at6native12_GLOBAL__N_18offset_tEEE10hipError_tPvRmT1_PNSt15iterator_traitsISY_E10value_typeET2_T3_PNSZ_IS14_E10value_typeET4_jRbjT5_S1A_jjP12ihipStream_tbEUljE_EEESV_SW_SX_S14_S18_S1A_T6_T7_T9_mT8_S1C_bDpT10_ENKUlT_T0_E_clISt17integral_constantIbLb1EES1O_IbLb0EEEEDaS1K_S1L_EUlS1K_E_NS1_11comp_targetILNS1_3genE3ELNS1_11target_archE908ELNS1_3gpuE7ELNS1_3repE0EEENS1_30default_config_static_selectorELNS0_4arch9wavefront6targetE0EEEvSY_
	.p2align	8
	.type	_ZN7rocprim17ROCPRIM_400000_NS6detail17trampoline_kernelINS0_13select_configILj256ELj13ELNS0_17block_load_methodE3ELS4_3ELS4_3ELNS0_20block_scan_algorithmE0ELj4294967295EEENS1_25partition_config_selectorILNS1_17partition_subalgoE3EjNS0_10empty_typeEbEEZZNS1_14partition_implILS8_3ELb0ES6_jNS0_17counting_iteratorIjlEEPS9_SE_NS0_5tupleIJPjSE_EEENSF_IJSE_SE_EEES9_SG_JZNS1_25segmented_radix_sort_implINS0_14default_configELb0EPKsPsPKlPlN2at6native12_GLOBAL__N_18offset_tEEE10hipError_tPvRmT1_PNSt15iterator_traitsISY_E10value_typeET2_T3_PNSZ_IS14_E10value_typeET4_jRbjT5_S1A_jjP12ihipStream_tbEUljE_EEESV_SW_SX_S14_S18_S1A_T6_T7_T9_mT8_S1C_bDpT10_ENKUlT_T0_E_clISt17integral_constantIbLb1EES1O_IbLb0EEEEDaS1K_S1L_EUlS1K_E_NS1_11comp_targetILNS1_3genE3ELNS1_11target_archE908ELNS1_3gpuE7ELNS1_3repE0EEENS1_30default_config_static_selectorELNS0_4arch9wavefront6targetE0EEEvSY_,@function
_ZN7rocprim17ROCPRIM_400000_NS6detail17trampoline_kernelINS0_13select_configILj256ELj13ELNS0_17block_load_methodE3ELS4_3ELS4_3ELNS0_20block_scan_algorithmE0ELj4294967295EEENS1_25partition_config_selectorILNS1_17partition_subalgoE3EjNS0_10empty_typeEbEEZZNS1_14partition_implILS8_3ELb0ES6_jNS0_17counting_iteratorIjlEEPS9_SE_NS0_5tupleIJPjSE_EEENSF_IJSE_SE_EEES9_SG_JZNS1_25segmented_radix_sort_implINS0_14default_configELb0EPKsPsPKlPlN2at6native12_GLOBAL__N_18offset_tEEE10hipError_tPvRmT1_PNSt15iterator_traitsISY_E10value_typeET2_T3_PNSZ_IS14_E10value_typeET4_jRbjT5_S1A_jjP12ihipStream_tbEUljE_EEESV_SW_SX_S14_S18_S1A_T6_T7_T9_mT8_S1C_bDpT10_ENKUlT_T0_E_clISt17integral_constantIbLb1EES1O_IbLb0EEEEDaS1K_S1L_EUlS1K_E_NS1_11comp_targetILNS1_3genE3ELNS1_11target_archE908ELNS1_3gpuE7ELNS1_3repE0EEENS1_30default_config_static_selectorELNS0_4arch9wavefront6targetE0EEEvSY_: ; @_ZN7rocprim17ROCPRIM_400000_NS6detail17trampoline_kernelINS0_13select_configILj256ELj13ELNS0_17block_load_methodE3ELS4_3ELS4_3ELNS0_20block_scan_algorithmE0ELj4294967295EEENS1_25partition_config_selectorILNS1_17partition_subalgoE3EjNS0_10empty_typeEbEEZZNS1_14partition_implILS8_3ELb0ES6_jNS0_17counting_iteratorIjlEEPS9_SE_NS0_5tupleIJPjSE_EEENSF_IJSE_SE_EEES9_SG_JZNS1_25segmented_radix_sort_implINS0_14default_configELb0EPKsPsPKlPlN2at6native12_GLOBAL__N_18offset_tEEE10hipError_tPvRmT1_PNSt15iterator_traitsISY_E10value_typeET2_T3_PNSZ_IS14_E10value_typeET4_jRbjT5_S1A_jjP12ihipStream_tbEUljE_EEESV_SW_SX_S14_S18_S1A_T6_T7_T9_mT8_S1C_bDpT10_ENKUlT_T0_E_clISt17integral_constantIbLb1EES1O_IbLb0EEEEDaS1K_S1L_EUlS1K_E_NS1_11comp_targetILNS1_3genE3ELNS1_11target_archE908ELNS1_3gpuE7ELNS1_3repE0EEENS1_30default_config_static_selectorELNS0_4arch9wavefront6targetE0EEEvSY_
; %bb.0:
	.section	.rodata,"a",@progbits
	.p2align	6, 0x0
	.amdhsa_kernel _ZN7rocprim17ROCPRIM_400000_NS6detail17trampoline_kernelINS0_13select_configILj256ELj13ELNS0_17block_load_methodE3ELS4_3ELS4_3ELNS0_20block_scan_algorithmE0ELj4294967295EEENS1_25partition_config_selectorILNS1_17partition_subalgoE3EjNS0_10empty_typeEbEEZZNS1_14partition_implILS8_3ELb0ES6_jNS0_17counting_iteratorIjlEEPS9_SE_NS0_5tupleIJPjSE_EEENSF_IJSE_SE_EEES9_SG_JZNS1_25segmented_radix_sort_implINS0_14default_configELb0EPKsPsPKlPlN2at6native12_GLOBAL__N_18offset_tEEE10hipError_tPvRmT1_PNSt15iterator_traitsISY_E10value_typeET2_T3_PNSZ_IS14_E10value_typeET4_jRbjT5_S1A_jjP12ihipStream_tbEUljE_EEESV_SW_SX_S14_S18_S1A_T6_T7_T9_mT8_S1C_bDpT10_ENKUlT_T0_E_clISt17integral_constantIbLb1EES1O_IbLb0EEEEDaS1K_S1L_EUlS1K_E_NS1_11comp_targetILNS1_3genE3ELNS1_11target_archE908ELNS1_3gpuE7ELNS1_3repE0EEENS1_30default_config_static_selectorELNS0_4arch9wavefront6targetE0EEEvSY_
		.amdhsa_group_segment_fixed_size 0
		.amdhsa_private_segment_fixed_size 0
		.amdhsa_kernarg_size 144
		.amdhsa_user_sgpr_count 6
		.amdhsa_user_sgpr_private_segment_buffer 1
		.amdhsa_user_sgpr_dispatch_ptr 0
		.amdhsa_user_sgpr_queue_ptr 0
		.amdhsa_user_sgpr_kernarg_segment_ptr 1
		.amdhsa_user_sgpr_dispatch_id 0
		.amdhsa_user_sgpr_flat_scratch_init 0
		.amdhsa_user_sgpr_private_segment_size 0
		.amdhsa_wavefront_size32 1
		.amdhsa_uses_dynamic_stack 0
		.amdhsa_system_sgpr_private_segment_wavefront_offset 0
		.amdhsa_system_sgpr_workgroup_id_x 1
		.amdhsa_system_sgpr_workgroup_id_y 0
		.amdhsa_system_sgpr_workgroup_id_z 0
		.amdhsa_system_sgpr_workgroup_info 0
		.amdhsa_system_vgpr_workitem_id 0
		.amdhsa_next_free_vgpr 1
		.amdhsa_next_free_sgpr 1
		.amdhsa_reserve_vcc 0
		.amdhsa_reserve_flat_scratch 0
		.amdhsa_float_round_mode_32 0
		.amdhsa_float_round_mode_16_64 0
		.amdhsa_float_denorm_mode_32 3
		.amdhsa_float_denorm_mode_16_64 3
		.amdhsa_dx10_clamp 1
		.amdhsa_ieee_mode 1
		.amdhsa_fp16_overflow 0
		.amdhsa_workgroup_processor_mode 1
		.amdhsa_memory_ordered 1
		.amdhsa_forward_progress 1
		.amdhsa_shared_vgpr_count 0
		.amdhsa_exception_fp_ieee_invalid_op 0
		.amdhsa_exception_fp_denorm_src 0
		.amdhsa_exception_fp_ieee_div_zero 0
		.amdhsa_exception_fp_ieee_overflow 0
		.amdhsa_exception_fp_ieee_underflow 0
		.amdhsa_exception_fp_ieee_inexact 0
		.amdhsa_exception_int_div_zero 0
	.end_amdhsa_kernel
	.section	.text._ZN7rocprim17ROCPRIM_400000_NS6detail17trampoline_kernelINS0_13select_configILj256ELj13ELNS0_17block_load_methodE3ELS4_3ELS4_3ELNS0_20block_scan_algorithmE0ELj4294967295EEENS1_25partition_config_selectorILNS1_17partition_subalgoE3EjNS0_10empty_typeEbEEZZNS1_14partition_implILS8_3ELb0ES6_jNS0_17counting_iteratorIjlEEPS9_SE_NS0_5tupleIJPjSE_EEENSF_IJSE_SE_EEES9_SG_JZNS1_25segmented_radix_sort_implINS0_14default_configELb0EPKsPsPKlPlN2at6native12_GLOBAL__N_18offset_tEEE10hipError_tPvRmT1_PNSt15iterator_traitsISY_E10value_typeET2_T3_PNSZ_IS14_E10value_typeET4_jRbjT5_S1A_jjP12ihipStream_tbEUljE_EEESV_SW_SX_S14_S18_S1A_T6_T7_T9_mT8_S1C_bDpT10_ENKUlT_T0_E_clISt17integral_constantIbLb1EES1O_IbLb0EEEEDaS1K_S1L_EUlS1K_E_NS1_11comp_targetILNS1_3genE3ELNS1_11target_archE908ELNS1_3gpuE7ELNS1_3repE0EEENS1_30default_config_static_selectorELNS0_4arch9wavefront6targetE0EEEvSY_,"axG",@progbits,_ZN7rocprim17ROCPRIM_400000_NS6detail17trampoline_kernelINS0_13select_configILj256ELj13ELNS0_17block_load_methodE3ELS4_3ELS4_3ELNS0_20block_scan_algorithmE0ELj4294967295EEENS1_25partition_config_selectorILNS1_17partition_subalgoE3EjNS0_10empty_typeEbEEZZNS1_14partition_implILS8_3ELb0ES6_jNS0_17counting_iteratorIjlEEPS9_SE_NS0_5tupleIJPjSE_EEENSF_IJSE_SE_EEES9_SG_JZNS1_25segmented_radix_sort_implINS0_14default_configELb0EPKsPsPKlPlN2at6native12_GLOBAL__N_18offset_tEEE10hipError_tPvRmT1_PNSt15iterator_traitsISY_E10value_typeET2_T3_PNSZ_IS14_E10value_typeET4_jRbjT5_S1A_jjP12ihipStream_tbEUljE_EEESV_SW_SX_S14_S18_S1A_T6_T7_T9_mT8_S1C_bDpT10_ENKUlT_T0_E_clISt17integral_constantIbLb1EES1O_IbLb0EEEEDaS1K_S1L_EUlS1K_E_NS1_11comp_targetILNS1_3genE3ELNS1_11target_archE908ELNS1_3gpuE7ELNS1_3repE0EEENS1_30default_config_static_selectorELNS0_4arch9wavefront6targetE0EEEvSY_,comdat
.Lfunc_end994:
	.size	_ZN7rocprim17ROCPRIM_400000_NS6detail17trampoline_kernelINS0_13select_configILj256ELj13ELNS0_17block_load_methodE3ELS4_3ELS4_3ELNS0_20block_scan_algorithmE0ELj4294967295EEENS1_25partition_config_selectorILNS1_17partition_subalgoE3EjNS0_10empty_typeEbEEZZNS1_14partition_implILS8_3ELb0ES6_jNS0_17counting_iteratorIjlEEPS9_SE_NS0_5tupleIJPjSE_EEENSF_IJSE_SE_EEES9_SG_JZNS1_25segmented_radix_sort_implINS0_14default_configELb0EPKsPsPKlPlN2at6native12_GLOBAL__N_18offset_tEEE10hipError_tPvRmT1_PNSt15iterator_traitsISY_E10value_typeET2_T3_PNSZ_IS14_E10value_typeET4_jRbjT5_S1A_jjP12ihipStream_tbEUljE_EEESV_SW_SX_S14_S18_S1A_T6_T7_T9_mT8_S1C_bDpT10_ENKUlT_T0_E_clISt17integral_constantIbLb1EES1O_IbLb0EEEEDaS1K_S1L_EUlS1K_E_NS1_11comp_targetILNS1_3genE3ELNS1_11target_archE908ELNS1_3gpuE7ELNS1_3repE0EEENS1_30default_config_static_selectorELNS0_4arch9wavefront6targetE0EEEvSY_, .Lfunc_end994-_ZN7rocprim17ROCPRIM_400000_NS6detail17trampoline_kernelINS0_13select_configILj256ELj13ELNS0_17block_load_methodE3ELS4_3ELS4_3ELNS0_20block_scan_algorithmE0ELj4294967295EEENS1_25partition_config_selectorILNS1_17partition_subalgoE3EjNS0_10empty_typeEbEEZZNS1_14partition_implILS8_3ELb0ES6_jNS0_17counting_iteratorIjlEEPS9_SE_NS0_5tupleIJPjSE_EEENSF_IJSE_SE_EEES9_SG_JZNS1_25segmented_radix_sort_implINS0_14default_configELb0EPKsPsPKlPlN2at6native12_GLOBAL__N_18offset_tEEE10hipError_tPvRmT1_PNSt15iterator_traitsISY_E10value_typeET2_T3_PNSZ_IS14_E10value_typeET4_jRbjT5_S1A_jjP12ihipStream_tbEUljE_EEESV_SW_SX_S14_S18_S1A_T6_T7_T9_mT8_S1C_bDpT10_ENKUlT_T0_E_clISt17integral_constantIbLb1EES1O_IbLb0EEEEDaS1K_S1L_EUlS1K_E_NS1_11comp_targetILNS1_3genE3ELNS1_11target_archE908ELNS1_3gpuE7ELNS1_3repE0EEENS1_30default_config_static_selectorELNS0_4arch9wavefront6targetE0EEEvSY_
                                        ; -- End function
	.set _ZN7rocprim17ROCPRIM_400000_NS6detail17trampoline_kernelINS0_13select_configILj256ELj13ELNS0_17block_load_methodE3ELS4_3ELS4_3ELNS0_20block_scan_algorithmE0ELj4294967295EEENS1_25partition_config_selectorILNS1_17partition_subalgoE3EjNS0_10empty_typeEbEEZZNS1_14partition_implILS8_3ELb0ES6_jNS0_17counting_iteratorIjlEEPS9_SE_NS0_5tupleIJPjSE_EEENSF_IJSE_SE_EEES9_SG_JZNS1_25segmented_radix_sort_implINS0_14default_configELb0EPKsPsPKlPlN2at6native12_GLOBAL__N_18offset_tEEE10hipError_tPvRmT1_PNSt15iterator_traitsISY_E10value_typeET2_T3_PNSZ_IS14_E10value_typeET4_jRbjT5_S1A_jjP12ihipStream_tbEUljE_EEESV_SW_SX_S14_S18_S1A_T6_T7_T9_mT8_S1C_bDpT10_ENKUlT_T0_E_clISt17integral_constantIbLb1EES1O_IbLb0EEEEDaS1K_S1L_EUlS1K_E_NS1_11comp_targetILNS1_3genE3ELNS1_11target_archE908ELNS1_3gpuE7ELNS1_3repE0EEENS1_30default_config_static_selectorELNS0_4arch9wavefront6targetE0EEEvSY_.num_vgpr, 0
	.set _ZN7rocprim17ROCPRIM_400000_NS6detail17trampoline_kernelINS0_13select_configILj256ELj13ELNS0_17block_load_methodE3ELS4_3ELS4_3ELNS0_20block_scan_algorithmE0ELj4294967295EEENS1_25partition_config_selectorILNS1_17partition_subalgoE3EjNS0_10empty_typeEbEEZZNS1_14partition_implILS8_3ELb0ES6_jNS0_17counting_iteratorIjlEEPS9_SE_NS0_5tupleIJPjSE_EEENSF_IJSE_SE_EEES9_SG_JZNS1_25segmented_radix_sort_implINS0_14default_configELb0EPKsPsPKlPlN2at6native12_GLOBAL__N_18offset_tEEE10hipError_tPvRmT1_PNSt15iterator_traitsISY_E10value_typeET2_T3_PNSZ_IS14_E10value_typeET4_jRbjT5_S1A_jjP12ihipStream_tbEUljE_EEESV_SW_SX_S14_S18_S1A_T6_T7_T9_mT8_S1C_bDpT10_ENKUlT_T0_E_clISt17integral_constantIbLb1EES1O_IbLb0EEEEDaS1K_S1L_EUlS1K_E_NS1_11comp_targetILNS1_3genE3ELNS1_11target_archE908ELNS1_3gpuE7ELNS1_3repE0EEENS1_30default_config_static_selectorELNS0_4arch9wavefront6targetE0EEEvSY_.num_agpr, 0
	.set _ZN7rocprim17ROCPRIM_400000_NS6detail17trampoline_kernelINS0_13select_configILj256ELj13ELNS0_17block_load_methodE3ELS4_3ELS4_3ELNS0_20block_scan_algorithmE0ELj4294967295EEENS1_25partition_config_selectorILNS1_17partition_subalgoE3EjNS0_10empty_typeEbEEZZNS1_14partition_implILS8_3ELb0ES6_jNS0_17counting_iteratorIjlEEPS9_SE_NS0_5tupleIJPjSE_EEENSF_IJSE_SE_EEES9_SG_JZNS1_25segmented_radix_sort_implINS0_14default_configELb0EPKsPsPKlPlN2at6native12_GLOBAL__N_18offset_tEEE10hipError_tPvRmT1_PNSt15iterator_traitsISY_E10value_typeET2_T3_PNSZ_IS14_E10value_typeET4_jRbjT5_S1A_jjP12ihipStream_tbEUljE_EEESV_SW_SX_S14_S18_S1A_T6_T7_T9_mT8_S1C_bDpT10_ENKUlT_T0_E_clISt17integral_constantIbLb1EES1O_IbLb0EEEEDaS1K_S1L_EUlS1K_E_NS1_11comp_targetILNS1_3genE3ELNS1_11target_archE908ELNS1_3gpuE7ELNS1_3repE0EEENS1_30default_config_static_selectorELNS0_4arch9wavefront6targetE0EEEvSY_.numbered_sgpr, 0
	.set _ZN7rocprim17ROCPRIM_400000_NS6detail17trampoline_kernelINS0_13select_configILj256ELj13ELNS0_17block_load_methodE3ELS4_3ELS4_3ELNS0_20block_scan_algorithmE0ELj4294967295EEENS1_25partition_config_selectorILNS1_17partition_subalgoE3EjNS0_10empty_typeEbEEZZNS1_14partition_implILS8_3ELb0ES6_jNS0_17counting_iteratorIjlEEPS9_SE_NS0_5tupleIJPjSE_EEENSF_IJSE_SE_EEES9_SG_JZNS1_25segmented_radix_sort_implINS0_14default_configELb0EPKsPsPKlPlN2at6native12_GLOBAL__N_18offset_tEEE10hipError_tPvRmT1_PNSt15iterator_traitsISY_E10value_typeET2_T3_PNSZ_IS14_E10value_typeET4_jRbjT5_S1A_jjP12ihipStream_tbEUljE_EEESV_SW_SX_S14_S18_S1A_T6_T7_T9_mT8_S1C_bDpT10_ENKUlT_T0_E_clISt17integral_constantIbLb1EES1O_IbLb0EEEEDaS1K_S1L_EUlS1K_E_NS1_11comp_targetILNS1_3genE3ELNS1_11target_archE908ELNS1_3gpuE7ELNS1_3repE0EEENS1_30default_config_static_selectorELNS0_4arch9wavefront6targetE0EEEvSY_.num_named_barrier, 0
	.set _ZN7rocprim17ROCPRIM_400000_NS6detail17trampoline_kernelINS0_13select_configILj256ELj13ELNS0_17block_load_methodE3ELS4_3ELS4_3ELNS0_20block_scan_algorithmE0ELj4294967295EEENS1_25partition_config_selectorILNS1_17partition_subalgoE3EjNS0_10empty_typeEbEEZZNS1_14partition_implILS8_3ELb0ES6_jNS0_17counting_iteratorIjlEEPS9_SE_NS0_5tupleIJPjSE_EEENSF_IJSE_SE_EEES9_SG_JZNS1_25segmented_radix_sort_implINS0_14default_configELb0EPKsPsPKlPlN2at6native12_GLOBAL__N_18offset_tEEE10hipError_tPvRmT1_PNSt15iterator_traitsISY_E10value_typeET2_T3_PNSZ_IS14_E10value_typeET4_jRbjT5_S1A_jjP12ihipStream_tbEUljE_EEESV_SW_SX_S14_S18_S1A_T6_T7_T9_mT8_S1C_bDpT10_ENKUlT_T0_E_clISt17integral_constantIbLb1EES1O_IbLb0EEEEDaS1K_S1L_EUlS1K_E_NS1_11comp_targetILNS1_3genE3ELNS1_11target_archE908ELNS1_3gpuE7ELNS1_3repE0EEENS1_30default_config_static_selectorELNS0_4arch9wavefront6targetE0EEEvSY_.private_seg_size, 0
	.set _ZN7rocprim17ROCPRIM_400000_NS6detail17trampoline_kernelINS0_13select_configILj256ELj13ELNS0_17block_load_methodE3ELS4_3ELS4_3ELNS0_20block_scan_algorithmE0ELj4294967295EEENS1_25partition_config_selectorILNS1_17partition_subalgoE3EjNS0_10empty_typeEbEEZZNS1_14partition_implILS8_3ELb0ES6_jNS0_17counting_iteratorIjlEEPS9_SE_NS0_5tupleIJPjSE_EEENSF_IJSE_SE_EEES9_SG_JZNS1_25segmented_radix_sort_implINS0_14default_configELb0EPKsPsPKlPlN2at6native12_GLOBAL__N_18offset_tEEE10hipError_tPvRmT1_PNSt15iterator_traitsISY_E10value_typeET2_T3_PNSZ_IS14_E10value_typeET4_jRbjT5_S1A_jjP12ihipStream_tbEUljE_EEESV_SW_SX_S14_S18_S1A_T6_T7_T9_mT8_S1C_bDpT10_ENKUlT_T0_E_clISt17integral_constantIbLb1EES1O_IbLb0EEEEDaS1K_S1L_EUlS1K_E_NS1_11comp_targetILNS1_3genE3ELNS1_11target_archE908ELNS1_3gpuE7ELNS1_3repE0EEENS1_30default_config_static_selectorELNS0_4arch9wavefront6targetE0EEEvSY_.uses_vcc, 0
	.set _ZN7rocprim17ROCPRIM_400000_NS6detail17trampoline_kernelINS0_13select_configILj256ELj13ELNS0_17block_load_methodE3ELS4_3ELS4_3ELNS0_20block_scan_algorithmE0ELj4294967295EEENS1_25partition_config_selectorILNS1_17partition_subalgoE3EjNS0_10empty_typeEbEEZZNS1_14partition_implILS8_3ELb0ES6_jNS0_17counting_iteratorIjlEEPS9_SE_NS0_5tupleIJPjSE_EEENSF_IJSE_SE_EEES9_SG_JZNS1_25segmented_radix_sort_implINS0_14default_configELb0EPKsPsPKlPlN2at6native12_GLOBAL__N_18offset_tEEE10hipError_tPvRmT1_PNSt15iterator_traitsISY_E10value_typeET2_T3_PNSZ_IS14_E10value_typeET4_jRbjT5_S1A_jjP12ihipStream_tbEUljE_EEESV_SW_SX_S14_S18_S1A_T6_T7_T9_mT8_S1C_bDpT10_ENKUlT_T0_E_clISt17integral_constantIbLb1EES1O_IbLb0EEEEDaS1K_S1L_EUlS1K_E_NS1_11comp_targetILNS1_3genE3ELNS1_11target_archE908ELNS1_3gpuE7ELNS1_3repE0EEENS1_30default_config_static_selectorELNS0_4arch9wavefront6targetE0EEEvSY_.uses_flat_scratch, 0
	.set _ZN7rocprim17ROCPRIM_400000_NS6detail17trampoline_kernelINS0_13select_configILj256ELj13ELNS0_17block_load_methodE3ELS4_3ELS4_3ELNS0_20block_scan_algorithmE0ELj4294967295EEENS1_25partition_config_selectorILNS1_17partition_subalgoE3EjNS0_10empty_typeEbEEZZNS1_14partition_implILS8_3ELb0ES6_jNS0_17counting_iteratorIjlEEPS9_SE_NS0_5tupleIJPjSE_EEENSF_IJSE_SE_EEES9_SG_JZNS1_25segmented_radix_sort_implINS0_14default_configELb0EPKsPsPKlPlN2at6native12_GLOBAL__N_18offset_tEEE10hipError_tPvRmT1_PNSt15iterator_traitsISY_E10value_typeET2_T3_PNSZ_IS14_E10value_typeET4_jRbjT5_S1A_jjP12ihipStream_tbEUljE_EEESV_SW_SX_S14_S18_S1A_T6_T7_T9_mT8_S1C_bDpT10_ENKUlT_T0_E_clISt17integral_constantIbLb1EES1O_IbLb0EEEEDaS1K_S1L_EUlS1K_E_NS1_11comp_targetILNS1_3genE3ELNS1_11target_archE908ELNS1_3gpuE7ELNS1_3repE0EEENS1_30default_config_static_selectorELNS0_4arch9wavefront6targetE0EEEvSY_.has_dyn_sized_stack, 0
	.set _ZN7rocprim17ROCPRIM_400000_NS6detail17trampoline_kernelINS0_13select_configILj256ELj13ELNS0_17block_load_methodE3ELS4_3ELS4_3ELNS0_20block_scan_algorithmE0ELj4294967295EEENS1_25partition_config_selectorILNS1_17partition_subalgoE3EjNS0_10empty_typeEbEEZZNS1_14partition_implILS8_3ELb0ES6_jNS0_17counting_iteratorIjlEEPS9_SE_NS0_5tupleIJPjSE_EEENSF_IJSE_SE_EEES9_SG_JZNS1_25segmented_radix_sort_implINS0_14default_configELb0EPKsPsPKlPlN2at6native12_GLOBAL__N_18offset_tEEE10hipError_tPvRmT1_PNSt15iterator_traitsISY_E10value_typeET2_T3_PNSZ_IS14_E10value_typeET4_jRbjT5_S1A_jjP12ihipStream_tbEUljE_EEESV_SW_SX_S14_S18_S1A_T6_T7_T9_mT8_S1C_bDpT10_ENKUlT_T0_E_clISt17integral_constantIbLb1EES1O_IbLb0EEEEDaS1K_S1L_EUlS1K_E_NS1_11comp_targetILNS1_3genE3ELNS1_11target_archE908ELNS1_3gpuE7ELNS1_3repE0EEENS1_30default_config_static_selectorELNS0_4arch9wavefront6targetE0EEEvSY_.has_recursion, 0
	.set _ZN7rocprim17ROCPRIM_400000_NS6detail17trampoline_kernelINS0_13select_configILj256ELj13ELNS0_17block_load_methodE3ELS4_3ELS4_3ELNS0_20block_scan_algorithmE0ELj4294967295EEENS1_25partition_config_selectorILNS1_17partition_subalgoE3EjNS0_10empty_typeEbEEZZNS1_14partition_implILS8_3ELb0ES6_jNS0_17counting_iteratorIjlEEPS9_SE_NS0_5tupleIJPjSE_EEENSF_IJSE_SE_EEES9_SG_JZNS1_25segmented_radix_sort_implINS0_14default_configELb0EPKsPsPKlPlN2at6native12_GLOBAL__N_18offset_tEEE10hipError_tPvRmT1_PNSt15iterator_traitsISY_E10value_typeET2_T3_PNSZ_IS14_E10value_typeET4_jRbjT5_S1A_jjP12ihipStream_tbEUljE_EEESV_SW_SX_S14_S18_S1A_T6_T7_T9_mT8_S1C_bDpT10_ENKUlT_T0_E_clISt17integral_constantIbLb1EES1O_IbLb0EEEEDaS1K_S1L_EUlS1K_E_NS1_11comp_targetILNS1_3genE3ELNS1_11target_archE908ELNS1_3gpuE7ELNS1_3repE0EEENS1_30default_config_static_selectorELNS0_4arch9wavefront6targetE0EEEvSY_.has_indirect_call, 0
	.section	.AMDGPU.csdata,"",@progbits
; Kernel info:
; codeLenInByte = 0
; TotalNumSgprs: 0
; NumVgprs: 0
; ScratchSize: 0
; MemoryBound: 0
; FloatMode: 240
; IeeeMode: 1
; LDSByteSize: 0 bytes/workgroup (compile time only)
; SGPRBlocks: 0
; VGPRBlocks: 0
; NumSGPRsForWavesPerEU: 1
; NumVGPRsForWavesPerEU: 1
; Occupancy: 16
; WaveLimiterHint : 0
; COMPUTE_PGM_RSRC2:SCRATCH_EN: 0
; COMPUTE_PGM_RSRC2:USER_SGPR: 6
; COMPUTE_PGM_RSRC2:TRAP_HANDLER: 0
; COMPUTE_PGM_RSRC2:TGID_X_EN: 1
; COMPUTE_PGM_RSRC2:TGID_Y_EN: 0
; COMPUTE_PGM_RSRC2:TGID_Z_EN: 0
; COMPUTE_PGM_RSRC2:TIDIG_COMP_CNT: 0
	.section	.text._ZN7rocprim17ROCPRIM_400000_NS6detail17trampoline_kernelINS0_13select_configILj256ELj13ELNS0_17block_load_methodE3ELS4_3ELS4_3ELNS0_20block_scan_algorithmE0ELj4294967295EEENS1_25partition_config_selectorILNS1_17partition_subalgoE3EjNS0_10empty_typeEbEEZZNS1_14partition_implILS8_3ELb0ES6_jNS0_17counting_iteratorIjlEEPS9_SE_NS0_5tupleIJPjSE_EEENSF_IJSE_SE_EEES9_SG_JZNS1_25segmented_radix_sort_implINS0_14default_configELb0EPKsPsPKlPlN2at6native12_GLOBAL__N_18offset_tEEE10hipError_tPvRmT1_PNSt15iterator_traitsISY_E10value_typeET2_T3_PNSZ_IS14_E10value_typeET4_jRbjT5_S1A_jjP12ihipStream_tbEUljE_EEESV_SW_SX_S14_S18_S1A_T6_T7_T9_mT8_S1C_bDpT10_ENKUlT_T0_E_clISt17integral_constantIbLb1EES1O_IbLb0EEEEDaS1K_S1L_EUlS1K_E_NS1_11comp_targetILNS1_3genE2ELNS1_11target_archE906ELNS1_3gpuE6ELNS1_3repE0EEENS1_30default_config_static_selectorELNS0_4arch9wavefront6targetE0EEEvSY_,"axG",@progbits,_ZN7rocprim17ROCPRIM_400000_NS6detail17trampoline_kernelINS0_13select_configILj256ELj13ELNS0_17block_load_methodE3ELS4_3ELS4_3ELNS0_20block_scan_algorithmE0ELj4294967295EEENS1_25partition_config_selectorILNS1_17partition_subalgoE3EjNS0_10empty_typeEbEEZZNS1_14partition_implILS8_3ELb0ES6_jNS0_17counting_iteratorIjlEEPS9_SE_NS0_5tupleIJPjSE_EEENSF_IJSE_SE_EEES9_SG_JZNS1_25segmented_radix_sort_implINS0_14default_configELb0EPKsPsPKlPlN2at6native12_GLOBAL__N_18offset_tEEE10hipError_tPvRmT1_PNSt15iterator_traitsISY_E10value_typeET2_T3_PNSZ_IS14_E10value_typeET4_jRbjT5_S1A_jjP12ihipStream_tbEUljE_EEESV_SW_SX_S14_S18_S1A_T6_T7_T9_mT8_S1C_bDpT10_ENKUlT_T0_E_clISt17integral_constantIbLb1EES1O_IbLb0EEEEDaS1K_S1L_EUlS1K_E_NS1_11comp_targetILNS1_3genE2ELNS1_11target_archE906ELNS1_3gpuE6ELNS1_3repE0EEENS1_30default_config_static_selectorELNS0_4arch9wavefront6targetE0EEEvSY_,comdat
	.globl	_ZN7rocprim17ROCPRIM_400000_NS6detail17trampoline_kernelINS0_13select_configILj256ELj13ELNS0_17block_load_methodE3ELS4_3ELS4_3ELNS0_20block_scan_algorithmE0ELj4294967295EEENS1_25partition_config_selectorILNS1_17partition_subalgoE3EjNS0_10empty_typeEbEEZZNS1_14partition_implILS8_3ELb0ES6_jNS0_17counting_iteratorIjlEEPS9_SE_NS0_5tupleIJPjSE_EEENSF_IJSE_SE_EEES9_SG_JZNS1_25segmented_radix_sort_implINS0_14default_configELb0EPKsPsPKlPlN2at6native12_GLOBAL__N_18offset_tEEE10hipError_tPvRmT1_PNSt15iterator_traitsISY_E10value_typeET2_T3_PNSZ_IS14_E10value_typeET4_jRbjT5_S1A_jjP12ihipStream_tbEUljE_EEESV_SW_SX_S14_S18_S1A_T6_T7_T9_mT8_S1C_bDpT10_ENKUlT_T0_E_clISt17integral_constantIbLb1EES1O_IbLb0EEEEDaS1K_S1L_EUlS1K_E_NS1_11comp_targetILNS1_3genE2ELNS1_11target_archE906ELNS1_3gpuE6ELNS1_3repE0EEENS1_30default_config_static_selectorELNS0_4arch9wavefront6targetE0EEEvSY_ ; -- Begin function _ZN7rocprim17ROCPRIM_400000_NS6detail17trampoline_kernelINS0_13select_configILj256ELj13ELNS0_17block_load_methodE3ELS4_3ELS4_3ELNS0_20block_scan_algorithmE0ELj4294967295EEENS1_25partition_config_selectorILNS1_17partition_subalgoE3EjNS0_10empty_typeEbEEZZNS1_14partition_implILS8_3ELb0ES6_jNS0_17counting_iteratorIjlEEPS9_SE_NS0_5tupleIJPjSE_EEENSF_IJSE_SE_EEES9_SG_JZNS1_25segmented_radix_sort_implINS0_14default_configELb0EPKsPsPKlPlN2at6native12_GLOBAL__N_18offset_tEEE10hipError_tPvRmT1_PNSt15iterator_traitsISY_E10value_typeET2_T3_PNSZ_IS14_E10value_typeET4_jRbjT5_S1A_jjP12ihipStream_tbEUljE_EEESV_SW_SX_S14_S18_S1A_T6_T7_T9_mT8_S1C_bDpT10_ENKUlT_T0_E_clISt17integral_constantIbLb1EES1O_IbLb0EEEEDaS1K_S1L_EUlS1K_E_NS1_11comp_targetILNS1_3genE2ELNS1_11target_archE906ELNS1_3gpuE6ELNS1_3repE0EEENS1_30default_config_static_selectorELNS0_4arch9wavefront6targetE0EEEvSY_
	.p2align	8
	.type	_ZN7rocprim17ROCPRIM_400000_NS6detail17trampoline_kernelINS0_13select_configILj256ELj13ELNS0_17block_load_methodE3ELS4_3ELS4_3ELNS0_20block_scan_algorithmE0ELj4294967295EEENS1_25partition_config_selectorILNS1_17partition_subalgoE3EjNS0_10empty_typeEbEEZZNS1_14partition_implILS8_3ELb0ES6_jNS0_17counting_iteratorIjlEEPS9_SE_NS0_5tupleIJPjSE_EEENSF_IJSE_SE_EEES9_SG_JZNS1_25segmented_radix_sort_implINS0_14default_configELb0EPKsPsPKlPlN2at6native12_GLOBAL__N_18offset_tEEE10hipError_tPvRmT1_PNSt15iterator_traitsISY_E10value_typeET2_T3_PNSZ_IS14_E10value_typeET4_jRbjT5_S1A_jjP12ihipStream_tbEUljE_EEESV_SW_SX_S14_S18_S1A_T6_T7_T9_mT8_S1C_bDpT10_ENKUlT_T0_E_clISt17integral_constantIbLb1EES1O_IbLb0EEEEDaS1K_S1L_EUlS1K_E_NS1_11comp_targetILNS1_3genE2ELNS1_11target_archE906ELNS1_3gpuE6ELNS1_3repE0EEENS1_30default_config_static_selectorELNS0_4arch9wavefront6targetE0EEEvSY_,@function
_ZN7rocprim17ROCPRIM_400000_NS6detail17trampoline_kernelINS0_13select_configILj256ELj13ELNS0_17block_load_methodE3ELS4_3ELS4_3ELNS0_20block_scan_algorithmE0ELj4294967295EEENS1_25partition_config_selectorILNS1_17partition_subalgoE3EjNS0_10empty_typeEbEEZZNS1_14partition_implILS8_3ELb0ES6_jNS0_17counting_iteratorIjlEEPS9_SE_NS0_5tupleIJPjSE_EEENSF_IJSE_SE_EEES9_SG_JZNS1_25segmented_radix_sort_implINS0_14default_configELb0EPKsPsPKlPlN2at6native12_GLOBAL__N_18offset_tEEE10hipError_tPvRmT1_PNSt15iterator_traitsISY_E10value_typeET2_T3_PNSZ_IS14_E10value_typeET4_jRbjT5_S1A_jjP12ihipStream_tbEUljE_EEESV_SW_SX_S14_S18_S1A_T6_T7_T9_mT8_S1C_bDpT10_ENKUlT_T0_E_clISt17integral_constantIbLb1EES1O_IbLb0EEEEDaS1K_S1L_EUlS1K_E_NS1_11comp_targetILNS1_3genE2ELNS1_11target_archE906ELNS1_3gpuE6ELNS1_3repE0EEENS1_30default_config_static_selectorELNS0_4arch9wavefront6targetE0EEEvSY_: ; @_ZN7rocprim17ROCPRIM_400000_NS6detail17trampoline_kernelINS0_13select_configILj256ELj13ELNS0_17block_load_methodE3ELS4_3ELS4_3ELNS0_20block_scan_algorithmE0ELj4294967295EEENS1_25partition_config_selectorILNS1_17partition_subalgoE3EjNS0_10empty_typeEbEEZZNS1_14partition_implILS8_3ELb0ES6_jNS0_17counting_iteratorIjlEEPS9_SE_NS0_5tupleIJPjSE_EEENSF_IJSE_SE_EEES9_SG_JZNS1_25segmented_radix_sort_implINS0_14default_configELb0EPKsPsPKlPlN2at6native12_GLOBAL__N_18offset_tEEE10hipError_tPvRmT1_PNSt15iterator_traitsISY_E10value_typeET2_T3_PNSZ_IS14_E10value_typeET4_jRbjT5_S1A_jjP12ihipStream_tbEUljE_EEESV_SW_SX_S14_S18_S1A_T6_T7_T9_mT8_S1C_bDpT10_ENKUlT_T0_E_clISt17integral_constantIbLb1EES1O_IbLb0EEEEDaS1K_S1L_EUlS1K_E_NS1_11comp_targetILNS1_3genE2ELNS1_11target_archE906ELNS1_3gpuE6ELNS1_3repE0EEENS1_30default_config_static_selectorELNS0_4arch9wavefront6targetE0EEEvSY_
; %bb.0:
	.section	.rodata,"a",@progbits
	.p2align	6, 0x0
	.amdhsa_kernel _ZN7rocprim17ROCPRIM_400000_NS6detail17trampoline_kernelINS0_13select_configILj256ELj13ELNS0_17block_load_methodE3ELS4_3ELS4_3ELNS0_20block_scan_algorithmE0ELj4294967295EEENS1_25partition_config_selectorILNS1_17partition_subalgoE3EjNS0_10empty_typeEbEEZZNS1_14partition_implILS8_3ELb0ES6_jNS0_17counting_iteratorIjlEEPS9_SE_NS0_5tupleIJPjSE_EEENSF_IJSE_SE_EEES9_SG_JZNS1_25segmented_radix_sort_implINS0_14default_configELb0EPKsPsPKlPlN2at6native12_GLOBAL__N_18offset_tEEE10hipError_tPvRmT1_PNSt15iterator_traitsISY_E10value_typeET2_T3_PNSZ_IS14_E10value_typeET4_jRbjT5_S1A_jjP12ihipStream_tbEUljE_EEESV_SW_SX_S14_S18_S1A_T6_T7_T9_mT8_S1C_bDpT10_ENKUlT_T0_E_clISt17integral_constantIbLb1EES1O_IbLb0EEEEDaS1K_S1L_EUlS1K_E_NS1_11comp_targetILNS1_3genE2ELNS1_11target_archE906ELNS1_3gpuE6ELNS1_3repE0EEENS1_30default_config_static_selectorELNS0_4arch9wavefront6targetE0EEEvSY_
		.amdhsa_group_segment_fixed_size 0
		.amdhsa_private_segment_fixed_size 0
		.amdhsa_kernarg_size 144
		.amdhsa_user_sgpr_count 6
		.amdhsa_user_sgpr_private_segment_buffer 1
		.amdhsa_user_sgpr_dispatch_ptr 0
		.amdhsa_user_sgpr_queue_ptr 0
		.amdhsa_user_sgpr_kernarg_segment_ptr 1
		.amdhsa_user_sgpr_dispatch_id 0
		.amdhsa_user_sgpr_flat_scratch_init 0
		.amdhsa_user_sgpr_private_segment_size 0
		.amdhsa_wavefront_size32 1
		.amdhsa_uses_dynamic_stack 0
		.amdhsa_system_sgpr_private_segment_wavefront_offset 0
		.amdhsa_system_sgpr_workgroup_id_x 1
		.amdhsa_system_sgpr_workgroup_id_y 0
		.amdhsa_system_sgpr_workgroup_id_z 0
		.amdhsa_system_sgpr_workgroup_info 0
		.amdhsa_system_vgpr_workitem_id 0
		.amdhsa_next_free_vgpr 1
		.amdhsa_next_free_sgpr 1
		.amdhsa_reserve_vcc 0
		.amdhsa_reserve_flat_scratch 0
		.amdhsa_float_round_mode_32 0
		.amdhsa_float_round_mode_16_64 0
		.amdhsa_float_denorm_mode_32 3
		.amdhsa_float_denorm_mode_16_64 3
		.amdhsa_dx10_clamp 1
		.amdhsa_ieee_mode 1
		.amdhsa_fp16_overflow 0
		.amdhsa_workgroup_processor_mode 1
		.amdhsa_memory_ordered 1
		.amdhsa_forward_progress 1
		.amdhsa_shared_vgpr_count 0
		.amdhsa_exception_fp_ieee_invalid_op 0
		.amdhsa_exception_fp_denorm_src 0
		.amdhsa_exception_fp_ieee_div_zero 0
		.amdhsa_exception_fp_ieee_overflow 0
		.amdhsa_exception_fp_ieee_underflow 0
		.amdhsa_exception_fp_ieee_inexact 0
		.amdhsa_exception_int_div_zero 0
	.end_amdhsa_kernel
	.section	.text._ZN7rocprim17ROCPRIM_400000_NS6detail17trampoline_kernelINS0_13select_configILj256ELj13ELNS0_17block_load_methodE3ELS4_3ELS4_3ELNS0_20block_scan_algorithmE0ELj4294967295EEENS1_25partition_config_selectorILNS1_17partition_subalgoE3EjNS0_10empty_typeEbEEZZNS1_14partition_implILS8_3ELb0ES6_jNS0_17counting_iteratorIjlEEPS9_SE_NS0_5tupleIJPjSE_EEENSF_IJSE_SE_EEES9_SG_JZNS1_25segmented_radix_sort_implINS0_14default_configELb0EPKsPsPKlPlN2at6native12_GLOBAL__N_18offset_tEEE10hipError_tPvRmT1_PNSt15iterator_traitsISY_E10value_typeET2_T3_PNSZ_IS14_E10value_typeET4_jRbjT5_S1A_jjP12ihipStream_tbEUljE_EEESV_SW_SX_S14_S18_S1A_T6_T7_T9_mT8_S1C_bDpT10_ENKUlT_T0_E_clISt17integral_constantIbLb1EES1O_IbLb0EEEEDaS1K_S1L_EUlS1K_E_NS1_11comp_targetILNS1_3genE2ELNS1_11target_archE906ELNS1_3gpuE6ELNS1_3repE0EEENS1_30default_config_static_selectorELNS0_4arch9wavefront6targetE0EEEvSY_,"axG",@progbits,_ZN7rocprim17ROCPRIM_400000_NS6detail17trampoline_kernelINS0_13select_configILj256ELj13ELNS0_17block_load_methodE3ELS4_3ELS4_3ELNS0_20block_scan_algorithmE0ELj4294967295EEENS1_25partition_config_selectorILNS1_17partition_subalgoE3EjNS0_10empty_typeEbEEZZNS1_14partition_implILS8_3ELb0ES6_jNS0_17counting_iteratorIjlEEPS9_SE_NS0_5tupleIJPjSE_EEENSF_IJSE_SE_EEES9_SG_JZNS1_25segmented_radix_sort_implINS0_14default_configELb0EPKsPsPKlPlN2at6native12_GLOBAL__N_18offset_tEEE10hipError_tPvRmT1_PNSt15iterator_traitsISY_E10value_typeET2_T3_PNSZ_IS14_E10value_typeET4_jRbjT5_S1A_jjP12ihipStream_tbEUljE_EEESV_SW_SX_S14_S18_S1A_T6_T7_T9_mT8_S1C_bDpT10_ENKUlT_T0_E_clISt17integral_constantIbLb1EES1O_IbLb0EEEEDaS1K_S1L_EUlS1K_E_NS1_11comp_targetILNS1_3genE2ELNS1_11target_archE906ELNS1_3gpuE6ELNS1_3repE0EEENS1_30default_config_static_selectorELNS0_4arch9wavefront6targetE0EEEvSY_,comdat
.Lfunc_end995:
	.size	_ZN7rocprim17ROCPRIM_400000_NS6detail17trampoline_kernelINS0_13select_configILj256ELj13ELNS0_17block_load_methodE3ELS4_3ELS4_3ELNS0_20block_scan_algorithmE0ELj4294967295EEENS1_25partition_config_selectorILNS1_17partition_subalgoE3EjNS0_10empty_typeEbEEZZNS1_14partition_implILS8_3ELb0ES6_jNS0_17counting_iteratorIjlEEPS9_SE_NS0_5tupleIJPjSE_EEENSF_IJSE_SE_EEES9_SG_JZNS1_25segmented_radix_sort_implINS0_14default_configELb0EPKsPsPKlPlN2at6native12_GLOBAL__N_18offset_tEEE10hipError_tPvRmT1_PNSt15iterator_traitsISY_E10value_typeET2_T3_PNSZ_IS14_E10value_typeET4_jRbjT5_S1A_jjP12ihipStream_tbEUljE_EEESV_SW_SX_S14_S18_S1A_T6_T7_T9_mT8_S1C_bDpT10_ENKUlT_T0_E_clISt17integral_constantIbLb1EES1O_IbLb0EEEEDaS1K_S1L_EUlS1K_E_NS1_11comp_targetILNS1_3genE2ELNS1_11target_archE906ELNS1_3gpuE6ELNS1_3repE0EEENS1_30default_config_static_selectorELNS0_4arch9wavefront6targetE0EEEvSY_, .Lfunc_end995-_ZN7rocprim17ROCPRIM_400000_NS6detail17trampoline_kernelINS0_13select_configILj256ELj13ELNS0_17block_load_methodE3ELS4_3ELS4_3ELNS0_20block_scan_algorithmE0ELj4294967295EEENS1_25partition_config_selectorILNS1_17partition_subalgoE3EjNS0_10empty_typeEbEEZZNS1_14partition_implILS8_3ELb0ES6_jNS0_17counting_iteratorIjlEEPS9_SE_NS0_5tupleIJPjSE_EEENSF_IJSE_SE_EEES9_SG_JZNS1_25segmented_radix_sort_implINS0_14default_configELb0EPKsPsPKlPlN2at6native12_GLOBAL__N_18offset_tEEE10hipError_tPvRmT1_PNSt15iterator_traitsISY_E10value_typeET2_T3_PNSZ_IS14_E10value_typeET4_jRbjT5_S1A_jjP12ihipStream_tbEUljE_EEESV_SW_SX_S14_S18_S1A_T6_T7_T9_mT8_S1C_bDpT10_ENKUlT_T0_E_clISt17integral_constantIbLb1EES1O_IbLb0EEEEDaS1K_S1L_EUlS1K_E_NS1_11comp_targetILNS1_3genE2ELNS1_11target_archE906ELNS1_3gpuE6ELNS1_3repE0EEENS1_30default_config_static_selectorELNS0_4arch9wavefront6targetE0EEEvSY_
                                        ; -- End function
	.set _ZN7rocprim17ROCPRIM_400000_NS6detail17trampoline_kernelINS0_13select_configILj256ELj13ELNS0_17block_load_methodE3ELS4_3ELS4_3ELNS0_20block_scan_algorithmE0ELj4294967295EEENS1_25partition_config_selectorILNS1_17partition_subalgoE3EjNS0_10empty_typeEbEEZZNS1_14partition_implILS8_3ELb0ES6_jNS0_17counting_iteratorIjlEEPS9_SE_NS0_5tupleIJPjSE_EEENSF_IJSE_SE_EEES9_SG_JZNS1_25segmented_radix_sort_implINS0_14default_configELb0EPKsPsPKlPlN2at6native12_GLOBAL__N_18offset_tEEE10hipError_tPvRmT1_PNSt15iterator_traitsISY_E10value_typeET2_T3_PNSZ_IS14_E10value_typeET4_jRbjT5_S1A_jjP12ihipStream_tbEUljE_EEESV_SW_SX_S14_S18_S1A_T6_T7_T9_mT8_S1C_bDpT10_ENKUlT_T0_E_clISt17integral_constantIbLb1EES1O_IbLb0EEEEDaS1K_S1L_EUlS1K_E_NS1_11comp_targetILNS1_3genE2ELNS1_11target_archE906ELNS1_3gpuE6ELNS1_3repE0EEENS1_30default_config_static_selectorELNS0_4arch9wavefront6targetE0EEEvSY_.num_vgpr, 0
	.set _ZN7rocprim17ROCPRIM_400000_NS6detail17trampoline_kernelINS0_13select_configILj256ELj13ELNS0_17block_load_methodE3ELS4_3ELS4_3ELNS0_20block_scan_algorithmE0ELj4294967295EEENS1_25partition_config_selectorILNS1_17partition_subalgoE3EjNS0_10empty_typeEbEEZZNS1_14partition_implILS8_3ELb0ES6_jNS0_17counting_iteratorIjlEEPS9_SE_NS0_5tupleIJPjSE_EEENSF_IJSE_SE_EEES9_SG_JZNS1_25segmented_radix_sort_implINS0_14default_configELb0EPKsPsPKlPlN2at6native12_GLOBAL__N_18offset_tEEE10hipError_tPvRmT1_PNSt15iterator_traitsISY_E10value_typeET2_T3_PNSZ_IS14_E10value_typeET4_jRbjT5_S1A_jjP12ihipStream_tbEUljE_EEESV_SW_SX_S14_S18_S1A_T6_T7_T9_mT8_S1C_bDpT10_ENKUlT_T0_E_clISt17integral_constantIbLb1EES1O_IbLb0EEEEDaS1K_S1L_EUlS1K_E_NS1_11comp_targetILNS1_3genE2ELNS1_11target_archE906ELNS1_3gpuE6ELNS1_3repE0EEENS1_30default_config_static_selectorELNS0_4arch9wavefront6targetE0EEEvSY_.num_agpr, 0
	.set _ZN7rocprim17ROCPRIM_400000_NS6detail17trampoline_kernelINS0_13select_configILj256ELj13ELNS0_17block_load_methodE3ELS4_3ELS4_3ELNS0_20block_scan_algorithmE0ELj4294967295EEENS1_25partition_config_selectorILNS1_17partition_subalgoE3EjNS0_10empty_typeEbEEZZNS1_14partition_implILS8_3ELb0ES6_jNS0_17counting_iteratorIjlEEPS9_SE_NS0_5tupleIJPjSE_EEENSF_IJSE_SE_EEES9_SG_JZNS1_25segmented_radix_sort_implINS0_14default_configELb0EPKsPsPKlPlN2at6native12_GLOBAL__N_18offset_tEEE10hipError_tPvRmT1_PNSt15iterator_traitsISY_E10value_typeET2_T3_PNSZ_IS14_E10value_typeET4_jRbjT5_S1A_jjP12ihipStream_tbEUljE_EEESV_SW_SX_S14_S18_S1A_T6_T7_T9_mT8_S1C_bDpT10_ENKUlT_T0_E_clISt17integral_constantIbLb1EES1O_IbLb0EEEEDaS1K_S1L_EUlS1K_E_NS1_11comp_targetILNS1_3genE2ELNS1_11target_archE906ELNS1_3gpuE6ELNS1_3repE0EEENS1_30default_config_static_selectorELNS0_4arch9wavefront6targetE0EEEvSY_.numbered_sgpr, 0
	.set _ZN7rocprim17ROCPRIM_400000_NS6detail17trampoline_kernelINS0_13select_configILj256ELj13ELNS0_17block_load_methodE3ELS4_3ELS4_3ELNS0_20block_scan_algorithmE0ELj4294967295EEENS1_25partition_config_selectorILNS1_17partition_subalgoE3EjNS0_10empty_typeEbEEZZNS1_14partition_implILS8_3ELb0ES6_jNS0_17counting_iteratorIjlEEPS9_SE_NS0_5tupleIJPjSE_EEENSF_IJSE_SE_EEES9_SG_JZNS1_25segmented_radix_sort_implINS0_14default_configELb0EPKsPsPKlPlN2at6native12_GLOBAL__N_18offset_tEEE10hipError_tPvRmT1_PNSt15iterator_traitsISY_E10value_typeET2_T3_PNSZ_IS14_E10value_typeET4_jRbjT5_S1A_jjP12ihipStream_tbEUljE_EEESV_SW_SX_S14_S18_S1A_T6_T7_T9_mT8_S1C_bDpT10_ENKUlT_T0_E_clISt17integral_constantIbLb1EES1O_IbLb0EEEEDaS1K_S1L_EUlS1K_E_NS1_11comp_targetILNS1_3genE2ELNS1_11target_archE906ELNS1_3gpuE6ELNS1_3repE0EEENS1_30default_config_static_selectorELNS0_4arch9wavefront6targetE0EEEvSY_.num_named_barrier, 0
	.set _ZN7rocprim17ROCPRIM_400000_NS6detail17trampoline_kernelINS0_13select_configILj256ELj13ELNS0_17block_load_methodE3ELS4_3ELS4_3ELNS0_20block_scan_algorithmE0ELj4294967295EEENS1_25partition_config_selectorILNS1_17partition_subalgoE3EjNS0_10empty_typeEbEEZZNS1_14partition_implILS8_3ELb0ES6_jNS0_17counting_iteratorIjlEEPS9_SE_NS0_5tupleIJPjSE_EEENSF_IJSE_SE_EEES9_SG_JZNS1_25segmented_radix_sort_implINS0_14default_configELb0EPKsPsPKlPlN2at6native12_GLOBAL__N_18offset_tEEE10hipError_tPvRmT1_PNSt15iterator_traitsISY_E10value_typeET2_T3_PNSZ_IS14_E10value_typeET4_jRbjT5_S1A_jjP12ihipStream_tbEUljE_EEESV_SW_SX_S14_S18_S1A_T6_T7_T9_mT8_S1C_bDpT10_ENKUlT_T0_E_clISt17integral_constantIbLb1EES1O_IbLb0EEEEDaS1K_S1L_EUlS1K_E_NS1_11comp_targetILNS1_3genE2ELNS1_11target_archE906ELNS1_3gpuE6ELNS1_3repE0EEENS1_30default_config_static_selectorELNS0_4arch9wavefront6targetE0EEEvSY_.private_seg_size, 0
	.set _ZN7rocprim17ROCPRIM_400000_NS6detail17trampoline_kernelINS0_13select_configILj256ELj13ELNS0_17block_load_methodE3ELS4_3ELS4_3ELNS0_20block_scan_algorithmE0ELj4294967295EEENS1_25partition_config_selectorILNS1_17partition_subalgoE3EjNS0_10empty_typeEbEEZZNS1_14partition_implILS8_3ELb0ES6_jNS0_17counting_iteratorIjlEEPS9_SE_NS0_5tupleIJPjSE_EEENSF_IJSE_SE_EEES9_SG_JZNS1_25segmented_radix_sort_implINS0_14default_configELb0EPKsPsPKlPlN2at6native12_GLOBAL__N_18offset_tEEE10hipError_tPvRmT1_PNSt15iterator_traitsISY_E10value_typeET2_T3_PNSZ_IS14_E10value_typeET4_jRbjT5_S1A_jjP12ihipStream_tbEUljE_EEESV_SW_SX_S14_S18_S1A_T6_T7_T9_mT8_S1C_bDpT10_ENKUlT_T0_E_clISt17integral_constantIbLb1EES1O_IbLb0EEEEDaS1K_S1L_EUlS1K_E_NS1_11comp_targetILNS1_3genE2ELNS1_11target_archE906ELNS1_3gpuE6ELNS1_3repE0EEENS1_30default_config_static_selectorELNS0_4arch9wavefront6targetE0EEEvSY_.uses_vcc, 0
	.set _ZN7rocprim17ROCPRIM_400000_NS6detail17trampoline_kernelINS0_13select_configILj256ELj13ELNS0_17block_load_methodE3ELS4_3ELS4_3ELNS0_20block_scan_algorithmE0ELj4294967295EEENS1_25partition_config_selectorILNS1_17partition_subalgoE3EjNS0_10empty_typeEbEEZZNS1_14partition_implILS8_3ELb0ES6_jNS0_17counting_iteratorIjlEEPS9_SE_NS0_5tupleIJPjSE_EEENSF_IJSE_SE_EEES9_SG_JZNS1_25segmented_radix_sort_implINS0_14default_configELb0EPKsPsPKlPlN2at6native12_GLOBAL__N_18offset_tEEE10hipError_tPvRmT1_PNSt15iterator_traitsISY_E10value_typeET2_T3_PNSZ_IS14_E10value_typeET4_jRbjT5_S1A_jjP12ihipStream_tbEUljE_EEESV_SW_SX_S14_S18_S1A_T6_T7_T9_mT8_S1C_bDpT10_ENKUlT_T0_E_clISt17integral_constantIbLb1EES1O_IbLb0EEEEDaS1K_S1L_EUlS1K_E_NS1_11comp_targetILNS1_3genE2ELNS1_11target_archE906ELNS1_3gpuE6ELNS1_3repE0EEENS1_30default_config_static_selectorELNS0_4arch9wavefront6targetE0EEEvSY_.uses_flat_scratch, 0
	.set _ZN7rocprim17ROCPRIM_400000_NS6detail17trampoline_kernelINS0_13select_configILj256ELj13ELNS0_17block_load_methodE3ELS4_3ELS4_3ELNS0_20block_scan_algorithmE0ELj4294967295EEENS1_25partition_config_selectorILNS1_17partition_subalgoE3EjNS0_10empty_typeEbEEZZNS1_14partition_implILS8_3ELb0ES6_jNS0_17counting_iteratorIjlEEPS9_SE_NS0_5tupleIJPjSE_EEENSF_IJSE_SE_EEES9_SG_JZNS1_25segmented_radix_sort_implINS0_14default_configELb0EPKsPsPKlPlN2at6native12_GLOBAL__N_18offset_tEEE10hipError_tPvRmT1_PNSt15iterator_traitsISY_E10value_typeET2_T3_PNSZ_IS14_E10value_typeET4_jRbjT5_S1A_jjP12ihipStream_tbEUljE_EEESV_SW_SX_S14_S18_S1A_T6_T7_T9_mT8_S1C_bDpT10_ENKUlT_T0_E_clISt17integral_constantIbLb1EES1O_IbLb0EEEEDaS1K_S1L_EUlS1K_E_NS1_11comp_targetILNS1_3genE2ELNS1_11target_archE906ELNS1_3gpuE6ELNS1_3repE0EEENS1_30default_config_static_selectorELNS0_4arch9wavefront6targetE0EEEvSY_.has_dyn_sized_stack, 0
	.set _ZN7rocprim17ROCPRIM_400000_NS6detail17trampoline_kernelINS0_13select_configILj256ELj13ELNS0_17block_load_methodE3ELS4_3ELS4_3ELNS0_20block_scan_algorithmE0ELj4294967295EEENS1_25partition_config_selectorILNS1_17partition_subalgoE3EjNS0_10empty_typeEbEEZZNS1_14partition_implILS8_3ELb0ES6_jNS0_17counting_iteratorIjlEEPS9_SE_NS0_5tupleIJPjSE_EEENSF_IJSE_SE_EEES9_SG_JZNS1_25segmented_radix_sort_implINS0_14default_configELb0EPKsPsPKlPlN2at6native12_GLOBAL__N_18offset_tEEE10hipError_tPvRmT1_PNSt15iterator_traitsISY_E10value_typeET2_T3_PNSZ_IS14_E10value_typeET4_jRbjT5_S1A_jjP12ihipStream_tbEUljE_EEESV_SW_SX_S14_S18_S1A_T6_T7_T9_mT8_S1C_bDpT10_ENKUlT_T0_E_clISt17integral_constantIbLb1EES1O_IbLb0EEEEDaS1K_S1L_EUlS1K_E_NS1_11comp_targetILNS1_3genE2ELNS1_11target_archE906ELNS1_3gpuE6ELNS1_3repE0EEENS1_30default_config_static_selectorELNS0_4arch9wavefront6targetE0EEEvSY_.has_recursion, 0
	.set _ZN7rocprim17ROCPRIM_400000_NS6detail17trampoline_kernelINS0_13select_configILj256ELj13ELNS0_17block_load_methodE3ELS4_3ELS4_3ELNS0_20block_scan_algorithmE0ELj4294967295EEENS1_25partition_config_selectorILNS1_17partition_subalgoE3EjNS0_10empty_typeEbEEZZNS1_14partition_implILS8_3ELb0ES6_jNS0_17counting_iteratorIjlEEPS9_SE_NS0_5tupleIJPjSE_EEENSF_IJSE_SE_EEES9_SG_JZNS1_25segmented_radix_sort_implINS0_14default_configELb0EPKsPsPKlPlN2at6native12_GLOBAL__N_18offset_tEEE10hipError_tPvRmT1_PNSt15iterator_traitsISY_E10value_typeET2_T3_PNSZ_IS14_E10value_typeET4_jRbjT5_S1A_jjP12ihipStream_tbEUljE_EEESV_SW_SX_S14_S18_S1A_T6_T7_T9_mT8_S1C_bDpT10_ENKUlT_T0_E_clISt17integral_constantIbLb1EES1O_IbLb0EEEEDaS1K_S1L_EUlS1K_E_NS1_11comp_targetILNS1_3genE2ELNS1_11target_archE906ELNS1_3gpuE6ELNS1_3repE0EEENS1_30default_config_static_selectorELNS0_4arch9wavefront6targetE0EEEvSY_.has_indirect_call, 0
	.section	.AMDGPU.csdata,"",@progbits
; Kernel info:
; codeLenInByte = 0
; TotalNumSgprs: 0
; NumVgprs: 0
; ScratchSize: 0
; MemoryBound: 0
; FloatMode: 240
; IeeeMode: 1
; LDSByteSize: 0 bytes/workgroup (compile time only)
; SGPRBlocks: 0
; VGPRBlocks: 0
; NumSGPRsForWavesPerEU: 1
; NumVGPRsForWavesPerEU: 1
; Occupancy: 16
; WaveLimiterHint : 0
; COMPUTE_PGM_RSRC2:SCRATCH_EN: 0
; COMPUTE_PGM_RSRC2:USER_SGPR: 6
; COMPUTE_PGM_RSRC2:TRAP_HANDLER: 0
; COMPUTE_PGM_RSRC2:TGID_X_EN: 1
; COMPUTE_PGM_RSRC2:TGID_Y_EN: 0
; COMPUTE_PGM_RSRC2:TGID_Z_EN: 0
; COMPUTE_PGM_RSRC2:TIDIG_COMP_CNT: 0
	.section	.text._ZN7rocprim17ROCPRIM_400000_NS6detail17trampoline_kernelINS0_13select_configILj256ELj13ELNS0_17block_load_methodE3ELS4_3ELS4_3ELNS0_20block_scan_algorithmE0ELj4294967295EEENS1_25partition_config_selectorILNS1_17partition_subalgoE3EjNS0_10empty_typeEbEEZZNS1_14partition_implILS8_3ELb0ES6_jNS0_17counting_iteratorIjlEEPS9_SE_NS0_5tupleIJPjSE_EEENSF_IJSE_SE_EEES9_SG_JZNS1_25segmented_radix_sort_implINS0_14default_configELb0EPKsPsPKlPlN2at6native12_GLOBAL__N_18offset_tEEE10hipError_tPvRmT1_PNSt15iterator_traitsISY_E10value_typeET2_T3_PNSZ_IS14_E10value_typeET4_jRbjT5_S1A_jjP12ihipStream_tbEUljE_EEESV_SW_SX_S14_S18_S1A_T6_T7_T9_mT8_S1C_bDpT10_ENKUlT_T0_E_clISt17integral_constantIbLb1EES1O_IbLb0EEEEDaS1K_S1L_EUlS1K_E_NS1_11comp_targetILNS1_3genE10ELNS1_11target_archE1200ELNS1_3gpuE4ELNS1_3repE0EEENS1_30default_config_static_selectorELNS0_4arch9wavefront6targetE0EEEvSY_,"axG",@progbits,_ZN7rocprim17ROCPRIM_400000_NS6detail17trampoline_kernelINS0_13select_configILj256ELj13ELNS0_17block_load_methodE3ELS4_3ELS4_3ELNS0_20block_scan_algorithmE0ELj4294967295EEENS1_25partition_config_selectorILNS1_17partition_subalgoE3EjNS0_10empty_typeEbEEZZNS1_14partition_implILS8_3ELb0ES6_jNS0_17counting_iteratorIjlEEPS9_SE_NS0_5tupleIJPjSE_EEENSF_IJSE_SE_EEES9_SG_JZNS1_25segmented_radix_sort_implINS0_14default_configELb0EPKsPsPKlPlN2at6native12_GLOBAL__N_18offset_tEEE10hipError_tPvRmT1_PNSt15iterator_traitsISY_E10value_typeET2_T3_PNSZ_IS14_E10value_typeET4_jRbjT5_S1A_jjP12ihipStream_tbEUljE_EEESV_SW_SX_S14_S18_S1A_T6_T7_T9_mT8_S1C_bDpT10_ENKUlT_T0_E_clISt17integral_constantIbLb1EES1O_IbLb0EEEEDaS1K_S1L_EUlS1K_E_NS1_11comp_targetILNS1_3genE10ELNS1_11target_archE1200ELNS1_3gpuE4ELNS1_3repE0EEENS1_30default_config_static_selectorELNS0_4arch9wavefront6targetE0EEEvSY_,comdat
	.globl	_ZN7rocprim17ROCPRIM_400000_NS6detail17trampoline_kernelINS0_13select_configILj256ELj13ELNS0_17block_load_methodE3ELS4_3ELS4_3ELNS0_20block_scan_algorithmE0ELj4294967295EEENS1_25partition_config_selectorILNS1_17partition_subalgoE3EjNS0_10empty_typeEbEEZZNS1_14partition_implILS8_3ELb0ES6_jNS0_17counting_iteratorIjlEEPS9_SE_NS0_5tupleIJPjSE_EEENSF_IJSE_SE_EEES9_SG_JZNS1_25segmented_radix_sort_implINS0_14default_configELb0EPKsPsPKlPlN2at6native12_GLOBAL__N_18offset_tEEE10hipError_tPvRmT1_PNSt15iterator_traitsISY_E10value_typeET2_T3_PNSZ_IS14_E10value_typeET4_jRbjT5_S1A_jjP12ihipStream_tbEUljE_EEESV_SW_SX_S14_S18_S1A_T6_T7_T9_mT8_S1C_bDpT10_ENKUlT_T0_E_clISt17integral_constantIbLb1EES1O_IbLb0EEEEDaS1K_S1L_EUlS1K_E_NS1_11comp_targetILNS1_3genE10ELNS1_11target_archE1200ELNS1_3gpuE4ELNS1_3repE0EEENS1_30default_config_static_selectorELNS0_4arch9wavefront6targetE0EEEvSY_ ; -- Begin function _ZN7rocprim17ROCPRIM_400000_NS6detail17trampoline_kernelINS0_13select_configILj256ELj13ELNS0_17block_load_methodE3ELS4_3ELS4_3ELNS0_20block_scan_algorithmE0ELj4294967295EEENS1_25partition_config_selectorILNS1_17partition_subalgoE3EjNS0_10empty_typeEbEEZZNS1_14partition_implILS8_3ELb0ES6_jNS0_17counting_iteratorIjlEEPS9_SE_NS0_5tupleIJPjSE_EEENSF_IJSE_SE_EEES9_SG_JZNS1_25segmented_radix_sort_implINS0_14default_configELb0EPKsPsPKlPlN2at6native12_GLOBAL__N_18offset_tEEE10hipError_tPvRmT1_PNSt15iterator_traitsISY_E10value_typeET2_T3_PNSZ_IS14_E10value_typeET4_jRbjT5_S1A_jjP12ihipStream_tbEUljE_EEESV_SW_SX_S14_S18_S1A_T6_T7_T9_mT8_S1C_bDpT10_ENKUlT_T0_E_clISt17integral_constantIbLb1EES1O_IbLb0EEEEDaS1K_S1L_EUlS1K_E_NS1_11comp_targetILNS1_3genE10ELNS1_11target_archE1200ELNS1_3gpuE4ELNS1_3repE0EEENS1_30default_config_static_selectorELNS0_4arch9wavefront6targetE0EEEvSY_
	.p2align	8
	.type	_ZN7rocprim17ROCPRIM_400000_NS6detail17trampoline_kernelINS0_13select_configILj256ELj13ELNS0_17block_load_methodE3ELS4_3ELS4_3ELNS0_20block_scan_algorithmE0ELj4294967295EEENS1_25partition_config_selectorILNS1_17partition_subalgoE3EjNS0_10empty_typeEbEEZZNS1_14partition_implILS8_3ELb0ES6_jNS0_17counting_iteratorIjlEEPS9_SE_NS0_5tupleIJPjSE_EEENSF_IJSE_SE_EEES9_SG_JZNS1_25segmented_radix_sort_implINS0_14default_configELb0EPKsPsPKlPlN2at6native12_GLOBAL__N_18offset_tEEE10hipError_tPvRmT1_PNSt15iterator_traitsISY_E10value_typeET2_T3_PNSZ_IS14_E10value_typeET4_jRbjT5_S1A_jjP12ihipStream_tbEUljE_EEESV_SW_SX_S14_S18_S1A_T6_T7_T9_mT8_S1C_bDpT10_ENKUlT_T0_E_clISt17integral_constantIbLb1EES1O_IbLb0EEEEDaS1K_S1L_EUlS1K_E_NS1_11comp_targetILNS1_3genE10ELNS1_11target_archE1200ELNS1_3gpuE4ELNS1_3repE0EEENS1_30default_config_static_selectorELNS0_4arch9wavefront6targetE0EEEvSY_,@function
_ZN7rocprim17ROCPRIM_400000_NS6detail17trampoline_kernelINS0_13select_configILj256ELj13ELNS0_17block_load_methodE3ELS4_3ELS4_3ELNS0_20block_scan_algorithmE0ELj4294967295EEENS1_25partition_config_selectorILNS1_17partition_subalgoE3EjNS0_10empty_typeEbEEZZNS1_14partition_implILS8_3ELb0ES6_jNS0_17counting_iteratorIjlEEPS9_SE_NS0_5tupleIJPjSE_EEENSF_IJSE_SE_EEES9_SG_JZNS1_25segmented_radix_sort_implINS0_14default_configELb0EPKsPsPKlPlN2at6native12_GLOBAL__N_18offset_tEEE10hipError_tPvRmT1_PNSt15iterator_traitsISY_E10value_typeET2_T3_PNSZ_IS14_E10value_typeET4_jRbjT5_S1A_jjP12ihipStream_tbEUljE_EEESV_SW_SX_S14_S18_S1A_T6_T7_T9_mT8_S1C_bDpT10_ENKUlT_T0_E_clISt17integral_constantIbLb1EES1O_IbLb0EEEEDaS1K_S1L_EUlS1K_E_NS1_11comp_targetILNS1_3genE10ELNS1_11target_archE1200ELNS1_3gpuE4ELNS1_3repE0EEENS1_30default_config_static_selectorELNS0_4arch9wavefront6targetE0EEEvSY_: ; @_ZN7rocprim17ROCPRIM_400000_NS6detail17trampoline_kernelINS0_13select_configILj256ELj13ELNS0_17block_load_methodE3ELS4_3ELS4_3ELNS0_20block_scan_algorithmE0ELj4294967295EEENS1_25partition_config_selectorILNS1_17partition_subalgoE3EjNS0_10empty_typeEbEEZZNS1_14partition_implILS8_3ELb0ES6_jNS0_17counting_iteratorIjlEEPS9_SE_NS0_5tupleIJPjSE_EEENSF_IJSE_SE_EEES9_SG_JZNS1_25segmented_radix_sort_implINS0_14default_configELb0EPKsPsPKlPlN2at6native12_GLOBAL__N_18offset_tEEE10hipError_tPvRmT1_PNSt15iterator_traitsISY_E10value_typeET2_T3_PNSZ_IS14_E10value_typeET4_jRbjT5_S1A_jjP12ihipStream_tbEUljE_EEESV_SW_SX_S14_S18_S1A_T6_T7_T9_mT8_S1C_bDpT10_ENKUlT_T0_E_clISt17integral_constantIbLb1EES1O_IbLb0EEEEDaS1K_S1L_EUlS1K_E_NS1_11comp_targetILNS1_3genE10ELNS1_11target_archE1200ELNS1_3gpuE4ELNS1_3repE0EEENS1_30default_config_static_selectorELNS0_4arch9wavefront6targetE0EEEvSY_
; %bb.0:
	.section	.rodata,"a",@progbits
	.p2align	6, 0x0
	.amdhsa_kernel _ZN7rocprim17ROCPRIM_400000_NS6detail17trampoline_kernelINS0_13select_configILj256ELj13ELNS0_17block_load_methodE3ELS4_3ELS4_3ELNS0_20block_scan_algorithmE0ELj4294967295EEENS1_25partition_config_selectorILNS1_17partition_subalgoE3EjNS0_10empty_typeEbEEZZNS1_14partition_implILS8_3ELb0ES6_jNS0_17counting_iteratorIjlEEPS9_SE_NS0_5tupleIJPjSE_EEENSF_IJSE_SE_EEES9_SG_JZNS1_25segmented_radix_sort_implINS0_14default_configELb0EPKsPsPKlPlN2at6native12_GLOBAL__N_18offset_tEEE10hipError_tPvRmT1_PNSt15iterator_traitsISY_E10value_typeET2_T3_PNSZ_IS14_E10value_typeET4_jRbjT5_S1A_jjP12ihipStream_tbEUljE_EEESV_SW_SX_S14_S18_S1A_T6_T7_T9_mT8_S1C_bDpT10_ENKUlT_T0_E_clISt17integral_constantIbLb1EES1O_IbLb0EEEEDaS1K_S1L_EUlS1K_E_NS1_11comp_targetILNS1_3genE10ELNS1_11target_archE1200ELNS1_3gpuE4ELNS1_3repE0EEENS1_30default_config_static_selectorELNS0_4arch9wavefront6targetE0EEEvSY_
		.amdhsa_group_segment_fixed_size 0
		.amdhsa_private_segment_fixed_size 0
		.amdhsa_kernarg_size 144
		.amdhsa_user_sgpr_count 6
		.amdhsa_user_sgpr_private_segment_buffer 1
		.amdhsa_user_sgpr_dispatch_ptr 0
		.amdhsa_user_sgpr_queue_ptr 0
		.amdhsa_user_sgpr_kernarg_segment_ptr 1
		.amdhsa_user_sgpr_dispatch_id 0
		.amdhsa_user_sgpr_flat_scratch_init 0
		.amdhsa_user_sgpr_private_segment_size 0
		.amdhsa_wavefront_size32 1
		.amdhsa_uses_dynamic_stack 0
		.amdhsa_system_sgpr_private_segment_wavefront_offset 0
		.amdhsa_system_sgpr_workgroup_id_x 1
		.amdhsa_system_sgpr_workgroup_id_y 0
		.amdhsa_system_sgpr_workgroup_id_z 0
		.amdhsa_system_sgpr_workgroup_info 0
		.amdhsa_system_vgpr_workitem_id 0
		.amdhsa_next_free_vgpr 1
		.amdhsa_next_free_sgpr 1
		.amdhsa_reserve_vcc 0
		.amdhsa_reserve_flat_scratch 0
		.amdhsa_float_round_mode_32 0
		.amdhsa_float_round_mode_16_64 0
		.amdhsa_float_denorm_mode_32 3
		.amdhsa_float_denorm_mode_16_64 3
		.amdhsa_dx10_clamp 1
		.amdhsa_ieee_mode 1
		.amdhsa_fp16_overflow 0
		.amdhsa_workgroup_processor_mode 1
		.amdhsa_memory_ordered 1
		.amdhsa_forward_progress 1
		.amdhsa_shared_vgpr_count 0
		.amdhsa_exception_fp_ieee_invalid_op 0
		.amdhsa_exception_fp_denorm_src 0
		.amdhsa_exception_fp_ieee_div_zero 0
		.amdhsa_exception_fp_ieee_overflow 0
		.amdhsa_exception_fp_ieee_underflow 0
		.amdhsa_exception_fp_ieee_inexact 0
		.amdhsa_exception_int_div_zero 0
	.end_amdhsa_kernel
	.section	.text._ZN7rocprim17ROCPRIM_400000_NS6detail17trampoline_kernelINS0_13select_configILj256ELj13ELNS0_17block_load_methodE3ELS4_3ELS4_3ELNS0_20block_scan_algorithmE0ELj4294967295EEENS1_25partition_config_selectorILNS1_17partition_subalgoE3EjNS0_10empty_typeEbEEZZNS1_14partition_implILS8_3ELb0ES6_jNS0_17counting_iteratorIjlEEPS9_SE_NS0_5tupleIJPjSE_EEENSF_IJSE_SE_EEES9_SG_JZNS1_25segmented_radix_sort_implINS0_14default_configELb0EPKsPsPKlPlN2at6native12_GLOBAL__N_18offset_tEEE10hipError_tPvRmT1_PNSt15iterator_traitsISY_E10value_typeET2_T3_PNSZ_IS14_E10value_typeET4_jRbjT5_S1A_jjP12ihipStream_tbEUljE_EEESV_SW_SX_S14_S18_S1A_T6_T7_T9_mT8_S1C_bDpT10_ENKUlT_T0_E_clISt17integral_constantIbLb1EES1O_IbLb0EEEEDaS1K_S1L_EUlS1K_E_NS1_11comp_targetILNS1_3genE10ELNS1_11target_archE1200ELNS1_3gpuE4ELNS1_3repE0EEENS1_30default_config_static_selectorELNS0_4arch9wavefront6targetE0EEEvSY_,"axG",@progbits,_ZN7rocprim17ROCPRIM_400000_NS6detail17trampoline_kernelINS0_13select_configILj256ELj13ELNS0_17block_load_methodE3ELS4_3ELS4_3ELNS0_20block_scan_algorithmE0ELj4294967295EEENS1_25partition_config_selectorILNS1_17partition_subalgoE3EjNS0_10empty_typeEbEEZZNS1_14partition_implILS8_3ELb0ES6_jNS0_17counting_iteratorIjlEEPS9_SE_NS0_5tupleIJPjSE_EEENSF_IJSE_SE_EEES9_SG_JZNS1_25segmented_radix_sort_implINS0_14default_configELb0EPKsPsPKlPlN2at6native12_GLOBAL__N_18offset_tEEE10hipError_tPvRmT1_PNSt15iterator_traitsISY_E10value_typeET2_T3_PNSZ_IS14_E10value_typeET4_jRbjT5_S1A_jjP12ihipStream_tbEUljE_EEESV_SW_SX_S14_S18_S1A_T6_T7_T9_mT8_S1C_bDpT10_ENKUlT_T0_E_clISt17integral_constantIbLb1EES1O_IbLb0EEEEDaS1K_S1L_EUlS1K_E_NS1_11comp_targetILNS1_3genE10ELNS1_11target_archE1200ELNS1_3gpuE4ELNS1_3repE0EEENS1_30default_config_static_selectorELNS0_4arch9wavefront6targetE0EEEvSY_,comdat
.Lfunc_end996:
	.size	_ZN7rocprim17ROCPRIM_400000_NS6detail17trampoline_kernelINS0_13select_configILj256ELj13ELNS0_17block_load_methodE3ELS4_3ELS4_3ELNS0_20block_scan_algorithmE0ELj4294967295EEENS1_25partition_config_selectorILNS1_17partition_subalgoE3EjNS0_10empty_typeEbEEZZNS1_14partition_implILS8_3ELb0ES6_jNS0_17counting_iteratorIjlEEPS9_SE_NS0_5tupleIJPjSE_EEENSF_IJSE_SE_EEES9_SG_JZNS1_25segmented_radix_sort_implINS0_14default_configELb0EPKsPsPKlPlN2at6native12_GLOBAL__N_18offset_tEEE10hipError_tPvRmT1_PNSt15iterator_traitsISY_E10value_typeET2_T3_PNSZ_IS14_E10value_typeET4_jRbjT5_S1A_jjP12ihipStream_tbEUljE_EEESV_SW_SX_S14_S18_S1A_T6_T7_T9_mT8_S1C_bDpT10_ENKUlT_T0_E_clISt17integral_constantIbLb1EES1O_IbLb0EEEEDaS1K_S1L_EUlS1K_E_NS1_11comp_targetILNS1_3genE10ELNS1_11target_archE1200ELNS1_3gpuE4ELNS1_3repE0EEENS1_30default_config_static_selectorELNS0_4arch9wavefront6targetE0EEEvSY_, .Lfunc_end996-_ZN7rocprim17ROCPRIM_400000_NS6detail17trampoline_kernelINS0_13select_configILj256ELj13ELNS0_17block_load_methodE3ELS4_3ELS4_3ELNS0_20block_scan_algorithmE0ELj4294967295EEENS1_25partition_config_selectorILNS1_17partition_subalgoE3EjNS0_10empty_typeEbEEZZNS1_14partition_implILS8_3ELb0ES6_jNS0_17counting_iteratorIjlEEPS9_SE_NS0_5tupleIJPjSE_EEENSF_IJSE_SE_EEES9_SG_JZNS1_25segmented_radix_sort_implINS0_14default_configELb0EPKsPsPKlPlN2at6native12_GLOBAL__N_18offset_tEEE10hipError_tPvRmT1_PNSt15iterator_traitsISY_E10value_typeET2_T3_PNSZ_IS14_E10value_typeET4_jRbjT5_S1A_jjP12ihipStream_tbEUljE_EEESV_SW_SX_S14_S18_S1A_T6_T7_T9_mT8_S1C_bDpT10_ENKUlT_T0_E_clISt17integral_constantIbLb1EES1O_IbLb0EEEEDaS1K_S1L_EUlS1K_E_NS1_11comp_targetILNS1_3genE10ELNS1_11target_archE1200ELNS1_3gpuE4ELNS1_3repE0EEENS1_30default_config_static_selectorELNS0_4arch9wavefront6targetE0EEEvSY_
                                        ; -- End function
	.set _ZN7rocprim17ROCPRIM_400000_NS6detail17trampoline_kernelINS0_13select_configILj256ELj13ELNS0_17block_load_methodE3ELS4_3ELS4_3ELNS0_20block_scan_algorithmE0ELj4294967295EEENS1_25partition_config_selectorILNS1_17partition_subalgoE3EjNS0_10empty_typeEbEEZZNS1_14partition_implILS8_3ELb0ES6_jNS0_17counting_iteratorIjlEEPS9_SE_NS0_5tupleIJPjSE_EEENSF_IJSE_SE_EEES9_SG_JZNS1_25segmented_radix_sort_implINS0_14default_configELb0EPKsPsPKlPlN2at6native12_GLOBAL__N_18offset_tEEE10hipError_tPvRmT1_PNSt15iterator_traitsISY_E10value_typeET2_T3_PNSZ_IS14_E10value_typeET4_jRbjT5_S1A_jjP12ihipStream_tbEUljE_EEESV_SW_SX_S14_S18_S1A_T6_T7_T9_mT8_S1C_bDpT10_ENKUlT_T0_E_clISt17integral_constantIbLb1EES1O_IbLb0EEEEDaS1K_S1L_EUlS1K_E_NS1_11comp_targetILNS1_3genE10ELNS1_11target_archE1200ELNS1_3gpuE4ELNS1_3repE0EEENS1_30default_config_static_selectorELNS0_4arch9wavefront6targetE0EEEvSY_.num_vgpr, 0
	.set _ZN7rocprim17ROCPRIM_400000_NS6detail17trampoline_kernelINS0_13select_configILj256ELj13ELNS0_17block_load_methodE3ELS4_3ELS4_3ELNS0_20block_scan_algorithmE0ELj4294967295EEENS1_25partition_config_selectorILNS1_17partition_subalgoE3EjNS0_10empty_typeEbEEZZNS1_14partition_implILS8_3ELb0ES6_jNS0_17counting_iteratorIjlEEPS9_SE_NS0_5tupleIJPjSE_EEENSF_IJSE_SE_EEES9_SG_JZNS1_25segmented_radix_sort_implINS0_14default_configELb0EPKsPsPKlPlN2at6native12_GLOBAL__N_18offset_tEEE10hipError_tPvRmT1_PNSt15iterator_traitsISY_E10value_typeET2_T3_PNSZ_IS14_E10value_typeET4_jRbjT5_S1A_jjP12ihipStream_tbEUljE_EEESV_SW_SX_S14_S18_S1A_T6_T7_T9_mT8_S1C_bDpT10_ENKUlT_T0_E_clISt17integral_constantIbLb1EES1O_IbLb0EEEEDaS1K_S1L_EUlS1K_E_NS1_11comp_targetILNS1_3genE10ELNS1_11target_archE1200ELNS1_3gpuE4ELNS1_3repE0EEENS1_30default_config_static_selectorELNS0_4arch9wavefront6targetE0EEEvSY_.num_agpr, 0
	.set _ZN7rocprim17ROCPRIM_400000_NS6detail17trampoline_kernelINS0_13select_configILj256ELj13ELNS0_17block_load_methodE3ELS4_3ELS4_3ELNS0_20block_scan_algorithmE0ELj4294967295EEENS1_25partition_config_selectorILNS1_17partition_subalgoE3EjNS0_10empty_typeEbEEZZNS1_14partition_implILS8_3ELb0ES6_jNS0_17counting_iteratorIjlEEPS9_SE_NS0_5tupleIJPjSE_EEENSF_IJSE_SE_EEES9_SG_JZNS1_25segmented_radix_sort_implINS0_14default_configELb0EPKsPsPKlPlN2at6native12_GLOBAL__N_18offset_tEEE10hipError_tPvRmT1_PNSt15iterator_traitsISY_E10value_typeET2_T3_PNSZ_IS14_E10value_typeET4_jRbjT5_S1A_jjP12ihipStream_tbEUljE_EEESV_SW_SX_S14_S18_S1A_T6_T7_T9_mT8_S1C_bDpT10_ENKUlT_T0_E_clISt17integral_constantIbLb1EES1O_IbLb0EEEEDaS1K_S1L_EUlS1K_E_NS1_11comp_targetILNS1_3genE10ELNS1_11target_archE1200ELNS1_3gpuE4ELNS1_3repE0EEENS1_30default_config_static_selectorELNS0_4arch9wavefront6targetE0EEEvSY_.numbered_sgpr, 0
	.set _ZN7rocprim17ROCPRIM_400000_NS6detail17trampoline_kernelINS0_13select_configILj256ELj13ELNS0_17block_load_methodE3ELS4_3ELS4_3ELNS0_20block_scan_algorithmE0ELj4294967295EEENS1_25partition_config_selectorILNS1_17partition_subalgoE3EjNS0_10empty_typeEbEEZZNS1_14partition_implILS8_3ELb0ES6_jNS0_17counting_iteratorIjlEEPS9_SE_NS0_5tupleIJPjSE_EEENSF_IJSE_SE_EEES9_SG_JZNS1_25segmented_radix_sort_implINS0_14default_configELb0EPKsPsPKlPlN2at6native12_GLOBAL__N_18offset_tEEE10hipError_tPvRmT1_PNSt15iterator_traitsISY_E10value_typeET2_T3_PNSZ_IS14_E10value_typeET4_jRbjT5_S1A_jjP12ihipStream_tbEUljE_EEESV_SW_SX_S14_S18_S1A_T6_T7_T9_mT8_S1C_bDpT10_ENKUlT_T0_E_clISt17integral_constantIbLb1EES1O_IbLb0EEEEDaS1K_S1L_EUlS1K_E_NS1_11comp_targetILNS1_3genE10ELNS1_11target_archE1200ELNS1_3gpuE4ELNS1_3repE0EEENS1_30default_config_static_selectorELNS0_4arch9wavefront6targetE0EEEvSY_.num_named_barrier, 0
	.set _ZN7rocprim17ROCPRIM_400000_NS6detail17trampoline_kernelINS0_13select_configILj256ELj13ELNS0_17block_load_methodE3ELS4_3ELS4_3ELNS0_20block_scan_algorithmE0ELj4294967295EEENS1_25partition_config_selectorILNS1_17partition_subalgoE3EjNS0_10empty_typeEbEEZZNS1_14partition_implILS8_3ELb0ES6_jNS0_17counting_iteratorIjlEEPS9_SE_NS0_5tupleIJPjSE_EEENSF_IJSE_SE_EEES9_SG_JZNS1_25segmented_radix_sort_implINS0_14default_configELb0EPKsPsPKlPlN2at6native12_GLOBAL__N_18offset_tEEE10hipError_tPvRmT1_PNSt15iterator_traitsISY_E10value_typeET2_T3_PNSZ_IS14_E10value_typeET4_jRbjT5_S1A_jjP12ihipStream_tbEUljE_EEESV_SW_SX_S14_S18_S1A_T6_T7_T9_mT8_S1C_bDpT10_ENKUlT_T0_E_clISt17integral_constantIbLb1EES1O_IbLb0EEEEDaS1K_S1L_EUlS1K_E_NS1_11comp_targetILNS1_3genE10ELNS1_11target_archE1200ELNS1_3gpuE4ELNS1_3repE0EEENS1_30default_config_static_selectorELNS0_4arch9wavefront6targetE0EEEvSY_.private_seg_size, 0
	.set _ZN7rocprim17ROCPRIM_400000_NS6detail17trampoline_kernelINS0_13select_configILj256ELj13ELNS0_17block_load_methodE3ELS4_3ELS4_3ELNS0_20block_scan_algorithmE0ELj4294967295EEENS1_25partition_config_selectorILNS1_17partition_subalgoE3EjNS0_10empty_typeEbEEZZNS1_14partition_implILS8_3ELb0ES6_jNS0_17counting_iteratorIjlEEPS9_SE_NS0_5tupleIJPjSE_EEENSF_IJSE_SE_EEES9_SG_JZNS1_25segmented_radix_sort_implINS0_14default_configELb0EPKsPsPKlPlN2at6native12_GLOBAL__N_18offset_tEEE10hipError_tPvRmT1_PNSt15iterator_traitsISY_E10value_typeET2_T3_PNSZ_IS14_E10value_typeET4_jRbjT5_S1A_jjP12ihipStream_tbEUljE_EEESV_SW_SX_S14_S18_S1A_T6_T7_T9_mT8_S1C_bDpT10_ENKUlT_T0_E_clISt17integral_constantIbLb1EES1O_IbLb0EEEEDaS1K_S1L_EUlS1K_E_NS1_11comp_targetILNS1_3genE10ELNS1_11target_archE1200ELNS1_3gpuE4ELNS1_3repE0EEENS1_30default_config_static_selectorELNS0_4arch9wavefront6targetE0EEEvSY_.uses_vcc, 0
	.set _ZN7rocprim17ROCPRIM_400000_NS6detail17trampoline_kernelINS0_13select_configILj256ELj13ELNS0_17block_load_methodE3ELS4_3ELS4_3ELNS0_20block_scan_algorithmE0ELj4294967295EEENS1_25partition_config_selectorILNS1_17partition_subalgoE3EjNS0_10empty_typeEbEEZZNS1_14partition_implILS8_3ELb0ES6_jNS0_17counting_iteratorIjlEEPS9_SE_NS0_5tupleIJPjSE_EEENSF_IJSE_SE_EEES9_SG_JZNS1_25segmented_radix_sort_implINS0_14default_configELb0EPKsPsPKlPlN2at6native12_GLOBAL__N_18offset_tEEE10hipError_tPvRmT1_PNSt15iterator_traitsISY_E10value_typeET2_T3_PNSZ_IS14_E10value_typeET4_jRbjT5_S1A_jjP12ihipStream_tbEUljE_EEESV_SW_SX_S14_S18_S1A_T6_T7_T9_mT8_S1C_bDpT10_ENKUlT_T0_E_clISt17integral_constantIbLb1EES1O_IbLb0EEEEDaS1K_S1L_EUlS1K_E_NS1_11comp_targetILNS1_3genE10ELNS1_11target_archE1200ELNS1_3gpuE4ELNS1_3repE0EEENS1_30default_config_static_selectorELNS0_4arch9wavefront6targetE0EEEvSY_.uses_flat_scratch, 0
	.set _ZN7rocprim17ROCPRIM_400000_NS6detail17trampoline_kernelINS0_13select_configILj256ELj13ELNS0_17block_load_methodE3ELS4_3ELS4_3ELNS0_20block_scan_algorithmE0ELj4294967295EEENS1_25partition_config_selectorILNS1_17partition_subalgoE3EjNS0_10empty_typeEbEEZZNS1_14partition_implILS8_3ELb0ES6_jNS0_17counting_iteratorIjlEEPS9_SE_NS0_5tupleIJPjSE_EEENSF_IJSE_SE_EEES9_SG_JZNS1_25segmented_radix_sort_implINS0_14default_configELb0EPKsPsPKlPlN2at6native12_GLOBAL__N_18offset_tEEE10hipError_tPvRmT1_PNSt15iterator_traitsISY_E10value_typeET2_T3_PNSZ_IS14_E10value_typeET4_jRbjT5_S1A_jjP12ihipStream_tbEUljE_EEESV_SW_SX_S14_S18_S1A_T6_T7_T9_mT8_S1C_bDpT10_ENKUlT_T0_E_clISt17integral_constantIbLb1EES1O_IbLb0EEEEDaS1K_S1L_EUlS1K_E_NS1_11comp_targetILNS1_3genE10ELNS1_11target_archE1200ELNS1_3gpuE4ELNS1_3repE0EEENS1_30default_config_static_selectorELNS0_4arch9wavefront6targetE0EEEvSY_.has_dyn_sized_stack, 0
	.set _ZN7rocprim17ROCPRIM_400000_NS6detail17trampoline_kernelINS0_13select_configILj256ELj13ELNS0_17block_load_methodE3ELS4_3ELS4_3ELNS0_20block_scan_algorithmE0ELj4294967295EEENS1_25partition_config_selectorILNS1_17partition_subalgoE3EjNS0_10empty_typeEbEEZZNS1_14partition_implILS8_3ELb0ES6_jNS0_17counting_iteratorIjlEEPS9_SE_NS0_5tupleIJPjSE_EEENSF_IJSE_SE_EEES9_SG_JZNS1_25segmented_radix_sort_implINS0_14default_configELb0EPKsPsPKlPlN2at6native12_GLOBAL__N_18offset_tEEE10hipError_tPvRmT1_PNSt15iterator_traitsISY_E10value_typeET2_T3_PNSZ_IS14_E10value_typeET4_jRbjT5_S1A_jjP12ihipStream_tbEUljE_EEESV_SW_SX_S14_S18_S1A_T6_T7_T9_mT8_S1C_bDpT10_ENKUlT_T0_E_clISt17integral_constantIbLb1EES1O_IbLb0EEEEDaS1K_S1L_EUlS1K_E_NS1_11comp_targetILNS1_3genE10ELNS1_11target_archE1200ELNS1_3gpuE4ELNS1_3repE0EEENS1_30default_config_static_selectorELNS0_4arch9wavefront6targetE0EEEvSY_.has_recursion, 0
	.set _ZN7rocprim17ROCPRIM_400000_NS6detail17trampoline_kernelINS0_13select_configILj256ELj13ELNS0_17block_load_methodE3ELS4_3ELS4_3ELNS0_20block_scan_algorithmE0ELj4294967295EEENS1_25partition_config_selectorILNS1_17partition_subalgoE3EjNS0_10empty_typeEbEEZZNS1_14partition_implILS8_3ELb0ES6_jNS0_17counting_iteratorIjlEEPS9_SE_NS0_5tupleIJPjSE_EEENSF_IJSE_SE_EEES9_SG_JZNS1_25segmented_radix_sort_implINS0_14default_configELb0EPKsPsPKlPlN2at6native12_GLOBAL__N_18offset_tEEE10hipError_tPvRmT1_PNSt15iterator_traitsISY_E10value_typeET2_T3_PNSZ_IS14_E10value_typeET4_jRbjT5_S1A_jjP12ihipStream_tbEUljE_EEESV_SW_SX_S14_S18_S1A_T6_T7_T9_mT8_S1C_bDpT10_ENKUlT_T0_E_clISt17integral_constantIbLb1EES1O_IbLb0EEEEDaS1K_S1L_EUlS1K_E_NS1_11comp_targetILNS1_3genE10ELNS1_11target_archE1200ELNS1_3gpuE4ELNS1_3repE0EEENS1_30default_config_static_selectorELNS0_4arch9wavefront6targetE0EEEvSY_.has_indirect_call, 0
	.section	.AMDGPU.csdata,"",@progbits
; Kernel info:
; codeLenInByte = 0
; TotalNumSgprs: 0
; NumVgprs: 0
; ScratchSize: 0
; MemoryBound: 0
; FloatMode: 240
; IeeeMode: 1
; LDSByteSize: 0 bytes/workgroup (compile time only)
; SGPRBlocks: 0
; VGPRBlocks: 0
; NumSGPRsForWavesPerEU: 1
; NumVGPRsForWavesPerEU: 1
; Occupancy: 16
; WaveLimiterHint : 0
; COMPUTE_PGM_RSRC2:SCRATCH_EN: 0
; COMPUTE_PGM_RSRC2:USER_SGPR: 6
; COMPUTE_PGM_RSRC2:TRAP_HANDLER: 0
; COMPUTE_PGM_RSRC2:TGID_X_EN: 1
; COMPUTE_PGM_RSRC2:TGID_Y_EN: 0
; COMPUTE_PGM_RSRC2:TGID_Z_EN: 0
; COMPUTE_PGM_RSRC2:TIDIG_COMP_CNT: 0
	.section	.text._ZN7rocprim17ROCPRIM_400000_NS6detail17trampoline_kernelINS0_13select_configILj256ELj13ELNS0_17block_load_methodE3ELS4_3ELS4_3ELNS0_20block_scan_algorithmE0ELj4294967295EEENS1_25partition_config_selectorILNS1_17partition_subalgoE3EjNS0_10empty_typeEbEEZZNS1_14partition_implILS8_3ELb0ES6_jNS0_17counting_iteratorIjlEEPS9_SE_NS0_5tupleIJPjSE_EEENSF_IJSE_SE_EEES9_SG_JZNS1_25segmented_radix_sort_implINS0_14default_configELb0EPKsPsPKlPlN2at6native12_GLOBAL__N_18offset_tEEE10hipError_tPvRmT1_PNSt15iterator_traitsISY_E10value_typeET2_T3_PNSZ_IS14_E10value_typeET4_jRbjT5_S1A_jjP12ihipStream_tbEUljE_EEESV_SW_SX_S14_S18_S1A_T6_T7_T9_mT8_S1C_bDpT10_ENKUlT_T0_E_clISt17integral_constantIbLb1EES1O_IbLb0EEEEDaS1K_S1L_EUlS1K_E_NS1_11comp_targetILNS1_3genE9ELNS1_11target_archE1100ELNS1_3gpuE3ELNS1_3repE0EEENS1_30default_config_static_selectorELNS0_4arch9wavefront6targetE0EEEvSY_,"axG",@progbits,_ZN7rocprim17ROCPRIM_400000_NS6detail17trampoline_kernelINS0_13select_configILj256ELj13ELNS0_17block_load_methodE3ELS4_3ELS4_3ELNS0_20block_scan_algorithmE0ELj4294967295EEENS1_25partition_config_selectorILNS1_17partition_subalgoE3EjNS0_10empty_typeEbEEZZNS1_14partition_implILS8_3ELb0ES6_jNS0_17counting_iteratorIjlEEPS9_SE_NS0_5tupleIJPjSE_EEENSF_IJSE_SE_EEES9_SG_JZNS1_25segmented_radix_sort_implINS0_14default_configELb0EPKsPsPKlPlN2at6native12_GLOBAL__N_18offset_tEEE10hipError_tPvRmT1_PNSt15iterator_traitsISY_E10value_typeET2_T3_PNSZ_IS14_E10value_typeET4_jRbjT5_S1A_jjP12ihipStream_tbEUljE_EEESV_SW_SX_S14_S18_S1A_T6_T7_T9_mT8_S1C_bDpT10_ENKUlT_T0_E_clISt17integral_constantIbLb1EES1O_IbLb0EEEEDaS1K_S1L_EUlS1K_E_NS1_11comp_targetILNS1_3genE9ELNS1_11target_archE1100ELNS1_3gpuE3ELNS1_3repE0EEENS1_30default_config_static_selectorELNS0_4arch9wavefront6targetE0EEEvSY_,comdat
	.globl	_ZN7rocprim17ROCPRIM_400000_NS6detail17trampoline_kernelINS0_13select_configILj256ELj13ELNS0_17block_load_methodE3ELS4_3ELS4_3ELNS0_20block_scan_algorithmE0ELj4294967295EEENS1_25partition_config_selectorILNS1_17partition_subalgoE3EjNS0_10empty_typeEbEEZZNS1_14partition_implILS8_3ELb0ES6_jNS0_17counting_iteratorIjlEEPS9_SE_NS0_5tupleIJPjSE_EEENSF_IJSE_SE_EEES9_SG_JZNS1_25segmented_radix_sort_implINS0_14default_configELb0EPKsPsPKlPlN2at6native12_GLOBAL__N_18offset_tEEE10hipError_tPvRmT1_PNSt15iterator_traitsISY_E10value_typeET2_T3_PNSZ_IS14_E10value_typeET4_jRbjT5_S1A_jjP12ihipStream_tbEUljE_EEESV_SW_SX_S14_S18_S1A_T6_T7_T9_mT8_S1C_bDpT10_ENKUlT_T0_E_clISt17integral_constantIbLb1EES1O_IbLb0EEEEDaS1K_S1L_EUlS1K_E_NS1_11comp_targetILNS1_3genE9ELNS1_11target_archE1100ELNS1_3gpuE3ELNS1_3repE0EEENS1_30default_config_static_selectorELNS0_4arch9wavefront6targetE0EEEvSY_ ; -- Begin function _ZN7rocprim17ROCPRIM_400000_NS6detail17trampoline_kernelINS0_13select_configILj256ELj13ELNS0_17block_load_methodE3ELS4_3ELS4_3ELNS0_20block_scan_algorithmE0ELj4294967295EEENS1_25partition_config_selectorILNS1_17partition_subalgoE3EjNS0_10empty_typeEbEEZZNS1_14partition_implILS8_3ELb0ES6_jNS0_17counting_iteratorIjlEEPS9_SE_NS0_5tupleIJPjSE_EEENSF_IJSE_SE_EEES9_SG_JZNS1_25segmented_radix_sort_implINS0_14default_configELb0EPKsPsPKlPlN2at6native12_GLOBAL__N_18offset_tEEE10hipError_tPvRmT1_PNSt15iterator_traitsISY_E10value_typeET2_T3_PNSZ_IS14_E10value_typeET4_jRbjT5_S1A_jjP12ihipStream_tbEUljE_EEESV_SW_SX_S14_S18_S1A_T6_T7_T9_mT8_S1C_bDpT10_ENKUlT_T0_E_clISt17integral_constantIbLb1EES1O_IbLb0EEEEDaS1K_S1L_EUlS1K_E_NS1_11comp_targetILNS1_3genE9ELNS1_11target_archE1100ELNS1_3gpuE3ELNS1_3repE0EEENS1_30default_config_static_selectorELNS0_4arch9wavefront6targetE0EEEvSY_
	.p2align	8
	.type	_ZN7rocprim17ROCPRIM_400000_NS6detail17trampoline_kernelINS0_13select_configILj256ELj13ELNS0_17block_load_methodE3ELS4_3ELS4_3ELNS0_20block_scan_algorithmE0ELj4294967295EEENS1_25partition_config_selectorILNS1_17partition_subalgoE3EjNS0_10empty_typeEbEEZZNS1_14partition_implILS8_3ELb0ES6_jNS0_17counting_iteratorIjlEEPS9_SE_NS0_5tupleIJPjSE_EEENSF_IJSE_SE_EEES9_SG_JZNS1_25segmented_radix_sort_implINS0_14default_configELb0EPKsPsPKlPlN2at6native12_GLOBAL__N_18offset_tEEE10hipError_tPvRmT1_PNSt15iterator_traitsISY_E10value_typeET2_T3_PNSZ_IS14_E10value_typeET4_jRbjT5_S1A_jjP12ihipStream_tbEUljE_EEESV_SW_SX_S14_S18_S1A_T6_T7_T9_mT8_S1C_bDpT10_ENKUlT_T0_E_clISt17integral_constantIbLb1EES1O_IbLb0EEEEDaS1K_S1L_EUlS1K_E_NS1_11comp_targetILNS1_3genE9ELNS1_11target_archE1100ELNS1_3gpuE3ELNS1_3repE0EEENS1_30default_config_static_selectorELNS0_4arch9wavefront6targetE0EEEvSY_,@function
_ZN7rocprim17ROCPRIM_400000_NS6detail17trampoline_kernelINS0_13select_configILj256ELj13ELNS0_17block_load_methodE3ELS4_3ELS4_3ELNS0_20block_scan_algorithmE0ELj4294967295EEENS1_25partition_config_selectorILNS1_17partition_subalgoE3EjNS0_10empty_typeEbEEZZNS1_14partition_implILS8_3ELb0ES6_jNS0_17counting_iteratorIjlEEPS9_SE_NS0_5tupleIJPjSE_EEENSF_IJSE_SE_EEES9_SG_JZNS1_25segmented_radix_sort_implINS0_14default_configELb0EPKsPsPKlPlN2at6native12_GLOBAL__N_18offset_tEEE10hipError_tPvRmT1_PNSt15iterator_traitsISY_E10value_typeET2_T3_PNSZ_IS14_E10value_typeET4_jRbjT5_S1A_jjP12ihipStream_tbEUljE_EEESV_SW_SX_S14_S18_S1A_T6_T7_T9_mT8_S1C_bDpT10_ENKUlT_T0_E_clISt17integral_constantIbLb1EES1O_IbLb0EEEEDaS1K_S1L_EUlS1K_E_NS1_11comp_targetILNS1_3genE9ELNS1_11target_archE1100ELNS1_3gpuE3ELNS1_3repE0EEENS1_30default_config_static_selectorELNS0_4arch9wavefront6targetE0EEEvSY_: ; @_ZN7rocprim17ROCPRIM_400000_NS6detail17trampoline_kernelINS0_13select_configILj256ELj13ELNS0_17block_load_methodE3ELS4_3ELS4_3ELNS0_20block_scan_algorithmE0ELj4294967295EEENS1_25partition_config_selectorILNS1_17partition_subalgoE3EjNS0_10empty_typeEbEEZZNS1_14partition_implILS8_3ELb0ES6_jNS0_17counting_iteratorIjlEEPS9_SE_NS0_5tupleIJPjSE_EEENSF_IJSE_SE_EEES9_SG_JZNS1_25segmented_radix_sort_implINS0_14default_configELb0EPKsPsPKlPlN2at6native12_GLOBAL__N_18offset_tEEE10hipError_tPvRmT1_PNSt15iterator_traitsISY_E10value_typeET2_T3_PNSZ_IS14_E10value_typeET4_jRbjT5_S1A_jjP12ihipStream_tbEUljE_EEESV_SW_SX_S14_S18_S1A_T6_T7_T9_mT8_S1C_bDpT10_ENKUlT_T0_E_clISt17integral_constantIbLb1EES1O_IbLb0EEEEDaS1K_S1L_EUlS1K_E_NS1_11comp_targetILNS1_3genE9ELNS1_11target_archE1100ELNS1_3gpuE3ELNS1_3repE0EEENS1_30default_config_static_selectorELNS0_4arch9wavefront6targetE0EEEvSY_
; %bb.0:
	.section	.rodata,"a",@progbits
	.p2align	6, 0x0
	.amdhsa_kernel _ZN7rocprim17ROCPRIM_400000_NS6detail17trampoline_kernelINS0_13select_configILj256ELj13ELNS0_17block_load_methodE3ELS4_3ELS4_3ELNS0_20block_scan_algorithmE0ELj4294967295EEENS1_25partition_config_selectorILNS1_17partition_subalgoE3EjNS0_10empty_typeEbEEZZNS1_14partition_implILS8_3ELb0ES6_jNS0_17counting_iteratorIjlEEPS9_SE_NS0_5tupleIJPjSE_EEENSF_IJSE_SE_EEES9_SG_JZNS1_25segmented_radix_sort_implINS0_14default_configELb0EPKsPsPKlPlN2at6native12_GLOBAL__N_18offset_tEEE10hipError_tPvRmT1_PNSt15iterator_traitsISY_E10value_typeET2_T3_PNSZ_IS14_E10value_typeET4_jRbjT5_S1A_jjP12ihipStream_tbEUljE_EEESV_SW_SX_S14_S18_S1A_T6_T7_T9_mT8_S1C_bDpT10_ENKUlT_T0_E_clISt17integral_constantIbLb1EES1O_IbLb0EEEEDaS1K_S1L_EUlS1K_E_NS1_11comp_targetILNS1_3genE9ELNS1_11target_archE1100ELNS1_3gpuE3ELNS1_3repE0EEENS1_30default_config_static_selectorELNS0_4arch9wavefront6targetE0EEEvSY_
		.amdhsa_group_segment_fixed_size 0
		.amdhsa_private_segment_fixed_size 0
		.amdhsa_kernarg_size 144
		.amdhsa_user_sgpr_count 6
		.amdhsa_user_sgpr_private_segment_buffer 1
		.amdhsa_user_sgpr_dispatch_ptr 0
		.amdhsa_user_sgpr_queue_ptr 0
		.amdhsa_user_sgpr_kernarg_segment_ptr 1
		.amdhsa_user_sgpr_dispatch_id 0
		.amdhsa_user_sgpr_flat_scratch_init 0
		.amdhsa_user_sgpr_private_segment_size 0
		.amdhsa_wavefront_size32 1
		.amdhsa_uses_dynamic_stack 0
		.amdhsa_system_sgpr_private_segment_wavefront_offset 0
		.amdhsa_system_sgpr_workgroup_id_x 1
		.amdhsa_system_sgpr_workgroup_id_y 0
		.amdhsa_system_sgpr_workgroup_id_z 0
		.amdhsa_system_sgpr_workgroup_info 0
		.amdhsa_system_vgpr_workitem_id 0
		.amdhsa_next_free_vgpr 1
		.amdhsa_next_free_sgpr 1
		.amdhsa_reserve_vcc 0
		.amdhsa_reserve_flat_scratch 0
		.amdhsa_float_round_mode_32 0
		.amdhsa_float_round_mode_16_64 0
		.amdhsa_float_denorm_mode_32 3
		.amdhsa_float_denorm_mode_16_64 3
		.amdhsa_dx10_clamp 1
		.amdhsa_ieee_mode 1
		.amdhsa_fp16_overflow 0
		.amdhsa_workgroup_processor_mode 1
		.amdhsa_memory_ordered 1
		.amdhsa_forward_progress 1
		.amdhsa_shared_vgpr_count 0
		.amdhsa_exception_fp_ieee_invalid_op 0
		.amdhsa_exception_fp_denorm_src 0
		.amdhsa_exception_fp_ieee_div_zero 0
		.amdhsa_exception_fp_ieee_overflow 0
		.amdhsa_exception_fp_ieee_underflow 0
		.amdhsa_exception_fp_ieee_inexact 0
		.amdhsa_exception_int_div_zero 0
	.end_amdhsa_kernel
	.section	.text._ZN7rocprim17ROCPRIM_400000_NS6detail17trampoline_kernelINS0_13select_configILj256ELj13ELNS0_17block_load_methodE3ELS4_3ELS4_3ELNS0_20block_scan_algorithmE0ELj4294967295EEENS1_25partition_config_selectorILNS1_17partition_subalgoE3EjNS0_10empty_typeEbEEZZNS1_14partition_implILS8_3ELb0ES6_jNS0_17counting_iteratorIjlEEPS9_SE_NS0_5tupleIJPjSE_EEENSF_IJSE_SE_EEES9_SG_JZNS1_25segmented_radix_sort_implINS0_14default_configELb0EPKsPsPKlPlN2at6native12_GLOBAL__N_18offset_tEEE10hipError_tPvRmT1_PNSt15iterator_traitsISY_E10value_typeET2_T3_PNSZ_IS14_E10value_typeET4_jRbjT5_S1A_jjP12ihipStream_tbEUljE_EEESV_SW_SX_S14_S18_S1A_T6_T7_T9_mT8_S1C_bDpT10_ENKUlT_T0_E_clISt17integral_constantIbLb1EES1O_IbLb0EEEEDaS1K_S1L_EUlS1K_E_NS1_11comp_targetILNS1_3genE9ELNS1_11target_archE1100ELNS1_3gpuE3ELNS1_3repE0EEENS1_30default_config_static_selectorELNS0_4arch9wavefront6targetE0EEEvSY_,"axG",@progbits,_ZN7rocprim17ROCPRIM_400000_NS6detail17trampoline_kernelINS0_13select_configILj256ELj13ELNS0_17block_load_methodE3ELS4_3ELS4_3ELNS0_20block_scan_algorithmE0ELj4294967295EEENS1_25partition_config_selectorILNS1_17partition_subalgoE3EjNS0_10empty_typeEbEEZZNS1_14partition_implILS8_3ELb0ES6_jNS0_17counting_iteratorIjlEEPS9_SE_NS0_5tupleIJPjSE_EEENSF_IJSE_SE_EEES9_SG_JZNS1_25segmented_radix_sort_implINS0_14default_configELb0EPKsPsPKlPlN2at6native12_GLOBAL__N_18offset_tEEE10hipError_tPvRmT1_PNSt15iterator_traitsISY_E10value_typeET2_T3_PNSZ_IS14_E10value_typeET4_jRbjT5_S1A_jjP12ihipStream_tbEUljE_EEESV_SW_SX_S14_S18_S1A_T6_T7_T9_mT8_S1C_bDpT10_ENKUlT_T0_E_clISt17integral_constantIbLb1EES1O_IbLb0EEEEDaS1K_S1L_EUlS1K_E_NS1_11comp_targetILNS1_3genE9ELNS1_11target_archE1100ELNS1_3gpuE3ELNS1_3repE0EEENS1_30default_config_static_selectorELNS0_4arch9wavefront6targetE0EEEvSY_,comdat
.Lfunc_end997:
	.size	_ZN7rocprim17ROCPRIM_400000_NS6detail17trampoline_kernelINS0_13select_configILj256ELj13ELNS0_17block_load_methodE3ELS4_3ELS4_3ELNS0_20block_scan_algorithmE0ELj4294967295EEENS1_25partition_config_selectorILNS1_17partition_subalgoE3EjNS0_10empty_typeEbEEZZNS1_14partition_implILS8_3ELb0ES6_jNS0_17counting_iteratorIjlEEPS9_SE_NS0_5tupleIJPjSE_EEENSF_IJSE_SE_EEES9_SG_JZNS1_25segmented_radix_sort_implINS0_14default_configELb0EPKsPsPKlPlN2at6native12_GLOBAL__N_18offset_tEEE10hipError_tPvRmT1_PNSt15iterator_traitsISY_E10value_typeET2_T3_PNSZ_IS14_E10value_typeET4_jRbjT5_S1A_jjP12ihipStream_tbEUljE_EEESV_SW_SX_S14_S18_S1A_T6_T7_T9_mT8_S1C_bDpT10_ENKUlT_T0_E_clISt17integral_constantIbLb1EES1O_IbLb0EEEEDaS1K_S1L_EUlS1K_E_NS1_11comp_targetILNS1_3genE9ELNS1_11target_archE1100ELNS1_3gpuE3ELNS1_3repE0EEENS1_30default_config_static_selectorELNS0_4arch9wavefront6targetE0EEEvSY_, .Lfunc_end997-_ZN7rocprim17ROCPRIM_400000_NS6detail17trampoline_kernelINS0_13select_configILj256ELj13ELNS0_17block_load_methodE3ELS4_3ELS4_3ELNS0_20block_scan_algorithmE0ELj4294967295EEENS1_25partition_config_selectorILNS1_17partition_subalgoE3EjNS0_10empty_typeEbEEZZNS1_14partition_implILS8_3ELb0ES6_jNS0_17counting_iteratorIjlEEPS9_SE_NS0_5tupleIJPjSE_EEENSF_IJSE_SE_EEES9_SG_JZNS1_25segmented_radix_sort_implINS0_14default_configELb0EPKsPsPKlPlN2at6native12_GLOBAL__N_18offset_tEEE10hipError_tPvRmT1_PNSt15iterator_traitsISY_E10value_typeET2_T3_PNSZ_IS14_E10value_typeET4_jRbjT5_S1A_jjP12ihipStream_tbEUljE_EEESV_SW_SX_S14_S18_S1A_T6_T7_T9_mT8_S1C_bDpT10_ENKUlT_T0_E_clISt17integral_constantIbLb1EES1O_IbLb0EEEEDaS1K_S1L_EUlS1K_E_NS1_11comp_targetILNS1_3genE9ELNS1_11target_archE1100ELNS1_3gpuE3ELNS1_3repE0EEENS1_30default_config_static_selectorELNS0_4arch9wavefront6targetE0EEEvSY_
                                        ; -- End function
	.set _ZN7rocprim17ROCPRIM_400000_NS6detail17trampoline_kernelINS0_13select_configILj256ELj13ELNS0_17block_load_methodE3ELS4_3ELS4_3ELNS0_20block_scan_algorithmE0ELj4294967295EEENS1_25partition_config_selectorILNS1_17partition_subalgoE3EjNS0_10empty_typeEbEEZZNS1_14partition_implILS8_3ELb0ES6_jNS0_17counting_iteratorIjlEEPS9_SE_NS0_5tupleIJPjSE_EEENSF_IJSE_SE_EEES9_SG_JZNS1_25segmented_radix_sort_implINS0_14default_configELb0EPKsPsPKlPlN2at6native12_GLOBAL__N_18offset_tEEE10hipError_tPvRmT1_PNSt15iterator_traitsISY_E10value_typeET2_T3_PNSZ_IS14_E10value_typeET4_jRbjT5_S1A_jjP12ihipStream_tbEUljE_EEESV_SW_SX_S14_S18_S1A_T6_T7_T9_mT8_S1C_bDpT10_ENKUlT_T0_E_clISt17integral_constantIbLb1EES1O_IbLb0EEEEDaS1K_S1L_EUlS1K_E_NS1_11comp_targetILNS1_3genE9ELNS1_11target_archE1100ELNS1_3gpuE3ELNS1_3repE0EEENS1_30default_config_static_selectorELNS0_4arch9wavefront6targetE0EEEvSY_.num_vgpr, 0
	.set _ZN7rocprim17ROCPRIM_400000_NS6detail17trampoline_kernelINS0_13select_configILj256ELj13ELNS0_17block_load_methodE3ELS4_3ELS4_3ELNS0_20block_scan_algorithmE0ELj4294967295EEENS1_25partition_config_selectorILNS1_17partition_subalgoE3EjNS0_10empty_typeEbEEZZNS1_14partition_implILS8_3ELb0ES6_jNS0_17counting_iteratorIjlEEPS9_SE_NS0_5tupleIJPjSE_EEENSF_IJSE_SE_EEES9_SG_JZNS1_25segmented_radix_sort_implINS0_14default_configELb0EPKsPsPKlPlN2at6native12_GLOBAL__N_18offset_tEEE10hipError_tPvRmT1_PNSt15iterator_traitsISY_E10value_typeET2_T3_PNSZ_IS14_E10value_typeET4_jRbjT5_S1A_jjP12ihipStream_tbEUljE_EEESV_SW_SX_S14_S18_S1A_T6_T7_T9_mT8_S1C_bDpT10_ENKUlT_T0_E_clISt17integral_constantIbLb1EES1O_IbLb0EEEEDaS1K_S1L_EUlS1K_E_NS1_11comp_targetILNS1_3genE9ELNS1_11target_archE1100ELNS1_3gpuE3ELNS1_3repE0EEENS1_30default_config_static_selectorELNS0_4arch9wavefront6targetE0EEEvSY_.num_agpr, 0
	.set _ZN7rocprim17ROCPRIM_400000_NS6detail17trampoline_kernelINS0_13select_configILj256ELj13ELNS0_17block_load_methodE3ELS4_3ELS4_3ELNS0_20block_scan_algorithmE0ELj4294967295EEENS1_25partition_config_selectorILNS1_17partition_subalgoE3EjNS0_10empty_typeEbEEZZNS1_14partition_implILS8_3ELb0ES6_jNS0_17counting_iteratorIjlEEPS9_SE_NS0_5tupleIJPjSE_EEENSF_IJSE_SE_EEES9_SG_JZNS1_25segmented_radix_sort_implINS0_14default_configELb0EPKsPsPKlPlN2at6native12_GLOBAL__N_18offset_tEEE10hipError_tPvRmT1_PNSt15iterator_traitsISY_E10value_typeET2_T3_PNSZ_IS14_E10value_typeET4_jRbjT5_S1A_jjP12ihipStream_tbEUljE_EEESV_SW_SX_S14_S18_S1A_T6_T7_T9_mT8_S1C_bDpT10_ENKUlT_T0_E_clISt17integral_constantIbLb1EES1O_IbLb0EEEEDaS1K_S1L_EUlS1K_E_NS1_11comp_targetILNS1_3genE9ELNS1_11target_archE1100ELNS1_3gpuE3ELNS1_3repE0EEENS1_30default_config_static_selectorELNS0_4arch9wavefront6targetE0EEEvSY_.numbered_sgpr, 0
	.set _ZN7rocprim17ROCPRIM_400000_NS6detail17trampoline_kernelINS0_13select_configILj256ELj13ELNS0_17block_load_methodE3ELS4_3ELS4_3ELNS0_20block_scan_algorithmE0ELj4294967295EEENS1_25partition_config_selectorILNS1_17partition_subalgoE3EjNS0_10empty_typeEbEEZZNS1_14partition_implILS8_3ELb0ES6_jNS0_17counting_iteratorIjlEEPS9_SE_NS0_5tupleIJPjSE_EEENSF_IJSE_SE_EEES9_SG_JZNS1_25segmented_radix_sort_implINS0_14default_configELb0EPKsPsPKlPlN2at6native12_GLOBAL__N_18offset_tEEE10hipError_tPvRmT1_PNSt15iterator_traitsISY_E10value_typeET2_T3_PNSZ_IS14_E10value_typeET4_jRbjT5_S1A_jjP12ihipStream_tbEUljE_EEESV_SW_SX_S14_S18_S1A_T6_T7_T9_mT8_S1C_bDpT10_ENKUlT_T0_E_clISt17integral_constantIbLb1EES1O_IbLb0EEEEDaS1K_S1L_EUlS1K_E_NS1_11comp_targetILNS1_3genE9ELNS1_11target_archE1100ELNS1_3gpuE3ELNS1_3repE0EEENS1_30default_config_static_selectorELNS0_4arch9wavefront6targetE0EEEvSY_.num_named_barrier, 0
	.set _ZN7rocprim17ROCPRIM_400000_NS6detail17trampoline_kernelINS0_13select_configILj256ELj13ELNS0_17block_load_methodE3ELS4_3ELS4_3ELNS0_20block_scan_algorithmE0ELj4294967295EEENS1_25partition_config_selectorILNS1_17partition_subalgoE3EjNS0_10empty_typeEbEEZZNS1_14partition_implILS8_3ELb0ES6_jNS0_17counting_iteratorIjlEEPS9_SE_NS0_5tupleIJPjSE_EEENSF_IJSE_SE_EEES9_SG_JZNS1_25segmented_radix_sort_implINS0_14default_configELb0EPKsPsPKlPlN2at6native12_GLOBAL__N_18offset_tEEE10hipError_tPvRmT1_PNSt15iterator_traitsISY_E10value_typeET2_T3_PNSZ_IS14_E10value_typeET4_jRbjT5_S1A_jjP12ihipStream_tbEUljE_EEESV_SW_SX_S14_S18_S1A_T6_T7_T9_mT8_S1C_bDpT10_ENKUlT_T0_E_clISt17integral_constantIbLb1EES1O_IbLb0EEEEDaS1K_S1L_EUlS1K_E_NS1_11comp_targetILNS1_3genE9ELNS1_11target_archE1100ELNS1_3gpuE3ELNS1_3repE0EEENS1_30default_config_static_selectorELNS0_4arch9wavefront6targetE0EEEvSY_.private_seg_size, 0
	.set _ZN7rocprim17ROCPRIM_400000_NS6detail17trampoline_kernelINS0_13select_configILj256ELj13ELNS0_17block_load_methodE3ELS4_3ELS4_3ELNS0_20block_scan_algorithmE0ELj4294967295EEENS1_25partition_config_selectorILNS1_17partition_subalgoE3EjNS0_10empty_typeEbEEZZNS1_14partition_implILS8_3ELb0ES6_jNS0_17counting_iteratorIjlEEPS9_SE_NS0_5tupleIJPjSE_EEENSF_IJSE_SE_EEES9_SG_JZNS1_25segmented_radix_sort_implINS0_14default_configELb0EPKsPsPKlPlN2at6native12_GLOBAL__N_18offset_tEEE10hipError_tPvRmT1_PNSt15iterator_traitsISY_E10value_typeET2_T3_PNSZ_IS14_E10value_typeET4_jRbjT5_S1A_jjP12ihipStream_tbEUljE_EEESV_SW_SX_S14_S18_S1A_T6_T7_T9_mT8_S1C_bDpT10_ENKUlT_T0_E_clISt17integral_constantIbLb1EES1O_IbLb0EEEEDaS1K_S1L_EUlS1K_E_NS1_11comp_targetILNS1_3genE9ELNS1_11target_archE1100ELNS1_3gpuE3ELNS1_3repE0EEENS1_30default_config_static_selectorELNS0_4arch9wavefront6targetE0EEEvSY_.uses_vcc, 0
	.set _ZN7rocprim17ROCPRIM_400000_NS6detail17trampoline_kernelINS0_13select_configILj256ELj13ELNS0_17block_load_methodE3ELS4_3ELS4_3ELNS0_20block_scan_algorithmE0ELj4294967295EEENS1_25partition_config_selectorILNS1_17partition_subalgoE3EjNS0_10empty_typeEbEEZZNS1_14partition_implILS8_3ELb0ES6_jNS0_17counting_iteratorIjlEEPS9_SE_NS0_5tupleIJPjSE_EEENSF_IJSE_SE_EEES9_SG_JZNS1_25segmented_radix_sort_implINS0_14default_configELb0EPKsPsPKlPlN2at6native12_GLOBAL__N_18offset_tEEE10hipError_tPvRmT1_PNSt15iterator_traitsISY_E10value_typeET2_T3_PNSZ_IS14_E10value_typeET4_jRbjT5_S1A_jjP12ihipStream_tbEUljE_EEESV_SW_SX_S14_S18_S1A_T6_T7_T9_mT8_S1C_bDpT10_ENKUlT_T0_E_clISt17integral_constantIbLb1EES1O_IbLb0EEEEDaS1K_S1L_EUlS1K_E_NS1_11comp_targetILNS1_3genE9ELNS1_11target_archE1100ELNS1_3gpuE3ELNS1_3repE0EEENS1_30default_config_static_selectorELNS0_4arch9wavefront6targetE0EEEvSY_.uses_flat_scratch, 0
	.set _ZN7rocprim17ROCPRIM_400000_NS6detail17trampoline_kernelINS0_13select_configILj256ELj13ELNS0_17block_load_methodE3ELS4_3ELS4_3ELNS0_20block_scan_algorithmE0ELj4294967295EEENS1_25partition_config_selectorILNS1_17partition_subalgoE3EjNS0_10empty_typeEbEEZZNS1_14partition_implILS8_3ELb0ES6_jNS0_17counting_iteratorIjlEEPS9_SE_NS0_5tupleIJPjSE_EEENSF_IJSE_SE_EEES9_SG_JZNS1_25segmented_radix_sort_implINS0_14default_configELb0EPKsPsPKlPlN2at6native12_GLOBAL__N_18offset_tEEE10hipError_tPvRmT1_PNSt15iterator_traitsISY_E10value_typeET2_T3_PNSZ_IS14_E10value_typeET4_jRbjT5_S1A_jjP12ihipStream_tbEUljE_EEESV_SW_SX_S14_S18_S1A_T6_T7_T9_mT8_S1C_bDpT10_ENKUlT_T0_E_clISt17integral_constantIbLb1EES1O_IbLb0EEEEDaS1K_S1L_EUlS1K_E_NS1_11comp_targetILNS1_3genE9ELNS1_11target_archE1100ELNS1_3gpuE3ELNS1_3repE0EEENS1_30default_config_static_selectorELNS0_4arch9wavefront6targetE0EEEvSY_.has_dyn_sized_stack, 0
	.set _ZN7rocprim17ROCPRIM_400000_NS6detail17trampoline_kernelINS0_13select_configILj256ELj13ELNS0_17block_load_methodE3ELS4_3ELS4_3ELNS0_20block_scan_algorithmE0ELj4294967295EEENS1_25partition_config_selectorILNS1_17partition_subalgoE3EjNS0_10empty_typeEbEEZZNS1_14partition_implILS8_3ELb0ES6_jNS0_17counting_iteratorIjlEEPS9_SE_NS0_5tupleIJPjSE_EEENSF_IJSE_SE_EEES9_SG_JZNS1_25segmented_radix_sort_implINS0_14default_configELb0EPKsPsPKlPlN2at6native12_GLOBAL__N_18offset_tEEE10hipError_tPvRmT1_PNSt15iterator_traitsISY_E10value_typeET2_T3_PNSZ_IS14_E10value_typeET4_jRbjT5_S1A_jjP12ihipStream_tbEUljE_EEESV_SW_SX_S14_S18_S1A_T6_T7_T9_mT8_S1C_bDpT10_ENKUlT_T0_E_clISt17integral_constantIbLb1EES1O_IbLb0EEEEDaS1K_S1L_EUlS1K_E_NS1_11comp_targetILNS1_3genE9ELNS1_11target_archE1100ELNS1_3gpuE3ELNS1_3repE0EEENS1_30default_config_static_selectorELNS0_4arch9wavefront6targetE0EEEvSY_.has_recursion, 0
	.set _ZN7rocprim17ROCPRIM_400000_NS6detail17trampoline_kernelINS0_13select_configILj256ELj13ELNS0_17block_load_methodE3ELS4_3ELS4_3ELNS0_20block_scan_algorithmE0ELj4294967295EEENS1_25partition_config_selectorILNS1_17partition_subalgoE3EjNS0_10empty_typeEbEEZZNS1_14partition_implILS8_3ELb0ES6_jNS0_17counting_iteratorIjlEEPS9_SE_NS0_5tupleIJPjSE_EEENSF_IJSE_SE_EEES9_SG_JZNS1_25segmented_radix_sort_implINS0_14default_configELb0EPKsPsPKlPlN2at6native12_GLOBAL__N_18offset_tEEE10hipError_tPvRmT1_PNSt15iterator_traitsISY_E10value_typeET2_T3_PNSZ_IS14_E10value_typeET4_jRbjT5_S1A_jjP12ihipStream_tbEUljE_EEESV_SW_SX_S14_S18_S1A_T6_T7_T9_mT8_S1C_bDpT10_ENKUlT_T0_E_clISt17integral_constantIbLb1EES1O_IbLb0EEEEDaS1K_S1L_EUlS1K_E_NS1_11comp_targetILNS1_3genE9ELNS1_11target_archE1100ELNS1_3gpuE3ELNS1_3repE0EEENS1_30default_config_static_selectorELNS0_4arch9wavefront6targetE0EEEvSY_.has_indirect_call, 0
	.section	.AMDGPU.csdata,"",@progbits
; Kernel info:
; codeLenInByte = 0
; TotalNumSgprs: 0
; NumVgprs: 0
; ScratchSize: 0
; MemoryBound: 0
; FloatMode: 240
; IeeeMode: 1
; LDSByteSize: 0 bytes/workgroup (compile time only)
; SGPRBlocks: 0
; VGPRBlocks: 0
; NumSGPRsForWavesPerEU: 1
; NumVGPRsForWavesPerEU: 1
; Occupancy: 16
; WaveLimiterHint : 0
; COMPUTE_PGM_RSRC2:SCRATCH_EN: 0
; COMPUTE_PGM_RSRC2:USER_SGPR: 6
; COMPUTE_PGM_RSRC2:TRAP_HANDLER: 0
; COMPUTE_PGM_RSRC2:TGID_X_EN: 1
; COMPUTE_PGM_RSRC2:TGID_Y_EN: 0
; COMPUTE_PGM_RSRC2:TGID_Z_EN: 0
; COMPUTE_PGM_RSRC2:TIDIG_COMP_CNT: 0
	.section	.text._ZN7rocprim17ROCPRIM_400000_NS6detail17trampoline_kernelINS0_13select_configILj256ELj13ELNS0_17block_load_methodE3ELS4_3ELS4_3ELNS0_20block_scan_algorithmE0ELj4294967295EEENS1_25partition_config_selectorILNS1_17partition_subalgoE3EjNS0_10empty_typeEbEEZZNS1_14partition_implILS8_3ELb0ES6_jNS0_17counting_iteratorIjlEEPS9_SE_NS0_5tupleIJPjSE_EEENSF_IJSE_SE_EEES9_SG_JZNS1_25segmented_radix_sort_implINS0_14default_configELb0EPKsPsPKlPlN2at6native12_GLOBAL__N_18offset_tEEE10hipError_tPvRmT1_PNSt15iterator_traitsISY_E10value_typeET2_T3_PNSZ_IS14_E10value_typeET4_jRbjT5_S1A_jjP12ihipStream_tbEUljE_EEESV_SW_SX_S14_S18_S1A_T6_T7_T9_mT8_S1C_bDpT10_ENKUlT_T0_E_clISt17integral_constantIbLb1EES1O_IbLb0EEEEDaS1K_S1L_EUlS1K_E_NS1_11comp_targetILNS1_3genE8ELNS1_11target_archE1030ELNS1_3gpuE2ELNS1_3repE0EEENS1_30default_config_static_selectorELNS0_4arch9wavefront6targetE0EEEvSY_,"axG",@progbits,_ZN7rocprim17ROCPRIM_400000_NS6detail17trampoline_kernelINS0_13select_configILj256ELj13ELNS0_17block_load_methodE3ELS4_3ELS4_3ELNS0_20block_scan_algorithmE0ELj4294967295EEENS1_25partition_config_selectorILNS1_17partition_subalgoE3EjNS0_10empty_typeEbEEZZNS1_14partition_implILS8_3ELb0ES6_jNS0_17counting_iteratorIjlEEPS9_SE_NS0_5tupleIJPjSE_EEENSF_IJSE_SE_EEES9_SG_JZNS1_25segmented_radix_sort_implINS0_14default_configELb0EPKsPsPKlPlN2at6native12_GLOBAL__N_18offset_tEEE10hipError_tPvRmT1_PNSt15iterator_traitsISY_E10value_typeET2_T3_PNSZ_IS14_E10value_typeET4_jRbjT5_S1A_jjP12ihipStream_tbEUljE_EEESV_SW_SX_S14_S18_S1A_T6_T7_T9_mT8_S1C_bDpT10_ENKUlT_T0_E_clISt17integral_constantIbLb1EES1O_IbLb0EEEEDaS1K_S1L_EUlS1K_E_NS1_11comp_targetILNS1_3genE8ELNS1_11target_archE1030ELNS1_3gpuE2ELNS1_3repE0EEENS1_30default_config_static_selectorELNS0_4arch9wavefront6targetE0EEEvSY_,comdat
	.globl	_ZN7rocprim17ROCPRIM_400000_NS6detail17trampoline_kernelINS0_13select_configILj256ELj13ELNS0_17block_load_methodE3ELS4_3ELS4_3ELNS0_20block_scan_algorithmE0ELj4294967295EEENS1_25partition_config_selectorILNS1_17partition_subalgoE3EjNS0_10empty_typeEbEEZZNS1_14partition_implILS8_3ELb0ES6_jNS0_17counting_iteratorIjlEEPS9_SE_NS0_5tupleIJPjSE_EEENSF_IJSE_SE_EEES9_SG_JZNS1_25segmented_radix_sort_implINS0_14default_configELb0EPKsPsPKlPlN2at6native12_GLOBAL__N_18offset_tEEE10hipError_tPvRmT1_PNSt15iterator_traitsISY_E10value_typeET2_T3_PNSZ_IS14_E10value_typeET4_jRbjT5_S1A_jjP12ihipStream_tbEUljE_EEESV_SW_SX_S14_S18_S1A_T6_T7_T9_mT8_S1C_bDpT10_ENKUlT_T0_E_clISt17integral_constantIbLb1EES1O_IbLb0EEEEDaS1K_S1L_EUlS1K_E_NS1_11comp_targetILNS1_3genE8ELNS1_11target_archE1030ELNS1_3gpuE2ELNS1_3repE0EEENS1_30default_config_static_selectorELNS0_4arch9wavefront6targetE0EEEvSY_ ; -- Begin function _ZN7rocprim17ROCPRIM_400000_NS6detail17trampoline_kernelINS0_13select_configILj256ELj13ELNS0_17block_load_methodE3ELS4_3ELS4_3ELNS0_20block_scan_algorithmE0ELj4294967295EEENS1_25partition_config_selectorILNS1_17partition_subalgoE3EjNS0_10empty_typeEbEEZZNS1_14partition_implILS8_3ELb0ES6_jNS0_17counting_iteratorIjlEEPS9_SE_NS0_5tupleIJPjSE_EEENSF_IJSE_SE_EEES9_SG_JZNS1_25segmented_radix_sort_implINS0_14default_configELb0EPKsPsPKlPlN2at6native12_GLOBAL__N_18offset_tEEE10hipError_tPvRmT1_PNSt15iterator_traitsISY_E10value_typeET2_T3_PNSZ_IS14_E10value_typeET4_jRbjT5_S1A_jjP12ihipStream_tbEUljE_EEESV_SW_SX_S14_S18_S1A_T6_T7_T9_mT8_S1C_bDpT10_ENKUlT_T0_E_clISt17integral_constantIbLb1EES1O_IbLb0EEEEDaS1K_S1L_EUlS1K_E_NS1_11comp_targetILNS1_3genE8ELNS1_11target_archE1030ELNS1_3gpuE2ELNS1_3repE0EEENS1_30default_config_static_selectorELNS0_4arch9wavefront6targetE0EEEvSY_
	.p2align	8
	.type	_ZN7rocprim17ROCPRIM_400000_NS6detail17trampoline_kernelINS0_13select_configILj256ELj13ELNS0_17block_load_methodE3ELS4_3ELS4_3ELNS0_20block_scan_algorithmE0ELj4294967295EEENS1_25partition_config_selectorILNS1_17partition_subalgoE3EjNS0_10empty_typeEbEEZZNS1_14partition_implILS8_3ELb0ES6_jNS0_17counting_iteratorIjlEEPS9_SE_NS0_5tupleIJPjSE_EEENSF_IJSE_SE_EEES9_SG_JZNS1_25segmented_radix_sort_implINS0_14default_configELb0EPKsPsPKlPlN2at6native12_GLOBAL__N_18offset_tEEE10hipError_tPvRmT1_PNSt15iterator_traitsISY_E10value_typeET2_T3_PNSZ_IS14_E10value_typeET4_jRbjT5_S1A_jjP12ihipStream_tbEUljE_EEESV_SW_SX_S14_S18_S1A_T6_T7_T9_mT8_S1C_bDpT10_ENKUlT_T0_E_clISt17integral_constantIbLb1EES1O_IbLb0EEEEDaS1K_S1L_EUlS1K_E_NS1_11comp_targetILNS1_3genE8ELNS1_11target_archE1030ELNS1_3gpuE2ELNS1_3repE0EEENS1_30default_config_static_selectorELNS0_4arch9wavefront6targetE0EEEvSY_,@function
_ZN7rocprim17ROCPRIM_400000_NS6detail17trampoline_kernelINS0_13select_configILj256ELj13ELNS0_17block_load_methodE3ELS4_3ELS4_3ELNS0_20block_scan_algorithmE0ELj4294967295EEENS1_25partition_config_selectorILNS1_17partition_subalgoE3EjNS0_10empty_typeEbEEZZNS1_14partition_implILS8_3ELb0ES6_jNS0_17counting_iteratorIjlEEPS9_SE_NS0_5tupleIJPjSE_EEENSF_IJSE_SE_EEES9_SG_JZNS1_25segmented_radix_sort_implINS0_14default_configELb0EPKsPsPKlPlN2at6native12_GLOBAL__N_18offset_tEEE10hipError_tPvRmT1_PNSt15iterator_traitsISY_E10value_typeET2_T3_PNSZ_IS14_E10value_typeET4_jRbjT5_S1A_jjP12ihipStream_tbEUljE_EEESV_SW_SX_S14_S18_S1A_T6_T7_T9_mT8_S1C_bDpT10_ENKUlT_T0_E_clISt17integral_constantIbLb1EES1O_IbLb0EEEEDaS1K_S1L_EUlS1K_E_NS1_11comp_targetILNS1_3genE8ELNS1_11target_archE1030ELNS1_3gpuE2ELNS1_3repE0EEENS1_30default_config_static_selectorELNS0_4arch9wavefront6targetE0EEEvSY_: ; @_ZN7rocprim17ROCPRIM_400000_NS6detail17trampoline_kernelINS0_13select_configILj256ELj13ELNS0_17block_load_methodE3ELS4_3ELS4_3ELNS0_20block_scan_algorithmE0ELj4294967295EEENS1_25partition_config_selectorILNS1_17partition_subalgoE3EjNS0_10empty_typeEbEEZZNS1_14partition_implILS8_3ELb0ES6_jNS0_17counting_iteratorIjlEEPS9_SE_NS0_5tupleIJPjSE_EEENSF_IJSE_SE_EEES9_SG_JZNS1_25segmented_radix_sort_implINS0_14default_configELb0EPKsPsPKlPlN2at6native12_GLOBAL__N_18offset_tEEE10hipError_tPvRmT1_PNSt15iterator_traitsISY_E10value_typeET2_T3_PNSZ_IS14_E10value_typeET4_jRbjT5_S1A_jjP12ihipStream_tbEUljE_EEESV_SW_SX_S14_S18_S1A_T6_T7_T9_mT8_S1C_bDpT10_ENKUlT_T0_E_clISt17integral_constantIbLb1EES1O_IbLb0EEEEDaS1K_S1L_EUlS1K_E_NS1_11comp_targetILNS1_3genE8ELNS1_11target_archE1030ELNS1_3gpuE2ELNS1_3repE0EEENS1_30default_config_static_selectorELNS0_4arch9wavefront6targetE0EEEvSY_
; %bb.0:
	s_endpgm
	.section	.rodata,"a",@progbits
	.p2align	6, 0x0
	.amdhsa_kernel _ZN7rocprim17ROCPRIM_400000_NS6detail17trampoline_kernelINS0_13select_configILj256ELj13ELNS0_17block_load_methodE3ELS4_3ELS4_3ELNS0_20block_scan_algorithmE0ELj4294967295EEENS1_25partition_config_selectorILNS1_17partition_subalgoE3EjNS0_10empty_typeEbEEZZNS1_14partition_implILS8_3ELb0ES6_jNS0_17counting_iteratorIjlEEPS9_SE_NS0_5tupleIJPjSE_EEENSF_IJSE_SE_EEES9_SG_JZNS1_25segmented_radix_sort_implINS0_14default_configELb0EPKsPsPKlPlN2at6native12_GLOBAL__N_18offset_tEEE10hipError_tPvRmT1_PNSt15iterator_traitsISY_E10value_typeET2_T3_PNSZ_IS14_E10value_typeET4_jRbjT5_S1A_jjP12ihipStream_tbEUljE_EEESV_SW_SX_S14_S18_S1A_T6_T7_T9_mT8_S1C_bDpT10_ENKUlT_T0_E_clISt17integral_constantIbLb1EES1O_IbLb0EEEEDaS1K_S1L_EUlS1K_E_NS1_11comp_targetILNS1_3genE8ELNS1_11target_archE1030ELNS1_3gpuE2ELNS1_3repE0EEENS1_30default_config_static_selectorELNS0_4arch9wavefront6targetE0EEEvSY_
		.amdhsa_group_segment_fixed_size 0
		.amdhsa_private_segment_fixed_size 0
		.amdhsa_kernarg_size 144
		.amdhsa_user_sgpr_count 6
		.amdhsa_user_sgpr_private_segment_buffer 1
		.amdhsa_user_sgpr_dispatch_ptr 0
		.amdhsa_user_sgpr_queue_ptr 0
		.amdhsa_user_sgpr_kernarg_segment_ptr 1
		.amdhsa_user_sgpr_dispatch_id 0
		.amdhsa_user_sgpr_flat_scratch_init 0
		.amdhsa_user_sgpr_private_segment_size 0
		.amdhsa_wavefront_size32 1
		.amdhsa_uses_dynamic_stack 0
		.amdhsa_system_sgpr_private_segment_wavefront_offset 0
		.amdhsa_system_sgpr_workgroup_id_x 1
		.amdhsa_system_sgpr_workgroup_id_y 0
		.amdhsa_system_sgpr_workgroup_id_z 0
		.amdhsa_system_sgpr_workgroup_info 0
		.amdhsa_system_vgpr_workitem_id 0
		.amdhsa_next_free_vgpr 1
		.amdhsa_next_free_sgpr 1
		.amdhsa_reserve_vcc 0
		.amdhsa_reserve_flat_scratch 0
		.amdhsa_float_round_mode_32 0
		.amdhsa_float_round_mode_16_64 0
		.amdhsa_float_denorm_mode_32 3
		.amdhsa_float_denorm_mode_16_64 3
		.amdhsa_dx10_clamp 1
		.amdhsa_ieee_mode 1
		.amdhsa_fp16_overflow 0
		.amdhsa_workgroup_processor_mode 1
		.amdhsa_memory_ordered 1
		.amdhsa_forward_progress 1
		.amdhsa_shared_vgpr_count 0
		.amdhsa_exception_fp_ieee_invalid_op 0
		.amdhsa_exception_fp_denorm_src 0
		.amdhsa_exception_fp_ieee_div_zero 0
		.amdhsa_exception_fp_ieee_overflow 0
		.amdhsa_exception_fp_ieee_underflow 0
		.amdhsa_exception_fp_ieee_inexact 0
		.amdhsa_exception_int_div_zero 0
	.end_amdhsa_kernel
	.section	.text._ZN7rocprim17ROCPRIM_400000_NS6detail17trampoline_kernelINS0_13select_configILj256ELj13ELNS0_17block_load_methodE3ELS4_3ELS4_3ELNS0_20block_scan_algorithmE0ELj4294967295EEENS1_25partition_config_selectorILNS1_17partition_subalgoE3EjNS0_10empty_typeEbEEZZNS1_14partition_implILS8_3ELb0ES6_jNS0_17counting_iteratorIjlEEPS9_SE_NS0_5tupleIJPjSE_EEENSF_IJSE_SE_EEES9_SG_JZNS1_25segmented_radix_sort_implINS0_14default_configELb0EPKsPsPKlPlN2at6native12_GLOBAL__N_18offset_tEEE10hipError_tPvRmT1_PNSt15iterator_traitsISY_E10value_typeET2_T3_PNSZ_IS14_E10value_typeET4_jRbjT5_S1A_jjP12ihipStream_tbEUljE_EEESV_SW_SX_S14_S18_S1A_T6_T7_T9_mT8_S1C_bDpT10_ENKUlT_T0_E_clISt17integral_constantIbLb1EES1O_IbLb0EEEEDaS1K_S1L_EUlS1K_E_NS1_11comp_targetILNS1_3genE8ELNS1_11target_archE1030ELNS1_3gpuE2ELNS1_3repE0EEENS1_30default_config_static_selectorELNS0_4arch9wavefront6targetE0EEEvSY_,"axG",@progbits,_ZN7rocprim17ROCPRIM_400000_NS6detail17trampoline_kernelINS0_13select_configILj256ELj13ELNS0_17block_load_methodE3ELS4_3ELS4_3ELNS0_20block_scan_algorithmE0ELj4294967295EEENS1_25partition_config_selectorILNS1_17partition_subalgoE3EjNS0_10empty_typeEbEEZZNS1_14partition_implILS8_3ELb0ES6_jNS0_17counting_iteratorIjlEEPS9_SE_NS0_5tupleIJPjSE_EEENSF_IJSE_SE_EEES9_SG_JZNS1_25segmented_radix_sort_implINS0_14default_configELb0EPKsPsPKlPlN2at6native12_GLOBAL__N_18offset_tEEE10hipError_tPvRmT1_PNSt15iterator_traitsISY_E10value_typeET2_T3_PNSZ_IS14_E10value_typeET4_jRbjT5_S1A_jjP12ihipStream_tbEUljE_EEESV_SW_SX_S14_S18_S1A_T6_T7_T9_mT8_S1C_bDpT10_ENKUlT_T0_E_clISt17integral_constantIbLb1EES1O_IbLb0EEEEDaS1K_S1L_EUlS1K_E_NS1_11comp_targetILNS1_3genE8ELNS1_11target_archE1030ELNS1_3gpuE2ELNS1_3repE0EEENS1_30default_config_static_selectorELNS0_4arch9wavefront6targetE0EEEvSY_,comdat
.Lfunc_end998:
	.size	_ZN7rocprim17ROCPRIM_400000_NS6detail17trampoline_kernelINS0_13select_configILj256ELj13ELNS0_17block_load_methodE3ELS4_3ELS4_3ELNS0_20block_scan_algorithmE0ELj4294967295EEENS1_25partition_config_selectorILNS1_17partition_subalgoE3EjNS0_10empty_typeEbEEZZNS1_14partition_implILS8_3ELb0ES6_jNS0_17counting_iteratorIjlEEPS9_SE_NS0_5tupleIJPjSE_EEENSF_IJSE_SE_EEES9_SG_JZNS1_25segmented_radix_sort_implINS0_14default_configELb0EPKsPsPKlPlN2at6native12_GLOBAL__N_18offset_tEEE10hipError_tPvRmT1_PNSt15iterator_traitsISY_E10value_typeET2_T3_PNSZ_IS14_E10value_typeET4_jRbjT5_S1A_jjP12ihipStream_tbEUljE_EEESV_SW_SX_S14_S18_S1A_T6_T7_T9_mT8_S1C_bDpT10_ENKUlT_T0_E_clISt17integral_constantIbLb1EES1O_IbLb0EEEEDaS1K_S1L_EUlS1K_E_NS1_11comp_targetILNS1_3genE8ELNS1_11target_archE1030ELNS1_3gpuE2ELNS1_3repE0EEENS1_30default_config_static_selectorELNS0_4arch9wavefront6targetE0EEEvSY_, .Lfunc_end998-_ZN7rocprim17ROCPRIM_400000_NS6detail17trampoline_kernelINS0_13select_configILj256ELj13ELNS0_17block_load_methodE3ELS4_3ELS4_3ELNS0_20block_scan_algorithmE0ELj4294967295EEENS1_25partition_config_selectorILNS1_17partition_subalgoE3EjNS0_10empty_typeEbEEZZNS1_14partition_implILS8_3ELb0ES6_jNS0_17counting_iteratorIjlEEPS9_SE_NS0_5tupleIJPjSE_EEENSF_IJSE_SE_EEES9_SG_JZNS1_25segmented_radix_sort_implINS0_14default_configELb0EPKsPsPKlPlN2at6native12_GLOBAL__N_18offset_tEEE10hipError_tPvRmT1_PNSt15iterator_traitsISY_E10value_typeET2_T3_PNSZ_IS14_E10value_typeET4_jRbjT5_S1A_jjP12ihipStream_tbEUljE_EEESV_SW_SX_S14_S18_S1A_T6_T7_T9_mT8_S1C_bDpT10_ENKUlT_T0_E_clISt17integral_constantIbLb1EES1O_IbLb0EEEEDaS1K_S1L_EUlS1K_E_NS1_11comp_targetILNS1_3genE8ELNS1_11target_archE1030ELNS1_3gpuE2ELNS1_3repE0EEENS1_30default_config_static_selectorELNS0_4arch9wavefront6targetE0EEEvSY_
                                        ; -- End function
	.set _ZN7rocprim17ROCPRIM_400000_NS6detail17trampoline_kernelINS0_13select_configILj256ELj13ELNS0_17block_load_methodE3ELS4_3ELS4_3ELNS0_20block_scan_algorithmE0ELj4294967295EEENS1_25partition_config_selectorILNS1_17partition_subalgoE3EjNS0_10empty_typeEbEEZZNS1_14partition_implILS8_3ELb0ES6_jNS0_17counting_iteratorIjlEEPS9_SE_NS0_5tupleIJPjSE_EEENSF_IJSE_SE_EEES9_SG_JZNS1_25segmented_radix_sort_implINS0_14default_configELb0EPKsPsPKlPlN2at6native12_GLOBAL__N_18offset_tEEE10hipError_tPvRmT1_PNSt15iterator_traitsISY_E10value_typeET2_T3_PNSZ_IS14_E10value_typeET4_jRbjT5_S1A_jjP12ihipStream_tbEUljE_EEESV_SW_SX_S14_S18_S1A_T6_T7_T9_mT8_S1C_bDpT10_ENKUlT_T0_E_clISt17integral_constantIbLb1EES1O_IbLb0EEEEDaS1K_S1L_EUlS1K_E_NS1_11comp_targetILNS1_3genE8ELNS1_11target_archE1030ELNS1_3gpuE2ELNS1_3repE0EEENS1_30default_config_static_selectorELNS0_4arch9wavefront6targetE0EEEvSY_.num_vgpr, 0
	.set _ZN7rocprim17ROCPRIM_400000_NS6detail17trampoline_kernelINS0_13select_configILj256ELj13ELNS0_17block_load_methodE3ELS4_3ELS4_3ELNS0_20block_scan_algorithmE0ELj4294967295EEENS1_25partition_config_selectorILNS1_17partition_subalgoE3EjNS0_10empty_typeEbEEZZNS1_14partition_implILS8_3ELb0ES6_jNS0_17counting_iteratorIjlEEPS9_SE_NS0_5tupleIJPjSE_EEENSF_IJSE_SE_EEES9_SG_JZNS1_25segmented_radix_sort_implINS0_14default_configELb0EPKsPsPKlPlN2at6native12_GLOBAL__N_18offset_tEEE10hipError_tPvRmT1_PNSt15iterator_traitsISY_E10value_typeET2_T3_PNSZ_IS14_E10value_typeET4_jRbjT5_S1A_jjP12ihipStream_tbEUljE_EEESV_SW_SX_S14_S18_S1A_T6_T7_T9_mT8_S1C_bDpT10_ENKUlT_T0_E_clISt17integral_constantIbLb1EES1O_IbLb0EEEEDaS1K_S1L_EUlS1K_E_NS1_11comp_targetILNS1_3genE8ELNS1_11target_archE1030ELNS1_3gpuE2ELNS1_3repE0EEENS1_30default_config_static_selectorELNS0_4arch9wavefront6targetE0EEEvSY_.num_agpr, 0
	.set _ZN7rocprim17ROCPRIM_400000_NS6detail17trampoline_kernelINS0_13select_configILj256ELj13ELNS0_17block_load_methodE3ELS4_3ELS4_3ELNS0_20block_scan_algorithmE0ELj4294967295EEENS1_25partition_config_selectorILNS1_17partition_subalgoE3EjNS0_10empty_typeEbEEZZNS1_14partition_implILS8_3ELb0ES6_jNS0_17counting_iteratorIjlEEPS9_SE_NS0_5tupleIJPjSE_EEENSF_IJSE_SE_EEES9_SG_JZNS1_25segmented_radix_sort_implINS0_14default_configELb0EPKsPsPKlPlN2at6native12_GLOBAL__N_18offset_tEEE10hipError_tPvRmT1_PNSt15iterator_traitsISY_E10value_typeET2_T3_PNSZ_IS14_E10value_typeET4_jRbjT5_S1A_jjP12ihipStream_tbEUljE_EEESV_SW_SX_S14_S18_S1A_T6_T7_T9_mT8_S1C_bDpT10_ENKUlT_T0_E_clISt17integral_constantIbLb1EES1O_IbLb0EEEEDaS1K_S1L_EUlS1K_E_NS1_11comp_targetILNS1_3genE8ELNS1_11target_archE1030ELNS1_3gpuE2ELNS1_3repE0EEENS1_30default_config_static_selectorELNS0_4arch9wavefront6targetE0EEEvSY_.numbered_sgpr, 0
	.set _ZN7rocprim17ROCPRIM_400000_NS6detail17trampoline_kernelINS0_13select_configILj256ELj13ELNS0_17block_load_methodE3ELS4_3ELS4_3ELNS0_20block_scan_algorithmE0ELj4294967295EEENS1_25partition_config_selectorILNS1_17partition_subalgoE3EjNS0_10empty_typeEbEEZZNS1_14partition_implILS8_3ELb0ES6_jNS0_17counting_iteratorIjlEEPS9_SE_NS0_5tupleIJPjSE_EEENSF_IJSE_SE_EEES9_SG_JZNS1_25segmented_radix_sort_implINS0_14default_configELb0EPKsPsPKlPlN2at6native12_GLOBAL__N_18offset_tEEE10hipError_tPvRmT1_PNSt15iterator_traitsISY_E10value_typeET2_T3_PNSZ_IS14_E10value_typeET4_jRbjT5_S1A_jjP12ihipStream_tbEUljE_EEESV_SW_SX_S14_S18_S1A_T6_T7_T9_mT8_S1C_bDpT10_ENKUlT_T0_E_clISt17integral_constantIbLb1EES1O_IbLb0EEEEDaS1K_S1L_EUlS1K_E_NS1_11comp_targetILNS1_3genE8ELNS1_11target_archE1030ELNS1_3gpuE2ELNS1_3repE0EEENS1_30default_config_static_selectorELNS0_4arch9wavefront6targetE0EEEvSY_.num_named_barrier, 0
	.set _ZN7rocprim17ROCPRIM_400000_NS6detail17trampoline_kernelINS0_13select_configILj256ELj13ELNS0_17block_load_methodE3ELS4_3ELS4_3ELNS0_20block_scan_algorithmE0ELj4294967295EEENS1_25partition_config_selectorILNS1_17partition_subalgoE3EjNS0_10empty_typeEbEEZZNS1_14partition_implILS8_3ELb0ES6_jNS0_17counting_iteratorIjlEEPS9_SE_NS0_5tupleIJPjSE_EEENSF_IJSE_SE_EEES9_SG_JZNS1_25segmented_radix_sort_implINS0_14default_configELb0EPKsPsPKlPlN2at6native12_GLOBAL__N_18offset_tEEE10hipError_tPvRmT1_PNSt15iterator_traitsISY_E10value_typeET2_T3_PNSZ_IS14_E10value_typeET4_jRbjT5_S1A_jjP12ihipStream_tbEUljE_EEESV_SW_SX_S14_S18_S1A_T6_T7_T9_mT8_S1C_bDpT10_ENKUlT_T0_E_clISt17integral_constantIbLb1EES1O_IbLb0EEEEDaS1K_S1L_EUlS1K_E_NS1_11comp_targetILNS1_3genE8ELNS1_11target_archE1030ELNS1_3gpuE2ELNS1_3repE0EEENS1_30default_config_static_selectorELNS0_4arch9wavefront6targetE0EEEvSY_.private_seg_size, 0
	.set _ZN7rocprim17ROCPRIM_400000_NS6detail17trampoline_kernelINS0_13select_configILj256ELj13ELNS0_17block_load_methodE3ELS4_3ELS4_3ELNS0_20block_scan_algorithmE0ELj4294967295EEENS1_25partition_config_selectorILNS1_17partition_subalgoE3EjNS0_10empty_typeEbEEZZNS1_14partition_implILS8_3ELb0ES6_jNS0_17counting_iteratorIjlEEPS9_SE_NS0_5tupleIJPjSE_EEENSF_IJSE_SE_EEES9_SG_JZNS1_25segmented_radix_sort_implINS0_14default_configELb0EPKsPsPKlPlN2at6native12_GLOBAL__N_18offset_tEEE10hipError_tPvRmT1_PNSt15iterator_traitsISY_E10value_typeET2_T3_PNSZ_IS14_E10value_typeET4_jRbjT5_S1A_jjP12ihipStream_tbEUljE_EEESV_SW_SX_S14_S18_S1A_T6_T7_T9_mT8_S1C_bDpT10_ENKUlT_T0_E_clISt17integral_constantIbLb1EES1O_IbLb0EEEEDaS1K_S1L_EUlS1K_E_NS1_11comp_targetILNS1_3genE8ELNS1_11target_archE1030ELNS1_3gpuE2ELNS1_3repE0EEENS1_30default_config_static_selectorELNS0_4arch9wavefront6targetE0EEEvSY_.uses_vcc, 0
	.set _ZN7rocprim17ROCPRIM_400000_NS6detail17trampoline_kernelINS0_13select_configILj256ELj13ELNS0_17block_load_methodE3ELS4_3ELS4_3ELNS0_20block_scan_algorithmE0ELj4294967295EEENS1_25partition_config_selectorILNS1_17partition_subalgoE3EjNS0_10empty_typeEbEEZZNS1_14partition_implILS8_3ELb0ES6_jNS0_17counting_iteratorIjlEEPS9_SE_NS0_5tupleIJPjSE_EEENSF_IJSE_SE_EEES9_SG_JZNS1_25segmented_radix_sort_implINS0_14default_configELb0EPKsPsPKlPlN2at6native12_GLOBAL__N_18offset_tEEE10hipError_tPvRmT1_PNSt15iterator_traitsISY_E10value_typeET2_T3_PNSZ_IS14_E10value_typeET4_jRbjT5_S1A_jjP12ihipStream_tbEUljE_EEESV_SW_SX_S14_S18_S1A_T6_T7_T9_mT8_S1C_bDpT10_ENKUlT_T0_E_clISt17integral_constantIbLb1EES1O_IbLb0EEEEDaS1K_S1L_EUlS1K_E_NS1_11comp_targetILNS1_3genE8ELNS1_11target_archE1030ELNS1_3gpuE2ELNS1_3repE0EEENS1_30default_config_static_selectorELNS0_4arch9wavefront6targetE0EEEvSY_.uses_flat_scratch, 0
	.set _ZN7rocprim17ROCPRIM_400000_NS6detail17trampoline_kernelINS0_13select_configILj256ELj13ELNS0_17block_load_methodE3ELS4_3ELS4_3ELNS0_20block_scan_algorithmE0ELj4294967295EEENS1_25partition_config_selectorILNS1_17partition_subalgoE3EjNS0_10empty_typeEbEEZZNS1_14partition_implILS8_3ELb0ES6_jNS0_17counting_iteratorIjlEEPS9_SE_NS0_5tupleIJPjSE_EEENSF_IJSE_SE_EEES9_SG_JZNS1_25segmented_radix_sort_implINS0_14default_configELb0EPKsPsPKlPlN2at6native12_GLOBAL__N_18offset_tEEE10hipError_tPvRmT1_PNSt15iterator_traitsISY_E10value_typeET2_T3_PNSZ_IS14_E10value_typeET4_jRbjT5_S1A_jjP12ihipStream_tbEUljE_EEESV_SW_SX_S14_S18_S1A_T6_T7_T9_mT8_S1C_bDpT10_ENKUlT_T0_E_clISt17integral_constantIbLb1EES1O_IbLb0EEEEDaS1K_S1L_EUlS1K_E_NS1_11comp_targetILNS1_3genE8ELNS1_11target_archE1030ELNS1_3gpuE2ELNS1_3repE0EEENS1_30default_config_static_selectorELNS0_4arch9wavefront6targetE0EEEvSY_.has_dyn_sized_stack, 0
	.set _ZN7rocprim17ROCPRIM_400000_NS6detail17trampoline_kernelINS0_13select_configILj256ELj13ELNS0_17block_load_methodE3ELS4_3ELS4_3ELNS0_20block_scan_algorithmE0ELj4294967295EEENS1_25partition_config_selectorILNS1_17partition_subalgoE3EjNS0_10empty_typeEbEEZZNS1_14partition_implILS8_3ELb0ES6_jNS0_17counting_iteratorIjlEEPS9_SE_NS0_5tupleIJPjSE_EEENSF_IJSE_SE_EEES9_SG_JZNS1_25segmented_radix_sort_implINS0_14default_configELb0EPKsPsPKlPlN2at6native12_GLOBAL__N_18offset_tEEE10hipError_tPvRmT1_PNSt15iterator_traitsISY_E10value_typeET2_T3_PNSZ_IS14_E10value_typeET4_jRbjT5_S1A_jjP12ihipStream_tbEUljE_EEESV_SW_SX_S14_S18_S1A_T6_T7_T9_mT8_S1C_bDpT10_ENKUlT_T0_E_clISt17integral_constantIbLb1EES1O_IbLb0EEEEDaS1K_S1L_EUlS1K_E_NS1_11comp_targetILNS1_3genE8ELNS1_11target_archE1030ELNS1_3gpuE2ELNS1_3repE0EEENS1_30default_config_static_selectorELNS0_4arch9wavefront6targetE0EEEvSY_.has_recursion, 0
	.set _ZN7rocprim17ROCPRIM_400000_NS6detail17trampoline_kernelINS0_13select_configILj256ELj13ELNS0_17block_load_methodE3ELS4_3ELS4_3ELNS0_20block_scan_algorithmE0ELj4294967295EEENS1_25partition_config_selectorILNS1_17partition_subalgoE3EjNS0_10empty_typeEbEEZZNS1_14partition_implILS8_3ELb0ES6_jNS0_17counting_iteratorIjlEEPS9_SE_NS0_5tupleIJPjSE_EEENSF_IJSE_SE_EEES9_SG_JZNS1_25segmented_radix_sort_implINS0_14default_configELb0EPKsPsPKlPlN2at6native12_GLOBAL__N_18offset_tEEE10hipError_tPvRmT1_PNSt15iterator_traitsISY_E10value_typeET2_T3_PNSZ_IS14_E10value_typeET4_jRbjT5_S1A_jjP12ihipStream_tbEUljE_EEESV_SW_SX_S14_S18_S1A_T6_T7_T9_mT8_S1C_bDpT10_ENKUlT_T0_E_clISt17integral_constantIbLb1EES1O_IbLb0EEEEDaS1K_S1L_EUlS1K_E_NS1_11comp_targetILNS1_3genE8ELNS1_11target_archE1030ELNS1_3gpuE2ELNS1_3repE0EEENS1_30default_config_static_selectorELNS0_4arch9wavefront6targetE0EEEvSY_.has_indirect_call, 0
	.section	.AMDGPU.csdata,"",@progbits
; Kernel info:
; codeLenInByte = 4
; TotalNumSgprs: 0
; NumVgprs: 0
; ScratchSize: 0
; MemoryBound: 0
; FloatMode: 240
; IeeeMode: 1
; LDSByteSize: 0 bytes/workgroup (compile time only)
; SGPRBlocks: 0
; VGPRBlocks: 0
; NumSGPRsForWavesPerEU: 1
; NumVGPRsForWavesPerEU: 1
; Occupancy: 16
; WaveLimiterHint : 0
; COMPUTE_PGM_RSRC2:SCRATCH_EN: 0
; COMPUTE_PGM_RSRC2:USER_SGPR: 6
; COMPUTE_PGM_RSRC2:TRAP_HANDLER: 0
; COMPUTE_PGM_RSRC2:TGID_X_EN: 1
; COMPUTE_PGM_RSRC2:TGID_Y_EN: 0
; COMPUTE_PGM_RSRC2:TGID_Z_EN: 0
; COMPUTE_PGM_RSRC2:TIDIG_COMP_CNT: 0
	.section	.text._ZN7rocprim17ROCPRIM_400000_NS6detail17trampoline_kernelINS0_13select_configILj256ELj13ELNS0_17block_load_methodE3ELS4_3ELS4_3ELNS0_20block_scan_algorithmE0ELj4294967295EEENS1_25partition_config_selectorILNS1_17partition_subalgoE3EjNS0_10empty_typeEbEEZZNS1_14partition_implILS8_3ELb0ES6_jNS0_17counting_iteratorIjlEEPS9_SE_NS0_5tupleIJPjSE_EEENSF_IJSE_SE_EEES9_SG_JZNS1_25segmented_radix_sort_implINS0_14default_configELb0EPKsPsPKlPlN2at6native12_GLOBAL__N_18offset_tEEE10hipError_tPvRmT1_PNSt15iterator_traitsISY_E10value_typeET2_T3_PNSZ_IS14_E10value_typeET4_jRbjT5_S1A_jjP12ihipStream_tbEUljE_EEESV_SW_SX_S14_S18_S1A_T6_T7_T9_mT8_S1C_bDpT10_ENKUlT_T0_E_clISt17integral_constantIbLb0EES1O_IbLb1EEEEDaS1K_S1L_EUlS1K_E_NS1_11comp_targetILNS1_3genE0ELNS1_11target_archE4294967295ELNS1_3gpuE0ELNS1_3repE0EEENS1_30default_config_static_selectorELNS0_4arch9wavefront6targetE0EEEvSY_,"axG",@progbits,_ZN7rocprim17ROCPRIM_400000_NS6detail17trampoline_kernelINS0_13select_configILj256ELj13ELNS0_17block_load_methodE3ELS4_3ELS4_3ELNS0_20block_scan_algorithmE0ELj4294967295EEENS1_25partition_config_selectorILNS1_17partition_subalgoE3EjNS0_10empty_typeEbEEZZNS1_14partition_implILS8_3ELb0ES6_jNS0_17counting_iteratorIjlEEPS9_SE_NS0_5tupleIJPjSE_EEENSF_IJSE_SE_EEES9_SG_JZNS1_25segmented_radix_sort_implINS0_14default_configELb0EPKsPsPKlPlN2at6native12_GLOBAL__N_18offset_tEEE10hipError_tPvRmT1_PNSt15iterator_traitsISY_E10value_typeET2_T3_PNSZ_IS14_E10value_typeET4_jRbjT5_S1A_jjP12ihipStream_tbEUljE_EEESV_SW_SX_S14_S18_S1A_T6_T7_T9_mT8_S1C_bDpT10_ENKUlT_T0_E_clISt17integral_constantIbLb0EES1O_IbLb1EEEEDaS1K_S1L_EUlS1K_E_NS1_11comp_targetILNS1_3genE0ELNS1_11target_archE4294967295ELNS1_3gpuE0ELNS1_3repE0EEENS1_30default_config_static_selectorELNS0_4arch9wavefront6targetE0EEEvSY_,comdat
	.globl	_ZN7rocprim17ROCPRIM_400000_NS6detail17trampoline_kernelINS0_13select_configILj256ELj13ELNS0_17block_load_methodE3ELS4_3ELS4_3ELNS0_20block_scan_algorithmE0ELj4294967295EEENS1_25partition_config_selectorILNS1_17partition_subalgoE3EjNS0_10empty_typeEbEEZZNS1_14partition_implILS8_3ELb0ES6_jNS0_17counting_iteratorIjlEEPS9_SE_NS0_5tupleIJPjSE_EEENSF_IJSE_SE_EEES9_SG_JZNS1_25segmented_radix_sort_implINS0_14default_configELb0EPKsPsPKlPlN2at6native12_GLOBAL__N_18offset_tEEE10hipError_tPvRmT1_PNSt15iterator_traitsISY_E10value_typeET2_T3_PNSZ_IS14_E10value_typeET4_jRbjT5_S1A_jjP12ihipStream_tbEUljE_EEESV_SW_SX_S14_S18_S1A_T6_T7_T9_mT8_S1C_bDpT10_ENKUlT_T0_E_clISt17integral_constantIbLb0EES1O_IbLb1EEEEDaS1K_S1L_EUlS1K_E_NS1_11comp_targetILNS1_3genE0ELNS1_11target_archE4294967295ELNS1_3gpuE0ELNS1_3repE0EEENS1_30default_config_static_selectorELNS0_4arch9wavefront6targetE0EEEvSY_ ; -- Begin function _ZN7rocprim17ROCPRIM_400000_NS6detail17trampoline_kernelINS0_13select_configILj256ELj13ELNS0_17block_load_methodE3ELS4_3ELS4_3ELNS0_20block_scan_algorithmE0ELj4294967295EEENS1_25partition_config_selectorILNS1_17partition_subalgoE3EjNS0_10empty_typeEbEEZZNS1_14partition_implILS8_3ELb0ES6_jNS0_17counting_iteratorIjlEEPS9_SE_NS0_5tupleIJPjSE_EEENSF_IJSE_SE_EEES9_SG_JZNS1_25segmented_radix_sort_implINS0_14default_configELb0EPKsPsPKlPlN2at6native12_GLOBAL__N_18offset_tEEE10hipError_tPvRmT1_PNSt15iterator_traitsISY_E10value_typeET2_T3_PNSZ_IS14_E10value_typeET4_jRbjT5_S1A_jjP12ihipStream_tbEUljE_EEESV_SW_SX_S14_S18_S1A_T6_T7_T9_mT8_S1C_bDpT10_ENKUlT_T0_E_clISt17integral_constantIbLb0EES1O_IbLb1EEEEDaS1K_S1L_EUlS1K_E_NS1_11comp_targetILNS1_3genE0ELNS1_11target_archE4294967295ELNS1_3gpuE0ELNS1_3repE0EEENS1_30default_config_static_selectorELNS0_4arch9wavefront6targetE0EEEvSY_
	.p2align	8
	.type	_ZN7rocprim17ROCPRIM_400000_NS6detail17trampoline_kernelINS0_13select_configILj256ELj13ELNS0_17block_load_methodE3ELS4_3ELS4_3ELNS0_20block_scan_algorithmE0ELj4294967295EEENS1_25partition_config_selectorILNS1_17partition_subalgoE3EjNS0_10empty_typeEbEEZZNS1_14partition_implILS8_3ELb0ES6_jNS0_17counting_iteratorIjlEEPS9_SE_NS0_5tupleIJPjSE_EEENSF_IJSE_SE_EEES9_SG_JZNS1_25segmented_radix_sort_implINS0_14default_configELb0EPKsPsPKlPlN2at6native12_GLOBAL__N_18offset_tEEE10hipError_tPvRmT1_PNSt15iterator_traitsISY_E10value_typeET2_T3_PNSZ_IS14_E10value_typeET4_jRbjT5_S1A_jjP12ihipStream_tbEUljE_EEESV_SW_SX_S14_S18_S1A_T6_T7_T9_mT8_S1C_bDpT10_ENKUlT_T0_E_clISt17integral_constantIbLb0EES1O_IbLb1EEEEDaS1K_S1L_EUlS1K_E_NS1_11comp_targetILNS1_3genE0ELNS1_11target_archE4294967295ELNS1_3gpuE0ELNS1_3repE0EEENS1_30default_config_static_selectorELNS0_4arch9wavefront6targetE0EEEvSY_,@function
_ZN7rocprim17ROCPRIM_400000_NS6detail17trampoline_kernelINS0_13select_configILj256ELj13ELNS0_17block_load_methodE3ELS4_3ELS4_3ELNS0_20block_scan_algorithmE0ELj4294967295EEENS1_25partition_config_selectorILNS1_17partition_subalgoE3EjNS0_10empty_typeEbEEZZNS1_14partition_implILS8_3ELb0ES6_jNS0_17counting_iteratorIjlEEPS9_SE_NS0_5tupleIJPjSE_EEENSF_IJSE_SE_EEES9_SG_JZNS1_25segmented_radix_sort_implINS0_14default_configELb0EPKsPsPKlPlN2at6native12_GLOBAL__N_18offset_tEEE10hipError_tPvRmT1_PNSt15iterator_traitsISY_E10value_typeET2_T3_PNSZ_IS14_E10value_typeET4_jRbjT5_S1A_jjP12ihipStream_tbEUljE_EEESV_SW_SX_S14_S18_S1A_T6_T7_T9_mT8_S1C_bDpT10_ENKUlT_T0_E_clISt17integral_constantIbLb0EES1O_IbLb1EEEEDaS1K_S1L_EUlS1K_E_NS1_11comp_targetILNS1_3genE0ELNS1_11target_archE4294967295ELNS1_3gpuE0ELNS1_3repE0EEENS1_30default_config_static_selectorELNS0_4arch9wavefront6targetE0EEEvSY_: ; @_ZN7rocprim17ROCPRIM_400000_NS6detail17trampoline_kernelINS0_13select_configILj256ELj13ELNS0_17block_load_methodE3ELS4_3ELS4_3ELNS0_20block_scan_algorithmE0ELj4294967295EEENS1_25partition_config_selectorILNS1_17partition_subalgoE3EjNS0_10empty_typeEbEEZZNS1_14partition_implILS8_3ELb0ES6_jNS0_17counting_iteratorIjlEEPS9_SE_NS0_5tupleIJPjSE_EEENSF_IJSE_SE_EEES9_SG_JZNS1_25segmented_radix_sort_implINS0_14default_configELb0EPKsPsPKlPlN2at6native12_GLOBAL__N_18offset_tEEE10hipError_tPvRmT1_PNSt15iterator_traitsISY_E10value_typeET2_T3_PNSZ_IS14_E10value_typeET4_jRbjT5_S1A_jjP12ihipStream_tbEUljE_EEESV_SW_SX_S14_S18_S1A_T6_T7_T9_mT8_S1C_bDpT10_ENKUlT_T0_E_clISt17integral_constantIbLb0EES1O_IbLb1EEEEDaS1K_S1L_EUlS1K_E_NS1_11comp_targetILNS1_3genE0ELNS1_11target_archE4294967295ELNS1_3gpuE0ELNS1_3repE0EEENS1_30default_config_static_selectorELNS0_4arch9wavefront6targetE0EEEvSY_
; %bb.0:
	.section	.rodata,"a",@progbits
	.p2align	6, 0x0
	.amdhsa_kernel _ZN7rocprim17ROCPRIM_400000_NS6detail17trampoline_kernelINS0_13select_configILj256ELj13ELNS0_17block_load_methodE3ELS4_3ELS4_3ELNS0_20block_scan_algorithmE0ELj4294967295EEENS1_25partition_config_selectorILNS1_17partition_subalgoE3EjNS0_10empty_typeEbEEZZNS1_14partition_implILS8_3ELb0ES6_jNS0_17counting_iteratorIjlEEPS9_SE_NS0_5tupleIJPjSE_EEENSF_IJSE_SE_EEES9_SG_JZNS1_25segmented_radix_sort_implINS0_14default_configELb0EPKsPsPKlPlN2at6native12_GLOBAL__N_18offset_tEEE10hipError_tPvRmT1_PNSt15iterator_traitsISY_E10value_typeET2_T3_PNSZ_IS14_E10value_typeET4_jRbjT5_S1A_jjP12ihipStream_tbEUljE_EEESV_SW_SX_S14_S18_S1A_T6_T7_T9_mT8_S1C_bDpT10_ENKUlT_T0_E_clISt17integral_constantIbLb0EES1O_IbLb1EEEEDaS1K_S1L_EUlS1K_E_NS1_11comp_targetILNS1_3genE0ELNS1_11target_archE4294967295ELNS1_3gpuE0ELNS1_3repE0EEENS1_30default_config_static_selectorELNS0_4arch9wavefront6targetE0EEEvSY_
		.amdhsa_group_segment_fixed_size 0
		.amdhsa_private_segment_fixed_size 0
		.amdhsa_kernarg_size 152
		.amdhsa_user_sgpr_count 6
		.amdhsa_user_sgpr_private_segment_buffer 1
		.amdhsa_user_sgpr_dispatch_ptr 0
		.amdhsa_user_sgpr_queue_ptr 0
		.amdhsa_user_sgpr_kernarg_segment_ptr 1
		.amdhsa_user_sgpr_dispatch_id 0
		.amdhsa_user_sgpr_flat_scratch_init 0
		.amdhsa_user_sgpr_private_segment_size 0
		.amdhsa_wavefront_size32 1
		.amdhsa_uses_dynamic_stack 0
		.amdhsa_system_sgpr_private_segment_wavefront_offset 0
		.amdhsa_system_sgpr_workgroup_id_x 1
		.amdhsa_system_sgpr_workgroup_id_y 0
		.amdhsa_system_sgpr_workgroup_id_z 0
		.amdhsa_system_sgpr_workgroup_info 0
		.amdhsa_system_vgpr_workitem_id 0
		.amdhsa_next_free_vgpr 1
		.amdhsa_next_free_sgpr 1
		.amdhsa_reserve_vcc 0
		.amdhsa_reserve_flat_scratch 0
		.amdhsa_float_round_mode_32 0
		.amdhsa_float_round_mode_16_64 0
		.amdhsa_float_denorm_mode_32 3
		.amdhsa_float_denorm_mode_16_64 3
		.amdhsa_dx10_clamp 1
		.amdhsa_ieee_mode 1
		.amdhsa_fp16_overflow 0
		.amdhsa_workgroup_processor_mode 1
		.amdhsa_memory_ordered 1
		.amdhsa_forward_progress 1
		.amdhsa_shared_vgpr_count 0
		.amdhsa_exception_fp_ieee_invalid_op 0
		.amdhsa_exception_fp_denorm_src 0
		.amdhsa_exception_fp_ieee_div_zero 0
		.amdhsa_exception_fp_ieee_overflow 0
		.amdhsa_exception_fp_ieee_underflow 0
		.amdhsa_exception_fp_ieee_inexact 0
		.amdhsa_exception_int_div_zero 0
	.end_amdhsa_kernel
	.section	.text._ZN7rocprim17ROCPRIM_400000_NS6detail17trampoline_kernelINS0_13select_configILj256ELj13ELNS0_17block_load_methodE3ELS4_3ELS4_3ELNS0_20block_scan_algorithmE0ELj4294967295EEENS1_25partition_config_selectorILNS1_17partition_subalgoE3EjNS0_10empty_typeEbEEZZNS1_14partition_implILS8_3ELb0ES6_jNS0_17counting_iteratorIjlEEPS9_SE_NS0_5tupleIJPjSE_EEENSF_IJSE_SE_EEES9_SG_JZNS1_25segmented_radix_sort_implINS0_14default_configELb0EPKsPsPKlPlN2at6native12_GLOBAL__N_18offset_tEEE10hipError_tPvRmT1_PNSt15iterator_traitsISY_E10value_typeET2_T3_PNSZ_IS14_E10value_typeET4_jRbjT5_S1A_jjP12ihipStream_tbEUljE_EEESV_SW_SX_S14_S18_S1A_T6_T7_T9_mT8_S1C_bDpT10_ENKUlT_T0_E_clISt17integral_constantIbLb0EES1O_IbLb1EEEEDaS1K_S1L_EUlS1K_E_NS1_11comp_targetILNS1_3genE0ELNS1_11target_archE4294967295ELNS1_3gpuE0ELNS1_3repE0EEENS1_30default_config_static_selectorELNS0_4arch9wavefront6targetE0EEEvSY_,"axG",@progbits,_ZN7rocprim17ROCPRIM_400000_NS6detail17trampoline_kernelINS0_13select_configILj256ELj13ELNS0_17block_load_methodE3ELS4_3ELS4_3ELNS0_20block_scan_algorithmE0ELj4294967295EEENS1_25partition_config_selectorILNS1_17partition_subalgoE3EjNS0_10empty_typeEbEEZZNS1_14partition_implILS8_3ELb0ES6_jNS0_17counting_iteratorIjlEEPS9_SE_NS0_5tupleIJPjSE_EEENSF_IJSE_SE_EEES9_SG_JZNS1_25segmented_radix_sort_implINS0_14default_configELb0EPKsPsPKlPlN2at6native12_GLOBAL__N_18offset_tEEE10hipError_tPvRmT1_PNSt15iterator_traitsISY_E10value_typeET2_T3_PNSZ_IS14_E10value_typeET4_jRbjT5_S1A_jjP12ihipStream_tbEUljE_EEESV_SW_SX_S14_S18_S1A_T6_T7_T9_mT8_S1C_bDpT10_ENKUlT_T0_E_clISt17integral_constantIbLb0EES1O_IbLb1EEEEDaS1K_S1L_EUlS1K_E_NS1_11comp_targetILNS1_3genE0ELNS1_11target_archE4294967295ELNS1_3gpuE0ELNS1_3repE0EEENS1_30default_config_static_selectorELNS0_4arch9wavefront6targetE0EEEvSY_,comdat
.Lfunc_end999:
	.size	_ZN7rocprim17ROCPRIM_400000_NS6detail17trampoline_kernelINS0_13select_configILj256ELj13ELNS0_17block_load_methodE3ELS4_3ELS4_3ELNS0_20block_scan_algorithmE0ELj4294967295EEENS1_25partition_config_selectorILNS1_17partition_subalgoE3EjNS0_10empty_typeEbEEZZNS1_14partition_implILS8_3ELb0ES6_jNS0_17counting_iteratorIjlEEPS9_SE_NS0_5tupleIJPjSE_EEENSF_IJSE_SE_EEES9_SG_JZNS1_25segmented_radix_sort_implINS0_14default_configELb0EPKsPsPKlPlN2at6native12_GLOBAL__N_18offset_tEEE10hipError_tPvRmT1_PNSt15iterator_traitsISY_E10value_typeET2_T3_PNSZ_IS14_E10value_typeET4_jRbjT5_S1A_jjP12ihipStream_tbEUljE_EEESV_SW_SX_S14_S18_S1A_T6_T7_T9_mT8_S1C_bDpT10_ENKUlT_T0_E_clISt17integral_constantIbLb0EES1O_IbLb1EEEEDaS1K_S1L_EUlS1K_E_NS1_11comp_targetILNS1_3genE0ELNS1_11target_archE4294967295ELNS1_3gpuE0ELNS1_3repE0EEENS1_30default_config_static_selectorELNS0_4arch9wavefront6targetE0EEEvSY_, .Lfunc_end999-_ZN7rocprim17ROCPRIM_400000_NS6detail17trampoline_kernelINS0_13select_configILj256ELj13ELNS0_17block_load_methodE3ELS4_3ELS4_3ELNS0_20block_scan_algorithmE0ELj4294967295EEENS1_25partition_config_selectorILNS1_17partition_subalgoE3EjNS0_10empty_typeEbEEZZNS1_14partition_implILS8_3ELb0ES6_jNS0_17counting_iteratorIjlEEPS9_SE_NS0_5tupleIJPjSE_EEENSF_IJSE_SE_EEES9_SG_JZNS1_25segmented_radix_sort_implINS0_14default_configELb0EPKsPsPKlPlN2at6native12_GLOBAL__N_18offset_tEEE10hipError_tPvRmT1_PNSt15iterator_traitsISY_E10value_typeET2_T3_PNSZ_IS14_E10value_typeET4_jRbjT5_S1A_jjP12ihipStream_tbEUljE_EEESV_SW_SX_S14_S18_S1A_T6_T7_T9_mT8_S1C_bDpT10_ENKUlT_T0_E_clISt17integral_constantIbLb0EES1O_IbLb1EEEEDaS1K_S1L_EUlS1K_E_NS1_11comp_targetILNS1_3genE0ELNS1_11target_archE4294967295ELNS1_3gpuE0ELNS1_3repE0EEENS1_30default_config_static_selectorELNS0_4arch9wavefront6targetE0EEEvSY_
                                        ; -- End function
	.set _ZN7rocprim17ROCPRIM_400000_NS6detail17trampoline_kernelINS0_13select_configILj256ELj13ELNS0_17block_load_methodE3ELS4_3ELS4_3ELNS0_20block_scan_algorithmE0ELj4294967295EEENS1_25partition_config_selectorILNS1_17partition_subalgoE3EjNS0_10empty_typeEbEEZZNS1_14partition_implILS8_3ELb0ES6_jNS0_17counting_iteratorIjlEEPS9_SE_NS0_5tupleIJPjSE_EEENSF_IJSE_SE_EEES9_SG_JZNS1_25segmented_radix_sort_implINS0_14default_configELb0EPKsPsPKlPlN2at6native12_GLOBAL__N_18offset_tEEE10hipError_tPvRmT1_PNSt15iterator_traitsISY_E10value_typeET2_T3_PNSZ_IS14_E10value_typeET4_jRbjT5_S1A_jjP12ihipStream_tbEUljE_EEESV_SW_SX_S14_S18_S1A_T6_T7_T9_mT8_S1C_bDpT10_ENKUlT_T0_E_clISt17integral_constantIbLb0EES1O_IbLb1EEEEDaS1K_S1L_EUlS1K_E_NS1_11comp_targetILNS1_3genE0ELNS1_11target_archE4294967295ELNS1_3gpuE0ELNS1_3repE0EEENS1_30default_config_static_selectorELNS0_4arch9wavefront6targetE0EEEvSY_.num_vgpr, 0
	.set _ZN7rocprim17ROCPRIM_400000_NS6detail17trampoline_kernelINS0_13select_configILj256ELj13ELNS0_17block_load_methodE3ELS4_3ELS4_3ELNS0_20block_scan_algorithmE0ELj4294967295EEENS1_25partition_config_selectorILNS1_17partition_subalgoE3EjNS0_10empty_typeEbEEZZNS1_14partition_implILS8_3ELb0ES6_jNS0_17counting_iteratorIjlEEPS9_SE_NS0_5tupleIJPjSE_EEENSF_IJSE_SE_EEES9_SG_JZNS1_25segmented_radix_sort_implINS0_14default_configELb0EPKsPsPKlPlN2at6native12_GLOBAL__N_18offset_tEEE10hipError_tPvRmT1_PNSt15iterator_traitsISY_E10value_typeET2_T3_PNSZ_IS14_E10value_typeET4_jRbjT5_S1A_jjP12ihipStream_tbEUljE_EEESV_SW_SX_S14_S18_S1A_T6_T7_T9_mT8_S1C_bDpT10_ENKUlT_T0_E_clISt17integral_constantIbLb0EES1O_IbLb1EEEEDaS1K_S1L_EUlS1K_E_NS1_11comp_targetILNS1_3genE0ELNS1_11target_archE4294967295ELNS1_3gpuE0ELNS1_3repE0EEENS1_30default_config_static_selectorELNS0_4arch9wavefront6targetE0EEEvSY_.num_agpr, 0
	.set _ZN7rocprim17ROCPRIM_400000_NS6detail17trampoline_kernelINS0_13select_configILj256ELj13ELNS0_17block_load_methodE3ELS4_3ELS4_3ELNS0_20block_scan_algorithmE0ELj4294967295EEENS1_25partition_config_selectorILNS1_17partition_subalgoE3EjNS0_10empty_typeEbEEZZNS1_14partition_implILS8_3ELb0ES6_jNS0_17counting_iteratorIjlEEPS9_SE_NS0_5tupleIJPjSE_EEENSF_IJSE_SE_EEES9_SG_JZNS1_25segmented_radix_sort_implINS0_14default_configELb0EPKsPsPKlPlN2at6native12_GLOBAL__N_18offset_tEEE10hipError_tPvRmT1_PNSt15iterator_traitsISY_E10value_typeET2_T3_PNSZ_IS14_E10value_typeET4_jRbjT5_S1A_jjP12ihipStream_tbEUljE_EEESV_SW_SX_S14_S18_S1A_T6_T7_T9_mT8_S1C_bDpT10_ENKUlT_T0_E_clISt17integral_constantIbLb0EES1O_IbLb1EEEEDaS1K_S1L_EUlS1K_E_NS1_11comp_targetILNS1_3genE0ELNS1_11target_archE4294967295ELNS1_3gpuE0ELNS1_3repE0EEENS1_30default_config_static_selectorELNS0_4arch9wavefront6targetE0EEEvSY_.numbered_sgpr, 0
	.set _ZN7rocprim17ROCPRIM_400000_NS6detail17trampoline_kernelINS0_13select_configILj256ELj13ELNS0_17block_load_methodE3ELS4_3ELS4_3ELNS0_20block_scan_algorithmE0ELj4294967295EEENS1_25partition_config_selectorILNS1_17partition_subalgoE3EjNS0_10empty_typeEbEEZZNS1_14partition_implILS8_3ELb0ES6_jNS0_17counting_iteratorIjlEEPS9_SE_NS0_5tupleIJPjSE_EEENSF_IJSE_SE_EEES9_SG_JZNS1_25segmented_radix_sort_implINS0_14default_configELb0EPKsPsPKlPlN2at6native12_GLOBAL__N_18offset_tEEE10hipError_tPvRmT1_PNSt15iterator_traitsISY_E10value_typeET2_T3_PNSZ_IS14_E10value_typeET4_jRbjT5_S1A_jjP12ihipStream_tbEUljE_EEESV_SW_SX_S14_S18_S1A_T6_T7_T9_mT8_S1C_bDpT10_ENKUlT_T0_E_clISt17integral_constantIbLb0EES1O_IbLb1EEEEDaS1K_S1L_EUlS1K_E_NS1_11comp_targetILNS1_3genE0ELNS1_11target_archE4294967295ELNS1_3gpuE0ELNS1_3repE0EEENS1_30default_config_static_selectorELNS0_4arch9wavefront6targetE0EEEvSY_.num_named_barrier, 0
	.set _ZN7rocprim17ROCPRIM_400000_NS6detail17trampoline_kernelINS0_13select_configILj256ELj13ELNS0_17block_load_methodE3ELS4_3ELS4_3ELNS0_20block_scan_algorithmE0ELj4294967295EEENS1_25partition_config_selectorILNS1_17partition_subalgoE3EjNS0_10empty_typeEbEEZZNS1_14partition_implILS8_3ELb0ES6_jNS0_17counting_iteratorIjlEEPS9_SE_NS0_5tupleIJPjSE_EEENSF_IJSE_SE_EEES9_SG_JZNS1_25segmented_radix_sort_implINS0_14default_configELb0EPKsPsPKlPlN2at6native12_GLOBAL__N_18offset_tEEE10hipError_tPvRmT1_PNSt15iterator_traitsISY_E10value_typeET2_T3_PNSZ_IS14_E10value_typeET4_jRbjT5_S1A_jjP12ihipStream_tbEUljE_EEESV_SW_SX_S14_S18_S1A_T6_T7_T9_mT8_S1C_bDpT10_ENKUlT_T0_E_clISt17integral_constantIbLb0EES1O_IbLb1EEEEDaS1K_S1L_EUlS1K_E_NS1_11comp_targetILNS1_3genE0ELNS1_11target_archE4294967295ELNS1_3gpuE0ELNS1_3repE0EEENS1_30default_config_static_selectorELNS0_4arch9wavefront6targetE0EEEvSY_.private_seg_size, 0
	.set _ZN7rocprim17ROCPRIM_400000_NS6detail17trampoline_kernelINS0_13select_configILj256ELj13ELNS0_17block_load_methodE3ELS4_3ELS4_3ELNS0_20block_scan_algorithmE0ELj4294967295EEENS1_25partition_config_selectorILNS1_17partition_subalgoE3EjNS0_10empty_typeEbEEZZNS1_14partition_implILS8_3ELb0ES6_jNS0_17counting_iteratorIjlEEPS9_SE_NS0_5tupleIJPjSE_EEENSF_IJSE_SE_EEES9_SG_JZNS1_25segmented_radix_sort_implINS0_14default_configELb0EPKsPsPKlPlN2at6native12_GLOBAL__N_18offset_tEEE10hipError_tPvRmT1_PNSt15iterator_traitsISY_E10value_typeET2_T3_PNSZ_IS14_E10value_typeET4_jRbjT5_S1A_jjP12ihipStream_tbEUljE_EEESV_SW_SX_S14_S18_S1A_T6_T7_T9_mT8_S1C_bDpT10_ENKUlT_T0_E_clISt17integral_constantIbLb0EES1O_IbLb1EEEEDaS1K_S1L_EUlS1K_E_NS1_11comp_targetILNS1_3genE0ELNS1_11target_archE4294967295ELNS1_3gpuE0ELNS1_3repE0EEENS1_30default_config_static_selectorELNS0_4arch9wavefront6targetE0EEEvSY_.uses_vcc, 0
	.set _ZN7rocprim17ROCPRIM_400000_NS6detail17trampoline_kernelINS0_13select_configILj256ELj13ELNS0_17block_load_methodE3ELS4_3ELS4_3ELNS0_20block_scan_algorithmE0ELj4294967295EEENS1_25partition_config_selectorILNS1_17partition_subalgoE3EjNS0_10empty_typeEbEEZZNS1_14partition_implILS8_3ELb0ES6_jNS0_17counting_iteratorIjlEEPS9_SE_NS0_5tupleIJPjSE_EEENSF_IJSE_SE_EEES9_SG_JZNS1_25segmented_radix_sort_implINS0_14default_configELb0EPKsPsPKlPlN2at6native12_GLOBAL__N_18offset_tEEE10hipError_tPvRmT1_PNSt15iterator_traitsISY_E10value_typeET2_T3_PNSZ_IS14_E10value_typeET4_jRbjT5_S1A_jjP12ihipStream_tbEUljE_EEESV_SW_SX_S14_S18_S1A_T6_T7_T9_mT8_S1C_bDpT10_ENKUlT_T0_E_clISt17integral_constantIbLb0EES1O_IbLb1EEEEDaS1K_S1L_EUlS1K_E_NS1_11comp_targetILNS1_3genE0ELNS1_11target_archE4294967295ELNS1_3gpuE0ELNS1_3repE0EEENS1_30default_config_static_selectorELNS0_4arch9wavefront6targetE0EEEvSY_.uses_flat_scratch, 0
	.set _ZN7rocprim17ROCPRIM_400000_NS6detail17trampoline_kernelINS0_13select_configILj256ELj13ELNS0_17block_load_methodE3ELS4_3ELS4_3ELNS0_20block_scan_algorithmE0ELj4294967295EEENS1_25partition_config_selectorILNS1_17partition_subalgoE3EjNS0_10empty_typeEbEEZZNS1_14partition_implILS8_3ELb0ES6_jNS0_17counting_iteratorIjlEEPS9_SE_NS0_5tupleIJPjSE_EEENSF_IJSE_SE_EEES9_SG_JZNS1_25segmented_radix_sort_implINS0_14default_configELb0EPKsPsPKlPlN2at6native12_GLOBAL__N_18offset_tEEE10hipError_tPvRmT1_PNSt15iterator_traitsISY_E10value_typeET2_T3_PNSZ_IS14_E10value_typeET4_jRbjT5_S1A_jjP12ihipStream_tbEUljE_EEESV_SW_SX_S14_S18_S1A_T6_T7_T9_mT8_S1C_bDpT10_ENKUlT_T0_E_clISt17integral_constantIbLb0EES1O_IbLb1EEEEDaS1K_S1L_EUlS1K_E_NS1_11comp_targetILNS1_3genE0ELNS1_11target_archE4294967295ELNS1_3gpuE0ELNS1_3repE0EEENS1_30default_config_static_selectorELNS0_4arch9wavefront6targetE0EEEvSY_.has_dyn_sized_stack, 0
	.set _ZN7rocprim17ROCPRIM_400000_NS6detail17trampoline_kernelINS0_13select_configILj256ELj13ELNS0_17block_load_methodE3ELS4_3ELS4_3ELNS0_20block_scan_algorithmE0ELj4294967295EEENS1_25partition_config_selectorILNS1_17partition_subalgoE3EjNS0_10empty_typeEbEEZZNS1_14partition_implILS8_3ELb0ES6_jNS0_17counting_iteratorIjlEEPS9_SE_NS0_5tupleIJPjSE_EEENSF_IJSE_SE_EEES9_SG_JZNS1_25segmented_radix_sort_implINS0_14default_configELb0EPKsPsPKlPlN2at6native12_GLOBAL__N_18offset_tEEE10hipError_tPvRmT1_PNSt15iterator_traitsISY_E10value_typeET2_T3_PNSZ_IS14_E10value_typeET4_jRbjT5_S1A_jjP12ihipStream_tbEUljE_EEESV_SW_SX_S14_S18_S1A_T6_T7_T9_mT8_S1C_bDpT10_ENKUlT_T0_E_clISt17integral_constantIbLb0EES1O_IbLb1EEEEDaS1K_S1L_EUlS1K_E_NS1_11comp_targetILNS1_3genE0ELNS1_11target_archE4294967295ELNS1_3gpuE0ELNS1_3repE0EEENS1_30default_config_static_selectorELNS0_4arch9wavefront6targetE0EEEvSY_.has_recursion, 0
	.set _ZN7rocprim17ROCPRIM_400000_NS6detail17trampoline_kernelINS0_13select_configILj256ELj13ELNS0_17block_load_methodE3ELS4_3ELS4_3ELNS0_20block_scan_algorithmE0ELj4294967295EEENS1_25partition_config_selectorILNS1_17partition_subalgoE3EjNS0_10empty_typeEbEEZZNS1_14partition_implILS8_3ELb0ES6_jNS0_17counting_iteratorIjlEEPS9_SE_NS0_5tupleIJPjSE_EEENSF_IJSE_SE_EEES9_SG_JZNS1_25segmented_radix_sort_implINS0_14default_configELb0EPKsPsPKlPlN2at6native12_GLOBAL__N_18offset_tEEE10hipError_tPvRmT1_PNSt15iterator_traitsISY_E10value_typeET2_T3_PNSZ_IS14_E10value_typeET4_jRbjT5_S1A_jjP12ihipStream_tbEUljE_EEESV_SW_SX_S14_S18_S1A_T6_T7_T9_mT8_S1C_bDpT10_ENKUlT_T0_E_clISt17integral_constantIbLb0EES1O_IbLb1EEEEDaS1K_S1L_EUlS1K_E_NS1_11comp_targetILNS1_3genE0ELNS1_11target_archE4294967295ELNS1_3gpuE0ELNS1_3repE0EEENS1_30default_config_static_selectorELNS0_4arch9wavefront6targetE0EEEvSY_.has_indirect_call, 0
	.section	.AMDGPU.csdata,"",@progbits
; Kernel info:
; codeLenInByte = 0
; TotalNumSgprs: 0
; NumVgprs: 0
; ScratchSize: 0
; MemoryBound: 0
; FloatMode: 240
; IeeeMode: 1
; LDSByteSize: 0 bytes/workgroup (compile time only)
; SGPRBlocks: 0
; VGPRBlocks: 0
; NumSGPRsForWavesPerEU: 1
; NumVGPRsForWavesPerEU: 1
; Occupancy: 16
; WaveLimiterHint : 0
; COMPUTE_PGM_RSRC2:SCRATCH_EN: 0
; COMPUTE_PGM_RSRC2:USER_SGPR: 6
; COMPUTE_PGM_RSRC2:TRAP_HANDLER: 0
; COMPUTE_PGM_RSRC2:TGID_X_EN: 1
; COMPUTE_PGM_RSRC2:TGID_Y_EN: 0
; COMPUTE_PGM_RSRC2:TGID_Z_EN: 0
; COMPUTE_PGM_RSRC2:TIDIG_COMP_CNT: 0
	.section	.text._ZN7rocprim17ROCPRIM_400000_NS6detail17trampoline_kernelINS0_13select_configILj256ELj13ELNS0_17block_load_methodE3ELS4_3ELS4_3ELNS0_20block_scan_algorithmE0ELj4294967295EEENS1_25partition_config_selectorILNS1_17partition_subalgoE3EjNS0_10empty_typeEbEEZZNS1_14partition_implILS8_3ELb0ES6_jNS0_17counting_iteratorIjlEEPS9_SE_NS0_5tupleIJPjSE_EEENSF_IJSE_SE_EEES9_SG_JZNS1_25segmented_radix_sort_implINS0_14default_configELb0EPKsPsPKlPlN2at6native12_GLOBAL__N_18offset_tEEE10hipError_tPvRmT1_PNSt15iterator_traitsISY_E10value_typeET2_T3_PNSZ_IS14_E10value_typeET4_jRbjT5_S1A_jjP12ihipStream_tbEUljE_EEESV_SW_SX_S14_S18_S1A_T6_T7_T9_mT8_S1C_bDpT10_ENKUlT_T0_E_clISt17integral_constantIbLb0EES1O_IbLb1EEEEDaS1K_S1L_EUlS1K_E_NS1_11comp_targetILNS1_3genE5ELNS1_11target_archE942ELNS1_3gpuE9ELNS1_3repE0EEENS1_30default_config_static_selectorELNS0_4arch9wavefront6targetE0EEEvSY_,"axG",@progbits,_ZN7rocprim17ROCPRIM_400000_NS6detail17trampoline_kernelINS0_13select_configILj256ELj13ELNS0_17block_load_methodE3ELS4_3ELS4_3ELNS0_20block_scan_algorithmE0ELj4294967295EEENS1_25partition_config_selectorILNS1_17partition_subalgoE3EjNS0_10empty_typeEbEEZZNS1_14partition_implILS8_3ELb0ES6_jNS0_17counting_iteratorIjlEEPS9_SE_NS0_5tupleIJPjSE_EEENSF_IJSE_SE_EEES9_SG_JZNS1_25segmented_radix_sort_implINS0_14default_configELb0EPKsPsPKlPlN2at6native12_GLOBAL__N_18offset_tEEE10hipError_tPvRmT1_PNSt15iterator_traitsISY_E10value_typeET2_T3_PNSZ_IS14_E10value_typeET4_jRbjT5_S1A_jjP12ihipStream_tbEUljE_EEESV_SW_SX_S14_S18_S1A_T6_T7_T9_mT8_S1C_bDpT10_ENKUlT_T0_E_clISt17integral_constantIbLb0EES1O_IbLb1EEEEDaS1K_S1L_EUlS1K_E_NS1_11comp_targetILNS1_3genE5ELNS1_11target_archE942ELNS1_3gpuE9ELNS1_3repE0EEENS1_30default_config_static_selectorELNS0_4arch9wavefront6targetE0EEEvSY_,comdat
	.globl	_ZN7rocprim17ROCPRIM_400000_NS6detail17trampoline_kernelINS0_13select_configILj256ELj13ELNS0_17block_load_methodE3ELS4_3ELS4_3ELNS0_20block_scan_algorithmE0ELj4294967295EEENS1_25partition_config_selectorILNS1_17partition_subalgoE3EjNS0_10empty_typeEbEEZZNS1_14partition_implILS8_3ELb0ES6_jNS0_17counting_iteratorIjlEEPS9_SE_NS0_5tupleIJPjSE_EEENSF_IJSE_SE_EEES9_SG_JZNS1_25segmented_radix_sort_implINS0_14default_configELb0EPKsPsPKlPlN2at6native12_GLOBAL__N_18offset_tEEE10hipError_tPvRmT1_PNSt15iterator_traitsISY_E10value_typeET2_T3_PNSZ_IS14_E10value_typeET4_jRbjT5_S1A_jjP12ihipStream_tbEUljE_EEESV_SW_SX_S14_S18_S1A_T6_T7_T9_mT8_S1C_bDpT10_ENKUlT_T0_E_clISt17integral_constantIbLb0EES1O_IbLb1EEEEDaS1K_S1L_EUlS1K_E_NS1_11comp_targetILNS1_3genE5ELNS1_11target_archE942ELNS1_3gpuE9ELNS1_3repE0EEENS1_30default_config_static_selectorELNS0_4arch9wavefront6targetE0EEEvSY_ ; -- Begin function _ZN7rocprim17ROCPRIM_400000_NS6detail17trampoline_kernelINS0_13select_configILj256ELj13ELNS0_17block_load_methodE3ELS4_3ELS4_3ELNS0_20block_scan_algorithmE0ELj4294967295EEENS1_25partition_config_selectorILNS1_17partition_subalgoE3EjNS0_10empty_typeEbEEZZNS1_14partition_implILS8_3ELb0ES6_jNS0_17counting_iteratorIjlEEPS9_SE_NS0_5tupleIJPjSE_EEENSF_IJSE_SE_EEES9_SG_JZNS1_25segmented_radix_sort_implINS0_14default_configELb0EPKsPsPKlPlN2at6native12_GLOBAL__N_18offset_tEEE10hipError_tPvRmT1_PNSt15iterator_traitsISY_E10value_typeET2_T3_PNSZ_IS14_E10value_typeET4_jRbjT5_S1A_jjP12ihipStream_tbEUljE_EEESV_SW_SX_S14_S18_S1A_T6_T7_T9_mT8_S1C_bDpT10_ENKUlT_T0_E_clISt17integral_constantIbLb0EES1O_IbLb1EEEEDaS1K_S1L_EUlS1K_E_NS1_11comp_targetILNS1_3genE5ELNS1_11target_archE942ELNS1_3gpuE9ELNS1_3repE0EEENS1_30default_config_static_selectorELNS0_4arch9wavefront6targetE0EEEvSY_
	.p2align	8
	.type	_ZN7rocprim17ROCPRIM_400000_NS6detail17trampoline_kernelINS0_13select_configILj256ELj13ELNS0_17block_load_methodE3ELS4_3ELS4_3ELNS0_20block_scan_algorithmE0ELj4294967295EEENS1_25partition_config_selectorILNS1_17partition_subalgoE3EjNS0_10empty_typeEbEEZZNS1_14partition_implILS8_3ELb0ES6_jNS0_17counting_iteratorIjlEEPS9_SE_NS0_5tupleIJPjSE_EEENSF_IJSE_SE_EEES9_SG_JZNS1_25segmented_radix_sort_implINS0_14default_configELb0EPKsPsPKlPlN2at6native12_GLOBAL__N_18offset_tEEE10hipError_tPvRmT1_PNSt15iterator_traitsISY_E10value_typeET2_T3_PNSZ_IS14_E10value_typeET4_jRbjT5_S1A_jjP12ihipStream_tbEUljE_EEESV_SW_SX_S14_S18_S1A_T6_T7_T9_mT8_S1C_bDpT10_ENKUlT_T0_E_clISt17integral_constantIbLb0EES1O_IbLb1EEEEDaS1K_S1L_EUlS1K_E_NS1_11comp_targetILNS1_3genE5ELNS1_11target_archE942ELNS1_3gpuE9ELNS1_3repE0EEENS1_30default_config_static_selectorELNS0_4arch9wavefront6targetE0EEEvSY_,@function
_ZN7rocprim17ROCPRIM_400000_NS6detail17trampoline_kernelINS0_13select_configILj256ELj13ELNS0_17block_load_methodE3ELS4_3ELS4_3ELNS0_20block_scan_algorithmE0ELj4294967295EEENS1_25partition_config_selectorILNS1_17partition_subalgoE3EjNS0_10empty_typeEbEEZZNS1_14partition_implILS8_3ELb0ES6_jNS0_17counting_iteratorIjlEEPS9_SE_NS0_5tupleIJPjSE_EEENSF_IJSE_SE_EEES9_SG_JZNS1_25segmented_radix_sort_implINS0_14default_configELb0EPKsPsPKlPlN2at6native12_GLOBAL__N_18offset_tEEE10hipError_tPvRmT1_PNSt15iterator_traitsISY_E10value_typeET2_T3_PNSZ_IS14_E10value_typeET4_jRbjT5_S1A_jjP12ihipStream_tbEUljE_EEESV_SW_SX_S14_S18_S1A_T6_T7_T9_mT8_S1C_bDpT10_ENKUlT_T0_E_clISt17integral_constantIbLb0EES1O_IbLb1EEEEDaS1K_S1L_EUlS1K_E_NS1_11comp_targetILNS1_3genE5ELNS1_11target_archE942ELNS1_3gpuE9ELNS1_3repE0EEENS1_30default_config_static_selectorELNS0_4arch9wavefront6targetE0EEEvSY_: ; @_ZN7rocprim17ROCPRIM_400000_NS6detail17trampoline_kernelINS0_13select_configILj256ELj13ELNS0_17block_load_methodE3ELS4_3ELS4_3ELNS0_20block_scan_algorithmE0ELj4294967295EEENS1_25partition_config_selectorILNS1_17partition_subalgoE3EjNS0_10empty_typeEbEEZZNS1_14partition_implILS8_3ELb0ES6_jNS0_17counting_iteratorIjlEEPS9_SE_NS0_5tupleIJPjSE_EEENSF_IJSE_SE_EEES9_SG_JZNS1_25segmented_radix_sort_implINS0_14default_configELb0EPKsPsPKlPlN2at6native12_GLOBAL__N_18offset_tEEE10hipError_tPvRmT1_PNSt15iterator_traitsISY_E10value_typeET2_T3_PNSZ_IS14_E10value_typeET4_jRbjT5_S1A_jjP12ihipStream_tbEUljE_EEESV_SW_SX_S14_S18_S1A_T6_T7_T9_mT8_S1C_bDpT10_ENKUlT_T0_E_clISt17integral_constantIbLb0EES1O_IbLb1EEEEDaS1K_S1L_EUlS1K_E_NS1_11comp_targetILNS1_3genE5ELNS1_11target_archE942ELNS1_3gpuE9ELNS1_3repE0EEENS1_30default_config_static_selectorELNS0_4arch9wavefront6targetE0EEEvSY_
; %bb.0:
	.section	.rodata,"a",@progbits
	.p2align	6, 0x0
	.amdhsa_kernel _ZN7rocprim17ROCPRIM_400000_NS6detail17trampoline_kernelINS0_13select_configILj256ELj13ELNS0_17block_load_methodE3ELS4_3ELS4_3ELNS0_20block_scan_algorithmE0ELj4294967295EEENS1_25partition_config_selectorILNS1_17partition_subalgoE3EjNS0_10empty_typeEbEEZZNS1_14partition_implILS8_3ELb0ES6_jNS0_17counting_iteratorIjlEEPS9_SE_NS0_5tupleIJPjSE_EEENSF_IJSE_SE_EEES9_SG_JZNS1_25segmented_radix_sort_implINS0_14default_configELb0EPKsPsPKlPlN2at6native12_GLOBAL__N_18offset_tEEE10hipError_tPvRmT1_PNSt15iterator_traitsISY_E10value_typeET2_T3_PNSZ_IS14_E10value_typeET4_jRbjT5_S1A_jjP12ihipStream_tbEUljE_EEESV_SW_SX_S14_S18_S1A_T6_T7_T9_mT8_S1C_bDpT10_ENKUlT_T0_E_clISt17integral_constantIbLb0EES1O_IbLb1EEEEDaS1K_S1L_EUlS1K_E_NS1_11comp_targetILNS1_3genE5ELNS1_11target_archE942ELNS1_3gpuE9ELNS1_3repE0EEENS1_30default_config_static_selectorELNS0_4arch9wavefront6targetE0EEEvSY_
		.amdhsa_group_segment_fixed_size 0
		.amdhsa_private_segment_fixed_size 0
		.amdhsa_kernarg_size 152
		.amdhsa_user_sgpr_count 6
		.amdhsa_user_sgpr_private_segment_buffer 1
		.amdhsa_user_sgpr_dispatch_ptr 0
		.amdhsa_user_sgpr_queue_ptr 0
		.amdhsa_user_sgpr_kernarg_segment_ptr 1
		.amdhsa_user_sgpr_dispatch_id 0
		.amdhsa_user_sgpr_flat_scratch_init 0
		.amdhsa_user_sgpr_private_segment_size 0
		.amdhsa_wavefront_size32 1
		.amdhsa_uses_dynamic_stack 0
		.amdhsa_system_sgpr_private_segment_wavefront_offset 0
		.amdhsa_system_sgpr_workgroup_id_x 1
		.amdhsa_system_sgpr_workgroup_id_y 0
		.amdhsa_system_sgpr_workgroup_id_z 0
		.amdhsa_system_sgpr_workgroup_info 0
		.amdhsa_system_vgpr_workitem_id 0
		.amdhsa_next_free_vgpr 1
		.amdhsa_next_free_sgpr 1
		.amdhsa_reserve_vcc 0
		.amdhsa_reserve_flat_scratch 0
		.amdhsa_float_round_mode_32 0
		.amdhsa_float_round_mode_16_64 0
		.amdhsa_float_denorm_mode_32 3
		.amdhsa_float_denorm_mode_16_64 3
		.amdhsa_dx10_clamp 1
		.amdhsa_ieee_mode 1
		.amdhsa_fp16_overflow 0
		.amdhsa_workgroup_processor_mode 1
		.amdhsa_memory_ordered 1
		.amdhsa_forward_progress 1
		.amdhsa_shared_vgpr_count 0
		.amdhsa_exception_fp_ieee_invalid_op 0
		.amdhsa_exception_fp_denorm_src 0
		.amdhsa_exception_fp_ieee_div_zero 0
		.amdhsa_exception_fp_ieee_overflow 0
		.amdhsa_exception_fp_ieee_underflow 0
		.amdhsa_exception_fp_ieee_inexact 0
		.amdhsa_exception_int_div_zero 0
	.end_amdhsa_kernel
	.section	.text._ZN7rocprim17ROCPRIM_400000_NS6detail17trampoline_kernelINS0_13select_configILj256ELj13ELNS0_17block_load_methodE3ELS4_3ELS4_3ELNS0_20block_scan_algorithmE0ELj4294967295EEENS1_25partition_config_selectorILNS1_17partition_subalgoE3EjNS0_10empty_typeEbEEZZNS1_14partition_implILS8_3ELb0ES6_jNS0_17counting_iteratorIjlEEPS9_SE_NS0_5tupleIJPjSE_EEENSF_IJSE_SE_EEES9_SG_JZNS1_25segmented_radix_sort_implINS0_14default_configELb0EPKsPsPKlPlN2at6native12_GLOBAL__N_18offset_tEEE10hipError_tPvRmT1_PNSt15iterator_traitsISY_E10value_typeET2_T3_PNSZ_IS14_E10value_typeET4_jRbjT5_S1A_jjP12ihipStream_tbEUljE_EEESV_SW_SX_S14_S18_S1A_T6_T7_T9_mT8_S1C_bDpT10_ENKUlT_T0_E_clISt17integral_constantIbLb0EES1O_IbLb1EEEEDaS1K_S1L_EUlS1K_E_NS1_11comp_targetILNS1_3genE5ELNS1_11target_archE942ELNS1_3gpuE9ELNS1_3repE0EEENS1_30default_config_static_selectorELNS0_4arch9wavefront6targetE0EEEvSY_,"axG",@progbits,_ZN7rocprim17ROCPRIM_400000_NS6detail17trampoline_kernelINS0_13select_configILj256ELj13ELNS0_17block_load_methodE3ELS4_3ELS4_3ELNS0_20block_scan_algorithmE0ELj4294967295EEENS1_25partition_config_selectorILNS1_17partition_subalgoE3EjNS0_10empty_typeEbEEZZNS1_14partition_implILS8_3ELb0ES6_jNS0_17counting_iteratorIjlEEPS9_SE_NS0_5tupleIJPjSE_EEENSF_IJSE_SE_EEES9_SG_JZNS1_25segmented_radix_sort_implINS0_14default_configELb0EPKsPsPKlPlN2at6native12_GLOBAL__N_18offset_tEEE10hipError_tPvRmT1_PNSt15iterator_traitsISY_E10value_typeET2_T3_PNSZ_IS14_E10value_typeET4_jRbjT5_S1A_jjP12ihipStream_tbEUljE_EEESV_SW_SX_S14_S18_S1A_T6_T7_T9_mT8_S1C_bDpT10_ENKUlT_T0_E_clISt17integral_constantIbLb0EES1O_IbLb1EEEEDaS1K_S1L_EUlS1K_E_NS1_11comp_targetILNS1_3genE5ELNS1_11target_archE942ELNS1_3gpuE9ELNS1_3repE0EEENS1_30default_config_static_selectorELNS0_4arch9wavefront6targetE0EEEvSY_,comdat
.Lfunc_end1000:
	.size	_ZN7rocprim17ROCPRIM_400000_NS6detail17trampoline_kernelINS0_13select_configILj256ELj13ELNS0_17block_load_methodE3ELS4_3ELS4_3ELNS0_20block_scan_algorithmE0ELj4294967295EEENS1_25partition_config_selectorILNS1_17partition_subalgoE3EjNS0_10empty_typeEbEEZZNS1_14partition_implILS8_3ELb0ES6_jNS0_17counting_iteratorIjlEEPS9_SE_NS0_5tupleIJPjSE_EEENSF_IJSE_SE_EEES9_SG_JZNS1_25segmented_radix_sort_implINS0_14default_configELb0EPKsPsPKlPlN2at6native12_GLOBAL__N_18offset_tEEE10hipError_tPvRmT1_PNSt15iterator_traitsISY_E10value_typeET2_T3_PNSZ_IS14_E10value_typeET4_jRbjT5_S1A_jjP12ihipStream_tbEUljE_EEESV_SW_SX_S14_S18_S1A_T6_T7_T9_mT8_S1C_bDpT10_ENKUlT_T0_E_clISt17integral_constantIbLb0EES1O_IbLb1EEEEDaS1K_S1L_EUlS1K_E_NS1_11comp_targetILNS1_3genE5ELNS1_11target_archE942ELNS1_3gpuE9ELNS1_3repE0EEENS1_30default_config_static_selectorELNS0_4arch9wavefront6targetE0EEEvSY_, .Lfunc_end1000-_ZN7rocprim17ROCPRIM_400000_NS6detail17trampoline_kernelINS0_13select_configILj256ELj13ELNS0_17block_load_methodE3ELS4_3ELS4_3ELNS0_20block_scan_algorithmE0ELj4294967295EEENS1_25partition_config_selectorILNS1_17partition_subalgoE3EjNS0_10empty_typeEbEEZZNS1_14partition_implILS8_3ELb0ES6_jNS0_17counting_iteratorIjlEEPS9_SE_NS0_5tupleIJPjSE_EEENSF_IJSE_SE_EEES9_SG_JZNS1_25segmented_radix_sort_implINS0_14default_configELb0EPKsPsPKlPlN2at6native12_GLOBAL__N_18offset_tEEE10hipError_tPvRmT1_PNSt15iterator_traitsISY_E10value_typeET2_T3_PNSZ_IS14_E10value_typeET4_jRbjT5_S1A_jjP12ihipStream_tbEUljE_EEESV_SW_SX_S14_S18_S1A_T6_T7_T9_mT8_S1C_bDpT10_ENKUlT_T0_E_clISt17integral_constantIbLb0EES1O_IbLb1EEEEDaS1K_S1L_EUlS1K_E_NS1_11comp_targetILNS1_3genE5ELNS1_11target_archE942ELNS1_3gpuE9ELNS1_3repE0EEENS1_30default_config_static_selectorELNS0_4arch9wavefront6targetE0EEEvSY_
                                        ; -- End function
	.set _ZN7rocprim17ROCPRIM_400000_NS6detail17trampoline_kernelINS0_13select_configILj256ELj13ELNS0_17block_load_methodE3ELS4_3ELS4_3ELNS0_20block_scan_algorithmE0ELj4294967295EEENS1_25partition_config_selectorILNS1_17partition_subalgoE3EjNS0_10empty_typeEbEEZZNS1_14partition_implILS8_3ELb0ES6_jNS0_17counting_iteratorIjlEEPS9_SE_NS0_5tupleIJPjSE_EEENSF_IJSE_SE_EEES9_SG_JZNS1_25segmented_radix_sort_implINS0_14default_configELb0EPKsPsPKlPlN2at6native12_GLOBAL__N_18offset_tEEE10hipError_tPvRmT1_PNSt15iterator_traitsISY_E10value_typeET2_T3_PNSZ_IS14_E10value_typeET4_jRbjT5_S1A_jjP12ihipStream_tbEUljE_EEESV_SW_SX_S14_S18_S1A_T6_T7_T9_mT8_S1C_bDpT10_ENKUlT_T0_E_clISt17integral_constantIbLb0EES1O_IbLb1EEEEDaS1K_S1L_EUlS1K_E_NS1_11comp_targetILNS1_3genE5ELNS1_11target_archE942ELNS1_3gpuE9ELNS1_3repE0EEENS1_30default_config_static_selectorELNS0_4arch9wavefront6targetE0EEEvSY_.num_vgpr, 0
	.set _ZN7rocprim17ROCPRIM_400000_NS6detail17trampoline_kernelINS0_13select_configILj256ELj13ELNS0_17block_load_methodE3ELS4_3ELS4_3ELNS0_20block_scan_algorithmE0ELj4294967295EEENS1_25partition_config_selectorILNS1_17partition_subalgoE3EjNS0_10empty_typeEbEEZZNS1_14partition_implILS8_3ELb0ES6_jNS0_17counting_iteratorIjlEEPS9_SE_NS0_5tupleIJPjSE_EEENSF_IJSE_SE_EEES9_SG_JZNS1_25segmented_radix_sort_implINS0_14default_configELb0EPKsPsPKlPlN2at6native12_GLOBAL__N_18offset_tEEE10hipError_tPvRmT1_PNSt15iterator_traitsISY_E10value_typeET2_T3_PNSZ_IS14_E10value_typeET4_jRbjT5_S1A_jjP12ihipStream_tbEUljE_EEESV_SW_SX_S14_S18_S1A_T6_T7_T9_mT8_S1C_bDpT10_ENKUlT_T0_E_clISt17integral_constantIbLb0EES1O_IbLb1EEEEDaS1K_S1L_EUlS1K_E_NS1_11comp_targetILNS1_3genE5ELNS1_11target_archE942ELNS1_3gpuE9ELNS1_3repE0EEENS1_30default_config_static_selectorELNS0_4arch9wavefront6targetE0EEEvSY_.num_agpr, 0
	.set _ZN7rocprim17ROCPRIM_400000_NS6detail17trampoline_kernelINS0_13select_configILj256ELj13ELNS0_17block_load_methodE3ELS4_3ELS4_3ELNS0_20block_scan_algorithmE0ELj4294967295EEENS1_25partition_config_selectorILNS1_17partition_subalgoE3EjNS0_10empty_typeEbEEZZNS1_14partition_implILS8_3ELb0ES6_jNS0_17counting_iteratorIjlEEPS9_SE_NS0_5tupleIJPjSE_EEENSF_IJSE_SE_EEES9_SG_JZNS1_25segmented_radix_sort_implINS0_14default_configELb0EPKsPsPKlPlN2at6native12_GLOBAL__N_18offset_tEEE10hipError_tPvRmT1_PNSt15iterator_traitsISY_E10value_typeET2_T3_PNSZ_IS14_E10value_typeET4_jRbjT5_S1A_jjP12ihipStream_tbEUljE_EEESV_SW_SX_S14_S18_S1A_T6_T7_T9_mT8_S1C_bDpT10_ENKUlT_T0_E_clISt17integral_constantIbLb0EES1O_IbLb1EEEEDaS1K_S1L_EUlS1K_E_NS1_11comp_targetILNS1_3genE5ELNS1_11target_archE942ELNS1_3gpuE9ELNS1_3repE0EEENS1_30default_config_static_selectorELNS0_4arch9wavefront6targetE0EEEvSY_.numbered_sgpr, 0
	.set _ZN7rocprim17ROCPRIM_400000_NS6detail17trampoline_kernelINS0_13select_configILj256ELj13ELNS0_17block_load_methodE3ELS4_3ELS4_3ELNS0_20block_scan_algorithmE0ELj4294967295EEENS1_25partition_config_selectorILNS1_17partition_subalgoE3EjNS0_10empty_typeEbEEZZNS1_14partition_implILS8_3ELb0ES6_jNS0_17counting_iteratorIjlEEPS9_SE_NS0_5tupleIJPjSE_EEENSF_IJSE_SE_EEES9_SG_JZNS1_25segmented_radix_sort_implINS0_14default_configELb0EPKsPsPKlPlN2at6native12_GLOBAL__N_18offset_tEEE10hipError_tPvRmT1_PNSt15iterator_traitsISY_E10value_typeET2_T3_PNSZ_IS14_E10value_typeET4_jRbjT5_S1A_jjP12ihipStream_tbEUljE_EEESV_SW_SX_S14_S18_S1A_T6_T7_T9_mT8_S1C_bDpT10_ENKUlT_T0_E_clISt17integral_constantIbLb0EES1O_IbLb1EEEEDaS1K_S1L_EUlS1K_E_NS1_11comp_targetILNS1_3genE5ELNS1_11target_archE942ELNS1_3gpuE9ELNS1_3repE0EEENS1_30default_config_static_selectorELNS0_4arch9wavefront6targetE0EEEvSY_.num_named_barrier, 0
	.set _ZN7rocprim17ROCPRIM_400000_NS6detail17trampoline_kernelINS0_13select_configILj256ELj13ELNS0_17block_load_methodE3ELS4_3ELS4_3ELNS0_20block_scan_algorithmE0ELj4294967295EEENS1_25partition_config_selectorILNS1_17partition_subalgoE3EjNS0_10empty_typeEbEEZZNS1_14partition_implILS8_3ELb0ES6_jNS0_17counting_iteratorIjlEEPS9_SE_NS0_5tupleIJPjSE_EEENSF_IJSE_SE_EEES9_SG_JZNS1_25segmented_radix_sort_implINS0_14default_configELb0EPKsPsPKlPlN2at6native12_GLOBAL__N_18offset_tEEE10hipError_tPvRmT1_PNSt15iterator_traitsISY_E10value_typeET2_T3_PNSZ_IS14_E10value_typeET4_jRbjT5_S1A_jjP12ihipStream_tbEUljE_EEESV_SW_SX_S14_S18_S1A_T6_T7_T9_mT8_S1C_bDpT10_ENKUlT_T0_E_clISt17integral_constantIbLb0EES1O_IbLb1EEEEDaS1K_S1L_EUlS1K_E_NS1_11comp_targetILNS1_3genE5ELNS1_11target_archE942ELNS1_3gpuE9ELNS1_3repE0EEENS1_30default_config_static_selectorELNS0_4arch9wavefront6targetE0EEEvSY_.private_seg_size, 0
	.set _ZN7rocprim17ROCPRIM_400000_NS6detail17trampoline_kernelINS0_13select_configILj256ELj13ELNS0_17block_load_methodE3ELS4_3ELS4_3ELNS0_20block_scan_algorithmE0ELj4294967295EEENS1_25partition_config_selectorILNS1_17partition_subalgoE3EjNS0_10empty_typeEbEEZZNS1_14partition_implILS8_3ELb0ES6_jNS0_17counting_iteratorIjlEEPS9_SE_NS0_5tupleIJPjSE_EEENSF_IJSE_SE_EEES9_SG_JZNS1_25segmented_radix_sort_implINS0_14default_configELb0EPKsPsPKlPlN2at6native12_GLOBAL__N_18offset_tEEE10hipError_tPvRmT1_PNSt15iterator_traitsISY_E10value_typeET2_T3_PNSZ_IS14_E10value_typeET4_jRbjT5_S1A_jjP12ihipStream_tbEUljE_EEESV_SW_SX_S14_S18_S1A_T6_T7_T9_mT8_S1C_bDpT10_ENKUlT_T0_E_clISt17integral_constantIbLb0EES1O_IbLb1EEEEDaS1K_S1L_EUlS1K_E_NS1_11comp_targetILNS1_3genE5ELNS1_11target_archE942ELNS1_3gpuE9ELNS1_3repE0EEENS1_30default_config_static_selectorELNS0_4arch9wavefront6targetE0EEEvSY_.uses_vcc, 0
	.set _ZN7rocprim17ROCPRIM_400000_NS6detail17trampoline_kernelINS0_13select_configILj256ELj13ELNS0_17block_load_methodE3ELS4_3ELS4_3ELNS0_20block_scan_algorithmE0ELj4294967295EEENS1_25partition_config_selectorILNS1_17partition_subalgoE3EjNS0_10empty_typeEbEEZZNS1_14partition_implILS8_3ELb0ES6_jNS0_17counting_iteratorIjlEEPS9_SE_NS0_5tupleIJPjSE_EEENSF_IJSE_SE_EEES9_SG_JZNS1_25segmented_radix_sort_implINS0_14default_configELb0EPKsPsPKlPlN2at6native12_GLOBAL__N_18offset_tEEE10hipError_tPvRmT1_PNSt15iterator_traitsISY_E10value_typeET2_T3_PNSZ_IS14_E10value_typeET4_jRbjT5_S1A_jjP12ihipStream_tbEUljE_EEESV_SW_SX_S14_S18_S1A_T6_T7_T9_mT8_S1C_bDpT10_ENKUlT_T0_E_clISt17integral_constantIbLb0EES1O_IbLb1EEEEDaS1K_S1L_EUlS1K_E_NS1_11comp_targetILNS1_3genE5ELNS1_11target_archE942ELNS1_3gpuE9ELNS1_3repE0EEENS1_30default_config_static_selectorELNS0_4arch9wavefront6targetE0EEEvSY_.uses_flat_scratch, 0
	.set _ZN7rocprim17ROCPRIM_400000_NS6detail17trampoline_kernelINS0_13select_configILj256ELj13ELNS0_17block_load_methodE3ELS4_3ELS4_3ELNS0_20block_scan_algorithmE0ELj4294967295EEENS1_25partition_config_selectorILNS1_17partition_subalgoE3EjNS0_10empty_typeEbEEZZNS1_14partition_implILS8_3ELb0ES6_jNS0_17counting_iteratorIjlEEPS9_SE_NS0_5tupleIJPjSE_EEENSF_IJSE_SE_EEES9_SG_JZNS1_25segmented_radix_sort_implINS0_14default_configELb0EPKsPsPKlPlN2at6native12_GLOBAL__N_18offset_tEEE10hipError_tPvRmT1_PNSt15iterator_traitsISY_E10value_typeET2_T3_PNSZ_IS14_E10value_typeET4_jRbjT5_S1A_jjP12ihipStream_tbEUljE_EEESV_SW_SX_S14_S18_S1A_T6_T7_T9_mT8_S1C_bDpT10_ENKUlT_T0_E_clISt17integral_constantIbLb0EES1O_IbLb1EEEEDaS1K_S1L_EUlS1K_E_NS1_11comp_targetILNS1_3genE5ELNS1_11target_archE942ELNS1_3gpuE9ELNS1_3repE0EEENS1_30default_config_static_selectorELNS0_4arch9wavefront6targetE0EEEvSY_.has_dyn_sized_stack, 0
	.set _ZN7rocprim17ROCPRIM_400000_NS6detail17trampoline_kernelINS0_13select_configILj256ELj13ELNS0_17block_load_methodE3ELS4_3ELS4_3ELNS0_20block_scan_algorithmE0ELj4294967295EEENS1_25partition_config_selectorILNS1_17partition_subalgoE3EjNS0_10empty_typeEbEEZZNS1_14partition_implILS8_3ELb0ES6_jNS0_17counting_iteratorIjlEEPS9_SE_NS0_5tupleIJPjSE_EEENSF_IJSE_SE_EEES9_SG_JZNS1_25segmented_radix_sort_implINS0_14default_configELb0EPKsPsPKlPlN2at6native12_GLOBAL__N_18offset_tEEE10hipError_tPvRmT1_PNSt15iterator_traitsISY_E10value_typeET2_T3_PNSZ_IS14_E10value_typeET4_jRbjT5_S1A_jjP12ihipStream_tbEUljE_EEESV_SW_SX_S14_S18_S1A_T6_T7_T9_mT8_S1C_bDpT10_ENKUlT_T0_E_clISt17integral_constantIbLb0EES1O_IbLb1EEEEDaS1K_S1L_EUlS1K_E_NS1_11comp_targetILNS1_3genE5ELNS1_11target_archE942ELNS1_3gpuE9ELNS1_3repE0EEENS1_30default_config_static_selectorELNS0_4arch9wavefront6targetE0EEEvSY_.has_recursion, 0
	.set _ZN7rocprim17ROCPRIM_400000_NS6detail17trampoline_kernelINS0_13select_configILj256ELj13ELNS0_17block_load_methodE3ELS4_3ELS4_3ELNS0_20block_scan_algorithmE0ELj4294967295EEENS1_25partition_config_selectorILNS1_17partition_subalgoE3EjNS0_10empty_typeEbEEZZNS1_14partition_implILS8_3ELb0ES6_jNS0_17counting_iteratorIjlEEPS9_SE_NS0_5tupleIJPjSE_EEENSF_IJSE_SE_EEES9_SG_JZNS1_25segmented_radix_sort_implINS0_14default_configELb0EPKsPsPKlPlN2at6native12_GLOBAL__N_18offset_tEEE10hipError_tPvRmT1_PNSt15iterator_traitsISY_E10value_typeET2_T3_PNSZ_IS14_E10value_typeET4_jRbjT5_S1A_jjP12ihipStream_tbEUljE_EEESV_SW_SX_S14_S18_S1A_T6_T7_T9_mT8_S1C_bDpT10_ENKUlT_T0_E_clISt17integral_constantIbLb0EES1O_IbLb1EEEEDaS1K_S1L_EUlS1K_E_NS1_11comp_targetILNS1_3genE5ELNS1_11target_archE942ELNS1_3gpuE9ELNS1_3repE0EEENS1_30default_config_static_selectorELNS0_4arch9wavefront6targetE0EEEvSY_.has_indirect_call, 0
	.section	.AMDGPU.csdata,"",@progbits
; Kernel info:
; codeLenInByte = 0
; TotalNumSgprs: 0
; NumVgprs: 0
; ScratchSize: 0
; MemoryBound: 0
; FloatMode: 240
; IeeeMode: 1
; LDSByteSize: 0 bytes/workgroup (compile time only)
; SGPRBlocks: 0
; VGPRBlocks: 0
; NumSGPRsForWavesPerEU: 1
; NumVGPRsForWavesPerEU: 1
; Occupancy: 16
; WaveLimiterHint : 0
; COMPUTE_PGM_RSRC2:SCRATCH_EN: 0
; COMPUTE_PGM_RSRC2:USER_SGPR: 6
; COMPUTE_PGM_RSRC2:TRAP_HANDLER: 0
; COMPUTE_PGM_RSRC2:TGID_X_EN: 1
; COMPUTE_PGM_RSRC2:TGID_Y_EN: 0
; COMPUTE_PGM_RSRC2:TGID_Z_EN: 0
; COMPUTE_PGM_RSRC2:TIDIG_COMP_CNT: 0
	.section	.text._ZN7rocprim17ROCPRIM_400000_NS6detail17trampoline_kernelINS0_13select_configILj256ELj13ELNS0_17block_load_methodE3ELS4_3ELS4_3ELNS0_20block_scan_algorithmE0ELj4294967295EEENS1_25partition_config_selectorILNS1_17partition_subalgoE3EjNS0_10empty_typeEbEEZZNS1_14partition_implILS8_3ELb0ES6_jNS0_17counting_iteratorIjlEEPS9_SE_NS0_5tupleIJPjSE_EEENSF_IJSE_SE_EEES9_SG_JZNS1_25segmented_radix_sort_implINS0_14default_configELb0EPKsPsPKlPlN2at6native12_GLOBAL__N_18offset_tEEE10hipError_tPvRmT1_PNSt15iterator_traitsISY_E10value_typeET2_T3_PNSZ_IS14_E10value_typeET4_jRbjT5_S1A_jjP12ihipStream_tbEUljE_EEESV_SW_SX_S14_S18_S1A_T6_T7_T9_mT8_S1C_bDpT10_ENKUlT_T0_E_clISt17integral_constantIbLb0EES1O_IbLb1EEEEDaS1K_S1L_EUlS1K_E_NS1_11comp_targetILNS1_3genE4ELNS1_11target_archE910ELNS1_3gpuE8ELNS1_3repE0EEENS1_30default_config_static_selectorELNS0_4arch9wavefront6targetE0EEEvSY_,"axG",@progbits,_ZN7rocprim17ROCPRIM_400000_NS6detail17trampoline_kernelINS0_13select_configILj256ELj13ELNS0_17block_load_methodE3ELS4_3ELS4_3ELNS0_20block_scan_algorithmE0ELj4294967295EEENS1_25partition_config_selectorILNS1_17partition_subalgoE3EjNS0_10empty_typeEbEEZZNS1_14partition_implILS8_3ELb0ES6_jNS0_17counting_iteratorIjlEEPS9_SE_NS0_5tupleIJPjSE_EEENSF_IJSE_SE_EEES9_SG_JZNS1_25segmented_radix_sort_implINS0_14default_configELb0EPKsPsPKlPlN2at6native12_GLOBAL__N_18offset_tEEE10hipError_tPvRmT1_PNSt15iterator_traitsISY_E10value_typeET2_T3_PNSZ_IS14_E10value_typeET4_jRbjT5_S1A_jjP12ihipStream_tbEUljE_EEESV_SW_SX_S14_S18_S1A_T6_T7_T9_mT8_S1C_bDpT10_ENKUlT_T0_E_clISt17integral_constantIbLb0EES1O_IbLb1EEEEDaS1K_S1L_EUlS1K_E_NS1_11comp_targetILNS1_3genE4ELNS1_11target_archE910ELNS1_3gpuE8ELNS1_3repE0EEENS1_30default_config_static_selectorELNS0_4arch9wavefront6targetE0EEEvSY_,comdat
	.globl	_ZN7rocprim17ROCPRIM_400000_NS6detail17trampoline_kernelINS0_13select_configILj256ELj13ELNS0_17block_load_methodE3ELS4_3ELS4_3ELNS0_20block_scan_algorithmE0ELj4294967295EEENS1_25partition_config_selectorILNS1_17partition_subalgoE3EjNS0_10empty_typeEbEEZZNS1_14partition_implILS8_3ELb0ES6_jNS0_17counting_iteratorIjlEEPS9_SE_NS0_5tupleIJPjSE_EEENSF_IJSE_SE_EEES9_SG_JZNS1_25segmented_radix_sort_implINS0_14default_configELb0EPKsPsPKlPlN2at6native12_GLOBAL__N_18offset_tEEE10hipError_tPvRmT1_PNSt15iterator_traitsISY_E10value_typeET2_T3_PNSZ_IS14_E10value_typeET4_jRbjT5_S1A_jjP12ihipStream_tbEUljE_EEESV_SW_SX_S14_S18_S1A_T6_T7_T9_mT8_S1C_bDpT10_ENKUlT_T0_E_clISt17integral_constantIbLb0EES1O_IbLb1EEEEDaS1K_S1L_EUlS1K_E_NS1_11comp_targetILNS1_3genE4ELNS1_11target_archE910ELNS1_3gpuE8ELNS1_3repE0EEENS1_30default_config_static_selectorELNS0_4arch9wavefront6targetE0EEEvSY_ ; -- Begin function _ZN7rocprim17ROCPRIM_400000_NS6detail17trampoline_kernelINS0_13select_configILj256ELj13ELNS0_17block_load_methodE3ELS4_3ELS4_3ELNS0_20block_scan_algorithmE0ELj4294967295EEENS1_25partition_config_selectorILNS1_17partition_subalgoE3EjNS0_10empty_typeEbEEZZNS1_14partition_implILS8_3ELb0ES6_jNS0_17counting_iteratorIjlEEPS9_SE_NS0_5tupleIJPjSE_EEENSF_IJSE_SE_EEES9_SG_JZNS1_25segmented_radix_sort_implINS0_14default_configELb0EPKsPsPKlPlN2at6native12_GLOBAL__N_18offset_tEEE10hipError_tPvRmT1_PNSt15iterator_traitsISY_E10value_typeET2_T3_PNSZ_IS14_E10value_typeET4_jRbjT5_S1A_jjP12ihipStream_tbEUljE_EEESV_SW_SX_S14_S18_S1A_T6_T7_T9_mT8_S1C_bDpT10_ENKUlT_T0_E_clISt17integral_constantIbLb0EES1O_IbLb1EEEEDaS1K_S1L_EUlS1K_E_NS1_11comp_targetILNS1_3genE4ELNS1_11target_archE910ELNS1_3gpuE8ELNS1_3repE0EEENS1_30default_config_static_selectorELNS0_4arch9wavefront6targetE0EEEvSY_
	.p2align	8
	.type	_ZN7rocprim17ROCPRIM_400000_NS6detail17trampoline_kernelINS0_13select_configILj256ELj13ELNS0_17block_load_methodE3ELS4_3ELS4_3ELNS0_20block_scan_algorithmE0ELj4294967295EEENS1_25partition_config_selectorILNS1_17partition_subalgoE3EjNS0_10empty_typeEbEEZZNS1_14partition_implILS8_3ELb0ES6_jNS0_17counting_iteratorIjlEEPS9_SE_NS0_5tupleIJPjSE_EEENSF_IJSE_SE_EEES9_SG_JZNS1_25segmented_radix_sort_implINS0_14default_configELb0EPKsPsPKlPlN2at6native12_GLOBAL__N_18offset_tEEE10hipError_tPvRmT1_PNSt15iterator_traitsISY_E10value_typeET2_T3_PNSZ_IS14_E10value_typeET4_jRbjT5_S1A_jjP12ihipStream_tbEUljE_EEESV_SW_SX_S14_S18_S1A_T6_T7_T9_mT8_S1C_bDpT10_ENKUlT_T0_E_clISt17integral_constantIbLb0EES1O_IbLb1EEEEDaS1K_S1L_EUlS1K_E_NS1_11comp_targetILNS1_3genE4ELNS1_11target_archE910ELNS1_3gpuE8ELNS1_3repE0EEENS1_30default_config_static_selectorELNS0_4arch9wavefront6targetE0EEEvSY_,@function
_ZN7rocprim17ROCPRIM_400000_NS6detail17trampoline_kernelINS0_13select_configILj256ELj13ELNS0_17block_load_methodE3ELS4_3ELS4_3ELNS0_20block_scan_algorithmE0ELj4294967295EEENS1_25partition_config_selectorILNS1_17partition_subalgoE3EjNS0_10empty_typeEbEEZZNS1_14partition_implILS8_3ELb0ES6_jNS0_17counting_iteratorIjlEEPS9_SE_NS0_5tupleIJPjSE_EEENSF_IJSE_SE_EEES9_SG_JZNS1_25segmented_radix_sort_implINS0_14default_configELb0EPKsPsPKlPlN2at6native12_GLOBAL__N_18offset_tEEE10hipError_tPvRmT1_PNSt15iterator_traitsISY_E10value_typeET2_T3_PNSZ_IS14_E10value_typeET4_jRbjT5_S1A_jjP12ihipStream_tbEUljE_EEESV_SW_SX_S14_S18_S1A_T6_T7_T9_mT8_S1C_bDpT10_ENKUlT_T0_E_clISt17integral_constantIbLb0EES1O_IbLb1EEEEDaS1K_S1L_EUlS1K_E_NS1_11comp_targetILNS1_3genE4ELNS1_11target_archE910ELNS1_3gpuE8ELNS1_3repE0EEENS1_30default_config_static_selectorELNS0_4arch9wavefront6targetE0EEEvSY_: ; @_ZN7rocprim17ROCPRIM_400000_NS6detail17trampoline_kernelINS0_13select_configILj256ELj13ELNS0_17block_load_methodE3ELS4_3ELS4_3ELNS0_20block_scan_algorithmE0ELj4294967295EEENS1_25partition_config_selectorILNS1_17partition_subalgoE3EjNS0_10empty_typeEbEEZZNS1_14partition_implILS8_3ELb0ES6_jNS0_17counting_iteratorIjlEEPS9_SE_NS0_5tupleIJPjSE_EEENSF_IJSE_SE_EEES9_SG_JZNS1_25segmented_radix_sort_implINS0_14default_configELb0EPKsPsPKlPlN2at6native12_GLOBAL__N_18offset_tEEE10hipError_tPvRmT1_PNSt15iterator_traitsISY_E10value_typeET2_T3_PNSZ_IS14_E10value_typeET4_jRbjT5_S1A_jjP12ihipStream_tbEUljE_EEESV_SW_SX_S14_S18_S1A_T6_T7_T9_mT8_S1C_bDpT10_ENKUlT_T0_E_clISt17integral_constantIbLb0EES1O_IbLb1EEEEDaS1K_S1L_EUlS1K_E_NS1_11comp_targetILNS1_3genE4ELNS1_11target_archE910ELNS1_3gpuE8ELNS1_3repE0EEENS1_30default_config_static_selectorELNS0_4arch9wavefront6targetE0EEEvSY_
; %bb.0:
	.section	.rodata,"a",@progbits
	.p2align	6, 0x0
	.amdhsa_kernel _ZN7rocprim17ROCPRIM_400000_NS6detail17trampoline_kernelINS0_13select_configILj256ELj13ELNS0_17block_load_methodE3ELS4_3ELS4_3ELNS0_20block_scan_algorithmE0ELj4294967295EEENS1_25partition_config_selectorILNS1_17partition_subalgoE3EjNS0_10empty_typeEbEEZZNS1_14partition_implILS8_3ELb0ES6_jNS0_17counting_iteratorIjlEEPS9_SE_NS0_5tupleIJPjSE_EEENSF_IJSE_SE_EEES9_SG_JZNS1_25segmented_radix_sort_implINS0_14default_configELb0EPKsPsPKlPlN2at6native12_GLOBAL__N_18offset_tEEE10hipError_tPvRmT1_PNSt15iterator_traitsISY_E10value_typeET2_T3_PNSZ_IS14_E10value_typeET4_jRbjT5_S1A_jjP12ihipStream_tbEUljE_EEESV_SW_SX_S14_S18_S1A_T6_T7_T9_mT8_S1C_bDpT10_ENKUlT_T0_E_clISt17integral_constantIbLb0EES1O_IbLb1EEEEDaS1K_S1L_EUlS1K_E_NS1_11comp_targetILNS1_3genE4ELNS1_11target_archE910ELNS1_3gpuE8ELNS1_3repE0EEENS1_30default_config_static_selectorELNS0_4arch9wavefront6targetE0EEEvSY_
		.amdhsa_group_segment_fixed_size 0
		.amdhsa_private_segment_fixed_size 0
		.amdhsa_kernarg_size 152
		.amdhsa_user_sgpr_count 6
		.amdhsa_user_sgpr_private_segment_buffer 1
		.amdhsa_user_sgpr_dispatch_ptr 0
		.amdhsa_user_sgpr_queue_ptr 0
		.amdhsa_user_sgpr_kernarg_segment_ptr 1
		.amdhsa_user_sgpr_dispatch_id 0
		.amdhsa_user_sgpr_flat_scratch_init 0
		.amdhsa_user_sgpr_private_segment_size 0
		.amdhsa_wavefront_size32 1
		.amdhsa_uses_dynamic_stack 0
		.amdhsa_system_sgpr_private_segment_wavefront_offset 0
		.amdhsa_system_sgpr_workgroup_id_x 1
		.amdhsa_system_sgpr_workgroup_id_y 0
		.amdhsa_system_sgpr_workgroup_id_z 0
		.amdhsa_system_sgpr_workgroup_info 0
		.amdhsa_system_vgpr_workitem_id 0
		.amdhsa_next_free_vgpr 1
		.amdhsa_next_free_sgpr 1
		.amdhsa_reserve_vcc 0
		.amdhsa_reserve_flat_scratch 0
		.amdhsa_float_round_mode_32 0
		.amdhsa_float_round_mode_16_64 0
		.amdhsa_float_denorm_mode_32 3
		.amdhsa_float_denorm_mode_16_64 3
		.amdhsa_dx10_clamp 1
		.amdhsa_ieee_mode 1
		.amdhsa_fp16_overflow 0
		.amdhsa_workgroup_processor_mode 1
		.amdhsa_memory_ordered 1
		.amdhsa_forward_progress 1
		.amdhsa_shared_vgpr_count 0
		.amdhsa_exception_fp_ieee_invalid_op 0
		.amdhsa_exception_fp_denorm_src 0
		.amdhsa_exception_fp_ieee_div_zero 0
		.amdhsa_exception_fp_ieee_overflow 0
		.amdhsa_exception_fp_ieee_underflow 0
		.amdhsa_exception_fp_ieee_inexact 0
		.amdhsa_exception_int_div_zero 0
	.end_amdhsa_kernel
	.section	.text._ZN7rocprim17ROCPRIM_400000_NS6detail17trampoline_kernelINS0_13select_configILj256ELj13ELNS0_17block_load_methodE3ELS4_3ELS4_3ELNS0_20block_scan_algorithmE0ELj4294967295EEENS1_25partition_config_selectorILNS1_17partition_subalgoE3EjNS0_10empty_typeEbEEZZNS1_14partition_implILS8_3ELb0ES6_jNS0_17counting_iteratorIjlEEPS9_SE_NS0_5tupleIJPjSE_EEENSF_IJSE_SE_EEES9_SG_JZNS1_25segmented_radix_sort_implINS0_14default_configELb0EPKsPsPKlPlN2at6native12_GLOBAL__N_18offset_tEEE10hipError_tPvRmT1_PNSt15iterator_traitsISY_E10value_typeET2_T3_PNSZ_IS14_E10value_typeET4_jRbjT5_S1A_jjP12ihipStream_tbEUljE_EEESV_SW_SX_S14_S18_S1A_T6_T7_T9_mT8_S1C_bDpT10_ENKUlT_T0_E_clISt17integral_constantIbLb0EES1O_IbLb1EEEEDaS1K_S1L_EUlS1K_E_NS1_11comp_targetILNS1_3genE4ELNS1_11target_archE910ELNS1_3gpuE8ELNS1_3repE0EEENS1_30default_config_static_selectorELNS0_4arch9wavefront6targetE0EEEvSY_,"axG",@progbits,_ZN7rocprim17ROCPRIM_400000_NS6detail17trampoline_kernelINS0_13select_configILj256ELj13ELNS0_17block_load_methodE3ELS4_3ELS4_3ELNS0_20block_scan_algorithmE0ELj4294967295EEENS1_25partition_config_selectorILNS1_17partition_subalgoE3EjNS0_10empty_typeEbEEZZNS1_14partition_implILS8_3ELb0ES6_jNS0_17counting_iteratorIjlEEPS9_SE_NS0_5tupleIJPjSE_EEENSF_IJSE_SE_EEES9_SG_JZNS1_25segmented_radix_sort_implINS0_14default_configELb0EPKsPsPKlPlN2at6native12_GLOBAL__N_18offset_tEEE10hipError_tPvRmT1_PNSt15iterator_traitsISY_E10value_typeET2_T3_PNSZ_IS14_E10value_typeET4_jRbjT5_S1A_jjP12ihipStream_tbEUljE_EEESV_SW_SX_S14_S18_S1A_T6_T7_T9_mT8_S1C_bDpT10_ENKUlT_T0_E_clISt17integral_constantIbLb0EES1O_IbLb1EEEEDaS1K_S1L_EUlS1K_E_NS1_11comp_targetILNS1_3genE4ELNS1_11target_archE910ELNS1_3gpuE8ELNS1_3repE0EEENS1_30default_config_static_selectorELNS0_4arch9wavefront6targetE0EEEvSY_,comdat
.Lfunc_end1001:
	.size	_ZN7rocprim17ROCPRIM_400000_NS6detail17trampoline_kernelINS0_13select_configILj256ELj13ELNS0_17block_load_methodE3ELS4_3ELS4_3ELNS0_20block_scan_algorithmE0ELj4294967295EEENS1_25partition_config_selectorILNS1_17partition_subalgoE3EjNS0_10empty_typeEbEEZZNS1_14partition_implILS8_3ELb0ES6_jNS0_17counting_iteratorIjlEEPS9_SE_NS0_5tupleIJPjSE_EEENSF_IJSE_SE_EEES9_SG_JZNS1_25segmented_radix_sort_implINS0_14default_configELb0EPKsPsPKlPlN2at6native12_GLOBAL__N_18offset_tEEE10hipError_tPvRmT1_PNSt15iterator_traitsISY_E10value_typeET2_T3_PNSZ_IS14_E10value_typeET4_jRbjT5_S1A_jjP12ihipStream_tbEUljE_EEESV_SW_SX_S14_S18_S1A_T6_T7_T9_mT8_S1C_bDpT10_ENKUlT_T0_E_clISt17integral_constantIbLb0EES1O_IbLb1EEEEDaS1K_S1L_EUlS1K_E_NS1_11comp_targetILNS1_3genE4ELNS1_11target_archE910ELNS1_3gpuE8ELNS1_3repE0EEENS1_30default_config_static_selectorELNS0_4arch9wavefront6targetE0EEEvSY_, .Lfunc_end1001-_ZN7rocprim17ROCPRIM_400000_NS6detail17trampoline_kernelINS0_13select_configILj256ELj13ELNS0_17block_load_methodE3ELS4_3ELS4_3ELNS0_20block_scan_algorithmE0ELj4294967295EEENS1_25partition_config_selectorILNS1_17partition_subalgoE3EjNS0_10empty_typeEbEEZZNS1_14partition_implILS8_3ELb0ES6_jNS0_17counting_iteratorIjlEEPS9_SE_NS0_5tupleIJPjSE_EEENSF_IJSE_SE_EEES9_SG_JZNS1_25segmented_radix_sort_implINS0_14default_configELb0EPKsPsPKlPlN2at6native12_GLOBAL__N_18offset_tEEE10hipError_tPvRmT1_PNSt15iterator_traitsISY_E10value_typeET2_T3_PNSZ_IS14_E10value_typeET4_jRbjT5_S1A_jjP12ihipStream_tbEUljE_EEESV_SW_SX_S14_S18_S1A_T6_T7_T9_mT8_S1C_bDpT10_ENKUlT_T0_E_clISt17integral_constantIbLb0EES1O_IbLb1EEEEDaS1K_S1L_EUlS1K_E_NS1_11comp_targetILNS1_3genE4ELNS1_11target_archE910ELNS1_3gpuE8ELNS1_3repE0EEENS1_30default_config_static_selectorELNS0_4arch9wavefront6targetE0EEEvSY_
                                        ; -- End function
	.set _ZN7rocprim17ROCPRIM_400000_NS6detail17trampoline_kernelINS0_13select_configILj256ELj13ELNS0_17block_load_methodE3ELS4_3ELS4_3ELNS0_20block_scan_algorithmE0ELj4294967295EEENS1_25partition_config_selectorILNS1_17partition_subalgoE3EjNS0_10empty_typeEbEEZZNS1_14partition_implILS8_3ELb0ES6_jNS0_17counting_iteratorIjlEEPS9_SE_NS0_5tupleIJPjSE_EEENSF_IJSE_SE_EEES9_SG_JZNS1_25segmented_radix_sort_implINS0_14default_configELb0EPKsPsPKlPlN2at6native12_GLOBAL__N_18offset_tEEE10hipError_tPvRmT1_PNSt15iterator_traitsISY_E10value_typeET2_T3_PNSZ_IS14_E10value_typeET4_jRbjT5_S1A_jjP12ihipStream_tbEUljE_EEESV_SW_SX_S14_S18_S1A_T6_T7_T9_mT8_S1C_bDpT10_ENKUlT_T0_E_clISt17integral_constantIbLb0EES1O_IbLb1EEEEDaS1K_S1L_EUlS1K_E_NS1_11comp_targetILNS1_3genE4ELNS1_11target_archE910ELNS1_3gpuE8ELNS1_3repE0EEENS1_30default_config_static_selectorELNS0_4arch9wavefront6targetE0EEEvSY_.num_vgpr, 0
	.set _ZN7rocprim17ROCPRIM_400000_NS6detail17trampoline_kernelINS0_13select_configILj256ELj13ELNS0_17block_load_methodE3ELS4_3ELS4_3ELNS0_20block_scan_algorithmE0ELj4294967295EEENS1_25partition_config_selectorILNS1_17partition_subalgoE3EjNS0_10empty_typeEbEEZZNS1_14partition_implILS8_3ELb0ES6_jNS0_17counting_iteratorIjlEEPS9_SE_NS0_5tupleIJPjSE_EEENSF_IJSE_SE_EEES9_SG_JZNS1_25segmented_radix_sort_implINS0_14default_configELb0EPKsPsPKlPlN2at6native12_GLOBAL__N_18offset_tEEE10hipError_tPvRmT1_PNSt15iterator_traitsISY_E10value_typeET2_T3_PNSZ_IS14_E10value_typeET4_jRbjT5_S1A_jjP12ihipStream_tbEUljE_EEESV_SW_SX_S14_S18_S1A_T6_T7_T9_mT8_S1C_bDpT10_ENKUlT_T0_E_clISt17integral_constantIbLb0EES1O_IbLb1EEEEDaS1K_S1L_EUlS1K_E_NS1_11comp_targetILNS1_3genE4ELNS1_11target_archE910ELNS1_3gpuE8ELNS1_3repE0EEENS1_30default_config_static_selectorELNS0_4arch9wavefront6targetE0EEEvSY_.num_agpr, 0
	.set _ZN7rocprim17ROCPRIM_400000_NS6detail17trampoline_kernelINS0_13select_configILj256ELj13ELNS0_17block_load_methodE3ELS4_3ELS4_3ELNS0_20block_scan_algorithmE0ELj4294967295EEENS1_25partition_config_selectorILNS1_17partition_subalgoE3EjNS0_10empty_typeEbEEZZNS1_14partition_implILS8_3ELb0ES6_jNS0_17counting_iteratorIjlEEPS9_SE_NS0_5tupleIJPjSE_EEENSF_IJSE_SE_EEES9_SG_JZNS1_25segmented_radix_sort_implINS0_14default_configELb0EPKsPsPKlPlN2at6native12_GLOBAL__N_18offset_tEEE10hipError_tPvRmT1_PNSt15iterator_traitsISY_E10value_typeET2_T3_PNSZ_IS14_E10value_typeET4_jRbjT5_S1A_jjP12ihipStream_tbEUljE_EEESV_SW_SX_S14_S18_S1A_T6_T7_T9_mT8_S1C_bDpT10_ENKUlT_T0_E_clISt17integral_constantIbLb0EES1O_IbLb1EEEEDaS1K_S1L_EUlS1K_E_NS1_11comp_targetILNS1_3genE4ELNS1_11target_archE910ELNS1_3gpuE8ELNS1_3repE0EEENS1_30default_config_static_selectorELNS0_4arch9wavefront6targetE0EEEvSY_.numbered_sgpr, 0
	.set _ZN7rocprim17ROCPRIM_400000_NS6detail17trampoline_kernelINS0_13select_configILj256ELj13ELNS0_17block_load_methodE3ELS4_3ELS4_3ELNS0_20block_scan_algorithmE0ELj4294967295EEENS1_25partition_config_selectorILNS1_17partition_subalgoE3EjNS0_10empty_typeEbEEZZNS1_14partition_implILS8_3ELb0ES6_jNS0_17counting_iteratorIjlEEPS9_SE_NS0_5tupleIJPjSE_EEENSF_IJSE_SE_EEES9_SG_JZNS1_25segmented_radix_sort_implINS0_14default_configELb0EPKsPsPKlPlN2at6native12_GLOBAL__N_18offset_tEEE10hipError_tPvRmT1_PNSt15iterator_traitsISY_E10value_typeET2_T3_PNSZ_IS14_E10value_typeET4_jRbjT5_S1A_jjP12ihipStream_tbEUljE_EEESV_SW_SX_S14_S18_S1A_T6_T7_T9_mT8_S1C_bDpT10_ENKUlT_T0_E_clISt17integral_constantIbLb0EES1O_IbLb1EEEEDaS1K_S1L_EUlS1K_E_NS1_11comp_targetILNS1_3genE4ELNS1_11target_archE910ELNS1_3gpuE8ELNS1_3repE0EEENS1_30default_config_static_selectorELNS0_4arch9wavefront6targetE0EEEvSY_.num_named_barrier, 0
	.set _ZN7rocprim17ROCPRIM_400000_NS6detail17trampoline_kernelINS0_13select_configILj256ELj13ELNS0_17block_load_methodE3ELS4_3ELS4_3ELNS0_20block_scan_algorithmE0ELj4294967295EEENS1_25partition_config_selectorILNS1_17partition_subalgoE3EjNS0_10empty_typeEbEEZZNS1_14partition_implILS8_3ELb0ES6_jNS0_17counting_iteratorIjlEEPS9_SE_NS0_5tupleIJPjSE_EEENSF_IJSE_SE_EEES9_SG_JZNS1_25segmented_radix_sort_implINS0_14default_configELb0EPKsPsPKlPlN2at6native12_GLOBAL__N_18offset_tEEE10hipError_tPvRmT1_PNSt15iterator_traitsISY_E10value_typeET2_T3_PNSZ_IS14_E10value_typeET4_jRbjT5_S1A_jjP12ihipStream_tbEUljE_EEESV_SW_SX_S14_S18_S1A_T6_T7_T9_mT8_S1C_bDpT10_ENKUlT_T0_E_clISt17integral_constantIbLb0EES1O_IbLb1EEEEDaS1K_S1L_EUlS1K_E_NS1_11comp_targetILNS1_3genE4ELNS1_11target_archE910ELNS1_3gpuE8ELNS1_3repE0EEENS1_30default_config_static_selectorELNS0_4arch9wavefront6targetE0EEEvSY_.private_seg_size, 0
	.set _ZN7rocprim17ROCPRIM_400000_NS6detail17trampoline_kernelINS0_13select_configILj256ELj13ELNS0_17block_load_methodE3ELS4_3ELS4_3ELNS0_20block_scan_algorithmE0ELj4294967295EEENS1_25partition_config_selectorILNS1_17partition_subalgoE3EjNS0_10empty_typeEbEEZZNS1_14partition_implILS8_3ELb0ES6_jNS0_17counting_iteratorIjlEEPS9_SE_NS0_5tupleIJPjSE_EEENSF_IJSE_SE_EEES9_SG_JZNS1_25segmented_radix_sort_implINS0_14default_configELb0EPKsPsPKlPlN2at6native12_GLOBAL__N_18offset_tEEE10hipError_tPvRmT1_PNSt15iterator_traitsISY_E10value_typeET2_T3_PNSZ_IS14_E10value_typeET4_jRbjT5_S1A_jjP12ihipStream_tbEUljE_EEESV_SW_SX_S14_S18_S1A_T6_T7_T9_mT8_S1C_bDpT10_ENKUlT_T0_E_clISt17integral_constantIbLb0EES1O_IbLb1EEEEDaS1K_S1L_EUlS1K_E_NS1_11comp_targetILNS1_3genE4ELNS1_11target_archE910ELNS1_3gpuE8ELNS1_3repE0EEENS1_30default_config_static_selectorELNS0_4arch9wavefront6targetE0EEEvSY_.uses_vcc, 0
	.set _ZN7rocprim17ROCPRIM_400000_NS6detail17trampoline_kernelINS0_13select_configILj256ELj13ELNS0_17block_load_methodE3ELS4_3ELS4_3ELNS0_20block_scan_algorithmE0ELj4294967295EEENS1_25partition_config_selectorILNS1_17partition_subalgoE3EjNS0_10empty_typeEbEEZZNS1_14partition_implILS8_3ELb0ES6_jNS0_17counting_iteratorIjlEEPS9_SE_NS0_5tupleIJPjSE_EEENSF_IJSE_SE_EEES9_SG_JZNS1_25segmented_radix_sort_implINS0_14default_configELb0EPKsPsPKlPlN2at6native12_GLOBAL__N_18offset_tEEE10hipError_tPvRmT1_PNSt15iterator_traitsISY_E10value_typeET2_T3_PNSZ_IS14_E10value_typeET4_jRbjT5_S1A_jjP12ihipStream_tbEUljE_EEESV_SW_SX_S14_S18_S1A_T6_T7_T9_mT8_S1C_bDpT10_ENKUlT_T0_E_clISt17integral_constantIbLb0EES1O_IbLb1EEEEDaS1K_S1L_EUlS1K_E_NS1_11comp_targetILNS1_3genE4ELNS1_11target_archE910ELNS1_3gpuE8ELNS1_3repE0EEENS1_30default_config_static_selectorELNS0_4arch9wavefront6targetE0EEEvSY_.uses_flat_scratch, 0
	.set _ZN7rocprim17ROCPRIM_400000_NS6detail17trampoline_kernelINS0_13select_configILj256ELj13ELNS0_17block_load_methodE3ELS4_3ELS4_3ELNS0_20block_scan_algorithmE0ELj4294967295EEENS1_25partition_config_selectorILNS1_17partition_subalgoE3EjNS0_10empty_typeEbEEZZNS1_14partition_implILS8_3ELb0ES6_jNS0_17counting_iteratorIjlEEPS9_SE_NS0_5tupleIJPjSE_EEENSF_IJSE_SE_EEES9_SG_JZNS1_25segmented_radix_sort_implINS0_14default_configELb0EPKsPsPKlPlN2at6native12_GLOBAL__N_18offset_tEEE10hipError_tPvRmT1_PNSt15iterator_traitsISY_E10value_typeET2_T3_PNSZ_IS14_E10value_typeET4_jRbjT5_S1A_jjP12ihipStream_tbEUljE_EEESV_SW_SX_S14_S18_S1A_T6_T7_T9_mT8_S1C_bDpT10_ENKUlT_T0_E_clISt17integral_constantIbLb0EES1O_IbLb1EEEEDaS1K_S1L_EUlS1K_E_NS1_11comp_targetILNS1_3genE4ELNS1_11target_archE910ELNS1_3gpuE8ELNS1_3repE0EEENS1_30default_config_static_selectorELNS0_4arch9wavefront6targetE0EEEvSY_.has_dyn_sized_stack, 0
	.set _ZN7rocprim17ROCPRIM_400000_NS6detail17trampoline_kernelINS0_13select_configILj256ELj13ELNS0_17block_load_methodE3ELS4_3ELS4_3ELNS0_20block_scan_algorithmE0ELj4294967295EEENS1_25partition_config_selectorILNS1_17partition_subalgoE3EjNS0_10empty_typeEbEEZZNS1_14partition_implILS8_3ELb0ES6_jNS0_17counting_iteratorIjlEEPS9_SE_NS0_5tupleIJPjSE_EEENSF_IJSE_SE_EEES9_SG_JZNS1_25segmented_radix_sort_implINS0_14default_configELb0EPKsPsPKlPlN2at6native12_GLOBAL__N_18offset_tEEE10hipError_tPvRmT1_PNSt15iterator_traitsISY_E10value_typeET2_T3_PNSZ_IS14_E10value_typeET4_jRbjT5_S1A_jjP12ihipStream_tbEUljE_EEESV_SW_SX_S14_S18_S1A_T6_T7_T9_mT8_S1C_bDpT10_ENKUlT_T0_E_clISt17integral_constantIbLb0EES1O_IbLb1EEEEDaS1K_S1L_EUlS1K_E_NS1_11comp_targetILNS1_3genE4ELNS1_11target_archE910ELNS1_3gpuE8ELNS1_3repE0EEENS1_30default_config_static_selectorELNS0_4arch9wavefront6targetE0EEEvSY_.has_recursion, 0
	.set _ZN7rocprim17ROCPRIM_400000_NS6detail17trampoline_kernelINS0_13select_configILj256ELj13ELNS0_17block_load_methodE3ELS4_3ELS4_3ELNS0_20block_scan_algorithmE0ELj4294967295EEENS1_25partition_config_selectorILNS1_17partition_subalgoE3EjNS0_10empty_typeEbEEZZNS1_14partition_implILS8_3ELb0ES6_jNS0_17counting_iteratorIjlEEPS9_SE_NS0_5tupleIJPjSE_EEENSF_IJSE_SE_EEES9_SG_JZNS1_25segmented_radix_sort_implINS0_14default_configELb0EPKsPsPKlPlN2at6native12_GLOBAL__N_18offset_tEEE10hipError_tPvRmT1_PNSt15iterator_traitsISY_E10value_typeET2_T3_PNSZ_IS14_E10value_typeET4_jRbjT5_S1A_jjP12ihipStream_tbEUljE_EEESV_SW_SX_S14_S18_S1A_T6_T7_T9_mT8_S1C_bDpT10_ENKUlT_T0_E_clISt17integral_constantIbLb0EES1O_IbLb1EEEEDaS1K_S1L_EUlS1K_E_NS1_11comp_targetILNS1_3genE4ELNS1_11target_archE910ELNS1_3gpuE8ELNS1_3repE0EEENS1_30default_config_static_selectorELNS0_4arch9wavefront6targetE0EEEvSY_.has_indirect_call, 0
	.section	.AMDGPU.csdata,"",@progbits
; Kernel info:
; codeLenInByte = 0
; TotalNumSgprs: 0
; NumVgprs: 0
; ScratchSize: 0
; MemoryBound: 0
; FloatMode: 240
; IeeeMode: 1
; LDSByteSize: 0 bytes/workgroup (compile time only)
; SGPRBlocks: 0
; VGPRBlocks: 0
; NumSGPRsForWavesPerEU: 1
; NumVGPRsForWavesPerEU: 1
; Occupancy: 16
; WaveLimiterHint : 0
; COMPUTE_PGM_RSRC2:SCRATCH_EN: 0
; COMPUTE_PGM_RSRC2:USER_SGPR: 6
; COMPUTE_PGM_RSRC2:TRAP_HANDLER: 0
; COMPUTE_PGM_RSRC2:TGID_X_EN: 1
; COMPUTE_PGM_RSRC2:TGID_Y_EN: 0
; COMPUTE_PGM_RSRC2:TGID_Z_EN: 0
; COMPUTE_PGM_RSRC2:TIDIG_COMP_CNT: 0
	.section	.text._ZN7rocprim17ROCPRIM_400000_NS6detail17trampoline_kernelINS0_13select_configILj256ELj13ELNS0_17block_load_methodE3ELS4_3ELS4_3ELNS0_20block_scan_algorithmE0ELj4294967295EEENS1_25partition_config_selectorILNS1_17partition_subalgoE3EjNS0_10empty_typeEbEEZZNS1_14partition_implILS8_3ELb0ES6_jNS0_17counting_iteratorIjlEEPS9_SE_NS0_5tupleIJPjSE_EEENSF_IJSE_SE_EEES9_SG_JZNS1_25segmented_radix_sort_implINS0_14default_configELb0EPKsPsPKlPlN2at6native12_GLOBAL__N_18offset_tEEE10hipError_tPvRmT1_PNSt15iterator_traitsISY_E10value_typeET2_T3_PNSZ_IS14_E10value_typeET4_jRbjT5_S1A_jjP12ihipStream_tbEUljE_EEESV_SW_SX_S14_S18_S1A_T6_T7_T9_mT8_S1C_bDpT10_ENKUlT_T0_E_clISt17integral_constantIbLb0EES1O_IbLb1EEEEDaS1K_S1L_EUlS1K_E_NS1_11comp_targetILNS1_3genE3ELNS1_11target_archE908ELNS1_3gpuE7ELNS1_3repE0EEENS1_30default_config_static_selectorELNS0_4arch9wavefront6targetE0EEEvSY_,"axG",@progbits,_ZN7rocprim17ROCPRIM_400000_NS6detail17trampoline_kernelINS0_13select_configILj256ELj13ELNS0_17block_load_methodE3ELS4_3ELS4_3ELNS0_20block_scan_algorithmE0ELj4294967295EEENS1_25partition_config_selectorILNS1_17partition_subalgoE3EjNS0_10empty_typeEbEEZZNS1_14partition_implILS8_3ELb0ES6_jNS0_17counting_iteratorIjlEEPS9_SE_NS0_5tupleIJPjSE_EEENSF_IJSE_SE_EEES9_SG_JZNS1_25segmented_radix_sort_implINS0_14default_configELb0EPKsPsPKlPlN2at6native12_GLOBAL__N_18offset_tEEE10hipError_tPvRmT1_PNSt15iterator_traitsISY_E10value_typeET2_T3_PNSZ_IS14_E10value_typeET4_jRbjT5_S1A_jjP12ihipStream_tbEUljE_EEESV_SW_SX_S14_S18_S1A_T6_T7_T9_mT8_S1C_bDpT10_ENKUlT_T0_E_clISt17integral_constantIbLb0EES1O_IbLb1EEEEDaS1K_S1L_EUlS1K_E_NS1_11comp_targetILNS1_3genE3ELNS1_11target_archE908ELNS1_3gpuE7ELNS1_3repE0EEENS1_30default_config_static_selectorELNS0_4arch9wavefront6targetE0EEEvSY_,comdat
	.globl	_ZN7rocprim17ROCPRIM_400000_NS6detail17trampoline_kernelINS0_13select_configILj256ELj13ELNS0_17block_load_methodE3ELS4_3ELS4_3ELNS0_20block_scan_algorithmE0ELj4294967295EEENS1_25partition_config_selectorILNS1_17partition_subalgoE3EjNS0_10empty_typeEbEEZZNS1_14partition_implILS8_3ELb0ES6_jNS0_17counting_iteratorIjlEEPS9_SE_NS0_5tupleIJPjSE_EEENSF_IJSE_SE_EEES9_SG_JZNS1_25segmented_radix_sort_implINS0_14default_configELb0EPKsPsPKlPlN2at6native12_GLOBAL__N_18offset_tEEE10hipError_tPvRmT1_PNSt15iterator_traitsISY_E10value_typeET2_T3_PNSZ_IS14_E10value_typeET4_jRbjT5_S1A_jjP12ihipStream_tbEUljE_EEESV_SW_SX_S14_S18_S1A_T6_T7_T9_mT8_S1C_bDpT10_ENKUlT_T0_E_clISt17integral_constantIbLb0EES1O_IbLb1EEEEDaS1K_S1L_EUlS1K_E_NS1_11comp_targetILNS1_3genE3ELNS1_11target_archE908ELNS1_3gpuE7ELNS1_3repE0EEENS1_30default_config_static_selectorELNS0_4arch9wavefront6targetE0EEEvSY_ ; -- Begin function _ZN7rocprim17ROCPRIM_400000_NS6detail17trampoline_kernelINS0_13select_configILj256ELj13ELNS0_17block_load_methodE3ELS4_3ELS4_3ELNS0_20block_scan_algorithmE0ELj4294967295EEENS1_25partition_config_selectorILNS1_17partition_subalgoE3EjNS0_10empty_typeEbEEZZNS1_14partition_implILS8_3ELb0ES6_jNS0_17counting_iteratorIjlEEPS9_SE_NS0_5tupleIJPjSE_EEENSF_IJSE_SE_EEES9_SG_JZNS1_25segmented_radix_sort_implINS0_14default_configELb0EPKsPsPKlPlN2at6native12_GLOBAL__N_18offset_tEEE10hipError_tPvRmT1_PNSt15iterator_traitsISY_E10value_typeET2_T3_PNSZ_IS14_E10value_typeET4_jRbjT5_S1A_jjP12ihipStream_tbEUljE_EEESV_SW_SX_S14_S18_S1A_T6_T7_T9_mT8_S1C_bDpT10_ENKUlT_T0_E_clISt17integral_constantIbLb0EES1O_IbLb1EEEEDaS1K_S1L_EUlS1K_E_NS1_11comp_targetILNS1_3genE3ELNS1_11target_archE908ELNS1_3gpuE7ELNS1_3repE0EEENS1_30default_config_static_selectorELNS0_4arch9wavefront6targetE0EEEvSY_
	.p2align	8
	.type	_ZN7rocprim17ROCPRIM_400000_NS6detail17trampoline_kernelINS0_13select_configILj256ELj13ELNS0_17block_load_methodE3ELS4_3ELS4_3ELNS0_20block_scan_algorithmE0ELj4294967295EEENS1_25partition_config_selectorILNS1_17partition_subalgoE3EjNS0_10empty_typeEbEEZZNS1_14partition_implILS8_3ELb0ES6_jNS0_17counting_iteratorIjlEEPS9_SE_NS0_5tupleIJPjSE_EEENSF_IJSE_SE_EEES9_SG_JZNS1_25segmented_radix_sort_implINS0_14default_configELb0EPKsPsPKlPlN2at6native12_GLOBAL__N_18offset_tEEE10hipError_tPvRmT1_PNSt15iterator_traitsISY_E10value_typeET2_T3_PNSZ_IS14_E10value_typeET4_jRbjT5_S1A_jjP12ihipStream_tbEUljE_EEESV_SW_SX_S14_S18_S1A_T6_T7_T9_mT8_S1C_bDpT10_ENKUlT_T0_E_clISt17integral_constantIbLb0EES1O_IbLb1EEEEDaS1K_S1L_EUlS1K_E_NS1_11comp_targetILNS1_3genE3ELNS1_11target_archE908ELNS1_3gpuE7ELNS1_3repE0EEENS1_30default_config_static_selectorELNS0_4arch9wavefront6targetE0EEEvSY_,@function
_ZN7rocprim17ROCPRIM_400000_NS6detail17trampoline_kernelINS0_13select_configILj256ELj13ELNS0_17block_load_methodE3ELS4_3ELS4_3ELNS0_20block_scan_algorithmE0ELj4294967295EEENS1_25partition_config_selectorILNS1_17partition_subalgoE3EjNS0_10empty_typeEbEEZZNS1_14partition_implILS8_3ELb0ES6_jNS0_17counting_iteratorIjlEEPS9_SE_NS0_5tupleIJPjSE_EEENSF_IJSE_SE_EEES9_SG_JZNS1_25segmented_radix_sort_implINS0_14default_configELb0EPKsPsPKlPlN2at6native12_GLOBAL__N_18offset_tEEE10hipError_tPvRmT1_PNSt15iterator_traitsISY_E10value_typeET2_T3_PNSZ_IS14_E10value_typeET4_jRbjT5_S1A_jjP12ihipStream_tbEUljE_EEESV_SW_SX_S14_S18_S1A_T6_T7_T9_mT8_S1C_bDpT10_ENKUlT_T0_E_clISt17integral_constantIbLb0EES1O_IbLb1EEEEDaS1K_S1L_EUlS1K_E_NS1_11comp_targetILNS1_3genE3ELNS1_11target_archE908ELNS1_3gpuE7ELNS1_3repE0EEENS1_30default_config_static_selectorELNS0_4arch9wavefront6targetE0EEEvSY_: ; @_ZN7rocprim17ROCPRIM_400000_NS6detail17trampoline_kernelINS0_13select_configILj256ELj13ELNS0_17block_load_methodE3ELS4_3ELS4_3ELNS0_20block_scan_algorithmE0ELj4294967295EEENS1_25partition_config_selectorILNS1_17partition_subalgoE3EjNS0_10empty_typeEbEEZZNS1_14partition_implILS8_3ELb0ES6_jNS0_17counting_iteratorIjlEEPS9_SE_NS0_5tupleIJPjSE_EEENSF_IJSE_SE_EEES9_SG_JZNS1_25segmented_radix_sort_implINS0_14default_configELb0EPKsPsPKlPlN2at6native12_GLOBAL__N_18offset_tEEE10hipError_tPvRmT1_PNSt15iterator_traitsISY_E10value_typeET2_T3_PNSZ_IS14_E10value_typeET4_jRbjT5_S1A_jjP12ihipStream_tbEUljE_EEESV_SW_SX_S14_S18_S1A_T6_T7_T9_mT8_S1C_bDpT10_ENKUlT_T0_E_clISt17integral_constantIbLb0EES1O_IbLb1EEEEDaS1K_S1L_EUlS1K_E_NS1_11comp_targetILNS1_3genE3ELNS1_11target_archE908ELNS1_3gpuE7ELNS1_3repE0EEENS1_30default_config_static_selectorELNS0_4arch9wavefront6targetE0EEEvSY_
; %bb.0:
	.section	.rodata,"a",@progbits
	.p2align	6, 0x0
	.amdhsa_kernel _ZN7rocprim17ROCPRIM_400000_NS6detail17trampoline_kernelINS0_13select_configILj256ELj13ELNS0_17block_load_methodE3ELS4_3ELS4_3ELNS0_20block_scan_algorithmE0ELj4294967295EEENS1_25partition_config_selectorILNS1_17partition_subalgoE3EjNS0_10empty_typeEbEEZZNS1_14partition_implILS8_3ELb0ES6_jNS0_17counting_iteratorIjlEEPS9_SE_NS0_5tupleIJPjSE_EEENSF_IJSE_SE_EEES9_SG_JZNS1_25segmented_radix_sort_implINS0_14default_configELb0EPKsPsPKlPlN2at6native12_GLOBAL__N_18offset_tEEE10hipError_tPvRmT1_PNSt15iterator_traitsISY_E10value_typeET2_T3_PNSZ_IS14_E10value_typeET4_jRbjT5_S1A_jjP12ihipStream_tbEUljE_EEESV_SW_SX_S14_S18_S1A_T6_T7_T9_mT8_S1C_bDpT10_ENKUlT_T0_E_clISt17integral_constantIbLb0EES1O_IbLb1EEEEDaS1K_S1L_EUlS1K_E_NS1_11comp_targetILNS1_3genE3ELNS1_11target_archE908ELNS1_3gpuE7ELNS1_3repE0EEENS1_30default_config_static_selectorELNS0_4arch9wavefront6targetE0EEEvSY_
		.amdhsa_group_segment_fixed_size 0
		.amdhsa_private_segment_fixed_size 0
		.amdhsa_kernarg_size 152
		.amdhsa_user_sgpr_count 6
		.amdhsa_user_sgpr_private_segment_buffer 1
		.amdhsa_user_sgpr_dispatch_ptr 0
		.amdhsa_user_sgpr_queue_ptr 0
		.amdhsa_user_sgpr_kernarg_segment_ptr 1
		.amdhsa_user_sgpr_dispatch_id 0
		.amdhsa_user_sgpr_flat_scratch_init 0
		.amdhsa_user_sgpr_private_segment_size 0
		.amdhsa_wavefront_size32 1
		.amdhsa_uses_dynamic_stack 0
		.amdhsa_system_sgpr_private_segment_wavefront_offset 0
		.amdhsa_system_sgpr_workgroup_id_x 1
		.amdhsa_system_sgpr_workgroup_id_y 0
		.amdhsa_system_sgpr_workgroup_id_z 0
		.amdhsa_system_sgpr_workgroup_info 0
		.amdhsa_system_vgpr_workitem_id 0
		.amdhsa_next_free_vgpr 1
		.amdhsa_next_free_sgpr 1
		.amdhsa_reserve_vcc 0
		.amdhsa_reserve_flat_scratch 0
		.amdhsa_float_round_mode_32 0
		.amdhsa_float_round_mode_16_64 0
		.amdhsa_float_denorm_mode_32 3
		.amdhsa_float_denorm_mode_16_64 3
		.amdhsa_dx10_clamp 1
		.amdhsa_ieee_mode 1
		.amdhsa_fp16_overflow 0
		.amdhsa_workgroup_processor_mode 1
		.amdhsa_memory_ordered 1
		.amdhsa_forward_progress 1
		.amdhsa_shared_vgpr_count 0
		.amdhsa_exception_fp_ieee_invalid_op 0
		.amdhsa_exception_fp_denorm_src 0
		.amdhsa_exception_fp_ieee_div_zero 0
		.amdhsa_exception_fp_ieee_overflow 0
		.amdhsa_exception_fp_ieee_underflow 0
		.amdhsa_exception_fp_ieee_inexact 0
		.amdhsa_exception_int_div_zero 0
	.end_amdhsa_kernel
	.section	.text._ZN7rocprim17ROCPRIM_400000_NS6detail17trampoline_kernelINS0_13select_configILj256ELj13ELNS0_17block_load_methodE3ELS4_3ELS4_3ELNS0_20block_scan_algorithmE0ELj4294967295EEENS1_25partition_config_selectorILNS1_17partition_subalgoE3EjNS0_10empty_typeEbEEZZNS1_14partition_implILS8_3ELb0ES6_jNS0_17counting_iteratorIjlEEPS9_SE_NS0_5tupleIJPjSE_EEENSF_IJSE_SE_EEES9_SG_JZNS1_25segmented_radix_sort_implINS0_14default_configELb0EPKsPsPKlPlN2at6native12_GLOBAL__N_18offset_tEEE10hipError_tPvRmT1_PNSt15iterator_traitsISY_E10value_typeET2_T3_PNSZ_IS14_E10value_typeET4_jRbjT5_S1A_jjP12ihipStream_tbEUljE_EEESV_SW_SX_S14_S18_S1A_T6_T7_T9_mT8_S1C_bDpT10_ENKUlT_T0_E_clISt17integral_constantIbLb0EES1O_IbLb1EEEEDaS1K_S1L_EUlS1K_E_NS1_11comp_targetILNS1_3genE3ELNS1_11target_archE908ELNS1_3gpuE7ELNS1_3repE0EEENS1_30default_config_static_selectorELNS0_4arch9wavefront6targetE0EEEvSY_,"axG",@progbits,_ZN7rocprim17ROCPRIM_400000_NS6detail17trampoline_kernelINS0_13select_configILj256ELj13ELNS0_17block_load_methodE3ELS4_3ELS4_3ELNS0_20block_scan_algorithmE0ELj4294967295EEENS1_25partition_config_selectorILNS1_17partition_subalgoE3EjNS0_10empty_typeEbEEZZNS1_14partition_implILS8_3ELb0ES6_jNS0_17counting_iteratorIjlEEPS9_SE_NS0_5tupleIJPjSE_EEENSF_IJSE_SE_EEES9_SG_JZNS1_25segmented_radix_sort_implINS0_14default_configELb0EPKsPsPKlPlN2at6native12_GLOBAL__N_18offset_tEEE10hipError_tPvRmT1_PNSt15iterator_traitsISY_E10value_typeET2_T3_PNSZ_IS14_E10value_typeET4_jRbjT5_S1A_jjP12ihipStream_tbEUljE_EEESV_SW_SX_S14_S18_S1A_T6_T7_T9_mT8_S1C_bDpT10_ENKUlT_T0_E_clISt17integral_constantIbLb0EES1O_IbLb1EEEEDaS1K_S1L_EUlS1K_E_NS1_11comp_targetILNS1_3genE3ELNS1_11target_archE908ELNS1_3gpuE7ELNS1_3repE0EEENS1_30default_config_static_selectorELNS0_4arch9wavefront6targetE0EEEvSY_,comdat
.Lfunc_end1002:
	.size	_ZN7rocprim17ROCPRIM_400000_NS6detail17trampoline_kernelINS0_13select_configILj256ELj13ELNS0_17block_load_methodE3ELS4_3ELS4_3ELNS0_20block_scan_algorithmE0ELj4294967295EEENS1_25partition_config_selectorILNS1_17partition_subalgoE3EjNS0_10empty_typeEbEEZZNS1_14partition_implILS8_3ELb0ES6_jNS0_17counting_iteratorIjlEEPS9_SE_NS0_5tupleIJPjSE_EEENSF_IJSE_SE_EEES9_SG_JZNS1_25segmented_radix_sort_implINS0_14default_configELb0EPKsPsPKlPlN2at6native12_GLOBAL__N_18offset_tEEE10hipError_tPvRmT1_PNSt15iterator_traitsISY_E10value_typeET2_T3_PNSZ_IS14_E10value_typeET4_jRbjT5_S1A_jjP12ihipStream_tbEUljE_EEESV_SW_SX_S14_S18_S1A_T6_T7_T9_mT8_S1C_bDpT10_ENKUlT_T0_E_clISt17integral_constantIbLb0EES1O_IbLb1EEEEDaS1K_S1L_EUlS1K_E_NS1_11comp_targetILNS1_3genE3ELNS1_11target_archE908ELNS1_3gpuE7ELNS1_3repE0EEENS1_30default_config_static_selectorELNS0_4arch9wavefront6targetE0EEEvSY_, .Lfunc_end1002-_ZN7rocprim17ROCPRIM_400000_NS6detail17trampoline_kernelINS0_13select_configILj256ELj13ELNS0_17block_load_methodE3ELS4_3ELS4_3ELNS0_20block_scan_algorithmE0ELj4294967295EEENS1_25partition_config_selectorILNS1_17partition_subalgoE3EjNS0_10empty_typeEbEEZZNS1_14partition_implILS8_3ELb0ES6_jNS0_17counting_iteratorIjlEEPS9_SE_NS0_5tupleIJPjSE_EEENSF_IJSE_SE_EEES9_SG_JZNS1_25segmented_radix_sort_implINS0_14default_configELb0EPKsPsPKlPlN2at6native12_GLOBAL__N_18offset_tEEE10hipError_tPvRmT1_PNSt15iterator_traitsISY_E10value_typeET2_T3_PNSZ_IS14_E10value_typeET4_jRbjT5_S1A_jjP12ihipStream_tbEUljE_EEESV_SW_SX_S14_S18_S1A_T6_T7_T9_mT8_S1C_bDpT10_ENKUlT_T0_E_clISt17integral_constantIbLb0EES1O_IbLb1EEEEDaS1K_S1L_EUlS1K_E_NS1_11comp_targetILNS1_3genE3ELNS1_11target_archE908ELNS1_3gpuE7ELNS1_3repE0EEENS1_30default_config_static_selectorELNS0_4arch9wavefront6targetE0EEEvSY_
                                        ; -- End function
	.set _ZN7rocprim17ROCPRIM_400000_NS6detail17trampoline_kernelINS0_13select_configILj256ELj13ELNS0_17block_load_methodE3ELS4_3ELS4_3ELNS0_20block_scan_algorithmE0ELj4294967295EEENS1_25partition_config_selectorILNS1_17partition_subalgoE3EjNS0_10empty_typeEbEEZZNS1_14partition_implILS8_3ELb0ES6_jNS0_17counting_iteratorIjlEEPS9_SE_NS0_5tupleIJPjSE_EEENSF_IJSE_SE_EEES9_SG_JZNS1_25segmented_radix_sort_implINS0_14default_configELb0EPKsPsPKlPlN2at6native12_GLOBAL__N_18offset_tEEE10hipError_tPvRmT1_PNSt15iterator_traitsISY_E10value_typeET2_T3_PNSZ_IS14_E10value_typeET4_jRbjT5_S1A_jjP12ihipStream_tbEUljE_EEESV_SW_SX_S14_S18_S1A_T6_T7_T9_mT8_S1C_bDpT10_ENKUlT_T0_E_clISt17integral_constantIbLb0EES1O_IbLb1EEEEDaS1K_S1L_EUlS1K_E_NS1_11comp_targetILNS1_3genE3ELNS1_11target_archE908ELNS1_3gpuE7ELNS1_3repE0EEENS1_30default_config_static_selectorELNS0_4arch9wavefront6targetE0EEEvSY_.num_vgpr, 0
	.set _ZN7rocprim17ROCPRIM_400000_NS6detail17trampoline_kernelINS0_13select_configILj256ELj13ELNS0_17block_load_methodE3ELS4_3ELS4_3ELNS0_20block_scan_algorithmE0ELj4294967295EEENS1_25partition_config_selectorILNS1_17partition_subalgoE3EjNS0_10empty_typeEbEEZZNS1_14partition_implILS8_3ELb0ES6_jNS0_17counting_iteratorIjlEEPS9_SE_NS0_5tupleIJPjSE_EEENSF_IJSE_SE_EEES9_SG_JZNS1_25segmented_radix_sort_implINS0_14default_configELb0EPKsPsPKlPlN2at6native12_GLOBAL__N_18offset_tEEE10hipError_tPvRmT1_PNSt15iterator_traitsISY_E10value_typeET2_T3_PNSZ_IS14_E10value_typeET4_jRbjT5_S1A_jjP12ihipStream_tbEUljE_EEESV_SW_SX_S14_S18_S1A_T6_T7_T9_mT8_S1C_bDpT10_ENKUlT_T0_E_clISt17integral_constantIbLb0EES1O_IbLb1EEEEDaS1K_S1L_EUlS1K_E_NS1_11comp_targetILNS1_3genE3ELNS1_11target_archE908ELNS1_3gpuE7ELNS1_3repE0EEENS1_30default_config_static_selectorELNS0_4arch9wavefront6targetE0EEEvSY_.num_agpr, 0
	.set _ZN7rocprim17ROCPRIM_400000_NS6detail17trampoline_kernelINS0_13select_configILj256ELj13ELNS0_17block_load_methodE3ELS4_3ELS4_3ELNS0_20block_scan_algorithmE0ELj4294967295EEENS1_25partition_config_selectorILNS1_17partition_subalgoE3EjNS0_10empty_typeEbEEZZNS1_14partition_implILS8_3ELb0ES6_jNS0_17counting_iteratorIjlEEPS9_SE_NS0_5tupleIJPjSE_EEENSF_IJSE_SE_EEES9_SG_JZNS1_25segmented_radix_sort_implINS0_14default_configELb0EPKsPsPKlPlN2at6native12_GLOBAL__N_18offset_tEEE10hipError_tPvRmT1_PNSt15iterator_traitsISY_E10value_typeET2_T3_PNSZ_IS14_E10value_typeET4_jRbjT5_S1A_jjP12ihipStream_tbEUljE_EEESV_SW_SX_S14_S18_S1A_T6_T7_T9_mT8_S1C_bDpT10_ENKUlT_T0_E_clISt17integral_constantIbLb0EES1O_IbLb1EEEEDaS1K_S1L_EUlS1K_E_NS1_11comp_targetILNS1_3genE3ELNS1_11target_archE908ELNS1_3gpuE7ELNS1_3repE0EEENS1_30default_config_static_selectorELNS0_4arch9wavefront6targetE0EEEvSY_.numbered_sgpr, 0
	.set _ZN7rocprim17ROCPRIM_400000_NS6detail17trampoline_kernelINS0_13select_configILj256ELj13ELNS0_17block_load_methodE3ELS4_3ELS4_3ELNS0_20block_scan_algorithmE0ELj4294967295EEENS1_25partition_config_selectorILNS1_17partition_subalgoE3EjNS0_10empty_typeEbEEZZNS1_14partition_implILS8_3ELb0ES6_jNS0_17counting_iteratorIjlEEPS9_SE_NS0_5tupleIJPjSE_EEENSF_IJSE_SE_EEES9_SG_JZNS1_25segmented_radix_sort_implINS0_14default_configELb0EPKsPsPKlPlN2at6native12_GLOBAL__N_18offset_tEEE10hipError_tPvRmT1_PNSt15iterator_traitsISY_E10value_typeET2_T3_PNSZ_IS14_E10value_typeET4_jRbjT5_S1A_jjP12ihipStream_tbEUljE_EEESV_SW_SX_S14_S18_S1A_T6_T7_T9_mT8_S1C_bDpT10_ENKUlT_T0_E_clISt17integral_constantIbLb0EES1O_IbLb1EEEEDaS1K_S1L_EUlS1K_E_NS1_11comp_targetILNS1_3genE3ELNS1_11target_archE908ELNS1_3gpuE7ELNS1_3repE0EEENS1_30default_config_static_selectorELNS0_4arch9wavefront6targetE0EEEvSY_.num_named_barrier, 0
	.set _ZN7rocprim17ROCPRIM_400000_NS6detail17trampoline_kernelINS0_13select_configILj256ELj13ELNS0_17block_load_methodE3ELS4_3ELS4_3ELNS0_20block_scan_algorithmE0ELj4294967295EEENS1_25partition_config_selectorILNS1_17partition_subalgoE3EjNS0_10empty_typeEbEEZZNS1_14partition_implILS8_3ELb0ES6_jNS0_17counting_iteratorIjlEEPS9_SE_NS0_5tupleIJPjSE_EEENSF_IJSE_SE_EEES9_SG_JZNS1_25segmented_radix_sort_implINS0_14default_configELb0EPKsPsPKlPlN2at6native12_GLOBAL__N_18offset_tEEE10hipError_tPvRmT1_PNSt15iterator_traitsISY_E10value_typeET2_T3_PNSZ_IS14_E10value_typeET4_jRbjT5_S1A_jjP12ihipStream_tbEUljE_EEESV_SW_SX_S14_S18_S1A_T6_T7_T9_mT8_S1C_bDpT10_ENKUlT_T0_E_clISt17integral_constantIbLb0EES1O_IbLb1EEEEDaS1K_S1L_EUlS1K_E_NS1_11comp_targetILNS1_3genE3ELNS1_11target_archE908ELNS1_3gpuE7ELNS1_3repE0EEENS1_30default_config_static_selectorELNS0_4arch9wavefront6targetE0EEEvSY_.private_seg_size, 0
	.set _ZN7rocprim17ROCPRIM_400000_NS6detail17trampoline_kernelINS0_13select_configILj256ELj13ELNS0_17block_load_methodE3ELS4_3ELS4_3ELNS0_20block_scan_algorithmE0ELj4294967295EEENS1_25partition_config_selectorILNS1_17partition_subalgoE3EjNS0_10empty_typeEbEEZZNS1_14partition_implILS8_3ELb0ES6_jNS0_17counting_iteratorIjlEEPS9_SE_NS0_5tupleIJPjSE_EEENSF_IJSE_SE_EEES9_SG_JZNS1_25segmented_radix_sort_implINS0_14default_configELb0EPKsPsPKlPlN2at6native12_GLOBAL__N_18offset_tEEE10hipError_tPvRmT1_PNSt15iterator_traitsISY_E10value_typeET2_T3_PNSZ_IS14_E10value_typeET4_jRbjT5_S1A_jjP12ihipStream_tbEUljE_EEESV_SW_SX_S14_S18_S1A_T6_T7_T9_mT8_S1C_bDpT10_ENKUlT_T0_E_clISt17integral_constantIbLb0EES1O_IbLb1EEEEDaS1K_S1L_EUlS1K_E_NS1_11comp_targetILNS1_3genE3ELNS1_11target_archE908ELNS1_3gpuE7ELNS1_3repE0EEENS1_30default_config_static_selectorELNS0_4arch9wavefront6targetE0EEEvSY_.uses_vcc, 0
	.set _ZN7rocprim17ROCPRIM_400000_NS6detail17trampoline_kernelINS0_13select_configILj256ELj13ELNS0_17block_load_methodE3ELS4_3ELS4_3ELNS0_20block_scan_algorithmE0ELj4294967295EEENS1_25partition_config_selectorILNS1_17partition_subalgoE3EjNS0_10empty_typeEbEEZZNS1_14partition_implILS8_3ELb0ES6_jNS0_17counting_iteratorIjlEEPS9_SE_NS0_5tupleIJPjSE_EEENSF_IJSE_SE_EEES9_SG_JZNS1_25segmented_radix_sort_implINS0_14default_configELb0EPKsPsPKlPlN2at6native12_GLOBAL__N_18offset_tEEE10hipError_tPvRmT1_PNSt15iterator_traitsISY_E10value_typeET2_T3_PNSZ_IS14_E10value_typeET4_jRbjT5_S1A_jjP12ihipStream_tbEUljE_EEESV_SW_SX_S14_S18_S1A_T6_T7_T9_mT8_S1C_bDpT10_ENKUlT_T0_E_clISt17integral_constantIbLb0EES1O_IbLb1EEEEDaS1K_S1L_EUlS1K_E_NS1_11comp_targetILNS1_3genE3ELNS1_11target_archE908ELNS1_3gpuE7ELNS1_3repE0EEENS1_30default_config_static_selectorELNS0_4arch9wavefront6targetE0EEEvSY_.uses_flat_scratch, 0
	.set _ZN7rocprim17ROCPRIM_400000_NS6detail17trampoline_kernelINS0_13select_configILj256ELj13ELNS0_17block_load_methodE3ELS4_3ELS4_3ELNS0_20block_scan_algorithmE0ELj4294967295EEENS1_25partition_config_selectorILNS1_17partition_subalgoE3EjNS0_10empty_typeEbEEZZNS1_14partition_implILS8_3ELb0ES6_jNS0_17counting_iteratorIjlEEPS9_SE_NS0_5tupleIJPjSE_EEENSF_IJSE_SE_EEES9_SG_JZNS1_25segmented_radix_sort_implINS0_14default_configELb0EPKsPsPKlPlN2at6native12_GLOBAL__N_18offset_tEEE10hipError_tPvRmT1_PNSt15iterator_traitsISY_E10value_typeET2_T3_PNSZ_IS14_E10value_typeET4_jRbjT5_S1A_jjP12ihipStream_tbEUljE_EEESV_SW_SX_S14_S18_S1A_T6_T7_T9_mT8_S1C_bDpT10_ENKUlT_T0_E_clISt17integral_constantIbLb0EES1O_IbLb1EEEEDaS1K_S1L_EUlS1K_E_NS1_11comp_targetILNS1_3genE3ELNS1_11target_archE908ELNS1_3gpuE7ELNS1_3repE0EEENS1_30default_config_static_selectorELNS0_4arch9wavefront6targetE0EEEvSY_.has_dyn_sized_stack, 0
	.set _ZN7rocprim17ROCPRIM_400000_NS6detail17trampoline_kernelINS0_13select_configILj256ELj13ELNS0_17block_load_methodE3ELS4_3ELS4_3ELNS0_20block_scan_algorithmE0ELj4294967295EEENS1_25partition_config_selectorILNS1_17partition_subalgoE3EjNS0_10empty_typeEbEEZZNS1_14partition_implILS8_3ELb0ES6_jNS0_17counting_iteratorIjlEEPS9_SE_NS0_5tupleIJPjSE_EEENSF_IJSE_SE_EEES9_SG_JZNS1_25segmented_radix_sort_implINS0_14default_configELb0EPKsPsPKlPlN2at6native12_GLOBAL__N_18offset_tEEE10hipError_tPvRmT1_PNSt15iterator_traitsISY_E10value_typeET2_T3_PNSZ_IS14_E10value_typeET4_jRbjT5_S1A_jjP12ihipStream_tbEUljE_EEESV_SW_SX_S14_S18_S1A_T6_T7_T9_mT8_S1C_bDpT10_ENKUlT_T0_E_clISt17integral_constantIbLb0EES1O_IbLb1EEEEDaS1K_S1L_EUlS1K_E_NS1_11comp_targetILNS1_3genE3ELNS1_11target_archE908ELNS1_3gpuE7ELNS1_3repE0EEENS1_30default_config_static_selectorELNS0_4arch9wavefront6targetE0EEEvSY_.has_recursion, 0
	.set _ZN7rocprim17ROCPRIM_400000_NS6detail17trampoline_kernelINS0_13select_configILj256ELj13ELNS0_17block_load_methodE3ELS4_3ELS4_3ELNS0_20block_scan_algorithmE0ELj4294967295EEENS1_25partition_config_selectorILNS1_17partition_subalgoE3EjNS0_10empty_typeEbEEZZNS1_14partition_implILS8_3ELb0ES6_jNS0_17counting_iteratorIjlEEPS9_SE_NS0_5tupleIJPjSE_EEENSF_IJSE_SE_EEES9_SG_JZNS1_25segmented_radix_sort_implINS0_14default_configELb0EPKsPsPKlPlN2at6native12_GLOBAL__N_18offset_tEEE10hipError_tPvRmT1_PNSt15iterator_traitsISY_E10value_typeET2_T3_PNSZ_IS14_E10value_typeET4_jRbjT5_S1A_jjP12ihipStream_tbEUljE_EEESV_SW_SX_S14_S18_S1A_T6_T7_T9_mT8_S1C_bDpT10_ENKUlT_T0_E_clISt17integral_constantIbLb0EES1O_IbLb1EEEEDaS1K_S1L_EUlS1K_E_NS1_11comp_targetILNS1_3genE3ELNS1_11target_archE908ELNS1_3gpuE7ELNS1_3repE0EEENS1_30default_config_static_selectorELNS0_4arch9wavefront6targetE0EEEvSY_.has_indirect_call, 0
	.section	.AMDGPU.csdata,"",@progbits
; Kernel info:
; codeLenInByte = 0
; TotalNumSgprs: 0
; NumVgprs: 0
; ScratchSize: 0
; MemoryBound: 0
; FloatMode: 240
; IeeeMode: 1
; LDSByteSize: 0 bytes/workgroup (compile time only)
; SGPRBlocks: 0
; VGPRBlocks: 0
; NumSGPRsForWavesPerEU: 1
; NumVGPRsForWavesPerEU: 1
; Occupancy: 16
; WaveLimiterHint : 0
; COMPUTE_PGM_RSRC2:SCRATCH_EN: 0
; COMPUTE_PGM_RSRC2:USER_SGPR: 6
; COMPUTE_PGM_RSRC2:TRAP_HANDLER: 0
; COMPUTE_PGM_RSRC2:TGID_X_EN: 1
; COMPUTE_PGM_RSRC2:TGID_Y_EN: 0
; COMPUTE_PGM_RSRC2:TGID_Z_EN: 0
; COMPUTE_PGM_RSRC2:TIDIG_COMP_CNT: 0
	.section	.text._ZN7rocprim17ROCPRIM_400000_NS6detail17trampoline_kernelINS0_13select_configILj256ELj13ELNS0_17block_load_methodE3ELS4_3ELS4_3ELNS0_20block_scan_algorithmE0ELj4294967295EEENS1_25partition_config_selectorILNS1_17partition_subalgoE3EjNS0_10empty_typeEbEEZZNS1_14partition_implILS8_3ELb0ES6_jNS0_17counting_iteratorIjlEEPS9_SE_NS0_5tupleIJPjSE_EEENSF_IJSE_SE_EEES9_SG_JZNS1_25segmented_radix_sort_implINS0_14default_configELb0EPKsPsPKlPlN2at6native12_GLOBAL__N_18offset_tEEE10hipError_tPvRmT1_PNSt15iterator_traitsISY_E10value_typeET2_T3_PNSZ_IS14_E10value_typeET4_jRbjT5_S1A_jjP12ihipStream_tbEUljE_EEESV_SW_SX_S14_S18_S1A_T6_T7_T9_mT8_S1C_bDpT10_ENKUlT_T0_E_clISt17integral_constantIbLb0EES1O_IbLb1EEEEDaS1K_S1L_EUlS1K_E_NS1_11comp_targetILNS1_3genE2ELNS1_11target_archE906ELNS1_3gpuE6ELNS1_3repE0EEENS1_30default_config_static_selectorELNS0_4arch9wavefront6targetE0EEEvSY_,"axG",@progbits,_ZN7rocprim17ROCPRIM_400000_NS6detail17trampoline_kernelINS0_13select_configILj256ELj13ELNS0_17block_load_methodE3ELS4_3ELS4_3ELNS0_20block_scan_algorithmE0ELj4294967295EEENS1_25partition_config_selectorILNS1_17partition_subalgoE3EjNS0_10empty_typeEbEEZZNS1_14partition_implILS8_3ELb0ES6_jNS0_17counting_iteratorIjlEEPS9_SE_NS0_5tupleIJPjSE_EEENSF_IJSE_SE_EEES9_SG_JZNS1_25segmented_radix_sort_implINS0_14default_configELb0EPKsPsPKlPlN2at6native12_GLOBAL__N_18offset_tEEE10hipError_tPvRmT1_PNSt15iterator_traitsISY_E10value_typeET2_T3_PNSZ_IS14_E10value_typeET4_jRbjT5_S1A_jjP12ihipStream_tbEUljE_EEESV_SW_SX_S14_S18_S1A_T6_T7_T9_mT8_S1C_bDpT10_ENKUlT_T0_E_clISt17integral_constantIbLb0EES1O_IbLb1EEEEDaS1K_S1L_EUlS1K_E_NS1_11comp_targetILNS1_3genE2ELNS1_11target_archE906ELNS1_3gpuE6ELNS1_3repE0EEENS1_30default_config_static_selectorELNS0_4arch9wavefront6targetE0EEEvSY_,comdat
	.globl	_ZN7rocprim17ROCPRIM_400000_NS6detail17trampoline_kernelINS0_13select_configILj256ELj13ELNS0_17block_load_methodE3ELS4_3ELS4_3ELNS0_20block_scan_algorithmE0ELj4294967295EEENS1_25partition_config_selectorILNS1_17partition_subalgoE3EjNS0_10empty_typeEbEEZZNS1_14partition_implILS8_3ELb0ES6_jNS0_17counting_iteratorIjlEEPS9_SE_NS0_5tupleIJPjSE_EEENSF_IJSE_SE_EEES9_SG_JZNS1_25segmented_radix_sort_implINS0_14default_configELb0EPKsPsPKlPlN2at6native12_GLOBAL__N_18offset_tEEE10hipError_tPvRmT1_PNSt15iterator_traitsISY_E10value_typeET2_T3_PNSZ_IS14_E10value_typeET4_jRbjT5_S1A_jjP12ihipStream_tbEUljE_EEESV_SW_SX_S14_S18_S1A_T6_T7_T9_mT8_S1C_bDpT10_ENKUlT_T0_E_clISt17integral_constantIbLb0EES1O_IbLb1EEEEDaS1K_S1L_EUlS1K_E_NS1_11comp_targetILNS1_3genE2ELNS1_11target_archE906ELNS1_3gpuE6ELNS1_3repE0EEENS1_30default_config_static_selectorELNS0_4arch9wavefront6targetE0EEEvSY_ ; -- Begin function _ZN7rocprim17ROCPRIM_400000_NS6detail17trampoline_kernelINS0_13select_configILj256ELj13ELNS0_17block_load_methodE3ELS4_3ELS4_3ELNS0_20block_scan_algorithmE0ELj4294967295EEENS1_25partition_config_selectorILNS1_17partition_subalgoE3EjNS0_10empty_typeEbEEZZNS1_14partition_implILS8_3ELb0ES6_jNS0_17counting_iteratorIjlEEPS9_SE_NS0_5tupleIJPjSE_EEENSF_IJSE_SE_EEES9_SG_JZNS1_25segmented_radix_sort_implINS0_14default_configELb0EPKsPsPKlPlN2at6native12_GLOBAL__N_18offset_tEEE10hipError_tPvRmT1_PNSt15iterator_traitsISY_E10value_typeET2_T3_PNSZ_IS14_E10value_typeET4_jRbjT5_S1A_jjP12ihipStream_tbEUljE_EEESV_SW_SX_S14_S18_S1A_T6_T7_T9_mT8_S1C_bDpT10_ENKUlT_T0_E_clISt17integral_constantIbLb0EES1O_IbLb1EEEEDaS1K_S1L_EUlS1K_E_NS1_11comp_targetILNS1_3genE2ELNS1_11target_archE906ELNS1_3gpuE6ELNS1_3repE0EEENS1_30default_config_static_selectorELNS0_4arch9wavefront6targetE0EEEvSY_
	.p2align	8
	.type	_ZN7rocprim17ROCPRIM_400000_NS6detail17trampoline_kernelINS0_13select_configILj256ELj13ELNS0_17block_load_methodE3ELS4_3ELS4_3ELNS0_20block_scan_algorithmE0ELj4294967295EEENS1_25partition_config_selectorILNS1_17partition_subalgoE3EjNS0_10empty_typeEbEEZZNS1_14partition_implILS8_3ELb0ES6_jNS0_17counting_iteratorIjlEEPS9_SE_NS0_5tupleIJPjSE_EEENSF_IJSE_SE_EEES9_SG_JZNS1_25segmented_radix_sort_implINS0_14default_configELb0EPKsPsPKlPlN2at6native12_GLOBAL__N_18offset_tEEE10hipError_tPvRmT1_PNSt15iterator_traitsISY_E10value_typeET2_T3_PNSZ_IS14_E10value_typeET4_jRbjT5_S1A_jjP12ihipStream_tbEUljE_EEESV_SW_SX_S14_S18_S1A_T6_T7_T9_mT8_S1C_bDpT10_ENKUlT_T0_E_clISt17integral_constantIbLb0EES1O_IbLb1EEEEDaS1K_S1L_EUlS1K_E_NS1_11comp_targetILNS1_3genE2ELNS1_11target_archE906ELNS1_3gpuE6ELNS1_3repE0EEENS1_30default_config_static_selectorELNS0_4arch9wavefront6targetE0EEEvSY_,@function
_ZN7rocprim17ROCPRIM_400000_NS6detail17trampoline_kernelINS0_13select_configILj256ELj13ELNS0_17block_load_methodE3ELS4_3ELS4_3ELNS0_20block_scan_algorithmE0ELj4294967295EEENS1_25partition_config_selectorILNS1_17partition_subalgoE3EjNS0_10empty_typeEbEEZZNS1_14partition_implILS8_3ELb0ES6_jNS0_17counting_iteratorIjlEEPS9_SE_NS0_5tupleIJPjSE_EEENSF_IJSE_SE_EEES9_SG_JZNS1_25segmented_radix_sort_implINS0_14default_configELb0EPKsPsPKlPlN2at6native12_GLOBAL__N_18offset_tEEE10hipError_tPvRmT1_PNSt15iterator_traitsISY_E10value_typeET2_T3_PNSZ_IS14_E10value_typeET4_jRbjT5_S1A_jjP12ihipStream_tbEUljE_EEESV_SW_SX_S14_S18_S1A_T6_T7_T9_mT8_S1C_bDpT10_ENKUlT_T0_E_clISt17integral_constantIbLb0EES1O_IbLb1EEEEDaS1K_S1L_EUlS1K_E_NS1_11comp_targetILNS1_3genE2ELNS1_11target_archE906ELNS1_3gpuE6ELNS1_3repE0EEENS1_30default_config_static_selectorELNS0_4arch9wavefront6targetE0EEEvSY_: ; @_ZN7rocprim17ROCPRIM_400000_NS6detail17trampoline_kernelINS0_13select_configILj256ELj13ELNS0_17block_load_methodE3ELS4_3ELS4_3ELNS0_20block_scan_algorithmE0ELj4294967295EEENS1_25partition_config_selectorILNS1_17partition_subalgoE3EjNS0_10empty_typeEbEEZZNS1_14partition_implILS8_3ELb0ES6_jNS0_17counting_iteratorIjlEEPS9_SE_NS0_5tupleIJPjSE_EEENSF_IJSE_SE_EEES9_SG_JZNS1_25segmented_radix_sort_implINS0_14default_configELb0EPKsPsPKlPlN2at6native12_GLOBAL__N_18offset_tEEE10hipError_tPvRmT1_PNSt15iterator_traitsISY_E10value_typeET2_T3_PNSZ_IS14_E10value_typeET4_jRbjT5_S1A_jjP12ihipStream_tbEUljE_EEESV_SW_SX_S14_S18_S1A_T6_T7_T9_mT8_S1C_bDpT10_ENKUlT_T0_E_clISt17integral_constantIbLb0EES1O_IbLb1EEEEDaS1K_S1L_EUlS1K_E_NS1_11comp_targetILNS1_3genE2ELNS1_11target_archE906ELNS1_3gpuE6ELNS1_3repE0EEENS1_30default_config_static_selectorELNS0_4arch9wavefront6targetE0EEEvSY_
; %bb.0:
	.section	.rodata,"a",@progbits
	.p2align	6, 0x0
	.amdhsa_kernel _ZN7rocprim17ROCPRIM_400000_NS6detail17trampoline_kernelINS0_13select_configILj256ELj13ELNS0_17block_load_methodE3ELS4_3ELS4_3ELNS0_20block_scan_algorithmE0ELj4294967295EEENS1_25partition_config_selectorILNS1_17partition_subalgoE3EjNS0_10empty_typeEbEEZZNS1_14partition_implILS8_3ELb0ES6_jNS0_17counting_iteratorIjlEEPS9_SE_NS0_5tupleIJPjSE_EEENSF_IJSE_SE_EEES9_SG_JZNS1_25segmented_radix_sort_implINS0_14default_configELb0EPKsPsPKlPlN2at6native12_GLOBAL__N_18offset_tEEE10hipError_tPvRmT1_PNSt15iterator_traitsISY_E10value_typeET2_T3_PNSZ_IS14_E10value_typeET4_jRbjT5_S1A_jjP12ihipStream_tbEUljE_EEESV_SW_SX_S14_S18_S1A_T6_T7_T9_mT8_S1C_bDpT10_ENKUlT_T0_E_clISt17integral_constantIbLb0EES1O_IbLb1EEEEDaS1K_S1L_EUlS1K_E_NS1_11comp_targetILNS1_3genE2ELNS1_11target_archE906ELNS1_3gpuE6ELNS1_3repE0EEENS1_30default_config_static_selectorELNS0_4arch9wavefront6targetE0EEEvSY_
		.amdhsa_group_segment_fixed_size 0
		.amdhsa_private_segment_fixed_size 0
		.amdhsa_kernarg_size 152
		.amdhsa_user_sgpr_count 6
		.amdhsa_user_sgpr_private_segment_buffer 1
		.amdhsa_user_sgpr_dispatch_ptr 0
		.amdhsa_user_sgpr_queue_ptr 0
		.amdhsa_user_sgpr_kernarg_segment_ptr 1
		.amdhsa_user_sgpr_dispatch_id 0
		.amdhsa_user_sgpr_flat_scratch_init 0
		.amdhsa_user_sgpr_private_segment_size 0
		.amdhsa_wavefront_size32 1
		.amdhsa_uses_dynamic_stack 0
		.amdhsa_system_sgpr_private_segment_wavefront_offset 0
		.amdhsa_system_sgpr_workgroup_id_x 1
		.amdhsa_system_sgpr_workgroup_id_y 0
		.amdhsa_system_sgpr_workgroup_id_z 0
		.amdhsa_system_sgpr_workgroup_info 0
		.amdhsa_system_vgpr_workitem_id 0
		.amdhsa_next_free_vgpr 1
		.amdhsa_next_free_sgpr 1
		.amdhsa_reserve_vcc 0
		.amdhsa_reserve_flat_scratch 0
		.amdhsa_float_round_mode_32 0
		.amdhsa_float_round_mode_16_64 0
		.amdhsa_float_denorm_mode_32 3
		.amdhsa_float_denorm_mode_16_64 3
		.amdhsa_dx10_clamp 1
		.amdhsa_ieee_mode 1
		.amdhsa_fp16_overflow 0
		.amdhsa_workgroup_processor_mode 1
		.amdhsa_memory_ordered 1
		.amdhsa_forward_progress 1
		.amdhsa_shared_vgpr_count 0
		.amdhsa_exception_fp_ieee_invalid_op 0
		.amdhsa_exception_fp_denorm_src 0
		.amdhsa_exception_fp_ieee_div_zero 0
		.amdhsa_exception_fp_ieee_overflow 0
		.amdhsa_exception_fp_ieee_underflow 0
		.amdhsa_exception_fp_ieee_inexact 0
		.amdhsa_exception_int_div_zero 0
	.end_amdhsa_kernel
	.section	.text._ZN7rocprim17ROCPRIM_400000_NS6detail17trampoline_kernelINS0_13select_configILj256ELj13ELNS0_17block_load_methodE3ELS4_3ELS4_3ELNS0_20block_scan_algorithmE0ELj4294967295EEENS1_25partition_config_selectorILNS1_17partition_subalgoE3EjNS0_10empty_typeEbEEZZNS1_14partition_implILS8_3ELb0ES6_jNS0_17counting_iteratorIjlEEPS9_SE_NS0_5tupleIJPjSE_EEENSF_IJSE_SE_EEES9_SG_JZNS1_25segmented_radix_sort_implINS0_14default_configELb0EPKsPsPKlPlN2at6native12_GLOBAL__N_18offset_tEEE10hipError_tPvRmT1_PNSt15iterator_traitsISY_E10value_typeET2_T3_PNSZ_IS14_E10value_typeET4_jRbjT5_S1A_jjP12ihipStream_tbEUljE_EEESV_SW_SX_S14_S18_S1A_T6_T7_T9_mT8_S1C_bDpT10_ENKUlT_T0_E_clISt17integral_constantIbLb0EES1O_IbLb1EEEEDaS1K_S1L_EUlS1K_E_NS1_11comp_targetILNS1_3genE2ELNS1_11target_archE906ELNS1_3gpuE6ELNS1_3repE0EEENS1_30default_config_static_selectorELNS0_4arch9wavefront6targetE0EEEvSY_,"axG",@progbits,_ZN7rocprim17ROCPRIM_400000_NS6detail17trampoline_kernelINS0_13select_configILj256ELj13ELNS0_17block_load_methodE3ELS4_3ELS4_3ELNS0_20block_scan_algorithmE0ELj4294967295EEENS1_25partition_config_selectorILNS1_17partition_subalgoE3EjNS0_10empty_typeEbEEZZNS1_14partition_implILS8_3ELb0ES6_jNS0_17counting_iteratorIjlEEPS9_SE_NS0_5tupleIJPjSE_EEENSF_IJSE_SE_EEES9_SG_JZNS1_25segmented_radix_sort_implINS0_14default_configELb0EPKsPsPKlPlN2at6native12_GLOBAL__N_18offset_tEEE10hipError_tPvRmT1_PNSt15iterator_traitsISY_E10value_typeET2_T3_PNSZ_IS14_E10value_typeET4_jRbjT5_S1A_jjP12ihipStream_tbEUljE_EEESV_SW_SX_S14_S18_S1A_T6_T7_T9_mT8_S1C_bDpT10_ENKUlT_T0_E_clISt17integral_constantIbLb0EES1O_IbLb1EEEEDaS1K_S1L_EUlS1K_E_NS1_11comp_targetILNS1_3genE2ELNS1_11target_archE906ELNS1_3gpuE6ELNS1_3repE0EEENS1_30default_config_static_selectorELNS0_4arch9wavefront6targetE0EEEvSY_,comdat
.Lfunc_end1003:
	.size	_ZN7rocprim17ROCPRIM_400000_NS6detail17trampoline_kernelINS0_13select_configILj256ELj13ELNS0_17block_load_methodE3ELS4_3ELS4_3ELNS0_20block_scan_algorithmE0ELj4294967295EEENS1_25partition_config_selectorILNS1_17partition_subalgoE3EjNS0_10empty_typeEbEEZZNS1_14partition_implILS8_3ELb0ES6_jNS0_17counting_iteratorIjlEEPS9_SE_NS0_5tupleIJPjSE_EEENSF_IJSE_SE_EEES9_SG_JZNS1_25segmented_radix_sort_implINS0_14default_configELb0EPKsPsPKlPlN2at6native12_GLOBAL__N_18offset_tEEE10hipError_tPvRmT1_PNSt15iterator_traitsISY_E10value_typeET2_T3_PNSZ_IS14_E10value_typeET4_jRbjT5_S1A_jjP12ihipStream_tbEUljE_EEESV_SW_SX_S14_S18_S1A_T6_T7_T9_mT8_S1C_bDpT10_ENKUlT_T0_E_clISt17integral_constantIbLb0EES1O_IbLb1EEEEDaS1K_S1L_EUlS1K_E_NS1_11comp_targetILNS1_3genE2ELNS1_11target_archE906ELNS1_3gpuE6ELNS1_3repE0EEENS1_30default_config_static_selectorELNS0_4arch9wavefront6targetE0EEEvSY_, .Lfunc_end1003-_ZN7rocprim17ROCPRIM_400000_NS6detail17trampoline_kernelINS0_13select_configILj256ELj13ELNS0_17block_load_methodE3ELS4_3ELS4_3ELNS0_20block_scan_algorithmE0ELj4294967295EEENS1_25partition_config_selectorILNS1_17partition_subalgoE3EjNS0_10empty_typeEbEEZZNS1_14partition_implILS8_3ELb0ES6_jNS0_17counting_iteratorIjlEEPS9_SE_NS0_5tupleIJPjSE_EEENSF_IJSE_SE_EEES9_SG_JZNS1_25segmented_radix_sort_implINS0_14default_configELb0EPKsPsPKlPlN2at6native12_GLOBAL__N_18offset_tEEE10hipError_tPvRmT1_PNSt15iterator_traitsISY_E10value_typeET2_T3_PNSZ_IS14_E10value_typeET4_jRbjT5_S1A_jjP12ihipStream_tbEUljE_EEESV_SW_SX_S14_S18_S1A_T6_T7_T9_mT8_S1C_bDpT10_ENKUlT_T0_E_clISt17integral_constantIbLb0EES1O_IbLb1EEEEDaS1K_S1L_EUlS1K_E_NS1_11comp_targetILNS1_3genE2ELNS1_11target_archE906ELNS1_3gpuE6ELNS1_3repE0EEENS1_30default_config_static_selectorELNS0_4arch9wavefront6targetE0EEEvSY_
                                        ; -- End function
	.set _ZN7rocprim17ROCPRIM_400000_NS6detail17trampoline_kernelINS0_13select_configILj256ELj13ELNS0_17block_load_methodE3ELS4_3ELS4_3ELNS0_20block_scan_algorithmE0ELj4294967295EEENS1_25partition_config_selectorILNS1_17partition_subalgoE3EjNS0_10empty_typeEbEEZZNS1_14partition_implILS8_3ELb0ES6_jNS0_17counting_iteratorIjlEEPS9_SE_NS0_5tupleIJPjSE_EEENSF_IJSE_SE_EEES9_SG_JZNS1_25segmented_radix_sort_implINS0_14default_configELb0EPKsPsPKlPlN2at6native12_GLOBAL__N_18offset_tEEE10hipError_tPvRmT1_PNSt15iterator_traitsISY_E10value_typeET2_T3_PNSZ_IS14_E10value_typeET4_jRbjT5_S1A_jjP12ihipStream_tbEUljE_EEESV_SW_SX_S14_S18_S1A_T6_T7_T9_mT8_S1C_bDpT10_ENKUlT_T0_E_clISt17integral_constantIbLb0EES1O_IbLb1EEEEDaS1K_S1L_EUlS1K_E_NS1_11comp_targetILNS1_3genE2ELNS1_11target_archE906ELNS1_3gpuE6ELNS1_3repE0EEENS1_30default_config_static_selectorELNS0_4arch9wavefront6targetE0EEEvSY_.num_vgpr, 0
	.set _ZN7rocprim17ROCPRIM_400000_NS6detail17trampoline_kernelINS0_13select_configILj256ELj13ELNS0_17block_load_methodE3ELS4_3ELS4_3ELNS0_20block_scan_algorithmE0ELj4294967295EEENS1_25partition_config_selectorILNS1_17partition_subalgoE3EjNS0_10empty_typeEbEEZZNS1_14partition_implILS8_3ELb0ES6_jNS0_17counting_iteratorIjlEEPS9_SE_NS0_5tupleIJPjSE_EEENSF_IJSE_SE_EEES9_SG_JZNS1_25segmented_radix_sort_implINS0_14default_configELb0EPKsPsPKlPlN2at6native12_GLOBAL__N_18offset_tEEE10hipError_tPvRmT1_PNSt15iterator_traitsISY_E10value_typeET2_T3_PNSZ_IS14_E10value_typeET4_jRbjT5_S1A_jjP12ihipStream_tbEUljE_EEESV_SW_SX_S14_S18_S1A_T6_T7_T9_mT8_S1C_bDpT10_ENKUlT_T0_E_clISt17integral_constantIbLb0EES1O_IbLb1EEEEDaS1K_S1L_EUlS1K_E_NS1_11comp_targetILNS1_3genE2ELNS1_11target_archE906ELNS1_3gpuE6ELNS1_3repE0EEENS1_30default_config_static_selectorELNS0_4arch9wavefront6targetE0EEEvSY_.num_agpr, 0
	.set _ZN7rocprim17ROCPRIM_400000_NS6detail17trampoline_kernelINS0_13select_configILj256ELj13ELNS0_17block_load_methodE3ELS4_3ELS4_3ELNS0_20block_scan_algorithmE0ELj4294967295EEENS1_25partition_config_selectorILNS1_17partition_subalgoE3EjNS0_10empty_typeEbEEZZNS1_14partition_implILS8_3ELb0ES6_jNS0_17counting_iteratorIjlEEPS9_SE_NS0_5tupleIJPjSE_EEENSF_IJSE_SE_EEES9_SG_JZNS1_25segmented_radix_sort_implINS0_14default_configELb0EPKsPsPKlPlN2at6native12_GLOBAL__N_18offset_tEEE10hipError_tPvRmT1_PNSt15iterator_traitsISY_E10value_typeET2_T3_PNSZ_IS14_E10value_typeET4_jRbjT5_S1A_jjP12ihipStream_tbEUljE_EEESV_SW_SX_S14_S18_S1A_T6_T7_T9_mT8_S1C_bDpT10_ENKUlT_T0_E_clISt17integral_constantIbLb0EES1O_IbLb1EEEEDaS1K_S1L_EUlS1K_E_NS1_11comp_targetILNS1_3genE2ELNS1_11target_archE906ELNS1_3gpuE6ELNS1_3repE0EEENS1_30default_config_static_selectorELNS0_4arch9wavefront6targetE0EEEvSY_.numbered_sgpr, 0
	.set _ZN7rocprim17ROCPRIM_400000_NS6detail17trampoline_kernelINS0_13select_configILj256ELj13ELNS0_17block_load_methodE3ELS4_3ELS4_3ELNS0_20block_scan_algorithmE0ELj4294967295EEENS1_25partition_config_selectorILNS1_17partition_subalgoE3EjNS0_10empty_typeEbEEZZNS1_14partition_implILS8_3ELb0ES6_jNS0_17counting_iteratorIjlEEPS9_SE_NS0_5tupleIJPjSE_EEENSF_IJSE_SE_EEES9_SG_JZNS1_25segmented_radix_sort_implINS0_14default_configELb0EPKsPsPKlPlN2at6native12_GLOBAL__N_18offset_tEEE10hipError_tPvRmT1_PNSt15iterator_traitsISY_E10value_typeET2_T3_PNSZ_IS14_E10value_typeET4_jRbjT5_S1A_jjP12ihipStream_tbEUljE_EEESV_SW_SX_S14_S18_S1A_T6_T7_T9_mT8_S1C_bDpT10_ENKUlT_T0_E_clISt17integral_constantIbLb0EES1O_IbLb1EEEEDaS1K_S1L_EUlS1K_E_NS1_11comp_targetILNS1_3genE2ELNS1_11target_archE906ELNS1_3gpuE6ELNS1_3repE0EEENS1_30default_config_static_selectorELNS0_4arch9wavefront6targetE0EEEvSY_.num_named_barrier, 0
	.set _ZN7rocprim17ROCPRIM_400000_NS6detail17trampoline_kernelINS0_13select_configILj256ELj13ELNS0_17block_load_methodE3ELS4_3ELS4_3ELNS0_20block_scan_algorithmE0ELj4294967295EEENS1_25partition_config_selectorILNS1_17partition_subalgoE3EjNS0_10empty_typeEbEEZZNS1_14partition_implILS8_3ELb0ES6_jNS0_17counting_iteratorIjlEEPS9_SE_NS0_5tupleIJPjSE_EEENSF_IJSE_SE_EEES9_SG_JZNS1_25segmented_radix_sort_implINS0_14default_configELb0EPKsPsPKlPlN2at6native12_GLOBAL__N_18offset_tEEE10hipError_tPvRmT1_PNSt15iterator_traitsISY_E10value_typeET2_T3_PNSZ_IS14_E10value_typeET4_jRbjT5_S1A_jjP12ihipStream_tbEUljE_EEESV_SW_SX_S14_S18_S1A_T6_T7_T9_mT8_S1C_bDpT10_ENKUlT_T0_E_clISt17integral_constantIbLb0EES1O_IbLb1EEEEDaS1K_S1L_EUlS1K_E_NS1_11comp_targetILNS1_3genE2ELNS1_11target_archE906ELNS1_3gpuE6ELNS1_3repE0EEENS1_30default_config_static_selectorELNS0_4arch9wavefront6targetE0EEEvSY_.private_seg_size, 0
	.set _ZN7rocprim17ROCPRIM_400000_NS6detail17trampoline_kernelINS0_13select_configILj256ELj13ELNS0_17block_load_methodE3ELS4_3ELS4_3ELNS0_20block_scan_algorithmE0ELj4294967295EEENS1_25partition_config_selectorILNS1_17partition_subalgoE3EjNS0_10empty_typeEbEEZZNS1_14partition_implILS8_3ELb0ES6_jNS0_17counting_iteratorIjlEEPS9_SE_NS0_5tupleIJPjSE_EEENSF_IJSE_SE_EEES9_SG_JZNS1_25segmented_radix_sort_implINS0_14default_configELb0EPKsPsPKlPlN2at6native12_GLOBAL__N_18offset_tEEE10hipError_tPvRmT1_PNSt15iterator_traitsISY_E10value_typeET2_T3_PNSZ_IS14_E10value_typeET4_jRbjT5_S1A_jjP12ihipStream_tbEUljE_EEESV_SW_SX_S14_S18_S1A_T6_T7_T9_mT8_S1C_bDpT10_ENKUlT_T0_E_clISt17integral_constantIbLb0EES1O_IbLb1EEEEDaS1K_S1L_EUlS1K_E_NS1_11comp_targetILNS1_3genE2ELNS1_11target_archE906ELNS1_3gpuE6ELNS1_3repE0EEENS1_30default_config_static_selectorELNS0_4arch9wavefront6targetE0EEEvSY_.uses_vcc, 0
	.set _ZN7rocprim17ROCPRIM_400000_NS6detail17trampoline_kernelINS0_13select_configILj256ELj13ELNS0_17block_load_methodE3ELS4_3ELS4_3ELNS0_20block_scan_algorithmE0ELj4294967295EEENS1_25partition_config_selectorILNS1_17partition_subalgoE3EjNS0_10empty_typeEbEEZZNS1_14partition_implILS8_3ELb0ES6_jNS0_17counting_iteratorIjlEEPS9_SE_NS0_5tupleIJPjSE_EEENSF_IJSE_SE_EEES9_SG_JZNS1_25segmented_radix_sort_implINS0_14default_configELb0EPKsPsPKlPlN2at6native12_GLOBAL__N_18offset_tEEE10hipError_tPvRmT1_PNSt15iterator_traitsISY_E10value_typeET2_T3_PNSZ_IS14_E10value_typeET4_jRbjT5_S1A_jjP12ihipStream_tbEUljE_EEESV_SW_SX_S14_S18_S1A_T6_T7_T9_mT8_S1C_bDpT10_ENKUlT_T0_E_clISt17integral_constantIbLb0EES1O_IbLb1EEEEDaS1K_S1L_EUlS1K_E_NS1_11comp_targetILNS1_3genE2ELNS1_11target_archE906ELNS1_3gpuE6ELNS1_3repE0EEENS1_30default_config_static_selectorELNS0_4arch9wavefront6targetE0EEEvSY_.uses_flat_scratch, 0
	.set _ZN7rocprim17ROCPRIM_400000_NS6detail17trampoline_kernelINS0_13select_configILj256ELj13ELNS0_17block_load_methodE3ELS4_3ELS4_3ELNS0_20block_scan_algorithmE0ELj4294967295EEENS1_25partition_config_selectorILNS1_17partition_subalgoE3EjNS0_10empty_typeEbEEZZNS1_14partition_implILS8_3ELb0ES6_jNS0_17counting_iteratorIjlEEPS9_SE_NS0_5tupleIJPjSE_EEENSF_IJSE_SE_EEES9_SG_JZNS1_25segmented_radix_sort_implINS0_14default_configELb0EPKsPsPKlPlN2at6native12_GLOBAL__N_18offset_tEEE10hipError_tPvRmT1_PNSt15iterator_traitsISY_E10value_typeET2_T3_PNSZ_IS14_E10value_typeET4_jRbjT5_S1A_jjP12ihipStream_tbEUljE_EEESV_SW_SX_S14_S18_S1A_T6_T7_T9_mT8_S1C_bDpT10_ENKUlT_T0_E_clISt17integral_constantIbLb0EES1O_IbLb1EEEEDaS1K_S1L_EUlS1K_E_NS1_11comp_targetILNS1_3genE2ELNS1_11target_archE906ELNS1_3gpuE6ELNS1_3repE0EEENS1_30default_config_static_selectorELNS0_4arch9wavefront6targetE0EEEvSY_.has_dyn_sized_stack, 0
	.set _ZN7rocprim17ROCPRIM_400000_NS6detail17trampoline_kernelINS0_13select_configILj256ELj13ELNS0_17block_load_methodE3ELS4_3ELS4_3ELNS0_20block_scan_algorithmE0ELj4294967295EEENS1_25partition_config_selectorILNS1_17partition_subalgoE3EjNS0_10empty_typeEbEEZZNS1_14partition_implILS8_3ELb0ES6_jNS0_17counting_iteratorIjlEEPS9_SE_NS0_5tupleIJPjSE_EEENSF_IJSE_SE_EEES9_SG_JZNS1_25segmented_radix_sort_implINS0_14default_configELb0EPKsPsPKlPlN2at6native12_GLOBAL__N_18offset_tEEE10hipError_tPvRmT1_PNSt15iterator_traitsISY_E10value_typeET2_T3_PNSZ_IS14_E10value_typeET4_jRbjT5_S1A_jjP12ihipStream_tbEUljE_EEESV_SW_SX_S14_S18_S1A_T6_T7_T9_mT8_S1C_bDpT10_ENKUlT_T0_E_clISt17integral_constantIbLb0EES1O_IbLb1EEEEDaS1K_S1L_EUlS1K_E_NS1_11comp_targetILNS1_3genE2ELNS1_11target_archE906ELNS1_3gpuE6ELNS1_3repE0EEENS1_30default_config_static_selectorELNS0_4arch9wavefront6targetE0EEEvSY_.has_recursion, 0
	.set _ZN7rocprim17ROCPRIM_400000_NS6detail17trampoline_kernelINS0_13select_configILj256ELj13ELNS0_17block_load_methodE3ELS4_3ELS4_3ELNS0_20block_scan_algorithmE0ELj4294967295EEENS1_25partition_config_selectorILNS1_17partition_subalgoE3EjNS0_10empty_typeEbEEZZNS1_14partition_implILS8_3ELb0ES6_jNS0_17counting_iteratorIjlEEPS9_SE_NS0_5tupleIJPjSE_EEENSF_IJSE_SE_EEES9_SG_JZNS1_25segmented_radix_sort_implINS0_14default_configELb0EPKsPsPKlPlN2at6native12_GLOBAL__N_18offset_tEEE10hipError_tPvRmT1_PNSt15iterator_traitsISY_E10value_typeET2_T3_PNSZ_IS14_E10value_typeET4_jRbjT5_S1A_jjP12ihipStream_tbEUljE_EEESV_SW_SX_S14_S18_S1A_T6_T7_T9_mT8_S1C_bDpT10_ENKUlT_T0_E_clISt17integral_constantIbLb0EES1O_IbLb1EEEEDaS1K_S1L_EUlS1K_E_NS1_11comp_targetILNS1_3genE2ELNS1_11target_archE906ELNS1_3gpuE6ELNS1_3repE0EEENS1_30default_config_static_selectorELNS0_4arch9wavefront6targetE0EEEvSY_.has_indirect_call, 0
	.section	.AMDGPU.csdata,"",@progbits
; Kernel info:
; codeLenInByte = 0
; TotalNumSgprs: 0
; NumVgprs: 0
; ScratchSize: 0
; MemoryBound: 0
; FloatMode: 240
; IeeeMode: 1
; LDSByteSize: 0 bytes/workgroup (compile time only)
; SGPRBlocks: 0
; VGPRBlocks: 0
; NumSGPRsForWavesPerEU: 1
; NumVGPRsForWavesPerEU: 1
; Occupancy: 16
; WaveLimiterHint : 0
; COMPUTE_PGM_RSRC2:SCRATCH_EN: 0
; COMPUTE_PGM_RSRC2:USER_SGPR: 6
; COMPUTE_PGM_RSRC2:TRAP_HANDLER: 0
; COMPUTE_PGM_RSRC2:TGID_X_EN: 1
; COMPUTE_PGM_RSRC2:TGID_Y_EN: 0
; COMPUTE_PGM_RSRC2:TGID_Z_EN: 0
; COMPUTE_PGM_RSRC2:TIDIG_COMP_CNT: 0
	.section	.text._ZN7rocprim17ROCPRIM_400000_NS6detail17trampoline_kernelINS0_13select_configILj256ELj13ELNS0_17block_load_methodE3ELS4_3ELS4_3ELNS0_20block_scan_algorithmE0ELj4294967295EEENS1_25partition_config_selectorILNS1_17partition_subalgoE3EjNS0_10empty_typeEbEEZZNS1_14partition_implILS8_3ELb0ES6_jNS0_17counting_iteratorIjlEEPS9_SE_NS0_5tupleIJPjSE_EEENSF_IJSE_SE_EEES9_SG_JZNS1_25segmented_radix_sort_implINS0_14default_configELb0EPKsPsPKlPlN2at6native12_GLOBAL__N_18offset_tEEE10hipError_tPvRmT1_PNSt15iterator_traitsISY_E10value_typeET2_T3_PNSZ_IS14_E10value_typeET4_jRbjT5_S1A_jjP12ihipStream_tbEUljE_EEESV_SW_SX_S14_S18_S1A_T6_T7_T9_mT8_S1C_bDpT10_ENKUlT_T0_E_clISt17integral_constantIbLb0EES1O_IbLb1EEEEDaS1K_S1L_EUlS1K_E_NS1_11comp_targetILNS1_3genE10ELNS1_11target_archE1200ELNS1_3gpuE4ELNS1_3repE0EEENS1_30default_config_static_selectorELNS0_4arch9wavefront6targetE0EEEvSY_,"axG",@progbits,_ZN7rocprim17ROCPRIM_400000_NS6detail17trampoline_kernelINS0_13select_configILj256ELj13ELNS0_17block_load_methodE3ELS4_3ELS4_3ELNS0_20block_scan_algorithmE0ELj4294967295EEENS1_25partition_config_selectorILNS1_17partition_subalgoE3EjNS0_10empty_typeEbEEZZNS1_14partition_implILS8_3ELb0ES6_jNS0_17counting_iteratorIjlEEPS9_SE_NS0_5tupleIJPjSE_EEENSF_IJSE_SE_EEES9_SG_JZNS1_25segmented_radix_sort_implINS0_14default_configELb0EPKsPsPKlPlN2at6native12_GLOBAL__N_18offset_tEEE10hipError_tPvRmT1_PNSt15iterator_traitsISY_E10value_typeET2_T3_PNSZ_IS14_E10value_typeET4_jRbjT5_S1A_jjP12ihipStream_tbEUljE_EEESV_SW_SX_S14_S18_S1A_T6_T7_T9_mT8_S1C_bDpT10_ENKUlT_T0_E_clISt17integral_constantIbLb0EES1O_IbLb1EEEEDaS1K_S1L_EUlS1K_E_NS1_11comp_targetILNS1_3genE10ELNS1_11target_archE1200ELNS1_3gpuE4ELNS1_3repE0EEENS1_30default_config_static_selectorELNS0_4arch9wavefront6targetE0EEEvSY_,comdat
	.globl	_ZN7rocprim17ROCPRIM_400000_NS6detail17trampoline_kernelINS0_13select_configILj256ELj13ELNS0_17block_load_methodE3ELS4_3ELS4_3ELNS0_20block_scan_algorithmE0ELj4294967295EEENS1_25partition_config_selectorILNS1_17partition_subalgoE3EjNS0_10empty_typeEbEEZZNS1_14partition_implILS8_3ELb0ES6_jNS0_17counting_iteratorIjlEEPS9_SE_NS0_5tupleIJPjSE_EEENSF_IJSE_SE_EEES9_SG_JZNS1_25segmented_radix_sort_implINS0_14default_configELb0EPKsPsPKlPlN2at6native12_GLOBAL__N_18offset_tEEE10hipError_tPvRmT1_PNSt15iterator_traitsISY_E10value_typeET2_T3_PNSZ_IS14_E10value_typeET4_jRbjT5_S1A_jjP12ihipStream_tbEUljE_EEESV_SW_SX_S14_S18_S1A_T6_T7_T9_mT8_S1C_bDpT10_ENKUlT_T0_E_clISt17integral_constantIbLb0EES1O_IbLb1EEEEDaS1K_S1L_EUlS1K_E_NS1_11comp_targetILNS1_3genE10ELNS1_11target_archE1200ELNS1_3gpuE4ELNS1_3repE0EEENS1_30default_config_static_selectorELNS0_4arch9wavefront6targetE0EEEvSY_ ; -- Begin function _ZN7rocprim17ROCPRIM_400000_NS6detail17trampoline_kernelINS0_13select_configILj256ELj13ELNS0_17block_load_methodE3ELS4_3ELS4_3ELNS0_20block_scan_algorithmE0ELj4294967295EEENS1_25partition_config_selectorILNS1_17partition_subalgoE3EjNS0_10empty_typeEbEEZZNS1_14partition_implILS8_3ELb0ES6_jNS0_17counting_iteratorIjlEEPS9_SE_NS0_5tupleIJPjSE_EEENSF_IJSE_SE_EEES9_SG_JZNS1_25segmented_radix_sort_implINS0_14default_configELb0EPKsPsPKlPlN2at6native12_GLOBAL__N_18offset_tEEE10hipError_tPvRmT1_PNSt15iterator_traitsISY_E10value_typeET2_T3_PNSZ_IS14_E10value_typeET4_jRbjT5_S1A_jjP12ihipStream_tbEUljE_EEESV_SW_SX_S14_S18_S1A_T6_T7_T9_mT8_S1C_bDpT10_ENKUlT_T0_E_clISt17integral_constantIbLb0EES1O_IbLb1EEEEDaS1K_S1L_EUlS1K_E_NS1_11comp_targetILNS1_3genE10ELNS1_11target_archE1200ELNS1_3gpuE4ELNS1_3repE0EEENS1_30default_config_static_selectorELNS0_4arch9wavefront6targetE0EEEvSY_
	.p2align	8
	.type	_ZN7rocprim17ROCPRIM_400000_NS6detail17trampoline_kernelINS0_13select_configILj256ELj13ELNS0_17block_load_methodE3ELS4_3ELS4_3ELNS0_20block_scan_algorithmE0ELj4294967295EEENS1_25partition_config_selectorILNS1_17partition_subalgoE3EjNS0_10empty_typeEbEEZZNS1_14partition_implILS8_3ELb0ES6_jNS0_17counting_iteratorIjlEEPS9_SE_NS0_5tupleIJPjSE_EEENSF_IJSE_SE_EEES9_SG_JZNS1_25segmented_radix_sort_implINS0_14default_configELb0EPKsPsPKlPlN2at6native12_GLOBAL__N_18offset_tEEE10hipError_tPvRmT1_PNSt15iterator_traitsISY_E10value_typeET2_T3_PNSZ_IS14_E10value_typeET4_jRbjT5_S1A_jjP12ihipStream_tbEUljE_EEESV_SW_SX_S14_S18_S1A_T6_T7_T9_mT8_S1C_bDpT10_ENKUlT_T0_E_clISt17integral_constantIbLb0EES1O_IbLb1EEEEDaS1K_S1L_EUlS1K_E_NS1_11comp_targetILNS1_3genE10ELNS1_11target_archE1200ELNS1_3gpuE4ELNS1_3repE0EEENS1_30default_config_static_selectorELNS0_4arch9wavefront6targetE0EEEvSY_,@function
_ZN7rocprim17ROCPRIM_400000_NS6detail17trampoline_kernelINS0_13select_configILj256ELj13ELNS0_17block_load_methodE3ELS4_3ELS4_3ELNS0_20block_scan_algorithmE0ELj4294967295EEENS1_25partition_config_selectorILNS1_17partition_subalgoE3EjNS0_10empty_typeEbEEZZNS1_14partition_implILS8_3ELb0ES6_jNS0_17counting_iteratorIjlEEPS9_SE_NS0_5tupleIJPjSE_EEENSF_IJSE_SE_EEES9_SG_JZNS1_25segmented_radix_sort_implINS0_14default_configELb0EPKsPsPKlPlN2at6native12_GLOBAL__N_18offset_tEEE10hipError_tPvRmT1_PNSt15iterator_traitsISY_E10value_typeET2_T3_PNSZ_IS14_E10value_typeET4_jRbjT5_S1A_jjP12ihipStream_tbEUljE_EEESV_SW_SX_S14_S18_S1A_T6_T7_T9_mT8_S1C_bDpT10_ENKUlT_T0_E_clISt17integral_constantIbLb0EES1O_IbLb1EEEEDaS1K_S1L_EUlS1K_E_NS1_11comp_targetILNS1_3genE10ELNS1_11target_archE1200ELNS1_3gpuE4ELNS1_3repE0EEENS1_30default_config_static_selectorELNS0_4arch9wavefront6targetE0EEEvSY_: ; @_ZN7rocprim17ROCPRIM_400000_NS6detail17trampoline_kernelINS0_13select_configILj256ELj13ELNS0_17block_load_methodE3ELS4_3ELS4_3ELNS0_20block_scan_algorithmE0ELj4294967295EEENS1_25partition_config_selectorILNS1_17partition_subalgoE3EjNS0_10empty_typeEbEEZZNS1_14partition_implILS8_3ELb0ES6_jNS0_17counting_iteratorIjlEEPS9_SE_NS0_5tupleIJPjSE_EEENSF_IJSE_SE_EEES9_SG_JZNS1_25segmented_radix_sort_implINS0_14default_configELb0EPKsPsPKlPlN2at6native12_GLOBAL__N_18offset_tEEE10hipError_tPvRmT1_PNSt15iterator_traitsISY_E10value_typeET2_T3_PNSZ_IS14_E10value_typeET4_jRbjT5_S1A_jjP12ihipStream_tbEUljE_EEESV_SW_SX_S14_S18_S1A_T6_T7_T9_mT8_S1C_bDpT10_ENKUlT_T0_E_clISt17integral_constantIbLb0EES1O_IbLb1EEEEDaS1K_S1L_EUlS1K_E_NS1_11comp_targetILNS1_3genE10ELNS1_11target_archE1200ELNS1_3gpuE4ELNS1_3repE0EEENS1_30default_config_static_selectorELNS0_4arch9wavefront6targetE0EEEvSY_
; %bb.0:
	.section	.rodata,"a",@progbits
	.p2align	6, 0x0
	.amdhsa_kernel _ZN7rocprim17ROCPRIM_400000_NS6detail17trampoline_kernelINS0_13select_configILj256ELj13ELNS0_17block_load_methodE3ELS4_3ELS4_3ELNS0_20block_scan_algorithmE0ELj4294967295EEENS1_25partition_config_selectorILNS1_17partition_subalgoE3EjNS0_10empty_typeEbEEZZNS1_14partition_implILS8_3ELb0ES6_jNS0_17counting_iteratorIjlEEPS9_SE_NS0_5tupleIJPjSE_EEENSF_IJSE_SE_EEES9_SG_JZNS1_25segmented_radix_sort_implINS0_14default_configELb0EPKsPsPKlPlN2at6native12_GLOBAL__N_18offset_tEEE10hipError_tPvRmT1_PNSt15iterator_traitsISY_E10value_typeET2_T3_PNSZ_IS14_E10value_typeET4_jRbjT5_S1A_jjP12ihipStream_tbEUljE_EEESV_SW_SX_S14_S18_S1A_T6_T7_T9_mT8_S1C_bDpT10_ENKUlT_T0_E_clISt17integral_constantIbLb0EES1O_IbLb1EEEEDaS1K_S1L_EUlS1K_E_NS1_11comp_targetILNS1_3genE10ELNS1_11target_archE1200ELNS1_3gpuE4ELNS1_3repE0EEENS1_30default_config_static_selectorELNS0_4arch9wavefront6targetE0EEEvSY_
		.amdhsa_group_segment_fixed_size 0
		.amdhsa_private_segment_fixed_size 0
		.amdhsa_kernarg_size 152
		.amdhsa_user_sgpr_count 6
		.amdhsa_user_sgpr_private_segment_buffer 1
		.amdhsa_user_sgpr_dispatch_ptr 0
		.amdhsa_user_sgpr_queue_ptr 0
		.amdhsa_user_sgpr_kernarg_segment_ptr 1
		.amdhsa_user_sgpr_dispatch_id 0
		.amdhsa_user_sgpr_flat_scratch_init 0
		.amdhsa_user_sgpr_private_segment_size 0
		.amdhsa_wavefront_size32 1
		.amdhsa_uses_dynamic_stack 0
		.amdhsa_system_sgpr_private_segment_wavefront_offset 0
		.amdhsa_system_sgpr_workgroup_id_x 1
		.amdhsa_system_sgpr_workgroup_id_y 0
		.amdhsa_system_sgpr_workgroup_id_z 0
		.amdhsa_system_sgpr_workgroup_info 0
		.amdhsa_system_vgpr_workitem_id 0
		.amdhsa_next_free_vgpr 1
		.amdhsa_next_free_sgpr 1
		.amdhsa_reserve_vcc 0
		.amdhsa_reserve_flat_scratch 0
		.amdhsa_float_round_mode_32 0
		.amdhsa_float_round_mode_16_64 0
		.amdhsa_float_denorm_mode_32 3
		.amdhsa_float_denorm_mode_16_64 3
		.amdhsa_dx10_clamp 1
		.amdhsa_ieee_mode 1
		.amdhsa_fp16_overflow 0
		.amdhsa_workgroup_processor_mode 1
		.amdhsa_memory_ordered 1
		.amdhsa_forward_progress 1
		.amdhsa_shared_vgpr_count 0
		.amdhsa_exception_fp_ieee_invalid_op 0
		.amdhsa_exception_fp_denorm_src 0
		.amdhsa_exception_fp_ieee_div_zero 0
		.amdhsa_exception_fp_ieee_overflow 0
		.amdhsa_exception_fp_ieee_underflow 0
		.amdhsa_exception_fp_ieee_inexact 0
		.amdhsa_exception_int_div_zero 0
	.end_amdhsa_kernel
	.section	.text._ZN7rocprim17ROCPRIM_400000_NS6detail17trampoline_kernelINS0_13select_configILj256ELj13ELNS0_17block_load_methodE3ELS4_3ELS4_3ELNS0_20block_scan_algorithmE0ELj4294967295EEENS1_25partition_config_selectorILNS1_17partition_subalgoE3EjNS0_10empty_typeEbEEZZNS1_14partition_implILS8_3ELb0ES6_jNS0_17counting_iteratorIjlEEPS9_SE_NS0_5tupleIJPjSE_EEENSF_IJSE_SE_EEES9_SG_JZNS1_25segmented_radix_sort_implINS0_14default_configELb0EPKsPsPKlPlN2at6native12_GLOBAL__N_18offset_tEEE10hipError_tPvRmT1_PNSt15iterator_traitsISY_E10value_typeET2_T3_PNSZ_IS14_E10value_typeET4_jRbjT5_S1A_jjP12ihipStream_tbEUljE_EEESV_SW_SX_S14_S18_S1A_T6_T7_T9_mT8_S1C_bDpT10_ENKUlT_T0_E_clISt17integral_constantIbLb0EES1O_IbLb1EEEEDaS1K_S1L_EUlS1K_E_NS1_11comp_targetILNS1_3genE10ELNS1_11target_archE1200ELNS1_3gpuE4ELNS1_3repE0EEENS1_30default_config_static_selectorELNS0_4arch9wavefront6targetE0EEEvSY_,"axG",@progbits,_ZN7rocprim17ROCPRIM_400000_NS6detail17trampoline_kernelINS0_13select_configILj256ELj13ELNS0_17block_load_methodE3ELS4_3ELS4_3ELNS0_20block_scan_algorithmE0ELj4294967295EEENS1_25partition_config_selectorILNS1_17partition_subalgoE3EjNS0_10empty_typeEbEEZZNS1_14partition_implILS8_3ELb0ES6_jNS0_17counting_iteratorIjlEEPS9_SE_NS0_5tupleIJPjSE_EEENSF_IJSE_SE_EEES9_SG_JZNS1_25segmented_radix_sort_implINS0_14default_configELb0EPKsPsPKlPlN2at6native12_GLOBAL__N_18offset_tEEE10hipError_tPvRmT1_PNSt15iterator_traitsISY_E10value_typeET2_T3_PNSZ_IS14_E10value_typeET4_jRbjT5_S1A_jjP12ihipStream_tbEUljE_EEESV_SW_SX_S14_S18_S1A_T6_T7_T9_mT8_S1C_bDpT10_ENKUlT_T0_E_clISt17integral_constantIbLb0EES1O_IbLb1EEEEDaS1K_S1L_EUlS1K_E_NS1_11comp_targetILNS1_3genE10ELNS1_11target_archE1200ELNS1_3gpuE4ELNS1_3repE0EEENS1_30default_config_static_selectorELNS0_4arch9wavefront6targetE0EEEvSY_,comdat
.Lfunc_end1004:
	.size	_ZN7rocprim17ROCPRIM_400000_NS6detail17trampoline_kernelINS0_13select_configILj256ELj13ELNS0_17block_load_methodE3ELS4_3ELS4_3ELNS0_20block_scan_algorithmE0ELj4294967295EEENS1_25partition_config_selectorILNS1_17partition_subalgoE3EjNS0_10empty_typeEbEEZZNS1_14partition_implILS8_3ELb0ES6_jNS0_17counting_iteratorIjlEEPS9_SE_NS0_5tupleIJPjSE_EEENSF_IJSE_SE_EEES9_SG_JZNS1_25segmented_radix_sort_implINS0_14default_configELb0EPKsPsPKlPlN2at6native12_GLOBAL__N_18offset_tEEE10hipError_tPvRmT1_PNSt15iterator_traitsISY_E10value_typeET2_T3_PNSZ_IS14_E10value_typeET4_jRbjT5_S1A_jjP12ihipStream_tbEUljE_EEESV_SW_SX_S14_S18_S1A_T6_T7_T9_mT8_S1C_bDpT10_ENKUlT_T0_E_clISt17integral_constantIbLb0EES1O_IbLb1EEEEDaS1K_S1L_EUlS1K_E_NS1_11comp_targetILNS1_3genE10ELNS1_11target_archE1200ELNS1_3gpuE4ELNS1_3repE0EEENS1_30default_config_static_selectorELNS0_4arch9wavefront6targetE0EEEvSY_, .Lfunc_end1004-_ZN7rocprim17ROCPRIM_400000_NS6detail17trampoline_kernelINS0_13select_configILj256ELj13ELNS0_17block_load_methodE3ELS4_3ELS4_3ELNS0_20block_scan_algorithmE0ELj4294967295EEENS1_25partition_config_selectorILNS1_17partition_subalgoE3EjNS0_10empty_typeEbEEZZNS1_14partition_implILS8_3ELb0ES6_jNS0_17counting_iteratorIjlEEPS9_SE_NS0_5tupleIJPjSE_EEENSF_IJSE_SE_EEES9_SG_JZNS1_25segmented_radix_sort_implINS0_14default_configELb0EPKsPsPKlPlN2at6native12_GLOBAL__N_18offset_tEEE10hipError_tPvRmT1_PNSt15iterator_traitsISY_E10value_typeET2_T3_PNSZ_IS14_E10value_typeET4_jRbjT5_S1A_jjP12ihipStream_tbEUljE_EEESV_SW_SX_S14_S18_S1A_T6_T7_T9_mT8_S1C_bDpT10_ENKUlT_T0_E_clISt17integral_constantIbLb0EES1O_IbLb1EEEEDaS1K_S1L_EUlS1K_E_NS1_11comp_targetILNS1_3genE10ELNS1_11target_archE1200ELNS1_3gpuE4ELNS1_3repE0EEENS1_30default_config_static_selectorELNS0_4arch9wavefront6targetE0EEEvSY_
                                        ; -- End function
	.set _ZN7rocprim17ROCPRIM_400000_NS6detail17trampoline_kernelINS0_13select_configILj256ELj13ELNS0_17block_load_methodE3ELS4_3ELS4_3ELNS0_20block_scan_algorithmE0ELj4294967295EEENS1_25partition_config_selectorILNS1_17partition_subalgoE3EjNS0_10empty_typeEbEEZZNS1_14partition_implILS8_3ELb0ES6_jNS0_17counting_iteratorIjlEEPS9_SE_NS0_5tupleIJPjSE_EEENSF_IJSE_SE_EEES9_SG_JZNS1_25segmented_radix_sort_implINS0_14default_configELb0EPKsPsPKlPlN2at6native12_GLOBAL__N_18offset_tEEE10hipError_tPvRmT1_PNSt15iterator_traitsISY_E10value_typeET2_T3_PNSZ_IS14_E10value_typeET4_jRbjT5_S1A_jjP12ihipStream_tbEUljE_EEESV_SW_SX_S14_S18_S1A_T6_T7_T9_mT8_S1C_bDpT10_ENKUlT_T0_E_clISt17integral_constantIbLb0EES1O_IbLb1EEEEDaS1K_S1L_EUlS1K_E_NS1_11comp_targetILNS1_3genE10ELNS1_11target_archE1200ELNS1_3gpuE4ELNS1_3repE0EEENS1_30default_config_static_selectorELNS0_4arch9wavefront6targetE0EEEvSY_.num_vgpr, 0
	.set _ZN7rocprim17ROCPRIM_400000_NS6detail17trampoline_kernelINS0_13select_configILj256ELj13ELNS0_17block_load_methodE3ELS4_3ELS4_3ELNS0_20block_scan_algorithmE0ELj4294967295EEENS1_25partition_config_selectorILNS1_17partition_subalgoE3EjNS0_10empty_typeEbEEZZNS1_14partition_implILS8_3ELb0ES6_jNS0_17counting_iteratorIjlEEPS9_SE_NS0_5tupleIJPjSE_EEENSF_IJSE_SE_EEES9_SG_JZNS1_25segmented_radix_sort_implINS0_14default_configELb0EPKsPsPKlPlN2at6native12_GLOBAL__N_18offset_tEEE10hipError_tPvRmT1_PNSt15iterator_traitsISY_E10value_typeET2_T3_PNSZ_IS14_E10value_typeET4_jRbjT5_S1A_jjP12ihipStream_tbEUljE_EEESV_SW_SX_S14_S18_S1A_T6_T7_T9_mT8_S1C_bDpT10_ENKUlT_T0_E_clISt17integral_constantIbLb0EES1O_IbLb1EEEEDaS1K_S1L_EUlS1K_E_NS1_11comp_targetILNS1_3genE10ELNS1_11target_archE1200ELNS1_3gpuE4ELNS1_3repE0EEENS1_30default_config_static_selectorELNS0_4arch9wavefront6targetE0EEEvSY_.num_agpr, 0
	.set _ZN7rocprim17ROCPRIM_400000_NS6detail17trampoline_kernelINS0_13select_configILj256ELj13ELNS0_17block_load_methodE3ELS4_3ELS4_3ELNS0_20block_scan_algorithmE0ELj4294967295EEENS1_25partition_config_selectorILNS1_17partition_subalgoE3EjNS0_10empty_typeEbEEZZNS1_14partition_implILS8_3ELb0ES6_jNS0_17counting_iteratorIjlEEPS9_SE_NS0_5tupleIJPjSE_EEENSF_IJSE_SE_EEES9_SG_JZNS1_25segmented_radix_sort_implINS0_14default_configELb0EPKsPsPKlPlN2at6native12_GLOBAL__N_18offset_tEEE10hipError_tPvRmT1_PNSt15iterator_traitsISY_E10value_typeET2_T3_PNSZ_IS14_E10value_typeET4_jRbjT5_S1A_jjP12ihipStream_tbEUljE_EEESV_SW_SX_S14_S18_S1A_T6_T7_T9_mT8_S1C_bDpT10_ENKUlT_T0_E_clISt17integral_constantIbLb0EES1O_IbLb1EEEEDaS1K_S1L_EUlS1K_E_NS1_11comp_targetILNS1_3genE10ELNS1_11target_archE1200ELNS1_3gpuE4ELNS1_3repE0EEENS1_30default_config_static_selectorELNS0_4arch9wavefront6targetE0EEEvSY_.numbered_sgpr, 0
	.set _ZN7rocprim17ROCPRIM_400000_NS6detail17trampoline_kernelINS0_13select_configILj256ELj13ELNS0_17block_load_methodE3ELS4_3ELS4_3ELNS0_20block_scan_algorithmE0ELj4294967295EEENS1_25partition_config_selectorILNS1_17partition_subalgoE3EjNS0_10empty_typeEbEEZZNS1_14partition_implILS8_3ELb0ES6_jNS0_17counting_iteratorIjlEEPS9_SE_NS0_5tupleIJPjSE_EEENSF_IJSE_SE_EEES9_SG_JZNS1_25segmented_radix_sort_implINS0_14default_configELb0EPKsPsPKlPlN2at6native12_GLOBAL__N_18offset_tEEE10hipError_tPvRmT1_PNSt15iterator_traitsISY_E10value_typeET2_T3_PNSZ_IS14_E10value_typeET4_jRbjT5_S1A_jjP12ihipStream_tbEUljE_EEESV_SW_SX_S14_S18_S1A_T6_T7_T9_mT8_S1C_bDpT10_ENKUlT_T0_E_clISt17integral_constantIbLb0EES1O_IbLb1EEEEDaS1K_S1L_EUlS1K_E_NS1_11comp_targetILNS1_3genE10ELNS1_11target_archE1200ELNS1_3gpuE4ELNS1_3repE0EEENS1_30default_config_static_selectorELNS0_4arch9wavefront6targetE0EEEvSY_.num_named_barrier, 0
	.set _ZN7rocprim17ROCPRIM_400000_NS6detail17trampoline_kernelINS0_13select_configILj256ELj13ELNS0_17block_load_methodE3ELS4_3ELS4_3ELNS0_20block_scan_algorithmE0ELj4294967295EEENS1_25partition_config_selectorILNS1_17partition_subalgoE3EjNS0_10empty_typeEbEEZZNS1_14partition_implILS8_3ELb0ES6_jNS0_17counting_iteratorIjlEEPS9_SE_NS0_5tupleIJPjSE_EEENSF_IJSE_SE_EEES9_SG_JZNS1_25segmented_radix_sort_implINS0_14default_configELb0EPKsPsPKlPlN2at6native12_GLOBAL__N_18offset_tEEE10hipError_tPvRmT1_PNSt15iterator_traitsISY_E10value_typeET2_T3_PNSZ_IS14_E10value_typeET4_jRbjT5_S1A_jjP12ihipStream_tbEUljE_EEESV_SW_SX_S14_S18_S1A_T6_T7_T9_mT8_S1C_bDpT10_ENKUlT_T0_E_clISt17integral_constantIbLb0EES1O_IbLb1EEEEDaS1K_S1L_EUlS1K_E_NS1_11comp_targetILNS1_3genE10ELNS1_11target_archE1200ELNS1_3gpuE4ELNS1_3repE0EEENS1_30default_config_static_selectorELNS0_4arch9wavefront6targetE0EEEvSY_.private_seg_size, 0
	.set _ZN7rocprim17ROCPRIM_400000_NS6detail17trampoline_kernelINS0_13select_configILj256ELj13ELNS0_17block_load_methodE3ELS4_3ELS4_3ELNS0_20block_scan_algorithmE0ELj4294967295EEENS1_25partition_config_selectorILNS1_17partition_subalgoE3EjNS0_10empty_typeEbEEZZNS1_14partition_implILS8_3ELb0ES6_jNS0_17counting_iteratorIjlEEPS9_SE_NS0_5tupleIJPjSE_EEENSF_IJSE_SE_EEES9_SG_JZNS1_25segmented_radix_sort_implINS0_14default_configELb0EPKsPsPKlPlN2at6native12_GLOBAL__N_18offset_tEEE10hipError_tPvRmT1_PNSt15iterator_traitsISY_E10value_typeET2_T3_PNSZ_IS14_E10value_typeET4_jRbjT5_S1A_jjP12ihipStream_tbEUljE_EEESV_SW_SX_S14_S18_S1A_T6_T7_T9_mT8_S1C_bDpT10_ENKUlT_T0_E_clISt17integral_constantIbLb0EES1O_IbLb1EEEEDaS1K_S1L_EUlS1K_E_NS1_11comp_targetILNS1_3genE10ELNS1_11target_archE1200ELNS1_3gpuE4ELNS1_3repE0EEENS1_30default_config_static_selectorELNS0_4arch9wavefront6targetE0EEEvSY_.uses_vcc, 0
	.set _ZN7rocprim17ROCPRIM_400000_NS6detail17trampoline_kernelINS0_13select_configILj256ELj13ELNS0_17block_load_methodE3ELS4_3ELS4_3ELNS0_20block_scan_algorithmE0ELj4294967295EEENS1_25partition_config_selectorILNS1_17partition_subalgoE3EjNS0_10empty_typeEbEEZZNS1_14partition_implILS8_3ELb0ES6_jNS0_17counting_iteratorIjlEEPS9_SE_NS0_5tupleIJPjSE_EEENSF_IJSE_SE_EEES9_SG_JZNS1_25segmented_radix_sort_implINS0_14default_configELb0EPKsPsPKlPlN2at6native12_GLOBAL__N_18offset_tEEE10hipError_tPvRmT1_PNSt15iterator_traitsISY_E10value_typeET2_T3_PNSZ_IS14_E10value_typeET4_jRbjT5_S1A_jjP12ihipStream_tbEUljE_EEESV_SW_SX_S14_S18_S1A_T6_T7_T9_mT8_S1C_bDpT10_ENKUlT_T0_E_clISt17integral_constantIbLb0EES1O_IbLb1EEEEDaS1K_S1L_EUlS1K_E_NS1_11comp_targetILNS1_3genE10ELNS1_11target_archE1200ELNS1_3gpuE4ELNS1_3repE0EEENS1_30default_config_static_selectorELNS0_4arch9wavefront6targetE0EEEvSY_.uses_flat_scratch, 0
	.set _ZN7rocprim17ROCPRIM_400000_NS6detail17trampoline_kernelINS0_13select_configILj256ELj13ELNS0_17block_load_methodE3ELS4_3ELS4_3ELNS0_20block_scan_algorithmE0ELj4294967295EEENS1_25partition_config_selectorILNS1_17partition_subalgoE3EjNS0_10empty_typeEbEEZZNS1_14partition_implILS8_3ELb0ES6_jNS0_17counting_iteratorIjlEEPS9_SE_NS0_5tupleIJPjSE_EEENSF_IJSE_SE_EEES9_SG_JZNS1_25segmented_radix_sort_implINS0_14default_configELb0EPKsPsPKlPlN2at6native12_GLOBAL__N_18offset_tEEE10hipError_tPvRmT1_PNSt15iterator_traitsISY_E10value_typeET2_T3_PNSZ_IS14_E10value_typeET4_jRbjT5_S1A_jjP12ihipStream_tbEUljE_EEESV_SW_SX_S14_S18_S1A_T6_T7_T9_mT8_S1C_bDpT10_ENKUlT_T0_E_clISt17integral_constantIbLb0EES1O_IbLb1EEEEDaS1K_S1L_EUlS1K_E_NS1_11comp_targetILNS1_3genE10ELNS1_11target_archE1200ELNS1_3gpuE4ELNS1_3repE0EEENS1_30default_config_static_selectorELNS0_4arch9wavefront6targetE0EEEvSY_.has_dyn_sized_stack, 0
	.set _ZN7rocprim17ROCPRIM_400000_NS6detail17trampoline_kernelINS0_13select_configILj256ELj13ELNS0_17block_load_methodE3ELS4_3ELS4_3ELNS0_20block_scan_algorithmE0ELj4294967295EEENS1_25partition_config_selectorILNS1_17partition_subalgoE3EjNS0_10empty_typeEbEEZZNS1_14partition_implILS8_3ELb0ES6_jNS0_17counting_iteratorIjlEEPS9_SE_NS0_5tupleIJPjSE_EEENSF_IJSE_SE_EEES9_SG_JZNS1_25segmented_radix_sort_implINS0_14default_configELb0EPKsPsPKlPlN2at6native12_GLOBAL__N_18offset_tEEE10hipError_tPvRmT1_PNSt15iterator_traitsISY_E10value_typeET2_T3_PNSZ_IS14_E10value_typeET4_jRbjT5_S1A_jjP12ihipStream_tbEUljE_EEESV_SW_SX_S14_S18_S1A_T6_T7_T9_mT8_S1C_bDpT10_ENKUlT_T0_E_clISt17integral_constantIbLb0EES1O_IbLb1EEEEDaS1K_S1L_EUlS1K_E_NS1_11comp_targetILNS1_3genE10ELNS1_11target_archE1200ELNS1_3gpuE4ELNS1_3repE0EEENS1_30default_config_static_selectorELNS0_4arch9wavefront6targetE0EEEvSY_.has_recursion, 0
	.set _ZN7rocprim17ROCPRIM_400000_NS6detail17trampoline_kernelINS0_13select_configILj256ELj13ELNS0_17block_load_methodE3ELS4_3ELS4_3ELNS0_20block_scan_algorithmE0ELj4294967295EEENS1_25partition_config_selectorILNS1_17partition_subalgoE3EjNS0_10empty_typeEbEEZZNS1_14partition_implILS8_3ELb0ES6_jNS0_17counting_iteratorIjlEEPS9_SE_NS0_5tupleIJPjSE_EEENSF_IJSE_SE_EEES9_SG_JZNS1_25segmented_radix_sort_implINS0_14default_configELb0EPKsPsPKlPlN2at6native12_GLOBAL__N_18offset_tEEE10hipError_tPvRmT1_PNSt15iterator_traitsISY_E10value_typeET2_T3_PNSZ_IS14_E10value_typeET4_jRbjT5_S1A_jjP12ihipStream_tbEUljE_EEESV_SW_SX_S14_S18_S1A_T6_T7_T9_mT8_S1C_bDpT10_ENKUlT_T0_E_clISt17integral_constantIbLb0EES1O_IbLb1EEEEDaS1K_S1L_EUlS1K_E_NS1_11comp_targetILNS1_3genE10ELNS1_11target_archE1200ELNS1_3gpuE4ELNS1_3repE0EEENS1_30default_config_static_selectorELNS0_4arch9wavefront6targetE0EEEvSY_.has_indirect_call, 0
	.section	.AMDGPU.csdata,"",@progbits
; Kernel info:
; codeLenInByte = 0
; TotalNumSgprs: 0
; NumVgprs: 0
; ScratchSize: 0
; MemoryBound: 0
; FloatMode: 240
; IeeeMode: 1
; LDSByteSize: 0 bytes/workgroup (compile time only)
; SGPRBlocks: 0
; VGPRBlocks: 0
; NumSGPRsForWavesPerEU: 1
; NumVGPRsForWavesPerEU: 1
; Occupancy: 16
; WaveLimiterHint : 0
; COMPUTE_PGM_RSRC2:SCRATCH_EN: 0
; COMPUTE_PGM_RSRC2:USER_SGPR: 6
; COMPUTE_PGM_RSRC2:TRAP_HANDLER: 0
; COMPUTE_PGM_RSRC2:TGID_X_EN: 1
; COMPUTE_PGM_RSRC2:TGID_Y_EN: 0
; COMPUTE_PGM_RSRC2:TGID_Z_EN: 0
; COMPUTE_PGM_RSRC2:TIDIG_COMP_CNT: 0
	.section	.text._ZN7rocprim17ROCPRIM_400000_NS6detail17trampoline_kernelINS0_13select_configILj256ELj13ELNS0_17block_load_methodE3ELS4_3ELS4_3ELNS0_20block_scan_algorithmE0ELj4294967295EEENS1_25partition_config_selectorILNS1_17partition_subalgoE3EjNS0_10empty_typeEbEEZZNS1_14partition_implILS8_3ELb0ES6_jNS0_17counting_iteratorIjlEEPS9_SE_NS0_5tupleIJPjSE_EEENSF_IJSE_SE_EEES9_SG_JZNS1_25segmented_radix_sort_implINS0_14default_configELb0EPKsPsPKlPlN2at6native12_GLOBAL__N_18offset_tEEE10hipError_tPvRmT1_PNSt15iterator_traitsISY_E10value_typeET2_T3_PNSZ_IS14_E10value_typeET4_jRbjT5_S1A_jjP12ihipStream_tbEUljE_EEESV_SW_SX_S14_S18_S1A_T6_T7_T9_mT8_S1C_bDpT10_ENKUlT_T0_E_clISt17integral_constantIbLb0EES1O_IbLb1EEEEDaS1K_S1L_EUlS1K_E_NS1_11comp_targetILNS1_3genE9ELNS1_11target_archE1100ELNS1_3gpuE3ELNS1_3repE0EEENS1_30default_config_static_selectorELNS0_4arch9wavefront6targetE0EEEvSY_,"axG",@progbits,_ZN7rocprim17ROCPRIM_400000_NS6detail17trampoline_kernelINS0_13select_configILj256ELj13ELNS0_17block_load_methodE3ELS4_3ELS4_3ELNS0_20block_scan_algorithmE0ELj4294967295EEENS1_25partition_config_selectorILNS1_17partition_subalgoE3EjNS0_10empty_typeEbEEZZNS1_14partition_implILS8_3ELb0ES6_jNS0_17counting_iteratorIjlEEPS9_SE_NS0_5tupleIJPjSE_EEENSF_IJSE_SE_EEES9_SG_JZNS1_25segmented_radix_sort_implINS0_14default_configELb0EPKsPsPKlPlN2at6native12_GLOBAL__N_18offset_tEEE10hipError_tPvRmT1_PNSt15iterator_traitsISY_E10value_typeET2_T3_PNSZ_IS14_E10value_typeET4_jRbjT5_S1A_jjP12ihipStream_tbEUljE_EEESV_SW_SX_S14_S18_S1A_T6_T7_T9_mT8_S1C_bDpT10_ENKUlT_T0_E_clISt17integral_constantIbLb0EES1O_IbLb1EEEEDaS1K_S1L_EUlS1K_E_NS1_11comp_targetILNS1_3genE9ELNS1_11target_archE1100ELNS1_3gpuE3ELNS1_3repE0EEENS1_30default_config_static_selectorELNS0_4arch9wavefront6targetE0EEEvSY_,comdat
	.globl	_ZN7rocprim17ROCPRIM_400000_NS6detail17trampoline_kernelINS0_13select_configILj256ELj13ELNS0_17block_load_methodE3ELS4_3ELS4_3ELNS0_20block_scan_algorithmE0ELj4294967295EEENS1_25partition_config_selectorILNS1_17partition_subalgoE3EjNS0_10empty_typeEbEEZZNS1_14partition_implILS8_3ELb0ES6_jNS0_17counting_iteratorIjlEEPS9_SE_NS0_5tupleIJPjSE_EEENSF_IJSE_SE_EEES9_SG_JZNS1_25segmented_radix_sort_implINS0_14default_configELb0EPKsPsPKlPlN2at6native12_GLOBAL__N_18offset_tEEE10hipError_tPvRmT1_PNSt15iterator_traitsISY_E10value_typeET2_T3_PNSZ_IS14_E10value_typeET4_jRbjT5_S1A_jjP12ihipStream_tbEUljE_EEESV_SW_SX_S14_S18_S1A_T6_T7_T9_mT8_S1C_bDpT10_ENKUlT_T0_E_clISt17integral_constantIbLb0EES1O_IbLb1EEEEDaS1K_S1L_EUlS1K_E_NS1_11comp_targetILNS1_3genE9ELNS1_11target_archE1100ELNS1_3gpuE3ELNS1_3repE0EEENS1_30default_config_static_selectorELNS0_4arch9wavefront6targetE0EEEvSY_ ; -- Begin function _ZN7rocprim17ROCPRIM_400000_NS6detail17trampoline_kernelINS0_13select_configILj256ELj13ELNS0_17block_load_methodE3ELS4_3ELS4_3ELNS0_20block_scan_algorithmE0ELj4294967295EEENS1_25partition_config_selectorILNS1_17partition_subalgoE3EjNS0_10empty_typeEbEEZZNS1_14partition_implILS8_3ELb0ES6_jNS0_17counting_iteratorIjlEEPS9_SE_NS0_5tupleIJPjSE_EEENSF_IJSE_SE_EEES9_SG_JZNS1_25segmented_radix_sort_implINS0_14default_configELb0EPKsPsPKlPlN2at6native12_GLOBAL__N_18offset_tEEE10hipError_tPvRmT1_PNSt15iterator_traitsISY_E10value_typeET2_T3_PNSZ_IS14_E10value_typeET4_jRbjT5_S1A_jjP12ihipStream_tbEUljE_EEESV_SW_SX_S14_S18_S1A_T6_T7_T9_mT8_S1C_bDpT10_ENKUlT_T0_E_clISt17integral_constantIbLb0EES1O_IbLb1EEEEDaS1K_S1L_EUlS1K_E_NS1_11comp_targetILNS1_3genE9ELNS1_11target_archE1100ELNS1_3gpuE3ELNS1_3repE0EEENS1_30default_config_static_selectorELNS0_4arch9wavefront6targetE0EEEvSY_
	.p2align	8
	.type	_ZN7rocprim17ROCPRIM_400000_NS6detail17trampoline_kernelINS0_13select_configILj256ELj13ELNS0_17block_load_methodE3ELS4_3ELS4_3ELNS0_20block_scan_algorithmE0ELj4294967295EEENS1_25partition_config_selectorILNS1_17partition_subalgoE3EjNS0_10empty_typeEbEEZZNS1_14partition_implILS8_3ELb0ES6_jNS0_17counting_iteratorIjlEEPS9_SE_NS0_5tupleIJPjSE_EEENSF_IJSE_SE_EEES9_SG_JZNS1_25segmented_radix_sort_implINS0_14default_configELb0EPKsPsPKlPlN2at6native12_GLOBAL__N_18offset_tEEE10hipError_tPvRmT1_PNSt15iterator_traitsISY_E10value_typeET2_T3_PNSZ_IS14_E10value_typeET4_jRbjT5_S1A_jjP12ihipStream_tbEUljE_EEESV_SW_SX_S14_S18_S1A_T6_T7_T9_mT8_S1C_bDpT10_ENKUlT_T0_E_clISt17integral_constantIbLb0EES1O_IbLb1EEEEDaS1K_S1L_EUlS1K_E_NS1_11comp_targetILNS1_3genE9ELNS1_11target_archE1100ELNS1_3gpuE3ELNS1_3repE0EEENS1_30default_config_static_selectorELNS0_4arch9wavefront6targetE0EEEvSY_,@function
_ZN7rocprim17ROCPRIM_400000_NS6detail17trampoline_kernelINS0_13select_configILj256ELj13ELNS0_17block_load_methodE3ELS4_3ELS4_3ELNS0_20block_scan_algorithmE0ELj4294967295EEENS1_25partition_config_selectorILNS1_17partition_subalgoE3EjNS0_10empty_typeEbEEZZNS1_14partition_implILS8_3ELb0ES6_jNS0_17counting_iteratorIjlEEPS9_SE_NS0_5tupleIJPjSE_EEENSF_IJSE_SE_EEES9_SG_JZNS1_25segmented_radix_sort_implINS0_14default_configELb0EPKsPsPKlPlN2at6native12_GLOBAL__N_18offset_tEEE10hipError_tPvRmT1_PNSt15iterator_traitsISY_E10value_typeET2_T3_PNSZ_IS14_E10value_typeET4_jRbjT5_S1A_jjP12ihipStream_tbEUljE_EEESV_SW_SX_S14_S18_S1A_T6_T7_T9_mT8_S1C_bDpT10_ENKUlT_T0_E_clISt17integral_constantIbLb0EES1O_IbLb1EEEEDaS1K_S1L_EUlS1K_E_NS1_11comp_targetILNS1_3genE9ELNS1_11target_archE1100ELNS1_3gpuE3ELNS1_3repE0EEENS1_30default_config_static_selectorELNS0_4arch9wavefront6targetE0EEEvSY_: ; @_ZN7rocprim17ROCPRIM_400000_NS6detail17trampoline_kernelINS0_13select_configILj256ELj13ELNS0_17block_load_methodE3ELS4_3ELS4_3ELNS0_20block_scan_algorithmE0ELj4294967295EEENS1_25partition_config_selectorILNS1_17partition_subalgoE3EjNS0_10empty_typeEbEEZZNS1_14partition_implILS8_3ELb0ES6_jNS0_17counting_iteratorIjlEEPS9_SE_NS0_5tupleIJPjSE_EEENSF_IJSE_SE_EEES9_SG_JZNS1_25segmented_radix_sort_implINS0_14default_configELb0EPKsPsPKlPlN2at6native12_GLOBAL__N_18offset_tEEE10hipError_tPvRmT1_PNSt15iterator_traitsISY_E10value_typeET2_T3_PNSZ_IS14_E10value_typeET4_jRbjT5_S1A_jjP12ihipStream_tbEUljE_EEESV_SW_SX_S14_S18_S1A_T6_T7_T9_mT8_S1C_bDpT10_ENKUlT_T0_E_clISt17integral_constantIbLb0EES1O_IbLb1EEEEDaS1K_S1L_EUlS1K_E_NS1_11comp_targetILNS1_3genE9ELNS1_11target_archE1100ELNS1_3gpuE3ELNS1_3repE0EEENS1_30default_config_static_selectorELNS0_4arch9wavefront6targetE0EEEvSY_
; %bb.0:
	.section	.rodata,"a",@progbits
	.p2align	6, 0x0
	.amdhsa_kernel _ZN7rocprim17ROCPRIM_400000_NS6detail17trampoline_kernelINS0_13select_configILj256ELj13ELNS0_17block_load_methodE3ELS4_3ELS4_3ELNS0_20block_scan_algorithmE0ELj4294967295EEENS1_25partition_config_selectorILNS1_17partition_subalgoE3EjNS0_10empty_typeEbEEZZNS1_14partition_implILS8_3ELb0ES6_jNS0_17counting_iteratorIjlEEPS9_SE_NS0_5tupleIJPjSE_EEENSF_IJSE_SE_EEES9_SG_JZNS1_25segmented_radix_sort_implINS0_14default_configELb0EPKsPsPKlPlN2at6native12_GLOBAL__N_18offset_tEEE10hipError_tPvRmT1_PNSt15iterator_traitsISY_E10value_typeET2_T3_PNSZ_IS14_E10value_typeET4_jRbjT5_S1A_jjP12ihipStream_tbEUljE_EEESV_SW_SX_S14_S18_S1A_T6_T7_T9_mT8_S1C_bDpT10_ENKUlT_T0_E_clISt17integral_constantIbLb0EES1O_IbLb1EEEEDaS1K_S1L_EUlS1K_E_NS1_11comp_targetILNS1_3genE9ELNS1_11target_archE1100ELNS1_3gpuE3ELNS1_3repE0EEENS1_30default_config_static_selectorELNS0_4arch9wavefront6targetE0EEEvSY_
		.amdhsa_group_segment_fixed_size 0
		.amdhsa_private_segment_fixed_size 0
		.amdhsa_kernarg_size 152
		.amdhsa_user_sgpr_count 6
		.amdhsa_user_sgpr_private_segment_buffer 1
		.amdhsa_user_sgpr_dispatch_ptr 0
		.amdhsa_user_sgpr_queue_ptr 0
		.amdhsa_user_sgpr_kernarg_segment_ptr 1
		.amdhsa_user_sgpr_dispatch_id 0
		.amdhsa_user_sgpr_flat_scratch_init 0
		.amdhsa_user_sgpr_private_segment_size 0
		.amdhsa_wavefront_size32 1
		.amdhsa_uses_dynamic_stack 0
		.amdhsa_system_sgpr_private_segment_wavefront_offset 0
		.amdhsa_system_sgpr_workgroup_id_x 1
		.amdhsa_system_sgpr_workgroup_id_y 0
		.amdhsa_system_sgpr_workgroup_id_z 0
		.amdhsa_system_sgpr_workgroup_info 0
		.amdhsa_system_vgpr_workitem_id 0
		.amdhsa_next_free_vgpr 1
		.amdhsa_next_free_sgpr 1
		.amdhsa_reserve_vcc 0
		.amdhsa_reserve_flat_scratch 0
		.amdhsa_float_round_mode_32 0
		.amdhsa_float_round_mode_16_64 0
		.amdhsa_float_denorm_mode_32 3
		.amdhsa_float_denorm_mode_16_64 3
		.amdhsa_dx10_clamp 1
		.amdhsa_ieee_mode 1
		.amdhsa_fp16_overflow 0
		.amdhsa_workgroup_processor_mode 1
		.amdhsa_memory_ordered 1
		.amdhsa_forward_progress 1
		.amdhsa_shared_vgpr_count 0
		.amdhsa_exception_fp_ieee_invalid_op 0
		.amdhsa_exception_fp_denorm_src 0
		.amdhsa_exception_fp_ieee_div_zero 0
		.amdhsa_exception_fp_ieee_overflow 0
		.amdhsa_exception_fp_ieee_underflow 0
		.amdhsa_exception_fp_ieee_inexact 0
		.amdhsa_exception_int_div_zero 0
	.end_amdhsa_kernel
	.section	.text._ZN7rocprim17ROCPRIM_400000_NS6detail17trampoline_kernelINS0_13select_configILj256ELj13ELNS0_17block_load_methodE3ELS4_3ELS4_3ELNS0_20block_scan_algorithmE0ELj4294967295EEENS1_25partition_config_selectorILNS1_17partition_subalgoE3EjNS0_10empty_typeEbEEZZNS1_14partition_implILS8_3ELb0ES6_jNS0_17counting_iteratorIjlEEPS9_SE_NS0_5tupleIJPjSE_EEENSF_IJSE_SE_EEES9_SG_JZNS1_25segmented_radix_sort_implINS0_14default_configELb0EPKsPsPKlPlN2at6native12_GLOBAL__N_18offset_tEEE10hipError_tPvRmT1_PNSt15iterator_traitsISY_E10value_typeET2_T3_PNSZ_IS14_E10value_typeET4_jRbjT5_S1A_jjP12ihipStream_tbEUljE_EEESV_SW_SX_S14_S18_S1A_T6_T7_T9_mT8_S1C_bDpT10_ENKUlT_T0_E_clISt17integral_constantIbLb0EES1O_IbLb1EEEEDaS1K_S1L_EUlS1K_E_NS1_11comp_targetILNS1_3genE9ELNS1_11target_archE1100ELNS1_3gpuE3ELNS1_3repE0EEENS1_30default_config_static_selectorELNS0_4arch9wavefront6targetE0EEEvSY_,"axG",@progbits,_ZN7rocprim17ROCPRIM_400000_NS6detail17trampoline_kernelINS0_13select_configILj256ELj13ELNS0_17block_load_methodE3ELS4_3ELS4_3ELNS0_20block_scan_algorithmE0ELj4294967295EEENS1_25partition_config_selectorILNS1_17partition_subalgoE3EjNS0_10empty_typeEbEEZZNS1_14partition_implILS8_3ELb0ES6_jNS0_17counting_iteratorIjlEEPS9_SE_NS0_5tupleIJPjSE_EEENSF_IJSE_SE_EEES9_SG_JZNS1_25segmented_radix_sort_implINS0_14default_configELb0EPKsPsPKlPlN2at6native12_GLOBAL__N_18offset_tEEE10hipError_tPvRmT1_PNSt15iterator_traitsISY_E10value_typeET2_T3_PNSZ_IS14_E10value_typeET4_jRbjT5_S1A_jjP12ihipStream_tbEUljE_EEESV_SW_SX_S14_S18_S1A_T6_T7_T9_mT8_S1C_bDpT10_ENKUlT_T0_E_clISt17integral_constantIbLb0EES1O_IbLb1EEEEDaS1K_S1L_EUlS1K_E_NS1_11comp_targetILNS1_3genE9ELNS1_11target_archE1100ELNS1_3gpuE3ELNS1_3repE0EEENS1_30default_config_static_selectorELNS0_4arch9wavefront6targetE0EEEvSY_,comdat
.Lfunc_end1005:
	.size	_ZN7rocprim17ROCPRIM_400000_NS6detail17trampoline_kernelINS0_13select_configILj256ELj13ELNS0_17block_load_methodE3ELS4_3ELS4_3ELNS0_20block_scan_algorithmE0ELj4294967295EEENS1_25partition_config_selectorILNS1_17partition_subalgoE3EjNS0_10empty_typeEbEEZZNS1_14partition_implILS8_3ELb0ES6_jNS0_17counting_iteratorIjlEEPS9_SE_NS0_5tupleIJPjSE_EEENSF_IJSE_SE_EEES9_SG_JZNS1_25segmented_radix_sort_implINS0_14default_configELb0EPKsPsPKlPlN2at6native12_GLOBAL__N_18offset_tEEE10hipError_tPvRmT1_PNSt15iterator_traitsISY_E10value_typeET2_T3_PNSZ_IS14_E10value_typeET4_jRbjT5_S1A_jjP12ihipStream_tbEUljE_EEESV_SW_SX_S14_S18_S1A_T6_T7_T9_mT8_S1C_bDpT10_ENKUlT_T0_E_clISt17integral_constantIbLb0EES1O_IbLb1EEEEDaS1K_S1L_EUlS1K_E_NS1_11comp_targetILNS1_3genE9ELNS1_11target_archE1100ELNS1_3gpuE3ELNS1_3repE0EEENS1_30default_config_static_selectorELNS0_4arch9wavefront6targetE0EEEvSY_, .Lfunc_end1005-_ZN7rocprim17ROCPRIM_400000_NS6detail17trampoline_kernelINS0_13select_configILj256ELj13ELNS0_17block_load_methodE3ELS4_3ELS4_3ELNS0_20block_scan_algorithmE0ELj4294967295EEENS1_25partition_config_selectorILNS1_17partition_subalgoE3EjNS0_10empty_typeEbEEZZNS1_14partition_implILS8_3ELb0ES6_jNS0_17counting_iteratorIjlEEPS9_SE_NS0_5tupleIJPjSE_EEENSF_IJSE_SE_EEES9_SG_JZNS1_25segmented_radix_sort_implINS0_14default_configELb0EPKsPsPKlPlN2at6native12_GLOBAL__N_18offset_tEEE10hipError_tPvRmT1_PNSt15iterator_traitsISY_E10value_typeET2_T3_PNSZ_IS14_E10value_typeET4_jRbjT5_S1A_jjP12ihipStream_tbEUljE_EEESV_SW_SX_S14_S18_S1A_T6_T7_T9_mT8_S1C_bDpT10_ENKUlT_T0_E_clISt17integral_constantIbLb0EES1O_IbLb1EEEEDaS1K_S1L_EUlS1K_E_NS1_11comp_targetILNS1_3genE9ELNS1_11target_archE1100ELNS1_3gpuE3ELNS1_3repE0EEENS1_30default_config_static_selectorELNS0_4arch9wavefront6targetE0EEEvSY_
                                        ; -- End function
	.set _ZN7rocprim17ROCPRIM_400000_NS6detail17trampoline_kernelINS0_13select_configILj256ELj13ELNS0_17block_load_methodE3ELS4_3ELS4_3ELNS0_20block_scan_algorithmE0ELj4294967295EEENS1_25partition_config_selectorILNS1_17partition_subalgoE3EjNS0_10empty_typeEbEEZZNS1_14partition_implILS8_3ELb0ES6_jNS0_17counting_iteratorIjlEEPS9_SE_NS0_5tupleIJPjSE_EEENSF_IJSE_SE_EEES9_SG_JZNS1_25segmented_radix_sort_implINS0_14default_configELb0EPKsPsPKlPlN2at6native12_GLOBAL__N_18offset_tEEE10hipError_tPvRmT1_PNSt15iterator_traitsISY_E10value_typeET2_T3_PNSZ_IS14_E10value_typeET4_jRbjT5_S1A_jjP12ihipStream_tbEUljE_EEESV_SW_SX_S14_S18_S1A_T6_T7_T9_mT8_S1C_bDpT10_ENKUlT_T0_E_clISt17integral_constantIbLb0EES1O_IbLb1EEEEDaS1K_S1L_EUlS1K_E_NS1_11comp_targetILNS1_3genE9ELNS1_11target_archE1100ELNS1_3gpuE3ELNS1_3repE0EEENS1_30default_config_static_selectorELNS0_4arch9wavefront6targetE0EEEvSY_.num_vgpr, 0
	.set _ZN7rocprim17ROCPRIM_400000_NS6detail17trampoline_kernelINS0_13select_configILj256ELj13ELNS0_17block_load_methodE3ELS4_3ELS4_3ELNS0_20block_scan_algorithmE0ELj4294967295EEENS1_25partition_config_selectorILNS1_17partition_subalgoE3EjNS0_10empty_typeEbEEZZNS1_14partition_implILS8_3ELb0ES6_jNS0_17counting_iteratorIjlEEPS9_SE_NS0_5tupleIJPjSE_EEENSF_IJSE_SE_EEES9_SG_JZNS1_25segmented_radix_sort_implINS0_14default_configELb0EPKsPsPKlPlN2at6native12_GLOBAL__N_18offset_tEEE10hipError_tPvRmT1_PNSt15iterator_traitsISY_E10value_typeET2_T3_PNSZ_IS14_E10value_typeET4_jRbjT5_S1A_jjP12ihipStream_tbEUljE_EEESV_SW_SX_S14_S18_S1A_T6_T7_T9_mT8_S1C_bDpT10_ENKUlT_T0_E_clISt17integral_constantIbLb0EES1O_IbLb1EEEEDaS1K_S1L_EUlS1K_E_NS1_11comp_targetILNS1_3genE9ELNS1_11target_archE1100ELNS1_3gpuE3ELNS1_3repE0EEENS1_30default_config_static_selectorELNS0_4arch9wavefront6targetE0EEEvSY_.num_agpr, 0
	.set _ZN7rocprim17ROCPRIM_400000_NS6detail17trampoline_kernelINS0_13select_configILj256ELj13ELNS0_17block_load_methodE3ELS4_3ELS4_3ELNS0_20block_scan_algorithmE0ELj4294967295EEENS1_25partition_config_selectorILNS1_17partition_subalgoE3EjNS0_10empty_typeEbEEZZNS1_14partition_implILS8_3ELb0ES6_jNS0_17counting_iteratorIjlEEPS9_SE_NS0_5tupleIJPjSE_EEENSF_IJSE_SE_EEES9_SG_JZNS1_25segmented_radix_sort_implINS0_14default_configELb0EPKsPsPKlPlN2at6native12_GLOBAL__N_18offset_tEEE10hipError_tPvRmT1_PNSt15iterator_traitsISY_E10value_typeET2_T3_PNSZ_IS14_E10value_typeET4_jRbjT5_S1A_jjP12ihipStream_tbEUljE_EEESV_SW_SX_S14_S18_S1A_T6_T7_T9_mT8_S1C_bDpT10_ENKUlT_T0_E_clISt17integral_constantIbLb0EES1O_IbLb1EEEEDaS1K_S1L_EUlS1K_E_NS1_11comp_targetILNS1_3genE9ELNS1_11target_archE1100ELNS1_3gpuE3ELNS1_3repE0EEENS1_30default_config_static_selectorELNS0_4arch9wavefront6targetE0EEEvSY_.numbered_sgpr, 0
	.set _ZN7rocprim17ROCPRIM_400000_NS6detail17trampoline_kernelINS0_13select_configILj256ELj13ELNS0_17block_load_methodE3ELS4_3ELS4_3ELNS0_20block_scan_algorithmE0ELj4294967295EEENS1_25partition_config_selectorILNS1_17partition_subalgoE3EjNS0_10empty_typeEbEEZZNS1_14partition_implILS8_3ELb0ES6_jNS0_17counting_iteratorIjlEEPS9_SE_NS0_5tupleIJPjSE_EEENSF_IJSE_SE_EEES9_SG_JZNS1_25segmented_radix_sort_implINS0_14default_configELb0EPKsPsPKlPlN2at6native12_GLOBAL__N_18offset_tEEE10hipError_tPvRmT1_PNSt15iterator_traitsISY_E10value_typeET2_T3_PNSZ_IS14_E10value_typeET4_jRbjT5_S1A_jjP12ihipStream_tbEUljE_EEESV_SW_SX_S14_S18_S1A_T6_T7_T9_mT8_S1C_bDpT10_ENKUlT_T0_E_clISt17integral_constantIbLb0EES1O_IbLb1EEEEDaS1K_S1L_EUlS1K_E_NS1_11comp_targetILNS1_3genE9ELNS1_11target_archE1100ELNS1_3gpuE3ELNS1_3repE0EEENS1_30default_config_static_selectorELNS0_4arch9wavefront6targetE0EEEvSY_.num_named_barrier, 0
	.set _ZN7rocprim17ROCPRIM_400000_NS6detail17trampoline_kernelINS0_13select_configILj256ELj13ELNS0_17block_load_methodE3ELS4_3ELS4_3ELNS0_20block_scan_algorithmE0ELj4294967295EEENS1_25partition_config_selectorILNS1_17partition_subalgoE3EjNS0_10empty_typeEbEEZZNS1_14partition_implILS8_3ELb0ES6_jNS0_17counting_iteratorIjlEEPS9_SE_NS0_5tupleIJPjSE_EEENSF_IJSE_SE_EEES9_SG_JZNS1_25segmented_radix_sort_implINS0_14default_configELb0EPKsPsPKlPlN2at6native12_GLOBAL__N_18offset_tEEE10hipError_tPvRmT1_PNSt15iterator_traitsISY_E10value_typeET2_T3_PNSZ_IS14_E10value_typeET4_jRbjT5_S1A_jjP12ihipStream_tbEUljE_EEESV_SW_SX_S14_S18_S1A_T6_T7_T9_mT8_S1C_bDpT10_ENKUlT_T0_E_clISt17integral_constantIbLb0EES1O_IbLb1EEEEDaS1K_S1L_EUlS1K_E_NS1_11comp_targetILNS1_3genE9ELNS1_11target_archE1100ELNS1_3gpuE3ELNS1_3repE0EEENS1_30default_config_static_selectorELNS0_4arch9wavefront6targetE0EEEvSY_.private_seg_size, 0
	.set _ZN7rocprim17ROCPRIM_400000_NS6detail17trampoline_kernelINS0_13select_configILj256ELj13ELNS0_17block_load_methodE3ELS4_3ELS4_3ELNS0_20block_scan_algorithmE0ELj4294967295EEENS1_25partition_config_selectorILNS1_17partition_subalgoE3EjNS0_10empty_typeEbEEZZNS1_14partition_implILS8_3ELb0ES6_jNS0_17counting_iteratorIjlEEPS9_SE_NS0_5tupleIJPjSE_EEENSF_IJSE_SE_EEES9_SG_JZNS1_25segmented_radix_sort_implINS0_14default_configELb0EPKsPsPKlPlN2at6native12_GLOBAL__N_18offset_tEEE10hipError_tPvRmT1_PNSt15iterator_traitsISY_E10value_typeET2_T3_PNSZ_IS14_E10value_typeET4_jRbjT5_S1A_jjP12ihipStream_tbEUljE_EEESV_SW_SX_S14_S18_S1A_T6_T7_T9_mT8_S1C_bDpT10_ENKUlT_T0_E_clISt17integral_constantIbLb0EES1O_IbLb1EEEEDaS1K_S1L_EUlS1K_E_NS1_11comp_targetILNS1_3genE9ELNS1_11target_archE1100ELNS1_3gpuE3ELNS1_3repE0EEENS1_30default_config_static_selectorELNS0_4arch9wavefront6targetE0EEEvSY_.uses_vcc, 0
	.set _ZN7rocprim17ROCPRIM_400000_NS6detail17trampoline_kernelINS0_13select_configILj256ELj13ELNS0_17block_load_methodE3ELS4_3ELS4_3ELNS0_20block_scan_algorithmE0ELj4294967295EEENS1_25partition_config_selectorILNS1_17partition_subalgoE3EjNS0_10empty_typeEbEEZZNS1_14partition_implILS8_3ELb0ES6_jNS0_17counting_iteratorIjlEEPS9_SE_NS0_5tupleIJPjSE_EEENSF_IJSE_SE_EEES9_SG_JZNS1_25segmented_radix_sort_implINS0_14default_configELb0EPKsPsPKlPlN2at6native12_GLOBAL__N_18offset_tEEE10hipError_tPvRmT1_PNSt15iterator_traitsISY_E10value_typeET2_T3_PNSZ_IS14_E10value_typeET4_jRbjT5_S1A_jjP12ihipStream_tbEUljE_EEESV_SW_SX_S14_S18_S1A_T6_T7_T9_mT8_S1C_bDpT10_ENKUlT_T0_E_clISt17integral_constantIbLb0EES1O_IbLb1EEEEDaS1K_S1L_EUlS1K_E_NS1_11comp_targetILNS1_3genE9ELNS1_11target_archE1100ELNS1_3gpuE3ELNS1_3repE0EEENS1_30default_config_static_selectorELNS0_4arch9wavefront6targetE0EEEvSY_.uses_flat_scratch, 0
	.set _ZN7rocprim17ROCPRIM_400000_NS6detail17trampoline_kernelINS0_13select_configILj256ELj13ELNS0_17block_load_methodE3ELS4_3ELS4_3ELNS0_20block_scan_algorithmE0ELj4294967295EEENS1_25partition_config_selectorILNS1_17partition_subalgoE3EjNS0_10empty_typeEbEEZZNS1_14partition_implILS8_3ELb0ES6_jNS0_17counting_iteratorIjlEEPS9_SE_NS0_5tupleIJPjSE_EEENSF_IJSE_SE_EEES9_SG_JZNS1_25segmented_radix_sort_implINS0_14default_configELb0EPKsPsPKlPlN2at6native12_GLOBAL__N_18offset_tEEE10hipError_tPvRmT1_PNSt15iterator_traitsISY_E10value_typeET2_T3_PNSZ_IS14_E10value_typeET4_jRbjT5_S1A_jjP12ihipStream_tbEUljE_EEESV_SW_SX_S14_S18_S1A_T6_T7_T9_mT8_S1C_bDpT10_ENKUlT_T0_E_clISt17integral_constantIbLb0EES1O_IbLb1EEEEDaS1K_S1L_EUlS1K_E_NS1_11comp_targetILNS1_3genE9ELNS1_11target_archE1100ELNS1_3gpuE3ELNS1_3repE0EEENS1_30default_config_static_selectorELNS0_4arch9wavefront6targetE0EEEvSY_.has_dyn_sized_stack, 0
	.set _ZN7rocprim17ROCPRIM_400000_NS6detail17trampoline_kernelINS0_13select_configILj256ELj13ELNS0_17block_load_methodE3ELS4_3ELS4_3ELNS0_20block_scan_algorithmE0ELj4294967295EEENS1_25partition_config_selectorILNS1_17partition_subalgoE3EjNS0_10empty_typeEbEEZZNS1_14partition_implILS8_3ELb0ES6_jNS0_17counting_iteratorIjlEEPS9_SE_NS0_5tupleIJPjSE_EEENSF_IJSE_SE_EEES9_SG_JZNS1_25segmented_radix_sort_implINS0_14default_configELb0EPKsPsPKlPlN2at6native12_GLOBAL__N_18offset_tEEE10hipError_tPvRmT1_PNSt15iterator_traitsISY_E10value_typeET2_T3_PNSZ_IS14_E10value_typeET4_jRbjT5_S1A_jjP12ihipStream_tbEUljE_EEESV_SW_SX_S14_S18_S1A_T6_T7_T9_mT8_S1C_bDpT10_ENKUlT_T0_E_clISt17integral_constantIbLb0EES1O_IbLb1EEEEDaS1K_S1L_EUlS1K_E_NS1_11comp_targetILNS1_3genE9ELNS1_11target_archE1100ELNS1_3gpuE3ELNS1_3repE0EEENS1_30default_config_static_selectorELNS0_4arch9wavefront6targetE0EEEvSY_.has_recursion, 0
	.set _ZN7rocprim17ROCPRIM_400000_NS6detail17trampoline_kernelINS0_13select_configILj256ELj13ELNS0_17block_load_methodE3ELS4_3ELS4_3ELNS0_20block_scan_algorithmE0ELj4294967295EEENS1_25partition_config_selectorILNS1_17partition_subalgoE3EjNS0_10empty_typeEbEEZZNS1_14partition_implILS8_3ELb0ES6_jNS0_17counting_iteratorIjlEEPS9_SE_NS0_5tupleIJPjSE_EEENSF_IJSE_SE_EEES9_SG_JZNS1_25segmented_radix_sort_implINS0_14default_configELb0EPKsPsPKlPlN2at6native12_GLOBAL__N_18offset_tEEE10hipError_tPvRmT1_PNSt15iterator_traitsISY_E10value_typeET2_T3_PNSZ_IS14_E10value_typeET4_jRbjT5_S1A_jjP12ihipStream_tbEUljE_EEESV_SW_SX_S14_S18_S1A_T6_T7_T9_mT8_S1C_bDpT10_ENKUlT_T0_E_clISt17integral_constantIbLb0EES1O_IbLb1EEEEDaS1K_S1L_EUlS1K_E_NS1_11comp_targetILNS1_3genE9ELNS1_11target_archE1100ELNS1_3gpuE3ELNS1_3repE0EEENS1_30default_config_static_selectorELNS0_4arch9wavefront6targetE0EEEvSY_.has_indirect_call, 0
	.section	.AMDGPU.csdata,"",@progbits
; Kernel info:
; codeLenInByte = 0
; TotalNumSgprs: 0
; NumVgprs: 0
; ScratchSize: 0
; MemoryBound: 0
; FloatMode: 240
; IeeeMode: 1
; LDSByteSize: 0 bytes/workgroup (compile time only)
; SGPRBlocks: 0
; VGPRBlocks: 0
; NumSGPRsForWavesPerEU: 1
; NumVGPRsForWavesPerEU: 1
; Occupancy: 16
; WaveLimiterHint : 0
; COMPUTE_PGM_RSRC2:SCRATCH_EN: 0
; COMPUTE_PGM_RSRC2:USER_SGPR: 6
; COMPUTE_PGM_RSRC2:TRAP_HANDLER: 0
; COMPUTE_PGM_RSRC2:TGID_X_EN: 1
; COMPUTE_PGM_RSRC2:TGID_Y_EN: 0
; COMPUTE_PGM_RSRC2:TGID_Z_EN: 0
; COMPUTE_PGM_RSRC2:TIDIG_COMP_CNT: 0
	.section	.text._ZN7rocprim17ROCPRIM_400000_NS6detail17trampoline_kernelINS0_13select_configILj256ELj13ELNS0_17block_load_methodE3ELS4_3ELS4_3ELNS0_20block_scan_algorithmE0ELj4294967295EEENS1_25partition_config_selectorILNS1_17partition_subalgoE3EjNS0_10empty_typeEbEEZZNS1_14partition_implILS8_3ELb0ES6_jNS0_17counting_iteratorIjlEEPS9_SE_NS0_5tupleIJPjSE_EEENSF_IJSE_SE_EEES9_SG_JZNS1_25segmented_radix_sort_implINS0_14default_configELb0EPKsPsPKlPlN2at6native12_GLOBAL__N_18offset_tEEE10hipError_tPvRmT1_PNSt15iterator_traitsISY_E10value_typeET2_T3_PNSZ_IS14_E10value_typeET4_jRbjT5_S1A_jjP12ihipStream_tbEUljE_EEESV_SW_SX_S14_S18_S1A_T6_T7_T9_mT8_S1C_bDpT10_ENKUlT_T0_E_clISt17integral_constantIbLb0EES1O_IbLb1EEEEDaS1K_S1L_EUlS1K_E_NS1_11comp_targetILNS1_3genE8ELNS1_11target_archE1030ELNS1_3gpuE2ELNS1_3repE0EEENS1_30default_config_static_selectorELNS0_4arch9wavefront6targetE0EEEvSY_,"axG",@progbits,_ZN7rocprim17ROCPRIM_400000_NS6detail17trampoline_kernelINS0_13select_configILj256ELj13ELNS0_17block_load_methodE3ELS4_3ELS4_3ELNS0_20block_scan_algorithmE0ELj4294967295EEENS1_25partition_config_selectorILNS1_17partition_subalgoE3EjNS0_10empty_typeEbEEZZNS1_14partition_implILS8_3ELb0ES6_jNS0_17counting_iteratorIjlEEPS9_SE_NS0_5tupleIJPjSE_EEENSF_IJSE_SE_EEES9_SG_JZNS1_25segmented_radix_sort_implINS0_14default_configELb0EPKsPsPKlPlN2at6native12_GLOBAL__N_18offset_tEEE10hipError_tPvRmT1_PNSt15iterator_traitsISY_E10value_typeET2_T3_PNSZ_IS14_E10value_typeET4_jRbjT5_S1A_jjP12ihipStream_tbEUljE_EEESV_SW_SX_S14_S18_S1A_T6_T7_T9_mT8_S1C_bDpT10_ENKUlT_T0_E_clISt17integral_constantIbLb0EES1O_IbLb1EEEEDaS1K_S1L_EUlS1K_E_NS1_11comp_targetILNS1_3genE8ELNS1_11target_archE1030ELNS1_3gpuE2ELNS1_3repE0EEENS1_30default_config_static_selectorELNS0_4arch9wavefront6targetE0EEEvSY_,comdat
	.globl	_ZN7rocprim17ROCPRIM_400000_NS6detail17trampoline_kernelINS0_13select_configILj256ELj13ELNS0_17block_load_methodE3ELS4_3ELS4_3ELNS0_20block_scan_algorithmE0ELj4294967295EEENS1_25partition_config_selectorILNS1_17partition_subalgoE3EjNS0_10empty_typeEbEEZZNS1_14partition_implILS8_3ELb0ES6_jNS0_17counting_iteratorIjlEEPS9_SE_NS0_5tupleIJPjSE_EEENSF_IJSE_SE_EEES9_SG_JZNS1_25segmented_radix_sort_implINS0_14default_configELb0EPKsPsPKlPlN2at6native12_GLOBAL__N_18offset_tEEE10hipError_tPvRmT1_PNSt15iterator_traitsISY_E10value_typeET2_T3_PNSZ_IS14_E10value_typeET4_jRbjT5_S1A_jjP12ihipStream_tbEUljE_EEESV_SW_SX_S14_S18_S1A_T6_T7_T9_mT8_S1C_bDpT10_ENKUlT_T0_E_clISt17integral_constantIbLb0EES1O_IbLb1EEEEDaS1K_S1L_EUlS1K_E_NS1_11comp_targetILNS1_3genE8ELNS1_11target_archE1030ELNS1_3gpuE2ELNS1_3repE0EEENS1_30default_config_static_selectorELNS0_4arch9wavefront6targetE0EEEvSY_ ; -- Begin function _ZN7rocprim17ROCPRIM_400000_NS6detail17trampoline_kernelINS0_13select_configILj256ELj13ELNS0_17block_load_methodE3ELS4_3ELS4_3ELNS0_20block_scan_algorithmE0ELj4294967295EEENS1_25partition_config_selectorILNS1_17partition_subalgoE3EjNS0_10empty_typeEbEEZZNS1_14partition_implILS8_3ELb0ES6_jNS0_17counting_iteratorIjlEEPS9_SE_NS0_5tupleIJPjSE_EEENSF_IJSE_SE_EEES9_SG_JZNS1_25segmented_radix_sort_implINS0_14default_configELb0EPKsPsPKlPlN2at6native12_GLOBAL__N_18offset_tEEE10hipError_tPvRmT1_PNSt15iterator_traitsISY_E10value_typeET2_T3_PNSZ_IS14_E10value_typeET4_jRbjT5_S1A_jjP12ihipStream_tbEUljE_EEESV_SW_SX_S14_S18_S1A_T6_T7_T9_mT8_S1C_bDpT10_ENKUlT_T0_E_clISt17integral_constantIbLb0EES1O_IbLb1EEEEDaS1K_S1L_EUlS1K_E_NS1_11comp_targetILNS1_3genE8ELNS1_11target_archE1030ELNS1_3gpuE2ELNS1_3repE0EEENS1_30default_config_static_selectorELNS0_4arch9wavefront6targetE0EEEvSY_
	.p2align	8
	.type	_ZN7rocprim17ROCPRIM_400000_NS6detail17trampoline_kernelINS0_13select_configILj256ELj13ELNS0_17block_load_methodE3ELS4_3ELS4_3ELNS0_20block_scan_algorithmE0ELj4294967295EEENS1_25partition_config_selectorILNS1_17partition_subalgoE3EjNS0_10empty_typeEbEEZZNS1_14partition_implILS8_3ELb0ES6_jNS0_17counting_iteratorIjlEEPS9_SE_NS0_5tupleIJPjSE_EEENSF_IJSE_SE_EEES9_SG_JZNS1_25segmented_radix_sort_implINS0_14default_configELb0EPKsPsPKlPlN2at6native12_GLOBAL__N_18offset_tEEE10hipError_tPvRmT1_PNSt15iterator_traitsISY_E10value_typeET2_T3_PNSZ_IS14_E10value_typeET4_jRbjT5_S1A_jjP12ihipStream_tbEUljE_EEESV_SW_SX_S14_S18_S1A_T6_T7_T9_mT8_S1C_bDpT10_ENKUlT_T0_E_clISt17integral_constantIbLb0EES1O_IbLb1EEEEDaS1K_S1L_EUlS1K_E_NS1_11comp_targetILNS1_3genE8ELNS1_11target_archE1030ELNS1_3gpuE2ELNS1_3repE0EEENS1_30default_config_static_selectorELNS0_4arch9wavefront6targetE0EEEvSY_,@function
_ZN7rocprim17ROCPRIM_400000_NS6detail17trampoline_kernelINS0_13select_configILj256ELj13ELNS0_17block_load_methodE3ELS4_3ELS4_3ELNS0_20block_scan_algorithmE0ELj4294967295EEENS1_25partition_config_selectorILNS1_17partition_subalgoE3EjNS0_10empty_typeEbEEZZNS1_14partition_implILS8_3ELb0ES6_jNS0_17counting_iteratorIjlEEPS9_SE_NS0_5tupleIJPjSE_EEENSF_IJSE_SE_EEES9_SG_JZNS1_25segmented_radix_sort_implINS0_14default_configELb0EPKsPsPKlPlN2at6native12_GLOBAL__N_18offset_tEEE10hipError_tPvRmT1_PNSt15iterator_traitsISY_E10value_typeET2_T3_PNSZ_IS14_E10value_typeET4_jRbjT5_S1A_jjP12ihipStream_tbEUljE_EEESV_SW_SX_S14_S18_S1A_T6_T7_T9_mT8_S1C_bDpT10_ENKUlT_T0_E_clISt17integral_constantIbLb0EES1O_IbLb1EEEEDaS1K_S1L_EUlS1K_E_NS1_11comp_targetILNS1_3genE8ELNS1_11target_archE1030ELNS1_3gpuE2ELNS1_3repE0EEENS1_30default_config_static_selectorELNS0_4arch9wavefront6targetE0EEEvSY_: ; @_ZN7rocprim17ROCPRIM_400000_NS6detail17trampoline_kernelINS0_13select_configILj256ELj13ELNS0_17block_load_methodE3ELS4_3ELS4_3ELNS0_20block_scan_algorithmE0ELj4294967295EEENS1_25partition_config_selectorILNS1_17partition_subalgoE3EjNS0_10empty_typeEbEEZZNS1_14partition_implILS8_3ELb0ES6_jNS0_17counting_iteratorIjlEEPS9_SE_NS0_5tupleIJPjSE_EEENSF_IJSE_SE_EEES9_SG_JZNS1_25segmented_radix_sort_implINS0_14default_configELb0EPKsPsPKlPlN2at6native12_GLOBAL__N_18offset_tEEE10hipError_tPvRmT1_PNSt15iterator_traitsISY_E10value_typeET2_T3_PNSZ_IS14_E10value_typeET4_jRbjT5_S1A_jjP12ihipStream_tbEUljE_EEESV_SW_SX_S14_S18_S1A_T6_T7_T9_mT8_S1C_bDpT10_ENKUlT_T0_E_clISt17integral_constantIbLb0EES1O_IbLb1EEEEDaS1K_S1L_EUlS1K_E_NS1_11comp_targetILNS1_3genE8ELNS1_11target_archE1030ELNS1_3gpuE2ELNS1_3repE0EEENS1_30default_config_static_selectorELNS0_4arch9wavefront6targetE0EEEvSY_
; %bb.0:
	s_clause 0x6
	s_load_dwordx2 s[18:19], s[4:5], 0x10
	s_load_dwordx2 s[16:17], s[4:5], 0x28
	s_load_dwordx2 s[20:21], s[4:5], 0x58
	s_load_dwordx4 s[12:15], s[4:5], 0x48
	s_load_dword s2, s[4:5], 0x90
	s_load_dwordx2 s[22:23], s[4:5], 0x68
	s_load_dwordx4 s[8:11], s[4:5], 0x80
	v_cmp_eq_u32_e64 s0, 0, v0
	s_and_saveexec_b32 s1, s0
	s_cbranch_execz .LBB1006_4
; %bb.1:
	s_mov_b32 s6, exec_lo
	s_mov_b32 s3, exec_lo
	v_mbcnt_lo_u32_b32 v1, s6, 0
                                        ; implicit-def: $vgpr2
	v_cmpx_eq_u32_e32 0, v1
	s_cbranch_execz .LBB1006_3
; %bb.2:
	s_load_dwordx2 s[24:25], s[4:5], 0x78
	s_bcnt1_i32_b32 s6, s6
	v_mov_b32_e32 v2, 0
	v_mov_b32_e32 v3, s6
	s_waitcnt lgkmcnt(0)
	global_atomic_add v2, v2, v3, s[24:25] glc
.LBB1006_3:
	s_or_b32 exec_lo, exec_lo, s3
	s_waitcnt vmcnt(0)
	v_readfirstlane_b32 s3, v2
	v_mov_b32_e32 v2, 0
	v_add_nc_u32_e32 v1, s3, v1
	ds_write_b32 v2, v1
.LBB1006_4:
	s_or_b32 exec_lo, exec_lo, s1
	v_mov_b32_e32 v1, 0
	s_clause 0x1
	s_load_dword s3, s[4:5], 0x8
	s_load_dword s1, s[4:5], 0x70
	s_waitcnt lgkmcnt(0)
	s_barrier
	buffer_gl0_inv
	ds_read_b32 v2, v1
	s_waitcnt lgkmcnt(0)
	s_barrier
	buffer_gl0_inv
	global_load_dwordx2 v[18:19], v1, s[14:15]
	v_lshlrev_b32_e32 v44, 2, v0
	s_add_i32 s4, s3, s18
	s_mul_i32 s5, s1, 0xd00
	s_add_i32 s1, s1, -1
	s_add_i32 s3, s5, s18
	s_sub_i32 s15, s20, s3
	v_readfirstlane_b32 s25, v2
	s_addk_i32 s15, 0xd00
	s_add_u32 s6, s18, s5
	s_addc_u32 s7, s19, 0
	v_cmp_ne_u32_e32 vcc_lo, s1, v2
	v_cmp_gt_u64_e64 s3, s[20:21], s[6:7]
	s_cmp_eq_u32 s25, s1
	s_mul_i32 s24, s25, 0xd00
	s_cselect_b32 s14, -1, 0
	s_mov_b32 s5, -1
	s_or_b32 s3, s3, vcc_lo
	s_and_b32 vcc_lo, exec_lo, s3
	s_cbranch_vccz .LBB1006_6
; %bb.5:
	v_add3_u32 v1, s24, s4, v0
	s_mov_b32 s5, 0
	v_add_nc_u32_e32 v2, 0x100, v1
	v_add_nc_u32_e32 v3, 0x200, v1
	;; [unrolled: 1-line block ×12, first 2 shown]
	ds_write2st64_b32 v44, v1, v2 offset1:4
	ds_write2st64_b32 v44, v3, v4 offset0:8 offset1:12
	ds_write2st64_b32 v44, v5, v6 offset0:16 offset1:20
	ds_write2st64_b32 v44, v7, v8 offset0:24 offset1:28
	ds_write2st64_b32 v44, v9, v10 offset0:32 offset1:36
	ds_write2st64_b32 v44, v11, v12 offset0:40 offset1:44
	ds_write_b32 v44, v13 offset:12288
	s_waitcnt vmcnt(0) lgkmcnt(0)
	s_barrier
.LBB1006_6:
	v_cmp_gt_u32_e64 s1, s15, v0
	v_or_b32_e32 v43, 0x100, v0
	v_or_b32_e32 v42, 0x200, v0
	;; [unrolled: 1-line block ×12, first 2 shown]
	s_andn2_b32 vcc_lo, exec_lo, s5
	s_cbranch_vccnz .LBB1006_8
; %bb.7:
	s_add_i32 s4, s24, s4
	v_cmp_gt_u32_e32 vcc_lo, s15, v43
	v_add_nc_u32_e32 v2, s4, v43
	v_add_nc_u32_e32 v3, s4, v42
	;; [unrolled: 1-line block ×5, first 2 shown]
	v_cndmask_b32_e32 v2, 0, v2, vcc_lo
	v_cmp_gt_u32_e32 vcc_lo, s15, v42
	v_add_nc_u32_e32 v7, s4, v38
	v_add_nc_u32_e32 v8, s4, v37
	;; [unrolled: 1-line block ×4, first 2 shown]
	v_cndmask_b32_e32 v3, 0, v3, vcc_lo
	v_cmp_gt_u32_e32 vcc_lo, s15, v41
	v_add_nc_u32_e32 v11, s4, v34
	v_add_nc_u32_e32 v1, s4, v0
	;; [unrolled: 1-line block ×4, first 2 shown]
	v_cndmask_b32_e32 v4, 0, v4, vcc_lo
	v_cmp_gt_u32_e32 vcc_lo, s15, v40
	v_cndmask_b32_e64 v1, 0, v1, s1
	v_cndmask_b32_e32 v5, 0, v5, vcc_lo
	v_cmp_gt_u32_e32 vcc_lo, s15, v39
	v_cndmask_b32_e32 v6, 0, v6, vcc_lo
	v_cmp_gt_u32_e32 vcc_lo, s15, v38
	;; [unrolled: 2-line block ×8, first 2 shown]
	v_cndmask_b32_e32 v13, 0, v13, vcc_lo
	ds_write2st64_b32 v44, v1, v2 offset1:4
	ds_write2st64_b32 v44, v3, v4 offset0:8 offset1:12
	ds_write2st64_b32 v44, v5, v6 offset0:16 offset1:20
	;; [unrolled: 1-line block ×5, first 2 shown]
	ds_write_b32 v44, v13 offset:12288
	s_waitcnt vmcnt(0) lgkmcnt(0)
	s_barrier
.LBB1006_8:
	v_mul_u32_u24_e32 v47, 13, v0
	s_waitcnt vmcnt(0)
	buffer_gl0_inv
	v_cndmask_b32_e64 v45, 0, 1, s3
	s_andn2_b32 vcc_lo, exec_lo, s3
	v_lshlrev_b32_e32 v1, 2, v47
	ds_read2_b32 v[28:29], v1 offset0:2 offset1:3
	ds_read2_b32 v[24:25], v1 offset0:6 offset1:7
	;; [unrolled: 1-line block ×3, first 2 shown]
	ds_read2_b32 v[30:31], v1 offset1:1
	ds_read2_b32 v[20:21], v1 offset0:10 offset1:11
	ds_read_b32 v46, v1 offset:48
	ds_read2_b32 v[22:23], v1 offset0:8 offset1:9
	s_waitcnt lgkmcnt(0)
	s_barrier
	buffer_gl0_inv
	s_cbranch_vccnz .LBB1006_10
; %bb.9:
	v_add_nc_u32_e32 v1, s9, v29
	v_add_nc_u32_e32 v4, s9, v28
	;; [unrolled: 1-line block ×6, first 2 shown]
	v_mul_lo_u32 v4, v4, s8
	v_mul_lo_u32 v1, v1, s8
	;; [unrolled: 1-line block ×4, first 2 shown]
	v_add_nc_u32_e32 v3, s9, v30
	v_add_nc_u32_e32 v7, s11, v30
	v_mul_lo_u32 v2, v2, s8
	v_mul_lo_u32 v6, v6, s10
	v_add_nc_u32_e32 v10, s11, v27
	v_mul_lo_u32 v3, v3, s8
	v_mul_lo_u32 v7, v7, s10
	v_sub_nc_u32_e32 v1, v1, v5
	v_sub_nc_u32_e32 v4, v4, v8
	v_add_nc_u32_e32 v5, s9, v25
	v_add_nc_u32_e32 v8, s11, v25
	v_sub_nc_u32_e32 v2, v2, v6
	v_add_nc_u32_e32 v6, s9, v27
	v_add_nc_u32_e32 v9, s9, v24
	v_mul_lo_u32 v5, v5, s8
	v_mul_lo_u32 v8, v8, s10
	v_sub_nc_u32_e32 v3, v3, v7
	v_add_nc_u32_e32 v7, s9, v26
	v_add_nc_u32_e32 v11, s11, v24
	v_mul_lo_u32 v6, v6, s8
	v_mul_lo_u32 v10, v10, s10
	v_add_nc_u32_e32 v12, s11, v26
	v_mul_lo_u32 v9, v9, s8
	v_mul_lo_u32 v7, v7, s8
	;; [unrolled: 1-line block ×3, first 2 shown]
	v_sub_nc_u32_e32 v5, v5, v8
	v_mul_lo_u32 v8, v12, s10
	v_cmp_lt_u32_e32 vcc_lo, s2, v1
	v_sub_nc_u32_e32 v6, v6, v10
	v_add_nc_u32_e32 v10, s9, v21
	v_add_nc_u32_e32 v14, s11, v21
	;; [unrolled: 1-line block ×3, first 2 shown]
	v_cndmask_b32_e64 v1, 0, 1, vcc_lo
	v_cmp_lt_u32_e32 vcc_lo, s2, v2
	v_sub_nc_u32_e32 v7, v7, v8
	v_sub_nc_u32_e32 v8, v9, v11
	v_add_nc_u32_e32 v11, s9, v23
	v_mul_lo_u32 v10, v10, s8
	v_mul_lo_u32 v14, v14, s10
	v_cndmask_b32_e64 v2, 0, 1, vcc_lo
	v_cmp_lt_u32_e32 vcc_lo, s2, v5
	v_mul_lo_u32 v11, v11, s8
	v_mul_lo_u32 v15, v15, s10
	v_mov_b32_e32 v9, 8
	v_lshlrev_b16 v2, 8, v2
	v_cndmask_b32_e64 v5, 0, 1, vcc_lo
	v_cmp_lt_u32_e32 vcc_lo, s2, v6
	v_sub_nc_u32_e32 v10, v10, v14
	v_add_nc_u32_e32 v12, s9, v22
	v_add_nc_u32_e32 v16, s11, v22
	v_sub_nc_u32_e32 v11, v11, v15
	v_cndmask_b32_e64 v6, 0, 1, vcc_lo
	v_cmp_lt_u32_e32 vcc_lo, s2, v10
	v_lshrrev_b32_sdwa v2, v9, v2 dst_sel:BYTE_1 dst_unused:UNUSED_PAD src0_sel:DWORD src1_sel:DWORD
	v_add_nc_u32_e32 v13, s9, v20
	v_add_nc_u32_e32 v17, s11, v20
	v_mul_lo_u32 v12, v12, s8
	v_cndmask_b32_e64 v10, 0, 1, vcc_lo
	v_cmp_lt_u32_e32 vcc_lo, s2, v11
	v_mul_lo_u32 v16, v16, s10
	v_mul_lo_u32 v13, v13, s8
	;; [unrolled: 1-line block ×3, first 2 shown]
	v_add_nc_u32_e32 v14, s9, v46
	v_cndmask_b32_e64 v11, 0, 1, vcc_lo
	v_cmp_lt_u32_e32 vcc_lo, s2, v3
	v_add_nc_u32_e32 v15, s11, v46
	v_lshlrev_b16 v1, 8, v1
	v_sub_nc_u32_e32 v12, v12, v16
	v_lshlrev_b16 v11, 8, v11
	v_cndmask_b32_e64 v3, 0, 1, vcc_lo
	v_cmp_lt_u32_e32 vcc_lo, s2, v4
	v_sub_nc_u32_e32 v13, v13, v17
	v_mul_lo_u32 v14, v14, s8
	v_mul_lo_u32 v15, v15, s10
	v_or_b32_e32 v2, v3, v2
	v_cndmask_b32_e64 v3, 0, 1, vcc_lo
	v_cmp_lt_u32_e32 vcc_lo, s2, v7
	v_lshlrev_b16 v6, 8, v6
	v_lshlrev_b16 v10, 8, v10
	;; [unrolled: 1-line block ×3, first 2 shown]
	v_lshrrev_b32_sdwa v1, v9, v1 dst_sel:BYTE_1 dst_unused:UNUSED_PAD src0_sel:DWORD src1_sel:DWORD
	v_cndmask_b32_e64 v4, 0, 1, vcc_lo
	v_cmp_lt_u32_e32 vcc_lo, s2, v8
	v_lshrrev_b32_sdwa v8, v9, v11 dst_sel:BYTE_1 dst_unused:UNUSED_PAD src0_sel:DWORD src1_sel:DWORD
	v_lshrrev_b32_sdwa v6, v9, v6 dst_sel:BYTE_1 dst_unused:UNUSED_PAD src0_sel:DWORD src1_sel:DWORD
	v_sub_nc_u32_e32 v14, v14, v15
	v_lshrrev_b32_sdwa v9, v9, v10 dst_sel:BYTE_1 dst_unused:UNUSED_PAD src0_sel:DWORD src1_sel:DWORD
	v_cndmask_b32_e64 v7, 0, 1, vcc_lo
	v_cmp_lt_u32_e32 vcc_lo, s2, v12
	v_or_b32_sdwa v1, v3, v1 dst_sel:WORD_1 dst_unused:UNUSED_PAD src0_sel:DWORD src1_sel:DWORD
	v_or_b32_e32 v3, v4, v6
	v_or_b32_sdwa v4, v7, v5 dst_sel:WORD_1 dst_unused:UNUSED_PAD src0_sel:DWORD src1_sel:DWORD
	v_cndmask_b32_e64 v11, 0, 1, vcc_lo
	v_cmp_lt_u32_e32 vcc_lo, s2, v13
	v_or_b32_sdwa v52, v2, v1 dst_sel:DWORD dst_unused:UNUSED_PAD src0_sel:WORD_0 src1_sel:DWORD
	v_or_b32_sdwa v50, v3, v4 dst_sel:DWORD dst_unused:UNUSED_PAD src0_sel:WORD_0 src1_sel:DWORD
	v_or_b32_e32 v5, v11, v8
	v_cndmask_b32_e64 v10, 0, 1, vcc_lo
	v_cmp_lt_u32_e32 vcc_lo, s2, v14
	v_or_b32_sdwa v6, v10, v9 dst_sel:WORD_1 dst_unused:UNUSED_PAD src0_sel:DWORD src1_sel:DWORD
	v_cndmask_b32_e64 v48, 0, 1, vcc_lo
	v_or_b32_sdwa v49, v5, v6 dst_sel:DWORD dst_unused:UNUSED_PAD src0_sel:WORD_0 src1_sel:DWORD
	s_cbranch_execz .LBB1006_11
	s_branch .LBB1006_38
.LBB1006_10:
                                        ; implicit-def: $vgpr48
                                        ; implicit-def: $vgpr49
                                        ; implicit-def: $vgpr50
                                        ; implicit-def: $vgpr52
.LBB1006_11:
	v_mov_b32_e32 v2, 0
	v_mov_b32_e32 v1, 0
	s_mov_b32 s1, exec_lo
	v_cmpx_gt_u32_e64 s15, v47
	s_cbranch_execz .LBB1006_13
; %bb.12:
	v_add_nc_u32_e32 v1, s9, v30
	v_add_nc_u32_e32 v3, s11, v30
	v_mul_lo_u32 v1, v1, s8
	v_mul_lo_u32 v3, v3, s10
	v_sub_nc_u32_e32 v1, v1, v3
	v_cmp_lt_u32_e32 vcc_lo, s2, v1
	v_cndmask_b32_e64 v1, 0, 1, vcc_lo
.LBB1006_13:
	s_or_b32 exec_lo, exec_lo, s1
	v_add_nc_u32_e32 v3, 1, v47
	s_mov_b32 s1, exec_lo
	v_cmpx_gt_u32_e64 s15, v3
	s_cbranch_execz .LBB1006_15
; %bb.14:
	v_add_nc_u32_e32 v2, s9, v31
	v_add_nc_u32_e32 v3, s11, v31
	v_mul_lo_u32 v2, v2, s8
	v_mul_lo_u32 v3, v3, s10
	v_sub_nc_u32_e32 v2, v2, v3
	v_cmp_lt_u32_e32 vcc_lo, s2, v2
	v_cndmask_b32_e64 v2, 0, 1, vcc_lo
.LBB1006_15:
	s_or_b32 exec_lo, exec_lo, s1
	v_add_nc_u32_e32 v3, 2, v47
	v_mov_b32_e32 v4, 0
	v_cmp_gt_u32_e32 vcc_lo, s15, v3
	v_mov_b32_e32 v3, 0
	s_and_saveexec_b32 s1, vcc_lo
	s_cbranch_execz .LBB1006_17
; %bb.16:
	v_add_nc_u32_e32 v3, s9, v28
	v_add_nc_u32_e32 v5, s11, v28
	v_mul_lo_u32 v3, v3, s8
	v_mul_lo_u32 v5, v5, s10
	v_sub_nc_u32_e32 v3, v3, v5
	v_cmp_lt_u32_e32 vcc_lo, s2, v3
	v_cndmask_b32_e64 v3, 0, 1, vcc_lo
.LBB1006_17:
	s_or_b32 exec_lo, exec_lo, s1
	v_add_nc_u32_e32 v5, 3, v47
	s_mov_b32 s1, exec_lo
	v_cmpx_gt_u32_e64 s15, v5
	s_cbranch_execz .LBB1006_19
; %bb.18:
	v_add_nc_u32_e32 v4, s9, v29
	v_add_nc_u32_e32 v5, s11, v29
	v_mul_lo_u32 v4, v4, s8
	v_mul_lo_u32 v5, v5, s10
	v_sub_nc_u32_e32 v4, v4, v5
	v_cmp_lt_u32_e32 vcc_lo, s2, v4
	v_cndmask_b32_e64 v4, 0, 1, vcc_lo
.LBB1006_19:
	s_or_b32 exec_lo, exec_lo, s1
	v_add_nc_u32_e32 v5, 4, v47
	v_mov_b32_e32 v6, 0
	v_cmp_gt_u32_e32 vcc_lo, s15, v5
	v_mov_b32_e32 v5, 0
	s_and_saveexec_b32 s1, vcc_lo
	s_cbranch_execz .LBB1006_21
; %bb.20:
	v_add_nc_u32_e32 v5, s9, v26
	v_add_nc_u32_e32 v7, s11, v26
	v_mul_lo_u32 v5, v5, s8
	v_mul_lo_u32 v7, v7, s10
	v_sub_nc_u32_e32 v5, v5, v7
	v_cmp_lt_u32_e32 vcc_lo, s2, v5
	v_cndmask_b32_e64 v5, 0, 1, vcc_lo
.LBB1006_21:
	s_or_b32 exec_lo, exec_lo, s1
	v_add_nc_u32_e32 v7, 5, v47
	s_mov_b32 s1, exec_lo
	v_cmpx_gt_u32_e64 s15, v7
	s_cbranch_execz .LBB1006_23
; %bb.22:
	v_add_nc_u32_e32 v6, s9, v27
	v_add_nc_u32_e32 v7, s11, v27
	v_mul_lo_u32 v6, v6, s8
	v_mul_lo_u32 v7, v7, s10
	v_sub_nc_u32_e32 v6, v6, v7
	v_cmp_lt_u32_e32 vcc_lo, s2, v6
	v_cndmask_b32_e64 v6, 0, 1, vcc_lo
.LBB1006_23:
	s_or_b32 exec_lo, exec_lo, s1
	v_add_nc_u32_e32 v7, 6, v47
	v_mov_b32_e32 v8, 0
	v_cmp_gt_u32_e32 vcc_lo, s15, v7
	v_mov_b32_e32 v7, 0
	s_and_saveexec_b32 s1, vcc_lo
	s_cbranch_execz .LBB1006_25
; %bb.24:
	v_add_nc_u32_e32 v7, s9, v24
	v_add_nc_u32_e32 v9, s11, v24
	v_mul_lo_u32 v7, v7, s8
	v_mul_lo_u32 v9, v9, s10
	v_sub_nc_u32_e32 v7, v7, v9
	v_cmp_lt_u32_e32 vcc_lo, s2, v7
	v_cndmask_b32_e64 v7, 0, 1, vcc_lo
.LBB1006_25:
	s_or_b32 exec_lo, exec_lo, s1
	v_add_nc_u32_e32 v9, 7, v47
	s_mov_b32 s1, exec_lo
	v_cmpx_gt_u32_e64 s15, v9
	s_cbranch_execz .LBB1006_27
; %bb.26:
	v_add_nc_u32_e32 v8, s9, v25
	v_add_nc_u32_e32 v9, s11, v25
	v_mul_lo_u32 v8, v8, s8
	v_mul_lo_u32 v9, v9, s10
	v_sub_nc_u32_e32 v8, v8, v9
	v_cmp_lt_u32_e32 vcc_lo, s2, v8
	v_cndmask_b32_e64 v8, 0, 1, vcc_lo
.LBB1006_27:
	s_or_b32 exec_lo, exec_lo, s1
	v_add_nc_u32_e32 v9, 8, v47
	v_mov_b32_e32 v10, 0
	v_cmp_gt_u32_e32 vcc_lo, s15, v9
	v_mov_b32_e32 v9, 0
	s_and_saveexec_b32 s1, vcc_lo
	s_cbranch_execz .LBB1006_29
; %bb.28:
	v_add_nc_u32_e32 v9, s9, v22
	v_add_nc_u32_e32 v11, s11, v22
	v_mul_lo_u32 v9, v9, s8
	v_mul_lo_u32 v11, v11, s10
	v_sub_nc_u32_e32 v9, v9, v11
	v_cmp_lt_u32_e32 vcc_lo, s2, v9
	v_cndmask_b32_e64 v9, 0, 1, vcc_lo
.LBB1006_29:
	s_or_b32 exec_lo, exec_lo, s1
	v_add_nc_u32_e32 v11, 9, v47
	s_mov_b32 s1, exec_lo
	v_cmpx_gt_u32_e64 s15, v11
	s_cbranch_execz .LBB1006_31
; %bb.30:
	v_add_nc_u32_e32 v10, s9, v23
	v_add_nc_u32_e32 v11, s11, v23
	v_mul_lo_u32 v10, v10, s8
	v_mul_lo_u32 v11, v11, s10
	v_sub_nc_u32_e32 v10, v10, v11
	v_cmp_lt_u32_e32 vcc_lo, s2, v10
	v_cndmask_b32_e64 v10, 0, 1, vcc_lo
.LBB1006_31:
	s_or_b32 exec_lo, exec_lo, s1
	v_add_nc_u32_e32 v11, 10, v47
	v_mov_b32_e32 v12, 0
	v_cmp_gt_u32_e32 vcc_lo, s15, v11
	v_mov_b32_e32 v11, 0
	s_and_saveexec_b32 s1, vcc_lo
	s_cbranch_execz .LBB1006_33
; %bb.32:
	v_add_nc_u32_e32 v11, s9, v20
	v_add_nc_u32_e32 v13, s11, v20
	v_mul_lo_u32 v11, v11, s8
	v_mul_lo_u32 v13, v13, s10
	v_sub_nc_u32_e32 v11, v11, v13
	v_cmp_lt_u32_e32 vcc_lo, s2, v11
	v_cndmask_b32_e64 v11, 0, 1, vcc_lo
.LBB1006_33:
	s_or_b32 exec_lo, exec_lo, s1
	v_add_nc_u32_e32 v13, 11, v47
	s_mov_b32 s1, exec_lo
	v_cmpx_gt_u32_e64 s15, v13
	s_cbranch_execz .LBB1006_35
; %bb.34:
	v_add_nc_u32_e32 v12, s9, v21
	v_add_nc_u32_e32 v13, s11, v21
	v_mul_lo_u32 v12, v12, s8
	v_mul_lo_u32 v13, v13, s10
	v_sub_nc_u32_e32 v12, v12, v13
	v_cmp_lt_u32_e32 vcc_lo, s2, v12
	v_cndmask_b32_e64 v12, 0, 1, vcc_lo
.LBB1006_35:
	s_or_b32 exec_lo, exec_lo, s1
	v_add_nc_u32_e32 v13, 12, v47
	v_mov_b32_e32 v48, 0
	s_mov_b32 s1, exec_lo
	v_cmpx_gt_u32_e64 s15, v13
	s_cbranch_execz .LBB1006_37
; %bb.36:
	v_add_nc_u32_e32 v13, s9, v46
	v_add_nc_u32_e32 v14, s11, v46
	v_mul_lo_u32 v13, v13, s8
	v_mul_lo_u32 v14, v14, s10
	v_sub_nc_u32_e32 v13, v13, v14
	v_cmp_lt_u32_e32 vcc_lo, s2, v13
	v_cndmask_b32_e64 v48, 0, 1, vcc_lo
.LBB1006_37:
	s_or_b32 exec_lo, exec_lo, s1
	v_lshlrev_b16 v2, 8, v2
	v_lshlrev_b16 v4, 8, v4
	;; [unrolled: 1-line block ×5, first 2 shown]
	v_or_b32_e32 v1, v1, v2
	v_lshlrev_b16 v2, 8, v12
	v_or_b32_sdwa v3, v3, v4 dst_sel:WORD_1 dst_unused:UNUSED_PAD src0_sel:DWORD src1_sel:DWORD
	v_or_b32_e32 v4, v5, v6
	v_or_b32_sdwa v5, v7, v8 dst_sel:WORD_1 dst_unused:UNUSED_PAD src0_sel:DWORD src1_sel:DWORD
	v_or_b32_e32 v6, v9, v10
	v_or_b32_sdwa v2, v11, v2 dst_sel:WORD_1 dst_unused:UNUSED_PAD src0_sel:DWORD src1_sel:DWORD
	v_or_b32_sdwa v52, v1, v3 dst_sel:DWORD dst_unused:UNUSED_PAD src0_sel:WORD_0 src1_sel:DWORD
	v_or_b32_sdwa v50, v4, v5 dst_sel:DWORD dst_unused:UNUSED_PAD src0_sel:WORD_0 src1_sel:DWORD
	;; [unrolled: 1-line block ×3, first 2 shown]
.LBB1006_38:
	v_and_b32_e32 v55, 0xff, v52
	v_bfe_u32 v56, v52, 8, 8
	v_bfe_u32 v57, v52, 16, 8
	v_lshrrev_b32_e32 v54, 24, v52
	v_and_b32_e32 v58, 0xff, v50
	v_bfe_u32 v59, v50, 8, 8
	v_bfe_u32 v60, v50, 16, 8
	v_add3_u32 v1, v56, v55, v57
	v_lshrrev_b32_e32 v53, 24, v50
	v_and_b32_e32 v61, 0xff, v49
	v_bfe_u32 v62, v49, 8, 8
	v_mbcnt_lo_u32_b32 v64, -1, 0
	v_add3_u32 v1, v1, v54, v58
	v_bfe_u32 v63, v49, 16, 8
	v_lshrrev_b32_e32 v51, 24, v49
	v_and_b32_e32 v2, 0xff, v48
	v_and_b32_e32 v3, 15, v64
	v_add3_u32 v1, v1, v59, v60
	v_or_b32_e32 v4, 31, v0
	v_and_b32_e32 v5, 16, v64
	v_lshrrev_b32_e32 v65, 5, v0
	v_cmp_eq_u32_e64 s6, 0, v3
	v_add3_u32 v1, v1, v53, v61
	v_cmp_lt_u32_e64 s5, 1, v3
	v_cmp_lt_u32_e64 s4, 3, v3
	;; [unrolled: 1-line block ×3, first 2 shown]
	v_cmp_eq_u32_e64 s2, 0, v5
	v_add3_u32 v1, v1, v62, v63
	v_cmp_eq_u32_e64 s1, v0, v4
	s_cmp_lg_u32 s25, 0
	s_mov_b32 s7, -1
	v_add3_u32 v66, v1, v51, v2
	s_cbranch_scc0 .LBB1006_60
; %bb.39:
	v_mov_b32_dpp v1, v66 row_shr:1 row_mask:0xf bank_mask:0xf
	v_cndmask_b32_e64 v1, v1, 0, s6
	v_add_nc_u32_e32 v1, v1, v66
	v_mov_b32_dpp v2, v1 row_shr:2 row_mask:0xf bank_mask:0xf
	v_cndmask_b32_e64 v2, 0, v2, s5
	v_add_nc_u32_e32 v1, v1, v2
	v_mov_b32_dpp v2, v1 row_shr:4 row_mask:0xf bank_mask:0xf
	v_cndmask_b32_e64 v2, 0, v2, s4
	v_add_nc_u32_e32 v1, v1, v2
	v_mov_b32_dpp v2, v1 row_shr:8 row_mask:0xf bank_mask:0xf
	v_cndmask_b32_e64 v2, 0, v2, s3
	v_add_nc_u32_e32 v1, v1, v2
	ds_swizzle_b32 v2, v1 offset:swizzle(BROADCAST,32,15)
	s_waitcnt lgkmcnt(0)
	v_cndmask_b32_e64 v2, v2, 0, s2
	v_add_nc_u32_e32 v1, v1, v2
	s_and_saveexec_b32 s7, s1
; %bb.40:
	v_lshlrev_b32_e32 v2, 2, v65
	ds_write_b32 v2, v1
; %bb.41:
	s_or_b32 exec_lo, exec_lo, s7
	s_mov_b32 s7, exec_lo
	s_waitcnt lgkmcnt(0)
	s_barrier
	buffer_gl0_inv
	v_cmpx_gt_u32_e32 8, v0
	s_cbranch_execz .LBB1006_43
; %bb.42:
	ds_read_b32 v2, v44
	v_and_b32_e32 v3, 7, v64
	v_cmp_ne_u32_e32 vcc_lo, 0, v3
	s_waitcnt lgkmcnt(0)
	v_mov_b32_dpp v4, v2 row_shr:1 row_mask:0xf bank_mask:0xf
	v_cndmask_b32_e32 v4, 0, v4, vcc_lo
	v_cmp_lt_u32_e32 vcc_lo, 1, v3
	v_add_nc_u32_e32 v2, v4, v2
	v_mov_b32_dpp v4, v2 row_shr:2 row_mask:0xf bank_mask:0xf
	v_cndmask_b32_e32 v4, 0, v4, vcc_lo
	v_cmp_lt_u32_e32 vcc_lo, 3, v3
	v_add_nc_u32_e32 v2, v2, v4
	v_mov_b32_dpp v4, v2 row_shr:4 row_mask:0xf bank_mask:0xf
	v_cndmask_b32_e32 v3, 0, v4, vcc_lo
	v_add_nc_u32_e32 v2, v2, v3
	ds_write_b32 v44, v2
.LBB1006_43:
	s_or_b32 exec_lo, exec_lo, s7
	s_mov_b32 s8, exec_lo
	v_cmp_gt_u32_e32 vcc_lo, 32, v0
	s_waitcnt lgkmcnt(0)
	s_barrier
	buffer_gl0_inv
                                        ; implicit-def: $vgpr10
	v_cmpx_lt_u32_e32 31, v0
	s_cbranch_execz .LBB1006_45
; %bb.44:
	v_lshl_add_u32 v2, v65, 2, -4
	ds_read_b32 v10, v2
	s_waitcnt lgkmcnt(0)
	v_add_nc_u32_e32 v1, v10, v1
.LBB1006_45:
	s_or_b32 exec_lo, exec_lo, s8
	v_sub_co_u32 v2, s7, v64, 1
	v_cmp_gt_i32_e64 s8, 0, v2
	v_cndmask_b32_e64 v2, v2, v64, s8
	v_lshlrev_b32_e32 v2, 2, v2
	ds_bpermute_b32 v11, v2, v1
	s_and_saveexec_b32 s8, vcc_lo
	s_cbranch_execz .LBB1006_65
; %bb.46:
	v_mov_b32_e32 v7, 0
	ds_read_b32 v1, v7 offset:28
	s_and_saveexec_b32 s9, s7
	s_cbranch_execz .LBB1006_48
; %bb.47:
	s_add_i32 s10, s25, 32
	s_mov_b32 s11, 0
	v_mov_b32_e32 v2, 1
	s_lshl_b64 s[10:11], s[10:11], 3
	s_add_u32 s10, s22, s10
	s_addc_u32 s11, s23, s11
	s_waitcnt lgkmcnt(0)
	global_store_dwordx2 v7, v[1:2], s[10:11]
.LBB1006_48:
	s_or_b32 exec_lo, exec_lo, s9
	v_xad_u32 v3, v64, -1, s25
	s_mov_b32 s10, 0
	v_add_nc_u32_e32 v6, 32, v3
	v_lshlrev_b64 v[4:5], 3, v[6:7]
	v_add_co_u32 v8, vcc_lo, s22, v4
	v_add_co_ci_u32_e64 v9, null, s23, v5, vcc_lo
	global_load_dwordx2 v[5:6], v[8:9], off glc dlc
	s_waitcnt vmcnt(0)
	v_cmp_eq_u16_sdwa s11, v6, v7 src0_sel:BYTE_0 src1_sel:DWORD
	s_and_saveexec_b32 s9, s11
	s_cbranch_execz .LBB1006_52
; %bb.49:
	v_mov_b32_e32 v2, 0
.LBB1006_50:                            ; =>This Inner Loop Header: Depth=1
	global_load_dwordx2 v[5:6], v[8:9], off glc dlc
	s_waitcnt vmcnt(0)
	v_cmp_ne_u16_sdwa s11, v6, v2 src0_sel:BYTE_0 src1_sel:DWORD
	s_or_b32 s10, s11, s10
	s_andn2_b32 exec_lo, exec_lo, s10
	s_cbranch_execnz .LBB1006_50
; %bb.51:
	s_or_b32 exec_lo, exec_lo, s10
.LBB1006_52:
	s_or_b32 exec_lo, exec_lo, s9
	v_cmp_ne_u32_e32 vcc_lo, 31, v64
	v_mov_b32_e32 v12, 2
	v_lshlrev_b32_e64 v13, v64, -1
	v_add_nc_u32_e32 v15, 2, v64
	v_add_nc_u32_e32 v17, 4, v64
	v_add_co_ci_u32_e64 v2, null, 0, v64, vcc_lo
	v_cmp_eq_u16_sdwa s9, v6, v12 src0_sel:BYTE_0 src1_sel:DWORD
	v_cmp_gt_u32_e32 vcc_lo, 30, v64
	v_add_nc_u32_e32 v68, 8, v64
	v_lshlrev_b32_e32 v9, 2, v2
	v_lshl_or_b32 v69, v64, 2, 64
	v_and_or_b32 v4, s9, v13, 0x80000000
	v_cndmask_b32_e64 v7, 0, 2, vcc_lo
	v_add_nc_u32_e32 v70, 16, v64
	ds_bpermute_b32 v2, v9, v5
	v_ffbl_b32_e32 v4, v4
	v_add_lshl_u32 v14, v7, v64, 2
	v_cmp_lt_u32_e32 vcc_lo, v64, v4
	s_waitcnt lgkmcnt(0)
	v_cndmask_b32_e32 v2, 0, v2, vcc_lo
	v_cmp_gt_u32_e32 vcc_lo, 28, v64
	v_add_nc_u32_e32 v2, v2, v5
	v_cndmask_b32_e64 v7, 0, 4, vcc_lo
	v_cmp_le_u32_e32 vcc_lo, v15, v4
	ds_bpermute_b32 v5, v14, v2
	v_add_lshl_u32 v16, v7, v64, 2
	s_waitcnt lgkmcnt(0)
	v_cndmask_b32_e32 v5, 0, v5, vcc_lo
	v_cmp_gt_u32_e32 vcc_lo, 24, v64
	v_add_nc_u32_e32 v2, v2, v5
	v_cndmask_b32_e64 v7, 0, 8, vcc_lo
	v_cmp_le_u32_e32 vcc_lo, v17, v4
	ds_bpermute_b32 v5, v16, v2
	v_add_lshl_u32 v67, v7, v64, 2
	s_waitcnt lgkmcnt(0)
	v_cndmask_b32_e32 v5, 0, v5, vcc_lo
	v_cmp_le_u32_e32 vcc_lo, v68, v4
	v_add_nc_u32_e32 v2, v2, v5
	ds_bpermute_b32 v5, v67, v2
	s_waitcnt lgkmcnt(0)
	v_cndmask_b32_e32 v5, 0, v5, vcc_lo
	v_cmp_le_u32_e32 vcc_lo, v70, v4
	v_add_nc_u32_e32 v2, v2, v5
	ds_bpermute_b32 v5, v69, v2
	s_waitcnt lgkmcnt(0)
	v_cndmask_b32_e32 v4, 0, v5, vcc_lo
	v_add_nc_u32_e32 v5, v2, v4
	v_mov_b32_e32 v4, 0
	s_branch .LBB1006_56
.LBB1006_53:                            ;   in Loop: Header=BB1006_56 Depth=1
	s_or_b32 exec_lo, exec_lo, s10
.LBB1006_54:                            ;   in Loop: Header=BB1006_56 Depth=1
	s_or_b32 exec_lo, exec_lo, s9
	ds_bpermute_b32 v7, v9, v5
	v_cmp_eq_u16_sdwa s9, v6, v12 src0_sel:BYTE_0 src1_sel:DWORD
	v_subrev_nc_u32_e32 v3, 32, v3
	v_and_or_b32 v8, s9, v13, 0x80000000
	s_mov_b32 s9, 0
	v_ffbl_b32_e32 v8, v8
	v_cmp_lt_u32_e32 vcc_lo, v64, v8
	s_waitcnt lgkmcnt(0)
	v_cndmask_b32_e32 v7, 0, v7, vcc_lo
	v_cmp_le_u32_e32 vcc_lo, v15, v8
	v_add_nc_u32_e32 v5, v7, v5
	ds_bpermute_b32 v7, v14, v5
	s_waitcnt lgkmcnt(0)
	v_cndmask_b32_e32 v7, 0, v7, vcc_lo
	v_cmp_le_u32_e32 vcc_lo, v17, v8
	v_add_nc_u32_e32 v5, v5, v7
	ds_bpermute_b32 v7, v16, v5
	;; [unrolled: 5-line block ×4, first 2 shown]
	s_waitcnt lgkmcnt(0)
	v_cndmask_b32_e32 v7, 0, v7, vcc_lo
	v_add3_u32 v5, v7, v2, v5
.LBB1006_55:                            ;   in Loop: Header=BB1006_56 Depth=1
	s_and_b32 vcc_lo, exec_lo, s9
	s_cbranch_vccnz .LBB1006_61
.LBB1006_56:                            ; =>This Loop Header: Depth=1
                                        ;     Child Loop BB1006_59 Depth 2
	v_cmp_ne_u16_sdwa s9, v6, v12 src0_sel:BYTE_0 src1_sel:DWORD
	v_mov_b32_e32 v2, v5
                                        ; implicit-def: $vgpr5
                                        ; implicit-def: $vgpr6
	s_cmp_lg_u32 s9, exec_lo
	s_mov_b32 s9, -1
	s_cbranch_scc1 .LBB1006_55
; %bb.57:                               ;   in Loop: Header=BB1006_56 Depth=1
	v_lshlrev_b64 v[5:6], 3, v[3:4]
	v_add_co_u32 v7, vcc_lo, s22, v5
	v_add_co_ci_u32_e64 v8, null, s23, v6, vcc_lo
	global_load_dwordx2 v[5:6], v[7:8], off glc dlc
	s_waitcnt vmcnt(0)
	v_cmp_eq_u16_sdwa s10, v6, v4 src0_sel:BYTE_0 src1_sel:DWORD
	s_and_saveexec_b32 s9, s10
	s_cbranch_execz .LBB1006_54
; %bb.58:                               ;   in Loop: Header=BB1006_56 Depth=1
	s_mov_b32 s10, 0
.LBB1006_59:                            ;   Parent Loop BB1006_56 Depth=1
                                        ; =>  This Inner Loop Header: Depth=2
	global_load_dwordx2 v[5:6], v[7:8], off glc dlc
	s_waitcnt vmcnt(0)
	v_cmp_ne_u16_sdwa s11, v6, v4 src0_sel:BYTE_0 src1_sel:DWORD
	s_or_b32 s10, s11, s10
	s_andn2_b32 exec_lo, exec_lo, s10
	s_cbranch_execnz .LBB1006_59
	s_branch .LBB1006_53
.LBB1006_60:
                                        ; implicit-def: $vgpr17
                                        ; implicit-def: $vgpr1_vgpr2_vgpr3_vgpr4_vgpr5_vgpr6_vgpr7_vgpr8_vgpr9_vgpr10_vgpr11_vgpr12_vgpr13_vgpr14_vgpr15_vgpr16
	s_and_b32 vcc_lo, exec_lo, s7
	s_cbranch_vccnz .LBB1006_66
	s_branch .LBB1006_75
.LBB1006_61:
	s_and_saveexec_b32 s9, s7
	s_cbranch_execz .LBB1006_63
; %bb.62:
	s_add_i32 s10, s25, 32
	s_mov_b32 s11, 0
	v_add_nc_u32_e32 v3, v2, v1
	v_mov_b32_e32 v4, 2
	s_lshl_b64 s[10:11], s[10:11], 3
	v_mov_b32_e32 v5, 0
	s_add_u32 s10, s22, s10
	s_addc_u32 s11, s23, s11
	global_store_dwordx2 v5, v[3:4], s[10:11]
	ds_write_b64 v5, v[1:2] offset:13312
.LBB1006_63:
	s_or_b32 exec_lo, exec_lo, s9
	s_and_b32 exec_lo, exec_lo, s0
; %bb.64:
	v_mov_b32_e32 v1, 0
	ds_write_b32 v1, v2 offset:28
.LBB1006_65:
	s_or_b32 exec_lo, exec_lo, s8
	v_mov_b32_e32 v12, 0
	s_waitcnt lgkmcnt(0)
	s_waitcnt_vscnt null, 0x0
	s_barrier
	buffer_gl0_inv
	v_cndmask_b32_e64 v2, v11, v10, s7
	ds_read_b32 v1, v12 offset:28
	s_waitcnt lgkmcnt(0)
	s_barrier
	buffer_gl0_inv
	v_cndmask_b32_e64 v2, v2, 0, s0
	ds_read_b64 v[16:17], v12 offset:13312
	v_add_nc_u32_e32 v1, v1, v2
	v_add_nc_u32_e32 v2, v1, v55
	;; [unrolled: 1-line block ×13, first 2 shown]
	s_branch .LBB1006_75
.LBB1006_66:
	v_mov_b32_dpp v1, v66 row_shr:1 row_mask:0xf bank_mask:0xf
	v_cndmask_b32_e64 v1, v1, 0, s6
	v_add_nc_u32_e32 v1, v1, v66
	v_mov_b32_dpp v2, v1 row_shr:2 row_mask:0xf bank_mask:0xf
	v_cndmask_b32_e64 v2, 0, v2, s5
	v_add_nc_u32_e32 v1, v1, v2
	;; [unrolled: 3-line block ×4, first 2 shown]
	ds_swizzle_b32 v2, v1 offset:swizzle(BROADCAST,32,15)
	s_waitcnt lgkmcnt(0)
	v_cndmask_b32_e64 v2, v2, 0, s2
	v_add_nc_u32_e32 v1, v1, v2
	s_and_saveexec_b32 s2, s1
; %bb.67:
	v_lshlrev_b32_e32 v2, 2, v65
	ds_write_b32 v2, v1
; %bb.68:
	s_or_b32 exec_lo, exec_lo, s2
	s_mov_b32 s1, exec_lo
	s_waitcnt lgkmcnt(0)
	s_barrier
	buffer_gl0_inv
	v_cmpx_gt_u32_e32 8, v0
	s_cbranch_execz .LBB1006_70
; %bb.69:
	ds_read_b32 v2, v44
	v_and_b32_e32 v3, 7, v64
	v_cmp_ne_u32_e32 vcc_lo, 0, v3
	s_waitcnt lgkmcnt(0)
	v_mov_b32_dpp v4, v2 row_shr:1 row_mask:0xf bank_mask:0xf
	v_cndmask_b32_e32 v4, 0, v4, vcc_lo
	v_cmp_lt_u32_e32 vcc_lo, 1, v3
	v_add_nc_u32_e32 v2, v4, v2
	v_mov_b32_dpp v4, v2 row_shr:2 row_mask:0xf bank_mask:0xf
	v_cndmask_b32_e32 v4, 0, v4, vcc_lo
	v_cmp_lt_u32_e32 vcc_lo, 3, v3
	v_add_nc_u32_e32 v2, v2, v4
	v_mov_b32_dpp v4, v2 row_shr:4 row_mask:0xf bank_mask:0xf
	v_cndmask_b32_e32 v3, 0, v4, vcc_lo
	v_add_nc_u32_e32 v2, v2, v3
	ds_write_b32 v44, v2
.LBB1006_70:
	s_or_b32 exec_lo, exec_lo, s1
	v_mov_b32_e32 v3, 0
	v_mov_b32_e32 v2, 0
	s_mov_b32 s1, exec_lo
	s_waitcnt lgkmcnt(0)
	s_barrier
	buffer_gl0_inv
	v_cmpx_lt_u32_e32 31, v0
; %bb.71:
	v_lshl_add_u32 v2, v65, 2, -4
	ds_read_b32 v2, v2
; %bb.72:
	s_or_b32 exec_lo, exec_lo, s1
	v_sub_co_u32 v4, vcc_lo, v64, 1
	s_waitcnt lgkmcnt(0)
	v_add_nc_u32_e32 v1, v2, v1
	ds_read_b32 v16, v3 offset:28
	v_cmp_gt_i32_e64 s1, 0, v4
	v_cndmask_b32_e64 v4, v4, v64, s1
	v_lshlrev_b32_e32 v4, 2, v4
	ds_bpermute_b32 v1, v4, v1
	s_and_saveexec_b32 s1, s0
	s_cbranch_execz .LBB1006_74
; %bb.73:
	v_mov_b32_e32 v3, 0
	v_mov_b32_e32 v17, 2
	s_waitcnt lgkmcnt(1)
	global_store_dwordx2 v3, v[16:17], s[22:23] offset:256
.LBB1006_74:
	s_or_b32 exec_lo, exec_lo, s1
	s_waitcnt lgkmcnt(0)
	v_cndmask_b32_e32 v1, v1, v2, vcc_lo
	v_mov_b32_e32 v17, 0
	s_waitcnt_vscnt null, 0x0
	s_barrier
	buffer_gl0_inv
	v_cndmask_b32_e64 v1, v1, 0, s0
	v_add_nc_u32_e32 v2, v1, v55
	v_add_nc_u32_e32 v3, v2, v56
	;; [unrolled: 1-line block ×12, first 2 shown]
.LBB1006_75:
	s_waitcnt lgkmcnt(0)
	v_add_nc_u32_e32 v47, v16, v47
	v_sub_nc_u32_e32 v1, v1, v17
	v_and_b32_e32 v56, 1, v52
	v_lshrrev_b32_e32 v55, 8, v52
	v_sub_nc_u32_e32 v2, v2, v17
	v_sub_nc_u32_e32 v3, v3, v17
	;; [unrolled: 1-line block ×3, first 2 shown]
	v_cmp_eq_u32_e32 vcc_lo, 1, v56
	v_and_b32_e32 v55, 1, v55
	v_mov_b32_e32 v58, 1
	v_sub_nc_u32_e32 v56, v47, v2
	v_sub_nc_u32_e32 v4, v4, v17
	v_cndmask_b32_e32 v1, v57, v1, vcc_lo
	v_sub_nc_u32_e32 v57, v47, v3
	v_and_b32_sdwa v52, v58, v52 dst_sel:DWORD dst_unused:UNUSED_PAD src0_sel:DWORD src1_sel:WORD_1
	v_add_nc_u32_e32 v56, 1, v56
	v_cmp_eq_u32_e32 vcc_lo, 1, v55
	v_lshlrev_b32_e32 v1, 2, v1
	v_and_b32_e32 v54, 1, v54
	v_sub_nc_u32_e32 v59, v47, v4
	v_add_nc_u32_e32 v57, 2, v57
	v_lshrrev_b32_e32 v15, 8, v50
	ds_write_b32 v1, v30
	v_cndmask_b32_e32 v1, v56, v2, vcc_lo
	v_cmp_eq_u32_e32 vcc_lo, 1, v52
	v_add_nc_u32_e32 v59, 3, v59
	v_lshrrev_b32_e32 v14, 8, v49
	v_lshlrev_b32_e32 v1, 2, v1
	v_cndmask_b32_e32 v2, v57, v3, vcc_lo
	v_cmp_eq_u32_e32 vcc_lo, 1, v54
	ds_write_b32 v1, v31
	v_lshlrev_b32_e32 v2, 2, v2
	v_cndmask_b32_e32 v3, v59, v4, vcc_lo
	v_sub_nc_u32_e32 v4, v5, v17
	v_sub_nc_u32_e32 v5, v6, v17
	v_lshlrev_b32_e32 v3, 2, v3
	v_sub_nc_u32_e32 v1, v47, v4
	v_sub_nc_u32_e32 v6, v47, v5
	ds_write_b32 v2, v28
	ds_write_b32 v3, v29
	v_and_b32_e32 v2, 1, v50
	v_add_nc_u32_e32 v1, 4, v1
	v_add_nc_u32_e32 v3, 5, v6
	v_sub_nc_u32_e32 v6, v7, v17
	v_and_b32_e32 v7, 1, v15
	v_cmp_eq_u32_e32 vcc_lo, 1, v2
	v_sub_nc_u32_e32 v2, v8, v17
	v_and_b32_e32 v8, 1, v53
	v_add_co_u32 v15, s1, v18, v17
	v_cndmask_b32_e32 v1, v1, v4, vcc_lo
	v_sub_nc_u32_e32 v4, v47, v6
	v_cmp_eq_u32_e32 vcc_lo, 1, v7
	v_and_b32_sdwa v7, v58, v50 dst_sel:DWORD dst_unused:UNUSED_PAD src0_sel:DWORD src1_sel:WORD_1
	v_lshlrev_b32_e32 v1, 2, v1
	v_add_nc_u32_e32 v4, 6, v4
	v_cndmask_b32_e32 v3, v3, v5, vcc_lo
	v_sub_nc_u32_e32 v5, v47, v2
	v_cmp_eq_u32_e32 vcc_lo, 1, v7
	v_sub_nc_u32_e32 v7, v13, v17
	v_lshlrev_b32_e32 v3, 2, v3
	v_add_nc_u32_e32 v5, 7, v5
	v_cndmask_b32_e32 v4, v4, v6, vcc_lo
	v_cmp_eq_u32_e32 vcc_lo, 1, v8
	v_sub_nc_u32_e32 v6, v9, v17
	ds_write_b32 v1, v26
	ds_write_b32 v3, v27
	v_lshlrev_b32_e32 v3, 2, v4
	v_cndmask_b32_e32 v2, v5, v2, vcc_lo
	v_sub_nc_u32_e32 v1, v47, v6
	v_and_b32_e32 v5, 1, v49
	v_sub_nc_u32_e32 v4, v10, v17
	v_and_b32_e32 v10, 1, v51
	v_lshlrev_b32_e32 v2, 2, v2
	v_add_nc_u32_e32 v1, 8, v1
	ds_write_b32 v3, v24
	ds_write_b32 v2, v25
	v_cmp_eq_u32_e32 vcc_lo, 1, v5
	v_sub_nc_u32_e32 v3, v11, v17
	v_sub_nc_u32_e32 v2, v47, v4
	;; [unrolled: 1-line block ×3, first 2 shown]
	v_and_b32_e32 v11, 1, v48
	v_cndmask_b32_e32 v1, v1, v6, vcc_lo
	v_and_b32_e32 v6, 1, v14
	v_sub_nc_u32_e32 v8, v47, v3
	v_add_nc_u32_e32 v2, 9, v2
	v_sub_nc_u32_e32 v9, v47, v5
	v_lshlrev_b32_e32 v1, 2, v1
	v_cmp_eq_u32_e32 vcc_lo, 1, v6
	v_add_nc_u32_e32 v6, 10, v8
	v_and_b32_sdwa v8, v58, v49 dst_sel:DWORD dst_unused:UNUSED_PAD src0_sel:DWORD src1_sel:WORD_1
	v_add_nc_u32_e32 v9, 11, v9
	v_add_co_ci_u32_e64 v17, null, 0, v19, s1
	v_cndmask_b32_e32 v2, v2, v4, vcc_lo
	v_cmp_eq_u32_e32 vcc_lo, 1, v8
	v_sub_nc_u32_e32 v4, v47, v7
	v_lshlrev_b32_e32 v2, 2, v2
	v_cndmask_b32_e32 v3, v6, v3, vcc_lo
	v_cmp_eq_u32_e32 vcc_lo, 1, v10
	v_add_nc_u32_e32 v4, 12, v4
	v_lshlrev_b32_e32 v3, 2, v3
	v_cndmask_b32_e32 v5, v9, v5, vcc_lo
	v_cmp_eq_u32_e32 vcc_lo, 1, v11
	v_lshlrev_b32_e32 v5, 2, v5
	v_cndmask_b32_e32 v4, v4, v7, vcc_lo
	v_cmp_ne_u32_e32 vcc_lo, 1, v45
	v_lshlrev_b32_e32 v4, 2, v4
	ds_write_b32 v1, v22
	ds_write_b32 v2, v23
	;; [unrolled: 1-line block ×5, first 2 shown]
	s_waitcnt lgkmcnt(0)
	s_barrier
	buffer_gl0_inv
	ds_read2st64_b32 v[11:12], v44 offset1:4
	ds_read2st64_b32 v[9:10], v44 offset0:8 offset1:12
	ds_read2st64_b32 v[7:8], v44 offset0:16 offset1:20
	ds_read2st64_b32 v[5:6], v44 offset0:24 offset1:28
	ds_read2st64_b32 v[3:4], v44 offset0:32 offset1:36
	ds_read2st64_b32 v[1:2], v44 offset0:40 offset1:44
	ds_read_b32 v20, v44 offset:12288
	s_cbranch_vccnz .LBB1006_132
; %bb.76:
	s_sub_u32 s1, s20, s24
	v_sub_co_u32 v13, vcc_lo, v15, s18
	s_subb_u32 s2, s21, 0
	v_add_co_u32 v18, s1, s1, v16
	v_subrev_co_ci_u32_e64 v14, null, s19, v17, vcc_lo
	v_add_co_ci_u32_e64 v19, null, s2, 0, s1
	v_add_co_u32 v18, vcc_lo, v18, v13
	s_mov_b32 s1, exec_lo
	v_add_co_ci_u32_e64 v19, null, v19, v14, vcc_lo
                                        ; implicit-def: $vgpr13_vgpr14
	v_cmpx_ge_u32_e64 v0, v16
	s_xor_b32 s1, exec_lo, s1
; %bb.77:
	v_not_b32_e32 v13, v0
	v_ashrrev_i32_e32 v14, 31, v13
	v_add_co_u32 v13, vcc_lo, v18, v13
	v_add_co_ci_u32_e64 v14, null, v19, v14, vcc_lo
; %bb.78:
	s_andn2_saveexec_b32 s1, s1
; %bb.79:
	v_add_co_u32 v13, vcc_lo, v15, v0
	v_add_co_ci_u32_e64 v14, null, 0, v17, vcc_lo
; %bb.80:
	s_or_b32 exec_lo, exec_lo, s1
	v_lshlrev_b64 v[13:14], 2, v[13:14]
	s_mov_b32 s1, exec_lo
	v_add_co_u32 v13, vcc_lo, s16, v13
	v_add_co_ci_u32_e64 v14, null, s17, v14, vcc_lo
	s_waitcnt lgkmcnt(6)
	global_store_dword v[13:14], v11, off
                                        ; implicit-def: $vgpr13_vgpr14
	v_cmpx_ge_u32_e64 v43, v16
	s_xor_b32 s1, exec_lo, s1
; %bb.81:
	v_xor_b32_e32 v13, 0xfffffeff, v0
	v_ashrrev_i32_e32 v14, 31, v13
	v_add_co_u32 v13, vcc_lo, v18, v13
	v_add_co_ci_u32_e64 v14, null, v19, v14, vcc_lo
; %bb.82:
	s_andn2_saveexec_b32 s1, s1
; %bb.83:
	v_add_co_u32 v13, vcc_lo, v15, v43
	v_add_co_ci_u32_e64 v14, null, 0, v17, vcc_lo
; %bb.84:
	s_or_b32 exec_lo, exec_lo, s1
	v_lshlrev_b64 v[13:14], 2, v[13:14]
	s_mov_b32 s1, exec_lo
	v_add_co_u32 v13, vcc_lo, s16, v13
	v_add_co_ci_u32_e64 v14, null, s17, v14, vcc_lo
	global_store_dword v[13:14], v12, off
                                        ; implicit-def: $vgpr13_vgpr14
	v_cmpx_ge_u32_e64 v42, v16
	s_xor_b32 s1, exec_lo, s1
; %bb.85:
	v_xor_b32_e32 v13, 0xfffffdff, v0
	v_ashrrev_i32_e32 v14, 31, v13
	v_add_co_u32 v13, vcc_lo, v18, v13
	v_add_co_ci_u32_e64 v14, null, v19, v14, vcc_lo
; %bb.86:
	s_andn2_saveexec_b32 s1, s1
; %bb.87:
	v_add_co_u32 v13, vcc_lo, v15, v42
	v_add_co_ci_u32_e64 v14, null, 0, v17, vcc_lo
; %bb.88:
	s_or_b32 exec_lo, exec_lo, s1
	v_lshlrev_b64 v[13:14], 2, v[13:14]
	s_mov_b32 s1, exec_lo
	v_add_co_u32 v13, vcc_lo, s16, v13
	v_add_co_ci_u32_e64 v14, null, s17, v14, vcc_lo
	s_waitcnt lgkmcnt(5)
	global_store_dword v[13:14], v9, off
                                        ; implicit-def: $vgpr13_vgpr14
	v_cmpx_ge_u32_e64 v41, v16
	s_xor_b32 s1, exec_lo, s1
; %bb.89:
	v_xor_b32_e32 v13, 0xfffffcff, v0
	v_ashrrev_i32_e32 v14, 31, v13
	v_add_co_u32 v13, vcc_lo, v18, v13
	v_add_co_ci_u32_e64 v14, null, v19, v14, vcc_lo
; %bb.90:
	s_andn2_saveexec_b32 s1, s1
; %bb.91:
	v_add_co_u32 v13, vcc_lo, v15, v41
	v_add_co_ci_u32_e64 v14, null, 0, v17, vcc_lo
; %bb.92:
	s_or_b32 exec_lo, exec_lo, s1
	v_lshlrev_b64 v[13:14], 2, v[13:14]
	s_mov_b32 s1, exec_lo
	v_add_co_u32 v13, vcc_lo, s16, v13
	v_add_co_ci_u32_e64 v14, null, s17, v14, vcc_lo
	global_store_dword v[13:14], v10, off
                                        ; implicit-def: $vgpr13_vgpr14
	v_cmpx_ge_u32_e64 v40, v16
	s_xor_b32 s1, exec_lo, s1
; %bb.93:
	v_xor_b32_e32 v13, 0xfffffbff, v0
	;; [unrolled: 41-line block ×6, first 2 shown]
	v_ashrrev_i32_e32 v14, 31, v13
	v_add_co_u32 v13, vcc_lo, v18, v13
	v_add_co_ci_u32_e64 v14, null, v19, v14, vcc_lo
; %bb.126:
	s_andn2_saveexec_b32 s1, s1
; %bb.127:
	v_add_co_u32 v13, vcc_lo, v15, v32
	v_add_co_ci_u32_e64 v14, null, 0, v17, vcc_lo
; %bb.128:
	s_or_b32 exec_lo, exec_lo, s1
	s_mov_b32 s1, -1
.LBB1006_129:
	s_and_saveexec_b32 s2, s1
	s_cbranch_execz .LBB1006_212
.LBB1006_130:
	s_waitcnt lgkmcnt(1)
	v_lshlrev_b64 v[0:1], 2, v[13:14]
	v_add_co_u32 v0, vcc_lo, s16, v0
	v_add_co_ci_u32_e64 v1, null, s17, v1, vcc_lo
	s_waitcnt lgkmcnt(0)
	global_store_dword v[0:1], v20, off
	s_or_b32 exec_lo, exec_lo, s2
	s_and_b32 s0, s0, s14
	s_and_saveexec_b32 s1, s0
	s_cbranch_execnz .LBB1006_213
.LBB1006_131:
	s_endpgm
.LBB1006_132:
	s_mov_b32 s1, 0
                                        ; implicit-def: $vgpr13_vgpr14
	s_cbranch_execz .LBB1006_129
; %bb.133:
	s_add_u32 s2, s18, s24
	s_addc_u32 s3, s19, 0
	s_sub_u32 s2, s20, s2
	s_subb_u32 s3, s21, s3
	v_add_co_u32 v13, s2, s2, v16
	v_add_co_ci_u32_e64 v14, null, s3, 0, s2
	s_mov_b32 s2, exec_lo
	v_add_co_u32 v18, vcc_lo, v13, v15
	v_add_co_ci_u32_e64 v19, null, v14, v17, vcc_lo
	v_cmpx_gt_u32_e64 s15, v0
	s_cbranch_execz .LBB1006_169
; %bb.134:
	s_mov_b32 s3, exec_lo
                                        ; implicit-def: $vgpr13_vgpr14
	v_cmpx_ge_u32_e64 v0, v16
	s_xor_b32 s3, exec_lo, s3
; %bb.135:
	v_not_b32_e32 v13, v0
	v_ashrrev_i32_e32 v14, 31, v13
	v_add_co_u32 v13, vcc_lo, v18, v13
	v_add_co_ci_u32_e64 v14, null, v19, v14, vcc_lo
; %bb.136:
	s_andn2_saveexec_b32 s3, s3
; %bb.137:
	v_add_co_u32 v13, vcc_lo, v15, v0
	v_add_co_ci_u32_e64 v14, null, 0, v17, vcc_lo
; %bb.138:
	s_or_b32 exec_lo, exec_lo, s3
	v_lshlrev_b64 v[13:14], 2, v[13:14]
	v_add_co_u32 v13, vcc_lo, s16, v13
	v_add_co_ci_u32_e64 v14, null, s17, v14, vcc_lo
	s_waitcnt lgkmcnt(6)
	global_store_dword v[13:14], v11, off
	s_or_b32 exec_lo, exec_lo, s2
	s_mov_b32 s2, exec_lo
	v_cmpx_gt_u32_e64 s15, v43
	s_cbranch_execnz .LBB1006_170
.LBB1006_139:
	s_or_b32 exec_lo, exec_lo, s2
	s_mov_b32 s2, exec_lo
	v_cmpx_gt_u32_e64 s15, v42
	s_cbranch_execz .LBB1006_175
.LBB1006_140:
	s_mov_b32 s3, exec_lo
                                        ; implicit-def: $vgpr11_vgpr12
	v_cmpx_ge_u32_e64 v42, v16
	s_xor_b32 s3, exec_lo, s3
	s_cbranch_execz .LBB1006_142
; %bb.141:
	s_waitcnt lgkmcnt(6)
	v_xor_b32_e32 v11, 0xfffffdff, v0
                                        ; implicit-def: $vgpr42
	v_ashrrev_i32_e32 v12, 31, v11
	v_add_co_u32 v11, vcc_lo, v18, v11
	v_add_co_ci_u32_e64 v12, null, v19, v12, vcc_lo
.LBB1006_142:
	s_andn2_saveexec_b32 s3, s3
	s_cbranch_execz .LBB1006_144
; %bb.143:
	s_waitcnt lgkmcnt(6)
	v_add_co_u32 v11, vcc_lo, v15, v42
	v_add_co_ci_u32_e64 v12, null, 0, v17, vcc_lo
.LBB1006_144:
	s_or_b32 exec_lo, exec_lo, s3
	s_waitcnt lgkmcnt(6)
	v_lshlrev_b64 v[11:12], 2, v[11:12]
	v_add_co_u32 v11, vcc_lo, s16, v11
	v_add_co_ci_u32_e64 v12, null, s17, v12, vcc_lo
	s_waitcnt lgkmcnt(5)
	global_store_dword v[11:12], v9, off
	s_or_b32 exec_lo, exec_lo, s2
	s_mov_b32 s2, exec_lo
	v_cmpx_gt_u32_e64 s15, v41
	s_cbranch_execnz .LBB1006_176
.LBB1006_145:
	s_or_b32 exec_lo, exec_lo, s2
	s_mov_b32 s2, exec_lo
	v_cmpx_gt_u32_e64 s15, v40
	s_cbranch_execz .LBB1006_181
.LBB1006_146:
	s_mov_b32 s3, exec_lo
                                        ; implicit-def: $vgpr9_vgpr10
	v_cmpx_ge_u32_e64 v40, v16
	s_xor_b32 s3, exec_lo, s3
	s_cbranch_execz .LBB1006_148
; %bb.147:
	s_waitcnt lgkmcnt(5)
	v_xor_b32_e32 v9, 0xfffffbff, v0
                                        ; implicit-def: $vgpr40
	v_ashrrev_i32_e32 v10, 31, v9
	v_add_co_u32 v9, vcc_lo, v18, v9
	v_add_co_ci_u32_e64 v10, null, v19, v10, vcc_lo
.LBB1006_148:
	s_andn2_saveexec_b32 s3, s3
	s_cbranch_execz .LBB1006_150
; %bb.149:
	s_waitcnt lgkmcnt(5)
	v_add_co_u32 v9, vcc_lo, v15, v40
	v_add_co_ci_u32_e64 v10, null, 0, v17, vcc_lo
.LBB1006_150:
	s_or_b32 exec_lo, exec_lo, s3
	s_waitcnt lgkmcnt(5)
	v_lshlrev_b64 v[9:10], 2, v[9:10]
	v_add_co_u32 v9, vcc_lo, s16, v9
	v_add_co_ci_u32_e64 v10, null, s17, v10, vcc_lo
	s_waitcnt lgkmcnt(4)
	global_store_dword v[9:10], v7, off
	s_or_b32 exec_lo, exec_lo, s2
	s_mov_b32 s2, exec_lo
	v_cmpx_gt_u32_e64 s15, v39
	s_cbranch_execnz .LBB1006_182
.LBB1006_151:
	s_or_b32 exec_lo, exec_lo, s2
	s_mov_b32 s2, exec_lo
	v_cmpx_gt_u32_e64 s15, v38
	s_cbranch_execz .LBB1006_187
.LBB1006_152:
	s_mov_b32 s3, exec_lo
                                        ; implicit-def: $vgpr7_vgpr8
	v_cmpx_ge_u32_e64 v38, v16
	s_xor_b32 s3, exec_lo, s3
	s_cbranch_execz .LBB1006_154
; %bb.153:
	s_waitcnt lgkmcnt(4)
	v_xor_b32_e32 v7, 0xfffff9ff, v0
                                        ; implicit-def: $vgpr38
	v_ashrrev_i32_e32 v8, 31, v7
	v_add_co_u32 v7, vcc_lo, v18, v7
	v_add_co_ci_u32_e64 v8, null, v19, v8, vcc_lo
.LBB1006_154:
	s_andn2_saveexec_b32 s3, s3
	s_cbranch_execz .LBB1006_156
; %bb.155:
	s_waitcnt lgkmcnt(4)
	v_add_co_u32 v7, vcc_lo, v15, v38
	v_add_co_ci_u32_e64 v8, null, 0, v17, vcc_lo
.LBB1006_156:
	s_or_b32 exec_lo, exec_lo, s3
	s_waitcnt lgkmcnt(4)
	v_lshlrev_b64 v[7:8], 2, v[7:8]
	v_add_co_u32 v7, vcc_lo, s16, v7
	v_add_co_ci_u32_e64 v8, null, s17, v8, vcc_lo
	s_waitcnt lgkmcnt(3)
	global_store_dword v[7:8], v5, off
	s_or_b32 exec_lo, exec_lo, s2
	s_mov_b32 s2, exec_lo
	v_cmpx_gt_u32_e64 s15, v37
	s_cbranch_execnz .LBB1006_188
.LBB1006_157:
	s_or_b32 exec_lo, exec_lo, s2
	s_mov_b32 s2, exec_lo
	v_cmpx_gt_u32_e64 s15, v36
	s_cbranch_execz .LBB1006_193
.LBB1006_158:
	s_mov_b32 s3, exec_lo
                                        ; implicit-def: $vgpr5_vgpr6
	v_cmpx_ge_u32_e64 v36, v16
	s_xor_b32 s3, exec_lo, s3
	s_cbranch_execz .LBB1006_160
; %bb.159:
	s_waitcnt lgkmcnt(3)
	v_xor_b32_e32 v5, 0xfffff7ff, v0
                                        ; implicit-def: $vgpr36
	v_ashrrev_i32_e32 v6, 31, v5
	v_add_co_u32 v5, vcc_lo, v18, v5
	v_add_co_ci_u32_e64 v6, null, v19, v6, vcc_lo
.LBB1006_160:
	s_andn2_saveexec_b32 s3, s3
	s_cbranch_execz .LBB1006_162
; %bb.161:
	s_waitcnt lgkmcnt(3)
	v_add_co_u32 v5, vcc_lo, v15, v36
	v_add_co_ci_u32_e64 v6, null, 0, v17, vcc_lo
.LBB1006_162:
	s_or_b32 exec_lo, exec_lo, s3
	s_waitcnt lgkmcnt(3)
	v_lshlrev_b64 v[5:6], 2, v[5:6]
	v_add_co_u32 v5, vcc_lo, s16, v5
	v_add_co_ci_u32_e64 v6, null, s17, v6, vcc_lo
	s_waitcnt lgkmcnt(2)
	global_store_dword v[5:6], v3, off
	s_or_b32 exec_lo, exec_lo, s2
	s_mov_b32 s2, exec_lo
	v_cmpx_gt_u32_e64 s15, v35
	s_cbranch_execnz .LBB1006_194
.LBB1006_163:
	s_or_b32 exec_lo, exec_lo, s2
	s_mov_b32 s2, exec_lo
	v_cmpx_gt_u32_e64 s15, v34
	s_cbranch_execz .LBB1006_199
.LBB1006_164:
	s_mov_b32 s3, exec_lo
                                        ; implicit-def: $vgpr3_vgpr4
	v_cmpx_ge_u32_e64 v34, v16
	s_xor_b32 s3, exec_lo, s3
	s_cbranch_execz .LBB1006_166
; %bb.165:
	s_waitcnt lgkmcnt(2)
	v_xor_b32_e32 v3, 0xfffff5ff, v0
                                        ; implicit-def: $vgpr34
	v_ashrrev_i32_e32 v4, 31, v3
	v_add_co_u32 v3, vcc_lo, v18, v3
	v_add_co_ci_u32_e64 v4, null, v19, v4, vcc_lo
.LBB1006_166:
	s_andn2_saveexec_b32 s3, s3
	s_cbranch_execz .LBB1006_168
; %bb.167:
	s_waitcnt lgkmcnt(2)
	v_add_co_u32 v3, vcc_lo, v15, v34
	v_add_co_ci_u32_e64 v4, null, 0, v17, vcc_lo
.LBB1006_168:
	s_or_b32 exec_lo, exec_lo, s3
	s_waitcnt lgkmcnt(2)
	v_lshlrev_b64 v[3:4], 2, v[3:4]
	v_add_co_u32 v3, vcc_lo, s16, v3
	v_add_co_ci_u32_e64 v4, null, s17, v4, vcc_lo
	s_waitcnt lgkmcnt(1)
	global_store_dword v[3:4], v1, off
	s_or_b32 exec_lo, exec_lo, s2
	s_mov_b32 s2, exec_lo
	v_cmpx_gt_u32_e64 s15, v33
	s_cbranch_execz .LBB1006_205
	s_branch .LBB1006_200
.LBB1006_169:
	s_or_b32 exec_lo, exec_lo, s2
	s_mov_b32 s2, exec_lo
	v_cmpx_gt_u32_e64 s15, v43
	s_cbranch_execz .LBB1006_139
.LBB1006_170:
	s_mov_b32 s3, exec_lo
                                        ; implicit-def: $vgpr13_vgpr14
	v_cmpx_ge_u32_e64 v43, v16
	s_xor_b32 s3, exec_lo, s3
	s_cbranch_execz .LBB1006_172
; %bb.171:
	s_waitcnt lgkmcnt(6)
	v_xor_b32_e32 v11, 0xfffffeff, v0
                                        ; implicit-def: $vgpr43
	v_ashrrev_i32_e32 v14, 31, v11
	v_add_co_u32 v13, vcc_lo, v18, v11
	v_add_co_ci_u32_e64 v14, null, v19, v14, vcc_lo
.LBB1006_172:
	s_andn2_saveexec_b32 s3, s3
; %bb.173:
	v_add_co_u32 v13, vcc_lo, v15, v43
	v_add_co_ci_u32_e64 v14, null, 0, v17, vcc_lo
; %bb.174:
	s_or_b32 exec_lo, exec_lo, s3
	v_lshlrev_b64 v[13:14], 2, v[13:14]
	v_add_co_u32 v13, vcc_lo, s16, v13
	v_add_co_ci_u32_e64 v14, null, s17, v14, vcc_lo
	s_waitcnt lgkmcnt(6)
	global_store_dword v[13:14], v12, off
	s_or_b32 exec_lo, exec_lo, s2
	s_mov_b32 s2, exec_lo
	v_cmpx_gt_u32_e64 s15, v42
	s_cbranch_execnz .LBB1006_140
.LBB1006_175:
	s_or_b32 exec_lo, exec_lo, s2
	s_mov_b32 s2, exec_lo
	v_cmpx_gt_u32_e64 s15, v41
	s_cbranch_execz .LBB1006_145
.LBB1006_176:
	s_mov_b32 s3, exec_lo
                                        ; implicit-def: $vgpr11_vgpr12
	v_cmpx_ge_u32_e64 v41, v16
	s_xor_b32 s3, exec_lo, s3
	s_cbranch_execz .LBB1006_178
; %bb.177:
	s_waitcnt lgkmcnt(5)
	v_xor_b32_e32 v9, 0xfffffcff, v0
                                        ; implicit-def: $vgpr41
	v_ashrrev_i32_e32 v12, 31, v9
	v_add_co_u32 v11, vcc_lo, v18, v9
	v_add_co_ci_u32_e64 v12, null, v19, v12, vcc_lo
.LBB1006_178:
	s_andn2_saveexec_b32 s3, s3
	s_cbranch_execz .LBB1006_180
; %bb.179:
	s_waitcnt lgkmcnt(6)
	v_add_co_u32 v11, vcc_lo, v15, v41
	v_add_co_ci_u32_e64 v12, null, 0, v17, vcc_lo
.LBB1006_180:
	s_or_b32 exec_lo, exec_lo, s3
	s_waitcnt lgkmcnt(6)
	v_lshlrev_b64 v[11:12], 2, v[11:12]
	v_add_co_u32 v11, vcc_lo, s16, v11
	v_add_co_ci_u32_e64 v12, null, s17, v12, vcc_lo
	s_waitcnt lgkmcnt(5)
	global_store_dword v[11:12], v10, off
	s_or_b32 exec_lo, exec_lo, s2
	s_mov_b32 s2, exec_lo
	v_cmpx_gt_u32_e64 s15, v40
	s_cbranch_execnz .LBB1006_146
.LBB1006_181:
	s_or_b32 exec_lo, exec_lo, s2
	s_mov_b32 s2, exec_lo
	v_cmpx_gt_u32_e64 s15, v39
	s_cbranch_execz .LBB1006_151
.LBB1006_182:
	s_mov_b32 s3, exec_lo
                                        ; implicit-def: $vgpr9_vgpr10
	v_cmpx_ge_u32_e64 v39, v16
	s_xor_b32 s3, exec_lo, s3
	s_cbranch_execz .LBB1006_184
; %bb.183:
	s_waitcnt lgkmcnt(4)
	v_xor_b32_e32 v7, 0xfffffaff, v0
                                        ; implicit-def: $vgpr39
	v_ashrrev_i32_e32 v10, 31, v7
	v_add_co_u32 v9, vcc_lo, v18, v7
	v_add_co_ci_u32_e64 v10, null, v19, v10, vcc_lo
.LBB1006_184:
	s_andn2_saveexec_b32 s3, s3
	s_cbranch_execz .LBB1006_186
; %bb.185:
	s_waitcnt lgkmcnt(5)
	v_add_co_u32 v9, vcc_lo, v15, v39
	v_add_co_ci_u32_e64 v10, null, 0, v17, vcc_lo
.LBB1006_186:
	s_or_b32 exec_lo, exec_lo, s3
	s_waitcnt lgkmcnt(5)
	v_lshlrev_b64 v[9:10], 2, v[9:10]
	v_add_co_u32 v9, vcc_lo, s16, v9
	v_add_co_ci_u32_e64 v10, null, s17, v10, vcc_lo
	s_waitcnt lgkmcnt(4)
	global_store_dword v[9:10], v8, off
	s_or_b32 exec_lo, exec_lo, s2
	s_mov_b32 s2, exec_lo
	v_cmpx_gt_u32_e64 s15, v38
	s_cbranch_execnz .LBB1006_152
.LBB1006_187:
	s_or_b32 exec_lo, exec_lo, s2
	s_mov_b32 s2, exec_lo
	v_cmpx_gt_u32_e64 s15, v37
	s_cbranch_execz .LBB1006_157
.LBB1006_188:
	s_mov_b32 s3, exec_lo
                                        ; implicit-def: $vgpr7_vgpr8
	v_cmpx_ge_u32_e64 v37, v16
	s_xor_b32 s3, exec_lo, s3
	s_cbranch_execz .LBB1006_190
; %bb.189:
	s_waitcnt lgkmcnt(3)
	v_xor_b32_e32 v5, 0xfffff8ff, v0
                                        ; implicit-def: $vgpr37
	v_ashrrev_i32_e32 v8, 31, v5
	v_add_co_u32 v7, vcc_lo, v18, v5
	v_add_co_ci_u32_e64 v8, null, v19, v8, vcc_lo
.LBB1006_190:
	s_andn2_saveexec_b32 s3, s3
	s_cbranch_execz .LBB1006_192
; %bb.191:
	s_waitcnt lgkmcnt(4)
	v_add_co_u32 v7, vcc_lo, v15, v37
	v_add_co_ci_u32_e64 v8, null, 0, v17, vcc_lo
.LBB1006_192:
	s_or_b32 exec_lo, exec_lo, s3
	s_waitcnt lgkmcnt(4)
	v_lshlrev_b64 v[7:8], 2, v[7:8]
	v_add_co_u32 v7, vcc_lo, s16, v7
	v_add_co_ci_u32_e64 v8, null, s17, v8, vcc_lo
	s_waitcnt lgkmcnt(3)
	global_store_dword v[7:8], v6, off
	s_or_b32 exec_lo, exec_lo, s2
	s_mov_b32 s2, exec_lo
	v_cmpx_gt_u32_e64 s15, v36
	s_cbranch_execnz .LBB1006_158
.LBB1006_193:
	s_or_b32 exec_lo, exec_lo, s2
	s_mov_b32 s2, exec_lo
	v_cmpx_gt_u32_e64 s15, v35
	s_cbranch_execz .LBB1006_163
.LBB1006_194:
	s_mov_b32 s3, exec_lo
                                        ; implicit-def: $vgpr5_vgpr6
	v_cmpx_ge_u32_e64 v35, v16
	s_xor_b32 s3, exec_lo, s3
	s_cbranch_execz .LBB1006_196
; %bb.195:
	s_waitcnt lgkmcnt(2)
	v_xor_b32_e32 v3, 0xfffff6ff, v0
                                        ; implicit-def: $vgpr35
	v_ashrrev_i32_e32 v6, 31, v3
	v_add_co_u32 v5, vcc_lo, v18, v3
	v_add_co_ci_u32_e64 v6, null, v19, v6, vcc_lo
.LBB1006_196:
	s_andn2_saveexec_b32 s3, s3
	s_cbranch_execz .LBB1006_198
; %bb.197:
	s_waitcnt lgkmcnt(3)
	v_add_co_u32 v5, vcc_lo, v15, v35
	v_add_co_ci_u32_e64 v6, null, 0, v17, vcc_lo
.LBB1006_198:
	s_or_b32 exec_lo, exec_lo, s3
	s_waitcnt lgkmcnt(3)
	v_lshlrev_b64 v[5:6], 2, v[5:6]
	v_add_co_u32 v5, vcc_lo, s16, v5
	v_add_co_ci_u32_e64 v6, null, s17, v6, vcc_lo
	s_waitcnt lgkmcnt(2)
	global_store_dword v[5:6], v4, off
	s_or_b32 exec_lo, exec_lo, s2
	s_mov_b32 s2, exec_lo
	v_cmpx_gt_u32_e64 s15, v34
	s_cbranch_execnz .LBB1006_164
.LBB1006_199:
	s_or_b32 exec_lo, exec_lo, s2
	s_mov_b32 s2, exec_lo
	v_cmpx_gt_u32_e64 s15, v33
	s_cbranch_execz .LBB1006_205
.LBB1006_200:
	s_mov_b32 s3, exec_lo
                                        ; implicit-def: $vgpr3_vgpr4
	v_cmpx_ge_u32_e64 v33, v16
	s_xor_b32 s3, exec_lo, s3
	s_cbranch_execz .LBB1006_202
; %bb.201:
	s_waitcnt lgkmcnt(1)
	v_xor_b32_e32 v1, 0xfffff4ff, v0
                                        ; implicit-def: $vgpr33
	v_ashrrev_i32_e32 v4, 31, v1
	v_add_co_u32 v3, vcc_lo, v18, v1
	v_add_co_ci_u32_e64 v4, null, v19, v4, vcc_lo
.LBB1006_202:
	s_andn2_saveexec_b32 s3, s3
	s_cbranch_execz .LBB1006_204
; %bb.203:
	s_waitcnt lgkmcnt(2)
	v_add_co_u32 v3, vcc_lo, v15, v33
	v_add_co_ci_u32_e64 v4, null, 0, v17, vcc_lo
.LBB1006_204:
	s_or_b32 exec_lo, exec_lo, s3
	s_waitcnt lgkmcnt(2)
	v_lshlrev_b64 v[3:4], 2, v[3:4]
	v_add_co_u32 v3, vcc_lo, s16, v3
	v_add_co_ci_u32_e64 v4, null, s17, v4, vcc_lo
	s_waitcnt lgkmcnt(1)
	global_store_dword v[3:4], v2, off
.LBB1006_205:
	s_or_b32 exec_lo, exec_lo, s2
	s_mov_b32 s2, exec_lo
                                        ; implicit-def: $vgpr13_vgpr14
	v_cmpx_gt_u32_e64 s15, v32
	s_cbranch_execz .LBB1006_211
; %bb.206:
	s_mov_b32 s3, exec_lo
                                        ; implicit-def: $vgpr13_vgpr14
	v_cmpx_ge_u32_e64 v32, v16
	s_xor_b32 s3, exec_lo, s3
	s_cbranch_execz .LBB1006_208
; %bb.207:
	v_xor_b32_e32 v0, 0xfffff3ff, v0
                                        ; implicit-def: $vgpr32
	s_waitcnt lgkmcnt(1)
	v_ashrrev_i32_e32 v1, 31, v0
	v_add_co_u32 v13, vcc_lo, v18, v0
	v_add_co_ci_u32_e64 v14, null, v19, v1, vcc_lo
.LBB1006_208:
	s_andn2_saveexec_b32 s3, s3
; %bb.209:
	v_add_co_u32 v13, vcc_lo, v15, v32
	v_add_co_ci_u32_e64 v14, null, 0, v17, vcc_lo
; %bb.210:
	s_or_b32 exec_lo, exec_lo, s3
	s_or_b32 s1, s1, exec_lo
.LBB1006_211:
	s_or_b32 exec_lo, exec_lo, s2
	s_and_saveexec_b32 s2, s1
	s_cbranch_execnz .LBB1006_130
.LBB1006_212:
	s_or_b32 exec_lo, exec_lo, s2
	s_and_b32 s0, s0, s14
	s_and_saveexec_b32 s1, s0
	s_cbranch_execz .LBB1006_131
.LBB1006_213:
	v_add_co_u32 v0, vcc_lo, v15, v16
	s_waitcnt lgkmcnt(1)
	v_mov_b32_e32 v2, 0
	v_add_co_ci_u32_e64 v1, null, 0, v17, vcc_lo
	global_store_dwordx2 v2, v[0:1], s[12:13]
	s_endpgm
	.section	.rodata,"a",@progbits
	.p2align	6, 0x0
	.amdhsa_kernel _ZN7rocprim17ROCPRIM_400000_NS6detail17trampoline_kernelINS0_13select_configILj256ELj13ELNS0_17block_load_methodE3ELS4_3ELS4_3ELNS0_20block_scan_algorithmE0ELj4294967295EEENS1_25partition_config_selectorILNS1_17partition_subalgoE3EjNS0_10empty_typeEbEEZZNS1_14partition_implILS8_3ELb0ES6_jNS0_17counting_iteratorIjlEEPS9_SE_NS0_5tupleIJPjSE_EEENSF_IJSE_SE_EEES9_SG_JZNS1_25segmented_radix_sort_implINS0_14default_configELb0EPKsPsPKlPlN2at6native12_GLOBAL__N_18offset_tEEE10hipError_tPvRmT1_PNSt15iterator_traitsISY_E10value_typeET2_T3_PNSZ_IS14_E10value_typeET4_jRbjT5_S1A_jjP12ihipStream_tbEUljE_EEESV_SW_SX_S14_S18_S1A_T6_T7_T9_mT8_S1C_bDpT10_ENKUlT_T0_E_clISt17integral_constantIbLb0EES1O_IbLb1EEEEDaS1K_S1L_EUlS1K_E_NS1_11comp_targetILNS1_3genE8ELNS1_11target_archE1030ELNS1_3gpuE2ELNS1_3repE0EEENS1_30default_config_static_selectorELNS0_4arch9wavefront6targetE0EEEvSY_
		.amdhsa_group_segment_fixed_size 13320
		.amdhsa_private_segment_fixed_size 0
		.amdhsa_kernarg_size 152
		.amdhsa_user_sgpr_count 6
		.amdhsa_user_sgpr_private_segment_buffer 1
		.amdhsa_user_sgpr_dispatch_ptr 0
		.amdhsa_user_sgpr_queue_ptr 0
		.amdhsa_user_sgpr_kernarg_segment_ptr 1
		.amdhsa_user_sgpr_dispatch_id 0
		.amdhsa_user_sgpr_flat_scratch_init 0
		.amdhsa_user_sgpr_private_segment_size 0
		.amdhsa_wavefront_size32 1
		.amdhsa_uses_dynamic_stack 0
		.amdhsa_system_sgpr_private_segment_wavefront_offset 0
		.amdhsa_system_sgpr_workgroup_id_x 1
		.amdhsa_system_sgpr_workgroup_id_y 0
		.amdhsa_system_sgpr_workgroup_id_z 0
		.amdhsa_system_sgpr_workgroup_info 0
		.amdhsa_system_vgpr_workitem_id 0
		.amdhsa_next_free_vgpr 71
		.amdhsa_next_free_sgpr 26
		.amdhsa_reserve_vcc 1
		.amdhsa_reserve_flat_scratch 0
		.amdhsa_float_round_mode_32 0
		.amdhsa_float_round_mode_16_64 0
		.amdhsa_float_denorm_mode_32 3
		.amdhsa_float_denorm_mode_16_64 3
		.amdhsa_dx10_clamp 1
		.amdhsa_ieee_mode 1
		.amdhsa_fp16_overflow 0
		.amdhsa_workgroup_processor_mode 1
		.amdhsa_memory_ordered 1
		.amdhsa_forward_progress 1
		.amdhsa_shared_vgpr_count 0
		.amdhsa_exception_fp_ieee_invalid_op 0
		.amdhsa_exception_fp_denorm_src 0
		.amdhsa_exception_fp_ieee_div_zero 0
		.amdhsa_exception_fp_ieee_overflow 0
		.amdhsa_exception_fp_ieee_underflow 0
		.amdhsa_exception_fp_ieee_inexact 0
		.amdhsa_exception_int_div_zero 0
	.end_amdhsa_kernel
	.section	.text._ZN7rocprim17ROCPRIM_400000_NS6detail17trampoline_kernelINS0_13select_configILj256ELj13ELNS0_17block_load_methodE3ELS4_3ELS4_3ELNS0_20block_scan_algorithmE0ELj4294967295EEENS1_25partition_config_selectorILNS1_17partition_subalgoE3EjNS0_10empty_typeEbEEZZNS1_14partition_implILS8_3ELb0ES6_jNS0_17counting_iteratorIjlEEPS9_SE_NS0_5tupleIJPjSE_EEENSF_IJSE_SE_EEES9_SG_JZNS1_25segmented_radix_sort_implINS0_14default_configELb0EPKsPsPKlPlN2at6native12_GLOBAL__N_18offset_tEEE10hipError_tPvRmT1_PNSt15iterator_traitsISY_E10value_typeET2_T3_PNSZ_IS14_E10value_typeET4_jRbjT5_S1A_jjP12ihipStream_tbEUljE_EEESV_SW_SX_S14_S18_S1A_T6_T7_T9_mT8_S1C_bDpT10_ENKUlT_T0_E_clISt17integral_constantIbLb0EES1O_IbLb1EEEEDaS1K_S1L_EUlS1K_E_NS1_11comp_targetILNS1_3genE8ELNS1_11target_archE1030ELNS1_3gpuE2ELNS1_3repE0EEENS1_30default_config_static_selectorELNS0_4arch9wavefront6targetE0EEEvSY_,"axG",@progbits,_ZN7rocprim17ROCPRIM_400000_NS6detail17trampoline_kernelINS0_13select_configILj256ELj13ELNS0_17block_load_methodE3ELS4_3ELS4_3ELNS0_20block_scan_algorithmE0ELj4294967295EEENS1_25partition_config_selectorILNS1_17partition_subalgoE3EjNS0_10empty_typeEbEEZZNS1_14partition_implILS8_3ELb0ES6_jNS0_17counting_iteratorIjlEEPS9_SE_NS0_5tupleIJPjSE_EEENSF_IJSE_SE_EEES9_SG_JZNS1_25segmented_radix_sort_implINS0_14default_configELb0EPKsPsPKlPlN2at6native12_GLOBAL__N_18offset_tEEE10hipError_tPvRmT1_PNSt15iterator_traitsISY_E10value_typeET2_T3_PNSZ_IS14_E10value_typeET4_jRbjT5_S1A_jjP12ihipStream_tbEUljE_EEESV_SW_SX_S14_S18_S1A_T6_T7_T9_mT8_S1C_bDpT10_ENKUlT_T0_E_clISt17integral_constantIbLb0EES1O_IbLb1EEEEDaS1K_S1L_EUlS1K_E_NS1_11comp_targetILNS1_3genE8ELNS1_11target_archE1030ELNS1_3gpuE2ELNS1_3repE0EEENS1_30default_config_static_selectorELNS0_4arch9wavefront6targetE0EEEvSY_,comdat
.Lfunc_end1006:
	.size	_ZN7rocprim17ROCPRIM_400000_NS6detail17trampoline_kernelINS0_13select_configILj256ELj13ELNS0_17block_load_methodE3ELS4_3ELS4_3ELNS0_20block_scan_algorithmE0ELj4294967295EEENS1_25partition_config_selectorILNS1_17partition_subalgoE3EjNS0_10empty_typeEbEEZZNS1_14partition_implILS8_3ELb0ES6_jNS0_17counting_iteratorIjlEEPS9_SE_NS0_5tupleIJPjSE_EEENSF_IJSE_SE_EEES9_SG_JZNS1_25segmented_radix_sort_implINS0_14default_configELb0EPKsPsPKlPlN2at6native12_GLOBAL__N_18offset_tEEE10hipError_tPvRmT1_PNSt15iterator_traitsISY_E10value_typeET2_T3_PNSZ_IS14_E10value_typeET4_jRbjT5_S1A_jjP12ihipStream_tbEUljE_EEESV_SW_SX_S14_S18_S1A_T6_T7_T9_mT8_S1C_bDpT10_ENKUlT_T0_E_clISt17integral_constantIbLb0EES1O_IbLb1EEEEDaS1K_S1L_EUlS1K_E_NS1_11comp_targetILNS1_3genE8ELNS1_11target_archE1030ELNS1_3gpuE2ELNS1_3repE0EEENS1_30default_config_static_selectorELNS0_4arch9wavefront6targetE0EEEvSY_, .Lfunc_end1006-_ZN7rocprim17ROCPRIM_400000_NS6detail17trampoline_kernelINS0_13select_configILj256ELj13ELNS0_17block_load_methodE3ELS4_3ELS4_3ELNS0_20block_scan_algorithmE0ELj4294967295EEENS1_25partition_config_selectorILNS1_17partition_subalgoE3EjNS0_10empty_typeEbEEZZNS1_14partition_implILS8_3ELb0ES6_jNS0_17counting_iteratorIjlEEPS9_SE_NS0_5tupleIJPjSE_EEENSF_IJSE_SE_EEES9_SG_JZNS1_25segmented_radix_sort_implINS0_14default_configELb0EPKsPsPKlPlN2at6native12_GLOBAL__N_18offset_tEEE10hipError_tPvRmT1_PNSt15iterator_traitsISY_E10value_typeET2_T3_PNSZ_IS14_E10value_typeET4_jRbjT5_S1A_jjP12ihipStream_tbEUljE_EEESV_SW_SX_S14_S18_S1A_T6_T7_T9_mT8_S1C_bDpT10_ENKUlT_T0_E_clISt17integral_constantIbLb0EES1O_IbLb1EEEEDaS1K_S1L_EUlS1K_E_NS1_11comp_targetILNS1_3genE8ELNS1_11target_archE1030ELNS1_3gpuE2ELNS1_3repE0EEENS1_30default_config_static_selectorELNS0_4arch9wavefront6targetE0EEEvSY_
                                        ; -- End function
	.set _ZN7rocprim17ROCPRIM_400000_NS6detail17trampoline_kernelINS0_13select_configILj256ELj13ELNS0_17block_load_methodE3ELS4_3ELS4_3ELNS0_20block_scan_algorithmE0ELj4294967295EEENS1_25partition_config_selectorILNS1_17partition_subalgoE3EjNS0_10empty_typeEbEEZZNS1_14partition_implILS8_3ELb0ES6_jNS0_17counting_iteratorIjlEEPS9_SE_NS0_5tupleIJPjSE_EEENSF_IJSE_SE_EEES9_SG_JZNS1_25segmented_radix_sort_implINS0_14default_configELb0EPKsPsPKlPlN2at6native12_GLOBAL__N_18offset_tEEE10hipError_tPvRmT1_PNSt15iterator_traitsISY_E10value_typeET2_T3_PNSZ_IS14_E10value_typeET4_jRbjT5_S1A_jjP12ihipStream_tbEUljE_EEESV_SW_SX_S14_S18_S1A_T6_T7_T9_mT8_S1C_bDpT10_ENKUlT_T0_E_clISt17integral_constantIbLb0EES1O_IbLb1EEEEDaS1K_S1L_EUlS1K_E_NS1_11comp_targetILNS1_3genE8ELNS1_11target_archE1030ELNS1_3gpuE2ELNS1_3repE0EEENS1_30default_config_static_selectorELNS0_4arch9wavefront6targetE0EEEvSY_.num_vgpr, 71
	.set _ZN7rocprim17ROCPRIM_400000_NS6detail17trampoline_kernelINS0_13select_configILj256ELj13ELNS0_17block_load_methodE3ELS4_3ELS4_3ELNS0_20block_scan_algorithmE0ELj4294967295EEENS1_25partition_config_selectorILNS1_17partition_subalgoE3EjNS0_10empty_typeEbEEZZNS1_14partition_implILS8_3ELb0ES6_jNS0_17counting_iteratorIjlEEPS9_SE_NS0_5tupleIJPjSE_EEENSF_IJSE_SE_EEES9_SG_JZNS1_25segmented_radix_sort_implINS0_14default_configELb0EPKsPsPKlPlN2at6native12_GLOBAL__N_18offset_tEEE10hipError_tPvRmT1_PNSt15iterator_traitsISY_E10value_typeET2_T3_PNSZ_IS14_E10value_typeET4_jRbjT5_S1A_jjP12ihipStream_tbEUljE_EEESV_SW_SX_S14_S18_S1A_T6_T7_T9_mT8_S1C_bDpT10_ENKUlT_T0_E_clISt17integral_constantIbLb0EES1O_IbLb1EEEEDaS1K_S1L_EUlS1K_E_NS1_11comp_targetILNS1_3genE8ELNS1_11target_archE1030ELNS1_3gpuE2ELNS1_3repE0EEENS1_30default_config_static_selectorELNS0_4arch9wavefront6targetE0EEEvSY_.num_agpr, 0
	.set _ZN7rocprim17ROCPRIM_400000_NS6detail17trampoline_kernelINS0_13select_configILj256ELj13ELNS0_17block_load_methodE3ELS4_3ELS4_3ELNS0_20block_scan_algorithmE0ELj4294967295EEENS1_25partition_config_selectorILNS1_17partition_subalgoE3EjNS0_10empty_typeEbEEZZNS1_14partition_implILS8_3ELb0ES6_jNS0_17counting_iteratorIjlEEPS9_SE_NS0_5tupleIJPjSE_EEENSF_IJSE_SE_EEES9_SG_JZNS1_25segmented_radix_sort_implINS0_14default_configELb0EPKsPsPKlPlN2at6native12_GLOBAL__N_18offset_tEEE10hipError_tPvRmT1_PNSt15iterator_traitsISY_E10value_typeET2_T3_PNSZ_IS14_E10value_typeET4_jRbjT5_S1A_jjP12ihipStream_tbEUljE_EEESV_SW_SX_S14_S18_S1A_T6_T7_T9_mT8_S1C_bDpT10_ENKUlT_T0_E_clISt17integral_constantIbLb0EES1O_IbLb1EEEEDaS1K_S1L_EUlS1K_E_NS1_11comp_targetILNS1_3genE8ELNS1_11target_archE1030ELNS1_3gpuE2ELNS1_3repE0EEENS1_30default_config_static_selectorELNS0_4arch9wavefront6targetE0EEEvSY_.numbered_sgpr, 26
	.set _ZN7rocprim17ROCPRIM_400000_NS6detail17trampoline_kernelINS0_13select_configILj256ELj13ELNS0_17block_load_methodE3ELS4_3ELS4_3ELNS0_20block_scan_algorithmE0ELj4294967295EEENS1_25partition_config_selectorILNS1_17partition_subalgoE3EjNS0_10empty_typeEbEEZZNS1_14partition_implILS8_3ELb0ES6_jNS0_17counting_iteratorIjlEEPS9_SE_NS0_5tupleIJPjSE_EEENSF_IJSE_SE_EEES9_SG_JZNS1_25segmented_radix_sort_implINS0_14default_configELb0EPKsPsPKlPlN2at6native12_GLOBAL__N_18offset_tEEE10hipError_tPvRmT1_PNSt15iterator_traitsISY_E10value_typeET2_T3_PNSZ_IS14_E10value_typeET4_jRbjT5_S1A_jjP12ihipStream_tbEUljE_EEESV_SW_SX_S14_S18_S1A_T6_T7_T9_mT8_S1C_bDpT10_ENKUlT_T0_E_clISt17integral_constantIbLb0EES1O_IbLb1EEEEDaS1K_S1L_EUlS1K_E_NS1_11comp_targetILNS1_3genE8ELNS1_11target_archE1030ELNS1_3gpuE2ELNS1_3repE0EEENS1_30default_config_static_selectorELNS0_4arch9wavefront6targetE0EEEvSY_.num_named_barrier, 0
	.set _ZN7rocprim17ROCPRIM_400000_NS6detail17trampoline_kernelINS0_13select_configILj256ELj13ELNS0_17block_load_methodE3ELS4_3ELS4_3ELNS0_20block_scan_algorithmE0ELj4294967295EEENS1_25partition_config_selectorILNS1_17partition_subalgoE3EjNS0_10empty_typeEbEEZZNS1_14partition_implILS8_3ELb0ES6_jNS0_17counting_iteratorIjlEEPS9_SE_NS0_5tupleIJPjSE_EEENSF_IJSE_SE_EEES9_SG_JZNS1_25segmented_radix_sort_implINS0_14default_configELb0EPKsPsPKlPlN2at6native12_GLOBAL__N_18offset_tEEE10hipError_tPvRmT1_PNSt15iterator_traitsISY_E10value_typeET2_T3_PNSZ_IS14_E10value_typeET4_jRbjT5_S1A_jjP12ihipStream_tbEUljE_EEESV_SW_SX_S14_S18_S1A_T6_T7_T9_mT8_S1C_bDpT10_ENKUlT_T0_E_clISt17integral_constantIbLb0EES1O_IbLb1EEEEDaS1K_S1L_EUlS1K_E_NS1_11comp_targetILNS1_3genE8ELNS1_11target_archE1030ELNS1_3gpuE2ELNS1_3repE0EEENS1_30default_config_static_selectorELNS0_4arch9wavefront6targetE0EEEvSY_.private_seg_size, 0
	.set _ZN7rocprim17ROCPRIM_400000_NS6detail17trampoline_kernelINS0_13select_configILj256ELj13ELNS0_17block_load_methodE3ELS4_3ELS4_3ELNS0_20block_scan_algorithmE0ELj4294967295EEENS1_25partition_config_selectorILNS1_17partition_subalgoE3EjNS0_10empty_typeEbEEZZNS1_14partition_implILS8_3ELb0ES6_jNS0_17counting_iteratorIjlEEPS9_SE_NS0_5tupleIJPjSE_EEENSF_IJSE_SE_EEES9_SG_JZNS1_25segmented_radix_sort_implINS0_14default_configELb0EPKsPsPKlPlN2at6native12_GLOBAL__N_18offset_tEEE10hipError_tPvRmT1_PNSt15iterator_traitsISY_E10value_typeET2_T3_PNSZ_IS14_E10value_typeET4_jRbjT5_S1A_jjP12ihipStream_tbEUljE_EEESV_SW_SX_S14_S18_S1A_T6_T7_T9_mT8_S1C_bDpT10_ENKUlT_T0_E_clISt17integral_constantIbLb0EES1O_IbLb1EEEEDaS1K_S1L_EUlS1K_E_NS1_11comp_targetILNS1_3genE8ELNS1_11target_archE1030ELNS1_3gpuE2ELNS1_3repE0EEENS1_30default_config_static_selectorELNS0_4arch9wavefront6targetE0EEEvSY_.uses_vcc, 1
	.set _ZN7rocprim17ROCPRIM_400000_NS6detail17trampoline_kernelINS0_13select_configILj256ELj13ELNS0_17block_load_methodE3ELS4_3ELS4_3ELNS0_20block_scan_algorithmE0ELj4294967295EEENS1_25partition_config_selectorILNS1_17partition_subalgoE3EjNS0_10empty_typeEbEEZZNS1_14partition_implILS8_3ELb0ES6_jNS0_17counting_iteratorIjlEEPS9_SE_NS0_5tupleIJPjSE_EEENSF_IJSE_SE_EEES9_SG_JZNS1_25segmented_radix_sort_implINS0_14default_configELb0EPKsPsPKlPlN2at6native12_GLOBAL__N_18offset_tEEE10hipError_tPvRmT1_PNSt15iterator_traitsISY_E10value_typeET2_T3_PNSZ_IS14_E10value_typeET4_jRbjT5_S1A_jjP12ihipStream_tbEUljE_EEESV_SW_SX_S14_S18_S1A_T6_T7_T9_mT8_S1C_bDpT10_ENKUlT_T0_E_clISt17integral_constantIbLb0EES1O_IbLb1EEEEDaS1K_S1L_EUlS1K_E_NS1_11comp_targetILNS1_3genE8ELNS1_11target_archE1030ELNS1_3gpuE2ELNS1_3repE0EEENS1_30default_config_static_selectorELNS0_4arch9wavefront6targetE0EEEvSY_.uses_flat_scratch, 0
	.set _ZN7rocprim17ROCPRIM_400000_NS6detail17trampoline_kernelINS0_13select_configILj256ELj13ELNS0_17block_load_methodE3ELS4_3ELS4_3ELNS0_20block_scan_algorithmE0ELj4294967295EEENS1_25partition_config_selectorILNS1_17partition_subalgoE3EjNS0_10empty_typeEbEEZZNS1_14partition_implILS8_3ELb0ES6_jNS0_17counting_iteratorIjlEEPS9_SE_NS0_5tupleIJPjSE_EEENSF_IJSE_SE_EEES9_SG_JZNS1_25segmented_radix_sort_implINS0_14default_configELb0EPKsPsPKlPlN2at6native12_GLOBAL__N_18offset_tEEE10hipError_tPvRmT1_PNSt15iterator_traitsISY_E10value_typeET2_T3_PNSZ_IS14_E10value_typeET4_jRbjT5_S1A_jjP12ihipStream_tbEUljE_EEESV_SW_SX_S14_S18_S1A_T6_T7_T9_mT8_S1C_bDpT10_ENKUlT_T0_E_clISt17integral_constantIbLb0EES1O_IbLb1EEEEDaS1K_S1L_EUlS1K_E_NS1_11comp_targetILNS1_3genE8ELNS1_11target_archE1030ELNS1_3gpuE2ELNS1_3repE0EEENS1_30default_config_static_selectorELNS0_4arch9wavefront6targetE0EEEvSY_.has_dyn_sized_stack, 0
	.set _ZN7rocprim17ROCPRIM_400000_NS6detail17trampoline_kernelINS0_13select_configILj256ELj13ELNS0_17block_load_methodE3ELS4_3ELS4_3ELNS0_20block_scan_algorithmE0ELj4294967295EEENS1_25partition_config_selectorILNS1_17partition_subalgoE3EjNS0_10empty_typeEbEEZZNS1_14partition_implILS8_3ELb0ES6_jNS0_17counting_iteratorIjlEEPS9_SE_NS0_5tupleIJPjSE_EEENSF_IJSE_SE_EEES9_SG_JZNS1_25segmented_radix_sort_implINS0_14default_configELb0EPKsPsPKlPlN2at6native12_GLOBAL__N_18offset_tEEE10hipError_tPvRmT1_PNSt15iterator_traitsISY_E10value_typeET2_T3_PNSZ_IS14_E10value_typeET4_jRbjT5_S1A_jjP12ihipStream_tbEUljE_EEESV_SW_SX_S14_S18_S1A_T6_T7_T9_mT8_S1C_bDpT10_ENKUlT_T0_E_clISt17integral_constantIbLb0EES1O_IbLb1EEEEDaS1K_S1L_EUlS1K_E_NS1_11comp_targetILNS1_3genE8ELNS1_11target_archE1030ELNS1_3gpuE2ELNS1_3repE0EEENS1_30default_config_static_selectorELNS0_4arch9wavefront6targetE0EEEvSY_.has_recursion, 0
	.set _ZN7rocprim17ROCPRIM_400000_NS6detail17trampoline_kernelINS0_13select_configILj256ELj13ELNS0_17block_load_methodE3ELS4_3ELS4_3ELNS0_20block_scan_algorithmE0ELj4294967295EEENS1_25partition_config_selectorILNS1_17partition_subalgoE3EjNS0_10empty_typeEbEEZZNS1_14partition_implILS8_3ELb0ES6_jNS0_17counting_iteratorIjlEEPS9_SE_NS0_5tupleIJPjSE_EEENSF_IJSE_SE_EEES9_SG_JZNS1_25segmented_radix_sort_implINS0_14default_configELb0EPKsPsPKlPlN2at6native12_GLOBAL__N_18offset_tEEE10hipError_tPvRmT1_PNSt15iterator_traitsISY_E10value_typeET2_T3_PNSZ_IS14_E10value_typeET4_jRbjT5_S1A_jjP12ihipStream_tbEUljE_EEESV_SW_SX_S14_S18_S1A_T6_T7_T9_mT8_S1C_bDpT10_ENKUlT_T0_E_clISt17integral_constantIbLb0EES1O_IbLb1EEEEDaS1K_S1L_EUlS1K_E_NS1_11comp_targetILNS1_3genE8ELNS1_11target_archE1030ELNS1_3gpuE2ELNS1_3repE0EEENS1_30default_config_static_selectorELNS0_4arch9wavefront6targetE0EEEvSY_.has_indirect_call, 0
	.section	.AMDGPU.csdata,"",@progbits
; Kernel info:
; codeLenInByte = 8704
; TotalNumSgprs: 28
; NumVgprs: 71
; ScratchSize: 0
; MemoryBound: 0
; FloatMode: 240
; IeeeMode: 1
; LDSByteSize: 13320 bytes/workgroup (compile time only)
; SGPRBlocks: 0
; VGPRBlocks: 8
; NumSGPRsForWavesPerEU: 28
; NumVGPRsForWavesPerEU: 71
; Occupancy: 12
; WaveLimiterHint : 0
; COMPUTE_PGM_RSRC2:SCRATCH_EN: 0
; COMPUTE_PGM_RSRC2:USER_SGPR: 6
; COMPUTE_PGM_RSRC2:TRAP_HANDLER: 0
; COMPUTE_PGM_RSRC2:TGID_X_EN: 1
; COMPUTE_PGM_RSRC2:TGID_Y_EN: 0
; COMPUTE_PGM_RSRC2:TGID_Z_EN: 0
; COMPUTE_PGM_RSRC2:TIDIG_COMP_CNT: 0
	.section	.text._ZN7rocprim17ROCPRIM_400000_NS6detail17trampoline_kernelINS0_14default_configENS1_36segmented_radix_sort_config_selectorIslEEZNS1_25segmented_radix_sort_implIS3_Lb0EPKsPsPKlPlN2at6native12_GLOBAL__N_18offset_tEEE10hipError_tPvRmT1_PNSt15iterator_traitsISK_E10value_typeET2_T3_PNSL_ISQ_E10value_typeET4_jRbjT5_SW_jjP12ihipStream_tbEUlT_E_NS1_11comp_targetILNS1_3genE0ELNS1_11target_archE4294967295ELNS1_3gpuE0ELNS1_3repE0EEENS1_30default_config_static_selectorELNS0_4arch9wavefront6targetE0EEEvSK_,"axG",@progbits,_ZN7rocprim17ROCPRIM_400000_NS6detail17trampoline_kernelINS0_14default_configENS1_36segmented_radix_sort_config_selectorIslEEZNS1_25segmented_radix_sort_implIS3_Lb0EPKsPsPKlPlN2at6native12_GLOBAL__N_18offset_tEEE10hipError_tPvRmT1_PNSt15iterator_traitsISK_E10value_typeET2_T3_PNSL_ISQ_E10value_typeET4_jRbjT5_SW_jjP12ihipStream_tbEUlT_E_NS1_11comp_targetILNS1_3genE0ELNS1_11target_archE4294967295ELNS1_3gpuE0ELNS1_3repE0EEENS1_30default_config_static_selectorELNS0_4arch9wavefront6targetE0EEEvSK_,comdat
	.globl	_ZN7rocprim17ROCPRIM_400000_NS6detail17trampoline_kernelINS0_14default_configENS1_36segmented_radix_sort_config_selectorIslEEZNS1_25segmented_radix_sort_implIS3_Lb0EPKsPsPKlPlN2at6native12_GLOBAL__N_18offset_tEEE10hipError_tPvRmT1_PNSt15iterator_traitsISK_E10value_typeET2_T3_PNSL_ISQ_E10value_typeET4_jRbjT5_SW_jjP12ihipStream_tbEUlT_E_NS1_11comp_targetILNS1_3genE0ELNS1_11target_archE4294967295ELNS1_3gpuE0ELNS1_3repE0EEENS1_30default_config_static_selectorELNS0_4arch9wavefront6targetE0EEEvSK_ ; -- Begin function _ZN7rocprim17ROCPRIM_400000_NS6detail17trampoline_kernelINS0_14default_configENS1_36segmented_radix_sort_config_selectorIslEEZNS1_25segmented_radix_sort_implIS3_Lb0EPKsPsPKlPlN2at6native12_GLOBAL__N_18offset_tEEE10hipError_tPvRmT1_PNSt15iterator_traitsISK_E10value_typeET2_T3_PNSL_ISQ_E10value_typeET4_jRbjT5_SW_jjP12ihipStream_tbEUlT_E_NS1_11comp_targetILNS1_3genE0ELNS1_11target_archE4294967295ELNS1_3gpuE0ELNS1_3repE0EEENS1_30default_config_static_selectorELNS0_4arch9wavefront6targetE0EEEvSK_
	.p2align	8
	.type	_ZN7rocprim17ROCPRIM_400000_NS6detail17trampoline_kernelINS0_14default_configENS1_36segmented_radix_sort_config_selectorIslEEZNS1_25segmented_radix_sort_implIS3_Lb0EPKsPsPKlPlN2at6native12_GLOBAL__N_18offset_tEEE10hipError_tPvRmT1_PNSt15iterator_traitsISK_E10value_typeET2_T3_PNSL_ISQ_E10value_typeET4_jRbjT5_SW_jjP12ihipStream_tbEUlT_E_NS1_11comp_targetILNS1_3genE0ELNS1_11target_archE4294967295ELNS1_3gpuE0ELNS1_3repE0EEENS1_30default_config_static_selectorELNS0_4arch9wavefront6targetE0EEEvSK_,@function
_ZN7rocprim17ROCPRIM_400000_NS6detail17trampoline_kernelINS0_14default_configENS1_36segmented_radix_sort_config_selectorIslEEZNS1_25segmented_radix_sort_implIS3_Lb0EPKsPsPKlPlN2at6native12_GLOBAL__N_18offset_tEEE10hipError_tPvRmT1_PNSt15iterator_traitsISK_E10value_typeET2_T3_PNSL_ISQ_E10value_typeET4_jRbjT5_SW_jjP12ihipStream_tbEUlT_E_NS1_11comp_targetILNS1_3genE0ELNS1_11target_archE4294967295ELNS1_3gpuE0ELNS1_3repE0EEENS1_30default_config_static_selectorELNS0_4arch9wavefront6targetE0EEEvSK_: ; @_ZN7rocprim17ROCPRIM_400000_NS6detail17trampoline_kernelINS0_14default_configENS1_36segmented_radix_sort_config_selectorIslEEZNS1_25segmented_radix_sort_implIS3_Lb0EPKsPsPKlPlN2at6native12_GLOBAL__N_18offset_tEEE10hipError_tPvRmT1_PNSt15iterator_traitsISK_E10value_typeET2_T3_PNSL_ISQ_E10value_typeET4_jRbjT5_SW_jjP12ihipStream_tbEUlT_E_NS1_11comp_targetILNS1_3genE0ELNS1_11target_archE4294967295ELNS1_3gpuE0ELNS1_3repE0EEENS1_30default_config_static_selectorELNS0_4arch9wavefront6targetE0EEEvSK_
; %bb.0:
	.section	.rodata,"a",@progbits
	.p2align	6, 0x0
	.amdhsa_kernel _ZN7rocprim17ROCPRIM_400000_NS6detail17trampoline_kernelINS0_14default_configENS1_36segmented_radix_sort_config_selectorIslEEZNS1_25segmented_radix_sort_implIS3_Lb0EPKsPsPKlPlN2at6native12_GLOBAL__N_18offset_tEEE10hipError_tPvRmT1_PNSt15iterator_traitsISK_E10value_typeET2_T3_PNSL_ISQ_E10value_typeET4_jRbjT5_SW_jjP12ihipStream_tbEUlT_E_NS1_11comp_targetILNS1_3genE0ELNS1_11target_archE4294967295ELNS1_3gpuE0ELNS1_3repE0EEENS1_30default_config_static_selectorELNS0_4arch9wavefront6targetE0EEEvSK_
		.amdhsa_group_segment_fixed_size 0
		.amdhsa_private_segment_fixed_size 0
		.amdhsa_kernarg_size 96
		.amdhsa_user_sgpr_count 6
		.amdhsa_user_sgpr_private_segment_buffer 1
		.amdhsa_user_sgpr_dispatch_ptr 0
		.amdhsa_user_sgpr_queue_ptr 0
		.amdhsa_user_sgpr_kernarg_segment_ptr 1
		.amdhsa_user_sgpr_dispatch_id 0
		.amdhsa_user_sgpr_flat_scratch_init 0
		.amdhsa_user_sgpr_private_segment_size 0
		.amdhsa_wavefront_size32 1
		.amdhsa_uses_dynamic_stack 0
		.amdhsa_system_sgpr_private_segment_wavefront_offset 0
		.amdhsa_system_sgpr_workgroup_id_x 1
		.amdhsa_system_sgpr_workgroup_id_y 0
		.amdhsa_system_sgpr_workgroup_id_z 0
		.amdhsa_system_sgpr_workgroup_info 0
		.amdhsa_system_vgpr_workitem_id 0
		.amdhsa_next_free_vgpr 1
		.amdhsa_next_free_sgpr 1
		.amdhsa_reserve_vcc 0
		.amdhsa_reserve_flat_scratch 0
		.amdhsa_float_round_mode_32 0
		.amdhsa_float_round_mode_16_64 0
		.amdhsa_float_denorm_mode_32 3
		.amdhsa_float_denorm_mode_16_64 3
		.amdhsa_dx10_clamp 1
		.amdhsa_ieee_mode 1
		.amdhsa_fp16_overflow 0
		.amdhsa_workgroup_processor_mode 1
		.amdhsa_memory_ordered 1
		.amdhsa_forward_progress 1
		.amdhsa_shared_vgpr_count 0
		.amdhsa_exception_fp_ieee_invalid_op 0
		.amdhsa_exception_fp_denorm_src 0
		.amdhsa_exception_fp_ieee_div_zero 0
		.amdhsa_exception_fp_ieee_overflow 0
		.amdhsa_exception_fp_ieee_underflow 0
		.amdhsa_exception_fp_ieee_inexact 0
		.amdhsa_exception_int_div_zero 0
	.end_amdhsa_kernel
	.section	.text._ZN7rocprim17ROCPRIM_400000_NS6detail17trampoline_kernelINS0_14default_configENS1_36segmented_radix_sort_config_selectorIslEEZNS1_25segmented_radix_sort_implIS3_Lb0EPKsPsPKlPlN2at6native12_GLOBAL__N_18offset_tEEE10hipError_tPvRmT1_PNSt15iterator_traitsISK_E10value_typeET2_T3_PNSL_ISQ_E10value_typeET4_jRbjT5_SW_jjP12ihipStream_tbEUlT_E_NS1_11comp_targetILNS1_3genE0ELNS1_11target_archE4294967295ELNS1_3gpuE0ELNS1_3repE0EEENS1_30default_config_static_selectorELNS0_4arch9wavefront6targetE0EEEvSK_,"axG",@progbits,_ZN7rocprim17ROCPRIM_400000_NS6detail17trampoline_kernelINS0_14default_configENS1_36segmented_radix_sort_config_selectorIslEEZNS1_25segmented_radix_sort_implIS3_Lb0EPKsPsPKlPlN2at6native12_GLOBAL__N_18offset_tEEE10hipError_tPvRmT1_PNSt15iterator_traitsISK_E10value_typeET2_T3_PNSL_ISQ_E10value_typeET4_jRbjT5_SW_jjP12ihipStream_tbEUlT_E_NS1_11comp_targetILNS1_3genE0ELNS1_11target_archE4294967295ELNS1_3gpuE0ELNS1_3repE0EEENS1_30default_config_static_selectorELNS0_4arch9wavefront6targetE0EEEvSK_,comdat
.Lfunc_end1007:
	.size	_ZN7rocprim17ROCPRIM_400000_NS6detail17trampoline_kernelINS0_14default_configENS1_36segmented_radix_sort_config_selectorIslEEZNS1_25segmented_radix_sort_implIS3_Lb0EPKsPsPKlPlN2at6native12_GLOBAL__N_18offset_tEEE10hipError_tPvRmT1_PNSt15iterator_traitsISK_E10value_typeET2_T3_PNSL_ISQ_E10value_typeET4_jRbjT5_SW_jjP12ihipStream_tbEUlT_E_NS1_11comp_targetILNS1_3genE0ELNS1_11target_archE4294967295ELNS1_3gpuE0ELNS1_3repE0EEENS1_30default_config_static_selectorELNS0_4arch9wavefront6targetE0EEEvSK_, .Lfunc_end1007-_ZN7rocprim17ROCPRIM_400000_NS6detail17trampoline_kernelINS0_14default_configENS1_36segmented_radix_sort_config_selectorIslEEZNS1_25segmented_radix_sort_implIS3_Lb0EPKsPsPKlPlN2at6native12_GLOBAL__N_18offset_tEEE10hipError_tPvRmT1_PNSt15iterator_traitsISK_E10value_typeET2_T3_PNSL_ISQ_E10value_typeET4_jRbjT5_SW_jjP12ihipStream_tbEUlT_E_NS1_11comp_targetILNS1_3genE0ELNS1_11target_archE4294967295ELNS1_3gpuE0ELNS1_3repE0EEENS1_30default_config_static_selectorELNS0_4arch9wavefront6targetE0EEEvSK_
                                        ; -- End function
	.set _ZN7rocprim17ROCPRIM_400000_NS6detail17trampoline_kernelINS0_14default_configENS1_36segmented_radix_sort_config_selectorIslEEZNS1_25segmented_radix_sort_implIS3_Lb0EPKsPsPKlPlN2at6native12_GLOBAL__N_18offset_tEEE10hipError_tPvRmT1_PNSt15iterator_traitsISK_E10value_typeET2_T3_PNSL_ISQ_E10value_typeET4_jRbjT5_SW_jjP12ihipStream_tbEUlT_E_NS1_11comp_targetILNS1_3genE0ELNS1_11target_archE4294967295ELNS1_3gpuE0ELNS1_3repE0EEENS1_30default_config_static_selectorELNS0_4arch9wavefront6targetE0EEEvSK_.num_vgpr, 0
	.set _ZN7rocprim17ROCPRIM_400000_NS6detail17trampoline_kernelINS0_14default_configENS1_36segmented_radix_sort_config_selectorIslEEZNS1_25segmented_radix_sort_implIS3_Lb0EPKsPsPKlPlN2at6native12_GLOBAL__N_18offset_tEEE10hipError_tPvRmT1_PNSt15iterator_traitsISK_E10value_typeET2_T3_PNSL_ISQ_E10value_typeET4_jRbjT5_SW_jjP12ihipStream_tbEUlT_E_NS1_11comp_targetILNS1_3genE0ELNS1_11target_archE4294967295ELNS1_3gpuE0ELNS1_3repE0EEENS1_30default_config_static_selectorELNS0_4arch9wavefront6targetE0EEEvSK_.num_agpr, 0
	.set _ZN7rocprim17ROCPRIM_400000_NS6detail17trampoline_kernelINS0_14default_configENS1_36segmented_radix_sort_config_selectorIslEEZNS1_25segmented_radix_sort_implIS3_Lb0EPKsPsPKlPlN2at6native12_GLOBAL__N_18offset_tEEE10hipError_tPvRmT1_PNSt15iterator_traitsISK_E10value_typeET2_T3_PNSL_ISQ_E10value_typeET4_jRbjT5_SW_jjP12ihipStream_tbEUlT_E_NS1_11comp_targetILNS1_3genE0ELNS1_11target_archE4294967295ELNS1_3gpuE0ELNS1_3repE0EEENS1_30default_config_static_selectorELNS0_4arch9wavefront6targetE0EEEvSK_.numbered_sgpr, 0
	.set _ZN7rocprim17ROCPRIM_400000_NS6detail17trampoline_kernelINS0_14default_configENS1_36segmented_radix_sort_config_selectorIslEEZNS1_25segmented_radix_sort_implIS3_Lb0EPKsPsPKlPlN2at6native12_GLOBAL__N_18offset_tEEE10hipError_tPvRmT1_PNSt15iterator_traitsISK_E10value_typeET2_T3_PNSL_ISQ_E10value_typeET4_jRbjT5_SW_jjP12ihipStream_tbEUlT_E_NS1_11comp_targetILNS1_3genE0ELNS1_11target_archE4294967295ELNS1_3gpuE0ELNS1_3repE0EEENS1_30default_config_static_selectorELNS0_4arch9wavefront6targetE0EEEvSK_.num_named_barrier, 0
	.set _ZN7rocprim17ROCPRIM_400000_NS6detail17trampoline_kernelINS0_14default_configENS1_36segmented_radix_sort_config_selectorIslEEZNS1_25segmented_radix_sort_implIS3_Lb0EPKsPsPKlPlN2at6native12_GLOBAL__N_18offset_tEEE10hipError_tPvRmT1_PNSt15iterator_traitsISK_E10value_typeET2_T3_PNSL_ISQ_E10value_typeET4_jRbjT5_SW_jjP12ihipStream_tbEUlT_E_NS1_11comp_targetILNS1_3genE0ELNS1_11target_archE4294967295ELNS1_3gpuE0ELNS1_3repE0EEENS1_30default_config_static_selectorELNS0_4arch9wavefront6targetE0EEEvSK_.private_seg_size, 0
	.set _ZN7rocprim17ROCPRIM_400000_NS6detail17trampoline_kernelINS0_14default_configENS1_36segmented_radix_sort_config_selectorIslEEZNS1_25segmented_radix_sort_implIS3_Lb0EPKsPsPKlPlN2at6native12_GLOBAL__N_18offset_tEEE10hipError_tPvRmT1_PNSt15iterator_traitsISK_E10value_typeET2_T3_PNSL_ISQ_E10value_typeET4_jRbjT5_SW_jjP12ihipStream_tbEUlT_E_NS1_11comp_targetILNS1_3genE0ELNS1_11target_archE4294967295ELNS1_3gpuE0ELNS1_3repE0EEENS1_30default_config_static_selectorELNS0_4arch9wavefront6targetE0EEEvSK_.uses_vcc, 0
	.set _ZN7rocprim17ROCPRIM_400000_NS6detail17trampoline_kernelINS0_14default_configENS1_36segmented_radix_sort_config_selectorIslEEZNS1_25segmented_radix_sort_implIS3_Lb0EPKsPsPKlPlN2at6native12_GLOBAL__N_18offset_tEEE10hipError_tPvRmT1_PNSt15iterator_traitsISK_E10value_typeET2_T3_PNSL_ISQ_E10value_typeET4_jRbjT5_SW_jjP12ihipStream_tbEUlT_E_NS1_11comp_targetILNS1_3genE0ELNS1_11target_archE4294967295ELNS1_3gpuE0ELNS1_3repE0EEENS1_30default_config_static_selectorELNS0_4arch9wavefront6targetE0EEEvSK_.uses_flat_scratch, 0
	.set _ZN7rocprim17ROCPRIM_400000_NS6detail17trampoline_kernelINS0_14default_configENS1_36segmented_radix_sort_config_selectorIslEEZNS1_25segmented_radix_sort_implIS3_Lb0EPKsPsPKlPlN2at6native12_GLOBAL__N_18offset_tEEE10hipError_tPvRmT1_PNSt15iterator_traitsISK_E10value_typeET2_T3_PNSL_ISQ_E10value_typeET4_jRbjT5_SW_jjP12ihipStream_tbEUlT_E_NS1_11comp_targetILNS1_3genE0ELNS1_11target_archE4294967295ELNS1_3gpuE0ELNS1_3repE0EEENS1_30default_config_static_selectorELNS0_4arch9wavefront6targetE0EEEvSK_.has_dyn_sized_stack, 0
	.set _ZN7rocprim17ROCPRIM_400000_NS6detail17trampoline_kernelINS0_14default_configENS1_36segmented_radix_sort_config_selectorIslEEZNS1_25segmented_radix_sort_implIS3_Lb0EPKsPsPKlPlN2at6native12_GLOBAL__N_18offset_tEEE10hipError_tPvRmT1_PNSt15iterator_traitsISK_E10value_typeET2_T3_PNSL_ISQ_E10value_typeET4_jRbjT5_SW_jjP12ihipStream_tbEUlT_E_NS1_11comp_targetILNS1_3genE0ELNS1_11target_archE4294967295ELNS1_3gpuE0ELNS1_3repE0EEENS1_30default_config_static_selectorELNS0_4arch9wavefront6targetE0EEEvSK_.has_recursion, 0
	.set _ZN7rocprim17ROCPRIM_400000_NS6detail17trampoline_kernelINS0_14default_configENS1_36segmented_radix_sort_config_selectorIslEEZNS1_25segmented_radix_sort_implIS3_Lb0EPKsPsPKlPlN2at6native12_GLOBAL__N_18offset_tEEE10hipError_tPvRmT1_PNSt15iterator_traitsISK_E10value_typeET2_T3_PNSL_ISQ_E10value_typeET4_jRbjT5_SW_jjP12ihipStream_tbEUlT_E_NS1_11comp_targetILNS1_3genE0ELNS1_11target_archE4294967295ELNS1_3gpuE0ELNS1_3repE0EEENS1_30default_config_static_selectorELNS0_4arch9wavefront6targetE0EEEvSK_.has_indirect_call, 0
	.section	.AMDGPU.csdata,"",@progbits
; Kernel info:
; codeLenInByte = 0
; TotalNumSgprs: 0
; NumVgprs: 0
; ScratchSize: 0
; MemoryBound: 0
; FloatMode: 240
; IeeeMode: 1
; LDSByteSize: 0 bytes/workgroup (compile time only)
; SGPRBlocks: 0
; VGPRBlocks: 0
; NumSGPRsForWavesPerEU: 1
; NumVGPRsForWavesPerEU: 1
; Occupancy: 16
; WaveLimiterHint : 0
; COMPUTE_PGM_RSRC2:SCRATCH_EN: 0
; COMPUTE_PGM_RSRC2:USER_SGPR: 6
; COMPUTE_PGM_RSRC2:TRAP_HANDLER: 0
; COMPUTE_PGM_RSRC2:TGID_X_EN: 1
; COMPUTE_PGM_RSRC2:TGID_Y_EN: 0
; COMPUTE_PGM_RSRC2:TGID_Z_EN: 0
; COMPUTE_PGM_RSRC2:TIDIG_COMP_CNT: 0
	.section	.text._ZN7rocprim17ROCPRIM_400000_NS6detail17trampoline_kernelINS0_14default_configENS1_36segmented_radix_sort_config_selectorIslEEZNS1_25segmented_radix_sort_implIS3_Lb0EPKsPsPKlPlN2at6native12_GLOBAL__N_18offset_tEEE10hipError_tPvRmT1_PNSt15iterator_traitsISK_E10value_typeET2_T3_PNSL_ISQ_E10value_typeET4_jRbjT5_SW_jjP12ihipStream_tbEUlT_E_NS1_11comp_targetILNS1_3genE5ELNS1_11target_archE942ELNS1_3gpuE9ELNS1_3repE0EEENS1_30default_config_static_selectorELNS0_4arch9wavefront6targetE0EEEvSK_,"axG",@progbits,_ZN7rocprim17ROCPRIM_400000_NS6detail17trampoline_kernelINS0_14default_configENS1_36segmented_radix_sort_config_selectorIslEEZNS1_25segmented_radix_sort_implIS3_Lb0EPKsPsPKlPlN2at6native12_GLOBAL__N_18offset_tEEE10hipError_tPvRmT1_PNSt15iterator_traitsISK_E10value_typeET2_T3_PNSL_ISQ_E10value_typeET4_jRbjT5_SW_jjP12ihipStream_tbEUlT_E_NS1_11comp_targetILNS1_3genE5ELNS1_11target_archE942ELNS1_3gpuE9ELNS1_3repE0EEENS1_30default_config_static_selectorELNS0_4arch9wavefront6targetE0EEEvSK_,comdat
	.globl	_ZN7rocprim17ROCPRIM_400000_NS6detail17trampoline_kernelINS0_14default_configENS1_36segmented_radix_sort_config_selectorIslEEZNS1_25segmented_radix_sort_implIS3_Lb0EPKsPsPKlPlN2at6native12_GLOBAL__N_18offset_tEEE10hipError_tPvRmT1_PNSt15iterator_traitsISK_E10value_typeET2_T3_PNSL_ISQ_E10value_typeET4_jRbjT5_SW_jjP12ihipStream_tbEUlT_E_NS1_11comp_targetILNS1_3genE5ELNS1_11target_archE942ELNS1_3gpuE9ELNS1_3repE0EEENS1_30default_config_static_selectorELNS0_4arch9wavefront6targetE0EEEvSK_ ; -- Begin function _ZN7rocprim17ROCPRIM_400000_NS6detail17trampoline_kernelINS0_14default_configENS1_36segmented_radix_sort_config_selectorIslEEZNS1_25segmented_radix_sort_implIS3_Lb0EPKsPsPKlPlN2at6native12_GLOBAL__N_18offset_tEEE10hipError_tPvRmT1_PNSt15iterator_traitsISK_E10value_typeET2_T3_PNSL_ISQ_E10value_typeET4_jRbjT5_SW_jjP12ihipStream_tbEUlT_E_NS1_11comp_targetILNS1_3genE5ELNS1_11target_archE942ELNS1_3gpuE9ELNS1_3repE0EEENS1_30default_config_static_selectorELNS0_4arch9wavefront6targetE0EEEvSK_
	.p2align	8
	.type	_ZN7rocprim17ROCPRIM_400000_NS6detail17trampoline_kernelINS0_14default_configENS1_36segmented_radix_sort_config_selectorIslEEZNS1_25segmented_radix_sort_implIS3_Lb0EPKsPsPKlPlN2at6native12_GLOBAL__N_18offset_tEEE10hipError_tPvRmT1_PNSt15iterator_traitsISK_E10value_typeET2_T3_PNSL_ISQ_E10value_typeET4_jRbjT5_SW_jjP12ihipStream_tbEUlT_E_NS1_11comp_targetILNS1_3genE5ELNS1_11target_archE942ELNS1_3gpuE9ELNS1_3repE0EEENS1_30default_config_static_selectorELNS0_4arch9wavefront6targetE0EEEvSK_,@function
_ZN7rocprim17ROCPRIM_400000_NS6detail17trampoline_kernelINS0_14default_configENS1_36segmented_radix_sort_config_selectorIslEEZNS1_25segmented_radix_sort_implIS3_Lb0EPKsPsPKlPlN2at6native12_GLOBAL__N_18offset_tEEE10hipError_tPvRmT1_PNSt15iterator_traitsISK_E10value_typeET2_T3_PNSL_ISQ_E10value_typeET4_jRbjT5_SW_jjP12ihipStream_tbEUlT_E_NS1_11comp_targetILNS1_3genE5ELNS1_11target_archE942ELNS1_3gpuE9ELNS1_3repE0EEENS1_30default_config_static_selectorELNS0_4arch9wavefront6targetE0EEEvSK_: ; @_ZN7rocprim17ROCPRIM_400000_NS6detail17trampoline_kernelINS0_14default_configENS1_36segmented_radix_sort_config_selectorIslEEZNS1_25segmented_radix_sort_implIS3_Lb0EPKsPsPKlPlN2at6native12_GLOBAL__N_18offset_tEEE10hipError_tPvRmT1_PNSt15iterator_traitsISK_E10value_typeET2_T3_PNSL_ISQ_E10value_typeET4_jRbjT5_SW_jjP12ihipStream_tbEUlT_E_NS1_11comp_targetILNS1_3genE5ELNS1_11target_archE942ELNS1_3gpuE9ELNS1_3repE0EEENS1_30default_config_static_selectorELNS0_4arch9wavefront6targetE0EEEvSK_
; %bb.0:
	.section	.rodata,"a",@progbits
	.p2align	6, 0x0
	.amdhsa_kernel _ZN7rocprim17ROCPRIM_400000_NS6detail17trampoline_kernelINS0_14default_configENS1_36segmented_radix_sort_config_selectorIslEEZNS1_25segmented_radix_sort_implIS3_Lb0EPKsPsPKlPlN2at6native12_GLOBAL__N_18offset_tEEE10hipError_tPvRmT1_PNSt15iterator_traitsISK_E10value_typeET2_T3_PNSL_ISQ_E10value_typeET4_jRbjT5_SW_jjP12ihipStream_tbEUlT_E_NS1_11comp_targetILNS1_3genE5ELNS1_11target_archE942ELNS1_3gpuE9ELNS1_3repE0EEENS1_30default_config_static_selectorELNS0_4arch9wavefront6targetE0EEEvSK_
		.amdhsa_group_segment_fixed_size 0
		.amdhsa_private_segment_fixed_size 0
		.amdhsa_kernarg_size 96
		.amdhsa_user_sgpr_count 6
		.amdhsa_user_sgpr_private_segment_buffer 1
		.amdhsa_user_sgpr_dispatch_ptr 0
		.amdhsa_user_sgpr_queue_ptr 0
		.amdhsa_user_sgpr_kernarg_segment_ptr 1
		.amdhsa_user_sgpr_dispatch_id 0
		.amdhsa_user_sgpr_flat_scratch_init 0
		.amdhsa_user_sgpr_private_segment_size 0
		.amdhsa_wavefront_size32 1
		.amdhsa_uses_dynamic_stack 0
		.amdhsa_system_sgpr_private_segment_wavefront_offset 0
		.amdhsa_system_sgpr_workgroup_id_x 1
		.amdhsa_system_sgpr_workgroup_id_y 0
		.amdhsa_system_sgpr_workgroup_id_z 0
		.amdhsa_system_sgpr_workgroup_info 0
		.amdhsa_system_vgpr_workitem_id 0
		.amdhsa_next_free_vgpr 1
		.amdhsa_next_free_sgpr 1
		.amdhsa_reserve_vcc 0
		.amdhsa_reserve_flat_scratch 0
		.amdhsa_float_round_mode_32 0
		.amdhsa_float_round_mode_16_64 0
		.amdhsa_float_denorm_mode_32 3
		.amdhsa_float_denorm_mode_16_64 3
		.amdhsa_dx10_clamp 1
		.amdhsa_ieee_mode 1
		.amdhsa_fp16_overflow 0
		.amdhsa_workgroup_processor_mode 1
		.amdhsa_memory_ordered 1
		.amdhsa_forward_progress 1
		.amdhsa_shared_vgpr_count 0
		.amdhsa_exception_fp_ieee_invalid_op 0
		.amdhsa_exception_fp_denorm_src 0
		.amdhsa_exception_fp_ieee_div_zero 0
		.amdhsa_exception_fp_ieee_overflow 0
		.amdhsa_exception_fp_ieee_underflow 0
		.amdhsa_exception_fp_ieee_inexact 0
		.amdhsa_exception_int_div_zero 0
	.end_amdhsa_kernel
	.section	.text._ZN7rocprim17ROCPRIM_400000_NS6detail17trampoline_kernelINS0_14default_configENS1_36segmented_radix_sort_config_selectorIslEEZNS1_25segmented_radix_sort_implIS3_Lb0EPKsPsPKlPlN2at6native12_GLOBAL__N_18offset_tEEE10hipError_tPvRmT1_PNSt15iterator_traitsISK_E10value_typeET2_T3_PNSL_ISQ_E10value_typeET4_jRbjT5_SW_jjP12ihipStream_tbEUlT_E_NS1_11comp_targetILNS1_3genE5ELNS1_11target_archE942ELNS1_3gpuE9ELNS1_3repE0EEENS1_30default_config_static_selectorELNS0_4arch9wavefront6targetE0EEEvSK_,"axG",@progbits,_ZN7rocprim17ROCPRIM_400000_NS6detail17trampoline_kernelINS0_14default_configENS1_36segmented_radix_sort_config_selectorIslEEZNS1_25segmented_radix_sort_implIS3_Lb0EPKsPsPKlPlN2at6native12_GLOBAL__N_18offset_tEEE10hipError_tPvRmT1_PNSt15iterator_traitsISK_E10value_typeET2_T3_PNSL_ISQ_E10value_typeET4_jRbjT5_SW_jjP12ihipStream_tbEUlT_E_NS1_11comp_targetILNS1_3genE5ELNS1_11target_archE942ELNS1_3gpuE9ELNS1_3repE0EEENS1_30default_config_static_selectorELNS0_4arch9wavefront6targetE0EEEvSK_,comdat
.Lfunc_end1008:
	.size	_ZN7rocprim17ROCPRIM_400000_NS6detail17trampoline_kernelINS0_14default_configENS1_36segmented_radix_sort_config_selectorIslEEZNS1_25segmented_radix_sort_implIS3_Lb0EPKsPsPKlPlN2at6native12_GLOBAL__N_18offset_tEEE10hipError_tPvRmT1_PNSt15iterator_traitsISK_E10value_typeET2_T3_PNSL_ISQ_E10value_typeET4_jRbjT5_SW_jjP12ihipStream_tbEUlT_E_NS1_11comp_targetILNS1_3genE5ELNS1_11target_archE942ELNS1_3gpuE9ELNS1_3repE0EEENS1_30default_config_static_selectorELNS0_4arch9wavefront6targetE0EEEvSK_, .Lfunc_end1008-_ZN7rocprim17ROCPRIM_400000_NS6detail17trampoline_kernelINS0_14default_configENS1_36segmented_radix_sort_config_selectorIslEEZNS1_25segmented_radix_sort_implIS3_Lb0EPKsPsPKlPlN2at6native12_GLOBAL__N_18offset_tEEE10hipError_tPvRmT1_PNSt15iterator_traitsISK_E10value_typeET2_T3_PNSL_ISQ_E10value_typeET4_jRbjT5_SW_jjP12ihipStream_tbEUlT_E_NS1_11comp_targetILNS1_3genE5ELNS1_11target_archE942ELNS1_3gpuE9ELNS1_3repE0EEENS1_30default_config_static_selectorELNS0_4arch9wavefront6targetE0EEEvSK_
                                        ; -- End function
	.set _ZN7rocprim17ROCPRIM_400000_NS6detail17trampoline_kernelINS0_14default_configENS1_36segmented_radix_sort_config_selectorIslEEZNS1_25segmented_radix_sort_implIS3_Lb0EPKsPsPKlPlN2at6native12_GLOBAL__N_18offset_tEEE10hipError_tPvRmT1_PNSt15iterator_traitsISK_E10value_typeET2_T3_PNSL_ISQ_E10value_typeET4_jRbjT5_SW_jjP12ihipStream_tbEUlT_E_NS1_11comp_targetILNS1_3genE5ELNS1_11target_archE942ELNS1_3gpuE9ELNS1_3repE0EEENS1_30default_config_static_selectorELNS0_4arch9wavefront6targetE0EEEvSK_.num_vgpr, 0
	.set _ZN7rocprim17ROCPRIM_400000_NS6detail17trampoline_kernelINS0_14default_configENS1_36segmented_radix_sort_config_selectorIslEEZNS1_25segmented_radix_sort_implIS3_Lb0EPKsPsPKlPlN2at6native12_GLOBAL__N_18offset_tEEE10hipError_tPvRmT1_PNSt15iterator_traitsISK_E10value_typeET2_T3_PNSL_ISQ_E10value_typeET4_jRbjT5_SW_jjP12ihipStream_tbEUlT_E_NS1_11comp_targetILNS1_3genE5ELNS1_11target_archE942ELNS1_3gpuE9ELNS1_3repE0EEENS1_30default_config_static_selectorELNS0_4arch9wavefront6targetE0EEEvSK_.num_agpr, 0
	.set _ZN7rocprim17ROCPRIM_400000_NS6detail17trampoline_kernelINS0_14default_configENS1_36segmented_radix_sort_config_selectorIslEEZNS1_25segmented_radix_sort_implIS3_Lb0EPKsPsPKlPlN2at6native12_GLOBAL__N_18offset_tEEE10hipError_tPvRmT1_PNSt15iterator_traitsISK_E10value_typeET2_T3_PNSL_ISQ_E10value_typeET4_jRbjT5_SW_jjP12ihipStream_tbEUlT_E_NS1_11comp_targetILNS1_3genE5ELNS1_11target_archE942ELNS1_3gpuE9ELNS1_3repE0EEENS1_30default_config_static_selectorELNS0_4arch9wavefront6targetE0EEEvSK_.numbered_sgpr, 0
	.set _ZN7rocprim17ROCPRIM_400000_NS6detail17trampoline_kernelINS0_14default_configENS1_36segmented_radix_sort_config_selectorIslEEZNS1_25segmented_radix_sort_implIS3_Lb0EPKsPsPKlPlN2at6native12_GLOBAL__N_18offset_tEEE10hipError_tPvRmT1_PNSt15iterator_traitsISK_E10value_typeET2_T3_PNSL_ISQ_E10value_typeET4_jRbjT5_SW_jjP12ihipStream_tbEUlT_E_NS1_11comp_targetILNS1_3genE5ELNS1_11target_archE942ELNS1_3gpuE9ELNS1_3repE0EEENS1_30default_config_static_selectorELNS0_4arch9wavefront6targetE0EEEvSK_.num_named_barrier, 0
	.set _ZN7rocprim17ROCPRIM_400000_NS6detail17trampoline_kernelINS0_14default_configENS1_36segmented_radix_sort_config_selectorIslEEZNS1_25segmented_radix_sort_implIS3_Lb0EPKsPsPKlPlN2at6native12_GLOBAL__N_18offset_tEEE10hipError_tPvRmT1_PNSt15iterator_traitsISK_E10value_typeET2_T3_PNSL_ISQ_E10value_typeET4_jRbjT5_SW_jjP12ihipStream_tbEUlT_E_NS1_11comp_targetILNS1_3genE5ELNS1_11target_archE942ELNS1_3gpuE9ELNS1_3repE0EEENS1_30default_config_static_selectorELNS0_4arch9wavefront6targetE0EEEvSK_.private_seg_size, 0
	.set _ZN7rocprim17ROCPRIM_400000_NS6detail17trampoline_kernelINS0_14default_configENS1_36segmented_radix_sort_config_selectorIslEEZNS1_25segmented_radix_sort_implIS3_Lb0EPKsPsPKlPlN2at6native12_GLOBAL__N_18offset_tEEE10hipError_tPvRmT1_PNSt15iterator_traitsISK_E10value_typeET2_T3_PNSL_ISQ_E10value_typeET4_jRbjT5_SW_jjP12ihipStream_tbEUlT_E_NS1_11comp_targetILNS1_3genE5ELNS1_11target_archE942ELNS1_3gpuE9ELNS1_3repE0EEENS1_30default_config_static_selectorELNS0_4arch9wavefront6targetE0EEEvSK_.uses_vcc, 0
	.set _ZN7rocprim17ROCPRIM_400000_NS6detail17trampoline_kernelINS0_14default_configENS1_36segmented_radix_sort_config_selectorIslEEZNS1_25segmented_radix_sort_implIS3_Lb0EPKsPsPKlPlN2at6native12_GLOBAL__N_18offset_tEEE10hipError_tPvRmT1_PNSt15iterator_traitsISK_E10value_typeET2_T3_PNSL_ISQ_E10value_typeET4_jRbjT5_SW_jjP12ihipStream_tbEUlT_E_NS1_11comp_targetILNS1_3genE5ELNS1_11target_archE942ELNS1_3gpuE9ELNS1_3repE0EEENS1_30default_config_static_selectorELNS0_4arch9wavefront6targetE0EEEvSK_.uses_flat_scratch, 0
	.set _ZN7rocprim17ROCPRIM_400000_NS6detail17trampoline_kernelINS0_14default_configENS1_36segmented_radix_sort_config_selectorIslEEZNS1_25segmented_radix_sort_implIS3_Lb0EPKsPsPKlPlN2at6native12_GLOBAL__N_18offset_tEEE10hipError_tPvRmT1_PNSt15iterator_traitsISK_E10value_typeET2_T3_PNSL_ISQ_E10value_typeET4_jRbjT5_SW_jjP12ihipStream_tbEUlT_E_NS1_11comp_targetILNS1_3genE5ELNS1_11target_archE942ELNS1_3gpuE9ELNS1_3repE0EEENS1_30default_config_static_selectorELNS0_4arch9wavefront6targetE0EEEvSK_.has_dyn_sized_stack, 0
	.set _ZN7rocprim17ROCPRIM_400000_NS6detail17trampoline_kernelINS0_14default_configENS1_36segmented_radix_sort_config_selectorIslEEZNS1_25segmented_radix_sort_implIS3_Lb0EPKsPsPKlPlN2at6native12_GLOBAL__N_18offset_tEEE10hipError_tPvRmT1_PNSt15iterator_traitsISK_E10value_typeET2_T3_PNSL_ISQ_E10value_typeET4_jRbjT5_SW_jjP12ihipStream_tbEUlT_E_NS1_11comp_targetILNS1_3genE5ELNS1_11target_archE942ELNS1_3gpuE9ELNS1_3repE0EEENS1_30default_config_static_selectorELNS0_4arch9wavefront6targetE0EEEvSK_.has_recursion, 0
	.set _ZN7rocprim17ROCPRIM_400000_NS6detail17trampoline_kernelINS0_14default_configENS1_36segmented_radix_sort_config_selectorIslEEZNS1_25segmented_radix_sort_implIS3_Lb0EPKsPsPKlPlN2at6native12_GLOBAL__N_18offset_tEEE10hipError_tPvRmT1_PNSt15iterator_traitsISK_E10value_typeET2_T3_PNSL_ISQ_E10value_typeET4_jRbjT5_SW_jjP12ihipStream_tbEUlT_E_NS1_11comp_targetILNS1_3genE5ELNS1_11target_archE942ELNS1_3gpuE9ELNS1_3repE0EEENS1_30default_config_static_selectorELNS0_4arch9wavefront6targetE0EEEvSK_.has_indirect_call, 0
	.section	.AMDGPU.csdata,"",@progbits
; Kernel info:
; codeLenInByte = 0
; TotalNumSgprs: 0
; NumVgprs: 0
; ScratchSize: 0
; MemoryBound: 0
; FloatMode: 240
; IeeeMode: 1
; LDSByteSize: 0 bytes/workgroup (compile time only)
; SGPRBlocks: 0
; VGPRBlocks: 0
; NumSGPRsForWavesPerEU: 1
; NumVGPRsForWavesPerEU: 1
; Occupancy: 16
; WaveLimiterHint : 0
; COMPUTE_PGM_RSRC2:SCRATCH_EN: 0
; COMPUTE_PGM_RSRC2:USER_SGPR: 6
; COMPUTE_PGM_RSRC2:TRAP_HANDLER: 0
; COMPUTE_PGM_RSRC2:TGID_X_EN: 1
; COMPUTE_PGM_RSRC2:TGID_Y_EN: 0
; COMPUTE_PGM_RSRC2:TGID_Z_EN: 0
; COMPUTE_PGM_RSRC2:TIDIG_COMP_CNT: 0
	.section	.text._ZN7rocprim17ROCPRIM_400000_NS6detail17trampoline_kernelINS0_14default_configENS1_36segmented_radix_sort_config_selectorIslEEZNS1_25segmented_radix_sort_implIS3_Lb0EPKsPsPKlPlN2at6native12_GLOBAL__N_18offset_tEEE10hipError_tPvRmT1_PNSt15iterator_traitsISK_E10value_typeET2_T3_PNSL_ISQ_E10value_typeET4_jRbjT5_SW_jjP12ihipStream_tbEUlT_E_NS1_11comp_targetILNS1_3genE4ELNS1_11target_archE910ELNS1_3gpuE8ELNS1_3repE0EEENS1_30default_config_static_selectorELNS0_4arch9wavefront6targetE0EEEvSK_,"axG",@progbits,_ZN7rocprim17ROCPRIM_400000_NS6detail17trampoline_kernelINS0_14default_configENS1_36segmented_radix_sort_config_selectorIslEEZNS1_25segmented_radix_sort_implIS3_Lb0EPKsPsPKlPlN2at6native12_GLOBAL__N_18offset_tEEE10hipError_tPvRmT1_PNSt15iterator_traitsISK_E10value_typeET2_T3_PNSL_ISQ_E10value_typeET4_jRbjT5_SW_jjP12ihipStream_tbEUlT_E_NS1_11comp_targetILNS1_3genE4ELNS1_11target_archE910ELNS1_3gpuE8ELNS1_3repE0EEENS1_30default_config_static_selectorELNS0_4arch9wavefront6targetE0EEEvSK_,comdat
	.globl	_ZN7rocprim17ROCPRIM_400000_NS6detail17trampoline_kernelINS0_14default_configENS1_36segmented_radix_sort_config_selectorIslEEZNS1_25segmented_radix_sort_implIS3_Lb0EPKsPsPKlPlN2at6native12_GLOBAL__N_18offset_tEEE10hipError_tPvRmT1_PNSt15iterator_traitsISK_E10value_typeET2_T3_PNSL_ISQ_E10value_typeET4_jRbjT5_SW_jjP12ihipStream_tbEUlT_E_NS1_11comp_targetILNS1_3genE4ELNS1_11target_archE910ELNS1_3gpuE8ELNS1_3repE0EEENS1_30default_config_static_selectorELNS0_4arch9wavefront6targetE0EEEvSK_ ; -- Begin function _ZN7rocprim17ROCPRIM_400000_NS6detail17trampoline_kernelINS0_14default_configENS1_36segmented_radix_sort_config_selectorIslEEZNS1_25segmented_radix_sort_implIS3_Lb0EPKsPsPKlPlN2at6native12_GLOBAL__N_18offset_tEEE10hipError_tPvRmT1_PNSt15iterator_traitsISK_E10value_typeET2_T3_PNSL_ISQ_E10value_typeET4_jRbjT5_SW_jjP12ihipStream_tbEUlT_E_NS1_11comp_targetILNS1_3genE4ELNS1_11target_archE910ELNS1_3gpuE8ELNS1_3repE0EEENS1_30default_config_static_selectorELNS0_4arch9wavefront6targetE0EEEvSK_
	.p2align	8
	.type	_ZN7rocprim17ROCPRIM_400000_NS6detail17trampoline_kernelINS0_14default_configENS1_36segmented_radix_sort_config_selectorIslEEZNS1_25segmented_radix_sort_implIS3_Lb0EPKsPsPKlPlN2at6native12_GLOBAL__N_18offset_tEEE10hipError_tPvRmT1_PNSt15iterator_traitsISK_E10value_typeET2_T3_PNSL_ISQ_E10value_typeET4_jRbjT5_SW_jjP12ihipStream_tbEUlT_E_NS1_11comp_targetILNS1_3genE4ELNS1_11target_archE910ELNS1_3gpuE8ELNS1_3repE0EEENS1_30default_config_static_selectorELNS0_4arch9wavefront6targetE0EEEvSK_,@function
_ZN7rocprim17ROCPRIM_400000_NS6detail17trampoline_kernelINS0_14default_configENS1_36segmented_radix_sort_config_selectorIslEEZNS1_25segmented_radix_sort_implIS3_Lb0EPKsPsPKlPlN2at6native12_GLOBAL__N_18offset_tEEE10hipError_tPvRmT1_PNSt15iterator_traitsISK_E10value_typeET2_T3_PNSL_ISQ_E10value_typeET4_jRbjT5_SW_jjP12ihipStream_tbEUlT_E_NS1_11comp_targetILNS1_3genE4ELNS1_11target_archE910ELNS1_3gpuE8ELNS1_3repE0EEENS1_30default_config_static_selectorELNS0_4arch9wavefront6targetE0EEEvSK_: ; @_ZN7rocprim17ROCPRIM_400000_NS6detail17trampoline_kernelINS0_14default_configENS1_36segmented_radix_sort_config_selectorIslEEZNS1_25segmented_radix_sort_implIS3_Lb0EPKsPsPKlPlN2at6native12_GLOBAL__N_18offset_tEEE10hipError_tPvRmT1_PNSt15iterator_traitsISK_E10value_typeET2_T3_PNSL_ISQ_E10value_typeET4_jRbjT5_SW_jjP12ihipStream_tbEUlT_E_NS1_11comp_targetILNS1_3genE4ELNS1_11target_archE910ELNS1_3gpuE8ELNS1_3repE0EEENS1_30default_config_static_selectorELNS0_4arch9wavefront6targetE0EEEvSK_
; %bb.0:
	.section	.rodata,"a",@progbits
	.p2align	6, 0x0
	.amdhsa_kernel _ZN7rocprim17ROCPRIM_400000_NS6detail17trampoline_kernelINS0_14default_configENS1_36segmented_radix_sort_config_selectorIslEEZNS1_25segmented_radix_sort_implIS3_Lb0EPKsPsPKlPlN2at6native12_GLOBAL__N_18offset_tEEE10hipError_tPvRmT1_PNSt15iterator_traitsISK_E10value_typeET2_T3_PNSL_ISQ_E10value_typeET4_jRbjT5_SW_jjP12ihipStream_tbEUlT_E_NS1_11comp_targetILNS1_3genE4ELNS1_11target_archE910ELNS1_3gpuE8ELNS1_3repE0EEENS1_30default_config_static_selectorELNS0_4arch9wavefront6targetE0EEEvSK_
		.amdhsa_group_segment_fixed_size 0
		.amdhsa_private_segment_fixed_size 0
		.amdhsa_kernarg_size 96
		.amdhsa_user_sgpr_count 6
		.amdhsa_user_sgpr_private_segment_buffer 1
		.amdhsa_user_sgpr_dispatch_ptr 0
		.amdhsa_user_sgpr_queue_ptr 0
		.amdhsa_user_sgpr_kernarg_segment_ptr 1
		.amdhsa_user_sgpr_dispatch_id 0
		.amdhsa_user_sgpr_flat_scratch_init 0
		.amdhsa_user_sgpr_private_segment_size 0
		.amdhsa_wavefront_size32 1
		.amdhsa_uses_dynamic_stack 0
		.amdhsa_system_sgpr_private_segment_wavefront_offset 0
		.amdhsa_system_sgpr_workgroup_id_x 1
		.amdhsa_system_sgpr_workgroup_id_y 0
		.amdhsa_system_sgpr_workgroup_id_z 0
		.amdhsa_system_sgpr_workgroup_info 0
		.amdhsa_system_vgpr_workitem_id 0
		.amdhsa_next_free_vgpr 1
		.amdhsa_next_free_sgpr 1
		.amdhsa_reserve_vcc 0
		.amdhsa_reserve_flat_scratch 0
		.amdhsa_float_round_mode_32 0
		.amdhsa_float_round_mode_16_64 0
		.amdhsa_float_denorm_mode_32 3
		.amdhsa_float_denorm_mode_16_64 3
		.amdhsa_dx10_clamp 1
		.amdhsa_ieee_mode 1
		.amdhsa_fp16_overflow 0
		.amdhsa_workgroup_processor_mode 1
		.amdhsa_memory_ordered 1
		.amdhsa_forward_progress 1
		.amdhsa_shared_vgpr_count 0
		.amdhsa_exception_fp_ieee_invalid_op 0
		.amdhsa_exception_fp_denorm_src 0
		.amdhsa_exception_fp_ieee_div_zero 0
		.amdhsa_exception_fp_ieee_overflow 0
		.amdhsa_exception_fp_ieee_underflow 0
		.amdhsa_exception_fp_ieee_inexact 0
		.amdhsa_exception_int_div_zero 0
	.end_amdhsa_kernel
	.section	.text._ZN7rocprim17ROCPRIM_400000_NS6detail17trampoline_kernelINS0_14default_configENS1_36segmented_radix_sort_config_selectorIslEEZNS1_25segmented_radix_sort_implIS3_Lb0EPKsPsPKlPlN2at6native12_GLOBAL__N_18offset_tEEE10hipError_tPvRmT1_PNSt15iterator_traitsISK_E10value_typeET2_T3_PNSL_ISQ_E10value_typeET4_jRbjT5_SW_jjP12ihipStream_tbEUlT_E_NS1_11comp_targetILNS1_3genE4ELNS1_11target_archE910ELNS1_3gpuE8ELNS1_3repE0EEENS1_30default_config_static_selectorELNS0_4arch9wavefront6targetE0EEEvSK_,"axG",@progbits,_ZN7rocprim17ROCPRIM_400000_NS6detail17trampoline_kernelINS0_14default_configENS1_36segmented_radix_sort_config_selectorIslEEZNS1_25segmented_radix_sort_implIS3_Lb0EPKsPsPKlPlN2at6native12_GLOBAL__N_18offset_tEEE10hipError_tPvRmT1_PNSt15iterator_traitsISK_E10value_typeET2_T3_PNSL_ISQ_E10value_typeET4_jRbjT5_SW_jjP12ihipStream_tbEUlT_E_NS1_11comp_targetILNS1_3genE4ELNS1_11target_archE910ELNS1_3gpuE8ELNS1_3repE0EEENS1_30default_config_static_selectorELNS0_4arch9wavefront6targetE0EEEvSK_,comdat
.Lfunc_end1009:
	.size	_ZN7rocprim17ROCPRIM_400000_NS6detail17trampoline_kernelINS0_14default_configENS1_36segmented_radix_sort_config_selectorIslEEZNS1_25segmented_radix_sort_implIS3_Lb0EPKsPsPKlPlN2at6native12_GLOBAL__N_18offset_tEEE10hipError_tPvRmT1_PNSt15iterator_traitsISK_E10value_typeET2_T3_PNSL_ISQ_E10value_typeET4_jRbjT5_SW_jjP12ihipStream_tbEUlT_E_NS1_11comp_targetILNS1_3genE4ELNS1_11target_archE910ELNS1_3gpuE8ELNS1_3repE0EEENS1_30default_config_static_selectorELNS0_4arch9wavefront6targetE0EEEvSK_, .Lfunc_end1009-_ZN7rocprim17ROCPRIM_400000_NS6detail17trampoline_kernelINS0_14default_configENS1_36segmented_radix_sort_config_selectorIslEEZNS1_25segmented_radix_sort_implIS3_Lb0EPKsPsPKlPlN2at6native12_GLOBAL__N_18offset_tEEE10hipError_tPvRmT1_PNSt15iterator_traitsISK_E10value_typeET2_T3_PNSL_ISQ_E10value_typeET4_jRbjT5_SW_jjP12ihipStream_tbEUlT_E_NS1_11comp_targetILNS1_3genE4ELNS1_11target_archE910ELNS1_3gpuE8ELNS1_3repE0EEENS1_30default_config_static_selectorELNS0_4arch9wavefront6targetE0EEEvSK_
                                        ; -- End function
	.set _ZN7rocprim17ROCPRIM_400000_NS6detail17trampoline_kernelINS0_14default_configENS1_36segmented_radix_sort_config_selectorIslEEZNS1_25segmented_radix_sort_implIS3_Lb0EPKsPsPKlPlN2at6native12_GLOBAL__N_18offset_tEEE10hipError_tPvRmT1_PNSt15iterator_traitsISK_E10value_typeET2_T3_PNSL_ISQ_E10value_typeET4_jRbjT5_SW_jjP12ihipStream_tbEUlT_E_NS1_11comp_targetILNS1_3genE4ELNS1_11target_archE910ELNS1_3gpuE8ELNS1_3repE0EEENS1_30default_config_static_selectorELNS0_4arch9wavefront6targetE0EEEvSK_.num_vgpr, 0
	.set _ZN7rocprim17ROCPRIM_400000_NS6detail17trampoline_kernelINS0_14default_configENS1_36segmented_radix_sort_config_selectorIslEEZNS1_25segmented_radix_sort_implIS3_Lb0EPKsPsPKlPlN2at6native12_GLOBAL__N_18offset_tEEE10hipError_tPvRmT1_PNSt15iterator_traitsISK_E10value_typeET2_T3_PNSL_ISQ_E10value_typeET4_jRbjT5_SW_jjP12ihipStream_tbEUlT_E_NS1_11comp_targetILNS1_3genE4ELNS1_11target_archE910ELNS1_3gpuE8ELNS1_3repE0EEENS1_30default_config_static_selectorELNS0_4arch9wavefront6targetE0EEEvSK_.num_agpr, 0
	.set _ZN7rocprim17ROCPRIM_400000_NS6detail17trampoline_kernelINS0_14default_configENS1_36segmented_radix_sort_config_selectorIslEEZNS1_25segmented_radix_sort_implIS3_Lb0EPKsPsPKlPlN2at6native12_GLOBAL__N_18offset_tEEE10hipError_tPvRmT1_PNSt15iterator_traitsISK_E10value_typeET2_T3_PNSL_ISQ_E10value_typeET4_jRbjT5_SW_jjP12ihipStream_tbEUlT_E_NS1_11comp_targetILNS1_3genE4ELNS1_11target_archE910ELNS1_3gpuE8ELNS1_3repE0EEENS1_30default_config_static_selectorELNS0_4arch9wavefront6targetE0EEEvSK_.numbered_sgpr, 0
	.set _ZN7rocprim17ROCPRIM_400000_NS6detail17trampoline_kernelINS0_14default_configENS1_36segmented_radix_sort_config_selectorIslEEZNS1_25segmented_radix_sort_implIS3_Lb0EPKsPsPKlPlN2at6native12_GLOBAL__N_18offset_tEEE10hipError_tPvRmT1_PNSt15iterator_traitsISK_E10value_typeET2_T3_PNSL_ISQ_E10value_typeET4_jRbjT5_SW_jjP12ihipStream_tbEUlT_E_NS1_11comp_targetILNS1_3genE4ELNS1_11target_archE910ELNS1_3gpuE8ELNS1_3repE0EEENS1_30default_config_static_selectorELNS0_4arch9wavefront6targetE0EEEvSK_.num_named_barrier, 0
	.set _ZN7rocprim17ROCPRIM_400000_NS6detail17trampoline_kernelINS0_14default_configENS1_36segmented_radix_sort_config_selectorIslEEZNS1_25segmented_radix_sort_implIS3_Lb0EPKsPsPKlPlN2at6native12_GLOBAL__N_18offset_tEEE10hipError_tPvRmT1_PNSt15iterator_traitsISK_E10value_typeET2_T3_PNSL_ISQ_E10value_typeET4_jRbjT5_SW_jjP12ihipStream_tbEUlT_E_NS1_11comp_targetILNS1_3genE4ELNS1_11target_archE910ELNS1_3gpuE8ELNS1_3repE0EEENS1_30default_config_static_selectorELNS0_4arch9wavefront6targetE0EEEvSK_.private_seg_size, 0
	.set _ZN7rocprim17ROCPRIM_400000_NS6detail17trampoline_kernelINS0_14default_configENS1_36segmented_radix_sort_config_selectorIslEEZNS1_25segmented_radix_sort_implIS3_Lb0EPKsPsPKlPlN2at6native12_GLOBAL__N_18offset_tEEE10hipError_tPvRmT1_PNSt15iterator_traitsISK_E10value_typeET2_T3_PNSL_ISQ_E10value_typeET4_jRbjT5_SW_jjP12ihipStream_tbEUlT_E_NS1_11comp_targetILNS1_3genE4ELNS1_11target_archE910ELNS1_3gpuE8ELNS1_3repE0EEENS1_30default_config_static_selectorELNS0_4arch9wavefront6targetE0EEEvSK_.uses_vcc, 0
	.set _ZN7rocprim17ROCPRIM_400000_NS6detail17trampoline_kernelINS0_14default_configENS1_36segmented_radix_sort_config_selectorIslEEZNS1_25segmented_radix_sort_implIS3_Lb0EPKsPsPKlPlN2at6native12_GLOBAL__N_18offset_tEEE10hipError_tPvRmT1_PNSt15iterator_traitsISK_E10value_typeET2_T3_PNSL_ISQ_E10value_typeET4_jRbjT5_SW_jjP12ihipStream_tbEUlT_E_NS1_11comp_targetILNS1_3genE4ELNS1_11target_archE910ELNS1_3gpuE8ELNS1_3repE0EEENS1_30default_config_static_selectorELNS0_4arch9wavefront6targetE0EEEvSK_.uses_flat_scratch, 0
	.set _ZN7rocprim17ROCPRIM_400000_NS6detail17trampoline_kernelINS0_14default_configENS1_36segmented_radix_sort_config_selectorIslEEZNS1_25segmented_radix_sort_implIS3_Lb0EPKsPsPKlPlN2at6native12_GLOBAL__N_18offset_tEEE10hipError_tPvRmT1_PNSt15iterator_traitsISK_E10value_typeET2_T3_PNSL_ISQ_E10value_typeET4_jRbjT5_SW_jjP12ihipStream_tbEUlT_E_NS1_11comp_targetILNS1_3genE4ELNS1_11target_archE910ELNS1_3gpuE8ELNS1_3repE0EEENS1_30default_config_static_selectorELNS0_4arch9wavefront6targetE0EEEvSK_.has_dyn_sized_stack, 0
	.set _ZN7rocprim17ROCPRIM_400000_NS6detail17trampoline_kernelINS0_14default_configENS1_36segmented_radix_sort_config_selectorIslEEZNS1_25segmented_radix_sort_implIS3_Lb0EPKsPsPKlPlN2at6native12_GLOBAL__N_18offset_tEEE10hipError_tPvRmT1_PNSt15iterator_traitsISK_E10value_typeET2_T3_PNSL_ISQ_E10value_typeET4_jRbjT5_SW_jjP12ihipStream_tbEUlT_E_NS1_11comp_targetILNS1_3genE4ELNS1_11target_archE910ELNS1_3gpuE8ELNS1_3repE0EEENS1_30default_config_static_selectorELNS0_4arch9wavefront6targetE0EEEvSK_.has_recursion, 0
	.set _ZN7rocprim17ROCPRIM_400000_NS6detail17trampoline_kernelINS0_14default_configENS1_36segmented_radix_sort_config_selectorIslEEZNS1_25segmented_radix_sort_implIS3_Lb0EPKsPsPKlPlN2at6native12_GLOBAL__N_18offset_tEEE10hipError_tPvRmT1_PNSt15iterator_traitsISK_E10value_typeET2_T3_PNSL_ISQ_E10value_typeET4_jRbjT5_SW_jjP12ihipStream_tbEUlT_E_NS1_11comp_targetILNS1_3genE4ELNS1_11target_archE910ELNS1_3gpuE8ELNS1_3repE0EEENS1_30default_config_static_selectorELNS0_4arch9wavefront6targetE0EEEvSK_.has_indirect_call, 0
	.section	.AMDGPU.csdata,"",@progbits
; Kernel info:
; codeLenInByte = 0
; TotalNumSgprs: 0
; NumVgprs: 0
; ScratchSize: 0
; MemoryBound: 0
; FloatMode: 240
; IeeeMode: 1
; LDSByteSize: 0 bytes/workgroup (compile time only)
; SGPRBlocks: 0
; VGPRBlocks: 0
; NumSGPRsForWavesPerEU: 1
; NumVGPRsForWavesPerEU: 1
; Occupancy: 16
; WaveLimiterHint : 0
; COMPUTE_PGM_RSRC2:SCRATCH_EN: 0
; COMPUTE_PGM_RSRC2:USER_SGPR: 6
; COMPUTE_PGM_RSRC2:TRAP_HANDLER: 0
; COMPUTE_PGM_RSRC2:TGID_X_EN: 1
; COMPUTE_PGM_RSRC2:TGID_Y_EN: 0
; COMPUTE_PGM_RSRC2:TGID_Z_EN: 0
; COMPUTE_PGM_RSRC2:TIDIG_COMP_CNT: 0
	.section	.text._ZN7rocprim17ROCPRIM_400000_NS6detail17trampoline_kernelINS0_14default_configENS1_36segmented_radix_sort_config_selectorIslEEZNS1_25segmented_radix_sort_implIS3_Lb0EPKsPsPKlPlN2at6native12_GLOBAL__N_18offset_tEEE10hipError_tPvRmT1_PNSt15iterator_traitsISK_E10value_typeET2_T3_PNSL_ISQ_E10value_typeET4_jRbjT5_SW_jjP12ihipStream_tbEUlT_E_NS1_11comp_targetILNS1_3genE3ELNS1_11target_archE908ELNS1_3gpuE7ELNS1_3repE0EEENS1_30default_config_static_selectorELNS0_4arch9wavefront6targetE0EEEvSK_,"axG",@progbits,_ZN7rocprim17ROCPRIM_400000_NS6detail17trampoline_kernelINS0_14default_configENS1_36segmented_radix_sort_config_selectorIslEEZNS1_25segmented_radix_sort_implIS3_Lb0EPKsPsPKlPlN2at6native12_GLOBAL__N_18offset_tEEE10hipError_tPvRmT1_PNSt15iterator_traitsISK_E10value_typeET2_T3_PNSL_ISQ_E10value_typeET4_jRbjT5_SW_jjP12ihipStream_tbEUlT_E_NS1_11comp_targetILNS1_3genE3ELNS1_11target_archE908ELNS1_3gpuE7ELNS1_3repE0EEENS1_30default_config_static_selectorELNS0_4arch9wavefront6targetE0EEEvSK_,comdat
	.globl	_ZN7rocprim17ROCPRIM_400000_NS6detail17trampoline_kernelINS0_14default_configENS1_36segmented_radix_sort_config_selectorIslEEZNS1_25segmented_radix_sort_implIS3_Lb0EPKsPsPKlPlN2at6native12_GLOBAL__N_18offset_tEEE10hipError_tPvRmT1_PNSt15iterator_traitsISK_E10value_typeET2_T3_PNSL_ISQ_E10value_typeET4_jRbjT5_SW_jjP12ihipStream_tbEUlT_E_NS1_11comp_targetILNS1_3genE3ELNS1_11target_archE908ELNS1_3gpuE7ELNS1_3repE0EEENS1_30default_config_static_selectorELNS0_4arch9wavefront6targetE0EEEvSK_ ; -- Begin function _ZN7rocprim17ROCPRIM_400000_NS6detail17trampoline_kernelINS0_14default_configENS1_36segmented_radix_sort_config_selectorIslEEZNS1_25segmented_radix_sort_implIS3_Lb0EPKsPsPKlPlN2at6native12_GLOBAL__N_18offset_tEEE10hipError_tPvRmT1_PNSt15iterator_traitsISK_E10value_typeET2_T3_PNSL_ISQ_E10value_typeET4_jRbjT5_SW_jjP12ihipStream_tbEUlT_E_NS1_11comp_targetILNS1_3genE3ELNS1_11target_archE908ELNS1_3gpuE7ELNS1_3repE0EEENS1_30default_config_static_selectorELNS0_4arch9wavefront6targetE0EEEvSK_
	.p2align	8
	.type	_ZN7rocprim17ROCPRIM_400000_NS6detail17trampoline_kernelINS0_14default_configENS1_36segmented_radix_sort_config_selectorIslEEZNS1_25segmented_radix_sort_implIS3_Lb0EPKsPsPKlPlN2at6native12_GLOBAL__N_18offset_tEEE10hipError_tPvRmT1_PNSt15iterator_traitsISK_E10value_typeET2_T3_PNSL_ISQ_E10value_typeET4_jRbjT5_SW_jjP12ihipStream_tbEUlT_E_NS1_11comp_targetILNS1_3genE3ELNS1_11target_archE908ELNS1_3gpuE7ELNS1_3repE0EEENS1_30default_config_static_selectorELNS0_4arch9wavefront6targetE0EEEvSK_,@function
_ZN7rocprim17ROCPRIM_400000_NS6detail17trampoline_kernelINS0_14default_configENS1_36segmented_radix_sort_config_selectorIslEEZNS1_25segmented_radix_sort_implIS3_Lb0EPKsPsPKlPlN2at6native12_GLOBAL__N_18offset_tEEE10hipError_tPvRmT1_PNSt15iterator_traitsISK_E10value_typeET2_T3_PNSL_ISQ_E10value_typeET4_jRbjT5_SW_jjP12ihipStream_tbEUlT_E_NS1_11comp_targetILNS1_3genE3ELNS1_11target_archE908ELNS1_3gpuE7ELNS1_3repE0EEENS1_30default_config_static_selectorELNS0_4arch9wavefront6targetE0EEEvSK_: ; @_ZN7rocprim17ROCPRIM_400000_NS6detail17trampoline_kernelINS0_14default_configENS1_36segmented_radix_sort_config_selectorIslEEZNS1_25segmented_radix_sort_implIS3_Lb0EPKsPsPKlPlN2at6native12_GLOBAL__N_18offset_tEEE10hipError_tPvRmT1_PNSt15iterator_traitsISK_E10value_typeET2_T3_PNSL_ISQ_E10value_typeET4_jRbjT5_SW_jjP12ihipStream_tbEUlT_E_NS1_11comp_targetILNS1_3genE3ELNS1_11target_archE908ELNS1_3gpuE7ELNS1_3repE0EEENS1_30default_config_static_selectorELNS0_4arch9wavefront6targetE0EEEvSK_
; %bb.0:
	.section	.rodata,"a",@progbits
	.p2align	6, 0x0
	.amdhsa_kernel _ZN7rocprim17ROCPRIM_400000_NS6detail17trampoline_kernelINS0_14default_configENS1_36segmented_radix_sort_config_selectorIslEEZNS1_25segmented_radix_sort_implIS3_Lb0EPKsPsPKlPlN2at6native12_GLOBAL__N_18offset_tEEE10hipError_tPvRmT1_PNSt15iterator_traitsISK_E10value_typeET2_T3_PNSL_ISQ_E10value_typeET4_jRbjT5_SW_jjP12ihipStream_tbEUlT_E_NS1_11comp_targetILNS1_3genE3ELNS1_11target_archE908ELNS1_3gpuE7ELNS1_3repE0EEENS1_30default_config_static_selectorELNS0_4arch9wavefront6targetE0EEEvSK_
		.amdhsa_group_segment_fixed_size 0
		.amdhsa_private_segment_fixed_size 0
		.amdhsa_kernarg_size 96
		.amdhsa_user_sgpr_count 6
		.amdhsa_user_sgpr_private_segment_buffer 1
		.amdhsa_user_sgpr_dispatch_ptr 0
		.amdhsa_user_sgpr_queue_ptr 0
		.amdhsa_user_sgpr_kernarg_segment_ptr 1
		.amdhsa_user_sgpr_dispatch_id 0
		.amdhsa_user_sgpr_flat_scratch_init 0
		.amdhsa_user_sgpr_private_segment_size 0
		.amdhsa_wavefront_size32 1
		.amdhsa_uses_dynamic_stack 0
		.amdhsa_system_sgpr_private_segment_wavefront_offset 0
		.amdhsa_system_sgpr_workgroup_id_x 1
		.amdhsa_system_sgpr_workgroup_id_y 0
		.amdhsa_system_sgpr_workgroup_id_z 0
		.amdhsa_system_sgpr_workgroup_info 0
		.amdhsa_system_vgpr_workitem_id 0
		.amdhsa_next_free_vgpr 1
		.amdhsa_next_free_sgpr 1
		.amdhsa_reserve_vcc 0
		.amdhsa_reserve_flat_scratch 0
		.amdhsa_float_round_mode_32 0
		.amdhsa_float_round_mode_16_64 0
		.amdhsa_float_denorm_mode_32 3
		.amdhsa_float_denorm_mode_16_64 3
		.amdhsa_dx10_clamp 1
		.amdhsa_ieee_mode 1
		.amdhsa_fp16_overflow 0
		.amdhsa_workgroup_processor_mode 1
		.amdhsa_memory_ordered 1
		.amdhsa_forward_progress 1
		.amdhsa_shared_vgpr_count 0
		.amdhsa_exception_fp_ieee_invalid_op 0
		.amdhsa_exception_fp_denorm_src 0
		.amdhsa_exception_fp_ieee_div_zero 0
		.amdhsa_exception_fp_ieee_overflow 0
		.amdhsa_exception_fp_ieee_underflow 0
		.amdhsa_exception_fp_ieee_inexact 0
		.amdhsa_exception_int_div_zero 0
	.end_amdhsa_kernel
	.section	.text._ZN7rocprim17ROCPRIM_400000_NS6detail17trampoline_kernelINS0_14default_configENS1_36segmented_radix_sort_config_selectorIslEEZNS1_25segmented_radix_sort_implIS3_Lb0EPKsPsPKlPlN2at6native12_GLOBAL__N_18offset_tEEE10hipError_tPvRmT1_PNSt15iterator_traitsISK_E10value_typeET2_T3_PNSL_ISQ_E10value_typeET4_jRbjT5_SW_jjP12ihipStream_tbEUlT_E_NS1_11comp_targetILNS1_3genE3ELNS1_11target_archE908ELNS1_3gpuE7ELNS1_3repE0EEENS1_30default_config_static_selectorELNS0_4arch9wavefront6targetE0EEEvSK_,"axG",@progbits,_ZN7rocprim17ROCPRIM_400000_NS6detail17trampoline_kernelINS0_14default_configENS1_36segmented_radix_sort_config_selectorIslEEZNS1_25segmented_radix_sort_implIS3_Lb0EPKsPsPKlPlN2at6native12_GLOBAL__N_18offset_tEEE10hipError_tPvRmT1_PNSt15iterator_traitsISK_E10value_typeET2_T3_PNSL_ISQ_E10value_typeET4_jRbjT5_SW_jjP12ihipStream_tbEUlT_E_NS1_11comp_targetILNS1_3genE3ELNS1_11target_archE908ELNS1_3gpuE7ELNS1_3repE0EEENS1_30default_config_static_selectorELNS0_4arch9wavefront6targetE0EEEvSK_,comdat
.Lfunc_end1010:
	.size	_ZN7rocprim17ROCPRIM_400000_NS6detail17trampoline_kernelINS0_14default_configENS1_36segmented_radix_sort_config_selectorIslEEZNS1_25segmented_radix_sort_implIS3_Lb0EPKsPsPKlPlN2at6native12_GLOBAL__N_18offset_tEEE10hipError_tPvRmT1_PNSt15iterator_traitsISK_E10value_typeET2_T3_PNSL_ISQ_E10value_typeET4_jRbjT5_SW_jjP12ihipStream_tbEUlT_E_NS1_11comp_targetILNS1_3genE3ELNS1_11target_archE908ELNS1_3gpuE7ELNS1_3repE0EEENS1_30default_config_static_selectorELNS0_4arch9wavefront6targetE0EEEvSK_, .Lfunc_end1010-_ZN7rocprim17ROCPRIM_400000_NS6detail17trampoline_kernelINS0_14default_configENS1_36segmented_radix_sort_config_selectorIslEEZNS1_25segmented_radix_sort_implIS3_Lb0EPKsPsPKlPlN2at6native12_GLOBAL__N_18offset_tEEE10hipError_tPvRmT1_PNSt15iterator_traitsISK_E10value_typeET2_T3_PNSL_ISQ_E10value_typeET4_jRbjT5_SW_jjP12ihipStream_tbEUlT_E_NS1_11comp_targetILNS1_3genE3ELNS1_11target_archE908ELNS1_3gpuE7ELNS1_3repE0EEENS1_30default_config_static_selectorELNS0_4arch9wavefront6targetE0EEEvSK_
                                        ; -- End function
	.set _ZN7rocprim17ROCPRIM_400000_NS6detail17trampoline_kernelINS0_14default_configENS1_36segmented_radix_sort_config_selectorIslEEZNS1_25segmented_radix_sort_implIS3_Lb0EPKsPsPKlPlN2at6native12_GLOBAL__N_18offset_tEEE10hipError_tPvRmT1_PNSt15iterator_traitsISK_E10value_typeET2_T3_PNSL_ISQ_E10value_typeET4_jRbjT5_SW_jjP12ihipStream_tbEUlT_E_NS1_11comp_targetILNS1_3genE3ELNS1_11target_archE908ELNS1_3gpuE7ELNS1_3repE0EEENS1_30default_config_static_selectorELNS0_4arch9wavefront6targetE0EEEvSK_.num_vgpr, 0
	.set _ZN7rocprim17ROCPRIM_400000_NS6detail17trampoline_kernelINS0_14default_configENS1_36segmented_radix_sort_config_selectorIslEEZNS1_25segmented_radix_sort_implIS3_Lb0EPKsPsPKlPlN2at6native12_GLOBAL__N_18offset_tEEE10hipError_tPvRmT1_PNSt15iterator_traitsISK_E10value_typeET2_T3_PNSL_ISQ_E10value_typeET4_jRbjT5_SW_jjP12ihipStream_tbEUlT_E_NS1_11comp_targetILNS1_3genE3ELNS1_11target_archE908ELNS1_3gpuE7ELNS1_3repE0EEENS1_30default_config_static_selectorELNS0_4arch9wavefront6targetE0EEEvSK_.num_agpr, 0
	.set _ZN7rocprim17ROCPRIM_400000_NS6detail17trampoline_kernelINS0_14default_configENS1_36segmented_radix_sort_config_selectorIslEEZNS1_25segmented_radix_sort_implIS3_Lb0EPKsPsPKlPlN2at6native12_GLOBAL__N_18offset_tEEE10hipError_tPvRmT1_PNSt15iterator_traitsISK_E10value_typeET2_T3_PNSL_ISQ_E10value_typeET4_jRbjT5_SW_jjP12ihipStream_tbEUlT_E_NS1_11comp_targetILNS1_3genE3ELNS1_11target_archE908ELNS1_3gpuE7ELNS1_3repE0EEENS1_30default_config_static_selectorELNS0_4arch9wavefront6targetE0EEEvSK_.numbered_sgpr, 0
	.set _ZN7rocprim17ROCPRIM_400000_NS6detail17trampoline_kernelINS0_14default_configENS1_36segmented_radix_sort_config_selectorIslEEZNS1_25segmented_radix_sort_implIS3_Lb0EPKsPsPKlPlN2at6native12_GLOBAL__N_18offset_tEEE10hipError_tPvRmT1_PNSt15iterator_traitsISK_E10value_typeET2_T3_PNSL_ISQ_E10value_typeET4_jRbjT5_SW_jjP12ihipStream_tbEUlT_E_NS1_11comp_targetILNS1_3genE3ELNS1_11target_archE908ELNS1_3gpuE7ELNS1_3repE0EEENS1_30default_config_static_selectorELNS0_4arch9wavefront6targetE0EEEvSK_.num_named_barrier, 0
	.set _ZN7rocprim17ROCPRIM_400000_NS6detail17trampoline_kernelINS0_14default_configENS1_36segmented_radix_sort_config_selectorIslEEZNS1_25segmented_radix_sort_implIS3_Lb0EPKsPsPKlPlN2at6native12_GLOBAL__N_18offset_tEEE10hipError_tPvRmT1_PNSt15iterator_traitsISK_E10value_typeET2_T3_PNSL_ISQ_E10value_typeET4_jRbjT5_SW_jjP12ihipStream_tbEUlT_E_NS1_11comp_targetILNS1_3genE3ELNS1_11target_archE908ELNS1_3gpuE7ELNS1_3repE0EEENS1_30default_config_static_selectorELNS0_4arch9wavefront6targetE0EEEvSK_.private_seg_size, 0
	.set _ZN7rocprim17ROCPRIM_400000_NS6detail17trampoline_kernelINS0_14default_configENS1_36segmented_radix_sort_config_selectorIslEEZNS1_25segmented_radix_sort_implIS3_Lb0EPKsPsPKlPlN2at6native12_GLOBAL__N_18offset_tEEE10hipError_tPvRmT1_PNSt15iterator_traitsISK_E10value_typeET2_T3_PNSL_ISQ_E10value_typeET4_jRbjT5_SW_jjP12ihipStream_tbEUlT_E_NS1_11comp_targetILNS1_3genE3ELNS1_11target_archE908ELNS1_3gpuE7ELNS1_3repE0EEENS1_30default_config_static_selectorELNS0_4arch9wavefront6targetE0EEEvSK_.uses_vcc, 0
	.set _ZN7rocprim17ROCPRIM_400000_NS6detail17trampoline_kernelINS0_14default_configENS1_36segmented_radix_sort_config_selectorIslEEZNS1_25segmented_radix_sort_implIS3_Lb0EPKsPsPKlPlN2at6native12_GLOBAL__N_18offset_tEEE10hipError_tPvRmT1_PNSt15iterator_traitsISK_E10value_typeET2_T3_PNSL_ISQ_E10value_typeET4_jRbjT5_SW_jjP12ihipStream_tbEUlT_E_NS1_11comp_targetILNS1_3genE3ELNS1_11target_archE908ELNS1_3gpuE7ELNS1_3repE0EEENS1_30default_config_static_selectorELNS0_4arch9wavefront6targetE0EEEvSK_.uses_flat_scratch, 0
	.set _ZN7rocprim17ROCPRIM_400000_NS6detail17trampoline_kernelINS0_14default_configENS1_36segmented_radix_sort_config_selectorIslEEZNS1_25segmented_radix_sort_implIS3_Lb0EPKsPsPKlPlN2at6native12_GLOBAL__N_18offset_tEEE10hipError_tPvRmT1_PNSt15iterator_traitsISK_E10value_typeET2_T3_PNSL_ISQ_E10value_typeET4_jRbjT5_SW_jjP12ihipStream_tbEUlT_E_NS1_11comp_targetILNS1_3genE3ELNS1_11target_archE908ELNS1_3gpuE7ELNS1_3repE0EEENS1_30default_config_static_selectorELNS0_4arch9wavefront6targetE0EEEvSK_.has_dyn_sized_stack, 0
	.set _ZN7rocprim17ROCPRIM_400000_NS6detail17trampoline_kernelINS0_14default_configENS1_36segmented_radix_sort_config_selectorIslEEZNS1_25segmented_radix_sort_implIS3_Lb0EPKsPsPKlPlN2at6native12_GLOBAL__N_18offset_tEEE10hipError_tPvRmT1_PNSt15iterator_traitsISK_E10value_typeET2_T3_PNSL_ISQ_E10value_typeET4_jRbjT5_SW_jjP12ihipStream_tbEUlT_E_NS1_11comp_targetILNS1_3genE3ELNS1_11target_archE908ELNS1_3gpuE7ELNS1_3repE0EEENS1_30default_config_static_selectorELNS0_4arch9wavefront6targetE0EEEvSK_.has_recursion, 0
	.set _ZN7rocprim17ROCPRIM_400000_NS6detail17trampoline_kernelINS0_14default_configENS1_36segmented_radix_sort_config_selectorIslEEZNS1_25segmented_radix_sort_implIS3_Lb0EPKsPsPKlPlN2at6native12_GLOBAL__N_18offset_tEEE10hipError_tPvRmT1_PNSt15iterator_traitsISK_E10value_typeET2_T3_PNSL_ISQ_E10value_typeET4_jRbjT5_SW_jjP12ihipStream_tbEUlT_E_NS1_11comp_targetILNS1_3genE3ELNS1_11target_archE908ELNS1_3gpuE7ELNS1_3repE0EEENS1_30default_config_static_selectorELNS0_4arch9wavefront6targetE0EEEvSK_.has_indirect_call, 0
	.section	.AMDGPU.csdata,"",@progbits
; Kernel info:
; codeLenInByte = 0
; TotalNumSgprs: 0
; NumVgprs: 0
; ScratchSize: 0
; MemoryBound: 0
; FloatMode: 240
; IeeeMode: 1
; LDSByteSize: 0 bytes/workgroup (compile time only)
; SGPRBlocks: 0
; VGPRBlocks: 0
; NumSGPRsForWavesPerEU: 1
; NumVGPRsForWavesPerEU: 1
; Occupancy: 16
; WaveLimiterHint : 0
; COMPUTE_PGM_RSRC2:SCRATCH_EN: 0
; COMPUTE_PGM_RSRC2:USER_SGPR: 6
; COMPUTE_PGM_RSRC2:TRAP_HANDLER: 0
; COMPUTE_PGM_RSRC2:TGID_X_EN: 1
; COMPUTE_PGM_RSRC2:TGID_Y_EN: 0
; COMPUTE_PGM_RSRC2:TGID_Z_EN: 0
; COMPUTE_PGM_RSRC2:TIDIG_COMP_CNT: 0
	.section	.text._ZN7rocprim17ROCPRIM_400000_NS6detail17trampoline_kernelINS0_14default_configENS1_36segmented_radix_sort_config_selectorIslEEZNS1_25segmented_radix_sort_implIS3_Lb0EPKsPsPKlPlN2at6native12_GLOBAL__N_18offset_tEEE10hipError_tPvRmT1_PNSt15iterator_traitsISK_E10value_typeET2_T3_PNSL_ISQ_E10value_typeET4_jRbjT5_SW_jjP12ihipStream_tbEUlT_E_NS1_11comp_targetILNS1_3genE2ELNS1_11target_archE906ELNS1_3gpuE6ELNS1_3repE0EEENS1_30default_config_static_selectorELNS0_4arch9wavefront6targetE0EEEvSK_,"axG",@progbits,_ZN7rocprim17ROCPRIM_400000_NS6detail17trampoline_kernelINS0_14default_configENS1_36segmented_radix_sort_config_selectorIslEEZNS1_25segmented_radix_sort_implIS3_Lb0EPKsPsPKlPlN2at6native12_GLOBAL__N_18offset_tEEE10hipError_tPvRmT1_PNSt15iterator_traitsISK_E10value_typeET2_T3_PNSL_ISQ_E10value_typeET4_jRbjT5_SW_jjP12ihipStream_tbEUlT_E_NS1_11comp_targetILNS1_3genE2ELNS1_11target_archE906ELNS1_3gpuE6ELNS1_3repE0EEENS1_30default_config_static_selectorELNS0_4arch9wavefront6targetE0EEEvSK_,comdat
	.globl	_ZN7rocprim17ROCPRIM_400000_NS6detail17trampoline_kernelINS0_14default_configENS1_36segmented_radix_sort_config_selectorIslEEZNS1_25segmented_radix_sort_implIS3_Lb0EPKsPsPKlPlN2at6native12_GLOBAL__N_18offset_tEEE10hipError_tPvRmT1_PNSt15iterator_traitsISK_E10value_typeET2_T3_PNSL_ISQ_E10value_typeET4_jRbjT5_SW_jjP12ihipStream_tbEUlT_E_NS1_11comp_targetILNS1_3genE2ELNS1_11target_archE906ELNS1_3gpuE6ELNS1_3repE0EEENS1_30default_config_static_selectorELNS0_4arch9wavefront6targetE0EEEvSK_ ; -- Begin function _ZN7rocprim17ROCPRIM_400000_NS6detail17trampoline_kernelINS0_14default_configENS1_36segmented_radix_sort_config_selectorIslEEZNS1_25segmented_radix_sort_implIS3_Lb0EPKsPsPKlPlN2at6native12_GLOBAL__N_18offset_tEEE10hipError_tPvRmT1_PNSt15iterator_traitsISK_E10value_typeET2_T3_PNSL_ISQ_E10value_typeET4_jRbjT5_SW_jjP12ihipStream_tbEUlT_E_NS1_11comp_targetILNS1_3genE2ELNS1_11target_archE906ELNS1_3gpuE6ELNS1_3repE0EEENS1_30default_config_static_selectorELNS0_4arch9wavefront6targetE0EEEvSK_
	.p2align	8
	.type	_ZN7rocprim17ROCPRIM_400000_NS6detail17trampoline_kernelINS0_14default_configENS1_36segmented_radix_sort_config_selectorIslEEZNS1_25segmented_radix_sort_implIS3_Lb0EPKsPsPKlPlN2at6native12_GLOBAL__N_18offset_tEEE10hipError_tPvRmT1_PNSt15iterator_traitsISK_E10value_typeET2_T3_PNSL_ISQ_E10value_typeET4_jRbjT5_SW_jjP12ihipStream_tbEUlT_E_NS1_11comp_targetILNS1_3genE2ELNS1_11target_archE906ELNS1_3gpuE6ELNS1_3repE0EEENS1_30default_config_static_selectorELNS0_4arch9wavefront6targetE0EEEvSK_,@function
_ZN7rocprim17ROCPRIM_400000_NS6detail17trampoline_kernelINS0_14default_configENS1_36segmented_radix_sort_config_selectorIslEEZNS1_25segmented_radix_sort_implIS3_Lb0EPKsPsPKlPlN2at6native12_GLOBAL__N_18offset_tEEE10hipError_tPvRmT1_PNSt15iterator_traitsISK_E10value_typeET2_T3_PNSL_ISQ_E10value_typeET4_jRbjT5_SW_jjP12ihipStream_tbEUlT_E_NS1_11comp_targetILNS1_3genE2ELNS1_11target_archE906ELNS1_3gpuE6ELNS1_3repE0EEENS1_30default_config_static_selectorELNS0_4arch9wavefront6targetE0EEEvSK_: ; @_ZN7rocprim17ROCPRIM_400000_NS6detail17trampoline_kernelINS0_14default_configENS1_36segmented_radix_sort_config_selectorIslEEZNS1_25segmented_radix_sort_implIS3_Lb0EPKsPsPKlPlN2at6native12_GLOBAL__N_18offset_tEEE10hipError_tPvRmT1_PNSt15iterator_traitsISK_E10value_typeET2_T3_PNSL_ISQ_E10value_typeET4_jRbjT5_SW_jjP12ihipStream_tbEUlT_E_NS1_11comp_targetILNS1_3genE2ELNS1_11target_archE906ELNS1_3gpuE6ELNS1_3repE0EEENS1_30default_config_static_selectorELNS0_4arch9wavefront6targetE0EEEvSK_
; %bb.0:
	.section	.rodata,"a",@progbits
	.p2align	6, 0x0
	.amdhsa_kernel _ZN7rocprim17ROCPRIM_400000_NS6detail17trampoline_kernelINS0_14default_configENS1_36segmented_radix_sort_config_selectorIslEEZNS1_25segmented_radix_sort_implIS3_Lb0EPKsPsPKlPlN2at6native12_GLOBAL__N_18offset_tEEE10hipError_tPvRmT1_PNSt15iterator_traitsISK_E10value_typeET2_T3_PNSL_ISQ_E10value_typeET4_jRbjT5_SW_jjP12ihipStream_tbEUlT_E_NS1_11comp_targetILNS1_3genE2ELNS1_11target_archE906ELNS1_3gpuE6ELNS1_3repE0EEENS1_30default_config_static_selectorELNS0_4arch9wavefront6targetE0EEEvSK_
		.amdhsa_group_segment_fixed_size 0
		.amdhsa_private_segment_fixed_size 0
		.amdhsa_kernarg_size 96
		.amdhsa_user_sgpr_count 6
		.amdhsa_user_sgpr_private_segment_buffer 1
		.amdhsa_user_sgpr_dispatch_ptr 0
		.amdhsa_user_sgpr_queue_ptr 0
		.amdhsa_user_sgpr_kernarg_segment_ptr 1
		.amdhsa_user_sgpr_dispatch_id 0
		.amdhsa_user_sgpr_flat_scratch_init 0
		.amdhsa_user_sgpr_private_segment_size 0
		.amdhsa_wavefront_size32 1
		.amdhsa_uses_dynamic_stack 0
		.amdhsa_system_sgpr_private_segment_wavefront_offset 0
		.amdhsa_system_sgpr_workgroup_id_x 1
		.amdhsa_system_sgpr_workgroup_id_y 0
		.amdhsa_system_sgpr_workgroup_id_z 0
		.amdhsa_system_sgpr_workgroup_info 0
		.amdhsa_system_vgpr_workitem_id 0
		.amdhsa_next_free_vgpr 1
		.amdhsa_next_free_sgpr 1
		.amdhsa_reserve_vcc 0
		.amdhsa_reserve_flat_scratch 0
		.amdhsa_float_round_mode_32 0
		.amdhsa_float_round_mode_16_64 0
		.amdhsa_float_denorm_mode_32 3
		.amdhsa_float_denorm_mode_16_64 3
		.amdhsa_dx10_clamp 1
		.amdhsa_ieee_mode 1
		.amdhsa_fp16_overflow 0
		.amdhsa_workgroup_processor_mode 1
		.amdhsa_memory_ordered 1
		.amdhsa_forward_progress 1
		.amdhsa_shared_vgpr_count 0
		.amdhsa_exception_fp_ieee_invalid_op 0
		.amdhsa_exception_fp_denorm_src 0
		.amdhsa_exception_fp_ieee_div_zero 0
		.amdhsa_exception_fp_ieee_overflow 0
		.amdhsa_exception_fp_ieee_underflow 0
		.amdhsa_exception_fp_ieee_inexact 0
		.amdhsa_exception_int_div_zero 0
	.end_amdhsa_kernel
	.section	.text._ZN7rocprim17ROCPRIM_400000_NS6detail17trampoline_kernelINS0_14default_configENS1_36segmented_radix_sort_config_selectorIslEEZNS1_25segmented_radix_sort_implIS3_Lb0EPKsPsPKlPlN2at6native12_GLOBAL__N_18offset_tEEE10hipError_tPvRmT1_PNSt15iterator_traitsISK_E10value_typeET2_T3_PNSL_ISQ_E10value_typeET4_jRbjT5_SW_jjP12ihipStream_tbEUlT_E_NS1_11comp_targetILNS1_3genE2ELNS1_11target_archE906ELNS1_3gpuE6ELNS1_3repE0EEENS1_30default_config_static_selectorELNS0_4arch9wavefront6targetE0EEEvSK_,"axG",@progbits,_ZN7rocprim17ROCPRIM_400000_NS6detail17trampoline_kernelINS0_14default_configENS1_36segmented_radix_sort_config_selectorIslEEZNS1_25segmented_radix_sort_implIS3_Lb0EPKsPsPKlPlN2at6native12_GLOBAL__N_18offset_tEEE10hipError_tPvRmT1_PNSt15iterator_traitsISK_E10value_typeET2_T3_PNSL_ISQ_E10value_typeET4_jRbjT5_SW_jjP12ihipStream_tbEUlT_E_NS1_11comp_targetILNS1_3genE2ELNS1_11target_archE906ELNS1_3gpuE6ELNS1_3repE0EEENS1_30default_config_static_selectorELNS0_4arch9wavefront6targetE0EEEvSK_,comdat
.Lfunc_end1011:
	.size	_ZN7rocprim17ROCPRIM_400000_NS6detail17trampoline_kernelINS0_14default_configENS1_36segmented_radix_sort_config_selectorIslEEZNS1_25segmented_radix_sort_implIS3_Lb0EPKsPsPKlPlN2at6native12_GLOBAL__N_18offset_tEEE10hipError_tPvRmT1_PNSt15iterator_traitsISK_E10value_typeET2_T3_PNSL_ISQ_E10value_typeET4_jRbjT5_SW_jjP12ihipStream_tbEUlT_E_NS1_11comp_targetILNS1_3genE2ELNS1_11target_archE906ELNS1_3gpuE6ELNS1_3repE0EEENS1_30default_config_static_selectorELNS0_4arch9wavefront6targetE0EEEvSK_, .Lfunc_end1011-_ZN7rocprim17ROCPRIM_400000_NS6detail17trampoline_kernelINS0_14default_configENS1_36segmented_radix_sort_config_selectorIslEEZNS1_25segmented_radix_sort_implIS3_Lb0EPKsPsPKlPlN2at6native12_GLOBAL__N_18offset_tEEE10hipError_tPvRmT1_PNSt15iterator_traitsISK_E10value_typeET2_T3_PNSL_ISQ_E10value_typeET4_jRbjT5_SW_jjP12ihipStream_tbEUlT_E_NS1_11comp_targetILNS1_3genE2ELNS1_11target_archE906ELNS1_3gpuE6ELNS1_3repE0EEENS1_30default_config_static_selectorELNS0_4arch9wavefront6targetE0EEEvSK_
                                        ; -- End function
	.set _ZN7rocprim17ROCPRIM_400000_NS6detail17trampoline_kernelINS0_14default_configENS1_36segmented_radix_sort_config_selectorIslEEZNS1_25segmented_radix_sort_implIS3_Lb0EPKsPsPKlPlN2at6native12_GLOBAL__N_18offset_tEEE10hipError_tPvRmT1_PNSt15iterator_traitsISK_E10value_typeET2_T3_PNSL_ISQ_E10value_typeET4_jRbjT5_SW_jjP12ihipStream_tbEUlT_E_NS1_11comp_targetILNS1_3genE2ELNS1_11target_archE906ELNS1_3gpuE6ELNS1_3repE0EEENS1_30default_config_static_selectorELNS0_4arch9wavefront6targetE0EEEvSK_.num_vgpr, 0
	.set _ZN7rocprim17ROCPRIM_400000_NS6detail17trampoline_kernelINS0_14default_configENS1_36segmented_radix_sort_config_selectorIslEEZNS1_25segmented_radix_sort_implIS3_Lb0EPKsPsPKlPlN2at6native12_GLOBAL__N_18offset_tEEE10hipError_tPvRmT1_PNSt15iterator_traitsISK_E10value_typeET2_T3_PNSL_ISQ_E10value_typeET4_jRbjT5_SW_jjP12ihipStream_tbEUlT_E_NS1_11comp_targetILNS1_3genE2ELNS1_11target_archE906ELNS1_3gpuE6ELNS1_3repE0EEENS1_30default_config_static_selectorELNS0_4arch9wavefront6targetE0EEEvSK_.num_agpr, 0
	.set _ZN7rocprim17ROCPRIM_400000_NS6detail17trampoline_kernelINS0_14default_configENS1_36segmented_radix_sort_config_selectorIslEEZNS1_25segmented_radix_sort_implIS3_Lb0EPKsPsPKlPlN2at6native12_GLOBAL__N_18offset_tEEE10hipError_tPvRmT1_PNSt15iterator_traitsISK_E10value_typeET2_T3_PNSL_ISQ_E10value_typeET4_jRbjT5_SW_jjP12ihipStream_tbEUlT_E_NS1_11comp_targetILNS1_3genE2ELNS1_11target_archE906ELNS1_3gpuE6ELNS1_3repE0EEENS1_30default_config_static_selectorELNS0_4arch9wavefront6targetE0EEEvSK_.numbered_sgpr, 0
	.set _ZN7rocprim17ROCPRIM_400000_NS6detail17trampoline_kernelINS0_14default_configENS1_36segmented_radix_sort_config_selectorIslEEZNS1_25segmented_radix_sort_implIS3_Lb0EPKsPsPKlPlN2at6native12_GLOBAL__N_18offset_tEEE10hipError_tPvRmT1_PNSt15iterator_traitsISK_E10value_typeET2_T3_PNSL_ISQ_E10value_typeET4_jRbjT5_SW_jjP12ihipStream_tbEUlT_E_NS1_11comp_targetILNS1_3genE2ELNS1_11target_archE906ELNS1_3gpuE6ELNS1_3repE0EEENS1_30default_config_static_selectorELNS0_4arch9wavefront6targetE0EEEvSK_.num_named_barrier, 0
	.set _ZN7rocprim17ROCPRIM_400000_NS6detail17trampoline_kernelINS0_14default_configENS1_36segmented_radix_sort_config_selectorIslEEZNS1_25segmented_radix_sort_implIS3_Lb0EPKsPsPKlPlN2at6native12_GLOBAL__N_18offset_tEEE10hipError_tPvRmT1_PNSt15iterator_traitsISK_E10value_typeET2_T3_PNSL_ISQ_E10value_typeET4_jRbjT5_SW_jjP12ihipStream_tbEUlT_E_NS1_11comp_targetILNS1_3genE2ELNS1_11target_archE906ELNS1_3gpuE6ELNS1_3repE0EEENS1_30default_config_static_selectorELNS0_4arch9wavefront6targetE0EEEvSK_.private_seg_size, 0
	.set _ZN7rocprim17ROCPRIM_400000_NS6detail17trampoline_kernelINS0_14default_configENS1_36segmented_radix_sort_config_selectorIslEEZNS1_25segmented_radix_sort_implIS3_Lb0EPKsPsPKlPlN2at6native12_GLOBAL__N_18offset_tEEE10hipError_tPvRmT1_PNSt15iterator_traitsISK_E10value_typeET2_T3_PNSL_ISQ_E10value_typeET4_jRbjT5_SW_jjP12ihipStream_tbEUlT_E_NS1_11comp_targetILNS1_3genE2ELNS1_11target_archE906ELNS1_3gpuE6ELNS1_3repE0EEENS1_30default_config_static_selectorELNS0_4arch9wavefront6targetE0EEEvSK_.uses_vcc, 0
	.set _ZN7rocprim17ROCPRIM_400000_NS6detail17trampoline_kernelINS0_14default_configENS1_36segmented_radix_sort_config_selectorIslEEZNS1_25segmented_radix_sort_implIS3_Lb0EPKsPsPKlPlN2at6native12_GLOBAL__N_18offset_tEEE10hipError_tPvRmT1_PNSt15iterator_traitsISK_E10value_typeET2_T3_PNSL_ISQ_E10value_typeET4_jRbjT5_SW_jjP12ihipStream_tbEUlT_E_NS1_11comp_targetILNS1_3genE2ELNS1_11target_archE906ELNS1_3gpuE6ELNS1_3repE0EEENS1_30default_config_static_selectorELNS0_4arch9wavefront6targetE0EEEvSK_.uses_flat_scratch, 0
	.set _ZN7rocprim17ROCPRIM_400000_NS6detail17trampoline_kernelINS0_14default_configENS1_36segmented_radix_sort_config_selectorIslEEZNS1_25segmented_radix_sort_implIS3_Lb0EPKsPsPKlPlN2at6native12_GLOBAL__N_18offset_tEEE10hipError_tPvRmT1_PNSt15iterator_traitsISK_E10value_typeET2_T3_PNSL_ISQ_E10value_typeET4_jRbjT5_SW_jjP12ihipStream_tbEUlT_E_NS1_11comp_targetILNS1_3genE2ELNS1_11target_archE906ELNS1_3gpuE6ELNS1_3repE0EEENS1_30default_config_static_selectorELNS0_4arch9wavefront6targetE0EEEvSK_.has_dyn_sized_stack, 0
	.set _ZN7rocprim17ROCPRIM_400000_NS6detail17trampoline_kernelINS0_14default_configENS1_36segmented_radix_sort_config_selectorIslEEZNS1_25segmented_radix_sort_implIS3_Lb0EPKsPsPKlPlN2at6native12_GLOBAL__N_18offset_tEEE10hipError_tPvRmT1_PNSt15iterator_traitsISK_E10value_typeET2_T3_PNSL_ISQ_E10value_typeET4_jRbjT5_SW_jjP12ihipStream_tbEUlT_E_NS1_11comp_targetILNS1_3genE2ELNS1_11target_archE906ELNS1_3gpuE6ELNS1_3repE0EEENS1_30default_config_static_selectorELNS0_4arch9wavefront6targetE0EEEvSK_.has_recursion, 0
	.set _ZN7rocprim17ROCPRIM_400000_NS6detail17trampoline_kernelINS0_14default_configENS1_36segmented_radix_sort_config_selectorIslEEZNS1_25segmented_radix_sort_implIS3_Lb0EPKsPsPKlPlN2at6native12_GLOBAL__N_18offset_tEEE10hipError_tPvRmT1_PNSt15iterator_traitsISK_E10value_typeET2_T3_PNSL_ISQ_E10value_typeET4_jRbjT5_SW_jjP12ihipStream_tbEUlT_E_NS1_11comp_targetILNS1_3genE2ELNS1_11target_archE906ELNS1_3gpuE6ELNS1_3repE0EEENS1_30default_config_static_selectorELNS0_4arch9wavefront6targetE0EEEvSK_.has_indirect_call, 0
	.section	.AMDGPU.csdata,"",@progbits
; Kernel info:
; codeLenInByte = 0
; TotalNumSgprs: 0
; NumVgprs: 0
; ScratchSize: 0
; MemoryBound: 0
; FloatMode: 240
; IeeeMode: 1
; LDSByteSize: 0 bytes/workgroup (compile time only)
; SGPRBlocks: 0
; VGPRBlocks: 0
; NumSGPRsForWavesPerEU: 1
; NumVGPRsForWavesPerEU: 1
; Occupancy: 16
; WaveLimiterHint : 0
; COMPUTE_PGM_RSRC2:SCRATCH_EN: 0
; COMPUTE_PGM_RSRC2:USER_SGPR: 6
; COMPUTE_PGM_RSRC2:TRAP_HANDLER: 0
; COMPUTE_PGM_RSRC2:TGID_X_EN: 1
; COMPUTE_PGM_RSRC2:TGID_Y_EN: 0
; COMPUTE_PGM_RSRC2:TGID_Z_EN: 0
; COMPUTE_PGM_RSRC2:TIDIG_COMP_CNT: 0
	.section	.text._ZN7rocprim17ROCPRIM_400000_NS6detail17trampoline_kernelINS0_14default_configENS1_36segmented_radix_sort_config_selectorIslEEZNS1_25segmented_radix_sort_implIS3_Lb0EPKsPsPKlPlN2at6native12_GLOBAL__N_18offset_tEEE10hipError_tPvRmT1_PNSt15iterator_traitsISK_E10value_typeET2_T3_PNSL_ISQ_E10value_typeET4_jRbjT5_SW_jjP12ihipStream_tbEUlT_E_NS1_11comp_targetILNS1_3genE10ELNS1_11target_archE1201ELNS1_3gpuE5ELNS1_3repE0EEENS1_30default_config_static_selectorELNS0_4arch9wavefront6targetE0EEEvSK_,"axG",@progbits,_ZN7rocprim17ROCPRIM_400000_NS6detail17trampoline_kernelINS0_14default_configENS1_36segmented_radix_sort_config_selectorIslEEZNS1_25segmented_radix_sort_implIS3_Lb0EPKsPsPKlPlN2at6native12_GLOBAL__N_18offset_tEEE10hipError_tPvRmT1_PNSt15iterator_traitsISK_E10value_typeET2_T3_PNSL_ISQ_E10value_typeET4_jRbjT5_SW_jjP12ihipStream_tbEUlT_E_NS1_11comp_targetILNS1_3genE10ELNS1_11target_archE1201ELNS1_3gpuE5ELNS1_3repE0EEENS1_30default_config_static_selectorELNS0_4arch9wavefront6targetE0EEEvSK_,comdat
	.globl	_ZN7rocprim17ROCPRIM_400000_NS6detail17trampoline_kernelINS0_14default_configENS1_36segmented_radix_sort_config_selectorIslEEZNS1_25segmented_radix_sort_implIS3_Lb0EPKsPsPKlPlN2at6native12_GLOBAL__N_18offset_tEEE10hipError_tPvRmT1_PNSt15iterator_traitsISK_E10value_typeET2_T3_PNSL_ISQ_E10value_typeET4_jRbjT5_SW_jjP12ihipStream_tbEUlT_E_NS1_11comp_targetILNS1_3genE10ELNS1_11target_archE1201ELNS1_3gpuE5ELNS1_3repE0EEENS1_30default_config_static_selectorELNS0_4arch9wavefront6targetE0EEEvSK_ ; -- Begin function _ZN7rocprim17ROCPRIM_400000_NS6detail17trampoline_kernelINS0_14default_configENS1_36segmented_radix_sort_config_selectorIslEEZNS1_25segmented_radix_sort_implIS3_Lb0EPKsPsPKlPlN2at6native12_GLOBAL__N_18offset_tEEE10hipError_tPvRmT1_PNSt15iterator_traitsISK_E10value_typeET2_T3_PNSL_ISQ_E10value_typeET4_jRbjT5_SW_jjP12ihipStream_tbEUlT_E_NS1_11comp_targetILNS1_3genE10ELNS1_11target_archE1201ELNS1_3gpuE5ELNS1_3repE0EEENS1_30default_config_static_selectorELNS0_4arch9wavefront6targetE0EEEvSK_
	.p2align	8
	.type	_ZN7rocprim17ROCPRIM_400000_NS6detail17trampoline_kernelINS0_14default_configENS1_36segmented_radix_sort_config_selectorIslEEZNS1_25segmented_radix_sort_implIS3_Lb0EPKsPsPKlPlN2at6native12_GLOBAL__N_18offset_tEEE10hipError_tPvRmT1_PNSt15iterator_traitsISK_E10value_typeET2_T3_PNSL_ISQ_E10value_typeET4_jRbjT5_SW_jjP12ihipStream_tbEUlT_E_NS1_11comp_targetILNS1_3genE10ELNS1_11target_archE1201ELNS1_3gpuE5ELNS1_3repE0EEENS1_30default_config_static_selectorELNS0_4arch9wavefront6targetE0EEEvSK_,@function
_ZN7rocprim17ROCPRIM_400000_NS6detail17trampoline_kernelINS0_14default_configENS1_36segmented_radix_sort_config_selectorIslEEZNS1_25segmented_radix_sort_implIS3_Lb0EPKsPsPKlPlN2at6native12_GLOBAL__N_18offset_tEEE10hipError_tPvRmT1_PNSt15iterator_traitsISK_E10value_typeET2_T3_PNSL_ISQ_E10value_typeET4_jRbjT5_SW_jjP12ihipStream_tbEUlT_E_NS1_11comp_targetILNS1_3genE10ELNS1_11target_archE1201ELNS1_3gpuE5ELNS1_3repE0EEENS1_30default_config_static_selectorELNS0_4arch9wavefront6targetE0EEEvSK_: ; @_ZN7rocprim17ROCPRIM_400000_NS6detail17trampoline_kernelINS0_14default_configENS1_36segmented_radix_sort_config_selectorIslEEZNS1_25segmented_radix_sort_implIS3_Lb0EPKsPsPKlPlN2at6native12_GLOBAL__N_18offset_tEEE10hipError_tPvRmT1_PNSt15iterator_traitsISK_E10value_typeET2_T3_PNSL_ISQ_E10value_typeET4_jRbjT5_SW_jjP12ihipStream_tbEUlT_E_NS1_11comp_targetILNS1_3genE10ELNS1_11target_archE1201ELNS1_3gpuE5ELNS1_3repE0EEENS1_30default_config_static_selectorELNS0_4arch9wavefront6targetE0EEEvSK_
; %bb.0:
	.section	.rodata,"a",@progbits
	.p2align	6, 0x0
	.amdhsa_kernel _ZN7rocprim17ROCPRIM_400000_NS6detail17trampoline_kernelINS0_14default_configENS1_36segmented_radix_sort_config_selectorIslEEZNS1_25segmented_radix_sort_implIS3_Lb0EPKsPsPKlPlN2at6native12_GLOBAL__N_18offset_tEEE10hipError_tPvRmT1_PNSt15iterator_traitsISK_E10value_typeET2_T3_PNSL_ISQ_E10value_typeET4_jRbjT5_SW_jjP12ihipStream_tbEUlT_E_NS1_11comp_targetILNS1_3genE10ELNS1_11target_archE1201ELNS1_3gpuE5ELNS1_3repE0EEENS1_30default_config_static_selectorELNS0_4arch9wavefront6targetE0EEEvSK_
		.amdhsa_group_segment_fixed_size 0
		.amdhsa_private_segment_fixed_size 0
		.amdhsa_kernarg_size 96
		.amdhsa_user_sgpr_count 6
		.amdhsa_user_sgpr_private_segment_buffer 1
		.amdhsa_user_sgpr_dispatch_ptr 0
		.amdhsa_user_sgpr_queue_ptr 0
		.amdhsa_user_sgpr_kernarg_segment_ptr 1
		.amdhsa_user_sgpr_dispatch_id 0
		.amdhsa_user_sgpr_flat_scratch_init 0
		.amdhsa_user_sgpr_private_segment_size 0
		.amdhsa_wavefront_size32 1
		.amdhsa_uses_dynamic_stack 0
		.amdhsa_system_sgpr_private_segment_wavefront_offset 0
		.amdhsa_system_sgpr_workgroup_id_x 1
		.amdhsa_system_sgpr_workgroup_id_y 0
		.amdhsa_system_sgpr_workgroup_id_z 0
		.amdhsa_system_sgpr_workgroup_info 0
		.amdhsa_system_vgpr_workitem_id 0
		.amdhsa_next_free_vgpr 1
		.amdhsa_next_free_sgpr 1
		.amdhsa_reserve_vcc 0
		.amdhsa_reserve_flat_scratch 0
		.amdhsa_float_round_mode_32 0
		.amdhsa_float_round_mode_16_64 0
		.amdhsa_float_denorm_mode_32 3
		.amdhsa_float_denorm_mode_16_64 3
		.amdhsa_dx10_clamp 1
		.amdhsa_ieee_mode 1
		.amdhsa_fp16_overflow 0
		.amdhsa_workgroup_processor_mode 1
		.amdhsa_memory_ordered 1
		.amdhsa_forward_progress 1
		.amdhsa_shared_vgpr_count 0
		.amdhsa_exception_fp_ieee_invalid_op 0
		.amdhsa_exception_fp_denorm_src 0
		.amdhsa_exception_fp_ieee_div_zero 0
		.amdhsa_exception_fp_ieee_overflow 0
		.amdhsa_exception_fp_ieee_underflow 0
		.amdhsa_exception_fp_ieee_inexact 0
		.amdhsa_exception_int_div_zero 0
	.end_amdhsa_kernel
	.section	.text._ZN7rocprim17ROCPRIM_400000_NS6detail17trampoline_kernelINS0_14default_configENS1_36segmented_radix_sort_config_selectorIslEEZNS1_25segmented_radix_sort_implIS3_Lb0EPKsPsPKlPlN2at6native12_GLOBAL__N_18offset_tEEE10hipError_tPvRmT1_PNSt15iterator_traitsISK_E10value_typeET2_T3_PNSL_ISQ_E10value_typeET4_jRbjT5_SW_jjP12ihipStream_tbEUlT_E_NS1_11comp_targetILNS1_3genE10ELNS1_11target_archE1201ELNS1_3gpuE5ELNS1_3repE0EEENS1_30default_config_static_selectorELNS0_4arch9wavefront6targetE0EEEvSK_,"axG",@progbits,_ZN7rocprim17ROCPRIM_400000_NS6detail17trampoline_kernelINS0_14default_configENS1_36segmented_radix_sort_config_selectorIslEEZNS1_25segmented_radix_sort_implIS3_Lb0EPKsPsPKlPlN2at6native12_GLOBAL__N_18offset_tEEE10hipError_tPvRmT1_PNSt15iterator_traitsISK_E10value_typeET2_T3_PNSL_ISQ_E10value_typeET4_jRbjT5_SW_jjP12ihipStream_tbEUlT_E_NS1_11comp_targetILNS1_3genE10ELNS1_11target_archE1201ELNS1_3gpuE5ELNS1_3repE0EEENS1_30default_config_static_selectorELNS0_4arch9wavefront6targetE0EEEvSK_,comdat
.Lfunc_end1012:
	.size	_ZN7rocprim17ROCPRIM_400000_NS6detail17trampoline_kernelINS0_14default_configENS1_36segmented_radix_sort_config_selectorIslEEZNS1_25segmented_radix_sort_implIS3_Lb0EPKsPsPKlPlN2at6native12_GLOBAL__N_18offset_tEEE10hipError_tPvRmT1_PNSt15iterator_traitsISK_E10value_typeET2_T3_PNSL_ISQ_E10value_typeET4_jRbjT5_SW_jjP12ihipStream_tbEUlT_E_NS1_11comp_targetILNS1_3genE10ELNS1_11target_archE1201ELNS1_3gpuE5ELNS1_3repE0EEENS1_30default_config_static_selectorELNS0_4arch9wavefront6targetE0EEEvSK_, .Lfunc_end1012-_ZN7rocprim17ROCPRIM_400000_NS6detail17trampoline_kernelINS0_14default_configENS1_36segmented_radix_sort_config_selectorIslEEZNS1_25segmented_radix_sort_implIS3_Lb0EPKsPsPKlPlN2at6native12_GLOBAL__N_18offset_tEEE10hipError_tPvRmT1_PNSt15iterator_traitsISK_E10value_typeET2_T3_PNSL_ISQ_E10value_typeET4_jRbjT5_SW_jjP12ihipStream_tbEUlT_E_NS1_11comp_targetILNS1_3genE10ELNS1_11target_archE1201ELNS1_3gpuE5ELNS1_3repE0EEENS1_30default_config_static_selectorELNS0_4arch9wavefront6targetE0EEEvSK_
                                        ; -- End function
	.set _ZN7rocprim17ROCPRIM_400000_NS6detail17trampoline_kernelINS0_14default_configENS1_36segmented_radix_sort_config_selectorIslEEZNS1_25segmented_radix_sort_implIS3_Lb0EPKsPsPKlPlN2at6native12_GLOBAL__N_18offset_tEEE10hipError_tPvRmT1_PNSt15iterator_traitsISK_E10value_typeET2_T3_PNSL_ISQ_E10value_typeET4_jRbjT5_SW_jjP12ihipStream_tbEUlT_E_NS1_11comp_targetILNS1_3genE10ELNS1_11target_archE1201ELNS1_3gpuE5ELNS1_3repE0EEENS1_30default_config_static_selectorELNS0_4arch9wavefront6targetE0EEEvSK_.num_vgpr, 0
	.set _ZN7rocprim17ROCPRIM_400000_NS6detail17trampoline_kernelINS0_14default_configENS1_36segmented_radix_sort_config_selectorIslEEZNS1_25segmented_radix_sort_implIS3_Lb0EPKsPsPKlPlN2at6native12_GLOBAL__N_18offset_tEEE10hipError_tPvRmT1_PNSt15iterator_traitsISK_E10value_typeET2_T3_PNSL_ISQ_E10value_typeET4_jRbjT5_SW_jjP12ihipStream_tbEUlT_E_NS1_11comp_targetILNS1_3genE10ELNS1_11target_archE1201ELNS1_3gpuE5ELNS1_3repE0EEENS1_30default_config_static_selectorELNS0_4arch9wavefront6targetE0EEEvSK_.num_agpr, 0
	.set _ZN7rocprim17ROCPRIM_400000_NS6detail17trampoline_kernelINS0_14default_configENS1_36segmented_radix_sort_config_selectorIslEEZNS1_25segmented_radix_sort_implIS3_Lb0EPKsPsPKlPlN2at6native12_GLOBAL__N_18offset_tEEE10hipError_tPvRmT1_PNSt15iterator_traitsISK_E10value_typeET2_T3_PNSL_ISQ_E10value_typeET4_jRbjT5_SW_jjP12ihipStream_tbEUlT_E_NS1_11comp_targetILNS1_3genE10ELNS1_11target_archE1201ELNS1_3gpuE5ELNS1_3repE0EEENS1_30default_config_static_selectorELNS0_4arch9wavefront6targetE0EEEvSK_.numbered_sgpr, 0
	.set _ZN7rocprim17ROCPRIM_400000_NS6detail17trampoline_kernelINS0_14default_configENS1_36segmented_radix_sort_config_selectorIslEEZNS1_25segmented_radix_sort_implIS3_Lb0EPKsPsPKlPlN2at6native12_GLOBAL__N_18offset_tEEE10hipError_tPvRmT1_PNSt15iterator_traitsISK_E10value_typeET2_T3_PNSL_ISQ_E10value_typeET4_jRbjT5_SW_jjP12ihipStream_tbEUlT_E_NS1_11comp_targetILNS1_3genE10ELNS1_11target_archE1201ELNS1_3gpuE5ELNS1_3repE0EEENS1_30default_config_static_selectorELNS0_4arch9wavefront6targetE0EEEvSK_.num_named_barrier, 0
	.set _ZN7rocprim17ROCPRIM_400000_NS6detail17trampoline_kernelINS0_14default_configENS1_36segmented_radix_sort_config_selectorIslEEZNS1_25segmented_radix_sort_implIS3_Lb0EPKsPsPKlPlN2at6native12_GLOBAL__N_18offset_tEEE10hipError_tPvRmT1_PNSt15iterator_traitsISK_E10value_typeET2_T3_PNSL_ISQ_E10value_typeET4_jRbjT5_SW_jjP12ihipStream_tbEUlT_E_NS1_11comp_targetILNS1_3genE10ELNS1_11target_archE1201ELNS1_3gpuE5ELNS1_3repE0EEENS1_30default_config_static_selectorELNS0_4arch9wavefront6targetE0EEEvSK_.private_seg_size, 0
	.set _ZN7rocprim17ROCPRIM_400000_NS6detail17trampoline_kernelINS0_14default_configENS1_36segmented_radix_sort_config_selectorIslEEZNS1_25segmented_radix_sort_implIS3_Lb0EPKsPsPKlPlN2at6native12_GLOBAL__N_18offset_tEEE10hipError_tPvRmT1_PNSt15iterator_traitsISK_E10value_typeET2_T3_PNSL_ISQ_E10value_typeET4_jRbjT5_SW_jjP12ihipStream_tbEUlT_E_NS1_11comp_targetILNS1_3genE10ELNS1_11target_archE1201ELNS1_3gpuE5ELNS1_3repE0EEENS1_30default_config_static_selectorELNS0_4arch9wavefront6targetE0EEEvSK_.uses_vcc, 0
	.set _ZN7rocprim17ROCPRIM_400000_NS6detail17trampoline_kernelINS0_14default_configENS1_36segmented_radix_sort_config_selectorIslEEZNS1_25segmented_radix_sort_implIS3_Lb0EPKsPsPKlPlN2at6native12_GLOBAL__N_18offset_tEEE10hipError_tPvRmT1_PNSt15iterator_traitsISK_E10value_typeET2_T3_PNSL_ISQ_E10value_typeET4_jRbjT5_SW_jjP12ihipStream_tbEUlT_E_NS1_11comp_targetILNS1_3genE10ELNS1_11target_archE1201ELNS1_3gpuE5ELNS1_3repE0EEENS1_30default_config_static_selectorELNS0_4arch9wavefront6targetE0EEEvSK_.uses_flat_scratch, 0
	.set _ZN7rocprim17ROCPRIM_400000_NS6detail17trampoline_kernelINS0_14default_configENS1_36segmented_radix_sort_config_selectorIslEEZNS1_25segmented_radix_sort_implIS3_Lb0EPKsPsPKlPlN2at6native12_GLOBAL__N_18offset_tEEE10hipError_tPvRmT1_PNSt15iterator_traitsISK_E10value_typeET2_T3_PNSL_ISQ_E10value_typeET4_jRbjT5_SW_jjP12ihipStream_tbEUlT_E_NS1_11comp_targetILNS1_3genE10ELNS1_11target_archE1201ELNS1_3gpuE5ELNS1_3repE0EEENS1_30default_config_static_selectorELNS0_4arch9wavefront6targetE0EEEvSK_.has_dyn_sized_stack, 0
	.set _ZN7rocprim17ROCPRIM_400000_NS6detail17trampoline_kernelINS0_14default_configENS1_36segmented_radix_sort_config_selectorIslEEZNS1_25segmented_radix_sort_implIS3_Lb0EPKsPsPKlPlN2at6native12_GLOBAL__N_18offset_tEEE10hipError_tPvRmT1_PNSt15iterator_traitsISK_E10value_typeET2_T3_PNSL_ISQ_E10value_typeET4_jRbjT5_SW_jjP12ihipStream_tbEUlT_E_NS1_11comp_targetILNS1_3genE10ELNS1_11target_archE1201ELNS1_3gpuE5ELNS1_3repE0EEENS1_30default_config_static_selectorELNS0_4arch9wavefront6targetE0EEEvSK_.has_recursion, 0
	.set _ZN7rocprim17ROCPRIM_400000_NS6detail17trampoline_kernelINS0_14default_configENS1_36segmented_radix_sort_config_selectorIslEEZNS1_25segmented_radix_sort_implIS3_Lb0EPKsPsPKlPlN2at6native12_GLOBAL__N_18offset_tEEE10hipError_tPvRmT1_PNSt15iterator_traitsISK_E10value_typeET2_T3_PNSL_ISQ_E10value_typeET4_jRbjT5_SW_jjP12ihipStream_tbEUlT_E_NS1_11comp_targetILNS1_3genE10ELNS1_11target_archE1201ELNS1_3gpuE5ELNS1_3repE0EEENS1_30default_config_static_selectorELNS0_4arch9wavefront6targetE0EEEvSK_.has_indirect_call, 0
	.section	.AMDGPU.csdata,"",@progbits
; Kernel info:
; codeLenInByte = 0
; TotalNumSgprs: 0
; NumVgprs: 0
; ScratchSize: 0
; MemoryBound: 0
; FloatMode: 240
; IeeeMode: 1
; LDSByteSize: 0 bytes/workgroup (compile time only)
; SGPRBlocks: 0
; VGPRBlocks: 0
; NumSGPRsForWavesPerEU: 1
; NumVGPRsForWavesPerEU: 1
; Occupancy: 16
; WaveLimiterHint : 0
; COMPUTE_PGM_RSRC2:SCRATCH_EN: 0
; COMPUTE_PGM_RSRC2:USER_SGPR: 6
; COMPUTE_PGM_RSRC2:TRAP_HANDLER: 0
; COMPUTE_PGM_RSRC2:TGID_X_EN: 1
; COMPUTE_PGM_RSRC2:TGID_Y_EN: 0
; COMPUTE_PGM_RSRC2:TGID_Z_EN: 0
; COMPUTE_PGM_RSRC2:TIDIG_COMP_CNT: 0
	.section	.text._ZN7rocprim17ROCPRIM_400000_NS6detail17trampoline_kernelINS0_14default_configENS1_36segmented_radix_sort_config_selectorIslEEZNS1_25segmented_radix_sort_implIS3_Lb0EPKsPsPKlPlN2at6native12_GLOBAL__N_18offset_tEEE10hipError_tPvRmT1_PNSt15iterator_traitsISK_E10value_typeET2_T3_PNSL_ISQ_E10value_typeET4_jRbjT5_SW_jjP12ihipStream_tbEUlT_E_NS1_11comp_targetILNS1_3genE10ELNS1_11target_archE1200ELNS1_3gpuE4ELNS1_3repE0EEENS1_30default_config_static_selectorELNS0_4arch9wavefront6targetE0EEEvSK_,"axG",@progbits,_ZN7rocprim17ROCPRIM_400000_NS6detail17trampoline_kernelINS0_14default_configENS1_36segmented_radix_sort_config_selectorIslEEZNS1_25segmented_radix_sort_implIS3_Lb0EPKsPsPKlPlN2at6native12_GLOBAL__N_18offset_tEEE10hipError_tPvRmT1_PNSt15iterator_traitsISK_E10value_typeET2_T3_PNSL_ISQ_E10value_typeET4_jRbjT5_SW_jjP12ihipStream_tbEUlT_E_NS1_11comp_targetILNS1_3genE10ELNS1_11target_archE1200ELNS1_3gpuE4ELNS1_3repE0EEENS1_30default_config_static_selectorELNS0_4arch9wavefront6targetE0EEEvSK_,comdat
	.globl	_ZN7rocprim17ROCPRIM_400000_NS6detail17trampoline_kernelINS0_14default_configENS1_36segmented_radix_sort_config_selectorIslEEZNS1_25segmented_radix_sort_implIS3_Lb0EPKsPsPKlPlN2at6native12_GLOBAL__N_18offset_tEEE10hipError_tPvRmT1_PNSt15iterator_traitsISK_E10value_typeET2_T3_PNSL_ISQ_E10value_typeET4_jRbjT5_SW_jjP12ihipStream_tbEUlT_E_NS1_11comp_targetILNS1_3genE10ELNS1_11target_archE1200ELNS1_3gpuE4ELNS1_3repE0EEENS1_30default_config_static_selectorELNS0_4arch9wavefront6targetE0EEEvSK_ ; -- Begin function _ZN7rocprim17ROCPRIM_400000_NS6detail17trampoline_kernelINS0_14default_configENS1_36segmented_radix_sort_config_selectorIslEEZNS1_25segmented_radix_sort_implIS3_Lb0EPKsPsPKlPlN2at6native12_GLOBAL__N_18offset_tEEE10hipError_tPvRmT1_PNSt15iterator_traitsISK_E10value_typeET2_T3_PNSL_ISQ_E10value_typeET4_jRbjT5_SW_jjP12ihipStream_tbEUlT_E_NS1_11comp_targetILNS1_3genE10ELNS1_11target_archE1200ELNS1_3gpuE4ELNS1_3repE0EEENS1_30default_config_static_selectorELNS0_4arch9wavefront6targetE0EEEvSK_
	.p2align	8
	.type	_ZN7rocprim17ROCPRIM_400000_NS6detail17trampoline_kernelINS0_14default_configENS1_36segmented_radix_sort_config_selectorIslEEZNS1_25segmented_radix_sort_implIS3_Lb0EPKsPsPKlPlN2at6native12_GLOBAL__N_18offset_tEEE10hipError_tPvRmT1_PNSt15iterator_traitsISK_E10value_typeET2_T3_PNSL_ISQ_E10value_typeET4_jRbjT5_SW_jjP12ihipStream_tbEUlT_E_NS1_11comp_targetILNS1_3genE10ELNS1_11target_archE1200ELNS1_3gpuE4ELNS1_3repE0EEENS1_30default_config_static_selectorELNS0_4arch9wavefront6targetE0EEEvSK_,@function
_ZN7rocprim17ROCPRIM_400000_NS6detail17trampoline_kernelINS0_14default_configENS1_36segmented_radix_sort_config_selectorIslEEZNS1_25segmented_radix_sort_implIS3_Lb0EPKsPsPKlPlN2at6native12_GLOBAL__N_18offset_tEEE10hipError_tPvRmT1_PNSt15iterator_traitsISK_E10value_typeET2_T3_PNSL_ISQ_E10value_typeET4_jRbjT5_SW_jjP12ihipStream_tbEUlT_E_NS1_11comp_targetILNS1_3genE10ELNS1_11target_archE1200ELNS1_3gpuE4ELNS1_3repE0EEENS1_30default_config_static_selectorELNS0_4arch9wavefront6targetE0EEEvSK_: ; @_ZN7rocprim17ROCPRIM_400000_NS6detail17trampoline_kernelINS0_14default_configENS1_36segmented_radix_sort_config_selectorIslEEZNS1_25segmented_radix_sort_implIS3_Lb0EPKsPsPKlPlN2at6native12_GLOBAL__N_18offset_tEEE10hipError_tPvRmT1_PNSt15iterator_traitsISK_E10value_typeET2_T3_PNSL_ISQ_E10value_typeET4_jRbjT5_SW_jjP12ihipStream_tbEUlT_E_NS1_11comp_targetILNS1_3genE10ELNS1_11target_archE1200ELNS1_3gpuE4ELNS1_3repE0EEENS1_30default_config_static_selectorELNS0_4arch9wavefront6targetE0EEEvSK_
; %bb.0:
	.section	.rodata,"a",@progbits
	.p2align	6, 0x0
	.amdhsa_kernel _ZN7rocprim17ROCPRIM_400000_NS6detail17trampoline_kernelINS0_14default_configENS1_36segmented_radix_sort_config_selectorIslEEZNS1_25segmented_radix_sort_implIS3_Lb0EPKsPsPKlPlN2at6native12_GLOBAL__N_18offset_tEEE10hipError_tPvRmT1_PNSt15iterator_traitsISK_E10value_typeET2_T3_PNSL_ISQ_E10value_typeET4_jRbjT5_SW_jjP12ihipStream_tbEUlT_E_NS1_11comp_targetILNS1_3genE10ELNS1_11target_archE1200ELNS1_3gpuE4ELNS1_3repE0EEENS1_30default_config_static_selectorELNS0_4arch9wavefront6targetE0EEEvSK_
		.amdhsa_group_segment_fixed_size 0
		.amdhsa_private_segment_fixed_size 0
		.amdhsa_kernarg_size 96
		.amdhsa_user_sgpr_count 6
		.amdhsa_user_sgpr_private_segment_buffer 1
		.amdhsa_user_sgpr_dispatch_ptr 0
		.amdhsa_user_sgpr_queue_ptr 0
		.amdhsa_user_sgpr_kernarg_segment_ptr 1
		.amdhsa_user_sgpr_dispatch_id 0
		.amdhsa_user_sgpr_flat_scratch_init 0
		.amdhsa_user_sgpr_private_segment_size 0
		.amdhsa_wavefront_size32 1
		.amdhsa_uses_dynamic_stack 0
		.amdhsa_system_sgpr_private_segment_wavefront_offset 0
		.amdhsa_system_sgpr_workgroup_id_x 1
		.amdhsa_system_sgpr_workgroup_id_y 0
		.amdhsa_system_sgpr_workgroup_id_z 0
		.amdhsa_system_sgpr_workgroup_info 0
		.amdhsa_system_vgpr_workitem_id 0
		.amdhsa_next_free_vgpr 1
		.amdhsa_next_free_sgpr 1
		.amdhsa_reserve_vcc 0
		.amdhsa_reserve_flat_scratch 0
		.amdhsa_float_round_mode_32 0
		.amdhsa_float_round_mode_16_64 0
		.amdhsa_float_denorm_mode_32 3
		.amdhsa_float_denorm_mode_16_64 3
		.amdhsa_dx10_clamp 1
		.amdhsa_ieee_mode 1
		.amdhsa_fp16_overflow 0
		.amdhsa_workgroup_processor_mode 1
		.amdhsa_memory_ordered 1
		.amdhsa_forward_progress 1
		.amdhsa_shared_vgpr_count 0
		.amdhsa_exception_fp_ieee_invalid_op 0
		.amdhsa_exception_fp_denorm_src 0
		.amdhsa_exception_fp_ieee_div_zero 0
		.amdhsa_exception_fp_ieee_overflow 0
		.amdhsa_exception_fp_ieee_underflow 0
		.amdhsa_exception_fp_ieee_inexact 0
		.amdhsa_exception_int_div_zero 0
	.end_amdhsa_kernel
	.section	.text._ZN7rocprim17ROCPRIM_400000_NS6detail17trampoline_kernelINS0_14default_configENS1_36segmented_radix_sort_config_selectorIslEEZNS1_25segmented_radix_sort_implIS3_Lb0EPKsPsPKlPlN2at6native12_GLOBAL__N_18offset_tEEE10hipError_tPvRmT1_PNSt15iterator_traitsISK_E10value_typeET2_T3_PNSL_ISQ_E10value_typeET4_jRbjT5_SW_jjP12ihipStream_tbEUlT_E_NS1_11comp_targetILNS1_3genE10ELNS1_11target_archE1200ELNS1_3gpuE4ELNS1_3repE0EEENS1_30default_config_static_selectorELNS0_4arch9wavefront6targetE0EEEvSK_,"axG",@progbits,_ZN7rocprim17ROCPRIM_400000_NS6detail17trampoline_kernelINS0_14default_configENS1_36segmented_radix_sort_config_selectorIslEEZNS1_25segmented_radix_sort_implIS3_Lb0EPKsPsPKlPlN2at6native12_GLOBAL__N_18offset_tEEE10hipError_tPvRmT1_PNSt15iterator_traitsISK_E10value_typeET2_T3_PNSL_ISQ_E10value_typeET4_jRbjT5_SW_jjP12ihipStream_tbEUlT_E_NS1_11comp_targetILNS1_3genE10ELNS1_11target_archE1200ELNS1_3gpuE4ELNS1_3repE0EEENS1_30default_config_static_selectorELNS0_4arch9wavefront6targetE0EEEvSK_,comdat
.Lfunc_end1013:
	.size	_ZN7rocprim17ROCPRIM_400000_NS6detail17trampoline_kernelINS0_14default_configENS1_36segmented_radix_sort_config_selectorIslEEZNS1_25segmented_radix_sort_implIS3_Lb0EPKsPsPKlPlN2at6native12_GLOBAL__N_18offset_tEEE10hipError_tPvRmT1_PNSt15iterator_traitsISK_E10value_typeET2_T3_PNSL_ISQ_E10value_typeET4_jRbjT5_SW_jjP12ihipStream_tbEUlT_E_NS1_11comp_targetILNS1_3genE10ELNS1_11target_archE1200ELNS1_3gpuE4ELNS1_3repE0EEENS1_30default_config_static_selectorELNS0_4arch9wavefront6targetE0EEEvSK_, .Lfunc_end1013-_ZN7rocprim17ROCPRIM_400000_NS6detail17trampoline_kernelINS0_14default_configENS1_36segmented_radix_sort_config_selectorIslEEZNS1_25segmented_radix_sort_implIS3_Lb0EPKsPsPKlPlN2at6native12_GLOBAL__N_18offset_tEEE10hipError_tPvRmT1_PNSt15iterator_traitsISK_E10value_typeET2_T3_PNSL_ISQ_E10value_typeET4_jRbjT5_SW_jjP12ihipStream_tbEUlT_E_NS1_11comp_targetILNS1_3genE10ELNS1_11target_archE1200ELNS1_3gpuE4ELNS1_3repE0EEENS1_30default_config_static_selectorELNS0_4arch9wavefront6targetE0EEEvSK_
                                        ; -- End function
	.set _ZN7rocprim17ROCPRIM_400000_NS6detail17trampoline_kernelINS0_14default_configENS1_36segmented_radix_sort_config_selectorIslEEZNS1_25segmented_radix_sort_implIS3_Lb0EPKsPsPKlPlN2at6native12_GLOBAL__N_18offset_tEEE10hipError_tPvRmT1_PNSt15iterator_traitsISK_E10value_typeET2_T3_PNSL_ISQ_E10value_typeET4_jRbjT5_SW_jjP12ihipStream_tbEUlT_E_NS1_11comp_targetILNS1_3genE10ELNS1_11target_archE1200ELNS1_3gpuE4ELNS1_3repE0EEENS1_30default_config_static_selectorELNS0_4arch9wavefront6targetE0EEEvSK_.num_vgpr, 0
	.set _ZN7rocprim17ROCPRIM_400000_NS6detail17trampoline_kernelINS0_14default_configENS1_36segmented_radix_sort_config_selectorIslEEZNS1_25segmented_radix_sort_implIS3_Lb0EPKsPsPKlPlN2at6native12_GLOBAL__N_18offset_tEEE10hipError_tPvRmT1_PNSt15iterator_traitsISK_E10value_typeET2_T3_PNSL_ISQ_E10value_typeET4_jRbjT5_SW_jjP12ihipStream_tbEUlT_E_NS1_11comp_targetILNS1_3genE10ELNS1_11target_archE1200ELNS1_3gpuE4ELNS1_3repE0EEENS1_30default_config_static_selectorELNS0_4arch9wavefront6targetE0EEEvSK_.num_agpr, 0
	.set _ZN7rocprim17ROCPRIM_400000_NS6detail17trampoline_kernelINS0_14default_configENS1_36segmented_radix_sort_config_selectorIslEEZNS1_25segmented_radix_sort_implIS3_Lb0EPKsPsPKlPlN2at6native12_GLOBAL__N_18offset_tEEE10hipError_tPvRmT1_PNSt15iterator_traitsISK_E10value_typeET2_T3_PNSL_ISQ_E10value_typeET4_jRbjT5_SW_jjP12ihipStream_tbEUlT_E_NS1_11comp_targetILNS1_3genE10ELNS1_11target_archE1200ELNS1_3gpuE4ELNS1_3repE0EEENS1_30default_config_static_selectorELNS0_4arch9wavefront6targetE0EEEvSK_.numbered_sgpr, 0
	.set _ZN7rocprim17ROCPRIM_400000_NS6detail17trampoline_kernelINS0_14default_configENS1_36segmented_radix_sort_config_selectorIslEEZNS1_25segmented_radix_sort_implIS3_Lb0EPKsPsPKlPlN2at6native12_GLOBAL__N_18offset_tEEE10hipError_tPvRmT1_PNSt15iterator_traitsISK_E10value_typeET2_T3_PNSL_ISQ_E10value_typeET4_jRbjT5_SW_jjP12ihipStream_tbEUlT_E_NS1_11comp_targetILNS1_3genE10ELNS1_11target_archE1200ELNS1_3gpuE4ELNS1_3repE0EEENS1_30default_config_static_selectorELNS0_4arch9wavefront6targetE0EEEvSK_.num_named_barrier, 0
	.set _ZN7rocprim17ROCPRIM_400000_NS6detail17trampoline_kernelINS0_14default_configENS1_36segmented_radix_sort_config_selectorIslEEZNS1_25segmented_radix_sort_implIS3_Lb0EPKsPsPKlPlN2at6native12_GLOBAL__N_18offset_tEEE10hipError_tPvRmT1_PNSt15iterator_traitsISK_E10value_typeET2_T3_PNSL_ISQ_E10value_typeET4_jRbjT5_SW_jjP12ihipStream_tbEUlT_E_NS1_11comp_targetILNS1_3genE10ELNS1_11target_archE1200ELNS1_3gpuE4ELNS1_3repE0EEENS1_30default_config_static_selectorELNS0_4arch9wavefront6targetE0EEEvSK_.private_seg_size, 0
	.set _ZN7rocprim17ROCPRIM_400000_NS6detail17trampoline_kernelINS0_14default_configENS1_36segmented_radix_sort_config_selectorIslEEZNS1_25segmented_radix_sort_implIS3_Lb0EPKsPsPKlPlN2at6native12_GLOBAL__N_18offset_tEEE10hipError_tPvRmT1_PNSt15iterator_traitsISK_E10value_typeET2_T3_PNSL_ISQ_E10value_typeET4_jRbjT5_SW_jjP12ihipStream_tbEUlT_E_NS1_11comp_targetILNS1_3genE10ELNS1_11target_archE1200ELNS1_3gpuE4ELNS1_3repE0EEENS1_30default_config_static_selectorELNS0_4arch9wavefront6targetE0EEEvSK_.uses_vcc, 0
	.set _ZN7rocprim17ROCPRIM_400000_NS6detail17trampoline_kernelINS0_14default_configENS1_36segmented_radix_sort_config_selectorIslEEZNS1_25segmented_radix_sort_implIS3_Lb0EPKsPsPKlPlN2at6native12_GLOBAL__N_18offset_tEEE10hipError_tPvRmT1_PNSt15iterator_traitsISK_E10value_typeET2_T3_PNSL_ISQ_E10value_typeET4_jRbjT5_SW_jjP12ihipStream_tbEUlT_E_NS1_11comp_targetILNS1_3genE10ELNS1_11target_archE1200ELNS1_3gpuE4ELNS1_3repE0EEENS1_30default_config_static_selectorELNS0_4arch9wavefront6targetE0EEEvSK_.uses_flat_scratch, 0
	.set _ZN7rocprim17ROCPRIM_400000_NS6detail17trampoline_kernelINS0_14default_configENS1_36segmented_radix_sort_config_selectorIslEEZNS1_25segmented_radix_sort_implIS3_Lb0EPKsPsPKlPlN2at6native12_GLOBAL__N_18offset_tEEE10hipError_tPvRmT1_PNSt15iterator_traitsISK_E10value_typeET2_T3_PNSL_ISQ_E10value_typeET4_jRbjT5_SW_jjP12ihipStream_tbEUlT_E_NS1_11comp_targetILNS1_3genE10ELNS1_11target_archE1200ELNS1_3gpuE4ELNS1_3repE0EEENS1_30default_config_static_selectorELNS0_4arch9wavefront6targetE0EEEvSK_.has_dyn_sized_stack, 0
	.set _ZN7rocprim17ROCPRIM_400000_NS6detail17trampoline_kernelINS0_14default_configENS1_36segmented_radix_sort_config_selectorIslEEZNS1_25segmented_radix_sort_implIS3_Lb0EPKsPsPKlPlN2at6native12_GLOBAL__N_18offset_tEEE10hipError_tPvRmT1_PNSt15iterator_traitsISK_E10value_typeET2_T3_PNSL_ISQ_E10value_typeET4_jRbjT5_SW_jjP12ihipStream_tbEUlT_E_NS1_11comp_targetILNS1_3genE10ELNS1_11target_archE1200ELNS1_3gpuE4ELNS1_3repE0EEENS1_30default_config_static_selectorELNS0_4arch9wavefront6targetE0EEEvSK_.has_recursion, 0
	.set _ZN7rocprim17ROCPRIM_400000_NS6detail17trampoline_kernelINS0_14default_configENS1_36segmented_radix_sort_config_selectorIslEEZNS1_25segmented_radix_sort_implIS3_Lb0EPKsPsPKlPlN2at6native12_GLOBAL__N_18offset_tEEE10hipError_tPvRmT1_PNSt15iterator_traitsISK_E10value_typeET2_T3_PNSL_ISQ_E10value_typeET4_jRbjT5_SW_jjP12ihipStream_tbEUlT_E_NS1_11comp_targetILNS1_3genE10ELNS1_11target_archE1200ELNS1_3gpuE4ELNS1_3repE0EEENS1_30default_config_static_selectorELNS0_4arch9wavefront6targetE0EEEvSK_.has_indirect_call, 0
	.section	.AMDGPU.csdata,"",@progbits
; Kernel info:
; codeLenInByte = 0
; TotalNumSgprs: 0
; NumVgprs: 0
; ScratchSize: 0
; MemoryBound: 0
; FloatMode: 240
; IeeeMode: 1
; LDSByteSize: 0 bytes/workgroup (compile time only)
; SGPRBlocks: 0
; VGPRBlocks: 0
; NumSGPRsForWavesPerEU: 1
; NumVGPRsForWavesPerEU: 1
; Occupancy: 16
; WaveLimiterHint : 0
; COMPUTE_PGM_RSRC2:SCRATCH_EN: 0
; COMPUTE_PGM_RSRC2:USER_SGPR: 6
; COMPUTE_PGM_RSRC2:TRAP_HANDLER: 0
; COMPUTE_PGM_RSRC2:TGID_X_EN: 1
; COMPUTE_PGM_RSRC2:TGID_Y_EN: 0
; COMPUTE_PGM_RSRC2:TGID_Z_EN: 0
; COMPUTE_PGM_RSRC2:TIDIG_COMP_CNT: 0
	.section	.text._ZN7rocprim17ROCPRIM_400000_NS6detail17trampoline_kernelINS0_14default_configENS1_36segmented_radix_sort_config_selectorIslEEZNS1_25segmented_radix_sort_implIS3_Lb0EPKsPsPKlPlN2at6native12_GLOBAL__N_18offset_tEEE10hipError_tPvRmT1_PNSt15iterator_traitsISK_E10value_typeET2_T3_PNSL_ISQ_E10value_typeET4_jRbjT5_SW_jjP12ihipStream_tbEUlT_E_NS1_11comp_targetILNS1_3genE9ELNS1_11target_archE1100ELNS1_3gpuE3ELNS1_3repE0EEENS1_30default_config_static_selectorELNS0_4arch9wavefront6targetE0EEEvSK_,"axG",@progbits,_ZN7rocprim17ROCPRIM_400000_NS6detail17trampoline_kernelINS0_14default_configENS1_36segmented_radix_sort_config_selectorIslEEZNS1_25segmented_radix_sort_implIS3_Lb0EPKsPsPKlPlN2at6native12_GLOBAL__N_18offset_tEEE10hipError_tPvRmT1_PNSt15iterator_traitsISK_E10value_typeET2_T3_PNSL_ISQ_E10value_typeET4_jRbjT5_SW_jjP12ihipStream_tbEUlT_E_NS1_11comp_targetILNS1_3genE9ELNS1_11target_archE1100ELNS1_3gpuE3ELNS1_3repE0EEENS1_30default_config_static_selectorELNS0_4arch9wavefront6targetE0EEEvSK_,comdat
	.globl	_ZN7rocprim17ROCPRIM_400000_NS6detail17trampoline_kernelINS0_14default_configENS1_36segmented_radix_sort_config_selectorIslEEZNS1_25segmented_radix_sort_implIS3_Lb0EPKsPsPKlPlN2at6native12_GLOBAL__N_18offset_tEEE10hipError_tPvRmT1_PNSt15iterator_traitsISK_E10value_typeET2_T3_PNSL_ISQ_E10value_typeET4_jRbjT5_SW_jjP12ihipStream_tbEUlT_E_NS1_11comp_targetILNS1_3genE9ELNS1_11target_archE1100ELNS1_3gpuE3ELNS1_3repE0EEENS1_30default_config_static_selectorELNS0_4arch9wavefront6targetE0EEEvSK_ ; -- Begin function _ZN7rocprim17ROCPRIM_400000_NS6detail17trampoline_kernelINS0_14default_configENS1_36segmented_radix_sort_config_selectorIslEEZNS1_25segmented_radix_sort_implIS3_Lb0EPKsPsPKlPlN2at6native12_GLOBAL__N_18offset_tEEE10hipError_tPvRmT1_PNSt15iterator_traitsISK_E10value_typeET2_T3_PNSL_ISQ_E10value_typeET4_jRbjT5_SW_jjP12ihipStream_tbEUlT_E_NS1_11comp_targetILNS1_3genE9ELNS1_11target_archE1100ELNS1_3gpuE3ELNS1_3repE0EEENS1_30default_config_static_selectorELNS0_4arch9wavefront6targetE0EEEvSK_
	.p2align	8
	.type	_ZN7rocprim17ROCPRIM_400000_NS6detail17trampoline_kernelINS0_14default_configENS1_36segmented_radix_sort_config_selectorIslEEZNS1_25segmented_radix_sort_implIS3_Lb0EPKsPsPKlPlN2at6native12_GLOBAL__N_18offset_tEEE10hipError_tPvRmT1_PNSt15iterator_traitsISK_E10value_typeET2_T3_PNSL_ISQ_E10value_typeET4_jRbjT5_SW_jjP12ihipStream_tbEUlT_E_NS1_11comp_targetILNS1_3genE9ELNS1_11target_archE1100ELNS1_3gpuE3ELNS1_3repE0EEENS1_30default_config_static_selectorELNS0_4arch9wavefront6targetE0EEEvSK_,@function
_ZN7rocprim17ROCPRIM_400000_NS6detail17trampoline_kernelINS0_14default_configENS1_36segmented_radix_sort_config_selectorIslEEZNS1_25segmented_radix_sort_implIS3_Lb0EPKsPsPKlPlN2at6native12_GLOBAL__N_18offset_tEEE10hipError_tPvRmT1_PNSt15iterator_traitsISK_E10value_typeET2_T3_PNSL_ISQ_E10value_typeET4_jRbjT5_SW_jjP12ihipStream_tbEUlT_E_NS1_11comp_targetILNS1_3genE9ELNS1_11target_archE1100ELNS1_3gpuE3ELNS1_3repE0EEENS1_30default_config_static_selectorELNS0_4arch9wavefront6targetE0EEEvSK_: ; @_ZN7rocprim17ROCPRIM_400000_NS6detail17trampoline_kernelINS0_14default_configENS1_36segmented_radix_sort_config_selectorIslEEZNS1_25segmented_radix_sort_implIS3_Lb0EPKsPsPKlPlN2at6native12_GLOBAL__N_18offset_tEEE10hipError_tPvRmT1_PNSt15iterator_traitsISK_E10value_typeET2_T3_PNSL_ISQ_E10value_typeET4_jRbjT5_SW_jjP12ihipStream_tbEUlT_E_NS1_11comp_targetILNS1_3genE9ELNS1_11target_archE1100ELNS1_3gpuE3ELNS1_3repE0EEENS1_30default_config_static_selectorELNS0_4arch9wavefront6targetE0EEEvSK_
; %bb.0:
	.section	.rodata,"a",@progbits
	.p2align	6, 0x0
	.amdhsa_kernel _ZN7rocprim17ROCPRIM_400000_NS6detail17trampoline_kernelINS0_14default_configENS1_36segmented_radix_sort_config_selectorIslEEZNS1_25segmented_radix_sort_implIS3_Lb0EPKsPsPKlPlN2at6native12_GLOBAL__N_18offset_tEEE10hipError_tPvRmT1_PNSt15iterator_traitsISK_E10value_typeET2_T3_PNSL_ISQ_E10value_typeET4_jRbjT5_SW_jjP12ihipStream_tbEUlT_E_NS1_11comp_targetILNS1_3genE9ELNS1_11target_archE1100ELNS1_3gpuE3ELNS1_3repE0EEENS1_30default_config_static_selectorELNS0_4arch9wavefront6targetE0EEEvSK_
		.amdhsa_group_segment_fixed_size 0
		.amdhsa_private_segment_fixed_size 0
		.amdhsa_kernarg_size 96
		.amdhsa_user_sgpr_count 6
		.amdhsa_user_sgpr_private_segment_buffer 1
		.amdhsa_user_sgpr_dispatch_ptr 0
		.amdhsa_user_sgpr_queue_ptr 0
		.amdhsa_user_sgpr_kernarg_segment_ptr 1
		.amdhsa_user_sgpr_dispatch_id 0
		.amdhsa_user_sgpr_flat_scratch_init 0
		.amdhsa_user_sgpr_private_segment_size 0
		.amdhsa_wavefront_size32 1
		.amdhsa_uses_dynamic_stack 0
		.amdhsa_system_sgpr_private_segment_wavefront_offset 0
		.amdhsa_system_sgpr_workgroup_id_x 1
		.amdhsa_system_sgpr_workgroup_id_y 0
		.amdhsa_system_sgpr_workgroup_id_z 0
		.amdhsa_system_sgpr_workgroup_info 0
		.amdhsa_system_vgpr_workitem_id 0
		.amdhsa_next_free_vgpr 1
		.amdhsa_next_free_sgpr 1
		.amdhsa_reserve_vcc 0
		.amdhsa_reserve_flat_scratch 0
		.amdhsa_float_round_mode_32 0
		.amdhsa_float_round_mode_16_64 0
		.amdhsa_float_denorm_mode_32 3
		.amdhsa_float_denorm_mode_16_64 3
		.amdhsa_dx10_clamp 1
		.amdhsa_ieee_mode 1
		.amdhsa_fp16_overflow 0
		.amdhsa_workgroup_processor_mode 1
		.amdhsa_memory_ordered 1
		.amdhsa_forward_progress 1
		.amdhsa_shared_vgpr_count 0
		.amdhsa_exception_fp_ieee_invalid_op 0
		.amdhsa_exception_fp_denorm_src 0
		.amdhsa_exception_fp_ieee_div_zero 0
		.amdhsa_exception_fp_ieee_overflow 0
		.amdhsa_exception_fp_ieee_underflow 0
		.amdhsa_exception_fp_ieee_inexact 0
		.amdhsa_exception_int_div_zero 0
	.end_amdhsa_kernel
	.section	.text._ZN7rocprim17ROCPRIM_400000_NS6detail17trampoline_kernelINS0_14default_configENS1_36segmented_radix_sort_config_selectorIslEEZNS1_25segmented_radix_sort_implIS3_Lb0EPKsPsPKlPlN2at6native12_GLOBAL__N_18offset_tEEE10hipError_tPvRmT1_PNSt15iterator_traitsISK_E10value_typeET2_T3_PNSL_ISQ_E10value_typeET4_jRbjT5_SW_jjP12ihipStream_tbEUlT_E_NS1_11comp_targetILNS1_3genE9ELNS1_11target_archE1100ELNS1_3gpuE3ELNS1_3repE0EEENS1_30default_config_static_selectorELNS0_4arch9wavefront6targetE0EEEvSK_,"axG",@progbits,_ZN7rocprim17ROCPRIM_400000_NS6detail17trampoline_kernelINS0_14default_configENS1_36segmented_radix_sort_config_selectorIslEEZNS1_25segmented_radix_sort_implIS3_Lb0EPKsPsPKlPlN2at6native12_GLOBAL__N_18offset_tEEE10hipError_tPvRmT1_PNSt15iterator_traitsISK_E10value_typeET2_T3_PNSL_ISQ_E10value_typeET4_jRbjT5_SW_jjP12ihipStream_tbEUlT_E_NS1_11comp_targetILNS1_3genE9ELNS1_11target_archE1100ELNS1_3gpuE3ELNS1_3repE0EEENS1_30default_config_static_selectorELNS0_4arch9wavefront6targetE0EEEvSK_,comdat
.Lfunc_end1014:
	.size	_ZN7rocprim17ROCPRIM_400000_NS6detail17trampoline_kernelINS0_14default_configENS1_36segmented_radix_sort_config_selectorIslEEZNS1_25segmented_radix_sort_implIS3_Lb0EPKsPsPKlPlN2at6native12_GLOBAL__N_18offset_tEEE10hipError_tPvRmT1_PNSt15iterator_traitsISK_E10value_typeET2_T3_PNSL_ISQ_E10value_typeET4_jRbjT5_SW_jjP12ihipStream_tbEUlT_E_NS1_11comp_targetILNS1_3genE9ELNS1_11target_archE1100ELNS1_3gpuE3ELNS1_3repE0EEENS1_30default_config_static_selectorELNS0_4arch9wavefront6targetE0EEEvSK_, .Lfunc_end1014-_ZN7rocprim17ROCPRIM_400000_NS6detail17trampoline_kernelINS0_14default_configENS1_36segmented_radix_sort_config_selectorIslEEZNS1_25segmented_radix_sort_implIS3_Lb0EPKsPsPKlPlN2at6native12_GLOBAL__N_18offset_tEEE10hipError_tPvRmT1_PNSt15iterator_traitsISK_E10value_typeET2_T3_PNSL_ISQ_E10value_typeET4_jRbjT5_SW_jjP12ihipStream_tbEUlT_E_NS1_11comp_targetILNS1_3genE9ELNS1_11target_archE1100ELNS1_3gpuE3ELNS1_3repE0EEENS1_30default_config_static_selectorELNS0_4arch9wavefront6targetE0EEEvSK_
                                        ; -- End function
	.set _ZN7rocprim17ROCPRIM_400000_NS6detail17trampoline_kernelINS0_14default_configENS1_36segmented_radix_sort_config_selectorIslEEZNS1_25segmented_radix_sort_implIS3_Lb0EPKsPsPKlPlN2at6native12_GLOBAL__N_18offset_tEEE10hipError_tPvRmT1_PNSt15iterator_traitsISK_E10value_typeET2_T3_PNSL_ISQ_E10value_typeET4_jRbjT5_SW_jjP12ihipStream_tbEUlT_E_NS1_11comp_targetILNS1_3genE9ELNS1_11target_archE1100ELNS1_3gpuE3ELNS1_3repE0EEENS1_30default_config_static_selectorELNS0_4arch9wavefront6targetE0EEEvSK_.num_vgpr, 0
	.set _ZN7rocprim17ROCPRIM_400000_NS6detail17trampoline_kernelINS0_14default_configENS1_36segmented_radix_sort_config_selectorIslEEZNS1_25segmented_radix_sort_implIS3_Lb0EPKsPsPKlPlN2at6native12_GLOBAL__N_18offset_tEEE10hipError_tPvRmT1_PNSt15iterator_traitsISK_E10value_typeET2_T3_PNSL_ISQ_E10value_typeET4_jRbjT5_SW_jjP12ihipStream_tbEUlT_E_NS1_11comp_targetILNS1_3genE9ELNS1_11target_archE1100ELNS1_3gpuE3ELNS1_3repE0EEENS1_30default_config_static_selectorELNS0_4arch9wavefront6targetE0EEEvSK_.num_agpr, 0
	.set _ZN7rocprim17ROCPRIM_400000_NS6detail17trampoline_kernelINS0_14default_configENS1_36segmented_radix_sort_config_selectorIslEEZNS1_25segmented_radix_sort_implIS3_Lb0EPKsPsPKlPlN2at6native12_GLOBAL__N_18offset_tEEE10hipError_tPvRmT1_PNSt15iterator_traitsISK_E10value_typeET2_T3_PNSL_ISQ_E10value_typeET4_jRbjT5_SW_jjP12ihipStream_tbEUlT_E_NS1_11comp_targetILNS1_3genE9ELNS1_11target_archE1100ELNS1_3gpuE3ELNS1_3repE0EEENS1_30default_config_static_selectorELNS0_4arch9wavefront6targetE0EEEvSK_.numbered_sgpr, 0
	.set _ZN7rocprim17ROCPRIM_400000_NS6detail17trampoline_kernelINS0_14default_configENS1_36segmented_radix_sort_config_selectorIslEEZNS1_25segmented_radix_sort_implIS3_Lb0EPKsPsPKlPlN2at6native12_GLOBAL__N_18offset_tEEE10hipError_tPvRmT1_PNSt15iterator_traitsISK_E10value_typeET2_T3_PNSL_ISQ_E10value_typeET4_jRbjT5_SW_jjP12ihipStream_tbEUlT_E_NS1_11comp_targetILNS1_3genE9ELNS1_11target_archE1100ELNS1_3gpuE3ELNS1_3repE0EEENS1_30default_config_static_selectorELNS0_4arch9wavefront6targetE0EEEvSK_.num_named_barrier, 0
	.set _ZN7rocprim17ROCPRIM_400000_NS6detail17trampoline_kernelINS0_14default_configENS1_36segmented_radix_sort_config_selectorIslEEZNS1_25segmented_radix_sort_implIS3_Lb0EPKsPsPKlPlN2at6native12_GLOBAL__N_18offset_tEEE10hipError_tPvRmT1_PNSt15iterator_traitsISK_E10value_typeET2_T3_PNSL_ISQ_E10value_typeET4_jRbjT5_SW_jjP12ihipStream_tbEUlT_E_NS1_11comp_targetILNS1_3genE9ELNS1_11target_archE1100ELNS1_3gpuE3ELNS1_3repE0EEENS1_30default_config_static_selectorELNS0_4arch9wavefront6targetE0EEEvSK_.private_seg_size, 0
	.set _ZN7rocprim17ROCPRIM_400000_NS6detail17trampoline_kernelINS0_14default_configENS1_36segmented_radix_sort_config_selectorIslEEZNS1_25segmented_radix_sort_implIS3_Lb0EPKsPsPKlPlN2at6native12_GLOBAL__N_18offset_tEEE10hipError_tPvRmT1_PNSt15iterator_traitsISK_E10value_typeET2_T3_PNSL_ISQ_E10value_typeET4_jRbjT5_SW_jjP12ihipStream_tbEUlT_E_NS1_11comp_targetILNS1_3genE9ELNS1_11target_archE1100ELNS1_3gpuE3ELNS1_3repE0EEENS1_30default_config_static_selectorELNS0_4arch9wavefront6targetE0EEEvSK_.uses_vcc, 0
	.set _ZN7rocprim17ROCPRIM_400000_NS6detail17trampoline_kernelINS0_14default_configENS1_36segmented_radix_sort_config_selectorIslEEZNS1_25segmented_radix_sort_implIS3_Lb0EPKsPsPKlPlN2at6native12_GLOBAL__N_18offset_tEEE10hipError_tPvRmT1_PNSt15iterator_traitsISK_E10value_typeET2_T3_PNSL_ISQ_E10value_typeET4_jRbjT5_SW_jjP12ihipStream_tbEUlT_E_NS1_11comp_targetILNS1_3genE9ELNS1_11target_archE1100ELNS1_3gpuE3ELNS1_3repE0EEENS1_30default_config_static_selectorELNS0_4arch9wavefront6targetE0EEEvSK_.uses_flat_scratch, 0
	.set _ZN7rocprim17ROCPRIM_400000_NS6detail17trampoline_kernelINS0_14default_configENS1_36segmented_radix_sort_config_selectorIslEEZNS1_25segmented_radix_sort_implIS3_Lb0EPKsPsPKlPlN2at6native12_GLOBAL__N_18offset_tEEE10hipError_tPvRmT1_PNSt15iterator_traitsISK_E10value_typeET2_T3_PNSL_ISQ_E10value_typeET4_jRbjT5_SW_jjP12ihipStream_tbEUlT_E_NS1_11comp_targetILNS1_3genE9ELNS1_11target_archE1100ELNS1_3gpuE3ELNS1_3repE0EEENS1_30default_config_static_selectorELNS0_4arch9wavefront6targetE0EEEvSK_.has_dyn_sized_stack, 0
	.set _ZN7rocprim17ROCPRIM_400000_NS6detail17trampoline_kernelINS0_14default_configENS1_36segmented_radix_sort_config_selectorIslEEZNS1_25segmented_radix_sort_implIS3_Lb0EPKsPsPKlPlN2at6native12_GLOBAL__N_18offset_tEEE10hipError_tPvRmT1_PNSt15iterator_traitsISK_E10value_typeET2_T3_PNSL_ISQ_E10value_typeET4_jRbjT5_SW_jjP12ihipStream_tbEUlT_E_NS1_11comp_targetILNS1_3genE9ELNS1_11target_archE1100ELNS1_3gpuE3ELNS1_3repE0EEENS1_30default_config_static_selectorELNS0_4arch9wavefront6targetE0EEEvSK_.has_recursion, 0
	.set _ZN7rocprim17ROCPRIM_400000_NS6detail17trampoline_kernelINS0_14default_configENS1_36segmented_radix_sort_config_selectorIslEEZNS1_25segmented_radix_sort_implIS3_Lb0EPKsPsPKlPlN2at6native12_GLOBAL__N_18offset_tEEE10hipError_tPvRmT1_PNSt15iterator_traitsISK_E10value_typeET2_T3_PNSL_ISQ_E10value_typeET4_jRbjT5_SW_jjP12ihipStream_tbEUlT_E_NS1_11comp_targetILNS1_3genE9ELNS1_11target_archE1100ELNS1_3gpuE3ELNS1_3repE0EEENS1_30default_config_static_selectorELNS0_4arch9wavefront6targetE0EEEvSK_.has_indirect_call, 0
	.section	.AMDGPU.csdata,"",@progbits
; Kernel info:
; codeLenInByte = 0
; TotalNumSgprs: 0
; NumVgprs: 0
; ScratchSize: 0
; MemoryBound: 0
; FloatMode: 240
; IeeeMode: 1
; LDSByteSize: 0 bytes/workgroup (compile time only)
; SGPRBlocks: 0
; VGPRBlocks: 0
; NumSGPRsForWavesPerEU: 1
; NumVGPRsForWavesPerEU: 1
; Occupancy: 16
; WaveLimiterHint : 0
; COMPUTE_PGM_RSRC2:SCRATCH_EN: 0
; COMPUTE_PGM_RSRC2:USER_SGPR: 6
; COMPUTE_PGM_RSRC2:TRAP_HANDLER: 0
; COMPUTE_PGM_RSRC2:TGID_X_EN: 1
; COMPUTE_PGM_RSRC2:TGID_Y_EN: 0
; COMPUTE_PGM_RSRC2:TGID_Z_EN: 0
; COMPUTE_PGM_RSRC2:TIDIG_COMP_CNT: 0
	.text
	.p2align	2                               ; -- Begin function _ZN7rocprim17ROCPRIM_400000_NS6detail40segmented_radix_sort_single_block_helperIslLj256ELj17ELb0EE4sortIPKsPsPKlPlEEbT_T0_T1_T2_jjjjRNS3_12storage_typeE
	.type	_ZN7rocprim17ROCPRIM_400000_NS6detail40segmented_radix_sort_single_block_helperIslLj256ELj17ELb0EE4sortIPKsPsPKlPlEEbT_T0_T1_T2_jjjjRNS3_12storage_typeE,@function
_ZN7rocprim17ROCPRIM_400000_NS6detail40segmented_radix_sort_single_block_helperIslLj256ELj17ELb0EE4sortIPKsPsPKlPlEEbT_T0_T1_T2_jjjjRNS3_12storage_typeE: ; @_ZN7rocprim17ROCPRIM_400000_NS6detail40segmented_radix_sort_single_block_helperIslLj256ELj17ELb0EE4sortIPKsPsPKlPlEEbT_T0_T1_T2_jjjjRNS3_12storage_typeE
; %bb.0:
	s_waitcnt vmcnt(0) expcnt(0) lgkmcnt(0)
	buffer_store_dword v40, off, s[0:3], s32 offset:188 ; 4-byte Folded Spill
	buffer_store_dword v41, off, s[0:3], s32 offset:184 ; 4-byte Folded Spill
	;; [unrolled: 1-line block ×47, first 2 shown]
	buffer_store_dword v127, off, s[0:3], s32 ; 4-byte Folded Spill
	v_sub_nc_u32_e32 v183, v9, v8
	s_mov_b32 s25, exec_lo
	v_cmpx_gt_u32_e32 0x1101, v183
	s_cbranch_execz .LBB1015_382
; %bb.1:
	v_bfe_u32 v14, v31, 10, 10
	v_bfe_u32 v15, v31, 20, 10
	v_and_b32_e32 v18, 0x3ff, v31
	v_mbcnt_lo_u32_b32 v33, -1, 0
	s_mov_b32 s4, exec_lo
	v_cmpx_lt_u32_e32 0x800, v183
	s_xor_b32 s26, exec_lo, s4
	s_cbranch_execz .LBB1015_151
; %bb.2:
	s_load_dwordx2 s[4:5], s[8:9], 0x0
	v_mov_b32_e32 v9, 0
	v_mov_b32_e32 v99, -1
	v_mov_b32_e32 v101, -1
	v_lshlrev_b64 v[50:51], 1, v[8:9]
	s_waitcnt lgkmcnt(0)
	s_cmp_lt_u32 s13, s5
	s_cselect_b32 s5, 14, 20
	s_add_u32 s6, s8, s5
	s_addc_u32 s7, s9, 0
	s_cmp_lt_u32 s12, s4
	global_load_ushort v16, v9, s[6:7]
	s_cselect_b32 s4, 12, 18
	s_add_u32 s4, s8, s4
	s_addc_u32 s5, s9, 0
	global_load_ushort v17, v9, s[4:5]
	s_waitcnt vmcnt(1)
	v_mad_u32_u24 v14, v15, v16, v14
	v_mov_b32_e32 v15, v9
	s_waitcnt vmcnt(0)
	v_mad_u64_u32 v[48:49], null, v14, v17, v[18:19]
	v_lshlrev_b32_e32 v17, 1, v33
	v_add_co_u32 v19, vcc_lo, v0, v50
	v_add_co_ci_u32_e64 v20, null, v1, v51, vcc_lo
	v_add_co_u32 v17, vcc_lo, v19, v17
	v_and_b32_e32 v14, 0xffffffe0, v48
	v_add_co_ci_u32_e64 v19, null, 0, v20, vcc_lo
	v_lshl_add_u32 v14, v14, 4, v14
	v_lshlrev_b64 v[0:1], 1, v[14:15]
	v_or_b32_e32 v16, v14, v33
	v_cmp_lt_u32_e32 vcc_lo, v16, v183
	v_add_co_u32 v0, s4, v17, v0
	v_add_co_ci_u32_e64 v1, null, v19, v1, s4
	s_and_saveexec_b32 s4, vcc_lo
	s_cbranch_execz .LBB1015_4
; %bb.3:
	flat_load_ushort v17, v[0:1]
	s_waitcnt vmcnt(0) lgkmcnt(0)
	v_xor_b32_e32 v101, 0xffff8000, v17
.LBB1015_4:
	s_or_b32 exec_lo, exec_lo, s4
	v_add_nc_u32_e32 v17, 32, v16
	v_cmp_lt_u32_e64 s4, v17, v183
	s_and_saveexec_b32 s5, s4
	s_cbranch_execz .LBB1015_6
; %bb.5:
	flat_load_ushort v17, v[0:1] offset:64
	s_waitcnt vmcnt(0) lgkmcnt(0)
	v_xor_b32_e32 v99, 0xffff8000, v17
.LBB1015_6:
	s_or_b32 exec_lo, exec_lo, s5
	v_add_nc_u32_e32 v17, 64, v16
	v_mov_b32_e32 v117, -1
	v_mov_b32_e32 v103, -1
	v_cmp_lt_u32_e64 s5, v17, v183
	s_and_saveexec_b32 s6, s5
	s_cbranch_execz .LBB1015_8
; %bb.7:
	flat_load_ushort v17, v[0:1] offset:128
	s_waitcnt vmcnt(0) lgkmcnt(0)
	v_xor_b32_e32 v103, 0xffff8000, v17
.LBB1015_8:
	s_or_b32 exec_lo, exec_lo, s6
	v_add_nc_u32_e32 v17, 0x60, v16
	v_cmp_lt_u32_e64 s6, v17, v183
	s_and_saveexec_b32 s7, s6
	s_cbranch_execz .LBB1015_10
; %bb.9:
	flat_load_ushort v17, v[0:1] offset:192
	s_waitcnt vmcnt(0) lgkmcnt(0)
	v_xor_b32_e32 v117, 0xffff8000, v17
.LBB1015_10:
	s_or_b32 exec_lo, exec_lo, s7
	v_add_nc_u32_e32 v17, 0x80, v16
	v_mov_b32_e32 v119, -1
	v_mov_b32_e32 v145, -1
	v_cmp_lt_u32_e64 s7, v17, v183
	s_and_saveexec_b32 s10, s7
	s_cbranch_execz .LBB1015_12
; %bb.11:
	flat_load_ushort v17, v[0:1] offset:256
	s_waitcnt vmcnt(0) lgkmcnt(0)
	v_xor_b32_e32 v145, 0xffff8000, v17
.LBB1015_12:
	;; [unrolled: 22-line block ×7, first 2 shown]
	s_or_b32 exec_lo, exec_lo, s15
	v_add_nc_u32_e32 v17, 0x1e0, v16
	v_cmp_lt_u32_e64 s19, v17, v183
	s_and_saveexec_b32 s15, s19
	s_cbranch_execz .LBB1015_34
; %bb.33:
	flat_load_ushort v17, v[0:1] offset:960
	s_waitcnt vmcnt(0) lgkmcnt(0)
	v_xor_b32_e32 v125, 0xffff8000, v17
.LBB1015_34:
	s_or_b32 exec_lo, exec_lo, s15
	v_add_nc_u32_e32 v16, 0x200, v16
	v_mov_b32_e32 v127, -1
	v_cmp_lt_u32_e64 s15, v16, v183
	s_and_saveexec_b32 s24, s15
	s_cbranch_execz .LBB1015_36
; %bb.35:
	flat_load_ushort v0, v[0:1] offset:1024
	s_waitcnt vmcnt(0) lgkmcnt(0)
	v_xor_b32_e32 v127, 0xffff8000, v0
.LBB1015_36:
	s_or_b32 exec_lo, exec_lo, s24
	v_lshlrev_b64 v[0:1], 3, v[8:9]
	v_lshlrev_b32_e32 v8, 3, v33
                                        ; implicit-def: $vgpr82_vgpr83
	v_add_co_u32 v9, s24, v4, v0
	v_add_co_ci_u32_e64 v16, null, v5, v1, s24
	v_lshlrev_b64 v[4:5], 3, v[14:15]
	v_add_co_u32 v8, s24, v9, v8
	v_add_co_ci_u32_e64 v9, null, 0, v16, s24
	v_add_co_u32 v4, s24, v8, v4
	v_add_co_ci_u32_e64 v5, null, v9, v5, s24
	s_and_saveexec_b32 s24, vcc_lo
	s_cbranch_execnz .LBB1015_204
; %bb.37:
	s_or_b32 exec_lo, exec_lo, s24
                                        ; implicit-def: $vgpr86_vgpr87
	s_and_saveexec_b32 s24, s4
	s_cbranch_execnz .LBB1015_205
.LBB1015_38:
	s_or_b32 exec_lo, exec_lo, s24
                                        ; implicit-def: $vgpr80_vgpr81
	s_and_saveexec_b32 s4, s5
	s_cbranch_execnz .LBB1015_206
.LBB1015_39:
	s_or_b32 exec_lo, exec_lo, s4
                                        ; implicit-def: $vgpr84_vgpr85
	s_and_saveexec_b32 s4, s6
	s_cbranch_execnz .LBB1015_207
.LBB1015_40:
	s_or_b32 exec_lo, exec_lo, s4
                                        ; implicit-def: $vgpr96_vgpr97
	s_and_saveexec_b32 s4, s7
	s_cbranch_execnz .LBB1015_208
.LBB1015_41:
	s_or_b32 exec_lo, exec_lo, s4
                                        ; implicit-def: $vgpr114_vgpr115
	s_and_saveexec_b32 s4, s10
	s_cbranch_execnz .LBB1015_209
.LBB1015_42:
	s_or_b32 exec_lo, exec_lo, s4
                                        ; implicit-def: $vgpr112_vgpr113
	s_and_saveexec_b32 s4, s11
	s_cbranch_execnz .LBB1015_210
.LBB1015_43:
	s_or_b32 exec_lo, exec_lo, s4
                                        ; implicit-def: $vgpr129_vgpr130
	s_and_saveexec_b32 s4, s14
	s_cbranch_execnz .LBB1015_211
.LBB1015_44:
	s_or_b32 exec_lo, exec_lo, s4
                                        ; implicit-def: $vgpr131_vgpr132
	s_and_saveexec_b32 s4, s20
	s_cbranch_execnz .LBB1015_212
.LBB1015_45:
	s_or_b32 exec_lo, exec_lo, s4
                                        ; implicit-def: $vgpr134_vgpr135
	s_and_saveexec_b32 s4, s16
	s_cbranch_execnz .LBB1015_213
.LBB1015_46:
	s_or_b32 exec_lo, exec_lo, s4
                                        ; implicit-def: $vgpr177_vgpr178
	s_and_saveexec_b32 s4, s21
	s_cbranch_execnz .LBB1015_214
.LBB1015_47:
	s_or_b32 exec_lo, exec_lo, s4
                                        ; implicit-def: $vgpr179_vgpr180
	s_and_saveexec_b32 s4, s17
	s_cbranch_execnz .LBB1015_215
.LBB1015_48:
	s_or_b32 exec_lo, exec_lo, s4
                                        ; implicit-def: $vgpr181_vgpr182
	s_and_saveexec_b32 s4, s22
	s_cbranch_execnz .LBB1015_216
.LBB1015_49:
	s_or_b32 exec_lo, exec_lo, s4
                                        ; implicit-def: $vgpr192_vgpr193
	s_and_saveexec_b32 s4, s18
	s_cbranch_execnz .LBB1015_217
.LBB1015_50:
	s_or_b32 exec_lo, exec_lo, s4
                                        ; implicit-def: $vgpr194_vgpr195
	s_and_saveexec_b32 s4, s23
	s_cbranch_execnz .LBB1015_218
.LBB1015_51:
	s_or_b32 exec_lo, exec_lo, s4
                                        ; implicit-def: $vgpr210_vgpr211
	s_and_saveexec_b32 s4, s19
	s_cbranch_execnz .LBB1015_219
.LBB1015_52:
	s_or_b32 exec_lo, exec_lo, s4
                                        ; implicit-def: $vgpr230_vgpr231
	s_and_saveexec_b32 s4, s15
	s_cbranch_execz .LBB1015_54
.LBB1015_53:
	v_add_co_u32 v4, vcc_lo, 0x1000, v4
	v_add_co_ci_u32_e64 v5, null, 0, v5, vcc_lo
	flat_load_dwordx2 v[230:231], v[4:5]
.LBB1015_54:
	s_or_b32 exec_lo, exec_lo, s4
	v_lshl_add_u32 v4, v18, 5, v12
	v_and_b32_e32 v5, 0x3e0, v18
	v_and_b32_e32 v8, 15, v33
	v_sub_co_u32 v14, s6, v33, 1
	v_add_nc_u32_e32 v17, 32, v4
	v_add_nc_u32_e32 v49, 36, v4
	;; [unrolled: 1-line block ×8, first 2 shown]
	v_min_u32_e32 v4, 0xe0, v5
	v_mul_u32_u24_e32 v5, 17, v5
	s_getpc_b64 s[4:5]
	s_add_u32 s4, s4, _ZN7rocprim17ROCPRIM_400000_NS16block_radix_sortIsLj256ELj17ElLj1ELj1ELj8ELNS0_26block_radix_rank_algorithmE2ELNS0_18block_padding_hintE2ELNS0_4arch9wavefront6targetE0EE19radix_bits_per_passE@rel32@lo+4
	s_addc_u32 s5, s5, _ZN7rocprim17ROCPRIM_400000_NS16block_radix_sortIsLj256ELj17ElLj1ELj1ELj8ELNS0_26block_radix_rank_algorithmE2ELNS0_18block_padding_hintE2ELNS0_4arch9wavefront6targetE0EE19radix_bits_per_passE@rel32@hi+12
	v_cmp_eq_u32_e32 vcc_lo, 0, v8
	s_load_dword s22, s[4:5], 0x0
	v_cmp_lt_u32_e64 s4, 1, v8
	v_or_b32_e32 v5, v33, v5
	v_cmp_lt_u32_e64 s5, 3, v8
	v_cmp_lt_u32_e64 s7, 7, v8
	v_and_b32_e32 v9, 16, v33
	v_cmp_gt_i32_e64 s14, 0, v14
	v_lshlrev_b32_e32 v8, 1, v5
	v_or_b32_e32 v4, 31, v4
	v_and_b32_e32 v16, 7, v33
	v_cmp_eq_u32_e64 s10, 0, v9
	v_cndmask_b32_e64 v14, v14, v33, s14
	v_add_co_u32 v8, s16, v12, v8
	v_add_co_ci_u32_e64 v9, null, 0, v13, s16
	v_cmp_eq_u32_e64 s11, v18, v4
	v_lshrrev_b32_e32 v4, 3, v18
	v_lshlrev_b32_e32 v72, 2, v14
	v_mad_u64_u32 v[14:15], null, v5, 6, v[8:9]
	v_lshrrev_b32_e32 v63, 5, v48
	v_and_b32_e32 v4, 0x7c, v4
	v_cmp_gt_u32_e64 s14, 8, v18
	v_cmp_lt_u32_e64 s15, 31, v18
	v_cmp_eq_u32_e64 s16, 0, v18
	v_mov_b32_e32 v5, 0
	v_add_nc_u32_e32 v9, v12, v4
	v_lshl_add_u32 v73, v18, 2, v12
	v_cmp_eq_u32_e64 s17, 0, v16
	v_cmp_lt_u32_e64 s18, 1, v16
	v_cmp_lt_u32_e64 s19, 3, v16
	v_add_nc_u32_e32 v74, 0x900, v14
	v_add_nc_u32_e32 v75, 0xa00, v14
	;; [unrolled: 1-line block ×8, first 2 shown]
	v_sub_nc_u32_e32 v90, v11, v10
	s_mov_b32 s23, 0
	s_waitcnt vmcnt(0) lgkmcnt(0)
	s_waitcnt_vscnt null, 0x0
	s_barrier
	buffer_gl0_inv
	s_branch .LBB1015_56
.LBB1015_55:                            ;   in Loop: Header=BB1015_56 Depth=1
	s_or_b32 exec_lo, exec_lo, s21
	s_and_b32 s20, exec_lo, s24
	s_or_b32 s23, s20, s23
	s_andn2_b32 exec_lo, exec_lo, s23
	s_cbranch_execz .LBB1015_98
.LBB1015_56:                            ; =>This Inner Loop Header: Depth=1
	v_min_u32_e32 v4, s22, v90
	v_mov_b32_e32 v91, v101
	v_mov_b32_e32 v19, v82
	v_mov_b32_e32 v20, v83
	v_mov_b32_e32 v66, v80
	v_lshlrev_b32_e64 v4, v4, -1
	v_mov_b32_e32 v67, v81
	v_mov_b32_e32 v33, v84
	;; [unrolled: 1-line block ×4, first 2 shown]
	v_not_b32_e32 v83, v4
	v_lshrrev_b32_sdwa v4, v10, v91 dst_sel:DWORD dst_unused:UNUSED_PAD src0_sel:DWORD src1_sel:WORD_0
	v_mov_b32_e32 v31, v96
	v_mov_b32_e32 v29, v114
	v_mov_b32_e32 v70, v112
	v_mov_b32_e32 v68, v129
	v_and_b32_e32 v4, v4, v83
	v_mov_b32_e32 v35, v131
	v_mov_b32_e32 v64, v134
	;; [unrolled: 1-line block ×4, first 2 shown]
	v_and_b32_e32 v39, 1, v4
	v_lshlrev_b32_e32 v81, 30, v4
	v_lshlrev_b32_e32 v82, 29, v4
	;; [unrolled: 1-line block ×3, first 2 shown]
	v_mov_b32_e32 v37, v181
	v_add_co_u32 v39, s20, v39, -1
	v_cndmask_b32_e64 v80, 0, 1, s20
	v_mov_b32_e32 v27, v192
	v_mov_b32_e32 v25, v194
	;; [unrolled: 1-line block ×4, first 2 shown]
	v_cmp_ne_u32_e64 s20, 0, v80
	v_not_b32_e32 v80, v81
	v_mov_b32_e32 v16, v87
	v_mov_b32_e32 v32, v97
	;; [unrolled: 1-line block ×3, first 2 shown]
	v_xor_b32_e32 v39, s20, v39
	v_cmp_gt_i32_e64 s20, 0, v81
	v_ashrrev_i32_e32 v80, 31, v80
	v_not_b32_e32 v81, v82
	v_mov_b32_e32 v71, v113
	v_and_b32_e32 v39, exec_lo, v39
	v_mov_b32_e32 v69, v130
	v_xor_b32_e32 v80, s20, v80
	v_cmp_gt_i32_e64 s20, 0, v82
	v_ashrrev_i32_e32 v81, 31, v81
	v_not_b32_e32 v82, v84
	v_mov_b32_e32 v36, v132
	v_and_b32_e32 v39, v39, v80
	v_lshlrev_b32_e32 v80, 27, v4
	v_xor_b32_e32 v81, s20, v81
	v_cmp_gt_i32_e64 s20, 0, v84
	v_ashrrev_i32_e32 v82, 31, v82
	v_mov_b32_e32 v65, v135
	v_not_b32_e32 v84, v80
	v_and_b32_e32 v39, v39, v81
	v_lshlrev_b32_e32 v81, 26, v4
	v_xor_b32_e32 v82, s20, v82
	v_cmp_gt_i32_e64 s20, 0, v80
	v_ashrrev_i32_e32 v80, 31, v84
	v_mov_b32_e32 v55, v178
	v_not_b32_e32 v84, v81
	;; [unrolled: 7-line block ×3, first 2 shown]
	v_and_b32_e32 v39, v39, v80
	v_lshlrev_b32_e32 v80, 24, v4
	v_xor_b32_e32 v81, s20, v81
	v_cmp_gt_i32_e64 s20, 0, v82
	v_ashrrev_i32_e32 v82, 31, v84
	v_lshlrev_b32_e32 v4, 3, v4
	v_not_b32_e32 v84, v80
	v_and_b32_e32 v39, v39, v81
	v_mov_b32_e32 v38, v182
	v_xor_b32_e32 v81, s20, v82
	v_cmp_gt_i32_e64 s20, 0, v80
	v_ashrrev_i32_e32 v80, 31, v84
	v_mov_b32_e32 v28, v193
	v_mov_b32_e32 v26, v195
	v_and_b32_e32 v39, v39, v81
	v_mov_b32_e32 v24, v211
	v_xor_b32_e32 v80, s20, v80
	v_mov_b32_e32 v22, v231
	v_mov_b32_e32 v94, v99
	;; [unrolled: 1-line block ×4, first 2 shown]
	v_and_b32_e32 v80, v39, v80
	v_add_lshl_u32 v39, v4, v63, 2
	v_mov_b32_e32 v95, v145
	v_mov_b32_e32 v105, v119
	;; [unrolled: 1-line block ×3, first 2 shown]
	v_mbcnt_lo_u32_b32 v4, v80, 0
	v_add_co_u32 v39, null, v12, v39
	v_cmp_ne_u32_e64 s21, 0, v80
	v_mov_b32_e32 v106, v147
	v_cmp_eq_u32_e64 s20, 0, v4
	v_mov_b32_e32 v107, v161
	v_mov_b32_e32 v108, v151
	;; [unrolled: 1-line block ×9, first 2 shown]
	v_add_co_u32 v39, null, v39, 32
	s_and_b32 s21, s21, s20
	ds_write_b32 v17, v5
	ds_write_b32 v49, v5
	;; [unrolled: 1-line block ×8, first 2 shown]
	s_waitcnt lgkmcnt(0)
	s_barrier
	buffer_gl0_inv
	; wave barrier
	s_and_saveexec_b32 s20, s21
; %bb.57:                               ;   in Loop: Header=BB1015_56 Depth=1
	v_bcnt_u32_b32 v80, v80, 0
	ds_write_b32 v39, v80
; %bb.58:                               ;   in Loop: Header=BB1015_56 Depth=1
	s_or_b32 exec_lo, exec_lo, s20
	v_lshrrev_b32_sdwa v80, v10, v94 dst_sel:DWORD dst_unused:UNUSED_PAD src0_sel:DWORD src1_sel:WORD_0
	; wave barrier
	v_and_b32_e32 v80, v80, v83
	v_and_b32_e32 v81, 1, v80
	v_lshlrev_b32_e32 v82, 30, v80
	v_lshlrev_b32_e32 v84, 29, v80
	;; [unrolled: 1-line block ×4, first 2 shown]
	v_add_co_u32 v81, s20, v81, -1
	v_cndmask_b32_e64 v86, 0, 1, s20
	v_not_b32_e32 v98, v82
	v_cmp_gt_i32_e64 s21, 0, v82
	v_not_b32_e32 v82, v84
	v_lshlrev_b32_e32 v96, 26, v80
	v_cmp_ne_u32_e64 s20, 0, v86
	v_ashrrev_i32_e32 v98, 31, v98
	v_lshlrev_b32_e32 v97, 25, v80
	v_ashrrev_i32_e32 v82, 31, v82
	v_lshlrev_b32_e32 v86, 24, v80
	v_xor_b32_e32 v81, s20, v81
	v_cmp_gt_i32_e64 s20, 0, v84
	v_not_b32_e32 v84, v85
	v_xor_b32_e32 v98, s21, v98
	v_cmp_gt_i32_e64 s21, 0, v85
	v_and_b32_e32 v81, exec_lo, v81
	v_not_b32_e32 v85, v87
	v_ashrrev_i32_e32 v84, 31, v84
	v_xor_b32_e32 v82, s20, v82
	v_cmp_gt_i32_e64 s20, 0, v87
	v_and_b32_e32 v81, v81, v98
	v_not_b32_e32 v87, v96
	v_ashrrev_i32_e32 v85, 31, v85
	v_xor_b32_e32 v84, s21, v84
	v_cmp_gt_i32_e64 s21, 0, v96
	v_and_b32_e32 v81, v81, v82
	;; [unrolled: 5-line block ×3, first 2 shown]
	v_not_b32_e32 v84, v86
	v_ashrrev_i32_e32 v82, 31, v82
	v_xor_b32_e32 v87, s21, v87
	v_lshl_add_u32 v80, v80, 3, v63
	v_and_b32_e32 v81, v81, v85
	v_cmp_gt_i32_e64 s21, 0, v86
	v_ashrrev_i32_e32 v84, 31, v84
	v_xor_b32_e32 v82, s20, v82
	v_lshl_add_u32 v85, v80, 2, v12
	v_and_b32_e32 v81, v81, v87
	v_xor_b32_e32 v84, s21, v84
	ds_read_b32 v80, v85 offset:32
	v_and_b32_e32 v81, v81, v82
	v_add_nc_u32_e32 v82, 32, v85
	; wave barrier
	v_and_b32_e32 v84, v81, v84
	v_mbcnt_lo_u32_b32 v81, v84, 0
	v_cmp_ne_u32_e64 s21, 0, v84
	v_cmp_eq_u32_e64 s20, 0, v81
	s_and_b32 s21, s21, s20
	s_and_saveexec_b32 s20, s21
	s_cbranch_execz .LBB1015_60
; %bb.59:                               ;   in Loop: Header=BB1015_56 Depth=1
	s_waitcnt lgkmcnt(0)
	v_bcnt_u32_b32 v84, v84, v80
	ds_write_b32 v82, v84
.LBB1015_60:                            ;   in Loop: Header=BB1015_56 Depth=1
	s_or_b32 exec_lo, exec_lo, s20
	v_lshrrev_b32_sdwa v84, v10, v93 dst_sel:DWORD dst_unused:UNUSED_PAD src0_sel:DWORD src1_sel:WORD_0
	; wave barrier
	v_and_b32_e32 v84, v84, v83
	v_and_b32_e32 v85, 1, v84
	v_lshlrev_b32_e32 v86, 30, v84
	v_lshlrev_b32_e32 v87, 29, v84
	;; [unrolled: 1-line block ×4, first 2 shown]
	v_add_co_u32 v85, s20, v85, -1
	v_cndmask_b32_e64 v97, 0, 1, s20
	v_not_b32_e32 v101, v86
	v_cmp_gt_i32_e64 s21, 0, v86
	v_not_b32_e32 v86, v87
	v_lshlrev_b32_e32 v99, 26, v84
	v_cmp_ne_u32_e64 s20, 0, v97
	v_ashrrev_i32_e32 v101, 31, v101
	v_lshlrev_b32_e32 v100, 25, v84
	v_ashrrev_i32_e32 v86, 31, v86
	v_lshlrev_b32_e32 v97, 24, v84
	v_xor_b32_e32 v85, s20, v85
	v_cmp_gt_i32_e64 s20, 0, v87
	v_not_b32_e32 v87, v96
	v_xor_b32_e32 v101, s21, v101
	v_cmp_gt_i32_e64 s21, 0, v96
	v_and_b32_e32 v85, exec_lo, v85
	v_not_b32_e32 v96, v98
	v_ashrrev_i32_e32 v87, 31, v87
	v_xor_b32_e32 v86, s20, v86
	v_cmp_gt_i32_e64 s20, 0, v98
	v_and_b32_e32 v85, v85, v101
	v_not_b32_e32 v98, v99
	v_ashrrev_i32_e32 v96, 31, v96
	v_xor_b32_e32 v87, s21, v87
	v_cmp_gt_i32_e64 s21, 0, v99
	v_and_b32_e32 v85, v85, v86
	;; [unrolled: 5-line block ×3, first 2 shown]
	v_not_b32_e32 v87, v97
	v_ashrrev_i32_e32 v86, 31, v86
	v_xor_b32_e32 v98, s21, v98
	v_lshl_add_u32 v84, v84, 3, v63
	v_and_b32_e32 v85, v85, v96
	v_cmp_gt_i32_e64 s21, 0, v97
	v_ashrrev_i32_e32 v87, 31, v87
	v_xor_b32_e32 v86, s20, v86
	v_lshl_add_u32 v96, v84, 2, v12
	v_and_b32_e32 v85, v85, v98
	v_xor_b32_e32 v87, s21, v87
	ds_read_b32 v84, v96 offset:32
	v_and_b32_e32 v85, v85, v86
	v_add_nc_u32_e32 v86, 32, v96
	; wave barrier
	v_and_b32_e32 v87, v85, v87
	v_mbcnt_lo_u32_b32 v85, v87, 0
	v_cmp_ne_u32_e64 s21, 0, v87
	v_cmp_eq_u32_e64 s20, 0, v85
	s_and_b32 s21, s21, s20
	s_and_saveexec_b32 s20, s21
	s_cbranch_execz .LBB1015_62
; %bb.61:                               ;   in Loop: Header=BB1015_56 Depth=1
	s_waitcnt lgkmcnt(0)
	v_bcnt_u32_b32 v87, v87, v84
	ds_write_b32 v86, v87
.LBB1015_62:                            ;   in Loop: Header=BB1015_56 Depth=1
	s_or_b32 exec_lo, exec_lo, s20
	v_lshrrev_b32_sdwa v87, v10, v92 dst_sel:DWORD dst_unused:UNUSED_PAD src0_sel:DWORD src1_sel:WORD_0
	; wave barrier
	v_and_b32_e32 v87, v87, v83
	v_and_b32_e32 v96, 1, v87
	v_lshlrev_b32_e32 v97, 30, v87
	v_lshlrev_b32_e32 v98, 29, v87
	;; [unrolled: 1-line block ×4, first 2 shown]
	v_add_co_u32 v96, s20, v96, -1
	v_cndmask_b32_e64 v100, 0, 1, s20
	v_not_b32_e32 v112, v97
	v_cmp_gt_i32_e64 s21, 0, v97
	v_not_b32_e32 v97, v98
	v_lshlrev_b32_e32 v102, 26, v87
	v_cmp_ne_u32_e64 s20, 0, v100
	v_ashrrev_i32_e32 v112, 31, v112
	v_lshlrev_b32_e32 v103, 25, v87
	v_ashrrev_i32_e32 v97, 31, v97
	v_lshlrev_b32_e32 v100, 24, v87
	v_xor_b32_e32 v96, s20, v96
	v_cmp_gt_i32_e64 s20, 0, v98
	v_not_b32_e32 v98, v99
	v_xor_b32_e32 v112, s21, v112
	v_cmp_gt_i32_e64 s21, 0, v99
	v_and_b32_e32 v96, exec_lo, v96
	v_not_b32_e32 v99, v101
	v_ashrrev_i32_e32 v98, 31, v98
	v_xor_b32_e32 v97, s20, v97
	v_cmp_gt_i32_e64 s20, 0, v101
	v_and_b32_e32 v96, v96, v112
	v_not_b32_e32 v101, v102
	v_ashrrev_i32_e32 v99, 31, v99
	v_xor_b32_e32 v98, s21, v98
	v_cmp_gt_i32_e64 s21, 0, v102
	v_and_b32_e32 v96, v96, v97
	;; [unrolled: 5-line block ×3, first 2 shown]
	v_not_b32_e32 v98, v100
	v_ashrrev_i32_e32 v97, 31, v97
	v_xor_b32_e32 v101, s21, v101
	v_lshl_add_u32 v87, v87, 3, v63
	v_and_b32_e32 v96, v96, v99
	v_cmp_gt_i32_e64 s21, 0, v100
	v_ashrrev_i32_e32 v98, 31, v98
	v_xor_b32_e32 v97, s20, v97
	v_lshl_add_u32 v99, v87, 2, v12
	v_and_b32_e32 v96, v96, v101
	v_xor_b32_e32 v98, s21, v98
	ds_read_b32 v87, v99 offset:32
	v_and_b32_e32 v96, v96, v97
	v_add_nc_u32_e32 v97, 32, v99
	; wave barrier
	v_and_b32_e32 v98, v96, v98
	v_mbcnt_lo_u32_b32 v96, v98, 0
	v_cmp_ne_u32_e64 s21, 0, v98
	v_cmp_eq_u32_e64 s20, 0, v96
	s_and_b32 s21, s21, s20
	s_and_saveexec_b32 s20, s21
	s_cbranch_execz .LBB1015_64
; %bb.63:                               ;   in Loop: Header=BB1015_56 Depth=1
	s_waitcnt lgkmcnt(0)
	v_bcnt_u32_b32 v98, v98, v87
	ds_write_b32 v97, v98
.LBB1015_64:                            ;   in Loop: Header=BB1015_56 Depth=1
	s_or_b32 exec_lo, exec_lo, s20
	v_lshrrev_b32_sdwa v98, v10, v95 dst_sel:DWORD dst_unused:UNUSED_PAD src0_sel:DWORD src1_sel:WORD_0
	; wave barrier
	v_and_b32_e32 v98, v98, v83
	v_and_b32_e32 v99, 1, v98
	v_lshlrev_b32_e32 v100, 30, v98
	v_lshlrev_b32_e32 v101, 29, v98
	;; [unrolled: 1-line block ×4, first 2 shown]
	v_add_co_u32 v99, s20, v99, -1
	v_cndmask_b32_e64 v103, 0, 1, s20
	v_not_b32_e32 v115, v100
	v_cmp_gt_i32_e64 s21, 0, v100
	v_not_b32_e32 v100, v101
	v_lshlrev_b32_e32 v113, 26, v98
	v_cmp_ne_u32_e64 s20, 0, v103
	v_ashrrev_i32_e32 v115, 31, v115
	v_lshlrev_b32_e32 v114, 25, v98
	v_ashrrev_i32_e32 v100, 31, v100
	v_lshlrev_b32_e32 v103, 24, v98
	v_xor_b32_e32 v99, s20, v99
	v_cmp_gt_i32_e64 s20, 0, v101
	v_not_b32_e32 v101, v102
	v_xor_b32_e32 v115, s21, v115
	v_cmp_gt_i32_e64 s21, 0, v102
	v_and_b32_e32 v99, exec_lo, v99
	v_not_b32_e32 v102, v112
	v_ashrrev_i32_e32 v101, 31, v101
	v_xor_b32_e32 v100, s20, v100
	v_cmp_gt_i32_e64 s20, 0, v112
	v_and_b32_e32 v99, v99, v115
	v_not_b32_e32 v112, v113
	v_ashrrev_i32_e32 v102, 31, v102
	v_xor_b32_e32 v101, s21, v101
	v_cmp_gt_i32_e64 s21, 0, v113
	v_and_b32_e32 v99, v99, v100
	v_not_b32_e32 v100, v114
	v_ashrrev_i32_e32 v112, 31, v112
	v_xor_b32_e32 v102, s20, v102
	v_cmp_gt_i32_e64 s20, 0, v114
	v_and_b32_e32 v99, v99, v101
	v_not_b32_e32 v101, v103
	v_ashrrev_i32_e32 v100, 31, v100
	v_xor_b32_e32 v112, s21, v112
	v_lshl_add_u32 v98, v98, 3, v63
	v_and_b32_e32 v99, v99, v102
	v_cmp_gt_i32_e64 s21, 0, v103
	v_ashrrev_i32_e32 v101, 31, v101
	v_xor_b32_e32 v100, s20, v100
	v_lshl_add_u32 v98, v98, 2, v12
	v_and_b32_e32 v99, v99, v112
	v_xor_b32_e32 v101, s21, v101
	ds_read_b32 v112, v98 offset:32
	v_and_b32_e32 v99, v99, v100
	v_add_nc_u32_e32 v98, 32, v98
	; wave barrier
	v_and_b32_e32 v99, v99, v101
	v_mbcnt_lo_u32_b32 v113, v99, 0
	v_cmp_ne_u32_e64 s21, 0, v99
	v_cmp_eq_u32_e64 s20, 0, v113
	s_and_b32 s21, s21, s20
	s_and_saveexec_b32 s20, s21
	s_cbranch_execz .LBB1015_66
; %bb.65:                               ;   in Loop: Header=BB1015_56 Depth=1
	s_waitcnt lgkmcnt(0)
	v_bcnt_u32_b32 v99, v99, v112
	ds_write_b32 v98, v99
.LBB1015_66:                            ;   in Loop: Header=BB1015_56 Depth=1
	s_or_b32 exec_lo, exec_lo, s20
	v_lshrrev_b32_sdwa v99, v10, v105 dst_sel:DWORD dst_unused:UNUSED_PAD src0_sel:DWORD src1_sel:WORD_0
	; wave barrier
	v_and_b32_e32 v99, v99, v83
	v_and_b32_e32 v100, 1, v99
	v_lshlrev_b32_e32 v101, 30, v99
	v_lshlrev_b32_e32 v102, 29, v99
	;; [unrolled: 1-line block ×4, first 2 shown]
	v_add_co_u32 v100, s20, v100, -1
	v_cndmask_b32_e64 v114, 0, 1, s20
	v_not_b32_e32 v118, v101
	v_cmp_gt_i32_e64 s21, 0, v101
	v_not_b32_e32 v101, v102
	v_lshlrev_b32_e32 v116, 26, v99
	v_cmp_ne_u32_e64 s20, 0, v114
	v_ashrrev_i32_e32 v118, 31, v118
	v_lshlrev_b32_e32 v117, 25, v99
	v_ashrrev_i32_e32 v101, 31, v101
	v_lshlrev_b32_e32 v114, 24, v99
	v_xor_b32_e32 v100, s20, v100
	v_cmp_gt_i32_e64 s20, 0, v102
	v_not_b32_e32 v102, v103
	v_xor_b32_e32 v118, s21, v118
	v_cmp_gt_i32_e64 s21, 0, v103
	v_and_b32_e32 v100, exec_lo, v100
	v_not_b32_e32 v103, v115
	v_ashrrev_i32_e32 v102, 31, v102
	v_xor_b32_e32 v101, s20, v101
	v_cmp_gt_i32_e64 s20, 0, v115
	v_and_b32_e32 v100, v100, v118
	v_not_b32_e32 v115, v116
	v_ashrrev_i32_e32 v103, 31, v103
	v_xor_b32_e32 v102, s21, v102
	v_cmp_gt_i32_e64 s21, 0, v116
	v_and_b32_e32 v100, v100, v101
	;; [unrolled: 5-line block ×3, first 2 shown]
	v_not_b32_e32 v102, v114
	v_ashrrev_i32_e32 v101, 31, v101
	v_xor_b32_e32 v115, s21, v115
	v_lshl_add_u32 v99, v99, 3, v63
	v_and_b32_e32 v100, v100, v103
	v_cmp_gt_i32_e64 s21, 0, v114
	v_ashrrev_i32_e32 v102, 31, v102
	v_xor_b32_e32 v101, s20, v101
	v_lshl_add_u32 v103, v99, 2, v12
	v_and_b32_e32 v100, v100, v115
	v_xor_b32_e32 v99, s21, v102
	ds_read_b32 v114, v103 offset:32
	v_and_b32_e32 v100, v100, v101
	; wave barrier
	v_and_b32_e32 v99, v100, v99
	v_add_nc_u32_e32 v100, 32, v103
	v_mbcnt_lo_u32_b32 v115, v99, 0
	v_cmp_ne_u32_e64 s21, 0, v99
	v_cmp_eq_u32_e64 s20, 0, v115
	s_and_b32 s21, s21, s20
	s_and_saveexec_b32 s20, s21
	s_cbranch_execz .LBB1015_68
; %bb.67:                               ;   in Loop: Header=BB1015_56 Depth=1
	s_waitcnt lgkmcnt(0)
	v_bcnt_u32_b32 v99, v99, v114
	ds_write_b32 v100, v99
.LBB1015_68:                            ;   in Loop: Header=BB1015_56 Depth=1
	s_or_b32 exec_lo, exec_lo, s20
	v_lshrrev_b32_sdwa v99, v10, v104 dst_sel:DWORD dst_unused:UNUSED_PAD src0_sel:DWORD src1_sel:WORD_0
	; wave barrier
	v_and_b32_e32 v99, v99, v83
	v_and_b32_e32 v101, 1, v99
	v_lshlrev_b32_e32 v102, 30, v99
	v_lshlrev_b32_e32 v103, 29, v99
	;; [unrolled: 1-line block ×4, first 2 shown]
	v_add_co_u32 v101, s20, v101, -1
	v_cndmask_b32_e64 v117, 0, 1, s20
	v_not_b32_e32 v129, v102
	v_cmp_gt_i32_e64 s21, 0, v102
	v_not_b32_e32 v102, v103
	v_lshlrev_b32_e32 v119, 26, v99
	v_cmp_ne_u32_e64 s20, 0, v117
	v_ashrrev_i32_e32 v129, 31, v129
	v_lshlrev_b32_e32 v128, 25, v99
	v_ashrrev_i32_e32 v102, 31, v102
	v_lshlrev_b32_e32 v117, 24, v99
	v_xor_b32_e32 v101, s20, v101
	v_cmp_gt_i32_e64 s20, 0, v103
	v_not_b32_e32 v103, v116
	v_xor_b32_e32 v129, s21, v129
	v_cmp_gt_i32_e64 s21, 0, v116
	v_and_b32_e32 v101, exec_lo, v101
	v_not_b32_e32 v116, v118
	v_ashrrev_i32_e32 v103, 31, v103
	v_xor_b32_e32 v102, s20, v102
	v_cmp_gt_i32_e64 s20, 0, v118
	v_and_b32_e32 v101, v101, v129
	v_not_b32_e32 v118, v119
	v_ashrrev_i32_e32 v116, 31, v116
	v_xor_b32_e32 v103, s21, v103
	v_cmp_gt_i32_e64 s21, 0, v119
	v_and_b32_e32 v101, v101, v102
	;; [unrolled: 5-line block ×3, first 2 shown]
	v_not_b32_e32 v103, v117
	v_ashrrev_i32_e32 v102, 31, v102
	v_xor_b32_e32 v118, s21, v118
	v_lshl_add_u32 v99, v99, 3, v63
	v_and_b32_e32 v101, v101, v116
	v_cmp_gt_i32_e64 s21, 0, v117
	v_ashrrev_i32_e32 v103, 31, v103
	v_xor_b32_e32 v102, s20, v102
	v_lshl_add_u32 v116, v99, 2, v12
	v_and_b32_e32 v101, v101, v118
	v_xor_b32_e32 v99, s21, v103
	ds_read_b32 v128, v116 offset:32
	v_and_b32_e32 v101, v101, v102
	v_add_nc_u32_e32 v102, 32, v116
	; wave barrier
	v_and_b32_e32 v99, v101, v99
	v_mbcnt_lo_u32_b32 v130, v99, 0
	v_cmp_ne_u32_e64 s21, 0, v99
	v_cmp_eq_u32_e64 s20, 0, v130
	s_and_b32 s21, s21, s20
	s_and_saveexec_b32 s20, s21
	s_cbranch_execz .LBB1015_70
; %bb.69:                               ;   in Loop: Header=BB1015_56 Depth=1
	s_waitcnt lgkmcnt(0)
	v_bcnt_u32_b32 v99, v99, v128
	ds_write_b32 v102, v99
.LBB1015_70:                            ;   in Loop: Header=BB1015_56 Depth=1
	s_or_b32 exec_lo, exec_lo, s20
	v_lshrrev_b32_sdwa v99, v10, v106 dst_sel:DWORD dst_unused:UNUSED_PAD src0_sel:DWORD src1_sel:WORD_0
	; wave barrier
	v_and_b32_e32 v99, v99, v83
	v_and_b32_e32 v101, 1, v99
	v_lshlrev_b32_e32 v103, 30, v99
	v_lshlrev_b32_e32 v116, 29, v99
	;; [unrolled: 1-line block ×4, first 2 shown]
	v_add_co_u32 v101, s20, v101, -1
	v_cndmask_b32_e64 v118, 0, 1, s20
	v_not_b32_e32 v132, v103
	v_cmp_gt_i32_e64 s21, 0, v103
	v_not_b32_e32 v103, v116
	v_lshlrev_b32_e32 v129, 26, v99
	v_cmp_ne_u32_e64 s20, 0, v118
	v_ashrrev_i32_e32 v132, 31, v132
	v_lshlrev_b32_e32 v131, 25, v99
	v_ashrrev_i32_e32 v103, 31, v103
	v_lshlrev_b32_e32 v118, 24, v99
	v_xor_b32_e32 v101, s20, v101
	v_cmp_gt_i32_e64 s20, 0, v116
	v_not_b32_e32 v116, v117
	v_xor_b32_e32 v132, s21, v132
	v_cmp_gt_i32_e64 s21, 0, v117
	v_and_b32_e32 v101, exec_lo, v101
	v_not_b32_e32 v117, v119
	v_ashrrev_i32_e32 v116, 31, v116
	v_xor_b32_e32 v103, s20, v103
	v_cmp_gt_i32_e64 s20, 0, v119
	v_and_b32_e32 v101, v101, v132
	v_not_b32_e32 v119, v129
	v_ashrrev_i32_e32 v117, 31, v117
	v_xor_b32_e32 v116, s21, v116
	v_cmp_gt_i32_e64 s21, 0, v129
	v_and_b32_e32 v101, v101, v103
	;; [unrolled: 5-line block ×3, first 2 shown]
	v_not_b32_e32 v116, v118
	v_ashrrev_i32_e32 v103, 31, v103
	v_xor_b32_e32 v119, s21, v119
	v_lshl_add_u32 v99, v99, 3, v63
	v_and_b32_e32 v101, v101, v117
	v_cmp_gt_i32_e64 s21, 0, v118
	v_ashrrev_i32_e32 v116, 31, v116
	v_xor_b32_e32 v103, s20, v103
	v_lshl_add_u32 v117, v99, 2, v12
	v_and_b32_e32 v101, v101, v119
	v_xor_b32_e32 v99, s21, v116
	ds_read_b32 v131, v117 offset:32
	v_and_b32_e32 v101, v101, v103
	v_add_nc_u32_e32 v116, 32, v117
	; wave barrier
	v_and_b32_e32 v99, v101, v99
	v_mbcnt_lo_u32_b32 v132, v99, 0
	v_cmp_ne_u32_e64 s21, 0, v99
	v_cmp_eq_u32_e64 s20, 0, v132
	s_and_b32 s21, s21, s20
	s_and_saveexec_b32 s20, s21
	s_cbranch_execz .LBB1015_72
; %bb.71:                               ;   in Loop: Header=BB1015_56 Depth=1
	s_waitcnt lgkmcnt(0)
	v_bcnt_u32_b32 v99, v99, v131
	ds_write_b32 v116, v99
.LBB1015_72:                            ;   in Loop: Header=BB1015_56 Depth=1
	s_or_b32 exec_lo, exec_lo, s20
	v_lshrrev_b32_sdwa v99, v10, v107 dst_sel:DWORD dst_unused:UNUSED_PAD src0_sel:DWORD src1_sel:WORD_0
	; wave barrier
	v_and_b32_e32 v99, v99, v83
	v_and_b32_e32 v101, 1, v99
	v_lshlrev_b32_e32 v103, 30, v99
	v_lshlrev_b32_e32 v117, 29, v99
	;; [unrolled: 1-line block ×4, first 2 shown]
	v_add_co_u32 v101, s20, v101, -1
	v_cndmask_b32_e64 v119, 0, 1, s20
	v_not_b32_e32 v135, v103
	v_cmp_gt_i32_e64 s21, 0, v103
	v_not_b32_e32 v103, v117
	v_lshlrev_b32_e32 v133, 26, v99
	v_cmp_ne_u32_e64 s20, 0, v119
	v_ashrrev_i32_e32 v135, 31, v135
	v_lshlrev_b32_e32 v134, 25, v99
	v_ashrrev_i32_e32 v103, 31, v103
	v_lshlrev_b32_e32 v119, 24, v99
	v_xor_b32_e32 v101, s20, v101
	v_cmp_gt_i32_e64 s20, 0, v117
	v_not_b32_e32 v117, v118
	v_xor_b32_e32 v135, s21, v135
	v_cmp_gt_i32_e64 s21, 0, v118
	v_and_b32_e32 v101, exec_lo, v101
	v_not_b32_e32 v118, v129
	v_ashrrev_i32_e32 v117, 31, v117
	v_xor_b32_e32 v103, s20, v103
	v_cmp_gt_i32_e64 s20, 0, v129
	v_and_b32_e32 v101, v101, v135
	v_not_b32_e32 v129, v133
	v_ashrrev_i32_e32 v118, 31, v118
	v_xor_b32_e32 v117, s21, v117
	v_cmp_gt_i32_e64 s21, 0, v133
	v_and_b32_e32 v101, v101, v103
	;; [unrolled: 5-line block ×3, first 2 shown]
	v_not_b32_e32 v117, v119
	v_ashrrev_i32_e32 v103, 31, v103
	v_xor_b32_e32 v129, s21, v129
	v_lshl_add_u32 v99, v99, 3, v63
	v_and_b32_e32 v101, v101, v118
	v_cmp_gt_i32_e64 s21, 0, v119
	v_ashrrev_i32_e32 v117, 31, v117
	v_xor_b32_e32 v103, s20, v103
	v_lshl_add_u32 v118, v99, 2, v12
	v_and_b32_e32 v101, v101, v129
	v_xor_b32_e32 v99, s21, v117
	ds_read_b32 v133, v118 offset:32
	v_and_b32_e32 v101, v101, v103
	v_add_nc_u32_e32 v118, 32, v118
	; wave barrier
	v_and_b32_e32 v99, v101, v99
	v_mbcnt_lo_u32_b32 v134, v99, 0
	v_cmp_ne_u32_e64 s21, 0, v99
	v_cmp_eq_u32_e64 s20, 0, v134
	s_and_b32 s21, s21, s20
	s_and_saveexec_b32 s20, s21
	s_cbranch_execz .LBB1015_74
; %bb.73:                               ;   in Loop: Header=BB1015_56 Depth=1
	s_waitcnt lgkmcnt(0)
	v_bcnt_u32_b32 v99, v99, v133
	ds_write_b32 v118, v99
.LBB1015_74:                            ;   in Loop: Header=BB1015_56 Depth=1
	s_or_b32 exec_lo, exec_lo, s20
	v_lshrrev_b32_sdwa v99, v10, v108 dst_sel:DWORD dst_unused:UNUSED_PAD src0_sel:DWORD src1_sel:WORD_0
	; wave barrier
	v_and_b32_e32 v99, v99, v83
	v_and_b32_e32 v101, 1, v99
	v_lshlrev_b32_e32 v103, 30, v99
	v_lshlrev_b32_e32 v117, 29, v99
	;; [unrolled: 1-line block ×4, first 2 shown]
	v_add_co_u32 v101, s20, v101, -1
	v_cndmask_b32_e64 v129, 0, 1, s20
	v_not_b32_e32 v146, v103
	v_cmp_gt_i32_e64 s21, 0, v103
	v_not_b32_e32 v103, v117
	v_lshlrev_b32_e32 v144, 26, v99
	v_cmp_ne_u32_e64 s20, 0, v129
	v_ashrrev_i32_e32 v146, 31, v146
	v_lshlrev_b32_e32 v145, 25, v99
	v_ashrrev_i32_e32 v103, 31, v103
	v_lshlrev_b32_e32 v129, 24, v99
	v_xor_b32_e32 v101, s20, v101
	v_cmp_gt_i32_e64 s20, 0, v117
	v_not_b32_e32 v117, v119
	v_xor_b32_e32 v146, s21, v146
	v_cmp_gt_i32_e64 s21, 0, v119
	v_and_b32_e32 v101, exec_lo, v101
	v_not_b32_e32 v119, v135
	v_ashrrev_i32_e32 v117, 31, v117
	v_xor_b32_e32 v103, s20, v103
	v_cmp_gt_i32_e64 s20, 0, v135
	v_and_b32_e32 v101, v101, v146
	v_not_b32_e32 v135, v144
	v_ashrrev_i32_e32 v119, 31, v119
	v_xor_b32_e32 v117, s21, v117
	v_cmp_gt_i32_e64 s21, 0, v144
	v_and_b32_e32 v101, v101, v103
	;; [unrolled: 5-line block ×3, first 2 shown]
	v_not_b32_e32 v117, v129
	v_ashrrev_i32_e32 v103, 31, v103
	v_xor_b32_e32 v135, s21, v135
	v_lshl_add_u32 v99, v99, 3, v63
	v_and_b32_e32 v101, v101, v119
	v_cmp_gt_i32_e64 s21, 0, v129
	v_ashrrev_i32_e32 v117, 31, v117
	v_xor_b32_e32 v103, s20, v103
	v_lshl_add_u32 v119, v99, 2, v12
	v_and_b32_e32 v101, v101, v135
	v_xor_b32_e32 v99, s21, v117
	ds_read_b32 v135, v119 offset:32
	v_and_b32_e32 v101, v101, v103
	v_add_nc_u32_e32 v145, 32, v119
	; wave barrier
	v_and_b32_e32 v99, v101, v99
	v_mbcnt_lo_u32_b32 v144, v99, 0
	v_cmp_ne_u32_e64 s21, 0, v99
	v_cmp_eq_u32_e64 s20, 0, v144
	s_and_b32 s21, s21, s20
	s_and_saveexec_b32 s20, s21
	s_cbranch_execz .LBB1015_76
; %bb.75:                               ;   in Loop: Header=BB1015_56 Depth=1
	s_waitcnt lgkmcnt(0)
	v_bcnt_u32_b32 v99, v99, v135
	ds_write_b32 v145, v99
.LBB1015_76:                            ;   in Loop: Header=BB1015_56 Depth=1
	s_or_b32 exec_lo, exec_lo, s20
	v_lshrrev_b32_sdwa v99, v10, v109 dst_sel:DWORD dst_unused:UNUSED_PAD src0_sel:DWORD src1_sel:WORD_0
	; wave barrier
	v_and_b32_e32 v99, v99, v83
	v_and_b32_e32 v101, 1, v99
	v_lshlrev_b32_e32 v103, 30, v99
	v_lshlrev_b32_e32 v117, 29, v99
	;; [unrolled: 1-line block ×4, first 2 shown]
	v_add_co_u32 v101, s20, v101, -1
	v_cndmask_b32_e64 v129, 0, 1, s20
	v_not_b32_e32 v149, v103
	v_cmp_gt_i32_e64 s21, 0, v103
	v_not_b32_e32 v103, v117
	v_lshlrev_b32_e32 v147, 26, v99
	v_cmp_ne_u32_e64 s20, 0, v129
	v_ashrrev_i32_e32 v149, 31, v149
	v_lshlrev_b32_e32 v148, 25, v99
	v_ashrrev_i32_e32 v103, 31, v103
	v_lshlrev_b32_e32 v129, 24, v99
	v_xor_b32_e32 v101, s20, v101
	v_cmp_gt_i32_e64 s20, 0, v117
	v_not_b32_e32 v117, v119
	v_xor_b32_e32 v149, s21, v149
	v_cmp_gt_i32_e64 s21, 0, v119
	v_and_b32_e32 v101, exec_lo, v101
	v_not_b32_e32 v119, v146
	v_ashrrev_i32_e32 v117, 31, v117
	v_xor_b32_e32 v103, s20, v103
	v_cmp_gt_i32_e64 s20, 0, v146
	v_and_b32_e32 v101, v101, v149
	v_not_b32_e32 v146, v147
	v_ashrrev_i32_e32 v119, 31, v119
	v_xor_b32_e32 v117, s21, v117
	v_cmp_gt_i32_e64 s21, 0, v147
	v_and_b32_e32 v101, v101, v103
	;; [unrolled: 5-line block ×3, first 2 shown]
	v_not_b32_e32 v117, v129
	v_ashrrev_i32_e32 v103, 31, v103
	v_xor_b32_e32 v146, s21, v146
	v_lshl_add_u32 v99, v99, 3, v63
	v_and_b32_e32 v101, v101, v119
	v_cmp_gt_i32_e64 s21, 0, v129
	v_ashrrev_i32_e32 v117, 31, v117
	v_xor_b32_e32 v103, s20, v103
	v_lshl_add_u32 v119, v99, 2, v12
	v_and_b32_e32 v101, v101, v146
	v_xor_b32_e32 v99, s21, v117
	ds_read_b32 v148, v119 offset:32
	v_and_b32_e32 v101, v101, v103
	v_add_nc_u32_e32 v146, 32, v119
	; wave barrier
	v_and_b32_e32 v99, v101, v99
	v_mbcnt_lo_u32_b32 v149, v99, 0
	v_cmp_ne_u32_e64 s21, 0, v99
	v_cmp_eq_u32_e64 s20, 0, v149
	s_and_b32 s21, s21, s20
	s_and_saveexec_b32 s20, s21
	s_cbranch_execz .LBB1015_78
; %bb.77:                               ;   in Loop: Header=BB1015_56 Depth=1
	s_waitcnt lgkmcnt(0)
	v_bcnt_u32_b32 v99, v99, v148
	ds_write_b32 v146, v99
.LBB1015_78:                            ;   in Loop: Header=BB1015_56 Depth=1
	s_or_b32 exec_lo, exec_lo, s20
	v_lshrrev_b32_sdwa v99, v10, v110 dst_sel:DWORD dst_unused:UNUSED_PAD src0_sel:DWORD src1_sel:WORD_0
	; wave barrier
	v_and_b32_e32 v99, v99, v83
	v_and_b32_e32 v101, 1, v99
	v_lshlrev_b32_e32 v103, 30, v99
	v_lshlrev_b32_e32 v117, 29, v99
	v_lshlrev_b32_e32 v119, 28, v99
	v_lshlrev_b32_e32 v147, 27, v99
	v_add_co_u32 v101, s20, v101, -1
	v_cndmask_b32_e64 v129, 0, 1, s20
	v_not_b32_e32 v160, v103
	v_cmp_gt_i32_e64 s21, 0, v103
	v_not_b32_e32 v103, v117
	v_lshlrev_b32_e32 v150, 26, v99
	v_cmp_ne_u32_e64 s20, 0, v129
	v_ashrrev_i32_e32 v160, 31, v160
	v_lshlrev_b32_e32 v151, 25, v99
	v_ashrrev_i32_e32 v103, 31, v103
	v_lshlrev_b32_e32 v129, 24, v99
	v_xor_b32_e32 v101, s20, v101
	v_cmp_gt_i32_e64 s20, 0, v117
	v_not_b32_e32 v117, v119
	v_xor_b32_e32 v160, s21, v160
	v_cmp_gt_i32_e64 s21, 0, v119
	v_and_b32_e32 v101, exec_lo, v101
	v_not_b32_e32 v119, v147
	v_ashrrev_i32_e32 v117, 31, v117
	v_xor_b32_e32 v103, s20, v103
	v_cmp_gt_i32_e64 s20, 0, v147
	v_and_b32_e32 v101, v101, v160
	v_not_b32_e32 v147, v150
	v_ashrrev_i32_e32 v119, 31, v119
	v_xor_b32_e32 v117, s21, v117
	v_cmp_gt_i32_e64 s21, 0, v150
	v_and_b32_e32 v101, v101, v103
	;; [unrolled: 5-line block ×3, first 2 shown]
	v_not_b32_e32 v117, v129
	v_ashrrev_i32_e32 v103, 31, v103
	v_xor_b32_e32 v147, s21, v147
	v_lshl_add_u32 v99, v99, 3, v63
	v_and_b32_e32 v101, v101, v119
	v_cmp_gt_i32_e64 s21, 0, v129
	v_ashrrev_i32_e32 v117, 31, v117
	v_xor_b32_e32 v103, s20, v103
	v_lshl_add_u32 v119, v99, 2, v12
	v_and_b32_e32 v101, v101, v147
	v_xor_b32_e32 v99, s21, v117
	ds_read_b32 v160, v119 offset:32
	v_and_b32_e32 v101, v101, v103
	v_add_nc_u32_e32 v147, 32, v119
	; wave barrier
	v_and_b32_e32 v99, v101, v99
	v_mbcnt_lo_u32_b32 v161, v99, 0
	v_cmp_ne_u32_e64 s21, 0, v99
	v_cmp_eq_u32_e64 s20, 0, v161
	s_and_b32 s21, s21, s20
	s_and_saveexec_b32 s20, s21
	s_cbranch_execz .LBB1015_80
; %bb.79:                               ;   in Loop: Header=BB1015_56 Depth=1
	s_waitcnt lgkmcnt(0)
	v_bcnt_u32_b32 v99, v99, v160
	ds_write_b32 v147, v99
.LBB1015_80:                            ;   in Loop: Header=BB1015_56 Depth=1
	s_or_b32 exec_lo, exec_lo, s20
	v_lshrrev_b32_sdwa v99, v10, v111 dst_sel:DWORD dst_unused:UNUSED_PAD src0_sel:DWORD src1_sel:WORD_0
	; wave barrier
	v_and_b32_e32 v99, v99, v83
	v_and_b32_e32 v101, 1, v99
	v_lshlrev_b32_e32 v103, 30, v99
	v_lshlrev_b32_e32 v117, 29, v99
	;; [unrolled: 1-line block ×4, first 2 shown]
	v_add_co_u32 v101, s20, v101, -1
	v_cndmask_b32_e64 v129, 0, 1, s20
	v_not_b32_e32 v163, v103
	v_cmp_gt_i32_e64 s21, 0, v103
	v_not_b32_e32 v103, v117
	v_lshlrev_b32_e32 v151, 26, v99
	v_cmp_ne_u32_e64 s20, 0, v129
	v_ashrrev_i32_e32 v163, 31, v163
	v_lshlrev_b32_e32 v162, 25, v99
	v_ashrrev_i32_e32 v103, 31, v103
	v_lshlrev_b32_e32 v129, 24, v99
	v_xor_b32_e32 v101, s20, v101
	v_cmp_gt_i32_e64 s20, 0, v117
	v_not_b32_e32 v117, v119
	v_xor_b32_e32 v163, s21, v163
	v_cmp_gt_i32_e64 s21, 0, v119
	v_and_b32_e32 v101, exec_lo, v101
	v_not_b32_e32 v119, v150
	v_ashrrev_i32_e32 v117, 31, v117
	v_xor_b32_e32 v103, s20, v103
	v_cmp_gt_i32_e64 s20, 0, v150
	v_and_b32_e32 v101, v101, v163
	v_not_b32_e32 v150, v151
	v_ashrrev_i32_e32 v119, 31, v119
	v_xor_b32_e32 v117, s21, v117
	v_cmp_gt_i32_e64 s21, 0, v151
	v_and_b32_e32 v101, v101, v103
	v_not_b32_e32 v103, v162
	v_ashrrev_i32_e32 v150, 31, v150
	v_xor_b32_e32 v119, s20, v119
	v_cmp_gt_i32_e64 s20, 0, v162
	v_and_b32_e32 v101, v101, v117
	v_not_b32_e32 v117, v129
	v_ashrrev_i32_e32 v103, 31, v103
	v_xor_b32_e32 v150, s21, v150
	v_lshl_add_u32 v99, v99, 3, v63
	v_and_b32_e32 v101, v101, v119
	v_cmp_gt_i32_e64 s21, 0, v129
	v_ashrrev_i32_e32 v117, 31, v117
	v_xor_b32_e32 v103, s20, v103
	v_lshl_add_u32 v119, v99, 2, v12
	v_and_b32_e32 v101, v101, v150
	v_xor_b32_e32 v99, s21, v117
	ds_read_b32 v162, v119 offset:32
	v_and_b32_e32 v101, v101, v103
	v_add_nc_u32_e32 v150, 32, v119
	; wave barrier
	v_and_b32_e32 v99, v101, v99
	v_mbcnt_lo_u32_b32 v163, v99, 0
	v_cmp_ne_u32_e64 s21, 0, v99
	v_cmp_eq_u32_e64 s20, 0, v163
	s_and_b32 s21, s21, s20
	s_and_saveexec_b32 s20, s21
	s_cbranch_execz .LBB1015_82
; %bb.81:                               ;   in Loop: Header=BB1015_56 Depth=1
	s_waitcnt lgkmcnt(0)
	v_bcnt_u32_b32 v99, v99, v162
	ds_write_b32 v150, v99
.LBB1015_82:                            ;   in Loop: Header=BB1015_56 Depth=1
	s_or_b32 exec_lo, exec_lo, s20
	v_lshrrev_b32_sdwa v99, v10, v120 dst_sel:DWORD dst_unused:UNUSED_PAD src0_sel:DWORD src1_sel:WORD_0
	; wave barrier
	v_and_b32_e32 v99, v99, v83
	v_and_b32_e32 v101, 1, v99
	v_lshlrev_b32_e32 v103, 30, v99
	v_lshlrev_b32_e32 v117, 29, v99
	;; [unrolled: 1-line block ×4, first 2 shown]
	v_add_co_u32 v101, s20, v101, -1
	v_cndmask_b32_e64 v129, 0, 1, s20
	v_not_b32_e32 v166, v103
	v_cmp_gt_i32_e64 s21, 0, v103
	v_not_b32_e32 v103, v117
	v_lshlrev_b32_e32 v164, 26, v99
	v_cmp_ne_u32_e64 s20, 0, v129
	v_ashrrev_i32_e32 v166, 31, v166
	v_lshlrev_b32_e32 v165, 25, v99
	v_ashrrev_i32_e32 v103, 31, v103
	v_lshlrev_b32_e32 v129, 24, v99
	v_xor_b32_e32 v101, s20, v101
	v_cmp_gt_i32_e64 s20, 0, v117
	v_not_b32_e32 v117, v119
	v_xor_b32_e32 v166, s21, v166
	v_cmp_gt_i32_e64 s21, 0, v119
	v_and_b32_e32 v101, exec_lo, v101
	v_not_b32_e32 v119, v151
	v_ashrrev_i32_e32 v117, 31, v117
	v_xor_b32_e32 v103, s20, v103
	v_cmp_gt_i32_e64 s20, 0, v151
	v_and_b32_e32 v101, v101, v166
	v_not_b32_e32 v151, v164
	v_ashrrev_i32_e32 v119, 31, v119
	v_xor_b32_e32 v117, s21, v117
	v_cmp_gt_i32_e64 s21, 0, v164
	v_and_b32_e32 v101, v101, v103
	;; [unrolled: 5-line block ×3, first 2 shown]
	v_not_b32_e32 v117, v129
	v_ashrrev_i32_e32 v103, 31, v103
	v_xor_b32_e32 v151, s21, v151
	v_lshl_add_u32 v99, v99, 3, v63
	v_and_b32_e32 v101, v101, v119
	v_cmp_gt_i32_e64 s21, 0, v129
	v_ashrrev_i32_e32 v117, 31, v117
	v_xor_b32_e32 v103, s20, v103
	v_lshl_add_u32 v119, v99, 2, v12
	v_and_b32_e32 v101, v101, v151
	v_xor_b32_e32 v99, s21, v117
	ds_read_b32 v165, v119 offset:32
	v_and_b32_e32 v101, v101, v103
	v_add_nc_u32_e32 v151, 32, v119
	; wave barrier
	v_and_b32_e32 v99, v101, v99
	v_mbcnt_lo_u32_b32 v167, v99, 0
	v_cmp_ne_u32_e64 s21, 0, v99
	v_cmp_eq_u32_e64 s20, 0, v167
	s_and_b32 s21, s21, s20
	s_and_saveexec_b32 s20, s21
	s_cbranch_execz .LBB1015_84
; %bb.83:                               ;   in Loop: Header=BB1015_56 Depth=1
	s_waitcnt lgkmcnt(0)
	v_bcnt_u32_b32 v99, v99, v165
	ds_write_b32 v151, v99
.LBB1015_84:                            ;   in Loop: Header=BB1015_56 Depth=1
	s_or_b32 exec_lo, exec_lo, s20
	v_lshrrev_b32_sdwa v99, v10, v121 dst_sel:DWORD dst_unused:UNUSED_PAD src0_sel:DWORD src1_sel:WORD_0
	; wave barrier
	v_and_b32_e32 v99, v99, v83
	v_and_b32_e32 v101, 1, v99
	v_lshlrev_b32_e32 v103, 30, v99
	v_lshlrev_b32_e32 v117, 29, v99
	;; [unrolled: 1-line block ×4, first 2 shown]
	v_add_co_u32 v101, s20, v101, -1
	v_cndmask_b32_e64 v129, 0, 1, s20
	v_not_b32_e32 v177, v103
	v_cmp_gt_i32_e64 s21, 0, v103
	v_not_b32_e32 v103, v117
	v_lshlrev_b32_e32 v166, 26, v99
	v_cmp_ne_u32_e64 s20, 0, v129
	v_ashrrev_i32_e32 v177, 31, v177
	v_lshlrev_b32_e32 v176, 25, v99
	v_ashrrev_i32_e32 v103, 31, v103
	v_lshlrev_b32_e32 v129, 24, v99
	v_xor_b32_e32 v101, s20, v101
	v_cmp_gt_i32_e64 s20, 0, v117
	v_not_b32_e32 v117, v119
	v_xor_b32_e32 v177, s21, v177
	v_cmp_gt_i32_e64 s21, 0, v119
	v_and_b32_e32 v101, exec_lo, v101
	v_not_b32_e32 v119, v164
	v_ashrrev_i32_e32 v117, 31, v117
	v_xor_b32_e32 v103, s20, v103
	v_cmp_gt_i32_e64 s20, 0, v164
	v_and_b32_e32 v101, v101, v177
	v_not_b32_e32 v164, v166
	v_ashrrev_i32_e32 v119, 31, v119
	v_xor_b32_e32 v117, s21, v117
	v_cmp_gt_i32_e64 s21, 0, v166
	v_and_b32_e32 v101, v101, v103
	;; [unrolled: 5-line block ×3, first 2 shown]
	v_not_b32_e32 v117, v129
	v_ashrrev_i32_e32 v103, 31, v103
	v_xor_b32_e32 v164, s21, v164
	v_lshl_add_u32 v99, v99, 3, v63
	v_and_b32_e32 v101, v101, v119
	v_cmp_gt_i32_e64 s21, 0, v129
	v_ashrrev_i32_e32 v117, 31, v117
	v_xor_b32_e32 v103, s20, v103
	v_lshl_add_u32 v119, v99, 2, v12
	v_and_b32_e32 v101, v101, v164
	v_xor_b32_e32 v99, s21, v117
	ds_read_b32 v177, v119 offset:32
	v_and_b32_e32 v101, v101, v103
	v_add_nc_u32_e32 v164, 32, v119
	; wave barrier
	v_and_b32_e32 v99, v101, v99
	v_mbcnt_lo_u32_b32 v178, v99, 0
	v_cmp_ne_u32_e64 s21, 0, v99
	v_cmp_eq_u32_e64 s20, 0, v178
	s_and_b32 s21, s21, s20
	s_and_saveexec_b32 s20, s21
	s_cbranch_execz .LBB1015_86
; %bb.85:                               ;   in Loop: Header=BB1015_56 Depth=1
	s_waitcnt lgkmcnt(0)
	v_bcnt_u32_b32 v99, v99, v177
	ds_write_b32 v164, v99
.LBB1015_86:                            ;   in Loop: Header=BB1015_56 Depth=1
	s_or_b32 exec_lo, exec_lo, s20
	v_lshrrev_b32_sdwa v99, v10, v123 dst_sel:DWORD dst_unused:UNUSED_PAD src0_sel:DWORD src1_sel:WORD_0
	; wave barrier
	v_and_b32_e32 v99, v99, v83
	v_and_b32_e32 v101, 1, v99
	v_lshlrev_b32_e32 v103, 30, v99
	v_lshlrev_b32_e32 v117, 29, v99
	;; [unrolled: 1-line block ×4, first 2 shown]
	v_add_co_u32 v101, s20, v101, -1
	v_cndmask_b32_e64 v129, 0, 1, s20
	v_not_b32_e32 v180, v103
	v_cmp_gt_i32_e64 s21, 0, v103
	v_not_b32_e32 v103, v117
	v_lshlrev_b32_e32 v176, 26, v99
	v_cmp_ne_u32_e64 s20, 0, v129
	v_ashrrev_i32_e32 v180, 31, v180
	v_lshlrev_b32_e32 v179, 25, v99
	v_ashrrev_i32_e32 v103, 31, v103
	v_lshlrev_b32_e32 v129, 24, v99
	v_xor_b32_e32 v101, s20, v101
	v_cmp_gt_i32_e64 s20, 0, v117
	v_not_b32_e32 v117, v119
	v_xor_b32_e32 v180, s21, v180
	v_cmp_gt_i32_e64 s21, 0, v119
	v_and_b32_e32 v101, exec_lo, v101
	v_not_b32_e32 v119, v166
	v_ashrrev_i32_e32 v117, 31, v117
	v_xor_b32_e32 v103, s20, v103
	v_cmp_gt_i32_e64 s20, 0, v166
	v_and_b32_e32 v101, v101, v180
	v_not_b32_e32 v166, v176
	v_ashrrev_i32_e32 v119, 31, v119
	v_xor_b32_e32 v117, s21, v117
	v_cmp_gt_i32_e64 s21, 0, v176
	v_and_b32_e32 v101, v101, v103
	;; [unrolled: 5-line block ×3, first 2 shown]
	v_not_b32_e32 v117, v129
	v_ashrrev_i32_e32 v103, 31, v103
	v_xor_b32_e32 v166, s21, v166
	v_lshl_add_u32 v99, v99, 3, v63
	v_and_b32_e32 v101, v101, v119
	v_cmp_gt_i32_e64 s21, 0, v129
	v_ashrrev_i32_e32 v117, 31, v117
	v_xor_b32_e32 v103, s20, v103
	v_lshl_add_u32 v119, v99, 2, v12
	v_and_b32_e32 v101, v101, v166
	v_xor_b32_e32 v99, s21, v117
	ds_read_b32 v179, v119 offset:32
	v_and_b32_e32 v101, v101, v103
	v_add_nc_u32_e32 v166, 32, v119
	; wave barrier
	v_and_b32_e32 v99, v101, v99
	v_mbcnt_lo_u32_b32 v180, v99, 0
	v_cmp_ne_u32_e64 s21, 0, v99
	v_cmp_eq_u32_e64 s20, 0, v180
	s_and_b32 s21, s21, s20
	s_and_saveexec_b32 s20, s21
	s_cbranch_execz .LBB1015_88
; %bb.87:                               ;   in Loop: Header=BB1015_56 Depth=1
	s_waitcnt lgkmcnt(0)
	v_bcnt_u32_b32 v99, v99, v179
	ds_write_b32 v166, v99
.LBB1015_88:                            ;   in Loop: Header=BB1015_56 Depth=1
	s_or_b32 exec_lo, exec_lo, s20
	v_lshrrev_b32_sdwa v99, v10, v122 dst_sel:DWORD dst_unused:UNUSED_PAD src0_sel:DWORD src1_sel:WORD_0
	; wave barrier
	v_and_b32_e32 v83, v99, v83
	v_and_b32_e32 v99, 1, v83
	v_lshlrev_b32_e32 v101, 30, v83
	v_lshlrev_b32_e32 v103, 29, v83
	;; [unrolled: 1-line block ×4, first 2 shown]
	v_add_co_u32 v99, s20, v99, -1
	v_cndmask_b32_e64 v119, 0, 1, s20
	v_not_b32_e32 v182, v101
	v_cmp_gt_i32_e64 s21, 0, v101
	v_not_b32_e32 v101, v103
	v_lshlrev_b32_e32 v176, 26, v83
	v_cmp_ne_u32_e64 s20, 0, v119
	v_ashrrev_i32_e32 v182, 31, v182
	v_lshlrev_b32_e32 v181, 25, v83
	v_ashrrev_i32_e32 v101, 31, v101
	v_lshlrev_b32_e32 v119, 24, v83
	v_xor_b32_e32 v99, s20, v99
	v_cmp_gt_i32_e64 s20, 0, v103
	v_not_b32_e32 v103, v117
	v_xor_b32_e32 v182, s21, v182
	v_cmp_gt_i32_e64 s21, 0, v117
	v_and_b32_e32 v99, exec_lo, v99
	v_not_b32_e32 v117, v129
	v_ashrrev_i32_e32 v103, 31, v103
	v_xor_b32_e32 v101, s20, v101
	v_cmp_gt_i32_e64 s20, 0, v129
	v_and_b32_e32 v99, v99, v182
	v_not_b32_e32 v129, v176
	v_ashrrev_i32_e32 v117, 31, v117
	v_xor_b32_e32 v103, s21, v103
	v_cmp_gt_i32_e64 s21, 0, v176
	v_and_b32_e32 v99, v99, v101
	;; [unrolled: 5-line block ×3, first 2 shown]
	v_not_b32_e32 v103, v119
	v_ashrrev_i32_e32 v101, 31, v101
	v_xor_b32_e32 v129, s21, v129
	v_lshl_add_u32 v83, v83, 3, v63
	v_and_b32_e32 v99, v99, v117
	v_cmp_gt_i32_e64 s21, 0, v119
	v_ashrrev_i32_e32 v103, 31, v103
	v_xor_b32_e32 v101, s20, v101
	v_lshl_add_u32 v117, v83, 2, v12
	v_and_b32_e32 v99, v99, v129
	v_xor_b32_e32 v103, s21, v103
	ds_read_b32 v83, v117 offset:32
	v_and_b32_e32 v99, v99, v101
	v_add_nc_u32_e32 v176, 32, v117
	; wave barrier
	v_and_b32_e32 v99, v99, v103
	v_mbcnt_lo_u32_b32 v181, v99, 0
	v_cmp_ne_u32_e64 s21, 0, v99
	v_cmp_eq_u32_e64 s20, 0, v181
	s_and_b32 s21, s21, s20
	s_and_saveexec_b32 s20, s21
	s_cbranch_execz .LBB1015_90
; %bb.89:                               ;   in Loop: Header=BB1015_56 Depth=1
	s_waitcnt lgkmcnt(0)
	v_bcnt_u32_b32 v99, v99, v83
	ds_write_b32 v176, v99
.LBB1015_90:                            ;   in Loop: Header=BB1015_56 Depth=1
	s_or_b32 exec_lo, exec_lo, s20
	; wave barrier
	s_waitcnt lgkmcnt(0)
	s_barrier
	buffer_gl0_inv
	ds_read_b32 v99, v17
	ds_read_b32 v103, v49
	;; [unrolled: 1-line block ×8, first 2 shown]
	s_waitcnt lgkmcnt(6)
	v_add_nc_u32_e32 v193, v103, v99
	s_waitcnt lgkmcnt(4)
	v_add3_u32 v193, v193, v117, v119
	s_waitcnt lgkmcnt(2)
	v_add3_u32 v193, v193, v101, v129
	;; [unrolled: 2-line block ×3, first 2 shown]
	v_mov_b32_dpp v193, v192 row_shr:1 row_mask:0xf bank_mask:0xf
	v_cndmask_b32_e64 v193, v193, 0, vcc_lo
	v_add_nc_u32_e32 v192, v193, v192
	v_mov_b32_dpp v193, v192 row_shr:2 row_mask:0xf bank_mask:0xf
	v_cndmask_b32_e64 v193, 0, v193, s4
	v_add_nc_u32_e32 v192, v192, v193
	v_mov_b32_dpp v193, v192 row_shr:4 row_mask:0xf bank_mask:0xf
	v_cndmask_b32_e64 v193, 0, v193, s5
	;; [unrolled: 3-line block ×3, first 2 shown]
	v_add_nc_u32_e32 v192, v192, v193
	ds_swizzle_b32 v193, v192 offset:swizzle(BROADCAST,32,15)
	s_waitcnt lgkmcnt(0)
	v_cndmask_b32_e64 v193, v193, 0, s10
	v_add_nc_u32_e32 v192, v192, v193
	s_and_saveexec_b32 s20, s11
; %bb.91:                               ;   in Loop: Header=BB1015_56 Depth=1
	ds_write_b32 v9, v192
; %bb.92:                               ;   in Loop: Header=BB1015_56 Depth=1
	s_or_b32 exec_lo, exec_lo, s20
	s_waitcnt lgkmcnt(0)
	s_barrier
	buffer_gl0_inv
	s_and_saveexec_b32 s20, s14
	s_cbranch_execz .LBB1015_94
; %bb.93:                               ;   in Loop: Header=BB1015_56 Depth=1
	ds_read_b32 v193, v73
	s_waitcnt lgkmcnt(0)
	v_mov_b32_dpp v194, v193 row_shr:1 row_mask:0xf bank_mask:0xf
	v_cndmask_b32_e64 v194, v194, 0, s17
	v_add_nc_u32_e32 v193, v194, v193
	v_mov_b32_dpp v194, v193 row_shr:2 row_mask:0xf bank_mask:0xf
	v_cndmask_b32_e64 v194, 0, v194, s18
	v_add_nc_u32_e32 v193, v193, v194
	;; [unrolled: 3-line block ×3, first 2 shown]
	ds_write_b32 v73, v193
.LBB1015_94:                            ;   in Loop: Header=BB1015_56 Depth=1
	s_or_b32 exec_lo, exec_lo, s20
	v_mov_b32_e32 v193, 0
	s_waitcnt lgkmcnt(0)
	s_barrier
	buffer_gl0_inv
	s_and_saveexec_b32 s20, s15
; %bb.95:                               ;   in Loop: Header=BB1015_56 Depth=1
	v_add_nc_u32_e32 v193, -4, v9
	ds_read_b32 v193, v193
; %bb.96:                               ;   in Loop: Header=BB1015_56 Depth=1
	s_or_b32 exec_lo, exec_lo, s20
	s_waitcnt lgkmcnt(0)
	v_add_nc_u32_e32 v192, v193, v192
	v_add_nc_u32_e32 v10, 8, v10
	s_mov_b32 s24, -1
                                        ; implicit-def: $vgpr230_vgpr231
                                        ; implicit-def: $vgpr124
                                        ; implicit-def: $vgpr126
                                        ; implicit-def: $vgpr125
                                        ; implicit-def: $vgpr127
	ds_bpermute_b32 v192, v72, v192
	v_cmp_lt_u32_e64 s20, v10, v11
	s_waitcnt lgkmcnt(0)
	v_cndmask_b32_e64 v192, v192, v193, s6
	v_cndmask_b32_e64 v192, v192, 0, s16
	v_add_nc_u32_e32 v193, v192, v99
	v_mov_b32_e32 v99, v5
	v_add_nc_u32_e32 v194, v193, v103
	v_mov_b32_e32 v103, v5
	ds_write_b32 v17, v192
	ds_write_b32 v49, v193
	;; [unrolled: 1-line block ×3, first 2 shown]
	v_add_nc_u32_e32 v195, v194, v117
	v_mov_b32_e32 v117, v5
	v_add_nc_u32_e32 v196, v195, v119
	v_mov_b32_e32 v119, v5
	;; [unrolled: 2-line block ×4, first 2 shown]
	v_add_nc_u32_e32 v182, v198, v182
	ds_write_b32 v58, v195
	ds_write_b32 v59, v196
	;; [unrolled: 1-line block ×5, first 2 shown]
	s_waitcnt lgkmcnt(0)
	s_barrier
	buffer_gl0_inv
	ds_read_b32 v39, v39
	ds_read_b32 v82, v82
	;; [unrolled: 1-line block ×17, first 2 shown]
	v_mov_b32_e32 v147, v5
	v_mov_b32_e32 v151, v5
	s_waitcnt lgkmcnt(0)
	v_add_nc_u32_e32 v4, v39, v4
	v_add3_u32 v98, v81, v80, v82
	v_add3_u32 v100, v85, v84, v86
	;; [unrolled: 1-line block ×4, first 2 shown]
	v_lshlrev_b64 v[80:81], 1, v[4:5]
	v_add3_u32 v118, v115, v114, v192
	v_lshlrev_b64 v[84:85], 1, v[100:101]
	v_add3_u32 v150, v134, v133, v195
	;; [unrolled: 2-line block ×3, first 2 shown]
	v_add_co_u32 v196, s21, v12, v80
	v_add3_u32 v128, v130, v128, v193
	v_add3_u32 v164, v161, v160, v197
	v_add3_u32 v162, v163, v162, v198
	v_add3_u32 v133, v181, v83, v210
	v_lshlrev_b64 v[82:83], 1, v[98:99]
	v_lshlrev_b64 v[96:97], 1, v[116:117]
	v_add_co_ci_u32_e64 v197, null, v13, v81, s21
	v_add3_u32 v146, v132, v131, v194
	v_add3_u32 v160, v167, v165, v199
	v_add_co_u32 v198, s21, v12, v82
	v_add3_u32 v148, v178, v177, v208
	v_lshlrev_b64 v[112:113], 1, v[118:119]
	v_add_co_ci_u32_e64 v199, null, v13, v83, s21
	v_add_co_u32 v208, s21, v12, v84
	v_add3_u32 v176, v144, v135, v145
	v_add3_u32 v144, v180, v179, v209
	v_lshlrev_b64 v[114:115], 1, v[128:129]
	v_add_co_ci_u32_e64 v209, null, v13, v85, s21
	v_add_co_u32 v212, s21, v12, v86
	v_lshlrev_b64 v[129:130], 1, v[146:147]
	v_add_co_ci_u32_e64 v213, null, v13, v87, s21
	v_add_co_u32 v214, s21, v12, v96
	v_add_co_ci_u32_e64 v215, null, v13, v97, s21
	v_add_co_u32 v224, s21, v12, v112
	v_lshlrev_b64 v[80:81], 1, v[150:151]
	v_mov_b32_e32 v177, v5
	v_add_co_ci_u32_e64 v225, null, v13, v113, s21
	v_add_co_u32 v226, s21, v12, v114
	v_mov_b32_e32 v167, v5
	v_add_co_ci_u32_e64 v227, null, v13, v115, s21
	v_add_co_u32 v228, s21, v12, v129
	v_add_co_ci_u32_e64 v229, null, v13, v130, s21
	v_lshlrev_b64 v[82:83], 1, v[176:177]
	v_add_co_u32 v240, s21, v12, v80
	v_add_co_ci_u32_e64 v241, null, v13, v81, s21
	v_lshlrev_b64 v[80:81], 1, v[166:167]
	v_mov_b32_e32 v165, v5
	v_mov_b32_e32 v163, v5
	v_add_co_u32 v242, s21, v12, v82
	v_add_co_ci_u32_e64 v243, null, v13, v83, s21
	v_lshlrev_b64 v[82:83], 1, v[164:165]
	v_add_co_u32 v244, s21, v12, v80
	v_add_co_ci_u32_e64 v245, null, v13, v81, s21
	v_lshlrev_b64 v[80:81], 1, v[162:163]
	v_mov_b32_e32 v161, v5
	v_mov_b32_e32 v149, v5
	v_add_co_u32 v246, s21, v12, v82
	v_add_co_ci_u32_e64 v247, null, v13, v83, s21
	v_lshlrev_b64 v[82:83], 1, v[160:161]
	v_add_co_u32 v39, s21, v12, v80
	v_add_co_ci_u32_e64 v40, null, v13, v81, s21
	v_lshlrev_b64 v[80:81], 1, v[148:149]
	v_mov_b32_e32 v145, v5
	v_mov_b32_e32 v134, v5
	v_add_co_u32 v41, s21, v12, v82
	v_add_co_ci_u32_e64 v42, null, v13, v83, s21
	v_lshlrev_b64 v[82:83], 1, v[144:145]
	v_add_co_u32 v45, s21, v12, v80
	v_add_co_ci_u32_e64 v46, null, v13, v81, s21
	v_lshlrev_b64 v[80:81], 1, v[133:134]
	v_add_co_u32 v56, s21, v12, v82
	v_add_co_ci_u32_e64 v57, null, v13, v83, s21
                                        ; implicit-def: $vgpr82_vgpr83
                                        ; implicit-def: $vgpr86_vgpr87
                                        ; implicit-def: $vgpr84_vgpr85
                                        ; implicit-def: $vgpr96_vgpr97
                                        ; implicit-def: $vgpr114_vgpr115
                                        ; implicit-def: $vgpr112_vgpr113
                                        ; implicit-def: $vgpr129_vgpr130
                                        ; implicit-def: $vgpr131_vgpr132
                                        ; implicit-def: $vgpr134_vgpr135
                                        ; implicit-def: $vgpr177_vgpr178
                                        ; implicit-def: $vgpr179_vgpr180
                                        ; implicit-def: $vgpr181_vgpr182
                                        ; implicit-def: $vgpr192_vgpr193
                                        ; implicit-def: $vgpr194_vgpr195
                                        ; implicit-def: $vgpr210_vgpr211
                                        ; implicit-def: $vgpr101
                                        ; implicit-def: $vgpr99
                                        ; implicit-def: $vgpr103
                                        ; implicit-def: $vgpr117
                                        ; implicit-def: $vgpr145
                                        ; implicit-def: $vgpr119
                                        ; implicit-def: $vgpr149
                                        ; implicit-def: $vgpr147
                                        ; implicit-def: $vgpr161
                                        ; implicit-def: $vgpr151
                                        ; implicit-def: $vgpr165
                                        ; implicit-def: $vgpr163
                                        ; implicit-def: $vgpr167
	v_add_co_u32 v43, s21, v12, v80
	v_add_co_ci_u32_e64 v44, null, v13, v81, s21
                                        ; implicit-def: $vgpr80_vgpr81
	s_and_saveexec_b32 s21, s20
	s_cbranch_execz .LBB1015_55
; %bb.97:                               ;   in Loop: Header=BB1015_56 Depth=1
	v_add_nc_u32_e32 v80, 64, v8
	v_add_nc_u32_e32 v81, 0x80, v8
	s_barrier
	buffer_gl0_inv
	ds_write_b16 v196, v91
	ds_write_b16 v198, v94
	;; [unrolled: 1-line block ×17, first 2 shown]
	s_waitcnt lgkmcnt(0)
	s_barrier
	buffer_gl0_inv
	ds_read_u16 v101, v8
	ds_read_u16 v99, v80
	ds_read_u16 v103, v81
	v_add_nc_u32_e32 v80, 0xc0, v8
	v_add_nc_u32_e32 v81, 0x100, v8
	;; [unrolled: 1-line block ×5, first 2 shown]
	ds_read_u16 v117, v80
	ds_read_u16 v145, v81
	;; [unrolled: 1-line block ×5, first 2 shown]
	v_add_nc_u32_e32 v80, 0x200, v8
	v_add_nc_u32_e32 v81, 0x240, v8
	;; [unrolled: 1-line block ×5, first 2 shown]
	ds_read_u16 v161, v80
	ds_read_u16 v151, v81
	;; [unrolled: 1-line block ×5, first 2 shown]
	v_mad_u64_u32 v[80:81], null, v4, 6, v[196:197]
	v_add_nc_u32_e32 v82, 0x340, v8
	v_add_nc_u32_e32 v83, 0x380, v8
	;; [unrolled: 1-line block ×4, first 2 shown]
	ds_read_u16 v124, v82
	ds_read_u16 v126, v83
	;; [unrolled: 1-line block ×4, first 2 shown]
	s_waitcnt lgkmcnt(0)
	s_barrier
	buffer_gl0_inv
	ds_write_b64 v80, v[19:20]
	v_mad_u64_u32 v[80:81], null, v98, 6, v[198:199]
	v_mad_u64_u32 v[81:82], null, v100, 6, v[208:209]
	;; [unrolled: 1-line block ×8, first 2 shown]
	ds_write_b64 v80, v[15:16]
	ds_write_b64 v81, v[66:67]
	;; [unrolled: 1-line block ×8, first 2 shown]
	v_mad_u64_u32 v[80:81], null, v176, 6, v[242:243]
	v_mad_u64_u32 v[81:82], null, v166, 6, v[244:245]
	;; [unrolled: 1-line block ×8, first 2 shown]
	ds_write_b64 v80, v[64:65]
	ds_write_b64 v81, v[54:55]
	;; [unrolled: 1-line block ×8, first 2 shown]
	v_add_nc_u32_e32 v96, 0x400, v14
	v_add_nc_u32_e32 v80, 0x100, v14
	;; [unrolled: 1-line block ×8, first 2 shown]
	s_waitcnt lgkmcnt(0)
	s_barrier
	buffer_gl0_inv
	ds_read_b64 v[82:83], v14
	ds_read_b64 v[86:87], v80
	;; [unrolled: 1-line block ×17, first 2 shown]
	v_add_nc_u32_e32 v90, -8, v90
	s_xor_b32 s24, exec_lo, -1
	s_waitcnt lgkmcnt(0)
	s_barrier
	buffer_gl0_inv
	s_branch .LBB1015_55
.LBB1015_98:
	s_or_b32 exec_lo, exec_lo, s23
	v_lshl_add_u32 v5, v18, 1, v12
	v_lshl_add_u32 v4, v4, 3, v12
	;; [unrolled: 1-line block ×4, first 2 shown]
	s_barrier
	buffer_gl0_inv
	ds_write_b16 v196, v91
	ds_write_b16 v198, v94
	;; [unrolled: 1-line block ×17, first 2 shown]
	s_waitcnt lgkmcnt(0)
	s_barrier
	buffer_gl0_inv
	ds_read_u16 v115, v5
	ds_read_u16 v114, v5 offset:512
	ds_read_u16 v113, v5 offset:1024
	;; [unrolled: 1-line block ×16, first 2 shown]
	s_waitcnt lgkmcnt(0)
	s_barrier
	buffer_gl0_inv
	ds_write_b64 v4, v[19:20]
	ds_write_b64 v8, v[15:16]
	;; [unrolled: 1-line block ×3, first 2 shown]
	v_lshl_add_u32 v4, v102, 3, v12
	v_lshl_add_u32 v8, v116, 3, v12
	;; [unrolled: 1-line block ×5, first 2 shown]
	ds_write_b64 v4, v[33:34]
	ds_write_b64 v8, v[31:32]
	;; [unrolled: 1-line block ×5, first 2 shown]
	v_lshl_add_u32 v4, v150, 3, v12
	v_lshl_add_u32 v8, v176, 3, v12
	;; [unrolled: 1-line block ×5, first 2 shown]
	ds_write_b64 v4, v[35:36]
	ds_write_b64 v8, v[64:65]
	ds_write_b64 v9, v[54:55]
	ds_write_b64 v10, v[52:53]
	ds_write_b64 v11, v[37:38]
	v_lshl_add_u32 v4, v160, 3, v12
	v_mul_u32_u24_e32 v10, 6, v18
	v_lshl_add_u32 v8, v148, 3, v12
	v_lshl_add_u32 v9, v144, 3, v12
	;; [unrolled: 1-line block ×3, first 2 shown]
	ds_write_b64 v4, v[27:28]
	ds_write_b64 v8, v[25:26]
	;; [unrolled: 1-line block ×3, first 2 shown]
	v_add_nc_u32_e32 v4, v5, v10
	v_mov_b32_e32 v49, 0
	ds_write_b64 v11, v[21:22]
	s_waitcnt lgkmcnt(0)
	s_barrier
	buffer_gl0_inv
	ds_read2st64_b64 v[36:39], v4 offset1:4
	ds_read2st64_b64 v[32:35], v4 offset0:8 offset1:12
	ds_read2st64_b64 v[28:31], v4 offset0:16 offset1:20
	;; [unrolled: 1-line block ×7, first 2 shown]
	ds_read_b64 v[4:5], v4 offset:32768
	v_lshlrev_b64 v[52:53], 1, v[48:49]
	v_add_co_u32 v2, vcc_lo, v2, v50
	v_add_co_ci_u32_e64 v3, null, v3, v51, vcc_lo
	s_waitcnt lgkmcnt(0)
	v_add_co_u32 v2, vcc_lo, v2, v52
	v_add_co_ci_u32_e64 v3, null, v3, v53, vcc_lo
	v_cmp_lt_u32_e32 vcc_lo, v48, v183
	s_barrier
	buffer_gl0_inv
	s_and_saveexec_b32 s4, vcc_lo
	s_cbranch_execz .LBB1015_100
; %bb.99:
	v_xor_b32_e32 v50, 0xffff8000, v115
	flat_store_short v[2:3], v50
.LBB1015_100:
	s_or_b32 exec_lo, exec_lo, s4
	v_add_nc_u32_e32 v50, 0x100, v48
	v_cmp_lt_u32_e64 s7, v50, v183
	s_and_saveexec_b32 s4, s7
	s_cbranch_execz .LBB1015_102
; %bb.101:
	v_xor_b32_e32 v50, 0xffff8000, v114
	flat_store_short v[2:3], v50 offset:512
.LBB1015_102:
	s_or_b32 exec_lo, exec_lo, s4
	v_add_nc_u32_e32 v50, 0x200, v48
	v_cmp_lt_u32_e64 s6, v50, v183
	s_and_saveexec_b32 s4, s6
	s_cbranch_execz .LBB1015_104
; %bb.103:
	v_xor_b32_e32 v50, 0xffff8000, v113
	flat_store_short v[2:3], v50 offset:1024
.LBB1015_104:
	;; [unrolled: 9-line block ×3, first 2 shown]
	s_or_b32 exec_lo, exec_lo, s4
	v_add_nc_u32_e32 v50, 0x400, v48
	v_cmp_lt_u32_e64 s4, v50, v183
	s_and_saveexec_b32 s11, s4
	s_cbranch_execz .LBB1015_108
; %bb.107:
	v_add_co_u32 v50, s10, 0x800, v2
	v_xor_b32_e32 v52, 0xffff8000, v103
	v_add_co_ci_u32_e64 v51, null, 0, v3, s10
	flat_store_short v[50:51], v52
.LBB1015_108:
	s_or_b32 exec_lo, exec_lo, s11
	v_add_nc_u32_e32 v50, 0x500, v48
	v_cmp_lt_u32_e64 s10, v50, v183
	s_and_saveexec_b32 s14, s10
	s_cbranch_execz .LBB1015_110
; %bb.109:
	v_add_co_u32 v50, s11, 0x800, v2
	v_xor_b32_e32 v52, 0xffff8000, v101
	v_add_co_ci_u32_e64 v51, null, 0, v3, s11
	flat_store_short v[50:51], v52 offset:512
.LBB1015_110:
	s_or_b32 exec_lo, exec_lo, s14
	v_add_nc_u32_e32 v50, 0x600, v48
	v_cmp_lt_u32_e64 s11, v50, v183
	s_and_saveexec_b32 s15, s11
	s_cbranch_execz .LBB1015_112
; %bb.111:
	v_add_co_u32 v50, s14, 0x800, v2
	v_xor_b32_e32 v52, 0xffff8000, v99
	v_add_co_ci_u32_e64 v51, null, 0, v3, s14
	flat_store_short v[50:51], v52 offset:1024
.LBB1015_112:
	s_or_b32 exec_lo, exec_lo, s15
	v_add_nc_u32_e32 v50, 0x700, v48
	v_cmp_lt_u32_e64 s14, v50, v183
	s_and_saveexec_b32 s16, s14
	s_cbranch_execz .LBB1015_114
; %bb.113:
	v_add_co_u32 v50, s15, 0x800, v2
	v_xor_b32_e32 v52, 0xffff8000, v97
	v_add_co_ci_u32_e64 v51, null, 0, v3, s15
	flat_store_short v[50:51], v52 offset:1536
.LBB1015_114:
	s_or_b32 exec_lo, exec_lo, s16
	v_add_nc_u32_e32 v50, 0x800, v48
	v_cmp_lt_u32_e64 s15, v50, v183
	s_and_saveexec_b32 s17, s15
	s_cbranch_execz .LBB1015_116
; %bb.115:
	v_add_co_u32 v50, s16, 0x1000, v2
	v_xor_b32_e32 v52, 0xffff8000, v96
	v_add_co_ci_u32_e64 v51, null, 0, v3, s16
	flat_store_short v[50:51], v52
.LBB1015_116:
	s_or_b32 exec_lo, exec_lo, s17
	v_add_nc_u32_e32 v50, 0x900, v48
	v_cmp_lt_u32_e64 s16, v50, v183
	s_and_saveexec_b32 s18, s16
	s_cbranch_execz .LBB1015_118
; %bb.117:
	v_add_co_u32 v50, s17, 0x1000, v2
	v_xor_b32_e32 v52, 0xffff8000, v87
	v_add_co_ci_u32_e64 v51, null, 0, v3, s17
	flat_store_short v[50:51], v52 offset:512
.LBB1015_118:
	s_or_b32 exec_lo, exec_lo, s18
	v_add_nc_u32_e32 v50, 0xa00, v48
	v_cmp_lt_u32_e64 s17, v50, v183
	s_and_saveexec_b32 s19, s17
	s_cbranch_execz .LBB1015_120
; %bb.119:
	v_add_co_u32 v50, s18, 0x1000, v2
	v_xor_b32_e32 v52, 0xffff8000, v86
	v_add_co_ci_u32_e64 v51, null, 0, v3, s18
	flat_store_short v[50:51], v52 offset:1024
.LBB1015_120:
	s_or_b32 exec_lo, exec_lo, s19
	v_add_nc_u32_e32 v50, 0xb00, v48
	v_cmp_lt_u32_e64 s18, v50, v183
	s_and_saveexec_b32 s20, s18
	s_cbranch_execz .LBB1015_122
; %bb.121:
	v_add_co_u32 v50, s19, 0x1000, v2
	v_xor_b32_e32 v52, 0xffff8000, v85
	v_add_co_ci_u32_e64 v51, null, 0, v3, s19
	flat_store_short v[50:51], v52 offset:1536
.LBB1015_122:
	;; [unrolled: 44-line block ×3, first 2 shown]
	s_or_b32 exec_lo, exec_lo, s24
	v_add_nc_u32_e32 v50, 0x1000, v48
	v_cmp_lt_u32_e64 s23, v50, v183
	s_and_saveexec_b32 s27, s23
	s_cbranch_execz .LBB1015_132
; %bb.131:
	v_add_co_u32 v2, s24, 0x2000, v2
	v_xor_b32_e32 v50, 0xffff8000, v80
	v_add_co_ci_u32_e64 v3, null, 0, v3, s24
	flat_store_short v[2:3], v50
.LBB1015_132:
	s_or_b32 exec_lo, exec_lo, s27
	v_lshlrev_b64 v[2:3], 3, v[48:49]
	v_add_co_u32 v0, s24, v6, v0
	v_add_co_ci_u32_e64 v1, null, v7, v1, s24
	v_add_co_u32 v0, s24, v0, v2
	v_add_co_ci_u32_e64 v1, null, v1, v3, s24
	s_and_saveexec_b32 s24, vcc_lo
	s_cbranch_execnz .LBB1015_220
; %bb.133:
	s_or_b32 exec_lo, exec_lo, s24
	s_and_saveexec_b32 s24, s7
	s_cbranch_execnz .LBB1015_221
.LBB1015_134:
	s_or_b32 exec_lo, exec_lo, s24
	s_and_saveexec_b32 s7, s6
	s_cbranch_execnz .LBB1015_222
.LBB1015_135:
	s_or_b32 exec_lo, exec_lo, s7
	s_and_saveexec_b32 s6, s5
	s_cbranch_execnz .LBB1015_223
.LBB1015_136:
	s_or_b32 exec_lo, exec_lo, s6
	s_and_saveexec_b32 s5, s4
	s_cbranch_execnz .LBB1015_224
.LBB1015_137:
	s_or_b32 exec_lo, exec_lo, s5
	s_and_saveexec_b32 s4, s10
	s_cbranch_execnz .LBB1015_225
.LBB1015_138:
	s_or_b32 exec_lo, exec_lo, s4
	s_and_saveexec_b32 s4, s11
	s_cbranch_execnz .LBB1015_226
.LBB1015_139:
	s_or_b32 exec_lo, exec_lo, s4
	s_and_saveexec_b32 s4, s14
	s_cbranch_execnz .LBB1015_227
.LBB1015_140:
	s_or_b32 exec_lo, exec_lo, s4
	s_and_saveexec_b32 s4, s15
	s_cbranch_execnz .LBB1015_228
.LBB1015_141:
	s_or_b32 exec_lo, exec_lo, s4
	s_and_saveexec_b32 s4, s16
	s_cbranch_execnz .LBB1015_229
.LBB1015_142:
	s_or_b32 exec_lo, exec_lo, s4
	s_and_saveexec_b32 s4, s17
	s_cbranch_execnz .LBB1015_230
.LBB1015_143:
	s_or_b32 exec_lo, exec_lo, s4
	s_and_saveexec_b32 s4, s18
	s_cbranch_execnz .LBB1015_231
.LBB1015_144:
	s_or_b32 exec_lo, exec_lo, s4
	s_and_saveexec_b32 s4, s19
	s_cbranch_execnz .LBB1015_232
.LBB1015_145:
	s_or_b32 exec_lo, exec_lo, s4
	s_and_saveexec_b32 s4, s20
	s_cbranch_execnz .LBB1015_233
.LBB1015_146:
	s_or_b32 exec_lo, exec_lo, s4
	s_and_saveexec_b32 s4, s21
	s_cbranch_execnz .LBB1015_234
.LBB1015_147:
	s_or_b32 exec_lo, exec_lo, s4
	s_and_saveexec_b32 s4, s22
	s_cbranch_execnz .LBB1015_235
.LBB1015_148:
	s_or_b32 exec_lo, exec_lo, s4
	s_and_saveexec_b32 s4, s23
	s_cbranch_execz .LBB1015_150
.LBB1015_149:
	v_add_co_u32 v0, vcc_lo, 0x8000, v0
	v_add_co_ci_u32_e64 v1, null, 0, v1, vcc_lo
	flat_store_dwordx2 v[0:1], v[4:5]
.LBB1015_150:
	s_or_b32 exec_lo, exec_lo, s4
                                        ; implicit-def: $vgpr183
                                        ; implicit-def: $vgpr0
                                        ; implicit-def: $vgpr1
                                        ; implicit-def: $vgpr2
                                        ; implicit-def: $vgpr3
                                        ; implicit-def: $vgpr4
                                        ; implicit-def: $vgpr5
                                        ; implicit-def: $vgpr6
                                        ; implicit-def: $vgpr7
                                        ; implicit-def: $vgpr8
                                        ; implicit-def: $vgpr10
                                        ; implicit-def: $vgpr11
                                        ; implicit-def: $vgpr12
                                        ; implicit-def: $vgpr13
                                        ; implicit-def: $vgpr14
                                        ; implicit-def: $vgpr15
                                        ; implicit-def: $vgpr18
                                        ; implicit-def: $vgpr33
.LBB1015_151:
	s_andn2_saveexec_b32 s4, s26
	s_cbranch_execz .LBB1015_382
; %bb.152:
	s_mov_b32 s4, exec_lo
	v_cmpx_lt_u32_e32 0x400, v183
	s_xor_b32 s22, exec_lo, s4
	s_cbranch_execz .LBB1015_262
; %bb.153:
	s_load_dwordx2 s[4:5], s[8:9], 0x0
	v_mov_b32_e32 v9, 0
	v_lshlrev_b64 v[26:27], 1, v[8:9]
	v_mov_b32_e32 v20, v9
	v_add_co_u32 v22, vcc_lo, v0, v26
	v_add_co_ci_u32_e64 v23, null, v1, v27, vcc_lo
	s_waitcnt lgkmcnt(0)
	s_cmp_lt_u32 s13, s5
	s_cselect_b32 s5, 14, 20
	s_add_u32 s6, s8, s5
	s_addc_u32 s7, s9, 0
	s_cmp_lt_u32 s12, s4
	global_load_ushort v16, v9, s[6:7]
	s_cselect_b32 s4, 12, 18
	s_add_u32 s4, s8, s4
	s_addc_u32 s5, s9, 0
	global_load_ushort v17, v9, s[4:5]
	s_waitcnt vmcnt(1)
	v_mad_u32_u24 v14, v15, v16, v14
	s_waitcnt vmcnt(0)
	v_mad_u64_u32 v[24:25], null, v14, v17, v[18:19]
	v_lshlrev_b32_e32 v17, 1, v33
	v_mov_b32_e32 v14, 0x7fff7fff
	v_add_co_u32 v17, vcc_lo, v22, v17
	v_lshlrev_b32_e32 v19, 3, v24
	v_add_co_ci_u32_e64 v22, null, 0, v23, vcc_lo
	v_mov_b32_e32 v15, v14
	v_mov_b32_e32 v16, v14
	v_and_b32_e32 v19, 0xffffff00, v19
	v_lshlrev_b64 v[0:1], 1, v[19:20]
	v_or_b32_e32 v21, v19, v33
	v_cmp_lt_u32_e32 vcc_lo, v21, v183
	v_add_co_u32 v0, s4, v17, v0
	v_add_co_ci_u32_e64 v1, null, v22, v1, s4
	v_mov_b32_e32 v17, v14
	s_and_saveexec_b32 s4, vcc_lo
	s_cbranch_execz .LBB1015_155
; %bb.154:
	v_mov_b32_e32 v28, 0x7fff0000
	v_mov_b32_e32 v29, v14
	;; [unrolled: 1-line block ×4, first 2 shown]
	flat_load_short_d16 v28, v[0:1]
	s_waitcnt vmcnt(0) lgkmcnt(0)
	v_mov_b32_e32 v14, v28
	v_mov_b32_e32 v15, v29
	;; [unrolled: 1-line block ×4, first 2 shown]
.LBB1015_155:
	s_or_b32 exec_lo, exec_lo, s4
	v_or_b32_e32 v22, 32, v21
	v_cmp_lt_u32_e64 s4, v22, v183
	s_and_saveexec_b32 s5, s4
	s_cbranch_execz .LBB1015_157
; %bb.156:
	flat_load_short_d16_hi v14, v[0:1] offset:64
.LBB1015_157:
	s_or_b32 exec_lo, exec_lo, s5
	v_or_b32_e32 v22, 64, v21
	v_cmp_lt_u32_e64 s5, v22, v183
	s_and_saveexec_b32 s6, s5
	s_cbranch_execz .LBB1015_159
; %bb.158:
	flat_load_short_d16 v15, v[0:1] offset:128
.LBB1015_159:
	s_or_b32 exec_lo, exec_lo, s6
	v_or_b32_e32 v22, 0x60, v21
	v_cmp_lt_u32_e64 s6, v22, v183
	s_and_saveexec_b32 s7, s6
	s_cbranch_execz .LBB1015_161
; %bb.160:
	s_waitcnt vmcnt(0) lgkmcnt(0)
	flat_load_short_d16_hi v15, v[0:1] offset:192
.LBB1015_161:
	s_or_b32 exec_lo, exec_lo, s7
	v_or_b32_e32 v22, 0x80, v21
	v_cmp_lt_u32_e64 s7, v22, v183
	s_and_saveexec_b32 s10, s7
	s_cbranch_execz .LBB1015_163
; %bb.162:
	flat_load_short_d16 v16, v[0:1] offset:256
.LBB1015_163:
	s_or_b32 exec_lo, exec_lo, s10
	v_or_b32_e32 v22, 0xa0, v21
	v_cmp_lt_u32_e64 s10, v22, v183
	s_and_saveexec_b32 s11, s10
	s_cbranch_execz .LBB1015_165
; %bb.164:
	s_waitcnt vmcnt(0) lgkmcnt(0)
	flat_load_short_d16_hi v16, v[0:1] offset:320
.LBB1015_165:
	;; [unrolled: 17-line block ×3, first 2 shown]
	s_or_b32 exec_lo, exec_lo, s15
	v_lshlrev_b64 v[0:1], 3, v[8:9]
	v_lshlrev_b32_e32 v8, 3, v33
                                        ; implicit-def: $vgpr36_vgpr37
	v_add_co_u32 v9, s15, v4, v0
	v_add_co_ci_u32_e64 v21, null, v5, v1, s15
	v_lshlrev_b64 v[4:5], 3, v[19:20]
	v_add_co_u32 v8, s15, v9, v8
	v_add_co_ci_u32_e64 v9, null, 0, v21, s15
	v_add_co_u32 v4, s15, v8, v4
	v_add_co_ci_u32_e64 v5, null, v9, v5, s15
	s_and_saveexec_b32 s15, vcc_lo
	s_cbranch_execnz .LBB1015_295
; %bb.170:
	s_or_b32 exec_lo, exec_lo, s15
                                        ; implicit-def: $vgpr48_vgpr49
	s_and_saveexec_b32 s15, s4
	s_cbranch_execnz .LBB1015_296
.LBB1015_171:
	s_or_b32 exec_lo, exec_lo, s15
                                        ; implicit-def: $vgpr50_vgpr51
	s_and_saveexec_b32 s4, s5
	s_cbranch_execnz .LBB1015_297
.LBB1015_172:
	s_or_b32 exec_lo, exec_lo, s4
                                        ; implicit-def: $vgpr52_vgpr53
	s_and_saveexec_b32 s4, s6
	s_cbranch_execnz .LBB1015_298
.LBB1015_173:
	s_or_b32 exec_lo, exec_lo, s4
                                        ; implicit-def: $vgpr54_vgpr55
	s_and_saveexec_b32 s4, s7
	s_cbranch_execnz .LBB1015_299
.LBB1015_174:
	s_or_b32 exec_lo, exec_lo, s4
                                        ; implicit-def: $vgpr64_vgpr65
	s_and_saveexec_b32 s4, s10
	s_cbranch_execnz .LBB1015_300
.LBB1015_175:
	s_or_b32 exec_lo, exec_lo, s4
                                        ; implicit-def: $vgpr34_vgpr35
	s_and_saveexec_b32 s4, s11
	s_cbranch_execnz .LBB1015_301
.LBB1015_176:
	s_or_b32 exec_lo, exec_lo, s4
                                        ; implicit-def: $vgpr38_vgpr39
	s_and_saveexec_b32 s4, s14
	s_cbranch_execz .LBB1015_178
.LBB1015_177:
	flat_load_dwordx2 v[38:39], v[4:5] offset:1792
.LBB1015_178:
	s_or_b32 exec_lo, exec_lo, s4
	v_lshl_add_u32 v5, v18, 5, v12
	v_mov_b32_e32 v4, 0xffff8000
	s_waitcnt vmcnt(0) lgkmcnt(0)
	v_xor_b32_e32 v8, 0xffff8000, v17
	v_xor_b32_e32 v9, 0xffff8000, v16
	;; [unrolled: 1-line block ×3, first 2 shown]
	v_add_nc_u32_e32 v23, 32, v5
	v_add_nc_u32_e32 v25, 36, v5
	;; [unrolled: 1-line block ×8, first 2 shown]
	v_and_b32_e32 v5, 0x3e0, v18
	v_xor_b32_sdwa v17, v17, v4 dst_sel:DWORD dst_unused:UNUSED_PAD src0_sel:WORD_1 src1_sel:DWORD
	v_xor_b32_sdwa v16, v16, v4 dst_sel:DWORD dst_unused:UNUSED_PAD src0_sel:WORD_1 src1_sel:DWORD
	;; [unrolled: 1-line block ×3, first 2 shown]
	v_xor_b32_e32 v20, 0xffff8000, v14
	v_xor_b32_sdwa v4, v14, v4 dst_sel:DWORD dst_unused:UNUSED_PAD src0_sel:WORD_1 src1_sel:DWORD
	v_lshlrev_b32_e32 v14, 3, v18
	v_and_b32_e32 v21, 15, v33
	v_min_u32_e32 v5, 0xe0, v5
	v_sub_co_u32 v28, s6, v33, 1
	s_getpc_b64 s[4:5]
	s_add_u32 s4, s4, _ZN7rocprim17ROCPRIM_400000_NS16block_radix_sortIsLj256ELj8ElLj1ELj1ELj8ELNS0_26block_radix_rank_algorithmE2ELNS0_18block_padding_hintE2ELNS0_4arch9wavefront6targetE0EE19radix_bits_per_passE@rel32@lo+4
	s_addc_u32 s5, s5, _ZN7rocprim17ROCPRIM_400000_NS16block_radix_sortIsLj256ELj8ElLj1ELj1ELj8ELNS0_26block_radix_rank_algorithmE2ELNS0_18block_padding_hintE2ELNS0_4arch9wavefront6targetE0EE19radix_bits_per_passE@rel32@hi+12
	v_cmp_eq_u32_e32 vcc_lo, 0, v21
	s_load_dword s23, s[4:5], 0x0
	v_cmp_lt_u32_e64 s4, 1, v21
	v_cmp_lt_u32_e64 s5, 3, v21
	v_and_b32_e32 v22, 16, v33
	v_cmp_lt_u32_e64 s7, 7, v21
	v_or_b32_e32 v5, 31, v5
	v_lshrrev_b32_e32 v21, 3, v18
	v_cmp_gt_i32_e64 s11, 0, v28
	v_and_or_b32 v14, 0x1f00, v14, v33
	v_cmp_eq_u32_e64 s10, 0, v22
	v_lshrrev_b32_e32 v134, 5, v24
	v_cmp_gt_u32_e64 s14, 8, v18
	v_cndmask_b32_e64 v22, v28, v33, s11
	v_cmp_eq_u32_e64 s11, v18, v5
	v_and_b32_e32 v5, 0x7c, v21
	v_lshl_add_u32 v146, v14, 1, v12
	v_mul_u32_u24_e32 v14, 6, v14
	v_and_b32_e32 v21, 7, v33
	v_cmp_lt_u32_e64 s15, 31, v18
	v_add_nc_u32_e32 v144, v12, v5
	v_lshlrev_b32_e32 v135, 2, v22
	v_add_nc_u32_e32 v151, v146, v14
	v_cmp_eq_u32_e64 s16, 0, v18
	v_mov_b32_e32 v5, 0
	v_lshl_add_u32 v145, v18, 2, v12
	v_cmp_eq_u32_e64 s17, 0, v21
	v_cmp_lt_u32_e64 s18, 1, v21
	v_cmp_lt_u32_e64 s19, 3, v21
	v_add_nc_u32_e32 v147, -4, v144
	v_add_nc_u32_e32 v148, 64, v146
	v_add_nc_u32_e32 v149, 0x80, v146
	;; [unrolled: 1-line block ×14, first 2 shown]
	v_perm_b32 v180, v4, v20, 0x5040100
	v_perm_b32 v67, v15, v19, 0x5040100
	;; [unrolled: 1-line block ×4, first 2 shown]
	v_sub_nc_u32_e32 v179, v11, v10
	s_mov_b32 s24, 0
	s_waitcnt lgkmcnt(0)
	s_waitcnt_vscnt null, 0x0
	s_barrier
	buffer_gl0_inv
	s_branch .LBB1015_180
.LBB1015_179:                           ;   in Loop: Header=BB1015_180 Depth=1
	s_or_b32 exec_lo, exec_lo, s21
	s_and_b32 s20, exec_lo, s26
	s_or_b32 s24, s20, s24
	s_andn2_b32 exec_lo, exec_lo, s24
	s_cbranch_execz .LBB1015_236
.LBB1015_180:                           ; =>This Inner Loop Header: Depth=1
	v_min_u32_e32 v4, s23, v179
	v_lshrrev_b32_sdwa v8, v10, v180 dst_sel:DWORD dst_unused:UNUSED_PAD src0_sel:DWORD src1_sel:WORD_0
	v_mov_b32_e32 v28, v36
	v_mov_b32_e32 v29, v37
	v_mov_b32_e32 v19, v50
	v_lshlrev_b32_e64 v4, v4, -1
	v_mov_b32_e32 v20, v51
	v_mov_b32_e32 v21, v48
	;; [unrolled: 1-line block ×4, first 2 shown]
	v_not_b32_e32 v66, v4
	v_mov_b32_e32 v14, v54
	v_mov_b32_e32 v181, v71
	;; [unrolled: 1-line block ×4, first 2 shown]
	v_and_b32_e32 v4, v8, v66
	v_mov_b32_e32 v8, v64
	v_mov_b32_e32 v17, v53
	;; [unrolled: 1-line block ×4, first 2 shown]
	v_and_b32_e32 v30, 1, v4
	v_lshlrev_b32_e32 v31, 30, v4
	v_lshlrev_b32_e32 v32, 29, v4
	;; [unrolled: 1-line block ×4, first 2 shown]
	v_add_co_u32 v30, s20, v30, -1
	v_cndmask_b32_e64 v36, 0, 1, s20
	v_not_b32_e32 v50, v31
	v_cmp_gt_i32_e64 s21, 0, v31
	v_not_b32_e32 v31, v32
	v_lshlrev_b32_e32 v48, 26, v4
	v_cmp_ne_u32_e64 s20, 0, v36
	v_ashrrev_i32_e32 v50, 31, v50
	v_lshlrev_b32_e32 v49, 25, v4
	v_ashrrev_i32_e32 v31, 31, v31
	v_lshlrev_b32_e32 v36, 24, v4
	v_xor_b32_e32 v30, s20, v30
	v_cmp_gt_i32_e64 s20, 0, v32
	v_not_b32_e32 v32, v33
	v_xor_b32_e32 v50, s21, v50
	v_cmp_gt_i32_e64 s21, 0, v33
	v_and_b32_e32 v30, exec_lo, v30
	v_not_b32_e32 v33, v37
	v_ashrrev_i32_e32 v32, 31, v32
	v_xor_b32_e32 v31, s20, v31
	v_cmp_gt_i32_e64 s20, 0, v37
	v_and_b32_e32 v30, v30, v50
	v_not_b32_e32 v37, v48
	v_ashrrev_i32_e32 v33, 31, v33
	v_xor_b32_e32 v32, s21, v32
	v_cmp_gt_i32_e64 s21, 0, v48
	v_and_b32_e32 v30, v30, v31
	;; [unrolled: 5-line block ×4, first 2 shown]
	v_mov_b32_e32 v30, v34
	v_mov_b32_e32 v31, v35
	v_ashrrev_i32_e32 v34, 31, v32
	v_xor_b32_e32 v35, s20, v48
	v_and_b32_e32 v36, v33, v37
	v_lshlrev_b32_e32 v4, 3, v4
	v_mov_b32_e32 v32, v38
	v_xor_b32_e32 v34, s21, v34
	v_mov_b32_e32 v33, v39
	v_and_b32_e32 v35, v36, v35
	ds_write_b32 v23, v5
	ds_write_b32 v25, v5
	;; [unrolled: 1-line block ×7, first 2 shown]
	v_and_b32_e32 v35, v35, v34
	v_add_lshl_u32 v34, v4, v134, 2
	ds_write_b32 v133, v5
	s_waitcnt lgkmcnt(0)
	s_barrier
	v_mbcnt_lo_u32_b32 v4, v35, 0
	v_add_co_u32 v34, null, v12, v34
	v_cmp_ne_u32_e64 s21, 0, v35
	buffer_gl0_inv
	v_cmp_eq_u32_e64 s20, 0, v4
	v_add_co_u32 v34, null, v34, 32
	; wave barrier
	s_and_b32 s21, s21, s20
	s_and_saveexec_b32 s20, s21
; %bb.181:                              ;   in Loop: Header=BB1015_180 Depth=1
	v_bcnt_u32_b32 v35, v35, 0
	ds_write_b32 v34, v35
; %bb.182:                              ;   in Loop: Header=BB1015_180 Depth=1
	s_or_b32 exec_lo, exec_lo, s20
	v_lshrrev_b32_e32 v193, 16, v180
	; wave barrier
	v_lshrrev_b32_e32 v35, v10, v193
	v_and_b32_e32 v35, v35, v66
	v_and_b32_e32 v36, 1, v35
	v_lshlrev_b32_e32 v37, 30, v35
	v_lshlrev_b32_e32 v38, 29, v35
	;; [unrolled: 1-line block ×4, first 2 shown]
	v_add_co_u32 v36, s20, v36, -1
	v_cndmask_b32_e64 v48, 0, 1, s20
	v_not_b32_e32 v52, v37
	v_cmp_gt_i32_e64 s21, 0, v37
	v_not_b32_e32 v37, v38
	v_lshlrev_b32_e32 v50, 26, v35
	v_cmp_ne_u32_e64 s20, 0, v48
	v_ashrrev_i32_e32 v52, 31, v52
	v_lshlrev_b32_e32 v51, 25, v35
	v_ashrrev_i32_e32 v37, 31, v37
	v_lshlrev_b32_e32 v48, 24, v35
	v_xor_b32_e32 v36, s20, v36
	v_cmp_gt_i32_e64 s20, 0, v38
	v_not_b32_e32 v38, v39
	v_xor_b32_e32 v52, s21, v52
	v_cmp_gt_i32_e64 s21, 0, v39
	v_and_b32_e32 v36, exec_lo, v36
	v_not_b32_e32 v39, v49
	v_ashrrev_i32_e32 v38, 31, v38
	v_xor_b32_e32 v37, s20, v37
	v_cmp_gt_i32_e64 s20, 0, v49
	v_and_b32_e32 v36, v36, v52
	v_not_b32_e32 v49, v50
	v_ashrrev_i32_e32 v39, 31, v39
	v_xor_b32_e32 v38, s21, v38
	v_cmp_gt_i32_e64 s21, 0, v50
	v_and_b32_e32 v36, v36, v37
	;; [unrolled: 5-line block ×3, first 2 shown]
	v_not_b32_e32 v38, v48
	v_ashrrev_i32_e32 v37, 31, v37
	v_xor_b32_e32 v49, s21, v49
	v_lshl_add_u32 v35, v35, 3, v134
	v_and_b32_e32 v36, v36, v39
	v_cmp_gt_i32_e64 s21, 0, v48
	v_ashrrev_i32_e32 v38, 31, v38
	v_xor_b32_e32 v37, s20, v37
	v_lshl_add_u32 v39, v35, 2, v12
	v_and_b32_e32 v36, v36, v49
	v_xor_b32_e32 v38, s21, v38
	ds_read_b32 v35, v39 offset:32
	v_and_b32_e32 v36, v36, v37
	v_add_nc_u32_e32 v37, 32, v39
	; wave barrier
	v_and_b32_e32 v38, v36, v38
	v_mbcnt_lo_u32_b32 v36, v38, 0
	v_cmp_ne_u32_e64 s21, 0, v38
	v_cmp_eq_u32_e64 s20, 0, v36
	s_and_b32 s21, s21, s20
	s_and_saveexec_b32 s20, s21
	s_cbranch_execz .LBB1015_184
; %bb.183:                              ;   in Loop: Header=BB1015_180 Depth=1
	s_waitcnt lgkmcnt(0)
	v_bcnt_u32_b32 v38, v38, v35
	ds_write_b32 v37, v38
.LBB1015_184:                           ;   in Loop: Header=BB1015_180 Depth=1
	s_or_b32 exec_lo, exec_lo, s20
	v_lshrrev_b32_sdwa v38, v10, v192 dst_sel:DWORD dst_unused:UNUSED_PAD src0_sel:DWORD src1_sel:WORD_0
	; wave barrier
	v_and_b32_e32 v38, v38, v66
	v_and_b32_e32 v39, 1, v38
	v_lshlrev_b32_e32 v48, 30, v38
	v_lshlrev_b32_e32 v49, 29, v38
	;; [unrolled: 1-line block ×4, first 2 shown]
	v_add_co_u32 v39, s20, v39, -1
	v_cndmask_b32_e64 v51, 0, 1, s20
	v_not_b32_e32 v55, v48
	v_cmp_gt_i32_e64 s21, 0, v48
	v_not_b32_e32 v48, v49
	v_lshlrev_b32_e32 v53, 26, v38
	v_cmp_ne_u32_e64 s20, 0, v51
	v_ashrrev_i32_e32 v55, 31, v55
	v_lshlrev_b32_e32 v54, 25, v38
	v_ashrrev_i32_e32 v48, 31, v48
	v_lshlrev_b32_e32 v51, 24, v38
	v_xor_b32_e32 v39, s20, v39
	v_cmp_gt_i32_e64 s20, 0, v49
	v_not_b32_e32 v49, v50
	v_xor_b32_e32 v55, s21, v55
	v_cmp_gt_i32_e64 s21, 0, v50
	v_and_b32_e32 v39, exec_lo, v39
	v_not_b32_e32 v50, v52
	v_ashrrev_i32_e32 v49, 31, v49
	v_xor_b32_e32 v48, s20, v48
	v_cmp_gt_i32_e64 s20, 0, v52
	v_and_b32_e32 v39, v39, v55
	v_not_b32_e32 v52, v53
	v_ashrrev_i32_e32 v50, 31, v50
	v_xor_b32_e32 v49, s21, v49
	v_cmp_gt_i32_e64 s21, 0, v53
	v_and_b32_e32 v39, v39, v48
	;; [unrolled: 5-line block ×3, first 2 shown]
	v_not_b32_e32 v49, v51
	v_ashrrev_i32_e32 v48, 31, v48
	v_xor_b32_e32 v52, s21, v52
	v_lshl_add_u32 v38, v38, 3, v134
	v_and_b32_e32 v39, v39, v50
	v_cmp_gt_i32_e64 s21, 0, v51
	v_ashrrev_i32_e32 v49, 31, v49
	v_xor_b32_e32 v48, s20, v48
	v_lshl_add_u32 v50, v38, 2, v12
	v_and_b32_e32 v39, v39, v52
	v_xor_b32_e32 v49, s21, v49
	ds_read_b32 v38, v50 offset:32
	v_and_b32_e32 v39, v39, v48
	v_add_nc_u32_e32 v48, 32, v50
	; wave barrier
	v_and_b32_e32 v49, v39, v49
	v_mbcnt_lo_u32_b32 v39, v49, 0
	v_cmp_ne_u32_e64 s21, 0, v49
	v_cmp_eq_u32_e64 s20, 0, v39
	s_and_b32 s21, s21, s20
	s_and_saveexec_b32 s20, s21
	s_cbranch_execz .LBB1015_186
; %bb.185:                              ;   in Loop: Header=BB1015_180 Depth=1
	s_waitcnt lgkmcnt(0)
	v_bcnt_u32_b32 v49, v49, v38
	ds_write_b32 v48, v49
.LBB1015_186:                           ;   in Loop: Header=BB1015_180 Depth=1
	s_or_b32 exec_lo, exec_lo, s20
	v_lshrrev_b32_e32 v194, 16, v192
	; wave barrier
	v_lshrrev_b32_e32 v49, v10, v194
	v_and_b32_e32 v49, v49, v66
	v_and_b32_e32 v50, 1, v49
	v_lshlrev_b32_e32 v51, 30, v49
	v_lshlrev_b32_e32 v52, 29, v49
	;; [unrolled: 1-line block ×4, first 2 shown]
	v_add_co_u32 v50, s20, v50, -1
	v_cndmask_b32_e64 v54, 0, 1, s20
	v_not_b32_e32 v67, v51
	v_cmp_gt_i32_e64 s21, 0, v51
	v_not_b32_e32 v51, v52
	v_lshlrev_b32_e32 v64, 26, v49
	v_cmp_ne_u32_e64 s20, 0, v54
	v_ashrrev_i32_e32 v67, 31, v67
	v_lshlrev_b32_e32 v65, 25, v49
	v_ashrrev_i32_e32 v51, 31, v51
	v_lshlrev_b32_e32 v54, 24, v49
	v_xor_b32_e32 v50, s20, v50
	v_cmp_gt_i32_e64 s20, 0, v52
	v_not_b32_e32 v52, v53
	v_xor_b32_e32 v67, s21, v67
	v_cmp_gt_i32_e64 s21, 0, v53
	v_and_b32_e32 v50, exec_lo, v50
	v_not_b32_e32 v53, v55
	v_ashrrev_i32_e32 v52, 31, v52
	v_xor_b32_e32 v51, s20, v51
	v_cmp_gt_i32_e64 s20, 0, v55
	v_and_b32_e32 v50, v50, v67
	v_not_b32_e32 v55, v64
	v_ashrrev_i32_e32 v53, 31, v53
	v_xor_b32_e32 v52, s21, v52
	v_cmp_gt_i32_e64 s21, 0, v64
	v_and_b32_e32 v50, v50, v51
	;; [unrolled: 5-line block ×3, first 2 shown]
	v_not_b32_e32 v52, v54
	v_ashrrev_i32_e32 v51, 31, v51
	v_xor_b32_e32 v55, s21, v55
	v_lshl_add_u32 v49, v49, 3, v134
	v_and_b32_e32 v50, v50, v53
	v_cmp_gt_i32_e64 s21, 0, v54
	v_ashrrev_i32_e32 v52, 31, v52
	v_xor_b32_e32 v51, s20, v51
	v_lshl_add_u32 v53, v49, 2, v12
	v_and_b32_e32 v50, v50, v55
	v_xor_b32_e32 v52, s21, v52
	ds_read_b32 v49, v53 offset:32
	v_and_b32_e32 v50, v50, v51
	v_add_nc_u32_e32 v51, 32, v53
	; wave barrier
	v_and_b32_e32 v52, v50, v52
	v_mbcnt_lo_u32_b32 v50, v52, 0
	v_cmp_ne_u32_e64 s21, 0, v52
	v_cmp_eq_u32_e64 s20, 0, v50
	s_and_b32 s21, s21, s20
	s_and_saveexec_b32 s20, s21
	s_cbranch_execz .LBB1015_188
; %bb.187:                              ;   in Loop: Header=BB1015_180 Depth=1
	s_waitcnt lgkmcnt(0)
	v_bcnt_u32_b32 v52, v52, v49
	ds_write_b32 v51, v52
.LBB1015_188:                           ;   in Loop: Header=BB1015_180 Depth=1
	s_or_b32 exec_lo, exec_lo, s20
	v_lshrrev_b32_sdwa v52, v10, v182 dst_sel:DWORD dst_unused:UNUSED_PAD src0_sel:DWORD src1_sel:WORD_0
	; wave barrier
	v_and_b32_e32 v52, v52, v66
	v_and_b32_e32 v53, 1, v52
	v_lshlrev_b32_e32 v54, 30, v52
	v_lshlrev_b32_e32 v55, 29, v52
	;; [unrolled: 1-line block ×4, first 2 shown]
	v_add_co_u32 v53, s20, v53, -1
	v_cndmask_b32_e64 v65, 0, 1, s20
	v_not_b32_e32 v70, v54
	v_cmp_gt_i32_e64 s21, 0, v54
	v_not_b32_e32 v54, v55
	v_lshlrev_b32_e32 v68, 26, v52
	v_cmp_ne_u32_e64 s20, 0, v65
	v_ashrrev_i32_e32 v70, 31, v70
	v_lshlrev_b32_e32 v69, 25, v52
	v_ashrrev_i32_e32 v54, 31, v54
	v_lshlrev_b32_e32 v65, 24, v52
	v_xor_b32_e32 v53, s20, v53
	v_cmp_gt_i32_e64 s20, 0, v55
	v_not_b32_e32 v55, v64
	v_xor_b32_e32 v70, s21, v70
	v_cmp_gt_i32_e64 s21, 0, v64
	v_and_b32_e32 v53, exec_lo, v53
	v_not_b32_e32 v64, v67
	v_ashrrev_i32_e32 v55, 31, v55
	v_xor_b32_e32 v54, s20, v54
	v_cmp_gt_i32_e64 s20, 0, v67
	v_and_b32_e32 v53, v53, v70
	v_not_b32_e32 v67, v68
	v_ashrrev_i32_e32 v64, 31, v64
	v_xor_b32_e32 v55, s21, v55
	v_cmp_gt_i32_e64 s21, 0, v68
	v_and_b32_e32 v53, v53, v54
	;; [unrolled: 5-line block ×3, first 2 shown]
	v_not_b32_e32 v55, v65
	v_ashrrev_i32_e32 v54, 31, v54
	v_xor_b32_e32 v67, s21, v67
	v_lshl_add_u32 v52, v52, 3, v134
	v_and_b32_e32 v53, v53, v64
	v_cmp_gt_i32_e64 s21, 0, v65
	v_ashrrev_i32_e32 v55, 31, v55
	v_xor_b32_e32 v54, s20, v54
	v_lshl_add_u32 v64, v52, 2, v12
	v_and_b32_e32 v53, v53, v67
	v_xor_b32_e32 v55, s21, v55
	ds_read_b32 v52, v64 offset:32
	v_and_b32_e32 v53, v53, v54
	v_add_nc_u32_e32 v54, 32, v64
	; wave barrier
	v_and_b32_e32 v55, v53, v55
	v_mbcnt_lo_u32_b32 v53, v55, 0
	v_cmp_ne_u32_e64 s21, 0, v55
	v_cmp_eq_u32_e64 s20, 0, v53
	s_and_b32 s21, s21, s20
	s_and_saveexec_b32 s20, s21
	s_cbranch_execz .LBB1015_190
; %bb.189:                              ;   in Loop: Header=BB1015_180 Depth=1
	s_waitcnt lgkmcnt(0)
	v_bcnt_u32_b32 v55, v55, v52
	ds_write_b32 v54, v55
.LBB1015_190:                           ;   in Loop: Header=BB1015_180 Depth=1
	s_or_b32 exec_lo, exec_lo, s20
	v_lshrrev_b32_e32 v195, 16, v182
	; wave barrier
	v_lshrrev_b32_e32 v55, v10, v195
	v_and_b32_e32 v55, v55, v66
	v_and_b32_e32 v64, 1, v55
	v_lshlrev_b32_e32 v65, 30, v55
	v_lshlrev_b32_e32 v67, 29, v55
	;; [unrolled: 1-line block ×4, first 2 shown]
	v_add_co_u32 v64, s20, v64, -1
	v_cndmask_b32_e64 v69, 0, 1, s20
	v_not_b32_e32 v81, v65
	v_cmp_gt_i32_e64 s21, 0, v65
	v_not_b32_e32 v65, v67
	v_lshlrev_b32_e32 v71, 26, v55
	v_cmp_ne_u32_e64 s20, 0, v69
	v_ashrrev_i32_e32 v81, 31, v81
	v_lshlrev_b32_e32 v80, 25, v55
	v_ashrrev_i32_e32 v65, 31, v65
	v_lshlrev_b32_e32 v69, 24, v55
	v_xor_b32_e32 v64, s20, v64
	v_cmp_gt_i32_e64 s20, 0, v67
	v_not_b32_e32 v67, v68
	v_xor_b32_e32 v81, s21, v81
	v_cmp_gt_i32_e64 s21, 0, v68
	v_and_b32_e32 v64, exec_lo, v64
	v_not_b32_e32 v68, v70
	v_ashrrev_i32_e32 v67, 31, v67
	v_xor_b32_e32 v65, s20, v65
	v_cmp_gt_i32_e64 s20, 0, v70
	v_and_b32_e32 v64, v64, v81
	v_not_b32_e32 v70, v71
	v_ashrrev_i32_e32 v68, 31, v68
	v_xor_b32_e32 v67, s21, v67
	v_cmp_gt_i32_e64 s21, 0, v71
	v_and_b32_e32 v64, v64, v65
	;; [unrolled: 5-line block ×3, first 2 shown]
	v_not_b32_e32 v67, v69
	v_ashrrev_i32_e32 v65, 31, v65
	v_xor_b32_e32 v70, s21, v70
	v_lshl_add_u32 v55, v55, 3, v134
	v_and_b32_e32 v64, v64, v68
	v_cmp_gt_i32_e64 s21, 0, v69
	v_ashrrev_i32_e32 v67, 31, v67
	v_xor_b32_e32 v65, s20, v65
	v_lshl_add_u32 v68, v55, 2, v12
	v_and_b32_e32 v64, v64, v70
	v_xor_b32_e32 v67, s21, v67
	ds_read_b32 v55, v68 offset:32
	v_and_b32_e32 v64, v64, v65
	v_add_nc_u32_e32 v65, 32, v68
	; wave barrier
	v_and_b32_e32 v67, v64, v67
	v_mbcnt_lo_u32_b32 v64, v67, 0
	v_cmp_ne_u32_e64 s21, 0, v67
	v_cmp_eq_u32_e64 s20, 0, v64
	s_and_b32 s21, s21, s20
	s_and_saveexec_b32 s20, s21
	s_cbranch_execz .LBB1015_192
; %bb.191:                              ;   in Loop: Header=BB1015_180 Depth=1
	s_waitcnt lgkmcnt(0)
	v_bcnt_u32_b32 v67, v67, v55
	ds_write_b32 v65, v67
.LBB1015_192:                           ;   in Loop: Header=BB1015_180 Depth=1
	s_or_b32 exec_lo, exec_lo, s20
	v_lshrrev_b32_sdwa v67, v10, v181 dst_sel:DWORD dst_unused:UNUSED_PAD src0_sel:DWORD src1_sel:WORD_0
	; wave barrier
	v_and_b32_e32 v67, v67, v66
	v_and_b32_e32 v68, 1, v67
	v_lshlrev_b32_e32 v69, 30, v67
	v_lshlrev_b32_e32 v70, 29, v67
	;; [unrolled: 1-line block ×4, first 2 shown]
	v_add_co_u32 v68, s20, v68, -1
	v_cndmask_b32_e64 v80, 0, 1, s20
	v_not_b32_e32 v84, v69
	v_cmp_gt_i32_e64 s21, 0, v69
	v_not_b32_e32 v69, v70
	v_lshlrev_b32_e32 v82, 26, v67
	v_cmp_ne_u32_e64 s20, 0, v80
	v_ashrrev_i32_e32 v84, 31, v84
	v_lshlrev_b32_e32 v83, 25, v67
	v_ashrrev_i32_e32 v69, 31, v69
	v_lshlrev_b32_e32 v80, 24, v67
	v_xor_b32_e32 v68, s20, v68
	v_cmp_gt_i32_e64 s20, 0, v70
	v_not_b32_e32 v70, v71
	v_xor_b32_e32 v84, s21, v84
	v_cmp_gt_i32_e64 s21, 0, v71
	v_and_b32_e32 v68, exec_lo, v68
	v_not_b32_e32 v71, v81
	v_ashrrev_i32_e32 v70, 31, v70
	v_xor_b32_e32 v69, s20, v69
	v_cmp_gt_i32_e64 s20, 0, v81
	v_and_b32_e32 v68, v68, v84
	v_not_b32_e32 v81, v82
	v_ashrrev_i32_e32 v71, 31, v71
	v_xor_b32_e32 v70, s21, v70
	v_cmp_gt_i32_e64 s21, 0, v82
	v_and_b32_e32 v68, v68, v69
	;; [unrolled: 5-line block ×3, first 2 shown]
	v_not_b32_e32 v70, v80
	v_ashrrev_i32_e32 v69, 31, v69
	v_xor_b32_e32 v81, s21, v81
	v_lshl_add_u32 v67, v67, 3, v134
	v_and_b32_e32 v68, v68, v71
	v_cmp_gt_i32_e64 s21, 0, v80
	v_ashrrev_i32_e32 v70, 31, v70
	v_xor_b32_e32 v69, s20, v69
	v_lshl_add_u32 v67, v67, 2, v12
	v_and_b32_e32 v68, v68, v81
	v_xor_b32_e32 v70, s21, v70
	ds_read_b32 v84, v67 offset:32
	v_and_b32_e32 v68, v68, v69
	v_add_nc_u32_e32 v67, 32, v67
	; wave barrier
	v_and_b32_e32 v68, v68, v70
	v_mbcnt_lo_u32_b32 v86, v68, 0
	v_cmp_ne_u32_e64 s21, 0, v68
	v_cmp_eq_u32_e64 s20, 0, v86
	s_and_b32 s21, s21, s20
	s_and_saveexec_b32 s20, s21
	s_cbranch_execz .LBB1015_194
; %bb.193:                              ;   in Loop: Header=BB1015_180 Depth=1
	s_waitcnt lgkmcnt(0)
	v_bcnt_u32_b32 v68, v68, v84
	ds_write_b32 v67, v68
.LBB1015_194:                           ;   in Loop: Header=BB1015_180 Depth=1
	s_or_b32 exec_lo, exec_lo, s20
	v_lshrrev_b32_e32 v196, 16, v181
	; wave barrier
	v_lshrrev_b32_e32 v68, v10, v196
	v_and_b32_e32 v66, v68, v66
	v_and_b32_e32 v68, 1, v66
	v_lshlrev_b32_e32 v69, 30, v66
	v_lshlrev_b32_e32 v70, 29, v66
	;; [unrolled: 1-line block ×4, first 2 shown]
	v_add_co_u32 v68, s20, v68, -1
	v_cndmask_b32_e64 v80, 0, 1, s20
	v_not_b32_e32 v85, v69
	v_cmp_gt_i32_e64 s21, 0, v69
	v_not_b32_e32 v69, v70
	v_lshlrev_b32_e32 v82, 26, v66
	v_cmp_ne_u32_e64 s20, 0, v80
	v_ashrrev_i32_e32 v85, 31, v85
	v_lshlrev_b32_e32 v83, 25, v66
	v_ashrrev_i32_e32 v69, 31, v69
	v_lshlrev_b32_e32 v80, 24, v66
	v_xor_b32_e32 v68, s20, v68
	v_cmp_gt_i32_e64 s20, 0, v70
	v_not_b32_e32 v70, v71
	v_xor_b32_e32 v85, s21, v85
	v_cmp_gt_i32_e64 s21, 0, v71
	v_and_b32_e32 v68, exec_lo, v68
	v_not_b32_e32 v71, v81
	v_ashrrev_i32_e32 v70, 31, v70
	v_xor_b32_e32 v69, s20, v69
	v_cmp_gt_i32_e64 s20, 0, v81
	v_and_b32_e32 v68, v68, v85
	v_not_b32_e32 v81, v82
	v_ashrrev_i32_e32 v71, 31, v71
	v_xor_b32_e32 v70, s21, v70
	v_cmp_gt_i32_e64 s21, 0, v82
	v_and_b32_e32 v68, v68, v69
	;; [unrolled: 5-line block ×3, first 2 shown]
	v_not_b32_e32 v70, v80
	v_ashrrev_i32_e32 v69, 31, v69
	v_xor_b32_e32 v81, s21, v81
	v_lshl_add_u32 v66, v66, 3, v134
	v_and_b32_e32 v68, v68, v71
	v_cmp_gt_i32_e64 s21, 0, v80
	v_ashrrev_i32_e32 v70, 31, v70
	v_xor_b32_e32 v69, s20, v69
	v_lshl_add_u32 v66, v66, 2, v12
	v_and_b32_e32 v68, v68, v81
	v_xor_b32_e32 v70, s21, v70
	ds_read_b32 v96, v66 offset:32
	v_and_b32_e32 v68, v68, v69
	v_add_nc_u32_e32 v66, 32, v66
	; wave barrier
	v_and_b32_e32 v68, v68, v70
	v_mbcnt_lo_u32_b32 v97, v68, 0
	v_cmp_ne_u32_e64 s21, 0, v68
	v_cmp_eq_u32_e64 s20, 0, v97
	s_and_b32 s21, s21, s20
	s_and_saveexec_b32 s20, s21
	s_cbranch_execz .LBB1015_196
; %bb.195:                              ;   in Loop: Header=BB1015_180 Depth=1
	s_waitcnt lgkmcnt(0)
	v_bcnt_u32_b32 v68, v68, v96
	ds_write_b32 v66, v68
.LBB1015_196:                           ;   in Loop: Header=BB1015_180 Depth=1
	s_or_b32 exec_lo, exec_lo, s20
	; wave barrier
	s_waitcnt lgkmcnt(0)
	s_barrier
	buffer_gl0_inv
	ds_read_b32 v69, v23
	ds_read_b32 v70, v25
	;; [unrolled: 1-line block ×8, first 2 shown]
	s_waitcnt lgkmcnt(6)
	v_add_nc_u32_e32 v85, v70, v69
	s_waitcnt lgkmcnt(4)
	v_add3_u32 v85, v85, v71, v80
	s_waitcnt lgkmcnt(2)
	v_add3_u32 v85, v85, v81, v82
	;; [unrolled: 2-line block ×3, first 2 shown]
	v_mov_b32_dpp v85, v83 row_shr:1 row_mask:0xf bank_mask:0xf
	v_cndmask_b32_e64 v85, v85, 0, vcc_lo
	v_add_nc_u32_e32 v83, v85, v83
	v_mov_b32_dpp v85, v83 row_shr:2 row_mask:0xf bank_mask:0xf
	v_cndmask_b32_e64 v85, 0, v85, s4
	v_add_nc_u32_e32 v83, v83, v85
	v_mov_b32_dpp v85, v83 row_shr:4 row_mask:0xf bank_mask:0xf
	v_cndmask_b32_e64 v85, 0, v85, s5
	v_add_nc_u32_e32 v83, v83, v85
	v_mov_b32_dpp v85, v83 row_shr:8 row_mask:0xf bank_mask:0xf
	v_cndmask_b32_e64 v85, 0, v85, s7
	v_add_nc_u32_e32 v83, v83, v85
	ds_swizzle_b32 v85, v83 offset:swizzle(BROADCAST,32,15)
	s_waitcnt lgkmcnt(0)
	v_cndmask_b32_e64 v85, v85, 0, s10
	v_add_nc_u32_e32 v83, v83, v85
	s_and_saveexec_b32 s20, s11
; %bb.197:                              ;   in Loop: Header=BB1015_180 Depth=1
	ds_write_b32 v144, v83
; %bb.198:                              ;   in Loop: Header=BB1015_180 Depth=1
	s_or_b32 exec_lo, exec_lo, s20
	s_waitcnt lgkmcnt(0)
	s_barrier
	buffer_gl0_inv
	s_and_saveexec_b32 s20, s14
	s_cbranch_execz .LBB1015_200
; %bb.199:                              ;   in Loop: Header=BB1015_180 Depth=1
	ds_read_b32 v85, v145
	s_waitcnt lgkmcnt(0)
	v_mov_b32_dpp v87, v85 row_shr:1 row_mask:0xf bank_mask:0xf
	v_cndmask_b32_e64 v87, v87, 0, s17
	v_add_nc_u32_e32 v85, v87, v85
	v_mov_b32_dpp v87, v85 row_shr:2 row_mask:0xf bank_mask:0xf
	v_cndmask_b32_e64 v87, 0, v87, s18
	v_add_nc_u32_e32 v85, v85, v87
	;; [unrolled: 3-line block ×3, first 2 shown]
	ds_write_b32 v145, v85
.LBB1015_200:                           ;   in Loop: Header=BB1015_180 Depth=1
	s_or_b32 exec_lo, exec_lo, s20
	v_mov_b32_e32 v85, 0
	s_waitcnt lgkmcnt(0)
	s_barrier
	buffer_gl0_inv
	s_and_saveexec_b32 s20, s15
; %bb.201:                              ;   in Loop: Header=BB1015_180 Depth=1
	ds_read_b32 v85, v147
; %bb.202:                              ;   in Loop: Header=BB1015_180 Depth=1
	s_or_b32 exec_lo, exec_lo, s20
	s_waitcnt lgkmcnt(0)
	v_add_nc_u32_e32 v83, v85, v83
	v_mov_b32_e32 v87, v5
	v_add_nc_u32_e32 v10, 8, v10
	v_mov_b32_e32 v197, v180
	s_mov_b32 s26, -1
	ds_bpermute_b32 v83, v135, v83
	v_cmp_lt_u32_e64 s20, v10, v11
	s_waitcnt lgkmcnt(0)
	v_cndmask_b32_e64 v83, v83, v85, s6
	v_mov_b32_e32 v85, v5
	v_cndmask_b32_e64 v83, v83, 0, s16
	v_add_nc_u32_e32 v69, v83, v69
	v_add_nc_u32_e32 v70, v69, v70
	ds_write_b32 v23, v83
	ds_write_b32 v25, v69
	ds_write_b32 v128, v70
	v_mov_b32_e32 v69, v5
	v_add_nc_u32_e32 v71, v70, v71
	v_mov_b32_e32 v83, v5
	v_add_nc_u32_e32 v80, v71, v80
	v_add_nc_u32_e32 v81, v80, v81
	;; [unrolled: 1-line block ×4, first 2 shown]
	ds_write_b32 v129, v71
	ds_write_b32 v130, v80
	;; [unrolled: 1-line block ×5, first 2 shown]
	s_waitcnt lgkmcnt(0)
	s_barrier
	buffer_gl0_inv
	ds_read_b32 v34, v34
	ds_read_b32 v37, v37
	;; [unrolled: 1-line block ×8, first 2 shown]
	v_mov_b32_e32 v71, v5
	v_mov_b32_e32 v67, v5
	;; [unrolled: 1-line block ×3, first 2 shown]
	s_waitcnt lgkmcnt(0)
	v_add_nc_u32_e32 v4, v34, v4
	v_add3_u32 v70, v36, v35, v37
	v_add3_u32 v66, v39, v38, v48
	;; [unrolled: 1-line block ×4, first 2 shown]
	v_lshlrev_b64 v[34:35], 1, v[4:5]
	v_lshlrev_b64 v[36:37], 1, v[70:71]
	;; [unrolled: 1-line block ×3, first 2 shown]
	v_add3_u32 v82, v64, v55, v65
	v_lshlrev_b64 v[48:49], 1, v[68:69]
	v_add3_u32 v84, v86, v84, v98
	v_add_co_u32 v116, s21, v12, v34
	v_lshlrev_b64 v[50:51], 1, v[80:81]
	v_add_co_ci_u32_e64 v117, null, v13, v35, s21
	v_add_co_u32 v118, s21, v12, v36
	v_add3_u32 v86, v97, v96, v99
	v_lshlrev_b64 v[52:53], 1, v[82:83]
	v_add_co_ci_u32_e64 v119, null, v13, v37, s21
	v_add_co_u32 v96, s21, v12, v38
	v_lshlrev_b64 v[54:55], 1, v[84:85]
	v_add_co_ci_u32_e64 v97, null, v13, v39, s21
	v_add_co_u32 v98, s21, v12, v48
	;; [unrolled: 3-line block ×3, first 2 shown]
	v_add_co_ci_u32_e64 v101, null, v13, v51, s21
	v_add_co_u32 v102, s21, v12, v52
	v_add_co_ci_u32_e64 v103, null, v13, v53, s21
	v_add_co_u32 v112, s21, v12, v54
	;; [unrolled: 2-line block ×3, first 2 shown]
	v_add_co_ci_u32_e64 v115, null, v13, v65, s21
                                        ; implicit-def: $vgpr71
                                        ; implicit-def: $vgpr69
                                        ; implicit-def: $vgpr67
                                        ; implicit-def: $vgpr36_vgpr37
                                        ; implicit-def: $vgpr48_vgpr49
                                        ; implicit-def: $vgpr50_vgpr51
                                        ; implicit-def: $vgpr52_vgpr53
                                        ; implicit-def: $vgpr54_vgpr55
                                        ; implicit-def: $vgpr64_vgpr65
                                        ; implicit-def: $vgpr34_vgpr35
                                        ; implicit-def: $vgpr38_vgpr39
	s_and_saveexec_b32 s21, s20
	s_cbranch_execz .LBB1015_179
; %bb.203:                              ;   in Loop: Header=BB1015_180 Depth=1
	s_barrier
	buffer_gl0_inv
	ds_write_b16 v116, v180
	ds_write_b16 v118, v193
	;; [unrolled: 1-line block ×8, first 2 shown]
	s_waitcnt lgkmcnt(0)
	s_barrier
	buffer_gl0_inv
	ds_read_u16 v180, v146
	ds_read_u16 v67, v149
	;; [unrolled: 1-line block ×4, first 2 shown]
	v_mad_u64_u32 v[34:35], null, v4, 6, v[116:117]
	v_mad_u64_u32 v[35:36], null, v70, 6, v[118:119]
	;; [unrolled: 1-line block ×8, first 2 shown]
	s_waitcnt lgkmcnt(3)
	ds_read_u16_d16_hi v180, v148
	s_waitcnt lgkmcnt(3)
	ds_read_u16_d16_hi v67, v150
	;; [unrolled: 2-line block ×4, first 2 shown]
	s_waitcnt lgkmcnt(0)
	s_barrier
	buffer_gl0_inv
	ds_write_b64 v34, v[28:29]
	ds_write_b64 v35, v[21:22]
	;; [unrolled: 1-line block ×8, first 2 shown]
	s_waitcnt lgkmcnt(0)
	s_barrier
	buffer_gl0_inv
	ds_read_b64 v[36:37], v151
	ds_read_b64 v[48:49], v164
	;; [unrolled: 1-line block ×8, first 2 shown]
	v_add_nc_u32_e32 v179, -8, v179
	s_xor_b32 s26, exec_lo, -1
	s_waitcnt lgkmcnt(0)
	s_barrier
	buffer_gl0_inv
	s_branch .LBB1015_179
.LBB1015_204:
	flat_load_dwordx2 v[82:83], v[4:5]
	s_or_b32 exec_lo, exec_lo, s24
                                        ; implicit-def: $vgpr86_vgpr87
	s_and_saveexec_b32 s24, s4
	s_cbranch_execz .LBB1015_38
.LBB1015_205:
	flat_load_dwordx2 v[86:87], v[4:5] offset:256
	s_or_b32 exec_lo, exec_lo, s24
                                        ; implicit-def: $vgpr80_vgpr81
	s_and_saveexec_b32 s4, s5
	s_cbranch_execz .LBB1015_39
.LBB1015_206:
	flat_load_dwordx2 v[80:81], v[4:5] offset:512
	s_or_b32 exec_lo, exec_lo, s4
                                        ; implicit-def: $vgpr84_vgpr85
	s_and_saveexec_b32 s4, s6
	s_cbranch_execz .LBB1015_40
.LBB1015_207:
	flat_load_dwordx2 v[84:85], v[4:5] offset:768
	s_or_b32 exec_lo, exec_lo, s4
                                        ; implicit-def: $vgpr96_vgpr97
	s_and_saveexec_b32 s4, s7
	s_cbranch_execz .LBB1015_41
.LBB1015_208:
	flat_load_dwordx2 v[96:97], v[4:5] offset:1024
	s_or_b32 exec_lo, exec_lo, s4
                                        ; implicit-def: $vgpr114_vgpr115
	s_and_saveexec_b32 s4, s10
	s_cbranch_execz .LBB1015_42
.LBB1015_209:
	flat_load_dwordx2 v[114:115], v[4:5] offset:1280
	s_or_b32 exec_lo, exec_lo, s4
                                        ; implicit-def: $vgpr112_vgpr113
	s_and_saveexec_b32 s4, s11
	s_cbranch_execz .LBB1015_43
.LBB1015_210:
	flat_load_dwordx2 v[112:113], v[4:5] offset:1536
	s_or_b32 exec_lo, exec_lo, s4
                                        ; implicit-def: $vgpr129_vgpr130
	s_and_saveexec_b32 s4, s14
	s_cbranch_execz .LBB1015_44
.LBB1015_211:
	flat_load_dwordx2 v[129:130], v[4:5] offset:1792
	s_or_b32 exec_lo, exec_lo, s4
                                        ; implicit-def: $vgpr131_vgpr132
	s_and_saveexec_b32 s4, s20
	s_cbranch_execz .LBB1015_45
.LBB1015_212:
	v_add_co_u32 v8, vcc_lo, 0x800, v4
	v_add_co_ci_u32_e64 v9, null, 0, v5, vcc_lo
	flat_load_dwordx2 v[131:132], v[8:9]
	s_or_b32 exec_lo, exec_lo, s4
                                        ; implicit-def: $vgpr134_vgpr135
	s_and_saveexec_b32 s4, s16
	s_cbranch_execz .LBB1015_46
.LBB1015_213:
	v_add_co_u32 v8, vcc_lo, 0x800, v4
	v_add_co_ci_u32_e64 v9, null, 0, v5, vcc_lo
	flat_load_dwordx2 v[134:135], v[8:9] offset:256
	s_or_b32 exec_lo, exec_lo, s4
                                        ; implicit-def: $vgpr177_vgpr178
	s_and_saveexec_b32 s4, s21
	s_cbranch_execz .LBB1015_47
.LBB1015_214:
	v_add_co_u32 v8, vcc_lo, 0x800, v4
	v_add_co_ci_u32_e64 v9, null, 0, v5, vcc_lo
	flat_load_dwordx2 v[177:178], v[8:9] offset:512
	s_or_b32 exec_lo, exec_lo, s4
                                        ; implicit-def: $vgpr179_vgpr180
	s_and_saveexec_b32 s4, s17
	s_cbranch_execz .LBB1015_48
.LBB1015_215:
	v_add_co_u32 v8, vcc_lo, 0x800, v4
	v_add_co_ci_u32_e64 v9, null, 0, v5, vcc_lo
	flat_load_dwordx2 v[179:180], v[8:9] offset:768
	s_or_b32 exec_lo, exec_lo, s4
                                        ; implicit-def: $vgpr181_vgpr182
	s_and_saveexec_b32 s4, s22
	s_cbranch_execz .LBB1015_49
.LBB1015_216:
	v_add_co_u32 v8, vcc_lo, 0x800, v4
	v_add_co_ci_u32_e64 v9, null, 0, v5, vcc_lo
	flat_load_dwordx2 v[181:182], v[8:9] offset:1024
	s_or_b32 exec_lo, exec_lo, s4
                                        ; implicit-def: $vgpr192_vgpr193
	s_and_saveexec_b32 s4, s18
	s_cbranch_execz .LBB1015_50
.LBB1015_217:
	v_add_co_u32 v8, vcc_lo, 0x800, v4
	v_add_co_ci_u32_e64 v9, null, 0, v5, vcc_lo
	flat_load_dwordx2 v[192:193], v[8:9] offset:1280
	s_or_b32 exec_lo, exec_lo, s4
                                        ; implicit-def: $vgpr194_vgpr195
	s_and_saveexec_b32 s4, s23
	s_cbranch_execz .LBB1015_51
.LBB1015_218:
	v_add_co_u32 v8, vcc_lo, 0x800, v4
	v_add_co_ci_u32_e64 v9, null, 0, v5, vcc_lo
	flat_load_dwordx2 v[194:195], v[8:9] offset:1536
	s_or_b32 exec_lo, exec_lo, s4
                                        ; implicit-def: $vgpr210_vgpr211
	s_and_saveexec_b32 s4, s19
	s_cbranch_execz .LBB1015_52
.LBB1015_219:
	v_add_co_u32 v8, vcc_lo, 0x800, v4
	v_add_co_ci_u32_e64 v9, null, 0, v5, vcc_lo
	flat_load_dwordx2 v[210:211], v[8:9] offset:1792
	s_or_b32 exec_lo, exec_lo, s4
                                        ; implicit-def: $vgpr230_vgpr231
	s_and_saveexec_b32 s4, s15
	s_cbranch_execnz .LBB1015_53
	s_branch .LBB1015_54
.LBB1015_220:
	flat_store_dwordx2 v[0:1], v[36:37]
	s_or_b32 exec_lo, exec_lo, s24
	s_and_saveexec_b32 s24, s7
	s_cbranch_execz .LBB1015_134
.LBB1015_221:
	v_add_co_u32 v2, vcc_lo, 0x800, v0
	v_add_co_ci_u32_e64 v3, null, 0, v1, vcc_lo
	flat_store_dwordx2 v[2:3], v[38:39]
	s_or_b32 exec_lo, exec_lo, s24
	s_and_saveexec_b32 s7, s6
	s_cbranch_execz .LBB1015_135
.LBB1015_222:
	v_add_co_u32 v2, vcc_lo, 0x1000, v0
	v_add_co_ci_u32_e64 v3, null, 0, v1, vcc_lo
	flat_store_dwordx2 v[2:3], v[32:33]
	s_or_b32 exec_lo, exec_lo, s7
	s_and_saveexec_b32 s6, s5
	s_cbranch_execz .LBB1015_136
.LBB1015_223:
	v_add_co_u32 v2, vcc_lo, 0x1800, v0
	v_add_co_ci_u32_e64 v3, null, 0, v1, vcc_lo
	flat_store_dwordx2 v[2:3], v[34:35]
	s_or_b32 exec_lo, exec_lo, s6
	s_and_saveexec_b32 s5, s4
	s_cbranch_execz .LBB1015_137
.LBB1015_224:
	v_add_co_u32 v2, vcc_lo, 0x2000, v0
	v_add_co_ci_u32_e64 v3, null, 0, v1, vcc_lo
	flat_store_dwordx2 v[2:3], v[28:29]
	s_or_b32 exec_lo, exec_lo, s5
	s_and_saveexec_b32 s4, s10
	s_cbranch_execz .LBB1015_138
.LBB1015_225:
	v_add_co_u32 v2, vcc_lo, 0x2800, v0
	v_add_co_ci_u32_e64 v3, null, 0, v1, vcc_lo
	flat_store_dwordx2 v[2:3], v[30:31]
	s_or_b32 exec_lo, exec_lo, s4
	s_and_saveexec_b32 s4, s11
	s_cbranch_execz .LBB1015_139
.LBB1015_226:
	v_add_co_u32 v2, vcc_lo, 0x3000, v0
	v_add_co_ci_u32_e64 v3, null, 0, v1, vcc_lo
	flat_store_dwordx2 v[2:3], v[24:25]
	s_or_b32 exec_lo, exec_lo, s4
	s_and_saveexec_b32 s4, s14
	s_cbranch_execz .LBB1015_140
.LBB1015_227:
	v_add_co_u32 v2, vcc_lo, 0x3800, v0
	v_add_co_ci_u32_e64 v3, null, 0, v1, vcc_lo
	flat_store_dwordx2 v[2:3], v[26:27]
	s_or_b32 exec_lo, exec_lo, s4
	s_and_saveexec_b32 s4, s15
	s_cbranch_execz .LBB1015_141
.LBB1015_228:
	v_add_co_u32 v2, vcc_lo, 0x4000, v0
	v_add_co_ci_u32_e64 v3, null, 0, v1, vcc_lo
	flat_store_dwordx2 v[2:3], v[20:21]
	s_or_b32 exec_lo, exec_lo, s4
	s_and_saveexec_b32 s4, s16
	s_cbranch_execz .LBB1015_142
.LBB1015_229:
	v_add_co_u32 v2, vcc_lo, 0x4800, v0
	v_add_co_ci_u32_e64 v3, null, 0, v1, vcc_lo
	flat_store_dwordx2 v[2:3], v[22:23]
	s_or_b32 exec_lo, exec_lo, s4
	s_and_saveexec_b32 s4, s17
	s_cbranch_execz .LBB1015_143
.LBB1015_230:
	v_add_co_u32 v2, vcc_lo, 0x5000, v0
	v_add_co_ci_u32_e64 v3, null, 0, v1, vcc_lo
	flat_store_dwordx2 v[2:3], v[16:17]
	s_or_b32 exec_lo, exec_lo, s4
	s_and_saveexec_b32 s4, s18
	s_cbranch_execz .LBB1015_144
.LBB1015_231:
	v_add_co_u32 v2, vcc_lo, 0x5800, v0
	v_add_co_ci_u32_e64 v3, null, 0, v1, vcc_lo
	flat_store_dwordx2 v[2:3], v[18:19]
	s_or_b32 exec_lo, exec_lo, s4
	s_and_saveexec_b32 s4, s19
	s_cbranch_execz .LBB1015_145
.LBB1015_232:
	v_add_co_u32 v2, vcc_lo, 0x6000, v0
	v_add_co_ci_u32_e64 v3, null, 0, v1, vcc_lo
	flat_store_dwordx2 v[2:3], v[12:13]
	s_or_b32 exec_lo, exec_lo, s4
	s_and_saveexec_b32 s4, s20
	s_cbranch_execz .LBB1015_146
.LBB1015_233:
	v_add_co_u32 v2, vcc_lo, 0x6800, v0
	v_add_co_ci_u32_e64 v3, null, 0, v1, vcc_lo
	flat_store_dwordx2 v[2:3], v[14:15]
	s_or_b32 exec_lo, exec_lo, s4
	s_and_saveexec_b32 s4, s21
	s_cbranch_execz .LBB1015_147
.LBB1015_234:
	v_add_co_u32 v2, vcc_lo, 0x7000, v0
	v_add_co_ci_u32_e64 v3, null, 0, v1, vcc_lo
	flat_store_dwordx2 v[2:3], v[8:9]
	s_or_b32 exec_lo, exec_lo, s4
	s_and_saveexec_b32 s4, s22
	s_cbranch_execz .LBB1015_148
.LBB1015_235:
	v_add_co_u32 v2, vcc_lo, 0x7800, v0
	v_add_co_ci_u32_e64 v3, null, 0, v1, vcc_lo
	flat_store_dwordx2 v[2:3], v[10:11]
	s_or_b32 exec_lo, exec_lo, s4
	s_and_saveexec_b32 s4, s23
	s_cbranch_execnz .LBB1015_149
	s_branch .LBB1015_150
.LBB1015_236:
	s_or_b32 exec_lo, exec_lo, s24
	v_mad_u64_u32 v[10:11], null, v4, 6, v[116:117]
	v_lshl_add_u32 v25, v18, 1, v12
	v_mad_u64_u32 v[11:12], null, v70, 6, v[118:119]
	s_barrier
	buffer_gl0_inv
	ds_write_b16 v116, v197
	ds_write_b16 v118, v193
	ds_write_b16 v96, v192
	ds_write_b16 v98, v194
	ds_write_b16 v100, v182
	ds_write_b16 v102, v195
	ds_write_b16 v112, v181
	ds_write_b16 v114, v196
	s_waitcnt lgkmcnt(0)
	s_barrier
	buffer_gl0_inv
	ds_read_u16 v39, v25
	ds_read_u16 v38, v25 offset:512
	ds_read_u16 v37, v25 offset:1024
	;; [unrolled: 1-line block ×7, first 2 shown]
	s_waitcnt lgkmcnt(0)
	s_barrier
	buffer_gl0_inv
	ds_write_b64 v10, v[28:29]
	ds_write_b64 v11, v[21:22]
	v_mad_u64_u32 v[10:11], null, v66, 6, v[96:97]
	v_mad_u64_u32 v[11:12], null, v68, 6, v[98:99]
	;; [unrolled: 1-line block ×5, first 2 shown]
	ds_write_b64 v10, v[19:20]
	v_mul_u32_u24_e32 v10, 6, v18
	v_mad_u64_u32 v[28:29], null, v86, 6, v[114:115]
	ds_write_b64 v11, v[16:17]
	ds_write_b64 v12, v[14:15]
	;; [unrolled: 1-line block ×4, first 2 shown]
	v_add_co_u32 v2, vcc_lo, v2, v26
	v_add_nc_u32_e32 v8, v25, v10
	v_mov_b32_e32 v25, 0
	v_add_co_ci_u32_e64 v3, null, v3, v27, vcc_lo
	ds_write_b64 v28, v[32:33]
	s_waitcnt lgkmcnt(0)
	s_barrier
	buffer_gl0_inv
	ds_read2st64_b64 v[20:23], v8 offset1:4
	ds_read2st64_b64 v[16:19], v8 offset0:8 offset1:12
	ds_read2st64_b64 v[12:15], v8 offset0:16 offset1:20
	;; [unrolled: 1-line block ×3, first 2 shown]
	v_lshlrev_b64 v[28:29], 1, v[24:25]
	s_waitcnt lgkmcnt(0)
	s_barrier
	buffer_gl0_inv
	v_add_co_u32 v2, vcc_lo, v2, v28
	v_add_co_ci_u32_e64 v3, null, v3, v29, vcc_lo
	v_cmp_lt_u32_e32 vcc_lo, v24, v183
	s_and_saveexec_b32 s4, vcc_lo
	s_cbranch_execz .LBB1015_238
; %bb.237:
	v_xor_b32_e32 v26, 0xffff8000, v39
	flat_store_short v[2:3], v26
.LBB1015_238:
	s_or_b32 exec_lo, exec_lo, s4
	v_add_nc_u32_e32 v26, 0x100, v24
	v_cmp_lt_u32_e64 s7, v26, v183
	s_and_saveexec_b32 s4, s7
	s_cbranch_execz .LBB1015_240
; %bb.239:
	v_xor_b32_e32 v26, 0xffff8000, v38
	flat_store_short v[2:3], v26 offset:512
.LBB1015_240:
	s_or_b32 exec_lo, exec_lo, s4
	v_add_nc_u32_e32 v26, 0x200, v24
	v_cmp_lt_u32_e64 s6, v26, v183
	s_and_saveexec_b32 s4, s6
	s_cbranch_execz .LBB1015_242
; %bb.241:
	v_xor_b32_e32 v26, 0xffff8000, v37
	flat_store_short v[2:3], v26 offset:1024
.LBB1015_242:
	;; [unrolled: 9-line block ×3, first 2 shown]
	s_or_b32 exec_lo, exec_lo, s4
	v_add_nc_u32_e32 v26, 0x400, v24
	v_cmp_lt_u32_e64 s4, v26, v183
	s_and_saveexec_b32 s11, s4
	s_cbranch_execz .LBB1015_246
; %bb.245:
	v_add_co_u32 v26, s10, 0x800, v2
	v_xor_b32_e32 v28, 0xffff8000, v35
	v_add_co_ci_u32_e64 v27, null, 0, v3, s10
	flat_store_short v[26:27], v28
.LBB1015_246:
	s_or_b32 exec_lo, exec_lo, s11
	v_add_nc_u32_e32 v26, 0x500, v24
	v_cmp_lt_u32_e64 s10, v26, v183
	s_and_saveexec_b32 s14, s10
	s_cbranch_execz .LBB1015_248
; %bb.247:
	v_add_co_u32 v26, s11, 0x800, v2
	v_xor_b32_e32 v28, 0xffff8000, v34
	v_add_co_ci_u32_e64 v27, null, 0, v3, s11
	flat_store_short v[26:27], v28 offset:512
.LBB1015_248:
	s_or_b32 exec_lo, exec_lo, s14
	v_add_nc_u32_e32 v26, 0x600, v24
	v_cmp_lt_u32_e64 s11, v26, v183
	s_and_saveexec_b32 s15, s11
	s_cbranch_execz .LBB1015_250
; %bb.249:
	v_add_co_u32 v26, s14, 0x800, v2
	v_xor_b32_e32 v5, 0xffff8000, v5
	v_add_co_ci_u32_e64 v27, null, 0, v3, s14
	flat_store_short v[26:27], v5 offset:1024
.LBB1015_250:
	;; [unrolled: 11-line block ×3, first 2 shown]
	s_or_b32 exec_lo, exec_lo, s16
	v_lshlrev_b64 v[2:3], 3, v[24:25]
	v_add_co_u32 v0, s15, v6, v0
	v_add_co_ci_u32_e64 v1, null, v7, v1, s15
	v_add_co_u32 v0, s15, v0, v2
	v_add_co_ci_u32_e64 v1, null, v1, v3, s15
	s_and_saveexec_b32 s15, vcc_lo
	s_cbranch_execnz .LBB1015_302
; %bb.253:
	s_or_b32 exec_lo, exec_lo, s15
	s_and_saveexec_b32 s15, s7
	s_cbranch_execnz .LBB1015_303
.LBB1015_254:
	s_or_b32 exec_lo, exec_lo, s15
	s_and_saveexec_b32 s7, s6
	s_cbranch_execnz .LBB1015_304
.LBB1015_255:
	s_or_b32 exec_lo, exec_lo, s7
	s_and_saveexec_b32 s6, s5
	s_cbranch_execnz .LBB1015_305
.LBB1015_256:
	s_or_b32 exec_lo, exec_lo, s6
	s_and_saveexec_b32 s5, s4
	s_cbranch_execnz .LBB1015_306
.LBB1015_257:
	s_or_b32 exec_lo, exec_lo, s5
	s_and_saveexec_b32 s4, s10
	s_cbranch_execnz .LBB1015_307
.LBB1015_258:
	s_or_b32 exec_lo, exec_lo, s4
	s_and_saveexec_b32 s4, s11
	s_cbranch_execnz .LBB1015_308
.LBB1015_259:
	s_or_b32 exec_lo, exec_lo, s4
	s_and_saveexec_b32 s4, s14
	s_cbranch_execz .LBB1015_261
.LBB1015_260:
	v_add_co_u32 v0, vcc_lo, 0x3800, v0
	v_add_co_ci_u32_e64 v1, null, 0, v1, vcc_lo
	flat_store_dwordx2 v[0:1], v[10:11]
.LBB1015_261:
	s_or_b32 exec_lo, exec_lo, s4
                                        ; implicit-def: $vgpr183
                                        ; implicit-def: $vgpr0
                                        ; implicit-def: $vgpr1
                                        ; implicit-def: $vgpr2
                                        ; implicit-def: $vgpr3
                                        ; implicit-def: $vgpr4
                                        ; implicit-def: $vgpr5
                                        ; implicit-def: $vgpr6
                                        ; implicit-def: $vgpr7
                                        ; implicit-def: $vgpr8
                                        ; implicit-def: $vgpr10
                                        ; implicit-def: $vgpr11
                                        ; implicit-def: $vgpr12
                                        ; implicit-def: $vgpr13
                                        ; implicit-def: $vgpr14
                                        ; implicit-def: $vgpr15
                                        ; implicit-def: $vgpr18
                                        ; implicit-def: $vgpr33
.LBB1015_262:
	s_andn2_saveexec_b32 s4, s22
	s_cbranch_execz .LBB1015_382
; %bb.263:
	s_mov_b32 s4, exec_lo
	v_cmpx_lt_u32_e32 0x200, v183
	s_xor_b32 s22, exec_lo, s4
	s_cbranch_execz .LBB1015_323
; %bb.264:
	s_load_dwordx2 s[4:5], s[8:9], 0x0
	v_mov_b32_e32 v9, 0
	v_lshlrev_b32_e32 v23, 1, v33
	v_mov_b32_e32 v22, v9
	s_waitcnt lgkmcnt(0)
	s_cmp_lt_u32 s13, s5
	s_cselect_b32 s5, 14, 20
	s_add_u32 s6, s8, s5
	s_addc_u32 s7, s9, 0
	s_cmp_lt_u32 s12, s4
	global_load_ushort v16, v9, s[6:7]
	s_cselect_b32 s4, 12, 18
	s_add_u32 s4, s8, s4
	s_addc_u32 s5, s9, 0
	global_load_ushort v17, v9, s[4:5]
	s_waitcnt vmcnt(1)
	v_mad_u32_u24 v14, v15, v16, v14
	s_waitcnt vmcnt(0)
	v_mad_u64_u32 v[16:17], null, v14, v17, v[18:19]
	v_lshlrev_b64 v[19:20], 1, v[8:9]
	v_mov_b32_e32 v14, 0x7fff7fff
	v_lshlrev_b32_e32 v15, 2, v16
	v_and_b32_e32 v21, 0xffffff80, v15
	v_add_co_u32 v15, vcc_lo, v0, v19
	v_add_co_ci_u32_e64 v24, null, v1, v20, vcc_lo
	v_lshlrev_b64 v[0:1], 1, v[21:22]
	v_add_co_u32 v15, vcc_lo, v15, v23
	v_or_b32_e32 v17, v21, v33
	v_add_co_ci_u32_e64 v23, null, 0, v24, vcc_lo
	v_add_co_u32 v0, s4, v15, v0
	v_cmp_lt_u32_e32 vcc_lo, v17, v183
	v_add_co_ci_u32_e64 v1, null, v23, v1, s4
	v_mov_b32_e32 v15, v14
	s_and_saveexec_b32 s4, vcc_lo
	s_cbranch_execz .LBB1015_266
; %bb.265:
	v_mov_b32_e32 v23, 0x7fff0000
	v_mov_b32_e32 v24, v14
	flat_load_short_d16 v23, v[0:1]
	s_waitcnt vmcnt(0) lgkmcnt(0)
	v_mov_b32_e32 v14, v23
	v_mov_b32_e32 v15, v24
.LBB1015_266:
	s_or_b32 exec_lo, exec_lo, s4
	v_or_b32_e32 v23, 32, v17
	v_cmp_lt_u32_e64 s4, v23, v183
	s_and_saveexec_b32 s5, s4
	s_cbranch_execz .LBB1015_268
; %bb.267:
	flat_load_short_d16_hi v14, v[0:1] offset:64
.LBB1015_268:
	s_or_b32 exec_lo, exec_lo, s5
	v_or_b32_e32 v23, 64, v17
	v_cmp_lt_u32_e64 s5, v23, v183
	s_and_saveexec_b32 s6, s5
	s_cbranch_execz .LBB1015_270
; %bb.269:
	flat_load_short_d16 v15, v[0:1] offset:128
.LBB1015_270:
	s_or_b32 exec_lo, exec_lo, s6
	v_or_b32_e32 v17, 0x60, v17
	v_cmp_lt_u32_e64 s6, v17, v183
	s_and_saveexec_b32 s7, s6
	s_cbranch_execz .LBB1015_272
; %bb.271:
	s_waitcnt vmcnt(0) lgkmcnt(0)
	flat_load_short_d16_hi v15, v[0:1] offset:192
.LBB1015_272:
	s_or_b32 exec_lo, exec_lo, s7
	v_lshlrev_b64 v[0:1], 3, v[8:9]
	v_lshlrev_b32_e32 v8, 3, v33
                                        ; implicit-def: $vgpr29_vgpr30
	v_add_co_u32 v9, s7, v4, v0
	v_add_co_ci_u32_e64 v17, null, v5, v1, s7
	v_lshlrev_b64 v[4:5], 3, v[21:22]
	v_add_co_u32 v8, s7, v9, v8
	v_add_co_ci_u32_e64 v9, null, 0, v17, s7
	v_add_co_u32 v4, s7, v8, v4
	v_add_co_ci_u32_e64 v5, null, v9, v5, s7
	s_and_saveexec_b32 s7, vcc_lo
	s_cbranch_execnz .LBB1015_347
; %bb.273:
	s_or_b32 exec_lo, exec_lo, s7
                                        ; implicit-def: $vgpr31_vgpr32
	s_and_saveexec_b32 s7, s4
	s_cbranch_execnz .LBB1015_348
.LBB1015_274:
	s_or_b32 exec_lo, exec_lo, s7
                                        ; implicit-def: $vgpr25_vgpr26
	s_and_saveexec_b32 s4, s5
	s_cbranch_execnz .LBB1015_349
.LBB1015_275:
	s_or_b32 exec_lo, exec_lo, s4
                                        ; implicit-def: $vgpr27_vgpr28
	s_and_saveexec_b32 s4, s6
	s_cbranch_execz .LBB1015_277
.LBB1015_276:
	flat_load_dwordx2 v[27:28], v[4:5] offset:768
.LBB1015_277:
	s_or_b32 exec_lo, exec_lo, s4
	v_mov_b32_e32 v4, 0xffff8000
	s_waitcnt vmcnt(0) lgkmcnt(0)
	v_xor_b32_e32 v8, 0xffff8000, v15
	v_lshl_add_u32 v5, v18, 5, v12
	v_xor_b32_e32 v9, 0xffff8000, v14
	v_sub_co_u32 v22, s6, v33, 1
	v_xor_b32_sdwa v15, v15, v4 dst_sel:DWORD dst_unused:UNUSED_PAD src0_sel:WORD_1 src1_sel:DWORD
	v_xor_b32_sdwa v4, v14, v4 dst_sel:DWORD dst_unused:UNUSED_PAD src0_sel:WORD_1 src1_sel:DWORD
	v_and_b32_e32 v14, 0x3e0, v18
	v_add_nc_u32_e32 v17, 32, v5
	v_add_nc_u32_e32 v54, 36, v5
	;; [unrolled: 1-line block ×6, first 2 shown]
	v_and_b32_e32 v21, 15, v33
	v_add_nc_u32_e32 v67, 56, v5
	v_add_nc_u32_e32 v68, 60, v5
	v_min_u32_e32 v5, 0xe0, v14
	v_and_b32_e32 v14, 16, v33
	v_cmp_gt_i32_e64 s14, 0, v22
	s_getpc_b64 s[4:5]
	s_add_u32 s4, s4, _ZN7rocprim17ROCPRIM_400000_NS16block_radix_sortIsLj256ELj4ElLj1ELj1ELj8ELNS0_26block_radix_rank_algorithmE2ELNS0_18block_padding_hintE2ELNS0_4arch9wavefront6targetE0EE19radix_bits_per_passE@rel32@lo+4
	s_addc_u32 s5, s5, _ZN7rocprim17ROCPRIM_400000_NS16block_radix_sortIsLj256ELj4ElLj1ELj1ELj8ELNS0_26block_radix_rank_algorithmE2ELNS0_18block_padding_hintE2ELNS0_4arch9wavefront6targetE0EE19radix_bits_per_passE@rel32@hi+12
	v_cmp_eq_u32_e32 vcc_lo, 0, v21
	s_load_dword s23, s[4:5], 0x0
	v_cmp_lt_u32_e64 s4, 1, v21
	v_cmp_lt_u32_e64 s5, 3, v21
	v_or_b32_e32 v5, 31, v5
	v_cmp_lt_u32_e64 s7, 7, v21
	v_cmp_eq_u32_e64 s10, 0, v14
	v_cndmask_b32_e64 v14, v22, v33, s14
	v_lshlrev_b32_e32 v21, 2, v18
	v_cmp_eq_u32_e64 s11, v18, v5
	v_lshrrev_b32_e32 v5, 3, v18
	v_and_b32_e32 v22, 7, v33
	v_lshlrev_b32_e32 v70, 2, v14
	v_and_or_b32 v14, 0xf80, v21, v33
	v_lshrrev_b32_e32 v69, 5, v16
	v_and_b32_e32 v5, 0x7c, v5
	v_cmp_gt_u32_e64 s14, 8, v18
	v_cmp_lt_u32_e64 s15, 31, v18
	v_lshl_add_u32 v80, v14, 1, v12
	v_mul_u32_u24_e32 v14, 6, v14
	v_add_nc_u32_e32 v71, v12, v5
	v_cmp_eq_u32_e64 s16, 0, v18
	v_mov_b32_e32 v5, 0
	v_add_nc_u32_e32 v81, v12, v21
	v_add_nc_u32_e32 v82, v80, v14
	v_cmp_eq_u32_e64 s17, 0, v22
	v_cmp_lt_u32_e64 s18, 1, v22
	v_cmp_lt_u32_e64 s19, 3, v22
	v_add_nc_u32_e32 v83, -4, v71
	v_add_nc_u32_e32 v84, 64, v80
	v_add_nc_u32_e32 v85, 0x80, v80
	v_add_nc_u32_e32 v86, 0xc0, v80
	v_add_nc_u32_e32 v87, 0x100, v82
	v_add_nc_u32_e32 v96, 0x200, v82
	v_add_nc_u32_e32 v97, 0x300, v82
	v_perm_b32 v99, v4, v9, 0x5040100
	v_perm_b32 v34, v15, v8, 0x5040100
	v_sub_nc_u32_e32 v98, v11, v10
	s_mov_b32 s24, 0
	s_waitcnt lgkmcnt(0)
	s_waitcnt_vscnt null, 0x0
	s_barrier
	buffer_gl0_inv
	s_branch .LBB1015_279
.LBB1015_278:                           ;   in Loop: Header=BB1015_279 Depth=1
	s_or_b32 exec_lo, exec_lo, s21
	s_and_b32 s20, exec_lo, s26
	s_or_b32 s24, s20, s24
	s_andn2_b32 exec_lo, exec_lo, s24
	s_cbranch_execz .LBB1015_309
.LBB1015_279:                           ; =>This Inner Loop Header: Depth=1
	v_min_u32_e32 v4, s23, v98
	v_lshrrev_b32_sdwa v8, v10, v99 dst_sel:DWORD dst_unused:UNUSED_PAD src0_sel:DWORD src1_sel:WORD_0
	v_mov_b32_e32 v14, v29
	v_mov_b32_e32 v15, v30
	;; [unrolled: 1-line block ×3, first 2 shown]
	v_lshlrev_b32_e64 v4, v4, -1
	ds_write_b32 v17, v5
	ds_write_b32 v54, v5
	;; [unrolled: 1-line block ×7, first 2 shown]
	v_not_b32_e32 v33, v4
	ds_write_b32 v68, v5
	s_waitcnt lgkmcnt(0)
	s_barrier
	buffer_gl0_inv
	v_and_b32_e32 v4, v8, v33
	v_mov_b32_e32 v8, v31
	v_mov_b32_e32 v9, v32
	; wave barrier
	v_and_b32_e32 v21, 1, v4
	v_lshlrev_b32_e32 v22, 30, v4
	v_lshlrev_b32_e32 v23, 29, v4
	;; [unrolled: 1-line block ×4, first 2 shown]
	v_add_co_u32 v21, s20, v21, -1
	v_cndmask_b32_e64 v29, 0, 1, s20
	v_not_b32_e32 v34, v22
	v_cmp_gt_i32_e64 s21, 0, v22
	v_not_b32_e32 v22, v23
	v_lshlrev_b32_e32 v31, 26, v4
	v_cmp_ne_u32_e64 s20, 0, v29
	v_ashrrev_i32_e32 v34, 31, v34
	v_lshlrev_b32_e32 v32, 25, v4
	v_ashrrev_i32_e32 v22, 31, v22
	v_lshlrev_b32_e32 v29, 24, v4
	v_xor_b32_e32 v21, s20, v21
	v_cmp_gt_i32_e64 s20, 0, v23
	v_not_b32_e32 v23, v24
	v_xor_b32_e32 v34, s21, v34
	v_cmp_gt_i32_e64 s21, 0, v24
	v_and_b32_e32 v21, exec_lo, v21
	v_not_b32_e32 v24, v30
	v_ashrrev_i32_e32 v23, 31, v23
	v_xor_b32_e32 v22, s20, v22
	v_cmp_gt_i32_e64 s20, 0, v30
	v_and_b32_e32 v21, v21, v34
	v_not_b32_e32 v30, v31
	v_ashrrev_i32_e32 v24, 31, v24
	v_xor_b32_e32 v23, s21, v23
	v_cmp_gt_i32_e64 s21, 0, v31
	v_and_b32_e32 v21, v21, v22
	;; [unrolled: 5-line block ×4, first 2 shown]
	v_mov_b32_e32 v21, v25
	v_mov_b32_e32 v22, v26
	v_ashrrev_i32_e32 v25, 31, v23
	v_xor_b32_e32 v26, s20, v31
	v_and_b32_e32 v29, v24, v30
	v_lshlrev_b32_e32 v4, 3, v4
	v_mov_b32_e32 v23, v27
	v_xor_b32_e32 v25, s21, v25
	v_mov_b32_e32 v24, v28
	v_and_b32_e32 v26, v29, v26
	v_and_b32_e32 v26, v26, v25
	v_add_lshl_u32 v25, v4, v69, 2
	v_mbcnt_lo_u32_b32 v4, v26, 0
	v_add_co_u32 v25, null, v12, v25
	v_cmp_ne_u32_e64 s21, 0, v26
	v_cmp_eq_u32_e64 s20, 0, v4
	v_add_co_u32 v25, null, v25, 32
	s_and_b32 s21, s21, s20
	s_and_saveexec_b32 s20, s21
; %bb.280:                              ;   in Loop: Header=BB1015_279 Depth=1
	v_bcnt_u32_b32 v26, v26, 0
	ds_write_b32 v25, v26
; %bb.281:                              ;   in Loop: Header=BB1015_279 Depth=1
	s_or_b32 exec_lo, exec_lo, s20
	v_lshrrev_b32_e32 v101, 16, v99
	; wave barrier
	v_lshrrev_b32_e32 v26, v10, v101
	v_and_b32_e32 v26, v26, v33
	v_and_b32_e32 v27, 1, v26
	v_lshlrev_b32_e32 v28, 30, v26
	v_lshlrev_b32_e32 v29, 29, v26
	;; [unrolled: 1-line block ×4, first 2 shown]
	v_add_co_u32 v27, s20, v27, -1
	v_cndmask_b32_e64 v31, 0, 1, s20
	v_not_b32_e32 v36, v28
	v_cmp_gt_i32_e64 s21, 0, v28
	v_not_b32_e32 v28, v29
	v_lshlrev_b32_e32 v34, 26, v26
	v_cmp_ne_u32_e64 s20, 0, v31
	v_ashrrev_i32_e32 v36, 31, v36
	v_lshlrev_b32_e32 v35, 25, v26
	v_ashrrev_i32_e32 v28, 31, v28
	v_lshlrev_b32_e32 v31, 24, v26
	v_xor_b32_e32 v27, s20, v27
	v_cmp_gt_i32_e64 s20, 0, v29
	v_not_b32_e32 v29, v30
	v_xor_b32_e32 v36, s21, v36
	v_cmp_gt_i32_e64 s21, 0, v30
	v_and_b32_e32 v27, exec_lo, v27
	v_not_b32_e32 v30, v32
	v_ashrrev_i32_e32 v29, 31, v29
	v_xor_b32_e32 v28, s20, v28
	v_cmp_gt_i32_e64 s20, 0, v32
	v_and_b32_e32 v27, v27, v36
	v_not_b32_e32 v32, v34
	v_ashrrev_i32_e32 v30, 31, v30
	v_xor_b32_e32 v29, s21, v29
	v_cmp_gt_i32_e64 s21, 0, v34
	v_and_b32_e32 v27, v27, v28
	;; [unrolled: 5-line block ×3, first 2 shown]
	v_not_b32_e32 v29, v31
	v_ashrrev_i32_e32 v28, 31, v28
	v_xor_b32_e32 v32, s21, v32
	v_lshl_add_u32 v26, v26, 3, v69
	v_and_b32_e32 v27, v27, v30
	v_cmp_gt_i32_e64 s21, 0, v31
	v_ashrrev_i32_e32 v29, 31, v29
	v_xor_b32_e32 v28, s20, v28
	v_lshl_add_u32 v30, v26, 2, v12
	v_and_b32_e32 v27, v27, v32
	v_xor_b32_e32 v29, s21, v29
	ds_read_b32 v26, v30 offset:32
	v_and_b32_e32 v27, v27, v28
	v_add_nc_u32_e32 v28, 32, v30
	; wave barrier
	v_and_b32_e32 v29, v27, v29
	v_mbcnt_lo_u32_b32 v27, v29, 0
	v_cmp_ne_u32_e64 s21, 0, v29
	v_cmp_eq_u32_e64 s20, 0, v27
	s_and_b32 s21, s21, s20
	s_and_saveexec_b32 s20, s21
	s_cbranch_execz .LBB1015_283
; %bb.282:                              ;   in Loop: Header=BB1015_279 Depth=1
	s_waitcnt lgkmcnt(0)
	v_bcnt_u32_b32 v29, v29, v26
	ds_write_b32 v28, v29
.LBB1015_283:                           ;   in Loop: Header=BB1015_279 Depth=1
	s_or_b32 exec_lo, exec_lo, s20
	v_lshrrev_b32_sdwa v29, v10, v100 dst_sel:DWORD dst_unused:UNUSED_PAD src0_sel:DWORD src1_sel:WORD_0
	; wave barrier
	v_and_b32_e32 v29, v29, v33
	v_and_b32_e32 v30, 1, v29
	v_lshlrev_b32_e32 v31, 30, v29
	v_lshlrev_b32_e32 v32, 29, v29
	;; [unrolled: 1-line block ×4, first 2 shown]
	v_add_co_u32 v30, s20, v30, -1
	v_cndmask_b32_e64 v35, 0, 1, s20
	v_not_b32_e32 v39, v31
	v_cmp_gt_i32_e64 s21, 0, v31
	v_not_b32_e32 v31, v32
	v_lshlrev_b32_e32 v37, 26, v29
	v_cmp_ne_u32_e64 s20, 0, v35
	v_ashrrev_i32_e32 v39, 31, v39
	v_lshlrev_b32_e32 v38, 25, v29
	v_ashrrev_i32_e32 v31, 31, v31
	v_lshlrev_b32_e32 v35, 24, v29
	v_xor_b32_e32 v30, s20, v30
	v_cmp_gt_i32_e64 s20, 0, v32
	v_not_b32_e32 v32, v34
	v_xor_b32_e32 v39, s21, v39
	v_cmp_gt_i32_e64 s21, 0, v34
	v_and_b32_e32 v30, exec_lo, v30
	v_not_b32_e32 v34, v36
	v_ashrrev_i32_e32 v32, 31, v32
	v_xor_b32_e32 v31, s20, v31
	v_cmp_gt_i32_e64 s20, 0, v36
	v_and_b32_e32 v30, v30, v39
	v_not_b32_e32 v36, v37
	v_ashrrev_i32_e32 v34, 31, v34
	v_xor_b32_e32 v32, s21, v32
	v_cmp_gt_i32_e64 s21, 0, v37
	v_and_b32_e32 v30, v30, v31
	v_not_b32_e32 v31, v38
	v_ashrrev_i32_e32 v36, 31, v36
	v_xor_b32_e32 v34, s20, v34
	v_cmp_gt_i32_e64 s20, 0, v38
	v_and_b32_e32 v30, v30, v32
	v_not_b32_e32 v32, v35
	v_ashrrev_i32_e32 v31, 31, v31
	v_xor_b32_e32 v36, s21, v36
	v_lshl_add_u32 v29, v29, 3, v69
	v_and_b32_e32 v30, v30, v34
	v_cmp_gt_i32_e64 s21, 0, v35
	v_ashrrev_i32_e32 v32, 31, v32
	v_xor_b32_e32 v31, s20, v31
	v_lshl_add_u32 v34, v29, 2, v12
	v_and_b32_e32 v30, v30, v36
	v_xor_b32_e32 v32, s21, v32
	ds_read_b32 v29, v34 offset:32
	v_and_b32_e32 v30, v30, v31
	v_add_nc_u32_e32 v31, 32, v34
	; wave barrier
	v_and_b32_e32 v32, v30, v32
	v_mbcnt_lo_u32_b32 v30, v32, 0
	v_cmp_ne_u32_e64 s21, 0, v32
	v_cmp_eq_u32_e64 s20, 0, v30
	s_and_b32 s21, s21, s20
	s_and_saveexec_b32 s20, s21
	s_cbranch_execz .LBB1015_285
; %bb.284:                              ;   in Loop: Header=BB1015_279 Depth=1
	s_waitcnt lgkmcnt(0)
	v_bcnt_u32_b32 v32, v32, v29
	ds_write_b32 v31, v32
.LBB1015_285:                           ;   in Loop: Header=BB1015_279 Depth=1
	s_or_b32 exec_lo, exec_lo, s20
	v_lshrrev_b32_e32 v102, 16, v100
	; wave barrier
	v_lshrrev_b32_e32 v32, v10, v102
	v_and_b32_e32 v32, v32, v33
	v_and_b32_e32 v33, 1, v32
	v_lshlrev_b32_e32 v34, 30, v32
	v_lshlrev_b32_e32 v35, 29, v32
	;; [unrolled: 1-line block ×4, first 2 shown]
	v_add_co_u32 v33, s20, v33, -1
	v_cndmask_b32_e64 v37, 0, 1, s20
	v_not_b32_e32 v49, v34
	v_cmp_gt_i32_e64 s21, 0, v34
	v_not_b32_e32 v34, v35
	v_lshlrev_b32_e32 v39, 26, v32
	v_cmp_ne_u32_e64 s20, 0, v37
	v_ashrrev_i32_e32 v49, 31, v49
	v_lshlrev_b32_e32 v48, 25, v32
	v_ashrrev_i32_e32 v34, 31, v34
	v_lshlrev_b32_e32 v37, 24, v32
	v_xor_b32_e32 v33, s20, v33
	v_cmp_gt_i32_e64 s20, 0, v35
	v_not_b32_e32 v35, v36
	v_xor_b32_e32 v49, s21, v49
	v_cmp_gt_i32_e64 s21, 0, v36
	v_and_b32_e32 v33, exec_lo, v33
	v_not_b32_e32 v36, v38
	v_ashrrev_i32_e32 v35, 31, v35
	v_xor_b32_e32 v34, s20, v34
	v_cmp_gt_i32_e64 s20, 0, v38
	v_and_b32_e32 v33, v33, v49
	v_not_b32_e32 v38, v39
	v_ashrrev_i32_e32 v36, 31, v36
	v_xor_b32_e32 v35, s21, v35
	v_cmp_gt_i32_e64 s21, 0, v39
	v_and_b32_e32 v33, v33, v34
	;; [unrolled: 5-line block ×3, first 2 shown]
	v_not_b32_e32 v35, v37
	v_ashrrev_i32_e32 v34, 31, v34
	v_xor_b32_e32 v38, s21, v38
	v_lshl_add_u32 v32, v32, 3, v69
	v_and_b32_e32 v33, v33, v36
	v_cmp_gt_i32_e64 s21, 0, v37
	v_ashrrev_i32_e32 v35, 31, v35
	v_xor_b32_e32 v34, s20, v34
	v_lshl_add_u32 v36, v32, 2, v12
	v_and_b32_e32 v33, v33, v38
	v_xor_b32_e32 v35, s21, v35
	ds_read_b32 v32, v36 offset:32
	v_and_b32_e32 v33, v33, v34
	; wave barrier
	v_and_b32_e32 v34, v33, v35
	v_add_nc_u32_e32 v33, 32, v36
	v_mbcnt_lo_u32_b32 v35, v34, 0
	v_cmp_ne_u32_e64 s21, 0, v34
	v_cmp_eq_u32_e64 s20, 0, v35
	s_and_b32 s21, s21, s20
	s_and_saveexec_b32 s20, s21
	s_cbranch_execz .LBB1015_287
; %bb.286:                              ;   in Loop: Header=BB1015_279 Depth=1
	s_waitcnt lgkmcnt(0)
	v_bcnt_u32_b32 v34, v34, v32
	ds_write_b32 v33, v34
.LBB1015_287:                           ;   in Loop: Header=BB1015_279 Depth=1
	s_or_b32 exec_lo, exec_lo, s20
	; wave barrier
	s_waitcnt lgkmcnt(0)
	s_barrier
	buffer_gl0_inv
	ds_read_b32 v36, v17
	ds_read_b32 v37, v54
	;; [unrolled: 1-line block ×8, first 2 shown]
	s_waitcnt lgkmcnt(6)
	v_add_nc_u32_e32 v51, v37, v36
	s_waitcnt lgkmcnt(4)
	v_add3_u32 v51, v51, v38, v39
	s_waitcnt lgkmcnt(2)
	v_add3_u32 v51, v51, v48, v49
	;; [unrolled: 2-line block ×3, first 2 shown]
	v_mov_b32_dpp v51, v50 row_shr:1 row_mask:0xf bank_mask:0xf
	v_cndmask_b32_e64 v51, v51, 0, vcc_lo
	v_add_nc_u32_e32 v50, v51, v50
	v_mov_b32_dpp v51, v50 row_shr:2 row_mask:0xf bank_mask:0xf
	v_cndmask_b32_e64 v51, 0, v51, s4
	v_add_nc_u32_e32 v50, v50, v51
	v_mov_b32_dpp v51, v50 row_shr:4 row_mask:0xf bank_mask:0xf
	v_cndmask_b32_e64 v51, 0, v51, s5
	v_add_nc_u32_e32 v50, v50, v51
	v_mov_b32_dpp v51, v50 row_shr:8 row_mask:0xf bank_mask:0xf
	v_cndmask_b32_e64 v51, 0, v51, s7
	v_add_nc_u32_e32 v50, v50, v51
	ds_swizzle_b32 v51, v50 offset:swizzle(BROADCAST,32,15)
	s_waitcnt lgkmcnt(0)
	v_cndmask_b32_e64 v51, v51, 0, s10
	v_add_nc_u32_e32 v50, v50, v51
	s_and_saveexec_b32 s20, s11
; %bb.288:                              ;   in Loop: Header=BB1015_279 Depth=1
	ds_write_b32 v71, v50
; %bb.289:                              ;   in Loop: Header=BB1015_279 Depth=1
	s_or_b32 exec_lo, exec_lo, s20
	s_waitcnt lgkmcnt(0)
	s_barrier
	buffer_gl0_inv
	s_and_saveexec_b32 s20, s14
	s_cbranch_execz .LBB1015_291
; %bb.290:                              ;   in Loop: Header=BB1015_279 Depth=1
	ds_read_b32 v51, v81
	s_waitcnt lgkmcnt(0)
	v_mov_b32_dpp v52, v51 row_shr:1 row_mask:0xf bank_mask:0xf
	v_cndmask_b32_e64 v52, v52, 0, s17
	v_add_nc_u32_e32 v51, v52, v51
	v_mov_b32_dpp v52, v51 row_shr:2 row_mask:0xf bank_mask:0xf
	v_cndmask_b32_e64 v52, 0, v52, s18
	v_add_nc_u32_e32 v51, v51, v52
	;; [unrolled: 3-line block ×3, first 2 shown]
	ds_write_b32 v81, v51
.LBB1015_291:                           ;   in Loop: Header=BB1015_279 Depth=1
	s_or_b32 exec_lo, exec_lo, s20
	v_mov_b32_e32 v51, 0
	s_waitcnt lgkmcnt(0)
	s_barrier
	buffer_gl0_inv
	s_and_saveexec_b32 s20, s15
; %bb.292:                              ;   in Loop: Header=BB1015_279 Depth=1
	ds_read_b32 v51, v83
; %bb.293:                              ;   in Loop: Header=BB1015_279 Depth=1
	s_or_b32 exec_lo, exec_lo, s20
	s_waitcnt lgkmcnt(0)
	v_add_nc_u32_e32 v50, v51, v50
	v_mov_b32_e32 v103, v99
	v_add_nc_u32_e32 v10, 8, v10
	s_mov_b32 s26, -1
	ds_bpermute_b32 v50, v70, v50
	s_waitcnt lgkmcnt(0)
	v_cndmask_b32_e64 v50, v50, v51, s6
	v_cndmask_b32_e64 v50, v50, 0, s16
	v_add_nc_u32_e32 v36, v50, v36
	v_add_nc_u32_e32 v37, v36, v37
	ds_write_b32 v17, v50
	ds_write_b32 v54, v36
	;; [unrolled: 1-line block ×3, first 2 shown]
	v_mov_b32_e32 v36, v5
	v_add_nc_u32_e32 v38, v37, v38
	v_add_nc_u32_e32 v39, v38, v39
	;; [unrolled: 1-line block ×5, first 2 shown]
	ds_write_b32 v64, v38
	ds_write_b32 v65, v39
	;; [unrolled: 1-line block ×5, first 2 shown]
	s_waitcnt lgkmcnt(0)
	s_barrier
	buffer_gl0_inv
	ds_read_b32 v25, v25
	ds_read_b32 v28, v28
	;; [unrolled: 1-line block ×4, first 2 shown]
	v_mov_b32_e32 v38, v5
	v_mov_b32_e32 v34, v5
	s_waitcnt lgkmcnt(0)
	v_add_nc_u32_e32 v37, v25, v4
	v_add3_u32 v4, v27, v26, v28
	v_add3_u32 v33, v30, v29, v31
	;; [unrolled: 1-line block ×3, first 2 shown]
	v_lshlrev_b64 v[25:26], 1, v[37:38]
	v_lshlrev_b64 v[27:28], 1, v[4:5]
	;; [unrolled: 1-line block ×4, first 2 shown]
                                        ; implicit-def: $vgpr34
	v_add_co_u32 v52, s21, v12, v25
	v_add_co_ci_u32_e64 v53, null, v13, v26, s21
	v_add_co_u32 v38, s21, v12, v27
	v_add_co_ci_u32_e64 v39, null, v13, v28, s21
	v_add_co_u32 v48, s21, v12, v29
	v_mad_u64_u32 v[36:37], null, v37, 6, v[52:53]
	v_add_co_ci_u32_e64 v49, null, v13, v30, s21
	v_add_co_u32 v50, s21, v12, v31
	v_add_co_ci_u32_e64 v51, null, v13, v32, s21
	s_mov_b32 s21, exec_lo
                                        ; implicit-def: $vgpr29_vgpr30
                                        ; implicit-def: $vgpr31_vgpr32
                                        ; implicit-def: $vgpr25_vgpr26
                                        ; implicit-def: $vgpr27_vgpr28
	v_cmpx_lt_u32_e64 v10, v11
	s_cbranch_execz .LBB1015_278
; %bb.294:                              ;   in Loop: Header=BB1015_279 Depth=1
	s_barrier
	buffer_gl0_inv
	ds_write_b16 v52, v99
	ds_write_b16 v38, v101
	;; [unrolled: 1-line block ×4, first 2 shown]
	s_waitcnt lgkmcnt(0)
	s_barrier
	buffer_gl0_inv
	ds_read_u16 v99, v80
	ds_read_u16 v34, v85
	v_mad_u64_u32 v[25:26], null, v4, 6, v[38:39]
	v_mad_u64_u32 v[26:27], null, v33, 6, v[48:49]
	;; [unrolled: 1-line block ×3, first 2 shown]
	v_add_nc_u32_e32 v98, -8, v98
	s_xor_b32 s26, exec_lo, -1
	s_waitcnt lgkmcnt(1)
	ds_read_u16_d16_hi v99, v84
	s_waitcnt lgkmcnt(1)
	ds_read_u16_d16_hi v34, v86
	s_waitcnt lgkmcnt(0)
	s_barrier
	buffer_gl0_inv
	ds_write_b64 v36, v[14:15]
	ds_write_b64 v25, v[8:9]
	;; [unrolled: 1-line block ×4, first 2 shown]
	s_waitcnt lgkmcnt(0)
	s_barrier
	buffer_gl0_inv
	ds_read_b64 v[29:30], v82
	ds_read_b64 v[31:32], v87
	ds_read_b64 v[25:26], v96
	ds_read_b64 v[27:28], v97
	s_waitcnt lgkmcnt(0)
	s_barrier
	buffer_gl0_inv
	s_branch .LBB1015_278
.LBB1015_295:
	flat_load_dwordx2 v[36:37], v[4:5]
	s_or_b32 exec_lo, exec_lo, s15
                                        ; implicit-def: $vgpr48_vgpr49
	s_and_saveexec_b32 s15, s4
	s_cbranch_execz .LBB1015_171
.LBB1015_296:
	flat_load_dwordx2 v[48:49], v[4:5] offset:256
	s_or_b32 exec_lo, exec_lo, s15
                                        ; implicit-def: $vgpr50_vgpr51
	s_and_saveexec_b32 s4, s5
	s_cbranch_execz .LBB1015_172
.LBB1015_297:
	flat_load_dwordx2 v[50:51], v[4:5] offset:512
	s_or_b32 exec_lo, exec_lo, s4
                                        ; implicit-def: $vgpr52_vgpr53
	s_and_saveexec_b32 s4, s6
	s_cbranch_execz .LBB1015_173
.LBB1015_298:
	flat_load_dwordx2 v[52:53], v[4:5] offset:768
	s_or_b32 exec_lo, exec_lo, s4
                                        ; implicit-def: $vgpr54_vgpr55
	s_and_saveexec_b32 s4, s7
	s_cbranch_execz .LBB1015_174
.LBB1015_299:
	flat_load_dwordx2 v[54:55], v[4:5] offset:1024
	s_or_b32 exec_lo, exec_lo, s4
                                        ; implicit-def: $vgpr64_vgpr65
	s_and_saveexec_b32 s4, s10
	s_cbranch_execz .LBB1015_175
.LBB1015_300:
	flat_load_dwordx2 v[64:65], v[4:5] offset:1280
	s_or_b32 exec_lo, exec_lo, s4
                                        ; implicit-def: $vgpr34_vgpr35
	s_and_saveexec_b32 s4, s11
	s_cbranch_execz .LBB1015_176
.LBB1015_301:
	flat_load_dwordx2 v[34:35], v[4:5] offset:1536
	s_or_b32 exec_lo, exec_lo, s4
                                        ; implicit-def: $vgpr38_vgpr39
	s_and_saveexec_b32 s4, s14
	s_cbranch_execnz .LBB1015_177
	s_branch .LBB1015_178
.LBB1015_302:
	flat_store_dwordx2 v[0:1], v[20:21]
	s_or_b32 exec_lo, exec_lo, s15
	s_and_saveexec_b32 s15, s7
	s_cbranch_execz .LBB1015_254
.LBB1015_303:
	v_add_co_u32 v2, vcc_lo, 0x800, v0
	v_add_co_ci_u32_e64 v3, null, 0, v1, vcc_lo
	flat_store_dwordx2 v[2:3], v[22:23]
	s_or_b32 exec_lo, exec_lo, s15
	s_and_saveexec_b32 s7, s6
	s_cbranch_execz .LBB1015_255
.LBB1015_304:
	v_add_co_u32 v2, vcc_lo, 0x1000, v0
	v_add_co_ci_u32_e64 v3, null, 0, v1, vcc_lo
	flat_store_dwordx2 v[2:3], v[16:17]
	s_or_b32 exec_lo, exec_lo, s7
	s_and_saveexec_b32 s6, s5
	s_cbranch_execz .LBB1015_256
.LBB1015_305:
	v_add_co_u32 v2, vcc_lo, 0x1800, v0
	v_add_co_ci_u32_e64 v3, null, 0, v1, vcc_lo
	flat_store_dwordx2 v[2:3], v[18:19]
	s_or_b32 exec_lo, exec_lo, s6
	s_and_saveexec_b32 s5, s4
	s_cbranch_execz .LBB1015_257
.LBB1015_306:
	v_add_co_u32 v2, vcc_lo, 0x2000, v0
	v_add_co_ci_u32_e64 v3, null, 0, v1, vcc_lo
	flat_store_dwordx2 v[2:3], v[12:13]
	s_or_b32 exec_lo, exec_lo, s5
	s_and_saveexec_b32 s4, s10
	s_cbranch_execz .LBB1015_258
.LBB1015_307:
	v_add_co_u32 v2, vcc_lo, 0x2800, v0
	v_add_co_ci_u32_e64 v3, null, 0, v1, vcc_lo
	flat_store_dwordx2 v[2:3], v[14:15]
	s_or_b32 exec_lo, exec_lo, s4
	s_and_saveexec_b32 s4, s11
	s_cbranch_execz .LBB1015_259
.LBB1015_308:
	v_add_co_u32 v2, vcc_lo, 0x3000, v0
	v_add_co_ci_u32_e64 v3, null, 0, v1, vcc_lo
	flat_store_dwordx2 v[2:3], v[8:9]
	s_or_b32 exec_lo, exec_lo, s4
	s_and_saveexec_b32 s4, s14
	s_cbranch_execnz .LBB1015_260
	s_branch .LBB1015_261
.LBB1015_309:
	s_or_b32 exec_lo, exec_lo, s24
	v_lshl_add_u32 v17, v18, 1, v12
	v_mad_u64_u32 v[10:11], null, v4, 6, v[38:39]
	v_mul_u32_u24_e32 v4, 6, v18
	v_mad_u64_u32 v[11:12], null, v33, 6, v[48:49]
	v_mad_u64_u32 v[12:13], null, v35, 6, v[50:51]
	v_add_nc_u32_e32 v4, v17, v4
	s_barrier
	buffer_gl0_inv
	ds_write_b16 v52, v103
	ds_write_b16 v38, v101
	ds_write_b16 v48, v100
	ds_write_b16 v50, v102
	s_waitcnt lgkmcnt(0)
	s_barrier
	buffer_gl0_inv
	ds_read_u16 v27, v17
	ds_read_u16 v26, v17 offset:512
	ds_read_u16 v25, v17 offset:1024
	;; [unrolled: 1-line block ×3, first 2 shown]
	s_waitcnt lgkmcnt(0)
	s_barrier
	buffer_gl0_inv
	ds_write_b64 v36, v[14:15]
	ds_write_b64 v10, v[8:9]
	;; [unrolled: 1-line block ×4, first 2 shown]
	s_waitcnt lgkmcnt(0)
	s_barrier
	buffer_gl0_inv
	ds_read2st64_b64 v[12:15], v4 offset1:4
	ds_read2st64_b64 v[8:11], v4 offset0:8 offset1:12
	v_mov_b32_e32 v17, 0
	v_add_co_u32 v2, vcc_lo, v2, v19
	v_add_co_ci_u32_e64 v3, null, v3, v20, vcc_lo
	v_lshlrev_b64 v[21:22], 1, v[16:17]
	s_waitcnt lgkmcnt(0)
	s_barrier
	buffer_gl0_inv
	v_add_co_u32 v2, vcc_lo, v2, v21
	v_add_co_ci_u32_e64 v3, null, v3, v22, vcc_lo
	v_cmp_lt_u32_e32 vcc_lo, v16, v183
	s_and_saveexec_b32 s4, vcc_lo
	s_cbranch_execz .LBB1015_311
; %bb.310:
	v_xor_b32_e32 v4, 0xffff8000, v27
	flat_store_short v[2:3], v4
.LBB1015_311:
	s_or_b32 exec_lo, exec_lo, s4
	v_add_nc_u32_e32 v4, 0x100, v16
	v_cmp_lt_u32_e64 s6, v4, v183
	s_and_saveexec_b32 s4, s6
	s_cbranch_execz .LBB1015_313
; %bb.312:
	v_xor_b32_e32 v4, 0xffff8000, v26
	flat_store_short v[2:3], v4 offset:512
.LBB1015_313:
	s_or_b32 exec_lo, exec_lo, s4
	v_add_nc_u32_e32 v4, 0x200, v16
	v_cmp_lt_u32_e64 s5, v4, v183
	s_and_saveexec_b32 s4, s5
	s_cbranch_execz .LBB1015_315
; %bb.314:
	v_xor_b32_e32 v4, 0xffff8000, v25
	flat_store_short v[2:3], v4 offset:1024
.LBB1015_315:
	;; [unrolled: 9-line block ×3, first 2 shown]
	s_or_b32 exec_lo, exec_lo, s7
	v_lshlrev_b64 v[2:3], 3, v[16:17]
	v_add_co_u32 v0, s7, v6, v0
	v_add_co_ci_u32_e64 v1, null, v7, v1, s7
	v_add_co_u32 v0, s7, v0, v2
	v_add_co_ci_u32_e64 v1, null, v1, v3, s7
	s_and_saveexec_b32 s7, vcc_lo
	s_cbranch_execnz .LBB1015_350
; %bb.318:
	s_or_b32 exec_lo, exec_lo, s7
	s_and_saveexec_b32 s7, s6
	s_cbranch_execnz .LBB1015_351
.LBB1015_319:
	s_or_b32 exec_lo, exec_lo, s7
	s_and_saveexec_b32 s6, s5
	s_cbranch_execnz .LBB1015_352
.LBB1015_320:
	s_or_b32 exec_lo, exec_lo, s6
	s_and_saveexec_b32 s5, s4
	s_cbranch_execz .LBB1015_322
.LBB1015_321:
	v_add_co_u32 v0, vcc_lo, 0x1800, v0
	v_add_co_ci_u32_e64 v1, null, 0, v1, vcc_lo
	flat_store_dwordx2 v[0:1], v[10:11]
.LBB1015_322:
	s_or_b32 exec_lo, exec_lo, s5
                                        ; implicit-def: $vgpr183
                                        ; implicit-def: $vgpr0
                                        ; implicit-def: $vgpr1
                                        ; implicit-def: $vgpr2
                                        ; implicit-def: $vgpr3
                                        ; implicit-def: $vgpr4
                                        ; implicit-def: $vgpr5
                                        ; implicit-def: $vgpr6
                                        ; implicit-def: $vgpr7
                                        ; implicit-def: $vgpr8
                                        ; implicit-def: $vgpr10
                                        ; implicit-def: $vgpr11
                                        ; implicit-def: $vgpr12
                                        ; implicit-def: $vgpr13
                                        ; implicit-def: $vgpr14
                                        ; implicit-def: $vgpr15
                                        ; implicit-def: $vgpr18
                                        ; implicit-def: $vgpr33
.LBB1015_323:
	s_andn2_saveexec_b32 s4, s22
	s_cbranch_execz .LBB1015_382
; %bb.324:
	s_load_dwordx2 s[4:5], s[8:9], 0x0
	v_mov_b32_e32 v9, 0
	s_waitcnt lgkmcnt(0)
	s_cmp_lt_u32 s13, s5
	s_cselect_b32 s5, 14, 20
	s_add_u32 s6, s8, s5
	s_addc_u32 s7, s9, 0
	s_cmp_lt_u32 s12, s4
	global_load_ushort v16, v9, s[6:7]
	s_cselect_b32 s4, 12, 18
	s_add_u32 s4, s8, s4
	s_addc_u32 s5, s9, 0
	global_load_ushort v17, v9, s[4:5]
	s_mov_b32 s4, exec_lo
	s_waitcnt vmcnt(1)
	v_mad_u32_u24 v14, v15, v16, v14
	s_waitcnt vmcnt(0)
	v_mad_u64_u32 v[14:15], null, v14, v17, v[18:19]
	v_lshlrev_b64 v[16:17], 1, v[8:9]
	v_cmpx_lt_u32_e32 0x100, v183
	s_xor_b32 s18, exec_lo, s4
	s_cbranch_execz .LBB1015_362
; %bb.325:
	v_lshlrev_b32_e32 v15, 1, v14
	v_mov_b32_e32 v20, v9
	v_lshlrev_b32_e32 v21, 1, v33
	v_and_b32_e32 v19, 0xffffffc0, v15
	v_add_co_u32 v15, vcc_lo, v0, v16
	v_add_co_ci_u32_e64 v22, null, v1, v17, vcc_lo
	v_lshlrev_b64 v[0:1], 1, v[19:20]
	v_add_co_u32 v15, vcc_lo, v15, v21
	v_add_co_ci_u32_e64 v22, null, 0, v22, vcc_lo
	v_or_b32_e32 v21, v33, v19
	v_add_co_u32 v0, vcc_lo, v15, v0
	v_add_co_ci_u32_e64 v1, null, v22, v1, vcc_lo
	v_cmp_lt_u32_e32 vcc_lo, v21, v183
	v_mov_b32_e32 v15, 0x7fff7fff
	s_and_saveexec_b32 s4, vcc_lo
	s_cbranch_execz .LBB1015_327
; %bb.326:
	v_mov_b32_e32 v15, 0x7fff0000
	flat_load_short_d16 v15, v[0:1]
.LBB1015_327:
	s_or_b32 exec_lo, exec_lo, s4
	v_or_b32_e32 v21, 32, v21
	v_cmp_lt_u32_e64 s4, v21, v183
	s_and_saveexec_b32 s5, s4
	s_cbranch_execz .LBB1015_329
; %bb.328:
	s_waitcnt vmcnt(0) lgkmcnt(0)
	flat_load_short_d16_hi v15, v[0:1] offset:64
.LBB1015_329:
	s_or_b32 exec_lo, exec_lo, s5
	v_lshlrev_b64 v[0:1], 3, v[8:9]
	v_lshlrev_b32_e32 v21, 3, v33
	v_lshlrev_b64 v[8:9], 3, v[19:20]
	v_mov_b32_e32 v23, 0
	v_mov_b32_e32 v24, 0
	v_add_co_u32 v4, s5, v4, v0
	v_add_co_ci_u32_e64 v5, null, v5, v1, s5
	v_add_co_u32 v4, s5, v4, v21
	v_add_co_ci_u32_e64 v5, null, 0, v5, s5
	v_mov_b32_e32 v21, 0
	v_add_co_u32 v4, s5, v4, v8
	v_mov_b32_e32 v22, 0
	v_add_co_ci_u32_e64 v5, null, v5, v9, s5
	s_and_saveexec_b32 s5, vcc_lo
	s_cbranch_execz .LBB1015_331
; %bb.330:
	flat_load_dwordx2 v[21:22], v[4:5]
.LBB1015_331:
	s_or_b32 exec_lo, exec_lo, s5
	s_and_saveexec_b32 s5, s4
	s_cbranch_execz .LBB1015_333
; %bb.332:
	flat_load_dwordx2 v[23:24], v[4:5] offset:256
.LBB1015_333:
	s_or_b32 exec_lo, exec_lo, s5
	v_lshl_add_u32 v4, v18, 5, v12
	v_and_b32_e32 v5, 0x3e0, v18
	s_waitcnt vmcnt(0) lgkmcnt(0)
	v_xor_b32_e32 v37, 0x80008000, v15
	v_sub_co_u32 v9, s6, v33, 1
	v_add_nc_u32_e32 v15, 32, v4
	v_add_nc_u32_e32 v34, 36, v4
	;; [unrolled: 1-line block ×8, first 2 shown]
	v_min_u32_e32 v4, 0xe0, v5
	v_and_b32_e32 v8, 15, v33
	v_and_b32_e32 v5, 16, v33
	v_cmp_gt_i32_e64 s10, 0, v9
	s_getpc_b64 s[4:5]
	s_add_u32 s4, s4, _ZN7rocprim17ROCPRIM_400000_NS16block_radix_sortIsLj256ELj2ElLj1ELj1ELj8ELNS0_26block_radix_rank_algorithmE2ELNS0_18block_padding_hintE2ELNS0_4arch9wavefront6targetE0EE19radix_bits_per_passE@rel32@lo+4
	s_addc_u32 s5, s5, _ZN7rocprim17ROCPRIM_400000_NS16block_radix_sortIsLj256ELj2ElLj1ELj1ELj8ELNS0_26block_radix_rank_algorithmE2ELNS0_18block_padding_hintE2ELNS0_4arch9wavefront6targetE0EE19radix_bits_per_passE@rel32@hi+12
	v_or_b32_e32 v4, 31, v4
	s_load_dword s19, s[4:5], 0x0
	v_cmp_eq_u32_e32 vcc_lo, 0, v8
	v_cmp_lt_u32_e64 s4, 1, v8
	v_cmp_lt_u32_e64 s5, 3, v8
	v_cmp_eq_u32_e64 s9, v18, v4
	v_lshlrev_b32_e32 v4, 1, v18
	v_cmp_lt_u32_e64 s7, 7, v8
	v_cmp_eq_u32_e64 s8, 0, v5
	v_cndmask_b32_e64 v5, v9, v33, s10
	v_lshrrev_b32_e32 v8, 3, v18
	v_and_or_b32 v4, 0x7c0, v4, v33
	v_lshrrev_b32_e32 v50, 5, v14
	v_cmp_gt_u32_e64 s10, 8, v18
	v_lshlrev_b32_e32 v51, 2, v5
	v_and_b32_e32 v5, 0x7c, v8
	v_and_b32_e32 v8, 7, v33
	v_lshl_add_u32 v33, v4, 1, v12
	v_mul_u32_u24_e32 v4, 6, v4
	v_cmp_lt_u32_e64 s11, 31, v18
	v_add_nc_u32_e32 v52, v12, v5
	v_cmp_eq_u32_e64 s12, 0, v18
	v_mov_b32_e32 v5, 0
	v_add_nc_u32_e32 v54, v33, v4
	v_lshl_add_u32 v53, v18, 2, v12
	v_cmp_eq_u32_e64 s13, 0, v8
	v_cmp_lt_u32_e64 s14, 1, v8
	v_cmp_lt_u32_e64 s15, 3, v8
	v_add_nc_u32_e32 v55, -4, v52
	v_add_nc_u32_e32 v64, 64, v33
	v_add_nc_u32_e32 v65, 0x100, v54
	v_sub_nc_u32_e32 v66, v11, v10
	s_mov_b32 s20, 0
	s_waitcnt lgkmcnt(0)
	s_waitcnt_vscnt null, 0x0
	s_barrier
	buffer_gl0_inv
	s_branch .LBB1015_335
.LBB1015_334:                           ;   in Loop: Header=BB1015_335 Depth=1
	s_or_b32 exec_lo, exec_lo, s17
	s_and_b32 s16, exec_lo, s21
	s_or_b32 s20, s16, s20
	s_andn2_b32 exec_lo, exec_lo, s20
	s_cbranch_execz .LBB1015_353
.LBB1015_335:                           ; =>This Inner Loop Header: Depth=1
	v_min_u32_e32 v4, s19, v66
	v_lshrrev_b32_sdwa v8, v10, v37 dst_sel:DWORD dst_unused:UNUSED_PAD src0_sel:DWORD src1_sel:WORD_0
	ds_write_b32 v15, v5
	ds_write_b32 v34, v5
	;; [unrolled: 1-line block ×5, first 2 shown]
	v_lshlrev_b32_e64 v4, v4, -1
	ds_write_b32 v39, v5
	ds_write_b32 v48, v5
	;; [unrolled: 1-line block ×3, first 2 shown]
	s_waitcnt lgkmcnt(0)
	s_barrier
	v_not_b32_e32 v25, v4
	buffer_gl0_inv
	; wave barrier
	v_and_b32_e32 v4, v8, v25
	v_and_b32_e32 v8, 1, v4
	v_lshlrev_b32_e32 v9, 30, v4
	v_lshlrev_b32_e32 v19, 29, v4
	;; [unrolled: 1-line block ×4, first 2 shown]
	v_add_co_u32 v8, s16, v8, -1
	v_cndmask_b32_e64 v26, 0, 1, s16
	v_not_b32_e32 v30, v9
	v_cmp_gt_i32_e64 s17, 0, v9
	v_not_b32_e32 v9, v19
	v_lshlrev_b32_e32 v28, 26, v4
	v_cmp_ne_u32_e64 s16, 0, v26
	v_ashrrev_i32_e32 v30, 31, v30
	v_lshlrev_b32_e32 v29, 25, v4
	v_ashrrev_i32_e32 v9, 31, v9
	v_lshlrev_b32_e32 v26, 24, v4
	v_xor_b32_e32 v8, s16, v8
	v_cmp_gt_i32_e64 s16, 0, v19
	v_not_b32_e32 v19, v20
	v_xor_b32_e32 v30, s17, v30
	v_cmp_gt_i32_e64 s17, 0, v20
	v_and_b32_e32 v8, exec_lo, v8
	v_not_b32_e32 v20, v27
	v_ashrrev_i32_e32 v19, 31, v19
	v_xor_b32_e32 v9, s16, v9
	v_cmp_gt_i32_e64 s16, 0, v27
	v_and_b32_e32 v8, v8, v30
	v_not_b32_e32 v27, v28
	v_ashrrev_i32_e32 v20, 31, v20
	v_xor_b32_e32 v19, s17, v19
	v_cmp_gt_i32_e64 s17, 0, v28
	v_and_b32_e32 v8, v8, v9
	;; [unrolled: 5-line block ×4, first 2 shown]
	v_mov_b32_e32 v8, v23
	v_mov_b32_e32 v9, v24
	v_ashrrev_i32_e32 v23, 31, v19
	v_xor_b32_e32 v24, s16, v28
	v_and_b32_e32 v26, v20, v27
	v_mov_b32_e32 v19, v21
	v_mov_b32_e32 v20, v22
	v_xor_b32_e32 v21, s17, v23
	v_lshlrev_b32_e32 v4, 3, v4
	v_and_b32_e32 v22, v26, v24
	v_and_b32_e32 v22, v22, v21
	v_add_lshl_u32 v21, v4, v50, 2
	v_mbcnt_lo_u32_b32 v4, v22, 0
	v_add_co_u32 v21, null, v12, v21
	v_cmp_ne_u32_e64 s17, 0, v22
	v_cmp_eq_u32_e64 s16, 0, v4
	v_add_co_u32 v21, null, v21, 32
	s_and_b32 s17, s17, s16
	s_and_saveexec_b32 s16, s17
; %bb.336:                              ;   in Loop: Header=BB1015_335 Depth=1
	v_bcnt_u32_b32 v22, v22, 0
	ds_write_b32 v21, v22
; %bb.337:                              ;   in Loop: Header=BB1015_335 Depth=1
	s_or_b32 exec_lo, exec_lo, s16
	v_lshrrev_b32_e32 v67, 16, v37
	; wave barrier
	v_lshrrev_b32_e32 v22, v10, v67
	v_and_b32_e32 v22, v22, v25
	v_and_b32_e32 v23, 1, v22
	v_lshlrev_b32_e32 v24, 30, v22
	v_lshlrev_b32_e32 v25, 29, v22
	;; [unrolled: 1-line block ×4, first 2 shown]
	v_add_co_u32 v23, s16, v23, -1
	v_cndmask_b32_e64 v27, 0, 1, s16
	v_not_b32_e32 v31, v24
	v_cmp_gt_i32_e64 s17, 0, v24
	v_not_b32_e32 v24, v25
	v_lshlrev_b32_e32 v29, 26, v22
	v_cmp_ne_u32_e64 s16, 0, v27
	v_ashrrev_i32_e32 v31, 31, v31
	v_lshlrev_b32_e32 v30, 25, v22
	v_ashrrev_i32_e32 v24, 31, v24
	v_lshlrev_b32_e32 v27, 24, v22
	v_xor_b32_e32 v23, s16, v23
	v_cmp_gt_i32_e64 s16, 0, v25
	v_not_b32_e32 v25, v26
	v_xor_b32_e32 v31, s17, v31
	v_cmp_gt_i32_e64 s17, 0, v26
	v_and_b32_e32 v23, exec_lo, v23
	v_not_b32_e32 v26, v28
	v_ashrrev_i32_e32 v25, 31, v25
	v_xor_b32_e32 v24, s16, v24
	v_cmp_gt_i32_e64 s16, 0, v28
	v_and_b32_e32 v23, v23, v31
	v_not_b32_e32 v28, v29
	v_ashrrev_i32_e32 v26, 31, v26
	v_xor_b32_e32 v25, s17, v25
	v_cmp_gt_i32_e64 s17, 0, v29
	v_and_b32_e32 v23, v23, v24
	;; [unrolled: 5-line block ×3, first 2 shown]
	v_not_b32_e32 v25, v27
	v_ashrrev_i32_e32 v24, 31, v24
	v_xor_b32_e32 v28, s17, v28
	v_lshl_add_u32 v22, v22, 3, v50
	v_and_b32_e32 v23, v23, v26
	v_cmp_gt_i32_e64 s17, 0, v27
	v_ashrrev_i32_e32 v25, 31, v25
	v_xor_b32_e32 v24, s16, v24
	v_lshl_add_u32 v26, v22, 2, v12
	v_and_b32_e32 v23, v23, v28
	v_xor_b32_e32 v25, s17, v25
	ds_read_b32 v22, v26 offset:32
	v_and_b32_e32 v23, v23, v24
	v_add_nc_u32_e32 v24, 32, v26
	; wave barrier
	v_and_b32_e32 v25, v23, v25
	v_mbcnt_lo_u32_b32 v23, v25, 0
	v_cmp_ne_u32_e64 s17, 0, v25
	v_cmp_eq_u32_e64 s16, 0, v23
	s_and_b32 s17, s17, s16
	s_and_saveexec_b32 s16, s17
	s_cbranch_execz .LBB1015_339
; %bb.338:                              ;   in Loop: Header=BB1015_335 Depth=1
	s_waitcnt lgkmcnt(0)
	v_bcnt_u32_b32 v25, v25, v22
	ds_write_b32 v24, v25
.LBB1015_339:                           ;   in Loop: Header=BB1015_335 Depth=1
	s_or_b32 exec_lo, exec_lo, s16
	; wave barrier
	s_waitcnt lgkmcnt(0)
	s_barrier
	buffer_gl0_inv
	ds_read_b32 v26, v15
	ds_read_b32 v27, v34
	;; [unrolled: 1-line block ×8, first 2 shown]
	s_waitcnt lgkmcnt(6)
	v_add_nc_u32_e32 v68, v27, v26
	s_waitcnt lgkmcnt(4)
	v_add3_u32 v68, v68, v28, v29
	s_waitcnt lgkmcnt(2)
	v_add3_u32 v68, v68, v30, v31
	;; [unrolled: 2-line block ×3, first 2 shown]
	v_mov_b32_dpp v68, v32 row_shr:1 row_mask:0xf bank_mask:0xf
	v_cndmask_b32_e64 v68, v68, 0, vcc_lo
	v_add_nc_u32_e32 v32, v68, v32
	v_mov_b32_dpp v68, v32 row_shr:2 row_mask:0xf bank_mask:0xf
	v_cndmask_b32_e64 v68, 0, v68, s4
	v_add_nc_u32_e32 v32, v32, v68
	v_mov_b32_dpp v68, v32 row_shr:4 row_mask:0xf bank_mask:0xf
	v_cndmask_b32_e64 v68, 0, v68, s5
	v_add_nc_u32_e32 v32, v32, v68
	v_mov_b32_dpp v68, v32 row_shr:8 row_mask:0xf bank_mask:0xf
	v_cndmask_b32_e64 v68, 0, v68, s7
	v_add_nc_u32_e32 v32, v32, v68
	ds_swizzle_b32 v68, v32 offset:swizzle(BROADCAST,32,15)
	s_waitcnt lgkmcnt(0)
	v_cndmask_b32_e64 v68, v68, 0, s8
	v_add_nc_u32_e32 v32, v32, v68
	s_and_saveexec_b32 s16, s9
; %bb.340:                              ;   in Loop: Header=BB1015_335 Depth=1
	ds_write_b32 v52, v32
; %bb.341:                              ;   in Loop: Header=BB1015_335 Depth=1
	s_or_b32 exec_lo, exec_lo, s16
	s_waitcnt lgkmcnt(0)
	s_barrier
	buffer_gl0_inv
	s_and_saveexec_b32 s16, s10
	s_cbranch_execz .LBB1015_343
; %bb.342:                              ;   in Loop: Header=BB1015_335 Depth=1
	ds_read_b32 v68, v53
	s_waitcnt lgkmcnt(0)
	v_mov_b32_dpp v69, v68 row_shr:1 row_mask:0xf bank_mask:0xf
	v_cndmask_b32_e64 v69, v69, 0, s13
	v_add_nc_u32_e32 v68, v69, v68
	v_mov_b32_dpp v69, v68 row_shr:2 row_mask:0xf bank_mask:0xf
	v_cndmask_b32_e64 v69, 0, v69, s14
	v_add_nc_u32_e32 v68, v68, v69
	;; [unrolled: 3-line block ×3, first 2 shown]
	ds_write_b32 v53, v68
.LBB1015_343:                           ;   in Loop: Header=BB1015_335 Depth=1
	s_or_b32 exec_lo, exec_lo, s16
	v_mov_b32_e32 v68, 0
	s_waitcnt lgkmcnt(0)
	s_barrier
	buffer_gl0_inv
	s_and_saveexec_b32 s16, s11
; %bb.344:                              ;   in Loop: Header=BB1015_335 Depth=1
	ds_read_b32 v68, v55
; %bb.345:                              ;   in Loop: Header=BB1015_335 Depth=1
	s_or_b32 exec_lo, exec_lo, s16
	s_waitcnt lgkmcnt(0)
	v_add_nc_u32_e32 v32, v68, v32
	v_add_nc_u32_e32 v10, 8, v10
	s_mov_b32 s21, -1
	s_mov_b32 s17, exec_lo
	ds_bpermute_b32 v32, v51, v32
	s_waitcnt lgkmcnt(0)
	v_cndmask_b32_e64 v32, v32, v68, s6
	v_cndmask_b32_e64 v32, v32, 0, s12
	v_add_nc_u32_e32 v26, v32, v26
	v_add_nc_u32_e32 v27, v26, v27
	ds_write_b32 v15, v32
	ds_write_b32 v34, v26
	;; [unrolled: 1-line block ×3, first 2 shown]
	v_add_nc_u32_e32 v28, v27, v28
	v_add_nc_u32_e32 v29, v28, v29
	;; [unrolled: 1-line block ×5, first 2 shown]
	ds_write_b32 v36, v28
	ds_write_b32 v38, v29
	;; [unrolled: 1-line block ×5, first 2 shown]
	s_waitcnt lgkmcnt(0)
	s_barrier
	buffer_gl0_inv
	ds_read_b32 v21, v21
	ds_read_b32 v25, v24
	v_mov_b32_e32 v24, v5
	s_waitcnt lgkmcnt(0)
	v_add_nc_u32_e32 v4, v21, v4
	v_add3_u32 v23, v23, v22, v25
	v_lshlrev_b64 v[21:22], 1, v[4:5]
	v_lshlrev_b64 v[24:25], 1, v[23:24]
	v_add_co_u32 v31, s16, v12, v21
	v_add_co_ci_u32_e64 v32, null, v13, v22, s16
	v_add_co_u32 v29, s16, v12, v24
	v_add_co_ci_u32_e64 v30, null, v13, v25, s16
	v_mad_u64_u32 v[27:28], null, v4, 6, v[31:32]
	v_mov_b32_e32 v4, v37
	v_mad_u64_u32 v[25:26], null, v23, 6, v[29:30]
                                        ; implicit-def: $vgpr23_vgpr24
                                        ; implicit-def: $vgpr21_vgpr22
	v_cmpx_lt_u32_e64 v10, v11
	s_cbranch_execz .LBB1015_334
; %bb.346:                              ;   in Loop: Header=BB1015_335 Depth=1
	s_barrier
	buffer_gl0_inv
	ds_write_b16 v31, v37
	ds_write_b16 v29, v67
	s_waitcnt lgkmcnt(0)
	s_barrier
	buffer_gl0_inv
	ds_read_u16 v37, v33
	v_add_nc_u32_e32 v66, -8, v66
	s_xor_b32 s21, exec_lo, -1
	s_waitcnt lgkmcnt(0)
	ds_read_u16_d16_hi v37, v64
	s_waitcnt lgkmcnt(0)
	s_barrier
	buffer_gl0_inv
	ds_write_b64 v27, v[19:20]
	ds_write_b64 v25, v[8:9]
	s_waitcnt lgkmcnt(0)
	s_barrier
	buffer_gl0_inv
	ds_read_b64 v[21:22], v54
	ds_read_b64 v[23:24], v65
	s_waitcnt lgkmcnt(0)
	s_barrier
	buffer_gl0_inv
	s_branch .LBB1015_334
.LBB1015_347:
	flat_load_dwordx2 v[29:30], v[4:5]
	s_or_b32 exec_lo, exec_lo, s7
                                        ; implicit-def: $vgpr31_vgpr32
	s_and_saveexec_b32 s7, s4
	s_cbranch_execz .LBB1015_274
.LBB1015_348:
	flat_load_dwordx2 v[31:32], v[4:5] offset:256
	s_or_b32 exec_lo, exec_lo, s7
                                        ; implicit-def: $vgpr25_vgpr26
	s_and_saveexec_b32 s4, s5
	s_cbranch_execz .LBB1015_275
.LBB1015_349:
	flat_load_dwordx2 v[25:26], v[4:5] offset:512
	s_or_b32 exec_lo, exec_lo, s4
                                        ; implicit-def: $vgpr27_vgpr28
	s_and_saveexec_b32 s4, s6
	s_cbranch_execnz .LBB1015_276
	s_branch .LBB1015_277
.LBB1015_350:
	flat_store_dwordx2 v[0:1], v[12:13]
	s_or_b32 exec_lo, exec_lo, s7
	s_and_saveexec_b32 s7, s6
	s_cbranch_execz .LBB1015_319
.LBB1015_351:
	v_add_co_u32 v2, vcc_lo, 0x800, v0
	v_add_co_ci_u32_e64 v3, null, 0, v1, vcc_lo
	flat_store_dwordx2 v[2:3], v[14:15]
	s_or_b32 exec_lo, exec_lo, s7
	s_and_saveexec_b32 s6, s5
	s_cbranch_execz .LBB1015_320
.LBB1015_352:
	v_add_co_u32 v2, vcc_lo, 0x1000, v0
	v_add_co_ci_u32_e64 v3, null, 0, v1, vcc_lo
	flat_store_dwordx2 v[2:3], v[8:9]
	s_or_b32 exec_lo, exec_lo, s6
	s_and_saveexec_b32 s5, s4
	s_cbranch_execnz .LBB1015_321
	s_branch .LBB1015_322
.LBB1015_353:
	s_or_b32 exec_lo, exec_lo, s20
	v_lshl_add_u32 v10, v18, 1, v12
	v_mul_u32_u24_e32 v11, 6, v18
	s_barrier
	buffer_gl0_inv
	ds_write_b16 v31, v4
	ds_write_b16 v29, v67
	s_waitcnt lgkmcnt(0)
	s_barrier
	buffer_gl0_inv
	ds_read_u16 v5, v10
	ds_read_u16 v4, v10 offset:512
	v_add_nc_u32_e32 v10, v10, v11
	s_waitcnt lgkmcnt(0)
	s_barrier
	buffer_gl0_inv
	ds_write_b64 v27, v[19:20]
	ds_write_b64 v25, v[8:9]
	s_waitcnt lgkmcnt(0)
	s_barrier
	buffer_gl0_inv
	ds_read2st64_b64 v[8:11], v10 offset1:4
	v_mov_b32_e32 v15, 0
	v_add_co_u32 v2, vcc_lo, v2, v16
	v_add_co_ci_u32_e64 v3, null, v3, v17, vcc_lo
	v_lshlrev_b64 v[12:13], 1, v[14:15]
	s_waitcnt lgkmcnt(0)
	s_barrier
	buffer_gl0_inv
	v_add_co_u32 v2, vcc_lo, v2, v12
	v_add_co_ci_u32_e64 v3, null, v3, v13, vcc_lo
	v_cmp_lt_u32_e32 vcc_lo, v14, v183
	s_and_saveexec_b32 s4, vcc_lo
	s_cbranch_execz .LBB1015_355
; %bb.354:
	v_xor_b32_e32 v5, 0xffff8000, v5
	flat_store_short v[2:3], v5
.LBB1015_355:
	s_or_b32 exec_lo, exec_lo, s4
	v_add_nc_u32_e32 v5, 0x100, v14
	v_cmp_lt_u32_e64 s4, v5, v183
	s_and_saveexec_b32 s5, s4
	s_cbranch_execz .LBB1015_357
; %bb.356:
	v_xor_b32_e32 v4, 0xffff8000, v4
	flat_store_short v[2:3], v4 offset:512
.LBB1015_357:
	s_or_b32 exec_lo, exec_lo, s5
	v_lshlrev_b64 v[2:3], 3, v[14:15]
	v_add_co_u32 v0, s5, v6, v0
	v_add_co_ci_u32_e64 v1, null, v7, v1, s5
	v_add_co_u32 v0, s5, v0, v2
	v_add_co_ci_u32_e64 v1, null, v1, v3, s5
	s_and_saveexec_b32 s5, vcc_lo
	s_cbranch_execz .LBB1015_359
; %bb.358:
	flat_store_dwordx2 v[0:1], v[8:9]
.LBB1015_359:
	s_or_b32 exec_lo, exec_lo, s5
	s_and_saveexec_b32 s5, s4
	s_cbranch_execz .LBB1015_361
; %bb.360:
	v_add_co_u32 v0, vcc_lo, 0x800, v0
	v_add_co_ci_u32_e64 v1, null, 0, v1, vcc_lo
	flat_store_dwordx2 v[0:1], v[10:11]
.LBB1015_361:
	s_or_b32 exec_lo, exec_lo, s5
                                        ; implicit-def: $vgpr14_vgpr15
                                        ; implicit-def: $vgpr8_vgpr9
                                        ; implicit-def: $vgpr16_vgpr17
                                        ; implicit-def: $vgpr183
                                        ; implicit-def: $vgpr0
                                        ; implicit-def: $vgpr1
                                        ; implicit-def: $vgpr2
                                        ; implicit-def: $vgpr3
                                        ; implicit-def: $vgpr4
                                        ; implicit-def: $vgpr5
                                        ; implicit-def: $vgpr6
                                        ; implicit-def: $vgpr7
                                        ; implicit-def: $vgpr10
                                        ; implicit-def: $vgpr11
                                        ; implicit-def: $vgpr12
                                        ; implicit-def: $vgpr13
                                        ; implicit-def: $vgpr18
                                        ; implicit-def: $vgpr33
.LBB1015_362:
	s_andn2_saveexec_b32 s4, s18
	s_cbranch_execz .LBB1015_382
; %bb.363:
	v_and_b32_e32 v21, 0xffffffe0, v14
	v_mov_b32_e32 v39, -1
	v_or_b32_e32 v15, v33, v21
	v_cmp_lt_u32_e32 vcc_lo, v15, v183
	s_and_saveexec_b32 s5, vcc_lo
	s_cbranch_execz .LBB1015_365
; %bb.364:
	v_mov_b32_e32 v22, 0
	v_lshlrev_b32_e32 v15, 1, v33
	v_add_co_u32 v19, s4, v0, v16
	v_add_co_ci_u32_e64 v20, null, v1, v17, s4
	v_lshlrev_b64 v[0:1], 1, v[21:22]
	v_add_co_u32 v15, s4, v19, v15
	v_add_co_ci_u32_e64 v19, null, 0, v20, s4
	v_add_co_u32 v0, s4, v15, v0
	v_add_co_ci_u32_e64 v1, null, v19, v1, s4
	flat_load_ushort v0, v[0:1]
	s_waitcnt vmcnt(0) lgkmcnt(0)
	v_xor_b32_e32 v39, 0xffff8000, v0
.LBB1015_365:
	s_or_b32 exec_lo, exec_lo, s5
	v_lshlrev_b64 v[0:1], 3, v[8:9]
                                        ; implicit-def: $vgpr19_vgpr20
	s_and_saveexec_b32 s4, vcc_lo
	s_cbranch_execz .LBB1015_367
; %bb.366:
	v_mov_b32_e32 v22, 0
	v_lshlrev_b32_e32 v8, 3, v33
	v_add_co_u32 v9, vcc_lo, v4, v0
	v_add_co_ci_u32_e64 v15, null, v5, v1, vcc_lo
	v_lshlrev_b64 v[4:5], 3, v[21:22]
	v_add_co_u32 v8, vcc_lo, v9, v8
	v_add_co_ci_u32_e64 v9, null, 0, v15, vcc_lo
	v_add_co_u32 v4, vcc_lo, v8, v4
	v_add_co_ci_u32_e64 v5, null, v9, v5, vcc_lo
	flat_load_dwordx2 v[19:20], v[4:5]
.LBB1015_367:
	s_or_b32 exec_lo, exec_lo, s4
	v_lshl_add_u32 v4, v18, 5, v12
	v_and_b32_e32 v5, 15, v33
	v_sub_co_u32 v21, s6, v33, 1
	s_getpc_b64 s[4:5]
	s_add_u32 s4, s4, _ZN7rocprim17ROCPRIM_400000_NS16block_radix_sortIsLj256ELj1ElLj1ELj1ELj8ELNS0_26block_radix_rank_algorithmE2ELNS0_18block_padding_hintE2ELNS0_4arch9wavefront6targetE0EE19radix_bits_per_passE@rel32@lo+4
	s_addc_u32 s5, s5, _ZN7rocprim17ROCPRIM_400000_NS16block_radix_sortIsLj256ELj1ElLj1ELj1ELj8ELNS0_26block_radix_rank_algorithmE2ELNS0_18block_padding_hintE2ELNS0_4arch9wavefront6targetE0EE19radix_bits_per_passE@rel32@hi+12
	v_add_nc_u32_e32 v15, 32, v4
	v_add_nc_u32_e32 v23, 36, v4
	;; [unrolled: 1-line block ×8, first 2 shown]
	v_and_b32_e32 v4, 0x3e0, v18
	s_load_dword s18, s[4:5], 0x0
	v_cmp_eq_u32_e32 vcc_lo, 0, v5
	v_cmp_lt_u32_e64 s4, 1, v5
	v_cmp_lt_u32_e64 s5, 3, v5
	v_min_u32_e32 v8, 0xe0, v4
	v_and_b32_e32 v9, 16, v33
	v_cmp_lt_u32_e64 s7, 7, v5
	v_cmp_gt_i32_e64 s9, 0, v21
	v_or_b32_e32 v4, v33, v4
	v_or_b32_e32 v5, 31, v8
	v_lshrrev_b32_e32 v8, 3, v18
	v_cmp_eq_u32_e64 s8, 0, v9
	v_cndmask_b32_e64 v9, v21, v33, s9
	v_lshl_add_u32 v34, v4, 1, v12
	v_cmp_eq_u32_e64 s9, v18, v5
	v_and_b32_e32 v5, 0x7c, v8
	v_and_b32_e32 v8, 7, v33
	v_mul_u32_u24_e32 v4, 6, v4
	v_lshrrev_b32_e32 v30, 5, v14
	v_cmp_gt_u32_e64 s10, 8, v18
	v_add_nc_u32_e32 v32, v12, v5
	v_cmp_lt_u32_e64 s11, 31, v18
	v_lshlrev_b32_e32 v31, 2, v9
	v_cmp_eq_u32_e64 s12, 0, v18
	v_mov_b32_e32 v5, 0
	v_lshl_add_u32 v33, v18, 2, v12
	v_cmp_eq_u32_e64 s13, 0, v8
	v_cmp_lt_u32_e64 s14, 1, v8
	v_cmp_lt_u32_e64 s15, 3, v8
	v_add_nc_u32_e32 v35, -4, v32
	v_add_nc_u32_e32 v36, v34, v4
	v_sub_nc_u32_e32 v37, v11, v10
	s_mov_b32 s19, 0
	s_waitcnt vmcnt(0) lgkmcnt(0)
	s_waitcnt_vscnt null, 0x0
	s_barrier
	buffer_gl0_inv
	s_branch .LBB1015_369
.LBB1015_368:                           ;   in Loop: Header=BB1015_369 Depth=1
	s_or_b32 exec_lo, exec_lo, s17
	s_and_b32 s16, exec_lo, s20
	s_or_b32 s19, s16, s19
	s_andn2_b32 exec_lo, exec_lo, s19
	s_cbranch_execz .LBB1015_379
.LBB1015_369:                           ; =>This Inner Loop Header: Depth=1
	v_mov_b32_e32 v38, v39
	v_min_u32_e32 v4, s18, v37
	ds_write_b32 v15, v5
	ds_write_b32 v23, v5
	ds_write_b32 v24, v5
	ds_write_b32 v25, v5
	ds_write_b32 v26, v5
	v_lshrrev_b32_sdwa v8, v10, v38 dst_sel:DWORD dst_unused:UNUSED_PAD src0_sel:DWORD src1_sel:WORD_0
	ds_write_b32 v27, v5
	ds_write_b32 v28, v5
	ds_write_b32 v29, v5
	s_waitcnt lgkmcnt(0)
	s_barrier
	v_bfe_u32 v4, v8, 0, v4
	buffer_gl0_inv
	; wave barrier
	v_and_b32_e32 v8, 1, v4
	v_lshlrev_b32_e32 v9, 30, v4
	v_lshlrev_b32_e32 v21, 29, v4
	;; [unrolled: 1-line block ×4, first 2 shown]
	v_add_co_u32 v8, s16, v8, -1
	v_cndmask_b32_e64 v39, 0, 1, s16
	v_not_b32_e32 v51, v9
	v_cmp_gt_i32_e64 s17, 0, v9
	v_not_b32_e32 v9, v21
	v_lshlrev_b32_e32 v49, 26, v4
	v_cmp_ne_u32_e64 s16, 0, v39
	v_ashrrev_i32_e32 v51, 31, v51
	v_lshlrev_b32_e32 v50, 25, v4
	v_ashrrev_i32_e32 v9, 31, v9
	v_lshlrev_b32_e32 v39, 24, v4
	v_xor_b32_e32 v8, s16, v8
	v_cmp_gt_i32_e64 s16, 0, v21
	v_not_b32_e32 v21, v22
	v_xor_b32_e32 v51, s17, v51
	v_cmp_gt_i32_e64 s17, 0, v22
	v_and_b32_e32 v8, exec_lo, v8
	v_not_b32_e32 v22, v48
	v_ashrrev_i32_e32 v21, 31, v21
	v_xor_b32_e32 v9, s16, v9
	v_cmp_gt_i32_e64 s16, 0, v48
	v_and_b32_e32 v8, v8, v51
	v_not_b32_e32 v48, v49
	v_ashrrev_i32_e32 v22, 31, v22
	v_xor_b32_e32 v21, s17, v21
	v_cmp_gt_i32_e64 s17, 0, v49
	v_and_b32_e32 v8, v8, v9
	;; [unrolled: 5-line block ×4, first 2 shown]
	v_ashrrev_i32_e32 v21, 31, v21
	v_xor_b32_e32 v22, s16, v9
	v_lshlrev_b32_e32 v4, 3, v4
	v_and_b32_e32 v39, v8, v48
	v_mov_b32_e32 v8, v19
	v_mov_b32_e32 v9, v20
	v_xor_b32_e32 v19, s17, v21
	v_and_b32_e32 v20, v39, v22
	v_and_b32_e32 v20, v20, v19
	v_add_lshl_u32 v19, v4, v30, 2
	v_mbcnt_lo_u32_b32 v4, v20, 0
	v_add_co_u32 v19, null, v12, v19
	v_cmp_ne_u32_e64 s17, 0, v20
	v_cmp_eq_u32_e64 s16, 0, v4
	v_add_co_u32 v19, null, v19, 32
	s_and_b32 s17, s17, s16
	s_and_saveexec_b32 s16, s17
; %bb.370:                              ;   in Loop: Header=BB1015_369 Depth=1
	v_bcnt_u32_b32 v20, v20, 0
	ds_write_b32 v19, v20
; %bb.371:                              ;   in Loop: Header=BB1015_369 Depth=1
	s_or_b32 exec_lo, exec_lo, s16
	; wave barrier
	s_waitcnt lgkmcnt(0)
	s_barrier
	buffer_gl0_inv
	ds_read_b32 v21, v15
	ds_read_b32 v22, v23
	;; [unrolled: 1-line block ×8, first 2 shown]
	s_waitcnt lgkmcnt(6)
	v_add_nc_u32_e32 v52, v22, v21
	s_waitcnt lgkmcnt(4)
	v_add3_u32 v52, v52, v39, v48
	s_waitcnt lgkmcnt(2)
	v_add3_u32 v52, v52, v49, v50
	;; [unrolled: 2-line block ×3, first 2 shown]
	v_mov_b32_dpp v52, v51 row_shr:1 row_mask:0xf bank_mask:0xf
	v_cndmask_b32_e64 v52, v52, 0, vcc_lo
	v_add_nc_u32_e32 v51, v52, v51
	v_mov_b32_dpp v52, v51 row_shr:2 row_mask:0xf bank_mask:0xf
	v_cndmask_b32_e64 v52, 0, v52, s4
	v_add_nc_u32_e32 v51, v51, v52
	v_mov_b32_dpp v52, v51 row_shr:4 row_mask:0xf bank_mask:0xf
	v_cndmask_b32_e64 v52, 0, v52, s5
	v_add_nc_u32_e32 v51, v51, v52
	v_mov_b32_dpp v52, v51 row_shr:8 row_mask:0xf bank_mask:0xf
	v_cndmask_b32_e64 v52, 0, v52, s7
	v_add_nc_u32_e32 v51, v51, v52
	ds_swizzle_b32 v52, v51 offset:swizzle(BROADCAST,32,15)
	s_waitcnt lgkmcnt(0)
	v_cndmask_b32_e64 v52, v52, 0, s8
	v_add_nc_u32_e32 v51, v51, v52
	s_and_saveexec_b32 s16, s9
; %bb.372:                              ;   in Loop: Header=BB1015_369 Depth=1
	ds_write_b32 v32, v51
; %bb.373:                              ;   in Loop: Header=BB1015_369 Depth=1
	s_or_b32 exec_lo, exec_lo, s16
	s_waitcnt lgkmcnt(0)
	s_barrier
	buffer_gl0_inv
	s_and_saveexec_b32 s16, s10
	s_cbranch_execz .LBB1015_375
; %bb.374:                              ;   in Loop: Header=BB1015_369 Depth=1
	ds_read_b32 v52, v33
	s_waitcnt lgkmcnt(0)
	v_mov_b32_dpp v53, v52 row_shr:1 row_mask:0xf bank_mask:0xf
	v_cndmask_b32_e64 v53, v53, 0, s13
	v_add_nc_u32_e32 v52, v53, v52
	v_mov_b32_dpp v53, v52 row_shr:2 row_mask:0xf bank_mask:0xf
	v_cndmask_b32_e64 v53, 0, v53, s14
	v_add_nc_u32_e32 v52, v52, v53
	v_mov_b32_dpp v53, v52 row_shr:4 row_mask:0xf bank_mask:0xf
	v_cndmask_b32_e64 v53, 0, v53, s15
	v_add_nc_u32_e32 v52, v52, v53
	ds_write_b32 v33, v52
.LBB1015_375:                           ;   in Loop: Header=BB1015_369 Depth=1
	s_or_b32 exec_lo, exec_lo, s16
	v_mov_b32_e32 v52, 0
	s_waitcnt lgkmcnt(0)
	s_barrier
	buffer_gl0_inv
	s_and_saveexec_b32 s16, s11
; %bb.376:                              ;   in Loop: Header=BB1015_369 Depth=1
	ds_read_b32 v52, v35
; %bb.377:                              ;   in Loop: Header=BB1015_369 Depth=1
	s_or_b32 exec_lo, exec_lo, s16
	s_waitcnt lgkmcnt(0)
	v_add_nc_u32_e32 v51, v52, v51
	v_add_nc_u32_e32 v10, 8, v10
	s_mov_b32 s20, -1
	ds_bpermute_b32 v51, v31, v51
	s_waitcnt lgkmcnt(0)
	v_cndmask_b32_e64 v51, v51, v52, s6
	v_cndmask_b32_e64 v51, v51, 0, s12
	v_add_nc_u32_e32 v21, v51, v21
	v_add_nc_u32_e32 v22, v21, v22
	ds_write_b32 v15, v51
	ds_write_b32 v23, v21
	;; [unrolled: 1-line block ×3, first 2 shown]
	v_add_nc_u32_e32 v39, v22, v39
	v_add_nc_u32_e32 v48, v39, v48
	;; [unrolled: 1-line block ×5, first 2 shown]
	ds_write_b32 v25, v39
	ds_write_b32 v26, v48
	;; [unrolled: 1-line block ×5, first 2 shown]
	s_waitcnt lgkmcnt(0)
	s_barrier
	buffer_gl0_inv
	ds_read_b32 v19, v19
	s_waitcnt lgkmcnt(0)
                                        ; implicit-def: $vgpr39
	v_add_nc_u32_e32 v4, v19, v4
	v_lshlrev_b64 v[19:20], 1, v[4:5]
	v_add_co_u32 v21, s17, v12, v19
	v_add_co_ci_u32_e64 v22, null, v13, v20, s17
	s_mov_b32 s17, exec_lo
                                        ; implicit-def: $vgpr19_vgpr20
	v_cmpx_lt_u32_e64 v10, v11
	s_cbranch_execz .LBB1015_368
; %bb.378:                              ;   in Loop: Header=BB1015_369 Depth=1
	v_mad_u64_u32 v[19:20], null, v4, 6, v[21:22]
	s_barrier
	buffer_gl0_inv
	ds_write_b16 v21, v38
	s_waitcnt lgkmcnt(0)
	s_barrier
	buffer_gl0_inv
	ds_read_u16 v39, v34
	s_waitcnt lgkmcnt(0)
	s_barrier
	buffer_gl0_inv
	ds_write_b64 v19, v[8:9]
	s_waitcnt lgkmcnt(0)
	s_barrier
	buffer_gl0_inv
	ds_read_b64 v[19:20], v36
	v_add_nc_u32_e32 v37, -8, v37
	s_xor_b32 s20, exec_lo, -1
	s_waitcnt lgkmcnt(0)
	s_barrier
	buffer_gl0_inv
	s_branch .LBB1015_368
.LBB1015_379:
	s_or_b32 exec_lo, exec_lo, s19
	v_mad_u64_u32 v[4:5], null, v4, 6, v[21:22]
	v_lshl_add_u32 v11, v18, 1, v12
	v_mul_u32_u24_e32 v5, 6, v18
	s_barrier
	buffer_gl0_inv
	ds_write_b16 v21, v38
	s_waitcnt lgkmcnt(0)
	v_add_nc_u32_e32 v5, v11, v5
	s_barrier
	buffer_gl0_inv
	ds_read_u16 v10, v11
	s_waitcnt lgkmcnt(0)
	s_barrier
	buffer_gl0_inv
	ds_write_b64 v4, v[8:9]
	s_waitcnt lgkmcnt(0)
	s_barrier
	buffer_gl0_inv
	ds_read_b64 v[4:5], v5
	s_mov_b32 s4, exec_lo
	s_waitcnt lgkmcnt(0)
	s_barrier
	buffer_gl0_inv
	v_cmpx_lt_u32_e64 v14, v183
	s_cbranch_execz .LBB1015_381
; %bb.380:
	v_mov_b32_e32 v15, 0
	v_add_co_u32 v11, vcc_lo, v2, v16
	v_add_co_ci_u32_e64 v12, null, v3, v17, vcc_lo
	v_lshlrev_b64 v[8:9], 1, v[14:15]
	v_lshlrev_b64 v[2:3], 3, v[14:15]
	v_add_co_u32 v8, vcc_lo, v11, v8
	v_add_co_ci_u32_e64 v9, null, v12, v9, vcc_lo
	v_add_co_u32 v0, vcc_lo, v6, v0
	v_add_co_ci_u32_e64 v1, null, v7, v1, vcc_lo
	v_xor_b32_e32 v6, 0xffff8000, v10
	v_add_co_u32 v0, vcc_lo, v0, v2
	v_add_co_ci_u32_e64 v1, null, v1, v3, vcc_lo
	flat_store_short v[8:9], v6
	flat_store_dwordx2 v[0:1], v[4:5]
.LBB1015_381:
	s_or_b32 exec_lo, exec_lo, s4
.LBB1015_382:
	s_or_b32 exec_lo, exec_lo, s25
	s_clause 0x2f
	buffer_load_dword v127, off, s[0:3], s32
	buffer_load_dword v126, off, s[0:3], s32 offset:4
	buffer_load_dword v125, off, s[0:3], s32 offset:8
	;; [unrolled: 1-line block ×47, first 2 shown]
	s_waitcnt vmcnt(0) lgkmcnt(0)
	s_setpc_b64 s[30:31]
.Lfunc_end1015:
	.size	_ZN7rocprim17ROCPRIM_400000_NS6detail40segmented_radix_sort_single_block_helperIslLj256ELj17ELb0EE4sortIPKsPsPKlPlEEbT_T0_T1_T2_jjjjRNS3_12storage_typeE, .Lfunc_end1015-_ZN7rocprim17ROCPRIM_400000_NS6detail40segmented_radix_sort_single_block_helperIslLj256ELj17ELb0EE4sortIPKsPsPKlPlEEbT_T0_T1_T2_jjjjRNS3_12storage_typeE
                                        ; -- End function
	.set .L_ZN7rocprim17ROCPRIM_400000_NS6detail40segmented_radix_sort_single_block_helperIslLj256ELj17ELb0EE4sortIPKsPsPKlPlEEbT_T0_T1_T2_jjjjRNS3_12storage_typeE.num_vgpr, 248
	.set .L_ZN7rocprim17ROCPRIM_400000_NS6detail40segmented_radix_sort_single_block_helperIslLj256ELj17ELb0EE4sortIPKsPsPKlPlEEbT_T0_T1_T2_jjjjRNS3_12storage_typeE.num_agpr, 0
	.set .L_ZN7rocprim17ROCPRIM_400000_NS6detail40segmented_radix_sort_single_block_helperIslLj256ELj17ELb0EE4sortIPKsPsPKlPlEEbT_T0_T1_T2_jjjjRNS3_12storage_typeE.numbered_sgpr, 33
	.set .L_ZN7rocprim17ROCPRIM_400000_NS6detail40segmented_radix_sort_single_block_helperIslLj256ELj17ELb0EE4sortIPKsPsPKlPlEEbT_T0_T1_T2_jjjjRNS3_12storage_typeE.num_named_barrier, 0
	.set .L_ZN7rocprim17ROCPRIM_400000_NS6detail40segmented_radix_sort_single_block_helperIslLj256ELj17ELb0EE4sortIPKsPsPKlPlEEbT_T0_T1_T2_jjjjRNS3_12storage_typeE.private_seg_size, 196
	.set .L_ZN7rocprim17ROCPRIM_400000_NS6detail40segmented_radix_sort_single_block_helperIslLj256ELj17ELb0EE4sortIPKsPsPKlPlEEbT_T0_T1_T2_jjjjRNS3_12storage_typeE.uses_vcc, 1
	.set .L_ZN7rocprim17ROCPRIM_400000_NS6detail40segmented_radix_sort_single_block_helperIslLj256ELj17ELb0EE4sortIPKsPsPKlPlEEbT_T0_T1_T2_jjjjRNS3_12storage_typeE.uses_flat_scratch, 0
	.set .L_ZN7rocprim17ROCPRIM_400000_NS6detail40segmented_radix_sort_single_block_helperIslLj256ELj17ELb0EE4sortIPKsPsPKlPlEEbT_T0_T1_T2_jjjjRNS3_12storage_typeE.has_dyn_sized_stack, 0
	.set .L_ZN7rocprim17ROCPRIM_400000_NS6detail40segmented_radix_sort_single_block_helperIslLj256ELj17ELb0EE4sortIPKsPsPKlPlEEbT_T0_T1_T2_jjjjRNS3_12storage_typeE.has_recursion, 0
	.set .L_ZN7rocprim17ROCPRIM_400000_NS6detail40segmented_radix_sort_single_block_helperIslLj256ELj17ELb0EE4sortIPKsPsPKlPlEEbT_T0_T1_T2_jjjjRNS3_12storage_typeE.has_indirect_call, 0
	.section	.AMDGPU.csdata,"",@progbits
; Function info:
; codeLenInByte = 29580
; TotalNumSgprs: 35
; NumVgprs: 248
; ScratchSize: 196
; MemoryBound: 1
	.section	.text._ZN7rocprim17ROCPRIM_400000_NS6detail17trampoline_kernelINS0_14default_configENS1_36segmented_radix_sort_config_selectorIslEEZNS1_25segmented_radix_sort_implIS3_Lb0EPKsPsPKlPlN2at6native12_GLOBAL__N_18offset_tEEE10hipError_tPvRmT1_PNSt15iterator_traitsISK_E10value_typeET2_T3_PNSL_ISQ_E10value_typeET4_jRbjT5_SW_jjP12ihipStream_tbEUlT_E_NS1_11comp_targetILNS1_3genE8ELNS1_11target_archE1030ELNS1_3gpuE2ELNS1_3repE0EEENS1_30default_config_static_selectorELNS0_4arch9wavefront6targetE0EEEvSK_,"axG",@progbits,_ZN7rocprim17ROCPRIM_400000_NS6detail17trampoline_kernelINS0_14default_configENS1_36segmented_radix_sort_config_selectorIslEEZNS1_25segmented_radix_sort_implIS3_Lb0EPKsPsPKlPlN2at6native12_GLOBAL__N_18offset_tEEE10hipError_tPvRmT1_PNSt15iterator_traitsISK_E10value_typeET2_T3_PNSL_ISQ_E10value_typeET4_jRbjT5_SW_jjP12ihipStream_tbEUlT_E_NS1_11comp_targetILNS1_3genE8ELNS1_11target_archE1030ELNS1_3gpuE2ELNS1_3repE0EEENS1_30default_config_static_selectorELNS0_4arch9wavefront6targetE0EEEvSK_,comdat
	.globl	_ZN7rocprim17ROCPRIM_400000_NS6detail17trampoline_kernelINS0_14default_configENS1_36segmented_radix_sort_config_selectorIslEEZNS1_25segmented_radix_sort_implIS3_Lb0EPKsPsPKlPlN2at6native12_GLOBAL__N_18offset_tEEE10hipError_tPvRmT1_PNSt15iterator_traitsISK_E10value_typeET2_T3_PNSL_ISQ_E10value_typeET4_jRbjT5_SW_jjP12ihipStream_tbEUlT_E_NS1_11comp_targetILNS1_3genE8ELNS1_11target_archE1030ELNS1_3gpuE2ELNS1_3repE0EEENS1_30default_config_static_selectorELNS0_4arch9wavefront6targetE0EEEvSK_ ; -- Begin function _ZN7rocprim17ROCPRIM_400000_NS6detail17trampoline_kernelINS0_14default_configENS1_36segmented_radix_sort_config_selectorIslEEZNS1_25segmented_radix_sort_implIS3_Lb0EPKsPsPKlPlN2at6native12_GLOBAL__N_18offset_tEEE10hipError_tPvRmT1_PNSt15iterator_traitsISK_E10value_typeET2_T3_PNSL_ISQ_E10value_typeET4_jRbjT5_SW_jjP12ihipStream_tbEUlT_E_NS1_11comp_targetILNS1_3genE8ELNS1_11target_archE1030ELNS1_3gpuE2ELNS1_3repE0EEENS1_30default_config_static_selectorELNS0_4arch9wavefront6targetE0EEEvSK_
	.p2align	8
	.type	_ZN7rocprim17ROCPRIM_400000_NS6detail17trampoline_kernelINS0_14default_configENS1_36segmented_radix_sort_config_selectorIslEEZNS1_25segmented_radix_sort_implIS3_Lb0EPKsPsPKlPlN2at6native12_GLOBAL__N_18offset_tEEE10hipError_tPvRmT1_PNSt15iterator_traitsISK_E10value_typeET2_T3_PNSL_ISQ_E10value_typeET4_jRbjT5_SW_jjP12ihipStream_tbEUlT_E_NS1_11comp_targetILNS1_3genE8ELNS1_11target_archE1030ELNS1_3gpuE2ELNS1_3repE0EEENS1_30default_config_static_selectorELNS0_4arch9wavefront6targetE0EEEvSK_,@function
_ZN7rocprim17ROCPRIM_400000_NS6detail17trampoline_kernelINS0_14default_configENS1_36segmented_radix_sort_config_selectorIslEEZNS1_25segmented_radix_sort_implIS3_Lb0EPKsPsPKlPlN2at6native12_GLOBAL__N_18offset_tEEE10hipError_tPvRmT1_PNSt15iterator_traitsISK_E10value_typeET2_T3_PNSL_ISQ_E10value_typeET4_jRbjT5_SW_jjP12ihipStream_tbEUlT_E_NS1_11comp_targetILNS1_3genE8ELNS1_11target_archE1030ELNS1_3gpuE2ELNS1_3repE0EEENS1_30default_config_static_selectorELNS0_4arch9wavefront6targetE0EEEvSK_: ; @_ZN7rocprim17ROCPRIM_400000_NS6detail17trampoline_kernelINS0_14default_configENS1_36segmented_radix_sort_config_selectorIslEEZNS1_25segmented_radix_sort_implIS3_Lb0EPKsPsPKlPlN2at6native12_GLOBAL__N_18offset_tEEE10hipError_tPvRmT1_PNSt15iterator_traitsISK_E10value_typeET2_T3_PNSL_ISQ_E10value_typeET4_jRbjT5_SW_jjP12ihipStream_tbEUlT_E_NS1_11comp_targetILNS1_3genE8ELNS1_11target_archE1030ELNS1_3gpuE2ELNS1_3repE0EEENS1_30default_config_static_selectorELNS0_4arch9wavefront6targetE0EEEvSK_
; %bb.0:
	s_load_dwordx2 s[12:13], s[4:5], 0x38
	s_mov_b32 s28, s7
	s_mov_b32 s7, 0
	s_add_u32 s0, s0, s8
	s_addc_u32 s1, s1, 0
	s_lshl_b64 s[14:15], s[6:7], 2
	s_load_dwordx4 s[8:11], s[4:5], 0x40
	s_mov_b32 s32, 0
	s_waitcnt lgkmcnt(0)
	s_add_u32 s12, s12, s14
	s_addc_u32 s13, s13, s15
	s_load_dword s7, s[12:13], 0x0
	s_waitcnt lgkmcnt(0)
	s_add_i32 s58, s7, s9
	s_add_i32 s59, s7, s11
	s_mul_i32 s58, s58, s8
	s_mul_i32 s59, s59, s10
	s_cmp_le_u32 s59, s58
	s_cbranch_scc1 .LBB1016_1254
; %bb.1:
	s_clause 0x3
	s_load_dword s7, s[4:5], 0x30
	s_load_dwordx4 s[52:55], s[4:5], 0x20
	s_load_dwordx4 s[40:43], s[4:5], 0x50
	s_load_dwordx8 s[44:51], s[4:5], 0x0
	s_waitcnt lgkmcnt(0)
	s_bitcmp1_b32 s7, 0
	s_mov_b32 s7, -1
	s_cselect_b32 s43, -1, 0
	s_sub_i32 s60, s59, s58
	s_cmpk_lt_u32 s60, 0x1101
	s_cbranch_scc0 .LBB1016_7
; %bb.2:
	v_cndmask_b32_e64 v3, 0, 1, s43
	s_and_b32 s7, s40, 1
	v_lshlrev_b32_e32 v41, 20, v2
	v_lshlrev_b32_e32 v42, 10, v1
	v_cmp_ne_u32_e32 vcc_lo, s7, v3
	s_mov_b32 s7, -1
	s_cbranch_vccnz .LBB1016_4
; %bb.3:
	s_mov_b64 s[10:11], src_shared_base
	v_or3_b32 v31, v0, v42, v41
	v_mov_b32_e32 v40, v0
	v_mov_b32_e32 v0, s44
	;; [unrolled: 1-line block ×17, first 2 shown]
	s_add_u32 s8, s4, 0x60
	s_addc_u32 s9, s5, 0
	s_getpc_b64 s[14:15]
	s_add_u32 s14, s14, _ZN7rocprim17ROCPRIM_400000_NS6detail40segmented_radix_sort_single_block_helperIslLj256ELj17ELb0EE4sortIPKsPsPKlPlEEbT_T0_T1_T2_jjjjRNS3_12storage_typeE@rel32@lo+4
	s_addc_u32 s15, s15, _ZN7rocprim17ROCPRIM_400000_NS6detail40segmented_radix_sort_single_block_helperIslLj256ELj17ELb0EE4sortIPKsPsPKlPlEEbT_T0_T1_T2_jjjjRNS3_12storage_typeE@rel32@hi+12
	s_mov_b32 s12, s6
	s_mov_b32 s13, s28
	;; [unrolled: 1-line block ×3, first 2 shown]
	s_mov_b64 s[36:37], s[4:5]
	s_swappc_b64 s[30:31], s[14:15]
	v_mov_b32_e32 v1, v43
	v_mov_b32_e32 v2, v44
	;; [unrolled: 1-line block ×3, first 2 shown]
	s_mov_b64 s[4:5], s[36:37]
	s_mov_b32 s6, s34
	s_mov_b32 s7, 0
.LBB1016_4:
	s_andn2_b32 vcc_lo, exec_lo, s7
	s_cbranch_vccnz .LBB1016_6
; %bb.5:
	s_mov_b64 s[10:11], src_shared_base
	v_or3_b32 v31, v0, v42, v41
	v_mov_b32_e32 v40, v0
	v_mov_b32_e32 v0, s44
	;; [unrolled: 1-line block ×17, first 2 shown]
	s_add_u32 s8, s4, 0x60
	s_addc_u32 s9, s5, 0
	s_getpc_b64 s[14:15]
	s_add_u32 s14, s14, _ZN7rocprim17ROCPRIM_400000_NS6detail40segmented_radix_sort_single_block_helperIslLj256ELj17ELb0EE4sortIPKsPsPKlPlEEbT_T0_T1_T2_jjjjRNS3_12storage_typeE@rel32@lo+4
	s_addc_u32 s15, s15, _ZN7rocprim17ROCPRIM_400000_NS6detail40segmented_radix_sort_single_block_helperIslLj256ELj17ELb0EE4sortIPKsPsPKlPlEEbT_T0_T1_T2_jjjjRNS3_12storage_typeE@rel32@hi+12
	s_mov_b32 s12, s6
	s_mov_b32 s13, s28
	;; [unrolled: 1-line block ×3, first 2 shown]
	s_mov_b64 s[36:37], s[4:5]
	s_swappc_b64 s[30:31], s[14:15]
	v_mov_b32_e32 v1, v41
	v_mov_b32_e32 v2, v42
	;; [unrolled: 1-line block ×3, first 2 shown]
	s_mov_b64 s[4:5], s[36:37]
	s_mov_b32 s6, s34
.LBB1016_6:
	s_mov_b32 s7, 0
.LBB1016_7:
	s_andn2_b32 vcc_lo, exec_lo, s7
	s_cbranch_vccnz .LBB1016_1254
; %bb.8:
	s_cmp_ge_u32 s41, s42
	s_cbranch_scc1 .LBB1016_1254
; %bb.9:
	v_and_b32_e32 v6, 0xe0, v0
	v_lshlrev_b32_e32 v43, 2, v0
	v_and_b32_e32 v5, 3, v0
	v_lshrrev_b32_e32 v8, 3, v0
	s_add_u32 s56, s4, 0x60
	v_min_u32_e32 v7, 0x60, v6
	v_mad_u32_u24 v64, v0, 12, v43
	v_lshlrev_b32_e32 v63, 2, v5
	v_mul_u32_u24_e32 v5, 17, v6
	v_or_b32_e32 v6, 31, v6
	v_or_b32_e32 v7, 31, v7
	v_add_nc_u32_e32 v68, v64, v43
	v_and_b32_e32 v62, 28, v8
	v_add_nc_u32_e32 v8, 1, v0
	v_cmp_eq_u32_e64 s4, v0, v6
	v_cmp_eq_u32_e64 s8, v0, v7
	v_lshlrev_b32_e32 v7, 4, v0
	v_lshlrev_b32_e32 v6, 3, v5
	;; [unrolled: 1-line block ×3, first 2 shown]
	v_mul_u32_u24_e32 v70, 36, v8
	v_cmp_ne_u32_e64 s13, 0x80, v8
	v_sub_nc_u32_e32 v69, v68, v7
	v_lshlrev_b32_e32 v7, 1, v5
	v_add_co_u32 v8, s14, s54, v6
	v_add_co_ci_u32_e64 v9, null, s55, 0, s14
	v_add_co_u32 v72, s14, s48, v7
	v_add_co_ci_u32_e64 v73, null, s49, 0, s14
	v_add_co_u32 v76, s14, s46, v3
	v_mbcnt_lo_u32_b32 v86, -1, 0
	v_add_co_ci_u32_e64 v77, null, s47, 0, s14
	v_add_co_u32 v78, s14, s52, v6
	v_add_co_ci_u32_e64 v79, null, s53, 0, s14
	v_add_co_u32 v80, s14, s46, v7
	v_lshlrev_b32_e32 v97, 3, v86
	v_add_co_ci_u32_e64 v81, null, s47, 0, s14
	v_add_co_u32 v82, s14, s44, v3
	v_or_b32_e32 v49, 0x400, v0
	v_or_b32_e32 v50, 0x500, v0
	;; [unrolled: 1-line block ×13, first 2 shown]
	v_lshl_add_u32 v71, v0, 5, v69
	v_or_b32_e32 v94, v86, v5
	v_add_co_ci_u32_e64 v83, null, s45, 0, s14
	v_add_co_u32 v84, s14, s50, v6
	v_add_co_u32 v45, s7, s48, v3
	v_add_co_ci_u32_e64 v85, null, s51, 0, s14
	v_add_co_u32 v87, s14, s44, v7
	v_add_co_u32 v123, vcc_lo, v8, v97
	v_mov_b32_e32 v4, 0
	v_or_b32_e32 v44, 0x100, v0
	v_add_co_ci_u32_e64 v46, null, s49, 0, s7
	v_or_b32_e32 v47, 0x200, v0
	v_or_b32_e32 v48, 0x300, v0
	v_cmp_gt_u32_e64 s7, 0x80, v0
	v_or_b32_e32 v65, 0x8a00, v62
	v_cmp_gt_u32_e64 s9, 4, v0
	v_add_nc_u32_e32 v66, 0x8a00, v43
	v_cmp_lt_u32_e64 s10, 31, v0
	v_add_nc_u32_e32 v67, 0x89fc, v62
	v_cmp_gt_u32_e64 s11, 8, v0
	v_cmp_eq_u32_e64 s12, 0, v0
	v_mad_i32_i24 v74, 0xffffffde, v0, v71
	v_mul_u32_u24_e32 v75, 6, v0
	v_add_co_ci_u32_e64 v88, null, s45, 0, s14
	v_mov_b32_e32 v89, 1
	v_and_b32_e32 v90, 15, v86
	v_bfe_i32 v91, v86, 4, 1
	v_and_b32_e32 v92, 16, v86
	v_and_b32_e32 v93, 3, v86
	v_sub_co_u32 v95, s14, v86, 1
	v_and_b32_e32 v96, 7, v86
	v_add_nc_u32_e32 v98, 32, v94
	v_add_nc_u32_e32 v99, 64, v94
	;; [unrolled: 1-line block ×11, first 2 shown]
	v_lshlrev_b32_e32 v109, 1, v0
	v_lshlrev_b32_e32 v110, 1, v49
	;; [unrolled: 1-line block ×14, first 2 shown]
	v_add_co_ci_u32_e64 v124, null, 0, v9, vcc_lo
	s_addc_u32 s57, s5, 0
	s_mov_b32 s51, 0
	s_mov_b32 s61, s41
	s_branch .LBB1016_12
.LBB1016_10:                            ;   in Loop: Header=BB1016_12 Depth=1
	s_waitcnt lgkmcnt(0)
	s_barrier
.LBB1016_11:                            ;   in Loop: Header=BB1016_12 Depth=1
	s_add_i32 s61, s61, 7
	buffer_gl0_inv
	s_cmp_ge_u32 s61, s42
	s_cbranch_scc1 .LBB1016_1254
.LBB1016_12:                            ; =>This Loop Header: Depth=1
                                        ;     Child Loop BB1016_16 Depth 2
                                        ;     Child Loop BB1016_100 Depth 2
	;; [unrolled: 1-line block ×8, first 2 shown]
	s_sub_i32 s5, s42, s61
	s_xor_b32 s43, s43, -1
	s_min_u32 s5, s5, 7
	ds_write2st64_b32 v43, v4, v4 offset1:4
	s_lshl_b32 s5, -1, s5
	s_waitcnt lgkmcnt(0)
	s_waitcnt_vscnt null, 0x0
	s_not_b32 s62, s5
	s_cmp_lg_u32 s61, s41
	s_mov_b32 s5, -1
	s_cbranch_scc0 .LBB1016_634
; %bb.13:                               ;   in Loop: Header=BB1016_12 Depth=1
	s_and_b32 vcc_lo, exec_lo, s43
	s_cbranch_vccz .LBB1016_323
; %bb.14:                               ;   in Loop: Header=BB1016_12 Depth=1
	s_mov_b32 s5, s60
	s_mov_b32 s50, s58
	s_barrier
	buffer_gl0_inv
                                        ; implicit-def: $vgpr3
                                        ; implicit-def: $vgpr5
                                        ; implicit-def: $vgpr6
                                        ; implicit-def: $vgpr7
                                        ; implicit-def: $vgpr8
                                        ; implicit-def: $vgpr9
                                        ; implicit-def: $vgpr10
                                        ; implicit-def: $vgpr11
                                        ; implicit-def: $vgpr12
                                        ; implicit-def: $vgpr13
                                        ; implicit-def: $vgpr14
                                        ; implicit-def: $vgpr15
                                        ; implicit-def: $vgpr16
                                        ; implicit-def: $vgpr17
                                        ; implicit-def: $vgpr18
                                        ; implicit-def: $vgpr19
                                        ; implicit-def: $vgpr20
	s_branch .LBB1016_16
.LBB1016_15:                            ;   in Loop: Header=BB1016_16 Depth=2
	s_or_b32 exec_lo, exec_lo, s16
	s_addk_i32 s5, 0xef00
	s_cmp_ge_u32 s15, s59
	s_mov_b32 s50, s15
	s_cbranch_scc1 .LBB1016_88
.LBB1016_16:                            ;   Parent Loop BB1016_12 Depth=1
                                        ; =>  This Inner Loop Header: Depth=2
	s_add_i32 s15, s50, 0x1100
	s_mov_b32 s16, -1
	s_cmp_gt_u32 s15, s59
                                        ; implicit-def: $vgpr21
                                        ; implicit-def: $vgpr22
                                        ; implicit-def: $vgpr23
                                        ; implicit-def: $vgpr24
                                        ; implicit-def: $vgpr28
                                        ; implicit-def: $vgpr25
                                        ; implicit-def: $vgpr26
                                        ; implicit-def: $vgpr27
                                        ; implicit-def: $vgpr30
                                        ; implicit-def: $vgpr29
                                        ; implicit-def: $vgpr31
                                        ; implicit-def: $vgpr32
                                        ; implicit-def: $vgpr33
                                        ; implicit-def: $vgpr34
                                        ; implicit-def: $vgpr35
                                        ; implicit-def: $vgpr36
                                        ; implicit-def: $vgpr37
	s_cbranch_scc1 .LBB1016_18
; %bb.17:                               ;   in Loop: Header=BB1016_16 Depth=2
	s_lshl_b64 s[16:17], s[50:51], 1
	v_add_co_u32 v30, vcc_lo, v45, s16
	v_add_co_ci_u32_e64 v31, null, s17, v46, vcc_lo
	s_mov_b32 s16, 0
	v_add_co_u32 v27, vcc_lo, 0x800, v30
	v_add_co_ci_u32_e64 v28, null, 0, v31, vcc_lo
	v_add_co_u32 v32, vcc_lo, v30, 0x1000
	v_add_co_ci_u32_e64 v33, null, 0, v31, vcc_lo
	;; [unrolled: 2-line block ×5, first 2 shown]
	s_clause 0x10
	global_load_ushort v21, v[30:31], off
	global_load_ushort v22, v[30:31], off offset:512
	global_load_ushort v23, v[30:31], off offset:1024
	;; [unrolled: 1-line block ×7, first 2 shown]
	global_load_ushort v28, v[32:33], off offset:-2048
	global_load_ushort v30, v[32:33], off
	global_load_ushort v31, v[34:35], off offset:1024
	global_load_ushort v32, v[34:35], off offset:1536
	global_load_ushort v33, v[38:39], off offset:-2048
	global_load_ushort v34, v[36:37], off offset:512
	global_load_ushort v35, v[36:37], off offset:1024
	;; [unrolled: 1-line block ×3, first 2 shown]
	global_load_ushort v37, v[38:39], off
.LBB1016_18:                            ;   in Loop: Header=BB1016_16 Depth=2
	s_andn2_b32 vcc_lo, exec_lo, s16
	s_movk_i32 s16, 0x1100
	s_cbranch_vccnz .LBB1016_38
; %bb.19:                               ;   in Loop: Header=BB1016_16 Depth=2
	s_lshl_b64 s[16:17], s[50:51], 1
	s_mov_b32 s18, exec_lo
	s_add_u32 s16, s48, s16
	s_addc_u32 s17, s49, s17
	v_cmpx_gt_u32_e64 s5, v0
	s_cbranch_execnz .LBB1016_72
; %bb.20:                               ;   in Loop: Header=BB1016_16 Depth=2
	s_or_b32 exec_lo, exec_lo, s18
	s_mov_b32 s18, exec_lo
	v_cmpx_gt_u32_e64 s5, v44
	s_cbranch_execnz .LBB1016_73
.LBB1016_21:                            ;   in Loop: Header=BB1016_16 Depth=2
	s_or_b32 exec_lo, exec_lo, s18
	s_mov_b32 s18, exec_lo
	v_cmpx_gt_u32_e64 s5, v47
	s_cbranch_execnz .LBB1016_74
.LBB1016_22:                            ;   in Loop: Header=BB1016_16 Depth=2
	s_or_b32 exec_lo, exec_lo, s18
	s_mov_b32 s18, exec_lo
	v_cmpx_gt_u32_e64 s5, v48
	s_cbranch_execnz .LBB1016_75
.LBB1016_23:                            ;   in Loop: Header=BB1016_16 Depth=2
	s_or_b32 exec_lo, exec_lo, s18
	s_mov_b32 s18, exec_lo
	v_cmpx_gt_u32_e64 s5, v49
	s_cbranch_execnz .LBB1016_76
.LBB1016_24:                            ;   in Loop: Header=BB1016_16 Depth=2
	s_or_b32 exec_lo, exec_lo, s18
	s_mov_b32 s18, exec_lo
	v_cmpx_gt_u32_e64 s5, v50
	s_cbranch_execnz .LBB1016_77
.LBB1016_25:                            ;   in Loop: Header=BB1016_16 Depth=2
	s_or_b32 exec_lo, exec_lo, s18
	s_mov_b32 s18, exec_lo
	v_cmpx_gt_u32_e64 s5, v51
	s_cbranch_execnz .LBB1016_78
.LBB1016_26:                            ;   in Loop: Header=BB1016_16 Depth=2
	s_or_b32 exec_lo, exec_lo, s18
	s_mov_b32 s18, exec_lo
	v_cmpx_gt_u32_e64 s5, v52
	s_cbranch_execnz .LBB1016_79
.LBB1016_27:                            ;   in Loop: Header=BB1016_16 Depth=2
	s_or_b32 exec_lo, exec_lo, s18
	s_mov_b32 s18, exec_lo
	v_cmpx_gt_u32_e64 s5, v53
	s_cbranch_execnz .LBB1016_80
.LBB1016_28:                            ;   in Loop: Header=BB1016_16 Depth=2
	s_or_b32 exec_lo, exec_lo, s18
	s_mov_b32 s18, exec_lo
	v_cmpx_gt_u32_e64 s5, v54
	s_cbranch_execnz .LBB1016_81
.LBB1016_29:                            ;   in Loop: Header=BB1016_16 Depth=2
	s_or_b32 exec_lo, exec_lo, s18
	s_mov_b32 s18, exec_lo
	v_cmpx_gt_u32_e64 s5, v55
	s_cbranch_execnz .LBB1016_82
.LBB1016_30:                            ;   in Loop: Header=BB1016_16 Depth=2
	s_or_b32 exec_lo, exec_lo, s18
	s_mov_b32 s18, exec_lo
	v_cmpx_gt_u32_e64 s5, v56
	s_cbranch_execnz .LBB1016_83
.LBB1016_31:                            ;   in Loop: Header=BB1016_16 Depth=2
	s_or_b32 exec_lo, exec_lo, s18
	s_mov_b32 s18, exec_lo
	v_cmpx_gt_u32_e64 s5, v57
	s_cbranch_execnz .LBB1016_84
.LBB1016_32:                            ;   in Loop: Header=BB1016_16 Depth=2
	s_or_b32 exec_lo, exec_lo, s18
	s_mov_b32 s18, exec_lo
	v_cmpx_gt_u32_e64 s5, v58
	s_cbranch_execnz .LBB1016_85
.LBB1016_33:                            ;   in Loop: Header=BB1016_16 Depth=2
	s_or_b32 exec_lo, exec_lo, s18
	s_mov_b32 s18, exec_lo
	v_cmpx_gt_u32_e64 s5, v59
	s_cbranch_execnz .LBB1016_86
.LBB1016_34:                            ;   in Loop: Header=BB1016_16 Depth=2
	s_or_b32 exec_lo, exec_lo, s18
	s_mov_b32 s18, exec_lo
	v_cmpx_gt_u32_e64 s5, v60
	s_cbranch_execnz .LBB1016_87
.LBB1016_35:                            ;   in Loop: Header=BB1016_16 Depth=2
	s_or_b32 exec_lo, exec_lo, s18
	s_mov_b32 s18, exec_lo
	v_cmpx_gt_u32_e64 s5, v61
	s_cbranch_execz .LBB1016_37
.LBB1016_36:                            ;   in Loop: Header=BB1016_16 Depth=2
	global_load_ushort v3, v122, s[16:17]
.LBB1016_37:                            ;   in Loop: Header=BB1016_16 Depth=2
	s_or_b32 exec_lo, exec_lo, s18
	s_waitcnt vmcnt(0)
	v_mov_b32_e32 v21, v20
	v_mov_b32_e32 v22, v19
	;; [unrolled: 1-line block ×17, first 2 shown]
	s_mov_b32 s16, s5
.LBB1016_38:                            ;   in Loop: Header=BB1016_16 Depth=2
	s_waitcnt vmcnt(0)
	v_mov_b32_e32 v3, v37
	v_mov_b32_e32 v5, v36
	;; [unrolled: 1-line block ×17, first 2 shown]
	s_mov_b32 s17, exec_lo
	v_cmpx_gt_u32_e64 s16, v0
	s_cbranch_execnz .LBB1016_55
; %bb.39:                               ;   in Loop: Header=BB1016_16 Depth=2
	s_or_b32 exec_lo, exec_lo, s17
	s_mov_b32 s17, exec_lo
	v_cmpx_gt_u32_e64 s16, v44
	s_cbranch_execnz .LBB1016_56
.LBB1016_40:                            ;   in Loop: Header=BB1016_16 Depth=2
	s_or_b32 exec_lo, exec_lo, s17
	s_mov_b32 s17, exec_lo
	v_cmpx_gt_u32_e64 s16, v47
	s_cbranch_execnz .LBB1016_57
.LBB1016_41:                            ;   in Loop: Header=BB1016_16 Depth=2
	s_or_b32 exec_lo, exec_lo, s17
	s_mov_b32 s17, exec_lo
	v_cmpx_gt_u32_e64 s16, v48
	s_cbranch_execnz .LBB1016_58
.LBB1016_42:                            ;   in Loop: Header=BB1016_16 Depth=2
	s_or_b32 exec_lo, exec_lo, s17
	s_mov_b32 s17, exec_lo
	v_cmpx_gt_u32_e64 s16, v49
	s_cbranch_execnz .LBB1016_59
.LBB1016_43:                            ;   in Loop: Header=BB1016_16 Depth=2
	s_or_b32 exec_lo, exec_lo, s17
	s_mov_b32 s17, exec_lo
	v_cmpx_gt_u32_e64 s16, v50
	s_cbranch_execnz .LBB1016_60
.LBB1016_44:                            ;   in Loop: Header=BB1016_16 Depth=2
	s_or_b32 exec_lo, exec_lo, s17
	s_mov_b32 s17, exec_lo
	v_cmpx_gt_u32_e64 s16, v51
	s_cbranch_execnz .LBB1016_61
.LBB1016_45:                            ;   in Loop: Header=BB1016_16 Depth=2
	s_or_b32 exec_lo, exec_lo, s17
	s_mov_b32 s17, exec_lo
	v_cmpx_gt_u32_e64 s16, v52
	s_cbranch_execnz .LBB1016_62
.LBB1016_46:                            ;   in Loop: Header=BB1016_16 Depth=2
	s_or_b32 exec_lo, exec_lo, s17
	s_mov_b32 s17, exec_lo
	v_cmpx_gt_u32_e64 s16, v53
	s_cbranch_execnz .LBB1016_63
.LBB1016_47:                            ;   in Loop: Header=BB1016_16 Depth=2
	s_or_b32 exec_lo, exec_lo, s17
	s_mov_b32 s17, exec_lo
	v_cmpx_gt_u32_e64 s16, v54
	s_cbranch_execnz .LBB1016_64
.LBB1016_48:                            ;   in Loop: Header=BB1016_16 Depth=2
	s_or_b32 exec_lo, exec_lo, s17
	s_mov_b32 s17, exec_lo
	v_cmpx_gt_u32_e64 s16, v55
	s_cbranch_execnz .LBB1016_65
.LBB1016_49:                            ;   in Loop: Header=BB1016_16 Depth=2
	s_or_b32 exec_lo, exec_lo, s17
	s_mov_b32 s17, exec_lo
	v_cmpx_gt_u32_e64 s16, v56
	s_cbranch_execnz .LBB1016_66
.LBB1016_50:                            ;   in Loop: Header=BB1016_16 Depth=2
	s_or_b32 exec_lo, exec_lo, s17
	s_mov_b32 s17, exec_lo
	v_cmpx_gt_u32_e64 s16, v57
	s_cbranch_execnz .LBB1016_67
.LBB1016_51:                            ;   in Loop: Header=BB1016_16 Depth=2
	s_or_b32 exec_lo, exec_lo, s17
	s_mov_b32 s17, exec_lo
	v_cmpx_gt_u32_e64 s16, v58
	s_cbranch_execnz .LBB1016_68
.LBB1016_52:                            ;   in Loop: Header=BB1016_16 Depth=2
	s_or_b32 exec_lo, exec_lo, s17
	s_mov_b32 s17, exec_lo
	v_cmpx_gt_u32_e64 s16, v59
	s_cbranch_execnz .LBB1016_69
.LBB1016_53:                            ;   in Loop: Header=BB1016_16 Depth=2
	s_or_b32 exec_lo, exec_lo, s17
	s_mov_b32 s17, exec_lo
	v_cmpx_gt_u32_e64 s16, v60
	s_cbranch_execnz .LBB1016_70
.LBB1016_54:                            ;   in Loop: Header=BB1016_16 Depth=2
	s_or_b32 exec_lo, exec_lo, s17
	v_cmp_gt_u32_e32 vcc_lo, s16, v61
	s_and_saveexec_b32 s16, vcc_lo
	s_cbranch_execz .LBB1016_15
	s_branch .LBB1016_71
.LBB1016_55:                            ;   in Loop: Header=BB1016_16 Depth=2
	v_xor_b32_e32 v21, 0xffff8000, v20
	v_lshrrev_b32_sdwa v21, s61, v21 dst_sel:DWORD dst_unused:UNUSED_PAD src0_sel:DWORD src1_sel:WORD_0
	v_and_b32_e32 v21, s62, v21
	v_lshl_or_b32 v21, v21, 4, v63
	ds_add_u32 v21, v89
	s_or_b32 exec_lo, exec_lo, s17
	s_mov_b32 s17, exec_lo
	v_cmpx_gt_u32_e64 s16, v44
	s_cbranch_execz .LBB1016_40
.LBB1016_56:                            ;   in Loop: Header=BB1016_16 Depth=2
	v_xor_b32_e32 v21, 0xffff8000, v19
	v_lshrrev_b32_sdwa v21, s61, v21 dst_sel:DWORD dst_unused:UNUSED_PAD src0_sel:DWORD src1_sel:WORD_0
	v_and_b32_e32 v21, s62, v21
	v_lshl_or_b32 v21, v21, 4, v63
	ds_add_u32 v21, v89
	s_or_b32 exec_lo, exec_lo, s17
	s_mov_b32 s17, exec_lo
	v_cmpx_gt_u32_e64 s16, v47
	s_cbranch_execz .LBB1016_41
.LBB1016_57:                            ;   in Loop: Header=BB1016_16 Depth=2
	v_xor_b32_e32 v21, 0xffff8000, v18
	v_lshrrev_b32_sdwa v21, s61, v21 dst_sel:DWORD dst_unused:UNUSED_PAD src0_sel:DWORD src1_sel:WORD_0
	v_and_b32_e32 v21, s62, v21
	v_lshl_or_b32 v21, v21, 4, v63
	ds_add_u32 v21, v89
	s_or_b32 exec_lo, exec_lo, s17
	s_mov_b32 s17, exec_lo
	v_cmpx_gt_u32_e64 s16, v48
	s_cbranch_execz .LBB1016_42
.LBB1016_58:                            ;   in Loop: Header=BB1016_16 Depth=2
	v_xor_b32_e32 v21, 0xffff8000, v17
	v_lshrrev_b32_sdwa v21, s61, v21 dst_sel:DWORD dst_unused:UNUSED_PAD src0_sel:DWORD src1_sel:WORD_0
	v_and_b32_e32 v21, s62, v21
	v_lshl_or_b32 v21, v21, 4, v63
	ds_add_u32 v21, v89
	s_or_b32 exec_lo, exec_lo, s17
	s_mov_b32 s17, exec_lo
	v_cmpx_gt_u32_e64 s16, v49
	s_cbranch_execz .LBB1016_43
.LBB1016_59:                            ;   in Loop: Header=BB1016_16 Depth=2
	v_xor_b32_e32 v21, 0xffff8000, v16
	v_lshrrev_b32_sdwa v21, s61, v21 dst_sel:DWORD dst_unused:UNUSED_PAD src0_sel:DWORD src1_sel:WORD_0
	v_and_b32_e32 v21, s62, v21
	v_lshl_or_b32 v21, v21, 4, v63
	ds_add_u32 v21, v89
	s_or_b32 exec_lo, exec_lo, s17
	s_mov_b32 s17, exec_lo
	v_cmpx_gt_u32_e64 s16, v50
	s_cbranch_execz .LBB1016_44
.LBB1016_60:                            ;   in Loop: Header=BB1016_16 Depth=2
	v_xor_b32_e32 v21, 0xffff8000, v15
	v_lshrrev_b32_sdwa v21, s61, v21 dst_sel:DWORD dst_unused:UNUSED_PAD src0_sel:DWORD src1_sel:WORD_0
	v_and_b32_e32 v21, s62, v21
	v_lshl_or_b32 v21, v21, 4, v63
	ds_add_u32 v21, v89
	s_or_b32 exec_lo, exec_lo, s17
	s_mov_b32 s17, exec_lo
	v_cmpx_gt_u32_e64 s16, v51
	s_cbranch_execz .LBB1016_45
.LBB1016_61:                            ;   in Loop: Header=BB1016_16 Depth=2
	v_xor_b32_e32 v21, 0xffff8000, v14
	v_lshrrev_b32_sdwa v21, s61, v21 dst_sel:DWORD dst_unused:UNUSED_PAD src0_sel:DWORD src1_sel:WORD_0
	v_and_b32_e32 v21, s62, v21
	v_lshl_or_b32 v21, v21, 4, v63
	ds_add_u32 v21, v89
	s_or_b32 exec_lo, exec_lo, s17
	s_mov_b32 s17, exec_lo
	v_cmpx_gt_u32_e64 s16, v52
	s_cbranch_execz .LBB1016_46
.LBB1016_62:                            ;   in Loop: Header=BB1016_16 Depth=2
	v_xor_b32_e32 v21, 0xffff8000, v13
	v_lshrrev_b32_sdwa v21, s61, v21 dst_sel:DWORD dst_unused:UNUSED_PAD src0_sel:DWORD src1_sel:WORD_0
	v_and_b32_e32 v21, s62, v21
	v_lshl_or_b32 v21, v21, 4, v63
	ds_add_u32 v21, v89
	s_or_b32 exec_lo, exec_lo, s17
	s_mov_b32 s17, exec_lo
	v_cmpx_gt_u32_e64 s16, v53
	s_cbranch_execz .LBB1016_47
.LBB1016_63:                            ;   in Loop: Header=BB1016_16 Depth=2
	v_xor_b32_e32 v21, 0xffff8000, v12
	v_lshrrev_b32_sdwa v21, s61, v21 dst_sel:DWORD dst_unused:UNUSED_PAD src0_sel:DWORD src1_sel:WORD_0
	v_and_b32_e32 v21, s62, v21
	v_lshl_or_b32 v21, v21, 4, v63
	ds_add_u32 v21, v89
	s_or_b32 exec_lo, exec_lo, s17
	s_mov_b32 s17, exec_lo
	v_cmpx_gt_u32_e64 s16, v54
	s_cbranch_execz .LBB1016_48
.LBB1016_64:                            ;   in Loop: Header=BB1016_16 Depth=2
	v_xor_b32_e32 v21, 0xffff8000, v11
	v_lshrrev_b32_sdwa v21, s61, v21 dst_sel:DWORD dst_unused:UNUSED_PAD src0_sel:DWORD src1_sel:WORD_0
	v_and_b32_e32 v21, s62, v21
	v_lshl_or_b32 v21, v21, 4, v63
	ds_add_u32 v21, v89
	s_or_b32 exec_lo, exec_lo, s17
	s_mov_b32 s17, exec_lo
	v_cmpx_gt_u32_e64 s16, v55
	s_cbranch_execz .LBB1016_49
.LBB1016_65:                            ;   in Loop: Header=BB1016_16 Depth=2
	v_xor_b32_e32 v21, 0xffff8000, v10
	v_lshrrev_b32_sdwa v21, s61, v21 dst_sel:DWORD dst_unused:UNUSED_PAD src0_sel:DWORD src1_sel:WORD_0
	v_and_b32_e32 v21, s62, v21
	v_lshl_or_b32 v21, v21, 4, v63
	ds_add_u32 v21, v89
	s_or_b32 exec_lo, exec_lo, s17
	s_mov_b32 s17, exec_lo
	v_cmpx_gt_u32_e64 s16, v56
	s_cbranch_execz .LBB1016_50
.LBB1016_66:                            ;   in Loop: Header=BB1016_16 Depth=2
	v_xor_b32_e32 v21, 0xffff8000, v9
	v_lshrrev_b32_sdwa v21, s61, v21 dst_sel:DWORD dst_unused:UNUSED_PAD src0_sel:DWORD src1_sel:WORD_0
	v_and_b32_e32 v21, s62, v21
	v_lshl_or_b32 v21, v21, 4, v63
	ds_add_u32 v21, v89
	s_or_b32 exec_lo, exec_lo, s17
	s_mov_b32 s17, exec_lo
	v_cmpx_gt_u32_e64 s16, v57
	s_cbranch_execz .LBB1016_51
.LBB1016_67:                            ;   in Loop: Header=BB1016_16 Depth=2
	v_xor_b32_e32 v21, 0xffff8000, v8
	v_lshrrev_b32_sdwa v21, s61, v21 dst_sel:DWORD dst_unused:UNUSED_PAD src0_sel:DWORD src1_sel:WORD_0
	v_and_b32_e32 v21, s62, v21
	v_lshl_or_b32 v21, v21, 4, v63
	ds_add_u32 v21, v89
	s_or_b32 exec_lo, exec_lo, s17
	s_mov_b32 s17, exec_lo
	v_cmpx_gt_u32_e64 s16, v58
	s_cbranch_execz .LBB1016_52
.LBB1016_68:                            ;   in Loop: Header=BB1016_16 Depth=2
	v_xor_b32_e32 v21, 0xffff8000, v7
	v_lshrrev_b32_sdwa v21, s61, v21 dst_sel:DWORD dst_unused:UNUSED_PAD src0_sel:DWORD src1_sel:WORD_0
	v_and_b32_e32 v21, s62, v21
	v_lshl_or_b32 v21, v21, 4, v63
	ds_add_u32 v21, v89
	s_or_b32 exec_lo, exec_lo, s17
	s_mov_b32 s17, exec_lo
	v_cmpx_gt_u32_e64 s16, v59
	s_cbranch_execz .LBB1016_53
.LBB1016_69:                            ;   in Loop: Header=BB1016_16 Depth=2
	v_xor_b32_e32 v21, 0xffff8000, v6
	v_lshrrev_b32_sdwa v21, s61, v21 dst_sel:DWORD dst_unused:UNUSED_PAD src0_sel:DWORD src1_sel:WORD_0
	v_and_b32_e32 v21, s62, v21
	v_lshl_or_b32 v21, v21, 4, v63
	ds_add_u32 v21, v89
	s_or_b32 exec_lo, exec_lo, s17
	s_mov_b32 s17, exec_lo
	v_cmpx_gt_u32_e64 s16, v60
	s_cbranch_execz .LBB1016_54
.LBB1016_70:                            ;   in Loop: Header=BB1016_16 Depth=2
	v_xor_b32_e32 v21, 0xffff8000, v5
	v_lshrrev_b32_sdwa v21, s61, v21 dst_sel:DWORD dst_unused:UNUSED_PAD src0_sel:DWORD src1_sel:WORD_0
	v_and_b32_e32 v21, s62, v21
	v_lshl_or_b32 v21, v21, 4, v63
	ds_add_u32 v21, v89
	s_or_b32 exec_lo, exec_lo, s17
	v_cmp_gt_u32_e32 vcc_lo, s16, v61
	s_and_saveexec_b32 s16, vcc_lo
	s_cbranch_execz .LBB1016_15
.LBB1016_71:                            ;   in Loop: Header=BB1016_16 Depth=2
	v_xor_b32_e32 v21, 0xffff8000, v3
	v_lshrrev_b32_sdwa v21, s61, v21 dst_sel:DWORD dst_unused:UNUSED_PAD src0_sel:DWORD src1_sel:WORD_0
	v_and_b32_e32 v21, s62, v21
	v_lshl_or_b32 v21, v21, 4, v63
	ds_add_u32 v21, v89
	s_branch .LBB1016_15
.LBB1016_72:                            ;   in Loop: Header=BB1016_16 Depth=2
	global_load_ushort v20, v109, s[16:17]
	s_or_b32 exec_lo, exec_lo, s18
	s_mov_b32 s18, exec_lo
	v_cmpx_gt_u32_e64 s5, v44
	s_cbranch_execz .LBB1016_21
.LBB1016_73:                            ;   in Loop: Header=BB1016_16 Depth=2
	global_load_ushort v19, v109, s[16:17] offset:512
	s_or_b32 exec_lo, exec_lo, s18
	s_mov_b32 s18, exec_lo
	v_cmpx_gt_u32_e64 s5, v47
	s_cbranch_execz .LBB1016_22
.LBB1016_74:                            ;   in Loop: Header=BB1016_16 Depth=2
	global_load_ushort v18, v109, s[16:17] offset:1024
	s_or_b32 exec_lo, exec_lo, s18
	s_mov_b32 s18, exec_lo
	v_cmpx_gt_u32_e64 s5, v48
	s_cbranch_execz .LBB1016_23
.LBB1016_75:                            ;   in Loop: Header=BB1016_16 Depth=2
	global_load_ushort v17, v109, s[16:17] offset:1536
	s_or_b32 exec_lo, exec_lo, s18
	s_mov_b32 s18, exec_lo
	v_cmpx_gt_u32_e64 s5, v49
	s_cbranch_execz .LBB1016_24
.LBB1016_76:                            ;   in Loop: Header=BB1016_16 Depth=2
	global_load_ushort v16, v110, s[16:17]
	s_or_b32 exec_lo, exec_lo, s18
	s_mov_b32 s18, exec_lo
	v_cmpx_gt_u32_e64 s5, v50
	s_cbranch_execz .LBB1016_25
.LBB1016_77:                            ;   in Loop: Header=BB1016_16 Depth=2
	global_load_ushort v15, v111, s[16:17]
	s_or_b32 exec_lo, exec_lo, s18
	s_mov_b32 s18, exec_lo
	v_cmpx_gt_u32_e64 s5, v51
	s_cbranch_execz .LBB1016_26
.LBB1016_78:                            ;   in Loop: Header=BB1016_16 Depth=2
	global_load_ushort v14, v112, s[16:17]
	s_or_b32 exec_lo, exec_lo, s18
	s_mov_b32 s18, exec_lo
	v_cmpx_gt_u32_e64 s5, v52
	s_cbranch_execz .LBB1016_27
.LBB1016_79:                            ;   in Loop: Header=BB1016_16 Depth=2
	global_load_ushort v13, v113, s[16:17]
	s_or_b32 exec_lo, exec_lo, s18
	s_mov_b32 s18, exec_lo
	v_cmpx_gt_u32_e64 s5, v53
	s_cbranch_execz .LBB1016_28
.LBB1016_80:                            ;   in Loop: Header=BB1016_16 Depth=2
	global_load_ushort v12, v114, s[16:17]
	s_or_b32 exec_lo, exec_lo, s18
	s_mov_b32 s18, exec_lo
	v_cmpx_gt_u32_e64 s5, v54
	s_cbranch_execz .LBB1016_29
.LBB1016_81:                            ;   in Loop: Header=BB1016_16 Depth=2
	global_load_ushort v11, v115, s[16:17]
	s_or_b32 exec_lo, exec_lo, s18
	s_mov_b32 s18, exec_lo
	v_cmpx_gt_u32_e64 s5, v55
	s_cbranch_execz .LBB1016_30
.LBB1016_82:                            ;   in Loop: Header=BB1016_16 Depth=2
	global_load_ushort v10, v116, s[16:17]
	s_or_b32 exec_lo, exec_lo, s18
	s_mov_b32 s18, exec_lo
	v_cmpx_gt_u32_e64 s5, v56
	s_cbranch_execz .LBB1016_31
.LBB1016_83:                            ;   in Loop: Header=BB1016_16 Depth=2
	global_load_ushort v9, v117, s[16:17]
	s_or_b32 exec_lo, exec_lo, s18
	s_mov_b32 s18, exec_lo
	v_cmpx_gt_u32_e64 s5, v57
	s_cbranch_execz .LBB1016_32
.LBB1016_84:                            ;   in Loop: Header=BB1016_16 Depth=2
	global_load_ushort v8, v118, s[16:17]
	s_or_b32 exec_lo, exec_lo, s18
	s_mov_b32 s18, exec_lo
	v_cmpx_gt_u32_e64 s5, v58
	s_cbranch_execz .LBB1016_33
.LBB1016_85:                            ;   in Loop: Header=BB1016_16 Depth=2
	global_load_ushort v7, v119, s[16:17]
	s_or_b32 exec_lo, exec_lo, s18
	s_mov_b32 s18, exec_lo
	v_cmpx_gt_u32_e64 s5, v59
	s_cbranch_execz .LBB1016_34
.LBB1016_86:                            ;   in Loop: Header=BB1016_16 Depth=2
	global_load_ushort v6, v120, s[16:17]
	s_or_b32 exec_lo, exec_lo, s18
	s_mov_b32 s18, exec_lo
	v_cmpx_gt_u32_e64 s5, v60
	s_cbranch_execz .LBB1016_35
.LBB1016_87:                            ;   in Loop: Header=BB1016_16 Depth=2
	global_load_ushort v5, v121, s[16:17]
	s_or_b32 exec_lo, exec_lo, s18
	s_mov_b32 s18, exec_lo
	v_cmpx_gt_u32_e64 s5, v61
	s_cbranch_execnz .LBB1016_36
	s_branch .LBB1016_37
.LBB1016_88:                            ;   in Loop: Header=BB1016_12 Depth=1
	v_mov_b32_e32 v3, 0
	s_waitcnt lgkmcnt(0)
	s_barrier
	buffer_gl0_inv
	s_and_saveexec_b32 s5, s7
	s_cbranch_execz .LBB1016_90
; %bb.89:                               ;   in Loop: Header=BB1016_12 Depth=1
	ds_read2_b64 v[5:8], v64 offset1:1
	s_waitcnt lgkmcnt(0)
	v_add_nc_u32_e32 v3, v6, v5
	v_add3_u32 v3, v3, v7, v8
.LBB1016_90:                            ;   in Loop: Header=BB1016_12 Depth=1
	s_or_b32 exec_lo, exec_lo, s5
	v_mov_b32_dpp v5, v3 row_shr:1 row_mask:0xf bank_mask:0xf
	v_cmp_eq_u32_e64 s5, 0, v90
	v_cmp_lt_u32_e64 s15, 1, v90
	v_cmp_lt_u32_e64 s16, 3, v90
	v_cmp_lt_u32_e64 s17, 7, v90
	v_cmp_eq_u32_e64 s18, 0, v92
	v_cndmask_b32_e64 v5, v5, 0, s5
	v_add_nc_u32_e32 v3, v5, v3
	v_mov_b32_dpp v5, v3 row_shr:2 row_mask:0xf bank_mask:0xf
	v_cndmask_b32_e64 v5, 0, v5, s15
	v_add_nc_u32_e32 v3, v3, v5
	v_mov_b32_dpp v5, v3 row_shr:4 row_mask:0xf bank_mask:0xf
	;; [unrolled: 3-line block ×3, first 2 shown]
	v_cndmask_b32_e64 v5, 0, v5, s17
	v_add_nc_u32_e32 v3, v3, v5
	ds_swizzle_b32 v5, v3 offset:swizzle(BROADCAST,32,15)
	s_waitcnt lgkmcnt(0)
	v_and_b32_e32 v5, v91, v5
	v_add_nc_u32_e32 v3, v3, v5
	s_and_saveexec_b32 s19, s8
; %bb.91:                               ;   in Loop: Header=BB1016_12 Depth=1
	ds_write_b32 v65, v3
; %bb.92:                               ;   in Loop: Header=BB1016_12 Depth=1
	s_or_b32 exec_lo, exec_lo, s19
	s_waitcnt lgkmcnt(0)
	s_barrier
	buffer_gl0_inv
	s_and_saveexec_b32 s19, s9
	s_cbranch_execz .LBB1016_94
; %bb.93:                               ;   in Loop: Header=BB1016_12 Depth=1
	ds_read_b32 v5, v66
	v_cmp_ne_u32_e32 vcc_lo, 0, v93
	s_waitcnt lgkmcnt(0)
	v_mov_b32_dpp v6, v5 row_shr:1 row_mask:0xf bank_mask:0xf
	v_cndmask_b32_e32 v6, 0, v6, vcc_lo
	v_cmp_lt_u32_e32 vcc_lo, 1, v93
	v_add_nc_u32_e32 v5, v6, v5
	v_mov_b32_dpp v6, v5 row_shr:2 row_mask:0xf bank_mask:0xf
	v_cndmask_b32_e32 v6, 0, v6, vcc_lo
	v_add_nc_u32_e32 v5, v5, v6
	ds_write_b32 v66, v5
.LBB1016_94:                            ;   in Loop: Header=BB1016_12 Depth=1
	s_or_b32 exec_lo, exec_lo, s19
	v_mov_b32_e32 v5, 0
	s_waitcnt lgkmcnt(0)
	s_barrier
	buffer_gl0_inv
	s_and_saveexec_b32 s19, s10
; %bb.95:                               ;   in Loop: Header=BB1016_12 Depth=1
	ds_read_b32 v5, v67
; %bb.96:                               ;   in Loop: Header=BB1016_12 Depth=1
	s_or_b32 exec_lo, exec_lo, s19
	v_cmp_gt_i32_e32 vcc_lo, 0, v95
	s_waitcnt lgkmcnt(0)
	v_add_nc_u32_e32 v3, v5, v3
	s_barrier
	buffer_gl0_inv
	v_cndmask_b32_e32 v6, v95, v86, vcc_lo
	v_lshlrev_b32_e32 v125, 2, v6
	ds_bpermute_b32 v3, v125, v3
	s_and_saveexec_b32 s19, s7
	s_cbranch_execz .LBB1016_98
; %bb.97:                               ;   in Loop: Header=BB1016_12 Depth=1
	s_waitcnt lgkmcnt(0)
	v_cndmask_b32_e64 v3, v3, v5, s14
	v_add_nc_u32_e32 v3, s58, v3
	ds_write_b32 v43, v3
.LBB1016_98:                            ;   in Loop: Header=BB1016_12 Depth=1
	s_or_b32 exec_lo, exec_lo, s19
	s_clause 0x1
	s_load_dword s19, s[56:57], 0x4
	s_load_dword s22, s[56:57], 0xc
	v_add_nc_u32_e32 v126, 0x180, v94
	v_add_nc_u32_e32 v127, 0x1a0, v94
	v_add_nc_u32_e32 v128, 0x1c0, v94
	v_add_nc_u32_e32 v129, 0x1e0, v94
	v_add_nc_u32_e32 v130, 0x200, v94
	s_mov_b32 s63, s60
	s_mov_b32 s50, s58
                                        ; implicit-def: $vgpr7_vgpr8
                                        ; implicit-def: $vgpr9_vgpr10
                                        ; implicit-def: $vgpr11_vgpr12
                                        ; implicit-def: $vgpr13_vgpr14
                                        ; implicit-def: $vgpr15_vgpr16
                                        ; implicit-def: $vgpr19_vgpr20
                                        ; implicit-def: $vgpr23_vgpr24
                                        ; implicit-def: $vgpr27_vgpr28
                                        ; implicit-def: $vgpr17_vgpr18
                                        ; implicit-def: $vgpr21_vgpr22
                                        ; implicit-def: $vgpr25_vgpr26
                                        ; implicit-def: $vgpr29_vgpr30
                                        ; implicit-def: $vgpr31_vgpr32
                                        ; implicit-def: $vgpr33_vgpr34
                                        ; implicit-def: $vgpr35_vgpr36
                                        ; implicit-def: $vgpr37_vgpr38
                                        ; implicit-def: $vgpr134
                                        ; implicit-def: $vgpr135
                                        ; implicit-def: $vgpr136
                                        ; implicit-def: $vgpr137
                                        ; implicit-def: $vgpr138
                                        ; implicit-def: $vgpr139
                                        ; implicit-def: $vgpr140
                                        ; implicit-def: $vgpr141
                                        ; implicit-def: $vgpr142
                                        ; implicit-def: $vgpr143
                                        ; implicit-def: $vgpr144
                                        ; implicit-def: $vgpr145
                                        ; implicit-def: $vgpr146
                                        ; implicit-def: $vgpr147
                                        ; implicit-def: $vgpr148
                                        ; implicit-def: $vgpr150
                                        ; implicit-def: $vgpr151
                                        ; implicit-def: $vgpr149
                                        ; implicit-def: $vgpr152
	s_waitcnt lgkmcnt(0)
	s_cmp_lt_u32 s28, s19
	s_cselect_b32 s19, 14, 20
	s_add_u32 s20, s56, s19
	s_addc_u32 s21, s57, 0
	v_cmp_eq_u32_e64 s19, 0, v96
	global_load_ushort v3, v4, s[20:21]
	s_and_b32 s20, s22, 0xffff
	v_cmp_lt_u32_e64 s21, 3, v96
	s_waitcnt vmcnt(0)
	v_mad_u32_u24 v3, v2, v3, v1
	v_mad_u64_u32 v[5:6], null, v3, s20, v[0:1]
	v_lshlrev_b32_e32 v3, 1, v86
	v_cmp_lt_u32_e64 s20, 1, v96
	v_add_co_u32 v131, vcc_lo, v72, v3
	v_lshrrev_b32_e32 v5, 3, v5
	v_add_co_ci_u32_e64 v132, null, 0, v73, vcc_lo
	v_and_b32_e32 v133, 0x1ffffffc, v5
                                        ; implicit-def: $vgpr5_vgpr6
	s_branch .LBB1016_100
.LBB1016_99:                            ;   in Loop: Header=BB1016_100 Depth=2
	s_or_b32 exec_lo, exec_lo, s22
	s_addk_i32 s63, 0xef00
	s_cmp_lt_u32 s64, s59
	s_mov_b32 s50, s64
	s_cbranch_scc0 .LBB1016_322
.LBB1016_100:                           ;   Parent Loop BB1016_12 Depth=1
                                        ; =>  This Inner Loop Header: Depth=2
	s_add_i32 s64, s50, 0x1100
	s_cmp_gt_u32 s64, s59
	s_cbranch_scc1 .LBB1016_102
; %bb.101:                              ;   in Loop: Header=BB1016_100 Depth=2
	s_lshl_b64 s[22:23], s[50:51], 1
	v_add_co_u32 v39, vcc_lo, v131, s22
	v_add_co_ci_u32_e64 v40, null, s23, v132, vcc_lo
	s_mov_b32 s22, -1
	s_clause 0xf
	global_load_ushort v154, v[39:40], off
	global_load_ushort v155, v[39:40], off offset:64
	global_load_ushort v158, v[39:40], off offset:128
	;; [unrolled: 1-line block ×15, first 2 shown]
	s_movk_i32 s23, 0x1100
	s_cbranch_execz .LBB1016_103
	s_branch .LBB1016_136
.LBB1016_102:                           ;   in Loop: Header=BB1016_100 Depth=2
	s_mov_b32 s22, 0
                                        ; implicit-def: $vgpr154
                                        ; implicit-def: $vgpr155
                                        ; implicit-def: $vgpr158
                                        ; implicit-def: $vgpr162
                                        ; implicit-def: $vgpr167
                                        ; implicit-def: $vgpr172
                                        ; implicit-def: $vgpr177
                                        ; implicit-def: $vgpr182
                                        ; implicit-def: $vgpr187
                                        ; implicit-def: $vgpr185
                                        ; implicit-def: $vgpr180
                                        ; implicit-def: $vgpr175
                                        ; implicit-def: $vgpr171
                                        ; implicit-def: $vgpr166
                                        ; implicit-def: $vgpr42
                                        ; implicit-def: $vgpr41
	s_movk_i32 s23, 0x1100
.LBB1016_103:                           ;   in Loop: Header=BB1016_100 Depth=2
	s_lshl_b64 s[22:23], s[50:51], 1
	s_waitcnt vmcnt(14)
	v_mov_b32_e32 v155, 0x7fff
	v_add_co_u32 v39, vcc_lo, v131, s22
	v_add_co_ci_u32_e64 v40, null, s23, v132, vcc_lo
	v_mov_b32_e32 v154, 0x7fff
	s_mov_b32 s22, exec_lo
	v_cmpx_gt_u32_e64 s63, v94
	s_cbranch_execz .LBB1016_105
; %bb.104:                              ;   in Loop: Header=BB1016_100 Depth=2
	global_load_ushort v154, v[39:40], off
.LBB1016_105:                           ;   in Loop: Header=BB1016_100 Depth=2
	s_or_b32 exec_lo, exec_lo, s22
	s_mov_b32 s22, exec_lo
	v_cmpx_gt_u32_e64 s63, v98
	s_cbranch_execz .LBB1016_107
; %bb.106:                              ;   in Loop: Header=BB1016_100 Depth=2
	global_load_ushort v155, v[39:40], off offset:64
.LBB1016_107:                           ;   in Loop: Header=BB1016_100 Depth=2
	s_or_b32 exec_lo, exec_lo, s22
	s_waitcnt vmcnt(12)
	v_mov_b32_e32 v162, 0x7fff
	v_mov_b32_e32 v158, 0x7fff
	s_mov_b32 s22, exec_lo
	v_cmpx_gt_u32_e64 s63, v99
	s_cbranch_execz .LBB1016_109
; %bb.108:                              ;   in Loop: Header=BB1016_100 Depth=2
	global_load_ushort v158, v[39:40], off offset:128
.LBB1016_109:                           ;   in Loop: Header=BB1016_100 Depth=2
	s_or_b32 exec_lo, exec_lo, s22
	s_mov_b32 s22, exec_lo
	v_cmpx_gt_u32_e64 s63, v100
	s_cbranch_execz .LBB1016_111
; %bb.110:                              ;   in Loop: Header=BB1016_100 Depth=2
	global_load_ushort v162, v[39:40], off offset:192
.LBB1016_111:                           ;   in Loop: Header=BB1016_100 Depth=2
	s_or_b32 exec_lo, exec_lo, s22
	s_waitcnt vmcnt(10)
	v_mov_b32_e32 v172, 0x7fff
	v_mov_b32_e32 v167, 0x7fff
	s_mov_b32 s22, exec_lo
	v_cmpx_gt_u32_e64 s63, v101
	s_cbranch_execz .LBB1016_113
; %bb.112:                              ;   in Loop: Header=BB1016_100 Depth=2
	global_load_ushort v167, v[39:40], off offset:256
.LBB1016_113:                           ;   in Loop: Header=BB1016_100 Depth=2
	;; [unrolled: 17-line block ×7, first 2 shown]
	s_or_b32 exec_lo, exec_lo, s22
	s_mov_b32 s22, exec_lo
	v_cmpx_gt_u32_e64 s63, v129
	s_cbranch_execz .LBB1016_135
; %bb.134:                              ;   in Loop: Header=BB1016_100 Depth=2
	global_load_ushort v41, v[39:40], off offset:960
.LBB1016_135:                           ;   in Loop: Header=BB1016_100 Depth=2
	s_or_b32 exec_lo, exec_lo, s22
	v_cmp_gt_u32_e64 s22, s63, v130
	s_sub_i32 s23, s59, s50
.LBB1016_136:                           ;   in Loop: Header=BB1016_100 Depth=2
	v_mov_b32_e32 v3, -1
	v_mov_b32_e32 v153, s63
	s_and_saveexec_b32 s24, s22
	s_cbranch_execz .LBB1016_138
; %bb.137:                              ;   in Loop: Header=BB1016_100 Depth=2
	s_lshl_b64 s[26:27], s[50:51], 1
	v_mov_b32_e32 v153, s23
	v_add_co_u32 v39, vcc_lo, v131, s26
	v_add_co_ci_u32_e64 v40, null, s27, v132, vcc_lo
	global_load_ushort v3, v[39:40], off offset:1024
	s_waitcnt vmcnt(0)
	v_xor_b32_e32 v3, 0xffff8000, v3
.LBB1016_138:                           ;   in Loop: Header=BB1016_100 Depth=2
	s_or_b32 exec_lo, exec_lo, s24
	s_waitcnt vmcnt(15)
	v_xor_b32_e32 v154, 0xffff8000, v154
	ds_write2_b32 v68, v4, v4 offset0:136 offset1:137
	ds_write2_b32 v68, v4, v4 offset0:138 offset1:139
	ds_write_b32 v68, v4 offset:560
	s_waitcnt vmcnt(0) lgkmcnt(0)
	s_barrier
	v_lshrrev_b32_sdwa v39, s61, v154 dst_sel:DWORD dst_unused:UNUSED_PAD src0_sel:DWORD src1_sel:WORD_0
	buffer_gl0_inv
	; wave barrier
	v_and_b32_e32 v40, s62, v39
	v_and_b32_e32 v39, 1, v40
	v_lshlrev_b32_e32 v156, 30, v40
	v_lshlrev_b32_e32 v157, 29, v40
	;; [unrolled: 1-line block ×4, first 2 shown]
	v_add_co_u32 v39, s22, v39, -1
	v_cndmask_b32_e64 v159, 0, 1, s22
	v_not_b32_e32 v164, v156
	v_cmp_gt_i32_e64 s22, 0, v156
	v_not_b32_e32 v156, v157
	v_lshlrev_b32_e32 v163, 26, v40
	v_cmp_ne_u32_e32 vcc_lo, 0, v159
	v_ashrrev_i32_e32 v164, 31, v164
	v_lshlrev_b32_e32 v159, 25, v40
	v_ashrrev_i32_e32 v156, 31, v156
	v_mul_u32_u24_e32 v40, 36, v40
	v_xor_b32_e32 v39, vcc_lo, v39
	v_cmp_gt_i32_e32 vcc_lo, 0, v157
	v_not_b32_e32 v157, v160
	v_xor_b32_e32 v164, s22, v164
	v_cmp_gt_i32_e64 s22, 0, v160
	v_and_b32_e32 v39, exec_lo, v39
	v_not_b32_e32 v160, v161
	v_ashrrev_i32_e32 v157, 31, v157
	v_xor_b32_e32 v156, vcc_lo, v156
	v_cmp_gt_i32_e32 vcc_lo, 0, v161
	v_and_b32_e32 v39, v39, v164
	v_not_b32_e32 v161, v163
	v_ashrrev_i32_e32 v160, 31, v160
	v_xor_b32_e32 v157, s22, v157
	v_cmp_gt_i32_e64 s22, 0, v163
	v_and_b32_e32 v39, v39, v156
	v_not_b32_e32 v156, v159
	v_ashrrev_i32_e32 v161, 31, v161
	v_xor_b32_e32 v160, vcc_lo, v160
	v_cmp_gt_i32_e32 vcc_lo, 0, v159
	v_and_b32_e32 v39, v39, v157
	v_ashrrev_i32_e32 v156, 31, v156
	v_xor_b32_e32 v157, s22, v161
	v_and_b32_e32 v39, v39, v160
	v_xor_b32_e32 v156, vcc_lo, v156
	v_and_b32_e32 v39, v39, v157
	v_add_nc_u32_e32 v157, v133, v40
	v_and_b32_e32 v39, v39, v156
	v_mbcnt_lo_u32_b32 v156, v39, 0
	v_cmp_ne_u32_e64 s22, 0, v39
	v_cmp_eq_u32_e32 vcc_lo, 0, v156
	s_and_b32 s23, s22, vcc_lo
	s_and_saveexec_b32 s22, s23
; %bb.139:                              ;   in Loop: Header=BB1016_100 Depth=2
	v_bcnt_u32_b32 v39, v39, 0
	ds_write_b32 v157, v39 offset:544
; %bb.140:                              ;   in Loop: Header=BB1016_100 Depth=2
	s_or_b32 exec_lo, exec_lo, s22
	v_xor_b32_e32 v155, 0xffff8000, v155
	; wave barrier
	v_lshrrev_b32_sdwa v39, s61, v155 dst_sel:DWORD dst_unused:UNUSED_PAD src0_sel:DWORD src1_sel:WORD_0
	v_and_b32_e32 v40, s62, v39
	v_and_b32_e32 v39, 1, v40
	v_lshlrev_b32_e32 v159, 30, v40
	v_lshlrev_b32_e32 v160, 29, v40
	v_lshlrev_b32_e32 v163, 28, v40
	v_lshlrev_b32_e32 v164, 27, v40
	v_add_co_u32 v39, s22, v39, -1
	v_cndmask_b32_e64 v161, 0, 1, s22
	v_not_b32_e32 v168, v159
	v_cmp_gt_i32_e64 s22, 0, v159
	v_not_b32_e32 v159, v160
	v_lshlrev_b32_e32 v165, 26, v40
	v_cmp_ne_u32_e32 vcc_lo, 0, v161
	v_ashrrev_i32_e32 v168, 31, v168
	v_lshlrev_b32_e32 v161, 25, v40
	v_ashrrev_i32_e32 v159, 31, v159
	v_xor_b32_e32 v39, vcc_lo, v39
	v_cmp_gt_i32_e32 vcc_lo, 0, v160
	v_not_b32_e32 v160, v163
	v_xor_b32_e32 v168, s22, v168
	v_cmp_gt_i32_e64 s22, 0, v163
	v_and_b32_e32 v39, exec_lo, v39
	v_not_b32_e32 v163, v164
	v_ashrrev_i32_e32 v160, 31, v160
	v_xor_b32_e32 v159, vcc_lo, v159
	v_cmp_gt_i32_e32 vcc_lo, 0, v164
	v_and_b32_e32 v39, v39, v168
	v_not_b32_e32 v164, v165
	v_ashrrev_i32_e32 v163, 31, v163
	v_xor_b32_e32 v160, s22, v160
	v_cmp_gt_i32_e64 s22, 0, v165
	v_and_b32_e32 v39, v39, v159
	v_not_b32_e32 v159, v161
	v_ashrrev_i32_e32 v164, 31, v164
	v_xor_b32_e32 v163, vcc_lo, v163
	v_cmp_gt_i32_e32 vcc_lo, 0, v161
	v_and_b32_e32 v39, v39, v160
	v_ashrrev_i32_e32 v159, 31, v159
	v_xor_b32_e32 v160, s22, v164
	v_mad_u32_u24 v161, v40, 36, v133
	v_mul_u32_u24_e32 v40, 36, v40
	v_and_b32_e32 v39, v39, v163
	v_xor_b32_e32 v163, vcc_lo, v159
	ds_read_b32 v159, v161 offset:544
	v_add_nc_u32_e32 v161, v133, v40
	v_and_b32_e32 v39, v39, v160
	; wave barrier
	v_and_b32_e32 v39, v39, v163
	v_mbcnt_lo_u32_b32 v160, v39, 0
	v_cmp_ne_u32_e64 s22, 0, v39
	v_cmp_eq_u32_e32 vcc_lo, 0, v160
	s_and_b32 s23, s22, vcc_lo
	s_and_saveexec_b32 s22, s23
	s_cbranch_execz .LBB1016_142
; %bb.141:                              ;   in Loop: Header=BB1016_100 Depth=2
	s_waitcnt lgkmcnt(0)
	v_bcnt_u32_b32 v39, v39, v159
	ds_write_b32 v161, v39 offset:544
.LBB1016_142:                           ;   in Loop: Header=BB1016_100 Depth=2
	s_or_b32 exec_lo, exec_lo, s22
	v_xor_b32_e32 v158, 0xffff8000, v158
	; wave barrier
	v_lshrrev_b32_sdwa v39, s61, v158 dst_sel:DWORD dst_unused:UNUSED_PAD src0_sel:DWORD src1_sel:WORD_0
	v_and_b32_e32 v40, s62, v39
	v_and_b32_e32 v39, 1, v40
	v_lshlrev_b32_e32 v163, 30, v40
	v_lshlrev_b32_e32 v164, 29, v40
	v_lshlrev_b32_e32 v168, 28, v40
	v_lshlrev_b32_e32 v169, 27, v40
	v_add_co_u32 v39, s22, v39, -1
	v_cndmask_b32_e64 v165, 0, 1, s22
	v_not_b32_e32 v173, v163
	v_cmp_gt_i32_e64 s22, 0, v163
	v_not_b32_e32 v163, v164
	v_lshlrev_b32_e32 v170, 26, v40
	v_cmp_ne_u32_e32 vcc_lo, 0, v165
	v_ashrrev_i32_e32 v173, 31, v173
	v_lshlrev_b32_e32 v165, 25, v40
	v_ashrrev_i32_e32 v163, 31, v163
	v_xor_b32_e32 v39, vcc_lo, v39
	v_cmp_gt_i32_e32 vcc_lo, 0, v164
	v_not_b32_e32 v164, v168
	v_xor_b32_e32 v173, s22, v173
	v_cmp_gt_i32_e64 s22, 0, v168
	v_and_b32_e32 v39, exec_lo, v39
	v_not_b32_e32 v168, v169
	v_ashrrev_i32_e32 v164, 31, v164
	v_xor_b32_e32 v163, vcc_lo, v163
	v_cmp_gt_i32_e32 vcc_lo, 0, v169
	v_and_b32_e32 v39, v39, v173
	v_not_b32_e32 v169, v170
	v_ashrrev_i32_e32 v168, 31, v168
	v_xor_b32_e32 v164, s22, v164
	v_cmp_gt_i32_e64 s22, 0, v170
	v_and_b32_e32 v39, v39, v163
	v_not_b32_e32 v163, v165
	v_ashrrev_i32_e32 v169, 31, v169
	v_xor_b32_e32 v168, vcc_lo, v168
	v_cmp_gt_i32_e32 vcc_lo, 0, v165
	v_and_b32_e32 v39, v39, v164
	v_ashrrev_i32_e32 v163, 31, v163
	v_xor_b32_e32 v164, s22, v169
	v_mad_u32_u24 v165, v40, 36, v133
	v_mul_u32_u24_e32 v40, 36, v40
	v_and_b32_e32 v39, v39, v168
	v_xor_b32_e32 v168, vcc_lo, v163
	ds_read_b32 v163, v165 offset:544
	v_add_nc_u32_e32 v165, v133, v40
	v_and_b32_e32 v39, v39, v164
	; wave barrier
	v_and_b32_e32 v39, v39, v168
	v_mbcnt_lo_u32_b32 v164, v39, 0
	v_cmp_ne_u32_e64 s22, 0, v39
	v_cmp_eq_u32_e32 vcc_lo, 0, v164
	s_and_b32 s23, s22, vcc_lo
	s_and_saveexec_b32 s22, s23
	s_cbranch_execz .LBB1016_144
; %bb.143:                              ;   in Loop: Header=BB1016_100 Depth=2
	s_waitcnt lgkmcnt(0)
	v_bcnt_u32_b32 v39, v39, v163
	ds_write_b32 v165, v39 offset:544
.LBB1016_144:                           ;   in Loop: Header=BB1016_100 Depth=2
	;; [unrolled: 63-line block ×9, first 2 shown]
	s_or_b32 exec_lo, exec_lo, s22
	v_xor_b32_e32 v180, 0xffff8000, v180
	; wave barrier
	v_lshrrev_b32_sdwa v39, s61, v180 dst_sel:DWORD dst_unused:UNUSED_PAD src0_sel:DWORD src1_sel:WORD_0
	v_and_b32_e32 v40, s62, v39
	v_and_b32_e32 v39, 1, v40
	v_lshlrev_b32_e32 v197, 30, v40
	v_lshlrev_b32_e32 v198, 29, v40
	;; [unrolled: 1-line block ×4, first 2 shown]
	v_add_co_u32 v39, s22, v39, -1
	v_cndmask_b32_e64 v199, 0, 1, s22
	v_not_b32_e32 v203, v197
	v_cmp_gt_i32_e64 s22, 0, v197
	v_not_b32_e32 v197, v198
	v_lshlrev_b32_e32 v202, 26, v40
	v_cmp_ne_u32_e32 vcc_lo, 0, v199
	v_ashrrev_i32_e32 v203, 31, v203
	v_lshlrev_b32_e32 v199, 25, v40
	v_ashrrev_i32_e32 v197, 31, v197
	v_xor_b32_e32 v39, vcc_lo, v39
	v_cmp_gt_i32_e32 vcc_lo, 0, v198
	v_not_b32_e32 v198, v200
	v_xor_b32_e32 v203, s22, v203
	v_cmp_gt_i32_e64 s22, 0, v200
	v_and_b32_e32 v39, exec_lo, v39
	v_not_b32_e32 v200, v201
	v_ashrrev_i32_e32 v198, 31, v198
	v_xor_b32_e32 v197, vcc_lo, v197
	v_cmp_gt_i32_e32 vcc_lo, 0, v201
	v_and_b32_e32 v39, v39, v203
	v_not_b32_e32 v201, v202
	v_ashrrev_i32_e32 v200, 31, v200
	v_xor_b32_e32 v198, s22, v198
	v_cmp_gt_i32_e64 s22, 0, v202
	v_and_b32_e32 v39, v39, v197
	v_not_b32_e32 v197, v199
	v_ashrrev_i32_e32 v201, 31, v201
	v_xor_b32_e32 v200, vcc_lo, v200
	v_cmp_gt_i32_e32 vcc_lo, 0, v199
	v_and_b32_e32 v39, v39, v198
	v_ashrrev_i32_e32 v197, 31, v197
	v_xor_b32_e32 v198, s22, v201
	v_mad_u32_u24 v199, v40, 36, v133
	v_mul_u32_u24_e32 v40, 36, v40
	v_and_b32_e32 v39, v39, v200
	v_xor_b32_e32 v197, vcc_lo, v197
	v_add_nc_u32_e32 v200, v133, v40
	v_and_b32_e32 v39, v39, v198
	ds_read_b32 v198, v199 offset:544
	; wave barrier
	v_and_b32_e32 v39, v39, v197
	v_mbcnt_lo_u32_b32 v199, v39, 0
	v_cmp_ne_u32_e64 s22, 0, v39
	v_cmp_eq_u32_e32 vcc_lo, 0, v199
	s_and_b32 s23, s22, vcc_lo
	s_and_saveexec_b32 s22, s23
	s_cbranch_execz .LBB1016_160
; %bb.159:                              ;   in Loop: Header=BB1016_100 Depth=2
	s_waitcnt lgkmcnt(0)
	v_bcnt_u32_b32 v39, v39, v198
	ds_write_b32 v200, v39 offset:544
.LBB1016_160:                           ;   in Loop: Header=BB1016_100 Depth=2
	s_or_b32 exec_lo, exec_lo, s22
	v_xor_b32_e32 v197, 0xffff8000, v175
	; wave barrier
	v_lshrrev_b32_sdwa v39, s61, v197 dst_sel:DWORD dst_unused:UNUSED_PAD src0_sel:DWORD src1_sel:WORD_0
	v_and_b32_e32 v40, s62, v39
	v_and_b32_e32 v39, 1, v40
	v_lshlrev_b32_e32 v175, 30, v40
	v_lshlrev_b32_e32 v201, 29, v40
	v_lshlrev_b32_e32 v203, 28, v40
	v_lshlrev_b32_e32 v204, 27, v40
	v_add_co_u32 v39, s22, v39, -1
	v_cndmask_b32_e64 v202, 0, 1, s22
	v_not_b32_e32 v206, v175
	v_cmp_gt_i32_e64 s22, 0, v175
	v_not_b32_e32 v175, v201
	v_lshlrev_b32_e32 v205, 26, v40
	v_cmp_ne_u32_e32 vcc_lo, 0, v202
	v_ashrrev_i32_e32 v206, 31, v206
	v_lshlrev_b32_e32 v202, 25, v40
	v_ashrrev_i32_e32 v175, 31, v175
	v_xor_b32_e32 v39, vcc_lo, v39
	v_cmp_gt_i32_e32 vcc_lo, 0, v201
	v_not_b32_e32 v201, v203
	v_xor_b32_e32 v206, s22, v206
	v_cmp_gt_i32_e64 s22, 0, v203
	v_and_b32_e32 v39, exec_lo, v39
	v_not_b32_e32 v203, v204
	v_ashrrev_i32_e32 v201, 31, v201
	v_xor_b32_e32 v175, vcc_lo, v175
	v_cmp_gt_i32_e32 vcc_lo, 0, v204
	v_and_b32_e32 v39, v39, v206
	v_not_b32_e32 v204, v205
	v_ashrrev_i32_e32 v203, 31, v203
	v_xor_b32_e32 v201, s22, v201
	v_cmp_gt_i32_e64 s22, 0, v205
	v_and_b32_e32 v39, v39, v175
	v_not_b32_e32 v175, v202
	v_ashrrev_i32_e32 v204, 31, v204
	v_xor_b32_e32 v203, vcc_lo, v203
	v_cmp_gt_i32_e32 vcc_lo, 0, v202
	v_and_b32_e32 v39, v39, v201
	v_ashrrev_i32_e32 v175, 31, v175
	v_xor_b32_e32 v201, s22, v204
	v_mad_u32_u24 v202, v40, 36, v133
	v_mul_u32_u24_e32 v40, 36, v40
	v_and_b32_e32 v39, v39, v203
	v_xor_b32_e32 v175, vcc_lo, v175
	ds_read_b32 v202, v202 offset:544
	v_and_b32_e32 v39, v39, v201
	; wave barrier
	v_and_b32_e32 v39, v39, v175
	v_add_nc_u32_e32 v175, v133, v40
	v_mbcnt_lo_u32_b32 v203, v39, 0
	v_cmp_ne_u32_e64 s22, 0, v39
	v_cmp_eq_u32_e32 vcc_lo, 0, v203
	s_and_b32 s23, s22, vcc_lo
	s_and_saveexec_b32 s22, s23
	s_cbranch_execz .LBB1016_162
; %bb.161:                              ;   in Loop: Header=BB1016_100 Depth=2
	s_waitcnt lgkmcnt(0)
	v_bcnt_u32_b32 v39, v39, v202
	ds_write_b32 v175, v39 offset:544
.LBB1016_162:                           ;   in Loop: Header=BB1016_100 Depth=2
	s_or_b32 exec_lo, exec_lo, s22
	v_xor_b32_e32 v201, 0xffff8000, v171
	; wave barrier
	v_lshrrev_b32_sdwa v39, s61, v201 dst_sel:DWORD dst_unused:UNUSED_PAD src0_sel:DWORD src1_sel:WORD_0
	v_and_b32_e32 v40, s62, v39
	v_and_b32_e32 v39, 1, v40
	v_lshlrev_b32_e32 v171, 30, v40
	v_lshlrev_b32_e32 v204, 29, v40
	v_lshlrev_b32_e32 v206, 28, v40
	v_lshlrev_b32_e32 v207, 27, v40
	v_add_co_u32 v39, s22, v39, -1
	v_cndmask_b32_e64 v205, 0, 1, s22
	v_not_b32_e32 v209, v171
	v_cmp_gt_i32_e64 s22, 0, v171
	v_not_b32_e32 v171, v204
	v_lshlrev_b32_e32 v208, 26, v40
	v_cmp_ne_u32_e32 vcc_lo, 0, v205
	v_ashrrev_i32_e32 v209, 31, v209
	v_lshlrev_b32_e32 v205, 25, v40
	v_ashrrev_i32_e32 v171, 31, v171
	v_xor_b32_e32 v39, vcc_lo, v39
	v_cmp_gt_i32_e32 vcc_lo, 0, v204
	v_not_b32_e32 v204, v206
	v_xor_b32_e32 v209, s22, v209
	v_cmp_gt_i32_e64 s22, 0, v206
	v_and_b32_e32 v39, exec_lo, v39
	v_not_b32_e32 v206, v207
	v_ashrrev_i32_e32 v204, 31, v204
	v_xor_b32_e32 v171, vcc_lo, v171
	v_cmp_gt_i32_e32 vcc_lo, 0, v207
	v_and_b32_e32 v39, v39, v209
	v_not_b32_e32 v207, v208
	v_ashrrev_i32_e32 v206, 31, v206
	v_xor_b32_e32 v204, s22, v204
	v_cmp_gt_i32_e64 s22, 0, v208
	v_and_b32_e32 v39, v39, v171
	v_not_b32_e32 v171, v205
	v_ashrrev_i32_e32 v207, 31, v207
	v_xor_b32_e32 v206, vcc_lo, v206
	v_cmp_gt_i32_e32 vcc_lo, 0, v205
	v_and_b32_e32 v39, v39, v204
	v_ashrrev_i32_e32 v171, 31, v171
	v_xor_b32_e32 v204, s22, v207
	v_mad_u32_u24 v205, v40, 36, v133
	v_mul_u32_u24_e32 v40, 36, v40
	v_and_b32_e32 v39, v39, v206
	v_xor_b32_e32 v171, vcc_lo, v171
	ds_read_b32 v205, v205 offset:544
	v_and_b32_e32 v39, v39, v204
	; wave barrier
	v_and_b32_e32 v39, v39, v171
	v_add_nc_u32_e32 v171, v133, v40
	;; [unrolled: 63-line block ×3, first 2 shown]
	v_mbcnt_lo_u32_b32 v209, v39, 0
	v_cmp_ne_u32_e64 s22, 0, v39
	v_cmp_eq_u32_e32 vcc_lo, 0, v209
	s_and_b32 s23, s22, vcc_lo
	s_and_saveexec_b32 s22, s23
	s_cbranch_execz .LBB1016_166
; %bb.165:                              ;   in Loop: Header=BB1016_100 Depth=2
	s_waitcnt lgkmcnt(0)
	v_bcnt_u32_b32 v39, v39, v208
	ds_write_b32 v166, v39 offset:544
.LBB1016_166:                           ;   in Loop: Header=BB1016_100 Depth=2
	s_or_b32 exec_lo, exec_lo, s22
	v_xor_b32_e32 v207, 0xffff8000, v42
	; wave barrier
	v_lshrrev_b32_sdwa v39, s61, v207 dst_sel:DWORD dst_unused:UNUSED_PAD src0_sel:DWORD src1_sel:WORD_0
	v_and_b32_e32 v40, s62, v39
	v_and_b32_e32 v39, 1, v40
	v_lshlrev_b32_e32 v42, 30, v40
	v_lshlrev_b32_e32 v210, 29, v40
	;; [unrolled: 1-line block ×4, first 2 shown]
	v_add_co_u32 v39, s22, v39, -1
	v_cndmask_b32_e64 v211, 0, 1, s22
	v_not_b32_e32 v215, v42
	v_cmp_gt_i32_e64 s22, 0, v42
	v_not_b32_e32 v42, v210
	v_lshlrev_b32_e32 v214, 26, v40
	v_cmp_ne_u32_e32 vcc_lo, 0, v211
	v_ashrrev_i32_e32 v215, 31, v215
	v_lshlrev_b32_e32 v211, 25, v40
	v_ashrrev_i32_e32 v42, 31, v42
	v_xor_b32_e32 v39, vcc_lo, v39
	v_cmp_gt_i32_e32 vcc_lo, 0, v210
	v_not_b32_e32 v210, v212
	v_xor_b32_e32 v215, s22, v215
	v_cmp_gt_i32_e64 s22, 0, v212
	v_and_b32_e32 v39, exec_lo, v39
	v_not_b32_e32 v212, v213
	v_ashrrev_i32_e32 v210, 31, v210
	v_xor_b32_e32 v42, vcc_lo, v42
	v_cmp_gt_i32_e32 vcc_lo, 0, v213
	v_and_b32_e32 v39, v39, v215
	v_not_b32_e32 v213, v214
	v_ashrrev_i32_e32 v212, 31, v212
	v_xor_b32_e32 v210, s22, v210
	v_cmp_gt_i32_e64 s22, 0, v214
	v_and_b32_e32 v39, v39, v42
	v_not_b32_e32 v42, v211
	v_ashrrev_i32_e32 v213, 31, v213
	v_xor_b32_e32 v212, vcc_lo, v212
	v_cmp_gt_i32_e32 vcc_lo, 0, v211
	v_and_b32_e32 v39, v39, v210
	v_ashrrev_i32_e32 v42, 31, v42
	v_xor_b32_e32 v210, s22, v213
	v_mad_u32_u24 v211, v40, 36, v133
	v_mul_u32_u24_e32 v40, 36, v40
	v_and_b32_e32 v39, v39, v212
	v_xor_b32_e32 v42, vcc_lo, v42
	ds_read_b32 v211, v211 offset:544
	v_add_nc_u32_e32 v213, v133, v40
	v_and_b32_e32 v39, v39, v210
	; wave barrier
	v_and_b32_e32 v39, v39, v42
	v_mbcnt_lo_u32_b32 v212, v39, 0
	v_cmp_ne_u32_e64 s22, 0, v39
	v_cmp_eq_u32_e32 vcc_lo, 0, v212
	s_and_b32 s23, s22, vcc_lo
	s_and_saveexec_b32 s22, s23
	s_cbranch_execz .LBB1016_168
; %bb.167:                              ;   in Loop: Header=BB1016_100 Depth=2
	s_waitcnt lgkmcnt(0)
	v_bcnt_u32_b32 v39, v39, v211
	ds_write_b32 v213, v39 offset:544
.LBB1016_168:                           ;   in Loop: Header=BB1016_100 Depth=2
	s_or_b32 exec_lo, exec_lo, s22
	v_xor_b32_e32 v210, 0xffff8000, v41
	; wave barrier
	v_lshrrev_b32_sdwa v39, s61, v210 dst_sel:DWORD dst_unused:UNUSED_PAD src0_sel:DWORD src1_sel:WORD_0
	v_and_b32_e32 v40, s62, v39
	v_and_b32_e32 v39, 1, v40
	v_lshlrev_b32_e32 v41, 30, v40
	v_lshlrev_b32_e32 v42, 29, v40
	;; [unrolled: 1-line block ×4, first 2 shown]
	v_add_co_u32 v39, s22, v39, -1
	v_cndmask_b32_e64 v214, 0, 1, s22
	v_not_b32_e32 v218, v41
	v_cmp_gt_i32_e64 s22, 0, v41
	v_not_b32_e32 v41, v42
	v_lshlrev_b32_e32 v217, 26, v40
	v_cmp_ne_u32_e32 vcc_lo, 0, v214
	v_ashrrev_i32_e32 v218, 31, v218
	v_lshlrev_b32_e32 v214, 25, v40
	v_ashrrev_i32_e32 v41, 31, v41
	v_xor_b32_e32 v39, vcc_lo, v39
	v_cmp_gt_i32_e32 vcc_lo, 0, v42
	v_not_b32_e32 v42, v215
	v_xor_b32_e32 v218, s22, v218
	v_cmp_gt_i32_e64 s22, 0, v215
	v_and_b32_e32 v39, exec_lo, v39
	v_not_b32_e32 v215, v216
	v_ashrrev_i32_e32 v42, 31, v42
	v_xor_b32_e32 v41, vcc_lo, v41
	v_cmp_gt_i32_e32 vcc_lo, 0, v216
	v_and_b32_e32 v39, v39, v218
	v_not_b32_e32 v216, v217
	v_ashrrev_i32_e32 v215, 31, v215
	v_xor_b32_e32 v42, s22, v42
	v_cmp_gt_i32_e64 s22, 0, v217
	v_and_b32_e32 v39, v39, v41
	v_not_b32_e32 v41, v214
	v_ashrrev_i32_e32 v216, 31, v216
	v_xor_b32_e32 v215, vcc_lo, v215
	v_cmp_gt_i32_e32 vcc_lo, 0, v214
	v_and_b32_e32 v39, v39, v42
	v_ashrrev_i32_e32 v41, 31, v41
	v_xor_b32_e32 v42, s22, v216
	v_mad_u32_u24 v214, v40, 36, v133
	v_mul_u32_u24_e32 v40, 36, v40
	v_and_b32_e32 v39, v39, v215
	v_xor_b32_e32 v41, vcc_lo, v41
	ds_read_b32 v214, v214 offset:544
	v_add_nc_u32_e32 v216, v133, v40
	v_and_b32_e32 v39, v39, v42
	; wave barrier
	v_and_b32_e32 v39, v39, v41
	v_mbcnt_lo_u32_b32 v215, v39, 0
	v_cmp_ne_u32_e64 s22, 0, v39
	v_cmp_eq_u32_e32 vcc_lo, 0, v215
	s_and_b32 s23, s22, vcc_lo
	s_and_saveexec_b32 s22, s23
	s_cbranch_execz .LBB1016_170
; %bb.169:                              ;   in Loop: Header=BB1016_100 Depth=2
	s_waitcnt lgkmcnt(0)
	v_bcnt_u32_b32 v39, v39, v214
	ds_write_b32 v216, v39 offset:544
.LBB1016_170:                           ;   in Loop: Header=BB1016_100 Depth=2
	s_or_b32 exec_lo, exec_lo, s22
	v_lshrrev_b32_sdwa v39, s61, v3 dst_sel:DWORD dst_unused:UNUSED_PAD src0_sel:DWORD src1_sel:WORD_0
	; wave barrier
	v_and_b32_e32 v40, s62, v39
	v_and_b32_e32 v39, 1, v40
	v_lshlrev_b32_e32 v41, 30, v40
	v_lshlrev_b32_e32 v42, 29, v40
	;; [unrolled: 1-line block ×4, first 2 shown]
	v_add_co_u32 v39, s22, v39, -1
	v_cndmask_b32_e64 v217, 0, 1, s22
	v_not_b32_e32 v221, v41
	v_cmp_gt_i32_e64 s22, 0, v41
	v_not_b32_e32 v41, v42
	v_lshlrev_b32_e32 v220, 26, v40
	v_cmp_ne_u32_e32 vcc_lo, 0, v217
	v_ashrrev_i32_e32 v221, 31, v221
	v_lshlrev_b32_e32 v217, 25, v40
	v_ashrrev_i32_e32 v41, 31, v41
	v_xor_b32_e32 v39, vcc_lo, v39
	v_cmp_gt_i32_e32 vcc_lo, 0, v42
	v_not_b32_e32 v42, v218
	v_xor_b32_e32 v221, s22, v221
	v_cmp_gt_i32_e64 s22, 0, v218
	v_and_b32_e32 v39, exec_lo, v39
	v_not_b32_e32 v218, v219
	v_ashrrev_i32_e32 v42, 31, v42
	v_xor_b32_e32 v41, vcc_lo, v41
	v_cmp_gt_i32_e32 vcc_lo, 0, v219
	v_and_b32_e32 v39, v39, v221
	v_not_b32_e32 v219, v220
	v_ashrrev_i32_e32 v218, 31, v218
	v_xor_b32_e32 v42, s22, v42
	v_cmp_gt_i32_e64 s22, 0, v220
	v_and_b32_e32 v39, v39, v41
	v_not_b32_e32 v41, v217
	v_ashrrev_i32_e32 v219, 31, v219
	v_xor_b32_e32 v218, vcc_lo, v218
	v_cmp_gt_i32_e32 vcc_lo, 0, v217
	v_and_b32_e32 v39, v39, v42
	v_ashrrev_i32_e32 v41, 31, v41
	v_xor_b32_e32 v42, s22, v219
	v_mad_u32_u24 v217, v40, 36, v133
	v_mul_u32_u24_e32 v40, 36, v40
	v_and_b32_e32 v39, v39, v218
	v_xor_b32_e32 v41, vcc_lo, v41
	ds_read_b32 v217, v217 offset:544
	v_add_nc_u32_e32 v219, v133, v40
	v_and_b32_e32 v39, v39, v42
	; wave barrier
	v_and_b32_e32 v39, v39, v41
	v_mbcnt_lo_u32_b32 v218, v39, 0
	v_cmp_ne_u32_e64 s22, 0, v39
	v_cmp_eq_u32_e32 vcc_lo, 0, v218
	s_and_b32 s23, s22, vcc_lo
	s_and_saveexec_b32 s22, s23
	s_cbranch_execz .LBB1016_172
; %bb.171:                              ;   in Loop: Header=BB1016_100 Depth=2
	s_waitcnt lgkmcnt(0)
	v_bcnt_u32_b32 v39, v39, v217
	ds_write_b32 v219, v39 offset:544
.LBB1016_172:                           ;   in Loop: Header=BB1016_100 Depth=2
	s_or_b32 exec_lo, exec_lo, s22
	; wave barrier
	s_waitcnt lgkmcnt(0)
	s_barrier
	buffer_gl0_inv
	ds_read2_b32 v[41:42], v68 offset0:136 offset1:137
	ds_read2_b32 v[39:40], v68 offset0:138 offset1:139
	ds_read_b32 v220, v68 offset:560
	s_waitcnt lgkmcnt(1)
	v_add3_u32 v221, v42, v41, v39
	s_waitcnt lgkmcnt(0)
	v_add3_u32 v220, v221, v40, v220
	v_mov_b32_dpp v221, v220 row_shr:1 row_mask:0xf bank_mask:0xf
	v_cndmask_b32_e64 v221, v221, 0, s5
	v_add_nc_u32_e32 v220, v221, v220
	v_mov_b32_dpp v221, v220 row_shr:2 row_mask:0xf bank_mask:0xf
	v_cndmask_b32_e64 v221, 0, v221, s15
	v_add_nc_u32_e32 v220, v220, v221
	;; [unrolled: 3-line block ×4, first 2 shown]
	ds_swizzle_b32 v221, v220 offset:swizzle(BROADCAST,32,15)
	s_waitcnt lgkmcnt(0)
	v_cndmask_b32_e64 v221, v221, 0, s18
	v_add_nc_u32_e32 v220, v220, v221
	s_and_saveexec_b32 s22, s4
; %bb.173:                              ;   in Loop: Header=BB1016_100 Depth=2
	ds_write_b32 v62, v220 offset:512
; %bb.174:                              ;   in Loop: Header=BB1016_100 Depth=2
	s_or_b32 exec_lo, exec_lo, s22
	s_waitcnt lgkmcnt(0)
	s_barrier
	buffer_gl0_inv
	s_and_saveexec_b32 s22, s11
	s_cbranch_execz .LBB1016_176
; %bb.175:                              ;   in Loop: Header=BB1016_100 Depth=2
	ds_read_b32 v221, v69 offset:512
	s_waitcnt lgkmcnt(0)
	v_mov_b32_dpp v222, v221 row_shr:1 row_mask:0xf bank_mask:0xf
	v_cndmask_b32_e64 v222, v222, 0, s19
	v_add_nc_u32_e32 v221, v222, v221
	v_mov_b32_dpp v222, v221 row_shr:2 row_mask:0xf bank_mask:0xf
	v_cndmask_b32_e64 v222, 0, v222, s20
	v_add_nc_u32_e32 v221, v221, v222
	;; [unrolled: 3-line block ×3, first 2 shown]
	ds_write_b32 v69, v221 offset:512
.LBB1016_176:                           ;   in Loop: Header=BB1016_100 Depth=2
	s_or_b32 exec_lo, exec_lo, s22
	v_mov_b32_e32 v221, 0
	s_waitcnt lgkmcnt(0)
	s_barrier
	buffer_gl0_inv
	s_and_saveexec_b32 s22, s10
; %bb.177:                              ;   in Loop: Header=BB1016_100 Depth=2
	ds_read_b32 v221, v62 offset:508
; %bb.178:                              ;   in Loop: Header=BB1016_100 Depth=2
	s_or_b32 exec_lo, exec_lo, s22
	s_waitcnt lgkmcnt(0)
	v_add_nc_u32_e32 v220, v221, v220
	ds_bpermute_b32 v220, v125, v220
	s_waitcnt lgkmcnt(0)
	v_cndmask_b32_e64 v220, v220, v221, s14
	v_cndmask_b32_e64 v220, v220, 0, s12
	v_add_nc_u32_e32 v41, v220, v41
	v_add_nc_u32_e32 v42, v41, v42
	v_add_nc_u32_e32 v39, v42, v39
	v_add_nc_u32_e32 v40, v39, v40
	ds_write2_b32 v68, v220, v41 offset0:136 offset1:137
	ds_write2_b32 v68, v42, v39 offset0:138 offset1:139
	ds_write_b32 v68, v40 offset:560
	s_waitcnt lgkmcnt(0)
	s_barrier
	buffer_gl0_inv
	ds_read_b32 v41, v157 offset:544
	ds_read_b32 v42, v161 offset:544
	ds_read_b32 v161, v165 offset:544
	ds_read_b32 v165, v170 offset:544
	ds_read_b32 v220, v176 offset:544
	ds_read_b32 v181, v181 offset:544
	ds_read_b32 v186, v186 offset:544
	ds_read_b32 v190, v190 offset:544
	ds_read_b32 v193, v193 offset:544
	ds_read_b32 v196, v196 offset:544
	ds_read_b32 v200, v200 offset:544
	ds_read_b32 v221, v175 offset:544
	ds_read_b32 v222, v171 offset:544
	ds_read_b32 v223, v166 offset:544
	ds_read_b32 v157, v213 offset:544
	ds_read_b32 v39, v216 offset:544
	ds_read_b32 v40, v219 offset:544
	s_and_saveexec_b32 s22, s7
	s_cbranch_execz .LBB1016_182
; %bb.179:                              ;   in Loop: Header=BB1016_100 Depth=2
	ds_read_b32 v149, v71 offset:544
	v_mov_b32_e32 v152, 0x1100
	s_and_saveexec_b32 s23, s13
; %bb.180:                              ;   in Loop: Header=BB1016_100 Depth=2
	ds_read_b32 v152, v70 offset:544
; %bb.181:                              ;   in Loop: Header=BB1016_100 Depth=2
	s_or_b32 exec_lo, exec_lo, s23
	s_waitcnt lgkmcnt(0)
	v_sub_nc_u32_e32 v152, v152, v149
.LBB1016_182:                           ;   in Loop: Header=BB1016_100 Depth=2
	s_or_b32 exec_lo, exec_lo, s22
	s_waitcnt lgkmcnt(0)
	s_barrier
	buffer_gl0_inv
	s_and_saveexec_b32 s22, s7
	s_cbranch_execz .LBB1016_184
; %bb.183:                              ;   in Loop: Header=BB1016_100 Depth=2
	ds_read_b32 v166, v43
	s_waitcnt lgkmcnt(0)
	v_sub_nc_u32_e32 v166, v166, v149
	ds_write_b32 v43, v166
.LBB1016_184:                           ;   in Loop: Header=BB1016_100 Depth=2
	s_or_b32 exec_lo, exec_lo, s22
	v_add_nc_u32_e32 v176, v41, v156
	v_add3_u32 v175, v160, v159, v42
	v_add3_u32 v171, v164, v163, v161
	;; [unrolled: 1-line block ×5, first 2 shown]
	v_lshlrev_b32_e32 v173, 1, v176
	v_lshlrev_b32_e32 v174, 1, v175
	v_add3_u32 v159, v215, v214, v39
	v_lshlrev_b32_e32 v39, 1, v171
	v_add3_u32 v168, v179, v178, v181
	v_add3_u32 v165, v189, v188, v190
	;; [unrolled: 1-line block ×5, first 2 shown]
	ds_write_b16 v173, v154 offset:512
	ds_write_b16 v174, v155 offset:512
	v_lshlrev_b32_e32 v40, 1, v170
	ds_write_b16 v39, v158 offset:512
	v_lshlrev_b32_e32 v39, 1, v166
	v_add3_u32 v163, v195, v194, v196
	v_lshlrev_b32_e32 v154, 1, v169
	v_add3_u32 v161, v199, v198, v200
	;; [unrolled: 2-line block ×3, first 2 shown]
	v_add3_u32 v42, v206, v205, v222
	ds_write_b16 v40, v162 offset:512
	ds_write_b16 v154, v167 offset:512
	;; [unrolled: 1-line block ×3, first 2 shown]
	v_lshlrev_b32_e32 v40, 1, v165
	ds_write_b16 v39, v177 offset:512
	v_lshlrev_b32_e32 v39, 1, v164
	v_lshlrev_b32_e32 v154, 1, v163
	;; [unrolled: 1-line block ×3, first 2 shown]
	v_add3_u32 v41, v209, v208, v223
	ds_write_b16 v40, v182 offset:512
	v_lshlrev_b32_e32 v40, 1, v160
	ds_write_b16 v39, v187 offset:512
	ds_write_b16 v154, v185 offset:512
	;; [unrolled: 1-line block ×3, first 2 shown]
	v_lshlrev_b32_e32 v39, 1, v42
	v_cmp_lt_u32_e32 vcc_lo, v0, v153
	v_lshlrev_b32_e32 v154, 1, v156
	ds_write_b16 v40, v197 offset:512
	v_lshlrev_b32_e32 v40, 1, v41
	ds_write_b16 v39, v201 offset:512
	v_lshlrev_b32_e32 v39, 1, v157
	v_lshlrev_b32_e32 v155, 1, v159
	ds_write_b16 v40, v204 offset:512
	ds_write_b16 v154, v207 offset:512
	;; [unrolled: 1-line block ×4, first 2 shown]
	s_waitcnt lgkmcnt(0)
	s_barrier
	buffer_gl0_inv
	s_and_saveexec_b32 s23, vcc_lo
	s_cbranch_execnz .LBB1016_257
; %bb.185:                              ;   in Loop: Header=BB1016_100 Depth=2
	s_or_b32 exec_lo, exec_lo, s23
	v_cmp_lt_u32_e64 s22, v44, v153
	s_and_saveexec_b32 s24, s22
	s_cbranch_execnz .LBB1016_258
.LBB1016_186:                           ;   in Loop: Header=BB1016_100 Depth=2
	s_or_b32 exec_lo, exec_lo, s24
	v_cmp_lt_u32_e64 s23, v47, v153
	s_and_saveexec_b32 s25, s23
	s_cbranch_execnz .LBB1016_259
.LBB1016_187:                           ;   in Loop: Header=BB1016_100 Depth=2
	s_or_b32 exec_lo, exec_lo, s25
	v_cmp_lt_u32_e64 s24, v48, v153
	s_and_saveexec_b32 s26, s24
	s_cbranch_execnz .LBB1016_260
.LBB1016_188:                           ;   in Loop: Header=BB1016_100 Depth=2
	s_or_b32 exec_lo, exec_lo, s26
	v_cmp_lt_u32_e64 s25, v49, v153
	s_and_saveexec_b32 s27, s25
	s_cbranch_execnz .LBB1016_261
.LBB1016_189:                           ;   in Loop: Header=BB1016_100 Depth=2
	s_or_b32 exec_lo, exec_lo, s27
	v_cmp_lt_u32_e64 s26, v50, v153
	s_and_saveexec_b32 s29, s26
	s_cbranch_execnz .LBB1016_262
.LBB1016_190:                           ;   in Loop: Header=BB1016_100 Depth=2
	s_or_b32 exec_lo, exec_lo, s29
	v_cmp_lt_u32_e64 s27, v51, v153
	s_and_saveexec_b32 s30, s27
	s_cbranch_execnz .LBB1016_263
.LBB1016_191:                           ;   in Loop: Header=BB1016_100 Depth=2
	s_or_b32 exec_lo, exec_lo, s30
	v_cmp_lt_u32_e64 s29, v52, v153
	s_and_saveexec_b32 s31, s29
	s_cbranch_execnz .LBB1016_264
.LBB1016_192:                           ;   in Loop: Header=BB1016_100 Depth=2
	s_or_b32 exec_lo, exec_lo, s31
	v_cmp_lt_u32_e64 s30, v53, v153
	s_and_saveexec_b32 s33, s30
	s_cbranch_execnz .LBB1016_265
.LBB1016_193:                           ;   in Loop: Header=BB1016_100 Depth=2
	s_or_b32 exec_lo, exec_lo, s33
	v_cmp_lt_u32_e64 s31, v54, v153
	s_and_saveexec_b32 s34, s31
	s_cbranch_execnz .LBB1016_266
.LBB1016_194:                           ;   in Loop: Header=BB1016_100 Depth=2
	s_or_b32 exec_lo, exec_lo, s34
	v_cmp_lt_u32_e64 s33, v55, v153
	s_and_saveexec_b32 s35, s33
	s_cbranch_execnz .LBB1016_267
.LBB1016_195:                           ;   in Loop: Header=BB1016_100 Depth=2
	s_or_b32 exec_lo, exec_lo, s35
	v_cmp_lt_u32_e64 s34, v56, v153
	s_and_saveexec_b32 s36, s34
	s_cbranch_execnz .LBB1016_268
.LBB1016_196:                           ;   in Loop: Header=BB1016_100 Depth=2
	s_or_b32 exec_lo, exec_lo, s36
	v_cmp_lt_u32_e64 s35, v57, v153
	s_and_saveexec_b32 s37, s35
	s_cbranch_execnz .LBB1016_269
.LBB1016_197:                           ;   in Loop: Header=BB1016_100 Depth=2
	s_or_b32 exec_lo, exec_lo, s37
	v_cmp_lt_u32_e64 s36, v58, v153
	s_and_saveexec_b32 s38, s36
	s_cbranch_execnz .LBB1016_270
.LBB1016_198:                           ;   in Loop: Header=BB1016_100 Depth=2
	s_or_b32 exec_lo, exec_lo, s38
	v_cmp_lt_u32_e64 s37, v59, v153
	s_and_saveexec_b32 s39, s37
	s_cbranch_execnz .LBB1016_271
.LBB1016_199:                           ;   in Loop: Header=BB1016_100 Depth=2
	s_or_b32 exec_lo, exec_lo, s39
	v_cmp_lt_u32_e64 s38, v60, v153
	s_and_saveexec_b32 s40, s38
	s_cbranch_execnz .LBB1016_272
.LBB1016_200:                           ;   in Loop: Header=BB1016_100 Depth=2
	s_or_b32 exec_lo, exec_lo, s40
	v_cmp_lt_u32_e64 s39, v61, v153
	s_and_saveexec_b32 s65, s39
	s_cbranch_execz .LBB1016_202
.LBB1016_201:                           ;   in Loop: Header=BB1016_100 Depth=2
	ds_read_u16 v154, v74 offset:8704
	s_waitcnt lgkmcnt(0)
	v_lshrrev_b32_sdwa v3, s61, v154 dst_sel:DWORD dst_unused:UNUSED_PAD src0_sel:DWORD src1_sel:WORD_0
	v_and_b32_e32 v3, s62, v3
	v_lshlrev_b32_e32 v3, 2, v3
	ds_read_b32 v3, v3
	s_waitcnt lgkmcnt(0)
	v_add_nc_u32_e32 v3, v3, v61
	v_lshlrev_b64 v[39:40], 1, v[3:4]
	v_xor_b32_e32 v3, 0xffff8000, v154
	v_add_co_u32 v39, s40, s46, v39
	v_add_co_ci_u32_e64 v40, null, s47, v40, s40
	global_store_short v[39:40], v3, off
.LBB1016_202:                           ;   in Loop: Header=BB1016_100 Depth=2
	s_or_b32 exec_lo, exec_lo, s65
	s_lshl_b64 s[66:67], s[50:51], 3
	v_add_co_u32 v39, s40, v123, s66
	v_add_co_ci_u32_e64 v40, null, s67, v124, s40
	v_cmp_lt_u32_e64 s40, v94, v153
	s_and_saveexec_b32 s50, s40
	s_xor_b32 s40, exec_lo, s50
	s_cbranch_execnz .LBB1016_273
; %bb.203:                              ;   in Loop: Header=BB1016_100 Depth=2
	s_or_b32 exec_lo, exec_lo, s40
	s_mov_b32 s50, exec_lo
	v_cmpx_lt_u32_e64 v98, v153
	s_cbranch_execnz .LBB1016_274
.LBB1016_204:                           ;   in Loop: Header=BB1016_100 Depth=2
	s_or_b32 exec_lo, exec_lo, s50
	s_mov_b32 s50, exec_lo
	v_cmpx_lt_u32_e64 v99, v153
	s_cbranch_execnz .LBB1016_275
.LBB1016_205:                           ;   in Loop: Header=BB1016_100 Depth=2
	s_or_b32 exec_lo, exec_lo, s50
	s_mov_b32 s50, exec_lo
	v_cmpx_lt_u32_e64 v100, v153
	s_cbranch_execnz .LBB1016_276
.LBB1016_206:                           ;   in Loop: Header=BB1016_100 Depth=2
	s_or_b32 exec_lo, exec_lo, s50
	s_mov_b32 s50, exec_lo
	v_cmpx_lt_u32_e64 v101, v153
	s_cbranch_execnz .LBB1016_277
.LBB1016_207:                           ;   in Loop: Header=BB1016_100 Depth=2
	s_or_b32 exec_lo, exec_lo, s50
	s_mov_b32 s50, exec_lo
	v_cmpx_lt_u32_e64 v102, v153
	s_cbranch_execnz .LBB1016_278
.LBB1016_208:                           ;   in Loop: Header=BB1016_100 Depth=2
	s_or_b32 exec_lo, exec_lo, s50
	s_mov_b32 s50, exec_lo
	v_cmpx_lt_u32_e64 v103, v153
	s_cbranch_execnz .LBB1016_279
.LBB1016_209:                           ;   in Loop: Header=BB1016_100 Depth=2
	s_or_b32 exec_lo, exec_lo, s50
	s_mov_b32 s50, exec_lo
	v_cmpx_lt_u32_e64 v104, v153
	s_cbranch_execnz .LBB1016_280
.LBB1016_210:                           ;   in Loop: Header=BB1016_100 Depth=2
	s_or_b32 exec_lo, exec_lo, s50
	s_mov_b32 s50, exec_lo
	v_cmpx_lt_u32_e64 v105, v153
	s_cbranch_execnz .LBB1016_281
.LBB1016_211:                           ;   in Loop: Header=BB1016_100 Depth=2
	s_or_b32 exec_lo, exec_lo, s50
	s_mov_b32 s50, exec_lo
	v_cmpx_lt_u32_e64 v106, v153
	s_cbranch_execnz .LBB1016_282
.LBB1016_212:                           ;   in Loop: Header=BB1016_100 Depth=2
	s_or_b32 exec_lo, exec_lo, s50
	s_mov_b32 s50, exec_lo
	v_cmpx_lt_u32_e64 v107, v153
	s_cbranch_execnz .LBB1016_283
.LBB1016_213:                           ;   in Loop: Header=BB1016_100 Depth=2
	s_or_b32 exec_lo, exec_lo, s50
	s_mov_b32 s50, exec_lo
	v_cmpx_lt_u32_e64 v108, v153
	s_cbranch_execnz .LBB1016_284
.LBB1016_214:                           ;   in Loop: Header=BB1016_100 Depth=2
	s_or_b32 exec_lo, exec_lo, s50
	s_mov_b32 s50, exec_lo
	v_cmpx_lt_u32_e64 v126, v153
	s_cbranch_execnz .LBB1016_285
.LBB1016_215:                           ;   in Loop: Header=BB1016_100 Depth=2
	s_or_b32 exec_lo, exec_lo, s50
	s_mov_b32 s50, exec_lo
	v_cmpx_lt_u32_e64 v127, v153
	s_cbranch_execnz .LBB1016_286
.LBB1016_216:                           ;   in Loop: Header=BB1016_100 Depth=2
	s_or_b32 exec_lo, exec_lo, s50
	s_mov_b32 s50, exec_lo
	v_cmpx_lt_u32_e64 v128, v153
	s_cbranch_execnz .LBB1016_287
.LBB1016_217:                           ;   in Loop: Header=BB1016_100 Depth=2
	s_or_b32 exec_lo, exec_lo, s50
	s_mov_b32 s50, exec_lo
	v_cmpx_lt_u32_e64 v129, v153
	s_cbranch_execnz .LBB1016_288
.LBB1016_218:                           ;   in Loop: Header=BB1016_100 Depth=2
	s_or_b32 exec_lo, exec_lo, s50
	s_mov_b32 s50, exec_lo
	v_cmpx_lt_u32_e64 v130, v153
	s_cbranch_execnz .LBB1016_289
.LBB1016_219:                           ;   in Loop: Header=BB1016_100 Depth=2
	s_or_b32 exec_lo, exec_lo, s50
	s_and_saveexec_b32 s40, vcc_lo
	s_cbranch_execnz .LBB1016_290
.LBB1016_220:                           ;   in Loop: Header=BB1016_100 Depth=2
	s_or_b32 exec_lo, exec_lo, s40
	s_and_saveexec_b32 s40, s22
	s_cbranch_execnz .LBB1016_291
.LBB1016_221:                           ;   in Loop: Header=BB1016_100 Depth=2
	s_or_b32 exec_lo, exec_lo, s40
	s_and_saveexec_b32 s40, s23
	s_cbranch_execnz .LBB1016_292
.LBB1016_222:                           ;   in Loop: Header=BB1016_100 Depth=2
	s_or_b32 exec_lo, exec_lo, s40
	s_and_saveexec_b32 s40, s24
	s_cbranch_execnz .LBB1016_293
.LBB1016_223:                           ;   in Loop: Header=BB1016_100 Depth=2
	s_or_b32 exec_lo, exec_lo, s40
	s_and_saveexec_b32 s40, s25
	s_cbranch_execnz .LBB1016_294
.LBB1016_224:                           ;   in Loop: Header=BB1016_100 Depth=2
	s_or_b32 exec_lo, exec_lo, s40
	s_and_saveexec_b32 s40, s26
	s_cbranch_execnz .LBB1016_295
.LBB1016_225:                           ;   in Loop: Header=BB1016_100 Depth=2
	s_or_b32 exec_lo, exec_lo, s40
	s_and_saveexec_b32 s40, s27
	s_cbranch_execnz .LBB1016_296
.LBB1016_226:                           ;   in Loop: Header=BB1016_100 Depth=2
	s_or_b32 exec_lo, exec_lo, s40
	s_and_saveexec_b32 s40, s29
	s_cbranch_execnz .LBB1016_297
.LBB1016_227:                           ;   in Loop: Header=BB1016_100 Depth=2
	s_or_b32 exec_lo, exec_lo, s40
	s_and_saveexec_b32 s40, s30
	s_cbranch_execnz .LBB1016_298
.LBB1016_228:                           ;   in Loop: Header=BB1016_100 Depth=2
	s_or_b32 exec_lo, exec_lo, s40
	s_and_saveexec_b32 s40, s31
	s_cbranch_execnz .LBB1016_299
.LBB1016_229:                           ;   in Loop: Header=BB1016_100 Depth=2
	s_or_b32 exec_lo, exec_lo, s40
	s_and_saveexec_b32 s40, s33
	s_cbranch_execnz .LBB1016_300
.LBB1016_230:                           ;   in Loop: Header=BB1016_100 Depth=2
	s_or_b32 exec_lo, exec_lo, s40
	s_and_saveexec_b32 s40, s34
	s_cbranch_execnz .LBB1016_301
.LBB1016_231:                           ;   in Loop: Header=BB1016_100 Depth=2
	s_or_b32 exec_lo, exec_lo, s40
	s_and_saveexec_b32 s40, s35
	s_cbranch_execnz .LBB1016_302
.LBB1016_232:                           ;   in Loop: Header=BB1016_100 Depth=2
	s_or_b32 exec_lo, exec_lo, s40
	s_and_saveexec_b32 s40, s36
	s_cbranch_execnz .LBB1016_303
.LBB1016_233:                           ;   in Loop: Header=BB1016_100 Depth=2
	s_or_b32 exec_lo, exec_lo, s40
	s_and_saveexec_b32 s40, s37
	s_cbranch_execnz .LBB1016_304
.LBB1016_234:                           ;   in Loop: Header=BB1016_100 Depth=2
	s_or_b32 exec_lo, exec_lo, s40
	s_and_saveexec_b32 s40, s38
	s_cbranch_execnz .LBB1016_305
.LBB1016_235:                           ;   in Loop: Header=BB1016_100 Depth=2
	s_or_b32 exec_lo, exec_lo, s40
	s_and_saveexec_b32 s40, s39
	s_cbranch_execz .LBB1016_237
.LBB1016_236:                           ;   in Loop: Header=BB1016_100 Depth=2
	ds_read_u16 v3, v74 offset:8704
	s_waitcnt lgkmcnt(0)
	v_lshrrev_b32_e32 v3, s61, v3
	v_and_b32_e32 v134, s62, v3
.LBB1016_237:                           ;   in Loop: Header=BB1016_100 Depth=2
	s_or_b32 exec_lo, exec_lo, s40
	v_lshlrev_b32_e32 v3, 3, v176
	v_lshlrev_b32_e32 v39, 3, v175
	s_waitcnt vmcnt(0)
	s_waitcnt_vscnt null, 0x0
	s_barrier
	buffer_gl0_inv
	ds_write_b64 v3, v[37:38] offset:512
	ds_write_b64 v39, v[35:36] offset:512
	v_lshlrev_b32_e32 v3, 3, v171
	v_lshlrev_b32_e32 v39, 3, v170
	v_lshlrev_b32_e32 v40, 3, v169
	v_lshlrev_b32_e32 v153, 3, v168
	v_lshlrev_b32_e32 v154, 3, v166
	ds_write_b64 v3, v[33:34] offset:512
	ds_write_b64 v39, v[31:32] offset:512
	ds_write_b64 v40, v[29:30] offset:512
	ds_write_b64 v153, v[25:26] offset:512
	ds_write_b64 v154, v[21:22] offset:512
	v_lshlrev_b32_e32 v3, 3, v165
	v_lshlrev_b32_e32 v39, 3, v164
	v_lshlrev_b32_e32 v40, 3, v163
	v_lshlrev_b32_e32 v153, 3, v161
	v_lshlrev_b32_e32 v154, 3, v160
	ds_write_b64 v3, v[17:18] offset:512
	ds_write_b64 v39, v[27:28] offset:512
	ds_write_b64 v40, v[23:24] offset:512
	;; [unrolled: 10-line block ×3, first 2 shown]
	ds_write_b64 v41, v[7:8] offset:512
	ds_write_b64 v42, v[5:6] offset:512
	s_waitcnt lgkmcnt(0)
	s_barrier
	buffer_gl0_inv
	s_and_saveexec_b32 s40, vcc_lo
	s_cbranch_execnz .LBB1016_306
; %bb.238:                              ;   in Loop: Header=BB1016_100 Depth=2
	s_or_b32 exec_lo, exec_lo, s40
	s_and_saveexec_b32 s40, s22
	s_cbranch_execnz .LBB1016_307
.LBB1016_239:                           ;   in Loop: Header=BB1016_100 Depth=2
	s_or_b32 exec_lo, exec_lo, s40
	s_and_saveexec_b32 s22, s23
	s_cbranch_execnz .LBB1016_308
.LBB1016_240:                           ;   in Loop: Header=BB1016_100 Depth=2
	s_or_b32 exec_lo, exec_lo, s22
	s_and_saveexec_b32 s22, s24
	s_cbranch_execnz .LBB1016_309
.LBB1016_241:                           ;   in Loop: Header=BB1016_100 Depth=2
	s_or_b32 exec_lo, exec_lo, s22
	s_and_saveexec_b32 s22, s25
	s_cbranch_execnz .LBB1016_310
.LBB1016_242:                           ;   in Loop: Header=BB1016_100 Depth=2
	s_or_b32 exec_lo, exec_lo, s22
	s_and_saveexec_b32 s22, s26
	s_cbranch_execnz .LBB1016_311
.LBB1016_243:                           ;   in Loop: Header=BB1016_100 Depth=2
	s_or_b32 exec_lo, exec_lo, s22
	s_and_saveexec_b32 s22, s27
	s_cbranch_execnz .LBB1016_312
.LBB1016_244:                           ;   in Loop: Header=BB1016_100 Depth=2
	s_or_b32 exec_lo, exec_lo, s22
	s_and_saveexec_b32 s22, s29
	s_cbranch_execnz .LBB1016_313
.LBB1016_245:                           ;   in Loop: Header=BB1016_100 Depth=2
	s_or_b32 exec_lo, exec_lo, s22
	s_and_saveexec_b32 s22, s30
	s_cbranch_execnz .LBB1016_314
.LBB1016_246:                           ;   in Loop: Header=BB1016_100 Depth=2
	s_or_b32 exec_lo, exec_lo, s22
	s_and_saveexec_b32 s22, s31
	s_cbranch_execnz .LBB1016_315
.LBB1016_247:                           ;   in Loop: Header=BB1016_100 Depth=2
	s_or_b32 exec_lo, exec_lo, s22
	s_and_saveexec_b32 s22, s33
	s_cbranch_execnz .LBB1016_316
.LBB1016_248:                           ;   in Loop: Header=BB1016_100 Depth=2
	s_or_b32 exec_lo, exec_lo, s22
	s_and_saveexec_b32 s22, s34
	s_cbranch_execnz .LBB1016_317
.LBB1016_249:                           ;   in Loop: Header=BB1016_100 Depth=2
	s_or_b32 exec_lo, exec_lo, s22
	s_and_saveexec_b32 s22, s35
	s_cbranch_execnz .LBB1016_318
.LBB1016_250:                           ;   in Loop: Header=BB1016_100 Depth=2
	s_or_b32 exec_lo, exec_lo, s22
	s_and_saveexec_b32 s22, s36
	s_cbranch_execnz .LBB1016_319
.LBB1016_251:                           ;   in Loop: Header=BB1016_100 Depth=2
	s_or_b32 exec_lo, exec_lo, s22
	s_and_saveexec_b32 s22, s37
	s_cbranch_execnz .LBB1016_320
.LBB1016_252:                           ;   in Loop: Header=BB1016_100 Depth=2
	s_or_b32 exec_lo, exec_lo, s22
	s_and_saveexec_b32 s22, s38
	s_cbranch_execnz .LBB1016_321
.LBB1016_253:                           ;   in Loop: Header=BB1016_100 Depth=2
	s_or_b32 exec_lo, exec_lo, s22
	s_and_saveexec_b32 s22, s39
	s_cbranch_execz .LBB1016_255
.LBB1016_254:                           ;   in Loop: Header=BB1016_100 Depth=2
	v_lshlrev_b32_e32 v3, 2, v134
	v_add_nc_u32_e32 v39, v74, v75
	ds_read_b32 v3, v3
	ds_read_b64 v[39:40], v39 offset:33280
	s_waitcnt lgkmcnt(1)
	v_add_nc_u32_e32 v3, v3, v61
	v_lshlrev_b64 v[41:42], 3, v[3:4]
	v_add_co_u32 v41, vcc_lo, s52, v41
	v_add_co_ci_u32_e64 v42, null, s53, v42, vcc_lo
	s_waitcnt lgkmcnt(0)
	global_store_dwordx2 v[41:42], v[39:40], off
.LBB1016_255:                           ;   in Loop: Header=BB1016_100 Depth=2
	s_or_b32 exec_lo, exec_lo, s22
	s_waitcnt_vscnt null, 0x0
	s_barrier
	buffer_gl0_inv
	s_and_saveexec_b32 s22, s7
	s_cbranch_execz .LBB1016_99
; %bb.256:                              ;   in Loop: Header=BB1016_100 Depth=2
	ds_read_b32 v3, v43
	s_waitcnt lgkmcnt(0)
	v_add3_u32 v3, v149, v152, v3
	ds_write_b32 v43, v3
	s_branch .LBB1016_99
.LBB1016_257:                           ;   in Loop: Header=BB1016_100 Depth=2
	ds_read_u16 v154, v74 offset:512
	s_waitcnt lgkmcnt(0)
	v_lshrrev_b32_sdwa v3, s61, v154 dst_sel:DWORD dst_unused:UNUSED_PAD src0_sel:DWORD src1_sel:WORD_0
	v_and_b32_e32 v3, s62, v3
	v_lshlrev_b32_e32 v3, 2, v3
	ds_read_b32 v3, v3
	s_waitcnt lgkmcnt(0)
	v_add_nc_u32_e32 v3, v3, v0
	v_lshlrev_b64 v[39:40], 1, v[3:4]
	v_xor_b32_e32 v3, 0xffff8000, v154
	v_add_co_u32 v39, s22, s46, v39
	v_add_co_ci_u32_e64 v40, null, s47, v40, s22
	global_store_short v[39:40], v3, off
	s_or_b32 exec_lo, exec_lo, s23
	v_cmp_lt_u32_e64 s22, v44, v153
	s_and_saveexec_b32 s24, s22
	s_cbranch_execz .LBB1016_186
.LBB1016_258:                           ;   in Loop: Header=BB1016_100 Depth=2
	ds_read_u16 v154, v74 offset:1024
	s_waitcnt lgkmcnt(0)
	v_lshrrev_b32_sdwa v3, s61, v154 dst_sel:DWORD dst_unused:UNUSED_PAD src0_sel:DWORD src1_sel:WORD_0
	v_and_b32_e32 v3, s62, v3
	v_lshlrev_b32_e32 v3, 2, v3
	ds_read_b32 v3, v3
	s_waitcnt lgkmcnt(0)
	v_add_nc_u32_e32 v3, v3, v44
	v_lshlrev_b64 v[39:40], 1, v[3:4]
	v_xor_b32_e32 v3, 0xffff8000, v154
	v_add_co_u32 v39, s23, s46, v39
	v_add_co_ci_u32_e64 v40, null, s47, v40, s23
	global_store_short v[39:40], v3, off
	s_or_b32 exec_lo, exec_lo, s24
	v_cmp_lt_u32_e64 s23, v47, v153
	s_and_saveexec_b32 s25, s23
	s_cbranch_execz .LBB1016_187
.LBB1016_259:                           ;   in Loop: Header=BB1016_100 Depth=2
	ds_read_u16 v154, v74 offset:1536
	s_waitcnt lgkmcnt(0)
	v_lshrrev_b32_sdwa v3, s61, v154 dst_sel:DWORD dst_unused:UNUSED_PAD src0_sel:DWORD src1_sel:WORD_0
	v_and_b32_e32 v3, s62, v3
	v_lshlrev_b32_e32 v3, 2, v3
	ds_read_b32 v3, v3
	s_waitcnt lgkmcnt(0)
	v_add_nc_u32_e32 v3, v3, v47
	v_lshlrev_b64 v[39:40], 1, v[3:4]
	v_xor_b32_e32 v3, 0xffff8000, v154
	v_add_co_u32 v39, s24, s46, v39
	v_add_co_ci_u32_e64 v40, null, s47, v40, s24
	global_store_short v[39:40], v3, off
	s_or_b32 exec_lo, exec_lo, s25
	v_cmp_lt_u32_e64 s24, v48, v153
	s_and_saveexec_b32 s26, s24
	s_cbranch_execz .LBB1016_188
.LBB1016_260:                           ;   in Loop: Header=BB1016_100 Depth=2
	ds_read_u16 v154, v74 offset:2048
	s_waitcnt lgkmcnt(0)
	v_lshrrev_b32_sdwa v3, s61, v154 dst_sel:DWORD dst_unused:UNUSED_PAD src0_sel:DWORD src1_sel:WORD_0
	v_and_b32_e32 v3, s62, v3
	v_lshlrev_b32_e32 v3, 2, v3
	ds_read_b32 v3, v3
	s_waitcnt lgkmcnt(0)
	v_add_nc_u32_e32 v3, v3, v48
	v_lshlrev_b64 v[39:40], 1, v[3:4]
	v_xor_b32_e32 v3, 0xffff8000, v154
	v_add_co_u32 v39, s25, s46, v39
	v_add_co_ci_u32_e64 v40, null, s47, v40, s25
	global_store_short v[39:40], v3, off
	s_or_b32 exec_lo, exec_lo, s26
	v_cmp_lt_u32_e64 s25, v49, v153
	s_and_saveexec_b32 s27, s25
	s_cbranch_execz .LBB1016_189
.LBB1016_261:                           ;   in Loop: Header=BB1016_100 Depth=2
	ds_read_u16 v154, v74 offset:2560
	s_waitcnt lgkmcnt(0)
	v_lshrrev_b32_sdwa v3, s61, v154 dst_sel:DWORD dst_unused:UNUSED_PAD src0_sel:DWORD src1_sel:WORD_0
	v_and_b32_e32 v3, s62, v3
	v_lshlrev_b32_e32 v3, 2, v3
	ds_read_b32 v3, v3
	s_waitcnt lgkmcnt(0)
	v_add_nc_u32_e32 v3, v3, v49
	v_lshlrev_b64 v[39:40], 1, v[3:4]
	v_xor_b32_e32 v3, 0xffff8000, v154
	v_add_co_u32 v39, s26, s46, v39
	v_add_co_ci_u32_e64 v40, null, s47, v40, s26
	global_store_short v[39:40], v3, off
	s_or_b32 exec_lo, exec_lo, s27
	v_cmp_lt_u32_e64 s26, v50, v153
	s_and_saveexec_b32 s29, s26
	s_cbranch_execz .LBB1016_190
.LBB1016_262:                           ;   in Loop: Header=BB1016_100 Depth=2
	ds_read_u16 v154, v74 offset:3072
	s_waitcnt lgkmcnt(0)
	v_lshrrev_b32_sdwa v3, s61, v154 dst_sel:DWORD dst_unused:UNUSED_PAD src0_sel:DWORD src1_sel:WORD_0
	v_and_b32_e32 v3, s62, v3
	v_lshlrev_b32_e32 v3, 2, v3
	ds_read_b32 v3, v3
	s_waitcnt lgkmcnt(0)
	v_add_nc_u32_e32 v3, v3, v50
	v_lshlrev_b64 v[39:40], 1, v[3:4]
	v_xor_b32_e32 v3, 0xffff8000, v154
	v_add_co_u32 v39, s27, s46, v39
	v_add_co_ci_u32_e64 v40, null, s47, v40, s27
	global_store_short v[39:40], v3, off
	s_or_b32 exec_lo, exec_lo, s29
	v_cmp_lt_u32_e64 s27, v51, v153
	s_and_saveexec_b32 s30, s27
	s_cbranch_execz .LBB1016_191
.LBB1016_263:                           ;   in Loop: Header=BB1016_100 Depth=2
	ds_read_u16 v154, v74 offset:3584
	s_waitcnt lgkmcnt(0)
	v_lshrrev_b32_sdwa v3, s61, v154 dst_sel:DWORD dst_unused:UNUSED_PAD src0_sel:DWORD src1_sel:WORD_0
	v_and_b32_e32 v3, s62, v3
	v_lshlrev_b32_e32 v3, 2, v3
	ds_read_b32 v3, v3
	s_waitcnt lgkmcnt(0)
	v_add_nc_u32_e32 v3, v3, v51
	v_lshlrev_b64 v[39:40], 1, v[3:4]
	v_xor_b32_e32 v3, 0xffff8000, v154
	v_add_co_u32 v39, s29, s46, v39
	v_add_co_ci_u32_e64 v40, null, s47, v40, s29
	global_store_short v[39:40], v3, off
	s_or_b32 exec_lo, exec_lo, s30
	v_cmp_lt_u32_e64 s29, v52, v153
	s_and_saveexec_b32 s31, s29
	s_cbranch_execz .LBB1016_192
.LBB1016_264:                           ;   in Loop: Header=BB1016_100 Depth=2
	ds_read_u16 v154, v74 offset:4096
	s_waitcnt lgkmcnt(0)
	v_lshrrev_b32_sdwa v3, s61, v154 dst_sel:DWORD dst_unused:UNUSED_PAD src0_sel:DWORD src1_sel:WORD_0
	v_and_b32_e32 v3, s62, v3
	v_lshlrev_b32_e32 v3, 2, v3
	ds_read_b32 v3, v3
	s_waitcnt lgkmcnt(0)
	v_add_nc_u32_e32 v3, v3, v52
	v_lshlrev_b64 v[39:40], 1, v[3:4]
	v_xor_b32_e32 v3, 0xffff8000, v154
	v_add_co_u32 v39, s30, s46, v39
	v_add_co_ci_u32_e64 v40, null, s47, v40, s30
	global_store_short v[39:40], v3, off
	s_or_b32 exec_lo, exec_lo, s31
	v_cmp_lt_u32_e64 s30, v53, v153
	s_and_saveexec_b32 s33, s30
	s_cbranch_execz .LBB1016_193
.LBB1016_265:                           ;   in Loop: Header=BB1016_100 Depth=2
	ds_read_u16 v154, v74 offset:4608
	s_waitcnt lgkmcnt(0)
	v_lshrrev_b32_sdwa v3, s61, v154 dst_sel:DWORD dst_unused:UNUSED_PAD src0_sel:DWORD src1_sel:WORD_0
	v_and_b32_e32 v3, s62, v3
	v_lshlrev_b32_e32 v3, 2, v3
	ds_read_b32 v3, v3
	s_waitcnt lgkmcnt(0)
	v_add_nc_u32_e32 v3, v3, v53
	v_lshlrev_b64 v[39:40], 1, v[3:4]
	v_xor_b32_e32 v3, 0xffff8000, v154
	v_add_co_u32 v39, s31, s46, v39
	v_add_co_ci_u32_e64 v40, null, s47, v40, s31
	global_store_short v[39:40], v3, off
	s_or_b32 exec_lo, exec_lo, s33
	v_cmp_lt_u32_e64 s31, v54, v153
	s_and_saveexec_b32 s34, s31
	s_cbranch_execz .LBB1016_194
.LBB1016_266:                           ;   in Loop: Header=BB1016_100 Depth=2
	ds_read_u16 v154, v74 offset:5120
	s_waitcnt lgkmcnt(0)
	v_lshrrev_b32_sdwa v3, s61, v154 dst_sel:DWORD dst_unused:UNUSED_PAD src0_sel:DWORD src1_sel:WORD_0
	v_and_b32_e32 v3, s62, v3
	v_lshlrev_b32_e32 v3, 2, v3
	ds_read_b32 v3, v3
	s_waitcnt lgkmcnt(0)
	v_add_nc_u32_e32 v3, v3, v54
	v_lshlrev_b64 v[39:40], 1, v[3:4]
	v_xor_b32_e32 v3, 0xffff8000, v154
	v_add_co_u32 v39, s33, s46, v39
	v_add_co_ci_u32_e64 v40, null, s47, v40, s33
	global_store_short v[39:40], v3, off
	s_or_b32 exec_lo, exec_lo, s34
	v_cmp_lt_u32_e64 s33, v55, v153
	s_and_saveexec_b32 s35, s33
	s_cbranch_execz .LBB1016_195
.LBB1016_267:                           ;   in Loop: Header=BB1016_100 Depth=2
	ds_read_u16 v154, v74 offset:5632
	s_waitcnt lgkmcnt(0)
	v_lshrrev_b32_sdwa v3, s61, v154 dst_sel:DWORD dst_unused:UNUSED_PAD src0_sel:DWORD src1_sel:WORD_0
	v_and_b32_e32 v3, s62, v3
	v_lshlrev_b32_e32 v3, 2, v3
	ds_read_b32 v3, v3
	s_waitcnt lgkmcnt(0)
	v_add_nc_u32_e32 v3, v3, v55
	v_lshlrev_b64 v[39:40], 1, v[3:4]
	v_xor_b32_e32 v3, 0xffff8000, v154
	v_add_co_u32 v39, s34, s46, v39
	v_add_co_ci_u32_e64 v40, null, s47, v40, s34
	global_store_short v[39:40], v3, off
	s_or_b32 exec_lo, exec_lo, s35
	v_cmp_lt_u32_e64 s34, v56, v153
	s_and_saveexec_b32 s36, s34
	s_cbranch_execz .LBB1016_196
.LBB1016_268:                           ;   in Loop: Header=BB1016_100 Depth=2
	ds_read_u16 v154, v74 offset:6144
	s_waitcnt lgkmcnt(0)
	v_lshrrev_b32_sdwa v3, s61, v154 dst_sel:DWORD dst_unused:UNUSED_PAD src0_sel:DWORD src1_sel:WORD_0
	v_and_b32_e32 v3, s62, v3
	v_lshlrev_b32_e32 v3, 2, v3
	ds_read_b32 v3, v3
	s_waitcnt lgkmcnt(0)
	v_add_nc_u32_e32 v3, v3, v56
	v_lshlrev_b64 v[39:40], 1, v[3:4]
	v_xor_b32_e32 v3, 0xffff8000, v154
	v_add_co_u32 v39, s35, s46, v39
	v_add_co_ci_u32_e64 v40, null, s47, v40, s35
	global_store_short v[39:40], v3, off
	s_or_b32 exec_lo, exec_lo, s36
	v_cmp_lt_u32_e64 s35, v57, v153
	s_and_saveexec_b32 s37, s35
	s_cbranch_execz .LBB1016_197
.LBB1016_269:                           ;   in Loop: Header=BB1016_100 Depth=2
	ds_read_u16 v154, v74 offset:6656
	s_waitcnt lgkmcnt(0)
	v_lshrrev_b32_sdwa v3, s61, v154 dst_sel:DWORD dst_unused:UNUSED_PAD src0_sel:DWORD src1_sel:WORD_0
	v_and_b32_e32 v3, s62, v3
	v_lshlrev_b32_e32 v3, 2, v3
	ds_read_b32 v3, v3
	s_waitcnt lgkmcnt(0)
	v_add_nc_u32_e32 v3, v3, v57
	v_lshlrev_b64 v[39:40], 1, v[3:4]
	v_xor_b32_e32 v3, 0xffff8000, v154
	v_add_co_u32 v39, s36, s46, v39
	v_add_co_ci_u32_e64 v40, null, s47, v40, s36
	global_store_short v[39:40], v3, off
	s_or_b32 exec_lo, exec_lo, s37
	v_cmp_lt_u32_e64 s36, v58, v153
	s_and_saveexec_b32 s38, s36
	s_cbranch_execz .LBB1016_198
.LBB1016_270:                           ;   in Loop: Header=BB1016_100 Depth=2
	ds_read_u16 v154, v74 offset:7168
	s_waitcnt lgkmcnt(0)
	v_lshrrev_b32_sdwa v3, s61, v154 dst_sel:DWORD dst_unused:UNUSED_PAD src0_sel:DWORD src1_sel:WORD_0
	v_and_b32_e32 v3, s62, v3
	v_lshlrev_b32_e32 v3, 2, v3
	ds_read_b32 v3, v3
	s_waitcnt lgkmcnt(0)
	v_add_nc_u32_e32 v3, v3, v58
	v_lshlrev_b64 v[39:40], 1, v[3:4]
	v_xor_b32_e32 v3, 0xffff8000, v154
	v_add_co_u32 v39, s37, s46, v39
	v_add_co_ci_u32_e64 v40, null, s47, v40, s37
	global_store_short v[39:40], v3, off
	s_or_b32 exec_lo, exec_lo, s38
	v_cmp_lt_u32_e64 s37, v59, v153
	s_and_saveexec_b32 s39, s37
	s_cbranch_execz .LBB1016_199
.LBB1016_271:                           ;   in Loop: Header=BB1016_100 Depth=2
	ds_read_u16 v154, v74 offset:7680
	s_waitcnt lgkmcnt(0)
	v_lshrrev_b32_sdwa v3, s61, v154 dst_sel:DWORD dst_unused:UNUSED_PAD src0_sel:DWORD src1_sel:WORD_0
	v_and_b32_e32 v3, s62, v3
	v_lshlrev_b32_e32 v3, 2, v3
	ds_read_b32 v3, v3
	s_waitcnt lgkmcnt(0)
	v_add_nc_u32_e32 v3, v3, v59
	v_lshlrev_b64 v[39:40], 1, v[3:4]
	v_xor_b32_e32 v3, 0xffff8000, v154
	v_add_co_u32 v39, s38, s46, v39
	v_add_co_ci_u32_e64 v40, null, s47, v40, s38
	global_store_short v[39:40], v3, off
	s_or_b32 exec_lo, exec_lo, s39
	v_cmp_lt_u32_e64 s38, v60, v153
	s_and_saveexec_b32 s40, s38
	s_cbranch_execz .LBB1016_200
.LBB1016_272:                           ;   in Loop: Header=BB1016_100 Depth=2
	ds_read_u16 v154, v74 offset:8192
	s_waitcnt lgkmcnt(0)
	v_lshrrev_b32_sdwa v3, s61, v154 dst_sel:DWORD dst_unused:UNUSED_PAD src0_sel:DWORD src1_sel:WORD_0
	v_and_b32_e32 v3, s62, v3
	v_lshlrev_b32_e32 v3, 2, v3
	ds_read_b32 v3, v3
	s_waitcnt lgkmcnt(0)
	v_add_nc_u32_e32 v3, v3, v60
	v_lshlrev_b64 v[39:40], 1, v[3:4]
	v_xor_b32_e32 v3, 0xffff8000, v154
	v_add_co_u32 v39, s39, s46, v39
	v_add_co_ci_u32_e64 v40, null, s47, v40, s39
	global_store_short v[39:40], v3, off
	s_or_b32 exec_lo, exec_lo, s40
	v_cmp_lt_u32_e64 s39, v61, v153
	s_and_saveexec_b32 s65, s39
	s_cbranch_execnz .LBB1016_201
	s_branch .LBB1016_202
.LBB1016_273:                           ;   in Loop: Header=BB1016_100 Depth=2
	global_load_dwordx2 v[37:38], v[39:40], off
	s_or_b32 exec_lo, exec_lo, s40
	s_mov_b32 s50, exec_lo
	v_cmpx_lt_u32_e64 v98, v153
	s_cbranch_execz .LBB1016_204
.LBB1016_274:                           ;   in Loop: Header=BB1016_100 Depth=2
	global_load_dwordx2 v[35:36], v[39:40], off offset:256
	s_or_b32 exec_lo, exec_lo, s50
	s_mov_b32 s50, exec_lo
	v_cmpx_lt_u32_e64 v99, v153
	s_cbranch_execz .LBB1016_205
.LBB1016_275:                           ;   in Loop: Header=BB1016_100 Depth=2
	global_load_dwordx2 v[33:34], v[39:40], off offset:512
	s_or_b32 exec_lo, exec_lo, s50
	s_mov_b32 s50, exec_lo
	v_cmpx_lt_u32_e64 v100, v153
	s_cbranch_execz .LBB1016_206
.LBB1016_276:                           ;   in Loop: Header=BB1016_100 Depth=2
	global_load_dwordx2 v[31:32], v[39:40], off offset:768
	s_or_b32 exec_lo, exec_lo, s50
	s_mov_b32 s50, exec_lo
	v_cmpx_lt_u32_e64 v101, v153
	s_cbranch_execz .LBB1016_207
.LBB1016_277:                           ;   in Loop: Header=BB1016_100 Depth=2
	global_load_dwordx2 v[29:30], v[39:40], off offset:1024
	s_or_b32 exec_lo, exec_lo, s50
	s_mov_b32 s50, exec_lo
	v_cmpx_lt_u32_e64 v102, v153
	s_cbranch_execz .LBB1016_208
.LBB1016_278:                           ;   in Loop: Header=BB1016_100 Depth=2
	global_load_dwordx2 v[25:26], v[39:40], off offset:1280
	s_or_b32 exec_lo, exec_lo, s50
	s_mov_b32 s50, exec_lo
	v_cmpx_lt_u32_e64 v103, v153
	s_cbranch_execz .LBB1016_209
.LBB1016_279:                           ;   in Loop: Header=BB1016_100 Depth=2
	global_load_dwordx2 v[21:22], v[39:40], off offset:1536
	s_or_b32 exec_lo, exec_lo, s50
	s_mov_b32 s50, exec_lo
	v_cmpx_lt_u32_e64 v104, v153
	s_cbranch_execz .LBB1016_210
.LBB1016_280:                           ;   in Loop: Header=BB1016_100 Depth=2
	global_load_dwordx2 v[17:18], v[39:40], off offset:1792
	s_or_b32 exec_lo, exec_lo, s50
	s_mov_b32 s50, exec_lo
	v_cmpx_lt_u32_e64 v105, v153
	s_cbranch_execz .LBB1016_211
.LBB1016_281:                           ;   in Loop: Header=BB1016_100 Depth=2
	v_add_co_u32 v27, s40, 0x800, v39
	v_add_co_ci_u32_e64 v28, null, 0, v40, s40
	global_load_dwordx2 v[27:28], v[27:28], off
	s_or_b32 exec_lo, exec_lo, s50
	s_mov_b32 s50, exec_lo
	v_cmpx_lt_u32_e64 v106, v153
	s_cbranch_execz .LBB1016_212
.LBB1016_282:                           ;   in Loop: Header=BB1016_100 Depth=2
	v_add_co_u32 v23, s40, 0x800, v39
	v_add_co_ci_u32_e64 v24, null, 0, v40, s40
	global_load_dwordx2 v[23:24], v[23:24], off offset:256
	s_or_b32 exec_lo, exec_lo, s50
	s_mov_b32 s50, exec_lo
	v_cmpx_lt_u32_e64 v107, v153
	s_cbranch_execz .LBB1016_213
.LBB1016_283:                           ;   in Loop: Header=BB1016_100 Depth=2
	v_add_co_u32 v19, s40, 0x800, v39
	v_add_co_ci_u32_e64 v20, null, 0, v40, s40
	global_load_dwordx2 v[19:20], v[19:20], off offset:512
	s_or_b32 exec_lo, exec_lo, s50
	s_mov_b32 s50, exec_lo
	v_cmpx_lt_u32_e64 v108, v153
	s_cbranch_execz .LBB1016_214
.LBB1016_284:                           ;   in Loop: Header=BB1016_100 Depth=2
	v_add_co_u32 v15, s40, 0x800, v39
	v_add_co_ci_u32_e64 v16, null, 0, v40, s40
	global_load_dwordx2 v[15:16], v[15:16], off offset:768
	s_or_b32 exec_lo, exec_lo, s50
	s_mov_b32 s50, exec_lo
	v_cmpx_lt_u32_e64 v126, v153
	s_cbranch_execz .LBB1016_215
.LBB1016_285:                           ;   in Loop: Header=BB1016_100 Depth=2
	v_add_co_u32 v13, s40, 0x800, v39
	v_add_co_ci_u32_e64 v14, null, 0, v40, s40
	global_load_dwordx2 v[13:14], v[13:14], off offset:1024
	s_or_b32 exec_lo, exec_lo, s50
	s_mov_b32 s50, exec_lo
	v_cmpx_lt_u32_e64 v127, v153
	s_cbranch_execz .LBB1016_216
.LBB1016_286:                           ;   in Loop: Header=BB1016_100 Depth=2
	v_add_co_u32 v11, s40, 0x800, v39
	v_add_co_ci_u32_e64 v12, null, 0, v40, s40
	global_load_dwordx2 v[11:12], v[11:12], off offset:1280
	s_or_b32 exec_lo, exec_lo, s50
	s_mov_b32 s50, exec_lo
	v_cmpx_lt_u32_e64 v128, v153
	s_cbranch_execz .LBB1016_217
.LBB1016_287:                           ;   in Loop: Header=BB1016_100 Depth=2
	v_add_co_u32 v9, s40, 0x800, v39
	v_add_co_ci_u32_e64 v10, null, 0, v40, s40
	global_load_dwordx2 v[9:10], v[9:10], off offset:1536
	s_or_b32 exec_lo, exec_lo, s50
	s_mov_b32 s50, exec_lo
	v_cmpx_lt_u32_e64 v129, v153
	s_cbranch_execz .LBB1016_218
.LBB1016_288:                           ;   in Loop: Header=BB1016_100 Depth=2
	v_add_co_u32 v7, s40, 0x800, v39
	v_add_co_ci_u32_e64 v8, null, 0, v40, s40
	global_load_dwordx2 v[7:8], v[7:8], off offset:1792
	s_or_b32 exec_lo, exec_lo, s50
	s_mov_b32 s50, exec_lo
	v_cmpx_lt_u32_e64 v130, v153
	s_cbranch_execz .LBB1016_219
.LBB1016_289:                           ;   in Loop: Header=BB1016_100 Depth=2
	v_add_co_u32 v5, s40, 0x1000, v39
	v_add_co_ci_u32_e64 v6, null, 0, v40, s40
	global_load_dwordx2 v[5:6], v[5:6], off
	s_or_b32 exec_lo, exec_lo, s50
	s_and_saveexec_b32 s40, vcc_lo
	s_cbranch_execz .LBB1016_220
.LBB1016_290:                           ;   in Loop: Header=BB1016_100 Depth=2
	ds_read_u16 v3, v74 offset:512
	s_waitcnt lgkmcnt(0)
	v_lshrrev_b32_e32 v3, s61, v3
	v_and_b32_e32 v151, s62, v3
	s_or_b32 exec_lo, exec_lo, s40
	s_and_saveexec_b32 s40, s22
	s_cbranch_execz .LBB1016_221
.LBB1016_291:                           ;   in Loop: Header=BB1016_100 Depth=2
	ds_read_u16 v3, v74 offset:1024
	s_waitcnt lgkmcnt(0)
	v_lshrrev_b32_e32 v3, s61, v3
	v_and_b32_e32 v150, s62, v3
	s_or_b32 exec_lo, exec_lo, s40
	s_and_saveexec_b32 s40, s23
	s_cbranch_execz .LBB1016_222
.LBB1016_292:                           ;   in Loop: Header=BB1016_100 Depth=2
	ds_read_u16 v3, v74 offset:1536
	s_waitcnt lgkmcnt(0)
	v_lshrrev_b32_e32 v3, s61, v3
	v_and_b32_e32 v148, s62, v3
	s_or_b32 exec_lo, exec_lo, s40
	s_and_saveexec_b32 s40, s24
	s_cbranch_execz .LBB1016_223
.LBB1016_293:                           ;   in Loop: Header=BB1016_100 Depth=2
	ds_read_u16 v3, v74 offset:2048
	s_waitcnt lgkmcnt(0)
	v_lshrrev_b32_e32 v3, s61, v3
	v_and_b32_e32 v147, s62, v3
	s_or_b32 exec_lo, exec_lo, s40
	s_and_saveexec_b32 s40, s25
	s_cbranch_execz .LBB1016_224
.LBB1016_294:                           ;   in Loop: Header=BB1016_100 Depth=2
	ds_read_u16 v3, v74 offset:2560
	s_waitcnt lgkmcnt(0)
	v_lshrrev_b32_e32 v3, s61, v3
	v_and_b32_e32 v146, s62, v3
	s_or_b32 exec_lo, exec_lo, s40
	s_and_saveexec_b32 s40, s26
	s_cbranch_execz .LBB1016_225
.LBB1016_295:                           ;   in Loop: Header=BB1016_100 Depth=2
	ds_read_u16 v3, v74 offset:3072
	s_waitcnt lgkmcnt(0)
	v_lshrrev_b32_e32 v3, s61, v3
	v_and_b32_e32 v145, s62, v3
	s_or_b32 exec_lo, exec_lo, s40
	s_and_saveexec_b32 s40, s27
	s_cbranch_execz .LBB1016_226
.LBB1016_296:                           ;   in Loop: Header=BB1016_100 Depth=2
	ds_read_u16 v3, v74 offset:3584
	s_waitcnt lgkmcnt(0)
	v_lshrrev_b32_e32 v3, s61, v3
	v_and_b32_e32 v144, s62, v3
	s_or_b32 exec_lo, exec_lo, s40
	s_and_saveexec_b32 s40, s29
	s_cbranch_execz .LBB1016_227
.LBB1016_297:                           ;   in Loop: Header=BB1016_100 Depth=2
	ds_read_u16 v3, v74 offset:4096
	s_waitcnt lgkmcnt(0)
	v_lshrrev_b32_e32 v3, s61, v3
	v_and_b32_e32 v143, s62, v3
	s_or_b32 exec_lo, exec_lo, s40
	s_and_saveexec_b32 s40, s30
	s_cbranch_execz .LBB1016_228
.LBB1016_298:                           ;   in Loop: Header=BB1016_100 Depth=2
	ds_read_u16 v3, v74 offset:4608
	s_waitcnt lgkmcnt(0)
	v_lshrrev_b32_e32 v3, s61, v3
	v_and_b32_e32 v142, s62, v3
	s_or_b32 exec_lo, exec_lo, s40
	s_and_saveexec_b32 s40, s31
	s_cbranch_execz .LBB1016_229
.LBB1016_299:                           ;   in Loop: Header=BB1016_100 Depth=2
	ds_read_u16 v3, v74 offset:5120
	s_waitcnt lgkmcnt(0)
	v_lshrrev_b32_e32 v3, s61, v3
	v_and_b32_e32 v141, s62, v3
	s_or_b32 exec_lo, exec_lo, s40
	s_and_saveexec_b32 s40, s33
	s_cbranch_execz .LBB1016_230
.LBB1016_300:                           ;   in Loop: Header=BB1016_100 Depth=2
	ds_read_u16 v3, v74 offset:5632
	s_waitcnt lgkmcnt(0)
	v_lshrrev_b32_e32 v3, s61, v3
	v_and_b32_e32 v140, s62, v3
	s_or_b32 exec_lo, exec_lo, s40
	s_and_saveexec_b32 s40, s34
	s_cbranch_execz .LBB1016_231
.LBB1016_301:                           ;   in Loop: Header=BB1016_100 Depth=2
	ds_read_u16 v3, v74 offset:6144
	s_waitcnt lgkmcnt(0)
	v_lshrrev_b32_e32 v3, s61, v3
	v_and_b32_e32 v139, s62, v3
	s_or_b32 exec_lo, exec_lo, s40
	s_and_saveexec_b32 s40, s35
	s_cbranch_execz .LBB1016_232
.LBB1016_302:                           ;   in Loop: Header=BB1016_100 Depth=2
	ds_read_u16 v3, v74 offset:6656
	s_waitcnt lgkmcnt(0)
	v_lshrrev_b32_e32 v3, s61, v3
	v_and_b32_e32 v138, s62, v3
	s_or_b32 exec_lo, exec_lo, s40
	s_and_saveexec_b32 s40, s36
	s_cbranch_execz .LBB1016_233
.LBB1016_303:                           ;   in Loop: Header=BB1016_100 Depth=2
	ds_read_u16 v3, v74 offset:7168
	s_waitcnt lgkmcnt(0)
	v_lshrrev_b32_e32 v3, s61, v3
	v_and_b32_e32 v137, s62, v3
	s_or_b32 exec_lo, exec_lo, s40
	s_and_saveexec_b32 s40, s37
	s_cbranch_execz .LBB1016_234
.LBB1016_304:                           ;   in Loop: Header=BB1016_100 Depth=2
	ds_read_u16 v3, v74 offset:7680
	s_waitcnt lgkmcnt(0)
	v_lshrrev_b32_e32 v3, s61, v3
	v_and_b32_e32 v136, s62, v3
	s_or_b32 exec_lo, exec_lo, s40
	s_and_saveexec_b32 s40, s38
	s_cbranch_execz .LBB1016_235
.LBB1016_305:                           ;   in Loop: Header=BB1016_100 Depth=2
	ds_read_u16 v3, v74 offset:8192
	s_waitcnt lgkmcnt(0)
	v_lshrrev_b32_e32 v3, s61, v3
	v_and_b32_e32 v135, s62, v3
	s_or_b32 exec_lo, exec_lo, s40
	s_and_saveexec_b32 s40, s39
	s_cbranch_execnz .LBB1016_236
	s_branch .LBB1016_237
.LBB1016_306:                           ;   in Loop: Header=BB1016_100 Depth=2
	v_lshlrev_b32_e32 v3, 2, v151
	v_add_nc_u32_e32 v39, v74, v75
	ds_read_b32 v3, v3
	ds_read_b64 v[39:40], v39 offset:512
	s_waitcnt lgkmcnt(1)
	v_add_nc_u32_e32 v3, v3, v0
	v_lshlrev_b64 v[41:42], 3, v[3:4]
	v_add_co_u32 v41, vcc_lo, s52, v41
	v_add_co_ci_u32_e64 v42, null, s53, v42, vcc_lo
	s_waitcnt lgkmcnt(0)
	global_store_dwordx2 v[41:42], v[39:40], off
	s_or_b32 exec_lo, exec_lo, s40
	s_and_saveexec_b32 s40, s22
	s_cbranch_execz .LBB1016_239
.LBB1016_307:                           ;   in Loop: Header=BB1016_100 Depth=2
	v_lshlrev_b32_e32 v3, 2, v150
	v_add_nc_u32_e32 v39, v74, v75
	ds_read_b32 v3, v3
	ds_read_b64 v[39:40], v39 offset:2560
	s_waitcnt lgkmcnt(1)
	v_add_nc_u32_e32 v3, v3, v44
	v_lshlrev_b64 v[41:42], 3, v[3:4]
	v_add_co_u32 v41, vcc_lo, s52, v41
	v_add_co_ci_u32_e64 v42, null, s53, v42, vcc_lo
	s_waitcnt lgkmcnt(0)
	global_store_dwordx2 v[41:42], v[39:40], off
	s_or_b32 exec_lo, exec_lo, s40
	s_and_saveexec_b32 s22, s23
	s_cbranch_execz .LBB1016_240
.LBB1016_308:                           ;   in Loop: Header=BB1016_100 Depth=2
	v_lshlrev_b32_e32 v3, 2, v148
	v_add_nc_u32_e32 v39, v74, v75
	ds_read_b32 v3, v3
	ds_read_b64 v[39:40], v39 offset:4608
	s_waitcnt lgkmcnt(1)
	v_add_nc_u32_e32 v3, v3, v47
	v_lshlrev_b64 v[41:42], 3, v[3:4]
	v_add_co_u32 v41, vcc_lo, s52, v41
	v_add_co_ci_u32_e64 v42, null, s53, v42, vcc_lo
	s_waitcnt lgkmcnt(0)
	global_store_dwordx2 v[41:42], v[39:40], off
	s_or_b32 exec_lo, exec_lo, s22
	s_and_saveexec_b32 s22, s24
	s_cbranch_execz .LBB1016_241
.LBB1016_309:                           ;   in Loop: Header=BB1016_100 Depth=2
	v_lshlrev_b32_e32 v3, 2, v147
	v_add_nc_u32_e32 v39, v74, v75
	ds_read_b32 v3, v3
	ds_read_b64 v[39:40], v39 offset:6656
	s_waitcnt lgkmcnt(1)
	v_add_nc_u32_e32 v3, v3, v48
	v_lshlrev_b64 v[41:42], 3, v[3:4]
	v_add_co_u32 v41, vcc_lo, s52, v41
	v_add_co_ci_u32_e64 v42, null, s53, v42, vcc_lo
	s_waitcnt lgkmcnt(0)
	global_store_dwordx2 v[41:42], v[39:40], off
	s_or_b32 exec_lo, exec_lo, s22
	s_and_saveexec_b32 s22, s25
	s_cbranch_execz .LBB1016_242
.LBB1016_310:                           ;   in Loop: Header=BB1016_100 Depth=2
	v_lshlrev_b32_e32 v3, 2, v146
	v_add_nc_u32_e32 v39, v74, v75
	ds_read_b32 v3, v3
	ds_read_b64 v[39:40], v39 offset:8704
	s_waitcnt lgkmcnt(1)
	v_add_nc_u32_e32 v3, v3, v49
	v_lshlrev_b64 v[41:42], 3, v[3:4]
	v_add_co_u32 v41, vcc_lo, s52, v41
	v_add_co_ci_u32_e64 v42, null, s53, v42, vcc_lo
	s_waitcnt lgkmcnt(0)
	global_store_dwordx2 v[41:42], v[39:40], off
	s_or_b32 exec_lo, exec_lo, s22
	s_and_saveexec_b32 s22, s26
	s_cbranch_execz .LBB1016_243
.LBB1016_311:                           ;   in Loop: Header=BB1016_100 Depth=2
	v_lshlrev_b32_e32 v3, 2, v145
	v_add_nc_u32_e32 v39, v74, v75
	ds_read_b32 v3, v3
	ds_read_b64 v[39:40], v39 offset:10752
	s_waitcnt lgkmcnt(1)
	v_add_nc_u32_e32 v3, v3, v50
	v_lshlrev_b64 v[41:42], 3, v[3:4]
	v_add_co_u32 v41, vcc_lo, s52, v41
	v_add_co_ci_u32_e64 v42, null, s53, v42, vcc_lo
	s_waitcnt lgkmcnt(0)
	global_store_dwordx2 v[41:42], v[39:40], off
	s_or_b32 exec_lo, exec_lo, s22
	s_and_saveexec_b32 s22, s27
	s_cbranch_execz .LBB1016_244
.LBB1016_312:                           ;   in Loop: Header=BB1016_100 Depth=2
	v_lshlrev_b32_e32 v3, 2, v144
	v_add_nc_u32_e32 v39, v74, v75
	ds_read_b32 v3, v3
	ds_read_b64 v[39:40], v39 offset:12800
	s_waitcnt lgkmcnt(1)
	v_add_nc_u32_e32 v3, v3, v51
	v_lshlrev_b64 v[41:42], 3, v[3:4]
	v_add_co_u32 v41, vcc_lo, s52, v41
	v_add_co_ci_u32_e64 v42, null, s53, v42, vcc_lo
	s_waitcnt lgkmcnt(0)
	global_store_dwordx2 v[41:42], v[39:40], off
	s_or_b32 exec_lo, exec_lo, s22
	s_and_saveexec_b32 s22, s29
	s_cbranch_execz .LBB1016_245
.LBB1016_313:                           ;   in Loop: Header=BB1016_100 Depth=2
	v_lshlrev_b32_e32 v3, 2, v143
	v_add_nc_u32_e32 v39, v74, v75
	ds_read_b32 v3, v3
	ds_read_b64 v[39:40], v39 offset:14848
	s_waitcnt lgkmcnt(1)
	v_add_nc_u32_e32 v3, v3, v52
	v_lshlrev_b64 v[41:42], 3, v[3:4]
	v_add_co_u32 v41, vcc_lo, s52, v41
	v_add_co_ci_u32_e64 v42, null, s53, v42, vcc_lo
	s_waitcnt lgkmcnt(0)
	global_store_dwordx2 v[41:42], v[39:40], off
	s_or_b32 exec_lo, exec_lo, s22
	s_and_saveexec_b32 s22, s30
	s_cbranch_execz .LBB1016_246
.LBB1016_314:                           ;   in Loop: Header=BB1016_100 Depth=2
	v_lshlrev_b32_e32 v3, 2, v142
	v_add_nc_u32_e32 v39, v74, v75
	ds_read_b32 v3, v3
	ds_read_b64 v[39:40], v39 offset:16896
	s_waitcnt lgkmcnt(1)
	v_add_nc_u32_e32 v3, v3, v53
	v_lshlrev_b64 v[41:42], 3, v[3:4]
	v_add_co_u32 v41, vcc_lo, s52, v41
	v_add_co_ci_u32_e64 v42, null, s53, v42, vcc_lo
	s_waitcnt lgkmcnt(0)
	global_store_dwordx2 v[41:42], v[39:40], off
	s_or_b32 exec_lo, exec_lo, s22
	s_and_saveexec_b32 s22, s31
	s_cbranch_execz .LBB1016_247
.LBB1016_315:                           ;   in Loop: Header=BB1016_100 Depth=2
	v_lshlrev_b32_e32 v3, 2, v141
	v_add_nc_u32_e32 v39, v74, v75
	ds_read_b32 v3, v3
	ds_read_b64 v[39:40], v39 offset:18944
	s_waitcnt lgkmcnt(1)
	v_add_nc_u32_e32 v3, v3, v54
	v_lshlrev_b64 v[41:42], 3, v[3:4]
	v_add_co_u32 v41, vcc_lo, s52, v41
	v_add_co_ci_u32_e64 v42, null, s53, v42, vcc_lo
	s_waitcnt lgkmcnt(0)
	global_store_dwordx2 v[41:42], v[39:40], off
	s_or_b32 exec_lo, exec_lo, s22
	s_and_saveexec_b32 s22, s33
	s_cbranch_execz .LBB1016_248
.LBB1016_316:                           ;   in Loop: Header=BB1016_100 Depth=2
	v_lshlrev_b32_e32 v3, 2, v140
	v_add_nc_u32_e32 v39, v74, v75
	ds_read_b32 v3, v3
	ds_read_b64 v[39:40], v39 offset:20992
	s_waitcnt lgkmcnt(1)
	v_add_nc_u32_e32 v3, v3, v55
	v_lshlrev_b64 v[41:42], 3, v[3:4]
	v_add_co_u32 v41, vcc_lo, s52, v41
	v_add_co_ci_u32_e64 v42, null, s53, v42, vcc_lo
	s_waitcnt lgkmcnt(0)
	global_store_dwordx2 v[41:42], v[39:40], off
	s_or_b32 exec_lo, exec_lo, s22
	s_and_saveexec_b32 s22, s34
	s_cbranch_execz .LBB1016_249
.LBB1016_317:                           ;   in Loop: Header=BB1016_100 Depth=2
	v_lshlrev_b32_e32 v3, 2, v139
	v_add_nc_u32_e32 v39, v74, v75
	ds_read_b32 v3, v3
	ds_read_b64 v[39:40], v39 offset:23040
	s_waitcnt lgkmcnt(1)
	v_add_nc_u32_e32 v3, v3, v56
	v_lshlrev_b64 v[41:42], 3, v[3:4]
	v_add_co_u32 v41, vcc_lo, s52, v41
	v_add_co_ci_u32_e64 v42, null, s53, v42, vcc_lo
	s_waitcnt lgkmcnt(0)
	global_store_dwordx2 v[41:42], v[39:40], off
	s_or_b32 exec_lo, exec_lo, s22
	s_and_saveexec_b32 s22, s35
	s_cbranch_execz .LBB1016_250
.LBB1016_318:                           ;   in Loop: Header=BB1016_100 Depth=2
	v_lshlrev_b32_e32 v3, 2, v138
	v_add_nc_u32_e32 v39, v74, v75
	ds_read_b32 v3, v3
	ds_read_b64 v[39:40], v39 offset:25088
	s_waitcnt lgkmcnt(1)
	v_add_nc_u32_e32 v3, v3, v57
	v_lshlrev_b64 v[41:42], 3, v[3:4]
	v_add_co_u32 v41, vcc_lo, s52, v41
	v_add_co_ci_u32_e64 v42, null, s53, v42, vcc_lo
	s_waitcnt lgkmcnt(0)
	global_store_dwordx2 v[41:42], v[39:40], off
	s_or_b32 exec_lo, exec_lo, s22
	s_and_saveexec_b32 s22, s36
	s_cbranch_execz .LBB1016_251
.LBB1016_319:                           ;   in Loop: Header=BB1016_100 Depth=2
	v_lshlrev_b32_e32 v3, 2, v137
	v_add_nc_u32_e32 v39, v74, v75
	ds_read_b32 v3, v3
	ds_read_b64 v[39:40], v39 offset:27136
	s_waitcnt lgkmcnt(1)
	v_add_nc_u32_e32 v3, v3, v58
	v_lshlrev_b64 v[41:42], 3, v[3:4]
	v_add_co_u32 v41, vcc_lo, s52, v41
	v_add_co_ci_u32_e64 v42, null, s53, v42, vcc_lo
	s_waitcnt lgkmcnt(0)
	global_store_dwordx2 v[41:42], v[39:40], off
	s_or_b32 exec_lo, exec_lo, s22
	s_and_saveexec_b32 s22, s37
	s_cbranch_execz .LBB1016_252
.LBB1016_320:                           ;   in Loop: Header=BB1016_100 Depth=2
	v_lshlrev_b32_e32 v3, 2, v136
	v_add_nc_u32_e32 v39, v74, v75
	ds_read_b32 v3, v3
	ds_read_b64 v[39:40], v39 offset:29184
	s_waitcnt lgkmcnt(1)
	v_add_nc_u32_e32 v3, v3, v59
	v_lshlrev_b64 v[41:42], 3, v[3:4]
	v_add_co_u32 v41, vcc_lo, s52, v41
	v_add_co_ci_u32_e64 v42, null, s53, v42, vcc_lo
	s_waitcnt lgkmcnt(0)
	global_store_dwordx2 v[41:42], v[39:40], off
	s_or_b32 exec_lo, exec_lo, s22
	s_and_saveexec_b32 s22, s38
	s_cbranch_execz .LBB1016_253
.LBB1016_321:                           ;   in Loop: Header=BB1016_100 Depth=2
	v_lshlrev_b32_e32 v3, 2, v135
	v_add_nc_u32_e32 v39, v74, v75
	ds_read_b32 v3, v3
	ds_read_b64 v[39:40], v39 offset:31232
	s_waitcnt lgkmcnt(1)
	v_add_nc_u32_e32 v3, v3, v60
	v_lshlrev_b64 v[41:42], 3, v[3:4]
	v_add_co_u32 v41, vcc_lo, s52, v41
	v_add_co_ci_u32_e64 v42, null, s53, v42, vcc_lo
	s_waitcnt lgkmcnt(0)
	global_store_dwordx2 v[41:42], v[39:40], off
	s_or_b32 exec_lo, exec_lo, s22
	s_and_saveexec_b32 s22, s39
	s_cbranch_execnz .LBB1016_254
	s_branch .LBB1016_255
.LBB1016_322:                           ;   in Loop: Header=BB1016_12 Depth=1
	s_waitcnt lgkmcnt(0)
	s_mov_b32 s5, 0
	s_barrier
.LBB1016_323:                           ;   in Loop: Header=BB1016_12 Depth=1
	s_and_b32 vcc_lo, exec_lo, s5
	s_cbranch_vccz .LBB1016_633
; %bb.324:                              ;   in Loop: Header=BB1016_12 Depth=1
	s_mov_b32 s5, s60
	s_mov_b32 s50, s58
	s_barrier
	buffer_gl0_inv
                                        ; implicit-def: $vgpr3
                                        ; implicit-def: $vgpr5
                                        ; implicit-def: $vgpr6
                                        ; implicit-def: $vgpr7
                                        ; implicit-def: $vgpr8
                                        ; implicit-def: $vgpr9
                                        ; implicit-def: $vgpr10
                                        ; implicit-def: $vgpr11
                                        ; implicit-def: $vgpr12
                                        ; implicit-def: $vgpr13
                                        ; implicit-def: $vgpr14
                                        ; implicit-def: $vgpr15
                                        ; implicit-def: $vgpr16
                                        ; implicit-def: $vgpr17
                                        ; implicit-def: $vgpr18
                                        ; implicit-def: $vgpr19
                                        ; implicit-def: $vgpr20
	s_branch .LBB1016_326
.LBB1016_325:                           ;   in Loop: Header=BB1016_326 Depth=2
	s_or_b32 exec_lo, exec_lo, s16
	s_addk_i32 s5, 0xef00
	s_cmp_ge_u32 s15, s59
	s_mov_b32 s50, s15
	s_cbranch_scc1 .LBB1016_398
.LBB1016_326:                           ;   Parent Loop BB1016_12 Depth=1
                                        ; =>  This Inner Loop Header: Depth=2
	s_add_i32 s15, s50, 0x1100
	s_mov_b32 s16, -1
	s_cmp_gt_u32 s15, s59
                                        ; implicit-def: $vgpr21
                                        ; implicit-def: $vgpr22
                                        ; implicit-def: $vgpr23
                                        ; implicit-def: $vgpr24
                                        ; implicit-def: $vgpr28
                                        ; implicit-def: $vgpr25
                                        ; implicit-def: $vgpr26
                                        ; implicit-def: $vgpr27
                                        ; implicit-def: $vgpr30
                                        ; implicit-def: $vgpr29
                                        ; implicit-def: $vgpr31
                                        ; implicit-def: $vgpr32
                                        ; implicit-def: $vgpr33
                                        ; implicit-def: $vgpr34
                                        ; implicit-def: $vgpr35
                                        ; implicit-def: $vgpr36
                                        ; implicit-def: $vgpr37
	s_cbranch_scc1 .LBB1016_328
; %bb.327:                              ;   in Loop: Header=BB1016_326 Depth=2
	s_lshl_b64 s[16:17], s[50:51], 1
	v_add_co_u32 v30, vcc_lo, v76, s16
	v_add_co_ci_u32_e64 v31, null, s17, v77, vcc_lo
	s_mov_b32 s16, 0
	v_add_co_u32 v27, vcc_lo, 0x800, v30
	v_add_co_ci_u32_e64 v28, null, 0, v31, vcc_lo
	v_add_co_u32 v32, vcc_lo, v30, 0x1000
	v_add_co_ci_u32_e64 v33, null, 0, v31, vcc_lo
	;; [unrolled: 2-line block ×5, first 2 shown]
	s_clause 0x10
	global_load_ushort v21, v[30:31], off
	global_load_ushort v22, v[30:31], off offset:512
	global_load_ushort v23, v[30:31], off offset:1024
	;; [unrolled: 1-line block ×7, first 2 shown]
	global_load_ushort v28, v[32:33], off offset:-2048
	global_load_ushort v30, v[32:33], off
	global_load_ushort v31, v[34:35], off offset:1024
	global_load_ushort v32, v[34:35], off offset:1536
	global_load_ushort v33, v[38:39], off offset:-2048
	global_load_ushort v34, v[36:37], off offset:512
	global_load_ushort v35, v[36:37], off offset:1024
	;; [unrolled: 1-line block ×3, first 2 shown]
	global_load_ushort v37, v[38:39], off
.LBB1016_328:                           ;   in Loop: Header=BB1016_326 Depth=2
	s_andn2_b32 vcc_lo, exec_lo, s16
	s_movk_i32 s16, 0x1100
	s_cbranch_vccnz .LBB1016_348
; %bb.329:                              ;   in Loop: Header=BB1016_326 Depth=2
	s_lshl_b64 s[16:17], s[50:51], 1
	s_mov_b32 s18, exec_lo
	s_add_u32 s16, s46, s16
	s_addc_u32 s17, s47, s17
	v_cmpx_gt_u32_e64 s5, v0
	s_cbranch_execnz .LBB1016_382
; %bb.330:                              ;   in Loop: Header=BB1016_326 Depth=2
	s_or_b32 exec_lo, exec_lo, s18
	s_mov_b32 s18, exec_lo
	v_cmpx_gt_u32_e64 s5, v44
	s_cbranch_execnz .LBB1016_383
.LBB1016_331:                           ;   in Loop: Header=BB1016_326 Depth=2
	s_or_b32 exec_lo, exec_lo, s18
	s_mov_b32 s18, exec_lo
	v_cmpx_gt_u32_e64 s5, v47
	s_cbranch_execnz .LBB1016_384
.LBB1016_332:                           ;   in Loop: Header=BB1016_326 Depth=2
	s_or_b32 exec_lo, exec_lo, s18
	s_mov_b32 s18, exec_lo
	v_cmpx_gt_u32_e64 s5, v48
	s_cbranch_execnz .LBB1016_385
.LBB1016_333:                           ;   in Loop: Header=BB1016_326 Depth=2
	s_or_b32 exec_lo, exec_lo, s18
	s_mov_b32 s18, exec_lo
	v_cmpx_gt_u32_e64 s5, v49
	s_cbranch_execnz .LBB1016_386
.LBB1016_334:                           ;   in Loop: Header=BB1016_326 Depth=2
	s_or_b32 exec_lo, exec_lo, s18
	s_mov_b32 s18, exec_lo
	v_cmpx_gt_u32_e64 s5, v50
	s_cbranch_execnz .LBB1016_387
.LBB1016_335:                           ;   in Loop: Header=BB1016_326 Depth=2
	s_or_b32 exec_lo, exec_lo, s18
	s_mov_b32 s18, exec_lo
	v_cmpx_gt_u32_e64 s5, v51
	s_cbranch_execnz .LBB1016_388
.LBB1016_336:                           ;   in Loop: Header=BB1016_326 Depth=2
	s_or_b32 exec_lo, exec_lo, s18
	s_mov_b32 s18, exec_lo
	v_cmpx_gt_u32_e64 s5, v52
	s_cbranch_execnz .LBB1016_389
.LBB1016_337:                           ;   in Loop: Header=BB1016_326 Depth=2
	s_or_b32 exec_lo, exec_lo, s18
	s_mov_b32 s18, exec_lo
	v_cmpx_gt_u32_e64 s5, v53
	s_cbranch_execnz .LBB1016_390
.LBB1016_338:                           ;   in Loop: Header=BB1016_326 Depth=2
	s_or_b32 exec_lo, exec_lo, s18
	s_mov_b32 s18, exec_lo
	v_cmpx_gt_u32_e64 s5, v54
	s_cbranch_execnz .LBB1016_391
.LBB1016_339:                           ;   in Loop: Header=BB1016_326 Depth=2
	s_or_b32 exec_lo, exec_lo, s18
	s_mov_b32 s18, exec_lo
	v_cmpx_gt_u32_e64 s5, v55
	s_cbranch_execnz .LBB1016_392
.LBB1016_340:                           ;   in Loop: Header=BB1016_326 Depth=2
	s_or_b32 exec_lo, exec_lo, s18
	s_mov_b32 s18, exec_lo
	v_cmpx_gt_u32_e64 s5, v56
	s_cbranch_execnz .LBB1016_393
.LBB1016_341:                           ;   in Loop: Header=BB1016_326 Depth=2
	s_or_b32 exec_lo, exec_lo, s18
	s_mov_b32 s18, exec_lo
	v_cmpx_gt_u32_e64 s5, v57
	s_cbranch_execnz .LBB1016_394
.LBB1016_342:                           ;   in Loop: Header=BB1016_326 Depth=2
	s_or_b32 exec_lo, exec_lo, s18
	s_mov_b32 s18, exec_lo
	v_cmpx_gt_u32_e64 s5, v58
	s_cbranch_execnz .LBB1016_395
.LBB1016_343:                           ;   in Loop: Header=BB1016_326 Depth=2
	s_or_b32 exec_lo, exec_lo, s18
	s_mov_b32 s18, exec_lo
	v_cmpx_gt_u32_e64 s5, v59
	s_cbranch_execnz .LBB1016_396
.LBB1016_344:                           ;   in Loop: Header=BB1016_326 Depth=2
	s_or_b32 exec_lo, exec_lo, s18
	s_mov_b32 s18, exec_lo
	v_cmpx_gt_u32_e64 s5, v60
	s_cbranch_execnz .LBB1016_397
.LBB1016_345:                           ;   in Loop: Header=BB1016_326 Depth=2
	s_or_b32 exec_lo, exec_lo, s18
	s_mov_b32 s18, exec_lo
	v_cmpx_gt_u32_e64 s5, v61
	s_cbranch_execz .LBB1016_347
.LBB1016_346:                           ;   in Loop: Header=BB1016_326 Depth=2
	global_load_ushort v3, v122, s[16:17]
.LBB1016_347:                           ;   in Loop: Header=BB1016_326 Depth=2
	s_or_b32 exec_lo, exec_lo, s18
	s_waitcnt vmcnt(0)
	v_mov_b32_e32 v21, v20
	v_mov_b32_e32 v22, v19
	;; [unrolled: 1-line block ×17, first 2 shown]
	s_mov_b32 s16, s5
.LBB1016_348:                           ;   in Loop: Header=BB1016_326 Depth=2
	s_waitcnt vmcnt(0)
	v_mov_b32_e32 v3, v37
	v_mov_b32_e32 v5, v36
	;; [unrolled: 1-line block ×17, first 2 shown]
	s_mov_b32 s17, exec_lo
	v_cmpx_gt_u32_e64 s16, v0
	s_cbranch_execnz .LBB1016_365
; %bb.349:                              ;   in Loop: Header=BB1016_326 Depth=2
	s_or_b32 exec_lo, exec_lo, s17
	s_mov_b32 s17, exec_lo
	v_cmpx_gt_u32_e64 s16, v44
	s_cbranch_execnz .LBB1016_366
.LBB1016_350:                           ;   in Loop: Header=BB1016_326 Depth=2
	s_or_b32 exec_lo, exec_lo, s17
	s_mov_b32 s17, exec_lo
	v_cmpx_gt_u32_e64 s16, v47
	s_cbranch_execnz .LBB1016_367
.LBB1016_351:                           ;   in Loop: Header=BB1016_326 Depth=2
	s_or_b32 exec_lo, exec_lo, s17
	s_mov_b32 s17, exec_lo
	v_cmpx_gt_u32_e64 s16, v48
	s_cbranch_execnz .LBB1016_368
.LBB1016_352:                           ;   in Loop: Header=BB1016_326 Depth=2
	s_or_b32 exec_lo, exec_lo, s17
	s_mov_b32 s17, exec_lo
	v_cmpx_gt_u32_e64 s16, v49
	s_cbranch_execnz .LBB1016_369
.LBB1016_353:                           ;   in Loop: Header=BB1016_326 Depth=2
	s_or_b32 exec_lo, exec_lo, s17
	s_mov_b32 s17, exec_lo
	v_cmpx_gt_u32_e64 s16, v50
	s_cbranch_execnz .LBB1016_370
.LBB1016_354:                           ;   in Loop: Header=BB1016_326 Depth=2
	s_or_b32 exec_lo, exec_lo, s17
	s_mov_b32 s17, exec_lo
	v_cmpx_gt_u32_e64 s16, v51
	s_cbranch_execnz .LBB1016_371
.LBB1016_355:                           ;   in Loop: Header=BB1016_326 Depth=2
	s_or_b32 exec_lo, exec_lo, s17
	s_mov_b32 s17, exec_lo
	v_cmpx_gt_u32_e64 s16, v52
	s_cbranch_execnz .LBB1016_372
.LBB1016_356:                           ;   in Loop: Header=BB1016_326 Depth=2
	s_or_b32 exec_lo, exec_lo, s17
	s_mov_b32 s17, exec_lo
	v_cmpx_gt_u32_e64 s16, v53
	s_cbranch_execnz .LBB1016_373
.LBB1016_357:                           ;   in Loop: Header=BB1016_326 Depth=2
	s_or_b32 exec_lo, exec_lo, s17
	s_mov_b32 s17, exec_lo
	v_cmpx_gt_u32_e64 s16, v54
	s_cbranch_execnz .LBB1016_374
.LBB1016_358:                           ;   in Loop: Header=BB1016_326 Depth=2
	s_or_b32 exec_lo, exec_lo, s17
	s_mov_b32 s17, exec_lo
	v_cmpx_gt_u32_e64 s16, v55
	s_cbranch_execnz .LBB1016_375
.LBB1016_359:                           ;   in Loop: Header=BB1016_326 Depth=2
	s_or_b32 exec_lo, exec_lo, s17
	s_mov_b32 s17, exec_lo
	v_cmpx_gt_u32_e64 s16, v56
	s_cbranch_execnz .LBB1016_376
.LBB1016_360:                           ;   in Loop: Header=BB1016_326 Depth=2
	s_or_b32 exec_lo, exec_lo, s17
	s_mov_b32 s17, exec_lo
	v_cmpx_gt_u32_e64 s16, v57
	s_cbranch_execnz .LBB1016_377
.LBB1016_361:                           ;   in Loop: Header=BB1016_326 Depth=2
	s_or_b32 exec_lo, exec_lo, s17
	s_mov_b32 s17, exec_lo
	v_cmpx_gt_u32_e64 s16, v58
	s_cbranch_execnz .LBB1016_378
.LBB1016_362:                           ;   in Loop: Header=BB1016_326 Depth=2
	s_or_b32 exec_lo, exec_lo, s17
	s_mov_b32 s17, exec_lo
	v_cmpx_gt_u32_e64 s16, v59
	s_cbranch_execnz .LBB1016_379
.LBB1016_363:                           ;   in Loop: Header=BB1016_326 Depth=2
	s_or_b32 exec_lo, exec_lo, s17
	s_mov_b32 s17, exec_lo
	v_cmpx_gt_u32_e64 s16, v60
	s_cbranch_execnz .LBB1016_380
.LBB1016_364:                           ;   in Loop: Header=BB1016_326 Depth=2
	s_or_b32 exec_lo, exec_lo, s17
	v_cmp_gt_u32_e32 vcc_lo, s16, v61
	s_and_saveexec_b32 s16, vcc_lo
	s_cbranch_execz .LBB1016_325
	s_branch .LBB1016_381
.LBB1016_365:                           ;   in Loop: Header=BB1016_326 Depth=2
	v_xor_b32_e32 v21, 0xffff8000, v20
	v_lshrrev_b32_sdwa v21, s61, v21 dst_sel:DWORD dst_unused:UNUSED_PAD src0_sel:DWORD src1_sel:WORD_0
	v_and_b32_e32 v21, s62, v21
	v_lshl_or_b32 v21, v21, 4, v63
	ds_add_u32 v21, v89
	s_or_b32 exec_lo, exec_lo, s17
	s_mov_b32 s17, exec_lo
	v_cmpx_gt_u32_e64 s16, v44
	s_cbranch_execz .LBB1016_350
.LBB1016_366:                           ;   in Loop: Header=BB1016_326 Depth=2
	v_xor_b32_e32 v21, 0xffff8000, v19
	v_lshrrev_b32_sdwa v21, s61, v21 dst_sel:DWORD dst_unused:UNUSED_PAD src0_sel:DWORD src1_sel:WORD_0
	v_and_b32_e32 v21, s62, v21
	v_lshl_or_b32 v21, v21, 4, v63
	ds_add_u32 v21, v89
	s_or_b32 exec_lo, exec_lo, s17
	s_mov_b32 s17, exec_lo
	v_cmpx_gt_u32_e64 s16, v47
	s_cbranch_execz .LBB1016_351
.LBB1016_367:                           ;   in Loop: Header=BB1016_326 Depth=2
	v_xor_b32_e32 v21, 0xffff8000, v18
	v_lshrrev_b32_sdwa v21, s61, v21 dst_sel:DWORD dst_unused:UNUSED_PAD src0_sel:DWORD src1_sel:WORD_0
	v_and_b32_e32 v21, s62, v21
	v_lshl_or_b32 v21, v21, 4, v63
	ds_add_u32 v21, v89
	s_or_b32 exec_lo, exec_lo, s17
	s_mov_b32 s17, exec_lo
	v_cmpx_gt_u32_e64 s16, v48
	s_cbranch_execz .LBB1016_352
.LBB1016_368:                           ;   in Loop: Header=BB1016_326 Depth=2
	v_xor_b32_e32 v21, 0xffff8000, v17
	v_lshrrev_b32_sdwa v21, s61, v21 dst_sel:DWORD dst_unused:UNUSED_PAD src0_sel:DWORD src1_sel:WORD_0
	v_and_b32_e32 v21, s62, v21
	v_lshl_or_b32 v21, v21, 4, v63
	ds_add_u32 v21, v89
	s_or_b32 exec_lo, exec_lo, s17
	s_mov_b32 s17, exec_lo
	v_cmpx_gt_u32_e64 s16, v49
	s_cbranch_execz .LBB1016_353
.LBB1016_369:                           ;   in Loop: Header=BB1016_326 Depth=2
	v_xor_b32_e32 v21, 0xffff8000, v16
	v_lshrrev_b32_sdwa v21, s61, v21 dst_sel:DWORD dst_unused:UNUSED_PAD src0_sel:DWORD src1_sel:WORD_0
	v_and_b32_e32 v21, s62, v21
	v_lshl_or_b32 v21, v21, 4, v63
	ds_add_u32 v21, v89
	s_or_b32 exec_lo, exec_lo, s17
	s_mov_b32 s17, exec_lo
	v_cmpx_gt_u32_e64 s16, v50
	s_cbranch_execz .LBB1016_354
.LBB1016_370:                           ;   in Loop: Header=BB1016_326 Depth=2
	v_xor_b32_e32 v21, 0xffff8000, v15
	v_lshrrev_b32_sdwa v21, s61, v21 dst_sel:DWORD dst_unused:UNUSED_PAD src0_sel:DWORD src1_sel:WORD_0
	v_and_b32_e32 v21, s62, v21
	v_lshl_or_b32 v21, v21, 4, v63
	ds_add_u32 v21, v89
	s_or_b32 exec_lo, exec_lo, s17
	s_mov_b32 s17, exec_lo
	v_cmpx_gt_u32_e64 s16, v51
	s_cbranch_execz .LBB1016_355
.LBB1016_371:                           ;   in Loop: Header=BB1016_326 Depth=2
	v_xor_b32_e32 v21, 0xffff8000, v14
	v_lshrrev_b32_sdwa v21, s61, v21 dst_sel:DWORD dst_unused:UNUSED_PAD src0_sel:DWORD src1_sel:WORD_0
	v_and_b32_e32 v21, s62, v21
	v_lshl_or_b32 v21, v21, 4, v63
	ds_add_u32 v21, v89
	s_or_b32 exec_lo, exec_lo, s17
	s_mov_b32 s17, exec_lo
	v_cmpx_gt_u32_e64 s16, v52
	s_cbranch_execz .LBB1016_356
.LBB1016_372:                           ;   in Loop: Header=BB1016_326 Depth=2
	v_xor_b32_e32 v21, 0xffff8000, v13
	v_lshrrev_b32_sdwa v21, s61, v21 dst_sel:DWORD dst_unused:UNUSED_PAD src0_sel:DWORD src1_sel:WORD_0
	v_and_b32_e32 v21, s62, v21
	v_lshl_or_b32 v21, v21, 4, v63
	ds_add_u32 v21, v89
	s_or_b32 exec_lo, exec_lo, s17
	s_mov_b32 s17, exec_lo
	v_cmpx_gt_u32_e64 s16, v53
	s_cbranch_execz .LBB1016_357
.LBB1016_373:                           ;   in Loop: Header=BB1016_326 Depth=2
	v_xor_b32_e32 v21, 0xffff8000, v12
	v_lshrrev_b32_sdwa v21, s61, v21 dst_sel:DWORD dst_unused:UNUSED_PAD src0_sel:DWORD src1_sel:WORD_0
	v_and_b32_e32 v21, s62, v21
	v_lshl_or_b32 v21, v21, 4, v63
	ds_add_u32 v21, v89
	s_or_b32 exec_lo, exec_lo, s17
	s_mov_b32 s17, exec_lo
	v_cmpx_gt_u32_e64 s16, v54
	s_cbranch_execz .LBB1016_358
.LBB1016_374:                           ;   in Loop: Header=BB1016_326 Depth=2
	v_xor_b32_e32 v21, 0xffff8000, v11
	v_lshrrev_b32_sdwa v21, s61, v21 dst_sel:DWORD dst_unused:UNUSED_PAD src0_sel:DWORD src1_sel:WORD_0
	v_and_b32_e32 v21, s62, v21
	v_lshl_or_b32 v21, v21, 4, v63
	ds_add_u32 v21, v89
	s_or_b32 exec_lo, exec_lo, s17
	s_mov_b32 s17, exec_lo
	v_cmpx_gt_u32_e64 s16, v55
	s_cbranch_execz .LBB1016_359
.LBB1016_375:                           ;   in Loop: Header=BB1016_326 Depth=2
	v_xor_b32_e32 v21, 0xffff8000, v10
	v_lshrrev_b32_sdwa v21, s61, v21 dst_sel:DWORD dst_unused:UNUSED_PAD src0_sel:DWORD src1_sel:WORD_0
	v_and_b32_e32 v21, s62, v21
	v_lshl_or_b32 v21, v21, 4, v63
	ds_add_u32 v21, v89
	s_or_b32 exec_lo, exec_lo, s17
	s_mov_b32 s17, exec_lo
	v_cmpx_gt_u32_e64 s16, v56
	s_cbranch_execz .LBB1016_360
.LBB1016_376:                           ;   in Loop: Header=BB1016_326 Depth=2
	v_xor_b32_e32 v21, 0xffff8000, v9
	v_lshrrev_b32_sdwa v21, s61, v21 dst_sel:DWORD dst_unused:UNUSED_PAD src0_sel:DWORD src1_sel:WORD_0
	v_and_b32_e32 v21, s62, v21
	v_lshl_or_b32 v21, v21, 4, v63
	ds_add_u32 v21, v89
	s_or_b32 exec_lo, exec_lo, s17
	s_mov_b32 s17, exec_lo
	v_cmpx_gt_u32_e64 s16, v57
	s_cbranch_execz .LBB1016_361
.LBB1016_377:                           ;   in Loop: Header=BB1016_326 Depth=2
	v_xor_b32_e32 v21, 0xffff8000, v8
	v_lshrrev_b32_sdwa v21, s61, v21 dst_sel:DWORD dst_unused:UNUSED_PAD src0_sel:DWORD src1_sel:WORD_0
	v_and_b32_e32 v21, s62, v21
	v_lshl_or_b32 v21, v21, 4, v63
	ds_add_u32 v21, v89
	s_or_b32 exec_lo, exec_lo, s17
	s_mov_b32 s17, exec_lo
	v_cmpx_gt_u32_e64 s16, v58
	s_cbranch_execz .LBB1016_362
.LBB1016_378:                           ;   in Loop: Header=BB1016_326 Depth=2
	v_xor_b32_e32 v21, 0xffff8000, v7
	v_lshrrev_b32_sdwa v21, s61, v21 dst_sel:DWORD dst_unused:UNUSED_PAD src0_sel:DWORD src1_sel:WORD_0
	v_and_b32_e32 v21, s62, v21
	v_lshl_or_b32 v21, v21, 4, v63
	ds_add_u32 v21, v89
	s_or_b32 exec_lo, exec_lo, s17
	s_mov_b32 s17, exec_lo
	v_cmpx_gt_u32_e64 s16, v59
	s_cbranch_execz .LBB1016_363
.LBB1016_379:                           ;   in Loop: Header=BB1016_326 Depth=2
	v_xor_b32_e32 v21, 0xffff8000, v6
	v_lshrrev_b32_sdwa v21, s61, v21 dst_sel:DWORD dst_unused:UNUSED_PAD src0_sel:DWORD src1_sel:WORD_0
	v_and_b32_e32 v21, s62, v21
	v_lshl_or_b32 v21, v21, 4, v63
	ds_add_u32 v21, v89
	s_or_b32 exec_lo, exec_lo, s17
	s_mov_b32 s17, exec_lo
	v_cmpx_gt_u32_e64 s16, v60
	s_cbranch_execz .LBB1016_364
.LBB1016_380:                           ;   in Loop: Header=BB1016_326 Depth=2
	v_xor_b32_e32 v21, 0xffff8000, v5
	v_lshrrev_b32_sdwa v21, s61, v21 dst_sel:DWORD dst_unused:UNUSED_PAD src0_sel:DWORD src1_sel:WORD_0
	v_and_b32_e32 v21, s62, v21
	v_lshl_or_b32 v21, v21, 4, v63
	ds_add_u32 v21, v89
	s_or_b32 exec_lo, exec_lo, s17
	v_cmp_gt_u32_e32 vcc_lo, s16, v61
	s_and_saveexec_b32 s16, vcc_lo
	s_cbranch_execz .LBB1016_325
.LBB1016_381:                           ;   in Loop: Header=BB1016_326 Depth=2
	v_xor_b32_e32 v21, 0xffff8000, v3
	v_lshrrev_b32_sdwa v21, s61, v21 dst_sel:DWORD dst_unused:UNUSED_PAD src0_sel:DWORD src1_sel:WORD_0
	v_and_b32_e32 v21, s62, v21
	v_lshl_or_b32 v21, v21, 4, v63
	ds_add_u32 v21, v89
	s_branch .LBB1016_325
.LBB1016_382:                           ;   in Loop: Header=BB1016_326 Depth=2
	global_load_ushort v20, v109, s[16:17]
	s_or_b32 exec_lo, exec_lo, s18
	s_mov_b32 s18, exec_lo
	v_cmpx_gt_u32_e64 s5, v44
	s_cbranch_execz .LBB1016_331
.LBB1016_383:                           ;   in Loop: Header=BB1016_326 Depth=2
	global_load_ushort v19, v109, s[16:17] offset:512
	s_or_b32 exec_lo, exec_lo, s18
	s_mov_b32 s18, exec_lo
	v_cmpx_gt_u32_e64 s5, v47
	s_cbranch_execz .LBB1016_332
.LBB1016_384:                           ;   in Loop: Header=BB1016_326 Depth=2
	global_load_ushort v18, v109, s[16:17] offset:1024
	s_or_b32 exec_lo, exec_lo, s18
	s_mov_b32 s18, exec_lo
	v_cmpx_gt_u32_e64 s5, v48
	s_cbranch_execz .LBB1016_333
.LBB1016_385:                           ;   in Loop: Header=BB1016_326 Depth=2
	global_load_ushort v17, v109, s[16:17] offset:1536
	s_or_b32 exec_lo, exec_lo, s18
	s_mov_b32 s18, exec_lo
	v_cmpx_gt_u32_e64 s5, v49
	s_cbranch_execz .LBB1016_334
.LBB1016_386:                           ;   in Loop: Header=BB1016_326 Depth=2
	global_load_ushort v16, v110, s[16:17]
	s_or_b32 exec_lo, exec_lo, s18
	s_mov_b32 s18, exec_lo
	v_cmpx_gt_u32_e64 s5, v50
	s_cbranch_execz .LBB1016_335
.LBB1016_387:                           ;   in Loop: Header=BB1016_326 Depth=2
	global_load_ushort v15, v111, s[16:17]
	s_or_b32 exec_lo, exec_lo, s18
	s_mov_b32 s18, exec_lo
	v_cmpx_gt_u32_e64 s5, v51
	s_cbranch_execz .LBB1016_336
.LBB1016_388:                           ;   in Loop: Header=BB1016_326 Depth=2
	global_load_ushort v14, v112, s[16:17]
	s_or_b32 exec_lo, exec_lo, s18
	s_mov_b32 s18, exec_lo
	v_cmpx_gt_u32_e64 s5, v52
	s_cbranch_execz .LBB1016_337
.LBB1016_389:                           ;   in Loop: Header=BB1016_326 Depth=2
	global_load_ushort v13, v113, s[16:17]
	s_or_b32 exec_lo, exec_lo, s18
	s_mov_b32 s18, exec_lo
	v_cmpx_gt_u32_e64 s5, v53
	s_cbranch_execz .LBB1016_338
.LBB1016_390:                           ;   in Loop: Header=BB1016_326 Depth=2
	global_load_ushort v12, v114, s[16:17]
	s_or_b32 exec_lo, exec_lo, s18
	s_mov_b32 s18, exec_lo
	v_cmpx_gt_u32_e64 s5, v54
	s_cbranch_execz .LBB1016_339
.LBB1016_391:                           ;   in Loop: Header=BB1016_326 Depth=2
	global_load_ushort v11, v115, s[16:17]
	s_or_b32 exec_lo, exec_lo, s18
	s_mov_b32 s18, exec_lo
	v_cmpx_gt_u32_e64 s5, v55
	s_cbranch_execz .LBB1016_340
.LBB1016_392:                           ;   in Loop: Header=BB1016_326 Depth=2
	global_load_ushort v10, v116, s[16:17]
	s_or_b32 exec_lo, exec_lo, s18
	s_mov_b32 s18, exec_lo
	v_cmpx_gt_u32_e64 s5, v56
	s_cbranch_execz .LBB1016_341
.LBB1016_393:                           ;   in Loop: Header=BB1016_326 Depth=2
	global_load_ushort v9, v117, s[16:17]
	s_or_b32 exec_lo, exec_lo, s18
	s_mov_b32 s18, exec_lo
	v_cmpx_gt_u32_e64 s5, v57
	s_cbranch_execz .LBB1016_342
.LBB1016_394:                           ;   in Loop: Header=BB1016_326 Depth=2
	global_load_ushort v8, v118, s[16:17]
	s_or_b32 exec_lo, exec_lo, s18
	s_mov_b32 s18, exec_lo
	v_cmpx_gt_u32_e64 s5, v58
	s_cbranch_execz .LBB1016_343
.LBB1016_395:                           ;   in Loop: Header=BB1016_326 Depth=2
	global_load_ushort v7, v119, s[16:17]
	s_or_b32 exec_lo, exec_lo, s18
	s_mov_b32 s18, exec_lo
	v_cmpx_gt_u32_e64 s5, v59
	s_cbranch_execz .LBB1016_344
.LBB1016_396:                           ;   in Loop: Header=BB1016_326 Depth=2
	global_load_ushort v6, v120, s[16:17]
	s_or_b32 exec_lo, exec_lo, s18
	s_mov_b32 s18, exec_lo
	v_cmpx_gt_u32_e64 s5, v60
	s_cbranch_execz .LBB1016_345
.LBB1016_397:                           ;   in Loop: Header=BB1016_326 Depth=2
	global_load_ushort v5, v121, s[16:17]
	s_or_b32 exec_lo, exec_lo, s18
	s_mov_b32 s18, exec_lo
	v_cmpx_gt_u32_e64 s5, v61
	s_cbranch_execnz .LBB1016_346
	s_branch .LBB1016_347
.LBB1016_398:                           ;   in Loop: Header=BB1016_12 Depth=1
	v_mov_b32_e32 v3, 0
	s_waitcnt lgkmcnt(0)
	s_barrier
	buffer_gl0_inv
	s_and_saveexec_b32 s5, s7
	s_cbranch_execz .LBB1016_400
; %bb.399:                              ;   in Loop: Header=BB1016_12 Depth=1
	ds_read2_b64 v[5:8], v64 offset1:1
	s_waitcnt lgkmcnt(0)
	v_add_nc_u32_e32 v3, v6, v5
	v_add3_u32 v3, v3, v7, v8
.LBB1016_400:                           ;   in Loop: Header=BB1016_12 Depth=1
	s_or_b32 exec_lo, exec_lo, s5
	v_mov_b32_dpp v5, v3 row_shr:1 row_mask:0xf bank_mask:0xf
	v_cmp_eq_u32_e64 s5, 0, v90
	v_cmp_lt_u32_e64 s15, 1, v90
	v_cmp_lt_u32_e64 s16, 3, v90
	;; [unrolled: 1-line block ×3, first 2 shown]
	v_cmp_eq_u32_e64 s18, 0, v92
	v_cndmask_b32_e64 v5, v5, 0, s5
	v_add_nc_u32_e32 v3, v5, v3
	v_mov_b32_dpp v5, v3 row_shr:2 row_mask:0xf bank_mask:0xf
	v_cndmask_b32_e64 v5, 0, v5, s15
	v_add_nc_u32_e32 v3, v3, v5
	v_mov_b32_dpp v5, v3 row_shr:4 row_mask:0xf bank_mask:0xf
	;; [unrolled: 3-line block ×3, first 2 shown]
	v_cndmask_b32_e64 v5, 0, v5, s17
	v_add_nc_u32_e32 v3, v3, v5
	ds_swizzle_b32 v5, v3 offset:swizzle(BROADCAST,32,15)
	s_waitcnt lgkmcnt(0)
	v_and_b32_e32 v5, v91, v5
	v_add_nc_u32_e32 v3, v3, v5
	s_and_saveexec_b32 s19, s8
; %bb.401:                              ;   in Loop: Header=BB1016_12 Depth=1
	ds_write_b32 v65, v3
; %bb.402:                              ;   in Loop: Header=BB1016_12 Depth=1
	s_or_b32 exec_lo, exec_lo, s19
	s_waitcnt lgkmcnt(0)
	s_barrier
	buffer_gl0_inv
	s_and_saveexec_b32 s19, s9
	s_cbranch_execz .LBB1016_404
; %bb.403:                              ;   in Loop: Header=BB1016_12 Depth=1
	ds_read_b32 v5, v66
	v_cmp_ne_u32_e32 vcc_lo, 0, v93
	s_waitcnt lgkmcnt(0)
	v_mov_b32_dpp v6, v5 row_shr:1 row_mask:0xf bank_mask:0xf
	v_cndmask_b32_e32 v6, 0, v6, vcc_lo
	v_cmp_lt_u32_e32 vcc_lo, 1, v93
	v_add_nc_u32_e32 v5, v6, v5
	v_mov_b32_dpp v6, v5 row_shr:2 row_mask:0xf bank_mask:0xf
	v_cndmask_b32_e32 v6, 0, v6, vcc_lo
	v_add_nc_u32_e32 v5, v5, v6
	ds_write_b32 v66, v5
.LBB1016_404:                           ;   in Loop: Header=BB1016_12 Depth=1
	s_or_b32 exec_lo, exec_lo, s19
	v_mov_b32_e32 v5, 0
	s_waitcnt lgkmcnt(0)
	s_barrier
	buffer_gl0_inv
	s_and_saveexec_b32 s19, s10
; %bb.405:                              ;   in Loop: Header=BB1016_12 Depth=1
	ds_read_b32 v5, v67
; %bb.406:                              ;   in Loop: Header=BB1016_12 Depth=1
	s_or_b32 exec_lo, exec_lo, s19
	v_cmp_gt_i32_e32 vcc_lo, 0, v95
	s_waitcnt lgkmcnt(0)
	v_add_nc_u32_e32 v3, v5, v3
	s_barrier
	buffer_gl0_inv
	v_cndmask_b32_e32 v6, v95, v86, vcc_lo
	v_lshlrev_b32_e32 v125, 2, v6
	ds_bpermute_b32 v3, v125, v3
	s_and_saveexec_b32 s19, s7
	s_cbranch_execz .LBB1016_408
; %bb.407:                              ;   in Loop: Header=BB1016_12 Depth=1
	s_waitcnt lgkmcnt(0)
	v_cndmask_b32_e64 v3, v3, v5, s14
	v_add_nc_u32_e32 v3, s58, v3
	ds_write_b32 v43, v3
.LBB1016_408:                           ;   in Loop: Header=BB1016_12 Depth=1
	s_or_b32 exec_lo, exec_lo, s19
	s_load_dwordx2 s[20:21], s[56:57], 0x0
	v_add_co_u32 v126, vcc_lo, v78, v97
	v_add_co_ci_u32_e64 v127, null, 0, v79, vcc_lo
	v_add_nc_u32_e32 v128, 0x180, v94
	v_add_nc_u32_e32 v129, 0x1a0, v94
	v_add_nc_u32_e32 v130, 0x1c0, v94
	v_add_nc_u32_e32 v131, 0x1e0, v94
	v_add_nc_u32_e32 v132, 0x200, v94
	s_mov_b32 s63, s60
	s_mov_b32 s50, s58
                                        ; implicit-def: $vgpr7_vgpr8
                                        ; implicit-def: $vgpr9_vgpr10
                                        ; implicit-def: $vgpr11_vgpr12
                                        ; implicit-def: $vgpr13_vgpr14
                                        ; implicit-def: $vgpr15_vgpr16
                                        ; implicit-def: $vgpr19_vgpr20
                                        ; implicit-def: $vgpr23_vgpr24
                                        ; implicit-def: $vgpr27_vgpr28
                                        ; implicit-def: $vgpr17_vgpr18
                                        ; implicit-def: $vgpr21_vgpr22
                                        ; implicit-def: $vgpr25_vgpr26
                                        ; implicit-def: $vgpr29_vgpr30
                                        ; implicit-def: $vgpr31_vgpr32
                                        ; implicit-def: $vgpr33_vgpr34
                                        ; implicit-def: $vgpr35_vgpr36
                                        ; implicit-def: $vgpr37_vgpr38
                                        ; implicit-def: $vgpr136
                                        ; implicit-def: $vgpr137
                                        ; implicit-def: $vgpr138
                                        ; implicit-def: $vgpr139
                                        ; implicit-def: $vgpr140
                                        ; implicit-def: $vgpr141
                                        ; implicit-def: $vgpr142
                                        ; implicit-def: $vgpr143
                                        ; implicit-def: $vgpr144
                                        ; implicit-def: $vgpr145
                                        ; implicit-def: $vgpr146
                                        ; implicit-def: $vgpr147
                                        ; implicit-def: $vgpr148
                                        ; implicit-def: $vgpr149
                                        ; implicit-def: $vgpr150
                                        ; implicit-def: $vgpr152
                                        ; implicit-def: $vgpr153
                                        ; implicit-def: $vgpr151
                                        ; implicit-def: $vgpr154
	s_waitcnt lgkmcnt(0)
	s_cmp_lt_u32 s28, s21
	s_cselect_b32 s19, 14, 20
	s_add_u32 s22, s56, s19
	s_addc_u32 s23, s57, 0
	s_cmp_lt_u32 s6, s20
	global_load_ushort v3, v4, s[22:23]
	s_cselect_b32 s19, 12, 18
	s_add_u32 s20, s56, s19
	s_addc_u32 s21, s57, 0
	v_cmp_eq_u32_e64 s19, 0, v96
	global_load_ushort v5, v4, s[20:21]
	v_cmp_lt_u32_e64 s20, 1, v96
	v_cmp_lt_u32_e64 s21, 3, v96
	s_waitcnt vmcnt(1)
	v_mad_u32_u24 v3, v2, v3, v1
	s_waitcnt vmcnt(0)
	v_mad_u64_u32 v[5:6], null, v3, v5, v[0:1]
	v_lshlrev_b32_e32 v3, 1, v86
	v_add_co_u32 v133, vcc_lo, v80, v3
	v_lshrrev_b32_e32 v5, 3, v5
	v_add_co_ci_u32_e64 v134, null, 0, v81, vcc_lo
	v_and_b32_e32 v135, 0x1ffffffc, v5
                                        ; implicit-def: $vgpr5_vgpr6
	s_branch .LBB1016_410
.LBB1016_409:                           ;   in Loop: Header=BB1016_410 Depth=2
	s_or_b32 exec_lo, exec_lo, s22
	s_addk_i32 s63, 0xef00
	s_cmp_lt_u32 s64, s59
	s_mov_b32 s50, s64
	s_cbranch_scc0 .LBB1016_632
.LBB1016_410:                           ;   Parent Loop BB1016_12 Depth=1
                                        ; =>  This Inner Loop Header: Depth=2
	s_add_i32 s64, s50, 0x1100
	s_cmp_gt_u32 s64, s59
	s_cbranch_scc1 .LBB1016_412
; %bb.411:                              ;   in Loop: Header=BB1016_410 Depth=2
	s_lshl_b64 s[22:23], s[50:51], 1
	v_add_co_u32 v39, vcc_lo, v133, s22
	v_add_co_ci_u32_e64 v40, null, s23, v134, vcc_lo
	s_mov_b32 s22, -1
	s_clause 0xf
	global_load_ushort v156, v[39:40], off
	global_load_ushort v157, v[39:40], off offset:64
	global_load_ushort v160, v[39:40], off offset:128
	;; [unrolled: 1-line block ×15, first 2 shown]
	s_movk_i32 s23, 0x1100
	s_cbranch_execz .LBB1016_413
	s_branch .LBB1016_446
.LBB1016_412:                           ;   in Loop: Header=BB1016_410 Depth=2
	s_mov_b32 s22, 0
                                        ; implicit-def: $vgpr156
                                        ; implicit-def: $vgpr157
                                        ; implicit-def: $vgpr160
                                        ; implicit-def: $vgpr164
                                        ; implicit-def: $vgpr169
                                        ; implicit-def: $vgpr174
                                        ; implicit-def: $vgpr179
                                        ; implicit-def: $vgpr184
                                        ; implicit-def: $vgpr189
                                        ; implicit-def: $vgpr187
                                        ; implicit-def: $vgpr182
                                        ; implicit-def: $vgpr177
                                        ; implicit-def: $vgpr173
                                        ; implicit-def: $vgpr168
                                        ; implicit-def: $vgpr42
                                        ; implicit-def: $vgpr41
	s_movk_i32 s23, 0x1100
.LBB1016_413:                           ;   in Loop: Header=BB1016_410 Depth=2
	s_lshl_b64 s[22:23], s[50:51], 1
	s_waitcnt vmcnt(14)
	v_mov_b32_e32 v157, 0x7fff
	v_add_co_u32 v39, vcc_lo, v133, s22
	v_add_co_ci_u32_e64 v40, null, s23, v134, vcc_lo
	v_mov_b32_e32 v156, 0x7fff
	s_mov_b32 s22, exec_lo
	v_cmpx_gt_u32_e64 s63, v94
	s_cbranch_execz .LBB1016_415
; %bb.414:                              ;   in Loop: Header=BB1016_410 Depth=2
	global_load_ushort v156, v[39:40], off
.LBB1016_415:                           ;   in Loop: Header=BB1016_410 Depth=2
	s_or_b32 exec_lo, exec_lo, s22
	s_mov_b32 s22, exec_lo
	v_cmpx_gt_u32_e64 s63, v98
	s_cbranch_execz .LBB1016_417
; %bb.416:                              ;   in Loop: Header=BB1016_410 Depth=2
	global_load_ushort v157, v[39:40], off offset:64
.LBB1016_417:                           ;   in Loop: Header=BB1016_410 Depth=2
	s_or_b32 exec_lo, exec_lo, s22
	s_waitcnt vmcnt(12)
	v_mov_b32_e32 v164, 0x7fff
	v_mov_b32_e32 v160, 0x7fff
	s_mov_b32 s22, exec_lo
	v_cmpx_gt_u32_e64 s63, v99
	s_cbranch_execz .LBB1016_419
; %bb.418:                              ;   in Loop: Header=BB1016_410 Depth=2
	global_load_ushort v160, v[39:40], off offset:128
.LBB1016_419:                           ;   in Loop: Header=BB1016_410 Depth=2
	s_or_b32 exec_lo, exec_lo, s22
	s_mov_b32 s22, exec_lo
	v_cmpx_gt_u32_e64 s63, v100
	s_cbranch_execz .LBB1016_421
; %bb.420:                              ;   in Loop: Header=BB1016_410 Depth=2
	global_load_ushort v164, v[39:40], off offset:192
.LBB1016_421:                           ;   in Loop: Header=BB1016_410 Depth=2
	s_or_b32 exec_lo, exec_lo, s22
	s_waitcnt vmcnt(10)
	v_mov_b32_e32 v174, 0x7fff
	v_mov_b32_e32 v169, 0x7fff
	s_mov_b32 s22, exec_lo
	v_cmpx_gt_u32_e64 s63, v101
	s_cbranch_execz .LBB1016_423
; %bb.422:                              ;   in Loop: Header=BB1016_410 Depth=2
	global_load_ushort v169, v[39:40], off offset:256
.LBB1016_423:                           ;   in Loop: Header=BB1016_410 Depth=2
	;; [unrolled: 17-line block ×7, first 2 shown]
	s_or_b32 exec_lo, exec_lo, s22
	s_mov_b32 s22, exec_lo
	v_cmpx_gt_u32_e64 s63, v131
	s_cbranch_execz .LBB1016_445
; %bb.444:                              ;   in Loop: Header=BB1016_410 Depth=2
	global_load_ushort v41, v[39:40], off offset:960
.LBB1016_445:                           ;   in Loop: Header=BB1016_410 Depth=2
	s_or_b32 exec_lo, exec_lo, s22
	v_cmp_gt_u32_e64 s22, s63, v132
	s_sub_i32 s23, s59, s50
.LBB1016_446:                           ;   in Loop: Header=BB1016_410 Depth=2
	v_mov_b32_e32 v3, -1
	v_mov_b32_e32 v155, s63
	s_and_saveexec_b32 s24, s22
	s_cbranch_execz .LBB1016_448
; %bb.447:                              ;   in Loop: Header=BB1016_410 Depth=2
	s_lshl_b64 s[26:27], s[50:51], 1
	v_mov_b32_e32 v155, s23
	v_add_co_u32 v39, vcc_lo, v133, s26
	v_add_co_ci_u32_e64 v40, null, s27, v134, vcc_lo
	global_load_ushort v3, v[39:40], off offset:1024
	s_waitcnt vmcnt(0)
	v_xor_b32_e32 v3, 0xffff8000, v3
.LBB1016_448:                           ;   in Loop: Header=BB1016_410 Depth=2
	s_or_b32 exec_lo, exec_lo, s24
	s_waitcnt vmcnt(15)
	v_xor_b32_e32 v156, 0xffff8000, v156
	ds_write2_b32 v68, v4, v4 offset0:136 offset1:137
	ds_write2_b32 v68, v4, v4 offset0:138 offset1:139
	ds_write_b32 v68, v4 offset:560
	s_waitcnt vmcnt(0) lgkmcnt(0)
	s_barrier
	v_lshrrev_b32_sdwa v39, s61, v156 dst_sel:DWORD dst_unused:UNUSED_PAD src0_sel:DWORD src1_sel:WORD_0
	buffer_gl0_inv
	; wave barrier
	v_and_b32_e32 v40, s62, v39
	v_and_b32_e32 v39, 1, v40
	v_lshlrev_b32_e32 v158, 30, v40
	v_lshlrev_b32_e32 v159, 29, v40
	;; [unrolled: 1-line block ×4, first 2 shown]
	v_add_co_u32 v39, s22, v39, -1
	v_cndmask_b32_e64 v161, 0, 1, s22
	v_not_b32_e32 v166, v158
	v_cmp_gt_i32_e64 s22, 0, v158
	v_not_b32_e32 v158, v159
	v_lshlrev_b32_e32 v165, 26, v40
	v_cmp_ne_u32_e32 vcc_lo, 0, v161
	v_ashrrev_i32_e32 v166, 31, v166
	v_lshlrev_b32_e32 v161, 25, v40
	v_ashrrev_i32_e32 v158, 31, v158
	v_mul_u32_u24_e32 v40, 36, v40
	v_xor_b32_e32 v39, vcc_lo, v39
	v_cmp_gt_i32_e32 vcc_lo, 0, v159
	v_not_b32_e32 v159, v162
	v_xor_b32_e32 v166, s22, v166
	v_cmp_gt_i32_e64 s22, 0, v162
	v_and_b32_e32 v39, exec_lo, v39
	v_not_b32_e32 v162, v163
	v_ashrrev_i32_e32 v159, 31, v159
	v_xor_b32_e32 v158, vcc_lo, v158
	v_cmp_gt_i32_e32 vcc_lo, 0, v163
	v_and_b32_e32 v39, v39, v166
	v_not_b32_e32 v163, v165
	v_ashrrev_i32_e32 v162, 31, v162
	v_xor_b32_e32 v159, s22, v159
	v_cmp_gt_i32_e64 s22, 0, v165
	v_and_b32_e32 v39, v39, v158
	v_not_b32_e32 v158, v161
	v_ashrrev_i32_e32 v163, 31, v163
	v_xor_b32_e32 v162, vcc_lo, v162
	v_cmp_gt_i32_e32 vcc_lo, 0, v161
	v_and_b32_e32 v39, v39, v159
	v_ashrrev_i32_e32 v158, 31, v158
	v_xor_b32_e32 v159, s22, v163
	v_and_b32_e32 v39, v39, v162
	v_xor_b32_e32 v158, vcc_lo, v158
	v_and_b32_e32 v39, v39, v159
	v_add_nc_u32_e32 v159, v135, v40
	v_and_b32_e32 v39, v39, v158
	v_mbcnt_lo_u32_b32 v158, v39, 0
	v_cmp_ne_u32_e64 s22, 0, v39
	v_cmp_eq_u32_e32 vcc_lo, 0, v158
	s_and_b32 s23, s22, vcc_lo
	s_and_saveexec_b32 s22, s23
; %bb.449:                              ;   in Loop: Header=BB1016_410 Depth=2
	v_bcnt_u32_b32 v39, v39, 0
	ds_write_b32 v159, v39 offset:544
; %bb.450:                              ;   in Loop: Header=BB1016_410 Depth=2
	s_or_b32 exec_lo, exec_lo, s22
	v_xor_b32_e32 v157, 0xffff8000, v157
	; wave barrier
	v_lshrrev_b32_sdwa v39, s61, v157 dst_sel:DWORD dst_unused:UNUSED_PAD src0_sel:DWORD src1_sel:WORD_0
	v_and_b32_e32 v40, s62, v39
	v_and_b32_e32 v39, 1, v40
	v_lshlrev_b32_e32 v161, 30, v40
	v_lshlrev_b32_e32 v162, 29, v40
	v_lshlrev_b32_e32 v165, 28, v40
	v_lshlrev_b32_e32 v166, 27, v40
	v_add_co_u32 v39, s22, v39, -1
	v_cndmask_b32_e64 v163, 0, 1, s22
	v_not_b32_e32 v170, v161
	v_cmp_gt_i32_e64 s22, 0, v161
	v_not_b32_e32 v161, v162
	v_lshlrev_b32_e32 v167, 26, v40
	v_cmp_ne_u32_e32 vcc_lo, 0, v163
	v_ashrrev_i32_e32 v170, 31, v170
	v_lshlrev_b32_e32 v163, 25, v40
	v_ashrrev_i32_e32 v161, 31, v161
	v_xor_b32_e32 v39, vcc_lo, v39
	v_cmp_gt_i32_e32 vcc_lo, 0, v162
	v_not_b32_e32 v162, v165
	v_xor_b32_e32 v170, s22, v170
	v_cmp_gt_i32_e64 s22, 0, v165
	v_and_b32_e32 v39, exec_lo, v39
	v_not_b32_e32 v165, v166
	v_ashrrev_i32_e32 v162, 31, v162
	v_xor_b32_e32 v161, vcc_lo, v161
	v_cmp_gt_i32_e32 vcc_lo, 0, v166
	v_and_b32_e32 v39, v39, v170
	v_not_b32_e32 v166, v167
	v_ashrrev_i32_e32 v165, 31, v165
	v_xor_b32_e32 v162, s22, v162
	v_cmp_gt_i32_e64 s22, 0, v167
	v_and_b32_e32 v39, v39, v161
	v_not_b32_e32 v161, v163
	v_ashrrev_i32_e32 v166, 31, v166
	v_xor_b32_e32 v165, vcc_lo, v165
	v_cmp_gt_i32_e32 vcc_lo, 0, v163
	v_and_b32_e32 v39, v39, v162
	v_ashrrev_i32_e32 v161, 31, v161
	v_xor_b32_e32 v162, s22, v166
	v_mad_u32_u24 v163, v40, 36, v135
	v_mul_u32_u24_e32 v40, 36, v40
	v_and_b32_e32 v39, v39, v165
	v_xor_b32_e32 v165, vcc_lo, v161
	ds_read_b32 v161, v163 offset:544
	v_add_nc_u32_e32 v163, v135, v40
	v_and_b32_e32 v39, v39, v162
	; wave barrier
	v_and_b32_e32 v39, v39, v165
	v_mbcnt_lo_u32_b32 v162, v39, 0
	v_cmp_ne_u32_e64 s22, 0, v39
	v_cmp_eq_u32_e32 vcc_lo, 0, v162
	s_and_b32 s23, s22, vcc_lo
	s_and_saveexec_b32 s22, s23
	s_cbranch_execz .LBB1016_452
; %bb.451:                              ;   in Loop: Header=BB1016_410 Depth=2
	s_waitcnt lgkmcnt(0)
	v_bcnt_u32_b32 v39, v39, v161
	ds_write_b32 v163, v39 offset:544
.LBB1016_452:                           ;   in Loop: Header=BB1016_410 Depth=2
	s_or_b32 exec_lo, exec_lo, s22
	v_xor_b32_e32 v160, 0xffff8000, v160
	; wave barrier
	v_lshrrev_b32_sdwa v39, s61, v160 dst_sel:DWORD dst_unused:UNUSED_PAD src0_sel:DWORD src1_sel:WORD_0
	v_and_b32_e32 v40, s62, v39
	v_and_b32_e32 v39, 1, v40
	v_lshlrev_b32_e32 v165, 30, v40
	v_lshlrev_b32_e32 v166, 29, v40
	v_lshlrev_b32_e32 v170, 28, v40
	v_lshlrev_b32_e32 v171, 27, v40
	v_add_co_u32 v39, s22, v39, -1
	v_cndmask_b32_e64 v167, 0, 1, s22
	v_not_b32_e32 v175, v165
	v_cmp_gt_i32_e64 s22, 0, v165
	v_not_b32_e32 v165, v166
	v_lshlrev_b32_e32 v172, 26, v40
	v_cmp_ne_u32_e32 vcc_lo, 0, v167
	v_ashrrev_i32_e32 v175, 31, v175
	v_lshlrev_b32_e32 v167, 25, v40
	v_ashrrev_i32_e32 v165, 31, v165
	v_xor_b32_e32 v39, vcc_lo, v39
	v_cmp_gt_i32_e32 vcc_lo, 0, v166
	v_not_b32_e32 v166, v170
	v_xor_b32_e32 v175, s22, v175
	v_cmp_gt_i32_e64 s22, 0, v170
	v_and_b32_e32 v39, exec_lo, v39
	v_not_b32_e32 v170, v171
	v_ashrrev_i32_e32 v166, 31, v166
	v_xor_b32_e32 v165, vcc_lo, v165
	v_cmp_gt_i32_e32 vcc_lo, 0, v171
	v_and_b32_e32 v39, v39, v175
	v_not_b32_e32 v171, v172
	v_ashrrev_i32_e32 v170, 31, v170
	v_xor_b32_e32 v166, s22, v166
	v_cmp_gt_i32_e64 s22, 0, v172
	v_and_b32_e32 v39, v39, v165
	v_not_b32_e32 v165, v167
	v_ashrrev_i32_e32 v171, 31, v171
	v_xor_b32_e32 v170, vcc_lo, v170
	v_cmp_gt_i32_e32 vcc_lo, 0, v167
	v_and_b32_e32 v39, v39, v166
	v_ashrrev_i32_e32 v165, 31, v165
	v_xor_b32_e32 v166, s22, v171
	v_mad_u32_u24 v167, v40, 36, v135
	v_mul_u32_u24_e32 v40, 36, v40
	v_and_b32_e32 v39, v39, v170
	v_xor_b32_e32 v170, vcc_lo, v165
	ds_read_b32 v165, v167 offset:544
	v_add_nc_u32_e32 v167, v135, v40
	v_and_b32_e32 v39, v39, v166
	; wave barrier
	v_and_b32_e32 v39, v39, v170
	v_mbcnt_lo_u32_b32 v166, v39, 0
	v_cmp_ne_u32_e64 s22, 0, v39
	v_cmp_eq_u32_e32 vcc_lo, 0, v166
	s_and_b32 s23, s22, vcc_lo
	s_and_saveexec_b32 s22, s23
	s_cbranch_execz .LBB1016_454
; %bb.453:                              ;   in Loop: Header=BB1016_410 Depth=2
	s_waitcnt lgkmcnt(0)
	v_bcnt_u32_b32 v39, v39, v165
	ds_write_b32 v167, v39 offset:544
.LBB1016_454:                           ;   in Loop: Header=BB1016_410 Depth=2
	;; [unrolled: 63-line block ×9, first 2 shown]
	s_or_b32 exec_lo, exec_lo, s22
	v_xor_b32_e32 v182, 0xffff8000, v182
	; wave barrier
	v_lshrrev_b32_sdwa v39, s61, v182 dst_sel:DWORD dst_unused:UNUSED_PAD src0_sel:DWORD src1_sel:WORD_0
	v_and_b32_e32 v40, s62, v39
	v_and_b32_e32 v39, 1, v40
	v_lshlrev_b32_e32 v199, 30, v40
	v_lshlrev_b32_e32 v200, 29, v40
	;; [unrolled: 1-line block ×4, first 2 shown]
	v_add_co_u32 v39, s22, v39, -1
	v_cndmask_b32_e64 v201, 0, 1, s22
	v_not_b32_e32 v205, v199
	v_cmp_gt_i32_e64 s22, 0, v199
	v_not_b32_e32 v199, v200
	v_lshlrev_b32_e32 v204, 26, v40
	v_cmp_ne_u32_e32 vcc_lo, 0, v201
	v_ashrrev_i32_e32 v205, 31, v205
	v_lshlrev_b32_e32 v201, 25, v40
	v_ashrrev_i32_e32 v199, 31, v199
	v_xor_b32_e32 v39, vcc_lo, v39
	v_cmp_gt_i32_e32 vcc_lo, 0, v200
	v_not_b32_e32 v200, v202
	v_xor_b32_e32 v205, s22, v205
	v_cmp_gt_i32_e64 s22, 0, v202
	v_and_b32_e32 v39, exec_lo, v39
	v_not_b32_e32 v202, v203
	v_ashrrev_i32_e32 v200, 31, v200
	v_xor_b32_e32 v199, vcc_lo, v199
	v_cmp_gt_i32_e32 vcc_lo, 0, v203
	v_and_b32_e32 v39, v39, v205
	v_not_b32_e32 v203, v204
	v_ashrrev_i32_e32 v202, 31, v202
	v_xor_b32_e32 v200, s22, v200
	v_cmp_gt_i32_e64 s22, 0, v204
	v_and_b32_e32 v39, v39, v199
	v_not_b32_e32 v199, v201
	v_ashrrev_i32_e32 v203, 31, v203
	v_xor_b32_e32 v202, vcc_lo, v202
	v_cmp_gt_i32_e32 vcc_lo, 0, v201
	v_and_b32_e32 v39, v39, v200
	v_ashrrev_i32_e32 v199, 31, v199
	v_xor_b32_e32 v200, s22, v203
	v_mad_u32_u24 v201, v40, 36, v135
	v_mul_u32_u24_e32 v40, 36, v40
	v_and_b32_e32 v39, v39, v202
	v_xor_b32_e32 v199, vcc_lo, v199
	v_add_nc_u32_e32 v202, v135, v40
	v_and_b32_e32 v39, v39, v200
	ds_read_b32 v200, v201 offset:544
	; wave barrier
	v_and_b32_e32 v39, v39, v199
	v_mbcnt_lo_u32_b32 v201, v39, 0
	v_cmp_ne_u32_e64 s22, 0, v39
	v_cmp_eq_u32_e32 vcc_lo, 0, v201
	s_and_b32 s23, s22, vcc_lo
	s_and_saveexec_b32 s22, s23
	s_cbranch_execz .LBB1016_470
; %bb.469:                              ;   in Loop: Header=BB1016_410 Depth=2
	s_waitcnt lgkmcnt(0)
	v_bcnt_u32_b32 v39, v39, v200
	ds_write_b32 v202, v39 offset:544
.LBB1016_470:                           ;   in Loop: Header=BB1016_410 Depth=2
	s_or_b32 exec_lo, exec_lo, s22
	v_xor_b32_e32 v199, 0xffff8000, v177
	; wave barrier
	v_lshrrev_b32_sdwa v39, s61, v199 dst_sel:DWORD dst_unused:UNUSED_PAD src0_sel:DWORD src1_sel:WORD_0
	v_and_b32_e32 v40, s62, v39
	v_and_b32_e32 v39, 1, v40
	v_lshlrev_b32_e32 v177, 30, v40
	v_lshlrev_b32_e32 v203, 29, v40
	v_lshlrev_b32_e32 v205, 28, v40
	v_lshlrev_b32_e32 v206, 27, v40
	v_add_co_u32 v39, s22, v39, -1
	v_cndmask_b32_e64 v204, 0, 1, s22
	v_not_b32_e32 v208, v177
	v_cmp_gt_i32_e64 s22, 0, v177
	v_not_b32_e32 v177, v203
	v_lshlrev_b32_e32 v207, 26, v40
	v_cmp_ne_u32_e32 vcc_lo, 0, v204
	v_ashrrev_i32_e32 v208, 31, v208
	v_lshlrev_b32_e32 v204, 25, v40
	v_ashrrev_i32_e32 v177, 31, v177
	v_xor_b32_e32 v39, vcc_lo, v39
	v_cmp_gt_i32_e32 vcc_lo, 0, v203
	v_not_b32_e32 v203, v205
	v_xor_b32_e32 v208, s22, v208
	v_cmp_gt_i32_e64 s22, 0, v205
	v_and_b32_e32 v39, exec_lo, v39
	v_not_b32_e32 v205, v206
	v_ashrrev_i32_e32 v203, 31, v203
	v_xor_b32_e32 v177, vcc_lo, v177
	v_cmp_gt_i32_e32 vcc_lo, 0, v206
	v_and_b32_e32 v39, v39, v208
	v_not_b32_e32 v206, v207
	v_ashrrev_i32_e32 v205, 31, v205
	v_xor_b32_e32 v203, s22, v203
	v_cmp_gt_i32_e64 s22, 0, v207
	v_and_b32_e32 v39, v39, v177
	v_not_b32_e32 v177, v204
	v_ashrrev_i32_e32 v206, 31, v206
	v_xor_b32_e32 v205, vcc_lo, v205
	v_cmp_gt_i32_e32 vcc_lo, 0, v204
	v_and_b32_e32 v39, v39, v203
	v_ashrrev_i32_e32 v177, 31, v177
	v_xor_b32_e32 v203, s22, v206
	v_mad_u32_u24 v204, v40, 36, v135
	v_mul_u32_u24_e32 v40, 36, v40
	v_and_b32_e32 v39, v39, v205
	v_xor_b32_e32 v177, vcc_lo, v177
	ds_read_b32 v204, v204 offset:544
	v_and_b32_e32 v39, v39, v203
	; wave barrier
	v_and_b32_e32 v39, v39, v177
	v_add_nc_u32_e32 v177, v135, v40
	v_mbcnt_lo_u32_b32 v205, v39, 0
	v_cmp_ne_u32_e64 s22, 0, v39
	v_cmp_eq_u32_e32 vcc_lo, 0, v205
	s_and_b32 s23, s22, vcc_lo
	s_and_saveexec_b32 s22, s23
	s_cbranch_execz .LBB1016_472
; %bb.471:                              ;   in Loop: Header=BB1016_410 Depth=2
	s_waitcnt lgkmcnt(0)
	v_bcnt_u32_b32 v39, v39, v204
	ds_write_b32 v177, v39 offset:544
.LBB1016_472:                           ;   in Loop: Header=BB1016_410 Depth=2
	s_or_b32 exec_lo, exec_lo, s22
	v_xor_b32_e32 v203, 0xffff8000, v173
	; wave barrier
	v_lshrrev_b32_sdwa v39, s61, v203 dst_sel:DWORD dst_unused:UNUSED_PAD src0_sel:DWORD src1_sel:WORD_0
	v_and_b32_e32 v40, s62, v39
	v_and_b32_e32 v39, 1, v40
	v_lshlrev_b32_e32 v173, 30, v40
	v_lshlrev_b32_e32 v206, 29, v40
	v_lshlrev_b32_e32 v208, 28, v40
	v_lshlrev_b32_e32 v209, 27, v40
	v_add_co_u32 v39, s22, v39, -1
	v_cndmask_b32_e64 v207, 0, 1, s22
	v_not_b32_e32 v211, v173
	v_cmp_gt_i32_e64 s22, 0, v173
	v_not_b32_e32 v173, v206
	v_lshlrev_b32_e32 v210, 26, v40
	v_cmp_ne_u32_e32 vcc_lo, 0, v207
	v_ashrrev_i32_e32 v211, 31, v211
	v_lshlrev_b32_e32 v207, 25, v40
	v_ashrrev_i32_e32 v173, 31, v173
	v_xor_b32_e32 v39, vcc_lo, v39
	v_cmp_gt_i32_e32 vcc_lo, 0, v206
	v_not_b32_e32 v206, v208
	v_xor_b32_e32 v211, s22, v211
	v_cmp_gt_i32_e64 s22, 0, v208
	v_and_b32_e32 v39, exec_lo, v39
	v_not_b32_e32 v208, v209
	v_ashrrev_i32_e32 v206, 31, v206
	v_xor_b32_e32 v173, vcc_lo, v173
	v_cmp_gt_i32_e32 vcc_lo, 0, v209
	v_and_b32_e32 v39, v39, v211
	v_not_b32_e32 v209, v210
	v_ashrrev_i32_e32 v208, 31, v208
	v_xor_b32_e32 v206, s22, v206
	v_cmp_gt_i32_e64 s22, 0, v210
	v_and_b32_e32 v39, v39, v173
	v_not_b32_e32 v173, v207
	v_ashrrev_i32_e32 v209, 31, v209
	v_xor_b32_e32 v208, vcc_lo, v208
	v_cmp_gt_i32_e32 vcc_lo, 0, v207
	v_and_b32_e32 v39, v39, v206
	v_ashrrev_i32_e32 v173, 31, v173
	v_xor_b32_e32 v206, s22, v209
	v_mad_u32_u24 v207, v40, 36, v135
	v_mul_u32_u24_e32 v40, 36, v40
	v_and_b32_e32 v39, v39, v208
	v_xor_b32_e32 v173, vcc_lo, v173
	ds_read_b32 v207, v207 offset:544
	v_and_b32_e32 v39, v39, v206
	; wave barrier
	v_and_b32_e32 v39, v39, v173
	v_add_nc_u32_e32 v173, v135, v40
	v_mbcnt_lo_u32_b32 v208, v39, 0
	v_cmp_ne_u32_e64 s22, 0, v39
	v_cmp_eq_u32_e32 vcc_lo, 0, v208
	s_and_b32 s23, s22, vcc_lo
	s_and_saveexec_b32 s22, s23
	s_cbranch_execz .LBB1016_474
; %bb.473:                              ;   in Loop: Header=BB1016_410 Depth=2
	s_waitcnt lgkmcnt(0)
	v_bcnt_u32_b32 v39, v39, v207
	ds_write_b32 v173, v39 offset:544
.LBB1016_474:                           ;   in Loop: Header=BB1016_410 Depth=2
	s_or_b32 exec_lo, exec_lo, s22
	v_xor_b32_e32 v206, 0xffff8000, v168
	; wave barrier
	v_lshrrev_b32_sdwa v39, s61, v206 dst_sel:DWORD dst_unused:UNUSED_PAD src0_sel:DWORD src1_sel:WORD_0
	v_and_b32_e32 v40, s62, v39
	v_and_b32_e32 v39, 1, v40
	v_lshlrev_b32_e32 v168, 30, v40
	v_lshlrev_b32_e32 v209, 29, v40
	v_lshlrev_b32_e32 v211, 28, v40
	v_lshlrev_b32_e32 v212, 27, v40
	v_add_co_u32 v39, s22, v39, -1
	v_cndmask_b32_e64 v210, 0, 1, s22
	v_not_b32_e32 v214, v168
	v_cmp_gt_i32_e64 s22, 0, v168
	v_not_b32_e32 v168, v209
	v_lshlrev_b32_e32 v213, 26, v40
	v_cmp_ne_u32_e32 vcc_lo, 0, v210
	v_ashrrev_i32_e32 v214, 31, v214
	v_lshlrev_b32_e32 v210, 25, v40
	v_ashrrev_i32_e32 v168, 31, v168
	v_xor_b32_e32 v39, vcc_lo, v39
	v_cmp_gt_i32_e32 vcc_lo, 0, v209
	v_not_b32_e32 v209, v211
	v_xor_b32_e32 v214, s22, v214
	v_cmp_gt_i32_e64 s22, 0, v211
	v_and_b32_e32 v39, exec_lo, v39
	v_not_b32_e32 v211, v212
	v_ashrrev_i32_e32 v209, 31, v209
	v_xor_b32_e32 v168, vcc_lo, v168
	v_cmp_gt_i32_e32 vcc_lo, 0, v212
	v_and_b32_e32 v39, v39, v214
	v_not_b32_e32 v212, v213
	v_ashrrev_i32_e32 v211, 31, v211
	v_xor_b32_e32 v209, s22, v209
	v_cmp_gt_i32_e64 s22, 0, v213
	v_and_b32_e32 v39, v39, v168
	v_not_b32_e32 v168, v210
	v_ashrrev_i32_e32 v212, 31, v212
	v_xor_b32_e32 v211, vcc_lo, v211
	v_cmp_gt_i32_e32 vcc_lo, 0, v210
	v_and_b32_e32 v39, v39, v209
	v_ashrrev_i32_e32 v168, 31, v168
	v_xor_b32_e32 v209, s22, v212
	v_mad_u32_u24 v210, v40, 36, v135
	v_mul_u32_u24_e32 v40, 36, v40
	v_and_b32_e32 v39, v39, v211
	v_xor_b32_e32 v168, vcc_lo, v168
	ds_read_b32 v210, v210 offset:544
	v_and_b32_e32 v39, v39, v209
	; wave barrier
	v_and_b32_e32 v39, v39, v168
	v_add_nc_u32_e32 v168, v135, v40
	v_mbcnt_lo_u32_b32 v211, v39, 0
	v_cmp_ne_u32_e64 s22, 0, v39
	v_cmp_eq_u32_e32 vcc_lo, 0, v211
	s_and_b32 s23, s22, vcc_lo
	s_and_saveexec_b32 s22, s23
	s_cbranch_execz .LBB1016_476
; %bb.475:                              ;   in Loop: Header=BB1016_410 Depth=2
	s_waitcnt lgkmcnt(0)
	v_bcnt_u32_b32 v39, v39, v210
	ds_write_b32 v168, v39 offset:544
.LBB1016_476:                           ;   in Loop: Header=BB1016_410 Depth=2
	s_or_b32 exec_lo, exec_lo, s22
	v_xor_b32_e32 v209, 0xffff8000, v42
	; wave barrier
	v_lshrrev_b32_sdwa v39, s61, v209 dst_sel:DWORD dst_unused:UNUSED_PAD src0_sel:DWORD src1_sel:WORD_0
	v_and_b32_e32 v40, s62, v39
	v_and_b32_e32 v39, 1, v40
	v_lshlrev_b32_e32 v42, 30, v40
	v_lshlrev_b32_e32 v212, 29, v40
	;; [unrolled: 1-line block ×4, first 2 shown]
	v_add_co_u32 v39, s22, v39, -1
	v_cndmask_b32_e64 v213, 0, 1, s22
	v_not_b32_e32 v217, v42
	v_cmp_gt_i32_e64 s22, 0, v42
	v_not_b32_e32 v42, v212
	v_lshlrev_b32_e32 v216, 26, v40
	v_cmp_ne_u32_e32 vcc_lo, 0, v213
	v_ashrrev_i32_e32 v217, 31, v217
	v_lshlrev_b32_e32 v213, 25, v40
	v_ashrrev_i32_e32 v42, 31, v42
	v_xor_b32_e32 v39, vcc_lo, v39
	v_cmp_gt_i32_e32 vcc_lo, 0, v212
	v_not_b32_e32 v212, v214
	v_xor_b32_e32 v217, s22, v217
	v_cmp_gt_i32_e64 s22, 0, v214
	v_and_b32_e32 v39, exec_lo, v39
	v_not_b32_e32 v214, v215
	v_ashrrev_i32_e32 v212, 31, v212
	v_xor_b32_e32 v42, vcc_lo, v42
	v_cmp_gt_i32_e32 vcc_lo, 0, v215
	v_and_b32_e32 v39, v39, v217
	v_not_b32_e32 v215, v216
	v_ashrrev_i32_e32 v214, 31, v214
	v_xor_b32_e32 v212, s22, v212
	v_cmp_gt_i32_e64 s22, 0, v216
	v_and_b32_e32 v39, v39, v42
	v_not_b32_e32 v42, v213
	v_ashrrev_i32_e32 v215, 31, v215
	v_xor_b32_e32 v214, vcc_lo, v214
	v_cmp_gt_i32_e32 vcc_lo, 0, v213
	v_and_b32_e32 v39, v39, v212
	v_ashrrev_i32_e32 v42, 31, v42
	v_xor_b32_e32 v212, s22, v215
	v_mad_u32_u24 v213, v40, 36, v135
	v_mul_u32_u24_e32 v40, 36, v40
	v_and_b32_e32 v39, v39, v214
	v_xor_b32_e32 v42, vcc_lo, v42
	ds_read_b32 v213, v213 offset:544
	v_add_nc_u32_e32 v215, v135, v40
	v_and_b32_e32 v39, v39, v212
	; wave barrier
	v_and_b32_e32 v39, v39, v42
	v_mbcnt_lo_u32_b32 v214, v39, 0
	v_cmp_ne_u32_e64 s22, 0, v39
	v_cmp_eq_u32_e32 vcc_lo, 0, v214
	s_and_b32 s23, s22, vcc_lo
	s_and_saveexec_b32 s22, s23
	s_cbranch_execz .LBB1016_478
; %bb.477:                              ;   in Loop: Header=BB1016_410 Depth=2
	s_waitcnt lgkmcnt(0)
	v_bcnt_u32_b32 v39, v39, v213
	ds_write_b32 v215, v39 offset:544
.LBB1016_478:                           ;   in Loop: Header=BB1016_410 Depth=2
	s_or_b32 exec_lo, exec_lo, s22
	v_xor_b32_e32 v212, 0xffff8000, v41
	; wave barrier
	v_lshrrev_b32_sdwa v39, s61, v212 dst_sel:DWORD dst_unused:UNUSED_PAD src0_sel:DWORD src1_sel:WORD_0
	v_and_b32_e32 v40, s62, v39
	v_and_b32_e32 v39, 1, v40
	v_lshlrev_b32_e32 v41, 30, v40
	v_lshlrev_b32_e32 v42, 29, v40
	;; [unrolled: 1-line block ×4, first 2 shown]
	v_add_co_u32 v39, s22, v39, -1
	v_cndmask_b32_e64 v216, 0, 1, s22
	v_not_b32_e32 v220, v41
	v_cmp_gt_i32_e64 s22, 0, v41
	v_not_b32_e32 v41, v42
	v_lshlrev_b32_e32 v219, 26, v40
	v_cmp_ne_u32_e32 vcc_lo, 0, v216
	v_ashrrev_i32_e32 v220, 31, v220
	v_lshlrev_b32_e32 v216, 25, v40
	v_ashrrev_i32_e32 v41, 31, v41
	v_xor_b32_e32 v39, vcc_lo, v39
	v_cmp_gt_i32_e32 vcc_lo, 0, v42
	v_not_b32_e32 v42, v217
	v_xor_b32_e32 v220, s22, v220
	v_cmp_gt_i32_e64 s22, 0, v217
	v_and_b32_e32 v39, exec_lo, v39
	v_not_b32_e32 v217, v218
	v_ashrrev_i32_e32 v42, 31, v42
	v_xor_b32_e32 v41, vcc_lo, v41
	v_cmp_gt_i32_e32 vcc_lo, 0, v218
	v_and_b32_e32 v39, v39, v220
	v_not_b32_e32 v218, v219
	v_ashrrev_i32_e32 v217, 31, v217
	v_xor_b32_e32 v42, s22, v42
	v_cmp_gt_i32_e64 s22, 0, v219
	v_and_b32_e32 v39, v39, v41
	v_not_b32_e32 v41, v216
	v_ashrrev_i32_e32 v218, 31, v218
	v_xor_b32_e32 v217, vcc_lo, v217
	v_cmp_gt_i32_e32 vcc_lo, 0, v216
	v_and_b32_e32 v39, v39, v42
	v_ashrrev_i32_e32 v41, 31, v41
	v_xor_b32_e32 v42, s22, v218
	v_mad_u32_u24 v216, v40, 36, v135
	v_mul_u32_u24_e32 v40, 36, v40
	v_and_b32_e32 v39, v39, v217
	v_xor_b32_e32 v41, vcc_lo, v41
	ds_read_b32 v216, v216 offset:544
	v_add_nc_u32_e32 v218, v135, v40
	v_and_b32_e32 v39, v39, v42
	; wave barrier
	v_and_b32_e32 v39, v39, v41
	v_mbcnt_lo_u32_b32 v217, v39, 0
	v_cmp_ne_u32_e64 s22, 0, v39
	v_cmp_eq_u32_e32 vcc_lo, 0, v217
	s_and_b32 s23, s22, vcc_lo
	s_and_saveexec_b32 s22, s23
	s_cbranch_execz .LBB1016_480
; %bb.479:                              ;   in Loop: Header=BB1016_410 Depth=2
	s_waitcnt lgkmcnt(0)
	v_bcnt_u32_b32 v39, v39, v216
	ds_write_b32 v218, v39 offset:544
.LBB1016_480:                           ;   in Loop: Header=BB1016_410 Depth=2
	s_or_b32 exec_lo, exec_lo, s22
	v_lshrrev_b32_sdwa v39, s61, v3 dst_sel:DWORD dst_unused:UNUSED_PAD src0_sel:DWORD src1_sel:WORD_0
	; wave barrier
	v_and_b32_e32 v40, s62, v39
	v_and_b32_e32 v39, 1, v40
	v_lshlrev_b32_e32 v41, 30, v40
	v_lshlrev_b32_e32 v42, 29, v40
	;; [unrolled: 1-line block ×4, first 2 shown]
	v_add_co_u32 v39, s22, v39, -1
	v_cndmask_b32_e64 v219, 0, 1, s22
	v_not_b32_e32 v223, v41
	v_cmp_gt_i32_e64 s22, 0, v41
	v_not_b32_e32 v41, v42
	v_lshlrev_b32_e32 v222, 26, v40
	v_cmp_ne_u32_e32 vcc_lo, 0, v219
	v_ashrrev_i32_e32 v223, 31, v223
	v_lshlrev_b32_e32 v219, 25, v40
	v_ashrrev_i32_e32 v41, 31, v41
	v_xor_b32_e32 v39, vcc_lo, v39
	v_cmp_gt_i32_e32 vcc_lo, 0, v42
	v_not_b32_e32 v42, v220
	v_xor_b32_e32 v223, s22, v223
	v_cmp_gt_i32_e64 s22, 0, v220
	v_and_b32_e32 v39, exec_lo, v39
	v_not_b32_e32 v220, v221
	v_ashrrev_i32_e32 v42, 31, v42
	v_xor_b32_e32 v41, vcc_lo, v41
	v_cmp_gt_i32_e32 vcc_lo, 0, v221
	v_and_b32_e32 v39, v39, v223
	v_not_b32_e32 v221, v222
	v_ashrrev_i32_e32 v220, 31, v220
	v_xor_b32_e32 v42, s22, v42
	v_cmp_gt_i32_e64 s22, 0, v222
	v_and_b32_e32 v39, v39, v41
	v_not_b32_e32 v41, v219
	v_ashrrev_i32_e32 v221, 31, v221
	v_xor_b32_e32 v220, vcc_lo, v220
	v_cmp_gt_i32_e32 vcc_lo, 0, v219
	v_and_b32_e32 v39, v39, v42
	v_ashrrev_i32_e32 v41, 31, v41
	v_xor_b32_e32 v42, s22, v221
	v_mad_u32_u24 v219, v40, 36, v135
	v_mul_u32_u24_e32 v40, 36, v40
	v_and_b32_e32 v39, v39, v220
	v_xor_b32_e32 v41, vcc_lo, v41
	ds_read_b32 v219, v219 offset:544
	v_add_nc_u32_e32 v221, v135, v40
	v_and_b32_e32 v39, v39, v42
	; wave barrier
	v_and_b32_e32 v39, v39, v41
	v_mbcnt_lo_u32_b32 v220, v39, 0
	v_cmp_ne_u32_e64 s22, 0, v39
	v_cmp_eq_u32_e32 vcc_lo, 0, v220
	s_and_b32 s23, s22, vcc_lo
	s_and_saveexec_b32 s22, s23
	s_cbranch_execz .LBB1016_482
; %bb.481:                              ;   in Loop: Header=BB1016_410 Depth=2
	s_waitcnt lgkmcnt(0)
	v_bcnt_u32_b32 v39, v39, v219
	ds_write_b32 v221, v39 offset:544
.LBB1016_482:                           ;   in Loop: Header=BB1016_410 Depth=2
	s_or_b32 exec_lo, exec_lo, s22
	; wave barrier
	s_waitcnt lgkmcnt(0)
	s_barrier
	buffer_gl0_inv
	ds_read2_b32 v[41:42], v68 offset0:136 offset1:137
	ds_read2_b32 v[39:40], v68 offset0:138 offset1:139
	ds_read_b32 v222, v68 offset:560
	s_waitcnt lgkmcnt(1)
	v_add3_u32 v223, v42, v41, v39
	s_waitcnt lgkmcnt(0)
	v_add3_u32 v222, v223, v40, v222
	v_mov_b32_dpp v223, v222 row_shr:1 row_mask:0xf bank_mask:0xf
	v_cndmask_b32_e64 v223, v223, 0, s5
	v_add_nc_u32_e32 v222, v223, v222
	v_mov_b32_dpp v223, v222 row_shr:2 row_mask:0xf bank_mask:0xf
	v_cndmask_b32_e64 v223, 0, v223, s15
	v_add_nc_u32_e32 v222, v222, v223
	;; [unrolled: 3-line block ×4, first 2 shown]
	ds_swizzle_b32 v223, v222 offset:swizzle(BROADCAST,32,15)
	s_waitcnt lgkmcnt(0)
	v_cndmask_b32_e64 v223, v223, 0, s18
	v_add_nc_u32_e32 v222, v222, v223
	s_and_saveexec_b32 s22, s4
; %bb.483:                              ;   in Loop: Header=BB1016_410 Depth=2
	ds_write_b32 v62, v222 offset:512
; %bb.484:                              ;   in Loop: Header=BB1016_410 Depth=2
	s_or_b32 exec_lo, exec_lo, s22
	s_waitcnt lgkmcnt(0)
	s_barrier
	buffer_gl0_inv
	s_and_saveexec_b32 s22, s11
	s_cbranch_execz .LBB1016_486
; %bb.485:                              ;   in Loop: Header=BB1016_410 Depth=2
	ds_read_b32 v223, v69 offset:512
	s_waitcnt lgkmcnt(0)
	v_mov_b32_dpp v224, v223 row_shr:1 row_mask:0xf bank_mask:0xf
	v_cndmask_b32_e64 v224, v224, 0, s19
	v_add_nc_u32_e32 v223, v224, v223
	v_mov_b32_dpp v224, v223 row_shr:2 row_mask:0xf bank_mask:0xf
	v_cndmask_b32_e64 v224, 0, v224, s20
	v_add_nc_u32_e32 v223, v223, v224
	;; [unrolled: 3-line block ×3, first 2 shown]
	ds_write_b32 v69, v223 offset:512
.LBB1016_486:                           ;   in Loop: Header=BB1016_410 Depth=2
	s_or_b32 exec_lo, exec_lo, s22
	v_mov_b32_e32 v223, 0
	s_waitcnt lgkmcnt(0)
	s_barrier
	buffer_gl0_inv
	s_and_saveexec_b32 s22, s10
; %bb.487:                              ;   in Loop: Header=BB1016_410 Depth=2
	ds_read_b32 v223, v62 offset:508
; %bb.488:                              ;   in Loop: Header=BB1016_410 Depth=2
	s_or_b32 exec_lo, exec_lo, s22
	s_waitcnt lgkmcnt(0)
	v_add_nc_u32_e32 v222, v223, v222
	ds_bpermute_b32 v222, v125, v222
	s_waitcnt lgkmcnt(0)
	v_cndmask_b32_e64 v222, v222, v223, s14
	v_cndmask_b32_e64 v222, v222, 0, s12
	v_add_nc_u32_e32 v41, v222, v41
	v_add_nc_u32_e32 v42, v41, v42
	v_add_nc_u32_e32 v39, v42, v39
	v_add_nc_u32_e32 v40, v39, v40
	ds_write2_b32 v68, v222, v41 offset0:136 offset1:137
	ds_write2_b32 v68, v42, v39 offset0:138 offset1:139
	ds_write_b32 v68, v40 offset:560
	s_waitcnt lgkmcnt(0)
	s_barrier
	buffer_gl0_inv
	ds_read_b32 v41, v159 offset:544
	ds_read_b32 v42, v163 offset:544
	ds_read_b32 v163, v167 offset:544
	ds_read_b32 v167, v172 offset:544
	ds_read_b32 v222, v178 offset:544
	ds_read_b32 v183, v183 offset:544
	ds_read_b32 v188, v188 offset:544
	ds_read_b32 v192, v192 offset:544
	ds_read_b32 v195, v195 offset:544
	ds_read_b32 v198, v198 offset:544
	ds_read_b32 v202, v202 offset:544
	ds_read_b32 v223, v177 offset:544
	ds_read_b32 v224, v173 offset:544
	ds_read_b32 v225, v168 offset:544
	ds_read_b32 v159, v215 offset:544
	ds_read_b32 v39, v218 offset:544
	ds_read_b32 v40, v221 offset:544
	s_and_saveexec_b32 s22, s7
	s_cbranch_execz .LBB1016_492
; %bb.489:                              ;   in Loop: Header=BB1016_410 Depth=2
	ds_read_b32 v151, v71 offset:544
	v_mov_b32_e32 v154, 0x1100
	s_and_saveexec_b32 s23, s13
; %bb.490:                              ;   in Loop: Header=BB1016_410 Depth=2
	ds_read_b32 v154, v70 offset:544
; %bb.491:                              ;   in Loop: Header=BB1016_410 Depth=2
	s_or_b32 exec_lo, exec_lo, s23
	s_waitcnt lgkmcnt(0)
	v_sub_nc_u32_e32 v154, v154, v151
.LBB1016_492:                           ;   in Loop: Header=BB1016_410 Depth=2
	s_or_b32 exec_lo, exec_lo, s22
	s_waitcnt lgkmcnt(0)
	s_barrier
	buffer_gl0_inv
	s_and_saveexec_b32 s22, s7
	s_cbranch_execz .LBB1016_494
; %bb.493:                              ;   in Loop: Header=BB1016_410 Depth=2
	ds_read_b32 v168, v43
	s_waitcnt lgkmcnt(0)
	v_sub_nc_u32_e32 v168, v168, v151
	ds_write_b32 v43, v168
.LBB1016_494:                           ;   in Loop: Header=BB1016_410 Depth=2
	s_or_b32 exec_lo, exec_lo, s22
	v_add_nc_u32_e32 v178, v41, v158
	v_add3_u32 v177, v162, v161, v42
	v_add3_u32 v173, v166, v165, v163
	v_add3_u32 v172, v171, v170, v167
	v_add3_u32 v171, v176, v175, v222
	v_add3_u32 v168, v186, v185, v188
	v_lshlrev_b32_e32 v175, 1, v178
	v_lshlrev_b32_e32 v176, 1, v177
	v_add3_u32 v161, v217, v216, v39
	v_lshlrev_b32_e32 v39, 1, v173
	v_add3_u32 v170, v181, v180, v183
	v_add3_u32 v167, v191, v190, v192
	;; [unrolled: 1-line block ×5, first 2 shown]
	ds_write_b16 v175, v156 offset:512
	ds_write_b16 v176, v157 offset:512
	v_lshlrev_b32_e32 v40, 1, v172
	ds_write_b16 v39, v160 offset:512
	v_lshlrev_b32_e32 v39, 1, v168
	v_add3_u32 v165, v197, v196, v198
	v_lshlrev_b32_e32 v156, 1, v171
	v_add3_u32 v163, v201, v200, v202
	v_lshlrev_b32_e32 v157, 1, v170
	v_add3_u32 v162, v205, v204, v223
	v_add3_u32 v42, v208, v207, v224
	ds_write_b16 v40, v164 offset:512
	ds_write_b16 v156, v169 offset:512
	;; [unrolled: 1-line block ×3, first 2 shown]
	v_lshlrev_b32_e32 v40, 1, v167
	ds_write_b16 v39, v179 offset:512
	v_lshlrev_b32_e32 v39, 1, v166
	v_lshlrev_b32_e32 v156, 1, v165
	;; [unrolled: 1-line block ×3, first 2 shown]
	v_add3_u32 v41, v211, v210, v225
	ds_write_b16 v40, v184 offset:512
	v_lshlrev_b32_e32 v40, 1, v162
	ds_write_b16 v39, v189 offset:512
	ds_write_b16 v156, v187 offset:512
	;; [unrolled: 1-line block ×3, first 2 shown]
	v_lshlrev_b32_e32 v39, 1, v42
	v_cmp_lt_u32_e32 vcc_lo, v0, v155
	v_lshlrev_b32_e32 v156, 1, v158
	ds_write_b16 v40, v199 offset:512
	v_lshlrev_b32_e32 v40, 1, v41
	ds_write_b16 v39, v203 offset:512
	v_lshlrev_b32_e32 v39, 1, v159
	v_lshlrev_b32_e32 v157, 1, v161
	ds_write_b16 v40, v206 offset:512
	ds_write_b16 v156, v209 offset:512
	ds_write_b16 v157, v212 offset:512
	ds_write_b16 v39, v3 offset:512
	s_waitcnt lgkmcnt(0)
	s_barrier
	buffer_gl0_inv
	s_and_saveexec_b32 s23, vcc_lo
	s_cbranch_execnz .LBB1016_567
; %bb.495:                              ;   in Loop: Header=BB1016_410 Depth=2
	s_or_b32 exec_lo, exec_lo, s23
	v_cmp_lt_u32_e64 s22, v44, v155
	s_and_saveexec_b32 s24, s22
	s_cbranch_execnz .LBB1016_568
.LBB1016_496:                           ;   in Loop: Header=BB1016_410 Depth=2
	s_or_b32 exec_lo, exec_lo, s24
	v_cmp_lt_u32_e64 s23, v47, v155
	s_and_saveexec_b32 s25, s23
	s_cbranch_execnz .LBB1016_569
.LBB1016_497:                           ;   in Loop: Header=BB1016_410 Depth=2
	s_or_b32 exec_lo, exec_lo, s25
	v_cmp_lt_u32_e64 s24, v48, v155
	s_and_saveexec_b32 s26, s24
	s_cbranch_execnz .LBB1016_570
.LBB1016_498:                           ;   in Loop: Header=BB1016_410 Depth=2
	s_or_b32 exec_lo, exec_lo, s26
	v_cmp_lt_u32_e64 s25, v49, v155
	s_and_saveexec_b32 s27, s25
	s_cbranch_execnz .LBB1016_571
.LBB1016_499:                           ;   in Loop: Header=BB1016_410 Depth=2
	s_or_b32 exec_lo, exec_lo, s27
	v_cmp_lt_u32_e64 s26, v50, v155
	s_and_saveexec_b32 s29, s26
	s_cbranch_execnz .LBB1016_572
.LBB1016_500:                           ;   in Loop: Header=BB1016_410 Depth=2
	s_or_b32 exec_lo, exec_lo, s29
	v_cmp_lt_u32_e64 s27, v51, v155
	s_and_saveexec_b32 s30, s27
	s_cbranch_execnz .LBB1016_573
.LBB1016_501:                           ;   in Loop: Header=BB1016_410 Depth=2
	s_or_b32 exec_lo, exec_lo, s30
	v_cmp_lt_u32_e64 s29, v52, v155
	s_and_saveexec_b32 s31, s29
	s_cbranch_execnz .LBB1016_574
.LBB1016_502:                           ;   in Loop: Header=BB1016_410 Depth=2
	s_or_b32 exec_lo, exec_lo, s31
	v_cmp_lt_u32_e64 s30, v53, v155
	s_and_saveexec_b32 s33, s30
	s_cbranch_execnz .LBB1016_575
.LBB1016_503:                           ;   in Loop: Header=BB1016_410 Depth=2
	s_or_b32 exec_lo, exec_lo, s33
	v_cmp_lt_u32_e64 s31, v54, v155
	s_and_saveexec_b32 s34, s31
	s_cbranch_execnz .LBB1016_576
.LBB1016_504:                           ;   in Loop: Header=BB1016_410 Depth=2
	s_or_b32 exec_lo, exec_lo, s34
	v_cmp_lt_u32_e64 s33, v55, v155
	s_and_saveexec_b32 s35, s33
	s_cbranch_execnz .LBB1016_577
.LBB1016_505:                           ;   in Loop: Header=BB1016_410 Depth=2
	s_or_b32 exec_lo, exec_lo, s35
	v_cmp_lt_u32_e64 s34, v56, v155
	s_and_saveexec_b32 s36, s34
	s_cbranch_execnz .LBB1016_578
.LBB1016_506:                           ;   in Loop: Header=BB1016_410 Depth=2
	s_or_b32 exec_lo, exec_lo, s36
	v_cmp_lt_u32_e64 s35, v57, v155
	s_and_saveexec_b32 s37, s35
	s_cbranch_execnz .LBB1016_579
.LBB1016_507:                           ;   in Loop: Header=BB1016_410 Depth=2
	s_or_b32 exec_lo, exec_lo, s37
	v_cmp_lt_u32_e64 s36, v58, v155
	s_and_saveexec_b32 s38, s36
	s_cbranch_execnz .LBB1016_580
.LBB1016_508:                           ;   in Loop: Header=BB1016_410 Depth=2
	s_or_b32 exec_lo, exec_lo, s38
	v_cmp_lt_u32_e64 s37, v59, v155
	s_and_saveexec_b32 s39, s37
	s_cbranch_execnz .LBB1016_581
.LBB1016_509:                           ;   in Loop: Header=BB1016_410 Depth=2
	s_or_b32 exec_lo, exec_lo, s39
	v_cmp_lt_u32_e64 s38, v60, v155
	s_and_saveexec_b32 s40, s38
	s_cbranch_execnz .LBB1016_582
.LBB1016_510:                           ;   in Loop: Header=BB1016_410 Depth=2
	s_or_b32 exec_lo, exec_lo, s40
	v_cmp_lt_u32_e64 s39, v61, v155
	s_and_saveexec_b32 s65, s39
	s_cbranch_execz .LBB1016_512
.LBB1016_511:                           ;   in Loop: Header=BB1016_410 Depth=2
	ds_read_u16 v156, v74 offset:8704
	s_waitcnt lgkmcnt(0)
	v_lshrrev_b32_sdwa v3, s61, v156 dst_sel:DWORD dst_unused:UNUSED_PAD src0_sel:DWORD src1_sel:WORD_0
	v_and_b32_e32 v3, s62, v3
	v_lshlrev_b32_e32 v3, 2, v3
	ds_read_b32 v3, v3
	s_waitcnt lgkmcnt(0)
	v_add_nc_u32_e32 v3, v3, v61
	v_lshlrev_b64 v[39:40], 1, v[3:4]
	v_xor_b32_e32 v3, 0xffff8000, v156
	v_add_co_u32 v39, s40, s48, v39
	v_add_co_ci_u32_e64 v40, null, s49, v40, s40
	global_store_short v[39:40], v3, off
.LBB1016_512:                           ;   in Loop: Header=BB1016_410 Depth=2
	s_or_b32 exec_lo, exec_lo, s65
	s_lshl_b64 s[66:67], s[50:51], 3
	v_add_co_u32 v39, s40, v126, s66
	v_add_co_ci_u32_e64 v40, null, s67, v127, s40
	v_cmp_lt_u32_e64 s40, v94, v155
	s_and_saveexec_b32 s50, s40
	s_xor_b32 s40, exec_lo, s50
	s_cbranch_execnz .LBB1016_583
; %bb.513:                              ;   in Loop: Header=BB1016_410 Depth=2
	s_or_b32 exec_lo, exec_lo, s40
	s_mov_b32 s50, exec_lo
	v_cmpx_lt_u32_e64 v98, v155
	s_cbranch_execnz .LBB1016_584
.LBB1016_514:                           ;   in Loop: Header=BB1016_410 Depth=2
	s_or_b32 exec_lo, exec_lo, s50
	s_mov_b32 s50, exec_lo
	v_cmpx_lt_u32_e64 v99, v155
	s_cbranch_execnz .LBB1016_585
.LBB1016_515:                           ;   in Loop: Header=BB1016_410 Depth=2
	s_or_b32 exec_lo, exec_lo, s50
	s_mov_b32 s50, exec_lo
	v_cmpx_lt_u32_e64 v100, v155
	s_cbranch_execnz .LBB1016_586
.LBB1016_516:                           ;   in Loop: Header=BB1016_410 Depth=2
	s_or_b32 exec_lo, exec_lo, s50
	s_mov_b32 s50, exec_lo
	v_cmpx_lt_u32_e64 v101, v155
	s_cbranch_execnz .LBB1016_587
.LBB1016_517:                           ;   in Loop: Header=BB1016_410 Depth=2
	s_or_b32 exec_lo, exec_lo, s50
	s_mov_b32 s50, exec_lo
	v_cmpx_lt_u32_e64 v102, v155
	s_cbranch_execnz .LBB1016_588
.LBB1016_518:                           ;   in Loop: Header=BB1016_410 Depth=2
	s_or_b32 exec_lo, exec_lo, s50
	s_mov_b32 s50, exec_lo
	v_cmpx_lt_u32_e64 v103, v155
	s_cbranch_execnz .LBB1016_589
.LBB1016_519:                           ;   in Loop: Header=BB1016_410 Depth=2
	s_or_b32 exec_lo, exec_lo, s50
	s_mov_b32 s50, exec_lo
	v_cmpx_lt_u32_e64 v104, v155
	s_cbranch_execnz .LBB1016_590
.LBB1016_520:                           ;   in Loop: Header=BB1016_410 Depth=2
	s_or_b32 exec_lo, exec_lo, s50
	s_mov_b32 s50, exec_lo
	v_cmpx_lt_u32_e64 v105, v155
	s_cbranch_execnz .LBB1016_591
.LBB1016_521:                           ;   in Loop: Header=BB1016_410 Depth=2
	s_or_b32 exec_lo, exec_lo, s50
	s_mov_b32 s50, exec_lo
	v_cmpx_lt_u32_e64 v106, v155
	s_cbranch_execnz .LBB1016_592
.LBB1016_522:                           ;   in Loop: Header=BB1016_410 Depth=2
	s_or_b32 exec_lo, exec_lo, s50
	s_mov_b32 s50, exec_lo
	v_cmpx_lt_u32_e64 v107, v155
	s_cbranch_execnz .LBB1016_593
.LBB1016_523:                           ;   in Loop: Header=BB1016_410 Depth=2
	s_or_b32 exec_lo, exec_lo, s50
	s_mov_b32 s50, exec_lo
	v_cmpx_lt_u32_e64 v108, v155
	s_cbranch_execnz .LBB1016_594
.LBB1016_524:                           ;   in Loop: Header=BB1016_410 Depth=2
	s_or_b32 exec_lo, exec_lo, s50
	s_mov_b32 s50, exec_lo
	v_cmpx_lt_u32_e64 v128, v155
	s_cbranch_execnz .LBB1016_595
.LBB1016_525:                           ;   in Loop: Header=BB1016_410 Depth=2
	s_or_b32 exec_lo, exec_lo, s50
	s_mov_b32 s50, exec_lo
	v_cmpx_lt_u32_e64 v129, v155
	s_cbranch_execnz .LBB1016_596
.LBB1016_526:                           ;   in Loop: Header=BB1016_410 Depth=2
	s_or_b32 exec_lo, exec_lo, s50
	s_mov_b32 s50, exec_lo
	v_cmpx_lt_u32_e64 v130, v155
	s_cbranch_execnz .LBB1016_597
.LBB1016_527:                           ;   in Loop: Header=BB1016_410 Depth=2
	s_or_b32 exec_lo, exec_lo, s50
	s_mov_b32 s50, exec_lo
	v_cmpx_lt_u32_e64 v131, v155
	s_cbranch_execnz .LBB1016_598
.LBB1016_528:                           ;   in Loop: Header=BB1016_410 Depth=2
	s_or_b32 exec_lo, exec_lo, s50
	s_mov_b32 s50, exec_lo
	v_cmpx_lt_u32_e64 v132, v155
	s_cbranch_execnz .LBB1016_599
.LBB1016_529:                           ;   in Loop: Header=BB1016_410 Depth=2
	s_or_b32 exec_lo, exec_lo, s50
	s_and_saveexec_b32 s40, vcc_lo
	s_cbranch_execnz .LBB1016_600
.LBB1016_530:                           ;   in Loop: Header=BB1016_410 Depth=2
	s_or_b32 exec_lo, exec_lo, s40
	s_and_saveexec_b32 s40, s22
	s_cbranch_execnz .LBB1016_601
.LBB1016_531:                           ;   in Loop: Header=BB1016_410 Depth=2
	s_or_b32 exec_lo, exec_lo, s40
	s_and_saveexec_b32 s40, s23
	s_cbranch_execnz .LBB1016_602
.LBB1016_532:                           ;   in Loop: Header=BB1016_410 Depth=2
	s_or_b32 exec_lo, exec_lo, s40
	s_and_saveexec_b32 s40, s24
	s_cbranch_execnz .LBB1016_603
.LBB1016_533:                           ;   in Loop: Header=BB1016_410 Depth=2
	s_or_b32 exec_lo, exec_lo, s40
	s_and_saveexec_b32 s40, s25
	s_cbranch_execnz .LBB1016_604
.LBB1016_534:                           ;   in Loop: Header=BB1016_410 Depth=2
	s_or_b32 exec_lo, exec_lo, s40
	s_and_saveexec_b32 s40, s26
	s_cbranch_execnz .LBB1016_605
.LBB1016_535:                           ;   in Loop: Header=BB1016_410 Depth=2
	s_or_b32 exec_lo, exec_lo, s40
	s_and_saveexec_b32 s40, s27
	s_cbranch_execnz .LBB1016_606
.LBB1016_536:                           ;   in Loop: Header=BB1016_410 Depth=2
	s_or_b32 exec_lo, exec_lo, s40
	s_and_saveexec_b32 s40, s29
	s_cbranch_execnz .LBB1016_607
.LBB1016_537:                           ;   in Loop: Header=BB1016_410 Depth=2
	s_or_b32 exec_lo, exec_lo, s40
	s_and_saveexec_b32 s40, s30
	s_cbranch_execnz .LBB1016_608
.LBB1016_538:                           ;   in Loop: Header=BB1016_410 Depth=2
	s_or_b32 exec_lo, exec_lo, s40
	s_and_saveexec_b32 s40, s31
	s_cbranch_execnz .LBB1016_609
.LBB1016_539:                           ;   in Loop: Header=BB1016_410 Depth=2
	s_or_b32 exec_lo, exec_lo, s40
	s_and_saveexec_b32 s40, s33
	s_cbranch_execnz .LBB1016_610
.LBB1016_540:                           ;   in Loop: Header=BB1016_410 Depth=2
	s_or_b32 exec_lo, exec_lo, s40
	s_and_saveexec_b32 s40, s34
	s_cbranch_execnz .LBB1016_611
.LBB1016_541:                           ;   in Loop: Header=BB1016_410 Depth=2
	s_or_b32 exec_lo, exec_lo, s40
	s_and_saveexec_b32 s40, s35
	s_cbranch_execnz .LBB1016_612
.LBB1016_542:                           ;   in Loop: Header=BB1016_410 Depth=2
	s_or_b32 exec_lo, exec_lo, s40
	s_and_saveexec_b32 s40, s36
	s_cbranch_execnz .LBB1016_613
.LBB1016_543:                           ;   in Loop: Header=BB1016_410 Depth=2
	s_or_b32 exec_lo, exec_lo, s40
	s_and_saveexec_b32 s40, s37
	s_cbranch_execnz .LBB1016_614
.LBB1016_544:                           ;   in Loop: Header=BB1016_410 Depth=2
	s_or_b32 exec_lo, exec_lo, s40
	s_and_saveexec_b32 s40, s38
	s_cbranch_execnz .LBB1016_615
.LBB1016_545:                           ;   in Loop: Header=BB1016_410 Depth=2
	s_or_b32 exec_lo, exec_lo, s40
	s_and_saveexec_b32 s40, s39
	s_cbranch_execz .LBB1016_547
.LBB1016_546:                           ;   in Loop: Header=BB1016_410 Depth=2
	ds_read_u16 v3, v74 offset:8704
	s_waitcnt lgkmcnt(0)
	v_lshrrev_b32_e32 v3, s61, v3
	v_and_b32_e32 v136, s62, v3
.LBB1016_547:                           ;   in Loop: Header=BB1016_410 Depth=2
	s_or_b32 exec_lo, exec_lo, s40
	v_lshlrev_b32_e32 v3, 3, v178
	v_lshlrev_b32_e32 v39, 3, v177
	s_waitcnt vmcnt(0)
	s_waitcnt_vscnt null, 0x0
	s_barrier
	buffer_gl0_inv
	ds_write_b64 v3, v[37:38] offset:512
	ds_write_b64 v39, v[35:36] offset:512
	v_lshlrev_b32_e32 v3, 3, v173
	v_lshlrev_b32_e32 v39, 3, v172
	v_lshlrev_b32_e32 v40, 3, v171
	v_lshlrev_b32_e32 v155, 3, v170
	v_lshlrev_b32_e32 v156, 3, v168
	ds_write_b64 v3, v[33:34] offset:512
	ds_write_b64 v39, v[31:32] offset:512
	ds_write_b64 v40, v[29:30] offset:512
	ds_write_b64 v155, v[25:26] offset:512
	ds_write_b64 v156, v[21:22] offset:512
	v_lshlrev_b32_e32 v3, 3, v167
	v_lshlrev_b32_e32 v39, 3, v166
	v_lshlrev_b32_e32 v40, 3, v165
	v_lshlrev_b32_e32 v155, 3, v163
	v_lshlrev_b32_e32 v156, 3, v162
	ds_write_b64 v3, v[17:18] offset:512
	ds_write_b64 v39, v[27:28] offset:512
	ds_write_b64 v40, v[23:24] offset:512
	;; [unrolled: 10-line block ×3, first 2 shown]
	ds_write_b64 v41, v[7:8] offset:512
	ds_write_b64 v42, v[5:6] offset:512
	s_waitcnt lgkmcnt(0)
	s_barrier
	buffer_gl0_inv
	s_and_saveexec_b32 s40, vcc_lo
	s_cbranch_execnz .LBB1016_616
; %bb.548:                              ;   in Loop: Header=BB1016_410 Depth=2
	s_or_b32 exec_lo, exec_lo, s40
	s_and_saveexec_b32 s40, s22
	s_cbranch_execnz .LBB1016_617
.LBB1016_549:                           ;   in Loop: Header=BB1016_410 Depth=2
	s_or_b32 exec_lo, exec_lo, s40
	s_and_saveexec_b32 s22, s23
	s_cbranch_execnz .LBB1016_618
.LBB1016_550:                           ;   in Loop: Header=BB1016_410 Depth=2
	s_or_b32 exec_lo, exec_lo, s22
	s_and_saveexec_b32 s22, s24
	s_cbranch_execnz .LBB1016_619
.LBB1016_551:                           ;   in Loop: Header=BB1016_410 Depth=2
	s_or_b32 exec_lo, exec_lo, s22
	s_and_saveexec_b32 s22, s25
	s_cbranch_execnz .LBB1016_620
.LBB1016_552:                           ;   in Loop: Header=BB1016_410 Depth=2
	s_or_b32 exec_lo, exec_lo, s22
	s_and_saveexec_b32 s22, s26
	s_cbranch_execnz .LBB1016_621
.LBB1016_553:                           ;   in Loop: Header=BB1016_410 Depth=2
	s_or_b32 exec_lo, exec_lo, s22
	s_and_saveexec_b32 s22, s27
	s_cbranch_execnz .LBB1016_622
.LBB1016_554:                           ;   in Loop: Header=BB1016_410 Depth=2
	s_or_b32 exec_lo, exec_lo, s22
	s_and_saveexec_b32 s22, s29
	s_cbranch_execnz .LBB1016_623
.LBB1016_555:                           ;   in Loop: Header=BB1016_410 Depth=2
	s_or_b32 exec_lo, exec_lo, s22
	s_and_saveexec_b32 s22, s30
	s_cbranch_execnz .LBB1016_624
.LBB1016_556:                           ;   in Loop: Header=BB1016_410 Depth=2
	s_or_b32 exec_lo, exec_lo, s22
	s_and_saveexec_b32 s22, s31
	s_cbranch_execnz .LBB1016_625
.LBB1016_557:                           ;   in Loop: Header=BB1016_410 Depth=2
	s_or_b32 exec_lo, exec_lo, s22
	s_and_saveexec_b32 s22, s33
	s_cbranch_execnz .LBB1016_626
.LBB1016_558:                           ;   in Loop: Header=BB1016_410 Depth=2
	s_or_b32 exec_lo, exec_lo, s22
	s_and_saveexec_b32 s22, s34
	s_cbranch_execnz .LBB1016_627
.LBB1016_559:                           ;   in Loop: Header=BB1016_410 Depth=2
	s_or_b32 exec_lo, exec_lo, s22
	s_and_saveexec_b32 s22, s35
	s_cbranch_execnz .LBB1016_628
.LBB1016_560:                           ;   in Loop: Header=BB1016_410 Depth=2
	s_or_b32 exec_lo, exec_lo, s22
	s_and_saveexec_b32 s22, s36
	s_cbranch_execnz .LBB1016_629
.LBB1016_561:                           ;   in Loop: Header=BB1016_410 Depth=2
	s_or_b32 exec_lo, exec_lo, s22
	s_and_saveexec_b32 s22, s37
	s_cbranch_execnz .LBB1016_630
.LBB1016_562:                           ;   in Loop: Header=BB1016_410 Depth=2
	s_or_b32 exec_lo, exec_lo, s22
	s_and_saveexec_b32 s22, s38
	s_cbranch_execnz .LBB1016_631
.LBB1016_563:                           ;   in Loop: Header=BB1016_410 Depth=2
	s_or_b32 exec_lo, exec_lo, s22
	s_and_saveexec_b32 s22, s39
	s_cbranch_execz .LBB1016_565
.LBB1016_564:                           ;   in Loop: Header=BB1016_410 Depth=2
	v_lshlrev_b32_e32 v3, 2, v136
	v_add_nc_u32_e32 v39, v74, v75
	ds_read_b32 v3, v3
	ds_read_b64 v[39:40], v39 offset:33280
	s_waitcnt lgkmcnt(1)
	v_add_nc_u32_e32 v3, v3, v61
	v_lshlrev_b64 v[41:42], 3, v[3:4]
	v_add_co_u32 v41, vcc_lo, s54, v41
	v_add_co_ci_u32_e64 v42, null, s55, v42, vcc_lo
	s_waitcnt lgkmcnt(0)
	global_store_dwordx2 v[41:42], v[39:40], off
.LBB1016_565:                           ;   in Loop: Header=BB1016_410 Depth=2
	s_or_b32 exec_lo, exec_lo, s22
	s_waitcnt_vscnt null, 0x0
	s_barrier
	buffer_gl0_inv
	s_and_saveexec_b32 s22, s7
	s_cbranch_execz .LBB1016_409
; %bb.566:                              ;   in Loop: Header=BB1016_410 Depth=2
	ds_read_b32 v3, v43
	s_waitcnt lgkmcnt(0)
	v_add3_u32 v3, v151, v154, v3
	ds_write_b32 v43, v3
	s_branch .LBB1016_409
.LBB1016_567:                           ;   in Loop: Header=BB1016_410 Depth=2
	ds_read_u16 v156, v74 offset:512
	s_waitcnt lgkmcnt(0)
	v_lshrrev_b32_sdwa v3, s61, v156 dst_sel:DWORD dst_unused:UNUSED_PAD src0_sel:DWORD src1_sel:WORD_0
	v_and_b32_e32 v3, s62, v3
	v_lshlrev_b32_e32 v3, 2, v3
	ds_read_b32 v3, v3
	s_waitcnt lgkmcnt(0)
	v_add_nc_u32_e32 v3, v3, v0
	v_lshlrev_b64 v[39:40], 1, v[3:4]
	v_xor_b32_e32 v3, 0xffff8000, v156
	v_add_co_u32 v39, s22, s48, v39
	v_add_co_ci_u32_e64 v40, null, s49, v40, s22
	global_store_short v[39:40], v3, off
	s_or_b32 exec_lo, exec_lo, s23
	v_cmp_lt_u32_e64 s22, v44, v155
	s_and_saveexec_b32 s24, s22
	s_cbranch_execz .LBB1016_496
.LBB1016_568:                           ;   in Loop: Header=BB1016_410 Depth=2
	ds_read_u16 v156, v74 offset:1024
	s_waitcnt lgkmcnt(0)
	v_lshrrev_b32_sdwa v3, s61, v156 dst_sel:DWORD dst_unused:UNUSED_PAD src0_sel:DWORD src1_sel:WORD_0
	v_and_b32_e32 v3, s62, v3
	v_lshlrev_b32_e32 v3, 2, v3
	ds_read_b32 v3, v3
	s_waitcnt lgkmcnt(0)
	v_add_nc_u32_e32 v3, v3, v44
	v_lshlrev_b64 v[39:40], 1, v[3:4]
	v_xor_b32_e32 v3, 0xffff8000, v156
	v_add_co_u32 v39, s23, s48, v39
	v_add_co_ci_u32_e64 v40, null, s49, v40, s23
	global_store_short v[39:40], v3, off
	s_or_b32 exec_lo, exec_lo, s24
	v_cmp_lt_u32_e64 s23, v47, v155
	s_and_saveexec_b32 s25, s23
	s_cbranch_execz .LBB1016_497
.LBB1016_569:                           ;   in Loop: Header=BB1016_410 Depth=2
	ds_read_u16 v156, v74 offset:1536
	s_waitcnt lgkmcnt(0)
	v_lshrrev_b32_sdwa v3, s61, v156 dst_sel:DWORD dst_unused:UNUSED_PAD src0_sel:DWORD src1_sel:WORD_0
	v_and_b32_e32 v3, s62, v3
	v_lshlrev_b32_e32 v3, 2, v3
	ds_read_b32 v3, v3
	s_waitcnt lgkmcnt(0)
	v_add_nc_u32_e32 v3, v3, v47
	v_lshlrev_b64 v[39:40], 1, v[3:4]
	v_xor_b32_e32 v3, 0xffff8000, v156
	v_add_co_u32 v39, s24, s48, v39
	v_add_co_ci_u32_e64 v40, null, s49, v40, s24
	global_store_short v[39:40], v3, off
	s_or_b32 exec_lo, exec_lo, s25
	v_cmp_lt_u32_e64 s24, v48, v155
	s_and_saveexec_b32 s26, s24
	s_cbranch_execz .LBB1016_498
.LBB1016_570:                           ;   in Loop: Header=BB1016_410 Depth=2
	ds_read_u16 v156, v74 offset:2048
	s_waitcnt lgkmcnt(0)
	v_lshrrev_b32_sdwa v3, s61, v156 dst_sel:DWORD dst_unused:UNUSED_PAD src0_sel:DWORD src1_sel:WORD_0
	v_and_b32_e32 v3, s62, v3
	v_lshlrev_b32_e32 v3, 2, v3
	ds_read_b32 v3, v3
	s_waitcnt lgkmcnt(0)
	v_add_nc_u32_e32 v3, v3, v48
	v_lshlrev_b64 v[39:40], 1, v[3:4]
	v_xor_b32_e32 v3, 0xffff8000, v156
	v_add_co_u32 v39, s25, s48, v39
	v_add_co_ci_u32_e64 v40, null, s49, v40, s25
	global_store_short v[39:40], v3, off
	s_or_b32 exec_lo, exec_lo, s26
	v_cmp_lt_u32_e64 s25, v49, v155
	s_and_saveexec_b32 s27, s25
	s_cbranch_execz .LBB1016_499
.LBB1016_571:                           ;   in Loop: Header=BB1016_410 Depth=2
	ds_read_u16 v156, v74 offset:2560
	s_waitcnt lgkmcnt(0)
	v_lshrrev_b32_sdwa v3, s61, v156 dst_sel:DWORD dst_unused:UNUSED_PAD src0_sel:DWORD src1_sel:WORD_0
	v_and_b32_e32 v3, s62, v3
	v_lshlrev_b32_e32 v3, 2, v3
	ds_read_b32 v3, v3
	s_waitcnt lgkmcnt(0)
	v_add_nc_u32_e32 v3, v3, v49
	v_lshlrev_b64 v[39:40], 1, v[3:4]
	v_xor_b32_e32 v3, 0xffff8000, v156
	v_add_co_u32 v39, s26, s48, v39
	v_add_co_ci_u32_e64 v40, null, s49, v40, s26
	global_store_short v[39:40], v3, off
	s_or_b32 exec_lo, exec_lo, s27
	v_cmp_lt_u32_e64 s26, v50, v155
	s_and_saveexec_b32 s29, s26
	s_cbranch_execz .LBB1016_500
.LBB1016_572:                           ;   in Loop: Header=BB1016_410 Depth=2
	ds_read_u16 v156, v74 offset:3072
	s_waitcnt lgkmcnt(0)
	v_lshrrev_b32_sdwa v3, s61, v156 dst_sel:DWORD dst_unused:UNUSED_PAD src0_sel:DWORD src1_sel:WORD_0
	v_and_b32_e32 v3, s62, v3
	v_lshlrev_b32_e32 v3, 2, v3
	ds_read_b32 v3, v3
	s_waitcnt lgkmcnt(0)
	v_add_nc_u32_e32 v3, v3, v50
	v_lshlrev_b64 v[39:40], 1, v[3:4]
	v_xor_b32_e32 v3, 0xffff8000, v156
	v_add_co_u32 v39, s27, s48, v39
	v_add_co_ci_u32_e64 v40, null, s49, v40, s27
	global_store_short v[39:40], v3, off
	s_or_b32 exec_lo, exec_lo, s29
	v_cmp_lt_u32_e64 s27, v51, v155
	s_and_saveexec_b32 s30, s27
	s_cbranch_execz .LBB1016_501
.LBB1016_573:                           ;   in Loop: Header=BB1016_410 Depth=2
	ds_read_u16 v156, v74 offset:3584
	s_waitcnt lgkmcnt(0)
	v_lshrrev_b32_sdwa v3, s61, v156 dst_sel:DWORD dst_unused:UNUSED_PAD src0_sel:DWORD src1_sel:WORD_0
	v_and_b32_e32 v3, s62, v3
	v_lshlrev_b32_e32 v3, 2, v3
	ds_read_b32 v3, v3
	s_waitcnt lgkmcnt(0)
	v_add_nc_u32_e32 v3, v3, v51
	v_lshlrev_b64 v[39:40], 1, v[3:4]
	v_xor_b32_e32 v3, 0xffff8000, v156
	v_add_co_u32 v39, s29, s48, v39
	v_add_co_ci_u32_e64 v40, null, s49, v40, s29
	global_store_short v[39:40], v3, off
	s_or_b32 exec_lo, exec_lo, s30
	v_cmp_lt_u32_e64 s29, v52, v155
	s_and_saveexec_b32 s31, s29
	s_cbranch_execz .LBB1016_502
.LBB1016_574:                           ;   in Loop: Header=BB1016_410 Depth=2
	ds_read_u16 v156, v74 offset:4096
	s_waitcnt lgkmcnt(0)
	v_lshrrev_b32_sdwa v3, s61, v156 dst_sel:DWORD dst_unused:UNUSED_PAD src0_sel:DWORD src1_sel:WORD_0
	v_and_b32_e32 v3, s62, v3
	v_lshlrev_b32_e32 v3, 2, v3
	ds_read_b32 v3, v3
	s_waitcnt lgkmcnt(0)
	v_add_nc_u32_e32 v3, v3, v52
	v_lshlrev_b64 v[39:40], 1, v[3:4]
	v_xor_b32_e32 v3, 0xffff8000, v156
	v_add_co_u32 v39, s30, s48, v39
	v_add_co_ci_u32_e64 v40, null, s49, v40, s30
	global_store_short v[39:40], v3, off
	s_or_b32 exec_lo, exec_lo, s31
	v_cmp_lt_u32_e64 s30, v53, v155
	s_and_saveexec_b32 s33, s30
	s_cbranch_execz .LBB1016_503
.LBB1016_575:                           ;   in Loop: Header=BB1016_410 Depth=2
	ds_read_u16 v156, v74 offset:4608
	s_waitcnt lgkmcnt(0)
	v_lshrrev_b32_sdwa v3, s61, v156 dst_sel:DWORD dst_unused:UNUSED_PAD src0_sel:DWORD src1_sel:WORD_0
	v_and_b32_e32 v3, s62, v3
	v_lshlrev_b32_e32 v3, 2, v3
	ds_read_b32 v3, v3
	s_waitcnt lgkmcnt(0)
	v_add_nc_u32_e32 v3, v3, v53
	v_lshlrev_b64 v[39:40], 1, v[3:4]
	v_xor_b32_e32 v3, 0xffff8000, v156
	v_add_co_u32 v39, s31, s48, v39
	v_add_co_ci_u32_e64 v40, null, s49, v40, s31
	global_store_short v[39:40], v3, off
	s_or_b32 exec_lo, exec_lo, s33
	v_cmp_lt_u32_e64 s31, v54, v155
	s_and_saveexec_b32 s34, s31
	s_cbranch_execz .LBB1016_504
.LBB1016_576:                           ;   in Loop: Header=BB1016_410 Depth=2
	ds_read_u16 v156, v74 offset:5120
	s_waitcnt lgkmcnt(0)
	v_lshrrev_b32_sdwa v3, s61, v156 dst_sel:DWORD dst_unused:UNUSED_PAD src0_sel:DWORD src1_sel:WORD_0
	v_and_b32_e32 v3, s62, v3
	v_lshlrev_b32_e32 v3, 2, v3
	ds_read_b32 v3, v3
	s_waitcnt lgkmcnt(0)
	v_add_nc_u32_e32 v3, v3, v54
	v_lshlrev_b64 v[39:40], 1, v[3:4]
	v_xor_b32_e32 v3, 0xffff8000, v156
	v_add_co_u32 v39, s33, s48, v39
	v_add_co_ci_u32_e64 v40, null, s49, v40, s33
	global_store_short v[39:40], v3, off
	s_or_b32 exec_lo, exec_lo, s34
	v_cmp_lt_u32_e64 s33, v55, v155
	s_and_saveexec_b32 s35, s33
	s_cbranch_execz .LBB1016_505
.LBB1016_577:                           ;   in Loop: Header=BB1016_410 Depth=2
	ds_read_u16 v156, v74 offset:5632
	s_waitcnt lgkmcnt(0)
	v_lshrrev_b32_sdwa v3, s61, v156 dst_sel:DWORD dst_unused:UNUSED_PAD src0_sel:DWORD src1_sel:WORD_0
	v_and_b32_e32 v3, s62, v3
	v_lshlrev_b32_e32 v3, 2, v3
	ds_read_b32 v3, v3
	s_waitcnt lgkmcnt(0)
	v_add_nc_u32_e32 v3, v3, v55
	v_lshlrev_b64 v[39:40], 1, v[3:4]
	v_xor_b32_e32 v3, 0xffff8000, v156
	v_add_co_u32 v39, s34, s48, v39
	v_add_co_ci_u32_e64 v40, null, s49, v40, s34
	global_store_short v[39:40], v3, off
	s_or_b32 exec_lo, exec_lo, s35
	v_cmp_lt_u32_e64 s34, v56, v155
	s_and_saveexec_b32 s36, s34
	s_cbranch_execz .LBB1016_506
.LBB1016_578:                           ;   in Loop: Header=BB1016_410 Depth=2
	ds_read_u16 v156, v74 offset:6144
	s_waitcnt lgkmcnt(0)
	v_lshrrev_b32_sdwa v3, s61, v156 dst_sel:DWORD dst_unused:UNUSED_PAD src0_sel:DWORD src1_sel:WORD_0
	v_and_b32_e32 v3, s62, v3
	v_lshlrev_b32_e32 v3, 2, v3
	ds_read_b32 v3, v3
	s_waitcnt lgkmcnt(0)
	v_add_nc_u32_e32 v3, v3, v56
	v_lshlrev_b64 v[39:40], 1, v[3:4]
	v_xor_b32_e32 v3, 0xffff8000, v156
	v_add_co_u32 v39, s35, s48, v39
	v_add_co_ci_u32_e64 v40, null, s49, v40, s35
	global_store_short v[39:40], v3, off
	s_or_b32 exec_lo, exec_lo, s36
	v_cmp_lt_u32_e64 s35, v57, v155
	s_and_saveexec_b32 s37, s35
	s_cbranch_execz .LBB1016_507
.LBB1016_579:                           ;   in Loop: Header=BB1016_410 Depth=2
	ds_read_u16 v156, v74 offset:6656
	s_waitcnt lgkmcnt(0)
	v_lshrrev_b32_sdwa v3, s61, v156 dst_sel:DWORD dst_unused:UNUSED_PAD src0_sel:DWORD src1_sel:WORD_0
	v_and_b32_e32 v3, s62, v3
	v_lshlrev_b32_e32 v3, 2, v3
	ds_read_b32 v3, v3
	s_waitcnt lgkmcnt(0)
	v_add_nc_u32_e32 v3, v3, v57
	v_lshlrev_b64 v[39:40], 1, v[3:4]
	v_xor_b32_e32 v3, 0xffff8000, v156
	v_add_co_u32 v39, s36, s48, v39
	v_add_co_ci_u32_e64 v40, null, s49, v40, s36
	global_store_short v[39:40], v3, off
	s_or_b32 exec_lo, exec_lo, s37
	v_cmp_lt_u32_e64 s36, v58, v155
	s_and_saveexec_b32 s38, s36
	s_cbranch_execz .LBB1016_508
.LBB1016_580:                           ;   in Loop: Header=BB1016_410 Depth=2
	ds_read_u16 v156, v74 offset:7168
	s_waitcnt lgkmcnt(0)
	v_lshrrev_b32_sdwa v3, s61, v156 dst_sel:DWORD dst_unused:UNUSED_PAD src0_sel:DWORD src1_sel:WORD_0
	v_and_b32_e32 v3, s62, v3
	v_lshlrev_b32_e32 v3, 2, v3
	ds_read_b32 v3, v3
	s_waitcnt lgkmcnt(0)
	v_add_nc_u32_e32 v3, v3, v58
	v_lshlrev_b64 v[39:40], 1, v[3:4]
	v_xor_b32_e32 v3, 0xffff8000, v156
	v_add_co_u32 v39, s37, s48, v39
	v_add_co_ci_u32_e64 v40, null, s49, v40, s37
	global_store_short v[39:40], v3, off
	s_or_b32 exec_lo, exec_lo, s38
	v_cmp_lt_u32_e64 s37, v59, v155
	s_and_saveexec_b32 s39, s37
	s_cbranch_execz .LBB1016_509
.LBB1016_581:                           ;   in Loop: Header=BB1016_410 Depth=2
	ds_read_u16 v156, v74 offset:7680
	s_waitcnt lgkmcnt(0)
	v_lshrrev_b32_sdwa v3, s61, v156 dst_sel:DWORD dst_unused:UNUSED_PAD src0_sel:DWORD src1_sel:WORD_0
	v_and_b32_e32 v3, s62, v3
	v_lshlrev_b32_e32 v3, 2, v3
	ds_read_b32 v3, v3
	s_waitcnt lgkmcnt(0)
	v_add_nc_u32_e32 v3, v3, v59
	v_lshlrev_b64 v[39:40], 1, v[3:4]
	v_xor_b32_e32 v3, 0xffff8000, v156
	v_add_co_u32 v39, s38, s48, v39
	v_add_co_ci_u32_e64 v40, null, s49, v40, s38
	global_store_short v[39:40], v3, off
	s_or_b32 exec_lo, exec_lo, s39
	v_cmp_lt_u32_e64 s38, v60, v155
	s_and_saveexec_b32 s40, s38
	s_cbranch_execz .LBB1016_510
.LBB1016_582:                           ;   in Loop: Header=BB1016_410 Depth=2
	ds_read_u16 v156, v74 offset:8192
	s_waitcnt lgkmcnt(0)
	v_lshrrev_b32_sdwa v3, s61, v156 dst_sel:DWORD dst_unused:UNUSED_PAD src0_sel:DWORD src1_sel:WORD_0
	v_and_b32_e32 v3, s62, v3
	v_lshlrev_b32_e32 v3, 2, v3
	ds_read_b32 v3, v3
	s_waitcnt lgkmcnt(0)
	v_add_nc_u32_e32 v3, v3, v60
	v_lshlrev_b64 v[39:40], 1, v[3:4]
	v_xor_b32_e32 v3, 0xffff8000, v156
	v_add_co_u32 v39, s39, s48, v39
	v_add_co_ci_u32_e64 v40, null, s49, v40, s39
	global_store_short v[39:40], v3, off
	s_or_b32 exec_lo, exec_lo, s40
	v_cmp_lt_u32_e64 s39, v61, v155
	s_and_saveexec_b32 s65, s39
	s_cbranch_execnz .LBB1016_511
	s_branch .LBB1016_512
.LBB1016_583:                           ;   in Loop: Header=BB1016_410 Depth=2
	global_load_dwordx2 v[37:38], v[39:40], off
	s_or_b32 exec_lo, exec_lo, s40
	s_mov_b32 s50, exec_lo
	v_cmpx_lt_u32_e64 v98, v155
	s_cbranch_execz .LBB1016_514
.LBB1016_584:                           ;   in Loop: Header=BB1016_410 Depth=2
	global_load_dwordx2 v[35:36], v[39:40], off offset:256
	s_or_b32 exec_lo, exec_lo, s50
	s_mov_b32 s50, exec_lo
	v_cmpx_lt_u32_e64 v99, v155
	s_cbranch_execz .LBB1016_515
.LBB1016_585:                           ;   in Loop: Header=BB1016_410 Depth=2
	global_load_dwordx2 v[33:34], v[39:40], off offset:512
	s_or_b32 exec_lo, exec_lo, s50
	s_mov_b32 s50, exec_lo
	v_cmpx_lt_u32_e64 v100, v155
	s_cbranch_execz .LBB1016_516
.LBB1016_586:                           ;   in Loop: Header=BB1016_410 Depth=2
	global_load_dwordx2 v[31:32], v[39:40], off offset:768
	s_or_b32 exec_lo, exec_lo, s50
	s_mov_b32 s50, exec_lo
	v_cmpx_lt_u32_e64 v101, v155
	s_cbranch_execz .LBB1016_517
.LBB1016_587:                           ;   in Loop: Header=BB1016_410 Depth=2
	global_load_dwordx2 v[29:30], v[39:40], off offset:1024
	s_or_b32 exec_lo, exec_lo, s50
	s_mov_b32 s50, exec_lo
	v_cmpx_lt_u32_e64 v102, v155
	s_cbranch_execz .LBB1016_518
.LBB1016_588:                           ;   in Loop: Header=BB1016_410 Depth=2
	global_load_dwordx2 v[25:26], v[39:40], off offset:1280
	s_or_b32 exec_lo, exec_lo, s50
	s_mov_b32 s50, exec_lo
	v_cmpx_lt_u32_e64 v103, v155
	s_cbranch_execz .LBB1016_519
.LBB1016_589:                           ;   in Loop: Header=BB1016_410 Depth=2
	global_load_dwordx2 v[21:22], v[39:40], off offset:1536
	s_or_b32 exec_lo, exec_lo, s50
	s_mov_b32 s50, exec_lo
	v_cmpx_lt_u32_e64 v104, v155
	s_cbranch_execz .LBB1016_520
.LBB1016_590:                           ;   in Loop: Header=BB1016_410 Depth=2
	global_load_dwordx2 v[17:18], v[39:40], off offset:1792
	s_or_b32 exec_lo, exec_lo, s50
	s_mov_b32 s50, exec_lo
	v_cmpx_lt_u32_e64 v105, v155
	s_cbranch_execz .LBB1016_521
.LBB1016_591:                           ;   in Loop: Header=BB1016_410 Depth=2
	v_add_co_u32 v27, s40, 0x800, v39
	v_add_co_ci_u32_e64 v28, null, 0, v40, s40
	global_load_dwordx2 v[27:28], v[27:28], off
	s_or_b32 exec_lo, exec_lo, s50
	s_mov_b32 s50, exec_lo
	v_cmpx_lt_u32_e64 v106, v155
	s_cbranch_execz .LBB1016_522
.LBB1016_592:                           ;   in Loop: Header=BB1016_410 Depth=2
	v_add_co_u32 v23, s40, 0x800, v39
	v_add_co_ci_u32_e64 v24, null, 0, v40, s40
	global_load_dwordx2 v[23:24], v[23:24], off offset:256
	s_or_b32 exec_lo, exec_lo, s50
	s_mov_b32 s50, exec_lo
	v_cmpx_lt_u32_e64 v107, v155
	s_cbranch_execz .LBB1016_523
.LBB1016_593:                           ;   in Loop: Header=BB1016_410 Depth=2
	v_add_co_u32 v19, s40, 0x800, v39
	v_add_co_ci_u32_e64 v20, null, 0, v40, s40
	global_load_dwordx2 v[19:20], v[19:20], off offset:512
	s_or_b32 exec_lo, exec_lo, s50
	s_mov_b32 s50, exec_lo
	v_cmpx_lt_u32_e64 v108, v155
	s_cbranch_execz .LBB1016_524
.LBB1016_594:                           ;   in Loop: Header=BB1016_410 Depth=2
	v_add_co_u32 v15, s40, 0x800, v39
	v_add_co_ci_u32_e64 v16, null, 0, v40, s40
	global_load_dwordx2 v[15:16], v[15:16], off offset:768
	s_or_b32 exec_lo, exec_lo, s50
	s_mov_b32 s50, exec_lo
	v_cmpx_lt_u32_e64 v128, v155
	s_cbranch_execz .LBB1016_525
.LBB1016_595:                           ;   in Loop: Header=BB1016_410 Depth=2
	v_add_co_u32 v13, s40, 0x800, v39
	v_add_co_ci_u32_e64 v14, null, 0, v40, s40
	global_load_dwordx2 v[13:14], v[13:14], off offset:1024
	s_or_b32 exec_lo, exec_lo, s50
	s_mov_b32 s50, exec_lo
	v_cmpx_lt_u32_e64 v129, v155
	s_cbranch_execz .LBB1016_526
.LBB1016_596:                           ;   in Loop: Header=BB1016_410 Depth=2
	v_add_co_u32 v11, s40, 0x800, v39
	v_add_co_ci_u32_e64 v12, null, 0, v40, s40
	global_load_dwordx2 v[11:12], v[11:12], off offset:1280
	s_or_b32 exec_lo, exec_lo, s50
	s_mov_b32 s50, exec_lo
	v_cmpx_lt_u32_e64 v130, v155
	s_cbranch_execz .LBB1016_527
.LBB1016_597:                           ;   in Loop: Header=BB1016_410 Depth=2
	v_add_co_u32 v9, s40, 0x800, v39
	v_add_co_ci_u32_e64 v10, null, 0, v40, s40
	global_load_dwordx2 v[9:10], v[9:10], off offset:1536
	s_or_b32 exec_lo, exec_lo, s50
	s_mov_b32 s50, exec_lo
	v_cmpx_lt_u32_e64 v131, v155
	s_cbranch_execz .LBB1016_528
.LBB1016_598:                           ;   in Loop: Header=BB1016_410 Depth=2
	v_add_co_u32 v7, s40, 0x800, v39
	v_add_co_ci_u32_e64 v8, null, 0, v40, s40
	global_load_dwordx2 v[7:8], v[7:8], off offset:1792
	s_or_b32 exec_lo, exec_lo, s50
	s_mov_b32 s50, exec_lo
	v_cmpx_lt_u32_e64 v132, v155
	s_cbranch_execz .LBB1016_529
.LBB1016_599:                           ;   in Loop: Header=BB1016_410 Depth=2
	v_add_co_u32 v5, s40, 0x1000, v39
	v_add_co_ci_u32_e64 v6, null, 0, v40, s40
	global_load_dwordx2 v[5:6], v[5:6], off
	s_or_b32 exec_lo, exec_lo, s50
	s_and_saveexec_b32 s40, vcc_lo
	s_cbranch_execz .LBB1016_530
.LBB1016_600:                           ;   in Loop: Header=BB1016_410 Depth=2
	ds_read_u16 v3, v74 offset:512
	s_waitcnt lgkmcnt(0)
	v_lshrrev_b32_e32 v3, s61, v3
	v_and_b32_e32 v153, s62, v3
	s_or_b32 exec_lo, exec_lo, s40
	s_and_saveexec_b32 s40, s22
	s_cbranch_execz .LBB1016_531
.LBB1016_601:                           ;   in Loop: Header=BB1016_410 Depth=2
	ds_read_u16 v3, v74 offset:1024
	s_waitcnt lgkmcnt(0)
	v_lshrrev_b32_e32 v3, s61, v3
	v_and_b32_e32 v152, s62, v3
	s_or_b32 exec_lo, exec_lo, s40
	s_and_saveexec_b32 s40, s23
	s_cbranch_execz .LBB1016_532
.LBB1016_602:                           ;   in Loop: Header=BB1016_410 Depth=2
	ds_read_u16 v3, v74 offset:1536
	s_waitcnt lgkmcnt(0)
	v_lshrrev_b32_e32 v3, s61, v3
	v_and_b32_e32 v150, s62, v3
	s_or_b32 exec_lo, exec_lo, s40
	s_and_saveexec_b32 s40, s24
	s_cbranch_execz .LBB1016_533
.LBB1016_603:                           ;   in Loop: Header=BB1016_410 Depth=2
	ds_read_u16 v3, v74 offset:2048
	s_waitcnt lgkmcnt(0)
	v_lshrrev_b32_e32 v3, s61, v3
	v_and_b32_e32 v149, s62, v3
	s_or_b32 exec_lo, exec_lo, s40
	s_and_saveexec_b32 s40, s25
	s_cbranch_execz .LBB1016_534
.LBB1016_604:                           ;   in Loop: Header=BB1016_410 Depth=2
	ds_read_u16 v3, v74 offset:2560
	s_waitcnt lgkmcnt(0)
	v_lshrrev_b32_e32 v3, s61, v3
	v_and_b32_e32 v148, s62, v3
	s_or_b32 exec_lo, exec_lo, s40
	s_and_saveexec_b32 s40, s26
	s_cbranch_execz .LBB1016_535
.LBB1016_605:                           ;   in Loop: Header=BB1016_410 Depth=2
	ds_read_u16 v3, v74 offset:3072
	s_waitcnt lgkmcnt(0)
	v_lshrrev_b32_e32 v3, s61, v3
	v_and_b32_e32 v147, s62, v3
	s_or_b32 exec_lo, exec_lo, s40
	s_and_saveexec_b32 s40, s27
	s_cbranch_execz .LBB1016_536
.LBB1016_606:                           ;   in Loop: Header=BB1016_410 Depth=2
	ds_read_u16 v3, v74 offset:3584
	s_waitcnt lgkmcnt(0)
	v_lshrrev_b32_e32 v3, s61, v3
	v_and_b32_e32 v146, s62, v3
	s_or_b32 exec_lo, exec_lo, s40
	s_and_saveexec_b32 s40, s29
	s_cbranch_execz .LBB1016_537
.LBB1016_607:                           ;   in Loop: Header=BB1016_410 Depth=2
	ds_read_u16 v3, v74 offset:4096
	s_waitcnt lgkmcnt(0)
	v_lshrrev_b32_e32 v3, s61, v3
	v_and_b32_e32 v145, s62, v3
	s_or_b32 exec_lo, exec_lo, s40
	s_and_saveexec_b32 s40, s30
	s_cbranch_execz .LBB1016_538
.LBB1016_608:                           ;   in Loop: Header=BB1016_410 Depth=2
	ds_read_u16 v3, v74 offset:4608
	s_waitcnt lgkmcnt(0)
	v_lshrrev_b32_e32 v3, s61, v3
	v_and_b32_e32 v144, s62, v3
	s_or_b32 exec_lo, exec_lo, s40
	s_and_saveexec_b32 s40, s31
	s_cbranch_execz .LBB1016_539
.LBB1016_609:                           ;   in Loop: Header=BB1016_410 Depth=2
	ds_read_u16 v3, v74 offset:5120
	s_waitcnt lgkmcnt(0)
	v_lshrrev_b32_e32 v3, s61, v3
	v_and_b32_e32 v143, s62, v3
	s_or_b32 exec_lo, exec_lo, s40
	s_and_saveexec_b32 s40, s33
	s_cbranch_execz .LBB1016_540
.LBB1016_610:                           ;   in Loop: Header=BB1016_410 Depth=2
	ds_read_u16 v3, v74 offset:5632
	s_waitcnt lgkmcnt(0)
	v_lshrrev_b32_e32 v3, s61, v3
	v_and_b32_e32 v142, s62, v3
	s_or_b32 exec_lo, exec_lo, s40
	s_and_saveexec_b32 s40, s34
	s_cbranch_execz .LBB1016_541
.LBB1016_611:                           ;   in Loop: Header=BB1016_410 Depth=2
	ds_read_u16 v3, v74 offset:6144
	s_waitcnt lgkmcnt(0)
	v_lshrrev_b32_e32 v3, s61, v3
	v_and_b32_e32 v141, s62, v3
	s_or_b32 exec_lo, exec_lo, s40
	s_and_saveexec_b32 s40, s35
	s_cbranch_execz .LBB1016_542
.LBB1016_612:                           ;   in Loop: Header=BB1016_410 Depth=2
	ds_read_u16 v3, v74 offset:6656
	s_waitcnt lgkmcnt(0)
	v_lshrrev_b32_e32 v3, s61, v3
	v_and_b32_e32 v140, s62, v3
	s_or_b32 exec_lo, exec_lo, s40
	s_and_saveexec_b32 s40, s36
	s_cbranch_execz .LBB1016_543
.LBB1016_613:                           ;   in Loop: Header=BB1016_410 Depth=2
	ds_read_u16 v3, v74 offset:7168
	s_waitcnt lgkmcnt(0)
	v_lshrrev_b32_e32 v3, s61, v3
	v_and_b32_e32 v139, s62, v3
	s_or_b32 exec_lo, exec_lo, s40
	s_and_saveexec_b32 s40, s37
	s_cbranch_execz .LBB1016_544
.LBB1016_614:                           ;   in Loop: Header=BB1016_410 Depth=2
	ds_read_u16 v3, v74 offset:7680
	s_waitcnt lgkmcnt(0)
	v_lshrrev_b32_e32 v3, s61, v3
	v_and_b32_e32 v138, s62, v3
	s_or_b32 exec_lo, exec_lo, s40
	s_and_saveexec_b32 s40, s38
	s_cbranch_execz .LBB1016_545
.LBB1016_615:                           ;   in Loop: Header=BB1016_410 Depth=2
	ds_read_u16 v3, v74 offset:8192
	s_waitcnt lgkmcnt(0)
	v_lshrrev_b32_e32 v3, s61, v3
	v_and_b32_e32 v137, s62, v3
	s_or_b32 exec_lo, exec_lo, s40
	s_and_saveexec_b32 s40, s39
	s_cbranch_execnz .LBB1016_546
	s_branch .LBB1016_547
.LBB1016_616:                           ;   in Loop: Header=BB1016_410 Depth=2
	v_lshlrev_b32_e32 v3, 2, v153
	v_add_nc_u32_e32 v39, v74, v75
	ds_read_b32 v3, v3
	ds_read_b64 v[39:40], v39 offset:512
	s_waitcnt lgkmcnt(1)
	v_add_nc_u32_e32 v3, v3, v0
	v_lshlrev_b64 v[41:42], 3, v[3:4]
	v_add_co_u32 v41, vcc_lo, s54, v41
	v_add_co_ci_u32_e64 v42, null, s55, v42, vcc_lo
	s_waitcnt lgkmcnt(0)
	global_store_dwordx2 v[41:42], v[39:40], off
	s_or_b32 exec_lo, exec_lo, s40
	s_and_saveexec_b32 s40, s22
	s_cbranch_execz .LBB1016_549
.LBB1016_617:                           ;   in Loop: Header=BB1016_410 Depth=2
	v_lshlrev_b32_e32 v3, 2, v152
	v_add_nc_u32_e32 v39, v74, v75
	ds_read_b32 v3, v3
	ds_read_b64 v[39:40], v39 offset:2560
	s_waitcnt lgkmcnt(1)
	v_add_nc_u32_e32 v3, v3, v44
	v_lshlrev_b64 v[41:42], 3, v[3:4]
	v_add_co_u32 v41, vcc_lo, s54, v41
	v_add_co_ci_u32_e64 v42, null, s55, v42, vcc_lo
	s_waitcnt lgkmcnt(0)
	global_store_dwordx2 v[41:42], v[39:40], off
	s_or_b32 exec_lo, exec_lo, s40
	s_and_saveexec_b32 s22, s23
	s_cbranch_execz .LBB1016_550
.LBB1016_618:                           ;   in Loop: Header=BB1016_410 Depth=2
	v_lshlrev_b32_e32 v3, 2, v150
	v_add_nc_u32_e32 v39, v74, v75
	ds_read_b32 v3, v3
	ds_read_b64 v[39:40], v39 offset:4608
	s_waitcnt lgkmcnt(1)
	v_add_nc_u32_e32 v3, v3, v47
	v_lshlrev_b64 v[41:42], 3, v[3:4]
	v_add_co_u32 v41, vcc_lo, s54, v41
	v_add_co_ci_u32_e64 v42, null, s55, v42, vcc_lo
	s_waitcnt lgkmcnt(0)
	global_store_dwordx2 v[41:42], v[39:40], off
	s_or_b32 exec_lo, exec_lo, s22
	s_and_saveexec_b32 s22, s24
	s_cbranch_execz .LBB1016_551
.LBB1016_619:                           ;   in Loop: Header=BB1016_410 Depth=2
	v_lshlrev_b32_e32 v3, 2, v149
	v_add_nc_u32_e32 v39, v74, v75
	ds_read_b32 v3, v3
	ds_read_b64 v[39:40], v39 offset:6656
	s_waitcnt lgkmcnt(1)
	v_add_nc_u32_e32 v3, v3, v48
	v_lshlrev_b64 v[41:42], 3, v[3:4]
	v_add_co_u32 v41, vcc_lo, s54, v41
	v_add_co_ci_u32_e64 v42, null, s55, v42, vcc_lo
	s_waitcnt lgkmcnt(0)
	global_store_dwordx2 v[41:42], v[39:40], off
	s_or_b32 exec_lo, exec_lo, s22
	s_and_saveexec_b32 s22, s25
	s_cbranch_execz .LBB1016_552
.LBB1016_620:                           ;   in Loop: Header=BB1016_410 Depth=2
	v_lshlrev_b32_e32 v3, 2, v148
	v_add_nc_u32_e32 v39, v74, v75
	ds_read_b32 v3, v3
	ds_read_b64 v[39:40], v39 offset:8704
	s_waitcnt lgkmcnt(1)
	v_add_nc_u32_e32 v3, v3, v49
	v_lshlrev_b64 v[41:42], 3, v[3:4]
	v_add_co_u32 v41, vcc_lo, s54, v41
	v_add_co_ci_u32_e64 v42, null, s55, v42, vcc_lo
	s_waitcnt lgkmcnt(0)
	global_store_dwordx2 v[41:42], v[39:40], off
	s_or_b32 exec_lo, exec_lo, s22
	s_and_saveexec_b32 s22, s26
	s_cbranch_execz .LBB1016_553
.LBB1016_621:                           ;   in Loop: Header=BB1016_410 Depth=2
	v_lshlrev_b32_e32 v3, 2, v147
	v_add_nc_u32_e32 v39, v74, v75
	ds_read_b32 v3, v3
	ds_read_b64 v[39:40], v39 offset:10752
	s_waitcnt lgkmcnt(1)
	v_add_nc_u32_e32 v3, v3, v50
	v_lshlrev_b64 v[41:42], 3, v[3:4]
	v_add_co_u32 v41, vcc_lo, s54, v41
	v_add_co_ci_u32_e64 v42, null, s55, v42, vcc_lo
	s_waitcnt lgkmcnt(0)
	global_store_dwordx2 v[41:42], v[39:40], off
	s_or_b32 exec_lo, exec_lo, s22
	s_and_saveexec_b32 s22, s27
	s_cbranch_execz .LBB1016_554
.LBB1016_622:                           ;   in Loop: Header=BB1016_410 Depth=2
	v_lshlrev_b32_e32 v3, 2, v146
	v_add_nc_u32_e32 v39, v74, v75
	ds_read_b32 v3, v3
	ds_read_b64 v[39:40], v39 offset:12800
	s_waitcnt lgkmcnt(1)
	v_add_nc_u32_e32 v3, v3, v51
	v_lshlrev_b64 v[41:42], 3, v[3:4]
	v_add_co_u32 v41, vcc_lo, s54, v41
	v_add_co_ci_u32_e64 v42, null, s55, v42, vcc_lo
	s_waitcnt lgkmcnt(0)
	global_store_dwordx2 v[41:42], v[39:40], off
	s_or_b32 exec_lo, exec_lo, s22
	s_and_saveexec_b32 s22, s29
	s_cbranch_execz .LBB1016_555
.LBB1016_623:                           ;   in Loop: Header=BB1016_410 Depth=2
	v_lshlrev_b32_e32 v3, 2, v145
	v_add_nc_u32_e32 v39, v74, v75
	ds_read_b32 v3, v3
	ds_read_b64 v[39:40], v39 offset:14848
	s_waitcnt lgkmcnt(1)
	v_add_nc_u32_e32 v3, v3, v52
	v_lshlrev_b64 v[41:42], 3, v[3:4]
	v_add_co_u32 v41, vcc_lo, s54, v41
	v_add_co_ci_u32_e64 v42, null, s55, v42, vcc_lo
	s_waitcnt lgkmcnt(0)
	global_store_dwordx2 v[41:42], v[39:40], off
	s_or_b32 exec_lo, exec_lo, s22
	s_and_saveexec_b32 s22, s30
	s_cbranch_execz .LBB1016_556
.LBB1016_624:                           ;   in Loop: Header=BB1016_410 Depth=2
	v_lshlrev_b32_e32 v3, 2, v144
	v_add_nc_u32_e32 v39, v74, v75
	ds_read_b32 v3, v3
	ds_read_b64 v[39:40], v39 offset:16896
	s_waitcnt lgkmcnt(1)
	v_add_nc_u32_e32 v3, v3, v53
	v_lshlrev_b64 v[41:42], 3, v[3:4]
	v_add_co_u32 v41, vcc_lo, s54, v41
	v_add_co_ci_u32_e64 v42, null, s55, v42, vcc_lo
	s_waitcnt lgkmcnt(0)
	global_store_dwordx2 v[41:42], v[39:40], off
	s_or_b32 exec_lo, exec_lo, s22
	s_and_saveexec_b32 s22, s31
	s_cbranch_execz .LBB1016_557
.LBB1016_625:                           ;   in Loop: Header=BB1016_410 Depth=2
	v_lshlrev_b32_e32 v3, 2, v143
	v_add_nc_u32_e32 v39, v74, v75
	ds_read_b32 v3, v3
	ds_read_b64 v[39:40], v39 offset:18944
	s_waitcnt lgkmcnt(1)
	v_add_nc_u32_e32 v3, v3, v54
	v_lshlrev_b64 v[41:42], 3, v[3:4]
	v_add_co_u32 v41, vcc_lo, s54, v41
	v_add_co_ci_u32_e64 v42, null, s55, v42, vcc_lo
	s_waitcnt lgkmcnt(0)
	global_store_dwordx2 v[41:42], v[39:40], off
	s_or_b32 exec_lo, exec_lo, s22
	s_and_saveexec_b32 s22, s33
	s_cbranch_execz .LBB1016_558
.LBB1016_626:                           ;   in Loop: Header=BB1016_410 Depth=2
	v_lshlrev_b32_e32 v3, 2, v142
	v_add_nc_u32_e32 v39, v74, v75
	ds_read_b32 v3, v3
	ds_read_b64 v[39:40], v39 offset:20992
	s_waitcnt lgkmcnt(1)
	v_add_nc_u32_e32 v3, v3, v55
	v_lshlrev_b64 v[41:42], 3, v[3:4]
	v_add_co_u32 v41, vcc_lo, s54, v41
	v_add_co_ci_u32_e64 v42, null, s55, v42, vcc_lo
	s_waitcnt lgkmcnt(0)
	global_store_dwordx2 v[41:42], v[39:40], off
	s_or_b32 exec_lo, exec_lo, s22
	s_and_saveexec_b32 s22, s34
	s_cbranch_execz .LBB1016_559
.LBB1016_627:                           ;   in Loop: Header=BB1016_410 Depth=2
	v_lshlrev_b32_e32 v3, 2, v141
	v_add_nc_u32_e32 v39, v74, v75
	ds_read_b32 v3, v3
	ds_read_b64 v[39:40], v39 offset:23040
	s_waitcnt lgkmcnt(1)
	v_add_nc_u32_e32 v3, v3, v56
	v_lshlrev_b64 v[41:42], 3, v[3:4]
	v_add_co_u32 v41, vcc_lo, s54, v41
	v_add_co_ci_u32_e64 v42, null, s55, v42, vcc_lo
	s_waitcnt lgkmcnt(0)
	global_store_dwordx2 v[41:42], v[39:40], off
	s_or_b32 exec_lo, exec_lo, s22
	s_and_saveexec_b32 s22, s35
	s_cbranch_execz .LBB1016_560
.LBB1016_628:                           ;   in Loop: Header=BB1016_410 Depth=2
	v_lshlrev_b32_e32 v3, 2, v140
	v_add_nc_u32_e32 v39, v74, v75
	ds_read_b32 v3, v3
	ds_read_b64 v[39:40], v39 offset:25088
	s_waitcnt lgkmcnt(1)
	v_add_nc_u32_e32 v3, v3, v57
	v_lshlrev_b64 v[41:42], 3, v[3:4]
	v_add_co_u32 v41, vcc_lo, s54, v41
	v_add_co_ci_u32_e64 v42, null, s55, v42, vcc_lo
	s_waitcnt lgkmcnt(0)
	global_store_dwordx2 v[41:42], v[39:40], off
	s_or_b32 exec_lo, exec_lo, s22
	s_and_saveexec_b32 s22, s36
	s_cbranch_execz .LBB1016_561
.LBB1016_629:                           ;   in Loop: Header=BB1016_410 Depth=2
	v_lshlrev_b32_e32 v3, 2, v139
	v_add_nc_u32_e32 v39, v74, v75
	ds_read_b32 v3, v3
	ds_read_b64 v[39:40], v39 offset:27136
	s_waitcnt lgkmcnt(1)
	v_add_nc_u32_e32 v3, v3, v58
	v_lshlrev_b64 v[41:42], 3, v[3:4]
	v_add_co_u32 v41, vcc_lo, s54, v41
	v_add_co_ci_u32_e64 v42, null, s55, v42, vcc_lo
	s_waitcnt lgkmcnt(0)
	global_store_dwordx2 v[41:42], v[39:40], off
	s_or_b32 exec_lo, exec_lo, s22
	s_and_saveexec_b32 s22, s37
	s_cbranch_execz .LBB1016_562
.LBB1016_630:                           ;   in Loop: Header=BB1016_410 Depth=2
	v_lshlrev_b32_e32 v3, 2, v138
	v_add_nc_u32_e32 v39, v74, v75
	ds_read_b32 v3, v3
	ds_read_b64 v[39:40], v39 offset:29184
	s_waitcnt lgkmcnt(1)
	v_add_nc_u32_e32 v3, v3, v59
	v_lshlrev_b64 v[41:42], 3, v[3:4]
	v_add_co_u32 v41, vcc_lo, s54, v41
	v_add_co_ci_u32_e64 v42, null, s55, v42, vcc_lo
	s_waitcnt lgkmcnt(0)
	global_store_dwordx2 v[41:42], v[39:40], off
	s_or_b32 exec_lo, exec_lo, s22
	s_and_saveexec_b32 s22, s38
	s_cbranch_execz .LBB1016_563
.LBB1016_631:                           ;   in Loop: Header=BB1016_410 Depth=2
	v_lshlrev_b32_e32 v3, 2, v137
	v_add_nc_u32_e32 v39, v74, v75
	ds_read_b32 v3, v3
	ds_read_b64 v[39:40], v39 offset:31232
	s_waitcnt lgkmcnt(1)
	v_add_nc_u32_e32 v3, v3, v60
	v_lshlrev_b64 v[41:42], 3, v[3:4]
	v_add_co_u32 v41, vcc_lo, s54, v41
	v_add_co_ci_u32_e64 v42, null, s55, v42, vcc_lo
	s_waitcnt lgkmcnt(0)
	global_store_dwordx2 v[41:42], v[39:40], off
	s_or_b32 exec_lo, exec_lo, s22
	s_and_saveexec_b32 s22, s39
	s_cbranch_execnz .LBB1016_564
	s_branch .LBB1016_565
.LBB1016_632:                           ;   in Loop: Header=BB1016_12 Depth=1
	s_waitcnt lgkmcnt(0)
	s_barrier
.LBB1016_633:                           ;   in Loop: Header=BB1016_12 Depth=1
	s_mov_b32 s5, 0
.LBB1016_634:                           ;   in Loop: Header=BB1016_12 Depth=1
	s_andn2_b32 vcc_lo, exec_lo, s5
	s_cbranch_vccnz .LBB1016_11
; %bb.635:                              ;   in Loop: Header=BB1016_12 Depth=1
	s_and_b32 vcc_lo, exec_lo, s43
	s_mov_b32 s5, -1
	s_cbranch_vccz .LBB1016_945
; %bb.636:                              ;   in Loop: Header=BB1016_12 Depth=1
	s_mov_b32 s5, s60
	s_mov_b32 s50, s58
	s_barrier
	buffer_gl0_inv
                                        ; implicit-def: $vgpr3
                                        ; implicit-def: $vgpr5
                                        ; implicit-def: $vgpr6
                                        ; implicit-def: $vgpr7
                                        ; implicit-def: $vgpr8
                                        ; implicit-def: $vgpr9
                                        ; implicit-def: $vgpr10
                                        ; implicit-def: $vgpr11
                                        ; implicit-def: $vgpr12
                                        ; implicit-def: $vgpr13
                                        ; implicit-def: $vgpr14
                                        ; implicit-def: $vgpr15
                                        ; implicit-def: $vgpr16
                                        ; implicit-def: $vgpr17
                                        ; implicit-def: $vgpr18
                                        ; implicit-def: $vgpr19
                                        ; implicit-def: $vgpr20
	s_branch .LBB1016_638
.LBB1016_637:                           ;   in Loop: Header=BB1016_638 Depth=2
	s_or_b32 exec_lo, exec_lo, s16
	s_addk_i32 s5, 0xef00
	s_cmp_ge_u32 s15, s59
	s_mov_b32 s50, s15
	s_cbranch_scc1 .LBB1016_710
.LBB1016_638:                           ;   Parent Loop BB1016_12 Depth=1
                                        ; =>  This Inner Loop Header: Depth=2
	s_add_i32 s15, s50, 0x1100
	s_mov_b32 s16, -1
	s_cmp_gt_u32 s15, s59
                                        ; implicit-def: $vgpr21
                                        ; implicit-def: $vgpr22
                                        ; implicit-def: $vgpr23
                                        ; implicit-def: $vgpr24
                                        ; implicit-def: $vgpr28
                                        ; implicit-def: $vgpr25
                                        ; implicit-def: $vgpr26
                                        ; implicit-def: $vgpr27
                                        ; implicit-def: $vgpr30
                                        ; implicit-def: $vgpr29
                                        ; implicit-def: $vgpr31
                                        ; implicit-def: $vgpr32
                                        ; implicit-def: $vgpr33
                                        ; implicit-def: $vgpr34
                                        ; implicit-def: $vgpr35
                                        ; implicit-def: $vgpr36
                                        ; implicit-def: $vgpr37
	s_cbranch_scc1 .LBB1016_640
; %bb.639:                              ;   in Loop: Header=BB1016_638 Depth=2
	s_lshl_b64 s[16:17], s[50:51], 1
	v_add_co_u32 v30, vcc_lo, v82, s16
	v_add_co_ci_u32_e64 v31, null, s17, v83, vcc_lo
	s_mov_b32 s16, 0
	v_add_co_u32 v27, vcc_lo, 0x800, v30
	v_add_co_ci_u32_e64 v28, null, 0, v31, vcc_lo
	v_add_co_u32 v32, vcc_lo, v30, 0x1000
	v_add_co_ci_u32_e64 v33, null, 0, v31, vcc_lo
	;; [unrolled: 2-line block ×5, first 2 shown]
	s_clause 0x10
	global_load_ushort v21, v[30:31], off
	global_load_ushort v22, v[30:31], off offset:512
	global_load_ushort v23, v[30:31], off offset:1024
	;; [unrolled: 1-line block ×7, first 2 shown]
	global_load_ushort v28, v[32:33], off offset:-2048
	global_load_ushort v30, v[32:33], off
	global_load_ushort v31, v[34:35], off offset:1024
	global_load_ushort v32, v[34:35], off offset:1536
	global_load_ushort v33, v[38:39], off offset:-2048
	global_load_ushort v34, v[36:37], off offset:512
	global_load_ushort v35, v[36:37], off offset:1024
	;; [unrolled: 1-line block ×3, first 2 shown]
	global_load_ushort v37, v[38:39], off
.LBB1016_640:                           ;   in Loop: Header=BB1016_638 Depth=2
	s_andn2_b32 vcc_lo, exec_lo, s16
	s_movk_i32 s16, 0x1100
	s_cbranch_vccnz .LBB1016_660
; %bb.641:                              ;   in Loop: Header=BB1016_638 Depth=2
	s_lshl_b64 s[16:17], s[50:51], 1
	s_mov_b32 s18, exec_lo
	s_add_u32 s16, s44, s16
	s_addc_u32 s17, s45, s17
	v_cmpx_gt_u32_e64 s5, v0
	s_cbranch_execnz .LBB1016_694
; %bb.642:                              ;   in Loop: Header=BB1016_638 Depth=2
	s_or_b32 exec_lo, exec_lo, s18
	s_mov_b32 s18, exec_lo
	v_cmpx_gt_u32_e64 s5, v44
	s_cbranch_execnz .LBB1016_695
.LBB1016_643:                           ;   in Loop: Header=BB1016_638 Depth=2
	s_or_b32 exec_lo, exec_lo, s18
	s_mov_b32 s18, exec_lo
	v_cmpx_gt_u32_e64 s5, v47
	s_cbranch_execnz .LBB1016_696
.LBB1016_644:                           ;   in Loop: Header=BB1016_638 Depth=2
	s_or_b32 exec_lo, exec_lo, s18
	s_mov_b32 s18, exec_lo
	v_cmpx_gt_u32_e64 s5, v48
	s_cbranch_execnz .LBB1016_697
.LBB1016_645:                           ;   in Loop: Header=BB1016_638 Depth=2
	s_or_b32 exec_lo, exec_lo, s18
	s_mov_b32 s18, exec_lo
	v_cmpx_gt_u32_e64 s5, v49
	s_cbranch_execnz .LBB1016_698
.LBB1016_646:                           ;   in Loop: Header=BB1016_638 Depth=2
	s_or_b32 exec_lo, exec_lo, s18
	s_mov_b32 s18, exec_lo
	v_cmpx_gt_u32_e64 s5, v50
	s_cbranch_execnz .LBB1016_699
.LBB1016_647:                           ;   in Loop: Header=BB1016_638 Depth=2
	s_or_b32 exec_lo, exec_lo, s18
	s_mov_b32 s18, exec_lo
	v_cmpx_gt_u32_e64 s5, v51
	s_cbranch_execnz .LBB1016_700
.LBB1016_648:                           ;   in Loop: Header=BB1016_638 Depth=2
	s_or_b32 exec_lo, exec_lo, s18
	s_mov_b32 s18, exec_lo
	v_cmpx_gt_u32_e64 s5, v52
	s_cbranch_execnz .LBB1016_701
.LBB1016_649:                           ;   in Loop: Header=BB1016_638 Depth=2
	s_or_b32 exec_lo, exec_lo, s18
	s_mov_b32 s18, exec_lo
	v_cmpx_gt_u32_e64 s5, v53
	s_cbranch_execnz .LBB1016_702
.LBB1016_650:                           ;   in Loop: Header=BB1016_638 Depth=2
	s_or_b32 exec_lo, exec_lo, s18
	s_mov_b32 s18, exec_lo
	v_cmpx_gt_u32_e64 s5, v54
	s_cbranch_execnz .LBB1016_703
.LBB1016_651:                           ;   in Loop: Header=BB1016_638 Depth=2
	s_or_b32 exec_lo, exec_lo, s18
	s_mov_b32 s18, exec_lo
	v_cmpx_gt_u32_e64 s5, v55
	s_cbranch_execnz .LBB1016_704
.LBB1016_652:                           ;   in Loop: Header=BB1016_638 Depth=2
	s_or_b32 exec_lo, exec_lo, s18
	s_mov_b32 s18, exec_lo
	v_cmpx_gt_u32_e64 s5, v56
	s_cbranch_execnz .LBB1016_705
.LBB1016_653:                           ;   in Loop: Header=BB1016_638 Depth=2
	s_or_b32 exec_lo, exec_lo, s18
	s_mov_b32 s18, exec_lo
	v_cmpx_gt_u32_e64 s5, v57
	s_cbranch_execnz .LBB1016_706
.LBB1016_654:                           ;   in Loop: Header=BB1016_638 Depth=2
	s_or_b32 exec_lo, exec_lo, s18
	s_mov_b32 s18, exec_lo
	v_cmpx_gt_u32_e64 s5, v58
	s_cbranch_execnz .LBB1016_707
.LBB1016_655:                           ;   in Loop: Header=BB1016_638 Depth=2
	s_or_b32 exec_lo, exec_lo, s18
	s_mov_b32 s18, exec_lo
	v_cmpx_gt_u32_e64 s5, v59
	s_cbranch_execnz .LBB1016_708
.LBB1016_656:                           ;   in Loop: Header=BB1016_638 Depth=2
	s_or_b32 exec_lo, exec_lo, s18
	s_mov_b32 s18, exec_lo
	v_cmpx_gt_u32_e64 s5, v60
	s_cbranch_execnz .LBB1016_709
.LBB1016_657:                           ;   in Loop: Header=BB1016_638 Depth=2
	s_or_b32 exec_lo, exec_lo, s18
	s_mov_b32 s18, exec_lo
	v_cmpx_gt_u32_e64 s5, v61
	s_cbranch_execz .LBB1016_659
.LBB1016_658:                           ;   in Loop: Header=BB1016_638 Depth=2
	global_load_ushort v3, v122, s[16:17]
.LBB1016_659:                           ;   in Loop: Header=BB1016_638 Depth=2
	s_or_b32 exec_lo, exec_lo, s18
	s_waitcnt vmcnt(0)
	v_mov_b32_e32 v21, v20
	v_mov_b32_e32 v22, v19
	;; [unrolled: 1-line block ×17, first 2 shown]
	s_mov_b32 s16, s5
.LBB1016_660:                           ;   in Loop: Header=BB1016_638 Depth=2
	s_waitcnt vmcnt(0)
	v_mov_b32_e32 v3, v37
	v_mov_b32_e32 v5, v36
	;; [unrolled: 1-line block ×17, first 2 shown]
	s_mov_b32 s17, exec_lo
	v_cmpx_gt_u32_e64 s16, v0
	s_cbranch_execnz .LBB1016_677
; %bb.661:                              ;   in Loop: Header=BB1016_638 Depth=2
	s_or_b32 exec_lo, exec_lo, s17
	s_mov_b32 s17, exec_lo
	v_cmpx_gt_u32_e64 s16, v44
	s_cbranch_execnz .LBB1016_678
.LBB1016_662:                           ;   in Loop: Header=BB1016_638 Depth=2
	s_or_b32 exec_lo, exec_lo, s17
	s_mov_b32 s17, exec_lo
	v_cmpx_gt_u32_e64 s16, v47
	s_cbranch_execnz .LBB1016_679
.LBB1016_663:                           ;   in Loop: Header=BB1016_638 Depth=2
	s_or_b32 exec_lo, exec_lo, s17
	s_mov_b32 s17, exec_lo
	v_cmpx_gt_u32_e64 s16, v48
	s_cbranch_execnz .LBB1016_680
.LBB1016_664:                           ;   in Loop: Header=BB1016_638 Depth=2
	s_or_b32 exec_lo, exec_lo, s17
	s_mov_b32 s17, exec_lo
	v_cmpx_gt_u32_e64 s16, v49
	s_cbranch_execnz .LBB1016_681
.LBB1016_665:                           ;   in Loop: Header=BB1016_638 Depth=2
	s_or_b32 exec_lo, exec_lo, s17
	s_mov_b32 s17, exec_lo
	v_cmpx_gt_u32_e64 s16, v50
	s_cbranch_execnz .LBB1016_682
.LBB1016_666:                           ;   in Loop: Header=BB1016_638 Depth=2
	s_or_b32 exec_lo, exec_lo, s17
	s_mov_b32 s17, exec_lo
	v_cmpx_gt_u32_e64 s16, v51
	s_cbranch_execnz .LBB1016_683
.LBB1016_667:                           ;   in Loop: Header=BB1016_638 Depth=2
	s_or_b32 exec_lo, exec_lo, s17
	s_mov_b32 s17, exec_lo
	v_cmpx_gt_u32_e64 s16, v52
	s_cbranch_execnz .LBB1016_684
.LBB1016_668:                           ;   in Loop: Header=BB1016_638 Depth=2
	s_or_b32 exec_lo, exec_lo, s17
	s_mov_b32 s17, exec_lo
	v_cmpx_gt_u32_e64 s16, v53
	s_cbranch_execnz .LBB1016_685
.LBB1016_669:                           ;   in Loop: Header=BB1016_638 Depth=2
	s_or_b32 exec_lo, exec_lo, s17
	s_mov_b32 s17, exec_lo
	v_cmpx_gt_u32_e64 s16, v54
	s_cbranch_execnz .LBB1016_686
.LBB1016_670:                           ;   in Loop: Header=BB1016_638 Depth=2
	s_or_b32 exec_lo, exec_lo, s17
	s_mov_b32 s17, exec_lo
	v_cmpx_gt_u32_e64 s16, v55
	s_cbranch_execnz .LBB1016_687
.LBB1016_671:                           ;   in Loop: Header=BB1016_638 Depth=2
	s_or_b32 exec_lo, exec_lo, s17
	s_mov_b32 s17, exec_lo
	v_cmpx_gt_u32_e64 s16, v56
	s_cbranch_execnz .LBB1016_688
.LBB1016_672:                           ;   in Loop: Header=BB1016_638 Depth=2
	s_or_b32 exec_lo, exec_lo, s17
	s_mov_b32 s17, exec_lo
	v_cmpx_gt_u32_e64 s16, v57
	s_cbranch_execnz .LBB1016_689
.LBB1016_673:                           ;   in Loop: Header=BB1016_638 Depth=2
	s_or_b32 exec_lo, exec_lo, s17
	s_mov_b32 s17, exec_lo
	v_cmpx_gt_u32_e64 s16, v58
	s_cbranch_execnz .LBB1016_690
.LBB1016_674:                           ;   in Loop: Header=BB1016_638 Depth=2
	s_or_b32 exec_lo, exec_lo, s17
	s_mov_b32 s17, exec_lo
	v_cmpx_gt_u32_e64 s16, v59
	s_cbranch_execnz .LBB1016_691
.LBB1016_675:                           ;   in Loop: Header=BB1016_638 Depth=2
	s_or_b32 exec_lo, exec_lo, s17
	s_mov_b32 s17, exec_lo
	v_cmpx_gt_u32_e64 s16, v60
	s_cbranch_execnz .LBB1016_692
.LBB1016_676:                           ;   in Loop: Header=BB1016_638 Depth=2
	s_or_b32 exec_lo, exec_lo, s17
	v_cmp_gt_u32_e32 vcc_lo, s16, v61
	s_and_saveexec_b32 s16, vcc_lo
	s_cbranch_execz .LBB1016_637
	s_branch .LBB1016_693
.LBB1016_677:                           ;   in Loop: Header=BB1016_638 Depth=2
	v_xor_b32_e32 v21, 0xffff8000, v20
	v_lshrrev_b32_sdwa v21, s41, v21 dst_sel:DWORD dst_unused:UNUSED_PAD src0_sel:DWORD src1_sel:WORD_0
	v_and_b32_e32 v21, s62, v21
	v_lshl_or_b32 v21, v21, 4, v63
	ds_add_u32 v21, v89
	s_or_b32 exec_lo, exec_lo, s17
	s_mov_b32 s17, exec_lo
	v_cmpx_gt_u32_e64 s16, v44
	s_cbranch_execz .LBB1016_662
.LBB1016_678:                           ;   in Loop: Header=BB1016_638 Depth=2
	v_xor_b32_e32 v21, 0xffff8000, v19
	v_lshrrev_b32_sdwa v21, s41, v21 dst_sel:DWORD dst_unused:UNUSED_PAD src0_sel:DWORD src1_sel:WORD_0
	v_and_b32_e32 v21, s62, v21
	v_lshl_or_b32 v21, v21, 4, v63
	ds_add_u32 v21, v89
	s_or_b32 exec_lo, exec_lo, s17
	s_mov_b32 s17, exec_lo
	v_cmpx_gt_u32_e64 s16, v47
	s_cbranch_execz .LBB1016_663
.LBB1016_679:                           ;   in Loop: Header=BB1016_638 Depth=2
	v_xor_b32_e32 v21, 0xffff8000, v18
	v_lshrrev_b32_sdwa v21, s41, v21 dst_sel:DWORD dst_unused:UNUSED_PAD src0_sel:DWORD src1_sel:WORD_0
	v_and_b32_e32 v21, s62, v21
	v_lshl_or_b32 v21, v21, 4, v63
	ds_add_u32 v21, v89
	s_or_b32 exec_lo, exec_lo, s17
	s_mov_b32 s17, exec_lo
	v_cmpx_gt_u32_e64 s16, v48
	s_cbranch_execz .LBB1016_664
.LBB1016_680:                           ;   in Loop: Header=BB1016_638 Depth=2
	v_xor_b32_e32 v21, 0xffff8000, v17
	v_lshrrev_b32_sdwa v21, s41, v21 dst_sel:DWORD dst_unused:UNUSED_PAD src0_sel:DWORD src1_sel:WORD_0
	v_and_b32_e32 v21, s62, v21
	v_lshl_or_b32 v21, v21, 4, v63
	ds_add_u32 v21, v89
	s_or_b32 exec_lo, exec_lo, s17
	s_mov_b32 s17, exec_lo
	v_cmpx_gt_u32_e64 s16, v49
	s_cbranch_execz .LBB1016_665
.LBB1016_681:                           ;   in Loop: Header=BB1016_638 Depth=2
	v_xor_b32_e32 v21, 0xffff8000, v16
	v_lshrrev_b32_sdwa v21, s41, v21 dst_sel:DWORD dst_unused:UNUSED_PAD src0_sel:DWORD src1_sel:WORD_0
	v_and_b32_e32 v21, s62, v21
	v_lshl_or_b32 v21, v21, 4, v63
	ds_add_u32 v21, v89
	s_or_b32 exec_lo, exec_lo, s17
	s_mov_b32 s17, exec_lo
	v_cmpx_gt_u32_e64 s16, v50
	s_cbranch_execz .LBB1016_666
.LBB1016_682:                           ;   in Loop: Header=BB1016_638 Depth=2
	v_xor_b32_e32 v21, 0xffff8000, v15
	v_lshrrev_b32_sdwa v21, s41, v21 dst_sel:DWORD dst_unused:UNUSED_PAD src0_sel:DWORD src1_sel:WORD_0
	v_and_b32_e32 v21, s62, v21
	v_lshl_or_b32 v21, v21, 4, v63
	ds_add_u32 v21, v89
	s_or_b32 exec_lo, exec_lo, s17
	s_mov_b32 s17, exec_lo
	v_cmpx_gt_u32_e64 s16, v51
	s_cbranch_execz .LBB1016_667
.LBB1016_683:                           ;   in Loop: Header=BB1016_638 Depth=2
	v_xor_b32_e32 v21, 0xffff8000, v14
	v_lshrrev_b32_sdwa v21, s41, v21 dst_sel:DWORD dst_unused:UNUSED_PAD src0_sel:DWORD src1_sel:WORD_0
	v_and_b32_e32 v21, s62, v21
	v_lshl_or_b32 v21, v21, 4, v63
	ds_add_u32 v21, v89
	s_or_b32 exec_lo, exec_lo, s17
	s_mov_b32 s17, exec_lo
	v_cmpx_gt_u32_e64 s16, v52
	s_cbranch_execz .LBB1016_668
.LBB1016_684:                           ;   in Loop: Header=BB1016_638 Depth=2
	v_xor_b32_e32 v21, 0xffff8000, v13
	v_lshrrev_b32_sdwa v21, s41, v21 dst_sel:DWORD dst_unused:UNUSED_PAD src0_sel:DWORD src1_sel:WORD_0
	v_and_b32_e32 v21, s62, v21
	v_lshl_or_b32 v21, v21, 4, v63
	ds_add_u32 v21, v89
	s_or_b32 exec_lo, exec_lo, s17
	s_mov_b32 s17, exec_lo
	v_cmpx_gt_u32_e64 s16, v53
	s_cbranch_execz .LBB1016_669
.LBB1016_685:                           ;   in Loop: Header=BB1016_638 Depth=2
	v_xor_b32_e32 v21, 0xffff8000, v12
	v_lshrrev_b32_sdwa v21, s41, v21 dst_sel:DWORD dst_unused:UNUSED_PAD src0_sel:DWORD src1_sel:WORD_0
	v_and_b32_e32 v21, s62, v21
	v_lshl_or_b32 v21, v21, 4, v63
	ds_add_u32 v21, v89
	s_or_b32 exec_lo, exec_lo, s17
	s_mov_b32 s17, exec_lo
	v_cmpx_gt_u32_e64 s16, v54
	s_cbranch_execz .LBB1016_670
.LBB1016_686:                           ;   in Loop: Header=BB1016_638 Depth=2
	v_xor_b32_e32 v21, 0xffff8000, v11
	v_lshrrev_b32_sdwa v21, s41, v21 dst_sel:DWORD dst_unused:UNUSED_PAD src0_sel:DWORD src1_sel:WORD_0
	v_and_b32_e32 v21, s62, v21
	v_lshl_or_b32 v21, v21, 4, v63
	ds_add_u32 v21, v89
	s_or_b32 exec_lo, exec_lo, s17
	s_mov_b32 s17, exec_lo
	v_cmpx_gt_u32_e64 s16, v55
	s_cbranch_execz .LBB1016_671
.LBB1016_687:                           ;   in Loop: Header=BB1016_638 Depth=2
	v_xor_b32_e32 v21, 0xffff8000, v10
	v_lshrrev_b32_sdwa v21, s41, v21 dst_sel:DWORD dst_unused:UNUSED_PAD src0_sel:DWORD src1_sel:WORD_0
	v_and_b32_e32 v21, s62, v21
	v_lshl_or_b32 v21, v21, 4, v63
	ds_add_u32 v21, v89
	s_or_b32 exec_lo, exec_lo, s17
	s_mov_b32 s17, exec_lo
	v_cmpx_gt_u32_e64 s16, v56
	s_cbranch_execz .LBB1016_672
.LBB1016_688:                           ;   in Loop: Header=BB1016_638 Depth=2
	v_xor_b32_e32 v21, 0xffff8000, v9
	v_lshrrev_b32_sdwa v21, s41, v21 dst_sel:DWORD dst_unused:UNUSED_PAD src0_sel:DWORD src1_sel:WORD_0
	v_and_b32_e32 v21, s62, v21
	v_lshl_or_b32 v21, v21, 4, v63
	ds_add_u32 v21, v89
	s_or_b32 exec_lo, exec_lo, s17
	s_mov_b32 s17, exec_lo
	v_cmpx_gt_u32_e64 s16, v57
	s_cbranch_execz .LBB1016_673
.LBB1016_689:                           ;   in Loop: Header=BB1016_638 Depth=2
	v_xor_b32_e32 v21, 0xffff8000, v8
	v_lshrrev_b32_sdwa v21, s41, v21 dst_sel:DWORD dst_unused:UNUSED_PAD src0_sel:DWORD src1_sel:WORD_0
	v_and_b32_e32 v21, s62, v21
	v_lshl_or_b32 v21, v21, 4, v63
	ds_add_u32 v21, v89
	s_or_b32 exec_lo, exec_lo, s17
	s_mov_b32 s17, exec_lo
	v_cmpx_gt_u32_e64 s16, v58
	s_cbranch_execz .LBB1016_674
.LBB1016_690:                           ;   in Loop: Header=BB1016_638 Depth=2
	v_xor_b32_e32 v21, 0xffff8000, v7
	v_lshrrev_b32_sdwa v21, s41, v21 dst_sel:DWORD dst_unused:UNUSED_PAD src0_sel:DWORD src1_sel:WORD_0
	v_and_b32_e32 v21, s62, v21
	v_lshl_or_b32 v21, v21, 4, v63
	ds_add_u32 v21, v89
	s_or_b32 exec_lo, exec_lo, s17
	s_mov_b32 s17, exec_lo
	v_cmpx_gt_u32_e64 s16, v59
	s_cbranch_execz .LBB1016_675
.LBB1016_691:                           ;   in Loop: Header=BB1016_638 Depth=2
	v_xor_b32_e32 v21, 0xffff8000, v6
	v_lshrrev_b32_sdwa v21, s41, v21 dst_sel:DWORD dst_unused:UNUSED_PAD src0_sel:DWORD src1_sel:WORD_0
	v_and_b32_e32 v21, s62, v21
	v_lshl_or_b32 v21, v21, 4, v63
	ds_add_u32 v21, v89
	s_or_b32 exec_lo, exec_lo, s17
	s_mov_b32 s17, exec_lo
	v_cmpx_gt_u32_e64 s16, v60
	s_cbranch_execz .LBB1016_676
.LBB1016_692:                           ;   in Loop: Header=BB1016_638 Depth=2
	v_xor_b32_e32 v21, 0xffff8000, v5
	v_lshrrev_b32_sdwa v21, s41, v21 dst_sel:DWORD dst_unused:UNUSED_PAD src0_sel:DWORD src1_sel:WORD_0
	v_and_b32_e32 v21, s62, v21
	v_lshl_or_b32 v21, v21, 4, v63
	ds_add_u32 v21, v89
	s_or_b32 exec_lo, exec_lo, s17
	v_cmp_gt_u32_e32 vcc_lo, s16, v61
	s_and_saveexec_b32 s16, vcc_lo
	s_cbranch_execz .LBB1016_637
.LBB1016_693:                           ;   in Loop: Header=BB1016_638 Depth=2
	v_xor_b32_e32 v21, 0xffff8000, v3
	v_lshrrev_b32_sdwa v21, s41, v21 dst_sel:DWORD dst_unused:UNUSED_PAD src0_sel:DWORD src1_sel:WORD_0
	v_and_b32_e32 v21, s62, v21
	v_lshl_or_b32 v21, v21, 4, v63
	ds_add_u32 v21, v89
	s_branch .LBB1016_637
.LBB1016_694:                           ;   in Loop: Header=BB1016_638 Depth=2
	global_load_ushort v20, v109, s[16:17]
	s_or_b32 exec_lo, exec_lo, s18
	s_mov_b32 s18, exec_lo
	v_cmpx_gt_u32_e64 s5, v44
	s_cbranch_execz .LBB1016_643
.LBB1016_695:                           ;   in Loop: Header=BB1016_638 Depth=2
	global_load_ushort v19, v109, s[16:17] offset:512
	s_or_b32 exec_lo, exec_lo, s18
	s_mov_b32 s18, exec_lo
	v_cmpx_gt_u32_e64 s5, v47
	s_cbranch_execz .LBB1016_644
.LBB1016_696:                           ;   in Loop: Header=BB1016_638 Depth=2
	global_load_ushort v18, v109, s[16:17] offset:1024
	s_or_b32 exec_lo, exec_lo, s18
	s_mov_b32 s18, exec_lo
	v_cmpx_gt_u32_e64 s5, v48
	s_cbranch_execz .LBB1016_645
.LBB1016_697:                           ;   in Loop: Header=BB1016_638 Depth=2
	global_load_ushort v17, v109, s[16:17] offset:1536
	s_or_b32 exec_lo, exec_lo, s18
	s_mov_b32 s18, exec_lo
	v_cmpx_gt_u32_e64 s5, v49
	s_cbranch_execz .LBB1016_646
.LBB1016_698:                           ;   in Loop: Header=BB1016_638 Depth=2
	global_load_ushort v16, v110, s[16:17]
	s_or_b32 exec_lo, exec_lo, s18
	s_mov_b32 s18, exec_lo
	v_cmpx_gt_u32_e64 s5, v50
	s_cbranch_execz .LBB1016_647
.LBB1016_699:                           ;   in Loop: Header=BB1016_638 Depth=2
	global_load_ushort v15, v111, s[16:17]
	s_or_b32 exec_lo, exec_lo, s18
	s_mov_b32 s18, exec_lo
	v_cmpx_gt_u32_e64 s5, v51
	s_cbranch_execz .LBB1016_648
.LBB1016_700:                           ;   in Loop: Header=BB1016_638 Depth=2
	global_load_ushort v14, v112, s[16:17]
	s_or_b32 exec_lo, exec_lo, s18
	s_mov_b32 s18, exec_lo
	v_cmpx_gt_u32_e64 s5, v52
	s_cbranch_execz .LBB1016_649
.LBB1016_701:                           ;   in Loop: Header=BB1016_638 Depth=2
	global_load_ushort v13, v113, s[16:17]
	s_or_b32 exec_lo, exec_lo, s18
	s_mov_b32 s18, exec_lo
	v_cmpx_gt_u32_e64 s5, v53
	s_cbranch_execz .LBB1016_650
.LBB1016_702:                           ;   in Loop: Header=BB1016_638 Depth=2
	global_load_ushort v12, v114, s[16:17]
	s_or_b32 exec_lo, exec_lo, s18
	s_mov_b32 s18, exec_lo
	v_cmpx_gt_u32_e64 s5, v54
	s_cbranch_execz .LBB1016_651
.LBB1016_703:                           ;   in Loop: Header=BB1016_638 Depth=2
	global_load_ushort v11, v115, s[16:17]
	s_or_b32 exec_lo, exec_lo, s18
	s_mov_b32 s18, exec_lo
	v_cmpx_gt_u32_e64 s5, v55
	s_cbranch_execz .LBB1016_652
.LBB1016_704:                           ;   in Loop: Header=BB1016_638 Depth=2
	global_load_ushort v10, v116, s[16:17]
	s_or_b32 exec_lo, exec_lo, s18
	s_mov_b32 s18, exec_lo
	v_cmpx_gt_u32_e64 s5, v56
	s_cbranch_execz .LBB1016_653
.LBB1016_705:                           ;   in Loop: Header=BB1016_638 Depth=2
	global_load_ushort v9, v117, s[16:17]
	s_or_b32 exec_lo, exec_lo, s18
	s_mov_b32 s18, exec_lo
	v_cmpx_gt_u32_e64 s5, v57
	s_cbranch_execz .LBB1016_654
.LBB1016_706:                           ;   in Loop: Header=BB1016_638 Depth=2
	global_load_ushort v8, v118, s[16:17]
	s_or_b32 exec_lo, exec_lo, s18
	s_mov_b32 s18, exec_lo
	v_cmpx_gt_u32_e64 s5, v58
	s_cbranch_execz .LBB1016_655
.LBB1016_707:                           ;   in Loop: Header=BB1016_638 Depth=2
	global_load_ushort v7, v119, s[16:17]
	s_or_b32 exec_lo, exec_lo, s18
	s_mov_b32 s18, exec_lo
	v_cmpx_gt_u32_e64 s5, v59
	s_cbranch_execz .LBB1016_656
.LBB1016_708:                           ;   in Loop: Header=BB1016_638 Depth=2
	global_load_ushort v6, v120, s[16:17]
	s_or_b32 exec_lo, exec_lo, s18
	s_mov_b32 s18, exec_lo
	v_cmpx_gt_u32_e64 s5, v60
	s_cbranch_execz .LBB1016_657
.LBB1016_709:                           ;   in Loop: Header=BB1016_638 Depth=2
	global_load_ushort v5, v121, s[16:17]
	s_or_b32 exec_lo, exec_lo, s18
	s_mov_b32 s18, exec_lo
	v_cmpx_gt_u32_e64 s5, v61
	s_cbranch_execnz .LBB1016_658
	s_branch .LBB1016_659
.LBB1016_710:                           ;   in Loop: Header=BB1016_12 Depth=1
	v_mov_b32_e32 v3, 0
	s_waitcnt lgkmcnt(0)
	s_barrier
	buffer_gl0_inv
	s_and_saveexec_b32 s5, s7
	s_cbranch_execz .LBB1016_712
; %bb.711:                              ;   in Loop: Header=BB1016_12 Depth=1
	ds_read2_b64 v[5:8], v64 offset1:1
	s_waitcnt lgkmcnt(0)
	v_add_nc_u32_e32 v3, v6, v5
	v_add3_u32 v3, v3, v7, v8
.LBB1016_712:                           ;   in Loop: Header=BB1016_12 Depth=1
	s_or_b32 exec_lo, exec_lo, s5
	v_mov_b32_dpp v5, v3 row_shr:1 row_mask:0xf bank_mask:0xf
	v_cmp_eq_u32_e64 s5, 0, v90
	v_cmp_lt_u32_e64 s15, 1, v90
	v_cmp_lt_u32_e64 s16, 3, v90
	;; [unrolled: 1-line block ×3, first 2 shown]
	v_cmp_eq_u32_e64 s18, 0, v92
	v_cndmask_b32_e64 v5, v5, 0, s5
	v_add_nc_u32_e32 v3, v5, v3
	v_mov_b32_dpp v5, v3 row_shr:2 row_mask:0xf bank_mask:0xf
	v_cndmask_b32_e64 v5, 0, v5, s15
	v_add_nc_u32_e32 v3, v3, v5
	v_mov_b32_dpp v5, v3 row_shr:4 row_mask:0xf bank_mask:0xf
	;; [unrolled: 3-line block ×3, first 2 shown]
	v_cndmask_b32_e64 v5, 0, v5, s17
	v_add_nc_u32_e32 v3, v3, v5
	ds_swizzle_b32 v5, v3 offset:swizzle(BROADCAST,32,15)
	s_waitcnt lgkmcnt(0)
	v_and_b32_e32 v5, v91, v5
	v_add_nc_u32_e32 v3, v3, v5
	s_and_saveexec_b32 s19, s8
; %bb.713:                              ;   in Loop: Header=BB1016_12 Depth=1
	ds_write_b32 v65, v3
; %bb.714:                              ;   in Loop: Header=BB1016_12 Depth=1
	s_or_b32 exec_lo, exec_lo, s19
	s_waitcnt lgkmcnt(0)
	s_barrier
	buffer_gl0_inv
	s_and_saveexec_b32 s19, s9
	s_cbranch_execz .LBB1016_716
; %bb.715:                              ;   in Loop: Header=BB1016_12 Depth=1
	ds_read_b32 v5, v66
	v_cmp_ne_u32_e32 vcc_lo, 0, v93
	s_waitcnt lgkmcnt(0)
	v_mov_b32_dpp v6, v5 row_shr:1 row_mask:0xf bank_mask:0xf
	v_cndmask_b32_e32 v6, 0, v6, vcc_lo
	v_cmp_lt_u32_e32 vcc_lo, 1, v93
	v_add_nc_u32_e32 v5, v6, v5
	v_mov_b32_dpp v6, v5 row_shr:2 row_mask:0xf bank_mask:0xf
	v_cndmask_b32_e32 v6, 0, v6, vcc_lo
	v_add_nc_u32_e32 v5, v5, v6
	ds_write_b32 v66, v5
.LBB1016_716:                           ;   in Loop: Header=BB1016_12 Depth=1
	s_or_b32 exec_lo, exec_lo, s19
	v_mov_b32_e32 v5, 0
	s_waitcnt lgkmcnt(0)
	s_barrier
	buffer_gl0_inv
	s_and_saveexec_b32 s19, s10
; %bb.717:                              ;   in Loop: Header=BB1016_12 Depth=1
	ds_read_b32 v5, v67
; %bb.718:                              ;   in Loop: Header=BB1016_12 Depth=1
	s_or_b32 exec_lo, exec_lo, s19
	v_cmp_gt_i32_e32 vcc_lo, 0, v95
	s_waitcnt lgkmcnt(0)
	v_add_nc_u32_e32 v3, v5, v3
	s_barrier
	buffer_gl0_inv
	v_cndmask_b32_e32 v6, v95, v86, vcc_lo
	v_lshlrev_b32_e32 v125, 2, v6
	ds_bpermute_b32 v3, v125, v3
	s_and_saveexec_b32 s19, s7
	s_cbranch_execz .LBB1016_720
; %bb.719:                              ;   in Loop: Header=BB1016_12 Depth=1
	s_waitcnt lgkmcnt(0)
	v_cndmask_b32_e64 v3, v3, v5, s14
	v_add_nc_u32_e32 v3, s58, v3
	ds_write_b32 v43, v3
.LBB1016_720:                           ;   in Loop: Header=BB1016_12 Depth=1
	s_or_b32 exec_lo, exec_lo, s19
	s_load_dwordx2 s[20:21], s[56:57], 0x0
	v_add_co_u32 v126, vcc_lo, v84, v97
	v_add_co_ci_u32_e64 v127, null, 0, v85, vcc_lo
	v_add_nc_u32_e32 v128, 0x180, v94
	v_add_nc_u32_e32 v129, 0x1a0, v94
	;; [unrolled: 1-line block ×5, first 2 shown]
	s_mov_b32 s63, s60
	s_mov_b32 s50, s58
                                        ; implicit-def: $vgpr7_vgpr8
                                        ; implicit-def: $vgpr9_vgpr10
                                        ; implicit-def: $vgpr11_vgpr12
                                        ; implicit-def: $vgpr13_vgpr14
                                        ; implicit-def: $vgpr15_vgpr16
                                        ; implicit-def: $vgpr19_vgpr20
                                        ; implicit-def: $vgpr23_vgpr24
                                        ; implicit-def: $vgpr27_vgpr28
                                        ; implicit-def: $vgpr17_vgpr18
                                        ; implicit-def: $vgpr21_vgpr22
                                        ; implicit-def: $vgpr25_vgpr26
                                        ; implicit-def: $vgpr29_vgpr30
                                        ; implicit-def: $vgpr31_vgpr32
                                        ; implicit-def: $vgpr33_vgpr34
                                        ; implicit-def: $vgpr35_vgpr36
                                        ; implicit-def: $vgpr37_vgpr38
                                        ; implicit-def: $vgpr136
                                        ; implicit-def: $vgpr137
                                        ; implicit-def: $vgpr138
                                        ; implicit-def: $vgpr139
                                        ; implicit-def: $vgpr140
                                        ; implicit-def: $vgpr141
                                        ; implicit-def: $vgpr142
                                        ; implicit-def: $vgpr143
                                        ; implicit-def: $vgpr144
                                        ; implicit-def: $vgpr145
                                        ; implicit-def: $vgpr146
                                        ; implicit-def: $vgpr147
                                        ; implicit-def: $vgpr148
                                        ; implicit-def: $vgpr149
                                        ; implicit-def: $vgpr150
                                        ; implicit-def: $vgpr152
                                        ; implicit-def: $vgpr153
                                        ; implicit-def: $vgpr151
                                        ; implicit-def: $vgpr154
	s_waitcnt lgkmcnt(0)
	s_cmp_lt_u32 s28, s21
	s_cselect_b32 s19, 14, 20
	s_add_u32 s22, s56, s19
	s_addc_u32 s23, s57, 0
	s_cmp_lt_u32 s6, s20
	global_load_ushort v3, v4, s[22:23]
	s_cselect_b32 s19, 12, 18
	s_add_u32 s20, s56, s19
	s_addc_u32 s21, s57, 0
	v_cmp_eq_u32_e64 s19, 0, v96
	global_load_ushort v5, v4, s[20:21]
	v_cmp_lt_u32_e64 s20, 1, v96
	v_cmp_lt_u32_e64 s21, 3, v96
	s_waitcnt vmcnt(1)
	v_mad_u32_u24 v3, v2, v3, v1
	s_waitcnt vmcnt(0)
	v_mad_u64_u32 v[5:6], null, v3, v5, v[0:1]
	v_lshlrev_b32_e32 v3, 1, v86
	v_add_co_u32 v133, vcc_lo, v87, v3
	v_lshrrev_b32_e32 v5, 3, v5
	v_add_co_ci_u32_e64 v134, null, 0, v88, vcc_lo
	v_and_b32_e32 v135, 0x1ffffffc, v5
                                        ; implicit-def: $vgpr5_vgpr6
	s_branch .LBB1016_722
.LBB1016_721:                           ;   in Loop: Header=BB1016_722 Depth=2
	s_or_b32 exec_lo, exec_lo, s22
	s_addk_i32 s63, 0xef00
	s_cmp_lt_u32 s64, s59
	s_mov_b32 s50, s64
	s_cbranch_scc0 .LBB1016_944
.LBB1016_722:                           ;   Parent Loop BB1016_12 Depth=1
                                        ; =>  This Inner Loop Header: Depth=2
	s_add_i32 s64, s50, 0x1100
	s_cmp_gt_u32 s64, s59
	s_cbranch_scc1 .LBB1016_724
; %bb.723:                              ;   in Loop: Header=BB1016_722 Depth=2
	s_lshl_b64 s[22:23], s[50:51], 1
	v_add_co_u32 v39, vcc_lo, v133, s22
	v_add_co_ci_u32_e64 v40, null, s23, v134, vcc_lo
	s_mov_b32 s22, -1
	s_clause 0xf
	global_load_ushort v156, v[39:40], off
	global_load_ushort v157, v[39:40], off offset:64
	global_load_ushort v160, v[39:40], off offset:128
	;; [unrolled: 1-line block ×15, first 2 shown]
	s_movk_i32 s23, 0x1100
	s_cbranch_execz .LBB1016_725
	s_branch .LBB1016_758
.LBB1016_724:                           ;   in Loop: Header=BB1016_722 Depth=2
	s_mov_b32 s22, 0
                                        ; implicit-def: $vgpr156
                                        ; implicit-def: $vgpr157
                                        ; implicit-def: $vgpr160
                                        ; implicit-def: $vgpr164
                                        ; implicit-def: $vgpr169
                                        ; implicit-def: $vgpr174
                                        ; implicit-def: $vgpr179
                                        ; implicit-def: $vgpr184
                                        ; implicit-def: $vgpr189
                                        ; implicit-def: $vgpr187
                                        ; implicit-def: $vgpr182
                                        ; implicit-def: $vgpr177
                                        ; implicit-def: $vgpr173
                                        ; implicit-def: $vgpr168
                                        ; implicit-def: $vgpr42
                                        ; implicit-def: $vgpr41
	s_movk_i32 s23, 0x1100
.LBB1016_725:                           ;   in Loop: Header=BB1016_722 Depth=2
	s_lshl_b64 s[22:23], s[50:51], 1
	s_waitcnt vmcnt(14)
	v_mov_b32_e32 v157, 0x7fff
	v_add_co_u32 v39, vcc_lo, v133, s22
	v_add_co_ci_u32_e64 v40, null, s23, v134, vcc_lo
	v_mov_b32_e32 v156, 0x7fff
	s_mov_b32 s22, exec_lo
	v_cmpx_gt_u32_e64 s63, v94
	s_cbranch_execz .LBB1016_727
; %bb.726:                              ;   in Loop: Header=BB1016_722 Depth=2
	global_load_ushort v156, v[39:40], off
.LBB1016_727:                           ;   in Loop: Header=BB1016_722 Depth=2
	s_or_b32 exec_lo, exec_lo, s22
	s_mov_b32 s22, exec_lo
	v_cmpx_gt_u32_e64 s63, v98
	s_cbranch_execz .LBB1016_729
; %bb.728:                              ;   in Loop: Header=BB1016_722 Depth=2
	global_load_ushort v157, v[39:40], off offset:64
.LBB1016_729:                           ;   in Loop: Header=BB1016_722 Depth=2
	s_or_b32 exec_lo, exec_lo, s22
	s_waitcnt vmcnt(12)
	v_mov_b32_e32 v164, 0x7fff
	v_mov_b32_e32 v160, 0x7fff
	s_mov_b32 s22, exec_lo
	v_cmpx_gt_u32_e64 s63, v99
	s_cbranch_execz .LBB1016_731
; %bb.730:                              ;   in Loop: Header=BB1016_722 Depth=2
	global_load_ushort v160, v[39:40], off offset:128
.LBB1016_731:                           ;   in Loop: Header=BB1016_722 Depth=2
	s_or_b32 exec_lo, exec_lo, s22
	s_mov_b32 s22, exec_lo
	v_cmpx_gt_u32_e64 s63, v100
	s_cbranch_execz .LBB1016_733
; %bb.732:                              ;   in Loop: Header=BB1016_722 Depth=2
	global_load_ushort v164, v[39:40], off offset:192
.LBB1016_733:                           ;   in Loop: Header=BB1016_722 Depth=2
	s_or_b32 exec_lo, exec_lo, s22
	s_waitcnt vmcnt(10)
	v_mov_b32_e32 v174, 0x7fff
	v_mov_b32_e32 v169, 0x7fff
	s_mov_b32 s22, exec_lo
	v_cmpx_gt_u32_e64 s63, v101
	s_cbranch_execz .LBB1016_735
; %bb.734:                              ;   in Loop: Header=BB1016_722 Depth=2
	global_load_ushort v169, v[39:40], off offset:256
.LBB1016_735:                           ;   in Loop: Header=BB1016_722 Depth=2
	;; [unrolled: 17-line block ×7, first 2 shown]
	s_or_b32 exec_lo, exec_lo, s22
	s_mov_b32 s22, exec_lo
	v_cmpx_gt_u32_e64 s63, v131
	s_cbranch_execz .LBB1016_757
; %bb.756:                              ;   in Loop: Header=BB1016_722 Depth=2
	global_load_ushort v41, v[39:40], off offset:960
.LBB1016_757:                           ;   in Loop: Header=BB1016_722 Depth=2
	s_or_b32 exec_lo, exec_lo, s22
	v_cmp_gt_u32_e64 s22, s63, v132
	s_sub_i32 s23, s59, s50
.LBB1016_758:                           ;   in Loop: Header=BB1016_722 Depth=2
	v_mov_b32_e32 v3, -1
	v_mov_b32_e32 v155, s63
	s_and_saveexec_b32 s24, s22
	s_cbranch_execz .LBB1016_760
; %bb.759:                              ;   in Loop: Header=BB1016_722 Depth=2
	s_lshl_b64 s[26:27], s[50:51], 1
	v_mov_b32_e32 v155, s23
	v_add_co_u32 v39, vcc_lo, v133, s26
	v_add_co_ci_u32_e64 v40, null, s27, v134, vcc_lo
	global_load_ushort v3, v[39:40], off offset:1024
	s_waitcnt vmcnt(0)
	v_xor_b32_e32 v3, 0xffff8000, v3
.LBB1016_760:                           ;   in Loop: Header=BB1016_722 Depth=2
	s_or_b32 exec_lo, exec_lo, s24
	s_waitcnt vmcnt(15)
	v_xor_b32_e32 v156, 0xffff8000, v156
	ds_write2_b32 v68, v4, v4 offset0:136 offset1:137
	ds_write2_b32 v68, v4, v4 offset0:138 offset1:139
	ds_write_b32 v68, v4 offset:560
	s_waitcnt vmcnt(0) lgkmcnt(0)
	s_barrier
	v_lshrrev_b32_sdwa v39, s41, v156 dst_sel:DWORD dst_unused:UNUSED_PAD src0_sel:DWORD src1_sel:WORD_0
	buffer_gl0_inv
	; wave barrier
	v_and_b32_e32 v40, s62, v39
	v_and_b32_e32 v39, 1, v40
	v_lshlrev_b32_e32 v158, 30, v40
	v_lshlrev_b32_e32 v159, 29, v40
	;; [unrolled: 1-line block ×4, first 2 shown]
	v_add_co_u32 v39, s22, v39, -1
	v_cndmask_b32_e64 v161, 0, 1, s22
	v_not_b32_e32 v166, v158
	v_cmp_gt_i32_e64 s22, 0, v158
	v_not_b32_e32 v158, v159
	v_lshlrev_b32_e32 v165, 26, v40
	v_cmp_ne_u32_e32 vcc_lo, 0, v161
	v_ashrrev_i32_e32 v166, 31, v166
	v_lshlrev_b32_e32 v161, 25, v40
	v_ashrrev_i32_e32 v158, 31, v158
	v_mul_u32_u24_e32 v40, 36, v40
	v_xor_b32_e32 v39, vcc_lo, v39
	v_cmp_gt_i32_e32 vcc_lo, 0, v159
	v_not_b32_e32 v159, v162
	v_xor_b32_e32 v166, s22, v166
	v_cmp_gt_i32_e64 s22, 0, v162
	v_and_b32_e32 v39, exec_lo, v39
	v_not_b32_e32 v162, v163
	v_ashrrev_i32_e32 v159, 31, v159
	v_xor_b32_e32 v158, vcc_lo, v158
	v_cmp_gt_i32_e32 vcc_lo, 0, v163
	v_and_b32_e32 v39, v39, v166
	v_not_b32_e32 v163, v165
	v_ashrrev_i32_e32 v162, 31, v162
	v_xor_b32_e32 v159, s22, v159
	v_cmp_gt_i32_e64 s22, 0, v165
	v_and_b32_e32 v39, v39, v158
	v_not_b32_e32 v158, v161
	v_ashrrev_i32_e32 v163, 31, v163
	v_xor_b32_e32 v162, vcc_lo, v162
	v_cmp_gt_i32_e32 vcc_lo, 0, v161
	v_and_b32_e32 v39, v39, v159
	v_ashrrev_i32_e32 v158, 31, v158
	v_xor_b32_e32 v159, s22, v163
	v_and_b32_e32 v39, v39, v162
	v_xor_b32_e32 v158, vcc_lo, v158
	v_and_b32_e32 v39, v39, v159
	v_add_nc_u32_e32 v159, v135, v40
	v_and_b32_e32 v39, v39, v158
	v_mbcnt_lo_u32_b32 v158, v39, 0
	v_cmp_ne_u32_e64 s22, 0, v39
	v_cmp_eq_u32_e32 vcc_lo, 0, v158
	s_and_b32 s23, s22, vcc_lo
	s_and_saveexec_b32 s22, s23
; %bb.761:                              ;   in Loop: Header=BB1016_722 Depth=2
	v_bcnt_u32_b32 v39, v39, 0
	ds_write_b32 v159, v39 offset:544
; %bb.762:                              ;   in Loop: Header=BB1016_722 Depth=2
	s_or_b32 exec_lo, exec_lo, s22
	v_xor_b32_e32 v157, 0xffff8000, v157
	; wave barrier
	v_lshrrev_b32_sdwa v39, s41, v157 dst_sel:DWORD dst_unused:UNUSED_PAD src0_sel:DWORD src1_sel:WORD_0
	v_and_b32_e32 v40, s62, v39
	v_and_b32_e32 v39, 1, v40
	v_lshlrev_b32_e32 v161, 30, v40
	v_lshlrev_b32_e32 v162, 29, v40
	v_lshlrev_b32_e32 v165, 28, v40
	v_lshlrev_b32_e32 v166, 27, v40
	v_add_co_u32 v39, s22, v39, -1
	v_cndmask_b32_e64 v163, 0, 1, s22
	v_not_b32_e32 v170, v161
	v_cmp_gt_i32_e64 s22, 0, v161
	v_not_b32_e32 v161, v162
	v_lshlrev_b32_e32 v167, 26, v40
	v_cmp_ne_u32_e32 vcc_lo, 0, v163
	v_ashrrev_i32_e32 v170, 31, v170
	v_lshlrev_b32_e32 v163, 25, v40
	v_ashrrev_i32_e32 v161, 31, v161
	v_xor_b32_e32 v39, vcc_lo, v39
	v_cmp_gt_i32_e32 vcc_lo, 0, v162
	v_not_b32_e32 v162, v165
	v_xor_b32_e32 v170, s22, v170
	v_cmp_gt_i32_e64 s22, 0, v165
	v_and_b32_e32 v39, exec_lo, v39
	v_not_b32_e32 v165, v166
	v_ashrrev_i32_e32 v162, 31, v162
	v_xor_b32_e32 v161, vcc_lo, v161
	v_cmp_gt_i32_e32 vcc_lo, 0, v166
	v_and_b32_e32 v39, v39, v170
	v_not_b32_e32 v166, v167
	v_ashrrev_i32_e32 v165, 31, v165
	v_xor_b32_e32 v162, s22, v162
	v_cmp_gt_i32_e64 s22, 0, v167
	v_and_b32_e32 v39, v39, v161
	v_not_b32_e32 v161, v163
	v_ashrrev_i32_e32 v166, 31, v166
	v_xor_b32_e32 v165, vcc_lo, v165
	v_cmp_gt_i32_e32 vcc_lo, 0, v163
	v_and_b32_e32 v39, v39, v162
	v_ashrrev_i32_e32 v161, 31, v161
	v_xor_b32_e32 v162, s22, v166
	v_mad_u32_u24 v163, v40, 36, v135
	v_mul_u32_u24_e32 v40, 36, v40
	v_and_b32_e32 v39, v39, v165
	v_xor_b32_e32 v165, vcc_lo, v161
	ds_read_b32 v161, v163 offset:544
	v_add_nc_u32_e32 v163, v135, v40
	v_and_b32_e32 v39, v39, v162
	; wave barrier
	v_and_b32_e32 v39, v39, v165
	v_mbcnt_lo_u32_b32 v162, v39, 0
	v_cmp_ne_u32_e64 s22, 0, v39
	v_cmp_eq_u32_e32 vcc_lo, 0, v162
	s_and_b32 s23, s22, vcc_lo
	s_and_saveexec_b32 s22, s23
	s_cbranch_execz .LBB1016_764
; %bb.763:                              ;   in Loop: Header=BB1016_722 Depth=2
	s_waitcnt lgkmcnt(0)
	v_bcnt_u32_b32 v39, v39, v161
	ds_write_b32 v163, v39 offset:544
.LBB1016_764:                           ;   in Loop: Header=BB1016_722 Depth=2
	s_or_b32 exec_lo, exec_lo, s22
	v_xor_b32_e32 v160, 0xffff8000, v160
	; wave barrier
	v_lshrrev_b32_sdwa v39, s41, v160 dst_sel:DWORD dst_unused:UNUSED_PAD src0_sel:DWORD src1_sel:WORD_0
	v_and_b32_e32 v40, s62, v39
	v_and_b32_e32 v39, 1, v40
	v_lshlrev_b32_e32 v165, 30, v40
	v_lshlrev_b32_e32 v166, 29, v40
	v_lshlrev_b32_e32 v170, 28, v40
	v_lshlrev_b32_e32 v171, 27, v40
	v_add_co_u32 v39, s22, v39, -1
	v_cndmask_b32_e64 v167, 0, 1, s22
	v_not_b32_e32 v175, v165
	v_cmp_gt_i32_e64 s22, 0, v165
	v_not_b32_e32 v165, v166
	v_lshlrev_b32_e32 v172, 26, v40
	v_cmp_ne_u32_e32 vcc_lo, 0, v167
	v_ashrrev_i32_e32 v175, 31, v175
	v_lshlrev_b32_e32 v167, 25, v40
	v_ashrrev_i32_e32 v165, 31, v165
	v_xor_b32_e32 v39, vcc_lo, v39
	v_cmp_gt_i32_e32 vcc_lo, 0, v166
	v_not_b32_e32 v166, v170
	v_xor_b32_e32 v175, s22, v175
	v_cmp_gt_i32_e64 s22, 0, v170
	v_and_b32_e32 v39, exec_lo, v39
	v_not_b32_e32 v170, v171
	v_ashrrev_i32_e32 v166, 31, v166
	v_xor_b32_e32 v165, vcc_lo, v165
	v_cmp_gt_i32_e32 vcc_lo, 0, v171
	v_and_b32_e32 v39, v39, v175
	v_not_b32_e32 v171, v172
	v_ashrrev_i32_e32 v170, 31, v170
	v_xor_b32_e32 v166, s22, v166
	v_cmp_gt_i32_e64 s22, 0, v172
	v_and_b32_e32 v39, v39, v165
	v_not_b32_e32 v165, v167
	v_ashrrev_i32_e32 v171, 31, v171
	v_xor_b32_e32 v170, vcc_lo, v170
	v_cmp_gt_i32_e32 vcc_lo, 0, v167
	v_and_b32_e32 v39, v39, v166
	v_ashrrev_i32_e32 v165, 31, v165
	v_xor_b32_e32 v166, s22, v171
	v_mad_u32_u24 v167, v40, 36, v135
	v_mul_u32_u24_e32 v40, 36, v40
	v_and_b32_e32 v39, v39, v170
	v_xor_b32_e32 v170, vcc_lo, v165
	ds_read_b32 v165, v167 offset:544
	v_add_nc_u32_e32 v167, v135, v40
	v_and_b32_e32 v39, v39, v166
	; wave barrier
	v_and_b32_e32 v39, v39, v170
	v_mbcnt_lo_u32_b32 v166, v39, 0
	v_cmp_ne_u32_e64 s22, 0, v39
	v_cmp_eq_u32_e32 vcc_lo, 0, v166
	s_and_b32 s23, s22, vcc_lo
	s_and_saveexec_b32 s22, s23
	s_cbranch_execz .LBB1016_766
; %bb.765:                              ;   in Loop: Header=BB1016_722 Depth=2
	s_waitcnt lgkmcnt(0)
	v_bcnt_u32_b32 v39, v39, v165
	ds_write_b32 v167, v39 offset:544
.LBB1016_766:                           ;   in Loop: Header=BB1016_722 Depth=2
	;; [unrolled: 63-line block ×9, first 2 shown]
	s_or_b32 exec_lo, exec_lo, s22
	v_xor_b32_e32 v182, 0xffff8000, v182
	; wave barrier
	v_lshrrev_b32_sdwa v39, s41, v182 dst_sel:DWORD dst_unused:UNUSED_PAD src0_sel:DWORD src1_sel:WORD_0
	v_and_b32_e32 v40, s62, v39
	v_and_b32_e32 v39, 1, v40
	v_lshlrev_b32_e32 v199, 30, v40
	v_lshlrev_b32_e32 v200, 29, v40
	;; [unrolled: 1-line block ×4, first 2 shown]
	v_add_co_u32 v39, s22, v39, -1
	v_cndmask_b32_e64 v201, 0, 1, s22
	v_not_b32_e32 v205, v199
	v_cmp_gt_i32_e64 s22, 0, v199
	v_not_b32_e32 v199, v200
	v_lshlrev_b32_e32 v204, 26, v40
	v_cmp_ne_u32_e32 vcc_lo, 0, v201
	v_ashrrev_i32_e32 v205, 31, v205
	v_lshlrev_b32_e32 v201, 25, v40
	v_ashrrev_i32_e32 v199, 31, v199
	v_xor_b32_e32 v39, vcc_lo, v39
	v_cmp_gt_i32_e32 vcc_lo, 0, v200
	v_not_b32_e32 v200, v202
	v_xor_b32_e32 v205, s22, v205
	v_cmp_gt_i32_e64 s22, 0, v202
	v_and_b32_e32 v39, exec_lo, v39
	v_not_b32_e32 v202, v203
	v_ashrrev_i32_e32 v200, 31, v200
	v_xor_b32_e32 v199, vcc_lo, v199
	v_cmp_gt_i32_e32 vcc_lo, 0, v203
	v_and_b32_e32 v39, v39, v205
	v_not_b32_e32 v203, v204
	v_ashrrev_i32_e32 v202, 31, v202
	v_xor_b32_e32 v200, s22, v200
	v_cmp_gt_i32_e64 s22, 0, v204
	v_and_b32_e32 v39, v39, v199
	v_not_b32_e32 v199, v201
	v_ashrrev_i32_e32 v203, 31, v203
	v_xor_b32_e32 v202, vcc_lo, v202
	v_cmp_gt_i32_e32 vcc_lo, 0, v201
	v_and_b32_e32 v39, v39, v200
	v_ashrrev_i32_e32 v199, 31, v199
	v_xor_b32_e32 v200, s22, v203
	v_mad_u32_u24 v201, v40, 36, v135
	v_mul_u32_u24_e32 v40, 36, v40
	v_and_b32_e32 v39, v39, v202
	v_xor_b32_e32 v199, vcc_lo, v199
	v_add_nc_u32_e32 v202, v135, v40
	v_and_b32_e32 v39, v39, v200
	ds_read_b32 v200, v201 offset:544
	; wave barrier
	v_and_b32_e32 v39, v39, v199
	v_mbcnt_lo_u32_b32 v201, v39, 0
	v_cmp_ne_u32_e64 s22, 0, v39
	v_cmp_eq_u32_e32 vcc_lo, 0, v201
	s_and_b32 s23, s22, vcc_lo
	s_and_saveexec_b32 s22, s23
	s_cbranch_execz .LBB1016_782
; %bb.781:                              ;   in Loop: Header=BB1016_722 Depth=2
	s_waitcnt lgkmcnt(0)
	v_bcnt_u32_b32 v39, v39, v200
	ds_write_b32 v202, v39 offset:544
.LBB1016_782:                           ;   in Loop: Header=BB1016_722 Depth=2
	s_or_b32 exec_lo, exec_lo, s22
	v_xor_b32_e32 v199, 0xffff8000, v177
	; wave barrier
	v_lshrrev_b32_sdwa v39, s41, v199 dst_sel:DWORD dst_unused:UNUSED_PAD src0_sel:DWORD src1_sel:WORD_0
	v_and_b32_e32 v40, s62, v39
	v_and_b32_e32 v39, 1, v40
	v_lshlrev_b32_e32 v177, 30, v40
	v_lshlrev_b32_e32 v203, 29, v40
	v_lshlrev_b32_e32 v205, 28, v40
	v_lshlrev_b32_e32 v206, 27, v40
	v_add_co_u32 v39, s22, v39, -1
	v_cndmask_b32_e64 v204, 0, 1, s22
	v_not_b32_e32 v208, v177
	v_cmp_gt_i32_e64 s22, 0, v177
	v_not_b32_e32 v177, v203
	v_lshlrev_b32_e32 v207, 26, v40
	v_cmp_ne_u32_e32 vcc_lo, 0, v204
	v_ashrrev_i32_e32 v208, 31, v208
	v_lshlrev_b32_e32 v204, 25, v40
	v_ashrrev_i32_e32 v177, 31, v177
	v_xor_b32_e32 v39, vcc_lo, v39
	v_cmp_gt_i32_e32 vcc_lo, 0, v203
	v_not_b32_e32 v203, v205
	v_xor_b32_e32 v208, s22, v208
	v_cmp_gt_i32_e64 s22, 0, v205
	v_and_b32_e32 v39, exec_lo, v39
	v_not_b32_e32 v205, v206
	v_ashrrev_i32_e32 v203, 31, v203
	v_xor_b32_e32 v177, vcc_lo, v177
	v_cmp_gt_i32_e32 vcc_lo, 0, v206
	v_and_b32_e32 v39, v39, v208
	v_not_b32_e32 v206, v207
	v_ashrrev_i32_e32 v205, 31, v205
	v_xor_b32_e32 v203, s22, v203
	v_cmp_gt_i32_e64 s22, 0, v207
	v_and_b32_e32 v39, v39, v177
	v_not_b32_e32 v177, v204
	v_ashrrev_i32_e32 v206, 31, v206
	v_xor_b32_e32 v205, vcc_lo, v205
	v_cmp_gt_i32_e32 vcc_lo, 0, v204
	v_and_b32_e32 v39, v39, v203
	v_ashrrev_i32_e32 v177, 31, v177
	v_xor_b32_e32 v203, s22, v206
	v_mad_u32_u24 v204, v40, 36, v135
	v_mul_u32_u24_e32 v40, 36, v40
	v_and_b32_e32 v39, v39, v205
	v_xor_b32_e32 v177, vcc_lo, v177
	ds_read_b32 v204, v204 offset:544
	v_and_b32_e32 v39, v39, v203
	; wave barrier
	v_and_b32_e32 v39, v39, v177
	v_add_nc_u32_e32 v177, v135, v40
	v_mbcnt_lo_u32_b32 v205, v39, 0
	v_cmp_ne_u32_e64 s22, 0, v39
	v_cmp_eq_u32_e32 vcc_lo, 0, v205
	s_and_b32 s23, s22, vcc_lo
	s_and_saveexec_b32 s22, s23
	s_cbranch_execz .LBB1016_784
; %bb.783:                              ;   in Loop: Header=BB1016_722 Depth=2
	s_waitcnt lgkmcnt(0)
	v_bcnt_u32_b32 v39, v39, v204
	ds_write_b32 v177, v39 offset:544
.LBB1016_784:                           ;   in Loop: Header=BB1016_722 Depth=2
	s_or_b32 exec_lo, exec_lo, s22
	v_xor_b32_e32 v203, 0xffff8000, v173
	; wave barrier
	v_lshrrev_b32_sdwa v39, s41, v203 dst_sel:DWORD dst_unused:UNUSED_PAD src0_sel:DWORD src1_sel:WORD_0
	v_and_b32_e32 v40, s62, v39
	v_and_b32_e32 v39, 1, v40
	v_lshlrev_b32_e32 v173, 30, v40
	v_lshlrev_b32_e32 v206, 29, v40
	v_lshlrev_b32_e32 v208, 28, v40
	v_lshlrev_b32_e32 v209, 27, v40
	v_add_co_u32 v39, s22, v39, -1
	v_cndmask_b32_e64 v207, 0, 1, s22
	v_not_b32_e32 v211, v173
	v_cmp_gt_i32_e64 s22, 0, v173
	v_not_b32_e32 v173, v206
	v_lshlrev_b32_e32 v210, 26, v40
	v_cmp_ne_u32_e32 vcc_lo, 0, v207
	v_ashrrev_i32_e32 v211, 31, v211
	v_lshlrev_b32_e32 v207, 25, v40
	v_ashrrev_i32_e32 v173, 31, v173
	v_xor_b32_e32 v39, vcc_lo, v39
	v_cmp_gt_i32_e32 vcc_lo, 0, v206
	v_not_b32_e32 v206, v208
	v_xor_b32_e32 v211, s22, v211
	v_cmp_gt_i32_e64 s22, 0, v208
	v_and_b32_e32 v39, exec_lo, v39
	v_not_b32_e32 v208, v209
	v_ashrrev_i32_e32 v206, 31, v206
	v_xor_b32_e32 v173, vcc_lo, v173
	v_cmp_gt_i32_e32 vcc_lo, 0, v209
	v_and_b32_e32 v39, v39, v211
	v_not_b32_e32 v209, v210
	v_ashrrev_i32_e32 v208, 31, v208
	v_xor_b32_e32 v206, s22, v206
	v_cmp_gt_i32_e64 s22, 0, v210
	v_and_b32_e32 v39, v39, v173
	v_not_b32_e32 v173, v207
	v_ashrrev_i32_e32 v209, 31, v209
	v_xor_b32_e32 v208, vcc_lo, v208
	v_cmp_gt_i32_e32 vcc_lo, 0, v207
	v_and_b32_e32 v39, v39, v206
	v_ashrrev_i32_e32 v173, 31, v173
	v_xor_b32_e32 v206, s22, v209
	v_mad_u32_u24 v207, v40, 36, v135
	v_mul_u32_u24_e32 v40, 36, v40
	v_and_b32_e32 v39, v39, v208
	v_xor_b32_e32 v173, vcc_lo, v173
	ds_read_b32 v207, v207 offset:544
	v_and_b32_e32 v39, v39, v206
	; wave barrier
	v_and_b32_e32 v39, v39, v173
	v_add_nc_u32_e32 v173, v135, v40
	;; [unrolled: 63-line block ×3, first 2 shown]
	v_mbcnt_lo_u32_b32 v211, v39, 0
	v_cmp_ne_u32_e64 s22, 0, v39
	v_cmp_eq_u32_e32 vcc_lo, 0, v211
	s_and_b32 s23, s22, vcc_lo
	s_and_saveexec_b32 s22, s23
	s_cbranch_execz .LBB1016_788
; %bb.787:                              ;   in Loop: Header=BB1016_722 Depth=2
	s_waitcnt lgkmcnt(0)
	v_bcnt_u32_b32 v39, v39, v210
	ds_write_b32 v168, v39 offset:544
.LBB1016_788:                           ;   in Loop: Header=BB1016_722 Depth=2
	s_or_b32 exec_lo, exec_lo, s22
	v_xor_b32_e32 v209, 0xffff8000, v42
	; wave barrier
	v_lshrrev_b32_sdwa v39, s41, v209 dst_sel:DWORD dst_unused:UNUSED_PAD src0_sel:DWORD src1_sel:WORD_0
	v_and_b32_e32 v40, s62, v39
	v_and_b32_e32 v39, 1, v40
	v_lshlrev_b32_e32 v42, 30, v40
	v_lshlrev_b32_e32 v212, 29, v40
	;; [unrolled: 1-line block ×4, first 2 shown]
	v_add_co_u32 v39, s22, v39, -1
	v_cndmask_b32_e64 v213, 0, 1, s22
	v_not_b32_e32 v217, v42
	v_cmp_gt_i32_e64 s22, 0, v42
	v_not_b32_e32 v42, v212
	v_lshlrev_b32_e32 v216, 26, v40
	v_cmp_ne_u32_e32 vcc_lo, 0, v213
	v_ashrrev_i32_e32 v217, 31, v217
	v_lshlrev_b32_e32 v213, 25, v40
	v_ashrrev_i32_e32 v42, 31, v42
	v_xor_b32_e32 v39, vcc_lo, v39
	v_cmp_gt_i32_e32 vcc_lo, 0, v212
	v_not_b32_e32 v212, v214
	v_xor_b32_e32 v217, s22, v217
	v_cmp_gt_i32_e64 s22, 0, v214
	v_and_b32_e32 v39, exec_lo, v39
	v_not_b32_e32 v214, v215
	v_ashrrev_i32_e32 v212, 31, v212
	v_xor_b32_e32 v42, vcc_lo, v42
	v_cmp_gt_i32_e32 vcc_lo, 0, v215
	v_and_b32_e32 v39, v39, v217
	v_not_b32_e32 v215, v216
	v_ashrrev_i32_e32 v214, 31, v214
	v_xor_b32_e32 v212, s22, v212
	v_cmp_gt_i32_e64 s22, 0, v216
	v_and_b32_e32 v39, v39, v42
	v_not_b32_e32 v42, v213
	v_ashrrev_i32_e32 v215, 31, v215
	v_xor_b32_e32 v214, vcc_lo, v214
	v_cmp_gt_i32_e32 vcc_lo, 0, v213
	v_and_b32_e32 v39, v39, v212
	v_ashrrev_i32_e32 v42, 31, v42
	v_xor_b32_e32 v212, s22, v215
	v_mad_u32_u24 v213, v40, 36, v135
	v_mul_u32_u24_e32 v40, 36, v40
	v_and_b32_e32 v39, v39, v214
	v_xor_b32_e32 v42, vcc_lo, v42
	ds_read_b32 v213, v213 offset:544
	v_add_nc_u32_e32 v215, v135, v40
	v_and_b32_e32 v39, v39, v212
	; wave barrier
	v_and_b32_e32 v39, v39, v42
	v_mbcnt_lo_u32_b32 v214, v39, 0
	v_cmp_ne_u32_e64 s22, 0, v39
	v_cmp_eq_u32_e32 vcc_lo, 0, v214
	s_and_b32 s23, s22, vcc_lo
	s_and_saveexec_b32 s22, s23
	s_cbranch_execz .LBB1016_790
; %bb.789:                              ;   in Loop: Header=BB1016_722 Depth=2
	s_waitcnt lgkmcnt(0)
	v_bcnt_u32_b32 v39, v39, v213
	ds_write_b32 v215, v39 offset:544
.LBB1016_790:                           ;   in Loop: Header=BB1016_722 Depth=2
	s_or_b32 exec_lo, exec_lo, s22
	v_xor_b32_e32 v212, 0xffff8000, v41
	; wave barrier
	v_lshrrev_b32_sdwa v39, s41, v212 dst_sel:DWORD dst_unused:UNUSED_PAD src0_sel:DWORD src1_sel:WORD_0
	v_and_b32_e32 v40, s62, v39
	v_and_b32_e32 v39, 1, v40
	v_lshlrev_b32_e32 v41, 30, v40
	v_lshlrev_b32_e32 v42, 29, v40
	v_lshlrev_b32_e32 v217, 28, v40
	v_lshlrev_b32_e32 v218, 27, v40
	v_add_co_u32 v39, s22, v39, -1
	v_cndmask_b32_e64 v216, 0, 1, s22
	v_not_b32_e32 v220, v41
	v_cmp_gt_i32_e64 s22, 0, v41
	v_not_b32_e32 v41, v42
	v_lshlrev_b32_e32 v219, 26, v40
	v_cmp_ne_u32_e32 vcc_lo, 0, v216
	v_ashrrev_i32_e32 v220, 31, v220
	v_lshlrev_b32_e32 v216, 25, v40
	v_ashrrev_i32_e32 v41, 31, v41
	v_xor_b32_e32 v39, vcc_lo, v39
	v_cmp_gt_i32_e32 vcc_lo, 0, v42
	v_not_b32_e32 v42, v217
	v_xor_b32_e32 v220, s22, v220
	v_cmp_gt_i32_e64 s22, 0, v217
	v_and_b32_e32 v39, exec_lo, v39
	v_not_b32_e32 v217, v218
	v_ashrrev_i32_e32 v42, 31, v42
	v_xor_b32_e32 v41, vcc_lo, v41
	v_cmp_gt_i32_e32 vcc_lo, 0, v218
	v_and_b32_e32 v39, v39, v220
	v_not_b32_e32 v218, v219
	v_ashrrev_i32_e32 v217, 31, v217
	v_xor_b32_e32 v42, s22, v42
	v_cmp_gt_i32_e64 s22, 0, v219
	v_and_b32_e32 v39, v39, v41
	v_not_b32_e32 v41, v216
	v_ashrrev_i32_e32 v218, 31, v218
	v_xor_b32_e32 v217, vcc_lo, v217
	v_cmp_gt_i32_e32 vcc_lo, 0, v216
	v_and_b32_e32 v39, v39, v42
	v_ashrrev_i32_e32 v41, 31, v41
	v_xor_b32_e32 v42, s22, v218
	v_mad_u32_u24 v216, v40, 36, v135
	v_mul_u32_u24_e32 v40, 36, v40
	v_and_b32_e32 v39, v39, v217
	v_xor_b32_e32 v41, vcc_lo, v41
	ds_read_b32 v216, v216 offset:544
	v_add_nc_u32_e32 v218, v135, v40
	v_and_b32_e32 v39, v39, v42
	; wave barrier
	v_and_b32_e32 v39, v39, v41
	v_mbcnt_lo_u32_b32 v217, v39, 0
	v_cmp_ne_u32_e64 s22, 0, v39
	v_cmp_eq_u32_e32 vcc_lo, 0, v217
	s_and_b32 s23, s22, vcc_lo
	s_and_saveexec_b32 s22, s23
	s_cbranch_execz .LBB1016_792
; %bb.791:                              ;   in Loop: Header=BB1016_722 Depth=2
	s_waitcnt lgkmcnt(0)
	v_bcnt_u32_b32 v39, v39, v216
	ds_write_b32 v218, v39 offset:544
.LBB1016_792:                           ;   in Loop: Header=BB1016_722 Depth=2
	s_or_b32 exec_lo, exec_lo, s22
	v_lshrrev_b32_sdwa v39, s41, v3 dst_sel:DWORD dst_unused:UNUSED_PAD src0_sel:DWORD src1_sel:WORD_0
	; wave barrier
	v_and_b32_e32 v40, s62, v39
	v_and_b32_e32 v39, 1, v40
	v_lshlrev_b32_e32 v41, 30, v40
	v_lshlrev_b32_e32 v42, 29, v40
	;; [unrolled: 1-line block ×4, first 2 shown]
	v_add_co_u32 v39, s22, v39, -1
	v_cndmask_b32_e64 v219, 0, 1, s22
	v_not_b32_e32 v223, v41
	v_cmp_gt_i32_e64 s22, 0, v41
	v_not_b32_e32 v41, v42
	v_lshlrev_b32_e32 v222, 26, v40
	v_cmp_ne_u32_e32 vcc_lo, 0, v219
	v_ashrrev_i32_e32 v223, 31, v223
	v_lshlrev_b32_e32 v219, 25, v40
	v_ashrrev_i32_e32 v41, 31, v41
	v_xor_b32_e32 v39, vcc_lo, v39
	v_cmp_gt_i32_e32 vcc_lo, 0, v42
	v_not_b32_e32 v42, v220
	v_xor_b32_e32 v223, s22, v223
	v_cmp_gt_i32_e64 s22, 0, v220
	v_and_b32_e32 v39, exec_lo, v39
	v_not_b32_e32 v220, v221
	v_ashrrev_i32_e32 v42, 31, v42
	v_xor_b32_e32 v41, vcc_lo, v41
	v_cmp_gt_i32_e32 vcc_lo, 0, v221
	v_and_b32_e32 v39, v39, v223
	v_not_b32_e32 v221, v222
	v_ashrrev_i32_e32 v220, 31, v220
	v_xor_b32_e32 v42, s22, v42
	v_cmp_gt_i32_e64 s22, 0, v222
	v_and_b32_e32 v39, v39, v41
	v_not_b32_e32 v41, v219
	v_ashrrev_i32_e32 v221, 31, v221
	v_xor_b32_e32 v220, vcc_lo, v220
	v_cmp_gt_i32_e32 vcc_lo, 0, v219
	v_and_b32_e32 v39, v39, v42
	v_ashrrev_i32_e32 v41, 31, v41
	v_xor_b32_e32 v42, s22, v221
	v_mad_u32_u24 v219, v40, 36, v135
	v_mul_u32_u24_e32 v40, 36, v40
	v_and_b32_e32 v39, v39, v220
	v_xor_b32_e32 v41, vcc_lo, v41
	ds_read_b32 v219, v219 offset:544
	v_add_nc_u32_e32 v221, v135, v40
	v_and_b32_e32 v39, v39, v42
	; wave barrier
	v_and_b32_e32 v39, v39, v41
	v_mbcnt_lo_u32_b32 v220, v39, 0
	v_cmp_ne_u32_e64 s22, 0, v39
	v_cmp_eq_u32_e32 vcc_lo, 0, v220
	s_and_b32 s23, s22, vcc_lo
	s_and_saveexec_b32 s22, s23
	s_cbranch_execz .LBB1016_794
; %bb.793:                              ;   in Loop: Header=BB1016_722 Depth=2
	s_waitcnt lgkmcnt(0)
	v_bcnt_u32_b32 v39, v39, v219
	ds_write_b32 v221, v39 offset:544
.LBB1016_794:                           ;   in Loop: Header=BB1016_722 Depth=2
	s_or_b32 exec_lo, exec_lo, s22
	; wave barrier
	s_waitcnt lgkmcnt(0)
	s_barrier
	buffer_gl0_inv
	ds_read2_b32 v[41:42], v68 offset0:136 offset1:137
	ds_read2_b32 v[39:40], v68 offset0:138 offset1:139
	ds_read_b32 v222, v68 offset:560
	s_waitcnt lgkmcnt(1)
	v_add3_u32 v223, v42, v41, v39
	s_waitcnt lgkmcnt(0)
	v_add3_u32 v222, v223, v40, v222
	v_mov_b32_dpp v223, v222 row_shr:1 row_mask:0xf bank_mask:0xf
	v_cndmask_b32_e64 v223, v223, 0, s5
	v_add_nc_u32_e32 v222, v223, v222
	v_mov_b32_dpp v223, v222 row_shr:2 row_mask:0xf bank_mask:0xf
	v_cndmask_b32_e64 v223, 0, v223, s15
	v_add_nc_u32_e32 v222, v222, v223
	;; [unrolled: 3-line block ×4, first 2 shown]
	ds_swizzle_b32 v223, v222 offset:swizzle(BROADCAST,32,15)
	s_waitcnt lgkmcnt(0)
	v_cndmask_b32_e64 v223, v223, 0, s18
	v_add_nc_u32_e32 v222, v222, v223
	s_and_saveexec_b32 s22, s4
; %bb.795:                              ;   in Loop: Header=BB1016_722 Depth=2
	ds_write_b32 v62, v222 offset:512
; %bb.796:                              ;   in Loop: Header=BB1016_722 Depth=2
	s_or_b32 exec_lo, exec_lo, s22
	s_waitcnt lgkmcnt(0)
	s_barrier
	buffer_gl0_inv
	s_and_saveexec_b32 s22, s11
	s_cbranch_execz .LBB1016_798
; %bb.797:                              ;   in Loop: Header=BB1016_722 Depth=2
	ds_read_b32 v223, v69 offset:512
	s_waitcnt lgkmcnt(0)
	v_mov_b32_dpp v224, v223 row_shr:1 row_mask:0xf bank_mask:0xf
	v_cndmask_b32_e64 v224, v224, 0, s19
	v_add_nc_u32_e32 v223, v224, v223
	v_mov_b32_dpp v224, v223 row_shr:2 row_mask:0xf bank_mask:0xf
	v_cndmask_b32_e64 v224, 0, v224, s20
	v_add_nc_u32_e32 v223, v223, v224
	;; [unrolled: 3-line block ×3, first 2 shown]
	ds_write_b32 v69, v223 offset:512
.LBB1016_798:                           ;   in Loop: Header=BB1016_722 Depth=2
	s_or_b32 exec_lo, exec_lo, s22
	v_mov_b32_e32 v223, 0
	s_waitcnt lgkmcnt(0)
	s_barrier
	buffer_gl0_inv
	s_and_saveexec_b32 s22, s10
; %bb.799:                              ;   in Loop: Header=BB1016_722 Depth=2
	ds_read_b32 v223, v62 offset:508
; %bb.800:                              ;   in Loop: Header=BB1016_722 Depth=2
	s_or_b32 exec_lo, exec_lo, s22
	s_waitcnt lgkmcnt(0)
	v_add_nc_u32_e32 v222, v223, v222
	ds_bpermute_b32 v222, v125, v222
	s_waitcnt lgkmcnt(0)
	v_cndmask_b32_e64 v222, v222, v223, s14
	v_cndmask_b32_e64 v222, v222, 0, s12
	v_add_nc_u32_e32 v41, v222, v41
	v_add_nc_u32_e32 v42, v41, v42
	;; [unrolled: 1-line block ×4, first 2 shown]
	ds_write2_b32 v68, v222, v41 offset0:136 offset1:137
	ds_write2_b32 v68, v42, v39 offset0:138 offset1:139
	ds_write_b32 v68, v40 offset:560
	s_waitcnt lgkmcnt(0)
	s_barrier
	buffer_gl0_inv
	ds_read_b32 v41, v159 offset:544
	ds_read_b32 v42, v163 offset:544
	;; [unrolled: 1-line block ×17, first 2 shown]
	s_and_saveexec_b32 s22, s7
	s_cbranch_execz .LBB1016_804
; %bb.801:                              ;   in Loop: Header=BB1016_722 Depth=2
	ds_read_b32 v151, v71 offset:544
	v_mov_b32_e32 v154, 0x1100
	s_and_saveexec_b32 s23, s13
; %bb.802:                              ;   in Loop: Header=BB1016_722 Depth=2
	ds_read_b32 v154, v70 offset:544
; %bb.803:                              ;   in Loop: Header=BB1016_722 Depth=2
	s_or_b32 exec_lo, exec_lo, s23
	s_waitcnt lgkmcnt(0)
	v_sub_nc_u32_e32 v154, v154, v151
.LBB1016_804:                           ;   in Loop: Header=BB1016_722 Depth=2
	s_or_b32 exec_lo, exec_lo, s22
	s_waitcnt lgkmcnt(0)
	s_barrier
	buffer_gl0_inv
	s_and_saveexec_b32 s22, s7
	s_cbranch_execz .LBB1016_806
; %bb.805:                              ;   in Loop: Header=BB1016_722 Depth=2
	ds_read_b32 v168, v43
	s_waitcnt lgkmcnt(0)
	v_sub_nc_u32_e32 v168, v168, v151
	ds_write_b32 v43, v168
.LBB1016_806:                           ;   in Loop: Header=BB1016_722 Depth=2
	s_or_b32 exec_lo, exec_lo, s22
	v_add_nc_u32_e32 v178, v41, v158
	v_add3_u32 v177, v162, v161, v42
	v_add3_u32 v173, v166, v165, v163
	;; [unrolled: 1-line block ×5, first 2 shown]
	v_lshlrev_b32_e32 v175, 1, v178
	v_lshlrev_b32_e32 v176, 1, v177
	v_add3_u32 v161, v217, v216, v39
	v_lshlrev_b32_e32 v39, 1, v173
	v_add3_u32 v170, v181, v180, v183
	v_add3_u32 v167, v191, v190, v192
	;; [unrolled: 1-line block ×5, first 2 shown]
	ds_write_b16 v175, v156 offset:512
	ds_write_b16 v176, v157 offset:512
	v_lshlrev_b32_e32 v40, 1, v172
	ds_write_b16 v39, v160 offset:512
	v_lshlrev_b32_e32 v39, 1, v168
	v_add3_u32 v165, v197, v196, v198
	v_lshlrev_b32_e32 v156, 1, v171
	v_add3_u32 v163, v201, v200, v202
	;; [unrolled: 2-line block ×3, first 2 shown]
	v_add3_u32 v42, v208, v207, v224
	ds_write_b16 v40, v164 offset:512
	ds_write_b16 v156, v169 offset:512
	;; [unrolled: 1-line block ×3, first 2 shown]
	v_lshlrev_b32_e32 v40, 1, v167
	ds_write_b16 v39, v179 offset:512
	v_lshlrev_b32_e32 v39, 1, v166
	v_lshlrev_b32_e32 v156, 1, v165
	;; [unrolled: 1-line block ×3, first 2 shown]
	v_add3_u32 v41, v211, v210, v225
	ds_write_b16 v40, v184 offset:512
	v_lshlrev_b32_e32 v40, 1, v162
	ds_write_b16 v39, v189 offset:512
	ds_write_b16 v156, v187 offset:512
	;; [unrolled: 1-line block ×3, first 2 shown]
	v_lshlrev_b32_e32 v39, 1, v42
	v_cmp_lt_u32_e32 vcc_lo, v0, v155
	v_lshlrev_b32_e32 v156, 1, v158
	ds_write_b16 v40, v199 offset:512
	v_lshlrev_b32_e32 v40, 1, v41
	ds_write_b16 v39, v203 offset:512
	v_lshlrev_b32_e32 v39, 1, v159
	v_lshlrev_b32_e32 v157, 1, v161
	ds_write_b16 v40, v206 offset:512
	ds_write_b16 v156, v209 offset:512
	;; [unrolled: 1-line block ×4, first 2 shown]
	s_waitcnt lgkmcnt(0)
	s_barrier
	buffer_gl0_inv
	s_and_saveexec_b32 s23, vcc_lo
	s_cbranch_execnz .LBB1016_879
; %bb.807:                              ;   in Loop: Header=BB1016_722 Depth=2
	s_or_b32 exec_lo, exec_lo, s23
	v_cmp_lt_u32_e64 s22, v44, v155
	s_and_saveexec_b32 s24, s22
	s_cbranch_execnz .LBB1016_880
.LBB1016_808:                           ;   in Loop: Header=BB1016_722 Depth=2
	s_or_b32 exec_lo, exec_lo, s24
	v_cmp_lt_u32_e64 s23, v47, v155
	s_and_saveexec_b32 s25, s23
	s_cbranch_execnz .LBB1016_881
.LBB1016_809:                           ;   in Loop: Header=BB1016_722 Depth=2
	s_or_b32 exec_lo, exec_lo, s25
	v_cmp_lt_u32_e64 s24, v48, v155
	s_and_saveexec_b32 s26, s24
	s_cbranch_execnz .LBB1016_882
.LBB1016_810:                           ;   in Loop: Header=BB1016_722 Depth=2
	s_or_b32 exec_lo, exec_lo, s26
	v_cmp_lt_u32_e64 s25, v49, v155
	s_and_saveexec_b32 s27, s25
	s_cbranch_execnz .LBB1016_883
.LBB1016_811:                           ;   in Loop: Header=BB1016_722 Depth=2
	s_or_b32 exec_lo, exec_lo, s27
	v_cmp_lt_u32_e64 s26, v50, v155
	s_and_saveexec_b32 s29, s26
	s_cbranch_execnz .LBB1016_884
.LBB1016_812:                           ;   in Loop: Header=BB1016_722 Depth=2
	s_or_b32 exec_lo, exec_lo, s29
	v_cmp_lt_u32_e64 s27, v51, v155
	s_and_saveexec_b32 s30, s27
	s_cbranch_execnz .LBB1016_885
.LBB1016_813:                           ;   in Loop: Header=BB1016_722 Depth=2
	s_or_b32 exec_lo, exec_lo, s30
	v_cmp_lt_u32_e64 s29, v52, v155
	s_and_saveexec_b32 s31, s29
	s_cbranch_execnz .LBB1016_886
.LBB1016_814:                           ;   in Loop: Header=BB1016_722 Depth=2
	s_or_b32 exec_lo, exec_lo, s31
	v_cmp_lt_u32_e64 s30, v53, v155
	s_and_saveexec_b32 s33, s30
	s_cbranch_execnz .LBB1016_887
.LBB1016_815:                           ;   in Loop: Header=BB1016_722 Depth=2
	s_or_b32 exec_lo, exec_lo, s33
	v_cmp_lt_u32_e64 s31, v54, v155
	s_and_saveexec_b32 s34, s31
	s_cbranch_execnz .LBB1016_888
.LBB1016_816:                           ;   in Loop: Header=BB1016_722 Depth=2
	s_or_b32 exec_lo, exec_lo, s34
	v_cmp_lt_u32_e64 s33, v55, v155
	s_and_saveexec_b32 s35, s33
	s_cbranch_execnz .LBB1016_889
.LBB1016_817:                           ;   in Loop: Header=BB1016_722 Depth=2
	s_or_b32 exec_lo, exec_lo, s35
	v_cmp_lt_u32_e64 s34, v56, v155
	s_and_saveexec_b32 s36, s34
	s_cbranch_execnz .LBB1016_890
.LBB1016_818:                           ;   in Loop: Header=BB1016_722 Depth=2
	s_or_b32 exec_lo, exec_lo, s36
	v_cmp_lt_u32_e64 s35, v57, v155
	s_and_saveexec_b32 s37, s35
	s_cbranch_execnz .LBB1016_891
.LBB1016_819:                           ;   in Loop: Header=BB1016_722 Depth=2
	s_or_b32 exec_lo, exec_lo, s37
	v_cmp_lt_u32_e64 s36, v58, v155
	s_and_saveexec_b32 s38, s36
	s_cbranch_execnz .LBB1016_892
.LBB1016_820:                           ;   in Loop: Header=BB1016_722 Depth=2
	s_or_b32 exec_lo, exec_lo, s38
	v_cmp_lt_u32_e64 s37, v59, v155
	s_and_saveexec_b32 s39, s37
	s_cbranch_execnz .LBB1016_893
.LBB1016_821:                           ;   in Loop: Header=BB1016_722 Depth=2
	s_or_b32 exec_lo, exec_lo, s39
	v_cmp_lt_u32_e64 s38, v60, v155
	s_and_saveexec_b32 s40, s38
	s_cbranch_execnz .LBB1016_894
.LBB1016_822:                           ;   in Loop: Header=BB1016_722 Depth=2
	s_or_b32 exec_lo, exec_lo, s40
	v_cmp_lt_u32_e64 s39, v61, v155
	s_and_saveexec_b32 s65, s39
	s_cbranch_execz .LBB1016_824
.LBB1016_823:                           ;   in Loop: Header=BB1016_722 Depth=2
	ds_read_u16 v156, v74 offset:8704
	s_waitcnt lgkmcnt(0)
	v_lshrrev_b32_sdwa v3, s41, v156 dst_sel:DWORD dst_unused:UNUSED_PAD src0_sel:DWORD src1_sel:WORD_0
	v_and_b32_e32 v3, s62, v3
	v_lshlrev_b32_e32 v3, 2, v3
	ds_read_b32 v3, v3
	s_waitcnt lgkmcnt(0)
	v_add_nc_u32_e32 v3, v3, v61
	v_lshlrev_b64 v[39:40], 1, v[3:4]
	v_xor_b32_e32 v3, 0xffff8000, v156
	v_add_co_u32 v39, s40, s46, v39
	v_add_co_ci_u32_e64 v40, null, s47, v40, s40
	global_store_short v[39:40], v3, off
.LBB1016_824:                           ;   in Loop: Header=BB1016_722 Depth=2
	s_or_b32 exec_lo, exec_lo, s65
	s_lshl_b64 s[66:67], s[50:51], 3
	v_add_co_u32 v39, s40, v126, s66
	v_add_co_ci_u32_e64 v40, null, s67, v127, s40
	v_cmp_lt_u32_e64 s40, v94, v155
	s_and_saveexec_b32 s50, s40
	s_xor_b32 s40, exec_lo, s50
	s_cbranch_execnz .LBB1016_895
; %bb.825:                              ;   in Loop: Header=BB1016_722 Depth=2
	s_or_b32 exec_lo, exec_lo, s40
	s_mov_b32 s50, exec_lo
	v_cmpx_lt_u32_e64 v98, v155
	s_cbranch_execnz .LBB1016_896
.LBB1016_826:                           ;   in Loop: Header=BB1016_722 Depth=2
	s_or_b32 exec_lo, exec_lo, s50
	s_mov_b32 s50, exec_lo
	v_cmpx_lt_u32_e64 v99, v155
	s_cbranch_execnz .LBB1016_897
.LBB1016_827:                           ;   in Loop: Header=BB1016_722 Depth=2
	s_or_b32 exec_lo, exec_lo, s50
	s_mov_b32 s50, exec_lo
	v_cmpx_lt_u32_e64 v100, v155
	s_cbranch_execnz .LBB1016_898
.LBB1016_828:                           ;   in Loop: Header=BB1016_722 Depth=2
	s_or_b32 exec_lo, exec_lo, s50
	s_mov_b32 s50, exec_lo
	v_cmpx_lt_u32_e64 v101, v155
	s_cbranch_execnz .LBB1016_899
.LBB1016_829:                           ;   in Loop: Header=BB1016_722 Depth=2
	s_or_b32 exec_lo, exec_lo, s50
	s_mov_b32 s50, exec_lo
	v_cmpx_lt_u32_e64 v102, v155
	s_cbranch_execnz .LBB1016_900
.LBB1016_830:                           ;   in Loop: Header=BB1016_722 Depth=2
	s_or_b32 exec_lo, exec_lo, s50
	s_mov_b32 s50, exec_lo
	v_cmpx_lt_u32_e64 v103, v155
	s_cbranch_execnz .LBB1016_901
.LBB1016_831:                           ;   in Loop: Header=BB1016_722 Depth=2
	s_or_b32 exec_lo, exec_lo, s50
	s_mov_b32 s50, exec_lo
	v_cmpx_lt_u32_e64 v104, v155
	s_cbranch_execnz .LBB1016_902
.LBB1016_832:                           ;   in Loop: Header=BB1016_722 Depth=2
	s_or_b32 exec_lo, exec_lo, s50
	s_mov_b32 s50, exec_lo
	v_cmpx_lt_u32_e64 v105, v155
	s_cbranch_execnz .LBB1016_903
.LBB1016_833:                           ;   in Loop: Header=BB1016_722 Depth=2
	s_or_b32 exec_lo, exec_lo, s50
	s_mov_b32 s50, exec_lo
	v_cmpx_lt_u32_e64 v106, v155
	s_cbranch_execnz .LBB1016_904
.LBB1016_834:                           ;   in Loop: Header=BB1016_722 Depth=2
	s_or_b32 exec_lo, exec_lo, s50
	s_mov_b32 s50, exec_lo
	v_cmpx_lt_u32_e64 v107, v155
	s_cbranch_execnz .LBB1016_905
.LBB1016_835:                           ;   in Loop: Header=BB1016_722 Depth=2
	s_or_b32 exec_lo, exec_lo, s50
	s_mov_b32 s50, exec_lo
	v_cmpx_lt_u32_e64 v108, v155
	s_cbranch_execnz .LBB1016_906
.LBB1016_836:                           ;   in Loop: Header=BB1016_722 Depth=2
	s_or_b32 exec_lo, exec_lo, s50
	s_mov_b32 s50, exec_lo
	v_cmpx_lt_u32_e64 v128, v155
	s_cbranch_execnz .LBB1016_907
.LBB1016_837:                           ;   in Loop: Header=BB1016_722 Depth=2
	s_or_b32 exec_lo, exec_lo, s50
	s_mov_b32 s50, exec_lo
	v_cmpx_lt_u32_e64 v129, v155
	s_cbranch_execnz .LBB1016_908
.LBB1016_838:                           ;   in Loop: Header=BB1016_722 Depth=2
	s_or_b32 exec_lo, exec_lo, s50
	s_mov_b32 s50, exec_lo
	v_cmpx_lt_u32_e64 v130, v155
	s_cbranch_execnz .LBB1016_909
.LBB1016_839:                           ;   in Loop: Header=BB1016_722 Depth=2
	s_or_b32 exec_lo, exec_lo, s50
	s_mov_b32 s50, exec_lo
	v_cmpx_lt_u32_e64 v131, v155
	s_cbranch_execnz .LBB1016_910
.LBB1016_840:                           ;   in Loop: Header=BB1016_722 Depth=2
	s_or_b32 exec_lo, exec_lo, s50
	s_mov_b32 s50, exec_lo
	v_cmpx_lt_u32_e64 v132, v155
	s_cbranch_execnz .LBB1016_911
.LBB1016_841:                           ;   in Loop: Header=BB1016_722 Depth=2
	s_or_b32 exec_lo, exec_lo, s50
	s_and_saveexec_b32 s40, vcc_lo
	s_cbranch_execnz .LBB1016_912
.LBB1016_842:                           ;   in Loop: Header=BB1016_722 Depth=2
	s_or_b32 exec_lo, exec_lo, s40
	s_and_saveexec_b32 s40, s22
	s_cbranch_execnz .LBB1016_913
.LBB1016_843:                           ;   in Loop: Header=BB1016_722 Depth=2
	s_or_b32 exec_lo, exec_lo, s40
	s_and_saveexec_b32 s40, s23
	s_cbranch_execnz .LBB1016_914
.LBB1016_844:                           ;   in Loop: Header=BB1016_722 Depth=2
	s_or_b32 exec_lo, exec_lo, s40
	s_and_saveexec_b32 s40, s24
	s_cbranch_execnz .LBB1016_915
.LBB1016_845:                           ;   in Loop: Header=BB1016_722 Depth=2
	s_or_b32 exec_lo, exec_lo, s40
	s_and_saveexec_b32 s40, s25
	s_cbranch_execnz .LBB1016_916
.LBB1016_846:                           ;   in Loop: Header=BB1016_722 Depth=2
	s_or_b32 exec_lo, exec_lo, s40
	s_and_saveexec_b32 s40, s26
	s_cbranch_execnz .LBB1016_917
.LBB1016_847:                           ;   in Loop: Header=BB1016_722 Depth=2
	s_or_b32 exec_lo, exec_lo, s40
	s_and_saveexec_b32 s40, s27
	s_cbranch_execnz .LBB1016_918
.LBB1016_848:                           ;   in Loop: Header=BB1016_722 Depth=2
	s_or_b32 exec_lo, exec_lo, s40
	s_and_saveexec_b32 s40, s29
	s_cbranch_execnz .LBB1016_919
.LBB1016_849:                           ;   in Loop: Header=BB1016_722 Depth=2
	s_or_b32 exec_lo, exec_lo, s40
	s_and_saveexec_b32 s40, s30
	s_cbranch_execnz .LBB1016_920
.LBB1016_850:                           ;   in Loop: Header=BB1016_722 Depth=2
	s_or_b32 exec_lo, exec_lo, s40
	s_and_saveexec_b32 s40, s31
	s_cbranch_execnz .LBB1016_921
.LBB1016_851:                           ;   in Loop: Header=BB1016_722 Depth=2
	s_or_b32 exec_lo, exec_lo, s40
	s_and_saveexec_b32 s40, s33
	s_cbranch_execnz .LBB1016_922
.LBB1016_852:                           ;   in Loop: Header=BB1016_722 Depth=2
	s_or_b32 exec_lo, exec_lo, s40
	s_and_saveexec_b32 s40, s34
	s_cbranch_execnz .LBB1016_923
.LBB1016_853:                           ;   in Loop: Header=BB1016_722 Depth=2
	s_or_b32 exec_lo, exec_lo, s40
	s_and_saveexec_b32 s40, s35
	s_cbranch_execnz .LBB1016_924
.LBB1016_854:                           ;   in Loop: Header=BB1016_722 Depth=2
	s_or_b32 exec_lo, exec_lo, s40
	s_and_saveexec_b32 s40, s36
	s_cbranch_execnz .LBB1016_925
.LBB1016_855:                           ;   in Loop: Header=BB1016_722 Depth=2
	s_or_b32 exec_lo, exec_lo, s40
	s_and_saveexec_b32 s40, s37
	s_cbranch_execnz .LBB1016_926
.LBB1016_856:                           ;   in Loop: Header=BB1016_722 Depth=2
	s_or_b32 exec_lo, exec_lo, s40
	s_and_saveexec_b32 s40, s38
	s_cbranch_execnz .LBB1016_927
.LBB1016_857:                           ;   in Loop: Header=BB1016_722 Depth=2
	s_or_b32 exec_lo, exec_lo, s40
	s_and_saveexec_b32 s40, s39
	s_cbranch_execz .LBB1016_859
.LBB1016_858:                           ;   in Loop: Header=BB1016_722 Depth=2
	ds_read_u16 v3, v74 offset:8704
	s_waitcnt lgkmcnt(0)
	v_lshrrev_b32_e32 v3, s41, v3
	v_and_b32_e32 v136, s62, v3
.LBB1016_859:                           ;   in Loop: Header=BB1016_722 Depth=2
	s_or_b32 exec_lo, exec_lo, s40
	v_lshlrev_b32_e32 v3, 3, v178
	v_lshlrev_b32_e32 v39, 3, v177
	s_waitcnt vmcnt(0)
	s_waitcnt_vscnt null, 0x0
	s_barrier
	buffer_gl0_inv
	ds_write_b64 v3, v[37:38] offset:512
	ds_write_b64 v39, v[35:36] offset:512
	v_lshlrev_b32_e32 v3, 3, v173
	v_lshlrev_b32_e32 v39, 3, v172
	v_lshlrev_b32_e32 v40, 3, v171
	v_lshlrev_b32_e32 v155, 3, v170
	v_lshlrev_b32_e32 v156, 3, v168
	ds_write_b64 v3, v[33:34] offset:512
	ds_write_b64 v39, v[31:32] offset:512
	ds_write_b64 v40, v[29:30] offset:512
	ds_write_b64 v155, v[25:26] offset:512
	ds_write_b64 v156, v[21:22] offset:512
	v_lshlrev_b32_e32 v3, 3, v167
	v_lshlrev_b32_e32 v39, 3, v166
	v_lshlrev_b32_e32 v40, 3, v165
	v_lshlrev_b32_e32 v155, 3, v163
	v_lshlrev_b32_e32 v156, 3, v162
	ds_write_b64 v3, v[17:18] offset:512
	ds_write_b64 v39, v[27:28] offset:512
	ds_write_b64 v40, v[23:24] offset:512
	;; [unrolled: 10-line block ×3, first 2 shown]
	ds_write_b64 v41, v[7:8] offset:512
	ds_write_b64 v42, v[5:6] offset:512
	s_waitcnt lgkmcnt(0)
	s_barrier
	buffer_gl0_inv
	s_and_saveexec_b32 s40, vcc_lo
	s_cbranch_execnz .LBB1016_928
; %bb.860:                              ;   in Loop: Header=BB1016_722 Depth=2
	s_or_b32 exec_lo, exec_lo, s40
	s_and_saveexec_b32 s40, s22
	s_cbranch_execnz .LBB1016_929
.LBB1016_861:                           ;   in Loop: Header=BB1016_722 Depth=2
	s_or_b32 exec_lo, exec_lo, s40
	s_and_saveexec_b32 s22, s23
	s_cbranch_execnz .LBB1016_930
.LBB1016_862:                           ;   in Loop: Header=BB1016_722 Depth=2
	s_or_b32 exec_lo, exec_lo, s22
	s_and_saveexec_b32 s22, s24
	s_cbranch_execnz .LBB1016_931
.LBB1016_863:                           ;   in Loop: Header=BB1016_722 Depth=2
	s_or_b32 exec_lo, exec_lo, s22
	s_and_saveexec_b32 s22, s25
	s_cbranch_execnz .LBB1016_932
.LBB1016_864:                           ;   in Loop: Header=BB1016_722 Depth=2
	s_or_b32 exec_lo, exec_lo, s22
	s_and_saveexec_b32 s22, s26
	s_cbranch_execnz .LBB1016_933
.LBB1016_865:                           ;   in Loop: Header=BB1016_722 Depth=2
	s_or_b32 exec_lo, exec_lo, s22
	s_and_saveexec_b32 s22, s27
	s_cbranch_execnz .LBB1016_934
.LBB1016_866:                           ;   in Loop: Header=BB1016_722 Depth=2
	s_or_b32 exec_lo, exec_lo, s22
	s_and_saveexec_b32 s22, s29
	s_cbranch_execnz .LBB1016_935
.LBB1016_867:                           ;   in Loop: Header=BB1016_722 Depth=2
	s_or_b32 exec_lo, exec_lo, s22
	s_and_saveexec_b32 s22, s30
	s_cbranch_execnz .LBB1016_936
.LBB1016_868:                           ;   in Loop: Header=BB1016_722 Depth=2
	s_or_b32 exec_lo, exec_lo, s22
	s_and_saveexec_b32 s22, s31
	s_cbranch_execnz .LBB1016_937
.LBB1016_869:                           ;   in Loop: Header=BB1016_722 Depth=2
	s_or_b32 exec_lo, exec_lo, s22
	s_and_saveexec_b32 s22, s33
	s_cbranch_execnz .LBB1016_938
.LBB1016_870:                           ;   in Loop: Header=BB1016_722 Depth=2
	s_or_b32 exec_lo, exec_lo, s22
	s_and_saveexec_b32 s22, s34
	s_cbranch_execnz .LBB1016_939
.LBB1016_871:                           ;   in Loop: Header=BB1016_722 Depth=2
	s_or_b32 exec_lo, exec_lo, s22
	s_and_saveexec_b32 s22, s35
	s_cbranch_execnz .LBB1016_940
.LBB1016_872:                           ;   in Loop: Header=BB1016_722 Depth=2
	s_or_b32 exec_lo, exec_lo, s22
	s_and_saveexec_b32 s22, s36
	s_cbranch_execnz .LBB1016_941
.LBB1016_873:                           ;   in Loop: Header=BB1016_722 Depth=2
	s_or_b32 exec_lo, exec_lo, s22
	s_and_saveexec_b32 s22, s37
	s_cbranch_execnz .LBB1016_942
.LBB1016_874:                           ;   in Loop: Header=BB1016_722 Depth=2
	s_or_b32 exec_lo, exec_lo, s22
	s_and_saveexec_b32 s22, s38
	s_cbranch_execnz .LBB1016_943
.LBB1016_875:                           ;   in Loop: Header=BB1016_722 Depth=2
	s_or_b32 exec_lo, exec_lo, s22
	s_and_saveexec_b32 s22, s39
	s_cbranch_execz .LBB1016_877
.LBB1016_876:                           ;   in Loop: Header=BB1016_722 Depth=2
	v_lshlrev_b32_e32 v3, 2, v136
	v_add_nc_u32_e32 v39, v74, v75
	ds_read_b32 v3, v3
	ds_read_b64 v[39:40], v39 offset:33280
	s_waitcnt lgkmcnt(1)
	v_add_nc_u32_e32 v3, v3, v61
	v_lshlrev_b64 v[41:42], 3, v[3:4]
	v_add_co_u32 v41, vcc_lo, s52, v41
	v_add_co_ci_u32_e64 v42, null, s53, v42, vcc_lo
	s_waitcnt lgkmcnt(0)
	global_store_dwordx2 v[41:42], v[39:40], off
.LBB1016_877:                           ;   in Loop: Header=BB1016_722 Depth=2
	s_or_b32 exec_lo, exec_lo, s22
	s_waitcnt_vscnt null, 0x0
	s_barrier
	buffer_gl0_inv
	s_and_saveexec_b32 s22, s7
	s_cbranch_execz .LBB1016_721
; %bb.878:                              ;   in Loop: Header=BB1016_722 Depth=2
	ds_read_b32 v3, v43
	s_waitcnt lgkmcnt(0)
	v_add3_u32 v3, v151, v154, v3
	ds_write_b32 v43, v3
	s_branch .LBB1016_721
.LBB1016_879:                           ;   in Loop: Header=BB1016_722 Depth=2
	ds_read_u16 v156, v74 offset:512
	s_waitcnt lgkmcnt(0)
	v_lshrrev_b32_sdwa v3, s41, v156 dst_sel:DWORD dst_unused:UNUSED_PAD src0_sel:DWORD src1_sel:WORD_0
	v_and_b32_e32 v3, s62, v3
	v_lshlrev_b32_e32 v3, 2, v3
	ds_read_b32 v3, v3
	s_waitcnt lgkmcnt(0)
	v_add_nc_u32_e32 v3, v3, v0
	v_lshlrev_b64 v[39:40], 1, v[3:4]
	v_xor_b32_e32 v3, 0xffff8000, v156
	v_add_co_u32 v39, s22, s46, v39
	v_add_co_ci_u32_e64 v40, null, s47, v40, s22
	global_store_short v[39:40], v3, off
	s_or_b32 exec_lo, exec_lo, s23
	v_cmp_lt_u32_e64 s22, v44, v155
	s_and_saveexec_b32 s24, s22
	s_cbranch_execz .LBB1016_808
.LBB1016_880:                           ;   in Loop: Header=BB1016_722 Depth=2
	ds_read_u16 v156, v74 offset:1024
	s_waitcnt lgkmcnt(0)
	v_lshrrev_b32_sdwa v3, s41, v156 dst_sel:DWORD dst_unused:UNUSED_PAD src0_sel:DWORD src1_sel:WORD_0
	v_and_b32_e32 v3, s62, v3
	v_lshlrev_b32_e32 v3, 2, v3
	ds_read_b32 v3, v3
	s_waitcnt lgkmcnt(0)
	v_add_nc_u32_e32 v3, v3, v44
	v_lshlrev_b64 v[39:40], 1, v[3:4]
	v_xor_b32_e32 v3, 0xffff8000, v156
	v_add_co_u32 v39, s23, s46, v39
	v_add_co_ci_u32_e64 v40, null, s47, v40, s23
	global_store_short v[39:40], v3, off
	s_or_b32 exec_lo, exec_lo, s24
	v_cmp_lt_u32_e64 s23, v47, v155
	s_and_saveexec_b32 s25, s23
	s_cbranch_execz .LBB1016_809
.LBB1016_881:                           ;   in Loop: Header=BB1016_722 Depth=2
	ds_read_u16 v156, v74 offset:1536
	s_waitcnt lgkmcnt(0)
	v_lshrrev_b32_sdwa v3, s41, v156 dst_sel:DWORD dst_unused:UNUSED_PAD src0_sel:DWORD src1_sel:WORD_0
	v_and_b32_e32 v3, s62, v3
	v_lshlrev_b32_e32 v3, 2, v3
	ds_read_b32 v3, v3
	s_waitcnt lgkmcnt(0)
	v_add_nc_u32_e32 v3, v3, v47
	v_lshlrev_b64 v[39:40], 1, v[3:4]
	v_xor_b32_e32 v3, 0xffff8000, v156
	v_add_co_u32 v39, s24, s46, v39
	v_add_co_ci_u32_e64 v40, null, s47, v40, s24
	global_store_short v[39:40], v3, off
	s_or_b32 exec_lo, exec_lo, s25
	v_cmp_lt_u32_e64 s24, v48, v155
	s_and_saveexec_b32 s26, s24
	s_cbranch_execz .LBB1016_810
.LBB1016_882:                           ;   in Loop: Header=BB1016_722 Depth=2
	ds_read_u16 v156, v74 offset:2048
	s_waitcnt lgkmcnt(0)
	v_lshrrev_b32_sdwa v3, s41, v156 dst_sel:DWORD dst_unused:UNUSED_PAD src0_sel:DWORD src1_sel:WORD_0
	v_and_b32_e32 v3, s62, v3
	v_lshlrev_b32_e32 v3, 2, v3
	ds_read_b32 v3, v3
	s_waitcnt lgkmcnt(0)
	v_add_nc_u32_e32 v3, v3, v48
	v_lshlrev_b64 v[39:40], 1, v[3:4]
	v_xor_b32_e32 v3, 0xffff8000, v156
	v_add_co_u32 v39, s25, s46, v39
	v_add_co_ci_u32_e64 v40, null, s47, v40, s25
	global_store_short v[39:40], v3, off
	s_or_b32 exec_lo, exec_lo, s26
	v_cmp_lt_u32_e64 s25, v49, v155
	s_and_saveexec_b32 s27, s25
	s_cbranch_execz .LBB1016_811
.LBB1016_883:                           ;   in Loop: Header=BB1016_722 Depth=2
	ds_read_u16 v156, v74 offset:2560
	s_waitcnt lgkmcnt(0)
	v_lshrrev_b32_sdwa v3, s41, v156 dst_sel:DWORD dst_unused:UNUSED_PAD src0_sel:DWORD src1_sel:WORD_0
	v_and_b32_e32 v3, s62, v3
	v_lshlrev_b32_e32 v3, 2, v3
	ds_read_b32 v3, v3
	s_waitcnt lgkmcnt(0)
	v_add_nc_u32_e32 v3, v3, v49
	v_lshlrev_b64 v[39:40], 1, v[3:4]
	v_xor_b32_e32 v3, 0xffff8000, v156
	v_add_co_u32 v39, s26, s46, v39
	v_add_co_ci_u32_e64 v40, null, s47, v40, s26
	global_store_short v[39:40], v3, off
	s_or_b32 exec_lo, exec_lo, s27
	v_cmp_lt_u32_e64 s26, v50, v155
	s_and_saveexec_b32 s29, s26
	s_cbranch_execz .LBB1016_812
.LBB1016_884:                           ;   in Loop: Header=BB1016_722 Depth=2
	ds_read_u16 v156, v74 offset:3072
	s_waitcnt lgkmcnt(0)
	v_lshrrev_b32_sdwa v3, s41, v156 dst_sel:DWORD dst_unused:UNUSED_PAD src0_sel:DWORD src1_sel:WORD_0
	v_and_b32_e32 v3, s62, v3
	v_lshlrev_b32_e32 v3, 2, v3
	ds_read_b32 v3, v3
	s_waitcnt lgkmcnt(0)
	v_add_nc_u32_e32 v3, v3, v50
	v_lshlrev_b64 v[39:40], 1, v[3:4]
	v_xor_b32_e32 v3, 0xffff8000, v156
	v_add_co_u32 v39, s27, s46, v39
	v_add_co_ci_u32_e64 v40, null, s47, v40, s27
	global_store_short v[39:40], v3, off
	s_or_b32 exec_lo, exec_lo, s29
	v_cmp_lt_u32_e64 s27, v51, v155
	s_and_saveexec_b32 s30, s27
	s_cbranch_execz .LBB1016_813
.LBB1016_885:                           ;   in Loop: Header=BB1016_722 Depth=2
	ds_read_u16 v156, v74 offset:3584
	s_waitcnt lgkmcnt(0)
	v_lshrrev_b32_sdwa v3, s41, v156 dst_sel:DWORD dst_unused:UNUSED_PAD src0_sel:DWORD src1_sel:WORD_0
	v_and_b32_e32 v3, s62, v3
	v_lshlrev_b32_e32 v3, 2, v3
	ds_read_b32 v3, v3
	s_waitcnt lgkmcnt(0)
	v_add_nc_u32_e32 v3, v3, v51
	v_lshlrev_b64 v[39:40], 1, v[3:4]
	v_xor_b32_e32 v3, 0xffff8000, v156
	v_add_co_u32 v39, s29, s46, v39
	v_add_co_ci_u32_e64 v40, null, s47, v40, s29
	global_store_short v[39:40], v3, off
	s_or_b32 exec_lo, exec_lo, s30
	v_cmp_lt_u32_e64 s29, v52, v155
	s_and_saveexec_b32 s31, s29
	s_cbranch_execz .LBB1016_814
.LBB1016_886:                           ;   in Loop: Header=BB1016_722 Depth=2
	ds_read_u16 v156, v74 offset:4096
	s_waitcnt lgkmcnt(0)
	v_lshrrev_b32_sdwa v3, s41, v156 dst_sel:DWORD dst_unused:UNUSED_PAD src0_sel:DWORD src1_sel:WORD_0
	v_and_b32_e32 v3, s62, v3
	v_lshlrev_b32_e32 v3, 2, v3
	ds_read_b32 v3, v3
	s_waitcnt lgkmcnt(0)
	v_add_nc_u32_e32 v3, v3, v52
	v_lshlrev_b64 v[39:40], 1, v[3:4]
	v_xor_b32_e32 v3, 0xffff8000, v156
	v_add_co_u32 v39, s30, s46, v39
	v_add_co_ci_u32_e64 v40, null, s47, v40, s30
	global_store_short v[39:40], v3, off
	s_or_b32 exec_lo, exec_lo, s31
	v_cmp_lt_u32_e64 s30, v53, v155
	s_and_saveexec_b32 s33, s30
	s_cbranch_execz .LBB1016_815
.LBB1016_887:                           ;   in Loop: Header=BB1016_722 Depth=2
	ds_read_u16 v156, v74 offset:4608
	s_waitcnt lgkmcnt(0)
	v_lshrrev_b32_sdwa v3, s41, v156 dst_sel:DWORD dst_unused:UNUSED_PAD src0_sel:DWORD src1_sel:WORD_0
	v_and_b32_e32 v3, s62, v3
	v_lshlrev_b32_e32 v3, 2, v3
	ds_read_b32 v3, v3
	s_waitcnt lgkmcnt(0)
	v_add_nc_u32_e32 v3, v3, v53
	v_lshlrev_b64 v[39:40], 1, v[3:4]
	v_xor_b32_e32 v3, 0xffff8000, v156
	v_add_co_u32 v39, s31, s46, v39
	v_add_co_ci_u32_e64 v40, null, s47, v40, s31
	global_store_short v[39:40], v3, off
	s_or_b32 exec_lo, exec_lo, s33
	v_cmp_lt_u32_e64 s31, v54, v155
	s_and_saveexec_b32 s34, s31
	s_cbranch_execz .LBB1016_816
.LBB1016_888:                           ;   in Loop: Header=BB1016_722 Depth=2
	ds_read_u16 v156, v74 offset:5120
	s_waitcnt lgkmcnt(0)
	v_lshrrev_b32_sdwa v3, s41, v156 dst_sel:DWORD dst_unused:UNUSED_PAD src0_sel:DWORD src1_sel:WORD_0
	v_and_b32_e32 v3, s62, v3
	v_lshlrev_b32_e32 v3, 2, v3
	ds_read_b32 v3, v3
	s_waitcnt lgkmcnt(0)
	v_add_nc_u32_e32 v3, v3, v54
	v_lshlrev_b64 v[39:40], 1, v[3:4]
	v_xor_b32_e32 v3, 0xffff8000, v156
	v_add_co_u32 v39, s33, s46, v39
	v_add_co_ci_u32_e64 v40, null, s47, v40, s33
	global_store_short v[39:40], v3, off
	s_or_b32 exec_lo, exec_lo, s34
	v_cmp_lt_u32_e64 s33, v55, v155
	s_and_saveexec_b32 s35, s33
	s_cbranch_execz .LBB1016_817
.LBB1016_889:                           ;   in Loop: Header=BB1016_722 Depth=2
	ds_read_u16 v156, v74 offset:5632
	s_waitcnt lgkmcnt(0)
	v_lshrrev_b32_sdwa v3, s41, v156 dst_sel:DWORD dst_unused:UNUSED_PAD src0_sel:DWORD src1_sel:WORD_0
	v_and_b32_e32 v3, s62, v3
	v_lshlrev_b32_e32 v3, 2, v3
	ds_read_b32 v3, v3
	s_waitcnt lgkmcnt(0)
	v_add_nc_u32_e32 v3, v3, v55
	v_lshlrev_b64 v[39:40], 1, v[3:4]
	v_xor_b32_e32 v3, 0xffff8000, v156
	v_add_co_u32 v39, s34, s46, v39
	v_add_co_ci_u32_e64 v40, null, s47, v40, s34
	global_store_short v[39:40], v3, off
	s_or_b32 exec_lo, exec_lo, s35
	v_cmp_lt_u32_e64 s34, v56, v155
	s_and_saveexec_b32 s36, s34
	s_cbranch_execz .LBB1016_818
.LBB1016_890:                           ;   in Loop: Header=BB1016_722 Depth=2
	ds_read_u16 v156, v74 offset:6144
	s_waitcnt lgkmcnt(0)
	v_lshrrev_b32_sdwa v3, s41, v156 dst_sel:DWORD dst_unused:UNUSED_PAD src0_sel:DWORD src1_sel:WORD_0
	v_and_b32_e32 v3, s62, v3
	v_lshlrev_b32_e32 v3, 2, v3
	ds_read_b32 v3, v3
	s_waitcnt lgkmcnt(0)
	v_add_nc_u32_e32 v3, v3, v56
	v_lshlrev_b64 v[39:40], 1, v[3:4]
	v_xor_b32_e32 v3, 0xffff8000, v156
	v_add_co_u32 v39, s35, s46, v39
	v_add_co_ci_u32_e64 v40, null, s47, v40, s35
	global_store_short v[39:40], v3, off
	s_or_b32 exec_lo, exec_lo, s36
	v_cmp_lt_u32_e64 s35, v57, v155
	s_and_saveexec_b32 s37, s35
	s_cbranch_execz .LBB1016_819
.LBB1016_891:                           ;   in Loop: Header=BB1016_722 Depth=2
	ds_read_u16 v156, v74 offset:6656
	s_waitcnt lgkmcnt(0)
	v_lshrrev_b32_sdwa v3, s41, v156 dst_sel:DWORD dst_unused:UNUSED_PAD src0_sel:DWORD src1_sel:WORD_0
	v_and_b32_e32 v3, s62, v3
	v_lshlrev_b32_e32 v3, 2, v3
	ds_read_b32 v3, v3
	s_waitcnt lgkmcnt(0)
	v_add_nc_u32_e32 v3, v3, v57
	v_lshlrev_b64 v[39:40], 1, v[3:4]
	v_xor_b32_e32 v3, 0xffff8000, v156
	v_add_co_u32 v39, s36, s46, v39
	v_add_co_ci_u32_e64 v40, null, s47, v40, s36
	global_store_short v[39:40], v3, off
	s_or_b32 exec_lo, exec_lo, s37
	v_cmp_lt_u32_e64 s36, v58, v155
	s_and_saveexec_b32 s38, s36
	s_cbranch_execz .LBB1016_820
.LBB1016_892:                           ;   in Loop: Header=BB1016_722 Depth=2
	ds_read_u16 v156, v74 offset:7168
	s_waitcnt lgkmcnt(0)
	v_lshrrev_b32_sdwa v3, s41, v156 dst_sel:DWORD dst_unused:UNUSED_PAD src0_sel:DWORD src1_sel:WORD_0
	v_and_b32_e32 v3, s62, v3
	v_lshlrev_b32_e32 v3, 2, v3
	ds_read_b32 v3, v3
	s_waitcnt lgkmcnt(0)
	v_add_nc_u32_e32 v3, v3, v58
	v_lshlrev_b64 v[39:40], 1, v[3:4]
	v_xor_b32_e32 v3, 0xffff8000, v156
	v_add_co_u32 v39, s37, s46, v39
	v_add_co_ci_u32_e64 v40, null, s47, v40, s37
	global_store_short v[39:40], v3, off
	s_or_b32 exec_lo, exec_lo, s38
	v_cmp_lt_u32_e64 s37, v59, v155
	s_and_saveexec_b32 s39, s37
	s_cbranch_execz .LBB1016_821
.LBB1016_893:                           ;   in Loop: Header=BB1016_722 Depth=2
	ds_read_u16 v156, v74 offset:7680
	s_waitcnt lgkmcnt(0)
	v_lshrrev_b32_sdwa v3, s41, v156 dst_sel:DWORD dst_unused:UNUSED_PAD src0_sel:DWORD src1_sel:WORD_0
	v_and_b32_e32 v3, s62, v3
	v_lshlrev_b32_e32 v3, 2, v3
	ds_read_b32 v3, v3
	s_waitcnt lgkmcnt(0)
	v_add_nc_u32_e32 v3, v3, v59
	v_lshlrev_b64 v[39:40], 1, v[3:4]
	v_xor_b32_e32 v3, 0xffff8000, v156
	v_add_co_u32 v39, s38, s46, v39
	v_add_co_ci_u32_e64 v40, null, s47, v40, s38
	global_store_short v[39:40], v3, off
	s_or_b32 exec_lo, exec_lo, s39
	v_cmp_lt_u32_e64 s38, v60, v155
	s_and_saveexec_b32 s40, s38
	s_cbranch_execz .LBB1016_822
.LBB1016_894:                           ;   in Loop: Header=BB1016_722 Depth=2
	ds_read_u16 v156, v74 offset:8192
	s_waitcnt lgkmcnt(0)
	v_lshrrev_b32_sdwa v3, s41, v156 dst_sel:DWORD dst_unused:UNUSED_PAD src0_sel:DWORD src1_sel:WORD_0
	v_and_b32_e32 v3, s62, v3
	v_lshlrev_b32_e32 v3, 2, v3
	ds_read_b32 v3, v3
	s_waitcnt lgkmcnt(0)
	v_add_nc_u32_e32 v3, v3, v60
	v_lshlrev_b64 v[39:40], 1, v[3:4]
	v_xor_b32_e32 v3, 0xffff8000, v156
	v_add_co_u32 v39, s39, s46, v39
	v_add_co_ci_u32_e64 v40, null, s47, v40, s39
	global_store_short v[39:40], v3, off
	s_or_b32 exec_lo, exec_lo, s40
	v_cmp_lt_u32_e64 s39, v61, v155
	s_and_saveexec_b32 s65, s39
	s_cbranch_execnz .LBB1016_823
	s_branch .LBB1016_824
.LBB1016_895:                           ;   in Loop: Header=BB1016_722 Depth=2
	global_load_dwordx2 v[37:38], v[39:40], off
	s_or_b32 exec_lo, exec_lo, s40
	s_mov_b32 s50, exec_lo
	v_cmpx_lt_u32_e64 v98, v155
	s_cbranch_execz .LBB1016_826
.LBB1016_896:                           ;   in Loop: Header=BB1016_722 Depth=2
	global_load_dwordx2 v[35:36], v[39:40], off offset:256
	s_or_b32 exec_lo, exec_lo, s50
	s_mov_b32 s50, exec_lo
	v_cmpx_lt_u32_e64 v99, v155
	s_cbranch_execz .LBB1016_827
.LBB1016_897:                           ;   in Loop: Header=BB1016_722 Depth=2
	global_load_dwordx2 v[33:34], v[39:40], off offset:512
	s_or_b32 exec_lo, exec_lo, s50
	s_mov_b32 s50, exec_lo
	v_cmpx_lt_u32_e64 v100, v155
	s_cbranch_execz .LBB1016_828
.LBB1016_898:                           ;   in Loop: Header=BB1016_722 Depth=2
	global_load_dwordx2 v[31:32], v[39:40], off offset:768
	s_or_b32 exec_lo, exec_lo, s50
	s_mov_b32 s50, exec_lo
	v_cmpx_lt_u32_e64 v101, v155
	s_cbranch_execz .LBB1016_829
.LBB1016_899:                           ;   in Loop: Header=BB1016_722 Depth=2
	global_load_dwordx2 v[29:30], v[39:40], off offset:1024
	s_or_b32 exec_lo, exec_lo, s50
	s_mov_b32 s50, exec_lo
	v_cmpx_lt_u32_e64 v102, v155
	s_cbranch_execz .LBB1016_830
.LBB1016_900:                           ;   in Loop: Header=BB1016_722 Depth=2
	global_load_dwordx2 v[25:26], v[39:40], off offset:1280
	s_or_b32 exec_lo, exec_lo, s50
	s_mov_b32 s50, exec_lo
	v_cmpx_lt_u32_e64 v103, v155
	s_cbranch_execz .LBB1016_831
.LBB1016_901:                           ;   in Loop: Header=BB1016_722 Depth=2
	global_load_dwordx2 v[21:22], v[39:40], off offset:1536
	s_or_b32 exec_lo, exec_lo, s50
	s_mov_b32 s50, exec_lo
	v_cmpx_lt_u32_e64 v104, v155
	s_cbranch_execz .LBB1016_832
.LBB1016_902:                           ;   in Loop: Header=BB1016_722 Depth=2
	global_load_dwordx2 v[17:18], v[39:40], off offset:1792
	s_or_b32 exec_lo, exec_lo, s50
	s_mov_b32 s50, exec_lo
	v_cmpx_lt_u32_e64 v105, v155
	s_cbranch_execz .LBB1016_833
.LBB1016_903:                           ;   in Loop: Header=BB1016_722 Depth=2
	v_add_co_u32 v27, s40, 0x800, v39
	v_add_co_ci_u32_e64 v28, null, 0, v40, s40
	global_load_dwordx2 v[27:28], v[27:28], off
	s_or_b32 exec_lo, exec_lo, s50
	s_mov_b32 s50, exec_lo
	v_cmpx_lt_u32_e64 v106, v155
	s_cbranch_execz .LBB1016_834
.LBB1016_904:                           ;   in Loop: Header=BB1016_722 Depth=2
	v_add_co_u32 v23, s40, 0x800, v39
	v_add_co_ci_u32_e64 v24, null, 0, v40, s40
	global_load_dwordx2 v[23:24], v[23:24], off offset:256
	s_or_b32 exec_lo, exec_lo, s50
	s_mov_b32 s50, exec_lo
	v_cmpx_lt_u32_e64 v107, v155
	s_cbranch_execz .LBB1016_835
.LBB1016_905:                           ;   in Loop: Header=BB1016_722 Depth=2
	v_add_co_u32 v19, s40, 0x800, v39
	v_add_co_ci_u32_e64 v20, null, 0, v40, s40
	global_load_dwordx2 v[19:20], v[19:20], off offset:512
	s_or_b32 exec_lo, exec_lo, s50
	s_mov_b32 s50, exec_lo
	v_cmpx_lt_u32_e64 v108, v155
	s_cbranch_execz .LBB1016_836
.LBB1016_906:                           ;   in Loop: Header=BB1016_722 Depth=2
	v_add_co_u32 v15, s40, 0x800, v39
	v_add_co_ci_u32_e64 v16, null, 0, v40, s40
	global_load_dwordx2 v[15:16], v[15:16], off offset:768
	s_or_b32 exec_lo, exec_lo, s50
	s_mov_b32 s50, exec_lo
	v_cmpx_lt_u32_e64 v128, v155
	s_cbranch_execz .LBB1016_837
.LBB1016_907:                           ;   in Loop: Header=BB1016_722 Depth=2
	v_add_co_u32 v13, s40, 0x800, v39
	v_add_co_ci_u32_e64 v14, null, 0, v40, s40
	global_load_dwordx2 v[13:14], v[13:14], off offset:1024
	s_or_b32 exec_lo, exec_lo, s50
	s_mov_b32 s50, exec_lo
	v_cmpx_lt_u32_e64 v129, v155
	s_cbranch_execz .LBB1016_838
.LBB1016_908:                           ;   in Loop: Header=BB1016_722 Depth=2
	v_add_co_u32 v11, s40, 0x800, v39
	v_add_co_ci_u32_e64 v12, null, 0, v40, s40
	global_load_dwordx2 v[11:12], v[11:12], off offset:1280
	s_or_b32 exec_lo, exec_lo, s50
	s_mov_b32 s50, exec_lo
	v_cmpx_lt_u32_e64 v130, v155
	s_cbranch_execz .LBB1016_839
.LBB1016_909:                           ;   in Loop: Header=BB1016_722 Depth=2
	v_add_co_u32 v9, s40, 0x800, v39
	v_add_co_ci_u32_e64 v10, null, 0, v40, s40
	global_load_dwordx2 v[9:10], v[9:10], off offset:1536
	s_or_b32 exec_lo, exec_lo, s50
	s_mov_b32 s50, exec_lo
	v_cmpx_lt_u32_e64 v131, v155
	s_cbranch_execz .LBB1016_840
.LBB1016_910:                           ;   in Loop: Header=BB1016_722 Depth=2
	v_add_co_u32 v7, s40, 0x800, v39
	v_add_co_ci_u32_e64 v8, null, 0, v40, s40
	global_load_dwordx2 v[7:8], v[7:8], off offset:1792
	s_or_b32 exec_lo, exec_lo, s50
	s_mov_b32 s50, exec_lo
	v_cmpx_lt_u32_e64 v132, v155
	s_cbranch_execz .LBB1016_841
.LBB1016_911:                           ;   in Loop: Header=BB1016_722 Depth=2
	v_add_co_u32 v5, s40, 0x1000, v39
	v_add_co_ci_u32_e64 v6, null, 0, v40, s40
	global_load_dwordx2 v[5:6], v[5:6], off
	s_or_b32 exec_lo, exec_lo, s50
	s_and_saveexec_b32 s40, vcc_lo
	s_cbranch_execz .LBB1016_842
.LBB1016_912:                           ;   in Loop: Header=BB1016_722 Depth=2
	ds_read_u16 v3, v74 offset:512
	s_waitcnt lgkmcnt(0)
	v_lshrrev_b32_e32 v3, s41, v3
	v_and_b32_e32 v153, s62, v3
	s_or_b32 exec_lo, exec_lo, s40
	s_and_saveexec_b32 s40, s22
	s_cbranch_execz .LBB1016_843
.LBB1016_913:                           ;   in Loop: Header=BB1016_722 Depth=2
	ds_read_u16 v3, v74 offset:1024
	s_waitcnt lgkmcnt(0)
	v_lshrrev_b32_e32 v3, s41, v3
	v_and_b32_e32 v152, s62, v3
	s_or_b32 exec_lo, exec_lo, s40
	s_and_saveexec_b32 s40, s23
	s_cbranch_execz .LBB1016_844
.LBB1016_914:                           ;   in Loop: Header=BB1016_722 Depth=2
	ds_read_u16 v3, v74 offset:1536
	s_waitcnt lgkmcnt(0)
	v_lshrrev_b32_e32 v3, s41, v3
	v_and_b32_e32 v150, s62, v3
	s_or_b32 exec_lo, exec_lo, s40
	s_and_saveexec_b32 s40, s24
	s_cbranch_execz .LBB1016_845
.LBB1016_915:                           ;   in Loop: Header=BB1016_722 Depth=2
	ds_read_u16 v3, v74 offset:2048
	s_waitcnt lgkmcnt(0)
	v_lshrrev_b32_e32 v3, s41, v3
	v_and_b32_e32 v149, s62, v3
	s_or_b32 exec_lo, exec_lo, s40
	s_and_saveexec_b32 s40, s25
	s_cbranch_execz .LBB1016_846
.LBB1016_916:                           ;   in Loop: Header=BB1016_722 Depth=2
	ds_read_u16 v3, v74 offset:2560
	s_waitcnt lgkmcnt(0)
	v_lshrrev_b32_e32 v3, s41, v3
	v_and_b32_e32 v148, s62, v3
	s_or_b32 exec_lo, exec_lo, s40
	s_and_saveexec_b32 s40, s26
	s_cbranch_execz .LBB1016_847
.LBB1016_917:                           ;   in Loop: Header=BB1016_722 Depth=2
	ds_read_u16 v3, v74 offset:3072
	s_waitcnt lgkmcnt(0)
	v_lshrrev_b32_e32 v3, s41, v3
	v_and_b32_e32 v147, s62, v3
	s_or_b32 exec_lo, exec_lo, s40
	s_and_saveexec_b32 s40, s27
	s_cbranch_execz .LBB1016_848
.LBB1016_918:                           ;   in Loop: Header=BB1016_722 Depth=2
	ds_read_u16 v3, v74 offset:3584
	s_waitcnt lgkmcnt(0)
	v_lshrrev_b32_e32 v3, s41, v3
	v_and_b32_e32 v146, s62, v3
	s_or_b32 exec_lo, exec_lo, s40
	s_and_saveexec_b32 s40, s29
	s_cbranch_execz .LBB1016_849
.LBB1016_919:                           ;   in Loop: Header=BB1016_722 Depth=2
	ds_read_u16 v3, v74 offset:4096
	s_waitcnt lgkmcnt(0)
	v_lshrrev_b32_e32 v3, s41, v3
	v_and_b32_e32 v145, s62, v3
	s_or_b32 exec_lo, exec_lo, s40
	s_and_saveexec_b32 s40, s30
	s_cbranch_execz .LBB1016_850
.LBB1016_920:                           ;   in Loop: Header=BB1016_722 Depth=2
	ds_read_u16 v3, v74 offset:4608
	s_waitcnt lgkmcnt(0)
	v_lshrrev_b32_e32 v3, s41, v3
	v_and_b32_e32 v144, s62, v3
	s_or_b32 exec_lo, exec_lo, s40
	s_and_saveexec_b32 s40, s31
	s_cbranch_execz .LBB1016_851
.LBB1016_921:                           ;   in Loop: Header=BB1016_722 Depth=2
	ds_read_u16 v3, v74 offset:5120
	s_waitcnt lgkmcnt(0)
	v_lshrrev_b32_e32 v3, s41, v3
	v_and_b32_e32 v143, s62, v3
	s_or_b32 exec_lo, exec_lo, s40
	s_and_saveexec_b32 s40, s33
	s_cbranch_execz .LBB1016_852
.LBB1016_922:                           ;   in Loop: Header=BB1016_722 Depth=2
	ds_read_u16 v3, v74 offset:5632
	s_waitcnt lgkmcnt(0)
	v_lshrrev_b32_e32 v3, s41, v3
	v_and_b32_e32 v142, s62, v3
	s_or_b32 exec_lo, exec_lo, s40
	s_and_saveexec_b32 s40, s34
	s_cbranch_execz .LBB1016_853
.LBB1016_923:                           ;   in Loop: Header=BB1016_722 Depth=2
	ds_read_u16 v3, v74 offset:6144
	s_waitcnt lgkmcnt(0)
	v_lshrrev_b32_e32 v3, s41, v3
	v_and_b32_e32 v141, s62, v3
	s_or_b32 exec_lo, exec_lo, s40
	s_and_saveexec_b32 s40, s35
	s_cbranch_execz .LBB1016_854
.LBB1016_924:                           ;   in Loop: Header=BB1016_722 Depth=2
	ds_read_u16 v3, v74 offset:6656
	s_waitcnt lgkmcnt(0)
	v_lshrrev_b32_e32 v3, s41, v3
	v_and_b32_e32 v140, s62, v3
	s_or_b32 exec_lo, exec_lo, s40
	s_and_saveexec_b32 s40, s36
	s_cbranch_execz .LBB1016_855
.LBB1016_925:                           ;   in Loop: Header=BB1016_722 Depth=2
	ds_read_u16 v3, v74 offset:7168
	s_waitcnt lgkmcnt(0)
	v_lshrrev_b32_e32 v3, s41, v3
	v_and_b32_e32 v139, s62, v3
	s_or_b32 exec_lo, exec_lo, s40
	s_and_saveexec_b32 s40, s37
	s_cbranch_execz .LBB1016_856
.LBB1016_926:                           ;   in Loop: Header=BB1016_722 Depth=2
	ds_read_u16 v3, v74 offset:7680
	s_waitcnt lgkmcnt(0)
	v_lshrrev_b32_e32 v3, s41, v3
	v_and_b32_e32 v138, s62, v3
	s_or_b32 exec_lo, exec_lo, s40
	s_and_saveexec_b32 s40, s38
	s_cbranch_execz .LBB1016_857
.LBB1016_927:                           ;   in Loop: Header=BB1016_722 Depth=2
	ds_read_u16 v3, v74 offset:8192
	s_waitcnt lgkmcnt(0)
	v_lshrrev_b32_e32 v3, s41, v3
	v_and_b32_e32 v137, s62, v3
	s_or_b32 exec_lo, exec_lo, s40
	s_and_saveexec_b32 s40, s39
	s_cbranch_execnz .LBB1016_858
	s_branch .LBB1016_859
.LBB1016_928:                           ;   in Loop: Header=BB1016_722 Depth=2
	v_lshlrev_b32_e32 v3, 2, v153
	v_add_nc_u32_e32 v39, v74, v75
	ds_read_b32 v3, v3
	ds_read_b64 v[39:40], v39 offset:512
	s_waitcnt lgkmcnt(1)
	v_add_nc_u32_e32 v3, v3, v0
	v_lshlrev_b64 v[41:42], 3, v[3:4]
	v_add_co_u32 v41, vcc_lo, s52, v41
	v_add_co_ci_u32_e64 v42, null, s53, v42, vcc_lo
	s_waitcnt lgkmcnt(0)
	global_store_dwordx2 v[41:42], v[39:40], off
	s_or_b32 exec_lo, exec_lo, s40
	s_and_saveexec_b32 s40, s22
	s_cbranch_execz .LBB1016_861
.LBB1016_929:                           ;   in Loop: Header=BB1016_722 Depth=2
	v_lshlrev_b32_e32 v3, 2, v152
	v_add_nc_u32_e32 v39, v74, v75
	ds_read_b32 v3, v3
	ds_read_b64 v[39:40], v39 offset:2560
	s_waitcnt lgkmcnt(1)
	v_add_nc_u32_e32 v3, v3, v44
	v_lshlrev_b64 v[41:42], 3, v[3:4]
	v_add_co_u32 v41, vcc_lo, s52, v41
	v_add_co_ci_u32_e64 v42, null, s53, v42, vcc_lo
	s_waitcnt lgkmcnt(0)
	global_store_dwordx2 v[41:42], v[39:40], off
	s_or_b32 exec_lo, exec_lo, s40
	s_and_saveexec_b32 s22, s23
	s_cbranch_execz .LBB1016_862
.LBB1016_930:                           ;   in Loop: Header=BB1016_722 Depth=2
	v_lshlrev_b32_e32 v3, 2, v150
	v_add_nc_u32_e32 v39, v74, v75
	ds_read_b32 v3, v3
	ds_read_b64 v[39:40], v39 offset:4608
	s_waitcnt lgkmcnt(1)
	v_add_nc_u32_e32 v3, v3, v47
	v_lshlrev_b64 v[41:42], 3, v[3:4]
	v_add_co_u32 v41, vcc_lo, s52, v41
	v_add_co_ci_u32_e64 v42, null, s53, v42, vcc_lo
	s_waitcnt lgkmcnt(0)
	global_store_dwordx2 v[41:42], v[39:40], off
	s_or_b32 exec_lo, exec_lo, s22
	s_and_saveexec_b32 s22, s24
	s_cbranch_execz .LBB1016_863
.LBB1016_931:                           ;   in Loop: Header=BB1016_722 Depth=2
	v_lshlrev_b32_e32 v3, 2, v149
	v_add_nc_u32_e32 v39, v74, v75
	ds_read_b32 v3, v3
	ds_read_b64 v[39:40], v39 offset:6656
	s_waitcnt lgkmcnt(1)
	v_add_nc_u32_e32 v3, v3, v48
	v_lshlrev_b64 v[41:42], 3, v[3:4]
	v_add_co_u32 v41, vcc_lo, s52, v41
	v_add_co_ci_u32_e64 v42, null, s53, v42, vcc_lo
	s_waitcnt lgkmcnt(0)
	global_store_dwordx2 v[41:42], v[39:40], off
	s_or_b32 exec_lo, exec_lo, s22
	s_and_saveexec_b32 s22, s25
	s_cbranch_execz .LBB1016_864
.LBB1016_932:                           ;   in Loop: Header=BB1016_722 Depth=2
	v_lshlrev_b32_e32 v3, 2, v148
	v_add_nc_u32_e32 v39, v74, v75
	ds_read_b32 v3, v3
	ds_read_b64 v[39:40], v39 offset:8704
	s_waitcnt lgkmcnt(1)
	v_add_nc_u32_e32 v3, v3, v49
	v_lshlrev_b64 v[41:42], 3, v[3:4]
	v_add_co_u32 v41, vcc_lo, s52, v41
	v_add_co_ci_u32_e64 v42, null, s53, v42, vcc_lo
	s_waitcnt lgkmcnt(0)
	global_store_dwordx2 v[41:42], v[39:40], off
	s_or_b32 exec_lo, exec_lo, s22
	s_and_saveexec_b32 s22, s26
	s_cbranch_execz .LBB1016_865
.LBB1016_933:                           ;   in Loop: Header=BB1016_722 Depth=2
	v_lshlrev_b32_e32 v3, 2, v147
	v_add_nc_u32_e32 v39, v74, v75
	ds_read_b32 v3, v3
	ds_read_b64 v[39:40], v39 offset:10752
	s_waitcnt lgkmcnt(1)
	v_add_nc_u32_e32 v3, v3, v50
	v_lshlrev_b64 v[41:42], 3, v[3:4]
	v_add_co_u32 v41, vcc_lo, s52, v41
	v_add_co_ci_u32_e64 v42, null, s53, v42, vcc_lo
	s_waitcnt lgkmcnt(0)
	global_store_dwordx2 v[41:42], v[39:40], off
	s_or_b32 exec_lo, exec_lo, s22
	s_and_saveexec_b32 s22, s27
	s_cbranch_execz .LBB1016_866
.LBB1016_934:                           ;   in Loop: Header=BB1016_722 Depth=2
	v_lshlrev_b32_e32 v3, 2, v146
	v_add_nc_u32_e32 v39, v74, v75
	ds_read_b32 v3, v3
	ds_read_b64 v[39:40], v39 offset:12800
	s_waitcnt lgkmcnt(1)
	v_add_nc_u32_e32 v3, v3, v51
	v_lshlrev_b64 v[41:42], 3, v[3:4]
	v_add_co_u32 v41, vcc_lo, s52, v41
	v_add_co_ci_u32_e64 v42, null, s53, v42, vcc_lo
	s_waitcnt lgkmcnt(0)
	global_store_dwordx2 v[41:42], v[39:40], off
	s_or_b32 exec_lo, exec_lo, s22
	s_and_saveexec_b32 s22, s29
	s_cbranch_execz .LBB1016_867
.LBB1016_935:                           ;   in Loop: Header=BB1016_722 Depth=2
	v_lshlrev_b32_e32 v3, 2, v145
	v_add_nc_u32_e32 v39, v74, v75
	ds_read_b32 v3, v3
	ds_read_b64 v[39:40], v39 offset:14848
	s_waitcnt lgkmcnt(1)
	v_add_nc_u32_e32 v3, v3, v52
	v_lshlrev_b64 v[41:42], 3, v[3:4]
	v_add_co_u32 v41, vcc_lo, s52, v41
	v_add_co_ci_u32_e64 v42, null, s53, v42, vcc_lo
	s_waitcnt lgkmcnt(0)
	global_store_dwordx2 v[41:42], v[39:40], off
	s_or_b32 exec_lo, exec_lo, s22
	s_and_saveexec_b32 s22, s30
	s_cbranch_execz .LBB1016_868
.LBB1016_936:                           ;   in Loop: Header=BB1016_722 Depth=2
	v_lshlrev_b32_e32 v3, 2, v144
	v_add_nc_u32_e32 v39, v74, v75
	ds_read_b32 v3, v3
	ds_read_b64 v[39:40], v39 offset:16896
	s_waitcnt lgkmcnt(1)
	v_add_nc_u32_e32 v3, v3, v53
	v_lshlrev_b64 v[41:42], 3, v[3:4]
	v_add_co_u32 v41, vcc_lo, s52, v41
	v_add_co_ci_u32_e64 v42, null, s53, v42, vcc_lo
	s_waitcnt lgkmcnt(0)
	global_store_dwordx2 v[41:42], v[39:40], off
	s_or_b32 exec_lo, exec_lo, s22
	s_and_saveexec_b32 s22, s31
	s_cbranch_execz .LBB1016_869
.LBB1016_937:                           ;   in Loop: Header=BB1016_722 Depth=2
	v_lshlrev_b32_e32 v3, 2, v143
	v_add_nc_u32_e32 v39, v74, v75
	ds_read_b32 v3, v3
	ds_read_b64 v[39:40], v39 offset:18944
	s_waitcnt lgkmcnt(1)
	v_add_nc_u32_e32 v3, v3, v54
	v_lshlrev_b64 v[41:42], 3, v[3:4]
	v_add_co_u32 v41, vcc_lo, s52, v41
	v_add_co_ci_u32_e64 v42, null, s53, v42, vcc_lo
	s_waitcnt lgkmcnt(0)
	global_store_dwordx2 v[41:42], v[39:40], off
	s_or_b32 exec_lo, exec_lo, s22
	s_and_saveexec_b32 s22, s33
	s_cbranch_execz .LBB1016_870
.LBB1016_938:                           ;   in Loop: Header=BB1016_722 Depth=2
	v_lshlrev_b32_e32 v3, 2, v142
	v_add_nc_u32_e32 v39, v74, v75
	ds_read_b32 v3, v3
	ds_read_b64 v[39:40], v39 offset:20992
	s_waitcnt lgkmcnt(1)
	v_add_nc_u32_e32 v3, v3, v55
	v_lshlrev_b64 v[41:42], 3, v[3:4]
	v_add_co_u32 v41, vcc_lo, s52, v41
	v_add_co_ci_u32_e64 v42, null, s53, v42, vcc_lo
	s_waitcnt lgkmcnt(0)
	global_store_dwordx2 v[41:42], v[39:40], off
	s_or_b32 exec_lo, exec_lo, s22
	s_and_saveexec_b32 s22, s34
	s_cbranch_execz .LBB1016_871
.LBB1016_939:                           ;   in Loop: Header=BB1016_722 Depth=2
	v_lshlrev_b32_e32 v3, 2, v141
	v_add_nc_u32_e32 v39, v74, v75
	ds_read_b32 v3, v3
	ds_read_b64 v[39:40], v39 offset:23040
	s_waitcnt lgkmcnt(1)
	v_add_nc_u32_e32 v3, v3, v56
	v_lshlrev_b64 v[41:42], 3, v[3:4]
	v_add_co_u32 v41, vcc_lo, s52, v41
	v_add_co_ci_u32_e64 v42, null, s53, v42, vcc_lo
	s_waitcnt lgkmcnt(0)
	global_store_dwordx2 v[41:42], v[39:40], off
	s_or_b32 exec_lo, exec_lo, s22
	s_and_saveexec_b32 s22, s35
	s_cbranch_execz .LBB1016_872
.LBB1016_940:                           ;   in Loop: Header=BB1016_722 Depth=2
	v_lshlrev_b32_e32 v3, 2, v140
	v_add_nc_u32_e32 v39, v74, v75
	ds_read_b32 v3, v3
	ds_read_b64 v[39:40], v39 offset:25088
	s_waitcnt lgkmcnt(1)
	v_add_nc_u32_e32 v3, v3, v57
	v_lshlrev_b64 v[41:42], 3, v[3:4]
	v_add_co_u32 v41, vcc_lo, s52, v41
	v_add_co_ci_u32_e64 v42, null, s53, v42, vcc_lo
	s_waitcnt lgkmcnt(0)
	global_store_dwordx2 v[41:42], v[39:40], off
	s_or_b32 exec_lo, exec_lo, s22
	s_and_saveexec_b32 s22, s36
	s_cbranch_execz .LBB1016_873
.LBB1016_941:                           ;   in Loop: Header=BB1016_722 Depth=2
	v_lshlrev_b32_e32 v3, 2, v139
	v_add_nc_u32_e32 v39, v74, v75
	ds_read_b32 v3, v3
	ds_read_b64 v[39:40], v39 offset:27136
	s_waitcnt lgkmcnt(1)
	v_add_nc_u32_e32 v3, v3, v58
	v_lshlrev_b64 v[41:42], 3, v[3:4]
	v_add_co_u32 v41, vcc_lo, s52, v41
	v_add_co_ci_u32_e64 v42, null, s53, v42, vcc_lo
	s_waitcnt lgkmcnt(0)
	global_store_dwordx2 v[41:42], v[39:40], off
	s_or_b32 exec_lo, exec_lo, s22
	s_and_saveexec_b32 s22, s37
	s_cbranch_execz .LBB1016_874
.LBB1016_942:                           ;   in Loop: Header=BB1016_722 Depth=2
	v_lshlrev_b32_e32 v3, 2, v138
	v_add_nc_u32_e32 v39, v74, v75
	ds_read_b32 v3, v3
	ds_read_b64 v[39:40], v39 offset:29184
	s_waitcnt lgkmcnt(1)
	v_add_nc_u32_e32 v3, v3, v59
	v_lshlrev_b64 v[41:42], 3, v[3:4]
	v_add_co_u32 v41, vcc_lo, s52, v41
	v_add_co_ci_u32_e64 v42, null, s53, v42, vcc_lo
	s_waitcnt lgkmcnt(0)
	global_store_dwordx2 v[41:42], v[39:40], off
	s_or_b32 exec_lo, exec_lo, s22
	s_and_saveexec_b32 s22, s38
	s_cbranch_execz .LBB1016_875
.LBB1016_943:                           ;   in Loop: Header=BB1016_722 Depth=2
	v_lshlrev_b32_e32 v3, 2, v137
	v_add_nc_u32_e32 v39, v74, v75
	ds_read_b32 v3, v3
	ds_read_b64 v[39:40], v39 offset:31232
	s_waitcnt lgkmcnt(1)
	v_add_nc_u32_e32 v3, v3, v60
	v_lshlrev_b64 v[41:42], 3, v[3:4]
	v_add_co_u32 v41, vcc_lo, s52, v41
	v_add_co_ci_u32_e64 v42, null, s53, v42, vcc_lo
	s_waitcnt lgkmcnt(0)
	global_store_dwordx2 v[41:42], v[39:40], off
	s_or_b32 exec_lo, exec_lo, s22
	s_and_saveexec_b32 s22, s39
	s_cbranch_execnz .LBB1016_876
	s_branch .LBB1016_877
.LBB1016_944:                           ;   in Loop: Header=BB1016_12 Depth=1
	s_waitcnt lgkmcnt(0)
	s_mov_b32 s5, 0
	s_barrier
.LBB1016_945:                           ;   in Loop: Header=BB1016_12 Depth=1
	s_and_b32 vcc_lo, exec_lo, s5
	s_cbranch_vccz .LBB1016_11
; %bb.946:                              ;   in Loop: Header=BB1016_12 Depth=1
	s_mov_b32 s5, s60
	s_mov_b32 s50, s58
	s_barrier
	buffer_gl0_inv
                                        ; implicit-def: $vgpr3
                                        ; implicit-def: $vgpr5
                                        ; implicit-def: $vgpr6
                                        ; implicit-def: $vgpr7
                                        ; implicit-def: $vgpr8
                                        ; implicit-def: $vgpr9
                                        ; implicit-def: $vgpr10
                                        ; implicit-def: $vgpr11
                                        ; implicit-def: $vgpr12
                                        ; implicit-def: $vgpr13
                                        ; implicit-def: $vgpr14
                                        ; implicit-def: $vgpr15
                                        ; implicit-def: $vgpr16
                                        ; implicit-def: $vgpr17
                                        ; implicit-def: $vgpr18
                                        ; implicit-def: $vgpr19
                                        ; implicit-def: $vgpr20
	s_branch .LBB1016_948
.LBB1016_947:                           ;   in Loop: Header=BB1016_948 Depth=2
	s_or_b32 exec_lo, exec_lo, s16
	s_addk_i32 s5, 0xef00
	s_cmp_ge_u32 s15, s59
	s_mov_b32 s50, s15
	s_cbranch_scc1 .LBB1016_1020
.LBB1016_948:                           ;   Parent Loop BB1016_12 Depth=1
                                        ; =>  This Inner Loop Header: Depth=2
	s_add_i32 s15, s50, 0x1100
	s_mov_b32 s16, -1
	s_cmp_gt_u32 s15, s59
                                        ; implicit-def: $vgpr21
                                        ; implicit-def: $vgpr22
                                        ; implicit-def: $vgpr23
                                        ; implicit-def: $vgpr24
                                        ; implicit-def: $vgpr28
                                        ; implicit-def: $vgpr25
                                        ; implicit-def: $vgpr26
                                        ; implicit-def: $vgpr27
                                        ; implicit-def: $vgpr30
                                        ; implicit-def: $vgpr29
                                        ; implicit-def: $vgpr31
                                        ; implicit-def: $vgpr32
                                        ; implicit-def: $vgpr33
                                        ; implicit-def: $vgpr34
                                        ; implicit-def: $vgpr35
                                        ; implicit-def: $vgpr36
                                        ; implicit-def: $vgpr37
	s_cbranch_scc1 .LBB1016_950
; %bb.949:                              ;   in Loop: Header=BB1016_948 Depth=2
	s_lshl_b64 s[16:17], s[50:51], 1
	v_add_co_u32 v30, vcc_lo, v82, s16
	v_add_co_ci_u32_e64 v31, null, s17, v83, vcc_lo
	s_mov_b32 s16, 0
	v_add_co_u32 v27, vcc_lo, 0x800, v30
	v_add_co_ci_u32_e64 v28, null, 0, v31, vcc_lo
	v_add_co_u32 v32, vcc_lo, v30, 0x1000
	v_add_co_ci_u32_e64 v33, null, 0, v31, vcc_lo
	;; [unrolled: 2-line block ×5, first 2 shown]
	s_clause 0x10
	global_load_ushort v21, v[30:31], off
	global_load_ushort v22, v[30:31], off offset:512
	global_load_ushort v23, v[30:31], off offset:1024
	global_load_ushort v24, v[30:31], off offset:1536
	global_load_ushort v25, v[27:28], off offset:512
	global_load_ushort v26, v[27:28], off offset:1024
	global_load_ushort v27, v[27:28], off offset:1536
	global_load_ushort v29, v[34:35], off offset:512
	global_load_ushort v28, v[32:33], off offset:-2048
	global_load_ushort v30, v[32:33], off
	global_load_ushort v31, v[34:35], off offset:1024
	global_load_ushort v32, v[34:35], off offset:1536
	global_load_ushort v33, v[38:39], off offset:-2048
	global_load_ushort v34, v[36:37], off offset:512
	global_load_ushort v35, v[36:37], off offset:1024
	;; [unrolled: 1-line block ×3, first 2 shown]
	global_load_ushort v37, v[38:39], off
.LBB1016_950:                           ;   in Loop: Header=BB1016_948 Depth=2
	s_andn2_b32 vcc_lo, exec_lo, s16
	s_movk_i32 s16, 0x1100
	s_cbranch_vccnz .LBB1016_970
; %bb.951:                              ;   in Loop: Header=BB1016_948 Depth=2
	s_lshl_b64 s[16:17], s[50:51], 1
	s_mov_b32 s18, exec_lo
	s_add_u32 s16, s44, s16
	s_addc_u32 s17, s45, s17
	v_cmpx_gt_u32_e64 s5, v0
	s_cbranch_execnz .LBB1016_1004
; %bb.952:                              ;   in Loop: Header=BB1016_948 Depth=2
	s_or_b32 exec_lo, exec_lo, s18
	s_mov_b32 s18, exec_lo
	v_cmpx_gt_u32_e64 s5, v44
	s_cbranch_execnz .LBB1016_1005
.LBB1016_953:                           ;   in Loop: Header=BB1016_948 Depth=2
	s_or_b32 exec_lo, exec_lo, s18
	s_mov_b32 s18, exec_lo
	v_cmpx_gt_u32_e64 s5, v47
	s_cbranch_execnz .LBB1016_1006
.LBB1016_954:                           ;   in Loop: Header=BB1016_948 Depth=2
	s_or_b32 exec_lo, exec_lo, s18
	s_mov_b32 s18, exec_lo
	v_cmpx_gt_u32_e64 s5, v48
	s_cbranch_execnz .LBB1016_1007
.LBB1016_955:                           ;   in Loop: Header=BB1016_948 Depth=2
	s_or_b32 exec_lo, exec_lo, s18
	s_mov_b32 s18, exec_lo
	v_cmpx_gt_u32_e64 s5, v49
	s_cbranch_execnz .LBB1016_1008
.LBB1016_956:                           ;   in Loop: Header=BB1016_948 Depth=2
	s_or_b32 exec_lo, exec_lo, s18
	s_mov_b32 s18, exec_lo
	v_cmpx_gt_u32_e64 s5, v50
	s_cbranch_execnz .LBB1016_1009
.LBB1016_957:                           ;   in Loop: Header=BB1016_948 Depth=2
	s_or_b32 exec_lo, exec_lo, s18
	s_mov_b32 s18, exec_lo
	v_cmpx_gt_u32_e64 s5, v51
	s_cbranch_execnz .LBB1016_1010
.LBB1016_958:                           ;   in Loop: Header=BB1016_948 Depth=2
	s_or_b32 exec_lo, exec_lo, s18
	s_mov_b32 s18, exec_lo
	v_cmpx_gt_u32_e64 s5, v52
	s_cbranch_execnz .LBB1016_1011
.LBB1016_959:                           ;   in Loop: Header=BB1016_948 Depth=2
	s_or_b32 exec_lo, exec_lo, s18
	s_mov_b32 s18, exec_lo
	v_cmpx_gt_u32_e64 s5, v53
	s_cbranch_execnz .LBB1016_1012
.LBB1016_960:                           ;   in Loop: Header=BB1016_948 Depth=2
	s_or_b32 exec_lo, exec_lo, s18
	s_mov_b32 s18, exec_lo
	v_cmpx_gt_u32_e64 s5, v54
	s_cbranch_execnz .LBB1016_1013
.LBB1016_961:                           ;   in Loop: Header=BB1016_948 Depth=2
	s_or_b32 exec_lo, exec_lo, s18
	s_mov_b32 s18, exec_lo
	v_cmpx_gt_u32_e64 s5, v55
	s_cbranch_execnz .LBB1016_1014
.LBB1016_962:                           ;   in Loop: Header=BB1016_948 Depth=2
	s_or_b32 exec_lo, exec_lo, s18
	s_mov_b32 s18, exec_lo
	v_cmpx_gt_u32_e64 s5, v56
	s_cbranch_execnz .LBB1016_1015
.LBB1016_963:                           ;   in Loop: Header=BB1016_948 Depth=2
	s_or_b32 exec_lo, exec_lo, s18
	s_mov_b32 s18, exec_lo
	v_cmpx_gt_u32_e64 s5, v57
	s_cbranch_execnz .LBB1016_1016
.LBB1016_964:                           ;   in Loop: Header=BB1016_948 Depth=2
	s_or_b32 exec_lo, exec_lo, s18
	s_mov_b32 s18, exec_lo
	v_cmpx_gt_u32_e64 s5, v58
	s_cbranch_execnz .LBB1016_1017
.LBB1016_965:                           ;   in Loop: Header=BB1016_948 Depth=2
	s_or_b32 exec_lo, exec_lo, s18
	s_mov_b32 s18, exec_lo
	v_cmpx_gt_u32_e64 s5, v59
	s_cbranch_execnz .LBB1016_1018
.LBB1016_966:                           ;   in Loop: Header=BB1016_948 Depth=2
	s_or_b32 exec_lo, exec_lo, s18
	s_mov_b32 s18, exec_lo
	v_cmpx_gt_u32_e64 s5, v60
	s_cbranch_execnz .LBB1016_1019
.LBB1016_967:                           ;   in Loop: Header=BB1016_948 Depth=2
	s_or_b32 exec_lo, exec_lo, s18
	s_mov_b32 s18, exec_lo
	v_cmpx_gt_u32_e64 s5, v61
	s_cbranch_execz .LBB1016_969
.LBB1016_968:                           ;   in Loop: Header=BB1016_948 Depth=2
	global_load_ushort v3, v122, s[16:17]
.LBB1016_969:                           ;   in Loop: Header=BB1016_948 Depth=2
	s_or_b32 exec_lo, exec_lo, s18
	s_waitcnt vmcnt(0)
	v_mov_b32_e32 v21, v20
	v_mov_b32_e32 v22, v19
	;; [unrolled: 1-line block ×17, first 2 shown]
	s_mov_b32 s16, s5
.LBB1016_970:                           ;   in Loop: Header=BB1016_948 Depth=2
	s_waitcnt vmcnt(0)
	v_mov_b32_e32 v3, v37
	v_mov_b32_e32 v5, v36
	;; [unrolled: 1-line block ×17, first 2 shown]
	s_mov_b32 s17, exec_lo
	v_cmpx_gt_u32_e64 s16, v0
	s_cbranch_execnz .LBB1016_987
; %bb.971:                              ;   in Loop: Header=BB1016_948 Depth=2
	s_or_b32 exec_lo, exec_lo, s17
	s_mov_b32 s17, exec_lo
	v_cmpx_gt_u32_e64 s16, v44
	s_cbranch_execnz .LBB1016_988
.LBB1016_972:                           ;   in Loop: Header=BB1016_948 Depth=2
	s_or_b32 exec_lo, exec_lo, s17
	s_mov_b32 s17, exec_lo
	v_cmpx_gt_u32_e64 s16, v47
	s_cbranch_execnz .LBB1016_989
.LBB1016_973:                           ;   in Loop: Header=BB1016_948 Depth=2
	s_or_b32 exec_lo, exec_lo, s17
	s_mov_b32 s17, exec_lo
	v_cmpx_gt_u32_e64 s16, v48
	s_cbranch_execnz .LBB1016_990
.LBB1016_974:                           ;   in Loop: Header=BB1016_948 Depth=2
	s_or_b32 exec_lo, exec_lo, s17
	s_mov_b32 s17, exec_lo
	v_cmpx_gt_u32_e64 s16, v49
	s_cbranch_execnz .LBB1016_991
.LBB1016_975:                           ;   in Loop: Header=BB1016_948 Depth=2
	s_or_b32 exec_lo, exec_lo, s17
	s_mov_b32 s17, exec_lo
	v_cmpx_gt_u32_e64 s16, v50
	s_cbranch_execnz .LBB1016_992
.LBB1016_976:                           ;   in Loop: Header=BB1016_948 Depth=2
	s_or_b32 exec_lo, exec_lo, s17
	s_mov_b32 s17, exec_lo
	v_cmpx_gt_u32_e64 s16, v51
	s_cbranch_execnz .LBB1016_993
.LBB1016_977:                           ;   in Loop: Header=BB1016_948 Depth=2
	s_or_b32 exec_lo, exec_lo, s17
	s_mov_b32 s17, exec_lo
	v_cmpx_gt_u32_e64 s16, v52
	s_cbranch_execnz .LBB1016_994
.LBB1016_978:                           ;   in Loop: Header=BB1016_948 Depth=2
	s_or_b32 exec_lo, exec_lo, s17
	s_mov_b32 s17, exec_lo
	v_cmpx_gt_u32_e64 s16, v53
	s_cbranch_execnz .LBB1016_995
.LBB1016_979:                           ;   in Loop: Header=BB1016_948 Depth=2
	s_or_b32 exec_lo, exec_lo, s17
	s_mov_b32 s17, exec_lo
	v_cmpx_gt_u32_e64 s16, v54
	s_cbranch_execnz .LBB1016_996
.LBB1016_980:                           ;   in Loop: Header=BB1016_948 Depth=2
	s_or_b32 exec_lo, exec_lo, s17
	s_mov_b32 s17, exec_lo
	v_cmpx_gt_u32_e64 s16, v55
	s_cbranch_execnz .LBB1016_997
.LBB1016_981:                           ;   in Loop: Header=BB1016_948 Depth=2
	s_or_b32 exec_lo, exec_lo, s17
	s_mov_b32 s17, exec_lo
	v_cmpx_gt_u32_e64 s16, v56
	s_cbranch_execnz .LBB1016_998
.LBB1016_982:                           ;   in Loop: Header=BB1016_948 Depth=2
	s_or_b32 exec_lo, exec_lo, s17
	s_mov_b32 s17, exec_lo
	v_cmpx_gt_u32_e64 s16, v57
	s_cbranch_execnz .LBB1016_999
.LBB1016_983:                           ;   in Loop: Header=BB1016_948 Depth=2
	s_or_b32 exec_lo, exec_lo, s17
	s_mov_b32 s17, exec_lo
	v_cmpx_gt_u32_e64 s16, v58
	s_cbranch_execnz .LBB1016_1000
.LBB1016_984:                           ;   in Loop: Header=BB1016_948 Depth=2
	s_or_b32 exec_lo, exec_lo, s17
	s_mov_b32 s17, exec_lo
	v_cmpx_gt_u32_e64 s16, v59
	s_cbranch_execnz .LBB1016_1001
.LBB1016_985:                           ;   in Loop: Header=BB1016_948 Depth=2
	s_or_b32 exec_lo, exec_lo, s17
	s_mov_b32 s17, exec_lo
	v_cmpx_gt_u32_e64 s16, v60
	s_cbranch_execnz .LBB1016_1002
.LBB1016_986:                           ;   in Loop: Header=BB1016_948 Depth=2
	s_or_b32 exec_lo, exec_lo, s17
	v_cmp_gt_u32_e32 vcc_lo, s16, v61
	s_and_saveexec_b32 s16, vcc_lo
	s_cbranch_execz .LBB1016_947
	s_branch .LBB1016_1003
.LBB1016_987:                           ;   in Loop: Header=BB1016_948 Depth=2
	v_xor_b32_e32 v21, 0xffff8000, v20
	v_lshrrev_b32_sdwa v21, s41, v21 dst_sel:DWORD dst_unused:UNUSED_PAD src0_sel:DWORD src1_sel:WORD_0
	v_and_b32_e32 v21, s62, v21
	v_lshl_or_b32 v21, v21, 4, v63
	ds_add_u32 v21, v89
	s_or_b32 exec_lo, exec_lo, s17
	s_mov_b32 s17, exec_lo
	v_cmpx_gt_u32_e64 s16, v44
	s_cbranch_execz .LBB1016_972
.LBB1016_988:                           ;   in Loop: Header=BB1016_948 Depth=2
	v_xor_b32_e32 v21, 0xffff8000, v19
	v_lshrrev_b32_sdwa v21, s41, v21 dst_sel:DWORD dst_unused:UNUSED_PAD src0_sel:DWORD src1_sel:WORD_0
	v_and_b32_e32 v21, s62, v21
	v_lshl_or_b32 v21, v21, 4, v63
	ds_add_u32 v21, v89
	s_or_b32 exec_lo, exec_lo, s17
	s_mov_b32 s17, exec_lo
	v_cmpx_gt_u32_e64 s16, v47
	s_cbranch_execz .LBB1016_973
.LBB1016_989:                           ;   in Loop: Header=BB1016_948 Depth=2
	v_xor_b32_e32 v21, 0xffff8000, v18
	v_lshrrev_b32_sdwa v21, s41, v21 dst_sel:DWORD dst_unused:UNUSED_PAD src0_sel:DWORD src1_sel:WORD_0
	v_and_b32_e32 v21, s62, v21
	v_lshl_or_b32 v21, v21, 4, v63
	ds_add_u32 v21, v89
	s_or_b32 exec_lo, exec_lo, s17
	s_mov_b32 s17, exec_lo
	v_cmpx_gt_u32_e64 s16, v48
	s_cbranch_execz .LBB1016_974
.LBB1016_990:                           ;   in Loop: Header=BB1016_948 Depth=2
	v_xor_b32_e32 v21, 0xffff8000, v17
	v_lshrrev_b32_sdwa v21, s41, v21 dst_sel:DWORD dst_unused:UNUSED_PAD src0_sel:DWORD src1_sel:WORD_0
	v_and_b32_e32 v21, s62, v21
	v_lshl_or_b32 v21, v21, 4, v63
	ds_add_u32 v21, v89
	s_or_b32 exec_lo, exec_lo, s17
	s_mov_b32 s17, exec_lo
	v_cmpx_gt_u32_e64 s16, v49
	s_cbranch_execz .LBB1016_975
.LBB1016_991:                           ;   in Loop: Header=BB1016_948 Depth=2
	v_xor_b32_e32 v21, 0xffff8000, v16
	v_lshrrev_b32_sdwa v21, s41, v21 dst_sel:DWORD dst_unused:UNUSED_PAD src0_sel:DWORD src1_sel:WORD_0
	v_and_b32_e32 v21, s62, v21
	v_lshl_or_b32 v21, v21, 4, v63
	ds_add_u32 v21, v89
	s_or_b32 exec_lo, exec_lo, s17
	s_mov_b32 s17, exec_lo
	v_cmpx_gt_u32_e64 s16, v50
	s_cbranch_execz .LBB1016_976
.LBB1016_992:                           ;   in Loop: Header=BB1016_948 Depth=2
	v_xor_b32_e32 v21, 0xffff8000, v15
	v_lshrrev_b32_sdwa v21, s41, v21 dst_sel:DWORD dst_unused:UNUSED_PAD src0_sel:DWORD src1_sel:WORD_0
	v_and_b32_e32 v21, s62, v21
	v_lshl_or_b32 v21, v21, 4, v63
	ds_add_u32 v21, v89
	s_or_b32 exec_lo, exec_lo, s17
	s_mov_b32 s17, exec_lo
	v_cmpx_gt_u32_e64 s16, v51
	s_cbranch_execz .LBB1016_977
.LBB1016_993:                           ;   in Loop: Header=BB1016_948 Depth=2
	v_xor_b32_e32 v21, 0xffff8000, v14
	v_lshrrev_b32_sdwa v21, s41, v21 dst_sel:DWORD dst_unused:UNUSED_PAD src0_sel:DWORD src1_sel:WORD_0
	v_and_b32_e32 v21, s62, v21
	v_lshl_or_b32 v21, v21, 4, v63
	ds_add_u32 v21, v89
	s_or_b32 exec_lo, exec_lo, s17
	s_mov_b32 s17, exec_lo
	v_cmpx_gt_u32_e64 s16, v52
	s_cbranch_execz .LBB1016_978
.LBB1016_994:                           ;   in Loop: Header=BB1016_948 Depth=2
	v_xor_b32_e32 v21, 0xffff8000, v13
	v_lshrrev_b32_sdwa v21, s41, v21 dst_sel:DWORD dst_unused:UNUSED_PAD src0_sel:DWORD src1_sel:WORD_0
	v_and_b32_e32 v21, s62, v21
	v_lshl_or_b32 v21, v21, 4, v63
	ds_add_u32 v21, v89
	s_or_b32 exec_lo, exec_lo, s17
	s_mov_b32 s17, exec_lo
	v_cmpx_gt_u32_e64 s16, v53
	s_cbranch_execz .LBB1016_979
.LBB1016_995:                           ;   in Loop: Header=BB1016_948 Depth=2
	v_xor_b32_e32 v21, 0xffff8000, v12
	v_lshrrev_b32_sdwa v21, s41, v21 dst_sel:DWORD dst_unused:UNUSED_PAD src0_sel:DWORD src1_sel:WORD_0
	v_and_b32_e32 v21, s62, v21
	v_lshl_or_b32 v21, v21, 4, v63
	ds_add_u32 v21, v89
	s_or_b32 exec_lo, exec_lo, s17
	s_mov_b32 s17, exec_lo
	v_cmpx_gt_u32_e64 s16, v54
	s_cbranch_execz .LBB1016_980
.LBB1016_996:                           ;   in Loop: Header=BB1016_948 Depth=2
	v_xor_b32_e32 v21, 0xffff8000, v11
	v_lshrrev_b32_sdwa v21, s41, v21 dst_sel:DWORD dst_unused:UNUSED_PAD src0_sel:DWORD src1_sel:WORD_0
	v_and_b32_e32 v21, s62, v21
	v_lshl_or_b32 v21, v21, 4, v63
	ds_add_u32 v21, v89
	s_or_b32 exec_lo, exec_lo, s17
	s_mov_b32 s17, exec_lo
	v_cmpx_gt_u32_e64 s16, v55
	s_cbranch_execz .LBB1016_981
.LBB1016_997:                           ;   in Loop: Header=BB1016_948 Depth=2
	v_xor_b32_e32 v21, 0xffff8000, v10
	v_lshrrev_b32_sdwa v21, s41, v21 dst_sel:DWORD dst_unused:UNUSED_PAD src0_sel:DWORD src1_sel:WORD_0
	v_and_b32_e32 v21, s62, v21
	v_lshl_or_b32 v21, v21, 4, v63
	ds_add_u32 v21, v89
	s_or_b32 exec_lo, exec_lo, s17
	s_mov_b32 s17, exec_lo
	v_cmpx_gt_u32_e64 s16, v56
	s_cbranch_execz .LBB1016_982
.LBB1016_998:                           ;   in Loop: Header=BB1016_948 Depth=2
	v_xor_b32_e32 v21, 0xffff8000, v9
	v_lshrrev_b32_sdwa v21, s41, v21 dst_sel:DWORD dst_unused:UNUSED_PAD src0_sel:DWORD src1_sel:WORD_0
	v_and_b32_e32 v21, s62, v21
	v_lshl_or_b32 v21, v21, 4, v63
	ds_add_u32 v21, v89
	s_or_b32 exec_lo, exec_lo, s17
	s_mov_b32 s17, exec_lo
	v_cmpx_gt_u32_e64 s16, v57
	s_cbranch_execz .LBB1016_983
.LBB1016_999:                           ;   in Loop: Header=BB1016_948 Depth=2
	v_xor_b32_e32 v21, 0xffff8000, v8
	v_lshrrev_b32_sdwa v21, s41, v21 dst_sel:DWORD dst_unused:UNUSED_PAD src0_sel:DWORD src1_sel:WORD_0
	v_and_b32_e32 v21, s62, v21
	v_lshl_or_b32 v21, v21, 4, v63
	ds_add_u32 v21, v89
	s_or_b32 exec_lo, exec_lo, s17
	s_mov_b32 s17, exec_lo
	v_cmpx_gt_u32_e64 s16, v58
	s_cbranch_execz .LBB1016_984
.LBB1016_1000:                          ;   in Loop: Header=BB1016_948 Depth=2
	v_xor_b32_e32 v21, 0xffff8000, v7
	v_lshrrev_b32_sdwa v21, s41, v21 dst_sel:DWORD dst_unused:UNUSED_PAD src0_sel:DWORD src1_sel:WORD_0
	v_and_b32_e32 v21, s62, v21
	v_lshl_or_b32 v21, v21, 4, v63
	ds_add_u32 v21, v89
	s_or_b32 exec_lo, exec_lo, s17
	s_mov_b32 s17, exec_lo
	v_cmpx_gt_u32_e64 s16, v59
	s_cbranch_execz .LBB1016_985
.LBB1016_1001:                          ;   in Loop: Header=BB1016_948 Depth=2
	v_xor_b32_e32 v21, 0xffff8000, v6
	v_lshrrev_b32_sdwa v21, s41, v21 dst_sel:DWORD dst_unused:UNUSED_PAD src0_sel:DWORD src1_sel:WORD_0
	v_and_b32_e32 v21, s62, v21
	v_lshl_or_b32 v21, v21, 4, v63
	ds_add_u32 v21, v89
	s_or_b32 exec_lo, exec_lo, s17
	s_mov_b32 s17, exec_lo
	v_cmpx_gt_u32_e64 s16, v60
	s_cbranch_execz .LBB1016_986
.LBB1016_1002:                          ;   in Loop: Header=BB1016_948 Depth=2
	v_xor_b32_e32 v21, 0xffff8000, v5
	v_lshrrev_b32_sdwa v21, s41, v21 dst_sel:DWORD dst_unused:UNUSED_PAD src0_sel:DWORD src1_sel:WORD_0
	v_and_b32_e32 v21, s62, v21
	v_lshl_or_b32 v21, v21, 4, v63
	ds_add_u32 v21, v89
	s_or_b32 exec_lo, exec_lo, s17
	v_cmp_gt_u32_e32 vcc_lo, s16, v61
	s_and_saveexec_b32 s16, vcc_lo
	s_cbranch_execz .LBB1016_947
.LBB1016_1003:                          ;   in Loop: Header=BB1016_948 Depth=2
	v_xor_b32_e32 v21, 0xffff8000, v3
	v_lshrrev_b32_sdwa v21, s41, v21 dst_sel:DWORD dst_unused:UNUSED_PAD src0_sel:DWORD src1_sel:WORD_0
	v_and_b32_e32 v21, s62, v21
	v_lshl_or_b32 v21, v21, 4, v63
	ds_add_u32 v21, v89
	s_branch .LBB1016_947
.LBB1016_1004:                          ;   in Loop: Header=BB1016_948 Depth=2
	global_load_ushort v20, v109, s[16:17]
	s_or_b32 exec_lo, exec_lo, s18
	s_mov_b32 s18, exec_lo
	v_cmpx_gt_u32_e64 s5, v44
	s_cbranch_execz .LBB1016_953
.LBB1016_1005:                          ;   in Loop: Header=BB1016_948 Depth=2
	global_load_ushort v19, v109, s[16:17] offset:512
	s_or_b32 exec_lo, exec_lo, s18
	s_mov_b32 s18, exec_lo
	v_cmpx_gt_u32_e64 s5, v47
	s_cbranch_execz .LBB1016_954
.LBB1016_1006:                          ;   in Loop: Header=BB1016_948 Depth=2
	global_load_ushort v18, v109, s[16:17] offset:1024
	s_or_b32 exec_lo, exec_lo, s18
	s_mov_b32 s18, exec_lo
	v_cmpx_gt_u32_e64 s5, v48
	s_cbranch_execz .LBB1016_955
.LBB1016_1007:                          ;   in Loop: Header=BB1016_948 Depth=2
	global_load_ushort v17, v109, s[16:17] offset:1536
	s_or_b32 exec_lo, exec_lo, s18
	s_mov_b32 s18, exec_lo
	v_cmpx_gt_u32_e64 s5, v49
	s_cbranch_execz .LBB1016_956
.LBB1016_1008:                          ;   in Loop: Header=BB1016_948 Depth=2
	global_load_ushort v16, v110, s[16:17]
	s_or_b32 exec_lo, exec_lo, s18
	s_mov_b32 s18, exec_lo
	v_cmpx_gt_u32_e64 s5, v50
	s_cbranch_execz .LBB1016_957
.LBB1016_1009:                          ;   in Loop: Header=BB1016_948 Depth=2
	global_load_ushort v15, v111, s[16:17]
	s_or_b32 exec_lo, exec_lo, s18
	s_mov_b32 s18, exec_lo
	v_cmpx_gt_u32_e64 s5, v51
	s_cbranch_execz .LBB1016_958
.LBB1016_1010:                          ;   in Loop: Header=BB1016_948 Depth=2
	global_load_ushort v14, v112, s[16:17]
	s_or_b32 exec_lo, exec_lo, s18
	s_mov_b32 s18, exec_lo
	v_cmpx_gt_u32_e64 s5, v52
	s_cbranch_execz .LBB1016_959
.LBB1016_1011:                          ;   in Loop: Header=BB1016_948 Depth=2
	global_load_ushort v13, v113, s[16:17]
	s_or_b32 exec_lo, exec_lo, s18
	s_mov_b32 s18, exec_lo
	v_cmpx_gt_u32_e64 s5, v53
	s_cbranch_execz .LBB1016_960
.LBB1016_1012:                          ;   in Loop: Header=BB1016_948 Depth=2
	global_load_ushort v12, v114, s[16:17]
	s_or_b32 exec_lo, exec_lo, s18
	s_mov_b32 s18, exec_lo
	v_cmpx_gt_u32_e64 s5, v54
	s_cbranch_execz .LBB1016_961
.LBB1016_1013:                          ;   in Loop: Header=BB1016_948 Depth=2
	global_load_ushort v11, v115, s[16:17]
	s_or_b32 exec_lo, exec_lo, s18
	s_mov_b32 s18, exec_lo
	v_cmpx_gt_u32_e64 s5, v55
	s_cbranch_execz .LBB1016_962
.LBB1016_1014:                          ;   in Loop: Header=BB1016_948 Depth=2
	global_load_ushort v10, v116, s[16:17]
	s_or_b32 exec_lo, exec_lo, s18
	s_mov_b32 s18, exec_lo
	v_cmpx_gt_u32_e64 s5, v56
	s_cbranch_execz .LBB1016_963
.LBB1016_1015:                          ;   in Loop: Header=BB1016_948 Depth=2
	global_load_ushort v9, v117, s[16:17]
	s_or_b32 exec_lo, exec_lo, s18
	s_mov_b32 s18, exec_lo
	v_cmpx_gt_u32_e64 s5, v57
	s_cbranch_execz .LBB1016_964
.LBB1016_1016:                          ;   in Loop: Header=BB1016_948 Depth=2
	global_load_ushort v8, v118, s[16:17]
	s_or_b32 exec_lo, exec_lo, s18
	s_mov_b32 s18, exec_lo
	v_cmpx_gt_u32_e64 s5, v58
	s_cbranch_execz .LBB1016_965
.LBB1016_1017:                          ;   in Loop: Header=BB1016_948 Depth=2
	global_load_ushort v7, v119, s[16:17]
	s_or_b32 exec_lo, exec_lo, s18
	s_mov_b32 s18, exec_lo
	v_cmpx_gt_u32_e64 s5, v59
	s_cbranch_execz .LBB1016_966
.LBB1016_1018:                          ;   in Loop: Header=BB1016_948 Depth=2
	global_load_ushort v6, v120, s[16:17]
	s_or_b32 exec_lo, exec_lo, s18
	s_mov_b32 s18, exec_lo
	v_cmpx_gt_u32_e64 s5, v60
	s_cbranch_execz .LBB1016_967
.LBB1016_1019:                          ;   in Loop: Header=BB1016_948 Depth=2
	global_load_ushort v5, v121, s[16:17]
	s_or_b32 exec_lo, exec_lo, s18
	s_mov_b32 s18, exec_lo
	v_cmpx_gt_u32_e64 s5, v61
	s_cbranch_execnz .LBB1016_968
	s_branch .LBB1016_969
.LBB1016_1020:                          ;   in Loop: Header=BB1016_12 Depth=1
	v_mov_b32_e32 v3, 0
	s_waitcnt lgkmcnt(0)
	s_barrier
	buffer_gl0_inv
	s_and_saveexec_b32 s5, s7
	s_cbranch_execz .LBB1016_1022
; %bb.1021:                             ;   in Loop: Header=BB1016_12 Depth=1
	ds_read2_b64 v[5:8], v64 offset1:1
	s_waitcnt lgkmcnt(0)
	v_add_nc_u32_e32 v3, v6, v5
	v_add3_u32 v3, v3, v7, v8
.LBB1016_1022:                          ;   in Loop: Header=BB1016_12 Depth=1
	s_or_b32 exec_lo, exec_lo, s5
	v_mov_b32_dpp v5, v3 row_shr:1 row_mask:0xf bank_mask:0xf
	v_cmp_eq_u32_e64 s5, 0, v90
	v_cmp_lt_u32_e64 s15, 1, v90
	v_cmp_lt_u32_e64 s16, 3, v90
	;; [unrolled: 1-line block ×3, first 2 shown]
	v_cmp_eq_u32_e64 s18, 0, v92
	v_cndmask_b32_e64 v5, v5, 0, s5
	v_add_nc_u32_e32 v3, v5, v3
	v_mov_b32_dpp v5, v3 row_shr:2 row_mask:0xf bank_mask:0xf
	v_cndmask_b32_e64 v5, 0, v5, s15
	v_add_nc_u32_e32 v3, v3, v5
	v_mov_b32_dpp v5, v3 row_shr:4 row_mask:0xf bank_mask:0xf
	;; [unrolled: 3-line block ×3, first 2 shown]
	v_cndmask_b32_e64 v5, 0, v5, s17
	v_add_nc_u32_e32 v3, v3, v5
	ds_swizzle_b32 v5, v3 offset:swizzle(BROADCAST,32,15)
	s_waitcnt lgkmcnt(0)
	v_and_b32_e32 v5, v91, v5
	v_add_nc_u32_e32 v3, v3, v5
	s_and_saveexec_b32 s19, s8
; %bb.1023:                             ;   in Loop: Header=BB1016_12 Depth=1
	ds_write_b32 v65, v3
; %bb.1024:                             ;   in Loop: Header=BB1016_12 Depth=1
	s_or_b32 exec_lo, exec_lo, s19
	s_waitcnt lgkmcnt(0)
	s_barrier
	buffer_gl0_inv
	s_and_saveexec_b32 s19, s9
	s_cbranch_execz .LBB1016_1026
; %bb.1025:                             ;   in Loop: Header=BB1016_12 Depth=1
	ds_read_b32 v5, v66
	v_cmp_ne_u32_e32 vcc_lo, 0, v93
	s_waitcnt lgkmcnt(0)
	v_mov_b32_dpp v6, v5 row_shr:1 row_mask:0xf bank_mask:0xf
	v_cndmask_b32_e32 v6, 0, v6, vcc_lo
	v_cmp_lt_u32_e32 vcc_lo, 1, v93
	v_add_nc_u32_e32 v5, v6, v5
	v_mov_b32_dpp v6, v5 row_shr:2 row_mask:0xf bank_mask:0xf
	v_cndmask_b32_e32 v6, 0, v6, vcc_lo
	v_add_nc_u32_e32 v5, v5, v6
	ds_write_b32 v66, v5
.LBB1016_1026:                          ;   in Loop: Header=BB1016_12 Depth=1
	s_or_b32 exec_lo, exec_lo, s19
	v_mov_b32_e32 v5, 0
	s_waitcnt lgkmcnt(0)
	s_barrier
	buffer_gl0_inv
	s_and_saveexec_b32 s19, s10
; %bb.1027:                             ;   in Loop: Header=BB1016_12 Depth=1
	ds_read_b32 v5, v67
; %bb.1028:                             ;   in Loop: Header=BB1016_12 Depth=1
	s_or_b32 exec_lo, exec_lo, s19
	v_cmp_gt_i32_e32 vcc_lo, 0, v95
	s_waitcnt lgkmcnt(0)
	v_add_nc_u32_e32 v3, v5, v3
	s_barrier
	buffer_gl0_inv
	v_cndmask_b32_e32 v6, v95, v86, vcc_lo
	v_lshlrev_b32_e32 v125, 2, v6
	ds_bpermute_b32 v3, v125, v3
	s_and_saveexec_b32 s19, s7
	s_cbranch_execz .LBB1016_1030
; %bb.1029:                             ;   in Loop: Header=BB1016_12 Depth=1
	s_waitcnt lgkmcnt(0)
	v_cndmask_b32_e64 v3, v3, v5, s14
	v_add_nc_u32_e32 v3, s58, v3
	ds_write_b32 v43, v3
.LBB1016_1030:                          ;   in Loop: Header=BB1016_12 Depth=1
	s_or_b32 exec_lo, exec_lo, s19
	s_load_dwordx2 s[20:21], s[56:57], 0x0
	v_add_co_u32 v126, vcc_lo, v84, v97
	v_add_co_ci_u32_e64 v127, null, 0, v85, vcc_lo
	v_add_nc_u32_e32 v128, 0x180, v94
	v_add_nc_u32_e32 v129, 0x1a0, v94
	;; [unrolled: 1-line block ×5, first 2 shown]
	s_mov_b32 s63, s60
	s_mov_b32 s50, s58
                                        ; implicit-def: $vgpr7_vgpr8
                                        ; implicit-def: $vgpr9_vgpr10
                                        ; implicit-def: $vgpr11_vgpr12
                                        ; implicit-def: $vgpr13_vgpr14
                                        ; implicit-def: $vgpr15_vgpr16
                                        ; implicit-def: $vgpr19_vgpr20
                                        ; implicit-def: $vgpr23_vgpr24
                                        ; implicit-def: $vgpr27_vgpr28
                                        ; implicit-def: $vgpr17_vgpr18
                                        ; implicit-def: $vgpr21_vgpr22
                                        ; implicit-def: $vgpr25_vgpr26
                                        ; implicit-def: $vgpr29_vgpr30
                                        ; implicit-def: $vgpr31_vgpr32
                                        ; implicit-def: $vgpr33_vgpr34
                                        ; implicit-def: $vgpr35_vgpr36
                                        ; implicit-def: $vgpr37_vgpr38
                                        ; implicit-def: $vgpr136
                                        ; implicit-def: $vgpr137
                                        ; implicit-def: $vgpr138
                                        ; implicit-def: $vgpr139
                                        ; implicit-def: $vgpr140
                                        ; implicit-def: $vgpr141
                                        ; implicit-def: $vgpr142
                                        ; implicit-def: $vgpr143
                                        ; implicit-def: $vgpr144
                                        ; implicit-def: $vgpr145
                                        ; implicit-def: $vgpr146
                                        ; implicit-def: $vgpr147
                                        ; implicit-def: $vgpr148
                                        ; implicit-def: $vgpr149
                                        ; implicit-def: $vgpr150
                                        ; implicit-def: $vgpr152
                                        ; implicit-def: $vgpr153
                                        ; implicit-def: $vgpr151
                                        ; implicit-def: $vgpr154
	s_waitcnt lgkmcnt(0)
	s_cmp_lt_u32 s28, s21
	s_cselect_b32 s19, 14, 20
	s_add_u32 s22, s56, s19
	s_addc_u32 s23, s57, 0
	s_cmp_lt_u32 s6, s20
	global_load_ushort v3, v4, s[22:23]
	s_cselect_b32 s19, 12, 18
	s_add_u32 s20, s56, s19
	s_addc_u32 s21, s57, 0
	v_cmp_eq_u32_e64 s19, 0, v96
	global_load_ushort v5, v4, s[20:21]
	v_cmp_lt_u32_e64 s20, 1, v96
	v_cmp_lt_u32_e64 s21, 3, v96
	s_waitcnt vmcnt(1)
	v_mad_u32_u24 v3, v2, v3, v1
	s_waitcnt vmcnt(0)
	v_mad_u64_u32 v[5:6], null, v3, v5, v[0:1]
	v_lshlrev_b32_e32 v3, 1, v86
	v_add_co_u32 v133, vcc_lo, v87, v3
	v_lshrrev_b32_e32 v5, 3, v5
	v_add_co_ci_u32_e64 v134, null, 0, v88, vcc_lo
	v_and_b32_e32 v135, 0x1ffffffc, v5
                                        ; implicit-def: $vgpr5_vgpr6
	s_branch .LBB1016_1032
.LBB1016_1031:                          ;   in Loop: Header=BB1016_1032 Depth=2
	s_or_b32 exec_lo, exec_lo, s22
	s_addk_i32 s63, 0xef00
	s_cmp_lt_u32 s64, s59
	s_mov_b32 s50, s64
	s_cbranch_scc0 .LBB1016_10
.LBB1016_1032:                          ;   Parent Loop BB1016_12 Depth=1
                                        ; =>  This Inner Loop Header: Depth=2
	s_add_i32 s64, s50, 0x1100
	s_cmp_gt_u32 s64, s59
	s_cbranch_scc1 .LBB1016_1034
; %bb.1033:                             ;   in Loop: Header=BB1016_1032 Depth=2
	s_lshl_b64 s[22:23], s[50:51], 1
	v_add_co_u32 v39, vcc_lo, v133, s22
	v_add_co_ci_u32_e64 v40, null, s23, v134, vcc_lo
	s_mov_b32 s22, -1
	s_clause 0xf
	global_load_ushort v156, v[39:40], off
	global_load_ushort v157, v[39:40], off offset:64
	global_load_ushort v160, v[39:40], off offset:128
	;; [unrolled: 1-line block ×15, first 2 shown]
	s_movk_i32 s23, 0x1100
	s_cbranch_execz .LBB1016_1035
	s_branch .LBB1016_1068
.LBB1016_1034:                          ;   in Loop: Header=BB1016_1032 Depth=2
	s_mov_b32 s22, 0
                                        ; implicit-def: $vgpr156
                                        ; implicit-def: $vgpr157
                                        ; implicit-def: $vgpr160
                                        ; implicit-def: $vgpr164
                                        ; implicit-def: $vgpr169
                                        ; implicit-def: $vgpr174
                                        ; implicit-def: $vgpr179
                                        ; implicit-def: $vgpr184
                                        ; implicit-def: $vgpr189
                                        ; implicit-def: $vgpr187
                                        ; implicit-def: $vgpr182
                                        ; implicit-def: $vgpr177
                                        ; implicit-def: $vgpr173
                                        ; implicit-def: $vgpr168
                                        ; implicit-def: $vgpr42
                                        ; implicit-def: $vgpr41
	s_movk_i32 s23, 0x1100
.LBB1016_1035:                          ;   in Loop: Header=BB1016_1032 Depth=2
	s_lshl_b64 s[22:23], s[50:51], 1
	s_waitcnt vmcnt(14)
	v_mov_b32_e32 v157, 0x7fff
	v_add_co_u32 v39, vcc_lo, v133, s22
	v_add_co_ci_u32_e64 v40, null, s23, v134, vcc_lo
	v_mov_b32_e32 v156, 0x7fff
	s_mov_b32 s22, exec_lo
	v_cmpx_gt_u32_e64 s63, v94
	s_cbranch_execz .LBB1016_1037
; %bb.1036:                             ;   in Loop: Header=BB1016_1032 Depth=2
	global_load_ushort v156, v[39:40], off
.LBB1016_1037:                          ;   in Loop: Header=BB1016_1032 Depth=2
	s_or_b32 exec_lo, exec_lo, s22
	s_mov_b32 s22, exec_lo
	v_cmpx_gt_u32_e64 s63, v98
	s_cbranch_execz .LBB1016_1039
; %bb.1038:                             ;   in Loop: Header=BB1016_1032 Depth=2
	global_load_ushort v157, v[39:40], off offset:64
.LBB1016_1039:                          ;   in Loop: Header=BB1016_1032 Depth=2
	s_or_b32 exec_lo, exec_lo, s22
	s_waitcnt vmcnt(12)
	v_mov_b32_e32 v164, 0x7fff
	v_mov_b32_e32 v160, 0x7fff
	s_mov_b32 s22, exec_lo
	v_cmpx_gt_u32_e64 s63, v99
	s_cbranch_execz .LBB1016_1041
; %bb.1040:                             ;   in Loop: Header=BB1016_1032 Depth=2
	global_load_ushort v160, v[39:40], off offset:128
.LBB1016_1041:                          ;   in Loop: Header=BB1016_1032 Depth=2
	s_or_b32 exec_lo, exec_lo, s22
	s_mov_b32 s22, exec_lo
	v_cmpx_gt_u32_e64 s63, v100
	s_cbranch_execz .LBB1016_1043
; %bb.1042:                             ;   in Loop: Header=BB1016_1032 Depth=2
	global_load_ushort v164, v[39:40], off offset:192
.LBB1016_1043:                          ;   in Loop: Header=BB1016_1032 Depth=2
	s_or_b32 exec_lo, exec_lo, s22
	s_waitcnt vmcnt(10)
	v_mov_b32_e32 v174, 0x7fff
	v_mov_b32_e32 v169, 0x7fff
	s_mov_b32 s22, exec_lo
	v_cmpx_gt_u32_e64 s63, v101
	s_cbranch_execz .LBB1016_1045
; %bb.1044:                             ;   in Loop: Header=BB1016_1032 Depth=2
	global_load_ushort v169, v[39:40], off offset:256
.LBB1016_1045:                          ;   in Loop: Header=BB1016_1032 Depth=2
	;; [unrolled: 17-line block ×7, first 2 shown]
	s_or_b32 exec_lo, exec_lo, s22
	s_mov_b32 s22, exec_lo
	v_cmpx_gt_u32_e64 s63, v131
	s_cbranch_execz .LBB1016_1067
; %bb.1066:                             ;   in Loop: Header=BB1016_1032 Depth=2
	global_load_ushort v41, v[39:40], off offset:960
.LBB1016_1067:                          ;   in Loop: Header=BB1016_1032 Depth=2
	s_or_b32 exec_lo, exec_lo, s22
	v_cmp_gt_u32_e64 s22, s63, v132
	s_sub_i32 s23, s59, s50
.LBB1016_1068:                          ;   in Loop: Header=BB1016_1032 Depth=2
	v_mov_b32_e32 v3, -1
	v_mov_b32_e32 v155, s63
	s_and_saveexec_b32 s24, s22
	s_cbranch_execz .LBB1016_1070
; %bb.1069:                             ;   in Loop: Header=BB1016_1032 Depth=2
	s_lshl_b64 s[26:27], s[50:51], 1
	v_mov_b32_e32 v155, s23
	v_add_co_u32 v39, vcc_lo, v133, s26
	v_add_co_ci_u32_e64 v40, null, s27, v134, vcc_lo
	global_load_ushort v3, v[39:40], off offset:1024
	s_waitcnt vmcnt(0)
	v_xor_b32_e32 v3, 0xffff8000, v3
.LBB1016_1070:                          ;   in Loop: Header=BB1016_1032 Depth=2
	s_or_b32 exec_lo, exec_lo, s24
	s_waitcnt vmcnt(15)
	v_xor_b32_e32 v156, 0xffff8000, v156
	ds_write2_b32 v68, v4, v4 offset0:136 offset1:137
	ds_write2_b32 v68, v4, v4 offset0:138 offset1:139
	ds_write_b32 v68, v4 offset:560
	s_waitcnt vmcnt(0) lgkmcnt(0)
	s_barrier
	v_lshrrev_b32_sdwa v39, s41, v156 dst_sel:DWORD dst_unused:UNUSED_PAD src0_sel:DWORD src1_sel:WORD_0
	buffer_gl0_inv
	; wave barrier
	v_and_b32_e32 v40, s62, v39
	v_and_b32_e32 v39, 1, v40
	v_lshlrev_b32_e32 v158, 30, v40
	v_lshlrev_b32_e32 v159, 29, v40
	;; [unrolled: 1-line block ×4, first 2 shown]
	v_add_co_u32 v39, s22, v39, -1
	v_cndmask_b32_e64 v161, 0, 1, s22
	v_not_b32_e32 v166, v158
	v_cmp_gt_i32_e64 s22, 0, v158
	v_not_b32_e32 v158, v159
	v_lshlrev_b32_e32 v165, 26, v40
	v_cmp_ne_u32_e32 vcc_lo, 0, v161
	v_ashrrev_i32_e32 v166, 31, v166
	v_lshlrev_b32_e32 v161, 25, v40
	v_ashrrev_i32_e32 v158, 31, v158
	v_mul_u32_u24_e32 v40, 36, v40
	v_xor_b32_e32 v39, vcc_lo, v39
	v_cmp_gt_i32_e32 vcc_lo, 0, v159
	v_not_b32_e32 v159, v162
	v_xor_b32_e32 v166, s22, v166
	v_cmp_gt_i32_e64 s22, 0, v162
	v_and_b32_e32 v39, exec_lo, v39
	v_not_b32_e32 v162, v163
	v_ashrrev_i32_e32 v159, 31, v159
	v_xor_b32_e32 v158, vcc_lo, v158
	v_cmp_gt_i32_e32 vcc_lo, 0, v163
	v_and_b32_e32 v39, v39, v166
	v_not_b32_e32 v163, v165
	v_ashrrev_i32_e32 v162, 31, v162
	v_xor_b32_e32 v159, s22, v159
	v_cmp_gt_i32_e64 s22, 0, v165
	v_and_b32_e32 v39, v39, v158
	v_not_b32_e32 v158, v161
	v_ashrrev_i32_e32 v163, 31, v163
	v_xor_b32_e32 v162, vcc_lo, v162
	v_cmp_gt_i32_e32 vcc_lo, 0, v161
	v_and_b32_e32 v39, v39, v159
	v_ashrrev_i32_e32 v158, 31, v158
	v_xor_b32_e32 v159, s22, v163
	v_and_b32_e32 v39, v39, v162
	v_xor_b32_e32 v158, vcc_lo, v158
	v_and_b32_e32 v39, v39, v159
	v_add_nc_u32_e32 v159, v135, v40
	v_and_b32_e32 v39, v39, v158
	v_mbcnt_lo_u32_b32 v158, v39, 0
	v_cmp_ne_u32_e64 s22, 0, v39
	v_cmp_eq_u32_e32 vcc_lo, 0, v158
	s_and_b32 s23, s22, vcc_lo
	s_and_saveexec_b32 s22, s23
; %bb.1071:                             ;   in Loop: Header=BB1016_1032 Depth=2
	v_bcnt_u32_b32 v39, v39, 0
	ds_write_b32 v159, v39 offset:544
; %bb.1072:                             ;   in Loop: Header=BB1016_1032 Depth=2
	s_or_b32 exec_lo, exec_lo, s22
	v_xor_b32_e32 v157, 0xffff8000, v157
	; wave barrier
	v_lshrrev_b32_sdwa v39, s41, v157 dst_sel:DWORD dst_unused:UNUSED_PAD src0_sel:DWORD src1_sel:WORD_0
	v_and_b32_e32 v40, s62, v39
	v_and_b32_e32 v39, 1, v40
	v_lshlrev_b32_e32 v161, 30, v40
	v_lshlrev_b32_e32 v162, 29, v40
	v_lshlrev_b32_e32 v165, 28, v40
	v_lshlrev_b32_e32 v166, 27, v40
	v_add_co_u32 v39, s22, v39, -1
	v_cndmask_b32_e64 v163, 0, 1, s22
	v_not_b32_e32 v170, v161
	v_cmp_gt_i32_e64 s22, 0, v161
	v_not_b32_e32 v161, v162
	v_lshlrev_b32_e32 v167, 26, v40
	v_cmp_ne_u32_e32 vcc_lo, 0, v163
	v_ashrrev_i32_e32 v170, 31, v170
	v_lshlrev_b32_e32 v163, 25, v40
	v_ashrrev_i32_e32 v161, 31, v161
	v_xor_b32_e32 v39, vcc_lo, v39
	v_cmp_gt_i32_e32 vcc_lo, 0, v162
	v_not_b32_e32 v162, v165
	v_xor_b32_e32 v170, s22, v170
	v_cmp_gt_i32_e64 s22, 0, v165
	v_and_b32_e32 v39, exec_lo, v39
	v_not_b32_e32 v165, v166
	v_ashrrev_i32_e32 v162, 31, v162
	v_xor_b32_e32 v161, vcc_lo, v161
	v_cmp_gt_i32_e32 vcc_lo, 0, v166
	v_and_b32_e32 v39, v39, v170
	v_not_b32_e32 v166, v167
	v_ashrrev_i32_e32 v165, 31, v165
	v_xor_b32_e32 v162, s22, v162
	v_cmp_gt_i32_e64 s22, 0, v167
	v_and_b32_e32 v39, v39, v161
	v_not_b32_e32 v161, v163
	v_ashrrev_i32_e32 v166, 31, v166
	v_xor_b32_e32 v165, vcc_lo, v165
	v_cmp_gt_i32_e32 vcc_lo, 0, v163
	v_and_b32_e32 v39, v39, v162
	v_ashrrev_i32_e32 v161, 31, v161
	v_xor_b32_e32 v162, s22, v166
	v_mad_u32_u24 v163, v40, 36, v135
	v_mul_u32_u24_e32 v40, 36, v40
	v_and_b32_e32 v39, v39, v165
	v_xor_b32_e32 v165, vcc_lo, v161
	ds_read_b32 v161, v163 offset:544
	v_add_nc_u32_e32 v163, v135, v40
	v_and_b32_e32 v39, v39, v162
	; wave barrier
	v_and_b32_e32 v39, v39, v165
	v_mbcnt_lo_u32_b32 v162, v39, 0
	v_cmp_ne_u32_e64 s22, 0, v39
	v_cmp_eq_u32_e32 vcc_lo, 0, v162
	s_and_b32 s23, s22, vcc_lo
	s_and_saveexec_b32 s22, s23
	s_cbranch_execz .LBB1016_1074
; %bb.1073:                             ;   in Loop: Header=BB1016_1032 Depth=2
	s_waitcnt lgkmcnt(0)
	v_bcnt_u32_b32 v39, v39, v161
	ds_write_b32 v163, v39 offset:544
.LBB1016_1074:                          ;   in Loop: Header=BB1016_1032 Depth=2
	s_or_b32 exec_lo, exec_lo, s22
	v_xor_b32_e32 v160, 0xffff8000, v160
	; wave barrier
	v_lshrrev_b32_sdwa v39, s41, v160 dst_sel:DWORD dst_unused:UNUSED_PAD src0_sel:DWORD src1_sel:WORD_0
	v_and_b32_e32 v40, s62, v39
	v_and_b32_e32 v39, 1, v40
	v_lshlrev_b32_e32 v165, 30, v40
	v_lshlrev_b32_e32 v166, 29, v40
	v_lshlrev_b32_e32 v170, 28, v40
	v_lshlrev_b32_e32 v171, 27, v40
	v_add_co_u32 v39, s22, v39, -1
	v_cndmask_b32_e64 v167, 0, 1, s22
	v_not_b32_e32 v175, v165
	v_cmp_gt_i32_e64 s22, 0, v165
	v_not_b32_e32 v165, v166
	v_lshlrev_b32_e32 v172, 26, v40
	v_cmp_ne_u32_e32 vcc_lo, 0, v167
	v_ashrrev_i32_e32 v175, 31, v175
	v_lshlrev_b32_e32 v167, 25, v40
	v_ashrrev_i32_e32 v165, 31, v165
	v_xor_b32_e32 v39, vcc_lo, v39
	v_cmp_gt_i32_e32 vcc_lo, 0, v166
	v_not_b32_e32 v166, v170
	v_xor_b32_e32 v175, s22, v175
	v_cmp_gt_i32_e64 s22, 0, v170
	v_and_b32_e32 v39, exec_lo, v39
	v_not_b32_e32 v170, v171
	v_ashrrev_i32_e32 v166, 31, v166
	v_xor_b32_e32 v165, vcc_lo, v165
	v_cmp_gt_i32_e32 vcc_lo, 0, v171
	v_and_b32_e32 v39, v39, v175
	v_not_b32_e32 v171, v172
	v_ashrrev_i32_e32 v170, 31, v170
	v_xor_b32_e32 v166, s22, v166
	v_cmp_gt_i32_e64 s22, 0, v172
	v_and_b32_e32 v39, v39, v165
	v_not_b32_e32 v165, v167
	v_ashrrev_i32_e32 v171, 31, v171
	v_xor_b32_e32 v170, vcc_lo, v170
	v_cmp_gt_i32_e32 vcc_lo, 0, v167
	v_and_b32_e32 v39, v39, v166
	v_ashrrev_i32_e32 v165, 31, v165
	v_xor_b32_e32 v166, s22, v171
	v_mad_u32_u24 v167, v40, 36, v135
	v_mul_u32_u24_e32 v40, 36, v40
	v_and_b32_e32 v39, v39, v170
	v_xor_b32_e32 v170, vcc_lo, v165
	ds_read_b32 v165, v167 offset:544
	v_add_nc_u32_e32 v167, v135, v40
	v_and_b32_e32 v39, v39, v166
	; wave barrier
	v_and_b32_e32 v39, v39, v170
	v_mbcnt_lo_u32_b32 v166, v39, 0
	v_cmp_ne_u32_e64 s22, 0, v39
	v_cmp_eq_u32_e32 vcc_lo, 0, v166
	s_and_b32 s23, s22, vcc_lo
	s_and_saveexec_b32 s22, s23
	s_cbranch_execz .LBB1016_1076
; %bb.1075:                             ;   in Loop: Header=BB1016_1032 Depth=2
	s_waitcnt lgkmcnt(0)
	v_bcnt_u32_b32 v39, v39, v165
	ds_write_b32 v167, v39 offset:544
.LBB1016_1076:                          ;   in Loop: Header=BB1016_1032 Depth=2
	;; [unrolled: 63-line block ×9, first 2 shown]
	s_or_b32 exec_lo, exec_lo, s22
	v_xor_b32_e32 v182, 0xffff8000, v182
	; wave barrier
	v_lshrrev_b32_sdwa v39, s41, v182 dst_sel:DWORD dst_unused:UNUSED_PAD src0_sel:DWORD src1_sel:WORD_0
	v_and_b32_e32 v40, s62, v39
	v_and_b32_e32 v39, 1, v40
	v_lshlrev_b32_e32 v199, 30, v40
	v_lshlrev_b32_e32 v200, 29, v40
	;; [unrolled: 1-line block ×4, first 2 shown]
	v_add_co_u32 v39, s22, v39, -1
	v_cndmask_b32_e64 v201, 0, 1, s22
	v_not_b32_e32 v205, v199
	v_cmp_gt_i32_e64 s22, 0, v199
	v_not_b32_e32 v199, v200
	v_lshlrev_b32_e32 v204, 26, v40
	v_cmp_ne_u32_e32 vcc_lo, 0, v201
	v_ashrrev_i32_e32 v205, 31, v205
	v_lshlrev_b32_e32 v201, 25, v40
	v_ashrrev_i32_e32 v199, 31, v199
	v_xor_b32_e32 v39, vcc_lo, v39
	v_cmp_gt_i32_e32 vcc_lo, 0, v200
	v_not_b32_e32 v200, v202
	v_xor_b32_e32 v205, s22, v205
	v_cmp_gt_i32_e64 s22, 0, v202
	v_and_b32_e32 v39, exec_lo, v39
	v_not_b32_e32 v202, v203
	v_ashrrev_i32_e32 v200, 31, v200
	v_xor_b32_e32 v199, vcc_lo, v199
	v_cmp_gt_i32_e32 vcc_lo, 0, v203
	v_and_b32_e32 v39, v39, v205
	v_not_b32_e32 v203, v204
	v_ashrrev_i32_e32 v202, 31, v202
	v_xor_b32_e32 v200, s22, v200
	v_cmp_gt_i32_e64 s22, 0, v204
	v_and_b32_e32 v39, v39, v199
	v_not_b32_e32 v199, v201
	v_ashrrev_i32_e32 v203, 31, v203
	v_xor_b32_e32 v202, vcc_lo, v202
	v_cmp_gt_i32_e32 vcc_lo, 0, v201
	v_and_b32_e32 v39, v39, v200
	v_ashrrev_i32_e32 v199, 31, v199
	v_xor_b32_e32 v200, s22, v203
	v_mad_u32_u24 v201, v40, 36, v135
	v_mul_u32_u24_e32 v40, 36, v40
	v_and_b32_e32 v39, v39, v202
	v_xor_b32_e32 v199, vcc_lo, v199
	v_add_nc_u32_e32 v202, v135, v40
	v_and_b32_e32 v39, v39, v200
	ds_read_b32 v200, v201 offset:544
	; wave barrier
	v_and_b32_e32 v39, v39, v199
	v_mbcnt_lo_u32_b32 v201, v39, 0
	v_cmp_ne_u32_e64 s22, 0, v39
	v_cmp_eq_u32_e32 vcc_lo, 0, v201
	s_and_b32 s23, s22, vcc_lo
	s_and_saveexec_b32 s22, s23
	s_cbranch_execz .LBB1016_1092
; %bb.1091:                             ;   in Loop: Header=BB1016_1032 Depth=2
	s_waitcnt lgkmcnt(0)
	v_bcnt_u32_b32 v39, v39, v200
	ds_write_b32 v202, v39 offset:544
.LBB1016_1092:                          ;   in Loop: Header=BB1016_1032 Depth=2
	s_or_b32 exec_lo, exec_lo, s22
	v_xor_b32_e32 v199, 0xffff8000, v177
	; wave barrier
	v_lshrrev_b32_sdwa v39, s41, v199 dst_sel:DWORD dst_unused:UNUSED_PAD src0_sel:DWORD src1_sel:WORD_0
	v_and_b32_e32 v40, s62, v39
	v_and_b32_e32 v39, 1, v40
	v_lshlrev_b32_e32 v177, 30, v40
	v_lshlrev_b32_e32 v203, 29, v40
	v_lshlrev_b32_e32 v205, 28, v40
	v_lshlrev_b32_e32 v206, 27, v40
	v_add_co_u32 v39, s22, v39, -1
	v_cndmask_b32_e64 v204, 0, 1, s22
	v_not_b32_e32 v208, v177
	v_cmp_gt_i32_e64 s22, 0, v177
	v_not_b32_e32 v177, v203
	v_lshlrev_b32_e32 v207, 26, v40
	v_cmp_ne_u32_e32 vcc_lo, 0, v204
	v_ashrrev_i32_e32 v208, 31, v208
	v_lshlrev_b32_e32 v204, 25, v40
	v_ashrrev_i32_e32 v177, 31, v177
	v_xor_b32_e32 v39, vcc_lo, v39
	v_cmp_gt_i32_e32 vcc_lo, 0, v203
	v_not_b32_e32 v203, v205
	v_xor_b32_e32 v208, s22, v208
	v_cmp_gt_i32_e64 s22, 0, v205
	v_and_b32_e32 v39, exec_lo, v39
	v_not_b32_e32 v205, v206
	v_ashrrev_i32_e32 v203, 31, v203
	v_xor_b32_e32 v177, vcc_lo, v177
	v_cmp_gt_i32_e32 vcc_lo, 0, v206
	v_and_b32_e32 v39, v39, v208
	v_not_b32_e32 v206, v207
	v_ashrrev_i32_e32 v205, 31, v205
	v_xor_b32_e32 v203, s22, v203
	v_cmp_gt_i32_e64 s22, 0, v207
	v_and_b32_e32 v39, v39, v177
	v_not_b32_e32 v177, v204
	v_ashrrev_i32_e32 v206, 31, v206
	v_xor_b32_e32 v205, vcc_lo, v205
	v_cmp_gt_i32_e32 vcc_lo, 0, v204
	v_and_b32_e32 v39, v39, v203
	v_ashrrev_i32_e32 v177, 31, v177
	v_xor_b32_e32 v203, s22, v206
	v_mad_u32_u24 v204, v40, 36, v135
	v_mul_u32_u24_e32 v40, 36, v40
	v_and_b32_e32 v39, v39, v205
	v_xor_b32_e32 v177, vcc_lo, v177
	ds_read_b32 v204, v204 offset:544
	v_and_b32_e32 v39, v39, v203
	; wave barrier
	v_and_b32_e32 v39, v39, v177
	v_add_nc_u32_e32 v177, v135, v40
	v_mbcnt_lo_u32_b32 v205, v39, 0
	v_cmp_ne_u32_e64 s22, 0, v39
	v_cmp_eq_u32_e32 vcc_lo, 0, v205
	s_and_b32 s23, s22, vcc_lo
	s_and_saveexec_b32 s22, s23
	s_cbranch_execz .LBB1016_1094
; %bb.1093:                             ;   in Loop: Header=BB1016_1032 Depth=2
	s_waitcnt lgkmcnt(0)
	v_bcnt_u32_b32 v39, v39, v204
	ds_write_b32 v177, v39 offset:544
.LBB1016_1094:                          ;   in Loop: Header=BB1016_1032 Depth=2
	s_or_b32 exec_lo, exec_lo, s22
	v_xor_b32_e32 v203, 0xffff8000, v173
	; wave barrier
	v_lshrrev_b32_sdwa v39, s41, v203 dst_sel:DWORD dst_unused:UNUSED_PAD src0_sel:DWORD src1_sel:WORD_0
	v_and_b32_e32 v40, s62, v39
	v_and_b32_e32 v39, 1, v40
	v_lshlrev_b32_e32 v173, 30, v40
	v_lshlrev_b32_e32 v206, 29, v40
	v_lshlrev_b32_e32 v208, 28, v40
	v_lshlrev_b32_e32 v209, 27, v40
	v_add_co_u32 v39, s22, v39, -1
	v_cndmask_b32_e64 v207, 0, 1, s22
	v_not_b32_e32 v211, v173
	v_cmp_gt_i32_e64 s22, 0, v173
	v_not_b32_e32 v173, v206
	v_lshlrev_b32_e32 v210, 26, v40
	v_cmp_ne_u32_e32 vcc_lo, 0, v207
	v_ashrrev_i32_e32 v211, 31, v211
	v_lshlrev_b32_e32 v207, 25, v40
	v_ashrrev_i32_e32 v173, 31, v173
	v_xor_b32_e32 v39, vcc_lo, v39
	v_cmp_gt_i32_e32 vcc_lo, 0, v206
	v_not_b32_e32 v206, v208
	v_xor_b32_e32 v211, s22, v211
	v_cmp_gt_i32_e64 s22, 0, v208
	v_and_b32_e32 v39, exec_lo, v39
	v_not_b32_e32 v208, v209
	v_ashrrev_i32_e32 v206, 31, v206
	v_xor_b32_e32 v173, vcc_lo, v173
	v_cmp_gt_i32_e32 vcc_lo, 0, v209
	v_and_b32_e32 v39, v39, v211
	v_not_b32_e32 v209, v210
	v_ashrrev_i32_e32 v208, 31, v208
	v_xor_b32_e32 v206, s22, v206
	v_cmp_gt_i32_e64 s22, 0, v210
	v_and_b32_e32 v39, v39, v173
	v_not_b32_e32 v173, v207
	v_ashrrev_i32_e32 v209, 31, v209
	v_xor_b32_e32 v208, vcc_lo, v208
	v_cmp_gt_i32_e32 vcc_lo, 0, v207
	v_and_b32_e32 v39, v39, v206
	v_ashrrev_i32_e32 v173, 31, v173
	v_xor_b32_e32 v206, s22, v209
	v_mad_u32_u24 v207, v40, 36, v135
	v_mul_u32_u24_e32 v40, 36, v40
	v_and_b32_e32 v39, v39, v208
	v_xor_b32_e32 v173, vcc_lo, v173
	ds_read_b32 v207, v207 offset:544
	v_and_b32_e32 v39, v39, v206
	; wave barrier
	v_and_b32_e32 v39, v39, v173
	v_add_nc_u32_e32 v173, v135, v40
	;; [unrolled: 63-line block ×3, first 2 shown]
	v_mbcnt_lo_u32_b32 v211, v39, 0
	v_cmp_ne_u32_e64 s22, 0, v39
	v_cmp_eq_u32_e32 vcc_lo, 0, v211
	s_and_b32 s23, s22, vcc_lo
	s_and_saveexec_b32 s22, s23
	s_cbranch_execz .LBB1016_1098
; %bb.1097:                             ;   in Loop: Header=BB1016_1032 Depth=2
	s_waitcnt lgkmcnt(0)
	v_bcnt_u32_b32 v39, v39, v210
	ds_write_b32 v168, v39 offset:544
.LBB1016_1098:                          ;   in Loop: Header=BB1016_1032 Depth=2
	s_or_b32 exec_lo, exec_lo, s22
	v_xor_b32_e32 v209, 0xffff8000, v42
	; wave barrier
	v_lshrrev_b32_sdwa v39, s41, v209 dst_sel:DWORD dst_unused:UNUSED_PAD src0_sel:DWORD src1_sel:WORD_0
	v_and_b32_e32 v40, s62, v39
	v_and_b32_e32 v39, 1, v40
	v_lshlrev_b32_e32 v42, 30, v40
	v_lshlrev_b32_e32 v212, 29, v40
	;; [unrolled: 1-line block ×4, first 2 shown]
	v_add_co_u32 v39, s22, v39, -1
	v_cndmask_b32_e64 v213, 0, 1, s22
	v_not_b32_e32 v217, v42
	v_cmp_gt_i32_e64 s22, 0, v42
	v_not_b32_e32 v42, v212
	v_lshlrev_b32_e32 v216, 26, v40
	v_cmp_ne_u32_e32 vcc_lo, 0, v213
	v_ashrrev_i32_e32 v217, 31, v217
	v_lshlrev_b32_e32 v213, 25, v40
	v_ashrrev_i32_e32 v42, 31, v42
	v_xor_b32_e32 v39, vcc_lo, v39
	v_cmp_gt_i32_e32 vcc_lo, 0, v212
	v_not_b32_e32 v212, v214
	v_xor_b32_e32 v217, s22, v217
	v_cmp_gt_i32_e64 s22, 0, v214
	v_and_b32_e32 v39, exec_lo, v39
	v_not_b32_e32 v214, v215
	v_ashrrev_i32_e32 v212, 31, v212
	v_xor_b32_e32 v42, vcc_lo, v42
	v_cmp_gt_i32_e32 vcc_lo, 0, v215
	v_and_b32_e32 v39, v39, v217
	v_not_b32_e32 v215, v216
	v_ashrrev_i32_e32 v214, 31, v214
	v_xor_b32_e32 v212, s22, v212
	v_cmp_gt_i32_e64 s22, 0, v216
	v_and_b32_e32 v39, v39, v42
	v_not_b32_e32 v42, v213
	v_ashrrev_i32_e32 v215, 31, v215
	v_xor_b32_e32 v214, vcc_lo, v214
	v_cmp_gt_i32_e32 vcc_lo, 0, v213
	v_and_b32_e32 v39, v39, v212
	v_ashrrev_i32_e32 v42, 31, v42
	v_xor_b32_e32 v212, s22, v215
	v_mad_u32_u24 v213, v40, 36, v135
	v_mul_u32_u24_e32 v40, 36, v40
	v_and_b32_e32 v39, v39, v214
	v_xor_b32_e32 v42, vcc_lo, v42
	ds_read_b32 v213, v213 offset:544
	v_add_nc_u32_e32 v215, v135, v40
	v_and_b32_e32 v39, v39, v212
	; wave barrier
	v_and_b32_e32 v39, v39, v42
	v_mbcnt_lo_u32_b32 v214, v39, 0
	v_cmp_ne_u32_e64 s22, 0, v39
	v_cmp_eq_u32_e32 vcc_lo, 0, v214
	s_and_b32 s23, s22, vcc_lo
	s_and_saveexec_b32 s22, s23
	s_cbranch_execz .LBB1016_1100
; %bb.1099:                             ;   in Loop: Header=BB1016_1032 Depth=2
	s_waitcnt lgkmcnt(0)
	v_bcnt_u32_b32 v39, v39, v213
	ds_write_b32 v215, v39 offset:544
.LBB1016_1100:                          ;   in Loop: Header=BB1016_1032 Depth=2
	s_or_b32 exec_lo, exec_lo, s22
	v_xor_b32_e32 v212, 0xffff8000, v41
	; wave barrier
	v_lshrrev_b32_sdwa v39, s41, v212 dst_sel:DWORD dst_unused:UNUSED_PAD src0_sel:DWORD src1_sel:WORD_0
	v_and_b32_e32 v40, s62, v39
	v_and_b32_e32 v39, 1, v40
	v_lshlrev_b32_e32 v41, 30, v40
	v_lshlrev_b32_e32 v42, 29, v40
	;; [unrolled: 1-line block ×4, first 2 shown]
	v_add_co_u32 v39, s22, v39, -1
	v_cndmask_b32_e64 v216, 0, 1, s22
	v_not_b32_e32 v220, v41
	v_cmp_gt_i32_e64 s22, 0, v41
	v_not_b32_e32 v41, v42
	v_lshlrev_b32_e32 v219, 26, v40
	v_cmp_ne_u32_e32 vcc_lo, 0, v216
	v_ashrrev_i32_e32 v220, 31, v220
	v_lshlrev_b32_e32 v216, 25, v40
	v_ashrrev_i32_e32 v41, 31, v41
	v_xor_b32_e32 v39, vcc_lo, v39
	v_cmp_gt_i32_e32 vcc_lo, 0, v42
	v_not_b32_e32 v42, v217
	v_xor_b32_e32 v220, s22, v220
	v_cmp_gt_i32_e64 s22, 0, v217
	v_and_b32_e32 v39, exec_lo, v39
	v_not_b32_e32 v217, v218
	v_ashrrev_i32_e32 v42, 31, v42
	v_xor_b32_e32 v41, vcc_lo, v41
	v_cmp_gt_i32_e32 vcc_lo, 0, v218
	v_and_b32_e32 v39, v39, v220
	v_not_b32_e32 v218, v219
	v_ashrrev_i32_e32 v217, 31, v217
	v_xor_b32_e32 v42, s22, v42
	v_cmp_gt_i32_e64 s22, 0, v219
	v_and_b32_e32 v39, v39, v41
	v_not_b32_e32 v41, v216
	v_ashrrev_i32_e32 v218, 31, v218
	v_xor_b32_e32 v217, vcc_lo, v217
	v_cmp_gt_i32_e32 vcc_lo, 0, v216
	v_and_b32_e32 v39, v39, v42
	v_ashrrev_i32_e32 v41, 31, v41
	v_xor_b32_e32 v42, s22, v218
	v_mad_u32_u24 v216, v40, 36, v135
	v_mul_u32_u24_e32 v40, 36, v40
	v_and_b32_e32 v39, v39, v217
	v_xor_b32_e32 v41, vcc_lo, v41
	ds_read_b32 v216, v216 offset:544
	v_add_nc_u32_e32 v218, v135, v40
	v_and_b32_e32 v39, v39, v42
	; wave barrier
	v_and_b32_e32 v39, v39, v41
	v_mbcnt_lo_u32_b32 v217, v39, 0
	v_cmp_ne_u32_e64 s22, 0, v39
	v_cmp_eq_u32_e32 vcc_lo, 0, v217
	s_and_b32 s23, s22, vcc_lo
	s_and_saveexec_b32 s22, s23
	s_cbranch_execz .LBB1016_1102
; %bb.1101:                             ;   in Loop: Header=BB1016_1032 Depth=2
	s_waitcnt lgkmcnt(0)
	v_bcnt_u32_b32 v39, v39, v216
	ds_write_b32 v218, v39 offset:544
.LBB1016_1102:                          ;   in Loop: Header=BB1016_1032 Depth=2
	s_or_b32 exec_lo, exec_lo, s22
	v_lshrrev_b32_sdwa v39, s41, v3 dst_sel:DWORD dst_unused:UNUSED_PAD src0_sel:DWORD src1_sel:WORD_0
	; wave barrier
	v_and_b32_e32 v40, s62, v39
	v_and_b32_e32 v39, 1, v40
	v_lshlrev_b32_e32 v41, 30, v40
	v_lshlrev_b32_e32 v42, 29, v40
	;; [unrolled: 1-line block ×4, first 2 shown]
	v_add_co_u32 v39, s22, v39, -1
	v_cndmask_b32_e64 v219, 0, 1, s22
	v_not_b32_e32 v223, v41
	v_cmp_gt_i32_e64 s22, 0, v41
	v_not_b32_e32 v41, v42
	v_lshlrev_b32_e32 v222, 26, v40
	v_cmp_ne_u32_e32 vcc_lo, 0, v219
	v_ashrrev_i32_e32 v223, 31, v223
	v_lshlrev_b32_e32 v219, 25, v40
	v_ashrrev_i32_e32 v41, 31, v41
	v_xor_b32_e32 v39, vcc_lo, v39
	v_cmp_gt_i32_e32 vcc_lo, 0, v42
	v_not_b32_e32 v42, v220
	v_xor_b32_e32 v223, s22, v223
	v_cmp_gt_i32_e64 s22, 0, v220
	v_and_b32_e32 v39, exec_lo, v39
	v_not_b32_e32 v220, v221
	v_ashrrev_i32_e32 v42, 31, v42
	v_xor_b32_e32 v41, vcc_lo, v41
	v_cmp_gt_i32_e32 vcc_lo, 0, v221
	v_and_b32_e32 v39, v39, v223
	v_not_b32_e32 v221, v222
	v_ashrrev_i32_e32 v220, 31, v220
	v_xor_b32_e32 v42, s22, v42
	v_cmp_gt_i32_e64 s22, 0, v222
	v_and_b32_e32 v39, v39, v41
	v_not_b32_e32 v41, v219
	v_ashrrev_i32_e32 v221, 31, v221
	v_xor_b32_e32 v220, vcc_lo, v220
	v_cmp_gt_i32_e32 vcc_lo, 0, v219
	v_and_b32_e32 v39, v39, v42
	v_ashrrev_i32_e32 v41, 31, v41
	v_xor_b32_e32 v42, s22, v221
	v_mad_u32_u24 v219, v40, 36, v135
	v_mul_u32_u24_e32 v40, 36, v40
	v_and_b32_e32 v39, v39, v220
	v_xor_b32_e32 v41, vcc_lo, v41
	ds_read_b32 v219, v219 offset:544
	v_add_nc_u32_e32 v221, v135, v40
	v_and_b32_e32 v39, v39, v42
	; wave barrier
	v_and_b32_e32 v39, v39, v41
	v_mbcnt_lo_u32_b32 v220, v39, 0
	v_cmp_ne_u32_e64 s22, 0, v39
	v_cmp_eq_u32_e32 vcc_lo, 0, v220
	s_and_b32 s23, s22, vcc_lo
	s_and_saveexec_b32 s22, s23
	s_cbranch_execz .LBB1016_1104
; %bb.1103:                             ;   in Loop: Header=BB1016_1032 Depth=2
	s_waitcnt lgkmcnt(0)
	v_bcnt_u32_b32 v39, v39, v219
	ds_write_b32 v221, v39 offset:544
.LBB1016_1104:                          ;   in Loop: Header=BB1016_1032 Depth=2
	s_or_b32 exec_lo, exec_lo, s22
	; wave barrier
	s_waitcnt lgkmcnt(0)
	s_barrier
	buffer_gl0_inv
	ds_read2_b32 v[41:42], v68 offset0:136 offset1:137
	ds_read2_b32 v[39:40], v68 offset0:138 offset1:139
	ds_read_b32 v222, v68 offset:560
	s_waitcnt lgkmcnt(1)
	v_add3_u32 v223, v42, v41, v39
	s_waitcnt lgkmcnt(0)
	v_add3_u32 v222, v223, v40, v222
	v_mov_b32_dpp v223, v222 row_shr:1 row_mask:0xf bank_mask:0xf
	v_cndmask_b32_e64 v223, v223, 0, s5
	v_add_nc_u32_e32 v222, v223, v222
	v_mov_b32_dpp v223, v222 row_shr:2 row_mask:0xf bank_mask:0xf
	v_cndmask_b32_e64 v223, 0, v223, s15
	v_add_nc_u32_e32 v222, v222, v223
	;; [unrolled: 3-line block ×4, first 2 shown]
	ds_swizzle_b32 v223, v222 offset:swizzle(BROADCAST,32,15)
	s_waitcnt lgkmcnt(0)
	v_cndmask_b32_e64 v223, v223, 0, s18
	v_add_nc_u32_e32 v222, v222, v223
	s_and_saveexec_b32 s22, s4
; %bb.1105:                             ;   in Loop: Header=BB1016_1032 Depth=2
	ds_write_b32 v62, v222 offset:512
; %bb.1106:                             ;   in Loop: Header=BB1016_1032 Depth=2
	s_or_b32 exec_lo, exec_lo, s22
	s_waitcnt lgkmcnt(0)
	s_barrier
	buffer_gl0_inv
	s_and_saveexec_b32 s22, s11
	s_cbranch_execz .LBB1016_1108
; %bb.1107:                             ;   in Loop: Header=BB1016_1032 Depth=2
	ds_read_b32 v223, v69 offset:512
	s_waitcnt lgkmcnt(0)
	v_mov_b32_dpp v224, v223 row_shr:1 row_mask:0xf bank_mask:0xf
	v_cndmask_b32_e64 v224, v224, 0, s19
	v_add_nc_u32_e32 v223, v224, v223
	v_mov_b32_dpp v224, v223 row_shr:2 row_mask:0xf bank_mask:0xf
	v_cndmask_b32_e64 v224, 0, v224, s20
	v_add_nc_u32_e32 v223, v223, v224
	v_mov_b32_dpp v224, v223 row_shr:4 row_mask:0xf bank_mask:0xf
	v_cndmask_b32_e64 v224, 0, v224, s21
	v_add_nc_u32_e32 v223, v223, v224
	ds_write_b32 v69, v223 offset:512
.LBB1016_1108:                          ;   in Loop: Header=BB1016_1032 Depth=2
	s_or_b32 exec_lo, exec_lo, s22
	v_mov_b32_e32 v223, 0
	s_waitcnt lgkmcnt(0)
	s_barrier
	buffer_gl0_inv
	s_and_saveexec_b32 s22, s10
; %bb.1109:                             ;   in Loop: Header=BB1016_1032 Depth=2
	ds_read_b32 v223, v62 offset:508
; %bb.1110:                             ;   in Loop: Header=BB1016_1032 Depth=2
	s_or_b32 exec_lo, exec_lo, s22
	s_waitcnt lgkmcnt(0)
	v_add_nc_u32_e32 v222, v223, v222
	ds_bpermute_b32 v222, v125, v222
	s_waitcnt lgkmcnt(0)
	v_cndmask_b32_e64 v222, v222, v223, s14
	v_cndmask_b32_e64 v222, v222, 0, s12
	v_add_nc_u32_e32 v41, v222, v41
	v_add_nc_u32_e32 v42, v41, v42
	;; [unrolled: 1-line block ×4, first 2 shown]
	ds_write2_b32 v68, v222, v41 offset0:136 offset1:137
	ds_write2_b32 v68, v42, v39 offset0:138 offset1:139
	ds_write_b32 v68, v40 offset:560
	s_waitcnt lgkmcnt(0)
	s_barrier
	buffer_gl0_inv
	ds_read_b32 v41, v159 offset:544
	ds_read_b32 v42, v163 offset:544
	;; [unrolled: 1-line block ×17, first 2 shown]
	s_and_saveexec_b32 s22, s7
	s_cbranch_execz .LBB1016_1114
; %bb.1111:                             ;   in Loop: Header=BB1016_1032 Depth=2
	ds_read_b32 v151, v71 offset:544
	v_mov_b32_e32 v154, 0x1100
	s_and_saveexec_b32 s23, s13
; %bb.1112:                             ;   in Loop: Header=BB1016_1032 Depth=2
	ds_read_b32 v154, v70 offset:544
; %bb.1113:                             ;   in Loop: Header=BB1016_1032 Depth=2
	s_or_b32 exec_lo, exec_lo, s23
	s_waitcnt lgkmcnt(0)
	v_sub_nc_u32_e32 v154, v154, v151
.LBB1016_1114:                          ;   in Loop: Header=BB1016_1032 Depth=2
	s_or_b32 exec_lo, exec_lo, s22
	s_waitcnt lgkmcnt(0)
	s_barrier
	buffer_gl0_inv
	s_and_saveexec_b32 s22, s7
	s_cbranch_execz .LBB1016_1116
; %bb.1115:                             ;   in Loop: Header=BB1016_1032 Depth=2
	ds_read_b32 v168, v43
	s_waitcnt lgkmcnt(0)
	v_sub_nc_u32_e32 v168, v168, v151
	ds_write_b32 v43, v168
.LBB1016_1116:                          ;   in Loop: Header=BB1016_1032 Depth=2
	s_or_b32 exec_lo, exec_lo, s22
	v_add_nc_u32_e32 v178, v41, v158
	v_add3_u32 v177, v162, v161, v42
	v_add3_u32 v173, v166, v165, v163
	v_add3_u32 v172, v171, v170, v167
	v_add3_u32 v171, v176, v175, v222
	v_add3_u32 v168, v186, v185, v188
	v_lshlrev_b32_e32 v175, 1, v178
	v_lshlrev_b32_e32 v176, 1, v177
	v_add3_u32 v161, v217, v216, v39
	v_lshlrev_b32_e32 v39, 1, v173
	v_add3_u32 v170, v181, v180, v183
	v_add3_u32 v167, v191, v190, v192
	;; [unrolled: 1-line block ×4, first 2 shown]
	ds_write_b16 v175, v156 offset:512
	ds_write_b16 v176, v157 offset:512
	v_lshlrev_b32_e32 v40, 1, v172
	ds_write_b16 v39, v160 offset:512
	v_lshlrev_b32_e32 v39, 1, v168
	v_add3_u32 v165, v197, v196, v198
	v_lshlrev_b32_e32 v156, 1, v171
	v_add3_u32 v163, v201, v200, v202
	;; [unrolled: 2-line block ×3, first 2 shown]
	v_add3_u32 v42, v208, v207, v224
	ds_write_b16 v40, v164 offset:512
	ds_write_b16 v156, v169 offset:512
	;; [unrolled: 1-line block ×3, first 2 shown]
	v_lshlrev_b32_e32 v40, 1, v167
	ds_write_b16 v39, v179 offset:512
	v_lshlrev_b32_e32 v39, 1, v166
	v_lshlrev_b32_e32 v156, 1, v165
	;; [unrolled: 1-line block ×3, first 2 shown]
	v_add3_u32 v41, v211, v210, v225
	ds_write_b16 v40, v184 offset:512
	v_lshlrev_b32_e32 v40, 1, v162
	ds_write_b16 v39, v189 offset:512
	ds_write_b16 v156, v187 offset:512
	;; [unrolled: 1-line block ×3, first 2 shown]
	v_lshlrev_b32_e32 v39, 1, v42
	v_add3_u32 v159, v214, v213, v159
	v_cmp_lt_u32_e32 vcc_lo, v0, v155
	ds_write_b16 v40, v199 offset:512
	v_lshlrev_b32_e32 v40, 1, v41
	ds_write_b16 v39, v203 offset:512
	v_lshlrev_b32_e32 v39, 1, v158
	v_lshlrev_b32_e32 v156, 1, v159
	;; [unrolled: 1-line block ×3, first 2 shown]
	ds_write_b16 v40, v206 offset:512
	ds_write_b16 v156, v209 offset:512
	;; [unrolled: 1-line block ×4, first 2 shown]
	s_waitcnt lgkmcnt(0)
	s_barrier
	buffer_gl0_inv
	s_and_saveexec_b32 s23, vcc_lo
	s_cbranch_execnz .LBB1016_1189
; %bb.1117:                             ;   in Loop: Header=BB1016_1032 Depth=2
	s_or_b32 exec_lo, exec_lo, s23
	v_cmp_lt_u32_e64 s22, v44, v155
	s_and_saveexec_b32 s24, s22
	s_cbranch_execnz .LBB1016_1190
.LBB1016_1118:                          ;   in Loop: Header=BB1016_1032 Depth=2
	s_or_b32 exec_lo, exec_lo, s24
	v_cmp_lt_u32_e64 s23, v47, v155
	s_and_saveexec_b32 s25, s23
	s_cbranch_execnz .LBB1016_1191
.LBB1016_1119:                          ;   in Loop: Header=BB1016_1032 Depth=2
	s_or_b32 exec_lo, exec_lo, s25
	v_cmp_lt_u32_e64 s24, v48, v155
	s_and_saveexec_b32 s26, s24
	s_cbranch_execnz .LBB1016_1192
.LBB1016_1120:                          ;   in Loop: Header=BB1016_1032 Depth=2
	s_or_b32 exec_lo, exec_lo, s26
	v_cmp_lt_u32_e64 s25, v49, v155
	s_and_saveexec_b32 s27, s25
	s_cbranch_execnz .LBB1016_1193
.LBB1016_1121:                          ;   in Loop: Header=BB1016_1032 Depth=2
	s_or_b32 exec_lo, exec_lo, s27
	v_cmp_lt_u32_e64 s26, v50, v155
	s_and_saveexec_b32 s29, s26
	s_cbranch_execnz .LBB1016_1194
.LBB1016_1122:                          ;   in Loop: Header=BB1016_1032 Depth=2
	s_or_b32 exec_lo, exec_lo, s29
	v_cmp_lt_u32_e64 s27, v51, v155
	s_and_saveexec_b32 s30, s27
	s_cbranch_execnz .LBB1016_1195
.LBB1016_1123:                          ;   in Loop: Header=BB1016_1032 Depth=2
	s_or_b32 exec_lo, exec_lo, s30
	v_cmp_lt_u32_e64 s29, v52, v155
	s_and_saveexec_b32 s31, s29
	s_cbranch_execnz .LBB1016_1196
.LBB1016_1124:                          ;   in Loop: Header=BB1016_1032 Depth=2
	s_or_b32 exec_lo, exec_lo, s31
	v_cmp_lt_u32_e64 s30, v53, v155
	s_and_saveexec_b32 s33, s30
	s_cbranch_execnz .LBB1016_1197
.LBB1016_1125:                          ;   in Loop: Header=BB1016_1032 Depth=2
	s_or_b32 exec_lo, exec_lo, s33
	v_cmp_lt_u32_e64 s31, v54, v155
	s_and_saveexec_b32 s34, s31
	s_cbranch_execnz .LBB1016_1198
.LBB1016_1126:                          ;   in Loop: Header=BB1016_1032 Depth=2
	s_or_b32 exec_lo, exec_lo, s34
	v_cmp_lt_u32_e64 s33, v55, v155
	s_and_saveexec_b32 s35, s33
	s_cbranch_execnz .LBB1016_1199
.LBB1016_1127:                          ;   in Loop: Header=BB1016_1032 Depth=2
	s_or_b32 exec_lo, exec_lo, s35
	v_cmp_lt_u32_e64 s34, v56, v155
	s_and_saveexec_b32 s36, s34
	s_cbranch_execnz .LBB1016_1200
.LBB1016_1128:                          ;   in Loop: Header=BB1016_1032 Depth=2
	s_or_b32 exec_lo, exec_lo, s36
	v_cmp_lt_u32_e64 s35, v57, v155
	s_and_saveexec_b32 s37, s35
	s_cbranch_execnz .LBB1016_1201
.LBB1016_1129:                          ;   in Loop: Header=BB1016_1032 Depth=2
	s_or_b32 exec_lo, exec_lo, s37
	v_cmp_lt_u32_e64 s36, v58, v155
	s_and_saveexec_b32 s38, s36
	s_cbranch_execnz .LBB1016_1202
.LBB1016_1130:                          ;   in Loop: Header=BB1016_1032 Depth=2
	s_or_b32 exec_lo, exec_lo, s38
	v_cmp_lt_u32_e64 s37, v59, v155
	s_and_saveexec_b32 s39, s37
	s_cbranch_execnz .LBB1016_1203
.LBB1016_1131:                          ;   in Loop: Header=BB1016_1032 Depth=2
	s_or_b32 exec_lo, exec_lo, s39
	v_cmp_lt_u32_e64 s38, v60, v155
	s_and_saveexec_b32 s40, s38
	s_cbranch_execnz .LBB1016_1204
.LBB1016_1132:                          ;   in Loop: Header=BB1016_1032 Depth=2
	s_or_b32 exec_lo, exec_lo, s40
	v_cmp_lt_u32_e64 s39, v61, v155
	s_and_saveexec_b32 s65, s39
	s_cbranch_execz .LBB1016_1134
.LBB1016_1133:                          ;   in Loop: Header=BB1016_1032 Depth=2
	ds_read_u16 v156, v74 offset:8704
	s_waitcnt lgkmcnt(0)
	v_lshrrev_b32_sdwa v3, s41, v156 dst_sel:DWORD dst_unused:UNUSED_PAD src0_sel:DWORD src1_sel:WORD_0
	v_and_b32_e32 v3, s62, v3
	v_lshlrev_b32_e32 v3, 2, v3
	ds_read_b32 v3, v3
	s_waitcnt lgkmcnt(0)
	v_add_nc_u32_e32 v3, v3, v61
	v_lshlrev_b64 v[39:40], 1, v[3:4]
	v_xor_b32_e32 v3, 0xffff8000, v156
	v_add_co_u32 v39, s40, s48, v39
	v_add_co_ci_u32_e64 v40, null, s49, v40, s40
	global_store_short v[39:40], v3, off
.LBB1016_1134:                          ;   in Loop: Header=BB1016_1032 Depth=2
	s_or_b32 exec_lo, exec_lo, s65
	s_lshl_b64 s[66:67], s[50:51], 3
	v_add_co_u32 v39, s40, v126, s66
	v_add_co_ci_u32_e64 v40, null, s67, v127, s40
	v_cmp_lt_u32_e64 s40, v94, v155
	s_and_saveexec_b32 s50, s40
	s_xor_b32 s40, exec_lo, s50
	s_cbranch_execnz .LBB1016_1205
; %bb.1135:                             ;   in Loop: Header=BB1016_1032 Depth=2
	s_or_b32 exec_lo, exec_lo, s40
	s_mov_b32 s50, exec_lo
	v_cmpx_lt_u32_e64 v98, v155
	s_cbranch_execnz .LBB1016_1206
.LBB1016_1136:                          ;   in Loop: Header=BB1016_1032 Depth=2
	s_or_b32 exec_lo, exec_lo, s50
	s_mov_b32 s50, exec_lo
	v_cmpx_lt_u32_e64 v99, v155
	s_cbranch_execnz .LBB1016_1207
.LBB1016_1137:                          ;   in Loop: Header=BB1016_1032 Depth=2
	s_or_b32 exec_lo, exec_lo, s50
	s_mov_b32 s50, exec_lo
	v_cmpx_lt_u32_e64 v100, v155
	s_cbranch_execnz .LBB1016_1208
.LBB1016_1138:                          ;   in Loop: Header=BB1016_1032 Depth=2
	s_or_b32 exec_lo, exec_lo, s50
	s_mov_b32 s50, exec_lo
	v_cmpx_lt_u32_e64 v101, v155
	s_cbranch_execnz .LBB1016_1209
.LBB1016_1139:                          ;   in Loop: Header=BB1016_1032 Depth=2
	s_or_b32 exec_lo, exec_lo, s50
	s_mov_b32 s50, exec_lo
	v_cmpx_lt_u32_e64 v102, v155
	s_cbranch_execnz .LBB1016_1210
.LBB1016_1140:                          ;   in Loop: Header=BB1016_1032 Depth=2
	s_or_b32 exec_lo, exec_lo, s50
	s_mov_b32 s50, exec_lo
	v_cmpx_lt_u32_e64 v103, v155
	s_cbranch_execnz .LBB1016_1211
.LBB1016_1141:                          ;   in Loop: Header=BB1016_1032 Depth=2
	s_or_b32 exec_lo, exec_lo, s50
	s_mov_b32 s50, exec_lo
	v_cmpx_lt_u32_e64 v104, v155
	s_cbranch_execnz .LBB1016_1212
.LBB1016_1142:                          ;   in Loop: Header=BB1016_1032 Depth=2
	s_or_b32 exec_lo, exec_lo, s50
	s_mov_b32 s50, exec_lo
	v_cmpx_lt_u32_e64 v105, v155
	s_cbranch_execnz .LBB1016_1213
.LBB1016_1143:                          ;   in Loop: Header=BB1016_1032 Depth=2
	s_or_b32 exec_lo, exec_lo, s50
	s_mov_b32 s50, exec_lo
	v_cmpx_lt_u32_e64 v106, v155
	s_cbranch_execnz .LBB1016_1214
.LBB1016_1144:                          ;   in Loop: Header=BB1016_1032 Depth=2
	s_or_b32 exec_lo, exec_lo, s50
	s_mov_b32 s50, exec_lo
	v_cmpx_lt_u32_e64 v107, v155
	s_cbranch_execnz .LBB1016_1215
.LBB1016_1145:                          ;   in Loop: Header=BB1016_1032 Depth=2
	s_or_b32 exec_lo, exec_lo, s50
	s_mov_b32 s50, exec_lo
	v_cmpx_lt_u32_e64 v108, v155
	s_cbranch_execnz .LBB1016_1216
.LBB1016_1146:                          ;   in Loop: Header=BB1016_1032 Depth=2
	s_or_b32 exec_lo, exec_lo, s50
	s_mov_b32 s50, exec_lo
	v_cmpx_lt_u32_e64 v128, v155
	s_cbranch_execnz .LBB1016_1217
.LBB1016_1147:                          ;   in Loop: Header=BB1016_1032 Depth=2
	s_or_b32 exec_lo, exec_lo, s50
	s_mov_b32 s50, exec_lo
	v_cmpx_lt_u32_e64 v129, v155
	s_cbranch_execnz .LBB1016_1218
.LBB1016_1148:                          ;   in Loop: Header=BB1016_1032 Depth=2
	s_or_b32 exec_lo, exec_lo, s50
	s_mov_b32 s50, exec_lo
	v_cmpx_lt_u32_e64 v130, v155
	s_cbranch_execnz .LBB1016_1219
.LBB1016_1149:                          ;   in Loop: Header=BB1016_1032 Depth=2
	s_or_b32 exec_lo, exec_lo, s50
	s_mov_b32 s50, exec_lo
	v_cmpx_lt_u32_e64 v131, v155
	s_cbranch_execnz .LBB1016_1220
.LBB1016_1150:                          ;   in Loop: Header=BB1016_1032 Depth=2
	s_or_b32 exec_lo, exec_lo, s50
	s_mov_b32 s50, exec_lo
	v_cmpx_lt_u32_e64 v132, v155
	s_cbranch_execnz .LBB1016_1221
.LBB1016_1151:                          ;   in Loop: Header=BB1016_1032 Depth=2
	s_or_b32 exec_lo, exec_lo, s50
	s_and_saveexec_b32 s40, vcc_lo
	s_cbranch_execnz .LBB1016_1222
.LBB1016_1152:                          ;   in Loop: Header=BB1016_1032 Depth=2
	s_or_b32 exec_lo, exec_lo, s40
	s_and_saveexec_b32 s40, s22
	s_cbranch_execnz .LBB1016_1223
.LBB1016_1153:                          ;   in Loop: Header=BB1016_1032 Depth=2
	s_or_b32 exec_lo, exec_lo, s40
	s_and_saveexec_b32 s40, s23
	s_cbranch_execnz .LBB1016_1224
.LBB1016_1154:                          ;   in Loop: Header=BB1016_1032 Depth=2
	s_or_b32 exec_lo, exec_lo, s40
	s_and_saveexec_b32 s40, s24
	s_cbranch_execnz .LBB1016_1225
.LBB1016_1155:                          ;   in Loop: Header=BB1016_1032 Depth=2
	s_or_b32 exec_lo, exec_lo, s40
	s_and_saveexec_b32 s40, s25
	s_cbranch_execnz .LBB1016_1226
.LBB1016_1156:                          ;   in Loop: Header=BB1016_1032 Depth=2
	s_or_b32 exec_lo, exec_lo, s40
	s_and_saveexec_b32 s40, s26
	s_cbranch_execnz .LBB1016_1227
.LBB1016_1157:                          ;   in Loop: Header=BB1016_1032 Depth=2
	s_or_b32 exec_lo, exec_lo, s40
	s_and_saveexec_b32 s40, s27
	s_cbranch_execnz .LBB1016_1228
.LBB1016_1158:                          ;   in Loop: Header=BB1016_1032 Depth=2
	s_or_b32 exec_lo, exec_lo, s40
	s_and_saveexec_b32 s40, s29
	s_cbranch_execnz .LBB1016_1229
.LBB1016_1159:                          ;   in Loop: Header=BB1016_1032 Depth=2
	s_or_b32 exec_lo, exec_lo, s40
	s_and_saveexec_b32 s40, s30
	s_cbranch_execnz .LBB1016_1230
.LBB1016_1160:                          ;   in Loop: Header=BB1016_1032 Depth=2
	s_or_b32 exec_lo, exec_lo, s40
	s_and_saveexec_b32 s40, s31
	s_cbranch_execnz .LBB1016_1231
.LBB1016_1161:                          ;   in Loop: Header=BB1016_1032 Depth=2
	s_or_b32 exec_lo, exec_lo, s40
	s_and_saveexec_b32 s40, s33
	s_cbranch_execnz .LBB1016_1232
.LBB1016_1162:                          ;   in Loop: Header=BB1016_1032 Depth=2
	s_or_b32 exec_lo, exec_lo, s40
	s_and_saveexec_b32 s40, s34
	s_cbranch_execnz .LBB1016_1233
.LBB1016_1163:                          ;   in Loop: Header=BB1016_1032 Depth=2
	s_or_b32 exec_lo, exec_lo, s40
	s_and_saveexec_b32 s40, s35
	s_cbranch_execnz .LBB1016_1234
.LBB1016_1164:                          ;   in Loop: Header=BB1016_1032 Depth=2
	s_or_b32 exec_lo, exec_lo, s40
	s_and_saveexec_b32 s40, s36
	s_cbranch_execnz .LBB1016_1235
.LBB1016_1165:                          ;   in Loop: Header=BB1016_1032 Depth=2
	s_or_b32 exec_lo, exec_lo, s40
	s_and_saveexec_b32 s40, s37
	s_cbranch_execnz .LBB1016_1236
.LBB1016_1166:                          ;   in Loop: Header=BB1016_1032 Depth=2
	s_or_b32 exec_lo, exec_lo, s40
	s_and_saveexec_b32 s40, s38
	s_cbranch_execnz .LBB1016_1237
.LBB1016_1167:                          ;   in Loop: Header=BB1016_1032 Depth=2
	s_or_b32 exec_lo, exec_lo, s40
	s_and_saveexec_b32 s40, s39
	s_cbranch_execz .LBB1016_1169
.LBB1016_1168:                          ;   in Loop: Header=BB1016_1032 Depth=2
	ds_read_u16 v3, v74 offset:8704
	s_waitcnt lgkmcnt(0)
	v_lshrrev_b32_e32 v3, s41, v3
	v_and_b32_e32 v136, s62, v3
.LBB1016_1169:                          ;   in Loop: Header=BB1016_1032 Depth=2
	s_or_b32 exec_lo, exec_lo, s40
	v_lshlrev_b32_e32 v3, 3, v178
	v_lshlrev_b32_e32 v39, 3, v177
	s_waitcnt vmcnt(0)
	s_waitcnt_vscnt null, 0x0
	s_barrier
	buffer_gl0_inv
	ds_write_b64 v3, v[37:38] offset:512
	v_lshlrev_b32_e32 v3, 3, v173
	ds_write_b64 v39, v[35:36] offset:512
	v_lshlrev_b32_e32 v39, 3, v172
	v_lshlrev_b32_e32 v40, 3, v171
	;; [unrolled: 1-line block ×3, first 2 shown]
	ds_write_b64 v3, v[33:34] offset:512
	v_lshlrev_b32_e32 v3, 3, v168
	ds_write_b64 v39, v[31:32] offset:512
	ds_write_b64 v40, v[29:30] offset:512
	;; [unrolled: 1-line block ×3, first 2 shown]
	v_lshlrev_b32_e32 v39, 3, v167
	v_lshlrev_b32_e32 v40, 3, v165
	;; [unrolled: 1-line block ×3, first 2 shown]
	ds_write_b64 v3, v[21:22] offset:512
	v_lshlrev_b32_e32 v3, 3, v166
	ds_write_b64 v39, v[17:18] offset:512
	v_lshlrev_b32_e32 v39, 3, v162
	ds_write_b64 v3, v[27:28] offset:512
	ds_write_b64 v40, v[23:24] offset:512
	;; [unrolled: 1-line block ×3, first 2 shown]
	v_lshlrev_b32_e32 v3, 3, v42
	ds_write_b64 v39, v[15:16] offset:512
	v_lshlrev_b32_e32 v39, 3, v41
	v_lshlrev_b32_e32 v40, 3, v159
	;; [unrolled: 1-line block ×3, first 2 shown]
	ds_write_b64 v3, v[13:14] offset:512
	v_lshlrev_b32_e32 v3, 3, v158
	ds_write_b64 v39, v[11:12] offset:512
	ds_write_b64 v40, v[9:10] offset:512
	;; [unrolled: 1-line block ×3, first 2 shown]
	v_add_nc_u32_e32 v39, v74, v75
	ds_write_b64 v3, v[5:6] offset:512
	s_waitcnt lgkmcnt(0)
	s_barrier
	buffer_gl0_inv
	s_and_saveexec_b32 s40, vcc_lo
	s_cbranch_execnz .LBB1016_1238
; %bb.1170:                             ;   in Loop: Header=BB1016_1032 Depth=2
	s_or_b32 exec_lo, exec_lo, s40
	s_and_saveexec_b32 s40, s22
	s_cbranch_execnz .LBB1016_1239
.LBB1016_1171:                          ;   in Loop: Header=BB1016_1032 Depth=2
	s_or_b32 exec_lo, exec_lo, s40
	s_and_saveexec_b32 s22, s23
	s_cbranch_execnz .LBB1016_1240
.LBB1016_1172:                          ;   in Loop: Header=BB1016_1032 Depth=2
	s_or_b32 exec_lo, exec_lo, s22
	s_and_saveexec_b32 s22, s24
	s_cbranch_execnz .LBB1016_1241
.LBB1016_1173:                          ;   in Loop: Header=BB1016_1032 Depth=2
	s_or_b32 exec_lo, exec_lo, s22
	s_and_saveexec_b32 s22, s25
	s_cbranch_execnz .LBB1016_1242
.LBB1016_1174:                          ;   in Loop: Header=BB1016_1032 Depth=2
	s_or_b32 exec_lo, exec_lo, s22
	s_and_saveexec_b32 s22, s26
	s_cbranch_execnz .LBB1016_1243
.LBB1016_1175:                          ;   in Loop: Header=BB1016_1032 Depth=2
	s_or_b32 exec_lo, exec_lo, s22
	s_and_saveexec_b32 s22, s27
	s_cbranch_execnz .LBB1016_1244
.LBB1016_1176:                          ;   in Loop: Header=BB1016_1032 Depth=2
	s_or_b32 exec_lo, exec_lo, s22
	s_and_saveexec_b32 s22, s29
	s_cbranch_execnz .LBB1016_1245
.LBB1016_1177:                          ;   in Loop: Header=BB1016_1032 Depth=2
	s_or_b32 exec_lo, exec_lo, s22
	s_and_saveexec_b32 s22, s30
	s_cbranch_execnz .LBB1016_1246
.LBB1016_1178:                          ;   in Loop: Header=BB1016_1032 Depth=2
	s_or_b32 exec_lo, exec_lo, s22
	s_and_saveexec_b32 s22, s31
	s_cbranch_execnz .LBB1016_1247
.LBB1016_1179:                          ;   in Loop: Header=BB1016_1032 Depth=2
	s_or_b32 exec_lo, exec_lo, s22
	s_and_saveexec_b32 s22, s33
	s_cbranch_execnz .LBB1016_1248
.LBB1016_1180:                          ;   in Loop: Header=BB1016_1032 Depth=2
	s_or_b32 exec_lo, exec_lo, s22
	s_and_saveexec_b32 s22, s34
	s_cbranch_execnz .LBB1016_1249
.LBB1016_1181:                          ;   in Loop: Header=BB1016_1032 Depth=2
	s_or_b32 exec_lo, exec_lo, s22
	s_and_saveexec_b32 s22, s35
	s_cbranch_execnz .LBB1016_1250
.LBB1016_1182:                          ;   in Loop: Header=BB1016_1032 Depth=2
	s_or_b32 exec_lo, exec_lo, s22
	s_and_saveexec_b32 s22, s36
	s_cbranch_execnz .LBB1016_1251
.LBB1016_1183:                          ;   in Loop: Header=BB1016_1032 Depth=2
	s_or_b32 exec_lo, exec_lo, s22
	s_and_saveexec_b32 s22, s37
	s_cbranch_execnz .LBB1016_1252
.LBB1016_1184:                          ;   in Loop: Header=BB1016_1032 Depth=2
	s_or_b32 exec_lo, exec_lo, s22
	s_and_saveexec_b32 s22, s38
	s_cbranch_execnz .LBB1016_1253
.LBB1016_1185:                          ;   in Loop: Header=BB1016_1032 Depth=2
	s_or_b32 exec_lo, exec_lo, s22
	s_and_saveexec_b32 s22, s39
	s_cbranch_execz .LBB1016_1187
.LBB1016_1186:                          ;   in Loop: Header=BB1016_1032 Depth=2
	v_lshlrev_b32_e32 v3, 2, v136
	ds_read_b32 v3, v3
	ds_read_b64 v[39:40], v39 offset:33280
	s_waitcnt lgkmcnt(1)
	v_add_nc_u32_e32 v3, v3, v61
	v_lshlrev_b64 v[41:42], 3, v[3:4]
	v_add_co_u32 v41, vcc_lo, s54, v41
	v_add_co_ci_u32_e64 v42, null, s55, v42, vcc_lo
	s_waitcnt lgkmcnt(0)
	global_store_dwordx2 v[41:42], v[39:40], off
.LBB1016_1187:                          ;   in Loop: Header=BB1016_1032 Depth=2
	s_or_b32 exec_lo, exec_lo, s22
	s_waitcnt_vscnt null, 0x0
	s_barrier
	buffer_gl0_inv
	s_and_saveexec_b32 s22, s7
	s_cbranch_execz .LBB1016_1031
; %bb.1188:                             ;   in Loop: Header=BB1016_1032 Depth=2
	ds_read_b32 v3, v43
	s_waitcnt lgkmcnt(0)
	v_add3_u32 v3, v151, v154, v3
	ds_write_b32 v43, v3
	s_branch .LBB1016_1031
.LBB1016_1189:                          ;   in Loop: Header=BB1016_1032 Depth=2
	ds_read_u16 v156, v74 offset:512
	s_waitcnt lgkmcnt(0)
	v_lshrrev_b32_sdwa v3, s41, v156 dst_sel:DWORD dst_unused:UNUSED_PAD src0_sel:DWORD src1_sel:WORD_0
	v_and_b32_e32 v3, s62, v3
	v_lshlrev_b32_e32 v3, 2, v3
	ds_read_b32 v3, v3
	s_waitcnt lgkmcnt(0)
	v_add_nc_u32_e32 v3, v3, v0
	v_lshlrev_b64 v[39:40], 1, v[3:4]
	v_xor_b32_e32 v3, 0xffff8000, v156
	v_add_co_u32 v39, s22, s48, v39
	v_add_co_ci_u32_e64 v40, null, s49, v40, s22
	global_store_short v[39:40], v3, off
	s_or_b32 exec_lo, exec_lo, s23
	v_cmp_lt_u32_e64 s22, v44, v155
	s_and_saveexec_b32 s24, s22
	s_cbranch_execz .LBB1016_1118
.LBB1016_1190:                          ;   in Loop: Header=BB1016_1032 Depth=2
	ds_read_u16 v156, v74 offset:1024
	s_waitcnt lgkmcnt(0)
	v_lshrrev_b32_sdwa v3, s41, v156 dst_sel:DWORD dst_unused:UNUSED_PAD src0_sel:DWORD src1_sel:WORD_0
	v_and_b32_e32 v3, s62, v3
	v_lshlrev_b32_e32 v3, 2, v3
	ds_read_b32 v3, v3
	s_waitcnt lgkmcnt(0)
	v_add_nc_u32_e32 v3, v3, v44
	v_lshlrev_b64 v[39:40], 1, v[3:4]
	v_xor_b32_e32 v3, 0xffff8000, v156
	v_add_co_u32 v39, s23, s48, v39
	v_add_co_ci_u32_e64 v40, null, s49, v40, s23
	global_store_short v[39:40], v3, off
	s_or_b32 exec_lo, exec_lo, s24
	v_cmp_lt_u32_e64 s23, v47, v155
	s_and_saveexec_b32 s25, s23
	s_cbranch_execz .LBB1016_1119
.LBB1016_1191:                          ;   in Loop: Header=BB1016_1032 Depth=2
	ds_read_u16 v156, v74 offset:1536
	s_waitcnt lgkmcnt(0)
	v_lshrrev_b32_sdwa v3, s41, v156 dst_sel:DWORD dst_unused:UNUSED_PAD src0_sel:DWORD src1_sel:WORD_0
	v_and_b32_e32 v3, s62, v3
	v_lshlrev_b32_e32 v3, 2, v3
	ds_read_b32 v3, v3
	s_waitcnt lgkmcnt(0)
	v_add_nc_u32_e32 v3, v3, v47
	v_lshlrev_b64 v[39:40], 1, v[3:4]
	v_xor_b32_e32 v3, 0xffff8000, v156
	v_add_co_u32 v39, s24, s48, v39
	v_add_co_ci_u32_e64 v40, null, s49, v40, s24
	global_store_short v[39:40], v3, off
	s_or_b32 exec_lo, exec_lo, s25
	v_cmp_lt_u32_e64 s24, v48, v155
	s_and_saveexec_b32 s26, s24
	s_cbranch_execz .LBB1016_1120
.LBB1016_1192:                          ;   in Loop: Header=BB1016_1032 Depth=2
	ds_read_u16 v156, v74 offset:2048
	s_waitcnt lgkmcnt(0)
	v_lshrrev_b32_sdwa v3, s41, v156 dst_sel:DWORD dst_unused:UNUSED_PAD src0_sel:DWORD src1_sel:WORD_0
	v_and_b32_e32 v3, s62, v3
	v_lshlrev_b32_e32 v3, 2, v3
	ds_read_b32 v3, v3
	s_waitcnt lgkmcnt(0)
	v_add_nc_u32_e32 v3, v3, v48
	v_lshlrev_b64 v[39:40], 1, v[3:4]
	v_xor_b32_e32 v3, 0xffff8000, v156
	v_add_co_u32 v39, s25, s48, v39
	v_add_co_ci_u32_e64 v40, null, s49, v40, s25
	global_store_short v[39:40], v3, off
	s_or_b32 exec_lo, exec_lo, s26
	v_cmp_lt_u32_e64 s25, v49, v155
	s_and_saveexec_b32 s27, s25
	s_cbranch_execz .LBB1016_1121
.LBB1016_1193:                          ;   in Loop: Header=BB1016_1032 Depth=2
	ds_read_u16 v156, v74 offset:2560
	s_waitcnt lgkmcnt(0)
	v_lshrrev_b32_sdwa v3, s41, v156 dst_sel:DWORD dst_unused:UNUSED_PAD src0_sel:DWORD src1_sel:WORD_0
	v_and_b32_e32 v3, s62, v3
	v_lshlrev_b32_e32 v3, 2, v3
	ds_read_b32 v3, v3
	s_waitcnt lgkmcnt(0)
	v_add_nc_u32_e32 v3, v3, v49
	v_lshlrev_b64 v[39:40], 1, v[3:4]
	v_xor_b32_e32 v3, 0xffff8000, v156
	v_add_co_u32 v39, s26, s48, v39
	v_add_co_ci_u32_e64 v40, null, s49, v40, s26
	global_store_short v[39:40], v3, off
	s_or_b32 exec_lo, exec_lo, s27
	v_cmp_lt_u32_e64 s26, v50, v155
	s_and_saveexec_b32 s29, s26
	s_cbranch_execz .LBB1016_1122
.LBB1016_1194:                          ;   in Loop: Header=BB1016_1032 Depth=2
	ds_read_u16 v156, v74 offset:3072
	s_waitcnt lgkmcnt(0)
	v_lshrrev_b32_sdwa v3, s41, v156 dst_sel:DWORD dst_unused:UNUSED_PAD src0_sel:DWORD src1_sel:WORD_0
	v_and_b32_e32 v3, s62, v3
	v_lshlrev_b32_e32 v3, 2, v3
	ds_read_b32 v3, v3
	s_waitcnt lgkmcnt(0)
	v_add_nc_u32_e32 v3, v3, v50
	v_lshlrev_b64 v[39:40], 1, v[3:4]
	v_xor_b32_e32 v3, 0xffff8000, v156
	v_add_co_u32 v39, s27, s48, v39
	v_add_co_ci_u32_e64 v40, null, s49, v40, s27
	global_store_short v[39:40], v3, off
	s_or_b32 exec_lo, exec_lo, s29
	v_cmp_lt_u32_e64 s27, v51, v155
	s_and_saveexec_b32 s30, s27
	s_cbranch_execz .LBB1016_1123
.LBB1016_1195:                          ;   in Loop: Header=BB1016_1032 Depth=2
	ds_read_u16 v156, v74 offset:3584
	s_waitcnt lgkmcnt(0)
	v_lshrrev_b32_sdwa v3, s41, v156 dst_sel:DWORD dst_unused:UNUSED_PAD src0_sel:DWORD src1_sel:WORD_0
	v_and_b32_e32 v3, s62, v3
	v_lshlrev_b32_e32 v3, 2, v3
	ds_read_b32 v3, v3
	s_waitcnt lgkmcnt(0)
	v_add_nc_u32_e32 v3, v3, v51
	v_lshlrev_b64 v[39:40], 1, v[3:4]
	v_xor_b32_e32 v3, 0xffff8000, v156
	v_add_co_u32 v39, s29, s48, v39
	v_add_co_ci_u32_e64 v40, null, s49, v40, s29
	global_store_short v[39:40], v3, off
	s_or_b32 exec_lo, exec_lo, s30
	v_cmp_lt_u32_e64 s29, v52, v155
	s_and_saveexec_b32 s31, s29
	s_cbranch_execz .LBB1016_1124
.LBB1016_1196:                          ;   in Loop: Header=BB1016_1032 Depth=2
	ds_read_u16 v156, v74 offset:4096
	s_waitcnt lgkmcnt(0)
	v_lshrrev_b32_sdwa v3, s41, v156 dst_sel:DWORD dst_unused:UNUSED_PAD src0_sel:DWORD src1_sel:WORD_0
	v_and_b32_e32 v3, s62, v3
	v_lshlrev_b32_e32 v3, 2, v3
	ds_read_b32 v3, v3
	s_waitcnt lgkmcnt(0)
	v_add_nc_u32_e32 v3, v3, v52
	v_lshlrev_b64 v[39:40], 1, v[3:4]
	v_xor_b32_e32 v3, 0xffff8000, v156
	v_add_co_u32 v39, s30, s48, v39
	v_add_co_ci_u32_e64 v40, null, s49, v40, s30
	global_store_short v[39:40], v3, off
	s_or_b32 exec_lo, exec_lo, s31
	v_cmp_lt_u32_e64 s30, v53, v155
	s_and_saveexec_b32 s33, s30
	s_cbranch_execz .LBB1016_1125
.LBB1016_1197:                          ;   in Loop: Header=BB1016_1032 Depth=2
	ds_read_u16 v156, v74 offset:4608
	s_waitcnt lgkmcnt(0)
	v_lshrrev_b32_sdwa v3, s41, v156 dst_sel:DWORD dst_unused:UNUSED_PAD src0_sel:DWORD src1_sel:WORD_0
	v_and_b32_e32 v3, s62, v3
	v_lshlrev_b32_e32 v3, 2, v3
	ds_read_b32 v3, v3
	s_waitcnt lgkmcnt(0)
	v_add_nc_u32_e32 v3, v3, v53
	v_lshlrev_b64 v[39:40], 1, v[3:4]
	v_xor_b32_e32 v3, 0xffff8000, v156
	v_add_co_u32 v39, s31, s48, v39
	v_add_co_ci_u32_e64 v40, null, s49, v40, s31
	global_store_short v[39:40], v3, off
	s_or_b32 exec_lo, exec_lo, s33
	v_cmp_lt_u32_e64 s31, v54, v155
	s_and_saveexec_b32 s34, s31
	s_cbranch_execz .LBB1016_1126
.LBB1016_1198:                          ;   in Loop: Header=BB1016_1032 Depth=2
	ds_read_u16 v156, v74 offset:5120
	s_waitcnt lgkmcnt(0)
	v_lshrrev_b32_sdwa v3, s41, v156 dst_sel:DWORD dst_unused:UNUSED_PAD src0_sel:DWORD src1_sel:WORD_0
	v_and_b32_e32 v3, s62, v3
	v_lshlrev_b32_e32 v3, 2, v3
	ds_read_b32 v3, v3
	s_waitcnt lgkmcnt(0)
	v_add_nc_u32_e32 v3, v3, v54
	v_lshlrev_b64 v[39:40], 1, v[3:4]
	v_xor_b32_e32 v3, 0xffff8000, v156
	v_add_co_u32 v39, s33, s48, v39
	v_add_co_ci_u32_e64 v40, null, s49, v40, s33
	global_store_short v[39:40], v3, off
	s_or_b32 exec_lo, exec_lo, s34
	v_cmp_lt_u32_e64 s33, v55, v155
	s_and_saveexec_b32 s35, s33
	s_cbranch_execz .LBB1016_1127
.LBB1016_1199:                          ;   in Loop: Header=BB1016_1032 Depth=2
	ds_read_u16 v156, v74 offset:5632
	s_waitcnt lgkmcnt(0)
	v_lshrrev_b32_sdwa v3, s41, v156 dst_sel:DWORD dst_unused:UNUSED_PAD src0_sel:DWORD src1_sel:WORD_0
	v_and_b32_e32 v3, s62, v3
	v_lshlrev_b32_e32 v3, 2, v3
	ds_read_b32 v3, v3
	s_waitcnt lgkmcnt(0)
	v_add_nc_u32_e32 v3, v3, v55
	v_lshlrev_b64 v[39:40], 1, v[3:4]
	v_xor_b32_e32 v3, 0xffff8000, v156
	v_add_co_u32 v39, s34, s48, v39
	v_add_co_ci_u32_e64 v40, null, s49, v40, s34
	global_store_short v[39:40], v3, off
	s_or_b32 exec_lo, exec_lo, s35
	v_cmp_lt_u32_e64 s34, v56, v155
	s_and_saveexec_b32 s36, s34
	s_cbranch_execz .LBB1016_1128
.LBB1016_1200:                          ;   in Loop: Header=BB1016_1032 Depth=2
	ds_read_u16 v156, v74 offset:6144
	s_waitcnt lgkmcnt(0)
	v_lshrrev_b32_sdwa v3, s41, v156 dst_sel:DWORD dst_unused:UNUSED_PAD src0_sel:DWORD src1_sel:WORD_0
	v_and_b32_e32 v3, s62, v3
	v_lshlrev_b32_e32 v3, 2, v3
	ds_read_b32 v3, v3
	s_waitcnt lgkmcnt(0)
	v_add_nc_u32_e32 v3, v3, v56
	v_lshlrev_b64 v[39:40], 1, v[3:4]
	v_xor_b32_e32 v3, 0xffff8000, v156
	v_add_co_u32 v39, s35, s48, v39
	v_add_co_ci_u32_e64 v40, null, s49, v40, s35
	global_store_short v[39:40], v3, off
	s_or_b32 exec_lo, exec_lo, s36
	v_cmp_lt_u32_e64 s35, v57, v155
	s_and_saveexec_b32 s37, s35
	s_cbranch_execz .LBB1016_1129
.LBB1016_1201:                          ;   in Loop: Header=BB1016_1032 Depth=2
	ds_read_u16 v156, v74 offset:6656
	s_waitcnt lgkmcnt(0)
	v_lshrrev_b32_sdwa v3, s41, v156 dst_sel:DWORD dst_unused:UNUSED_PAD src0_sel:DWORD src1_sel:WORD_0
	v_and_b32_e32 v3, s62, v3
	v_lshlrev_b32_e32 v3, 2, v3
	ds_read_b32 v3, v3
	s_waitcnt lgkmcnt(0)
	v_add_nc_u32_e32 v3, v3, v57
	v_lshlrev_b64 v[39:40], 1, v[3:4]
	v_xor_b32_e32 v3, 0xffff8000, v156
	v_add_co_u32 v39, s36, s48, v39
	v_add_co_ci_u32_e64 v40, null, s49, v40, s36
	global_store_short v[39:40], v3, off
	s_or_b32 exec_lo, exec_lo, s37
	v_cmp_lt_u32_e64 s36, v58, v155
	s_and_saveexec_b32 s38, s36
	s_cbranch_execz .LBB1016_1130
.LBB1016_1202:                          ;   in Loop: Header=BB1016_1032 Depth=2
	ds_read_u16 v156, v74 offset:7168
	s_waitcnt lgkmcnt(0)
	v_lshrrev_b32_sdwa v3, s41, v156 dst_sel:DWORD dst_unused:UNUSED_PAD src0_sel:DWORD src1_sel:WORD_0
	v_and_b32_e32 v3, s62, v3
	v_lshlrev_b32_e32 v3, 2, v3
	ds_read_b32 v3, v3
	s_waitcnt lgkmcnt(0)
	v_add_nc_u32_e32 v3, v3, v58
	v_lshlrev_b64 v[39:40], 1, v[3:4]
	v_xor_b32_e32 v3, 0xffff8000, v156
	v_add_co_u32 v39, s37, s48, v39
	v_add_co_ci_u32_e64 v40, null, s49, v40, s37
	global_store_short v[39:40], v3, off
	s_or_b32 exec_lo, exec_lo, s38
	v_cmp_lt_u32_e64 s37, v59, v155
	s_and_saveexec_b32 s39, s37
	s_cbranch_execz .LBB1016_1131
.LBB1016_1203:                          ;   in Loop: Header=BB1016_1032 Depth=2
	ds_read_u16 v156, v74 offset:7680
	s_waitcnt lgkmcnt(0)
	v_lshrrev_b32_sdwa v3, s41, v156 dst_sel:DWORD dst_unused:UNUSED_PAD src0_sel:DWORD src1_sel:WORD_0
	v_and_b32_e32 v3, s62, v3
	v_lshlrev_b32_e32 v3, 2, v3
	ds_read_b32 v3, v3
	s_waitcnt lgkmcnt(0)
	v_add_nc_u32_e32 v3, v3, v59
	v_lshlrev_b64 v[39:40], 1, v[3:4]
	v_xor_b32_e32 v3, 0xffff8000, v156
	v_add_co_u32 v39, s38, s48, v39
	v_add_co_ci_u32_e64 v40, null, s49, v40, s38
	global_store_short v[39:40], v3, off
	s_or_b32 exec_lo, exec_lo, s39
	v_cmp_lt_u32_e64 s38, v60, v155
	s_and_saveexec_b32 s40, s38
	s_cbranch_execz .LBB1016_1132
.LBB1016_1204:                          ;   in Loop: Header=BB1016_1032 Depth=2
	ds_read_u16 v156, v74 offset:8192
	s_waitcnt lgkmcnt(0)
	v_lshrrev_b32_sdwa v3, s41, v156 dst_sel:DWORD dst_unused:UNUSED_PAD src0_sel:DWORD src1_sel:WORD_0
	v_and_b32_e32 v3, s62, v3
	v_lshlrev_b32_e32 v3, 2, v3
	ds_read_b32 v3, v3
	s_waitcnt lgkmcnt(0)
	v_add_nc_u32_e32 v3, v3, v60
	v_lshlrev_b64 v[39:40], 1, v[3:4]
	v_xor_b32_e32 v3, 0xffff8000, v156
	v_add_co_u32 v39, s39, s48, v39
	v_add_co_ci_u32_e64 v40, null, s49, v40, s39
	global_store_short v[39:40], v3, off
	s_or_b32 exec_lo, exec_lo, s40
	v_cmp_lt_u32_e64 s39, v61, v155
	s_and_saveexec_b32 s65, s39
	s_cbranch_execnz .LBB1016_1133
	s_branch .LBB1016_1134
.LBB1016_1205:                          ;   in Loop: Header=BB1016_1032 Depth=2
	global_load_dwordx2 v[37:38], v[39:40], off
	s_or_b32 exec_lo, exec_lo, s40
	s_mov_b32 s50, exec_lo
	v_cmpx_lt_u32_e64 v98, v155
	s_cbranch_execz .LBB1016_1136
.LBB1016_1206:                          ;   in Loop: Header=BB1016_1032 Depth=2
	global_load_dwordx2 v[35:36], v[39:40], off offset:256
	s_or_b32 exec_lo, exec_lo, s50
	s_mov_b32 s50, exec_lo
	v_cmpx_lt_u32_e64 v99, v155
	s_cbranch_execz .LBB1016_1137
.LBB1016_1207:                          ;   in Loop: Header=BB1016_1032 Depth=2
	global_load_dwordx2 v[33:34], v[39:40], off offset:512
	s_or_b32 exec_lo, exec_lo, s50
	s_mov_b32 s50, exec_lo
	v_cmpx_lt_u32_e64 v100, v155
	s_cbranch_execz .LBB1016_1138
.LBB1016_1208:                          ;   in Loop: Header=BB1016_1032 Depth=2
	global_load_dwordx2 v[31:32], v[39:40], off offset:768
	s_or_b32 exec_lo, exec_lo, s50
	s_mov_b32 s50, exec_lo
	v_cmpx_lt_u32_e64 v101, v155
	s_cbranch_execz .LBB1016_1139
.LBB1016_1209:                          ;   in Loop: Header=BB1016_1032 Depth=2
	global_load_dwordx2 v[29:30], v[39:40], off offset:1024
	s_or_b32 exec_lo, exec_lo, s50
	s_mov_b32 s50, exec_lo
	v_cmpx_lt_u32_e64 v102, v155
	s_cbranch_execz .LBB1016_1140
.LBB1016_1210:                          ;   in Loop: Header=BB1016_1032 Depth=2
	global_load_dwordx2 v[25:26], v[39:40], off offset:1280
	s_or_b32 exec_lo, exec_lo, s50
	s_mov_b32 s50, exec_lo
	v_cmpx_lt_u32_e64 v103, v155
	s_cbranch_execz .LBB1016_1141
.LBB1016_1211:                          ;   in Loop: Header=BB1016_1032 Depth=2
	global_load_dwordx2 v[21:22], v[39:40], off offset:1536
	s_or_b32 exec_lo, exec_lo, s50
	s_mov_b32 s50, exec_lo
	v_cmpx_lt_u32_e64 v104, v155
	s_cbranch_execz .LBB1016_1142
.LBB1016_1212:                          ;   in Loop: Header=BB1016_1032 Depth=2
	global_load_dwordx2 v[17:18], v[39:40], off offset:1792
	s_or_b32 exec_lo, exec_lo, s50
	s_mov_b32 s50, exec_lo
	v_cmpx_lt_u32_e64 v105, v155
	s_cbranch_execz .LBB1016_1143
.LBB1016_1213:                          ;   in Loop: Header=BB1016_1032 Depth=2
	v_add_co_u32 v27, s40, 0x800, v39
	v_add_co_ci_u32_e64 v28, null, 0, v40, s40
	global_load_dwordx2 v[27:28], v[27:28], off
	s_or_b32 exec_lo, exec_lo, s50
	s_mov_b32 s50, exec_lo
	v_cmpx_lt_u32_e64 v106, v155
	s_cbranch_execz .LBB1016_1144
.LBB1016_1214:                          ;   in Loop: Header=BB1016_1032 Depth=2
	v_add_co_u32 v23, s40, 0x800, v39
	v_add_co_ci_u32_e64 v24, null, 0, v40, s40
	global_load_dwordx2 v[23:24], v[23:24], off offset:256
	s_or_b32 exec_lo, exec_lo, s50
	s_mov_b32 s50, exec_lo
	v_cmpx_lt_u32_e64 v107, v155
	s_cbranch_execz .LBB1016_1145
.LBB1016_1215:                          ;   in Loop: Header=BB1016_1032 Depth=2
	v_add_co_u32 v19, s40, 0x800, v39
	v_add_co_ci_u32_e64 v20, null, 0, v40, s40
	global_load_dwordx2 v[19:20], v[19:20], off offset:512
	s_or_b32 exec_lo, exec_lo, s50
	s_mov_b32 s50, exec_lo
	v_cmpx_lt_u32_e64 v108, v155
	s_cbranch_execz .LBB1016_1146
.LBB1016_1216:                          ;   in Loop: Header=BB1016_1032 Depth=2
	v_add_co_u32 v15, s40, 0x800, v39
	v_add_co_ci_u32_e64 v16, null, 0, v40, s40
	global_load_dwordx2 v[15:16], v[15:16], off offset:768
	s_or_b32 exec_lo, exec_lo, s50
	s_mov_b32 s50, exec_lo
	v_cmpx_lt_u32_e64 v128, v155
	s_cbranch_execz .LBB1016_1147
.LBB1016_1217:                          ;   in Loop: Header=BB1016_1032 Depth=2
	v_add_co_u32 v13, s40, 0x800, v39
	v_add_co_ci_u32_e64 v14, null, 0, v40, s40
	global_load_dwordx2 v[13:14], v[13:14], off offset:1024
	s_or_b32 exec_lo, exec_lo, s50
	s_mov_b32 s50, exec_lo
	v_cmpx_lt_u32_e64 v129, v155
	s_cbranch_execz .LBB1016_1148
.LBB1016_1218:                          ;   in Loop: Header=BB1016_1032 Depth=2
	v_add_co_u32 v11, s40, 0x800, v39
	v_add_co_ci_u32_e64 v12, null, 0, v40, s40
	global_load_dwordx2 v[11:12], v[11:12], off offset:1280
	s_or_b32 exec_lo, exec_lo, s50
	s_mov_b32 s50, exec_lo
	v_cmpx_lt_u32_e64 v130, v155
	s_cbranch_execz .LBB1016_1149
.LBB1016_1219:                          ;   in Loop: Header=BB1016_1032 Depth=2
	v_add_co_u32 v9, s40, 0x800, v39
	v_add_co_ci_u32_e64 v10, null, 0, v40, s40
	global_load_dwordx2 v[9:10], v[9:10], off offset:1536
	s_or_b32 exec_lo, exec_lo, s50
	s_mov_b32 s50, exec_lo
	v_cmpx_lt_u32_e64 v131, v155
	s_cbranch_execz .LBB1016_1150
.LBB1016_1220:                          ;   in Loop: Header=BB1016_1032 Depth=2
	v_add_co_u32 v7, s40, 0x800, v39
	v_add_co_ci_u32_e64 v8, null, 0, v40, s40
	global_load_dwordx2 v[7:8], v[7:8], off offset:1792
	s_or_b32 exec_lo, exec_lo, s50
	s_mov_b32 s50, exec_lo
	v_cmpx_lt_u32_e64 v132, v155
	s_cbranch_execz .LBB1016_1151
.LBB1016_1221:                          ;   in Loop: Header=BB1016_1032 Depth=2
	v_add_co_u32 v5, s40, 0x1000, v39
	v_add_co_ci_u32_e64 v6, null, 0, v40, s40
	global_load_dwordx2 v[5:6], v[5:6], off
	s_or_b32 exec_lo, exec_lo, s50
	s_and_saveexec_b32 s40, vcc_lo
	s_cbranch_execz .LBB1016_1152
.LBB1016_1222:                          ;   in Loop: Header=BB1016_1032 Depth=2
	ds_read_u16 v3, v74 offset:512
	s_waitcnt lgkmcnt(0)
	v_lshrrev_b32_e32 v3, s41, v3
	v_and_b32_e32 v153, s62, v3
	s_or_b32 exec_lo, exec_lo, s40
	s_and_saveexec_b32 s40, s22
	s_cbranch_execz .LBB1016_1153
.LBB1016_1223:                          ;   in Loop: Header=BB1016_1032 Depth=2
	ds_read_u16 v3, v74 offset:1024
	s_waitcnt lgkmcnt(0)
	v_lshrrev_b32_e32 v3, s41, v3
	v_and_b32_e32 v152, s62, v3
	s_or_b32 exec_lo, exec_lo, s40
	s_and_saveexec_b32 s40, s23
	s_cbranch_execz .LBB1016_1154
.LBB1016_1224:                          ;   in Loop: Header=BB1016_1032 Depth=2
	ds_read_u16 v3, v74 offset:1536
	s_waitcnt lgkmcnt(0)
	v_lshrrev_b32_e32 v3, s41, v3
	v_and_b32_e32 v150, s62, v3
	s_or_b32 exec_lo, exec_lo, s40
	s_and_saveexec_b32 s40, s24
	s_cbranch_execz .LBB1016_1155
.LBB1016_1225:                          ;   in Loop: Header=BB1016_1032 Depth=2
	ds_read_u16 v3, v74 offset:2048
	s_waitcnt lgkmcnt(0)
	v_lshrrev_b32_e32 v3, s41, v3
	v_and_b32_e32 v149, s62, v3
	s_or_b32 exec_lo, exec_lo, s40
	s_and_saveexec_b32 s40, s25
	s_cbranch_execz .LBB1016_1156
.LBB1016_1226:                          ;   in Loop: Header=BB1016_1032 Depth=2
	ds_read_u16 v3, v74 offset:2560
	s_waitcnt lgkmcnt(0)
	v_lshrrev_b32_e32 v3, s41, v3
	v_and_b32_e32 v148, s62, v3
	s_or_b32 exec_lo, exec_lo, s40
	s_and_saveexec_b32 s40, s26
	s_cbranch_execz .LBB1016_1157
.LBB1016_1227:                          ;   in Loop: Header=BB1016_1032 Depth=2
	ds_read_u16 v3, v74 offset:3072
	s_waitcnt lgkmcnt(0)
	v_lshrrev_b32_e32 v3, s41, v3
	v_and_b32_e32 v147, s62, v3
	s_or_b32 exec_lo, exec_lo, s40
	s_and_saveexec_b32 s40, s27
	s_cbranch_execz .LBB1016_1158
.LBB1016_1228:                          ;   in Loop: Header=BB1016_1032 Depth=2
	ds_read_u16 v3, v74 offset:3584
	s_waitcnt lgkmcnt(0)
	v_lshrrev_b32_e32 v3, s41, v3
	v_and_b32_e32 v146, s62, v3
	s_or_b32 exec_lo, exec_lo, s40
	s_and_saveexec_b32 s40, s29
	s_cbranch_execz .LBB1016_1159
.LBB1016_1229:                          ;   in Loop: Header=BB1016_1032 Depth=2
	ds_read_u16 v3, v74 offset:4096
	s_waitcnt lgkmcnt(0)
	v_lshrrev_b32_e32 v3, s41, v3
	v_and_b32_e32 v145, s62, v3
	s_or_b32 exec_lo, exec_lo, s40
	s_and_saveexec_b32 s40, s30
	s_cbranch_execz .LBB1016_1160
.LBB1016_1230:                          ;   in Loop: Header=BB1016_1032 Depth=2
	ds_read_u16 v3, v74 offset:4608
	s_waitcnt lgkmcnt(0)
	v_lshrrev_b32_e32 v3, s41, v3
	v_and_b32_e32 v144, s62, v3
	s_or_b32 exec_lo, exec_lo, s40
	s_and_saveexec_b32 s40, s31
	s_cbranch_execz .LBB1016_1161
.LBB1016_1231:                          ;   in Loop: Header=BB1016_1032 Depth=2
	ds_read_u16 v3, v74 offset:5120
	s_waitcnt lgkmcnt(0)
	v_lshrrev_b32_e32 v3, s41, v3
	v_and_b32_e32 v143, s62, v3
	s_or_b32 exec_lo, exec_lo, s40
	s_and_saveexec_b32 s40, s33
	s_cbranch_execz .LBB1016_1162
.LBB1016_1232:                          ;   in Loop: Header=BB1016_1032 Depth=2
	ds_read_u16 v3, v74 offset:5632
	s_waitcnt lgkmcnt(0)
	v_lshrrev_b32_e32 v3, s41, v3
	v_and_b32_e32 v142, s62, v3
	s_or_b32 exec_lo, exec_lo, s40
	s_and_saveexec_b32 s40, s34
	s_cbranch_execz .LBB1016_1163
.LBB1016_1233:                          ;   in Loop: Header=BB1016_1032 Depth=2
	ds_read_u16 v3, v74 offset:6144
	s_waitcnt lgkmcnt(0)
	v_lshrrev_b32_e32 v3, s41, v3
	v_and_b32_e32 v141, s62, v3
	s_or_b32 exec_lo, exec_lo, s40
	s_and_saveexec_b32 s40, s35
	s_cbranch_execz .LBB1016_1164
.LBB1016_1234:                          ;   in Loop: Header=BB1016_1032 Depth=2
	ds_read_u16 v3, v74 offset:6656
	s_waitcnt lgkmcnt(0)
	v_lshrrev_b32_e32 v3, s41, v3
	v_and_b32_e32 v140, s62, v3
	s_or_b32 exec_lo, exec_lo, s40
	s_and_saveexec_b32 s40, s36
	s_cbranch_execz .LBB1016_1165
.LBB1016_1235:                          ;   in Loop: Header=BB1016_1032 Depth=2
	ds_read_u16 v3, v74 offset:7168
	s_waitcnt lgkmcnt(0)
	v_lshrrev_b32_e32 v3, s41, v3
	v_and_b32_e32 v139, s62, v3
	s_or_b32 exec_lo, exec_lo, s40
	s_and_saveexec_b32 s40, s37
	s_cbranch_execz .LBB1016_1166
.LBB1016_1236:                          ;   in Loop: Header=BB1016_1032 Depth=2
	ds_read_u16 v3, v74 offset:7680
	s_waitcnt lgkmcnt(0)
	v_lshrrev_b32_e32 v3, s41, v3
	v_and_b32_e32 v138, s62, v3
	s_or_b32 exec_lo, exec_lo, s40
	s_and_saveexec_b32 s40, s38
	s_cbranch_execz .LBB1016_1167
.LBB1016_1237:                          ;   in Loop: Header=BB1016_1032 Depth=2
	ds_read_u16 v3, v74 offset:8192
	s_waitcnt lgkmcnt(0)
	v_lshrrev_b32_e32 v3, s41, v3
	v_and_b32_e32 v137, s62, v3
	s_or_b32 exec_lo, exec_lo, s40
	s_and_saveexec_b32 s40, s39
	s_cbranch_execnz .LBB1016_1168
	s_branch .LBB1016_1169
.LBB1016_1238:                          ;   in Loop: Header=BB1016_1032 Depth=2
	v_lshlrev_b32_e32 v3, 2, v153
	ds_read_b32 v3, v3
	ds_read_b64 v[40:41], v39 offset:512
	s_waitcnt lgkmcnt(1)
	v_add_nc_u32_e32 v3, v3, v0
	v_lshlrev_b64 v[155:156], 3, v[3:4]
	v_add_co_u32 v155, vcc_lo, s54, v155
	v_add_co_ci_u32_e64 v156, null, s55, v156, vcc_lo
	s_waitcnt lgkmcnt(0)
	global_store_dwordx2 v[155:156], v[40:41], off
	s_or_b32 exec_lo, exec_lo, s40
	s_and_saveexec_b32 s40, s22
	s_cbranch_execz .LBB1016_1171
.LBB1016_1239:                          ;   in Loop: Header=BB1016_1032 Depth=2
	v_lshlrev_b32_e32 v3, 2, v152
	ds_read_b32 v3, v3
	ds_read_b64 v[40:41], v39 offset:2560
	s_waitcnt lgkmcnt(1)
	v_add_nc_u32_e32 v3, v3, v44
	v_lshlrev_b64 v[155:156], 3, v[3:4]
	v_add_co_u32 v155, vcc_lo, s54, v155
	v_add_co_ci_u32_e64 v156, null, s55, v156, vcc_lo
	s_waitcnt lgkmcnt(0)
	global_store_dwordx2 v[155:156], v[40:41], off
	s_or_b32 exec_lo, exec_lo, s40
	s_and_saveexec_b32 s22, s23
	s_cbranch_execz .LBB1016_1172
.LBB1016_1240:                          ;   in Loop: Header=BB1016_1032 Depth=2
	v_lshlrev_b32_e32 v3, 2, v150
	ds_read_b32 v3, v3
	ds_read_b64 v[40:41], v39 offset:4608
	s_waitcnt lgkmcnt(1)
	v_add_nc_u32_e32 v3, v3, v47
	v_lshlrev_b64 v[155:156], 3, v[3:4]
	v_add_co_u32 v155, vcc_lo, s54, v155
	v_add_co_ci_u32_e64 v156, null, s55, v156, vcc_lo
	s_waitcnt lgkmcnt(0)
	global_store_dwordx2 v[155:156], v[40:41], off
	s_or_b32 exec_lo, exec_lo, s22
	s_and_saveexec_b32 s22, s24
	s_cbranch_execz .LBB1016_1173
.LBB1016_1241:                          ;   in Loop: Header=BB1016_1032 Depth=2
	v_lshlrev_b32_e32 v3, 2, v149
	ds_read_b32 v3, v3
	ds_read_b64 v[40:41], v39 offset:6656
	s_waitcnt lgkmcnt(1)
	v_add_nc_u32_e32 v3, v3, v48
	v_lshlrev_b64 v[155:156], 3, v[3:4]
	v_add_co_u32 v155, vcc_lo, s54, v155
	v_add_co_ci_u32_e64 v156, null, s55, v156, vcc_lo
	s_waitcnt lgkmcnt(0)
	global_store_dwordx2 v[155:156], v[40:41], off
	s_or_b32 exec_lo, exec_lo, s22
	s_and_saveexec_b32 s22, s25
	s_cbranch_execz .LBB1016_1174
.LBB1016_1242:                          ;   in Loop: Header=BB1016_1032 Depth=2
	v_lshlrev_b32_e32 v3, 2, v148
	ds_read_b32 v3, v3
	ds_read_b64 v[40:41], v39 offset:8704
	s_waitcnt lgkmcnt(1)
	v_add_nc_u32_e32 v3, v3, v49
	v_lshlrev_b64 v[155:156], 3, v[3:4]
	v_add_co_u32 v155, vcc_lo, s54, v155
	v_add_co_ci_u32_e64 v156, null, s55, v156, vcc_lo
	s_waitcnt lgkmcnt(0)
	global_store_dwordx2 v[155:156], v[40:41], off
	s_or_b32 exec_lo, exec_lo, s22
	s_and_saveexec_b32 s22, s26
	s_cbranch_execz .LBB1016_1175
.LBB1016_1243:                          ;   in Loop: Header=BB1016_1032 Depth=2
	v_lshlrev_b32_e32 v3, 2, v147
	ds_read_b32 v3, v3
	ds_read_b64 v[40:41], v39 offset:10752
	s_waitcnt lgkmcnt(1)
	v_add_nc_u32_e32 v3, v3, v50
	v_lshlrev_b64 v[155:156], 3, v[3:4]
	v_add_co_u32 v155, vcc_lo, s54, v155
	v_add_co_ci_u32_e64 v156, null, s55, v156, vcc_lo
	s_waitcnt lgkmcnt(0)
	global_store_dwordx2 v[155:156], v[40:41], off
	s_or_b32 exec_lo, exec_lo, s22
	s_and_saveexec_b32 s22, s27
	s_cbranch_execz .LBB1016_1176
.LBB1016_1244:                          ;   in Loop: Header=BB1016_1032 Depth=2
	v_lshlrev_b32_e32 v3, 2, v146
	ds_read_b32 v3, v3
	ds_read_b64 v[40:41], v39 offset:12800
	s_waitcnt lgkmcnt(1)
	v_add_nc_u32_e32 v3, v3, v51
	v_lshlrev_b64 v[155:156], 3, v[3:4]
	v_add_co_u32 v155, vcc_lo, s54, v155
	v_add_co_ci_u32_e64 v156, null, s55, v156, vcc_lo
	s_waitcnt lgkmcnt(0)
	global_store_dwordx2 v[155:156], v[40:41], off
	s_or_b32 exec_lo, exec_lo, s22
	s_and_saveexec_b32 s22, s29
	s_cbranch_execz .LBB1016_1177
.LBB1016_1245:                          ;   in Loop: Header=BB1016_1032 Depth=2
	v_lshlrev_b32_e32 v3, 2, v145
	ds_read_b32 v3, v3
	ds_read_b64 v[40:41], v39 offset:14848
	s_waitcnt lgkmcnt(1)
	v_add_nc_u32_e32 v3, v3, v52
	v_lshlrev_b64 v[155:156], 3, v[3:4]
	v_add_co_u32 v155, vcc_lo, s54, v155
	v_add_co_ci_u32_e64 v156, null, s55, v156, vcc_lo
	s_waitcnt lgkmcnt(0)
	global_store_dwordx2 v[155:156], v[40:41], off
	s_or_b32 exec_lo, exec_lo, s22
	s_and_saveexec_b32 s22, s30
	s_cbranch_execz .LBB1016_1178
.LBB1016_1246:                          ;   in Loop: Header=BB1016_1032 Depth=2
	v_lshlrev_b32_e32 v3, 2, v144
	ds_read_b32 v3, v3
	ds_read_b64 v[40:41], v39 offset:16896
	s_waitcnt lgkmcnt(1)
	v_add_nc_u32_e32 v3, v3, v53
	v_lshlrev_b64 v[155:156], 3, v[3:4]
	v_add_co_u32 v155, vcc_lo, s54, v155
	v_add_co_ci_u32_e64 v156, null, s55, v156, vcc_lo
	s_waitcnt lgkmcnt(0)
	global_store_dwordx2 v[155:156], v[40:41], off
	s_or_b32 exec_lo, exec_lo, s22
	s_and_saveexec_b32 s22, s31
	s_cbranch_execz .LBB1016_1179
.LBB1016_1247:                          ;   in Loop: Header=BB1016_1032 Depth=2
	v_lshlrev_b32_e32 v3, 2, v143
	ds_read_b32 v3, v3
	ds_read_b64 v[40:41], v39 offset:18944
	s_waitcnt lgkmcnt(1)
	v_add_nc_u32_e32 v3, v3, v54
	v_lshlrev_b64 v[155:156], 3, v[3:4]
	v_add_co_u32 v155, vcc_lo, s54, v155
	v_add_co_ci_u32_e64 v156, null, s55, v156, vcc_lo
	s_waitcnt lgkmcnt(0)
	global_store_dwordx2 v[155:156], v[40:41], off
	s_or_b32 exec_lo, exec_lo, s22
	s_and_saveexec_b32 s22, s33
	s_cbranch_execz .LBB1016_1180
.LBB1016_1248:                          ;   in Loop: Header=BB1016_1032 Depth=2
	v_lshlrev_b32_e32 v3, 2, v142
	ds_read_b32 v3, v3
	ds_read_b64 v[40:41], v39 offset:20992
	s_waitcnt lgkmcnt(1)
	v_add_nc_u32_e32 v3, v3, v55
	v_lshlrev_b64 v[155:156], 3, v[3:4]
	v_add_co_u32 v155, vcc_lo, s54, v155
	v_add_co_ci_u32_e64 v156, null, s55, v156, vcc_lo
	s_waitcnt lgkmcnt(0)
	global_store_dwordx2 v[155:156], v[40:41], off
	s_or_b32 exec_lo, exec_lo, s22
	s_and_saveexec_b32 s22, s34
	s_cbranch_execz .LBB1016_1181
.LBB1016_1249:                          ;   in Loop: Header=BB1016_1032 Depth=2
	v_lshlrev_b32_e32 v3, 2, v141
	ds_read_b32 v3, v3
	ds_read_b64 v[40:41], v39 offset:23040
	s_waitcnt lgkmcnt(1)
	v_add_nc_u32_e32 v3, v3, v56
	v_lshlrev_b64 v[155:156], 3, v[3:4]
	v_add_co_u32 v155, vcc_lo, s54, v155
	v_add_co_ci_u32_e64 v156, null, s55, v156, vcc_lo
	s_waitcnt lgkmcnt(0)
	global_store_dwordx2 v[155:156], v[40:41], off
	s_or_b32 exec_lo, exec_lo, s22
	s_and_saveexec_b32 s22, s35
	s_cbranch_execz .LBB1016_1182
.LBB1016_1250:                          ;   in Loop: Header=BB1016_1032 Depth=2
	v_lshlrev_b32_e32 v3, 2, v140
	ds_read_b32 v3, v3
	ds_read_b64 v[40:41], v39 offset:25088
	s_waitcnt lgkmcnt(1)
	v_add_nc_u32_e32 v3, v3, v57
	v_lshlrev_b64 v[155:156], 3, v[3:4]
	v_add_co_u32 v155, vcc_lo, s54, v155
	v_add_co_ci_u32_e64 v156, null, s55, v156, vcc_lo
	s_waitcnt lgkmcnt(0)
	global_store_dwordx2 v[155:156], v[40:41], off
	s_or_b32 exec_lo, exec_lo, s22
	s_and_saveexec_b32 s22, s36
	s_cbranch_execz .LBB1016_1183
.LBB1016_1251:                          ;   in Loop: Header=BB1016_1032 Depth=2
	v_lshlrev_b32_e32 v3, 2, v139
	ds_read_b32 v3, v3
	ds_read_b64 v[40:41], v39 offset:27136
	s_waitcnt lgkmcnt(1)
	v_add_nc_u32_e32 v3, v3, v58
	v_lshlrev_b64 v[155:156], 3, v[3:4]
	v_add_co_u32 v155, vcc_lo, s54, v155
	v_add_co_ci_u32_e64 v156, null, s55, v156, vcc_lo
	s_waitcnt lgkmcnt(0)
	global_store_dwordx2 v[155:156], v[40:41], off
	s_or_b32 exec_lo, exec_lo, s22
	s_and_saveexec_b32 s22, s37
	s_cbranch_execz .LBB1016_1184
.LBB1016_1252:                          ;   in Loop: Header=BB1016_1032 Depth=2
	v_lshlrev_b32_e32 v3, 2, v138
	ds_read_b32 v3, v3
	ds_read_b64 v[40:41], v39 offset:29184
	s_waitcnt lgkmcnt(1)
	v_add_nc_u32_e32 v3, v3, v59
	v_lshlrev_b64 v[155:156], 3, v[3:4]
	v_add_co_u32 v155, vcc_lo, s54, v155
	v_add_co_ci_u32_e64 v156, null, s55, v156, vcc_lo
	s_waitcnt lgkmcnt(0)
	global_store_dwordx2 v[155:156], v[40:41], off
	s_or_b32 exec_lo, exec_lo, s22
	s_and_saveexec_b32 s22, s38
	s_cbranch_execz .LBB1016_1185
.LBB1016_1253:                          ;   in Loop: Header=BB1016_1032 Depth=2
	v_lshlrev_b32_e32 v3, 2, v137
	ds_read_b32 v3, v3
	ds_read_b64 v[40:41], v39 offset:31232
	s_waitcnt lgkmcnt(1)
	v_add_nc_u32_e32 v3, v3, v60
	v_lshlrev_b64 v[155:156], 3, v[3:4]
	v_add_co_u32 v155, vcc_lo, s54, v155
	v_add_co_ci_u32_e64 v156, null, s55, v156, vcc_lo
	s_waitcnt lgkmcnt(0)
	global_store_dwordx2 v[155:156], v[40:41], off
	s_or_b32 exec_lo, exec_lo, s22
	s_and_saveexec_b32 s22, s39
	s_cbranch_execnz .LBB1016_1186
	s_branch .LBB1016_1187
.LBB1016_1254:
	s_endpgm
	.section	.rodata,"a",@progbits
	.p2align	6, 0x0
	.amdhsa_kernel _ZN7rocprim17ROCPRIM_400000_NS6detail17trampoline_kernelINS0_14default_configENS1_36segmented_radix_sort_config_selectorIslEEZNS1_25segmented_radix_sort_implIS3_Lb0EPKsPsPKlPlN2at6native12_GLOBAL__N_18offset_tEEE10hipError_tPvRmT1_PNSt15iterator_traitsISK_E10value_typeET2_T3_PNSL_ISQ_E10value_typeET4_jRbjT5_SW_jjP12ihipStream_tbEUlT_E_NS1_11comp_targetILNS1_3genE8ELNS1_11target_archE1030ELNS1_3gpuE2ELNS1_3repE0EEENS1_30default_config_static_selectorELNS0_4arch9wavefront6targetE0EEEvSK_
		.amdhsa_group_segment_fixed_size 35344
		.amdhsa_private_segment_fixed_size 196
		.amdhsa_kernarg_size 352
		.amdhsa_user_sgpr_count 6
		.amdhsa_user_sgpr_private_segment_buffer 1
		.amdhsa_user_sgpr_dispatch_ptr 0
		.amdhsa_user_sgpr_queue_ptr 0
		.amdhsa_user_sgpr_kernarg_segment_ptr 1
		.amdhsa_user_sgpr_dispatch_id 0
		.amdhsa_user_sgpr_flat_scratch_init 0
		.amdhsa_user_sgpr_private_segment_size 0
		.amdhsa_wavefront_size32 1
		.amdhsa_uses_dynamic_stack 0
		.amdhsa_system_sgpr_private_segment_wavefront_offset 1
		.amdhsa_system_sgpr_workgroup_id_x 1
		.amdhsa_system_sgpr_workgroup_id_y 1
		.amdhsa_system_sgpr_workgroup_id_z 0
		.amdhsa_system_sgpr_workgroup_info 0
		.amdhsa_system_vgpr_workitem_id 2
		.amdhsa_next_free_vgpr 248
		.amdhsa_next_free_sgpr 68
		.amdhsa_reserve_vcc 1
		.amdhsa_reserve_flat_scratch 0
		.amdhsa_float_round_mode_32 0
		.amdhsa_float_round_mode_16_64 0
		.amdhsa_float_denorm_mode_32 3
		.amdhsa_float_denorm_mode_16_64 3
		.amdhsa_dx10_clamp 1
		.amdhsa_ieee_mode 1
		.amdhsa_fp16_overflow 0
		.amdhsa_workgroup_processor_mode 1
		.amdhsa_memory_ordered 1
		.amdhsa_forward_progress 1
		.amdhsa_shared_vgpr_count 0
		.amdhsa_exception_fp_ieee_invalid_op 0
		.amdhsa_exception_fp_denorm_src 0
		.amdhsa_exception_fp_ieee_div_zero 0
		.amdhsa_exception_fp_ieee_overflow 0
		.amdhsa_exception_fp_ieee_underflow 0
		.amdhsa_exception_fp_ieee_inexact 0
		.amdhsa_exception_int_div_zero 0
	.end_amdhsa_kernel
	.section	.text._ZN7rocprim17ROCPRIM_400000_NS6detail17trampoline_kernelINS0_14default_configENS1_36segmented_radix_sort_config_selectorIslEEZNS1_25segmented_radix_sort_implIS3_Lb0EPKsPsPKlPlN2at6native12_GLOBAL__N_18offset_tEEE10hipError_tPvRmT1_PNSt15iterator_traitsISK_E10value_typeET2_T3_PNSL_ISQ_E10value_typeET4_jRbjT5_SW_jjP12ihipStream_tbEUlT_E_NS1_11comp_targetILNS1_3genE8ELNS1_11target_archE1030ELNS1_3gpuE2ELNS1_3repE0EEENS1_30default_config_static_selectorELNS0_4arch9wavefront6targetE0EEEvSK_,"axG",@progbits,_ZN7rocprim17ROCPRIM_400000_NS6detail17trampoline_kernelINS0_14default_configENS1_36segmented_radix_sort_config_selectorIslEEZNS1_25segmented_radix_sort_implIS3_Lb0EPKsPsPKlPlN2at6native12_GLOBAL__N_18offset_tEEE10hipError_tPvRmT1_PNSt15iterator_traitsISK_E10value_typeET2_T3_PNSL_ISQ_E10value_typeET4_jRbjT5_SW_jjP12ihipStream_tbEUlT_E_NS1_11comp_targetILNS1_3genE8ELNS1_11target_archE1030ELNS1_3gpuE2ELNS1_3repE0EEENS1_30default_config_static_selectorELNS0_4arch9wavefront6targetE0EEEvSK_,comdat
.Lfunc_end1016:
	.size	_ZN7rocprim17ROCPRIM_400000_NS6detail17trampoline_kernelINS0_14default_configENS1_36segmented_radix_sort_config_selectorIslEEZNS1_25segmented_radix_sort_implIS3_Lb0EPKsPsPKlPlN2at6native12_GLOBAL__N_18offset_tEEE10hipError_tPvRmT1_PNSt15iterator_traitsISK_E10value_typeET2_T3_PNSL_ISQ_E10value_typeET4_jRbjT5_SW_jjP12ihipStream_tbEUlT_E_NS1_11comp_targetILNS1_3genE8ELNS1_11target_archE1030ELNS1_3gpuE2ELNS1_3repE0EEENS1_30default_config_static_selectorELNS0_4arch9wavefront6targetE0EEEvSK_, .Lfunc_end1016-_ZN7rocprim17ROCPRIM_400000_NS6detail17trampoline_kernelINS0_14default_configENS1_36segmented_radix_sort_config_selectorIslEEZNS1_25segmented_radix_sort_implIS3_Lb0EPKsPsPKlPlN2at6native12_GLOBAL__N_18offset_tEEE10hipError_tPvRmT1_PNSt15iterator_traitsISK_E10value_typeET2_T3_PNSL_ISQ_E10value_typeET4_jRbjT5_SW_jjP12ihipStream_tbEUlT_E_NS1_11comp_targetILNS1_3genE8ELNS1_11target_archE1030ELNS1_3gpuE2ELNS1_3repE0EEENS1_30default_config_static_selectorELNS0_4arch9wavefront6targetE0EEEvSK_
                                        ; -- End function
	.set _ZN7rocprim17ROCPRIM_400000_NS6detail17trampoline_kernelINS0_14default_configENS1_36segmented_radix_sort_config_selectorIslEEZNS1_25segmented_radix_sort_implIS3_Lb0EPKsPsPKlPlN2at6native12_GLOBAL__N_18offset_tEEE10hipError_tPvRmT1_PNSt15iterator_traitsISK_E10value_typeET2_T3_PNSL_ISQ_E10value_typeET4_jRbjT5_SW_jjP12ihipStream_tbEUlT_E_NS1_11comp_targetILNS1_3genE8ELNS1_11target_archE1030ELNS1_3gpuE2ELNS1_3repE0EEENS1_30default_config_static_selectorELNS0_4arch9wavefront6targetE0EEEvSK_.num_vgpr, max(226, .L_ZN7rocprim17ROCPRIM_400000_NS6detail40segmented_radix_sort_single_block_helperIslLj256ELj17ELb0EE4sortIPKsPsPKlPlEEbT_T0_T1_T2_jjjjRNS3_12storage_typeE.num_vgpr)
	.set _ZN7rocprim17ROCPRIM_400000_NS6detail17trampoline_kernelINS0_14default_configENS1_36segmented_radix_sort_config_selectorIslEEZNS1_25segmented_radix_sort_implIS3_Lb0EPKsPsPKlPlN2at6native12_GLOBAL__N_18offset_tEEE10hipError_tPvRmT1_PNSt15iterator_traitsISK_E10value_typeET2_T3_PNSL_ISQ_E10value_typeET4_jRbjT5_SW_jjP12ihipStream_tbEUlT_E_NS1_11comp_targetILNS1_3genE8ELNS1_11target_archE1030ELNS1_3gpuE2ELNS1_3repE0EEENS1_30default_config_static_selectorELNS0_4arch9wavefront6targetE0EEEvSK_.num_agpr, max(0, .L_ZN7rocprim17ROCPRIM_400000_NS6detail40segmented_radix_sort_single_block_helperIslLj256ELj17ELb0EE4sortIPKsPsPKlPlEEbT_T0_T1_T2_jjjjRNS3_12storage_typeE.num_agpr)
	.set _ZN7rocprim17ROCPRIM_400000_NS6detail17trampoline_kernelINS0_14default_configENS1_36segmented_radix_sort_config_selectorIslEEZNS1_25segmented_radix_sort_implIS3_Lb0EPKsPsPKlPlN2at6native12_GLOBAL__N_18offset_tEEE10hipError_tPvRmT1_PNSt15iterator_traitsISK_E10value_typeET2_T3_PNSL_ISQ_E10value_typeET4_jRbjT5_SW_jjP12ihipStream_tbEUlT_E_NS1_11comp_targetILNS1_3genE8ELNS1_11target_archE1030ELNS1_3gpuE2ELNS1_3repE0EEENS1_30default_config_static_selectorELNS0_4arch9wavefront6targetE0EEEvSK_.numbered_sgpr, max(68, .L_ZN7rocprim17ROCPRIM_400000_NS6detail40segmented_radix_sort_single_block_helperIslLj256ELj17ELb0EE4sortIPKsPsPKlPlEEbT_T0_T1_T2_jjjjRNS3_12storage_typeE.numbered_sgpr)
	.set _ZN7rocprim17ROCPRIM_400000_NS6detail17trampoline_kernelINS0_14default_configENS1_36segmented_radix_sort_config_selectorIslEEZNS1_25segmented_radix_sort_implIS3_Lb0EPKsPsPKlPlN2at6native12_GLOBAL__N_18offset_tEEE10hipError_tPvRmT1_PNSt15iterator_traitsISK_E10value_typeET2_T3_PNSL_ISQ_E10value_typeET4_jRbjT5_SW_jjP12ihipStream_tbEUlT_E_NS1_11comp_targetILNS1_3genE8ELNS1_11target_archE1030ELNS1_3gpuE2ELNS1_3repE0EEENS1_30default_config_static_selectorELNS0_4arch9wavefront6targetE0EEEvSK_.num_named_barrier, max(0, .L_ZN7rocprim17ROCPRIM_400000_NS6detail40segmented_radix_sort_single_block_helperIslLj256ELj17ELb0EE4sortIPKsPsPKlPlEEbT_T0_T1_T2_jjjjRNS3_12storage_typeE.num_named_barrier)
	.set _ZN7rocprim17ROCPRIM_400000_NS6detail17trampoline_kernelINS0_14default_configENS1_36segmented_radix_sort_config_selectorIslEEZNS1_25segmented_radix_sort_implIS3_Lb0EPKsPsPKlPlN2at6native12_GLOBAL__N_18offset_tEEE10hipError_tPvRmT1_PNSt15iterator_traitsISK_E10value_typeET2_T3_PNSL_ISQ_E10value_typeET4_jRbjT5_SW_jjP12ihipStream_tbEUlT_E_NS1_11comp_targetILNS1_3genE8ELNS1_11target_archE1030ELNS1_3gpuE2ELNS1_3repE0EEENS1_30default_config_static_selectorELNS0_4arch9wavefront6targetE0EEEvSK_.private_seg_size, 0+max(.L_ZN7rocprim17ROCPRIM_400000_NS6detail40segmented_radix_sort_single_block_helperIslLj256ELj17ELb0EE4sortIPKsPsPKlPlEEbT_T0_T1_T2_jjjjRNS3_12storage_typeE.private_seg_size)
	.set _ZN7rocprim17ROCPRIM_400000_NS6detail17trampoline_kernelINS0_14default_configENS1_36segmented_radix_sort_config_selectorIslEEZNS1_25segmented_radix_sort_implIS3_Lb0EPKsPsPKlPlN2at6native12_GLOBAL__N_18offset_tEEE10hipError_tPvRmT1_PNSt15iterator_traitsISK_E10value_typeET2_T3_PNSL_ISQ_E10value_typeET4_jRbjT5_SW_jjP12ihipStream_tbEUlT_E_NS1_11comp_targetILNS1_3genE8ELNS1_11target_archE1030ELNS1_3gpuE2ELNS1_3repE0EEENS1_30default_config_static_selectorELNS0_4arch9wavefront6targetE0EEEvSK_.uses_vcc, or(1, .L_ZN7rocprim17ROCPRIM_400000_NS6detail40segmented_radix_sort_single_block_helperIslLj256ELj17ELb0EE4sortIPKsPsPKlPlEEbT_T0_T1_T2_jjjjRNS3_12storage_typeE.uses_vcc)
	.set _ZN7rocprim17ROCPRIM_400000_NS6detail17trampoline_kernelINS0_14default_configENS1_36segmented_radix_sort_config_selectorIslEEZNS1_25segmented_radix_sort_implIS3_Lb0EPKsPsPKlPlN2at6native12_GLOBAL__N_18offset_tEEE10hipError_tPvRmT1_PNSt15iterator_traitsISK_E10value_typeET2_T3_PNSL_ISQ_E10value_typeET4_jRbjT5_SW_jjP12ihipStream_tbEUlT_E_NS1_11comp_targetILNS1_3genE8ELNS1_11target_archE1030ELNS1_3gpuE2ELNS1_3repE0EEENS1_30default_config_static_selectorELNS0_4arch9wavefront6targetE0EEEvSK_.uses_flat_scratch, or(0, .L_ZN7rocprim17ROCPRIM_400000_NS6detail40segmented_radix_sort_single_block_helperIslLj256ELj17ELb0EE4sortIPKsPsPKlPlEEbT_T0_T1_T2_jjjjRNS3_12storage_typeE.uses_flat_scratch)
	.set _ZN7rocprim17ROCPRIM_400000_NS6detail17trampoline_kernelINS0_14default_configENS1_36segmented_radix_sort_config_selectorIslEEZNS1_25segmented_radix_sort_implIS3_Lb0EPKsPsPKlPlN2at6native12_GLOBAL__N_18offset_tEEE10hipError_tPvRmT1_PNSt15iterator_traitsISK_E10value_typeET2_T3_PNSL_ISQ_E10value_typeET4_jRbjT5_SW_jjP12ihipStream_tbEUlT_E_NS1_11comp_targetILNS1_3genE8ELNS1_11target_archE1030ELNS1_3gpuE2ELNS1_3repE0EEENS1_30default_config_static_selectorELNS0_4arch9wavefront6targetE0EEEvSK_.has_dyn_sized_stack, or(0, .L_ZN7rocprim17ROCPRIM_400000_NS6detail40segmented_radix_sort_single_block_helperIslLj256ELj17ELb0EE4sortIPKsPsPKlPlEEbT_T0_T1_T2_jjjjRNS3_12storage_typeE.has_dyn_sized_stack)
	.set _ZN7rocprim17ROCPRIM_400000_NS6detail17trampoline_kernelINS0_14default_configENS1_36segmented_radix_sort_config_selectorIslEEZNS1_25segmented_radix_sort_implIS3_Lb0EPKsPsPKlPlN2at6native12_GLOBAL__N_18offset_tEEE10hipError_tPvRmT1_PNSt15iterator_traitsISK_E10value_typeET2_T3_PNSL_ISQ_E10value_typeET4_jRbjT5_SW_jjP12ihipStream_tbEUlT_E_NS1_11comp_targetILNS1_3genE8ELNS1_11target_archE1030ELNS1_3gpuE2ELNS1_3repE0EEENS1_30default_config_static_selectorELNS0_4arch9wavefront6targetE0EEEvSK_.has_recursion, or(0, .L_ZN7rocprim17ROCPRIM_400000_NS6detail40segmented_radix_sort_single_block_helperIslLj256ELj17ELb0EE4sortIPKsPsPKlPlEEbT_T0_T1_T2_jjjjRNS3_12storage_typeE.has_recursion)
	.set _ZN7rocprim17ROCPRIM_400000_NS6detail17trampoline_kernelINS0_14default_configENS1_36segmented_radix_sort_config_selectorIslEEZNS1_25segmented_radix_sort_implIS3_Lb0EPKsPsPKlPlN2at6native12_GLOBAL__N_18offset_tEEE10hipError_tPvRmT1_PNSt15iterator_traitsISK_E10value_typeET2_T3_PNSL_ISQ_E10value_typeET4_jRbjT5_SW_jjP12ihipStream_tbEUlT_E_NS1_11comp_targetILNS1_3genE8ELNS1_11target_archE1030ELNS1_3gpuE2ELNS1_3repE0EEENS1_30default_config_static_selectorELNS0_4arch9wavefront6targetE0EEEvSK_.has_indirect_call, or(0, .L_ZN7rocprim17ROCPRIM_400000_NS6detail40segmented_radix_sort_single_block_helperIslLj256ELj17ELb0EE4sortIPKsPsPKlPlEEbT_T0_T1_T2_jjjjRNS3_12storage_typeE.has_indirect_call)
	.section	.AMDGPU.csdata,"",@progbits
; Kernel info:
; codeLenInByte = 64168
; TotalNumSgprs: 70
; NumVgprs: 248
; ScratchSize: 196
; MemoryBound: 0
; FloatMode: 240
; IeeeMode: 1
; LDSByteSize: 35344 bytes/workgroup (compile time only)
; SGPRBlocks: 0
; VGPRBlocks: 30
; NumSGPRsForWavesPerEU: 70
; NumVGPRsForWavesPerEU: 248
; Occupancy: 4
; WaveLimiterHint : 1
; COMPUTE_PGM_RSRC2:SCRATCH_EN: 1
; COMPUTE_PGM_RSRC2:USER_SGPR: 6
; COMPUTE_PGM_RSRC2:TRAP_HANDLER: 0
; COMPUTE_PGM_RSRC2:TGID_X_EN: 1
; COMPUTE_PGM_RSRC2:TGID_Y_EN: 1
; COMPUTE_PGM_RSRC2:TGID_Z_EN: 0
; COMPUTE_PGM_RSRC2:TIDIG_COMP_CNT: 2
	.section	.text._ZN7rocprim17ROCPRIM_400000_NS6detail17trampoline_kernelINS0_14default_configENS1_36segmented_radix_sort_config_selectorIslEEZNS1_25segmented_radix_sort_implIS3_Lb0EPKsPsPKlPlN2at6native12_GLOBAL__N_18offset_tEEE10hipError_tPvRmT1_PNSt15iterator_traitsISK_E10value_typeET2_T3_PNSL_ISQ_E10value_typeET4_jRbjT5_SW_jjP12ihipStream_tbEUlT_E0_NS1_11comp_targetILNS1_3genE0ELNS1_11target_archE4294967295ELNS1_3gpuE0ELNS1_3repE0EEENS1_60segmented_radix_sort_warp_sort_medium_config_static_selectorELNS0_4arch9wavefront6targetE0EEEvSK_,"axG",@progbits,_ZN7rocprim17ROCPRIM_400000_NS6detail17trampoline_kernelINS0_14default_configENS1_36segmented_radix_sort_config_selectorIslEEZNS1_25segmented_radix_sort_implIS3_Lb0EPKsPsPKlPlN2at6native12_GLOBAL__N_18offset_tEEE10hipError_tPvRmT1_PNSt15iterator_traitsISK_E10value_typeET2_T3_PNSL_ISQ_E10value_typeET4_jRbjT5_SW_jjP12ihipStream_tbEUlT_E0_NS1_11comp_targetILNS1_3genE0ELNS1_11target_archE4294967295ELNS1_3gpuE0ELNS1_3repE0EEENS1_60segmented_radix_sort_warp_sort_medium_config_static_selectorELNS0_4arch9wavefront6targetE0EEEvSK_,comdat
	.globl	_ZN7rocprim17ROCPRIM_400000_NS6detail17trampoline_kernelINS0_14default_configENS1_36segmented_radix_sort_config_selectorIslEEZNS1_25segmented_radix_sort_implIS3_Lb0EPKsPsPKlPlN2at6native12_GLOBAL__N_18offset_tEEE10hipError_tPvRmT1_PNSt15iterator_traitsISK_E10value_typeET2_T3_PNSL_ISQ_E10value_typeET4_jRbjT5_SW_jjP12ihipStream_tbEUlT_E0_NS1_11comp_targetILNS1_3genE0ELNS1_11target_archE4294967295ELNS1_3gpuE0ELNS1_3repE0EEENS1_60segmented_radix_sort_warp_sort_medium_config_static_selectorELNS0_4arch9wavefront6targetE0EEEvSK_ ; -- Begin function _ZN7rocprim17ROCPRIM_400000_NS6detail17trampoline_kernelINS0_14default_configENS1_36segmented_radix_sort_config_selectorIslEEZNS1_25segmented_radix_sort_implIS3_Lb0EPKsPsPKlPlN2at6native12_GLOBAL__N_18offset_tEEE10hipError_tPvRmT1_PNSt15iterator_traitsISK_E10value_typeET2_T3_PNSL_ISQ_E10value_typeET4_jRbjT5_SW_jjP12ihipStream_tbEUlT_E0_NS1_11comp_targetILNS1_3genE0ELNS1_11target_archE4294967295ELNS1_3gpuE0ELNS1_3repE0EEENS1_60segmented_radix_sort_warp_sort_medium_config_static_selectorELNS0_4arch9wavefront6targetE0EEEvSK_
	.p2align	8
	.type	_ZN7rocprim17ROCPRIM_400000_NS6detail17trampoline_kernelINS0_14default_configENS1_36segmented_radix_sort_config_selectorIslEEZNS1_25segmented_radix_sort_implIS3_Lb0EPKsPsPKlPlN2at6native12_GLOBAL__N_18offset_tEEE10hipError_tPvRmT1_PNSt15iterator_traitsISK_E10value_typeET2_T3_PNSL_ISQ_E10value_typeET4_jRbjT5_SW_jjP12ihipStream_tbEUlT_E0_NS1_11comp_targetILNS1_3genE0ELNS1_11target_archE4294967295ELNS1_3gpuE0ELNS1_3repE0EEENS1_60segmented_radix_sort_warp_sort_medium_config_static_selectorELNS0_4arch9wavefront6targetE0EEEvSK_,@function
_ZN7rocprim17ROCPRIM_400000_NS6detail17trampoline_kernelINS0_14default_configENS1_36segmented_radix_sort_config_selectorIslEEZNS1_25segmented_radix_sort_implIS3_Lb0EPKsPsPKlPlN2at6native12_GLOBAL__N_18offset_tEEE10hipError_tPvRmT1_PNSt15iterator_traitsISK_E10value_typeET2_T3_PNSL_ISQ_E10value_typeET4_jRbjT5_SW_jjP12ihipStream_tbEUlT_E0_NS1_11comp_targetILNS1_3genE0ELNS1_11target_archE4294967295ELNS1_3gpuE0ELNS1_3repE0EEENS1_60segmented_radix_sort_warp_sort_medium_config_static_selectorELNS0_4arch9wavefront6targetE0EEEvSK_: ; @_ZN7rocprim17ROCPRIM_400000_NS6detail17trampoline_kernelINS0_14default_configENS1_36segmented_radix_sort_config_selectorIslEEZNS1_25segmented_radix_sort_implIS3_Lb0EPKsPsPKlPlN2at6native12_GLOBAL__N_18offset_tEEE10hipError_tPvRmT1_PNSt15iterator_traitsISK_E10value_typeET2_T3_PNSL_ISQ_E10value_typeET4_jRbjT5_SW_jjP12ihipStream_tbEUlT_E0_NS1_11comp_targetILNS1_3genE0ELNS1_11target_archE4294967295ELNS1_3gpuE0ELNS1_3repE0EEENS1_60segmented_radix_sort_warp_sort_medium_config_static_selectorELNS0_4arch9wavefront6targetE0EEEvSK_
; %bb.0:
	.section	.rodata,"a",@progbits
	.p2align	6, 0x0
	.amdhsa_kernel _ZN7rocprim17ROCPRIM_400000_NS6detail17trampoline_kernelINS0_14default_configENS1_36segmented_radix_sort_config_selectorIslEEZNS1_25segmented_radix_sort_implIS3_Lb0EPKsPsPKlPlN2at6native12_GLOBAL__N_18offset_tEEE10hipError_tPvRmT1_PNSt15iterator_traitsISK_E10value_typeET2_T3_PNSL_ISQ_E10value_typeET4_jRbjT5_SW_jjP12ihipStream_tbEUlT_E0_NS1_11comp_targetILNS1_3genE0ELNS1_11target_archE4294967295ELNS1_3gpuE0ELNS1_3repE0EEENS1_60segmented_radix_sort_warp_sort_medium_config_static_selectorELNS0_4arch9wavefront6targetE0EEEvSK_
		.amdhsa_group_segment_fixed_size 0
		.amdhsa_private_segment_fixed_size 0
		.amdhsa_kernarg_size 88
		.amdhsa_user_sgpr_count 6
		.amdhsa_user_sgpr_private_segment_buffer 1
		.amdhsa_user_sgpr_dispatch_ptr 0
		.amdhsa_user_sgpr_queue_ptr 0
		.amdhsa_user_sgpr_kernarg_segment_ptr 1
		.amdhsa_user_sgpr_dispatch_id 0
		.amdhsa_user_sgpr_flat_scratch_init 0
		.amdhsa_user_sgpr_private_segment_size 0
		.amdhsa_wavefront_size32 1
		.amdhsa_uses_dynamic_stack 0
		.amdhsa_system_sgpr_private_segment_wavefront_offset 0
		.amdhsa_system_sgpr_workgroup_id_x 1
		.amdhsa_system_sgpr_workgroup_id_y 0
		.amdhsa_system_sgpr_workgroup_id_z 0
		.amdhsa_system_sgpr_workgroup_info 0
		.amdhsa_system_vgpr_workitem_id 0
		.amdhsa_next_free_vgpr 1
		.amdhsa_next_free_sgpr 1
		.amdhsa_reserve_vcc 0
		.amdhsa_reserve_flat_scratch 0
		.amdhsa_float_round_mode_32 0
		.amdhsa_float_round_mode_16_64 0
		.amdhsa_float_denorm_mode_32 3
		.amdhsa_float_denorm_mode_16_64 3
		.amdhsa_dx10_clamp 1
		.amdhsa_ieee_mode 1
		.amdhsa_fp16_overflow 0
		.amdhsa_workgroup_processor_mode 1
		.amdhsa_memory_ordered 1
		.amdhsa_forward_progress 1
		.amdhsa_shared_vgpr_count 0
		.amdhsa_exception_fp_ieee_invalid_op 0
		.amdhsa_exception_fp_denorm_src 0
		.amdhsa_exception_fp_ieee_div_zero 0
		.amdhsa_exception_fp_ieee_overflow 0
		.amdhsa_exception_fp_ieee_underflow 0
		.amdhsa_exception_fp_ieee_inexact 0
		.amdhsa_exception_int_div_zero 0
	.end_amdhsa_kernel
	.section	.text._ZN7rocprim17ROCPRIM_400000_NS6detail17trampoline_kernelINS0_14default_configENS1_36segmented_radix_sort_config_selectorIslEEZNS1_25segmented_radix_sort_implIS3_Lb0EPKsPsPKlPlN2at6native12_GLOBAL__N_18offset_tEEE10hipError_tPvRmT1_PNSt15iterator_traitsISK_E10value_typeET2_T3_PNSL_ISQ_E10value_typeET4_jRbjT5_SW_jjP12ihipStream_tbEUlT_E0_NS1_11comp_targetILNS1_3genE0ELNS1_11target_archE4294967295ELNS1_3gpuE0ELNS1_3repE0EEENS1_60segmented_radix_sort_warp_sort_medium_config_static_selectorELNS0_4arch9wavefront6targetE0EEEvSK_,"axG",@progbits,_ZN7rocprim17ROCPRIM_400000_NS6detail17trampoline_kernelINS0_14default_configENS1_36segmented_radix_sort_config_selectorIslEEZNS1_25segmented_radix_sort_implIS3_Lb0EPKsPsPKlPlN2at6native12_GLOBAL__N_18offset_tEEE10hipError_tPvRmT1_PNSt15iterator_traitsISK_E10value_typeET2_T3_PNSL_ISQ_E10value_typeET4_jRbjT5_SW_jjP12ihipStream_tbEUlT_E0_NS1_11comp_targetILNS1_3genE0ELNS1_11target_archE4294967295ELNS1_3gpuE0ELNS1_3repE0EEENS1_60segmented_radix_sort_warp_sort_medium_config_static_selectorELNS0_4arch9wavefront6targetE0EEEvSK_,comdat
.Lfunc_end1017:
	.size	_ZN7rocprim17ROCPRIM_400000_NS6detail17trampoline_kernelINS0_14default_configENS1_36segmented_radix_sort_config_selectorIslEEZNS1_25segmented_radix_sort_implIS3_Lb0EPKsPsPKlPlN2at6native12_GLOBAL__N_18offset_tEEE10hipError_tPvRmT1_PNSt15iterator_traitsISK_E10value_typeET2_T3_PNSL_ISQ_E10value_typeET4_jRbjT5_SW_jjP12ihipStream_tbEUlT_E0_NS1_11comp_targetILNS1_3genE0ELNS1_11target_archE4294967295ELNS1_3gpuE0ELNS1_3repE0EEENS1_60segmented_radix_sort_warp_sort_medium_config_static_selectorELNS0_4arch9wavefront6targetE0EEEvSK_, .Lfunc_end1017-_ZN7rocprim17ROCPRIM_400000_NS6detail17trampoline_kernelINS0_14default_configENS1_36segmented_radix_sort_config_selectorIslEEZNS1_25segmented_radix_sort_implIS3_Lb0EPKsPsPKlPlN2at6native12_GLOBAL__N_18offset_tEEE10hipError_tPvRmT1_PNSt15iterator_traitsISK_E10value_typeET2_T3_PNSL_ISQ_E10value_typeET4_jRbjT5_SW_jjP12ihipStream_tbEUlT_E0_NS1_11comp_targetILNS1_3genE0ELNS1_11target_archE4294967295ELNS1_3gpuE0ELNS1_3repE0EEENS1_60segmented_radix_sort_warp_sort_medium_config_static_selectorELNS0_4arch9wavefront6targetE0EEEvSK_
                                        ; -- End function
	.set _ZN7rocprim17ROCPRIM_400000_NS6detail17trampoline_kernelINS0_14default_configENS1_36segmented_radix_sort_config_selectorIslEEZNS1_25segmented_radix_sort_implIS3_Lb0EPKsPsPKlPlN2at6native12_GLOBAL__N_18offset_tEEE10hipError_tPvRmT1_PNSt15iterator_traitsISK_E10value_typeET2_T3_PNSL_ISQ_E10value_typeET4_jRbjT5_SW_jjP12ihipStream_tbEUlT_E0_NS1_11comp_targetILNS1_3genE0ELNS1_11target_archE4294967295ELNS1_3gpuE0ELNS1_3repE0EEENS1_60segmented_radix_sort_warp_sort_medium_config_static_selectorELNS0_4arch9wavefront6targetE0EEEvSK_.num_vgpr, 0
	.set _ZN7rocprim17ROCPRIM_400000_NS6detail17trampoline_kernelINS0_14default_configENS1_36segmented_radix_sort_config_selectorIslEEZNS1_25segmented_radix_sort_implIS3_Lb0EPKsPsPKlPlN2at6native12_GLOBAL__N_18offset_tEEE10hipError_tPvRmT1_PNSt15iterator_traitsISK_E10value_typeET2_T3_PNSL_ISQ_E10value_typeET4_jRbjT5_SW_jjP12ihipStream_tbEUlT_E0_NS1_11comp_targetILNS1_3genE0ELNS1_11target_archE4294967295ELNS1_3gpuE0ELNS1_3repE0EEENS1_60segmented_radix_sort_warp_sort_medium_config_static_selectorELNS0_4arch9wavefront6targetE0EEEvSK_.num_agpr, 0
	.set _ZN7rocprim17ROCPRIM_400000_NS6detail17trampoline_kernelINS0_14default_configENS1_36segmented_radix_sort_config_selectorIslEEZNS1_25segmented_radix_sort_implIS3_Lb0EPKsPsPKlPlN2at6native12_GLOBAL__N_18offset_tEEE10hipError_tPvRmT1_PNSt15iterator_traitsISK_E10value_typeET2_T3_PNSL_ISQ_E10value_typeET4_jRbjT5_SW_jjP12ihipStream_tbEUlT_E0_NS1_11comp_targetILNS1_3genE0ELNS1_11target_archE4294967295ELNS1_3gpuE0ELNS1_3repE0EEENS1_60segmented_radix_sort_warp_sort_medium_config_static_selectorELNS0_4arch9wavefront6targetE0EEEvSK_.numbered_sgpr, 0
	.set _ZN7rocprim17ROCPRIM_400000_NS6detail17trampoline_kernelINS0_14default_configENS1_36segmented_radix_sort_config_selectorIslEEZNS1_25segmented_radix_sort_implIS3_Lb0EPKsPsPKlPlN2at6native12_GLOBAL__N_18offset_tEEE10hipError_tPvRmT1_PNSt15iterator_traitsISK_E10value_typeET2_T3_PNSL_ISQ_E10value_typeET4_jRbjT5_SW_jjP12ihipStream_tbEUlT_E0_NS1_11comp_targetILNS1_3genE0ELNS1_11target_archE4294967295ELNS1_3gpuE0ELNS1_3repE0EEENS1_60segmented_radix_sort_warp_sort_medium_config_static_selectorELNS0_4arch9wavefront6targetE0EEEvSK_.num_named_barrier, 0
	.set _ZN7rocprim17ROCPRIM_400000_NS6detail17trampoline_kernelINS0_14default_configENS1_36segmented_radix_sort_config_selectorIslEEZNS1_25segmented_radix_sort_implIS3_Lb0EPKsPsPKlPlN2at6native12_GLOBAL__N_18offset_tEEE10hipError_tPvRmT1_PNSt15iterator_traitsISK_E10value_typeET2_T3_PNSL_ISQ_E10value_typeET4_jRbjT5_SW_jjP12ihipStream_tbEUlT_E0_NS1_11comp_targetILNS1_3genE0ELNS1_11target_archE4294967295ELNS1_3gpuE0ELNS1_3repE0EEENS1_60segmented_radix_sort_warp_sort_medium_config_static_selectorELNS0_4arch9wavefront6targetE0EEEvSK_.private_seg_size, 0
	.set _ZN7rocprim17ROCPRIM_400000_NS6detail17trampoline_kernelINS0_14default_configENS1_36segmented_radix_sort_config_selectorIslEEZNS1_25segmented_radix_sort_implIS3_Lb0EPKsPsPKlPlN2at6native12_GLOBAL__N_18offset_tEEE10hipError_tPvRmT1_PNSt15iterator_traitsISK_E10value_typeET2_T3_PNSL_ISQ_E10value_typeET4_jRbjT5_SW_jjP12ihipStream_tbEUlT_E0_NS1_11comp_targetILNS1_3genE0ELNS1_11target_archE4294967295ELNS1_3gpuE0ELNS1_3repE0EEENS1_60segmented_radix_sort_warp_sort_medium_config_static_selectorELNS0_4arch9wavefront6targetE0EEEvSK_.uses_vcc, 0
	.set _ZN7rocprim17ROCPRIM_400000_NS6detail17trampoline_kernelINS0_14default_configENS1_36segmented_radix_sort_config_selectorIslEEZNS1_25segmented_radix_sort_implIS3_Lb0EPKsPsPKlPlN2at6native12_GLOBAL__N_18offset_tEEE10hipError_tPvRmT1_PNSt15iterator_traitsISK_E10value_typeET2_T3_PNSL_ISQ_E10value_typeET4_jRbjT5_SW_jjP12ihipStream_tbEUlT_E0_NS1_11comp_targetILNS1_3genE0ELNS1_11target_archE4294967295ELNS1_3gpuE0ELNS1_3repE0EEENS1_60segmented_radix_sort_warp_sort_medium_config_static_selectorELNS0_4arch9wavefront6targetE0EEEvSK_.uses_flat_scratch, 0
	.set _ZN7rocprim17ROCPRIM_400000_NS6detail17trampoline_kernelINS0_14default_configENS1_36segmented_radix_sort_config_selectorIslEEZNS1_25segmented_radix_sort_implIS3_Lb0EPKsPsPKlPlN2at6native12_GLOBAL__N_18offset_tEEE10hipError_tPvRmT1_PNSt15iterator_traitsISK_E10value_typeET2_T3_PNSL_ISQ_E10value_typeET4_jRbjT5_SW_jjP12ihipStream_tbEUlT_E0_NS1_11comp_targetILNS1_3genE0ELNS1_11target_archE4294967295ELNS1_3gpuE0ELNS1_3repE0EEENS1_60segmented_radix_sort_warp_sort_medium_config_static_selectorELNS0_4arch9wavefront6targetE0EEEvSK_.has_dyn_sized_stack, 0
	.set _ZN7rocprim17ROCPRIM_400000_NS6detail17trampoline_kernelINS0_14default_configENS1_36segmented_radix_sort_config_selectorIslEEZNS1_25segmented_radix_sort_implIS3_Lb0EPKsPsPKlPlN2at6native12_GLOBAL__N_18offset_tEEE10hipError_tPvRmT1_PNSt15iterator_traitsISK_E10value_typeET2_T3_PNSL_ISQ_E10value_typeET4_jRbjT5_SW_jjP12ihipStream_tbEUlT_E0_NS1_11comp_targetILNS1_3genE0ELNS1_11target_archE4294967295ELNS1_3gpuE0ELNS1_3repE0EEENS1_60segmented_radix_sort_warp_sort_medium_config_static_selectorELNS0_4arch9wavefront6targetE0EEEvSK_.has_recursion, 0
	.set _ZN7rocprim17ROCPRIM_400000_NS6detail17trampoline_kernelINS0_14default_configENS1_36segmented_radix_sort_config_selectorIslEEZNS1_25segmented_radix_sort_implIS3_Lb0EPKsPsPKlPlN2at6native12_GLOBAL__N_18offset_tEEE10hipError_tPvRmT1_PNSt15iterator_traitsISK_E10value_typeET2_T3_PNSL_ISQ_E10value_typeET4_jRbjT5_SW_jjP12ihipStream_tbEUlT_E0_NS1_11comp_targetILNS1_3genE0ELNS1_11target_archE4294967295ELNS1_3gpuE0ELNS1_3repE0EEENS1_60segmented_radix_sort_warp_sort_medium_config_static_selectorELNS0_4arch9wavefront6targetE0EEEvSK_.has_indirect_call, 0
	.section	.AMDGPU.csdata,"",@progbits
; Kernel info:
; codeLenInByte = 0
; TotalNumSgprs: 0
; NumVgprs: 0
; ScratchSize: 0
; MemoryBound: 0
; FloatMode: 240
; IeeeMode: 1
; LDSByteSize: 0 bytes/workgroup (compile time only)
; SGPRBlocks: 0
; VGPRBlocks: 0
; NumSGPRsForWavesPerEU: 1
; NumVGPRsForWavesPerEU: 1
; Occupancy: 16
; WaveLimiterHint : 0
; COMPUTE_PGM_RSRC2:SCRATCH_EN: 0
; COMPUTE_PGM_RSRC2:USER_SGPR: 6
; COMPUTE_PGM_RSRC2:TRAP_HANDLER: 0
; COMPUTE_PGM_RSRC2:TGID_X_EN: 1
; COMPUTE_PGM_RSRC2:TGID_Y_EN: 0
; COMPUTE_PGM_RSRC2:TGID_Z_EN: 0
; COMPUTE_PGM_RSRC2:TIDIG_COMP_CNT: 0
	.section	.text._ZN7rocprim17ROCPRIM_400000_NS6detail17trampoline_kernelINS0_14default_configENS1_36segmented_radix_sort_config_selectorIslEEZNS1_25segmented_radix_sort_implIS3_Lb0EPKsPsPKlPlN2at6native12_GLOBAL__N_18offset_tEEE10hipError_tPvRmT1_PNSt15iterator_traitsISK_E10value_typeET2_T3_PNSL_ISQ_E10value_typeET4_jRbjT5_SW_jjP12ihipStream_tbEUlT_E0_NS1_11comp_targetILNS1_3genE5ELNS1_11target_archE942ELNS1_3gpuE9ELNS1_3repE0EEENS1_60segmented_radix_sort_warp_sort_medium_config_static_selectorELNS0_4arch9wavefront6targetE0EEEvSK_,"axG",@progbits,_ZN7rocprim17ROCPRIM_400000_NS6detail17trampoline_kernelINS0_14default_configENS1_36segmented_radix_sort_config_selectorIslEEZNS1_25segmented_radix_sort_implIS3_Lb0EPKsPsPKlPlN2at6native12_GLOBAL__N_18offset_tEEE10hipError_tPvRmT1_PNSt15iterator_traitsISK_E10value_typeET2_T3_PNSL_ISQ_E10value_typeET4_jRbjT5_SW_jjP12ihipStream_tbEUlT_E0_NS1_11comp_targetILNS1_3genE5ELNS1_11target_archE942ELNS1_3gpuE9ELNS1_3repE0EEENS1_60segmented_radix_sort_warp_sort_medium_config_static_selectorELNS0_4arch9wavefront6targetE0EEEvSK_,comdat
	.globl	_ZN7rocprim17ROCPRIM_400000_NS6detail17trampoline_kernelINS0_14default_configENS1_36segmented_radix_sort_config_selectorIslEEZNS1_25segmented_radix_sort_implIS3_Lb0EPKsPsPKlPlN2at6native12_GLOBAL__N_18offset_tEEE10hipError_tPvRmT1_PNSt15iterator_traitsISK_E10value_typeET2_T3_PNSL_ISQ_E10value_typeET4_jRbjT5_SW_jjP12ihipStream_tbEUlT_E0_NS1_11comp_targetILNS1_3genE5ELNS1_11target_archE942ELNS1_3gpuE9ELNS1_3repE0EEENS1_60segmented_radix_sort_warp_sort_medium_config_static_selectorELNS0_4arch9wavefront6targetE0EEEvSK_ ; -- Begin function _ZN7rocprim17ROCPRIM_400000_NS6detail17trampoline_kernelINS0_14default_configENS1_36segmented_radix_sort_config_selectorIslEEZNS1_25segmented_radix_sort_implIS3_Lb0EPKsPsPKlPlN2at6native12_GLOBAL__N_18offset_tEEE10hipError_tPvRmT1_PNSt15iterator_traitsISK_E10value_typeET2_T3_PNSL_ISQ_E10value_typeET4_jRbjT5_SW_jjP12ihipStream_tbEUlT_E0_NS1_11comp_targetILNS1_3genE5ELNS1_11target_archE942ELNS1_3gpuE9ELNS1_3repE0EEENS1_60segmented_radix_sort_warp_sort_medium_config_static_selectorELNS0_4arch9wavefront6targetE0EEEvSK_
	.p2align	8
	.type	_ZN7rocprim17ROCPRIM_400000_NS6detail17trampoline_kernelINS0_14default_configENS1_36segmented_radix_sort_config_selectorIslEEZNS1_25segmented_radix_sort_implIS3_Lb0EPKsPsPKlPlN2at6native12_GLOBAL__N_18offset_tEEE10hipError_tPvRmT1_PNSt15iterator_traitsISK_E10value_typeET2_T3_PNSL_ISQ_E10value_typeET4_jRbjT5_SW_jjP12ihipStream_tbEUlT_E0_NS1_11comp_targetILNS1_3genE5ELNS1_11target_archE942ELNS1_3gpuE9ELNS1_3repE0EEENS1_60segmented_radix_sort_warp_sort_medium_config_static_selectorELNS0_4arch9wavefront6targetE0EEEvSK_,@function
_ZN7rocprim17ROCPRIM_400000_NS6detail17trampoline_kernelINS0_14default_configENS1_36segmented_radix_sort_config_selectorIslEEZNS1_25segmented_radix_sort_implIS3_Lb0EPKsPsPKlPlN2at6native12_GLOBAL__N_18offset_tEEE10hipError_tPvRmT1_PNSt15iterator_traitsISK_E10value_typeET2_T3_PNSL_ISQ_E10value_typeET4_jRbjT5_SW_jjP12ihipStream_tbEUlT_E0_NS1_11comp_targetILNS1_3genE5ELNS1_11target_archE942ELNS1_3gpuE9ELNS1_3repE0EEENS1_60segmented_radix_sort_warp_sort_medium_config_static_selectorELNS0_4arch9wavefront6targetE0EEEvSK_: ; @_ZN7rocprim17ROCPRIM_400000_NS6detail17trampoline_kernelINS0_14default_configENS1_36segmented_radix_sort_config_selectorIslEEZNS1_25segmented_radix_sort_implIS3_Lb0EPKsPsPKlPlN2at6native12_GLOBAL__N_18offset_tEEE10hipError_tPvRmT1_PNSt15iterator_traitsISK_E10value_typeET2_T3_PNSL_ISQ_E10value_typeET4_jRbjT5_SW_jjP12ihipStream_tbEUlT_E0_NS1_11comp_targetILNS1_3genE5ELNS1_11target_archE942ELNS1_3gpuE9ELNS1_3repE0EEENS1_60segmented_radix_sort_warp_sort_medium_config_static_selectorELNS0_4arch9wavefront6targetE0EEEvSK_
; %bb.0:
	.section	.rodata,"a",@progbits
	.p2align	6, 0x0
	.amdhsa_kernel _ZN7rocprim17ROCPRIM_400000_NS6detail17trampoline_kernelINS0_14default_configENS1_36segmented_radix_sort_config_selectorIslEEZNS1_25segmented_radix_sort_implIS3_Lb0EPKsPsPKlPlN2at6native12_GLOBAL__N_18offset_tEEE10hipError_tPvRmT1_PNSt15iterator_traitsISK_E10value_typeET2_T3_PNSL_ISQ_E10value_typeET4_jRbjT5_SW_jjP12ihipStream_tbEUlT_E0_NS1_11comp_targetILNS1_3genE5ELNS1_11target_archE942ELNS1_3gpuE9ELNS1_3repE0EEENS1_60segmented_radix_sort_warp_sort_medium_config_static_selectorELNS0_4arch9wavefront6targetE0EEEvSK_
		.amdhsa_group_segment_fixed_size 0
		.amdhsa_private_segment_fixed_size 0
		.amdhsa_kernarg_size 88
		.amdhsa_user_sgpr_count 6
		.amdhsa_user_sgpr_private_segment_buffer 1
		.amdhsa_user_sgpr_dispatch_ptr 0
		.amdhsa_user_sgpr_queue_ptr 0
		.amdhsa_user_sgpr_kernarg_segment_ptr 1
		.amdhsa_user_sgpr_dispatch_id 0
		.amdhsa_user_sgpr_flat_scratch_init 0
		.amdhsa_user_sgpr_private_segment_size 0
		.amdhsa_wavefront_size32 1
		.amdhsa_uses_dynamic_stack 0
		.amdhsa_system_sgpr_private_segment_wavefront_offset 0
		.amdhsa_system_sgpr_workgroup_id_x 1
		.amdhsa_system_sgpr_workgroup_id_y 0
		.amdhsa_system_sgpr_workgroup_id_z 0
		.amdhsa_system_sgpr_workgroup_info 0
		.amdhsa_system_vgpr_workitem_id 0
		.amdhsa_next_free_vgpr 1
		.amdhsa_next_free_sgpr 1
		.amdhsa_reserve_vcc 0
		.amdhsa_reserve_flat_scratch 0
		.amdhsa_float_round_mode_32 0
		.amdhsa_float_round_mode_16_64 0
		.amdhsa_float_denorm_mode_32 3
		.amdhsa_float_denorm_mode_16_64 3
		.amdhsa_dx10_clamp 1
		.amdhsa_ieee_mode 1
		.amdhsa_fp16_overflow 0
		.amdhsa_workgroup_processor_mode 1
		.amdhsa_memory_ordered 1
		.amdhsa_forward_progress 1
		.amdhsa_shared_vgpr_count 0
		.amdhsa_exception_fp_ieee_invalid_op 0
		.amdhsa_exception_fp_denorm_src 0
		.amdhsa_exception_fp_ieee_div_zero 0
		.amdhsa_exception_fp_ieee_overflow 0
		.amdhsa_exception_fp_ieee_underflow 0
		.amdhsa_exception_fp_ieee_inexact 0
		.amdhsa_exception_int_div_zero 0
	.end_amdhsa_kernel
	.section	.text._ZN7rocprim17ROCPRIM_400000_NS6detail17trampoline_kernelINS0_14default_configENS1_36segmented_radix_sort_config_selectorIslEEZNS1_25segmented_radix_sort_implIS3_Lb0EPKsPsPKlPlN2at6native12_GLOBAL__N_18offset_tEEE10hipError_tPvRmT1_PNSt15iterator_traitsISK_E10value_typeET2_T3_PNSL_ISQ_E10value_typeET4_jRbjT5_SW_jjP12ihipStream_tbEUlT_E0_NS1_11comp_targetILNS1_3genE5ELNS1_11target_archE942ELNS1_3gpuE9ELNS1_3repE0EEENS1_60segmented_radix_sort_warp_sort_medium_config_static_selectorELNS0_4arch9wavefront6targetE0EEEvSK_,"axG",@progbits,_ZN7rocprim17ROCPRIM_400000_NS6detail17trampoline_kernelINS0_14default_configENS1_36segmented_radix_sort_config_selectorIslEEZNS1_25segmented_radix_sort_implIS3_Lb0EPKsPsPKlPlN2at6native12_GLOBAL__N_18offset_tEEE10hipError_tPvRmT1_PNSt15iterator_traitsISK_E10value_typeET2_T3_PNSL_ISQ_E10value_typeET4_jRbjT5_SW_jjP12ihipStream_tbEUlT_E0_NS1_11comp_targetILNS1_3genE5ELNS1_11target_archE942ELNS1_3gpuE9ELNS1_3repE0EEENS1_60segmented_radix_sort_warp_sort_medium_config_static_selectorELNS0_4arch9wavefront6targetE0EEEvSK_,comdat
.Lfunc_end1018:
	.size	_ZN7rocprim17ROCPRIM_400000_NS6detail17trampoline_kernelINS0_14default_configENS1_36segmented_radix_sort_config_selectorIslEEZNS1_25segmented_radix_sort_implIS3_Lb0EPKsPsPKlPlN2at6native12_GLOBAL__N_18offset_tEEE10hipError_tPvRmT1_PNSt15iterator_traitsISK_E10value_typeET2_T3_PNSL_ISQ_E10value_typeET4_jRbjT5_SW_jjP12ihipStream_tbEUlT_E0_NS1_11comp_targetILNS1_3genE5ELNS1_11target_archE942ELNS1_3gpuE9ELNS1_3repE0EEENS1_60segmented_radix_sort_warp_sort_medium_config_static_selectorELNS0_4arch9wavefront6targetE0EEEvSK_, .Lfunc_end1018-_ZN7rocprim17ROCPRIM_400000_NS6detail17trampoline_kernelINS0_14default_configENS1_36segmented_radix_sort_config_selectorIslEEZNS1_25segmented_radix_sort_implIS3_Lb0EPKsPsPKlPlN2at6native12_GLOBAL__N_18offset_tEEE10hipError_tPvRmT1_PNSt15iterator_traitsISK_E10value_typeET2_T3_PNSL_ISQ_E10value_typeET4_jRbjT5_SW_jjP12ihipStream_tbEUlT_E0_NS1_11comp_targetILNS1_3genE5ELNS1_11target_archE942ELNS1_3gpuE9ELNS1_3repE0EEENS1_60segmented_radix_sort_warp_sort_medium_config_static_selectorELNS0_4arch9wavefront6targetE0EEEvSK_
                                        ; -- End function
	.set _ZN7rocprim17ROCPRIM_400000_NS6detail17trampoline_kernelINS0_14default_configENS1_36segmented_radix_sort_config_selectorIslEEZNS1_25segmented_radix_sort_implIS3_Lb0EPKsPsPKlPlN2at6native12_GLOBAL__N_18offset_tEEE10hipError_tPvRmT1_PNSt15iterator_traitsISK_E10value_typeET2_T3_PNSL_ISQ_E10value_typeET4_jRbjT5_SW_jjP12ihipStream_tbEUlT_E0_NS1_11comp_targetILNS1_3genE5ELNS1_11target_archE942ELNS1_3gpuE9ELNS1_3repE0EEENS1_60segmented_radix_sort_warp_sort_medium_config_static_selectorELNS0_4arch9wavefront6targetE0EEEvSK_.num_vgpr, 0
	.set _ZN7rocprim17ROCPRIM_400000_NS6detail17trampoline_kernelINS0_14default_configENS1_36segmented_radix_sort_config_selectorIslEEZNS1_25segmented_radix_sort_implIS3_Lb0EPKsPsPKlPlN2at6native12_GLOBAL__N_18offset_tEEE10hipError_tPvRmT1_PNSt15iterator_traitsISK_E10value_typeET2_T3_PNSL_ISQ_E10value_typeET4_jRbjT5_SW_jjP12ihipStream_tbEUlT_E0_NS1_11comp_targetILNS1_3genE5ELNS1_11target_archE942ELNS1_3gpuE9ELNS1_3repE0EEENS1_60segmented_radix_sort_warp_sort_medium_config_static_selectorELNS0_4arch9wavefront6targetE0EEEvSK_.num_agpr, 0
	.set _ZN7rocprim17ROCPRIM_400000_NS6detail17trampoline_kernelINS0_14default_configENS1_36segmented_radix_sort_config_selectorIslEEZNS1_25segmented_radix_sort_implIS3_Lb0EPKsPsPKlPlN2at6native12_GLOBAL__N_18offset_tEEE10hipError_tPvRmT1_PNSt15iterator_traitsISK_E10value_typeET2_T3_PNSL_ISQ_E10value_typeET4_jRbjT5_SW_jjP12ihipStream_tbEUlT_E0_NS1_11comp_targetILNS1_3genE5ELNS1_11target_archE942ELNS1_3gpuE9ELNS1_3repE0EEENS1_60segmented_radix_sort_warp_sort_medium_config_static_selectorELNS0_4arch9wavefront6targetE0EEEvSK_.numbered_sgpr, 0
	.set _ZN7rocprim17ROCPRIM_400000_NS6detail17trampoline_kernelINS0_14default_configENS1_36segmented_radix_sort_config_selectorIslEEZNS1_25segmented_radix_sort_implIS3_Lb0EPKsPsPKlPlN2at6native12_GLOBAL__N_18offset_tEEE10hipError_tPvRmT1_PNSt15iterator_traitsISK_E10value_typeET2_T3_PNSL_ISQ_E10value_typeET4_jRbjT5_SW_jjP12ihipStream_tbEUlT_E0_NS1_11comp_targetILNS1_3genE5ELNS1_11target_archE942ELNS1_3gpuE9ELNS1_3repE0EEENS1_60segmented_radix_sort_warp_sort_medium_config_static_selectorELNS0_4arch9wavefront6targetE0EEEvSK_.num_named_barrier, 0
	.set _ZN7rocprim17ROCPRIM_400000_NS6detail17trampoline_kernelINS0_14default_configENS1_36segmented_radix_sort_config_selectorIslEEZNS1_25segmented_radix_sort_implIS3_Lb0EPKsPsPKlPlN2at6native12_GLOBAL__N_18offset_tEEE10hipError_tPvRmT1_PNSt15iterator_traitsISK_E10value_typeET2_T3_PNSL_ISQ_E10value_typeET4_jRbjT5_SW_jjP12ihipStream_tbEUlT_E0_NS1_11comp_targetILNS1_3genE5ELNS1_11target_archE942ELNS1_3gpuE9ELNS1_3repE0EEENS1_60segmented_radix_sort_warp_sort_medium_config_static_selectorELNS0_4arch9wavefront6targetE0EEEvSK_.private_seg_size, 0
	.set _ZN7rocprim17ROCPRIM_400000_NS6detail17trampoline_kernelINS0_14default_configENS1_36segmented_radix_sort_config_selectorIslEEZNS1_25segmented_radix_sort_implIS3_Lb0EPKsPsPKlPlN2at6native12_GLOBAL__N_18offset_tEEE10hipError_tPvRmT1_PNSt15iterator_traitsISK_E10value_typeET2_T3_PNSL_ISQ_E10value_typeET4_jRbjT5_SW_jjP12ihipStream_tbEUlT_E0_NS1_11comp_targetILNS1_3genE5ELNS1_11target_archE942ELNS1_3gpuE9ELNS1_3repE0EEENS1_60segmented_radix_sort_warp_sort_medium_config_static_selectorELNS0_4arch9wavefront6targetE0EEEvSK_.uses_vcc, 0
	.set _ZN7rocprim17ROCPRIM_400000_NS6detail17trampoline_kernelINS0_14default_configENS1_36segmented_radix_sort_config_selectorIslEEZNS1_25segmented_radix_sort_implIS3_Lb0EPKsPsPKlPlN2at6native12_GLOBAL__N_18offset_tEEE10hipError_tPvRmT1_PNSt15iterator_traitsISK_E10value_typeET2_T3_PNSL_ISQ_E10value_typeET4_jRbjT5_SW_jjP12ihipStream_tbEUlT_E0_NS1_11comp_targetILNS1_3genE5ELNS1_11target_archE942ELNS1_3gpuE9ELNS1_3repE0EEENS1_60segmented_radix_sort_warp_sort_medium_config_static_selectorELNS0_4arch9wavefront6targetE0EEEvSK_.uses_flat_scratch, 0
	.set _ZN7rocprim17ROCPRIM_400000_NS6detail17trampoline_kernelINS0_14default_configENS1_36segmented_radix_sort_config_selectorIslEEZNS1_25segmented_radix_sort_implIS3_Lb0EPKsPsPKlPlN2at6native12_GLOBAL__N_18offset_tEEE10hipError_tPvRmT1_PNSt15iterator_traitsISK_E10value_typeET2_T3_PNSL_ISQ_E10value_typeET4_jRbjT5_SW_jjP12ihipStream_tbEUlT_E0_NS1_11comp_targetILNS1_3genE5ELNS1_11target_archE942ELNS1_3gpuE9ELNS1_3repE0EEENS1_60segmented_radix_sort_warp_sort_medium_config_static_selectorELNS0_4arch9wavefront6targetE0EEEvSK_.has_dyn_sized_stack, 0
	.set _ZN7rocprim17ROCPRIM_400000_NS6detail17trampoline_kernelINS0_14default_configENS1_36segmented_radix_sort_config_selectorIslEEZNS1_25segmented_radix_sort_implIS3_Lb0EPKsPsPKlPlN2at6native12_GLOBAL__N_18offset_tEEE10hipError_tPvRmT1_PNSt15iterator_traitsISK_E10value_typeET2_T3_PNSL_ISQ_E10value_typeET4_jRbjT5_SW_jjP12ihipStream_tbEUlT_E0_NS1_11comp_targetILNS1_3genE5ELNS1_11target_archE942ELNS1_3gpuE9ELNS1_3repE0EEENS1_60segmented_radix_sort_warp_sort_medium_config_static_selectorELNS0_4arch9wavefront6targetE0EEEvSK_.has_recursion, 0
	.set _ZN7rocprim17ROCPRIM_400000_NS6detail17trampoline_kernelINS0_14default_configENS1_36segmented_radix_sort_config_selectorIslEEZNS1_25segmented_radix_sort_implIS3_Lb0EPKsPsPKlPlN2at6native12_GLOBAL__N_18offset_tEEE10hipError_tPvRmT1_PNSt15iterator_traitsISK_E10value_typeET2_T3_PNSL_ISQ_E10value_typeET4_jRbjT5_SW_jjP12ihipStream_tbEUlT_E0_NS1_11comp_targetILNS1_3genE5ELNS1_11target_archE942ELNS1_3gpuE9ELNS1_3repE0EEENS1_60segmented_radix_sort_warp_sort_medium_config_static_selectorELNS0_4arch9wavefront6targetE0EEEvSK_.has_indirect_call, 0
	.section	.AMDGPU.csdata,"",@progbits
; Kernel info:
; codeLenInByte = 0
; TotalNumSgprs: 0
; NumVgprs: 0
; ScratchSize: 0
; MemoryBound: 0
; FloatMode: 240
; IeeeMode: 1
; LDSByteSize: 0 bytes/workgroup (compile time only)
; SGPRBlocks: 0
; VGPRBlocks: 0
; NumSGPRsForWavesPerEU: 1
; NumVGPRsForWavesPerEU: 1
; Occupancy: 16
; WaveLimiterHint : 0
; COMPUTE_PGM_RSRC2:SCRATCH_EN: 0
; COMPUTE_PGM_RSRC2:USER_SGPR: 6
; COMPUTE_PGM_RSRC2:TRAP_HANDLER: 0
; COMPUTE_PGM_RSRC2:TGID_X_EN: 1
; COMPUTE_PGM_RSRC2:TGID_Y_EN: 0
; COMPUTE_PGM_RSRC2:TGID_Z_EN: 0
; COMPUTE_PGM_RSRC2:TIDIG_COMP_CNT: 0
	.section	.text._ZN7rocprim17ROCPRIM_400000_NS6detail17trampoline_kernelINS0_14default_configENS1_36segmented_radix_sort_config_selectorIslEEZNS1_25segmented_radix_sort_implIS3_Lb0EPKsPsPKlPlN2at6native12_GLOBAL__N_18offset_tEEE10hipError_tPvRmT1_PNSt15iterator_traitsISK_E10value_typeET2_T3_PNSL_ISQ_E10value_typeET4_jRbjT5_SW_jjP12ihipStream_tbEUlT_E0_NS1_11comp_targetILNS1_3genE4ELNS1_11target_archE910ELNS1_3gpuE8ELNS1_3repE0EEENS1_60segmented_radix_sort_warp_sort_medium_config_static_selectorELNS0_4arch9wavefront6targetE0EEEvSK_,"axG",@progbits,_ZN7rocprim17ROCPRIM_400000_NS6detail17trampoline_kernelINS0_14default_configENS1_36segmented_radix_sort_config_selectorIslEEZNS1_25segmented_radix_sort_implIS3_Lb0EPKsPsPKlPlN2at6native12_GLOBAL__N_18offset_tEEE10hipError_tPvRmT1_PNSt15iterator_traitsISK_E10value_typeET2_T3_PNSL_ISQ_E10value_typeET4_jRbjT5_SW_jjP12ihipStream_tbEUlT_E0_NS1_11comp_targetILNS1_3genE4ELNS1_11target_archE910ELNS1_3gpuE8ELNS1_3repE0EEENS1_60segmented_radix_sort_warp_sort_medium_config_static_selectorELNS0_4arch9wavefront6targetE0EEEvSK_,comdat
	.globl	_ZN7rocprim17ROCPRIM_400000_NS6detail17trampoline_kernelINS0_14default_configENS1_36segmented_radix_sort_config_selectorIslEEZNS1_25segmented_radix_sort_implIS3_Lb0EPKsPsPKlPlN2at6native12_GLOBAL__N_18offset_tEEE10hipError_tPvRmT1_PNSt15iterator_traitsISK_E10value_typeET2_T3_PNSL_ISQ_E10value_typeET4_jRbjT5_SW_jjP12ihipStream_tbEUlT_E0_NS1_11comp_targetILNS1_3genE4ELNS1_11target_archE910ELNS1_3gpuE8ELNS1_3repE0EEENS1_60segmented_radix_sort_warp_sort_medium_config_static_selectorELNS0_4arch9wavefront6targetE0EEEvSK_ ; -- Begin function _ZN7rocprim17ROCPRIM_400000_NS6detail17trampoline_kernelINS0_14default_configENS1_36segmented_radix_sort_config_selectorIslEEZNS1_25segmented_radix_sort_implIS3_Lb0EPKsPsPKlPlN2at6native12_GLOBAL__N_18offset_tEEE10hipError_tPvRmT1_PNSt15iterator_traitsISK_E10value_typeET2_T3_PNSL_ISQ_E10value_typeET4_jRbjT5_SW_jjP12ihipStream_tbEUlT_E0_NS1_11comp_targetILNS1_3genE4ELNS1_11target_archE910ELNS1_3gpuE8ELNS1_3repE0EEENS1_60segmented_radix_sort_warp_sort_medium_config_static_selectorELNS0_4arch9wavefront6targetE0EEEvSK_
	.p2align	8
	.type	_ZN7rocprim17ROCPRIM_400000_NS6detail17trampoline_kernelINS0_14default_configENS1_36segmented_radix_sort_config_selectorIslEEZNS1_25segmented_radix_sort_implIS3_Lb0EPKsPsPKlPlN2at6native12_GLOBAL__N_18offset_tEEE10hipError_tPvRmT1_PNSt15iterator_traitsISK_E10value_typeET2_T3_PNSL_ISQ_E10value_typeET4_jRbjT5_SW_jjP12ihipStream_tbEUlT_E0_NS1_11comp_targetILNS1_3genE4ELNS1_11target_archE910ELNS1_3gpuE8ELNS1_3repE0EEENS1_60segmented_radix_sort_warp_sort_medium_config_static_selectorELNS0_4arch9wavefront6targetE0EEEvSK_,@function
_ZN7rocprim17ROCPRIM_400000_NS6detail17trampoline_kernelINS0_14default_configENS1_36segmented_radix_sort_config_selectorIslEEZNS1_25segmented_radix_sort_implIS3_Lb0EPKsPsPKlPlN2at6native12_GLOBAL__N_18offset_tEEE10hipError_tPvRmT1_PNSt15iterator_traitsISK_E10value_typeET2_T3_PNSL_ISQ_E10value_typeET4_jRbjT5_SW_jjP12ihipStream_tbEUlT_E0_NS1_11comp_targetILNS1_3genE4ELNS1_11target_archE910ELNS1_3gpuE8ELNS1_3repE0EEENS1_60segmented_radix_sort_warp_sort_medium_config_static_selectorELNS0_4arch9wavefront6targetE0EEEvSK_: ; @_ZN7rocprim17ROCPRIM_400000_NS6detail17trampoline_kernelINS0_14default_configENS1_36segmented_radix_sort_config_selectorIslEEZNS1_25segmented_radix_sort_implIS3_Lb0EPKsPsPKlPlN2at6native12_GLOBAL__N_18offset_tEEE10hipError_tPvRmT1_PNSt15iterator_traitsISK_E10value_typeET2_T3_PNSL_ISQ_E10value_typeET4_jRbjT5_SW_jjP12ihipStream_tbEUlT_E0_NS1_11comp_targetILNS1_3genE4ELNS1_11target_archE910ELNS1_3gpuE8ELNS1_3repE0EEENS1_60segmented_radix_sort_warp_sort_medium_config_static_selectorELNS0_4arch9wavefront6targetE0EEEvSK_
; %bb.0:
	.section	.rodata,"a",@progbits
	.p2align	6, 0x0
	.amdhsa_kernel _ZN7rocprim17ROCPRIM_400000_NS6detail17trampoline_kernelINS0_14default_configENS1_36segmented_radix_sort_config_selectorIslEEZNS1_25segmented_radix_sort_implIS3_Lb0EPKsPsPKlPlN2at6native12_GLOBAL__N_18offset_tEEE10hipError_tPvRmT1_PNSt15iterator_traitsISK_E10value_typeET2_T3_PNSL_ISQ_E10value_typeET4_jRbjT5_SW_jjP12ihipStream_tbEUlT_E0_NS1_11comp_targetILNS1_3genE4ELNS1_11target_archE910ELNS1_3gpuE8ELNS1_3repE0EEENS1_60segmented_radix_sort_warp_sort_medium_config_static_selectorELNS0_4arch9wavefront6targetE0EEEvSK_
		.amdhsa_group_segment_fixed_size 0
		.amdhsa_private_segment_fixed_size 0
		.amdhsa_kernarg_size 88
		.amdhsa_user_sgpr_count 6
		.amdhsa_user_sgpr_private_segment_buffer 1
		.amdhsa_user_sgpr_dispatch_ptr 0
		.amdhsa_user_sgpr_queue_ptr 0
		.amdhsa_user_sgpr_kernarg_segment_ptr 1
		.amdhsa_user_sgpr_dispatch_id 0
		.amdhsa_user_sgpr_flat_scratch_init 0
		.amdhsa_user_sgpr_private_segment_size 0
		.amdhsa_wavefront_size32 1
		.amdhsa_uses_dynamic_stack 0
		.amdhsa_system_sgpr_private_segment_wavefront_offset 0
		.amdhsa_system_sgpr_workgroup_id_x 1
		.amdhsa_system_sgpr_workgroup_id_y 0
		.amdhsa_system_sgpr_workgroup_id_z 0
		.amdhsa_system_sgpr_workgroup_info 0
		.amdhsa_system_vgpr_workitem_id 0
		.amdhsa_next_free_vgpr 1
		.amdhsa_next_free_sgpr 1
		.amdhsa_reserve_vcc 0
		.amdhsa_reserve_flat_scratch 0
		.amdhsa_float_round_mode_32 0
		.amdhsa_float_round_mode_16_64 0
		.amdhsa_float_denorm_mode_32 3
		.amdhsa_float_denorm_mode_16_64 3
		.amdhsa_dx10_clamp 1
		.amdhsa_ieee_mode 1
		.amdhsa_fp16_overflow 0
		.amdhsa_workgroup_processor_mode 1
		.amdhsa_memory_ordered 1
		.amdhsa_forward_progress 1
		.amdhsa_shared_vgpr_count 0
		.amdhsa_exception_fp_ieee_invalid_op 0
		.amdhsa_exception_fp_denorm_src 0
		.amdhsa_exception_fp_ieee_div_zero 0
		.amdhsa_exception_fp_ieee_overflow 0
		.amdhsa_exception_fp_ieee_underflow 0
		.amdhsa_exception_fp_ieee_inexact 0
		.amdhsa_exception_int_div_zero 0
	.end_amdhsa_kernel
	.section	.text._ZN7rocprim17ROCPRIM_400000_NS6detail17trampoline_kernelINS0_14default_configENS1_36segmented_radix_sort_config_selectorIslEEZNS1_25segmented_radix_sort_implIS3_Lb0EPKsPsPKlPlN2at6native12_GLOBAL__N_18offset_tEEE10hipError_tPvRmT1_PNSt15iterator_traitsISK_E10value_typeET2_T3_PNSL_ISQ_E10value_typeET4_jRbjT5_SW_jjP12ihipStream_tbEUlT_E0_NS1_11comp_targetILNS1_3genE4ELNS1_11target_archE910ELNS1_3gpuE8ELNS1_3repE0EEENS1_60segmented_radix_sort_warp_sort_medium_config_static_selectorELNS0_4arch9wavefront6targetE0EEEvSK_,"axG",@progbits,_ZN7rocprim17ROCPRIM_400000_NS6detail17trampoline_kernelINS0_14default_configENS1_36segmented_radix_sort_config_selectorIslEEZNS1_25segmented_radix_sort_implIS3_Lb0EPKsPsPKlPlN2at6native12_GLOBAL__N_18offset_tEEE10hipError_tPvRmT1_PNSt15iterator_traitsISK_E10value_typeET2_T3_PNSL_ISQ_E10value_typeET4_jRbjT5_SW_jjP12ihipStream_tbEUlT_E0_NS1_11comp_targetILNS1_3genE4ELNS1_11target_archE910ELNS1_3gpuE8ELNS1_3repE0EEENS1_60segmented_radix_sort_warp_sort_medium_config_static_selectorELNS0_4arch9wavefront6targetE0EEEvSK_,comdat
.Lfunc_end1019:
	.size	_ZN7rocprim17ROCPRIM_400000_NS6detail17trampoline_kernelINS0_14default_configENS1_36segmented_radix_sort_config_selectorIslEEZNS1_25segmented_radix_sort_implIS3_Lb0EPKsPsPKlPlN2at6native12_GLOBAL__N_18offset_tEEE10hipError_tPvRmT1_PNSt15iterator_traitsISK_E10value_typeET2_T3_PNSL_ISQ_E10value_typeET4_jRbjT5_SW_jjP12ihipStream_tbEUlT_E0_NS1_11comp_targetILNS1_3genE4ELNS1_11target_archE910ELNS1_3gpuE8ELNS1_3repE0EEENS1_60segmented_radix_sort_warp_sort_medium_config_static_selectorELNS0_4arch9wavefront6targetE0EEEvSK_, .Lfunc_end1019-_ZN7rocprim17ROCPRIM_400000_NS6detail17trampoline_kernelINS0_14default_configENS1_36segmented_radix_sort_config_selectorIslEEZNS1_25segmented_radix_sort_implIS3_Lb0EPKsPsPKlPlN2at6native12_GLOBAL__N_18offset_tEEE10hipError_tPvRmT1_PNSt15iterator_traitsISK_E10value_typeET2_T3_PNSL_ISQ_E10value_typeET4_jRbjT5_SW_jjP12ihipStream_tbEUlT_E0_NS1_11comp_targetILNS1_3genE4ELNS1_11target_archE910ELNS1_3gpuE8ELNS1_3repE0EEENS1_60segmented_radix_sort_warp_sort_medium_config_static_selectorELNS0_4arch9wavefront6targetE0EEEvSK_
                                        ; -- End function
	.set _ZN7rocprim17ROCPRIM_400000_NS6detail17trampoline_kernelINS0_14default_configENS1_36segmented_radix_sort_config_selectorIslEEZNS1_25segmented_radix_sort_implIS3_Lb0EPKsPsPKlPlN2at6native12_GLOBAL__N_18offset_tEEE10hipError_tPvRmT1_PNSt15iterator_traitsISK_E10value_typeET2_T3_PNSL_ISQ_E10value_typeET4_jRbjT5_SW_jjP12ihipStream_tbEUlT_E0_NS1_11comp_targetILNS1_3genE4ELNS1_11target_archE910ELNS1_3gpuE8ELNS1_3repE0EEENS1_60segmented_radix_sort_warp_sort_medium_config_static_selectorELNS0_4arch9wavefront6targetE0EEEvSK_.num_vgpr, 0
	.set _ZN7rocprim17ROCPRIM_400000_NS6detail17trampoline_kernelINS0_14default_configENS1_36segmented_radix_sort_config_selectorIslEEZNS1_25segmented_radix_sort_implIS3_Lb0EPKsPsPKlPlN2at6native12_GLOBAL__N_18offset_tEEE10hipError_tPvRmT1_PNSt15iterator_traitsISK_E10value_typeET2_T3_PNSL_ISQ_E10value_typeET4_jRbjT5_SW_jjP12ihipStream_tbEUlT_E0_NS1_11comp_targetILNS1_3genE4ELNS1_11target_archE910ELNS1_3gpuE8ELNS1_3repE0EEENS1_60segmented_radix_sort_warp_sort_medium_config_static_selectorELNS0_4arch9wavefront6targetE0EEEvSK_.num_agpr, 0
	.set _ZN7rocprim17ROCPRIM_400000_NS6detail17trampoline_kernelINS0_14default_configENS1_36segmented_radix_sort_config_selectorIslEEZNS1_25segmented_radix_sort_implIS3_Lb0EPKsPsPKlPlN2at6native12_GLOBAL__N_18offset_tEEE10hipError_tPvRmT1_PNSt15iterator_traitsISK_E10value_typeET2_T3_PNSL_ISQ_E10value_typeET4_jRbjT5_SW_jjP12ihipStream_tbEUlT_E0_NS1_11comp_targetILNS1_3genE4ELNS1_11target_archE910ELNS1_3gpuE8ELNS1_3repE0EEENS1_60segmented_radix_sort_warp_sort_medium_config_static_selectorELNS0_4arch9wavefront6targetE0EEEvSK_.numbered_sgpr, 0
	.set _ZN7rocprim17ROCPRIM_400000_NS6detail17trampoline_kernelINS0_14default_configENS1_36segmented_radix_sort_config_selectorIslEEZNS1_25segmented_radix_sort_implIS3_Lb0EPKsPsPKlPlN2at6native12_GLOBAL__N_18offset_tEEE10hipError_tPvRmT1_PNSt15iterator_traitsISK_E10value_typeET2_T3_PNSL_ISQ_E10value_typeET4_jRbjT5_SW_jjP12ihipStream_tbEUlT_E0_NS1_11comp_targetILNS1_3genE4ELNS1_11target_archE910ELNS1_3gpuE8ELNS1_3repE0EEENS1_60segmented_radix_sort_warp_sort_medium_config_static_selectorELNS0_4arch9wavefront6targetE0EEEvSK_.num_named_barrier, 0
	.set _ZN7rocprim17ROCPRIM_400000_NS6detail17trampoline_kernelINS0_14default_configENS1_36segmented_radix_sort_config_selectorIslEEZNS1_25segmented_radix_sort_implIS3_Lb0EPKsPsPKlPlN2at6native12_GLOBAL__N_18offset_tEEE10hipError_tPvRmT1_PNSt15iterator_traitsISK_E10value_typeET2_T3_PNSL_ISQ_E10value_typeET4_jRbjT5_SW_jjP12ihipStream_tbEUlT_E0_NS1_11comp_targetILNS1_3genE4ELNS1_11target_archE910ELNS1_3gpuE8ELNS1_3repE0EEENS1_60segmented_radix_sort_warp_sort_medium_config_static_selectorELNS0_4arch9wavefront6targetE0EEEvSK_.private_seg_size, 0
	.set _ZN7rocprim17ROCPRIM_400000_NS6detail17trampoline_kernelINS0_14default_configENS1_36segmented_radix_sort_config_selectorIslEEZNS1_25segmented_radix_sort_implIS3_Lb0EPKsPsPKlPlN2at6native12_GLOBAL__N_18offset_tEEE10hipError_tPvRmT1_PNSt15iterator_traitsISK_E10value_typeET2_T3_PNSL_ISQ_E10value_typeET4_jRbjT5_SW_jjP12ihipStream_tbEUlT_E0_NS1_11comp_targetILNS1_3genE4ELNS1_11target_archE910ELNS1_3gpuE8ELNS1_3repE0EEENS1_60segmented_radix_sort_warp_sort_medium_config_static_selectorELNS0_4arch9wavefront6targetE0EEEvSK_.uses_vcc, 0
	.set _ZN7rocprim17ROCPRIM_400000_NS6detail17trampoline_kernelINS0_14default_configENS1_36segmented_radix_sort_config_selectorIslEEZNS1_25segmented_radix_sort_implIS3_Lb0EPKsPsPKlPlN2at6native12_GLOBAL__N_18offset_tEEE10hipError_tPvRmT1_PNSt15iterator_traitsISK_E10value_typeET2_T3_PNSL_ISQ_E10value_typeET4_jRbjT5_SW_jjP12ihipStream_tbEUlT_E0_NS1_11comp_targetILNS1_3genE4ELNS1_11target_archE910ELNS1_3gpuE8ELNS1_3repE0EEENS1_60segmented_radix_sort_warp_sort_medium_config_static_selectorELNS0_4arch9wavefront6targetE0EEEvSK_.uses_flat_scratch, 0
	.set _ZN7rocprim17ROCPRIM_400000_NS6detail17trampoline_kernelINS0_14default_configENS1_36segmented_radix_sort_config_selectorIslEEZNS1_25segmented_radix_sort_implIS3_Lb0EPKsPsPKlPlN2at6native12_GLOBAL__N_18offset_tEEE10hipError_tPvRmT1_PNSt15iterator_traitsISK_E10value_typeET2_T3_PNSL_ISQ_E10value_typeET4_jRbjT5_SW_jjP12ihipStream_tbEUlT_E0_NS1_11comp_targetILNS1_3genE4ELNS1_11target_archE910ELNS1_3gpuE8ELNS1_3repE0EEENS1_60segmented_radix_sort_warp_sort_medium_config_static_selectorELNS0_4arch9wavefront6targetE0EEEvSK_.has_dyn_sized_stack, 0
	.set _ZN7rocprim17ROCPRIM_400000_NS6detail17trampoline_kernelINS0_14default_configENS1_36segmented_radix_sort_config_selectorIslEEZNS1_25segmented_radix_sort_implIS3_Lb0EPKsPsPKlPlN2at6native12_GLOBAL__N_18offset_tEEE10hipError_tPvRmT1_PNSt15iterator_traitsISK_E10value_typeET2_T3_PNSL_ISQ_E10value_typeET4_jRbjT5_SW_jjP12ihipStream_tbEUlT_E0_NS1_11comp_targetILNS1_3genE4ELNS1_11target_archE910ELNS1_3gpuE8ELNS1_3repE0EEENS1_60segmented_radix_sort_warp_sort_medium_config_static_selectorELNS0_4arch9wavefront6targetE0EEEvSK_.has_recursion, 0
	.set _ZN7rocprim17ROCPRIM_400000_NS6detail17trampoline_kernelINS0_14default_configENS1_36segmented_radix_sort_config_selectorIslEEZNS1_25segmented_radix_sort_implIS3_Lb0EPKsPsPKlPlN2at6native12_GLOBAL__N_18offset_tEEE10hipError_tPvRmT1_PNSt15iterator_traitsISK_E10value_typeET2_T3_PNSL_ISQ_E10value_typeET4_jRbjT5_SW_jjP12ihipStream_tbEUlT_E0_NS1_11comp_targetILNS1_3genE4ELNS1_11target_archE910ELNS1_3gpuE8ELNS1_3repE0EEENS1_60segmented_radix_sort_warp_sort_medium_config_static_selectorELNS0_4arch9wavefront6targetE0EEEvSK_.has_indirect_call, 0
	.section	.AMDGPU.csdata,"",@progbits
; Kernel info:
; codeLenInByte = 0
; TotalNumSgprs: 0
; NumVgprs: 0
; ScratchSize: 0
; MemoryBound: 0
; FloatMode: 240
; IeeeMode: 1
; LDSByteSize: 0 bytes/workgroup (compile time only)
; SGPRBlocks: 0
; VGPRBlocks: 0
; NumSGPRsForWavesPerEU: 1
; NumVGPRsForWavesPerEU: 1
; Occupancy: 16
; WaveLimiterHint : 0
; COMPUTE_PGM_RSRC2:SCRATCH_EN: 0
; COMPUTE_PGM_RSRC2:USER_SGPR: 6
; COMPUTE_PGM_RSRC2:TRAP_HANDLER: 0
; COMPUTE_PGM_RSRC2:TGID_X_EN: 1
; COMPUTE_PGM_RSRC2:TGID_Y_EN: 0
; COMPUTE_PGM_RSRC2:TGID_Z_EN: 0
; COMPUTE_PGM_RSRC2:TIDIG_COMP_CNT: 0
	.section	.text._ZN7rocprim17ROCPRIM_400000_NS6detail17trampoline_kernelINS0_14default_configENS1_36segmented_radix_sort_config_selectorIslEEZNS1_25segmented_radix_sort_implIS3_Lb0EPKsPsPKlPlN2at6native12_GLOBAL__N_18offset_tEEE10hipError_tPvRmT1_PNSt15iterator_traitsISK_E10value_typeET2_T3_PNSL_ISQ_E10value_typeET4_jRbjT5_SW_jjP12ihipStream_tbEUlT_E0_NS1_11comp_targetILNS1_3genE3ELNS1_11target_archE908ELNS1_3gpuE7ELNS1_3repE0EEENS1_60segmented_radix_sort_warp_sort_medium_config_static_selectorELNS0_4arch9wavefront6targetE0EEEvSK_,"axG",@progbits,_ZN7rocprim17ROCPRIM_400000_NS6detail17trampoline_kernelINS0_14default_configENS1_36segmented_radix_sort_config_selectorIslEEZNS1_25segmented_radix_sort_implIS3_Lb0EPKsPsPKlPlN2at6native12_GLOBAL__N_18offset_tEEE10hipError_tPvRmT1_PNSt15iterator_traitsISK_E10value_typeET2_T3_PNSL_ISQ_E10value_typeET4_jRbjT5_SW_jjP12ihipStream_tbEUlT_E0_NS1_11comp_targetILNS1_3genE3ELNS1_11target_archE908ELNS1_3gpuE7ELNS1_3repE0EEENS1_60segmented_radix_sort_warp_sort_medium_config_static_selectorELNS0_4arch9wavefront6targetE0EEEvSK_,comdat
	.globl	_ZN7rocprim17ROCPRIM_400000_NS6detail17trampoline_kernelINS0_14default_configENS1_36segmented_radix_sort_config_selectorIslEEZNS1_25segmented_radix_sort_implIS3_Lb0EPKsPsPKlPlN2at6native12_GLOBAL__N_18offset_tEEE10hipError_tPvRmT1_PNSt15iterator_traitsISK_E10value_typeET2_T3_PNSL_ISQ_E10value_typeET4_jRbjT5_SW_jjP12ihipStream_tbEUlT_E0_NS1_11comp_targetILNS1_3genE3ELNS1_11target_archE908ELNS1_3gpuE7ELNS1_3repE0EEENS1_60segmented_radix_sort_warp_sort_medium_config_static_selectorELNS0_4arch9wavefront6targetE0EEEvSK_ ; -- Begin function _ZN7rocprim17ROCPRIM_400000_NS6detail17trampoline_kernelINS0_14default_configENS1_36segmented_radix_sort_config_selectorIslEEZNS1_25segmented_radix_sort_implIS3_Lb0EPKsPsPKlPlN2at6native12_GLOBAL__N_18offset_tEEE10hipError_tPvRmT1_PNSt15iterator_traitsISK_E10value_typeET2_T3_PNSL_ISQ_E10value_typeET4_jRbjT5_SW_jjP12ihipStream_tbEUlT_E0_NS1_11comp_targetILNS1_3genE3ELNS1_11target_archE908ELNS1_3gpuE7ELNS1_3repE0EEENS1_60segmented_radix_sort_warp_sort_medium_config_static_selectorELNS0_4arch9wavefront6targetE0EEEvSK_
	.p2align	8
	.type	_ZN7rocprim17ROCPRIM_400000_NS6detail17trampoline_kernelINS0_14default_configENS1_36segmented_radix_sort_config_selectorIslEEZNS1_25segmented_radix_sort_implIS3_Lb0EPKsPsPKlPlN2at6native12_GLOBAL__N_18offset_tEEE10hipError_tPvRmT1_PNSt15iterator_traitsISK_E10value_typeET2_T3_PNSL_ISQ_E10value_typeET4_jRbjT5_SW_jjP12ihipStream_tbEUlT_E0_NS1_11comp_targetILNS1_3genE3ELNS1_11target_archE908ELNS1_3gpuE7ELNS1_3repE0EEENS1_60segmented_radix_sort_warp_sort_medium_config_static_selectorELNS0_4arch9wavefront6targetE0EEEvSK_,@function
_ZN7rocprim17ROCPRIM_400000_NS6detail17trampoline_kernelINS0_14default_configENS1_36segmented_radix_sort_config_selectorIslEEZNS1_25segmented_radix_sort_implIS3_Lb0EPKsPsPKlPlN2at6native12_GLOBAL__N_18offset_tEEE10hipError_tPvRmT1_PNSt15iterator_traitsISK_E10value_typeET2_T3_PNSL_ISQ_E10value_typeET4_jRbjT5_SW_jjP12ihipStream_tbEUlT_E0_NS1_11comp_targetILNS1_3genE3ELNS1_11target_archE908ELNS1_3gpuE7ELNS1_3repE0EEENS1_60segmented_radix_sort_warp_sort_medium_config_static_selectorELNS0_4arch9wavefront6targetE0EEEvSK_: ; @_ZN7rocprim17ROCPRIM_400000_NS6detail17trampoline_kernelINS0_14default_configENS1_36segmented_radix_sort_config_selectorIslEEZNS1_25segmented_radix_sort_implIS3_Lb0EPKsPsPKlPlN2at6native12_GLOBAL__N_18offset_tEEE10hipError_tPvRmT1_PNSt15iterator_traitsISK_E10value_typeET2_T3_PNSL_ISQ_E10value_typeET4_jRbjT5_SW_jjP12ihipStream_tbEUlT_E0_NS1_11comp_targetILNS1_3genE3ELNS1_11target_archE908ELNS1_3gpuE7ELNS1_3repE0EEENS1_60segmented_radix_sort_warp_sort_medium_config_static_selectorELNS0_4arch9wavefront6targetE0EEEvSK_
; %bb.0:
	.section	.rodata,"a",@progbits
	.p2align	6, 0x0
	.amdhsa_kernel _ZN7rocprim17ROCPRIM_400000_NS6detail17trampoline_kernelINS0_14default_configENS1_36segmented_radix_sort_config_selectorIslEEZNS1_25segmented_radix_sort_implIS3_Lb0EPKsPsPKlPlN2at6native12_GLOBAL__N_18offset_tEEE10hipError_tPvRmT1_PNSt15iterator_traitsISK_E10value_typeET2_T3_PNSL_ISQ_E10value_typeET4_jRbjT5_SW_jjP12ihipStream_tbEUlT_E0_NS1_11comp_targetILNS1_3genE3ELNS1_11target_archE908ELNS1_3gpuE7ELNS1_3repE0EEENS1_60segmented_radix_sort_warp_sort_medium_config_static_selectorELNS0_4arch9wavefront6targetE0EEEvSK_
		.amdhsa_group_segment_fixed_size 0
		.amdhsa_private_segment_fixed_size 0
		.amdhsa_kernarg_size 88
		.amdhsa_user_sgpr_count 6
		.amdhsa_user_sgpr_private_segment_buffer 1
		.amdhsa_user_sgpr_dispatch_ptr 0
		.amdhsa_user_sgpr_queue_ptr 0
		.amdhsa_user_sgpr_kernarg_segment_ptr 1
		.amdhsa_user_sgpr_dispatch_id 0
		.amdhsa_user_sgpr_flat_scratch_init 0
		.amdhsa_user_sgpr_private_segment_size 0
		.amdhsa_wavefront_size32 1
		.amdhsa_uses_dynamic_stack 0
		.amdhsa_system_sgpr_private_segment_wavefront_offset 0
		.amdhsa_system_sgpr_workgroup_id_x 1
		.amdhsa_system_sgpr_workgroup_id_y 0
		.amdhsa_system_sgpr_workgroup_id_z 0
		.amdhsa_system_sgpr_workgroup_info 0
		.amdhsa_system_vgpr_workitem_id 0
		.amdhsa_next_free_vgpr 1
		.amdhsa_next_free_sgpr 1
		.amdhsa_reserve_vcc 0
		.amdhsa_reserve_flat_scratch 0
		.amdhsa_float_round_mode_32 0
		.amdhsa_float_round_mode_16_64 0
		.amdhsa_float_denorm_mode_32 3
		.amdhsa_float_denorm_mode_16_64 3
		.amdhsa_dx10_clamp 1
		.amdhsa_ieee_mode 1
		.amdhsa_fp16_overflow 0
		.amdhsa_workgroup_processor_mode 1
		.amdhsa_memory_ordered 1
		.amdhsa_forward_progress 1
		.amdhsa_shared_vgpr_count 0
		.amdhsa_exception_fp_ieee_invalid_op 0
		.amdhsa_exception_fp_denorm_src 0
		.amdhsa_exception_fp_ieee_div_zero 0
		.amdhsa_exception_fp_ieee_overflow 0
		.amdhsa_exception_fp_ieee_underflow 0
		.amdhsa_exception_fp_ieee_inexact 0
		.amdhsa_exception_int_div_zero 0
	.end_amdhsa_kernel
	.section	.text._ZN7rocprim17ROCPRIM_400000_NS6detail17trampoline_kernelINS0_14default_configENS1_36segmented_radix_sort_config_selectorIslEEZNS1_25segmented_radix_sort_implIS3_Lb0EPKsPsPKlPlN2at6native12_GLOBAL__N_18offset_tEEE10hipError_tPvRmT1_PNSt15iterator_traitsISK_E10value_typeET2_T3_PNSL_ISQ_E10value_typeET4_jRbjT5_SW_jjP12ihipStream_tbEUlT_E0_NS1_11comp_targetILNS1_3genE3ELNS1_11target_archE908ELNS1_3gpuE7ELNS1_3repE0EEENS1_60segmented_radix_sort_warp_sort_medium_config_static_selectorELNS0_4arch9wavefront6targetE0EEEvSK_,"axG",@progbits,_ZN7rocprim17ROCPRIM_400000_NS6detail17trampoline_kernelINS0_14default_configENS1_36segmented_radix_sort_config_selectorIslEEZNS1_25segmented_radix_sort_implIS3_Lb0EPKsPsPKlPlN2at6native12_GLOBAL__N_18offset_tEEE10hipError_tPvRmT1_PNSt15iterator_traitsISK_E10value_typeET2_T3_PNSL_ISQ_E10value_typeET4_jRbjT5_SW_jjP12ihipStream_tbEUlT_E0_NS1_11comp_targetILNS1_3genE3ELNS1_11target_archE908ELNS1_3gpuE7ELNS1_3repE0EEENS1_60segmented_radix_sort_warp_sort_medium_config_static_selectorELNS0_4arch9wavefront6targetE0EEEvSK_,comdat
.Lfunc_end1020:
	.size	_ZN7rocprim17ROCPRIM_400000_NS6detail17trampoline_kernelINS0_14default_configENS1_36segmented_radix_sort_config_selectorIslEEZNS1_25segmented_radix_sort_implIS3_Lb0EPKsPsPKlPlN2at6native12_GLOBAL__N_18offset_tEEE10hipError_tPvRmT1_PNSt15iterator_traitsISK_E10value_typeET2_T3_PNSL_ISQ_E10value_typeET4_jRbjT5_SW_jjP12ihipStream_tbEUlT_E0_NS1_11comp_targetILNS1_3genE3ELNS1_11target_archE908ELNS1_3gpuE7ELNS1_3repE0EEENS1_60segmented_radix_sort_warp_sort_medium_config_static_selectorELNS0_4arch9wavefront6targetE0EEEvSK_, .Lfunc_end1020-_ZN7rocprim17ROCPRIM_400000_NS6detail17trampoline_kernelINS0_14default_configENS1_36segmented_radix_sort_config_selectorIslEEZNS1_25segmented_radix_sort_implIS3_Lb0EPKsPsPKlPlN2at6native12_GLOBAL__N_18offset_tEEE10hipError_tPvRmT1_PNSt15iterator_traitsISK_E10value_typeET2_T3_PNSL_ISQ_E10value_typeET4_jRbjT5_SW_jjP12ihipStream_tbEUlT_E0_NS1_11comp_targetILNS1_3genE3ELNS1_11target_archE908ELNS1_3gpuE7ELNS1_3repE0EEENS1_60segmented_radix_sort_warp_sort_medium_config_static_selectorELNS0_4arch9wavefront6targetE0EEEvSK_
                                        ; -- End function
	.set _ZN7rocprim17ROCPRIM_400000_NS6detail17trampoline_kernelINS0_14default_configENS1_36segmented_radix_sort_config_selectorIslEEZNS1_25segmented_radix_sort_implIS3_Lb0EPKsPsPKlPlN2at6native12_GLOBAL__N_18offset_tEEE10hipError_tPvRmT1_PNSt15iterator_traitsISK_E10value_typeET2_T3_PNSL_ISQ_E10value_typeET4_jRbjT5_SW_jjP12ihipStream_tbEUlT_E0_NS1_11comp_targetILNS1_3genE3ELNS1_11target_archE908ELNS1_3gpuE7ELNS1_3repE0EEENS1_60segmented_radix_sort_warp_sort_medium_config_static_selectorELNS0_4arch9wavefront6targetE0EEEvSK_.num_vgpr, 0
	.set _ZN7rocprim17ROCPRIM_400000_NS6detail17trampoline_kernelINS0_14default_configENS1_36segmented_radix_sort_config_selectorIslEEZNS1_25segmented_radix_sort_implIS3_Lb0EPKsPsPKlPlN2at6native12_GLOBAL__N_18offset_tEEE10hipError_tPvRmT1_PNSt15iterator_traitsISK_E10value_typeET2_T3_PNSL_ISQ_E10value_typeET4_jRbjT5_SW_jjP12ihipStream_tbEUlT_E0_NS1_11comp_targetILNS1_3genE3ELNS1_11target_archE908ELNS1_3gpuE7ELNS1_3repE0EEENS1_60segmented_radix_sort_warp_sort_medium_config_static_selectorELNS0_4arch9wavefront6targetE0EEEvSK_.num_agpr, 0
	.set _ZN7rocprim17ROCPRIM_400000_NS6detail17trampoline_kernelINS0_14default_configENS1_36segmented_radix_sort_config_selectorIslEEZNS1_25segmented_radix_sort_implIS3_Lb0EPKsPsPKlPlN2at6native12_GLOBAL__N_18offset_tEEE10hipError_tPvRmT1_PNSt15iterator_traitsISK_E10value_typeET2_T3_PNSL_ISQ_E10value_typeET4_jRbjT5_SW_jjP12ihipStream_tbEUlT_E0_NS1_11comp_targetILNS1_3genE3ELNS1_11target_archE908ELNS1_3gpuE7ELNS1_3repE0EEENS1_60segmented_radix_sort_warp_sort_medium_config_static_selectorELNS0_4arch9wavefront6targetE0EEEvSK_.numbered_sgpr, 0
	.set _ZN7rocprim17ROCPRIM_400000_NS6detail17trampoline_kernelINS0_14default_configENS1_36segmented_radix_sort_config_selectorIslEEZNS1_25segmented_radix_sort_implIS3_Lb0EPKsPsPKlPlN2at6native12_GLOBAL__N_18offset_tEEE10hipError_tPvRmT1_PNSt15iterator_traitsISK_E10value_typeET2_T3_PNSL_ISQ_E10value_typeET4_jRbjT5_SW_jjP12ihipStream_tbEUlT_E0_NS1_11comp_targetILNS1_3genE3ELNS1_11target_archE908ELNS1_3gpuE7ELNS1_3repE0EEENS1_60segmented_radix_sort_warp_sort_medium_config_static_selectorELNS0_4arch9wavefront6targetE0EEEvSK_.num_named_barrier, 0
	.set _ZN7rocprim17ROCPRIM_400000_NS6detail17trampoline_kernelINS0_14default_configENS1_36segmented_radix_sort_config_selectorIslEEZNS1_25segmented_radix_sort_implIS3_Lb0EPKsPsPKlPlN2at6native12_GLOBAL__N_18offset_tEEE10hipError_tPvRmT1_PNSt15iterator_traitsISK_E10value_typeET2_T3_PNSL_ISQ_E10value_typeET4_jRbjT5_SW_jjP12ihipStream_tbEUlT_E0_NS1_11comp_targetILNS1_3genE3ELNS1_11target_archE908ELNS1_3gpuE7ELNS1_3repE0EEENS1_60segmented_radix_sort_warp_sort_medium_config_static_selectorELNS0_4arch9wavefront6targetE0EEEvSK_.private_seg_size, 0
	.set _ZN7rocprim17ROCPRIM_400000_NS6detail17trampoline_kernelINS0_14default_configENS1_36segmented_radix_sort_config_selectorIslEEZNS1_25segmented_radix_sort_implIS3_Lb0EPKsPsPKlPlN2at6native12_GLOBAL__N_18offset_tEEE10hipError_tPvRmT1_PNSt15iterator_traitsISK_E10value_typeET2_T3_PNSL_ISQ_E10value_typeET4_jRbjT5_SW_jjP12ihipStream_tbEUlT_E0_NS1_11comp_targetILNS1_3genE3ELNS1_11target_archE908ELNS1_3gpuE7ELNS1_3repE0EEENS1_60segmented_radix_sort_warp_sort_medium_config_static_selectorELNS0_4arch9wavefront6targetE0EEEvSK_.uses_vcc, 0
	.set _ZN7rocprim17ROCPRIM_400000_NS6detail17trampoline_kernelINS0_14default_configENS1_36segmented_radix_sort_config_selectorIslEEZNS1_25segmented_radix_sort_implIS3_Lb0EPKsPsPKlPlN2at6native12_GLOBAL__N_18offset_tEEE10hipError_tPvRmT1_PNSt15iterator_traitsISK_E10value_typeET2_T3_PNSL_ISQ_E10value_typeET4_jRbjT5_SW_jjP12ihipStream_tbEUlT_E0_NS1_11comp_targetILNS1_3genE3ELNS1_11target_archE908ELNS1_3gpuE7ELNS1_3repE0EEENS1_60segmented_radix_sort_warp_sort_medium_config_static_selectorELNS0_4arch9wavefront6targetE0EEEvSK_.uses_flat_scratch, 0
	.set _ZN7rocprim17ROCPRIM_400000_NS6detail17trampoline_kernelINS0_14default_configENS1_36segmented_radix_sort_config_selectorIslEEZNS1_25segmented_radix_sort_implIS3_Lb0EPKsPsPKlPlN2at6native12_GLOBAL__N_18offset_tEEE10hipError_tPvRmT1_PNSt15iterator_traitsISK_E10value_typeET2_T3_PNSL_ISQ_E10value_typeET4_jRbjT5_SW_jjP12ihipStream_tbEUlT_E0_NS1_11comp_targetILNS1_3genE3ELNS1_11target_archE908ELNS1_3gpuE7ELNS1_3repE0EEENS1_60segmented_radix_sort_warp_sort_medium_config_static_selectorELNS0_4arch9wavefront6targetE0EEEvSK_.has_dyn_sized_stack, 0
	.set _ZN7rocprim17ROCPRIM_400000_NS6detail17trampoline_kernelINS0_14default_configENS1_36segmented_radix_sort_config_selectorIslEEZNS1_25segmented_radix_sort_implIS3_Lb0EPKsPsPKlPlN2at6native12_GLOBAL__N_18offset_tEEE10hipError_tPvRmT1_PNSt15iterator_traitsISK_E10value_typeET2_T3_PNSL_ISQ_E10value_typeET4_jRbjT5_SW_jjP12ihipStream_tbEUlT_E0_NS1_11comp_targetILNS1_3genE3ELNS1_11target_archE908ELNS1_3gpuE7ELNS1_3repE0EEENS1_60segmented_radix_sort_warp_sort_medium_config_static_selectorELNS0_4arch9wavefront6targetE0EEEvSK_.has_recursion, 0
	.set _ZN7rocprim17ROCPRIM_400000_NS6detail17trampoline_kernelINS0_14default_configENS1_36segmented_radix_sort_config_selectorIslEEZNS1_25segmented_radix_sort_implIS3_Lb0EPKsPsPKlPlN2at6native12_GLOBAL__N_18offset_tEEE10hipError_tPvRmT1_PNSt15iterator_traitsISK_E10value_typeET2_T3_PNSL_ISQ_E10value_typeET4_jRbjT5_SW_jjP12ihipStream_tbEUlT_E0_NS1_11comp_targetILNS1_3genE3ELNS1_11target_archE908ELNS1_3gpuE7ELNS1_3repE0EEENS1_60segmented_radix_sort_warp_sort_medium_config_static_selectorELNS0_4arch9wavefront6targetE0EEEvSK_.has_indirect_call, 0
	.section	.AMDGPU.csdata,"",@progbits
; Kernel info:
; codeLenInByte = 0
; TotalNumSgprs: 0
; NumVgprs: 0
; ScratchSize: 0
; MemoryBound: 0
; FloatMode: 240
; IeeeMode: 1
; LDSByteSize: 0 bytes/workgroup (compile time only)
; SGPRBlocks: 0
; VGPRBlocks: 0
; NumSGPRsForWavesPerEU: 1
; NumVGPRsForWavesPerEU: 1
; Occupancy: 16
; WaveLimiterHint : 0
; COMPUTE_PGM_RSRC2:SCRATCH_EN: 0
; COMPUTE_PGM_RSRC2:USER_SGPR: 6
; COMPUTE_PGM_RSRC2:TRAP_HANDLER: 0
; COMPUTE_PGM_RSRC2:TGID_X_EN: 1
; COMPUTE_PGM_RSRC2:TGID_Y_EN: 0
; COMPUTE_PGM_RSRC2:TGID_Z_EN: 0
; COMPUTE_PGM_RSRC2:TIDIG_COMP_CNT: 0
	.section	.text._ZN7rocprim17ROCPRIM_400000_NS6detail17trampoline_kernelINS0_14default_configENS1_36segmented_radix_sort_config_selectorIslEEZNS1_25segmented_radix_sort_implIS3_Lb0EPKsPsPKlPlN2at6native12_GLOBAL__N_18offset_tEEE10hipError_tPvRmT1_PNSt15iterator_traitsISK_E10value_typeET2_T3_PNSL_ISQ_E10value_typeET4_jRbjT5_SW_jjP12ihipStream_tbEUlT_E0_NS1_11comp_targetILNS1_3genE2ELNS1_11target_archE906ELNS1_3gpuE6ELNS1_3repE0EEENS1_60segmented_radix_sort_warp_sort_medium_config_static_selectorELNS0_4arch9wavefront6targetE0EEEvSK_,"axG",@progbits,_ZN7rocprim17ROCPRIM_400000_NS6detail17trampoline_kernelINS0_14default_configENS1_36segmented_radix_sort_config_selectorIslEEZNS1_25segmented_radix_sort_implIS3_Lb0EPKsPsPKlPlN2at6native12_GLOBAL__N_18offset_tEEE10hipError_tPvRmT1_PNSt15iterator_traitsISK_E10value_typeET2_T3_PNSL_ISQ_E10value_typeET4_jRbjT5_SW_jjP12ihipStream_tbEUlT_E0_NS1_11comp_targetILNS1_3genE2ELNS1_11target_archE906ELNS1_3gpuE6ELNS1_3repE0EEENS1_60segmented_radix_sort_warp_sort_medium_config_static_selectorELNS0_4arch9wavefront6targetE0EEEvSK_,comdat
	.globl	_ZN7rocprim17ROCPRIM_400000_NS6detail17trampoline_kernelINS0_14default_configENS1_36segmented_radix_sort_config_selectorIslEEZNS1_25segmented_radix_sort_implIS3_Lb0EPKsPsPKlPlN2at6native12_GLOBAL__N_18offset_tEEE10hipError_tPvRmT1_PNSt15iterator_traitsISK_E10value_typeET2_T3_PNSL_ISQ_E10value_typeET4_jRbjT5_SW_jjP12ihipStream_tbEUlT_E0_NS1_11comp_targetILNS1_3genE2ELNS1_11target_archE906ELNS1_3gpuE6ELNS1_3repE0EEENS1_60segmented_radix_sort_warp_sort_medium_config_static_selectorELNS0_4arch9wavefront6targetE0EEEvSK_ ; -- Begin function _ZN7rocprim17ROCPRIM_400000_NS6detail17trampoline_kernelINS0_14default_configENS1_36segmented_radix_sort_config_selectorIslEEZNS1_25segmented_radix_sort_implIS3_Lb0EPKsPsPKlPlN2at6native12_GLOBAL__N_18offset_tEEE10hipError_tPvRmT1_PNSt15iterator_traitsISK_E10value_typeET2_T3_PNSL_ISQ_E10value_typeET4_jRbjT5_SW_jjP12ihipStream_tbEUlT_E0_NS1_11comp_targetILNS1_3genE2ELNS1_11target_archE906ELNS1_3gpuE6ELNS1_3repE0EEENS1_60segmented_radix_sort_warp_sort_medium_config_static_selectorELNS0_4arch9wavefront6targetE0EEEvSK_
	.p2align	8
	.type	_ZN7rocprim17ROCPRIM_400000_NS6detail17trampoline_kernelINS0_14default_configENS1_36segmented_radix_sort_config_selectorIslEEZNS1_25segmented_radix_sort_implIS3_Lb0EPKsPsPKlPlN2at6native12_GLOBAL__N_18offset_tEEE10hipError_tPvRmT1_PNSt15iterator_traitsISK_E10value_typeET2_T3_PNSL_ISQ_E10value_typeET4_jRbjT5_SW_jjP12ihipStream_tbEUlT_E0_NS1_11comp_targetILNS1_3genE2ELNS1_11target_archE906ELNS1_3gpuE6ELNS1_3repE0EEENS1_60segmented_radix_sort_warp_sort_medium_config_static_selectorELNS0_4arch9wavefront6targetE0EEEvSK_,@function
_ZN7rocprim17ROCPRIM_400000_NS6detail17trampoline_kernelINS0_14default_configENS1_36segmented_radix_sort_config_selectorIslEEZNS1_25segmented_radix_sort_implIS3_Lb0EPKsPsPKlPlN2at6native12_GLOBAL__N_18offset_tEEE10hipError_tPvRmT1_PNSt15iterator_traitsISK_E10value_typeET2_T3_PNSL_ISQ_E10value_typeET4_jRbjT5_SW_jjP12ihipStream_tbEUlT_E0_NS1_11comp_targetILNS1_3genE2ELNS1_11target_archE906ELNS1_3gpuE6ELNS1_3repE0EEENS1_60segmented_radix_sort_warp_sort_medium_config_static_selectorELNS0_4arch9wavefront6targetE0EEEvSK_: ; @_ZN7rocprim17ROCPRIM_400000_NS6detail17trampoline_kernelINS0_14default_configENS1_36segmented_radix_sort_config_selectorIslEEZNS1_25segmented_radix_sort_implIS3_Lb0EPKsPsPKlPlN2at6native12_GLOBAL__N_18offset_tEEE10hipError_tPvRmT1_PNSt15iterator_traitsISK_E10value_typeET2_T3_PNSL_ISQ_E10value_typeET4_jRbjT5_SW_jjP12ihipStream_tbEUlT_E0_NS1_11comp_targetILNS1_3genE2ELNS1_11target_archE906ELNS1_3gpuE6ELNS1_3repE0EEENS1_60segmented_radix_sort_warp_sort_medium_config_static_selectorELNS0_4arch9wavefront6targetE0EEEvSK_
; %bb.0:
	.section	.rodata,"a",@progbits
	.p2align	6, 0x0
	.amdhsa_kernel _ZN7rocprim17ROCPRIM_400000_NS6detail17trampoline_kernelINS0_14default_configENS1_36segmented_radix_sort_config_selectorIslEEZNS1_25segmented_radix_sort_implIS3_Lb0EPKsPsPKlPlN2at6native12_GLOBAL__N_18offset_tEEE10hipError_tPvRmT1_PNSt15iterator_traitsISK_E10value_typeET2_T3_PNSL_ISQ_E10value_typeET4_jRbjT5_SW_jjP12ihipStream_tbEUlT_E0_NS1_11comp_targetILNS1_3genE2ELNS1_11target_archE906ELNS1_3gpuE6ELNS1_3repE0EEENS1_60segmented_radix_sort_warp_sort_medium_config_static_selectorELNS0_4arch9wavefront6targetE0EEEvSK_
		.amdhsa_group_segment_fixed_size 0
		.amdhsa_private_segment_fixed_size 0
		.amdhsa_kernarg_size 88
		.amdhsa_user_sgpr_count 6
		.amdhsa_user_sgpr_private_segment_buffer 1
		.amdhsa_user_sgpr_dispatch_ptr 0
		.amdhsa_user_sgpr_queue_ptr 0
		.amdhsa_user_sgpr_kernarg_segment_ptr 1
		.amdhsa_user_sgpr_dispatch_id 0
		.amdhsa_user_sgpr_flat_scratch_init 0
		.amdhsa_user_sgpr_private_segment_size 0
		.amdhsa_wavefront_size32 1
		.amdhsa_uses_dynamic_stack 0
		.amdhsa_system_sgpr_private_segment_wavefront_offset 0
		.amdhsa_system_sgpr_workgroup_id_x 1
		.amdhsa_system_sgpr_workgroup_id_y 0
		.amdhsa_system_sgpr_workgroup_id_z 0
		.amdhsa_system_sgpr_workgroup_info 0
		.amdhsa_system_vgpr_workitem_id 0
		.amdhsa_next_free_vgpr 1
		.amdhsa_next_free_sgpr 1
		.amdhsa_reserve_vcc 0
		.amdhsa_reserve_flat_scratch 0
		.amdhsa_float_round_mode_32 0
		.amdhsa_float_round_mode_16_64 0
		.amdhsa_float_denorm_mode_32 3
		.amdhsa_float_denorm_mode_16_64 3
		.amdhsa_dx10_clamp 1
		.amdhsa_ieee_mode 1
		.amdhsa_fp16_overflow 0
		.amdhsa_workgroup_processor_mode 1
		.amdhsa_memory_ordered 1
		.amdhsa_forward_progress 1
		.amdhsa_shared_vgpr_count 0
		.amdhsa_exception_fp_ieee_invalid_op 0
		.amdhsa_exception_fp_denorm_src 0
		.amdhsa_exception_fp_ieee_div_zero 0
		.amdhsa_exception_fp_ieee_overflow 0
		.amdhsa_exception_fp_ieee_underflow 0
		.amdhsa_exception_fp_ieee_inexact 0
		.amdhsa_exception_int_div_zero 0
	.end_amdhsa_kernel
	.section	.text._ZN7rocprim17ROCPRIM_400000_NS6detail17trampoline_kernelINS0_14default_configENS1_36segmented_radix_sort_config_selectorIslEEZNS1_25segmented_radix_sort_implIS3_Lb0EPKsPsPKlPlN2at6native12_GLOBAL__N_18offset_tEEE10hipError_tPvRmT1_PNSt15iterator_traitsISK_E10value_typeET2_T3_PNSL_ISQ_E10value_typeET4_jRbjT5_SW_jjP12ihipStream_tbEUlT_E0_NS1_11comp_targetILNS1_3genE2ELNS1_11target_archE906ELNS1_3gpuE6ELNS1_3repE0EEENS1_60segmented_radix_sort_warp_sort_medium_config_static_selectorELNS0_4arch9wavefront6targetE0EEEvSK_,"axG",@progbits,_ZN7rocprim17ROCPRIM_400000_NS6detail17trampoline_kernelINS0_14default_configENS1_36segmented_radix_sort_config_selectorIslEEZNS1_25segmented_radix_sort_implIS3_Lb0EPKsPsPKlPlN2at6native12_GLOBAL__N_18offset_tEEE10hipError_tPvRmT1_PNSt15iterator_traitsISK_E10value_typeET2_T3_PNSL_ISQ_E10value_typeET4_jRbjT5_SW_jjP12ihipStream_tbEUlT_E0_NS1_11comp_targetILNS1_3genE2ELNS1_11target_archE906ELNS1_3gpuE6ELNS1_3repE0EEENS1_60segmented_radix_sort_warp_sort_medium_config_static_selectorELNS0_4arch9wavefront6targetE0EEEvSK_,comdat
.Lfunc_end1021:
	.size	_ZN7rocprim17ROCPRIM_400000_NS6detail17trampoline_kernelINS0_14default_configENS1_36segmented_radix_sort_config_selectorIslEEZNS1_25segmented_radix_sort_implIS3_Lb0EPKsPsPKlPlN2at6native12_GLOBAL__N_18offset_tEEE10hipError_tPvRmT1_PNSt15iterator_traitsISK_E10value_typeET2_T3_PNSL_ISQ_E10value_typeET4_jRbjT5_SW_jjP12ihipStream_tbEUlT_E0_NS1_11comp_targetILNS1_3genE2ELNS1_11target_archE906ELNS1_3gpuE6ELNS1_3repE0EEENS1_60segmented_radix_sort_warp_sort_medium_config_static_selectorELNS0_4arch9wavefront6targetE0EEEvSK_, .Lfunc_end1021-_ZN7rocprim17ROCPRIM_400000_NS6detail17trampoline_kernelINS0_14default_configENS1_36segmented_radix_sort_config_selectorIslEEZNS1_25segmented_radix_sort_implIS3_Lb0EPKsPsPKlPlN2at6native12_GLOBAL__N_18offset_tEEE10hipError_tPvRmT1_PNSt15iterator_traitsISK_E10value_typeET2_T3_PNSL_ISQ_E10value_typeET4_jRbjT5_SW_jjP12ihipStream_tbEUlT_E0_NS1_11comp_targetILNS1_3genE2ELNS1_11target_archE906ELNS1_3gpuE6ELNS1_3repE0EEENS1_60segmented_radix_sort_warp_sort_medium_config_static_selectorELNS0_4arch9wavefront6targetE0EEEvSK_
                                        ; -- End function
	.set _ZN7rocprim17ROCPRIM_400000_NS6detail17trampoline_kernelINS0_14default_configENS1_36segmented_radix_sort_config_selectorIslEEZNS1_25segmented_radix_sort_implIS3_Lb0EPKsPsPKlPlN2at6native12_GLOBAL__N_18offset_tEEE10hipError_tPvRmT1_PNSt15iterator_traitsISK_E10value_typeET2_T3_PNSL_ISQ_E10value_typeET4_jRbjT5_SW_jjP12ihipStream_tbEUlT_E0_NS1_11comp_targetILNS1_3genE2ELNS1_11target_archE906ELNS1_3gpuE6ELNS1_3repE0EEENS1_60segmented_radix_sort_warp_sort_medium_config_static_selectorELNS0_4arch9wavefront6targetE0EEEvSK_.num_vgpr, 0
	.set _ZN7rocprim17ROCPRIM_400000_NS6detail17trampoline_kernelINS0_14default_configENS1_36segmented_radix_sort_config_selectorIslEEZNS1_25segmented_radix_sort_implIS3_Lb0EPKsPsPKlPlN2at6native12_GLOBAL__N_18offset_tEEE10hipError_tPvRmT1_PNSt15iterator_traitsISK_E10value_typeET2_T3_PNSL_ISQ_E10value_typeET4_jRbjT5_SW_jjP12ihipStream_tbEUlT_E0_NS1_11comp_targetILNS1_3genE2ELNS1_11target_archE906ELNS1_3gpuE6ELNS1_3repE0EEENS1_60segmented_radix_sort_warp_sort_medium_config_static_selectorELNS0_4arch9wavefront6targetE0EEEvSK_.num_agpr, 0
	.set _ZN7rocprim17ROCPRIM_400000_NS6detail17trampoline_kernelINS0_14default_configENS1_36segmented_radix_sort_config_selectorIslEEZNS1_25segmented_radix_sort_implIS3_Lb0EPKsPsPKlPlN2at6native12_GLOBAL__N_18offset_tEEE10hipError_tPvRmT1_PNSt15iterator_traitsISK_E10value_typeET2_T3_PNSL_ISQ_E10value_typeET4_jRbjT5_SW_jjP12ihipStream_tbEUlT_E0_NS1_11comp_targetILNS1_3genE2ELNS1_11target_archE906ELNS1_3gpuE6ELNS1_3repE0EEENS1_60segmented_radix_sort_warp_sort_medium_config_static_selectorELNS0_4arch9wavefront6targetE0EEEvSK_.numbered_sgpr, 0
	.set _ZN7rocprim17ROCPRIM_400000_NS6detail17trampoline_kernelINS0_14default_configENS1_36segmented_radix_sort_config_selectorIslEEZNS1_25segmented_radix_sort_implIS3_Lb0EPKsPsPKlPlN2at6native12_GLOBAL__N_18offset_tEEE10hipError_tPvRmT1_PNSt15iterator_traitsISK_E10value_typeET2_T3_PNSL_ISQ_E10value_typeET4_jRbjT5_SW_jjP12ihipStream_tbEUlT_E0_NS1_11comp_targetILNS1_3genE2ELNS1_11target_archE906ELNS1_3gpuE6ELNS1_3repE0EEENS1_60segmented_radix_sort_warp_sort_medium_config_static_selectorELNS0_4arch9wavefront6targetE0EEEvSK_.num_named_barrier, 0
	.set _ZN7rocprim17ROCPRIM_400000_NS6detail17trampoline_kernelINS0_14default_configENS1_36segmented_radix_sort_config_selectorIslEEZNS1_25segmented_radix_sort_implIS3_Lb0EPKsPsPKlPlN2at6native12_GLOBAL__N_18offset_tEEE10hipError_tPvRmT1_PNSt15iterator_traitsISK_E10value_typeET2_T3_PNSL_ISQ_E10value_typeET4_jRbjT5_SW_jjP12ihipStream_tbEUlT_E0_NS1_11comp_targetILNS1_3genE2ELNS1_11target_archE906ELNS1_3gpuE6ELNS1_3repE0EEENS1_60segmented_radix_sort_warp_sort_medium_config_static_selectorELNS0_4arch9wavefront6targetE0EEEvSK_.private_seg_size, 0
	.set _ZN7rocprim17ROCPRIM_400000_NS6detail17trampoline_kernelINS0_14default_configENS1_36segmented_radix_sort_config_selectorIslEEZNS1_25segmented_radix_sort_implIS3_Lb0EPKsPsPKlPlN2at6native12_GLOBAL__N_18offset_tEEE10hipError_tPvRmT1_PNSt15iterator_traitsISK_E10value_typeET2_T3_PNSL_ISQ_E10value_typeET4_jRbjT5_SW_jjP12ihipStream_tbEUlT_E0_NS1_11comp_targetILNS1_3genE2ELNS1_11target_archE906ELNS1_3gpuE6ELNS1_3repE0EEENS1_60segmented_radix_sort_warp_sort_medium_config_static_selectorELNS0_4arch9wavefront6targetE0EEEvSK_.uses_vcc, 0
	.set _ZN7rocprim17ROCPRIM_400000_NS6detail17trampoline_kernelINS0_14default_configENS1_36segmented_radix_sort_config_selectorIslEEZNS1_25segmented_radix_sort_implIS3_Lb0EPKsPsPKlPlN2at6native12_GLOBAL__N_18offset_tEEE10hipError_tPvRmT1_PNSt15iterator_traitsISK_E10value_typeET2_T3_PNSL_ISQ_E10value_typeET4_jRbjT5_SW_jjP12ihipStream_tbEUlT_E0_NS1_11comp_targetILNS1_3genE2ELNS1_11target_archE906ELNS1_3gpuE6ELNS1_3repE0EEENS1_60segmented_radix_sort_warp_sort_medium_config_static_selectorELNS0_4arch9wavefront6targetE0EEEvSK_.uses_flat_scratch, 0
	.set _ZN7rocprim17ROCPRIM_400000_NS6detail17trampoline_kernelINS0_14default_configENS1_36segmented_radix_sort_config_selectorIslEEZNS1_25segmented_radix_sort_implIS3_Lb0EPKsPsPKlPlN2at6native12_GLOBAL__N_18offset_tEEE10hipError_tPvRmT1_PNSt15iterator_traitsISK_E10value_typeET2_T3_PNSL_ISQ_E10value_typeET4_jRbjT5_SW_jjP12ihipStream_tbEUlT_E0_NS1_11comp_targetILNS1_3genE2ELNS1_11target_archE906ELNS1_3gpuE6ELNS1_3repE0EEENS1_60segmented_radix_sort_warp_sort_medium_config_static_selectorELNS0_4arch9wavefront6targetE0EEEvSK_.has_dyn_sized_stack, 0
	.set _ZN7rocprim17ROCPRIM_400000_NS6detail17trampoline_kernelINS0_14default_configENS1_36segmented_radix_sort_config_selectorIslEEZNS1_25segmented_radix_sort_implIS3_Lb0EPKsPsPKlPlN2at6native12_GLOBAL__N_18offset_tEEE10hipError_tPvRmT1_PNSt15iterator_traitsISK_E10value_typeET2_T3_PNSL_ISQ_E10value_typeET4_jRbjT5_SW_jjP12ihipStream_tbEUlT_E0_NS1_11comp_targetILNS1_3genE2ELNS1_11target_archE906ELNS1_3gpuE6ELNS1_3repE0EEENS1_60segmented_radix_sort_warp_sort_medium_config_static_selectorELNS0_4arch9wavefront6targetE0EEEvSK_.has_recursion, 0
	.set _ZN7rocprim17ROCPRIM_400000_NS6detail17trampoline_kernelINS0_14default_configENS1_36segmented_radix_sort_config_selectorIslEEZNS1_25segmented_radix_sort_implIS3_Lb0EPKsPsPKlPlN2at6native12_GLOBAL__N_18offset_tEEE10hipError_tPvRmT1_PNSt15iterator_traitsISK_E10value_typeET2_T3_PNSL_ISQ_E10value_typeET4_jRbjT5_SW_jjP12ihipStream_tbEUlT_E0_NS1_11comp_targetILNS1_3genE2ELNS1_11target_archE906ELNS1_3gpuE6ELNS1_3repE0EEENS1_60segmented_radix_sort_warp_sort_medium_config_static_selectorELNS0_4arch9wavefront6targetE0EEEvSK_.has_indirect_call, 0
	.section	.AMDGPU.csdata,"",@progbits
; Kernel info:
; codeLenInByte = 0
; TotalNumSgprs: 0
; NumVgprs: 0
; ScratchSize: 0
; MemoryBound: 0
; FloatMode: 240
; IeeeMode: 1
; LDSByteSize: 0 bytes/workgroup (compile time only)
; SGPRBlocks: 0
; VGPRBlocks: 0
; NumSGPRsForWavesPerEU: 1
; NumVGPRsForWavesPerEU: 1
; Occupancy: 16
; WaveLimiterHint : 0
; COMPUTE_PGM_RSRC2:SCRATCH_EN: 0
; COMPUTE_PGM_RSRC2:USER_SGPR: 6
; COMPUTE_PGM_RSRC2:TRAP_HANDLER: 0
; COMPUTE_PGM_RSRC2:TGID_X_EN: 1
; COMPUTE_PGM_RSRC2:TGID_Y_EN: 0
; COMPUTE_PGM_RSRC2:TGID_Z_EN: 0
; COMPUTE_PGM_RSRC2:TIDIG_COMP_CNT: 0
	.section	.text._ZN7rocprim17ROCPRIM_400000_NS6detail17trampoline_kernelINS0_14default_configENS1_36segmented_radix_sort_config_selectorIslEEZNS1_25segmented_radix_sort_implIS3_Lb0EPKsPsPKlPlN2at6native12_GLOBAL__N_18offset_tEEE10hipError_tPvRmT1_PNSt15iterator_traitsISK_E10value_typeET2_T3_PNSL_ISQ_E10value_typeET4_jRbjT5_SW_jjP12ihipStream_tbEUlT_E0_NS1_11comp_targetILNS1_3genE10ELNS1_11target_archE1201ELNS1_3gpuE5ELNS1_3repE0EEENS1_60segmented_radix_sort_warp_sort_medium_config_static_selectorELNS0_4arch9wavefront6targetE0EEEvSK_,"axG",@progbits,_ZN7rocprim17ROCPRIM_400000_NS6detail17trampoline_kernelINS0_14default_configENS1_36segmented_radix_sort_config_selectorIslEEZNS1_25segmented_radix_sort_implIS3_Lb0EPKsPsPKlPlN2at6native12_GLOBAL__N_18offset_tEEE10hipError_tPvRmT1_PNSt15iterator_traitsISK_E10value_typeET2_T3_PNSL_ISQ_E10value_typeET4_jRbjT5_SW_jjP12ihipStream_tbEUlT_E0_NS1_11comp_targetILNS1_3genE10ELNS1_11target_archE1201ELNS1_3gpuE5ELNS1_3repE0EEENS1_60segmented_radix_sort_warp_sort_medium_config_static_selectorELNS0_4arch9wavefront6targetE0EEEvSK_,comdat
	.globl	_ZN7rocprim17ROCPRIM_400000_NS6detail17trampoline_kernelINS0_14default_configENS1_36segmented_radix_sort_config_selectorIslEEZNS1_25segmented_radix_sort_implIS3_Lb0EPKsPsPKlPlN2at6native12_GLOBAL__N_18offset_tEEE10hipError_tPvRmT1_PNSt15iterator_traitsISK_E10value_typeET2_T3_PNSL_ISQ_E10value_typeET4_jRbjT5_SW_jjP12ihipStream_tbEUlT_E0_NS1_11comp_targetILNS1_3genE10ELNS1_11target_archE1201ELNS1_3gpuE5ELNS1_3repE0EEENS1_60segmented_radix_sort_warp_sort_medium_config_static_selectorELNS0_4arch9wavefront6targetE0EEEvSK_ ; -- Begin function _ZN7rocprim17ROCPRIM_400000_NS6detail17trampoline_kernelINS0_14default_configENS1_36segmented_radix_sort_config_selectorIslEEZNS1_25segmented_radix_sort_implIS3_Lb0EPKsPsPKlPlN2at6native12_GLOBAL__N_18offset_tEEE10hipError_tPvRmT1_PNSt15iterator_traitsISK_E10value_typeET2_T3_PNSL_ISQ_E10value_typeET4_jRbjT5_SW_jjP12ihipStream_tbEUlT_E0_NS1_11comp_targetILNS1_3genE10ELNS1_11target_archE1201ELNS1_3gpuE5ELNS1_3repE0EEENS1_60segmented_radix_sort_warp_sort_medium_config_static_selectorELNS0_4arch9wavefront6targetE0EEEvSK_
	.p2align	8
	.type	_ZN7rocprim17ROCPRIM_400000_NS6detail17trampoline_kernelINS0_14default_configENS1_36segmented_radix_sort_config_selectorIslEEZNS1_25segmented_radix_sort_implIS3_Lb0EPKsPsPKlPlN2at6native12_GLOBAL__N_18offset_tEEE10hipError_tPvRmT1_PNSt15iterator_traitsISK_E10value_typeET2_T3_PNSL_ISQ_E10value_typeET4_jRbjT5_SW_jjP12ihipStream_tbEUlT_E0_NS1_11comp_targetILNS1_3genE10ELNS1_11target_archE1201ELNS1_3gpuE5ELNS1_3repE0EEENS1_60segmented_radix_sort_warp_sort_medium_config_static_selectorELNS0_4arch9wavefront6targetE0EEEvSK_,@function
_ZN7rocprim17ROCPRIM_400000_NS6detail17trampoline_kernelINS0_14default_configENS1_36segmented_radix_sort_config_selectorIslEEZNS1_25segmented_radix_sort_implIS3_Lb0EPKsPsPKlPlN2at6native12_GLOBAL__N_18offset_tEEE10hipError_tPvRmT1_PNSt15iterator_traitsISK_E10value_typeET2_T3_PNSL_ISQ_E10value_typeET4_jRbjT5_SW_jjP12ihipStream_tbEUlT_E0_NS1_11comp_targetILNS1_3genE10ELNS1_11target_archE1201ELNS1_3gpuE5ELNS1_3repE0EEENS1_60segmented_radix_sort_warp_sort_medium_config_static_selectorELNS0_4arch9wavefront6targetE0EEEvSK_: ; @_ZN7rocprim17ROCPRIM_400000_NS6detail17trampoline_kernelINS0_14default_configENS1_36segmented_radix_sort_config_selectorIslEEZNS1_25segmented_radix_sort_implIS3_Lb0EPKsPsPKlPlN2at6native12_GLOBAL__N_18offset_tEEE10hipError_tPvRmT1_PNSt15iterator_traitsISK_E10value_typeET2_T3_PNSL_ISQ_E10value_typeET4_jRbjT5_SW_jjP12ihipStream_tbEUlT_E0_NS1_11comp_targetILNS1_3genE10ELNS1_11target_archE1201ELNS1_3gpuE5ELNS1_3repE0EEENS1_60segmented_radix_sort_warp_sort_medium_config_static_selectorELNS0_4arch9wavefront6targetE0EEEvSK_
; %bb.0:
	.section	.rodata,"a",@progbits
	.p2align	6, 0x0
	.amdhsa_kernel _ZN7rocprim17ROCPRIM_400000_NS6detail17trampoline_kernelINS0_14default_configENS1_36segmented_radix_sort_config_selectorIslEEZNS1_25segmented_radix_sort_implIS3_Lb0EPKsPsPKlPlN2at6native12_GLOBAL__N_18offset_tEEE10hipError_tPvRmT1_PNSt15iterator_traitsISK_E10value_typeET2_T3_PNSL_ISQ_E10value_typeET4_jRbjT5_SW_jjP12ihipStream_tbEUlT_E0_NS1_11comp_targetILNS1_3genE10ELNS1_11target_archE1201ELNS1_3gpuE5ELNS1_3repE0EEENS1_60segmented_radix_sort_warp_sort_medium_config_static_selectorELNS0_4arch9wavefront6targetE0EEEvSK_
		.amdhsa_group_segment_fixed_size 0
		.amdhsa_private_segment_fixed_size 0
		.amdhsa_kernarg_size 88
		.amdhsa_user_sgpr_count 6
		.amdhsa_user_sgpr_private_segment_buffer 1
		.amdhsa_user_sgpr_dispatch_ptr 0
		.amdhsa_user_sgpr_queue_ptr 0
		.amdhsa_user_sgpr_kernarg_segment_ptr 1
		.amdhsa_user_sgpr_dispatch_id 0
		.amdhsa_user_sgpr_flat_scratch_init 0
		.amdhsa_user_sgpr_private_segment_size 0
		.amdhsa_wavefront_size32 1
		.amdhsa_uses_dynamic_stack 0
		.amdhsa_system_sgpr_private_segment_wavefront_offset 0
		.amdhsa_system_sgpr_workgroup_id_x 1
		.amdhsa_system_sgpr_workgroup_id_y 0
		.amdhsa_system_sgpr_workgroup_id_z 0
		.amdhsa_system_sgpr_workgroup_info 0
		.amdhsa_system_vgpr_workitem_id 0
		.amdhsa_next_free_vgpr 1
		.amdhsa_next_free_sgpr 1
		.amdhsa_reserve_vcc 0
		.amdhsa_reserve_flat_scratch 0
		.amdhsa_float_round_mode_32 0
		.amdhsa_float_round_mode_16_64 0
		.amdhsa_float_denorm_mode_32 3
		.amdhsa_float_denorm_mode_16_64 3
		.amdhsa_dx10_clamp 1
		.amdhsa_ieee_mode 1
		.amdhsa_fp16_overflow 0
		.amdhsa_workgroup_processor_mode 1
		.amdhsa_memory_ordered 1
		.amdhsa_forward_progress 1
		.amdhsa_shared_vgpr_count 0
		.amdhsa_exception_fp_ieee_invalid_op 0
		.amdhsa_exception_fp_denorm_src 0
		.amdhsa_exception_fp_ieee_div_zero 0
		.amdhsa_exception_fp_ieee_overflow 0
		.amdhsa_exception_fp_ieee_underflow 0
		.amdhsa_exception_fp_ieee_inexact 0
		.amdhsa_exception_int_div_zero 0
	.end_amdhsa_kernel
	.section	.text._ZN7rocprim17ROCPRIM_400000_NS6detail17trampoline_kernelINS0_14default_configENS1_36segmented_radix_sort_config_selectorIslEEZNS1_25segmented_radix_sort_implIS3_Lb0EPKsPsPKlPlN2at6native12_GLOBAL__N_18offset_tEEE10hipError_tPvRmT1_PNSt15iterator_traitsISK_E10value_typeET2_T3_PNSL_ISQ_E10value_typeET4_jRbjT5_SW_jjP12ihipStream_tbEUlT_E0_NS1_11comp_targetILNS1_3genE10ELNS1_11target_archE1201ELNS1_3gpuE5ELNS1_3repE0EEENS1_60segmented_radix_sort_warp_sort_medium_config_static_selectorELNS0_4arch9wavefront6targetE0EEEvSK_,"axG",@progbits,_ZN7rocprim17ROCPRIM_400000_NS6detail17trampoline_kernelINS0_14default_configENS1_36segmented_radix_sort_config_selectorIslEEZNS1_25segmented_radix_sort_implIS3_Lb0EPKsPsPKlPlN2at6native12_GLOBAL__N_18offset_tEEE10hipError_tPvRmT1_PNSt15iterator_traitsISK_E10value_typeET2_T3_PNSL_ISQ_E10value_typeET4_jRbjT5_SW_jjP12ihipStream_tbEUlT_E0_NS1_11comp_targetILNS1_3genE10ELNS1_11target_archE1201ELNS1_3gpuE5ELNS1_3repE0EEENS1_60segmented_radix_sort_warp_sort_medium_config_static_selectorELNS0_4arch9wavefront6targetE0EEEvSK_,comdat
.Lfunc_end1022:
	.size	_ZN7rocprim17ROCPRIM_400000_NS6detail17trampoline_kernelINS0_14default_configENS1_36segmented_radix_sort_config_selectorIslEEZNS1_25segmented_radix_sort_implIS3_Lb0EPKsPsPKlPlN2at6native12_GLOBAL__N_18offset_tEEE10hipError_tPvRmT1_PNSt15iterator_traitsISK_E10value_typeET2_T3_PNSL_ISQ_E10value_typeET4_jRbjT5_SW_jjP12ihipStream_tbEUlT_E0_NS1_11comp_targetILNS1_3genE10ELNS1_11target_archE1201ELNS1_3gpuE5ELNS1_3repE0EEENS1_60segmented_radix_sort_warp_sort_medium_config_static_selectorELNS0_4arch9wavefront6targetE0EEEvSK_, .Lfunc_end1022-_ZN7rocprim17ROCPRIM_400000_NS6detail17trampoline_kernelINS0_14default_configENS1_36segmented_radix_sort_config_selectorIslEEZNS1_25segmented_radix_sort_implIS3_Lb0EPKsPsPKlPlN2at6native12_GLOBAL__N_18offset_tEEE10hipError_tPvRmT1_PNSt15iterator_traitsISK_E10value_typeET2_T3_PNSL_ISQ_E10value_typeET4_jRbjT5_SW_jjP12ihipStream_tbEUlT_E0_NS1_11comp_targetILNS1_3genE10ELNS1_11target_archE1201ELNS1_3gpuE5ELNS1_3repE0EEENS1_60segmented_radix_sort_warp_sort_medium_config_static_selectorELNS0_4arch9wavefront6targetE0EEEvSK_
                                        ; -- End function
	.set _ZN7rocprim17ROCPRIM_400000_NS6detail17trampoline_kernelINS0_14default_configENS1_36segmented_radix_sort_config_selectorIslEEZNS1_25segmented_radix_sort_implIS3_Lb0EPKsPsPKlPlN2at6native12_GLOBAL__N_18offset_tEEE10hipError_tPvRmT1_PNSt15iterator_traitsISK_E10value_typeET2_T3_PNSL_ISQ_E10value_typeET4_jRbjT5_SW_jjP12ihipStream_tbEUlT_E0_NS1_11comp_targetILNS1_3genE10ELNS1_11target_archE1201ELNS1_3gpuE5ELNS1_3repE0EEENS1_60segmented_radix_sort_warp_sort_medium_config_static_selectorELNS0_4arch9wavefront6targetE0EEEvSK_.num_vgpr, 0
	.set _ZN7rocprim17ROCPRIM_400000_NS6detail17trampoline_kernelINS0_14default_configENS1_36segmented_radix_sort_config_selectorIslEEZNS1_25segmented_radix_sort_implIS3_Lb0EPKsPsPKlPlN2at6native12_GLOBAL__N_18offset_tEEE10hipError_tPvRmT1_PNSt15iterator_traitsISK_E10value_typeET2_T3_PNSL_ISQ_E10value_typeET4_jRbjT5_SW_jjP12ihipStream_tbEUlT_E0_NS1_11comp_targetILNS1_3genE10ELNS1_11target_archE1201ELNS1_3gpuE5ELNS1_3repE0EEENS1_60segmented_radix_sort_warp_sort_medium_config_static_selectorELNS0_4arch9wavefront6targetE0EEEvSK_.num_agpr, 0
	.set _ZN7rocprim17ROCPRIM_400000_NS6detail17trampoline_kernelINS0_14default_configENS1_36segmented_radix_sort_config_selectorIslEEZNS1_25segmented_radix_sort_implIS3_Lb0EPKsPsPKlPlN2at6native12_GLOBAL__N_18offset_tEEE10hipError_tPvRmT1_PNSt15iterator_traitsISK_E10value_typeET2_T3_PNSL_ISQ_E10value_typeET4_jRbjT5_SW_jjP12ihipStream_tbEUlT_E0_NS1_11comp_targetILNS1_3genE10ELNS1_11target_archE1201ELNS1_3gpuE5ELNS1_3repE0EEENS1_60segmented_radix_sort_warp_sort_medium_config_static_selectorELNS0_4arch9wavefront6targetE0EEEvSK_.numbered_sgpr, 0
	.set _ZN7rocprim17ROCPRIM_400000_NS6detail17trampoline_kernelINS0_14default_configENS1_36segmented_radix_sort_config_selectorIslEEZNS1_25segmented_radix_sort_implIS3_Lb0EPKsPsPKlPlN2at6native12_GLOBAL__N_18offset_tEEE10hipError_tPvRmT1_PNSt15iterator_traitsISK_E10value_typeET2_T3_PNSL_ISQ_E10value_typeET4_jRbjT5_SW_jjP12ihipStream_tbEUlT_E0_NS1_11comp_targetILNS1_3genE10ELNS1_11target_archE1201ELNS1_3gpuE5ELNS1_3repE0EEENS1_60segmented_radix_sort_warp_sort_medium_config_static_selectorELNS0_4arch9wavefront6targetE0EEEvSK_.num_named_barrier, 0
	.set _ZN7rocprim17ROCPRIM_400000_NS6detail17trampoline_kernelINS0_14default_configENS1_36segmented_radix_sort_config_selectorIslEEZNS1_25segmented_radix_sort_implIS3_Lb0EPKsPsPKlPlN2at6native12_GLOBAL__N_18offset_tEEE10hipError_tPvRmT1_PNSt15iterator_traitsISK_E10value_typeET2_T3_PNSL_ISQ_E10value_typeET4_jRbjT5_SW_jjP12ihipStream_tbEUlT_E0_NS1_11comp_targetILNS1_3genE10ELNS1_11target_archE1201ELNS1_3gpuE5ELNS1_3repE0EEENS1_60segmented_radix_sort_warp_sort_medium_config_static_selectorELNS0_4arch9wavefront6targetE0EEEvSK_.private_seg_size, 0
	.set _ZN7rocprim17ROCPRIM_400000_NS6detail17trampoline_kernelINS0_14default_configENS1_36segmented_radix_sort_config_selectorIslEEZNS1_25segmented_radix_sort_implIS3_Lb0EPKsPsPKlPlN2at6native12_GLOBAL__N_18offset_tEEE10hipError_tPvRmT1_PNSt15iterator_traitsISK_E10value_typeET2_T3_PNSL_ISQ_E10value_typeET4_jRbjT5_SW_jjP12ihipStream_tbEUlT_E0_NS1_11comp_targetILNS1_3genE10ELNS1_11target_archE1201ELNS1_3gpuE5ELNS1_3repE0EEENS1_60segmented_radix_sort_warp_sort_medium_config_static_selectorELNS0_4arch9wavefront6targetE0EEEvSK_.uses_vcc, 0
	.set _ZN7rocprim17ROCPRIM_400000_NS6detail17trampoline_kernelINS0_14default_configENS1_36segmented_radix_sort_config_selectorIslEEZNS1_25segmented_radix_sort_implIS3_Lb0EPKsPsPKlPlN2at6native12_GLOBAL__N_18offset_tEEE10hipError_tPvRmT1_PNSt15iterator_traitsISK_E10value_typeET2_T3_PNSL_ISQ_E10value_typeET4_jRbjT5_SW_jjP12ihipStream_tbEUlT_E0_NS1_11comp_targetILNS1_3genE10ELNS1_11target_archE1201ELNS1_3gpuE5ELNS1_3repE0EEENS1_60segmented_radix_sort_warp_sort_medium_config_static_selectorELNS0_4arch9wavefront6targetE0EEEvSK_.uses_flat_scratch, 0
	.set _ZN7rocprim17ROCPRIM_400000_NS6detail17trampoline_kernelINS0_14default_configENS1_36segmented_radix_sort_config_selectorIslEEZNS1_25segmented_radix_sort_implIS3_Lb0EPKsPsPKlPlN2at6native12_GLOBAL__N_18offset_tEEE10hipError_tPvRmT1_PNSt15iterator_traitsISK_E10value_typeET2_T3_PNSL_ISQ_E10value_typeET4_jRbjT5_SW_jjP12ihipStream_tbEUlT_E0_NS1_11comp_targetILNS1_3genE10ELNS1_11target_archE1201ELNS1_3gpuE5ELNS1_3repE0EEENS1_60segmented_radix_sort_warp_sort_medium_config_static_selectorELNS0_4arch9wavefront6targetE0EEEvSK_.has_dyn_sized_stack, 0
	.set _ZN7rocprim17ROCPRIM_400000_NS6detail17trampoline_kernelINS0_14default_configENS1_36segmented_radix_sort_config_selectorIslEEZNS1_25segmented_radix_sort_implIS3_Lb0EPKsPsPKlPlN2at6native12_GLOBAL__N_18offset_tEEE10hipError_tPvRmT1_PNSt15iterator_traitsISK_E10value_typeET2_T3_PNSL_ISQ_E10value_typeET4_jRbjT5_SW_jjP12ihipStream_tbEUlT_E0_NS1_11comp_targetILNS1_3genE10ELNS1_11target_archE1201ELNS1_3gpuE5ELNS1_3repE0EEENS1_60segmented_radix_sort_warp_sort_medium_config_static_selectorELNS0_4arch9wavefront6targetE0EEEvSK_.has_recursion, 0
	.set _ZN7rocprim17ROCPRIM_400000_NS6detail17trampoline_kernelINS0_14default_configENS1_36segmented_radix_sort_config_selectorIslEEZNS1_25segmented_radix_sort_implIS3_Lb0EPKsPsPKlPlN2at6native12_GLOBAL__N_18offset_tEEE10hipError_tPvRmT1_PNSt15iterator_traitsISK_E10value_typeET2_T3_PNSL_ISQ_E10value_typeET4_jRbjT5_SW_jjP12ihipStream_tbEUlT_E0_NS1_11comp_targetILNS1_3genE10ELNS1_11target_archE1201ELNS1_3gpuE5ELNS1_3repE0EEENS1_60segmented_radix_sort_warp_sort_medium_config_static_selectorELNS0_4arch9wavefront6targetE0EEEvSK_.has_indirect_call, 0
	.section	.AMDGPU.csdata,"",@progbits
; Kernel info:
; codeLenInByte = 0
; TotalNumSgprs: 0
; NumVgprs: 0
; ScratchSize: 0
; MemoryBound: 0
; FloatMode: 240
; IeeeMode: 1
; LDSByteSize: 0 bytes/workgroup (compile time only)
; SGPRBlocks: 0
; VGPRBlocks: 0
; NumSGPRsForWavesPerEU: 1
; NumVGPRsForWavesPerEU: 1
; Occupancy: 16
; WaveLimiterHint : 0
; COMPUTE_PGM_RSRC2:SCRATCH_EN: 0
; COMPUTE_PGM_RSRC2:USER_SGPR: 6
; COMPUTE_PGM_RSRC2:TRAP_HANDLER: 0
; COMPUTE_PGM_RSRC2:TGID_X_EN: 1
; COMPUTE_PGM_RSRC2:TGID_Y_EN: 0
; COMPUTE_PGM_RSRC2:TGID_Z_EN: 0
; COMPUTE_PGM_RSRC2:TIDIG_COMP_CNT: 0
	.section	.text._ZN7rocprim17ROCPRIM_400000_NS6detail17trampoline_kernelINS0_14default_configENS1_36segmented_radix_sort_config_selectorIslEEZNS1_25segmented_radix_sort_implIS3_Lb0EPKsPsPKlPlN2at6native12_GLOBAL__N_18offset_tEEE10hipError_tPvRmT1_PNSt15iterator_traitsISK_E10value_typeET2_T3_PNSL_ISQ_E10value_typeET4_jRbjT5_SW_jjP12ihipStream_tbEUlT_E0_NS1_11comp_targetILNS1_3genE10ELNS1_11target_archE1200ELNS1_3gpuE4ELNS1_3repE0EEENS1_60segmented_radix_sort_warp_sort_medium_config_static_selectorELNS0_4arch9wavefront6targetE0EEEvSK_,"axG",@progbits,_ZN7rocprim17ROCPRIM_400000_NS6detail17trampoline_kernelINS0_14default_configENS1_36segmented_radix_sort_config_selectorIslEEZNS1_25segmented_radix_sort_implIS3_Lb0EPKsPsPKlPlN2at6native12_GLOBAL__N_18offset_tEEE10hipError_tPvRmT1_PNSt15iterator_traitsISK_E10value_typeET2_T3_PNSL_ISQ_E10value_typeET4_jRbjT5_SW_jjP12ihipStream_tbEUlT_E0_NS1_11comp_targetILNS1_3genE10ELNS1_11target_archE1200ELNS1_3gpuE4ELNS1_3repE0EEENS1_60segmented_radix_sort_warp_sort_medium_config_static_selectorELNS0_4arch9wavefront6targetE0EEEvSK_,comdat
	.globl	_ZN7rocprim17ROCPRIM_400000_NS6detail17trampoline_kernelINS0_14default_configENS1_36segmented_radix_sort_config_selectorIslEEZNS1_25segmented_radix_sort_implIS3_Lb0EPKsPsPKlPlN2at6native12_GLOBAL__N_18offset_tEEE10hipError_tPvRmT1_PNSt15iterator_traitsISK_E10value_typeET2_T3_PNSL_ISQ_E10value_typeET4_jRbjT5_SW_jjP12ihipStream_tbEUlT_E0_NS1_11comp_targetILNS1_3genE10ELNS1_11target_archE1200ELNS1_3gpuE4ELNS1_3repE0EEENS1_60segmented_radix_sort_warp_sort_medium_config_static_selectorELNS0_4arch9wavefront6targetE0EEEvSK_ ; -- Begin function _ZN7rocprim17ROCPRIM_400000_NS6detail17trampoline_kernelINS0_14default_configENS1_36segmented_radix_sort_config_selectorIslEEZNS1_25segmented_radix_sort_implIS3_Lb0EPKsPsPKlPlN2at6native12_GLOBAL__N_18offset_tEEE10hipError_tPvRmT1_PNSt15iterator_traitsISK_E10value_typeET2_T3_PNSL_ISQ_E10value_typeET4_jRbjT5_SW_jjP12ihipStream_tbEUlT_E0_NS1_11comp_targetILNS1_3genE10ELNS1_11target_archE1200ELNS1_3gpuE4ELNS1_3repE0EEENS1_60segmented_radix_sort_warp_sort_medium_config_static_selectorELNS0_4arch9wavefront6targetE0EEEvSK_
	.p2align	8
	.type	_ZN7rocprim17ROCPRIM_400000_NS6detail17trampoline_kernelINS0_14default_configENS1_36segmented_radix_sort_config_selectorIslEEZNS1_25segmented_radix_sort_implIS3_Lb0EPKsPsPKlPlN2at6native12_GLOBAL__N_18offset_tEEE10hipError_tPvRmT1_PNSt15iterator_traitsISK_E10value_typeET2_T3_PNSL_ISQ_E10value_typeET4_jRbjT5_SW_jjP12ihipStream_tbEUlT_E0_NS1_11comp_targetILNS1_3genE10ELNS1_11target_archE1200ELNS1_3gpuE4ELNS1_3repE0EEENS1_60segmented_radix_sort_warp_sort_medium_config_static_selectorELNS0_4arch9wavefront6targetE0EEEvSK_,@function
_ZN7rocprim17ROCPRIM_400000_NS6detail17trampoline_kernelINS0_14default_configENS1_36segmented_radix_sort_config_selectorIslEEZNS1_25segmented_radix_sort_implIS3_Lb0EPKsPsPKlPlN2at6native12_GLOBAL__N_18offset_tEEE10hipError_tPvRmT1_PNSt15iterator_traitsISK_E10value_typeET2_T3_PNSL_ISQ_E10value_typeET4_jRbjT5_SW_jjP12ihipStream_tbEUlT_E0_NS1_11comp_targetILNS1_3genE10ELNS1_11target_archE1200ELNS1_3gpuE4ELNS1_3repE0EEENS1_60segmented_radix_sort_warp_sort_medium_config_static_selectorELNS0_4arch9wavefront6targetE0EEEvSK_: ; @_ZN7rocprim17ROCPRIM_400000_NS6detail17trampoline_kernelINS0_14default_configENS1_36segmented_radix_sort_config_selectorIslEEZNS1_25segmented_radix_sort_implIS3_Lb0EPKsPsPKlPlN2at6native12_GLOBAL__N_18offset_tEEE10hipError_tPvRmT1_PNSt15iterator_traitsISK_E10value_typeET2_T3_PNSL_ISQ_E10value_typeET4_jRbjT5_SW_jjP12ihipStream_tbEUlT_E0_NS1_11comp_targetILNS1_3genE10ELNS1_11target_archE1200ELNS1_3gpuE4ELNS1_3repE0EEENS1_60segmented_radix_sort_warp_sort_medium_config_static_selectorELNS0_4arch9wavefront6targetE0EEEvSK_
; %bb.0:
	.section	.rodata,"a",@progbits
	.p2align	6, 0x0
	.amdhsa_kernel _ZN7rocprim17ROCPRIM_400000_NS6detail17trampoline_kernelINS0_14default_configENS1_36segmented_radix_sort_config_selectorIslEEZNS1_25segmented_radix_sort_implIS3_Lb0EPKsPsPKlPlN2at6native12_GLOBAL__N_18offset_tEEE10hipError_tPvRmT1_PNSt15iterator_traitsISK_E10value_typeET2_T3_PNSL_ISQ_E10value_typeET4_jRbjT5_SW_jjP12ihipStream_tbEUlT_E0_NS1_11comp_targetILNS1_3genE10ELNS1_11target_archE1200ELNS1_3gpuE4ELNS1_3repE0EEENS1_60segmented_radix_sort_warp_sort_medium_config_static_selectorELNS0_4arch9wavefront6targetE0EEEvSK_
		.amdhsa_group_segment_fixed_size 0
		.amdhsa_private_segment_fixed_size 0
		.amdhsa_kernarg_size 88
		.amdhsa_user_sgpr_count 6
		.amdhsa_user_sgpr_private_segment_buffer 1
		.amdhsa_user_sgpr_dispatch_ptr 0
		.amdhsa_user_sgpr_queue_ptr 0
		.amdhsa_user_sgpr_kernarg_segment_ptr 1
		.amdhsa_user_sgpr_dispatch_id 0
		.amdhsa_user_sgpr_flat_scratch_init 0
		.amdhsa_user_sgpr_private_segment_size 0
		.amdhsa_wavefront_size32 1
		.amdhsa_uses_dynamic_stack 0
		.amdhsa_system_sgpr_private_segment_wavefront_offset 0
		.amdhsa_system_sgpr_workgroup_id_x 1
		.amdhsa_system_sgpr_workgroup_id_y 0
		.amdhsa_system_sgpr_workgroup_id_z 0
		.amdhsa_system_sgpr_workgroup_info 0
		.amdhsa_system_vgpr_workitem_id 0
		.amdhsa_next_free_vgpr 1
		.amdhsa_next_free_sgpr 1
		.amdhsa_reserve_vcc 0
		.amdhsa_reserve_flat_scratch 0
		.amdhsa_float_round_mode_32 0
		.amdhsa_float_round_mode_16_64 0
		.amdhsa_float_denorm_mode_32 3
		.amdhsa_float_denorm_mode_16_64 3
		.amdhsa_dx10_clamp 1
		.amdhsa_ieee_mode 1
		.amdhsa_fp16_overflow 0
		.amdhsa_workgroup_processor_mode 1
		.amdhsa_memory_ordered 1
		.amdhsa_forward_progress 1
		.amdhsa_shared_vgpr_count 0
		.amdhsa_exception_fp_ieee_invalid_op 0
		.amdhsa_exception_fp_denorm_src 0
		.amdhsa_exception_fp_ieee_div_zero 0
		.amdhsa_exception_fp_ieee_overflow 0
		.amdhsa_exception_fp_ieee_underflow 0
		.amdhsa_exception_fp_ieee_inexact 0
		.amdhsa_exception_int_div_zero 0
	.end_amdhsa_kernel
	.section	.text._ZN7rocprim17ROCPRIM_400000_NS6detail17trampoline_kernelINS0_14default_configENS1_36segmented_radix_sort_config_selectorIslEEZNS1_25segmented_radix_sort_implIS3_Lb0EPKsPsPKlPlN2at6native12_GLOBAL__N_18offset_tEEE10hipError_tPvRmT1_PNSt15iterator_traitsISK_E10value_typeET2_T3_PNSL_ISQ_E10value_typeET4_jRbjT5_SW_jjP12ihipStream_tbEUlT_E0_NS1_11comp_targetILNS1_3genE10ELNS1_11target_archE1200ELNS1_3gpuE4ELNS1_3repE0EEENS1_60segmented_radix_sort_warp_sort_medium_config_static_selectorELNS0_4arch9wavefront6targetE0EEEvSK_,"axG",@progbits,_ZN7rocprim17ROCPRIM_400000_NS6detail17trampoline_kernelINS0_14default_configENS1_36segmented_radix_sort_config_selectorIslEEZNS1_25segmented_radix_sort_implIS3_Lb0EPKsPsPKlPlN2at6native12_GLOBAL__N_18offset_tEEE10hipError_tPvRmT1_PNSt15iterator_traitsISK_E10value_typeET2_T3_PNSL_ISQ_E10value_typeET4_jRbjT5_SW_jjP12ihipStream_tbEUlT_E0_NS1_11comp_targetILNS1_3genE10ELNS1_11target_archE1200ELNS1_3gpuE4ELNS1_3repE0EEENS1_60segmented_radix_sort_warp_sort_medium_config_static_selectorELNS0_4arch9wavefront6targetE0EEEvSK_,comdat
.Lfunc_end1023:
	.size	_ZN7rocprim17ROCPRIM_400000_NS6detail17trampoline_kernelINS0_14default_configENS1_36segmented_radix_sort_config_selectorIslEEZNS1_25segmented_radix_sort_implIS3_Lb0EPKsPsPKlPlN2at6native12_GLOBAL__N_18offset_tEEE10hipError_tPvRmT1_PNSt15iterator_traitsISK_E10value_typeET2_T3_PNSL_ISQ_E10value_typeET4_jRbjT5_SW_jjP12ihipStream_tbEUlT_E0_NS1_11comp_targetILNS1_3genE10ELNS1_11target_archE1200ELNS1_3gpuE4ELNS1_3repE0EEENS1_60segmented_radix_sort_warp_sort_medium_config_static_selectorELNS0_4arch9wavefront6targetE0EEEvSK_, .Lfunc_end1023-_ZN7rocprim17ROCPRIM_400000_NS6detail17trampoline_kernelINS0_14default_configENS1_36segmented_radix_sort_config_selectorIslEEZNS1_25segmented_radix_sort_implIS3_Lb0EPKsPsPKlPlN2at6native12_GLOBAL__N_18offset_tEEE10hipError_tPvRmT1_PNSt15iterator_traitsISK_E10value_typeET2_T3_PNSL_ISQ_E10value_typeET4_jRbjT5_SW_jjP12ihipStream_tbEUlT_E0_NS1_11comp_targetILNS1_3genE10ELNS1_11target_archE1200ELNS1_3gpuE4ELNS1_3repE0EEENS1_60segmented_radix_sort_warp_sort_medium_config_static_selectorELNS0_4arch9wavefront6targetE0EEEvSK_
                                        ; -- End function
	.set _ZN7rocprim17ROCPRIM_400000_NS6detail17trampoline_kernelINS0_14default_configENS1_36segmented_radix_sort_config_selectorIslEEZNS1_25segmented_radix_sort_implIS3_Lb0EPKsPsPKlPlN2at6native12_GLOBAL__N_18offset_tEEE10hipError_tPvRmT1_PNSt15iterator_traitsISK_E10value_typeET2_T3_PNSL_ISQ_E10value_typeET4_jRbjT5_SW_jjP12ihipStream_tbEUlT_E0_NS1_11comp_targetILNS1_3genE10ELNS1_11target_archE1200ELNS1_3gpuE4ELNS1_3repE0EEENS1_60segmented_radix_sort_warp_sort_medium_config_static_selectorELNS0_4arch9wavefront6targetE0EEEvSK_.num_vgpr, 0
	.set _ZN7rocprim17ROCPRIM_400000_NS6detail17trampoline_kernelINS0_14default_configENS1_36segmented_radix_sort_config_selectorIslEEZNS1_25segmented_radix_sort_implIS3_Lb0EPKsPsPKlPlN2at6native12_GLOBAL__N_18offset_tEEE10hipError_tPvRmT1_PNSt15iterator_traitsISK_E10value_typeET2_T3_PNSL_ISQ_E10value_typeET4_jRbjT5_SW_jjP12ihipStream_tbEUlT_E0_NS1_11comp_targetILNS1_3genE10ELNS1_11target_archE1200ELNS1_3gpuE4ELNS1_3repE0EEENS1_60segmented_radix_sort_warp_sort_medium_config_static_selectorELNS0_4arch9wavefront6targetE0EEEvSK_.num_agpr, 0
	.set _ZN7rocprim17ROCPRIM_400000_NS6detail17trampoline_kernelINS0_14default_configENS1_36segmented_radix_sort_config_selectorIslEEZNS1_25segmented_radix_sort_implIS3_Lb0EPKsPsPKlPlN2at6native12_GLOBAL__N_18offset_tEEE10hipError_tPvRmT1_PNSt15iterator_traitsISK_E10value_typeET2_T3_PNSL_ISQ_E10value_typeET4_jRbjT5_SW_jjP12ihipStream_tbEUlT_E0_NS1_11comp_targetILNS1_3genE10ELNS1_11target_archE1200ELNS1_3gpuE4ELNS1_3repE0EEENS1_60segmented_radix_sort_warp_sort_medium_config_static_selectorELNS0_4arch9wavefront6targetE0EEEvSK_.numbered_sgpr, 0
	.set _ZN7rocprim17ROCPRIM_400000_NS6detail17trampoline_kernelINS0_14default_configENS1_36segmented_radix_sort_config_selectorIslEEZNS1_25segmented_radix_sort_implIS3_Lb0EPKsPsPKlPlN2at6native12_GLOBAL__N_18offset_tEEE10hipError_tPvRmT1_PNSt15iterator_traitsISK_E10value_typeET2_T3_PNSL_ISQ_E10value_typeET4_jRbjT5_SW_jjP12ihipStream_tbEUlT_E0_NS1_11comp_targetILNS1_3genE10ELNS1_11target_archE1200ELNS1_3gpuE4ELNS1_3repE0EEENS1_60segmented_radix_sort_warp_sort_medium_config_static_selectorELNS0_4arch9wavefront6targetE0EEEvSK_.num_named_barrier, 0
	.set _ZN7rocprim17ROCPRIM_400000_NS6detail17trampoline_kernelINS0_14default_configENS1_36segmented_radix_sort_config_selectorIslEEZNS1_25segmented_radix_sort_implIS3_Lb0EPKsPsPKlPlN2at6native12_GLOBAL__N_18offset_tEEE10hipError_tPvRmT1_PNSt15iterator_traitsISK_E10value_typeET2_T3_PNSL_ISQ_E10value_typeET4_jRbjT5_SW_jjP12ihipStream_tbEUlT_E0_NS1_11comp_targetILNS1_3genE10ELNS1_11target_archE1200ELNS1_3gpuE4ELNS1_3repE0EEENS1_60segmented_radix_sort_warp_sort_medium_config_static_selectorELNS0_4arch9wavefront6targetE0EEEvSK_.private_seg_size, 0
	.set _ZN7rocprim17ROCPRIM_400000_NS6detail17trampoline_kernelINS0_14default_configENS1_36segmented_radix_sort_config_selectorIslEEZNS1_25segmented_radix_sort_implIS3_Lb0EPKsPsPKlPlN2at6native12_GLOBAL__N_18offset_tEEE10hipError_tPvRmT1_PNSt15iterator_traitsISK_E10value_typeET2_T3_PNSL_ISQ_E10value_typeET4_jRbjT5_SW_jjP12ihipStream_tbEUlT_E0_NS1_11comp_targetILNS1_3genE10ELNS1_11target_archE1200ELNS1_3gpuE4ELNS1_3repE0EEENS1_60segmented_radix_sort_warp_sort_medium_config_static_selectorELNS0_4arch9wavefront6targetE0EEEvSK_.uses_vcc, 0
	.set _ZN7rocprim17ROCPRIM_400000_NS6detail17trampoline_kernelINS0_14default_configENS1_36segmented_radix_sort_config_selectorIslEEZNS1_25segmented_radix_sort_implIS3_Lb0EPKsPsPKlPlN2at6native12_GLOBAL__N_18offset_tEEE10hipError_tPvRmT1_PNSt15iterator_traitsISK_E10value_typeET2_T3_PNSL_ISQ_E10value_typeET4_jRbjT5_SW_jjP12ihipStream_tbEUlT_E0_NS1_11comp_targetILNS1_3genE10ELNS1_11target_archE1200ELNS1_3gpuE4ELNS1_3repE0EEENS1_60segmented_radix_sort_warp_sort_medium_config_static_selectorELNS0_4arch9wavefront6targetE0EEEvSK_.uses_flat_scratch, 0
	.set _ZN7rocprim17ROCPRIM_400000_NS6detail17trampoline_kernelINS0_14default_configENS1_36segmented_radix_sort_config_selectorIslEEZNS1_25segmented_radix_sort_implIS3_Lb0EPKsPsPKlPlN2at6native12_GLOBAL__N_18offset_tEEE10hipError_tPvRmT1_PNSt15iterator_traitsISK_E10value_typeET2_T3_PNSL_ISQ_E10value_typeET4_jRbjT5_SW_jjP12ihipStream_tbEUlT_E0_NS1_11comp_targetILNS1_3genE10ELNS1_11target_archE1200ELNS1_3gpuE4ELNS1_3repE0EEENS1_60segmented_radix_sort_warp_sort_medium_config_static_selectorELNS0_4arch9wavefront6targetE0EEEvSK_.has_dyn_sized_stack, 0
	.set _ZN7rocprim17ROCPRIM_400000_NS6detail17trampoline_kernelINS0_14default_configENS1_36segmented_radix_sort_config_selectorIslEEZNS1_25segmented_radix_sort_implIS3_Lb0EPKsPsPKlPlN2at6native12_GLOBAL__N_18offset_tEEE10hipError_tPvRmT1_PNSt15iterator_traitsISK_E10value_typeET2_T3_PNSL_ISQ_E10value_typeET4_jRbjT5_SW_jjP12ihipStream_tbEUlT_E0_NS1_11comp_targetILNS1_3genE10ELNS1_11target_archE1200ELNS1_3gpuE4ELNS1_3repE0EEENS1_60segmented_radix_sort_warp_sort_medium_config_static_selectorELNS0_4arch9wavefront6targetE0EEEvSK_.has_recursion, 0
	.set _ZN7rocprim17ROCPRIM_400000_NS6detail17trampoline_kernelINS0_14default_configENS1_36segmented_radix_sort_config_selectorIslEEZNS1_25segmented_radix_sort_implIS3_Lb0EPKsPsPKlPlN2at6native12_GLOBAL__N_18offset_tEEE10hipError_tPvRmT1_PNSt15iterator_traitsISK_E10value_typeET2_T3_PNSL_ISQ_E10value_typeET4_jRbjT5_SW_jjP12ihipStream_tbEUlT_E0_NS1_11comp_targetILNS1_3genE10ELNS1_11target_archE1200ELNS1_3gpuE4ELNS1_3repE0EEENS1_60segmented_radix_sort_warp_sort_medium_config_static_selectorELNS0_4arch9wavefront6targetE0EEEvSK_.has_indirect_call, 0
	.section	.AMDGPU.csdata,"",@progbits
; Kernel info:
; codeLenInByte = 0
; TotalNumSgprs: 0
; NumVgprs: 0
; ScratchSize: 0
; MemoryBound: 0
; FloatMode: 240
; IeeeMode: 1
; LDSByteSize: 0 bytes/workgroup (compile time only)
; SGPRBlocks: 0
; VGPRBlocks: 0
; NumSGPRsForWavesPerEU: 1
; NumVGPRsForWavesPerEU: 1
; Occupancy: 16
; WaveLimiterHint : 0
; COMPUTE_PGM_RSRC2:SCRATCH_EN: 0
; COMPUTE_PGM_RSRC2:USER_SGPR: 6
; COMPUTE_PGM_RSRC2:TRAP_HANDLER: 0
; COMPUTE_PGM_RSRC2:TGID_X_EN: 1
; COMPUTE_PGM_RSRC2:TGID_Y_EN: 0
; COMPUTE_PGM_RSRC2:TGID_Z_EN: 0
; COMPUTE_PGM_RSRC2:TIDIG_COMP_CNT: 0
	.section	.text._ZN7rocprim17ROCPRIM_400000_NS6detail17trampoline_kernelINS0_14default_configENS1_36segmented_radix_sort_config_selectorIslEEZNS1_25segmented_radix_sort_implIS3_Lb0EPKsPsPKlPlN2at6native12_GLOBAL__N_18offset_tEEE10hipError_tPvRmT1_PNSt15iterator_traitsISK_E10value_typeET2_T3_PNSL_ISQ_E10value_typeET4_jRbjT5_SW_jjP12ihipStream_tbEUlT_E0_NS1_11comp_targetILNS1_3genE9ELNS1_11target_archE1100ELNS1_3gpuE3ELNS1_3repE0EEENS1_60segmented_radix_sort_warp_sort_medium_config_static_selectorELNS0_4arch9wavefront6targetE0EEEvSK_,"axG",@progbits,_ZN7rocprim17ROCPRIM_400000_NS6detail17trampoline_kernelINS0_14default_configENS1_36segmented_radix_sort_config_selectorIslEEZNS1_25segmented_radix_sort_implIS3_Lb0EPKsPsPKlPlN2at6native12_GLOBAL__N_18offset_tEEE10hipError_tPvRmT1_PNSt15iterator_traitsISK_E10value_typeET2_T3_PNSL_ISQ_E10value_typeET4_jRbjT5_SW_jjP12ihipStream_tbEUlT_E0_NS1_11comp_targetILNS1_3genE9ELNS1_11target_archE1100ELNS1_3gpuE3ELNS1_3repE0EEENS1_60segmented_radix_sort_warp_sort_medium_config_static_selectorELNS0_4arch9wavefront6targetE0EEEvSK_,comdat
	.globl	_ZN7rocprim17ROCPRIM_400000_NS6detail17trampoline_kernelINS0_14default_configENS1_36segmented_radix_sort_config_selectorIslEEZNS1_25segmented_radix_sort_implIS3_Lb0EPKsPsPKlPlN2at6native12_GLOBAL__N_18offset_tEEE10hipError_tPvRmT1_PNSt15iterator_traitsISK_E10value_typeET2_T3_PNSL_ISQ_E10value_typeET4_jRbjT5_SW_jjP12ihipStream_tbEUlT_E0_NS1_11comp_targetILNS1_3genE9ELNS1_11target_archE1100ELNS1_3gpuE3ELNS1_3repE0EEENS1_60segmented_radix_sort_warp_sort_medium_config_static_selectorELNS0_4arch9wavefront6targetE0EEEvSK_ ; -- Begin function _ZN7rocprim17ROCPRIM_400000_NS6detail17trampoline_kernelINS0_14default_configENS1_36segmented_radix_sort_config_selectorIslEEZNS1_25segmented_radix_sort_implIS3_Lb0EPKsPsPKlPlN2at6native12_GLOBAL__N_18offset_tEEE10hipError_tPvRmT1_PNSt15iterator_traitsISK_E10value_typeET2_T3_PNSL_ISQ_E10value_typeET4_jRbjT5_SW_jjP12ihipStream_tbEUlT_E0_NS1_11comp_targetILNS1_3genE9ELNS1_11target_archE1100ELNS1_3gpuE3ELNS1_3repE0EEENS1_60segmented_radix_sort_warp_sort_medium_config_static_selectorELNS0_4arch9wavefront6targetE0EEEvSK_
	.p2align	8
	.type	_ZN7rocprim17ROCPRIM_400000_NS6detail17trampoline_kernelINS0_14default_configENS1_36segmented_radix_sort_config_selectorIslEEZNS1_25segmented_radix_sort_implIS3_Lb0EPKsPsPKlPlN2at6native12_GLOBAL__N_18offset_tEEE10hipError_tPvRmT1_PNSt15iterator_traitsISK_E10value_typeET2_T3_PNSL_ISQ_E10value_typeET4_jRbjT5_SW_jjP12ihipStream_tbEUlT_E0_NS1_11comp_targetILNS1_3genE9ELNS1_11target_archE1100ELNS1_3gpuE3ELNS1_3repE0EEENS1_60segmented_radix_sort_warp_sort_medium_config_static_selectorELNS0_4arch9wavefront6targetE0EEEvSK_,@function
_ZN7rocprim17ROCPRIM_400000_NS6detail17trampoline_kernelINS0_14default_configENS1_36segmented_radix_sort_config_selectorIslEEZNS1_25segmented_radix_sort_implIS3_Lb0EPKsPsPKlPlN2at6native12_GLOBAL__N_18offset_tEEE10hipError_tPvRmT1_PNSt15iterator_traitsISK_E10value_typeET2_T3_PNSL_ISQ_E10value_typeET4_jRbjT5_SW_jjP12ihipStream_tbEUlT_E0_NS1_11comp_targetILNS1_3genE9ELNS1_11target_archE1100ELNS1_3gpuE3ELNS1_3repE0EEENS1_60segmented_radix_sort_warp_sort_medium_config_static_selectorELNS0_4arch9wavefront6targetE0EEEvSK_: ; @_ZN7rocprim17ROCPRIM_400000_NS6detail17trampoline_kernelINS0_14default_configENS1_36segmented_radix_sort_config_selectorIslEEZNS1_25segmented_radix_sort_implIS3_Lb0EPKsPsPKlPlN2at6native12_GLOBAL__N_18offset_tEEE10hipError_tPvRmT1_PNSt15iterator_traitsISK_E10value_typeET2_T3_PNSL_ISQ_E10value_typeET4_jRbjT5_SW_jjP12ihipStream_tbEUlT_E0_NS1_11comp_targetILNS1_3genE9ELNS1_11target_archE1100ELNS1_3gpuE3ELNS1_3repE0EEENS1_60segmented_radix_sort_warp_sort_medium_config_static_selectorELNS0_4arch9wavefront6targetE0EEEvSK_
; %bb.0:
	.section	.rodata,"a",@progbits
	.p2align	6, 0x0
	.amdhsa_kernel _ZN7rocprim17ROCPRIM_400000_NS6detail17trampoline_kernelINS0_14default_configENS1_36segmented_radix_sort_config_selectorIslEEZNS1_25segmented_radix_sort_implIS3_Lb0EPKsPsPKlPlN2at6native12_GLOBAL__N_18offset_tEEE10hipError_tPvRmT1_PNSt15iterator_traitsISK_E10value_typeET2_T3_PNSL_ISQ_E10value_typeET4_jRbjT5_SW_jjP12ihipStream_tbEUlT_E0_NS1_11comp_targetILNS1_3genE9ELNS1_11target_archE1100ELNS1_3gpuE3ELNS1_3repE0EEENS1_60segmented_radix_sort_warp_sort_medium_config_static_selectorELNS0_4arch9wavefront6targetE0EEEvSK_
		.amdhsa_group_segment_fixed_size 0
		.amdhsa_private_segment_fixed_size 0
		.amdhsa_kernarg_size 88
		.amdhsa_user_sgpr_count 6
		.amdhsa_user_sgpr_private_segment_buffer 1
		.amdhsa_user_sgpr_dispatch_ptr 0
		.amdhsa_user_sgpr_queue_ptr 0
		.amdhsa_user_sgpr_kernarg_segment_ptr 1
		.amdhsa_user_sgpr_dispatch_id 0
		.amdhsa_user_sgpr_flat_scratch_init 0
		.amdhsa_user_sgpr_private_segment_size 0
		.amdhsa_wavefront_size32 1
		.amdhsa_uses_dynamic_stack 0
		.amdhsa_system_sgpr_private_segment_wavefront_offset 0
		.amdhsa_system_sgpr_workgroup_id_x 1
		.amdhsa_system_sgpr_workgroup_id_y 0
		.amdhsa_system_sgpr_workgroup_id_z 0
		.amdhsa_system_sgpr_workgroup_info 0
		.amdhsa_system_vgpr_workitem_id 0
		.amdhsa_next_free_vgpr 1
		.amdhsa_next_free_sgpr 1
		.amdhsa_reserve_vcc 0
		.amdhsa_reserve_flat_scratch 0
		.amdhsa_float_round_mode_32 0
		.amdhsa_float_round_mode_16_64 0
		.amdhsa_float_denorm_mode_32 3
		.amdhsa_float_denorm_mode_16_64 3
		.amdhsa_dx10_clamp 1
		.amdhsa_ieee_mode 1
		.amdhsa_fp16_overflow 0
		.amdhsa_workgroup_processor_mode 1
		.amdhsa_memory_ordered 1
		.amdhsa_forward_progress 1
		.amdhsa_shared_vgpr_count 0
		.amdhsa_exception_fp_ieee_invalid_op 0
		.amdhsa_exception_fp_denorm_src 0
		.amdhsa_exception_fp_ieee_div_zero 0
		.amdhsa_exception_fp_ieee_overflow 0
		.amdhsa_exception_fp_ieee_underflow 0
		.amdhsa_exception_fp_ieee_inexact 0
		.amdhsa_exception_int_div_zero 0
	.end_amdhsa_kernel
	.section	.text._ZN7rocprim17ROCPRIM_400000_NS6detail17trampoline_kernelINS0_14default_configENS1_36segmented_radix_sort_config_selectorIslEEZNS1_25segmented_radix_sort_implIS3_Lb0EPKsPsPKlPlN2at6native12_GLOBAL__N_18offset_tEEE10hipError_tPvRmT1_PNSt15iterator_traitsISK_E10value_typeET2_T3_PNSL_ISQ_E10value_typeET4_jRbjT5_SW_jjP12ihipStream_tbEUlT_E0_NS1_11comp_targetILNS1_3genE9ELNS1_11target_archE1100ELNS1_3gpuE3ELNS1_3repE0EEENS1_60segmented_radix_sort_warp_sort_medium_config_static_selectorELNS0_4arch9wavefront6targetE0EEEvSK_,"axG",@progbits,_ZN7rocprim17ROCPRIM_400000_NS6detail17trampoline_kernelINS0_14default_configENS1_36segmented_radix_sort_config_selectorIslEEZNS1_25segmented_radix_sort_implIS3_Lb0EPKsPsPKlPlN2at6native12_GLOBAL__N_18offset_tEEE10hipError_tPvRmT1_PNSt15iterator_traitsISK_E10value_typeET2_T3_PNSL_ISQ_E10value_typeET4_jRbjT5_SW_jjP12ihipStream_tbEUlT_E0_NS1_11comp_targetILNS1_3genE9ELNS1_11target_archE1100ELNS1_3gpuE3ELNS1_3repE0EEENS1_60segmented_radix_sort_warp_sort_medium_config_static_selectorELNS0_4arch9wavefront6targetE0EEEvSK_,comdat
.Lfunc_end1024:
	.size	_ZN7rocprim17ROCPRIM_400000_NS6detail17trampoline_kernelINS0_14default_configENS1_36segmented_radix_sort_config_selectorIslEEZNS1_25segmented_radix_sort_implIS3_Lb0EPKsPsPKlPlN2at6native12_GLOBAL__N_18offset_tEEE10hipError_tPvRmT1_PNSt15iterator_traitsISK_E10value_typeET2_T3_PNSL_ISQ_E10value_typeET4_jRbjT5_SW_jjP12ihipStream_tbEUlT_E0_NS1_11comp_targetILNS1_3genE9ELNS1_11target_archE1100ELNS1_3gpuE3ELNS1_3repE0EEENS1_60segmented_radix_sort_warp_sort_medium_config_static_selectorELNS0_4arch9wavefront6targetE0EEEvSK_, .Lfunc_end1024-_ZN7rocprim17ROCPRIM_400000_NS6detail17trampoline_kernelINS0_14default_configENS1_36segmented_radix_sort_config_selectorIslEEZNS1_25segmented_radix_sort_implIS3_Lb0EPKsPsPKlPlN2at6native12_GLOBAL__N_18offset_tEEE10hipError_tPvRmT1_PNSt15iterator_traitsISK_E10value_typeET2_T3_PNSL_ISQ_E10value_typeET4_jRbjT5_SW_jjP12ihipStream_tbEUlT_E0_NS1_11comp_targetILNS1_3genE9ELNS1_11target_archE1100ELNS1_3gpuE3ELNS1_3repE0EEENS1_60segmented_radix_sort_warp_sort_medium_config_static_selectorELNS0_4arch9wavefront6targetE0EEEvSK_
                                        ; -- End function
	.set _ZN7rocprim17ROCPRIM_400000_NS6detail17trampoline_kernelINS0_14default_configENS1_36segmented_radix_sort_config_selectorIslEEZNS1_25segmented_radix_sort_implIS3_Lb0EPKsPsPKlPlN2at6native12_GLOBAL__N_18offset_tEEE10hipError_tPvRmT1_PNSt15iterator_traitsISK_E10value_typeET2_T3_PNSL_ISQ_E10value_typeET4_jRbjT5_SW_jjP12ihipStream_tbEUlT_E0_NS1_11comp_targetILNS1_3genE9ELNS1_11target_archE1100ELNS1_3gpuE3ELNS1_3repE0EEENS1_60segmented_radix_sort_warp_sort_medium_config_static_selectorELNS0_4arch9wavefront6targetE0EEEvSK_.num_vgpr, 0
	.set _ZN7rocprim17ROCPRIM_400000_NS6detail17trampoline_kernelINS0_14default_configENS1_36segmented_radix_sort_config_selectorIslEEZNS1_25segmented_radix_sort_implIS3_Lb0EPKsPsPKlPlN2at6native12_GLOBAL__N_18offset_tEEE10hipError_tPvRmT1_PNSt15iterator_traitsISK_E10value_typeET2_T3_PNSL_ISQ_E10value_typeET4_jRbjT5_SW_jjP12ihipStream_tbEUlT_E0_NS1_11comp_targetILNS1_3genE9ELNS1_11target_archE1100ELNS1_3gpuE3ELNS1_3repE0EEENS1_60segmented_radix_sort_warp_sort_medium_config_static_selectorELNS0_4arch9wavefront6targetE0EEEvSK_.num_agpr, 0
	.set _ZN7rocprim17ROCPRIM_400000_NS6detail17trampoline_kernelINS0_14default_configENS1_36segmented_radix_sort_config_selectorIslEEZNS1_25segmented_radix_sort_implIS3_Lb0EPKsPsPKlPlN2at6native12_GLOBAL__N_18offset_tEEE10hipError_tPvRmT1_PNSt15iterator_traitsISK_E10value_typeET2_T3_PNSL_ISQ_E10value_typeET4_jRbjT5_SW_jjP12ihipStream_tbEUlT_E0_NS1_11comp_targetILNS1_3genE9ELNS1_11target_archE1100ELNS1_3gpuE3ELNS1_3repE0EEENS1_60segmented_radix_sort_warp_sort_medium_config_static_selectorELNS0_4arch9wavefront6targetE0EEEvSK_.numbered_sgpr, 0
	.set _ZN7rocprim17ROCPRIM_400000_NS6detail17trampoline_kernelINS0_14default_configENS1_36segmented_radix_sort_config_selectorIslEEZNS1_25segmented_radix_sort_implIS3_Lb0EPKsPsPKlPlN2at6native12_GLOBAL__N_18offset_tEEE10hipError_tPvRmT1_PNSt15iterator_traitsISK_E10value_typeET2_T3_PNSL_ISQ_E10value_typeET4_jRbjT5_SW_jjP12ihipStream_tbEUlT_E0_NS1_11comp_targetILNS1_3genE9ELNS1_11target_archE1100ELNS1_3gpuE3ELNS1_3repE0EEENS1_60segmented_radix_sort_warp_sort_medium_config_static_selectorELNS0_4arch9wavefront6targetE0EEEvSK_.num_named_barrier, 0
	.set _ZN7rocprim17ROCPRIM_400000_NS6detail17trampoline_kernelINS0_14default_configENS1_36segmented_radix_sort_config_selectorIslEEZNS1_25segmented_radix_sort_implIS3_Lb0EPKsPsPKlPlN2at6native12_GLOBAL__N_18offset_tEEE10hipError_tPvRmT1_PNSt15iterator_traitsISK_E10value_typeET2_T3_PNSL_ISQ_E10value_typeET4_jRbjT5_SW_jjP12ihipStream_tbEUlT_E0_NS1_11comp_targetILNS1_3genE9ELNS1_11target_archE1100ELNS1_3gpuE3ELNS1_3repE0EEENS1_60segmented_radix_sort_warp_sort_medium_config_static_selectorELNS0_4arch9wavefront6targetE0EEEvSK_.private_seg_size, 0
	.set _ZN7rocprim17ROCPRIM_400000_NS6detail17trampoline_kernelINS0_14default_configENS1_36segmented_radix_sort_config_selectorIslEEZNS1_25segmented_radix_sort_implIS3_Lb0EPKsPsPKlPlN2at6native12_GLOBAL__N_18offset_tEEE10hipError_tPvRmT1_PNSt15iterator_traitsISK_E10value_typeET2_T3_PNSL_ISQ_E10value_typeET4_jRbjT5_SW_jjP12ihipStream_tbEUlT_E0_NS1_11comp_targetILNS1_3genE9ELNS1_11target_archE1100ELNS1_3gpuE3ELNS1_3repE0EEENS1_60segmented_radix_sort_warp_sort_medium_config_static_selectorELNS0_4arch9wavefront6targetE0EEEvSK_.uses_vcc, 0
	.set _ZN7rocprim17ROCPRIM_400000_NS6detail17trampoline_kernelINS0_14default_configENS1_36segmented_radix_sort_config_selectorIslEEZNS1_25segmented_radix_sort_implIS3_Lb0EPKsPsPKlPlN2at6native12_GLOBAL__N_18offset_tEEE10hipError_tPvRmT1_PNSt15iterator_traitsISK_E10value_typeET2_T3_PNSL_ISQ_E10value_typeET4_jRbjT5_SW_jjP12ihipStream_tbEUlT_E0_NS1_11comp_targetILNS1_3genE9ELNS1_11target_archE1100ELNS1_3gpuE3ELNS1_3repE0EEENS1_60segmented_radix_sort_warp_sort_medium_config_static_selectorELNS0_4arch9wavefront6targetE0EEEvSK_.uses_flat_scratch, 0
	.set _ZN7rocprim17ROCPRIM_400000_NS6detail17trampoline_kernelINS0_14default_configENS1_36segmented_radix_sort_config_selectorIslEEZNS1_25segmented_radix_sort_implIS3_Lb0EPKsPsPKlPlN2at6native12_GLOBAL__N_18offset_tEEE10hipError_tPvRmT1_PNSt15iterator_traitsISK_E10value_typeET2_T3_PNSL_ISQ_E10value_typeET4_jRbjT5_SW_jjP12ihipStream_tbEUlT_E0_NS1_11comp_targetILNS1_3genE9ELNS1_11target_archE1100ELNS1_3gpuE3ELNS1_3repE0EEENS1_60segmented_radix_sort_warp_sort_medium_config_static_selectorELNS0_4arch9wavefront6targetE0EEEvSK_.has_dyn_sized_stack, 0
	.set _ZN7rocprim17ROCPRIM_400000_NS6detail17trampoline_kernelINS0_14default_configENS1_36segmented_radix_sort_config_selectorIslEEZNS1_25segmented_radix_sort_implIS3_Lb0EPKsPsPKlPlN2at6native12_GLOBAL__N_18offset_tEEE10hipError_tPvRmT1_PNSt15iterator_traitsISK_E10value_typeET2_T3_PNSL_ISQ_E10value_typeET4_jRbjT5_SW_jjP12ihipStream_tbEUlT_E0_NS1_11comp_targetILNS1_3genE9ELNS1_11target_archE1100ELNS1_3gpuE3ELNS1_3repE0EEENS1_60segmented_radix_sort_warp_sort_medium_config_static_selectorELNS0_4arch9wavefront6targetE0EEEvSK_.has_recursion, 0
	.set _ZN7rocprim17ROCPRIM_400000_NS6detail17trampoline_kernelINS0_14default_configENS1_36segmented_radix_sort_config_selectorIslEEZNS1_25segmented_radix_sort_implIS3_Lb0EPKsPsPKlPlN2at6native12_GLOBAL__N_18offset_tEEE10hipError_tPvRmT1_PNSt15iterator_traitsISK_E10value_typeET2_T3_PNSL_ISQ_E10value_typeET4_jRbjT5_SW_jjP12ihipStream_tbEUlT_E0_NS1_11comp_targetILNS1_3genE9ELNS1_11target_archE1100ELNS1_3gpuE3ELNS1_3repE0EEENS1_60segmented_radix_sort_warp_sort_medium_config_static_selectorELNS0_4arch9wavefront6targetE0EEEvSK_.has_indirect_call, 0
	.section	.AMDGPU.csdata,"",@progbits
; Kernel info:
; codeLenInByte = 0
; TotalNumSgprs: 0
; NumVgprs: 0
; ScratchSize: 0
; MemoryBound: 0
; FloatMode: 240
; IeeeMode: 1
; LDSByteSize: 0 bytes/workgroup (compile time only)
; SGPRBlocks: 0
; VGPRBlocks: 0
; NumSGPRsForWavesPerEU: 1
; NumVGPRsForWavesPerEU: 1
; Occupancy: 16
; WaveLimiterHint : 0
; COMPUTE_PGM_RSRC2:SCRATCH_EN: 0
; COMPUTE_PGM_RSRC2:USER_SGPR: 6
; COMPUTE_PGM_RSRC2:TRAP_HANDLER: 0
; COMPUTE_PGM_RSRC2:TGID_X_EN: 1
; COMPUTE_PGM_RSRC2:TGID_Y_EN: 0
; COMPUTE_PGM_RSRC2:TGID_Z_EN: 0
; COMPUTE_PGM_RSRC2:TIDIG_COMP_CNT: 0
	.text
	.p2align	2                               ; -- Begin function _ZN7rocprim17ROCPRIM_400000_NS6detail26segmented_warp_sort_helperINS1_20WarpSortHelperConfigILj32ELj4ELj256EEEslLi256ELb0EvE4sortIPKsPsPKlPlEEvT_T0_T1_T2_jjjjRNS5_12storage_typeE
	.type	_ZN7rocprim17ROCPRIM_400000_NS6detail26segmented_warp_sort_helperINS1_20WarpSortHelperConfigILj32ELj4ELj256EEEslLi256ELb0EvE4sortIPKsPsPKlPlEEvT_T0_T1_T2_jjjjRNS5_12storage_typeE,@function
_ZN7rocprim17ROCPRIM_400000_NS6detail26segmented_warp_sort_helperINS1_20WarpSortHelperConfigILj32ELj4ELj256EEEslLi256ELb0EvE4sortIPKsPsPKlPlEEvT_T0_T1_T2_jjjjRNS5_12storage_typeE: ; @_ZN7rocprim17ROCPRIM_400000_NS6detail26segmented_warp_sort_helperINS1_20WarpSortHelperConfigILj32ELj4ELj256EEEslLi256ELb0EvE4sortIPKsPsPKlPlEEvT_T0_T1_T2_jjjjRNS5_12storage_typeE
; %bb.0:
	s_waitcnt vmcnt(0) expcnt(0) lgkmcnt(0)
	v_mov_b32_e32 v14, v9
	v_mov_b32_e32 v9, 0
	v_mbcnt_lo_u32_b32 v15, -1, 0
	v_mov_b32_e32 v37, 0x7fff
	v_mov_b32_e32 v39, 0x7fff
	v_sub_nc_u32_e32 v14, v14, v8
	v_lshlrev_b64 v[32:33], 1, v[8:9]
	v_lshlrev_b32_e32 v16, 3, v15
	v_lshlrev_b32_e32 v30, 2, v15
	v_add_co_u32 v0, vcc_lo, v0, v32
	v_add_co_ci_u32_e64 v1, null, v1, v33, vcc_lo
	v_add_co_u32 v0, vcc_lo, v0, v16
	v_add_co_ci_u32_e64 v1, null, 0, v1, vcc_lo
	v_cmp_lt_u32_e32 vcc_lo, v30, v14
	s_and_saveexec_b32 s4, vcc_lo
	s_cbranch_execz .LBB1025_2
; %bb.1:
	flat_load_ushort v39, v[0:1]
.LBB1025_2:
	s_or_b32 exec_lo, exec_lo, s4
	v_or_b32_e32 v15, 1, v30
	v_cmp_lt_u32_e64 s4, v15, v14
	s_and_saveexec_b32 s5, s4
	s_cbranch_execz .LBB1025_4
; %bb.3:
	flat_load_ushort v37, v[0:1] offset:2
.LBB1025_4:
	s_or_b32 exec_lo, exec_lo, s5
	v_or_b32_e32 v15, 2, v30
	v_mov_b32_e32 v38, 0x7fff
	v_mov_b32_e32 v24, 0x7fff
	v_cmp_lt_u32_e64 s5, v15, v14
	s_and_saveexec_b32 s6, s5
	s_cbranch_execz .LBB1025_6
; %bb.5:
	flat_load_ushort v24, v[0:1] offset:4
.LBB1025_6:
	s_or_b32 exec_lo, exec_lo, s6
	v_or_b32_e32 v15, 3, v30
	v_cmp_lt_u32_e64 s6, v15, v14
	s_and_saveexec_b32 s7, s6
	s_cbranch_execz .LBB1025_8
; %bb.7:
	flat_load_ushort v38, v[0:1] offset:6
.LBB1025_8:
	s_or_b32 exec_lo, exec_lo, s7
	v_lshlrev_b64 v[0:1], 3, v[8:9]
	v_lshlrev_b32_e32 v36, 3, v30
	v_mov_b32_e32 v8, 0
	v_mov_b32_e32 v9, 0
	; wave barrier
	v_add_co_u32 v14, s7, v4, v0
	v_add_co_ci_u32_e64 v15, null, v5, v1, s7
	v_mov_b32_e32 v4, 0
	v_add_co_u32 v16, s7, v14, v36
	v_mov_b32_e32 v5, 0
	v_add_co_ci_u32_e64 v17, null, 0, v15, s7
	s_and_saveexec_b32 s7, vcc_lo
	s_cbranch_execz .LBB1025_10
; %bb.9:
	flat_load_dwordx2 v[4:5], v[16:17]
.LBB1025_10:
	s_or_b32 exec_lo, exec_lo, s7
	s_mov_b32 s7, 0
	v_mov_b32_e32 v18, s7
	v_mov_b32_e32 v19, s7
	;; [unrolled: 1-line block ×6, first 2 shown]
	s_and_saveexec_b32 s10, s4
	s_cbranch_execz .LBB1025_12
; %bb.11:
	flat_load_dwordx2 v[18:19], v[16:17] offset:8
	v_mov_b32_e32 v22, s7
	v_mov_b32_e32 v23, s7
	;; [unrolled: 1-line block ×4, first 2 shown]
	s_waitcnt vmcnt(0) lgkmcnt(0)
	v_mov_b32_e32 v8, v18
	v_mov_b32_e32 v9, v19
.LBB1025_12:
	s_or_b32 exec_lo, exec_lo, s10
	v_mov_b32_e32 v20, 0
	v_mov_b32_e32 v14, 0
	;; [unrolled: 1-line block ×4, first 2 shown]
	s_and_saveexec_b32 s7, s5
	s_cbranch_execz .LBB1025_14
; %bb.13:
	flat_load_dwordx2 v[22:23], v[16:17] offset:16
	s_mov_b32 s10, 0
	v_mov_b32_e32 v34, s10
	v_mov_b32_e32 v35, s10
	s_waitcnt vmcnt(0) lgkmcnt(0)
	v_mov_b32_e32 v14, v22
	v_mov_b32_e32 v15, v23
.LBB1025_14:
	s_or_b32 exec_lo, exec_lo, s7
	s_and_saveexec_b32 s7, s6
	s_cbranch_execz .LBB1025_16
; %bb.15:
	flat_load_dwordx2 v[34:35], v[16:17] offset:24
	s_waitcnt vmcnt(0) lgkmcnt(0)
	v_mov_b32_e32 v20, v34
	v_mov_b32_e32 v21, v35
.LBB1025_16:
	s_or_b32 exec_lo, exec_lo, s7
	v_cmp_ne_u32_e64 s7, 0, v10
	v_cmp_ne_u32_e64 s10, 16, v11
	v_bfe_u32 v17, v31, 10, 10
	v_bfe_u32 v25, v31, 20, 10
	v_and_b32_e32 v16, 0x3ff, v31
	s_or_b32 s7, s7, s10
	; wave barrier
	s_and_saveexec_b32 s10, s7
	s_xor_b32 s17, exec_lo, s10
	s_cbranch_execz .LBB1025_80
; %bb.17:
	s_load_dwordx2 s[10:11], s[8:9], 0x0
	v_mov_b32_e32 v26, 0
	v_lshlrev_b32_e64 v10, v10, -1
	s_waitcnt lgkmcnt(0)
	s_cmp_lt_u32 s13, s11
	s_cselect_b32 s7, 14, 20
	s_add_u32 s14, s8, s7
	s_addc_u32 s15, s9, 0
	s_cmp_lt_u32 s12, s10
	global_load_ushort v27, v26, s[14:15]
	s_cselect_b32 s7, 12, 18
	s_add_u32 s10, s8, s7
	s_addc_u32 s11, s9, 0
	global_load_ushort v26, v26, s[10:11]
	s_mov_b32 s11, exec_lo
	s_waitcnt vmcnt(1)
	v_mad_u32_u24 v17, v25, v27, v17
	v_lshlrev_b32_e64 v25, v11, -1
	v_xor_b32_e32 v10, v25, v10
	s_waitcnt vmcnt(0)
	v_mul_lo_u32 v17, v17, v26
	v_add_lshl_u32 v11, v17, v16, 2
	v_cmpx_gt_u32_e32 0x400, v11
	s_cbranch_execz .LBB1025_29
; %bb.18:
	v_and_b32_e32 v14, v37, v10
	v_and_b32_e32 v15, v39, v10
	;; [unrolled: 1-line block ×4, first 2 shown]
	v_mov_b32_e32 v31, v24
	s_mov_b32 s14, exec_lo
	v_cmp_gt_i16_e64 s7, v15, v14
	v_cndmask_b32_e64 v17, v19, v5, s7
	v_cndmask_b32_e64 v16, v18, v4, s7
	;; [unrolled: 1-line block ×4, first 2 shown]
	v_mov_b32_e32 v18, v22
	v_mov_b32_e32 v19, v23
	v_cmpx_gt_i16_e64 v8, v9
	s_cbranch_execz .LBB1025_20
; %bb.19:
	v_mov_b32_e32 v18, v34
	v_mov_b32_e32 v19, v35
	;; [unrolled: 1-line block ×7, first 2 shown]
.LBB1025_20:
	s_or_b32 exec_lo, exec_lo, s14
	v_cndmask_b32_e64 v5, v37, v39, s7
	v_mov_b32_e32 v20, v34
	v_mov_b32_e32 v29, v21
	;; [unrolled: 1-line block ×4, first 2 shown]
	v_and_b32_e32 v4, v5, v10
	v_mov_b32_e32 v28, v20
	v_mov_b32_e32 v27, v19
	;; [unrolled: 1-line block ×4, first 2 shown]
	v_cmp_le_i16_e64 s10, v4, v8
	v_mov_b32_e32 v24, v16
                                        ; implicit-def: $vgpr48
	s_and_saveexec_b32 s14, s10
	s_xor_b32 s10, exec_lo, s14
; %bb.21:
	v_and_b32_e32 v48, v31, v10
                                        ; implicit-def: $vgpr22_vgpr23_vgpr24_vgpr25_vgpr26_vgpr27_vgpr28_vgpr29
                                        ; implicit-def: $vgpr8
; %bb.22:
	s_or_saveexec_b32 s10, s10
	v_mov_b32_e32 v21, v35
	v_mov_b32_e32 v25, v5
	s_xor_b32 exec_lo, exec_lo, s10
	s_cbranch_execz .LBB1025_24
; %bb.23:
	v_mov_b32_e32 v24, v18
	v_mov_b32_e32 v25, v19
	;; [unrolled: 1-line block ×18, first 2 shown]
.LBB1025_24:
	s_or_b32 exec_lo, exec_lo, s10
	v_cndmask_b32_e64 v22, v39, v37, s7
	v_and_b32_e32 v23, v38, v10
	s_mov_b32 s14, exec_lo
	v_and_b32_e32 v5, v22, v10
	v_cmp_gt_i16_e64 s7, v5, v4
	v_cndmask_b32_e64 v9, v17, v15, s7
	v_cndmask_b32_e64 v8, v16, v14, s7
	;; [unrolled: 1-line block ×4, first 2 shown]
	v_mov_b32_e32 v16, v31
	v_cmpx_gt_i16_e64 v48, v23
	s_cbranch_execz .LBB1025_26
; %bb.25:
	v_mov_b32_e32 v14, v18
	v_mov_b32_e32 v15, v19
	;; [unrolled: 1-line block ×9, first 2 shown]
.LBB1025_26:
	s_or_b32 exec_lo, exec_lo, s14
	v_cndmask_b32_e64 v37, v25, v22, s7
	v_mov_b32_e32 v14, v18
	v_mov_b32_e32 v15, v19
	;; [unrolled: 1-line block ×3, first 2 shown]
	s_mov_b32 s14, exec_lo
	v_and_b32_e32 v17, v37, v10
	v_cmpx_gt_i16_e64 v17, v48
; %bb.27:
	v_mov_b32_e32 v15, v9
	v_mov_b32_e32 v14, v8
	;; [unrolled: 1-line block ×6, first 2 shown]
; %bb.28:
	s_or_b32 exec_lo, exec_lo, s14
	v_cndmask_b32_e64 v39, v22, v25, s7
.LBB1025_29:
	s_or_b32 exec_lo, exec_lo, s11
	v_and_b32_e32 v17, 0xffffff80, v11
	v_or_b32_e32 v11, 4, v30
	v_mov_b32_e32 v18, 0
	v_and_b32_e32 v29, 0x78, v30
	s_mov_b32 s10, exec_lo
	v_sub_nc_u32_e64 v16, 0x400, v17 clamp
	v_lshlrev_b64 v[22:23], 3, v[17:18]
	v_lshlrev_b64 v[17:18], 1, v[17:18]
	v_min_u32_e32 v27, v16, v11
	v_and_b32_e32 v11, 4, v30
	v_add_nc_u32_e32 v19, 4, v27
	v_min_u32_e32 v31, v16, v11
	v_add_co_u32 v11, null, v12, v22
	v_add_co_u32 v12, s7, v12, v17
	v_min_u32_e32 v28, v16, v19
	v_add_co_ci_u32_e64 v13, null, v13, v18, s7
	v_add_co_u32 v11, null, 0x800, v11
	v_sub_nc_u32_e32 v18, v28, v27
	v_sub_nc_u32_e32 v19, v27, v29
	v_lshl_add_u32 v13, v30, 1, v12
	v_lshl_add_u32 v17, v30, 3, v11
	ds_write_b16 v13, v39
	ds_write_b16 v13, v37 offset:2
	ds_write2_b64 v17, v[4:5], v[8:9] offset1:1
	ds_write_b16 v13, v24 offset:4
	ds_write_b16 v13, v38 offset:6
	ds_write2_b64 v17, v[14:15], v[20:21] offset0:2 offset1:3
	v_sub_nc_u32_e64 v34, v31, v18 clamp
	v_min_u32_e32 v18, v31, v19
	; wave barrier
	v_cmpx_lt_u32_e64 v34, v18
	s_cbranch_execz .LBB1025_33
; %bb.30:
	v_lshlrev_b32_e32 v19, 1, v29
	v_lshlrev_b32_e32 v22, 1, v27
	s_mov_b32 s11, 0
	v_add_co_u32 v19, null, v12, v19
	v_add_co_u32 v22, null, v12, v22
	.p2align	6
.LBB1025_31:                            ; =>This Inner Loop Header: Depth=1
	v_add_nc_u32_e32 v23, v18, v34
	v_lshrrev_b32_e32 v25, 1, v23
	v_and_b32_e32 v23, -2, v23
	v_xad_u32 v26, v25, -1, v31
	v_add_nc_u32_e32 v23, v19, v23
	v_add_nc_u32_e32 v35, 1, v25
	v_lshl_add_u32 v26, v26, 1, v22
	ds_read_u16 v23, v23
	ds_read_u16 v26, v26
	s_waitcnt lgkmcnt(1)
	v_and_b32_e32 v23, v23, v10
	s_waitcnt lgkmcnt(0)
	v_and_b32_e32 v26, v26, v10
	v_cmp_gt_i16_e64 s7, v23, v26
	v_cndmask_b32_e64 v18, v18, v25, s7
	v_cndmask_b32_e64 v34, v35, v34, s7
	v_cmp_ge_u32_e64 s7, v34, v18
	s_or_b32 s11, s7, s11
	s_andn2_b32 exec_lo, exec_lo, s11
	s_cbranch_execnz .LBB1025_31
; %bb.32:
	s_or_b32 exec_lo, exec_lo, s11
.LBB1025_33:
	s_or_b32 exec_lo, exec_lo, s10
	v_add_nc_u32_e32 v31, v27, v31
	v_add_nc_u32_e32 v35, v34, v29
	;; [unrolled: 1-line block ×5, first 2 shown]
	v_sub_nc_u32_e32 v31, v31, v34
	v_cmp_le_u32_e64 s7, v35, v27
	v_add_nc_u32_e32 v26, 16, v17
	v_add_nc_u32_e32 v18, 6, v13
	;; [unrolled: 1-line block ×3, first 2 shown]
	v_cmp_le_u32_e64 s10, v31, v28
	s_or_b32 s7, s7, s10
	s_and_saveexec_b32 s18, s7
	s_cbranch_execz .LBB1025_39
; %bb.34:
	v_cmp_lt_u32_e64 s7, v35, v27
                                        ; implicit-def: $vgpr24
	s_and_saveexec_b32 s10, s7
; %bb.35:
	v_lshl_add_u32 v4, v35, 1, v12
	ds_read_u16 v24, v4
; %bb.36:
	s_or_b32 exec_lo, exec_lo, s10
	v_cmp_ge_u32_e64 s10, v31, v28
	s_mov_b32 s14, exec_lo
                                        ; implicit-def: $vgpr29
	v_cmpx_lt_u32_e64 v31, v28
; %bb.37:
	v_lshl_add_u32 v4, v31, 1, v12
	ds_read_u16 v29, v4
; %bb.38:
	s_or_b32 exec_lo, exec_lo, s14
	s_waitcnt lgkmcnt(0)
	v_and_b32_e32 v4, v29, v10
	v_and_b32_e32 v5, v24, v10
	v_cmp_le_i16_e64 s11, v5, v4
	s_and_b32 s7, s7, s11
	s_or_b32 s7, s10, s7
	v_cndmask_b32_e64 v4, v31, v35, s7
	v_cndmask_b32_e64 v5, v28, v27, s7
	;; [unrolled: 1-line block ×3, first 2 shown]
	v_add_nc_u32_e32 v8, 1, v4
	v_add_nc_u32_e32 v5, -1, v5
	v_lshl_add_u32 v4, v4, 3, v11
	v_min_u32_e32 v5, v8, v5
	v_lshl_add_u32 v5, v5, 1, v12
	ds_read_u16 v5, v5
	s_waitcnt lgkmcnt(0)
	v_cndmask_b32_e64 v34, v5, v29, s7
	v_cndmask_b32_e64 v37, v24, v5, s7
	;; [unrolled: 1-line block ×4, first 2 shown]
	v_and_b32_e32 v9, v34, v10
	v_and_b32_e32 v14, v37, v10
	v_cmp_lt_u32_e64 s10, v5, v27
	v_cmp_ge_u32_e64 s14, v8, v28
	v_cmp_le_i16_e64 s11, v14, v9
	s_and_b32 s10, s10, s11
	s_or_b32 s10, s14, s10
	v_cndmask_b32_e64 v9, v8, v5, s10
	v_cndmask_b32_e64 v14, v28, v27, s10
	v_add_nc_u32_e32 v15, 1, v9
	v_add_nc_u32_e32 v14, -1, v14
	v_cndmask_b32_e64 v5, v5, v15, s10
	v_min_u32_e32 v14, v15, v14
	v_cndmask_b32_e64 v8, v15, v8, s10
	v_cmp_lt_u32_e64 s11, v5, v27
	v_lshl_add_u32 v14, v14, 1, v12
	v_cmp_ge_u32_e64 s15, v8, v28
	ds_read_u16 v14, v14
	s_waitcnt lgkmcnt(0)
	v_cndmask_b32_e64 v31, v14, v34, s10
	v_cndmask_b32_e64 v35, v37, v14, s10
	;; [unrolled: 1-line block ×3, first 2 shown]
	v_and_b32_e32 v14, v31, v10
	v_and_b32_e32 v20, v35, v10
	v_cmp_le_i16_e64 s14, v20, v14
	s_and_b32 s11, s11, s14
	s_or_b32 s11, s15, s11
	v_cndmask_b32_e64 v14, v8, v5, s11
	v_cndmask_b32_e64 v15, v28, v27, s11
	;; [unrolled: 1-line block ×3, first 2 shown]
	v_add_nc_u32_e32 v20, 1, v14
	v_add_nc_u32_e32 v15, -1, v15
	v_lshl_add_u32 v14, v14, 3, v11
	v_cndmask_b32_e64 v5, v5, v20, s11
	v_min_u32_e32 v15, v20, v15
	v_cndmask_b32_e64 v8, v20, v8, s11
	v_cmp_lt_u32_e64 s14, v5, v27
	v_lshl_add_u32 v15, v15, 1, v12
	v_cmp_ge_u32_e64 s16, v8, v28
	ds_read_u16 v15, v15
	s_waitcnt lgkmcnt(0)
	v_cndmask_b32_e64 v38, v15, v31, s11
	v_cndmask_b32_e64 v48, v35, v15, s11
	v_and_b32_e32 v15, v38, v10
	v_and_b32_e32 v21, v48, v10
	v_cmp_le_i16_e64 s15, v21, v15
	s_and_b32 s14, s14, s15
	s_or_b32 s14, s16, s14
	v_cndmask_b32_e64 v5, v8, v5, s14
	v_lshl_add_u32 v8, v9, 3, v11
	v_cndmask_b32_e64 v38, v38, v48, s14
	v_lshl_add_u32 v20, v5, 3, v11
	ds_read_b64 v[4:5], v4
	ds_read_b64 v[8:9], v8
	;; [unrolled: 1-line block ×4, first 2 shown]
.LBB1025_39:
	s_or_b32 exec_lo, exec_lo, s18
	v_and_b32_e32 v29, 0x70, v30
	v_and_b32_e32 v31, 12, v30
	s_mov_b32 s10, exec_lo
	; wave barrier
	v_or_b32_e32 v27, 8, v29
	v_min_u32_e32 v31, v16, v31
	ds_write_b16 v13, v39
	s_waitcnt lgkmcnt(4)
	ds_write_b64 v17, v[4:5]
	ds_write_b16 v22, v37
	s_waitcnt lgkmcnt(5)
	ds_write_b64 v23, v[8:9]
	;; [unrolled: 3-line block ×4, first 2 shown]
	v_min_u32_e32 v27, v16, v27
	; wave barrier
	v_add_nc_u32_e32 v28, 8, v27
	v_sub_nc_u32_e32 v35, v27, v29
	v_min_u32_e32 v28, v16, v28
	v_min_u32_e32 v35, v31, v35
	v_sub_nc_u32_e32 v34, v28, v27
	v_sub_nc_u32_e64 v34, v31, v34 clamp
	v_cmpx_lt_u32_e64 v34, v35
	s_cbranch_execz .LBB1025_43
; %bb.40:
	v_lshlrev_b32_e32 v48, 1, v29
	v_lshlrev_b32_e32 v49, 1, v27
	s_mov_b32 s11, 0
	v_add_co_u32 v48, null, v12, v48
	v_add_co_u32 v49, null, v12, v49
	.p2align	6
.LBB1025_41:                            ; =>This Inner Loop Header: Depth=1
	v_add_nc_u32_e32 v50, v35, v34
	v_lshrrev_b32_e32 v51, 1, v50
	v_and_b32_e32 v50, -2, v50
	v_xad_u32 v52, v51, -1, v31
	v_add_nc_u32_e32 v50, v48, v50
	v_add_nc_u32_e32 v53, 1, v51
	v_lshl_add_u32 v52, v52, 1, v49
	ds_read_u16 v50, v50
	ds_read_u16 v52, v52
	s_waitcnt lgkmcnt(1)
	v_and_b32_e32 v50, v50, v10
	s_waitcnt lgkmcnt(0)
	v_and_b32_e32 v52, v52, v10
	v_cmp_gt_i16_e64 s7, v50, v52
	v_cndmask_b32_e64 v35, v35, v51, s7
	v_cndmask_b32_e64 v34, v53, v34, s7
	v_cmp_ge_u32_e64 s7, v34, v35
	s_or_b32 s11, s7, s11
	s_andn2_b32 exec_lo, exec_lo, s11
	s_cbranch_execnz .LBB1025_41
; %bb.42:
	s_or_b32 exec_lo, exec_lo, s11
.LBB1025_43:
	s_or_b32 exec_lo, exec_lo, s10
	v_add_nc_u32_e32 v31, v27, v31
	v_add_nc_u32_e32 v35, v34, v29
	v_sub_nc_u32_e32 v31, v31, v34
	v_cmp_le_u32_e64 s7, v35, v27
	v_cmp_le_u32_e64 s10, v31, v28
	s_or_b32 s7, s7, s10
	s_and_saveexec_b32 s18, s7
	s_cbranch_execz .LBB1025_49
; %bb.44:
	v_cmp_lt_u32_e64 s7, v35, v27
                                        ; implicit-def: $vgpr24
	s_and_saveexec_b32 s10, s7
; %bb.45:
	v_lshl_add_u32 v4, v35, 1, v12
	ds_read_u16 v24, v4
; %bb.46:
	s_or_b32 exec_lo, exec_lo, s10
	v_cmp_ge_u32_e64 s10, v31, v28
	s_mov_b32 s14, exec_lo
                                        ; implicit-def: $vgpr29
	v_cmpx_lt_u32_e64 v31, v28
; %bb.47:
	v_lshl_add_u32 v4, v31, 1, v12
	ds_read_u16 v29, v4
; %bb.48:
	s_or_b32 exec_lo, exec_lo, s14
	s_waitcnt lgkmcnt(0)
	v_and_b32_e32 v4, v29, v10
	v_and_b32_e32 v5, v24, v10
	v_cmp_le_i16_e64 s11, v5, v4
	s_and_b32 s7, s7, s11
	s_or_b32 s7, s10, s7
	v_cndmask_b32_e64 v4, v31, v35, s7
	v_cndmask_b32_e64 v5, v28, v27, s7
	;; [unrolled: 1-line block ×3, first 2 shown]
	v_add_nc_u32_e32 v8, 1, v4
	v_add_nc_u32_e32 v5, -1, v5
	v_lshl_add_u32 v4, v4, 3, v11
	v_min_u32_e32 v5, v8, v5
	v_lshl_add_u32 v5, v5, 1, v12
	ds_read_u16 v5, v5
	s_waitcnt lgkmcnt(0)
	v_cndmask_b32_e64 v34, v5, v29, s7
	v_cndmask_b32_e64 v37, v24, v5, s7
	;; [unrolled: 1-line block ×4, first 2 shown]
	v_and_b32_e32 v9, v34, v10
	v_and_b32_e32 v14, v37, v10
	v_cmp_lt_u32_e64 s10, v5, v27
	v_cmp_ge_u32_e64 s14, v8, v28
	v_cmp_le_i16_e64 s11, v14, v9
	s_and_b32 s10, s10, s11
	s_or_b32 s10, s14, s10
	v_cndmask_b32_e64 v9, v8, v5, s10
	v_cndmask_b32_e64 v14, v28, v27, s10
	v_add_nc_u32_e32 v15, 1, v9
	v_add_nc_u32_e32 v14, -1, v14
	v_cndmask_b32_e64 v5, v5, v15, s10
	v_min_u32_e32 v14, v15, v14
	v_cndmask_b32_e64 v8, v15, v8, s10
	v_cmp_lt_u32_e64 s11, v5, v27
	v_lshl_add_u32 v14, v14, 1, v12
	v_cmp_ge_u32_e64 s15, v8, v28
	ds_read_u16 v14, v14
	s_waitcnt lgkmcnt(0)
	v_cndmask_b32_e64 v31, v14, v34, s10
	v_cndmask_b32_e64 v35, v37, v14, s10
	v_cndmask_b32_e64 v37, v34, v37, s10
	v_and_b32_e32 v14, v31, v10
	v_and_b32_e32 v20, v35, v10
	v_cmp_le_i16_e64 s14, v20, v14
	s_and_b32 s11, s11, s14
	s_or_b32 s11, s15, s11
	v_cndmask_b32_e64 v14, v8, v5, s11
	v_cndmask_b32_e64 v15, v28, v27, s11
	;; [unrolled: 1-line block ×3, first 2 shown]
	v_add_nc_u32_e32 v20, 1, v14
	v_add_nc_u32_e32 v15, -1, v15
	v_lshl_add_u32 v14, v14, 3, v11
	v_cndmask_b32_e64 v5, v5, v20, s11
	v_min_u32_e32 v15, v20, v15
	v_cndmask_b32_e64 v8, v20, v8, s11
	v_cmp_lt_u32_e64 s14, v5, v27
	v_lshl_add_u32 v15, v15, 1, v12
	v_cmp_ge_u32_e64 s16, v8, v28
	ds_read_u16 v15, v15
	s_waitcnt lgkmcnt(0)
	v_cndmask_b32_e64 v38, v15, v31, s11
	v_cndmask_b32_e64 v48, v35, v15, s11
	v_and_b32_e32 v15, v38, v10
	v_and_b32_e32 v21, v48, v10
	v_cmp_le_i16_e64 s15, v21, v15
	s_and_b32 s14, s14, s15
	s_or_b32 s14, s16, s14
	v_cndmask_b32_e64 v5, v8, v5, s14
	v_lshl_add_u32 v8, v9, 3, v11
	v_cndmask_b32_e64 v38, v38, v48, s14
	v_lshl_add_u32 v20, v5, 3, v11
	ds_read_b64 v[4:5], v4
	ds_read_b64 v[8:9], v8
	;; [unrolled: 1-line block ×4, first 2 shown]
.LBB1025_49:
	s_or_b32 exec_lo, exec_lo, s18
	v_and_b32_e32 v29, 0x60, v30
	v_and_b32_e32 v31, 28, v30
	s_mov_b32 s10, exec_lo
	; wave barrier
	v_or_b32_e32 v27, 16, v29
	v_min_u32_e32 v31, v16, v31
	ds_write_b16 v13, v39
	s_waitcnt lgkmcnt(4)
	ds_write_b64 v17, v[4:5]
	ds_write_b16 v22, v37
	s_waitcnt lgkmcnt(5)
	ds_write_b64 v23, v[8:9]
	;; [unrolled: 3-line block ×4, first 2 shown]
	v_min_u32_e32 v27, v16, v27
	; wave barrier
	v_add_nc_u32_e32 v28, 16, v27
	v_sub_nc_u32_e32 v35, v27, v29
	v_min_u32_e32 v28, v16, v28
	v_min_u32_e32 v35, v31, v35
	v_sub_nc_u32_e32 v34, v28, v27
	v_sub_nc_u32_e64 v34, v31, v34 clamp
	v_cmpx_lt_u32_e64 v34, v35
	s_cbranch_execz .LBB1025_53
; %bb.50:
	v_lshlrev_b32_e32 v48, 1, v29
	v_lshlrev_b32_e32 v49, 1, v27
	s_mov_b32 s11, 0
	v_add_co_u32 v48, null, v12, v48
	v_add_co_u32 v49, null, v12, v49
	.p2align	6
.LBB1025_51:                            ; =>This Inner Loop Header: Depth=1
	v_add_nc_u32_e32 v50, v35, v34
	v_lshrrev_b32_e32 v51, 1, v50
	v_and_b32_e32 v50, -2, v50
	v_xad_u32 v52, v51, -1, v31
	v_add_nc_u32_e32 v50, v48, v50
	v_add_nc_u32_e32 v53, 1, v51
	v_lshl_add_u32 v52, v52, 1, v49
	ds_read_u16 v50, v50
	ds_read_u16 v52, v52
	s_waitcnt lgkmcnt(1)
	v_and_b32_e32 v50, v50, v10
	s_waitcnt lgkmcnt(0)
	v_and_b32_e32 v52, v52, v10
	v_cmp_gt_i16_e64 s7, v50, v52
	v_cndmask_b32_e64 v35, v35, v51, s7
	v_cndmask_b32_e64 v34, v53, v34, s7
	v_cmp_ge_u32_e64 s7, v34, v35
	s_or_b32 s11, s7, s11
	s_andn2_b32 exec_lo, exec_lo, s11
	s_cbranch_execnz .LBB1025_51
; %bb.52:
	s_or_b32 exec_lo, exec_lo, s11
.LBB1025_53:
	s_or_b32 exec_lo, exec_lo, s10
	v_add_nc_u32_e32 v31, v27, v31
	v_add_nc_u32_e32 v35, v34, v29
	v_sub_nc_u32_e32 v31, v31, v34
	v_cmp_le_u32_e64 s7, v35, v27
	v_cmp_le_u32_e64 s10, v31, v28
	s_or_b32 s7, s7, s10
	s_and_saveexec_b32 s18, s7
	s_cbranch_execz .LBB1025_59
; %bb.54:
	v_cmp_lt_u32_e64 s7, v35, v27
                                        ; implicit-def: $vgpr24
	s_and_saveexec_b32 s10, s7
; %bb.55:
	v_lshl_add_u32 v4, v35, 1, v12
	ds_read_u16 v24, v4
; %bb.56:
	s_or_b32 exec_lo, exec_lo, s10
	v_cmp_ge_u32_e64 s10, v31, v28
	s_mov_b32 s14, exec_lo
                                        ; implicit-def: $vgpr29
	v_cmpx_lt_u32_e64 v31, v28
; %bb.57:
	v_lshl_add_u32 v4, v31, 1, v12
	ds_read_u16 v29, v4
; %bb.58:
	s_or_b32 exec_lo, exec_lo, s14
	s_waitcnt lgkmcnt(0)
	v_and_b32_e32 v4, v29, v10
	v_and_b32_e32 v5, v24, v10
	v_cmp_le_i16_e64 s11, v5, v4
	s_and_b32 s7, s7, s11
	s_or_b32 s7, s10, s7
	v_cndmask_b32_e64 v4, v31, v35, s7
	v_cndmask_b32_e64 v5, v28, v27, s7
	;; [unrolled: 1-line block ×3, first 2 shown]
	v_add_nc_u32_e32 v8, 1, v4
	v_add_nc_u32_e32 v5, -1, v5
	v_lshl_add_u32 v4, v4, 3, v11
	v_min_u32_e32 v5, v8, v5
	v_lshl_add_u32 v5, v5, 1, v12
	ds_read_u16 v5, v5
	s_waitcnt lgkmcnt(0)
	v_cndmask_b32_e64 v34, v5, v29, s7
	v_cndmask_b32_e64 v37, v24, v5, s7
	;; [unrolled: 1-line block ×4, first 2 shown]
	v_and_b32_e32 v9, v34, v10
	v_and_b32_e32 v14, v37, v10
	v_cmp_lt_u32_e64 s10, v5, v27
	v_cmp_ge_u32_e64 s14, v8, v28
	v_cmp_le_i16_e64 s11, v14, v9
	s_and_b32 s10, s10, s11
	s_or_b32 s10, s14, s10
	v_cndmask_b32_e64 v9, v8, v5, s10
	v_cndmask_b32_e64 v14, v28, v27, s10
	v_add_nc_u32_e32 v15, 1, v9
	v_add_nc_u32_e32 v14, -1, v14
	v_cndmask_b32_e64 v5, v5, v15, s10
	v_min_u32_e32 v14, v15, v14
	v_cndmask_b32_e64 v8, v15, v8, s10
	v_cmp_lt_u32_e64 s11, v5, v27
	v_lshl_add_u32 v14, v14, 1, v12
	v_cmp_ge_u32_e64 s15, v8, v28
	ds_read_u16 v14, v14
	s_waitcnt lgkmcnt(0)
	v_cndmask_b32_e64 v31, v14, v34, s10
	v_cndmask_b32_e64 v35, v37, v14, s10
	v_cndmask_b32_e64 v37, v34, v37, s10
	v_and_b32_e32 v14, v31, v10
	v_and_b32_e32 v20, v35, v10
	v_cmp_le_i16_e64 s14, v20, v14
	s_and_b32 s11, s11, s14
	s_or_b32 s11, s15, s11
	v_cndmask_b32_e64 v14, v8, v5, s11
	v_cndmask_b32_e64 v15, v28, v27, s11
	;; [unrolled: 1-line block ×3, first 2 shown]
	v_add_nc_u32_e32 v20, 1, v14
	v_add_nc_u32_e32 v15, -1, v15
	v_lshl_add_u32 v14, v14, 3, v11
	v_cndmask_b32_e64 v5, v5, v20, s11
	v_min_u32_e32 v15, v20, v15
	v_cndmask_b32_e64 v8, v20, v8, s11
	v_cmp_lt_u32_e64 s14, v5, v27
	v_lshl_add_u32 v15, v15, 1, v12
	v_cmp_ge_u32_e64 s16, v8, v28
	ds_read_u16 v15, v15
	s_waitcnt lgkmcnt(0)
	v_cndmask_b32_e64 v38, v15, v31, s11
	v_cndmask_b32_e64 v48, v35, v15, s11
	v_and_b32_e32 v15, v38, v10
	v_and_b32_e32 v21, v48, v10
	v_cmp_le_i16_e64 s15, v21, v15
	s_and_b32 s14, s14, s15
	s_or_b32 s14, s16, s14
	v_cndmask_b32_e64 v5, v8, v5, s14
	v_lshl_add_u32 v8, v9, 3, v11
	v_cndmask_b32_e64 v38, v38, v48, s14
	v_lshl_add_u32 v20, v5, 3, v11
	ds_read_b64 v[4:5], v4
	ds_read_b64 v[8:9], v8
	;; [unrolled: 1-line block ×4, first 2 shown]
.LBB1025_59:
	s_or_b32 exec_lo, exec_lo, s18
	v_and_b32_e32 v29, 64, v30
	v_and_b32_e32 v31, 60, v30
	s_mov_b32 s10, exec_lo
	; wave barrier
	v_or_b32_e32 v27, 32, v29
	v_min_u32_e32 v31, v16, v31
	ds_write_b16 v13, v39
	s_waitcnt lgkmcnt(4)
	ds_write_b64 v17, v[4:5]
	ds_write_b16 v22, v37
	s_waitcnt lgkmcnt(5)
	ds_write_b64 v23, v[8:9]
	;; [unrolled: 3-line block ×4, first 2 shown]
	v_min_u32_e32 v27, v16, v27
	; wave barrier
	v_add_nc_u32_e32 v28, 32, v27
	v_sub_nc_u32_e32 v35, v27, v29
	v_min_u32_e32 v28, v16, v28
	v_min_u32_e32 v35, v31, v35
	v_sub_nc_u32_e32 v34, v28, v27
	v_sub_nc_u32_e64 v34, v31, v34 clamp
	v_cmpx_lt_u32_e64 v34, v35
	s_cbranch_execz .LBB1025_63
; %bb.60:
	v_lshlrev_b32_e32 v48, 1, v29
	v_lshlrev_b32_e32 v49, 1, v27
	s_mov_b32 s11, 0
	v_add_co_u32 v48, null, v12, v48
	v_add_co_u32 v49, null, v12, v49
	.p2align	6
.LBB1025_61:                            ; =>This Inner Loop Header: Depth=1
	v_add_nc_u32_e32 v50, v35, v34
	v_lshrrev_b32_e32 v51, 1, v50
	v_and_b32_e32 v50, -2, v50
	v_xad_u32 v52, v51, -1, v31
	v_add_nc_u32_e32 v50, v48, v50
	v_add_nc_u32_e32 v53, 1, v51
	v_lshl_add_u32 v52, v52, 1, v49
	ds_read_u16 v50, v50
	ds_read_u16 v52, v52
	s_waitcnt lgkmcnt(1)
	v_and_b32_e32 v50, v50, v10
	s_waitcnt lgkmcnt(0)
	v_and_b32_e32 v52, v52, v10
	v_cmp_gt_i16_e64 s7, v50, v52
	v_cndmask_b32_e64 v35, v35, v51, s7
	v_cndmask_b32_e64 v34, v53, v34, s7
	v_cmp_ge_u32_e64 s7, v34, v35
	s_or_b32 s11, s7, s11
	s_andn2_b32 exec_lo, exec_lo, s11
	s_cbranch_execnz .LBB1025_61
; %bb.62:
	s_or_b32 exec_lo, exec_lo, s11
.LBB1025_63:
	s_or_b32 exec_lo, exec_lo, s10
	v_add_nc_u32_e32 v31, v27, v31
	v_add_nc_u32_e32 v35, v34, v29
	v_sub_nc_u32_e32 v31, v31, v34
	v_cmp_le_u32_e64 s7, v35, v27
	v_cmp_le_u32_e64 s10, v31, v28
	s_or_b32 s7, s7, s10
	s_and_saveexec_b32 s18, s7
	s_cbranch_execz .LBB1025_69
; %bb.64:
	v_cmp_lt_u32_e64 s7, v35, v27
                                        ; implicit-def: $vgpr24
	s_and_saveexec_b32 s10, s7
; %bb.65:
	v_lshl_add_u32 v4, v35, 1, v12
	ds_read_u16 v24, v4
; %bb.66:
	s_or_b32 exec_lo, exec_lo, s10
	v_cmp_ge_u32_e64 s10, v31, v28
	s_mov_b32 s14, exec_lo
                                        ; implicit-def: $vgpr29
	v_cmpx_lt_u32_e64 v31, v28
; %bb.67:
	v_lshl_add_u32 v4, v31, 1, v12
	ds_read_u16 v29, v4
; %bb.68:
	s_or_b32 exec_lo, exec_lo, s14
	s_waitcnt lgkmcnt(0)
	v_and_b32_e32 v4, v29, v10
	v_and_b32_e32 v5, v24, v10
	v_cmp_le_i16_e64 s11, v5, v4
	s_and_b32 s7, s7, s11
	s_or_b32 s7, s10, s7
	v_cndmask_b32_e64 v4, v31, v35, s7
	v_cndmask_b32_e64 v5, v28, v27, s7
	;; [unrolled: 1-line block ×3, first 2 shown]
	v_add_nc_u32_e32 v8, 1, v4
	v_add_nc_u32_e32 v5, -1, v5
	v_lshl_add_u32 v4, v4, 3, v11
	v_min_u32_e32 v5, v8, v5
	v_lshl_add_u32 v5, v5, 1, v12
	ds_read_u16 v5, v5
	s_waitcnt lgkmcnt(0)
	v_cndmask_b32_e64 v34, v5, v29, s7
	v_cndmask_b32_e64 v37, v24, v5, s7
	;; [unrolled: 1-line block ×4, first 2 shown]
	v_and_b32_e32 v9, v34, v10
	v_and_b32_e32 v14, v37, v10
	v_cmp_lt_u32_e64 s10, v5, v27
	v_cmp_ge_u32_e64 s14, v8, v28
	v_cmp_le_i16_e64 s11, v14, v9
	s_and_b32 s10, s10, s11
	s_or_b32 s10, s14, s10
	v_cndmask_b32_e64 v9, v8, v5, s10
	v_cndmask_b32_e64 v14, v28, v27, s10
	v_add_nc_u32_e32 v15, 1, v9
	v_add_nc_u32_e32 v14, -1, v14
	v_cndmask_b32_e64 v5, v5, v15, s10
	v_min_u32_e32 v14, v15, v14
	v_cndmask_b32_e64 v8, v15, v8, s10
	v_cmp_lt_u32_e64 s11, v5, v27
	v_lshl_add_u32 v14, v14, 1, v12
	v_cmp_ge_u32_e64 s15, v8, v28
	ds_read_u16 v14, v14
	s_waitcnt lgkmcnt(0)
	v_cndmask_b32_e64 v31, v14, v34, s10
	v_cndmask_b32_e64 v35, v37, v14, s10
	;; [unrolled: 1-line block ×3, first 2 shown]
	v_and_b32_e32 v14, v31, v10
	v_and_b32_e32 v20, v35, v10
	v_cmp_le_i16_e64 s14, v20, v14
	s_and_b32 s11, s11, s14
	s_or_b32 s11, s15, s11
	v_cndmask_b32_e64 v14, v8, v5, s11
	v_cndmask_b32_e64 v15, v28, v27, s11
	;; [unrolled: 1-line block ×3, first 2 shown]
	v_add_nc_u32_e32 v20, 1, v14
	v_add_nc_u32_e32 v15, -1, v15
	v_lshl_add_u32 v14, v14, 3, v11
	v_cndmask_b32_e64 v5, v5, v20, s11
	v_min_u32_e32 v15, v20, v15
	v_cndmask_b32_e64 v8, v20, v8, s11
	v_cmp_lt_u32_e64 s14, v5, v27
	v_lshl_add_u32 v15, v15, 1, v12
	v_cmp_ge_u32_e64 s16, v8, v28
	ds_read_u16 v15, v15
	s_waitcnt lgkmcnt(0)
	v_cndmask_b32_e64 v38, v15, v31, s11
	v_cndmask_b32_e64 v48, v35, v15, s11
	v_and_b32_e32 v15, v38, v10
	v_and_b32_e32 v21, v48, v10
	v_cmp_le_i16_e64 s15, v21, v15
	s_and_b32 s14, s14, s15
	s_or_b32 s14, s16, s14
	v_cndmask_b32_e64 v5, v8, v5, s14
	v_lshl_add_u32 v8, v9, 3, v11
	v_cndmask_b32_e64 v38, v38, v48, s14
	v_lshl_add_u32 v20, v5, 3, v11
	ds_read_b64 v[4:5], v4
	ds_read_b64 v[8:9], v8
	;; [unrolled: 1-line block ×4, first 2 shown]
.LBB1025_69:
	s_or_b32 exec_lo, exec_lo, s18
	v_min_u32_e32 v27, 64, v16
	; wave barrier
	ds_write_b16 v13, v39
	s_waitcnt lgkmcnt(4)
	ds_write_b64 v17, v[4:5]
	s_mov_b32 s10, exec_lo
	v_add_nc_u32_e32 v28, 64, v27
	ds_write_b16 v22, v37
	s_waitcnt lgkmcnt(5)
	ds_write_b64 v23, v[8:9]
	ds_write_b16 v25, v24
	s_waitcnt lgkmcnt(6)
	ds_write_b64 v26, v[14:15]
	;; [unrolled: 3-line block ×3, first 2 shown]
	; wave barrier
	v_min_u32_e32 v28, v16, v28
	v_min_u32_e32 v16, v16, v30
	v_sub_nc_u32_e32 v29, v28, v27
	v_min_u32_e32 v17, v16, v27
	v_sub_nc_u32_e64 v13, v16, v29 clamp
	v_cmpx_lt_u32_e64 v13, v17
	s_cbranch_execz .LBB1025_73
; %bb.70:
	v_lshlrev_b32_e32 v18, 1, v27
	s_mov_b32 s11, 0
	v_add_co_u32 v18, null, v12, v18
	.p2align	6
.LBB1025_71:                            ; =>This Inner Loop Header: Depth=1
	v_add_nc_u32_e32 v19, v17, v13
	v_lshrrev_b32_e32 v22, 1, v19
	v_and_b32_e32 v19, -2, v19
	v_xad_u32 v23, v22, -1, v16
	v_add_nc_u32_e32 v19, v12, v19
	v_add_nc_u32_e32 v25, 1, v22
	v_lshl_add_u32 v23, v23, 1, v18
	ds_read_u16 v19, v19
	ds_read_u16 v23, v23
	s_waitcnt lgkmcnt(1)
	v_and_b32_e32 v19, v19, v10
	s_waitcnt lgkmcnt(0)
	v_and_b32_e32 v23, v23, v10
	v_cmp_gt_i16_e64 s7, v19, v23
	v_cndmask_b32_e64 v17, v17, v22, s7
	v_cndmask_b32_e64 v13, v25, v13, s7
	v_cmp_ge_u32_e64 s7, v13, v17
	s_or_b32 s11, s7, s11
	s_andn2_b32 exec_lo, exec_lo, s11
	s_cbranch_execnz .LBB1025_71
; %bb.72:
	s_or_b32 exec_lo, exec_lo, s11
.LBB1025_73:
	s_or_b32 exec_lo, exec_lo, s10
	v_add_nc_u32_e32 v16, v27, v16
	v_cmp_le_u32_e64 s7, v13, v27
	v_sub_nc_u32_e32 v18, v16, v13
	v_cmp_le_u32_e64 s10, v18, v28
	s_or_b32 s7, s7, s10
	s_and_saveexec_b32 s18, s7
	s_cbranch_execz .LBB1025_79
; %bb.74:
	v_cmp_lt_u32_e64 s7, v13, v27
                                        ; implicit-def: $vgpr16
	s_and_saveexec_b32 s10, s7
; %bb.75:
	v_lshl_add_u32 v4, v13, 1, v12
	ds_read_u16 v16, v4
; %bb.76:
	s_or_b32 exec_lo, exec_lo, s10
	v_cmp_ge_u32_e64 s10, v18, v28
	s_mov_b32 s14, exec_lo
                                        ; implicit-def: $vgpr17
	v_cmpx_lt_u32_e64 v18, v28
; %bb.77:
	v_lshl_add_u32 v4, v18, 1, v12
	ds_read_u16 v17, v4
; %bb.78:
	s_or_b32 exec_lo, exec_lo, s14
	s_waitcnt lgkmcnt(0)
	v_and_b32_e32 v4, v17, v10
	v_and_b32_e32 v5, v16, v10
	v_cmp_le_i16_e64 s11, v5, v4
	s_and_b32 s7, s7, s11
	s_or_b32 s7, s10, s7
	v_cndmask_b32_e64 v4, v18, v13, s7
	v_cndmask_b32_e64 v5, v28, v27, s7
	;; [unrolled: 1-line block ×3, first 2 shown]
	v_add_nc_u32_e32 v8, 1, v4
	v_add_nc_u32_e32 v5, -1, v5
	v_lshl_add_u32 v4, v4, 3, v11
	v_min_u32_e32 v5, v8, v5
	v_lshl_add_u32 v5, v5, 1, v12
	ds_read_u16 v5, v5
	s_waitcnt lgkmcnt(0)
	v_cndmask_b32_e64 v19, v5, v17, s7
	v_cndmask_b32_e64 v22, v16, v5, s7
	;; [unrolled: 1-line block ×4, first 2 shown]
	v_and_b32_e32 v9, v19, v10
	v_and_b32_e32 v13, v22, v10
	v_cmp_lt_u32_e64 s10, v5, v27
	v_cmp_ge_u32_e64 s14, v8, v28
	v_cmp_le_i16_e64 s11, v13, v9
	s_and_b32 s10, s10, s11
	s_or_b32 s10, s14, s10
	v_cndmask_b32_e64 v9, v8, v5, s10
	v_cndmask_b32_e64 v13, v28, v27, s10
	;; [unrolled: 1-line block ×3, first 2 shown]
	v_add_nc_u32_e32 v14, 1, v9
	v_add_nc_u32_e32 v13, -1, v13
	v_cndmask_b32_e64 v5, v5, v14, s10
	v_min_u32_e32 v13, v14, v13
	v_cndmask_b32_e64 v8, v14, v8, s10
	v_cmp_lt_u32_e64 s11, v5, v27
	v_lshl_add_u32 v13, v13, 1, v12
	v_cmp_ge_u32_e64 s15, v8, v28
	ds_read_u16 v13, v13
	s_waitcnt lgkmcnt(0)
	v_cndmask_b32_e64 v18, v13, v19, s10
	v_cndmask_b32_e64 v13, v22, v13, s10
	v_and_b32_e32 v15, v18, v10
	v_and_b32_e32 v20, v13, v10
	v_cmp_le_i16_e64 s14, v20, v15
	s_and_b32 s11, s11, s14
	s_or_b32 s11, s15, s11
	v_cndmask_b32_e64 v14, v8, v5, s11
	v_cndmask_b32_e64 v15, v28, v27, s11
	;; [unrolled: 1-line block ×3, first 2 shown]
	v_add_nc_u32_e32 v20, 1, v14
	v_add_nc_u32_e32 v15, -1, v15
	v_cndmask_b32_e64 v5, v5, v20, s11
	v_min_u32_e32 v15, v20, v15
	v_cndmask_b32_e64 v8, v20, v8, s11
	v_cmp_lt_u32_e64 s14, v5, v27
	v_lshl_add_u32 v12, v15, 1, v12
	v_cmp_ge_u32_e64 s16, v8, v28
	ds_read_u16 v12, v12
	s_waitcnt lgkmcnt(0)
	v_cndmask_b32_e64 v23, v12, v18, s11
	v_cndmask_b32_e64 v12, v13, v12, s11
	v_and_b32_e32 v15, v23, v10
	v_and_b32_e32 v10, v12, v10
	v_cmp_le_i16_e64 s15, v10, v15
	v_lshl_add_u32 v10, v14, 3, v11
	s_and_b32 s14, s14, s15
	s_or_b32 s14, s16, s14
	v_cndmask_b32_e64 v5, v8, v5, s14
	v_lshl_add_u32 v8, v9, 3, v11
	v_cndmask_b32_e64 v38, v23, v12, s14
	v_lshl_add_u32 v11, v5, 3, v11
	ds_read_b64 v[4:5], v4
	ds_read_b64 v[8:9], v8
	ds_read_b64 v[14:15], v10
	ds_read_b64 v[20:21], v11
.LBB1025_79:
	s_or_b32 exec_lo, exec_lo, s18
	; wave barrier
	s_waitcnt lgkmcnt(0)
	s_waitcnt_vscnt null, 0x0
	s_barrier
                                        ; implicit-def: $vgpr12
                                        ; implicit-def: $vgpr13
                                        ; implicit-def: $vgpr17
                                        ; implicit-def: $vgpr25
                                        ; implicit-def: $vgpr16
                                        ; implicit-def: $vgpr34_vgpr35
                                        ; implicit-def: $vgpr22_vgpr23
                                        ; implicit-def: $vgpr18_vgpr19
.LBB1025_80:
	s_andn2_saveexec_b32 s14, s17
	s_cbranch_execz .LBB1025_136
; %bb.81:
	s_load_dwordx2 s[10:11], s[8:9], 0x0
	v_mov_b32_e32 v11, 0
	s_waitcnt lgkmcnt(0)
	s_cmp_lt_u32 s13, s11
	s_cselect_b32 s7, 14, 20
	s_add_u32 s16, s8, s7
	s_addc_u32 s17, s9, 0
	s_cmp_lt_u32 s12, s10
	global_load_ushort v10, v11, s[16:17]
	s_cselect_b32 s7, 12, 18
	s_mov_b32 s10, exec_lo
	s_add_u32 s8, s8, s7
	s_addc_u32 s9, s9, 0
	global_load_ushort v26, v11, s[8:9]
	s_waitcnt vmcnt(1)
	v_mad_u32_u24 v10, v25, v10, v17
	s_waitcnt vmcnt(0)
	v_mul_lo_u32 v10, v10, v26
	v_add_lshl_u32 v10, v10, v16, 2
	v_cmpx_gt_u32_e32 0x400, v10
	s_cbranch_execz .LBB1025_85
; %bb.82:
	v_cmp_gt_i16_e64 s7, v39, v37
	v_max_i16 v8, v39, v37
	v_cmp_gt_i16_e64 s8, v24, v38
	v_min_i16 v15, v24, v38
	v_min_i16 v16, v39, v37
	v_cndmask_b32_e64 v9, v5, v19, s7
	v_cndmask_b32_e64 v5, v19, v5, s7
	;; [unrolled: 1-line block ×3, first 2 shown]
	v_cmp_gt_i16_e64 s9, v8, v15
	v_max_i16 v17, v24, v38
	v_cndmask_b32_e64 v14, v4, v18, s7
	v_cndmask_b32_e64 v4, v18, v4, s7
	;; [unrolled: 1-line block ×6, first 2 shown]
	v_cmp_lt_i16_e64 s7, v15, v16
	v_max_i16 v19, v8, v15
	v_cmp_gt_i16_e64 s8, v8, v17
	v_min_i16 v18, v8, v15
	v_cndmask_b32_e64 v24, v21, v4, s9
	v_cndmask_b32_e64 v15, v4, v21, s9
	;; [unrolled: 1-line block ×13, first 2 shown]
	v_mov_b32_e32 v24, v22
	s_mov_b32 s11, exec_lo
	v_cmpx_gt_i16_e64 v37, v22
	s_cbranch_execz .LBB1025_84
; %bb.83:
	v_mov_b32_e32 v26, v15
	v_mov_b32_e32 v25, v14
	;; [unrolled: 1-line block ×8, first 2 shown]
.LBB1025_84:
	s_or_b32 exec_lo, exec_lo, s11
	v_cndmask_b32_e64 v39, v16, v18, s7
	v_cndmask_b32_e64 v38, v17, v19, s8
.LBB1025_85:
	s_or_b32 exec_lo, exec_lo, s10
	v_and_b32_e32 v10, 0xffffff80, v10
	v_or_b32_e32 v17, 4, v30
	v_and_b32_e32 v22, 4, v30
	v_and_b32_e32 v28, 0x78, v30
	s_mov_b32 s8, exec_lo
	v_sub_nc_u32_e64 v16, 0x400, v10 clamp
	v_min_u32_e32 v26, v16, v17
	v_lshlrev_b64 v[17:18], 3, v[10:11]
	v_lshlrev_b64 v[18:19], 1, v[10:11]
	v_min_u32_e32 v29, v16, v22
	v_add_nc_u32_e32 v23, 4, v26
	v_add_co_u32 v10, null, v12, v17
	v_add_co_u32 v11, s7, v12, v18
	v_min_u32_e32 v27, v16, v23
	v_add_co_u32 v10, null, 0x800, v10
	v_sub_nc_u32_e32 v18, v26, v28
	v_add_co_ci_u32_e64 v12, null, v13, v19, s7
	v_sub_nc_u32_e32 v17, v27, v26
	v_lshl_add_u32 v12, v30, 1, v11
	v_lshl_add_u32 v13, v30, 3, v10
	ds_write_b16 v12, v39
	ds_write_b16 v12, v37 offset:2
	ds_write2_b64 v13, v[4:5], v[8:9] offset1:1
	ds_write_b16 v12, v24 offset:4
	ds_write_b16 v12, v38 offset:6
	ds_write2_b64 v13, v[14:15], v[20:21] offset0:2 offset1:3
	v_sub_nc_u32_e64 v31, v29, v17 clamp
	v_min_u32_e32 v17, v29, v18
	; wave barrier
	v_cmpx_lt_u32_e64 v31, v17
	s_cbranch_execz .LBB1025_89
; %bb.86:
	v_lshlrev_b32_e32 v18, 1, v28
	v_lshlrev_b32_e32 v19, 1, v26
	s_mov_b32 s9, 0
	v_add_co_u32 v18, null, v11, v18
	v_add_co_u32 v19, null, v11, v19
	.p2align	6
.LBB1025_87:                            ; =>This Inner Loop Header: Depth=1
	v_add_nc_u32_e32 v22, v17, v31
	v_lshrrev_b32_e32 v23, 1, v22
	v_and_b32_e32 v22, -2, v22
	v_xad_u32 v25, v23, -1, v29
	v_add_nc_u32_e32 v22, v18, v22
	v_add_nc_u32_e32 v34, 1, v23
	v_lshl_add_u32 v25, v25, 1, v19
	ds_read_u16 v22, v22
	ds_read_u16 v25, v25
	s_waitcnt lgkmcnt(0)
	v_cmp_gt_i16_e64 s7, v22, v25
	v_cndmask_b32_e64 v17, v17, v23, s7
	v_cndmask_b32_e64 v31, v34, v31, s7
	v_cmp_ge_u32_e64 s7, v31, v17
	s_or_b32 s9, s7, s9
	s_andn2_b32 exec_lo, exec_lo, s9
	s_cbranch_execnz .LBB1025_87
; %bb.88:
	s_or_b32 exec_lo, exec_lo, s9
.LBB1025_89:
	s_or_b32 exec_lo, exec_lo, s8
	v_add_nc_u32_e32 v29, v26, v29
	v_add_nc_u32_e32 v34, v31, v28
	;; [unrolled: 1-line block ×5, first 2 shown]
	v_sub_nc_u32_e32 v29, v29, v31
	v_cmp_le_u32_e64 s7, v34, v26
	v_add_nc_u32_e32 v25, 16, v13
	v_add_nc_u32_e32 v17, 6, v12
	;; [unrolled: 1-line block ×3, first 2 shown]
	v_cmp_le_u32_e64 s8, v29, v27
	s_or_b32 s7, s7, s8
	s_and_saveexec_b32 s13, s7
	s_cbranch_execz .LBB1025_95
; %bb.90:
	v_cmp_lt_u32_e64 s7, v34, v26
                                        ; implicit-def: $vgpr24
	s_and_saveexec_b32 s8, s7
; %bb.91:
	v_lshl_add_u32 v4, v34, 1, v11
	ds_read_u16 v24, v4
; %bb.92:
	s_or_b32 exec_lo, exec_lo, s8
	v_cmp_ge_u32_e64 s8, v29, v27
	s_mov_b32 s10, exec_lo
                                        ; implicit-def: $vgpr28
	v_cmpx_lt_u32_e64 v29, v27
; %bb.93:
	v_lshl_add_u32 v4, v29, 1, v11
	ds_read_u16 v28, v4
; %bb.94:
	s_or_b32 exec_lo, exec_lo, s10
	s_waitcnt lgkmcnt(0)
	v_cmp_le_i16_e64 s9, v24, v28
	s_and_b32 s7, s7, s9
	s_or_b32 s7, s8, s7
	v_cndmask_b32_e64 v4, v29, v34, s7
	v_cndmask_b32_e64 v5, v27, v26, s7
	;; [unrolled: 1-line block ×3, first 2 shown]
	v_add_nc_u32_e32 v8, 1, v4
	v_add_nc_u32_e32 v5, -1, v5
	v_lshl_add_u32 v4, v4, 3, v10
	v_cndmask_b32_e64 v9, v34, v8, s7
	v_min_u32_e32 v5, v8, v5
	v_cmp_lt_u32_e64 s8, v9, v26
	v_lshl_add_u32 v5, v5, 1, v11
	ds_read_u16 v5, v5
	s_waitcnt lgkmcnt(0)
	v_cndmask_b32_e64 v31, v5, v28, s7
	v_cndmask_b32_e64 v34, v24, v5, s7
	v_cndmask_b32_e64 v5, v8, v29, s7
	v_cmp_le_i16_e64 s9, v34, v31
	v_cmp_ge_u32_e64 s10, v5, v27
	s_and_b32 s8, s8, s9
	s_or_b32 s8, s10, s8
	v_cndmask_b32_e64 v8, v5, v9, s8
	v_cndmask_b32_e64 v14, v27, v26, s8
	;; [unrolled: 1-line block ×3, first 2 shown]
	v_add_nc_u32_e32 v15, 1, v8
	v_add_nc_u32_e32 v14, -1, v14
	v_lshl_add_u32 v8, v8, 3, v10
	v_cndmask_b32_e64 v9, v9, v15, s8
	v_min_u32_e32 v14, v15, v14
	v_cndmask_b32_e64 v5, v15, v5, s8
	v_cmp_lt_u32_e64 s9, v9, v26
	v_lshl_add_u32 v14, v14, 1, v11
	v_cmp_ge_u32_e64 s11, v5, v27
	ds_read_u16 v14, v14
	s_waitcnt lgkmcnt(0)
	v_cndmask_b32_e64 v29, v14, v31, s8
	v_cndmask_b32_e64 v35, v34, v14, s8
	v_cmp_le_i16_e64 s10, v35, v29
	s_and_b32 s9, s9, s10
	s_or_b32 s9, s11, s9
	v_cndmask_b32_e64 v14, v5, v9, s9
	v_cndmask_b32_e64 v15, v27, v26, s9
	;; [unrolled: 1-line block ×3, first 2 shown]
	v_add_nc_u32_e32 v20, 1, v14
	v_add_nc_u32_e32 v15, -1, v15
	v_lshl_add_u32 v14, v14, 3, v10
	v_cndmask_b32_e64 v9, v9, v20, s9
	v_min_u32_e32 v15, v20, v15
	v_cndmask_b32_e64 v5, v20, v5, s9
	v_cmp_lt_u32_e64 s10, v9, v26
	v_lshl_add_u32 v15, v15, 1, v11
	v_cmp_ge_u32_e64 s12, v5, v27
	ds_read_u16 v15, v15
	s_waitcnt lgkmcnt(0)
	v_cndmask_b32_e64 v38, v15, v29, s9
	v_cndmask_b32_e64 v48, v35, v15, s9
	v_cmp_le_i16_e64 s11, v48, v38
	s_and_b32 s10, s10, s11
	s_or_b32 s10, s12, s10
	v_cndmask_b32_e64 v5, v5, v9, s10
	v_cndmask_b32_e64 v38, v38, v48, s10
	v_lshl_add_u32 v20, v5, 3, v10
	ds_read_b64 v[4:5], v4
	ds_read_b64 v[8:9], v8
	;; [unrolled: 1-line block ×4, first 2 shown]
.LBB1025_95:
	s_or_b32 exec_lo, exec_lo, s13
	v_and_b32_e32 v28, 0x70, v30
	v_and_b32_e32 v29, 12, v30
	s_mov_b32 s8, exec_lo
	; wave barrier
	v_or_b32_e32 v26, 8, v28
	v_min_u32_e32 v29, v16, v29
	ds_write_b16 v12, v39
	s_waitcnt lgkmcnt(4)
	ds_write_b64 v13, v[4:5]
	ds_write_b16 v19, v37
	s_waitcnt lgkmcnt(5)
	ds_write_b64 v22, v[8:9]
	;; [unrolled: 3-line block ×4, first 2 shown]
	v_min_u32_e32 v26, v16, v26
	; wave barrier
	v_add_nc_u32_e32 v27, 8, v26
	v_sub_nc_u32_e32 v34, v26, v28
	v_min_u32_e32 v27, v16, v27
	v_min_u32_e32 v34, v29, v34
	v_sub_nc_u32_e32 v31, v27, v26
	v_sub_nc_u32_e64 v31, v29, v31 clamp
	v_cmpx_lt_u32_e64 v31, v34
	s_cbranch_execz .LBB1025_99
; %bb.96:
	v_lshlrev_b32_e32 v35, 1, v28
	v_lshlrev_b32_e32 v48, 1, v26
	s_mov_b32 s9, 0
	v_add_co_u32 v35, null, v11, v35
	v_add_co_u32 v48, null, v11, v48
	.p2align	6
.LBB1025_97:                            ; =>This Inner Loop Header: Depth=1
	v_add_nc_u32_e32 v49, v34, v31
	v_lshrrev_b32_e32 v50, 1, v49
	v_and_b32_e32 v49, -2, v49
	v_xad_u32 v51, v50, -1, v29
	v_add_nc_u32_e32 v49, v35, v49
	v_add_nc_u32_e32 v52, 1, v50
	v_lshl_add_u32 v51, v51, 1, v48
	ds_read_u16 v49, v49
	ds_read_u16 v51, v51
	s_waitcnt lgkmcnt(0)
	v_cmp_gt_i16_e64 s7, v49, v51
	v_cndmask_b32_e64 v34, v34, v50, s7
	v_cndmask_b32_e64 v31, v52, v31, s7
	v_cmp_ge_u32_e64 s7, v31, v34
	s_or_b32 s9, s7, s9
	s_andn2_b32 exec_lo, exec_lo, s9
	s_cbranch_execnz .LBB1025_97
; %bb.98:
	s_or_b32 exec_lo, exec_lo, s9
.LBB1025_99:
	s_or_b32 exec_lo, exec_lo, s8
	v_add_nc_u32_e32 v29, v26, v29
	v_add_nc_u32_e32 v34, v31, v28
	v_sub_nc_u32_e32 v29, v29, v31
	v_cmp_le_u32_e64 s7, v34, v26
	v_cmp_le_u32_e64 s8, v29, v27
	s_or_b32 s7, s7, s8
	s_and_saveexec_b32 s13, s7
	s_cbranch_execz .LBB1025_105
; %bb.100:
	v_cmp_lt_u32_e64 s7, v34, v26
                                        ; implicit-def: $vgpr24
	s_and_saveexec_b32 s8, s7
; %bb.101:
	v_lshl_add_u32 v4, v34, 1, v11
	ds_read_u16 v24, v4
; %bb.102:
	s_or_b32 exec_lo, exec_lo, s8
	v_cmp_ge_u32_e64 s8, v29, v27
	s_mov_b32 s10, exec_lo
                                        ; implicit-def: $vgpr28
	v_cmpx_lt_u32_e64 v29, v27
; %bb.103:
	v_lshl_add_u32 v4, v29, 1, v11
	ds_read_u16 v28, v4
; %bb.104:
	s_or_b32 exec_lo, exec_lo, s10
	s_waitcnt lgkmcnt(0)
	v_cmp_le_i16_e64 s9, v24, v28
	s_and_b32 s7, s7, s9
	s_or_b32 s7, s8, s7
	v_cndmask_b32_e64 v4, v29, v34, s7
	v_cndmask_b32_e64 v5, v27, v26, s7
	;; [unrolled: 1-line block ×3, first 2 shown]
	v_add_nc_u32_e32 v8, 1, v4
	v_add_nc_u32_e32 v5, -1, v5
	v_lshl_add_u32 v4, v4, 3, v10
	v_cndmask_b32_e64 v9, v34, v8, s7
	v_min_u32_e32 v5, v8, v5
	v_cmp_lt_u32_e64 s8, v9, v26
	v_lshl_add_u32 v5, v5, 1, v11
	ds_read_u16 v5, v5
	s_waitcnt lgkmcnt(0)
	v_cndmask_b32_e64 v31, v5, v28, s7
	v_cndmask_b32_e64 v34, v24, v5, s7
	;; [unrolled: 1-line block ×3, first 2 shown]
	v_cmp_le_i16_e64 s9, v34, v31
	v_cmp_ge_u32_e64 s10, v5, v27
	s_and_b32 s8, s8, s9
	s_or_b32 s8, s10, s8
	v_cndmask_b32_e64 v8, v5, v9, s8
	v_cndmask_b32_e64 v14, v27, v26, s8
	;; [unrolled: 1-line block ×3, first 2 shown]
	v_add_nc_u32_e32 v15, 1, v8
	v_add_nc_u32_e32 v14, -1, v14
	v_lshl_add_u32 v8, v8, 3, v10
	v_cndmask_b32_e64 v9, v9, v15, s8
	v_min_u32_e32 v14, v15, v14
	v_cndmask_b32_e64 v5, v15, v5, s8
	v_cmp_lt_u32_e64 s9, v9, v26
	v_lshl_add_u32 v14, v14, 1, v11
	v_cmp_ge_u32_e64 s11, v5, v27
	ds_read_u16 v14, v14
	s_waitcnt lgkmcnt(0)
	v_cndmask_b32_e64 v29, v14, v31, s8
	v_cndmask_b32_e64 v35, v34, v14, s8
	v_cmp_le_i16_e64 s10, v35, v29
	s_and_b32 s9, s9, s10
	s_or_b32 s9, s11, s9
	v_cndmask_b32_e64 v14, v5, v9, s9
	v_cndmask_b32_e64 v15, v27, v26, s9
	;; [unrolled: 1-line block ×3, first 2 shown]
	v_add_nc_u32_e32 v20, 1, v14
	v_add_nc_u32_e32 v15, -1, v15
	v_lshl_add_u32 v14, v14, 3, v10
	v_cndmask_b32_e64 v9, v9, v20, s9
	v_min_u32_e32 v15, v20, v15
	v_cndmask_b32_e64 v5, v20, v5, s9
	v_cmp_lt_u32_e64 s10, v9, v26
	v_lshl_add_u32 v15, v15, 1, v11
	v_cmp_ge_u32_e64 s12, v5, v27
	ds_read_u16 v15, v15
	s_waitcnt lgkmcnt(0)
	v_cndmask_b32_e64 v38, v15, v29, s9
	v_cndmask_b32_e64 v48, v35, v15, s9
	v_cmp_le_i16_e64 s11, v48, v38
	s_and_b32 s10, s10, s11
	s_or_b32 s10, s12, s10
	v_cndmask_b32_e64 v5, v5, v9, s10
	v_cndmask_b32_e64 v38, v38, v48, s10
	v_lshl_add_u32 v20, v5, 3, v10
	ds_read_b64 v[4:5], v4
	ds_read_b64 v[8:9], v8
	;; [unrolled: 1-line block ×4, first 2 shown]
.LBB1025_105:
	s_or_b32 exec_lo, exec_lo, s13
	v_and_b32_e32 v28, 0x60, v30
	v_and_b32_e32 v29, 28, v30
	s_mov_b32 s8, exec_lo
	; wave barrier
	v_or_b32_e32 v26, 16, v28
	v_min_u32_e32 v29, v16, v29
	ds_write_b16 v12, v39
	s_waitcnt lgkmcnt(4)
	ds_write_b64 v13, v[4:5]
	ds_write_b16 v19, v37
	s_waitcnt lgkmcnt(5)
	ds_write_b64 v22, v[8:9]
	;; [unrolled: 3-line block ×4, first 2 shown]
	v_min_u32_e32 v26, v16, v26
	; wave barrier
	v_add_nc_u32_e32 v27, 16, v26
	v_sub_nc_u32_e32 v34, v26, v28
	v_min_u32_e32 v27, v16, v27
	v_min_u32_e32 v34, v29, v34
	v_sub_nc_u32_e32 v31, v27, v26
	v_sub_nc_u32_e64 v31, v29, v31 clamp
	v_cmpx_lt_u32_e64 v31, v34
	s_cbranch_execz .LBB1025_109
; %bb.106:
	v_lshlrev_b32_e32 v35, 1, v28
	v_lshlrev_b32_e32 v48, 1, v26
	s_mov_b32 s9, 0
	v_add_co_u32 v35, null, v11, v35
	v_add_co_u32 v48, null, v11, v48
	.p2align	6
.LBB1025_107:                           ; =>This Inner Loop Header: Depth=1
	v_add_nc_u32_e32 v49, v34, v31
	v_lshrrev_b32_e32 v50, 1, v49
	v_and_b32_e32 v49, -2, v49
	v_xad_u32 v51, v50, -1, v29
	v_add_nc_u32_e32 v49, v35, v49
	v_add_nc_u32_e32 v52, 1, v50
	v_lshl_add_u32 v51, v51, 1, v48
	ds_read_u16 v49, v49
	ds_read_u16 v51, v51
	s_waitcnt lgkmcnt(0)
	v_cmp_gt_i16_e64 s7, v49, v51
	v_cndmask_b32_e64 v34, v34, v50, s7
	v_cndmask_b32_e64 v31, v52, v31, s7
	v_cmp_ge_u32_e64 s7, v31, v34
	s_or_b32 s9, s7, s9
	s_andn2_b32 exec_lo, exec_lo, s9
	s_cbranch_execnz .LBB1025_107
; %bb.108:
	s_or_b32 exec_lo, exec_lo, s9
.LBB1025_109:
	s_or_b32 exec_lo, exec_lo, s8
	v_add_nc_u32_e32 v29, v26, v29
	v_add_nc_u32_e32 v34, v31, v28
	v_sub_nc_u32_e32 v29, v29, v31
	v_cmp_le_u32_e64 s7, v34, v26
	v_cmp_le_u32_e64 s8, v29, v27
	s_or_b32 s7, s7, s8
	s_and_saveexec_b32 s13, s7
	s_cbranch_execz .LBB1025_115
; %bb.110:
	v_cmp_lt_u32_e64 s7, v34, v26
                                        ; implicit-def: $vgpr24
	s_and_saveexec_b32 s8, s7
; %bb.111:
	v_lshl_add_u32 v4, v34, 1, v11
	ds_read_u16 v24, v4
; %bb.112:
	s_or_b32 exec_lo, exec_lo, s8
	v_cmp_ge_u32_e64 s8, v29, v27
	s_mov_b32 s10, exec_lo
                                        ; implicit-def: $vgpr28
	v_cmpx_lt_u32_e64 v29, v27
; %bb.113:
	v_lshl_add_u32 v4, v29, 1, v11
	ds_read_u16 v28, v4
; %bb.114:
	s_or_b32 exec_lo, exec_lo, s10
	s_waitcnt lgkmcnt(0)
	v_cmp_le_i16_e64 s9, v24, v28
	s_and_b32 s7, s7, s9
	s_or_b32 s7, s8, s7
	v_cndmask_b32_e64 v4, v29, v34, s7
	v_cndmask_b32_e64 v5, v27, v26, s7
	;; [unrolled: 1-line block ×3, first 2 shown]
	v_add_nc_u32_e32 v8, 1, v4
	v_add_nc_u32_e32 v5, -1, v5
	v_lshl_add_u32 v4, v4, 3, v10
	v_cndmask_b32_e64 v9, v34, v8, s7
	v_min_u32_e32 v5, v8, v5
	v_cmp_lt_u32_e64 s8, v9, v26
	v_lshl_add_u32 v5, v5, 1, v11
	ds_read_u16 v5, v5
	s_waitcnt lgkmcnt(0)
	v_cndmask_b32_e64 v31, v5, v28, s7
	v_cndmask_b32_e64 v34, v24, v5, s7
	;; [unrolled: 1-line block ×3, first 2 shown]
	v_cmp_le_i16_e64 s9, v34, v31
	v_cmp_ge_u32_e64 s10, v5, v27
	s_and_b32 s8, s8, s9
	s_or_b32 s8, s10, s8
	v_cndmask_b32_e64 v8, v5, v9, s8
	v_cndmask_b32_e64 v14, v27, v26, s8
	;; [unrolled: 1-line block ×3, first 2 shown]
	v_add_nc_u32_e32 v15, 1, v8
	v_add_nc_u32_e32 v14, -1, v14
	v_lshl_add_u32 v8, v8, 3, v10
	v_cndmask_b32_e64 v9, v9, v15, s8
	v_min_u32_e32 v14, v15, v14
	v_cndmask_b32_e64 v5, v15, v5, s8
	v_cmp_lt_u32_e64 s9, v9, v26
	v_lshl_add_u32 v14, v14, 1, v11
	v_cmp_ge_u32_e64 s11, v5, v27
	ds_read_u16 v14, v14
	s_waitcnt lgkmcnt(0)
	v_cndmask_b32_e64 v29, v14, v31, s8
	v_cndmask_b32_e64 v35, v34, v14, s8
	v_cmp_le_i16_e64 s10, v35, v29
	s_and_b32 s9, s9, s10
	s_or_b32 s9, s11, s9
	v_cndmask_b32_e64 v14, v5, v9, s9
	v_cndmask_b32_e64 v15, v27, v26, s9
	v_cndmask_b32_e64 v24, v29, v35, s9
	v_add_nc_u32_e32 v20, 1, v14
	v_add_nc_u32_e32 v15, -1, v15
	v_lshl_add_u32 v14, v14, 3, v10
	v_cndmask_b32_e64 v9, v9, v20, s9
	v_min_u32_e32 v15, v20, v15
	v_cndmask_b32_e64 v5, v20, v5, s9
	v_cmp_lt_u32_e64 s10, v9, v26
	v_lshl_add_u32 v15, v15, 1, v11
	v_cmp_ge_u32_e64 s12, v5, v27
	ds_read_u16 v15, v15
	s_waitcnt lgkmcnt(0)
	v_cndmask_b32_e64 v38, v15, v29, s9
	v_cndmask_b32_e64 v48, v35, v15, s9
	v_cmp_le_i16_e64 s11, v48, v38
	s_and_b32 s10, s10, s11
	s_or_b32 s10, s12, s10
	v_cndmask_b32_e64 v5, v5, v9, s10
	v_cndmask_b32_e64 v38, v38, v48, s10
	v_lshl_add_u32 v20, v5, 3, v10
	ds_read_b64 v[4:5], v4
	ds_read_b64 v[8:9], v8
	;; [unrolled: 1-line block ×4, first 2 shown]
.LBB1025_115:
	s_or_b32 exec_lo, exec_lo, s13
	v_and_b32_e32 v28, 64, v30
	v_and_b32_e32 v29, 60, v30
	s_mov_b32 s8, exec_lo
	; wave barrier
	v_or_b32_e32 v26, 32, v28
	v_min_u32_e32 v29, v16, v29
	ds_write_b16 v12, v39
	s_waitcnt lgkmcnt(4)
	ds_write_b64 v13, v[4:5]
	ds_write_b16 v19, v37
	s_waitcnt lgkmcnt(5)
	ds_write_b64 v22, v[8:9]
	ds_write_b16 v23, v24
	s_waitcnt lgkmcnt(6)
	ds_write_b64 v25, v[14:15]
	ds_write_b16 v17, v38
	s_waitcnt lgkmcnt(7)
	ds_write_b64 v18, v[20:21]
	v_min_u32_e32 v26, v16, v26
	; wave barrier
	v_add_nc_u32_e32 v27, 32, v26
	v_sub_nc_u32_e32 v34, v26, v28
	v_min_u32_e32 v27, v16, v27
	v_min_u32_e32 v34, v29, v34
	v_sub_nc_u32_e32 v31, v27, v26
	v_sub_nc_u32_e64 v31, v29, v31 clamp
	v_cmpx_lt_u32_e64 v31, v34
	s_cbranch_execz .LBB1025_119
; %bb.116:
	v_lshlrev_b32_e32 v35, 1, v28
	v_lshlrev_b32_e32 v48, 1, v26
	s_mov_b32 s9, 0
	v_add_co_u32 v35, null, v11, v35
	v_add_co_u32 v48, null, v11, v48
	.p2align	6
.LBB1025_117:                           ; =>This Inner Loop Header: Depth=1
	v_add_nc_u32_e32 v49, v34, v31
	v_lshrrev_b32_e32 v50, 1, v49
	v_and_b32_e32 v49, -2, v49
	v_xad_u32 v51, v50, -1, v29
	v_add_nc_u32_e32 v49, v35, v49
	v_add_nc_u32_e32 v52, 1, v50
	v_lshl_add_u32 v51, v51, 1, v48
	ds_read_u16 v49, v49
	ds_read_u16 v51, v51
	s_waitcnt lgkmcnt(0)
	v_cmp_gt_i16_e64 s7, v49, v51
	v_cndmask_b32_e64 v34, v34, v50, s7
	v_cndmask_b32_e64 v31, v52, v31, s7
	v_cmp_ge_u32_e64 s7, v31, v34
	s_or_b32 s9, s7, s9
	s_andn2_b32 exec_lo, exec_lo, s9
	s_cbranch_execnz .LBB1025_117
; %bb.118:
	s_or_b32 exec_lo, exec_lo, s9
.LBB1025_119:
	s_or_b32 exec_lo, exec_lo, s8
	v_add_nc_u32_e32 v29, v26, v29
	v_add_nc_u32_e32 v34, v31, v28
	v_sub_nc_u32_e32 v29, v29, v31
	v_cmp_le_u32_e64 s7, v34, v26
	v_cmp_le_u32_e64 s8, v29, v27
	s_or_b32 s7, s7, s8
	s_and_saveexec_b32 s13, s7
	s_cbranch_execz .LBB1025_125
; %bb.120:
	v_cmp_lt_u32_e64 s7, v34, v26
                                        ; implicit-def: $vgpr24
	s_and_saveexec_b32 s8, s7
; %bb.121:
	v_lshl_add_u32 v4, v34, 1, v11
	ds_read_u16 v24, v4
; %bb.122:
	s_or_b32 exec_lo, exec_lo, s8
	v_cmp_ge_u32_e64 s8, v29, v27
	s_mov_b32 s10, exec_lo
                                        ; implicit-def: $vgpr28
	v_cmpx_lt_u32_e64 v29, v27
; %bb.123:
	v_lshl_add_u32 v4, v29, 1, v11
	ds_read_u16 v28, v4
; %bb.124:
	s_or_b32 exec_lo, exec_lo, s10
	s_waitcnt lgkmcnt(0)
	v_cmp_le_i16_e64 s9, v24, v28
	s_and_b32 s7, s7, s9
	s_or_b32 s7, s8, s7
	v_cndmask_b32_e64 v4, v29, v34, s7
	v_cndmask_b32_e64 v5, v27, v26, s7
	;; [unrolled: 1-line block ×3, first 2 shown]
	v_add_nc_u32_e32 v8, 1, v4
	v_add_nc_u32_e32 v5, -1, v5
	v_lshl_add_u32 v4, v4, 3, v10
	v_cndmask_b32_e64 v9, v34, v8, s7
	v_min_u32_e32 v5, v8, v5
	v_cmp_lt_u32_e64 s8, v9, v26
	v_lshl_add_u32 v5, v5, 1, v11
	ds_read_u16 v5, v5
	s_waitcnt lgkmcnt(0)
	v_cndmask_b32_e64 v31, v5, v28, s7
	v_cndmask_b32_e64 v34, v24, v5, s7
	;; [unrolled: 1-line block ×3, first 2 shown]
	v_cmp_le_i16_e64 s9, v34, v31
	v_cmp_ge_u32_e64 s10, v5, v27
	s_and_b32 s8, s8, s9
	s_or_b32 s8, s10, s8
	v_cndmask_b32_e64 v8, v5, v9, s8
	v_cndmask_b32_e64 v14, v27, v26, s8
	v_cndmask_b32_e64 v37, v31, v34, s8
	v_add_nc_u32_e32 v15, 1, v8
	v_add_nc_u32_e32 v14, -1, v14
	v_lshl_add_u32 v8, v8, 3, v10
	v_cndmask_b32_e64 v9, v9, v15, s8
	v_min_u32_e32 v14, v15, v14
	v_cndmask_b32_e64 v5, v15, v5, s8
	v_cmp_lt_u32_e64 s9, v9, v26
	v_lshl_add_u32 v14, v14, 1, v11
	v_cmp_ge_u32_e64 s11, v5, v27
	ds_read_u16 v14, v14
	s_waitcnt lgkmcnt(0)
	v_cndmask_b32_e64 v29, v14, v31, s8
	v_cndmask_b32_e64 v35, v34, v14, s8
	v_cmp_le_i16_e64 s10, v35, v29
	s_and_b32 s9, s9, s10
	s_or_b32 s9, s11, s9
	v_cndmask_b32_e64 v14, v5, v9, s9
	v_cndmask_b32_e64 v15, v27, v26, s9
	;; [unrolled: 1-line block ×3, first 2 shown]
	v_add_nc_u32_e32 v20, 1, v14
	v_add_nc_u32_e32 v15, -1, v15
	v_lshl_add_u32 v14, v14, 3, v10
	v_cndmask_b32_e64 v9, v9, v20, s9
	v_min_u32_e32 v15, v20, v15
	v_cndmask_b32_e64 v5, v20, v5, s9
	v_cmp_lt_u32_e64 s10, v9, v26
	v_lshl_add_u32 v15, v15, 1, v11
	v_cmp_ge_u32_e64 s12, v5, v27
	ds_read_u16 v15, v15
	s_waitcnt lgkmcnt(0)
	v_cndmask_b32_e64 v38, v15, v29, s9
	v_cndmask_b32_e64 v48, v35, v15, s9
	v_cmp_le_i16_e64 s11, v48, v38
	s_and_b32 s10, s10, s11
	s_or_b32 s10, s12, s10
	v_cndmask_b32_e64 v5, v5, v9, s10
	v_cndmask_b32_e64 v38, v38, v48, s10
	v_lshl_add_u32 v20, v5, 3, v10
	ds_read_b64 v[4:5], v4
	ds_read_b64 v[8:9], v8
	ds_read_b64 v[14:15], v14
	ds_read_b64 v[20:21], v20
.LBB1025_125:
	s_or_b32 exec_lo, exec_lo, s13
	v_min_u32_e32 v26, 64, v16
	; wave barrier
	ds_write_b16 v12, v39
	s_waitcnt lgkmcnt(4)
	ds_write_b64 v13, v[4:5]
	s_mov_b32 s8, exec_lo
	v_add_nc_u32_e32 v27, 64, v26
	ds_write_b16 v19, v37
	s_waitcnt lgkmcnt(5)
	ds_write_b64 v22, v[8:9]
	ds_write_b16 v23, v24
	s_waitcnt lgkmcnt(6)
	ds_write_b64 v25, v[14:15]
	;; [unrolled: 3-line block ×3, first 2 shown]
	; wave barrier
	v_min_u32_e32 v27, v16, v27
	v_min_u32_e32 v16, v16, v30
	v_sub_nc_u32_e32 v28, v27, v26
	v_min_u32_e32 v13, v16, v26
	v_sub_nc_u32_e64 v12, v16, v28 clamp
	v_cmpx_lt_u32_e64 v12, v13
	s_cbranch_execz .LBB1025_129
; %bb.126:
	v_lshlrev_b32_e32 v17, 1, v26
	s_mov_b32 s9, 0
	v_add_co_u32 v17, null, v11, v17
	.p2align	6
.LBB1025_127:                           ; =>This Inner Loop Header: Depth=1
	v_add_nc_u32_e32 v18, v13, v12
	v_lshrrev_b32_e32 v19, 1, v18
	v_and_b32_e32 v18, -2, v18
	v_xad_u32 v22, v19, -1, v16
	v_add_nc_u32_e32 v18, v11, v18
	v_add_nc_u32_e32 v23, 1, v19
	v_lshl_add_u32 v22, v22, 1, v17
	ds_read_u16 v18, v18
	ds_read_u16 v22, v22
	s_waitcnt lgkmcnt(0)
	v_cmp_gt_i16_e64 s7, v18, v22
	v_cndmask_b32_e64 v13, v13, v19, s7
	v_cndmask_b32_e64 v12, v23, v12, s7
	v_cmp_ge_u32_e64 s7, v12, v13
	s_or_b32 s9, s7, s9
	s_andn2_b32 exec_lo, exec_lo, s9
	s_cbranch_execnz .LBB1025_127
; %bb.128:
	s_or_b32 exec_lo, exec_lo, s9
.LBB1025_129:
	s_or_b32 exec_lo, exec_lo, s8
	v_add_nc_u32_e32 v13, v26, v16
	v_cmp_le_u32_e64 s7, v12, v26
	v_sub_nc_u32_e32 v17, v13, v12
	v_cmp_le_u32_e64 s8, v17, v27
	s_or_b32 s7, s7, s8
	s_and_saveexec_b32 s13, s7
	s_cbranch_execz .LBB1025_135
; %bb.130:
	v_cmp_lt_u32_e64 s7, v12, v26
                                        ; implicit-def: $vgpr13
	s_and_saveexec_b32 s8, s7
; %bb.131:
	v_lshl_add_u32 v4, v12, 1, v11
	ds_read_u16 v13, v4
; %bb.132:
	s_or_b32 exec_lo, exec_lo, s8
	v_cmp_ge_u32_e64 s8, v17, v27
	s_mov_b32 s10, exec_lo
                                        ; implicit-def: $vgpr16
	v_cmpx_lt_u32_e64 v17, v27
; %bb.133:
	v_lshl_add_u32 v4, v17, 1, v11
	ds_read_u16 v16, v4
; %bb.134:
	s_or_b32 exec_lo, exec_lo, s10
	s_waitcnt lgkmcnt(0)
	v_cmp_le_i16_e64 s9, v13, v16
	s_and_b32 s7, s7, s9
	s_or_b32 s7, s8, s7
	v_cndmask_b32_e64 v4, v17, v12, s7
	v_cndmask_b32_e64 v5, v27, v26, s7
	;; [unrolled: 1-line block ×3, first 2 shown]
	v_add_nc_u32_e32 v8, 1, v4
	v_add_nc_u32_e32 v5, -1, v5
	v_lshl_add_u32 v4, v4, 3, v10
	v_cndmask_b32_e64 v9, v12, v8, s7
	v_min_u32_e32 v5, v8, v5
	v_cmp_lt_u32_e64 s8, v9, v26
	v_lshl_add_u32 v5, v5, 1, v11
	ds_read_u16 v5, v5
	s_waitcnt lgkmcnt(0)
	v_cndmask_b32_e64 v12, v5, v16, s7
	v_cndmask_b32_e64 v18, v13, v5, s7
	;; [unrolled: 1-line block ×3, first 2 shown]
	v_cmp_le_i16_e64 s9, v18, v12
	v_cmp_ge_u32_e64 s10, v5, v27
	s_and_b32 s8, s8, s9
	s_or_b32 s8, s10, s8
	v_cndmask_b32_e64 v8, v5, v9, s8
	v_cndmask_b32_e64 v14, v27, v26, s8
	;; [unrolled: 1-line block ×3, first 2 shown]
	v_add_nc_u32_e32 v15, 1, v8
	v_add_nc_u32_e32 v14, -1, v14
	v_lshl_add_u32 v8, v8, 3, v10
	v_cndmask_b32_e64 v9, v9, v15, s8
	v_min_u32_e32 v14, v15, v14
	v_cndmask_b32_e64 v5, v15, v5, s8
	v_cmp_lt_u32_e64 s9, v9, v26
	v_lshl_add_u32 v14, v14, 1, v11
	v_cmp_ge_u32_e64 s11, v5, v27
	ds_read_u16 v14, v14
	s_waitcnt lgkmcnt(0)
	v_cndmask_b32_e64 v17, v14, v12, s8
	v_cndmask_b32_e64 v19, v18, v14, s8
	v_cmp_le_i16_e64 s10, v19, v17
	s_and_b32 s9, s9, s10
	s_or_b32 s9, s11, s9
	v_cndmask_b32_e64 v14, v5, v9, s9
	v_cndmask_b32_e64 v15, v27, v26, s9
	;; [unrolled: 1-line block ×3, first 2 shown]
	v_add_nc_u32_e32 v20, 1, v14
	v_add_nc_u32_e32 v15, -1, v15
	v_lshl_add_u32 v14, v14, 3, v10
	v_cndmask_b32_e64 v9, v9, v20, s9
	v_min_u32_e32 v15, v20, v15
	v_cndmask_b32_e64 v5, v20, v5, s9
	v_cmp_lt_u32_e64 s10, v9, v26
	v_lshl_add_u32 v11, v15, 1, v11
	v_cmp_ge_u32_e64 s12, v5, v27
	ds_read_u16 v11, v11
	s_waitcnt lgkmcnt(0)
	v_cndmask_b32_e64 v22, v11, v17, s9
	v_cndmask_b32_e64 v11, v19, v11, s9
	v_cmp_le_i16_e64 s11, v11, v22
	s_and_b32 s10, s10, s11
	s_or_b32 s10, s12, s10
	v_cndmask_b32_e64 v5, v5, v9, s10
	v_cndmask_b32_e64 v38, v22, v11, s10
	v_lshl_add_u32 v10, v5, 3, v10
	ds_read_b64 v[4:5], v4
	ds_read_b64 v[8:9], v8
	;; [unrolled: 1-line block ×4, first 2 shown]
.LBB1025_135:
	s_or_b32 exec_lo, exec_lo, s13
	; wave barrier
	s_waitcnt lgkmcnt(0)
	s_waitcnt_vscnt null, 0x0
	s_barrier
.LBB1025_136:
	s_or_b32 exec_lo, exec_lo, s14
	v_lshlrev_b32_e32 v10, 1, v30
	v_add_co_u32 v2, s7, v2, v32
	v_add_co_ci_u32_e64 v3, null, v3, v33, s7
	s_waitcnt vmcnt(0) lgkmcnt(0)
	s_waitcnt_vscnt null, 0x0
	buffer_gl0_inv
	v_add_co_u32 v2, s7, v2, v10
	v_add_co_ci_u32_e64 v3, null, 0, v3, s7
	; wave barrier
	s_and_saveexec_b32 s7, vcc_lo
	s_cbranch_execnz .LBB1025_146
; %bb.137:
	s_or_b32 exec_lo, exec_lo, s7
	s_and_saveexec_b32 s7, s4
	s_cbranch_execnz .LBB1025_147
.LBB1025_138:
	s_or_b32 exec_lo, exec_lo, s7
	s_and_saveexec_b32 s7, s5
	s_cbranch_execnz .LBB1025_148
.LBB1025_139:
	s_or_b32 exec_lo, exec_lo, s7
	s_and_saveexec_b32 s7, s6
	s_cbranch_execz .LBB1025_141
.LBB1025_140:
	flat_store_short v[2:3], v38 offset:6
.LBB1025_141:
	s_or_b32 exec_lo, exec_lo, s7
	v_add_co_u32 v0, s7, v6, v0
	v_add_co_ci_u32_e64 v1, null, v7, v1, s7
	v_add_co_u32 v0, s7, v0, v36
	v_add_co_ci_u32_e64 v1, null, 0, v1, s7
	; wave barrier
	s_and_saveexec_b32 s7, vcc_lo
	s_cbranch_execnz .LBB1025_149
; %bb.142:
	s_or_b32 exec_lo, exec_lo, s7
	s_and_saveexec_b32 s7, s4
	s_cbranch_execnz .LBB1025_150
.LBB1025_143:
	s_or_b32 exec_lo, exec_lo, s7
	s_and_saveexec_b32 s4, s5
	s_cbranch_execnz .LBB1025_151
.LBB1025_144:
	s_or_b32 exec_lo, exec_lo, s4
	s_and_saveexec_b32 s4, s6
	s_cbranch_execnz .LBB1025_152
.LBB1025_145:
	s_or_b32 exec_lo, exec_lo, s4
	s_waitcnt lgkmcnt(0)
	s_setpc_b64 s[30:31]
.LBB1025_146:
	flat_store_short v[2:3], v39
	s_or_b32 exec_lo, exec_lo, s7
	s_and_saveexec_b32 s7, s4
	s_cbranch_execz .LBB1025_138
.LBB1025_147:
	flat_store_short v[2:3], v37 offset:2
	s_or_b32 exec_lo, exec_lo, s7
	s_and_saveexec_b32 s7, s5
	s_cbranch_execz .LBB1025_139
.LBB1025_148:
	flat_store_short v[2:3], v24 offset:4
	s_or_b32 exec_lo, exec_lo, s7
	s_and_saveexec_b32 s7, s6
	s_cbranch_execnz .LBB1025_140
	s_branch .LBB1025_141
.LBB1025_149:
	flat_store_dwordx2 v[0:1], v[4:5]
	s_or_b32 exec_lo, exec_lo, s7
	s_and_saveexec_b32 s7, s4
	s_cbranch_execz .LBB1025_143
.LBB1025_150:
	flat_store_dwordx2 v[0:1], v[8:9] offset:8
	s_or_b32 exec_lo, exec_lo, s7
	s_and_saveexec_b32 s4, s5
	s_cbranch_execz .LBB1025_144
.LBB1025_151:
	flat_store_dwordx2 v[0:1], v[14:15] offset:16
	s_or_b32 exec_lo, exec_lo, s4
	s_and_saveexec_b32 s4, s6
	s_cbranch_execz .LBB1025_145
.LBB1025_152:
	flat_store_dwordx2 v[0:1], v[20:21] offset:24
	s_or_b32 exec_lo, exec_lo, s4
	s_waitcnt lgkmcnt(0)
	s_setpc_b64 s[30:31]
.Lfunc_end1025:
	.size	_ZN7rocprim17ROCPRIM_400000_NS6detail26segmented_warp_sort_helperINS1_20WarpSortHelperConfigILj32ELj4ELj256EEEslLi256ELb0EvE4sortIPKsPsPKlPlEEvT_T0_T1_T2_jjjjRNS5_12storage_typeE, .Lfunc_end1025-_ZN7rocprim17ROCPRIM_400000_NS6detail26segmented_warp_sort_helperINS1_20WarpSortHelperConfigILj32ELj4ELj256EEEslLi256ELb0EvE4sortIPKsPsPKlPlEEvT_T0_T1_T2_jjjjRNS5_12storage_typeE
                                        ; -- End function
	.set .L_ZN7rocprim17ROCPRIM_400000_NS6detail26segmented_warp_sort_helperINS1_20WarpSortHelperConfigILj32ELj4ELj256EEEslLi256ELb0EvE4sortIPKsPsPKlPlEEvT_T0_T1_T2_jjjjRNS5_12storage_typeE.num_vgpr, 54
	.set .L_ZN7rocprim17ROCPRIM_400000_NS6detail26segmented_warp_sort_helperINS1_20WarpSortHelperConfigILj32ELj4ELj256EEEslLi256ELb0EvE4sortIPKsPsPKlPlEEvT_T0_T1_T2_jjjjRNS5_12storage_typeE.num_agpr, 0
	.set .L_ZN7rocprim17ROCPRIM_400000_NS6detail26segmented_warp_sort_helperINS1_20WarpSortHelperConfigILj32ELj4ELj256EEEslLi256ELb0EvE4sortIPKsPsPKlPlEEvT_T0_T1_T2_jjjjRNS5_12storage_typeE.numbered_sgpr, 32
	.set .L_ZN7rocprim17ROCPRIM_400000_NS6detail26segmented_warp_sort_helperINS1_20WarpSortHelperConfigILj32ELj4ELj256EEEslLi256ELb0EvE4sortIPKsPsPKlPlEEvT_T0_T1_T2_jjjjRNS5_12storage_typeE.num_named_barrier, 0
	.set .L_ZN7rocprim17ROCPRIM_400000_NS6detail26segmented_warp_sort_helperINS1_20WarpSortHelperConfigILj32ELj4ELj256EEEslLi256ELb0EvE4sortIPKsPsPKlPlEEvT_T0_T1_T2_jjjjRNS5_12storage_typeE.private_seg_size, 0
	.set .L_ZN7rocprim17ROCPRIM_400000_NS6detail26segmented_warp_sort_helperINS1_20WarpSortHelperConfigILj32ELj4ELj256EEEslLi256ELb0EvE4sortIPKsPsPKlPlEEvT_T0_T1_T2_jjjjRNS5_12storage_typeE.uses_vcc, 1
	.set .L_ZN7rocprim17ROCPRIM_400000_NS6detail26segmented_warp_sort_helperINS1_20WarpSortHelperConfigILj32ELj4ELj256EEEslLi256ELb0EvE4sortIPKsPsPKlPlEEvT_T0_T1_T2_jjjjRNS5_12storage_typeE.uses_flat_scratch, 0
	.set .L_ZN7rocprim17ROCPRIM_400000_NS6detail26segmented_warp_sort_helperINS1_20WarpSortHelperConfigILj32ELj4ELj256EEEslLi256ELb0EvE4sortIPKsPsPKlPlEEvT_T0_T1_T2_jjjjRNS5_12storage_typeE.has_dyn_sized_stack, 0
	.set .L_ZN7rocprim17ROCPRIM_400000_NS6detail26segmented_warp_sort_helperINS1_20WarpSortHelperConfigILj32ELj4ELj256EEEslLi256ELb0EvE4sortIPKsPsPKlPlEEvT_T0_T1_T2_jjjjRNS5_12storage_typeE.has_recursion, 0
	.set .L_ZN7rocprim17ROCPRIM_400000_NS6detail26segmented_warp_sort_helperINS1_20WarpSortHelperConfigILj32ELj4ELj256EEEslLi256ELb0EvE4sortIPKsPsPKlPlEEvT_T0_T1_T2_jjjjRNS5_12storage_typeE.has_indirect_call, 0
	.section	.AMDGPU.csdata,"",@progbits
; Function info:
; codeLenInByte = 11212
; TotalNumSgprs: 34
; NumVgprs: 54
; ScratchSize: 0
; MemoryBound: 1
	.section	.text._ZN7rocprim17ROCPRIM_400000_NS6detail17trampoline_kernelINS0_14default_configENS1_36segmented_radix_sort_config_selectorIslEEZNS1_25segmented_radix_sort_implIS3_Lb0EPKsPsPKlPlN2at6native12_GLOBAL__N_18offset_tEEE10hipError_tPvRmT1_PNSt15iterator_traitsISK_E10value_typeET2_T3_PNSL_ISQ_E10value_typeET4_jRbjT5_SW_jjP12ihipStream_tbEUlT_E0_NS1_11comp_targetILNS1_3genE8ELNS1_11target_archE1030ELNS1_3gpuE2ELNS1_3repE0EEENS1_60segmented_radix_sort_warp_sort_medium_config_static_selectorELNS0_4arch9wavefront6targetE0EEEvSK_,"axG",@progbits,_ZN7rocprim17ROCPRIM_400000_NS6detail17trampoline_kernelINS0_14default_configENS1_36segmented_radix_sort_config_selectorIslEEZNS1_25segmented_radix_sort_implIS3_Lb0EPKsPsPKlPlN2at6native12_GLOBAL__N_18offset_tEEE10hipError_tPvRmT1_PNSt15iterator_traitsISK_E10value_typeET2_T3_PNSL_ISQ_E10value_typeET4_jRbjT5_SW_jjP12ihipStream_tbEUlT_E0_NS1_11comp_targetILNS1_3genE8ELNS1_11target_archE1030ELNS1_3gpuE2ELNS1_3repE0EEENS1_60segmented_radix_sort_warp_sort_medium_config_static_selectorELNS0_4arch9wavefront6targetE0EEEvSK_,comdat
	.globl	_ZN7rocprim17ROCPRIM_400000_NS6detail17trampoline_kernelINS0_14default_configENS1_36segmented_radix_sort_config_selectorIslEEZNS1_25segmented_radix_sort_implIS3_Lb0EPKsPsPKlPlN2at6native12_GLOBAL__N_18offset_tEEE10hipError_tPvRmT1_PNSt15iterator_traitsISK_E10value_typeET2_T3_PNSL_ISQ_E10value_typeET4_jRbjT5_SW_jjP12ihipStream_tbEUlT_E0_NS1_11comp_targetILNS1_3genE8ELNS1_11target_archE1030ELNS1_3gpuE2ELNS1_3repE0EEENS1_60segmented_radix_sort_warp_sort_medium_config_static_selectorELNS0_4arch9wavefront6targetE0EEEvSK_ ; -- Begin function _ZN7rocprim17ROCPRIM_400000_NS6detail17trampoline_kernelINS0_14default_configENS1_36segmented_radix_sort_config_selectorIslEEZNS1_25segmented_radix_sort_implIS3_Lb0EPKsPsPKlPlN2at6native12_GLOBAL__N_18offset_tEEE10hipError_tPvRmT1_PNSt15iterator_traitsISK_E10value_typeET2_T3_PNSL_ISQ_E10value_typeET4_jRbjT5_SW_jjP12ihipStream_tbEUlT_E0_NS1_11comp_targetILNS1_3genE8ELNS1_11target_archE1030ELNS1_3gpuE2ELNS1_3repE0EEENS1_60segmented_radix_sort_warp_sort_medium_config_static_selectorELNS0_4arch9wavefront6targetE0EEEvSK_
	.p2align	8
	.type	_ZN7rocprim17ROCPRIM_400000_NS6detail17trampoline_kernelINS0_14default_configENS1_36segmented_radix_sort_config_selectorIslEEZNS1_25segmented_radix_sort_implIS3_Lb0EPKsPsPKlPlN2at6native12_GLOBAL__N_18offset_tEEE10hipError_tPvRmT1_PNSt15iterator_traitsISK_E10value_typeET2_T3_PNSL_ISQ_E10value_typeET4_jRbjT5_SW_jjP12ihipStream_tbEUlT_E0_NS1_11comp_targetILNS1_3genE8ELNS1_11target_archE1030ELNS1_3gpuE2ELNS1_3repE0EEENS1_60segmented_radix_sort_warp_sort_medium_config_static_selectorELNS0_4arch9wavefront6targetE0EEEvSK_,@function
_ZN7rocprim17ROCPRIM_400000_NS6detail17trampoline_kernelINS0_14default_configENS1_36segmented_radix_sort_config_selectorIslEEZNS1_25segmented_radix_sort_implIS3_Lb0EPKsPsPKlPlN2at6native12_GLOBAL__N_18offset_tEEE10hipError_tPvRmT1_PNSt15iterator_traitsISK_E10value_typeET2_T3_PNSL_ISQ_E10value_typeET4_jRbjT5_SW_jjP12ihipStream_tbEUlT_E0_NS1_11comp_targetILNS1_3genE8ELNS1_11target_archE1030ELNS1_3gpuE2ELNS1_3repE0EEENS1_60segmented_radix_sort_warp_sort_medium_config_static_selectorELNS0_4arch9wavefront6targetE0EEEvSK_: ; @_ZN7rocprim17ROCPRIM_400000_NS6detail17trampoline_kernelINS0_14default_configENS1_36segmented_radix_sort_config_selectorIslEEZNS1_25segmented_radix_sort_implIS3_Lb0EPKsPsPKlPlN2at6native12_GLOBAL__N_18offset_tEEE10hipError_tPvRmT1_PNSt15iterator_traitsISK_E10value_typeET2_T3_PNSL_ISQ_E10value_typeET4_jRbjT5_SW_jjP12ihipStream_tbEUlT_E0_NS1_11comp_targetILNS1_3genE8ELNS1_11target_archE1030ELNS1_3gpuE2ELNS1_3repE0EEENS1_60segmented_radix_sort_warp_sort_medium_config_static_selectorELNS0_4arch9wavefront6targetE0EEEvSK_
; %bb.0:
	s_add_u32 s0, s0, s8
	s_load_dword s8, s[4:5], 0x64
	s_addc_u32 s1, s1, 0
	s_mov_b32 s32, 0
	s_waitcnt lgkmcnt(0)
	s_lshr_b32 s9, s8, 16
	s_and_b32 s8, s8, 0xffff
	v_mad_u32_u24 v3, v2, s9, v1
	s_load_dword s9, s[4:5], 0x34
	v_mad_u64_u32 v[3:4], null, v3, s8, v[0:1]
	s_mov_b32 s8, exec_lo
	v_lshrrev_b32_e32 v3, 5, v3
	v_lshl_add_u32 v3, s6, 3, v3
	s_waitcnt lgkmcnt(0)
	v_cmpx_gt_u32_e64 s9, v3
	s_cbranch_execz .LBB1026_6
; %bb.1:
	s_clause 0x1
	s_load_dwordx2 s[12:13], s[4:5], 0x38
	s_load_dwordx4 s[8:11], s[4:5], 0x40
	v_mov_b32_e32 v4, 0
	v_lshlrev_b64 v[3:4], 2, v[3:4]
	s_waitcnt lgkmcnt(0)
	v_add_co_u32 v3, vcc_lo, s12, v3
	v_add_co_ci_u32_e64 v4, null, s13, v4, vcc_lo
	global_load_dword v3, v[3:4], off
	s_waitcnt vmcnt(0)
	v_add_nc_u32_e32 v4, s9, v3
	v_add_nc_u32_e32 v3, s11, v3
	v_mul_lo_u32 v40, v4, s8
	v_mul_lo_u32 v41, v3, s10
	v_cmp_gt_u32_e32 vcc_lo, v41, v40
	s_and_b32 exec_lo, exec_lo, vcc_lo
	s_cbranch_execz .LBB1026_6
; %bb.2:
	s_clause 0x3
	s_load_dword s8, s[4:5], 0x30
	s_load_dwordx4 s[36:39], s[4:5], 0x20
	s_load_dwordx8 s[20:27], s[4:5], 0x0
	s_load_dwordx2 s[28:29], s[4:5], 0x50
	v_lshlrev_b32_e32 v43, 20, v2
	v_lshlrev_b32_e32 v44, 10, v1
	s_waitcnt lgkmcnt(0)
	s_bitcmp0_b32 s8, 0
	s_mov_b32 s8, -1
	s_cbranch_scc0 .LBB1026_4
; %bb.3:
	s_mov_b64 s[10:11], src_shared_base
	v_or3_b32 v31, v0, v44, v43
	v_mov_b32_e32 v42, v0
	v_mov_b32_e32 v0, s20
	v_mov_b32_e32 v1, s21
	v_mov_b32_e32 v2, s22
	v_mov_b32_e32 v3, s23
	v_mov_b32_e32 v4, s26
	v_mov_b32_e32 v5, s27
	v_mov_b32_e32 v6, s36
	v_mov_b32_e32 v7, s37
	v_mov_b32_e32 v8, v40
	v_mov_b32_e32 v9, v41
	v_mov_b32_e32 v10, s28
	v_mov_b32_e32 v11, s29
	v_mov_b32_e32 v12, 0
	v_mov_b32_e32 v13, s11
	s_add_u32 s8, s4, 0x58
	s_addc_u32 s9, s5, 0
	s_getpc_b64 s[14:15]
	s_add_u32 s14, s14, _ZN7rocprim17ROCPRIM_400000_NS6detail26segmented_warp_sort_helperINS1_20WarpSortHelperConfigILj32ELj4ELj256EEEslLi256ELb0EvE4sortIPKsPsPKlPlEEvT_T0_T1_T2_jjjjRNS5_12storage_typeE@rel32@lo+4
	s_addc_u32 s15, s15, _ZN7rocprim17ROCPRIM_400000_NS6detail26segmented_warp_sort_helperINS1_20WarpSortHelperConfigILj32ELj4ELj256EEEslLi256ELb0EvE4sortIPKsPsPKlPlEEvT_T0_T1_T2_jjjjRNS5_12storage_typeE@rel32@hi+12
	s_mov_b32 s12, s6
	s_mov_b32 s13, s7
	s_mov_b64 s[22:23], s[4:5]
	s_mov_b32 s19, s7
	s_mov_b32 s33, s6
	s_swappc_b64 s[30:31], s[14:15]
	v_mov_b32_e32 v0, v42
	s_mov_b32 s6, s33
	s_mov_b32 s7, s19
	s_mov_b64 s[4:5], s[22:23]
	s_mov_b32 s8, 0
.LBB1026_4:
	s_andn2_b32 vcc_lo, exec_lo, s8
	s_cbranch_vccnz .LBB1026_6
; %bb.5:
	s_mov_b64 s[10:11], src_shared_base
	v_or3_b32 v31, v0, v44, v43
	v_mov_b32_e32 v0, s20
	v_mov_b32_e32 v1, s21
	;; [unrolled: 1-line block ×14, first 2 shown]
	s_add_u32 s8, s4, 0x58
	s_addc_u32 s9, s5, 0
	s_getpc_b64 s[4:5]
	s_add_u32 s4, s4, _ZN7rocprim17ROCPRIM_400000_NS6detail26segmented_warp_sort_helperINS1_20WarpSortHelperConfigILj32ELj4ELj256EEEslLi256ELb0EvE4sortIPKsPsPKlPlEEvT_T0_T1_T2_jjjjRNS5_12storage_typeE@rel32@lo+4
	s_addc_u32 s5, s5, _ZN7rocprim17ROCPRIM_400000_NS6detail26segmented_warp_sort_helperINS1_20WarpSortHelperConfigILj32ELj4ELj256EEEslLi256ELb0EvE4sortIPKsPsPKlPlEEvT_T0_T1_T2_jjjjRNS5_12storage_typeE@rel32@hi+12
	s_mov_b32 s12, s6
	s_mov_b32 s13, s7
	s_swappc_b64 s[30:31], s[4:5]
.LBB1026_6:
	s_endpgm
	.section	.rodata,"a",@progbits
	.p2align	6, 0x0
	.amdhsa_kernel _ZN7rocprim17ROCPRIM_400000_NS6detail17trampoline_kernelINS0_14default_configENS1_36segmented_radix_sort_config_selectorIslEEZNS1_25segmented_radix_sort_implIS3_Lb0EPKsPsPKlPlN2at6native12_GLOBAL__N_18offset_tEEE10hipError_tPvRmT1_PNSt15iterator_traitsISK_E10value_typeET2_T3_PNSL_ISQ_E10value_typeET4_jRbjT5_SW_jjP12ihipStream_tbEUlT_E0_NS1_11comp_targetILNS1_3genE8ELNS1_11target_archE1030ELNS1_3gpuE2ELNS1_3repE0EEENS1_60segmented_radix_sort_warp_sort_medium_config_static_selectorELNS0_4arch9wavefront6targetE0EEEvSK_
		.amdhsa_group_segment_fixed_size 10240
		.amdhsa_private_segment_fixed_size 0
		.amdhsa_kernarg_size 344
		.amdhsa_user_sgpr_count 6
		.amdhsa_user_sgpr_private_segment_buffer 1
		.amdhsa_user_sgpr_dispatch_ptr 0
		.amdhsa_user_sgpr_queue_ptr 0
		.amdhsa_user_sgpr_kernarg_segment_ptr 1
		.amdhsa_user_sgpr_dispatch_id 0
		.amdhsa_user_sgpr_flat_scratch_init 0
		.amdhsa_user_sgpr_private_segment_size 0
		.amdhsa_wavefront_size32 1
		.amdhsa_uses_dynamic_stack 0
		.amdhsa_system_sgpr_private_segment_wavefront_offset 0
		.amdhsa_system_sgpr_workgroup_id_x 1
		.amdhsa_system_sgpr_workgroup_id_y 1
		.amdhsa_system_sgpr_workgroup_id_z 0
		.amdhsa_system_sgpr_workgroup_info 0
		.amdhsa_system_vgpr_workitem_id 2
		.amdhsa_next_free_vgpr 54
		.amdhsa_next_free_sgpr 40
		.amdhsa_reserve_vcc 1
		.amdhsa_reserve_flat_scratch 0
		.amdhsa_float_round_mode_32 0
		.amdhsa_float_round_mode_16_64 0
		.amdhsa_float_denorm_mode_32 3
		.amdhsa_float_denorm_mode_16_64 3
		.amdhsa_dx10_clamp 1
		.amdhsa_ieee_mode 1
		.amdhsa_fp16_overflow 0
		.amdhsa_workgroup_processor_mode 1
		.amdhsa_memory_ordered 1
		.amdhsa_forward_progress 1
		.amdhsa_shared_vgpr_count 0
		.amdhsa_exception_fp_ieee_invalid_op 0
		.amdhsa_exception_fp_denorm_src 0
		.amdhsa_exception_fp_ieee_div_zero 0
		.amdhsa_exception_fp_ieee_overflow 0
		.amdhsa_exception_fp_ieee_underflow 0
		.amdhsa_exception_fp_ieee_inexact 0
		.amdhsa_exception_int_div_zero 0
	.end_amdhsa_kernel
	.section	.text._ZN7rocprim17ROCPRIM_400000_NS6detail17trampoline_kernelINS0_14default_configENS1_36segmented_radix_sort_config_selectorIslEEZNS1_25segmented_radix_sort_implIS3_Lb0EPKsPsPKlPlN2at6native12_GLOBAL__N_18offset_tEEE10hipError_tPvRmT1_PNSt15iterator_traitsISK_E10value_typeET2_T3_PNSL_ISQ_E10value_typeET4_jRbjT5_SW_jjP12ihipStream_tbEUlT_E0_NS1_11comp_targetILNS1_3genE8ELNS1_11target_archE1030ELNS1_3gpuE2ELNS1_3repE0EEENS1_60segmented_radix_sort_warp_sort_medium_config_static_selectorELNS0_4arch9wavefront6targetE0EEEvSK_,"axG",@progbits,_ZN7rocprim17ROCPRIM_400000_NS6detail17trampoline_kernelINS0_14default_configENS1_36segmented_radix_sort_config_selectorIslEEZNS1_25segmented_radix_sort_implIS3_Lb0EPKsPsPKlPlN2at6native12_GLOBAL__N_18offset_tEEE10hipError_tPvRmT1_PNSt15iterator_traitsISK_E10value_typeET2_T3_PNSL_ISQ_E10value_typeET4_jRbjT5_SW_jjP12ihipStream_tbEUlT_E0_NS1_11comp_targetILNS1_3genE8ELNS1_11target_archE1030ELNS1_3gpuE2ELNS1_3repE0EEENS1_60segmented_radix_sort_warp_sort_medium_config_static_selectorELNS0_4arch9wavefront6targetE0EEEvSK_,comdat
.Lfunc_end1026:
	.size	_ZN7rocprim17ROCPRIM_400000_NS6detail17trampoline_kernelINS0_14default_configENS1_36segmented_radix_sort_config_selectorIslEEZNS1_25segmented_radix_sort_implIS3_Lb0EPKsPsPKlPlN2at6native12_GLOBAL__N_18offset_tEEE10hipError_tPvRmT1_PNSt15iterator_traitsISK_E10value_typeET2_T3_PNSL_ISQ_E10value_typeET4_jRbjT5_SW_jjP12ihipStream_tbEUlT_E0_NS1_11comp_targetILNS1_3genE8ELNS1_11target_archE1030ELNS1_3gpuE2ELNS1_3repE0EEENS1_60segmented_radix_sort_warp_sort_medium_config_static_selectorELNS0_4arch9wavefront6targetE0EEEvSK_, .Lfunc_end1026-_ZN7rocprim17ROCPRIM_400000_NS6detail17trampoline_kernelINS0_14default_configENS1_36segmented_radix_sort_config_selectorIslEEZNS1_25segmented_radix_sort_implIS3_Lb0EPKsPsPKlPlN2at6native12_GLOBAL__N_18offset_tEEE10hipError_tPvRmT1_PNSt15iterator_traitsISK_E10value_typeET2_T3_PNSL_ISQ_E10value_typeET4_jRbjT5_SW_jjP12ihipStream_tbEUlT_E0_NS1_11comp_targetILNS1_3genE8ELNS1_11target_archE1030ELNS1_3gpuE2ELNS1_3repE0EEENS1_60segmented_radix_sort_warp_sort_medium_config_static_selectorELNS0_4arch9wavefront6targetE0EEEvSK_
                                        ; -- End function
	.set _ZN7rocprim17ROCPRIM_400000_NS6detail17trampoline_kernelINS0_14default_configENS1_36segmented_radix_sort_config_selectorIslEEZNS1_25segmented_radix_sort_implIS3_Lb0EPKsPsPKlPlN2at6native12_GLOBAL__N_18offset_tEEE10hipError_tPvRmT1_PNSt15iterator_traitsISK_E10value_typeET2_T3_PNSL_ISQ_E10value_typeET4_jRbjT5_SW_jjP12ihipStream_tbEUlT_E0_NS1_11comp_targetILNS1_3genE8ELNS1_11target_archE1030ELNS1_3gpuE2ELNS1_3repE0EEENS1_60segmented_radix_sort_warp_sort_medium_config_static_selectorELNS0_4arch9wavefront6targetE0EEEvSK_.num_vgpr, max(45, .L_ZN7rocprim17ROCPRIM_400000_NS6detail26segmented_warp_sort_helperINS1_20WarpSortHelperConfigILj32ELj4ELj256EEEslLi256ELb0EvE4sortIPKsPsPKlPlEEvT_T0_T1_T2_jjjjRNS5_12storage_typeE.num_vgpr)
	.set _ZN7rocprim17ROCPRIM_400000_NS6detail17trampoline_kernelINS0_14default_configENS1_36segmented_radix_sort_config_selectorIslEEZNS1_25segmented_radix_sort_implIS3_Lb0EPKsPsPKlPlN2at6native12_GLOBAL__N_18offset_tEEE10hipError_tPvRmT1_PNSt15iterator_traitsISK_E10value_typeET2_T3_PNSL_ISQ_E10value_typeET4_jRbjT5_SW_jjP12ihipStream_tbEUlT_E0_NS1_11comp_targetILNS1_3genE8ELNS1_11target_archE1030ELNS1_3gpuE2ELNS1_3repE0EEENS1_60segmented_radix_sort_warp_sort_medium_config_static_selectorELNS0_4arch9wavefront6targetE0EEEvSK_.num_agpr, max(0, .L_ZN7rocprim17ROCPRIM_400000_NS6detail26segmented_warp_sort_helperINS1_20WarpSortHelperConfigILj32ELj4ELj256EEEslLi256ELb0EvE4sortIPKsPsPKlPlEEvT_T0_T1_T2_jjjjRNS5_12storage_typeE.num_agpr)
	.set _ZN7rocprim17ROCPRIM_400000_NS6detail17trampoline_kernelINS0_14default_configENS1_36segmented_radix_sort_config_selectorIslEEZNS1_25segmented_radix_sort_implIS3_Lb0EPKsPsPKlPlN2at6native12_GLOBAL__N_18offset_tEEE10hipError_tPvRmT1_PNSt15iterator_traitsISK_E10value_typeET2_T3_PNSL_ISQ_E10value_typeET4_jRbjT5_SW_jjP12ihipStream_tbEUlT_E0_NS1_11comp_targetILNS1_3genE8ELNS1_11target_archE1030ELNS1_3gpuE2ELNS1_3repE0EEENS1_60segmented_radix_sort_warp_sort_medium_config_static_selectorELNS0_4arch9wavefront6targetE0EEEvSK_.numbered_sgpr, max(40, .L_ZN7rocprim17ROCPRIM_400000_NS6detail26segmented_warp_sort_helperINS1_20WarpSortHelperConfigILj32ELj4ELj256EEEslLi256ELb0EvE4sortIPKsPsPKlPlEEvT_T0_T1_T2_jjjjRNS5_12storage_typeE.numbered_sgpr)
	.set _ZN7rocprim17ROCPRIM_400000_NS6detail17trampoline_kernelINS0_14default_configENS1_36segmented_radix_sort_config_selectorIslEEZNS1_25segmented_radix_sort_implIS3_Lb0EPKsPsPKlPlN2at6native12_GLOBAL__N_18offset_tEEE10hipError_tPvRmT1_PNSt15iterator_traitsISK_E10value_typeET2_T3_PNSL_ISQ_E10value_typeET4_jRbjT5_SW_jjP12ihipStream_tbEUlT_E0_NS1_11comp_targetILNS1_3genE8ELNS1_11target_archE1030ELNS1_3gpuE2ELNS1_3repE0EEENS1_60segmented_radix_sort_warp_sort_medium_config_static_selectorELNS0_4arch9wavefront6targetE0EEEvSK_.num_named_barrier, max(0, .L_ZN7rocprim17ROCPRIM_400000_NS6detail26segmented_warp_sort_helperINS1_20WarpSortHelperConfigILj32ELj4ELj256EEEslLi256ELb0EvE4sortIPKsPsPKlPlEEvT_T0_T1_T2_jjjjRNS5_12storage_typeE.num_named_barrier)
	.set _ZN7rocprim17ROCPRIM_400000_NS6detail17trampoline_kernelINS0_14default_configENS1_36segmented_radix_sort_config_selectorIslEEZNS1_25segmented_radix_sort_implIS3_Lb0EPKsPsPKlPlN2at6native12_GLOBAL__N_18offset_tEEE10hipError_tPvRmT1_PNSt15iterator_traitsISK_E10value_typeET2_T3_PNSL_ISQ_E10value_typeET4_jRbjT5_SW_jjP12ihipStream_tbEUlT_E0_NS1_11comp_targetILNS1_3genE8ELNS1_11target_archE1030ELNS1_3gpuE2ELNS1_3repE0EEENS1_60segmented_radix_sort_warp_sort_medium_config_static_selectorELNS0_4arch9wavefront6targetE0EEEvSK_.private_seg_size, 0+max(.L_ZN7rocprim17ROCPRIM_400000_NS6detail26segmented_warp_sort_helperINS1_20WarpSortHelperConfigILj32ELj4ELj256EEEslLi256ELb0EvE4sortIPKsPsPKlPlEEvT_T0_T1_T2_jjjjRNS5_12storage_typeE.private_seg_size)
	.set _ZN7rocprim17ROCPRIM_400000_NS6detail17trampoline_kernelINS0_14default_configENS1_36segmented_radix_sort_config_selectorIslEEZNS1_25segmented_radix_sort_implIS3_Lb0EPKsPsPKlPlN2at6native12_GLOBAL__N_18offset_tEEE10hipError_tPvRmT1_PNSt15iterator_traitsISK_E10value_typeET2_T3_PNSL_ISQ_E10value_typeET4_jRbjT5_SW_jjP12ihipStream_tbEUlT_E0_NS1_11comp_targetILNS1_3genE8ELNS1_11target_archE1030ELNS1_3gpuE2ELNS1_3repE0EEENS1_60segmented_radix_sort_warp_sort_medium_config_static_selectorELNS0_4arch9wavefront6targetE0EEEvSK_.uses_vcc, or(1, .L_ZN7rocprim17ROCPRIM_400000_NS6detail26segmented_warp_sort_helperINS1_20WarpSortHelperConfigILj32ELj4ELj256EEEslLi256ELb0EvE4sortIPKsPsPKlPlEEvT_T0_T1_T2_jjjjRNS5_12storage_typeE.uses_vcc)
	.set _ZN7rocprim17ROCPRIM_400000_NS6detail17trampoline_kernelINS0_14default_configENS1_36segmented_radix_sort_config_selectorIslEEZNS1_25segmented_radix_sort_implIS3_Lb0EPKsPsPKlPlN2at6native12_GLOBAL__N_18offset_tEEE10hipError_tPvRmT1_PNSt15iterator_traitsISK_E10value_typeET2_T3_PNSL_ISQ_E10value_typeET4_jRbjT5_SW_jjP12ihipStream_tbEUlT_E0_NS1_11comp_targetILNS1_3genE8ELNS1_11target_archE1030ELNS1_3gpuE2ELNS1_3repE0EEENS1_60segmented_radix_sort_warp_sort_medium_config_static_selectorELNS0_4arch9wavefront6targetE0EEEvSK_.uses_flat_scratch, or(0, .L_ZN7rocprim17ROCPRIM_400000_NS6detail26segmented_warp_sort_helperINS1_20WarpSortHelperConfigILj32ELj4ELj256EEEslLi256ELb0EvE4sortIPKsPsPKlPlEEvT_T0_T1_T2_jjjjRNS5_12storage_typeE.uses_flat_scratch)
	.set _ZN7rocprim17ROCPRIM_400000_NS6detail17trampoline_kernelINS0_14default_configENS1_36segmented_radix_sort_config_selectorIslEEZNS1_25segmented_radix_sort_implIS3_Lb0EPKsPsPKlPlN2at6native12_GLOBAL__N_18offset_tEEE10hipError_tPvRmT1_PNSt15iterator_traitsISK_E10value_typeET2_T3_PNSL_ISQ_E10value_typeET4_jRbjT5_SW_jjP12ihipStream_tbEUlT_E0_NS1_11comp_targetILNS1_3genE8ELNS1_11target_archE1030ELNS1_3gpuE2ELNS1_3repE0EEENS1_60segmented_radix_sort_warp_sort_medium_config_static_selectorELNS0_4arch9wavefront6targetE0EEEvSK_.has_dyn_sized_stack, or(0, .L_ZN7rocprim17ROCPRIM_400000_NS6detail26segmented_warp_sort_helperINS1_20WarpSortHelperConfigILj32ELj4ELj256EEEslLi256ELb0EvE4sortIPKsPsPKlPlEEvT_T0_T1_T2_jjjjRNS5_12storage_typeE.has_dyn_sized_stack)
	.set _ZN7rocprim17ROCPRIM_400000_NS6detail17trampoline_kernelINS0_14default_configENS1_36segmented_radix_sort_config_selectorIslEEZNS1_25segmented_radix_sort_implIS3_Lb0EPKsPsPKlPlN2at6native12_GLOBAL__N_18offset_tEEE10hipError_tPvRmT1_PNSt15iterator_traitsISK_E10value_typeET2_T3_PNSL_ISQ_E10value_typeET4_jRbjT5_SW_jjP12ihipStream_tbEUlT_E0_NS1_11comp_targetILNS1_3genE8ELNS1_11target_archE1030ELNS1_3gpuE2ELNS1_3repE0EEENS1_60segmented_radix_sort_warp_sort_medium_config_static_selectorELNS0_4arch9wavefront6targetE0EEEvSK_.has_recursion, or(0, .L_ZN7rocprim17ROCPRIM_400000_NS6detail26segmented_warp_sort_helperINS1_20WarpSortHelperConfigILj32ELj4ELj256EEEslLi256ELb0EvE4sortIPKsPsPKlPlEEvT_T0_T1_T2_jjjjRNS5_12storage_typeE.has_recursion)
	.set _ZN7rocprim17ROCPRIM_400000_NS6detail17trampoline_kernelINS0_14default_configENS1_36segmented_radix_sort_config_selectorIslEEZNS1_25segmented_radix_sort_implIS3_Lb0EPKsPsPKlPlN2at6native12_GLOBAL__N_18offset_tEEE10hipError_tPvRmT1_PNSt15iterator_traitsISK_E10value_typeET2_T3_PNSL_ISQ_E10value_typeET4_jRbjT5_SW_jjP12ihipStream_tbEUlT_E0_NS1_11comp_targetILNS1_3genE8ELNS1_11target_archE1030ELNS1_3gpuE2ELNS1_3repE0EEENS1_60segmented_radix_sort_warp_sort_medium_config_static_selectorELNS0_4arch9wavefront6targetE0EEEvSK_.has_indirect_call, or(0, .L_ZN7rocprim17ROCPRIM_400000_NS6detail26segmented_warp_sort_helperINS1_20WarpSortHelperConfigILj32ELj4ELj256EEEslLi256ELb0EvE4sortIPKsPsPKlPlEEvT_T0_T1_T2_jjjjRNS5_12storage_typeE.has_indirect_call)
	.section	.AMDGPU.csdata,"",@progbits
; Kernel info:
; codeLenInByte = 524
; TotalNumSgprs: 42
; NumVgprs: 54
; ScratchSize: 0
; MemoryBound: 0
; FloatMode: 240
; IeeeMode: 1
; LDSByteSize: 10240 bytes/workgroup (compile time only)
; SGPRBlocks: 0
; VGPRBlocks: 6
; NumSGPRsForWavesPerEU: 42
; NumVGPRsForWavesPerEU: 54
; Occupancy: 16
; WaveLimiterHint : 0
; COMPUTE_PGM_RSRC2:SCRATCH_EN: 0
; COMPUTE_PGM_RSRC2:USER_SGPR: 6
; COMPUTE_PGM_RSRC2:TRAP_HANDLER: 0
; COMPUTE_PGM_RSRC2:TGID_X_EN: 1
; COMPUTE_PGM_RSRC2:TGID_Y_EN: 1
; COMPUTE_PGM_RSRC2:TGID_Z_EN: 0
; COMPUTE_PGM_RSRC2:TIDIG_COMP_CNT: 2
	.section	.text._ZN7rocprim17ROCPRIM_400000_NS6detail17trampoline_kernelINS0_14default_configENS1_36segmented_radix_sort_config_selectorIslEEZNS1_25segmented_radix_sort_implIS3_Lb0EPKsPsPKlPlN2at6native12_GLOBAL__N_18offset_tEEE10hipError_tPvRmT1_PNSt15iterator_traitsISK_E10value_typeET2_T3_PNSL_ISQ_E10value_typeET4_jRbjT5_SW_jjP12ihipStream_tbEUlT_E1_NS1_11comp_targetILNS1_3genE0ELNS1_11target_archE4294967295ELNS1_3gpuE0ELNS1_3repE0EEENS1_59segmented_radix_sort_warp_sort_small_config_static_selectorELNS0_4arch9wavefront6targetE0EEEvSK_,"axG",@progbits,_ZN7rocprim17ROCPRIM_400000_NS6detail17trampoline_kernelINS0_14default_configENS1_36segmented_radix_sort_config_selectorIslEEZNS1_25segmented_radix_sort_implIS3_Lb0EPKsPsPKlPlN2at6native12_GLOBAL__N_18offset_tEEE10hipError_tPvRmT1_PNSt15iterator_traitsISK_E10value_typeET2_T3_PNSL_ISQ_E10value_typeET4_jRbjT5_SW_jjP12ihipStream_tbEUlT_E1_NS1_11comp_targetILNS1_3genE0ELNS1_11target_archE4294967295ELNS1_3gpuE0ELNS1_3repE0EEENS1_59segmented_radix_sort_warp_sort_small_config_static_selectorELNS0_4arch9wavefront6targetE0EEEvSK_,comdat
	.globl	_ZN7rocprim17ROCPRIM_400000_NS6detail17trampoline_kernelINS0_14default_configENS1_36segmented_radix_sort_config_selectorIslEEZNS1_25segmented_radix_sort_implIS3_Lb0EPKsPsPKlPlN2at6native12_GLOBAL__N_18offset_tEEE10hipError_tPvRmT1_PNSt15iterator_traitsISK_E10value_typeET2_T3_PNSL_ISQ_E10value_typeET4_jRbjT5_SW_jjP12ihipStream_tbEUlT_E1_NS1_11comp_targetILNS1_3genE0ELNS1_11target_archE4294967295ELNS1_3gpuE0ELNS1_3repE0EEENS1_59segmented_radix_sort_warp_sort_small_config_static_selectorELNS0_4arch9wavefront6targetE0EEEvSK_ ; -- Begin function _ZN7rocprim17ROCPRIM_400000_NS6detail17trampoline_kernelINS0_14default_configENS1_36segmented_radix_sort_config_selectorIslEEZNS1_25segmented_radix_sort_implIS3_Lb0EPKsPsPKlPlN2at6native12_GLOBAL__N_18offset_tEEE10hipError_tPvRmT1_PNSt15iterator_traitsISK_E10value_typeET2_T3_PNSL_ISQ_E10value_typeET4_jRbjT5_SW_jjP12ihipStream_tbEUlT_E1_NS1_11comp_targetILNS1_3genE0ELNS1_11target_archE4294967295ELNS1_3gpuE0ELNS1_3repE0EEENS1_59segmented_radix_sort_warp_sort_small_config_static_selectorELNS0_4arch9wavefront6targetE0EEEvSK_
	.p2align	8
	.type	_ZN7rocprim17ROCPRIM_400000_NS6detail17trampoline_kernelINS0_14default_configENS1_36segmented_radix_sort_config_selectorIslEEZNS1_25segmented_radix_sort_implIS3_Lb0EPKsPsPKlPlN2at6native12_GLOBAL__N_18offset_tEEE10hipError_tPvRmT1_PNSt15iterator_traitsISK_E10value_typeET2_T3_PNSL_ISQ_E10value_typeET4_jRbjT5_SW_jjP12ihipStream_tbEUlT_E1_NS1_11comp_targetILNS1_3genE0ELNS1_11target_archE4294967295ELNS1_3gpuE0ELNS1_3repE0EEENS1_59segmented_radix_sort_warp_sort_small_config_static_selectorELNS0_4arch9wavefront6targetE0EEEvSK_,@function
_ZN7rocprim17ROCPRIM_400000_NS6detail17trampoline_kernelINS0_14default_configENS1_36segmented_radix_sort_config_selectorIslEEZNS1_25segmented_radix_sort_implIS3_Lb0EPKsPsPKlPlN2at6native12_GLOBAL__N_18offset_tEEE10hipError_tPvRmT1_PNSt15iterator_traitsISK_E10value_typeET2_T3_PNSL_ISQ_E10value_typeET4_jRbjT5_SW_jjP12ihipStream_tbEUlT_E1_NS1_11comp_targetILNS1_3genE0ELNS1_11target_archE4294967295ELNS1_3gpuE0ELNS1_3repE0EEENS1_59segmented_radix_sort_warp_sort_small_config_static_selectorELNS0_4arch9wavefront6targetE0EEEvSK_: ; @_ZN7rocprim17ROCPRIM_400000_NS6detail17trampoline_kernelINS0_14default_configENS1_36segmented_radix_sort_config_selectorIslEEZNS1_25segmented_radix_sort_implIS3_Lb0EPKsPsPKlPlN2at6native12_GLOBAL__N_18offset_tEEE10hipError_tPvRmT1_PNSt15iterator_traitsISK_E10value_typeET2_T3_PNSL_ISQ_E10value_typeET4_jRbjT5_SW_jjP12ihipStream_tbEUlT_E1_NS1_11comp_targetILNS1_3genE0ELNS1_11target_archE4294967295ELNS1_3gpuE0ELNS1_3repE0EEENS1_59segmented_radix_sort_warp_sort_small_config_static_selectorELNS0_4arch9wavefront6targetE0EEEvSK_
; %bb.0:
	.section	.rodata,"a",@progbits
	.p2align	6, 0x0
	.amdhsa_kernel _ZN7rocprim17ROCPRIM_400000_NS6detail17trampoline_kernelINS0_14default_configENS1_36segmented_radix_sort_config_selectorIslEEZNS1_25segmented_radix_sort_implIS3_Lb0EPKsPsPKlPlN2at6native12_GLOBAL__N_18offset_tEEE10hipError_tPvRmT1_PNSt15iterator_traitsISK_E10value_typeET2_T3_PNSL_ISQ_E10value_typeET4_jRbjT5_SW_jjP12ihipStream_tbEUlT_E1_NS1_11comp_targetILNS1_3genE0ELNS1_11target_archE4294967295ELNS1_3gpuE0ELNS1_3repE0EEENS1_59segmented_radix_sort_warp_sort_small_config_static_selectorELNS0_4arch9wavefront6targetE0EEEvSK_
		.amdhsa_group_segment_fixed_size 0
		.amdhsa_private_segment_fixed_size 0
		.amdhsa_kernarg_size 88
		.amdhsa_user_sgpr_count 6
		.amdhsa_user_sgpr_private_segment_buffer 1
		.amdhsa_user_sgpr_dispatch_ptr 0
		.amdhsa_user_sgpr_queue_ptr 0
		.amdhsa_user_sgpr_kernarg_segment_ptr 1
		.amdhsa_user_sgpr_dispatch_id 0
		.amdhsa_user_sgpr_flat_scratch_init 0
		.amdhsa_user_sgpr_private_segment_size 0
		.amdhsa_wavefront_size32 1
		.amdhsa_uses_dynamic_stack 0
		.amdhsa_system_sgpr_private_segment_wavefront_offset 0
		.amdhsa_system_sgpr_workgroup_id_x 1
		.amdhsa_system_sgpr_workgroup_id_y 0
		.amdhsa_system_sgpr_workgroup_id_z 0
		.amdhsa_system_sgpr_workgroup_info 0
		.amdhsa_system_vgpr_workitem_id 0
		.amdhsa_next_free_vgpr 1
		.amdhsa_next_free_sgpr 1
		.amdhsa_reserve_vcc 0
		.amdhsa_reserve_flat_scratch 0
		.amdhsa_float_round_mode_32 0
		.amdhsa_float_round_mode_16_64 0
		.amdhsa_float_denorm_mode_32 3
		.amdhsa_float_denorm_mode_16_64 3
		.amdhsa_dx10_clamp 1
		.amdhsa_ieee_mode 1
		.amdhsa_fp16_overflow 0
		.amdhsa_workgroup_processor_mode 1
		.amdhsa_memory_ordered 1
		.amdhsa_forward_progress 1
		.amdhsa_shared_vgpr_count 0
		.amdhsa_exception_fp_ieee_invalid_op 0
		.amdhsa_exception_fp_denorm_src 0
		.amdhsa_exception_fp_ieee_div_zero 0
		.amdhsa_exception_fp_ieee_overflow 0
		.amdhsa_exception_fp_ieee_underflow 0
		.amdhsa_exception_fp_ieee_inexact 0
		.amdhsa_exception_int_div_zero 0
	.end_amdhsa_kernel
	.section	.text._ZN7rocprim17ROCPRIM_400000_NS6detail17trampoline_kernelINS0_14default_configENS1_36segmented_radix_sort_config_selectorIslEEZNS1_25segmented_radix_sort_implIS3_Lb0EPKsPsPKlPlN2at6native12_GLOBAL__N_18offset_tEEE10hipError_tPvRmT1_PNSt15iterator_traitsISK_E10value_typeET2_T3_PNSL_ISQ_E10value_typeET4_jRbjT5_SW_jjP12ihipStream_tbEUlT_E1_NS1_11comp_targetILNS1_3genE0ELNS1_11target_archE4294967295ELNS1_3gpuE0ELNS1_3repE0EEENS1_59segmented_radix_sort_warp_sort_small_config_static_selectorELNS0_4arch9wavefront6targetE0EEEvSK_,"axG",@progbits,_ZN7rocprim17ROCPRIM_400000_NS6detail17trampoline_kernelINS0_14default_configENS1_36segmented_radix_sort_config_selectorIslEEZNS1_25segmented_radix_sort_implIS3_Lb0EPKsPsPKlPlN2at6native12_GLOBAL__N_18offset_tEEE10hipError_tPvRmT1_PNSt15iterator_traitsISK_E10value_typeET2_T3_PNSL_ISQ_E10value_typeET4_jRbjT5_SW_jjP12ihipStream_tbEUlT_E1_NS1_11comp_targetILNS1_3genE0ELNS1_11target_archE4294967295ELNS1_3gpuE0ELNS1_3repE0EEENS1_59segmented_radix_sort_warp_sort_small_config_static_selectorELNS0_4arch9wavefront6targetE0EEEvSK_,comdat
.Lfunc_end1027:
	.size	_ZN7rocprim17ROCPRIM_400000_NS6detail17trampoline_kernelINS0_14default_configENS1_36segmented_radix_sort_config_selectorIslEEZNS1_25segmented_radix_sort_implIS3_Lb0EPKsPsPKlPlN2at6native12_GLOBAL__N_18offset_tEEE10hipError_tPvRmT1_PNSt15iterator_traitsISK_E10value_typeET2_T3_PNSL_ISQ_E10value_typeET4_jRbjT5_SW_jjP12ihipStream_tbEUlT_E1_NS1_11comp_targetILNS1_3genE0ELNS1_11target_archE4294967295ELNS1_3gpuE0ELNS1_3repE0EEENS1_59segmented_radix_sort_warp_sort_small_config_static_selectorELNS0_4arch9wavefront6targetE0EEEvSK_, .Lfunc_end1027-_ZN7rocprim17ROCPRIM_400000_NS6detail17trampoline_kernelINS0_14default_configENS1_36segmented_radix_sort_config_selectorIslEEZNS1_25segmented_radix_sort_implIS3_Lb0EPKsPsPKlPlN2at6native12_GLOBAL__N_18offset_tEEE10hipError_tPvRmT1_PNSt15iterator_traitsISK_E10value_typeET2_T3_PNSL_ISQ_E10value_typeET4_jRbjT5_SW_jjP12ihipStream_tbEUlT_E1_NS1_11comp_targetILNS1_3genE0ELNS1_11target_archE4294967295ELNS1_3gpuE0ELNS1_3repE0EEENS1_59segmented_radix_sort_warp_sort_small_config_static_selectorELNS0_4arch9wavefront6targetE0EEEvSK_
                                        ; -- End function
	.set _ZN7rocprim17ROCPRIM_400000_NS6detail17trampoline_kernelINS0_14default_configENS1_36segmented_radix_sort_config_selectorIslEEZNS1_25segmented_radix_sort_implIS3_Lb0EPKsPsPKlPlN2at6native12_GLOBAL__N_18offset_tEEE10hipError_tPvRmT1_PNSt15iterator_traitsISK_E10value_typeET2_T3_PNSL_ISQ_E10value_typeET4_jRbjT5_SW_jjP12ihipStream_tbEUlT_E1_NS1_11comp_targetILNS1_3genE0ELNS1_11target_archE4294967295ELNS1_3gpuE0ELNS1_3repE0EEENS1_59segmented_radix_sort_warp_sort_small_config_static_selectorELNS0_4arch9wavefront6targetE0EEEvSK_.num_vgpr, 0
	.set _ZN7rocprim17ROCPRIM_400000_NS6detail17trampoline_kernelINS0_14default_configENS1_36segmented_radix_sort_config_selectorIslEEZNS1_25segmented_radix_sort_implIS3_Lb0EPKsPsPKlPlN2at6native12_GLOBAL__N_18offset_tEEE10hipError_tPvRmT1_PNSt15iterator_traitsISK_E10value_typeET2_T3_PNSL_ISQ_E10value_typeET4_jRbjT5_SW_jjP12ihipStream_tbEUlT_E1_NS1_11comp_targetILNS1_3genE0ELNS1_11target_archE4294967295ELNS1_3gpuE0ELNS1_3repE0EEENS1_59segmented_radix_sort_warp_sort_small_config_static_selectorELNS0_4arch9wavefront6targetE0EEEvSK_.num_agpr, 0
	.set _ZN7rocprim17ROCPRIM_400000_NS6detail17trampoline_kernelINS0_14default_configENS1_36segmented_radix_sort_config_selectorIslEEZNS1_25segmented_radix_sort_implIS3_Lb0EPKsPsPKlPlN2at6native12_GLOBAL__N_18offset_tEEE10hipError_tPvRmT1_PNSt15iterator_traitsISK_E10value_typeET2_T3_PNSL_ISQ_E10value_typeET4_jRbjT5_SW_jjP12ihipStream_tbEUlT_E1_NS1_11comp_targetILNS1_3genE0ELNS1_11target_archE4294967295ELNS1_3gpuE0ELNS1_3repE0EEENS1_59segmented_radix_sort_warp_sort_small_config_static_selectorELNS0_4arch9wavefront6targetE0EEEvSK_.numbered_sgpr, 0
	.set _ZN7rocprim17ROCPRIM_400000_NS6detail17trampoline_kernelINS0_14default_configENS1_36segmented_radix_sort_config_selectorIslEEZNS1_25segmented_radix_sort_implIS3_Lb0EPKsPsPKlPlN2at6native12_GLOBAL__N_18offset_tEEE10hipError_tPvRmT1_PNSt15iterator_traitsISK_E10value_typeET2_T3_PNSL_ISQ_E10value_typeET4_jRbjT5_SW_jjP12ihipStream_tbEUlT_E1_NS1_11comp_targetILNS1_3genE0ELNS1_11target_archE4294967295ELNS1_3gpuE0ELNS1_3repE0EEENS1_59segmented_radix_sort_warp_sort_small_config_static_selectorELNS0_4arch9wavefront6targetE0EEEvSK_.num_named_barrier, 0
	.set _ZN7rocprim17ROCPRIM_400000_NS6detail17trampoline_kernelINS0_14default_configENS1_36segmented_radix_sort_config_selectorIslEEZNS1_25segmented_radix_sort_implIS3_Lb0EPKsPsPKlPlN2at6native12_GLOBAL__N_18offset_tEEE10hipError_tPvRmT1_PNSt15iterator_traitsISK_E10value_typeET2_T3_PNSL_ISQ_E10value_typeET4_jRbjT5_SW_jjP12ihipStream_tbEUlT_E1_NS1_11comp_targetILNS1_3genE0ELNS1_11target_archE4294967295ELNS1_3gpuE0ELNS1_3repE0EEENS1_59segmented_radix_sort_warp_sort_small_config_static_selectorELNS0_4arch9wavefront6targetE0EEEvSK_.private_seg_size, 0
	.set _ZN7rocprim17ROCPRIM_400000_NS6detail17trampoline_kernelINS0_14default_configENS1_36segmented_radix_sort_config_selectorIslEEZNS1_25segmented_radix_sort_implIS3_Lb0EPKsPsPKlPlN2at6native12_GLOBAL__N_18offset_tEEE10hipError_tPvRmT1_PNSt15iterator_traitsISK_E10value_typeET2_T3_PNSL_ISQ_E10value_typeET4_jRbjT5_SW_jjP12ihipStream_tbEUlT_E1_NS1_11comp_targetILNS1_3genE0ELNS1_11target_archE4294967295ELNS1_3gpuE0ELNS1_3repE0EEENS1_59segmented_radix_sort_warp_sort_small_config_static_selectorELNS0_4arch9wavefront6targetE0EEEvSK_.uses_vcc, 0
	.set _ZN7rocprim17ROCPRIM_400000_NS6detail17trampoline_kernelINS0_14default_configENS1_36segmented_radix_sort_config_selectorIslEEZNS1_25segmented_radix_sort_implIS3_Lb0EPKsPsPKlPlN2at6native12_GLOBAL__N_18offset_tEEE10hipError_tPvRmT1_PNSt15iterator_traitsISK_E10value_typeET2_T3_PNSL_ISQ_E10value_typeET4_jRbjT5_SW_jjP12ihipStream_tbEUlT_E1_NS1_11comp_targetILNS1_3genE0ELNS1_11target_archE4294967295ELNS1_3gpuE0ELNS1_3repE0EEENS1_59segmented_radix_sort_warp_sort_small_config_static_selectorELNS0_4arch9wavefront6targetE0EEEvSK_.uses_flat_scratch, 0
	.set _ZN7rocprim17ROCPRIM_400000_NS6detail17trampoline_kernelINS0_14default_configENS1_36segmented_radix_sort_config_selectorIslEEZNS1_25segmented_radix_sort_implIS3_Lb0EPKsPsPKlPlN2at6native12_GLOBAL__N_18offset_tEEE10hipError_tPvRmT1_PNSt15iterator_traitsISK_E10value_typeET2_T3_PNSL_ISQ_E10value_typeET4_jRbjT5_SW_jjP12ihipStream_tbEUlT_E1_NS1_11comp_targetILNS1_3genE0ELNS1_11target_archE4294967295ELNS1_3gpuE0ELNS1_3repE0EEENS1_59segmented_radix_sort_warp_sort_small_config_static_selectorELNS0_4arch9wavefront6targetE0EEEvSK_.has_dyn_sized_stack, 0
	.set _ZN7rocprim17ROCPRIM_400000_NS6detail17trampoline_kernelINS0_14default_configENS1_36segmented_radix_sort_config_selectorIslEEZNS1_25segmented_radix_sort_implIS3_Lb0EPKsPsPKlPlN2at6native12_GLOBAL__N_18offset_tEEE10hipError_tPvRmT1_PNSt15iterator_traitsISK_E10value_typeET2_T3_PNSL_ISQ_E10value_typeET4_jRbjT5_SW_jjP12ihipStream_tbEUlT_E1_NS1_11comp_targetILNS1_3genE0ELNS1_11target_archE4294967295ELNS1_3gpuE0ELNS1_3repE0EEENS1_59segmented_radix_sort_warp_sort_small_config_static_selectorELNS0_4arch9wavefront6targetE0EEEvSK_.has_recursion, 0
	.set _ZN7rocprim17ROCPRIM_400000_NS6detail17trampoline_kernelINS0_14default_configENS1_36segmented_radix_sort_config_selectorIslEEZNS1_25segmented_radix_sort_implIS3_Lb0EPKsPsPKlPlN2at6native12_GLOBAL__N_18offset_tEEE10hipError_tPvRmT1_PNSt15iterator_traitsISK_E10value_typeET2_T3_PNSL_ISQ_E10value_typeET4_jRbjT5_SW_jjP12ihipStream_tbEUlT_E1_NS1_11comp_targetILNS1_3genE0ELNS1_11target_archE4294967295ELNS1_3gpuE0ELNS1_3repE0EEENS1_59segmented_radix_sort_warp_sort_small_config_static_selectorELNS0_4arch9wavefront6targetE0EEEvSK_.has_indirect_call, 0
	.section	.AMDGPU.csdata,"",@progbits
; Kernel info:
; codeLenInByte = 0
; TotalNumSgprs: 0
; NumVgprs: 0
; ScratchSize: 0
; MemoryBound: 0
; FloatMode: 240
; IeeeMode: 1
; LDSByteSize: 0 bytes/workgroup (compile time only)
; SGPRBlocks: 0
; VGPRBlocks: 0
; NumSGPRsForWavesPerEU: 1
; NumVGPRsForWavesPerEU: 1
; Occupancy: 16
; WaveLimiterHint : 0
; COMPUTE_PGM_RSRC2:SCRATCH_EN: 0
; COMPUTE_PGM_RSRC2:USER_SGPR: 6
; COMPUTE_PGM_RSRC2:TRAP_HANDLER: 0
; COMPUTE_PGM_RSRC2:TGID_X_EN: 1
; COMPUTE_PGM_RSRC2:TGID_Y_EN: 0
; COMPUTE_PGM_RSRC2:TGID_Z_EN: 0
; COMPUTE_PGM_RSRC2:TIDIG_COMP_CNT: 0
	.section	.text._ZN7rocprim17ROCPRIM_400000_NS6detail17trampoline_kernelINS0_14default_configENS1_36segmented_radix_sort_config_selectorIslEEZNS1_25segmented_radix_sort_implIS3_Lb0EPKsPsPKlPlN2at6native12_GLOBAL__N_18offset_tEEE10hipError_tPvRmT1_PNSt15iterator_traitsISK_E10value_typeET2_T3_PNSL_ISQ_E10value_typeET4_jRbjT5_SW_jjP12ihipStream_tbEUlT_E1_NS1_11comp_targetILNS1_3genE5ELNS1_11target_archE942ELNS1_3gpuE9ELNS1_3repE0EEENS1_59segmented_radix_sort_warp_sort_small_config_static_selectorELNS0_4arch9wavefront6targetE0EEEvSK_,"axG",@progbits,_ZN7rocprim17ROCPRIM_400000_NS6detail17trampoline_kernelINS0_14default_configENS1_36segmented_radix_sort_config_selectorIslEEZNS1_25segmented_radix_sort_implIS3_Lb0EPKsPsPKlPlN2at6native12_GLOBAL__N_18offset_tEEE10hipError_tPvRmT1_PNSt15iterator_traitsISK_E10value_typeET2_T3_PNSL_ISQ_E10value_typeET4_jRbjT5_SW_jjP12ihipStream_tbEUlT_E1_NS1_11comp_targetILNS1_3genE5ELNS1_11target_archE942ELNS1_3gpuE9ELNS1_3repE0EEENS1_59segmented_radix_sort_warp_sort_small_config_static_selectorELNS0_4arch9wavefront6targetE0EEEvSK_,comdat
	.globl	_ZN7rocprim17ROCPRIM_400000_NS6detail17trampoline_kernelINS0_14default_configENS1_36segmented_radix_sort_config_selectorIslEEZNS1_25segmented_radix_sort_implIS3_Lb0EPKsPsPKlPlN2at6native12_GLOBAL__N_18offset_tEEE10hipError_tPvRmT1_PNSt15iterator_traitsISK_E10value_typeET2_T3_PNSL_ISQ_E10value_typeET4_jRbjT5_SW_jjP12ihipStream_tbEUlT_E1_NS1_11comp_targetILNS1_3genE5ELNS1_11target_archE942ELNS1_3gpuE9ELNS1_3repE0EEENS1_59segmented_radix_sort_warp_sort_small_config_static_selectorELNS0_4arch9wavefront6targetE0EEEvSK_ ; -- Begin function _ZN7rocprim17ROCPRIM_400000_NS6detail17trampoline_kernelINS0_14default_configENS1_36segmented_radix_sort_config_selectorIslEEZNS1_25segmented_radix_sort_implIS3_Lb0EPKsPsPKlPlN2at6native12_GLOBAL__N_18offset_tEEE10hipError_tPvRmT1_PNSt15iterator_traitsISK_E10value_typeET2_T3_PNSL_ISQ_E10value_typeET4_jRbjT5_SW_jjP12ihipStream_tbEUlT_E1_NS1_11comp_targetILNS1_3genE5ELNS1_11target_archE942ELNS1_3gpuE9ELNS1_3repE0EEENS1_59segmented_radix_sort_warp_sort_small_config_static_selectorELNS0_4arch9wavefront6targetE0EEEvSK_
	.p2align	8
	.type	_ZN7rocprim17ROCPRIM_400000_NS6detail17trampoline_kernelINS0_14default_configENS1_36segmented_radix_sort_config_selectorIslEEZNS1_25segmented_radix_sort_implIS3_Lb0EPKsPsPKlPlN2at6native12_GLOBAL__N_18offset_tEEE10hipError_tPvRmT1_PNSt15iterator_traitsISK_E10value_typeET2_T3_PNSL_ISQ_E10value_typeET4_jRbjT5_SW_jjP12ihipStream_tbEUlT_E1_NS1_11comp_targetILNS1_3genE5ELNS1_11target_archE942ELNS1_3gpuE9ELNS1_3repE0EEENS1_59segmented_radix_sort_warp_sort_small_config_static_selectorELNS0_4arch9wavefront6targetE0EEEvSK_,@function
_ZN7rocprim17ROCPRIM_400000_NS6detail17trampoline_kernelINS0_14default_configENS1_36segmented_radix_sort_config_selectorIslEEZNS1_25segmented_radix_sort_implIS3_Lb0EPKsPsPKlPlN2at6native12_GLOBAL__N_18offset_tEEE10hipError_tPvRmT1_PNSt15iterator_traitsISK_E10value_typeET2_T3_PNSL_ISQ_E10value_typeET4_jRbjT5_SW_jjP12ihipStream_tbEUlT_E1_NS1_11comp_targetILNS1_3genE5ELNS1_11target_archE942ELNS1_3gpuE9ELNS1_3repE0EEENS1_59segmented_radix_sort_warp_sort_small_config_static_selectorELNS0_4arch9wavefront6targetE0EEEvSK_: ; @_ZN7rocprim17ROCPRIM_400000_NS6detail17trampoline_kernelINS0_14default_configENS1_36segmented_radix_sort_config_selectorIslEEZNS1_25segmented_radix_sort_implIS3_Lb0EPKsPsPKlPlN2at6native12_GLOBAL__N_18offset_tEEE10hipError_tPvRmT1_PNSt15iterator_traitsISK_E10value_typeET2_T3_PNSL_ISQ_E10value_typeET4_jRbjT5_SW_jjP12ihipStream_tbEUlT_E1_NS1_11comp_targetILNS1_3genE5ELNS1_11target_archE942ELNS1_3gpuE9ELNS1_3repE0EEENS1_59segmented_radix_sort_warp_sort_small_config_static_selectorELNS0_4arch9wavefront6targetE0EEEvSK_
; %bb.0:
	.section	.rodata,"a",@progbits
	.p2align	6, 0x0
	.amdhsa_kernel _ZN7rocprim17ROCPRIM_400000_NS6detail17trampoline_kernelINS0_14default_configENS1_36segmented_radix_sort_config_selectorIslEEZNS1_25segmented_radix_sort_implIS3_Lb0EPKsPsPKlPlN2at6native12_GLOBAL__N_18offset_tEEE10hipError_tPvRmT1_PNSt15iterator_traitsISK_E10value_typeET2_T3_PNSL_ISQ_E10value_typeET4_jRbjT5_SW_jjP12ihipStream_tbEUlT_E1_NS1_11comp_targetILNS1_3genE5ELNS1_11target_archE942ELNS1_3gpuE9ELNS1_3repE0EEENS1_59segmented_radix_sort_warp_sort_small_config_static_selectorELNS0_4arch9wavefront6targetE0EEEvSK_
		.amdhsa_group_segment_fixed_size 0
		.amdhsa_private_segment_fixed_size 0
		.amdhsa_kernarg_size 88
		.amdhsa_user_sgpr_count 6
		.amdhsa_user_sgpr_private_segment_buffer 1
		.amdhsa_user_sgpr_dispatch_ptr 0
		.amdhsa_user_sgpr_queue_ptr 0
		.amdhsa_user_sgpr_kernarg_segment_ptr 1
		.amdhsa_user_sgpr_dispatch_id 0
		.amdhsa_user_sgpr_flat_scratch_init 0
		.amdhsa_user_sgpr_private_segment_size 0
		.amdhsa_wavefront_size32 1
		.amdhsa_uses_dynamic_stack 0
		.amdhsa_system_sgpr_private_segment_wavefront_offset 0
		.amdhsa_system_sgpr_workgroup_id_x 1
		.amdhsa_system_sgpr_workgroup_id_y 0
		.amdhsa_system_sgpr_workgroup_id_z 0
		.amdhsa_system_sgpr_workgroup_info 0
		.amdhsa_system_vgpr_workitem_id 0
		.amdhsa_next_free_vgpr 1
		.amdhsa_next_free_sgpr 1
		.amdhsa_reserve_vcc 0
		.amdhsa_reserve_flat_scratch 0
		.amdhsa_float_round_mode_32 0
		.amdhsa_float_round_mode_16_64 0
		.amdhsa_float_denorm_mode_32 3
		.amdhsa_float_denorm_mode_16_64 3
		.amdhsa_dx10_clamp 1
		.amdhsa_ieee_mode 1
		.amdhsa_fp16_overflow 0
		.amdhsa_workgroup_processor_mode 1
		.amdhsa_memory_ordered 1
		.amdhsa_forward_progress 1
		.amdhsa_shared_vgpr_count 0
		.amdhsa_exception_fp_ieee_invalid_op 0
		.amdhsa_exception_fp_denorm_src 0
		.amdhsa_exception_fp_ieee_div_zero 0
		.amdhsa_exception_fp_ieee_overflow 0
		.amdhsa_exception_fp_ieee_underflow 0
		.amdhsa_exception_fp_ieee_inexact 0
		.amdhsa_exception_int_div_zero 0
	.end_amdhsa_kernel
	.section	.text._ZN7rocprim17ROCPRIM_400000_NS6detail17trampoline_kernelINS0_14default_configENS1_36segmented_radix_sort_config_selectorIslEEZNS1_25segmented_radix_sort_implIS3_Lb0EPKsPsPKlPlN2at6native12_GLOBAL__N_18offset_tEEE10hipError_tPvRmT1_PNSt15iterator_traitsISK_E10value_typeET2_T3_PNSL_ISQ_E10value_typeET4_jRbjT5_SW_jjP12ihipStream_tbEUlT_E1_NS1_11comp_targetILNS1_3genE5ELNS1_11target_archE942ELNS1_3gpuE9ELNS1_3repE0EEENS1_59segmented_radix_sort_warp_sort_small_config_static_selectorELNS0_4arch9wavefront6targetE0EEEvSK_,"axG",@progbits,_ZN7rocprim17ROCPRIM_400000_NS6detail17trampoline_kernelINS0_14default_configENS1_36segmented_radix_sort_config_selectorIslEEZNS1_25segmented_radix_sort_implIS3_Lb0EPKsPsPKlPlN2at6native12_GLOBAL__N_18offset_tEEE10hipError_tPvRmT1_PNSt15iterator_traitsISK_E10value_typeET2_T3_PNSL_ISQ_E10value_typeET4_jRbjT5_SW_jjP12ihipStream_tbEUlT_E1_NS1_11comp_targetILNS1_3genE5ELNS1_11target_archE942ELNS1_3gpuE9ELNS1_3repE0EEENS1_59segmented_radix_sort_warp_sort_small_config_static_selectorELNS0_4arch9wavefront6targetE0EEEvSK_,comdat
.Lfunc_end1028:
	.size	_ZN7rocprim17ROCPRIM_400000_NS6detail17trampoline_kernelINS0_14default_configENS1_36segmented_radix_sort_config_selectorIslEEZNS1_25segmented_radix_sort_implIS3_Lb0EPKsPsPKlPlN2at6native12_GLOBAL__N_18offset_tEEE10hipError_tPvRmT1_PNSt15iterator_traitsISK_E10value_typeET2_T3_PNSL_ISQ_E10value_typeET4_jRbjT5_SW_jjP12ihipStream_tbEUlT_E1_NS1_11comp_targetILNS1_3genE5ELNS1_11target_archE942ELNS1_3gpuE9ELNS1_3repE0EEENS1_59segmented_radix_sort_warp_sort_small_config_static_selectorELNS0_4arch9wavefront6targetE0EEEvSK_, .Lfunc_end1028-_ZN7rocprim17ROCPRIM_400000_NS6detail17trampoline_kernelINS0_14default_configENS1_36segmented_radix_sort_config_selectorIslEEZNS1_25segmented_radix_sort_implIS3_Lb0EPKsPsPKlPlN2at6native12_GLOBAL__N_18offset_tEEE10hipError_tPvRmT1_PNSt15iterator_traitsISK_E10value_typeET2_T3_PNSL_ISQ_E10value_typeET4_jRbjT5_SW_jjP12ihipStream_tbEUlT_E1_NS1_11comp_targetILNS1_3genE5ELNS1_11target_archE942ELNS1_3gpuE9ELNS1_3repE0EEENS1_59segmented_radix_sort_warp_sort_small_config_static_selectorELNS0_4arch9wavefront6targetE0EEEvSK_
                                        ; -- End function
	.set _ZN7rocprim17ROCPRIM_400000_NS6detail17trampoline_kernelINS0_14default_configENS1_36segmented_radix_sort_config_selectorIslEEZNS1_25segmented_radix_sort_implIS3_Lb0EPKsPsPKlPlN2at6native12_GLOBAL__N_18offset_tEEE10hipError_tPvRmT1_PNSt15iterator_traitsISK_E10value_typeET2_T3_PNSL_ISQ_E10value_typeET4_jRbjT5_SW_jjP12ihipStream_tbEUlT_E1_NS1_11comp_targetILNS1_3genE5ELNS1_11target_archE942ELNS1_3gpuE9ELNS1_3repE0EEENS1_59segmented_radix_sort_warp_sort_small_config_static_selectorELNS0_4arch9wavefront6targetE0EEEvSK_.num_vgpr, 0
	.set _ZN7rocprim17ROCPRIM_400000_NS6detail17trampoline_kernelINS0_14default_configENS1_36segmented_radix_sort_config_selectorIslEEZNS1_25segmented_radix_sort_implIS3_Lb0EPKsPsPKlPlN2at6native12_GLOBAL__N_18offset_tEEE10hipError_tPvRmT1_PNSt15iterator_traitsISK_E10value_typeET2_T3_PNSL_ISQ_E10value_typeET4_jRbjT5_SW_jjP12ihipStream_tbEUlT_E1_NS1_11comp_targetILNS1_3genE5ELNS1_11target_archE942ELNS1_3gpuE9ELNS1_3repE0EEENS1_59segmented_radix_sort_warp_sort_small_config_static_selectorELNS0_4arch9wavefront6targetE0EEEvSK_.num_agpr, 0
	.set _ZN7rocprim17ROCPRIM_400000_NS6detail17trampoline_kernelINS0_14default_configENS1_36segmented_radix_sort_config_selectorIslEEZNS1_25segmented_radix_sort_implIS3_Lb0EPKsPsPKlPlN2at6native12_GLOBAL__N_18offset_tEEE10hipError_tPvRmT1_PNSt15iterator_traitsISK_E10value_typeET2_T3_PNSL_ISQ_E10value_typeET4_jRbjT5_SW_jjP12ihipStream_tbEUlT_E1_NS1_11comp_targetILNS1_3genE5ELNS1_11target_archE942ELNS1_3gpuE9ELNS1_3repE0EEENS1_59segmented_radix_sort_warp_sort_small_config_static_selectorELNS0_4arch9wavefront6targetE0EEEvSK_.numbered_sgpr, 0
	.set _ZN7rocprim17ROCPRIM_400000_NS6detail17trampoline_kernelINS0_14default_configENS1_36segmented_radix_sort_config_selectorIslEEZNS1_25segmented_radix_sort_implIS3_Lb0EPKsPsPKlPlN2at6native12_GLOBAL__N_18offset_tEEE10hipError_tPvRmT1_PNSt15iterator_traitsISK_E10value_typeET2_T3_PNSL_ISQ_E10value_typeET4_jRbjT5_SW_jjP12ihipStream_tbEUlT_E1_NS1_11comp_targetILNS1_3genE5ELNS1_11target_archE942ELNS1_3gpuE9ELNS1_3repE0EEENS1_59segmented_radix_sort_warp_sort_small_config_static_selectorELNS0_4arch9wavefront6targetE0EEEvSK_.num_named_barrier, 0
	.set _ZN7rocprim17ROCPRIM_400000_NS6detail17trampoline_kernelINS0_14default_configENS1_36segmented_radix_sort_config_selectorIslEEZNS1_25segmented_radix_sort_implIS3_Lb0EPKsPsPKlPlN2at6native12_GLOBAL__N_18offset_tEEE10hipError_tPvRmT1_PNSt15iterator_traitsISK_E10value_typeET2_T3_PNSL_ISQ_E10value_typeET4_jRbjT5_SW_jjP12ihipStream_tbEUlT_E1_NS1_11comp_targetILNS1_3genE5ELNS1_11target_archE942ELNS1_3gpuE9ELNS1_3repE0EEENS1_59segmented_radix_sort_warp_sort_small_config_static_selectorELNS0_4arch9wavefront6targetE0EEEvSK_.private_seg_size, 0
	.set _ZN7rocprim17ROCPRIM_400000_NS6detail17trampoline_kernelINS0_14default_configENS1_36segmented_radix_sort_config_selectorIslEEZNS1_25segmented_radix_sort_implIS3_Lb0EPKsPsPKlPlN2at6native12_GLOBAL__N_18offset_tEEE10hipError_tPvRmT1_PNSt15iterator_traitsISK_E10value_typeET2_T3_PNSL_ISQ_E10value_typeET4_jRbjT5_SW_jjP12ihipStream_tbEUlT_E1_NS1_11comp_targetILNS1_3genE5ELNS1_11target_archE942ELNS1_3gpuE9ELNS1_3repE0EEENS1_59segmented_radix_sort_warp_sort_small_config_static_selectorELNS0_4arch9wavefront6targetE0EEEvSK_.uses_vcc, 0
	.set _ZN7rocprim17ROCPRIM_400000_NS6detail17trampoline_kernelINS0_14default_configENS1_36segmented_radix_sort_config_selectorIslEEZNS1_25segmented_radix_sort_implIS3_Lb0EPKsPsPKlPlN2at6native12_GLOBAL__N_18offset_tEEE10hipError_tPvRmT1_PNSt15iterator_traitsISK_E10value_typeET2_T3_PNSL_ISQ_E10value_typeET4_jRbjT5_SW_jjP12ihipStream_tbEUlT_E1_NS1_11comp_targetILNS1_3genE5ELNS1_11target_archE942ELNS1_3gpuE9ELNS1_3repE0EEENS1_59segmented_radix_sort_warp_sort_small_config_static_selectorELNS0_4arch9wavefront6targetE0EEEvSK_.uses_flat_scratch, 0
	.set _ZN7rocprim17ROCPRIM_400000_NS6detail17trampoline_kernelINS0_14default_configENS1_36segmented_radix_sort_config_selectorIslEEZNS1_25segmented_radix_sort_implIS3_Lb0EPKsPsPKlPlN2at6native12_GLOBAL__N_18offset_tEEE10hipError_tPvRmT1_PNSt15iterator_traitsISK_E10value_typeET2_T3_PNSL_ISQ_E10value_typeET4_jRbjT5_SW_jjP12ihipStream_tbEUlT_E1_NS1_11comp_targetILNS1_3genE5ELNS1_11target_archE942ELNS1_3gpuE9ELNS1_3repE0EEENS1_59segmented_radix_sort_warp_sort_small_config_static_selectorELNS0_4arch9wavefront6targetE0EEEvSK_.has_dyn_sized_stack, 0
	.set _ZN7rocprim17ROCPRIM_400000_NS6detail17trampoline_kernelINS0_14default_configENS1_36segmented_radix_sort_config_selectorIslEEZNS1_25segmented_radix_sort_implIS3_Lb0EPKsPsPKlPlN2at6native12_GLOBAL__N_18offset_tEEE10hipError_tPvRmT1_PNSt15iterator_traitsISK_E10value_typeET2_T3_PNSL_ISQ_E10value_typeET4_jRbjT5_SW_jjP12ihipStream_tbEUlT_E1_NS1_11comp_targetILNS1_3genE5ELNS1_11target_archE942ELNS1_3gpuE9ELNS1_3repE0EEENS1_59segmented_radix_sort_warp_sort_small_config_static_selectorELNS0_4arch9wavefront6targetE0EEEvSK_.has_recursion, 0
	.set _ZN7rocprim17ROCPRIM_400000_NS6detail17trampoline_kernelINS0_14default_configENS1_36segmented_radix_sort_config_selectorIslEEZNS1_25segmented_radix_sort_implIS3_Lb0EPKsPsPKlPlN2at6native12_GLOBAL__N_18offset_tEEE10hipError_tPvRmT1_PNSt15iterator_traitsISK_E10value_typeET2_T3_PNSL_ISQ_E10value_typeET4_jRbjT5_SW_jjP12ihipStream_tbEUlT_E1_NS1_11comp_targetILNS1_3genE5ELNS1_11target_archE942ELNS1_3gpuE9ELNS1_3repE0EEENS1_59segmented_radix_sort_warp_sort_small_config_static_selectorELNS0_4arch9wavefront6targetE0EEEvSK_.has_indirect_call, 0
	.section	.AMDGPU.csdata,"",@progbits
; Kernel info:
; codeLenInByte = 0
; TotalNumSgprs: 0
; NumVgprs: 0
; ScratchSize: 0
; MemoryBound: 0
; FloatMode: 240
; IeeeMode: 1
; LDSByteSize: 0 bytes/workgroup (compile time only)
; SGPRBlocks: 0
; VGPRBlocks: 0
; NumSGPRsForWavesPerEU: 1
; NumVGPRsForWavesPerEU: 1
; Occupancy: 16
; WaveLimiterHint : 0
; COMPUTE_PGM_RSRC2:SCRATCH_EN: 0
; COMPUTE_PGM_RSRC2:USER_SGPR: 6
; COMPUTE_PGM_RSRC2:TRAP_HANDLER: 0
; COMPUTE_PGM_RSRC2:TGID_X_EN: 1
; COMPUTE_PGM_RSRC2:TGID_Y_EN: 0
; COMPUTE_PGM_RSRC2:TGID_Z_EN: 0
; COMPUTE_PGM_RSRC2:TIDIG_COMP_CNT: 0
	.section	.text._ZN7rocprim17ROCPRIM_400000_NS6detail17trampoline_kernelINS0_14default_configENS1_36segmented_radix_sort_config_selectorIslEEZNS1_25segmented_radix_sort_implIS3_Lb0EPKsPsPKlPlN2at6native12_GLOBAL__N_18offset_tEEE10hipError_tPvRmT1_PNSt15iterator_traitsISK_E10value_typeET2_T3_PNSL_ISQ_E10value_typeET4_jRbjT5_SW_jjP12ihipStream_tbEUlT_E1_NS1_11comp_targetILNS1_3genE4ELNS1_11target_archE910ELNS1_3gpuE8ELNS1_3repE0EEENS1_59segmented_radix_sort_warp_sort_small_config_static_selectorELNS0_4arch9wavefront6targetE0EEEvSK_,"axG",@progbits,_ZN7rocprim17ROCPRIM_400000_NS6detail17trampoline_kernelINS0_14default_configENS1_36segmented_radix_sort_config_selectorIslEEZNS1_25segmented_radix_sort_implIS3_Lb0EPKsPsPKlPlN2at6native12_GLOBAL__N_18offset_tEEE10hipError_tPvRmT1_PNSt15iterator_traitsISK_E10value_typeET2_T3_PNSL_ISQ_E10value_typeET4_jRbjT5_SW_jjP12ihipStream_tbEUlT_E1_NS1_11comp_targetILNS1_3genE4ELNS1_11target_archE910ELNS1_3gpuE8ELNS1_3repE0EEENS1_59segmented_radix_sort_warp_sort_small_config_static_selectorELNS0_4arch9wavefront6targetE0EEEvSK_,comdat
	.globl	_ZN7rocprim17ROCPRIM_400000_NS6detail17trampoline_kernelINS0_14default_configENS1_36segmented_radix_sort_config_selectorIslEEZNS1_25segmented_radix_sort_implIS3_Lb0EPKsPsPKlPlN2at6native12_GLOBAL__N_18offset_tEEE10hipError_tPvRmT1_PNSt15iterator_traitsISK_E10value_typeET2_T3_PNSL_ISQ_E10value_typeET4_jRbjT5_SW_jjP12ihipStream_tbEUlT_E1_NS1_11comp_targetILNS1_3genE4ELNS1_11target_archE910ELNS1_3gpuE8ELNS1_3repE0EEENS1_59segmented_radix_sort_warp_sort_small_config_static_selectorELNS0_4arch9wavefront6targetE0EEEvSK_ ; -- Begin function _ZN7rocprim17ROCPRIM_400000_NS6detail17trampoline_kernelINS0_14default_configENS1_36segmented_radix_sort_config_selectorIslEEZNS1_25segmented_radix_sort_implIS3_Lb0EPKsPsPKlPlN2at6native12_GLOBAL__N_18offset_tEEE10hipError_tPvRmT1_PNSt15iterator_traitsISK_E10value_typeET2_T3_PNSL_ISQ_E10value_typeET4_jRbjT5_SW_jjP12ihipStream_tbEUlT_E1_NS1_11comp_targetILNS1_3genE4ELNS1_11target_archE910ELNS1_3gpuE8ELNS1_3repE0EEENS1_59segmented_radix_sort_warp_sort_small_config_static_selectorELNS0_4arch9wavefront6targetE0EEEvSK_
	.p2align	8
	.type	_ZN7rocprim17ROCPRIM_400000_NS6detail17trampoline_kernelINS0_14default_configENS1_36segmented_radix_sort_config_selectorIslEEZNS1_25segmented_radix_sort_implIS3_Lb0EPKsPsPKlPlN2at6native12_GLOBAL__N_18offset_tEEE10hipError_tPvRmT1_PNSt15iterator_traitsISK_E10value_typeET2_T3_PNSL_ISQ_E10value_typeET4_jRbjT5_SW_jjP12ihipStream_tbEUlT_E1_NS1_11comp_targetILNS1_3genE4ELNS1_11target_archE910ELNS1_3gpuE8ELNS1_3repE0EEENS1_59segmented_radix_sort_warp_sort_small_config_static_selectorELNS0_4arch9wavefront6targetE0EEEvSK_,@function
_ZN7rocprim17ROCPRIM_400000_NS6detail17trampoline_kernelINS0_14default_configENS1_36segmented_radix_sort_config_selectorIslEEZNS1_25segmented_radix_sort_implIS3_Lb0EPKsPsPKlPlN2at6native12_GLOBAL__N_18offset_tEEE10hipError_tPvRmT1_PNSt15iterator_traitsISK_E10value_typeET2_T3_PNSL_ISQ_E10value_typeET4_jRbjT5_SW_jjP12ihipStream_tbEUlT_E1_NS1_11comp_targetILNS1_3genE4ELNS1_11target_archE910ELNS1_3gpuE8ELNS1_3repE0EEENS1_59segmented_radix_sort_warp_sort_small_config_static_selectorELNS0_4arch9wavefront6targetE0EEEvSK_: ; @_ZN7rocprim17ROCPRIM_400000_NS6detail17trampoline_kernelINS0_14default_configENS1_36segmented_radix_sort_config_selectorIslEEZNS1_25segmented_radix_sort_implIS3_Lb0EPKsPsPKlPlN2at6native12_GLOBAL__N_18offset_tEEE10hipError_tPvRmT1_PNSt15iterator_traitsISK_E10value_typeET2_T3_PNSL_ISQ_E10value_typeET4_jRbjT5_SW_jjP12ihipStream_tbEUlT_E1_NS1_11comp_targetILNS1_3genE4ELNS1_11target_archE910ELNS1_3gpuE8ELNS1_3repE0EEENS1_59segmented_radix_sort_warp_sort_small_config_static_selectorELNS0_4arch9wavefront6targetE0EEEvSK_
; %bb.0:
	.section	.rodata,"a",@progbits
	.p2align	6, 0x0
	.amdhsa_kernel _ZN7rocprim17ROCPRIM_400000_NS6detail17trampoline_kernelINS0_14default_configENS1_36segmented_radix_sort_config_selectorIslEEZNS1_25segmented_radix_sort_implIS3_Lb0EPKsPsPKlPlN2at6native12_GLOBAL__N_18offset_tEEE10hipError_tPvRmT1_PNSt15iterator_traitsISK_E10value_typeET2_T3_PNSL_ISQ_E10value_typeET4_jRbjT5_SW_jjP12ihipStream_tbEUlT_E1_NS1_11comp_targetILNS1_3genE4ELNS1_11target_archE910ELNS1_3gpuE8ELNS1_3repE0EEENS1_59segmented_radix_sort_warp_sort_small_config_static_selectorELNS0_4arch9wavefront6targetE0EEEvSK_
		.amdhsa_group_segment_fixed_size 0
		.amdhsa_private_segment_fixed_size 0
		.amdhsa_kernarg_size 88
		.amdhsa_user_sgpr_count 6
		.amdhsa_user_sgpr_private_segment_buffer 1
		.amdhsa_user_sgpr_dispatch_ptr 0
		.amdhsa_user_sgpr_queue_ptr 0
		.amdhsa_user_sgpr_kernarg_segment_ptr 1
		.amdhsa_user_sgpr_dispatch_id 0
		.amdhsa_user_sgpr_flat_scratch_init 0
		.amdhsa_user_sgpr_private_segment_size 0
		.amdhsa_wavefront_size32 1
		.amdhsa_uses_dynamic_stack 0
		.amdhsa_system_sgpr_private_segment_wavefront_offset 0
		.amdhsa_system_sgpr_workgroup_id_x 1
		.amdhsa_system_sgpr_workgroup_id_y 0
		.amdhsa_system_sgpr_workgroup_id_z 0
		.amdhsa_system_sgpr_workgroup_info 0
		.amdhsa_system_vgpr_workitem_id 0
		.amdhsa_next_free_vgpr 1
		.amdhsa_next_free_sgpr 1
		.amdhsa_reserve_vcc 0
		.amdhsa_reserve_flat_scratch 0
		.amdhsa_float_round_mode_32 0
		.amdhsa_float_round_mode_16_64 0
		.amdhsa_float_denorm_mode_32 3
		.amdhsa_float_denorm_mode_16_64 3
		.amdhsa_dx10_clamp 1
		.amdhsa_ieee_mode 1
		.amdhsa_fp16_overflow 0
		.amdhsa_workgroup_processor_mode 1
		.amdhsa_memory_ordered 1
		.amdhsa_forward_progress 1
		.amdhsa_shared_vgpr_count 0
		.amdhsa_exception_fp_ieee_invalid_op 0
		.amdhsa_exception_fp_denorm_src 0
		.amdhsa_exception_fp_ieee_div_zero 0
		.amdhsa_exception_fp_ieee_overflow 0
		.amdhsa_exception_fp_ieee_underflow 0
		.amdhsa_exception_fp_ieee_inexact 0
		.amdhsa_exception_int_div_zero 0
	.end_amdhsa_kernel
	.section	.text._ZN7rocprim17ROCPRIM_400000_NS6detail17trampoline_kernelINS0_14default_configENS1_36segmented_radix_sort_config_selectorIslEEZNS1_25segmented_radix_sort_implIS3_Lb0EPKsPsPKlPlN2at6native12_GLOBAL__N_18offset_tEEE10hipError_tPvRmT1_PNSt15iterator_traitsISK_E10value_typeET2_T3_PNSL_ISQ_E10value_typeET4_jRbjT5_SW_jjP12ihipStream_tbEUlT_E1_NS1_11comp_targetILNS1_3genE4ELNS1_11target_archE910ELNS1_3gpuE8ELNS1_3repE0EEENS1_59segmented_radix_sort_warp_sort_small_config_static_selectorELNS0_4arch9wavefront6targetE0EEEvSK_,"axG",@progbits,_ZN7rocprim17ROCPRIM_400000_NS6detail17trampoline_kernelINS0_14default_configENS1_36segmented_radix_sort_config_selectorIslEEZNS1_25segmented_radix_sort_implIS3_Lb0EPKsPsPKlPlN2at6native12_GLOBAL__N_18offset_tEEE10hipError_tPvRmT1_PNSt15iterator_traitsISK_E10value_typeET2_T3_PNSL_ISQ_E10value_typeET4_jRbjT5_SW_jjP12ihipStream_tbEUlT_E1_NS1_11comp_targetILNS1_3genE4ELNS1_11target_archE910ELNS1_3gpuE8ELNS1_3repE0EEENS1_59segmented_radix_sort_warp_sort_small_config_static_selectorELNS0_4arch9wavefront6targetE0EEEvSK_,comdat
.Lfunc_end1029:
	.size	_ZN7rocprim17ROCPRIM_400000_NS6detail17trampoline_kernelINS0_14default_configENS1_36segmented_radix_sort_config_selectorIslEEZNS1_25segmented_radix_sort_implIS3_Lb0EPKsPsPKlPlN2at6native12_GLOBAL__N_18offset_tEEE10hipError_tPvRmT1_PNSt15iterator_traitsISK_E10value_typeET2_T3_PNSL_ISQ_E10value_typeET4_jRbjT5_SW_jjP12ihipStream_tbEUlT_E1_NS1_11comp_targetILNS1_3genE4ELNS1_11target_archE910ELNS1_3gpuE8ELNS1_3repE0EEENS1_59segmented_radix_sort_warp_sort_small_config_static_selectorELNS0_4arch9wavefront6targetE0EEEvSK_, .Lfunc_end1029-_ZN7rocprim17ROCPRIM_400000_NS6detail17trampoline_kernelINS0_14default_configENS1_36segmented_radix_sort_config_selectorIslEEZNS1_25segmented_radix_sort_implIS3_Lb0EPKsPsPKlPlN2at6native12_GLOBAL__N_18offset_tEEE10hipError_tPvRmT1_PNSt15iterator_traitsISK_E10value_typeET2_T3_PNSL_ISQ_E10value_typeET4_jRbjT5_SW_jjP12ihipStream_tbEUlT_E1_NS1_11comp_targetILNS1_3genE4ELNS1_11target_archE910ELNS1_3gpuE8ELNS1_3repE0EEENS1_59segmented_radix_sort_warp_sort_small_config_static_selectorELNS0_4arch9wavefront6targetE0EEEvSK_
                                        ; -- End function
	.set _ZN7rocprim17ROCPRIM_400000_NS6detail17trampoline_kernelINS0_14default_configENS1_36segmented_radix_sort_config_selectorIslEEZNS1_25segmented_radix_sort_implIS3_Lb0EPKsPsPKlPlN2at6native12_GLOBAL__N_18offset_tEEE10hipError_tPvRmT1_PNSt15iterator_traitsISK_E10value_typeET2_T3_PNSL_ISQ_E10value_typeET4_jRbjT5_SW_jjP12ihipStream_tbEUlT_E1_NS1_11comp_targetILNS1_3genE4ELNS1_11target_archE910ELNS1_3gpuE8ELNS1_3repE0EEENS1_59segmented_radix_sort_warp_sort_small_config_static_selectorELNS0_4arch9wavefront6targetE0EEEvSK_.num_vgpr, 0
	.set _ZN7rocprim17ROCPRIM_400000_NS6detail17trampoline_kernelINS0_14default_configENS1_36segmented_radix_sort_config_selectorIslEEZNS1_25segmented_radix_sort_implIS3_Lb0EPKsPsPKlPlN2at6native12_GLOBAL__N_18offset_tEEE10hipError_tPvRmT1_PNSt15iterator_traitsISK_E10value_typeET2_T3_PNSL_ISQ_E10value_typeET4_jRbjT5_SW_jjP12ihipStream_tbEUlT_E1_NS1_11comp_targetILNS1_3genE4ELNS1_11target_archE910ELNS1_3gpuE8ELNS1_3repE0EEENS1_59segmented_radix_sort_warp_sort_small_config_static_selectorELNS0_4arch9wavefront6targetE0EEEvSK_.num_agpr, 0
	.set _ZN7rocprim17ROCPRIM_400000_NS6detail17trampoline_kernelINS0_14default_configENS1_36segmented_radix_sort_config_selectorIslEEZNS1_25segmented_radix_sort_implIS3_Lb0EPKsPsPKlPlN2at6native12_GLOBAL__N_18offset_tEEE10hipError_tPvRmT1_PNSt15iterator_traitsISK_E10value_typeET2_T3_PNSL_ISQ_E10value_typeET4_jRbjT5_SW_jjP12ihipStream_tbEUlT_E1_NS1_11comp_targetILNS1_3genE4ELNS1_11target_archE910ELNS1_3gpuE8ELNS1_3repE0EEENS1_59segmented_radix_sort_warp_sort_small_config_static_selectorELNS0_4arch9wavefront6targetE0EEEvSK_.numbered_sgpr, 0
	.set _ZN7rocprim17ROCPRIM_400000_NS6detail17trampoline_kernelINS0_14default_configENS1_36segmented_radix_sort_config_selectorIslEEZNS1_25segmented_radix_sort_implIS3_Lb0EPKsPsPKlPlN2at6native12_GLOBAL__N_18offset_tEEE10hipError_tPvRmT1_PNSt15iterator_traitsISK_E10value_typeET2_T3_PNSL_ISQ_E10value_typeET4_jRbjT5_SW_jjP12ihipStream_tbEUlT_E1_NS1_11comp_targetILNS1_3genE4ELNS1_11target_archE910ELNS1_3gpuE8ELNS1_3repE0EEENS1_59segmented_radix_sort_warp_sort_small_config_static_selectorELNS0_4arch9wavefront6targetE0EEEvSK_.num_named_barrier, 0
	.set _ZN7rocprim17ROCPRIM_400000_NS6detail17trampoline_kernelINS0_14default_configENS1_36segmented_radix_sort_config_selectorIslEEZNS1_25segmented_radix_sort_implIS3_Lb0EPKsPsPKlPlN2at6native12_GLOBAL__N_18offset_tEEE10hipError_tPvRmT1_PNSt15iterator_traitsISK_E10value_typeET2_T3_PNSL_ISQ_E10value_typeET4_jRbjT5_SW_jjP12ihipStream_tbEUlT_E1_NS1_11comp_targetILNS1_3genE4ELNS1_11target_archE910ELNS1_3gpuE8ELNS1_3repE0EEENS1_59segmented_radix_sort_warp_sort_small_config_static_selectorELNS0_4arch9wavefront6targetE0EEEvSK_.private_seg_size, 0
	.set _ZN7rocprim17ROCPRIM_400000_NS6detail17trampoline_kernelINS0_14default_configENS1_36segmented_radix_sort_config_selectorIslEEZNS1_25segmented_radix_sort_implIS3_Lb0EPKsPsPKlPlN2at6native12_GLOBAL__N_18offset_tEEE10hipError_tPvRmT1_PNSt15iterator_traitsISK_E10value_typeET2_T3_PNSL_ISQ_E10value_typeET4_jRbjT5_SW_jjP12ihipStream_tbEUlT_E1_NS1_11comp_targetILNS1_3genE4ELNS1_11target_archE910ELNS1_3gpuE8ELNS1_3repE0EEENS1_59segmented_radix_sort_warp_sort_small_config_static_selectorELNS0_4arch9wavefront6targetE0EEEvSK_.uses_vcc, 0
	.set _ZN7rocprim17ROCPRIM_400000_NS6detail17trampoline_kernelINS0_14default_configENS1_36segmented_radix_sort_config_selectorIslEEZNS1_25segmented_radix_sort_implIS3_Lb0EPKsPsPKlPlN2at6native12_GLOBAL__N_18offset_tEEE10hipError_tPvRmT1_PNSt15iterator_traitsISK_E10value_typeET2_T3_PNSL_ISQ_E10value_typeET4_jRbjT5_SW_jjP12ihipStream_tbEUlT_E1_NS1_11comp_targetILNS1_3genE4ELNS1_11target_archE910ELNS1_3gpuE8ELNS1_3repE0EEENS1_59segmented_radix_sort_warp_sort_small_config_static_selectorELNS0_4arch9wavefront6targetE0EEEvSK_.uses_flat_scratch, 0
	.set _ZN7rocprim17ROCPRIM_400000_NS6detail17trampoline_kernelINS0_14default_configENS1_36segmented_radix_sort_config_selectorIslEEZNS1_25segmented_radix_sort_implIS3_Lb0EPKsPsPKlPlN2at6native12_GLOBAL__N_18offset_tEEE10hipError_tPvRmT1_PNSt15iterator_traitsISK_E10value_typeET2_T3_PNSL_ISQ_E10value_typeET4_jRbjT5_SW_jjP12ihipStream_tbEUlT_E1_NS1_11comp_targetILNS1_3genE4ELNS1_11target_archE910ELNS1_3gpuE8ELNS1_3repE0EEENS1_59segmented_radix_sort_warp_sort_small_config_static_selectorELNS0_4arch9wavefront6targetE0EEEvSK_.has_dyn_sized_stack, 0
	.set _ZN7rocprim17ROCPRIM_400000_NS6detail17trampoline_kernelINS0_14default_configENS1_36segmented_radix_sort_config_selectorIslEEZNS1_25segmented_radix_sort_implIS3_Lb0EPKsPsPKlPlN2at6native12_GLOBAL__N_18offset_tEEE10hipError_tPvRmT1_PNSt15iterator_traitsISK_E10value_typeET2_T3_PNSL_ISQ_E10value_typeET4_jRbjT5_SW_jjP12ihipStream_tbEUlT_E1_NS1_11comp_targetILNS1_3genE4ELNS1_11target_archE910ELNS1_3gpuE8ELNS1_3repE0EEENS1_59segmented_radix_sort_warp_sort_small_config_static_selectorELNS0_4arch9wavefront6targetE0EEEvSK_.has_recursion, 0
	.set _ZN7rocprim17ROCPRIM_400000_NS6detail17trampoline_kernelINS0_14default_configENS1_36segmented_radix_sort_config_selectorIslEEZNS1_25segmented_radix_sort_implIS3_Lb0EPKsPsPKlPlN2at6native12_GLOBAL__N_18offset_tEEE10hipError_tPvRmT1_PNSt15iterator_traitsISK_E10value_typeET2_T3_PNSL_ISQ_E10value_typeET4_jRbjT5_SW_jjP12ihipStream_tbEUlT_E1_NS1_11comp_targetILNS1_3genE4ELNS1_11target_archE910ELNS1_3gpuE8ELNS1_3repE0EEENS1_59segmented_radix_sort_warp_sort_small_config_static_selectorELNS0_4arch9wavefront6targetE0EEEvSK_.has_indirect_call, 0
	.section	.AMDGPU.csdata,"",@progbits
; Kernel info:
; codeLenInByte = 0
; TotalNumSgprs: 0
; NumVgprs: 0
; ScratchSize: 0
; MemoryBound: 0
; FloatMode: 240
; IeeeMode: 1
; LDSByteSize: 0 bytes/workgroup (compile time only)
; SGPRBlocks: 0
; VGPRBlocks: 0
; NumSGPRsForWavesPerEU: 1
; NumVGPRsForWavesPerEU: 1
; Occupancy: 16
; WaveLimiterHint : 0
; COMPUTE_PGM_RSRC2:SCRATCH_EN: 0
; COMPUTE_PGM_RSRC2:USER_SGPR: 6
; COMPUTE_PGM_RSRC2:TRAP_HANDLER: 0
; COMPUTE_PGM_RSRC2:TGID_X_EN: 1
; COMPUTE_PGM_RSRC2:TGID_Y_EN: 0
; COMPUTE_PGM_RSRC2:TGID_Z_EN: 0
; COMPUTE_PGM_RSRC2:TIDIG_COMP_CNT: 0
	.section	.text._ZN7rocprim17ROCPRIM_400000_NS6detail17trampoline_kernelINS0_14default_configENS1_36segmented_radix_sort_config_selectorIslEEZNS1_25segmented_radix_sort_implIS3_Lb0EPKsPsPKlPlN2at6native12_GLOBAL__N_18offset_tEEE10hipError_tPvRmT1_PNSt15iterator_traitsISK_E10value_typeET2_T3_PNSL_ISQ_E10value_typeET4_jRbjT5_SW_jjP12ihipStream_tbEUlT_E1_NS1_11comp_targetILNS1_3genE3ELNS1_11target_archE908ELNS1_3gpuE7ELNS1_3repE0EEENS1_59segmented_radix_sort_warp_sort_small_config_static_selectorELNS0_4arch9wavefront6targetE0EEEvSK_,"axG",@progbits,_ZN7rocprim17ROCPRIM_400000_NS6detail17trampoline_kernelINS0_14default_configENS1_36segmented_radix_sort_config_selectorIslEEZNS1_25segmented_radix_sort_implIS3_Lb0EPKsPsPKlPlN2at6native12_GLOBAL__N_18offset_tEEE10hipError_tPvRmT1_PNSt15iterator_traitsISK_E10value_typeET2_T3_PNSL_ISQ_E10value_typeET4_jRbjT5_SW_jjP12ihipStream_tbEUlT_E1_NS1_11comp_targetILNS1_3genE3ELNS1_11target_archE908ELNS1_3gpuE7ELNS1_3repE0EEENS1_59segmented_radix_sort_warp_sort_small_config_static_selectorELNS0_4arch9wavefront6targetE0EEEvSK_,comdat
	.globl	_ZN7rocprim17ROCPRIM_400000_NS6detail17trampoline_kernelINS0_14default_configENS1_36segmented_radix_sort_config_selectorIslEEZNS1_25segmented_radix_sort_implIS3_Lb0EPKsPsPKlPlN2at6native12_GLOBAL__N_18offset_tEEE10hipError_tPvRmT1_PNSt15iterator_traitsISK_E10value_typeET2_T3_PNSL_ISQ_E10value_typeET4_jRbjT5_SW_jjP12ihipStream_tbEUlT_E1_NS1_11comp_targetILNS1_3genE3ELNS1_11target_archE908ELNS1_3gpuE7ELNS1_3repE0EEENS1_59segmented_radix_sort_warp_sort_small_config_static_selectorELNS0_4arch9wavefront6targetE0EEEvSK_ ; -- Begin function _ZN7rocprim17ROCPRIM_400000_NS6detail17trampoline_kernelINS0_14default_configENS1_36segmented_radix_sort_config_selectorIslEEZNS1_25segmented_radix_sort_implIS3_Lb0EPKsPsPKlPlN2at6native12_GLOBAL__N_18offset_tEEE10hipError_tPvRmT1_PNSt15iterator_traitsISK_E10value_typeET2_T3_PNSL_ISQ_E10value_typeET4_jRbjT5_SW_jjP12ihipStream_tbEUlT_E1_NS1_11comp_targetILNS1_3genE3ELNS1_11target_archE908ELNS1_3gpuE7ELNS1_3repE0EEENS1_59segmented_radix_sort_warp_sort_small_config_static_selectorELNS0_4arch9wavefront6targetE0EEEvSK_
	.p2align	8
	.type	_ZN7rocprim17ROCPRIM_400000_NS6detail17trampoline_kernelINS0_14default_configENS1_36segmented_radix_sort_config_selectorIslEEZNS1_25segmented_radix_sort_implIS3_Lb0EPKsPsPKlPlN2at6native12_GLOBAL__N_18offset_tEEE10hipError_tPvRmT1_PNSt15iterator_traitsISK_E10value_typeET2_T3_PNSL_ISQ_E10value_typeET4_jRbjT5_SW_jjP12ihipStream_tbEUlT_E1_NS1_11comp_targetILNS1_3genE3ELNS1_11target_archE908ELNS1_3gpuE7ELNS1_3repE0EEENS1_59segmented_radix_sort_warp_sort_small_config_static_selectorELNS0_4arch9wavefront6targetE0EEEvSK_,@function
_ZN7rocprim17ROCPRIM_400000_NS6detail17trampoline_kernelINS0_14default_configENS1_36segmented_radix_sort_config_selectorIslEEZNS1_25segmented_radix_sort_implIS3_Lb0EPKsPsPKlPlN2at6native12_GLOBAL__N_18offset_tEEE10hipError_tPvRmT1_PNSt15iterator_traitsISK_E10value_typeET2_T3_PNSL_ISQ_E10value_typeET4_jRbjT5_SW_jjP12ihipStream_tbEUlT_E1_NS1_11comp_targetILNS1_3genE3ELNS1_11target_archE908ELNS1_3gpuE7ELNS1_3repE0EEENS1_59segmented_radix_sort_warp_sort_small_config_static_selectorELNS0_4arch9wavefront6targetE0EEEvSK_: ; @_ZN7rocprim17ROCPRIM_400000_NS6detail17trampoline_kernelINS0_14default_configENS1_36segmented_radix_sort_config_selectorIslEEZNS1_25segmented_radix_sort_implIS3_Lb0EPKsPsPKlPlN2at6native12_GLOBAL__N_18offset_tEEE10hipError_tPvRmT1_PNSt15iterator_traitsISK_E10value_typeET2_T3_PNSL_ISQ_E10value_typeET4_jRbjT5_SW_jjP12ihipStream_tbEUlT_E1_NS1_11comp_targetILNS1_3genE3ELNS1_11target_archE908ELNS1_3gpuE7ELNS1_3repE0EEENS1_59segmented_radix_sort_warp_sort_small_config_static_selectorELNS0_4arch9wavefront6targetE0EEEvSK_
; %bb.0:
	.section	.rodata,"a",@progbits
	.p2align	6, 0x0
	.amdhsa_kernel _ZN7rocprim17ROCPRIM_400000_NS6detail17trampoline_kernelINS0_14default_configENS1_36segmented_radix_sort_config_selectorIslEEZNS1_25segmented_radix_sort_implIS3_Lb0EPKsPsPKlPlN2at6native12_GLOBAL__N_18offset_tEEE10hipError_tPvRmT1_PNSt15iterator_traitsISK_E10value_typeET2_T3_PNSL_ISQ_E10value_typeET4_jRbjT5_SW_jjP12ihipStream_tbEUlT_E1_NS1_11comp_targetILNS1_3genE3ELNS1_11target_archE908ELNS1_3gpuE7ELNS1_3repE0EEENS1_59segmented_radix_sort_warp_sort_small_config_static_selectorELNS0_4arch9wavefront6targetE0EEEvSK_
		.amdhsa_group_segment_fixed_size 0
		.amdhsa_private_segment_fixed_size 0
		.amdhsa_kernarg_size 88
		.amdhsa_user_sgpr_count 6
		.amdhsa_user_sgpr_private_segment_buffer 1
		.amdhsa_user_sgpr_dispatch_ptr 0
		.amdhsa_user_sgpr_queue_ptr 0
		.amdhsa_user_sgpr_kernarg_segment_ptr 1
		.amdhsa_user_sgpr_dispatch_id 0
		.amdhsa_user_sgpr_flat_scratch_init 0
		.amdhsa_user_sgpr_private_segment_size 0
		.amdhsa_wavefront_size32 1
		.amdhsa_uses_dynamic_stack 0
		.amdhsa_system_sgpr_private_segment_wavefront_offset 0
		.amdhsa_system_sgpr_workgroup_id_x 1
		.amdhsa_system_sgpr_workgroup_id_y 0
		.amdhsa_system_sgpr_workgroup_id_z 0
		.amdhsa_system_sgpr_workgroup_info 0
		.amdhsa_system_vgpr_workitem_id 0
		.amdhsa_next_free_vgpr 1
		.amdhsa_next_free_sgpr 1
		.amdhsa_reserve_vcc 0
		.amdhsa_reserve_flat_scratch 0
		.amdhsa_float_round_mode_32 0
		.amdhsa_float_round_mode_16_64 0
		.amdhsa_float_denorm_mode_32 3
		.amdhsa_float_denorm_mode_16_64 3
		.amdhsa_dx10_clamp 1
		.amdhsa_ieee_mode 1
		.amdhsa_fp16_overflow 0
		.amdhsa_workgroup_processor_mode 1
		.amdhsa_memory_ordered 1
		.amdhsa_forward_progress 1
		.amdhsa_shared_vgpr_count 0
		.amdhsa_exception_fp_ieee_invalid_op 0
		.amdhsa_exception_fp_denorm_src 0
		.amdhsa_exception_fp_ieee_div_zero 0
		.amdhsa_exception_fp_ieee_overflow 0
		.amdhsa_exception_fp_ieee_underflow 0
		.amdhsa_exception_fp_ieee_inexact 0
		.amdhsa_exception_int_div_zero 0
	.end_amdhsa_kernel
	.section	.text._ZN7rocprim17ROCPRIM_400000_NS6detail17trampoline_kernelINS0_14default_configENS1_36segmented_radix_sort_config_selectorIslEEZNS1_25segmented_radix_sort_implIS3_Lb0EPKsPsPKlPlN2at6native12_GLOBAL__N_18offset_tEEE10hipError_tPvRmT1_PNSt15iterator_traitsISK_E10value_typeET2_T3_PNSL_ISQ_E10value_typeET4_jRbjT5_SW_jjP12ihipStream_tbEUlT_E1_NS1_11comp_targetILNS1_3genE3ELNS1_11target_archE908ELNS1_3gpuE7ELNS1_3repE0EEENS1_59segmented_radix_sort_warp_sort_small_config_static_selectorELNS0_4arch9wavefront6targetE0EEEvSK_,"axG",@progbits,_ZN7rocprim17ROCPRIM_400000_NS6detail17trampoline_kernelINS0_14default_configENS1_36segmented_radix_sort_config_selectorIslEEZNS1_25segmented_radix_sort_implIS3_Lb0EPKsPsPKlPlN2at6native12_GLOBAL__N_18offset_tEEE10hipError_tPvRmT1_PNSt15iterator_traitsISK_E10value_typeET2_T3_PNSL_ISQ_E10value_typeET4_jRbjT5_SW_jjP12ihipStream_tbEUlT_E1_NS1_11comp_targetILNS1_3genE3ELNS1_11target_archE908ELNS1_3gpuE7ELNS1_3repE0EEENS1_59segmented_radix_sort_warp_sort_small_config_static_selectorELNS0_4arch9wavefront6targetE0EEEvSK_,comdat
.Lfunc_end1030:
	.size	_ZN7rocprim17ROCPRIM_400000_NS6detail17trampoline_kernelINS0_14default_configENS1_36segmented_radix_sort_config_selectorIslEEZNS1_25segmented_radix_sort_implIS3_Lb0EPKsPsPKlPlN2at6native12_GLOBAL__N_18offset_tEEE10hipError_tPvRmT1_PNSt15iterator_traitsISK_E10value_typeET2_T3_PNSL_ISQ_E10value_typeET4_jRbjT5_SW_jjP12ihipStream_tbEUlT_E1_NS1_11comp_targetILNS1_3genE3ELNS1_11target_archE908ELNS1_3gpuE7ELNS1_3repE0EEENS1_59segmented_radix_sort_warp_sort_small_config_static_selectorELNS0_4arch9wavefront6targetE0EEEvSK_, .Lfunc_end1030-_ZN7rocprim17ROCPRIM_400000_NS6detail17trampoline_kernelINS0_14default_configENS1_36segmented_radix_sort_config_selectorIslEEZNS1_25segmented_radix_sort_implIS3_Lb0EPKsPsPKlPlN2at6native12_GLOBAL__N_18offset_tEEE10hipError_tPvRmT1_PNSt15iterator_traitsISK_E10value_typeET2_T3_PNSL_ISQ_E10value_typeET4_jRbjT5_SW_jjP12ihipStream_tbEUlT_E1_NS1_11comp_targetILNS1_3genE3ELNS1_11target_archE908ELNS1_3gpuE7ELNS1_3repE0EEENS1_59segmented_radix_sort_warp_sort_small_config_static_selectorELNS0_4arch9wavefront6targetE0EEEvSK_
                                        ; -- End function
	.set _ZN7rocprim17ROCPRIM_400000_NS6detail17trampoline_kernelINS0_14default_configENS1_36segmented_radix_sort_config_selectorIslEEZNS1_25segmented_radix_sort_implIS3_Lb0EPKsPsPKlPlN2at6native12_GLOBAL__N_18offset_tEEE10hipError_tPvRmT1_PNSt15iterator_traitsISK_E10value_typeET2_T3_PNSL_ISQ_E10value_typeET4_jRbjT5_SW_jjP12ihipStream_tbEUlT_E1_NS1_11comp_targetILNS1_3genE3ELNS1_11target_archE908ELNS1_3gpuE7ELNS1_3repE0EEENS1_59segmented_radix_sort_warp_sort_small_config_static_selectorELNS0_4arch9wavefront6targetE0EEEvSK_.num_vgpr, 0
	.set _ZN7rocprim17ROCPRIM_400000_NS6detail17trampoline_kernelINS0_14default_configENS1_36segmented_radix_sort_config_selectorIslEEZNS1_25segmented_radix_sort_implIS3_Lb0EPKsPsPKlPlN2at6native12_GLOBAL__N_18offset_tEEE10hipError_tPvRmT1_PNSt15iterator_traitsISK_E10value_typeET2_T3_PNSL_ISQ_E10value_typeET4_jRbjT5_SW_jjP12ihipStream_tbEUlT_E1_NS1_11comp_targetILNS1_3genE3ELNS1_11target_archE908ELNS1_3gpuE7ELNS1_3repE0EEENS1_59segmented_radix_sort_warp_sort_small_config_static_selectorELNS0_4arch9wavefront6targetE0EEEvSK_.num_agpr, 0
	.set _ZN7rocprim17ROCPRIM_400000_NS6detail17trampoline_kernelINS0_14default_configENS1_36segmented_radix_sort_config_selectorIslEEZNS1_25segmented_radix_sort_implIS3_Lb0EPKsPsPKlPlN2at6native12_GLOBAL__N_18offset_tEEE10hipError_tPvRmT1_PNSt15iterator_traitsISK_E10value_typeET2_T3_PNSL_ISQ_E10value_typeET4_jRbjT5_SW_jjP12ihipStream_tbEUlT_E1_NS1_11comp_targetILNS1_3genE3ELNS1_11target_archE908ELNS1_3gpuE7ELNS1_3repE0EEENS1_59segmented_radix_sort_warp_sort_small_config_static_selectorELNS0_4arch9wavefront6targetE0EEEvSK_.numbered_sgpr, 0
	.set _ZN7rocprim17ROCPRIM_400000_NS6detail17trampoline_kernelINS0_14default_configENS1_36segmented_radix_sort_config_selectorIslEEZNS1_25segmented_radix_sort_implIS3_Lb0EPKsPsPKlPlN2at6native12_GLOBAL__N_18offset_tEEE10hipError_tPvRmT1_PNSt15iterator_traitsISK_E10value_typeET2_T3_PNSL_ISQ_E10value_typeET4_jRbjT5_SW_jjP12ihipStream_tbEUlT_E1_NS1_11comp_targetILNS1_3genE3ELNS1_11target_archE908ELNS1_3gpuE7ELNS1_3repE0EEENS1_59segmented_radix_sort_warp_sort_small_config_static_selectorELNS0_4arch9wavefront6targetE0EEEvSK_.num_named_barrier, 0
	.set _ZN7rocprim17ROCPRIM_400000_NS6detail17trampoline_kernelINS0_14default_configENS1_36segmented_radix_sort_config_selectorIslEEZNS1_25segmented_radix_sort_implIS3_Lb0EPKsPsPKlPlN2at6native12_GLOBAL__N_18offset_tEEE10hipError_tPvRmT1_PNSt15iterator_traitsISK_E10value_typeET2_T3_PNSL_ISQ_E10value_typeET4_jRbjT5_SW_jjP12ihipStream_tbEUlT_E1_NS1_11comp_targetILNS1_3genE3ELNS1_11target_archE908ELNS1_3gpuE7ELNS1_3repE0EEENS1_59segmented_radix_sort_warp_sort_small_config_static_selectorELNS0_4arch9wavefront6targetE0EEEvSK_.private_seg_size, 0
	.set _ZN7rocprim17ROCPRIM_400000_NS6detail17trampoline_kernelINS0_14default_configENS1_36segmented_radix_sort_config_selectorIslEEZNS1_25segmented_radix_sort_implIS3_Lb0EPKsPsPKlPlN2at6native12_GLOBAL__N_18offset_tEEE10hipError_tPvRmT1_PNSt15iterator_traitsISK_E10value_typeET2_T3_PNSL_ISQ_E10value_typeET4_jRbjT5_SW_jjP12ihipStream_tbEUlT_E1_NS1_11comp_targetILNS1_3genE3ELNS1_11target_archE908ELNS1_3gpuE7ELNS1_3repE0EEENS1_59segmented_radix_sort_warp_sort_small_config_static_selectorELNS0_4arch9wavefront6targetE0EEEvSK_.uses_vcc, 0
	.set _ZN7rocprim17ROCPRIM_400000_NS6detail17trampoline_kernelINS0_14default_configENS1_36segmented_radix_sort_config_selectorIslEEZNS1_25segmented_radix_sort_implIS3_Lb0EPKsPsPKlPlN2at6native12_GLOBAL__N_18offset_tEEE10hipError_tPvRmT1_PNSt15iterator_traitsISK_E10value_typeET2_T3_PNSL_ISQ_E10value_typeET4_jRbjT5_SW_jjP12ihipStream_tbEUlT_E1_NS1_11comp_targetILNS1_3genE3ELNS1_11target_archE908ELNS1_3gpuE7ELNS1_3repE0EEENS1_59segmented_radix_sort_warp_sort_small_config_static_selectorELNS0_4arch9wavefront6targetE0EEEvSK_.uses_flat_scratch, 0
	.set _ZN7rocprim17ROCPRIM_400000_NS6detail17trampoline_kernelINS0_14default_configENS1_36segmented_radix_sort_config_selectorIslEEZNS1_25segmented_radix_sort_implIS3_Lb0EPKsPsPKlPlN2at6native12_GLOBAL__N_18offset_tEEE10hipError_tPvRmT1_PNSt15iterator_traitsISK_E10value_typeET2_T3_PNSL_ISQ_E10value_typeET4_jRbjT5_SW_jjP12ihipStream_tbEUlT_E1_NS1_11comp_targetILNS1_3genE3ELNS1_11target_archE908ELNS1_3gpuE7ELNS1_3repE0EEENS1_59segmented_radix_sort_warp_sort_small_config_static_selectorELNS0_4arch9wavefront6targetE0EEEvSK_.has_dyn_sized_stack, 0
	.set _ZN7rocprim17ROCPRIM_400000_NS6detail17trampoline_kernelINS0_14default_configENS1_36segmented_radix_sort_config_selectorIslEEZNS1_25segmented_radix_sort_implIS3_Lb0EPKsPsPKlPlN2at6native12_GLOBAL__N_18offset_tEEE10hipError_tPvRmT1_PNSt15iterator_traitsISK_E10value_typeET2_T3_PNSL_ISQ_E10value_typeET4_jRbjT5_SW_jjP12ihipStream_tbEUlT_E1_NS1_11comp_targetILNS1_3genE3ELNS1_11target_archE908ELNS1_3gpuE7ELNS1_3repE0EEENS1_59segmented_radix_sort_warp_sort_small_config_static_selectorELNS0_4arch9wavefront6targetE0EEEvSK_.has_recursion, 0
	.set _ZN7rocprim17ROCPRIM_400000_NS6detail17trampoline_kernelINS0_14default_configENS1_36segmented_radix_sort_config_selectorIslEEZNS1_25segmented_radix_sort_implIS3_Lb0EPKsPsPKlPlN2at6native12_GLOBAL__N_18offset_tEEE10hipError_tPvRmT1_PNSt15iterator_traitsISK_E10value_typeET2_T3_PNSL_ISQ_E10value_typeET4_jRbjT5_SW_jjP12ihipStream_tbEUlT_E1_NS1_11comp_targetILNS1_3genE3ELNS1_11target_archE908ELNS1_3gpuE7ELNS1_3repE0EEENS1_59segmented_radix_sort_warp_sort_small_config_static_selectorELNS0_4arch9wavefront6targetE0EEEvSK_.has_indirect_call, 0
	.section	.AMDGPU.csdata,"",@progbits
; Kernel info:
; codeLenInByte = 0
; TotalNumSgprs: 0
; NumVgprs: 0
; ScratchSize: 0
; MemoryBound: 0
; FloatMode: 240
; IeeeMode: 1
; LDSByteSize: 0 bytes/workgroup (compile time only)
; SGPRBlocks: 0
; VGPRBlocks: 0
; NumSGPRsForWavesPerEU: 1
; NumVGPRsForWavesPerEU: 1
; Occupancy: 16
; WaveLimiterHint : 0
; COMPUTE_PGM_RSRC2:SCRATCH_EN: 0
; COMPUTE_PGM_RSRC2:USER_SGPR: 6
; COMPUTE_PGM_RSRC2:TRAP_HANDLER: 0
; COMPUTE_PGM_RSRC2:TGID_X_EN: 1
; COMPUTE_PGM_RSRC2:TGID_Y_EN: 0
; COMPUTE_PGM_RSRC2:TGID_Z_EN: 0
; COMPUTE_PGM_RSRC2:TIDIG_COMP_CNT: 0
	.section	.text._ZN7rocprim17ROCPRIM_400000_NS6detail17trampoline_kernelINS0_14default_configENS1_36segmented_radix_sort_config_selectorIslEEZNS1_25segmented_radix_sort_implIS3_Lb0EPKsPsPKlPlN2at6native12_GLOBAL__N_18offset_tEEE10hipError_tPvRmT1_PNSt15iterator_traitsISK_E10value_typeET2_T3_PNSL_ISQ_E10value_typeET4_jRbjT5_SW_jjP12ihipStream_tbEUlT_E1_NS1_11comp_targetILNS1_3genE2ELNS1_11target_archE906ELNS1_3gpuE6ELNS1_3repE0EEENS1_59segmented_radix_sort_warp_sort_small_config_static_selectorELNS0_4arch9wavefront6targetE0EEEvSK_,"axG",@progbits,_ZN7rocprim17ROCPRIM_400000_NS6detail17trampoline_kernelINS0_14default_configENS1_36segmented_radix_sort_config_selectorIslEEZNS1_25segmented_radix_sort_implIS3_Lb0EPKsPsPKlPlN2at6native12_GLOBAL__N_18offset_tEEE10hipError_tPvRmT1_PNSt15iterator_traitsISK_E10value_typeET2_T3_PNSL_ISQ_E10value_typeET4_jRbjT5_SW_jjP12ihipStream_tbEUlT_E1_NS1_11comp_targetILNS1_3genE2ELNS1_11target_archE906ELNS1_3gpuE6ELNS1_3repE0EEENS1_59segmented_radix_sort_warp_sort_small_config_static_selectorELNS0_4arch9wavefront6targetE0EEEvSK_,comdat
	.globl	_ZN7rocprim17ROCPRIM_400000_NS6detail17trampoline_kernelINS0_14default_configENS1_36segmented_radix_sort_config_selectorIslEEZNS1_25segmented_radix_sort_implIS3_Lb0EPKsPsPKlPlN2at6native12_GLOBAL__N_18offset_tEEE10hipError_tPvRmT1_PNSt15iterator_traitsISK_E10value_typeET2_T3_PNSL_ISQ_E10value_typeET4_jRbjT5_SW_jjP12ihipStream_tbEUlT_E1_NS1_11comp_targetILNS1_3genE2ELNS1_11target_archE906ELNS1_3gpuE6ELNS1_3repE0EEENS1_59segmented_radix_sort_warp_sort_small_config_static_selectorELNS0_4arch9wavefront6targetE0EEEvSK_ ; -- Begin function _ZN7rocprim17ROCPRIM_400000_NS6detail17trampoline_kernelINS0_14default_configENS1_36segmented_radix_sort_config_selectorIslEEZNS1_25segmented_radix_sort_implIS3_Lb0EPKsPsPKlPlN2at6native12_GLOBAL__N_18offset_tEEE10hipError_tPvRmT1_PNSt15iterator_traitsISK_E10value_typeET2_T3_PNSL_ISQ_E10value_typeET4_jRbjT5_SW_jjP12ihipStream_tbEUlT_E1_NS1_11comp_targetILNS1_3genE2ELNS1_11target_archE906ELNS1_3gpuE6ELNS1_3repE0EEENS1_59segmented_radix_sort_warp_sort_small_config_static_selectorELNS0_4arch9wavefront6targetE0EEEvSK_
	.p2align	8
	.type	_ZN7rocprim17ROCPRIM_400000_NS6detail17trampoline_kernelINS0_14default_configENS1_36segmented_radix_sort_config_selectorIslEEZNS1_25segmented_radix_sort_implIS3_Lb0EPKsPsPKlPlN2at6native12_GLOBAL__N_18offset_tEEE10hipError_tPvRmT1_PNSt15iterator_traitsISK_E10value_typeET2_T3_PNSL_ISQ_E10value_typeET4_jRbjT5_SW_jjP12ihipStream_tbEUlT_E1_NS1_11comp_targetILNS1_3genE2ELNS1_11target_archE906ELNS1_3gpuE6ELNS1_3repE0EEENS1_59segmented_radix_sort_warp_sort_small_config_static_selectorELNS0_4arch9wavefront6targetE0EEEvSK_,@function
_ZN7rocprim17ROCPRIM_400000_NS6detail17trampoline_kernelINS0_14default_configENS1_36segmented_radix_sort_config_selectorIslEEZNS1_25segmented_radix_sort_implIS3_Lb0EPKsPsPKlPlN2at6native12_GLOBAL__N_18offset_tEEE10hipError_tPvRmT1_PNSt15iterator_traitsISK_E10value_typeET2_T3_PNSL_ISQ_E10value_typeET4_jRbjT5_SW_jjP12ihipStream_tbEUlT_E1_NS1_11comp_targetILNS1_3genE2ELNS1_11target_archE906ELNS1_3gpuE6ELNS1_3repE0EEENS1_59segmented_radix_sort_warp_sort_small_config_static_selectorELNS0_4arch9wavefront6targetE0EEEvSK_: ; @_ZN7rocprim17ROCPRIM_400000_NS6detail17trampoline_kernelINS0_14default_configENS1_36segmented_radix_sort_config_selectorIslEEZNS1_25segmented_radix_sort_implIS3_Lb0EPKsPsPKlPlN2at6native12_GLOBAL__N_18offset_tEEE10hipError_tPvRmT1_PNSt15iterator_traitsISK_E10value_typeET2_T3_PNSL_ISQ_E10value_typeET4_jRbjT5_SW_jjP12ihipStream_tbEUlT_E1_NS1_11comp_targetILNS1_3genE2ELNS1_11target_archE906ELNS1_3gpuE6ELNS1_3repE0EEENS1_59segmented_radix_sort_warp_sort_small_config_static_selectorELNS0_4arch9wavefront6targetE0EEEvSK_
; %bb.0:
	.section	.rodata,"a",@progbits
	.p2align	6, 0x0
	.amdhsa_kernel _ZN7rocprim17ROCPRIM_400000_NS6detail17trampoline_kernelINS0_14default_configENS1_36segmented_radix_sort_config_selectorIslEEZNS1_25segmented_radix_sort_implIS3_Lb0EPKsPsPKlPlN2at6native12_GLOBAL__N_18offset_tEEE10hipError_tPvRmT1_PNSt15iterator_traitsISK_E10value_typeET2_T3_PNSL_ISQ_E10value_typeET4_jRbjT5_SW_jjP12ihipStream_tbEUlT_E1_NS1_11comp_targetILNS1_3genE2ELNS1_11target_archE906ELNS1_3gpuE6ELNS1_3repE0EEENS1_59segmented_radix_sort_warp_sort_small_config_static_selectorELNS0_4arch9wavefront6targetE0EEEvSK_
		.amdhsa_group_segment_fixed_size 0
		.amdhsa_private_segment_fixed_size 0
		.amdhsa_kernarg_size 88
		.amdhsa_user_sgpr_count 6
		.amdhsa_user_sgpr_private_segment_buffer 1
		.amdhsa_user_sgpr_dispatch_ptr 0
		.amdhsa_user_sgpr_queue_ptr 0
		.amdhsa_user_sgpr_kernarg_segment_ptr 1
		.amdhsa_user_sgpr_dispatch_id 0
		.amdhsa_user_sgpr_flat_scratch_init 0
		.amdhsa_user_sgpr_private_segment_size 0
		.amdhsa_wavefront_size32 1
		.amdhsa_uses_dynamic_stack 0
		.amdhsa_system_sgpr_private_segment_wavefront_offset 0
		.amdhsa_system_sgpr_workgroup_id_x 1
		.amdhsa_system_sgpr_workgroup_id_y 0
		.amdhsa_system_sgpr_workgroup_id_z 0
		.amdhsa_system_sgpr_workgroup_info 0
		.amdhsa_system_vgpr_workitem_id 0
		.amdhsa_next_free_vgpr 1
		.amdhsa_next_free_sgpr 1
		.amdhsa_reserve_vcc 0
		.amdhsa_reserve_flat_scratch 0
		.amdhsa_float_round_mode_32 0
		.amdhsa_float_round_mode_16_64 0
		.amdhsa_float_denorm_mode_32 3
		.amdhsa_float_denorm_mode_16_64 3
		.amdhsa_dx10_clamp 1
		.amdhsa_ieee_mode 1
		.amdhsa_fp16_overflow 0
		.amdhsa_workgroup_processor_mode 1
		.amdhsa_memory_ordered 1
		.amdhsa_forward_progress 1
		.amdhsa_shared_vgpr_count 0
		.amdhsa_exception_fp_ieee_invalid_op 0
		.amdhsa_exception_fp_denorm_src 0
		.amdhsa_exception_fp_ieee_div_zero 0
		.amdhsa_exception_fp_ieee_overflow 0
		.amdhsa_exception_fp_ieee_underflow 0
		.amdhsa_exception_fp_ieee_inexact 0
		.amdhsa_exception_int_div_zero 0
	.end_amdhsa_kernel
	.section	.text._ZN7rocprim17ROCPRIM_400000_NS6detail17trampoline_kernelINS0_14default_configENS1_36segmented_radix_sort_config_selectorIslEEZNS1_25segmented_radix_sort_implIS3_Lb0EPKsPsPKlPlN2at6native12_GLOBAL__N_18offset_tEEE10hipError_tPvRmT1_PNSt15iterator_traitsISK_E10value_typeET2_T3_PNSL_ISQ_E10value_typeET4_jRbjT5_SW_jjP12ihipStream_tbEUlT_E1_NS1_11comp_targetILNS1_3genE2ELNS1_11target_archE906ELNS1_3gpuE6ELNS1_3repE0EEENS1_59segmented_radix_sort_warp_sort_small_config_static_selectorELNS0_4arch9wavefront6targetE0EEEvSK_,"axG",@progbits,_ZN7rocprim17ROCPRIM_400000_NS6detail17trampoline_kernelINS0_14default_configENS1_36segmented_radix_sort_config_selectorIslEEZNS1_25segmented_radix_sort_implIS3_Lb0EPKsPsPKlPlN2at6native12_GLOBAL__N_18offset_tEEE10hipError_tPvRmT1_PNSt15iterator_traitsISK_E10value_typeET2_T3_PNSL_ISQ_E10value_typeET4_jRbjT5_SW_jjP12ihipStream_tbEUlT_E1_NS1_11comp_targetILNS1_3genE2ELNS1_11target_archE906ELNS1_3gpuE6ELNS1_3repE0EEENS1_59segmented_radix_sort_warp_sort_small_config_static_selectorELNS0_4arch9wavefront6targetE0EEEvSK_,comdat
.Lfunc_end1031:
	.size	_ZN7rocprim17ROCPRIM_400000_NS6detail17trampoline_kernelINS0_14default_configENS1_36segmented_radix_sort_config_selectorIslEEZNS1_25segmented_radix_sort_implIS3_Lb0EPKsPsPKlPlN2at6native12_GLOBAL__N_18offset_tEEE10hipError_tPvRmT1_PNSt15iterator_traitsISK_E10value_typeET2_T3_PNSL_ISQ_E10value_typeET4_jRbjT5_SW_jjP12ihipStream_tbEUlT_E1_NS1_11comp_targetILNS1_3genE2ELNS1_11target_archE906ELNS1_3gpuE6ELNS1_3repE0EEENS1_59segmented_radix_sort_warp_sort_small_config_static_selectorELNS0_4arch9wavefront6targetE0EEEvSK_, .Lfunc_end1031-_ZN7rocprim17ROCPRIM_400000_NS6detail17trampoline_kernelINS0_14default_configENS1_36segmented_radix_sort_config_selectorIslEEZNS1_25segmented_radix_sort_implIS3_Lb0EPKsPsPKlPlN2at6native12_GLOBAL__N_18offset_tEEE10hipError_tPvRmT1_PNSt15iterator_traitsISK_E10value_typeET2_T3_PNSL_ISQ_E10value_typeET4_jRbjT5_SW_jjP12ihipStream_tbEUlT_E1_NS1_11comp_targetILNS1_3genE2ELNS1_11target_archE906ELNS1_3gpuE6ELNS1_3repE0EEENS1_59segmented_radix_sort_warp_sort_small_config_static_selectorELNS0_4arch9wavefront6targetE0EEEvSK_
                                        ; -- End function
	.set _ZN7rocprim17ROCPRIM_400000_NS6detail17trampoline_kernelINS0_14default_configENS1_36segmented_radix_sort_config_selectorIslEEZNS1_25segmented_radix_sort_implIS3_Lb0EPKsPsPKlPlN2at6native12_GLOBAL__N_18offset_tEEE10hipError_tPvRmT1_PNSt15iterator_traitsISK_E10value_typeET2_T3_PNSL_ISQ_E10value_typeET4_jRbjT5_SW_jjP12ihipStream_tbEUlT_E1_NS1_11comp_targetILNS1_3genE2ELNS1_11target_archE906ELNS1_3gpuE6ELNS1_3repE0EEENS1_59segmented_radix_sort_warp_sort_small_config_static_selectorELNS0_4arch9wavefront6targetE0EEEvSK_.num_vgpr, 0
	.set _ZN7rocprim17ROCPRIM_400000_NS6detail17trampoline_kernelINS0_14default_configENS1_36segmented_radix_sort_config_selectorIslEEZNS1_25segmented_radix_sort_implIS3_Lb0EPKsPsPKlPlN2at6native12_GLOBAL__N_18offset_tEEE10hipError_tPvRmT1_PNSt15iterator_traitsISK_E10value_typeET2_T3_PNSL_ISQ_E10value_typeET4_jRbjT5_SW_jjP12ihipStream_tbEUlT_E1_NS1_11comp_targetILNS1_3genE2ELNS1_11target_archE906ELNS1_3gpuE6ELNS1_3repE0EEENS1_59segmented_radix_sort_warp_sort_small_config_static_selectorELNS0_4arch9wavefront6targetE0EEEvSK_.num_agpr, 0
	.set _ZN7rocprim17ROCPRIM_400000_NS6detail17trampoline_kernelINS0_14default_configENS1_36segmented_radix_sort_config_selectorIslEEZNS1_25segmented_radix_sort_implIS3_Lb0EPKsPsPKlPlN2at6native12_GLOBAL__N_18offset_tEEE10hipError_tPvRmT1_PNSt15iterator_traitsISK_E10value_typeET2_T3_PNSL_ISQ_E10value_typeET4_jRbjT5_SW_jjP12ihipStream_tbEUlT_E1_NS1_11comp_targetILNS1_3genE2ELNS1_11target_archE906ELNS1_3gpuE6ELNS1_3repE0EEENS1_59segmented_radix_sort_warp_sort_small_config_static_selectorELNS0_4arch9wavefront6targetE0EEEvSK_.numbered_sgpr, 0
	.set _ZN7rocprim17ROCPRIM_400000_NS6detail17trampoline_kernelINS0_14default_configENS1_36segmented_radix_sort_config_selectorIslEEZNS1_25segmented_radix_sort_implIS3_Lb0EPKsPsPKlPlN2at6native12_GLOBAL__N_18offset_tEEE10hipError_tPvRmT1_PNSt15iterator_traitsISK_E10value_typeET2_T3_PNSL_ISQ_E10value_typeET4_jRbjT5_SW_jjP12ihipStream_tbEUlT_E1_NS1_11comp_targetILNS1_3genE2ELNS1_11target_archE906ELNS1_3gpuE6ELNS1_3repE0EEENS1_59segmented_radix_sort_warp_sort_small_config_static_selectorELNS0_4arch9wavefront6targetE0EEEvSK_.num_named_barrier, 0
	.set _ZN7rocprim17ROCPRIM_400000_NS6detail17trampoline_kernelINS0_14default_configENS1_36segmented_radix_sort_config_selectorIslEEZNS1_25segmented_radix_sort_implIS3_Lb0EPKsPsPKlPlN2at6native12_GLOBAL__N_18offset_tEEE10hipError_tPvRmT1_PNSt15iterator_traitsISK_E10value_typeET2_T3_PNSL_ISQ_E10value_typeET4_jRbjT5_SW_jjP12ihipStream_tbEUlT_E1_NS1_11comp_targetILNS1_3genE2ELNS1_11target_archE906ELNS1_3gpuE6ELNS1_3repE0EEENS1_59segmented_radix_sort_warp_sort_small_config_static_selectorELNS0_4arch9wavefront6targetE0EEEvSK_.private_seg_size, 0
	.set _ZN7rocprim17ROCPRIM_400000_NS6detail17trampoline_kernelINS0_14default_configENS1_36segmented_radix_sort_config_selectorIslEEZNS1_25segmented_radix_sort_implIS3_Lb0EPKsPsPKlPlN2at6native12_GLOBAL__N_18offset_tEEE10hipError_tPvRmT1_PNSt15iterator_traitsISK_E10value_typeET2_T3_PNSL_ISQ_E10value_typeET4_jRbjT5_SW_jjP12ihipStream_tbEUlT_E1_NS1_11comp_targetILNS1_3genE2ELNS1_11target_archE906ELNS1_3gpuE6ELNS1_3repE0EEENS1_59segmented_radix_sort_warp_sort_small_config_static_selectorELNS0_4arch9wavefront6targetE0EEEvSK_.uses_vcc, 0
	.set _ZN7rocprim17ROCPRIM_400000_NS6detail17trampoline_kernelINS0_14default_configENS1_36segmented_radix_sort_config_selectorIslEEZNS1_25segmented_radix_sort_implIS3_Lb0EPKsPsPKlPlN2at6native12_GLOBAL__N_18offset_tEEE10hipError_tPvRmT1_PNSt15iterator_traitsISK_E10value_typeET2_T3_PNSL_ISQ_E10value_typeET4_jRbjT5_SW_jjP12ihipStream_tbEUlT_E1_NS1_11comp_targetILNS1_3genE2ELNS1_11target_archE906ELNS1_3gpuE6ELNS1_3repE0EEENS1_59segmented_radix_sort_warp_sort_small_config_static_selectorELNS0_4arch9wavefront6targetE0EEEvSK_.uses_flat_scratch, 0
	.set _ZN7rocprim17ROCPRIM_400000_NS6detail17trampoline_kernelINS0_14default_configENS1_36segmented_radix_sort_config_selectorIslEEZNS1_25segmented_radix_sort_implIS3_Lb0EPKsPsPKlPlN2at6native12_GLOBAL__N_18offset_tEEE10hipError_tPvRmT1_PNSt15iterator_traitsISK_E10value_typeET2_T3_PNSL_ISQ_E10value_typeET4_jRbjT5_SW_jjP12ihipStream_tbEUlT_E1_NS1_11comp_targetILNS1_3genE2ELNS1_11target_archE906ELNS1_3gpuE6ELNS1_3repE0EEENS1_59segmented_radix_sort_warp_sort_small_config_static_selectorELNS0_4arch9wavefront6targetE0EEEvSK_.has_dyn_sized_stack, 0
	.set _ZN7rocprim17ROCPRIM_400000_NS6detail17trampoline_kernelINS0_14default_configENS1_36segmented_radix_sort_config_selectorIslEEZNS1_25segmented_radix_sort_implIS3_Lb0EPKsPsPKlPlN2at6native12_GLOBAL__N_18offset_tEEE10hipError_tPvRmT1_PNSt15iterator_traitsISK_E10value_typeET2_T3_PNSL_ISQ_E10value_typeET4_jRbjT5_SW_jjP12ihipStream_tbEUlT_E1_NS1_11comp_targetILNS1_3genE2ELNS1_11target_archE906ELNS1_3gpuE6ELNS1_3repE0EEENS1_59segmented_radix_sort_warp_sort_small_config_static_selectorELNS0_4arch9wavefront6targetE0EEEvSK_.has_recursion, 0
	.set _ZN7rocprim17ROCPRIM_400000_NS6detail17trampoline_kernelINS0_14default_configENS1_36segmented_radix_sort_config_selectorIslEEZNS1_25segmented_radix_sort_implIS3_Lb0EPKsPsPKlPlN2at6native12_GLOBAL__N_18offset_tEEE10hipError_tPvRmT1_PNSt15iterator_traitsISK_E10value_typeET2_T3_PNSL_ISQ_E10value_typeET4_jRbjT5_SW_jjP12ihipStream_tbEUlT_E1_NS1_11comp_targetILNS1_3genE2ELNS1_11target_archE906ELNS1_3gpuE6ELNS1_3repE0EEENS1_59segmented_radix_sort_warp_sort_small_config_static_selectorELNS0_4arch9wavefront6targetE0EEEvSK_.has_indirect_call, 0
	.section	.AMDGPU.csdata,"",@progbits
; Kernel info:
; codeLenInByte = 0
; TotalNumSgprs: 0
; NumVgprs: 0
; ScratchSize: 0
; MemoryBound: 0
; FloatMode: 240
; IeeeMode: 1
; LDSByteSize: 0 bytes/workgroup (compile time only)
; SGPRBlocks: 0
; VGPRBlocks: 0
; NumSGPRsForWavesPerEU: 1
; NumVGPRsForWavesPerEU: 1
; Occupancy: 16
; WaveLimiterHint : 0
; COMPUTE_PGM_RSRC2:SCRATCH_EN: 0
; COMPUTE_PGM_RSRC2:USER_SGPR: 6
; COMPUTE_PGM_RSRC2:TRAP_HANDLER: 0
; COMPUTE_PGM_RSRC2:TGID_X_EN: 1
; COMPUTE_PGM_RSRC2:TGID_Y_EN: 0
; COMPUTE_PGM_RSRC2:TGID_Z_EN: 0
; COMPUTE_PGM_RSRC2:TIDIG_COMP_CNT: 0
	.section	.text._ZN7rocprim17ROCPRIM_400000_NS6detail17trampoline_kernelINS0_14default_configENS1_36segmented_radix_sort_config_selectorIslEEZNS1_25segmented_radix_sort_implIS3_Lb0EPKsPsPKlPlN2at6native12_GLOBAL__N_18offset_tEEE10hipError_tPvRmT1_PNSt15iterator_traitsISK_E10value_typeET2_T3_PNSL_ISQ_E10value_typeET4_jRbjT5_SW_jjP12ihipStream_tbEUlT_E1_NS1_11comp_targetILNS1_3genE10ELNS1_11target_archE1201ELNS1_3gpuE5ELNS1_3repE0EEENS1_59segmented_radix_sort_warp_sort_small_config_static_selectorELNS0_4arch9wavefront6targetE0EEEvSK_,"axG",@progbits,_ZN7rocprim17ROCPRIM_400000_NS6detail17trampoline_kernelINS0_14default_configENS1_36segmented_radix_sort_config_selectorIslEEZNS1_25segmented_radix_sort_implIS3_Lb0EPKsPsPKlPlN2at6native12_GLOBAL__N_18offset_tEEE10hipError_tPvRmT1_PNSt15iterator_traitsISK_E10value_typeET2_T3_PNSL_ISQ_E10value_typeET4_jRbjT5_SW_jjP12ihipStream_tbEUlT_E1_NS1_11comp_targetILNS1_3genE10ELNS1_11target_archE1201ELNS1_3gpuE5ELNS1_3repE0EEENS1_59segmented_radix_sort_warp_sort_small_config_static_selectorELNS0_4arch9wavefront6targetE0EEEvSK_,comdat
	.globl	_ZN7rocprim17ROCPRIM_400000_NS6detail17trampoline_kernelINS0_14default_configENS1_36segmented_radix_sort_config_selectorIslEEZNS1_25segmented_radix_sort_implIS3_Lb0EPKsPsPKlPlN2at6native12_GLOBAL__N_18offset_tEEE10hipError_tPvRmT1_PNSt15iterator_traitsISK_E10value_typeET2_T3_PNSL_ISQ_E10value_typeET4_jRbjT5_SW_jjP12ihipStream_tbEUlT_E1_NS1_11comp_targetILNS1_3genE10ELNS1_11target_archE1201ELNS1_3gpuE5ELNS1_3repE0EEENS1_59segmented_radix_sort_warp_sort_small_config_static_selectorELNS0_4arch9wavefront6targetE0EEEvSK_ ; -- Begin function _ZN7rocprim17ROCPRIM_400000_NS6detail17trampoline_kernelINS0_14default_configENS1_36segmented_radix_sort_config_selectorIslEEZNS1_25segmented_radix_sort_implIS3_Lb0EPKsPsPKlPlN2at6native12_GLOBAL__N_18offset_tEEE10hipError_tPvRmT1_PNSt15iterator_traitsISK_E10value_typeET2_T3_PNSL_ISQ_E10value_typeET4_jRbjT5_SW_jjP12ihipStream_tbEUlT_E1_NS1_11comp_targetILNS1_3genE10ELNS1_11target_archE1201ELNS1_3gpuE5ELNS1_3repE0EEENS1_59segmented_radix_sort_warp_sort_small_config_static_selectorELNS0_4arch9wavefront6targetE0EEEvSK_
	.p2align	8
	.type	_ZN7rocprim17ROCPRIM_400000_NS6detail17trampoline_kernelINS0_14default_configENS1_36segmented_radix_sort_config_selectorIslEEZNS1_25segmented_radix_sort_implIS3_Lb0EPKsPsPKlPlN2at6native12_GLOBAL__N_18offset_tEEE10hipError_tPvRmT1_PNSt15iterator_traitsISK_E10value_typeET2_T3_PNSL_ISQ_E10value_typeET4_jRbjT5_SW_jjP12ihipStream_tbEUlT_E1_NS1_11comp_targetILNS1_3genE10ELNS1_11target_archE1201ELNS1_3gpuE5ELNS1_3repE0EEENS1_59segmented_radix_sort_warp_sort_small_config_static_selectorELNS0_4arch9wavefront6targetE0EEEvSK_,@function
_ZN7rocprim17ROCPRIM_400000_NS6detail17trampoline_kernelINS0_14default_configENS1_36segmented_radix_sort_config_selectorIslEEZNS1_25segmented_radix_sort_implIS3_Lb0EPKsPsPKlPlN2at6native12_GLOBAL__N_18offset_tEEE10hipError_tPvRmT1_PNSt15iterator_traitsISK_E10value_typeET2_T3_PNSL_ISQ_E10value_typeET4_jRbjT5_SW_jjP12ihipStream_tbEUlT_E1_NS1_11comp_targetILNS1_3genE10ELNS1_11target_archE1201ELNS1_3gpuE5ELNS1_3repE0EEENS1_59segmented_radix_sort_warp_sort_small_config_static_selectorELNS0_4arch9wavefront6targetE0EEEvSK_: ; @_ZN7rocprim17ROCPRIM_400000_NS6detail17trampoline_kernelINS0_14default_configENS1_36segmented_radix_sort_config_selectorIslEEZNS1_25segmented_radix_sort_implIS3_Lb0EPKsPsPKlPlN2at6native12_GLOBAL__N_18offset_tEEE10hipError_tPvRmT1_PNSt15iterator_traitsISK_E10value_typeET2_T3_PNSL_ISQ_E10value_typeET4_jRbjT5_SW_jjP12ihipStream_tbEUlT_E1_NS1_11comp_targetILNS1_3genE10ELNS1_11target_archE1201ELNS1_3gpuE5ELNS1_3repE0EEENS1_59segmented_radix_sort_warp_sort_small_config_static_selectorELNS0_4arch9wavefront6targetE0EEEvSK_
; %bb.0:
	.section	.rodata,"a",@progbits
	.p2align	6, 0x0
	.amdhsa_kernel _ZN7rocprim17ROCPRIM_400000_NS6detail17trampoline_kernelINS0_14default_configENS1_36segmented_radix_sort_config_selectorIslEEZNS1_25segmented_radix_sort_implIS3_Lb0EPKsPsPKlPlN2at6native12_GLOBAL__N_18offset_tEEE10hipError_tPvRmT1_PNSt15iterator_traitsISK_E10value_typeET2_T3_PNSL_ISQ_E10value_typeET4_jRbjT5_SW_jjP12ihipStream_tbEUlT_E1_NS1_11comp_targetILNS1_3genE10ELNS1_11target_archE1201ELNS1_3gpuE5ELNS1_3repE0EEENS1_59segmented_radix_sort_warp_sort_small_config_static_selectorELNS0_4arch9wavefront6targetE0EEEvSK_
		.amdhsa_group_segment_fixed_size 0
		.amdhsa_private_segment_fixed_size 0
		.amdhsa_kernarg_size 88
		.amdhsa_user_sgpr_count 6
		.amdhsa_user_sgpr_private_segment_buffer 1
		.amdhsa_user_sgpr_dispatch_ptr 0
		.amdhsa_user_sgpr_queue_ptr 0
		.amdhsa_user_sgpr_kernarg_segment_ptr 1
		.amdhsa_user_sgpr_dispatch_id 0
		.amdhsa_user_sgpr_flat_scratch_init 0
		.amdhsa_user_sgpr_private_segment_size 0
		.amdhsa_wavefront_size32 1
		.amdhsa_uses_dynamic_stack 0
		.amdhsa_system_sgpr_private_segment_wavefront_offset 0
		.amdhsa_system_sgpr_workgroup_id_x 1
		.amdhsa_system_sgpr_workgroup_id_y 0
		.amdhsa_system_sgpr_workgroup_id_z 0
		.amdhsa_system_sgpr_workgroup_info 0
		.amdhsa_system_vgpr_workitem_id 0
		.amdhsa_next_free_vgpr 1
		.amdhsa_next_free_sgpr 1
		.amdhsa_reserve_vcc 0
		.amdhsa_reserve_flat_scratch 0
		.amdhsa_float_round_mode_32 0
		.amdhsa_float_round_mode_16_64 0
		.amdhsa_float_denorm_mode_32 3
		.amdhsa_float_denorm_mode_16_64 3
		.amdhsa_dx10_clamp 1
		.amdhsa_ieee_mode 1
		.amdhsa_fp16_overflow 0
		.amdhsa_workgroup_processor_mode 1
		.amdhsa_memory_ordered 1
		.amdhsa_forward_progress 1
		.amdhsa_shared_vgpr_count 0
		.amdhsa_exception_fp_ieee_invalid_op 0
		.amdhsa_exception_fp_denorm_src 0
		.amdhsa_exception_fp_ieee_div_zero 0
		.amdhsa_exception_fp_ieee_overflow 0
		.amdhsa_exception_fp_ieee_underflow 0
		.amdhsa_exception_fp_ieee_inexact 0
		.amdhsa_exception_int_div_zero 0
	.end_amdhsa_kernel
	.section	.text._ZN7rocprim17ROCPRIM_400000_NS6detail17trampoline_kernelINS0_14default_configENS1_36segmented_radix_sort_config_selectorIslEEZNS1_25segmented_radix_sort_implIS3_Lb0EPKsPsPKlPlN2at6native12_GLOBAL__N_18offset_tEEE10hipError_tPvRmT1_PNSt15iterator_traitsISK_E10value_typeET2_T3_PNSL_ISQ_E10value_typeET4_jRbjT5_SW_jjP12ihipStream_tbEUlT_E1_NS1_11comp_targetILNS1_3genE10ELNS1_11target_archE1201ELNS1_3gpuE5ELNS1_3repE0EEENS1_59segmented_radix_sort_warp_sort_small_config_static_selectorELNS0_4arch9wavefront6targetE0EEEvSK_,"axG",@progbits,_ZN7rocprim17ROCPRIM_400000_NS6detail17trampoline_kernelINS0_14default_configENS1_36segmented_radix_sort_config_selectorIslEEZNS1_25segmented_radix_sort_implIS3_Lb0EPKsPsPKlPlN2at6native12_GLOBAL__N_18offset_tEEE10hipError_tPvRmT1_PNSt15iterator_traitsISK_E10value_typeET2_T3_PNSL_ISQ_E10value_typeET4_jRbjT5_SW_jjP12ihipStream_tbEUlT_E1_NS1_11comp_targetILNS1_3genE10ELNS1_11target_archE1201ELNS1_3gpuE5ELNS1_3repE0EEENS1_59segmented_radix_sort_warp_sort_small_config_static_selectorELNS0_4arch9wavefront6targetE0EEEvSK_,comdat
.Lfunc_end1032:
	.size	_ZN7rocprim17ROCPRIM_400000_NS6detail17trampoline_kernelINS0_14default_configENS1_36segmented_radix_sort_config_selectorIslEEZNS1_25segmented_radix_sort_implIS3_Lb0EPKsPsPKlPlN2at6native12_GLOBAL__N_18offset_tEEE10hipError_tPvRmT1_PNSt15iterator_traitsISK_E10value_typeET2_T3_PNSL_ISQ_E10value_typeET4_jRbjT5_SW_jjP12ihipStream_tbEUlT_E1_NS1_11comp_targetILNS1_3genE10ELNS1_11target_archE1201ELNS1_3gpuE5ELNS1_3repE0EEENS1_59segmented_radix_sort_warp_sort_small_config_static_selectorELNS0_4arch9wavefront6targetE0EEEvSK_, .Lfunc_end1032-_ZN7rocprim17ROCPRIM_400000_NS6detail17trampoline_kernelINS0_14default_configENS1_36segmented_radix_sort_config_selectorIslEEZNS1_25segmented_radix_sort_implIS3_Lb0EPKsPsPKlPlN2at6native12_GLOBAL__N_18offset_tEEE10hipError_tPvRmT1_PNSt15iterator_traitsISK_E10value_typeET2_T3_PNSL_ISQ_E10value_typeET4_jRbjT5_SW_jjP12ihipStream_tbEUlT_E1_NS1_11comp_targetILNS1_3genE10ELNS1_11target_archE1201ELNS1_3gpuE5ELNS1_3repE0EEENS1_59segmented_radix_sort_warp_sort_small_config_static_selectorELNS0_4arch9wavefront6targetE0EEEvSK_
                                        ; -- End function
	.set _ZN7rocprim17ROCPRIM_400000_NS6detail17trampoline_kernelINS0_14default_configENS1_36segmented_radix_sort_config_selectorIslEEZNS1_25segmented_radix_sort_implIS3_Lb0EPKsPsPKlPlN2at6native12_GLOBAL__N_18offset_tEEE10hipError_tPvRmT1_PNSt15iterator_traitsISK_E10value_typeET2_T3_PNSL_ISQ_E10value_typeET4_jRbjT5_SW_jjP12ihipStream_tbEUlT_E1_NS1_11comp_targetILNS1_3genE10ELNS1_11target_archE1201ELNS1_3gpuE5ELNS1_3repE0EEENS1_59segmented_radix_sort_warp_sort_small_config_static_selectorELNS0_4arch9wavefront6targetE0EEEvSK_.num_vgpr, 0
	.set _ZN7rocprim17ROCPRIM_400000_NS6detail17trampoline_kernelINS0_14default_configENS1_36segmented_radix_sort_config_selectorIslEEZNS1_25segmented_radix_sort_implIS3_Lb0EPKsPsPKlPlN2at6native12_GLOBAL__N_18offset_tEEE10hipError_tPvRmT1_PNSt15iterator_traitsISK_E10value_typeET2_T3_PNSL_ISQ_E10value_typeET4_jRbjT5_SW_jjP12ihipStream_tbEUlT_E1_NS1_11comp_targetILNS1_3genE10ELNS1_11target_archE1201ELNS1_3gpuE5ELNS1_3repE0EEENS1_59segmented_radix_sort_warp_sort_small_config_static_selectorELNS0_4arch9wavefront6targetE0EEEvSK_.num_agpr, 0
	.set _ZN7rocprim17ROCPRIM_400000_NS6detail17trampoline_kernelINS0_14default_configENS1_36segmented_radix_sort_config_selectorIslEEZNS1_25segmented_radix_sort_implIS3_Lb0EPKsPsPKlPlN2at6native12_GLOBAL__N_18offset_tEEE10hipError_tPvRmT1_PNSt15iterator_traitsISK_E10value_typeET2_T3_PNSL_ISQ_E10value_typeET4_jRbjT5_SW_jjP12ihipStream_tbEUlT_E1_NS1_11comp_targetILNS1_3genE10ELNS1_11target_archE1201ELNS1_3gpuE5ELNS1_3repE0EEENS1_59segmented_radix_sort_warp_sort_small_config_static_selectorELNS0_4arch9wavefront6targetE0EEEvSK_.numbered_sgpr, 0
	.set _ZN7rocprim17ROCPRIM_400000_NS6detail17trampoline_kernelINS0_14default_configENS1_36segmented_radix_sort_config_selectorIslEEZNS1_25segmented_radix_sort_implIS3_Lb0EPKsPsPKlPlN2at6native12_GLOBAL__N_18offset_tEEE10hipError_tPvRmT1_PNSt15iterator_traitsISK_E10value_typeET2_T3_PNSL_ISQ_E10value_typeET4_jRbjT5_SW_jjP12ihipStream_tbEUlT_E1_NS1_11comp_targetILNS1_3genE10ELNS1_11target_archE1201ELNS1_3gpuE5ELNS1_3repE0EEENS1_59segmented_radix_sort_warp_sort_small_config_static_selectorELNS0_4arch9wavefront6targetE0EEEvSK_.num_named_barrier, 0
	.set _ZN7rocprim17ROCPRIM_400000_NS6detail17trampoline_kernelINS0_14default_configENS1_36segmented_radix_sort_config_selectorIslEEZNS1_25segmented_radix_sort_implIS3_Lb0EPKsPsPKlPlN2at6native12_GLOBAL__N_18offset_tEEE10hipError_tPvRmT1_PNSt15iterator_traitsISK_E10value_typeET2_T3_PNSL_ISQ_E10value_typeET4_jRbjT5_SW_jjP12ihipStream_tbEUlT_E1_NS1_11comp_targetILNS1_3genE10ELNS1_11target_archE1201ELNS1_3gpuE5ELNS1_3repE0EEENS1_59segmented_radix_sort_warp_sort_small_config_static_selectorELNS0_4arch9wavefront6targetE0EEEvSK_.private_seg_size, 0
	.set _ZN7rocprim17ROCPRIM_400000_NS6detail17trampoline_kernelINS0_14default_configENS1_36segmented_radix_sort_config_selectorIslEEZNS1_25segmented_radix_sort_implIS3_Lb0EPKsPsPKlPlN2at6native12_GLOBAL__N_18offset_tEEE10hipError_tPvRmT1_PNSt15iterator_traitsISK_E10value_typeET2_T3_PNSL_ISQ_E10value_typeET4_jRbjT5_SW_jjP12ihipStream_tbEUlT_E1_NS1_11comp_targetILNS1_3genE10ELNS1_11target_archE1201ELNS1_3gpuE5ELNS1_3repE0EEENS1_59segmented_radix_sort_warp_sort_small_config_static_selectorELNS0_4arch9wavefront6targetE0EEEvSK_.uses_vcc, 0
	.set _ZN7rocprim17ROCPRIM_400000_NS6detail17trampoline_kernelINS0_14default_configENS1_36segmented_radix_sort_config_selectorIslEEZNS1_25segmented_radix_sort_implIS3_Lb0EPKsPsPKlPlN2at6native12_GLOBAL__N_18offset_tEEE10hipError_tPvRmT1_PNSt15iterator_traitsISK_E10value_typeET2_T3_PNSL_ISQ_E10value_typeET4_jRbjT5_SW_jjP12ihipStream_tbEUlT_E1_NS1_11comp_targetILNS1_3genE10ELNS1_11target_archE1201ELNS1_3gpuE5ELNS1_3repE0EEENS1_59segmented_radix_sort_warp_sort_small_config_static_selectorELNS0_4arch9wavefront6targetE0EEEvSK_.uses_flat_scratch, 0
	.set _ZN7rocprim17ROCPRIM_400000_NS6detail17trampoline_kernelINS0_14default_configENS1_36segmented_radix_sort_config_selectorIslEEZNS1_25segmented_radix_sort_implIS3_Lb0EPKsPsPKlPlN2at6native12_GLOBAL__N_18offset_tEEE10hipError_tPvRmT1_PNSt15iterator_traitsISK_E10value_typeET2_T3_PNSL_ISQ_E10value_typeET4_jRbjT5_SW_jjP12ihipStream_tbEUlT_E1_NS1_11comp_targetILNS1_3genE10ELNS1_11target_archE1201ELNS1_3gpuE5ELNS1_3repE0EEENS1_59segmented_radix_sort_warp_sort_small_config_static_selectorELNS0_4arch9wavefront6targetE0EEEvSK_.has_dyn_sized_stack, 0
	.set _ZN7rocprim17ROCPRIM_400000_NS6detail17trampoline_kernelINS0_14default_configENS1_36segmented_radix_sort_config_selectorIslEEZNS1_25segmented_radix_sort_implIS3_Lb0EPKsPsPKlPlN2at6native12_GLOBAL__N_18offset_tEEE10hipError_tPvRmT1_PNSt15iterator_traitsISK_E10value_typeET2_T3_PNSL_ISQ_E10value_typeET4_jRbjT5_SW_jjP12ihipStream_tbEUlT_E1_NS1_11comp_targetILNS1_3genE10ELNS1_11target_archE1201ELNS1_3gpuE5ELNS1_3repE0EEENS1_59segmented_radix_sort_warp_sort_small_config_static_selectorELNS0_4arch9wavefront6targetE0EEEvSK_.has_recursion, 0
	.set _ZN7rocprim17ROCPRIM_400000_NS6detail17trampoline_kernelINS0_14default_configENS1_36segmented_radix_sort_config_selectorIslEEZNS1_25segmented_radix_sort_implIS3_Lb0EPKsPsPKlPlN2at6native12_GLOBAL__N_18offset_tEEE10hipError_tPvRmT1_PNSt15iterator_traitsISK_E10value_typeET2_T3_PNSL_ISQ_E10value_typeET4_jRbjT5_SW_jjP12ihipStream_tbEUlT_E1_NS1_11comp_targetILNS1_3genE10ELNS1_11target_archE1201ELNS1_3gpuE5ELNS1_3repE0EEENS1_59segmented_radix_sort_warp_sort_small_config_static_selectorELNS0_4arch9wavefront6targetE0EEEvSK_.has_indirect_call, 0
	.section	.AMDGPU.csdata,"",@progbits
; Kernel info:
; codeLenInByte = 0
; TotalNumSgprs: 0
; NumVgprs: 0
; ScratchSize: 0
; MemoryBound: 0
; FloatMode: 240
; IeeeMode: 1
; LDSByteSize: 0 bytes/workgroup (compile time only)
; SGPRBlocks: 0
; VGPRBlocks: 0
; NumSGPRsForWavesPerEU: 1
; NumVGPRsForWavesPerEU: 1
; Occupancy: 16
; WaveLimiterHint : 0
; COMPUTE_PGM_RSRC2:SCRATCH_EN: 0
; COMPUTE_PGM_RSRC2:USER_SGPR: 6
; COMPUTE_PGM_RSRC2:TRAP_HANDLER: 0
; COMPUTE_PGM_RSRC2:TGID_X_EN: 1
; COMPUTE_PGM_RSRC2:TGID_Y_EN: 0
; COMPUTE_PGM_RSRC2:TGID_Z_EN: 0
; COMPUTE_PGM_RSRC2:TIDIG_COMP_CNT: 0
	.section	.text._ZN7rocprim17ROCPRIM_400000_NS6detail17trampoline_kernelINS0_14default_configENS1_36segmented_radix_sort_config_selectorIslEEZNS1_25segmented_radix_sort_implIS3_Lb0EPKsPsPKlPlN2at6native12_GLOBAL__N_18offset_tEEE10hipError_tPvRmT1_PNSt15iterator_traitsISK_E10value_typeET2_T3_PNSL_ISQ_E10value_typeET4_jRbjT5_SW_jjP12ihipStream_tbEUlT_E1_NS1_11comp_targetILNS1_3genE10ELNS1_11target_archE1200ELNS1_3gpuE4ELNS1_3repE0EEENS1_59segmented_radix_sort_warp_sort_small_config_static_selectorELNS0_4arch9wavefront6targetE0EEEvSK_,"axG",@progbits,_ZN7rocprim17ROCPRIM_400000_NS6detail17trampoline_kernelINS0_14default_configENS1_36segmented_radix_sort_config_selectorIslEEZNS1_25segmented_radix_sort_implIS3_Lb0EPKsPsPKlPlN2at6native12_GLOBAL__N_18offset_tEEE10hipError_tPvRmT1_PNSt15iterator_traitsISK_E10value_typeET2_T3_PNSL_ISQ_E10value_typeET4_jRbjT5_SW_jjP12ihipStream_tbEUlT_E1_NS1_11comp_targetILNS1_3genE10ELNS1_11target_archE1200ELNS1_3gpuE4ELNS1_3repE0EEENS1_59segmented_radix_sort_warp_sort_small_config_static_selectorELNS0_4arch9wavefront6targetE0EEEvSK_,comdat
	.globl	_ZN7rocprim17ROCPRIM_400000_NS6detail17trampoline_kernelINS0_14default_configENS1_36segmented_radix_sort_config_selectorIslEEZNS1_25segmented_radix_sort_implIS3_Lb0EPKsPsPKlPlN2at6native12_GLOBAL__N_18offset_tEEE10hipError_tPvRmT1_PNSt15iterator_traitsISK_E10value_typeET2_T3_PNSL_ISQ_E10value_typeET4_jRbjT5_SW_jjP12ihipStream_tbEUlT_E1_NS1_11comp_targetILNS1_3genE10ELNS1_11target_archE1200ELNS1_3gpuE4ELNS1_3repE0EEENS1_59segmented_radix_sort_warp_sort_small_config_static_selectorELNS0_4arch9wavefront6targetE0EEEvSK_ ; -- Begin function _ZN7rocprim17ROCPRIM_400000_NS6detail17trampoline_kernelINS0_14default_configENS1_36segmented_radix_sort_config_selectorIslEEZNS1_25segmented_radix_sort_implIS3_Lb0EPKsPsPKlPlN2at6native12_GLOBAL__N_18offset_tEEE10hipError_tPvRmT1_PNSt15iterator_traitsISK_E10value_typeET2_T3_PNSL_ISQ_E10value_typeET4_jRbjT5_SW_jjP12ihipStream_tbEUlT_E1_NS1_11comp_targetILNS1_3genE10ELNS1_11target_archE1200ELNS1_3gpuE4ELNS1_3repE0EEENS1_59segmented_radix_sort_warp_sort_small_config_static_selectorELNS0_4arch9wavefront6targetE0EEEvSK_
	.p2align	8
	.type	_ZN7rocprim17ROCPRIM_400000_NS6detail17trampoline_kernelINS0_14default_configENS1_36segmented_radix_sort_config_selectorIslEEZNS1_25segmented_radix_sort_implIS3_Lb0EPKsPsPKlPlN2at6native12_GLOBAL__N_18offset_tEEE10hipError_tPvRmT1_PNSt15iterator_traitsISK_E10value_typeET2_T3_PNSL_ISQ_E10value_typeET4_jRbjT5_SW_jjP12ihipStream_tbEUlT_E1_NS1_11comp_targetILNS1_3genE10ELNS1_11target_archE1200ELNS1_3gpuE4ELNS1_3repE0EEENS1_59segmented_radix_sort_warp_sort_small_config_static_selectorELNS0_4arch9wavefront6targetE0EEEvSK_,@function
_ZN7rocprim17ROCPRIM_400000_NS6detail17trampoline_kernelINS0_14default_configENS1_36segmented_radix_sort_config_selectorIslEEZNS1_25segmented_radix_sort_implIS3_Lb0EPKsPsPKlPlN2at6native12_GLOBAL__N_18offset_tEEE10hipError_tPvRmT1_PNSt15iterator_traitsISK_E10value_typeET2_T3_PNSL_ISQ_E10value_typeET4_jRbjT5_SW_jjP12ihipStream_tbEUlT_E1_NS1_11comp_targetILNS1_3genE10ELNS1_11target_archE1200ELNS1_3gpuE4ELNS1_3repE0EEENS1_59segmented_radix_sort_warp_sort_small_config_static_selectorELNS0_4arch9wavefront6targetE0EEEvSK_: ; @_ZN7rocprim17ROCPRIM_400000_NS6detail17trampoline_kernelINS0_14default_configENS1_36segmented_radix_sort_config_selectorIslEEZNS1_25segmented_radix_sort_implIS3_Lb0EPKsPsPKlPlN2at6native12_GLOBAL__N_18offset_tEEE10hipError_tPvRmT1_PNSt15iterator_traitsISK_E10value_typeET2_T3_PNSL_ISQ_E10value_typeET4_jRbjT5_SW_jjP12ihipStream_tbEUlT_E1_NS1_11comp_targetILNS1_3genE10ELNS1_11target_archE1200ELNS1_3gpuE4ELNS1_3repE0EEENS1_59segmented_radix_sort_warp_sort_small_config_static_selectorELNS0_4arch9wavefront6targetE0EEEvSK_
; %bb.0:
	.section	.rodata,"a",@progbits
	.p2align	6, 0x0
	.amdhsa_kernel _ZN7rocprim17ROCPRIM_400000_NS6detail17trampoline_kernelINS0_14default_configENS1_36segmented_radix_sort_config_selectorIslEEZNS1_25segmented_radix_sort_implIS3_Lb0EPKsPsPKlPlN2at6native12_GLOBAL__N_18offset_tEEE10hipError_tPvRmT1_PNSt15iterator_traitsISK_E10value_typeET2_T3_PNSL_ISQ_E10value_typeET4_jRbjT5_SW_jjP12ihipStream_tbEUlT_E1_NS1_11comp_targetILNS1_3genE10ELNS1_11target_archE1200ELNS1_3gpuE4ELNS1_3repE0EEENS1_59segmented_radix_sort_warp_sort_small_config_static_selectorELNS0_4arch9wavefront6targetE0EEEvSK_
		.amdhsa_group_segment_fixed_size 0
		.amdhsa_private_segment_fixed_size 0
		.amdhsa_kernarg_size 88
		.amdhsa_user_sgpr_count 6
		.amdhsa_user_sgpr_private_segment_buffer 1
		.amdhsa_user_sgpr_dispatch_ptr 0
		.amdhsa_user_sgpr_queue_ptr 0
		.amdhsa_user_sgpr_kernarg_segment_ptr 1
		.amdhsa_user_sgpr_dispatch_id 0
		.amdhsa_user_sgpr_flat_scratch_init 0
		.amdhsa_user_sgpr_private_segment_size 0
		.amdhsa_wavefront_size32 1
		.amdhsa_uses_dynamic_stack 0
		.amdhsa_system_sgpr_private_segment_wavefront_offset 0
		.amdhsa_system_sgpr_workgroup_id_x 1
		.amdhsa_system_sgpr_workgroup_id_y 0
		.amdhsa_system_sgpr_workgroup_id_z 0
		.amdhsa_system_sgpr_workgroup_info 0
		.amdhsa_system_vgpr_workitem_id 0
		.amdhsa_next_free_vgpr 1
		.amdhsa_next_free_sgpr 1
		.amdhsa_reserve_vcc 0
		.amdhsa_reserve_flat_scratch 0
		.amdhsa_float_round_mode_32 0
		.amdhsa_float_round_mode_16_64 0
		.amdhsa_float_denorm_mode_32 3
		.amdhsa_float_denorm_mode_16_64 3
		.amdhsa_dx10_clamp 1
		.amdhsa_ieee_mode 1
		.amdhsa_fp16_overflow 0
		.amdhsa_workgroup_processor_mode 1
		.amdhsa_memory_ordered 1
		.amdhsa_forward_progress 1
		.amdhsa_shared_vgpr_count 0
		.amdhsa_exception_fp_ieee_invalid_op 0
		.amdhsa_exception_fp_denorm_src 0
		.amdhsa_exception_fp_ieee_div_zero 0
		.amdhsa_exception_fp_ieee_overflow 0
		.amdhsa_exception_fp_ieee_underflow 0
		.amdhsa_exception_fp_ieee_inexact 0
		.amdhsa_exception_int_div_zero 0
	.end_amdhsa_kernel
	.section	.text._ZN7rocprim17ROCPRIM_400000_NS6detail17trampoline_kernelINS0_14default_configENS1_36segmented_radix_sort_config_selectorIslEEZNS1_25segmented_radix_sort_implIS3_Lb0EPKsPsPKlPlN2at6native12_GLOBAL__N_18offset_tEEE10hipError_tPvRmT1_PNSt15iterator_traitsISK_E10value_typeET2_T3_PNSL_ISQ_E10value_typeET4_jRbjT5_SW_jjP12ihipStream_tbEUlT_E1_NS1_11comp_targetILNS1_3genE10ELNS1_11target_archE1200ELNS1_3gpuE4ELNS1_3repE0EEENS1_59segmented_radix_sort_warp_sort_small_config_static_selectorELNS0_4arch9wavefront6targetE0EEEvSK_,"axG",@progbits,_ZN7rocprim17ROCPRIM_400000_NS6detail17trampoline_kernelINS0_14default_configENS1_36segmented_radix_sort_config_selectorIslEEZNS1_25segmented_radix_sort_implIS3_Lb0EPKsPsPKlPlN2at6native12_GLOBAL__N_18offset_tEEE10hipError_tPvRmT1_PNSt15iterator_traitsISK_E10value_typeET2_T3_PNSL_ISQ_E10value_typeET4_jRbjT5_SW_jjP12ihipStream_tbEUlT_E1_NS1_11comp_targetILNS1_3genE10ELNS1_11target_archE1200ELNS1_3gpuE4ELNS1_3repE0EEENS1_59segmented_radix_sort_warp_sort_small_config_static_selectorELNS0_4arch9wavefront6targetE0EEEvSK_,comdat
.Lfunc_end1033:
	.size	_ZN7rocprim17ROCPRIM_400000_NS6detail17trampoline_kernelINS0_14default_configENS1_36segmented_radix_sort_config_selectorIslEEZNS1_25segmented_radix_sort_implIS3_Lb0EPKsPsPKlPlN2at6native12_GLOBAL__N_18offset_tEEE10hipError_tPvRmT1_PNSt15iterator_traitsISK_E10value_typeET2_T3_PNSL_ISQ_E10value_typeET4_jRbjT5_SW_jjP12ihipStream_tbEUlT_E1_NS1_11comp_targetILNS1_3genE10ELNS1_11target_archE1200ELNS1_3gpuE4ELNS1_3repE0EEENS1_59segmented_radix_sort_warp_sort_small_config_static_selectorELNS0_4arch9wavefront6targetE0EEEvSK_, .Lfunc_end1033-_ZN7rocprim17ROCPRIM_400000_NS6detail17trampoline_kernelINS0_14default_configENS1_36segmented_radix_sort_config_selectorIslEEZNS1_25segmented_radix_sort_implIS3_Lb0EPKsPsPKlPlN2at6native12_GLOBAL__N_18offset_tEEE10hipError_tPvRmT1_PNSt15iterator_traitsISK_E10value_typeET2_T3_PNSL_ISQ_E10value_typeET4_jRbjT5_SW_jjP12ihipStream_tbEUlT_E1_NS1_11comp_targetILNS1_3genE10ELNS1_11target_archE1200ELNS1_3gpuE4ELNS1_3repE0EEENS1_59segmented_radix_sort_warp_sort_small_config_static_selectorELNS0_4arch9wavefront6targetE0EEEvSK_
                                        ; -- End function
	.set _ZN7rocprim17ROCPRIM_400000_NS6detail17trampoline_kernelINS0_14default_configENS1_36segmented_radix_sort_config_selectorIslEEZNS1_25segmented_radix_sort_implIS3_Lb0EPKsPsPKlPlN2at6native12_GLOBAL__N_18offset_tEEE10hipError_tPvRmT1_PNSt15iterator_traitsISK_E10value_typeET2_T3_PNSL_ISQ_E10value_typeET4_jRbjT5_SW_jjP12ihipStream_tbEUlT_E1_NS1_11comp_targetILNS1_3genE10ELNS1_11target_archE1200ELNS1_3gpuE4ELNS1_3repE0EEENS1_59segmented_radix_sort_warp_sort_small_config_static_selectorELNS0_4arch9wavefront6targetE0EEEvSK_.num_vgpr, 0
	.set _ZN7rocprim17ROCPRIM_400000_NS6detail17trampoline_kernelINS0_14default_configENS1_36segmented_radix_sort_config_selectorIslEEZNS1_25segmented_radix_sort_implIS3_Lb0EPKsPsPKlPlN2at6native12_GLOBAL__N_18offset_tEEE10hipError_tPvRmT1_PNSt15iterator_traitsISK_E10value_typeET2_T3_PNSL_ISQ_E10value_typeET4_jRbjT5_SW_jjP12ihipStream_tbEUlT_E1_NS1_11comp_targetILNS1_3genE10ELNS1_11target_archE1200ELNS1_3gpuE4ELNS1_3repE0EEENS1_59segmented_radix_sort_warp_sort_small_config_static_selectorELNS0_4arch9wavefront6targetE0EEEvSK_.num_agpr, 0
	.set _ZN7rocprim17ROCPRIM_400000_NS6detail17trampoline_kernelINS0_14default_configENS1_36segmented_radix_sort_config_selectorIslEEZNS1_25segmented_radix_sort_implIS3_Lb0EPKsPsPKlPlN2at6native12_GLOBAL__N_18offset_tEEE10hipError_tPvRmT1_PNSt15iterator_traitsISK_E10value_typeET2_T3_PNSL_ISQ_E10value_typeET4_jRbjT5_SW_jjP12ihipStream_tbEUlT_E1_NS1_11comp_targetILNS1_3genE10ELNS1_11target_archE1200ELNS1_3gpuE4ELNS1_3repE0EEENS1_59segmented_radix_sort_warp_sort_small_config_static_selectorELNS0_4arch9wavefront6targetE0EEEvSK_.numbered_sgpr, 0
	.set _ZN7rocprim17ROCPRIM_400000_NS6detail17trampoline_kernelINS0_14default_configENS1_36segmented_radix_sort_config_selectorIslEEZNS1_25segmented_radix_sort_implIS3_Lb0EPKsPsPKlPlN2at6native12_GLOBAL__N_18offset_tEEE10hipError_tPvRmT1_PNSt15iterator_traitsISK_E10value_typeET2_T3_PNSL_ISQ_E10value_typeET4_jRbjT5_SW_jjP12ihipStream_tbEUlT_E1_NS1_11comp_targetILNS1_3genE10ELNS1_11target_archE1200ELNS1_3gpuE4ELNS1_3repE0EEENS1_59segmented_radix_sort_warp_sort_small_config_static_selectorELNS0_4arch9wavefront6targetE0EEEvSK_.num_named_barrier, 0
	.set _ZN7rocprim17ROCPRIM_400000_NS6detail17trampoline_kernelINS0_14default_configENS1_36segmented_radix_sort_config_selectorIslEEZNS1_25segmented_radix_sort_implIS3_Lb0EPKsPsPKlPlN2at6native12_GLOBAL__N_18offset_tEEE10hipError_tPvRmT1_PNSt15iterator_traitsISK_E10value_typeET2_T3_PNSL_ISQ_E10value_typeET4_jRbjT5_SW_jjP12ihipStream_tbEUlT_E1_NS1_11comp_targetILNS1_3genE10ELNS1_11target_archE1200ELNS1_3gpuE4ELNS1_3repE0EEENS1_59segmented_radix_sort_warp_sort_small_config_static_selectorELNS0_4arch9wavefront6targetE0EEEvSK_.private_seg_size, 0
	.set _ZN7rocprim17ROCPRIM_400000_NS6detail17trampoline_kernelINS0_14default_configENS1_36segmented_radix_sort_config_selectorIslEEZNS1_25segmented_radix_sort_implIS3_Lb0EPKsPsPKlPlN2at6native12_GLOBAL__N_18offset_tEEE10hipError_tPvRmT1_PNSt15iterator_traitsISK_E10value_typeET2_T3_PNSL_ISQ_E10value_typeET4_jRbjT5_SW_jjP12ihipStream_tbEUlT_E1_NS1_11comp_targetILNS1_3genE10ELNS1_11target_archE1200ELNS1_3gpuE4ELNS1_3repE0EEENS1_59segmented_radix_sort_warp_sort_small_config_static_selectorELNS0_4arch9wavefront6targetE0EEEvSK_.uses_vcc, 0
	.set _ZN7rocprim17ROCPRIM_400000_NS6detail17trampoline_kernelINS0_14default_configENS1_36segmented_radix_sort_config_selectorIslEEZNS1_25segmented_radix_sort_implIS3_Lb0EPKsPsPKlPlN2at6native12_GLOBAL__N_18offset_tEEE10hipError_tPvRmT1_PNSt15iterator_traitsISK_E10value_typeET2_T3_PNSL_ISQ_E10value_typeET4_jRbjT5_SW_jjP12ihipStream_tbEUlT_E1_NS1_11comp_targetILNS1_3genE10ELNS1_11target_archE1200ELNS1_3gpuE4ELNS1_3repE0EEENS1_59segmented_radix_sort_warp_sort_small_config_static_selectorELNS0_4arch9wavefront6targetE0EEEvSK_.uses_flat_scratch, 0
	.set _ZN7rocprim17ROCPRIM_400000_NS6detail17trampoline_kernelINS0_14default_configENS1_36segmented_radix_sort_config_selectorIslEEZNS1_25segmented_radix_sort_implIS3_Lb0EPKsPsPKlPlN2at6native12_GLOBAL__N_18offset_tEEE10hipError_tPvRmT1_PNSt15iterator_traitsISK_E10value_typeET2_T3_PNSL_ISQ_E10value_typeET4_jRbjT5_SW_jjP12ihipStream_tbEUlT_E1_NS1_11comp_targetILNS1_3genE10ELNS1_11target_archE1200ELNS1_3gpuE4ELNS1_3repE0EEENS1_59segmented_radix_sort_warp_sort_small_config_static_selectorELNS0_4arch9wavefront6targetE0EEEvSK_.has_dyn_sized_stack, 0
	.set _ZN7rocprim17ROCPRIM_400000_NS6detail17trampoline_kernelINS0_14default_configENS1_36segmented_radix_sort_config_selectorIslEEZNS1_25segmented_radix_sort_implIS3_Lb0EPKsPsPKlPlN2at6native12_GLOBAL__N_18offset_tEEE10hipError_tPvRmT1_PNSt15iterator_traitsISK_E10value_typeET2_T3_PNSL_ISQ_E10value_typeET4_jRbjT5_SW_jjP12ihipStream_tbEUlT_E1_NS1_11comp_targetILNS1_3genE10ELNS1_11target_archE1200ELNS1_3gpuE4ELNS1_3repE0EEENS1_59segmented_radix_sort_warp_sort_small_config_static_selectorELNS0_4arch9wavefront6targetE0EEEvSK_.has_recursion, 0
	.set _ZN7rocprim17ROCPRIM_400000_NS6detail17trampoline_kernelINS0_14default_configENS1_36segmented_radix_sort_config_selectorIslEEZNS1_25segmented_radix_sort_implIS3_Lb0EPKsPsPKlPlN2at6native12_GLOBAL__N_18offset_tEEE10hipError_tPvRmT1_PNSt15iterator_traitsISK_E10value_typeET2_T3_PNSL_ISQ_E10value_typeET4_jRbjT5_SW_jjP12ihipStream_tbEUlT_E1_NS1_11comp_targetILNS1_3genE10ELNS1_11target_archE1200ELNS1_3gpuE4ELNS1_3repE0EEENS1_59segmented_radix_sort_warp_sort_small_config_static_selectorELNS0_4arch9wavefront6targetE0EEEvSK_.has_indirect_call, 0
	.section	.AMDGPU.csdata,"",@progbits
; Kernel info:
; codeLenInByte = 0
; TotalNumSgprs: 0
; NumVgprs: 0
; ScratchSize: 0
; MemoryBound: 0
; FloatMode: 240
; IeeeMode: 1
; LDSByteSize: 0 bytes/workgroup (compile time only)
; SGPRBlocks: 0
; VGPRBlocks: 0
; NumSGPRsForWavesPerEU: 1
; NumVGPRsForWavesPerEU: 1
; Occupancy: 16
; WaveLimiterHint : 0
; COMPUTE_PGM_RSRC2:SCRATCH_EN: 0
; COMPUTE_PGM_RSRC2:USER_SGPR: 6
; COMPUTE_PGM_RSRC2:TRAP_HANDLER: 0
; COMPUTE_PGM_RSRC2:TGID_X_EN: 1
; COMPUTE_PGM_RSRC2:TGID_Y_EN: 0
; COMPUTE_PGM_RSRC2:TGID_Z_EN: 0
; COMPUTE_PGM_RSRC2:TIDIG_COMP_CNT: 0
	.section	.text._ZN7rocprim17ROCPRIM_400000_NS6detail17trampoline_kernelINS0_14default_configENS1_36segmented_radix_sort_config_selectorIslEEZNS1_25segmented_radix_sort_implIS3_Lb0EPKsPsPKlPlN2at6native12_GLOBAL__N_18offset_tEEE10hipError_tPvRmT1_PNSt15iterator_traitsISK_E10value_typeET2_T3_PNSL_ISQ_E10value_typeET4_jRbjT5_SW_jjP12ihipStream_tbEUlT_E1_NS1_11comp_targetILNS1_3genE9ELNS1_11target_archE1100ELNS1_3gpuE3ELNS1_3repE0EEENS1_59segmented_radix_sort_warp_sort_small_config_static_selectorELNS0_4arch9wavefront6targetE0EEEvSK_,"axG",@progbits,_ZN7rocprim17ROCPRIM_400000_NS6detail17trampoline_kernelINS0_14default_configENS1_36segmented_radix_sort_config_selectorIslEEZNS1_25segmented_radix_sort_implIS3_Lb0EPKsPsPKlPlN2at6native12_GLOBAL__N_18offset_tEEE10hipError_tPvRmT1_PNSt15iterator_traitsISK_E10value_typeET2_T3_PNSL_ISQ_E10value_typeET4_jRbjT5_SW_jjP12ihipStream_tbEUlT_E1_NS1_11comp_targetILNS1_3genE9ELNS1_11target_archE1100ELNS1_3gpuE3ELNS1_3repE0EEENS1_59segmented_radix_sort_warp_sort_small_config_static_selectorELNS0_4arch9wavefront6targetE0EEEvSK_,comdat
	.globl	_ZN7rocprim17ROCPRIM_400000_NS6detail17trampoline_kernelINS0_14default_configENS1_36segmented_radix_sort_config_selectorIslEEZNS1_25segmented_radix_sort_implIS3_Lb0EPKsPsPKlPlN2at6native12_GLOBAL__N_18offset_tEEE10hipError_tPvRmT1_PNSt15iterator_traitsISK_E10value_typeET2_T3_PNSL_ISQ_E10value_typeET4_jRbjT5_SW_jjP12ihipStream_tbEUlT_E1_NS1_11comp_targetILNS1_3genE9ELNS1_11target_archE1100ELNS1_3gpuE3ELNS1_3repE0EEENS1_59segmented_radix_sort_warp_sort_small_config_static_selectorELNS0_4arch9wavefront6targetE0EEEvSK_ ; -- Begin function _ZN7rocprim17ROCPRIM_400000_NS6detail17trampoline_kernelINS0_14default_configENS1_36segmented_radix_sort_config_selectorIslEEZNS1_25segmented_radix_sort_implIS3_Lb0EPKsPsPKlPlN2at6native12_GLOBAL__N_18offset_tEEE10hipError_tPvRmT1_PNSt15iterator_traitsISK_E10value_typeET2_T3_PNSL_ISQ_E10value_typeET4_jRbjT5_SW_jjP12ihipStream_tbEUlT_E1_NS1_11comp_targetILNS1_3genE9ELNS1_11target_archE1100ELNS1_3gpuE3ELNS1_3repE0EEENS1_59segmented_radix_sort_warp_sort_small_config_static_selectorELNS0_4arch9wavefront6targetE0EEEvSK_
	.p2align	8
	.type	_ZN7rocprim17ROCPRIM_400000_NS6detail17trampoline_kernelINS0_14default_configENS1_36segmented_radix_sort_config_selectorIslEEZNS1_25segmented_radix_sort_implIS3_Lb0EPKsPsPKlPlN2at6native12_GLOBAL__N_18offset_tEEE10hipError_tPvRmT1_PNSt15iterator_traitsISK_E10value_typeET2_T3_PNSL_ISQ_E10value_typeET4_jRbjT5_SW_jjP12ihipStream_tbEUlT_E1_NS1_11comp_targetILNS1_3genE9ELNS1_11target_archE1100ELNS1_3gpuE3ELNS1_3repE0EEENS1_59segmented_radix_sort_warp_sort_small_config_static_selectorELNS0_4arch9wavefront6targetE0EEEvSK_,@function
_ZN7rocprim17ROCPRIM_400000_NS6detail17trampoline_kernelINS0_14default_configENS1_36segmented_radix_sort_config_selectorIslEEZNS1_25segmented_radix_sort_implIS3_Lb0EPKsPsPKlPlN2at6native12_GLOBAL__N_18offset_tEEE10hipError_tPvRmT1_PNSt15iterator_traitsISK_E10value_typeET2_T3_PNSL_ISQ_E10value_typeET4_jRbjT5_SW_jjP12ihipStream_tbEUlT_E1_NS1_11comp_targetILNS1_3genE9ELNS1_11target_archE1100ELNS1_3gpuE3ELNS1_3repE0EEENS1_59segmented_radix_sort_warp_sort_small_config_static_selectorELNS0_4arch9wavefront6targetE0EEEvSK_: ; @_ZN7rocprim17ROCPRIM_400000_NS6detail17trampoline_kernelINS0_14default_configENS1_36segmented_radix_sort_config_selectorIslEEZNS1_25segmented_radix_sort_implIS3_Lb0EPKsPsPKlPlN2at6native12_GLOBAL__N_18offset_tEEE10hipError_tPvRmT1_PNSt15iterator_traitsISK_E10value_typeET2_T3_PNSL_ISQ_E10value_typeET4_jRbjT5_SW_jjP12ihipStream_tbEUlT_E1_NS1_11comp_targetILNS1_3genE9ELNS1_11target_archE1100ELNS1_3gpuE3ELNS1_3repE0EEENS1_59segmented_radix_sort_warp_sort_small_config_static_selectorELNS0_4arch9wavefront6targetE0EEEvSK_
; %bb.0:
	.section	.rodata,"a",@progbits
	.p2align	6, 0x0
	.amdhsa_kernel _ZN7rocprim17ROCPRIM_400000_NS6detail17trampoline_kernelINS0_14default_configENS1_36segmented_radix_sort_config_selectorIslEEZNS1_25segmented_radix_sort_implIS3_Lb0EPKsPsPKlPlN2at6native12_GLOBAL__N_18offset_tEEE10hipError_tPvRmT1_PNSt15iterator_traitsISK_E10value_typeET2_T3_PNSL_ISQ_E10value_typeET4_jRbjT5_SW_jjP12ihipStream_tbEUlT_E1_NS1_11comp_targetILNS1_3genE9ELNS1_11target_archE1100ELNS1_3gpuE3ELNS1_3repE0EEENS1_59segmented_radix_sort_warp_sort_small_config_static_selectorELNS0_4arch9wavefront6targetE0EEEvSK_
		.amdhsa_group_segment_fixed_size 0
		.amdhsa_private_segment_fixed_size 0
		.amdhsa_kernarg_size 88
		.amdhsa_user_sgpr_count 6
		.amdhsa_user_sgpr_private_segment_buffer 1
		.amdhsa_user_sgpr_dispatch_ptr 0
		.amdhsa_user_sgpr_queue_ptr 0
		.amdhsa_user_sgpr_kernarg_segment_ptr 1
		.amdhsa_user_sgpr_dispatch_id 0
		.amdhsa_user_sgpr_flat_scratch_init 0
		.amdhsa_user_sgpr_private_segment_size 0
		.amdhsa_wavefront_size32 1
		.amdhsa_uses_dynamic_stack 0
		.amdhsa_system_sgpr_private_segment_wavefront_offset 0
		.amdhsa_system_sgpr_workgroup_id_x 1
		.amdhsa_system_sgpr_workgroup_id_y 0
		.amdhsa_system_sgpr_workgroup_id_z 0
		.amdhsa_system_sgpr_workgroup_info 0
		.amdhsa_system_vgpr_workitem_id 0
		.amdhsa_next_free_vgpr 1
		.amdhsa_next_free_sgpr 1
		.amdhsa_reserve_vcc 0
		.amdhsa_reserve_flat_scratch 0
		.amdhsa_float_round_mode_32 0
		.amdhsa_float_round_mode_16_64 0
		.amdhsa_float_denorm_mode_32 3
		.amdhsa_float_denorm_mode_16_64 3
		.amdhsa_dx10_clamp 1
		.amdhsa_ieee_mode 1
		.amdhsa_fp16_overflow 0
		.amdhsa_workgroup_processor_mode 1
		.amdhsa_memory_ordered 1
		.amdhsa_forward_progress 1
		.amdhsa_shared_vgpr_count 0
		.amdhsa_exception_fp_ieee_invalid_op 0
		.amdhsa_exception_fp_denorm_src 0
		.amdhsa_exception_fp_ieee_div_zero 0
		.amdhsa_exception_fp_ieee_overflow 0
		.amdhsa_exception_fp_ieee_underflow 0
		.amdhsa_exception_fp_ieee_inexact 0
		.amdhsa_exception_int_div_zero 0
	.end_amdhsa_kernel
	.section	.text._ZN7rocprim17ROCPRIM_400000_NS6detail17trampoline_kernelINS0_14default_configENS1_36segmented_radix_sort_config_selectorIslEEZNS1_25segmented_radix_sort_implIS3_Lb0EPKsPsPKlPlN2at6native12_GLOBAL__N_18offset_tEEE10hipError_tPvRmT1_PNSt15iterator_traitsISK_E10value_typeET2_T3_PNSL_ISQ_E10value_typeET4_jRbjT5_SW_jjP12ihipStream_tbEUlT_E1_NS1_11comp_targetILNS1_3genE9ELNS1_11target_archE1100ELNS1_3gpuE3ELNS1_3repE0EEENS1_59segmented_radix_sort_warp_sort_small_config_static_selectorELNS0_4arch9wavefront6targetE0EEEvSK_,"axG",@progbits,_ZN7rocprim17ROCPRIM_400000_NS6detail17trampoline_kernelINS0_14default_configENS1_36segmented_radix_sort_config_selectorIslEEZNS1_25segmented_radix_sort_implIS3_Lb0EPKsPsPKlPlN2at6native12_GLOBAL__N_18offset_tEEE10hipError_tPvRmT1_PNSt15iterator_traitsISK_E10value_typeET2_T3_PNSL_ISQ_E10value_typeET4_jRbjT5_SW_jjP12ihipStream_tbEUlT_E1_NS1_11comp_targetILNS1_3genE9ELNS1_11target_archE1100ELNS1_3gpuE3ELNS1_3repE0EEENS1_59segmented_radix_sort_warp_sort_small_config_static_selectorELNS0_4arch9wavefront6targetE0EEEvSK_,comdat
.Lfunc_end1034:
	.size	_ZN7rocprim17ROCPRIM_400000_NS6detail17trampoline_kernelINS0_14default_configENS1_36segmented_radix_sort_config_selectorIslEEZNS1_25segmented_radix_sort_implIS3_Lb0EPKsPsPKlPlN2at6native12_GLOBAL__N_18offset_tEEE10hipError_tPvRmT1_PNSt15iterator_traitsISK_E10value_typeET2_T3_PNSL_ISQ_E10value_typeET4_jRbjT5_SW_jjP12ihipStream_tbEUlT_E1_NS1_11comp_targetILNS1_3genE9ELNS1_11target_archE1100ELNS1_3gpuE3ELNS1_3repE0EEENS1_59segmented_radix_sort_warp_sort_small_config_static_selectorELNS0_4arch9wavefront6targetE0EEEvSK_, .Lfunc_end1034-_ZN7rocprim17ROCPRIM_400000_NS6detail17trampoline_kernelINS0_14default_configENS1_36segmented_radix_sort_config_selectorIslEEZNS1_25segmented_radix_sort_implIS3_Lb0EPKsPsPKlPlN2at6native12_GLOBAL__N_18offset_tEEE10hipError_tPvRmT1_PNSt15iterator_traitsISK_E10value_typeET2_T3_PNSL_ISQ_E10value_typeET4_jRbjT5_SW_jjP12ihipStream_tbEUlT_E1_NS1_11comp_targetILNS1_3genE9ELNS1_11target_archE1100ELNS1_3gpuE3ELNS1_3repE0EEENS1_59segmented_radix_sort_warp_sort_small_config_static_selectorELNS0_4arch9wavefront6targetE0EEEvSK_
                                        ; -- End function
	.set _ZN7rocprim17ROCPRIM_400000_NS6detail17trampoline_kernelINS0_14default_configENS1_36segmented_radix_sort_config_selectorIslEEZNS1_25segmented_radix_sort_implIS3_Lb0EPKsPsPKlPlN2at6native12_GLOBAL__N_18offset_tEEE10hipError_tPvRmT1_PNSt15iterator_traitsISK_E10value_typeET2_T3_PNSL_ISQ_E10value_typeET4_jRbjT5_SW_jjP12ihipStream_tbEUlT_E1_NS1_11comp_targetILNS1_3genE9ELNS1_11target_archE1100ELNS1_3gpuE3ELNS1_3repE0EEENS1_59segmented_radix_sort_warp_sort_small_config_static_selectorELNS0_4arch9wavefront6targetE0EEEvSK_.num_vgpr, 0
	.set _ZN7rocprim17ROCPRIM_400000_NS6detail17trampoline_kernelINS0_14default_configENS1_36segmented_radix_sort_config_selectorIslEEZNS1_25segmented_radix_sort_implIS3_Lb0EPKsPsPKlPlN2at6native12_GLOBAL__N_18offset_tEEE10hipError_tPvRmT1_PNSt15iterator_traitsISK_E10value_typeET2_T3_PNSL_ISQ_E10value_typeET4_jRbjT5_SW_jjP12ihipStream_tbEUlT_E1_NS1_11comp_targetILNS1_3genE9ELNS1_11target_archE1100ELNS1_3gpuE3ELNS1_3repE0EEENS1_59segmented_radix_sort_warp_sort_small_config_static_selectorELNS0_4arch9wavefront6targetE0EEEvSK_.num_agpr, 0
	.set _ZN7rocprim17ROCPRIM_400000_NS6detail17trampoline_kernelINS0_14default_configENS1_36segmented_radix_sort_config_selectorIslEEZNS1_25segmented_radix_sort_implIS3_Lb0EPKsPsPKlPlN2at6native12_GLOBAL__N_18offset_tEEE10hipError_tPvRmT1_PNSt15iterator_traitsISK_E10value_typeET2_T3_PNSL_ISQ_E10value_typeET4_jRbjT5_SW_jjP12ihipStream_tbEUlT_E1_NS1_11comp_targetILNS1_3genE9ELNS1_11target_archE1100ELNS1_3gpuE3ELNS1_3repE0EEENS1_59segmented_radix_sort_warp_sort_small_config_static_selectorELNS0_4arch9wavefront6targetE0EEEvSK_.numbered_sgpr, 0
	.set _ZN7rocprim17ROCPRIM_400000_NS6detail17trampoline_kernelINS0_14default_configENS1_36segmented_radix_sort_config_selectorIslEEZNS1_25segmented_radix_sort_implIS3_Lb0EPKsPsPKlPlN2at6native12_GLOBAL__N_18offset_tEEE10hipError_tPvRmT1_PNSt15iterator_traitsISK_E10value_typeET2_T3_PNSL_ISQ_E10value_typeET4_jRbjT5_SW_jjP12ihipStream_tbEUlT_E1_NS1_11comp_targetILNS1_3genE9ELNS1_11target_archE1100ELNS1_3gpuE3ELNS1_3repE0EEENS1_59segmented_radix_sort_warp_sort_small_config_static_selectorELNS0_4arch9wavefront6targetE0EEEvSK_.num_named_barrier, 0
	.set _ZN7rocprim17ROCPRIM_400000_NS6detail17trampoline_kernelINS0_14default_configENS1_36segmented_radix_sort_config_selectorIslEEZNS1_25segmented_radix_sort_implIS3_Lb0EPKsPsPKlPlN2at6native12_GLOBAL__N_18offset_tEEE10hipError_tPvRmT1_PNSt15iterator_traitsISK_E10value_typeET2_T3_PNSL_ISQ_E10value_typeET4_jRbjT5_SW_jjP12ihipStream_tbEUlT_E1_NS1_11comp_targetILNS1_3genE9ELNS1_11target_archE1100ELNS1_3gpuE3ELNS1_3repE0EEENS1_59segmented_radix_sort_warp_sort_small_config_static_selectorELNS0_4arch9wavefront6targetE0EEEvSK_.private_seg_size, 0
	.set _ZN7rocprim17ROCPRIM_400000_NS6detail17trampoline_kernelINS0_14default_configENS1_36segmented_radix_sort_config_selectorIslEEZNS1_25segmented_radix_sort_implIS3_Lb0EPKsPsPKlPlN2at6native12_GLOBAL__N_18offset_tEEE10hipError_tPvRmT1_PNSt15iterator_traitsISK_E10value_typeET2_T3_PNSL_ISQ_E10value_typeET4_jRbjT5_SW_jjP12ihipStream_tbEUlT_E1_NS1_11comp_targetILNS1_3genE9ELNS1_11target_archE1100ELNS1_3gpuE3ELNS1_3repE0EEENS1_59segmented_radix_sort_warp_sort_small_config_static_selectorELNS0_4arch9wavefront6targetE0EEEvSK_.uses_vcc, 0
	.set _ZN7rocprim17ROCPRIM_400000_NS6detail17trampoline_kernelINS0_14default_configENS1_36segmented_radix_sort_config_selectorIslEEZNS1_25segmented_radix_sort_implIS3_Lb0EPKsPsPKlPlN2at6native12_GLOBAL__N_18offset_tEEE10hipError_tPvRmT1_PNSt15iterator_traitsISK_E10value_typeET2_T3_PNSL_ISQ_E10value_typeET4_jRbjT5_SW_jjP12ihipStream_tbEUlT_E1_NS1_11comp_targetILNS1_3genE9ELNS1_11target_archE1100ELNS1_3gpuE3ELNS1_3repE0EEENS1_59segmented_radix_sort_warp_sort_small_config_static_selectorELNS0_4arch9wavefront6targetE0EEEvSK_.uses_flat_scratch, 0
	.set _ZN7rocprim17ROCPRIM_400000_NS6detail17trampoline_kernelINS0_14default_configENS1_36segmented_radix_sort_config_selectorIslEEZNS1_25segmented_radix_sort_implIS3_Lb0EPKsPsPKlPlN2at6native12_GLOBAL__N_18offset_tEEE10hipError_tPvRmT1_PNSt15iterator_traitsISK_E10value_typeET2_T3_PNSL_ISQ_E10value_typeET4_jRbjT5_SW_jjP12ihipStream_tbEUlT_E1_NS1_11comp_targetILNS1_3genE9ELNS1_11target_archE1100ELNS1_3gpuE3ELNS1_3repE0EEENS1_59segmented_radix_sort_warp_sort_small_config_static_selectorELNS0_4arch9wavefront6targetE0EEEvSK_.has_dyn_sized_stack, 0
	.set _ZN7rocprim17ROCPRIM_400000_NS6detail17trampoline_kernelINS0_14default_configENS1_36segmented_radix_sort_config_selectorIslEEZNS1_25segmented_radix_sort_implIS3_Lb0EPKsPsPKlPlN2at6native12_GLOBAL__N_18offset_tEEE10hipError_tPvRmT1_PNSt15iterator_traitsISK_E10value_typeET2_T3_PNSL_ISQ_E10value_typeET4_jRbjT5_SW_jjP12ihipStream_tbEUlT_E1_NS1_11comp_targetILNS1_3genE9ELNS1_11target_archE1100ELNS1_3gpuE3ELNS1_3repE0EEENS1_59segmented_radix_sort_warp_sort_small_config_static_selectorELNS0_4arch9wavefront6targetE0EEEvSK_.has_recursion, 0
	.set _ZN7rocprim17ROCPRIM_400000_NS6detail17trampoline_kernelINS0_14default_configENS1_36segmented_radix_sort_config_selectorIslEEZNS1_25segmented_radix_sort_implIS3_Lb0EPKsPsPKlPlN2at6native12_GLOBAL__N_18offset_tEEE10hipError_tPvRmT1_PNSt15iterator_traitsISK_E10value_typeET2_T3_PNSL_ISQ_E10value_typeET4_jRbjT5_SW_jjP12ihipStream_tbEUlT_E1_NS1_11comp_targetILNS1_3genE9ELNS1_11target_archE1100ELNS1_3gpuE3ELNS1_3repE0EEENS1_59segmented_radix_sort_warp_sort_small_config_static_selectorELNS0_4arch9wavefront6targetE0EEEvSK_.has_indirect_call, 0
	.section	.AMDGPU.csdata,"",@progbits
; Kernel info:
; codeLenInByte = 0
; TotalNumSgprs: 0
; NumVgprs: 0
; ScratchSize: 0
; MemoryBound: 0
; FloatMode: 240
; IeeeMode: 1
; LDSByteSize: 0 bytes/workgroup (compile time only)
; SGPRBlocks: 0
; VGPRBlocks: 0
; NumSGPRsForWavesPerEU: 1
; NumVGPRsForWavesPerEU: 1
; Occupancy: 16
; WaveLimiterHint : 0
; COMPUTE_PGM_RSRC2:SCRATCH_EN: 0
; COMPUTE_PGM_RSRC2:USER_SGPR: 6
; COMPUTE_PGM_RSRC2:TRAP_HANDLER: 0
; COMPUTE_PGM_RSRC2:TGID_X_EN: 1
; COMPUTE_PGM_RSRC2:TGID_Y_EN: 0
; COMPUTE_PGM_RSRC2:TGID_Z_EN: 0
; COMPUTE_PGM_RSRC2:TIDIG_COMP_CNT: 0
	.section	.text._ZN7rocprim17ROCPRIM_400000_NS6detail17trampoline_kernelINS0_14default_configENS1_36segmented_radix_sort_config_selectorIslEEZNS1_25segmented_radix_sort_implIS3_Lb0EPKsPsPKlPlN2at6native12_GLOBAL__N_18offset_tEEE10hipError_tPvRmT1_PNSt15iterator_traitsISK_E10value_typeET2_T3_PNSL_ISQ_E10value_typeET4_jRbjT5_SW_jjP12ihipStream_tbEUlT_E1_NS1_11comp_targetILNS1_3genE8ELNS1_11target_archE1030ELNS1_3gpuE2ELNS1_3repE0EEENS1_59segmented_radix_sort_warp_sort_small_config_static_selectorELNS0_4arch9wavefront6targetE0EEEvSK_,"axG",@progbits,_ZN7rocprim17ROCPRIM_400000_NS6detail17trampoline_kernelINS0_14default_configENS1_36segmented_radix_sort_config_selectorIslEEZNS1_25segmented_radix_sort_implIS3_Lb0EPKsPsPKlPlN2at6native12_GLOBAL__N_18offset_tEEE10hipError_tPvRmT1_PNSt15iterator_traitsISK_E10value_typeET2_T3_PNSL_ISQ_E10value_typeET4_jRbjT5_SW_jjP12ihipStream_tbEUlT_E1_NS1_11comp_targetILNS1_3genE8ELNS1_11target_archE1030ELNS1_3gpuE2ELNS1_3repE0EEENS1_59segmented_radix_sort_warp_sort_small_config_static_selectorELNS0_4arch9wavefront6targetE0EEEvSK_,comdat
	.globl	_ZN7rocprim17ROCPRIM_400000_NS6detail17trampoline_kernelINS0_14default_configENS1_36segmented_radix_sort_config_selectorIslEEZNS1_25segmented_radix_sort_implIS3_Lb0EPKsPsPKlPlN2at6native12_GLOBAL__N_18offset_tEEE10hipError_tPvRmT1_PNSt15iterator_traitsISK_E10value_typeET2_T3_PNSL_ISQ_E10value_typeET4_jRbjT5_SW_jjP12ihipStream_tbEUlT_E1_NS1_11comp_targetILNS1_3genE8ELNS1_11target_archE1030ELNS1_3gpuE2ELNS1_3repE0EEENS1_59segmented_radix_sort_warp_sort_small_config_static_selectorELNS0_4arch9wavefront6targetE0EEEvSK_ ; -- Begin function _ZN7rocprim17ROCPRIM_400000_NS6detail17trampoline_kernelINS0_14default_configENS1_36segmented_radix_sort_config_selectorIslEEZNS1_25segmented_radix_sort_implIS3_Lb0EPKsPsPKlPlN2at6native12_GLOBAL__N_18offset_tEEE10hipError_tPvRmT1_PNSt15iterator_traitsISK_E10value_typeET2_T3_PNSL_ISQ_E10value_typeET4_jRbjT5_SW_jjP12ihipStream_tbEUlT_E1_NS1_11comp_targetILNS1_3genE8ELNS1_11target_archE1030ELNS1_3gpuE2ELNS1_3repE0EEENS1_59segmented_radix_sort_warp_sort_small_config_static_selectorELNS0_4arch9wavefront6targetE0EEEvSK_
	.p2align	8
	.type	_ZN7rocprim17ROCPRIM_400000_NS6detail17trampoline_kernelINS0_14default_configENS1_36segmented_radix_sort_config_selectorIslEEZNS1_25segmented_radix_sort_implIS3_Lb0EPKsPsPKlPlN2at6native12_GLOBAL__N_18offset_tEEE10hipError_tPvRmT1_PNSt15iterator_traitsISK_E10value_typeET2_T3_PNSL_ISQ_E10value_typeET4_jRbjT5_SW_jjP12ihipStream_tbEUlT_E1_NS1_11comp_targetILNS1_3genE8ELNS1_11target_archE1030ELNS1_3gpuE2ELNS1_3repE0EEENS1_59segmented_radix_sort_warp_sort_small_config_static_selectorELNS0_4arch9wavefront6targetE0EEEvSK_,@function
_ZN7rocprim17ROCPRIM_400000_NS6detail17trampoline_kernelINS0_14default_configENS1_36segmented_radix_sort_config_selectorIslEEZNS1_25segmented_radix_sort_implIS3_Lb0EPKsPsPKlPlN2at6native12_GLOBAL__N_18offset_tEEE10hipError_tPvRmT1_PNSt15iterator_traitsISK_E10value_typeET2_T3_PNSL_ISQ_E10value_typeET4_jRbjT5_SW_jjP12ihipStream_tbEUlT_E1_NS1_11comp_targetILNS1_3genE8ELNS1_11target_archE1030ELNS1_3gpuE2ELNS1_3repE0EEENS1_59segmented_radix_sort_warp_sort_small_config_static_selectorELNS0_4arch9wavefront6targetE0EEEvSK_: ; @_ZN7rocprim17ROCPRIM_400000_NS6detail17trampoline_kernelINS0_14default_configENS1_36segmented_radix_sort_config_selectorIslEEZNS1_25segmented_radix_sort_implIS3_Lb0EPKsPsPKlPlN2at6native12_GLOBAL__N_18offset_tEEE10hipError_tPvRmT1_PNSt15iterator_traitsISK_E10value_typeET2_T3_PNSL_ISQ_E10value_typeET4_jRbjT5_SW_jjP12ihipStream_tbEUlT_E1_NS1_11comp_targetILNS1_3genE8ELNS1_11target_archE1030ELNS1_3gpuE2ELNS1_3repE0EEENS1_59segmented_radix_sort_warp_sort_small_config_static_selectorELNS0_4arch9wavefront6targetE0EEEvSK_
; %bb.0:
	s_add_u32 s0, s0, s8
	s_load_dword s8, s[4:5], 0x64
	s_addc_u32 s1, s1, 0
	s_mov_b32 s32, 0
	s_waitcnt lgkmcnt(0)
	s_lshr_b32 s9, s8, 16
	s_and_b32 s8, s8, 0xffff
	v_mad_u32_u24 v3, v2, s9, v1
	s_load_dword s9, s[4:5], 0x34
	v_mad_u64_u32 v[3:4], null, v3, s8, v[0:1]
	s_mov_b32 s8, exec_lo
	v_lshrrev_b32_e32 v3, 5, v3
	v_lshl_add_u32 v3, s6, 3, v3
	s_waitcnt lgkmcnt(0)
	v_cmpx_gt_u32_e64 s9, v3
	s_cbranch_execz .LBB1035_6
; %bb.1:
	s_clause 0x1
	s_load_dwordx2 s[12:13], s[4:5], 0x38
	s_load_dwordx4 s[8:11], s[4:5], 0x40
	v_mov_b32_e32 v4, 0
	v_lshlrev_b64 v[3:4], 2, v[3:4]
	s_waitcnt lgkmcnt(0)
	v_sub_co_u32 v3, vcc_lo, s12, v3
	v_sub_co_ci_u32_e64 v4, null, s13, v4, vcc_lo
	global_load_dword v3, v[3:4], off offset:-4
	s_waitcnt vmcnt(0)
	v_add_nc_u32_e32 v4, s9, v3
	v_add_nc_u32_e32 v3, s11, v3
	v_mul_lo_u32 v40, v4, s8
	v_mul_lo_u32 v41, v3, s10
	v_cmp_gt_u32_e32 vcc_lo, v41, v40
	s_and_b32 exec_lo, exec_lo, vcc_lo
	s_cbranch_execz .LBB1035_6
; %bb.2:
	s_clause 0x3
	s_load_dword s8, s[4:5], 0x30
	s_load_dwordx4 s[36:39], s[4:5], 0x20
	s_load_dwordx8 s[20:27], s[4:5], 0x0
	s_load_dwordx2 s[28:29], s[4:5], 0x50
	v_lshlrev_b32_e32 v43, 20, v2
	v_lshlrev_b32_e32 v44, 10, v1
	s_waitcnt lgkmcnt(0)
	s_bitcmp0_b32 s8, 0
	s_mov_b32 s8, -1
	s_cbranch_scc0 .LBB1035_4
; %bb.3:
	s_mov_b64 s[10:11], src_shared_base
	v_or3_b32 v31, v0, v44, v43
	v_mov_b32_e32 v42, v0
	v_mov_b32_e32 v0, s20
	;; [unrolled: 1-line block ×15, first 2 shown]
	s_add_u32 s8, s4, 0x58
	s_addc_u32 s9, s5, 0
	s_getpc_b64 s[14:15]
	s_add_u32 s14, s14, _ZN7rocprim17ROCPRIM_400000_NS6detail26segmented_warp_sort_helperINS1_20WarpSortHelperConfigILj32ELj4ELj256EEEslLi256ELb0EvE4sortIPKsPsPKlPlEEvT_T0_T1_T2_jjjjRNS5_12storage_typeE@rel32@lo+4
	s_addc_u32 s15, s15, _ZN7rocprim17ROCPRIM_400000_NS6detail26segmented_warp_sort_helperINS1_20WarpSortHelperConfigILj32ELj4ELj256EEEslLi256ELb0EvE4sortIPKsPsPKlPlEEvT_T0_T1_T2_jjjjRNS5_12storage_typeE@rel32@hi+12
	s_mov_b32 s12, s6
	s_mov_b32 s13, s7
	s_mov_b64 s[22:23], s[4:5]
	s_mov_b32 s19, s7
	s_mov_b32 s33, s6
	s_swappc_b64 s[30:31], s[14:15]
	v_mov_b32_e32 v0, v42
	s_mov_b32 s6, s33
	s_mov_b32 s7, s19
	s_mov_b64 s[4:5], s[22:23]
	s_mov_b32 s8, 0
.LBB1035_4:
	s_andn2_b32 vcc_lo, exec_lo, s8
	s_cbranch_vccnz .LBB1035_6
; %bb.5:
	s_mov_b64 s[10:11], src_shared_base
	v_or3_b32 v31, v0, v44, v43
	v_mov_b32_e32 v0, s20
	v_mov_b32_e32 v1, s21
	;; [unrolled: 1-line block ×14, first 2 shown]
	s_add_u32 s8, s4, 0x58
	s_addc_u32 s9, s5, 0
	s_getpc_b64 s[4:5]
	s_add_u32 s4, s4, _ZN7rocprim17ROCPRIM_400000_NS6detail26segmented_warp_sort_helperINS1_20WarpSortHelperConfigILj32ELj4ELj256EEEslLi256ELb0EvE4sortIPKsPsPKlPlEEvT_T0_T1_T2_jjjjRNS5_12storage_typeE@rel32@lo+4
	s_addc_u32 s5, s5, _ZN7rocprim17ROCPRIM_400000_NS6detail26segmented_warp_sort_helperINS1_20WarpSortHelperConfigILj32ELj4ELj256EEEslLi256ELb0EvE4sortIPKsPsPKlPlEEvT_T0_T1_T2_jjjjRNS5_12storage_typeE@rel32@hi+12
	s_mov_b32 s12, s6
	s_mov_b32 s13, s7
	s_swappc_b64 s[30:31], s[4:5]
.LBB1035_6:
	s_endpgm
	.section	.rodata,"a",@progbits
	.p2align	6, 0x0
	.amdhsa_kernel _ZN7rocprim17ROCPRIM_400000_NS6detail17trampoline_kernelINS0_14default_configENS1_36segmented_radix_sort_config_selectorIslEEZNS1_25segmented_radix_sort_implIS3_Lb0EPKsPsPKlPlN2at6native12_GLOBAL__N_18offset_tEEE10hipError_tPvRmT1_PNSt15iterator_traitsISK_E10value_typeET2_T3_PNSL_ISQ_E10value_typeET4_jRbjT5_SW_jjP12ihipStream_tbEUlT_E1_NS1_11comp_targetILNS1_3genE8ELNS1_11target_archE1030ELNS1_3gpuE2ELNS1_3repE0EEENS1_59segmented_radix_sort_warp_sort_small_config_static_selectorELNS0_4arch9wavefront6targetE0EEEvSK_
		.amdhsa_group_segment_fixed_size 10240
		.amdhsa_private_segment_fixed_size 0
		.amdhsa_kernarg_size 344
		.amdhsa_user_sgpr_count 6
		.amdhsa_user_sgpr_private_segment_buffer 1
		.amdhsa_user_sgpr_dispatch_ptr 0
		.amdhsa_user_sgpr_queue_ptr 0
		.amdhsa_user_sgpr_kernarg_segment_ptr 1
		.amdhsa_user_sgpr_dispatch_id 0
		.amdhsa_user_sgpr_flat_scratch_init 0
		.amdhsa_user_sgpr_private_segment_size 0
		.amdhsa_wavefront_size32 1
		.amdhsa_uses_dynamic_stack 0
		.amdhsa_system_sgpr_private_segment_wavefront_offset 0
		.amdhsa_system_sgpr_workgroup_id_x 1
		.amdhsa_system_sgpr_workgroup_id_y 1
		.amdhsa_system_sgpr_workgroup_id_z 0
		.amdhsa_system_sgpr_workgroup_info 0
		.amdhsa_system_vgpr_workitem_id 2
		.amdhsa_next_free_vgpr 54
		.amdhsa_next_free_sgpr 40
		.amdhsa_reserve_vcc 1
		.amdhsa_reserve_flat_scratch 0
		.amdhsa_float_round_mode_32 0
		.amdhsa_float_round_mode_16_64 0
		.amdhsa_float_denorm_mode_32 3
		.amdhsa_float_denorm_mode_16_64 3
		.amdhsa_dx10_clamp 1
		.amdhsa_ieee_mode 1
		.amdhsa_fp16_overflow 0
		.amdhsa_workgroup_processor_mode 1
		.amdhsa_memory_ordered 1
		.amdhsa_forward_progress 1
		.amdhsa_shared_vgpr_count 0
		.amdhsa_exception_fp_ieee_invalid_op 0
		.amdhsa_exception_fp_denorm_src 0
		.amdhsa_exception_fp_ieee_div_zero 0
		.amdhsa_exception_fp_ieee_overflow 0
		.amdhsa_exception_fp_ieee_underflow 0
		.amdhsa_exception_fp_ieee_inexact 0
		.amdhsa_exception_int_div_zero 0
	.end_amdhsa_kernel
	.section	.text._ZN7rocprim17ROCPRIM_400000_NS6detail17trampoline_kernelINS0_14default_configENS1_36segmented_radix_sort_config_selectorIslEEZNS1_25segmented_radix_sort_implIS3_Lb0EPKsPsPKlPlN2at6native12_GLOBAL__N_18offset_tEEE10hipError_tPvRmT1_PNSt15iterator_traitsISK_E10value_typeET2_T3_PNSL_ISQ_E10value_typeET4_jRbjT5_SW_jjP12ihipStream_tbEUlT_E1_NS1_11comp_targetILNS1_3genE8ELNS1_11target_archE1030ELNS1_3gpuE2ELNS1_3repE0EEENS1_59segmented_radix_sort_warp_sort_small_config_static_selectorELNS0_4arch9wavefront6targetE0EEEvSK_,"axG",@progbits,_ZN7rocprim17ROCPRIM_400000_NS6detail17trampoline_kernelINS0_14default_configENS1_36segmented_radix_sort_config_selectorIslEEZNS1_25segmented_radix_sort_implIS3_Lb0EPKsPsPKlPlN2at6native12_GLOBAL__N_18offset_tEEE10hipError_tPvRmT1_PNSt15iterator_traitsISK_E10value_typeET2_T3_PNSL_ISQ_E10value_typeET4_jRbjT5_SW_jjP12ihipStream_tbEUlT_E1_NS1_11comp_targetILNS1_3genE8ELNS1_11target_archE1030ELNS1_3gpuE2ELNS1_3repE0EEENS1_59segmented_radix_sort_warp_sort_small_config_static_selectorELNS0_4arch9wavefront6targetE0EEEvSK_,comdat
.Lfunc_end1035:
	.size	_ZN7rocprim17ROCPRIM_400000_NS6detail17trampoline_kernelINS0_14default_configENS1_36segmented_radix_sort_config_selectorIslEEZNS1_25segmented_radix_sort_implIS3_Lb0EPKsPsPKlPlN2at6native12_GLOBAL__N_18offset_tEEE10hipError_tPvRmT1_PNSt15iterator_traitsISK_E10value_typeET2_T3_PNSL_ISQ_E10value_typeET4_jRbjT5_SW_jjP12ihipStream_tbEUlT_E1_NS1_11comp_targetILNS1_3genE8ELNS1_11target_archE1030ELNS1_3gpuE2ELNS1_3repE0EEENS1_59segmented_radix_sort_warp_sort_small_config_static_selectorELNS0_4arch9wavefront6targetE0EEEvSK_, .Lfunc_end1035-_ZN7rocprim17ROCPRIM_400000_NS6detail17trampoline_kernelINS0_14default_configENS1_36segmented_radix_sort_config_selectorIslEEZNS1_25segmented_radix_sort_implIS3_Lb0EPKsPsPKlPlN2at6native12_GLOBAL__N_18offset_tEEE10hipError_tPvRmT1_PNSt15iterator_traitsISK_E10value_typeET2_T3_PNSL_ISQ_E10value_typeET4_jRbjT5_SW_jjP12ihipStream_tbEUlT_E1_NS1_11comp_targetILNS1_3genE8ELNS1_11target_archE1030ELNS1_3gpuE2ELNS1_3repE0EEENS1_59segmented_radix_sort_warp_sort_small_config_static_selectorELNS0_4arch9wavefront6targetE0EEEvSK_
                                        ; -- End function
	.set _ZN7rocprim17ROCPRIM_400000_NS6detail17trampoline_kernelINS0_14default_configENS1_36segmented_radix_sort_config_selectorIslEEZNS1_25segmented_radix_sort_implIS3_Lb0EPKsPsPKlPlN2at6native12_GLOBAL__N_18offset_tEEE10hipError_tPvRmT1_PNSt15iterator_traitsISK_E10value_typeET2_T3_PNSL_ISQ_E10value_typeET4_jRbjT5_SW_jjP12ihipStream_tbEUlT_E1_NS1_11comp_targetILNS1_3genE8ELNS1_11target_archE1030ELNS1_3gpuE2ELNS1_3repE0EEENS1_59segmented_radix_sort_warp_sort_small_config_static_selectorELNS0_4arch9wavefront6targetE0EEEvSK_.num_vgpr, max(45, .L_ZN7rocprim17ROCPRIM_400000_NS6detail26segmented_warp_sort_helperINS1_20WarpSortHelperConfigILj32ELj4ELj256EEEslLi256ELb0EvE4sortIPKsPsPKlPlEEvT_T0_T1_T2_jjjjRNS5_12storage_typeE.num_vgpr)
	.set _ZN7rocprim17ROCPRIM_400000_NS6detail17trampoline_kernelINS0_14default_configENS1_36segmented_radix_sort_config_selectorIslEEZNS1_25segmented_radix_sort_implIS3_Lb0EPKsPsPKlPlN2at6native12_GLOBAL__N_18offset_tEEE10hipError_tPvRmT1_PNSt15iterator_traitsISK_E10value_typeET2_T3_PNSL_ISQ_E10value_typeET4_jRbjT5_SW_jjP12ihipStream_tbEUlT_E1_NS1_11comp_targetILNS1_3genE8ELNS1_11target_archE1030ELNS1_3gpuE2ELNS1_3repE0EEENS1_59segmented_radix_sort_warp_sort_small_config_static_selectorELNS0_4arch9wavefront6targetE0EEEvSK_.num_agpr, max(0, .L_ZN7rocprim17ROCPRIM_400000_NS6detail26segmented_warp_sort_helperINS1_20WarpSortHelperConfigILj32ELj4ELj256EEEslLi256ELb0EvE4sortIPKsPsPKlPlEEvT_T0_T1_T2_jjjjRNS5_12storage_typeE.num_agpr)
	.set _ZN7rocprim17ROCPRIM_400000_NS6detail17trampoline_kernelINS0_14default_configENS1_36segmented_radix_sort_config_selectorIslEEZNS1_25segmented_radix_sort_implIS3_Lb0EPKsPsPKlPlN2at6native12_GLOBAL__N_18offset_tEEE10hipError_tPvRmT1_PNSt15iterator_traitsISK_E10value_typeET2_T3_PNSL_ISQ_E10value_typeET4_jRbjT5_SW_jjP12ihipStream_tbEUlT_E1_NS1_11comp_targetILNS1_3genE8ELNS1_11target_archE1030ELNS1_3gpuE2ELNS1_3repE0EEENS1_59segmented_radix_sort_warp_sort_small_config_static_selectorELNS0_4arch9wavefront6targetE0EEEvSK_.numbered_sgpr, max(40, .L_ZN7rocprim17ROCPRIM_400000_NS6detail26segmented_warp_sort_helperINS1_20WarpSortHelperConfigILj32ELj4ELj256EEEslLi256ELb0EvE4sortIPKsPsPKlPlEEvT_T0_T1_T2_jjjjRNS5_12storage_typeE.numbered_sgpr)
	.set _ZN7rocprim17ROCPRIM_400000_NS6detail17trampoline_kernelINS0_14default_configENS1_36segmented_radix_sort_config_selectorIslEEZNS1_25segmented_radix_sort_implIS3_Lb0EPKsPsPKlPlN2at6native12_GLOBAL__N_18offset_tEEE10hipError_tPvRmT1_PNSt15iterator_traitsISK_E10value_typeET2_T3_PNSL_ISQ_E10value_typeET4_jRbjT5_SW_jjP12ihipStream_tbEUlT_E1_NS1_11comp_targetILNS1_3genE8ELNS1_11target_archE1030ELNS1_3gpuE2ELNS1_3repE0EEENS1_59segmented_radix_sort_warp_sort_small_config_static_selectorELNS0_4arch9wavefront6targetE0EEEvSK_.num_named_barrier, max(0, .L_ZN7rocprim17ROCPRIM_400000_NS6detail26segmented_warp_sort_helperINS1_20WarpSortHelperConfigILj32ELj4ELj256EEEslLi256ELb0EvE4sortIPKsPsPKlPlEEvT_T0_T1_T2_jjjjRNS5_12storage_typeE.num_named_barrier)
	.set _ZN7rocprim17ROCPRIM_400000_NS6detail17trampoline_kernelINS0_14default_configENS1_36segmented_radix_sort_config_selectorIslEEZNS1_25segmented_radix_sort_implIS3_Lb0EPKsPsPKlPlN2at6native12_GLOBAL__N_18offset_tEEE10hipError_tPvRmT1_PNSt15iterator_traitsISK_E10value_typeET2_T3_PNSL_ISQ_E10value_typeET4_jRbjT5_SW_jjP12ihipStream_tbEUlT_E1_NS1_11comp_targetILNS1_3genE8ELNS1_11target_archE1030ELNS1_3gpuE2ELNS1_3repE0EEENS1_59segmented_radix_sort_warp_sort_small_config_static_selectorELNS0_4arch9wavefront6targetE0EEEvSK_.private_seg_size, 0+max(.L_ZN7rocprim17ROCPRIM_400000_NS6detail26segmented_warp_sort_helperINS1_20WarpSortHelperConfigILj32ELj4ELj256EEEslLi256ELb0EvE4sortIPKsPsPKlPlEEvT_T0_T1_T2_jjjjRNS5_12storage_typeE.private_seg_size)
	.set _ZN7rocprim17ROCPRIM_400000_NS6detail17trampoline_kernelINS0_14default_configENS1_36segmented_radix_sort_config_selectorIslEEZNS1_25segmented_radix_sort_implIS3_Lb0EPKsPsPKlPlN2at6native12_GLOBAL__N_18offset_tEEE10hipError_tPvRmT1_PNSt15iterator_traitsISK_E10value_typeET2_T3_PNSL_ISQ_E10value_typeET4_jRbjT5_SW_jjP12ihipStream_tbEUlT_E1_NS1_11comp_targetILNS1_3genE8ELNS1_11target_archE1030ELNS1_3gpuE2ELNS1_3repE0EEENS1_59segmented_radix_sort_warp_sort_small_config_static_selectorELNS0_4arch9wavefront6targetE0EEEvSK_.uses_vcc, or(1, .L_ZN7rocprim17ROCPRIM_400000_NS6detail26segmented_warp_sort_helperINS1_20WarpSortHelperConfigILj32ELj4ELj256EEEslLi256ELb0EvE4sortIPKsPsPKlPlEEvT_T0_T1_T2_jjjjRNS5_12storage_typeE.uses_vcc)
	.set _ZN7rocprim17ROCPRIM_400000_NS6detail17trampoline_kernelINS0_14default_configENS1_36segmented_radix_sort_config_selectorIslEEZNS1_25segmented_radix_sort_implIS3_Lb0EPKsPsPKlPlN2at6native12_GLOBAL__N_18offset_tEEE10hipError_tPvRmT1_PNSt15iterator_traitsISK_E10value_typeET2_T3_PNSL_ISQ_E10value_typeET4_jRbjT5_SW_jjP12ihipStream_tbEUlT_E1_NS1_11comp_targetILNS1_3genE8ELNS1_11target_archE1030ELNS1_3gpuE2ELNS1_3repE0EEENS1_59segmented_radix_sort_warp_sort_small_config_static_selectorELNS0_4arch9wavefront6targetE0EEEvSK_.uses_flat_scratch, or(0, .L_ZN7rocprim17ROCPRIM_400000_NS6detail26segmented_warp_sort_helperINS1_20WarpSortHelperConfigILj32ELj4ELj256EEEslLi256ELb0EvE4sortIPKsPsPKlPlEEvT_T0_T1_T2_jjjjRNS5_12storage_typeE.uses_flat_scratch)
	.set _ZN7rocprim17ROCPRIM_400000_NS6detail17trampoline_kernelINS0_14default_configENS1_36segmented_radix_sort_config_selectorIslEEZNS1_25segmented_radix_sort_implIS3_Lb0EPKsPsPKlPlN2at6native12_GLOBAL__N_18offset_tEEE10hipError_tPvRmT1_PNSt15iterator_traitsISK_E10value_typeET2_T3_PNSL_ISQ_E10value_typeET4_jRbjT5_SW_jjP12ihipStream_tbEUlT_E1_NS1_11comp_targetILNS1_3genE8ELNS1_11target_archE1030ELNS1_3gpuE2ELNS1_3repE0EEENS1_59segmented_radix_sort_warp_sort_small_config_static_selectorELNS0_4arch9wavefront6targetE0EEEvSK_.has_dyn_sized_stack, or(0, .L_ZN7rocprim17ROCPRIM_400000_NS6detail26segmented_warp_sort_helperINS1_20WarpSortHelperConfigILj32ELj4ELj256EEEslLi256ELb0EvE4sortIPKsPsPKlPlEEvT_T0_T1_T2_jjjjRNS5_12storage_typeE.has_dyn_sized_stack)
	.set _ZN7rocprim17ROCPRIM_400000_NS6detail17trampoline_kernelINS0_14default_configENS1_36segmented_radix_sort_config_selectorIslEEZNS1_25segmented_radix_sort_implIS3_Lb0EPKsPsPKlPlN2at6native12_GLOBAL__N_18offset_tEEE10hipError_tPvRmT1_PNSt15iterator_traitsISK_E10value_typeET2_T3_PNSL_ISQ_E10value_typeET4_jRbjT5_SW_jjP12ihipStream_tbEUlT_E1_NS1_11comp_targetILNS1_3genE8ELNS1_11target_archE1030ELNS1_3gpuE2ELNS1_3repE0EEENS1_59segmented_radix_sort_warp_sort_small_config_static_selectorELNS0_4arch9wavefront6targetE0EEEvSK_.has_recursion, or(0, .L_ZN7rocprim17ROCPRIM_400000_NS6detail26segmented_warp_sort_helperINS1_20WarpSortHelperConfigILj32ELj4ELj256EEEslLi256ELb0EvE4sortIPKsPsPKlPlEEvT_T0_T1_T2_jjjjRNS5_12storage_typeE.has_recursion)
	.set _ZN7rocprim17ROCPRIM_400000_NS6detail17trampoline_kernelINS0_14default_configENS1_36segmented_radix_sort_config_selectorIslEEZNS1_25segmented_radix_sort_implIS3_Lb0EPKsPsPKlPlN2at6native12_GLOBAL__N_18offset_tEEE10hipError_tPvRmT1_PNSt15iterator_traitsISK_E10value_typeET2_T3_PNSL_ISQ_E10value_typeET4_jRbjT5_SW_jjP12ihipStream_tbEUlT_E1_NS1_11comp_targetILNS1_3genE8ELNS1_11target_archE1030ELNS1_3gpuE2ELNS1_3repE0EEENS1_59segmented_radix_sort_warp_sort_small_config_static_selectorELNS0_4arch9wavefront6targetE0EEEvSK_.has_indirect_call, or(0, .L_ZN7rocprim17ROCPRIM_400000_NS6detail26segmented_warp_sort_helperINS1_20WarpSortHelperConfigILj32ELj4ELj256EEEslLi256ELb0EvE4sortIPKsPsPKlPlEEvT_T0_T1_T2_jjjjRNS5_12storage_typeE.has_indirect_call)
	.section	.AMDGPU.csdata,"",@progbits
; Kernel info:
; codeLenInByte = 524
; TotalNumSgprs: 42
; NumVgprs: 54
; ScratchSize: 0
; MemoryBound: 0
; FloatMode: 240
; IeeeMode: 1
; LDSByteSize: 10240 bytes/workgroup (compile time only)
; SGPRBlocks: 0
; VGPRBlocks: 6
; NumSGPRsForWavesPerEU: 42
; NumVGPRsForWavesPerEU: 54
; Occupancy: 16
; WaveLimiterHint : 0
; COMPUTE_PGM_RSRC2:SCRATCH_EN: 0
; COMPUTE_PGM_RSRC2:USER_SGPR: 6
; COMPUTE_PGM_RSRC2:TRAP_HANDLER: 0
; COMPUTE_PGM_RSRC2:TGID_X_EN: 1
; COMPUTE_PGM_RSRC2:TGID_Y_EN: 1
; COMPUTE_PGM_RSRC2:TGID_Z_EN: 0
; COMPUTE_PGM_RSRC2:TIDIG_COMP_CNT: 2
	.section	.text._ZN7rocprim17ROCPRIM_400000_NS6detail17trampoline_kernelINS0_14default_configENS1_36segmented_radix_sort_config_selectorIslEEZNS1_25segmented_radix_sort_implIS3_Lb0EPKsPsPKlPlN2at6native12_GLOBAL__N_18offset_tEEE10hipError_tPvRmT1_PNSt15iterator_traitsISK_E10value_typeET2_T3_PNSL_ISQ_E10value_typeET4_jRbjT5_SW_jjP12ihipStream_tbEUlT_E2_NS1_11comp_targetILNS1_3genE0ELNS1_11target_archE4294967295ELNS1_3gpuE0ELNS1_3repE0EEENS1_30default_config_static_selectorELNS0_4arch9wavefront6targetE0EEEvSK_,"axG",@progbits,_ZN7rocprim17ROCPRIM_400000_NS6detail17trampoline_kernelINS0_14default_configENS1_36segmented_radix_sort_config_selectorIslEEZNS1_25segmented_radix_sort_implIS3_Lb0EPKsPsPKlPlN2at6native12_GLOBAL__N_18offset_tEEE10hipError_tPvRmT1_PNSt15iterator_traitsISK_E10value_typeET2_T3_PNSL_ISQ_E10value_typeET4_jRbjT5_SW_jjP12ihipStream_tbEUlT_E2_NS1_11comp_targetILNS1_3genE0ELNS1_11target_archE4294967295ELNS1_3gpuE0ELNS1_3repE0EEENS1_30default_config_static_selectorELNS0_4arch9wavefront6targetE0EEEvSK_,comdat
	.globl	_ZN7rocprim17ROCPRIM_400000_NS6detail17trampoline_kernelINS0_14default_configENS1_36segmented_radix_sort_config_selectorIslEEZNS1_25segmented_radix_sort_implIS3_Lb0EPKsPsPKlPlN2at6native12_GLOBAL__N_18offset_tEEE10hipError_tPvRmT1_PNSt15iterator_traitsISK_E10value_typeET2_T3_PNSL_ISQ_E10value_typeET4_jRbjT5_SW_jjP12ihipStream_tbEUlT_E2_NS1_11comp_targetILNS1_3genE0ELNS1_11target_archE4294967295ELNS1_3gpuE0ELNS1_3repE0EEENS1_30default_config_static_selectorELNS0_4arch9wavefront6targetE0EEEvSK_ ; -- Begin function _ZN7rocprim17ROCPRIM_400000_NS6detail17trampoline_kernelINS0_14default_configENS1_36segmented_radix_sort_config_selectorIslEEZNS1_25segmented_radix_sort_implIS3_Lb0EPKsPsPKlPlN2at6native12_GLOBAL__N_18offset_tEEE10hipError_tPvRmT1_PNSt15iterator_traitsISK_E10value_typeET2_T3_PNSL_ISQ_E10value_typeET4_jRbjT5_SW_jjP12ihipStream_tbEUlT_E2_NS1_11comp_targetILNS1_3genE0ELNS1_11target_archE4294967295ELNS1_3gpuE0ELNS1_3repE0EEENS1_30default_config_static_selectorELNS0_4arch9wavefront6targetE0EEEvSK_
	.p2align	8
	.type	_ZN7rocprim17ROCPRIM_400000_NS6detail17trampoline_kernelINS0_14default_configENS1_36segmented_radix_sort_config_selectorIslEEZNS1_25segmented_radix_sort_implIS3_Lb0EPKsPsPKlPlN2at6native12_GLOBAL__N_18offset_tEEE10hipError_tPvRmT1_PNSt15iterator_traitsISK_E10value_typeET2_T3_PNSL_ISQ_E10value_typeET4_jRbjT5_SW_jjP12ihipStream_tbEUlT_E2_NS1_11comp_targetILNS1_3genE0ELNS1_11target_archE4294967295ELNS1_3gpuE0ELNS1_3repE0EEENS1_30default_config_static_selectorELNS0_4arch9wavefront6targetE0EEEvSK_,@function
_ZN7rocprim17ROCPRIM_400000_NS6detail17trampoline_kernelINS0_14default_configENS1_36segmented_radix_sort_config_selectorIslEEZNS1_25segmented_radix_sort_implIS3_Lb0EPKsPsPKlPlN2at6native12_GLOBAL__N_18offset_tEEE10hipError_tPvRmT1_PNSt15iterator_traitsISK_E10value_typeET2_T3_PNSL_ISQ_E10value_typeET4_jRbjT5_SW_jjP12ihipStream_tbEUlT_E2_NS1_11comp_targetILNS1_3genE0ELNS1_11target_archE4294967295ELNS1_3gpuE0ELNS1_3repE0EEENS1_30default_config_static_selectorELNS0_4arch9wavefront6targetE0EEEvSK_: ; @_ZN7rocprim17ROCPRIM_400000_NS6detail17trampoline_kernelINS0_14default_configENS1_36segmented_radix_sort_config_selectorIslEEZNS1_25segmented_radix_sort_implIS3_Lb0EPKsPsPKlPlN2at6native12_GLOBAL__N_18offset_tEEE10hipError_tPvRmT1_PNSt15iterator_traitsISK_E10value_typeET2_T3_PNSL_ISQ_E10value_typeET4_jRbjT5_SW_jjP12ihipStream_tbEUlT_E2_NS1_11comp_targetILNS1_3genE0ELNS1_11target_archE4294967295ELNS1_3gpuE0ELNS1_3repE0EEENS1_30default_config_static_selectorELNS0_4arch9wavefront6targetE0EEEvSK_
; %bb.0:
	.section	.rodata,"a",@progbits
	.p2align	6, 0x0
	.amdhsa_kernel _ZN7rocprim17ROCPRIM_400000_NS6detail17trampoline_kernelINS0_14default_configENS1_36segmented_radix_sort_config_selectorIslEEZNS1_25segmented_radix_sort_implIS3_Lb0EPKsPsPKlPlN2at6native12_GLOBAL__N_18offset_tEEE10hipError_tPvRmT1_PNSt15iterator_traitsISK_E10value_typeET2_T3_PNSL_ISQ_E10value_typeET4_jRbjT5_SW_jjP12ihipStream_tbEUlT_E2_NS1_11comp_targetILNS1_3genE0ELNS1_11target_archE4294967295ELNS1_3gpuE0ELNS1_3repE0EEENS1_30default_config_static_selectorELNS0_4arch9wavefront6targetE0EEEvSK_
		.amdhsa_group_segment_fixed_size 0
		.amdhsa_private_segment_fixed_size 0
		.amdhsa_kernarg_size 80
		.amdhsa_user_sgpr_count 6
		.amdhsa_user_sgpr_private_segment_buffer 1
		.amdhsa_user_sgpr_dispatch_ptr 0
		.amdhsa_user_sgpr_queue_ptr 0
		.amdhsa_user_sgpr_kernarg_segment_ptr 1
		.amdhsa_user_sgpr_dispatch_id 0
		.amdhsa_user_sgpr_flat_scratch_init 0
		.amdhsa_user_sgpr_private_segment_size 0
		.amdhsa_wavefront_size32 1
		.amdhsa_uses_dynamic_stack 0
		.amdhsa_system_sgpr_private_segment_wavefront_offset 0
		.amdhsa_system_sgpr_workgroup_id_x 1
		.amdhsa_system_sgpr_workgroup_id_y 0
		.amdhsa_system_sgpr_workgroup_id_z 0
		.amdhsa_system_sgpr_workgroup_info 0
		.amdhsa_system_vgpr_workitem_id 0
		.amdhsa_next_free_vgpr 1
		.amdhsa_next_free_sgpr 1
		.amdhsa_reserve_vcc 0
		.amdhsa_reserve_flat_scratch 0
		.amdhsa_float_round_mode_32 0
		.amdhsa_float_round_mode_16_64 0
		.amdhsa_float_denorm_mode_32 3
		.amdhsa_float_denorm_mode_16_64 3
		.amdhsa_dx10_clamp 1
		.amdhsa_ieee_mode 1
		.amdhsa_fp16_overflow 0
		.amdhsa_workgroup_processor_mode 1
		.amdhsa_memory_ordered 1
		.amdhsa_forward_progress 1
		.amdhsa_shared_vgpr_count 0
		.amdhsa_exception_fp_ieee_invalid_op 0
		.amdhsa_exception_fp_denorm_src 0
		.amdhsa_exception_fp_ieee_div_zero 0
		.amdhsa_exception_fp_ieee_overflow 0
		.amdhsa_exception_fp_ieee_underflow 0
		.amdhsa_exception_fp_ieee_inexact 0
		.amdhsa_exception_int_div_zero 0
	.end_amdhsa_kernel
	.section	.text._ZN7rocprim17ROCPRIM_400000_NS6detail17trampoline_kernelINS0_14default_configENS1_36segmented_radix_sort_config_selectorIslEEZNS1_25segmented_radix_sort_implIS3_Lb0EPKsPsPKlPlN2at6native12_GLOBAL__N_18offset_tEEE10hipError_tPvRmT1_PNSt15iterator_traitsISK_E10value_typeET2_T3_PNSL_ISQ_E10value_typeET4_jRbjT5_SW_jjP12ihipStream_tbEUlT_E2_NS1_11comp_targetILNS1_3genE0ELNS1_11target_archE4294967295ELNS1_3gpuE0ELNS1_3repE0EEENS1_30default_config_static_selectorELNS0_4arch9wavefront6targetE0EEEvSK_,"axG",@progbits,_ZN7rocprim17ROCPRIM_400000_NS6detail17trampoline_kernelINS0_14default_configENS1_36segmented_radix_sort_config_selectorIslEEZNS1_25segmented_radix_sort_implIS3_Lb0EPKsPsPKlPlN2at6native12_GLOBAL__N_18offset_tEEE10hipError_tPvRmT1_PNSt15iterator_traitsISK_E10value_typeET2_T3_PNSL_ISQ_E10value_typeET4_jRbjT5_SW_jjP12ihipStream_tbEUlT_E2_NS1_11comp_targetILNS1_3genE0ELNS1_11target_archE4294967295ELNS1_3gpuE0ELNS1_3repE0EEENS1_30default_config_static_selectorELNS0_4arch9wavefront6targetE0EEEvSK_,comdat
.Lfunc_end1036:
	.size	_ZN7rocprim17ROCPRIM_400000_NS6detail17trampoline_kernelINS0_14default_configENS1_36segmented_radix_sort_config_selectorIslEEZNS1_25segmented_radix_sort_implIS3_Lb0EPKsPsPKlPlN2at6native12_GLOBAL__N_18offset_tEEE10hipError_tPvRmT1_PNSt15iterator_traitsISK_E10value_typeET2_T3_PNSL_ISQ_E10value_typeET4_jRbjT5_SW_jjP12ihipStream_tbEUlT_E2_NS1_11comp_targetILNS1_3genE0ELNS1_11target_archE4294967295ELNS1_3gpuE0ELNS1_3repE0EEENS1_30default_config_static_selectorELNS0_4arch9wavefront6targetE0EEEvSK_, .Lfunc_end1036-_ZN7rocprim17ROCPRIM_400000_NS6detail17trampoline_kernelINS0_14default_configENS1_36segmented_radix_sort_config_selectorIslEEZNS1_25segmented_radix_sort_implIS3_Lb0EPKsPsPKlPlN2at6native12_GLOBAL__N_18offset_tEEE10hipError_tPvRmT1_PNSt15iterator_traitsISK_E10value_typeET2_T3_PNSL_ISQ_E10value_typeET4_jRbjT5_SW_jjP12ihipStream_tbEUlT_E2_NS1_11comp_targetILNS1_3genE0ELNS1_11target_archE4294967295ELNS1_3gpuE0ELNS1_3repE0EEENS1_30default_config_static_selectorELNS0_4arch9wavefront6targetE0EEEvSK_
                                        ; -- End function
	.set _ZN7rocprim17ROCPRIM_400000_NS6detail17trampoline_kernelINS0_14default_configENS1_36segmented_radix_sort_config_selectorIslEEZNS1_25segmented_radix_sort_implIS3_Lb0EPKsPsPKlPlN2at6native12_GLOBAL__N_18offset_tEEE10hipError_tPvRmT1_PNSt15iterator_traitsISK_E10value_typeET2_T3_PNSL_ISQ_E10value_typeET4_jRbjT5_SW_jjP12ihipStream_tbEUlT_E2_NS1_11comp_targetILNS1_3genE0ELNS1_11target_archE4294967295ELNS1_3gpuE0ELNS1_3repE0EEENS1_30default_config_static_selectorELNS0_4arch9wavefront6targetE0EEEvSK_.num_vgpr, 0
	.set _ZN7rocprim17ROCPRIM_400000_NS6detail17trampoline_kernelINS0_14default_configENS1_36segmented_radix_sort_config_selectorIslEEZNS1_25segmented_radix_sort_implIS3_Lb0EPKsPsPKlPlN2at6native12_GLOBAL__N_18offset_tEEE10hipError_tPvRmT1_PNSt15iterator_traitsISK_E10value_typeET2_T3_PNSL_ISQ_E10value_typeET4_jRbjT5_SW_jjP12ihipStream_tbEUlT_E2_NS1_11comp_targetILNS1_3genE0ELNS1_11target_archE4294967295ELNS1_3gpuE0ELNS1_3repE0EEENS1_30default_config_static_selectorELNS0_4arch9wavefront6targetE0EEEvSK_.num_agpr, 0
	.set _ZN7rocprim17ROCPRIM_400000_NS6detail17trampoline_kernelINS0_14default_configENS1_36segmented_radix_sort_config_selectorIslEEZNS1_25segmented_radix_sort_implIS3_Lb0EPKsPsPKlPlN2at6native12_GLOBAL__N_18offset_tEEE10hipError_tPvRmT1_PNSt15iterator_traitsISK_E10value_typeET2_T3_PNSL_ISQ_E10value_typeET4_jRbjT5_SW_jjP12ihipStream_tbEUlT_E2_NS1_11comp_targetILNS1_3genE0ELNS1_11target_archE4294967295ELNS1_3gpuE0ELNS1_3repE0EEENS1_30default_config_static_selectorELNS0_4arch9wavefront6targetE0EEEvSK_.numbered_sgpr, 0
	.set _ZN7rocprim17ROCPRIM_400000_NS6detail17trampoline_kernelINS0_14default_configENS1_36segmented_radix_sort_config_selectorIslEEZNS1_25segmented_radix_sort_implIS3_Lb0EPKsPsPKlPlN2at6native12_GLOBAL__N_18offset_tEEE10hipError_tPvRmT1_PNSt15iterator_traitsISK_E10value_typeET2_T3_PNSL_ISQ_E10value_typeET4_jRbjT5_SW_jjP12ihipStream_tbEUlT_E2_NS1_11comp_targetILNS1_3genE0ELNS1_11target_archE4294967295ELNS1_3gpuE0ELNS1_3repE0EEENS1_30default_config_static_selectorELNS0_4arch9wavefront6targetE0EEEvSK_.num_named_barrier, 0
	.set _ZN7rocprim17ROCPRIM_400000_NS6detail17trampoline_kernelINS0_14default_configENS1_36segmented_radix_sort_config_selectorIslEEZNS1_25segmented_radix_sort_implIS3_Lb0EPKsPsPKlPlN2at6native12_GLOBAL__N_18offset_tEEE10hipError_tPvRmT1_PNSt15iterator_traitsISK_E10value_typeET2_T3_PNSL_ISQ_E10value_typeET4_jRbjT5_SW_jjP12ihipStream_tbEUlT_E2_NS1_11comp_targetILNS1_3genE0ELNS1_11target_archE4294967295ELNS1_3gpuE0ELNS1_3repE0EEENS1_30default_config_static_selectorELNS0_4arch9wavefront6targetE0EEEvSK_.private_seg_size, 0
	.set _ZN7rocprim17ROCPRIM_400000_NS6detail17trampoline_kernelINS0_14default_configENS1_36segmented_radix_sort_config_selectorIslEEZNS1_25segmented_radix_sort_implIS3_Lb0EPKsPsPKlPlN2at6native12_GLOBAL__N_18offset_tEEE10hipError_tPvRmT1_PNSt15iterator_traitsISK_E10value_typeET2_T3_PNSL_ISQ_E10value_typeET4_jRbjT5_SW_jjP12ihipStream_tbEUlT_E2_NS1_11comp_targetILNS1_3genE0ELNS1_11target_archE4294967295ELNS1_3gpuE0ELNS1_3repE0EEENS1_30default_config_static_selectorELNS0_4arch9wavefront6targetE0EEEvSK_.uses_vcc, 0
	.set _ZN7rocprim17ROCPRIM_400000_NS6detail17trampoline_kernelINS0_14default_configENS1_36segmented_radix_sort_config_selectorIslEEZNS1_25segmented_radix_sort_implIS3_Lb0EPKsPsPKlPlN2at6native12_GLOBAL__N_18offset_tEEE10hipError_tPvRmT1_PNSt15iterator_traitsISK_E10value_typeET2_T3_PNSL_ISQ_E10value_typeET4_jRbjT5_SW_jjP12ihipStream_tbEUlT_E2_NS1_11comp_targetILNS1_3genE0ELNS1_11target_archE4294967295ELNS1_3gpuE0ELNS1_3repE0EEENS1_30default_config_static_selectorELNS0_4arch9wavefront6targetE0EEEvSK_.uses_flat_scratch, 0
	.set _ZN7rocprim17ROCPRIM_400000_NS6detail17trampoline_kernelINS0_14default_configENS1_36segmented_radix_sort_config_selectorIslEEZNS1_25segmented_radix_sort_implIS3_Lb0EPKsPsPKlPlN2at6native12_GLOBAL__N_18offset_tEEE10hipError_tPvRmT1_PNSt15iterator_traitsISK_E10value_typeET2_T3_PNSL_ISQ_E10value_typeET4_jRbjT5_SW_jjP12ihipStream_tbEUlT_E2_NS1_11comp_targetILNS1_3genE0ELNS1_11target_archE4294967295ELNS1_3gpuE0ELNS1_3repE0EEENS1_30default_config_static_selectorELNS0_4arch9wavefront6targetE0EEEvSK_.has_dyn_sized_stack, 0
	.set _ZN7rocprim17ROCPRIM_400000_NS6detail17trampoline_kernelINS0_14default_configENS1_36segmented_radix_sort_config_selectorIslEEZNS1_25segmented_radix_sort_implIS3_Lb0EPKsPsPKlPlN2at6native12_GLOBAL__N_18offset_tEEE10hipError_tPvRmT1_PNSt15iterator_traitsISK_E10value_typeET2_T3_PNSL_ISQ_E10value_typeET4_jRbjT5_SW_jjP12ihipStream_tbEUlT_E2_NS1_11comp_targetILNS1_3genE0ELNS1_11target_archE4294967295ELNS1_3gpuE0ELNS1_3repE0EEENS1_30default_config_static_selectorELNS0_4arch9wavefront6targetE0EEEvSK_.has_recursion, 0
	.set _ZN7rocprim17ROCPRIM_400000_NS6detail17trampoline_kernelINS0_14default_configENS1_36segmented_radix_sort_config_selectorIslEEZNS1_25segmented_radix_sort_implIS3_Lb0EPKsPsPKlPlN2at6native12_GLOBAL__N_18offset_tEEE10hipError_tPvRmT1_PNSt15iterator_traitsISK_E10value_typeET2_T3_PNSL_ISQ_E10value_typeET4_jRbjT5_SW_jjP12ihipStream_tbEUlT_E2_NS1_11comp_targetILNS1_3genE0ELNS1_11target_archE4294967295ELNS1_3gpuE0ELNS1_3repE0EEENS1_30default_config_static_selectorELNS0_4arch9wavefront6targetE0EEEvSK_.has_indirect_call, 0
	.section	.AMDGPU.csdata,"",@progbits
; Kernel info:
; codeLenInByte = 0
; TotalNumSgprs: 0
; NumVgprs: 0
; ScratchSize: 0
; MemoryBound: 0
; FloatMode: 240
; IeeeMode: 1
; LDSByteSize: 0 bytes/workgroup (compile time only)
; SGPRBlocks: 0
; VGPRBlocks: 0
; NumSGPRsForWavesPerEU: 1
; NumVGPRsForWavesPerEU: 1
; Occupancy: 16
; WaveLimiterHint : 0
; COMPUTE_PGM_RSRC2:SCRATCH_EN: 0
; COMPUTE_PGM_RSRC2:USER_SGPR: 6
; COMPUTE_PGM_RSRC2:TRAP_HANDLER: 0
; COMPUTE_PGM_RSRC2:TGID_X_EN: 1
; COMPUTE_PGM_RSRC2:TGID_Y_EN: 0
; COMPUTE_PGM_RSRC2:TGID_Z_EN: 0
; COMPUTE_PGM_RSRC2:TIDIG_COMP_CNT: 0
	.section	.text._ZN7rocprim17ROCPRIM_400000_NS6detail17trampoline_kernelINS0_14default_configENS1_36segmented_radix_sort_config_selectorIslEEZNS1_25segmented_radix_sort_implIS3_Lb0EPKsPsPKlPlN2at6native12_GLOBAL__N_18offset_tEEE10hipError_tPvRmT1_PNSt15iterator_traitsISK_E10value_typeET2_T3_PNSL_ISQ_E10value_typeET4_jRbjT5_SW_jjP12ihipStream_tbEUlT_E2_NS1_11comp_targetILNS1_3genE5ELNS1_11target_archE942ELNS1_3gpuE9ELNS1_3repE0EEENS1_30default_config_static_selectorELNS0_4arch9wavefront6targetE0EEEvSK_,"axG",@progbits,_ZN7rocprim17ROCPRIM_400000_NS6detail17trampoline_kernelINS0_14default_configENS1_36segmented_radix_sort_config_selectorIslEEZNS1_25segmented_radix_sort_implIS3_Lb0EPKsPsPKlPlN2at6native12_GLOBAL__N_18offset_tEEE10hipError_tPvRmT1_PNSt15iterator_traitsISK_E10value_typeET2_T3_PNSL_ISQ_E10value_typeET4_jRbjT5_SW_jjP12ihipStream_tbEUlT_E2_NS1_11comp_targetILNS1_3genE5ELNS1_11target_archE942ELNS1_3gpuE9ELNS1_3repE0EEENS1_30default_config_static_selectorELNS0_4arch9wavefront6targetE0EEEvSK_,comdat
	.globl	_ZN7rocprim17ROCPRIM_400000_NS6detail17trampoline_kernelINS0_14default_configENS1_36segmented_radix_sort_config_selectorIslEEZNS1_25segmented_radix_sort_implIS3_Lb0EPKsPsPKlPlN2at6native12_GLOBAL__N_18offset_tEEE10hipError_tPvRmT1_PNSt15iterator_traitsISK_E10value_typeET2_T3_PNSL_ISQ_E10value_typeET4_jRbjT5_SW_jjP12ihipStream_tbEUlT_E2_NS1_11comp_targetILNS1_3genE5ELNS1_11target_archE942ELNS1_3gpuE9ELNS1_3repE0EEENS1_30default_config_static_selectorELNS0_4arch9wavefront6targetE0EEEvSK_ ; -- Begin function _ZN7rocprim17ROCPRIM_400000_NS6detail17trampoline_kernelINS0_14default_configENS1_36segmented_radix_sort_config_selectorIslEEZNS1_25segmented_radix_sort_implIS3_Lb0EPKsPsPKlPlN2at6native12_GLOBAL__N_18offset_tEEE10hipError_tPvRmT1_PNSt15iterator_traitsISK_E10value_typeET2_T3_PNSL_ISQ_E10value_typeET4_jRbjT5_SW_jjP12ihipStream_tbEUlT_E2_NS1_11comp_targetILNS1_3genE5ELNS1_11target_archE942ELNS1_3gpuE9ELNS1_3repE0EEENS1_30default_config_static_selectorELNS0_4arch9wavefront6targetE0EEEvSK_
	.p2align	8
	.type	_ZN7rocprim17ROCPRIM_400000_NS6detail17trampoline_kernelINS0_14default_configENS1_36segmented_radix_sort_config_selectorIslEEZNS1_25segmented_radix_sort_implIS3_Lb0EPKsPsPKlPlN2at6native12_GLOBAL__N_18offset_tEEE10hipError_tPvRmT1_PNSt15iterator_traitsISK_E10value_typeET2_T3_PNSL_ISQ_E10value_typeET4_jRbjT5_SW_jjP12ihipStream_tbEUlT_E2_NS1_11comp_targetILNS1_3genE5ELNS1_11target_archE942ELNS1_3gpuE9ELNS1_3repE0EEENS1_30default_config_static_selectorELNS0_4arch9wavefront6targetE0EEEvSK_,@function
_ZN7rocprim17ROCPRIM_400000_NS6detail17trampoline_kernelINS0_14default_configENS1_36segmented_radix_sort_config_selectorIslEEZNS1_25segmented_radix_sort_implIS3_Lb0EPKsPsPKlPlN2at6native12_GLOBAL__N_18offset_tEEE10hipError_tPvRmT1_PNSt15iterator_traitsISK_E10value_typeET2_T3_PNSL_ISQ_E10value_typeET4_jRbjT5_SW_jjP12ihipStream_tbEUlT_E2_NS1_11comp_targetILNS1_3genE5ELNS1_11target_archE942ELNS1_3gpuE9ELNS1_3repE0EEENS1_30default_config_static_selectorELNS0_4arch9wavefront6targetE0EEEvSK_: ; @_ZN7rocprim17ROCPRIM_400000_NS6detail17trampoline_kernelINS0_14default_configENS1_36segmented_radix_sort_config_selectorIslEEZNS1_25segmented_radix_sort_implIS3_Lb0EPKsPsPKlPlN2at6native12_GLOBAL__N_18offset_tEEE10hipError_tPvRmT1_PNSt15iterator_traitsISK_E10value_typeET2_T3_PNSL_ISQ_E10value_typeET4_jRbjT5_SW_jjP12ihipStream_tbEUlT_E2_NS1_11comp_targetILNS1_3genE5ELNS1_11target_archE942ELNS1_3gpuE9ELNS1_3repE0EEENS1_30default_config_static_selectorELNS0_4arch9wavefront6targetE0EEEvSK_
; %bb.0:
	.section	.rodata,"a",@progbits
	.p2align	6, 0x0
	.amdhsa_kernel _ZN7rocprim17ROCPRIM_400000_NS6detail17trampoline_kernelINS0_14default_configENS1_36segmented_radix_sort_config_selectorIslEEZNS1_25segmented_radix_sort_implIS3_Lb0EPKsPsPKlPlN2at6native12_GLOBAL__N_18offset_tEEE10hipError_tPvRmT1_PNSt15iterator_traitsISK_E10value_typeET2_T3_PNSL_ISQ_E10value_typeET4_jRbjT5_SW_jjP12ihipStream_tbEUlT_E2_NS1_11comp_targetILNS1_3genE5ELNS1_11target_archE942ELNS1_3gpuE9ELNS1_3repE0EEENS1_30default_config_static_selectorELNS0_4arch9wavefront6targetE0EEEvSK_
		.amdhsa_group_segment_fixed_size 0
		.amdhsa_private_segment_fixed_size 0
		.amdhsa_kernarg_size 80
		.amdhsa_user_sgpr_count 6
		.amdhsa_user_sgpr_private_segment_buffer 1
		.amdhsa_user_sgpr_dispatch_ptr 0
		.amdhsa_user_sgpr_queue_ptr 0
		.amdhsa_user_sgpr_kernarg_segment_ptr 1
		.amdhsa_user_sgpr_dispatch_id 0
		.amdhsa_user_sgpr_flat_scratch_init 0
		.amdhsa_user_sgpr_private_segment_size 0
		.amdhsa_wavefront_size32 1
		.amdhsa_uses_dynamic_stack 0
		.amdhsa_system_sgpr_private_segment_wavefront_offset 0
		.amdhsa_system_sgpr_workgroup_id_x 1
		.amdhsa_system_sgpr_workgroup_id_y 0
		.amdhsa_system_sgpr_workgroup_id_z 0
		.amdhsa_system_sgpr_workgroup_info 0
		.amdhsa_system_vgpr_workitem_id 0
		.amdhsa_next_free_vgpr 1
		.amdhsa_next_free_sgpr 1
		.amdhsa_reserve_vcc 0
		.amdhsa_reserve_flat_scratch 0
		.amdhsa_float_round_mode_32 0
		.amdhsa_float_round_mode_16_64 0
		.amdhsa_float_denorm_mode_32 3
		.amdhsa_float_denorm_mode_16_64 3
		.amdhsa_dx10_clamp 1
		.amdhsa_ieee_mode 1
		.amdhsa_fp16_overflow 0
		.amdhsa_workgroup_processor_mode 1
		.amdhsa_memory_ordered 1
		.amdhsa_forward_progress 1
		.amdhsa_shared_vgpr_count 0
		.amdhsa_exception_fp_ieee_invalid_op 0
		.amdhsa_exception_fp_denorm_src 0
		.amdhsa_exception_fp_ieee_div_zero 0
		.amdhsa_exception_fp_ieee_overflow 0
		.amdhsa_exception_fp_ieee_underflow 0
		.amdhsa_exception_fp_ieee_inexact 0
		.amdhsa_exception_int_div_zero 0
	.end_amdhsa_kernel
	.section	.text._ZN7rocprim17ROCPRIM_400000_NS6detail17trampoline_kernelINS0_14default_configENS1_36segmented_radix_sort_config_selectorIslEEZNS1_25segmented_radix_sort_implIS3_Lb0EPKsPsPKlPlN2at6native12_GLOBAL__N_18offset_tEEE10hipError_tPvRmT1_PNSt15iterator_traitsISK_E10value_typeET2_T3_PNSL_ISQ_E10value_typeET4_jRbjT5_SW_jjP12ihipStream_tbEUlT_E2_NS1_11comp_targetILNS1_3genE5ELNS1_11target_archE942ELNS1_3gpuE9ELNS1_3repE0EEENS1_30default_config_static_selectorELNS0_4arch9wavefront6targetE0EEEvSK_,"axG",@progbits,_ZN7rocprim17ROCPRIM_400000_NS6detail17trampoline_kernelINS0_14default_configENS1_36segmented_radix_sort_config_selectorIslEEZNS1_25segmented_radix_sort_implIS3_Lb0EPKsPsPKlPlN2at6native12_GLOBAL__N_18offset_tEEE10hipError_tPvRmT1_PNSt15iterator_traitsISK_E10value_typeET2_T3_PNSL_ISQ_E10value_typeET4_jRbjT5_SW_jjP12ihipStream_tbEUlT_E2_NS1_11comp_targetILNS1_3genE5ELNS1_11target_archE942ELNS1_3gpuE9ELNS1_3repE0EEENS1_30default_config_static_selectorELNS0_4arch9wavefront6targetE0EEEvSK_,comdat
.Lfunc_end1037:
	.size	_ZN7rocprim17ROCPRIM_400000_NS6detail17trampoline_kernelINS0_14default_configENS1_36segmented_radix_sort_config_selectorIslEEZNS1_25segmented_radix_sort_implIS3_Lb0EPKsPsPKlPlN2at6native12_GLOBAL__N_18offset_tEEE10hipError_tPvRmT1_PNSt15iterator_traitsISK_E10value_typeET2_T3_PNSL_ISQ_E10value_typeET4_jRbjT5_SW_jjP12ihipStream_tbEUlT_E2_NS1_11comp_targetILNS1_3genE5ELNS1_11target_archE942ELNS1_3gpuE9ELNS1_3repE0EEENS1_30default_config_static_selectorELNS0_4arch9wavefront6targetE0EEEvSK_, .Lfunc_end1037-_ZN7rocprim17ROCPRIM_400000_NS6detail17trampoline_kernelINS0_14default_configENS1_36segmented_radix_sort_config_selectorIslEEZNS1_25segmented_radix_sort_implIS3_Lb0EPKsPsPKlPlN2at6native12_GLOBAL__N_18offset_tEEE10hipError_tPvRmT1_PNSt15iterator_traitsISK_E10value_typeET2_T3_PNSL_ISQ_E10value_typeET4_jRbjT5_SW_jjP12ihipStream_tbEUlT_E2_NS1_11comp_targetILNS1_3genE5ELNS1_11target_archE942ELNS1_3gpuE9ELNS1_3repE0EEENS1_30default_config_static_selectorELNS0_4arch9wavefront6targetE0EEEvSK_
                                        ; -- End function
	.set _ZN7rocprim17ROCPRIM_400000_NS6detail17trampoline_kernelINS0_14default_configENS1_36segmented_radix_sort_config_selectorIslEEZNS1_25segmented_radix_sort_implIS3_Lb0EPKsPsPKlPlN2at6native12_GLOBAL__N_18offset_tEEE10hipError_tPvRmT1_PNSt15iterator_traitsISK_E10value_typeET2_T3_PNSL_ISQ_E10value_typeET4_jRbjT5_SW_jjP12ihipStream_tbEUlT_E2_NS1_11comp_targetILNS1_3genE5ELNS1_11target_archE942ELNS1_3gpuE9ELNS1_3repE0EEENS1_30default_config_static_selectorELNS0_4arch9wavefront6targetE0EEEvSK_.num_vgpr, 0
	.set _ZN7rocprim17ROCPRIM_400000_NS6detail17trampoline_kernelINS0_14default_configENS1_36segmented_radix_sort_config_selectorIslEEZNS1_25segmented_radix_sort_implIS3_Lb0EPKsPsPKlPlN2at6native12_GLOBAL__N_18offset_tEEE10hipError_tPvRmT1_PNSt15iterator_traitsISK_E10value_typeET2_T3_PNSL_ISQ_E10value_typeET4_jRbjT5_SW_jjP12ihipStream_tbEUlT_E2_NS1_11comp_targetILNS1_3genE5ELNS1_11target_archE942ELNS1_3gpuE9ELNS1_3repE0EEENS1_30default_config_static_selectorELNS0_4arch9wavefront6targetE0EEEvSK_.num_agpr, 0
	.set _ZN7rocprim17ROCPRIM_400000_NS6detail17trampoline_kernelINS0_14default_configENS1_36segmented_radix_sort_config_selectorIslEEZNS1_25segmented_radix_sort_implIS3_Lb0EPKsPsPKlPlN2at6native12_GLOBAL__N_18offset_tEEE10hipError_tPvRmT1_PNSt15iterator_traitsISK_E10value_typeET2_T3_PNSL_ISQ_E10value_typeET4_jRbjT5_SW_jjP12ihipStream_tbEUlT_E2_NS1_11comp_targetILNS1_3genE5ELNS1_11target_archE942ELNS1_3gpuE9ELNS1_3repE0EEENS1_30default_config_static_selectorELNS0_4arch9wavefront6targetE0EEEvSK_.numbered_sgpr, 0
	.set _ZN7rocprim17ROCPRIM_400000_NS6detail17trampoline_kernelINS0_14default_configENS1_36segmented_radix_sort_config_selectorIslEEZNS1_25segmented_radix_sort_implIS3_Lb0EPKsPsPKlPlN2at6native12_GLOBAL__N_18offset_tEEE10hipError_tPvRmT1_PNSt15iterator_traitsISK_E10value_typeET2_T3_PNSL_ISQ_E10value_typeET4_jRbjT5_SW_jjP12ihipStream_tbEUlT_E2_NS1_11comp_targetILNS1_3genE5ELNS1_11target_archE942ELNS1_3gpuE9ELNS1_3repE0EEENS1_30default_config_static_selectorELNS0_4arch9wavefront6targetE0EEEvSK_.num_named_barrier, 0
	.set _ZN7rocprim17ROCPRIM_400000_NS6detail17trampoline_kernelINS0_14default_configENS1_36segmented_radix_sort_config_selectorIslEEZNS1_25segmented_radix_sort_implIS3_Lb0EPKsPsPKlPlN2at6native12_GLOBAL__N_18offset_tEEE10hipError_tPvRmT1_PNSt15iterator_traitsISK_E10value_typeET2_T3_PNSL_ISQ_E10value_typeET4_jRbjT5_SW_jjP12ihipStream_tbEUlT_E2_NS1_11comp_targetILNS1_3genE5ELNS1_11target_archE942ELNS1_3gpuE9ELNS1_3repE0EEENS1_30default_config_static_selectorELNS0_4arch9wavefront6targetE0EEEvSK_.private_seg_size, 0
	.set _ZN7rocprim17ROCPRIM_400000_NS6detail17trampoline_kernelINS0_14default_configENS1_36segmented_radix_sort_config_selectorIslEEZNS1_25segmented_radix_sort_implIS3_Lb0EPKsPsPKlPlN2at6native12_GLOBAL__N_18offset_tEEE10hipError_tPvRmT1_PNSt15iterator_traitsISK_E10value_typeET2_T3_PNSL_ISQ_E10value_typeET4_jRbjT5_SW_jjP12ihipStream_tbEUlT_E2_NS1_11comp_targetILNS1_3genE5ELNS1_11target_archE942ELNS1_3gpuE9ELNS1_3repE0EEENS1_30default_config_static_selectorELNS0_4arch9wavefront6targetE0EEEvSK_.uses_vcc, 0
	.set _ZN7rocprim17ROCPRIM_400000_NS6detail17trampoline_kernelINS0_14default_configENS1_36segmented_radix_sort_config_selectorIslEEZNS1_25segmented_radix_sort_implIS3_Lb0EPKsPsPKlPlN2at6native12_GLOBAL__N_18offset_tEEE10hipError_tPvRmT1_PNSt15iterator_traitsISK_E10value_typeET2_T3_PNSL_ISQ_E10value_typeET4_jRbjT5_SW_jjP12ihipStream_tbEUlT_E2_NS1_11comp_targetILNS1_3genE5ELNS1_11target_archE942ELNS1_3gpuE9ELNS1_3repE0EEENS1_30default_config_static_selectorELNS0_4arch9wavefront6targetE0EEEvSK_.uses_flat_scratch, 0
	.set _ZN7rocprim17ROCPRIM_400000_NS6detail17trampoline_kernelINS0_14default_configENS1_36segmented_radix_sort_config_selectorIslEEZNS1_25segmented_radix_sort_implIS3_Lb0EPKsPsPKlPlN2at6native12_GLOBAL__N_18offset_tEEE10hipError_tPvRmT1_PNSt15iterator_traitsISK_E10value_typeET2_T3_PNSL_ISQ_E10value_typeET4_jRbjT5_SW_jjP12ihipStream_tbEUlT_E2_NS1_11comp_targetILNS1_3genE5ELNS1_11target_archE942ELNS1_3gpuE9ELNS1_3repE0EEENS1_30default_config_static_selectorELNS0_4arch9wavefront6targetE0EEEvSK_.has_dyn_sized_stack, 0
	.set _ZN7rocprim17ROCPRIM_400000_NS6detail17trampoline_kernelINS0_14default_configENS1_36segmented_radix_sort_config_selectorIslEEZNS1_25segmented_radix_sort_implIS3_Lb0EPKsPsPKlPlN2at6native12_GLOBAL__N_18offset_tEEE10hipError_tPvRmT1_PNSt15iterator_traitsISK_E10value_typeET2_T3_PNSL_ISQ_E10value_typeET4_jRbjT5_SW_jjP12ihipStream_tbEUlT_E2_NS1_11comp_targetILNS1_3genE5ELNS1_11target_archE942ELNS1_3gpuE9ELNS1_3repE0EEENS1_30default_config_static_selectorELNS0_4arch9wavefront6targetE0EEEvSK_.has_recursion, 0
	.set _ZN7rocprim17ROCPRIM_400000_NS6detail17trampoline_kernelINS0_14default_configENS1_36segmented_radix_sort_config_selectorIslEEZNS1_25segmented_radix_sort_implIS3_Lb0EPKsPsPKlPlN2at6native12_GLOBAL__N_18offset_tEEE10hipError_tPvRmT1_PNSt15iterator_traitsISK_E10value_typeET2_T3_PNSL_ISQ_E10value_typeET4_jRbjT5_SW_jjP12ihipStream_tbEUlT_E2_NS1_11comp_targetILNS1_3genE5ELNS1_11target_archE942ELNS1_3gpuE9ELNS1_3repE0EEENS1_30default_config_static_selectorELNS0_4arch9wavefront6targetE0EEEvSK_.has_indirect_call, 0
	.section	.AMDGPU.csdata,"",@progbits
; Kernel info:
; codeLenInByte = 0
; TotalNumSgprs: 0
; NumVgprs: 0
; ScratchSize: 0
; MemoryBound: 0
; FloatMode: 240
; IeeeMode: 1
; LDSByteSize: 0 bytes/workgroup (compile time only)
; SGPRBlocks: 0
; VGPRBlocks: 0
; NumSGPRsForWavesPerEU: 1
; NumVGPRsForWavesPerEU: 1
; Occupancy: 16
; WaveLimiterHint : 0
; COMPUTE_PGM_RSRC2:SCRATCH_EN: 0
; COMPUTE_PGM_RSRC2:USER_SGPR: 6
; COMPUTE_PGM_RSRC2:TRAP_HANDLER: 0
; COMPUTE_PGM_RSRC2:TGID_X_EN: 1
; COMPUTE_PGM_RSRC2:TGID_Y_EN: 0
; COMPUTE_PGM_RSRC2:TGID_Z_EN: 0
; COMPUTE_PGM_RSRC2:TIDIG_COMP_CNT: 0
	.section	.text._ZN7rocprim17ROCPRIM_400000_NS6detail17trampoline_kernelINS0_14default_configENS1_36segmented_radix_sort_config_selectorIslEEZNS1_25segmented_radix_sort_implIS3_Lb0EPKsPsPKlPlN2at6native12_GLOBAL__N_18offset_tEEE10hipError_tPvRmT1_PNSt15iterator_traitsISK_E10value_typeET2_T3_PNSL_ISQ_E10value_typeET4_jRbjT5_SW_jjP12ihipStream_tbEUlT_E2_NS1_11comp_targetILNS1_3genE4ELNS1_11target_archE910ELNS1_3gpuE8ELNS1_3repE0EEENS1_30default_config_static_selectorELNS0_4arch9wavefront6targetE0EEEvSK_,"axG",@progbits,_ZN7rocprim17ROCPRIM_400000_NS6detail17trampoline_kernelINS0_14default_configENS1_36segmented_radix_sort_config_selectorIslEEZNS1_25segmented_radix_sort_implIS3_Lb0EPKsPsPKlPlN2at6native12_GLOBAL__N_18offset_tEEE10hipError_tPvRmT1_PNSt15iterator_traitsISK_E10value_typeET2_T3_PNSL_ISQ_E10value_typeET4_jRbjT5_SW_jjP12ihipStream_tbEUlT_E2_NS1_11comp_targetILNS1_3genE4ELNS1_11target_archE910ELNS1_3gpuE8ELNS1_3repE0EEENS1_30default_config_static_selectorELNS0_4arch9wavefront6targetE0EEEvSK_,comdat
	.globl	_ZN7rocprim17ROCPRIM_400000_NS6detail17trampoline_kernelINS0_14default_configENS1_36segmented_radix_sort_config_selectorIslEEZNS1_25segmented_radix_sort_implIS3_Lb0EPKsPsPKlPlN2at6native12_GLOBAL__N_18offset_tEEE10hipError_tPvRmT1_PNSt15iterator_traitsISK_E10value_typeET2_T3_PNSL_ISQ_E10value_typeET4_jRbjT5_SW_jjP12ihipStream_tbEUlT_E2_NS1_11comp_targetILNS1_3genE4ELNS1_11target_archE910ELNS1_3gpuE8ELNS1_3repE0EEENS1_30default_config_static_selectorELNS0_4arch9wavefront6targetE0EEEvSK_ ; -- Begin function _ZN7rocprim17ROCPRIM_400000_NS6detail17trampoline_kernelINS0_14default_configENS1_36segmented_radix_sort_config_selectorIslEEZNS1_25segmented_radix_sort_implIS3_Lb0EPKsPsPKlPlN2at6native12_GLOBAL__N_18offset_tEEE10hipError_tPvRmT1_PNSt15iterator_traitsISK_E10value_typeET2_T3_PNSL_ISQ_E10value_typeET4_jRbjT5_SW_jjP12ihipStream_tbEUlT_E2_NS1_11comp_targetILNS1_3genE4ELNS1_11target_archE910ELNS1_3gpuE8ELNS1_3repE0EEENS1_30default_config_static_selectorELNS0_4arch9wavefront6targetE0EEEvSK_
	.p2align	8
	.type	_ZN7rocprim17ROCPRIM_400000_NS6detail17trampoline_kernelINS0_14default_configENS1_36segmented_radix_sort_config_selectorIslEEZNS1_25segmented_radix_sort_implIS3_Lb0EPKsPsPKlPlN2at6native12_GLOBAL__N_18offset_tEEE10hipError_tPvRmT1_PNSt15iterator_traitsISK_E10value_typeET2_T3_PNSL_ISQ_E10value_typeET4_jRbjT5_SW_jjP12ihipStream_tbEUlT_E2_NS1_11comp_targetILNS1_3genE4ELNS1_11target_archE910ELNS1_3gpuE8ELNS1_3repE0EEENS1_30default_config_static_selectorELNS0_4arch9wavefront6targetE0EEEvSK_,@function
_ZN7rocprim17ROCPRIM_400000_NS6detail17trampoline_kernelINS0_14default_configENS1_36segmented_radix_sort_config_selectorIslEEZNS1_25segmented_radix_sort_implIS3_Lb0EPKsPsPKlPlN2at6native12_GLOBAL__N_18offset_tEEE10hipError_tPvRmT1_PNSt15iterator_traitsISK_E10value_typeET2_T3_PNSL_ISQ_E10value_typeET4_jRbjT5_SW_jjP12ihipStream_tbEUlT_E2_NS1_11comp_targetILNS1_3genE4ELNS1_11target_archE910ELNS1_3gpuE8ELNS1_3repE0EEENS1_30default_config_static_selectorELNS0_4arch9wavefront6targetE0EEEvSK_: ; @_ZN7rocprim17ROCPRIM_400000_NS6detail17trampoline_kernelINS0_14default_configENS1_36segmented_radix_sort_config_selectorIslEEZNS1_25segmented_radix_sort_implIS3_Lb0EPKsPsPKlPlN2at6native12_GLOBAL__N_18offset_tEEE10hipError_tPvRmT1_PNSt15iterator_traitsISK_E10value_typeET2_T3_PNSL_ISQ_E10value_typeET4_jRbjT5_SW_jjP12ihipStream_tbEUlT_E2_NS1_11comp_targetILNS1_3genE4ELNS1_11target_archE910ELNS1_3gpuE8ELNS1_3repE0EEENS1_30default_config_static_selectorELNS0_4arch9wavefront6targetE0EEEvSK_
; %bb.0:
	.section	.rodata,"a",@progbits
	.p2align	6, 0x0
	.amdhsa_kernel _ZN7rocprim17ROCPRIM_400000_NS6detail17trampoline_kernelINS0_14default_configENS1_36segmented_radix_sort_config_selectorIslEEZNS1_25segmented_radix_sort_implIS3_Lb0EPKsPsPKlPlN2at6native12_GLOBAL__N_18offset_tEEE10hipError_tPvRmT1_PNSt15iterator_traitsISK_E10value_typeET2_T3_PNSL_ISQ_E10value_typeET4_jRbjT5_SW_jjP12ihipStream_tbEUlT_E2_NS1_11comp_targetILNS1_3genE4ELNS1_11target_archE910ELNS1_3gpuE8ELNS1_3repE0EEENS1_30default_config_static_selectorELNS0_4arch9wavefront6targetE0EEEvSK_
		.amdhsa_group_segment_fixed_size 0
		.amdhsa_private_segment_fixed_size 0
		.amdhsa_kernarg_size 80
		.amdhsa_user_sgpr_count 6
		.amdhsa_user_sgpr_private_segment_buffer 1
		.amdhsa_user_sgpr_dispatch_ptr 0
		.amdhsa_user_sgpr_queue_ptr 0
		.amdhsa_user_sgpr_kernarg_segment_ptr 1
		.amdhsa_user_sgpr_dispatch_id 0
		.amdhsa_user_sgpr_flat_scratch_init 0
		.amdhsa_user_sgpr_private_segment_size 0
		.amdhsa_wavefront_size32 1
		.amdhsa_uses_dynamic_stack 0
		.amdhsa_system_sgpr_private_segment_wavefront_offset 0
		.amdhsa_system_sgpr_workgroup_id_x 1
		.amdhsa_system_sgpr_workgroup_id_y 0
		.amdhsa_system_sgpr_workgroup_id_z 0
		.amdhsa_system_sgpr_workgroup_info 0
		.amdhsa_system_vgpr_workitem_id 0
		.amdhsa_next_free_vgpr 1
		.amdhsa_next_free_sgpr 1
		.amdhsa_reserve_vcc 0
		.amdhsa_reserve_flat_scratch 0
		.amdhsa_float_round_mode_32 0
		.amdhsa_float_round_mode_16_64 0
		.amdhsa_float_denorm_mode_32 3
		.amdhsa_float_denorm_mode_16_64 3
		.amdhsa_dx10_clamp 1
		.amdhsa_ieee_mode 1
		.amdhsa_fp16_overflow 0
		.amdhsa_workgroup_processor_mode 1
		.amdhsa_memory_ordered 1
		.amdhsa_forward_progress 1
		.amdhsa_shared_vgpr_count 0
		.amdhsa_exception_fp_ieee_invalid_op 0
		.amdhsa_exception_fp_denorm_src 0
		.amdhsa_exception_fp_ieee_div_zero 0
		.amdhsa_exception_fp_ieee_overflow 0
		.amdhsa_exception_fp_ieee_underflow 0
		.amdhsa_exception_fp_ieee_inexact 0
		.amdhsa_exception_int_div_zero 0
	.end_amdhsa_kernel
	.section	.text._ZN7rocprim17ROCPRIM_400000_NS6detail17trampoline_kernelINS0_14default_configENS1_36segmented_radix_sort_config_selectorIslEEZNS1_25segmented_radix_sort_implIS3_Lb0EPKsPsPKlPlN2at6native12_GLOBAL__N_18offset_tEEE10hipError_tPvRmT1_PNSt15iterator_traitsISK_E10value_typeET2_T3_PNSL_ISQ_E10value_typeET4_jRbjT5_SW_jjP12ihipStream_tbEUlT_E2_NS1_11comp_targetILNS1_3genE4ELNS1_11target_archE910ELNS1_3gpuE8ELNS1_3repE0EEENS1_30default_config_static_selectorELNS0_4arch9wavefront6targetE0EEEvSK_,"axG",@progbits,_ZN7rocprim17ROCPRIM_400000_NS6detail17trampoline_kernelINS0_14default_configENS1_36segmented_radix_sort_config_selectorIslEEZNS1_25segmented_radix_sort_implIS3_Lb0EPKsPsPKlPlN2at6native12_GLOBAL__N_18offset_tEEE10hipError_tPvRmT1_PNSt15iterator_traitsISK_E10value_typeET2_T3_PNSL_ISQ_E10value_typeET4_jRbjT5_SW_jjP12ihipStream_tbEUlT_E2_NS1_11comp_targetILNS1_3genE4ELNS1_11target_archE910ELNS1_3gpuE8ELNS1_3repE0EEENS1_30default_config_static_selectorELNS0_4arch9wavefront6targetE0EEEvSK_,comdat
.Lfunc_end1038:
	.size	_ZN7rocprim17ROCPRIM_400000_NS6detail17trampoline_kernelINS0_14default_configENS1_36segmented_radix_sort_config_selectorIslEEZNS1_25segmented_radix_sort_implIS3_Lb0EPKsPsPKlPlN2at6native12_GLOBAL__N_18offset_tEEE10hipError_tPvRmT1_PNSt15iterator_traitsISK_E10value_typeET2_T3_PNSL_ISQ_E10value_typeET4_jRbjT5_SW_jjP12ihipStream_tbEUlT_E2_NS1_11comp_targetILNS1_3genE4ELNS1_11target_archE910ELNS1_3gpuE8ELNS1_3repE0EEENS1_30default_config_static_selectorELNS0_4arch9wavefront6targetE0EEEvSK_, .Lfunc_end1038-_ZN7rocprim17ROCPRIM_400000_NS6detail17trampoline_kernelINS0_14default_configENS1_36segmented_radix_sort_config_selectorIslEEZNS1_25segmented_radix_sort_implIS3_Lb0EPKsPsPKlPlN2at6native12_GLOBAL__N_18offset_tEEE10hipError_tPvRmT1_PNSt15iterator_traitsISK_E10value_typeET2_T3_PNSL_ISQ_E10value_typeET4_jRbjT5_SW_jjP12ihipStream_tbEUlT_E2_NS1_11comp_targetILNS1_3genE4ELNS1_11target_archE910ELNS1_3gpuE8ELNS1_3repE0EEENS1_30default_config_static_selectorELNS0_4arch9wavefront6targetE0EEEvSK_
                                        ; -- End function
	.set _ZN7rocprim17ROCPRIM_400000_NS6detail17trampoline_kernelINS0_14default_configENS1_36segmented_radix_sort_config_selectorIslEEZNS1_25segmented_radix_sort_implIS3_Lb0EPKsPsPKlPlN2at6native12_GLOBAL__N_18offset_tEEE10hipError_tPvRmT1_PNSt15iterator_traitsISK_E10value_typeET2_T3_PNSL_ISQ_E10value_typeET4_jRbjT5_SW_jjP12ihipStream_tbEUlT_E2_NS1_11comp_targetILNS1_3genE4ELNS1_11target_archE910ELNS1_3gpuE8ELNS1_3repE0EEENS1_30default_config_static_selectorELNS0_4arch9wavefront6targetE0EEEvSK_.num_vgpr, 0
	.set _ZN7rocprim17ROCPRIM_400000_NS6detail17trampoline_kernelINS0_14default_configENS1_36segmented_radix_sort_config_selectorIslEEZNS1_25segmented_radix_sort_implIS3_Lb0EPKsPsPKlPlN2at6native12_GLOBAL__N_18offset_tEEE10hipError_tPvRmT1_PNSt15iterator_traitsISK_E10value_typeET2_T3_PNSL_ISQ_E10value_typeET4_jRbjT5_SW_jjP12ihipStream_tbEUlT_E2_NS1_11comp_targetILNS1_3genE4ELNS1_11target_archE910ELNS1_3gpuE8ELNS1_3repE0EEENS1_30default_config_static_selectorELNS0_4arch9wavefront6targetE0EEEvSK_.num_agpr, 0
	.set _ZN7rocprim17ROCPRIM_400000_NS6detail17trampoline_kernelINS0_14default_configENS1_36segmented_radix_sort_config_selectorIslEEZNS1_25segmented_radix_sort_implIS3_Lb0EPKsPsPKlPlN2at6native12_GLOBAL__N_18offset_tEEE10hipError_tPvRmT1_PNSt15iterator_traitsISK_E10value_typeET2_T3_PNSL_ISQ_E10value_typeET4_jRbjT5_SW_jjP12ihipStream_tbEUlT_E2_NS1_11comp_targetILNS1_3genE4ELNS1_11target_archE910ELNS1_3gpuE8ELNS1_3repE0EEENS1_30default_config_static_selectorELNS0_4arch9wavefront6targetE0EEEvSK_.numbered_sgpr, 0
	.set _ZN7rocprim17ROCPRIM_400000_NS6detail17trampoline_kernelINS0_14default_configENS1_36segmented_radix_sort_config_selectorIslEEZNS1_25segmented_radix_sort_implIS3_Lb0EPKsPsPKlPlN2at6native12_GLOBAL__N_18offset_tEEE10hipError_tPvRmT1_PNSt15iterator_traitsISK_E10value_typeET2_T3_PNSL_ISQ_E10value_typeET4_jRbjT5_SW_jjP12ihipStream_tbEUlT_E2_NS1_11comp_targetILNS1_3genE4ELNS1_11target_archE910ELNS1_3gpuE8ELNS1_3repE0EEENS1_30default_config_static_selectorELNS0_4arch9wavefront6targetE0EEEvSK_.num_named_barrier, 0
	.set _ZN7rocprim17ROCPRIM_400000_NS6detail17trampoline_kernelINS0_14default_configENS1_36segmented_radix_sort_config_selectorIslEEZNS1_25segmented_radix_sort_implIS3_Lb0EPKsPsPKlPlN2at6native12_GLOBAL__N_18offset_tEEE10hipError_tPvRmT1_PNSt15iterator_traitsISK_E10value_typeET2_T3_PNSL_ISQ_E10value_typeET4_jRbjT5_SW_jjP12ihipStream_tbEUlT_E2_NS1_11comp_targetILNS1_3genE4ELNS1_11target_archE910ELNS1_3gpuE8ELNS1_3repE0EEENS1_30default_config_static_selectorELNS0_4arch9wavefront6targetE0EEEvSK_.private_seg_size, 0
	.set _ZN7rocprim17ROCPRIM_400000_NS6detail17trampoline_kernelINS0_14default_configENS1_36segmented_radix_sort_config_selectorIslEEZNS1_25segmented_radix_sort_implIS3_Lb0EPKsPsPKlPlN2at6native12_GLOBAL__N_18offset_tEEE10hipError_tPvRmT1_PNSt15iterator_traitsISK_E10value_typeET2_T3_PNSL_ISQ_E10value_typeET4_jRbjT5_SW_jjP12ihipStream_tbEUlT_E2_NS1_11comp_targetILNS1_3genE4ELNS1_11target_archE910ELNS1_3gpuE8ELNS1_3repE0EEENS1_30default_config_static_selectorELNS0_4arch9wavefront6targetE0EEEvSK_.uses_vcc, 0
	.set _ZN7rocprim17ROCPRIM_400000_NS6detail17trampoline_kernelINS0_14default_configENS1_36segmented_radix_sort_config_selectorIslEEZNS1_25segmented_radix_sort_implIS3_Lb0EPKsPsPKlPlN2at6native12_GLOBAL__N_18offset_tEEE10hipError_tPvRmT1_PNSt15iterator_traitsISK_E10value_typeET2_T3_PNSL_ISQ_E10value_typeET4_jRbjT5_SW_jjP12ihipStream_tbEUlT_E2_NS1_11comp_targetILNS1_3genE4ELNS1_11target_archE910ELNS1_3gpuE8ELNS1_3repE0EEENS1_30default_config_static_selectorELNS0_4arch9wavefront6targetE0EEEvSK_.uses_flat_scratch, 0
	.set _ZN7rocprim17ROCPRIM_400000_NS6detail17trampoline_kernelINS0_14default_configENS1_36segmented_radix_sort_config_selectorIslEEZNS1_25segmented_radix_sort_implIS3_Lb0EPKsPsPKlPlN2at6native12_GLOBAL__N_18offset_tEEE10hipError_tPvRmT1_PNSt15iterator_traitsISK_E10value_typeET2_T3_PNSL_ISQ_E10value_typeET4_jRbjT5_SW_jjP12ihipStream_tbEUlT_E2_NS1_11comp_targetILNS1_3genE4ELNS1_11target_archE910ELNS1_3gpuE8ELNS1_3repE0EEENS1_30default_config_static_selectorELNS0_4arch9wavefront6targetE0EEEvSK_.has_dyn_sized_stack, 0
	.set _ZN7rocprim17ROCPRIM_400000_NS6detail17trampoline_kernelINS0_14default_configENS1_36segmented_radix_sort_config_selectorIslEEZNS1_25segmented_radix_sort_implIS3_Lb0EPKsPsPKlPlN2at6native12_GLOBAL__N_18offset_tEEE10hipError_tPvRmT1_PNSt15iterator_traitsISK_E10value_typeET2_T3_PNSL_ISQ_E10value_typeET4_jRbjT5_SW_jjP12ihipStream_tbEUlT_E2_NS1_11comp_targetILNS1_3genE4ELNS1_11target_archE910ELNS1_3gpuE8ELNS1_3repE0EEENS1_30default_config_static_selectorELNS0_4arch9wavefront6targetE0EEEvSK_.has_recursion, 0
	.set _ZN7rocprim17ROCPRIM_400000_NS6detail17trampoline_kernelINS0_14default_configENS1_36segmented_radix_sort_config_selectorIslEEZNS1_25segmented_radix_sort_implIS3_Lb0EPKsPsPKlPlN2at6native12_GLOBAL__N_18offset_tEEE10hipError_tPvRmT1_PNSt15iterator_traitsISK_E10value_typeET2_T3_PNSL_ISQ_E10value_typeET4_jRbjT5_SW_jjP12ihipStream_tbEUlT_E2_NS1_11comp_targetILNS1_3genE4ELNS1_11target_archE910ELNS1_3gpuE8ELNS1_3repE0EEENS1_30default_config_static_selectorELNS0_4arch9wavefront6targetE0EEEvSK_.has_indirect_call, 0
	.section	.AMDGPU.csdata,"",@progbits
; Kernel info:
; codeLenInByte = 0
; TotalNumSgprs: 0
; NumVgprs: 0
; ScratchSize: 0
; MemoryBound: 0
; FloatMode: 240
; IeeeMode: 1
; LDSByteSize: 0 bytes/workgroup (compile time only)
; SGPRBlocks: 0
; VGPRBlocks: 0
; NumSGPRsForWavesPerEU: 1
; NumVGPRsForWavesPerEU: 1
; Occupancy: 16
; WaveLimiterHint : 0
; COMPUTE_PGM_RSRC2:SCRATCH_EN: 0
; COMPUTE_PGM_RSRC2:USER_SGPR: 6
; COMPUTE_PGM_RSRC2:TRAP_HANDLER: 0
; COMPUTE_PGM_RSRC2:TGID_X_EN: 1
; COMPUTE_PGM_RSRC2:TGID_Y_EN: 0
; COMPUTE_PGM_RSRC2:TGID_Z_EN: 0
; COMPUTE_PGM_RSRC2:TIDIG_COMP_CNT: 0
	.section	.text._ZN7rocprim17ROCPRIM_400000_NS6detail17trampoline_kernelINS0_14default_configENS1_36segmented_radix_sort_config_selectorIslEEZNS1_25segmented_radix_sort_implIS3_Lb0EPKsPsPKlPlN2at6native12_GLOBAL__N_18offset_tEEE10hipError_tPvRmT1_PNSt15iterator_traitsISK_E10value_typeET2_T3_PNSL_ISQ_E10value_typeET4_jRbjT5_SW_jjP12ihipStream_tbEUlT_E2_NS1_11comp_targetILNS1_3genE3ELNS1_11target_archE908ELNS1_3gpuE7ELNS1_3repE0EEENS1_30default_config_static_selectorELNS0_4arch9wavefront6targetE0EEEvSK_,"axG",@progbits,_ZN7rocprim17ROCPRIM_400000_NS6detail17trampoline_kernelINS0_14default_configENS1_36segmented_radix_sort_config_selectorIslEEZNS1_25segmented_radix_sort_implIS3_Lb0EPKsPsPKlPlN2at6native12_GLOBAL__N_18offset_tEEE10hipError_tPvRmT1_PNSt15iterator_traitsISK_E10value_typeET2_T3_PNSL_ISQ_E10value_typeET4_jRbjT5_SW_jjP12ihipStream_tbEUlT_E2_NS1_11comp_targetILNS1_3genE3ELNS1_11target_archE908ELNS1_3gpuE7ELNS1_3repE0EEENS1_30default_config_static_selectorELNS0_4arch9wavefront6targetE0EEEvSK_,comdat
	.globl	_ZN7rocprim17ROCPRIM_400000_NS6detail17trampoline_kernelINS0_14default_configENS1_36segmented_radix_sort_config_selectorIslEEZNS1_25segmented_radix_sort_implIS3_Lb0EPKsPsPKlPlN2at6native12_GLOBAL__N_18offset_tEEE10hipError_tPvRmT1_PNSt15iterator_traitsISK_E10value_typeET2_T3_PNSL_ISQ_E10value_typeET4_jRbjT5_SW_jjP12ihipStream_tbEUlT_E2_NS1_11comp_targetILNS1_3genE3ELNS1_11target_archE908ELNS1_3gpuE7ELNS1_3repE0EEENS1_30default_config_static_selectorELNS0_4arch9wavefront6targetE0EEEvSK_ ; -- Begin function _ZN7rocprim17ROCPRIM_400000_NS6detail17trampoline_kernelINS0_14default_configENS1_36segmented_radix_sort_config_selectorIslEEZNS1_25segmented_radix_sort_implIS3_Lb0EPKsPsPKlPlN2at6native12_GLOBAL__N_18offset_tEEE10hipError_tPvRmT1_PNSt15iterator_traitsISK_E10value_typeET2_T3_PNSL_ISQ_E10value_typeET4_jRbjT5_SW_jjP12ihipStream_tbEUlT_E2_NS1_11comp_targetILNS1_3genE3ELNS1_11target_archE908ELNS1_3gpuE7ELNS1_3repE0EEENS1_30default_config_static_selectorELNS0_4arch9wavefront6targetE0EEEvSK_
	.p2align	8
	.type	_ZN7rocprim17ROCPRIM_400000_NS6detail17trampoline_kernelINS0_14default_configENS1_36segmented_radix_sort_config_selectorIslEEZNS1_25segmented_radix_sort_implIS3_Lb0EPKsPsPKlPlN2at6native12_GLOBAL__N_18offset_tEEE10hipError_tPvRmT1_PNSt15iterator_traitsISK_E10value_typeET2_T3_PNSL_ISQ_E10value_typeET4_jRbjT5_SW_jjP12ihipStream_tbEUlT_E2_NS1_11comp_targetILNS1_3genE3ELNS1_11target_archE908ELNS1_3gpuE7ELNS1_3repE0EEENS1_30default_config_static_selectorELNS0_4arch9wavefront6targetE0EEEvSK_,@function
_ZN7rocprim17ROCPRIM_400000_NS6detail17trampoline_kernelINS0_14default_configENS1_36segmented_radix_sort_config_selectorIslEEZNS1_25segmented_radix_sort_implIS3_Lb0EPKsPsPKlPlN2at6native12_GLOBAL__N_18offset_tEEE10hipError_tPvRmT1_PNSt15iterator_traitsISK_E10value_typeET2_T3_PNSL_ISQ_E10value_typeET4_jRbjT5_SW_jjP12ihipStream_tbEUlT_E2_NS1_11comp_targetILNS1_3genE3ELNS1_11target_archE908ELNS1_3gpuE7ELNS1_3repE0EEENS1_30default_config_static_selectorELNS0_4arch9wavefront6targetE0EEEvSK_: ; @_ZN7rocprim17ROCPRIM_400000_NS6detail17trampoline_kernelINS0_14default_configENS1_36segmented_radix_sort_config_selectorIslEEZNS1_25segmented_radix_sort_implIS3_Lb0EPKsPsPKlPlN2at6native12_GLOBAL__N_18offset_tEEE10hipError_tPvRmT1_PNSt15iterator_traitsISK_E10value_typeET2_T3_PNSL_ISQ_E10value_typeET4_jRbjT5_SW_jjP12ihipStream_tbEUlT_E2_NS1_11comp_targetILNS1_3genE3ELNS1_11target_archE908ELNS1_3gpuE7ELNS1_3repE0EEENS1_30default_config_static_selectorELNS0_4arch9wavefront6targetE0EEEvSK_
; %bb.0:
	.section	.rodata,"a",@progbits
	.p2align	6, 0x0
	.amdhsa_kernel _ZN7rocprim17ROCPRIM_400000_NS6detail17trampoline_kernelINS0_14default_configENS1_36segmented_radix_sort_config_selectorIslEEZNS1_25segmented_radix_sort_implIS3_Lb0EPKsPsPKlPlN2at6native12_GLOBAL__N_18offset_tEEE10hipError_tPvRmT1_PNSt15iterator_traitsISK_E10value_typeET2_T3_PNSL_ISQ_E10value_typeET4_jRbjT5_SW_jjP12ihipStream_tbEUlT_E2_NS1_11comp_targetILNS1_3genE3ELNS1_11target_archE908ELNS1_3gpuE7ELNS1_3repE0EEENS1_30default_config_static_selectorELNS0_4arch9wavefront6targetE0EEEvSK_
		.amdhsa_group_segment_fixed_size 0
		.amdhsa_private_segment_fixed_size 0
		.amdhsa_kernarg_size 80
		.amdhsa_user_sgpr_count 6
		.amdhsa_user_sgpr_private_segment_buffer 1
		.amdhsa_user_sgpr_dispatch_ptr 0
		.amdhsa_user_sgpr_queue_ptr 0
		.amdhsa_user_sgpr_kernarg_segment_ptr 1
		.amdhsa_user_sgpr_dispatch_id 0
		.amdhsa_user_sgpr_flat_scratch_init 0
		.amdhsa_user_sgpr_private_segment_size 0
		.amdhsa_wavefront_size32 1
		.amdhsa_uses_dynamic_stack 0
		.amdhsa_system_sgpr_private_segment_wavefront_offset 0
		.amdhsa_system_sgpr_workgroup_id_x 1
		.amdhsa_system_sgpr_workgroup_id_y 0
		.amdhsa_system_sgpr_workgroup_id_z 0
		.amdhsa_system_sgpr_workgroup_info 0
		.amdhsa_system_vgpr_workitem_id 0
		.amdhsa_next_free_vgpr 1
		.amdhsa_next_free_sgpr 1
		.amdhsa_reserve_vcc 0
		.amdhsa_reserve_flat_scratch 0
		.amdhsa_float_round_mode_32 0
		.amdhsa_float_round_mode_16_64 0
		.amdhsa_float_denorm_mode_32 3
		.amdhsa_float_denorm_mode_16_64 3
		.amdhsa_dx10_clamp 1
		.amdhsa_ieee_mode 1
		.amdhsa_fp16_overflow 0
		.amdhsa_workgroup_processor_mode 1
		.amdhsa_memory_ordered 1
		.amdhsa_forward_progress 1
		.amdhsa_shared_vgpr_count 0
		.amdhsa_exception_fp_ieee_invalid_op 0
		.amdhsa_exception_fp_denorm_src 0
		.amdhsa_exception_fp_ieee_div_zero 0
		.amdhsa_exception_fp_ieee_overflow 0
		.amdhsa_exception_fp_ieee_underflow 0
		.amdhsa_exception_fp_ieee_inexact 0
		.amdhsa_exception_int_div_zero 0
	.end_amdhsa_kernel
	.section	.text._ZN7rocprim17ROCPRIM_400000_NS6detail17trampoline_kernelINS0_14default_configENS1_36segmented_radix_sort_config_selectorIslEEZNS1_25segmented_radix_sort_implIS3_Lb0EPKsPsPKlPlN2at6native12_GLOBAL__N_18offset_tEEE10hipError_tPvRmT1_PNSt15iterator_traitsISK_E10value_typeET2_T3_PNSL_ISQ_E10value_typeET4_jRbjT5_SW_jjP12ihipStream_tbEUlT_E2_NS1_11comp_targetILNS1_3genE3ELNS1_11target_archE908ELNS1_3gpuE7ELNS1_3repE0EEENS1_30default_config_static_selectorELNS0_4arch9wavefront6targetE0EEEvSK_,"axG",@progbits,_ZN7rocprim17ROCPRIM_400000_NS6detail17trampoline_kernelINS0_14default_configENS1_36segmented_radix_sort_config_selectorIslEEZNS1_25segmented_radix_sort_implIS3_Lb0EPKsPsPKlPlN2at6native12_GLOBAL__N_18offset_tEEE10hipError_tPvRmT1_PNSt15iterator_traitsISK_E10value_typeET2_T3_PNSL_ISQ_E10value_typeET4_jRbjT5_SW_jjP12ihipStream_tbEUlT_E2_NS1_11comp_targetILNS1_3genE3ELNS1_11target_archE908ELNS1_3gpuE7ELNS1_3repE0EEENS1_30default_config_static_selectorELNS0_4arch9wavefront6targetE0EEEvSK_,comdat
.Lfunc_end1039:
	.size	_ZN7rocprim17ROCPRIM_400000_NS6detail17trampoline_kernelINS0_14default_configENS1_36segmented_radix_sort_config_selectorIslEEZNS1_25segmented_radix_sort_implIS3_Lb0EPKsPsPKlPlN2at6native12_GLOBAL__N_18offset_tEEE10hipError_tPvRmT1_PNSt15iterator_traitsISK_E10value_typeET2_T3_PNSL_ISQ_E10value_typeET4_jRbjT5_SW_jjP12ihipStream_tbEUlT_E2_NS1_11comp_targetILNS1_3genE3ELNS1_11target_archE908ELNS1_3gpuE7ELNS1_3repE0EEENS1_30default_config_static_selectorELNS0_4arch9wavefront6targetE0EEEvSK_, .Lfunc_end1039-_ZN7rocprim17ROCPRIM_400000_NS6detail17trampoline_kernelINS0_14default_configENS1_36segmented_radix_sort_config_selectorIslEEZNS1_25segmented_radix_sort_implIS3_Lb0EPKsPsPKlPlN2at6native12_GLOBAL__N_18offset_tEEE10hipError_tPvRmT1_PNSt15iterator_traitsISK_E10value_typeET2_T3_PNSL_ISQ_E10value_typeET4_jRbjT5_SW_jjP12ihipStream_tbEUlT_E2_NS1_11comp_targetILNS1_3genE3ELNS1_11target_archE908ELNS1_3gpuE7ELNS1_3repE0EEENS1_30default_config_static_selectorELNS0_4arch9wavefront6targetE0EEEvSK_
                                        ; -- End function
	.set _ZN7rocprim17ROCPRIM_400000_NS6detail17trampoline_kernelINS0_14default_configENS1_36segmented_radix_sort_config_selectorIslEEZNS1_25segmented_radix_sort_implIS3_Lb0EPKsPsPKlPlN2at6native12_GLOBAL__N_18offset_tEEE10hipError_tPvRmT1_PNSt15iterator_traitsISK_E10value_typeET2_T3_PNSL_ISQ_E10value_typeET4_jRbjT5_SW_jjP12ihipStream_tbEUlT_E2_NS1_11comp_targetILNS1_3genE3ELNS1_11target_archE908ELNS1_3gpuE7ELNS1_3repE0EEENS1_30default_config_static_selectorELNS0_4arch9wavefront6targetE0EEEvSK_.num_vgpr, 0
	.set _ZN7rocprim17ROCPRIM_400000_NS6detail17trampoline_kernelINS0_14default_configENS1_36segmented_radix_sort_config_selectorIslEEZNS1_25segmented_radix_sort_implIS3_Lb0EPKsPsPKlPlN2at6native12_GLOBAL__N_18offset_tEEE10hipError_tPvRmT1_PNSt15iterator_traitsISK_E10value_typeET2_T3_PNSL_ISQ_E10value_typeET4_jRbjT5_SW_jjP12ihipStream_tbEUlT_E2_NS1_11comp_targetILNS1_3genE3ELNS1_11target_archE908ELNS1_3gpuE7ELNS1_3repE0EEENS1_30default_config_static_selectorELNS0_4arch9wavefront6targetE0EEEvSK_.num_agpr, 0
	.set _ZN7rocprim17ROCPRIM_400000_NS6detail17trampoline_kernelINS0_14default_configENS1_36segmented_radix_sort_config_selectorIslEEZNS1_25segmented_radix_sort_implIS3_Lb0EPKsPsPKlPlN2at6native12_GLOBAL__N_18offset_tEEE10hipError_tPvRmT1_PNSt15iterator_traitsISK_E10value_typeET2_T3_PNSL_ISQ_E10value_typeET4_jRbjT5_SW_jjP12ihipStream_tbEUlT_E2_NS1_11comp_targetILNS1_3genE3ELNS1_11target_archE908ELNS1_3gpuE7ELNS1_3repE0EEENS1_30default_config_static_selectorELNS0_4arch9wavefront6targetE0EEEvSK_.numbered_sgpr, 0
	.set _ZN7rocprim17ROCPRIM_400000_NS6detail17trampoline_kernelINS0_14default_configENS1_36segmented_radix_sort_config_selectorIslEEZNS1_25segmented_radix_sort_implIS3_Lb0EPKsPsPKlPlN2at6native12_GLOBAL__N_18offset_tEEE10hipError_tPvRmT1_PNSt15iterator_traitsISK_E10value_typeET2_T3_PNSL_ISQ_E10value_typeET4_jRbjT5_SW_jjP12ihipStream_tbEUlT_E2_NS1_11comp_targetILNS1_3genE3ELNS1_11target_archE908ELNS1_3gpuE7ELNS1_3repE0EEENS1_30default_config_static_selectorELNS0_4arch9wavefront6targetE0EEEvSK_.num_named_barrier, 0
	.set _ZN7rocprim17ROCPRIM_400000_NS6detail17trampoline_kernelINS0_14default_configENS1_36segmented_radix_sort_config_selectorIslEEZNS1_25segmented_radix_sort_implIS3_Lb0EPKsPsPKlPlN2at6native12_GLOBAL__N_18offset_tEEE10hipError_tPvRmT1_PNSt15iterator_traitsISK_E10value_typeET2_T3_PNSL_ISQ_E10value_typeET4_jRbjT5_SW_jjP12ihipStream_tbEUlT_E2_NS1_11comp_targetILNS1_3genE3ELNS1_11target_archE908ELNS1_3gpuE7ELNS1_3repE0EEENS1_30default_config_static_selectorELNS0_4arch9wavefront6targetE0EEEvSK_.private_seg_size, 0
	.set _ZN7rocprim17ROCPRIM_400000_NS6detail17trampoline_kernelINS0_14default_configENS1_36segmented_radix_sort_config_selectorIslEEZNS1_25segmented_radix_sort_implIS3_Lb0EPKsPsPKlPlN2at6native12_GLOBAL__N_18offset_tEEE10hipError_tPvRmT1_PNSt15iterator_traitsISK_E10value_typeET2_T3_PNSL_ISQ_E10value_typeET4_jRbjT5_SW_jjP12ihipStream_tbEUlT_E2_NS1_11comp_targetILNS1_3genE3ELNS1_11target_archE908ELNS1_3gpuE7ELNS1_3repE0EEENS1_30default_config_static_selectorELNS0_4arch9wavefront6targetE0EEEvSK_.uses_vcc, 0
	.set _ZN7rocprim17ROCPRIM_400000_NS6detail17trampoline_kernelINS0_14default_configENS1_36segmented_radix_sort_config_selectorIslEEZNS1_25segmented_radix_sort_implIS3_Lb0EPKsPsPKlPlN2at6native12_GLOBAL__N_18offset_tEEE10hipError_tPvRmT1_PNSt15iterator_traitsISK_E10value_typeET2_T3_PNSL_ISQ_E10value_typeET4_jRbjT5_SW_jjP12ihipStream_tbEUlT_E2_NS1_11comp_targetILNS1_3genE3ELNS1_11target_archE908ELNS1_3gpuE7ELNS1_3repE0EEENS1_30default_config_static_selectorELNS0_4arch9wavefront6targetE0EEEvSK_.uses_flat_scratch, 0
	.set _ZN7rocprim17ROCPRIM_400000_NS6detail17trampoline_kernelINS0_14default_configENS1_36segmented_radix_sort_config_selectorIslEEZNS1_25segmented_radix_sort_implIS3_Lb0EPKsPsPKlPlN2at6native12_GLOBAL__N_18offset_tEEE10hipError_tPvRmT1_PNSt15iterator_traitsISK_E10value_typeET2_T3_PNSL_ISQ_E10value_typeET4_jRbjT5_SW_jjP12ihipStream_tbEUlT_E2_NS1_11comp_targetILNS1_3genE3ELNS1_11target_archE908ELNS1_3gpuE7ELNS1_3repE0EEENS1_30default_config_static_selectorELNS0_4arch9wavefront6targetE0EEEvSK_.has_dyn_sized_stack, 0
	.set _ZN7rocprim17ROCPRIM_400000_NS6detail17trampoline_kernelINS0_14default_configENS1_36segmented_radix_sort_config_selectorIslEEZNS1_25segmented_radix_sort_implIS3_Lb0EPKsPsPKlPlN2at6native12_GLOBAL__N_18offset_tEEE10hipError_tPvRmT1_PNSt15iterator_traitsISK_E10value_typeET2_T3_PNSL_ISQ_E10value_typeET4_jRbjT5_SW_jjP12ihipStream_tbEUlT_E2_NS1_11comp_targetILNS1_3genE3ELNS1_11target_archE908ELNS1_3gpuE7ELNS1_3repE0EEENS1_30default_config_static_selectorELNS0_4arch9wavefront6targetE0EEEvSK_.has_recursion, 0
	.set _ZN7rocprim17ROCPRIM_400000_NS6detail17trampoline_kernelINS0_14default_configENS1_36segmented_radix_sort_config_selectorIslEEZNS1_25segmented_radix_sort_implIS3_Lb0EPKsPsPKlPlN2at6native12_GLOBAL__N_18offset_tEEE10hipError_tPvRmT1_PNSt15iterator_traitsISK_E10value_typeET2_T3_PNSL_ISQ_E10value_typeET4_jRbjT5_SW_jjP12ihipStream_tbEUlT_E2_NS1_11comp_targetILNS1_3genE3ELNS1_11target_archE908ELNS1_3gpuE7ELNS1_3repE0EEENS1_30default_config_static_selectorELNS0_4arch9wavefront6targetE0EEEvSK_.has_indirect_call, 0
	.section	.AMDGPU.csdata,"",@progbits
; Kernel info:
; codeLenInByte = 0
; TotalNumSgprs: 0
; NumVgprs: 0
; ScratchSize: 0
; MemoryBound: 0
; FloatMode: 240
; IeeeMode: 1
; LDSByteSize: 0 bytes/workgroup (compile time only)
; SGPRBlocks: 0
; VGPRBlocks: 0
; NumSGPRsForWavesPerEU: 1
; NumVGPRsForWavesPerEU: 1
; Occupancy: 16
; WaveLimiterHint : 0
; COMPUTE_PGM_RSRC2:SCRATCH_EN: 0
; COMPUTE_PGM_RSRC2:USER_SGPR: 6
; COMPUTE_PGM_RSRC2:TRAP_HANDLER: 0
; COMPUTE_PGM_RSRC2:TGID_X_EN: 1
; COMPUTE_PGM_RSRC2:TGID_Y_EN: 0
; COMPUTE_PGM_RSRC2:TGID_Z_EN: 0
; COMPUTE_PGM_RSRC2:TIDIG_COMP_CNT: 0
	.section	.text._ZN7rocprim17ROCPRIM_400000_NS6detail17trampoline_kernelINS0_14default_configENS1_36segmented_radix_sort_config_selectorIslEEZNS1_25segmented_radix_sort_implIS3_Lb0EPKsPsPKlPlN2at6native12_GLOBAL__N_18offset_tEEE10hipError_tPvRmT1_PNSt15iterator_traitsISK_E10value_typeET2_T3_PNSL_ISQ_E10value_typeET4_jRbjT5_SW_jjP12ihipStream_tbEUlT_E2_NS1_11comp_targetILNS1_3genE2ELNS1_11target_archE906ELNS1_3gpuE6ELNS1_3repE0EEENS1_30default_config_static_selectorELNS0_4arch9wavefront6targetE0EEEvSK_,"axG",@progbits,_ZN7rocprim17ROCPRIM_400000_NS6detail17trampoline_kernelINS0_14default_configENS1_36segmented_radix_sort_config_selectorIslEEZNS1_25segmented_radix_sort_implIS3_Lb0EPKsPsPKlPlN2at6native12_GLOBAL__N_18offset_tEEE10hipError_tPvRmT1_PNSt15iterator_traitsISK_E10value_typeET2_T3_PNSL_ISQ_E10value_typeET4_jRbjT5_SW_jjP12ihipStream_tbEUlT_E2_NS1_11comp_targetILNS1_3genE2ELNS1_11target_archE906ELNS1_3gpuE6ELNS1_3repE0EEENS1_30default_config_static_selectorELNS0_4arch9wavefront6targetE0EEEvSK_,comdat
	.globl	_ZN7rocprim17ROCPRIM_400000_NS6detail17trampoline_kernelINS0_14default_configENS1_36segmented_radix_sort_config_selectorIslEEZNS1_25segmented_radix_sort_implIS3_Lb0EPKsPsPKlPlN2at6native12_GLOBAL__N_18offset_tEEE10hipError_tPvRmT1_PNSt15iterator_traitsISK_E10value_typeET2_T3_PNSL_ISQ_E10value_typeET4_jRbjT5_SW_jjP12ihipStream_tbEUlT_E2_NS1_11comp_targetILNS1_3genE2ELNS1_11target_archE906ELNS1_3gpuE6ELNS1_3repE0EEENS1_30default_config_static_selectorELNS0_4arch9wavefront6targetE0EEEvSK_ ; -- Begin function _ZN7rocprim17ROCPRIM_400000_NS6detail17trampoline_kernelINS0_14default_configENS1_36segmented_radix_sort_config_selectorIslEEZNS1_25segmented_radix_sort_implIS3_Lb0EPKsPsPKlPlN2at6native12_GLOBAL__N_18offset_tEEE10hipError_tPvRmT1_PNSt15iterator_traitsISK_E10value_typeET2_T3_PNSL_ISQ_E10value_typeET4_jRbjT5_SW_jjP12ihipStream_tbEUlT_E2_NS1_11comp_targetILNS1_3genE2ELNS1_11target_archE906ELNS1_3gpuE6ELNS1_3repE0EEENS1_30default_config_static_selectorELNS0_4arch9wavefront6targetE0EEEvSK_
	.p2align	8
	.type	_ZN7rocprim17ROCPRIM_400000_NS6detail17trampoline_kernelINS0_14default_configENS1_36segmented_radix_sort_config_selectorIslEEZNS1_25segmented_radix_sort_implIS3_Lb0EPKsPsPKlPlN2at6native12_GLOBAL__N_18offset_tEEE10hipError_tPvRmT1_PNSt15iterator_traitsISK_E10value_typeET2_T3_PNSL_ISQ_E10value_typeET4_jRbjT5_SW_jjP12ihipStream_tbEUlT_E2_NS1_11comp_targetILNS1_3genE2ELNS1_11target_archE906ELNS1_3gpuE6ELNS1_3repE0EEENS1_30default_config_static_selectorELNS0_4arch9wavefront6targetE0EEEvSK_,@function
_ZN7rocprim17ROCPRIM_400000_NS6detail17trampoline_kernelINS0_14default_configENS1_36segmented_radix_sort_config_selectorIslEEZNS1_25segmented_radix_sort_implIS3_Lb0EPKsPsPKlPlN2at6native12_GLOBAL__N_18offset_tEEE10hipError_tPvRmT1_PNSt15iterator_traitsISK_E10value_typeET2_T3_PNSL_ISQ_E10value_typeET4_jRbjT5_SW_jjP12ihipStream_tbEUlT_E2_NS1_11comp_targetILNS1_3genE2ELNS1_11target_archE906ELNS1_3gpuE6ELNS1_3repE0EEENS1_30default_config_static_selectorELNS0_4arch9wavefront6targetE0EEEvSK_: ; @_ZN7rocprim17ROCPRIM_400000_NS6detail17trampoline_kernelINS0_14default_configENS1_36segmented_radix_sort_config_selectorIslEEZNS1_25segmented_radix_sort_implIS3_Lb0EPKsPsPKlPlN2at6native12_GLOBAL__N_18offset_tEEE10hipError_tPvRmT1_PNSt15iterator_traitsISK_E10value_typeET2_T3_PNSL_ISQ_E10value_typeET4_jRbjT5_SW_jjP12ihipStream_tbEUlT_E2_NS1_11comp_targetILNS1_3genE2ELNS1_11target_archE906ELNS1_3gpuE6ELNS1_3repE0EEENS1_30default_config_static_selectorELNS0_4arch9wavefront6targetE0EEEvSK_
; %bb.0:
	.section	.rodata,"a",@progbits
	.p2align	6, 0x0
	.amdhsa_kernel _ZN7rocprim17ROCPRIM_400000_NS6detail17trampoline_kernelINS0_14default_configENS1_36segmented_radix_sort_config_selectorIslEEZNS1_25segmented_radix_sort_implIS3_Lb0EPKsPsPKlPlN2at6native12_GLOBAL__N_18offset_tEEE10hipError_tPvRmT1_PNSt15iterator_traitsISK_E10value_typeET2_T3_PNSL_ISQ_E10value_typeET4_jRbjT5_SW_jjP12ihipStream_tbEUlT_E2_NS1_11comp_targetILNS1_3genE2ELNS1_11target_archE906ELNS1_3gpuE6ELNS1_3repE0EEENS1_30default_config_static_selectorELNS0_4arch9wavefront6targetE0EEEvSK_
		.amdhsa_group_segment_fixed_size 0
		.amdhsa_private_segment_fixed_size 0
		.amdhsa_kernarg_size 80
		.amdhsa_user_sgpr_count 6
		.amdhsa_user_sgpr_private_segment_buffer 1
		.amdhsa_user_sgpr_dispatch_ptr 0
		.amdhsa_user_sgpr_queue_ptr 0
		.amdhsa_user_sgpr_kernarg_segment_ptr 1
		.amdhsa_user_sgpr_dispatch_id 0
		.amdhsa_user_sgpr_flat_scratch_init 0
		.amdhsa_user_sgpr_private_segment_size 0
		.amdhsa_wavefront_size32 1
		.amdhsa_uses_dynamic_stack 0
		.amdhsa_system_sgpr_private_segment_wavefront_offset 0
		.amdhsa_system_sgpr_workgroup_id_x 1
		.amdhsa_system_sgpr_workgroup_id_y 0
		.amdhsa_system_sgpr_workgroup_id_z 0
		.amdhsa_system_sgpr_workgroup_info 0
		.amdhsa_system_vgpr_workitem_id 0
		.amdhsa_next_free_vgpr 1
		.amdhsa_next_free_sgpr 1
		.amdhsa_reserve_vcc 0
		.amdhsa_reserve_flat_scratch 0
		.amdhsa_float_round_mode_32 0
		.amdhsa_float_round_mode_16_64 0
		.amdhsa_float_denorm_mode_32 3
		.amdhsa_float_denorm_mode_16_64 3
		.amdhsa_dx10_clamp 1
		.amdhsa_ieee_mode 1
		.amdhsa_fp16_overflow 0
		.amdhsa_workgroup_processor_mode 1
		.amdhsa_memory_ordered 1
		.amdhsa_forward_progress 1
		.amdhsa_shared_vgpr_count 0
		.amdhsa_exception_fp_ieee_invalid_op 0
		.amdhsa_exception_fp_denorm_src 0
		.amdhsa_exception_fp_ieee_div_zero 0
		.amdhsa_exception_fp_ieee_overflow 0
		.amdhsa_exception_fp_ieee_underflow 0
		.amdhsa_exception_fp_ieee_inexact 0
		.amdhsa_exception_int_div_zero 0
	.end_amdhsa_kernel
	.section	.text._ZN7rocprim17ROCPRIM_400000_NS6detail17trampoline_kernelINS0_14default_configENS1_36segmented_radix_sort_config_selectorIslEEZNS1_25segmented_radix_sort_implIS3_Lb0EPKsPsPKlPlN2at6native12_GLOBAL__N_18offset_tEEE10hipError_tPvRmT1_PNSt15iterator_traitsISK_E10value_typeET2_T3_PNSL_ISQ_E10value_typeET4_jRbjT5_SW_jjP12ihipStream_tbEUlT_E2_NS1_11comp_targetILNS1_3genE2ELNS1_11target_archE906ELNS1_3gpuE6ELNS1_3repE0EEENS1_30default_config_static_selectorELNS0_4arch9wavefront6targetE0EEEvSK_,"axG",@progbits,_ZN7rocprim17ROCPRIM_400000_NS6detail17trampoline_kernelINS0_14default_configENS1_36segmented_radix_sort_config_selectorIslEEZNS1_25segmented_radix_sort_implIS3_Lb0EPKsPsPKlPlN2at6native12_GLOBAL__N_18offset_tEEE10hipError_tPvRmT1_PNSt15iterator_traitsISK_E10value_typeET2_T3_PNSL_ISQ_E10value_typeET4_jRbjT5_SW_jjP12ihipStream_tbEUlT_E2_NS1_11comp_targetILNS1_3genE2ELNS1_11target_archE906ELNS1_3gpuE6ELNS1_3repE0EEENS1_30default_config_static_selectorELNS0_4arch9wavefront6targetE0EEEvSK_,comdat
.Lfunc_end1040:
	.size	_ZN7rocprim17ROCPRIM_400000_NS6detail17trampoline_kernelINS0_14default_configENS1_36segmented_radix_sort_config_selectorIslEEZNS1_25segmented_radix_sort_implIS3_Lb0EPKsPsPKlPlN2at6native12_GLOBAL__N_18offset_tEEE10hipError_tPvRmT1_PNSt15iterator_traitsISK_E10value_typeET2_T3_PNSL_ISQ_E10value_typeET4_jRbjT5_SW_jjP12ihipStream_tbEUlT_E2_NS1_11comp_targetILNS1_3genE2ELNS1_11target_archE906ELNS1_3gpuE6ELNS1_3repE0EEENS1_30default_config_static_selectorELNS0_4arch9wavefront6targetE0EEEvSK_, .Lfunc_end1040-_ZN7rocprim17ROCPRIM_400000_NS6detail17trampoline_kernelINS0_14default_configENS1_36segmented_radix_sort_config_selectorIslEEZNS1_25segmented_radix_sort_implIS3_Lb0EPKsPsPKlPlN2at6native12_GLOBAL__N_18offset_tEEE10hipError_tPvRmT1_PNSt15iterator_traitsISK_E10value_typeET2_T3_PNSL_ISQ_E10value_typeET4_jRbjT5_SW_jjP12ihipStream_tbEUlT_E2_NS1_11comp_targetILNS1_3genE2ELNS1_11target_archE906ELNS1_3gpuE6ELNS1_3repE0EEENS1_30default_config_static_selectorELNS0_4arch9wavefront6targetE0EEEvSK_
                                        ; -- End function
	.set _ZN7rocprim17ROCPRIM_400000_NS6detail17trampoline_kernelINS0_14default_configENS1_36segmented_radix_sort_config_selectorIslEEZNS1_25segmented_radix_sort_implIS3_Lb0EPKsPsPKlPlN2at6native12_GLOBAL__N_18offset_tEEE10hipError_tPvRmT1_PNSt15iterator_traitsISK_E10value_typeET2_T3_PNSL_ISQ_E10value_typeET4_jRbjT5_SW_jjP12ihipStream_tbEUlT_E2_NS1_11comp_targetILNS1_3genE2ELNS1_11target_archE906ELNS1_3gpuE6ELNS1_3repE0EEENS1_30default_config_static_selectorELNS0_4arch9wavefront6targetE0EEEvSK_.num_vgpr, 0
	.set _ZN7rocprim17ROCPRIM_400000_NS6detail17trampoline_kernelINS0_14default_configENS1_36segmented_radix_sort_config_selectorIslEEZNS1_25segmented_radix_sort_implIS3_Lb0EPKsPsPKlPlN2at6native12_GLOBAL__N_18offset_tEEE10hipError_tPvRmT1_PNSt15iterator_traitsISK_E10value_typeET2_T3_PNSL_ISQ_E10value_typeET4_jRbjT5_SW_jjP12ihipStream_tbEUlT_E2_NS1_11comp_targetILNS1_3genE2ELNS1_11target_archE906ELNS1_3gpuE6ELNS1_3repE0EEENS1_30default_config_static_selectorELNS0_4arch9wavefront6targetE0EEEvSK_.num_agpr, 0
	.set _ZN7rocprim17ROCPRIM_400000_NS6detail17trampoline_kernelINS0_14default_configENS1_36segmented_radix_sort_config_selectorIslEEZNS1_25segmented_radix_sort_implIS3_Lb0EPKsPsPKlPlN2at6native12_GLOBAL__N_18offset_tEEE10hipError_tPvRmT1_PNSt15iterator_traitsISK_E10value_typeET2_T3_PNSL_ISQ_E10value_typeET4_jRbjT5_SW_jjP12ihipStream_tbEUlT_E2_NS1_11comp_targetILNS1_3genE2ELNS1_11target_archE906ELNS1_3gpuE6ELNS1_3repE0EEENS1_30default_config_static_selectorELNS0_4arch9wavefront6targetE0EEEvSK_.numbered_sgpr, 0
	.set _ZN7rocprim17ROCPRIM_400000_NS6detail17trampoline_kernelINS0_14default_configENS1_36segmented_radix_sort_config_selectorIslEEZNS1_25segmented_radix_sort_implIS3_Lb0EPKsPsPKlPlN2at6native12_GLOBAL__N_18offset_tEEE10hipError_tPvRmT1_PNSt15iterator_traitsISK_E10value_typeET2_T3_PNSL_ISQ_E10value_typeET4_jRbjT5_SW_jjP12ihipStream_tbEUlT_E2_NS1_11comp_targetILNS1_3genE2ELNS1_11target_archE906ELNS1_3gpuE6ELNS1_3repE0EEENS1_30default_config_static_selectorELNS0_4arch9wavefront6targetE0EEEvSK_.num_named_barrier, 0
	.set _ZN7rocprim17ROCPRIM_400000_NS6detail17trampoline_kernelINS0_14default_configENS1_36segmented_radix_sort_config_selectorIslEEZNS1_25segmented_radix_sort_implIS3_Lb0EPKsPsPKlPlN2at6native12_GLOBAL__N_18offset_tEEE10hipError_tPvRmT1_PNSt15iterator_traitsISK_E10value_typeET2_T3_PNSL_ISQ_E10value_typeET4_jRbjT5_SW_jjP12ihipStream_tbEUlT_E2_NS1_11comp_targetILNS1_3genE2ELNS1_11target_archE906ELNS1_3gpuE6ELNS1_3repE0EEENS1_30default_config_static_selectorELNS0_4arch9wavefront6targetE0EEEvSK_.private_seg_size, 0
	.set _ZN7rocprim17ROCPRIM_400000_NS6detail17trampoline_kernelINS0_14default_configENS1_36segmented_radix_sort_config_selectorIslEEZNS1_25segmented_radix_sort_implIS3_Lb0EPKsPsPKlPlN2at6native12_GLOBAL__N_18offset_tEEE10hipError_tPvRmT1_PNSt15iterator_traitsISK_E10value_typeET2_T3_PNSL_ISQ_E10value_typeET4_jRbjT5_SW_jjP12ihipStream_tbEUlT_E2_NS1_11comp_targetILNS1_3genE2ELNS1_11target_archE906ELNS1_3gpuE6ELNS1_3repE0EEENS1_30default_config_static_selectorELNS0_4arch9wavefront6targetE0EEEvSK_.uses_vcc, 0
	.set _ZN7rocprim17ROCPRIM_400000_NS6detail17trampoline_kernelINS0_14default_configENS1_36segmented_radix_sort_config_selectorIslEEZNS1_25segmented_radix_sort_implIS3_Lb0EPKsPsPKlPlN2at6native12_GLOBAL__N_18offset_tEEE10hipError_tPvRmT1_PNSt15iterator_traitsISK_E10value_typeET2_T3_PNSL_ISQ_E10value_typeET4_jRbjT5_SW_jjP12ihipStream_tbEUlT_E2_NS1_11comp_targetILNS1_3genE2ELNS1_11target_archE906ELNS1_3gpuE6ELNS1_3repE0EEENS1_30default_config_static_selectorELNS0_4arch9wavefront6targetE0EEEvSK_.uses_flat_scratch, 0
	.set _ZN7rocprim17ROCPRIM_400000_NS6detail17trampoline_kernelINS0_14default_configENS1_36segmented_radix_sort_config_selectorIslEEZNS1_25segmented_radix_sort_implIS3_Lb0EPKsPsPKlPlN2at6native12_GLOBAL__N_18offset_tEEE10hipError_tPvRmT1_PNSt15iterator_traitsISK_E10value_typeET2_T3_PNSL_ISQ_E10value_typeET4_jRbjT5_SW_jjP12ihipStream_tbEUlT_E2_NS1_11comp_targetILNS1_3genE2ELNS1_11target_archE906ELNS1_3gpuE6ELNS1_3repE0EEENS1_30default_config_static_selectorELNS0_4arch9wavefront6targetE0EEEvSK_.has_dyn_sized_stack, 0
	.set _ZN7rocprim17ROCPRIM_400000_NS6detail17trampoline_kernelINS0_14default_configENS1_36segmented_radix_sort_config_selectorIslEEZNS1_25segmented_radix_sort_implIS3_Lb0EPKsPsPKlPlN2at6native12_GLOBAL__N_18offset_tEEE10hipError_tPvRmT1_PNSt15iterator_traitsISK_E10value_typeET2_T3_PNSL_ISQ_E10value_typeET4_jRbjT5_SW_jjP12ihipStream_tbEUlT_E2_NS1_11comp_targetILNS1_3genE2ELNS1_11target_archE906ELNS1_3gpuE6ELNS1_3repE0EEENS1_30default_config_static_selectorELNS0_4arch9wavefront6targetE0EEEvSK_.has_recursion, 0
	.set _ZN7rocprim17ROCPRIM_400000_NS6detail17trampoline_kernelINS0_14default_configENS1_36segmented_radix_sort_config_selectorIslEEZNS1_25segmented_radix_sort_implIS3_Lb0EPKsPsPKlPlN2at6native12_GLOBAL__N_18offset_tEEE10hipError_tPvRmT1_PNSt15iterator_traitsISK_E10value_typeET2_T3_PNSL_ISQ_E10value_typeET4_jRbjT5_SW_jjP12ihipStream_tbEUlT_E2_NS1_11comp_targetILNS1_3genE2ELNS1_11target_archE906ELNS1_3gpuE6ELNS1_3repE0EEENS1_30default_config_static_selectorELNS0_4arch9wavefront6targetE0EEEvSK_.has_indirect_call, 0
	.section	.AMDGPU.csdata,"",@progbits
; Kernel info:
; codeLenInByte = 0
; TotalNumSgprs: 0
; NumVgprs: 0
; ScratchSize: 0
; MemoryBound: 0
; FloatMode: 240
; IeeeMode: 1
; LDSByteSize: 0 bytes/workgroup (compile time only)
; SGPRBlocks: 0
; VGPRBlocks: 0
; NumSGPRsForWavesPerEU: 1
; NumVGPRsForWavesPerEU: 1
; Occupancy: 16
; WaveLimiterHint : 0
; COMPUTE_PGM_RSRC2:SCRATCH_EN: 0
; COMPUTE_PGM_RSRC2:USER_SGPR: 6
; COMPUTE_PGM_RSRC2:TRAP_HANDLER: 0
; COMPUTE_PGM_RSRC2:TGID_X_EN: 1
; COMPUTE_PGM_RSRC2:TGID_Y_EN: 0
; COMPUTE_PGM_RSRC2:TGID_Z_EN: 0
; COMPUTE_PGM_RSRC2:TIDIG_COMP_CNT: 0
	.section	.text._ZN7rocprim17ROCPRIM_400000_NS6detail17trampoline_kernelINS0_14default_configENS1_36segmented_radix_sort_config_selectorIslEEZNS1_25segmented_radix_sort_implIS3_Lb0EPKsPsPKlPlN2at6native12_GLOBAL__N_18offset_tEEE10hipError_tPvRmT1_PNSt15iterator_traitsISK_E10value_typeET2_T3_PNSL_ISQ_E10value_typeET4_jRbjT5_SW_jjP12ihipStream_tbEUlT_E2_NS1_11comp_targetILNS1_3genE10ELNS1_11target_archE1201ELNS1_3gpuE5ELNS1_3repE0EEENS1_30default_config_static_selectorELNS0_4arch9wavefront6targetE0EEEvSK_,"axG",@progbits,_ZN7rocprim17ROCPRIM_400000_NS6detail17trampoline_kernelINS0_14default_configENS1_36segmented_radix_sort_config_selectorIslEEZNS1_25segmented_radix_sort_implIS3_Lb0EPKsPsPKlPlN2at6native12_GLOBAL__N_18offset_tEEE10hipError_tPvRmT1_PNSt15iterator_traitsISK_E10value_typeET2_T3_PNSL_ISQ_E10value_typeET4_jRbjT5_SW_jjP12ihipStream_tbEUlT_E2_NS1_11comp_targetILNS1_3genE10ELNS1_11target_archE1201ELNS1_3gpuE5ELNS1_3repE0EEENS1_30default_config_static_selectorELNS0_4arch9wavefront6targetE0EEEvSK_,comdat
	.globl	_ZN7rocprim17ROCPRIM_400000_NS6detail17trampoline_kernelINS0_14default_configENS1_36segmented_radix_sort_config_selectorIslEEZNS1_25segmented_radix_sort_implIS3_Lb0EPKsPsPKlPlN2at6native12_GLOBAL__N_18offset_tEEE10hipError_tPvRmT1_PNSt15iterator_traitsISK_E10value_typeET2_T3_PNSL_ISQ_E10value_typeET4_jRbjT5_SW_jjP12ihipStream_tbEUlT_E2_NS1_11comp_targetILNS1_3genE10ELNS1_11target_archE1201ELNS1_3gpuE5ELNS1_3repE0EEENS1_30default_config_static_selectorELNS0_4arch9wavefront6targetE0EEEvSK_ ; -- Begin function _ZN7rocprim17ROCPRIM_400000_NS6detail17trampoline_kernelINS0_14default_configENS1_36segmented_radix_sort_config_selectorIslEEZNS1_25segmented_radix_sort_implIS3_Lb0EPKsPsPKlPlN2at6native12_GLOBAL__N_18offset_tEEE10hipError_tPvRmT1_PNSt15iterator_traitsISK_E10value_typeET2_T3_PNSL_ISQ_E10value_typeET4_jRbjT5_SW_jjP12ihipStream_tbEUlT_E2_NS1_11comp_targetILNS1_3genE10ELNS1_11target_archE1201ELNS1_3gpuE5ELNS1_3repE0EEENS1_30default_config_static_selectorELNS0_4arch9wavefront6targetE0EEEvSK_
	.p2align	8
	.type	_ZN7rocprim17ROCPRIM_400000_NS6detail17trampoline_kernelINS0_14default_configENS1_36segmented_radix_sort_config_selectorIslEEZNS1_25segmented_radix_sort_implIS3_Lb0EPKsPsPKlPlN2at6native12_GLOBAL__N_18offset_tEEE10hipError_tPvRmT1_PNSt15iterator_traitsISK_E10value_typeET2_T3_PNSL_ISQ_E10value_typeET4_jRbjT5_SW_jjP12ihipStream_tbEUlT_E2_NS1_11comp_targetILNS1_3genE10ELNS1_11target_archE1201ELNS1_3gpuE5ELNS1_3repE0EEENS1_30default_config_static_selectorELNS0_4arch9wavefront6targetE0EEEvSK_,@function
_ZN7rocprim17ROCPRIM_400000_NS6detail17trampoline_kernelINS0_14default_configENS1_36segmented_radix_sort_config_selectorIslEEZNS1_25segmented_radix_sort_implIS3_Lb0EPKsPsPKlPlN2at6native12_GLOBAL__N_18offset_tEEE10hipError_tPvRmT1_PNSt15iterator_traitsISK_E10value_typeET2_T3_PNSL_ISQ_E10value_typeET4_jRbjT5_SW_jjP12ihipStream_tbEUlT_E2_NS1_11comp_targetILNS1_3genE10ELNS1_11target_archE1201ELNS1_3gpuE5ELNS1_3repE0EEENS1_30default_config_static_selectorELNS0_4arch9wavefront6targetE0EEEvSK_: ; @_ZN7rocprim17ROCPRIM_400000_NS6detail17trampoline_kernelINS0_14default_configENS1_36segmented_radix_sort_config_selectorIslEEZNS1_25segmented_radix_sort_implIS3_Lb0EPKsPsPKlPlN2at6native12_GLOBAL__N_18offset_tEEE10hipError_tPvRmT1_PNSt15iterator_traitsISK_E10value_typeET2_T3_PNSL_ISQ_E10value_typeET4_jRbjT5_SW_jjP12ihipStream_tbEUlT_E2_NS1_11comp_targetILNS1_3genE10ELNS1_11target_archE1201ELNS1_3gpuE5ELNS1_3repE0EEENS1_30default_config_static_selectorELNS0_4arch9wavefront6targetE0EEEvSK_
; %bb.0:
	.section	.rodata,"a",@progbits
	.p2align	6, 0x0
	.amdhsa_kernel _ZN7rocprim17ROCPRIM_400000_NS6detail17trampoline_kernelINS0_14default_configENS1_36segmented_radix_sort_config_selectorIslEEZNS1_25segmented_radix_sort_implIS3_Lb0EPKsPsPKlPlN2at6native12_GLOBAL__N_18offset_tEEE10hipError_tPvRmT1_PNSt15iterator_traitsISK_E10value_typeET2_T3_PNSL_ISQ_E10value_typeET4_jRbjT5_SW_jjP12ihipStream_tbEUlT_E2_NS1_11comp_targetILNS1_3genE10ELNS1_11target_archE1201ELNS1_3gpuE5ELNS1_3repE0EEENS1_30default_config_static_selectorELNS0_4arch9wavefront6targetE0EEEvSK_
		.amdhsa_group_segment_fixed_size 0
		.amdhsa_private_segment_fixed_size 0
		.amdhsa_kernarg_size 80
		.amdhsa_user_sgpr_count 6
		.amdhsa_user_sgpr_private_segment_buffer 1
		.amdhsa_user_sgpr_dispatch_ptr 0
		.amdhsa_user_sgpr_queue_ptr 0
		.amdhsa_user_sgpr_kernarg_segment_ptr 1
		.amdhsa_user_sgpr_dispatch_id 0
		.amdhsa_user_sgpr_flat_scratch_init 0
		.amdhsa_user_sgpr_private_segment_size 0
		.amdhsa_wavefront_size32 1
		.amdhsa_uses_dynamic_stack 0
		.amdhsa_system_sgpr_private_segment_wavefront_offset 0
		.amdhsa_system_sgpr_workgroup_id_x 1
		.amdhsa_system_sgpr_workgroup_id_y 0
		.amdhsa_system_sgpr_workgroup_id_z 0
		.amdhsa_system_sgpr_workgroup_info 0
		.amdhsa_system_vgpr_workitem_id 0
		.amdhsa_next_free_vgpr 1
		.amdhsa_next_free_sgpr 1
		.amdhsa_reserve_vcc 0
		.amdhsa_reserve_flat_scratch 0
		.amdhsa_float_round_mode_32 0
		.amdhsa_float_round_mode_16_64 0
		.amdhsa_float_denorm_mode_32 3
		.amdhsa_float_denorm_mode_16_64 3
		.amdhsa_dx10_clamp 1
		.amdhsa_ieee_mode 1
		.amdhsa_fp16_overflow 0
		.amdhsa_workgroup_processor_mode 1
		.amdhsa_memory_ordered 1
		.amdhsa_forward_progress 1
		.amdhsa_shared_vgpr_count 0
		.amdhsa_exception_fp_ieee_invalid_op 0
		.amdhsa_exception_fp_denorm_src 0
		.amdhsa_exception_fp_ieee_div_zero 0
		.amdhsa_exception_fp_ieee_overflow 0
		.amdhsa_exception_fp_ieee_underflow 0
		.amdhsa_exception_fp_ieee_inexact 0
		.amdhsa_exception_int_div_zero 0
	.end_amdhsa_kernel
	.section	.text._ZN7rocprim17ROCPRIM_400000_NS6detail17trampoline_kernelINS0_14default_configENS1_36segmented_radix_sort_config_selectorIslEEZNS1_25segmented_radix_sort_implIS3_Lb0EPKsPsPKlPlN2at6native12_GLOBAL__N_18offset_tEEE10hipError_tPvRmT1_PNSt15iterator_traitsISK_E10value_typeET2_T3_PNSL_ISQ_E10value_typeET4_jRbjT5_SW_jjP12ihipStream_tbEUlT_E2_NS1_11comp_targetILNS1_3genE10ELNS1_11target_archE1201ELNS1_3gpuE5ELNS1_3repE0EEENS1_30default_config_static_selectorELNS0_4arch9wavefront6targetE0EEEvSK_,"axG",@progbits,_ZN7rocprim17ROCPRIM_400000_NS6detail17trampoline_kernelINS0_14default_configENS1_36segmented_radix_sort_config_selectorIslEEZNS1_25segmented_radix_sort_implIS3_Lb0EPKsPsPKlPlN2at6native12_GLOBAL__N_18offset_tEEE10hipError_tPvRmT1_PNSt15iterator_traitsISK_E10value_typeET2_T3_PNSL_ISQ_E10value_typeET4_jRbjT5_SW_jjP12ihipStream_tbEUlT_E2_NS1_11comp_targetILNS1_3genE10ELNS1_11target_archE1201ELNS1_3gpuE5ELNS1_3repE0EEENS1_30default_config_static_selectorELNS0_4arch9wavefront6targetE0EEEvSK_,comdat
.Lfunc_end1041:
	.size	_ZN7rocprim17ROCPRIM_400000_NS6detail17trampoline_kernelINS0_14default_configENS1_36segmented_radix_sort_config_selectorIslEEZNS1_25segmented_radix_sort_implIS3_Lb0EPKsPsPKlPlN2at6native12_GLOBAL__N_18offset_tEEE10hipError_tPvRmT1_PNSt15iterator_traitsISK_E10value_typeET2_T3_PNSL_ISQ_E10value_typeET4_jRbjT5_SW_jjP12ihipStream_tbEUlT_E2_NS1_11comp_targetILNS1_3genE10ELNS1_11target_archE1201ELNS1_3gpuE5ELNS1_3repE0EEENS1_30default_config_static_selectorELNS0_4arch9wavefront6targetE0EEEvSK_, .Lfunc_end1041-_ZN7rocprim17ROCPRIM_400000_NS6detail17trampoline_kernelINS0_14default_configENS1_36segmented_radix_sort_config_selectorIslEEZNS1_25segmented_radix_sort_implIS3_Lb0EPKsPsPKlPlN2at6native12_GLOBAL__N_18offset_tEEE10hipError_tPvRmT1_PNSt15iterator_traitsISK_E10value_typeET2_T3_PNSL_ISQ_E10value_typeET4_jRbjT5_SW_jjP12ihipStream_tbEUlT_E2_NS1_11comp_targetILNS1_3genE10ELNS1_11target_archE1201ELNS1_3gpuE5ELNS1_3repE0EEENS1_30default_config_static_selectorELNS0_4arch9wavefront6targetE0EEEvSK_
                                        ; -- End function
	.set _ZN7rocprim17ROCPRIM_400000_NS6detail17trampoline_kernelINS0_14default_configENS1_36segmented_radix_sort_config_selectorIslEEZNS1_25segmented_radix_sort_implIS3_Lb0EPKsPsPKlPlN2at6native12_GLOBAL__N_18offset_tEEE10hipError_tPvRmT1_PNSt15iterator_traitsISK_E10value_typeET2_T3_PNSL_ISQ_E10value_typeET4_jRbjT5_SW_jjP12ihipStream_tbEUlT_E2_NS1_11comp_targetILNS1_3genE10ELNS1_11target_archE1201ELNS1_3gpuE5ELNS1_3repE0EEENS1_30default_config_static_selectorELNS0_4arch9wavefront6targetE0EEEvSK_.num_vgpr, 0
	.set _ZN7rocprim17ROCPRIM_400000_NS6detail17trampoline_kernelINS0_14default_configENS1_36segmented_radix_sort_config_selectorIslEEZNS1_25segmented_radix_sort_implIS3_Lb0EPKsPsPKlPlN2at6native12_GLOBAL__N_18offset_tEEE10hipError_tPvRmT1_PNSt15iterator_traitsISK_E10value_typeET2_T3_PNSL_ISQ_E10value_typeET4_jRbjT5_SW_jjP12ihipStream_tbEUlT_E2_NS1_11comp_targetILNS1_3genE10ELNS1_11target_archE1201ELNS1_3gpuE5ELNS1_3repE0EEENS1_30default_config_static_selectorELNS0_4arch9wavefront6targetE0EEEvSK_.num_agpr, 0
	.set _ZN7rocprim17ROCPRIM_400000_NS6detail17trampoline_kernelINS0_14default_configENS1_36segmented_radix_sort_config_selectorIslEEZNS1_25segmented_radix_sort_implIS3_Lb0EPKsPsPKlPlN2at6native12_GLOBAL__N_18offset_tEEE10hipError_tPvRmT1_PNSt15iterator_traitsISK_E10value_typeET2_T3_PNSL_ISQ_E10value_typeET4_jRbjT5_SW_jjP12ihipStream_tbEUlT_E2_NS1_11comp_targetILNS1_3genE10ELNS1_11target_archE1201ELNS1_3gpuE5ELNS1_3repE0EEENS1_30default_config_static_selectorELNS0_4arch9wavefront6targetE0EEEvSK_.numbered_sgpr, 0
	.set _ZN7rocprim17ROCPRIM_400000_NS6detail17trampoline_kernelINS0_14default_configENS1_36segmented_radix_sort_config_selectorIslEEZNS1_25segmented_radix_sort_implIS3_Lb0EPKsPsPKlPlN2at6native12_GLOBAL__N_18offset_tEEE10hipError_tPvRmT1_PNSt15iterator_traitsISK_E10value_typeET2_T3_PNSL_ISQ_E10value_typeET4_jRbjT5_SW_jjP12ihipStream_tbEUlT_E2_NS1_11comp_targetILNS1_3genE10ELNS1_11target_archE1201ELNS1_3gpuE5ELNS1_3repE0EEENS1_30default_config_static_selectorELNS0_4arch9wavefront6targetE0EEEvSK_.num_named_barrier, 0
	.set _ZN7rocprim17ROCPRIM_400000_NS6detail17trampoline_kernelINS0_14default_configENS1_36segmented_radix_sort_config_selectorIslEEZNS1_25segmented_radix_sort_implIS3_Lb0EPKsPsPKlPlN2at6native12_GLOBAL__N_18offset_tEEE10hipError_tPvRmT1_PNSt15iterator_traitsISK_E10value_typeET2_T3_PNSL_ISQ_E10value_typeET4_jRbjT5_SW_jjP12ihipStream_tbEUlT_E2_NS1_11comp_targetILNS1_3genE10ELNS1_11target_archE1201ELNS1_3gpuE5ELNS1_3repE0EEENS1_30default_config_static_selectorELNS0_4arch9wavefront6targetE0EEEvSK_.private_seg_size, 0
	.set _ZN7rocprim17ROCPRIM_400000_NS6detail17trampoline_kernelINS0_14default_configENS1_36segmented_radix_sort_config_selectorIslEEZNS1_25segmented_radix_sort_implIS3_Lb0EPKsPsPKlPlN2at6native12_GLOBAL__N_18offset_tEEE10hipError_tPvRmT1_PNSt15iterator_traitsISK_E10value_typeET2_T3_PNSL_ISQ_E10value_typeET4_jRbjT5_SW_jjP12ihipStream_tbEUlT_E2_NS1_11comp_targetILNS1_3genE10ELNS1_11target_archE1201ELNS1_3gpuE5ELNS1_3repE0EEENS1_30default_config_static_selectorELNS0_4arch9wavefront6targetE0EEEvSK_.uses_vcc, 0
	.set _ZN7rocprim17ROCPRIM_400000_NS6detail17trampoline_kernelINS0_14default_configENS1_36segmented_radix_sort_config_selectorIslEEZNS1_25segmented_radix_sort_implIS3_Lb0EPKsPsPKlPlN2at6native12_GLOBAL__N_18offset_tEEE10hipError_tPvRmT1_PNSt15iterator_traitsISK_E10value_typeET2_T3_PNSL_ISQ_E10value_typeET4_jRbjT5_SW_jjP12ihipStream_tbEUlT_E2_NS1_11comp_targetILNS1_3genE10ELNS1_11target_archE1201ELNS1_3gpuE5ELNS1_3repE0EEENS1_30default_config_static_selectorELNS0_4arch9wavefront6targetE0EEEvSK_.uses_flat_scratch, 0
	.set _ZN7rocprim17ROCPRIM_400000_NS6detail17trampoline_kernelINS0_14default_configENS1_36segmented_radix_sort_config_selectorIslEEZNS1_25segmented_radix_sort_implIS3_Lb0EPKsPsPKlPlN2at6native12_GLOBAL__N_18offset_tEEE10hipError_tPvRmT1_PNSt15iterator_traitsISK_E10value_typeET2_T3_PNSL_ISQ_E10value_typeET4_jRbjT5_SW_jjP12ihipStream_tbEUlT_E2_NS1_11comp_targetILNS1_3genE10ELNS1_11target_archE1201ELNS1_3gpuE5ELNS1_3repE0EEENS1_30default_config_static_selectorELNS0_4arch9wavefront6targetE0EEEvSK_.has_dyn_sized_stack, 0
	.set _ZN7rocprim17ROCPRIM_400000_NS6detail17trampoline_kernelINS0_14default_configENS1_36segmented_radix_sort_config_selectorIslEEZNS1_25segmented_radix_sort_implIS3_Lb0EPKsPsPKlPlN2at6native12_GLOBAL__N_18offset_tEEE10hipError_tPvRmT1_PNSt15iterator_traitsISK_E10value_typeET2_T3_PNSL_ISQ_E10value_typeET4_jRbjT5_SW_jjP12ihipStream_tbEUlT_E2_NS1_11comp_targetILNS1_3genE10ELNS1_11target_archE1201ELNS1_3gpuE5ELNS1_3repE0EEENS1_30default_config_static_selectorELNS0_4arch9wavefront6targetE0EEEvSK_.has_recursion, 0
	.set _ZN7rocprim17ROCPRIM_400000_NS6detail17trampoline_kernelINS0_14default_configENS1_36segmented_radix_sort_config_selectorIslEEZNS1_25segmented_radix_sort_implIS3_Lb0EPKsPsPKlPlN2at6native12_GLOBAL__N_18offset_tEEE10hipError_tPvRmT1_PNSt15iterator_traitsISK_E10value_typeET2_T3_PNSL_ISQ_E10value_typeET4_jRbjT5_SW_jjP12ihipStream_tbEUlT_E2_NS1_11comp_targetILNS1_3genE10ELNS1_11target_archE1201ELNS1_3gpuE5ELNS1_3repE0EEENS1_30default_config_static_selectorELNS0_4arch9wavefront6targetE0EEEvSK_.has_indirect_call, 0
	.section	.AMDGPU.csdata,"",@progbits
; Kernel info:
; codeLenInByte = 0
; TotalNumSgprs: 0
; NumVgprs: 0
; ScratchSize: 0
; MemoryBound: 0
; FloatMode: 240
; IeeeMode: 1
; LDSByteSize: 0 bytes/workgroup (compile time only)
; SGPRBlocks: 0
; VGPRBlocks: 0
; NumSGPRsForWavesPerEU: 1
; NumVGPRsForWavesPerEU: 1
; Occupancy: 16
; WaveLimiterHint : 0
; COMPUTE_PGM_RSRC2:SCRATCH_EN: 0
; COMPUTE_PGM_RSRC2:USER_SGPR: 6
; COMPUTE_PGM_RSRC2:TRAP_HANDLER: 0
; COMPUTE_PGM_RSRC2:TGID_X_EN: 1
; COMPUTE_PGM_RSRC2:TGID_Y_EN: 0
; COMPUTE_PGM_RSRC2:TGID_Z_EN: 0
; COMPUTE_PGM_RSRC2:TIDIG_COMP_CNT: 0
	.section	.text._ZN7rocprim17ROCPRIM_400000_NS6detail17trampoline_kernelINS0_14default_configENS1_36segmented_radix_sort_config_selectorIslEEZNS1_25segmented_radix_sort_implIS3_Lb0EPKsPsPKlPlN2at6native12_GLOBAL__N_18offset_tEEE10hipError_tPvRmT1_PNSt15iterator_traitsISK_E10value_typeET2_T3_PNSL_ISQ_E10value_typeET4_jRbjT5_SW_jjP12ihipStream_tbEUlT_E2_NS1_11comp_targetILNS1_3genE10ELNS1_11target_archE1200ELNS1_3gpuE4ELNS1_3repE0EEENS1_30default_config_static_selectorELNS0_4arch9wavefront6targetE0EEEvSK_,"axG",@progbits,_ZN7rocprim17ROCPRIM_400000_NS6detail17trampoline_kernelINS0_14default_configENS1_36segmented_radix_sort_config_selectorIslEEZNS1_25segmented_radix_sort_implIS3_Lb0EPKsPsPKlPlN2at6native12_GLOBAL__N_18offset_tEEE10hipError_tPvRmT1_PNSt15iterator_traitsISK_E10value_typeET2_T3_PNSL_ISQ_E10value_typeET4_jRbjT5_SW_jjP12ihipStream_tbEUlT_E2_NS1_11comp_targetILNS1_3genE10ELNS1_11target_archE1200ELNS1_3gpuE4ELNS1_3repE0EEENS1_30default_config_static_selectorELNS0_4arch9wavefront6targetE0EEEvSK_,comdat
	.globl	_ZN7rocprim17ROCPRIM_400000_NS6detail17trampoline_kernelINS0_14default_configENS1_36segmented_radix_sort_config_selectorIslEEZNS1_25segmented_radix_sort_implIS3_Lb0EPKsPsPKlPlN2at6native12_GLOBAL__N_18offset_tEEE10hipError_tPvRmT1_PNSt15iterator_traitsISK_E10value_typeET2_T3_PNSL_ISQ_E10value_typeET4_jRbjT5_SW_jjP12ihipStream_tbEUlT_E2_NS1_11comp_targetILNS1_3genE10ELNS1_11target_archE1200ELNS1_3gpuE4ELNS1_3repE0EEENS1_30default_config_static_selectorELNS0_4arch9wavefront6targetE0EEEvSK_ ; -- Begin function _ZN7rocprim17ROCPRIM_400000_NS6detail17trampoline_kernelINS0_14default_configENS1_36segmented_radix_sort_config_selectorIslEEZNS1_25segmented_radix_sort_implIS3_Lb0EPKsPsPKlPlN2at6native12_GLOBAL__N_18offset_tEEE10hipError_tPvRmT1_PNSt15iterator_traitsISK_E10value_typeET2_T3_PNSL_ISQ_E10value_typeET4_jRbjT5_SW_jjP12ihipStream_tbEUlT_E2_NS1_11comp_targetILNS1_3genE10ELNS1_11target_archE1200ELNS1_3gpuE4ELNS1_3repE0EEENS1_30default_config_static_selectorELNS0_4arch9wavefront6targetE0EEEvSK_
	.p2align	8
	.type	_ZN7rocprim17ROCPRIM_400000_NS6detail17trampoline_kernelINS0_14default_configENS1_36segmented_radix_sort_config_selectorIslEEZNS1_25segmented_radix_sort_implIS3_Lb0EPKsPsPKlPlN2at6native12_GLOBAL__N_18offset_tEEE10hipError_tPvRmT1_PNSt15iterator_traitsISK_E10value_typeET2_T3_PNSL_ISQ_E10value_typeET4_jRbjT5_SW_jjP12ihipStream_tbEUlT_E2_NS1_11comp_targetILNS1_3genE10ELNS1_11target_archE1200ELNS1_3gpuE4ELNS1_3repE0EEENS1_30default_config_static_selectorELNS0_4arch9wavefront6targetE0EEEvSK_,@function
_ZN7rocprim17ROCPRIM_400000_NS6detail17trampoline_kernelINS0_14default_configENS1_36segmented_radix_sort_config_selectorIslEEZNS1_25segmented_radix_sort_implIS3_Lb0EPKsPsPKlPlN2at6native12_GLOBAL__N_18offset_tEEE10hipError_tPvRmT1_PNSt15iterator_traitsISK_E10value_typeET2_T3_PNSL_ISQ_E10value_typeET4_jRbjT5_SW_jjP12ihipStream_tbEUlT_E2_NS1_11comp_targetILNS1_3genE10ELNS1_11target_archE1200ELNS1_3gpuE4ELNS1_3repE0EEENS1_30default_config_static_selectorELNS0_4arch9wavefront6targetE0EEEvSK_: ; @_ZN7rocprim17ROCPRIM_400000_NS6detail17trampoline_kernelINS0_14default_configENS1_36segmented_radix_sort_config_selectorIslEEZNS1_25segmented_radix_sort_implIS3_Lb0EPKsPsPKlPlN2at6native12_GLOBAL__N_18offset_tEEE10hipError_tPvRmT1_PNSt15iterator_traitsISK_E10value_typeET2_T3_PNSL_ISQ_E10value_typeET4_jRbjT5_SW_jjP12ihipStream_tbEUlT_E2_NS1_11comp_targetILNS1_3genE10ELNS1_11target_archE1200ELNS1_3gpuE4ELNS1_3repE0EEENS1_30default_config_static_selectorELNS0_4arch9wavefront6targetE0EEEvSK_
; %bb.0:
	.section	.rodata,"a",@progbits
	.p2align	6, 0x0
	.amdhsa_kernel _ZN7rocprim17ROCPRIM_400000_NS6detail17trampoline_kernelINS0_14default_configENS1_36segmented_radix_sort_config_selectorIslEEZNS1_25segmented_radix_sort_implIS3_Lb0EPKsPsPKlPlN2at6native12_GLOBAL__N_18offset_tEEE10hipError_tPvRmT1_PNSt15iterator_traitsISK_E10value_typeET2_T3_PNSL_ISQ_E10value_typeET4_jRbjT5_SW_jjP12ihipStream_tbEUlT_E2_NS1_11comp_targetILNS1_3genE10ELNS1_11target_archE1200ELNS1_3gpuE4ELNS1_3repE0EEENS1_30default_config_static_selectorELNS0_4arch9wavefront6targetE0EEEvSK_
		.amdhsa_group_segment_fixed_size 0
		.amdhsa_private_segment_fixed_size 0
		.amdhsa_kernarg_size 80
		.amdhsa_user_sgpr_count 6
		.amdhsa_user_sgpr_private_segment_buffer 1
		.amdhsa_user_sgpr_dispatch_ptr 0
		.amdhsa_user_sgpr_queue_ptr 0
		.amdhsa_user_sgpr_kernarg_segment_ptr 1
		.amdhsa_user_sgpr_dispatch_id 0
		.amdhsa_user_sgpr_flat_scratch_init 0
		.amdhsa_user_sgpr_private_segment_size 0
		.amdhsa_wavefront_size32 1
		.amdhsa_uses_dynamic_stack 0
		.amdhsa_system_sgpr_private_segment_wavefront_offset 0
		.amdhsa_system_sgpr_workgroup_id_x 1
		.amdhsa_system_sgpr_workgroup_id_y 0
		.amdhsa_system_sgpr_workgroup_id_z 0
		.amdhsa_system_sgpr_workgroup_info 0
		.amdhsa_system_vgpr_workitem_id 0
		.amdhsa_next_free_vgpr 1
		.amdhsa_next_free_sgpr 1
		.amdhsa_reserve_vcc 0
		.amdhsa_reserve_flat_scratch 0
		.amdhsa_float_round_mode_32 0
		.amdhsa_float_round_mode_16_64 0
		.amdhsa_float_denorm_mode_32 3
		.amdhsa_float_denorm_mode_16_64 3
		.amdhsa_dx10_clamp 1
		.amdhsa_ieee_mode 1
		.amdhsa_fp16_overflow 0
		.amdhsa_workgroup_processor_mode 1
		.amdhsa_memory_ordered 1
		.amdhsa_forward_progress 1
		.amdhsa_shared_vgpr_count 0
		.amdhsa_exception_fp_ieee_invalid_op 0
		.amdhsa_exception_fp_denorm_src 0
		.amdhsa_exception_fp_ieee_div_zero 0
		.amdhsa_exception_fp_ieee_overflow 0
		.amdhsa_exception_fp_ieee_underflow 0
		.amdhsa_exception_fp_ieee_inexact 0
		.amdhsa_exception_int_div_zero 0
	.end_amdhsa_kernel
	.section	.text._ZN7rocprim17ROCPRIM_400000_NS6detail17trampoline_kernelINS0_14default_configENS1_36segmented_radix_sort_config_selectorIslEEZNS1_25segmented_radix_sort_implIS3_Lb0EPKsPsPKlPlN2at6native12_GLOBAL__N_18offset_tEEE10hipError_tPvRmT1_PNSt15iterator_traitsISK_E10value_typeET2_T3_PNSL_ISQ_E10value_typeET4_jRbjT5_SW_jjP12ihipStream_tbEUlT_E2_NS1_11comp_targetILNS1_3genE10ELNS1_11target_archE1200ELNS1_3gpuE4ELNS1_3repE0EEENS1_30default_config_static_selectorELNS0_4arch9wavefront6targetE0EEEvSK_,"axG",@progbits,_ZN7rocprim17ROCPRIM_400000_NS6detail17trampoline_kernelINS0_14default_configENS1_36segmented_radix_sort_config_selectorIslEEZNS1_25segmented_radix_sort_implIS3_Lb0EPKsPsPKlPlN2at6native12_GLOBAL__N_18offset_tEEE10hipError_tPvRmT1_PNSt15iterator_traitsISK_E10value_typeET2_T3_PNSL_ISQ_E10value_typeET4_jRbjT5_SW_jjP12ihipStream_tbEUlT_E2_NS1_11comp_targetILNS1_3genE10ELNS1_11target_archE1200ELNS1_3gpuE4ELNS1_3repE0EEENS1_30default_config_static_selectorELNS0_4arch9wavefront6targetE0EEEvSK_,comdat
.Lfunc_end1042:
	.size	_ZN7rocprim17ROCPRIM_400000_NS6detail17trampoline_kernelINS0_14default_configENS1_36segmented_radix_sort_config_selectorIslEEZNS1_25segmented_radix_sort_implIS3_Lb0EPKsPsPKlPlN2at6native12_GLOBAL__N_18offset_tEEE10hipError_tPvRmT1_PNSt15iterator_traitsISK_E10value_typeET2_T3_PNSL_ISQ_E10value_typeET4_jRbjT5_SW_jjP12ihipStream_tbEUlT_E2_NS1_11comp_targetILNS1_3genE10ELNS1_11target_archE1200ELNS1_3gpuE4ELNS1_3repE0EEENS1_30default_config_static_selectorELNS0_4arch9wavefront6targetE0EEEvSK_, .Lfunc_end1042-_ZN7rocprim17ROCPRIM_400000_NS6detail17trampoline_kernelINS0_14default_configENS1_36segmented_radix_sort_config_selectorIslEEZNS1_25segmented_radix_sort_implIS3_Lb0EPKsPsPKlPlN2at6native12_GLOBAL__N_18offset_tEEE10hipError_tPvRmT1_PNSt15iterator_traitsISK_E10value_typeET2_T3_PNSL_ISQ_E10value_typeET4_jRbjT5_SW_jjP12ihipStream_tbEUlT_E2_NS1_11comp_targetILNS1_3genE10ELNS1_11target_archE1200ELNS1_3gpuE4ELNS1_3repE0EEENS1_30default_config_static_selectorELNS0_4arch9wavefront6targetE0EEEvSK_
                                        ; -- End function
	.set _ZN7rocprim17ROCPRIM_400000_NS6detail17trampoline_kernelINS0_14default_configENS1_36segmented_radix_sort_config_selectorIslEEZNS1_25segmented_radix_sort_implIS3_Lb0EPKsPsPKlPlN2at6native12_GLOBAL__N_18offset_tEEE10hipError_tPvRmT1_PNSt15iterator_traitsISK_E10value_typeET2_T3_PNSL_ISQ_E10value_typeET4_jRbjT5_SW_jjP12ihipStream_tbEUlT_E2_NS1_11comp_targetILNS1_3genE10ELNS1_11target_archE1200ELNS1_3gpuE4ELNS1_3repE0EEENS1_30default_config_static_selectorELNS0_4arch9wavefront6targetE0EEEvSK_.num_vgpr, 0
	.set _ZN7rocprim17ROCPRIM_400000_NS6detail17trampoline_kernelINS0_14default_configENS1_36segmented_radix_sort_config_selectorIslEEZNS1_25segmented_radix_sort_implIS3_Lb0EPKsPsPKlPlN2at6native12_GLOBAL__N_18offset_tEEE10hipError_tPvRmT1_PNSt15iterator_traitsISK_E10value_typeET2_T3_PNSL_ISQ_E10value_typeET4_jRbjT5_SW_jjP12ihipStream_tbEUlT_E2_NS1_11comp_targetILNS1_3genE10ELNS1_11target_archE1200ELNS1_3gpuE4ELNS1_3repE0EEENS1_30default_config_static_selectorELNS0_4arch9wavefront6targetE0EEEvSK_.num_agpr, 0
	.set _ZN7rocprim17ROCPRIM_400000_NS6detail17trampoline_kernelINS0_14default_configENS1_36segmented_radix_sort_config_selectorIslEEZNS1_25segmented_radix_sort_implIS3_Lb0EPKsPsPKlPlN2at6native12_GLOBAL__N_18offset_tEEE10hipError_tPvRmT1_PNSt15iterator_traitsISK_E10value_typeET2_T3_PNSL_ISQ_E10value_typeET4_jRbjT5_SW_jjP12ihipStream_tbEUlT_E2_NS1_11comp_targetILNS1_3genE10ELNS1_11target_archE1200ELNS1_3gpuE4ELNS1_3repE0EEENS1_30default_config_static_selectorELNS0_4arch9wavefront6targetE0EEEvSK_.numbered_sgpr, 0
	.set _ZN7rocprim17ROCPRIM_400000_NS6detail17trampoline_kernelINS0_14default_configENS1_36segmented_radix_sort_config_selectorIslEEZNS1_25segmented_radix_sort_implIS3_Lb0EPKsPsPKlPlN2at6native12_GLOBAL__N_18offset_tEEE10hipError_tPvRmT1_PNSt15iterator_traitsISK_E10value_typeET2_T3_PNSL_ISQ_E10value_typeET4_jRbjT5_SW_jjP12ihipStream_tbEUlT_E2_NS1_11comp_targetILNS1_3genE10ELNS1_11target_archE1200ELNS1_3gpuE4ELNS1_3repE0EEENS1_30default_config_static_selectorELNS0_4arch9wavefront6targetE0EEEvSK_.num_named_barrier, 0
	.set _ZN7rocprim17ROCPRIM_400000_NS6detail17trampoline_kernelINS0_14default_configENS1_36segmented_radix_sort_config_selectorIslEEZNS1_25segmented_radix_sort_implIS3_Lb0EPKsPsPKlPlN2at6native12_GLOBAL__N_18offset_tEEE10hipError_tPvRmT1_PNSt15iterator_traitsISK_E10value_typeET2_T3_PNSL_ISQ_E10value_typeET4_jRbjT5_SW_jjP12ihipStream_tbEUlT_E2_NS1_11comp_targetILNS1_3genE10ELNS1_11target_archE1200ELNS1_3gpuE4ELNS1_3repE0EEENS1_30default_config_static_selectorELNS0_4arch9wavefront6targetE0EEEvSK_.private_seg_size, 0
	.set _ZN7rocprim17ROCPRIM_400000_NS6detail17trampoline_kernelINS0_14default_configENS1_36segmented_radix_sort_config_selectorIslEEZNS1_25segmented_radix_sort_implIS3_Lb0EPKsPsPKlPlN2at6native12_GLOBAL__N_18offset_tEEE10hipError_tPvRmT1_PNSt15iterator_traitsISK_E10value_typeET2_T3_PNSL_ISQ_E10value_typeET4_jRbjT5_SW_jjP12ihipStream_tbEUlT_E2_NS1_11comp_targetILNS1_3genE10ELNS1_11target_archE1200ELNS1_3gpuE4ELNS1_3repE0EEENS1_30default_config_static_selectorELNS0_4arch9wavefront6targetE0EEEvSK_.uses_vcc, 0
	.set _ZN7rocprim17ROCPRIM_400000_NS6detail17trampoline_kernelINS0_14default_configENS1_36segmented_radix_sort_config_selectorIslEEZNS1_25segmented_radix_sort_implIS3_Lb0EPKsPsPKlPlN2at6native12_GLOBAL__N_18offset_tEEE10hipError_tPvRmT1_PNSt15iterator_traitsISK_E10value_typeET2_T3_PNSL_ISQ_E10value_typeET4_jRbjT5_SW_jjP12ihipStream_tbEUlT_E2_NS1_11comp_targetILNS1_3genE10ELNS1_11target_archE1200ELNS1_3gpuE4ELNS1_3repE0EEENS1_30default_config_static_selectorELNS0_4arch9wavefront6targetE0EEEvSK_.uses_flat_scratch, 0
	.set _ZN7rocprim17ROCPRIM_400000_NS6detail17trampoline_kernelINS0_14default_configENS1_36segmented_radix_sort_config_selectorIslEEZNS1_25segmented_radix_sort_implIS3_Lb0EPKsPsPKlPlN2at6native12_GLOBAL__N_18offset_tEEE10hipError_tPvRmT1_PNSt15iterator_traitsISK_E10value_typeET2_T3_PNSL_ISQ_E10value_typeET4_jRbjT5_SW_jjP12ihipStream_tbEUlT_E2_NS1_11comp_targetILNS1_3genE10ELNS1_11target_archE1200ELNS1_3gpuE4ELNS1_3repE0EEENS1_30default_config_static_selectorELNS0_4arch9wavefront6targetE0EEEvSK_.has_dyn_sized_stack, 0
	.set _ZN7rocprim17ROCPRIM_400000_NS6detail17trampoline_kernelINS0_14default_configENS1_36segmented_radix_sort_config_selectorIslEEZNS1_25segmented_radix_sort_implIS3_Lb0EPKsPsPKlPlN2at6native12_GLOBAL__N_18offset_tEEE10hipError_tPvRmT1_PNSt15iterator_traitsISK_E10value_typeET2_T3_PNSL_ISQ_E10value_typeET4_jRbjT5_SW_jjP12ihipStream_tbEUlT_E2_NS1_11comp_targetILNS1_3genE10ELNS1_11target_archE1200ELNS1_3gpuE4ELNS1_3repE0EEENS1_30default_config_static_selectorELNS0_4arch9wavefront6targetE0EEEvSK_.has_recursion, 0
	.set _ZN7rocprim17ROCPRIM_400000_NS6detail17trampoline_kernelINS0_14default_configENS1_36segmented_radix_sort_config_selectorIslEEZNS1_25segmented_radix_sort_implIS3_Lb0EPKsPsPKlPlN2at6native12_GLOBAL__N_18offset_tEEE10hipError_tPvRmT1_PNSt15iterator_traitsISK_E10value_typeET2_T3_PNSL_ISQ_E10value_typeET4_jRbjT5_SW_jjP12ihipStream_tbEUlT_E2_NS1_11comp_targetILNS1_3genE10ELNS1_11target_archE1200ELNS1_3gpuE4ELNS1_3repE0EEENS1_30default_config_static_selectorELNS0_4arch9wavefront6targetE0EEEvSK_.has_indirect_call, 0
	.section	.AMDGPU.csdata,"",@progbits
; Kernel info:
; codeLenInByte = 0
; TotalNumSgprs: 0
; NumVgprs: 0
; ScratchSize: 0
; MemoryBound: 0
; FloatMode: 240
; IeeeMode: 1
; LDSByteSize: 0 bytes/workgroup (compile time only)
; SGPRBlocks: 0
; VGPRBlocks: 0
; NumSGPRsForWavesPerEU: 1
; NumVGPRsForWavesPerEU: 1
; Occupancy: 16
; WaveLimiterHint : 0
; COMPUTE_PGM_RSRC2:SCRATCH_EN: 0
; COMPUTE_PGM_RSRC2:USER_SGPR: 6
; COMPUTE_PGM_RSRC2:TRAP_HANDLER: 0
; COMPUTE_PGM_RSRC2:TGID_X_EN: 1
; COMPUTE_PGM_RSRC2:TGID_Y_EN: 0
; COMPUTE_PGM_RSRC2:TGID_Z_EN: 0
; COMPUTE_PGM_RSRC2:TIDIG_COMP_CNT: 0
	.section	.text._ZN7rocprim17ROCPRIM_400000_NS6detail17trampoline_kernelINS0_14default_configENS1_36segmented_radix_sort_config_selectorIslEEZNS1_25segmented_radix_sort_implIS3_Lb0EPKsPsPKlPlN2at6native12_GLOBAL__N_18offset_tEEE10hipError_tPvRmT1_PNSt15iterator_traitsISK_E10value_typeET2_T3_PNSL_ISQ_E10value_typeET4_jRbjT5_SW_jjP12ihipStream_tbEUlT_E2_NS1_11comp_targetILNS1_3genE9ELNS1_11target_archE1100ELNS1_3gpuE3ELNS1_3repE0EEENS1_30default_config_static_selectorELNS0_4arch9wavefront6targetE0EEEvSK_,"axG",@progbits,_ZN7rocprim17ROCPRIM_400000_NS6detail17trampoline_kernelINS0_14default_configENS1_36segmented_radix_sort_config_selectorIslEEZNS1_25segmented_radix_sort_implIS3_Lb0EPKsPsPKlPlN2at6native12_GLOBAL__N_18offset_tEEE10hipError_tPvRmT1_PNSt15iterator_traitsISK_E10value_typeET2_T3_PNSL_ISQ_E10value_typeET4_jRbjT5_SW_jjP12ihipStream_tbEUlT_E2_NS1_11comp_targetILNS1_3genE9ELNS1_11target_archE1100ELNS1_3gpuE3ELNS1_3repE0EEENS1_30default_config_static_selectorELNS0_4arch9wavefront6targetE0EEEvSK_,comdat
	.globl	_ZN7rocprim17ROCPRIM_400000_NS6detail17trampoline_kernelINS0_14default_configENS1_36segmented_radix_sort_config_selectorIslEEZNS1_25segmented_radix_sort_implIS3_Lb0EPKsPsPKlPlN2at6native12_GLOBAL__N_18offset_tEEE10hipError_tPvRmT1_PNSt15iterator_traitsISK_E10value_typeET2_T3_PNSL_ISQ_E10value_typeET4_jRbjT5_SW_jjP12ihipStream_tbEUlT_E2_NS1_11comp_targetILNS1_3genE9ELNS1_11target_archE1100ELNS1_3gpuE3ELNS1_3repE0EEENS1_30default_config_static_selectorELNS0_4arch9wavefront6targetE0EEEvSK_ ; -- Begin function _ZN7rocprim17ROCPRIM_400000_NS6detail17trampoline_kernelINS0_14default_configENS1_36segmented_radix_sort_config_selectorIslEEZNS1_25segmented_radix_sort_implIS3_Lb0EPKsPsPKlPlN2at6native12_GLOBAL__N_18offset_tEEE10hipError_tPvRmT1_PNSt15iterator_traitsISK_E10value_typeET2_T3_PNSL_ISQ_E10value_typeET4_jRbjT5_SW_jjP12ihipStream_tbEUlT_E2_NS1_11comp_targetILNS1_3genE9ELNS1_11target_archE1100ELNS1_3gpuE3ELNS1_3repE0EEENS1_30default_config_static_selectorELNS0_4arch9wavefront6targetE0EEEvSK_
	.p2align	8
	.type	_ZN7rocprim17ROCPRIM_400000_NS6detail17trampoline_kernelINS0_14default_configENS1_36segmented_radix_sort_config_selectorIslEEZNS1_25segmented_radix_sort_implIS3_Lb0EPKsPsPKlPlN2at6native12_GLOBAL__N_18offset_tEEE10hipError_tPvRmT1_PNSt15iterator_traitsISK_E10value_typeET2_T3_PNSL_ISQ_E10value_typeET4_jRbjT5_SW_jjP12ihipStream_tbEUlT_E2_NS1_11comp_targetILNS1_3genE9ELNS1_11target_archE1100ELNS1_3gpuE3ELNS1_3repE0EEENS1_30default_config_static_selectorELNS0_4arch9wavefront6targetE0EEEvSK_,@function
_ZN7rocprim17ROCPRIM_400000_NS6detail17trampoline_kernelINS0_14default_configENS1_36segmented_radix_sort_config_selectorIslEEZNS1_25segmented_radix_sort_implIS3_Lb0EPKsPsPKlPlN2at6native12_GLOBAL__N_18offset_tEEE10hipError_tPvRmT1_PNSt15iterator_traitsISK_E10value_typeET2_T3_PNSL_ISQ_E10value_typeET4_jRbjT5_SW_jjP12ihipStream_tbEUlT_E2_NS1_11comp_targetILNS1_3genE9ELNS1_11target_archE1100ELNS1_3gpuE3ELNS1_3repE0EEENS1_30default_config_static_selectorELNS0_4arch9wavefront6targetE0EEEvSK_: ; @_ZN7rocprim17ROCPRIM_400000_NS6detail17trampoline_kernelINS0_14default_configENS1_36segmented_radix_sort_config_selectorIslEEZNS1_25segmented_radix_sort_implIS3_Lb0EPKsPsPKlPlN2at6native12_GLOBAL__N_18offset_tEEE10hipError_tPvRmT1_PNSt15iterator_traitsISK_E10value_typeET2_T3_PNSL_ISQ_E10value_typeET4_jRbjT5_SW_jjP12ihipStream_tbEUlT_E2_NS1_11comp_targetILNS1_3genE9ELNS1_11target_archE1100ELNS1_3gpuE3ELNS1_3repE0EEENS1_30default_config_static_selectorELNS0_4arch9wavefront6targetE0EEEvSK_
; %bb.0:
	.section	.rodata,"a",@progbits
	.p2align	6, 0x0
	.amdhsa_kernel _ZN7rocprim17ROCPRIM_400000_NS6detail17trampoline_kernelINS0_14default_configENS1_36segmented_radix_sort_config_selectorIslEEZNS1_25segmented_radix_sort_implIS3_Lb0EPKsPsPKlPlN2at6native12_GLOBAL__N_18offset_tEEE10hipError_tPvRmT1_PNSt15iterator_traitsISK_E10value_typeET2_T3_PNSL_ISQ_E10value_typeET4_jRbjT5_SW_jjP12ihipStream_tbEUlT_E2_NS1_11comp_targetILNS1_3genE9ELNS1_11target_archE1100ELNS1_3gpuE3ELNS1_3repE0EEENS1_30default_config_static_selectorELNS0_4arch9wavefront6targetE0EEEvSK_
		.amdhsa_group_segment_fixed_size 0
		.amdhsa_private_segment_fixed_size 0
		.amdhsa_kernarg_size 80
		.amdhsa_user_sgpr_count 6
		.amdhsa_user_sgpr_private_segment_buffer 1
		.amdhsa_user_sgpr_dispatch_ptr 0
		.amdhsa_user_sgpr_queue_ptr 0
		.amdhsa_user_sgpr_kernarg_segment_ptr 1
		.amdhsa_user_sgpr_dispatch_id 0
		.amdhsa_user_sgpr_flat_scratch_init 0
		.amdhsa_user_sgpr_private_segment_size 0
		.amdhsa_wavefront_size32 1
		.amdhsa_uses_dynamic_stack 0
		.amdhsa_system_sgpr_private_segment_wavefront_offset 0
		.amdhsa_system_sgpr_workgroup_id_x 1
		.amdhsa_system_sgpr_workgroup_id_y 0
		.amdhsa_system_sgpr_workgroup_id_z 0
		.amdhsa_system_sgpr_workgroup_info 0
		.amdhsa_system_vgpr_workitem_id 0
		.amdhsa_next_free_vgpr 1
		.amdhsa_next_free_sgpr 1
		.amdhsa_reserve_vcc 0
		.amdhsa_reserve_flat_scratch 0
		.amdhsa_float_round_mode_32 0
		.amdhsa_float_round_mode_16_64 0
		.amdhsa_float_denorm_mode_32 3
		.amdhsa_float_denorm_mode_16_64 3
		.amdhsa_dx10_clamp 1
		.amdhsa_ieee_mode 1
		.amdhsa_fp16_overflow 0
		.amdhsa_workgroup_processor_mode 1
		.amdhsa_memory_ordered 1
		.amdhsa_forward_progress 1
		.amdhsa_shared_vgpr_count 0
		.amdhsa_exception_fp_ieee_invalid_op 0
		.amdhsa_exception_fp_denorm_src 0
		.amdhsa_exception_fp_ieee_div_zero 0
		.amdhsa_exception_fp_ieee_overflow 0
		.amdhsa_exception_fp_ieee_underflow 0
		.amdhsa_exception_fp_ieee_inexact 0
		.amdhsa_exception_int_div_zero 0
	.end_amdhsa_kernel
	.section	.text._ZN7rocprim17ROCPRIM_400000_NS6detail17trampoline_kernelINS0_14default_configENS1_36segmented_radix_sort_config_selectorIslEEZNS1_25segmented_radix_sort_implIS3_Lb0EPKsPsPKlPlN2at6native12_GLOBAL__N_18offset_tEEE10hipError_tPvRmT1_PNSt15iterator_traitsISK_E10value_typeET2_T3_PNSL_ISQ_E10value_typeET4_jRbjT5_SW_jjP12ihipStream_tbEUlT_E2_NS1_11comp_targetILNS1_3genE9ELNS1_11target_archE1100ELNS1_3gpuE3ELNS1_3repE0EEENS1_30default_config_static_selectorELNS0_4arch9wavefront6targetE0EEEvSK_,"axG",@progbits,_ZN7rocprim17ROCPRIM_400000_NS6detail17trampoline_kernelINS0_14default_configENS1_36segmented_radix_sort_config_selectorIslEEZNS1_25segmented_radix_sort_implIS3_Lb0EPKsPsPKlPlN2at6native12_GLOBAL__N_18offset_tEEE10hipError_tPvRmT1_PNSt15iterator_traitsISK_E10value_typeET2_T3_PNSL_ISQ_E10value_typeET4_jRbjT5_SW_jjP12ihipStream_tbEUlT_E2_NS1_11comp_targetILNS1_3genE9ELNS1_11target_archE1100ELNS1_3gpuE3ELNS1_3repE0EEENS1_30default_config_static_selectorELNS0_4arch9wavefront6targetE0EEEvSK_,comdat
.Lfunc_end1043:
	.size	_ZN7rocprim17ROCPRIM_400000_NS6detail17trampoline_kernelINS0_14default_configENS1_36segmented_radix_sort_config_selectorIslEEZNS1_25segmented_radix_sort_implIS3_Lb0EPKsPsPKlPlN2at6native12_GLOBAL__N_18offset_tEEE10hipError_tPvRmT1_PNSt15iterator_traitsISK_E10value_typeET2_T3_PNSL_ISQ_E10value_typeET4_jRbjT5_SW_jjP12ihipStream_tbEUlT_E2_NS1_11comp_targetILNS1_3genE9ELNS1_11target_archE1100ELNS1_3gpuE3ELNS1_3repE0EEENS1_30default_config_static_selectorELNS0_4arch9wavefront6targetE0EEEvSK_, .Lfunc_end1043-_ZN7rocprim17ROCPRIM_400000_NS6detail17trampoline_kernelINS0_14default_configENS1_36segmented_radix_sort_config_selectorIslEEZNS1_25segmented_radix_sort_implIS3_Lb0EPKsPsPKlPlN2at6native12_GLOBAL__N_18offset_tEEE10hipError_tPvRmT1_PNSt15iterator_traitsISK_E10value_typeET2_T3_PNSL_ISQ_E10value_typeET4_jRbjT5_SW_jjP12ihipStream_tbEUlT_E2_NS1_11comp_targetILNS1_3genE9ELNS1_11target_archE1100ELNS1_3gpuE3ELNS1_3repE0EEENS1_30default_config_static_selectorELNS0_4arch9wavefront6targetE0EEEvSK_
                                        ; -- End function
	.set _ZN7rocprim17ROCPRIM_400000_NS6detail17trampoline_kernelINS0_14default_configENS1_36segmented_radix_sort_config_selectorIslEEZNS1_25segmented_radix_sort_implIS3_Lb0EPKsPsPKlPlN2at6native12_GLOBAL__N_18offset_tEEE10hipError_tPvRmT1_PNSt15iterator_traitsISK_E10value_typeET2_T3_PNSL_ISQ_E10value_typeET4_jRbjT5_SW_jjP12ihipStream_tbEUlT_E2_NS1_11comp_targetILNS1_3genE9ELNS1_11target_archE1100ELNS1_3gpuE3ELNS1_3repE0EEENS1_30default_config_static_selectorELNS0_4arch9wavefront6targetE0EEEvSK_.num_vgpr, 0
	.set _ZN7rocprim17ROCPRIM_400000_NS6detail17trampoline_kernelINS0_14default_configENS1_36segmented_radix_sort_config_selectorIslEEZNS1_25segmented_radix_sort_implIS3_Lb0EPKsPsPKlPlN2at6native12_GLOBAL__N_18offset_tEEE10hipError_tPvRmT1_PNSt15iterator_traitsISK_E10value_typeET2_T3_PNSL_ISQ_E10value_typeET4_jRbjT5_SW_jjP12ihipStream_tbEUlT_E2_NS1_11comp_targetILNS1_3genE9ELNS1_11target_archE1100ELNS1_3gpuE3ELNS1_3repE0EEENS1_30default_config_static_selectorELNS0_4arch9wavefront6targetE0EEEvSK_.num_agpr, 0
	.set _ZN7rocprim17ROCPRIM_400000_NS6detail17trampoline_kernelINS0_14default_configENS1_36segmented_radix_sort_config_selectorIslEEZNS1_25segmented_radix_sort_implIS3_Lb0EPKsPsPKlPlN2at6native12_GLOBAL__N_18offset_tEEE10hipError_tPvRmT1_PNSt15iterator_traitsISK_E10value_typeET2_T3_PNSL_ISQ_E10value_typeET4_jRbjT5_SW_jjP12ihipStream_tbEUlT_E2_NS1_11comp_targetILNS1_3genE9ELNS1_11target_archE1100ELNS1_3gpuE3ELNS1_3repE0EEENS1_30default_config_static_selectorELNS0_4arch9wavefront6targetE0EEEvSK_.numbered_sgpr, 0
	.set _ZN7rocprim17ROCPRIM_400000_NS6detail17trampoline_kernelINS0_14default_configENS1_36segmented_radix_sort_config_selectorIslEEZNS1_25segmented_radix_sort_implIS3_Lb0EPKsPsPKlPlN2at6native12_GLOBAL__N_18offset_tEEE10hipError_tPvRmT1_PNSt15iterator_traitsISK_E10value_typeET2_T3_PNSL_ISQ_E10value_typeET4_jRbjT5_SW_jjP12ihipStream_tbEUlT_E2_NS1_11comp_targetILNS1_3genE9ELNS1_11target_archE1100ELNS1_3gpuE3ELNS1_3repE0EEENS1_30default_config_static_selectorELNS0_4arch9wavefront6targetE0EEEvSK_.num_named_barrier, 0
	.set _ZN7rocprim17ROCPRIM_400000_NS6detail17trampoline_kernelINS0_14default_configENS1_36segmented_radix_sort_config_selectorIslEEZNS1_25segmented_radix_sort_implIS3_Lb0EPKsPsPKlPlN2at6native12_GLOBAL__N_18offset_tEEE10hipError_tPvRmT1_PNSt15iterator_traitsISK_E10value_typeET2_T3_PNSL_ISQ_E10value_typeET4_jRbjT5_SW_jjP12ihipStream_tbEUlT_E2_NS1_11comp_targetILNS1_3genE9ELNS1_11target_archE1100ELNS1_3gpuE3ELNS1_3repE0EEENS1_30default_config_static_selectorELNS0_4arch9wavefront6targetE0EEEvSK_.private_seg_size, 0
	.set _ZN7rocprim17ROCPRIM_400000_NS6detail17trampoline_kernelINS0_14default_configENS1_36segmented_radix_sort_config_selectorIslEEZNS1_25segmented_radix_sort_implIS3_Lb0EPKsPsPKlPlN2at6native12_GLOBAL__N_18offset_tEEE10hipError_tPvRmT1_PNSt15iterator_traitsISK_E10value_typeET2_T3_PNSL_ISQ_E10value_typeET4_jRbjT5_SW_jjP12ihipStream_tbEUlT_E2_NS1_11comp_targetILNS1_3genE9ELNS1_11target_archE1100ELNS1_3gpuE3ELNS1_3repE0EEENS1_30default_config_static_selectorELNS0_4arch9wavefront6targetE0EEEvSK_.uses_vcc, 0
	.set _ZN7rocprim17ROCPRIM_400000_NS6detail17trampoline_kernelINS0_14default_configENS1_36segmented_radix_sort_config_selectorIslEEZNS1_25segmented_radix_sort_implIS3_Lb0EPKsPsPKlPlN2at6native12_GLOBAL__N_18offset_tEEE10hipError_tPvRmT1_PNSt15iterator_traitsISK_E10value_typeET2_T3_PNSL_ISQ_E10value_typeET4_jRbjT5_SW_jjP12ihipStream_tbEUlT_E2_NS1_11comp_targetILNS1_3genE9ELNS1_11target_archE1100ELNS1_3gpuE3ELNS1_3repE0EEENS1_30default_config_static_selectorELNS0_4arch9wavefront6targetE0EEEvSK_.uses_flat_scratch, 0
	.set _ZN7rocprim17ROCPRIM_400000_NS6detail17trampoline_kernelINS0_14default_configENS1_36segmented_radix_sort_config_selectorIslEEZNS1_25segmented_radix_sort_implIS3_Lb0EPKsPsPKlPlN2at6native12_GLOBAL__N_18offset_tEEE10hipError_tPvRmT1_PNSt15iterator_traitsISK_E10value_typeET2_T3_PNSL_ISQ_E10value_typeET4_jRbjT5_SW_jjP12ihipStream_tbEUlT_E2_NS1_11comp_targetILNS1_3genE9ELNS1_11target_archE1100ELNS1_3gpuE3ELNS1_3repE0EEENS1_30default_config_static_selectorELNS0_4arch9wavefront6targetE0EEEvSK_.has_dyn_sized_stack, 0
	.set _ZN7rocprim17ROCPRIM_400000_NS6detail17trampoline_kernelINS0_14default_configENS1_36segmented_radix_sort_config_selectorIslEEZNS1_25segmented_radix_sort_implIS3_Lb0EPKsPsPKlPlN2at6native12_GLOBAL__N_18offset_tEEE10hipError_tPvRmT1_PNSt15iterator_traitsISK_E10value_typeET2_T3_PNSL_ISQ_E10value_typeET4_jRbjT5_SW_jjP12ihipStream_tbEUlT_E2_NS1_11comp_targetILNS1_3genE9ELNS1_11target_archE1100ELNS1_3gpuE3ELNS1_3repE0EEENS1_30default_config_static_selectorELNS0_4arch9wavefront6targetE0EEEvSK_.has_recursion, 0
	.set _ZN7rocprim17ROCPRIM_400000_NS6detail17trampoline_kernelINS0_14default_configENS1_36segmented_radix_sort_config_selectorIslEEZNS1_25segmented_radix_sort_implIS3_Lb0EPKsPsPKlPlN2at6native12_GLOBAL__N_18offset_tEEE10hipError_tPvRmT1_PNSt15iterator_traitsISK_E10value_typeET2_T3_PNSL_ISQ_E10value_typeET4_jRbjT5_SW_jjP12ihipStream_tbEUlT_E2_NS1_11comp_targetILNS1_3genE9ELNS1_11target_archE1100ELNS1_3gpuE3ELNS1_3repE0EEENS1_30default_config_static_selectorELNS0_4arch9wavefront6targetE0EEEvSK_.has_indirect_call, 0
	.section	.AMDGPU.csdata,"",@progbits
; Kernel info:
; codeLenInByte = 0
; TotalNumSgprs: 0
; NumVgprs: 0
; ScratchSize: 0
; MemoryBound: 0
; FloatMode: 240
; IeeeMode: 1
; LDSByteSize: 0 bytes/workgroup (compile time only)
; SGPRBlocks: 0
; VGPRBlocks: 0
; NumSGPRsForWavesPerEU: 1
; NumVGPRsForWavesPerEU: 1
; Occupancy: 16
; WaveLimiterHint : 0
; COMPUTE_PGM_RSRC2:SCRATCH_EN: 0
; COMPUTE_PGM_RSRC2:USER_SGPR: 6
; COMPUTE_PGM_RSRC2:TRAP_HANDLER: 0
; COMPUTE_PGM_RSRC2:TGID_X_EN: 1
; COMPUTE_PGM_RSRC2:TGID_Y_EN: 0
; COMPUTE_PGM_RSRC2:TGID_Z_EN: 0
; COMPUTE_PGM_RSRC2:TIDIG_COMP_CNT: 0
	.section	.text._ZN7rocprim17ROCPRIM_400000_NS6detail17trampoline_kernelINS0_14default_configENS1_36segmented_radix_sort_config_selectorIslEEZNS1_25segmented_radix_sort_implIS3_Lb0EPKsPsPKlPlN2at6native12_GLOBAL__N_18offset_tEEE10hipError_tPvRmT1_PNSt15iterator_traitsISK_E10value_typeET2_T3_PNSL_ISQ_E10value_typeET4_jRbjT5_SW_jjP12ihipStream_tbEUlT_E2_NS1_11comp_targetILNS1_3genE8ELNS1_11target_archE1030ELNS1_3gpuE2ELNS1_3repE0EEENS1_30default_config_static_selectorELNS0_4arch9wavefront6targetE0EEEvSK_,"axG",@progbits,_ZN7rocprim17ROCPRIM_400000_NS6detail17trampoline_kernelINS0_14default_configENS1_36segmented_radix_sort_config_selectorIslEEZNS1_25segmented_radix_sort_implIS3_Lb0EPKsPsPKlPlN2at6native12_GLOBAL__N_18offset_tEEE10hipError_tPvRmT1_PNSt15iterator_traitsISK_E10value_typeET2_T3_PNSL_ISQ_E10value_typeET4_jRbjT5_SW_jjP12ihipStream_tbEUlT_E2_NS1_11comp_targetILNS1_3genE8ELNS1_11target_archE1030ELNS1_3gpuE2ELNS1_3repE0EEENS1_30default_config_static_selectorELNS0_4arch9wavefront6targetE0EEEvSK_,comdat
	.globl	_ZN7rocprim17ROCPRIM_400000_NS6detail17trampoline_kernelINS0_14default_configENS1_36segmented_radix_sort_config_selectorIslEEZNS1_25segmented_radix_sort_implIS3_Lb0EPKsPsPKlPlN2at6native12_GLOBAL__N_18offset_tEEE10hipError_tPvRmT1_PNSt15iterator_traitsISK_E10value_typeET2_T3_PNSL_ISQ_E10value_typeET4_jRbjT5_SW_jjP12ihipStream_tbEUlT_E2_NS1_11comp_targetILNS1_3genE8ELNS1_11target_archE1030ELNS1_3gpuE2ELNS1_3repE0EEENS1_30default_config_static_selectorELNS0_4arch9wavefront6targetE0EEEvSK_ ; -- Begin function _ZN7rocprim17ROCPRIM_400000_NS6detail17trampoline_kernelINS0_14default_configENS1_36segmented_radix_sort_config_selectorIslEEZNS1_25segmented_radix_sort_implIS3_Lb0EPKsPsPKlPlN2at6native12_GLOBAL__N_18offset_tEEE10hipError_tPvRmT1_PNSt15iterator_traitsISK_E10value_typeET2_T3_PNSL_ISQ_E10value_typeET4_jRbjT5_SW_jjP12ihipStream_tbEUlT_E2_NS1_11comp_targetILNS1_3genE8ELNS1_11target_archE1030ELNS1_3gpuE2ELNS1_3repE0EEENS1_30default_config_static_selectorELNS0_4arch9wavefront6targetE0EEEvSK_
	.p2align	8
	.type	_ZN7rocprim17ROCPRIM_400000_NS6detail17trampoline_kernelINS0_14default_configENS1_36segmented_radix_sort_config_selectorIslEEZNS1_25segmented_radix_sort_implIS3_Lb0EPKsPsPKlPlN2at6native12_GLOBAL__N_18offset_tEEE10hipError_tPvRmT1_PNSt15iterator_traitsISK_E10value_typeET2_T3_PNSL_ISQ_E10value_typeET4_jRbjT5_SW_jjP12ihipStream_tbEUlT_E2_NS1_11comp_targetILNS1_3genE8ELNS1_11target_archE1030ELNS1_3gpuE2ELNS1_3repE0EEENS1_30default_config_static_selectorELNS0_4arch9wavefront6targetE0EEEvSK_,@function
_ZN7rocprim17ROCPRIM_400000_NS6detail17trampoline_kernelINS0_14default_configENS1_36segmented_radix_sort_config_selectorIslEEZNS1_25segmented_radix_sort_implIS3_Lb0EPKsPsPKlPlN2at6native12_GLOBAL__N_18offset_tEEE10hipError_tPvRmT1_PNSt15iterator_traitsISK_E10value_typeET2_T3_PNSL_ISQ_E10value_typeET4_jRbjT5_SW_jjP12ihipStream_tbEUlT_E2_NS1_11comp_targetILNS1_3genE8ELNS1_11target_archE1030ELNS1_3gpuE2ELNS1_3repE0EEENS1_30default_config_static_selectorELNS0_4arch9wavefront6targetE0EEEvSK_: ; @_ZN7rocprim17ROCPRIM_400000_NS6detail17trampoline_kernelINS0_14default_configENS1_36segmented_radix_sort_config_selectorIslEEZNS1_25segmented_radix_sort_implIS3_Lb0EPKsPsPKlPlN2at6native12_GLOBAL__N_18offset_tEEE10hipError_tPvRmT1_PNSt15iterator_traitsISK_E10value_typeET2_T3_PNSL_ISQ_E10value_typeET4_jRbjT5_SW_jjP12ihipStream_tbEUlT_E2_NS1_11comp_targetILNS1_3genE8ELNS1_11target_archE1030ELNS1_3gpuE2ELNS1_3repE0EEENS1_30default_config_static_selectorELNS0_4arch9wavefront6targetE0EEEvSK_
; %bb.0:
	s_add_u32 s0, s0, s8
	s_load_dwordx4 s[8:11], s[4:5], 0x34
	s_addc_u32 s1, s1, 0
	s_mov_b32 s32, 0
	s_waitcnt lgkmcnt(0)
	s_add_i32 s58, s9, s6
	s_add_i32 s59, s11, s6
	s_mul_i32 s58, s58, s8
	s_mul_i32 s59, s59, s10
	s_cmp_le_u32 s59, s58
	s_cbranch_scc1 .LBB1044_1262
; %bb.1:
	s_clause 0x3
	s_load_dword s8, s[4:5], 0x30
	s_load_dwordx4 s[52:55], s[4:5], 0x20
	s_load_dwordx4 s[40:43], s[4:5], 0x44
	s_load_dwordx8 s[44:51], s[4:5], 0x0
	s_waitcnt lgkmcnt(0)
	s_bitcmp1_b32 s8, 0
	s_mov_b32 s8, -1
	s_cselect_b32 s43, -1, 0
	s_sub_i32 s60, s59, s58
	s_cmpk_lt_u32 s60, 0x1101
	s_cbranch_scc0 .LBB1044_15
; %bb.2:
	s_cmpk_lt_u32 s60, 0x81
	s_cbranch_scc0 .LBB1044_9
; %bb.3:
	s_load_dword s8, s[4:5], 0x5c
	s_mov_b32 s19, exec_lo
	s_waitcnt lgkmcnt(0)
	s_lshr_b32 s9, s8, 16
	s_and_b32 s8, s8, 0xffff
	v_mad_u32_u24 v3, v2, s9, v1
	v_mad_u64_u32 v[3:4], null, v3, s8, v[0:1]
	v_cmpx_gt_u32_e32 32, v3
	s_cbranch_execz .LBB1044_8
; %bb.4:
	v_cndmask_b32_e64 v3, 0, 1, s43
	s_and_b32 s8, s40, 1
	v_cmp_ne_u32_e32 vcc_lo, s8, v3
	s_mov_b32 s8, -1
	s_cbranch_vccnz .LBB1044_6
; %bb.5:
	v_lshlrev_b32_e32 v3, 20, v2
	v_lshlrev_b32_e32 v4, 10, v1
	s_mov_b64 s[10:11], src_shared_base
	v_mov_b32_e32 v40, v0
	v_mov_b32_e32 v41, v1
	;; [unrolled: 1-line block ×3, first 2 shown]
	v_or3_b32 v31, v0, v4, v3
	v_mov_b32_e32 v0, s44
	v_mov_b32_e32 v42, v2
	;; [unrolled: 1-line block ×14, first 2 shown]
	s_add_u32 s8, s4, 0x50
	s_addc_u32 s9, s5, 0
	s_getpc_b64 s[14:15]
	s_add_u32 s14, s14, _ZN7rocprim17ROCPRIM_400000_NS6detail26segmented_warp_sort_helperINS1_20WarpSortHelperConfigILj32ELj4ELj256EEEslLi256ELb0EvE4sortIPKsPsPKlPlEEvT_T0_T1_T2_jjjjRNS5_12storage_typeE@rel32@lo+4
	s_addc_u32 s15, s15, _ZN7rocprim17ROCPRIM_400000_NS6detail26segmented_warp_sort_helperINS1_20WarpSortHelperConfigILj32ELj4ELj256EEEslLi256ELb0EvE4sortIPKsPsPKlPlEEvT_T0_T1_T2_jjjjRNS5_12storage_typeE@rel32@hi+12
	s_mov_b32 s12, s6
	s_mov_b32 s13, s7
	s_mov_b64 s[20:21], s[4:5]
	s_mov_b32 s22, s7
	s_mov_b32 s23, s6
	s_swappc_b64 s[30:31], s[14:15]
	v_mov_b32_e32 v1, v41
	v_mov_b32_e32 v2, v42
	;; [unrolled: 1-line block ×3, first 2 shown]
	s_mov_b32 s6, s23
	s_mov_b32 s7, s22
	s_mov_b64 s[4:5], s[20:21]
	s_mov_b32 s8, 0
.LBB1044_6:
	s_andn2_b32 vcc_lo, exec_lo, s8
	s_cbranch_vccnz .LBB1044_8
; %bb.7:
	v_lshlrev_b32_e32 v3, 20, v2
	v_lshlrev_b32_e32 v4, 10, v1
	s_mov_b64 s[10:11], src_shared_base
	v_mov_b32_e32 v40, v0
	v_mov_b32_e32 v41, v1
	;; [unrolled: 1-line block ×3, first 2 shown]
	v_or3_b32 v31, v0, v4, v3
	v_mov_b32_e32 v0, s44
	v_mov_b32_e32 v42, v2
	;; [unrolled: 1-line block ×14, first 2 shown]
	s_add_u32 s8, s4, 0x50
	s_addc_u32 s9, s5, 0
	s_getpc_b64 s[14:15]
	s_add_u32 s14, s14, _ZN7rocprim17ROCPRIM_400000_NS6detail26segmented_warp_sort_helperINS1_20WarpSortHelperConfigILj32ELj4ELj256EEEslLi256ELb0EvE4sortIPKsPsPKlPlEEvT_T0_T1_T2_jjjjRNS5_12storage_typeE@rel32@lo+4
	s_addc_u32 s15, s15, _ZN7rocprim17ROCPRIM_400000_NS6detail26segmented_warp_sort_helperINS1_20WarpSortHelperConfigILj32ELj4ELj256EEEslLi256ELb0EvE4sortIPKsPsPKlPlEEvT_T0_T1_T2_jjjjRNS5_12storage_typeE@rel32@hi+12
	s_mov_b32 s12, s6
	s_mov_b32 s13, s7
	s_mov_b64 s[20:21], s[4:5]
	s_mov_b32 s23, s7
	s_mov_b32 s22, s6
	s_swappc_b64 s[30:31], s[14:15]
	v_mov_b32_e32 v1, v41
	v_mov_b32_e32 v2, v42
	;; [unrolled: 1-line block ×3, first 2 shown]
	s_mov_b32 s6, s22
	s_mov_b32 s7, s23
	s_mov_b64 s[4:5], s[20:21]
.LBB1044_8:
	s_or_b32 exec_lo, exec_lo, s19
	s_mov_b32 s8, 0
.LBB1044_9:
	s_andn2_b32 vcc_lo, exec_lo, s8
	s_cbranch_vccnz .LBB1044_14
; %bb.10:
	v_cndmask_b32_e64 v3, 0, 1, s43
	s_and_b32 s8, s40, 1
	v_lshlrev_b32_e32 v41, 20, v2
	v_lshlrev_b32_e32 v42, 10, v1
	v_cmp_ne_u32_e32 vcc_lo, s8, v3
	s_mov_b32 s8, -1
	s_cbranch_vccnz .LBB1044_12
; %bb.11:
	s_mov_b64 s[10:11], src_shared_base
	v_or3_b32 v31, v0, v42, v41
	v_mov_b32_e32 v40, v0
	v_mov_b32_e32 v0, s44
	;; [unrolled: 1-line block ×17, first 2 shown]
	s_add_u32 s8, s4, 0x50
	s_addc_u32 s9, s5, 0
	s_getpc_b64 s[14:15]
	s_add_u32 s14, s14, _ZN7rocprim17ROCPRIM_400000_NS6detail40segmented_radix_sort_single_block_helperIslLj256ELj17ELb0EE4sortIPKsPsPKlPlEEbT_T0_T1_T2_jjjjRNS3_12storage_typeE@rel32@lo+4
	s_addc_u32 s15, s15, _ZN7rocprim17ROCPRIM_400000_NS6detail40segmented_radix_sort_single_block_helperIslLj256ELj17ELb0EE4sortIPKsPsPKlPlEEbT_T0_T1_T2_jjjjRNS3_12storage_typeE@rel32@hi+12
	s_mov_b32 s12, s6
	s_mov_b32 s13, s7
	s_mov_b64 s[28:29], s[4:5]
	s_mov_b32 s33, s7
	s_mov_b32 s34, s6
	s_swappc_b64 s[30:31], s[14:15]
	v_mov_b32_e32 v1, v43
	v_mov_b32_e32 v2, v44
	;; [unrolled: 1-line block ×3, first 2 shown]
	s_mov_b32 s6, s34
	s_mov_b32 s7, s33
	s_mov_b64 s[4:5], s[28:29]
	s_mov_b32 s8, 0
.LBB1044_12:
	s_andn2_b32 vcc_lo, exec_lo, s8
	s_cbranch_vccnz .LBB1044_14
; %bb.13:
	s_mov_b64 s[10:11], src_shared_base
	v_or3_b32 v31, v0, v42, v41
	v_mov_b32_e32 v40, v0
	v_mov_b32_e32 v0, s44
	;; [unrolled: 1-line block ×17, first 2 shown]
	s_add_u32 s8, s4, 0x50
	s_addc_u32 s9, s5, 0
	s_getpc_b64 s[14:15]
	s_add_u32 s14, s14, _ZN7rocprim17ROCPRIM_400000_NS6detail40segmented_radix_sort_single_block_helperIslLj256ELj17ELb0EE4sortIPKsPsPKlPlEEbT_T0_T1_T2_jjjjRNS3_12storage_typeE@rel32@lo+4
	s_addc_u32 s15, s15, _ZN7rocprim17ROCPRIM_400000_NS6detail40segmented_radix_sort_single_block_helperIslLj256ELj17ELb0EE4sortIPKsPsPKlPlEEbT_T0_T1_T2_jjjjRNS3_12storage_typeE@rel32@hi+12
	s_mov_b32 s12, s6
	s_mov_b32 s13, s7
	s_mov_b64 s[28:29], s[4:5]
	s_mov_b32 s34, s7
	s_mov_b32 s33, s6
	s_swappc_b64 s[30:31], s[14:15]
	v_mov_b32_e32 v1, v41
	v_mov_b32_e32 v2, v42
	;; [unrolled: 1-line block ×3, first 2 shown]
	s_mov_b32 s6, s33
	s_mov_b32 s7, s34
	s_mov_b64 s[4:5], s[28:29]
.LBB1044_14:
	s_mov_b32 s8, 0
.LBB1044_15:
	s_andn2_b32 vcc_lo, exec_lo, s8
	s_cbranch_vccnz .LBB1044_1262
; %bb.16:
	s_cmp_ge_u32 s41, s42
	s_cbranch_scc1 .LBB1044_1262
; %bb.17:
	v_and_b32_e32 v6, 0xe0, v0
	v_lshlrev_b32_e32 v43, 2, v0
	v_and_b32_e32 v5, 3, v0
	v_lshrrev_b32_e32 v8, 3, v0
	s_add_u32 s56, s4, 0x50
	v_min_u32_e32 v7, 0x60, v6
	v_mad_u32_u24 v64, v0, 12, v43
	v_lshlrev_b32_e32 v63, 2, v5
	v_mul_u32_u24_e32 v5, 17, v6
	v_or_b32_e32 v6, 31, v6
	v_or_b32_e32 v7, 31, v7
	v_add_nc_u32_e32 v68, v64, v43
	v_and_b32_e32 v62, 28, v8
	v_add_nc_u32_e32 v8, 1, v0
	v_cmp_eq_u32_e64 s4, v0, v6
	v_cmp_eq_u32_e64 s9, v0, v7
	v_lshlrev_b32_e32 v7, 4, v0
	v_lshlrev_b32_e32 v6, 3, v5
	;; [unrolled: 1-line block ×3, first 2 shown]
	v_mul_u32_u24_e32 v70, 36, v8
	v_cmp_ne_u32_e64 s14, 0x80, v8
	v_sub_nc_u32_e32 v69, v68, v7
	v_lshlrev_b32_e32 v7, 1, v5
	v_add_co_u32 v8, s15, s54, v6
	v_add_co_ci_u32_e64 v9, null, s55, 0, s15
	v_add_co_u32 v72, s15, s48, v7
	v_add_co_ci_u32_e64 v73, null, s49, 0, s15
	v_add_co_u32 v76, s15, s46, v3
	v_mbcnt_lo_u32_b32 v86, -1, 0
	v_add_co_ci_u32_e64 v77, null, s47, 0, s15
	v_add_co_u32 v78, s15, s52, v6
	v_add_co_ci_u32_e64 v79, null, s53, 0, s15
	v_add_co_u32 v80, s15, s46, v7
	v_lshlrev_b32_e32 v97, 3, v86
	v_add_co_ci_u32_e64 v81, null, s47, 0, s15
	v_add_co_u32 v82, s15, s44, v3
	v_or_b32_e32 v49, 0x400, v0
	v_or_b32_e32 v50, 0x500, v0
	;; [unrolled: 1-line block ×13, first 2 shown]
	v_lshl_add_u32 v71, v0, 5, v69
	v_or_b32_e32 v94, v86, v5
	v_add_co_ci_u32_e64 v83, null, s45, 0, s15
	v_add_co_u32 v84, s15, s50, v6
	v_add_co_u32 v45, s8, s48, v3
	v_add_co_ci_u32_e64 v85, null, s51, 0, s15
	v_add_co_u32 v87, s15, s44, v7
	v_add_co_u32 v123, vcc_lo, v8, v97
	v_mov_b32_e32 v4, 0
	v_or_b32_e32 v44, 0x100, v0
	v_add_co_ci_u32_e64 v46, null, s49, 0, s8
	v_or_b32_e32 v47, 0x200, v0
	v_or_b32_e32 v48, 0x300, v0
	v_cmp_gt_u32_e64 s8, 0x80, v0
	v_or_b32_e32 v65, 0x8a00, v62
	v_cmp_gt_u32_e64 s10, 4, v0
	v_add_nc_u32_e32 v66, 0x8a00, v43
	v_cmp_lt_u32_e64 s11, 31, v0
	v_add_nc_u32_e32 v67, 0x89fc, v62
	v_cmp_gt_u32_e64 s12, 8, v0
	v_cmp_eq_u32_e64 s13, 0, v0
	v_mad_i32_i24 v74, 0xffffffde, v0, v71
	v_mul_u32_u24_e32 v75, 6, v0
	v_add_co_ci_u32_e64 v88, null, s45, 0, s15
	v_mov_b32_e32 v89, 1
	v_and_b32_e32 v90, 15, v86
	v_bfe_i32 v91, v86, 4, 1
	v_and_b32_e32 v92, 16, v86
	v_and_b32_e32 v93, 3, v86
	v_sub_co_u32 v95, s15, v86, 1
	v_and_b32_e32 v96, 7, v86
	v_add_nc_u32_e32 v98, 32, v94
	v_add_nc_u32_e32 v99, 64, v94
	;; [unrolled: 1-line block ×11, first 2 shown]
	v_lshlrev_b32_e32 v109, 1, v0
	v_lshlrev_b32_e32 v110, 1, v49
	;; [unrolled: 1-line block ×14, first 2 shown]
	v_add_co_ci_u32_e64 v124, null, 0, v9, vcc_lo
	s_addc_u32 s57, s5, 0
	s_mov_b32 s51, 0
	s_mov_b32 s61, s41
	s_branch .LBB1044_20
.LBB1044_18:                            ;   in Loop: Header=BB1044_20 Depth=1
	s_waitcnt lgkmcnt(0)
	s_barrier
.LBB1044_19:                            ;   in Loop: Header=BB1044_20 Depth=1
	s_add_i32 s61, s61, 7
	buffer_gl0_inv
	s_cmp_ge_u32 s61, s42
	s_cbranch_scc1 .LBB1044_1262
.LBB1044_20:                            ; =>This Loop Header: Depth=1
                                        ;     Child Loop BB1044_24 Depth 2
                                        ;     Child Loop BB1044_108 Depth 2
	;; [unrolled: 1-line block ×8, first 2 shown]
	s_sub_i32 s5, s42, s61
	s_xor_b32 s43, s43, -1
	s_min_u32 s5, s5, 7
	ds_write2st64_b32 v43, v4, v4 offset1:4
	s_lshl_b32 s5, -1, s5
	s_waitcnt lgkmcnt(0)
	s_waitcnt_vscnt null, 0x0
	s_not_b32 s62, s5
	s_cmp_lg_u32 s61, s41
	s_mov_b32 s5, -1
	s_cbranch_scc0 .LBB1044_642
; %bb.21:                               ;   in Loop: Header=BB1044_20 Depth=1
	s_and_b32 vcc_lo, exec_lo, s43
	s_cbranch_vccz .LBB1044_331
; %bb.22:                               ;   in Loop: Header=BB1044_20 Depth=1
	s_mov_b32 s5, s60
	s_mov_b32 s50, s58
	s_barrier
	buffer_gl0_inv
                                        ; implicit-def: $vgpr3
                                        ; implicit-def: $vgpr5
                                        ; implicit-def: $vgpr6
                                        ; implicit-def: $vgpr7
                                        ; implicit-def: $vgpr8
                                        ; implicit-def: $vgpr9
                                        ; implicit-def: $vgpr10
                                        ; implicit-def: $vgpr11
                                        ; implicit-def: $vgpr12
                                        ; implicit-def: $vgpr13
                                        ; implicit-def: $vgpr14
                                        ; implicit-def: $vgpr15
                                        ; implicit-def: $vgpr16
                                        ; implicit-def: $vgpr17
                                        ; implicit-def: $vgpr18
                                        ; implicit-def: $vgpr19
                                        ; implicit-def: $vgpr20
	s_branch .LBB1044_24
.LBB1044_23:                            ;   in Loop: Header=BB1044_24 Depth=2
	s_or_b32 exec_lo, exec_lo, s16
	s_addk_i32 s5, 0xef00
	s_cmp_ge_u32 s18, s59
	s_mov_b32 s50, s18
	s_cbranch_scc1 .LBB1044_96
.LBB1044_24:                            ;   Parent Loop BB1044_20 Depth=1
                                        ; =>  This Inner Loop Header: Depth=2
	s_add_i32 s18, s50, 0x1100
	s_mov_b32 s16, -1
	s_cmp_gt_u32 s18, s59
                                        ; implicit-def: $vgpr21
                                        ; implicit-def: $vgpr22
                                        ; implicit-def: $vgpr23
                                        ; implicit-def: $vgpr24
                                        ; implicit-def: $vgpr28
                                        ; implicit-def: $vgpr25
                                        ; implicit-def: $vgpr26
                                        ; implicit-def: $vgpr27
                                        ; implicit-def: $vgpr30
                                        ; implicit-def: $vgpr29
                                        ; implicit-def: $vgpr31
                                        ; implicit-def: $vgpr32
                                        ; implicit-def: $vgpr33
                                        ; implicit-def: $vgpr34
                                        ; implicit-def: $vgpr35
                                        ; implicit-def: $vgpr36
                                        ; implicit-def: $vgpr37
	s_cbranch_scc1 .LBB1044_26
; %bb.25:                               ;   in Loop: Header=BB1044_24 Depth=2
	s_lshl_b64 s[16:17], s[50:51], 1
	v_add_co_u32 v30, vcc_lo, v45, s16
	v_add_co_ci_u32_e64 v31, null, s17, v46, vcc_lo
	s_mov_b32 s16, 0
	v_add_co_u32 v27, vcc_lo, 0x800, v30
	v_add_co_ci_u32_e64 v28, null, 0, v31, vcc_lo
	v_add_co_u32 v32, vcc_lo, v30, 0x1000
	v_add_co_ci_u32_e64 v33, null, 0, v31, vcc_lo
	;; [unrolled: 2-line block ×5, first 2 shown]
	s_clause 0x10
	global_load_ushort v21, v[30:31], off
	global_load_ushort v22, v[30:31], off offset:512
	global_load_ushort v23, v[30:31], off offset:1024
	;; [unrolled: 1-line block ×7, first 2 shown]
	global_load_ushort v28, v[32:33], off offset:-2048
	global_load_ushort v30, v[32:33], off
	global_load_ushort v31, v[34:35], off offset:1024
	global_load_ushort v32, v[34:35], off offset:1536
	global_load_ushort v33, v[38:39], off offset:-2048
	global_load_ushort v34, v[36:37], off offset:512
	global_load_ushort v35, v[36:37], off offset:1024
	;; [unrolled: 1-line block ×3, first 2 shown]
	global_load_ushort v37, v[38:39], off
.LBB1044_26:                            ;   in Loop: Header=BB1044_24 Depth=2
	s_andn2_b32 vcc_lo, exec_lo, s16
	s_movk_i32 s16, 0x1100
	s_cbranch_vccnz .LBB1044_46
; %bb.27:                               ;   in Loop: Header=BB1044_24 Depth=2
	s_lshl_b64 s[16:17], s[50:51], 1
	s_mov_b32 s19, exec_lo
	s_add_u32 s16, s48, s16
	s_addc_u32 s17, s49, s17
	v_cmpx_gt_u32_e64 s5, v0
	s_cbranch_execnz .LBB1044_80
; %bb.28:                               ;   in Loop: Header=BB1044_24 Depth=2
	s_or_b32 exec_lo, exec_lo, s19
	s_mov_b32 s19, exec_lo
	v_cmpx_gt_u32_e64 s5, v44
	s_cbranch_execnz .LBB1044_81
.LBB1044_29:                            ;   in Loop: Header=BB1044_24 Depth=2
	s_or_b32 exec_lo, exec_lo, s19
	s_mov_b32 s19, exec_lo
	v_cmpx_gt_u32_e64 s5, v47
	s_cbranch_execnz .LBB1044_82
.LBB1044_30:                            ;   in Loop: Header=BB1044_24 Depth=2
	s_or_b32 exec_lo, exec_lo, s19
	s_mov_b32 s19, exec_lo
	v_cmpx_gt_u32_e64 s5, v48
	s_cbranch_execnz .LBB1044_83
.LBB1044_31:                            ;   in Loop: Header=BB1044_24 Depth=2
	s_or_b32 exec_lo, exec_lo, s19
	s_mov_b32 s19, exec_lo
	v_cmpx_gt_u32_e64 s5, v49
	s_cbranch_execnz .LBB1044_84
.LBB1044_32:                            ;   in Loop: Header=BB1044_24 Depth=2
	s_or_b32 exec_lo, exec_lo, s19
	s_mov_b32 s19, exec_lo
	v_cmpx_gt_u32_e64 s5, v50
	s_cbranch_execnz .LBB1044_85
.LBB1044_33:                            ;   in Loop: Header=BB1044_24 Depth=2
	s_or_b32 exec_lo, exec_lo, s19
	s_mov_b32 s19, exec_lo
	v_cmpx_gt_u32_e64 s5, v51
	s_cbranch_execnz .LBB1044_86
.LBB1044_34:                            ;   in Loop: Header=BB1044_24 Depth=2
	s_or_b32 exec_lo, exec_lo, s19
	s_mov_b32 s19, exec_lo
	v_cmpx_gt_u32_e64 s5, v52
	s_cbranch_execnz .LBB1044_87
.LBB1044_35:                            ;   in Loop: Header=BB1044_24 Depth=2
	s_or_b32 exec_lo, exec_lo, s19
	s_mov_b32 s19, exec_lo
	v_cmpx_gt_u32_e64 s5, v53
	s_cbranch_execnz .LBB1044_88
.LBB1044_36:                            ;   in Loop: Header=BB1044_24 Depth=2
	s_or_b32 exec_lo, exec_lo, s19
	s_mov_b32 s19, exec_lo
	v_cmpx_gt_u32_e64 s5, v54
	s_cbranch_execnz .LBB1044_89
.LBB1044_37:                            ;   in Loop: Header=BB1044_24 Depth=2
	s_or_b32 exec_lo, exec_lo, s19
	s_mov_b32 s19, exec_lo
	v_cmpx_gt_u32_e64 s5, v55
	s_cbranch_execnz .LBB1044_90
.LBB1044_38:                            ;   in Loop: Header=BB1044_24 Depth=2
	s_or_b32 exec_lo, exec_lo, s19
	s_mov_b32 s19, exec_lo
	v_cmpx_gt_u32_e64 s5, v56
	s_cbranch_execnz .LBB1044_91
.LBB1044_39:                            ;   in Loop: Header=BB1044_24 Depth=2
	s_or_b32 exec_lo, exec_lo, s19
	s_mov_b32 s19, exec_lo
	v_cmpx_gt_u32_e64 s5, v57
	s_cbranch_execnz .LBB1044_92
.LBB1044_40:                            ;   in Loop: Header=BB1044_24 Depth=2
	s_or_b32 exec_lo, exec_lo, s19
	s_mov_b32 s19, exec_lo
	v_cmpx_gt_u32_e64 s5, v58
	s_cbranch_execnz .LBB1044_93
.LBB1044_41:                            ;   in Loop: Header=BB1044_24 Depth=2
	s_or_b32 exec_lo, exec_lo, s19
	s_mov_b32 s19, exec_lo
	v_cmpx_gt_u32_e64 s5, v59
	s_cbranch_execnz .LBB1044_94
.LBB1044_42:                            ;   in Loop: Header=BB1044_24 Depth=2
	s_or_b32 exec_lo, exec_lo, s19
	s_mov_b32 s19, exec_lo
	v_cmpx_gt_u32_e64 s5, v60
	s_cbranch_execnz .LBB1044_95
.LBB1044_43:                            ;   in Loop: Header=BB1044_24 Depth=2
	s_or_b32 exec_lo, exec_lo, s19
	s_mov_b32 s19, exec_lo
	v_cmpx_gt_u32_e64 s5, v61
	s_cbranch_execz .LBB1044_45
.LBB1044_44:                            ;   in Loop: Header=BB1044_24 Depth=2
	global_load_ushort v3, v122, s[16:17]
.LBB1044_45:                            ;   in Loop: Header=BB1044_24 Depth=2
	s_or_b32 exec_lo, exec_lo, s19
	s_waitcnt vmcnt(0)
	v_mov_b32_e32 v21, v20
	v_mov_b32_e32 v22, v19
	;; [unrolled: 1-line block ×17, first 2 shown]
	s_mov_b32 s16, s5
.LBB1044_46:                            ;   in Loop: Header=BB1044_24 Depth=2
	s_waitcnt vmcnt(0)
	v_mov_b32_e32 v3, v37
	v_mov_b32_e32 v5, v36
	;; [unrolled: 1-line block ×17, first 2 shown]
	s_mov_b32 s17, exec_lo
	v_cmpx_gt_u32_e64 s16, v0
	s_cbranch_execnz .LBB1044_63
; %bb.47:                               ;   in Loop: Header=BB1044_24 Depth=2
	s_or_b32 exec_lo, exec_lo, s17
	s_mov_b32 s17, exec_lo
	v_cmpx_gt_u32_e64 s16, v44
	s_cbranch_execnz .LBB1044_64
.LBB1044_48:                            ;   in Loop: Header=BB1044_24 Depth=2
	s_or_b32 exec_lo, exec_lo, s17
	s_mov_b32 s17, exec_lo
	v_cmpx_gt_u32_e64 s16, v47
	s_cbranch_execnz .LBB1044_65
.LBB1044_49:                            ;   in Loop: Header=BB1044_24 Depth=2
	s_or_b32 exec_lo, exec_lo, s17
	s_mov_b32 s17, exec_lo
	v_cmpx_gt_u32_e64 s16, v48
	s_cbranch_execnz .LBB1044_66
.LBB1044_50:                            ;   in Loop: Header=BB1044_24 Depth=2
	s_or_b32 exec_lo, exec_lo, s17
	s_mov_b32 s17, exec_lo
	v_cmpx_gt_u32_e64 s16, v49
	s_cbranch_execnz .LBB1044_67
.LBB1044_51:                            ;   in Loop: Header=BB1044_24 Depth=2
	s_or_b32 exec_lo, exec_lo, s17
	s_mov_b32 s17, exec_lo
	v_cmpx_gt_u32_e64 s16, v50
	s_cbranch_execnz .LBB1044_68
.LBB1044_52:                            ;   in Loop: Header=BB1044_24 Depth=2
	s_or_b32 exec_lo, exec_lo, s17
	s_mov_b32 s17, exec_lo
	v_cmpx_gt_u32_e64 s16, v51
	s_cbranch_execnz .LBB1044_69
.LBB1044_53:                            ;   in Loop: Header=BB1044_24 Depth=2
	s_or_b32 exec_lo, exec_lo, s17
	s_mov_b32 s17, exec_lo
	v_cmpx_gt_u32_e64 s16, v52
	s_cbranch_execnz .LBB1044_70
.LBB1044_54:                            ;   in Loop: Header=BB1044_24 Depth=2
	s_or_b32 exec_lo, exec_lo, s17
	s_mov_b32 s17, exec_lo
	v_cmpx_gt_u32_e64 s16, v53
	s_cbranch_execnz .LBB1044_71
.LBB1044_55:                            ;   in Loop: Header=BB1044_24 Depth=2
	s_or_b32 exec_lo, exec_lo, s17
	s_mov_b32 s17, exec_lo
	v_cmpx_gt_u32_e64 s16, v54
	s_cbranch_execnz .LBB1044_72
.LBB1044_56:                            ;   in Loop: Header=BB1044_24 Depth=2
	s_or_b32 exec_lo, exec_lo, s17
	s_mov_b32 s17, exec_lo
	v_cmpx_gt_u32_e64 s16, v55
	s_cbranch_execnz .LBB1044_73
.LBB1044_57:                            ;   in Loop: Header=BB1044_24 Depth=2
	s_or_b32 exec_lo, exec_lo, s17
	s_mov_b32 s17, exec_lo
	v_cmpx_gt_u32_e64 s16, v56
	s_cbranch_execnz .LBB1044_74
.LBB1044_58:                            ;   in Loop: Header=BB1044_24 Depth=2
	s_or_b32 exec_lo, exec_lo, s17
	s_mov_b32 s17, exec_lo
	v_cmpx_gt_u32_e64 s16, v57
	s_cbranch_execnz .LBB1044_75
.LBB1044_59:                            ;   in Loop: Header=BB1044_24 Depth=2
	s_or_b32 exec_lo, exec_lo, s17
	s_mov_b32 s17, exec_lo
	v_cmpx_gt_u32_e64 s16, v58
	s_cbranch_execnz .LBB1044_76
.LBB1044_60:                            ;   in Loop: Header=BB1044_24 Depth=2
	s_or_b32 exec_lo, exec_lo, s17
	s_mov_b32 s17, exec_lo
	v_cmpx_gt_u32_e64 s16, v59
	s_cbranch_execnz .LBB1044_77
.LBB1044_61:                            ;   in Loop: Header=BB1044_24 Depth=2
	s_or_b32 exec_lo, exec_lo, s17
	s_mov_b32 s17, exec_lo
	v_cmpx_gt_u32_e64 s16, v60
	s_cbranch_execnz .LBB1044_78
.LBB1044_62:                            ;   in Loop: Header=BB1044_24 Depth=2
	s_or_b32 exec_lo, exec_lo, s17
	v_cmp_gt_u32_e32 vcc_lo, s16, v61
	s_and_saveexec_b32 s16, vcc_lo
	s_cbranch_execz .LBB1044_23
	s_branch .LBB1044_79
.LBB1044_63:                            ;   in Loop: Header=BB1044_24 Depth=2
	v_xor_b32_e32 v21, 0xffff8000, v20
	v_lshrrev_b32_sdwa v21, s61, v21 dst_sel:DWORD dst_unused:UNUSED_PAD src0_sel:DWORD src1_sel:WORD_0
	v_and_b32_e32 v21, s62, v21
	v_lshl_or_b32 v21, v21, 4, v63
	ds_add_u32 v21, v89
	s_or_b32 exec_lo, exec_lo, s17
	s_mov_b32 s17, exec_lo
	v_cmpx_gt_u32_e64 s16, v44
	s_cbranch_execz .LBB1044_48
.LBB1044_64:                            ;   in Loop: Header=BB1044_24 Depth=2
	v_xor_b32_e32 v21, 0xffff8000, v19
	v_lshrrev_b32_sdwa v21, s61, v21 dst_sel:DWORD dst_unused:UNUSED_PAD src0_sel:DWORD src1_sel:WORD_0
	v_and_b32_e32 v21, s62, v21
	v_lshl_or_b32 v21, v21, 4, v63
	ds_add_u32 v21, v89
	s_or_b32 exec_lo, exec_lo, s17
	s_mov_b32 s17, exec_lo
	v_cmpx_gt_u32_e64 s16, v47
	s_cbranch_execz .LBB1044_49
.LBB1044_65:                            ;   in Loop: Header=BB1044_24 Depth=2
	v_xor_b32_e32 v21, 0xffff8000, v18
	v_lshrrev_b32_sdwa v21, s61, v21 dst_sel:DWORD dst_unused:UNUSED_PAD src0_sel:DWORD src1_sel:WORD_0
	v_and_b32_e32 v21, s62, v21
	v_lshl_or_b32 v21, v21, 4, v63
	ds_add_u32 v21, v89
	s_or_b32 exec_lo, exec_lo, s17
	s_mov_b32 s17, exec_lo
	v_cmpx_gt_u32_e64 s16, v48
	s_cbranch_execz .LBB1044_50
.LBB1044_66:                            ;   in Loop: Header=BB1044_24 Depth=2
	v_xor_b32_e32 v21, 0xffff8000, v17
	v_lshrrev_b32_sdwa v21, s61, v21 dst_sel:DWORD dst_unused:UNUSED_PAD src0_sel:DWORD src1_sel:WORD_0
	v_and_b32_e32 v21, s62, v21
	v_lshl_or_b32 v21, v21, 4, v63
	ds_add_u32 v21, v89
	s_or_b32 exec_lo, exec_lo, s17
	s_mov_b32 s17, exec_lo
	v_cmpx_gt_u32_e64 s16, v49
	s_cbranch_execz .LBB1044_51
.LBB1044_67:                            ;   in Loop: Header=BB1044_24 Depth=2
	v_xor_b32_e32 v21, 0xffff8000, v16
	v_lshrrev_b32_sdwa v21, s61, v21 dst_sel:DWORD dst_unused:UNUSED_PAD src0_sel:DWORD src1_sel:WORD_0
	v_and_b32_e32 v21, s62, v21
	v_lshl_or_b32 v21, v21, 4, v63
	ds_add_u32 v21, v89
	s_or_b32 exec_lo, exec_lo, s17
	s_mov_b32 s17, exec_lo
	v_cmpx_gt_u32_e64 s16, v50
	s_cbranch_execz .LBB1044_52
.LBB1044_68:                            ;   in Loop: Header=BB1044_24 Depth=2
	v_xor_b32_e32 v21, 0xffff8000, v15
	v_lshrrev_b32_sdwa v21, s61, v21 dst_sel:DWORD dst_unused:UNUSED_PAD src0_sel:DWORD src1_sel:WORD_0
	v_and_b32_e32 v21, s62, v21
	v_lshl_or_b32 v21, v21, 4, v63
	ds_add_u32 v21, v89
	s_or_b32 exec_lo, exec_lo, s17
	s_mov_b32 s17, exec_lo
	v_cmpx_gt_u32_e64 s16, v51
	s_cbranch_execz .LBB1044_53
.LBB1044_69:                            ;   in Loop: Header=BB1044_24 Depth=2
	v_xor_b32_e32 v21, 0xffff8000, v14
	v_lshrrev_b32_sdwa v21, s61, v21 dst_sel:DWORD dst_unused:UNUSED_PAD src0_sel:DWORD src1_sel:WORD_0
	v_and_b32_e32 v21, s62, v21
	v_lshl_or_b32 v21, v21, 4, v63
	ds_add_u32 v21, v89
	s_or_b32 exec_lo, exec_lo, s17
	s_mov_b32 s17, exec_lo
	v_cmpx_gt_u32_e64 s16, v52
	s_cbranch_execz .LBB1044_54
.LBB1044_70:                            ;   in Loop: Header=BB1044_24 Depth=2
	v_xor_b32_e32 v21, 0xffff8000, v13
	v_lshrrev_b32_sdwa v21, s61, v21 dst_sel:DWORD dst_unused:UNUSED_PAD src0_sel:DWORD src1_sel:WORD_0
	v_and_b32_e32 v21, s62, v21
	v_lshl_or_b32 v21, v21, 4, v63
	ds_add_u32 v21, v89
	s_or_b32 exec_lo, exec_lo, s17
	s_mov_b32 s17, exec_lo
	v_cmpx_gt_u32_e64 s16, v53
	s_cbranch_execz .LBB1044_55
.LBB1044_71:                            ;   in Loop: Header=BB1044_24 Depth=2
	v_xor_b32_e32 v21, 0xffff8000, v12
	v_lshrrev_b32_sdwa v21, s61, v21 dst_sel:DWORD dst_unused:UNUSED_PAD src0_sel:DWORD src1_sel:WORD_0
	v_and_b32_e32 v21, s62, v21
	v_lshl_or_b32 v21, v21, 4, v63
	ds_add_u32 v21, v89
	s_or_b32 exec_lo, exec_lo, s17
	s_mov_b32 s17, exec_lo
	v_cmpx_gt_u32_e64 s16, v54
	s_cbranch_execz .LBB1044_56
.LBB1044_72:                            ;   in Loop: Header=BB1044_24 Depth=2
	v_xor_b32_e32 v21, 0xffff8000, v11
	v_lshrrev_b32_sdwa v21, s61, v21 dst_sel:DWORD dst_unused:UNUSED_PAD src0_sel:DWORD src1_sel:WORD_0
	v_and_b32_e32 v21, s62, v21
	v_lshl_or_b32 v21, v21, 4, v63
	ds_add_u32 v21, v89
	s_or_b32 exec_lo, exec_lo, s17
	s_mov_b32 s17, exec_lo
	v_cmpx_gt_u32_e64 s16, v55
	s_cbranch_execz .LBB1044_57
.LBB1044_73:                            ;   in Loop: Header=BB1044_24 Depth=2
	v_xor_b32_e32 v21, 0xffff8000, v10
	v_lshrrev_b32_sdwa v21, s61, v21 dst_sel:DWORD dst_unused:UNUSED_PAD src0_sel:DWORD src1_sel:WORD_0
	v_and_b32_e32 v21, s62, v21
	v_lshl_or_b32 v21, v21, 4, v63
	ds_add_u32 v21, v89
	s_or_b32 exec_lo, exec_lo, s17
	s_mov_b32 s17, exec_lo
	v_cmpx_gt_u32_e64 s16, v56
	s_cbranch_execz .LBB1044_58
.LBB1044_74:                            ;   in Loop: Header=BB1044_24 Depth=2
	v_xor_b32_e32 v21, 0xffff8000, v9
	v_lshrrev_b32_sdwa v21, s61, v21 dst_sel:DWORD dst_unused:UNUSED_PAD src0_sel:DWORD src1_sel:WORD_0
	v_and_b32_e32 v21, s62, v21
	v_lshl_or_b32 v21, v21, 4, v63
	ds_add_u32 v21, v89
	s_or_b32 exec_lo, exec_lo, s17
	s_mov_b32 s17, exec_lo
	v_cmpx_gt_u32_e64 s16, v57
	s_cbranch_execz .LBB1044_59
.LBB1044_75:                            ;   in Loop: Header=BB1044_24 Depth=2
	v_xor_b32_e32 v21, 0xffff8000, v8
	v_lshrrev_b32_sdwa v21, s61, v21 dst_sel:DWORD dst_unused:UNUSED_PAD src0_sel:DWORD src1_sel:WORD_0
	v_and_b32_e32 v21, s62, v21
	v_lshl_or_b32 v21, v21, 4, v63
	ds_add_u32 v21, v89
	s_or_b32 exec_lo, exec_lo, s17
	s_mov_b32 s17, exec_lo
	v_cmpx_gt_u32_e64 s16, v58
	s_cbranch_execz .LBB1044_60
.LBB1044_76:                            ;   in Loop: Header=BB1044_24 Depth=2
	v_xor_b32_e32 v21, 0xffff8000, v7
	v_lshrrev_b32_sdwa v21, s61, v21 dst_sel:DWORD dst_unused:UNUSED_PAD src0_sel:DWORD src1_sel:WORD_0
	v_and_b32_e32 v21, s62, v21
	v_lshl_or_b32 v21, v21, 4, v63
	ds_add_u32 v21, v89
	s_or_b32 exec_lo, exec_lo, s17
	s_mov_b32 s17, exec_lo
	v_cmpx_gt_u32_e64 s16, v59
	s_cbranch_execz .LBB1044_61
.LBB1044_77:                            ;   in Loop: Header=BB1044_24 Depth=2
	v_xor_b32_e32 v21, 0xffff8000, v6
	v_lshrrev_b32_sdwa v21, s61, v21 dst_sel:DWORD dst_unused:UNUSED_PAD src0_sel:DWORD src1_sel:WORD_0
	v_and_b32_e32 v21, s62, v21
	v_lshl_or_b32 v21, v21, 4, v63
	ds_add_u32 v21, v89
	s_or_b32 exec_lo, exec_lo, s17
	s_mov_b32 s17, exec_lo
	v_cmpx_gt_u32_e64 s16, v60
	s_cbranch_execz .LBB1044_62
.LBB1044_78:                            ;   in Loop: Header=BB1044_24 Depth=2
	v_xor_b32_e32 v21, 0xffff8000, v5
	v_lshrrev_b32_sdwa v21, s61, v21 dst_sel:DWORD dst_unused:UNUSED_PAD src0_sel:DWORD src1_sel:WORD_0
	v_and_b32_e32 v21, s62, v21
	v_lshl_or_b32 v21, v21, 4, v63
	ds_add_u32 v21, v89
	s_or_b32 exec_lo, exec_lo, s17
	v_cmp_gt_u32_e32 vcc_lo, s16, v61
	s_and_saveexec_b32 s16, vcc_lo
	s_cbranch_execz .LBB1044_23
.LBB1044_79:                            ;   in Loop: Header=BB1044_24 Depth=2
	v_xor_b32_e32 v21, 0xffff8000, v3
	v_lshrrev_b32_sdwa v21, s61, v21 dst_sel:DWORD dst_unused:UNUSED_PAD src0_sel:DWORD src1_sel:WORD_0
	v_and_b32_e32 v21, s62, v21
	v_lshl_or_b32 v21, v21, 4, v63
	ds_add_u32 v21, v89
	s_branch .LBB1044_23
.LBB1044_80:                            ;   in Loop: Header=BB1044_24 Depth=2
	global_load_ushort v20, v109, s[16:17]
	s_or_b32 exec_lo, exec_lo, s19
	s_mov_b32 s19, exec_lo
	v_cmpx_gt_u32_e64 s5, v44
	s_cbranch_execz .LBB1044_29
.LBB1044_81:                            ;   in Loop: Header=BB1044_24 Depth=2
	global_load_ushort v19, v109, s[16:17] offset:512
	s_or_b32 exec_lo, exec_lo, s19
	s_mov_b32 s19, exec_lo
	v_cmpx_gt_u32_e64 s5, v47
	s_cbranch_execz .LBB1044_30
.LBB1044_82:                            ;   in Loop: Header=BB1044_24 Depth=2
	global_load_ushort v18, v109, s[16:17] offset:1024
	s_or_b32 exec_lo, exec_lo, s19
	s_mov_b32 s19, exec_lo
	v_cmpx_gt_u32_e64 s5, v48
	s_cbranch_execz .LBB1044_31
.LBB1044_83:                            ;   in Loop: Header=BB1044_24 Depth=2
	global_load_ushort v17, v109, s[16:17] offset:1536
	s_or_b32 exec_lo, exec_lo, s19
	s_mov_b32 s19, exec_lo
	v_cmpx_gt_u32_e64 s5, v49
	s_cbranch_execz .LBB1044_32
.LBB1044_84:                            ;   in Loop: Header=BB1044_24 Depth=2
	global_load_ushort v16, v110, s[16:17]
	s_or_b32 exec_lo, exec_lo, s19
	s_mov_b32 s19, exec_lo
	v_cmpx_gt_u32_e64 s5, v50
	s_cbranch_execz .LBB1044_33
.LBB1044_85:                            ;   in Loop: Header=BB1044_24 Depth=2
	global_load_ushort v15, v111, s[16:17]
	s_or_b32 exec_lo, exec_lo, s19
	s_mov_b32 s19, exec_lo
	v_cmpx_gt_u32_e64 s5, v51
	s_cbranch_execz .LBB1044_34
.LBB1044_86:                            ;   in Loop: Header=BB1044_24 Depth=2
	global_load_ushort v14, v112, s[16:17]
	s_or_b32 exec_lo, exec_lo, s19
	s_mov_b32 s19, exec_lo
	v_cmpx_gt_u32_e64 s5, v52
	s_cbranch_execz .LBB1044_35
.LBB1044_87:                            ;   in Loop: Header=BB1044_24 Depth=2
	global_load_ushort v13, v113, s[16:17]
	s_or_b32 exec_lo, exec_lo, s19
	s_mov_b32 s19, exec_lo
	v_cmpx_gt_u32_e64 s5, v53
	s_cbranch_execz .LBB1044_36
.LBB1044_88:                            ;   in Loop: Header=BB1044_24 Depth=2
	global_load_ushort v12, v114, s[16:17]
	s_or_b32 exec_lo, exec_lo, s19
	s_mov_b32 s19, exec_lo
	v_cmpx_gt_u32_e64 s5, v54
	s_cbranch_execz .LBB1044_37
.LBB1044_89:                            ;   in Loop: Header=BB1044_24 Depth=2
	global_load_ushort v11, v115, s[16:17]
	s_or_b32 exec_lo, exec_lo, s19
	s_mov_b32 s19, exec_lo
	v_cmpx_gt_u32_e64 s5, v55
	s_cbranch_execz .LBB1044_38
.LBB1044_90:                            ;   in Loop: Header=BB1044_24 Depth=2
	global_load_ushort v10, v116, s[16:17]
	s_or_b32 exec_lo, exec_lo, s19
	s_mov_b32 s19, exec_lo
	v_cmpx_gt_u32_e64 s5, v56
	s_cbranch_execz .LBB1044_39
.LBB1044_91:                            ;   in Loop: Header=BB1044_24 Depth=2
	global_load_ushort v9, v117, s[16:17]
	s_or_b32 exec_lo, exec_lo, s19
	s_mov_b32 s19, exec_lo
	v_cmpx_gt_u32_e64 s5, v57
	s_cbranch_execz .LBB1044_40
.LBB1044_92:                            ;   in Loop: Header=BB1044_24 Depth=2
	global_load_ushort v8, v118, s[16:17]
	s_or_b32 exec_lo, exec_lo, s19
	s_mov_b32 s19, exec_lo
	v_cmpx_gt_u32_e64 s5, v58
	s_cbranch_execz .LBB1044_41
.LBB1044_93:                            ;   in Loop: Header=BB1044_24 Depth=2
	global_load_ushort v7, v119, s[16:17]
	s_or_b32 exec_lo, exec_lo, s19
	s_mov_b32 s19, exec_lo
	v_cmpx_gt_u32_e64 s5, v59
	s_cbranch_execz .LBB1044_42
.LBB1044_94:                            ;   in Loop: Header=BB1044_24 Depth=2
	global_load_ushort v6, v120, s[16:17]
	s_or_b32 exec_lo, exec_lo, s19
	s_mov_b32 s19, exec_lo
	v_cmpx_gt_u32_e64 s5, v60
	s_cbranch_execz .LBB1044_43
.LBB1044_95:                            ;   in Loop: Header=BB1044_24 Depth=2
	global_load_ushort v5, v121, s[16:17]
	s_or_b32 exec_lo, exec_lo, s19
	s_mov_b32 s19, exec_lo
	v_cmpx_gt_u32_e64 s5, v61
	s_cbranch_execnz .LBB1044_44
	s_branch .LBB1044_45
.LBB1044_96:                            ;   in Loop: Header=BB1044_20 Depth=1
	v_mov_b32_e32 v3, 0
	s_waitcnt lgkmcnt(0)
	s_barrier
	buffer_gl0_inv
	s_and_saveexec_b32 s5, s8
	s_cbranch_execz .LBB1044_98
; %bb.97:                               ;   in Loop: Header=BB1044_20 Depth=1
	ds_read2_b64 v[5:8], v64 offset1:1
	s_waitcnt lgkmcnt(0)
	v_add_nc_u32_e32 v3, v6, v5
	v_add3_u32 v3, v3, v7, v8
.LBB1044_98:                            ;   in Loop: Header=BB1044_20 Depth=1
	s_or_b32 exec_lo, exec_lo, s5
	v_mov_b32_dpp v5, v3 row_shr:1 row_mask:0xf bank_mask:0xf
	v_cmp_eq_u32_e64 s5, 0, v90
	v_cmp_lt_u32_e64 s16, 1, v90
	v_cmp_lt_u32_e64 s17, 3, v90
	v_cmp_lt_u32_e64 s18, 7, v90
	v_cmp_eq_u32_e64 s19, 0, v92
	v_cndmask_b32_e64 v5, v5, 0, s5
	v_add_nc_u32_e32 v3, v5, v3
	v_mov_b32_dpp v5, v3 row_shr:2 row_mask:0xf bank_mask:0xf
	v_cndmask_b32_e64 v5, 0, v5, s16
	v_add_nc_u32_e32 v3, v3, v5
	v_mov_b32_dpp v5, v3 row_shr:4 row_mask:0xf bank_mask:0xf
	v_cndmask_b32_e64 v5, 0, v5, s17
	v_add_nc_u32_e32 v3, v3, v5
	v_mov_b32_dpp v5, v3 row_shr:8 row_mask:0xf bank_mask:0xf
	v_cndmask_b32_e64 v5, 0, v5, s18
	v_add_nc_u32_e32 v3, v3, v5
	ds_swizzle_b32 v5, v3 offset:swizzle(BROADCAST,32,15)
	s_waitcnt lgkmcnt(0)
	v_and_b32_e32 v5, v91, v5
	v_add_nc_u32_e32 v3, v3, v5
	s_and_saveexec_b32 s20, s9
; %bb.99:                               ;   in Loop: Header=BB1044_20 Depth=1
	ds_write_b32 v65, v3
; %bb.100:                              ;   in Loop: Header=BB1044_20 Depth=1
	s_or_b32 exec_lo, exec_lo, s20
	s_waitcnt lgkmcnt(0)
	s_barrier
	buffer_gl0_inv
	s_and_saveexec_b32 s20, s10
	s_cbranch_execz .LBB1044_102
; %bb.101:                              ;   in Loop: Header=BB1044_20 Depth=1
	ds_read_b32 v5, v66
	v_cmp_ne_u32_e32 vcc_lo, 0, v93
	s_waitcnt lgkmcnt(0)
	v_mov_b32_dpp v6, v5 row_shr:1 row_mask:0xf bank_mask:0xf
	v_cndmask_b32_e32 v6, 0, v6, vcc_lo
	v_cmp_lt_u32_e32 vcc_lo, 1, v93
	v_add_nc_u32_e32 v5, v6, v5
	v_mov_b32_dpp v6, v5 row_shr:2 row_mask:0xf bank_mask:0xf
	v_cndmask_b32_e32 v6, 0, v6, vcc_lo
	v_add_nc_u32_e32 v5, v5, v6
	ds_write_b32 v66, v5
.LBB1044_102:                           ;   in Loop: Header=BB1044_20 Depth=1
	s_or_b32 exec_lo, exec_lo, s20
	v_mov_b32_e32 v5, 0
	s_waitcnt lgkmcnt(0)
	s_barrier
	buffer_gl0_inv
	s_and_saveexec_b32 s20, s11
; %bb.103:                              ;   in Loop: Header=BB1044_20 Depth=1
	ds_read_b32 v5, v67
; %bb.104:                              ;   in Loop: Header=BB1044_20 Depth=1
	s_or_b32 exec_lo, exec_lo, s20
	v_cmp_gt_i32_e32 vcc_lo, 0, v95
	s_waitcnt lgkmcnt(0)
	v_add_nc_u32_e32 v3, v5, v3
	s_barrier
	buffer_gl0_inv
	v_cndmask_b32_e32 v6, v95, v86, vcc_lo
	v_lshlrev_b32_e32 v125, 2, v6
	ds_bpermute_b32 v3, v125, v3
	s_and_saveexec_b32 s20, s8
	s_cbranch_execz .LBB1044_106
; %bb.105:                              ;   in Loop: Header=BB1044_20 Depth=1
	s_waitcnt lgkmcnt(0)
	v_cndmask_b32_e64 v3, v3, v5, s15
	v_add_nc_u32_e32 v3, s58, v3
	ds_write_b32 v43, v3
.LBB1044_106:                           ;   in Loop: Header=BB1044_20 Depth=1
	s_or_b32 exec_lo, exec_lo, s20
	s_clause 0x1
	s_load_dword s20, s[56:57], 0x4
	s_load_dword s22, s[56:57], 0xc
	v_add_nc_u32_e32 v126, 0x180, v94
	v_add_nc_u32_e32 v127, 0x1a0, v94
	;; [unrolled: 1-line block ×5, first 2 shown]
	s_mov_b32 s63, s60
	s_mov_b32 s50, s58
                                        ; implicit-def: $vgpr7_vgpr8
                                        ; implicit-def: $vgpr9_vgpr10
                                        ; implicit-def: $vgpr11_vgpr12
                                        ; implicit-def: $vgpr13_vgpr14
                                        ; implicit-def: $vgpr15_vgpr16
                                        ; implicit-def: $vgpr19_vgpr20
                                        ; implicit-def: $vgpr23_vgpr24
                                        ; implicit-def: $vgpr27_vgpr28
                                        ; implicit-def: $vgpr17_vgpr18
                                        ; implicit-def: $vgpr21_vgpr22
                                        ; implicit-def: $vgpr25_vgpr26
                                        ; implicit-def: $vgpr29_vgpr30
                                        ; implicit-def: $vgpr31_vgpr32
                                        ; implicit-def: $vgpr33_vgpr34
                                        ; implicit-def: $vgpr35_vgpr36
                                        ; implicit-def: $vgpr37_vgpr38
                                        ; implicit-def: $vgpr134
                                        ; implicit-def: $vgpr135
                                        ; implicit-def: $vgpr136
                                        ; implicit-def: $vgpr137
                                        ; implicit-def: $vgpr138
                                        ; implicit-def: $vgpr139
                                        ; implicit-def: $vgpr140
                                        ; implicit-def: $vgpr141
                                        ; implicit-def: $vgpr142
                                        ; implicit-def: $vgpr143
                                        ; implicit-def: $vgpr144
                                        ; implicit-def: $vgpr145
                                        ; implicit-def: $vgpr146
                                        ; implicit-def: $vgpr147
                                        ; implicit-def: $vgpr148
                                        ; implicit-def: $vgpr150
                                        ; implicit-def: $vgpr151
                                        ; implicit-def: $vgpr149
                                        ; implicit-def: $vgpr152
	s_waitcnt lgkmcnt(0)
	s_cmp_lt_u32 s7, s20
	s_cselect_b32 s20, 14, 20
	s_add_u32 s20, s56, s20
	s_addc_u32 s21, s57, 0
	global_load_ushort v3, v4, s[20:21]
	s_and_b32 s21, s22, 0xffff
	v_cmp_eq_u32_e64 s20, 0, v96
	v_cmp_lt_u32_e64 s22, 3, v96
	s_waitcnt vmcnt(0)
	v_mad_u32_u24 v3, v2, v3, v1
	v_mad_u64_u32 v[5:6], null, v3, s21, v[0:1]
	v_lshlrev_b32_e32 v3, 1, v86
	v_cmp_lt_u32_e64 s21, 1, v96
	v_add_co_u32 v131, vcc_lo, v72, v3
	v_lshrrev_b32_e32 v5, 3, v5
	v_add_co_ci_u32_e64 v132, null, 0, v73, vcc_lo
	v_and_b32_e32 v133, 0x1ffffffc, v5
                                        ; implicit-def: $vgpr5_vgpr6
	s_branch .LBB1044_108
.LBB1044_107:                           ;   in Loop: Header=BB1044_108 Depth=2
	s_or_b32 exec_lo, exec_lo, s23
	s_addk_i32 s63, 0xef00
	s_cmp_lt_u32 s64, s59
	s_mov_b32 s50, s64
	s_cbranch_scc0 .LBB1044_330
.LBB1044_108:                           ;   Parent Loop BB1044_20 Depth=1
                                        ; =>  This Inner Loop Header: Depth=2
	s_add_i32 s64, s50, 0x1100
	s_cmp_gt_u32 s64, s59
	s_cbranch_scc1 .LBB1044_110
; %bb.109:                              ;   in Loop: Header=BB1044_108 Depth=2
	s_lshl_b64 s[24:25], s[50:51], 1
	s_mov_b32 s23, -1
	v_add_co_u32 v39, vcc_lo, v131, s24
	v_add_co_ci_u32_e64 v40, null, s25, v132, vcc_lo
	s_clause 0xf
	global_load_ushort v154, v[39:40], off
	global_load_ushort v155, v[39:40], off offset:64
	global_load_ushort v158, v[39:40], off offset:128
	;; [unrolled: 1-line block ×15, first 2 shown]
	s_movk_i32 s24, 0x1100
	s_cbranch_execz .LBB1044_111
	s_branch .LBB1044_144
.LBB1044_110:                           ;   in Loop: Header=BB1044_108 Depth=2
	s_mov_b32 s23, 0
                                        ; implicit-def: $vgpr154
                                        ; implicit-def: $vgpr155
                                        ; implicit-def: $vgpr158
                                        ; implicit-def: $vgpr162
                                        ; implicit-def: $vgpr167
                                        ; implicit-def: $vgpr172
                                        ; implicit-def: $vgpr177
                                        ; implicit-def: $vgpr182
                                        ; implicit-def: $vgpr187
                                        ; implicit-def: $vgpr185
                                        ; implicit-def: $vgpr180
                                        ; implicit-def: $vgpr175
                                        ; implicit-def: $vgpr171
                                        ; implicit-def: $vgpr166
                                        ; implicit-def: $vgpr42
                                        ; implicit-def: $vgpr41
	s_movk_i32 s24, 0x1100
.LBB1044_111:                           ;   in Loop: Header=BB1044_108 Depth=2
	s_lshl_b64 s[24:25], s[50:51], 1
	s_waitcnt vmcnt(14)
	v_mov_b32_e32 v155, 0x7fff
	v_add_co_u32 v39, vcc_lo, v131, s24
	v_add_co_ci_u32_e64 v40, null, s25, v132, vcc_lo
	v_mov_b32_e32 v154, 0x7fff
	s_mov_b32 s23, exec_lo
	v_cmpx_gt_u32_e64 s63, v94
	s_cbranch_execz .LBB1044_113
; %bb.112:                              ;   in Loop: Header=BB1044_108 Depth=2
	global_load_ushort v154, v[39:40], off
.LBB1044_113:                           ;   in Loop: Header=BB1044_108 Depth=2
	s_or_b32 exec_lo, exec_lo, s23
	s_mov_b32 s23, exec_lo
	v_cmpx_gt_u32_e64 s63, v98
	s_cbranch_execz .LBB1044_115
; %bb.114:                              ;   in Loop: Header=BB1044_108 Depth=2
	global_load_ushort v155, v[39:40], off offset:64
.LBB1044_115:                           ;   in Loop: Header=BB1044_108 Depth=2
	s_or_b32 exec_lo, exec_lo, s23
	s_waitcnt vmcnt(12)
	v_mov_b32_e32 v162, 0x7fff
	v_mov_b32_e32 v158, 0x7fff
	s_mov_b32 s23, exec_lo
	v_cmpx_gt_u32_e64 s63, v99
	s_cbranch_execz .LBB1044_117
; %bb.116:                              ;   in Loop: Header=BB1044_108 Depth=2
	global_load_ushort v158, v[39:40], off offset:128
.LBB1044_117:                           ;   in Loop: Header=BB1044_108 Depth=2
	s_or_b32 exec_lo, exec_lo, s23
	s_mov_b32 s23, exec_lo
	v_cmpx_gt_u32_e64 s63, v100
	s_cbranch_execz .LBB1044_119
; %bb.118:                              ;   in Loop: Header=BB1044_108 Depth=2
	global_load_ushort v162, v[39:40], off offset:192
.LBB1044_119:                           ;   in Loop: Header=BB1044_108 Depth=2
	s_or_b32 exec_lo, exec_lo, s23
	s_waitcnt vmcnt(10)
	v_mov_b32_e32 v172, 0x7fff
	v_mov_b32_e32 v167, 0x7fff
	s_mov_b32 s23, exec_lo
	v_cmpx_gt_u32_e64 s63, v101
	s_cbranch_execz .LBB1044_121
; %bb.120:                              ;   in Loop: Header=BB1044_108 Depth=2
	global_load_ushort v167, v[39:40], off offset:256
.LBB1044_121:                           ;   in Loop: Header=BB1044_108 Depth=2
	;; [unrolled: 17-line block ×7, first 2 shown]
	s_or_b32 exec_lo, exec_lo, s23
	s_mov_b32 s23, exec_lo
	v_cmpx_gt_u32_e64 s63, v129
	s_cbranch_execz .LBB1044_143
; %bb.142:                              ;   in Loop: Header=BB1044_108 Depth=2
	global_load_ushort v41, v[39:40], off offset:960
.LBB1044_143:                           ;   in Loop: Header=BB1044_108 Depth=2
	s_or_b32 exec_lo, exec_lo, s23
	v_cmp_gt_u32_e64 s23, s63, v130
	s_sub_i32 s24, s59, s50
.LBB1044_144:                           ;   in Loop: Header=BB1044_108 Depth=2
	v_mov_b32_e32 v3, -1
	v_mov_b32_e32 v153, s63
	s_and_saveexec_b32 s25, s23
	s_cbranch_execz .LBB1044_146
; %bb.145:                              ;   in Loop: Header=BB1044_108 Depth=2
	s_lshl_b64 s[26:27], s[50:51], 1
	v_mov_b32_e32 v153, s24
	v_add_co_u32 v39, vcc_lo, v131, s26
	v_add_co_ci_u32_e64 v40, null, s27, v132, vcc_lo
	global_load_ushort v3, v[39:40], off offset:1024
	s_waitcnt vmcnt(0)
	v_xor_b32_e32 v3, 0xffff8000, v3
.LBB1044_146:                           ;   in Loop: Header=BB1044_108 Depth=2
	s_or_b32 exec_lo, exec_lo, s25
	s_waitcnt vmcnt(15)
	v_xor_b32_e32 v154, 0xffff8000, v154
	ds_write2_b32 v68, v4, v4 offset0:136 offset1:137
	ds_write2_b32 v68, v4, v4 offset0:138 offset1:139
	ds_write_b32 v68, v4 offset:560
	s_waitcnt vmcnt(0) lgkmcnt(0)
	s_barrier
	v_lshrrev_b32_sdwa v39, s61, v154 dst_sel:DWORD dst_unused:UNUSED_PAD src0_sel:DWORD src1_sel:WORD_0
	buffer_gl0_inv
	; wave barrier
	v_and_b32_e32 v40, s62, v39
	v_and_b32_e32 v39, 1, v40
	v_lshlrev_b32_e32 v156, 30, v40
	v_lshlrev_b32_e32 v157, 29, v40
	;; [unrolled: 1-line block ×4, first 2 shown]
	v_add_co_u32 v39, s23, v39, -1
	v_cndmask_b32_e64 v159, 0, 1, s23
	v_not_b32_e32 v164, v156
	v_cmp_gt_i32_e64 s23, 0, v156
	v_not_b32_e32 v156, v157
	v_lshlrev_b32_e32 v163, 26, v40
	v_cmp_ne_u32_e32 vcc_lo, 0, v159
	v_ashrrev_i32_e32 v164, 31, v164
	v_lshlrev_b32_e32 v159, 25, v40
	v_ashrrev_i32_e32 v156, 31, v156
	v_mul_u32_u24_e32 v40, 36, v40
	v_xor_b32_e32 v39, vcc_lo, v39
	v_cmp_gt_i32_e32 vcc_lo, 0, v157
	v_not_b32_e32 v157, v160
	v_xor_b32_e32 v164, s23, v164
	v_cmp_gt_i32_e64 s23, 0, v160
	v_and_b32_e32 v39, exec_lo, v39
	v_not_b32_e32 v160, v161
	v_ashrrev_i32_e32 v157, 31, v157
	v_xor_b32_e32 v156, vcc_lo, v156
	v_cmp_gt_i32_e32 vcc_lo, 0, v161
	v_and_b32_e32 v39, v39, v164
	v_not_b32_e32 v161, v163
	v_ashrrev_i32_e32 v160, 31, v160
	v_xor_b32_e32 v157, s23, v157
	v_cmp_gt_i32_e64 s23, 0, v163
	v_and_b32_e32 v39, v39, v156
	v_not_b32_e32 v156, v159
	v_ashrrev_i32_e32 v161, 31, v161
	v_xor_b32_e32 v160, vcc_lo, v160
	v_cmp_gt_i32_e32 vcc_lo, 0, v159
	v_and_b32_e32 v39, v39, v157
	v_ashrrev_i32_e32 v156, 31, v156
	v_xor_b32_e32 v157, s23, v161
	v_and_b32_e32 v39, v39, v160
	v_xor_b32_e32 v156, vcc_lo, v156
	v_and_b32_e32 v39, v39, v157
	v_add_nc_u32_e32 v157, v133, v40
	v_and_b32_e32 v39, v39, v156
	v_mbcnt_lo_u32_b32 v156, v39, 0
	v_cmp_ne_u32_e64 s23, 0, v39
	v_cmp_eq_u32_e32 vcc_lo, 0, v156
	s_and_b32 s24, s23, vcc_lo
	s_and_saveexec_b32 s23, s24
; %bb.147:                              ;   in Loop: Header=BB1044_108 Depth=2
	v_bcnt_u32_b32 v39, v39, 0
	ds_write_b32 v157, v39 offset:544
; %bb.148:                              ;   in Loop: Header=BB1044_108 Depth=2
	s_or_b32 exec_lo, exec_lo, s23
	v_xor_b32_e32 v155, 0xffff8000, v155
	; wave barrier
	v_lshrrev_b32_sdwa v39, s61, v155 dst_sel:DWORD dst_unused:UNUSED_PAD src0_sel:DWORD src1_sel:WORD_0
	v_and_b32_e32 v40, s62, v39
	v_and_b32_e32 v39, 1, v40
	v_lshlrev_b32_e32 v159, 30, v40
	v_lshlrev_b32_e32 v160, 29, v40
	v_lshlrev_b32_e32 v163, 28, v40
	v_lshlrev_b32_e32 v164, 27, v40
	v_add_co_u32 v39, s23, v39, -1
	v_cndmask_b32_e64 v161, 0, 1, s23
	v_not_b32_e32 v168, v159
	v_cmp_gt_i32_e64 s23, 0, v159
	v_not_b32_e32 v159, v160
	v_lshlrev_b32_e32 v165, 26, v40
	v_cmp_ne_u32_e32 vcc_lo, 0, v161
	v_ashrrev_i32_e32 v168, 31, v168
	v_lshlrev_b32_e32 v161, 25, v40
	v_ashrrev_i32_e32 v159, 31, v159
	v_xor_b32_e32 v39, vcc_lo, v39
	v_cmp_gt_i32_e32 vcc_lo, 0, v160
	v_not_b32_e32 v160, v163
	v_xor_b32_e32 v168, s23, v168
	v_cmp_gt_i32_e64 s23, 0, v163
	v_and_b32_e32 v39, exec_lo, v39
	v_not_b32_e32 v163, v164
	v_ashrrev_i32_e32 v160, 31, v160
	v_xor_b32_e32 v159, vcc_lo, v159
	v_cmp_gt_i32_e32 vcc_lo, 0, v164
	v_and_b32_e32 v39, v39, v168
	v_not_b32_e32 v164, v165
	v_ashrrev_i32_e32 v163, 31, v163
	v_xor_b32_e32 v160, s23, v160
	v_cmp_gt_i32_e64 s23, 0, v165
	v_and_b32_e32 v39, v39, v159
	v_not_b32_e32 v159, v161
	v_ashrrev_i32_e32 v164, 31, v164
	v_xor_b32_e32 v163, vcc_lo, v163
	v_cmp_gt_i32_e32 vcc_lo, 0, v161
	v_and_b32_e32 v39, v39, v160
	v_ashrrev_i32_e32 v159, 31, v159
	v_xor_b32_e32 v160, s23, v164
	v_mad_u32_u24 v161, v40, 36, v133
	v_mul_u32_u24_e32 v40, 36, v40
	v_and_b32_e32 v39, v39, v163
	v_xor_b32_e32 v163, vcc_lo, v159
	ds_read_b32 v159, v161 offset:544
	v_add_nc_u32_e32 v161, v133, v40
	v_and_b32_e32 v39, v39, v160
	; wave barrier
	v_and_b32_e32 v39, v39, v163
	v_mbcnt_lo_u32_b32 v160, v39, 0
	v_cmp_ne_u32_e64 s23, 0, v39
	v_cmp_eq_u32_e32 vcc_lo, 0, v160
	s_and_b32 s24, s23, vcc_lo
	s_and_saveexec_b32 s23, s24
	s_cbranch_execz .LBB1044_150
; %bb.149:                              ;   in Loop: Header=BB1044_108 Depth=2
	s_waitcnt lgkmcnt(0)
	v_bcnt_u32_b32 v39, v39, v159
	ds_write_b32 v161, v39 offset:544
.LBB1044_150:                           ;   in Loop: Header=BB1044_108 Depth=2
	s_or_b32 exec_lo, exec_lo, s23
	v_xor_b32_e32 v158, 0xffff8000, v158
	; wave barrier
	v_lshrrev_b32_sdwa v39, s61, v158 dst_sel:DWORD dst_unused:UNUSED_PAD src0_sel:DWORD src1_sel:WORD_0
	v_and_b32_e32 v40, s62, v39
	v_and_b32_e32 v39, 1, v40
	v_lshlrev_b32_e32 v163, 30, v40
	v_lshlrev_b32_e32 v164, 29, v40
	v_lshlrev_b32_e32 v168, 28, v40
	v_lshlrev_b32_e32 v169, 27, v40
	v_add_co_u32 v39, s23, v39, -1
	v_cndmask_b32_e64 v165, 0, 1, s23
	v_not_b32_e32 v173, v163
	v_cmp_gt_i32_e64 s23, 0, v163
	v_not_b32_e32 v163, v164
	v_lshlrev_b32_e32 v170, 26, v40
	v_cmp_ne_u32_e32 vcc_lo, 0, v165
	v_ashrrev_i32_e32 v173, 31, v173
	v_lshlrev_b32_e32 v165, 25, v40
	v_ashrrev_i32_e32 v163, 31, v163
	v_xor_b32_e32 v39, vcc_lo, v39
	v_cmp_gt_i32_e32 vcc_lo, 0, v164
	v_not_b32_e32 v164, v168
	v_xor_b32_e32 v173, s23, v173
	v_cmp_gt_i32_e64 s23, 0, v168
	v_and_b32_e32 v39, exec_lo, v39
	v_not_b32_e32 v168, v169
	v_ashrrev_i32_e32 v164, 31, v164
	v_xor_b32_e32 v163, vcc_lo, v163
	v_cmp_gt_i32_e32 vcc_lo, 0, v169
	v_and_b32_e32 v39, v39, v173
	v_not_b32_e32 v169, v170
	v_ashrrev_i32_e32 v168, 31, v168
	v_xor_b32_e32 v164, s23, v164
	v_cmp_gt_i32_e64 s23, 0, v170
	v_and_b32_e32 v39, v39, v163
	v_not_b32_e32 v163, v165
	v_ashrrev_i32_e32 v169, 31, v169
	v_xor_b32_e32 v168, vcc_lo, v168
	v_cmp_gt_i32_e32 vcc_lo, 0, v165
	v_and_b32_e32 v39, v39, v164
	v_ashrrev_i32_e32 v163, 31, v163
	v_xor_b32_e32 v164, s23, v169
	v_mad_u32_u24 v165, v40, 36, v133
	v_mul_u32_u24_e32 v40, 36, v40
	v_and_b32_e32 v39, v39, v168
	v_xor_b32_e32 v168, vcc_lo, v163
	ds_read_b32 v163, v165 offset:544
	v_add_nc_u32_e32 v165, v133, v40
	v_and_b32_e32 v39, v39, v164
	; wave barrier
	v_and_b32_e32 v39, v39, v168
	v_mbcnt_lo_u32_b32 v164, v39, 0
	v_cmp_ne_u32_e64 s23, 0, v39
	v_cmp_eq_u32_e32 vcc_lo, 0, v164
	s_and_b32 s24, s23, vcc_lo
	s_and_saveexec_b32 s23, s24
	s_cbranch_execz .LBB1044_152
; %bb.151:                              ;   in Loop: Header=BB1044_108 Depth=2
	s_waitcnt lgkmcnt(0)
	v_bcnt_u32_b32 v39, v39, v163
	ds_write_b32 v165, v39 offset:544
.LBB1044_152:                           ;   in Loop: Header=BB1044_108 Depth=2
	;; [unrolled: 63-line block ×9, first 2 shown]
	s_or_b32 exec_lo, exec_lo, s23
	v_xor_b32_e32 v180, 0xffff8000, v180
	; wave barrier
	v_lshrrev_b32_sdwa v39, s61, v180 dst_sel:DWORD dst_unused:UNUSED_PAD src0_sel:DWORD src1_sel:WORD_0
	v_and_b32_e32 v40, s62, v39
	v_and_b32_e32 v39, 1, v40
	v_lshlrev_b32_e32 v197, 30, v40
	v_lshlrev_b32_e32 v198, 29, v40
	;; [unrolled: 1-line block ×4, first 2 shown]
	v_add_co_u32 v39, s23, v39, -1
	v_cndmask_b32_e64 v199, 0, 1, s23
	v_not_b32_e32 v203, v197
	v_cmp_gt_i32_e64 s23, 0, v197
	v_not_b32_e32 v197, v198
	v_lshlrev_b32_e32 v202, 26, v40
	v_cmp_ne_u32_e32 vcc_lo, 0, v199
	v_ashrrev_i32_e32 v203, 31, v203
	v_lshlrev_b32_e32 v199, 25, v40
	v_ashrrev_i32_e32 v197, 31, v197
	v_xor_b32_e32 v39, vcc_lo, v39
	v_cmp_gt_i32_e32 vcc_lo, 0, v198
	v_not_b32_e32 v198, v200
	v_xor_b32_e32 v203, s23, v203
	v_cmp_gt_i32_e64 s23, 0, v200
	v_and_b32_e32 v39, exec_lo, v39
	v_not_b32_e32 v200, v201
	v_ashrrev_i32_e32 v198, 31, v198
	v_xor_b32_e32 v197, vcc_lo, v197
	v_cmp_gt_i32_e32 vcc_lo, 0, v201
	v_and_b32_e32 v39, v39, v203
	v_not_b32_e32 v201, v202
	v_ashrrev_i32_e32 v200, 31, v200
	v_xor_b32_e32 v198, s23, v198
	v_cmp_gt_i32_e64 s23, 0, v202
	v_and_b32_e32 v39, v39, v197
	v_not_b32_e32 v197, v199
	v_ashrrev_i32_e32 v201, 31, v201
	v_xor_b32_e32 v200, vcc_lo, v200
	v_cmp_gt_i32_e32 vcc_lo, 0, v199
	v_and_b32_e32 v39, v39, v198
	v_ashrrev_i32_e32 v197, 31, v197
	v_xor_b32_e32 v198, s23, v201
	v_mad_u32_u24 v199, v40, 36, v133
	v_mul_u32_u24_e32 v40, 36, v40
	v_and_b32_e32 v39, v39, v200
	v_xor_b32_e32 v197, vcc_lo, v197
	v_add_nc_u32_e32 v200, v133, v40
	v_and_b32_e32 v39, v39, v198
	ds_read_b32 v198, v199 offset:544
	; wave barrier
	v_and_b32_e32 v39, v39, v197
	v_mbcnt_lo_u32_b32 v199, v39, 0
	v_cmp_ne_u32_e64 s23, 0, v39
	v_cmp_eq_u32_e32 vcc_lo, 0, v199
	s_and_b32 s24, s23, vcc_lo
	s_and_saveexec_b32 s23, s24
	s_cbranch_execz .LBB1044_168
; %bb.167:                              ;   in Loop: Header=BB1044_108 Depth=2
	s_waitcnt lgkmcnt(0)
	v_bcnt_u32_b32 v39, v39, v198
	ds_write_b32 v200, v39 offset:544
.LBB1044_168:                           ;   in Loop: Header=BB1044_108 Depth=2
	s_or_b32 exec_lo, exec_lo, s23
	v_xor_b32_e32 v197, 0xffff8000, v175
	; wave barrier
	v_lshrrev_b32_sdwa v39, s61, v197 dst_sel:DWORD dst_unused:UNUSED_PAD src0_sel:DWORD src1_sel:WORD_0
	v_and_b32_e32 v40, s62, v39
	v_and_b32_e32 v39, 1, v40
	v_lshlrev_b32_e32 v175, 30, v40
	v_lshlrev_b32_e32 v201, 29, v40
	v_lshlrev_b32_e32 v203, 28, v40
	v_lshlrev_b32_e32 v204, 27, v40
	v_add_co_u32 v39, s23, v39, -1
	v_cndmask_b32_e64 v202, 0, 1, s23
	v_not_b32_e32 v206, v175
	v_cmp_gt_i32_e64 s23, 0, v175
	v_not_b32_e32 v175, v201
	v_lshlrev_b32_e32 v205, 26, v40
	v_cmp_ne_u32_e32 vcc_lo, 0, v202
	v_ashrrev_i32_e32 v206, 31, v206
	v_lshlrev_b32_e32 v202, 25, v40
	v_ashrrev_i32_e32 v175, 31, v175
	v_xor_b32_e32 v39, vcc_lo, v39
	v_cmp_gt_i32_e32 vcc_lo, 0, v201
	v_not_b32_e32 v201, v203
	v_xor_b32_e32 v206, s23, v206
	v_cmp_gt_i32_e64 s23, 0, v203
	v_and_b32_e32 v39, exec_lo, v39
	v_not_b32_e32 v203, v204
	v_ashrrev_i32_e32 v201, 31, v201
	v_xor_b32_e32 v175, vcc_lo, v175
	v_cmp_gt_i32_e32 vcc_lo, 0, v204
	v_and_b32_e32 v39, v39, v206
	v_not_b32_e32 v204, v205
	v_ashrrev_i32_e32 v203, 31, v203
	v_xor_b32_e32 v201, s23, v201
	v_cmp_gt_i32_e64 s23, 0, v205
	v_and_b32_e32 v39, v39, v175
	v_not_b32_e32 v175, v202
	v_ashrrev_i32_e32 v204, 31, v204
	v_xor_b32_e32 v203, vcc_lo, v203
	v_cmp_gt_i32_e32 vcc_lo, 0, v202
	v_and_b32_e32 v39, v39, v201
	v_ashrrev_i32_e32 v175, 31, v175
	v_xor_b32_e32 v201, s23, v204
	v_mad_u32_u24 v202, v40, 36, v133
	v_mul_u32_u24_e32 v40, 36, v40
	v_and_b32_e32 v39, v39, v203
	v_xor_b32_e32 v175, vcc_lo, v175
	ds_read_b32 v202, v202 offset:544
	v_and_b32_e32 v39, v39, v201
	; wave barrier
	v_and_b32_e32 v39, v39, v175
	v_add_nc_u32_e32 v175, v133, v40
	v_mbcnt_lo_u32_b32 v203, v39, 0
	v_cmp_ne_u32_e64 s23, 0, v39
	v_cmp_eq_u32_e32 vcc_lo, 0, v203
	s_and_b32 s24, s23, vcc_lo
	s_and_saveexec_b32 s23, s24
	s_cbranch_execz .LBB1044_170
; %bb.169:                              ;   in Loop: Header=BB1044_108 Depth=2
	s_waitcnt lgkmcnt(0)
	v_bcnt_u32_b32 v39, v39, v202
	ds_write_b32 v175, v39 offset:544
.LBB1044_170:                           ;   in Loop: Header=BB1044_108 Depth=2
	s_or_b32 exec_lo, exec_lo, s23
	v_xor_b32_e32 v201, 0xffff8000, v171
	; wave barrier
	v_lshrrev_b32_sdwa v39, s61, v201 dst_sel:DWORD dst_unused:UNUSED_PAD src0_sel:DWORD src1_sel:WORD_0
	v_and_b32_e32 v40, s62, v39
	v_and_b32_e32 v39, 1, v40
	v_lshlrev_b32_e32 v171, 30, v40
	v_lshlrev_b32_e32 v204, 29, v40
	v_lshlrev_b32_e32 v206, 28, v40
	v_lshlrev_b32_e32 v207, 27, v40
	v_add_co_u32 v39, s23, v39, -1
	v_cndmask_b32_e64 v205, 0, 1, s23
	v_not_b32_e32 v209, v171
	v_cmp_gt_i32_e64 s23, 0, v171
	v_not_b32_e32 v171, v204
	v_lshlrev_b32_e32 v208, 26, v40
	v_cmp_ne_u32_e32 vcc_lo, 0, v205
	v_ashrrev_i32_e32 v209, 31, v209
	v_lshlrev_b32_e32 v205, 25, v40
	v_ashrrev_i32_e32 v171, 31, v171
	v_xor_b32_e32 v39, vcc_lo, v39
	v_cmp_gt_i32_e32 vcc_lo, 0, v204
	v_not_b32_e32 v204, v206
	v_xor_b32_e32 v209, s23, v209
	v_cmp_gt_i32_e64 s23, 0, v206
	v_and_b32_e32 v39, exec_lo, v39
	v_not_b32_e32 v206, v207
	v_ashrrev_i32_e32 v204, 31, v204
	v_xor_b32_e32 v171, vcc_lo, v171
	v_cmp_gt_i32_e32 vcc_lo, 0, v207
	v_and_b32_e32 v39, v39, v209
	v_not_b32_e32 v207, v208
	v_ashrrev_i32_e32 v206, 31, v206
	v_xor_b32_e32 v204, s23, v204
	v_cmp_gt_i32_e64 s23, 0, v208
	v_and_b32_e32 v39, v39, v171
	v_not_b32_e32 v171, v205
	v_ashrrev_i32_e32 v207, 31, v207
	v_xor_b32_e32 v206, vcc_lo, v206
	v_cmp_gt_i32_e32 vcc_lo, 0, v205
	v_and_b32_e32 v39, v39, v204
	v_ashrrev_i32_e32 v171, 31, v171
	v_xor_b32_e32 v204, s23, v207
	v_mad_u32_u24 v205, v40, 36, v133
	v_mul_u32_u24_e32 v40, 36, v40
	v_and_b32_e32 v39, v39, v206
	v_xor_b32_e32 v171, vcc_lo, v171
	ds_read_b32 v205, v205 offset:544
	v_and_b32_e32 v39, v39, v204
	; wave barrier
	v_and_b32_e32 v39, v39, v171
	v_add_nc_u32_e32 v171, v133, v40
	;; [unrolled: 63-line block ×3, first 2 shown]
	v_mbcnt_lo_u32_b32 v209, v39, 0
	v_cmp_ne_u32_e64 s23, 0, v39
	v_cmp_eq_u32_e32 vcc_lo, 0, v209
	s_and_b32 s24, s23, vcc_lo
	s_and_saveexec_b32 s23, s24
	s_cbranch_execz .LBB1044_174
; %bb.173:                              ;   in Loop: Header=BB1044_108 Depth=2
	s_waitcnt lgkmcnt(0)
	v_bcnt_u32_b32 v39, v39, v208
	ds_write_b32 v166, v39 offset:544
.LBB1044_174:                           ;   in Loop: Header=BB1044_108 Depth=2
	s_or_b32 exec_lo, exec_lo, s23
	v_xor_b32_e32 v207, 0xffff8000, v42
	; wave barrier
	v_lshrrev_b32_sdwa v39, s61, v207 dst_sel:DWORD dst_unused:UNUSED_PAD src0_sel:DWORD src1_sel:WORD_0
	v_and_b32_e32 v40, s62, v39
	v_and_b32_e32 v39, 1, v40
	v_lshlrev_b32_e32 v42, 30, v40
	v_lshlrev_b32_e32 v210, 29, v40
	;; [unrolled: 1-line block ×4, first 2 shown]
	v_add_co_u32 v39, s23, v39, -1
	v_cndmask_b32_e64 v211, 0, 1, s23
	v_not_b32_e32 v215, v42
	v_cmp_gt_i32_e64 s23, 0, v42
	v_not_b32_e32 v42, v210
	v_lshlrev_b32_e32 v214, 26, v40
	v_cmp_ne_u32_e32 vcc_lo, 0, v211
	v_ashrrev_i32_e32 v215, 31, v215
	v_lshlrev_b32_e32 v211, 25, v40
	v_ashrrev_i32_e32 v42, 31, v42
	v_xor_b32_e32 v39, vcc_lo, v39
	v_cmp_gt_i32_e32 vcc_lo, 0, v210
	v_not_b32_e32 v210, v212
	v_xor_b32_e32 v215, s23, v215
	v_cmp_gt_i32_e64 s23, 0, v212
	v_and_b32_e32 v39, exec_lo, v39
	v_not_b32_e32 v212, v213
	v_ashrrev_i32_e32 v210, 31, v210
	v_xor_b32_e32 v42, vcc_lo, v42
	v_cmp_gt_i32_e32 vcc_lo, 0, v213
	v_and_b32_e32 v39, v39, v215
	v_not_b32_e32 v213, v214
	v_ashrrev_i32_e32 v212, 31, v212
	v_xor_b32_e32 v210, s23, v210
	v_cmp_gt_i32_e64 s23, 0, v214
	v_and_b32_e32 v39, v39, v42
	v_not_b32_e32 v42, v211
	v_ashrrev_i32_e32 v213, 31, v213
	v_xor_b32_e32 v212, vcc_lo, v212
	v_cmp_gt_i32_e32 vcc_lo, 0, v211
	v_and_b32_e32 v39, v39, v210
	v_ashrrev_i32_e32 v42, 31, v42
	v_xor_b32_e32 v210, s23, v213
	v_mad_u32_u24 v211, v40, 36, v133
	v_mul_u32_u24_e32 v40, 36, v40
	v_and_b32_e32 v39, v39, v212
	v_xor_b32_e32 v42, vcc_lo, v42
	ds_read_b32 v211, v211 offset:544
	v_add_nc_u32_e32 v213, v133, v40
	v_and_b32_e32 v39, v39, v210
	; wave barrier
	v_and_b32_e32 v39, v39, v42
	v_mbcnt_lo_u32_b32 v212, v39, 0
	v_cmp_ne_u32_e64 s23, 0, v39
	v_cmp_eq_u32_e32 vcc_lo, 0, v212
	s_and_b32 s24, s23, vcc_lo
	s_and_saveexec_b32 s23, s24
	s_cbranch_execz .LBB1044_176
; %bb.175:                              ;   in Loop: Header=BB1044_108 Depth=2
	s_waitcnt lgkmcnt(0)
	v_bcnt_u32_b32 v39, v39, v211
	ds_write_b32 v213, v39 offset:544
.LBB1044_176:                           ;   in Loop: Header=BB1044_108 Depth=2
	s_or_b32 exec_lo, exec_lo, s23
	v_xor_b32_e32 v210, 0xffff8000, v41
	; wave barrier
	v_lshrrev_b32_sdwa v39, s61, v210 dst_sel:DWORD dst_unused:UNUSED_PAD src0_sel:DWORD src1_sel:WORD_0
	v_and_b32_e32 v40, s62, v39
	v_and_b32_e32 v39, 1, v40
	v_lshlrev_b32_e32 v41, 30, v40
	v_lshlrev_b32_e32 v42, 29, v40
	v_lshlrev_b32_e32 v215, 28, v40
	v_lshlrev_b32_e32 v216, 27, v40
	v_add_co_u32 v39, s23, v39, -1
	v_cndmask_b32_e64 v214, 0, 1, s23
	v_not_b32_e32 v218, v41
	v_cmp_gt_i32_e64 s23, 0, v41
	v_not_b32_e32 v41, v42
	v_lshlrev_b32_e32 v217, 26, v40
	v_cmp_ne_u32_e32 vcc_lo, 0, v214
	v_ashrrev_i32_e32 v218, 31, v218
	v_lshlrev_b32_e32 v214, 25, v40
	v_ashrrev_i32_e32 v41, 31, v41
	v_xor_b32_e32 v39, vcc_lo, v39
	v_cmp_gt_i32_e32 vcc_lo, 0, v42
	v_not_b32_e32 v42, v215
	v_xor_b32_e32 v218, s23, v218
	v_cmp_gt_i32_e64 s23, 0, v215
	v_and_b32_e32 v39, exec_lo, v39
	v_not_b32_e32 v215, v216
	v_ashrrev_i32_e32 v42, 31, v42
	v_xor_b32_e32 v41, vcc_lo, v41
	v_cmp_gt_i32_e32 vcc_lo, 0, v216
	v_and_b32_e32 v39, v39, v218
	v_not_b32_e32 v216, v217
	v_ashrrev_i32_e32 v215, 31, v215
	v_xor_b32_e32 v42, s23, v42
	v_cmp_gt_i32_e64 s23, 0, v217
	v_and_b32_e32 v39, v39, v41
	v_not_b32_e32 v41, v214
	v_ashrrev_i32_e32 v216, 31, v216
	v_xor_b32_e32 v215, vcc_lo, v215
	v_cmp_gt_i32_e32 vcc_lo, 0, v214
	v_and_b32_e32 v39, v39, v42
	v_ashrrev_i32_e32 v41, 31, v41
	v_xor_b32_e32 v42, s23, v216
	v_mad_u32_u24 v214, v40, 36, v133
	v_mul_u32_u24_e32 v40, 36, v40
	v_and_b32_e32 v39, v39, v215
	v_xor_b32_e32 v41, vcc_lo, v41
	ds_read_b32 v214, v214 offset:544
	v_add_nc_u32_e32 v216, v133, v40
	v_and_b32_e32 v39, v39, v42
	; wave barrier
	v_and_b32_e32 v39, v39, v41
	v_mbcnt_lo_u32_b32 v215, v39, 0
	v_cmp_ne_u32_e64 s23, 0, v39
	v_cmp_eq_u32_e32 vcc_lo, 0, v215
	s_and_b32 s24, s23, vcc_lo
	s_and_saveexec_b32 s23, s24
	s_cbranch_execz .LBB1044_178
; %bb.177:                              ;   in Loop: Header=BB1044_108 Depth=2
	s_waitcnt lgkmcnt(0)
	v_bcnt_u32_b32 v39, v39, v214
	ds_write_b32 v216, v39 offset:544
.LBB1044_178:                           ;   in Loop: Header=BB1044_108 Depth=2
	s_or_b32 exec_lo, exec_lo, s23
	v_lshrrev_b32_sdwa v39, s61, v3 dst_sel:DWORD dst_unused:UNUSED_PAD src0_sel:DWORD src1_sel:WORD_0
	; wave barrier
	v_and_b32_e32 v40, s62, v39
	v_and_b32_e32 v39, 1, v40
	v_lshlrev_b32_e32 v41, 30, v40
	v_lshlrev_b32_e32 v42, 29, v40
	v_lshlrev_b32_e32 v218, 28, v40
	v_lshlrev_b32_e32 v219, 27, v40
	v_add_co_u32 v39, s23, v39, -1
	v_cndmask_b32_e64 v217, 0, 1, s23
	v_not_b32_e32 v221, v41
	v_cmp_gt_i32_e64 s23, 0, v41
	v_not_b32_e32 v41, v42
	v_lshlrev_b32_e32 v220, 26, v40
	v_cmp_ne_u32_e32 vcc_lo, 0, v217
	v_ashrrev_i32_e32 v221, 31, v221
	v_lshlrev_b32_e32 v217, 25, v40
	v_ashrrev_i32_e32 v41, 31, v41
	v_xor_b32_e32 v39, vcc_lo, v39
	v_cmp_gt_i32_e32 vcc_lo, 0, v42
	v_not_b32_e32 v42, v218
	v_xor_b32_e32 v221, s23, v221
	v_cmp_gt_i32_e64 s23, 0, v218
	v_and_b32_e32 v39, exec_lo, v39
	v_not_b32_e32 v218, v219
	v_ashrrev_i32_e32 v42, 31, v42
	v_xor_b32_e32 v41, vcc_lo, v41
	v_cmp_gt_i32_e32 vcc_lo, 0, v219
	v_and_b32_e32 v39, v39, v221
	v_not_b32_e32 v219, v220
	v_ashrrev_i32_e32 v218, 31, v218
	v_xor_b32_e32 v42, s23, v42
	v_cmp_gt_i32_e64 s23, 0, v220
	v_and_b32_e32 v39, v39, v41
	v_not_b32_e32 v41, v217
	v_ashrrev_i32_e32 v219, 31, v219
	v_xor_b32_e32 v218, vcc_lo, v218
	v_cmp_gt_i32_e32 vcc_lo, 0, v217
	v_and_b32_e32 v39, v39, v42
	v_ashrrev_i32_e32 v41, 31, v41
	v_xor_b32_e32 v42, s23, v219
	v_mad_u32_u24 v217, v40, 36, v133
	v_mul_u32_u24_e32 v40, 36, v40
	v_and_b32_e32 v39, v39, v218
	v_xor_b32_e32 v41, vcc_lo, v41
	ds_read_b32 v217, v217 offset:544
	v_add_nc_u32_e32 v219, v133, v40
	v_and_b32_e32 v39, v39, v42
	; wave barrier
	v_and_b32_e32 v39, v39, v41
	v_mbcnt_lo_u32_b32 v218, v39, 0
	v_cmp_ne_u32_e64 s23, 0, v39
	v_cmp_eq_u32_e32 vcc_lo, 0, v218
	s_and_b32 s24, s23, vcc_lo
	s_and_saveexec_b32 s23, s24
	s_cbranch_execz .LBB1044_180
; %bb.179:                              ;   in Loop: Header=BB1044_108 Depth=2
	s_waitcnt lgkmcnt(0)
	v_bcnt_u32_b32 v39, v39, v217
	ds_write_b32 v219, v39 offset:544
.LBB1044_180:                           ;   in Loop: Header=BB1044_108 Depth=2
	s_or_b32 exec_lo, exec_lo, s23
	; wave barrier
	s_waitcnt lgkmcnt(0)
	s_barrier
	buffer_gl0_inv
	ds_read2_b32 v[41:42], v68 offset0:136 offset1:137
	ds_read2_b32 v[39:40], v68 offset0:138 offset1:139
	ds_read_b32 v220, v68 offset:560
	s_waitcnt lgkmcnt(1)
	v_add3_u32 v221, v42, v41, v39
	s_waitcnt lgkmcnt(0)
	v_add3_u32 v220, v221, v40, v220
	v_mov_b32_dpp v221, v220 row_shr:1 row_mask:0xf bank_mask:0xf
	v_cndmask_b32_e64 v221, v221, 0, s5
	v_add_nc_u32_e32 v220, v221, v220
	v_mov_b32_dpp v221, v220 row_shr:2 row_mask:0xf bank_mask:0xf
	v_cndmask_b32_e64 v221, 0, v221, s16
	v_add_nc_u32_e32 v220, v220, v221
	;; [unrolled: 3-line block ×4, first 2 shown]
	ds_swizzle_b32 v221, v220 offset:swizzle(BROADCAST,32,15)
	s_waitcnt lgkmcnt(0)
	v_cndmask_b32_e64 v221, v221, 0, s19
	v_add_nc_u32_e32 v220, v220, v221
	s_and_saveexec_b32 s23, s4
; %bb.181:                              ;   in Loop: Header=BB1044_108 Depth=2
	ds_write_b32 v62, v220 offset:512
; %bb.182:                              ;   in Loop: Header=BB1044_108 Depth=2
	s_or_b32 exec_lo, exec_lo, s23
	s_waitcnt lgkmcnt(0)
	s_barrier
	buffer_gl0_inv
	s_and_saveexec_b32 s23, s12
	s_cbranch_execz .LBB1044_184
; %bb.183:                              ;   in Loop: Header=BB1044_108 Depth=2
	ds_read_b32 v221, v69 offset:512
	s_waitcnt lgkmcnt(0)
	v_mov_b32_dpp v222, v221 row_shr:1 row_mask:0xf bank_mask:0xf
	v_cndmask_b32_e64 v222, v222, 0, s20
	v_add_nc_u32_e32 v221, v222, v221
	v_mov_b32_dpp v222, v221 row_shr:2 row_mask:0xf bank_mask:0xf
	v_cndmask_b32_e64 v222, 0, v222, s21
	v_add_nc_u32_e32 v221, v221, v222
	;; [unrolled: 3-line block ×3, first 2 shown]
	ds_write_b32 v69, v221 offset:512
.LBB1044_184:                           ;   in Loop: Header=BB1044_108 Depth=2
	s_or_b32 exec_lo, exec_lo, s23
	v_mov_b32_e32 v221, 0
	s_waitcnt lgkmcnt(0)
	s_barrier
	buffer_gl0_inv
	s_and_saveexec_b32 s23, s11
; %bb.185:                              ;   in Loop: Header=BB1044_108 Depth=2
	ds_read_b32 v221, v62 offset:508
; %bb.186:                              ;   in Loop: Header=BB1044_108 Depth=2
	s_or_b32 exec_lo, exec_lo, s23
	s_waitcnt lgkmcnt(0)
	v_add_nc_u32_e32 v220, v221, v220
	ds_bpermute_b32 v220, v125, v220
	s_waitcnt lgkmcnt(0)
	v_cndmask_b32_e64 v220, v220, v221, s15
	v_cndmask_b32_e64 v220, v220, 0, s13
	v_add_nc_u32_e32 v41, v220, v41
	v_add_nc_u32_e32 v42, v41, v42
	;; [unrolled: 1-line block ×4, first 2 shown]
	ds_write2_b32 v68, v220, v41 offset0:136 offset1:137
	ds_write2_b32 v68, v42, v39 offset0:138 offset1:139
	ds_write_b32 v68, v40 offset:560
	s_waitcnt lgkmcnt(0)
	s_barrier
	buffer_gl0_inv
	ds_read_b32 v41, v157 offset:544
	ds_read_b32 v42, v161 offset:544
	;; [unrolled: 1-line block ×17, first 2 shown]
	s_and_saveexec_b32 s23, s8
	s_cbranch_execz .LBB1044_190
; %bb.187:                              ;   in Loop: Header=BB1044_108 Depth=2
	ds_read_b32 v149, v71 offset:544
	v_mov_b32_e32 v152, 0x1100
	s_and_saveexec_b32 s24, s14
; %bb.188:                              ;   in Loop: Header=BB1044_108 Depth=2
	ds_read_b32 v152, v70 offset:544
; %bb.189:                              ;   in Loop: Header=BB1044_108 Depth=2
	s_or_b32 exec_lo, exec_lo, s24
	s_waitcnt lgkmcnt(0)
	v_sub_nc_u32_e32 v152, v152, v149
.LBB1044_190:                           ;   in Loop: Header=BB1044_108 Depth=2
	s_or_b32 exec_lo, exec_lo, s23
	s_waitcnt lgkmcnt(0)
	s_barrier
	buffer_gl0_inv
	s_and_saveexec_b32 s23, s8
	s_cbranch_execz .LBB1044_192
; %bb.191:                              ;   in Loop: Header=BB1044_108 Depth=2
	ds_read_b32 v166, v43
	s_waitcnt lgkmcnt(0)
	v_sub_nc_u32_e32 v166, v166, v149
	ds_write_b32 v43, v166
.LBB1044_192:                           ;   in Loop: Header=BB1044_108 Depth=2
	s_or_b32 exec_lo, exec_lo, s23
	v_add_nc_u32_e32 v176, v41, v156
	v_add3_u32 v175, v160, v159, v42
	v_add3_u32 v171, v164, v163, v161
	v_add3_u32 v170, v169, v168, v165
	v_add3_u32 v169, v174, v173, v220
	v_add3_u32 v166, v184, v183, v186
	v_lshlrev_b32_e32 v173, 1, v176
	v_lshlrev_b32_e32 v174, 1, v175
	v_add3_u32 v159, v215, v214, v39
	v_lshlrev_b32_e32 v39, 1, v171
	v_add3_u32 v168, v179, v178, v181
	v_add3_u32 v165, v189, v188, v190
	;; [unrolled: 1-line block ×5, first 2 shown]
	ds_write_b16 v173, v154 offset:512
	ds_write_b16 v174, v155 offset:512
	v_lshlrev_b32_e32 v40, 1, v170
	ds_write_b16 v39, v158 offset:512
	v_lshlrev_b32_e32 v39, 1, v166
	v_add3_u32 v163, v195, v194, v196
	v_lshlrev_b32_e32 v154, 1, v169
	v_add3_u32 v161, v199, v198, v200
	;; [unrolled: 2-line block ×3, first 2 shown]
	v_add3_u32 v42, v206, v205, v222
	ds_write_b16 v40, v162 offset:512
	ds_write_b16 v154, v167 offset:512
	;; [unrolled: 1-line block ×3, first 2 shown]
	v_lshlrev_b32_e32 v40, 1, v165
	ds_write_b16 v39, v177 offset:512
	v_lshlrev_b32_e32 v39, 1, v164
	v_lshlrev_b32_e32 v154, 1, v163
	;; [unrolled: 1-line block ×3, first 2 shown]
	v_add3_u32 v41, v209, v208, v223
	ds_write_b16 v40, v182 offset:512
	v_lshlrev_b32_e32 v40, 1, v160
	ds_write_b16 v39, v187 offset:512
	ds_write_b16 v154, v185 offset:512
	;; [unrolled: 1-line block ×3, first 2 shown]
	v_lshlrev_b32_e32 v39, 1, v42
	v_cmp_lt_u32_e32 vcc_lo, v0, v153
	v_lshlrev_b32_e32 v154, 1, v156
	ds_write_b16 v40, v197 offset:512
	v_lshlrev_b32_e32 v40, 1, v41
	ds_write_b16 v39, v201 offset:512
	v_lshlrev_b32_e32 v39, 1, v157
	v_lshlrev_b32_e32 v155, 1, v159
	ds_write_b16 v40, v204 offset:512
	ds_write_b16 v154, v207 offset:512
	;; [unrolled: 1-line block ×4, first 2 shown]
	s_waitcnt lgkmcnt(0)
	s_barrier
	buffer_gl0_inv
	s_and_saveexec_b32 s24, vcc_lo
	s_cbranch_execnz .LBB1044_265
; %bb.193:                              ;   in Loop: Header=BB1044_108 Depth=2
	s_or_b32 exec_lo, exec_lo, s24
	v_cmp_lt_u32_e64 s23, v44, v153
	s_and_saveexec_b32 s25, s23
	s_cbranch_execnz .LBB1044_266
.LBB1044_194:                           ;   in Loop: Header=BB1044_108 Depth=2
	s_or_b32 exec_lo, exec_lo, s25
	v_cmp_lt_u32_e64 s24, v47, v153
	s_and_saveexec_b32 s26, s24
	s_cbranch_execnz .LBB1044_267
.LBB1044_195:                           ;   in Loop: Header=BB1044_108 Depth=2
	s_or_b32 exec_lo, exec_lo, s26
	v_cmp_lt_u32_e64 s25, v48, v153
	s_and_saveexec_b32 s27, s25
	s_cbranch_execnz .LBB1044_268
.LBB1044_196:                           ;   in Loop: Header=BB1044_108 Depth=2
	s_or_b32 exec_lo, exec_lo, s27
	v_cmp_lt_u32_e64 s26, v49, v153
	s_and_saveexec_b32 s28, s26
	s_cbranch_execnz .LBB1044_269
.LBB1044_197:                           ;   in Loop: Header=BB1044_108 Depth=2
	s_or_b32 exec_lo, exec_lo, s28
	v_cmp_lt_u32_e64 s27, v50, v153
	s_and_saveexec_b32 s29, s27
	s_cbranch_execnz .LBB1044_270
.LBB1044_198:                           ;   in Loop: Header=BB1044_108 Depth=2
	s_or_b32 exec_lo, exec_lo, s29
	v_cmp_lt_u32_e64 s28, v51, v153
	s_and_saveexec_b32 s30, s28
	s_cbranch_execnz .LBB1044_271
.LBB1044_199:                           ;   in Loop: Header=BB1044_108 Depth=2
	s_or_b32 exec_lo, exec_lo, s30
	v_cmp_lt_u32_e64 s29, v52, v153
	s_and_saveexec_b32 s31, s29
	s_cbranch_execnz .LBB1044_272
.LBB1044_200:                           ;   in Loop: Header=BB1044_108 Depth=2
	s_or_b32 exec_lo, exec_lo, s31
	v_cmp_lt_u32_e64 s30, v53, v153
	s_and_saveexec_b32 s33, s30
	s_cbranch_execnz .LBB1044_273
.LBB1044_201:                           ;   in Loop: Header=BB1044_108 Depth=2
	s_or_b32 exec_lo, exec_lo, s33
	v_cmp_lt_u32_e64 s31, v54, v153
	s_and_saveexec_b32 s34, s31
	s_cbranch_execnz .LBB1044_274
.LBB1044_202:                           ;   in Loop: Header=BB1044_108 Depth=2
	s_or_b32 exec_lo, exec_lo, s34
	v_cmp_lt_u32_e64 s33, v55, v153
	s_and_saveexec_b32 s35, s33
	s_cbranch_execnz .LBB1044_275
.LBB1044_203:                           ;   in Loop: Header=BB1044_108 Depth=2
	s_or_b32 exec_lo, exec_lo, s35
	v_cmp_lt_u32_e64 s34, v56, v153
	s_and_saveexec_b32 s36, s34
	s_cbranch_execnz .LBB1044_276
.LBB1044_204:                           ;   in Loop: Header=BB1044_108 Depth=2
	s_or_b32 exec_lo, exec_lo, s36
	v_cmp_lt_u32_e64 s35, v57, v153
	s_and_saveexec_b32 s37, s35
	s_cbranch_execnz .LBB1044_277
.LBB1044_205:                           ;   in Loop: Header=BB1044_108 Depth=2
	s_or_b32 exec_lo, exec_lo, s37
	v_cmp_lt_u32_e64 s36, v58, v153
	s_and_saveexec_b32 s38, s36
	s_cbranch_execnz .LBB1044_278
.LBB1044_206:                           ;   in Loop: Header=BB1044_108 Depth=2
	s_or_b32 exec_lo, exec_lo, s38
	v_cmp_lt_u32_e64 s37, v59, v153
	s_and_saveexec_b32 s39, s37
	s_cbranch_execnz .LBB1044_279
.LBB1044_207:                           ;   in Loop: Header=BB1044_108 Depth=2
	s_or_b32 exec_lo, exec_lo, s39
	v_cmp_lt_u32_e64 s38, v60, v153
	s_and_saveexec_b32 s40, s38
	s_cbranch_execnz .LBB1044_280
.LBB1044_208:                           ;   in Loop: Header=BB1044_108 Depth=2
	s_or_b32 exec_lo, exec_lo, s40
	v_cmp_lt_u32_e64 s39, v61, v153
	s_and_saveexec_b32 s65, s39
	s_cbranch_execz .LBB1044_210
.LBB1044_209:                           ;   in Loop: Header=BB1044_108 Depth=2
	ds_read_u16 v154, v74 offset:8704
	s_waitcnt lgkmcnt(0)
	v_lshrrev_b32_sdwa v3, s61, v154 dst_sel:DWORD dst_unused:UNUSED_PAD src0_sel:DWORD src1_sel:WORD_0
	v_and_b32_e32 v3, s62, v3
	v_lshlrev_b32_e32 v3, 2, v3
	ds_read_b32 v3, v3
	s_waitcnt lgkmcnt(0)
	v_add_nc_u32_e32 v3, v3, v61
	v_lshlrev_b64 v[39:40], 1, v[3:4]
	v_xor_b32_e32 v3, 0xffff8000, v154
	v_add_co_u32 v39, s40, s46, v39
	v_add_co_ci_u32_e64 v40, null, s47, v40, s40
	global_store_short v[39:40], v3, off
.LBB1044_210:                           ;   in Loop: Header=BB1044_108 Depth=2
	s_or_b32 exec_lo, exec_lo, s65
	s_lshl_b64 s[66:67], s[50:51], 3
	v_add_co_u32 v39, s40, v123, s66
	v_add_co_ci_u32_e64 v40, null, s67, v124, s40
	v_cmp_lt_u32_e64 s40, v94, v153
	s_and_saveexec_b32 s50, s40
	s_xor_b32 s40, exec_lo, s50
	s_cbranch_execnz .LBB1044_281
; %bb.211:                              ;   in Loop: Header=BB1044_108 Depth=2
	s_or_b32 exec_lo, exec_lo, s40
	s_mov_b32 s50, exec_lo
	v_cmpx_lt_u32_e64 v98, v153
	s_cbranch_execnz .LBB1044_282
.LBB1044_212:                           ;   in Loop: Header=BB1044_108 Depth=2
	s_or_b32 exec_lo, exec_lo, s50
	s_mov_b32 s50, exec_lo
	v_cmpx_lt_u32_e64 v99, v153
	s_cbranch_execnz .LBB1044_283
.LBB1044_213:                           ;   in Loop: Header=BB1044_108 Depth=2
	s_or_b32 exec_lo, exec_lo, s50
	s_mov_b32 s50, exec_lo
	v_cmpx_lt_u32_e64 v100, v153
	s_cbranch_execnz .LBB1044_284
.LBB1044_214:                           ;   in Loop: Header=BB1044_108 Depth=2
	s_or_b32 exec_lo, exec_lo, s50
	s_mov_b32 s50, exec_lo
	v_cmpx_lt_u32_e64 v101, v153
	s_cbranch_execnz .LBB1044_285
.LBB1044_215:                           ;   in Loop: Header=BB1044_108 Depth=2
	s_or_b32 exec_lo, exec_lo, s50
	s_mov_b32 s50, exec_lo
	v_cmpx_lt_u32_e64 v102, v153
	s_cbranch_execnz .LBB1044_286
.LBB1044_216:                           ;   in Loop: Header=BB1044_108 Depth=2
	s_or_b32 exec_lo, exec_lo, s50
	s_mov_b32 s50, exec_lo
	v_cmpx_lt_u32_e64 v103, v153
	s_cbranch_execnz .LBB1044_287
.LBB1044_217:                           ;   in Loop: Header=BB1044_108 Depth=2
	s_or_b32 exec_lo, exec_lo, s50
	s_mov_b32 s50, exec_lo
	v_cmpx_lt_u32_e64 v104, v153
	s_cbranch_execnz .LBB1044_288
.LBB1044_218:                           ;   in Loop: Header=BB1044_108 Depth=2
	s_or_b32 exec_lo, exec_lo, s50
	s_mov_b32 s50, exec_lo
	v_cmpx_lt_u32_e64 v105, v153
	s_cbranch_execnz .LBB1044_289
.LBB1044_219:                           ;   in Loop: Header=BB1044_108 Depth=2
	s_or_b32 exec_lo, exec_lo, s50
	s_mov_b32 s50, exec_lo
	v_cmpx_lt_u32_e64 v106, v153
	s_cbranch_execnz .LBB1044_290
.LBB1044_220:                           ;   in Loop: Header=BB1044_108 Depth=2
	s_or_b32 exec_lo, exec_lo, s50
	s_mov_b32 s50, exec_lo
	v_cmpx_lt_u32_e64 v107, v153
	s_cbranch_execnz .LBB1044_291
.LBB1044_221:                           ;   in Loop: Header=BB1044_108 Depth=2
	s_or_b32 exec_lo, exec_lo, s50
	s_mov_b32 s50, exec_lo
	v_cmpx_lt_u32_e64 v108, v153
	s_cbranch_execnz .LBB1044_292
.LBB1044_222:                           ;   in Loop: Header=BB1044_108 Depth=2
	s_or_b32 exec_lo, exec_lo, s50
	s_mov_b32 s50, exec_lo
	v_cmpx_lt_u32_e64 v126, v153
	s_cbranch_execnz .LBB1044_293
.LBB1044_223:                           ;   in Loop: Header=BB1044_108 Depth=2
	s_or_b32 exec_lo, exec_lo, s50
	s_mov_b32 s50, exec_lo
	v_cmpx_lt_u32_e64 v127, v153
	s_cbranch_execnz .LBB1044_294
.LBB1044_224:                           ;   in Loop: Header=BB1044_108 Depth=2
	s_or_b32 exec_lo, exec_lo, s50
	s_mov_b32 s50, exec_lo
	v_cmpx_lt_u32_e64 v128, v153
	s_cbranch_execnz .LBB1044_295
.LBB1044_225:                           ;   in Loop: Header=BB1044_108 Depth=2
	s_or_b32 exec_lo, exec_lo, s50
	s_mov_b32 s50, exec_lo
	v_cmpx_lt_u32_e64 v129, v153
	s_cbranch_execnz .LBB1044_296
.LBB1044_226:                           ;   in Loop: Header=BB1044_108 Depth=2
	s_or_b32 exec_lo, exec_lo, s50
	s_mov_b32 s50, exec_lo
	v_cmpx_lt_u32_e64 v130, v153
	s_cbranch_execnz .LBB1044_297
.LBB1044_227:                           ;   in Loop: Header=BB1044_108 Depth=2
	s_or_b32 exec_lo, exec_lo, s50
	s_and_saveexec_b32 s40, vcc_lo
	s_cbranch_execnz .LBB1044_298
.LBB1044_228:                           ;   in Loop: Header=BB1044_108 Depth=2
	s_or_b32 exec_lo, exec_lo, s40
	s_and_saveexec_b32 s40, s23
	s_cbranch_execnz .LBB1044_299
.LBB1044_229:                           ;   in Loop: Header=BB1044_108 Depth=2
	s_or_b32 exec_lo, exec_lo, s40
	s_and_saveexec_b32 s40, s24
	s_cbranch_execnz .LBB1044_300
.LBB1044_230:                           ;   in Loop: Header=BB1044_108 Depth=2
	s_or_b32 exec_lo, exec_lo, s40
	s_and_saveexec_b32 s40, s25
	s_cbranch_execnz .LBB1044_301
.LBB1044_231:                           ;   in Loop: Header=BB1044_108 Depth=2
	s_or_b32 exec_lo, exec_lo, s40
	s_and_saveexec_b32 s40, s26
	s_cbranch_execnz .LBB1044_302
.LBB1044_232:                           ;   in Loop: Header=BB1044_108 Depth=2
	s_or_b32 exec_lo, exec_lo, s40
	s_and_saveexec_b32 s40, s27
	s_cbranch_execnz .LBB1044_303
.LBB1044_233:                           ;   in Loop: Header=BB1044_108 Depth=2
	s_or_b32 exec_lo, exec_lo, s40
	s_and_saveexec_b32 s40, s28
	s_cbranch_execnz .LBB1044_304
.LBB1044_234:                           ;   in Loop: Header=BB1044_108 Depth=2
	s_or_b32 exec_lo, exec_lo, s40
	s_and_saveexec_b32 s40, s29
	s_cbranch_execnz .LBB1044_305
.LBB1044_235:                           ;   in Loop: Header=BB1044_108 Depth=2
	s_or_b32 exec_lo, exec_lo, s40
	s_and_saveexec_b32 s40, s30
	s_cbranch_execnz .LBB1044_306
.LBB1044_236:                           ;   in Loop: Header=BB1044_108 Depth=2
	s_or_b32 exec_lo, exec_lo, s40
	s_and_saveexec_b32 s40, s31
	s_cbranch_execnz .LBB1044_307
.LBB1044_237:                           ;   in Loop: Header=BB1044_108 Depth=2
	s_or_b32 exec_lo, exec_lo, s40
	s_and_saveexec_b32 s40, s33
	s_cbranch_execnz .LBB1044_308
.LBB1044_238:                           ;   in Loop: Header=BB1044_108 Depth=2
	s_or_b32 exec_lo, exec_lo, s40
	s_and_saveexec_b32 s40, s34
	s_cbranch_execnz .LBB1044_309
.LBB1044_239:                           ;   in Loop: Header=BB1044_108 Depth=2
	s_or_b32 exec_lo, exec_lo, s40
	s_and_saveexec_b32 s40, s35
	s_cbranch_execnz .LBB1044_310
.LBB1044_240:                           ;   in Loop: Header=BB1044_108 Depth=2
	s_or_b32 exec_lo, exec_lo, s40
	s_and_saveexec_b32 s40, s36
	s_cbranch_execnz .LBB1044_311
.LBB1044_241:                           ;   in Loop: Header=BB1044_108 Depth=2
	s_or_b32 exec_lo, exec_lo, s40
	s_and_saveexec_b32 s40, s37
	s_cbranch_execnz .LBB1044_312
.LBB1044_242:                           ;   in Loop: Header=BB1044_108 Depth=2
	s_or_b32 exec_lo, exec_lo, s40
	s_and_saveexec_b32 s40, s38
	s_cbranch_execnz .LBB1044_313
.LBB1044_243:                           ;   in Loop: Header=BB1044_108 Depth=2
	s_or_b32 exec_lo, exec_lo, s40
	s_and_saveexec_b32 s40, s39
	s_cbranch_execz .LBB1044_245
.LBB1044_244:                           ;   in Loop: Header=BB1044_108 Depth=2
	ds_read_u16 v3, v74 offset:8704
	s_waitcnt lgkmcnt(0)
	v_lshrrev_b32_e32 v3, s61, v3
	v_and_b32_e32 v134, s62, v3
.LBB1044_245:                           ;   in Loop: Header=BB1044_108 Depth=2
	s_or_b32 exec_lo, exec_lo, s40
	v_lshlrev_b32_e32 v3, 3, v176
	v_lshlrev_b32_e32 v39, 3, v175
	s_waitcnt vmcnt(0)
	s_waitcnt_vscnt null, 0x0
	s_barrier
	buffer_gl0_inv
	ds_write_b64 v3, v[37:38] offset:512
	ds_write_b64 v39, v[35:36] offset:512
	v_lshlrev_b32_e32 v3, 3, v171
	v_lshlrev_b32_e32 v39, 3, v170
	v_lshlrev_b32_e32 v40, 3, v169
	v_lshlrev_b32_e32 v153, 3, v168
	v_lshlrev_b32_e32 v154, 3, v166
	ds_write_b64 v3, v[33:34] offset:512
	ds_write_b64 v39, v[31:32] offset:512
	ds_write_b64 v40, v[29:30] offset:512
	ds_write_b64 v153, v[25:26] offset:512
	ds_write_b64 v154, v[21:22] offset:512
	v_lshlrev_b32_e32 v3, 3, v165
	v_lshlrev_b32_e32 v39, 3, v164
	v_lshlrev_b32_e32 v40, 3, v163
	v_lshlrev_b32_e32 v153, 3, v161
	v_lshlrev_b32_e32 v154, 3, v160
	ds_write_b64 v3, v[17:18] offset:512
	ds_write_b64 v39, v[27:28] offset:512
	ds_write_b64 v40, v[23:24] offset:512
	;; [unrolled: 10-line block ×3, first 2 shown]
	ds_write_b64 v41, v[7:8] offset:512
	ds_write_b64 v42, v[5:6] offset:512
	s_waitcnt lgkmcnt(0)
	s_barrier
	buffer_gl0_inv
	s_and_saveexec_b32 s40, vcc_lo
	s_cbranch_execnz .LBB1044_314
; %bb.246:                              ;   in Loop: Header=BB1044_108 Depth=2
	s_or_b32 exec_lo, exec_lo, s40
	s_and_saveexec_b32 s40, s23
	s_cbranch_execnz .LBB1044_315
.LBB1044_247:                           ;   in Loop: Header=BB1044_108 Depth=2
	s_or_b32 exec_lo, exec_lo, s40
	s_and_saveexec_b32 s23, s24
	s_cbranch_execnz .LBB1044_316
.LBB1044_248:                           ;   in Loop: Header=BB1044_108 Depth=2
	s_or_b32 exec_lo, exec_lo, s23
	s_and_saveexec_b32 s23, s25
	s_cbranch_execnz .LBB1044_317
.LBB1044_249:                           ;   in Loop: Header=BB1044_108 Depth=2
	s_or_b32 exec_lo, exec_lo, s23
	s_and_saveexec_b32 s23, s26
	s_cbranch_execnz .LBB1044_318
.LBB1044_250:                           ;   in Loop: Header=BB1044_108 Depth=2
	s_or_b32 exec_lo, exec_lo, s23
	s_and_saveexec_b32 s23, s27
	s_cbranch_execnz .LBB1044_319
.LBB1044_251:                           ;   in Loop: Header=BB1044_108 Depth=2
	s_or_b32 exec_lo, exec_lo, s23
	s_and_saveexec_b32 s23, s28
	s_cbranch_execnz .LBB1044_320
.LBB1044_252:                           ;   in Loop: Header=BB1044_108 Depth=2
	s_or_b32 exec_lo, exec_lo, s23
	s_and_saveexec_b32 s23, s29
	s_cbranch_execnz .LBB1044_321
.LBB1044_253:                           ;   in Loop: Header=BB1044_108 Depth=2
	s_or_b32 exec_lo, exec_lo, s23
	s_and_saveexec_b32 s23, s30
	s_cbranch_execnz .LBB1044_322
.LBB1044_254:                           ;   in Loop: Header=BB1044_108 Depth=2
	s_or_b32 exec_lo, exec_lo, s23
	s_and_saveexec_b32 s23, s31
	s_cbranch_execnz .LBB1044_323
.LBB1044_255:                           ;   in Loop: Header=BB1044_108 Depth=2
	s_or_b32 exec_lo, exec_lo, s23
	s_and_saveexec_b32 s23, s33
	s_cbranch_execnz .LBB1044_324
.LBB1044_256:                           ;   in Loop: Header=BB1044_108 Depth=2
	s_or_b32 exec_lo, exec_lo, s23
	s_and_saveexec_b32 s23, s34
	s_cbranch_execnz .LBB1044_325
.LBB1044_257:                           ;   in Loop: Header=BB1044_108 Depth=2
	s_or_b32 exec_lo, exec_lo, s23
	s_and_saveexec_b32 s23, s35
	s_cbranch_execnz .LBB1044_326
.LBB1044_258:                           ;   in Loop: Header=BB1044_108 Depth=2
	s_or_b32 exec_lo, exec_lo, s23
	s_and_saveexec_b32 s23, s36
	s_cbranch_execnz .LBB1044_327
.LBB1044_259:                           ;   in Loop: Header=BB1044_108 Depth=2
	s_or_b32 exec_lo, exec_lo, s23
	s_and_saveexec_b32 s23, s37
	s_cbranch_execnz .LBB1044_328
.LBB1044_260:                           ;   in Loop: Header=BB1044_108 Depth=2
	s_or_b32 exec_lo, exec_lo, s23
	s_and_saveexec_b32 s23, s38
	s_cbranch_execnz .LBB1044_329
.LBB1044_261:                           ;   in Loop: Header=BB1044_108 Depth=2
	s_or_b32 exec_lo, exec_lo, s23
	s_and_saveexec_b32 s23, s39
	s_cbranch_execz .LBB1044_263
.LBB1044_262:                           ;   in Loop: Header=BB1044_108 Depth=2
	v_lshlrev_b32_e32 v3, 2, v134
	v_add_nc_u32_e32 v39, v74, v75
	ds_read_b32 v3, v3
	ds_read_b64 v[39:40], v39 offset:33280
	s_waitcnt lgkmcnt(1)
	v_add_nc_u32_e32 v3, v3, v61
	v_lshlrev_b64 v[41:42], 3, v[3:4]
	v_add_co_u32 v41, vcc_lo, s52, v41
	v_add_co_ci_u32_e64 v42, null, s53, v42, vcc_lo
	s_waitcnt lgkmcnt(0)
	global_store_dwordx2 v[41:42], v[39:40], off
.LBB1044_263:                           ;   in Loop: Header=BB1044_108 Depth=2
	s_or_b32 exec_lo, exec_lo, s23
	s_waitcnt_vscnt null, 0x0
	s_barrier
	buffer_gl0_inv
	s_and_saveexec_b32 s23, s8
	s_cbranch_execz .LBB1044_107
; %bb.264:                              ;   in Loop: Header=BB1044_108 Depth=2
	ds_read_b32 v3, v43
	s_waitcnt lgkmcnt(0)
	v_add3_u32 v3, v149, v152, v3
	ds_write_b32 v43, v3
	s_branch .LBB1044_107
.LBB1044_265:                           ;   in Loop: Header=BB1044_108 Depth=2
	ds_read_u16 v154, v74 offset:512
	s_waitcnt lgkmcnt(0)
	v_lshrrev_b32_sdwa v3, s61, v154 dst_sel:DWORD dst_unused:UNUSED_PAD src0_sel:DWORD src1_sel:WORD_0
	v_and_b32_e32 v3, s62, v3
	v_lshlrev_b32_e32 v3, 2, v3
	ds_read_b32 v3, v3
	s_waitcnt lgkmcnt(0)
	v_add_nc_u32_e32 v3, v3, v0
	v_lshlrev_b64 v[39:40], 1, v[3:4]
	v_xor_b32_e32 v3, 0xffff8000, v154
	v_add_co_u32 v39, s23, s46, v39
	v_add_co_ci_u32_e64 v40, null, s47, v40, s23
	global_store_short v[39:40], v3, off
	s_or_b32 exec_lo, exec_lo, s24
	v_cmp_lt_u32_e64 s23, v44, v153
	s_and_saveexec_b32 s25, s23
	s_cbranch_execz .LBB1044_194
.LBB1044_266:                           ;   in Loop: Header=BB1044_108 Depth=2
	ds_read_u16 v154, v74 offset:1024
	s_waitcnt lgkmcnt(0)
	v_lshrrev_b32_sdwa v3, s61, v154 dst_sel:DWORD dst_unused:UNUSED_PAD src0_sel:DWORD src1_sel:WORD_0
	v_and_b32_e32 v3, s62, v3
	v_lshlrev_b32_e32 v3, 2, v3
	ds_read_b32 v3, v3
	s_waitcnt lgkmcnt(0)
	v_add_nc_u32_e32 v3, v3, v44
	v_lshlrev_b64 v[39:40], 1, v[3:4]
	v_xor_b32_e32 v3, 0xffff8000, v154
	v_add_co_u32 v39, s24, s46, v39
	v_add_co_ci_u32_e64 v40, null, s47, v40, s24
	global_store_short v[39:40], v3, off
	s_or_b32 exec_lo, exec_lo, s25
	v_cmp_lt_u32_e64 s24, v47, v153
	s_and_saveexec_b32 s26, s24
	s_cbranch_execz .LBB1044_195
.LBB1044_267:                           ;   in Loop: Header=BB1044_108 Depth=2
	ds_read_u16 v154, v74 offset:1536
	s_waitcnt lgkmcnt(0)
	v_lshrrev_b32_sdwa v3, s61, v154 dst_sel:DWORD dst_unused:UNUSED_PAD src0_sel:DWORD src1_sel:WORD_0
	v_and_b32_e32 v3, s62, v3
	v_lshlrev_b32_e32 v3, 2, v3
	ds_read_b32 v3, v3
	s_waitcnt lgkmcnt(0)
	v_add_nc_u32_e32 v3, v3, v47
	v_lshlrev_b64 v[39:40], 1, v[3:4]
	v_xor_b32_e32 v3, 0xffff8000, v154
	v_add_co_u32 v39, s25, s46, v39
	v_add_co_ci_u32_e64 v40, null, s47, v40, s25
	global_store_short v[39:40], v3, off
	s_or_b32 exec_lo, exec_lo, s26
	v_cmp_lt_u32_e64 s25, v48, v153
	s_and_saveexec_b32 s27, s25
	s_cbranch_execz .LBB1044_196
.LBB1044_268:                           ;   in Loop: Header=BB1044_108 Depth=2
	ds_read_u16 v154, v74 offset:2048
	s_waitcnt lgkmcnt(0)
	v_lshrrev_b32_sdwa v3, s61, v154 dst_sel:DWORD dst_unused:UNUSED_PAD src0_sel:DWORD src1_sel:WORD_0
	v_and_b32_e32 v3, s62, v3
	v_lshlrev_b32_e32 v3, 2, v3
	ds_read_b32 v3, v3
	s_waitcnt lgkmcnt(0)
	v_add_nc_u32_e32 v3, v3, v48
	v_lshlrev_b64 v[39:40], 1, v[3:4]
	v_xor_b32_e32 v3, 0xffff8000, v154
	v_add_co_u32 v39, s26, s46, v39
	v_add_co_ci_u32_e64 v40, null, s47, v40, s26
	global_store_short v[39:40], v3, off
	s_or_b32 exec_lo, exec_lo, s27
	v_cmp_lt_u32_e64 s26, v49, v153
	s_and_saveexec_b32 s28, s26
	s_cbranch_execz .LBB1044_197
.LBB1044_269:                           ;   in Loop: Header=BB1044_108 Depth=2
	ds_read_u16 v154, v74 offset:2560
	s_waitcnt lgkmcnt(0)
	v_lshrrev_b32_sdwa v3, s61, v154 dst_sel:DWORD dst_unused:UNUSED_PAD src0_sel:DWORD src1_sel:WORD_0
	v_and_b32_e32 v3, s62, v3
	v_lshlrev_b32_e32 v3, 2, v3
	ds_read_b32 v3, v3
	s_waitcnt lgkmcnt(0)
	v_add_nc_u32_e32 v3, v3, v49
	v_lshlrev_b64 v[39:40], 1, v[3:4]
	v_xor_b32_e32 v3, 0xffff8000, v154
	v_add_co_u32 v39, s27, s46, v39
	v_add_co_ci_u32_e64 v40, null, s47, v40, s27
	global_store_short v[39:40], v3, off
	s_or_b32 exec_lo, exec_lo, s28
	v_cmp_lt_u32_e64 s27, v50, v153
	s_and_saveexec_b32 s29, s27
	s_cbranch_execz .LBB1044_198
.LBB1044_270:                           ;   in Loop: Header=BB1044_108 Depth=2
	ds_read_u16 v154, v74 offset:3072
	s_waitcnt lgkmcnt(0)
	v_lshrrev_b32_sdwa v3, s61, v154 dst_sel:DWORD dst_unused:UNUSED_PAD src0_sel:DWORD src1_sel:WORD_0
	v_and_b32_e32 v3, s62, v3
	v_lshlrev_b32_e32 v3, 2, v3
	ds_read_b32 v3, v3
	s_waitcnt lgkmcnt(0)
	v_add_nc_u32_e32 v3, v3, v50
	v_lshlrev_b64 v[39:40], 1, v[3:4]
	v_xor_b32_e32 v3, 0xffff8000, v154
	v_add_co_u32 v39, s28, s46, v39
	v_add_co_ci_u32_e64 v40, null, s47, v40, s28
	global_store_short v[39:40], v3, off
	s_or_b32 exec_lo, exec_lo, s29
	v_cmp_lt_u32_e64 s28, v51, v153
	s_and_saveexec_b32 s30, s28
	s_cbranch_execz .LBB1044_199
.LBB1044_271:                           ;   in Loop: Header=BB1044_108 Depth=2
	ds_read_u16 v154, v74 offset:3584
	s_waitcnt lgkmcnt(0)
	v_lshrrev_b32_sdwa v3, s61, v154 dst_sel:DWORD dst_unused:UNUSED_PAD src0_sel:DWORD src1_sel:WORD_0
	v_and_b32_e32 v3, s62, v3
	v_lshlrev_b32_e32 v3, 2, v3
	ds_read_b32 v3, v3
	s_waitcnt lgkmcnt(0)
	v_add_nc_u32_e32 v3, v3, v51
	v_lshlrev_b64 v[39:40], 1, v[3:4]
	v_xor_b32_e32 v3, 0xffff8000, v154
	v_add_co_u32 v39, s29, s46, v39
	v_add_co_ci_u32_e64 v40, null, s47, v40, s29
	global_store_short v[39:40], v3, off
	s_or_b32 exec_lo, exec_lo, s30
	v_cmp_lt_u32_e64 s29, v52, v153
	s_and_saveexec_b32 s31, s29
	s_cbranch_execz .LBB1044_200
.LBB1044_272:                           ;   in Loop: Header=BB1044_108 Depth=2
	ds_read_u16 v154, v74 offset:4096
	s_waitcnt lgkmcnt(0)
	v_lshrrev_b32_sdwa v3, s61, v154 dst_sel:DWORD dst_unused:UNUSED_PAD src0_sel:DWORD src1_sel:WORD_0
	v_and_b32_e32 v3, s62, v3
	v_lshlrev_b32_e32 v3, 2, v3
	ds_read_b32 v3, v3
	s_waitcnt lgkmcnt(0)
	v_add_nc_u32_e32 v3, v3, v52
	v_lshlrev_b64 v[39:40], 1, v[3:4]
	v_xor_b32_e32 v3, 0xffff8000, v154
	v_add_co_u32 v39, s30, s46, v39
	v_add_co_ci_u32_e64 v40, null, s47, v40, s30
	global_store_short v[39:40], v3, off
	s_or_b32 exec_lo, exec_lo, s31
	v_cmp_lt_u32_e64 s30, v53, v153
	s_and_saveexec_b32 s33, s30
	s_cbranch_execz .LBB1044_201
.LBB1044_273:                           ;   in Loop: Header=BB1044_108 Depth=2
	ds_read_u16 v154, v74 offset:4608
	s_waitcnt lgkmcnt(0)
	v_lshrrev_b32_sdwa v3, s61, v154 dst_sel:DWORD dst_unused:UNUSED_PAD src0_sel:DWORD src1_sel:WORD_0
	v_and_b32_e32 v3, s62, v3
	v_lshlrev_b32_e32 v3, 2, v3
	ds_read_b32 v3, v3
	s_waitcnt lgkmcnt(0)
	v_add_nc_u32_e32 v3, v3, v53
	v_lshlrev_b64 v[39:40], 1, v[3:4]
	v_xor_b32_e32 v3, 0xffff8000, v154
	v_add_co_u32 v39, s31, s46, v39
	v_add_co_ci_u32_e64 v40, null, s47, v40, s31
	global_store_short v[39:40], v3, off
	s_or_b32 exec_lo, exec_lo, s33
	v_cmp_lt_u32_e64 s31, v54, v153
	s_and_saveexec_b32 s34, s31
	s_cbranch_execz .LBB1044_202
.LBB1044_274:                           ;   in Loop: Header=BB1044_108 Depth=2
	ds_read_u16 v154, v74 offset:5120
	s_waitcnt lgkmcnt(0)
	v_lshrrev_b32_sdwa v3, s61, v154 dst_sel:DWORD dst_unused:UNUSED_PAD src0_sel:DWORD src1_sel:WORD_0
	v_and_b32_e32 v3, s62, v3
	v_lshlrev_b32_e32 v3, 2, v3
	ds_read_b32 v3, v3
	s_waitcnt lgkmcnt(0)
	v_add_nc_u32_e32 v3, v3, v54
	v_lshlrev_b64 v[39:40], 1, v[3:4]
	v_xor_b32_e32 v3, 0xffff8000, v154
	v_add_co_u32 v39, s33, s46, v39
	v_add_co_ci_u32_e64 v40, null, s47, v40, s33
	global_store_short v[39:40], v3, off
	s_or_b32 exec_lo, exec_lo, s34
	v_cmp_lt_u32_e64 s33, v55, v153
	s_and_saveexec_b32 s35, s33
	s_cbranch_execz .LBB1044_203
.LBB1044_275:                           ;   in Loop: Header=BB1044_108 Depth=2
	ds_read_u16 v154, v74 offset:5632
	s_waitcnt lgkmcnt(0)
	v_lshrrev_b32_sdwa v3, s61, v154 dst_sel:DWORD dst_unused:UNUSED_PAD src0_sel:DWORD src1_sel:WORD_0
	v_and_b32_e32 v3, s62, v3
	v_lshlrev_b32_e32 v3, 2, v3
	ds_read_b32 v3, v3
	s_waitcnt lgkmcnt(0)
	v_add_nc_u32_e32 v3, v3, v55
	v_lshlrev_b64 v[39:40], 1, v[3:4]
	v_xor_b32_e32 v3, 0xffff8000, v154
	v_add_co_u32 v39, s34, s46, v39
	v_add_co_ci_u32_e64 v40, null, s47, v40, s34
	global_store_short v[39:40], v3, off
	s_or_b32 exec_lo, exec_lo, s35
	v_cmp_lt_u32_e64 s34, v56, v153
	s_and_saveexec_b32 s36, s34
	s_cbranch_execz .LBB1044_204
.LBB1044_276:                           ;   in Loop: Header=BB1044_108 Depth=2
	ds_read_u16 v154, v74 offset:6144
	s_waitcnt lgkmcnt(0)
	v_lshrrev_b32_sdwa v3, s61, v154 dst_sel:DWORD dst_unused:UNUSED_PAD src0_sel:DWORD src1_sel:WORD_0
	v_and_b32_e32 v3, s62, v3
	v_lshlrev_b32_e32 v3, 2, v3
	ds_read_b32 v3, v3
	s_waitcnt lgkmcnt(0)
	v_add_nc_u32_e32 v3, v3, v56
	v_lshlrev_b64 v[39:40], 1, v[3:4]
	v_xor_b32_e32 v3, 0xffff8000, v154
	v_add_co_u32 v39, s35, s46, v39
	v_add_co_ci_u32_e64 v40, null, s47, v40, s35
	global_store_short v[39:40], v3, off
	s_or_b32 exec_lo, exec_lo, s36
	v_cmp_lt_u32_e64 s35, v57, v153
	s_and_saveexec_b32 s37, s35
	s_cbranch_execz .LBB1044_205
.LBB1044_277:                           ;   in Loop: Header=BB1044_108 Depth=2
	ds_read_u16 v154, v74 offset:6656
	s_waitcnt lgkmcnt(0)
	v_lshrrev_b32_sdwa v3, s61, v154 dst_sel:DWORD dst_unused:UNUSED_PAD src0_sel:DWORD src1_sel:WORD_0
	v_and_b32_e32 v3, s62, v3
	v_lshlrev_b32_e32 v3, 2, v3
	ds_read_b32 v3, v3
	s_waitcnt lgkmcnt(0)
	v_add_nc_u32_e32 v3, v3, v57
	v_lshlrev_b64 v[39:40], 1, v[3:4]
	v_xor_b32_e32 v3, 0xffff8000, v154
	v_add_co_u32 v39, s36, s46, v39
	v_add_co_ci_u32_e64 v40, null, s47, v40, s36
	global_store_short v[39:40], v3, off
	s_or_b32 exec_lo, exec_lo, s37
	v_cmp_lt_u32_e64 s36, v58, v153
	s_and_saveexec_b32 s38, s36
	s_cbranch_execz .LBB1044_206
.LBB1044_278:                           ;   in Loop: Header=BB1044_108 Depth=2
	ds_read_u16 v154, v74 offset:7168
	s_waitcnt lgkmcnt(0)
	v_lshrrev_b32_sdwa v3, s61, v154 dst_sel:DWORD dst_unused:UNUSED_PAD src0_sel:DWORD src1_sel:WORD_0
	v_and_b32_e32 v3, s62, v3
	v_lshlrev_b32_e32 v3, 2, v3
	ds_read_b32 v3, v3
	s_waitcnt lgkmcnt(0)
	v_add_nc_u32_e32 v3, v3, v58
	v_lshlrev_b64 v[39:40], 1, v[3:4]
	v_xor_b32_e32 v3, 0xffff8000, v154
	v_add_co_u32 v39, s37, s46, v39
	v_add_co_ci_u32_e64 v40, null, s47, v40, s37
	global_store_short v[39:40], v3, off
	s_or_b32 exec_lo, exec_lo, s38
	v_cmp_lt_u32_e64 s37, v59, v153
	s_and_saveexec_b32 s39, s37
	s_cbranch_execz .LBB1044_207
.LBB1044_279:                           ;   in Loop: Header=BB1044_108 Depth=2
	ds_read_u16 v154, v74 offset:7680
	s_waitcnt lgkmcnt(0)
	v_lshrrev_b32_sdwa v3, s61, v154 dst_sel:DWORD dst_unused:UNUSED_PAD src0_sel:DWORD src1_sel:WORD_0
	v_and_b32_e32 v3, s62, v3
	v_lshlrev_b32_e32 v3, 2, v3
	ds_read_b32 v3, v3
	s_waitcnt lgkmcnt(0)
	v_add_nc_u32_e32 v3, v3, v59
	v_lshlrev_b64 v[39:40], 1, v[3:4]
	v_xor_b32_e32 v3, 0xffff8000, v154
	v_add_co_u32 v39, s38, s46, v39
	v_add_co_ci_u32_e64 v40, null, s47, v40, s38
	global_store_short v[39:40], v3, off
	s_or_b32 exec_lo, exec_lo, s39
	v_cmp_lt_u32_e64 s38, v60, v153
	s_and_saveexec_b32 s40, s38
	s_cbranch_execz .LBB1044_208
.LBB1044_280:                           ;   in Loop: Header=BB1044_108 Depth=2
	ds_read_u16 v154, v74 offset:8192
	s_waitcnt lgkmcnt(0)
	v_lshrrev_b32_sdwa v3, s61, v154 dst_sel:DWORD dst_unused:UNUSED_PAD src0_sel:DWORD src1_sel:WORD_0
	v_and_b32_e32 v3, s62, v3
	v_lshlrev_b32_e32 v3, 2, v3
	ds_read_b32 v3, v3
	s_waitcnt lgkmcnt(0)
	v_add_nc_u32_e32 v3, v3, v60
	v_lshlrev_b64 v[39:40], 1, v[3:4]
	v_xor_b32_e32 v3, 0xffff8000, v154
	v_add_co_u32 v39, s39, s46, v39
	v_add_co_ci_u32_e64 v40, null, s47, v40, s39
	global_store_short v[39:40], v3, off
	s_or_b32 exec_lo, exec_lo, s40
	v_cmp_lt_u32_e64 s39, v61, v153
	s_and_saveexec_b32 s65, s39
	s_cbranch_execnz .LBB1044_209
	s_branch .LBB1044_210
.LBB1044_281:                           ;   in Loop: Header=BB1044_108 Depth=2
	global_load_dwordx2 v[37:38], v[39:40], off
	s_or_b32 exec_lo, exec_lo, s40
	s_mov_b32 s50, exec_lo
	v_cmpx_lt_u32_e64 v98, v153
	s_cbranch_execz .LBB1044_212
.LBB1044_282:                           ;   in Loop: Header=BB1044_108 Depth=2
	global_load_dwordx2 v[35:36], v[39:40], off offset:256
	s_or_b32 exec_lo, exec_lo, s50
	s_mov_b32 s50, exec_lo
	v_cmpx_lt_u32_e64 v99, v153
	s_cbranch_execz .LBB1044_213
.LBB1044_283:                           ;   in Loop: Header=BB1044_108 Depth=2
	global_load_dwordx2 v[33:34], v[39:40], off offset:512
	s_or_b32 exec_lo, exec_lo, s50
	s_mov_b32 s50, exec_lo
	v_cmpx_lt_u32_e64 v100, v153
	s_cbranch_execz .LBB1044_214
.LBB1044_284:                           ;   in Loop: Header=BB1044_108 Depth=2
	global_load_dwordx2 v[31:32], v[39:40], off offset:768
	s_or_b32 exec_lo, exec_lo, s50
	s_mov_b32 s50, exec_lo
	v_cmpx_lt_u32_e64 v101, v153
	s_cbranch_execz .LBB1044_215
.LBB1044_285:                           ;   in Loop: Header=BB1044_108 Depth=2
	global_load_dwordx2 v[29:30], v[39:40], off offset:1024
	s_or_b32 exec_lo, exec_lo, s50
	s_mov_b32 s50, exec_lo
	v_cmpx_lt_u32_e64 v102, v153
	s_cbranch_execz .LBB1044_216
.LBB1044_286:                           ;   in Loop: Header=BB1044_108 Depth=2
	global_load_dwordx2 v[25:26], v[39:40], off offset:1280
	s_or_b32 exec_lo, exec_lo, s50
	s_mov_b32 s50, exec_lo
	v_cmpx_lt_u32_e64 v103, v153
	s_cbranch_execz .LBB1044_217
.LBB1044_287:                           ;   in Loop: Header=BB1044_108 Depth=2
	global_load_dwordx2 v[21:22], v[39:40], off offset:1536
	s_or_b32 exec_lo, exec_lo, s50
	s_mov_b32 s50, exec_lo
	v_cmpx_lt_u32_e64 v104, v153
	s_cbranch_execz .LBB1044_218
.LBB1044_288:                           ;   in Loop: Header=BB1044_108 Depth=2
	global_load_dwordx2 v[17:18], v[39:40], off offset:1792
	s_or_b32 exec_lo, exec_lo, s50
	s_mov_b32 s50, exec_lo
	v_cmpx_lt_u32_e64 v105, v153
	s_cbranch_execz .LBB1044_219
.LBB1044_289:                           ;   in Loop: Header=BB1044_108 Depth=2
	v_add_co_u32 v27, s40, 0x800, v39
	v_add_co_ci_u32_e64 v28, null, 0, v40, s40
	global_load_dwordx2 v[27:28], v[27:28], off
	s_or_b32 exec_lo, exec_lo, s50
	s_mov_b32 s50, exec_lo
	v_cmpx_lt_u32_e64 v106, v153
	s_cbranch_execz .LBB1044_220
.LBB1044_290:                           ;   in Loop: Header=BB1044_108 Depth=2
	v_add_co_u32 v23, s40, 0x800, v39
	v_add_co_ci_u32_e64 v24, null, 0, v40, s40
	global_load_dwordx2 v[23:24], v[23:24], off offset:256
	s_or_b32 exec_lo, exec_lo, s50
	s_mov_b32 s50, exec_lo
	v_cmpx_lt_u32_e64 v107, v153
	s_cbranch_execz .LBB1044_221
.LBB1044_291:                           ;   in Loop: Header=BB1044_108 Depth=2
	v_add_co_u32 v19, s40, 0x800, v39
	v_add_co_ci_u32_e64 v20, null, 0, v40, s40
	global_load_dwordx2 v[19:20], v[19:20], off offset:512
	s_or_b32 exec_lo, exec_lo, s50
	s_mov_b32 s50, exec_lo
	v_cmpx_lt_u32_e64 v108, v153
	s_cbranch_execz .LBB1044_222
.LBB1044_292:                           ;   in Loop: Header=BB1044_108 Depth=2
	v_add_co_u32 v15, s40, 0x800, v39
	v_add_co_ci_u32_e64 v16, null, 0, v40, s40
	global_load_dwordx2 v[15:16], v[15:16], off offset:768
	s_or_b32 exec_lo, exec_lo, s50
	s_mov_b32 s50, exec_lo
	v_cmpx_lt_u32_e64 v126, v153
	s_cbranch_execz .LBB1044_223
.LBB1044_293:                           ;   in Loop: Header=BB1044_108 Depth=2
	v_add_co_u32 v13, s40, 0x800, v39
	v_add_co_ci_u32_e64 v14, null, 0, v40, s40
	global_load_dwordx2 v[13:14], v[13:14], off offset:1024
	s_or_b32 exec_lo, exec_lo, s50
	s_mov_b32 s50, exec_lo
	v_cmpx_lt_u32_e64 v127, v153
	s_cbranch_execz .LBB1044_224
.LBB1044_294:                           ;   in Loop: Header=BB1044_108 Depth=2
	v_add_co_u32 v11, s40, 0x800, v39
	v_add_co_ci_u32_e64 v12, null, 0, v40, s40
	global_load_dwordx2 v[11:12], v[11:12], off offset:1280
	s_or_b32 exec_lo, exec_lo, s50
	s_mov_b32 s50, exec_lo
	v_cmpx_lt_u32_e64 v128, v153
	s_cbranch_execz .LBB1044_225
.LBB1044_295:                           ;   in Loop: Header=BB1044_108 Depth=2
	v_add_co_u32 v9, s40, 0x800, v39
	v_add_co_ci_u32_e64 v10, null, 0, v40, s40
	global_load_dwordx2 v[9:10], v[9:10], off offset:1536
	s_or_b32 exec_lo, exec_lo, s50
	s_mov_b32 s50, exec_lo
	v_cmpx_lt_u32_e64 v129, v153
	s_cbranch_execz .LBB1044_226
.LBB1044_296:                           ;   in Loop: Header=BB1044_108 Depth=2
	v_add_co_u32 v7, s40, 0x800, v39
	v_add_co_ci_u32_e64 v8, null, 0, v40, s40
	global_load_dwordx2 v[7:8], v[7:8], off offset:1792
	s_or_b32 exec_lo, exec_lo, s50
	s_mov_b32 s50, exec_lo
	v_cmpx_lt_u32_e64 v130, v153
	s_cbranch_execz .LBB1044_227
.LBB1044_297:                           ;   in Loop: Header=BB1044_108 Depth=2
	v_add_co_u32 v5, s40, 0x1000, v39
	v_add_co_ci_u32_e64 v6, null, 0, v40, s40
	global_load_dwordx2 v[5:6], v[5:6], off
	s_or_b32 exec_lo, exec_lo, s50
	s_and_saveexec_b32 s40, vcc_lo
	s_cbranch_execz .LBB1044_228
.LBB1044_298:                           ;   in Loop: Header=BB1044_108 Depth=2
	ds_read_u16 v3, v74 offset:512
	s_waitcnt lgkmcnt(0)
	v_lshrrev_b32_e32 v3, s61, v3
	v_and_b32_e32 v151, s62, v3
	s_or_b32 exec_lo, exec_lo, s40
	s_and_saveexec_b32 s40, s23
	s_cbranch_execz .LBB1044_229
.LBB1044_299:                           ;   in Loop: Header=BB1044_108 Depth=2
	ds_read_u16 v3, v74 offset:1024
	s_waitcnt lgkmcnt(0)
	v_lshrrev_b32_e32 v3, s61, v3
	v_and_b32_e32 v150, s62, v3
	s_or_b32 exec_lo, exec_lo, s40
	s_and_saveexec_b32 s40, s24
	s_cbranch_execz .LBB1044_230
.LBB1044_300:                           ;   in Loop: Header=BB1044_108 Depth=2
	ds_read_u16 v3, v74 offset:1536
	s_waitcnt lgkmcnt(0)
	v_lshrrev_b32_e32 v3, s61, v3
	v_and_b32_e32 v148, s62, v3
	s_or_b32 exec_lo, exec_lo, s40
	s_and_saveexec_b32 s40, s25
	s_cbranch_execz .LBB1044_231
.LBB1044_301:                           ;   in Loop: Header=BB1044_108 Depth=2
	ds_read_u16 v3, v74 offset:2048
	s_waitcnt lgkmcnt(0)
	v_lshrrev_b32_e32 v3, s61, v3
	v_and_b32_e32 v147, s62, v3
	s_or_b32 exec_lo, exec_lo, s40
	s_and_saveexec_b32 s40, s26
	s_cbranch_execz .LBB1044_232
.LBB1044_302:                           ;   in Loop: Header=BB1044_108 Depth=2
	ds_read_u16 v3, v74 offset:2560
	s_waitcnt lgkmcnt(0)
	v_lshrrev_b32_e32 v3, s61, v3
	v_and_b32_e32 v146, s62, v3
	s_or_b32 exec_lo, exec_lo, s40
	s_and_saveexec_b32 s40, s27
	s_cbranch_execz .LBB1044_233
.LBB1044_303:                           ;   in Loop: Header=BB1044_108 Depth=2
	ds_read_u16 v3, v74 offset:3072
	s_waitcnt lgkmcnt(0)
	v_lshrrev_b32_e32 v3, s61, v3
	v_and_b32_e32 v145, s62, v3
	s_or_b32 exec_lo, exec_lo, s40
	s_and_saveexec_b32 s40, s28
	s_cbranch_execz .LBB1044_234
.LBB1044_304:                           ;   in Loop: Header=BB1044_108 Depth=2
	ds_read_u16 v3, v74 offset:3584
	s_waitcnt lgkmcnt(0)
	v_lshrrev_b32_e32 v3, s61, v3
	v_and_b32_e32 v144, s62, v3
	s_or_b32 exec_lo, exec_lo, s40
	s_and_saveexec_b32 s40, s29
	s_cbranch_execz .LBB1044_235
.LBB1044_305:                           ;   in Loop: Header=BB1044_108 Depth=2
	ds_read_u16 v3, v74 offset:4096
	s_waitcnt lgkmcnt(0)
	v_lshrrev_b32_e32 v3, s61, v3
	v_and_b32_e32 v143, s62, v3
	s_or_b32 exec_lo, exec_lo, s40
	s_and_saveexec_b32 s40, s30
	s_cbranch_execz .LBB1044_236
.LBB1044_306:                           ;   in Loop: Header=BB1044_108 Depth=2
	ds_read_u16 v3, v74 offset:4608
	s_waitcnt lgkmcnt(0)
	v_lshrrev_b32_e32 v3, s61, v3
	v_and_b32_e32 v142, s62, v3
	s_or_b32 exec_lo, exec_lo, s40
	s_and_saveexec_b32 s40, s31
	s_cbranch_execz .LBB1044_237
.LBB1044_307:                           ;   in Loop: Header=BB1044_108 Depth=2
	ds_read_u16 v3, v74 offset:5120
	s_waitcnt lgkmcnt(0)
	v_lshrrev_b32_e32 v3, s61, v3
	v_and_b32_e32 v141, s62, v3
	s_or_b32 exec_lo, exec_lo, s40
	s_and_saveexec_b32 s40, s33
	s_cbranch_execz .LBB1044_238
.LBB1044_308:                           ;   in Loop: Header=BB1044_108 Depth=2
	ds_read_u16 v3, v74 offset:5632
	s_waitcnt lgkmcnt(0)
	v_lshrrev_b32_e32 v3, s61, v3
	v_and_b32_e32 v140, s62, v3
	s_or_b32 exec_lo, exec_lo, s40
	s_and_saveexec_b32 s40, s34
	s_cbranch_execz .LBB1044_239
.LBB1044_309:                           ;   in Loop: Header=BB1044_108 Depth=2
	ds_read_u16 v3, v74 offset:6144
	s_waitcnt lgkmcnt(0)
	v_lshrrev_b32_e32 v3, s61, v3
	v_and_b32_e32 v139, s62, v3
	s_or_b32 exec_lo, exec_lo, s40
	s_and_saveexec_b32 s40, s35
	s_cbranch_execz .LBB1044_240
.LBB1044_310:                           ;   in Loop: Header=BB1044_108 Depth=2
	ds_read_u16 v3, v74 offset:6656
	s_waitcnt lgkmcnt(0)
	v_lshrrev_b32_e32 v3, s61, v3
	v_and_b32_e32 v138, s62, v3
	s_or_b32 exec_lo, exec_lo, s40
	s_and_saveexec_b32 s40, s36
	s_cbranch_execz .LBB1044_241
.LBB1044_311:                           ;   in Loop: Header=BB1044_108 Depth=2
	ds_read_u16 v3, v74 offset:7168
	s_waitcnt lgkmcnt(0)
	v_lshrrev_b32_e32 v3, s61, v3
	v_and_b32_e32 v137, s62, v3
	s_or_b32 exec_lo, exec_lo, s40
	s_and_saveexec_b32 s40, s37
	s_cbranch_execz .LBB1044_242
.LBB1044_312:                           ;   in Loop: Header=BB1044_108 Depth=2
	ds_read_u16 v3, v74 offset:7680
	s_waitcnt lgkmcnt(0)
	v_lshrrev_b32_e32 v3, s61, v3
	v_and_b32_e32 v136, s62, v3
	s_or_b32 exec_lo, exec_lo, s40
	s_and_saveexec_b32 s40, s38
	s_cbranch_execz .LBB1044_243
.LBB1044_313:                           ;   in Loop: Header=BB1044_108 Depth=2
	ds_read_u16 v3, v74 offset:8192
	s_waitcnt lgkmcnt(0)
	v_lshrrev_b32_e32 v3, s61, v3
	v_and_b32_e32 v135, s62, v3
	s_or_b32 exec_lo, exec_lo, s40
	s_and_saveexec_b32 s40, s39
	s_cbranch_execnz .LBB1044_244
	s_branch .LBB1044_245
.LBB1044_314:                           ;   in Loop: Header=BB1044_108 Depth=2
	v_lshlrev_b32_e32 v3, 2, v151
	v_add_nc_u32_e32 v39, v74, v75
	ds_read_b32 v3, v3
	ds_read_b64 v[39:40], v39 offset:512
	s_waitcnt lgkmcnt(1)
	v_add_nc_u32_e32 v3, v3, v0
	v_lshlrev_b64 v[41:42], 3, v[3:4]
	v_add_co_u32 v41, vcc_lo, s52, v41
	v_add_co_ci_u32_e64 v42, null, s53, v42, vcc_lo
	s_waitcnt lgkmcnt(0)
	global_store_dwordx2 v[41:42], v[39:40], off
	s_or_b32 exec_lo, exec_lo, s40
	s_and_saveexec_b32 s40, s23
	s_cbranch_execz .LBB1044_247
.LBB1044_315:                           ;   in Loop: Header=BB1044_108 Depth=2
	v_lshlrev_b32_e32 v3, 2, v150
	v_add_nc_u32_e32 v39, v74, v75
	ds_read_b32 v3, v3
	ds_read_b64 v[39:40], v39 offset:2560
	s_waitcnt lgkmcnt(1)
	v_add_nc_u32_e32 v3, v3, v44
	v_lshlrev_b64 v[41:42], 3, v[3:4]
	v_add_co_u32 v41, vcc_lo, s52, v41
	v_add_co_ci_u32_e64 v42, null, s53, v42, vcc_lo
	s_waitcnt lgkmcnt(0)
	global_store_dwordx2 v[41:42], v[39:40], off
	s_or_b32 exec_lo, exec_lo, s40
	s_and_saveexec_b32 s23, s24
	s_cbranch_execz .LBB1044_248
.LBB1044_316:                           ;   in Loop: Header=BB1044_108 Depth=2
	v_lshlrev_b32_e32 v3, 2, v148
	v_add_nc_u32_e32 v39, v74, v75
	ds_read_b32 v3, v3
	ds_read_b64 v[39:40], v39 offset:4608
	s_waitcnt lgkmcnt(1)
	v_add_nc_u32_e32 v3, v3, v47
	v_lshlrev_b64 v[41:42], 3, v[3:4]
	v_add_co_u32 v41, vcc_lo, s52, v41
	v_add_co_ci_u32_e64 v42, null, s53, v42, vcc_lo
	s_waitcnt lgkmcnt(0)
	global_store_dwordx2 v[41:42], v[39:40], off
	s_or_b32 exec_lo, exec_lo, s23
	s_and_saveexec_b32 s23, s25
	s_cbranch_execz .LBB1044_249
.LBB1044_317:                           ;   in Loop: Header=BB1044_108 Depth=2
	v_lshlrev_b32_e32 v3, 2, v147
	v_add_nc_u32_e32 v39, v74, v75
	ds_read_b32 v3, v3
	ds_read_b64 v[39:40], v39 offset:6656
	s_waitcnt lgkmcnt(1)
	v_add_nc_u32_e32 v3, v3, v48
	v_lshlrev_b64 v[41:42], 3, v[3:4]
	v_add_co_u32 v41, vcc_lo, s52, v41
	v_add_co_ci_u32_e64 v42, null, s53, v42, vcc_lo
	s_waitcnt lgkmcnt(0)
	global_store_dwordx2 v[41:42], v[39:40], off
	s_or_b32 exec_lo, exec_lo, s23
	s_and_saveexec_b32 s23, s26
	s_cbranch_execz .LBB1044_250
.LBB1044_318:                           ;   in Loop: Header=BB1044_108 Depth=2
	v_lshlrev_b32_e32 v3, 2, v146
	v_add_nc_u32_e32 v39, v74, v75
	ds_read_b32 v3, v3
	ds_read_b64 v[39:40], v39 offset:8704
	s_waitcnt lgkmcnt(1)
	v_add_nc_u32_e32 v3, v3, v49
	v_lshlrev_b64 v[41:42], 3, v[3:4]
	v_add_co_u32 v41, vcc_lo, s52, v41
	v_add_co_ci_u32_e64 v42, null, s53, v42, vcc_lo
	s_waitcnt lgkmcnt(0)
	global_store_dwordx2 v[41:42], v[39:40], off
	s_or_b32 exec_lo, exec_lo, s23
	s_and_saveexec_b32 s23, s27
	s_cbranch_execz .LBB1044_251
.LBB1044_319:                           ;   in Loop: Header=BB1044_108 Depth=2
	v_lshlrev_b32_e32 v3, 2, v145
	v_add_nc_u32_e32 v39, v74, v75
	ds_read_b32 v3, v3
	ds_read_b64 v[39:40], v39 offset:10752
	s_waitcnt lgkmcnt(1)
	v_add_nc_u32_e32 v3, v3, v50
	v_lshlrev_b64 v[41:42], 3, v[3:4]
	v_add_co_u32 v41, vcc_lo, s52, v41
	v_add_co_ci_u32_e64 v42, null, s53, v42, vcc_lo
	s_waitcnt lgkmcnt(0)
	global_store_dwordx2 v[41:42], v[39:40], off
	s_or_b32 exec_lo, exec_lo, s23
	s_and_saveexec_b32 s23, s28
	s_cbranch_execz .LBB1044_252
.LBB1044_320:                           ;   in Loop: Header=BB1044_108 Depth=2
	v_lshlrev_b32_e32 v3, 2, v144
	v_add_nc_u32_e32 v39, v74, v75
	ds_read_b32 v3, v3
	ds_read_b64 v[39:40], v39 offset:12800
	s_waitcnt lgkmcnt(1)
	v_add_nc_u32_e32 v3, v3, v51
	v_lshlrev_b64 v[41:42], 3, v[3:4]
	v_add_co_u32 v41, vcc_lo, s52, v41
	v_add_co_ci_u32_e64 v42, null, s53, v42, vcc_lo
	s_waitcnt lgkmcnt(0)
	global_store_dwordx2 v[41:42], v[39:40], off
	s_or_b32 exec_lo, exec_lo, s23
	s_and_saveexec_b32 s23, s29
	s_cbranch_execz .LBB1044_253
.LBB1044_321:                           ;   in Loop: Header=BB1044_108 Depth=2
	v_lshlrev_b32_e32 v3, 2, v143
	v_add_nc_u32_e32 v39, v74, v75
	ds_read_b32 v3, v3
	ds_read_b64 v[39:40], v39 offset:14848
	s_waitcnt lgkmcnt(1)
	v_add_nc_u32_e32 v3, v3, v52
	v_lshlrev_b64 v[41:42], 3, v[3:4]
	v_add_co_u32 v41, vcc_lo, s52, v41
	v_add_co_ci_u32_e64 v42, null, s53, v42, vcc_lo
	s_waitcnt lgkmcnt(0)
	global_store_dwordx2 v[41:42], v[39:40], off
	s_or_b32 exec_lo, exec_lo, s23
	s_and_saveexec_b32 s23, s30
	s_cbranch_execz .LBB1044_254
.LBB1044_322:                           ;   in Loop: Header=BB1044_108 Depth=2
	v_lshlrev_b32_e32 v3, 2, v142
	v_add_nc_u32_e32 v39, v74, v75
	ds_read_b32 v3, v3
	ds_read_b64 v[39:40], v39 offset:16896
	s_waitcnt lgkmcnt(1)
	v_add_nc_u32_e32 v3, v3, v53
	v_lshlrev_b64 v[41:42], 3, v[3:4]
	v_add_co_u32 v41, vcc_lo, s52, v41
	v_add_co_ci_u32_e64 v42, null, s53, v42, vcc_lo
	s_waitcnt lgkmcnt(0)
	global_store_dwordx2 v[41:42], v[39:40], off
	s_or_b32 exec_lo, exec_lo, s23
	s_and_saveexec_b32 s23, s31
	s_cbranch_execz .LBB1044_255
.LBB1044_323:                           ;   in Loop: Header=BB1044_108 Depth=2
	v_lshlrev_b32_e32 v3, 2, v141
	v_add_nc_u32_e32 v39, v74, v75
	ds_read_b32 v3, v3
	ds_read_b64 v[39:40], v39 offset:18944
	s_waitcnt lgkmcnt(1)
	v_add_nc_u32_e32 v3, v3, v54
	v_lshlrev_b64 v[41:42], 3, v[3:4]
	v_add_co_u32 v41, vcc_lo, s52, v41
	v_add_co_ci_u32_e64 v42, null, s53, v42, vcc_lo
	s_waitcnt lgkmcnt(0)
	global_store_dwordx2 v[41:42], v[39:40], off
	s_or_b32 exec_lo, exec_lo, s23
	s_and_saveexec_b32 s23, s33
	s_cbranch_execz .LBB1044_256
.LBB1044_324:                           ;   in Loop: Header=BB1044_108 Depth=2
	v_lshlrev_b32_e32 v3, 2, v140
	v_add_nc_u32_e32 v39, v74, v75
	ds_read_b32 v3, v3
	ds_read_b64 v[39:40], v39 offset:20992
	s_waitcnt lgkmcnt(1)
	v_add_nc_u32_e32 v3, v3, v55
	v_lshlrev_b64 v[41:42], 3, v[3:4]
	v_add_co_u32 v41, vcc_lo, s52, v41
	v_add_co_ci_u32_e64 v42, null, s53, v42, vcc_lo
	s_waitcnt lgkmcnt(0)
	global_store_dwordx2 v[41:42], v[39:40], off
	s_or_b32 exec_lo, exec_lo, s23
	s_and_saveexec_b32 s23, s34
	s_cbranch_execz .LBB1044_257
.LBB1044_325:                           ;   in Loop: Header=BB1044_108 Depth=2
	v_lshlrev_b32_e32 v3, 2, v139
	v_add_nc_u32_e32 v39, v74, v75
	ds_read_b32 v3, v3
	ds_read_b64 v[39:40], v39 offset:23040
	s_waitcnt lgkmcnt(1)
	v_add_nc_u32_e32 v3, v3, v56
	v_lshlrev_b64 v[41:42], 3, v[3:4]
	v_add_co_u32 v41, vcc_lo, s52, v41
	v_add_co_ci_u32_e64 v42, null, s53, v42, vcc_lo
	s_waitcnt lgkmcnt(0)
	global_store_dwordx2 v[41:42], v[39:40], off
	s_or_b32 exec_lo, exec_lo, s23
	s_and_saveexec_b32 s23, s35
	s_cbranch_execz .LBB1044_258
.LBB1044_326:                           ;   in Loop: Header=BB1044_108 Depth=2
	v_lshlrev_b32_e32 v3, 2, v138
	v_add_nc_u32_e32 v39, v74, v75
	ds_read_b32 v3, v3
	ds_read_b64 v[39:40], v39 offset:25088
	s_waitcnt lgkmcnt(1)
	v_add_nc_u32_e32 v3, v3, v57
	v_lshlrev_b64 v[41:42], 3, v[3:4]
	v_add_co_u32 v41, vcc_lo, s52, v41
	v_add_co_ci_u32_e64 v42, null, s53, v42, vcc_lo
	s_waitcnt lgkmcnt(0)
	global_store_dwordx2 v[41:42], v[39:40], off
	s_or_b32 exec_lo, exec_lo, s23
	s_and_saveexec_b32 s23, s36
	s_cbranch_execz .LBB1044_259
.LBB1044_327:                           ;   in Loop: Header=BB1044_108 Depth=2
	v_lshlrev_b32_e32 v3, 2, v137
	v_add_nc_u32_e32 v39, v74, v75
	ds_read_b32 v3, v3
	ds_read_b64 v[39:40], v39 offset:27136
	s_waitcnt lgkmcnt(1)
	v_add_nc_u32_e32 v3, v3, v58
	v_lshlrev_b64 v[41:42], 3, v[3:4]
	v_add_co_u32 v41, vcc_lo, s52, v41
	v_add_co_ci_u32_e64 v42, null, s53, v42, vcc_lo
	s_waitcnt lgkmcnt(0)
	global_store_dwordx2 v[41:42], v[39:40], off
	s_or_b32 exec_lo, exec_lo, s23
	s_and_saveexec_b32 s23, s37
	s_cbranch_execz .LBB1044_260
.LBB1044_328:                           ;   in Loop: Header=BB1044_108 Depth=2
	v_lshlrev_b32_e32 v3, 2, v136
	v_add_nc_u32_e32 v39, v74, v75
	ds_read_b32 v3, v3
	ds_read_b64 v[39:40], v39 offset:29184
	s_waitcnt lgkmcnt(1)
	v_add_nc_u32_e32 v3, v3, v59
	v_lshlrev_b64 v[41:42], 3, v[3:4]
	v_add_co_u32 v41, vcc_lo, s52, v41
	v_add_co_ci_u32_e64 v42, null, s53, v42, vcc_lo
	s_waitcnt lgkmcnt(0)
	global_store_dwordx2 v[41:42], v[39:40], off
	s_or_b32 exec_lo, exec_lo, s23
	s_and_saveexec_b32 s23, s38
	s_cbranch_execz .LBB1044_261
.LBB1044_329:                           ;   in Loop: Header=BB1044_108 Depth=2
	v_lshlrev_b32_e32 v3, 2, v135
	v_add_nc_u32_e32 v39, v74, v75
	ds_read_b32 v3, v3
	ds_read_b64 v[39:40], v39 offset:31232
	s_waitcnt lgkmcnt(1)
	v_add_nc_u32_e32 v3, v3, v60
	v_lshlrev_b64 v[41:42], 3, v[3:4]
	v_add_co_u32 v41, vcc_lo, s52, v41
	v_add_co_ci_u32_e64 v42, null, s53, v42, vcc_lo
	s_waitcnt lgkmcnt(0)
	global_store_dwordx2 v[41:42], v[39:40], off
	s_or_b32 exec_lo, exec_lo, s23
	s_and_saveexec_b32 s23, s39
	s_cbranch_execnz .LBB1044_262
	s_branch .LBB1044_263
.LBB1044_330:                           ;   in Loop: Header=BB1044_20 Depth=1
	s_waitcnt lgkmcnt(0)
	s_mov_b32 s5, 0
	s_barrier
.LBB1044_331:                           ;   in Loop: Header=BB1044_20 Depth=1
	s_and_b32 vcc_lo, exec_lo, s5
	s_cbranch_vccz .LBB1044_641
; %bb.332:                              ;   in Loop: Header=BB1044_20 Depth=1
	s_mov_b32 s5, s60
	s_mov_b32 s50, s58
	s_barrier
	buffer_gl0_inv
                                        ; implicit-def: $vgpr3
                                        ; implicit-def: $vgpr5
                                        ; implicit-def: $vgpr6
                                        ; implicit-def: $vgpr7
                                        ; implicit-def: $vgpr8
                                        ; implicit-def: $vgpr9
                                        ; implicit-def: $vgpr10
                                        ; implicit-def: $vgpr11
                                        ; implicit-def: $vgpr12
                                        ; implicit-def: $vgpr13
                                        ; implicit-def: $vgpr14
                                        ; implicit-def: $vgpr15
                                        ; implicit-def: $vgpr16
                                        ; implicit-def: $vgpr17
                                        ; implicit-def: $vgpr18
                                        ; implicit-def: $vgpr19
                                        ; implicit-def: $vgpr20
	s_branch .LBB1044_334
.LBB1044_333:                           ;   in Loop: Header=BB1044_334 Depth=2
	s_or_b32 exec_lo, exec_lo, s16
	s_addk_i32 s5, 0xef00
	s_cmp_ge_u32 s18, s59
	s_mov_b32 s50, s18
	s_cbranch_scc1 .LBB1044_406
.LBB1044_334:                           ;   Parent Loop BB1044_20 Depth=1
                                        ; =>  This Inner Loop Header: Depth=2
	s_add_i32 s18, s50, 0x1100
	s_mov_b32 s16, -1
	s_cmp_gt_u32 s18, s59
                                        ; implicit-def: $vgpr21
                                        ; implicit-def: $vgpr22
                                        ; implicit-def: $vgpr23
                                        ; implicit-def: $vgpr24
                                        ; implicit-def: $vgpr28
                                        ; implicit-def: $vgpr25
                                        ; implicit-def: $vgpr26
                                        ; implicit-def: $vgpr27
                                        ; implicit-def: $vgpr30
                                        ; implicit-def: $vgpr29
                                        ; implicit-def: $vgpr31
                                        ; implicit-def: $vgpr32
                                        ; implicit-def: $vgpr33
                                        ; implicit-def: $vgpr34
                                        ; implicit-def: $vgpr35
                                        ; implicit-def: $vgpr36
                                        ; implicit-def: $vgpr37
	s_cbranch_scc1 .LBB1044_336
; %bb.335:                              ;   in Loop: Header=BB1044_334 Depth=2
	s_lshl_b64 s[16:17], s[50:51], 1
	v_add_co_u32 v30, vcc_lo, v76, s16
	v_add_co_ci_u32_e64 v31, null, s17, v77, vcc_lo
	s_mov_b32 s16, 0
	v_add_co_u32 v27, vcc_lo, 0x800, v30
	v_add_co_ci_u32_e64 v28, null, 0, v31, vcc_lo
	v_add_co_u32 v32, vcc_lo, v30, 0x1000
	v_add_co_ci_u32_e64 v33, null, 0, v31, vcc_lo
	;; [unrolled: 2-line block ×5, first 2 shown]
	s_clause 0x10
	global_load_ushort v21, v[30:31], off
	global_load_ushort v22, v[30:31], off offset:512
	global_load_ushort v23, v[30:31], off offset:1024
	;; [unrolled: 1-line block ×7, first 2 shown]
	global_load_ushort v28, v[32:33], off offset:-2048
	global_load_ushort v30, v[32:33], off
	global_load_ushort v31, v[34:35], off offset:1024
	global_load_ushort v32, v[34:35], off offset:1536
	global_load_ushort v33, v[38:39], off offset:-2048
	global_load_ushort v34, v[36:37], off offset:512
	global_load_ushort v35, v[36:37], off offset:1024
	;; [unrolled: 1-line block ×3, first 2 shown]
	global_load_ushort v37, v[38:39], off
.LBB1044_336:                           ;   in Loop: Header=BB1044_334 Depth=2
	s_andn2_b32 vcc_lo, exec_lo, s16
	s_movk_i32 s16, 0x1100
	s_cbranch_vccnz .LBB1044_356
; %bb.337:                              ;   in Loop: Header=BB1044_334 Depth=2
	s_lshl_b64 s[16:17], s[50:51], 1
	s_mov_b32 s19, exec_lo
	s_add_u32 s16, s46, s16
	s_addc_u32 s17, s47, s17
	v_cmpx_gt_u32_e64 s5, v0
	s_cbranch_execnz .LBB1044_390
; %bb.338:                              ;   in Loop: Header=BB1044_334 Depth=2
	s_or_b32 exec_lo, exec_lo, s19
	s_mov_b32 s19, exec_lo
	v_cmpx_gt_u32_e64 s5, v44
	s_cbranch_execnz .LBB1044_391
.LBB1044_339:                           ;   in Loop: Header=BB1044_334 Depth=2
	s_or_b32 exec_lo, exec_lo, s19
	s_mov_b32 s19, exec_lo
	v_cmpx_gt_u32_e64 s5, v47
	s_cbranch_execnz .LBB1044_392
.LBB1044_340:                           ;   in Loop: Header=BB1044_334 Depth=2
	s_or_b32 exec_lo, exec_lo, s19
	s_mov_b32 s19, exec_lo
	v_cmpx_gt_u32_e64 s5, v48
	s_cbranch_execnz .LBB1044_393
.LBB1044_341:                           ;   in Loop: Header=BB1044_334 Depth=2
	s_or_b32 exec_lo, exec_lo, s19
	s_mov_b32 s19, exec_lo
	v_cmpx_gt_u32_e64 s5, v49
	s_cbranch_execnz .LBB1044_394
.LBB1044_342:                           ;   in Loop: Header=BB1044_334 Depth=2
	s_or_b32 exec_lo, exec_lo, s19
	s_mov_b32 s19, exec_lo
	v_cmpx_gt_u32_e64 s5, v50
	s_cbranch_execnz .LBB1044_395
.LBB1044_343:                           ;   in Loop: Header=BB1044_334 Depth=2
	s_or_b32 exec_lo, exec_lo, s19
	s_mov_b32 s19, exec_lo
	v_cmpx_gt_u32_e64 s5, v51
	s_cbranch_execnz .LBB1044_396
.LBB1044_344:                           ;   in Loop: Header=BB1044_334 Depth=2
	s_or_b32 exec_lo, exec_lo, s19
	s_mov_b32 s19, exec_lo
	v_cmpx_gt_u32_e64 s5, v52
	s_cbranch_execnz .LBB1044_397
.LBB1044_345:                           ;   in Loop: Header=BB1044_334 Depth=2
	s_or_b32 exec_lo, exec_lo, s19
	s_mov_b32 s19, exec_lo
	v_cmpx_gt_u32_e64 s5, v53
	s_cbranch_execnz .LBB1044_398
.LBB1044_346:                           ;   in Loop: Header=BB1044_334 Depth=2
	s_or_b32 exec_lo, exec_lo, s19
	s_mov_b32 s19, exec_lo
	v_cmpx_gt_u32_e64 s5, v54
	s_cbranch_execnz .LBB1044_399
.LBB1044_347:                           ;   in Loop: Header=BB1044_334 Depth=2
	s_or_b32 exec_lo, exec_lo, s19
	s_mov_b32 s19, exec_lo
	v_cmpx_gt_u32_e64 s5, v55
	s_cbranch_execnz .LBB1044_400
.LBB1044_348:                           ;   in Loop: Header=BB1044_334 Depth=2
	s_or_b32 exec_lo, exec_lo, s19
	s_mov_b32 s19, exec_lo
	v_cmpx_gt_u32_e64 s5, v56
	s_cbranch_execnz .LBB1044_401
.LBB1044_349:                           ;   in Loop: Header=BB1044_334 Depth=2
	s_or_b32 exec_lo, exec_lo, s19
	s_mov_b32 s19, exec_lo
	v_cmpx_gt_u32_e64 s5, v57
	s_cbranch_execnz .LBB1044_402
.LBB1044_350:                           ;   in Loop: Header=BB1044_334 Depth=2
	s_or_b32 exec_lo, exec_lo, s19
	s_mov_b32 s19, exec_lo
	v_cmpx_gt_u32_e64 s5, v58
	s_cbranch_execnz .LBB1044_403
.LBB1044_351:                           ;   in Loop: Header=BB1044_334 Depth=2
	s_or_b32 exec_lo, exec_lo, s19
	s_mov_b32 s19, exec_lo
	v_cmpx_gt_u32_e64 s5, v59
	s_cbranch_execnz .LBB1044_404
.LBB1044_352:                           ;   in Loop: Header=BB1044_334 Depth=2
	s_or_b32 exec_lo, exec_lo, s19
	s_mov_b32 s19, exec_lo
	v_cmpx_gt_u32_e64 s5, v60
	s_cbranch_execnz .LBB1044_405
.LBB1044_353:                           ;   in Loop: Header=BB1044_334 Depth=2
	s_or_b32 exec_lo, exec_lo, s19
	s_mov_b32 s19, exec_lo
	v_cmpx_gt_u32_e64 s5, v61
	s_cbranch_execz .LBB1044_355
.LBB1044_354:                           ;   in Loop: Header=BB1044_334 Depth=2
	global_load_ushort v3, v122, s[16:17]
.LBB1044_355:                           ;   in Loop: Header=BB1044_334 Depth=2
	s_or_b32 exec_lo, exec_lo, s19
	s_waitcnt vmcnt(0)
	v_mov_b32_e32 v21, v20
	v_mov_b32_e32 v22, v19
	;; [unrolled: 1-line block ×17, first 2 shown]
	s_mov_b32 s16, s5
.LBB1044_356:                           ;   in Loop: Header=BB1044_334 Depth=2
	s_waitcnt vmcnt(0)
	v_mov_b32_e32 v3, v37
	v_mov_b32_e32 v5, v36
	;; [unrolled: 1-line block ×17, first 2 shown]
	s_mov_b32 s17, exec_lo
	v_cmpx_gt_u32_e64 s16, v0
	s_cbranch_execnz .LBB1044_373
; %bb.357:                              ;   in Loop: Header=BB1044_334 Depth=2
	s_or_b32 exec_lo, exec_lo, s17
	s_mov_b32 s17, exec_lo
	v_cmpx_gt_u32_e64 s16, v44
	s_cbranch_execnz .LBB1044_374
.LBB1044_358:                           ;   in Loop: Header=BB1044_334 Depth=2
	s_or_b32 exec_lo, exec_lo, s17
	s_mov_b32 s17, exec_lo
	v_cmpx_gt_u32_e64 s16, v47
	s_cbranch_execnz .LBB1044_375
.LBB1044_359:                           ;   in Loop: Header=BB1044_334 Depth=2
	s_or_b32 exec_lo, exec_lo, s17
	s_mov_b32 s17, exec_lo
	v_cmpx_gt_u32_e64 s16, v48
	s_cbranch_execnz .LBB1044_376
.LBB1044_360:                           ;   in Loop: Header=BB1044_334 Depth=2
	s_or_b32 exec_lo, exec_lo, s17
	s_mov_b32 s17, exec_lo
	v_cmpx_gt_u32_e64 s16, v49
	s_cbranch_execnz .LBB1044_377
.LBB1044_361:                           ;   in Loop: Header=BB1044_334 Depth=2
	s_or_b32 exec_lo, exec_lo, s17
	s_mov_b32 s17, exec_lo
	v_cmpx_gt_u32_e64 s16, v50
	s_cbranch_execnz .LBB1044_378
.LBB1044_362:                           ;   in Loop: Header=BB1044_334 Depth=2
	s_or_b32 exec_lo, exec_lo, s17
	s_mov_b32 s17, exec_lo
	v_cmpx_gt_u32_e64 s16, v51
	s_cbranch_execnz .LBB1044_379
.LBB1044_363:                           ;   in Loop: Header=BB1044_334 Depth=2
	s_or_b32 exec_lo, exec_lo, s17
	s_mov_b32 s17, exec_lo
	v_cmpx_gt_u32_e64 s16, v52
	s_cbranch_execnz .LBB1044_380
.LBB1044_364:                           ;   in Loop: Header=BB1044_334 Depth=2
	s_or_b32 exec_lo, exec_lo, s17
	s_mov_b32 s17, exec_lo
	v_cmpx_gt_u32_e64 s16, v53
	s_cbranch_execnz .LBB1044_381
.LBB1044_365:                           ;   in Loop: Header=BB1044_334 Depth=2
	s_or_b32 exec_lo, exec_lo, s17
	s_mov_b32 s17, exec_lo
	v_cmpx_gt_u32_e64 s16, v54
	s_cbranch_execnz .LBB1044_382
.LBB1044_366:                           ;   in Loop: Header=BB1044_334 Depth=2
	s_or_b32 exec_lo, exec_lo, s17
	s_mov_b32 s17, exec_lo
	v_cmpx_gt_u32_e64 s16, v55
	s_cbranch_execnz .LBB1044_383
.LBB1044_367:                           ;   in Loop: Header=BB1044_334 Depth=2
	s_or_b32 exec_lo, exec_lo, s17
	s_mov_b32 s17, exec_lo
	v_cmpx_gt_u32_e64 s16, v56
	s_cbranch_execnz .LBB1044_384
.LBB1044_368:                           ;   in Loop: Header=BB1044_334 Depth=2
	s_or_b32 exec_lo, exec_lo, s17
	s_mov_b32 s17, exec_lo
	v_cmpx_gt_u32_e64 s16, v57
	s_cbranch_execnz .LBB1044_385
.LBB1044_369:                           ;   in Loop: Header=BB1044_334 Depth=2
	s_or_b32 exec_lo, exec_lo, s17
	s_mov_b32 s17, exec_lo
	v_cmpx_gt_u32_e64 s16, v58
	s_cbranch_execnz .LBB1044_386
.LBB1044_370:                           ;   in Loop: Header=BB1044_334 Depth=2
	s_or_b32 exec_lo, exec_lo, s17
	s_mov_b32 s17, exec_lo
	v_cmpx_gt_u32_e64 s16, v59
	s_cbranch_execnz .LBB1044_387
.LBB1044_371:                           ;   in Loop: Header=BB1044_334 Depth=2
	s_or_b32 exec_lo, exec_lo, s17
	s_mov_b32 s17, exec_lo
	v_cmpx_gt_u32_e64 s16, v60
	s_cbranch_execnz .LBB1044_388
.LBB1044_372:                           ;   in Loop: Header=BB1044_334 Depth=2
	s_or_b32 exec_lo, exec_lo, s17
	v_cmp_gt_u32_e32 vcc_lo, s16, v61
	s_and_saveexec_b32 s16, vcc_lo
	s_cbranch_execz .LBB1044_333
	s_branch .LBB1044_389
.LBB1044_373:                           ;   in Loop: Header=BB1044_334 Depth=2
	v_xor_b32_e32 v21, 0xffff8000, v20
	v_lshrrev_b32_sdwa v21, s61, v21 dst_sel:DWORD dst_unused:UNUSED_PAD src0_sel:DWORD src1_sel:WORD_0
	v_and_b32_e32 v21, s62, v21
	v_lshl_or_b32 v21, v21, 4, v63
	ds_add_u32 v21, v89
	s_or_b32 exec_lo, exec_lo, s17
	s_mov_b32 s17, exec_lo
	v_cmpx_gt_u32_e64 s16, v44
	s_cbranch_execz .LBB1044_358
.LBB1044_374:                           ;   in Loop: Header=BB1044_334 Depth=2
	v_xor_b32_e32 v21, 0xffff8000, v19
	v_lshrrev_b32_sdwa v21, s61, v21 dst_sel:DWORD dst_unused:UNUSED_PAD src0_sel:DWORD src1_sel:WORD_0
	v_and_b32_e32 v21, s62, v21
	v_lshl_or_b32 v21, v21, 4, v63
	ds_add_u32 v21, v89
	s_or_b32 exec_lo, exec_lo, s17
	s_mov_b32 s17, exec_lo
	v_cmpx_gt_u32_e64 s16, v47
	s_cbranch_execz .LBB1044_359
.LBB1044_375:                           ;   in Loop: Header=BB1044_334 Depth=2
	v_xor_b32_e32 v21, 0xffff8000, v18
	v_lshrrev_b32_sdwa v21, s61, v21 dst_sel:DWORD dst_unused:UNUSED_PAD src0_sel:DWORD src1_sel:WORD_0
	v_and_b32_e32 v21, s62, v21
	v_lshl_or_b32 v21, v21, 4, v63
	ds_add_u32 v21, v89
	s_or_b32 exec_lo, exec_lo, s17
	s_mov_b32 s17, exec_lo
	v_cmpx_gt_u32_e64 s16, v48
	s_cbranch_execz .LBB1044_360
.LBB1044_376:                           ;   in Loop: Header=BB1044_334 Depth=2
	v_xor_b32_e32 v21, 0xffff8000, v17
	v_lshrrev_b32_sdwa v21, s61, v21 dst_sel:DWORD dst_unused:UNUSED_PAD src0_sel:DWORD src1_sel:WORD_0
	v_and_b32_e32 v21, s62, v21
	v_lshl_or_b32 v21, v21, 4, v63
	ds_add_u32 v21, v89
	s_or_b32 exec_lo, exec_lo, s17
	s_mov_b32 s17, exec_lo
	v_cmpx_gt_u32_e64 s16, v49
	s_cbranch_execz .LBB1044_361
.LBB1044_377:                           ;   in Loop: Header=BB1044_334 Depth=2
	v_xor_b32_e32 v21, 0xffff8000, v16
	v_lshrrev_b32_sdwa v21, s61, v21 dst_sel:DWORD dst_unused:UNUSED_PAD src0_sel:DWORD src1_sel:WORD_0
	v_and_b32_e32 v21, s62, v21
	v_lshl_or_b32 v21, v21, 4, v63
	ds_add_u32 v21, v89
	s_or_b32 exec_lo, exec_lo, s17
	s_mov_b32 s17, exec_lo
	v_cmpx_gt_u32_e64 s16, v50
	s_cbranch_execz .LBB1044_362
.LBB1044_378:                           ;   in Loop: Header=BB1044_334 Depth=2
	v_xor_b32_e32 v21, 0xffff8000, v15
	v_lshrrev_b32_sdwa v21, s61, v21 dst_sel:DWORD dst_unused:UNUSED_PAD src0_sel:DWORD src1_sel:WORD_0
	v_and_b32_e32 v21, s62, v21
	v_lshl_or_b32 v21, v21, 4, v63
	ds_add_u32 v21, v89
	s_or_b32 exec_lo, exec_lo, s17
	s_mov_b32 s17, exec_lo
	v_cmpx_gt_u32_e64 s16, v51
	s_cbranch_execz .LBB1044_363
.LBB1044_379:                           ;   in Loop: Header=BB1044_334 Depth=2
	v_xor_b32_e32 v21, 0xffff8000, v14
	v_lshrrev_b32_sdwa v21, s61, v21 dst_sel:DWORD dst_unused:UNUSED_PAD src0_sel:DWORD src1_sel:WORD_0
	v_and_b32_e32 v21, s62, v21
	v_lshl_or_b32 v21, v21, 4, v63
	ds_add_u32 v21, v89
	s_or_b32 exec_lo, exec_lo, s17
	s_mov_b32 s17, exec_lo
	v_cmpx_gt_u32_e64 s16, v52
	s_cbranch_execz .LBB1044_364
.LBB1044_380:                           ;   in Loop: Header=BB1044_334 Depth=2
	v_xor_b32_e32 v21, 0xffff8000, v13
	v_lshrrev_b32_sdwa v21, s61, v21 dst_sel:DWORD dst_unused:UNUSED_PAD src0_sel:DWORD src1_sel:WORD_0
	v_and_b32_e32 v21, s62, v21
	v_lshl_or_b32 v21, v21, 4, v63
	ds_add_u32 v21, v89
	s_or_b32 exec_lo, exec_lo, s17
	s_mov_b32 s17, exec_lo
	v_cmpx_gt_u32_e64 s16, v53
	s_cbranch_execz .LBB1044_365
.LBB1044_381:                           ;   in Loop: Header=BB1044_334 Depth=2
	v_xor_b32_e32 v21, 0xffff8000, v12
	v_lshrrev_b32_sdwa v21, s61, v21 dst_sel:DWORD dst_unused:UNUSED_PAD src0_sel:DWORD src1_sel:WORD_0
	v_and_b32_e32 v21, s62, v21
	v_lshl_or_b32 v21, v21, 4, v63
	ds_add_u32 v21, v89
	s_or_b32 exec_lo, exec_lo, s17
	s_mov_b32 s17, exec_lo
	v_cmpx_gt_u32_e64 s16, v54
	s_cbranch_execz .LBB1044_366
.LBB1044_382:                           ;   in Loop: Header=BB1044_334 Depth=2
	v_xor_b32_e32 v21, 0xffff8000, v11
	v_lshrrev_b32_sdwa v21, s61, v21 dst_sel:DWORD dst_unused:UNUSED_PAD src0_sel:DWORD src1_sel:WORD_0
	v_and_b32_e32 v21, s62, v21
	v_lshl_or_b32 v21, v21, 4, v63
	ds_add_u32 v21, v89
	s_or_b32 exec_lo, exec_lo, s17
	s_mov_b32 s17, exec_lo
	v_cmpx_gt_u32_e64 s16, v55
	s_cbranch_execz .LBB1044_367
.LBB1044_383:                           ;   in Loop: Header=BB1044_334 Depth=2
	v_xor_b32_e32 v21, 0xffff8000, v10
	v_lshrrev_b32_sdwa v21, s61, v21 dst_sel:DWORD dst_unused:UNUSED_PAD src0_sel:DWORD src1_sel:WORD_0
	v_and_b32_e32 v21, s62, v21
	v_lshl_or_b32 v21, v21, 4, v63
	ds_add_u32 v21, v89
	s_or_b32 exec_lo, exec_lo, s17
	s_mov_b32 s17, exec_lo
	v_cmpx_gt_u32_e64 s16, v56
	s_cbranch_execz .LBB1044_368
.LBB1044_384:                           ;   in Loop: Header=BB1044_334 Depth=2
	v_xor_b32_e32 v21, 0xffff8000, v9
	v_lshrrev_b32_sdwa v21, s61, v21 dst_sel:DWORD dst_unused:UNUSED_PAD src0_sel:DWORD src1_sel:WORD_0
	v_and_b32_e32 v21, s62, v21
	v_lshl_or_b32 v21, v21, 4, v63
	ds_add_u32 v21, v89
	s_or_b32 exec_lo, exec_lo, s17
	s_mov_b32 s17, exec_lo
	v_cmpx_gt_u32_e64 s16, v57
	s_cbranch_execz .LBB1044_369
.LBB1044_385:                           ;   in Loop: Header=BB1044_334 Depth=2
	v_xor_b32_e32 v21, 0xffff8000, v8
	v_lshrrev_b32_sdwa v21, s61, v21 dst_sel:DWORD dst_unused:UNUSED_PAD src0_sel:DWORD src1_sel:WORD_0
	v_and_b32_e32 v21, s62, v21
	v_lshl_or_b32 v21, v21, 4, v63
	ds_add_u32 v21, v89
	s_or_b32 exec_lo, exec_lo, s17
	s_mov_b32 s17, exec_lo
	v_cmpx_gt_u32_e64 s16, v58
	s_cbranch_execz .LBB1044_370
.LBB1044_386:                           ;   in Loop: Header=BB1044_334 Depth=2
	v_xor_b32_e32 v21, 0xffff8000, v7
	v_lshrrev_b32_sdwa v21, s61, v21 dst_sel:DWORD dst_unused:UNUSED_PAD src0_sel:DWORD src1_sel:WORD_0
	v_and_b32_e32 v21, s62, v21
	v_lshl_or_b32 v21, v21, 4, v63
	ds_add_u32 v21, v89
	s_or_b32 exec_lo, exec_lo, s17
	s_mov_b32 s17, exec_lo
	v_cmpx_gt_u32_e64 s16, v59
	s_cbranch_execz .LBB1044_371
.LBB1044_387:                           ;   in Loop: Header=BB1044_334 Depth=2
	v_xor_b32_e32 v21, 0xffff8000, v6
	v_lshrrev_b32_sdwa v21, s61, v21 dst_sel:DWORD dst_unused:UNUSED_PAD src0_sel:DWORD src1_sel:WORD_0
	v_and_b32_e32 v21, s62, v21
	v_lshl_or_b32 v21, v21, 4, v63
	ds_add_u32 v21, v89
	s_or_b32 exec_lo, exec_lo, s17
	s_mov_b32 s17, exec_lo
	v_cmpx_gt_u32_e64 s16, v60
	s_cbranch_execz .LBB1044_372
.LBB1044_388:                           ;   in Loop: Header=BB1044_334 Depth=2
	v_xor_b32_e32 v21, 0xffff8000, v5
	v_lshrrev_b32_sdwa v21, s61, v21 dst_sel:DWORD dst_unused:UNUSED_PAD src0_sel:DWORD src1_sel:WORD_0
	v_and_b32_e32 v21, s62, v21
	v_lshl_or_b32 v21, v21, 4, v63
	ds_add_u32 v21, v89
	s_or_b32 exec_lo, exec_lo, s17
	v_cmp_gt_u32_e32 vcc_lo, s16, v61
	s_and_saveexec_b32 s16, vcc_lo
	s_cbranch_execz .LBB1044_333
.LBB1044_389:                           ;   in Loop: Header=BB1044_334 Depth=2
	v_xor_b32_e32 v21, 0xffff8000, v3
	v_lshrrev_b32_sdwa v21, s61, v21 dst_sel:DWORD dst_unused:UNUSED_PAD src0_sel:DWORD src1_sel:WORD_0
	v_and_b32_e32 v21, s62, v21
	v_lshl_or_b32 v21, v21, 4, v63
	ds_add_u32 v21, v89
	s_branch .LBB1044_333
.LBB1044_390:                           ;   in Loop: Header=BB1044_334 Depth=2
	global_load_ushort v20, v109, s[16:17]
	s_or_b32 exec_lo, exec_lo, s19
	s_mov_b32 s19, exec_lo
	v_cmpx_gt_u32_e64 s5, v44
	s_cbranch_execz .LBB1044_339
.LBB1044_391:                           ;   in Loop: Header=BB1044_334 Depth=2
	global_load_ushort v19, v109, s[16:17] offset:512
	s_or_b32 exec_lo, exec_lo, s19
	s_mov_b32 s19, exec_lo
	v_cmpx_gt_u32_e64 s5, v47
	s_cbranch_execz .LBB1044_340
.LBB1044_392:                           ;   in Loop: Header=BB1044_334 Depth=2
	global_load_ushort v18, v109, s[16:17] offset:1024
	s_or_b32 exec_lo, exec_lo, s19
	s_mov_b32 s19, exec_lo
	v_cmpx_gt_u32_e64 s5, v48
	s_cbranch_execz .LBB1044_341
.LBB1044_393:                           ;   in Loop: Header=BB1044_334 Depth=2
	global_load_ushort v17, v109, s[16:17] offset:1536
	s_or_b32 exec_lo, exec_lo, s19
	s_mov_b32 s19, exec_lo
	v_cmpx_gt_u32_e64 s5, v49
	s_cbranch_execz .LBB1044_342
.LBB1044_394:                           ;   in Loop: Header=BB1044_334 Depth=2
	global_load_ushort v16, v110, s[16:17]
	s_or_b32 exec_lo, exec_lo, s19
	s_mov_b32 s19, exec_lo
	v_cmpx_gt_u32_e64 s5, v50
	s_cbranch_execz .LBB1044_343
.LBB1044_395:                           ;   in Loop: Header=BB1044_334 Depth=2
	global_load_ushort v15, v111, s[16:17]
	s_or_b32 exec_lo, exec_lo, s19
	s_mov_b32 s19, exec_lo
	v_cmpx_gt_u32_e64 s5, v51
	s_cbranch_execz .LBB1044_344
.LBB1044_396:                           ;   in Loop: Header=BB1044_334 Depth=2
	global_load_ushort v14, v112, s[16:17]
	s_or_b32 exec_lo, exec_lo, s19
	s_mov_b32 s19, exec_lo
	v_cmpx_gt_u32_e64 s5, v52
	s_cbranch_execz .LBB1044_345
.LBB1044_397:                           ;   in Loop: Header=BB1044_334 Depth=2
	global_load_ushort v13, v113, s[16:17]
	s_or_b32 exec_lo, exec_lo, s19
	s_mov_b32 s19, exec_lo
	v_cmpx_gt_u32_e64 s5, v53
	s_cbranch_execz .LBB1044_346
.LBB1044_398:                           ;   in Loop: Header=BB1044_334 Depth=2
	global_load_ushort v12, v114, s[16:17]
	s_or_b32 exec_lo, exec_lo, s19
	s_mov_b32 s19, exec_lo
	v_cmpx_gt_u32_e64 s5, v54
	s_cbranch_execz .LBB1044_347
.LBB1044_399:                           ;   in Loop: Header=BB1044_334 Depth=2
	global_load_ushort v11, v115, s[16:17]
	s_or_b32 exec_lo, exec_lo, s19
	s_mov_b32 s19, exec_lo
	v_cmpx_gt_u32_e64 s5, v55
	s_cbranch_execz .LBB1044_348
.LBB1044_400:                           ;   in Loop: Header=BB1044_334 Depth=2
	global_load_ushort v10, v116, s[16:17]
	s_or_b32 exec_lo, exec_lo, s19
	s_mov_b32 s19, exec_lo
	v_cmpx_gt_u32_e64 s5, v56
	s_cbranch_execz .LBB1044_349
.LBB1044_401:                           ;   in Loop: Header=BB1044_334 Depth=2
	global_load_ushort v9, v117, s[16:17]
	s_or_b32 exec_lo, exec_lo, s19
	s_mov_b32 s19, exec_lo
	v_cmpx_gt_u32_e64 s5, v57
	s_cbranch_execz .LBB1044_350
.LBB1044_402:                           ;   in Loop: Header=BB1044_334 Depth=2
	global_load_ushort v8, v118, s[16:17]
	s_or_b32 exec_lo, exec_lo, s19
	s_mov_b32 s19, exec_lo
	v_cmpx_gt_u32_e64 s5, v58
	s_cbranch_execz .LBB1044_351
.LBB1044_403:                           ;   in Loop: Header=BB1044_334 Depth=2
	global_load_ushort v7, v119, s[16:17]
	s_or_b32 exec_lo, exec_lo, s19
	s_mov_b32 s19, exec_lo
	v_cmpx_gt_u32_e64 s5, v59
	s_cbranch_execz .LBB1044_352
.LBB1044_404:                           ;   in Loop: Header=BB1044_334 Depth=2
	global_load_ushort v6, v120, s[16:17]
	s_or_b32 exec_lo, exec_lo, s19
	s_mov_b32 s19, exec_lo
	v_cmpx_gt_u32_e64 s5, v60
	s_cbranch_execz .LBB1044_353
.LBB1044_405:                           ;   in Loop: Header=BB1044_334 Depth=2
	global_load_ushort v5, v121, s[16:17]
	s_or_b32 exec_lo, exec_lo, s19
	s_mov_b32 s19, exec_lo
	v_cmpx_gt_u32_e64 s5, v61
	s_cbranch_execnz .LBB1044_354
	s_branch .LBB1044_355
.LBB1044_406:                           ;   in Loop: Header=BB1044_20 Depth=1
	v_mov_b32_e32 v3, 0
	s_waitcnt lgkmcnt(0)
	s_barrier
	buffer_gl0_inv
	s_and_saveexec_b32 s5, s8
	s_cbranch_execz .LBB1044_408
; %bb.407:                              ;   in Loop: Header=BB1044_20 Depth=1
	ds_read2_b64 v[5:8], v64 offset1:1
	s_waitcnt lgkmcnt(0)
	v_add_nc_u32_e32 v3, v6, v5
	v_add3_u32 v3, v3, v7, v8
.LBB1044_408:                           ;   in Loop: Header=BB1044_20 Depth=1
	s_or_b32 exec_lo, exec_lo, s5
	v_mov_b32_dpp v5, v3 row_shr:1 row_mask:0xf bank_mask:0xf
	v_cmp_eq_u32_e64 s5, 0, v90
	v_cmp_lt_u32_e64 s16, 1, v90
	v_cmp_lt_u32_e64 s17, 3, v90
	;; [unrolled: 1-line block ×3, first 2 shown]
	v_cmp_eq_u32_e64 s19, 0, v92
	v_cndmask_b32_e64 v5, v5, 0, s5
	v_add_nc_u32_e32 v3, v5, v3
	v_mov_b32_dpp v5, v3 row_shr:2 row_mask:0xf bank_mask:0xf
	v_cndmask_b32_e64 v5, 0, v5, s16
	v_add_nc_u32_e32 v3, v3, v5
	v_mov_b32_dpp v5, v3 row_shr:4 row_mask:0xf bank_mask:0xf
	;; [unrolled: 3-line block ×3, first 2 shown]
	v_cndmask_b32_e64 v5, 0, v5, s18
	v_add_nc_u32_e32 v3, v3, v5
	ds_swizzle_b32 v5, v3 offset:swizzle(BROADCAST,32,15)
	s_waitcnt lgkmcnt(0)
	v_and_b32_e32 v5, v91, v5
	v_add_nc_u32_e32 v3, v3, v5
	s_and_saveexec_b32 s20, s9
; %bb.409:                              ;   in Loop: Header=BB1044_20 Depth=1
	ds_write_b32 v65, v3
; %bb.410:                              ;   in Loop: Header=BB1044_20 Depth=1
	s_or_b32 exec_lo, exec_lo, s20
	s_waitcnt lgkmcnt(0)
	s_barrier
	buffer_gl0_inv
	s_and_saveexec_b32 s20, s10
	s_cbranch_execz .LBB1044_412
; %bb.411:                              ;   in Loop: Header=BB1044_20 Depth=1
	ds_read_b32 v5, v66
	v_cmp_ne_u32_e32 vcc_lo, 0, v93
	s_waitcnt lgkmcnt(0)
	v_mov_b32_dpp v6, v5 row_shr:1 row_mask:0xf bank_mask:0xf
	v_cndmask_b32_e32 v6, 0, v6, vcc_lo
	v_cmp_lt_u32_e32 vcc_lo, 1, v93
	v_add_nc_u32_e32 v5, v6, v5
	v_mov_b32_dpp v6, v5 row_shr:2 row_mask:0xf bank_mask:0xf
	v_cndmask_b32_e32 v6, 0, v6, vcc_lo
	v_add_nc_u32_e32 v5, v5, v6
	ds_write_b32 v66, v5
.LBB1044_412:                           ;   in Loop: Header=BB1044_20 Depth=1
	s_or_b32 exec_lo, exec_lo, s20
	v_mov_b32_e32 v5, 0
	s_waitcnt lgkmcnt(0)
	s_barrier
	buffer_gl0_inv
	s_and_saveexec_b32 s20, s11
; %bb.413:                              ;   in Loop: Header=BB1044_20 Depth=1
	ds_read_b32 v5, v67
; %bb.414:                              ;   in Loop: Header=BB1044_20 Depth=1
	s_or_b32 exec_lo, exec_lo, s20
	v_cmp_gt_i32_e32 vcc_lo, 0, v95
	s_waitcnt lgkmcnt(0)
	v_add_nc_u32_e32 v3, v5, v3
	s_barrier
	buffer_gl0_inv
	v_cndmask_b32_e32 v6, v95, v86, vcc_lo
	v_lshlrev_b32_e32 v125, 2, v6
	ds_bpermute_b32 v3, v125, v3
	s_and_saveexec_b32 s20, s8
	s_cbranch_execz .LBB1044_416
; %bb.415:                              ;   in Loop: Header=BB1044_20 Depth=1
	s_waitcnt lgkmcnt(0)
	v_cndmask_b32_e64 v3, v3, v5, s15
	v_add_nc_u32_e32 v3, s58, v3
	ds_write_b32 v43, v3
.LBB1044_416:                           ;   in Loop: Header=BB1044_20 Depth=1
	s_or_b32 exec_lo, exec_lo, s20
	s_load_dwordx2 s[20:21], s[56:57], 0x0
	v_add_co_u32 v126, vcc_lo, v78, v97
	v_add_co_ci_u32_e64 v127, null, 0, v79, vcc_lo
	v_add_nc_u32_e32 v128, 0x180, v94
	v_add_nc_u32_e32 v129, 0x1a0, v94
	;; [unrolled: 1-line block ×5, first 2 shown]
	s_mov_b32 s63, s60
	s_mov_b32 s50, s58
                                        ; implicit-def: $vgpr7_vgpr8
                                        ; implicit-def: $vgpr9_vgpr10
                                        ; implicit-def: $vgpr11_vgpr12
                                        ; implicit-def: $vgpr13_vgpr14
                                        ; implicit-def: $vgpr15_vgpr16
                                        ; implicit-def: $vgpr19_vgpr20
                                        ; implicit-def: $vgpr23_vgpr24
                                        ; implicit-def: $vgpr27_vgpr28
                                        ; implicit-def: $vgpr17_vgpr18
                                        ; implicit-def: $vgpr21_vgpr22
                                        ; implicit-def: $vgpr25_vgpr26
                                        ; implicit-def: $vgpr29_vgpr30
                                        ; implicit-def: $vgpr31_vgpr32
                                        ; implicit-def: $vgpr33_vgpr34
                                        ; implicit-def: $vgpr35_vgpr36
                                        ; implicit-def: $vgpr37_vgpr38
                                        ; implicit-def: $vgpr136
                                        ; implicit-def: $vgpr137
                                        ; implicit-def: $vgpr138
                                        ; implicit-def: $vgpr139
                                        ; implicit-def: $vgpr140
                                        ; implicit-def: $vgpr141
                                        ; implicit-def: $vgpr142
                                        ; implicit-def: $vgpr143
                                        ; implicit-def: $vgpr144
                                        ; implicit-def: $vgpr145
                                        ; implicit-def: $vgpr146
                                        ; implicit-def: $vgpr147
                                        ; implicit-def: $vgpr148
                                        ; implicit-def: $vgpr149
                                        ; implicit-def: $vgpr150
                                        ; implicit-def: $vgpr152
                                        ; implicit-def: $vgpr153
                                        ; implicit-def: $vgpr151
                                        ; implicit-def: $vgpr154
	s_waitcnt lgkmcnt(0)
	s_cmp_lt_u32 s7, s21
	s_cselect_b32 s21, 14, 20
	s_add_u32 s22, s56, s21
	s_addc_u32 s23, s57, 0
	s_cmp_lt_u32 s6, s20
	global_load_ushort v3, v4, s[22:23]
	s_cselect_b32 s20, 12, 18
	s_add_u32 s20, s56, s20
	s_addc_u32 s21, s57, 0
	global_load_ushort v5, v4, s[20:21]
	v_cmp_eq_u32_e64 s20, 0, v96
	v_cmp_lt_u32_e64 s21, 1, v96
	v_cmp_lt_u32_e64 s22, 3, v96
	s_waitcnt vmcnt(1)
	v_mad_u32_u24 v3, v2, v3, v1
	s_waitcnt vmcnt(0)
	v_mad_u64_u32 v[5:6], null, v3, v5, v[0:1]
	v_lshlrev_b32_e32 v3, 1, v86
	v_add_co_u32 v133, vcc_lo, v80, v3
	v_lshrrev_b32_e32 v5, 3, v5
	v_add_co_ci_u32_e64 v134, null, 0, v81, vcc_lo
	v_and_b32_e32 v135, 0x1ffffffc, v5
                                        ; implicit-def: $vgpr5_vgpr6
	s_branch .LBB1044_418
.LBB1044_417:                           ;   in Loop: Header=BB1044_418 Depth=2
	s_or_b32 exec_lo, exec_lo, s23
	s_addk_i32 s63, 0xef00
	s_cmp_lt_u32 s64, s59
	s_mov_b32 s50, s64
	s_cbranch_scc0 .LBB1044_640
.LBB1044_418:                           ;   Parent Loop BB1044_20 Depth=1
                                        ; =>  This Inner Loop Header: Depth=2
	s_add_i32 s64, s50, 0x1100
	s_cmp_gt_u32 s64, s59
	s_cbranch_scc1 .LBB1044_420
; %bb.419:                              ;   in Loop: Header=BB1044_418 Depth=2
	s_lshl_b64 s[24:25], s[50:51], 1
	s_mov_b32 s23, -1
	v_add_co_u32 v39, vcc_lo, v133, s24
	v_add_co_ci_u32_e64 v40, null, s25, v134, vcc_lo
	s_clause 0xf
	global_load_ushort v156, v[39:40], off
	global_load_ushort v157, v[39:40], off offset:64
	global_load_ushort v160, v[39:40], off offset:128
	;; [unrolled: 1-line block ×15, first 2 shown]
	s_movk_i32 s24, 0x1100
	s_cbranch_execz .LBB1044_421
	s_branch .LBB1044_454
.LBB1044_420:                           ;   in Loop: Header=BB1044_418 Depth=2
	s_mov_b32 s23, 0
                                        ; implicit-def: $vgpr156
                                        ; implicit-def: $vgpr157
                                        ; implicit-def: $vgpr160
                                        ; implicit-def: $vgpr164
                                        ; implicit-def: $vgpr169
                                        ; implicit-def: $vgpr174
                                        ; implicit-def: $vgpr179
                                        ; implicit-def: $vgpr184
                                        ; implicit-def: $vgpr189
                                        ; implicit-def: $vgpr187
                                        ; implicit-def: $vgpr182
                                        ; implicit-def: $vgpr177
                                        ; implicit-def: $vgpr173
                                        ; implicit-def: $vgpr168
                                        ; implicit-def: $vgpr42
                                        ; implicit-def: $vgpr41
	s_movk_i32 s24, 0x1100
.LBB1044_421:                           ;   in Loop: Header=BB1044_418 Depth=2
	s_lshl_b64 s[24:25], s[50:51], 1
	s_waitcnt vmcnt(14)
	v_mov_b32_e32 v157, 0x7fff
	v_add_co_u32 v39, vcc_lo, v133, s24
	v_add_co_ci_u32_e64 v40, null, s25, v134, vcc_lo
	v_mov_b32_e32 v156, 0x7fff
	s_mov_b32 s23, exec_lo
	v_cmpx_gt_u32_e64 s63, v94
	s_cbranch_execz .LBB1044_423
; %bb.422:                              ;   in Loop: Header=BB1044_418 Depth=2
	global_load_ushort v156, v[39:40], off
.LBB1044_423:                           ;   in Loop: Header=BB1044_418 Depth=2
	s_or_b32 exec_lo, exec_lo, s23
	s_mov_b32 s23, exec_lo
	v_cmpx_gt_u32_e64 s63, v98
	s_cbranch_execz .LBB1044_425
; %bb.424:                              ;   in Loop: Header=BB1044_418 Depth=2
	global_load_ushort v157, v[39:40], off offset:64
.LBB1044_425:                           ;   in Loop: Header=BB1044_418 Depth=2
	s_or_b32 exec_lo, exec_lo, s23
	s_waitcnt vmcnt(12)
	v_mov_b32_e32 v164, 0x7fff
	v_mov_b32_e32 v160, 0x7fff
	s_mov_b32 s23, exec_lo
	v_cmpx_gt_u32_e64 s63, v99
	s_cbranch_execz .LBB1044_427
; %bb.426:                              ;   in Loop: Header=BB1044_418 Depth=2
	global_load_ushort v160, v[39:40], off offset:128
.LBB1044_427:                           ;   in Loop: Header=BB1044_418 Depth=2
	s_or_b32 exec_lo, exec_lo, s23
	s_mov_b32 s23, exec_lo
	v_cmpx_gt_u32_e64 s63, v100
	s_cbranch_execz .LBB1044_429
; %bb.428:                              ;   in Loop: Header=BB1044_418 Depth=2
	global_load_ushort v164, v[39:40], off offset:192
.LBB1044_429:                           ;   in Loop: Header=BB1044_418 Depth=2
	s_or_b32 exec_lo, exec_lo, s23
	s_waitcnt vmcnt(10)
	v_mov_b32_e32 v174, 0x7fff
	v_mov_b32_e32 v169, 0x7fff
	s_mov_b32 s23, exec_lo
	v_cmpx_gt_u32_e64 s63, v101
	s_cbranch_execz .LBB1044_431
; %bb.430:                              ;   in Loop: Header=BB1044_418 Depth=2
	global_load_ushort v169, v[39:40], off offset:256
.LBB1044_431:                           ;   in Loop: Header=BB1044_418 Depth=2
	;; [unrolled: 17-line block ×7, first 2 shown]
	s_or_b32 exec_lo, exec_lo, s23
	s_mov_b32 s23, exec_lo
	v_cmpx_gt_u32_e64 s63, v131
	s_cbranch_execz .LBB1044_453
; %bb.452:                              ;   in Loop: Header=BB1044_418 Depth=2
	global_load_ushort v41, v[39:40], off offset:960
.LBB1044_453:                           ;   in Loop: Header=BB1044_418 Depth=2
	s_or_b32 exec_lo, exec_lo, s23
	v_cmp_gt_u32_e64 s23, s63, v132
	s_sub_i32 s24, s59, s50
.LBB1044_454:                           ;   in Loop: Header=BB1044_418 Depth=2
	v_mov_b32_e32 v3, -1
	v_mov_b32_e32 v155, s63
	s_and_saveexec_b32 s25, s23
	s_cbranch_execz .LBB1044_456
; %bb.455:                              ;   in Loop: Header=BB1044_418 Depth=2
	s_lshl_b64 s[26:27], s[50:51], 1
	v_mov_b32_e32 v155, s24
	v_add_co_u32 v39, vcc_lo, v133, s26
	v_add_co_ci_u32_e64 v40, null, s27, v134, vcc_lo
	global_load_ushort v3, v[39:40], off offset:1024
	s_waitcnt vmcnt(0)
	v_xor_b32_e32 v3, 0xffff8000, v3
.LBB1044_456:                           ;   in Loop: Header=BB1044_418 Depth=2
	s_or_b32 exec_lo, exec_lo, s25
	s_waitcnt vmcnt(15)
	v_xor_b32_e32 v156, 0xffff8000, v156
	ds_write2_b32 v68, v4, v4 offset0:136 offset1:137
	ds_write2_b32 v68, v4, v4 offset0:138 offset1:139
	ds_write_b32 v68, v4 offset:560
	s_waitcnt vmcnt(0) lgkmcnt(0)
	s_barrier
	v_lshrrev_b32_sdwa v39, s61, v156 dst_sel:DWORD dst_unused:UNUSED_PAD src0_sel:DWORD src1_sel:WORD_0
	buffer_gl0_inv
	; wave barrier
	v_and_b32_e32 v40, s62, v39
	v_and_b32_e32 v39, 1, v40
	v_lshlrev_b32_e32 v158, 30, v40
	v_lshlrev_b32_e32 v159, 29, v40
	;; [unrolled: 1-line block ×4, first 2 shown]
	v_add_co_u32 v39, s23, v39, -1
	v_cndmask_b32_e64 v161, 0, 1, s23
	v_not_b32_e32 v166, v158
	v_cmp_gt_i32_e64 s23, 0, v158
	v_not_b32_e32 v158, v159
	v_lshlrev_b32_e32 v165, 26, v40
	v_cmp_ne_u32_e32 vcc_lo, 0, v161
	v_ashrrev_i32_e32 v166, 31, v166
	v_lshlrev_b32_e32 v161, 25, v40
	v_ashrrev_i32_e32 v158, 31, v158
	v_mul_u32_u24_e32 v40, 36, v40
	v_xor_b32_e32 v39, vcc_lo, v39
	v_cmp_gt_i32_e32 vcc_lo, 0, v159
	v_not_b32_e32 v159, v162
	v_xor_b32_e32 v166, s23, v166
	v_cmp_gt_i32_e64 s23, 0, v162
	v_and_b32_e32 v39, exec_lo, v39
	v_not_b32_e32 v162, v163
	v_ashrrev_i32_e32 v159, 31, v159
	v_xor_b32_e32 v158, vcc_lo, v158
	v_cmp_gt_i32_e32 vcc_lo, 0, v163
	v_and_b32_e32 v39, v39, v166
	v_not_b32_e32 v163, v165
	v_ashrrev_i32_e32 v162, 31, v162
	v_xor_b32_e32 v159, s23, v159
	v_cmp_gt_i32_e64 s23, 0, v165
	v_and_b32_e32 v39, v39, v158
	v_not_b32_e32 v158, v161
	v_ashrrev_i32_e32 v163, 31, v163
	v_xor_b32_e32 v162, vcc_lo, v162
	v_cmp_gt_i32_e32 vcc_lo, 0, v161
	v_and_b32_e32 v39, v39, v159
	v_ashrrev_i32_e32 v158, 31, v158
	v_xor_b32_e32 v159, s23, v163
	v_and_b32_e32 v39, v39, v162
	v_xor_b32_e32 v158, vcc_lo, v158
	v_and_b32_e32 v39, v39, v159
	v_add_nc_u32_e32 v159, v135, v40
	v_and_b32_e32 v39, v39, v158
	v_mbcnt_lo_u32_b32 v158, v39, 0
	v_cmp_ne_u32_e64 s23, 0, v39
	v_cmp_eq_u32_e32 vcc_lo, 0, v158
	s_and_b32 s24, s23, vcc_lo
	s_and_saveexec_b32 s23, s24
; %bb.457:                              ;   in Loop: Header=BB1044_418 Depth=2
	v_bcnt_u32_b32 v39, v39, 0
	ds_write_b32 v159, v39 offset:544
; %bb.458:                              ;   in Loop: Header=BB1044_418 Depth=2
	s_or_b32 exec_lo, exec_lo, s23
	v_xor_b32_e32 v157, 0xffff8000, v157
	; wave barrier
	v_lshrrev_b32_sdwa v39, s61, v157 dst_sel:DWORD dst_unused:UNUSED_PAD src0_sel:DWORD src1_sel:WORD_0
	v_and_b32_e32 v40, s62, v39
	v_and_b32_e32 v39, 1, v40
	v_lshlrev_b32_e32 v161, 30, v40
	v_lshlrev_b32_e32 v162, 29, v40
	v_lshlrev_b32_e32 v165, 28, v40
	v_lshlrev_b32_e32 v166, 27, v40
	v_add_co_u32 v39, s23, v39, -1
	v_cndmask_b32_e64 v163, 0, 1, s23
	v_not_b32_e32 v170, v161
	v_cmp_gt_i32_e64 s23, 0, v161
	v_not_b32_e32 v161, v162
	v_lshlrev_b32_e32 v167, 26, v40
	v_cmp_ne_u32_e32 vcc_lo, 0, v163
	v_ashrrev_i32_e32 v170, 31, v170
	v_lshlrev_b32_e32 v163, 25, v40
	v_ashrrev_i32_e32 v161, 31, v161
	v_xor_b32_e32 v39, vcc_lo, v39
	v_cmp_gt_i32_e32 vcc_lo, 0, v162
	v_not_b32_e32 v162, v165
	v_xor_b32_e32 v170, s23, v170
	v_cmp_gt_i32_e64 s23, 0, v165
	v_and_b32_e32 v39, exec_lo, v39
	v_not_b32_e32 v165, v166
	v_ashrrev_i32_e32 v162, 31, v162
	v_xor_b32_e32 v161, vcc_lo, v161
	v_cmp_gt_i32_e32 vcc_lo, 0, v166
	v_and_b32_e32 v39, v39, v170
	v_not_b32_e32 v166, v167
	v_ashrrev_i32_e32 v165, 31, v165
	v_xor_b32_e32 v162, s23, v162
	v_cmp_gt_i32_e64 s23, 0, v167
	v_and_b32_e32 v39, v39, v161
	v_not_b32_e32 v161, v163
	v_ashrrev_i32_e32 v166, 31, v166
	v_xor_b32_e32 v165, vcc_lo, v165
	v_cmp_gt_i32_e32 vcc_lo, 0, v163
	v_and_b32_e32 v39, v39, v162
	v_ashrrev_i32_e32 v161, 31, v161
	v_xor_b32_e32 v162, s23, v166
	v_mad_u32_u24 v163, v40, 36, v135
	v_mul_u32_u24_e32 v40, 36, v40
	v_and_b32_e32 v39, v39, v165
	v_xor_b32_e32 v165, vcc_lo, v161
	ds_read_b32 v161, v163 offset:544
	v_add_nc_u32_e32 v163, v135, v40
	v_and_b32_e32 v39, v39, v162
	; wave barrier
	v_and_b32_e32 v39, v39, v165
	v_mbcnt_lo_u32_b32 v162, v39, 0
	v_cmp_ne_u32_e64 s23, 0, v39
	v_cmp_eq_u32_e32 vcc_lo, 0, v162
	s_and_b32 s24, s23, vcc_lo
	s_and_saveexec_b32 s23, s24
	s_cbranch_execz .LBB1044_460
; %bb.459:                              ;   in Loop: Header=BB1044_418 Depth=2
	s_waitcnt lgkmcnt(0)
	v_bcnt_u32_b32 v39, v39, v161
	ds_write_b32 v163, v39 offset:544
.LBB1044_460:                           ;   in Loop: Header=BB1044_418 Depth=2
	s_or_b32 exec_lo, exec_lo, s23
	v_xor_b32_e32 v160, 0xffff8000, v160
	; wave barrier
	v_lshrrev_b32_sdwa v39, s61, v160 dst_sel:DWORD dst_unused:UNUSED_PAD src0_sel:DWORD src1_sel:WORD_0
	v_and_b32_e32 v40, s62, v39
	v_and_b32_e32 v39, 1, v40
	v_lshlrev_b32_e32 v165, 30, v40
	v_lshlrev_b32_e32 v166, 29, v40
	v_lshlrev_b32_e32 v170, 28, v40
	v_lshlrev_b32_e32 v171, 27, v40
	v_add_co_u32 v39, s23, v39, -1
	v_cndmask_b32_e64 v167, 0, 1, s23
	v_not_b32_e32 v175, v165
	v_cmp_gt_i32_e64 s23, 0, v165
	v_not_b32_e32 v165, v166
	v_lshlrev_b32_e32 v172, 26, v40
	v_cmp_ne_u32_e32 vcc_lo, 0, v167
	v_ashrrev_i32_e32 v175, 31, v175
	v_lshlrev_b32_e32 v167, 25, v40
	v_ashrrev_i32_e32 v165, 31, v165
	v_xor_b32_e32 v39, vcc_lo, v39
	v_cmp_gt_i32_e32 vcc_lo, 0, v166
	v_not_b32_e32 v166, v170
	v_xor_b32_e32 v175, s23, v175
	v_cmp_gt_i32_e64 s23, 0, v170
	v_and_b32_e32 v39, exec_lo, v39
	v_not_b32_e32 v170, v171
	v_ashrrev_i32_e32 v166, 31, v166
	v_xor_b32_e32 v165, vcc_lo, v165
	v_cmp_gt_i32_e32 vcc_lo, 0, v171
	v_and_b32_e32 v39, v39, v175
	v_not_b32_e32 v171, v172
	v_ashrrev_i32_e32 v170, 31, v170
	v_xor_b32_e32 v166, s23, v166
	v_cmp_gt_i32_e64 s23, 0, v172
	v_and_b32_e32 v39, v39, v165
	v_not_b32_e32 v165, v167
	v_ashrrev_i32_e32 v171, 31, v171
	v_xor_b32_e32 v170, vcc_lo, v170
	v_cmp_gt_i32_e32 vcc_lo, 0, v167
	v_and_b32_e32 v39, v39, v166
	v_ashrrev_i32_e32 v165, 31, v165
	v_xor_b32_e32 v166, s23, v171
	v_mad_u32_u24 v167, v40, 36, v135
	v_mul_u32_u24_e32 v40, 36, v40
	v_and_b32_e32 v39, v39, v170
	v_xor_b32_e32 v170, vcc_lo, v165
	ds_read_b32 v165, v167 offset:544
	v_add_nc_u32_e32 v167, v135, v40
	v_and_b32_e32 v39, v39, v166
	; wave barrier
	v_and_b32_e32 v39, v39, v170
	v_mbcnt_lo_u32_b32 v166, v39, 0
	v_cmp_ne_u32_e64 s23, 0, v39
	v_cmp_eq_u32_e32 vcc_lo, 0, v166
	s_and_b32 s24, s23, vcc_lo
	s_and_saveexec_b32 s23, s24
	s_cbranch_execz .LBB1044_462
; %bb.461:                              ;   in Loop: Header=BB1044_418 Depth=2
	s_waitcnt lgkmcnt(0)
	v_bcnt_u32_b32 v39, v39, v165
	ds_write_b32 v167, v39 offset:544
.LBB1044_462:                           ;   in Loop: Header=BB1044_418 Depth=2
	s_or_b32 exec_lo, exec_lo, s23
	v_xor_b32_e32 v164, 0xffff8000, v164
	; wave barrier
	v_lshrrev_b32_sdwa v39, s61, v164 dst_sel:DWORD dst_unused:UNUSED_PAD src0_sel:DWORD src1_sel:WORD_0
	v_and_b32_e32 v40, s62, v39
	v_and_b32_e32 v39, 1, v40
	v_lshlrev_b32_e32 v170, 30, v40
	v_lshlrev_b32_e32 v171, 29, v40
	v_lshlrev_b32_e32 v175, 28, v40
	v_lshlrev_b32_e32 v176, 27, v40
	v_add_co_u32 v39, s23, v39, -1
	v_cndmask_b32_e64 v172, 0, 1, s23
	v_not_b32_e32 v180, v170
	v_cmp_gt_i32_e64 s23, 0, v170
	v_not_b32_e32 v170, v171
	v_lshlrev_b32_e32 v178, 26, v40
	v_cmp_ne_u32_e32 vcc_lo, 0, v172
	v_ashrrev_i32_e32 v180, 31, v180
	v_lshlrev_b32_e32 v172, 25, v40
	v_ashrrev_i32_e32 v170, 31, v170
	v_xor_b32_e32 v39, vcc_lo, v39
	v_cmp_gt_i32_e32 vcc_lo, 0, v171
	v_not_b32_e32 v171, v175
	v_xor_b32_e32 v180, s23, v180
	v_cmp_gt_i32_e64 s23, 0, v175
	v_and_b32_e32 v39, exec_lo, v39
	v_not_b32_e32 v175, v176
	v_ashrrev_i32_e32 v171, 31, v171
	v_xor_b32_e32 v170, vcc_lo, v170
	v_cmp_gt_i32_e32 vcc_lo, 0, v176
	v_and_b32_e32 v39, v39, v180
	v_not_b32_e32 v176, v178
	v_ashrrev_i32_e32 v175, 31, v175
	v_xor_b32_e32 v171, s23, v171
	v_cmp_gt_i32_e64 s23, 0, v178
	v_and_b32_e32 v39, v39, v170
	v_not_b32_e32 v170, v172
	v_ashrrev_i32_e32 v176, 31, v176
	v_xor_b32_e32 v175, vcc_lo, v175
	v_cmp_gt_i32_e32 vcc_lo, 0, v172
	v_and_b32_e32 v39, v39, v171
	v_ashrrev_i32_e32 v170, 31, v170
	v_xor_b32_e32 v171, s23, v176
	v_mad_u32_u24 v172, v40, 36, v135
	v_mul_u32_u24_e32 v40, 36, v40
	v_and_b32_e32 v39, v39, v175
	v_xor_b32_e32 v175, vcc_lo, v170
	ds_read_b32 v170, v172 offset:544
	v_add_nc_u32_e32 v172, v135, v40
	v_and_b32_e32 v39, v39, v171
	; wave barrier
	v_and_b32_e32 v39, v39, v175
	v_mbcnt_lo_u32_b32 v171, v39, 0
	v_cmp_ne_u32_e64 s23, 0, v39
	v_cmp_eq_u32_e32 vcc_lo, 0, v171
	s_and_b32 s24, s23, vcc_lo
	s_and_saveexec_b32 s23, s24
	s_cbranch_execz .LBB1044_464
; %bb.463:                              ;   in Loop: Header=BB1044_418 Depth=2
	s_waitcnt lgkmcnt(0)
	v_bcnt_u32_b32 v39, v39, v170
	ds_write_b32 v172, v39 offset:544
.LBB1044_464:                           ;   in Loop: Header=BB1044_418 Depth=2
	s_or_b32 exec_lo, exec_lo, s23
	v_xor_b32_e32 v169, 0xffff8000, v169
	; wave barrier
	v_lshrrev_b32_sdwa v39, s61, v169 dst_sel:DWORD dst_unused:UNUSED_PAD src0_sel:DWORD src1_sel:WORD_0
	v_and_b32_e32 v40, s62, v39
	v_and_b32_e32 v39, 1, v40
	v_lshlrev_b32_e32 v175, 30, v40
	v_lshlrev_b32_e32 v176, 29, v40
	v_lshlrev_b32_e32 v180, 28, v40
	v_lshlrev_b32_e32 v181, 27, v40
	v_add_co_u32 v39, s23, v39, -1
	v_cndmask_b32_e64 v178, 0, 1, s23
	v_not_b32_e32 v185, v175
	v_cmp_gt_i32_e64 s23, 0, v175
	v_not_b32_e32 v175, v176
	v_lshlrev_b32_e32 v183, 26, v40
	v_cmp_ne_u32_e32 vcc_lo, 0, v178
	v_ashrrev_i32_e32 v185, 31, v185
	v_lshlrev_b32_e32 v178, 25, v40
	v_ashrrev_i32_e32 v175, 31, v175
	v_xor_b32_e32 v39, vcc_lo, v39
	v_cmp_gt_i32_e32 vcc_lo, 0, v176
	v_not_b32_e32 v176, v180
	v_xor_b32_e32 v185, s23, v185
	v_cmp_gt_i32_e64 s23, 0, v180
	v_and_b32_e32 v39, exec_lo, v39
	v_not_b32_e32 v180, v181
	v_ashrrev_i32_e32 v176, 31, v176
	v_xor_b32_e32 v175, vcc_lo, v175
	v_cmp_gt_i32_e32 vcc_lo, 0, v181
	v_and_b32_e32 v39, v39, v185
	v_not_b32_e32 v181, v183
	v_ashrrev_i32_e32 v180, 31, v180
	v_xor_b32_e32 v176, s23, v176
	v_cmp_gt_i32_e64 s23, 0, v183
	v_and_b32_e32 v39, v39, v175
	v_not_b32_e32 v175, v178
	v_ashrrev_i32_e32 v181, 31, v181
	v_xor_b32_e32 v180, vcc_lo, v180
	v_cmp_gt_i32_e32 vcc_lo, 0, v178
	v_and_b32_e32 v39, v39, v176
	v_ashrrev_i32_e32 v175, 31, v175
	v_xor_b32_e32 v176, s23, v181
	v_mad_u32_u24 v178, v40, 36, v135
	v_mul_u32_u24_e32 v40, 36, v40
	v_and_b32_e32 v39, v39, v180
	v_xor_b32_e32 v180, vcc_lo, v175
	ds_read_b32 v175, v178 offset:544
	v_add_nc_u32_e32 v178, v135, v40
	v_and_b32_e32 v39, v39, v176
	; wave barrier
	v_and_b32_e32 v39, v39, v180
	v_mbcnt_lo_u32_b32 v176, v39, 0
	v_cmp_ne_u32_e64 s23, 0, v39
	v_cmp_eq_u32_e32 vcc_lo, 0, v176
	s_and_b32 s24, s23, vcc_lo
	s_and_saveexec_b32 s23, s24
	s_cbranch_execz .LBB1044_466
; %bb.465:                              ;   in Loop: Header=BB1044_418 Depth=2
	s_waitcnt lgkmcnt(0)
	v_bcnt_u32_b32 v39, v39, v175
	ds_write_b32 v178, v39 offset:544
.LBB1044_466:                           ;   in Loop: Header=BB1044_418 Depth=2
	s_or_b32 exec_lo, exec_lo, s23
	v_xor_b32_e32 v174, 0xffff8000, v174
	; wave barrier
	v_lshrrev_b32_sdwa v39, s61, v174 dst_sel:DWORD dst_unused:UNUSED_PAD src0_sel:DWORD src1_sel:WORD_0
	v_and_b32_e32 v40, s62, v39
	v_and_b32_e32 v39, 1, v40
	v_lshlrev_b32_e32 v180, 30, v40
	v_lshlrev_b32_e32 v181, 29, v40
	v_lshlrev_b32_e32 v185, 28, v40
	v_lshlrev_b32_e32 v186, 27, v40
	v_add_co_u32 v39, s23, v39, -1
	v_cndmask_b32_e64 v183, 0, 1, s23
	v_not_b32_e32 v190, v180
	v_cmp_gt_i32_e64 s23, 0, v180
	v_not_b32_e32 v180, v181
	v_lshlrev_b32_e32 v188, 26, v40
	v_cmp_ne_u32_e32 vcc_lo, 0, v183
	v_ashrrev_i32_e32 v190, 31, v190
	v_lshlrev_b32_e32 v183, 25, v40
	v_ashrrev_i32_e32 v180, 31, v180
	v_xor_b32_e32 v39, vcc_lo, v39
	v_cmp_gt_i32_e32 vcc_lo, 0, v181
	v_not_b32_e32 v181, v185
	v_xor_b32_e32 v190, s23, v190
	v_cmp_gt_i32_e64 s23, 0, v185
	v_and_b32_e32 v39, exec_lo, v39
	v_not_b32_e32 v185, v186
	v_ashrrev_i32_e32 v181, 31, v181
	v_xor_b32_e32 v180, vcc_lo, v180
	v_cmp_gt_i32_e32 vcc_lo, 0, v186
	v_and_b32_e32 v39, v39, v190
	v_not_b32_e32 v186, v188
	v_ashrrev_i32_e32 v185, 31, v185
	v_xor_b32_e32 v181, s23, v181
	v_cmp_gt_i32_e64 s23, 0, v188
	v_and_b32_e32 v39, v39, v180
	v_not_b32_e32 v180, v183
	v_ashrrev_i32_e32 v186, 31, v186
	v_xor_b32_e32 v185, vcc_lo, v185
	v_cmp_gt_i32_e32 vcc_lo, 0, v183
	v_and_b32_e32 v39, v39, v181
	v_ashrrev_i32_e32 v180, 31, v180
	v_xor_b32_e32 v181, s23, v186
	v_mad_u32_u24 v183, v40, 36, v135
	v_mul_u32_u24_e32 v40, 36, v40
	v_and_b32_e32 v39, v39, v185
	v_xor_b32_e32 v185, vcc_lo, v180
	ds_read_b32 v180, v183 offset:544
	v_add_nc_u32_e32 v183, v135, v40
	v_and_b32_e32 v39, v39, v181
	; wave barrier
	v_and_b32_e32 v39, v39, v185
	v_mbcnt_lo_u32_b32 v181, v39, 0
	v_cmp_ne_u32_e64 s23, 0, v39
	v_cmp_eq_u32_e32 vcc_lo, 0, v181
	s_and_b32 s24, s23, vcc_lo
	s_and_saveexec_b32 s23, s24
	s_cbranch_execz .LBB1044_468
; %bb.467:                              ;   in Loop: Header=BB1044_418 Depth=2
	s_waitcnt lgkmcnt(0)
	v_bcnt_u32_b32 v39, v39, v180
	ds_write_b32 v183, v39 offset:544
.LBB1044_468:                           ;   in Loop: Header=BB1044_418 Depth=2
	s_or_b32 exec_lo, exec_lo, s23
	v_xor_b32_e32 v179, 0xffff8000, v179
	; wave barrier
	v_lshrrev_b32_sdwa v39, s61, v179 dst_sel:DWORD dst_unused:UNUSED_PAD src0_sel:DWORD src1_sel:WORD_0
	v_and_b32_e32 v40, s62, v39
	v_and_b32_e32 v39, 1, v40
	v_lshlrev_b32_e32 v185, 30, v40
	v_lshlrev_b32_e32 v186, 29, v40
	v_lshlrev_b32_e32 v190, 28, v40
	v_lshlrev_b32_e32 v191, 27, v40
	v_add_co_u32 v39, s23, v39, -1
	v_cndmask_b32_e64 v188, 0, 1, s23
	v_not_b32_e32 v193, v185
	v_cmp_gt_i32_e64 s23, 0, v185
	v_not_b32_e32 v185, v186
	v_lshlrev_b32_e32 v192, 26, v40
	v_cmp_ne_u32_e32 vcc_lo, 0, v188
	v_ashrrev_i32_e32 v193, 31, v193
	v_lshlrev_b32_e32 v188, 25, v40
	v_ashrrev_i32_e32 v185, 31, v185
	v_xor_b32_e32 v39, vcc_lo, v39
	v_cmp_gt_i32_e32 vcc_lo, 0, v186
	v_not_b32_e32 v186, v190
	v_xor_b32_e32 v193, s23, v193
	v_cmp_gt_i32_e64 s23, 0, v190
	v_and_b32_e32 v39, exec_lo, v39
	v_not_b32_e32 v190, v191
	v_ashrrev_i32_e32 v186, 31, v186
	v_xor_b32_e32 v185, vcc_lo, v185
	v_cmp_gt_i32_e32 vcc_lo, 0, v191
	v_and_b32_e32 v39, v39, v193
	v_not_b32_e32 v191, v192
	v_ashrrev_i32_e32 v190, 31, v190
	v_xor_b32_e32 v186, s23, v186
	v_cmp_gt_i32_e64 s23, 0, v192
	v_and_b32_e32 v39, v39, v185
	v_not_b32_e32 v185, v188
	v_ashrrev_i32_e32 v191, 31, v191
	v_xor_b32_e32 v190, vcc_lo, v190
	v_cmp_gt_i32_e32 vcc_lo, 0, v188
	v_and_b32_e32 v39, v39, v186
	v_ashrrev_i32_e32 v185, 31, v185
	v_xor_b32_e32 v186, s23, v191
	v_mad_u32_u24 v188, v40, 36, v135
	v_mul_u32_u24_e32 v40, 36, v40
	v_and_b32_e32 v39, v39, v190
	v_xor_b32_e32 v190, vcc_lo, v185
	ds_read_b32 v185, v188 offset:544
	v_add_nc_u32_e32 v188, v135, v40
	v_and_b32_e32 v39, v39, v186
	; wave barrier
	v_and_b32_e32 v39, v39, v190
	v_mbcnt_lo_u32_b32 v186, v39, 0
	v_cmp_ne_u32_e64 s23, 0, v39
	v_cmp_eq_u32_e32 vcc_lo, 0, v186
	s_and_b32 s24, s23, vcc_lo
	s_and_saveexec_b32 s23, s24
	s_cbranch_execz .LBB1044_470
; %bb.469:                              ;   in Loop: Header=BB1044_418 Depth=2
	s_waitcnt lgkmcnt(0)
	v_bcnt_u32_b32 v39, v39, v185
	ds_write_b32 v188, v39 offset:544
.LBB1044_470:                           ;   in Loop: Header=BB1044_418 Depth=2
	s_or_b32 exec_lo, exec_lo, s23
	v_xor_b32_e32 v184, 0xffff8000, v184
	; wave barrier
	v_lshrrev_b32_sdwa v39, s61, v184 dst_sel:DWORD dst_unused:UNUSED_PAD src0_sel:DWORD src1_sel:WORD_0
	v_and_b32_e32 v40, s62, v39
	v_and_b32_e32 v39, 1, v40
	v_lshlrev_b32_e32 v190, 30, v40
	v_lshlrev_b32_e32 v191, 29, v40
	v_lshlrev_b32_e32 v193, 28, v40
	v_lshlrev_b32_e32 v194, 27, v40
	v_add_co_u32 v39, s23, v39, -1
	v_cndmask_b32_e64 v192, 0, 1, s23
	v_not_b32_e32 v196, v190
	v_cmp_gt_i32_e64 s23, 0, v190
	v_not_b32_e32 v190, v191
	v_lshlrev_b32_e32 v195, 26, v40
	v_cmp_ne_u32_e32 vcc_lo, 0, v192
	v_ashrrev_i32_e32 v196, 31, v196
	v_lshlrev_b32_e32 v192, 25, v40
	v_ashrrev_i32_e32 v190, 31, v190
	v_xor_b32_e32 v39, vcc_lo, v39
	v_cmp_gt_i32_e32 vcc_lo, 0, v191
	v_not_b32_e32 v191, v193
	v_xor_b32_e32 v196, s23, v196
	v_cmp_gt_i32_e64 s23, 0, v193
	v_and_b32_e32 v39, exec_lo, v39
	v_not_b32_e32 v193, v194
	v_ashrrev_i32_e32 v191, 31, v191
	v_xor_b32_e32 v190, vcc_lo, v190
	v_cmp_gt_i32_e32 vcc_lo, 0, v194
	v_and_b32_e32 v39, v39, v196
	v_not_b32_e32 v194, v195
	v_ashrrev_i32_e32 v193, 31, v193
	v_xor_b32_e32 v191, s23, v191
	v_cmp_gt_i32_e64 s23, 0, v195
	v_and_b32_e32 v39, v39, v190
	v_not_b32_e32 v190, v192
	v_ashrrev_i32_e32 v194, 31, v194
	v_xor_b32_e32 v193, vcc_lo, v193
	v_cmp_gt_i32_e32 vcc_lo, 0, v192
	v_and_b32_e32 v39, v39, v191
	v_ashrrev_i32_e32 v190, 31, v190
	v_xor_b32_e32 v191, s23, v194
	v_mad_u32_u24 v192, v40, 36, v135
	v_mul_u32_u24_e32 v40, 36, v40
	v_and_b32_e32 v39, v39, v193
	v_xor_b32_e32 v193, vcc_lo, v190
	ds_read_b32 v190, v192 offset:544
	v_add_nc_u32_e32 v192, v135, v40
	v_and_b32_e32 v39, v39, v191
	; wave barrier
	v_and_b32_e32 v39, v39, v193
	v_mbcnt_lo_u32_b32 v191, v39, 0
	v_cmp_ne_u32_e64 s23, 0, v39
	v_cmp_eq_u32_e32 vcc_lo, 0, v191
	s_and_b32 s24, s23, vcc_lo
	s_and_saveexec_b32 s23, s24
	s_cbranch_execz .LBB1044_472
; %bb.471:                              ;   in Loop: Header=BB1044_418 Depth=2
	s_waitcnt lgkmcnt(0)
	v_bcnt_u32_b32 v39, v39, v190
	ds_write_b32 v192, v39 offset:544
.LBB1044_472:                           ;   in Loop: Header=BB1044_418 Depth=2
	s_or_b32 exec_lo, exec_lo, s23
	v_xor_b32_e32 v189, 0xffff8000, v189
	; wave barrier
	v_lshrrev_b32_sdwa v39, s61, v189 dst_sel:DWORD dst_unused:UNUSED_PAD src0_sel:DWORD src1_sel:WORD_0
	v_and_b32_e32 v40, s62, v39
	v_and_b32_e32 v39, 1, v40
	v_lshlrev_b32_e32 v193, 30, v40
	v_lshlrev_b32_e32 v194, 29, v40
	v_lshlrev_b32_e32 v196, 28, v40
	v_lshlrev_b32_e32 v197, 27, v40
	v_add_co_u32 v39, s23, v39, -1
	v_cndmask_b32_e64 v195, 0, 1, s23
	v_not_b32_e32 v199, v193
	v_cmp_gt_i32_e64 s23, 0, v193
	v_not_b32_e32 v193, v194
	v_lshlrev_b32_e32 v198, 26, v40
	v_cmp_ne_u32_e32 vcc_lo, 0, v195
	v_ashrrev_i32_e32 v199, 31, v199
	v_lshlrev_b32_e32 v195, 25, v40
	v_ashrrev_i32_e32 v193, 31, v193
	v_xor_b32_e32 v39, vcc_lo, v39
	v_cmp_gt_i32_e32 vcc_lo, 0, v194
	v_not_b32_e32 v194, v196
	v_xor_b32_e32 v199, s23, v199
	v_cmp_gt_i32_e64 s23, 0, v196
	v_and_b32_e32 v39, exec_lo, v39
	v_not_b32_e32 v196, v197
	v_ashrrev_i32_e32 v194, 31, v194
	v_xor_b32_e32 v193, vcc_lo, v193
	v_cmp_gt_i32_e32 vcc_lo, 0, v197
	v_and_b32_e32 v39, v39, v199
	v_not_b32_e32 v197, v198
	v_ashrrev_i32_e32 v196, 31, v196
	v_xor_b32_e32 v194, s23, v194
	v_cmp_gt_i32_e64 s23, 0, v198
	v_and_b32_e32 v39, v39, v193
	v_not_b32_e32 v193, v195
	v_ashrrev_i32_e32 v197, 31, v197
	v_xor_b32_e32 v196, vcc_lo, v196
	v_cmp_gt_i32_e32 vcc_lo, 0, v195
	v_and_b32_e32 v39, v39, v194
	v_ashrrev_i32_e32 v193, 31, v193
	v_xor_b32_e32 v194, s23, v197
	v_mad_u32_u24 v195, v40, 36, v135
	v_mul_u32_u24_e32 v40, 36, v40
	v_and_b32_e32 v39, v39, v196
	v_xor_b32_e32 v196, vcc_lo, v193
	ds_read_b32 v193, v195 offset:544
	v_add_nc_u32_e32 v195, v135, v40
	v_and_b32_e32 v39, v39, v194
	; wave barrier
	v_and_b32_e32 v39, v39, v196
	v_mbcnt_lo_u32_b32 v194, v39, 0
	v_cmp_ne_u32_e64 s23, 0, v39
	v_cmp_eq_u32_e32 vcc_lo, 0, v194
	s_and_b32 s24, s23, vcc_lo
	s_and_saveexec_b32 s23, s24
	s_cbranch_execz .LBB1044_474
; %bb.473:                              ;   in Loop: Header=BB1044_418 Depth=2
	s_waitcnt lgkmcnt(0)
	v_bcnt_u32_b32 v39, v39, v193
	ds_write_b32 v195, v39 offset:544
.LBB1044_474:                           ;   in Loop: Header=BB1044_418 Depth=2
	s_or_b32 exec_lo, exec_lo, s23
	v_xor_b32_e32 v187, 0xffff8000, v187
	; wave barrier
	v_lshrrev_b32_sdwa v39, s61, v187 dst_sel:DWORD dst_unused:UNUSED_PAD src0_sel:DWORD src1_sel:WORD_0
	v_and_b32_e32 v40, s62, v39
	v_and_b32_e32 v39, 1, v40
	v_lshlrev_b32_e32 v196, 30, v40
	v_lshlrev_b32_e32 v197, 29, v40
	v_lshlrev_b32_e32 v199, 28, v40
	v_lshlrev_b32_e32 v200, 27, v40
	v_add_co_u32 v39, s23, v39, -1
	v_cndmask_b32_e64 v198, 0, 1, s23
	v_not_b32_e32 v202, v196
	v_cmp_gt_i32_e64 s23, 0, v196
	v_not_b32_e32 v196, v197
	v_lshlrev_b32_e32 v201, 26, v40
	v_cmp_ne_u32_e32 vcc_lo, 0, v198
	v_ashrrev_i32_e32 v202, 31, v202
	v_lshlrev_b32_e32 v198, 25, v40
	v_ashrrev_i32_e32 v196, 31, v196
	v_xor_b32_e32 v39, vcc_lo, v39
	v_cmp_gt_i32_e32 vcc_lo, 0, v197
	v_not_b32_e32 v197, v199
	v_xor_b32_e32 v202, s23, v202
	v_cmp_gt_i32_e64 s23, 0, v199
	v_and_b32_e32 v39, exec_lo, v39
	v_not_b32_e32 v199, v200
	v_ashrrev_i32_e32 v197, 31, v197
	v_xor_b32_e32 v196, vcc_lo, v196
	v_cmp_gt_i32_e32 vcc_lo, 0, v200
	v_and_b32_e32 v39, v39, v202
	v_not_b32_e32 v200, v201
	v_ashrrev_i32_e32 v199, 31, v199
	v_xor_b32_e32 v197, s23, v197
	v_cmp_gt_i32_e64 s23, 0, v201
	v_and_b32_e32 v39, v39, v196
	v_not_b32_e32 v196, v198
	v_ashrrev_i32_e32 v200, 31, v200
	v_xor_b32_e32 v199, vcc_lo, v199
	v_cmp_gt_i32_e32 vcc_lo, 0, v198
	v_and_b32_e32 v39, v39, v197
	v_ashrrev_i32_e32 v196, 31, v196
	v_xor_b32_e32 v197, s23, v200
	v_mad_u32_u24 v198, v40, 36, v135
	v_mul_u32_u24_e32 v40, 36, v40
	v_and_b32_e32 v39, v39, v199
	v_xor_b32_e32 v199, vcc_lo, v196
	ds_read_b32 v196, v198 offset:544
	v_add_nc_u32_e32 v198, v135, v40
	v_and_b32_e32 v39, v39, v197
	; wave barrier
	v_and_b32_e32 v39, v39, v199
	v_mbcnt_lo_u32_b32 v197, v39, 0
	v_cmp_ne_u32_e64 s23, 0, v39
	v_cmp_eq_u32_e32 vcc_lo, 0, v197
	s_and_b32 s24, s23, vcc_lo
	s_and_saveexec_b32 s23, s24
	s_cbranch_execz .LBB1044_476
; %bb.475:                              ;   in Loop: Header=BB1044_418 Depth=2
	s_waitcnt lgkmcnt(0)
	v_bcnt_u32_b32 v39, v39, v196
	ds_write_b32 v198, v39 offset:544
.LBB1044_476:                           ;   in Loop: Header=BB1044_418 Depth=2
	s_or_b32 exec_lo, exec_lo, s23
	v_xor_b32_e32 v182, 0xffff8000, v182
	; wave barrier
	v_lshrrev_b32_sdwa v39, s61, v182 dst_sel:DWORD dst_unused:UNUSED_PAD src0_sel:DWORD src1_sel:WORD_0
	v_and_b32_e32 v40, s62, v39
	v_and_b32_e32 v39, 1, v40
	v_lshlrev_b32_e32 v199, 30, v40
	v_lshlrev_b32_e32 v200, 29, v40
	;; [unrolled: 1-line block ×4, first 2 shown]
	v_add_co_u32 v39, s23, v39, -1
	v_cndmask_b32_e64 v201, 0, 1, s23
	v_not_b32_e32 v205, v199
	v_cmp_gt_i32_e64 s23, 0, v199
	v_not_b32_e32 v199, v200
	v_lshlrev_b32_e32 v204, 26, v40
	v_cmp_ne_u32_e32 vcc_lo, 0, v201
	v_ashrrev_i32_e32 v205, 31, v205
	v_lshlrev_b32_e32 v201, 25, v40
	v_ashrrev_i32_e32 v199, 31, v199
	v_xor_b32_e32 v39, vcc_lo, v39
	v_cmp_gt_i32_e32 vcc_lo, 0, v200
	v_not_b32_e32 v200, v202
	v_xor_b32_e32 v205, s23, v205
	v_cmp_gt_i32_e64 s23, 0, v202
	v_and_b32_e32 v39, exec_lo, v39
	v_not_b32_e32 v202, v203
	v_ashrrev_i32_e32 v200, 31, v200
	v_xor_b32_e32 v199, vcc_lo, v199
	v_cmp_gt_i32_e32 vcc_lo, 0, v203
	v_and_b32_e32 v39, v39, v205
	v_not_b32_e32 v203, v204
	v_ashrrev_i32_e32 v202, 31, v202
	v_xor_b32_e32 v200, s23, v200
	v_cmp_gt_i32_e64 s23, 0, v204
	v_and_b32_e32 v39, v39, v199
	v_not_b32_e32 v199, v201
	v_ashrrev_i32_e32 v203, 31, v203
	v_xor_b32_e32 v202, vcc_lo, v202
	v_cmp_gt_i32_e32 vcc_lo, 0, v201
	v_and_b32_e32 v39, v39, v200
	v_ashrrev_i32_e32 v199, 31, v199
	v_xor_b32_e32 v200, s23, v203
	v_mad_u32_u24 v201, v40, 36, v135
	v_mul_u32_u24_e32 v40, 36, v40
	v_and_b32_e32 v39, v39, v202
	v_xor_b32_e32 v199, vcc_lo, v199
	v_add_nc_u32_e32 v202, v135, v40
	v_and_b32_e32 v39, v39, v200
	ds_read_b32 v200, v201 offset:544
	; wave barrier
	v_and_b32_e32 v39, v39, v199
	v_mbcnt_lo_u32_b32 v201, v39, 0
	v_cmp_ne_u32_e64 s23, 0, v39
	v_cmp_eq_u32_e32 vcc_lo, 0, v201
	s_and_b32 s24, s23, vcc_lo
	s_and_saveexec_b32 s23, s24
	s_cbranch_execz .LBB1044_478
; %bb.477:                              ;   in Loop: Header=BB1044_418 Depth=2
	s_waitcnt lgkmcnt(0)
	v_bcnt_u32_b32 v39, v39, v200
	ds_write_b32 v202, v39 offset:544
.LBB1044_478:                           ;   in Loop: Header=BB1044_418 Depth=2
	s_or_b32 exec_lo, exec_lo, s23
	v_xor_b32_e32 v199, 0xffff8000, v177
	; wave barrier
	v_lshrrev_b32_sdwa v39, s61, v199 dst_sel:DWORD dst_unused:UNUSED_PAD src0_sel:DWORD src1_sel:WORD_0
	v_and_b32_e32 v40, s62, v39
	v_and_b32_e32 v39, 1, v40
	v_lshlrev_b32_e32 v177, 30, v40
	v_lshlrev_b32_e32 v203, 29, v40
	v_lshlrev_b32_e32 v205, 28, v40
	v_lshlrev_b32_e32 v206, 27, v40
	v_add_co_u32 v39, s23, v39, -1
	v_cndmask_b32_e64 v204, 0, 1, s23
	v_not_b32_e32 v208, v177
	v_cmp_gt_i32_e64 s23, 0, v177
	v_not_b32_e32 v177, v203
	v_lshlrev_b32_e32 v207, 26, v40
	v_cmp_ne_u32_e32 vcc_lo, 0, v204
	v_ashrrev_i32_e32 v208, 31, v208
	v_lshlrev_b32_e32 v204, 25, v40
	v_ashrrev_i32_e32 v177, 31, v177
	v_xor_b32_e32 v39, vcc_lo, v39
	v_cmp_gt_i32_e32 vcc_lo, 0, v203
	v_not_b32_e32 v203, v205
	v_xor_b32_e32 v208, s23, v208
	v_cmp_gt_i32_e64 s23, 0, v205
	v_and_b32_e32 v39, exec_lo, v39
	v_not_b32_e32 v205, v206
	v_ashrrev_i32_e32 v203, 31, v203
	v_xor_b32_e32 v177, vcc_lo, v177
	v_cmp_gt_i32_e32 vcc_lo, 0, v206
	v_and_b32_e32 v39, v39, v208
	v_not_b32_e32 v206, v207
	v_ashrrev_i32_e32 v205, 31, v205
	v_xor_b32_e32 v203, s23, v203
	v_cmp_gt_i32_e64 s23, 0, v207
	v_and_b32_e32 v39, v39, v177
	v_not_b32_e32 v177, v204
	v_ashrrev_i32_e32 v206, 31, v206
	v_xor_b32_e32 v205, vcc_lo, v205
	v_cmp_gt_i32_e32 vcc_lo, 0, v204
	v_and_b32_e32 v39, v39, v203
	v_ashrrev_i32_e32 v177, 31, v177
	v_xor_b32_e32 v203, s23, v206
	v_mad_u32_u24 v204, v40, 36, v135
	v_mul_u32_u24_e32 v40, 36, v40
	v_and_b32_e32 v39, v39, v205
	v_xor_b32_e32 v177, vcc_lo, v177
	ds_read_b32 v204, v204 offset:544
	v_and_b32_e32 v39, v39, v203
	; wave barrier
	v_and_b32_e32 v39, v39, v177
	v_add_nc_u32_e32 v177, v135, v40
	v_mbcnt_lo_u32_b32 v205, v39, 0
	v_cmp_ne_u32_e64 s23, 0, v39
	v_cmp_eq_u32_e32 vcc_lo, 0, v205
	s_and_b32 s24, s23, vcc_lo
	s_and_saveexec_b32 s23, s24
	s_cbranch_execz .LBB1044_480
; %bb.479:                              ;   in Loop: Header=BB1044_418 Depth=2
	s_waitcnt lgkmcnt(0)
	v_bcnt_u32_b32 v39, v39, v204
	ds_write_b32 v177, v39 offset:544
.LBB1044_480:                           ;   in Loop: Header=BB1044_418 Depth=2
	s_or_b32 exec_lo, exec_lo, s23
	v_xor_b32_e32 v203, 0xffff8000, v173
	; wave barrier
	v_lshrrev_b32_sdwa v39, s61, v203 dst_sel:DWORD dst_unused:UNUSED_PAD src0_sel:DWORD src1_sel:WORD_0
	v_and_b32_e32 v40, s62, v39
	v_and_b32_e32 v39, 1, v40
	v_lshlrev_b32_e32 v173, 30, v40
	v_lshlrev_b32_e32 v206, 29, v40
	v_lshlrev_b32_e32 v208, 28, v40
	v_lshlrev_b32_e32 v209, 27, v40
	v_add_co_u32 v39, s23, v39, -1
	v_cndmask_b32_e64 v207, 0, 1, s23
	v_not_b32_e32 v211, v173
	v_cmp_gt_i32_e64 s23, 0, v173
	v_not_b32_e32 v173, v206
	v_lshlrev_b32_e32 v210, 26, v40
	v_cmp_ne_u32_e32 vcc_lo, 0, v207
	v_ashrrev_i32_e32 v211, 31, v211
	v_lshlrev_b32_e32 v207, 25, v40
	v_ashrrev_i32_e32 v173, 31, v173
	v_xor_b32_e32 v39, vcc_lo, v39
	v_cmp_gt_i32_e32 vcc_lo, 0, v206
	v_not_b32_e32 v206, v208
	v_xor_b32_e32 v211, s23, v211
	v_cmp_gt_i32_e64 s23, 0, v208
	v_and_b32_e32 v39, exec_lo, v39
	v_not_b32_e32 v208, v209
	v_ashrrev_i32_e32 v206, 31, v206
	v_xor_b32_e32 v173, vcc_lo, v173
	v_cmp_gt_i32_e32 vcc_lo, 0, v209
	v_and_b32_e32 v39, v39, v211
	v_not_b32_e32 v209, v210
	v_ashrrev_i32_e32 v208, 31, v208
	v_xor_b32_e32 v206, s23, v206
	v_cmp_gt_i32_e64 s23, 0, v210
	v_and_b32_e32 v39, v39, v173
	v_not_b32_e32 v173, v207
	v_ashrrev_i32_e32 v209, 31, v209
	v_xor_b32_e32 v208, vcc_lo, v208
	v_cmp_gt_i32_e32 vcc_lo, 0, v207
	v_and_b32_e32 v39, v39, v206
	v_ashrrev_i32_e32 v173, 31, v173
	v_xor_b32_e32 v206, s23, v209
	v_mad_u32_u24 v207, v40, 36, v135
	v_mul_u32_u24_e32 v40, 36, v40
	v_and_b32_e32 v39, v39, v208
	v_xor_b32_e32 v173, vcc_lo, v173
	ds_read_b32 v207, v207 offset:544
	v_and_b32_e32 v39, v39, v206
	; wave barrier
	v_and_b32_e32 v39, v39, v173
	v_add_nc_u32_e32 v173, v135, v40
	;; [unrolled: 63-line block ×3, first 2 shown]
	v_mbcnt_lo_u32_b32 v211, v39, 0
	v_cmp_ne_u32_e64 s23, 0, v39
	v_cmp_eq_u32_e32 vcc_lo, 0, v211
	s_and_b32 s24, s23, vcc_lo
	s_and_saveexec_b32 s23, s24
	s_cbranch_execz .LBB1044_484
; %bb.483:                              ;   in Loop: Header=BB1044_418 Depth=2
	s_waitcnt lgkmcnt(0)
	v_bcnt_u32_b32 v39, v39, v210
	ds_write_b32 v168, v39 offset:544
.LBB1044_484:                           ;   in Loop: Header=BB1044_418 Depth=2
	s_or_b32 exec_lo, exec_lo, s23
	v_xor_b32_e32 v209, 0xffff8000, v42
	; wave barrier
	v_lshrrev_b32_sdwa v39, s61, v209 dst_sel:DWORD dst_unused:UNUSED_PAD src0_sel:DWORD src1_sel:WORD_0
	v_and_b32_e32 v40, s62, v39
	v_and_b32_e32 v39, 1, v40
	v_lshlrev_b32_e32 v42, 30, v40
	v_lshlrev_b32_e32 v212, 29, v40
	;; [unrolled: 1-line block ×4, first 2 shown]
	v_add_co_u32 v39, s23, v39, -1
	v_cndmask_b32_e64 v213, 0, 1, s23
	v_not_b32_e32 v217, v42
	v_cmp_gt_i32_e64 s23, 0, v42
	v_not_b32_e32 v42, v212
	v_lshlrev_b32_e32 v216, 26, v40
	v_cmp_ne_u32_e32 vcc_lo, 0, v213
	v_ashrrev_i32_e32 v217, 31, v217
	v_lshlrev_b32_e32 v213, 25, v40
	v_ashrrev_i32_e32 v42, 31, v42
	v_xor_b32_e32 v39, vcc_lo, v39
	v_cmp_gt_i32_e32 vcc_lo, 0, v212
	v_not_b32_e32 v212, v214
	v_xor_b32_e32 v217, s23, v217
	v_cmp_gt_i32_e64 s23, 0, v214
	v_and_b32_e32 v39, exec_lo, v39
	v_not_b32_e32 v214, v215
	v_ashrrev_i32_e32 v212, 31, v212
	v_xor_b32_e32 v42, vcc_lo, v42
	v_cmp_gt_i32_e32 vcc_lo, 0, v215
	v_and_b32_e32 v39, v39, v217
	v_not_b32_e32 v215, v216
	v_ashrrev_i32_e32 v214, 31, v214
	v_xor_b32_e32 v212, s23, v212
	v_cmp_gt_i32_e64 s23, 0, v216
	v_and_b32_e32 v39, v39, v42
	v_not_b32_e32 v42, v213
	v_ashrrev_i32_e32 v215, 31, v215
	v_xor_b32_e32 v214, vcc_lo, v214
	v_cmp_gt_i32_e32 vcc_lo, 0, v213
	v_and_b32_e32 v39, v39, v212
	v_ashrrev_i32_e32 v42, 31, v42
	v_xor_b32_e32 v212, s23, v215
	v_mad_u32_u24 v213, v40, 36, v135
	v_mul_u32_u24_e32 v40, 36, v40
	v_and_b32_e32 v39, v39, v214
	v_xor_b32_e32 v42, vcc_lo, v42
	ds_read_b32 v213, v213 offset:544
	v_add_nc_u32_e32 v215, v135, v40
	v_and_b32_e32 v39, v39, v212
	; wave barrier
	v_and_b32_e32 v39, v39, v42
	v_mbcnt_lo_u32_b32 v214, v39, 0
	v_cmp_ne_u32_e64 s23, 0, v39
	v_cmp_eq_u32_e32 vcc_lo, 0, v214
	s_and_b32 s24, s23, vcc_lo
	s_and_saveexec_b32 s23, s24
	s_cbranch_execz .LBB1044_486
; %bb.485:                              ;   in Loop: Header=BB1044_418 Depth=2
	s_waitcnt lgkmcnt(0)
	v_bcnt_u32_b32 v39, v39, v213
	ds_write_b32 v215, v39 offset:544
.LBB1044_486:                           ;   in Loop: Header=BB1044_418 Depth=2
	s_or_b32 exec_lo, exec_lo, s23
	v_xor_b32_e32 v212, 0xffff8000, v41
	; wave barrier
	v_lshrrev_b32_sdwa v39, s61, v212 dst_sel:DWORD dst_unused:UNUSED_PAD src0_sel:DWORD src1_sel:WORD_0
	v_and_b32_e32 v40, s62, v39
	v_and_b32_e32 v39, 1, v40
	v_lshlrev_b32_e32 v41, 30, v40
	v_lshlrev_b32_e32 v42, 29, v40
	;; [unrolled: 1-line block ×4, first 2 shown]
	v_add_co_u32 v39, s23, v39, -1
	v_cndmask_b32_e64 v216, 0, 1, s23
	v_not_b32_e32 v220, v41
	v_cmp_gt_i32_e64 s23, 0, v41
	v_not_b32_e32 v41, v42
	v_lshlrev_b32_e32 v219, 26, v40
	v_cmp_ne_u32_e32 vcc_lo, 0, v216
	v_ashrrev_i32_e32 v220, 31, v220
	v_lshlrev_b32_e32 v216, 25, v40
	v_ashrrev_i32_e32 v41, 31, v41
	v_xor_b32_e32 v39, vcc_lo, v39
	v_cmp_gt_i32_e32 vcc_lo, 0, v42
	v_not_b32_e32 v42, v217
	v_xor_b32_e32 v220, s23, v220
	v_cmp_gt_i32_e64 s23, 0, v217
	v_and_b32_e32 v39, exec_lo, v39
	v_not_b32_e32 v217, v218
	v_ashrrev_i32_e32 v42, 31, v42
	v_xor_b32_e32 v41, vcc_lo, v41
	v_cmp_gt_i32_e32 vcc_lo, 0, v218
	v_and_b32_e32 v39, v39, v220
	v_not_b32_e32 v218, v219
	v_ashrrev_i32_e32 v217, 31, v217
	v_xor_b32_e32 v42, s23, v42
	v_cmp_gt_i32_e64 s23, 0, v219
	v_and_b32_e32 v39, v39, v41
	v_not_b32_e32 v41, v216
	v_ashrrev_i32_e32 v218, 31, v218
	v_xor_b32_e32 v217, vcc_lo, v217
	v_cmp_gt_i32_e32 vcc_lo, 0, v216
	v_and_b32_e32 v39, v39, v42
	v_ashrrev_i32_e32 v41, 31, v41
	v_xor_b32_e32 v42, s23, v218
	v_mad_u32_u24 v216, v40, 36, v135
	v_mul_u32_u24_e32 v40, 36, v40
	v_and_b32_e32 v39, v39, v217
	v_xor_b32_e32 v41, vcc_lo, v41
	ds_read_b32 v216, v216 offset:544
	v_add_nc_u32_e32 v218, v135, v40
	v_and_b32_e32 v39, v39, v42
	; wave barrier
	v_and_b32_e32 v39, v39, v41
	v_mbcnt_lo_u32_b32 v217, v39, 0
	v_cmp_ne_u32_e64 s23, 0, v39
	v_cmp_eq_u32_e32 vcc_lo, 0, v217
	s_and_b32 s24, s23, vcc_lo
	s_and_saveexec_b32 s23, s24
	s_cbranch_execz .LBB1044_488
; %bb.487:                              ;   in Loop: Header=BB1044_418 Depth=2
	s_waitcnt lgkmcnt(0)
	v_bcnt_u32_b32 v39, v39, v216
	ds_write_b32 v218, v39 offset:544
.LBB1044_488:                           ;   in Loop: Header=BB1044_418 Depth=2
	s_or_b32 exec_lo, exec_lo, s23
	v_lshrrev_b32_sdwa v39, s61, v3 dst_sel:DWORD dst_unused:UNUSED_PAD src0_sel:DWORD src1_sel:WORD_0
	; wave barrier
	v_and_b32_e32 v40, s62, v39
	v_and_b32_e32 v39, 1, v40
	v_lshlrev_b32_e32 v41, 30, v40
	v_lshlrev_b32_e32 v42, 29, v40
	;; [unrolled: 1-line block ×4, first 2 shown]
	v_add_co_u32 v39, s23, v39, -1
	v_cndmask_b32_e64 v219, 0, 1, s23
	v_not_b32_e32 v223, v41
	v_cmp_gt_i32_e64 s23, 0, v41
	v_not_b32_e32 v41, v42
	v_lshlrev_b32_e32 v222, 26, v40
	v_cmp_ne_u32_e32 vcc_lo, 0, v219
	v_ashrrev_i32_e32 v223, 31, v223
	v_lshlrev_b32_e32 v219, 25, v40
	v_ashrrev_i32_e32 v41, 31, v41
	v_xor_b32_e32 v39, vcc_lo, v39
	v_cmp_gt_i32_e32 vcc_lo, 0, v42
	v_not_b32_e32 v42, v220
	v_xor_b32_e32 v223, s23, v223
	v_cmp_gt_i32_e64 s23, 0, v220
	v_and_b32_e32 v39, exec_lo, v39
	v_not_b32_e32 v220, v221
	v_ashrrev_i32_e32 v42, 31, v42
	v_xor_b32_e32 v41, vcc_lo, v41
	v_cmp_gt_i32_e32 vcc_lo, 0, v221
	v_and_b32_e32 v39, v39, v223
	v_not_b32_e32 v221, v222
	v_ashrrev_i32_e32 v220, 31, v220
	v_xor_b32_e32 v42, s23, v42
	v_cmp_gt_i32_e64 s23, 0, v222
	v_and_b32_e32 v39, v39, v41
	v_not_b32_e32 v41, v219
	v_ashrrev_i32_e32 v221, 31, v221
	v_xor_b32_e32 v220, vcc_lo, v220
	v_cmp_gt_i32_e32 vcc_lo, 0, v219
	v_and_b32_e32 v39, v39, v42
	v_ashrrev_i32_e32 v41, 31, v41
	v_xor_b32_e32 v42, s23, v221
	v_mad_u32_u24 v219, v40, 36, v135
	v_mul_u32_u24_e32 v40, 36, v40
	v_and_b32_e32 v39, v39, v220
	v_xor_b32_e32 v41, vcc_lo, v41
	ds_read_b32 v219, v219 offset:544
	v_add_nc_u32_e32 v221, v135, v40
	v_and_b32_e32 v39, v39, v42
	; wave barrier
	v_and_b32_e32 v39, v39, v41
	v_mbcnt_lo_u32_b32 v220, v39, 0
	v_cmp_ne_u32_e64 s23, 0, v39
	v_cmp_eq_u32_e32 vcc_lo, 0, v220
	s_and_b32 s24, s23, vcc_lo
	s_and_saveexec_b32 s23, s24
	s_cbranch_execz .LBB1044_490
; %bb.489:                              ;   in Loop: Header=BB1044_418 Depth=2
	s_waitcnt lgkmcnt(0)
	v_bcnt_u32_b32 v39, v39, v219
	ds_write_b32 v221, v39 offset:544
.LBB1044_490:                           ;   in Loop: Header=BB1044_418 Depth=2
	s_or_b32 exec_lo, exec_lo, s23
	; wave barrier
	s_waitcnt lgkmcnt(0)
	s_barrier
	buffer_gl0_inv
	ds_read2_b32 v[41:42], v68 offset0:136 offset1:137
	ds_read2_b32 v[39:40], v68 offset0:138 offset1:139
	ds_read_b32 v222, v68 offset:560
	s_waitcnt lgkmcnt(1)
	v_add3_u32 v223, v42, v41, v39
	s_waitcnt lgkmcnt(0)
	v_add3_u32 v222, v223, v40, v222
	v_mov_b32_dpp v223, v222 row_shr:1 row_mask:0xf bank_mask:0xf
	v_cndmask_b32_e64 v223, v223, 0, s5
	v_add_nc_u32_e32 v222, v223, v222
	v_mov_b32_dpp v223, v222 row_shr:2 row_mask:0xf bank_mask:0xf
	v_cndmask_b32_e64 v223, 0, v223, s16
	v_add_nc_u32_e32 v222, v222, v223
	v_mov_b32_dpp v223, v222 row_shr:4 row_mask:0xf bank_mask:0xf
	v_cndmask_b32_e64 v223, 0, v223, s17
	v_add_nc_u32_e32 v222, v222, v223
	v_mov_b32_dpp v223, v222 row_shr:8 row_mask:0xf bank_mask:0xf
	v_cndmask_b32_e64 v223, 0, v223, s18
	v_add_nc_u32_e32 v222, v222, v223
	ds_swizzle_b32 v223, v222 offset:swizzle(BROADCAST,32,15)
	s_waitcnt lgkmcnt(0)
	v_cndmask_b32_e64 v223, v223, 0, s19
	v_add_nc_u32_e32 v222, v222, v223
	s_and_saveexec_b32 s23, s4
; %bb.491:                              ;   in Loop: Header=BB1044_418 Depth=2
	ds_write_b32 v62, v222 offset:512
; %bb.492:                              ;   in Loop: Header=BB1044_418 Depth=2
	s_or_b32 exec_lo, exec_lo, s23
	s_waitcnt lgkmcnt(0)
	s_barrier
	buffer_gl0_inv
	s_and_saveexec_b32 s23, s12
	s_cbranch_execz .LBB1044_494
; %bb.493:                              ;   in Loop: Header=BB1044_418 Depth=2
	ds_read_b32 v223, v69 offset:512
	s_waitcnt lgkmcnt(0)
	v_mov_b32_dpp v224, v223 row_shr:1 row_mask:0xf bank_mask:0xf
	v_cndmask_b32_e64 v224, v224, 0, s20
	v_add_nc_u32_e32 v223, v224, v223
	v_mov_b32_dpp v224, v223 row_shr:2 row_mask:0xf bank_mask:0xf
	v_cndmask_b32_e64 v224, 0, v224, s21
	v_add_nc_u32_e32 v223, v223, v224
	;; [unrolled: 3-line block ×3, first 2 shown]
	ds_write_b32 v69, v223 offset:512
.LBB1044_494:                           ;   in Loop: Header=BB1044_418 Depth=2
	s_or_b32 exec_lo, exec_lo, s23
	v_mov_b32_e32 v223, 0
	s_waitcnt lgkmcnt(0)
	s_barrier
	buffer_gl0_inv
	s_and_saveexec_b32 s23, s11
; %bb.495:                              ;   in Loop: Header=BB1044_418 Depth=2
	ds_read_b32 v223, v62 offset:508
; %bb.496:                              ;   in Loop: Header=BB1044_418 Depth=2
	s_or_b32 exec_lo, exec_lo, s23
	s_waitcnt lgkmcnt(0)
	v_add_nc_u32_e32 v222, v223, v222
	ds_bpermute_b32 v222, v125, v222
	s_waitcnt lgkmcnt(0)
	v_cndmask_b32_e64 v222, v222, v223, s15
	v_cndmask_b32_e64 v222, v222, 0, s13
	v_add_nc_u32_e32 v41, v222, v41
	v_add_nc_u32_e32 v42, v41, v42
	;; [unrolled: 1-line block ×4, first 2 shown]
	ds_write2_b32 v68, v222, v41 offset0:136 offset1:137
	ds_write2_b32 v68, v42, v39 offset0:138 offset1:139
	ds_write_b32 v68, v40 offset:560
	s_waitcnt lgkmcnt(0)
	s_barrier
	buffer_gl0_inv
	ds_read_b32 v41, v159 offset:544
	ds_read_b32 v42, v163 offset:544
	;; [unrolled: 1-line block ×17, first 2 shown]
	s_and_saveexec_b32 s23, s8
	s_cbranch_execz .LBB1044_500
; %bb.497:                              ;   in Loop: Header=BB1044_418 Depth=2
	ds_read_b32 v151, v71 offset:544
	v_mov_b32_e32 v154, 0x1100
	s_and_saveexec_b32 s24, s14
; %bb.498:                              ;   in Loop: Header=BB1044_418 Depth=2
	ds_read_b32 v154, v70 offset:544
; %bb.499:                              ;   in Loop: Header=BB1044_418 Depth=2
	s_or_b32 exec_lo, exec_lo, s24
	s_waitcnt lgkmcnt(0)
	v_sub_nc_u32_e32 v154, v154, v151
.LBB1044_500:                           ;   in Loop: Header=BB1044_418 Depth=2
	s_or_b32 exec_lo, exec_lo, s23
	s_waitcnt lgkmcnt(0)
	s_barrier
	buffer_gl0_inv
	s_and_saveexec_b32 s23, s8
	s_cbranch_execz .LBB1044_502
; %bb.501:                              ;   in Loop: Header=BB1044_418 Depth=2
	ds_read_b32 v168, v43
	s_waitcnt lgkmcnt(0)
	v_sub_nc_u32_e32 v168, v168, v151
	ds_write_b32 v43, v168
.LBB1044_502:                           ;   in Loop: Header=BB1044_418 Depth=2
	s_or_b32 exec_lo, exec_lo, s23
	v_add_nc_u32_e32 v178, v41, v158
	v_add3_u32 v177, v162, v161, v42
	v_add3_u32 v173, v166, v165, v163
	;; [unrolled: 1-line block ×5, first 2 shown]
	v_lshlrev_b32_e32 v175, 1, v178
	v_lshlrev_b32_e32 v176, 1, v177
	v_add3_u32 v161, v217, v216, v39
	v_lshlrev_b32_e32 v39, 1, v173
	v_add3_u32 v170, v181, v180, v183
	v_add3_u32 v167, v191, v190, v192
	;; [unrolled: 1-line block ×5, first 2 shown]
	ds_write_b16 v175, v156 offset:512
	ds_write_b16 v176, v157 offset:512
	v_lshlrev_b32_e32 v40, 1, v172
	ds_write_b16 v39, v160 offset:512
	v_lshlrev_b32_e32 v39, 1, v168
	v_add3_u32 v165, v197, v196, v198
	v_lshlrev_b32_e32 v156, 1, v171
	v_add3_u32 v163, v201, v200, v202
	;; [unrolled: 2-line block ×3, first 2 shown]
	v_add3_u32 v42, v208, v207, v224
	ds_write_b16 v40, v164 offset:512
	ds_write_b16 v156, v169 offset:512
	;; [unrolled: 1-line block ×3, first 2 shown]
	v_lshlrev_b32_e32 v40, 1, v167
	ds_write_b16 v39, v179 offset:512
	v_lshlrev_b32_e32 v39, 1, v166
	v_lshlrev_b32_e32 v156, 1, v165
	;; [unrolled: 1-line block ×3, first 2 shown]
	v_add3_u32 v41, v211, v210, v225
	ds_write_b16 v40, v184 offset:512
	v_lshlrev_b32_e32 v40, 1, v162
	ds_write_b16 v39, v189 offset:512
	ds_write_b16 v156, v187 offset:512
	;; [unrolled: 1-line block ×3, first 2 shown]
	v_lshlrev_b32_e32 v39, 1, v42
	v_cmp_lt_u32_e32 vcc_lo, v0, v155
	v_lshlrev_b32_e32 v156, 1, v158
	ds_write_b16 v40, v199 offset:512
	v_lshlrev_b32_e32 v40, 1, v41
	ds_write_b16 v39, v203 offset:512
	v_lshlrev_b32_e32 v39, 1, v159
	v_lshlrev_b32_e32 v157, 1, v161
	ds_write_b16 v40, v206 offset:512
	ds_write_b16 v156, v209 offset:512
	ds_write_b16 v157, v212 offset:512
	ds_write_b16 v39, v3 offset:512
	s_waitcnt lgkmcnt(0)
	s_barrier
	buffer_gl0_inv
	s_and_saveexec_b32 s24, vcc_lo
	s_cbranch_execnz .LBB1044_575
; %bb.503:                              ;   in Loop: Header=BB1044_418 Depth=2
	s_or_b32 exec_lo, exec_lo, s24
	v_cmp_lt_u32_e64 s23, v44, v155
	s_and_saveexec_b32 s25, s23
	s_cbranch_execnz .LBB1044_576
.LBB1044_504:                           ;   in Loop: Header=BB1044_418 Depth=2
	s_or_b32 exec_lo, exec_lo, s25
	v_cmp_lt_u32_e64 s24, v47, v155
	s_and_saveexec_b32 s26, s24
	s_cbranch_execnz .LBB1044_577
.LBB1044_505:                           ;   in Loop: Header=BB1044_418 Depth=2
	s_or_b32 exec_lo, exec_lo, s26
	v_cmp_lt_u32_e64 s25, v48, v155
	s_and_saveexec_b32 s27, s25
	s_cbranch_execnz .LBB1044_578
.LBB1044_506:                           ;   in Loop: Header=BB1044_418 Depth=2
	s_or_b32 exec_lo, exec_lo, s27
	v_cmp_lt_u32_e64 s26, v49, v155
	s_and_saveexec_b32 s28, s26
	s_cbranch_execnz .LBB1044_579
.LBB1044_507:                           ;   in Loop: Header=BB1044_418 Depth=2
	s_or_b32 exec_lo, exec_lo, s28
	v_cmp_lt_u32_e64 s27, v50, v155
	s_and_saveexec_b32 s29, s27
	s_cbranch_execnz .LBB1044_580
.LBB1044_508:                           ;   in Loop: Header=BB1044_418 Depth=2
	s_or_b32 exec_lo, exec_lo, s29
	v_cmp_lt_u32_e64 s28, v51, v155
	s_and_saveexec_b32 s30, s28
	s_cbranch_execnz .LBB1044_581
.LBB1044_509:                           ;   in Loop: Header=BB1044_418 Depth=2
	s_or_b32 exec_lo, exec_lo, s30
	v_cmp_lt_u32_e64 s29, v52, v155
	s_and_saveexec_b32 s31, s29
	s_cbranch_execnz .LBB1044_582
.LBB1044_510:                           ;   in Loop: Header=BB1044_418 Depth=2
	s_or_b32 exec_lo, exec_lo, s31
	v_cmp_lt_u32_e64 s30, v53, v155
	s_and_saveexec_b32 s33, s30
	s_cbranch_execnz .LBB1044_583
.LBB1044_511:                           ;   in Loop: Header=BB1044_418 Depth=2
	s_or_b32 exec_lo, exec_lo, s33
	v_cmp_lt_u32_e64 s31, v54, v155
	s_and_saveexec_b32 s34, s31
	s_cbranch_execnz .LBB1044_584
.LBB1044_512:                           ;   in Loop: Header=BB1044_418 Depth=2
	s_or_b32 exec_lo, exec_lo, s34
	v_cmp_lt_u32_e64 s33, v55, v155
	s_and_saveexec_b32 s35, s33
	s_cbranch_execnz .LBB1044_585
.LBB1044_513:                           ;   in Loop: Header=BB1044_418 Depth=2
	s_or_b32 exec_lo, exec_lo, s35
	v_cmp_lt_u32_e64 s34, v56, v155
	s_and_saveexec_b32 s36, s34
	s_cbranch_execnz .LBB1044_586
.LBB1044_514:                           ;   in Loop: Header=BB1044_418 Depth=2
	s_or_b32 exec_lo, exec_lo, s36
	v_cmp_lt_u32_e64 s35, v57, v155
	s_and_saveexec_b32 s37, s35
	s_cbranch_execnz .LBB1044_587
.LBB1044_515:                           ;   in Loop: Header=BB1044_418 Depth=2
	s_or_b32 exec_lo, exec_lo, s37
	v_cmp_lt_u32_e64 s36, v58, v155
	s_and_saveexec_b32 s38, s36
	s_cbranch_execnz .LBB1044_588
.LBB1044_516:                           ;   in Loop: Header=BB1044_418 Depth=2
	s_or_b32 exec_lo, exec_lo, s38
	v_cmp_lt_u32_e64 s37, v59, v155
	s_and_saveexec_b32 s39, s37
	s_cbranch_execnz .LBB1044_589
.LBB1044_517:                           ;   in Loop: Header=BB1044_418 Depth=2
	s_or_b32 exec_lo, exec_lo, s39
	v_cmp_lt_u32_e64 s38, v60, v155
	s_and_saveexec_b32 s40, s38
	s_cbranch_execnz .LBB1044_590
.LBB1044_518:                           ;   in Loop: Header=BB1044_418 Depth=2
	s_or_b32 exec_lo, exec_lo, s40
	v_cmp_lt_u32_e64 s39, v61, v155
	s_and_saveexec_b32 s65, s39
	s_cbranch_execz .LBB1044_520
.LBB1044_519:                           ;   in Loop: Header=BB1044_418 Depth=2
	ds_read_u16 v156, v74 offset:8704
	s_waitcnt lgkmcnt(0)
	v_lshrrev_b32_sdwa v3, s61, v156 dst_sel:DWORD dst_unused:UNUSED_PAD src0_sel:DWORD src1_sel:WORD_0
	v_and_b32_e32 v3, s62, v3
	v_lshlrev_b32_e32 v3, 2, v3
	ds_read_b32 v3, v3
	s_waitcnt lgkmcnt(0)
	v_add_nc_u32_e32 v3, v3, v61
	v_lshlrev_b64 v[39:40], 1, v[3:4]
	v_xor_b32_e32 v3, 0xffff8000, v156
	v_add_co_u32 v39, s40, s48, v39
	v_add_co_ci_u32_e64 v40, null, s49, v40, s40
	global_store_short v[39:40], v3, off
.LBB1044_520:                           ;   in Loop: Header=BB1044_418 Depth=2
	s_or_b32 exec_lo, exec_lo, s65
	s_lshl_b64 s[66:67], s[50:51], 3
	v_add_co_u32 v39, s40, v126, s66
	v_add_co_ci_u32_e64 v40, null, s67, v127, s40
	v_cmp_lt_u32_e64 s40, v94, v155
	s_and_saveexec_b32 s50, s40
	s_xor_b32 s40, exec_lo, s50
	s_cbranch_execnz .LBB1044_591
; %bb.521:                              ;   in Loop: Header=BB1044_418 Depth=2
	s_or_b32 exec_lo, exec_lo, s40
	s_mov_b32 s50, exec_lo
	v_cmpx_lt_u32_e64 v98, v155
	s_cbranch_execnz .LBB1044_592
.LBB1044_522:                           ;   in Loop: Header=BB1044_418 Depth=2
	s_or_b32 exec_lo, exec_lo, s50
	s_mov_b32 s50, exec_lo
	v_cmpx_lt_u32_e64 v99, v155
	s_cbranch_execnz .LBB1044_593
.LBB1044_523:                           ;   in Loop: Header=BB1044_418 Depth=2
	s_or_b32 exec_lo, exec_lo, s50
	s_mov_b32 s50, exec_lo
	v_cmpx_lt_u32_e64 v100, v155
	s_cbranch_execnz .LBB1044_594
.LBB1044_524:                           ;   in Loop: Header=BB1044_418 Depth=2
	s_or_b32 exec_lo, exec_lo, s50
	s_mov_b32 s50, exec_lo
	v_cmpx_lt_u32_e64 v101, v155
	s_cbranch_execnz .LBB1044_595
.LBB1044_525:                           ;   in Loop: Header=BB1044_418 Depth=2
	s_or_b32 exec_lo, exec_lo, s50
	s_mov_b32 s50, exec_lo
	v_cmpx_lt_u32_e64 v102, v155
	s_cbranch_execnz .LBB1044_596
.LBB1044_526:                           ;   in Loop: Header=BB1044_418 Depth=2
	s_or_b32 exec_lo, exec_lo, s50
	s_mov_b32 s50, exec_lo
	v_cmpx_lt_u32_e64 v103, v155
	s_cbranch_execnz .LBB1044_597
.LBB1044_527:                           ;   in Loop: Header=BB1044_418 Depth=2
	s_or_b32 exec_lo, exec_lo, s50
	s_mov_b32 s50, exec_lo
	v_cmpx_lt_u32_e64 v104, v155
	s_cbranch_execnz .LBB1044_598
.LBB1044_528:                           ;   in Loop: Header=BB1044_418 Depth=2
	s_or_b32 exec_lo, exec_lo, s50
	s_mov_b32 s50, exec_lo
	v_cmpx_lt_u32_e64 v105, v155
	s_cbranch_execnz .LBB1044_599
.LBB1044_529:                           ;   in Loop: Header=BB1044_418 Depth=2
	s_or_b32 exec_lo, exec_lo, s50
	s_mov_b32 s50, exec_lo
	v_cmpx_lt_u32_e64 v106, v155
	s_cbranch_execnz .LBB1044_600
.LBB1044_530:                           ;   in Loop: Header=BB1044_418 Depth=2
	s_or_b32 exec_lo, exec_lo, s50
	s_mov_b32 s50, exec_lo
	v_cmpx_lt_u32_e64 v107, v155
	s_cbranch_execnz .LBB1044_601
.LBB1044_531:                           ;   in Loop: Header=BB1044_418 Depth=2
	s_or_b32 exec_lo, exec_lo, s50
	s_mov_b32 s50, exec_lo
	v_cmpx_lt_u32_e64 v108, v155
	s_cbranch_execnz .LBB1044_602
.LBB1044_532:                           ;   in Loop: Header=BB1044_418 Depth=2
	s_or_b32 exec_lo, exec_lo, s50
	s_mov_b32 s50, exec_lo
	v_cmpx_lt_u32_e64 v128, v155
	s_cbranch_execnz .LBB1044_603
.LBB1044_533:                           ;   in Loop: Header=BB1044_418 Depth=2
	s_or_b32 exec_lo, exec_lo, s50
	s_mov_b32 s50, exec_lo
	v_cmpx_lt_u32_e64 v129, v155
	s_cbranch_execnz .LBB1044_604
.LBB1044_534:                           ;   in Loop: Header=BB1044_418 Depth=2
	s_or_b32 exec_lo, exec_lo, s50
	s_mov_b32 s50, exec_lo
	v_cmpx_lt_u32_e64 v130, v155
	s_cbranch_execnz .LBB1044_605
.LBB1044_535:                           ;   in Loop: Header=BB1044_418 Depth=2
	s_or_b32 exec_lo, exec_lo, s50
	s_mov_b32 s50, exec_lo
	v_cmpx_lt_u32_e64 v131, v155
	s_cbranch_execnz .LBB1044_606
.LBB1044_536:                           ;   in Loop: Header=BB1044_418 Depth=2
	s_or_b32 exec_lo, exec_lo, s50
	s_mov_b32 s50, exec_lo
	v_cmpx_lt_u32_e64 v132, v155
	s_cbranch_execnz .LBB1044_607
.LBB1044_537:                           ;   in Loop: Header=BB1044_418 Depth=2
	s_or_b32 exec_lo, exec_lo, s50
	s_and_saveexec_b32 s40, vcc_lo
	s_cbranch_execnz .LBB1044_608
.LBB1044_538:                           ;   in Loop: Header=BB1044_418 Depth=2
	s_or_b32 exec_lo, exec_lo, s40
	s_and_saveexec_b32 s40, s23
	s_cbranch_execnz .LBB1044_609
.LBB1044_539:                           ;   in Loop: Header=BB1044_418 Depth=2
	s_or_b32 exec_lo, exec_lo, s40
	s_and_saveexec_b32 s40, s24
	s_cbranch_execnz .LBB1044_610
.LBB1044_540:                           ;   in Loop: Header=BB1044_418 Depth=2
	s_or_b32 exec_lo, exec_lo, s40
	s_and_saveexec_b32 s40, s25
	s_cbranch_execnz .LBB1044_611
.LBB1044_541:                           ;   in Loop: Header=BB1044_418 Depth=2
	s_or_b32 exec_lo, exec_lo, s40
	s_and_saveexec_b32 s40, s26
	s_cbranch_execnz .LBB1044_612
.LBB1044_542:                           ;   in Loop: Header=BB1044_418 Depth=2
	s_or_b32 exec_lo, exec_lo, s40
	s_and_saveexec_b32 s40, s27
	s_cbranch_execnz .LBB1044_613
.LBB1044_543:                           ;   in Loop: Header=BB1044_418 Depth=2
	s_or_b32 exec_lo, exec_lo, s40
	s_and_saveexec_b32 s40, s28
	s_cbranch_execnz .LBB1044_614
.LBB1044_544:                           ;   in Loop: Header=BB1044_418 Depth=2
	s_or_b32 exec_lo, exec_lo, s40
	s_and_saveexec_b32 s40, s29
	s_cbranch_execnz .LBB1044_615
.LBB1044_545:                           ;   in Loop: Header=BB1044_418 Depth=2
	s_or_b32 exec_lo, exec_lo, s40
	s_and_saveexec_b32 s40, s30
	s_cbranch_execnz .LBB1044_616
.LBB1044_546:                           ;   in Loop: Header=BB1044_418 Depth=2
	s_or_b32 exec_lo, exec_lo, s40
	s_and_saveexec_b32 s40, s31
	s_cbranch_execnz .LBB1044_617
.LBB1044_547:                           ;   in Loop: Header=BB1044_418 Depth=2
	s_or_b32 exec_lo, exec_lo, s40
	s_and_saveexec_b32 s40, s33
	s_cbranch_execnz .LBB1044_618
.LBB1044_548:                           ;   in Loop: Header=BB1044_418 Depth=2
	s_or_b32 exec_lo, exec_lo, s40
	s_and_saveexec_b32 s40, s34
	s_cbranch_execnz .LBB1044_619
.LBB1044_549:                           ;   in Loop: Header=BB1044_418 Depth=2
	s_or_b32 exec_lo, exec_lo, s40
	s_and_saveexec_b32 s40, s35
	s_cbranch_execnz .LBB1044_620
.LBB1044_550:                           ;   in Loop: Header=BB1044_418 Depth=2
	s_or_b32 exec_lo, exec_lo, s40
	s_and_saveexec_b32 s40, s36
	s_cbranch_execnz .LBB1044_621
.LBB1044_551:                           ;   in Loop: Header=BB1044_418 Depth=2
	s_or_b32 exec_lo, exec_lo, s40
	s_and_saveexec_b32 s40, s37
	s_cbranch_execnz .LBB1044_622
.LBB1044_552:                           ;   in Loop: Header=BB1044_418 Depth=2
	s_or_b32 exec_lo, exec_lo, s40
	s_and_saveexec_b32 s40, s38
	s_cbranch_execnz .LBB1044_623
.LBB1044_553:                           ;   in Loop: Header=BB1044_418 Depth=2
	s_or_b32 exec_lo, exec_lo, s40
	s_and_saveexec_b32 s40, s39
	s_cbranch_execz .LBB1044_555
.LBB1044_554:                           ;   in Loop: Header=BB1044_418 Depth=2
	ds_read_u16 v3, v74 offset:8704
	s_waitcnt lgkmcnt(0)
	v_lshrrev_b32_e32 v3, s61, v3
	v_and_b32_e32 v136, s62, v3
.LBB1044_555:                           ;   in Loop: Header=BB1044_418 Depth=2
	s_or_b32 exec_lo, exec_lo, s40
	v_lshlrev_b32_e32 v3, 3, v178
	v_lshlrev_b32_e32 v39, 3, v177
	s_waitcnt vmcnt(0)
	s_waitcnt_vscnt null, 0x0
	s_barrier
	buffer_gl0_inv
	ds_write_b64 v3, v[37:38] offset:512
	ds_write_b64 v39, v[35:36] offset:512
	v_lshlrev_b32_e32 v3, 3, v173
	v_lshlrev_b32_e32 v39, 3, v172
	v_lshlrev_b32_e32 v40, 3, v171
	v_lshlrev_b32_e32 v155, 3, v170
	v_lshlrev_b32_e32 v156, 3, v168
	ds_write_b64 v3, v[33:34] offset:512
	ds_write_b64 v39, v[31:32] offset:512
	ds_write_b64 v40, v[29:30] offset:512
	ds_write_b64 v155, v[25:26] offset:512
	ds_write_b64 v156, v[21:22] offset:512
	v_lshlrev_b32_e32 v3, 3, v167
	v_lshlrev_b32_e32 v39, 3, v166
	v_lshlrev_b32_e32 v40, 3, v165
	v_lshlrev_b32_e32 v155, 3, v163
	v_lshlrev_b32_e32 v156, 3, v162
	ds_write_b64 v3, v[17:18] offset:512
	ds_write_b64 v39, v[27:28] offset:512
	ds_write_b64 v40, v[23:24] offset:512
	;; [unrolled: 10-line block ×3, first 2 shown]
	ds_write_b64 v41, v[7:8] offset:512
	ds_write_b64 v42, v[5:6] offset:512
	s_waitcnt lgkmcnt(0)
	s_barrier
	buffer_gl0_inv
	s_and_saveexec_b32 s40, vcc_lo
	s_cbranch_execnz .LBB1044_624
; %bb.556:                              ;   in Loop: Header=BB1044_418 Depth=2
	s_or_b32 exec_lo, exec_lo, s40
	s_and_saveexec_b32 s40, s23
	s_cbranch_execnz .LBB1044_625
.LBB1044_557:                           ;   in Loop: Header=BB1044_418 Depth=2
	s_or_b32 exec_lo, exec_lo, s40
	s_and_saveexec_b32 s23, s24
	s_cbranch_execnz .LBB1044_626
.LBB1044_558:                           ;   in Loop: Header=BB1044_418 Depth=2
	s_or_b32 exec_lo, exec_lo, s23
	s_and_saveexec_b32 s23, s25
	s_cbranch_execnz .LBB1044_627
.LBB1044_559:                           ;   in Loop: Header=BB1044_418 Depth=2
	s_or_b32 exec_lo, exec_lo, s23
	s_and_saveexec_b32 s23, s26
	s_cbranch_execnz .LBB1044_628
.LBB1044_560:                           ;   in Loop: Header=BB1044_418 Depth=2
	s_or_b32 exec_lo, exec_lo, s23
	s_and_saveexec_b32 s23, s27
	s_cbranch_execnz .LBB1044_629
.LBB1044_561:                           ;   in Loop: Header=BB1044_418 Depth=2
	s_or_b32 exec_lo, exec_lo, s23
	s_and_saveexec_b32 s23, s28
	s_cbranch_execnz .LBB1044_630
.LBB1044_562:                           ;   in Loop: Header=BB1044_418 Depth=2
	s_or_b32 exec_lo, exec_lo, s23
	s_and_saveexec_b32 s23, s29
	s_cbranch_execnz .LBB1044_631
.LBB1044_563:                           ;   in Loop: Header=BB1044_418 Depth=2
	s_or_b32 exec_lo, exec_lo, s23
	s_and_saveexec_b32 s23, s30
	s_cbranch_execnz .LBB1044_632
.LBB1044_564:                           ;   in Loop: Header=BB1044_418 Depth=2
	s_or_b32 exec_lo, exec_lo, s23
	s_and_saveexec_b32 s23, s31
	s_cbranch_execnz .LBB1044_633
.LBB1044_565:                           ;   in Loop: Header=BB1044_418 Depth=2
	s_or_b32 exec_lo, exec_lo, s23
	s_and_saveexec_b32 s23, s33
	s_cbranch_execnz .LBB1044_634
.LBB1044_566:                           ;   in Loop: Header=BB1044_418 Depth=2
	s_or_b32 exec_lo, exec_lo, s23
	s_and_saveexec_b32 s23, s34
	s_cbranch_execnz .LBB1044_635
.LBB1044_567:                           ;   in Loop: Header=BB1044_418 Depth=2
	s_or_b32 exec_lo, exec_lo, s23
	s_and_saveexec_b32 s23, s35
	s_cbranch_execnz .LBB1044_636
.LBB1044_568:                           ;   in Loop: Header=BB1044_418 Depth=2
	s_or_b32 exec_lo, exec_lo, s23
	s_and_saveexec_b32 s23, s36
	s_cbranch_execnz .LBB1044_637
.LBB1044_569:                           ;   in Loop: Header=BB1044_418 Depth=2
	s_or_b32 exec_lo, exec_lo, s23
	s_and_saveexec_b32 s23, s37
	s_cbranch_execnz .LBB1044_638
.LBB1044_570:                           ;   in Loop: Header=BB1044_418 Depth=2
	s_or_b32 exec_lo, exec_lo, s23
	s_and_saveexec_b32 s23, s38
	s_cbranch_execnz .LBB1044_639
.LBB1044_571:                           ;   in Loop: Header=BB1044_418 Depth=2
	s_or_b32 exec_lo, exec_lo, s23
	s_and_saveexec_b32 s23, s39
	s_cbranch_execz .LBB1044_573
.LBB1044_572:                           ;   in Loop: Header=BB1044_418 Depth=2
	v_lshlrev_b32_e32 v3, 2, v136
	v_add_nc_u32_e32 v39, v74, v75
	ds_read_b32 v3, v3
	ds_read_b64 v[39:40], v39 offset:33280
	s_waitcnt lgkmcnt(1)
	v_add_nc_u32_e32 v3, v3, v61
	v_lshlrev_b64 v[41:42], 3, v[3:4]
	v_add_co_u32 v41, vcc_lo, s54, v41
	v_add_co_ci_u32_e64 v42, null, s55, v42, vcc_lo
	s_waitcnt lgkmcnt(0)
	global_store_dwordx2 v[41:42], v[39:40], off
.LBB1044_573:                           ;   in Loop: Header=BB1044_418 Depth=2
	s_or_b32 exec_lo, exec_lo, s23
	s_waitcnt_vscnt null, 0x0
	s_barrier
	buffer_gl0_inv
	s_and_saveexec_b32 s23, s8
	s_cbranch_execz .LBB1044_417
; %bb.574:                              ;   in Loop: Header=BB1044_418 Depth=2
	ds_read_b32 v3, v43
	s_waitcnt lgkmcnt(0)
	v_add3_u32 v3, v151, v154, v3
	ds_write_b32 v43, v3
	s_branch .LBB1044_417
.LBB1044_575:                           ;   in Loop: Header=BB1044_418 Depth=2
	ds_read_u16 v156, v74 offset:512
	s_waitcnt lgkmcnt(0)
	v_lshrrev_b32_sdwa v3, s61, v156 dst_sel:DWORD dst_unused:UNUSED_PAD src0_sel:DWORD src1_sel:WORD_0
	v_and_b32_e32 v3, s62, v3
	v_lshlrev_b32_e32 v3, 2, v3
	ds_read_b32 v3, v3
	s_waitcnt lgkmcnt(0)
	v_add_nc_u32_e32 v3, v3, v0
	v_lshlrev_b64 v[39:40], 1, v[3:4]
	v_xor_b32_e32 v3, 0xffff8000, v156
	v_add_co_u32 v39, s23, s48, v39
	v_add_co_ci_u32_e64 v40, null, s49, v40, s23
	global_store_short v[39:40], v3, off
	s_or_b32 exec_lo, exec_lo, s24
	v_cmp_lt_u32_e64 s23, v44, v155
	s_and_saveexec_b32 s25, s23
	s_cbranch_execz .LBB1044_504
.LBB1044_576:                           ;   in Loop: Header=BB1044_418 Depth=2
	ds_read_u16 v156, v74 offset:1024
	s_waitcnt lgkmcnt(0)
	v_lshrrev_b32_sdwa v3, s61, v156 dst_sel:DWORD dst_unused:UNUSED_PAD src0_sel:DWORD src1_sel:WORD_0
	v_and_b32_e32 v3, s62, v3
	v_lshlrev_b32_e32 v3, 2, v3
	ds_read_b32 v3, v3
	s_waitcnt lgkmcnt(0)
	v_add_nc_u32_e32 v3, v3, v44
	v_lshlrev_b64 v[39:40], 1, v[3:4]
	v_xor_b32_e32 v3, 0xffff8000, v156
	v_add_co_u32 v39, s24, s48, v39
	v_add_co_ci_u32_e64 v40, null, s49, v40, s24
	global_store_short v[39:40], v3, off
	s_or_b32 exec_lo, exec_lo, s25
	v_cmp_lt_u32_e64 s24, v47, v155
	s_and_saveexec_b32 s26, s24
	s_cbranch_execz .LBB1044_505
.LBB1044_577:                           ;   in Loop: Header=BB1044_418 Depth=2
	ds_read_u16 v156, v74 offset:1536
	s_waitcnt lgkmcnt(0)
	v_lshrrev_b32_sdwa v3, s61, v156 dst_sel:DWORD dst_unused:UNUSED_PAD src0_sel:DWORD src1_sel:WORD_0
	v_and_b32_e32 v3, s62, v3
	v_lshlrev_b32_e32 v3, 2, v3
	ds_read_b32 v3, v3
	s_waitcnt lgkmcnt(0)
	v_add_nc_u32_e32 v3, v3, v47
	v_lshlrev_b64 v[39:40], 1, v[3:4]
	v_xor_b32_e32 v3, 0xffff8000, v156
	v_add_co_u32 v39, s25, s48, v39
	v_add_co_ci_u32_e64 v40, null, s49, v40, s25
	global_store_short v[39:40], v3, off
	s_or_b32 exec_lo, exec_lo, s26
	v_cmp_lt_u32_e64 s25, v48, v155
	s_and_saveexec_b32 s27, s25
	s_cbranch_execz .LBB1044_506
.LBB1044_578:                           ;   in Loop: Header=BB1044_418 Depth=2
	ds_read_u16 v156, v74 offset:2048
	s_waitcnt lgkmcnt(0)
	v_lshrrev_b32_sdwa v3, s61, v156 dst_sel:DWORD dst_unused:UNUSED_PAD src0_sel:DWORD src1_sel:WORD_0
	v_and_b32_e32 v3, s62, v3
	v_lshlrev_b32_e32 v3, 2, v3
	ds_read_b32 v3, v3
	s_waitcnt lgkmcnt(0)
	v_add_nc_u32_e32 v3, v3, v48
	v_lshlrev_b64 v[39:40], 1, v[3:4]
	v_xor_b32_e32 v3, 0xffff8000, v156
	v_add_co_u32 v39, s26, s48, v39
	v_add_co_ci_u32_e64 v40, null, s49, v40, s26
	global_store_short v[39:40], v3, off
	s_or_b32 exec_lo, exec_lo, s27
	v_cmp_lt_u32_e64 s26, v49, v155
	s_and_saveexec_b32 s28, s26
	s_cbranch_execz .LBB1044_507
.LBB1044_579:                           ;   in Loop: Header=BB1044_418 Depth=2
	ds_read_u16 v156, v74 offset:2560
	s_waitcnt lgkmcnt(0)
	v_lshrrev_b32_sdwa v3, s61, v156 dst_sel:DWORD dst_unused:UNUSED_PAD src0_sel:DWORD src1_sel:WORD_0
	v_and_b32_e32 v3, s62, v3
	v_lshlrev_b32_e32 v3, 2, v3
	ds_read_b32 v3, v3
	s_waitcnt lgkmcnt(0)
	v_add_nc_u32_e32 v3, v3, v49
	v_lshlrev_b64 v[39:40], 1, v[3:4]
	v_xor_b32_e32 v3, 0xffff8000, v156
	v_add_co_u32 v39, s27, s48, v39
	v_add_co_ci_u32_e64 v40, null, s49, v40, s27
	global_store_short v[39:40], v3, off
	s_or_b32 exec_lo, exec_lo, s28
	v_cmp_lt_u32_e64 s27, v50, v155
	s_and_saveexec_b32 s29, s27
	s_cbranch_execz .LBB1044_508
.LBB1044_580:                           ;   in Loop: Header=BB1044_418 Depth=2
	ds_read_u16 v156, v74 offset:3072
	s_waitcnt lgkmcnt(0)
	v_lshrrev_b32_sdwa v3, s61, v156 dst_sel:DWORD dst_unused:UNUSED_PAD src0_sel:DWORD src1_sel:WORD_0
	v_and_b32_e32 v3, s62, v3
	v_lshlrev_b32_e32 v3, 2, v3
	ds_read_b32 v3, v3
	s_waitcnt lgkmcnt(0)
	v_add_nc_u32_e32 v3, v3, v50
	v_lshlrev_b64 v[39:40], 1, v[3:4]
	v_xor_b32_e32 v3, 0xffff8000, v156
	v_add_co_u32 v39, s28, s48, v39
	v_add_co_ci_u32_e64 v40, null, s49, v40, s28
	global_store_short v[39:40], v3, off
	s_or_b32 exec_lo, exec_lo, s29
	v_cmp_lt_u32_e64 s28, v51, v155
	s_and_saveexec_b32 s30, s28
	s_cbranch_execz .LBB1044_509
.LBB1044_581:                           ;   in Loop: Header=BB1044_418 Depth=2
	ds_read_u16 v156, v74 offset:3584
	s_waitcnt lgkmcnt(0)
	v_lshrrev_b32_sdwa v3, s61, v156 dst_sel:DWORD dst_unused:UNUSED_PAD src0_sel:DWORD src1_sel:WORD_0
	v_and_b32_e32 v3, s62, v3
	v_lshlrev_b32_e32 v3, 2, v3
	ds_read_b32 v3, v3
	s_waitcnt lgkmcnt(0)
	v_add_nc_u32_e32 v3, v3, v51
	v_lshlrev_b64 v[39:40], 1, v[3:4]
	v_xor_b32_e32 v3, 0xffff8000, v156
	v_add_co_u32 v39, s29, s48, v39
	v_add_co_ci_u32_e64 v40, null, s49, v40, s29
	global_store_short v[39:40], v3, off
	s_or_b32 exec_lo, exec_lo, s30
	v_cmp_lt_u32_e64 s29, v52, v155
	s_and_saveexec_b32 s31, s29
	s_cbranch_execz .LBB1044_510
.LBB1044_582:                           ;   in Loop: Header=BB1044_418 Depth=2
	ds_read_u16 v156, v74 offset:4096
	s_waitcnt lgkmcnt(0)
	v_lshrrev_b32_sdwa v3, s61, v156 dst_sel:DWORD dst_unused:UNUSED_PAD src0_sel:DWORD src1_sel:WORD_0
	v_and_b32_e32 v3, s62, v3
	v_lshlrev_b32_e32 v3, 2, v3
	ds_read_b32 v3, v3
	s_waitcnt lgkmcnt(0)
	v_add_nc_u32_e32 v3, v3, v52
	v_lshlrev_b64 v[39:40], 1, v[3:4]
	v_xor_b32_e32 v3, 0xffff8000, v156
	v_add_co_u32 v39, s30, s48, v39
	v_add_co_ci_u32_e64 v40, null, s49, v40, s30
	global_store_short v[39:40], v3, off
	s_or_b32 exec_lo, exec_lo, s31
	v_cmp_lt_u32_e64 s30, v53, v155
	s_and_saveexec_b32 s33, s30
	s_cbranch_execz .LBB1044_511
.LBB1044_583:                           ;   in Loop: Header=BB1044_418 Depth=2
	ds_read_u16 v156, v74 offset:4608
	s_waitcnt lgkmcnt(0)
	v_lshrrev_b32_sdwa v3, s61, v156 dst_sel:DWORD dst_unused:UNUSED_PAD src0_sel:DWORD src1_sel:WORD_0
	v_and_b32_e32 v3, s62, v3
	v_lshlrev_b32_e32 v3, 2, v3
	ds_read_b32 v3, v3
	s_waitcnt lgkmcnt(0)
	v_add_nc_u32_e32 v3, v3, v53
	v_lshlrev_b64 v[39:40], 1, v[3:4]
	v_xor_b32_e32 v3, 0xffff8000, v156
	v_add_co_u32 v39, s31, s48, v39
	v_add_co_ci_u32_e64 v40, null, s49, v40, s31
	global_store_short v[39:40], v3, off
	s_or_b32 exec_lo, exec_lo, s33
	v_cmp_lt_u32_e64 s31, v54, v155
	s_and_saveexec_b32 s34, s31
	s_cbranch_execz .LBB1044_512
.LBB1044_584:                           ;   in Loop: Header=BB1044_418 Depth=2
	ds_read_u16 v156, v74 offset:5120
	s_waitcnt lgkmcnt(0)
	v_lshrrev_b32_sdwa v3, s61, v156 dst_sel:DWORD dst_unused:UNUSED_PAD src0_sel:DWORD src1_sel:WORD_0
	v_and_b32_e32 v3, s62, v3
	v_lshlrev_b32_e32 v3, 2, v3
	ds_read_b32 v3, v3
	s_waitcnt lgkmcnt(0)
	v_add_nc_u32_e32 v3, v3, v54
	v_lshlrev_b64 v[39:40], 1, v[3:4]
	v_xor_b32_e32 v3, 0xffff8000, v156
	v_add_co_u32 v39, s33, s48, v39
	v_add_co_ci_u32_e64 v40, null, s49, v40, s33
	global_store_short v[39:40], v3, off
	s_or_b32 exec_lo, exec_lo, s34
	v_cmp_lt_u32_e64 s33, v55, v155
	s_and_saveexec_b32 s35, s33
	s_cbranch_execz .LBB1044_513
.LBB1044_585:                           ;   in Loop: Header=BB1044_418 Depth=2
	ds_read_u16 v156, v74 offset:5632
	s_waitcnt lgkmcnt(0)
	v_lshrrev_b32_sdwa v3, s61, v156 dst_sel:DWORD dst_unused:UNUSED_PAD src0_sel:DWORD src1_sel:WORD_0
	v_and_b32_e32 v3, s62, v3
	v_lshlrev_b32_e32 v3, 2, v3
	ds_read_b32 v3, v3
	s_waitcnt lgkmcnt(0)
	v_add_nc_u32_e32 v3, v3, v55
	v_lshlrev_b64 v[39:40], 1, v[3:4]
	v_xor_b32_e32 v3, 0xffff8000, v156
	v_add_co_u32 v39, s34, s48, v39
	v_add_co_ci_u32_e64 v40, null, s49, v40, s34
	global_store_short v[39:40], v3, off
	s_or_b32 exec_lo, exec_lo, s35
	v_cmp_lt_u32_e64 s34, v56, v155
	s_and_saveexec_b32 s36, s34
	s_cbranch_execz .LBB1044_514
.LBB1044_586:                           ;   in Loop: Header=BB1044_418 Depth=2
	ds_read_u16 v156, v74 offset:6144
	s_waitcnt lgkmcnt(0)
	v_lshrrev_b32_sdwa v3, s61, v156 dst_sel:DWORD dst_unused:UNUSED_PAD src0_sel:DWORD src1_sel:WORD_0
	v_and_b32_e32 v3, s62, v3
	v_lshlrev_b32_e32 v3, 2, v3
	ds_read_b32 v3, v3
	s_waitcnt lgkmcnt(0)
	v_add_nc_u32_e32 v3, v3, v56
	v_lshlrev_b64 v[39:40], 1, v[3:4]
	v_xor_b32_e32 v3, 0xffff8000, v156
	v_add_co_u32 v39, s35, s48, v39
	v_add_co_ci_u32_e64 v40, null, s49, v40, s35
	global_store_short v[39:40], v3, off
	s_or_b32 exec_lo, exec_lo, s36
	v_cmp_lt_u32_e64 s35, v57, v155
	s_and_saveexec_b32 s37, s35
	s_cbranch_execz .LBB1044_515
.LBB1044_587:                           ;   in Loop: Header=BB1044_418 Depth=2
	ds_read_u16 v156, v74 offset:6656
	s_waitcnt lgkmcnt(0)
	v_lshrrev_b32_sdwa v3, s61, v156 dst_sel:DWORD dst_unused:UNUSED_PAD src0_sel:DWORD src1_sel:WORD_0
	v_and_b32_e32 v3, s62, v3
	v_lshlrev_b32_e32 v3, 2, v3
	ds_read_b32 v3, v3
	s_waitcnt lgkmcnt(0)
	v_add_nc_u32_e32 v3, v3, v57
	v_lshlrev_b64 v[39:40], 1, v[3:4]
	v_xor_b32_e32 v3, 0xffff8000, v156
	v_add_co_u32 v39, s36, s48, v39
	v_add_co_ci_u32_e64 v40, null, s49, v40, s36
	global_store_short v[39:40], v3, off
	s_or_b32 exec_lo, exec_lo, s37
	v_cmp_lt_u32_e64 s36, v58, v155
	s_and_saveexec_b32 s38, s36
	s_cbranch_execz .LBB1044_516
.LBB1044_588:                           ;   in Loop: Header=BB1044_418 Depth=2
	ds_read_u16 v156, v74 offset:7168
	s_waitcnt lgkmcnt(0)
	v_lshrrev_b32_sdwa v3, s61, v156 dst_sel:DWORD dst_unused:UNUSED_PAD src0_sel:DWORD src1_sel:WORD_0
	v_and_b32_e32 v3, s62, v3
	v_lshlrev_b32_e32 v3, 2, v3
	ds_read_b32 v3, v3
	s_waitcnt lgkmcnt(0)
	v_add_nc_u32_e32 v3, v3, v58
	v_lshlrev_b64 v[39:40], 1, v[3:4]
	v_xor_b32_e32 v3, 0xffff8000, v156
	v_add_co_u32 v39, s37, s48, v39
	v_add_co_ci_u32_e64 v40, null, s49, v40, s37
	global_store_short v[39:40], v3, off
	s_or_b32 exec_lo, exec_lo, s38
	v_cmp_lt_u32_e64 s37, v59, v155
	s_and_saveexec_b32 s39, s37
	s_cbranch_execz .LBB1044_517
.LBB1044_589:                           ;   in Loop: Header=BB1044_418 Depth=2
	ds_read_u16 v156, v74 offset:7680
	s_waitcnt lgkmcnt(0)
	v_lshrrev_b32_sdwa v3, s61, v156 dst_sel:DWORD dst_unused:UNUSED_PAD src0_sel:DWORD src1_sel:WORD_0
	v_and_b32_e32 v3, s62, v3
	v_lshlrev_b32_e32 v3, 2, v3
	ds_read_b32 v3, v3
	s_waitcnt lgkmcnt(0)
	v_add_nc_u32_e32 v3, v3, v59
	v_lshlrev_b64 v[39:40], 1, v[3:4]
	v_xor_b32_e32 v3, 0xffff8000, v156
	v_add_co_u32 v39, s38, s48, v39
	v_add_co_ci_u32_e64 v40, null, s49, v40, s38
	global_store_short v[39:40], v3, off
	s_or_b32 exec_lo, exec_lo, s39
	v_cmp_lt_u32_e64 s38, v60, v155
	s_and_saveexec_b32 s40, s38
	s_cbranch_execz .LBB1044_518
.LBB1044_590:                           ;   in Loop: Header=BB1044_418 Depth=2
	ds_read_u16 v156, v74 offset:8192
	s_waitcnt lgkmcnt(0)
	v_lshrrev_b32_sdwa v3, s61, v156 dst_sel:DWORD dst_unused:UNUSED_PAD src0_sel:DWORD src1_sel:WORD_0
	v_and_b32_e32 v3, s62, v3
	v_lshlrev_b32_e32 v3, 2, v3
	ds_read_b32 v3, v3
	s_waitcnt lgkmcnt(0)
	v_add_nc_u32_e32 v3, v3, v60
	v_lshlrev_b64 v[39:40], 1, v[3:4]
	v_xor_b32_e32 v3, 0xffff8000, v156
	v_add_co_u32 v39, s39, s48, v39
	v_add_co_ci_u32_e64 v40, null, s49, v40, s39
	global_store_short v[39:40], v3, off
	s_or_b32 exec_lo, exec_lo, s40
	v_cmp_lt_u32_e64 s39, v61, v155
	s_and_saveexec_b32 s65, s39
	s_cbranch_execnz .LBB1044_519
	s_branch .LBB1044_520
.LBB1044_591:                           ;   in Loop: Header=BB1044_418 Depth=2
	global_load_dwordx2 v[37:38], v[39:40], off
	s_or_b32 exec_lo, exec_lo, s40
	s_mov_b32 s50, exec_lo
	v_cmpx_lt_u32_e64 v98, v155
	s_cbranch_execz .LBB1044_522
.LBB1044_592:                           ;   in Loop: Header=BB1044_418 Depth=2
	global_load_dwordx2 v[35:36], v[39:40], off offset:256
	s_or_b32 exec_lo, exec_lo, s50
	s_mov_b32 s50, exec_lo
	v_cmpx_lt_u32_e64 v99, v155
	s_cbranch_execz .LBB1044_523
.LBB1044_593:                           ;   in Loop: Header=BB1044_418 Depth=2
	global_load_dwordx2 v[33:34], v[39:40], off offset:512
	s_or_b32 exec_lo, exec_lo, s50
	s_mov_b32 s50, exec_lo
	v_cmpx_lt_u32_e64 v100, v155
	s_cbranch_execz .LBB1044_524
.LBB1044_594:                           ;   in Loop: Header=BB1044_418 Depth=2
	global_load_dwordx2 v[31:32], v[39:40], off offset:768
	s_or_b32 exec_lo, exec_lo, s50
	s_mov_b32 s50, exec_lo
	v_cmpx_lt_u32_e64 v101, v155
	s_cbranch_execz .LBB1044_525
.LBB1044_595:                           ;   in Loop: Header=BB1044_418 Depth=2
	global_load_dwordx2 v[29:30], v[39:40], off offset:1024
	s_or_b32 exec_lo, exec_lo, s50
	s_mov_b32 s50, exec_lo
	v_cmpx_lt_u32_e64 v102, v155
	s_cbranch_execz .LBB1044_526
.LBB1044_596:                           ;   in Loop: Header=BB1044_418 Depth=2
	global_load_dwordx2 v[25:26], v[39:40], off offset:1280
	s_or_b32 exec_lo, exec_lo, s50
	s_mov_b32 s50, exec_lo
	v_cmpx_lt_u32_e64 v103, v155
	s_cbranch_execz .LBB1044_527
.LBB1044_597:                           ;   in Loop: Header=BB1044_418 Depth=2
	global_load_dwordx2 v[21:22], v[39:40], off offset:1536
	s_or_b32 exec_lo, exec_lo, s50
	s_mov_b32 s50, exec_lo
	v_cmpx_lt_u32_e64 v104, v155
	s_cbranch_execz .LBB1044_528
.LBB1044_598:                           ;   in Loop: Header=BB1044_418 Depth=2
	global_load_dwordx2 v[17:18], v[39:40], off offset:1792
	s_or_b32 exec_lo, exec_lo, s50
	s_mov_b32 s50, exec_lo
	v_cmpx_lt_u32_e64 v105, v155
	s_cbranch_execz .LBB1044_529
.LBB1044_599:                           ;   in Loop: Header=BB1044_418 Depth=2
	v_add_co_u32 v27, s40, 0x800, v39
	v_add_co_ci_u32_e64 v28, null, 0, v40, s40
	global_load_dwordx2 v[27:28], v[27:28], off
	s_or_b32 exec_lo, exec_lo, s50
	s_mov_b32 s50, exec_lo
	v_cmpx_lt_u32_e64 v106, v155
	s_cbranch_execz .LBB1044_530
.LBB1044_600:                           ;   in Loop: Header=BB1044_418 Depth=2
	v_add_co_u32 v23, s40, 0x800, v39
	v_add_co_ci_u32_e64 v24, null, 0, v40, s40
	global_load_dwordx2 v[23:24], v[23:24], off offset:256
	s_or_b32 exec_lo, exec_lo, s50
	s_mov_b32 s50, exec_lo
	v_cmpx_lt_u32_e64 v107, v155
	s_cbranch_execz .LBB1044_531
.LBB1044_601:                           ;   in Loop: Header=BB1044_418 Depth=2
	v_add_co_u32 v19, s40, 0x800, v39
	v_add_co_ci_u32_e64 v20, null, 0, v40, s40
	global_load_dwordx2 v[19:20], v[19:20], off offset:512
	s_or_b32 exec_lo, exec_lo, s50
	s_mov_b32 s50, exec_lo
	v_cmpx_lt_u32_e64 v108, v155
	s_cbranch_execz .LBB1044_532
.LBB1044_602:                           ;   in Loop: Header=BB1044_418 Depth=2
	v_add_co_u32 v15, s40, 0x800, v39
	v_add_co_ci_u32_e64 v16, null, 0, v40, s40
	global_load_dwordx2 v[15:16], v[15:16], off offset:768
	s_or_b32 exec_lo, exec_lo, s50
	s_mov_b32 s50, exec_lo
	v_cmpx_lt_u32_e64 v128, v155
	s_cbranch_execz .LBB1044_533
.LBB1044_603:                           ;   in Loop: Header=BB1044_418 Depth=2
	v_add_co_u32 v13, s40, 0x800, v39
	v_add_co_ci_u32_e64 v14, null, 0, v40, s40
	global_load_dwordx2 v[13:14], v[13:14], off offset:1024
	s_or_b32 exec_lo, exec_lo, s50
	s_mov_b32 s50, exec_lo
	v_cmpx_lt_u32_e64 v129, v155
	s_cbranch_execz .LBB1044_534
.LBB1044_604:                           ;   in Loop: Header=BB1044_418 Depth=2
	v_add_co_u32 v11, s40, 0x800, v39
	v_add_co_ci_u32_e64 v12, null, 0, v40, s40
	global_load_dwordx2 v[11:12], v[11:12], off offset:1280
	s_or_b32 exec_lo, exec_lo, s50
	s_mov_b32 s50, exec_lo
	v_cmpx_lt_u32_e64 v130, v155
	s_cbranch_execz .LBB1044_535
.LBB1044_605:                           ;   in Loop: Header=BB1044_418 Depth=2
	v_add_co_u32 v9, s40, 0x800, v39
	v_add_co_ci_u32_e64 v10, null, 0, v40, s40
	global_load_dwordx2 v[9:10], v[9:10], off offset:1536
	s_or_b32 exec_lo, exec_lo, s50
	s_mov_b32 s50, exec_lo
	v_cmpx_lt_u32_e64 v131, v155
	s_cbranch_execz .LBB1044_536
.LBB1044_606:                           ;   in Loop: Header=BB1044_418 Depth=2
	v_add_co_u32 v7, s40, 0x800, v39
	v_add_co_ci_u32_e64 v8, null, 0, v40, s40
	global_load_dwordx2 v[7:8], v[7:8], off offset:1792
	s_or_b32 exec_lo, exec_lo, s50
	s_mov_b32 s50, exec_lo
	v_cmpx_lt_u32_e64 v132, v155
	s_cbranch_execz .LBB1044_537
.LBB1044_607:                           ;   in Loop: Header=BB1044_418 Depth=2
	v_add_co_u32 v5, s40, 0x1000, v39
	v_add_co_ci_u32_e64 v6, null, 0, v40, s40
	global_load_dwordx2 v[5:6], v[5:6], off
	s_or_b32 exec_lo, exec_lo, s50
	s_and_saveexec_b32 s40, vcc_lo
	s_cbranch_execz .LBB1044_538
.LBB1044_608:                           ;   in Loop: Header=BB1044_418 Depth=2
	ds_read_u16 v3, v74 offset:512
	s_waitcnt lgkmcnt(0)
	v_lshrrev_b32_e32 v3, s61, v3
	v_and_b32_e32 v153, s62, v3
	s_or_b32 exec_lo, exec_lo, s40
	s_and_saveexec_b32 s40, s23
	s_cbranch_execz .LBB1044_539
.LBB1044_609:                           ;   in Loop: Header=BB1044_418 Depth=2
	ds_read_u16 v3, v74 offset:1024
	s_waitcnt lgkmcnt(0)
	v_lshrrev_b32_e32 v3, s61, v3
	v_and_b32_e32 v152, s62, v3
	s_or_b32 exec_lo, exec_lo, s40
	s_and_saveexec_b32 s40, s24
	s_cbranch_execz .LBB1044_540
.LBB1044_610:                           ;   in Loop: Header=BB1044_418 Depth=2
	ds_read_u16 v3, v74 offset:1536
	s_waitcnt lgkmcnt(0)
	v_lshrrev_b32_e32 v3, s61, v3
	v_and_b32_e32 v150, s62, v3
	s_or_b32 exec_lo, exec_lo, s40
	s_and_saveexec_b32 s40, s25
	s_cbranch_execz .LBB1044_541
.LBB1044_611:                           ;   in Loop: Header=BB1044_418 Depth=2
	ds_read_u16 v3, v74 offset:2048
	s_waitcnt lgkmcnt(0)
	v_lshrrev_b32_e32 v3, s61, v3
	v_and_b32_e32 v149, s62, v3
	s_or_b32 exec_lo, exec_lo, s40
	s_and_saveexec_b32 s40, s26
	s_cbranch_execz .LBB1044_542
.LBB1044_612:                           ;   in Loop: Header=BB1044_418 Depth=2
	ds_read_u16 v3, v74 offset:2560
	s_waitcnt lgkmcnt(0)
	v_lshrrev_b32_e32 v3, s61, v3
	v_and_b32_e32 v148, s62, v3
	s_or_b32 exec_lo, exec_lo, s40
	s_and_saveexec_b32 s40, s27
	s_cbranch_execz .LBB1044_543
.LBB1044_613:                           ;   in Loop: Header=BB1044_418 Depth=2
	ds_read_u16 v3, v74 offset:3072
	s_waitcnt lgkmcnt(0)
	v_lshrrev_b32_e32 v3, s61, v3
	v_and_b32_e32 v147, s62, v3
	s_or_b32 exec_lo, exec_lo, s40
	s_and_saveexec_b32 s40, s28
	s_cbranch_execz .LBB1044_544
.LBB1044_614:                           ;   in Loop: Header=BB1044_418 Depth=2
	ds_read_u16 v3, v74 offset:3584
	s_waitcnt lgkmcnt(0)
	v_lshrrev_b32_e32 v3, s61, v3
	v_and_b32_e32 v146, s62, v3
	s_or_b32 exec_lo, exec_lo, s40
	s_and_saveexec_b32 s40, s29
	s_cbranch_execz .LBB1044_545
.LBB1044_615:                           ;   in Loop: Header=BB1044_418 Depth=2
	ds_read_u16 v3, v74 offset:4096
	s_waitcnt lgkmcnt(0)
	v_lshrrev_b32_e32 v3, s61, v3
	v_and_b32_e32 v145, s62, v3
	s_or_b32 exec_lo, exec_lo, s40
	s_and_saveexec_b32 s40, s30
	s_cbranch_execz .LBB1044_546
.LBB1044_616:                           ;   in Loop: Header=BB1044_418 Depth=2
	ds_read_u16 v3, v74 offset:4608
	s_waitcnt lgkmcnt(0)
	v_lshrrev_b32_e32 v3, s61, v3
	v_and_b32_e32 v144, s62, v3
	s_or_b32 exec_lo, exec_lo, s40
	s_and_saveexec_b32 s40, s31
	s_cbranch_execz .LBB1044_547
.LBB1044_617:                           ;   in Loop: Header=BB1044_418 Depth=2
	ds_read_u16 v3, v74 offset:5120
	s_waitcnt lgkmcnt(0)
	v_lshrrev_b32_e32 v3, s61, v3
	v_and_b32_e32 v143, s62, v3
	s_or_b32 exec_lo, exec_lo, s40
	s_and_saveexec_b32 s40, s33
	s_cbranch_execz .LBB1044_548
.LBB1044_618:                           ;   in Loop: Header=BB1044_418 Depth=2
	ds_read_u16 v3, v74 offset:5632
	s_waitcnt lgkmcnt(0)
	v_lshrrev_b32_e32 v3, s61, v3
	v_and_b32_e32 v142, s62, v3
	s_or_b32 exec_lo, exec_lo, s40
	s_and_saveexec_b32 s40, s34
	s_cbranch_execz .LBB1044_549
.LBB1044_619:                           ;   in Loop: Header=BB1044_418 Depth=2
	ds_read_u16 v3, v74 offset:6144
	s_waitcnt lgkmcnt(0)
	v_lshrrev_b32_e32 v3, s61, v3
	v_and_b32_e32 v141, s62, v3
	s_or_b32 exec_lo, exec_lo, s40
	s_and_saveexec_b32 s40, s35
	s_cbranch_execz .LBB1044_550
.LBB1044_620:                           ;   in Loop: Header=BB1044_418 Depth=2
	ds_read_u16 v3, v74 offset:6656
	s_waitcnt lgkmcnt(0)
	v_lshrrev_b32_e32 v3, s61, v3
	v_and_b32_e32 v140, s62, v3
	s_or_b32 exec_lo, exec_lo, s40
	s_and_saveexec_b32 s40, s36
	s_cbranch_execz .LBB1044_551
.LBB1044_621:                           ;   in Loop: Header=BB1044_418 Depth=2
	ds_read_u16 v3, v74 offset:7168
	s_waitcnt lgkmcnt(0)
	v_lshrrev_b32_e32 v3, s61, v3
	v_and_b32_e32 v139, s62, v3
	s_or_b32 exec_lo, exec_lo, s40
	s_and_saveexec_b32 s40, s37
	s_cbranch_execz .LBB1044_552
.LBB1044_622:                           ;   in Loop: Header=BB1044_418 Depth=2
	ds_read_u16 v3, v74 offset:7680
	s_waitcnt lgkmcnt(0)
	v_lshrrev_b32_e32 v3, s61, v3
	v_and_b32_e32 v138, s62, v3
	s_or_b32 exec_lo, exec_lo, s40
	s_and_saveexec_b32 s40, s38
	s_cbranch_execz .LBB1044_553
.LBB1044_623:                           ;   in Loop: Header=BB1044_418 Depth=2
	ds_read_u16 v3, v74 offset:8192
	s_waitcnt lgkmcnt(0)
	v_lshrrev_b32_e32 v3, s61, v3
	v_and_b32_e32 v137, s62, v3
	s_or_b32 exec_lo, exec_lo, s40
	s_and_saveexec_b32 s40, s39
	s_cbranch_execnz .LBB1044_554
	s_branch .LBB1044_555
.LBB1044_624:                           ;   in Loop: Header=BB1044_418 Depth=2
	v_lshlrev_b32_e32 v3, 2, v153
	v_add_nc_u32_e32 v39, v74, v75
	ds_read_b32 v3, v3
	ds_read_b64 v[39:40], v39 offset:512
	s_waitcnt lgkmcnt(1)
	v_add_nc_u32_e32 v3, v3, v0
	v_lshlrev_b64 v[41:42], 3, v[3:4]
	v_add_co_u32 v41, vcc_lo, s54, v41
	v_add_co_ci_u32_e64 v42, null, s55, v42, vcc_lo
	s_waitcnt lgkmcnt(0)
	global_store_dwordx2 v[41:42], v[39:40], off
	s_or_b32 exec_lo, exec_lo, s40
	s_and_saveexec_b32 s40, s23
	s_cbranch_execz .LBB1044_557
.LBB1044_625:                           ;   in Loop: Header=BB1044_418 Depth=2
	v_lshlrev_b32_e32 v3, 2, v152
	v_add_nc_u32_e32 v39, v74, v75
	ds_read_b32 v3, v3
	ds_read_b64 v[39:40], v39 offset:2560
	s_waitcnt lgkmcnt(1)
	v_add_nc_u32_e32 v3, v3, v44
	v_lshlrev_b64 v[41:42], 3, v[3:4]
	v_add_co_u32 v41, vcc_lo, s54, v41
	v_add_co_ci_u32_e64 v42, null, s55, v42, vcc_lo
	s_waitcnt lgkmcnt(0)
	global_store_dwordx2 v[41:42], v[39:40], off
	s_or_b32 exec_lo, exec_lo, s40
	s_and_saveexec_b32 s23, s24
	s_cbranch_execz .LBB1044_558
.LBB1044_626:                           ;   in Loop: Header=BB1044_418 Depth=2
	v_lshlrev_b32_e32 v3, 2, v150
	v_add_nc_u32_e32 v39, v74, v75
	ds_read_b32 v3, v3
	ds_read_b64 v[39:40], v39 offset:4608
	s_waitcnt lgkmcnt(1)
	v_add_nc_u32_e32 v3, v3, v47
	v_lshlrev_b64 v[41:42], 3, v[3:4]
	v_add_co_u32 v41, vcc_lo, s54, v41
	v_add_co_ci_u32_e64 v42, null, s55, v42, vcc_lo
	s_waitcnt lgkmcnt(0)
	global_store_dwordx2 v[41:42], v[39:40], off
	s_or_b32 exec_lo, exec_lo, s23
	s_and_saveexec_b32 s23, s25
	s_cbranch_execz .LBB1044_559
.LBB1044_627:                           ;   in Loop: Header=BB1044_418 Depth=2
	v_lshlrev_b32_e32 v3, 2, v149
	v_add_nc_u32_e32 v39, v74, v75
	ds_read_b32 v3, v3
	ds_read_b64 v[39:40], v39 offset:6656
	s_waitcnt lgkmcnt(1)
	v_add_nc_u32_e32 v3, v3, v48
	v_lshlrev_b64 v[41:42], 3, v[3:4]
	v_add_co_u32 v41, vcc_lo, s54, v41
	v_add_co_ci_u32_e64 v42, null, s55, v42, vcc_lo
	s_waitcnt lgkmcnt(0)
	global_store_dwordx2 v[41:42], v[39:40], off
	s_or_b32 exec_lo, exec_lo, s23
	s_and_saveexec_b32 s23, s26
	s_cbranch_execz .LBB1044_560
.LBB1044_628:                           ;   in Loop: Header=BB1044_418 Depth=2
	v_lshlrev_b32_e32 v3, 2, v148
	v_add_nc_u32_e32 v39, v74, v75
	ds_read_b32 v3, v3
	ds_read_b64 v[39:40], v39 offset:8704
	s_waitcnt lgkmcnt(1)
	v_add_nc_u32_e32 v3, v3, v49
	v_lshlrev_b64 v[41:42], 3, v[3:4]
	v_add_co_u32 v41, vcc_lo, s54, v41
	v_add_co_ci_u32_e64 v42, null, s55, v42, vcc_lo
	s_waitcnt lgkmcnt(0)
	global_store_dwordx2 v[41:42], v[39:40], off
	s_or_b32 exec_lo, exec_lo, s23
	s_and_saveexec_b32 s23, s27
	s_cbranch_execz .LBB1044_561
.LBB1044_629:                           ;   in Loop: Header=BB1044_418 Depth=2
	v_lshlrev_b32_e32 v3, 2, v147
	v_add_nc_u32_e32 v39, v74, v75
	ds_read_b32 v3, v3
	ds_read_b64 v[39:40], v39 offset:10752
	s_waitcnt lgkmcnt(1)
	v_add_nc_u32_e32 v3, v3, v50
	v_lshlrev_b64 v[41:42], 3, v[3:4]
	v_add_co_u32 v41, vcc_lo, s54, v41
	v_add_co_ci_u32_e64 v42, null, s55, v42, vcc_lo
	s_waitcnt lgkmcnt(0)
	global_store_dwordx2 v[41:42], v[39:40], off
	s_or_b32 exec_lo, exec_lo, s23
	s_and_saveexec_b32 s23, s28
	s_cbranch_execz .LBB1044_562
.LBB1044_630:                           ;   in Loop: Header=BB1044_418 Depth=2
	v_lshlrev_b32_e32 v3, 2, v146
	v_add_nc_u32_e32 v39, v74, v75
	ds_read_b32 v3, v3
	ds_read_b64 v[39:40], v39 offset:12800
	s_waitcnt lgkmcnt(1)
	v_add_nc_u32_e32 v3, v3, v51
	v_lshlrev_b64 v[41:42], 3, v[3:4]
	v_add_co_u32 v41, vcc_lo, s54, v41
	v_add_co_ci_u32_e64 v42, null, s55, v42, vcc_lo
	s_waitcnt lgkmcnt(0)
	global_store_dwordx2 v[41:42], v[39:40], off
	s_or_b32 exec_lo, exec_lo, s23
	s_and_saveexec_b32 s23, s29
	s_cbranch_execz .LBB1044_563
.LBB1044_631:                           ;   in Loop: Header=BB1044_418 Depth=2
	v_lshlrev_b32_e32 v3, 2, v145
	v_add_nc_u32_e32 v39, v74, v75
	ds_read_b32 v3, v3
	ds_read_b64 v[39:40], v39 offset:14848
	s_waitcnt lgkmcnt(1)
	v_add_nc_u32_e32 v3, v3, v52
	v_lshlrev_b64 v[41:42], 3, v[3:4]
	v_add_co_u32 v41, vcc_lo, s54, v41
	v_add_co_ci_u32_e64 v42, null, s55, v42, vcc_lo
	s_waitcnt lgkmcnt(0)
	global_store_dwordx2 v[41:42], v[39:40], off
	s_or_b32 exec_lo, exec_lo, s23
	s_and_saveexec_b32 s23, s30
	s_cbranch_execz .LBB1044_564
.LBB1044_632:                           ;   in Loop: Header=BB1044_418 Depth=2
	v_lshlrev_b32_e32 v3, 2, v144
	v_add_nc_u32_e32 v39, v74, v75
	ds_read_b32 v3, v3
	ds_read_b64 v[39:40], v39 offset:16896
	s_waitcnt lgkmcnt(1)
	v_add_nc_u32_e32 v3, v3, v53
	v_lshlrev_b64 v[41:42], 3, v[3:4]
	v_add_co_u32 v41, vcc_lo, s54, v41
	v_add_co_ci_u32_e64 v42, null, s55, v42, vcc_lo
	s_waitcnt lgkmcnt(0)
	global_store_dwordx2 v[41:42], v[39:40], off
	s_or_b32 exec_lo, exec_lo, s23
	s_and_saveexec_b32 s23, s31
	s_cbranch_execz .LBB1044_565
.LBB1044_633:                           ;   in Loop: Header=BB1044_418 Depth=2
	v_lshlrev_b32_e32 v3, 2, v143
	v_add_nc_u32_e32 v39, v74, v75
	ds_read_b32 v3, v3
	ds_read_b64 v[39:40], v39 offset:18944
	s_waitcnt lgkmcnt(1)
	v_add_nc_u32_e32 v3, v3, v54
	v_lshlrev_b64 v[41:42], 3, v[3:4]
	v_add_co_u32 v41, vcc_lo, s54, v41
	v_add_co_ci_u32_e64 v42, null, s55, v42, vcc_lo
	s_waitcnt lgkmcnt(0)
	global_store_dwordx2 v[41:42], v[39:40], off
	s_or_b32 exec_lo, exec_lo, s23
	s_and_saveexec_b32 s23, s33
	s_cbranch_execz .LBB1044_566
.LBB1044_634:                           ;   in Loop: Header=BB1044_418 Depth=2
	v_lshlrev_b32_e32 v3, 2, v142
	v_add_nc_u32_e32 v39, v74, v75
	ds_read_b32 v3, v3
	ds_read_b64 v[39:40], v39 offset:20992
	s_waitcnt lgkmcnt(1)
	v_add_nc_u32_e32 v3, v3, v55
	v_lshlrev_b64 v[41:42], 3, v[3:4]
	v_add_co_u32 v41, vcc_lo, s54, v41
	v_add_co_ci_u32_e64 v42, null, s55, v42, vcc_lo
	s_waitcnt lgkmcnt(0)
	global_store_dwordx2 v[41:42], v[39:40], off
	s_or_b32 exec_lo, exec_lo, s23
	s_and_saveexec_b32 s23, s34
	s_cbranch_execz .LBB1044_567
.LBB1044_635:                           ;   in Loop: Header=BB1044_418 Depth=2
	v_lshlrev_b32_e32 v3, 2, v141
	v_add_nc_u32_e32 v39, v74, v75
	ds_read_b32 v3, v3
	ds_read_b64 v[39:40], v39 offset:23040
	s_waitcnt lgkmcnt(1)
	v_add_nc_u32_e32 v3, v3, v56
	v_lshlrev_b64 v[41:42], 3, v[3:4]
	v_add_co_u32 v41, vcc_lo, s54, v41
	v_add_co_ci_u32_e64 v42, null, s55, v42, vcc_lo
	s_waitcnt lgkmcnt(0)
	global_store_dwordx2 v[41:42], v[39:40], off
	s_or_b32 exec_lo, exec_lo, s23
	s_and_saveexec_b32 s23, s35
	s_cbranch_execz .LBB1044_568
.LBB1044_636:                           ;   in Loop: Header=BB1044_418 Depth=2
	v_lshlrev_b32_e32 v3, 2, v140
	v_add_nc_u32_e32 v39, v74, v75
	ds_read_b32 v3, v3
	ds_read_b64 v[39:40], v39 offset:25088
	s_waitcnt lgkmcnt(1)
	v_add_nc_u32_e32 v3, v3, v57
	v_lshlrev_b64 v[41:42], 3, v[3:4]
	v_add_co_u32 v41, vcc_lo, s54, v41
	v_add_co_ci_u32_e64 v42, null, s55, v42, vcc_lo
	s_waitcnt lgkmcnt(0)
	global_store_dwordx2 v[41:42], v[39:40], off
	s_or_b32 exec_lo, exec_lo, s23
	s_and_saveexec_b32 s23, s36
	s_cbranch_execz .LBB1044_569
.LBB1044_637:                           ;   in Loop: Header=BB1044_418 Depth=2
	v_lshlrev_b32_e32 v3, 2, v139
	v_add_nc_u32_e32 v39, v74, v75
	ds_read_b32 v3, v3
	ds_read_b64 v[39:40], v39 offset:27136
	s_waitcnt lgkmcnt(1)
	v_add_nc_u32_e32 v3, v3, v58
	v_lshlrev_b64 v[41:42], 3, v[3:4]
	v_add_co_u32 v41, vcc_lo, s54, v41
	v_add_co_ci_u32_e64 v42, null, s55, v42, vcc_lo
	s_waitcnt lgkmcnt(0)
	global_store_dwordx2 v[41:42], v[39:40], off
	s_or_b32 exec_lo, exec_lo, s23
	s_and_saveexec_b32 s23, s37
	s_cbranch_execz .LBB1044_570
.LBB1044_638:                           ;   in Loop: Header=BB1044_418 Depth=2
	v_lshlrev_b32_e32 v3, 2, v138
	v_add_nc_u32_e32 v39, v74, v75
	ds_read_b32 v3, v3
	ds_read_b64 v[39:40], v39 offset:29184
	s_waitcnt lgkmcnt(1)
	v_add_nc_u32_e32 v3, v3, v59
	v_lshlrev_b64 v[41:42], 3, v[3:4]
	v_add_co_u32 v41, vcc_lo, s54, v41
	v_add_co_ci_u32_e64 v42, null, s55, v42, vcc_lo
	s_waitcnt lgkmcnt(0)
	global_store_dwordx2 v[41:42], v[39:40], off
	s_or_b32 exec_lo, exec_lo, s23
	s_and_saveexec_b32 s23, s38
	s_cbranch_execz .LBB1044_571
.LBB1044_639:                           ;   in Loop: Header=BB1044_418 Depth=2
	v_lshlrev_b32_e32 v3, 2, v137
	v_add_nc_u32_e32 v39, v74, v75
	ds_read_b32 v3, v3
	ds_read_b64 v[39:40], v39 offset:31232
	s_waitcnt lgkmcnt(1)
	v_add_nc_u32_e32 v3, v3, v60
	v_lshlrev_b64 v[41:42], 3, v[3:4]
	v_add_co_u32 v41, vcc_lo, s54, v41
	v_add_co_ci_u32_e64 v42, null, s55, v42, vcc_lo
	s_waitcnt lgkmcnt(0)
	global_store_dwordx2 v[41:42], v[39:40], off
	s_or_b32 exec_lo, exec_lo, s23
	s_and_saveexec_b32 s23, s39
	s_cbranch_execnz .LBB1044_572
	s_branch .LBB1044_573
.LBB1044_640:                           ;   in Loop: Header=BB1044_20 Depth=1
	s_waitcnt lgkmcnt(0)
	s_barrier
.LBB1044_641:                           ;   in Loop: Header=BB1044_20 Depth=1
	s_mov_b32 s5, 0
.LBB1044_642:                           ;   in Loop: Header=BB1044_20 Depth=1
	s_andn2_b32 vcc_lo, exec_lo, s5
	s_cbranch_vccnz .LBB1044_19
; %bb.643:                              ;   in Loop: Header=BB1044_20 Depth=1
	s_and_b32 vcc_lo, exec_lo, s43
	s_mov_b32 s5, -1
	s_cbranch_vccz .LBB1044_953
; %bb.644:                              ;   in Loop: Header=BB1044_20 Depth=1
	s_mov_b32 s5, s60
	s_mov_b32 s50, s58
	s_barrier
	buffer_gl0_inv
                                        ; implicit-def: $vgpr3
                                        ; implicit-def: $vgpr5
                                        ; implicit-def: $vgpr6
                                        ; implicit-def: $vgpr7
                                        ; implicit-def: $vgpr8
                                        ; implicit-def: $vgpr9
                                        ; implicit-def: $vgpr10
                                        ; implicit-def: $vgpr11
                                        ; implicit-def: $vgpr12
                                        ; implicit-def: $vgpr13
                                        ; implicit-def: $vgpr14
                                        ; implicit-def: $vgpr15
                                        ; implicit-def: $vgpr16
                                        ; implicit-def: $vgpr17
                                        ; implicit-def: $vgpr18
                                        ; implicit-def: $vgpr19
                                        ; implicit-def: $vgpr20
	s_branch .LBB1044_646
.LBB1044_645:                           ;   in Loop: Header=BB1044_646 Depth=2
	s_or_b32 exec_lo, exec_lo, s16
	s_addk_i32 s5, 0xef00
	s_cmp_ge_u32 s18, s59
	s_mov_b32 s50, s18
	s_cbranch_scc1 .LBB1044_718
.LBB1044_646:                           ;   Parent Loop BB1044_20 Depth=1
                                        ; =>  This Inner Loop Header: Depth=2
	s_add_i32 s18, s50, 0x1100
	s_mov_b32 s16, -1
	s_cmp_gt_u32 s18, s59
                                        ; implicit-def: $vgpr21
                                        ; implicit-def: $vgpr22
                                        ; implicit-def: $vgpr23
                                        ; implicit-def: $vgpr24
                                        ; implicit-def: $vgpr28
                                        ; implicit-def: $vgpr25
                                        ; implicit-def: $vgpr26
                                        ; implicit-def: $vgpr27
                                        ; implicit-def: $vgpr30
                                        ; implicit-def: $vgpr29
                                        ; implicit-def: $vgpr31
                                        ; implicit-def: $vgpr32
                                        ; implicit-def: $vgpr33
                                        ; implicit-def: $vgpr34
                                        ; implicit-def: $vgpr35
                                        ; implicit-def: $vgpr36
                                        ; implicit-def: $vgpr37
	s_cbranch_scc1 .LBB1044_648
; %bb.647:                              ;   in Loop: Header=BB1044_646 Depth=2
	s_lshl_b64 s[16:17], s[50:51], 1
	v_add_co_u32 v30, vcc_lo, v82, s16
	v_add_co_ci_u32_e64 v31, null, s17, v83, vcc_lo
	s_mov_b32 s16, 0
	v_add_co_u32 v27, vcc_lo, 0x800, v30
	v_add_co_ci_u32_e64 v28, null, 0, v31, vcc_lo
	v_add_co_u32 v32, vcc_lo, v30, 0x1000
	v_add_co_ci_u32_e64 v33, null, 0, v31, vcc_lo
	;; [unrolled: 2-line block ×5, first 2 shown]
	s_clause 0x10
	global_load_ushort v21, v[30:31], off
	global_load_ushort v22, v[30:31], off offset:512
	global_load_ushort v23, v[30:31], off offset:1024
	;; [unrolled: 1-line block ×7, first 2 shown]
	global_load_ushort v28, v[32:33], off offset:-2048
	global_load_ushort v30, v[32:33], off
	global_load_ushort v31, v[34:35], off offset:1024
	global_load_ushort v32, v[34:35], off offset:1536
	global_load_ushort v33, v[38:39], off offset:-2048
	global_load_ushort v34, v[36:37], off offset:512
	global_load_ushort v35, v[36:37], off offset:1024
	global_load_ushort v36, v[36:37], off offset:1536
	global_load_ushort v37, v[38:39], off
.LBB1044_648:                           ;   in Loop: Header=BB1044_646 Depth=2
	s_andn2_b32 vcc_lo, exec_lo, s16
	s_movk_i32 s16, 0x1100
	s_cbranch_vccnz .LBB1044_668
; %bb.649:                              ;   in Loop: Header=BB1044_646 Depth=2
	s_lshl_b64 s[16:17], s[50:51], 1
	s_mov_b32 s19, exec_lo
	s_add_u32 s16, s44, s16
	s_addc_u32 s17, s45, s17
	v_cmpx_gt_u32_e64 s5, v0
	s_cbranch_execnz .LBB1044_702
; %bb.650:                              ;   in Loop: Header=BB1044_646 Depth=2
	s_or_b32 exec_lo, exec_lo, s19
	s_mov_b32 s19, exec_lo
	v_cmpx_gt_u32_e64 s5, v44
	s_cbranch_execnz .LBB1044_703
.LBB1044_651:                           ;   in Loop: Header=BB1044_646 Depth=2
	s_or_b32 exec_lo, exec_lo, s19
	s_mov_b32 s19, exec_lo
	v_cmpx_gt_u32_e64 s5, v47
	s_cbranch_execnz .LBB1044_704
.LBB1044_652:                           ;   in Loop: Header=BB1044_646 Depth=2
	s_or_b32 exec_lo, exec_lo, s19
	s_mov_b32 s19, exec_lo
	v_cmpx_gt_u32_e64 s5, v48
	s_cbranch_execnz .LBB1044_705
.LBB1044_653:                           ;   in Loop: Header=BB1044_646 Depth=2
	s_or_b32 exec_lo, exec_lo, s19
	s_mov_b32 s19, exec_lo
	v_cmpx_gt_u32_e64 s5, v49
	s_cbranch_execnz .LBB1044_706
.LBB1044_654:                           ;   in Loop: Header=BB1044_646 Depth=2
	s_or_b32 exec_lo, exec_lo, s19
	s_mov_b32 s19, exec_lo
	v_cmpx_gt_u32_e64 s5, v50
	s_cbranch_execnz .LBB1044_707
.LBB1044_655:                           ;   in Loop: Header=BB1044_646 Depth=2
	s_or_b32 exec_lo, exec_lo, s19
	s_mov_b32 s19, exec_lo
	v_cmpx_gt_u32_e64 s5, v51
	s_cbranch_execnz .LBB1044_708
.LBB1044_656:                           ;   in Loop: Header=BB1044_646 Depth=2
	s_or_b32 exec_lo, exec_lo, s19
	s_mov_b32 s19, exec_lo
	v_cmpx_gt_u32_e64 s5, v52
	s_cbranch_execnz .LBB1044_709
.LBB1044_657:                           ;   in Loop: Header=BB1044_646 Depth=2
	s_or_b32 exec_lo, exec_lo, s19
	s_mov_b32 s19, exec_lo
	v_cmpx_gt_u32_e64 s5, v53
	s_cbranch_execnz .LBB1044_710
.LBB1044_658:                           ;   in Loop: Header=BB1044_646 Depth=2
	s_or_b32 exec_lo, exec_lo, s19
	s_mov_b32 s19, exec_lo
	v_cmpx_gt_u32_e64 s5, v54
	s_cbranch_execnz .LBB1044_711
.LBB1044_659:                           ;   in Loop: Header=BB1044_646 Depth=2
	s_or_b32 exec_lo, exec_lo, s19
	s_mov_b32 s19, exec_lo
	v_cmpx_gt_u32_e64 s5, v55
	s_cbranch_execnz .LBB1044_712
.LBB1044_660:                           ;   in Loop: Header=BB1044_646 Depth=2
	s_or_b32 exec_lo, exec_lo, s19
	s_mov_b32 s19, exec_lo
	v_cmpx_gt_u32_e64 s5, v56
	s_cbranch_execnz .LBB1044_713
.LBB1044_661:                           ;   in Loop: Header=BB1044_646 Depth=2
	s_or_b32 exec_lo, exec_lo, s19
	s_mov_b32 s19, exec_lo
	v_cmpx_gt_u32_e64 s5, v57
	s_cbranch_execnz .LBB1044_714
.LBB1044_662:                           ;   in Loop: Header=BB1044_646 Depth=2
	s_or_b32 exec_lo, exec_lo, s19
	s_mov_b32 s19, exec_lo
	v_cmpx_gt_u32_e64 s5, v58
	s_cbranch_execnz .LBB1044_715
.LBB1044_663:                           ;   in Loop: Header=BB1044_646 Depth=2
	s_or_b32 exec_lo, exec_lo, s19
	s_mov_b32 s19, exec_lo
	v_cmpx_gt_u32_e64 s5, v59
	s_cbranch_execnz .LBB1044_716
.LBB1044_664:                           ;   in Loop: Header=BB1044_646 Depth=2
	s_or_b32 exec_lo, exec_lo, s19
	s_mov_b32 s19, exec_lo
	v_cmpx_gt_u32_e64 s5, v60
	s_cbranch_execnz .LBB1044_717
.LBB1044_665:                           ;   in Loop: Header=BB1044_646 Depth=2
	s_or_b32 exec_lo, exec_lo, s19
	s_mov_b32 s19, exec_lo
	v_cmpx_gt_u32_e64 s5, v61
	s_cbranch_execz .LBB1044_667
.LBB1044_666:                           ;   in Loop: Header=BB1044_646 Depth=2
	global_load_ushort v3, v122, s[16:17]
.LBB1044_667:                           ;   in Loop: Header=BB1044_646 Depth=2
	s_or_b32 exec_lo, exec_lo, s19
	s_waitcnt vmcnt(0)
	v_mov_b32_e32 v21, v20
	v_mov_b32_e32 v22, v19
	v_mov_b32_e32 v23, v18
	v_mov_b32_e32 v24, v17
	v_mov_b32_e32 v28, v16
	v_mov_b32_e32 v25, v15
	v_mov_b32_e32 v26, v14
	v_mov_b32_e32 v27, v13
	v_mov_b32_e32 v30, v12
	v_mov_b32_e32 v29, v11
	v_mov_b32_e32 v31, v10
	v_mov_b32_e32 v32, v9
	v_mov_b32_e32 v33, v8
	v_mov_b32_e32 v34, v7
	v_mov_b32_e32 v35, v6
	v_mov_b32_e32 v36, v5
	v_mov_b32_e32 v37, v3
	s_mov_b32 s16, s5
.LBB1044_668:                           ;   in Loop: Header=BB1044_646 Depth=2
	s_waitcnt vmcnt(0)
	v_mov_b32_e32 v3, v37
	v_mov_b32_e32 v5, v36
	v_mov_b32_e32 v6, v35
	v_mov_b32_e32 v7, v34
	v_mov_b32_e32 v8, v33
	v_mov_b32_e32 v9, v32
	v_mov_b32_e32 v10, v31
	v_mov_b32_e32 v11, v29
	v_mov_b32_e32 v12, v30
	v_mov_b32_e32 v13, v27
	v_mov_b32_e32 v14, v26
	v_mov_b32_e32 v15, v25
	v_mov_b32_e32 v16, v28
	v_mov_b32_e32 v17, v24
	v_mov_b32_e32 v18, v23
	v_mov_b32_e32 v19, v22
	v_mov_b32_e32 v20, v21
	s_mov_b32 s17, exec_lo
	v_cmpx_gt_u32_e64 s16, v0
	s_cbranch_execnz .LBB1044_685
; %bb.669:                              ;   in Loop: Header=BB1044_646 Depth=2
	s_or_b32 exec_lo, exec_lo, s17
	s_mov_b32 s17, exec_lo
	v_cmpx_gt_u32_e64 s16, v44
	s_cbranch_execnz .LBB1044_686
.LBB1044_670:                           ;   in Loop: Header=BB1044_646 Depth=2
	s_or_b32 exec_lo, exec_lo, s17
	s_mov_b32 s17, exec_lo
	v_cmpx_gt_u32_e64 s16, v47
	s_cbranch_execnz .LBB1044_687
.LBB1044_671:                           ;   in Loop: Header=BB1044_646 Depth=2
	s_or_b32 exec_lo, exec_lo, s17
	s_mov_b32 s17, exec_lo
	v_cmpx_gt_u32_e64 s16, v48
	s_cbranch_execnz .LBB1044_688
.LBB1044_672:                           ;   in Loop: Header=BB1044_646 Depth=2
	s_or_b32 exec_lo, exec_lo, s17
	s_mov_b32 s17, exec_lo
	v_cmpx_gt_u32_e64 s16, v49
	s_cbranch_execnz .LBB1044_689
.LBB1044_673:                           ;   in Loop: Header=BB1044_646 Depth=2
	s_or_b32 exec_lo, exec_lo, s17
	s_mov_b32 s17, exec_lo
	v_cmpx_gt_u32_e64 s16, v50
	s_cbranch_execnz .LBB1044_690
.LBB1044_674:                           ;   in Loop: Header=BB1044_646 Depth=2
	s_or_b32 exec_lo, exec_lo, s17
	s_mov_b32 s17, exec_lo
	v_cmpx_gt_u32_e64 s16, v51
	s_cbranch_execnz .LBB1044_691
.LBB1044_675:                           ;   in Loop: Header=BB1044_646 Depth=2
	s_or_b32 exec_lo, exec_lo, s17
	s_mov_b32 s17, exec_lo
	v_cmpx_gt_u32_e64 s16, v52
	s_cbranch_execnz .LBB1044_692
.LBB1044_676:                           ;   in Loop: Header=BB1044_646 Depth=2
	s_or_b32 exec_lo, exec_lo, s17
	s_mov_b32 s17, exec_lo
	v_cmpx_gt_u32_e64 s16, v53
	s_cbranch_execnz .LBB1044_693
.LBB1044_677:                           ;   in Loop: Header=BB1044_646 Depth=2
	s_or_b32 exec_lo, exec_lo, s17
	s_mov_b32 s17, exec_lo
	v_cmpx_gt_u32_e64 s16, v54
	s_cbranch_execnz .LBB1044_694
.LBB1044_678:                           ;   in Loop: Header=BB1044_646 Depth=2
	s_or_b32 exec_lo, exec_lo, s17
	s_mov_b32 s17, exec_lo
	v_cmpx_gt_u32_e64 s16, v55
	s_cbranch_execnz .LBB1044_695
.LBB1044_679:                           ;   in Loop: Header=BB1044_646 Depth=2
	s_or_b32 exec_lo, exec_lo, s17
	s_mov_b32 s17, exec_lo
	v_cmpx_gt_u32_e64 s16, v56
	s_cbranch_execnz .LBB1044_696
.LBB1044_680:                           ;   in Loop: Header=BB1044_646 Depth=2
	s_or_b32 exec_lo, exec_lo, s17
	s_mov_b32 s17, exec_lo
	v_cmpx_gt_u32_e64 s16, v57
	s_cbranch_execnz .LBB1044_697
.LBB1044_681:                           ;   in Loop: Header=BB1044_646 Depth=2
	s_or_b32 exec_lo, exec_lo, s17
	s_mov_b32 s17, exec_lo
	v_cmpx_gt_u32_e64 s16, v58
	s_cbranch_execnz .LBB1044_698
.LBB1044_682:                           ;   in Loop: Header=BB1044_646 Depth=2
	s_or_b32 exec_lo, exec_lo, s17
	s_mov_b32 s17, exec_lo
	v_cmpx_gt_u32_e64 s16, v59
	s_cbranch_execnz .LBB1044_699
.LBB1044_683:                           ;   in Loop: Header=BB1044_646 Depth=2
	s_or_b32 exec_lo, exec_lo, s17
	s_mov_b32 s17, exec_lo
	v_cmpx_gt_u32_e64 s16, v60
	s_cbranch_execnz .LBB1044_700
.LBB1044_684:                           ;   in Loop: Header=BB1044_646 Depth=2
	s_or_b32 exec_lo, exec_lo, s17
	v_cmp_gt_u32_e32 vcc_lo, s16, v61
	s_and_saveexec_b32 s16, vcc_lo
	s_cbranch_execz .LBB1044_645
	s_branch .LBB1044_701
.LBB1044_685:                           ;   in Loop: Header=BB1044_646 Depth=2
	v_xor_b32_e32 v21, 0xffff8000, v20
	v_lshrrev_b32_sdwa v21, s41, v21 dst_sel:DWORD dst_unused:UNUSED_PAD src0_sel:DWORD src1_sel:WORD_0
	v_and_b32_e32 v21, s62, v21
	v_lshl_or_b32 v21, v21, 4, v63
	ds_add_u32 v21, v89
	s_or_b32 exec_lo, exec_lo, s17
	s_mov_b32 s17, exec_lo
	v_cmpx_gt_u32_e64 s16, v44
	s_cbranch_execz .LBB1044_670
.LBB1044_686:                           ;   in Loop: Header=BB1044_646 Depth=2
	v_xor_b32_e32 v21, 0xffff8000, v19
	v_lshrrev_b32_sdwa v21, s41, v21 dst_sel:DWORD dst_unused:UNUSED_PAD src0_sel:DWORD src1_sel:WORD_0
	v_and_b32_e32 v21, s62, v21
	v_lshl_or_b32 v21, v21, 4, v63
	ds_add_u32 v21, v89
	s_or_b32 exec_lo, exec_lo, s17
	s_mov_b32 s17, exec_lo
	v_cmpx_gt_u32_e64 s16, v47
	s_cbranch_execz .LBB1044_671
.LBB1044_687:                           ;   in Loop: Header=BB1044_646 Depth=2
	v_xor_b32_e32 v21, 0xffff8000, v18
	v_lshrrev_b32_sdwa v21, s41, v21 dst_sel:DWORD dst_unused:UNUSED_PAD src0_sel:DWORD src1_sel:WORD_0
	v_and_b32_e32 v21, s62, v21
	v_lshl_or_b32 v21, v21, 4, v63
	ds_add_u32 v21, v89
	s_or_b32 exec_lo, exec_lo, s17
	s_mov_b32 s17, exec_lo
	v_cmpx_gt_u32_e64 s16, v48
	s_cbranch_execz .LBB1044_672
.LBB1044_688:                           ;   in Loop: Header=BB1044_646 Depth=2
	v_xor_b32_e32 v21, 0xffff8000, v17
	v_lshrrev_b32_sdwa v21, s41, v21 dst_sel:DWORD dst_unused:UNUSED_PAD src0_sel:DWORD src1_sel:WORD_0
	v_and_b32_e32 v21, s62, v21
	v_lshl_or_b32 v21, v21, 4, v63
	ds_add_u32 v21, v89
	s_or_b32 exec_lo, exec_lo, s17
	s_mov_b32 s17, exec_lo
	v_cmpx_gt_u32_e64 s16, v49
	s_cbranch_execz .LBB1044_673
.LBB1044_689:                           ;   in Loop: Header=BB1044_646 Depth=2
	v_xor_b32_e32 v21, 0xffff8000, v16
	v_lshrrev_b32_sdwa v21, s41, v21 dst_sel:DWORD dst_unused:UNUSED_PAD src0_sel:DWORD src1_sel:WORD_0
	v_and_b32_e32 v21, s62, v21
	v_lshl_or_b32 v21, v21, 4, v63
	ds_add_u32 v21, v89
	s_or_b32 exec_lo, exec_lo, s17
	s_mov_b32 s17, exec_lo
	v_cmpx_gt_u32_e64 s16, v50
	s_cbranch_execz .LBB1044_674
.LBB1044_690:                           ;   in Loop: Header=BB1044_646 Depth=2
	v_xor_b32_e32 v21, 0xffff8000, v15
	v_lshrrev_b32_sdwa v21, s41, v21 dst_sel:DWORD dst_unused:UNUSED_PAD src0_sel:DWORD src1_sel:WORD_0
	v_and_b32_e32 v21, s62, v21
	v_lshl_or_b32 v21, v21, 4, v63
	ds_add_u32 v21, v89
	s_or_b32 exec_lo, exec_lo, s17
	s_mov_b32 s17, exec_lo
	v_cmpx_gt_u32_e64 s16, v51
	s_cbranch_execz .LBB1044_675
.LBB1044_691:                           ;   in Loop: Header=BB1044_646 Depth=2
	v_xor_b32_e32 v21, 0xffff8000, v14
	v_lshrrev_b32_sdwa v21, s41, v21 dst_sel:DWORD dst_unused:UNUSED_PAD src0_sel:DWORD src1_sel:WORD_0
	v_and_b32_e32 v21, s62, v21
	v_lshl_or_b32 v21, v21, 4, v63
	ds_add_u32 v21, v89
	s_or_b32 exec_lo, exec_lo, s17
	s_mov_b32 s17, exec_lo
	v_cmpx_gt_u32_e64 s16, v52
	s_cbranch_execz .LBB1044_676
.LBB1044_692:                           ;   in Loop: Header=BB1044_646 Depth=2
	v_xor_b32_e32 v21, 0xffff8000, v13
	v_lshrrev_b32_sdwa v21, s41, v21 dst_sel:DWORD dst_unused:UNUSED_PAD src0_sel:DWORD src1_sel:WORD_0
	v_and_b32_e32 v21, s62, v21
	v_lshl_or_b32 v21, v21, 4, v63
	ds_add_u32 v21, v89
	s_or_b32 exec_lo, exec_lo, s17
	s_mov_b32 s17, exec_lo
	v_cmpx_gt_u32_e64 s16, v53
	s_cbranch_execz .LBB1044_677
.LBB1044_693:                           ;   in Loop: Header=BB1044_646 Depth=2
	v_xor_b32_e32 v21, 0xffff8000, v12
	v_lshrrev_b32_sdwa v21, s41, v21 dst_sel:DWORD dst_unused:UNUSED_PAD src0_sel:DWORD src1_sel:WORD_0
	v_and_b32_e32 v21, s62, v21
	v_lshl_or_b32 v21, v21, 4, v63
	ds_add_u32 v21, v89
	s_or_b32 exec_lo, exec_lo, s17
	s_mov_b32 s17, exec_lo
	v_cmpx_gt_u32_e64 s16, v54
	s_cbranch_execz .LBB1044_678
.LBB1044_694:                           ;   in Loop: Header=BB1044_646 Depth=2
	v_xor_b32_e32 v21, 0xffff8000, v11
	v_lshrrev_b32_sdwa v21, s41, v21 dst_sel:DWORD dst_unused:UNUSED_PAD src0_sel:DWORD src1_sel:WORD_0
	v_and_b32_e32 v21, s62, v21
	v_lshl_or_b32 v21, v21, 4, v63
	ds_add_u32 v21, v89
	s_or_b32 exec_lo, exec_lo, s17
	s_mov_b32 s17, exec_lo
	v_cmpx_gt_u32_e64 s16, v55
	s_cbranch_execz .LBB1044_679
.LBB1044_695:                           ;   in Loop: Header=BB1044_646 Depth=2
	v_xor_b32_e32 v21, 0xffff8000, v10
	v_lshrrev_b32_sdwa v21, s41, v21 dst_sel:DWORD dst_unused:UNUSED_PAD src0_sel:DWORD src1_sel:WORD_0
	v_and_b32_e32 v21, s62, v21
	v_lshl_or_b32 v21, v21, 4, v63
	ds_add_u32 v21, v89
	s_or_b32 exec_lo, exec_lo, s17
	s_mov_b32 s17, exec_lo
	v_cmpx_gt_u32_e64 s16, v56
	s_cbranch_execz .LBB1044_680
.LBB1044_696:                           ;   in Loop: Header=BB1044_646 Depth=2
	v_xor_b32_e32 v21, 0xffff8000, v9
	v_lshrrev_b32_sdwa v21, s41, v21 dst_sel:DWORD dst_unused:UNUSED_PAD src0_sel:DWORD src1_sel:WORD_0
	v_and_b32_e32 v21, s62, v21
	v_lshl_or_b32 v21, v21, 4, v63
	ds_add_u32 v21, v89
	s_or_b32 exec_lo, exec_lo, s17
	s_mov_b32 s17, exec_lo
	v_cmpx_gt_u32_e64 s16, v57
	s_cbranch_execz .LBB1044_681
.LBB1044_697:                           ;   in Loop: Header=BB1044_646 Depth=2
	v_xor_b32_e32 v21, 0xffff8000, v8
	v_lshrrev_b32_sdwa v21, s41, v21 dst_sel:DWORD dst_unused:UNUSED_PAD src0_sel:DWORD src1_sel:WORD_0
	v_and_b32_e32 v21, s62, v21
	v_lshl_or_b32 v21, v21, 4, v63
	ds_add_u32 v21, v89
	s_or_b32 exec_lo, exec_lo, s17
	s_mov_b32 s17, exec_lo
	v_cmpx_gt_u32_e64 s16, v58
	s_cbranch_execz .LBB1044_682
.LBB1044_698:                           ;   in Loop: Header=BB1044_646 Depth=2
	v_xor_b32_e32 v21, 0xffff8000, v7
	v_lshrrev_b32_sdwa v21, s41, v21 dst_sel:DWORD dst_unused:UNUSED_PAD src0_sel:DWORD src1_sel:WORD_0
	v_and_b32_e32 v21, s62, v21
	v_lshl_or_b32 v21, v21, 4, v63
	ds_add_u32 v21, v89
	s_or_b32 exec_lo, exec_lo, s17
	s_mov_b32 s17, exec_lo
	v_cmpx_gt_u32_e64 s16, v59
	s_cbranch_execz .LBB1044_683
.LBB1044_699:                           ;   in Loop: Header=BB1044_646 Depth=2
	v_xor_b32_e32 v21, 0xffff8000, v6
	v_lshrrev_b32_sdwa v21, s41, v21 dst_sel:DWORD dst_unused:UNUSED_PAD src0_sel:DWORD src1_sel:WORD_0
	v_and_b32_e32 v21, s62, v21
	v_lshl_or_b32 v21, v21, 4, v63
	ds_add_u32 v21, v89
	s_or_b32 exec_lo, exec_lo, s17
	s_mov_b32 s17, exec_lo
	v_cmpx_gt_u32_e64 s16, v60
	s_cbranch_execz .LBB1044_684
.LBB1044_700:                           ;   in Loop: Header=BB1044_646 Depth=2
	v_xor_b32_e32 v21, 0xffff8000, v5
	v_lshrrev_b32_sdwa v21, s41, v21 dst_sel:DWORD dst_unused:UNUSED_PAD src0_sel:DWORD src1_sel:WORD_0
	v_and_b32_e32 v21, s62, v21
	v_lshl_or_b32 v21, v21, 4, v63
	ds_add_u32 v21, v89
	s_or_b32 exec_lo, exec_lo, s17
	v_cmp_gt_u32_e32 vcc_lo, s16, v61
	s_and_saveexec_b32 s16, vcc_lo
	s_cbranch_execz .LBB1044_645
.LBB1044_701:                           ;   in Loop: Header=BB1044_646 Depth=2
	v_xor_b32_e32 v21, 0xffff8000, v3
	v_lshrrev_b32_sdwa v21, s41, v21 dst_sel:DWORD dst_unused:UNUSED_PAD src0_sel:DWORD src1_sel:WORD_0
	v_and_b32_e32 v21, s62, v21
	v_lshl_or_b32 v21, v21, 4, v63
	ds_add_u32 v21, v89
	s_branch .LBB1044_645
.LBB1044_702:                           ;   in Loop: Header=BB1044_646 Depth=2
	global_load_ushort v20, v109, s[16:17]
	s_or_b32 exec_lo, exec_lo, s19
	s_mov_b32 s19, exec_lo
	v_cmpx_gt_u32_e64 s5, v44
	s_cbranch_execz .LBB1044_651
.LBB1044_703:                           ;   in Loop: Header=BB1044_646 Depth=2
	global_load_ushort v19, v109, s[16:17] offset:512
	s_or_b32 exec_lo, exec_lo, s19
	s_mov_b32 s19, exec_lo
	v_cmpx_gt_u32_e64 s5, v47
	s_cbranch_execz .LBB1044_652
.LBB1044_704:                           ;   in Loop: Header=BB1044_646 Depth=2
	global_load_ushort v18, v109, s[16:17] offset:1024
	s_or_b32 exec_lo, exec_lo, s19
	s_mov_b32 s19, exec_lo
	v_cmpx_gt_u32_e64 s5, v48
	s_cbranch_execz .LBB1044_653
.LBB1044_705:                           ;   in Loop: Header=BB1044_646 Depth=2
	global_load_ushort v17, v109, s[16:17] offset:1536
	s_or_b32 exec_lo, exec_lo, s19
	s_mov_b32 s19, exec_lo
	v_cmpx_gt_u32_e64 s5, v49
	s_cbranch_execz .LBB1044_654
.LBB1044_706:                           ;   in Loop: Header=BB1044_646 Depth=2
	global_load_ushort v16, v110, s[16:17]
	s_or_b32 exec_lo, exec_lo, s19
	s_mov_b32 s19, exec_lo
	v_cmpx_gt_u32_e64 s5, v50
	s_cbranch_execz .LBB1044_655
.LBB1044_707:                           ;   in Loop: Header=BB1044_646 Depth=2
	global_load_ushort v15, v111, s[16:17]
	s_or_b32 exec_lo, exec_lo, s19
	s_mov_b32 s19, exec_lo
	v_cmpx_gt_u32_e64 s5, v51
	s_cbranch_execz .LBB1044_656
.LBB1044_708:                           ;   in Loop: Header=BB1044_646 Depth=2
	global_load_ushort v14, v112, s[16:17]
	s_or_b32 exec_lo, exec_lo, s19
	s_mov_b32 s19, exec_lo
	v_cmpx_gt_u32_e64 s5, v52
	s_cbranch_execz .LBB1044_657
.LBB1044_709:                           ;   in Loop: Header=BB1044_646 Depth=2
	global_load_ushort v13, v113, s[16:17]
	s_or_b32 exec_lo, exec_lo, s19
	s_mov_b32 s19, exec_lo
	v_cmpx_gt_u32_e64 s5, v53
	s_cbranch_execz .LBB1044_658
.LBB1044_710:                           ;   in Loop: Header=BB1044_646 Depth=2
	global_load_ushort v12, v114, s[16:17]
	s_or_b32 exec_lo, exec_lo, s19
	s_mov_b32 s19, exec_lo
	v_cmpx_gt_u32_e64 s5, v54
	s_cbranch_execz .LBB1044_659
.LBB1044_711:                           ;   in Loop: Header=BB1044_646 Depth=2
	global_load_ushort v11, v115, s[16:17]
	s_or_b32 exec_lo, exec_lo, s19
	s_mov_b32 s19, exec_lo
	v_cmpx_gt_u32_e64 s5, v55
	s_cbranch_execz .LBB1044_660
.LBB1044_712:                           ;   in Loop: Header=BB1044_646 Depth=2
	global_load_ushort v10, v116, s[16:17]
	s_or_b32 exec_lo, exec_lo, s19
	s_mov_b32 s19, exec_lo
	v_cmpx_gt_u32_e64 s5, v56
	s_cbranch_execz .LBB1044_661
.LBB1044_713:                           ;   in Loop: Header=BB1044_646 Depth=2
	global_load_ushort v9, v117, s[16:17]
	s_or_b32 exec_lo, exec_lo, s19
	s_mov_b32 s19, exec_lo
	v_cmpx_gt_u32_e64 s5, v57
	s_cbranch_execz .LBB1044_662
.LBB1044_714:                           ;   in Loop: Header=BB1044_646 Depth=2
	global_load_ushort v8, v118, s[16:17]
	s_or_b32 exec_lo, exec_lo, s19
	s_mov_b32 s19, exec_lo
	v_cmpx_gt_u32_e64 s5, v58
	s_cbranch_execz .LBB1044_663
.LBB1044_715:                           ;   in Loop: Header=BB1044_646 Depth=2
	global_load_ushort v7, v119, s[16:17]
	s_or_b32 exec_lo, exec_lo, s19
	s_mov_b32 s19, exec_lo
	v_cmpx_gt_u32_e64 s5, v59
	s_cbranch_execz .LBB1044_664
.LBB1044_716:                           ;   in Loop: Header=BB1044_646 Depth=2
	global_load_ushort v6, v120, s[16:17]
	s_or_b32 exec_lo, exec_lo, s19
	s_mov_b32 s19, exec_lo
	v_cmpx_gt_u32_e64 s5, v60
	s_cbranch_execz .LBB1044_665
.LBB1044_717:                           ;   in Loop: Header=BB1044_646 Depth=2
	global_load_ushort v5, v121, s[16:17]
	s_or_b32 exec_lo, exec_lo, s19
	s_mov_b32 s19, exec_lo
	v_cmpx_gt_u32_e64 s5, v61
	s_cbranch_execnz .LBB1044_666
	s_branch .LBB1044_667
.LBB1044_718:                           ;   in Loop: Header=BB1044_20 Depth=1
	v_mov_b32_e32 v3, 0
	s_waitcnt lgkmcnt(0)
	s_barrier
	buffer_gl0_inv
	s_and_saveexec_b32 s5, s8
	s_cbranch_execz .LBB1044_720
; %bb.719:                              ;   in Loop: Header=BB1044_20 Depth=1
	ds_read2_b64 v[5:8], v64 offset1:1
	s_waitcnt lgkmcnt(0)
	v_add_nc_u32_e32 v3, v6, v5
	v_add3_u32 v3, v3, v7, v8
.LBB1044_720:                           ;   in Loop: Header=BB1044_20 Depth=1
	s_or_b32 exec_lo, exec_lo, s5
	v_mov_b32_dpp v5, v3 row_shr:1 row_mask:0xf bank_mask:0xf
	v_cmp_eq_u32_e64 s5, 0, v90
	v_cmp_lt_u32_e64 s16, 1, v90
	v_cmp_lt_u32_e64 s17, 3, v90
	;; [unrolled: 1-line block ×3, first 2 shown]
	v_cmp_eq_u32_e64 s19, 0, v92
	v_cndmask_b32_e64 v5, v5, 0, s5
	v_add_nc_u32_e32 v3, v5, v3
	v_mov_b32_dpp v5, v3 row_shr:2 row_mask:0xf bank_mask:0xf
	v_cndmask_b32_e64 v5, 0, v5, s16
	v_add_nc_u32_e32 v3, v3, v5
	v_mov_b32_dpp v5, v3 row_shr:4 row_mask:0xf bank_mask:0xf
	v_cndmask_b32_e64 v5, 0, v5, s17
	v_add_nc_u32_e32 v3, v3, v5
	v_mov_b32_dpp v5, v3 row_shr:8 row_mask:0xf bank_mask:0xf
	v_cndmask_b32_e64 v5, 0, v5, s18
	v_add_nc_u32_e32 v3, v3, v5
	ds_swizzle_b32 v5, v3 offset:swizzle(BROADCAST,32,15)
	s_waitcnt lgkmcnt(0)
	v_and_b32_e32 v5, v91, v5
	v_add_nc_u32_e32 v3, v3, v5
	s_and_saveexec_b32 s20, s9
; %bb.721:                              ;   in Loop: Header=BB1044_20 Depth=1
	ds_write_b32 v65, v3
; %bb.722:                              ;   in Loop: Header=BB1044_20 Depth=1
	s_or_b32 exec_lo, exec_lo, s20
	s_waitcnt lgkmcnt(0)
	s_barrier
	buffer_gl0_inv
	s_and_saveexec_b32 s20, s10
	s_cbranch_execz .LBB1044_724
; %bb.723:                              ;   in Loop: Header=BB1044_20 Depth=1
	ds_read_b32 v5, v66
	v_cmp_ne_u32_e32 vcc_lo, 0, v93
	s_waitcnt lgkmcnt(0)
	v_mov_b32_dpp v6, v5 row_shr:1 row_mask:0xf bank_mask:0xf
	v_cndmask_b32_e32 v6, 0, v6, vcc_lo
	v_cmp_lt_u32_e32 vcc_lo, 1, v93
	v_add_nc_u32_e32 v5, v6, v5
	v_mov_b32_dpp v6, v5 row_shr:2 row_mask:0xf bank_mask:0xf
	v_cndmask_b32_e32 v6, 0, v6, vcc_lo
	v_add_nc_u32_e32 v5, v5, v6
	ds_write_b32 v66, v5
.LBB1044_724:                           ;   in Loop: Header=BB1044_20 Depth=1
	s_or_b32 exec_lo, exec_lo, s20
	v_mov_b32_e32 v5, 0
	s_waitcnt lgkmcnt(0)
	s_barrier
	buffer_gl0_inv
	s_and_saveexec_b32 s20, s11
; %bb.725:                              ;   in Loop: Header=BB1044_20 Depth=1
	ds_read_b32 v5, v67
; %bb.726:                              ;   in Loop: Header=BB1044_20 Depth=1
	s_or_b32 exec_lo, exec_lo, s20
	v_cmp_gt_i32_e32 vcc_lo, 0, v95
	s_waitcnt lgkmcnt(0)
	v_add_nc_u32_e32 v3, v5, v3
	s_barrier
	buffer_gl0_inv
	v_cndmask_b32_e32 v6, v95, v86, vcc_lo
	v_lshlrev_b32_e32 v125, 2, v6
	ds_bpermute_b32 v3, v125, v3
	s_and_saveexec_b32 s20, s8
	s_cbranch_execz .LBB1044_728
; %bb.727:                              ;   in Loop: Header=BB1044_20 Depth=1
	s_waitcnt lgkmcnt(0)
	v_cndmask_b32_e64 v3, v3, v5, s15
	v_add_nc_u32_e32 v3, s58, v3
	ds_write_b32 v43, v3
.LBB1044_728:                           ;   in Loop: Header=BB1044_20 Depth=1
	s_or_b32 exec_lo, exec_lo, s20
	s_load_dwordx2 s[20:21], s[56:57], 0x0
	v_add_co_u32 v126, vcc_lo, v84, v97
	v_add_co_ci_u32_e64 v127, null, 0, v85, vcc_lo
	v_add_nc_u32_e32 v128, 0x180, v94
	v_add_nc_u32_e32 v129, 0x1a0, v94
	;; [unrolled: 1-line block ×5, first 2 shown]
	s_mov_b32 s63, s60
	s_mov_b32 s50, s58
                                        ; implicit-def: $vgpr7_vgpr8
                                        ; implicit-def: $vgpr9_vgpr10
                                        ; implicit-def: $vgpr11_vgpr12
                                        ; implicit-def: $vgpr13_vgpr14
                                        ; implicit-def: $vgpr15_vgpr16
                                        ; implicit-def: $vgpr19_vgpr20
                                        ; implicit-def: $vgpr23_vgpr24
                                        ; implicit-def: $vgpr27_vgpr28
                                        ; implicit-def: $vgpr17_vgpr18
                                        ; implicit-def: $vgpr21_vgpr22
                                        ; implicit-def: $vgpr25_vgpr26
                                        ; implicit-def: $vgpr29_vgpr30
                                        ; implicit-def: $vgpr31_vgpr32
                                        ; implicit-def: $vgpr33_vgpr34
                                        ; implicit-def: $vgpr35_vgpr36
                                        ; implicit-def: $vgpr37_vgpr38
                                        ; implicit-def: $vgpr136
                                        ; implicit-def: $vgpr137
                                        ; implicit-def: $vgpr138
                                        ; implicit-def: $vgpr139
                                        ; implicit-def: $vgpr140
                                        ; implicit-def: $vgpr141
                                        ; implicit-def: $vgpr142
                                        ; implicit-def: $vgpr143
                                        ; implicit-def: $vgpr144
                                        ; implicit-def: $vgpr145
                                        ; implicit-def: $vgpr146
                                        ; implicit-def: $vgpr147
                                        ; implicit-def: $vgpr148
                                        ; implicit-def: $vgpr149
                                        ; implicit-def: $vgpr150
                                        ; implicit-def: $vgpr152
                                        ; implicit-def: $vgpr153
                                        ; implicit-def: $vgpr151
                                        ; implicit-def: $vgpr154
	s_waitcnt lgkmcnt(0)
	s_cmp_lt_u32 s7, s21
	s_cselect_b32 s21, 14, 20
	s_add_u32 s22, s56, s21
	s_addc_u32 s23, s57, 0
	s_cmp_lt_u32 s6, s20
	global_load_ushort v3, v4, s[22:23]
	s_cselect_b32 s20, 12, 18
	s_add_u32 s20, s56, s20
	s_addc_u32 s21, s57, 0
	global_load_ushort v5, v4, s[20:21]
	v_cmp_eq_u32_e64 s20, 0, v96
	v_cmp_lt_u32_e64 s21, 1, v96
	v_cmp_lt_u32_e64 s22, 3, v96
	s_waitcnt vmcnt(1)
	v_mad_u32_u24 v3, v2, v3, v1
	s_waitcnt vmcnt(0)
	v_mad_u64_u32 v[5:6], null, v3, v5, v[0:1]
	v_lshlrev_b32_e32 v3, 1, v86
	v_add_co_u32 v133, vcc_lo, v87, v3
	v_lshrrev_b32_e32 v5, 3, v5
	v_add_co_ci_u32_e64 v134, null, 0, v88, vcc_lo
	v_and_b32_e32 v135, 0x1ffffffc, v5
                                        ; implicit-def: $vgpr5_vgpr6
	s_branch .LBB1044_730
.LBB1044_729:                           ;   in Loop: Header=BB1044_730 Depth=2
	s_or_b32 exec_lo, exec_lo, s23
	s_addk_i32 s63, 0xef00
	s_cmp_lt_u32 s64, s59
	s_mov_b32 s50, s64
	s_cbranch_scc0 .LBB1044_952
.LBB1044_730:                           ;   Parent Loop BB1044_20 Depth=1
                                        ; =>  This Inner Loop Header: Depth=2
	s_add_i32 s64, s50, 0x1100
	s_cmp_gt_u32 s64, s59
	s_cbranch_scc1 .LBB1044_732
; %bb.731:                              ;   in Loop: Header=BB1044_730 Depth=2
	s_lshl_b64 s[24:25], s[50:51], 1
	s_mov_b32 s23, -1
	v_add_co_u32 v39, vcc_lo, v133, s24
	v_add_co_ci_u32_e64 v40, null, s25, v134, vcc_lo
	s_clause 0xf
	global_load_ushort v156, v[39:40], off
	global_load_ushort v157, v[39:40], off offset:64
	global_load_ushort v160, v[39:40], off offset:128
	;; [unrolled: 1-line block ×15, first 2 shown]
	s_movk_i32 s24, 0x1100
	s_cbranch_execz .LBB1044_733
	s_branch .LBB1044_766
.LBB1044_732:                           ;   in Loop: Header=BB1044_730 Depth=2
	s_mov_b32 s23, 0
                                        ; implicit-def: $vgpr156
                                        ; implicit-def: $vgpr157
                                        ; implicit-def: $vgpr160
                                        ; implicit-def: $vgpr164
                                        ; implicit-def: $vgpr169
                                        ; implicit-def: $vgpr174
                                        ; implicit-def: $vgpr179
                                        ; implicit-def: $vgpr184
                                        ; implicit-def: $vgpr189
                                        ; implicit-def: $vgpr187
                                        ; implicit-def: $vgpr182
                                        ; implicit-def: $vgpr177
                                        ; implicit-def: $vgpr173
                                        ; implicit-def: $vgpr168
                                        ; implicit-def: $vgpr42
                                        ; implicit-def: $vgpr41
	s_movk_i32 s24, 0x1100
.LBB1044_733:                           ;   in Loop: Header=BB1044_730 Depth=2
	s_lshl_b64 s[24:25], s[50:51], 1
	s_waitcnt vmcnt(14)
	v_mov_b32_e32 v157, 0x7fff
	v_add_co_u32 v39, vcc_lo, v133, s24
	v_add_co_ci_u32_e64 v40, null, s25, v134, vcc_lo
	v_mov_b32_e32 v156, 0x7fff
	s_mov_b32 s23, exec_lo
	v_cmpx_gt_u32_e64 s63, v94
	s_cbranch_execz .LBB1044_735
; %bb.734:                              ;   in Loop: Header=BB1044_730 Depth=2
	global_load_ushort v156, v[39:40], off
.LBB1044_735:                           ;   in Loop: Header=BB1044_730 Depth=2
	s_or_b32 exec_lo, exec_lo, s23
	s_mov_b32 s23, exec_lo
	v_cmpx_gt_u32_e64 s63, v98
	s_cbranch_execz .LBB1044_737
; %bb.736:                              ;   in Loop: Header=BB1044_730 Depth=2
	global_load_ushort v157, v[39:40], off offset:64
.LBB1044_737:                           ;   in Loop: Header=BB1044_730 Depth=2
	s_or_b32 exec_lo, exec_lo, s23
	s_waitcnt vmcnt(12)
	v_mov_b32_e32 v164, 0x7fff
	v_mov_b32_e32 v160, 0x7fff
	s_mov_b32 s23, exec_lo
	v_cmpx_gt_u32_e64 s63, v99
	s_cbranch_execz .LBB1044_739
; %bb.738:                              ;   in Loop: Header=BB1044_730 Depth=2
	global_load_ushort v160, v[39:40], off offset:128
.LBB1044_739:                           ;   in Loop: Header=BB1044_730 Depth=2
	s_or_b32 exec_lo, exec_lo, s23
	s_mov_b32 s23, exec_lo
	v_cmpx_gt_u32_e64 s63, v100
	s_cbranch_execz .LBB1044_741
; %bb.740:                              ;   in Loop: Header=BB1044_730 Depth=2
	global_load_ushort v164, v[39:40], off offset:192
.LBB1044_741:                           ;   in Loop: Header=BB1044_730 Depth=2
	s_or_b32 exec_lo, exec_lo, s23
	s_waitcnt vmcnt(10)
	v_mov_b32_e32 v174, 0x7fff
	v_mov_b32_e32 v169, 0x7fff
	s_mov_b32 s23, exec_lo
	v_cmpx_gt_u32_e64 s63, v101
	s_cbranch_execz .LBB1044_743
; %bb.742:                              ;   in Loop: Header=BB1044_730 Depth=2
	global_load_ushort v169, v[39:40], off offset:256
.LBB1044_743:                           ;   in Loop: Header=BB1044_730 Depth=2
	;; [unrolled: 17-line block ×7, first 2 shown]
	s_or_b32 exec_lo, exec_lo, s23
	s_mov_b32 s23, exec_lo
	v_cmpx_gt_u32_e64 s63, v131
	s_cbranch_execz .LBB1044_765
; %bb.764:                              ;   in Loop: Header=BB1044_730 Depth=2
	global_load_ushort v41, v[39:40], off offset:960
.LBB1044_765:                           ;   in Loop: Header=BB1044_730 Depth=2
	s_or_b32 exec_lo, exec_lo, s23
	v_cmp_gt_u32_e64 s23, s63, v132
	s_sub_i32 s24, s59, s50
.LBB1044_766:                           ;   in Loop: Header=BB1044_730 Depth=2
	v_mov_b32_e32 v3, -1
	v_mov_b32_e32 v155, s63
	s_and_saveexec_b32 s25, s23
	s_cbranch_execz .LBB1044_768
; %bb.767:                              ;   in Loop: Header=BB1044_730 Depth=2
	s_lshl_b64 s[26:27], s[50:51], 1
	v_mov_b32_e32 v155, s24
	v_add_co_u32 v39, vcc_lo, v133, s26
	v_add_co_ci_u32_e64 v40, null, s27, v134, vcc_lo
	global_load_ushort v3, v[39:40], off offset:1024
	s_waitcnt vmcnt(0)
	v_xor_b32_e32 v3, 0xffff8000, v3
.LBB1044_768:                           ;   in Loop: Header=BB1044_730 Depth=2
	s_or_b32 exec_lo, exec_lo, s25
	s_waitcnt vmcnt(15)
	v_xor_b32_e32 v156, 0xffff8000, v156
	ds_write2_b32 v68, v4, v4 offset0:136 offset1:137
	ds_write2_b32 v68, v4, v4 offset0:138 offset1:139
	ds_write_b32 v68, v4 offset:560
	s_waitcnt vmcnt(0) lgkmcnt(0)
	s_barrier
	v_lshrrev_b32_sdwa v39, s41, v156 dst_sel:DWORD dst_unused:UNUSED_PAD src0_sel:DWORD src1_sel:WORD_0
	buffer_gl0_inv
	; wave barrier
	v_and_b32_e32 v40, s62, v39
	v_and_b32_e32 v39, 1, v40
	v_lshlrev_b32_e32 v158, 30, v40
	v_lshlrev_b32_e32 v159, 29, v40
	;; [unrolled: 1-line block ×4, first 2 shown]
	v_add_co_u32 v39, s23, v39, -1
	v_cndmask_b32_e64 v161, 0, 1, s23
	v_not_b32_e32 v166, v158
	v_cmp_gt_i32_e64 s23, 0, v158
	v_not_b32_e32 v158, v159
	v_lshlrev_b32_e32 v165, 26, v40
	v_cmp_ne_u32_e32 vcc_lo, 0, v161
	v_ashrrev_i32_e32 v166, 31, v166
	v_lshlrev_b32_e32 v161, 25, v40
	v_ashrrev_i32_e32 v158, 31, v158
	v_mul_u32_u24_e32 v40, 36, v40
	v_xor_b32_e32 v39, vcc_lo, v39
	v_cmp_gt_i32_e32 vcc_lo, 0, v159
	v_not_b32_e32 v159, v162
	v_xor_b32_e32 v166, s23, v166
	v_cmp_gt_i32_e64 s23, 0, v162
	v_and_b32_e32 v39, exec_lo, v39
	v_not_b32_e32 v162, v163
	v_ashrrev_i32_e32 v159, 31, v159
	v_xor_b32_e32 v158, vcc_lo, v158
	v_cmp_gt_i32_e32 vcc_lo, 0, v163
	v_and_b32_e32 v39, v39, v166
	v_not_b32_e32 v163, v165
	v_ashrrev_i32_e32 v162, 31, v162
	v_xor_b32_e32 v159, s23, v159
	v_cmp_gt_i32_e64 s23, 0, v165
	v_and_b32_e32 v39, v39, v158
	v_not_b32_e32 v158, v161
	v_ashrrev_i32_e32 v163, 31, v163
	v_xor_b32_e32 v162, vcc_lo, v162
	v_cmp_gt_i32_e32 vcc_lo, 0, v161
	v_and_b32_e32 v39, v39, v159
	v_ashrrev_i32_e32 v158, 31, v158
	v_xor_b32_e32 v159, s23, v163
	v_and_b32_e32 v39, v39, v162
	v_xor_b32_e32 v158, vcc_lo, v158
	v_and_b32_e32 v39, v39, v159
	v_add_nc_u32_e32 v159, v135, v40
	v_and_b32_e32 v39, v39, v158
	v_mbcnt_lo_u32_b32 v158, v39, 0
	v_cmp_ne_u32_e64 s23, 0, v39
	v_cmp_eq_u32_e32 vcc_lo, 0, v158
	s_and_b32 s24, s23, vcc_lo
	s_and_saveexec_b32 s23, s24
; %bb.769:                              ;   in Loop: Header=BB1044_730 Depth=2
	v_bcnt_u32_b32 v39, v39, 0
	ds_write_b32 v159, v39 offset:544
; %bb.770:                              ;   in Loop: Header=BB1044_730 Depth=2
	s_or_b32 exec_lo, exec_lo, s23
	v_xor_b32_e32 v157, 0xffff8000, v157
	; wave barrier
	v_lshrrev_b32_sdwa v39, s41, v157 dst_sel:DWORD dst_unused:UNUSED_PAD src0_sel:DWORD src1_sel:WORD_0
	v_and_b32_e32 v40, s62, v39
	v_and_b32_e32 v39, 1, v40
	v_lshlrev_b32_e32 v161, 30, v40
	v_lshlrev_b32_e32 v162, 29, v40
	v_lshlrev_b32_e32 v165, 28, v40
	v_lshlrev_b32_e32 v166, 27, v40
	v_add_co_u32 v39, s23, v39, -1
	v_cndmask_b32_e64 v163, 0, 1, s23
	v_not_b32_e32 v170, v161
	v_cmp_gt_i32_e64 s23, 0, v161
	v_not_b32_e32 v161, v162
	v_lshlrev_b32_e32 v167, 26, v40
	v_cmp_ne_u32_e32 vcc_lo, 0, v163
	v_ashrrev_i32_e32 v170, 31, v170
	v_lshlrev_b32_e32 v163, 25, v40
	v_ashrrev_i32_e32 v161, 31, v161
	v_xor_b32_e32 v39, vcc_lo, v39
	v_cmp_gt_i32_e32 vcc_lo, 0, v162
	v_not_b32_e32 v162, v165
	v_xor_b32_e32 v170, s23, v170
	v_cmp_gt_i32_e64 s23, 0, v165
	v_and_b32_e32 v39, exec_lo, v39
	v_not_b32_e32 v165, v166
	v_ashrrev_i32_e32 v162, 31, v162
	v_xor_b32_e32 v161, vcc_lo, v161
	v_cmp_gt_i32_e32 vcc_lo, 0, v166
	v_and_b32_e32 v39, v39, v170
	v_not_b32_e32 v166, v167
	v_ashrrev_i32_e32 v165, 31, v165
	v_xor_b32_e32 v162, s23, v162
	v_cmp_gt_i32_e64 s23, 0, v167
	v_and_b32_e32 v39, v39, v161
	v_not_b32_e32 v161, v163
	v_ashrrev_i32_e32 v166, 31, v166
	v_xor_b32_e32 v165, vcc_lo, v165
	v_cmp_gt_i32_e32 vcc_lo, 0, v163
	v_and_b32_e32 v39, v39, v162
	v_ashrrev_i32_e32 v161, 31, v161
	v_xor_b32_e32 v162, s23, v166
	v_mad_u32_u24 v163, v40, 36, v135
	v_mul_u32_u24_e32 v40, 36, v40
	v_and_b32_e32 v39, v39, v165
	v_xor_b32_e32 v165, vcc_lo, v161
	ds_read_b32 v161, v163 offset:544
	v_add_nc_u32_e32 v163, v135, v40
	v_and_b32_e32 v39, v39, v162
	; wave barrier
	v_and_b32_e32 v39, v39, v165
	v_mbcnt_lo_u32_b32 v162, v39, 0
	v_cmp_ne_u32_e64 s23, 0, v39
	v_cmp_eq_u32_e32 vcc_lo, 0, v162
	s_and_b32 s24, s23, vcc_lo
	s_and_saveexec_b32 s23, s24
	s_cbranch_execz .LBB1044_772
; %bb.771:                              ;   in Loop: Header=BB1044_730 Depth=2
	s_waitcnt lgkmcnt(0)
	v_bcnt_u32_b32 v39, v39, v161
	ds_write_b32 v163, v39 offset:544
.LBB1044_772:                           ;   in Loop: Header=BB1044_730 Depth=2
	s_or_b32 exec_lo, exec_lo, s23
	v_xor_b32_e32 v160, 0xffff8000, v160
	; wave barrier
	v_lshrrev_b32_sdwa v39, s41, v160 dst_sel:DWORD dst_unused:UNUSED_PAD src0_sel:DWORD src1_sel:WORD_0
	v_and_b32_e32 v40, s62, v39
	v_and_b32_e32 v39, 1, v40
	v_lshlrev_b32_e32 v165, 30, v40
	v_lshlrev_b32_e32 v166, 29, v40
	v_lshlrev_b32_e32 v170, 28, v40
	v_lshlrev_b32_e32 v171, 27, v40
	v_add_co_u32 v39, s23, v39, -1
	v_cndmask_b32_e64 v167, 0, 1, s23
	v_not_b32_e32 v175, v165
	v_cmp_gt_i32_e64 s23, 0, v165
	v_not_b32_e32 v165, v166
	v_lshlrev_b32_e32 v172, 26, v40
	v_cmp_ne_u32_e32 vcc_lo, 0, v167
	v_ashrrev_i32_e32 v175, 31, v175
	v_lshlrev_b32_e32 v167, 25, v40
	v_ashrrev_i32_e32 v165, 31, v165
	v_xor_b32_e32 v39, vcc_lo, v39
	v_cmp_gt_i32_e32 vcc_lo, 0, v166
	v_not_b32_e32 v166, v170
	v_xor_b32_e32 v175, s23, v175
	v_cmp_gt_i32_e64 s23, 0, v170
	v_and_b32_e32 v39, exec_lo, v39
	v_not_b32_e32 v170, v171
	v_ashrrev_i32_e32 v166, 31, v166
	v_xor_b32_e32 v165, vcc_lo, v165
	v_cmp_gt_i32_e32 vcc_lo, 0, v171
	v_and_b32_e32 v39, v39, v175
	v_not_b32_e32 v171, v172
	v_ashrrev_i32_e32 v170, 31, v170
	v_xor_b32_e32 v166, s23, v166
	v_cmp_gt_i32_e64 s23, 0, v172
	v_and_b32_e32 v39, v39, v165
	v_not_b32_e32 v165, v167
	v_ashrrev_i32_e32 v171, 31, v171
	v_xor_b32_e32 v170, vcc_lo, v170
	v_cmp_gt_i32_e32 vcc_lo, 0, v167
	v_and_b32_e32 v39, v39, v166
	v_ashrrev_i32_e32 v165, 31, v165
	v_xor_b32_e32 v166, s23, v171
	v_mad_u32_u24 v167, v40, 36, v135
	v_mul_u32_u24_e32 v40, 36, v40
	v_and_b32_e32 v39, v39, v170
	v_xor_b32_e32 v170, vcc_lo, v165
	ds_read_b32 v165, v167 offset:544
	v_add_nc_u32_e32 v167, v135, v40
	v_and_b32_e32 v39, v39, v166
	; wave barrier
	v_and_b32_e32 v39, v39, v170
	v_mbcnt_lo_u32_b32 v166, v39, 0
	v_cmp_ne_u32_e64 s23, 0, v39
	v_cmp_eq_u32_e32 vcc_lo, 0, v166
	s_and_b32 s24, s23, vcc_lo
	s_and_saveexec_b32 s23, s24
	s_cbranch_execz .LBB1044_774
; %bb.773:                              ;   in Loop: Header=BB1044_730 Depth=2
	s_waitcnt lgkmcnt(0)
	v_bcnt_u32_b32 v39, v39, v165
	ds_write_b32 v167, v39 offset:544
.LBB1044_774:                           ;   in Loop: Header=BB1044_730 Depth=2
	;; [unrolled: 63-line block ×9, first 2 shown]
	s_or_b32 exec_lo, exec_lo, s23
	v_xor_b32_e32 v182, 0xffff8000, v182
	; wave barrier
	v_lshrrev_b32_sdwa v39, s41, v182 dst_sel:DWORD dst_unused:UNUSED_PAD src0_sel:DWORD src1_sel:WORD_0
	v_and_b32_e32 v40, s62, v39
	v_and_b32_e32 v39, 1, v40
	v_lshlrev_b32_e32 v199, 30, v40
	v_lshlrev_b32_e32 v200, 29, v40
	;; [unrolled: 1-line block ×4, first 2 shown]
	v_add_co_u32 v39, s23, v39, -1
	v_cndmask_b32_e64 v201, 0, 1, s23
	v_not_b32_e32 v205, v199
	v_cmp_gt_i32_e64 s23, 0, v199
	v_not_b32_e32 v199, v200
	v_lshlrev_b32_e32 v204, 26, v40
	v_cmp_ne_u32_e32 vcc_lo, 0, v201
	v_ashrrev_i32_e32 v205, 31, v205
	v_lshlrev_b32_e32 v201, 25, v40
	v_ashrrev_i32_e32 v199, 31, v199
	v_xor_b32_e32 v39, vcc_lo, v39
	v_cmp_gt_i32_e32 vcc_lo, 0, v200
	v_not_b32_e32 v200, v202
	v_xor_b32_e32 v205, s23, v205
	v_cmp_gt_i32_e64 s23, 0, v202
	v_and_b32_e32 v39, exec_lo, v39
	v_not_b32_e32 v202, v203
	v_ashrrev_i32_e32 v200, 31, v200
	v_xor_b32_e32 v199, vcc_lo, v199
	v_cmp_gt_i32_e32 vcc_lo, 0, v203
	v_and_b32_e32 v39, v39, v205
	v_not_b32_e32 v203, v204
	v_ashrrev_i32_e32 v202, 31, v202
	v_xor_b32_e32 v200, s23, v200
	v_cmp_gt_i32_e64 s23, 0, v204
	v_and_b32_e32 v39, v39, v199
	v_not_b32_e32 v199, v201
	v_ashrrev_i32_e32 v203, 31, v203
	v_xor_b32_e32 v202, vcc_lo, v202
	v_cmp_gt_i32_e32 vcc_lo, 0, v201
	v_and_b32_e32 v39, v39, v200
	v_ashrrev_i32_e32 v199, 31, v199
	v_xor_b32_e32 v200, s23, v203
	v_mad_u32_u24 v201, v40, 36, v135
	v_mul_u32_u24_e32 v40, 36, v40
	v_and_b32_e32 v39, v39, v202
	v_xor_b32_e32 v199, vcc_lo, v199
	v_add_nc_u32_e32 v202, v135, v40
	v_and_b32_e32 v39, v39, v200
	ds_read_b32 v200, v201 offset:544
	; wave barrier
	v_and_b32_e32 v39, v39, v199
	v_mbcnt_lo_u32_b32 v201, v39, 0
	v_cmp_ne_u32_e64 s23, 0, v39
	v_cmp_eq_u32_e32 vcc_lo, 0, v201
	s_and_b32 s24, s23, vcc_lo
	s_and_saveexec_b32 s23, s24
	s_cbranch_execz .LBB1044_790
; %bb.789:                              ;   in Loop: Header=BB1044_730 Depth=2
	s_waitcnt lgkmcnt(0)
	v_bcnt_u32_b32 v39, v39, v200
	ds_write_b32 v202, v39 offset:544
.LBB1044_790:                           ;   in Loop: Header=BB1044_730 Depth=2
	s_or_b32 exec_lo, exec_lo, s23
	v_xor_b32_e32 v199, 0xffff8000, v177
	; wave barrier
	v_lshrrev_b32_sdwa v39, s41, v199 dst_sel:DWORD dst_unused:UNUSED_PAD src0_sel:DWORD src1_sel:WORD_0
	v_and_b32_e32 v40, s62, v39
	v_and_b32_e32 v39, 1, v40
	v_lshlrev_b32_e32 v177, 30, v40
	v_lshlrev_b32_e32 v203, 29, v40
	v_lshlrev_b32_e32 v205, 28, v40
	v_lshlrev_b32_e32 v206, 27, v40
	v_add_co_u32 v39, s23, v39, -1
	v_cndmask_b32_e64 v204, 0, 1, s23
	v_not_b32_e32 v208, v177
	v_cmp_gt_i32_e64 s23, 0, v177
	v_not_b32_e32 v177, v203
	v_lshlrev_b32_e32 v207, 26, v40
	v_cmp_ne_u32_e32 vcc_lo, 0, v204
	v_ashrrev_i32_e32 v208, 31, v208
	v_lshlrev_b32_e32 v204, 25, v40
	v_ashrrev_i32_e32 v177, 31, v177
	v_xor_b32_e32 v39, vcc_lo, v39
	v_cmp_gt_i32_e32 vcc_lo, 0, v203
	v_not_b32_e32 v203, v205
	v_xor_b32_e32 v208, s23, v208
	v_cmp_gt_i32_e64 s23, 0, v205
	v_and_b32_e32 v39, exec_lo, v39
	v_not_b32_e32 v205, v206
	v_ashrrev_i32_e32 v203, 31, v203
	v_xor_b32_e32 v177, vcc_lo, v177
	v_cmp_gt_i32_e32 vcc_lo, 0, v206
	v_and_b32_e32 v39, v39, v208
	v_not_b32_e32 v206, v207
	v_ashrrev_i32_e32 v205, 31, v205
	v_xor_b32_e32 v203, s23, v203
	v_cmp_gt_i32_e64 s23, 0, v207
	v_and_b32_e32 v39, v39, v177
	v_not_b32_e32 v177, v204
	v_ashrrev_i32_e32 v206, 31, v206
	v_xor_b32_e32 v205, vcc_lo, v205
	v_cmp_gt_i32_e32 vcc_lo, 0, v204
	v_and_b32_e32 v39, v39, v203
	v_ashrrev_i32_e32 v177, 31, v177
	v_xor_b32_e32 v203, s23, v206
	v_mad_u32_u24 v204, v40, 36, v135
	v_mul_u32_u24_e32 v40, 36, v40
	v_and_b32_e32 v39, v39, v205
	v_xor_b32_e32 v177, vcc_lo, v177
	ds_read_b32 v204, v204 offset:544
	v_and_b32_e32 v39, v39, v203
	; wave barrier
	v_and_b32_e32 v39, v39, v177
	v_add_nc_u32_e32 v177, v135, v40
	v_mbcnt_lo_u32_b32 v205, v39, 0
	v_cmp_ne_u32_e64 s23, 0, v39
	v_cmp_eq_u32_e32 vcc_lo, 0, v205
	s_and_b32 s24, s23, vcc_lo
	s_and_saveexec_b32 s23, s24
	s_cbranch_execz .LBB1044_792
; %bb.791:                              ;   in Loop: Header=BB1044_730 Depth=2
	s_waitcnt lgkmcnt(0)
	v_bcnt_u32_b32 v39, v39, v204
	ds_write_b32 v177, v39 offset:544
.LBB1044_792:                           ;   in Loop: Header=BB1044_730 Depth=2
	s_or_b32 exec_lo, exec_lo, s23
	v_xor_b32_e32 v203, 0xffff8000, v173
	; wave barrier
	v_lshrrev_b32_sdwa v39, s41, v203 dst_sel:DWORD dst_unused:UNUSED_PAD src0_sel:DWORD src1_sel:WORD_0
	v_and_b32_e32 v40, s62, v39
	v_and_b32_e32 v39, 1, v40
	v_lshlrev_b32_e32 v173, 30, v40
	v_lshlrev_b32_e32 v206, 29, v40
	v_lshlrev_b32_e32 v208, 28, v40
	v_lshlrev_b32_e32 v209, 27, v40
	v_add_co_u32 v39, s23, v39, -1
	v_cndmask_b32_e64 v207, 0, 1, s23
	v_not_b32_e32 v211, v173
	v_cmp_gt_i32_e64 s23, 0, v173
	v_not_b32_e32 v173, v206
	v_lshlrev_b32_e32 v210, 26, v40
	v_cmp_ne_u32_e32 vcc_lo, 0, v207
	v_ashrrev_i32_e32 v211, 31, v211
	v_lshlrev_b32_e32 v207, 25, v40
	v_ashrrev_i32_e32 v173, 31, v173
	v_xor_b32_e32 v39, vcc_lo, v39
	v_cmp_gt_i32_e32 vcc_lo, 0, v206
	v_not_b32_e32 v206, v208
	v_xor_b32_e32 v211, s23, v211
	v_cmp_gt_i32_e64 s23, 0, v208
	v_and_b32_e32 v39, exec_lo, v39
	v_not_b32_e32 v208, v209
	v_ashrrev_i32_e32 v206, 31, v206
	v_xor_b32_e32 v173, vcc_lo, v173
	v_cmp_gt_i32_e32 vcc_lo, 0, v209
	v_and_b32_e32 v39, v39, v211
	v_not_b32_e32 v209, v210
	v_ashrrev_i32_e32 v208, 31, v208
	v_xor_b32_e32 v206, s23, v206
	v_cmp_gt_i32_e64 s23, 0, v210
	v_and_b32_e32 v39, v39, v173
	v_not_b32_e32 v173, v207
	v_ashrrev_i32_e32 v209, 31, v209
	v_xor_b32_e32 v208, vcc_lo, v208
	v_cmp_gt_i32_e32 vcc_lo, 0, v207
	v_and_b32_e32 v39, v39, v206
	v_ashrrev_i32_e32 v173, 31, v173
	v_xor_b32_e32 v206, s23, v209
	v_mad_u32_u24 v207, v40, 36, v135
	v_mul_u32_u24_e32 v40, 36, v40
	v_and_b32_e32 v39, v39, v208
	v_xor_b32_e32 v173, vcc_lo, v173
	ds_read_b32 v207, v207 offset:544
	v_and_b32_e32 v39, v39, v206
	; wave barrier
	v_and_b32_e32 v39, v39, v173
	v_add_nc_u32_e32 v173, v135, v40
	;; [unrolled: 63-line block ×3, first 2 shown]
	v_mbcnt_lo_u32_b32 v211, v39, 0
	v_cmp_ne_u32_e64 s23, 0, v39
	v_cmp_eq_u32_e32 vcc_lo, 0, v211
	s_and_b32 s24, s23, vcc_lo
	s_and_saveexec_b32 s23, s24
	s_cbranch_execz .LBB1044_796
; %bb.795:                              ;   in Loop: Header=BB1044_730 Depth=2
	s_waitcnt lgkmcnt(0)
	v_bcnt_u32_b32 v39, v39, v210
	ds_write_b32 v168, v39 offset:544
.LBB1044_796:                           ;   in Loop: Header=BB1044_730 Depth=2
	s_or_b32 exec_lo, exec_lo, s23
	v_xor_b32_e32 v209, 0xffff8000, v42
	; wave barrier
	v_lshrrev_b32_sdwa v39, s41, v209 dst_sel:DWORD dst_unused:UNUSED_PAD src0_sel:DWORD src1_sel:WORD_0
	v_and_b32_e32 v40, s62, v39
	v_and_b32_e32 v39, 1, v40
	v_lshlrev_b32_e32 v42, 30, v40
	v_lshlrev_b32_e32 v212, 29, v40
	;; [unrolled: 1-line block ×4, first 2 shown]
	v_add_co_u32 v39, s23, v39, -1
	v_cndmask_b32_e64 v213, 0, 1, s23
	v_not_b32_e32 v217, v42
	v_cmp_gt_i32_e64 s23, 0, v42
	v_not_b32_e32 v42, v212
	v_lshlrev_b32_e32 v216, 26, v40
	v_cmp_ne_u32_e32 vcc_lo, 0, v213
	v_ashrrev_i32_e32 v217, 31, v217
	v_lshlrev_b32_e32 v213, 25, v40
	v_ashrrev_i32_e32 v42, 31, v42
	v_xor_b32_e32 v39, vcc_lo, v39
	v_cmp_gt_i32_e32 vcc_lo, 0, v212
	v_not_b32_e32 v212, v214
	v_xor_b32_e32 v217, s23, v217
	v_cmp_gt_i32_e64 s23, 0, v214
	v_and_b32_e32 v39, exec_lo, v39
	v_not_b32_e32 v214, v215
	v_ashrrev_i32_e32 v212, 31, v212
	v_xor_b32_e32 v42, vcc_lo, v42
	v_cmp_gt_i32_e32 vcc_lo, 0, v215
	v_and_b32_e32 v39, v39, v217
	v_not_b32_e32 v215, v216
	v_ashrrev_i32_e32 v214, 31, v214
	v_xor_b32_e32 v212, s23, v212
	v_cmp_gt_i32_e64 s23, 0, v216
	v_and_b32_e32 v39, v39, v42
	v_not_b32_e32 v42, v213
	v_ashrrev_i32_e32 v215, 31, v215
	v_xor_b32_e32 v214, vcc_lo, v214
	v_cmp_gt_i32_e32 vcc_lo, 0, v213
	v_and_b32_e32 v39, v39, v212
	v_ashrrev_i32_e32 v42, 31, v42
	v_xor_b32_e32 v212, s23, v215
	v_mad_u32_u24 v213, v40, 36, v135
	v_mul_u32_u24_e32 v40, 36, v40
	v_and_b32_e32 v39, v39, v214
	v_xor_b32_e32 v42, vcc_lo, v42
	ds_read_b32 v213, v213 offset:544
	v_add_nc_u32_e32 v215, v135, v40
	v_and_b32_e32 v39, v39, v212
	; wave barrier
	v_and_b32_e32 v39, v39, v42
	v_mbcnt_lo_u32_b32 v214, v39, 0
	v_cmp_ne_u32_e64 s23, 0, v39
	v_cmp_eq_u32_e32 vcc_lo, 0, v214
	s_and_b32 s24, s23, vcc_lo
	s_and_saveexec_b32 s23, s24
	s_cbranch_execz .LBB1044_798
; %bb.797:                              ;   in Loop: Header=BB1044_730 Depth=2
	s_waitcnt lgkmcnt(0)
	v_bcnt_u32_b32 v39, v39, v213
	ds_write_b32 v215, v39 offset:544
.LBB1044_798:                           ;   in Loop: Header=BB1044_730 Depth=2
	s_or_b32 exec_lo, exec_lo, s23
	v_xor_b32_e32 v212, 0xffff8000, v41
	; wave barrier
	v_lshrrev_b32_sdwa v39, s41, v212 dst_sel:DWORD dst_unused:UNUSED_PAD src0_sel:DWORD src1_sel:WORD_0
	v_and_b32_e32 v40, s62, v39
	v_and_b32_e32 v39, 1, v40
	v_lshlrev_b32_e32 v41, 30, v40
	v_lshlrev_b32_e32 v42, 29, v40
	;; [unrolled: 1-line block ×4, first 2 shown]
	v_add_co_u32 v39, s23, v39, -1
	v_cndmask_b32_e64 v216, 0, 1, s23
	v_not_b32_e32 v220, v41
	v_cmp_gt_i32_e64 s23, 0, v41
	v_not_b32_e32 v41, v42
	v_lshlrev_b32_e32 v219, 26, v40
	v_cmp_ne_u32_e32 vcc_lo, 0, v216
	v_ashrrev_i32_e32 v220, 31, v220
	v_lshlrev_b32_e32 v216, 25, v40
	v_ashrrev_i32_e32 v41, 31, v41
	v_xor_b32_e32 v39, vcc_lo, v39
	v_cmp_gt_i32_e32 vcc_lo, 0, v42
	v_not_b32_e32 v42, v217
	v_xor_b32_e32 v220, s23, v220
	v_cmp_gt_i32_e64 s23, 0, v217
	v_and_b32_e32 v39, exec_lo, v39
	v_not_b32_e32 v217, v218
	v_ashrrev_i32_e32 v42, 31, v42
	v_xor_b32_e32 v41, vcc_lo, v41
	v_cmp_gt_i32_e32 vcc_lo, 0, v218
	v_and_b32_e32 v39, v39, v220
	v_not_b32_e32 v218, v219
	v_ashrrev_i32_e32 v217, 31, v217
	v_xor_b32_e32 v42, s23, v42
	v_cmp_gt_i32_e64 s23, 0, v219
	v_and_b32_e32 v39, v39, v41
	v_not_b32_e32 v41, v216
	v_ashrrev_i32_e32 v218, 31, v218
	v_xor_b32_e32 v217, vcc_lo, v217
	v_cmp_gt_i32_e32 vcc_lo, 0, v216
	v_and_b32_e32 v39, v39, v42
	v_ashrrev_i32_e32 v41, 31, v41
	v_xor_b32_e32 v42, s23, v218
	v_mad_u32_u24 v216, v40, 36, v135
	v_mul_u32_u24_e32 v40, 36, v40
	v_and_b32_e32 v39, v39, v217
	v_xor_b32_e32 v41, vcc_lo, v41
	ds_read_b32 v216, v216 offset:544
	v_add_nc_u32_e32 v218, v135, v40
	v_and_b32_e32 v39, v39, v42
	; wave barrier
	v_and_b32_e32 v39, v39, v41
	v_mbcnt_lo_u32_b32 v217, v39, 0
	v_cmp_ne_u32_e64 s23, 0, v39
	v_cmp_eq_u32_e32 vcc_lo, 0, v217
	s_and_b32 s24, s23, vcc_lo
	s_and_saveexec_b32 s23, s24
	s_cbranch_execz .LBB1044_800
; %bb.799:                              ;   in Loop: Header=BB1044_730 Depth=2
	s_waitcnt lgkmcnt(0)
	v_bcnt_u32_b32 v39, v39, v216
	ds_write_b32 v218, v39 offset:544
.LBB1044_800:                           ;   in Loop: Header=BB1044_730 Depth=2
	s_or_b32 exec_lo, exec_lo, s23
	v_lshrrev_b32_sdwa v39, s41, v3 dst_sel:DWORD dst_unused:UNUSED_PAD src0_sel:DWORD src1_sel:WORD_0
	; wave barrier
	v_and_b32_e32 v40, s62, v39
	v_and_b32_e32 v39, 1, v40
	v_lshlrev_b32_e32 v41, 30, v40
	v_lshlrev_b32_e32 v42, 29, v40
	;; [unrolled: 1-line block ×4, first 2 shown]
	v_add_co_u32 v39, s23, v39, -1
	v_cndmask_b32_e64 v219, 0, 1, s23
	v_not_b32_e32 v223, v41
	v_cmp_gt_i32_e64 s23, 0, v41
	v_not_b32_e32 v41, v42
	v_lshlrev_b32_e32 v222, 26, v40
	v_cmp_ne_u32_e32 vcc_lo, 0, v219
	v_ashrrev_i32_e32 v223, 31, v223
	v_lshlrev_b32_e32 v219, 25, v40
	v_ashrrev_i32_e32 v41, 31, v41
	v_xor_b32_e32 v39, vcc_lo, v39
	v_cmp_gt_i32_e32 vcc_lo, 0, v42
	v_not_b32_e32 v42, v220
	v_xor_b32_e32 v223, s23, v223
	v_cmp_gt_i32_e64 s23, 0, v220
	v_and_b32_e32 v39, exec_lo, v39
	v_not_b32_e32 v220, v221
	v_ashrrev_i32_e32 v42, 31, v42
	v_xor_b32_e32 v41, vcc_lo, v41
	v_cmp_gt_i32_e32 vcc_lo, 0, v221
	v_and_b32_e32 v39, v39, v223
	v_not_b32_e32 v221, v222
	v_ashrrev_i32_e32 v220, 31, v220
	v_xor_b32_e32 v42, s23, v42
	v_cmp_gt_i32_e64 s23, 0, v222
	v_and_b32_e32 v39, v39, v41
	v_not_b32_e32 v41, v219
	v_ashrrev_i32_e32 v221, 31, v221
	v_xor_b32_e32 v220, vcc_lo, v220
	v_cmp_gt_i32_e32 vcc_lo, 0, v219
	v_and_b32_e32 v39, v39, v42
	v_ashrrev_i32_e32 v41, 31, v41
	v_xor_b32_e32 v42, s23, v221
	v_mad_u32_u24 v219, v40, 36, v135
	v_mul_u32_u24_e32 v40, 36, v40
	v_and_b32_e32 v39, v39, v220
	v_xor_b32_e32 v41, vcc_lo, v41
	ds_read_b32 v219, v219 offset:544
	v_add_nc_u32_e32 v221, v135, v40
	v_and_b32_e32 v39, v39, v42
	; wave barrier
	v_and_b32_e32 v39, v39, v41
	v_mbcnt_lo_u32_b32 v220, v39, 0
	v_cmp_ne_u32_e64 s23, 0, v39
	v_cmp_eq_u32_e32 vcc_lo, 0, v220
	s_and_b32 s24, s23, vcc_lo
	s_and_saveexec_b32 s23, s24
	s_cbranch_execz .LBB1044_802
; %bb.801:                              ;   in Loop: Header=BB1044_730 Depth=2
	s_waitcnt lgkmcnt(0)
	v_bcnt_u32_b32 v39, v39, v219
	ds_write_b32 v221, v39 offset:544
.LBB1044_802:                           ;   in Loop: Header=BB1044_730 Depth=2
	s_or_b32 exec_lo, exec_lo, s23
	; wave barrier
	s_waitcnt lgkmcnt(0)
	s_barrier
	buffer_gl0_inv
	ds_read2_b32 v[41:42], v68 offset0:136 offset1:137
	ds_read2_b32 v[39:40], v68 offset0:138 offset1:139
	ds_read_b32 v222, v68 offset:560
	s_waitcnt lgkmcnt(1)
	v_add3_u32 v223, v42, v41, v39
	s_waitcnt lgkmcnt(0)
	v_add3_u32 v222, v223, v40, v222
	v_mov_b32_dpp v223, v222 row_shr:1 row_mask:0xf bank_mask:0xf
	v_cndmask_b32_e64 v223, v223, 0, s5
	v_add_nc_u32_e32 v222, v223, v222
	v_mov_b32_dpp v223, v222 row_shr:2 row_mask:0xf bank_mask:0xf
	v_cndmask_b32_e64 v223, 0, v223, s16
	v_add_nc_u32_e32 v222, v222, v223
	;; [unrolled: 3-line block ×4, first 2 shown]
	ds_swizzle_b32 v223, v222 offset:swizzle(BROADCAST,32,15)
	s_waitcnt lgkmcnt(0)
	v_cndmask_b32_e64 v223, v223, 0, s19
	v_add_nc_u32_e32 v222, v222, v223
	s_and_saveexec_b32 s23, s4
; %bb.803:                              ;   in Loop: Header=BB1044_730 Depth=2
	ds_write_b32 v62, v222 offset:512
; %bb.804:                              ;   in Loop: Header=BB1044_730 Depth=2
	s_or_b32 exec_lo, exec_lo, s23
	s_waitcnt lgkmcnt(0)
	s_barrier
	buffer_gl0_inv
	s_and_saveexec_b32 s23, s12
	s_cbranch_execz .LBB1044_806
; %bb.805:                              ;   in Loop: Header=BB1044_730 Depth=2
	ds_read_b32 v223, v69 offset:512
	s_waitcnt lgkmcnt(0)
	v_mov_b32_dpp v224, v223 row_shr:1 row_mask:0xf bank_mask:0xf
	v_cndmask_b32_e64 v224, v224, 0, s20
	v_add_nc_u32_e32 v223, v224, v223
	v_mov_b32_dpp v224, v223 row_shr:2 row_mask:0xf bank_mask:0xf
	v_cndmask_b32_e64 v224, 0, v224, s21
	v_add_nc_u32_e32 v223, v223, v224
	;; [unrolled: 3-line block ×3, first 2 shown]
	ds_write_b32 v69, v223 offset:512
.LBB1044_806:                           ;   in Loop: Header=BB1044_730 Depth=2
	s_or_b32 exec_lo, exec_lo, s23
	v_mov_b32_e32 v223, 0
	s_waitcnt lgkmcnt(0)
	s_barrier
	buffer_gl0_inv
	s_and_saveexec_b32 s23, s11
; %bb.807:                              ;   in Loop: Header=BB1044_730 Depth=2
	ds_read_b32 v223, v62 offset:508
; %bb.808:                              ;   in Loop: Header=BB1044_730 Depth=2
	s_or_b32 exec_lo, exec_lo, s23
	s_waitcnt lgkmcnt(0)
	v_add_nc_u32_e32 v222, v223, v222
	ds_bpermute_b32 v222, v125, v222
	s_waitcnt lgkmcnt(0)
	v_cndmask_b32_e64 v222, v222, v223, s15
	v_cndmask_b32_e64 v222, v222, 0, s13
	v_add_nc_u32_e32 v41, v222, v41
	v_add_nc_u32_e32 v42, v41, v42
	;; [unrolled: 1-line block ×4, first 2 shown]
	ds_write2_b32 v68, v222, v41 offset0:136 offset1:137
	ds_write2_b32 v68, v42, v39 offset0:138 offset1:139
	ds_write_b32 v68, v40 offset:560
	s_waitcnt lgkmcnt(0)
	s_barrier
	buffer_gl0_inv
	ds_read_b32 v41, v159 offset:544
	ds_read_b32 v42, v163 offset:544
	;; [unrolled: 1-line block ×17, first 2 shown]
	s_and_saveexec_b32 s23, s8
	s_cbranch_execz .LBB1044_812
; %bb.809:                              ;   in Loop: Header=BB1044_730 Depth=2
	ds_read_b32 v151, v71 offset:544
	v_mov_b32_e32 v154, 0x1100
	s_and_saveexec_b32 s24, s14
; %bb.810:                              ;   in Loop: Header=BB1044_730 Depth=2
	ds_read_b32 v154, v70 offset:544
; %bb.811:                              ;   in Loop: Header=BB1044_730 Depth=2
	s_or_b32 exec_lo, exec_lo, s24
	s_waitcnt lgkmcnt(0)
	v_sub_nc_u32_e32 v154, v154, v151
.LBB1044_812:                           ;   in Loop: Header=BB1044_730 Depth=2
	s_or_b32 exec_lo, exec_lo, s23
	s_waitcnt lgkmcnt(0)
	s_barrier
	buffer_gl0_inv
	s_and_saveexec_b32 s23, s8
	s_cbranch_execz .LBB1044_814
; %bb.813:                              ;   in Loop: Header=BB1044_730 Depth=2
	ds_read_b32 v168, v43
	s_waitcnt lgkmcnt(0)
	v_sub_nc_u32_e32 v168, v168, v151
	ds_write_b32 v43, v168
.LBB1044_814:                           ;   in Loop: Header=BB1044_730 Depth=2
	s_or_b32 exec_lo, exec_lo, s23
	v_add_nc_u32_e32 v178, v41, v158
	v_add3_u32 v177, v162, v161, v42
	v_add3_u32 v173, v166, v165, v163
	;; [unrolled: 1-line block ×5, first 2 shown]
	v_lshlrev_b32_e32 v175, 1, v178
	v_lshlrev_b32_e32 v176, 1, v177
	v_add3_u32 v161, v217, v216, v39
	v_lshlrev_b32_e32 v39, 1, v173
	v_add3_u32 v170, v181, v180, v183
	v_add3_u32 v167, v191, v190, v192
	;; [unrolled: 1-line block ×5, first 2 shown]
	ds_write_b16 v175, v156 offset:512
	ds_write_b16 v176, v157 offset:512
	v_lshlrev_b32_e32 v40, 1, v172
	ds_write_b16 v39, v160 offset:512
	v_lshlrev_b32_e32 v39, 1, v168
	v_add3_u32 v165, v197, v196, v198
	v_lshlrev_b32_e32 v156, 1, v171
	v_add3_u32 v163, v201, v200, v202
	;; [unrolled: 2-line block ×3, first 2 shown]
	v_add3_u32 v42, v208, v207, v224
	ds_write_b16 v40, v164 offset:512
	ds_write_b16 v156, v169 offset:512
	;; [unrolled: 1-line block ×3, first 2 shown]
	v_lshlrev_b32_e32 v40, 1, v167
	ds_write_b16 v39, v179 offset:512
	v_lshlrev_b32_e32 v39, 1, v166
	v_lshlrev_b32_e32 v156, 1, v165
	v_lshlrev_b32_e32 v157, 1, v163
	v_add3_u32 v41, v211, v210, v225
	ds_write_b16 v40, v184 offset:512
	v_lshlrev_b32_e32 v40, 1, v162
	ds_write_b16 v39, v189 offset:512
	ds_write_b16 v156, v187 offset:512
	;; [unrolled: 1-line block ×3, first 2 shown]
	v_lshlrev_b32_e32 v39, 1, v42
	v_cmp_lt_u32_e32 vcc_lo, v0, v155
	v_lshlrev_b32_e32 v156, 1, v158
	ds_write_b16 v40, v199 offset:512
	v_lshlrev_b32_e32 v40, 1, v41
	ds_write_b16 v39, v203 offset:512
	v_lshlrev_b32_e32 v39, 1, v159
	v_lshlrev_b32_e32 v157, 1, v161
	ds_write_b16 v40, v206 offset:512
	ds_write_b16 v156, v209 offset:512
	;; [unrolled: 1-line block ×4, first 2 shown]
	s_waitcnt lgkmcnt(0)
	s_barrier
	buffer_gl0_inv
	s_and_saveexec_b32 s24, vcc_lo
	s_cbranch_execnz .LBB1044_887
; %bb.815:                              ;   in Loop: Header=BB1044_730 Depth=2
	s_or_b32 exec_lo, exec_lo, s24
	v_cmp_lt_u32_e64 s23, v44, v155
	s_and_saveexec_b32 s25, s23
	s_cbranch_execnz .LBB1044_888
.LBB1044_816:                           ;   in Loop: Header=BB1044_730 Depth=2
	s_or_b32 exec_lo, exec_lo, s25
	v_cmp_lt_u32_e64 s24, v47, v155
	s_and_saveexec_b32 s26, s24
	s_cbranch_execnz .LBB1044_889
.LBB1044_817:                           ;   in Loop: Header=BB1044_730 Depth=2
	s_or_b32 exec_lo, exec_lo, s26
	v_cmp_lt_u32_e64 s25, v48, v155
	s_and_saveexec_b32 s27, s25
	s_cbranch_execnz .LBB1044_890
.LBB1044_818:                           ;   in Loop: Header=BB1044_730 Depth=2
	s_or_b32 exec_lo, exec_lo, s27
	v_cmp_lt_u32_e64 s26, v49, v155
	s_and_saveexec_b32 s28, s26
	s_cbranch_execnz .LBB1044_891
.LBB1044_819:                           ;   in Loop: Header=BB1044_730 Depth=2
	s_or_b32 exec_lo, exec_lo, s28
	v_cmp_lt_u32_e64 s27, v50, v155
	s_and_saveexec_b32 s29, s27
	s_cbranch_execnz .LBB1044_892
.LBB1044_820:                           ;   in Loop: Header=BB1044_730 Depth=2
	s_or_b32 exec_lo, exec_lo, s29
	v_cmp_lt_u32_e64 s28, v51, v155
	s_and_saveexec_b32 s30, s28
	s_cbranch_execnz .LBB1044_893
.LBB1044_821:                           ;   in Loop: Header=BB1044_730 Depth=2
	s_or_b32 exec_lo, exec_lo, s30
	v_cmp_lt_u32_e64 s29, v52, v155
	s_and_saveexec_b32 s31, s29
	s_cbranch_execnz .LBB1044_894
.LBB1044_822:                           ;   in Loop: Header=BB1044_730 Depth=2
	s_or_b32 exec_lo, exec_lo, s31
	v_cmp_lt_u32_e64 s30, v53, v155
	s_and_saveexec_b32 s33, s30
	s_cbranch_execnz .LBB1044_895
.LBB1044_823:                           ;   in Loop: Header=BB1044_730 Depth=2
	s_or_b32 exec_lo, exec_lo, s33
	v_cmp_lt_u32_e64 s31, v54, v155
	s_and_saveexec_b32 s34, s31
	s_cbranch_execnz .LBB1044_896
.LBB1044_824:                           ;   in Loop: Header=BB1044_730 Depth=2
	s_or_b32 exec_lo, exec_lo, s34
	v_cmp_lt_u32_e64 s33, v55, v155
	s_and_saveexec_b32 s35, s33
	s_cbranch_execnz .LBB1044_897
.LBB1044_825:                           ;   in Loop: Header=BB1044_730 Depth=2
	s_or_b32 exec_lo, exec_lo, s35
	v_cmp_lt_u32_e64 s34, v56, v155
	s_and_saveexec_b32 s36, s34
	s_cbranch_execnz .LBB1044_898
.LBB1044_826:                           ;   in Loop: Header=BB1044_730 Depth=2
	s_or_b32 exec_lo, exec_lo, s36
	v_cmp_lt_u32_e64 s35, v57, v155
	s_and_saveexec_b32 s37, s35
	s_cbranch_execnz .LBB1044_899
.LBB1044_827:                           ;   in Loop: Header=BB1044_730 Depth=2
	s_or_b32 exec_lo, exec_lo, s37
	v_cmp_lt_u32_e64 s36, v58, v155
	s_and_saveexec_b32 s38, s36
	s_cbranch_execnz .LBB1044_900
.LBB1044_828:                           ;   in Loop: Header=BB1044_730 Depth=2
	s_or_b32 exec_lo, exec_lo, s38
	v_cmp_lt_u32_e64 s37, v59, v155
	s_and_saveexec_b32 s39, s37
	s_cbranch_execnz .LBB1044_901
.LBB1044_829:                           ;   in Loop: Header=BB1044_730 Depth=2
	s_or_b32 exec_lo, exec_lo, s39
	v_cmp_lt_u32_e64 s38, v60, v155
	s_and_saveexec_b32 s40, s38
	s_cbranch_execnz .LBB1044_902
.LBB1044_830:                           ;   in Loop: Header=BB1044_730 Depth=2
	s_or_b32 exec_lo, exec_lo, s40
	v_cmp_lt_u32_e64 s39, v61, v155
	s_and_saveexec_b32 s65, s39
	s_cbranch_execz .LBB1044_832
.LBB1044_831:                           ;   in Loop: Header=BB1044_730 Depth=2
	ds_read_u16 v156, v74 offset:8704
	s_waitcnt lgkmcnt(0)
	v_lshrrev_b32_sdwa v3, s41, v156 dst_sel:DWORD dst_unused:UNUSED_PAD src0_sel:DWORD src1_sel:WORD_0
	v_and_b32_e32 v3, s62, v3
	v_lshlrev_b32_e32 v3, 2, v3
	ds_read_b32 v3, v3
	s_waitcnt lgkmcnt(0)
	v_add_nc_u32_e32 v3, v3, v61
	v_lshlrev_b64 v[39:40], 1, v[3:4]
	v_xor_b32_e32 v3, 0xffff8000, v156
	v_add_co_u32 v39, s40, s46, v39
	v_add_co_ci_u32_e64 v40, null, s47, v40, s40
	global_store_short v[39:40], v3, off
.LBB1044_832:                           ;   in Loop: Header=BB1044_730 Depth=2
	s_or_b32 exec_lo, exec_lo, s65
	s_lshl_b64 s[66:67], s[50:51], 3
	v_add_co_u32 v39, s40, v126, s66
	v_add_co_ci_u32_e64 v40, null, s67, v127, s40
	v_cmp_lt_u32_e64 s40, v94, v155
	s_and_saveexec_b32 s50, s40
	s_xor_b32 s40, exec_lo, s50
	s_cbranch_execnz .LBB1044_903
; %bb.833:                              ;   in Loop: Header=BB1044_730 Depth=2
	s_or_b32 exec_lo, exec_lo, s40
	s_mov_b32 s50, exec_lo
	v_cmpx_lt_u32_e64 v98, v155
	s_cbranch_execnz .LBB1044_904
.LBB1044_834:                           ;   in Loop: Header=BB1044_730 Depth=2
	s_or_b32 exec_lo, exec_lo, s50
	s_mov_b32 s50, exec_lo
	v_cmpx_lt_u32_e64 v99, v155
	s_cbranch_execnz .LBB1044_905
.LBB1044_835:                           ;   in Loop: Header=BB1044_730 Depth=2
	s_or_b32 exec_lo, exec_lo, s50
	s_mov_b32 s50, exec_lo
	v_cmpx_lt_u32_e64 v100, v155
	s_cbranch_execnz .LBB1044_906
.LBB1044_836:                           ;   in Loop: Header=BB1044_730 Depth=2
	s_or_b32 exec_lo, exec_lo, s50
	s_mov_b32 s50, exec_lo
	v_cmpx_lt_u32_e64 v101, v155
	s_cbranch_execnz .LBB1044_907
.LBB1044_837:                           ;   in Loop: Header=BB1044_730 Depth=2
	s_or_b32 exec_lo, exec_lo, s50
	s_mov_b32 s50, exec_lo
	v_cmpx_lt_u32_e64 v102, v155
	s_cbranch_execnz .LBB1044_908
.LBB1044_838:                           ;   in Loop: Header=BB1044_730 Depth=2
	s_or_b32 exec_lo, exec_lo, s50
	s_mov_b32 s50, exec_lo
	v_cmpx_lt_u32_e64 v103, v155
	s_cbranch_execnz .LBB1044_909
.LBB1044_839:                           ;   in Loop: Header=BB1044_730 Depth=2
	s_or_b32 exec_lo, exec_lo, s50
	s_mov_b32 s50, exec_lo
	v_cmpx_lt_u32_e64 v104, v155
	s_cbranch_execnz .LBB1044_910
.LBB1044_840:                           ;   in Loop: Header=BB1044_730 Depth=2
	s_or_b32 exec_lo, exec_lo, s50
	s_mov_b32 s50, exec_lo
	v_cmpx_lt_u32_e64 v105, v155
	s_cbranch_execnz .LBB1044_911
.LBB1044_841:                           ;   in Loop: Header=BB1044_730 Depth=2
	s_or_b32 exec_lo, exec_lo, s50
	s_mov_b32 s50, exec_lo
	v_cmpx_lt_u32_e64 v106, v155
	s_cbranch_execnz .LBB1044_912
.LBB1044_842:                           ;   in Loop: Header=BB1044_730 Depth=2
	s_or_b32 exec_lo, exec_lo, s50
	s_mov_b32 s50, exec_lo
	v_cmpx_lt_u32_e64 v107, v155
	s_cbranch_execnz .LBB1044_913
.LBB1044_843:                           ;   in Loop: Header=BB1044_730 Depth=2
	s_or_b32 exec_lo, exec_lo, s50
	s_mov_b32 s50, exec_lo
	v_cmpx_lt_u32_e64 v108, v155
	s_cbranch_execnz .LBB1044_914
.LBB1044_844:                           ;   in Loop: Header=BB1044_730 Depth=2
	s_or_b32 exec_lo, exec_lo, s50
	s_mov_b32 s50, exec_lo
	v_cmpx_lt_u32_e64 v128, v155
	s_cbranch_execnz .LBB1044_915
.LBB1044_845:                           ;   in Loop: Header=BB1044_730 Depth=2
	s_or_b32 exec_lo, exec_lo, s50
	s_mov_b32 s50, exec_lo
	v_cmpx_lt_u32_e64 v129, v155
	s_cbranch_execnz .LBB1044_916
.LBB1044_846:                           ;   in Loop: Header=BB1044_730 Depth=2
	s_or_b32 exec_lo, exec_lo, s50
	s_mov_b32 s50, exec_lo
	v_cmpx_lt_u32_e64 v130, v155
	s_cbranch_execnz .LBB1044_917
.LBB1044_847:                           ;   in Loop: Header=BB1044_730 Depth=2
	s_or_b32 exec_lo, exec_lo, s50
	s_mov_b32 s50, exec_lo
	v_cmpx_lt_u32_e64 v131, v155
	s_cbranch_execnz .LBB1044_918
.LBB1044_848:                           ;   in Loop: Header=BB1044_730 Depth=2
	s_or_b32 exec_lo, exec_lo, s50
	s_mov_b32 s50, exec_lo
	v_cmpx_lt_u32_e64 v132, v155
	s_cbranch_execnz .LBB1044_919
.LBB1044_849:                           ;   in Loop: Header=BB1044_730 Depth=2
	s_or_b32 exec_lo, exec_lo, s50
	s_and_saveexec_b32 s40, vcc_lo
	s_cbranch_execnz .LBB1044_920
.LBB1044_850:                           ;   in Loop: Header=BB1044_730 Depth=2
	s_or_b32 exec_lo, exec_lo, s40
	s_and_saveexec_b32 s40, s23
	s_cbranch_execnz .LBB1044_921
.LBB1044_851:                           ;   in Loop: Header=BB1044_730 Depth=2
	s_or_b32 exec_lo, exec_lo, s40
	s_and_saveexec_b32 s40, s24
	s_cbranch_execnz .LBB1044_922
.LBB1044_852:                           ;   in Loop: Header=BB1044_730 Depth=2
	s_or_b32 exec_lo, exec_lo, s40
	s_and_saveexec_b32 s40, s25
	s_cbranch_execnz .LBB1044_923
.LBB1044_853:                           ;   in Loop: Header=BB1044_730 Depth=2
	s_or_b32 exec_lo, exec_lo, s40
	s_and_saveexec_b32 s40, s26
	s_cbranch_execnz .LBB1044_924
.LBB1044_854:                           ;   in Loop: Header=BB1044_730 Depth=2
	s_or_b32 exec_lo, exec_lo, s40
	s_and_saveexec_b32 s40, s27
	s_cbranch_execnz .LBB1044_925
.LBB1044_855:                           ;   in Loop: Header=BB1044_730 Depth=2
	s_or_b32 exec_lo, exec_lo, s40
	s_and_saveexec_b32 s40, s28
	s_cbranch_execnz .LBB1044_926
.LBB1044_856:                           ;   in Loop: Header=BB1044_730 Depth=2
	s_or_b32 exec_lo, exec_lo, s40
	s_and_saveexec_b32 s40, s29
	s_cbranch_execnz .LBB1044_927
.LBB1044_857:                           ;   in Loop: Header=BB1044_730 Depth=2
	s_or_b32 exec_lo, exec_lo, s40
	s_and_saveexec_b32 s40, s30
	s_cbranch_execnz .LBB1044_928
.LBB1044_858:                           ;   in Loop: Header=BB1044_730 Depth=2
	s_or_b32 exec_lo, exec_lo, s40
	s_and_saveexec_b32 s40, s31
	s_cbranch_execnz .LBB1044_929
.LBB1044_859:                           ;   in Loop: Header=BB1044_730 Depth=2
	s_or_b32 exec_lo, exec_lo, s40
	s_and_saveexec_b32 s40, s33
	s_cbranch_execnz .LBB1044_930
.LBB1044_860:                           ;   in Loop: Header=BB1044_730 Depth=2
	s_or_b32 exec_lo, exec_lo, s40
	s_and_saveexec_b32 s40, s34
	s_cbranch_execnz .LBB1044_931
.LBB1044_861:                           ;   in Loop: Header=BB1044_730 Depth=2
	s_or_b32 exec_lo, exec_lo, s40
	s_and_saveexec_b32 s40, s35
	s_cbranch_execnz .LBB1044_932
.LBB1044_862:                           ;   in Loop: Header=BB1044_730 Depth=2
	s_or_b32 exec_lo, exec_lo, s40
	s_and_saveexec_b32 s40, s36
	s_cbranch_execnz .LBB1044_933
.LBB1044_863:                           ;   in Loop: Header=BB1044_730 Depth=2
	s_or_b32 exec_lo, exec_lo, s40
	s_and_saveexec_b32 s40, s37
	s_cbranch_execnz .LBB1044_934
.LBB1044_864:                           ;   in Loop: Header=BB1044_730 Depth=2
	s_or_b32 exec_lo, exec_lo, s40
	s_and_saveexec_b32 s40, s38
	s_cbranch_execnz .LBB1044_935
.LBB1044_865:                           ;   in Loop: Header=BB1044_730 Depth=2
	s_or_b32 exec_lo, exec_lo, s40
	s_and_saveexec_b32 s40, s39
	s_cbranch_execz .LBB1044_867
.LBB1044_866:                           ;   in Loop: Header=BB1044_730 Depth=2
	ds_read_u16 v3, v74 offset:8704
	s_waitcnt lgkmcnt(0)
	v_lshrrev_b32_e32 v3, s41, v3
	v_and_b32_e32 v136, s62, v3
.LBB1044_867:                           ;   in Loop: Header=BB1044_730 Depth=2
	s_or_b32 exec_lo, exec_lo, s40
	v_lshlrev_b32_e32 v3, 3, v178
	v_lshlrev_b32_e32 v39, 3, v177
	s_waitcnt vmcnt(0)
	s_waitcnt_vscnt null, 0x0
	s_barrier
	buffer_gl0_inv
	ds_write_b64 v3, v[37:38] offset:512
	ds_write_b64 v39, v[35:36] offset:512
	v_lshlrev_b32_e32 v3, 3, v173
	v_lshlrev_b32_e32 v39, 3, v172
	v_lshlrev_b32_e32 v40, 3, v171
	v_lshlrev_b32_e32 v155, 3, v170
	v_lshlrev_b32_e32 v156, 3, v168
	ds_write_b64 v3, v[33:34] offset:512
	ds_write_b64 v39, v[31:32] offset:512
	ds_write_b64 v40, v[29:30] offset:512
	ds_write_b64 v155, v[25:26] offset:512
	ds_write_b64 v156, v[21:22] offset:512
	v_lshlrev_b32_e32 v3, 3, v167
	v_lshlrev_b32_e32 v39, 3, v166
	v_lshlrev_b32_e32 v40, 3, v165
	v_lshlrev_b32_e32 v155, 3, v163
	v_lshlrev_b32_e32 v156, 3, v162
	ds_write_b64 v3, v[17:18] offset:512
	ds_write_b64 v39, v[27:28] offset:512
	ds_write_b64 v40, v[23:24] offset:512
	;; [unrolled: 10-line block ×3, first 2 shown]
	ds_write_b64 v41, v[7:8] offset:512
	ds_write_b64 v42, v[5:6] offset:512
	s_waitcnt lgkmcnt(0)
	s_barrier
	buffer_gl0_inv
	s_and_saveexec_b32 s40, vcc_lo
	s_cbranch_execnz .LBB1044_936
; %bb.868:                              ;   in Loop: Header=BB1044_730 Depth=2
	s_or_b32 exec_lo, exec_lo, s40
	s_and_saveexec_b32 s40, s23
	s_cbranch_execnz .LBB1044_937
.LBB1044_869:                           ;   in Loop: Header=BB1044_730 Depth=2
	s_or_b32 exec_lo, exec_lo, s40
	s_and_saveexec_b32 s23, s24
	s_cbranch_execnz .LBB1044_938
.LBB1044_870:                           ;   in Loop: Header=BB1044_730 Depth=2
	s_or_b32 exec_lo, exec_lo, s23
	s_and_saveexec_b32 s23, s25
	s_cbranch_execnz .LBB1044_939
.LBB1044_871:                           ;   in Loop: Header=BB1044_730 Depth=2
	s_or_b32 exec_lo, exec_lo, s23
	s_and_saveexec_b32 s23, s26
	s_cbranch_execnz .LBB1044_940
.LBB1044_872:                           ;   in Loop: Header=BB1044_730 Depth=2
	s_or_b32 exec_lo, exec_lo, s23
	s_and_saveexec_b32 s23, s27
	s_cbranch_execnz .LBB1044_941
.LBB1044_873:                           ;   in Loop: Header=BB1044_730 Depth=2
	s_or_b32 exec_lo, exec_lo, s23
	s_and_saveexec_b32 s23, s28
	s_cbranch_execnz .LBB1044_942
.LBB1044_874:                           ;   in Loop: Header=BB1044_730 Depth=2
	s_or_b32 exec_lo, exec_lo, s23
	s_and_saveexec_b32 s23, s29
	s_cbranch_execnz .LBB1044_943
.LBB1044_875:                           ;   in Loop: Header=BB1044_730 Depth=2
	s_or_b32 exec_lo, exec_lo, s23
	s_and_saveexec_b32 s23, s30
	s_cbranch_execnz .LBB1044_944
.LBB1044_876:                           ;   in Loop: Header=BB1044_730 Depth=2
	s_or_b32 exec_lo, exec_lo, s23
	s_and_saveexec_b32 s23, s31
	s_cbranch_execnz .LBB1044_945
.LBB1044_877:                           ;   in Loop: Header=BB1044_730 Depth=2
	s_or_b32 exec_lo, exec_lo, s23
	s_and_saveexec_b32 s23, s33
	s_cbranch_execnz .LBB1044_946
.LBB1044_878:                           ;   in Loop: Header=BB1044_730 Depth=2
	s_or_b32 exec_lo, exec_lo, s23
	s_and_saveexec_b32 s23, s34
	s_cbranch_execnz .LBB1044_947
.LBB1044_879:                           ;   in Loop: Header=BB1044_730 Depth=2
	s_or_b32 exec_lo, exec_lo, s23
	s_and_saveexec_b32 s23, s35
	s_cbranch_execnz .LBB1044_948
.LBB1044_880:                           ;   in Loop: Header=BB1044_730 Depth=2
	s_or_b32 exec_lo, exec_lo, s23
	s_and_saveexec_b32 s23, s36
	s_cbranch_execnz .LBB1044_949
.LBB1044_881:                           ;   in Loop: Header=BB1044_730 Depth=2
	s_or_b32 exec_lo, exec_lo, s23
	s_and_saveexec_b32 s23, s37
	s_cbranch_execnz .LBB1044_950
.LBB1044_882:                           ;   in Loop: Header=BB1044_730 Depth=2
	s_or_b32 exec_lo, exec_lo, s23
	s_and_saveexec_b32 s23, s38
	s_cbranch_execnz .LBB1044_951
.LBB1044_883:                           ;   in Loop: Header=BB1044_730 Depth=2
	s_or_b32 exec_lo, exec_lo, s23
	s_and_saveexec_b32 s23, s39
	s_cbranch_execz .LBB1044_885
.LBB1044_884:                           ;   in Loop: Header=BB1044_730 Depth=2
	v_lshlrev_b32_e32 v3, 2, v136
	v_add_nc_u32_e32 v39, v74, v75
	ds_read_b32 v3, v3
	ds_read_b64 v[39:40], v39 offset:33280
	s_waitcnt lgkmcnt(1)
	v_add_nc_u32_e32 v3, v3, v61
	v_lshlrev_b64 v[41:42], 3, v[3:4]
	v_add_co_u32 v41, vcc_lo, s52, v41
	v_add_co_ci_u32_e64 v42, null, s53, v42, vcc_lo
	s_waitcnt lgkmcnt(0)
	global_store_dwordx2 v[41:42], v[39:40], off
.LBB1044_885:                           ;   in Loop: Header=BB1044_730 Depth=2
	s_or_b32 exec_lo, exec_lo, s23
	s_waitcnt_vscnt null, 0x0
	s_barrier
	buffer_gl0_inv
	s_and_saveexec_b32 s23, s8
	s_cbranch_execz .LBB1044_729
; %bb.886:                              ;   in Loop: Header=BB1044_730 Depth=2
	ds_read_b32 v3, v43
	s_waitcnt lgkmcnt(0)
	v_add3_u32 v3, v151, v154, v3
	ds_write_b32 v43, v3
	s_branch .LBB1044_729
.LBB1044_887:                           ;   in Loop: Header=BB1044_730 Depth=2
	ds_read_u16 v156, v74 offset:512
	s_waitcnt lgkmcnt(0)
	v_lshrrev_b32_sdwa v3, s41, v156 dst_sel:DWORD dst_unused:UNUSED_PAD src0_sel:DWORD src1_sel:WORD_0
	v_and_b32_e32 v3, s62, v3
	v_lshlrev_b32_e32 v3, 2, v3
	ds_read_b32 v3, v3
	s_waitcnt lgkmcnt(0)
	v_add_nc_u32_e32 v3, v3, v0
	v_lshlrev_b64 v[39:40], 1, v[3:4]
	v_xor_b32_e32 v3, 0xffff8000, v156
	v_add_co_u32 v39, s23, s46, v39
	v_add_co_ci_u32_e64 v40, null, s47, v40, s23
	global_store_short v[39:40], v3, off
	s_or_b32 exec_lo, exec_lo, s24
	v_cmp_lt_u32_e64 s23, v44, v155
	s_and_saveexec_b32 s25, s23
	s_cbranch_execz .LBB1044_816
.LBB1044_888:                           ;   in Loop: Header=BB1044_730 Depth=2
	ds_read_u16 v156, v74 offset:1024
	s_waitcnt lgkmcnt(0)
	v_lshrrev_b32_sdwa v3, s41, v156 dst_sel:DWORD dst_unused:UNUSED_PAD src0_sel:DWORD src1_sel:WORD_0
	v_and_b32_e32 v3, s62, v3
	v_lshlrev_b32_e32 v3, 2, v3
	ds_read_b32 v3, v3
	s_waitcnt lgkmcnt(0)
	v_add_nc_u32_e32 v3, v3, v44
	v_lshlrev_b64 v[39:40], 1, v[3:4]
	v_xor_b32_e32 v3, 0xffff8000, v156
	v_add_co_u32 v39, s24, s46, v39
	v_add_co_ci_u32_e64 v40, null, s47, v40, s24
	global_store_short v[39:40], v3, off
	s_or_b32 exec_lo, exec_lo, s25
	v_cmp_lt_u32_e64 s24, v47, v155
	s_and_saveexec_b32 s26, s24
	s_cbranch_execz .LBB1044_817
.LBB1044_889:                           ;   in Loop: Header=BB1044_730 Depth=2
	ds_read_u16 v156, v74 offset:1536
	s_waitcnt lgkmcnt(0)
	v_lshrrev_b32_sdwa v3, s41, v156 dst_sel:DWORD dst_unused:UNUSED_PAD src0_sel:DWORD src1_sel:WORD_0
	v_and_b32_e32 v3, s62, v3
	v_lshlrev_b32_e32 v3, 2, v3
	ds_read_b32 v3, v3
	s_waitcnt lgkmcnt(0)
	v_add_nc_u32_e32 v3, v3, v47
	v_lshlrev_b64 v[39:40], 1, v[3:4]
	v_xor_b32_e32 v3, 0xffff8000, v156
	v_add_co_u32 v39, s25, s46, v39
	v_add_co_ci_u32_e64 v40, null, s47, v40, s25
	global_store_short v[39:40], v3, off
	s_or_b32 exec_lo, exec_lo, s26
	v_cmp_lt_u32_e64 s25, v48, v155
	s_and_saveexec_b32 s27, s25
	s_cbranch_execz .LBB1044_818
.LBB1044_890:                           ;   in Loop: Header=BB1044_730 Depth=2
	ds_read_u16 v156, v74 offset:2048
	s_waitcnt lgkmcnt(0)
	v_lshrrev_b32_sdwa v3, s41, v156 dst_sel:DWORD dst_unused:UNUSED_PAD src0_sel:DWORD src1_sel:WORD_0
	v_and_b32_e32 v3, s62, v3
	v_lshlrev_b32_e32 v3, 2, v3
	ds_read_b32 v3, v3
	s_waitcnt lgkmcnt(0)
	v_add_nc_u32_e32 v3, v3, v48
	v_lshlrev_b64 v[39:40], 1, v[3:4]
	v_xor_b32_e32 v3, 0xffff8000, v156
	v_add_co_u32 v39, s26, s46, v39
	v_add_co_ci_u32_e64 v40, null, s47, v40, s26
	global_store_short v[39:40], v3, off
	s_or_b32 exec_lo, exec_lo, s27
	v_cmp_lt_u32_e64 s26, v49, v155
	s_and_saveexec_b32 s28, s26
	s_cbranch_execz .LBB1044_819
.LBB1044_891:                           ;   in Loop: Header=BB1044_730 Depth=2
	ds_read_u16 v156, v74 offset:2560
	s_waitcnt lgkmcnt(0)
	v_lshrrev_b32_sdwa v3, s41, v156 dst_sel:DWORD dst_unused:UNUSED_PAD src0_sel:DWORD src1_sel:WORD_0
	v_and_b32_e32 v3, s62, v3
	v_lshlrev_b32_e32 v3, 2, v3
	ds_read_b32 v3, v3
	s_waitcnt lgkmcnt(0)
	v_add_nc_u32_e32 v3, v3, v49
	v_lshlrev_b64 v[39:40], 1, v[3:4]
	v_xor_b32_e32 v3, 0xffff8000, v156
	v_add_co_u32 v39, s27, s46, v39
	v_add_co_ci_u32_e64 v40, null, s47, v40, s27
	global_store_short v[39:40], v3, off
	s_or_b32 exec_lo, exec_lo, s28
	v_cmp_lt_u32_e64 s27, v50, v155
	s_and_saveexec_b32 s29, s27
	s_cbranch_execz .LBB1044_820
.LBB1044_892:                           ;   in Loop: Header=BB1044_730 Depth=2
	ds_read_u16 v156, v74 offset:3072
	s_waitcnt lgkmcnt(0)
	v_lshrrev_b32_sdwa v3, s41, v156 dst_sel:DWORD dst_unused:UNUSED_PAD src0_sel:DWORD src1_sel:WORD_0
	v_and_b32_e32 v3, s62, v3
	v_lshlrev_b32_e32 v3, 2, v3
	ds_read_b32 v3, v3
	s_waitcnt lgkmcnt(0)
	v_add_nc_u32_e32 v3, v3, v50
	v_lshlrev_b64 v[39:40], 1, v[3:4]
	v_xor_b32_e32 v3, 0xffff8000, v156
	v_add_co_u32 v39, s28, s46, v39
	v_add_co_ci_u32_e64 v40, null, s47, v40, s28
	global_store_short v[39:40], v3, off
	s_or_b32 exec_lo, exec_lo, s29
	v_cmp_lt_u32_e64 s28, v51, v155
	s_and_saveexec_b32 s30, s28
	s_cbranch_execz .LBB1044_821
.LBB1044_893:                           ;   in Loop: Header=BB1044_730 Depth=2
	ds_read_u16 v156, v74 offset:3584
	s_waitcnt lgkmcnt(0)
	v_lshrrev_b32_sdwa v3, s41, v156 dst_sel:DWORD dst_unused:UNUSED_PAD src0_sel:DWORD src1_sel:WORD_0
	v_and_b32_e32 v3, s62, v3
	v_lshlrev_b32_e32 v3, 2, v3
	ds_read_b32 v3, v3
	s_waitcnt lgkmcnt(0)
	v_add_nc_u32_e32 v3, v3, v51
	v_lshlrev_b64 v[39:40], 1, v[3:4]
	v_xor_b32_e32 v3, 0xffff8000, v156
	v_add_co_u32 v39, s29, s46, v39
	v_add_co_ci_u32_e64 v40, null, s47, v40, s29
	global_store_short v[39:40], v3, off
	s_or_b32 exec_lo, exec_lo, s30
	v_cmp_lt_u32_e64 s29, v52, v155
	s_and_saveexec_b32 s31, s29
	s_cbranch_execz .LBB1044_822
.LBB1044_894:                           ;   in Loop: Header=BB1044_730 Depth=2
	ds_read_u16 v156, v74 offset:4096
	s_waitcnt lgkmcnt(0)
	v_lshrrev_b32_sdwa v3, s41, v156 dst_sel:DWORD dst_unused:UNUSED_PAD src0_sel:DWORD src1_sel:WORD_0
	v_and_b32_e32 v3, s62, v3
	v_lshlrev_b32_e32 v3, 2, v3
	ds_read_b32 v3, v3
	s_waitcnt lgkmcnt(0)
	v_add_nc_u32_e32 v3, v3, v52
	v_lshlrev_b64 v[39:40], 1, v[3:4]
	v_xor_b32_e32 v3, 0xffff8000, v156
	v_add_co_u32 v39, s30, s46, v39
	v_add_co_ci_u32_e64 v40, null, s47, v40, s30
	global_store_short v[39:40], v3, off
	s_or_b32 exec_lo, exec_lo, s31
	v_cmp_lt_u32_e64 s30, v53, v155
	s_and_saveexec_b32 s33, s30
	s_cbranch_execz .LBB1044_823
.LBB1044_895:                           ;   in Loop: Header=BB1044_730 Depth=2
	ds_read_u16 v156, v74 offset:4608
	s_waitcnt lgkmcnt(0)
	v_lshrrev_b32_sdwa v3, s41, v156 dst_sel:DWORD dst_unused:UNUSED_PAD src0_sel:DWORD src1_sel:WORD_0
	v_and_b32_e32 v3, s62, v3
	v_lshlrev_b32_e32 v3, 2, v3
	ds_read_b32 v3, v3
	s_waitcnt lgkmcnt(0)
	v_add_nc_u32_e32 v3, v3, v53
	v_lshlrev_b64 v[39:40], 1, v[3:4]
	v_xor_b32_e32 v3, 0xffff8000, v156
	v_add_co_u32 v39, s31, s46, v39
	v_add_co_ci_u32_e64 v40, null, s47, v40, s31
	global_store_short v[39:40], v3, off
	s_or_b32 exec_lo, exec_lo, s33
	v_cmp_lt_u32_e64 s31, v54, v155
	s_and_saveexec_b32 s34, s31
	s_cbranch_execz .LBB1044_824
.LBB1044_896:                           ;   in Loop: Header=BB1044_730 Depth=2
	ds_read_u16 v156, v74 offset:5120
	s_waitcnt lgkmcnt(0)
	v_lshrrev_b32_sdwa v3, s41, v156 dst_sel:DWORD dst_unused:UNUSED_PAD src0_sel:DWORD src1_sel:WORD_0
	v_and_b32_e32 v3, s62, v3
	v_lshlrev_b32_e32 v3, 2, v3
	ds_read_b32 v3, v3
	s_waitcnt lgkmcnt(0)
	v_add_nc_u32_e32 v3, v3, v54
	v_lshlrev_b64 v[39:40], 1, v[3:4]
	v_xor_b32_e32 v3, 0xffff8000, v156
	v_add_co_u32 v39, s33, s46, v39
	v_add_co_ci_u32_e64 v40, null, s47, v40, s33
	global_store_short v[39:40], v3, off
	s_or_b32 exec_lo, exec_lo, s34
	v_cmp_lt_u32_e64 s33, v55, v155
	s_and_saveexec_b32 s35, s33
	s_cbranch_execz .LBB1044_825
.LBB1044_897:                           ;   in Loop: Header=BB1044_730 Depth=2
	ds_read_u16 v156, v74 offset:5632
	s_waitcnt lgkmcnt(0)
	v_lshrrev_b32_sdwa v3, s41, v156 dst_sel:DWORD dst_unused:UNUSED_PAD src0_sel:DWORD src1_sel:WORD_0
	v_and_b32_e32 v3, s62, v3
	v_lshlrev_b32_e32 v3, 2, v3
	ds_read_b32 v3, v3
	s_waitcnt lgkmcnt(0)
	v_add_nc_u32_e32 v3, v3, v55
	v_lshlrev_b64 v[39:40], 1, v[3:4]
	v_xor_b32_e32 v3, 0xffff8000, v156
	v_add_co_u32 v39, s34, s46, v39
	v_add_co_ci_u32_e64 v40, null, s47, v40, s34
	global_store_short v[39:40], v3, off
	s_or_b32 exec_lo, exec_lo, s35
	v_cmp_lt_u32_e64 s34, v56, v155
	s_and_saveexec_b32 s36, s34
	s_cbranch_execz .LBB1044_826
.LBB1044_898:                           ;   in Loop: Header=BB1044_730 Depth=2
	ds_read_u16 v156, v74 offset:6144
	s_waitcnt lgkmcnt(0)
	v_lshrrev_b32_sdwa v3, s41, v156 dst_sel:DWORD dst_unused:UNUSED_PAD src0_sel:DWORD src1_sel:WORD_0
	v_and_b32_e32 v3, s62, v3
	v_lshlrev_b32_e32 v3, 2, v3
	ds_read_b32 v3, v3
	s_waitcnt lgkmcnt(0)
	v_add_nc_u32_e32 v3, v3, v56
	v_lshlrev_b64 v[39:40], 1, v[3:4]
	v_xor_b32_e32 v3, 0xffff8000, v156
	v_add_co_u32 v39, s35, s46, v39
	v_add_co_ci_u32_e64 v40, null, s47, v40, s35
	global_store_short v[39:40], v3, off
	s_or_b32 exec_lo, exec_lo, s36
	v_cmp_lt_u32_e64 s35, v57, v155
	s_and_saveexec_b32 s37, s35
	s_cbranch_execz .LBB1044_827
.LBB1044_899:                           ;   in Loop: Header=BB1044_730 Depth=2
	ds_read_u16 v156, v74 offset:6656
	s_waitcnt lgkmcnt(0)
	v_lshrrev_b32_sdwa v3, s41, v156 dst_sel:DWORD dst_unused:UNUSED_PAD src0_sel:DWORD src1_sel:WORD_0
	v_and_b32_e32 v3, s62, v3
	v_lshlrev_b32_e32 v3, 2, v3
	ds_read_b32 v3, v3
	s_waitcnt lgkmcnt(0)
	v_add_nc_u32_e32 v3, v3, v57
	v_lshlrev_b64 v[39:40], 1, v[3:4]
	v_xor_b32_e32 v3, 0xffff8000, v156
	v_add_co_u32 v39, s36, s46, v39
	v_add_co_ci_u32_e64 v40, null, s47, v40, s36
	global_store_short v[39:40], v3, off
	s_or_b32 exec_lo, exec_lo, s37
	v_cmp_lt_u32_e64 s36, v58, v155
	s_and_saveexec_b32 s38, s36
	s_cbranch_execz .LBB1044_828
.LBB1044_900:                           ;   in Loop: Header=BB1044_730 Depth=2
	ds_read_u16 v156, v74 offset:7168
	s_waitcnt lgkmcnt(0)
	v_lshrrev_b32_sdwa v3, s41, v156 dst_sel:DWORD dst_unused:UNUSED_PAD src0_sel:DWORD src1_sel:WORD_0
	v_and_b32_e32 v3, s62, v3
	v_lshlrev_b32_e32 v3, 2, v3
	ds_read_b32 v3, v3
	s_waitcnt lgkmcnt(0)
	v_add_nc_u32_e32 v3, v3, v58
	v_lshlrev_b64 v[39:40], 1, v[3:4]
	v_xor_b32_e32 v3, 0xffff8000, v156
	v_add_co_u32 v39, s37, s46, v39
	v_add_co_ci_u32_e64 v40, null, s47, v40, s37
	global_store_short v[39:40], v3, off
	s_or_b32 exec_lo, exec_lo, s38
	v_cmp_lt_u32_e64 s37, v59, v155
	s_and_saveexec_b32 s39, s37
	s_cbranch_execz .LBB1044_829
.LBB1044_901:                           ;   in Loop: Header=BB1044_730 Depth=2
	ds_read_u16 v156, v74 offset:7680
	s_waitcnt lgkmcnt(0)
	v_lshrrev_b32_sdwa v3, s41, v156 dst_sel:DWORD dst_unused:UNUSED_PAD src0_sel:DWORD src1_sel:WORD_0
	v_and_b32_e32 v3, s62, v3
	v_lshlrev_b32_e32 v3, 2, v3
	ds_read_b32 v3, v3
	s_waitcnt lgkmcnt(0)
	v_add_nc_u32_e32 v3, v3, v59
	v_lshlrev_b64 v[39:40], 1, v[3:4]
	v_xor_b32_e32 v3, 0xffff8000, v156
	v_add_co_u32 v39, s38, s46, v39
	v_add_co_ci_u32_e64 v40, null, s47, v40, s38
	global_store_short v[39:40], v3, off
	s_or_b32 exec_lo, exec_lo, s39
	v_cmp_lt_u32_e64 s38, v60, v155
	s_and_saveexec_b32 s40, s38
	s_cbranch_execz .LBB1044_830
.LBB1044_902:                           ;   in Loop: Header=BB1044_730 Depth=2
	ds_read_u16 v156, v74 offset:8192
	s_waitcnt lgkmcnt(0)
	v_lshrrev_b32_sdwa v3, s41, v156 dst_sel:DWORD dst_unused:UNUSED_PAD src0_sel:DWORD src1_sel:WORD_0
	v_and_b32_e32 v3, s62, v3
	v_lshlrev_b32_e32 v3, 2, v3
	ds_read_b32 v3, v3
	s_waitcnt lgkmcnt(0)
	v_add_nc_u32_e32 v3, v3, v60
	v_lshlrev_b64 v[39:40], 1, v[3:4]
	v_xor_b32_e32 v3, 0xffff8000, v156
	v_add_co_u32 v39, s39, s46, v39
	v_add_co_ci_u32_e64 v40, null, s47, v40, s39
	global_store_short v[39:40], v3, off
	s_or_b32 exec_lo, exec_lo, s40
	v_cmp_lt_u32_e64 s39, v61, v155
	s_and_saveexec_b32 s65, s39
	s_cbranch_execnz .LBB1044_831
	s_branch .LBB1044_832
.LBB1044_903:                           ;   in Loop: Header=BB1044_730 Depth=2
	global_load_dwordx2 v[37:38], v[39:40], off
	s_or_b32 exec_lo, exec_lo, s40
	s_mov_b32 s50, exec_lo
	v_cmpx_lt_u32_e64 v98, v155
	s_cbranch_execz .LBB1044_834
.LBB1044_904:                           ;   in Loop: Header=BB1044_730 Depth=2
	global_load_dwordx2 v[35:36], v[39:40], off offset:256
	s_or_b32 exec_lo, exec_lo, s50
	s_mov_b32 s50, exec_lo
	v_cmpx_lt_u32_e64 v99, v155
	s_cbranch_execz .LBB1044_835
.LBB1044_905:                           ;   in Loop: Header=BB1044_730 Depth=2
	global_load_dwordx2 v[33:34], v[39:40], off offset:512
	s_or_b32 exec_lo, exec_lo, s50
	s_mov_b32 s50, exec_lo
	v_cmpx_lt_u32_e64 v100, v155
	s_cbranch_execz .LBB1044_836
.LBB1044_906:                           ;   in Loop: Header=BB1044_730 Depth=2
	global_load_dwordx2 v[31:32], v[39:40], off offset:768
	s_or_b32 exec_lo, exec_lo, s50
	s_mov_b32 s50, exec_lo
	v_cmpx_lt_u32_e64 v101, v155
	s_cbranch_execz .LBB1044_837
.LBB1044_907:                           ;   in Loop: Header=BB1044_730 Depth=2
	global_load_dwordx2 v[29:30], v[39:40], off offset:1024
	s_or_b32 exec_lo, exec_lo, s50
	s_mov_b32 s50, exec_lo
	v_cmpx_lt_u32_e64 v102, v155
	s_cbranch_execz .LBB1044_838
.LBB1044_908:                           ;   in Loop: Header=BB1044_730 Depth=2
	global_load_dwordx2 v[25:26], v[39:40], off offset:1280
	s_or_b32 exec_lo, exec_lo, s50
	s_mov_b32 s50, exec_lo
	v_cmpx_lt_u32_e64 v103, v155
	s_cbranch_execz .LBB1044_839
.LBB1044_909:                           ;   in Loop: Header=BB1044_730 Depth=2
	global_load_dwordx2 v[21:22], v[39:40], off offset:1536
	s_or_b32 exec_lo, exec_lo, s50
	s_mov_b32 s50, exec_lo
	v_cmpx_lt_u32_e64 v104, v155
	s_cbranch_execz .LBB1044_840
.LBB1044_910:                           ;   in Loop: Header=BB1044_730 Depth=2
	global_load_dwordx2 v[17:18], v[39:40], off offset:1792
	s_or_b32 exec_lo, exec_lo, s50
	s_mov_b32 s50, exec_lo
	v_cmpx_lt_u32_e64 v105, v155
	s_cbranch_execz .LBB1044_841
.LBB1044_911:                           ;   in Loop: Header=BB1044_730 Depth=2
	v_add_co_u32 v27, s40, 0x800, v39
	v_add_co_ci_u32_e64 v28, null, 0, v40, s40
	global_load_dwordx2 v[27:28], v[27:28], off
	s_or_b32 exec_lo, exec_lo, s50
	s_mov_b32 s50, exec_lo
	v_cmpx_lt_u32_e64 v106, v155
	s_cbranch_execz .LBB1044_842
.LBB1044_912:                           ;   in Loop: Header=BB1044_730 Depth=2
	v_add_co_u32 v23, s40, 0x800, v39
	v_add_co_ci_u32_e64 v24, null, 0, v40, s40
	global_load_dwordx2 v[23:24], v[23:24], off offset:256
	s_or_b32 exec_lo, exec_lo, s50
	s_mov_b32 s50, exec_lo
	v_cmpx_lt_u32_e64 v107, v155
	s_cbranch_execz .LBB1044_843
.LBB1044_913:                           ;   in Loop: Header=BB1044_730 Depth=2
	v_add_co_u32 v19, s40, 0x800, v39
	v_add_co_ci_u32_e64 v20, null, 0, v40, s40
	global_load_dwordx2 v[19:20], v[19:20], off offset:512
	s_or_b32 exec_lo, exec_lo, s50
	s_mov_b32 s50, exec_lo
	v_cmpx_lt_u32_e64 v108, v155
	s_cbranch_execz .LBB1044_844
.LBB1044_914:                           ;   in Loop: Header=BB1044_730 Depth=2
	v_add_co_u32 v15, s40, 0x800, v39
	v_add_co_ci_u32_e64 v16, null, 0, v40, s40
	global_load_dwordx2 v[15:16], v[15:16], off offset:768
	s_or_b32 exec_lo, exec_lo, s50
	s_mov_b32 s50, exec_lo
	v_cmpx_lt_u32_e64 v128, v155
	s_cbranch_execz .LBB1044_845
.LBB1044_915:                           ;   in Loop: Header=BB1044_730 Depth=2
	v_add_co_u32 v13, s40, 0x800, v39
	v_add_co_ci_u32_e64 v14, null, 0, v40, s40
	global_load_dwordx2 v[13:14], v[13:14], off offset:1024
	s_or_b32 exec_lo, exec_lo, s50
	s_mov_b32 s50, exec_lo
	v_cmpx_lt_u32_e64 v129, v155
	s_cbranch_execz .LBB1044_846
.LBB1044_916:                           ;   in Loop: Header=BB1044_730 Depth=2
	v_add_co_u32 v11, s40, 0x800, v39
	v_add_co_ci_u32_e64 v12, null, 0, v40, s40
	global_load_dwordx2 v[11:12], v[11:12], off offset:1280
	s_or_b32 exec_lo, exec_lo, s50
	s_mov_b32 s50, exec_lo
	v_cmpx_lt_u32_e64 v130, v155
	s_cbranch_execz .LBB1044_847
.LBB1044_917:                           ;   in Loop: Header=BB1044_730 Depth=2
	v_add_co_u32 v9, s40, 0x800, v39
	v_add_co_ci_u32_e64 v10, null, 0, v40, s40
	global_load_dwordx2 v[9:10], v[9:10], off offset:1536
	s_or_b32 exec_lo, exec_lo, s50
	s_mov_b32 s50, exec_lo
	v_cmpx_lt_u32_e64 v131, v155
	s_cbranch_execz .LBB1044_848
.LBB1044_918:                           ;   in Loop: Header=BB1044_730 Depth=2
	v_add_co_u32 v7, s40, 0x800, v39
	v_add_co_ci_u32_e64 v8, null, 0, v40, s40
	global_load_dwordx2 v[7:8], v[7:8], off offset:1792
	s_or_b32 exec_lo, exec_lo, s50
	s_mov_b32 s50, exec_lo
	v_cmpx_lt_u32_e64 v132, v155
	s_cbranch_execz .LBB1044_849
.LBB1044_919:                           ;   in Loop: Header=BB1044_730 Depth=2
	v_add_co_u32 v5, s40, 0x1000, v39
	v_add_co_ci_u32_e64 v6, null, 0, v40, s40
	global_load_dwordx2 v[5:6], v[5:6], off
	s_or_b32 exec_lo, exec_lo, s50
	s_and_saveexec_b32 s40, vcc_lo
	s_cbranch_execz .LBB1044_850
.LBB1044_920:                           ;   in Loop: Header=BB1044_730 Depth=2
	ds_read_u16 v3, v74 offset:512
	s_waitcnt lgkmcnt(0)
	v_lshrrev_b32_e32 v3, s41, v3
	v_and_b32_e32 v153, s62, v3
	s_or_b32 exec_lo, exec_lo, s40
	s_and_saveexec_b32 s40, s23
	s_cbranch_execz .LBB1044_851
.LBB1044_921:                           ;   in Loop: Header=BB1044_730 Depth=2
	ds_read_u16 v3, v74 offset:1024
	s_waitcnt lgkmcnt(0)
	v_lshrrev_b32_e32 v3, s41, v3
	v_and_b32_e32 v152, s62, v3
	s_or_b32 exec_lo, exec_lo, s40
	s_and_saveexec_b32 s40, s24
	s_cbranch_execz .LBB1044_852
.LBB1044_922:                           ;   in Loop: Header=BB1044_730 Depth=2
	ds_read_u16 v3, v74 offset:1536
	s_waitcnt lgkmcnt(0)
	v_lshrrev_b32_e32 v3, s41, v3
	v_and_b32_e32 v150, s62, v3
	s_or_b32 exec_lo, exec_lo, s40
	s_and_saveexec_b32 s40, s25
	s_cbranch_execz .LBB1044_853
.LBB1044_923:                           ;   in Loop: Header=BB1044_730 Depth=2
	ds_read_u16 v3, v74 offset:2048
	s_waitcnt lgkmcnt(0)
	v_lshrrev_b32_e32 v3, s41, v3
	v_and_b32_e32 v149, s62, v3
	s_or_b32 exec_lo, exec_lo, s40
	s_and_saveexec_b32 s40, s26
	s_cbranch_execz .LBB1044_854
.LBB1044_924:                           ;   in Loop: Header=BB1044_730 Depth=2
	ds_read_u16 v3, v74 offset:2560
	s_waitcnt lgkmcnt(0)
	v_lshrrev_b32_e32 v3, s41, v3
	v_and_b32_e32 v148, s62, v3
	s_or_b32 exec_lo, exec_lo, s40
	s_and_saveexec_b32 s40, s27
	s_cbranch_execz .LBB1044_855
.LBB1044_925:                           ;   in Loop: Header=BB1044_730 Depth=2
	ds_read_u16 v3, v74 offset:3072
	s_waitcnt lgkmcnt(0)
	v_lshrrev_b32_e32 v3, s41, v3
	v_and_b32_e32 v147, s62, v3
	s_or_b32 exec_lo, exec_lo, s40
	s_and_saveexec_b32 s40, s28
	s_cbranch_execz .LBB1044_856
.LBB1044_926:                           ;   in Loop: Header=BB1044_730 Depth=2
	ds_read_u16 v3, v74 offset:3584
	s_waitcnt lgkmcnt(0)
	v_lshrrev_b32_e32 v3, s41, v3
	v_and_b32_e32 v146, s62, v3
	s_or_b32 exec_lo, exec_lo, s40
	s_and_saveexec_b32 s40, s29
	s_cbranch_execz .LBB1044_857
.LBB1044_927:                           ;   in Loop: Header=BB1044_730 Depth=2
	ds_read_u16 v3, v74 offset:4096
	s_waitcnt lgkmcnt(0)
	v_lshrrev_b32_e32 v3, s41, v3
	v_and_b32_e32 v145, s62, v3
	s_or_b32 exec_lo, exec_lo, s40
	s_and_saveexec_b32 s40, s30
	s_cbranch_execz .LBB1044_858
.LBB1044_928:                           ;   in Loop: Header=BB1044_730 Depth=2
	ds_read_u16 v3, v74 offset:4608
	s_waitcnt lgkmcnt(0)
	v_lshrrev_b32_e32 v3, s41, v3
	v_and_b32_e32 v144, s62, v3
	s_or_b32 exec_lo, exec_lo, s40
	s_and_saveexec_b32 s40, s31
	s_cbranch_execz .LBB1044_859
.LBB1044_929:                           ;   in Loop: Header=BB1044_730 Depth=2
	ds_read_u16 v3, v74 offset:5120
	s_waitcnt lgkmcnt(0)
	v_lshrrev_b32_e32 v3, s41, v3
	v_and_b32_e32 v143, s62, v3
	s_or_b32 exec_lo, exec_lo, s40
	s_and_saveexec_b32 s40, s33
	s_cbranch_execz .LBB1044_860
.LBB1044_930:                           ;   in Loop: Header=BB1044_730 Depth=2
	ds_read_u16 v3, v74 offset:5632
	s_waitcnt lgkmcnt(0)
	v_lshrrev_b32_e32 v3, s41, v3
	v_and_b32_e32 v142, s62, v3
	s_or_b32 exec_lo, exec_lo, s40
	s_and_saveexec_b32 s40, s34
	s_cbranch_execz .LBB1044_861
.LBB1044_931:                           ;   in Loop: Header=BB1044_730 Depth=2
	ds_read_u16 v3, v74 offset:6144
	s_waitcnt lgkmcnt(0)
	v_lshrrev_b32_e32 v3, s41, v3
	v_and_b32_e32 v141, s62, v3
	s_or_b32 exec_lo, exec_lo, s40
	s_and_saveexec_b32 s40, s35
	s_cbranch_execz .LBB1044_862
.LBB1044_932:                           ;   in Loop: Header=BB1044_730 Depth=2
	ds_read_u16 v3, v74 offset:6656
	s_waitcnt lgkmcnt(0)
	v_lshrrev_b32_e32 v3, s41, v3
	v_and_b32_e32 v140, s62, v3
	s_or_b32 exec_lo, exec_lo, s40
	s_and_saveexec_b32 s40, s36
	s_cbranch_execz .LBB1044_863
.LBB1044_933:                           ;   in Loop: Header=BB1044_730 Depth=2
	ds_read_u16 v3, v74 offset:7168
	s_waitcnt lgkmcnt(0)
	v_lshrrev_b32_e32 v3, s41, v3
	v_and_b32_e32 v139, s62, v3
	s_or_b32 exec_lo, exec_lo, s40
	s_and_saveexec_b32 s40, s37
	s_cbranch_execz .LBB1044_864
.LBB1044_934:                           ;   in Loop: Header=BB1044_730 Depth=2
	ds_read_u16 v3, v74 offset:7680
	s_waitcnt lgkmcnt(0)
	v_lshrrev_b32_e32 v3, s41, v3
	v_and_b32_e32 v138, s62, v3
	s_or_b32 exec_lo, exec_lo, s40
	s_and_saveexec_b32 s40, s38
	s_cbranch_execz .LBB1044_865
.LBB1044_935:                           ;   in Loop: Header=BB1044_730 Depth=2
	ds_read_u16 v3, v74 offset:8192
	s_waitcnt lgkmcnt(0)
	v_lshrrev_b32_e32 v3, s41, v3
	v_and_b32_e32 v137, s62, v3
	s_or_b32 exec_lo, exec_lo, s40
	s_and_saveexec_b32 s40, s39
	s_cbranch_execnz .LBB1044_866
	s_branch .LBB1044_867
.LBB1044_936:                           ;   in Loop: Header=BB1044_730 Depth=2
	v_lshlrev_b32_e32 v3, 2, v153
	v_add_nc_u32_e32 v39, v74, v75
	ds_read_b32 v3, v3
	ds_read_b64 v[39:40], v39 offset:512
	s_waitcnt lgkmcnt(1)
	v_add_nc_u32_e32 v3, v3, v0
	v_lshlrev_b64 v[41:42], 3, v[3:4]
	v_add_co_u32 v41, vcc_lo, s52, v41
	v_add_co_ci_u32_e64 v42, null, s53, v42, vcc_lo
	s_waitcnt lgkmcnt(0)
	global_store_dwordx2 v[41:42], v[39:40], off
	s_or_b32 exec_lo, exec_lo, s40
	s_and_saveexec_b32 s40, s23
	s_cbranch_execz .LBB1044_869
.LBB1044_937:                           ;   in Loop: Header=BB1044_730 Depth=2
	v_lshlrev_b32_e32 v3, 2, v152
	v_add_nc_u32_e32 v39, v74, v75
	ds_read_b32 v3, v3
	ds_read_b64 v[39:40], v39 offset:2560
	s_waitcnt lgkmcnt(1)
	v_add_nc_u32_e32 v3, v3, v44
	v_lshlrev_b64 v[41:42], 3, v[3:4]
	v_add_co_u32 v41, vcc_lo, s52, v41
	v_add_co_ci_u32_e64 v42, null, s53, v42, vcc_lo
	s_waitcnt lgkmcnt(0)
	global_store_dwordx2 v[41:42], v[39:40], off
	s_or_b32 exec_lo, exec_lo, s40
	s_and_saveexec_b32 s23, s24
	s_cbranch_execz .LBB1044_870
.LBB1044_938:                           ;   in Loop: Header=BB1044_730 Depth=2
	v_lshlrev_b32_e32 v3, 2, v150
	v_add_nc_u32_e32 v39, v74, v75
	ds_read_b32 v3, v3
	ds_read_b64 v[39:40], v39 offset:4608
	s_waitcnt lgkmcnt(1)
	v_add_nc_u32_e32 v3, v3, v47
	v_lshlrev_b64 v[41:42], 3, v[3:4]
	v_add_co_u32 v41, vcc_lo, s52, v41
	v_add_co_ci_u32_e64 v42, null, s53, v42, vcc_lo
	s_waitcnt lgkmcnt(0)
	global_store_dwordx2 v[41:42], v[39:40], off
	s_or_b32 exec_lo, exec_lo, s23
	s_and_saveexec_b32 s23, s25
	s_cbranch_execz .LBB1044_871
.LBB1044_939:                           ;   in Loop: Header=BB1044_730 Depth=2
	v_lshlrev_b32_e32 v3, 2, v149
	v_add_nc_u32_e32 v39, v74, v75
	ds_read_b32 v3, v3
	ds_read_b64 v[39:40], v39 offset:6656
	s_waitcnt lgkmcnt(1)
	v_add_nc_u32_e32 v3, v3, v48
	v_lshlrev_b64 v[41:42], 3, v[3:4]
	v_add_co_u32 v41, vcc_lo, s52, v41
	v_add_co_ci_u32_e64 v42, null, s53, v42, vcc_lo
	s_waitcnt lgkmcnt(0)
	global_store_dwordx2 v[41:42], v[39:40], off
	s_or_b32 exec_lo, exec_lo, s23
	s_and_saveexec_b32 s23, s26
	s_cbranch_execz .LBB1044_872
.LBB1044_940:                           ;   in Loop: Header=BB1044_730 Depth=2
	v_lshlrev_b32_e32 v3, 2, v148
	v_add_nc_u32_e32 v39, v74, v75
	ds_read_b32 v3, v3
	ds_read_b64 v[39:40], v39 offset:8704
	s_waitcnt lgkmcnt(1)
	v_add_nc_u32_e32 v3, v3, v49
	v_lshlrev_b64 v[41:42], 3, v[3:4]
	v_add_co_u32 v41, vcc_lo, s52, v41
	v_add_co_ci_u32_e64 v42, null, s53, v42, vcc_lo
	s_waitcnt lgkmcnt(0)
	global_store_dwordx2 v[41:42], v[39:40], off
	s_or_b32 exec_lo, exec_lo, s23
	s_and_saveexec_b32 s23, s27
	s_cbranch_execz .LBB1044_873
.LBB1044_941:                           ;   in Loop: Header=BB1044_730 Depth=2
	v_lshlrev_b32_e32 v3, 2, v147
	v_add_nc_u32_e32 v39, v74, v75
	ds_read_b32 v3, v3
	ds_read_b64 v[39:40], v39 offset:10752
	s_waitcnt lgkmcnt(1)
	v_add_nc_u32_e32 v3, v3, v50
	v_lshlrev_b64 v[41:42], 3, v[3:4]
	v_add_co_u32 v41, vcc_lo, s52, v41
	v_add_co_ci_u32_e64 v42, null, s53, v42, vcc_lo
	s_waitcnt lgkmcnt(0)
	global_store_dwordx2 v[41:42], v[39:40], off
	s_or_b32 exec_lo, exec_lo, s23
	s_and_saveexec_b32 s23, s28
	s_cbranch_execz .LBB1044_874
.LBB1044_942:                           ;   in Loop: Header=BB1044_730 Depth=2
	v_lshlrev_b32_e32 v3, 2, v146
	v_add_nc_u32_e32 v39, v74, v75
	ds_read_b32 v3, v3
	ds_read_b64 v[39:40], v39 offset:12800
	s_waitcnt lgkmcnt(1)
	v_add_nc_u32_e32 v3, v3, v51
	v_lshlrev_b64 v[41:42], 3, v[3:4]
	v_add_co_u32 v41, vcc_lo, s52, v41
	v_add_co_ci_u32_e64 v42, null, s53, v42, vcc_lo
	s_waitcnt lgkmcnt(0)
	global_store_dwordx2 v[41:42], v[39:40], off
	s_or_b32 exec_lo, exec_lo, s23
	s_and_saveexec_b32 s23, s29
	s_cbranch_execz .LBB1044_875
.LBB1044_943:                           ;   in Loop: Header=BB1044_730 Depth=2
	v_lshlrev_b32_e32 v3, 2, v145
	v_add_nc_u32_e32 v39, v74, v75
	ds_read_b32 v3, v3
	ds_read_b64 v[39:40], v39 offset:14848
	s_waitcnt lgkmcnt(1)
	v_add_nc_u32_e32 v3, v3, v52
	v_lshlrev_b64 v[41:42], 3, v[3:4]
	v_add_co_u32 v41, vcc_lo, s52, v41
	v_add_co_ci_u32_e64 v42, null, s53, v42, vcc_lo
	s_waitcnt lgkmcnt(0)
	global_store_dwordx2 v[41:42], v[39:40], off
	s_or_b32 exec_lo, exec_lo, s23
	s_and_saveexec_b32 s23, s30
	s_cbranch_execz .LBB1044_876
.LBB1044_944:                           ;   in Loop: Header=BB1044_730 Depth=2
	v_lshlrev_b32_e32 v3, 2, v144
	v_add_nc_u32_e32 v39, v74, v75
	ds_read_b32 v3, v3
	ds_read_b64 v[39:40], v39 offset:16896
	s_waitcnt lgkmcnt(1)
	v_add_nc_u32_e32 v3, v3, v53
	v_lshlrev_b64 v[41:42], 3, v[3:4]
	v_add_co_u32 v41, vcc_lo, s52, v41
	v_add_co_ci_u32_e64 v42, null, s53, v42, vcc_lo
	s_waitcnt lgkmcnt(0)
	global_store_dwordx2 v[41:42], v[39:40], off
	s_or_b32 exec_lo, exec_lo, s23
	s_and_saveexec_b32 s23, s31
	s_cbranch_execz .LBB1044_877
.LBB1044_945:                           ;   in Loop: Header=BB1044_730 Depth=2
	v_lshlrev_b32_e32 v3, 2, v143
	v_add_nc_u32_e32 v39, v74, v75
	ds_read_b32 v3, v3
	ds_read_b64 v[39:40], v39 offset:18944
	s_waitcnt lgkmcnt(1)
	v_add_nc_u32_e32 v3, v3, v54
	v_lshlrev_b64 v[41:42], 3, v[3:4]
	v_add_co_u32 v41, vcc_lo, s52, v41
	v_add_co_ci_u32_e64 v42, null, s53, v42, vcc_lo
	s_waitcnt lgkmcnt(0)
	global_store_dwordx2 v[41:42], v[39:40], off
	s_or_b32 exec_lo, exec_lo, s23
	s_and_saveexec_b32 s23, s33
	s_cbranch_execz .LBB1044_878
.LBB1044_946:                           ;   in Loop: Header=BB1044_730 Depth=2
	v_lshlrev_b32_e32 v3, 2, v142
	v_add_nc_u32_e32 v39, v74, v75
	ds_read_b32 v3, v3
	ds_read_b64 v[39:40], v39 offset:20992
	s_waitcnt lgkmcnt(1)
	v_add_nc_u32_e32 v3, v3, v55
	v_lshlrev_b64 v[41:42], 3, v[3:4]
	v_add_co_u32 v41, vcc_lo, s52, v41
	v_add_co_ci_u32_e64 v42, null, s53, v42, vcc_lo
	s_waitcnt lgkmcnt(0)
	global_store_dwordx2 v[41:42], v[39:40], off
	s_or_b32 exec_lo, exec_lo, s23
	s_and_saveexec_b32 s23, s34
	s_cbranch_execz .LBB1044_879
.LBB1044_947:                           ;   in Loop: Header=BB1044_730 Depth=2
	v_lshlrev_b32_e32 v3, 2, v141
	v_add_nc_u32_e32 v39, v74, v75
	ds_read_b32 v3, v3
	ds_read_b64 v[39:40], v39 offset:23040
	s_waitcnt lgkmcnt(1)
	v_add_nc_u32_e32 v3, v3, v56
	v_lshlrev_b64 v[41:42], 3, v[3:4]
	v_add_co_u32 v41, vcc_lo, s52, v41
	v_add_co_ci_u32_e64 v42, null, s53, v42, vcc_lo
	s_waitcnt lgkmcnt(0)
	global_store_dwordx2 v[41:42], v[39:40], off
	s_or_b32 exec_lo, exec_lo, s23
	s_and_saveexec_b32 s23, s35
	s_cbranch_execz .LBB1044_880
.LBB1044_948:                           ;   in Loop: Header=BB1044_730 Depth=2
	v_lshlrev_b32_e32 v3, 2, v140
	v_add_nc_u32_e32 v39, v74, v75
	ds_read_b32 v3, v3
	ds_read_b64 v[39:40], v39 offset:25088
	s_waitcnt lgkmcnt(1)
	v_add_nc_u32_e32 v3, v3, v57
	v_lshlrev_b64 v[41:42], 3, v[3:4]
	v_add_co_u32 v41, vcc_lo, s52, v41
	v_add_co_ci_u32_e64 v42, null, s53, v42, vcc_lo
	s_waitcnt lgkmcnt(0)
	global_store_dwordx2 v[41:42], v[39:40], off
	s_or_b32 exec_lo, exec_lo, s23
	s_and_saveexec_b32 s23, s36
	s_cbranch_execz .LBB1044_881
.LBB1044_949:                           ;   in Loop: Header=BB1044_730 Depth=2
	v_lshlrev_b32_e32 v3, 2, v139
	v_add_nc_u32_e32 v39, v74, v75
	ds_read_b32 v3, v3
	ds_read_b64 v[39:40], v39 offset:27136
	s_waitcnt lgkmcnt(1)
	v_add_nc_u32_e32 v3, v3, v58
	v_lshlrev_b64 v[41:42], 3, v[3:4]
	v_add_co_u32 v41, vcc_lo, s52, v41
	v_add_co_ci_u32_e64 v42, null, s53, v42, vcc_lo
	s_waitcnt lgkmcnt(0)
	global_store_dwordx2 v[41:42], v[39:40], off
	s_or_b32 exec_lo, exec_lo, s23
	s_and_saveexec_b32 s23, s37
	s_cbranch_execz .LBB1044_882
.LBB1044_950:                           ;   in Loop: Header=BB1044_730 Depth=2
	v_lshlrev_b32_e32 v3, 2, v138
	v_add_nc_u32_e32 v39, v74, v75
	ds_read_b32 v3, v3
	ds_read_b64 v[39:40], v39 offset:29184
	s_waitcnt lgkmcnt(1)
	v_add_nc_u32_e32 v3, v3, v59
	v_lshlrev_b64 v[41:42], 3, v[3:4]
	v_add_co_u32 v41, vcc_lo, s52, v41
	v_add_co_ci_u32_e64 v42, null, s53, v42, vcc_lo
	s_waitcnt lgkmcnt(0)
	global_store_dwordx2 v[41:42], v[39:40], off
	s_or_b32 exec_lo, exec_lo, s23
	s_and_saveexec_b32 s23, s38
	s_cbranch_execz .LBB1044_883
.LBB1044_951:                           ;   in Loop: Header=BB1044_730 Depth=2
	v_lshlrev_b32_e32 v3, 2, v137
	v_add_nc_u32_e32 v39, v74, v75
	ds_read_b32 v3, v3
	ds_read_b64 v[39:40], v39 offset:31232
	s_waitcnt lgkmcnt(1)
	v_add_nc_u32_e32 v3, v3, v60
	v_lshlrev_b64 v[41:42], 3, v[3:4]
	v_add_co_u32 v41, vcc_lo, s52, v41
	v_add_co_ci_u32_e64 v42, null, s53, v42, vcc_lo
	s_waitcnt lgkmcnt(0)
	global_store_dwordx2 v[41:42], v[39:40], off
	s_or_b32 exec_lo, exec_lo, s23
	s_and_saveexec_b32 s23, s39
	s_cbranch_execnz .LBB1044_884
	s_branch .LBB1044_885
.LBB1044_952:                           ;   in Loop: Header=BB1044_20 Depth=1
	s_waitcnt lgkmcnt(0)
	s_mov_b32 s5, 0
	s_barrier
.LBB1044_953:                           ;   in Loop: Header=BB1044_20 Depth=1
	s_and_b32 vcc_lo, exec_lo, s5
	s_cbranch_vccz .LBB1044_19
; %bb.954:                              ;   in Loop: Header=BB1044_20 Depth=1
	s_mov_b32 s5, s60
	s_mov_b32 s50, s58
	s_barrier
	buffer_gl0_inv
                                        ; implicit-def: $vgpr3
                                        ; implicit-def: $vgpr5
                                        ; implicit-def: $vgpr6
                                        ; implicit-def: $vgpr7
                                        ; implicit-def: $vgpr8
                                        ; implicit-def: $vgpr9
                                        ; implicit-def: $vgpr10
                                        ; implicit-def: $vgpr11
                                        ; implicit-def: $vgpr12
                                        ; implicit-def: $vgpr13
                                        ; implicit-def: $vgpr14
                                        ; implicit-def: $vgpr15
                                        ; implicit-def: $vgpr16
                                        ; implicit-def: $vgpr17
                                        ; implicit-def: $vgpr18
                                        ; implicit-def: $vgpr19
                                        ; implicit-def: $vgpr20
	s_branch .LBB1044_956
.LBB1044_955:                           ;   in Loop: Header=BB1044_956 Depth=2
	s_or_b32 exec_lo, exec_lo, s16
	s_addk_i32 s5, 0xef00
	s_cmp_ge_u32 s18, s59
	s_mov_b32 s50, s18
	s_cbranch_scc1 .LBB1044_1028
.LBB1044_956:                           ;   Parent Loop BB1044_20 Depth=1
                                        ; =>  This Inner Loop Header: Depth=2
	s_add_i32 s18, s50, 0x1100
	s_mov_b32 s16, -1
	s_cmp_gt_u32 s18, s59
                                        ; implicit-def: $vgpr21
                                        ; implicit-def: $vgpr22
                                        ; implicit-def: $vgpr23
                                        ; implicit-def: $vgpr24
                                        ; implicit-def: $vgpr28
                                        ; implicit-def: $vgpr25
                                        ; implicit-def: $vgpr26
                                        ; implicit-def: $vgpr27
                                        ; implicit-def: $vgpr30
                                        ; implicit-def: $vgpr29
                                        ; implicit-def: $vgpr31
                                        ; implicit-def: $vgpr32
                                        ; implicit-def: $vgpr33
                                        ; implicit-def: $vgpr34
                                        ; implicit-def: $vgpr35
                                        ; implicit-def: $vgpr36
                                        ; implicit-def: $vgpr37
	s_cbranch_scc1 .LBB1044_958
; %bb.957:                              ;   in Loop: Header=BB1044_956 Depth=2
	s_lshl_b64 s[16:17], s[50:51], 1
	v_add_co_u32 v30, vcc_lo, v82, s16
	v_add_co_ci_u32_e64 v31, null, s17, v83, vcc_lo
	s_mov_b32 s16, 0
	v_add_co_u32 v27, vcc_lo, 0x800, v30
	v_add_co_ci_u32_e64 v28, null, 0, v31, vcc_lo
	v_add_co_u32 v32, vcc_lo, v30, 0x1000
	v_add_co_ci_u32_e64 v33, null, 0, v31, vcc_lo
	;; [unrolled: 2-line block ×5, first 2 shown]
	s_clause 0x10
	global_load_ushort v21, v[30:31], off
	global_load_ushort v22, v[30:31], off offset:512
	global_load_ushort v23, v[30:31], off offset:1024
	;; [unrolled: 1-line block ×7, first 2 shown]
	global_load_ushort v28, v[32:33], off offset:-2048
	global_load_ushort v30, v[32:33], off
	global_load_ushort v31, v[34:35], off offset:1024
	global_load_ushort v32, v[34:35], off offset:1536
	global_load_ushort v33, v[38:39], off offset:-2048
	global_load_ushort v34, v[36:37], off offset:512
	global_load_ushort v35, v[36:37], off offset:1024
	;; [unrolled: 1-line block ×3, first 2 shown]
	global_load_ushort v37, v[38:39], off
.LBB1044_958:                           ;   in Loop: Header=BB1044_956 Depth=2
	s_andn2_b32 vcc_lo, exec_lo, s16
	s_movk_i32 s16, 0x1100
	s_cbranch_vccnz .LBB1044_978
; %bb.959:                              ;   in Loop: Header=BB1044_956 Depth=2
	s_lshl_b64 s[16:17], s[50:51], 1
	s_mov_b32 s19, exec_lo
	s_add_u32 s16, s44, s16
	s_addc_u32 s17, s45, s17
	v_cmpx_gt_u32_e64 s5, v0
	s_cbranch_execnz .LBB1044_1012
; %bb.960:                              ;   in Loop: Header=BB1044_956 Depth=2
	s_or_b32 exec_lo, exec_lo, s19
	s_mov_b32 s19, exec_lo
	v_cmpx_gt_u32_e64 s5, v44
	s_cbranch_execnz .LBB1044_1013
.LBB1044_961:                           ;   in Loop: Header=BB1044_956 Depth=2
	s_or_b32 exec_lo, exec_lo, s19
	s_mov_b32 s19, exec_lo
	v_cmpx_gt_u32_e64 s5, v47
	s_cbranch_execnz .LBB1044_1014
.LBB1044_962:                           ;   in Loop: Header=BB1044_956 Depth=2
	s_or_b32 exec_lo, exec_lo, s19
	s_mov_b32 s19, exec_lo
	v_cmpx_gt_u32_e64 s5, v48
	s_cbranch_execnz .LBB1044_1015
.LBB1044_963:                           ;   in Loop: Header=BB1044_956 Depth=2
	s_or_b32 exec_lo, exec_lo, s19
	s_mov_b32 s19, exec_lo
	v_cmpx_gt_u32_e64 s5, v49
	s_cbranch_execnz .LBB1044_1016
.LBB1044_964:                           ;   in Loop: Header=BB1044_956 Depth=2
	s_or_b32 exec_lo, exec_lo, s19
	s_mov_b32 s19, exec_lo
	v_cmpx_gt_u32_e64 s5, v50
	s_cbranch_execnz .LBB1044_1017
.LBB1044_965:                           ;   in Loop: Header=BB1044_956 Depth=2
	s_or_b32 exec_lo, exec_lo, s19
	s_mov_b32 s19, exec_lo
	v_cmpx_gt_u32_e64 s5, v51
	s_cbranch_execnz .LBB1044_1018
.LBB1044_966:                           ;   in Loop: Header=BB1044_956 Depth=2
	s_or_b32 exec_lo, exec_lo, s19
	s_mov_b32 s19, exec_lo
	v_cmpx_gt_u32_e64 s5, v52
	s_cbranch_execnz .LBB1044_1019
.LBB1044_967:                           ;   in Loop: Header=BB1044_956 Depth=2
	s_or_b32 exec_lo, exec_lo, s19
	s_mov_b32 s19, exec_lo
	v_cmpx_gt_u32_e64 s5, v53
	s_cbranch_execnz .LBB1044_1020
.LBB1044_968:                           ;   in Loop: Header=BB1044_956 Depth=2
	s_or_b32 exec_lo, exec_lo, s19
	s_mov_b32 s19, exec_lo
	v_cmpx_gt_u32_e64 s5, v54
	s_cbranch_execnz .LBB1044_1021
.LBB1044_969:                           ;   in Loop: Header=BB1044_956 Depth=2
	s_or_b32 exec_lo, exec_lo, s19
	s_mov_b32 s19, exec_lo
	v_cmpx_gt_u32_e64 s5, v55
	s_cbranch_execnz .LBB1044_1022
.LBB1044_970:                           ;   in Loop: Header=BB1044_956 Depth=2
	s_or_b32 exec_lo, exec_lo, s19
	s_mov_b32 s19, exec_lo
	v_cmpx_gt_u32_e64 s5, v56
	s_cbranch_execnz .LBB1044_1023
.LBB1044_971:                           ;   in Loop: Header=BB1044_956 Depth=2
	s_or_b32 exec_lo, exec_lo, s19
	s_mov_b32 s19, exec_lo
	v_cmpx_gt_u32_e64 s5, v57
	s_cbranch_execnz .LBB1044_1024
.LBB1044_972:                           ;   in Loop: Header=BB1044_956 Depth=2
	s_or_b32 exec_lo, exec_lo, s19
	s_mov_b32 s19, exec_lo
	v_cmpx_gt_u32_e64 s5, v58
	s_cbranch_execnz .LBB1044_1025
.LBB1044_973:                           ;   in Loop: Header=BB1044_956 Depth=2
	s_or_b32 exec_lo, exec_lo, s19
	s_mov_b32 s19, exec_lo
	v_cmpx_gt_u32_e64 s5, v59
	s_cbranch_execnz .LBB1044_1026
.LBB1044_974:                           ;   in Loop: Header=BB1044_956 Depth=2
	s_or_b32 exec_lo, exec_lo, s19
	s_mov_b32 s19, exec_lo
	v_cmpx_gt_u32_e64 s5, v60
	s_cbranch_execnz .LBB1044_1027
.LBB1044_975:                           ;   in Loop: Header=BB1044_956 Depth=2
	s_or_b32 exec_lo, exec_lo, s19
	s_mov_b32 s19, exec_lo
	v_cmpx_gt_u32_e64 s5, v61
	s_cbranch_execz .LBB1044_977
.LBB1044_976:                           ;   in Loop: Header=BB1044_956 Depth=2
	global_load_ushort v3, v122, s[16:17]
.LBB1044_977:                           ;   in Loop: Header=BB1044_956 Depth=2
	s_or_b32 exec_lo, exec_lo, s19
	s_waitcnt vmcnt(0)
	v_mov_b32_e32 v21, v20
	v_mov_b32_e32 v22, v19
	;; [unrolled: 1-line block ×17, first 2 shown]
	s_mov_b32 s16, s5
.LBB1044_978:                           ;   in Loop: Header=BB1044_956 Depth=2
	s_waitcnt vmcnt(0)
	v_mov_b32_e32 v3, v37
	v_mov_b32_e32 v5, v36
	;; [unrolled: 1-line block ×17, first 2 shown]
	s_mov_b32 s17, exec_lo
	v_cmpx_gt_u32_e64 s16, v0
	s_cbranch_execnz .LBB1044_995
; %bb.979:                              ;   in Loop: Header=BB1044_956 Depth=2
	s_or_b32 exec_lo, exec_lo, s17
	s_mov_b32 s17, exec_lo
	v_cmpx_gt_u32_e64 s16, v44
	s_cbranch_execnz .LBB1044_996
.LBB1044_980:                           ;   in Loop: Header=BB1044_956 Depth=2
	s_or_b32 exec_lo, exec_lo, s17
	s_mov_b32 s17, exec_lo
	v_cmpx_gt_u32_e64 s16, v47
	s_cbranch_execnz .LBB1044_997
.LBB1044_981:                           ;   in Loop: Header=BB1044_956 Depth=2
	s_or_b32 exec_lo, exec_lo, s17
	s_mov_b32 s17, exec_lo
	v_cmpx_gt_u32_e64 s16, v48
	s_cbranch_execnz .LBB1044_998
.LBB1044_982:                           ;   in Loop: Header=BB1044_956 Depth=2
	s_or_b32 exec_lo, exec_lo, s17
	s_mov_b32 s17, exec_lo
	v_cmpx_gt_u32_e64 s16, v49
	s_cbranch_execnz .LBB1044_999
.LBB1044_983:                           ;   in Loop: Header=BB1044_956 Depth=2
	s_or_b32 exec_lo, exec_lo, s17
	s_mov_b32 s17, exec_lo
	v_cmpx_gt_u32_e64 s16, v50
	s_cbranch_execnz .LBB1044_1000
.LBB1044_984:                           ;   in Loop: Header=BB1044_956 Depth=2
	s_or_b32 exec_lo, exec_lo, s17
	s_mov_b32 s17, exec_lo
	v_cmpx_gt_u32_e64 s16, v51
	s_cbranch_execnz .LBB1044_1001
.LBB1044_985:                           ;   in Loop: Header=BB1044_956 Depth=2
	s_or_b32 exec_lo, exec_lo, s17
	s_mov_b32 s17, exec_lo
	v_cmpx_gt_u32_e64 s16, v52
	s_cbranch_execnz .LBB1044_1002
.LBB1044_986:                           ;   in Loop: Header=BB1044_956 Depth=2
	s_or_b32 exec_lo, exec_lo, s17
	s_mov_b32 s17, exec_lo
	v_cmpx_gt_u32_e64 s16, v53
	s_cbranch_execnz .LBB1044_1003
.LBB1044_987:                           ;   in Loop: Header=BB1044_956 Depth=2
	s_or_b32 exec_lo, exec_lo, s17
	s_mov_b32 s17, exec_lo
	v_cmpx_gt_u32_e64 s16, v54
	s_cbranch_execnz .LBB1044_1004
.LBB1044_988:                           ;   in Loop: Header=BB1044_956 Depth=2
	s_or_b32 exec_lo, exec_lo, s17
	s_mov_b32 s17, exec_lo
	v_cmpx_gt_u32_e64 s16, v55
	s_cbranch_execnz .LBB1044_1005
.LBB1044_989:                           ;   in Loop: Header=BB1044_956 Depth=2
	s_or_b32 exec_lo, exec_lo, s17
	s_mov_b32 s17, exec_lo
	v_cmpx_gt_u32_e64 s16, v56
	s_cbranch_execnz .LBB1044_1006
.LBB1044_990:                           ;   in Loop: Header=BB1044_956 Depth=2
	s_or_b32 exec_lo, exec_lo, s17
	s_mov_b32 s17, exec_lo
	v_cmpx_gt_u32_e64 s16, v57
	s_cbranch_execnz .LBB1044_1007
.LBB1044_991:                           ;   in Loop: Header=BB1044_956 Depth=2
	s_or_b32 exec_lo, exec_lo, s17
	s_mov_b32 s17, exec_lo
	v_cmpx_gt_u32_e64 s16, v58
	s_cbranch_execnz .LBB1044_1008
.LBB1044_992:                           ;   in Loop: Header=BB1044_956 Depth=2
	s_or_b32 exec_lo, exec_lo, s17
	s_mov_b32 s17, exec_lo
	v_cmpx_gt_u32_e64 s16, v59
	s_cbranch_execnz .LBB1044_1009
.LBB1044_993:                           ;   in Loop: Header=BB1044_956 Depth=2
	s_or_b32 exec_lo, exec_lo, s17
	s_mov_b32 s17, exec_lo
	v_cmpx_gt_u32_e64 s16, v60
	s_cbranch_execnz .LBB1044_1010
.LBB1044_994:                           ;   in Loop: Header=BB1044_956 Depth=2
	s_or_b32 exec_lo, exec_lo, s17
	v_cmp_gt_u32_e32 vcc_lo, s16, v61
	s_and_saveexec_b32 s16, vcc_lo
	s_cbranch_execz .LBB1044_955
	s_branch .LBB1044_1011
.LBB1044_995:                           ;   in Loop: Header=BB1044_956 Depth=2
	v_xor_b32_e32 v21, 0xffff8000, v20
	v_lshrrev_b32_sdwa v21, s41, v21 dst_sel:DWORD dst_unused:UNUSED_PAD src0_sel:DWORD src1_sel:WORD_0
	v_and_b32_e32 v21, s62, v21
	v_lshl_or_b32 v21, v21, 4, v63
	ds_add_u32 v21, v89
	s_or_b32 exec_lo, exec_lo, s17
	s_mov_b32 s17, exec_lo
	v_cmpx_gt_u32_e64 s16, v44
	s_cbranch_execz .LBB1044_980
.LBB1044_996:                           ;   in Loop: Header=BB1044_956 Depth=2
	v_xor_b32_e32 v21, 0xffff8000, v19
	v_lshrrev_b32_sdwa v21, s41, v21 dst_sel:DWORD dst_unused:UNUSED_PAD src0_sel:DWORD src1_sel:WORD_0
	v_and_b32_e32 v21, s62, v21
	v_lshl_or_b32 v21, v21, 4, v63
	ds_add_u32 v21, v89
	s_or_b32 exec_lo, exec_lo, s17
	s_mov_b32 s17, exec_lo
	v_cmpx_gt_u32_e64 s16, v47
	s_cbranch_execz .LBB1044_981
.LBB1044_997:                           ;   in Loop: Header=BB1044_956 Depth=2
	v_xor_b32_e32 v21, 0xffff8000, v18
	v_lshrrev_b32_sdwa v21, s41, v21 dst_sel:DWORD dst_unused:UNUSED_PAD src0_sel:DWORD src1_sel:WORD_0
	v_and_b32_e32 v21, s62, v21
	v_lshl_or_b32 v21, v21, 4, v63
	ds_add_u32 v21, v89
	s_or_b32 exec_lo, exec_lo, s17
	s_mov_b32 s17, exec_lo
	v_cmpx_gt_u32_e64 s16, v48
	s_cbranch_execz .LBB1044_982
.LBB1044_998:                           ;   in Loop: Header=BB1044_956 Depth=2
	v_xor_b32_e32 v21, 0xffff8000, v17
	v_lshrrev_b32_sdwa v21, s41, v21 dst_sel:DWORD dst_unused:UNUSED_PAD src0_sel:DWORD src1_sel:WORD_0
	v_and_b32_e32 v21, s62, v21
	v_lshl_or_b32 v21, v21, 4, v63
	ds_add_u32 v21, v89
	s_or_b32 exec_lo, exec_lo, s17
	s_mov_b32 s17, exec_lo
	v_cmpx_gt_u32_e64 s16, v49
	s_cbranch_execz .LBB1044_983
.LBB1044_999:                           ;   in Loop: Header=BB1044_956 Depth=2
	v_xor_b32_e32 v21, 0xffff8000, v16
	v_lshrrev_b32_sdwa v21, s41, v21 dst_sel:DWORD dst_unused:UNUSED_PAD src0_sel:DWORD src1_sel:WORD_0
	v_and_b32_e32 v21, s62, v21
	v_lshl_or_b32 v21, v21, 4, v63
	ds_add_u32 v21, v89
	s_or_b32 exec_lo, exec_lo, s17
	s_mov_b32 s17, exec_lo
	v_cmpx_gt_u32_e64 s16, v50
	s_cbranch_execz .LBB1044_984
.LBB1044_1000:                          ;   in Loop: Header=BB1044_956 Depth=2
	v_xor_b32_e32 v21, 0xffff8000, v15
	v_lshrrev_b32_sdwa v21, s41, v21 dst_sel:DWORD dst_unused:UNUSED_PAD src0_sel:DWORD src1_sel:WORD_0
	v_and_b32_e32 v21, s62, v21
	v_lshl_or_b32 v21, v21, 4, v63
	ds_add_u32 v21, v89
	s_or_b32 exec_lo, exec_lo, s17
	s_mov_b32 s17, exec_lo
	v_cmpx_gt_u32_e64 s16, v51
	s_cbranch_execz .LBB1044_985
.LBB1044_1001:                          ;   in Loop: Header=BB1044_956 Depth=2
	v_xor_b32_e32 v21, 0xffff8000, v14
	v_lshrrev_b32_sdwa v21, s41, v21 dst_sel:DWORD dst_unused:UNUSED_PAD src0_sel:DWORD src1_sel:WORD_0
	v_and_b32_e32 v21, s62, v21
	v_lshl_or_b32 v21, v21, 4, v63
	ds_add_u32 v21, v89
	s_or_b32 exec_lo, exec_lo, s17
	s_mov_b32 s17, exec_lo
	v_cmpx_gt_u32_e64 s16, v52
	s_cbranch_execz .LBB1044_986
.LBB1044_1002:                          ;   in Loop: Header=BB1044_956 Depth=2
	v_xor_b32_e32 v21, 0xffff8000, v13
	v_lshrrev_b32_sdwa v21, s41, v21 dst_sel:DWORD dst_unused:UNUSED_PAD src0_sel:DWORD src1_sel:WORD_0
	v_and_b32_e32 v21, s62, v21
	v_lshl_or_b32 v21, v21, 4, v63
	ds_add_u32 v21, v89
	s_or_b32 exec_lo, exec_lo, s17
	s_mov_b32 s17, exec_lo
	v_cmpx_gt_u32_e64 s16, v53
	s_cbranch_execz .LBB1044_987
.LBB1044_1003:                          ;   in Loop: Header=BB1044_956 Depth=2
	v_xor_b32_e32 v21, 0xffff8000, v12
	v_lshrrev_b32_sdwa v21, s41, v21 dst_sel:DWORD dst_unused:UNUSED_PAD src0_sel:DWORD src1_sel:WORD_0
	v_and_b32_e32 v21, s62, v21
	v_lshl_or_b32 v21, v21, 4, v63
	ds_add_u32 v21, v89
	s_or_b32 exec_lo, exec_lo, s17
	s_mov_b32 s17, exec_lo
	v_cmpx_gt_u32_e64 s16, v54
	s_cbranch_execz .LBB1044_988
.LBB1044_1004:                          ;   in Loop: Header=BB1044_956 Depth=2
	v_xor_b32_e32 v21, 0xffff8000, v11
	v_lshrrev_b32_sdwa v21, s41, v21 dst_sel:DWORD dst_unused:UNUSED_PAD src0_sel:DWORD src1_sel:WORD_0
	v_and_b32_e32 v21, s62, v21
	v_lshl_or_b32 v21, v21, 4, v63
	ds_add_u32 v21, v89
	s_or_b32 exec_lo, exec_lo, s17
	s_mov_b32 s17, exec_lo
	v_cmpx_gt_u32_e64 s16, v55
	s_cbranch_execz .LBB1044_989
.LBB1044_1005:                          ;   in Loop: Header=BB1044_956 Depth=2
	v_xor_b32_e32 v21, 0xffff8000, v10
	v_lshrrev_b32_sdwa v21, s41, v21 dst_sel:DWORD dst_unused:UNUSED_PAD src0_sel:DWORD src1_sel:WORD_0
	v_and_b32_e32 v21, s62, v21
	v_lshl_or_b32 v21, v21, 4, v63
	ds_add_u32 v21, v89
	s_or_b32 exec_lo, exec_lo, s17
	s_mov_b32 s17, exec_lo
	v_cmpx_gt_u32_e64 s16, v56
	s_cbranch_execz .LBB1044_990
.LBB1044_1006:                          ;   in Loop: Header=BB1044_956 Depth=2
	v_xor_b32_e32 v21, 0xffff8000, v9
	v_lshrrev_b32_sdwa v21, s41, v21 dst_sel:DWORD dst_unused:UNUSED_PAD src0_sel:DWORD src1_sel:WORD_0
	v_and_b32_e32 v21, s62, v21
	v_lshl_or_b32 v21, v21, 4, v63
	ds_add_u32 v21, v89
	s_or_b32 exec_lo, exec_lo, s17
	s_mov_b32 s17, exec_lo
	v_cmpx_gt_u32_e64 s16, v57
	s_cbranch_execz .LBB1044_991
.LBB1044_1007:                          ;   in Loop: Header=BB1044_956 Depth=2
	v_xor_b32_e32 v21, 0xffff8000, v8
	v_lshrrev_b32_sdwa v21, s41, v21 dst_sel:DWORD dst_unused:UNUSED_PAD src0_sel:DWORD src1_sel:WORD_0
	v_and_b32_e32 v21, s62, v21
	v_lshl_or_b32 v21, v21, 4, v63
	ds_add_u32 v21, v89
	s_or_b32 exec_lo, exec_lo, s17
	s_mov_b32 s17, exec_lo
	v_cmpx_gt_u32_e64 s16, v58
	s_cbranch_execz .LBB1044_992
.LBB1044_1008:                          ;   in Loop: Header=BB1044_956 Depth=2
	v_xor_b32_e32 v21, 0xffff8000, v7
	v_lshrrev_b32_sdwa v21, s41, v21 dst_sel:DWORD dst_unused:UNUSED_PAD src0_sel:DWORD src1_sel:WORD_0
	v_and_b32_e32 v21, s62, v21
	v_lshl_or_b32 v21, v21, 4, v63
	ds_add_u32 v21, v89
	s_or_b32 exec_lo, exec_lo, s17
	s_mov_b32 s17, exec_lo
	v_cmpx_gt_u32_e64 s16, v59
	s_cbranch_execz .LBB1044_993
.LBB1044_1009:                          ;   in Loop: Header=BB1044_956 Depth=2
	v_xor_b32_e32 v21, 0xffff8000, v6
	v_lshrrev_b32_sdwa v21, s41, v21 dst_sel:DWORD dst_unused:UNUSED_PAD src0_sel:DWORD src1_sel:WORD_0
	v_and_b32_e32 v21, s62, v21
	v_lshl_or_b32 v21, v21, 4, v63
	ds_add_u32 v21, v89
	s_or_b32 exec_lo, exec_lo, s17
	s_mov_b32 s17, exec_lo
	v_cmpx_gt_u32_e64 s16, v60
	s_cbranch_execz .LBB1044_994
.LBB1044_1010:                          ;   in Loop: Header=BB1044_956 Depth=2
	v_xor_b32_e32 v21, 0xffff8000, v5
	v_lshrrev_b32_sdwa v21, s41, v21 dst_sel:DWORD dst_unused:UNUSED_PAD src0_sel:DWORD src1_sel:WORD_0
	v_and_b32_e32 v21, s62, v21
	v_lshl_or_b32 v21, v21, 4, v63
	ds_add_u32 v21, v89
	s_or_b32 exec_lo, exec_lo, s17
	v_cmp_gt_u32_e32 vcc_lo, s16, v61
	s_and_saveexec_b32 s16, vcc_lo
	s_cbranch_execz .LBB1044_955
.LBB1044_1011:                          ;   in Loop: Header=BB1044_956 Depth=2
	v_xor_b32_e32 v21, 0xffff8000, v3
	v_lshrrev_b32_sdwa v21, s41, v21 dst_sel:DWORD dst_unused:UNUSED_PAD src0_sel:DWORD src1_sel:WORD_0
	v_and_b32_e32 v21, s62, v21
	v_lshl_or_b32 v21, v21, 4, v63
	ds_add_u32 v21, v89
	s_branch .LBB1044_955
.LBB1044_1012:                          ;   in Loop: Header=BB1044_956 Depth=2
	global_load_ushort v20, v109, s[16:17]
	s_or_b32 exec_lo, exec_lo, s19
	s_mov_b32 s19, exec_lo
	v_cmpx_gt_u32_e64 s5, v44
	s_cbranch_execz .LBB1044_961
.LBB1044_1013:                          ;   in Loop: Header=BB1044_956 Depth=2
	global_load_ushort v19, v109, s[16:17] offset:512
	s_or_b32 exec_lo, exec_lo, s19
	s_mov_b32 s19, exec_lo
	v_cmpx_gt_u32_e64 s5, v47
	s_cbranch_execz .LBB1044_962
.LBB1044_1014:                          ;   in Loop: Header=BB1044_956 Depth=2
	global_load_ushort v18, v109, s[16:17] offset:1024
	s_or_b32 exec_lo, exec_lo, s19
	s_mov_b32 s19, exec_lo
	v_cmpx_gt_u32_e64 s5, v48
	s_cbranch_execz .LBB1044_963
.LBB1044_1015:                          ;   in Loop: Header=BB1044_956 Depth=2
	global_load_ushort v17, v109, s[16:17] offset:1536
	s_or_b32 exec_lo, exec_lo, s19
	s_mov_b32 s19, exec_lo
	v_cmpx_gt_u32_e64 s5, v49
	s_cbranch_execz .LBB1044_964
.LBB1044_1016:                          ;   in Loop: Header=BB1044_956 Depth=2
	global_load_ushort v16, v110, s[16:17]
	s_or_b32 exec_lo, exec_lo, s19
	s_mov_b32 s19, exec_lo
	v_cmpx_gt_u32_e64 s5, v50
	s_cbranch_execz .LBB1044_965
.LBB1044_1017:                          ;   in Loop: Header=BB1044_956 Depth=2
	global_load_ushort v15, v111, s[16:17]
	s_or_b32 exec_lo, exec_lo, s19
	s_mov_b32 s19, exec_lo
	v_cmpx_gt_u32_e64 s5, v51
	s_cbranch_execz .LBB1044_966
.LBB1044_1018:                          ;   in Loop: Header=BB1044_956 Depth=2
	global_load_ushort v14, v112, s[16:17]
	s_or_b32 exec_lo, exec_lo, s19
	s_mov_b32 s19, exec_lo
	v_cmpx_gt_u32_e64 s5, v52
	s_cbranch_execz .LBB1044_967
.LBB1044_1019:                          ;   in Loop: Header=BB1044_956 Depth=2
	global_load_ushort v13, v113, s[16:17]
	s_or_b32 exec_lo, exec_lo, s19
	s_mov_b32 s19, exec_lo
	v_cmpx_gt_u32_e64 s5, v53
	s_cbranch_execz .LBB1044_968
.LBB1044_1020:                          ;   in Loop: Header=BB1044_956 Depth=2
	global_load_ushort v12, v114, s[16:17]
	s_or_b32 exec_lo, exec_lo, s19
	s_mov_b32 s19, exec_lo
	v_cmpx_gt_u32_e64 s5, v54
	s_cbranch_execz .LBB1044_969
.LBB1044_1021:                          ;   in Loop: Header=BB1044_956 Depth=2
	global_load_ushort v11, v115, s[16:17]
	s_or_b32 exec_lo, exec_lo, s19
	s_mov_b32 s19, exec_lo
	v_cmpx_gt_u32_e64 s5, v55
	s_cbranch_execz .LBB1044_970
.LBB1044_1022:                          ;   in Loop: Header=BB1044_956 Depth=2
	global_load_ushort v10, v116, s[16:17]
	s_or_b32 exec_lo, exec_lo, s19
	s_mov_b32 s19, exec_lo
	v_cmpx_gt_u32_e64 s5, v56
	s_cbranch_execz .LBB1044_971
.LBB1044_1023:                          ;   in Loop: Header=BB1044_956 Depth=2
	global_load_ushort v9, v117, s[16:17]
	s_or_b32 exec_lo, exec_lo, s19
	s_mov_b32 s19, exec_lo
	v_cmpx_gt_u32_e64 s5, v57
	s_cbranch_execz .LBB1044_972
.LBB1044_1024:                          ;   in Loop: Header=BB1044_956 Depth=2
	global_load_ushort v8, v118, s[16:17]
	s_or_b32 exec_lo, exec_lo, s19
	s_mov_b32 s19, exec_lo
	v_cmpx_gt_u32_e64 s5, v58
	s_cbranch_execz .LBB1044_973
.LBB1044_1025:                          ;   in Loop: Header=BB1044_956 Depth=2
	global_load_ushort v7, v119, s[16:17]
	s_or_b32 exec_lo, exec_lo, s19
	s_mov_b32 s19, exec_lo
	v_cmpx_gt_u32_e64 s5, v59
	s_cbranch_execz .LBB1044_974
.LBB1044_1026:                          ;   in Loop: Header=BB1044_956 Depth=2
	global_load_ushort v6, v120, s[16:17]
	s_or_b32 exec_lo, exec_lo, s19
	s_mov_b32 s19, exec_lo
	v_cmpx_gt_u32_e64 s5, v60
	s_cbranch_execz .LBB1044_975
.LBB1044_1027:                          ;   in Loop: Header=BB1044_956 Depth=2
	global_load_ushort v5, v121, s[16:17]
	s_or_b32 exec_lo, exec_lo, s19
	s_mov_b32 s19, exec_lo
	v_cmpx_gt_u32_e64 s5, v61
	s_cbranch_execnz .LBB1044_976
	s_branch .LBB1044_977
.LBB1044_1028:                          ;   in Loop: Header=BB1044_20 Depth=1
	v_mov_b32_e32 v3, 0
	s_waitcnt lgkmcnt(0)
	s_barrier
	buffer_gl0_inv
	s_and_saveexec_b32 s5, s8
	s_cbranch_execz .LBB1044_1030
; %bb.1029:                             ;   in Loop: Header=BB1044_20 Depth=1
	ds_read2_b64 v[5:8], v64 offset1:1
	s_waitcnt lgkmcnt(0)
	v_add_nc_u32_e32 v3, v6, v5
	v_add3_u32 v3, v3, v7, v8
.LBB1044_1030:                          ;   in Loop: Header=BB1044_20 Depth=1
	s_or_b32 exec_lo, exec_lo, s5
	v_mov_b32_dpp v5, v3 row_shr:1 row_mask:0xf bank_mask:0xf
	v_cmp_eq_u32_e64 s5, 0, v90
	v_cmp_lt_u32_e64 s16, 1, v90
	v_cmp_lt_u32_e64 s17, 3, v90
	;; [unrolled: 1-line block ×3, first 2 shown]
	v_cmp_eq_u32_e64 s19, 0, v92
	v_cndmask_b32_e64 v5, v5, 0, s5
	v_add_nc_u32_e32 v3, v5, v3
	v_mov_b32_dpp v5, v3 row_shr:2 row_mask:0xf bank_mask:0xf
	v_cndmask_b32_e64 v5, 0, v5, s16
	v_add_nc_u32_e32 v3, v3, v5
	v_mov_b32_dpp v5, v3 row_shr:4 row_mask:0xf bank_mask:0xf
	;; [unrolled: 3-line block ×3, first 2 shown]
	v_cndmask_b32_e64 v5, 0, v5, s18
	v_add_nc_u32_e32 v3, v3, v5
	ds_swizzle_b32 v5, v3 offset:swizzle(BROADCAST,32,15)
	s_waitcnt lgkmcnt(0)
	v_and_b32_e32 v5, v91, v5
	v_add_nc_u32_e32 v3, v3, v5
	s_and_saveexec_b32 s20, s9
; %bb.1031:                             ;   in Loop: Header=BB1044_20 Depth=1
	ds_write_b32 v65, v3
; %bb.1032:                             ;   in Loop: Header=BB1044_20 Depth=1
	s_or_b32 exec_lo, exec_lo, s20
	s_waitcnt lgkmcnt(0)
	s_barrier
	buffer_gl0_inv
	s_and_saveexec_b32 s20, s10
	s_cbranch_execz .LBB1044_1034
; %bb.1033:                             ;   in Loop: Header=BB1044_20 Depth=1
	ds_read_b32 v5, v66
	v_cmp_ne_u32_e32 vcc_lo, 0, v93
	s_waitcnt lgkmcnt(0)
	v_mov_b32_dpp v6, v5 row_shr:1 row_mask:0xf bank_mask:0xf
	v_cndmask_b32_e32 v6, 0, v6, vcc_lo
	v_cmp_lt_u32_e32 vcc_lo, 1, v93
	v_add_nc_u32_e32 v5, v6, v5
	v_mov_b32_dpp v6, v5 row_shr:2 row_mask:0xf bank_mask:0xf
	v_cndmask_b32_e32 v6, 0, v6, vcc_lo
	v_add_nc_u32_e32 v5, v5, v6
	ds_write_b32 v66, v5
.LBB1044_1034:                          ;   in Loop: Header=BB1044_20 Depth=1
	s_or_b32 exec_lo, exec_lo, s20
	v_mov_b32_e32 v5, 0
	s_waitcnt lgkmcnt(0)
	s_barrier
	buffer_gl0_inv
	s_and_saveexec_b32 s20, s11
; %bb.1035:                             ;   in Loop: Header=BB1044_20 Depth=1
	ds_read_b32 v5, v67
; %bb.1036:                             ;   in Loop: Header=BB1044_20 Depth=1
	s_or_b32 exec_lo, exec_lo, s20
	v_cmp_gt_i32_e32 vcc_lo, 0, v95
	s_waitcnt lgkmcnt(0)
	v_add_nc_u32_e32 v3, v5, v3
	s_barrier
	buffer_gl0_inv
	v_cndmask_b32_e32 v6, v95, v86, vcc_lo
	v_lshlrev_b32_e32 v125, 2, v6
	ds_bpermute_b32 v3, v125, v3
	s_and_saveexec_b32 s20, s8
	s_cbranch_execz .LBB1044_1038
; %bb.1037:                             ;   in Loop: Header=BB1044_20 Depth=1
	s_waitcnt lgkmcnt(0)
	v_cndmask_b32_e64 v3, v3, v5, s15
	v_add_nc_u32_e32 v3, s58, v3
	ds_write_b32 v43, v3
.LBB1044_1038:                          ;   in Loop: Header=BB1044_20 Depth=1
	s_or_b32 exec_lo, exec_lo, s20
	s_load_dwordx2 s[20:21], s[56:57], 0x0
	v_add_co_u32 v126, vcc_lo, v84, v97
	v_add_co_ci_u32_e64 v127, null, 0, v85, vcc_lo
	v_add_nc_u32_e32 v128, 0x180, v94
	v_add_nc_u32_e32 v129, 0x1a0, v94
	;; [unrolled: 1-line block ×5, first 2 shown]
	s_mov_b32 s63, s60
	s_mov_b32 s50, s58
                                        ; implicit-def: $vgpr7_vgpr8
                                        ; implicit-def: $vgpr9_vgpr10
                                        ; implicit-def: $vgpr11_vgpr12
                                        ; implicit-def: $vgpr13_vgpr14
                                        ; implicit-def: $vgpr15_vgpr16
                                        ; implicit-def: $vgpr19_vgpr20
                                        ; implicit-def: $vgpr23_vgpr24
                                        ; implicit-def: $vgpr27_vgpr28
                                        ; implicit-def: $vgpr17_vgpr18
                                        ; implicit-def: $vgpr21_vgpr22
                                        ; implicit-def: $vgpr25_vgpr26
                                        ; implicit-def: $vgpr29_vgpr30
                                        ; implicit-def: $vgpr31_vgpr32
                                        ; implicit-def: $vgpr33_vgpr34
                                        ; implicit-def: $vgpr35_vgpr36
                                        ; implicit-def: $vgpr37_vgpr38
                                        ; implicit-def: $vgpr136
                                        ; implicit-def: $vgpr137
                                        ; implicit-def: $vgpr138
                                        ; implicit-def: $vgpr139
                                        ; implicit-def: $vgpr140
                                        ; implicit-def: $vgpr141
                                        ; implicit-def: $vgpr142
                                        ; implicit-def: $vgpr143
                                        ; implicit-def: $vgpr144
                                        ; implicit-def: $vgpr145
                                        ; implicit-def: $vgpr146
                                        ; implicit-def: $vgpr147
                                        ; implicit-def: $vgpr148
                                        ; implicit-def: $vgpr149
                                        ; implicit-def: $vgpr150
                                        ; implicit-def: $vgpr152
                                        ; implicit-def: $vgpr153
                                        ; implicit-def: $vgpr151
                                        ; implicit-def: $vgpr154
	s_waitcnt lgkmcnt(0)
	s_cmp_lt_u32 s7, s21
	s_cselect_b32 s21, 14, 20
	s_add_u32 s22, s56, s21
	s_addc_u32 s23, s57, 0
	s_cmp_lt_u32 s6, s20
	global_load_ushort v3, v4, s[22:23]
	s_cselect_b32 s20, 12, 18
	s_add_u32 s20, s56, s20
	s_addc_u32 s21, s57, 0
	global_load_ushort v5, v4, s[20:21]
	v_cmp_eq_u32_e64 s20, 0, v96
	v_cmp_lt_u32_e64 s21, 1, v96
	v_cmp_lt_u32_e64 s22, 3, v96
	s_waitcnt vmcnt(1)
	v_mad_u32_u24 v3, v2, v3, v1
	s_waitcnt vmcnt(0)
	v_mad_u64_u32 v[5:6], null, v3, v5, v[0:1]
	v_lshlrev_b32_e32 v3, 1, v86
	v_add_co_u32 v133, vcc_lo, v87, v3
	v_lshrrev_b32_e32 v5, 3, v5
	v_add_co_ci_u32_e64 v134, null, 0, v88, vcc_lo
	v_and_b32_e32 v135, 0x1ffffffc, v5
                                        ; implicit-def: $vgpr5_vgpr6
	s_branch .LBB1044_1040
.LBB1044_1039:                          ;   in Loop: Header=BB1044_1040 Depth=2
	s_or_b32 exec_lo, exec_lo, s23
	s_addk_i32 s63, 0xef00
	s_cmp_lt_u32 s64, s59
	s_mov_b32 s50, s64
	s_cbranch_scc0 .LBB1044_18
.LBB1044_1040:                          ;   Parent Loop BB1044_20 Depth=1
                                        ; =>  This Inner Loop Header: Depth=2
	s_add_i32 s64, s50, 0x1100
	s_cmp_gt_u32 s64, s59
	s_cbranch_scc1 .LBB1044_1042
; %bb.1041:                             ;   in Loop: Header=BB1044_1040 Depth=2
	s_lshl_b64 s[24:25], s[50:51], 1
	s_mov_b32 s23, -1
	v_add_co_u32 v39, vcc_lo, v133, s24
	v_add_co_ci_u32_e64 v40, null, s25, v134, vcc_lo
	s_clause 0xf
	global_load_ushort v156, v[39:40], off
	global_load_ushort v157, v[39:40], off offset:64
	global_load_ushort v160, v[39:40], off offset:128
	;; [unrolled: 1-line block ×15, first 2 shown]
	s_movk_i32 s24, 0x1100
	s_cbranch_execz .LBB1044_1043
	s_branch .LBB1044_1076
.LBB1044_1042:                          ;   in Loop: Header=BB1044_1040 Depth=2
	s_mov_b32 s23, 0
                                        ; implicit-def: $vgpr156
                                        ; implicit-def: $vgpr157
                                        ; implicit-def: $vgpr160
                                        ; implicit-def: $vgpr164
                                        ; implicit-def: $vgpr169
                                        ; implicit-def: $vgpr174
                                        ; implicit-def: $vgpr179
                                        ; implicit-def: $vgpr184
                                        ; implicit-def: $vgpr189
                                        ; implicit-def: $vgpr187
                                        ; implicit-def: $vgpr182
                                        ; implicit-def: $vgpr177
                                        ; implicit-def: $vgpr173
                                        ; implicit-def: $vgpr168
                                        ; implicit-def: $vgpr42
                                        ; implicit-def: $vgpr41
	s_movk_i32 s24, 0x1100
.LBB1044_1043:                          ;   in Loop: Header=BB1044_1040 Depth=2
	s_lshl_b64 s[24:25], s[50:51], 1
	s_waitcnt vmcnt(14)
	v_mov_b32_e32 v157, 0x7fff
	v_add_co_u32 v39, vcc_lo, v133, s24
	v_add_co_ci_u32_e64 v40, null, s25, v134, vcc_lo
	v_mov_b32_e32 v156, 0x7fff
	s_mov_b32 s23, exec_lo
	v_cmpx_gt_u32_e64 s63, v94
	s_cbranch_execz .LBB1044_1045
; %bb.1044:                             ;   in Loop: Header=BB1044_1040 Depth=2
	global_load_ushort v156, v[39:40], off
.LBB1044_1045:                          ;   in Loop: Header=BB1044_1040 Depth=2
	s_or_b32 exec_lo, exec_lo, s23
	s_mov_b32 s23, exec_lo
	v_cmpx_gt_u32_e64 s63, v98
	s_cbranch_execz .LBB1044_1047
; %bb.1046:                             ;   in Loop: Header=BB1044_1040 Depth=2
	global_load_ushort v157, v[39:40], off offset:64
.LBB1044_1047:                          ;   in Loop: Header=BB1044_1040 Depth=2
	s_or_b32 exec_lo, exec_lo, s23
	s_waitcnt vmcnt(12)
	v_mov_b32_e32 v164, 0x7fff
	v_mov_b32_e32 v160, 0x7fff
	s_mov_b32 s23, exec_lo
	v_cmpx_gt_u32_e64 s63, v99
	s_cbranch_execz .LBB1044_1049
; %bb.1048:                             ;   in Loop: Header=BB1044_1040 Depth=2
	global_load_ushort v160, v[39:40], off offset:128
.LBB1044_1049:                          ;   in Loop: Header=BB1044_1040 Depth=2
	s_or_b32 exec_lo, exec_lo, s23
	s_mov_b32 s23, exec_lo
	v_cmpx_gt_u32_e64 s63, v100
	s_cbranch_execz .LBB1044_1051
; %bb.1050:                             ;   in Loop: Header=BB1044_1040 Depth=2
	global_load_ushort v164, v[39:40], off offset:192
.LBB1044_1051:                          ;   in Loop: Header=BB1044_1040 Depth=2
	s_or_b32 exec_lo, exec_lo, s23
	s_waitcnt vmcnt(10)
	v_mov_b32_e32 v174, 0x7fff
	v_mov_b32_e32 v169, 0x7fff
	s_mov_b32 s23, exec_lo
	v_cmpx_gt_u32_e64 s63, v101
	s_cbranch_execz .LBB1044_1053
; %bb.1052:                             ;   in Loop: Header=BB1044_1040 Depth=2
	global_load_ushort v169, v[39:40], off offset:256
.LBB1044_1053:                          ;   in Loop: Header=BB1044_1040 Depth=2
	;; [unrolled: 17-line block ×7, first 2 shown]
	s_or_b32 exec_lo, exec_lo, s23
	s_mov_b32 s23, exec_lo
	v_cmpx_gt_u32_e64 s63, v131
	s_cbranch_execz .LBB1044_1075
; %bb.1074:                             ;   in Loop: Header=BB1044_1040 Depth=2
	global_load_ushort v41, v[39:40], off offset:960
.LBB1044_1075:                          ;   in Loop: Header=BB1044_1040 Depth=2
	s_or_b32 exec_lo, exec_lo, s23
	v_cmp_gt_u32_e64 s23, s63, v132
	s_sub_i32 s24, s59, s50
.LBB1044_1076:                          ;   in Loop: Header=BB1044_1040 Depth=2
	v_mov_b32_e32 v3, -1
	v_mov_b32_e32 v155, s63
	s_and_saveexec_b32 s25, s23
	s_cbranch_execz .LBB1044_1078
; %bb.1077:                             ;   in Loop: Header=BB1044_1040 Depth=2
	s_lshl_b64 s[26:27], s[50:51], 1
	v_mov_b32_e32 v155, s24
	v_add_co_u32 v39, vcc_lo, v133, s26
	v_add_co_ci_u32_e64 v40, null, s27, v134, vcc_lo
	global_load_ushort v3, v[39:40], off offset:1024
	s_waitcnt vmcnt(0)
	v_xor_b32_e32 v3, 0xffff8000, v3
.LBB1044_1078:                          ;   in Loop: Header=BB1044_1040 Depth=2
	s_or_b32 exec_lo, exec_lo, s25
	s_waitcnt vmcnt(15)
	v_xor_b32_e32 v156, 0xffff8000, v156
	ds_write2_b32 v68, v4, v4 offset0:136 offset1:137
	ds_write2_b32 v68, v4, v4 offset0:138 offset1:139
	ds_write_b32 v68, v4 offset:560
	s_waitcnt vmcnt(0) lgkmcnt(0)
	s_barrier
	v_lshrrev_b32_sdwa v39, s41, v156 dst_sel:DWORD dst_unused:UNUSED_PAD src0_sel:DWORD src1_sel:WORD_0
	buffer_gl0_inv
	; wave barrier
	v_and_b32_e32 v40, s62, v39
	v_and_b32_e32 v39, 1, v40
	v_lshlrev_b32_e32 v158, 30, v40
	v_lshlrev_b32_e32 v159, 29, v40
	;; [unrolled: 1-line block ×4, first 2 shown]
	v_add_co_u32 v39, s23, v39, -1
	v_cndmask_b32_e64 v161, 0, 1, s23
	v_not_b32_e32 v166, v158
	v_cmp_gt_i32_e64 s23, 0, v158
	v_not_b32_e32 v158, v159
	v_lshlrev_b32_e32 v165, 26, v40
	v_cmp_ne_u32_e32 vcc_lo, 0, v161
	v_ashrrev_i32_e32 v166, 31, v166
	v_lshlrev_b32_e32 v161, 25, v40
	v_ashrrev_i32_e32 v158, 31, v158
	v_mul_u32_u24_e32 v40, 36, v40
	v_xor_b32_e32 v39, vcc_lo, v39
	v_cmp_gt_i32_e32 vcc_lo, 0, v159
	v_not_b32_e32 v159, v162
	v_xor_b32_e32 v166, s23, v166
	v_cmp_gt_i32_e64 s23, 0, v162
	v_and_b32_e32 v39, exec_lo, v39
	v_not_b32_e32 v162, v163
	v_ashrrev_i32_e32 v159, 31, v159
	v_xor_b32_e32 v158, vcc_lo, v158
	v_cmp_gt_i32_e32 vcc_lo, 0, v163
	v_and_b32_e32 v39, v39, v166
	v_not_b32_e32 v163, v165
	v_ashrrev_i32_e32 v162, 31, v162
	v_xor_b32_e32 v159, s23, v159
	v_cmp_gt_i32_e64 s23, 0, v165
	v_and_b32_e32 v39, v39, v158
	v_not_b32_e32 v158, v161
	v_ashrrev_i32_e32 v163, 31, v163
	v_xor_b32_e32 v162, vcc_lo, v162
	v_cmp_gt_i32_e32 vcc_lo, 0, v161
	v_and_b32_e32 v39, v39, v159
	v_ashrrev_i32_e32 v158, 31, v158
	v_xor_b32_e32 v159, s23, v163
	v_and_b32_e32 v39, v39, v162
	v_xor_b32_e32 v158, vcc_lo, v158
	v_and_b32_e32 v39, v39, v159
	v_add_nc_u32_e32 v159, v135, v40
	v_and_b32_e32 v39, v39, v158
	v_mbcnt_lo_u32_b32 v158, v39, 0
	v_cmp_ne_u32_e64 s23, 0, v39
	v_cmp_eq_u32_e32 vcc_lo, 0, v158
	s_and_b32 s24, s23, vcc_lo
	s_and_saveexec_b32 s23, s24
; %bb.1079:                             ;   in Loop: Header=BB1044_1040 Depth=2
	v_bcnt_u32_b32 v39, v39, 0
	ds_write_b32 v159, v39 offset:544
; %bb.1080:                             ;   in Loop: Header=BB1044_1040 Depth=2
	s_or_b32 exec_lo, exec_lo, s23
	v_xor_b32_e32 v157, 0xffff8000, v157
	; wave barrier
	v_lshrrev_b32_sdwa v39, s41, v157 dst_sel:DWORD dst_unused:UNUSED_PAD src0_sel:DWORD src1_sel:WORD_0
	v_and_b32_e32 v40, s62, v39
	v_and_b32_e32 v39, 1, v40
	v_lshlrev_b32_e32 v161, 30, v40
	v_lshlrev_b32_e32 v162, 29, v40
	v_lshlrev_b32_e32 v165, 28, v40
	v_lshlrev_b32_e32 v166, 27, v40
	v_add_co_u32 v39, s23, v39, -1
	v_cndmask_b32_e64 v163, 0, 1, s23
	v_not_b32_e32 v170, v161
	v_cmp_gt_i32_e64 s23, 0, v161
	v_not_b32_e32 v161, v162
	v_lshlrev_b32_e32 v167, 26, v40
	v_cmp_ne_u32_e32 vcc_lo, 0, v163
	v_ashrrev_i32_e32 v170, 31, v170
	v_lshlrev_b32_e32 v163, 25, v40
	v_ashrrev_i32_e32 v161, 31, v161
	v_xor_b32_e32 v39, vcc_lo, v39
	v_cmp_gt_i32_e32 vcc_lo, 0, v162
	v_not_b32_e32 v162, v165
	v_xor_b32_e32 v170, s23, v170
	v_cmp_gt_i32_e64 s23, 0, v165
	v_and_b32_e32 v39, exec_lo, v39
	v_not_b32_e32 v165, v166
	v_ashrrev_i32_e32 v162, 31, v162
	v_xor_b32_e32 v161, vcc_lo, v161
	v_cmp_gt_i32_e32 vcc_lo, 0, v166
	v_and_b32_e32 v39, v39, v170
	v_not_b32_e32 v166, v167
	v_ashrrev_i32_e32 v165, 31, v165
	v_xor_b32_e32 v162, s23, v162
	v_cmp_gt_i32_e64 s23, 0, v167
	v_and_b32_e32 v39, v39, v161
	v_not_b32_e32 v161, v163
	v_ashrrev_i32_e32 v166, 31, v166
	v_xor_b32_e32 v165, vcc_lo, v165
	v_cmp_gt_i32_e32 vcc_lo, 0, v163
	v_and_b32_e32 v39, v39, v162
	v_ashrrev_i32_e32 v161, 31, v161
	v_xor_b32_e32 v162, s23, v166
	v_mad_u32_u24 v163, v40, 36, v135
	v_mul_u32_u24_e32 v40, 36, v40
	v_and_b32_e32 v39, v39, v165
	v_xor_b32_e32 v165, vcc_lo, v161
	ds_read_b32 v161, v163 offset:544
	v_add_nc_u32_e32 v163, v135, v40
	v_and_b32_e32 v39, v39, v162
	; wave barrier
	v_and_b32_e32 v39, v39, v165
	v_mbcnt_lo_u32_b32 v162, v39, 0
	v_cmp_ne_u32_e64 s23, 0, v39
	v_cmp_eq_u32_e32 vcc_lo, 0, v162
	s_and_b32 s24, s23, vcc_lo
	s_and_saveexec_b32 s23, s24
	s_cbranch_execz .LBB1044_1082
; %bb.1081:                             ;   in Loop: Header=BB1044_1040 Depth=2
	s_waitcnt lgkmcnt(0)
	v_bcnt_u32_b32 v39, v39, v161
	ds_write_b32 v163, v39 offset:544
.LBB1044_1082:                          ;   in Loop: Header=BB1044_1040 Depth=2
	s_or_b32 exec_lo, exec_lo, s23
	v_xor_b32_e32 v160, 0xffff8000, v160
	; wave barrier
	v_lshrrev_b32_sdwa v39, s41, v160 dst_sel:DWORD dst_unused:UNUSED_PAD src0_sel:DWORD src1_sel:WORD_0
	v_and_b32_e32 v40, s62, v39
	v_and_b32_e32 v39, 1, v40
	v_lshlrev_b32_e32 v165, 30, v40
	v_lshlrev_b32_e32 v166, 29, v40
	v_lshlrev_b32_e32 v170, 28, v40
	v_lshlrev_b32_e32 v171, 27, v40
	v_add_co_u32 v39, s23, v39, -1
	v_cndmask_b32_e64 v167, 0, 1, s23
	v_not_b32_e32 v175, v165
	v_cmp_gt_i32_e64 s23, 0, v165
	v_not_b32_e32 v165, v166
	v_lshlrev_b32_e32 v172, 26, v40
	v_cmp_ne_u32_e32 vcc_lo, 0, v167
	v_ashrrev_i32_e32 v175, 31, v175
	v_lshlrev_b32_e32 v167, 25, v40
	v_ashrrev_i32_e32 v165, 31, v165
	v_xor_b32_e32 v39, vcc_lo, v39
	v_cmp_gt_i32_e32 vcc_lo, 0, v166
	v_not_b32_e32 v166, v170
	v_xor_b32_e32 v175, s23, v175
	v_cmp_gt_i32_e64 s23, 0, v170
	v_and_b32_e32 v39, exec_lo, v39
	v_not_b32_e32 v170, v171
	v_ashrrev_i32_e32 v166, 31, v166
	v_xor_b32_e32 v165, vcc_lo, v165
	v_cmp_gt_i32_e32 vcc_lo, 0, v171
	v_and_b32_e32 v39, v39, v175
	v_not_b32_e32 v171, v172
	v_ashrrev_i32_e32 v170, 31, v170
	v_xor_b32_e32 v166, s23, v166
	v_cmp_gt_i32_e64 s23, 0, v172
	v_and_b32_e32 v39, v39, v165
	v_not_b32_e32 v165, v167
	v_ashrrev_i32_e32 v171, 31, v171
	v_xor_b32_e32 v170, vcc_lo, v170
	v_cmp_gt_i32_e32 vcc_lo, 0, v167
	v_and_b32_e32 v39, v39, v166
	v_ashrrev_i32_e32 v165, 31, v165
	v_xor_b32_e32 v166, s23, v171
	v_mad_u32_u24 v167, v40, 36, v135
	v_mul_u32_u24_e32 v40, 36, v40
	v_and_b32_e32 v39, v39, v170
	v_xor_b32_e32 v170, vcc_lo, v165
	ds_read_b32 v165, v167 offset:544
	v_add_nc_u32_e32 v167, v135, v40
	v_and_b32_e32 v39, v39, v166
	; wave barrier
	v_and_b32_e32 v39, v39, v170
	v_mbcnt_lo_u32_b32 v166, v39, 0
	v_cmp_ne_u32_e64 s23, 0, v39
	v_cmp_eq_u32_e32 vcc_lo, 0, v166
	s_and_b32 s24, s23, vcc_lo
	s_and_saveexec_b32 s23, s24
	s_cbranch_execz .LBB1044_1084
; %bb.1083:                             ;   in Loop: Header=BB1044_1040 Depth=2
	s_waitcnt lgkmcnt(0)
	v_bcnt_u32_b32 v39, v39, v165
	ds_write_b32 v167, v39 offset:544
.LBB1044_1084:                          ;   in Loop: Header=BB1044_1040 Depth=2
	;; [unrolled: 63-line block ×9, first 2 shown]
	s_or_b32 exec_lo, exec_lo, s23
	v_xor_b32_e32 v182, 0xffff8000, v182
	; wave barrier
	v_lshrrev_b32_sdwa v39, s41, v182 dst_sel:DWORD dst_unused:UNUSED_PAD src0_sel:DWORD src1_sel:WORD_0
	v_and_b32_e32 v40, s62, v39
	v_and_b32_e32 v39, 1, v40
	v_lshlrev_b32_e32 v199, 30, v40
	v_lshlrev_b32_e32 v200, 29, v40
	;; [unrolled: 1-line block ×4, first 2 shown]
	v_add_co_u32 v39, s23, v39, -1
	v_cndmask_b32_e64 v201, 0, 1, s23
	v_not_b32_e32 v205, v199
	v_cmp_gt_i32_e64 s23, 0, v199
	v_not_b32_e32 v199, v200
	v_lshlrev_b32_e32 v204, 26, v40
	v_cmp_ne_u32_e32 vcc_lo, 0, v201
	v_ashrrev_i32_e32 v205, 31, v205
	v_lshlrev_b32_e32 v201, 25, v40
	v_ashrrev_i32_e32 v199, 31, v199
	v_xor_b32_e32 v39, vcc_lo, v39
	v_cmp_gt_i32_e32 vcc_lo, 0, v200
	v_not_b32_e32 v200, v202
	v_xor_b32_e32 v205, s23, v205
	v_cmp_gt_i32_e64 s23, 0, v202
	v_and_b32_e32 v39, exec_lo, v39
	v_not_b32_e32 v202, v203
	v_ashrrev_i32_e32 v200, 31, v200
	v_xor_b32_e32 v199, vcc_lo, v199
	v_cmp_gt_i32_e32 vcc_lo, 0, v203
	v_and_b32_e32 v39, v39, v205
	v_not_b32_e32 v203, v204
	v_ashrrev_i32_e32 v202, 31, v202
	v_xor_b32_e32 v200, s23, v200
	v_cmp_gt_i32_e64 s23, 0, v204
	v_and_b32_e32 v39, v39, v199
	v_not_b32_e32 v199, v201
	v_ashrrev_i32_e32 v203, 31, v203
	v_xor_b32_e32 v202, vcc_lo, v202
	v_cmp_gt_i32_e32 vcc_lo, 0, v201
	v_and_b32_e32 v39, v39, v200
	v_ashrrev_i32_e32 v199, 31, v199
	v_xor_b32_e32 v200, s23, v203
	v_mad_u32_u24 v201, v40, 36, v135
	v_mul_u32_u24_e32 v40, 36, v40
	v_and_b32_e32 v39, v39, v202
	v_xor_b32_e32 v199, vcc_lo, v199
	v_add_nc_u32_e32 v202, v135, v40
	v_and_b32_e32 v39, v39, v200
	ds_read_b32 v200, v201 offset:544
	; wave barrier
	v_and_b32_e32 v39, v39, v199
	v_mbcnt_lo_u32_b32 v201, v39, 0
	v_cmp_ne_u32_e64 s23, 0, v39
	v_cmp_eq_u32_e32 vcc_lo, 0, v201
	s_and_b32 s24, s23, vcc_lo
	s_and_saveexec_b32 s23, s24
	s_cbranch_execz .LBB1044_1100
; %bb.1099:                             ;   in Loop: Header=BB1044_1040 Depth=2
	s_waitcnt lgkmcnt(0)
	v_bcnt_u32_b32 v39, v39, v200
	ds_write_b32 v202, v39 offset:544
.LBB1044_1100:                          ;   in Loop: Header=BB1044_1040 Depth=2
	s_or_b32 exec_lo, exec_lo, s23
	v_xor_b32_e32 v199, 0xffff8000, v177
	; wave barrier
	v_lshrrev_b32_sdwa v39, s41, v199 dst_sel:DWORD dst_unused:UNUSED_PAD src0_sel:DWORD src1_sel:WORD_0
	v_and_b32_e32 v40, s62, v39
	v_and_b32_e32 v39, 1, v40
	v_lshlrev_b32_e32 v177, 30, v40
	v_lshlrev_b32_e32 v203, 29, v40
	v_lshlrev_b32_e32 v205, 28, v40
	v_lshlrev_b32_e32 v206, 27, v40
	v_add_co_u32 v39, s23, v39, -1
	v_cndmask_b32_e64 v204, 0, 1, s23
	v_not_b32_e32 v208, v177
	v_cmp_gt_i32_e64 s23, 0, v177
	v_not_b32_e32 v177, v203
	v_lshlrev_b32_e32 v207, 26, v40
	v_cmp_ne_u32_e32 vcc_lo, 0, v204
	v_ashrrev_i32_e32 v208, 31, v208
	v_lshlrev_b32_e32 v204, 25, v40
	v_ashrrev_i32_e32 v177, 31, v177
	v_xor_b32_e32 v39, vcc_lo, v39
	v_cmp_gt_i32_e32 vcc_lo, 0, v203
	v_not_b32_e32 v203, v205
	v_xor_b32_e32 v208, s23, v208
	v_cmp_gt_i32_e64 s23, 0, v205
	v_and_b32_e32 v39, exec_lo, v39
	v_not_b32_e32 v205, v206
	v_ashrrev_i32_e32 v203, 31, v203
	v_xor_b32_e32 v177, vcc_lo, v177
	v_cmp_gt_i32_e32 vcc_lo, 0, v206
	v_and_b32_e32 v39, v39, v208
	v_not_b32_e32 v206, v207
	v_ashrrev_i32_e32 v205, 31, v205
	v_xor_b32_e32 v203, s23, v203
	v_cmp_gt_i32_e64 s23, 0, v207
	v_and_b32_e32 v39, v39, v177
	v_not_b32_e32 v177, v204
	v_ashrrev_i32_e32 v206, 31, v206
	v_xor_b32_e32 v205, vcc_lo, v205
	v_cmp_gt_i32_e32 vcc_lo, 0, v204
	v_and_b32_e32 v39, v39, v203
	v_ashrrev_i32_e32 v177, 31, v177
	v_xor_b32_e32 v203, s23, v206
	v_mad_u32_u24 v204, v40, 36, v135
	v_mul_u32_u24_e32 v40, 36, v40
	v_and_b32_e32 v39, v39, v205
	v_xor_b32_e32 v177, vcc_lo, v177
	ds_read_b32 v204, v204 offset:544
	v_and_b32_e32 v39, v39, v203
	; wave barrier
	v_and_b32_e32 v39, v39, v177
	v_add_nc_u32_e32 v177, v135, v40
	v_mbcnt_lo_u32_b32 v205, v39, 0
	v_cmp_ne_u32_e64 s23, 0, v39
	v_cmp_eq_u32_e32 vcc_lo, 0, v205
	s_and_b32 s24, s23, vcc_lo
	s_and_saveexec_b32 s23, s24
	s_cbranch_execz .LBB1044_1102
; %bb.1101:                             ;   in Loop: Header=BB1044_1040 Depth=2
	s_waitcnt lgkmcnt(0)
	v_bcnt_u32_b32 v39, v39, v204
	ds_write_b32 v177, v39 offset:544
.LBB1044_1102:                          ;   in Loop: Header=BB1044_1040 Depth=2
	s_or_b32 exec_lo, exec_lo, s23
	v_xor_b32_e32 v203, 0xffff8000, v173
	; wave barrier
	v_lshrrev_b32_sdwa v39, s41, v203 dst_sel:DWORD dst_unused:UNUSED_PAD src0_sel:DWORD src1_sel:WORD_0
	v_and_b32_e32 v40, s62, v39
	v_and_b32_e32 v39, 1, v40
	v_lshlrev_b32_e32 v173, 30, v40
	v_lshlrev_b32_e32 v206, 29, v40
	v_lshlrev_b32_e32 v208, 28, v40
	v_lshlrev_b32_e32 v209, 27, v40
	v_add_co_u32 v39, s23, v39, -1
	v_cndmask_b32_e64 v207, 0, 1, s23
	v_not_b32_e32 v211, v173
	v_cmp_gt_i32_e64 s23, 0, v173
	v_not_b32_e32 v173, v206
	v_lshlrev_b32_e32 v210, 26, v40
	v_cmp_ne_u32_e32 vcc_lo, 0, v207
	v_ashrrev_i32_e32 v211, 31, v211
	v_lshlrev_b32_e32 v207, 25, v40
	v_ashrrev_i32_e32 v173, 31, v173
	v_xor_b32_e32 v39, vcc_lo, v39
	v_cmp_gt_i32_e32 vcc_lo, 0, v206
	v_not_b32_e32 v206, v208
	v_xor_b32_e32 v211, s23, v211
	v_cmp_gt_i32_e64 s23, 0, v208
	v_and_b32_e32 v39, exec_lo, v39
	v_not_b32_e32 v208, v209
	v_ashrrev_i32_e32 v206, 31, v206
	v_xor_b32_e32 v173, vcc_lo, v173
	v_cmp_gt_i32_e32 vcc_lo, 0, v209
	v_and_b32_e32 v39, v39, v211
	v_not_b32_e32 v209, v210
	v_ashrrev_i32_e32 v208, 31, v208
	v_xor_b32_e32 v206, s23, v206
	v_cmp_gt_i32_e64 s23, 0, v210
	v_and_b32_e32 v39, v39, v173
	v_not_b32_e32 v173, v207
	v_ashrrev_i32_e32 v209, 31, v209
	v_xor_b32_e32 v208, vcc_lo, v208
	v_cmp_gt_i32_e32 vcc_lo, 0, v207
	v_and_b32_e32 v39, v39, v206
	v_ashrrev_i32_e32 v173, 31, v173
	v_xor_b32_e32 v206, s23, v209
	v_mad_u32_u24 v207, v40, 36, v135
	v_mul_u32_u24_e32 v40, 36, v40
	v_and_b32_e32 v39, v39, v208
	v_xor_b32_e32 v173, vcc_lo, v173
	ds_read_b32 v207, v207 offset:544
	v_and_b32_e32 v39, v39, v206
	; wave barrier
	v_and_b32_e32 v39, v39, v173
	v_add_nc_u32_e32 v173, v135, v40
	;; [unrolled: 63-line block ×3, first 2 shown]
	v_mbcnt_lo_u32_b32 v211, v39, 0
	v_cmp_ne_u32_e64 s23, 0, v39
	v_cmp_eq_u32_e32 vcc_lo, 0, v211
	s_and_b32 s24, s23, vcc_lo
	s_and_saveexec_b32 s23, s24
	s_cbranch_execz .LBB1044_1106
; %bb.1105:                             ;   in Loop: Header=BB1044_1040 Depth=2
	s_waitcnt lgkmcnt(0)
	v_bcnt_u32_b32 v39, v39, v210
	ds_write_b32 v168, v39 offset:544
.LBB1044_1106:                          ;   in Loop: Header=BB1044_1040 Depth=2
	s_or_b32 exec_lo, exec_lo, s23
	v_xor_b32_e32 v209, 0xffff8000, v42
	; wave barrier
	v_lshrrev_b32_sdwa v39, s41, v209 dst_sel:DWORD dst_unused:UNUSED_PAD src0_sel:DWORD src1_sel:WORD_0
	v_and_b32_e32 v40, s62, v39
	v_and_b32_e32 v39, 1, v40
	v_lshlrev_b32_e32 v42, 30, v40
	v_lshlrev_b32_e32 v212, 29, v40
	;; [unrolled: 1-line block ×4, first 2 shown]
	v_add_co_u32 v39, s23, v39, -1
	v_cndmask_b32_e64 v213, 0, 1, s23
	v_not_b32_e32 v217, v42
	v_cmp_gt_i32_e64 s23, 0, v42
	v_not_b32_e32 v42, v212
	v_lshlrev_b32_e32 v216, 26, v40
	v_cmp_ne_u32_e32 vcc_lo, 0, v213
	v_ashrrev_i32_e32 v217, 31, v217
	v_lshlrev_b32_e32 v213, 25, v40
	v_ashrrev_i32_e32 v42, 31, v42
	v_xor_b32_e32 v39, vcc_lo, v39
	v_cmp_gt_i32_e32 vcc_lo, 0, v212
	v_not_b32_e32 v212, v214
	v_xor_b32_e32 v217, s23, v217
	v_cmp_gt_i32_e64 s23, 0, v214
	v_and_b32_e32 v39, exec_lo, v39
	v_not_b32_e32 v214, v215
	v_ashrrev_i32_e32 v212, 31, v212
	v_xor_b32_e32 v42, vcc_lo, v42
	v_cmp_gt_i32_e32 vcc_lo, 0, v215
	v_and_b32_e32 v39, v39, v217
	v_not_b32_e32 v215, v216
	v_ashrrev_i32_e32 v214, 31, v214
	v_xor_b32_e32 v212, s23, v212
	v_cmp_gt_i32_e64 s23, 0, v216
	v_and_b32_e32 v39, v39, v42
	v_not_b32_e32 v42, v213
	v_ashrrev_i32_e32 v215, 31, v215
	v_xor_b32_e32 v214, vcc_lo, v214
	v_cmp_gt_i32_e32 vcc_lo, 0, v213
	v_and_b32_e32 v39, v39, v212
	v_ashrrev_i32_e32 v42, 31, v42
	v_xor_b32_e32 v212, s23, v215
	v_mad_u32_u24 v213, v40, 36, v135
	v_mul_u32_u24_e32 v40, 36, v40
	v_and_b32_e32 v39, v39, v214
	v_xor_b32_e32 v42, vcc_lo, v42
	ds_read_b32 v213, v213 offset:544
	v_add_nc_u32_e32 v215, v135, v40
	v_and_b32_e32 v39, v39, v212
	; wave barrier
	v_and_b32_e32 v39, v39, v42
	v_mbcnt_lo_u32_b32 v214, v39, 0
	v_cmp_ne_u32_e64 s23, 0, v39
	v_cmp_eq_u32_e32 vcc_lo, 0, v214
	s_and_b32 s24, s23, vcc_lo
	s_and_saveexec_b32 s23, s24
	s_cbranch_execz .LBB1044_1108
; %bb.1107:                             ;   in Loop: Header=BB1044_1040 Depth=2
	s_waitcnt lgkmcnt(0)
	v_bcnt_u32_b32 v39, v39, v213
	ds_write_b32 v215, v39 offset:544
.LBB1044_1108:                          ;   in Loop: Header=BB1044_1040 Depth=2
	s_or_b32 exec_lo, exec_lo, s23
	v_xor_b32_e32 v212, 0xffff8000, v41
	; wave barrier
	v_lshrrev_b32_sdwa v39, s41, v212 dst_sel:DWORD dst_unused:UNUSED_PAD src0_sel:DWORD src1_sel:WORD_0
	v_and_b32_e32 v40, s62, v39
	v_and_b32_e32 v39, 1, v40
	v_lshlrev_b32_e32 v41, 30, v40
	v_lshlrev_b32_e32 v42, 29, v40
	;; [unrolled: 1-line block ×4, first 2 shown]
	v_add_co_u32 v39, s23, v39, -1
	v_cndmask_b32_e64 v216, 0, 1, s23
	v_not_b32_e32 v220, v41
	v_cmp_gt_i32_e64 s23, 0, v41
	v_not_b32_e32 v41, v42
	v_lshlrev_b32_e32 v219, 26, v40
	v_cmp_ne_u32_e32 vcc_lo, 0, v216
	v_ashrrev_i32_e32 v220, 31, v220
	v_lshlrev_b32_e32 v216, 25, v40
	v_ashrrev_i32_e32 v41, 31, v41
	v_xor_b32_e32 v39, vcc_lo, v39
	v_cmp_gt_i32_e32 vcc_lo, 0, v42
	v_not_b32_e32 v42, v217
	v_xor_b32_e32 v220, s23, v220
	v_cmp_gt_i32_e64 s23, 0, v217
	v_and_b32_e32 v39, exec_lo, v39
	v_not_b32_e32 v217, v218
	v_ashrrev_i32_e32 v42, 31, v42
	v_xor_b32_e32 v41, vcc_lo, v41
	v_cmp_gt_i32_e32 vcc_lo, 0, v218
	v_and_b32_e32 v39, v39, v220
	v_not_b32_e32 v218, v219
	v_ashrrev_i32_e32 v217, 31, v217
	v_xor_b32_e32 v42, s23, v42
	v_cmp_gt_i32_e64 s23, 0, v219
	v_and_b32_e32 v39, v39, v41
	v_not_b32_e32 v41, v216
	v_ashrrev_i32_e32 v218, 31, v218
	v_xor_b32_e32 v217, vcc_lo, v217
	v_cmp_gt_i32_e32 vcc_lo, 0, v216
	v_and_b32_e32 v39, v39, v42
	v_ashrrev_i32_e32 v41, 31, v41
	v_xor_b32_e32 v42, s23, v218
	v_mad_u32_u24 v216, v40, 36, v135
	v_mul_u32_u24_e32 v40, 36, v40
	v_and_b32_e32 v39, v39, v217
	v_xor_b32_e32 v41, vcc_lo, v41
	ds_read_b32 v216, v216 offset:544
	v_add_nc_u32_e32 v218, v135, v40
	v_and_b32_e32 v39, v39, v42
	; wave barrier
	v_and_b32_e32 v39, v39, v41
	v_mbcnt_lo_u32_b32 v217, v39, 0
	v_cmp_ne_u32_e64 s23, 0, v39
	v_cmp_eq_u32_e32 vcc_lo, 0, v217
	s_and_b32 s24, s23, vcc_lo
	s_and_saveexec_b32 s23, s24
	s_cbranch_execz .LBB1044_1110
; %bb.1109:                             ;   in Loop: Header=BB1044_1040 Depth=2
	s_waitcnt lgkmcnt(0)
	v_bcnt_u32_b32 v39, v39, v216
	ds_write_b32 v218, v39 offset:544
.LBB1044_1110:                          ;   in Loop: Header=BB1044_1040 Depth=2
	s_or_b32 exec_lo, exec_lo, s23
	v_lshrrev_b32_sdwa v39, s41, v3 dst_sel:DWORD dst_unused:UNUSED_PAD src0_sel:DWORD src1_sel:WORD_0
	; wave barrier
	v_and_b32_e32 v40, s62, v39
	v_and_b32_e32 v39, 1, v40
	v_lshlrev_b32_e32 v41, 30, v40
	v_lshlrev_b32_e32 v42, 29, v40
	;; [unrolled: 1-line block ×4, first 2 shown]
	v_add_co_u32 v39, s23, v39, -1
	v_cndmask_b32_e64 v219, 0, 1, s23
	v_not_b32_e32 v223, v41
	v_cmp_gt_i32_e64 s23, 0, v41
	v_not_b32_e32 v41, v42
	v_lshlrev_b32_e32 v222, 26, v40
	v_cmp_ne_u32_e32 vcc_lo, 0, v219
	v_ashrrev_i32_e32 v223, 31, v223
	v_lshlrev_b32_e32 v219, 25, v40
	v_ashrrev_i32_e32 v41, 31, v41
	v_xor_b32_e32 v39, vcc_lo, v39
	v_cmp_gt_i32_e32 vcc_lo, 0, v42
	v_not_b32_e32 v42, v220
	v_xor_b32_e32 v223, s23, v223
	v_cmp_gt_i32_e64 s23, 0, v220
	v_and_b32_e32 v39, exec_lo, v39
	v_not_b32_e32 v220, v221
	v_ashrrev_i32_e32 v42, 31, v42
	v_xor_b32_e32 v41, vcc_lo, v41
	v_cmp_gt_i32_e32 vcc_lo, 0, v221
	v_and_b32_e32 v39, v39, v223
	v_not_b32_e32 v221, v222
	v_ashrrev_i32_e32 v220, 31, v220
	v_xor_b32_e32 v42, s23, v42
	v_cmp_gt_i32_e64 s23, 0, v222
	v_and_b32_e32 v39, v39, v41
	v_not_b32_e32 v41, v219
	v_ashrrev_i32_e32 v221, 31, v221
	v_xor_b32_e32 v220, vcc_lo, v220
	v_cmp_gt_i32_e32 vcc_lo, 0, v219
	v_and_b32_e32 v39, v39, v42
	v_ashrrev_i32_e32 v41, 31, v41
	v_xor_b32_e32 v42, s23, v221
	v_mad_u32_u24 v219, v40, 36, v135
	v_mul_u32_u24_e32 v40, 36, v40
	v_and_b32_e32 v39, v39, v220
	v_xor_b32_e32 v41, vcc_lo, v41
	ds_read_b32 v219, v219 offset:544
	v_add_nc_u32_e32 v221, v135, v40
	v_and_b32_e32 v39, v39, v42
	; wave barrier
	v_and_b32_e32 v39, v39, v41
	v_mbcnt_lo_u32_b32 v220, v39, 0
	v_cmp_ne_u32_e64 s23, 0, v39
	v_cmp_eq_u32_e32 vcc_lo, 0, v220
	s_and_b32 s24, s23, vcc_lo
	s_and_saveexec_b32 s23, s24
	s_cbranch_execz .LBB1044_1112
; %bb.1111:                             ;   in Loop: Header=BB1044_1040 Depth=2
	s_waitcnt lgkmcnt(0)
	v_bcnt_u32_b32 v39, v39, v219
	ds_write_b32 v221, v39 offset:544
.LBB1044_1112:                          ;   in Loop: Header=BB1044_1040 Depth=2
	s_or_b32 exec_lo, exec_lo, s23
	; wave barrier
	s_waitcnt lgkmcnt(0)
	s_barrier
	buffer_gl0_inv
	ds_read2_b32 v[41:42], v68 offset0:136 offset1:137
	ds_read2_b32 v[39:40], v68 offset0:138 offset1:139
	ds_read_b32 v222, v68 offset:560
	s_waitcnt lgkmcnt(1)
	v_add3_u32 v223, v42, v41, v39
	s_waitcnt lgkmcnt(0)
	v_add3_u32 v222, v223, v40, v222
	v_mov_b32_dpp v223, v222 row_shr:1 row_mask:0xf bank_mask:0xf
	v_cndmask_b32_e64 v223, v223, 0, s5
	v_add_nc_u32_e32 v222, v223, v222
	v_mov_b32_dpp v223, v222 row_shr:2 row_mask:0xf bank_mask:0xf
	v_cndmask_b32_e64 v223, 0, v223, s16
	v_add_nc_u32_e32 v222, v222, v223
	;; [unrolled: 3-line block ×4, first 2 shown]
	ds_swizzle_b32 v223, v222 offset:swizzle(BROADCAST,32,15)
	s_waitcnt lgkmcnt(0)
	v_cndmask_b32_e64 v223, v223, 0, s19
	v_add_nc_u32_e32 v222, v222, v223
	s_and_saveexec_b32 s23, s4
; %bb.1113:                             ;   in Loop: Header=BB1044_1040 Depth=2
	ds_write_b32 v62, v222 offset:512
; %bb.1114:                             ;   in Loop: Header=BB1044_1040 Depth=2
	s_or_b32 exec_lo, exec_lo, s23
	s_waitcnt lgkmcnt(0)
	s_barrier
	buffer_gl0_inv
	s_and_saveexec_b32 s23, s12
	s_cbranch_execz .LBB1044_1116
; %bb.1115:                             ;   in Loop: Header=BB1044_1040 Depth=2
	ds_read_b32 v223, v69 offset:512
	s_waitcnt lgkmcnt(0)
	v_mov_b32_dpp v224, v223 row_shr:1 row_mask:0xf bank_mask:0xf
	v_cndmask_b32_e64 v224, v224, 0, s20
	v_add_nc_u32_e32 v223, v224, v223
	v_mov_b32_dpp v224, v223 row_shr:2 row_mask:0xf bank_mask:0xf
	v_cndmask_b32_e64 v224, 0, v224, s21
	v_add_nc_u32_e32 v223, v223, v224
	;; [unrolled: 3-line block ×3, first 2 shown]
	ds_write_b32 v69, v223 offset:512
.LBB1044_1116:                          ;   in Loop: Header=BB1044_1040 Depth=2
	s_or_b32 exec_lo, exec_lo, s23
	v_mov_b32_e32 v223, 0
	s_waitcnt lgkmcnt(0)
	s_barrier
	buffer_gl0_inv
	s_and_saveexec_b32 s23, s11
; %bb.1117:                             ;   in Loop: Header=BB1044_1040 Depth=2
	ds_read_b32 v223, v62 offset:508
; %bb.1118:                             ;   in Loop: Header=BB1044_1040 Depth=2
	s_or_b32 exec_lo, exec_lo, s23
	s_waitcnt lgkmcnt(0)
	v_add_nc_u32_e32 v222, v223, v222
	ds_bpermute_b32 v222, v125, v222
	s_waitcnt lgkmcnt(0)
	v_cndmask_b32_e64 v222, v222, v223, s15
	v_cndmask_b32_e64 v222, v222, 0, s13
	v_add_nc_u32_e32 v41, v222, v41
	v_add_nc_u32_e32 v42, v41, v42
	;; [unrolled: 1-line block ×4, first 2 shown]
	ds_write2_b32 v68, v222, v41 offset0:136 offset1:137
	ds_write2_b32 v68, v42, v39 offset0:138 offset1:139
	ds_write_b32 v68, v40 offset:560
	s_waitcnt lgkmcnt(0)
	s_barrier
	buffer_gl0_inv
	ds_read_b32 v41, v159 offset:544
	ds_read_b32 v42, v163 offset:544
	;; [unrolled: 1-line block ×17, first 2 shown]
	s_and_saveexec_b32 s23, s8
	s_cbranch_execz .LBB1044_1122
; %bb.1119:                             ;   in Loop: Header=BB1044_1040 Depth=2
	ds_read_b32 v151, v71 offset:544
	v_mov_b32_e32 v154, 0x1100
	s_and_saveexec_b32 s24, s14
; %bb.1120:                             ;   in Loop: Header=BB1044_1040 Depth=2
	ds_read_b32 v154, v70 offset:544
; %bb.1121:                             ;   in Loop: Header=BB1044_1040 Depth=2
	s_or_b32 exec_lo, exec_lo, s24
	s_waitcnt lgkmcnt(0)
	v_sub_nc_u32_e32 v154, v154, v151
.LBB1044_1122:                          ;   in Loop: Header=BB1044_1040 Depth=2
	s_or_b32 exec_lo, exec_lo, s23
	s_waitcnt lgkmcnt(0)
	s_barrier
	buffer_gl0_inv
	s_and_saveexec_b32 s23, s8
	s_cbranch_execz .LBB1044_1124
; %bb.1123:                             ;   in Loop: Header=BB1044_1040 Depth=2
	ds_read_b32 v168, v43
	s_waitcnt lgkmcnt(0)
	v_sub_nc_u32_e32 v168, v168, v151
	ds_write_b32 v43, v168
.LBB1044_1124:                          ;   in Loop: Header=BB1044_1040 Depth=2
	s_or_b32 exec_lo, exec_lo, s23
	v_add_nc_u32_e32 v178, v41, v158
	v_add3_u32 v177, v162, v161, v42
	v_add3_u32 v173, v166, v165, v163
	;; [unrolled: 1-line block ×5, first 2 shown]
	v_lshlrev_b32_e32 v175, 1, v178
	v_lshlrev_b32_e32 v176, 1, v177
	v_add3_u32 v161, v217, v216, v39
	v_lshlrev_b32_e32 v39, 1, v173
	v_add3_u32 v170, v181, v180, v183
	v_add3_u32 v167, v191, v190, v192
	;; [unrolled: 1-line block ×4, first 2 shown]
	ds_write_b16 v175, v156 offset:512
	ds_write_b16 v176, v157 offset:512
	v_lshlrev_b32_e32 v40, 1, v172
	ds_write_b16 v39, v160 offset:512
	v_lshlrev_b32_e32 v39, 1, v168
	v_add3_u32 v165, v197, v196, v198
	v_lshlrev_b32_e32 v156, 1, v171
	v_add3_u32 v163, v201, v200, v202
	;; [unrolled: 2-line block ×3, first 2 shown]
	v_add3_u32 v42, v208, v207, v224
	ds_write_b16 v40, v164 offset:512
	ds_write_b16 v156, v169 offset:512
	;; [unrolled: 1-line block ×3, first 2 shown]
	v_lshlrev_b32_e32 v40, 1, v167
	ds_write_b16 v39, v179 offset:512
	v_lshlrev_b32_e32 v39, 1, v166
	v_lshlrev_b32_e32 v156, 1, v165
	;; [unrolled: 1-line block ×3, first 2 shown]
	v_add3_u32 v41, v211, v210, v225
	ds_write_b16 v40, v184 offset:512
	v_lshlrev_b32_e32 v40, 1, v162
	ds_write_b16 v39, v189 offset:512
	ds_write_b16 v156, v187 offset:512
	;; [unrolled: 1-line block ×3, first 2 shown]
	v_lshlrev_b32_e32 v39, 1, v42
	v_add3_u32 v159, v214, v213, v159
	v_cmp_lt_u32_e32 vcc_lo, v0, v155
	ds_write_b16 v40, v199 offset:512
	v_lshlrev_b32_e32 v40, 1, v41
	ds_write_b16 v39, v203 offset:512
	v_lshlrev_b32_e32 v39, 1, v158
	v_lshlrev_b32_e32 v156, 1, v159
	;; [unrolled: 1-line block ×3, first 2 shown]
	ds_write_b16 v40, v206 offset:512
	ds_write_b16 v156, v209 offset:512
	;; [unrolled: 1-line block ×4, first 2 shown]
	s_waitcnt lgkmcnt(0)
	s_barrier
	buffer_gl0_inv
	s_and_saveexec_b32 s24, vcc_lo
	s_cbranch_execnz .LBB1044_1197
; %bb.1125:                             ;   in Loop: Header=BB1044_1040 Depth=2
	s_or_b32 exec_lo, exec_lo, s24
	v_cmp_lt_u32_e64 s23, v44, v155
	s_and_saveexec_b32 s25, s23
	s_cbranch_execnz .LBB1044_1198
.LBB1044_1126:                          ;   in Loop: Header=BB1044_1040 Depth=2
	s_or_b32 exec_lo, exec_lo, s25
	v_cmp_lt_u32_e64 s24, v47, v155
	s_and_saveexec_b32 s26, s24
	s_cbranch_execnz .LBB1044_1199
.LBB1044_1127:                          ;   in Loop: Header=BB1044_1040 Depth=2
	s_or_b32 exec_lo, exec_lo, s26
	v_cmp_lt_u32_e64 s25, v48, v155
	s_and_saveexec_b32 s27, s25
	s_cbranch_execnz .LBB1044_1200
.LBB1044_1128:                          ;   in Loop: Header=BB1044_1040 Depth=2
	s_or_b32 exec_lo, exec_lo, s27
	v_cmp_lt_u32_e64 s26, v49, v155
	s_and_saveexec_b32 s28, s26
	s_cbranch_execnz .LBB1044_1201
.LBB1044_1129:                          ;   in Loop: Header=BB1044_1040 Depth=2
	s_or_b32 exec_lo, exec_lo, s28
	v_cmp_lt_u32_e64 s27, v50, v155
	s_and_saveexec_b32 s29, s27
	s_cbranch_execnz .LBB1044_1202
.LBB1044_1130:                          ;   in Loop: Header=BB1044_1040 Depth=2
	s_or_b32 exec_lo, exec_lo, s29
	v_cmp_lt_u32_e64 s28, v51, v155
	s_and_saveexec_b32 s30, s28
	s_cbranch_execnz .LBB1044_1203
.LBB1044_1131:                          ;   in Loop: Header=BB1044_1040 Depth=2
	s_or_b32 exec_lo, exec_lo, s30
	v_cmp_lt_u32_e64 s29, v52, v155
	s_and_saveexec_b32 s31, s29
	s_cbranch_execnz .LBB1044_1204
.LBB1044_1132:                          ;   in Loop: Header=BB1044_1040 Depth=2
	s_or_b32 exec_lo, exec_lo, s31
	v_cmp_lt_u32_e64 s30, v53, v155
	s_and_saveexec_b32 s33, s30
	s_cbranch_execnz .LBB1044_1205
.LBB1044_1133:                          ;   in Loop: Header=BB1044_1040 Depth=2
	s_or_b32 exec_lo, exec_lo, s33
	v_cmp_lt_u32_e64 s31, v54, v155
	s_and_saveexec_b32 s34, s31
	s_cbranch_execnz .LBB1044_1206
.LBB1044_1134:                          ;   in Loop: Header=BB1044_1040 Depth=2
	s_or_b32 exec_lo, exec_lo, s34
	v_cmp_lt_u32_e64 s33, v55, v155
	s_and_saveexec_b32 s35, s33
	s_cbranch_execnz .LBB1044_1207
.LBB1044_1135:                          ;   in Loop: Header=BB1044_1040 Depth=2
	s_or_b32 exec_lo, exec_lo, s35
	v_cmp_lt_u32_e64 s34, v56, v155
	s_and_saveexec_b32 s36, s34
	s_cbranch_execnz .LBB1044_1208
.LBB1044_1136:                          ;   in Loop: Header=BB1044_1040 Depth=2
	s_or_b32 exec_lo, exec_lo, s36
	v_cmp_lt_u32_e64 s35, v57, v155
	s_and_saveexec_b32 s37, s35
	s_cbranch_execnz .LBB1044_1209
.LBB1044_1137:                          ;   in Loop: Header=BB1044_1040 Depth=2
	s_or_b32 exec_lo, exec_lo, s37
	v_cmp_lt_u32_e64 s36, v58, v155
	s_and_saveexec_b32 s38, s36
	s_cbranch_execnz .LBB1044_1210
.LBB1044_1138:                          ;   in Loop: Header=BB1044_1040 Depth=2
	s_or_b32 exec_lo, exec_lo, s38
	v_cmp_lt_u32_e64 s37, v59, v155
	s_and_saveexec_b32 s39, s37
	s_cbranch_execnz .LBB1044_1211
.LBB1044_1139:                          ;   in Loop: Header=BB1044_1040 Depth=2
	s_or_b32 exec_lo, exec_lo, s39
	v_cmp_lt_u32_e64 s38, v60, v155
	s_and_saveexec_b32 s40, s38
	s_cbranch_execnz .LBB1044_1212
.LBB1044_1140:                          ;   in Loop: Header=BB1044_1040 Depth=2
	s_or_b32 exec_lo, exec_lo, s40
	v_cmp_lt_u32_e64 s39, v61, v155
	s_and_saveexec_b32 s65, s39
	s_cbranch_execz .LBB1044_1142
.LBB1044_1141:                          ;   in Loop: Header=BB1044_1040 Depth=2
	ds_read_u16 v156, v74 offset:8704
	s_waitcnt lgkmcnt(0)
	v_lshrrev_b32_sdwa v3, s41, v156 dst_sel:DWORD dst_unused:UNUSED_PAD src0_sel:DWORD src1_sel:WORD_0
	v_and_b32_e32 v3, s62, v3
	v_lshlrev_b32_e32 v3, 2, v3
	ds_read_b32 v3, v3
	s_waitcnt lgkmcnt(0)
	v_add_nc_u32_e32 v3, v3, v61
	v_lshlrev_b64 v[39:40], 1, v[3:4]
	v_xor_b32_e32 v3, 0xffff8000, v156
	v_add_co_u32 v39, s40, s48, v39
	v_add_co_ci_u32_e64 v40, null, s49, v40, s40
	global_store_short v[39:40], v3, off
.LBB1044_1142:                          ;   in Loop: Header=BB1044_1040 Depth=2
	s_or_b32 exec_lo, exec_lo, s65
	s_lshl_b64 s[66:67], s[50:51], 3
	v_add_co_u32 v39, s40, v126, s66
	v_add_co_ci_u32_e64 v40, null, s67, v127, s40
	v_cmp_lt_u32_e64 s40, v94, v155
	s_and_saveexec_b32 s50, s40
	s_xor_b32 s40, exec_lo, s50
	s_cbranch_execnz .LBB1044_1213
; %bb.1143:                             ;   in Loop: Header=BB1044_1040 Depth=2
	s_or_b32 exec_lo, exec_lo, s40
	s_mov_b32 s50, exec_lo
	v_cmpx_lt_u32_e64 v98, v155
	s_cbranch_execnz .LBB1044_1214
.LBB1044_1144:                          ;   in Loop: Header=BB1044_1040 Depth=2
	s_or_b32 exec_lo, exec_lo, s50
	s_mov_b32 s50, exec_lo
	v_cmpx_lt_u32_e64 v99, v155
	s_cbranch_execnz .LBB1044_1215
.LBB1044_1145:                          ;   in Loop: Header=BB1044_1040 Depth=2
	s_or_b32 exec_lo, exec_lo, s50
	s_mov_b32 s50, exec_lo
	v_cmpx_lt_u32_e64 v100, v155
	s_cbranch_execnz .LBB1044_1216
.LBB1044_1146:                          ;   in Loop: Header=BB1044_1040 Depth=2
	s_or_b32 exec_lo, exec_lo, s50
	s_mov_b32 s50, exec_lo
	v_cmpx_lt_u32_e64 v101, v155
	s_cbranch_execnz .LBB1044_1217
.LBB1044_1147:                          ;   in Loop: Header=BB1044_1040 Depth=2
	s_or_b32 exec_lo, exec_lo, s50
	s_mov_b32 s50, exec_lo
	v_cmpx_lt_u32_e64 v102, v155
	s_cbranch_execnz .LBB1044_1218
.LBB1044_1148:                          ;   in Loop: Header=BB1044_1040 Depth=2
	s_or_b32 exec_lo, exec_lo, s50
	s_mov_b32 s50, exec_lo
	v_cmpx_lt_u32_e64 v103, v155
	s_cbranch_execnz .LBB1044_1219
.LBB1044_1149:                          ;   in Loop: Header=BB1044_1040 Depth=2
	s_or_b32 exec_lo, exec_lo, s50
	s_mov_b32 s50, exec_lo
	v_cmpx_lt_u32_e64 v104, v155
	s_cbranch_execnz .LBB1044_1220
.LBB1044_1150:                          ;   in Loop: Header=BB1044_1040 Depth=2
	s_or_b32 exec_lo, exec_lo, s50
	s_mov_b32 s50, exec_lo
	v_cmpx_lt_u32_e64 v105, v155
	s_cbranch_execnz .LBB1044_1221
.LBB1044_1151:                          ;   in Loop: Header=BB1044_1040 Depth=2
	s_or_b32 exec_lo, exec_lo, s50
	s_mov_b32 s50, exec_lo
	v_cmpx_lt_u32_e64 v106, v155
	s_cbranch_execnz .LBB1044_1222
.LBB1044_1152:                          ;   in Loop: Header=BB1044_1040 Depth=2
	s_or_b32 exec_lo, exec_lo, s50
	s_mov_b32 s50, exec_lo
	v_cmpx_lt_u32_e64 v107, v155
	s_cbranch_execnz .LBB1044_1223
.LBB1044_1153:                          ;   in Loop: Header=BB1044_1040 Depth=2
	s_or_b32 exec_lo, exec_lo, s50
	s_mov_b32 s50, exec_lo
	v_cmpx_lt_u32_e64 v108, v155
	s_cbranch_execnz .LBB1044_1224
.LBB1044_1154:                          ;   in Loop: Header=BB1044_1040 Depth=2
	s_or_b32 exec_lo, exec_lo, s50
	s_mov_b32 s50, exec_lo
	v_cmpx_lt_u32_e64 v128, v155
	s_cbranch_execnz .LBB1044_1225
.LBB1044_1155:                          ;   in Loop: Header=BB1044_1040 Depth=2
	s_or_b32 exec_lo, exec_lo, s50
	s_mov_b32 s50, exec_lo
	v_cmpx_lt_u32_e64 v129, v155
	s_cbranch_execnz .LBB1044_1226
.LBB1044_1156:                          ;   in Loop: Header=BB1044_1040 Depth=2
	s_or_b32 exec_lo, exec_lo, s50
	s_mov_b32 s50, exec_lo
	v_cmpx_lt_u32_e64 v130, v155
	s_cbranch_execnz .LBB1044_1227
.LBB1044_1157:                          ;   in Loop: Header=BB1044_1040 Depth=2
	s_or_b32 exec_lo, exec_lo, s50
	s_mov_b32 s50, exec_lo
	v_cmpx_lt_u32_e64 v131, v155
	s_cbranch_execnz .LBB1044_1228
.LBB1044_1158:                          ;   in Loop: Header=BB1044_1040 Depth=2
	s_or_b32 exec_lo, exec_lo, s50
	s_mov_b32 s50, exec_lo
	v_cmpx_lt_u32_e64 v132, v155
	s_cbranch_execnz .LBB1044_1229
.LBB1044_1159:                          ;   in Loop: Header=BB1044_1040 Depth=2
	s_or_b32 exec_lo, exec_lo, s50
	s_and_saveexec_b32 s40, vcc_lo
	s_cbranch_execnz .LBB1044_1230
.LBB1044_1160:                          ;   in Loop: Header=BB1044_1040 Depth=2
	s_or_b32 exec_lo, exec_lo, s40
	s_and_saveexec_b32 s40, s23
	s_cbranch_execnz .LBB1044_1231
.LBB1044_1161:                          ;   in Loop: Header=BB1044_1040 Depth=2
	s_or_b32 exec_lo, exec_lo, s40
	s_and_saveexec_b32 s40, s24
	s_cbranch_execnz .LBB1044_1232
.LBB1044_1162:                          ;   in Loop: Header=BB1044_1040 Depth=2
	s_or_b32 exec_lo, exec_lo, s40
	s_and_saveexec_b32 s40, s25
	s_cbranch_execnz .LBB1044_1233
.LBB1044_1163:                          ;   in Loop: Header=BB1044_1040 Depth=2
	s_or_b32 exec_lo, exec_lo, s40
	s_and_saveexec_b32 s40, s26
	s_cbranch_execnz .LBB1044_1234
.LBB1044_1164:                          ;   in Loop: Header=BB1044_1040 Depth=2
	s_or_b32 exec_lo, exec_lo, s40
	s_and_saveexec_b32 s40, s27
	s_cbranch_execnz .LBB1044_1235
.LBB1044_1165:                          ;   in Loop: Header=BB1044_1040 Depth=2
	s_or_b32 exec_lo, exec_lo, s40
	s_and_saveexec_b32 s40, s28
	s_cbranch_execnz .LBB1044_1236
.LBB1044_1166:                          ;   in Loop: Header=BB1044_1040 Depth=2
	s_or_b32 exec_lo, exec_lo, s40
	s_and_saveexec_b32 s40, s29
	s_cbranch_execnz .LBB1044_1237
.LBB1044_1167:                          ;   in Loop: Header=BB1044_1040 Depth=2
	s_or_b32 exec_lo, exec_lo, s40
	s_and_saveexec_b32 s40, s30
	s_cbranch_execnz .LBB1044_1238
.LBB1044_1168:                          ;   in Loop: Header=BB1044_1040 Depth=2
	s_or_b32 exec_lo, exec_lo, s40
	s_and_saveexec_b32 s40, s31
	s_cbranch_execnz .LBB1044_1239
.LBB1044_1169:                          ;   in Loop: Header=BB1044_1040 Depth=2
	s_or_b32 exec_lo, exec_lo, s40
	s_and_saveexec_b32 s40, s33
	s_cbranch_execnz .LBB1044_1240
.LBB1044_1170:                          ;   in Loop: Header=BB1044_1040 Depth=2
	s_or_b32 exec_lo, exec_lo, s40
	s_and_saveexec_b32 s40, s34
	s_cbranch_execnz .LBB1044_1241
.LBB1044_1171:                          ;   in Loop: Header=BB1044_1040 Depth=2
	s_or_b32 exec_lo, exec_lo, s40
	s_and_saveexec_b32 s40, s35
	s_cbranch_execnz .LBB1044_1242
.LBB1044_1172:                          ;   in Loop: Header=BB1044_1040 Depth=2
	s_or_b32 exec_lo, exec_lo, s40
	s_and_saveexec_b32 s40, s36
	s_cbranch_execnz .LBB1044_1243
.LBB1044_1173:                          ;   in Loop: Header=BB1044_1040 Depth=2
	s_or_b32 exec_lo, exec_lo, s40
	s_and_saveexec_b32 s40, s37
	s_cbranch_execnz .LBB1044_1244
.LBB1044_1174:                          ;   in Loop: Header=BB1044_1040 Depth=2
	s_or_b32 exec_lo, exec_lo, s40
	s_and_saveexec_b32 s40, s38
	s_cbranch_execnz .LBB1044_1245
.LBB1044_1175:                          ;   in Loop: Header=BB1044_1040 Depth=2
	s_or_b32 exec_lo, exec_lo, s40
	s_and_saveexec_b32 s40, s39
	s_cbranch_execz .LBB1044_1177
.LBB1044_1176:                          ;   in Loop: Header=BB1044_1040 Depth=2
	ds_read_u16 v3, v74 offset:8704
	s_waitcnt lgkmcnt(0)
	v_lshrrev_b32_e32 v3, s41, v3
	v_and_b32_e32 v136, s62, v3
.LBB1044_1177:                          ;   in Loop: Header=BB1044_1040 Depth=2
	s_or_b32 exec_lo, exec_lo, s40
	v_lshlrev_b32_e32 v3, 3, v178
	v_lshlrev_b32_e32 v39, 3, v177
	s_waitcnt vmcnt(0)
	s_waitcnt_vscnt null, 0x0
	s_barrier
	buffer_gl0_inv
	ds_write_b64 v3, v[37:38] offset:512
	v_lshlrev_b32_e32 v3, 3, v173
	ds_write_b64 v39, v[35:36] offset:512
	v_lshlrev_b32_e32 v39, 3, v172
	v_lshlrev_b32_e32 v40, 3, v171
	;; [unrolled: 1-line block ×3, first 2 shown]
	ds_write_b64 v3, v[33:34] offset:512
	v_lshlrev_b32_e32 v3, 3, v168
	ds_write_b64 v39, v[31:32] offset:512
	ds_write_b64 v40, v[29:30] offset:512
	;; [unrolled: 1-line block ×3, first 2 shown]
	v_lshlrev_b32_e32 v39, 3, v167
	v_lshlrev_b32_e32 v40, 3, v165
	;; [unrolled: 1-line block ×3, first 2 shown]
	ds_write_b64 v3, v[21:22] offset:512
	v_lshlrev_b32_e32 v3, 3, v166
	ds_write_b64 v39, v[17:18] offset:512
	v_lshlrev_b32_e32 v39, 3, v162
	ds_write_b64 v3, v[27:28] offset:512
	ds_write_b64 v40, v[23:24] offset:512
	;; [unrolled: 1-line block ×3, first 2 shown]
	v_lshlrev_b32_e32 v3, 3, v42
	ds_write_b64 v39, v[15:16] offset:512
	v_lshlrev_b32_e32 v39, 3, v41
	v_lshlrev_b32_e32 v40, 3, v159
	;; [unrolled: 1-line block ×3, first 2 shown]
	ds_write_b64 v3, v[13:14] offset:512
	v_lshlrev_b32_e32 v3, 3, v158
	ds_write_b64 v39, v[11:12] offset:512
	ds_write_b64 v40, v[9:10] offset:512
	;; [unrolled: 1-line block ×3, first 2 shown]
	v_add_nc_u32_e32 v39, v74, v75
	ds_write_b64 v3, v[5:6] offset:512
	s_waitcnt lgkmcnt(0)
	s_barrier
	buffer_gl0_inv
	s_and_saveexec_b32 s40, vcc_lo
	s_cbranch_execnz .LBB1044_1246
; %bb.1178:                             ;   in Loop: Header=BB1044_1040 Depth=2
	s_or_b32 exec_lo, exec_lo, s40
	s_and_saveexec_b32 s40, s23
	s_cbranch_execnz .LBB1044_1247
.LBB1044_1179:                          ;   in Loop: Header=BB1044_1040 Depth=2
	s_or_b32 exec_lo, exec_lo, s40
	s_and_saveexec_b32 s23, s24
	s_cbranch_execnz .LBB1044_1248
.LBB1044_1180:                          ;   in Loop: Header=BB1044_1040 Depth=2
	s_or_b32 exec_lo, exec_lo, s23
	s_and_saveexec_b32 s23, s25
	s_cbranch_execnz .LBB1044_1249
.LBB1044_1181:                          ;   in Loop: Header=BB1044_1040 Depth=2
	s_or_b32 exec_lo, exec_lo, s23
	s_and_saveexec_b32 s23, s26
	s_cbranch_execnz .LBB1044_1250
.LBB1044_1182:                          ;   in Loop: Header=BB1044_1040 Depth=2
	s_or_b32 exec_lo, exec_lo, s23
	s_and_saveexec_b32 s23, s27
	s_cbranch_execnz .LBB1044_1251
.LBB1044_1183:                          ;   in Loop: Header=BB1044_1040 Depth=2
	s_or_b32 exec_lo, exec_lo, s23
	s_and_saveexec_b32 s23, s28
	s_cbranch_execnz .LBB1044_1252
.LBB1044_1184:                          ;   in Loop: Header=BB1044_1040 Depth=2
	s_or_b32 exec_lo, exec_lo, s23
	s_and_saveexec_b32 s23, s29
	s_cbranch_execnz .LBB1044_1253
.LBB1044_1185:                          ;   in Loop: Header=BB1044_1040 Depth=2
	s_or_b32 exec_lo, exec_lo, s23
	s_and_saveexec_b32 s23, s30
	s_cbranch_execnz .LBB1044_1254
.LBB1044_1186:                          ;   in Loop: Header=BB1044_1040 Depth=2
	s_or_b32 exec_lo, exec_lo, s23
	s_and_saveexec_b32 s23, s31
	s_cbranch_execnz .LBB1044_1255
.LBB1044_1187:                          ;   in Loop: Header=BB1044_1040 Depth=2
	s_or_b32 exec_lo, exec_lo, s23
	s_and_saveexec_b32 s23, s33
	s_cbranch_execnz .LBB1044_1256
.LBB1044_1188:                          ;   in Loop: Header=BB1044_1040 Depth=2
	s_or_b32 exec_lo, exec_lo, s23
	s_and_saveexec_b32 s23, s34
	s_cbranch_execnz .LBB1044_1257
.LBB1044_1189:                          ;   in Loop: Header=BB1044_1040 Depth=2
	s_or_b32 exec_lo, exec_lo, s23
	s_and_saveexec_b32 s23, s35
	s_cbranch_execnz .LBB1044_1258
.LBB1044_1190:                          ;   in Loop: Header=BB1044_1040 Depth=2
	s_or_b32 exec_lo, exec_lo, s23
	s_and_saveexec_b32 s23, s36
	s_cbranch_execnz .LBB1044_1259
.LBB1044_1191:                          ;   in Loop: Header=BB1044_1040 Depth=2
	s_or_b32 exec_lo, exec_lo, s23
	s_and_saveexec_b32 s23, s37
	s_cbranch_execnz .LBB1044_1260
.LBB1044_1192:                          ;   in Loop: Header=BB1044_1040 Depth=2
	s_or_b32 exec_lo, exec_lo, s23
	s_and_saveexec_b32 s23, s38
	s_cbranch_execnz .LBB1044_1261
.LBB1044_1193:                          ;   in Loop: Header=BB1044_1040 Depth=2
	s_or_b32 exec_lo, exec_lo, s23
	s_and_saveexec_b32 s23, s39
	s_cbranch_execz .LBB1044_1195
.LBB1044_1194:                          ;   in Loop: Header=BB1044_1040 Depth=2
	v_lshlrev_b32_e32 v3, 2, v136
	ds_read_b32 v3, v3
	ds_read_b64 v[39:40], v39 offset:33280
	s_waitcnt lgkmcnt(1)
	v_add_nc_u32_e32 v3, v3, v61
	v_lshlrev_b64 v[41:42], 3, v[3:4]
	v_add_co_u32 v41, vcc_lo, s54, v41
	v_add_co_ci_u32_e64 v42, null, s55, v42, vcc_lo
	s_waitcnt lgkmcnt(0)
	global_store_dwordx2 v[41:42], v[39:40], off
.LBB1044_1195:                          ;   in Loop: Header=BB1044_1040 Depth=2
	s_or_b32 exec_lo, exec_lo, s23
	s_waitcnt_vscnt null, 0x0
	s_barrier
	buffer_gl0_inv
	s_and_saveexec_b32 s23, s8
	s_cbranch_execz .LBB1044_1039
; %bb.1196:                             ;   in Loop: Header=BB1044_1040 Depth=2
	ds_read_b32 v3, v43
	s_waitcnt lgkmcnt(0)
	v_add3_u32 v3, v151, v154, v3
	ds_write_b32 v43, v3
	s_branch .LBB1044_1039
.LBB1044_1197:                          ;   in Loop: Header=BB1044_1040 Depth=2
	ds_read_u16 v156, v74 offset:512
	s_waitcnt lgkmcnt(0)
	v_lshrrev_b32_sdwa v3, s41, v156 dst_sel:DWORD dst_unused:UNUSED_PAD src0_sel:DWORD src1_sel:WORD_0
	v_and_b32_e32 v3, s62, v3
	v_lshlrev_b32_e32 v3, 2, v3
	ds_read_b32 v3, v3
	s_waitcnt lgkmcnt(0)
	v_add_nc_u32_e32 v3, v3, v0
	v_lshlrev_b64 v[39:40], 1, v[3:4]
	v_xor_b32_e32 v3, 0xffff8000, v156
	v_add_co_u32 v39, s23, s48, v39
	v_add_co_ci_u32_e64 v40, null, s49, v40, s23
	global_store_short v[39:40], v3, off
	s_or_b32 exec_lo, exec_lo, s24
	v_cmp_lt_u32_e64 s23, v44, v155
	s_and_saveexec_b32 s25, s23
	s_cbranch_execz .LBB1044_1126
.LBB1044_1198:                          ;   in Loop: Header=BB1044_1040 Depth=2
	ds_read_u16 v156, v74 offset:1024
	s_waitcnt lgkmcnt(0)
	v_lshrrev_b32_sdwa v3, s41, v156 dst_sel:DWORD dst_unused:UNUSED_PAD src0_sel:DWORD src1_sel:WORD_0
	v_and_b32_e32 v3, s62, v3
	v_lshlrev_b32_e32 v3, 2, v3
	ds_read_b32 v3, v3
	s_waitcnt lgkmcnt(0)
	v_add_nc_u32_e32 v3, v3, v44
	v_lshlrev_b64 v[39:40], 1, v[3:4]
	v_xor_b32_e32 v3, 0xffff8000, v156
	v_add_co_u32 v39, s24, s48, v39
	v_add_co_ci_u32_e64 v40, null, s49, v40, s24
	global_store_short v[39:40], v3, off
	s_or_b32 exec_lo, exec_lo, s25
	v_cmp_lt_u32_e64 s24, v47, v155
	s_and_saveexec_b32 s26, s24
	s_cbranch_execz .LBB1044_1127
.LBB1044_1199:                          ;   in Loop: Header=BB1044_1040 Depth=2
	ds_read_u16 v156, v74 offset:1536
	s_waitcnt lgkmcnt(0)
	v_lshrrev_b32_sdwa v3, s41, v156 dst_sel:DWORD dst_unused:UNUSED_PAD src0_sel:DWORD src1_sel:WORD_0
	v_and_b32_e32 v3, s62, v3
	v_lshlrev_b32_e32 v3, 2, v3
	ds_read_b32 v3, v3
	s_waitcnt lgkmcnt(0)
	v_add_nc_u32_e32 v3, v3, v47
	v_lshlrev_b64 v[39:40], 1, v[3:4]
	v_xor_b32_e32 v3, 0xffff8000, v156
	v_add_co_u32 v39, s25, s48, v39
	v_add_co_ci_u32_e64 v40, null, s49, v40, s25
	global_store_short v[39:40], v3, off
	s_or_b32 exec_lo, exec_lo, s26
	v_cmp_lt_u32_e64 s25, v48, v155
	s_and_saveexec_b32 s27, s25
	s_cbranch_execz .LBB1044_1128
.LBB1044_1200:                          ;   in Loop: Header=BB1044_1040 Depth=2
	ds_read_u16 v156, v74 offset:2048
	s_waitcnt lgkmcnt(0)
	v_lshrrev_b32_sdwa v3, s41, v156 dst_sel:DWORD dst_unused:UNUSED_PAD src0_sel:DWORD src1_sel:WORD_0
	v_and_b32_e32 v3, s62, v3
	v_lshlrev_b32_e32 v3, 2, v3
	ds_read_b32 v3, v3
	s_waitcnt lgkmcnt(0)
	v_add_nc_u32_e32 v3, v3, v48
	v_lshlrev_b64 v[39:40], 1, v[3:4]
	v_xor_b32_e32 v3, 0xffff8000, v156
	v_add_co_u32 v39, s26, s48, v39
	v_add_co_ci_u32_e64 v40, null, s49, v40, s26
	global_store_short v[39:40], v3, off
	s_or_b32 exec_lo, exec_lo, s27
	v_cmp_lt_u32_e64 s26, v49, v155
	s_and_saveexec_b32 s28, s26
	s_cbranch_execz .LBB1044_1129
.LBB1044_1201:                          ;   in Loop: Header=BB1044_1040 Depth=2
	ds_read_u16 v156, v74 offset:2560
	s_waitcnt lgkmcnt(0)
	v_lshrrev_b32_sdwa v3, s41, v156 dst_sel:DWORD dst_unused:UNUSED_PAD src0_sel:DWORD src1_sel:WORD_0
	v_and_b32_e32 v3, s62, v3
	v_lshlrev_b32_e32 v3, 2, v3
	ds_read_b32 v3, v3
	s_waitcnt lgkmcnt(0)
	v_add_nc_u32_e32 v3, v3, v49
	v_lshlrev_b64 v[39:40], 1, v[3:4]
	v_xor_b32_e32 v3, 0xffff8000, v156
	v_add_co_u32 v39, s27, s48, v39
	v_add_co_ci_u32_e64 v40, null, s49, v40, s27
	global_store_short v[39:40], v3, off
	s_or_b32 exec_lo, exec_lo, s28
	v_cmp_lt_u32_e64 s27, v50, v155
	s_and_saveexec_b32 s29, s27
	s_cbranch_execz .LBB1044_1130
.LBB1044_1202:                          ;   in Loop: Header=BB1044_1040 Depth=2
	ds_read_u16 v156, v74 offset:3072
	s_waitcnt lgkmcnt(0)
	v_lshrrev_b32_sdwa v3, s41, v156 dst_sel:DWORD dst_unused:UNUSED_PAD src0_sel:DWORD src1_sel:WORD_0
	v_and_b32_e32 v3, s62, v3
	v_lshlrev_b32_e32 v3, 2, v3
	ds_read_b32 v3, v3
	s_waitcnt lgkmcnt(0)
	v_add_nc_u32_e32 v3, v3, v50
	v_lshlrev_b64 v[39:40], 1, v[3:4]
	v_xor_b32_e32 v3, 0xffff8000, v156
	v_add_co_u32 v39, s28, s48, v39
	v_add_co_ci_u32_e64 v40, null, s49, v40, s28
	global_store_short v[39:40], v3, off
	s_or_b32 exec_lo, exec_lo, s29
	v_cmp_lt_u32_e64 s28, v51, v155
	s_and_saveexec_b32 s30, s28
	s_cbranch_execz .LBB1044_1131
.LBB1044_1203:                          ;   in Loop: Header=BB1044_1040 Depth=2
	ds_read_u16 v156, v74 offset:3584
	s_waitcnt lgkmcnt(0)
	v_lshrrev_b32_sdwa v3, s41, v156 dst_sel:DWORD dst_unused:UNUSED_PAD src0_sel:DWORD src1_sel:WORD_0
	v_and_b32_e32 v3, s62, v3
	v_lshlrev_b32_e32 v3, 2, v3
	ds_read_b32 v3, v3
	s_waitcnt lgkmcnt(0)
	v_add_nc_u32_e32 v3, v3, v51
	v_lshlrev_b64 v[39:40], 1, v[3:4]
	v_xor_b32_e32 v3, 0xffff8000, v156
	v_add_co_u32 v39, s29, s48, v39
	v_add_co_ci_u32_e64 v40, null, s49, v40, s29
	global_store_short v[39:40], v3, off
	s_or_b32 exec_lo, exec_lo, s30
	v_cmp_lt_u32_e64 s29, v52, v155
	s_and_saveexec_b32 s31, s29
	s_cbranch_execz .LBB1044_1132
.LBB1044_1204:                          ;   in Loop: Header=BB1044_1040 Depth=2
	ds_read_u16 v156, v74 offset:4096
	s_waitcnt lgkmcnt(0)
	v_lshrrev_b32_sdwa v3, s41, v156 dst_sel:DWORD dst_unused:UNUSED_PAD src0_sel:DWORD src1_sel:WORD_0
	v_and_b32_e32 v3, s62, v3
	v_lshlrev_b32_e32 v3, 2, v3
	ds_read_b32 v3, v3
	s_waitcnt lgkmcnt(0)
	v_add_nc_u32_e32 v3, v3, v52
	v_lshlrev_b64 v[39:40], 1, v[3:4]
	v_xor_b32_e32 v3, 0xffff8000, v156
	v_add_co_u32 v39, s30, s48, v39
	v_add_co_ci_u32_e64 v40, null, s49, v40, s30
	global_store_short v[39:40], v3, off
	s_or_b32 exec_lo, exec_lo, s31
	v_cmp_lt_u32_e64 s30, v53, v155
	s_and_saveexec_b32 s33, s30
	s_cbranch_execz .LBB1044_1133
.LBB1044_1205:                          ;   in Loop: Header=BB1044_1040 Depth=2
	ds_read_u16 v156, v74 offset:4608
	s_waitcnt lgkmcnt(0)
	v_lshrrev_b32_sdwa v3, s41, v156 dst_sel:DWORD dst_unused:UNUSED_PAD src0_sel:DWORD src1_sel:WORD_0
	v_and_b32_e32 v3, s62, v3
	v_lshlrev_b32_e32 v3, 2, v3
	ds_read_b32 v3, v3
	s_waitcnt lgkmcnt(0)
	v_add_nc_u32_e32 v3, v3, v53
	v_lshlrev_b64 v[39:40], 1, v[3:4]
	v_xor_b32_e32 v3, 0xffff8000, v156
	v_add_co_u32 v39, s31, s48, v39
	v_add_co_ci_u32_e64 v40, null, s49, v40, s31
	global_store_short v[39:40], v3, off
	s_or_b32 exec_lo, exec_lo, s33
	v_cmp_lt_u32_e64 s31, v54, v155
	s_and_saveexec_b32 s34, s31
	s_cbranch_execz .LBB1044_1134
.LBB1044_1206:                          ;   in Loop: Header=BB1044_1040 Depth=2
	ds_read_u16 v156, v74 offset:5120
	s_waitcnt lgkmcnt(0)
	v_lshrrev_b32_sdwa v3, s41, v156 dst_sel:DWORD dst_unused:UNUSED_PAD src0_sel:DWORD src1_sel:WORD_0
	v_and_b32_e32 v3, s62, v3
	v_lshlrev_b32_e32 v3, 2, v3
	ds_read_b32 v3, v3
	s_waitcnt lgkmcnt(0)
	v_add_nc_u32_e32 v3, v3, v54
	v_lshlrev_b64 v[39:40], 1, v[3:4]
	v_xor_b32_e32 v3, 0xffff8000, v156
	v_add_co_u32 v39, s33, s48, v39
	v_add_co_ci_u32_e64 v40, null, s49, v40, s33
	global_store_short v[39:40], v3, off
	s_or_b32 exec_lo, exec_lo, s34
	v_cmp_lt_u32_e64 s33, v55, v155
	s_and_saveexec_b32 s35, s33
	s_cbranch_execz .LBB1044_1135
.LBB1044_1207:                          ;   in Loop: Header=BB1044_1040 Depth=2
	ds_read_u16 v156, v74 offset:5632
	s_waitcnt lgkmcnt(0)
	v_lshrrev_b32_sdwa v3, s41, v156 dst_sel:DWORD dst_unused:UNUSED_PAD src0_sel:DWORD src1_sel:WORD_0
	v_and_b32_e32 v3, s62, v3
	v_lshlrev_b32_e32 v3, 2, v3
	ds_read_b32 v3, v3
	s_waitcnt lgkmcnt(0)
	v_add_nc_u32_e32 v3, v3, v55
	v_lshlrev_b64 v[39:40], 1, v[3:4]
	v_xor_b32_e32 v3, 0xffff8000, v156
	v_add_co_u32 v39, s34, s48, v39
	v_add_co_ci_u32_e64 v40, null, s49, v40, s34
	global_store_short v[39:40], v3, off
	s_or_b32 exec_lo, exec_lo, s35
	v_cmp_lt_u32_e64 s34, v56, v155
	s_and_saveexec_b32 s36, s34
	s_cbranch_execz .LBB1044_1136
.LBB1044_1208:                          ;   in Loop: Header=BB1044_1040 Depth=2
	ds_read_u16 v156, v74 offset:6144
	s_waitcnt lgkmcnt(0)
	v_lshrrev_b32_sdwa v3, s41, v156 dst_sel:DWORD dst_unused:UNUSED_PAD src0_sel:DWORD src1_sel:WORD_0
	v_and_b32_e32 v3, s62, v3
	v_lshlrev_b32_e32 v3, 2, v3
	ds_read_b32 v3, v3
	s_waitcnt lgkmcnt(0)
	v_add_nc_u32_e32 v3, v3, v56
	v_lshlrev_b64 v[39:40], 1, v[3:4]
	v_xor_b32_e32 v3, 0xffff8000, v156
	v_add_co_u32 v39, s35, s48, v39
	v_add_co_ci_u32_e64 v40, null, s49, v40, s35
	global_store_short v[39:40], v3, off
	s_or_b32 exec_lo, exec_lo, s36
	v_cmp_lt_u32_e64 s35, v57, v155
	s_and_saveexec_b32 s37, s35
	s_cbranch_execz .LBB1044_1137
.LBB1044_1209:                          ;   in Loop: Header=BB1044_1040 Depth=2
	ds_read_u16 v156, v74 offset:6656
	s_waitcnt lgkmcnt(0)
	v_lshrrev_b32_sdwa v3, s41, v156 dst_sel:DWORD dst_unused:UNUSED_PAD src0_sel:DWORD src1_sel:WORD_0
	v_and_b32_e32 v3, s62, v3
	v_lshlrev_b32_e32 v3, 2, v3
	ds_read_b32 v3, v3
	s_waitcnt lgkmcnt(0)
	v_add_nc_u32_e32 v3, v3, v57
	v_lshlrev_b64 v[39:40], 1, v[3:4]
	v_xor_b32_e32 v3, 0xffff8000, v156
	v_add_co_u32 v39, s36, s48, v39
	v_add_co_ci_u32_e64 v40, null, s49, v40, s36
	global_store_short v[39:40], v3, off
	s_or_b32 exec_lo, exec_lo, s37
	v_cmp_lt_u32_e64 s36, v58, v155
	s_and_saveexec_b32 s38, s36
	s_cbranch_execz .LBB1044_1138
.LBB1044_1210:                          ;   in Loop: Header=BB1044_1040 Depth=2
	ds_read_u16 v156, v74 offset:7168
	s_waitcnt lgkmcnt(0)
	v_lshrrev_b32_sdwa v3, s41, v156 dst_sel:DWORD dst_unused:UNUSED_PAD src0_sel:DWORD src1_sel:WORD_0
	v_and_b32_e32 v3, s62, v3
	v_lshlrev_b32_e32 v3, 2, v3
	ds_read_b32 v3, v3
	s_waitcnt lgkmcnt(0)
	v_add_nc_u32_e32 v3, v3, v58
	v_lshlrev_b64 v[39:40], 1, v[3:4]
	v_xor_b32_e32 v3, 0xffff8000, v156
	v_add_co_u32 v39, s37, s48, v39
	v_add_co_ci_u32_e64 v40, null, s49, v40, s37
	global_store_short v[39:40], v3, off
	s_or_b32 exec_lo, exec_lo, s38
	v_cmp_lt_u32_e64 s37, v59, v155
	s_and_saveexec_b32 s39, s37
	s_cbranch_execz .LBB1044_1139
.LBB1044_1211:                          ;   in Loop: Header=BB1044_1040 Depth=2
	ds_read_u16 v156, v74 offset:7680
	s_waitcnt lgkmcnt(0)
	v_lshrrev_b32_sdwa v3, s41, v156 dst_sel:DWORD dst_unused:UNUSED_PAD src0_sel:DWORD src1_sel:WORD_0
	v_and_b32_e32 v3, s62, v3
	v_lshlrev_b32_e32 v3, 2, v3
	ds_read_b32 v3, v3
	s_waitcnt lgkmcnt(0)
	v_add_nc_u32_e32 v3, v3, v59
	v_lshlrev_b64 v[39:40], 1, v[3:4]
	v_xor_b32_e32 v3, 0xffff8000, v156
	v_add_co_u32 v39, s38, s48, v39
	v_add_co_ci_u32_e64 v40, null, s49, v40, s38
	global_store_short v[39:40], v3, off
	s_or_b32 exec_lo, exec_lo, s39
	v_cmp_lt_u32_e64 s38, v60, v155
	s_and_saveexec_b32 s40, s38
	s_cbranch_execz .LBB1044_1140
.LBB1044_1212:                          ;   in Loop: Header=BB1044_1040 Depth=2
	ds_read_u16 v156, v74 offset:8192
	s_waitcnt lgkmcnt(0)
	v_lshrrev_b32_sdwa v3, s41, v156 dst_sel:DWORD dst_unused:UNUSED_PAD src0_sel:DWORD src1_sel:WORD_0
	v_and_b32_e32 v3, s62, v3
	v_lshlrev_b32_e32 v3, 2, v3
	ds_read_b32 v3, v3
	s_waitcnt lgkmcnt(0)
	v_add_nc_u32_e32 v3, v3, v60
	v_lshlrev_b64 v[39:40], 1, v[3:4]
	v_xor_b32_e32 v3, 0xffff8000, v156
	v_add_co_u32 v39, s39, s48, v39
	v_add_co_ci_u32_e64 v40, null, s49, v40, s39
	global_store_short v[39:40], v3, off
	s_or_b32 exec_lo, exec_lo, s40
	v_cmp_lt_u32_e64 s39, v61, v155
	s_and_saveexec_b32 s65, s39
	s_cbranch_execnz .LBB1044_1141
	s_branch .LBB1044_1142
.LBB1044_1213:                          ;   in Loop: Header=BB1044_1040 Depth=2
	global_load_dwordx2 v[37:38], v[39:40], off
	s_or_b32 exec_lo, exec_lo, s40
	s_mov_b32 s50, exec_lo
	v_cmpx_lt_u32_e64 v98, v155
	s_cbranch_execz .LBB1044_1144
.LBB1044_1214:                          ;   in Loop: Header=BB1044_1040 Depth=2
	global_load_dwordx2 v[35:36], v[39:40], off offset:256
	s_or_b32 exec_lo, exec_lo, s50
	s_mov_b32 s50, exec_lo
	v_cmpx_lt_u32_e64 v99, v155
	s_cbranch_execz .LBB1044_1145
.LBB1044_1215:                          ;   in Loop: Header=BB1044_1040 Depth=2
	global_load_dwordx2 v[33:34], v[39:40], off offset:512
	s_or_b32 exec_lo, exec_lo, s50
	s_mov_b32 s50, exec_lo
	v_cmpx_lt_u32_e64 v100, v155
	s_cbranch_execz .LBB1044_1146
.LBB1044_1216:                          ;   in Loop: Header=BB1044_1040 Depth=2
	global_load_dwordx2 v[31:32], v[39:40], off offset:768
	s_or_b32 exec_lo, exec_lo, s50
	s_mov_b32 s50, exec_lo
	v_cmpx_lt_u32_e64 v101, v155
	s_cbranch_execz .LBB1044_1147
.LBB1044_1217:                          ;   in Loop: Header=BB1044_1040 Depth=2
	global_load_dwordx2 v[29:30], v[39:40], off offset:1024
	s_or_b32 exec_lo, exec_lo, s50
	s_mov_b32 s50, exec_lo
	v_cmpx_lt_u32_e64 v102, v155
	s_cbranch_execz .LBB1044_1148
.LBB1044_1218:                          ;   in Loop: Header=BB1044_1040 Depth=2
	global_load_dwordx2 v[25:26], v[39:40], off offset:1280
	s_or_b32 exec_lo, exec_lo, s50
	s_mov_b32 s50, exec_lo
	v_cmpx_lt_u32_e64 v103, v155
	s_cbranch_execz .LBB1044_1149
.LBB1044_1219:                          ;   in Loop: Header=BB1044_1040 Depth=2
	global_load_dwordx2 v[21:22], v[39:40], off offset:1536
	s_or_b32 exec_lo, exec_lo, s50
	s_mov_b32 s50, exec_lo
	v_cmpx_lt_u32_e64 v104, v155
	s_cbranch_execz .LBB1044_1150
.LBB1044_1220:                          ;   in Loop: Header=BB1044_1040 Depth=2
	global_load_dwordx2 v[17:18], v[39:40], off offset:1792
	s_or_b32 exec_lo, exec_lo, s50
	s_mov_b32 s50, exec_lo
	v_cmpx_lt_u32_e64 v105, v155
	s_cbranch_execz .LBB1044_1151
.LBB1044_1221:                          ;   in Loop: Header=BB1044_1040 Depth=2
	v_add_co_u32 v27, s40, 0x800, v39
	v_add_co_ci_u32_e64 v28, null, 0, v40, s40
	global_load_dwordx2 v[27:28], v[27:28], off
	s_or_b32 exec_lo, exec_lo, s50
	s_mov_b32 s50, exec_lo
	v_cmpx_lt_u32_e64 v106, v155
	s_cbranch_execz .LBB1044_1152
.LBB1044_1222:                          ;   in Loop: Header=BB1044_1040 Depth=2
	v_add_co_u32 v23, s40, 0x800, v39
	v_add_co_ci_u32_e64 v24, null, 0, v40, s40
	global_load_dwordx2 v[23:24], v[23:24], off offset:256
	s_or_b32 exec_lo, exec_lo, s50
	s_mov_b32 s50, exec_lo
	v_cmpx_lt_u32_e64 v107, v155
	s_cbranch_execz .LBB1044_1153
.LBB1044_1223:                          ;   in Loop: Header=BB1044_1040 Depth=2
	v_add_co_u32 v19, s40, 0x800, v39
	v_add_co_ci_u32_e64 v20, null, 0, v40, s40
	global_load_dwordx2 v[19:20], v[19:20], off offset:512
	s_or_b32 exec_lo, exec_lo, s50
	s_mov_b32 s50, exec_lo
	v_cmpx_lt_u32_e64 v108, v155
	s_cbranch_execz .LBB1044_1154
.LBB1044_1224:                          ;   in Loop: Header=BB1044_1040 Depth=2
	v_add_co_u32 v15, s40, 0x800, v39
	v_add_co_ci_u32_e64 v16, null, 0, v40, s40
	global_load_dwordx2 v[15:16], v[15:16], off offset:768
	s_or_b32 exec_lo, exec_lo, s50
	s_mov_b32 s50, exec_lo
	v_cmpx_lt_u32_e64 v128, v155
	s_cbranch_execz .LBB1044_1155
.LBB1044_1225:                          ;   in Loop: Header=BB1044_1040 Depth=2
	v_add_co_u32 v13, s40, 0x800, v39
	v_add_co_ci_u32_e64 v14, null, 0, v40, s40
	global_load_dwordx2 v[13:14], v[13:14], off offset:1024
	s_or_b32 exec_lo, exec_lo, s50
	s_mov_b32 s50, exec_lo
	v_cmpx_lt_u32_e64 v129, v155
	s_cbranch_execz .LBB1044_1156
.LBB1044_1226:                          ;   in Loop: Header=BB1044_1040 Depth=2
	v_add_co_u32 v11, s40, 0x800, v39
	v_add_co_ci_u32_e64 v12, null, 0, v40, s40
	global_load_dwordx2 v[11:12], v[11:12], off offset:1280
	s_or_b32 exec_lo, exec_lo, s50
	s_mov_b32 s50, exec_lo
	v_cmpx_lt_u32_e64 v130, v155
	s_cbranch_execz .LBB1044_1157
.LBB1044_1227:                          ;   in Loop: Header=BB1044_1040 Depth=2
	v_add_co_u32 v9, s40, 0x800, v39
	v_add_co_ci_u32_e64 v10, null, 0, v40, s40
	global_load_dwordx2 v[9:10], v[9:10], off offset:1536
	s_or_b32 exec_lo, exec_lo, s50
	s_mov_b32 s50, exec_lo
	v_cmpx_lt_u32_e64 v131, v155
	s_cbranch_execz .LBB1044_1158
.LBB1044_1228:                          ;   in Loop: Header=BB1044_1040 Depth=2
	v_add_co_u32 v7, s40, 0x800, v39
	v_add_co_ci_u32_e64 v8, null, 0, v40, s40
	global_load_dwordx2 v[7:8], v[7:8], off offset:1792
	s_or_b32 exec_lo, exec_lo, s50
	s_mov_b32 s50, exec_lo
	v_cmpx_lt_u32_e64 v132, v155
	s_cbranch_execz .LBB1044_1159
.LBB1044_1229:                          ;   in Loop: Header=BB1044_1040 Depth=2
	v_add_co_u32 v5, s40, 0x1000, v39
	v_add_co_ci_u32_e64 v6, null, 0, v40, s40
	global_load_dwordx2 v[5:6], v[5:6], off
	s_or_b32 exec_lo, exec_lo, s50
	s_and_saveexec_b32 s40, vcc_lo
	s_cbranch_execz .LBB1044_1160
.LBB1044_1230:                          ;   in Loop: Header=BB1044_1040 Depth=2
	ds_read_u16 v3, v74 offset:512
	s_waitcnt lgkmcnt(0)
	v_lshrrev_b32_e32 v3, s41, v3
	v_and_b32_e32 v153, s62, v3
	s_or_b32 exec_lo, exec_lo, s40
	s_and_saveexec_b32 s40, s23
	s_cbranch_execz .LBB1044_1161
.LBB1044_1231:                          ;   in Loop: Header=BB1044_1040 Depth=2
	ds_read_u16 v3, v74 offset:1024
	s_waitcnt lgkmcnt(0)
	v_lshrrev_b32_e32 v3, s41, v3
	v_and_b32_e32 v152, s62, v3
	s_or_b32 exec_lo, exec_lo, s40
	s_and_saveexec_b32 s40, s24
	s_cbranch_execz .LBB1044_1162
.LBB1044_1232:                          ;   in Loop: Header=BB1044_1040 Depth=2
	ds_read_u16 v3, v74 offset:1536
	s_waitcnt lgkmcnt(0)
	v_lshrrev_b32_e32 v3, s41, v3
	v_and_b32_e32 v150, s62, v3
	s_or_b32 exec_lo, exec_lo, s40
	s_and_saveexec_b32 s40, s25
	s_cbranch_execz .LBB1044_1163
.LBB1044_1233:                          ;   in Loop: Header=BB1044_1040 Depth=2
	ds_read_u16 v3, v74 offset:2048
	s_waitcnt lgkmcnt(0)
	v_lshrrev_b32_e32 v3, s41, v3
	v_and_b32_e32 v149, s62, v3
	s_or_b32 exec_lo, exec_lo, s40
	s_and_saveexec_b32 s40, s26
	s_cbranch_execz .LBB1044_1164
.LBB1044_1234:                          ;   in Loop: Header=BB1044_1040 Depth=2
	ds_read_u16 v3, v74 offset:2560
	s_waitcnt lgkmcnt(0)
	v_lshrrev_b32_e32 v3, s41, v3
	v_and_b32_e32 v148, s62, v3
	s_or_b32 exec_lo, exec_lo, s40
	s_and_saveexec_b32 s40, s27
	s_cbranch_execz .LBB1044_1165
.LBB1044_1235:                          ;   in Loop: Header=BB1044_1040 Depth=2
	ds_read_u16 v3, v74 offset:3072
	s_waitcnt lgkmcnt(0)
	v_lshrrev_b32_e32 v3, s41, v3
	v_and_b32_e32 v147, s62, v3
	s_or_b32 exec_lo, exec_lo, s40
	s_and_saveexec_b32 s40, s28
	s_cbranch_execz .LBB1044_1166
.LBB1044_1236:                          ;   in Loop: Header=BB1044_1040 Depth=2
	ds_read_u16 v3, v74 offset:3584
	s_waitcnt lgkmcnt(0)
	v_lshrrev_b32_e32 v3, s41, v3
	v_and_b32_e32 v146, s62, v3
	s_or_b32 exec_lo, exec_lo, s40
	s_and_saveexec_b32 s40, s29
	s_cbranch_execz .LBB1044_1167
.LBB1044_1237:                          ;   in Loop: Header=BB1044_1040 Depth=2
	ds_read_u16 v3, v74 offset:4096
	s_waitcnt lgkmcnt(0)
	v_lshrrev_b32_e32 v3, s41, v3
	v_and_b32_e32 v145, s62, v3
	s_or_b32 exec_lo, exec_lo, s40
	s_and_saveexec_b32 s40, s30
	s_cbranch_execz .LBB1044_1168
.LBB1044_1238:                          ;   in Loop: Header=BB1044_1040 Depth=2
	ds_read_u16 v3, v74 offset:4608
	s_waitcnt lgkmcnt(0)
	v_lshrrev_b32_e32 v3, s41, v3
	v_and_b32_e32 v144, s62, v3
	s_or_b32 exec_lo, exec_lo, s40
	s_and_saveexec_b32 s40, s31
	s_cbranch_execz .LBB1044_1169
.LBB1044_1239:                          ;   in Loop: Header=BB1044_1040 Depth=2
	ds_read_u16 v3, v74 offset:5120
	s_waitcnt lgkmcnt(0)
	v_lshrrev_b32_e32 v3, s41, v3
	v_and_b32_e32 v143, s62, v3
	s_or_b32 exec_lo, exec_lo, s40
	s_and_saveexec_b32 s40, s33
	s_cbranch_execz .LBB1044_1170
.LBB1044_1240:                          ;   in Loop: Header=BB1044_1040 Depth=2
	ds_read_u16 v3, v74 offset:5632
	s_waitcnt lgkmcnt(0)
	v_lshrrev_b32_e32 v3, s41, v3
	v_and_b32_e32 v142, s62, v3
	s_or_b32 exec_lo, exec_lo, s40
	s_and_saveexec_b32 s40, s34
	s_cbranch_execz .LBB1044_1171
.LBB1044_1241:                          ;   in Loop: Header=BB1044_1040 Depth=2
	ds_read_u16 v3, v74 offset:6144
	s_waitcnt lgkmcnt(0)
	v_lshrrev_b32_e32 v3, s41, v3
	v_and_b32_e32 v141, s62, v3
	s_or_b32 exec_lo, exec_lo, s40
	s_and_saveexec_b32 s40, s35
	s_cbranch_execz .LBB1044_1172
.LBB1044_1242:                          ;   in Loop: Header=BB1044_1040 Depth=2
	ds_read_u16 v3, v74 offset:6656
	s_waitcnt lgkmcnt(0)
	v_lshrrev_b32_e32 v3, s41, v3
	v_and_b32_e32 v140, s62, v3
	s_or_b32 exec_lo, exec_lo, s40
	s_and_saveexec_b32 s40, s36
	s_cbranch_execz .LBB1044_1173
.LBB1044_1243:                          ;   in Loop: Header=BB1044_1040 Depth=2
	ds_read_u16 v3, v74 offset:7168
	s_waitcnt lgkmcnt(0)
	v_lshrrev_b32_e32 v3, s41, v3
	v_and_b32_e32 v139, s62, v3
	s_or_b32 exec_lo, exec_lo, s40
	s_and_saveexec_b32 s40, s37
	s_cbranch_execz .LBB1044_1174
.LBB1044_1244:                          ;   in Loop: Header=BB1044_1040 Depth=2
	ds_read_u16 v3, v74 offset:7680
	s_waitcnt lgkmcnt(0)
	v_lshrrev_b32_e32 v3, s41, v3
	v_and_b32_e32 v138, s62, v3
	s_or_b32 exec_lo, exec_lo, s40
	s_and_saveexec_b32 s40, s38
	s_cbranch_execz .LBB1044_1175
.LBB1044_1245:                          ;   in Loop: Header=BB1044_1040 Depth=2
	ds_read_u16 v3, v74 offset:8192
	s_waitcnt lgkmcnt(0)
	v_lshrrev_b32_e32 v3, s41, v3
	v_and_b32_e32 v137, s62, v3
	s_or_b32 exec_lo, exec_lo, s40
	s_and_saveexec_b32 s40, s39
	s_cbranch_execnz .LBB1044_1176
	s_branch .LBB1044_1177
.LBB1044_1246:                          ;   in Loop: Header=BB1044_1040 Depth=2
	v_lshlrev_b32_e32 v3, 2, v153
	ds_read_b32 v3, v3
	ds_read_b64 v[40:41], v39 offset:512
	s_waitcnt lgkmcnt(1)
	v_add_nc_u32_e32 v3, v3, v0
	v_lshlrev_b64 v[155:156], 3, v[3:4]
	v_add_co_u32 v155, vcc_lo, s54, v155
	v_add_co_ci_u32_e64 v156, null, s55, v156, vcc_lo
	s_waitcnt lgkmcnt(0)
	global_store_dwordx2 v[155:156], v[40:41], off
	s_or_b32 exec_lo, exec_lo, s40
	s_and_saveexec_b32 s40, s23
	s_cbranch_execz .LBB1044_1179
.LBB1044_1247:                          ;   in Loop: Header=BB1044_1040 Depth=2
	v_lshlrev_b32_e32 v3, 2, v152
	ds_read_b32 v3, v3
	ds_read_b64 v[40:41], v39 offset:2560
	s_waitcnt lgkmcnt(1)
	v_add_nc_u32_e32 v3, v3, v44
	v_lshlrev_b64 v[155:156], 3, v[3:4]
	v_add_co_u32 v155, vcc_lo, s54, v155
	v_add_co_ci_u32_e64 v156, null, s55, v156, vcc_lo
	s_waitcnt lgkmcnt(0)
	global_store_dwordx2 v[155:156], v[40:41], off
	s_or_b32 exec_lo, exec_lo, s40
	s_and_saveexec_b32 s23, s24
	s_cbranch_execz .LBB1044_1180
.LBB1044_1248:                          ;   in Loop: Header=BB1044_1040 Depth=2
	v_lshlrev_b32_e32 v3, 2, v150
	ds_read_b32 v3, v3
	ds_read_b64 v[40:41], v39 offset:4608
	s_waitcnt lgkmcnt(1)
	v_add_nc_u32_e32 v3, v3, v47
	v_lshlrev_b64 v[155:156], 3, v[3:4]
	v_add_co_u32 v155, vcc_lo, s54, v155
	v_add_co_ci_u32_e64 v156, null, s55, v156, vcc_lo
	s_waitcnt lgkmcnt(0)
	global_store_dwordx2 v[155:156], v[40:41], off
	s_or_b32 exec_lo, exec_lo, s23
	s_and_saveexec_b32 s23, s25
	s_cbranch_execz .LBB1044_1181
.LBB1044_1249:                          ;   in Loop: Header=BB1044_1040 Depth=2
	v_lshlrev_b32_e32 v3, 2, v149
	ds_read_b32 v3, v3
	ds_read_b64 v[40:41], v39 offset:6656
	s_waitcnt lgkmcnt(1)
	v_add_nc_u32_e32 v3, v3, v48
	v_lshlrev_b64 v[155:156], 3, v[3:4]
	v_add_co_u32 v155, vcc_lo, s54, v155
	v_add_co_ci_u32_e64 v156, null, s55, v156, vcc_lo
	s_waitcnt lgkmcnt(0)
	global_store_dwordx2 v[155:156], v[40:41], off
	s_or_b32 exec_lo, exec_lo, s23
	s_and_saveexec_b32 s23, s26
	s_cbranch_execz .LBB1044_1182
.LBB1044_1250:                          ;   in Loop: Header=BB1044_1040 Depth=2
	v_lshlrev_b32_e32 v3, 2, v148
	ds_read_b32 v3, v3
	ds_read_b64 v[40:41], v39 offset:8704
	s_waitcnt lgkmcnt(1)
	v_add_nc_u32_e32 v3, v3, v49
	v_lshlrev_b64 v[155:156], 3, v[3:4]
	v_add_co_u32 v155, vcc_lo, s54, v155
	v_add_co_ci_u32_e64 v156, null, s55, v156, vcc_lo
	s_waitcnt lgkmcnt(0)
	global_store_dwordx2 v[155:156], v[40:41], off
	s_or_b32 exec_lo, exec_lo, s23
	s_and_saveexec_b32 s23, s27
	s_cbranch_execz .LBB1044_1183
.LBB1044_1251:                          ;   in Loop: Header=BB1044_1040 Depth=2
	v_lshlrev_b32_e32 v3, 2, v147
	ds_read_b32 v3, v3
	ds_read_b64 v[40:41], v39 offset:10752
	s_waitcnt lgkmcnt(1)
	v_add_nc_u32_e32 v3, v3, v50
	v_lshlrev_b64 v[155:156], 3, v[3:4]
	v_add_co_u32 v155, vcc_lo, s54, v155
	v_add_co_ci_u32_e64 v156, null, s55, v156, vcc_lo
	s_waitcnt lgkmcnt(0)
	global_store_dwordx2 v[155:156], v[40:41], off
	s_or_b32 exec_lo, exec_lo, s23
	s_and_saveexec_b32 s23, s28
	s_cbranch_execz .LBB1044_1184
.LBB1044_1252:                          ;   in Loop: Header=BB1044_1040 Depth=2
	v_lshlrev_b32_e32 v3, 2, v146
	ds_read_b32 v3, v3
	ds_read_b64 v[40:41], v39 offset:12800
	s_waitcnt lgkmcnt(1)
	v_add_nc_u32_e32 v3, v3, v51
	v_lshlrev_b64 v[155:156], 3, v[3:4]
	v_add_co_u32 v155, vcc_lo, s54, v155
	v_add_co_ci_u32_e64 v156, null, s55, v156, vcc_lo
	s_waitcnt lgkmcnt(0)
	global_store_dwordx2 v[155:156], v[40:41], off
	s_or_b32 exec_lo, exec_lo, s23
	s_and_saveexec_b32 s23, s29
	s_cbranch_execz .LBB1044_1185
.LBB1044_1253:                          ;   in Loop: Header=BB1044_1040 Depth=2
	v_lshlrev_b32_e32 v3, 2, v145
	ds_read_b32 v3, v3
	ds_read_b64 v[40:41], v39 offset:14848
	s_waitcnt lgkmcnt(1)
	v_add_nc_u32_e32 v3, v3, v52
	v_lshlrev_b64 v[155:156], 3, v[3:4]
	v_add_co_u32 v155, vcc_lo, s54, v155
	v_add_co_ci_u32_e64 v156, null, s55, v156, vcc_lo
	s_waitcnt lgkmcnt(0)
	global_store_dwordx2 v[155:156], v[40:41], off
	s_or_b32 exec_lo, exec_lo, s23
	s_and_saveexec_b32 s23, s30
	s_cbranch_execz .LBB1044_1186
.LBB1044_1254:                          ;   in Loop: Header=BB1044_1040 Depth=2
	v_lshlrev_b32_e32 v3, 2, v144
	ds_read_b32 v3, v3
	ds_read_b64 v[40:41], v39 offset:16896
	s_waitcnt lgkmcnt(1)
	v_add_nc_u32_e32 v3, v3, v53
	v_lshlrev_b64 v[155:156], 3, v[3:4]
	v_add_co_u32 v155, vcc_lo, s54, v155
	v_add_co_ci_u32_e64 v156, null, s55, v156, vcc_lo
	s_waitcnt lgkmcnt(0)
	global_store_dwordx2 v[155:156], v[40:41], off
	s_or_b32 exec_lo, exec_lo, s23
	s_and_saveexec_b32 s23, s31
	s_cbranch_execz .LBB1044_1187
.LBB1044_1255:                          ;   in Loop: Header=BB1044_1040 Depth=2
	v_lshlrev_b32_e32 v3, 2, v143
	ds_read_b32 v3, v3
	ds_read_b64 v[40:41], v39 offset:18944
	s_waitcnt lgkmcnt(1)
	v_add_nc_u32_e32 v3, v3, v54
	v_lshlrev_b64 v[155:156], 3, v[3:4]
	v_add_co_u32 v155, vcc_lo, s54, v155
	v_add_co_ci_u32_e64 v156, null, s55, v156, vcc_lo
	s_waitcnt lgkmcnt(0)
	global_store_dwordx2 v[155:156], v[40:41], off
	s_or_b32 exec_lo, exec_lo, s23
	s_and_saveexec_b32 s23, s33
	s_cbranch_execz .LBB1044_1188
.LBB1044_1256:                          ;   in Loop: Header=BB1044_1040 Depth=2
	v_lshlrev_b32_e32 v3, 2, v142
	ds_read_b32 v3, v3
	ds_read_b64 v[40:41], v39 offset:20992
	s_waitcnt lgkmcnt(1)
	v_add_nc_u32_e32 v3, v3, v55
	v_lshlrev_b64 v[155:156], 3, v[3:4]
	v_add_co_u32 v155, vcc_lo, s54, v155
	v_add_co_ci_u32_e64 v156, null, s55, v156, vcc_lo
	s_waitcnt lgkmcnt(0)
	global_store_dwordx2 v[155:156], v[40:41], off
	s_or_b32 exec_lo, exec_lo, s23
	s_and_saveexec_b32 s23, s34
	s_cbranch_execz .LBB1044_1189
.LBB1044_1257:                          ;   in Loop: Header=BB1044_1040 Depth=2
	v_lshlrev_b32_e32 v3, 2, v141
	ds_read_b32 v3, v3
	ds_read_b64 v[40:41], v39 offset:23040
	s_waitcnt lgkmcnt(1)
	v_add_nc_u32_e32 v3, v3, v56
	v_lshlrev_b64 v[155:156], 3, v[3:4]
	v_add_co_u32 v155, vcc_lo, s54, v155
	v_add_co_ci_u32_e64 v156, null, s55, v156, vcc_lo
	s_waitcnt lgkmcnt(0)
	global_store_dwordx2 v[155:156], v[40:41], off
	s_or_b32 exec_lo, exec_lo, s23
	s_and_saveexec_b32 s23, s35
	s_cbranch_execz .LBB1044_1190
.LBB1044_1258:                          ;   in Loop: Header=BB1044_1040 Depth=2
	v_lshlrev_b32_e32 v3, 2, v140
	ds_read_b32 v3, v3
	ds_read_b64 v[40:41], v39 offset:25088
	s_waitcnt lgkmcnt(1)
	v_add_nc_u32_e32 v3, v3, v57
	v_lshlrev_b64 v[155:156], 3, v[3:4]
	v_add_co_u32 v155, vcc_lo, s54, v155
	v_add_co_ci_u32_e64 v156, null, s55, v156, vcc_lo
	s_waitcnt lgkmcnt(0)
	global_store_dwordx2 v[155:156], v[40:41], off
	s_or_b32 exec_lo, exec_lo, s23
	s_and_saveexec_b32 s23, s36
	s_cbranch_execz .LBB1044_1191
.LBB1044_1259:                          ;   in Loop: Header=BB1044_1040 Depth=2
	v_lshlrev_b32_e32 v3, 2, v139
	ds_read_b32 v3, v3
	ds_read_b64 v[40:41], v39 offset:27136
	s_waitcnt lgkmcnt(1)
	v_add_nc_u32_e32 v3, v3, v58
	v_lshlrev_b64 v[155:156], 3, v[3:4]
	v_add_co_u32 v155, vcc_lo, s54, v155
	v_add_co_ci_u32_e64 v156, null, s55, v156, vcc_lo
	s_waitcnt lgkmcnt(0)
	global_store_dwordx2 v[155:156], v[40:41], off
	s_or_b32 exec_lo, exec_lo, s23
	s_and_saveexec_b32 s23, s37
	s_cbranch_execz .LBB1044_1192
.LBB1044_1260:                          ;   in Loop: Header=BB1044_1040 Depth=2
	v_lshlrev_b32_e32 v3, 2, v138
	ds_read_b32 v3, v3
	ds_read_b64 v[40:41], v39 offset:29184
	s_waitcnt lgkmcnt(1)
	v_add_nc_u32_e32 v3, v3, v59
	v_lshlrev_b64 v[155:156], 3, v[3:4]
	v_add_co_u32 v155, vcc_lo, s54, v155
	v_add_co_ci_u32_e64 v156, null, s55, v156, vcc_lo
	s_waitcnt lgkmcnt(0)
	global_store_dwordx2 v[155:156], v[40:41], off
	s_or_b32 exec_lo, exec_lo, s23
	s_and_saveexec_b32 s23, s38
	s_cbranch_execz .LBB1044_1193
.LBB1044_1261:                          ;   in Loop: Header=BB1044_1040 Depth=2
	v_lshlrev_b32_e32 v3, 2, v137
	ds_read_b32 v3, v3
	ds_read_b64 v[40:41], v39 offset:31232
	s_waitcnt lgkmcnt(1)
	v_add_nc_u32_e32 v3, v3, v60
	v_lshlrev_b64 v[155:156], 3, v[3:4]
	v_add_co_u32 v155, vcc_lo, s54, v155
	v_add_co_ci_u32_e64 v156, null, s55, v156, vcc_lo
	s_waitcnt lgkmcnt(0)
	global_store_dwordx2 v[155:156], v[40:41], off
	s_or_b32 exec_lo, exec_lo, s23
	s_and_saveexec_b32 s23, s39
	s_cbranch_execnz .LBB1044_1194
	s_branch .LBB1044_1195
.LBB1044_1262:
	s_endpgm
	.section	.rodata,"a",@progbits
	.p2align	6, 0x0
	.amdhsa_kernel _ZN7rocprim17ROCPRIM_400000_NS6detail17trampoline_kernelINS0_14default_configENS1_36segmented_radix_sort_config_selectorIslEEZNS1_25segmented_radix_sort_implIS3_Lb0EPKsPsPKlPlN2at6native12_GLOBAL__N_18offset_tEEE10hipError_tPvRmT1_PNSt15iterator_traitsISK_E10value_typeET2_T3_PNSL_ISQ_E10value_typeET4_jRbjT5_SW_jjP12ihipStream_tbEUlT_E2_NS1_11comp_targetILNS1_3genE8ELNS1_11target_archE1030ELNS1_3gpuE2ELNS1_3repE0EEENS1_30default_config_static_selectorELNS0_4arch9wavefront6targetE0EEEvSK_
		.amdhsa_group_segment_fixed_size 35344
		.amdhsa_private_segment_fixed_size 196
		.amdhsa_kernarg_size 336
		.amdhsa_user_sgpr_count 6
		.amdhsa_user_sgpr_private_segment_buffer 1
		.amdhsa_user_sgpr_dispatch_ptr 0
		.amdhsa_user_sgpr_queue_ptr 0
		.amdhsa_user_sgpr_kernarg_segment_ptr 1
		.amdhsa_user_sgpr_dispatch_id 0
		.amdhsa_user_sgpr_flat_scratch_init 0
		.amdhsa_user_sgpr_private_segment_size 0
		.amdhsa_wavefront_size32 1
		.amdhsa_uses_dynamic_stack 0
		.amdhsa_system_sgpr_private_segment_wavefront_offset 1
		.amdhsa_system_sgpr_workgroup_id_x 1
		.amdhsa_system_sgpr_workgroup_id_y 1
		.amdhsa_system_sgpr_workgroup_id_z 0
		.amdhsa_system_sgpr_workgroup_info 0
		.amdhsa_system_vgpr_workitem_id 2
		.amdhsa_next_free_vgpr 248
		.amdhsa_next_free_sgpr 68
		.amdhsa_reserve_vcc 1
		.amdhsa_reserve_flat_scratch 0
		.amdhsa_float_round_mode_32 0
		.amdhsa_float_round_mode_16_64 0
		.amdhsa_float_denorm_mode_32 3
		.amdhsa_float_denorm_mode_16_64 3
		.amdhsa_dx10_clamp 1
		.amdhsa_ieee_mode 1
		.amdhsa_fp16_overflow 0
		.amdhsa_workgroup_processor_mode 1
		.amdhsa_memory_ordered 1
		.amdhsa_forward_progress 1
		.amdhsa_shared_vgpr_count 0
		.amdhsa_exception_fp_ieee_invalid_op 0
		.amdhsa_exception_fp_denorm_src 0
		.amdhsa_exception_fp_ieee_div_zero 0
		.amdhsa_exception_fp_ieee_overflow 0
		.amdhsa_exception_fp_ieee_underflow 0
		.amdhsa_exception_fp_ieee_inexact 0
		.amdhsa_exception_int_div_zero 0
	.end_amdhsa_kernel
	.section	.text._ZN7rocprim17ROCPRIM_400000_NS6detail17trampoline_kernelINS0_14default_configENS1_36segmented_radix_sort_config_selectorIslEEZNS1_25segmented_radix_sort_implIS3_Lb0EPKsPsPKlPlN2at6native12_GLOBAL__N_18offset_tEEE10hipError_tPvRmT1_PNSt15iterator_traitsISK_E10value_typeET2_T3_PNSL_ISQ_E10value_typeET4_jRbjT5_SW_jjP12ihipStream_tbEUlT_E2_NS1_11comp_targetILNS1_3genE8ELNS1_11target_archE1030ELNS1_3gpuE2ELNS1_3repE0EEENS1_30default_config_static_selectorELNS0_4arch9wavefront6targetE0EEEvSK_,"axG",@progbits,_ZN7rocprim17ROCPRIM_400000_NS6detail17trampoline_kernelINS0_14default_configENS1_36segmented_radix_sort_config_selectorIslEEZNS1_25segmented_radix_sort_implIS3_Lb0EPKsPsPKlPlN2at6native12_GLOBAL__N_18offset_tEEE10hipError_tPvRmT1_PNSt15iterator_traitsISK_E10value_typeET2_T3_PNSL_ISQ_E10value_typeET4_jRbjT5_SW_jjP12ihipStream_tbEUlT_E2_NS1_11comp_targetILNS1_3genE8ELNS1_11target_archE1030ELNS1_3gpuE2ELNS1_3repE0EEENS1_30default_config_static_selectorELNS0_4arch9wavefront6targetE0EEEvSK_,comdat
.Lfunc_end1044:
	.size	_ZN7rocprim17ROCPRIM_400000_NS6detail17trampoline_kernelINS0_14default_configENS1_36segmented_radix_sort_config_selectorIslEEZNS1_25segmented_radix_sort_implIS3_Lb0EPKsPsPKlPlN2at6native12_GLOBAL__N_18offset_tEEE10hipError_tPvRmT1_PNSt15iterator_traitsISK_E10value_typeET2_T3_PNSL_ISQ_E10value_typeET4_jRbjT5_SW_jjP12ihipStream_tbEUlT_E2_NS1_11comp_targetILNS1_3genE8ELNS1_11target_archE1030ELNS1_3gpuE2ELNS1_3repE0EEENS1_30default_config_static_selectorELNS0_4arch9wavefront6targetE0EEEvSK_, .Lfunc_end1044-_ZN7rocprim17ROCPRIM_400000_NS6detail17trampoline_kernelINS0_14default_configENS1_36segmented_radix_sort_config_selectorIslEEZNS1_25segmented_radix_sort_implIS3_Lb0EPKsPsPKlPlN2at6native12_GLOBAL__N_18offset_tEEE10hipError_tPvRmT1_PNSt15iterator_traitsISK_E10value_typeET2_T3_PNSL_ISQ_E10value_typeET4_jRbjT5_SW_jjP12ihipStream_tbEUlT_E2_NS1_11comp_targetILNS1_3genE8ELNS1_11target_archE1030ELNS1_3gpuE2ELNS1_3repE0EEENS1_30default_config_static_selectorELNS0_4arch9wavefront6targetE0EEEvSK_
                                        ; -- End function
	.set _ZN7rocprim17ROCPRIM_400000_NS6detail17trampoline_kernelINS0_14default_configENS1_36segmented_radix_sort_config_selectorIslEEZNS1_25segmented_radix_sort_implIS3_Lb0EPKsPsPKlPlN2at6native12_GLOBAL__N_18offset_tEEE10hipError_tPvRmT1_PNSt15iterator_traitsISK_E10value_typeET2_T3_PNSL_ISQ_E10value_typeET4_jRbjT5_SW_jjP12ihipStream_tbEUlT_E2_NS1_11comp_targetILNS1_3genE8ELNS1_11target_archE1030ELNS1_3gpuE2ELNS1_3repE0EEENS1_30default_config_static_selectorELNS0_4arch9wavefront6targetE0EEEvSK_.num_vgpr, max(226, .L_ZN7rocprim17ROCPRIM_400000_NS6detail26segmented_warp_sort_helperINS1_20WarpSortHelperConfigILj32ELj4ELj256EEEslLi256ELb0EvE4sortIPKsPsPKlPlEEvT_T0_T1_T2_jjjjRNS5_12storage_typeE.num_vgpr, .L_ZN7rocprim17ROCPRIM_400000_NS6detail40segmented_radix_sort_single_block_helperIslLj256ELj17ELb0EE4sortIPKsPsPKlPlEEbT_T0_T1_T2_jjjjRNS3_12storage_typeE.num_vgpr)
	.set _ZN7rocprim17ROCPRIM_400000_NS6detail17trampoline_kernelINS0_14default_configENS1_36segmented_radix_sort_config_selectorIslEEZNS1_25segmented_radix_sort_implIS3_Lb0EPKsPsPKlPlN2at6native12_GLOBAL__N_18offset_tEEE10hipError_tPvRmT1_PNSt15iterator_traitsISK_E10value_typeET2_T3_PNSL_ISQ_E10value_typeET4_jRbjT5_SW_jjP12ihipStream_tbEUlT_E2_NS1_11comp_targetILNS1_3genE8ELNS1_11target_archE1030ELNS1_3gpuE2ELNS1_3repE0EEENS1_30default_config_static_selectorELNS0_4arch9wavefront6targetE0EEEvSK_.num_agpr, max(0, .L_ZN7rocprim17ROCPRIM_400000_NS6detail26segmented_warp_sort_helperINS1_20WarpSortHelperConfigILj32ELj4ELj256EEEslLi256ELb0EvE4sortIPKsPsPKlPlEEvT_T0_T1_T2_jjjjRNS5_12storage_typeE.num_agpr, .L_ZN7rocprim17ROCPRIM_400000_NS6detail40segmented_radix_sort_single_block_helperIslLj256ELj17ELb0EE4sortIPKsPsPKlPlEEbT_T0_T1_T2_jjjjRNS3_12storage_typeE.num_agpr)
	.set _ZN7rocprim17ROCPRIM_400000_NS6detail17trampoline_kernelINS0_14default_configENS1_36segmented_radix_sort_config_selectorIslEEZNS1_25segmented_radix_sort_implIS3_Lb0EPKsPsPKlPlN2at6native12_GLOBAL__N_18offset_tEEE10hipError_tPvRmT1_PNSt15iterator_traitsISK_E10value_typeET2_T3_PNSL_ISQ_E10value_typeET4_jRbjT5_SW_jjP12ihipStream_tbEUlT_E2_NS1_11comp_targetILNS1_3genE8ELNS1_11target_archE1030ELNS1_3gpuE2ELNS1_3repE0EEENS1_30default_config_static_selectorELNS0_4arch9wavefront6targetE0EEEvSK_.numbered_sgpr, max(68, .L_ZN7rocprim17ROCPRIM_400000_NS6detail26segmented_warp_sort_helperINS1_20WarpSortHelperConfigILj32ELj4ELj256EEEslLi256ELb0EvE4sortIPKsPsPKlPlEEvT_T0_T1_T2_jjjjRNS5_12storage_typeE.numbered_sgpr, .L_ZN7rocprim17ROCPRIM_400000_NS6detail40segmented_radix_sort_single_block_helperIslLj256ELj17ELb0EE4sortIPKsPsPKlPlEEbT_T0_T1_T2_jjjjRNS3_12storage_typeE.numbered_sgpr)
	.set _ZN7rocprim17ROCPRIM_400000_NS6detail17trampoline_kernelINS0_14default_configENS1_36segmented_radix_sort_config_selectorIslEEZNS1_25segmented_radix_sort_implIS3_Lb0EPKsPsPKlPlN2at6native12_GLOBAL__N_18offset_tEEE10hipError_tPvRmT1_PNSt15iterator_traitsISK_E10value_typeET2_T3_PNSL_ISQ_E10value_typeET4_jRbjT5_SW_jjP12ihipStream_tbEUlT_E2_NS1_11comp_targetILNS1_3genE8ELNS1_11target_archE1030ELNS1_3gpuE2ELNS1_3repE0EEENS1_30default_config_static_selectorELNS0_4arch9wavefront6targetE0EEEvSK_.num_named_barrier, max(0, .L_ZN7rocprim17ROCPRIM_400000_NS6detail26segmented_warp_sort_helperINS1_20WarpSortHelperConfigILj32ELj4ELj256EEEslLi256ELb0EvE4sortIPKsPsPKlPlEEvT_T0_T1_T2_jjjjRNS5_12storage_typeE.num_named_barrier, .L_ZN7rocprim17ROCPRIM_400000_NS6detail40segmented_radix_sort_single_block_helperIslLj256ELj17ELb0EE4sortIPKsPsPKlPlEEbT_T0_T1_T2_jjjjRNS3_12storage_typeE.num_named_barrier)
	.set _ZN7rocprim17ROCPRIM_400000_NS6detail17trampoline_kernelINS0_14default_configENS1_36segmented_radix_sort_config_selectorIslEEZNS1_25segmented_radix_sort_implIS3_Lb0EPKsPsPKlPlN2at6native12_GLOBAL__N_18offset_tEEE10hipError_tPvRmT1_PNSt15iterator_traitsISK_E10value_typeET2_T3_PNSL_ISQ_E10value_typeET4_jRbjT5_SW_jjP12ihipStream_tbEUlT_E2_NS1_11comp_targetILNS1_3genE8ELNS1_11target_archE1030ELNS1_3gpuE2ELNS1_3repE0EEENS1_30default_config_static_selectorELNS0_4arch9wavefront6targetE0EEEvSK_.private_seg_size, 0+max(.L_ZN7rocprim17ROCPRIM_400000_NS6detail26segmented_warp_sort_helperINS1_20WarpSortHelperConfigILj32ELj4ELj256EEEslLi256ELb0EvE4sortIPKsPsPKlPlEEvT_T0_T1_T2_jjjjRNS5_12storage_typeE.private_seg_size, .L_ZN7rocprim17ROCPRIM_400000_NS6detail40segmented_radix_sort_single_block_helperIslLj256ELj17ELb0EE4sortIPKsPsPKlPlEEbT_T0_T1_T2_jjjjRNS3_12storage_typeE.private_seg_size)
	.set _ZN7rocprim17ROCPRIM_400000_NS6detail17trampoline_kernelINS0_14default_configENS1_36segmented_radix_sort_config_selectorIslEEZNS1_25segmented_radix_sort_implIS3_Lb0EPKsPsPKlPlN2at6native12_GLOBAL__N_18offset_tEEE10hipError_tPvRmT1_PNSt15iterator_traitsISK_E10value_typeET2_T3_PNSL_ISQ_E10value_typeET4_jRbjT5_SW_jjP12ihipStream_tbEUlT_E2_NS1_11comp_targetILNS1_3genE8ELNS1_11target_archE1030ELNS1_3gpuE2ELNS1_3repE0EEENS1_30default_config_static_selectorELNS0_4arch9wavefront6targetE0EEEvSK_.uses_vcc, or(1, .L_ZN7rocprim17ROCPRIM_400000_NS6detail26segmented_warp_sort_helperINS1_20WarpSortHelperConfigILj32ELj4ELj256EEEslLi256ELb0EvE4sortIPKsPsPKlPlEEvT_T0_T1_T2_jjjjRNS5_12storage_typeE.uses_vcc, .L_ZN7rocprim17ROCPRIM_400000_NS6detail40segmented_radix_sort_single_block_helperIslLj256ELj17ELb0EE4sortIPKsPsPKlPlEEbT_T0_T1_T2_jjjjRNS3_12storage_typeE.uses_vcc)
	.set _ZN7rocprim17ROCPRIM_400000_NS6detail17trampoline_kernelINS0_14default_configENS1_36segmented_radix_sort_config_selectorIslEEZNS1_25segmented_radix_sort_implIS3_Lb0EPKsPsPKlPlN2at6native12_GLOBAL__N_18offset_tEEE10hipError_tPvRmT1_PNSt15iterator_traitsISK_E10value_typeET2_T3_PNSL_ISQ_E10value_typeET4_jRbjT5_SW_jjP12ihipStream_tbEUlT_E2_NS1_11comp_targetILNS1_3genE8ELNS1_11target_archE1030ELNS1_3gpuE2ELNS1_3repE0EEENS1_30default_config_static_selectorELNS0_4arch9wavefront6targetE0EEEvSK_.uses_flat_scratch, or(0, .L_ZN7rocprim17ROCPRIM_400000_NS6detail26segmented_warp_sort_helperINS1_20WarpSortHelperConfigILj32ELj4ELj256EEEslLi256ELb0EvE4sortIPKsPsPKlPlEEvT_T0_T1_T2_jjjjRNS5_12storage_typeE.uses_flat_scratch, .L_ZN7rocprim17ROCPRIM_400000_NS6detail40segmented_radix_sort_single_block_helperIslLj256ELj17ELb0EE4sortIPKsPsPKlPlEEbT_T0_T1_T2_jjjjRNS3_12storage_typeE.uses_flat_scratch)
	.set _ZN7rocprim17ROCPRIM_400000_NS6detail17trampoline_kernelINS0_14default_configENS1_36segmented_radix_sort_config_selectorIslEEZNS1_25segmented_radix_sort_implIS3_Lb0EPKsPsPKlPlN2at6native12_GLOBAL__N_18offset_tEEE10hipError_tPvRmT1_PNSt15iterator_traitsISK_E10value_typeET2_T3_PNSL_ISQ_E10value_typeET4_jRbjT5_SW_jjP12ihipStream_tbEUlT_E2_NS1_11comp_targetILNS1_3genE8ELNS1_11target_archE1030ELNS1_3gpuE2ELNS1_3repE0EEENS1_30default_config_static_selectorELNS0_4arch9wavefront6targetE0EEEvSK_.has_dyn_sized_stack, or(0, .L_ZN7rocprim17ROCPRIM_400000_NS6detail26segmented_warp_sort_helperINS1_20WarpSortHelperConfigILj32ELj4ELj256EEEslLi256ELb0EvE4sortIPKsPsPKlPlEEvT_T0_T1_T2_jjjjRNS5_12storage_typeE.has_dyn_sized_stack, .L_ZN7rocprim17ROCPRIM_400000_NS6detail40segmented_radix_sort_single_block_helperIslLj256ELj17ELb0EE4sortIPKsPsPKlPlEEbT_T0_T1_T2_jjjjRNS3_12storage_typeE.has_dyn_sized_stack)
	.set _ZN7rocprim17ROCPRIM_400000_NS6detail17trampoline_kernelINS0_14default_configENS1_36segmented_radix_sort_config_selectorIslEEZNS1_25segmented_radix_sort_implIS3_Lb0EPKsPsPKlPlN2at6native12_GLOBAL__N_18offset_tEEE10hipError_tPvRmT1_PNSt15iterator_traitsISK_E10value_typeET2_T3_PNSL_ISQ_E10value_typeET4_jRbjT5_SW_jjP12ihipStream_tbEUlT_E2_NS1_11comp_targetILNS1_3genE8ELNS1_11target_archE1030ELNS1_3gpuE2ELNS1_3repE0EEENS1_30default_config_static_selectorELNS0_4arch9wavefront6targetE0EEEvSK_.has_recursion, or(0, .L_ZN7rocprim17ROCPRIM_400000_NS6detail26segmented_warp_sort_helperINS1_20WarpSortHelperConfigILj32ELj4ELj256EEEslLi256ELb0EvE4sortIPKsPsPKlPlEEvT_T0_T1_T2_jjjjRNS5_12storage_typeE.has_recursion, .L_ZN7rocprim17ROCPRIM_400000_NS6detail40segmented_radix_sort_single_block_helperIslLj256ELj17ELb0EE4sortIPKsPsPKlPlEEbT_T0_T1_T2_jjjjRNS3_12storage_typeE.has_recursion)
	.set _ZN7rocprim17ROCPRIM_400000_NS6detail17trampoline_kernelINS0_14default_configENS1_36segmented_radix_sort_config_selectorIslEEZNS1_25segmented_radix_sort_implIS3_Lb0EPKsPsPKlPlN2at6native12_GLOBAL__N_18offset_tEEE10hipError_tPvRmT1_PNSt15iterator_traitsISK_E10value_typeET2_T3_PNSL_ISQ_E10value_typeET4_jRbjT5_SW_jjP12ihipStream_tbEUlT_E2_NS1_11comp_targetILNS1_3genE8ELNS1_11target_archE1030ELNS1_3gpuE2ELNS1_3repE0EEENS1_30default_config_static_selectorELNS0_4arch9wavefront6targetE0EEEvSK_.has_indirect_call, or(0, .L_ZN7rocprim17ROCPRIM_400000_NS6detail26segmented_warp_sort_helperINS1_20WarpSortHelperConfigILj32ELj4ELj256EEEslLi256ELb0EvE4sortIPKsPsPKlPlEEvT_T0_T1_T2_jjjjRNS5_12storage_typeE.has_indirect_call, .L_ZN7rocprim17ROCPRIM_400000_NS6detail40segmented_radix_sort_single_block_helperIslLj256ELj17ELb0EE4sortIPKsPsPKlPlEEbT_T0_T1_T2_jjjjRNS3_12storage_typeE.has_indirect_call)
	.section	.AMDGPU.csdata,"",@progbits
; Kernel info:
; codeLenInByte = 64592
; TotalNumSgprs: 70
; NumVgprs: 248
; ScratchSize: 196
; MemoryBound: 0
; FloatMode: 240
; IeeeMode: 1
; LDSByteSize: 35344 bytes/workgroup (compile time only)
; SGPRBlocks: 0
; VGPRBlocks: 30
; NumSGPRsForWavesPerEU: 70
; NumVGPRsForWavesPerEU: 248
; Occupancy: 4
; WaveLimiterHint : 1
; COMPUTE_PGM_RSRC2:SCRATCH_EN: 1
; COMPUTE_PGM_RSRC2:USER_SGPR: 6
; COMPUTE_PGM_RSRC2:TRAP_HANDLER: 0
; COMPUTE_PGM_RSRC2:TGID_X_EN: 1
; COMPUTE_PGM_RSRC2:TGID_Y_EN: 1
; COMPUTE_PGM_RSRC2:TGID_Z_EN: 0
; COMPUTE_PGM_RSRC2:TIDIG_COMP_CNT: 2
	.section	.text._ZN2at6native12_GLOBAL__N_123sort_postprocess_kernelIdEEvPKT_PS3_PlPK15HIP_vector_typeIiLj2EEii,"axG",@progbits,_ZN2at6native12_GLOBAL__N_123sort_postprocess_kernelIdEEvPKT_PS3_PlPK15HIP_vector_typeIiLj2EEii,comdat
	.globl	_ZN2at6native12_GLOBAL__N_123sort_postprocess_kernelIdEEvPKT_PS3_PlPK15HIP_vector_typeIiLj2EEii ; -- Begin function _ZN2at6native12_GLOBAL__N_123sort_postprocess_kernelIdEEvPKT_PS3_PlPK15HIP_vector_typeIiLj2EEii
	.p2align	8
	.type	_ZN2at6native12_GLOBAL__N_123sort_postprocess_kernelIdEEvPKT_PS3_PlPK15HIP_vector_typeIiLj2EEii,@function
_ZN2at6native12_GLOBAL__N_123sort_postprocess_kernelIdEEvPKT_PS3_PlPK15HIP_vector_typeIiLj2EEii: ; @_ZN2at6native12_GLOBAL__N_123sort_postprocess_kernelIdEEvPKT_PS3_PlPK15HIP_vector_typeIiLj2EEii
; %bb.0:
	s_clause 0x1
	s_load_dword s2, s[4:5], 0x34
	s_load_dwordx2 s[8:9], s[4:5], 0x20
	s_add_u32 s0, s4, 40
	s_addc_u32 s1, s5, 0
	s_waitcnt lgkmcnt(0)
	s_and_b32 s15, s2, 0xffff
	s_mul_i32 s13, s15, s6
	s_mul_hi_u32 s12, s15, s6
	v_add_co_u32 v1, s2, s13, v0
	v_add_co_ci_u32_e64 v2, null, s12, 0, s2
	s_mul_i32 s2, s9, s8
	s_ashr_i32 s3, s2, 31
	v_cmp_gt_i64_e32 vcc_lo, s[2:3], v[1:2]
	v_mov_b32_e32 v1, 0
	s_and_saveexec_b32 s6, vcc_lo
	s_cbranch_execz .LBB1045_3
; %bb.1:
	s_abs_i32 s14, s9
	s_load_dword s0, s[0:1], 0x0
	v_cvt_f32_u32_e32 v2, s14
	s_sub_i32 s1, 0, s14
	s_load_dwordx8 s[4:11], s[4:5], 0x0
	v_rcp_iflag_f32_e32 v2, v2
	v_mul_f32_e32 v2, 0x4f7ffffe, v2
	v_cvt_u32_f32_e32 v2, v2
	v_mul_lo_u32 v3, s1, v2
	s_waitcnt lgkmcnt(0)
	s_mul_i32 s1, s0, s15
	s_mov_b32 s15, 0
	v_mul_hi_u32 v3, v2, v3
	v_add_nc_u32_e32 v2, v2, v3
.LBB1045_2:                             ; =>This Inner Loop Header: Depth=1
	v_add_nc_u32_e32 v3, s13, v0
	v_sub_nc_u32_e32 v4, 0, v3
	v_ashrrev_i32_e32 v6, 31, v3
	v_max_i32_e32 v4, v3, v4
	v_add_nc_u32_e32 v3, v3, v6
	v_mul_hi_u32 v5, v4, v2
	v_mul_lo_u32 v5, v5, s14
	v_sub_nc_u32_e32 v4, v4, v5
	v_subrev_nc_u32_e32 v5, s14, v4
	v_cmp_le_u32_e32 vcc_lo, s14, v4
	v_cndmask_b32_e32 v4, v4, v5, vcc_lo
	v_subrev_nc_u32_e32 v5, s14, v4
	v_cmp_le_u32_e32 vcc_lo, s14, v4
	v_cndmask_b32_e32 v4, v4, v5, vcc_lo
	v_xor_b32_e32 v4, v4, v6
	v_sub_nc_u32_e32 v3, v3, v4
	v_sub_nc_u32_e32 v5, v4, v6
	v_ashrrev_i32_e32 v4, 31, v3
	v_ashrrev_i32_e32 v6, 31, v5
	v_lshlrev_b64 v[3:4], 3, v[3:4]
	v_lshlrev_b64 v[5:6], 3, v[5:6]
	v_add_co_u32 v7, vcc_lo, s10, v3
	v_add_co_ci_u32_e64 v8, null, s11, v4, vcc_lo
	v_add_co_u32 v7, vcc_lo, v7, v5
	v_add_co_ci_u32_e64 v8, null, v8, v6, vcc_lo
	;; [unrolled: 2-line block ×3, first 2 shown]
	global_load_dword v7, v[7:8], off offset:4
	s_waitcnt vmcnt(0)
	v_ashrrev_i32_e32 v8, 31, v7
	v_lshlrev_b64 v[9:10], 3, v[7:8]
	v_add_co_u32 v9, vcc_lo, v11, v9
	v_add_co_ci_u32_e64 v10, null, v12, v10, vcc_lo
	v_add_co_u32 v0, vcc_lo, v0, s1
	v_add_co_ci_u32_e64 v1, null, 0, v1, vcc_lo
	global_load_dwordx2 v[9:10], v[9:10], off
	v_add_co_u32 v11, vcc_lo, s13, v0
	v_add_co_ci_u32_e64 v12, null, s12, v1, vcc_lo
	v_cmp_le_i64_e32 vcc_lo, s[2:3], v[11:12]
	v_add_co_u32 v11, s0, s8, v3
	v_add_co_ci_u32_e64 v12, null, s9, v4, s0
	v_add_co_u32 v13, s0, s6, v3
	v_add_co_ci_u32_e64 v14, null, s7, v4, s0
	;; [unrolled: 2-line block ×4, first 2 shown]
	s_or_b32 s15, vcc_lo, s15
	global_store_dwordx2 v[3:4], v[7:8], off
	s_waitcnt vmcnt(0)
	global_store_dwordx2 v[5:6], v[9:10], off
	s_andn2_b32 exec_lo, exec_lo, s15
	s_cbranch_execnz .LBB1045_2
.LBB1045_3:
	s_endpgm
	.section	.rodata,"a",@progbits
	.p2align	6, 0x0
	.amdhsa_kernel _ZN2at6native12_GLOBAL__N_123sort_postprocess_kernelIdEEvPKT_PS3_PlPK15HIP_vector_typeIiLj2EEii
		.amdhsa_group_segment_fixed_size 0
		.amdhsa_private_segment_fixed_size 0
		.amdhsa_kernarg_size 296
		.amdhsa_user_sgpr_count 6
		.amdhsa_user_sgpr_private_segment_buffer 1
		.amdhsa_user_sgpr_dispatch_ptr 0
		.amdhsa_user_sgpr_queue_ptr 0
		.amdhsa_user_sgpr_kernarg_segment_ptr 1
		.amdhsa_user_sgpr_dispatch_id 0
		.amdhsa_user_sgpr_flat_scratch_init 0
		.amdhsa_user_sgpr_private_segment_size 0
		.amdhsa_wavefront_size32 1
		.amdhsa_uses_dynamic_stack 0
		.amdhsa_system_sgpr_private_segment_wavefront_offset 0
		.amdhsa_system_sgpr_workgroup_id_x 1
		.amdhsa_system_sgpr_workgroup_id_y 0
		.amdhsa_system_sgpr_workgroup_id_z 0
		.amdhsa_system_sgpr_workgroup_info 0
		.amdhsa_system_vgpr_workitem_id 0
		.amdhsa_next_free_vgpr 15
		.amdhsa_next_free_sgpr 16
		.amdhsa_reserve_vcc 1
		.amdhsa_reserve_flat_scratch 0
		.amdhsa_float_round_mode_32 0
		.amdhsa_float_round_mode_16_64 0
		.amdhsa_float_denorm_mode_32 3
		.amdhsa_float_denorm_mode_16_64 3
		.amdhsa_dx10_clamp 1
		.amdhsa_ieee_mode 1
		.amdhsa_fp16_overflow 0
		.amdhsa_workgroup_processor_mode 1
		.amdhsa_memory_ordered 1
		.amdhsa_forward_progress 1
		.amdhsa_shared_vgpr_count 0
		.amdhsa_exception_fp_ieee_invalid_op 0
		.amdhsa_exception_fp_denorm_src 0
		.amdhsa_exception_fp_ieee_div_zero 0
		.amdhsa_exception_fp_ieee_overflow 0
		.amdhsa_exception_fp_ieee_underflow 0
		.amdhsa_exception_fp_ieee_inexact 0
		.amdhsa_exception_int_div_zero 0
	.end_amdhsa_kernel
	.section	.text._ZN2at6native12_GLOBAL__N_123sort_postprocess_kernelIdEEvPKT_PS3_PlPK15HIP_vector_typeIiLj2EEii,"axG",@progbits,_ZN2at6native12_GLOBAL__N_123sort_postprocess_kernelIdEEvPKT_PS3_PlPK15HIP_vector_typeIiLj2EEii,comdat
.Lfunc_end1045:
	.size	_ZN2at6native12_GLOBAL__N_123sort_postprocess_kernelIdEEvPKT_PS3_PlPK15HIP_vector_typeIiLj2EEii, .Lfunc_end1045-_ZN2at6native12_GLOBAL__N_123sort_postprocess_kernelIdEEvPKT_PS3_PlPK15HIP_vector_typeIiLj2EEii
                                        ; -- End function
	.set _ZN2at6native12_GLOBAL__N_123sort_postprocess_kernelIdEEvPKT_PS3_PlPK15HIP_vector_typeIiLj2EEii.num_vgpr, 15
	.set _ZN2at6native12_GLOBAL__N_123sort_postprocess_kernelIdEEvPKT_PS3_PlPK15HIP_vector_typeIiLj2EEii.num_agpr, 0
	.set _ZN2at6native12_GLOBAL__N_123sort_postprocess_kernelIdEEvPKT_PS3_PlPK15HIP_vector_typeIiLj2EEii.numbered_sgpr, 16
	.set _ZN2at6native12_GLOBAL__N_123sort_postprocess_kernelIdEEvPKT_PS3_PlPK15HIP_vector_typeIiLj2EEii.num_named_barrier, 0
	.set _ZN2at6native12_GLOBAL__N_123sort_postprocess_kernelIdEEvPKT_PS3_PlPK15HIP_vector_typeIiLj2EEii.private_seg_size, 0
	.set _ZN2at6native12_GLOBAL__N_123sort_postprocess_kernelIdEEvPKT_PS3_PlPK15HIP_vector_typeIiLj2EEii.uses_vcc, 1
	.set _ZN2at6native12_GLOBAL__N_123sort_postprocess_kernelIdEEvPKT_PS3_PlPK15HIP_vector_typeIiLj2EEii.uses_flat_scratch, 0
	.set _ZN2at6native12_GLOBAL__N_123sort_postprocess_kernelIdEEvPKT_PS3_PlPK15HIP_vector_typeIiLj2EEii.has_dyn_sized_stack, 0
	.set _ZN2at6native12_GLOBAL__N_123sort_postprocess_kernelIdEEvPKT_PS3_PlPK15HIP_vector_typeIiLj2EEii.has_recursion, 0
	.set _ZN2at6native12_GLOBAL__N_123sort_postprocess_kernelIdEEvPKT_PS3_PlPK15HIP_vector_typeIiLj2EEii.has_indirect_call, 0
	.section	.AMDGPU.csdata,"",@progbits
; Kernel info:
; codeLenInByte = 496
; TotalNumSgprs: 18
; NumVgprs: 15
; ScratchSize: 0
; MemoryBound: 0
; FloatMode: 240
; IeeeMode: 1
; LDSByteSize: 0 bytes/workgroup (compile time only)
; SGPRBlocks: 0
; VGPRBlocks: 1
; NumSGPRsForWavesPerEU: 18
; NumVGPRsForWavesPerEU: 15
; Occupancy: 16
; WaveLimiterHint : 1
; COMPUTE_PGM_RSRC2:SCRATCH_EN: 0
; COMPUTE_PGM_RSRC2:USER_SGPR: 6
; COMPUTE_PGM_RSRC2:TRAP_HANDLER: 0
; COMPUTE_PGM_RSRC2:TGID_X_EN: 1
; COMPUTE_PGM_RSRC2:TGID_Y_EN: 0
; COMPUTE_PGM_RSRC2:TGID_Z_EN: 0
; COMPUTE_PGM_RSRC2:TIDIG_COMP_CNT: 0
	.section	.text._ZN7rocprim17ROCPRIM_400000_NS6detail17trampoline_kernelINS0_13select_configILj256ELj13ELNS0_17block_load_methodE3ELS4_3ELS4_3ELNS0_20block_scan_algorithmE0ELj4294967295EEENS1_25partition_config_selectorILNS1_17partition_subalgoE4EjNS0_10empty_typeEbEEZZNS1_14partition_implILS8_4ELb0ES6_15HIP_vector_typeIjLj2EENS0_17counting_iteratorIjlEEPS9_SG_NS0_5tupleIJPjSI_NS0_16reverse_iteratorISI_EEEEENSH_IJSG_SG_SG_EEES9_SI_JZNS1_25segmented_radix_sort_implINS0_14default_configELb1EPKdPdPKlPlN2at6native12_GLOBAL__N_18offset_tEEE10hipError_tPvRmT1_PNSt15iterator_traitsIS12_E10value_typeET2_T3_PNS13_IS18_E10value_typeET4_jRbjT5_S1E_jjP12ihipStream_tbEUljE_ZNSN_ISO_Lb1ESQ_SR_ST_SU_SY_EESZ_S10_S11_S12_S16_S17_S18_S1B_S1C_jS1D_jS1E_S1E_jjS1G_bEUljE0_EEESZ_S10_S11_S18_S1C_S1E_T6_T7_T9_mT8_S1G_bDpT10_ENKUlT_T0_E_clISt17integral_constantIbLb0EES1U_EEDaS1P_S1Q_EUlS1P_E_NS1_11comp_targetILNS1_3genE0ELNS1_11target_archE4294967295ELNS1_3gpuE0ELNS1_3repE0EEENS1_30default_config_static_selectorELNS0_4arch9wavefront6targetE0EEEvS12_,"axG",@progbits,_ZN7rocprim17ROCPRIM_400000_NS6detail17trampoline_kernelINS0_13select_configILj256ELj13ELNS0_17block_load_methodE3ELS4_3ELS4_3ELNS0_20block_scan_algorithmE0ELj4294967295EEENS1_25partition_config_selectorILNS1_17partition_subalgoE4EjNS0_10empty_typeEbEEZZNS1_14partition_implILS8_4ELb0ES6_15HIP_vector_typeIjLj2EENS0_17counting_iteratorIjlEEPS9_SG_NS0_5tupleIJPjSI_NS0_16reverse_iteratorISI_EEEEENSH_IJSG_SG_SG_EEES9_SI_JZNS1_25segmented_radix_sort_implINS0_14default_configELb1EPKdPdPKlPlN2at6native12_GLOBAL__N_18offset_tEEE10hipError_tPvRmT1_PNSt15iterator_traitsIS12_E10value_typeET2_T3_PNS13_IS18_E10value_typeET4_jRbjT5_S1E_jjP12ihipStream_tbEUljE_ZNSN_ISO_Lb1ESQ_SR_ST_SU_SY_EESZ_S10_S11_S12_S16_S17_S18_S1B_S1C_jS1D_jS1E_S1E_jjS1G_bEUljE0_EEESZ_S10_S11_S18_S1C_S1E_T6_T7_T9_mT8_S1G_bDpT10_ENKUlT_T0_E_clISt17integral_constantIbLb0EES1U_EEDaS1P_S1Q_EUlS1P_E_NS1_11comp_targetILNS1_3genE0ELNS1_11target_archE4294967295ELNS1_3gpuE0ELNS1_3repE0EEENS1_30default_config_static_selectorELNS0_4arch9wavefront6targetE0EEEvS12_,comdat
	.globl	_ZN7rocprim17ROCPRIM_400000_NS6detail17trampoline_kernelINS0_13select_configILj256ELj13ELNS0_17block_load_methodE3ELS4_3ELS4_3ELNS0_20block_scan_algorithmE0ELj4294967295EEENS1_25partition_config_selectorILNS1_17partition_subalgoE4EjNS0_10empty_typeEbEEZZNS1_14partition_implILS8_4ELb0ES6_15HIP_vector_typeIjLj2EENS0_17counting_iteratorIjlEEPS9_SG_NS0_5tupleIJPjSI_NS0_16reverse_iteratorISI_EEEEENSH_IJSG_SG_SG_EEES9_SI_JZNS1_25segmented_radix_sort_implINS0_14default_configELb1EPKdPdPKlPlN2at6native12_GLOBAL__N_18offset_tEEE10hipError_tPvRmT1_PNSt15iterator_traitsIS12_E10value_typeET2_T3_PNS13_IS18_E10value_typeET4_jRbjT5_S1E_jjP12ihipStream_tbEUljE_ZNSN_ISO_Lb1ESQ_SR_ST_SU_SY_EESZ_S10_S11_S12_S16_S17_S18_S1B_S1C_jS1D_jS1E_S1E_jjS1G_bEUljE0_EEESZ_S10_S11_S18_S1C_S1E_T6_T7_T9_mT8_S1G_bDpT10_ENKUlT_T0_E_clISt17integral_constantIbLb0EES1U_EEDaS1P_S1Q_EUlS1P_E_NS1_11comp_targetILNS1_3genE0ELNS1_11target_archE4294967295ELNS1_3gpuE0ELNS1_3repE0EEENS1_30default_config_static_selectorELNS0_4arch9wavefront6targetE0EEEvS12_ ; -- Begin function _ZN7rocprim17ROCPRIM_400000_NS6detail17trampoline_kernelINS0_13select_configILj256ELj13ELNS0_17block_load_methodE3ELS4_3ELS4_3ELNS0_20block_scan_algorithmE0ELj4294967295EEENS1_25partition_config_selectorILNS1_17partition_subalgoE4EjNS0_10empty_typeEbEEZZNS1_14partition_implILS8_4ELb0ES6_15HIP_vector_typeIjLj2EENS0_17counting_iteratorIjlEEPS9_SG_NS0_5tupleIJPjSI_NS0_16reverse_iteratorISI_EEEEENSH_IJSG_SG_SG_EEES9_SI_JZNS1_25segmented_radix_sort_implINS0_14default_configELb1EPKdPdPKlPlN2at6native12_GLOBAL__N_18offset_tEEE10hipError_tPvRmT1_PNSt15iterator_traitsIS12_E10value_typeET2_T3_PNS13_IS18_E10value_typeET4_jRbjT5_S1E_jjP12ihipStream_tbEUljE_ZNSN_ISO_Lb1ESQ_SR_ST_SU_SY_EESZ_S10_S11_S12_S16_S17_S18_S1B_S1C_jS1D_jS1E_S1E_jjS1G_bEUljE0_EEESZ_S10_S11_S18_S1C_S1E_T6_T7_T9_mT8_S1G_bDpT10_ENKUlT_T0_E_clISt17integral_constantIbLb0EES1U_EEDaS1P_S1Q_EUlS1P_E_NS1_11comp_targetILNS1_3genE0ELNS1_11target_archE4294967295ELNS1_3gpuE0ELNS1_3repE0EEENS1_30default_config_static_selectorELNS0_4arch9wavefront6targetE0EEEvS12_
	.p2align	8
	.type	_ZN7rocprim17ROCPRIM_400000_NS6detail17trampoline_kernelINS0_13select_configILj256ELj13ELNS0_17block_load_methodE3ELS4_3ELS4_3ELNS0_20block_scan_algorithmE0ELj4294967295EEENS1_25partition_config_selectorILNS1_17partition_subalgoE4EjNS0_10empty_typeEbEEZZNS1_14partition_implILS8_4ELb0ES6_15HIP_vector_typeIjLj2EENS0_17counting_iteratorIjlEEPS9_SG_NS0_5tupleIJPjSI_NS0_16reverse_iteratorISI_EEEEENSH_IJSG_SG_SG_EEES9_SI_JZNS1_25segmented_radix_sort_implINS0_14default_configELb1EPKdPdPKlPlN2at6native12_GLOBAL__N_18offset_tEEE10hipError_tPvRmT1_PNSt15iterator_traitsIS12_E10value_typeET2_T3_PNS13_IS18_E10value_typeET4_jRbjT5_S1E_jjP12ihipStream_tbEUljE_ZNSN_ISO_Lb1ESQ_SR_ST_SU_SY_EESZ_S10_S11_S12_S16_S17_S18_S1B_S1C_jS1D_jS1E_S1E_jjS1G_bEUljE0_EEESZ_S10_S11_S18_S1C_S1E_T6_T7_T9_mT8_S1G_bDpT10_ENKUlT_T0_E_clISt17integral_constantIbLb0EES1U_EEDaS1P_S1Q_EUlS1P_E_NS1_11comp_targetILNS1_3genE0ELNS1_11target_archE4294967295ELNS1_3gpuE0ELNS1_3repE0EEENS1_30default_config_static_selectorELNS0_4arch9wavefront6targetE0EEEvS12_,@function
_ZN7rocprim17ROCPRIM_400000_NS6detail17trampoline_kernelINS0_13select_configILj256ELj13ELNS0_17block_load_methodE3ELS4_3ELS4_3ELNS0_20block_scan_algorithmE0ELj4294967295EEENS1_25partition_config_selectorILNS1_17partition_subalgoE4EjNS0_10empty_typeEbEEZZNS1_14partition_implILS8_4ELb0ES6_15HIP_vector_typeIjLj2EENS0_17counting_iteratorIjlEEPS9_SG_NS0_5tupleIJPjSI_NS0_16reverse_iteratorISI_EEEEENSH_IJSG_SG_SG_EEES9_SI_JZNS1_25segmented_radix_sort_implINS0_14default_configELb1EPKdPdPKlPlN2at6native12_GLOBAL__N_18offset_tEEE10hipError_tPvRmT1_PNSt15iterator_traitsIS12_E10value_typeET2_T3_PNS13_IS18_E10value_typeET4_jRbjT5_S1E_jjP12ihipStream_tbEUljE_ZNSN_ISO_Lb1ESQ_SR_ST_SU_SY_EESZ_S10_S11_S12_S16_S17_S18_S1B_S1C_jS1D_jS1E_S1E_jjS1G_bEUljE0_EEESZ_S10_S11_S18_S1C_S1E_T6_T7_T9_mT8_S1G_bDpT10_ENKUlT_T0_E_clISt17integral_constantIbLb0EES1U_EEDaS1P_S1Q_EUlS1P_E_NS1_11comp_targetILNS1_3genE0ELNS1_11target_archE4294967295ELNS1_3gpuE0ELNS1_3repE0EEENS1_30default_config_static_selectorELNS0_4arch9wavefront6targetE0EEEvS12_: ; @_ZN7rocprim17ROCPRIM_400000_NS6detail17trampoline_kernelINS0_13select_configILj256ELj13ELNS0_17block_load_methodE3ELS4_3ELS4_3ELNS0_20block_scan_algorithmE0ELj4294967295EEENS1_25partition_config_selectorILNS1_17partition_subalgoE4EjNS0_10empty_typeEbEEZZNS1_14partition_implILS8_4ELb0ES6_15HIP_vector_typeIjLj2EENS0_17counting_iteratorIjlEEPS9_SG_NS0_5tupleIJPjSI_NS0_16reverse_iteratorISI_EEEEENSH_IJSG_SG_SG_EEES9_SI_JZNS1_25segmented_radix_sort_implINS0_14default_configELb1EPKdPdPKlPlN2at6native12_GLOBAL__N_18offset_tEEE10hipError_tPvRmT1_PNSt15iterator_traitsIS12_E10value_typeET2_T3_PNS13_IS18_E10value_typeET4_jRbjT5_S1E_jjP12ihipStream_tbEUljE_ZNSN_ISO_Lb1ESQ_SR_ST_SU_SY_EESZ_S10_S11_S12_S16_S17_S18_S1B_S1C_jS1D_jS1E_S1E_jjS1G_bEUljE0_EEESZ_S10_S11_S18_S1C_S1E_T6_T7_T9_mT8_S1G_bDpT10_ENKUlT_T0_E_clISt17integral_constantIbLb0EES1U_EEDaS1P_S1Q_EUlS1P_E_NS1_11comp_targetILNS1_3genE0ELNS1_11target_archE4294967295ELNS1_3gpuE0ELNS1_3repE0EEENS1_30default_config_static_selectorELNS0_4arch9wavefront6targetE0EEEvS12_
; %bb.0:
	.section	.rodata,"a",@progbits
	.p2align	6, 0x0
	.amdhsa_kernel _ZN7rocprim17ROCPRIM_400000_NS6detail17trampoline_kernelINS0_13select_configILj256ELj13ELNS0_17block_load_methodE3ELS4_3ELS4_3ELNS0_20block_scan_algorithmE0ELj4294967295EEENS1_25partition_config_selectorILNS1_17partition_subalgoE4EjNS0_10empty_typeEbEEZZNS1_14partition_implILS8_4ELb0ES6_15HIP_vector_typeIjLj2EENS0_17counting_iteratorIjlEEPS9_SG_NS0_5tupleIJPjSI_NS0_16reverse_iteratorISI_EEEEENSH_IJSG_SG_SG_EEES9_SI_JZNS1_25segmented_radix_sort_implINS0_14default_configELb1EPKdPdPKlPlN2at6native12_GLOBAL__N_18offset_tEEE10hipError_tPvRmT1_PNSt15iterator_traitsIS12_E10value_typeET2_T3_PNS13_IS18_E10value_typeET4_jRbjT5_S1E_jjP12ihipStream_tbEUljE_ZNSN_ISO_Lb1ESQ_SR_ST_SU_SY_EESZ_S10_S11_S12_S16_S17_S18_S1B_S1C_jS1D_jS1E_S1E_jjS1G_bEUljE0_EEESZ_S10_S11_S18_S1C_S1E_T6_T7_T9_mT8_S1G_bDpT10_ENKUlT_T0_E_clISt17integral_constantIbLb0EES1U_EEDaS1P_S1Q_EUlS1P_E_NS1_11comp_targetILNS1_3genE0ELNS1_11target_archE4294967295ELNS1_3gpuE0ELNS1_3repE0EEENS1_30default_config_static_selectorELNS0_4arch9wavefront6targetE0EEEvS12_
		.amdhsa_group_segment_fixed_size 0
		.amdhsa_private_segment_fixed_size 0
		.amdhsa_kernarg_size 176
		.amdhsa_user_sgpr_count 6
		.amdhsa_user_sgpr_private_segment_buffer 1
		.amdhsa_user_sgpr_dispatch_ptr 0
		.amdhsa_user_sgpr_queue_ptr 0
		.amdhsa_user_sgpr_kernarg_segment_ptr 1
		.amdhsa_user_sgpr_dispatch_id 0
		.amdhsa_user_sgpr_flat_scratch_init 0
		.amdhsa_user_sgpr_private_segment_size 0
		.amdhsa_wavefront_size32 1
		.amdhsa_uses_dynamic_stack 0
		.amdhsa_system_sgpr_private_segment_wavefront_offset 0
		.amdhsa_system_sgpr_workgroup_id_x 1
		.amdhsa_system_sgpr_workgroup_id_y 0
		.amdhsa_system_sgpr_workgroup_id_z 0
		.amdhsa_system_sgpr_workgroup_info 0
		.amdhsa_system_vgpr_workitem_id 0
		.amdhsa_next_free_vgpr 1
		.amdhsa_next_free_sgpr 1
		.amdhsa_reserve_vcc 0
		.amdhsa_reserve_flat_scratch 0
		.amdhsa_float_round_mode_32 0
		.amdhsa_float_round_mode_16_64 0
		.amdhsa_float_denorm_mode_32 3
		.amdhsa_float_denorm_mode_16_64 3
		.amdhsa_dx10_clamp 1
		.amdhsa_ieee_mode 1
		.amdhsa_fp16_overflow 0
		.amdhsa_workgroup_processor_mode 1
		.amdhsa_memory_ordered 1
		.amdhsa_forward_progress 1
		.amdhsa_shared_vgpr_count 0
		.amdhsa_exception_fp_ieee_invalid_op 0
		.amdhsa_exception_fp_denorm_src 0
		.amdhsa_exception_fp_ieee_div_zero 0
		.amdhsa_exception_fp_ieee_overflow 0
		.amdhsa_exception_fp_ieee_underflow 0
		.amdhsa_exception_fp_ieee_inexact 0
		.amdhsa_exception_int_div_zero 0
	.end_amdhsa_kernel
	.section	.text._ZN7rocprim17ROCPRIM_400000_NS6detail17trampoline_kernelINS0_13select_configILj256ELj13ELNS0_17block_load_methodE3ELS4_3ELS4_3ELNS0_20block_scan_algorithmE0ELj4294967295EEENS1_25partition_config_selectorILNS1_17partition_subalgoE4EjNS0_10empty_typeEbEEZZNS1_14partition_implILS8_4ELb0ES6_15HIP_vector_typeIjLj2EENS0_17counting_iteratorIjlEEPS9_SG_NS0_5tupleIJPjSI_NS0_16reverse_iteratorISI_EEEEENSH_IJSG_SG_SG_EEES9_SI_JZNS1_25segmented_radix_sort_implINS0_14default_configELb1EPKdPdPKlPlN2at6native12_GLOBAL__N_18offset_tEEE10hipError_tPvRmT1_PNSt15iterator_traitsIS12_E10value_typeET2_T3_PNS13_IS18_E10value_typeET4_jRbjT5_S1E_jjP12ihipStream_tbEUljE_ZNSN_ISO_Lb1ESQ_SR_ST_SU_SY_EESZ_S10_S11_S12_S16_S17_S18_S1B_S1C_jS1D_jS1E_S1E_jjS1G_bEUljE0_EEESZ_S10_S11_S18_S1C_S1E_T6_T7_T9_mT8_S1G_bDpT10_ENKUlT_T0_E_clISt17integral_constantIbLb0EES1U_EEDaS1P_S1Q_EUlS1P_E_NS1_11comp_targetILNS1_3genE0ELNS1_11target_archE4294967295ELNS1_3gpuE0ELNS1_3repE0EEENS1_30default_config_static_selectorELNS0_4arch9wavefront6targetE0EEEvS12_,"axG",@progbits,_ZN7rocprim17ROCPRIM_400000_NS6detail17trampoline_kernelINS0_13select_configILj256ELj13ELNS0_17block_load_methodE3ELS4_3ELS4_3ELNS0_20block_scan_algorithmE0ELj4294967295EEENS1_25partition_config_selectorILNS1_17partition_subalgoE4EjNS0_10empty_typeEbEEZZNS1_14partition_implILS8_4ELb0ES6_15HIP_vector_typeIjLj2EENS0_17counting_iteratorIjlEEPS9_SG_NS0_5tupleIJPjSI_NS0_16reverse_iteratorISI_EEEEENSH_IJSG_SG_SG_EEES9_SI_JZNS1_25segmented_radix_sort_implINS0_14default_configELb1EPKdPdPKlPlN2at6native12_GLOBAL__N_18offset_tEEE10hipError_tPvRmT1_PNSt15iterator_traitsIS12_E10value_typeET2_T3_PNS13_IS18_E10value_typeET4_jRbjT5_S1E_jjP12ihipStream_tbEUljE_ZNSN_ISO_Lb1ESQ_SR_ST_SU_SY_EESZ_S10_S11_S12_S16_S17_S18_S1B_S1C_jS1D_jS1E_S1E_jjS1G_bEUljE0_EEESZ_S10_S11_S18_S1C_S1E_T6_T7_T9_mT8_S1G_bDpT10_ENKUlT_T0_E_clISt17integral_constantIbLb0EES1U_EEDaS1P_S1Q_EUlS1P_E_NS1_11comp_targetILNS1_3genE0ELNS1_11target_archE4294967295ELNS1_3gpuE0ELNS1_3repE0EEENS1_30default_config_static_selectorELNS0_4arch9wavefront6targetE0EEEvS12_,comdat
.Lfunc_end1046:
	.size	_ZN7rocprim17ROCPRIM_400000_NS6detail17trampoline_kernelINS0_13select_configILj256ELj13ELNS0_17block_load_methodE3ELS4_3ELS4_3ELNS0_20block_scan_algorithmE0ELj4294967295EEENS1_25partition_config_selectorILNS1_17partition_subalgoE4EjNS0_10empty_typeEbEEZZNS1_14partition_implILS8_4ELb0ES6_15HIP_vector_typeIjLj2EENS0_17counting_iteratorIjlEEPS9_SG_NS0_5tupleIJPjSI_NS0_16reverse_iteratorISI_EEEEENSH_IJSG_SG_SG_EEES9_SI_JZNS1_25segmented_radix_sort_implINS0_14default_configELb1EPKdPdPKlPlN2at6native12_GLOBAL__N_18offset_tEEE10hipError_tPvRmT1_PNSt15iterator_traitsIS12_E10value_typeET2_T3_PNS13_IS18_E10value_typeET4_jRbjT5_S1E_jjP12ihipStream_tbEUljE_ZNSN_ISO_Lb1ESQ_SR_ST_SU_SY_EESZ_S10_S11_S12_S16_S17_S18_S1B_S1C_jS1D_jS1E_S1E_jjS1G_bEUljE0_EEESZ_S10_S11_S18_S1C_S1E_T6_T7_T9_mT8_S1G_bDpT10_ENKUlT_T0_E_clISt17integral_constantIbLb0EES1U_EEDaS1P_S1Q_EUlS1P_E_NS1_11comp_targetILNS1_3genE0ELNS1_11target_archE4294967295ELNS1_3gpuE0ELNS1_3repE0EEENS1_30default_config_static_selectorELNS0_4arch9wavefront6targetE0EEEvS12_, .Lfunc_end1046-_ZN7rocprim17ROCPRIM_400000_NS6detail17trampoline_kernelINS0_13select_configILj256ELj13ELNS0_17block_load_methodE3ELS4_3ELS4_3ELNS0_20block_scan_algorithmE0ELj4294967295EEENS1_25partition_config_selectorILNS1_17partition_subalgoE4EjNS0_10empty_typeEbEEZZNS1_14partition_implILS8_4ELb0ES6_15HIP_vector_typeIjLj2EENS0_17counting_iteratorIjlEEPS9_SG_NS0_5tupleIJPjSI_NS0_16reverse_iteratorISI_EEEEENSH_IJSG_SG_SG_EEES9_SI_JZNS1_25segmented_radix_sort_implINS0_14default_configELb1EPKdPdPKlPlN2at6native12_GLOBAL__N_18offset_tEEE10hipError_tPvRmT1_PNSt15iterator_traitsIS12_E10value_typeET2_T3_PNS13_IS18_E10value_typeET4_jRbjT5_S1E_jjP12ihipStream_tbEUljE_ZNSN_ISO_Lb1ESQ_SR_ST_SU_SY_EESZ_S10_S11_S12_S16_S17_S18_S1B_S1C_jS1D_jS1E_S1E_jjS1G_bEUljE0_EEESZ_S10_S11_S18_S1C_S1E_T6_T7_T9_mT8_S1G_bDpT10_ENKUlT_T0_E_clISt17integral_constantIbLb0EES1U_EEDaS1P_S1Q_EUlS1P_E_NS1_11comp_targetILNS1_3genE0ELNS1_11target_archE4294967295ELNS1_3gpuE0ELNS1_3repE0EEENS1_30default_config_static_selectorELNS0_4arch9wavefront6targetE0EEEvS12_
                                        ; -- End function
	.set _ZN7rocprim17ROCPRIM_400000_NS6detail17trampoline_kernelINS0_13select_configILj256ELj13ELNS0_17block_load_methodE3ELS4_3ELS4_3ELNS0_20block_scan_algorithmE0ELj4294967295EEENS1_25partition_config_selectorILNS1_17partition_subalgoE4EjNS0_10empty_typeEbEEZZNS1_14partition_implILS8_4ELb0ES6_15HIP_vector_typeIjLj2EENS0_17counting_iteratorIjlEEPS9_SG_NS0_5tupleIJPjSI_NS0_16reverse_iteratorISI_EEEEENSH_IJSG_SG_SG_EEES9_SI_JZNS1_25segmented_radix_sort_implINS0_14default_configELb1EPKdPdPKlPlN2at6native12_GLOBAL__N_18offset_tEEE10hipError_tPvRmT1_PNSt15iterator_traitsIS12_E10value_typeET2_T3_PNS13_IS18_E10value_typeET4_jRbjT5_S1E_jjP12ihipStream_tbEUljE_ZNSN_ISO_Lb1ESQ_SR_ST_SU_SY_EESZ_S10_S11_S12_S16_S17_S18_S1B_S1C_jS1D_jS1E_S1E_jjS1G_bEUljE0_EEESZ_S10_S11_S18_S1C_S1E_T6_T7_T9_mT8_S1G_bDpT10_ENKUlT_T0_E_clISt17integral_constantIbLb0EES1U_EEDaS1P_S1Q_EUlS1P_E_NS1_11comp_targetILNS1_3genE0ELNS1_11target_archE4294967295ELNS1_3gpuE0ELNS1_3repE0EEENS1_30default_config_static_selectorELNS0_4arch9wavefront6targetE0EEEvS12_.num_vgpr, 0
	.set _ZN7rocprim17ROCPRIM_400000_NS6detail17trampoline_kernelINS0_13select_configILj256ELj13ELNS0_17block_load_methodE3ELS4_3ELS4_3ELNS0_20block_scan_algorithmE0ELj4294967295EEENS1_25partition_config_selectorILNS1_17partition_subalgoE4EjNS0_10empty_typeEbEEZZNS1_14partition_implILS8_4ELb0ES6_15HIP_vector_typeIjLj2EENS0_17counting_iteratorIjlEEPS9_SG_NS0_5tupleIJPjSI_NS0_16reverse_iteratorISI_EEEEENSH_IJSG_SG_SG_EEES9_SI_JZNS1_25segmented_radix_sort_implINS0_14default_configELb1EPKdPdPKlPlN2at6native12_GLOBAL__N_18offset_tEEE10hipError_tPvRmT1_PNSt15iterator_traitsIS12_E10value_typeET2_T3_PNS13_IS18_E10value_typeET4_jRbjT5_S1E_jjP12ihipStream_tbEUljE_ZNSN_ISO_Lb1ESQ_SR_ST_SU_SY_EESZ_S10_S11_S12_S16_S17_S18_S1B_S1C_jS1D_jS1E_S1E_jjS1G_bEUljE0_EEESZ_S10_S11_S18_S1C_S1E_T6_T7_T9_mT8_S1G_bDpT10_ENKUlT_T0_E_clISt17integral_constantIbLb0EES1U_EEDaS1P_S1Q_EUlS1P_E_NS1_11comp_targetILNS1_3genE0ELNS1_11target_archE4294967295ELNS1_3gpuE0ELNS1_3repE0EEENS1_30default_config_static_selectorELNS0_4arch9wavefront6targetE0EEEvS12_.num_agpr, 0
	.set _ZN7rocprim17ROCPRIM_400000_NS6detail17trampoline_kernelINS0_13select_configILj256ELj13ELNS0_17block_load_methodE3ELS4_3ELS4_3ELNS0_20block_scan_algorithmE0ELj4294967295EEENS1_25partition_config_selectorILNS1_17partition_subalgoE4EjNS0_10empty_typeEbEEZZNS1_14partition_implILS8_4ELb0ES6_15HIP_vector_typeIjLj2EENS0_17counting_iteratorIjlEEPS9_SG_NS0_5tupleIJPjSI_NS0_16reverse_iteratorISI_EEEEENSH_IJSG_SG_SG_EEES9_SI_JZNS1_25segmented_radix_sort_implINS0_14default_configELb1EPKdPdPKlPlN2at6native12_GLOBAL__N_18offset_tEEE10hipError_tPvRmT1_PNSt15iterator_traitsIS12_E10value_typeET2_T3_PNS13_IS18_E10value_typeET4_jRbjT5_S1E_jjP12ihipStream_tbEUljE_ZNSN_ISO_Lb1ESQ_SR_ST_SU_SY_EESZ_S10_S11_S12_S16_S17_S18_S1B_S1C_jS1D_jS1E_S1E_jjS1G_bEUljE0_EEESZ_S10_S11_S18_S1C_S1E_T6_T7_T9_mT8_S1G_bDpT10_ENKUlT_T0_E_clISt17integral_constantIbLb0EES1U_EEDaS1P_S1Q_EUlS1P_E_NS1_11comp_targetILNS1_3genE0ELNS1_11target_archE4294967295ELNS1_3gpuE0ELNS1_3repE0EEENS1_30default_config_static_selectorELNS0_4arch9wavefront6targetE0EEEvS12_.numbered_sgpr, 0
	.set _ZN7rocprim17ROCPRIM_400000_NS6detail17trampoline_kernelINS0_13select_configILj256ELj13ELNS0_17block_load_methodE3ELS4_3ELS4_3ELNS0_20block_scan_algorithmE0ELj4294967295EEENS1_25partition_config_selectorILNS1_17partition_subalgoE4EjNS0_10empty_typeEbEEZZNS1_14partition_implILS8_4ELb0ES6_15HIP_vector_typeIjLj2EENS0_17counting_iteratorIjlEEPS9_SG_NS0_5tupleIJPjSI_NS0_16reverse_iteratorISI_EEEEENSH_IJSG_SG_SG_EEES9_SI_JZNS1_25segmented_radix_sort_implINS0_14default_configELb1EPKdPdPKlPlN2at6native12_GLOBAL__N_18offset_tEEE10hipError_tPvRmT1_PNSt15iterator_traitsIS12_E10value_typeET2_T3_PNS13_IS18_E10value_typeET4_jRbjT5_S1E_jjP12ihipStream_tbEUljE_ZNSN_ISO_Lb1ESQ_SR_ST_SU_SY_EESZ_S10_S11_S12_S16_S17_S18_S1B_S1C_jS1D_jS1E_S1E_jjS1G_bEUljE0_EEESZ_S10_S11_S18_S1C_S1E_T6_T7_T9_mT8_S1G_bDpT10_ENKUlT_T0_E_clISt17integral_constantIbLb0EES1U_EEDaS1P_S1Q_EUlS1P_E_NS1_11comp_targetILNS1_3genE0ELNS1_11target_archE4294967295ELNS1_3gpuE0ELNS1_3repE0EEENS1_30default_config_static_selectorELNS0_4arch9wavefront6targetE0EEEvS12_.num_named_barrier, 0
	.set _ZN7rocprim17ROCPRIM_400000_NS6detail17trampoline_kernelINS0_13select_configILj256ELj13ELNS0_17block_load_methodE3ELS4_3ELS4_3ELNS0_20block_scan_algorithmE0ELj4294967295EEENS1_25partition_config_selectorILNS1_17partition_subalgoE4EjNS0_10empty_typeEbEEZZNS1_14partition_implILS8_4ELb0ES6_15HIP_vector_typeIjLj2EENS0_17counting_iteratorIjlEEPS9_SG_NS0_5tupleIJPjSI_NS0_16reverse_iteratorISI_EEEEENSH_IJSG_SG_SG_EEES9_SI_JZNS1_25segmented_radix_sort_implINS0_14default_configELb1EPKdPdPKlPlN2at6native12_GLOBAL__N_18offset_tEEE10hipError_tPvRmT1_PNSt15iterator_traitsIS12_E10value_typeET2_T3_PNS13_IS18_E10value_typeET4_jRbjT5_S1E_jjP12ihipStream_tbEUljE_ZNSN_ISO_Lb1ESQ_SR_ST_SU_SY_EESZ_S10_S11_S12_S16_S17_S18_S1B_S1C_jS1D_jS1E_S1E_jjS1G_bEUljE0_EEESZ_S10_S11_S18_S1C_S1E_T6_T7_T9_mT8_S1G_bDpT10_ENKUlT_T0_E_clISt17integral_constantIbLb0EES1U_EEDaS1P_S1Q_EUlS1P_E_NS1_11comp_targetILNS1_3genE0ELNS1_11target_archE4294967295ELNS1_3gpuE0ELNS1_3repE0EEENS1_30default_config_static_selectorELNS0_4arch9wavefront6targetE0EEEvS12_.private_seg_size, 0
	.set _ZN7rocprim17ROCPRIM_400000_NS6detail17trampoline_kernelINS0_13select_configILj256ELj13ELNS0_17block_load_methodE3ELS4_3ELS4_3ELNS0_20block_scan_algorithmE0ELj4294967295EEENS1_25partition_config_selectorILNS1_17partition_subalgoE4EjNS0_10empty_typeEbEEZZNS1_14partition_implILS8_4ELb0ES6_15HIP_vector_typeIjLj2EENS0_17counting_iteratorIjlEEPS9_SG_NS0_5tupleIJPjSI_NS0_16reverse_iteratorISI_EEEEENSH_IJSG_SG_SG_EEES9_SI_JZNS1_25segmented_radix_sort_implINS0_14default_configELb1EPKdPdPKlPlN2at6native12_GLOBAL__N_18offset_tEEE10hipError_tPvRmT1_PNSt15iterator_traitsIS12_E10value_typeET2_T3_PNS13_IS18_E10value_typeET4_jRbjT5_S1E_jjP12ihipStream_tbEUljE_ZNSN_ISO_Lb1ESQ_SR_ST_SU_SY_EESZ_S10_S11_S12_S16_S17_S18_S1B_S1C_jS1D_jS1E_S1E_jjS1G_bEUljE0_EEESZ_S10_S11_S18_S1C_S1E_T6_T7_T9_mT8_S1G_bDpT10_ENKUlT_T0_E_clISt17integral_constantIbLb0EES1U_EEDaS1P_S1Q_EUlS1P_E_NS1_11comp_targetILNS1_3genE0ELNS1_11target_archE4294967295ELNS1_3gpuE0ELNS1_3repE0EEENS1_30default_config_static_selectorELNS0_4arch9wavefront6targetE0EEEvS12_.uses_vcc, 0
	.set _ZN7rocprim17ROCPRIM_400000_NS6detail17trampoline_kernelINS0_13select_configILj256ELj13ELNS0_17block_load_methodE3ELS4_3ELS4_3ELNS0_20block_scan_algorithmE0ELj4294967295EEENS1_25partition_config_selectorILNS1_17partition_subalgoE4EjNS0_10empty_typeEbEEZZNS1_14partition_implILS8_4ELb0ES6_15HIP_vector_typeIjLj2EENS0_17counting_iteratorIjlEEPS9_SG_NS0_5tupleIJPjSI_NS0_16reverse_iteratorISI_EEEEENSH_IJSG_SG_SG_EEES9_SI_JZNS1_25segmented_radix_sort_implINS0_14default_configELb1EPKdPdPKlPlN2at6native12_GLOBAL__N_18offset_tEEE10hipError_tPvRmT1_PNSt15iterator_traitsIS12_E10value_typeET2_T3_PNS13_IS18_E10value_typeET4_jRbjT5_S1E_jjP12ihipStream_tbEUljE_ZNSN_ISO_Lb1ESQ_SR_ST_SU_SY_EESZ_S10_S11_S12_S16_S17_S18_S1B_S1C_jS1D_jS1E_S1E_jjS1G_bEUljE0_EEESZ_S10_S11_S18_S1C_S1E_T6_T7_T9_mT8_S1G_bDpT10_ENKUlT_T0_E_clISt17integral_constantIbLb0EES1U_EEDaS1P_S1Q_EUlS1P_E_NS1_11comp_targetILNS1_3genE0ELNS1_11target_archE4294967295ELNS1_3gpuE0ELNS1_3repE0EEENS1_30default_config_static_selectorELNS0_4arch9wavefront6targetE0EEEvS12_.uses_flat_scratch, 0
	.set _ZN7rocprim17ROCPRIM_400000_NS6detail17trampoline_kernelINS0_13select_configILj256ELj13ELNS0_17block_load_methodE3ELS4_3ELS4_3ELNS0_20block_scan_algorithmE0ELj4294967295EEENS1_25partition_config_selectorILNS1_17partition_subalgoE4EjNS0_10empty_typeEbEEZZNS1_14partition_implILS8_4ELb0ES6_15HIP_vector_typeIjLj2EENS0_17counting_iteratorIjlEEPS9_SG_NS0_5tupleIJPjSI_NS0_16reverse_iteratorISI_EEEEENSH_IJSG_SG_SG_EEES9_SI_JZNS1_25segmented_radix_sort_implINS0_14default_configELb1EPKdPdPKlPlN2at6native12_GLOBAL__N_18offset_tEEE10hipError_tPvRmT1_PNSt15iterator_traitsIS12_E10value_typeET2_T3_PNS13_IS18_E10value_typeET4_jRbjT5_S1E_jjP12ihipStream_tbEUljE_ZNSN_ISO_Lb1ESQ_SR_ST_SU_SY_EESZ_S10_S11_S12_S16_S17_S18_S1B_S1C_jS1D_jS1E_S1E_jjS1G_bEUljE0_EEESZ_S10_S11_S18_S1C_S1E_T6_T7_T9_mT8_S1G_bDpT10_ENKUlT_T0_E_clISt17integral_constantIbLb0EES1U_EEDaS1P_S1Q_EUlS1P_E_NS1_11comp_targetILNS1_3genE0ELNS1_11target_archE4294967295ELNS1_3gpuE0ELNS1_3repE0EEENS1_30default_config_static_selectorELNS0_4arch9wavefront6targetE0EEEvS12_.has_dyn_sized_stack, 0
	.set _ZN7rocprim17ROCPRIM_400000_NS6detail17trampoline_kernelINS0_13select_configILj256ELj13ELNS0_17block_load_methodE3ELS4_3ELS4_3ELNS0_20block_scan_algorithmE0ELj4294967295EEENS1_25partition_config_selectorILNS1_17partition_subalgoE4EjNS0_10empty_typeEbEEZZNS1_14partition_implILS8_4ELb0ES6_15HIP_vector_typeIjLj2EENS0_17counting_iteratorIjlEEPS9_SG_NS0_5tupleIJPjSI_NS0_16reverse_iteratorISI_EEEEENSH_IJSG_SG_SG_EEES9_SI_JZNS1_25segmented_radix_sort_implINS0_14default_configELb1EPKdPdPKlPlN2at6native12_GLOBAL__N_18offset_tEEE10hipError_tPvRmT1_PNSt15iterator_traitsIS12_E10value_typeET2_T3_PNS13_IS18_E10value_typeET4_jRbjT5_S1E_jjP12ihipStream_tbEUljE_ZNSN_ISO_Lb1ESQ_SR_ST_SU_SY_EESZ_S10_S11_S12_S16_S17_S18_S1B_S1C_jS1D_jS1E_S1E_jjS1G_bEUljE0_EEESZ_S10_S11_S18_S1C_S1E_T6_T7_T9_mT8_S1G_bDpT10_ENKUlT_T0_E_clISt17integral_constantIbLb0EES1U_EEDaS1P_S1Q_EUlS1P_E_NS1_11comp_targetILNS1_3genE0ELNS1_11target_archE4294967295ELNS1_3gpuE0ELNS1_3repE0EEENS1_30default_config_static_selectorELNS0_4arch9wavefront6targetE0EEEvS12_.has_recursion, 0
	.set _ZN7rocprim17ROCPRIM_400000_NS6detail17trampoline_kernelINS0_13select_configILj256ELj13ELNS0_17block_load_methodE3ELS4_3ELS4_3ELNS0_20block_scan_algorithmE0ELj4294967295EEENS1_25partition_config_selectorILNS1_17partition_subalgoE4EjNS0_10empty_typeEbEEZZNS1_14partition_implILS8_4ELb0ES6_15HIP_vector_typeIjLj2EENS0_17counting_iteratorIjlEEPS9_SG_NS0_5tupleIJPjSI_NS0_16reverse_iteratorISI_EEEEENSH_IJSG_SG_SG_EEES9_SI_JZNS1_25segmented_radix_sort_implINS0_14default_configELb1EPKdPdPKlPlN2at6native12_GLOBAL__N_18offset_tEEE10hipError_tPvRmT1_PNSt15iterator_traitsIS12_E10value_typeET2_T3_PNS13_IS18_E10value_typeET4_jRbjT5_S1E_jjP12ihipStream_tbEUljE_ZNSN_ISO_Lb1ESQ_SR_ST_SU_SY_EESZ_S10_S11_S12_S16_S17_S18_S1B_S1C_jS1D_jS1E_S1E_jjS1G_bEUljE0_EEESZ_S10_S11_S18_S1C_S1E_T6_T7_T9_mT8_S1G_bDpT10_ENKUlT_T0_E_clISt17integral_constantIbLb0EES1U_EEDaS1P_S1Q_EUlS1P_E_NS1_11comp_targetILNS1_3genE0ELNS1_11target_archE4294967295ELNS1_3gpuE0ELNS1_3repE0EEENS1_30default_config_static_selectorELNS0_4arch9wavefront6targetE0EEEvS12_.has_indirect_call, 0
	.section	.AMDGPU.csdata,"",@progbits
; Kernel info:
; codeLenInByte = 0
; TotalNumSgprs: 0
; NumVgprs: 0
; ScratchSize: 0
; MemoryBound: 0
; FloatMode: 240
; IeeeMode: 1
; LDSByteSize: 0 bytes/workgroup (compile time only)
; SGPRBlocks: 0
; VGPRBlocks: 0
; NumSGPRsForWavesPerEU: 1
; NumVGPRsForWavesPerEU: 1
; Occupancy: 16
; WaveLimiterHint : 0
; COMPUTE_PGM_RSRC2:SCRATCH_EN: 0
; COMPUTE_PGM_RSRC2:USER_SGPR: 6
; COMPUTE_PGM_RSRC2:TRAP_HANDLER: 0
; COMPUTE_PGM_RSRC2:TGID_X_EN: 1
; COMPUTE_PGM_RSRC2:TGID_Y_EN: 0
; COMPUTE_PGM_RSRC2:TGID_Z_EN: 0
; COMPUTE_PGM_RSRC2:TIDIG_COMP_CNT: 0
	.section	.text._ZN7rocprim17ROCPRIM_400000_NS6detail17trampoline_kernelINS0_13select_configILj256ELj13ELNS0_17block_load_methodE3ELS4_3ELS4_3ELNS0_20block_scan_algorithmE0ELj4294967295EEENS1_25partition_config_selectorILNS1_17partition_subalgoE4EjNS0_10empty_typeEbEEZZNS1_14partition_implILS8_4ELb0ES6_15HIP_vector_typeIjLj2EENS0_17counting_iteratorIjlEEPS9_SG_NS0_5tupleIJPjSI_NS0_16reverse_iteratorISI_EEEEENSH_IJSG_SG_SG_EEES9_SI_JZNS1_25segmented_radix_sort_implINS0_14default_configELb1EPKdPdPKlPlN2at6native12_GLOBAL__N_18offset_tEEE10hipError_tPvRmT1_PNSt15iterator_traitsIS12_E10value_typeET2_T3_PNS13_IS18_E10value_typeET4_jRbjT5_S1E_jjP12ihipStream_tbEUljE_ZNSN_ISO_Lb1ESQ_SR_ST_SU_SY_EESZ_S10_S11_S12_S16_S17_S18_S1B_S1C_jS1D_jS1E_S1E_jjS1G_bEUljE0_EEESZ_S10_S11_S18_S1C_S1E_T6_T7_T9_mT8_S1G_bDpT10_ENKUlT_T0_E_clISt17integral_constantIbLb0EES1U_EEDaS1P_S1Q_EUlS1P_E_NS1_11comp_targetILNS1_3genE5ELNS1_11target_archE942ELNS1_3gpuE9ELNS1_3repE0EEENS1_30default_config_static_selectorELNS0_4arch9wavefront6targetE0EEEvS12_,"axG",@progbits,_ZN7rocprim17ROCPRIM_400000_NS6detail17trampoline_kernelINS0_13select_configILj256ELj13ELNS0_17block_load_methodE3ELS4_3ELS4_3ELNS0_20block_scan_algorithmE0ELj4294967295EEENS1_25partition_config_selectorILNS1_17partition_subalgoE4EjNS0_10empty_typeEbEEZZNS1_14partition_implILS8_4ELb0ES6_15HIP_vector_typeIjLj2EENS0_17counting_iteratorIjlEEPS9_SG_NS0_5tupleIJPjSI_NS0_16reverse_iteratorISI_EEEEENSH_IJSG_SG_SG_EEES9_SI_JZNS1_25segmented_radix_sort_implINS0_14default_configELb1EPKdPdPKlPlN2at6native12_GLOBAL__N_18offset_tEEE10hipError_tPvRmT1_PNSt15iterator_traitsIS12_E10value_typeET2_T3_PNS13_IS18_E10value_typeET4_jRbjT5_S1E_jjP12ihipStream_tbEUljE_ZNSN_ISO_Lb1ESQ_SR_ST_SU_SY_EESZ_S10_S11_S12_S16_S17_S18_S1B_S1C_jS1D_jS1E_S1E_jjS1G_bEUljE0_EEESZ_S10_S11_S18_S1C_S1E_T6_T7_T9_mT8_S1G_bDpT10_ENKUlT_T0_E_clISt17integral_constantIbLb0EES1U_EEDaS1P_S1Q_EUlS1P_E_NS1_11comp_targetILNS1_3genE5ELNS1_11target_archE942ELNS1_3gpuE9ELNS1_3repE0EEENS1_30default_config_static_selectorELNS0_4arch9wavefront6targetE0EEEvS12_,comdat
	.globl	_ZN7rocprim17ROCPRIM_400000_NS6detail17trampoline_kernelINS0_13select_configILj256ELj13ELNS0_17block_load_methodE3ELS4_3ELS4_3ELNS0_20block_scan_algorithmE0ELj4294967295EEENS1_25partition_config_selectorILNS1_17partition_subalgoE4EjNS0_10empty_typeEbEEZZNS1_14partition_implILS8_4ELb0ES6_15HIP_vector_typeIjLj2EENS0_17counting_iteratorIjlEEPS9_SG_NS0_5tupleIJPjSI_NS0_16reverse_iteratorISI_EEEEENSH_IJSG_SG_SG_EEES9_SI_JZNS1_25segmented_radix_sort_implINS0_14default_configELb1EPKdPdPKlPlN2at6native12_GLOBAL__N_18offset_tEEE10hipError_tPvRmT1_PNSt15iterator_traitsIS12_E10value_typeET2_T3_PNS13_IS18_E10value_typeET4_jRbjT5_S1E_jjP12ihipStream_tbEUljE_ZNSN_ISO_Lb1ESQ_SR_ST_SU_SY_EESZ_S10_S11_S12_S16_S17_S18_S1B_S1C_jS1D_jS1E_S1E_jjS1G_bEUljE0_EEESZ_S10_S11_S18_S1C_S1E_T6_T7_T9_mT8_S1G_bDpT10_ENKUlT_T0_E_clISt17integral_constantIbLb0EES1U_EEDaS1P_S1Q_EUlS1P_E_NS1_11comp_targetILNS1_3genE5ELNS1_11target_archE942ELNS1_3gpuE9ELNS1_3repE0EEENS1_30default_config_static_selectorELNS0_4arch9wavefront6targetE0EEEvS12_ ; -- Begin function _ZN7rocprim17ROCPRIM_400000_NS6detail17trampoline_kernelINS0_13select_configILj256ELj13ELNS0_17block_load_methodE3ELS4_3ELS4_3ELNS0_20block_scan_algorithmE0ELj4294967295EEENS1_25partition_config_selectorILNS1_17partition_subalgoE4EjNS0_10empty_typeEbEEZZNS1_14partition_implILS8_4ELb0ES6_15HIP_vector_typeIjLj2EENS0_17counting_iteratorIjlEEPS9_SG_NS0_5tupleIJPjSI_NS0_16reverse_iteratorISI_EEEEENSH_IJSG_SG_SG_EEES9_SI_JZNS1_25segmented_radix_sort_implINS0_14default_configELb1EPKdPdPKlPlN2at6native12_GLOBAL__N_18offset_tEEE10hipError_tPvRmT1_PNSt15iterator_traitsIS12_E10value_typeET2_T3_PNS13_IS18_E10value_typeET4_jRbjT5_S1E_jjP12ihipStream_tbEUljE_ZNSN_ISO_Lb1ESQ_SR_ST_SU_SY_EESZ_S10_S11_S12_S16_S17_S18_S1B_S1C_jS1D_jS1E_S1E_jjS1G_bEUljE0_EEESZ_S10_S11_S18_S1C_S1E_T6_T7_T9_mT8_S1G_bDpT10_ENKUlT_T0_E_clISt17integral_constantIbLb0EES1U_EEDaS1P_S1Q_EUlS1P_E_NS1_11comp_targetILNS1_3genE5ELNS1_11target_archE942ELNS1_3gpuE9ELNS1_3repE0EEENS1_30default_config_static_selectorELNS0_4arch9wavefront6targetE0EEEvS12_
	.p2align	8
	.type	_ZN7rocprim17ROCPRIM_400000_NS6detail17trampoline_kernelINS0_13select_configILj256ELj13ELNS0_17block_load_methodE3ELS4_3ELS4_3ELNS0_20block_scan_algorithmE0ELj4294967295EEENS1_25partition_config_selectorILNS1_17partition_subalgoE4EjNS0_10empty_typeEbEEZZNS1_14partition_implILS8_4ELb0ES6_15HIP_vector_typeIjLj2EENS0_17counting_iteratorIjlEEPS9_SG_NS0_5tupleIJPjSI_NS0_16reverse_iteratorISI_EEEEENSH_IJSG_SG_SG_EEES9_SI_JZNS1_25segmented_radix_sort_implINS0_14default_configELb1EPKdPdPKlPlN2at6native12_GLOBAL__N_18offset_tEEE10hipError_tPvRmT1_PNSt15iterator_traitsIS12_E10value_typeET2_T3_PNS13_IS18_E10value_typeET4_jRbjT5_S1E_jjP12ihipStream_tbEUljE_ZNSN_ISO_Lb1ESQ_SR_ST_SU_SY_EESZ_S10_S11_S12_S16_S17_S18_S1B_S1C_jS1D_jS1E_S1E_jjS1G_bEUljE0_EEESZ_S10_S11_S18_S1C_S1E_T6_T7_T9_mT8_S1G_bDpT10_ENKUlT_T0_E_clISt17integral_constantIbLb0EES1U_EEDaS1P_S1Q_EUlS1P_E_NS1_11comp_targetILNS1_3genE5ELNS1_11target_archE942ELNS1_3gpuE9ELNS1_3repE0EEENS1_30default_config_static_selectorELNS0_4arch9wavefront6targetE0EEEvS12_,@function
_ZN7rocprim17ROCPRIM_400000_NS6detail17trampoline_kernelINS0_13select_configILj256ELj13ELNS0_17block_load_methodE3ELS4_3ELS4_3ELNS0_20block_scan_algorithmE0ELj4294967295EEENS1_25partition_config_selectorILNS1_17partition_subalgoE4EjNS0_10empty_typeEbEEZZNS1_14partition_implILS8_4ELb0ES6_15HIP_vector_typeIjLj2EENS0_17counting_iteratorIjlEEPS9_SG_NS0_5tupleIJPjSI_NS0_16reverse_iteratorISI_EEEEENSH_IJSG_SG_SG_EEES9_SI_JZNS1_25segmented_radix_sort_implINS0_14default_configELb1EPKdPdPKlPlN2at6native12_GLOBAL__N_18offset_tEEE10hipError_tPvRmT1_PNSt15iterator_traitsIS12_E10value_typeET2_T3_PNS13_IS18_E10value_typeET4_jRbjT5_S1E_jjP12ihipStream_tbEUljE_ZNSN_ISO_Lb1ESQ_SR_ST_SU_SY_EESZ_S10_S11_S12_S16_S17_S18_S1B_S1C_jS1D_jS1E_S1E_jjS1G_bEUljE0_EEESZ_S10_S11_S18_S1C_S1E_T6_T7_T9_mT8_S1G_bDpT10_ENKUlT_T0_E_clISt17integral_constantIbLb0EES1U_EEDaS1P_S1Q_EUlS1P_E_NS1_11comp_targetILNS1_3genE5ELNS1_11target_archE942ELNS1_3gpuE9ELNS1_3repE0EEENS1_30default_config_static_selectorELNS0_4arch9wavefront6targetE0EEEvS12_: ; @_ZN7rocprim17ROCPRIM_400000_NS6detail17trampoline_kernelINS0_13select_configILj256ELj13ELNS0_17block_load_methodE3ELS4_3ELS4_3ELNS0_20block_scan_algorithmE0ELj4294967295EEENS1_25partition_config_selectorILNS1_17partition_subalgoE4EjNS0_10empty_typeEbEEZZNS1_14partition_implILS8_4ELb0ES6_15HIP_vector_typeIjLj2EENS0_17counting_iteratorIjlEEPS9_SG_NS0_5tupleIJPjSI_NS0_16reverse_iteratorISI_EEEEENSH_IJSG_SG_SG_EEES9_SI_JZNS1_25segmented_radix_sort_implINS0_14default_configELb1EPKdPdPKlPlN2at6native12_GLOBAL__N_18offset_tEEE10hipError_tPvRmT1_PNSt15iterator_traitsIS12_E10value_typeET2_T3_PNS13_IS18_E10value_typeET4_jRbjT5_S1E_jjP12ihipStream_tbEUljE_ZNSN_ISO_Lb1ESQ_SR_ST_SU_SY_EESZ_S10_S11_S12_S16_S17_S18_S1B_S1C_jS1D_jS1E_S1E_jjS1G_bEUljE0_EEESZ_S10_S11_S18_S1C_S1E_T6_T7_T9_mT8_S1G_bDpT10_ENKUlT_T0_E_clISt17integral_constantIbLb0EES1U_EEDaS1P_S1Q_EUlS1P_E_NS1_11comp_targetILNS1_3genE5ELNS1_11target_archE942ELNS1_3gpuE9ELNS1_3repE0EEENS1_30default_config_static_selectorELNS0_4arch9wavefront6targetE0EEEvS12_
; %bb.0:
	.section	.rodata,"a",@progbits
	.p2align	6, 0x0
	.amdhsa_kernel _ZN7rocprim17ROCPRIM_400000_NS6detail17trampoline_kernelINS0_13select_configILj256ELj13ELNS0_17block_load_methodE3ELS4_3ELS4_3ELNS0_20block_scan_algorithmE0ELj4294967295EEENS1_25partition_config_selectorILNS1_17partition_subalgoE4EjNS0_10empty_typeEbEEZZNS1_14partition_implILS8_4ELb0ES6_15HIP_vector_typeIjLj2EENS0_17counting_iteratorIjlEEPS9_SG_NS0_5tupleIJPjSI_NS0_16reverse_iteratorISI_EEEEENSH_IJSG_SG_SG_EEES9_SI_JZNS1_25segmented_radix_sort_implINS0_14default_configELb1EPKdPdPKlPlN2at6native12_GLOBAL__N_18offset_tEEE10hipError_tPvRmT1_PNSt15iterator_traitsIS12_E10value_typeET2_T3_PNS13_IS18_E10value_typeET4_jRbjT5_S1E_jjP12ihipStream_tbEUljE_ZNSN_ISO_Lb1ESQ_SR_ST_SU_SY_EESZ_S10_S11_S12_S16_S17_S18_S1B_S1C_jS1D_jS1E_S1E_jjS1G_bEUljE0_EEESZ_S10_S11_S18_S1C_S1E_T6_T7_T9_mT8_S1G_bDpT10_ENKUlT_T0_E_clISt17integral_constantIbLb0EES1U_EEDaS1P_S1Q_EUlS1P_E_NS1_11comp_targetILNS1_3genE5ELNS1_11target_archE942ELNS1_3gpuE9ELNS1_3repE0EEENS1_30default_config_static_selectorELNS0_4arch9wavefront6targetE0EEEvS12_
		.amdhsa_group_segment_fixed_size 0
		.amdhsa_private_segment_fixed_size 0
		.amdhsa_kernarg_size 176
		.amdhsa_user_sgpr_count 6
		.amdhsa_user_sgpr_private_segment_buffer 1
		.amdhsa_user_sgpr_dispatch_ptr 0
		.amdhsa_user_sgpr_queue_ptr 0
		.amdhsa_user_sgpr_kernarg_segment_ptr 1
		.amdhsa_user_sgpr_dispatch_id 0
		.amdhsa_user_sgpr_flat_scratch_init 0
		.amdhsa_user_sgpr_private_segment_size 0
		.amdhsa_wavefront_size32 1
		.amdhsa_uses_dynamic_stack 0
		.amdhsa_system_sgpr_private_segment_wavefront_offset 0
		.amdhsa_system_sgpr_workgroup_id_x 1
		.amdhsa_system_sgpr_workgroup_id_y 0
		.amdhsa_system_sgpr_workgroup_id_z 0
		.amdhsa_system_sgpr_workgroup_info 0
		.amdhsa_system_vgpr_workitem_id 0
		.amdhsa_next_free_vgpr 1
		.amdhsa_next_free_sgpr 1
		.amdhsa_reserve_vcc 0
		.amdhsa_reserve_flat_scratch 0
		.amdhsa_float_round_mode_32 0
		.amdhsa_float_round_mode_16_64 0
		.amdhsa_float_denorm_mode_32 3
		.amdhsa_float_denorm_mode_16_64 3
		.amdhsa_dx10_clamp 1
		.amdhsa_ieee_mode 1
		.amdhsa_fp16_overflow 0
		.amdhsa_workgroup_processor_mode 1
		.amdhsa_memory_ordered 1
		.amdhsa_forward_progress 1
		.amdhsa_shared_vgpr_count 0
		.amdhsa_exception_fp_ieee_invalid_op 0
		.amdhsa_exception_fp_denorm_src 0
		.amdhsa_exception_fp_ieee_div_zero 0
		.amdhsa_exception_fp_ieee_overflow 0
		.amdhsa_exception_fp_ieee_underflow 0
		.amdhsa_exception_fp_ieee_inexact 0
		.amdhsa_exception_int_div_zero 0
	.end_amdhsa_kernel
	.section	.text._ZN7rocprim17ROCPRIM_400000_NS6detail17trampoline_kernelINS0_13select_configILj256ELj13ELNS0_17block_load_methodE3ELS4_3ELS4_3ELNS0_20block_scan_algorithmE0ELj4294967295EEENS1_25partition_config_selectorILNS1_17partition_subalgoE4EjNS0_10empty_typeEbEEZZNS1_14partition_implILS8_4ELb0ES6_15HIP_vector_typeIjLj2EENS0_17counting_iteratorIjlEEPS9_SG_NS0_5tupleIJPjSI_NS0_16reverse_iteratorISI_EEEEENSH_IJSG_SG_SG_EEES9_SI_JZNS1_25segmented_radix_sort_implINS0_14default_configELb1EPKdPdPKlPlN2at6native12_GLOBAL__N_18offset_tEEE10hipError_tPvRmT1_PNSt15iterator_traitsIS12_E10value_typeET2_T3_PNS13_IS18_E10value_typeET4_jRbjT5_S1E_jjP12ihipStream_tbEUljE_ZNSN_ISO_Lb1ESQ_SR_ST_SU_SY_EESZ_S10_S11_S12_S16_S17_S18_S1B_S1C_jS1D_jS1E_S1E_jjS1G_bEUljE0_EEESZ_S10_S11_S18_S1C_S1E_T6_T7_T9_mT8_S1G_bDpT10_ENKUlT_T0_E_clISt17integral_constantIbLb0EES1U_EEDaS1P_S1Q_EUlS1P_E_NS1_11comp_targetILNS1_3genE5ELNS1_11target_archE942ELNS1_3gpuE9ELNS1_3repE0EEENS1_30default_config_static_selectorELNS0_4arch9wavefront6targetE0EEEvS12_,"axG",@progbits,_ZN7rocprim17ROCPRIM_400000_NS6detail17trampoline_kernelINS0_13select_configILj256ELj13ELNS0_17block_load_methodE3ELS4_3ELS4_3ELNS0_20block_scan_algorithmE0ELj4294967295EEENS1_25partition_config_selectorILNS1_17partition_subalgoE4EjNS0_10empty_typeEbEEZZNS1_14partition_implILS8_4ELb0ES6_15HIP_vector_typeIjLj2EENS0_17counting_iteratorIjlEEPS9_SG_NS0_5tupleIJPjSI_NS0_16reverse_iteratorISI_EEEEENSH_IJSG_SG_SG_EEES9_SI_JZNS1_25segmented_radix_sort_implINS0_14default_configELb1EPKdPdPKlPlN2at6native12_GLOBAL__N_18offset_tEEE10hipError_tPvRmT1_PNSt15iterator_traitsIS12_E10value_typeET2_T3_PNS13_IS18_E10value_typeET4_jRbjT5_S1E_jjP12ihipStream_tbEUljE_ZNSN_ISO_Lb1ESQ_SR_ST_SU_SY_EESZ_S10_S11_S12_S16_S17_S18_S1B_S1C_jS1D_jS1E_S1E_jjS1G_bEUljE0_EEESZ_S10_S11_S18_S1C_S1E_T6_T7_T9_mT8_S1G_bDpT10_ENKUlT_T0_E_clISt17integral_constantIbLb0EES1U_EEDaS1P_S1Q_EUlS1P_E_NS1_11comp_targetILNS1_3genE5ELNS1_11target_archE942ELNS1_3gpuE9ELNS1_3repE0EEENS1_30default_config_static_selectorELNS0_4arch9wavefront6targetE0EEEvS12_,comdat
.Lfunc_end1047:
	.size	_ZN7rocprim17ROCPRIM_400000_NS6detail17trampoline_kernelINS0_13select_configILj256ELj13ELNS0_17block_load_methodE3ELS4_3ELS4_3ELNS0_20block_scan_algorithmE0ELj4294967295EEENS1_25partition_config_selectorILNS1_17partition_subalgoE4EjNS0_10empty_typeEbEEZZNS1_14partition_implILS8_4ELb0ES6_15HIP_vector_typeIjLj2EENS0_17counting_iteratorIjlEEPS9_SG_NS0_5tupleIJPjSI_NS0_16reverse_iteratorISI_EEEEENSH_IJSG_SG_SG_EEES9_SI_JZNS1_25segmented_radix_sort_implINS0_14default_configELb1EPKdPdPKlPlN2at6native12_GLOBAL__N_18offset_tEEE10hipError_tPvRmT1_PNSt15iterator_traitsIS12_E10value_typeET2_T3_PNS13_IS18_E10value_typeET4_jRbjT5_S1E_jjP12ihipStream_tbEUljE_ZNSN_ISO_Lb1ESQ_SR_ST_SU_SY_EESZ_S10_S11_S12_S16_S17_S18_S1B_S1C_jS1D_jS1E_S1E_jjS1G_bEUljE0_EEESZ_S10_S11_S18_S1C_S1E_T6_T7_T9_mT8_S1G_bDpT10_ENKUlT_T0_E_clISt17integral_constantIbLb0EES1U_EEDaS1P_S1Q_EUlS1P_E_NS1_11comp_targetILNS1_3genE5ELNS1_11target_archE942ELNS1_3gpuE9ELNS1_3repE0EEENS1_30default_config_static_selectorELNS0_4arch9wavefront6targetE0EEEvS12_, .Lfunc_end1047-_ZN7rocprim17ROCPRIM_400000_NS6detail17trampoline_kernelINS0_13select_configILj256ELj13ELNS0_17block_load_methodE3ELS4_3ELS4_3ELNS0_20block_scan_algorithmE0ELj4294967295EEENS1_25partition_config_selectorILNS1_17partition_subalgoE4EjNS0_10empty_typeEbEEZZNS1_14partition_implILS8_4ELb0ES6_15HIP_vector_typeIjLj2EENS0_17counting_iteratorIjlEEPS9_SG_NS0_5tupleIJPjSI_NS0_16reverse_iteratorISI_EEEEENSH_IJSG_SG_SG_EEES9_SI_JZNS1_25segmented_radix_sort_implINS0_14default_configELb1EPKdPdPKlPlN2at6native12_GLOBAL__N_18offset_tEEE10hipError_tPvRmT1_PNSt15iterator_traitsIS12_E10value_typeET2_T3_PNS13_IS18_E10value_typeET4_jRbjT5_S1E_jjP12ihipStream_tbEUljE_ZNSN_ISO_Lb1ESQ_SR_ST_SU_SY_EESZ_S10_S11_S12_S16_S17_S18_S1B_S1C_jS1D_jS1E_S1E_jjS1G_bEUljE0_EEESZ_S10_S11_S18_S1C_S1E_T6_T7_T9_mT8_S1G_bDpT10_ENKUlT_T0_E_clISt17integral_constantIbLb0EES1U_EEDaS1P_S1Q_EUlS1P_E_NS1_11comp_targetILNS1_3genE5ELNS1_11target_archE942ELNS1_3gpuE9ELNS1_3repE0EEENS1_30default_config_static_selectorELNS0_4arch9wavefront6targetE0EEEvS12_
                                        ; -- End function
	.set _ZN7rocprim17ROCPRIM_400000_NS6detail17trampoline_kernelINS0_13select_configILj256ELj13ELNS0_17block_load_methodE3ELS4_3ELS4_3ELNS0_20block_scan_algorithmE0ELj4294967295EEENS1_25partition_config_selectorILNS1_17partition_subalgoE4EjNS0_10empty_typeEbEEZZNS1_14partition_implILS8_4ELb0ES6_15HIP_vector_typeIjLj2EENS0_17counting_iteratorIjlEEPS9_SG_NS0_5tupleIJPjSI_NS0_16reverse_iteratorISI_EEEEENSH_IJSG_SG_SG_EEES9_SI_JZNS1_25segmented_radix_sort_implINS0_14default_configELb1EPKdPdPKlPlN2at6native12_GLOBAL__N_18offset_tEEE10hipError_tPvRmT1_PNSt15iterator_traitsIS12_E10value_typeET2_T3_PNS13_IS18_E10value_typeET4_jRbjT5_S1E_jjP12ihipStream_tbEUljE_ZNSN_ISO_Lb1ESQ_SR_ST_SU_SY_EESZ_S10_S11_S12_S16_S17_S18_S1B_S1C_jS1D_jS1E_S1E_jjS1G_bEUljE0_EEESZ_S10_S11_S18_S1C_S1E_T6_T7_T9_mT8_S1G_bDpT10_ENKUlT_T0_E_clISt17integral_constantIbLb0EES1U_EEDaS1P_S1Q_EUlS1P_E_NS1_11comp_targetILNS1_3genE5ELNS1_11target_archE942ELNS1_3gpuE9ELNS1_3repE0EEENS1_30default_config_static_selectorELNS0_4arch9wavefront6targetE0EEEvS12_.num_vgpr, 0
	.set _ZN7rocprim17ROCPRIM_400000_NS6detail17trampoline_kernelINS0_13select_configILj256ELj13ELNS0_17block_load_methodE3ELS4_3ELS4_3ELNS0_20block_scan_algorithmE0ELj4294967295EEENS1_25partition_config_selectorILNS1_17partition_subalgoE4EjNS0_10empty_typeEbEEZZNS1_14partition_implILS8_4ELb0ES6_15HIP_vector_typeIjLj2EENS0_17counting_iteratorIjlEEPS9_SG_NS0_5tupleIJPjSI_NS0_16reverse_iteratorISI_EEEEENSH_IJSG_SG_SG_EEES9_SI_JZNS1_25segmented_radix_sort_implINS0_14default_configELb1EPKdPdPKlPlN2at6native12_GLOBAL__N_18offset_tEEE10hipError_tPvRmT1_PNSt15iterator_traitsIS12_E10value_typeET2_T3_PNS13_IS18_E10value_typeET4_jRbjT5_S1E_jjP12ihipStream_tbEUljE_ZNSN_ISO_Lb1ESQ_SR_ST_SU_SY_EESZ_S10_S11_S12_S16_S17_S18_S1B_S1C_jS1D_jS1E_S1E_jjS1G_bEUljE0_EEESZ_S10_S11_S18_S1C_S1E_T6_T7_T9_mT8_S1G_bDpT10_ENKUlT_T0_E_clISt17integral_constantIbLb0EES1U_EEDaS1P_S1Q_EUlS1P_E_NS1_11comp_targetILNS1_3genE5ELNS1_11target_archE942ELNS1_3gpuE9ELNS1_3repE0EEENS1_30default_config_static_selectorELNS0_4arch9wavefront6targetE0EEEvS12_.num_agpr, 0
	.set _ZN7rocprim17ROCPRIM_400000_NS6detail17trampoline_kernelINS0_13select_configILj256ELj13ELNS0_17block_load_methodE3ELS4_3ELS4_3ELNS0_20block_scan_algorithmE0ELj4294967295EEENS1_25partition_config_selectorILNS1_17partition_subalgoE4EjNS0_10empty_typeEbEEZZNS1_14partition_implILS8_4ELb0ES6_15HIP_vector_typeIjLj2EENS0_17counting_iteratorIjlEEPS9_SG_NS0_5tupleIJPjSI_NS0_16reverse_iteratorISI_EEEEENSH_IJSG_SG_SG_EEES9_SI_JZNS1_25segmented_radix_sort_implINS0_14default_configELb1EPKdPdPKlPlN2at6native12_GLOBAL__N_18offset_tEEE10hipError_tPvRmT1_PNSt15iterator_traitsIS12_E10value_typeET2_T3_PNS13_IS18_E10value_typeET4_jRbjT5_S1E_jjP12ihipStream_tbEUljE_ZNSN_ISO_Lb1ESQ_SR_ST_SU_SY_EESZ_S10_S11_S12_S16_S17_S18_S1B_S1C_jS1D_jS1E_S1E_jjS1G_bEUljE0_EEESZ_S10_S11_S18_S1C_S1E_T6_T7_T9_mT8_S1G_bDpT10_ENKUlT_T0_E_clISt17integral_constantIbLb0EES1U_EEDaS1P_S1Q_EUlS1P_E_NS1_11comp_targetILNS1_3genE5ELNS1_11target_archE942ELNS1_3gpuE9ELNS1_3repE0EEENS1_30default_config_static_selectorELNS0_4arch9wavefront6targetE0EEEvS12_.numbered_sgpr, 0
	.set _ZN7rocprim17ROCPRIM_400000_NS6detail17trampoline_kernelINS0_13select_configILj256ELj13ELNS0_17block_load_methodE3ELS4_3ELS4_3ELNS0_20block_scan_algorithmE0ELj4294967295EEENS1_25partition_config_selectorILNS1_17partition_subalgoE4EjNS0_10empty_typeEbEEZZNS1_14partition_implILS8_4ELb0ES6_15HIP_vector_typeIjLj2EENS0_17counting_iteratorIjlEEPS9_SG_NS0_5tupleIJPjSI_NS0_16reverse_iteratorISI_EEEEENSH_IJSG_SG_SG_EEES9_SI_JZNS1_25segmented_radix_sort_implINS0_14default_configELb1EPKdPdPKlPlN2at6native12_GLOBAL__N_18offset_tEEE10hipError_tPvRmT1_PNSt15iterator_traitsIS12_E10value_typeET2_T3_PNS13_IS18_E10value_typeET4_jRbjT5_S1E_jjP12ihipStream_tbEUljE_ZNSN_ISO_Lb1ESQ_SR_ST_SU_SY_EESZ_S10_S11_S12_S16_S17_S18_S1B_S1C_jS1D_jS1E_S1E_jjS1G_bEUljE0_EEESZ_S10_S11_S18_S1C_S1E_T6_T7_T9_mT8_S1G_bDpT10_ENKUlT_T0_E_clISt17integral_constantIbLb0EES1U_EEDaS1P_S1Q_EUlS1P_E_NS1_11comp_targetILNS1_3genE5ELNS1_11target_archE942ELNS1_3gpuE9ELNS1_3repE0EEENS1_30default_config_static_selectorELNS0_4arch9wavefront6targetE0EEEvS12_.num_named_barrier, 0
	.set _ZN7rocprim17ROCPRIM_400000_NS6detail17trampoline_kernelINS0_13select_configILj256ELj13ELNS0_17block_load_methodE3ELS4_3ELS4_3ELNS0_20block_scan_algorithmE0ELj4294967295EEENS1_25partition_config_selectorILNS1_17partition_subalgoE4EjNS0_10empty_typeEbEEZZNS1_14partition_implILS8_4ELb0ES6_15HIP_vector_typeIjLj2EENS0_17counting_iteratorIjlEEPS9_SG_NS0_5tupleIJPjSI_NS0_16reverse_iteratorISI_EEEEENSH_IJSG_SG_SG_EEES9_SI_JZNS1_25segmented_radix_sort_implINS0_14default_configELb1EPKdPdPKlPlN2at6native12_GLOBAL__N_18offset_tEEE10hipError_tPvRmT1_PNSt15iterator_traitsIS12_E10value_typeET2_T3_PNS13_IS18_E10value_typeET4_jRbjT5_S1E_jjP12ihipStream_tbEUljE_ZNSN_ISO_Lb1ESQ_SR_ST_SU_SY_EESZ_S10_S11_S12_S16_S17_S18_S1B_S1C_jS1D_jS1E_S1E_jjS1G_bEUljE0_EEESZ_S10_S11_S18_S1C_S1E_T6_T7_T9_mT8_S1G_bDpT10_ENKUlT_T0_E_clISt17integral_constantIbLb0EES1U_EEDaS1P_S1Q_EUlS1P_E_NS1_11comp_targetILNS1_3genE5ELNS1_11target_archE942ELNS1_3gpuE9ELNS1_3repE0EEENS1_30default_config_static_selectorELNS0_4arch9wavefront6targetE0EEEvS12_.private_seg_size, 0
	.set _ZN7rocprim17ROCPRIM_400000_NS6detail17trampoline_kernelINS0_13select_configILj256ELj13ELNS0_17block_load_methodE3ELS4_3ELS4_3ELNS0_20block_scan_algorithmE0ELj4294967295EEENS1_25partition_config_selectorILNS1_17partition_subalgoE4EjNS0_10empty_typeEbEEZZNS1_14partition_implILS8_4ELb0ES6_15HIP_vector_typeIjLj2EENS0_17counting_iteratorIjlEEPS9_SG_NS0_5tupleIJPjSI_NS0_16reverse_iteratorISI_EEEEENSH_IJSG_SG_SG_EEES9_SI_JZNS1_25segmented_radix_sort_implINS0_14default_configELb1EPKdPdPKlPlN2at6native12_GLOBAL__N_18offset_tEEE10hipError_tPvRmT1_PNSt15iterator_traitsIS12_E10value_typeET2_T3_PNS13_IS18_E10value_typeET4_jRbjT5_S1E_jjP12ihipStream_tbEUljE_ZNSN_ISO_Lb1ESQ_SR_ST_SU_SY_EESZ_S10_S11_S12_S16_S17_S18_S1B_S1C_jS1D_jS1E_S1E_jjS1G_bEUljE0_EEESZ_S10_S11_S18_S1C_S1E_T6_T7_T9_mT8_S1G_bDpT10_ENKUlT_T0_E_clISt17integral_constantIbLb0EES1U_EEDaS1P_S1Q_EUlS1P_E_NS1_11comp_targetILNS1_3genE5ELNS1_11target_archE942ELNS1_3gpuE9ELNS1_3repE0EEENS1_30default_config_static_selectorELNS0_4arch9wavefront6targetE0EEEvS12_.uses_vcc, 0
	.set _ZN7rocprim17ROCPRIM_400000_NS6detail17trampoline_kernelINS0_13select_configILj256ELj13ELNS0_17block_load_methodE3ELS4_3ELS4_3ELNS0_20block_scan_algorithmE0ELj4294967295EEENS1_25partition_config_selectorILNS1_17partition_subalgoE4EjNS0_10empty_typeEbEEZZNS1_14partition_implILS8_4ELb0ES6_15HIP_vector_typeIjLj2EENS0_17counting_iteratorIjlEEPS9_SG_NS0_5tupleIJPjSI_NS0_16reverse_iteratorISI_EEEEENSH_IJSG_SG_SG_EEES9_SI_JZNS1_25segmented_radix_sort_implINS0_14default_configELb1EPKdPdPKlPlN2at6native12_GLOBAL__N_18offset_tEEE10hipError_tPvRmT1_PNSt15iterator_traitsIS12_E10value_typeET2_T3_PNS13_IS18_E10value_typeET4_jRbjT5_S1E_jjP12ihipStream_tbEUljE_ZNSN_ISO_Lb1ESQ_SR_ST_SU_SY_EESZ_S10_S11_S12_S16_S17_S18_S1B_S1C_jS1D_jS1E_S1E_jjS1G_bEUljE0_EEESZ_S10_S11_S18_S1C_S1E_T6_T7_T9_mT8_S1G_bDpT10_ENKUlT_T0_E_clISt17integral_constantIbLb0EES1U_EEDaS1P_S1Q_EUlS1P_E_NS1_11comp_targetILNS1_3genE5ELNS1_11target_archE942ELNS1_3gpuE9ELNS1_3repE0EEENS1_30default_config_static_selectorELNS0_4arch9wavefront6targetE0EEEvS12_.uses_flat_scratch, 0
	.set _ZN7rocprim17ROCPRIM_400000_NS6detail17trampoline_kernelINS0_13select_configILj256ELj13ELNS0_17block_load_methodE3ELS4_3ELS4_3ELNS0_20block_scan_algorithmE0ELj4294967295EEENS1_25partition_config_selectorILNS1_17partition_subalgoE4EjNS0_10empty_typeEbEEZZNS1_14partition_implILS8_4ELb0ES6_15HIP_vector_typeIjLj2EENS0_17counting_iteratorIjlEEPS9_SG_NS0_5tupleIJPjSI_NS0_16reverse_iteratorISI_EEEEENSH_IJSG_SG_SG_EEES9_SI_JZNS1_25segmented_radix_sort_implINS0_14default_configELb1EPKdPdPKlPlN2at6native12_GLOBAL__N_18offset_tEEE10hipError_tPvRmT1_PNSt15iterator_traitsIS12_E10value_typeET2_T3_PNS13_IS18_E10value_typeET4_jRbjT5_S1E_jjP12ihipStream_tbEUljE_ZNSN_ISO_Lb1ESQ_SR_ST_SU_SY_EESZ_S10_S11_S12_S16_S17_S18_S1B_S1C_jS1D_jS1E_S1E_jjS1G_bEUljE0_EEESZ_S10_S11_S18_S1C_S1E_T6_T7_T9_mT8_S1G_bDpT10_ENKUlT_T0_E_clISt17integral_constantIbLb0EES1U_EEDaS1P_S1Q_EUlS1P_E_NS1_11comp_targetILNS1_3genE5ELNS1_11target_archE942ELNS1_3gpuE9ELNS1_3repE0EEENS1_30default_config_static_selectorELNS0_4arch9wavefront6targetE0EEEvS12_.has_dyn_sized_stack, 0
	.set _ZN7rocprim17ROCPRIM_400000_NS6detail17trampoline_kernelINS0_13select_configILj256ELj13ELNS0_17block_load_methodE3ELS4_3ELS4_3ELNS0_20block_scan_algorithmE0ELj4294967295EEENS1_25partition_config_selectorILNS1_17partition_subalgoE4EjNS0_10empty_typeEbEEZZNS1_14partition_implILS8_4ELb0ES6_15HIP_vector_typeIjLj2EENS0_17counting_iteratorIjlEEPS9_SG_NS0_5tupleIJPjSI_NS0_16reverse_iteratorISI_EEEEENSH_IJSG_SG_SG_EEES9_SI_JZNS1_25segmented_radix_sort_implINS0_14default_configELb1EPKdPdPKlPlN2at6native12_GLOBAL__N_18offset_tEEE10hipError_tPvRmT1_PNSt15iterator_traitsIS12_E10value_typeET2_T3_PNS13_IS18_E10value_typeET4_jRbjT5_S1E_jjP12ihipStream_tbEUljE_ZNSN_ISO_Lb1ESQ_SR_ST_SU_SY_EESZ_S10_S11_S12_S16_S17_S18_S1B_S1C_jS1D_jS1E_S1E_jjS1G_bEUljE0_EEESZ_S10_S11_S18_S1C_S1E_T6_T7_T9_mT8_S1G_bDpT10_ENKUlT_T0_E_clISt17integral_constantIbLb0EES1U_EEDaS1P_S1Q_EUlS1P_E_NS1_11comp_targetILNS1_3genE5ELNS1_11target_archE942ELNS1_3gpuE9ELNS1_3repE0EEENS1_30default_config_static_selectorELNS0_4arch9wavefront6targetE0EEEvS12_.has_recursion, 0
	.set _ZN7rocprim17ROCPRIM_400000_NS6detail17trampoline_kernelINS0_13select_configILj256ELj13ELNS0_17block_load_methodE3ELS4_3ELS4_3ELNS0_20block_scan_algorithmE0ELj4294967295EEENS1_25partition_config_selectorILNS1_17partition_subalgoE4EjNS0_10empty_typeEbEEZZNS1_14partition_implILS8_4ELb0ES6_15HIP_vector_typeIjLj2EENS0_17counting_iteratorIjlEEPS9_SG_NS0_5tupleIJPjSI_NS0_16reverse_iteratorISI_EEEEENSH_IJSG_SG_SG_EEES9_SI_JZNS1_25segmented_radix_sort_implINS0_14default_configELb1EPKdPdPKlPlN2at6native12_GLOBAL__N_18offset_tEEE10hipError_tPvRmT1_PNSt15iterator_traitsIS12_E10value_typeET2_T3_PNS13_IS18_E10value_typeET4_jRbjT5_S1E_jjP12ihipStream_tbEUljE_ZNSN_ISO_Lb1ESQ_SR_ST_SU_SY_EESZ_S10_S11_S12_S16_S17_S18_S1B_S1C_jS1D_jS1E_S1E_jjS1G_bEUljE0_EEESZ_S10_S11_S18_S1C_S1E_T6_T7_T9_mT8_S1G_bDpT10_ENKUlT_T0_E_clISt17integral_constantIbLb0EES1U_EEDaS1P_S1Q_EUlS1P_E_NS1_11comp_targetILNS1_3genE5ELNS1_11target_archE942ELNS1_3gpuE9ELNS1_3repE0EEENS1_30default_config_static_selectorELNS0_4arch9wavefront6targetE0EEEvS12_.has_indirect_call, 0
	.section	.AMDGPU.csdata,"",@progbits
; Kernel info:
; codeLenInByte = 0
; TotalNumSgprs: 0
; NumVgprs: 0
; ScratchSize: 0
; MemoryBound: 0
; FloatMode: 240
; IeeeMode: 1
; LDSByteSize: 0 bytes/workgroup (compile time only)
; SGPRBlocks: 0
; VGPRBlocks: 0
; NumSGPRsForWavesPerEU: 1
; NumVGPRsForWavesPerEU: 1
; Occupancy: 16
; WaveLimiterHint : 0
; COMPUTE_PGM_RSRC2:SCRATCH_EN: 0
; COMPUTE_PGM_RSRC2:USER_SGPR: 6
; COMPUTE_PGM_RSRC2:TRAP_HANDLER: 0
; COMPUTE_PGM_RSRC2:TGID_X_EN: 1
; COMPUTE_PGM_RSRC2:TGID_Y_EN: 0
; COMPUTE_PGM_RSRC2:TGID_Z_EN: 0
; COMPUTE_PGM_RSRC2:TIDIG_COMP_CNT: 0
	.section	.text._ZN7rocprim17ROCPRIM_400000_NS6detail17trampoline_kernelINS0_13select_configILj256ELj13ELNS0_17block_load_methodE3ELS4_3ELS4_3ELNS0_20block_scan_algorithmE0ELj4294967295EEENS1_25partition_config_selectorILNS1_17partition_subalgoE4EjNS0_10empty_typeEbEEZZNS1_14partition_implILS8_4ELb0ES6_15HIP_vector_typeIjLj2EENS0_17counting_iteratorIjlEEPS9_SG_NS0_5tupleIJPjSI_NS0_16reverse_iteratorISI_EEEEENSH_IJSG_SG_SG_EEES9_SI_JZNS1_25segmented_radix_sort_implINS0_14default_configELb1EPKdPdPKlPlN2at6native12_GLOBAL__N_18offset_tEEE10hipError_tPvRmT1_PNSt15iterator_traitsIS12_E10value_typeET2_T3_PNS13_IS18_E10value_typeET4_jRbjT5_S1E_jjP12ihipStream_tbEUljE_ZNSN_ISO_Lb1ESQ_SR_ST_SU_SY_EESZ_S10_S11_S12_S16_S17_S18_S1B_S1C_jS1D_jS1E_S1E_jjS1G_bEUljE0_EEESZ_S10_S11_S18_S1C_S1E_T6_T7_T9_mT8_S1G_bDpT10_ENKUlT_T0_E_clISt17integral_constantIbLb0EES1U_EEDaS1P_S1Q_EUlS1P_E_NS1_11comp_targetILNS1_3genE4ELNS1_11target_archE910ELNS1_3gpuE8ELNS1_3repE0EEENS1_30default_config_static_selectorELNS0_4arch9wavefront6targetE0EEEvS12_,"axG",@progbits,_ZN7rocprim17ROCPRIM_400000_NS6detail17trampoline_kernelINS0_13select_configILj256ELj13ELNS0_17block_load_methodE3ELS4_3ELS4_3ELNS0_20block_scan_algorithmE0ELj4294967295EEENS1_25partition_config_selectorILNS1_17partition_subalgoE4EjNS0_10empty_typeEbEEZZNS1_14partition_implILS8_4ELb0ES6_15HIP_vector_typeIjLj2EENS0_17counting_iteratorIjlEEPS9_SG_NS0_5tupleIJPjSI_NS0_16reverse_iteratorISI_EEEEENSH_IJSG_SG_SG_EEES9_SI_JZNS1_25segmented_radix_sort_implINS0_14default_configELb1EPKdPdPKlPlN2at6native12_GLOBAL__N_18offset_tEEE10hipError_tPvRmT1_PNSt15iterator_traitsIS12_E10value_typeET2_T3_PNS13_IS18_E10value_typeET4_jRbjT5_S1E_jjP12ihipStream_tbEUljE_ZNSN_ISO_Lb1ESQ_SR_ST_SU_SY_EESZ_S10_S11_S12_S16_S17_S18_S1B_S1C_jS1D_jS1E_S1E_jjS1G_bEUljE0_EEESZ_S10_S11_S18_S1C_S1E_T6_T7_T9_mT8_S1G_bDpT10_ENKUlT_T0_E_clISt17integral_constantIbLb0EES1U_EEDaS1P_S1Q_EUlS1P_E_NS1_11comp_targetILNS1_3genE4ELNS1_11target_archE910ELNS1_3gpuE8ELNS1_3repE0EEENS1_30default_config_static_selectorELNS0_4arch9wavefront6targetE0EEEvS12_,comdat
	.globl	_ZN7rocprim17ROCPRIM_400000_NS6detail17trampoline_kernelINS0_13select_configILj256ELj13ELNS0_17block_load_methodE3ELS4_3ELS4_3ELNS0_20block_scan_algorithmE0ELj4294967295EEENS1_25partition_config_selectorILNS1_17partition_subalgoE4EjNS0_10empty_typeEbEEZZNS1_14partition_implILS8_4ELb0ES6_15HIP_vector_typeIjLj2EENS0_17counting_iteratorIjlEEPS9_SG_NS0_5tupleIJPjSI_NS0_16reverse_iteratorISI_EEEEENSH_IJSG_SG_SG_EEES9_SI_JZNS1_25segmented_radix_sort_implINS0_14default_configELb1EPKdPdPKlPlN2at6native12_GLOBAL__N_18offset_tEEE10hipError_tPvRmT1_PNSt15iterator_traitsIS12_E10value_typeET2_T3_PNS13_IS18_E10value_typeET4_jRbjT5_S1E_jjP12ihipStream_tbEUljE_ZNSN_ISO_Lb1ESQ_SR_ST_SU_SY_EESZ_S10_S11_S12_S16_S17_S18_S1B_S1C_jS1D_jS1E_S1E_jjS1G_bEUljE0_EEESZ_S10_S11_S18_S1C_S1E_T6_T7_T9_mT8_S1G_bDpT10_ENKUlT_T0_E_clISt17integral_constantIbLb0EES1U_EEDaS1P_S1Q_EUlS1P_E_NS1_11comp_targetILNS1_3genE4ELNS1_11target_archE910ELNS1_3gpuE8ELNS1_3repE0EEENS1_30default_config_static_selectorELNS0_4arch9wavefront6targetE0EEEvS12_ ; -- Begin function _ZN7rocprim17ROCPRIM_400000_NS6detail17trampoline_kernelINS0_13select_configILj256ELj13ELNS0_17block_load_methodE3ELS4_3ELS4_3ELNS0_20block_scan_algorithmE0ELj4294967295EEENS1_25partition_config_selectorILNS1_17partition_subalgoE4EjNS0_10empty_typeEbEEZZNS1_14partition_implILS8_4ELb0ES6_15HIP_vector_typeIjLj2EENS0_17counting_iteratorIjlEEPS9_SG_NS0_5tupleIJPjSI_NS0_16reverse_iteratorISI_EEEEENSH_IJSG_SG_SG_EEES9_SI_JZNS1_25segmented_radix_sort_implINS0_14default_configELb1EPKdPdPKlPlN2at6native12_GLOBAL__N_18offset_tEEE10hipError_tPvRmT1_PNSt15iterator_traitsIS12_E10value_typeET2_T3_PNS13_IS18_E10value_typeET4_jRbjT5_S1E_jjP12ihipStream_tbEUljE_ZNSN_ISO_Lb1ESQ_SR_ST_SU_SY_EESZ_S10_S11_S12_S16_S17_S18_S1B_S1C_jS1D_jS1E_S1E_jjS1G_bEUljE0_EEESZ_S10_S11_S18_S1C_S1E_T6_T7_T9_mT8_S1G_bDpT10_ENKUlT_T0_E_clISt17integral_constantIbLb0EES1U_EEDaS1P_S1Q_EUlS1P_E_NS1_11comp_targetILNS1_3genE4ELNS1_11target_archE910ELNS1_3gpuE8ELNS1_3repE0EEENS1_30default_config_static_selectorELNS0_4arch9wavefront6targetE0EEEvS12_
	.p2align	8
	.type	_ZN7rocprim17ROCPRIM_400000_NS6detail17trampoline_kernelINS0_13select_configILj256ELj13ELNS0_17block_load_methodE3ELS4_3ELS4_3ELNS0_20block_scan_algorithmE0ELj4294967295EEENS1_25partition_config_selectorILNS1_17partition_subalgoE4EjNS0_10empty_typeEbEEZZNS1_14partition_implILS8_4ELb0ES6_15HIP_vector_typeIjLj2EENS0_17counting_iteratorIjlEEPS9_SG_NS0_5tupleIJPjSI_NS0_16reverse_iteratorISI_EEEEENSH_IJSG_SG_SG_EEES9_SI_JZNS1_25segmented_radix_sort_implINS0_14default_configELb1EPKdPdPKlPlN2at6native12_GLOBAL__N_18offset_tEEE10hipError_tPvRmT1_PNSt15iterator_traitsIS12_E10value_typeET2_T3_PNS13_IS18_E10value_typeET4_jRbjT5_S1E_jjP12ihipStream_tbEUljE_ZNSN_ISO_Lb1ESQ_SR_ST_SU_SY_EESZ_S10_S11_S12_S16_S17_S18_S1B_S1C_jS1D_jS1E_S1E_jjS1G_bEUljE0_EEESZ_S10_S11_S18_S1C_S1E_T6_T7_T9_mT8_S1G_bDpT10_ENKUlT_T0_E_clISt17integral_constantIbLb0EES1U_EEDaS1P_S1Q_EUlS1P_E_NS1_11comp_targetILNS1_3genE4ELNS1_11target_archE910ELNS1_3gpuE8ELNS1_3repE0EEENS1_30default_config_static_selectorELNS0_4arch9wavefront6targetE0EEEvS12_,@function
_ZN7rocprim17ROCPRIM_400000_NS6detail17trampoline_kernelINS0_13select_configILj256ELj13ELNS0_17block_load_methodE3ELS4_3ELS4_3ELNS0_20block_scan_algorithmE0ELj4294967295EEENS1_25partition_config_selectorILNS1_17partition_subalgoE4EjNS0_10empty_typeEbEEZZNS1_14partition_implILS8_4ELb0ES6_15HIP_vector_typeIjLj2EENS0_17counting_iteratorIjlEEPS9_SG_NS0_5tupleIJPjSI_NS0_16reverse_iteratorISI_EEEEENSH_IJSG_SG_SG_EEES9_SI_JZNS1_25segmented_radix_sort_implINS0_14default_configELb1EPKdPdPKlPlN2at6native12_GLOBAL__N_18offset_tEEE10hipError_tPvRmT1_PNSt15iterator_traitsIS12_E10value_typeET2_T3_PNS13_IS18_E10value_typeET4_jRbjT5_S1E_jjP12ihipStream_tbEUljE_ZNSN_ISO_Lb1ESQ_SR_ST_SU_SY_EESZ_S10_S11_S12_S16_S17_S18_S1B_S1C_jS1D_jS1E_S1E_jjS1G_bEUljE0_EEESZ_S10_S11_S18_S1C_S1E_T6_T7_T9_mT8_S1G_bDpT10_ENKUlT_T0_E_clISt17integral_constantIbLb0EES1U_EEDaS1P_S1Q_EUlS1P_E_NS1_11comp_targetILNS1_3genE4ELNS1_11target_archE910ELNS1_3gpuE8ELNS1_3repE0EEENS1_30default_config_static_selectorELNS0_4arch9wavefront6targetE0EEEvS12_: ; @_ZN7rocprim17ROCPRIM_400000_NS6detail17trampoline_kernelINS0_13select_configILj256ELj13ELNS0_17block_load_methodE3ELS4_3ELS4_3ELNS0_20block_scan_algorithmE0ELj4294967295EEENS1_25partition_config_selectorILNS1_17partition_subalgoE4EjNS0_10empty_typeEbEEZZNS1_14partition_implILS8_4ELb0ES6_15HIP_vector_typeIjLj2EENS0_17counting_iteratorIjlEEPS9_SG_NS0_5tupleIJPjSI_NS0_16reverse_iteratorISI_EEEEENSH_IJSG_SG_SG_EEES9_SI_JZNS1_25segmented_radix_sort_implINS0_14default_configELb1EPKdPdPKlPlN2at6native12_GLOBAL__N_18offset_tEEE10hipError_tPvRmT1_PNSt15iterator_traitsIS12_E10value_typeET2_T3_PNS13_IS18_E10value_typeET4_jRbjT5_S1E_jjP12ihipStream_tbEUljE_ZNSN_ISO_Lb1ESQ_SR_ST_SU_SY_EESZ_S10_S11_S12_S16_S17_S18_S1B_S1C_jS1D_jS1E_S1E_jjS1G_bEUljE0_EEESZ_S10_S11_S18_S1C_S1E_T6_T7_T9_mT8_S1G_bDpT10_ENKUlT_T0_E_clISt17integral_constantIbLb0EES1U_EEDaS1P_S1Q_EUlS1P_E_NS1_11comp_targetILNS1_3genE4ELNS1_11target_archE910ELNS1_3gpuE8ELNS1_3repE0EEENS1_30default_config_static_selectorELNS0_4arch9wavefront6targetE0EEEvS12_
; %bb.0:
	.section	.rodata,"a",@progbits
	.p2align	6, 0x0
	.amdhsa_kernel _ZN7rocprim17ROCPRIM_400000_NS6detail17trampoline_kernelINS0_13select_configILj256ELj13ELNS0_17block_load_methodE3ELS4_3ELS4_3ELNS0_20block_scan_algorithmE0ELj4294967295EEENS1_25partition_config_selectorILNS1_17partition_subalgoE4EjNS0_10empty_typeEbEEZZNS1_14partition_implILS8_4ELb0ES6_15HIP_vector_typeIjLj2EENS0_17counting_iteratorIjlEEPS9_SG_NS0_5tupleIJPjSI_NS0_16reverse_iteratorISI_EEEEENSH_IJSG_SG_SG_EEES9_SI_JZNS1_25segmented_radix_sort_implINS0_14default_configELb1EPKdPdPKlPlN2at6native12_GLOBAL__N_18offset_tEEE10hipError_tPvRmT1_PNSt15iterator_traitsIS12_E10value_typeET2_T3_PNS13_IS18_E10value_typeET4_jRbjT5_S1E_jjP12ihipStream_tbEUljE_ZNSN_ISO_Lb1ESQ_SR_ST_SU_SY_EESZ_S10_S11_S12_S16_S17_S18_S1B_S1C_jS1D_jS1E_S1E_jjS1G_bEUljE0_EEESZ_S10_S11_S18_S1C_S1E_T6_T7_T9_mT8_S1G_bDpT10_ENKUlT_T0_E_clISt17integral_constantIbLb0EES1U_EEDaS1P_S1Q_EUlS1P_E_NS1_11comp_targetILNS1_3genE4ELNS1_11target_archE910ELNS1_3gpuE8ELNS1_3repE0EEENS1_30default_config_static_selectorELNS0_4arch9wavefront6targetE0EEEvS12_
		.amdhsa_group_segment_fixed_size 0
		.amdhsa_private_segment_fixed_size 0
		.amdhsa_kernarg_size 176
		.amdhsa_user_sgpr_count 6
		.amdhsa_user_sgpr_private_segment_buffer 1
		.amdhsa_user_sgpr_dispatch_ptr 0
		.amdhsa_user_sgpr_queue_ptr 0
		.amdhsa_user_sgpr_kernarg_segment_ptr 1
		.amdhsa_user_sgpr_dispatch_id 0
		.amdhsa_user_sgpr_flat_scratch_init 0
		.amdhsa_user_sgpr_private_segment_size 0
		.amdhsa_wavefront_size32 1
		.amdhsa_uses_dynamic_stack 0
		.amdhsa_system_sgpr_private_segment_wavefront_offset 0
		.amdhsa_system_sgpr_workgroup_id_x 1
		.amdhsa_system_sgpr_workgroup_id_y 0
		.amdhsa_system_sgpr_workgroup_id_z 0
		.amdhsa_system_sgpr_workgroup_info 0
		.amdhsa_system_vgpr_workitem_id 0
		.amdhsa_next_free_vgpr 1
		.amdhsa_next_free_sgpr 1
		.amdhsa_reserve_vcc 0
		.amdhsa_reserve_flat_scratch 0
		.amdhsa_float_round_mode_32 0
		.amdhsa_float_round_mode_16_64 0
		.amdhsa_float_denorm_mode_32 3
		.amdhsa_float_denorm_mode_16_64 3
		.amdhsa_dx10_clamp 1
		.amdhsa_ieee_mode 1
		.amdhsa_fp16_overflow 0
		.amdhsa_workgroup_processor_mode 1
		.amdhsa_memory_ordered 1
		.amdhsa_forward_progress 1
		.amdhsa_shared_vgpr_count 0
		.amdhsa_exception_fp_ieee_invalid_op 0
		.amdhsa_exception_fp_denorm_src 0
		.amdhsa_exception_fp_ieee_div_zero 0
		.amdhsa_exception_fp_ieee_overflow 0
		.amdhsa_exception_fp_ieee_underflow 0
		.amdhsa_exception_fp_ieee_inexact 0
		.amdhsa_exception_int_div_zero 0
	.end_amdhsa_kernel
	.section	.text._ZN7rocprim17ROCPRIM_400000_NS6detail17trampoline_kernelINS0_13select_configILj256ELj13ELNS0_17block_load_methodE3ELS4_3ELS4_3ELNS0_20block_scan_algorithmE0ELj4294967295EEENS1_25partition_config_selectorILNS1_17partition_subalgoE4EjNS0_10empty_typeEbEEZZNS1_14partition_implILS8_4ELb0ES6_15HIP_vector_typeIjLj2EENS0_17counting_iteratorIjlEEPS9_SG_NS0_5tupleIJPjSI_NS0_16reverse_iteratorISI_EEEEENSH_IJSG_SG_SG_EEES9_SI_JZNS1_25segmented_radix_sort_implINS0_14default_configELb1EPKdPdPKlPlN2at6native12_GLOBAL__N_18offset_tEEE10hipError_tPvRmT1_PNSt15iterator_traitsIS12_E10value_typeET2_T3_PNS13_IS18_E10value_typeET4_jRbjT5_S1E_jjP12ihipStream_tbEUljE_ZNSN_ISO_Lb1ESQ_SR_ST_SU_SY_EESZ_S10_S11_S12_S16_S17_S18_S1B_S1C_jS1D_jS1E_S1E_jjS1G_bEUljE0_EEESZ_S10_S11_S18_S1C_S1E_T6_T7_T9_mT8_S1G_bDpT10_ENKUlT_T0_E_clISt17integral_constantIbLb0EES1U_EEDaS1P_S1Q_EUlS1P_E_NS1_11comp_targetILNS1_3genE4ELNS1_11target_archE910ELNS1_3gpuE8ELNS1_3repE0EEENS1_30default_config_static_selectorELNS0_4arch9wavefront6targetE0EEEvS12_,"axG",@progbits,_ZN7rocprim17ROCPRIM_400000_NS6detail17trampoline_kernelINS0_13select_configILj256ELj13ELNS0_17block_load_methodE3ELS4_3ELS4_3ELNS0_20block_scan_algorithmE0ELj4294967295EEENS1_25partition_config_selectorILNS1_17partition_subalgoE4EjNS0_10empty_typeEbEEZZNS1_14partition_implILS8_4ELb0ES6_15HIP_vector_typeIjLj2EENS0_17counting_iteratorIjlEEPS9_SG_NS0_5tupleIJPjSI_NS0_16reverse_iteratorISI_EEEEENSH_IJSG_SG_SG_EEES9_SI_JZNS1_25segmented_radix_sort_implINS0_14default_configELb1EPKdPdPKlPlN2at6native12_GLOBAL__N_18offset_tEEE10hipError_tPvRmT1_PNSt15iterator_traitsIS12_E10value_typeET2_T3_PNS13_IS18_E10value_typeET4_jRbjT5_S1E_jjP12ihipStream_tbEUljE_ZNSN_ISO_Lb1ESQ_SR_ST_SU_SY_EESZ_S10_S11_S12_S16_S17_S18_S1B_S1C_jS1D_jS1E_S1E_jjS1G_bEUljE0_EEESZ_S10_S11_S18_S1C_S1E_T6_T7_T9_mT8_S1G_bDpT10_ENKUlT_T0_E_clISt17integral_constantIbLb0EES1U_EEDaS1P_S1Q_EUlS1P_E_NS1_11comp_targetILNS1_3genE4ELNS1_11target_archE910ELNS1_3gpuE8ELNS1_3repE0EEENS1_30default_config_static_selectorELNS0_4arch9wavefront6targetE0EEEvS12_,comdat
.Lfunc_end1048:
	.size	_ZN7rocprim17ROCPRIM_400000_NS6detail17trampoline_kernelINS0_13select_configILj256ELj13ELNS0_17block_load_methodE3ELS4_3ELS4_3ELNS0_20block_scan_algorithmE0ELj4294967295EEENS1_25partition_config_selectorILNS1_17partition_subalgoE4EjNS0_10empty_typeEbEEZZNS1_14partition_implILS8_4ELb0ES6_15HIP_vector_typeIjLj2EENS0_17counting_iteratorIjlEEPS9_SG_NS0_5tupleIJPjSI_NS0_16reverse_iteratorISI_EEEEENSH_IJSG_SG_SG_EEES9_SI_JZNS1_25segmented_radix_sort_implINS0_14default_configELb1EPKdPdPKlPlN2at6native12_GLOBAL__N_18offset_tEEE10hipError_tPvRmT1_PNSt15iterator_traitsIS12_E10value_typeET2_T3_PNS13_IS18_E10value_typeET4_jRbjT5_S1E_jjP12ihipStream_tbEUljE_ZNSN_ISO_Lb1ESQ_SR_ST_SU_SY_EESZ_S10_S11_S12_S16_S17_S18_S1B_S1C_jS1D_jS1E_S1E_jjS1G_bEUljE0_EEESZ_S10_S11_S18_S1C_S1E_T6_T7_T9_mT8_S1G_bDpT10_ENKUlT_T0_E_clISt17integral_constantIbLb0EES1U_EEDaS1P_S1Q_EUlS1P_E_NS1_11comp_targetILNS1_3genE4ELNS1_11target_archE910ELNS1_3gpuE8ELNS1_3repE0EEENS1_30default_config_static_selectorELNS0_4arch9wavefront6targetE0EEEvS12_, .Lfunc_end1048-_ZN7rocprim17ROCPRIM_400000_NS6detail17trampoline_kernelINS0_13select_configILj256ELj13ELNS0_17block_load_methodE3ELS4_3ELS4_3ELNS0_20block_scan_algorithmE0ELj4294967295EEENS1_25partition_config_selectorILNS1_17partition_subalgoE4EjNS0_10empty_typeEbEEZZNS1_14partition_implILS8_4ELb0ES6_15HIP_vector_typeIjLj2EENS0_17counting_iteratorIjlEEPS9_SG_NS0_5tupleIJPjSI_NS0_16reverse_iteratorISI_EEEEENSH_IJSG_SG_SG_EEES9_SI_JZNS1_25segmented_radix_sort_implINS0_14default_configELb1EPKdPdPKlPlN2at6native12_GLOBAL__N_18offset_tEEE10hipError_tPvRmT1_PNSt15iterator_traitsIS12_E10value_typeET2_T3_PNS13_IS18_E10value_typeET4_jRbjT5_S1E_jjP12ihipStream_tbEUljE_ZNSN_ISO_Lb1ESQ_SR_ST_SU_SY_EESZ_S10_S11_S12_S16_S17_S18_S1B_S1C_jS1D_jS1E_S1E_jjS1G_bEUljE0_EEESZ_S10_S11_S18_S1C_S1E_T6_T7_T9_mT8_S1G_bDpT10_ENKUlT_T0_E_clISt17integral_constantIbLb0EES1U_EEDaS1P_S1Q_EUlS1P_E_NS1_11comp_targetILNS1_3genE4ELNS1_11target_archE910ELNS1_3gpuE8ELNS1_3repE0EEENS1_30default_config_static_selectorELNS0_4arch9wavefront6targetE0EEEvS12_
                                        ; -- End function
	.set _ZN7rocprim17ROCPRIM_400000_NS6detail17trampoline_kernelINS0_13select_configILj256ELj13ELNS0_17block_load_methodE3ELS4_3ELS4_3ELNS0_20block_scan_algorithmE0ELj4294967295EEENS1_25partition_config_selectorILNS1_17partition_subalgoE4EjNS0_10empty_typeEbEEZZNS1_14partition_implILS8_4ELb0ES6_15HIP_vector_typeIjLj2EENS0_17counting_iteratorIjlEEPS9_SG_NS0_5tupleIJPjSI_NS0_16reverse_iteratorISI_EEEEENSH_IJSG_SG_SG_EEES9_SI_JZNS1_25segmented_radix_sort_implINS0_14default_configELb1EPKdPdPKlPlN2at6native12_GLOBAL__N_18offset_tEEE10hipError_tPvRmT1_PNSt15iterator_traitsIS12_E10value_typeET2_T3_PNS13_IS18_E10value_typeET4_jRbjT5_S1E_jjP12ihipStream_tbEUljE_ZNSN_ISO_Lb1ESQ_SR_ST_SU_SY_EESZ_S10_S11_S12_S16_S17_S18_S1B_S1C_jS1D_jS1E_S1E_jjS1G_bEUljE0_EEESZ_S10_S11_S18_S1C_S1E_T6_T7_T9_mT8_S1G_bDpT10_ENKUlT_T0_E_clISt17integral_constantIbLb0EES1U_EEDaS1P_S1Q_EUlS1P_E_NS1_11comp_targetILNS1_3genE4ELNS1_11target_archE910ELNS1_3gpuE8ELNS1_3repE0EEENS1_30default_config_static_selectorELNS0_4arch9wavefront6targetE0EEEvS12_.num_vgpr, 0
	.set _ZN7rocprim17ROCPRIM_400000_NS6detail17trampoline_kernelINS0_13select_configILj256ELj13ELNS0_17block_load_methodE3ELS4_3ELS4_3ELNS0_20block_scan_algorithmE0ELj4294967295EEENS1_25partition_config_selectorILNS1_17partition_subalgoE4EjNS0_10empty_typeEbEEZZNS1_14partition_implILS8_4ELb0ES6_15HIP_vector_typeIjLj2EENS0_17counting_iteratorIjlEEPS9_SG_NS0_5tupleIJPjSI_NS0_16reverse_iteratorISI_EEEEENSH_IJSG_SG_SG_EEES9_SI_JZNS1_25segmented_radix_sort_implINS0_14default_configELb1EPKdPdPKlPlN2at6native12_GLOBAL__N_18offset_tEEE10hipError_tPvRmT1_PNSt15iterator_traitsIS12_E10value_typeET2_T3_PNS13_IS18_E10value_typeET4_jRbjT5_S1E_jjP12ihipStream_tbEUljE_ZNSN_ISO_Lb1ESQ_SR_ST_SU_SY_EESZ_S10_S11_S12_S16_S17_S18_S1B_S1C_jS1D_jS1E_S1E_jjS1G_bEUljE0_EEESZ_S10_S11_S18_S1C_S1E_T6_T7_T9_mT8_S1G_bDpT10_ENKUlT_T0_E_clISt17integral_constantIbLb0EES1U_EEDaS1P_S1Q_EUlS1P_E_NS1_11comp_targetILNS1_3genE4ELNS1_11target_archE910ELNS1_3gpuE8ELNS1_3repE0EEENS1_30default_config_static_selectorELNS0_4arch9wavefront6targetE0EEEvS12_.num_agpr, 0
	.set _ZN7rocprim17ROCPRIM_400000_NS6detail17trampoline_kernelINS0_13select_configILj256ELj13ELNS0_17block_load_methodE3ELS4_3ELS4_3ELNS0_20block_scan_algorithmE0ELj4294967295EEENS1_25partition_config_selectorILNS1_17partition_subalgoE4EjNS0_10empty_typeEbEEZZNS1_14partition_implILS8_4ELb0ES6_15HIP_vector_typeIjLj2EENS0_17counting_iteratorIjlEEPS9_SG_NS0_5tupleIJPjSI_NS0_16reverse_iteratorISI_EEEEENSH_IJSG_SG_SG_EEES9_SI_JZNS1_25segmented_radix_sort_implINS0_14default_configELb1EPKdPdPKlPlN2at6native12_GLOBAL__N_18offset_tEEE10hipError_tPvRmT1_PNSt15iterator_traitsIS12_E10value_typeET2_T3_PNS13_IS18_E10value_typeET4_jRbjT5_S1E_jjP12ihipStream_tbEUljE_ZNSN_ISO_Lb1ESQ_SR_ST_SU_SY_EESZ_S10_S11_S12_S16_S17_S18_S1B_S1C_jS1D_jS1E_S1E_jjS1G_bEUljE0_EEESZ_S10_S11_S18_S1C_S1E_T6_T7_T9_mT8_S1G_bDpT10_ENKUlT_T0_E_clISt17integral_constantIbLb0EES1U_EEDaS1P_S1Q_EUlS1P_E_NS1_11comp_targetILNS1_3genE4ELNS1_11target_archE910ELNS1_3gpuE8ELNS1_3repE0EEENS1_30default_config_static_selectorELNS0_4arch9wavefront6targetE0EEEvS12_.numbered_sgpr, 0
	.set _ZN7rocprim17ROCPRIM_400000_NS6detail17trampoline_kernelINS0_13select_configILj256ELj13ELNS0_17block_load_methodE3ELS4_3ELS4_3ELNS0_20block_scan_algorithmE0ELj4294967295EEENS1_25partition_config_selectorILNS1_17partition_subalgoE4EjNS0_10empty_typeEbEEZZNS1_14partition_implILS8_4ELb0ES6_15HIP_vector_typeIjLj2EENS0_17counting_iteratorIjlEEPS9_SG_NS0_5tupleIJPjSI_NS0_16reverse_iteratorISI_EEEEENSH_IJSG_SG_SG_EEES9_SI_JZNS1_25segmented_radix_sort_implINS0_14default_configELb1EPKdPdPKlPlN2at6native12_GLOBAL__N_18offset_tEEE10hipError_tPvRmT1_PNSt15iterator_traitsIS12_E10value_typeET2_T3_PNS13_IS18_E10value_typeET4_jRbjT5_S1E_jjP12ihipStream_tbEUljE_ZNSN_ISO_Lb1ESQ_SR_ST_SU_SY_EESZ_S10_S11_S12_S16_S17_S18_S1B_S1C_jS1D_jS1E_S1E_jjS1G_bEUljE0_EEESZ_S10_S11_S18_S1C_S1E_T6_T7_T9_mT8_S1G_bDpT10_ENKUlT_T0_E_clISt17integral_constantIbLb0EES1U_EEDaS1P_S1Q_EUlS1P_E_NS1_11comp_targetILNS1_3genE4ELNS1_11target_archE910ELNS1_3gpuE8ELNS1_3repE0EEENS1_30default_config_static_selectorELNS0_4arch9wavefront6targetE0EEEvS12_.num_named_barrier, 0
	.set _ZN7rocprim17ROCPRIM_400000_NS6detail17trampoline_kernelINS0_13select_configILj256ELj13ELNS0_17block_load_methodE3ELS4_3ELS4_3ELNS0_20block_scan_algorithmE0ELj4294967295EEENS1_25partition_config_selectorILNS1_17partition_subalgoE4EjNS0_10empty_typeEbEEZZNS1_14partition_implILS8_4ELb0ES6_15HIP_vector_typeIjLj2EENS0_17counting_iteratorIjlEEPS9_SG_NS0_5tupleIJPjSI_NS0_16reverse_iteratorISI_EEEEENSH_IJSG_SG_SG_EEES9_SI_JZNS1_25segmented_radix_sort_implINS0_14default_configELb1EPKdPdPKlPlN2at6native12_GLOBAL__N_18offset_tEEE10hipError_tPvRmT1_PNSt15iterator_traitsIS12_E10value_typeET2_T3_PNS13_IS18_E10value_typeET4_jRbjT5_S1E_jjP12ihipStream_tbEUljE_ZNSN_ISO_Lb1ESQ_SR_ST_SU_SY_EESZ_S10_S11_S12_S16_S17_S18_S1B_S1C_jS1D_jS1E_S1E_jjS1G_bEUljE0_EEESZ_S10_S11_S18_S1C_S1E_T6_T7_T9_mT8_S1G_bDpT10_ENKUlT_T0_E_clISt17integral_constantIbLb0EES1U_EEDaS1P_S1Q_EUlS1P_E_NS1_11comp_targetILNS1_3genE4ELNS1_11target_archE910ELNS1_3gpuE8ELNS1_3repE0EEENS1_30default_config_static_selectorELNS0_4arch9wavefront6targetE0EEEvS12_.private_seg_size, 0
	.set _ZN7rocprim17ROCPRIM_400000_NS6detail17trampoline_kernelINS0_13select_configILj256ELj13ELNS0_17block_load_methodE3ELS4_3ELS4_3ELNS0_20block_scan_algorithmE0ELj4294967295EEENS1_25partition_config_selectorILNS1_17partition_subalgoE4EjNS0_10empty_typeEbEEZZNS1_14partition_implILS8_4ELb0ES6_15HIP_vector_typeIjLj2EENS0_17counting_iteratorIjlEEPS9_SG_NS0_5tupleIJPjSI_NS0_16reverse_iteratorISI_EEEEENSH_IJSG_SG_SG_EEES9_SI_JZNS1_25segmented_radix_sort_implINS0_14default_configELb1EPKdPdPKlPlN2at6native12_GLOBAL__N_18offset_tEEE10hipError_tPvRmT1_PNSt15iterator_traitsIS12_E10value_typeET2_T3_PNS13_IS18_E10value_typeET4_jRbjT5_S1E_jjP12ihipStream_tbEUljE_ZNSN_ISO_Lb1ESQ_SR_ST_SU_SY_EESZ_S10_S11_S12_S16_S17_S18_S1B_S1C_jS1D_jS1E_S1E_jjS1G_bEUljE0_EEESZ_S10_S11_S18_S1C_S1E_T6_T7_T9_mT8_S1G_bDpT10_ENKUlT_T0_E_clISt17integral_constantIbLb0EES1U_EEDaS1P_S1Q_EUlS1P_E_NS1_11comp_targetILNS1_3genE4ELNS1_11target_archE910ELNS1_3gpuE8ELNS1_3repE0EEENS1_30default_config_static_selectorELNS0_4arch9wavefront6targetE0EEEvS12_.uses_vcc, 0
	.set _ZN7rocprim17ROCPRIM_400000_NS6detail17trampoline_kernelINS0_13select_configILj256ELj13ELNS0_17block_load_methodE3ELS4_3ELS4_3ELNS0_20block_scan_algorithmE0ELj4294967295EEENS1_25partition_config_selectorILNS1_17partition_subalgoE4EjNS0_10empty_typeEbEEZZNS1_14partition_implILS8_4ELb0ES6_15HIP_vector_typeIjLj2EENS0_17counting_iteratorIjlEEPS9_SG_NS0_5tupleIJPjSI_NS0_16reverse_iteratorISI_EEEEENSH_IJSG_SG_SG_EEES9_SI_JZNS1_25segmented_radix_sort_implINS0_14default_configELb1EPKdPdPKlPlN2at6native12_GLOBAL__N_18offset_tEEE10hipError_tPvRmT1_PNSt15iterator_traitsIS12_E10value_typeET2_T3_PNS13_IS18_E10value_typeET4_jRbjT5_S1E_jjP12ihipStream_tbEUljE_ZNSN_ISO_Lb1ESQ_SR_ST_SU_SY_EESZ_S10_S11_S12_S16_S17_S18_S1B_S1C_jS1D_jS1E_S1E_jjS1G_bEUljE0_EEESZ_S10_S11_S18_S1C_S1E_T6_T7_T9_mT8_S1G_bDpT10_ENKUlT_T0_E_clISt17integral_constantIbLb0EES1U_EEDaS1P_S1Q_EUlS1P_E_NS1_11comp_targetILNS1_3genE4ELNS1_11target_archE910ELNS1_3gpuE8ELNS1_3repE0EEENS1_30default_config_static_selectorELNS0_4arch9wavefront6targetE0EEEvS12_.uses_flat_scratch, 0
	.set _ZN7rocprim17ROCPRIM_400000_NS6detail17trampoline_kernelINS0_13select_configILj256ELj13ELNS0_17block_load_methodE3ELS4_3ELS4_3ELNS0_20block_scan_algorithmE0ELj4294967295EEENS1_25partition_config_selectorILNS1_17partition_subalgoE4EjNS0_10empty_typeEbEEZZNS1_14partition_implILS8_4ELb0ES6_15HIP_vector_typeIjLj2EENS0_17counting_iteratorIjlEEPS9_SG_NS0_5tupleIJPjSI_NS0_16reverse_iteratorISI_EEEEENSH_IJSG_SG_SG_EEES9_SI_JZNS1_25segmented_radix_sort_implINS0_14default_configELb1EPKdPdPKlPlN2at6native12_GLOBAL__N_18offset_tEEE10hipError_tPvRmT1_PNSt15iterator_traitsIS12_E10value_typeET2_T3_PNS13_IS18_E10value_typeET4_jRbjT5_S1E_jjP12ihipStream_tbEUljE_ZNSN_ISO_Lb1ESQ_SR_ST_SU_SY_EESZ_S10_S11_S12_S16_S17_S18_S1B_S1C_jS1D_jS1E_S1E_jjS1G_bEUljE0_EEESZ_S10_S11_S18_S1C_S1E_T6_T7_T9_mT8_S1G_bDpT10_ENKUlT_T0_E_clISt17integral_constantIbLb0EES1U_EEDaS1P_S1Q_EUlS1P_E_NS1_11comp_targetILNS1_3genE4ELNS1_11target_archE910ELNS1_3gpuE8ELNS1_3repE0EEENS1_30default_config_static_selectorELNS0_4arch9wavefront6targetE0EEEvS12_.has_dyn_sized_stack, 0
	.set _ZN7rocprim17ROCPRIM_400000_NS6detail17trampoline_kernelINS0_13select_configILj256ELj13ELNS0_17block_load_methodE3ELS4_3ELS4_3ELNS0_20block_scan_algorithmE0ELj4294967295EEENS1_25partition_config_selectorILNS1_17partition_subalgoE4EjNS0_10empty_typeEbEEZZNS1_14partition_implILS8_4ELb0ES6_15HIP_vector_typeIjLj2EENS0_17counting_iteratorIjlEEPS9_SG_NS0_5tupleIJPjSI_NS0_16reverse_iteratorISI_EEEEENSH_IJSG_SG_SG_EEES9_SI_JZNS1_25segmented_radix_sort_implINS0_14default_configELb1EPKdPdPKlPlN2at6native12_GLOBAL__N_18offset_tEEE10hipError_tPvRmT1_PNSt15iterator_traitsIS12_E10value_typeET2_T3_PNS13_IS18_E10value_typeET4_jRbjT5_S1E_jjP12ihipStream_tbEUljE_ZNSN_ISO_Lb1ESQ_SR_ST_SU_SY_EESZ_S10_S11_S12_S16_S17_S18_S1B_S1C_jS1D_jS1E_S1E_jjS1G_bEUljE0_EEESZ_S10_S11_S18_S1C_S1E_T6_T7_T9_mT8_S1G_bDpT10_ENKUlT_T0_E_clISt17integral_constantIbLb0EES1U_EEDaS1P_S1Q_EUlS1P_E_NS1_11comp_targetILNS1_3genE4ELNS1_11target_archE910ELNS1_3gpuE8ELNS1_3repE0EEENS1_30default_config_static_selectorELNS0_4arch9wavefront6targetE0EEEvS12_.has_recursion, 0
	.set _ZN7rocprim17ROCPRIM_400000_NS6detail17trampoline_kernelINS0_13select_configILj256ELj13ELNS0_17block_load_methodE3ELS4_3ELS4_3ELNS0_20block_scan_algorithmE0ELj4294967295EEENS1_25partition_config_selectorILNS1_17partition_subalgoE4EjNS0_10empty_typeEbEEZZNS1_14partition_implILS8_4ELb0ES6_15HIP_vector_typeIjLj2EENS0_17counting_iteratorIjlEEPS9_SG_NS0_5tupleIJPjSI_NS0_16reverse_iteratorISI_EEEEENSH_IJSG_SG_SG_EEES9_SI_JZNS1_25segmented_radix_sort_implINS0_14default_configELb1EPKdPdPKlPlN2at6native12_GLOBAL__N_18offset_tEEE10hipError_tPvRmT1_PNSt15iterator_traitsIS12_E10value_typeET2_T3_PNS13_IS18_E10value_typeET4_jRbjT5_S1E_jjP12ihipStream_tbEUljE_ZNSN_ISO_Lb1ESQ_SR_ST_SU_SY_EESZ_S10_S11_S12_S16_S17_S18_S1B_S1C_jS1D_jS1E_S1E_jjS1G_bEUljE0_EEESZ_S10_S11_S18_S1C_S1E_T6_T7_T9_mT8_S1G_bDpT10_ENKUlT_T0_E_clISt17integral_constantIbLb0EES1U_EEDaS1P_S1Q_EUlS1P_E_NS1_11comp_targetILNS1_3genE4ELNS1_11target_archE910ELNS1_3gpuE8ELNS1_3repE0EEENS1_30default_config_static_selectorELNS0_4arch9wavefront6targetE0EEEvS12_.has_indirect_call, 0
	.section	.AMDGPU.csdata,"",@progbits
; Kernel info:
; codeLenInByte = 0
; TotalNumSgprs: 0
; NumVgprs: 0
; ScratchSize: 0
; MemoryBound: 0
; FloatMode: 240
; IeeeMode: 1
; LDSByteSize: 0 bytes/workgroup (compile time only)
; SGPRBlocks: 0
; VGPRBlocks: 0
; NumSGPRsForWavesPerEU: 1
; NumVGPRsForWavesPerEU: 1
; Occupancy: 16
; WaveLimiterHint : 0
; COMPUTE_PGM_RSRC2:SCRATCH_EN: 0
; COMPUTE_PGM_RSRC2:USER_SGPR: 6
; COMPUTE_PGM_RSRC2:TRAP_HANDLER: 0
; COMPUTE_PGM_RSRC2:TGID_X_EN: 1
; COMPUTE_PGM_RSRC2:TGID_Y_EN: 0
; COMPUTE_PGM_RSRC2:TGID_Z_EN: 0
; COMPUTE_PGM_RSRC2:TIDIG_COMP_CNT: 0
	.section	.text._ZN7rocprim17ROCPRIM_400000_NS6detail17trampoline_kernelINS0_13select_configILj256ELj13ELNS0_17block_load_methodE3ELS4_3ELS4_3ELNS0_20block_scan_algorithmE0ELj4294967295EEENS1_25partition_config_selectorILNS1_17partition_subalgoE4EjNS0_10empty_typeEbEEZZNS1_14partition_implILS8_4ELb0ES6_15HIP_vector_typeIjLj2EENS0_17counting_iteratorIjlEEPS9_SG_NS0_5tupleIJPjSI_NS0_16reverse_iteratorISI_EEEEENSH_IJSG_SG_SG_EEES9_SI_JZNS1_25segmented_radix_sort_implINS0_14default_configELb1EPKdPdPKlPlN2at6native12_GLOBAL__N_18offset_tEEE10hipError_tPvRmT1_PNSt15iterator_traitsIS12_E10value_typeET2_T3_PNS13_IS18_E10value_typeET4_jRbjT5_S1E_jjP12ihipStream_tbEUljE_ZNSN_ISO_Lb1ESQ_SR_ST_SU_SY_EESZ_S10_S11_S12_S16_S17_S18_S1B_S1C_jS1D_jS1E_S1E_jjS1G_bEUljE0_EEESZ_S10_S11_S18_S1C_S1E_T6_T7_T9_mT8_S1G_bDpT10_ENKUlT_T0_E_clISt17integral_constantIbLb0EES1U_EEDaS1P_S1Q_EUlS1P_E_NS1_11comp_targetILNS1_3genE3ELNS1_11target_archE908ELNS1_3gpuE7ELNS1_3repE0EEENS1_30default_config_static_selectorELNS0_4arch9wavefront6targetE0EEEvS12_,"axG",@progbits,_ZN7rocprim17ROCPRIM_400000_NS6detail17trampoline_kernelINS0_13select_configILj256ELj13ELNS0_17block_load_methodE3ELS4_3ELS4_3ELNS0_20block_scan_algorithmE0ELj4294967295EEENS1_25partition_config_selectorILNS1_17partition_subalgoE4EjNS0_10empty_typeEbEEZZNS1_14partition_implILS8_4ELb0ES6_15HIP_vector_typeIjLj2EENS0_17counting_iteratorIjlEEPS9_SG_NS0_5tupleIJPjSI_NS0_16reverse_iteratorISI_EEEEENSH_IJSG_SG_SG_EEES9_SI_JZNS1_25segmented_radix_sort_implINS0_14default_configELb1EPKdPdPKlPlN2at6native12_GLOBAL__N_18offset_tEEE10hipError_tPvRmT1_PNSt15iterator_traitsIS12_E10value_typeET2_T3_PNS13_IS18_E10value_typeET4_jRbjT5_S1E_jjP12ihipStream_tbEUljE_ZNSN_ISO_Lb1ESQ_SR_ST_SU_SY_EESZ_S10_S11_S12_S16_S17_S18_S1B_S1C_jS1D_jS1E_S1E_jjS1G_bEUljE0_EEESZ_S10_S11_S18_S1C_S1E_T6_T7_T9_mT8_S1G_bDpT10_ENKUlT_T0_E_clISt17integral_constantIbLb0EES1U_EEDaS1P_S1Q_EUlS1P_E_NS1_11comp_targetILNS1_3genE3ELNS1_11target_archE908ELNS1_3gpuE7ELNS1_3repE0EEENS1_30default_config_static_selectorELNS0_4arch9wavefront6targetE0EEEvS12_,comdat
	.globl	_ZN7rocprim17ROCPRIM_400000_NS6detail17trampoline_kernelINS0_13select_configILj256ELj13ELNS0_17block_load_methodE3ELS4_3ELS4_3ELNS0_20block_scan_algorithmE0ELj4294967295EEENS1_25partition_config_selectorILNS1_17partition_subalgoE4EjNS0_10empty_typeEbEEZZNS1_14partition_implILS8_4ELb0ES6_15HIP_vector_typeIjLj2EENS0_17counting_iteratorIjlEEPS9_SG_NS0_5tupleIJPjSI_NS0_16reverse_iteratorISI_EEEEENSH_IJSG_SG_SG_EEES9_SI_JZNS1_25segmented_radix_sort_implINS0_14default_configELb1EPKdPdPKlPlN2at6native12_GLOBAL__N_18offset_tEEE10hipError_tPvRmT1_PNSt15iterator_traitsIS12_E10value_typeET2_T3_PNS13_IS18_E10value_typeET4_jRbjT5_S1E_jjP12ihipStream_tbEUljE_ZNSN_ISO_Lb1ESQ_SR_ST_SU_SY_EESZ_S10_S11_S12_S16_S17_S18_S1B_S1C_jS1D_jS1E_S1E_jjS1G_bEUljE0_EEESZ_S10_S11_S18_S1C_S1E_T6_T7_T9_mT8_S1G_bDpT10_ENKUlT_T0_E_clISt17integral_constantIbLb0EES1U_EEDaS1P_S1Q_EUlS1P_E_NS1_11comp_targetILNS1_3genE3ELNS1_11target_archE908ELNS1_3gpuE7ELNS1_3repE0EEENS1_30default_config_static_selectorELNS0_4arch9wavefront6targetE0EEEvS12_ ; -- Begin function _ZN7rocprim17ROCPRIM_400000_NS6detail17trampoline_kernelINS0_13select_configILj256ELj13ELNS0_17block_load_methodE3ELS4_3ELS4_3ELNS0_20block_scan_algorithmE0ELj4294967295EEENS1_25partition_config_selectorILNS1_17partition_subalgoE4EjNS0_10empty_typeEbEEZZNS1_14partition_implILS8_4ELb0ES6_15HIP_vector_typeIjLj2EENS0_17counting_iteratorIjlEEPS9_SG_NS0_5tupleIJPjSI_NS0_16reverse_iteratorISI_EEEEENSH_IJSG_SG_SG_EEES9_SI_JZNS1_25segmented_radix_sort_implINS0_14default_configELb1EPKdPdPKlPlN2at6native12_GLOBAL__N_18offset_tEEE10hipError_tPvRmT1_PNSt15iterator_traitsIS12_E10value_typeET2_T3_PNS13_IS18_E10value_typeET4_jRbjT5_S1E_jjP12ihipStream_tbEUljE_ZNSN_ISO_Lb1ESQ_SR_ST_SU_SY_EESZ_S10_S11_S12_S16_S17_S18_S1B_S1C_jS1D_jS1E_S1E_jjS1G_bEUljE0_EEESZ_S10_S11_S18_S1C_S1E_T6_T7_T9_mT8_S1G_bDpT10_ENKUlT_T0_E_clISt17integral_constantIbLb0EES1U_EEDaS1P_S1Q_EUlS1P_E_NS1_11comp_targetILNS1_3genE3ELNS1_11target_archE908ELNS1_3gpuE7ELNS1_3repE0EEENS1_30default_config_static_selectorELNS0_4arch9wavefront6targetE0EEEvS12_
	.p2align	8
	.type	_ZN7rocprim17ROCPRIM_400000_NS6detail17trampoline_kernelINS0_13select_configILj256ELj13ELNS0_17block_load_methodE3ELS4_3ELS4_3ELNS0_20block_scan_algorithmE0ELj4294967295EEENS1_25partition_config_selectorILNS1_17partition_subalgoE4EjNS0_10empty_typeEbEEZZNS1_14partition_implILS8_4ELb0ES6_15HIP_vector_typeIjLj2EENS0_17counting_iteratorIjlEEPS9_SG_NS0_5tupleIJPjSI_NS0_16reverse_iteratorISI_EEEEENSH_IJSG_SG_SG_EEES9_SI_JZNS1_25segmented_radix_sort_implINS0_14default_configELb1EPKdPdPKlPlN2at6native12_GLOBAL__N_18offset_tEEE10hipError_tPvRmT1_PNSt15iterator_traitsIS12_E10value_typeET2_T3_PNS13_IS18_E10value_typeET4_jRbjT5_S1E_jjP12ihipStream_tbEUljE_ZNSN_ISO_Lb1ESQ_SR_ST_SU_SY_EESZ_S10_S11_S12_S16_S17_S18_S1B_S1C_jS1D_jS1E_S1E_jjS1G_bEUljE0_EEESZ_S10_S11_S18_S1C_S1E_T6_T7_T9_mT8_S1G_bDpT10_ENKUlT_T0_E_clISt17integral_constantIbLb0EES1U_EEDaS1P_S1Q_EUlS1P_E_NS1_11comp_targetILNS1_3genE3ELNS1_11target_archE908ELNS1_3gpuE7ELNS1_3repE0EEENS1_30default_config_static_selectorELNS0_4arch9wavefront6targetE0EEEvS12_,@function
_ZN7rocprim17ROCPRIM_400000_NS6detail17trampoline_kernelINS0_13select_configILj256ELj13ELNS0_17block_load_methodE3ELS4_3ELS4_3ELNS0_20block_scan_algorithmE0ELj4294967295EEENS1_25partition_config_selectorILNS1_17partition_subalgoE4EjNS0_10empty_typeEbEEZZNS1_14partition_implILS8_4ELb0ES6_15HIP_vector_typeIjLj2EENS0_17counting_iteratorIjlEEPS9_SG_NS0_5tupleIJPjSI_NS0_16reverse_iteratorISI_EEEEENSH_IJSG_SG_SG_EEES9_SI_JZNS1_25segmented_radix_sort_implINS0_14default_configELb1EPKdPdPKlPlN2at6native12_GLOBAL__N_18offset_tEEE10hipError_tPvRmT1_PNSt15iterator_traitsIS12_E10value_typeET2_T3_PNS13_IS18_E10value_typeET4_jRbjT5_S1E_jjP12ihipStream_tbEUljE_ZNSN_ISO_Lb1ESQ_SR_ST_SU_SY_EESZ_S10_S11_S12_S16_S17_S18_S1B_S1C_jS1D_jS1E_S1E_jjS1G_bEUljE0_EEESZ_S10_S11_S18_S1C_S1E_T6_T7_T9_mT8_S1G_bDpT10_ENKUlT_T0_E_clISt17integral_constantIbLb0EES1U_EEDaS1P_S1Q_EUlS1P_E_NS1_11comp_targetILNS1_3genE3ELNS1_11target_archE908ELNS1_3gpuE7ELNS1_3repE0EEENS1_30default_config_static_selectorELNS0_4arch9wavefront6targetE0EEEvS12_: ; @_ZN7rocprim17ROCPRIM_400000_NS6detail17trampoline_kernelINS0_13select_configILj256ELj13ELNS0_17block_load_methodE3ELS4_3ELS4_3ELNS0_20block_scan_algorithmE0ELj4294967295EEENS1_25partition_config_selectorILNS1_17partition_subalgoE4EjNS0_10empty_typeEbEEZZNS1_14partition_implILS8_4ELb0ES6_15HIP_vector_typeIjLj2EENS0_17counting_iteratorIjlEEPS9_SG_NS0_5tupleIJPjSI_NS0_16reverse_iteratorISI_EEEEENSH_IJSG_SG_SG_EEES9_SI_JZNS1_25segmented_radix_sort_implINS0_14default_configELb1EPKdPdPKlPlN2at6native12_GLOBAL__N_18offset_tEEE10hipError_tPvRmT1_PNSt15iterator_traitsIS12_E10value_typeET2_T3_PNS13_IS18_E10value_typeET4_jRbjT5_S1E_jjP12ihipStream_tbEUljE_ZNSN_ISO_Lb1ESQ_SR_ST_SU_SY_EESZ_S10_S11_S12_S16_S17_S18_S1B_S1C_jS1D_jS1E_S1E_jjS1G_bEUljE0_EEESZ_S10_S11_S18_S1C_S1E_T6_T7_T9_mT8_S1G_bDpT10_ENKUlT_T0_E_clISt17integral_constantIbLb0EES1U_EEDaS1P_S1Q_EUlS1P_E_NS1_11comp_targetILNS1_3genE3ELNS1_11target_archE908ELNS1_3gpuE7ELNS1_3repE0EEENS1_30default_config_static_selectorELNS0_4arch9wavefront6targetE0EEEvS12_
; %bb.0:
	.section	.rodata,"a",@progbits
	.p2align	6, 0x0
	.amdhsa_kernel _ZN7rocprim17ROCPRIM_400000_NS6detail17trampoline_kernelINS0_13select_configILj256ELj13ELNS0_17block_load_methodE3ELS4_3ELS4_3ELNS0_20block_scan_algorithmE0ELj4294967295EEENS1_25partition_config_selectorILNS1_17partition_subalgoE4EjNS0_10empty_typeEbEEZZNS1_14partition_implILS8_4ELb0ES6_15HIP_vector_typeIjLj2EENS0_17counting_iteratorIjlEEPS9_SG_NS0_5tupleIJPjSI_NS0_16reverse_iteratorISI_EEEEENSH_IJSG_SG_SG_EEES9_SI_JZNS1_25segmented_radix_sort_implINS0_14default_configELb1EPKdPdPKlPlN2at6native12_GLOBAL__N_18offset_tEEE10hipError_tPvRmT1_PNSt15iterator_traitsIS12_E10value_typeET2_T3_PNS13_IS18_E10value_typeET4_jRbjT5_S1E_jjP12ihipStream_tbEUljE_ZNSN_ISO_Lb1ESQ_SR_ST_SU_SY_EESZ_S10_S11_S12_S16_S17_S18_S1B_S1C_jS1D_jS1E_S1E_jjS1G_bEUljE0_EEESZ_S10_S11_S18_S1C_S1E_T6_T7_T9_mT8_S1G_bDpT10_ENKUlT_T0_E_clISt17integral_constantIbLb0EES1U_EEDaS1P_S1Q_EUlS1P_E_NS1_11comp_targetILNS1_3genE3ELNS1_11target_archE908ELNS1_3gpuE7ELNS1_3repE0EEENS1_30default_config_static_selectorELNS0_4arch9wavefront6targetE0EEEvS12_
		.amdhsa_group_segment_fixed_size 0
		.amdhsa_private_segment_fixed_size 0
		.amdhsa_kernarg_size 176
		.amdhsa_user_sgpr_count 6
		.amdhsa_user_sgpr_private_segment_buffer 1
		.amdhsa_user_sgpr_dispatch_ptr 0
		.amdhsa_user_sgpr_queue_ptr 0
		.amdhsa_user_sgpr_kernarg_segment_ptr 1
		.amdhsa_user_sgpr_dispatch_id 0
		.amdhsa_user_sgpr_flat_scratch_init 0
		.amdhsa_user_sgpr_private_segment_size 0
		.amdhsa_wavefront_size32 1
		.amdhsa_uses_dynamic_stack 0
		.amdhsa_system_sgpr_private_segment_wavefront_offset 0
		.amdhsa_system_sgpr_workgroup_id_x 1
		.amdhsa_system_sgpr_workgroup_id_y 0
		.amdhsa_system_sgpr_workgroup_id_z 0
		.amdhsa_system_sgpr_workgroup_info 0
		.amdhsa_system_vgpr_workitem_id 0
		.amdhsa_next_free_vgpr 1
		.amdhsa_next_free_sgpr 1
		.amdhsa_reserve_vcc 0
		.amdhsa_reserve_flat_scratch 0
		.amdhsa_float_round_mode_32 0
		.amdhsa_float_round_mode_16_64 0
		.amdhsa_float_denorm_mode_32 3
		.amdhsa_float_denorm_mode_16_64 3
		.amdhsa_dx10_clamp 1
		.amdhsa_ieee_mode 1
		.amdhsa_fp16_overflow 0
		.amdhsa_workgroup_processor_mode 1
		.amdhsa_memory_ordered 1
		.amdhsa_forward_progress 1
		.amdhsa_shared_vgpr_count 0
		.amdhsa_exception_fp_ieee_invalid_op 0
		.amdhsa_exception_fp_denorm_src 0
		.amdhsa_exception_fp_ieee_div_zero 0
		.amdhsa_exception_fp_ieee_overflow 0
		.amdhsa_exception_fp_ieee_underflow 0
		.amdhsa_exception_fp_ieee_inexact 0
		.amdhsa_exception_int_div_zero 0
	.end_amdhsa_kernel
	.section	.text._ZN7rocprim17ROCPRIM_400000_NS6detail17trampoline_kernelINS0_13select_configILj256ELj13ELNS0_17block_load_methodE3ELS4_3ELS4_3ELNS0_20block_scan_algorithmE0ELj4294967295EEENS1_25partition_config_selectorILNS1_17partition_subalgoE4EjNS0_10empty_typeEbEEZZNS1_14partition_implILS8_4ELb0ES6_15HIP_vector_typeIjLj2EENS0_17counting_iteratorIjlEEPS9_SG_NS0_5tupleIJPjSI_NS0_16reverse_iteratorISI_EEEEENSH_IJSG_SG_SG_EEES9_SI_JZNS1_25segmented_radix_sort_implINS0_14default_configELb1EPKdPdPKlPlN2at6native12_GLOBAL__N_18offset_tEEE10hipError_tPvRmT1_PNSt15iterator_traitsIS12_E10value_typeET2_T3_PNS13_IS18_E10value_typeET4_jRbjT5_S1E_jjP12ihipStream_tbEUljE_ZNSN_ISO_Lb1ESQ_SR_ST_SU_SY_EESZ_S10_S11_S12_S16_S17_S18_S1B_S1C_jS1D_jS1E_S1E_jjS1G_bEUljE0_EEESZ_S10_S11_S18_S1C_S1E_T6_T7_T9_mT8_S1G_bDpT10_ENKUlT_T0_E_clISt17integral_constantIbLb0EES1U_EEDaS1P_S1Q_EUlS1P_E_NS1_11comp_targetILNS1_3genE3ELNS1_11target_archE908ELNS1_3gpuE7ELNS1_3repE0EEENS1_30default_config_static_selectorELNS0_4arch9wavefront6targetE0EEEvS12_,"axG",@progbits,_ZN7rocprim17ROCPRIM_400000_NS6detail17trampoline_kernelINS0_13select_configILj256ELj13ELNS0_17block_load_methodE3ELS4_3ELS4_3ELNS0_20block_scan_algorithmE0ELj4294967295EEENS1_25partition_config_selectorILNS1_17partition_subalgoE4EjNS0_10empty_typeEbEEZZNS1_14partition_implILS8_4ELb0ES6_15HIP_vector_typeIjLj2EENS0_17counting_iteratorIjlEEPS9_SG_NS0_5tupleIJPjSI_NS0_16reverse_iteratorISI_EEEEENSH_IJSG_SG_SG_EEES9_SI_JZNS1_25segmented_radix_sort_implINS0_14default_configELb1EPKdPdPKlPlN2at6native12_GLOBAL__N_18offset_tEEE10hipError_tPvRmT1_PNSt15iterator_traitsIS12_E10value_typeET2_T3_PNS13_IS18_E10value_typeET4_jRbjT5_S1E_jjP12ihipStream_tbEUljE_ZNSN_ISO_Lb1ESQ_SR_ST_SU_SY_EESZ_S10_S11_S12_S16_S17_S18_S1B_S1C_jS1D_jS1E_S1E_jjS1G_bEUljE0_EEESZ_S10_S11_S18_S1C_S1E_T6_T7_T9_mT8_S1G_bDpT10_ENKUlT_T0_E_clISt17integral_constantIbLb0EES1U_EEDaS1P_S1Q_EUlS1P_E_NS1_11comp_targetILNS1_3genE3ELNS1_11target_archE908ELNS1_3gpuE7ELNS1_3repE0EEENS1_30default_config_static_selectorELNS0_4arch9wavefront6targetE0EEEvS12_,comdat
.Lfunc_end1049:
	.size	_ZN7rocprim17ROCPRIM_400000_NS6detail17trampoline_kernelINS0_13select_configILj256ELj13ELNS0_17block_load_methodE3ELS4_3ELS4_3ELNS0_20block_scan_algorithmE0ELj4294967295EEENS1_25partition_config_selectorILNS1_17partition_subalgoE4EjNS0_10empty_typeEbEEZZNS1_14partition_implILS8_4ELb0ES6_15HIP_vector_typeIjLj2EENS0_17counting_iteratorIjlEEPS9_SG_NS0_5tupleIJPjSI_NS0_16reverse_iteratorISI_EEEEENSH_IJSG_SG_SG_EEES9_SI_JZNS1_25segmented_radix_sort_implINS0_14default_configELb1EPKdPdPKlPlN2at6native12_GLOBAL__N_18offset_tEEE10hipError_tPvRmT1_PNSt15iterator_traitsIS12_E10value_typeET2_T3_PNS13_IS18_E10value_typeET4_jRbjT5_S1E_jjP12ihipStream_tbEUljE_ZNSN_ISO_Lb1ESQ_SR_ST_SU_SY_EESZ_S10_S11_S12_S16_S17_S18_S1B_S1C_jS1D_jS1E_S1E_jjS1G_bEUljE0_EEESZ_S10_S11_S18_S1C_S1E_T6_T7_T9_mT8_S1G_bDpT10_ENKUlT_T0_E_clISt17integral_constantIbLb0EES1U_EEDaS1P_S1Q_EUlS1P_E_NS1_11comp_targetILNS1_3genE3ELNS1_11target_archE908ELNS1_3gpuE7ELNS1_3repE0EEENS1_30default_config_static_selectorELNS0_4arch9wavefront6targetE0EEEvS12_, .Lfunc_end1049-_ZN7rocprim17ROCPRIM_400000_NS6detail17trampoline_kernelINS0_13select_configILj256ELj13ELNS0_17block_load_methodE3ELS4_3ELS4_3ELNS0_20block_scan_algorithmE0ELj4294967295EEENS1_25partition_config_selectorILNS1_17partition_subalgoE4EjNS0_10empty_typeEbEEZZNS1_14partition_implILS8_4ELb0ES6_15HIP_vector_typeIjLj2EENS0_17counting_iteratorIjlEEPS9_SG_NS0_5tupleIJPjSI_NS0_16reverse_iteratorISI_EEEEENSH_IJSG_SG_SG_EEES9_SI_JZNS1_25segmented_radix_sort_implINS0_14default_configELb1EPKdPdPKlPlN2at6native12_GLOBAL__N_18offset_tEEE10hipError_tPvRmT1_PNSt15iterator_traitsIS12_E10value_typeET2_T3_PNS13_IS18_E10value_typeET4_jRbjT5_S1E_jjP12ihipStream_tbEUljE_ZNSN_ISO_Lb1ESQ_SR_ST_SU_SY_EESZ_S10_S11_S12_S16_S17_S18_S1B_S1C_jS1D_jS1E_S1E_jjS1G_bEUljE0_EEESZ_S10_S11_S18_S1C_S1E_T6_T7_T9_mT8_S1G_bDpT10_ENKUlT_T0_E_clISt17integral_constantIbLb0EES1U_EEDaS1P_S1Q_EUlS1P_E_NS1_11comp_targetILNS1_3genE3ELNS1_11target_archE908ELNS1_3gpuE7ELNS1_3repE0EEENS1_30default_config_static_selectorELNS0_4arch9wavefront6targetE0EEEvS12_
                                        ; -- End function
	.set _ZN7rocprim17ROCPRIM_400000_NS6detail17trampoline_kernelINS0_13select_configILj256ELj13ELNS0_17block_load_methodE3ELS4_3ELS4_3ELNS0_20block_scan_algorithmE0ELj4294967295EEENS1_25partition_config_selectorILNS1_17partition_subalgoE4EjNS0_10empty_typeEbEEZZNS1_14partition_implILS8_4ELb0ES6_15HIP_vector_typeIjLj2EENS0_17counting_iteratorIjlEEPS9_SG_NS0_5tupleIJPjSI_NS0_16reverse_iteratorISI_EEEEENSH_IJSG_SG_SG_EEES9_SI_JZNS1_25segmented_radix_sort_implINS0_14default_configELb1EPKdPdPKlPlN2at6native12_GLOBAL__N_18offset_tEEE10hipError_tPvRmT1_PNSt15iterator_traitsIS12_E10value_typeET2_T3_PNS13_IS18_E10value_typeET4_jRbjT5_S1E_jjP12ihipStream_tbEUljE_ZNSN_ISO_Lb1ESQ_SR_ST_SU_SY_EESZ_S10_S11_S12_S16_S17_S18_S1B_S1C_jS1D_jS1E_S1E_jjS1G_bEUljE0_EEESZ_S10_S11_S18_S1C_S1E_T6_T7_T9_mT8_S1G_bDpT10_ENKUlT_T0_E_clISt17integral_constantIbLb0EES1U_EEDaS1P_S1Q_EUlS1P_E_NS1_11comp_targetILNS1_3genE3ELNS1_11target_archE908ELNS1_3gpuE7ELNS1_3repE0EEENS1_30default_config_static_selectorELNS0_4arch9wavefront6targetE0EEEvS12_.num_vgpr, 0
	.set _ZN7rocprim17ROCPRIM_400000_NS6detail17trampoline_kernelINS0_13select_configILj256ELj13ELNS0_17block_load_methodE3ELS4_3ELS4_3ELNS0_20block_scan_algorithmE0ELj4294967295EEENS1_25partition_config_selectorILNS1_17partition_subalgoE4EjNS0_10empty_typeEbEEZZNS1_14partition_implILS8_4ELb0ES6_15HIP_vector_typeIjLj2EENS0_17counting_iteratorIjlEEPS9_SG_NS0_5tupleIJPjSI_NS0_16reverse_iteratorISI_EEEEENSH_IJSG_SG_SG_EEES9_SI_JZNS1_25segmented_radix_sort_implINS0_14default_configELb1EPKdPdPKlPlN2at6native12_GLOBAL__N_18offset_tEEE10hipError_tPvRmT1_PNSt15iterator_traitsIS12_E10value_typeET2_T3_PNS13_IS18_E10value_typeET4_jRbjT5_S1E_jjP12ihipStream_tbEUljE_ZNSN_ISO_Lb1ESQ_SR_ST_SU_SY_EESZ_S10_S11_S12_S16_S17_S18_S1B_S1C_jS1D_jS1E_S1E_jjS1G_bEUljE0_EEESZ_S10_S11_S18_S1C_S1E_T6_T7_T9_mT8_S1G_bDpT10_ENKUlT_T0_E_clISt17integral_constantIbLb0EES1U_EEDaS1P_S1Q_EUlS1P_E_NS1_11comp_targetILNS1_3genE3ELNS1_11target_archE908ELNS1_3gpuE7ELNS1_3repE0EEENS1_30default_config_static_selectorELNS0_4arch9wavefront6targetE0EEEvS12_.num_agpr, 0
	.set _ZN7rocprim17ROCPRIM_400000_NS6detail17trampoline_kernelINS0_13select_configILj256ELj13ELNS0_17block_load_methodE3ELS4_3ELS4_3ELNS0_20block_scan_algorithmE0ELj4294967295EEENS1_25partition_config_selectorILNS1_17partition_subalgoE4EjNS0_10empty_typeEbEEZZNS1_14partition_implILS8_4ELb0ES6_15HIP_vector_typeIjLj2EENS0_17counting_iteratorIjlEEPS9_SG_NS0_5tupleIJPjSI_NS0_16reverse_iteratorISI_EEEEENSH_IJSG_SG_SG_EEES9_SI_JZNS1_25segmented_radix_sort_implINS0_14default_configELb1EPKdPdPKlPlN2at6native12_GLOBAL__N_18offset_tEEE10hipError_tPvRmT1_PNSt15iterator_traitsIS12_E10value_typeET2_T3_PNS13_IS18_E10value_typeET4_jRbjT5_S1E_jjP12ihipStream_tbEUljE_ZNSN_ISO_Lb1ESQ_SR_ST_SU_SY_EESZ_S10_S11_S12_S16_S17_S18_S1B_S1C_jS1D_jS1E_S1E_jjS1G_bEUljE0_EEESZ_S10_S11_S18_S1C_S1E_T6_T7_T9_mT8_S1G_bDpT10_ENKUlT_T0_E_clISt17integral_constantIbLb0EES1U_EEDaS1P_S1Q_EUlS1P_E_NS1_11comp_targetILNS1_3genE3ELNS1_11target_archE908ELNS1_3gpuE7ELNS1_3repE0EEENS1_30default_config_static_selectorELNS0_4arch9wavefront6targetE0EEEvS12_.numbered_sgpr, 0
	.set _ZN7rocprim17ROCPRIM_400000_NS6detail17trampoline_kernelINS0_13select_configILj256ELj13ELNS0_17block_load_methodE3ELS4_3ELS4_3ELNS0_20block_scan_algorithmE0ELj4294967295EEENS1_25partition_config_selectorILNS1_17partition_subalgoE4EjNS0_10empty_typeEbEEZZNS1_14partition_implILS8_4ELb0ES6_15HIP_vector_typeIjLj2EENS0_17counting_iteratorIjlEEPS9_SG_NS0_5tupleIJPjSI_NS0_16reverse_iteratorISI_EEEEENSH_IJSG_SG_SG_EEES9_SI_JZNS1_25segmented_radix_sort_implINS0_14default_configELb1EPKdPdPKlPlN2at6native12_GLOBAL__N_18offset_tEEE10hipError_tPvRmT1_PNSt15iterator_traitsIS12_E10value_typeET2_T3_PNS13_IS18_E10value_typeET4_jRbjT5_S1E_jjP12ihipStream_tbEUljE_ZNSN_ISO_Lb1ESQ_SR_ST_SU_SY_EESZ_S10_S11_S12_S16_S17_S18_S1B_S1C_jS1D_jS1E_S1E_jjS1G_bEUljE0_EEESZ_S10_S11_S18_S1C_S1E_T6_T7_T9_mT8_S1G_bDpT10_ENKUlT_T0_E_clISt17integral_constantIbLb0EES1U_EEDaS1P_S1Q_EUlS1P_E_NS1_11comp_targetILNS1_3genE3ELNS1_11target_archE908ELNS1_3gpuE7ELNS1_3repE0EEENS1_30default_config_static_selectorELNS0_4arch9wavefront6targetE0EEEvS12_.num_named_barrier, 0
	.set _ZN7rocprim17ROCPRIM_400000_NS6detail17trampoline_kernelINS0_13select_configILj256ELj13ELNS0_17block_load_methodE3ELS4_3ELS4_3ELNS0_20block_scan_algorithmE0ELj4294967295EEENS1_25partition_config_selectorILNS1_17partition_subalgoE4EjNS0_10empty_typeEbEEZZNS1_14partition_implILS8_4ELb0ES6_15HIP_vector_typeIjLj2EENS0_17counting_iteratorIjlEEPS9_SG_NS0_5tupleIJPjSI_NS0_16reverse_iteratorISI_EEEEENSH_IJSG_SG_SG_EEES9_SI_JZNS1_25segmented_radix_sort_implINS0_14default_configELb1EPKdPdPKlPlN2at6native12_GLOBAL__N_18offset_tEEE10hipError_tPvRmT1_PNSt15iterator_traitsIS12_E10value_typeET2_T3_PNS13_IS18_E10value_typeET4_jRbjT5_S1E_jjP12ihipStream_tbEUljE_ZNSN_ISO_Lb1ESQ_SR_ST_SU_SY_EESZ_S10_S11_S12_S16_S17_S18_S1B_S1C_jS1D_jS1E_S1E_jjS1G_bEUljE0_EEESZ_S10_S11_S18_S1C_S1E_T6_T7_T9_mT8_S1G_bDpT10_ENKUlT_T0_E_clISt17integral_constantIbLb0EES1U_EEDaS1P_S1Q_EUlS1P_E_NS1_11comp_targetILNS1_3genE3ELNS1_11target_archE908ELNS1_3gpuE7ELNS1_3repE0EEENS1_30default_config_static_selectorELNS0_4arch9wavefront6targetE0EEEvS12_.private_seg_size, 0
	.set _ZN7rocprim17ROCPRIM_400000_NS6detail17trampoline_kernelINS0_13select_configILj256ELj13ELNS0_17block_load_methodE3ELS4_3ELS4_3ELNS0_20block_scan_algorithmE0ELj4294967295EEENS1_25partition_config_selectorILNS1_17partition_subalgoE4EjNS0_10empty_typeEbEEZZNS1_14partition_implILS8_4ELb0ES6_15HIP_vector_typeIjLj2EENS0_17counting_iteratorIjlEEPS9_SG_NS0_5tupleIJPjSI_NS0_16reverse_iteratorISI_EEEEENSH_IJSG_SG_SG_EEES9_SI_JZNS1_25segmented_radix_sort_implINS0_14default_configELb1EPKdPdPKlPlN2at6native12_GLOBAL__N_18offset_tEEE10hipError_tPvRmT1_PNSt15iterator_traitsIS12_E10value_typeET2_T3_PNS13_IS18_E10value_typeET4_jRbjT5_S1E_jjP12ihipStream_tbEUljE_ZNSN_ISO_Lb1ESQ_SR_ST_SU_SY_EESZ_S10_S11_S12_S16_S17_S18_S1B_S1C_jS1D_jS1E_S1E_jjS1G_bEUljE0_EEESZ_S10_S11_S18_S1C_S1E_T6_T7_T9_mT8_S1G_bDpT10_ENKUlT_T0_E_clISt17integral_constantIbLb0EES1U_EEDaS1P_S1Q_EUlS1P_E_NS1_11comp_targetILNS1_3genE3ELNS1_11target_archE908ELNS1_3gpuE7ELNS1_3repE0EEENS1_30default_config_static_selectorELNS0_4arch9wavefront6targetE0EEEvS12_.uses_vcc, 0
	.set _ZN7rocprim17ROCPRIM_400000_NS6detail17trampoline_kernelINS0_13select_configILj256ELj13ELNS0_17block_load_methodE3ELS4_3ELS4_3ELNS0_20block_scan_algorithmE0ELj4294967295EEENS1_25partition_config_selectorILNS1_17partition_subalgoE4EjNS0_10empty_typeEbEEZZNS1_14partition_implILS8_4ELb0ES6_15HIP_vector_typeIjLj2EENS0_17counting_iteratorIjlEEPS9_SG_NS0_5tupleIJPjSI_NS0_16reverse_iteratorISI_EEEEENSH_IJSG_SG_SG_EEES9_SI_JZNS1_25segmented_radix_sort_implINS0_14default_configELb1EPKdPdPKlPlN2at6native12_GLOBAL__N_18offset_tEEE10hipError_tPvRmT1_PNSt15iterator_traitsIS12_E10value_typeET2_T3_PNS13_IS18_E10value_typeET4_jRbjT5_S1E_jjP12ihipStream_tbEUljE_ZNSN_ISO_Lb1ESQ_SR_ST_SU_SY_EESZ_S10_S11_S12_S16_S17_S18_S1B_S1C_jS1D_jS1E_S1E_jjS1G_bEUljE0_EEESZ_S10_S11_S18_S1C_S1E_T6_T7_T9_mT8_S1G_bDpT10_ENKUlT_T0_E_clISt17integral_constantIbLb0EES1U_EEDaS1P_S1Q_EUlS1P_E_NS1_11comp_targetILNS1_3genE3ELNS1_11target_archE908ELNS1_3gpuE7ELNS1_3repE0EEENS1_30default_config_static_selectorELNS0_4arch9wavefront6targetE0EEEvS12_.uses_flat_scratch, 0
	.set _ZN7rocprim17ROCPRIM_400000_NS6detail17trampoline_kernelINS0_13select_configILj256ELj13ELNS0_17block_load_methodE3ELS4_3ELS4_3ELNS0_20block_scan_algorithmE0ELj4294967295EEENS1_25partition_config_selectorILNS1_17partition_subalgoE4EjNS0_10empty_typeEbEEZZNS1_14partition_implILS8_4ELb0ES6_15HIP_vector_typeIjLj2EENS0_17counting_iteratorIjlEEPS9_SG_NS0_5tupleIJPjSI_NS0_16reverse_iteratorISI_EEEEENSH_IJSG_SG_SG_EEES9_SI_JZNS1_25segmented_radix_sort_implINS0_14default_configELb1EPKdPdPKlPlN2at6native12_GLOBAL__N_18offset_tEEE10hipError_tPvRmT1_PNSt15iterator_traitsIS12_E10value_typeET2_T3_PNS13_IS18_E10value_typeET4_jRbjT5_S1E_jjP12ihipStream_tbEUljE_ZNSN_ISO_Lb1ESQ_SR_ST_SU_SY_EESZ_S10_S11_S12_S16_S17_S18_S1B_S1C_jS1D_jS1E_S1E_jjS1G_bEUljE0_EEESZ_S10_S11_S18_S1C_S1E_T6_T7_T9_mT8_S1G_bDpT10_ENKUlT_T0_E_clISt17integral_constantIbLb0EES1U_EEDaS1P_S1Q_EUlS1P_E_NS1_11comp_targetILNS1_3genE3ELNS1_11target_archE908ELNS1_3gpuE7ELNS1_3repE0EEENS1_30default_config_static_selectorELNS0_4arch9wavefront6targetE0EEEvS12_.has_dyn_sized_stack, 0
	.set _ZN7rocprim17ROCPRIM_400000_NS6detail17trampoline_kernelINS0_13select_configILj256ELj13ELNS0_17block_load_methodE3ELS4_3ELS4_3ELNS0_20block_scan_algorithmE0ELj4294967295EEENS1_25partition_config_selectorILNS1_17partition_subalgoE4EjNS0_10empty_typeEbEEZZNS1_14partition_implILS8_4ELb0ES6_15HIP_vector_typeIjLj2EENS0_17counting_iteratorIjlEEPS9_SG_NS0_5tupleIJPjSI_NS0_16reverse_iteratorISI_EEEEENSH_IJSG_SG_SG_EEES9_SI_JZNS1_25segmented_radix_sort_implINS0_14default_configELb1EPKdPdPKlPlN2at6native12_GLOBAL__N_18offset_tEEE10hipError_tPvRmT1_PNSt15iterator_traitsIS12_E10value_typeET2_T3_PNS13_IS18_E10value_typeET4_jRbjT5_S1E_jjP12ihipStream_tbEUljE_ZNSN_ISO_Lb1ESQ_SR_ST_SU_SY_EESZ_S10_S11_S12_S16_S17_S18_S1B_S1C_jS1D_jS1E_S1E_jjS1G_bEUljE0_EEESZ_S10_S11_S18_S1C_S1E_T6_T7_T9_mT8_S1G_bDpT10_ENKUlT_T0_E_clISt17integral_constantIbLb0EES1U_EEDaS1P_S1Q_EUlS1P_E_NS1_11comp_targetILNS1_3genE3ELNS1_11target_archE908ELNS1_3gpuE7ELNS1_3repE0EEENS1_30default_config_static_selectorELNS0_4arch9wavefront6targetE0EEEvS12_.has_recursion, 0
	.set _ZN7rocprim17ROCPRIM_400000_NS6detail17trampoline_kernelINS0_13select_configILj256ELj13ELNS0_17block_load_methodE3ELS4_3ELS4_3ELNS0_20block_scan_algorithmE0ELj4294967295EEENS1_25partition_config_selectorILNS1_17partition_subalgoE4EjNS0_10empty_typeEbEEZZNS1_14partition_implILS8_4ELb0ES6_15HIP_vector_typeIjLj2EENS0_17counting_iteratorIjlEEPS9_SG_NS0_5tupleIJPjSI_NS0_16reverse_iteratorISI_EEEEENSH_IJSG_SG_SG_EEES9_SI_JZNS1_25segmented_radix_sort_implINS0_14default_configELb1EPKdPdPKlPlN2at6native12_GLOBAL__N_18offset_tEEE10hipError_tPvRmT1_PNSt15iterator_traitsIS12_E10value_typeET2_T3_PNS13_IS18_E10value_typeET4_jRbjT5_S1E_jjP12ihipStream_tbEUljE_ZNSN_ISO_Lb1ESQ_SR_ST_SU_SY_EESZ_S10_S11_S12_S16_S17_S18_S1B_S1C_jS1D_jS1E_S1E_jjS1G_bEUljE0_EEESZ_S10_S11_S18_S1C_S1E_T6_T7_T9_mT8_S1G_bDpT10_ENKUlT_T0_E_clISt17integral_constantIbLb0EES1U_EEDaS1P_S1Q_EUlS1P_E_NS1_11comp_targetILNS1_3genE3ELNS1_11target_archE908ELNS1_3gpuE7ELNS1_3repE0EEENS1_30default_config_static_selectorELNS0_4arch9wavefront6targetE0EEEvS12_.has_indirect_call, 0
	.section	.AMDGPU.csdata,"",@progbits
; Kernel info:
; codeLenInByte = 0
; TotalNumSgprs: 0
; NumVgprs: 0
; ScratchSize: 0
; MemoryBound: 0
; FloatMode: 240
; IeeeMode: 1
; LDSByteSize: 0 bytes/workgroup (compile time only)
; SGPRBlocks: 0
; VGPRBlocks: 0
; NumSGPRsForWavesPerEU: 1
; NumVGPRsForWavesPerEU: 1
; Occupancy: 16
; WaveLimiterHint : 0
; COMPUTE_PGM_RSRC2:SCRATCH_EN: 0
; COMPUTE_PGM_RSRC2:USER_SGPR: 6
; COMPUTE_PGM_RSRC2:TRAP_HANDLER: 0
; COMPUTE_PGM_RSRC2:TGID_X_EN: 1
; COMPUTE_PGM_RSRC2:TGID_Y_EN: 0
; COMPUTE_PGM_RSRC2:TGID_Z_EN: 0
; COMPUTE_PGM_RSRC2:TIDIG_COMP_CNT: 0
	.section	.text._ZN7rocprim17ROCPRIM_400000_NS6detail17trampoline_kernelINS0_13select_configILj256ELj13ELNS0_17block_load_methodE3ELS4_3ELS4_3ELNS0_20block_scan_algorithmE0ELj4294967295EEENS1_25partition_config_selectorILNS1_17partition_subalgoE4EjNS0_10empty_typeEbEEZZNS1_14partition_implILS8_4ELb0ES6_15HIP_vector_typeIjLj2EENS0_17counting_iteratorIjlEEPS9_SG_NS0_5tupleIJPjSI_NS0_16reverse_iteratorISI_EEEEENSH_IJSG_SG_SG_EEES9_SI_JZNS1_25segmented_radix_sort_implINS0_14default_configELb1EPKdPdPKlPlN2at6native12_GLOBAL__N_18offset_tEEE10hipError_tPvRmT1_PNSt15iterator_traitsIS12_E10value_typeET2_T3_PNS13_IS18_E10value_typeET4_jRbjT5_S1E_jjP12ihipStream_tbEUljE_ZNSN_ISO_Lb1ESQ_SR_ST_SU_SY_EESZ_S10_S11_S12_S16_S17_S18_S1B_S1C_jS1D_jS1E_S1E_jjS1G_bEUljE0_EEESZ_S10_S11_S18_S1C_S1E_T6_T7_T9_mT8_S1G_bDpT10_ENKUlT_T0_E_clISt17integral_constantIbLb0EES1U_EEDaS1P_S1Q_EUlS1P_E_NS1_11comp_targetILNS1_3genE2ELNS1_11target_archE906ELNS1_3gpuE6ELNS1_3repE0EEENS1_30default_config_static_selectorELNS0_4arch9wavefront6targetE0EEEvS12_,"axG",@progbits,_ZN7rocprim17ROCPRIM_400000_NS6detail17trampoline_kernelINS0_13select_configILj256ELj13ELNS0_17block_load_methodE3ELS4_3ELS4_3ELNS0_20block_scan_algorithmE0ELj4294967295EEENS1_25partition_config_selectorILNS1_17partition_subalgoE4EjNS0_10empty_typeEbEEZZNS1_14partition_implILS8_4ELb0ES6_15HIP_vector_typeIjLj2EENS0_17counting_iteratorIjlEEPS9_SG_NS0_5tupleIJPjSI_NS0_16reverse_iteratorISI_EEEEENSH_IJSG_SG_SG_EEES9_SI_JZNS1_25segmented_radix_sort_implINS0_14default_configELb1EPKdPdPKlPlN2at6native12_GLOBAL__N_18offset_tEEE10hipError_tPvRmT1_PNSt15iterator_traitsIS12_E10value_typeET2_T3_PNS13_IS18_E10value_typeET4_jRbjT5_S1E_jjP12ihipStream_tbEUljE_ZNSN_ISO_Lb1ESQ_SR_ST_SU_SY_EESZ_S10_S11_S12_S16_S17_S18_S1B_S1C_jS1D_jS1E_S1E_jjS1G_bEUljE0_EEESZ_S10_S11_S18_S1C_S1E_T6_T7_T9_mT8_S1G_bDpT10_ENKUlT_T0_E_clISt17integral_constantIbLb0EES1U_EEDaS1P_S1Q_EUlS1P_E_NS1_11comp_targetILNS1_3genE2ELNS1_11target_archE906ELNS1_3gpuE6ELNS1_3repE0EEENS1_30default_config_static_selectorELNS0_4arch9wavefront6targetE0EEEvS12_,comdat
	.globl	_ZN7rocprim17ROCPRIM_400000_NS6detail17trampoline_kernelINS0_13select_configILj256ELj13ELNS0_17block_load_methodE3ELS4_3ELS4_3ELNS0_20block_scan_algorithmE0ELj4294967295EEENS1_25partition_config_selectorILNS1_17partition_subalgoE4EjNS0_10empty_typeEbEEZZNS1_14partition_implILS8_4ELb0ES6_15HIP_vector_typeIjLj2EENS0_17counting_iteratorIjlEEPS9_SG_NS0_5tupleIJPjSI_NS0_16reverse_iteratorISI_EEEEENSH_IJSG_SG_SG_EEES9_SI_JZNS1_25segmented_radix_sort_implINS0_14default_configELb1EPKdPdPKlPlN2at6native12_GLOBAL__N_18offset_tEEE10hipError_tPvRmT1_PNSt15iterator_traitsIS12_E10value_typeET2_T3_PNS13_IS18_E10value_typeET4_jRbjT5_S1E_jjP12ihipStream_tbEUljE_ZNSN_ISO_Lb1ESQ_SR_ST_SU_SY_EESZ_S10_S11_S12_S16_S17_S18_S1B_S1C_jS1D_jS1E_S1E_jjS1G_bEUljE0_EEESZ_S10_S11_S18_S1C_S1E_T6_T7_T9_mT8_S1G_bDpT10_ENKUlT_T0_E_clISt17integral_constantIbLb0EES1U_EEDaS1P_S1Q_EUlS1P_E_NS1_11comp_targetILNS1_3genE2ELNS1_11target_archE906ELNS1_3gpuE6ELNS1_3repE0EEENS1_30default_config_static_selectorELNS0_4arch9wavefront6targetE0EEEvS12_ ; -- Begin function _ZN7rocprim17ROCPRIM_400000_NS6detail17trampoline_kernelINS0_13select_configILj256ELj13ELNS0_17block_load_methodE3ELS4_3ELS4_3ELNS0_20block_scan_algorithmE0ELj4294967295EEENS1_25partition_config_selectorILNS1_17partition_subalgoE4EjNS0_10empty_typeEbEEZZNS1_14partition_implILS8_4ELb0ES6_15HIP_vector_typeIjLj2EENS0_17counting_iteratorIjlEEPS9_SG_NS0_5tupleIJPjSI_NS0_16reverse_iteratorISI_EEEEENSH_IJSG_SG_SG_EEES9_SI_JZNS1_25segmented_radix_sort_implINS0_14default_configELb1EPKdPdPKlPlN2at6native12_GLOBAL__N_18offset_tEEE10hipError_tPvRmT1_PNSt15iterator_traitsIS12_E10value_typeET2_T3_PNS13_IS18_E10value_typeET4_jRbjT5_S1E_jjP12ihipStream_tbEUljE_ZNSN_ISO_Lb1ESQ_SR_ST_SU_SY_EESZ_S10_S11_S12_S16_S17_S18_S1B_S1C_jS1D_jS1E_S1E_jjS1G_bEUljE0_EEESZ_S10_S11_S18_S1C_S1E_T6_T7_T9_mT8_S1G_bDpT10_ENKUlT_T0_E_clISt17integral_constantIbLb0EES1U_EEDaS1P_S1Q_EUlS1P_E_NS1_11comp_targetILNS1_3genE2ELNS1_11target_archE906ELNS1_3gpuE6ELNS1_3repE0EEENS1_30default_config_static_selectorELNS0_4arch9wavefront6targetE0EEEvS12_
	.p2align	8
	.type	_ZN7rocprim17ROCPRIM_400000_NS6detail17trampoline_kernelINS0_13select_configILj256ELj13ELNS0_17block_load_methodE3ELS4_3ELS4_3ELNS0_20block_scan_algorithmE0ELj4294967295EEENS1_25partition_config_selectorILNS1_17partition_subalgoE4EjNS0_10empty_typeEbEEZZNS1_14partition_implILS8_4ELb0ES6_15HIP_vector_typeIjLj2EENS0_17counting_iteratorIjlEEPS9_SG_NS0_5tupleIJPjSI_NS0_16reverse_iteratorISI_EEEEENSH_IJSG_SG_SG_EEES9_SI_JZNS1_25segmented_radix_sort_implINS0_14default_configELb1EPKdPdPKlPlN2at6native12_GLOBAL__N_18offset_tEEE10hipError_tPvRmT1_PNSt15iterator_traitsIS12_E10value_typeET2_T3_PNS13_IS18_E10value_typeET4_jRbjT5_S1E_jjP12ihipStream_tbEUljE_ZNSN_ISO_Lb1ESQ_SR_ST_SU_SY_EESZ_S10_S11_S12_S16_S17_S18_S1B_S1C_jS1D_jS1E_S1E_jjS1G_bEUljE0_EEESZ_S10_S11_S18_S1C_S1E_T6_T7_T9_mT8_S1G_bDpT10_ENKUlT_T0_E_clISt17integral_constantIbLb0EES1U_EEDaS1P_S1Q_EUlS1P_E_NS1_11comp_targetILNS1_3genE2ELNS1_11target_archE906ELNS1_3gpuE6ELNS1_3repE0EEENS1_30default_config_static_selectorELNS0_4arch9wavefront6targetE0EEEvS12_,@function
_ZN7rocprim17ROCPRIM_400000_NS6detail17trampoline_kernelINS0_13select_configILj256ELj13ELNS0_17block_load_methodE3ELS4_3ELS4_3ELNS0_20block_scan_algorithmE0ELj4294967295EEENS1_25partition_config_selectorILNS1_17partition_subalgoE4EjNS0_10empty_typeEbEEZZNS1_14partition_implILS8_4ELb0ES6_15HIP_vector_typeIjLj2EENS0_17counting_iteratorIjlEEPS9_SG_NS0_5tupleIJPjSI_NS0_16reverse_iteratorISI_EEEEENSH_IJSG_SG_SG_EEES9_SI_JZNS1_25segmented_radix_sort_implINS0_14default_configELb1EPKdPdPKlPlN2at6native12_GLOBAL__N_18offset_tEEE10hipError_tPvRmT1_PNSt15iterator_traitsIS12_E10value_typeET2_T3_PNS13_IS18_E10value_typeET4_jRbjT5_S1E_jjP12ihipStream_tbEUljE_ZNSN_ISO_Lb1ESQ_SR_ST_SU_SY_EESZ_S10_S11_S12_S16_S17_S18_S1B_S1C_jS1D_jS1E_S1E_jjS1G_bEUljE0_EEESZ_S10_S11_S18_S1C_S1E_T6_T7_T9_mT8_S1G_bDpT10_ENKUlT_T0_E_clISt17integral_constantIbLb0EES1U_EEDaS1P_S1Q_EUlS1P_E_NS1_11comp_targetILNS1_3genE2ELNS1_11target_archE906ELNS1_3gpuE6ELNS1_3repE0EEENS1_30default_config_static_selectorELNS0_4arch9wavefront6targetE0EEEvS12_: ; @_ZN7rocprim17ROCPRIM_400000_NS6detail17trampoline_kernelINS0_13select_configILj256ELj13ELNS0_17block_load_methodE3ELS4_3ELS4_3ELNS0_20block_scan_algorithmE0ELj4294967295EEENS1_25partition_config_selectorILNS1_17partition_subalgoE4EjNS0_10empty_typeEbEEZZNS1_14partition_implILS8_4ELb0ES6_15HIP_vector_typeIjLj2EENS0_17counting_iteratorIjlEEPS9_SG_NS0_5tupleIJPjSI_NS0_16reverse_iteratorISI_EEEEENSH_IJSG_SG_SG_EEES9_SI_JZNS1_25segmented_radix_sort_implINS0_14default_configELb1EPKdPdPKlPlN2at6native12_GLOBAL__N_18offset_tEEE10hipError_tPvRmT1_PNSt15iterator_traitsIS12_E10value_typeET2_T3_PNS13_IS18_E10value_typeET4_jRbjT5_S1E_jjP12ihipStream_tbEUljE_ZNSN_ISO_Lb1ESQ_SR_ST_SU_SY_EESZ_S10_S11_S12_S16_S17_S18_S1B_S1C_jS1D_jS1E_S1E_jjS1G_bEUljE0_EEESZ_S10_S11_S18_S1C_S1E_T6_T7_T9_mT8_S1G_bDpT10_ENKUlT_T0_E_clISt17integral_constantIbLb0EES1U_EEDaS1P_S1Q_EUlS1P_E_NS1_11comp_targetILNS1_3genE2ELNS1_11target_archE906ELNS1_3gpuE6ELNS1_3repE0EEENS1_30default_config_static_selectorELNS0_4arch9wavefront6targetE0EEEvS12_
; %bb.0:
	.section	.rodata,"a",@progbits
	.p2align	6, 0x0
	.amdhsa_kernel _ZN7rocprim17ROCPRIM_400000_NS6detail17trampoline_kernelINS0_13select_configILj256ELj13ELNS0_17block_load_methodE3ELS4_3ELS4_3ELNS0_20block_scan_algorithmE0ELj4294967295EEENS1_25partition_config_selectorILNS1_17partition_subalgoE4EjNS0_10empty_typeEbEEZZNS1_14partition_implILS8_4ELb0ES6_15HIP_vector_typeIjLj2EENS0_17counting_iteratorIjlEEPS9_SG_NS0_5tupleIJPjSI_NS0_16reverse_iteratorISI_EEEEENSH_IJSG_SG_SG_EEES9_SI_JZNS1_25segmented_radix_sort_implINS0_14default_configELb1EPKdPdPKlPlN2at6native12_GLOBAL__N_18offset_tEEE10hipError_tPvRmT1_PNSt15iterator_traitsIS12_E10value_typeET2_T3_PNS13_IS18_E10value_typeET4_jRbjT5_S1E_jjP12ihipStream_tbEUljE_ZNSN_ISO_Lb1ESQ_SR_ST_SU_SY_EESZ_S10_S11_S12_S16_S17_S18_S1B_S1C_jS1D_jS1E_S1E_jjS1G_bEUljE0_EEESZ_S10_S11_S18_S1C_S1E_T6_T7_T9_mT8_S1G_bDpT10_ENKUlT_T0_E_clISt17integral_constantIbLb0EES1U_EEDaS1P_S1Q_EUlS1P_E_NS1_11comp_targetILNS1_3genE2ELNS1_11target_archE906ELNS1_3gpuE6ELNS1_3repE0EEENS1_30default_config_static_selectorELNS0_4arch9wavefront6targetE0EEEvS12_
		.amdhsa_group_segment_fixed_size 0
		.amdhsa_private_segment_fixed_size 0
		.amdhsa_kernarg_size 176
		.amdhsa_user_sgpr_count 6
		.amdhsa_user_sgpr_private_segment_buffer 1
		.amdhsa_user_sgpr_dispatch_ptr 0
		.amdhsa_user_sgpr_queue_ptr 0
		.amdhsa_user_sgpr_kernarg_segment_ptr 1
		.amdhsa_user_sgpr_dispatch_id 0
		.amdhsa_user_sgpr_flat_scratch_init 0
		.amdhsa_user_sgpr_private_segment_size 0
		.amdhsa_wavefront_size32 1
		.amdhsa_uses_dynamic_stack 0
		.amdhsa_system_sgpr_private_segment_wavefront_offset 0
		.amdhsa_system_sgpr_workgroup_id_x 1
		.amdhsa_system_sgpr_workgroup_id_y 0
		.amdhsa_system_sgpr_workgroup_id_z 0
		.amdhsa_system_sgpr_workgroup_info 0
		.amdhsa_system_vgpr_workitem_id 0
		.amdhsa_next_free_vgpr 1
		.amdhsa_next_free_sgpr 1
		.amdhsa_reserve_vcc 0
		.amdhsa_reserve_flat_scratch 0
		.amdhsa_float_round_mode_32 0
		.amdhsa_float_round_mode_16_64 0
		.amdhsa_float_denorm_mode_32 3
		.amdhsa_float_denorm_mode_16_64 3
		.amdhsa_dx10_clamp 1
		.amdhsa_ieee_mode 1
		.amdhsa_fp16_overflow 0
		.amdhsa_workgroup_processor_mode 1
		.amdhsa_memory_ordered 1
		.amdhsa_forward_progress 1
		.amdhsa_shared_vgpr_count 0
		.amdhsa_exception_fp_ieee_invalid_op 0
		.amdhsa_exception_fp_denorm_src 0
		.amdhsa_exception_fp_ieee_div_zero 0
		.amdhsa_exception_fp_ieee_overflow 0
		.amdhsa_exception_fp_ieee_underflow 0
		.amdhsa_exception_fp_ieee_inexact 0
		.amdhsa_exception_int_div_zero 0
	.end_amdhsa_kernel
	.section	.text._ZN7rocprim17ROCPRIM_400000_NS6detail17trampoline_kernelINS0_13select_configILj256ELj13ELNS0_17block_load_methodE3ELS4_3ELS4_3ELNS0_20block_scan_algorithmE0ELj4294967295EEENS1_25partition_config_selectorILNS1_17partition_subalgoE4EjNS0_10empty_typeEbEEZZNS1_14partition_implILS8_4ELb0ES6_15HIP_vector_typeIjLj2EENS0_17counting_iteratorIjlEEPS9_SG_NS0_5tupleIJPjSI_NS0_16reverse_iteratorISI_EEEEENSH_IJSG_SG_SG_EEES9_SI_JZNS1_25segmented_radix_sort_implINS0_14default_configELb1EPKdPdPKlPlN2at6native12_GLOBAL__N_18offset_tEEE10hipError_tPvRmT1_PNSt15iterator_traitsIS12_E10value_typeET2_T3_PNS13_IS18_E10value_typeET4_jRbjT5_S1E_jjP12ihipStream_tbEUljE_ZNSN_ISO_Lb1ESQ_SR_ST_SU_SY_EESZ_S10_S11_S12_S16_S17_S18_S1B_S1C_jS1D_jS1E_S1E_jjS1G_bEUljE0_EEESZ_S10_S11_S18_S1C_S1E_T6_T7_T9_mT8_S1G_bDpT10_ENKUlT_T0_E_clISt17integral_constantIbLb0EES1U_EEDaS1P_S1Q_EUlS1P_E_NS1_11comp_targetILNS1_3genE2ELNS1_11target_archE906ELNS1_3gpuE6ELNS1_3repE0EEENS1_30default_config_static_selectorELNS0_4arch9wavefront6targetE0EEEvS12_,"axG",@progbits,_ZN7rocprim17ROCPRIM_400000_NS6detail17trampoline_kernelINS0_13select_configILj256ELj13ELNS0_17block_load_methodE3ELS4_3ELS4_3ELNS0_20block_scan_algorithmE0ELj4294967295EEENS1_25partition_config_selectorILNS1_17partition_subalgoE4EjNS0_10empty_typeEbEEZZNS1_14partition_implILS8_4ELb0ES6_15HIP_vector_typeIjLj2EENS0_17counting_iteratorIjlEEPS9_SG_NS0_5tupleIJPjSI_NS0_16reverse_iteratorISI_EEEEENSH_IJSG_SG_SG_EEES9_SI_JZNS1_25segmented_radix_sort_implINS0_14default_configELb1EPKdPdPKlPlN2at6native12_GLOBAL__N_18offset_tEEE10hipError_tPvRmT1_PNSt15iterator_traitsIS12_E10value_typeET2_T3_PNS13_IS18_E10value_typeET4_jRbjT5_S1E_jjP12ihipStream_tbEUljE_ZNSN_ISO_Lb1ESQ_SR_ST_SU_SY_EESZ_S10_S11_S12_S16_S17_S18_S1B_S1C_jS1D_jS1E_S1E_jjS1G_bEUljE0_EEESZ_S10_S11_S18_S1C_S1E_T6_T7_T9_mT8_S1G_bDpT10_ENKUlT_T0_E_clISt17integral_constantIbLb0EES1U_EEDaS1P_S1Q_EUlS1P_E_NS1_11comp_targetILNS1_3genE2ELNS1_11target_archE906ELNS1_3gpuE6ELNS1_3repE0EEENS1_30default_config_static_selectorELNS0_4arch9wavefront6targetE0EEEvS12_,comdat
.Lfunc_end1050:
	.size	_ZN7rocprim17ROCPRIM_400000_NS6detail17trampoline_kernelINS0_13select_configILj256ELj13ELNS0_17block_load_methodE3ELS4_3ELS4_3ELNS0_20block_scan_algorithmE0ELj4294967295EEENS1_25partition_config_selectorILNS1_17partition_subalgoE4EjNS0_10empty_typeEbEEZZNS1_14partition_implILS8_4ELb0ES6_15HIP_vector_typeIjLj2EENS0_17counting_iteratorIjlEEPS9_SG_NS0_5tupleIJPjSI_NS0_16reverse_iteratorISI_EEEEENSH_IJSG_SG_SG_EEES9_SI_JZNS1_25segmented_radix_sort_implINS0_14default_configELb1EPKdPdPKlPlN2at6native12_GLOBAL__N_18offset_tEEE10hipError_tPvRmT1_PNSt15iterator_traitsIS12_E10value_typeET2_T3_PNS13_IS18_E10value_typeET4_jRbjT5_S1E_jjP12ihipStream_tbEUljE_ZNSN_ISO_Lb1ESQ_SR_ST_SU_SY_EESZ_S10_S11_S12_S16_S17_S18_S1B_S1C_jS1D_jS1E_S1E_jjS1G_bEUljE0_EEESZ_S10_S11_S18_S1C_S1E_T6_T7_T9_mT8_S1G_bDpT10_ENKUlT_T0_E_clISt17integral_constantIbLb0EES1U_EEDaS1P_S1Q_EUlS1P_E_NS1_11comp_targetILNS1_3genE2ELNS1_11target_archE906ELNS1_3gpuE6ELNS1_3repE0EEENS1_30default_config_static_selectorELNS0_4arch9wavefront6targetE0EEEvS12_, .Lfunc_end1050-_ZN7rocprim17ROCPRIM_400000_NS6detail17trampoline_kernelINS0_13select_configILj256ELj13ELNS0_17block_load_methodE3ELS4_3ELS4_3ELNS0_20block_scan_algorithmE0ELj4294967295EEENS1_25partition_config_selectorILNS1_17partition_subalgoE4EjNS0_10empty_typeEbEEZZNS1_14partition_implILS8_4ELb0ES6_15HIP_vector_typeIjLj2EENS0_17counting_iteratorIjlEEPS9_SG_NS0_5tupleIJPjSI_NS0_16reverse_iteratorISI_EEEEENSH_IJSG_SG_SG_EEES9_SI_JZNS1_25segmented_radix_sort_implINS0_14default_configELb1EPKdPdPKlPlN2at6native12_GLOBAL__N_18offset_tEEE10hipError_tPvRmT1_PNSt15iterator_traitsIS12_E10value_typeET2_T3_PNS13_IS18_E10value_typeET4_jRbjT5_S1E_jjP12ihipStream_tbEUljE_ZNSN_ISO_Lb1ESQ_SR_ST_SU_SY_EESZ_S10_S11_S12_S16_S17_S18_S1B_S1C_jS1D_jS1E_S1E_jjS1G_bEUljE0_EEESZ_S10_S11_S18_S1C_S1E_T6_T7_T9_mT8_S1G_bDpT10_ENKUlT_T0_E_clISt17integral_constantIbLb0EES1U_EEDaS1P_S1Q_EUlS1P_E_NS1_11comp_targetILNS1_3genE2ELNS1_11target_archE906ELNS1_3gpuE6ELNS1_3repE0EEENS1_30default_config_static_selectorELNS0_4arch9wavefront6targetE0EEEvS12_
                                        ; -- End function
	.set _ZN7rocprim17ROCPRIM_400000_NS6detail17trampoline_kernelINS0_13select_configILj256ELj13ELNS0_17block_load_methodE3ELS4_3ELS4_3ELNS0_20block_scan_algorithmE0ELj4294967295EEENS1_25partition_config_selectorILNS1_17partition_subalgoE4EjNS0_10empty_typeEbEEZZNS1_14partition_implILS8_4ELb0ES6_15HIP_vector_typeIjLj2EENS0_17counting_iteratorIjlEEPS9_SG_NS0_5tupleIJPjSI_NS0_16reverse_iteratorISI_EEEEENSH_IJSG_SG_SG_EEES9_SI_JZNS1_25segmented_radix_sort_implINS0_14default_configELb1EPKdPdPKlPlN2at6native12_GLOBAL__N_18offset_tEEE10hipError_tPvRmT1_PNSt15iterator_traitsIS12_E10value_typeET2_T3_PNS13_IS18_E10value_typeET4_jRbjT5_S1E_jjP12ihipStream_tbEUljE_ZNSN_ISO_Lb1ESQ_SR_ST_SU_SY_EESZ_S10_S11_S12_S16_S17_S18_S1B_S1C_jS1D_jS1E_S1E_jjS1G_bEUljE0_EEESZ_S10_S11_S18_S1C_S1E_T6_T7_T9_mT8_S1G_bDpT10_ENKUlT_T0_E_clISt17integral_constantIbLb0EES1U_EEDaS1P_S1Q_EUlS1P_E_NS1_11comp_targetILNS1_3genE2ELNS1_11target_archE906ELNS1_3gpuE6ELNS1_3repE0EEENS1_30default_config_static_selectorELNS0_4arch9wavefront6targetE0EEEvS12_.num_vgpr, 0
	.set _ZN7rocprim17ROCPRIM_400000_NS6detail17trampoline_kernelINS0_13select_configILj256ELj13ELNS0_17block_load_methodE3ELS4_3ELS4_3ELNS0_20block_scan_algorithmE0ELj4294967295EEENS1_25partition_config_selectorILNS1_17partition_subalgoE4EjNS0_10empty_typeEbEEZZNS1_14partition_implILS8_4ELb0ES6_15HIP_vector_typeIjLj2EENS0_17counting_iteratorIjlEEPS9_SG_NS0_5tupleIJPjSI_NS0_16reverse_iteratorISI_EEEEENSH_IJSG_SG_SG_EEES9_SI_JZNS1_25segmented_radix_sort_implINS0_14default_configELb1EPKdPdPKlPlN2at6native12_GLOBAL__N_18offset_tEEE10hipError_tPvRmT1_PNSt15iterator_traitsIS12_E10value_typeET2_T3_PNS13_IS18_E10value_typeET4_jRbjT5_S1E_jjP12ihipStream_tbEUljE_ZNSN_ISO_Lb1ESQ_SR_ST_SU_SY_EESZ_S10_S11_S12_S16_S17_S18_S1B_S1C_jS1D_jS1E_S1E_jjS1G_bEUljE0_EEESZ_S10_S11_S18_S1C_S1E_T6_T7_T9_mT8_S1G_bDpT10_ENKUlT_T0_E_clISt17integral_constantIbLb0EES1U_EEDaS1P_S1Q_EUlS1P_E_NS1_11comp_targetILNS1_3genE2ELNS1_11target_archE906ELNS1_3gpuE6ELNS1_3repE0EEENS1_30default_config_static_selectorELNS0_4arch9wavefront6targetE0EEEvS12_.num_agpr, 0
	.set _ZN7rocprim17ROCPRIM_400000_NS6detail17trampoline_kernelINS0_13select_configILj256ELj13ELNS0_17block_load_methodE3ELS4_3ELS4_3ELNS0_20block_scan_algorithmE0ELj4294967295EEENS1_25partition_config_selectorILNS1_17partition_subalgoE4EjNS0_10empty_typeEbEEZZNS1_14partition_implILS8_4ELb0ES6_15HIP_vector_typeIjLj2EENS0_17counting_iteratorIjlEEPS9_SG_NS0_5tupleIJPjSI_NS0_16reverse_iteratorISI_EEEEENSH_IJSG_SG_SG_EEES9_SI_JZNS1_25segmented_radix_sort_implINS0_14default_configELb1EPKdPdPKlPlN2at6native12_GLOBAL__N_18offset_tEEE10hipError_tPvRmT1_PNSt15iterator_traitsIS12_E10value_typeET2_T3_PNS13_IS18_E10value_typeET4_jRbjT5_S1E_jjP12ihipStream_tbEUljE_ZNSN_ISO_Lb1ESQ_SR_ST_SU_SY_EESZ_S10_S11_S12_S16_S17_S18_S1B_S1C_jS1D_jS1E_S1E_jjS1G_bEUljE0_EEESZ_S10_S11_S18_S1C_S1E_T6_T7_T9_mT8_S1G_bDpT10_ENKUlT_T0_E_clISt17integral_constantIbLb0EES1U_EEDaS1P_S1Q_EUlS1P_E_NS1_11comp_targetILNS1_3genE2ELNS1_11target_archE906ELNS1_3gpuE6ELNS1_3repE0EEENS1_30default_config_static_selectorELNS0_4arch9wavefront6targetE0EEEvS12_.numbered_sgpr, 0
	.set _ZN7rocprim17ROCPRIM_400000_NS6detail17trampoline_kernelINS0_13select_configILj256ELj13ELNS0_17block_load_methodE3ELS4_3ELS4_3ELNS0_20block_scan_algorithmE0ELj4294967295EEENS1_25partition_config_selectorILNS1_17partition_subalgoE4EjNS0_10empty_typeEbEEZZNS1_14partition_implILS8_4ELb0ES6_15HIP_vector_typeIjLj2EENS0_17counting_iteratorIjlEEPS9_SG_NS0_5tupleIJPjSI_NS0_16reverse_iteratorISI_EEEEENSH_IJSG_SG_SG_EEES9_SI_JZNS1_25segmented_radix_sort_implINS0_14default_configELb1EPKdPdPKlPlN2at6native12_GLOBAL__N_18offset_tEEE10hipError_tPvRmT1_PNSt15iterator_traitsIS12_E10value_typeET2_T3_PNS13_IS18_E10value_typeET4_jRbjT5_S1E_jjP12ihipStream_tbEUljE_ZNSN_ISO_Lb1ESQ_SR_ST_SU_SY_EESZ_S10_S11_S12_S16_S17_S18_S1B_S1C_jS1D_jS1E_S1E_jjS1G_bEUljE0_EEESZ_S10_S11_S18_S1C_S1E_T6_T7_T9_mT8_S1G_bDpT10_ENKUlT_T0_E_clISt17integral_constantIbLb0EES1U_EEDaS1P_S1Q_EUlS1P_E_NS1_11comp_targetILNS1_3genE2ELNS1_11target_archE906ELNS1_3gpuE6ELNS1_3repE0EEENS1_30default_config_static_selectorELNS0_4arch9wavefront6targetE0EEEvS12_.num_named_barrier, 0
	.set _ZN7rocprim17ROCPRIM_400000_NS6detail17trampoline_kernelINS0_13select_configILj256ELj13ELNS0_17block_load_methodE3ELS4_3ELS4_3ELNS0_20block_scan_algorithmE0ELj4294967295EEENS1_25partition_config_selectorILNS1_17partition_subalgoE4EjNS0_10empty_typeEbEEZZNS1_14partition_implILS8_4ELb0ES6_15HIP_vector_typeIjLj2EENS0_17counting_iteratorIjlEEPS9_SG_NS0_5tupleIJPjSI_NS0_16reverse_iteratorISI_EEEEENSH_IJSG_SG_SG_EEES9_SI_JZNS1_25segmented_radix_sort_implINS0_14default_configELb1EPKdPdPKlPlN2at6native12_GLOBAL__N_18offset_tEEE10hipError_tPvRmT1_PNSt15iterator_traitsIS12_E10value_typeET2_T3_PNS13_IS18_E10value_typeET4_jRbjT5_S1E_jjP12ihipStream_tbEUljE_ZNSN_ISO_Lb1ESQ_SR_ST_SU_SY_EESZ_S10_S11_S12_S16_S17_S18_S1B_S1C_jS1D_jS1E_S1E_jjS1G_bEUljE0_EEESZ_S10_S11_S18_S1C_S1E_T6_T7_T9_mT8_S1G_bDpT10_ENKUlT_T0_E_clISt17integral_constantIbLb0EES1U_EEDaS1P_S1Q_EUlS1P_E_NS1_11comp_targetILNS1_3genE2ELNS1_11target_archE906ELNS1_3gpuE6ELNS1_3repE0EEENS1_30default_config_static_selectorELNS0_4arch9wavefront6targetE0EEEvS12_.private_seg_size, 0
	.set _ZN7rocprim17ROCPRIM_400000_NS6detail17trampoline_kernelINS0_13select_configILj256ELj13ELNS0_17block_load_methodE3ELS4_3ELS4_3ELNS0_20block_scan_algorithmE0ELj4294967295EEENS1_25partition_config_selectorILNS1_17partition_subalgoE4EjNS0_10empty_typeEbEEZZNS1_14partition_implILS8_4ELb0ES6_15HIP_vector_typeIjLj2EENS0_17counting_iteratorIjlEEPS9_SG_NS0_5tupleIJPjSI_NS0_16reverse_iteratorISI_EEEEENSH_IJSG_SG_SG_EEES9_SI_JZNS1_25segmented_radix_sort_implINS0_14default_configELb1EPKdPdPKlPlN2at6native12_GLOBAL__N_18offset_tEEE10hipError_tPvRmT1_PNSt15iterator_traitsIS12_E10value_typeET2_T3_PNS13_IS18_E10value_typeET4_jRbjT5_S1E_jjP12ihipStream_tbEUljE_ZNSN_ISO_Lb1ESQ_SR_ST_SU_SY_EESZ_S10_S11_S12_S16_S17_S18_S1B_S1C_jS1D_jS1E_S1E_jjS1G_bEUljE0_EEESZ_S10_S11_S18_S1C_S1E_T6_T7_T9_mT8_S1G_bDpT10_ENKUlT_T0_E_clISt17integral_constantIbLb0EES1U_EEDaS1P_S1Q_EUlS1P_E_NS1_11comp_targetILNS1_3genE2ELNS1_11target_archE906ELNS1_3gpuE6ELNS1_3repE0EEENS1_30default_config_static_selectorELNS0_4arch9wavefront6targetE0EEEvS12_.uses_vcc, 0
	.set _ZN7rocprim17ROCPRIM_400000_NS6detail17trampoline_kernelINS0_13select_configILj256ELj13ELNS0_17block_load_methodE3ELS4_3ELS4_3ELNS0_20block_scan_algorithmE0ELj4294967295EEENS1_25partition_config_selectorILNS1_17partition_subalgoE4EjNS0_10empty_typeEbEEZZNS1_14partition_implILS8_4ELb0ES6_15HIP_vector_typeIjLj2EENS0_17counting_iteratorIjlEEPS9_SG_NS0_5tupleIJPjSI_NS0_16reverse_iteratorISI_EEEEENSH_IJSG_SG_SG_EEES9_SI_JZNS1_25segmented_radix_sort_implINS0_14default_configELb1EPKdPdPKlPlN2at6native12_GLOBAL__N_18offset_tEEE10hipError_tPvRmT1_PNSt15iterator_traitsIS12_E10value_typeET2_T3_PNS13_IS18_E10value_typeET4_jRbjT5_S1E_jjP12ihipStream_tbEUljE_ZNSN_ISO_Lb1ESQ_SR_ST_SU_SY_EESZ_S10_S11_S12_S16_S17_S18_S1B_S1C_jS1D_jS1E_S1E_jjS1G_bEUljE0_EEESZ_S10_S11_S18_S1C_S1E_T6_T7_T9_mT8_S1G_bDpT10_ENKUlT_T0_E_clISt17integral_constantIbLb0EES1U_EEDaS1P_S1Q_EUlS1P_E_NS1_11comp_targetILNS1_3genE2ELNS1_11target_archE906ELNS1_3gpuE6ELNS1_3repE0EEENS1_30default_config_static_selectorELNS0_4arch9wavefront6targetE0EEEvS12_.uses_flat_scratch, 0
	.set _ZN7rocprim17ROCPRIM_400000_NS6detail17trampoline_kernelINS0_13select_configILj256ELj13ELNS0_17block_load_methodE3ELS4_3ELS4_3ELNS0_20block_scan_algorithmE0ELj4294967295EEENS1_25partition_config_selectorILNS1_17partition_subalgoE4EjNS0_10empty_typeEbEEZZNS1_14partition_implILS8_4ELb0ES6_15HIP_vector_typeIjLj2EENS0_17counting_iteratorIjlEEPS9_SG_NS0_5tupleIJPjSI_NS0_16reverse_iteratorISI_EEEEENSH_IJSG_SG_SG_EEES9_SI_JZNS1_25segmented_radix_sort_implINS0_14default_configELb1EPKdPdPKlPlN2at6native12_GLOBAL__N_18offset_tEEE10hipError_tPvRmT1_PNSt15iterator_traitsIS12_E10value_typeET2_T3_PNS13_IS18_E10value_typeET4_jRbjT5_S1E_jjP12ihipStream_tbEUljE_ZNSN_ISO_Lb1ESQ_SR_ST_SU_SY_EESZ_S10_S11_S12_S16_S17_S18_S1B_S1C_jS1D_jS1E_S1E_jjS1G_bEUljE0_EEESZ_S10_S11_S18_S1C_S1E_T6_T7_T9_mT8_S1G_bDpT10_ENKUlT_T0_E_clISt17integral_constantIbLb0EES1U_EEDaS1P_S1Q_EUlS1P_E_NS1_11comp_targetILNS1_3genE2ELNS1_11target_archE906ELNS1_3gpuE6ELNS1_3repE0EEENS1_30default_config_static_selectorELNS0_4arch9wavefront6targetE0EEEvS12_.has_dyn_sized_stack, 0
	.set _ZN7rocprim17ROCPRIM_400000_NS6detail17trampoline_kernelINS0_13select_configILj256ELj13ELNS0_17block_load_methodE3ELS4_3ELS4_3ELNS0_20block_scan_algorithmE0ELj4294967295EEENS1_25partition_config_selectorILNS1_17partition_subalgoE4EjNS0_10empty_typeEbEEZZNS1_14partition_implILS8_4ELb0ES6_15HIP_vector_typeIjLj2EENS0_17counting_iteratorIjlEEPS9_SG_NS0_5tupleIJPjSI_NS0_16reverse_iteratorISI_EEEEENSH_IJSG_SG_SG_EEES9_SI_JZNS1_25segmented_radix_sort_implINS0_14default_configELb1EPKdPdPKlPlN2at6native12_GLOBAL__N_18offset_tEEE10hipError_tPvRmT1_PNSt15iterator_traitsIS12_E10value_typeET2_T3_PNS13_IS18_E10value_typeET4_jRbjT5_S1E_jjP12ihipStream_tbEUljE_ZNSN_ISO_Lb1ESQ_SR_ST_SU_SY_EESZ_S10_S11_S12_S16_S17_S18_S1B_S1C_jS1D_jS1E_S1E_jjS1G_bEUljE0_EEESZ_S10_S11_S18_S1C_S1E_T6_T7_T9_mT8_S1G_bDpT10_ENKUlT_T0_E_clISt17integral_constantIbLb0EES1U_EEDaS1P_S1Q_EUlS1P_E_NS1_11comp_targetILNS1_3genE2ELNS1_11target_archE906ELNS1_3gpuE6ELNS1_3repE0EEENS1_30default_config_static_selectorELNS0_4arch9wavefront6targetE0EEEvS12_.has_recursion, 0
	.set _ZN7rocprim17ROCPRIM_400000_NS6detail17trampoline_kernelINS0_13select_configILj256ELj13ELNS0_17block_load_methodE3ELS4_3ELS4_3ELNS0_20block_scan_algorithmE0ELj4294967295EEENS1_25partition_config_selectorILNS1_17partition_subalgoE4EjNS0_10empty_typeEbEEZZNS1_14partition_implILS8_4ELb0ES6_15HIP_vector_typeIjLj2EENS0_17counting_iteratorIjlEEPS9_SG_NS0_5tupleIJPjSI_NS0_16reverse_iteratorISI_EEEEENSH_IJSG_SG_SG_EEES9_SI_JZNS1_25segmented_radix_sort_implINS0_14default_configELb1EPKdPdPKlPlN2at6native12_GLOBAL__N_18offset_tEEE10hipError_tPvRmT1_PNSt15iterator_traitsIS12_E10value_typeET2_T3_PNS13_IS18_E10value_typeET4_jRbjT5_S1E_jjP12ihipStream_tbEUljE_ZNSN_ISO_Lb1ESQ_SR_ST_SU_SY_EESZ_S10_S11_S12_S16_S17_S18_S1B_S1C_jS1D_jS1E_S1E_jjS1G_bEUljE0_EEESZ_S10_S11_S18_S1C_S1E_T6_T7_T9_mT8_S1G_bDpT10_ENKUlT_T0_E_clISt17integral_constantIbLb0EES1U_EEDaS1P_S1Q_EUlS1P_E_NS1_11comp_targetILNS1_3genE2ELNS1_11target_archE906ELNS1_3gpuE6ELNS1_3repE0EEENS1_30default_config_static_selectorELNS0_4arch9wavefront6targetE0EEEvS12_.has_indirect_call, 0
	.section	.AMDGPU.csdata,"",@progbits
; Kernel info:
; codeLenInByte = 0
; TotalNumSgprs: 0
; NumVgprs: 0
; ScratchSize: 0
; MemoryBound: 0
; FloatMode: 240
; IeeeMode: 1
; LDSByteSize: 0 bytes/workgroup (compile time only)
; SGPRBlocks: 0
; VGPRBlocks: 0
; NumSGPRsForWavesPerEU: 1
; NumVGPRsForWavesPerEU: 1
; Occupancy: 16
; WaveLimiterHint : 0
; COMPUTE_PGM_RSRC2:SCRATCH_EN: 0
; COMPUTE_PGM_RSRC2:USER_SGPR: 6
; COMPUTE_PGM_RSRC2:TRAP_HANDLER: 0
; COMPUTE_PGM_RSRC2:TGID_X_EN: 1
; COMPUTE_PGM_RSRC2:TGID_Y_EN: 0
; COMPUTE_PGM_RSRC2:TGID_Z_EN: 0
; COMPUTE_PGM_RSRC2:TIDIG_COMP_CNT: 0
	.section	.text._ZN7rocprim17ROCPRIM_400000_NS6detail17trampoline_kernelINS0_13select_configILj256ELj13ELNS0_17block_load_methodE3ELS4_3ELS4_3ELNS0_20block_scan_algorithmE0ELj4294967295EEENS1_25partition_config_selectorILNS1_17partition_subalgoE4EjNS0_10empty_typeEbEEZZNS1_14partition_implILS8_4ELb0ES6_15HIP_vector_typeIjLj2EENS0_17counting_iteratorIjlEEPS9_SG_NS0_5tupleIJPjSI_NS0_16reverse_iteratorISI_EEEEENSH_IJSG_SG_SG_EEES9_SI_JZNS1_25segmented_radix_sort_implINS0_14default_configELb1EPKdPdPKlPlN2at6native12_GLOBAL__N_18offset_tEEE10hipError_tPvRmT1_PNSt15iterator_traitsIS12_E10value_typeET2_T3_PNS13_IS18_E10value_typeET4_jRbjT5_S1E_jjP12ihipStream_tbEUljE_ZNSN_ISO_Lb1ESQ_SR_ST_SU_SY_EESZ_S10_S11_S12_S16_S17_S18_S1B_S1C_jS1D_jS1E_S1E_jjS1G_bEUljE0_EEESZ_S10_S11_S18_S1C_S1E_T6_T7_T9_mT8_S1G_bDpT10_ENKUlT_T0_E_clISt17integral_constantIbLb0EES1U_EEDaS1P_S1Q_EUlS1P_E_NS1_11comp_targetILNS1_3genE10ELNS1_11target_archE1200ELNS1_3gpuE4ELNS1_3repE0EEENS1_30default_config_static_selectorELNS0_4arch9wavefront6targetE0EEEvS12_,"axG",@progbits,_ZN7rocprim17ROCPRIM_400000_NS6detail17trampoline_kernelINS0_13select_configILj256ELj13ELNS0_17block_load_methodE3ELS4_3ELS4_3ELNS0_20block_scan_algorithmE0ELj4294967295EEENS1_25partition_config_selectorILNS1_17partition_subalgoE4EjNS0_10empty_typeEbEEZZNS1_14partition_implILS8_4ELb0ES6_15HIP_vector_typeIjLj2EENS0_17counting_iteratorIjlEEPS9_SG_NS0_5tupleIJPjSI_NS0_16reverse_iteratorISI_EEEEENSH_IJSG_SG_SG_EEES9_SI_JZNS1_25segmented_radix_sort_implINS0_14default_configELb1EPKdPdPKlPlN2at6native12_GLOBAL__N_18offset_tEEE10hipError_tPvRmT1_PNSt15iterator_traitsIS12_E10value_typeET2_T3_PNS13_IS18_E10value_typeET4_jRbjT5_S1E_jjP12ihipStream_tbEUljE_ZNSN_ISO_Lb1ESQ_SR_ST_SU_SY_EESZ_S10_S11_S12_S16_S17_S18_S1B_S1C_jS1D_jS1E_S1E_jjS1G_bEUljE0_EEESZ_S10_S11_S18_S1C_S1E_T6_T7_T9_mT8_S1G_bDpT10_ENKUlT_T0_E_clISt17integral_constantIbLb0EES1U_EEDaS1P_S1Q_EUlS1P_E_NS1_11comp_targetILNS1_3genE10ELNS1_11target_archE1200ELNS1_3gpuE4ELNS1_3repE0EEENS1_30default_config_static_selectorELNS0_4arch9wavefront6targetE0EEEvS12_,comdat
	.globl	_ZN7rocprim17ROCPRIM_400000_NS6detail17trampoline_kernelINS0_13select_configILj256ELj13ELNS0_17block_load_methodE3ELS4_3ELS4_3ELNS0_20block_scan_algorithmE0ELj4294967295EEENS1_25partition_config_selectorILNS1_17partition_subalgoE4EjNS0_10empty_typeEbEEZZNS1_14partition_implILS8_4ELb0ES6_15HIP_vector_typeIjLj2EENS0_17counting_iteratorIjlEEPS9_SG_NS0_5tupleIJPjSI_NS0_16reverse_iteratorISI_EEEEENSH_IJSG_SG_SG_EEES9_SI_JZNS1_25segmented_radix_sort_implINS0_14default_configELb1EPKdPdPKlPlN2at6native12_GLOBAL__N_18offset_tEEE10hipError_tPvRmT1_PNSt15iterator_traitsIS12_E10value_typeET2_T3_PNS13_IS18_E10value_typeET4_jRbjT5_S1E_jjP12ihipStream_tbEUljE_ZNSN_ISO_Lb1ESQ_SR_ST_SU_SY_EESZ_S10_S11_S12_S16_S17_S18_S1B_S1C_jS1D_jS1E_S1E_jjS1G_bEUljE0_EEESZ_S10_S11_S18_S1C_S1E_T6_T7_T9_mT8_S1G_bDpT10_ENKUlT_T0_E_clISt17integral_constantIbLb0EES1U_EEDaS1P_S1Q_EUlS1P_E_NS1_11comp_targetILNS1_3genE10ELNS1_11target_archE1200ELNS1_3gpuE4ELNS1_3repE0EEENS1_30default_config_static_selectorELNS0_4arch9wavefront6targetE0EEEvS12_ ; -- Begin function _ZN7rocprim17ROCPRIM_400000_NS6detail17trampoline_kernelINS0_13select_configILj256ELj13ELNS0_17block_load_methodE3ELS4_3ELS4_3ELNS0_20block_scan_algorithmE0ELj4294967295EEENS1_25partition_config_selectorILNS1_17partition_subalgoE4EjNS0_10empty_typeEbEEZZNS1_14partition_implILS8_4ELb0ES6_15HIP_vector_typeIjLj2EENS0_17counting_iteratorIjlEEPS9_SG_NS0_5tupleIJPjSI_NS0_16reverse_iteratorISI_EEEEENSH_IJSG_SG_SG_EEES9_SI_JZNS1_25segmented_radix_sort_implINS0_14default_configELb1EPKdPdPKlPlN2at6native12_GLOBAL__N_18offset_tEEE10hipError_tPvRmT1_PNSt15iterator_traitsIS12_E10value_typeET2_T3_PNS13_IS18_E10value_typeET4_jRbjT5_S1E_jjP12ihipStream_tbEUljE_ZNSN_ISO_Lb1ESQ_SR_ST_SU_SY_EESZ_S10_S11_S12_S16_S17_S18_S1B_S1C_jS1D_jS1E_S1E_jjS1G_bEUljE0_EEESZ_S10_S11_S18_S1C_S1E_T6_T7_T9_mT8_S1G_bDpT10_ENKUlT_T0_E_clISt17integral_constantIbLb0EES1U_EEDaS1P_S1Q_EUlS1P_E_NS1_11comp_targetILNS1_3genE10ELNS1_11target_archE1200ELNS1_3gpuE4ELNS1_3repE0EEENS1_30default_config_static_selectorELNS0_4arch9wavefront6targetE0EEEvS12_
	.p2align	8
	.type	_ZN7rocprim17ROCPRIM_400000_NS6detail17trampoline_kernelINS0_13select_configILj256ELj13ELNS0_17block_load_methodE3ELS4_3ELS4_3ELNS0_20block_scan_algorithmE0ELj4294967295EEENS1_25partition_config_selectorILNS1_17partition_subalgoE4EjNS0_10empty_typeEbEEZZNS1_14partition_implILS8_4ELb0ES6_15HIP_vector_typeIjLj2EENS0_17counting_iteratorIjlEEPS9_SG_NS0_5tupleIJPjSI_NS0_16reverse_iteratorISI_EEEEENSH_IJSG_SG_SG_EEES9_SI_JZNS1_25segmented_radix_sort_implINS0_14default_configELb1EPKdPdPKlPlN2at6native12_GLOBAL__N_18offset_tEEE10hipError_tPvRmT1_PNSt15iterator_traitsIS12_E10value_typeET2_T3_PNS13_IS18_E10value_typeET4_jRbjT5_S1E_jjP12ihipStream_tbEUljE_ZNSN_ISO_Lb1ESQ_SR_ST_SU_SY_EESZ_S10_S11_S12_S16_S17_S18_S1B_S1C_jS1D_jS1E_S1E_jjS1G_bEUljE0_EEESZ_S10_S11_S18_S1C_S1E_T6_T7_T9_mT8_S1G_bDpT10_ENKUlT_T0_E_clISt17integral_constantIbLb0EES1U_EEDaS1P_S1Q_EUlS1P_E_NS1_11comp_targetILNS1_3genE10ELNS1_11target_archE1200ELNS1_3gpuE4ELNS1_3repE0EEENS1_30default_config_static_selectorELNS0_4arch9wavefront6targetE0EEEvS12_,@function
_ZN7rocprim17ROCPRIM_400000_NS6detail17trampoline_kernelINS0_13select_configILj256ELj13ELNS0_17block_load_methodE3ELS4_3ELS4_3ELNS0_20block_scan_algorithmE0ELj4294967295EEENS1_25partition_config_selectorILNS1_17partition_subalgoE4EjNS0_10empty_typeEbEEZZNS1_14partition_implILS8_4ELb0ES6_15HIP_vector_typeIjLj2EENS0_17counting_iteratorIjlEEPS9_SG_NS0_5tupleIJPjSI_NS0_16reverse_iteratorISI_EEEEENSH_IJSG_SG_SG_EEES9_SI_JZNS1_25segmented_radix_sort_implINS0_14default_configELb1EPKdPdPKlPlN2at6native12_GLOBAL__N_18offset_tEEE10hipError_tPvRmT1_PNSt15iterator_traitsIS12_E10value_typeET2_T3_PNS13_IS18_E10value_typeET4_jRbjT5_S1E_jjP12ihipStream_tbEUljE_ZNSN_ISO_Lb1ESQ_SR_ST_SU_SY_EESZ_S10_S11_S12_S16_S17_S18_S1B_S1C_jS1D_jS1E_S1E_jjS1G_bEUljE0_EEESZ_S10_S11_S18_S1C_S1E_T6_T7_T9_mT8_S1G_bDpT10_ENKUlT_T0_E_clISt17integral_constantIbLb0EES1U_EEDaS1P_S1Q_EUlS1P_E_NS1_11comp_targetILNS1_3genE10ELNS1_11target_archE1200ELNS1_3gpuE4ELNS1_3repE0EEENS1_30default_config_static_selectorELNS0_4arch9wavefront6targetE0EEEvS12_: ; @_ZN7rocprim17ROCPRIM_400000_NS6detail17trampoline_kernelINS0_13select_configILj256ELj13ELNS0_17block_load_methodE3ELS4_3ELS4_3ELNS0_20block_scan_algorithmE0ELj4294967295EEENS1_25partition_config_selectorILNS1_17partition_subalgoE4EjNS0_10empty_typeEbEEZZNS1_14partition_implILS8_4ELb0ES6_15HIP_vector_typeIjLj2EENS0_17counting_iteratorIjlEEPS9_SG_NS0_5tupleIJPjSI_NS0_16reverse_iteratorISI_EEEEENSH_IJSG_SG_SG_EEES9_SI_JZNS1_25segmented_radix_sort_implINS0_14default_configELb1EPKdPdPKlPlN2at6native12_GLOBAL__N_18offset_tEEE10hipError_tPvRmT1_PNSt15iterator_traitsIS12_E10value_typeET2_T3_PNS13_IS18_E10value_typeET4_jRbjT5_S1E_jjP12ihipStream_tbEUljE_ZNSN_ISO_Lb1ESQ_SR_ST_SU_SY_EESZ_S10_S11_S12_S16_S17_S18_S1B_S1C_jS1D_jS1E_S1E_jjS1G_bEUljE0_EEESZ_S10_S11_S18_S1C_S1E_T6_T7_T9_mT8_S1G_bDpT10_ENKUlT_T0_E_clISt17integral_constantIbLb0EES1U_EEDaS1P_S1Q_EUlS1P_E_NS1_11comp_targetILNS1_3genE10ELNS1_11target_archE1200ELNS1_3gpuE4ELNS1_3repE0EEENS1_30default_config_static_selectorELNS0_4arch9wavefront6targetE0EEEvS12_
; %bb.0:
	.section	.rodata,"a",@progbits
	.p2align	6, 0x0
	.amdhsa_kernel _ZN7rocprim17ROCPRIM_400000_NS6detail17trampoline_kernelINS0_13select_configILj256ELj13ELNS0_17block_load_methodE3ELS4_3ELS4_3ELNS0_20block_scan_algorithmE0ELj4294967295EEENS1_25partition_config_selectorILNS1_17partition_subalgoE4EjNS0_10empty_typeEbEEZZNS1_14partition_implILS8_4ELb0ES6_15HIP_vector_typeIjLj2EENS0_17counting_iteratorIjlEEPS9_SG_NS0_5tupleIJPjSI_NS0_16reverse_iteratorISI_EEEEENSH_IJSG_SG_SG_EEES9_SI_JZNS1_25segmented_radix_sort_implINS0_14default_configELb1EPKdPdPKlPlN2at6native12_GLOBAL__N_18offset_tEEE10hipError_tPvRmT1_PNSt15iterator_traitsIS12_E10value_typeET2_T3_PNS13_IS18_E10value_typeET4_jRbjT5_S1E_jjP12ihipStream_tbEUljE_ZNSN_ISO_Lb1ESQ_SR_ST_SU_SY_EESZ_S10_S11_S12_S16_S17_S18_S1B_S1C_jS1D_jS1E_S1E_jjS1G_bEUljE0_EEESZ_S10_S11_S18_S1C_S1E_T6_T7_T9_mT8_S1G_bDpT10_ENKUlT_T0_E_clISt17integral_constantIbLb0EES1U_EEDaS1P_S1Q_EUlS1P_E_NS1_11comp_targetILNS1_3genE10ELNS1_11target_archE1200ELNS1_3gpuE4ELNS1_3repE0EEENS1_30default_config_static_selectorELNS0_4arch9wavefront6targetE0EEEvS12_
		.amdhsa_group_segment_fixed_size 0
		.amdhsa_private_segment_fixed_size 0
		.amdhsa_kernarg_size 176
		.amdhsa_user_sgpr_count 6
		.amdhsa_user_sgpr_private_segment_buffer 1
		.amdhsa_user_sgpr_dispatch_ptr 0
		.amdhsa_user_sgpr_queue_ptr 0
		.amdhsa_user_sgpr_kernarg_segment_ptr 1
		.amdhsa_user_sgpr_dispatch_id 0
		.amdhsa_user_sgpr_flat_scratch_init 0
		.amdhsa_user_sgpr_private_segment_size 0
		.amdhsa_wavefront_size32 1
		.amdhsa_uses_dynamic_stack 0
		.amdhsa_system_sgpr_private_segment_wavefront_offset 0
		.amdhsa_system_sgpr_workgroup_id_x 1
		.amdhsa_system_sgpr_workgroup_id_y 0
		.amdhsa_system_sgpr_workgroup_id_z 0
		.amdhsa_system_sgpr_workgroup_info 0
		.amdhsa_system_vgpr_workitem_id 0
		.amdhsa_next_free_vgpr 1
		.amdhsa_next_free_sgpr 1
		.amdhsa_reserve_vcc 0
		.amdhsa_reserve_flat_scratch 0
		.amdhsa_float_round_mode_32 0
		.amdhsa_float_round_mode_16_64 0
		.amdhsa_float_denorm_mode_32 3
		.amdhsa_float_denorm_mode_16_64 3
		.amdhsa_dx10_clamp 1
		.amdhsa_ieee_mode 1
		.amdhsa_fp16_overflow 0
		.amdhsa_workgroup_processor_mode 1
		.amdhsa_memory_ordered 1
		.amdhsa_forward_progress 1
		.amdhsa_shared_vgpr_count 0
		.amdhsa_exception_fp_ieee_invalid_op 0
		.amdhsa_exception_fp_denorm_src 0
		.amdhsa_exception_fp_ieee_div_zero 0
		.amdhsa_exception_fp_ieee_overflow 0
		.amdhsa_exception_fp_ieee_underflow 0
		.amdhsa_exception_fp_ieee_inexact 0
		.amdhsa_exception_int_div_zero 0
	.end_amdhsa_kernel
	.section	.text._ZN7rocprim17ROCPRIM_400000_NS6detail17trampoline_kernelINS0_13select_configILj256ELj13ELNS0_17block_load_methodE3ELS4_3ELS4_3ELNS0_20block_scan_algorithmE0ELj4294967295EEENS1_25partition_config_selectorILNS1_17partition_subalgoE4EjNS0_10empty_typeEbEEZZNS1_14partition_implILS8_4ELb0ES6_15HIP_vector_typeIjLj2EENS0_17counting_iteratorIjlEEPS9_SG_NS0_5tupleIJPjSI_NS0_16reverse_iteratorISI_EEEEENSH_IJSG_SG_SG_EEES9_SI_JZNS1_25segmented_radix_sort_implINS0_14default_configELb1EPKdPdPKlPlN2at6native12_GLOBAL__N_18offset_tEEE10hipError_tPvRmT1_PNSt15iterator_traitsIS12_E10value_typeET2_T3_PNS13_IS18_E10value_typeET4_jRbjT5_S1E_jjP12ihipStream_tbEUljE_ZNSN_ISO_Lb1ESQ_SR_ST_SU_SY_EESZ_S10_S11_S12_S16_S17_S18_S1B_S1C_jS1D_jS1E_S1E_jjS1G_bEUljE0_EEESZ_S10_S11_S18_S1C_S1E_T6_T7_T9_mT8_S1G_bDpT10_ENKUlT_T0_E_clISt17integral_constantIbLb0EES1U_EEDaS1P_S1Q_EUlS1P_E_NS1_11comp_targetILNS1_3genE10ELNS1_11target_archE1200ELNS1_3gpuE4ELNS1_3repE0EEENS1_30default_config_static_selectorELNS0_4arch9wavefront6targetE0EEEvS12_,"axG",@progbits,_ZN7rocprim17ROCPRIM_400000_NS6detail17trampoline_kernelINS0_13select_configILj256ELj13ELNS0_17block_load_methodE3ELS4_3ELS4_3ELNS0_20block_scan_algorithmE0ELj4294967295EEENS1_25partition_config_selectorILNS1_17partition_subalgoE4EjNS0_10empty_typeEbEEZZNS1_14partition_implILS8_4ELb0ES6_15HIP_vector_typeIjLj2EENS0_17counting_iteratorIjlEEPS9_SG_NS0_5tupleIJPjSI_NS0_16reverse_iteratorISI_EEEEENSH_IJSG_SG_SG_EEES9_SI_JZNS1_25segmented_radix_sort_implINS0_14default_configELb1EPKdPdPKlPlN2at6native12_GLOBAL__N_18offset_tEEE10hipError_tPvRmT1_PNSt15iterator_traitsIS12_E10value_typeET2_T3_PNS13_IS18_E10value_typeET4_jRbjT5_S1E_jjP12ihipStream_tbEUljE_ZNSN_ISO_Lb1ESQ_SR_ST_SU_SY_EESZ_S10_S11_S12_S16_S17_S18_S1B_S1C_jS1D_jS1E_S1E_jjS1G_bEUljE0_EEESZ_S10_S11_S18_S1C_S1E_T6_T7_T9_mT8_S1G_bDpT10_ENKUlT_T0_E_clISt17integral_constantIbLb0EES1U_EEDaS1P_S1Q_EUlS1P_E_NS1_11comp_targetILNS1_3genE10ELNS1_11target_archE1200ELNS1_3gpuE4ELNS1_3repE0EEENS1_30default_config_static_selectorELNS0_4arch9wavefront6targetE0EEEvS12_,comdat
.Lfunc_end1051:
	.size	_ZN7rocprim17ROCPRIM_400000_NS6detail17trampoline_kernelINS0_13select_configILj256ELj13ELNS0_17block_load_methodE3ELS4_3ELS4_3ELNS0_20block_scan_algorithmE0ELj4294967295EEENS1_25partition_config_selectorILNS1_17partition_subalgoE4EjNS0_10empty_typeEbEEZZNS1_14partition_implILS8_4ELb0ES6_15HIP_vector_typeIjLj2EENS0_17counting_iteratorIjlEEPS9_SG_NS0_5tupleIJPjSI_NS0_16reverse_iteratorISI_EEEEENSH_IJSG_SG_SG_EEES9_SI_JZNS1_25segmented_radix_sort_implINS0_14default_configELb1EPKdPdPKlPlN2at6native12_GLOBAL__N_18offset_tEEE10hipError_tPvRmT1_PNSt15iterator_traitsIS12_E10value_typeET2_T3_PNS13_IS18_E10value_typeET4_jRbjT5_S1E_jjP12ihipStream_tbEUljE_ZNSN_ISO_Lb1ESQ_SR_ST_SU_SY_EESZ_S10_S11_S12_S16_S17_S18_S1B_S1C_jS1D_jS1E_S1E_jjS1G_bEUljE0_EEESZ_S10_S11_S18_S1C_S1E_T6_T7_T9_mT8_S1G_bDpT10_ENKUlT_T0_E_clISt17integral_constantIbLb0EES1U_EEDaS1P_S1Q_EUlS1P_E_NS1_11comp_targetILNS1_3genE10ELNS1_11target_archE1200ELNS1_3gpuE4ELNS1_3repE0EEENS1_30default_config_static_selectorELNS0_4arch9wavefront6targetE0EEEvS12_, .Lfunc_end1051-_ZN7rocprim17ROCPRIM_400000_NS6detail17trampoline_kernelINS0_13select_configILj256ELj13ELNS0_17block_load_methodE3ELS4_3ELS4_3ELNS0_20block_scan_algorithmE0ELj4294967295EEENS1_25partition_config_selectorILNS1_17partition_subalgoE4EjNS0_10empty_typeEbEEZZNS1_14partition_implILS8_4ELb0ES6_15HIP_vector_typeIjLj2EENS0_17counting_iteratorIjlEEPS9_SG_NS0_5tupleIJPjSI_NS0_16reverse_iteratorISI_EEEEENSH_IJSG_SG_SG_EEES9_SI_JZNS1_25segmented_radix_sort_implINS0_14default_configELb1EPKdPdPKlPlN2at6native12_GLOBAL__N_18offset_tEEE10hipError_tPvRmT1_PNSt15iterator_traitsIS12_E10value_typeET2_T3_PNS13_IS18_E10value_typeET4_jRbjT5_S1E_jjP12ihipStream_tbEUljE_ZNSN_ISO_Lb1ESQ_SR_ST_SU_SY_EESZ_S10_S11_S12_S16_S17_S18_S1B_S1C_jS1D_jS1E_S1E_jjS1G_bEUljE0_EEESZ_S10_S11_S18_S1C_S1E_T6_T7_T9_mT8_S1G_bDpT10_ENKUlT_T0_E_clISt17integral_constantIbLb0EES1U_EEDaS1P_S1Q_EUlS1P_E_NS1_11comp_targetILNS1_3genE10ELNS1_11target_archE1200ELNS1_3gpuE4ELNS1_3repE0EEENS1_30default_config_static_selectorELNS0_4arch9wavefront6targetE0EEEvS12_
                                        ; -- End function
	.set _ZN7rocprim17ROCPRIM_400000_NS6detail17trampoline_kernelINS0_13select_configILj256ELj13ELNS0_17block_load_methodE3ELS4_3ELS4_3ELNS0_20block_scan_algorithmE0ELj4294967295EEENS1_25partition_config_selectorILNS1_17partition_subalgoE4EjNS0_10empty_typeEbEEZZNS1_14partition_implILS8_4ELb0ES6_15HIP_vector_typeIjLj2EENS0_17counting_iteratorIjlEEPS9_SG_NS0_5tupleIJPjSI_NS0_16reverse_iteratorISI_EEEEENSH_IJSG_SG_SG_EEES9_SI_JZNS1_25segmented_radix_sort_implINS0_14default_configELb1EPKdPdPKlPlN2at6native12_GLOBAL__N_18offset_tEEE10hipError_tPvRmT1_PNSt15iterator_traitsIS12_E10value_typeET2_T3_PNS13_IS18_E10value_typeET4_jRbjT5_S1E_jjP12ihipStream_tbEUljE_ZNSN_ISO_Lb1ESQ_SR_ST_SU_SY_EESZ_S10_S11_S12_S16_S17_S18_S1B_S1C_jS1D_jS1E_S1E_jjS1G_bEUljE0_EEESZ_S10_S11_S18_S1C_S1E_T6_T7_T9_mT8_S1G_bDpT10_ENKUlT_T0_E_clISt17integral_constantIbLb0EES1U_EEDaS1P_S1Q_EUlS1P_E_NS1_11comp_targetILNS1_3genE10ELNS1_11target_archE1200ELNS1_3gpuE4ELNS1_3repE0EEENS1_30default_config_static_selectorELNS0_4arch9wavefront6targetE0EEEvS12_.num_vgpr, 0
	.set _ZN7rocprim17ROCPRIM_400000_NS6detail17trampoline_kernelINS0_13select_configILj256ELj13ELNS0_17block_load_methodE3ELS4_3ELS4_3ELNS0_20block_scan_algorithmE0ELj4294967295EEENS1_25partition_config_selectorILNS1_17partition_subalgoE4EjNS0_10empty_typeEbEEZZNS1_14partition_implILS8_4ELb0ES6_15HIP_vector_typeIjLj2EENS0_17counting_iteratorIjlEEPS9_SG_NS0_5tupleIJPjSI_NS0_16reverse_iteratorISI_EEEEENSH_IJSG_SG_SG_EEES9_SI_JZNS1_25segmented_radix_sort_implINS0_14default_configELb1EPKdPdPKlPlN2at6native12_GLOBAL__N_18offset_tEEE10hipError_tPvRmT1_PNSt15iterator_traitsIS12_E10value_typeET2_T3_PNS13_IS18_E10value_typeET4_jRbjT5_S1E_jjP12ihipStream_tbEUljE_ZNSN_ISO_Lb1ESQ_SR_ST_SU_SY_EESZ_S10_S11_S12_S16_S17_S18_S1B_S1C_jS1D_jS1E_S1E_jjS1G_bEUljE0_EEESZ_S10_S11_S18_S1C_S1E_T6_T7_T9_mT8_S1G_bDpT10_ENKUlT_T0_E_clISt17integral_constantIbLb0EES1U_EEDaS1P_S1Q_EUlS1P_E_NS1_11comp_targetILNS1_3genE10ELNS1_11target_archE1200ELNS1_3gpuE4ELNS1_3repE0EEENS1_30default_config_static_selectorELNS0_4arch9wavefront6targetE0EEEvS12_.num_agpr, 0
	.set _ZN7rocprim17ROCPRIM_400000_NS6detail17trampoline_kernelINS0_13select_configILj256ELj13ELNS0_17block_load_methodE3ELS4_3ELS4_3ELNS0_20block_scan_algorithmE0ELj4294967295EEENS1_25partition_config_selectorILNS1_17partition_subalgoE4EjNS0_10empty_typeEbEEZZNS1_14partition_implILS8_4ELb0ES6_15HIP_vector_typeIjLj2EENS0_17counting_iteratorIjlEEPS9_SG_NS0_5tupleIJPjSI_NS0_16reverse_iteratorISI_EEEEENSH_IJSG_SG_SG_EEES9_SI_JZNS1_25segmented_radix_sort_implINS0_14default_configELb1EPKdPdPKlPlN2at6native12_GLOBAL__N_18offset_tEEE10hipError_tPvRmT1_PNSt15iterator_traitsIS12_E10value_typeET2_T3_PNS13_IS18_E10value_typeET4_jRbjT5_S1E_jjP12ihipStream_tbEUljE_ZNSN_ISO_Lb1ESQ_SR_ST_SU_SY_EESZ_S10_S11_S12_S16_S17_S18_S1B_S1C_jS1D_jS1E_S1E_jjS1G_bEUljE0_EEESZ_S10_S11_S18_S1C_S1E_T6_T7_T9_mT8_S1G_bDpT10_ENKUlT_T0_E_clISt17integral_constantIbLb0EES1U_EEDaS1P_S1Q_EUlS1P_E_NS1_11comp_targetILNS1_3genE10ELNS1_11target_archE1200ELNS1_3gpuE4ELNS1_3repE0EEENS1_30default_config_static_selectorELNS0_4arch9wavefront6targetE0EEEvS12_.numbered_sgpr, 0
	.set _ZN7rocprim17ROCPRIM_400000_NS6detail17trampoline_kernelINS0_13select_configILj256ELj13ELNS0_17block_load_methodE3ELS4_3ELS4_3ELNS0_20block_scan_algorithmE0ELj4294967295EEENS1_25partition_config_selectorILNS1_17partition_subalgoE4EjNS0_10empty_typeEbEEZZNS1_14partition_implILS8_4ELb0ES6_15HIP_vector_typeIjLj2EENS0_17counting_iteratorIjlEEPS9_SG_NS0_5tupleIJPjSI_NS0_16reverse_iteratorISI_EEEEENSH_IJSG_SG_SG_EEES9_SI_JZNS1_25segmented_radix_sort_implINS0_14default_configELb1EPKdPdPKlPlN2at6native12_GLOBAL__N_18offset_tEEE10hipError_tPvRmT1_PNSt15iterator_traitsIS12_E10value_typeET2_T3_PNS13_IS18_E10value_typeET4_jRbjT5_S1E_jjP12ihipStream_tbEUljE_ZNSN_ISO_Lb1ESQ_SR_ST_SU_SY_EESZ_S10_S11_S12_S16_S17_S18_S1B_S1C_jS1D_jS1E_S1E_jjS1G_bEUljE0_EEESZ_S10_S11_S18_S1C_S1E_T6_T7_T9_mT8_S1G_bDpT10_ENKUlT_T0_E_clISt17integral_constantIbLb0EES1U_EEDaS1P_S1Q_EUlS1P_E_NS1_11comp_targetILNS1_3genE10ELNS1_11target_archE1200ELNS1_3gpuE4ELNS1_3repE0EEENS1_30default_config_static_selectorELNS0_4arch9wavefront6targetE0EEEvS12_.num_named_barrier, 0
	.set _ZN7rocprim17ROCPRIM_400000_NS6detail17trampoline_kernelINS0_13select_configILj256ELj13ELNS0_17block_load_methodE3ELS4_3ELS4_3ELNS0_20block_scan_algorithmE0ELj4294967295EEENS1_25partition_config_selectorILNS1_17partition_subalgoE4EjNS0_10empty_typeEbEEZZNS1_14partition_implILS8_4ELb0ES6_15HIP_vector_typeIjLj2EENS0_17counting_iteratorIjlEEPS9_SG_NS0_5tupleIJPjSI_NS0_16reverse_iteratorISI_EEEEENSH_IJSG_SG_SG_EEES9_SI_JZNS1_25segmented_radix_sort_implINS0_14default_configELb1EPKdPdPKlPlN2at6native12_GLOBAL__N_18offset_tEEE10hipError_tPvRmT1_PNSt15iterator_traitsIS12_E10value_typeET2_T3_PNS13_IS18_E10value_typeET4_jRbjT5_S1E_jjP12ihipStream_tbEUljE_ZNSN_ISO_Lb1ESQ_SR_ST_SU_SY_EESZ_S10_S11_S12_S16_S17_S18_S1B_S1C_jS1D_jS1E_S1E_jjS1G_bEUljE0_EEESZ_S10_S11_S18_S1C_S1E_T6_T7_T9_mT8_S1G_bDpT10_ENKUlT_T0_E_clISt17integral_constantIbLb0EES1U_EEDaS1P_S1Q_EUlS1P_E_NS1_11comp_targetILNS1_3genE10ELNS1_11target_archE1200ELNS1_3gpuE4ELNS1_3repE0EEENS1_30default_config_static_selectorELNS0_4arch9wavefront6targetE0EEEvS12_.private_seg_size, 0
	.set _ZN7rocprim17ROCPRIM_400000_NS6detail17trampoline_kernelINS0_13select_configILj256ELj13ELNS0_17block_load_methodE3ELS4_3ELS4_3ELNS0_20block_scan_algorithmE0ELj4294967295EEENS1_25partition_config_selectorILNS1_17partition_subalgoE4EjNS0_10empty_typeEbEEZZNS1_14partition_implILS8_4ELb0ES6_15HIP_vector_typeIjLj2EENS0_17counting_iteratorIjlEEPS9_SG_NS0_5tupleIJPjSI_NS0_16reverse_iteratorISI_EEEEENSH_IJSG_SG_SG_EEES9_SI_JZNS1_25segmented_radix_sort_implINS0_14default_configELb1EPKdPdPKlPlN2at6native12_GLOBAL__N_18offset_tEEE10hipError_tPvRmT1_PNSt15iterator_traitsIS12_E10value_typeET2_T3_PNS13_IS18_E10value_typeET4_jRbjT5_S1E_jjP12ihipStream_tbEUljE_ZNSN_ISO_Lb1ESQ_SR_ST_SU_SY_EESZ_S10_S11_S12_S16_S17_S18_S1B_S1C_jS1D_jS1E_S1E_jjS1G_bEUljE0_EEESZ_S10_S11_S18_S1C_S1E_T6_T7_T9_mT8_S1G_bDpT10_ENKUlT_T0_E_clISt17integral_constantIbLb0EES1U_EEDaS1P_S1Q_EUlS1P_E_NS1_11comp_targetILNS1_3genE10ELNS1_11target_archE1200ELNS1_3gpuE4ELNS1_3repE0EEENS1_30default_config_static_selectorELNS0_4arch9wavefront6targetE0EEEvS12_.uses_vcc, 0
	.set _ZN7rocprim17ROCPRIM_400000_NS6detail17trampoline_kernelINS0_13select_configILj256ELj13ELNS0_17block_load_methodE3ELS4_3ELS4_3ELNS0_20block_scan_algorithmE0ELj4294967295EEENS1_25partition_config_selectorILNS1_17partition_subalgoE4EjNS0_10empty_typeEbEEZZNS1_14partition_implILS8_4ELb0ES6_15HIP_vector_typeIjLj2EENS0_17counting_iteratorIjlEEPS9_SG_NS0_5tupleIJPjSI_NS0_16reverse_iteratorISI_EEEEENSH_IJSG_SG_SG_EEES9_SI_JZNS1_25segmented_radix_sort_implINS0_14default_configELb1EPKdPdPKlPlN2at6native12_GLOBAL__N_18offset_tEEE10hipError_tPvRmT1_PNSt15iterator_traitsIS12_E10value_typeET2_T3_PNS13_IS18_E10value_typeET4_jRbjT5_S1E_jjP12ihipStream_tbEUljE_ZNSN_ISO_Lb1ESQ_SR_ST_SU_SY_EESZ_S10_S11_S12_S16_S17_S18_S1B_S1C_jS1D_jS1E_S1E_jjS1G_bEUljE0_EEESZ_S10_S11_S18_S1C_S1E_T6_T7_T9_mT8_S1G_bDpT10_ENKUlT_T0_E_clISt17integral_constantIbLb0EES1U_EEDaS1P_S1Q_EUlS1P_E_NS1_11comp_targetILNS1_3genE10ELNS1_11target_archE1200ELNS1_3gpuE4ELNS1_3repE0EEENS1_30default_config_static_selectorELNS0_4arch9wavefront6targetE0EEEvS12_.uses_flat_scratch, 0
	.set _ZN7rocprim17ROCPRIM_400000_NS6detail17trampoline_kernelINS0_13select_configILj256ELj13ELNS0_17block_load_methodE3ELS4_3ELS4_3ELNS0_20block_scan_algorithmE0ELj4294967295EEENS1_25partition_config_selectorILNS1_17partition_subalgoE4EjNS0_10empty_typeEbEEZZNS1_14partition_implILS8_4ELb0ES6_15HIP_vector_typeIjLj2EENS0_17counting_iteratorIjlEEPS9_SG_NS0_5tupleIJPjSI_NS0_16reverse_iteratorISI_EEEEENSH_IJSG_SG_SG_EEES9_SI_JZNS1_25segmented_radix_sort_implINS0_14default_configELb1EPKdPdPKlPlN2at6native12_GLOBAL__N_18offset_tEEE10hipError_tPvRmT1_PNSt15iterator_traitsIS12_E10value_typeET2_T3_PNS13_IS18_E10value_typeET4_jRbjT5_S1E_jjP12ihipStream_tbEUljE_ZNSN_ISO_Lb1ESQ_SR_ST_SU_SY_EESZ_S10_S11_S12_S16_S17_S18_S1B_S1C_jS1D_jS1E_S1E_jjS1G_bEUljE0_EEESZ_S10_S11_S18_S1C_S1E_T6_T7_T9_mT8_S1G_bDpT10_ENKUlT_T0_E_clISt17integral_constantIbLb0EES1U_EEDaS1P_S1Q_EUlS1P_E_NS1_11comp_targetILNS1_3genE10ELNS1_11target_archE1200ELNS1_3gpuE4ELNS1_3repE0EEENS1_30default_config_static_selectorELNS0_4arch9wavefront6targetE0EEEvS12_.has_dyn_sized_stack, 0
	.set _ZN7rocprim17ROCPRIM_400000_NS6detail17trampoline_kernelINS0_13select_configILj256ELj13ELNS0_17block_load_methodE3ELS4_3ELS4_3ELNS0_20block_scan_algorithmE0ELj4294967295EEENS1_25partition_config_selectorILNS1_17partition_subalgoE4EjNS0_10empty_typeEbEEZZNS1_14partition_implILS8_4ELb0ES6_15HIP_vector_typeIjLj2EENS0_17counting_iteratorIjlEEPS9_SG_NS0_5tupleIJPjSI_NS0_16reverse_iteratorISI_EEEEENSH_IJSG_SG_SG_EEES9_SI_JZNS1_25segmented_radix_sort_implINS0_14default_configELb1EPKdPdPKlPlN2at6native12_GLOBAL__N_18offset_tEEE10hipError_tPvRmT1_PNSt15iterator_traitsIS12_E10value_typeET2_T3_PNS13_IS18_E10value_typeET4_jRbjT5_S1E_jjP12ihipStream_tbEUljE_ZNSN_ISO_Lb1ESQ_SR_ST_SU_SY_EESZ_S10_S11_S12_S16_S17_S18_S1B_S1C_jS1D_jS1E_S1E_jjS1G_bEUljE0_EEESZ_S10_S11_S18_S1C_S1E_T6_T7_T9_mT8_S1G_bDpT10_ENKUlT_T0_E_clISt17integral_constantIbLb0EES1U_EEDaS1P_S1Q_EUlS1P_E_NS1_11comp_targetILNS1_3genE10ELNS1_11target_archE1200ELNS1_3gpuE4ELNS1_3repE0EEENS1_30default_config_static_selectorELNS0_4arch9wavefront6targetE0EEEvS12_.has_recursion, 0
	.set _ZN7rocprim17ROCPRIM_400000_NS6detail17trampoline_kernelINS0_13select_configILj256ELj13ELNS0_17block_load_methodE3ELS4_3ELS4_3ELNS0_20block_scan_algorithmE0ELj4294967295EEENS1_25partition_config_selectorILNS1_17partition_subalgoE4EjNS0_10empty_typeEbEEZZNS1_14partition_implILS8_4ELb0ES6_15HIP_vector_typeIjLj2EENS0_17counting_iteratorIjlEEPS9_SG_NS0_5tupleIJPjSI_NS0_16reverse_iteratorISI_EEEEENSH_IJSG_SG_SG_EEES9_SI_JZNS1_25segmented_radix_sort_implINS0_14default_configELb1EPKdPdPKlPlN2at6native12_GLOBAL__N_18offset_tEEE10hipError_tPvRmT1_PNSt15iterator_traitsIS12_E10value_typeET2_T3_PNS13_IS18_E10value_typeET4_jRbjT5_S1E_jjP12ihipStream_tbEUljE_ZNSN_ISO_Lb1ESQ_SR_ST_SU_SY_EESZ_S10_S11_S12_S16_S17_S18_S1B_S1C_jS1D_jS1E_S1E_jjS1G_bEUljE0_EEESZ_S10_S11_S18_S1C_S1E_T6_T7_T9_mT8_S1G_bDpT10_ENKUlT_T0_E_clISt17integral_constantIbLb0EES1U_EEDaS1P_S1Q_EUlS1P_E_NS1_11comp_targetILNS1_3genE10ELNS1_11target_archE1200ELNS1_3gpuE4ELNS1_3repE0EEENS1_30default_config_static_selectorELNS0_4arch9wavefront6targetE0EEEvS12_.has_indirect_call, 0
	.section	.AMDGPU.csdata,"",@progbits
; Kernel info:
; codeLenInByte = 0
; TotalNumSgprs: 0
; NumVgprs: 0
; ScratchSize: 0
; MemoryBound: 0
; FloatMode: 240
; IeeeMode: 1
; LDSByteSize: 0 bytes/workgroup (compile time only)
; SGPRBlocks: 0
; VGPRBlocks: 0
; NumSGPRsForWavesPerEU: 1
; NumVGPRsForWavesPerEU: 1
; Occupancy: 16
; WaveLimiterHint : 0
; COMPUTE_PGM_RSRC2:SCRATCH_EN: 0
; COMPUTE_PGM_RSRC2:USER_SGPR: 6
; COMPUTE_PGM_RSRC2:TRAP_HANDLER: 0
; COMPUTE_PGM_RSRC2:TGID_X_EN: 1
; COMPUTE_PGM_RSRC2:TGID_Y_EN: 0
; COMPUTE_PGM_RSRC2:TGID_Z_EN: 0
; COMPUTE_PGM_RSRC2:TIDIG_COMP_CNT: 0
	.section	.text._ZN7rocprim17ROCPRIM_400000_NS6detail17trampoline_kernelINS0_13select_configILj256ELj13ELNS0_17block_load_methodE3ELS4_3ELS4_3ELNS0_20block_scan_algorithmE0ELj4294967295EEENS1_25partition_config_selectorILNS1_17partition_subalgoE4EjNS0_10empty_typeEbEEZZNS1_14partition_implILS8_4ELb0ES6_15HIP_vector_typeIjLj2EENS0_17counting_iteratorIjlEEPS9_SG_NS0_5tupleIJPjSI_NS0_16reverse_iteratorISI_EEEEENSH_IJSG_SG_SG_EEES9_SI_JZNS1_25segmented_radix_sort_implINS0_14default_configELb1EPKdPdPKlPlN2at6native12_GLOBAL__N_18offset_tEEE10hipError_tPvRmT1_PNSt15iterator_traitsIS12_E10value_typeET2_T3_PNS13_IS18_E10value_typeET4_jRbjT5_S1E_jjP12ihipStream_tbEUljE_ZNSN_ISO_Lb1ESQ_SR_ST_SU_SY_EESZ_S10_S11_S12_S16_S17_S18_S1B_S1C_jS1D_jS1E_S1E_jjS1G_bEUljE0_EEESZ_S10_S11_S18_S1C_S1E_T6_T7_T9_mT8_S1G_bDpT10_ENKUlT_T0_E_clISt17integral_constantIbLb0EES1U_EEDaS1P_S1Q_EUlS1P_E_NS1_11comp_targetILNS1_3genE9ELNS1_11target_archE1100ELNS1_3gpuE3ELNS1_3repE0EEENS1_30default_config_static_selectorELNS0_4arch9wavefront6targetE0EEEvS12_,"axG",@progbits,_ZN7rocprim17ROCPRIM_400000_NS6detail17trampoline_kernelINS0_13select_configILj256ELj13ELNS0_17block_load_methodE3ELS4_3ELS4_3ELNS0_20block_scan_algorithmE0ELj4294967295EEENS1_25partition_config_selectorILNS1_17partition_subalgoE4EjNS0_10empty_typeEbEEZZNS1_14partition_implILS8_4ELb0ES6_15HIP_vector_typeIjLj2EENS0_17counting_iteratorIjlEEPS9_SG_NS0_5tupleIJPjSI_NS0_16reverse_iteratorISI_EEEEENSH_IJSG_SG_SG_EEES9_SI_JZNS1_25segmented_radix_sort_implINS0_14default_configELb1EPKdPdPKlPlN2at6native12_GLOBAL__N_18offset_tEEE10hipError_tPvRmT1_PNSt15iterator_traitsIS12_E10value_typeET2_T3_PNS13_IS18_E10value_typeET4_jRbjT5_S1E_jjP12ihipStream_tbEUljE_ZNSN_ISO_Lb1ESQ_SR_ST_SU_SY_EESZ_S10_S11_S12_S16_S17_S18_S1B_S1C_jS1D_jS1E_S1E_jjS1G_bEUljE0_EEESZ_S10_S11_S18_S1C_S1E_T6_T7_T9_mT8_S1G_bDpT10_ENKUlT_T0_E_clISt17integral_constantIbLb0EES1U_EEDaS1P_S1Q_EUlS1P_E_NS1_11comp_targetILNS1_3genE9ELNS1_11target_archE1100ELNS1_3gpuE3ELNS1_3repE0EEENS1_30default_config_static_selectorELNS0_4arch9wavefront6targetE0EEEvS12_,comdat
	.globl	_ZN7rocprim17ROCPRIM_400000_NS6detail17trampoline_kernelINS0_13select_configILj256ELj13ELNS0_17block_load_methodE3ELS4_3ELS4_3ELNS0_20block_scan_algorithmE0ELj4294967295EEENS1_25partition_config_selectorILNS1_17partition_subalgoE4EjNS0_10empty_typeEbEEZZNS1_14partition_implILS8_4ELb0ES6_15HIP_vector_typeIjLj2EENS0_17counting_iteratorIjlEEPS9_SG_NS0_5tupleIJPjSI_NS0_16reverse_iteratorISI_EEEEENSH_IJSG_SG_SG_EEES9_SI_JZNS1_25segmented_radix_sort_implINS0_14default_configELb1EPKdPdPKlPlN2at6native12_GLOBAL__N_18offset_tEEE10hipError_tPvRmT1_PNSt15iterator_traitsIS12_E10value_typeET2_T3_PNS13_IS18_E10value_typeET4_jRbjT5_S1E_jjP12ihipStream_tbEUljE_ZNSN_ISO_Lb1ESQ_SR_ST_SU_SY_EESZ_S10_S11_S12_S16_S17_S18_S1B_S1C_jS1D_jS1E_S1E_jjS1G_bEUljE0_EEESZ_S10_S11_S18_S1C_S1E_T6_T7_T9_mT8_S1G_bDpT10_ENKUlT_T0_E_clISt17integral_constantIbLb0EES1U_EEDaS1P_S1Q_EUlS1P_E_NS1_11comp_targetILNS1_3genE9ELNS1_11target_archE1100ELNS1_3gpuE3ELNS1_3repE0EEENS1_30default_config_static_selectorELNS0_4arch9wavefront6targetE0EEEvS12_ ; -- Begin function _ZN7rocprim17ROCPRIM_400000_NS6detail17trampoline_kernelINS0_13select_configILj256ELj13ELNS0_17block_load_methodE3ELS4_3ELS4_3ELNS0_20block_scan_algorithmE0ELj4294967295EEENS1_25partition_config_selectorILNS1_17partition_subalgoE4EjNS0_10empty_typeEbEEZZNS1_14partition_implILS8_4ELb0ES6_15HIP_vector_typeIjLj2EENS0_17counting_iteratorIjlEEPS9_SG_NS0_5tupleIJPjSI_NS0_16reverse_iteratorISI_EEEEENSH_IJSG_SG_SG_EEES9_SI_JZNS1_25segmented_radix_sort_implINS0_14default_configELb1EPKdPdPKlPlN2at6native12_GLOBAL__N_18offset_tEEE10hipError_tPvRmT1_PNSt15iterator_traitsIS12_E10value_typeET2_T3_PNS13_IS18_E10value_typeET4_jRbjT5_S1E_jjP12ihipStream_tbEUljE_ZNSN_ISO_Lb1ESQ_SR_ST_SU_SY_EESZ_S10_S11_S12_S16_S17_S18_S1B_S1C_jS1D_jS1E_S1E_jjS1G_bEUljE0_EEESZ_S10_S11_S18_S1C_S1E_T6_T7_T9_mT8_S1G_bDpT10_ENKUlT_T0_E_clISt17integral_constantIbLb0EES1U_EEDaS1P_S1Q_EUlS1P_E_NS1_11comp_targetILNS1_3genE9ELNS1_11target_archE1100ELNS1_3gpuE3ELNS1_3repE0EEENS1_30default_config_static_selectorELNS0_4arch9wavefront6targetE0EEEvS12_
	.p2align	8
	.type	_ZN7rocprim17ROCPRIM_400000_NS6detail17trampoline_kernelINS0_13select_configILj256ELj13ELNS0_17block_load_methodE3ELS4_3ELS4_3ELNS0_20block_scan_algorithmE0ELj4294967295EEENS1_25partition_config_selectorILNS1_17partition_subalgoE4EjNS0_10empty_typeEbEEZZNS1_14partition_implILS8_4ELb0ES6_15HIP_vector_typeIjLj2EENS0_17counting_iteratorIjlEEPS9_SG_NS0_5tupleIJPjSI_NS0_16reverse_iteratorISI_EEEEENSH_IJSG_SG_SG_EEES9_SI_JZNS1_25segmented_radix_sort_implINS0_14default_configELb1EPKdPdPKlPlN2at6native12_GLOBAL__N_18offset_tEEE10hipError_tPvRmT1_PNSt15iterator_traitsIS12_E10value_typeET2_T3_PNS13_IS18_E10value_typeET4_jRbjT5_S1E_jjP12ihipStream_tbEUljE_ZNSN_ISO_Lb1ESQ_SR_ST_SU_SY_EESZ_S10_S11_S12_S16_S17_S18_S1B_S1C_jS1D_jS1E_S1E_jjS1G_bEUljE0_EEESZ_S10_S11_S18_S1C_S1E_T6_T7_T9_mT8_S1G_bDpT10_ENKUlT_T0_E_clISt17integral_constantIbLb0EES1U_EEDaS1P_S1Q_EUlS1P_E_NS1_11comp_targetILNS1_3genE9ELNS1_11target_archE1100ELNS1_3gpuE3ELNS1_3repE0EEENS1_30default_config_static_selectorELNS0_4arch9wavefront6targetE0EEEvS12_,@function
_ZN7rocprim17ROCPRIM_400000_NS6detail17trampoline_kernelINS0_13select_configILj256ELj13ELNS0_17block_load_methodE3ELS4_3ELS4_3ELNS0_20block_scan_algorithmE0ELj4294967295EEENS1_25partition_config_selectorILNS1_17partition_subalgoE4EjNS0_10empty_typeEbEEZZNS1_14partition_implILS8_4ELb0ES6_15HIP_vector_typeIjLj2EENS0_17counting_iteratorIjlEEPS9_SG_NS0_5tupleIJPjSI_NS0_16reverse_iteratorISI_EEEEENSH_IJSG_SG_SG_EEES9_SI_JZNS1_25segmented_radix_sort_implINS0_14default_configELb1EPKdPdPKlPlN2at6native12_GLOBAL__N_18offset_tEEE10hipError_tPvRmT1_PNSt15iterator_traitsIS12_E10value_typeET2_T3_PNS13_IS18_E10value_typeET4_jRbjT5_S1E_jjP12ihipStream_tbEUljE_ZNSN_ISO_Lb1ESQ_SR_ST_SU_SY_EESZ_S10_S11_S12_S16_S17_S18_S1B_S1C_jS1D_jS1E_S1E_jjS1G_bEUljE0_EEESZ_S10_S11_S18_S1C_S1E_T6_T7_T9_mT8_S1G_bDpT10_ENKUlT_T0_E_clISt17integral_constantIbLb0EES1U_EEDaS1P_S1Q_EUlS1P_E_NS1_11comp_targetILNS1_3genE9ELNS1_11target_archE1100ELNS1_3gpuE3ELNS1_3repE0EEENS1_30default_config_static_selectorELNS0_4arch9wavefront6targetE0EEEvS12_: ; @_ZN7rocprim17ROCPRIM_400000_NS6detail17trampoline_kernelINS0_13select_configILj256ELj13ELNS0_17block_load_methodE3ELS4_3ELS4_3ELNS0_20block_scan_algorithmE0ELj4294967295EEENS1_25partition_config_selectorILNS1_17partition_subalgoE4EjNS0_10empty_typeEbEEZZNS1_14partition_implILS8_4ELb0ES6_15HIP_vector_typeIjLj2EENS0_17counting_iteratorIjlEEPS9_SG_NS0_5tupleIJPjSI_NS0_16reverse_iteratorISI_EEEEENSH_IJSG_SG_SG_EEES9_SI_JZNS1_25segmented_radix_sort_implINS0_14default_configELb1EPKdPdPKlPlN2at6native12_GLOBAL__N_18offset_tEEE10hipError_tPvRmT1_PNSt15iterator_traitsIS12_E10value_typeET2_T3_PNS13_IS18_E10value_typeET4_jRbjT5_S1E_jjP12ihipStream_tbEUljE_ZNSN_ISO_Lb1ESQ_SR_ST_SU_SY_EESZ_S10_S11_S12_S16_S17_S18_S1B_S1C_jS1D_jS1E_S1E_jjS1G_bEUljE0_EEESZ_S10_S11_S18_S1C_S1E_T6_T7_T9_mT8_S1G_bDpT10_ENKUlT_T0_E_clISt17integral_constantIbLb0EES1U_EEDaS1P_S1Q_EUlS1P_E_NS1_11comp_targetILNS1_3genE9ELNS1_11target_archE1100ELNS1_3gpuE3ELNS1_3repE0EEENS1_30default_config_static_selectorELNS0_4arch9wavefront6targetE0EEEvS12_
; %bb.0:
	.section	.rodata,"a",@progbits
	.p2align	6, 0x0
	.amdhsa_kernel _ZN7rocprim17ROCPRIM_400000_NS6detail17trampoline_kernelINS0_13select_configILj256ELj13ELNS0_17block_load_methodE3ELS4_3ELS4_3ELNS0_20block_scan_algorithmE0ELj4294967295EEENS1_25partition_config_selectorILNS1_17partition_subalgoE4EjNS0_10empty_typeEbEEZZNS1_14partition_implILS8_4ELb0ES6_15HIP_vector_typeIjLj2EENS0_17counting_iteratorIjlEEPS9_SG_NS0_5tupleIJPjSI_NS0_16reverse_iteratorISI_EEEEENSH_IJSG_SG_SG_EEES9_SI_JZNS1_25segmented_radix_sort_implINS0_14default_configELb1EPKdPdPKlPlN2at6native12_GLOBAL__N_18offset_tEEE10hipError_tPvRmT1_PNSt15iterator_traitsIS12_E10value_typeET2_T3_PNS13_IS18_E10value_typeET4_jRbjT5_S1E_jjP12ihipStream_tbEUljE_ZNSN_ISO_Lb1ESQ_SR_ST_SU_SY_EESZ_S10_S11_S12_S16_S17_S18_S1B_S1C_jS1D_jS1E_S1E_jjS1G_bEUljE0_EEESZ_S10_S11_S18_S1C_S1E_T6_T7_T9_mT8_S1G_bDpT10_ENKUlT_T0_E_clISt17integral_constantIbLb0EES1U_EEDaS1P_S1Q_EUlS1P_E_NS1_11comp_targetILNS1_3genE9ELNS1_11target_archE1100ELNS1_3gpuE3ELNS1_3repE0EEENS1_30default_config_static_selectorELNS0_4arch9wavefront6targetE0EEEvS12_
		.amdhsa_group_segment_fixed_size 0
		.amdhsa_private_segment_fixed_size 0
		.amdhsa_kernarg_size 176
		.amdhsa_user_sgpr_count 6
		.amdhsa_user_sgpr_private_segment_buffer 1
		.amdhsa_user_sgpr_dispatch_ptr 0
		.amdhsa_user_sgpr_queue_ptr 0
		.amdhsa_user_sgpr_kernarg_segment_ptr 1
		.amdhsa_user_sgpr_dispatch_id 0
		.amdhsa_user_sgpr_flat_scratch_init 0
		.amdhsa_user_sgpr_private_segment_size 0
		.amdhsa_wavefront_size32 1
		.amdhsa_uses_dynamic_stack 0
		.amdhsa_system_sgpr_private_segment_wavefront_offset 0
		.amdhsa_system_sgpr_workgroup_id_x 1
		.amdhsa_system_sgpr_workgroup_id_y 0
		.amdhsa_system_sgpr_workgroup_id_z 0
		.amdhsa_system_sgpr_workgroup_info 0
		.amdhsa_system_vgpr_workitem_id 0
		.amdhsa_next_free_vgpr 1
		.amdhsa_next_free_sgpr 1
		.amdhsa_reserve_vcc 0
		.amdhsa_reserve_flat_scratch 0
		.amdhsa_float_round_mode_32 0
		.amdhsa_float_round_mode_16_64 0
		.amdhsa_float_denorm_mode_32 3
		.amdhsa_float_denorm_mode_16_64 3
		.amdhsa_dx10_clamp 1
		.amdhsa_ieee_mode 1
		.amdhsa_fp16_overflow 0
		.amdhsa_workgroup_processor_mode 1
		.amdhsa_memory_ordered 1
		.amdhsa_forward_progress 1
		.amdhsa_shared_vgpr_count 0
		.amdhsa_exception_fp_ieee_invalid_op 0
		.amdhsa_exception_fp_denorm_src 0
		.amdhsa_exception_fp_ieee_div_zero 0
		.amdhsa_exception_fp_ieee_overflow 0
		.amdhsa_exception_fp_ieee_underflow 0
		.amdhsa_exception_fp_ieee_inexact 0
		.amdhsa_exception_int_div_zero 0
	.end_amdhsa_kernel
	.section	.text._ZN7rocprim17ROCPRIM_400000_NS6detail17trampoline_kernelINS0_13select_configILj256ELj13ELNS0_17block_load_methodE3ELS4_3ELS4_3ELNS0_20block_scan_algorithmE0ELj4294967295EEENS1_25partition_config_selectorILNS1_17partition_subalgoE4EjNS0_10empty_typeEbEEZZNS1_14partition_implILS8_4ELb0ES6_15HIP_vector_typeIjLj2EENS0_17counting_iteratorIjlEEPS9_SG_NS0_5tupleIJPjSI_NS0_16reverse_iteratorISI_EEEEENSH_IJSG_SG_SG_EEES9_SI_JZNS1_25segmented_radix_sort_implINS0_14default_configELb1EPKdPdPKlPlN2at6native12_GLOBAL__N_18offset_tEEE10hipError_tPvRmT1_PNSt15iterator_traitsIS12_E10value_typeET2_T3_PNS13_IS18_E10value_typeET4_jRbjT5_S1E_jjP12ihipStream_tbEUljE_ZNSN_ISO_Lb1ESQ_SR_ST_SU_SY_EESZ_S10_S11_S12_S16_S17_S18_S1B_S1C_jS1D_jS1E_S1E_jjS1G_bEUljE0_EEESZ_S10_S11_S18_S1C_S1E_T6_T7_T9_mT8_S1G_bDpT10_ENKUlT_T0_E_clISt17integral_constantIbLb0EES1U_EEDaS1P_S1Q_EUlS1P_E_NS1_11comp_targetILNS1_3genE9ELNS1_11target_archE1100ELNS1_3gpuE3ELNS1_3repE0EEENS1_30default_config_static_selectorELNS0_4arch9wavefront6targetE0EEEvS12_,"axG",@progbits,_ZN7rocprim17ROCPRIM_400000_NS6detail17trampoline_kernelINS0_13select_configILj256ELj13ELNS0_17block_load_methodE3ELS4_3ELS4_3ELNS0_20block_scan_algorithmE0ELj4294967295EEENS1_25partition_config_selectorILNS1_17partition_subalgoE4EjNS0_10empty_typeEbEEZZNS1_14partition_implILS8_4ELb0ES6_15HIP_vector_typeIjLj2EENS0_17counting_iteratorIjlEEPS9_SG_NS0_5tupleIJPjSI_NS0_16reverse_iteratorISI_EEEEENSH_IJSG_SG_SG_EEES9_SI_JZNS1_25segmented_radix_sort_implINS0_14default_configELb1EPKdPdPKlPlN2at6native12_GLOBAL__N_18offset_tEEE10hipError_tPvRmT1_PNSt15iterator_traitsIS12_E10value_typeET2_T3_PNS13_IS18_E10value_typeET4_jRbjT5_S1E_jjP12ihipStream_tbEUljE_ZNSN_ISO_Lb1ESQ_SR_ST_SU_SY_EESZ_S10_S11_S12_S16_S17_S18_S1B_S1C_jS1D_jS1E_S1E_jjS1G_bEUljE0_EEESZ_S10_S11_S18_S1C_S1E_T6_T7_T9_mT8_S1G_bDpT10_ENKUlT_T0_E_clISt17integral_constantIbLb0EES1U_EEDaS1P_S1Q_EUlS1P_E_NS1_11comp_targetILNS1_3genE9ELNS1_11target_archE1100ELNS1_3gpuE3ELNS1_3repE0EEENS1_30default_config_static_selectorELNS0_4arch9wavefront6targetE0EEEvS12_,comdat
.Lfunc_end1052:
	.size	_ZN7rocprim17ROCPRIM_400000_NS6detail17trampoline_kernelINS0_13select_configILj256ELj13ELNS0_17block_load_methodE3ELS4_3ELS4_3ELNS0_20block_scan_algorithmE0ELj4294967295EEENS1_25partition_config_selectorILNS1_17partition_subalgoE4EjNS0_10empty_typeEbEEZZNS1_14partition_implILS8_4ELb0ES6_15HIP_vector_typeIjLj2EENS0_17counting_iteratorIjlEEPS9_SG_NS0_5tupleIJPjSI_NS0_16reverse_iteratorISI_EEEEENSH_IJSG_SG_SG_EEES9_SI_JZNS1_25segmented_radix_sort_implINS0_14default_configELb1EPKdPdPKlPlN2at6native12_GLOBAL__N_18offset_tEEE10hipError_tPvRmT1_PNSt15iterator_traitsIS12_E10value_typeET2_T3_PNS13_IS18_E10value_typeET4_jRbjT5_S1E_jjP12ihipStream_tbEUljE_ZNSN_ISO_Lb1ESQ_SR_ST_SU_SY_EESZ_S10_S11_S12_S16_S17_S18_S1B_S1C_jS1D_jS1E_S1E_jjS1G_bEUljE0_EEESZ_S10_S11_S18_S1C_S1E_T6_T7_T9_mT8_S1G_bDpT10_ENKUlT_T0_E_clISt17integral_constantIbLb0EES1U_EEDaS1P_S1Q_EUlS1P_E_NS1_11comp_targetILNS1_3genE9ELNS1_11target_archE1100ELNS1_3gpuE3ELNS1_3repE0EEENS1_30default_config_static_selectorELNS0_4arch9wavefront6targetE0EEEvS12_, .Lfunc_end1052-_ZN7rocprim17ROCPRIM_400000_NS6detail17trampoline_kernelINS0_13select_configILj256ELj13ELNS0_17block_load_methodE3ELS4_3ELS4_3ELNS0_20block_scan_algorithmE0ELj4294967295EEENS1_25partition_config_selectorILNS1_17partition_subalgoE4EjNS0_10empty_typeEbEEZZNS1_14partition_implILS8_4ELb0ES6_15HIP_vector_typeIjLj2EENS0_17counting_iteratorIjlEEPS9_SG_NS0_5tupleIJPjSI_NS0_16reverse_iteratorISI_EEEEENSH_IJSG_SG_SG_EEES9_SI_JZNS1_25segmented_radix_sort_implINS0_14default_configELb1EPKdPdPKlPlN2at6native12_GLOBAL__N_18offset_tEEE10hipError_tPvRmT1_PNSt15iterator_traitsIS12_E10value_typeET2_T3_PNS13_IS18_E10value_typeET4_jRbjT5_S1E_jjP12ihipStream_tbEUljE_ZNSN_ISO_Lb1ESQ_SR_ST_SU_SY_EESZ_S10_S11_S12_S16_S17_S18_S1B_S1C_jS1D_jS1E_S1E_jjS1G_bEUljE0_EEESZ_S10_S11_S18_S1C_S1E_T6_T7_T9_mT8_S1G_bDpT10_ENKUlT_T0_E_clISt17integral_constantIbLb0EES1U_EEDaS1P_S1Q_EUlS1P_E_NS1_11comp_targetILNS1_3genE9ELNS1_11target_archE1100ELNS1_3gpuE3ELNS1_3repE0EEENS1_30default_config_static_selectorELNS0_4arch9wavefront6targetE0EEEvS12_
                                        ; -- End function
	.set _ZN7rocprim17ROCPRIM_400000_NS6detail17trampoline_kernelINS0_13select_configILj256ELj13ELNS0_17block_load_methodE3ELS4_3ELS4_3ELNS0_20block_scan_algorithmE0ELj4294967295EEENS1_25partition_config_selectorILNS1_17partition_subalgoE4EjNS0_10empty_typeEbEEZZNS1_14partition_implILS8_4ELb0ES6_15HIP_vector_typeIjLj2EENS0_17counting_iteratorIjlEEPS9_SG_NS0_5tupleIJPjSI_NS0_16reverse_iteratorISI_EEEEENSH_IJSG_SG_SG_EEES9_SI_JZNS1_25segmented_radix_sort_implINS0_14default_configELb1EPKdPdPKlPlN2at6native12_GLOBAL__N_18offset_tEEE10hipError_tPvRmT1_PNSt15iterator_traitsIS12_E10value_typeET2_T3_PNS13_IS18_E10value_typeET4_jRbjT5_S1E_jjP12ihipStream_tbEUljE_ZNSN_ISO_Lb1ESQ_SR_ST_SU_SY_EESZ_S10_S11_S12_S16_S17_S18_S1B_S1C_jS1D_jS1E_S1E_jjS1G_bEUljE0_EEESZ_S10_S11_S18_S1C_S1E_T6_T7_T9_mT8_S1G_bDpT10_ENKUlT_T0_E_clISt17integral_constantIbLb0EES1U_EEDaS1P_S1Q_EUlS1P_E_NS1_11comp_targetILNS1_3genE9ELNS1_11target_archE1100ELNS1_3gpuE3ELNS1_3repE0EEENS1_30default_config_static_selectorELNS0_4arch9wavefront6targetE0EEEvS12_.num_vgpr, 0
	.set _ZN7rocprim17ROCPRIM_400000_NS6detail17trampoline_kernelINS0_13select_configILj256ELj13ELNS0_17block_load_methodE3ELS4_3ELS4_3ELNS0_20block_scan_algorithmE0ELj4294967295EEENS1_25partition_config_selectorILNS1_17partition_subalgoE4EjNS0_10empty_typeEbEEZZNS1_14partition_implILS8_4ELb0ES6_15HIP_vector_typeIjLj2EENS0_17counting_iteratorIjlEEPS9_SG_NS0_5tupleIJPjSI_NS0_16reverse_iteratorISI_EEEEENSH_IJSG_SG_SG_EEES9_SI_JZNS1_25segmented_radix_sort_implINS0_14default_configELb1EPKdPdPKlPlN2at6native12_GLOBAL__N_18offset_tEEE10hipError_tPvRmT1_PNSt15iterator_traitsIS12_E10value_typeET2_T3_PNS13_IS18_E10value_typeET4_jRbjT5_S1E_jjP12ihipStream_tbEUljE_ZNSN_ISO_Lb1ESQ_SR_ST_SU_SY_EESZ_S10_S11_S12_S16_S17_S18_S1B_S1C_jS1D_jS1E_S1E_jjS1G_bEUljE0_EEESZ_S10_S11_S18_S1C_S1E_T6_T7_T9_mT8_S1G_bDpT10_ENKUlT_T0_E_clISt17integral_constantIbLb0EES1U_EEDaS1P_S1Q_EUlS1P_E_NS1_11comp_targetILNS1_3genE9ELNS1_11target_archE1100ELNS1_3gpuE3ELNS1_3repE0EEENS1_30default_config_static_selectorELNS0_4arch9wavefront6targetE0EEEvS12_.num_agpr, 0
	.set _ZN7rocprim17ROCPRIM_400000_NS6detail17trampoline_kernelINS0_13select_configILj256ELj13ELNS0_17block_load_methodE3ELS4_3ELS4_3ELNS0_20block_scan_algorithmE0ELj4294967295EEENS1_25partition_config_selectorILNS1_17partition_subalgoE4EjNS0_10empty_typeEbEEZZNS1_14partition_implILS8_4ELb0ES6_15HIP_vector_typeIjLj2EENS0_17counting_iteratorIjlEEPS9_SG_NS0_5tupleIJPjSI_NS0_16reverse_iteratorISI_EEEEENSH_IJSG_SG_SG_EEES9_SI_JZNS1_25segmented_radix_sort_implINS0_14default_configELb1EPKdPdPKlPlN2at6native12_GLOBAL__N_18offset_tEEE10hipError_tPvRmT1_PNSt15iterator_traitsIS12_E10value_typeET2_T3_PNS13_IS18_E10value_typeET4_jRbjT5_S1E_jjP12ihipStream_tbEUljE_ZNSN_ISO_Lb1ESQ_SR_ST_SU_SY_EESZ_S10_S11_S12_S16_S17_S18_S1B_S1C_jS1D_jS1E_S1E_jjS1G_bEUljE0_EEESZ_S10_S11_S18_S1C_S1E_T6_T7_T9_mT8_S1G_bDpT10_ENKUlT_T0_E_clISt17integral_constantIbLb0EES1U_EEDaS1P_S1Q_EUlS1P_E_NS1_11comp_targetILNS1_3genE9ELNS1_11target_archE1100ELNS1_3gpuE3ELNS1_3repE0EEENS1_30default_config_static_selectorELNS0_4arch9wavefront6targetE0EEEvS12_.numbered_sgpr, 0
	.set _ZN7rocprim17ROCPRIM_400000_NS6detail17trampoline_kernelINS0_13select_configILj256ELj13ELNS0_17block_load_methodE3ELS4_3ELS4_3ELNS0_20block_scan_algorithmE0ELj4294967295EEENS1_25partition_config_selectorILNS1_17partition_subalgoE4EjNS0_10empty_typeEbEEZZNS1_14partition_implILS8_4ELb0ES6_15HIP_vector_typeIjLj2EENS0_17counting_iteratorIjlEEPS9_SG_NS0_5tupleIJPjSI_NS0_16reverse_iteratorISI_EEEEENSH_IJSG_SG_SG_EEES9_SI_JZNS1_25segmented_radix_sort_implINS0_14default_configELb1EPKdPdPKlPlN2at6native12_GLOBAL__N_18offset_tEEE10hipError_tPvRmT1_PNSt15iterator_traitsIS12_E10value_typeET2_T3_PNS13_IS18_E10value_typeET4_jRbjT5_S1E_jjP12ihipStream_tbEUljE_ZNSN_ISO_Lb1ESQ_SR_ST_SU_SY_EESZ_S10_S11_S12_S16_S17_S18_S1B_S1C_jS1D_jS1E_S1E_jjS1G_bEUljE0_EEESZ_S10_S11_S18_S1C_S1E_T6_T7_T9_mT8_S1G_bDpT10_ENKUlT_T0_E_clISt17integral_constantIbLb0EES1U_EEDaS1P_S1Q_EUlS1P_E_NS1_11comp_targetILNS1_3genE9ELNS1_11target_archE1100ELNS1_3gpuE3ELNS1_3repE0EEENS1_30default_config_static_selectorELNS0_4arch9wavefront6targetE0EEEvS12_.num_named_barrier, 0
	.set _ZN7rocprim17ROCPRIM_400000_NS6detail17trampoline_kernelINS0_13select_configILj256ELj13ELNS0_17block_load_methodE3ELS4_3ELS4_3ELNS0_20block_scan_algorithmE0ELj4294967295EEENS1_25partition_config_selectorILNS1_17partition_subalgoE4EjNS0_10empty_typeEbEEZZNS1_14partition_implILS8_4ELb0ES6_15HIP_vector_typeIjLj2EENS0_17counting_iteratorIjlEEPS9_SG_NS0_5tupleIJPjSI_NS0_16reverse_iteratorISI_EEEEENSH_IJSG_SG_SG_EEES9_SI_JZNS1_25segmented_radix_sort_implINS0_14default_configELb1EPKdPdPKlPlN2at6native12_GLOBAL__N_18offset_tEEE10hipError_tPvRmT1_PNSt15iterator_traitsIS12_E10value_typeET2_T3_PNS13_IS18_E10value_typeET4_jRbjT5_S1E_jjP12ihipStream_tbEUljE_ZNSN_ISO_Lb1ESQ_SR_ST_SU_SY_EESZ_S10_S11_S12_S16_S17_S18_S1B_S1C_jS1D_jS1E_S1E_jjS1G_bEUljE0_EEESZ_S10_S11_S18_S1C_S1E_T6_T7_T9_mT8_S1G_bDpT10_ENKUlT_T0_E_clISt17integral_constantIbLb0EES1U_EEDaS1P_S1Q_EUlS1P_E_NS1_11comp_targetILNS1_3genE9ELNS1_11target_archE1100ELNS1_3gpuE3ELNS1_3repE0EEENS1_30default_config_static_selectorELNS0_4arch9wavefront6targetE0EEEvS12_.private_seg_size, 0
	.set _ZN7rocprim17ROCPRIM_400000_NS6detail17trampoline_kernelINS0_13select_configILj256ELj13ELNS0_17block_load_methodE3ELS4_3ELS4_3ELNS0_20block_scan_algorithmE0ELj4294967295EEENS1_25partition_config_selectorILNS1_17partition_subalgoE4EjNS0_10empty_typeEbEEZZNS1_14partition_implILS8_4ELb0ES6_15HIP_vector_typeIjLj2EENS0_17counting_iteratorIjlEEPS9_SG_NS0_5tupleIJPjSI_NS0_16reverse_iteratorISI_EEEEENSH_IJSG_SG_SG_EEES9_SI_JZNS1_25segmented_radix_sort_implINS0_14default_configELb1EPKdPdPKlPlN2at6native12_GLOBAL__N_18offset_tEEE10hipError_tPvRmT1_PNSt15iterator_traitsIS12_E10value_typeET2_T3_PNS13_IS18_E10value_typeET4_jRbjT5_S1E_jjP12ihipStream_tbEUljE_ZNSN_ISO_Lb1ESQ_SR_ST_SU_SY_EESZ_S10_S11_S12_S16_S17_S18_S1B_S1C_jS1D_jS1E_S1E_jjS1G_bEUljE0_EEESZ_S10_S11_S18_S1C_S1E_T6_T7_T9_mT8_S1G_bDpT10_ENKUlT_T0_E_clISt17integral_constantIbLb0EES1U_EEDaS1P_S1Q_EUlS1P_E_NS1_11comp_targetILNS1_3genE9ELNS1_11target_archE1100ELNS1_3gpuE3ELNS1_3repE0EEENS1_30default_config_static_selectorELNS0_4arch9wavefront6targetE0EEEvS12_.uses_vcc, 0
	.set _ZN7rocprim17ROCPRIM_400000_NS6detail17trampoline_kernelINS0_13select_configILj256ELj13ELNS0_17block_load_methodE3ELS4_3ELS4_3ELNS0_20block_scan_algorithmE0ELj4294967295EEENS1_25partition_config_selectorILNS1_17partition_subalgoE4EjNS0_10empty_typeEbEEZZNS1_14partition_implILS8_4ELb0ES6_15HIP_vector_typeIjLj2EENS0_17counting_iteratorIjlEEPS9_SG_NS0_5tupleIJPjSI_NS0_16reverse_iteratorISI_EEEEENSH_IJSG_SG_SG_EEES9_SI_JZNS1_25segmented_radix_sort_implINS0_14default_configELb1EPKdPdPKlPlN2at6native12_GLOBAL__N_18offset_tEEE10hipError_tPvRmT1_PNSt15iterator_traitsIS12_E10value_typeET2_T3_PNS13_IS18_E10value_typeET4_jRbjT5_S1E_jjP12ihipStream_tbEUljE_ZNSN_ISO_Lb1ESQ_SR_ST_SU_SY_EESZ_S10_S11_S12_S16_S17_S18_S1B_S1C_jS1D_jS1E_S1E_jjS1G_bEUljE0_EEESZ_S10_S11_S18_S1C_S1E_T6_T7_T9_mT8_S1G_bDpT10_ENKUlT_T0_E_clISt17integral_constantIbLb0EES1U_EEDaS1P_S1Q_EUlS1P_E_NS1_11comp_targetILNS1_3genE9ELNS1_11target_archE1100ELNS1_3gpuE3ELNS1_3repE0EEENS1_30default_config_static_selectorELNS0_4arch9wavefront6targetE0EEEvS12_.uses_flat_scratch, 0
	.set _ZN7rocprim17ROCPRIM_400000_NS6detail17trampoline_kernelINS0_13select_configILj256ELj13ELNS0_17block_load_methodE3ELS4_3ELS4_3ELNS0_20block_scan_algorithmE0ELj4294967295EEENS1_25partition_config_selectorILNS1_17partition_subalgoE4EjNS0_10empty_typeEbEEZZNS1_14partition_implILS8_4ELb0ES6_15HIP_vector_typeIjLj2EENS0_17counting_iteratorIjlEEPS9_SG_NS0_5tupleIJPjSI_NS0_16reverse_iteratorISI_EEEEENSH_IJSG_SG_SG_EEES9_SI_JZNS1_25segmented_radix_sort_implINS0_14default_configELb1EPKdPdPKlPlN2at6native12_GLOBAL__N_18offset_tEEE10hipError_tPvRmT1_PNSt15iterator_traitsIS12_E10value_typeET2_T3_PNS13_IS18_E10value_typeET4_jRbjT5_S1E_jjP12ihipStream_tbEUljE_ZNSN_ISO_Lb1ESQ_SR_ST_SU_SY_EESZ_S10_S11_S12_S16_S17_S18_S1B_S1C_jS1D_jS1E_S1E_jjS1G_bEUljE0_EEESZ_S10_S11_S18_S1C_S1E_T6_T7_T9_mT8_S1G_bDpT10_ENKUlT_T0_E_clISt17integral_constantIbLb0EES1U_EEDaS1P_S1Q_EUlS1P_E_NS1_11comp_targetILNS1_3genE9ELNS1_11target_archE1100ELNS1_3gpuE3ELNS1_3repE0EEENS1_30default_config_static_selectorELNS0_4arch9wavefront6targetE0EEEvS12_.has_dyn_sized_stack, 0
	.set _ZN7rocprim17ROCPRIM_400000_NS6detail17trampoline_kernelINS0_13select_configILj256ELj13ELNS0_17block_load_methodE3ELS4_3ELS4_3ELNS0_20block_scan_algorithmE0ELj4294967295EEENS1_25partition_config_selectorILNS1_17partition_subalgoE4EjNS0_10empty_typeEbEEZZNS1_14partition_implILS8_4ELb0ES6_15HIP_vector_typeIjLj2EENS0_17counting_iteratorIjlEEPS9_SG_NS0_5tupleIJPjSI_NS0_16reverse_iteratorISI_EEEEENSH_IJSG_SG_SG_EEES9_SI_JZNS1_25segmented_radix_sort_implINS0_14default_configELb1EPKdPdPKlPlN2at6native12_GLOBAL__N_18offset_tEEE10hipError_tPvRmT1_PNSt15iterator_traitsIS12_E10value_typeET2_T3_PNS13_IS18_E10value_typeET4_jRbjT5_S1E_jjP12ihipStream_tbEUljE_ZNSN_ISO_Lb1ESQ_SR_ST_SU_SY_EESZ_S10_S11_S12_S16_S17_S18_S1B_S1C_jS1D_jS1E_S1E_jjS1G_bEUljE0_EEESZ_S10_S11_S18_S1C_S1E_T6_T7_T9_mT8_S1G_bDpT10_ENKUlT_T0_E_clISt17integral_constantIbLb0EES1U_EEDaS1P_S1Q_EUlS1P_E_NS1_11comp_targetILNS1_3genE9ELNS1_11target_archE1100ELNS1_3gpuE3ELNS1_3repE0EEENS1_30default_config_static_selectorELNS0_4arch9wavefront6targetE0EEEvS12_.has_recursion, 0
	.set _ZN7rocprim17ROCPRIM_400000_NS6detail17trampoline_kernelINS0_13select_configILj256ELj13ELNS0_17block_load_methodE3ELS4_3ELS4_3ELNS0_20block_scan_algorithmE0ELj4294967295EEENS1_25partition_config_selectorILNS1_17partition_subalgoE4EjNS0_10empty_typeEbEEZZNS1_14partition_implILS8_4ELb0ES6_15HIP_vector_typeIjLj2EENS0_17counting_iteratorIjlEEPS9_SG_NS0_5tupleIJPjSI_NS0_16reverse_iteratorISI_EEEEENSH_IJSG_SG_SG_EEES9_SI_JZNS1_25segmented_radix_sort_implINS0_14default_configELb1EPKdPdPKlPlN2at6native12_GLOBAL__N_18offset_tEEE10hipError_tPvRmT1_PNSt15iterator_traitsIS12_E10value_typeET2_T3_PNS13_IS18_E10value_typeET4_jRbjT5_S1E_jjP12ihipStream_tbEUljE_ZNSN_ISO_Lb1ESQ_SR_ST_SU_SY_EESZ_S10_S11_S12_S16_S17_S18_S1B_S1C_jS1D_jS1E_S1E_jjS1G_bEUljE0_EEESZ_S10_S11_S18_S1C_S1E_T6_T7_T9_mT8_S1G_bDpT10_ENKUlT_T0_E_clISt17integral_constantIbLb0EES1U_EEDaS1P_S1Q_EUlS1P_E_NS1_11comp_targetILNS1_3genE9ELNS1_11target_archE1100ELNS1_3gpuE3ELNS1_3repE0EEENS1_30default_config_static_selectorELNS0_4arch9wavefront6targetE0EEEvS12_.has_indirect_call, 0
	.section	.AMDGPU.csdata,"",@progbits
; Kernel info:
; codeLenInByte = 0
; TotalNumSgprs: 0
; NumVgprs: 0
; ScratchSize: 0
; MemoryBound: 0
; FloatMode: 240
; IeeeMode: 1
; LDSByteSize: 0 bytes/workgroup (compile time only)
; SGPRBlocks: 0
; VGPRBlocks: 0
; NumSGPRsForWavesPerEU: 1
; NumVGPRsForWavesPerEU: 1
; Occupancy: 16
; WaveLimiterHint : 0
; COMPUTE_PGM_RSRC2:SCRATCH_EN: 0
; COMPUTE_PGM_RSRC2:USER_SGPR: 6
; COMPUTE_PGM_RSRC2:TRAP_HANDLER: 0
; COMPUTE_PGM_RSRC2:TGID_X_EN: 1
; COMPUTE_PGM_RSRC2:TGID_Y_EN: 0
; COMPUTE_PGM_RSRC2:TGID_Z_EN: 0
; COMPUTE_PGM_RSRC2:TIDIG_COMP_CNT: 0
	.section	.text._ZN7rocprim17ROCPRIM_400000_NS6detail17trampoline_kernelINS0_13select_configILj256ELj13ELNS0_17block_load_methodE3ELS4_3ELS4_3ELNS0_20block_scan_algorithmE0ELj4294967295EEENS1_25partition_config_selectorILNS1_17partition_subalgoE4EjNS0_10empty_typeEbEEZZNS1_14partition_implILS8_4ELb0ES6_15HIP_vector_typeIjLj2EENS0_17counting_iteratorIjlEEPS9_SG_NS0_5tupleIJPjSI_NS0_16reverse_iteratorISI_EEEEENSH_IJSG_SG_SG_EEES9_SI_JZNS1_25segmented_radix_sort_implINS0_14default_configELb1EPKdPdPKlPlN2at6native12_GLOBAL__N_18offset_tEEE10hipError_tPvRmT1_PNSt15iterator_traitsIS12_E10value_typeET2_T3_PNS13_IS18_E10value_typeET4_jRbjT5_S1E_jjP12ihipStream_tbEUljE_ZNSN_ISO_Lb1ESQ_SR_ST_SU_SY_EESZ_S10_S11_S12_S16_S17_S18_S1B_S1C_jS1D_jS1E_S1E_jjS1G_bEUljE0_EEESZ_S10_S11_S18_S1C_S1E_T6_T7_T9_mT8_S1G_bDpT10_ENKUlT_T0_E_clISt17integral_constantIbLb0EES1U_EEDaS1P_S1Q_EUlS1P_E_NS1_11comp_targetILNS1_3genE8ELNS1_11target_archE1030ELNS1_3gpuE2ELNS1_3repE0EEENS1_30default_config_static_selectorELNS0_4arch9wavefront6targetE0EEEvS12_,"axG",@progbits,_ZN7rocprim17ROCPRIM_400000_NS6detail17trampoline_kernelINS0_13select_configILj256ELj13ELNS0_17block_load_methodE3ELS4_3ELS4_3ELNS0_20block_scan_algorithmE0ELj4294967295EEENS1_25partition_config_selectorILNS1_17partition_subalgoE4EjNS0_10empty_typeEbEEZZNS1_14partition_implILS8_4ELb0ES6_15HIP_vector_typeIjLj2EENS0_17counting_iteratorIjlEEPS9_SG_NS0_5tupleIJPjSI_NS0_16reverse_iteratorISI_EEEEENSH_IJSG_SG_SG_EEES9_SI_JZNS1_25segmented_radix_sort_implINS0_14default_configELb1EPKdPdPKlPlN2at6native12_GLOBAL__N_18offset_tEEE10hipError_tPvRmT1_PNSt15iterator_traitsIS12_E10value_typeET2_T3_PNS13_IS18_E10value_typeET4_jRbjT5_S1E_jjP12ihipStream_tbEUljE_ZNSN_ISO_Lb1ESQ_SR_ST_SU_SY_EESZ_S10_S11_S12_S16_S17_S18_S1B_S1C_jS1D_jS1E_S1E_jjS1G_bEUljE0_EEESZ_S10_S11_S18_S1C_S1E_T6_T7_T9_mT8_S1G_bDpT10_ENKUlT_T0_E_clISt17integral_constantIbLb0EES1U_EEDaS1P_S1Q_EUlS1P_E_NS1_11comp_targetILNS1_3genE8ELNS1_11target_archE1030ELNS1_3gpuE2ELNS1_3repE0EEENS1_30default_config_static_selectorELNS0_4arch9wavefront6targetE0EEEvS12_,comdat
	.globl	_ZN7rocprim17ROCPRIM_400000_NS6detail17trampoline_kernelINS0_13select_configILj256ELj13ELNS0_17block_load_methodE3ELS4_3ELS4_3ELNS0_20block_scan_algorithmE0ELj4294967295EEENS1_25partition_config_selectorILNS1_17partition_subalgoE4EjNS0_10empty_typeEbEEZZNS1_14partition_implILS8_4ELb0ES6_15HIP_vector_typeIjLj2EENS0_17counting_iteratorIjlEEPS9_SG_NS0_5tupleIJPjSI_NS0_16reverse_iteratorISI_EEEEENSH_IJSG_SG_SG_EEES9_SI_JZNS1_25segmented_radix_sort_implINS0_14default_configELb1EPKdPdPKlPlN2at6native12_GLOBAL__N_18offset_tEEE10hipError_tPvRmT1_PNSt15iterator_traitsIS12_E10value_typeET2_T3_PNS13_IS18_E10value_typeET4_jRbjT5_S1E_jjP12ihipStream_tbEUljE_ZNSN_ISO_Lb1ESQ_SR_ST_SU_SY_EESZ_S10_S11_S12_S16_S17_S18_S1B_S1C_jS1D_jS1E_S1E_jjS1G_bEUljE0_EEESZ_S10_S11_S18_S1C_S1E_T6_T7_T9_mT8_S1G_bDpT10_ENKUlT_T0_E_clISt17integral_constantIbLb0EES1U_EEDaS1P_S1Q_EUlS1P_E_NS1_11comp_targetILNS1_3genE8ELNS1_11target_archE1030ELNS1_3gpuE2ELNS1_3repE0EEENS1_30default_config_static_selectorELNS0_4arch9wavefront6targetE0EEEvS12_ ; -- Begin function _ZN7rocprim17ROCPRIM_400000_NS6detail17trampoline_kernelINS0_13select_configILj256ELj13ELNS0_17block_load_methodE3ELS4_3ELS4_3ELNS0_20block_scan_algorithmE0ELj4294967295EEENS1_25partition_config_selectorILNS1_17partition_subalgoE4EjNS0_10empty_typeEbEEZZNS1_14partition_implILS8_4ELb0ES6_15HIP_vector_typeIjLj2EENS0_17counting_iteratorIjlEEPS9_SG_NS0_5tupleIJPjSI_NS0_16reverse_iteratorISI_EEEEENSH_IJSG_SG_SG_EEES9_SI_JZNS1_25segmented_radix_sort_implINS0_14default_configELb1EPKdPdPKlPlN2at6native12_GLOBAL__N_18offset_tEEE10hipError_tPvRmT1_PNSt15iterator_traitsIS12_E10value_typeET2_T3_PNS13_IS18_E10value_typeET4_jRbjT5_S1E_jjP12ihipStream_tbEUljE_ZNSN_ISO_Lb1ESQ_SR_ST_SU_SY_EESZ_S10_S11_S12_S16_S17_S18_S1B_S1C_jS1D_jS1E_S1E_jjS1G_bEUljE0_EEESZ_S10_S11_S18_S1C_S1E_T6_T7_T9_mT8_S1G_bDpT10_ENKUlT_T0_E_clISt17integral_constantIbLb0EES1U_EEDaS1P_S1Q_EUlS1P_E_NS1_11comp_targetILNS1_3genE8ELNS1_11target_archE1030ELNS1_3gpuE2ELNS1_3repE0EEENS1_30default_config_static_selectorELNS0_4arch9wavefront6targetE0EEEvS12_
	.p2align	8
	.type	_ZN7rocprim17ROCPRIM_400000_NS6detail17trampoline_kernelINS0_13select_configILj256ELj13ELNS0_17block_load_methodE3ELS4_3ELS4_3ELNS0_20block_scan_algorithmE0ELj4294967295EEENS1_25partition_config_selectorILNS1_17partition_subalgoE4EjNS0_10empty_typeEbEEZZNS1_14partition_implILS8_4ELb0ES6_15HIP_vector_typeIjLj2EENS0_17counting_iteratorIjlEEPS9_SG_NS0_5tupleIJPjSI_NS0_16reverse_iteratorISI_EEEEENSH_IJSG_SG_SG_EEES9_SI_JZNS1_25segmented_radix_sort_implINS0_14default_configELb1EPKdPdPKlPlN2at6native12_GLOBAL__N_18offset_tEEE10hipError_tPvRmT1_PNSt15iterator_traitsIS12_E10value_typeET2_T3_PNS13_IS18_E10value_typeET4_jRbjT5_S1E_jjP12ihipStream_tbEUljE_ZNSN_ISO_Lb1ESQ_SR_ST_SU_SY_EESZ_S10_S11_S12_S16_S17_S18_S1B_S1C_jS1D_jS1E_S1E_jjS1G_bEUljE0_EEESZ_S10_S11_S18_S1C_S1E_T6_T7_T9_mT8_S1G_bDpT10_ENKUlT_T0_E_clISt17integral_constantIbLb0EES1U_EEDaS1P_S1Q_EUlS1P_E_NS1_11comp_targetILNS1_3genE8ELNS1_11target_archE1030ELNS1_3gpuE2ELNS1_3repE0EEENS1_30default_config_static_selectorELNS0_4arch9wavefront6targetE0EEEvS12_,@function
_ZN7rocprim17ROCPRIM_400000_NS6detail17trampoline_kernelINS0_13select_configILj256ELj13ELNS0_17block_load_methodE3ELS4_3ELS4_3ELNS0_20block_scan_algorithmE0ELj4294967295EEENS1_25partition_config_selectorILNS1_17partition_subalgoE4EjNS0_10empty_typeEbEEZZNS1_14partition_implILS8_4ELb0ES6_15HIP_vector_typeIjLj2EENS0_17counting_iteratorIjlEEPS9_SG_NS0_5tupleIJPjSI_NS0_16reverse_iteratorISI_EEEEENSH_IJSG_SG_SG_EEES9_SI_JZNS1_25segmented_radix_sort_implINS0_14default_configELb1EPKdPdPKlPlN2at6native12_GLOBAL__N_18offset_tEEE10hipError_tPvRmT1_PNSt15iterator_traitsIS12_E10value_typeET2_T3_PNS13_IS18_E10value_typeET4_jRbjT5_S1E_jjP12ihipStream_tbEUljE_ZNSN_ISO_Lb1ESQ_SR_ST_SU_SY_EESZ_S10_S11_S12_S16_S17_S18_S1B_S1C_jS1D_jS1E_S1E_jjS1G_bEUljE0_EEESZ_S10_S11_S18_S1C_S1E_T6_T7_T9_mT8_S1G_bDpT10_ENKUlT_T0_E_clISt17integral_constantIbLb0EES1U_EEDaS1P_S1Q_EUlS1P_E_NS1_11comp_targetILNS1_3genE8ELNS1_11target_archE1030ELNS1_3gpuE2ELNS1_3repE0EEENS1_30default_config_static_selectorELNS0_4arch9wavefront6targetE0EEEvS12_: ; @_ZN7rocprim17ROCPRIM_400000_NS6detail17trampoline_kernelINS0_13select_configILj256ELj13ELNS0_17block_load_methodE3ELS4_3ELS4_3ELNS0_20block_scan_algorithmE0ELj4294967295EEENS1_25partition_config_selectorILNS1_17partition_subalgoE4EjNS0_10empty_typeEbEEZZNS1_14partition_implILS8_4ELb0ES6_15HIP_vector_typeIjLj2EENS0_17counting_iteratorIjlEEPS9_SG_NS0_5tupleIJPjSI_NS0_16reverse_iteratorISI_EEEEENSH_IJSG_SG_SG_EEES9_SI_JZNS1_25segmented_radix_sort_implINS0_14default_configELb1EPKdPdPKlPlN2at6native12_GLOBAL__N_18offset_tEEE10hipError_tPvRmT1_PNSt15iterator_traitsIS12_E10value_typeET2_T3_PNS13_IS18_E10value_typeET4_jRbjT5_S1E_jjP12ihipStream_tbEUljE_ZNSN_ISO_Lb1ESQ_SR_ST_SU_SY_EESZ_S10_S11_S12_S16_S17_S18_S1B_S1C_jS1D_jS1E_S1E_jjS1G_bEUljE0_EEESZ_S10_S11_S18_S1C_S1E_T6_T7_T9_mT8_S1G_bDpT10_ENKUlT_T0_E_clISt17integral_constantIbLb0EES1U_EEDaS1P_S1Q_EUlS1P_E_NS1_11comp_targetILNS1_3genE8ELNS1_11target_archE1030ELNS1_3gpuE2ELNS1_3repE0EEENS1_30default_config_static_selectorELNS0_4arch9wavefront6targetE0EEEvS12_
; %bb.0:
	s_clause 0x6
	s_load_dword s3, s[4:5], 0x80
	s_load_dwordx2 s[34:35], s[4:5], 0x10
	s_load_dwordx2 s[0:1], s[4:5], 0x68
	s_load_dword s7, s[4:5], 0x8
	s_load_dwordx4 s[24:27], s[4:5], 0x58
	s_load_dwordx2 s[40:41], s[4:5], 0xa8
	s_load_dwordx8 s[16:23], s[4:5], 0x88
	s_mul_i32 s42, s6, 0xd00
	s_waitcnt lgkmcnt(0)
	s_mul_i32 s2, s3, 0xd00
	s_add_i32 s3, s3, -1
	s_add_u32 s8, s34, s2
	s_addc_u32 s9, s35, 0
	s_load_dwordx4 s[28:31], s[26:27], 0x0
	s_cmp_eq_u32 s6, s3
	v_cmp_gt_u64_e64 s1, s[0:1], s[8:9]
	s_cselect_b32 s33, -1, 0
	s_cmp_lg_u32 s6, s3
	s_cselect_b32 s3, -1, 0
	s_add_i32 s7, s7, s42
	s_or_b32 s1, s3, s1
	s_add_i32 s7, s7, s34
	s_and_b32 vcc_lo, exec_lo, s1
	v_add_nc_u32_e32 v1, s7, v0
	s_mov_b32 s3, -1
	v_add_nc_u32_e32 v2, 0x100, v1
	v_add_nc_u32_e32 v3, 0x200, v1
	;; [unrolled: 1-line block ×12, first 2 shown]
	s_cbranch_vccz .LBB1053_2
; %bb.1:
	v_lshlrev_b32_e32 v14, 2, v0
	s_mov_b32 s3, 0
	ds_write2st64_b32 v14, v1, v2 offset1:4
	ds_write2st64_b32 v14, v3, v4 offset0:8 offset1:12
	ds_write2st64_b32 v14, v5, v6 offset0:16 offset1:20
	;; [unrolled: 1-line block ×5, first 2 shown]
	ds_write_b32 v14, v13 offset:12288
	s_waitcnt lgkmcnt(0)
	s_barrier
.LBB1053_2:
	s_andn2_b32 vcc_lo, exec_lo, s3
	s_add_i32 s2, s2, s34
	s_cbranch_vccnz .LBB1053_4
; %bb.3:
	v_lshlrev_b32_e32 v14, 2, v0
	ds_write2st64_b32 v14, v1, v2 offset1:4
	ds_write2st64_b32 v14, v3, v4 offset0:8 offset1:12
	ds_write2st64_b32 v14, v5, v6 offset0:16 offset1:20
	;; [unrolled: 1-line block ×5, first 2 shown]
	ds_write_b32 v14, v13 offset:12288
	s_waitcnt lgkmcnt(0)
	s_barrier
.LBB1053_4:
	v_mul_u32_u24_e32 v29, 13, v0
	s_clause 0x1
	s_load_dwordx4 s[36:39], s[4:5], 0x28
	s_load_dwordx2 s[26:27], s[4:5], 0x38
	s_waitcnt lgkmcnt(0)
	buffer_gl0_inv
	v_cndmask_b32_e64 v27, 0, 1, s1
	s_sub_i32 s43, s0, s2
	v_lshlrev_b32_e32 v1, 2, v29
	s_andn2_b32 vcc_lo, exec_lo, s1
	ds_read_b32 v28, v1 offset:48
	ds_read2_b32 v[9:10], v1 offset0:10 offset1:11
	ds_read2_b32 v[11:12], v1 offset0:8 offset1:9
	;; [unrolled: 1-line block ×4, first 2 shown]
	ds_read2_b32 v[19:20], v1 offset1:1
	ds_read2_b32 v[17:18], v1 offset0:2 offset1:3
	s_waitcnt lgkmcnt(0)
	s_barrier
	buffer_gl0_inv
	s_cbranch_vccnz .LBB1053_32
; %bb.5:
	v_add_nc_u32_e32 v1, s17, v19
	v_add_nc_u32_e32 v2, s19, v19
	s_mov_b32 s45, 0
	s_mov_b32 s44, 0
	s_mov_b32 s1, exec_lo
	v_mul_lo_u32 v1, v1, s16
	v_mul_lo_u32 v2, v2, s18
	v_sub_nc_u32_e32 v1, v1, v2
	v_cmp_lt_u32_e32 vcc_lo, s20, v1
	v_cmpx_ge_u32_e64 s20, v1
	s_cbranch_execz .LBB1053_7
; %bb.6:
	v_add_nc_u32_e32 v1, s22, v19
	v_add_nc_u32_e32 v2, s40, v19
	v_mul_lo_u32 v1, v1, s21
	v_mul_lo_u32 v2, v2, s23
	v_sub_nc_u32_e32 v1, v1, v2
	v_cmp_lt_u32_e64 s0, s41, v1
	s_and_b32 s44, s0, exec_lo
.LBB1053_7:
	s_or_b32 exec_lo, exec_lo, s1
	v_add_nc_u32_e32 v1, s17, v20
	v_add_nc_u32_e32 v2, s19, v20
	s_mov_b32 s2, exec_lo
	v_mul_lo_u32 v1, v1, s16
	v_mul_lo_u32 v2, v2, s18
	v_sub_nc_u32_e32 v1, v1, v2
	v_cmp_lt_u32_e64 s0, s20, v1
	v_cmpx_ge_u32_e64 s20, v1
	s_cbranch_execz .LBB1053_9
; %bb.8:
	v_add_nc_u32_e32 v1, s22, v20
	v_add_nc_u32_e32 v2, s40, v20
	v_mul_lo_u32 v1, v1, s21
	v_mul_lo_u32 v2, v2, s23
	v_sub_nc_u32_e32 v1, v1, v2
	v_cmp_lt_u32_e64 s1, s41, v1
	s_and_b32 s45, s1, exec_lo
.LBB1053_9:
	s_or_b32 exec_lo, exec_lo, s2
	v_add_nc_u32_e32 v1, s17, v17
	v_add_nc_u32_e32 v2, s19, v17
	s_mov_b32 s47, 0
	s_mov_b32 s46, 0
	s_mov_b32 s3, exec_lo
	v_mul_lo_u32 v1, v1, s16
	v_mul_lo_u32 v2, v2, s18
	v_sub_nc_u32_e32 v1, v1, v2
	v_cmp_lt_u32_e64 s1, s20, v1
	v_cmpx_ge_u32_e64 s20, v1
	s_cbranch_execz .LBB1053_11
; %bb.10:
	v_add_nc_u32_e32 v1, s22, v17
	v_add_nc_u32_e32 v2, s40, v17
	v_mul_lo_u32 v1, v1, s21
	v_mul_lo_u32 v2, v2, s23
	v_sub_nc_u32_e32 v1, v1, v2
	v_cmp_lt_u32_e64 s2, s41, v1
	s_and_b32 s46, s2, exec_lo
.LBB1053_11:
	s_or_b32 exec_lo, exec_lo, s3
	v_add_nc_u32_e32 v1, s17, v18
	v_add_nc_u32_e32 v2, s19, v18
	s_mov_b32 s7, exec_lo
	v_mul_lo_u32 v1, v1, s16
	v_mul_lo_u32 v2, v2, s18
	v_sub_nc_u32_e32 v1, v1, v2
	v_cmp_lt_u32_e64 s2, s20, v1
	v_cmpx_ge_u32_e64 s20, v1
	s_cbranch_execz .LBB1053_13
; %bb.12:
	v_add_nc_u32_e32 v1, s22, v18
	v_add_nc_u32_e32 v2, s40, v18
	v_mul_lo_u32 v1, v1, s21
	v_mul_lo_u32 v2, v2, s23
	v_sub_nc_u32_e32 v1, v1, v2
	v_cmp_lt_u32_e64 s3, s41, v1
	s_and_b32 s47, s3, exec_lo
.LBB1053_13:
	s_or_b32 exec_lo, exec_lo, s7
	v_add_nc_u32_e32 v1, s17, v15
	v_add_nc_u32_e32 v2, s19, v15
	s_mov_b32 s49, 0
	s_mov_b32 s48, 0
	s_mov_b32 s8, exec_lo
	v_mul_lo_u32 v1, v1, s16
	v_mul_lo_u32 v2, v2, s18
	v_sub_nc_u32_e32 v1, v1, v2
	v_cmp_lt_u32_e64 s3, s20, v1
	;; [unrolled: 40-line block ×6, first 2 shown]
	v_cmpx_ge_u32_e64 s20, v1
	s_cbranch_execz .LBB1053_31
; %bb.30:
	v_add_nc_u32_e32 v1, s22, v28
	v_add_nc_u32_e32 v2, s40, v28
	v_mul_lo_u32 v1, v1, s21
	v_mul_lo_u32 v2, v2, s23
	v_sub_nc_u32_e32 v1, v1, v2
	v_cmp_lt_u32_e64 s15, s41, v1
	s_and_b32 s57, s15, exec_lo
.LBB1053_31:
	s_or_b32 exec_lo, exec_lo, s58
	v_cndmask_b32_e64 v2, 0, 1, s0
	v_cndmask_b32_e64 v4, 0, 1, s2
	v_cndmask_b32_e64 v1, 0, 1, vcc_lo
	v_cndmask_b32_e64 v3, 0, 1, s1
	v_cndmask_b32_e64 v6, 0, 1, s7
	v_lshlrev_b16 v2, 8, v2
	v_lshlrev_b16 v4, 8, v4
	v_cndmask_b32_e64 v8, 0, 1, s9
	v_cndmask_b32_e64 v22, 0, 1, s11
	;; [unrolled: 1-line block ×3, first 2 shown]
	v_or_b32_e32 v1, v1, v2
	v_or_b32_sdwa v2, v3, v4 dst_sel:WORD_1 dst_unused:UNUSED_PAD src0_sel:DWORD src1_sel:DWORD
	v_cndmask_b32_e64 v3, 0, 1, s44
	v_cndmask_b32_e64 v5, 0, 1, s3
	;; [unrolled: 1-line block ×11, first 2 shown]
	v_or_b32_sdwa v30, v1, v2 dst_sel:DWORD dst_unused:UNUSED_PAD src0_sel:WORD_0 src1_sel:DWORD
	v_lshlrev_b16 v1, 8, v6
	v_lshlrev_b16 v2, 8, v8
	;; [unrolled: 1-line block ×5, first 2 shown]
	v_cndmask_b32_e64 v26, 0, 1, s53
	v_cndmask_b32_e64 v32, 0, 1, s51
	;; [unrolled: 1-line block ×5, first 2 shown]
	v_or_b32_e32 v1, v5, v1
	v_or_b32_sdwa v2, v7, v2 dst_sel:WORD_1 dst_unused:UNUSED_PAD src0_sel:DWORD src1_sel:DWORD
	v_or_b32_e32 v5, v21, v6
	v_or_b32_sdwa v6, v23, v8 dst_sel:WORD_1 dst_unused:UNUSED_PAD src0_sel:DWORD src1_sel:DWORD
	v_or_b32_e32 v3, v4, v3
	v_lshlrev_b16 v4, 8, v39
	v_lshlrev_b16 v7, 8, v36
	;; [unrolled: 1-line block ×5, first 2 shown]
	v_or_b32_sdwa v4, v40, v4 dst_sel:WORD_1 dst_unused:UNUSED_PAD src0_sel:DWORD src1_sel:DWORD
	v_or_b32_e32 v7, v38, v7
	v_or_b32_sdwa v8, v35, v8 dst_sel:WORD_1 dst_unused:UNUSED_PAD src0_sel:DWORD src1_sel:DWORD
	v_or_b32_e32 v21, v32, v21
	v_or_b32_sdwa v22, v26, v22 dst_sel:WORD_1 dst_unused:UNUSED_PAD src0_sel:DWORD src1_sel:DWORD
	v_cndmask_b32_e64 v34, 0, 1, s55
	v_cndmask_b32_e64 v37, 0, 1, s57
	v_or_b32_sdwa v32, v1, v2 dst_sel:DWORD dst_unused:UNUSED_PAD src0_sel:WORD_0 src1_sel:DWORD
	v_or_b32_sdwa v35, v5, v6 dst_sel:DWORD dst_unused:UNUSED_PAD src0_sel:WORD_0 src1_sel:DWORD
	;; [unrolled: 1-line block ×5, first 2 shown]
	s_load_dwordx2 s[4:5], s[4:5], 0x78
	s_and_b32 vcc_lo, exec_lo, s54
	s_add_i32 s7, s43, 0xd00
	s_cbranch_vccnz .LBB1053_33
	s_branch .LBB1053_110
.LBB1053_32:
                                        ; implicit-def: $vgpr37
                                        ; implicit-def: $vgpr34
                                        ; implicit-def: $vgpr33
                                        ; implicit-def: $vgpr31
                                        ; implicit-def: $vgpr36
                                        ; implicit-def: $vgpr35
                                        ; implicit-def: $vgpr32
                                        ; implicit-def: $vgpr30
	s_load_dwordx2 s[4:5], s[4:5], 0x78
	s_add_i32 s7, s43, 0xd00
	s_cbranch_execz .LBB1053_110
.LBB1053_33:
	v_mov_b32_e32 v2, 0
	v_mov_b32_e32 v1, 0
	s_mov_b32 s1, exec_lo
	v_cmpx_gt_u32_e64 s7, v29
	s_cbranch_execz .LBB1053_37
; %bb.34:
	v_add_nc_u32_e32 v1, s17, v19
	v_add_nc_u32_e32 v2, s19, v19
	s_mov_b32 s3, 0
	s_mov_b32 s2, exec_lo
	v_mul_lo_u32 v1, v1, s16
	v_mul_lo_u32 v2, v2, s18
	v_sub_nc_u32_e32 v1, v1, v2
	v_cmp_lt_u32_e32 vcc_lo, s20, v1
	v_cmpx_ge_u32_e64 s20, v1
	s_cbranch_execz .LBB1053_36
; %bb.35:
	v_add_nc_u32_e32 v1, s22, v19
	v_add_nc_u32_e32 v2, s40, v19
	v_mul_lo_u32 v1, v1, s21
	v_mul_lo_u32 v2, v2, s23
	v_sub_nc_u32_e32 v1, v1, v2
	v_cmp_lt_u32_e64 s0, s41, v1
	s_and_b32 s3, s0, exec_lo
.LBB1053_36:
	s_or_b32 exec_lo, exec_lo, s2
	v_cndmask_b32_e64 v2, 0, 1, s3
	v_cndmask_b32_e64 v1, 0, 1, vcc_lo
.LBB1053_37:
	s_or_b32 exec_lo, exec_lo, s1
	v_add_nc_u32_e32 v3, 1, v29
	v_lshlrev_b16 v21, 8, v2
	v_and_b32_e32 v6, 0xff, v1
	v_lshlrev_b16 v7, 8, 0
                                        ; implicit-def: $vgpr5
                                        ; implicit-def: $vgpr8
                                        ; implicit-def: $vgpr2
                                        ; implicit-def: $vgpr4
	v_cmp_le_u32_e32 vcc_lo, s7, v3
                                        ; implicit-def: $vgpr3
	s_and_saveexec_b32 s0, vcc_lo
	s_xor_b32 s0, exec_lo, s0
	s_cbranch_execz .LBB1053_39
; %bb.38:
	v_mov_b32_e32 v1, 8
	v_mov_b32_e32 v2, 0xff
	;; [unrolled: 1-line block ×3, first 2 shown]
	v_and_b32_e32 v4, 0xffff, v7
	v_and_b32_e32 v3, 0xffff, v7
	v_lshrrev_b32_sdwa v1, v1, v21 dst_sel:BYTE_1 dst_unused:UNUSED_PAD src0_sel:DWORD src1_sel:WORD_0
	v_and_b32_sdwa v2, v21, v2 dst_sel:DWORD dst_unused:UNUSED_PAD src0_sel:WORD_0 src1_sel:DWORD
                                        ; implicit-def: $vgpr21
	v_or_b32_e32 v1, v2, v1
	v_and_b32_e32 v2, 0xffff, v7
                                        ; implicit-def: $vgpr7
	v_and_b32_e32 v8, 0xffff, v1
                                        ; implicit-def: $vgpr1
.LBB1053_39:
	s_andn2_saveexec_b32 s1, s0
	s_cbranch_execz .LBB1053_43
; %bb.40:
	v_add_nc_u32_e32 v2, s17, v20
	v_add_nc_u32_e32 v3, s19, v20
	s_mov_b32 s2, 0
	s_mov_b32 s3, exec_lo
	v_mul_lo_u32 v2, v2, s16
	v_mul_lo_u32 v3, v3, s18
	v_sub_nc_u32_e32 v2, v2, v3
	v_cmp_lt_u32_e32 vcc_lo, s20, v2
	v_cmpx_ge_u32_e64 s20, v2
	s_cbranch_execz .LBB1053_42
; %bb.41:
	v_add_nc_u32_e32 v2, s22, v20
	v_add_nc_u32_e32 v3, s40, v20
	v_mul_lo_u32 v2, v2, s21
	v_mul_lo_u32 v3, v3, s23
	v_sub_nc_u32_e32 v2, v2, v3
	v_cmp_lt_u32_e64 s0, s41, v2
	s_and_b32 s2, s0, exec_lo
.LBB1053_42:
	s_or_b32 exec_lo, exec_lo, s3
	v_mov_b32_e32 v2, 0xff
	v_mov_b32_e32 v3, 8
	v_cndmask_b32_e64 v4, 0, 1, vcc_lo
	v_mov_b32_e32 v5, 0
	v_and_b32_sdwa v2, v21, v2 dst_sel:DWORD dst_unused:UNUSED_PAD src0_sel:WORD_0 src1_sel:DWORD
	v_lshrrev_b32_sdwa v3, v3, v21 dst_sel:BYTE_1 dst_unused:UNUSED_PAD src0_sel:DWORD src1_sel:WORD_0
	v_lshlrev_b16 v4, 8, v4
	v_or_b32_e32 v2, v2, v3
	v_cndmask_b32_e64 v3, 0, 1, s2
	v_or_b32_sdwa v1, v1, v4 dst_sel:DWORD dst_unused:UNUSED_PAD src0_sel:BYTE_0 src1_sel:DWORD
	v_and_b32_e32 v4, 0xffff, v7
	v_and_b32_e32 v8, 0xffff, v2
	v_mov_b32_e32 v2, 0
	v_and_b32_e32 v6, 0xffff, v1
	v_lshl_or_b32 v8, v3, 16, v8
	v_and_b32_e32 v3, 0xffff, v7
.LBB1053_43:
	s_or_b32 exec_lo, exec_lo, s1
	v_add_nc_u32_e32 v1, 2, v29
                                        ; implicit-def: $vgpr7
	v_cmp_le_u32_e32 vcc_lo, s7, v1
                                        ; implicit-def: $vgpr1
	s_and_saveexec_b32 s0, vcc_lo
	s_xor_b32 s0, exec_lo, s0
	s_cbranch_execz .LBB1053_45
; %bb.44:
	v_lshrrev_b32_e32 v1, 24, v6
	v_mov_b32_e32 v7, 8
	v_and_b32_e32 v21, 0xff0000, v8
	v_perm_b32 v4, v4, v4, 0x3060504
	v_perm_b32 v1, v1, v6, 0x40c0100
	v_lshrrev_b32_sdwa v6, v7, v1 dst_sel:BYTE_1 dst_unused:UNUSED_PAD src0_sel:DWORD src1_sel:DWORD
	v_or_b32_sdwa v6, v1, v6 dst_sel:DWORD dst_unused:UNUSED_PAD src0_sel:BYTE_0 src1_sel:DWORD
	v_and_b32_e32 v6, 0xffff, v6
	v_and_or_b32 v7, 0xff000000, v1, v6
	v_perm_b32 v1, v8, v21, 0x3020504
                                        ; implicit-def: $vgpr6
                                        ; implicit-def: $vgpr8
.LBB1053_45:
	s_andn2_saveexec_b32 s1, s0
	s_cbranch_execz .LBB1053_49
; %bb.46:
	v_add_nc_u32_e32 v1, s17, v17
	v_add_nc_u32_e32 v7, s19, v17
	s_mov_b32 s2, 0
	s_mov_b32 s3, exec_lo
	v_mul_lo_u32 v1, v1, s16
	v_mul_lo_u32 v7, v7, s18
	v_sub_nc_u32_e32 v1, v1, v7
	v_cmp_lt_u32_e32 vcc_lo, s20, v1
	v_cmpx_ge_u32_e64 s20, v1
	s_cbranch_execz .LBB1053_48
; %bb.47:
	v_add_nc_u32_e32 v1, s22, v17
	v_add_nc_u32_e32 v7, s40, v17
	v_mul_lo_u32 v1, v1, s21
	v_mul_lo_u32 v7, v7, s23
	v_sub_nc_u32_e32 v1, v1, v7
	v_cmp_lt_u32_e64 s0, s41, v1
	s_and_b32 s2, s0, exec_lo
.LBB1053_48:
	s_or_b32 exec_lo, exec_lo, s3
	v_mov_b32_e32 v1, 8
	v_mov_b32_e32 v7, 24
	v_cndmask_b32_e64 v22, 0, 1, s2
	v_mov_b32_e32 v23, 0xff
	v_cndmask_b32_e64 v21, 0, 1, vcc_lo
	v_lshrrev_b32_sdwa v24, v1, v6 dst_sel:BYTE_1 dst_unused:UNUSED_PAD src0_sel:DWORD src1_sel:DWORD
	v_lshrrev_b32_sdwa v7, v7, v6 dst_sel:BYTE_1 dst_unused:UNUSED_PAD src0_sel:DWORD src1_sel:DWORD
	v_lshrrev_b32_sdwa v1, v1, v8 dst_sel:BYTE_1 dst_unused:UNUSED_PAD src0_sel:DWORD src1_sel:DWORD
	v_lshlrev_b16 v22, 8, v22
	v_and_b32_sdwa v23, v8, v23 dst_sel:DWORD dst_unused:UNUSED_PAD src0_sel:WORD_1 src1_sel:DWORD
	v_or_b32_sdwa v6, v6, v24 dst_sel:DWORD dst_unused:UNUSED_PAD src0_sel:BYTE_0 src1_sel:DWORD
	v_or_b32_sdwa v7, v21, v7 dst_sel:WORD_1 dst_unused:UNUSED_PAD src0_sel:DWORD src1_sel:DWORD
	v_or_b32_sdwa v1, v8, v1 dst_sel:DWORD dst_unused:UNUSED_PAD src0_sel:BYTE_0 src1_sel:DWORD
	v_or_b32_sdwa v8, v23, v22 dst_sel:WORD_1 dst_unused:UNUSED_PAD src0_sel:DWORD src1_sel:DWORD
	v_or_b32_sdwa v7, v6, v7 dst_sel:DWORD dst_unused:UNUSED_PAD src0_sel:WORD_0 src1_sel:DWORD
	v_or_b32_sdwa v1, v1, v8 dst_sel:DWORD dst_unused:UNUSED_PAD src0_sel:WORD_0 src1_sel:DWORD
.LBB1053_49:
	s_or_b32 exec_lo, exec_lo, s1
	v_add_nc_u32_e32 v6, 3, v29
                                        ; implicit-def: $vgpr30
	v_cmp_le_u32_e32 vcc_lo, s7, v6
                                        ; implicit-def: $vgpr6
	s_and_saveexec_b32 s0, vcc_lo
	s_xor_b32 s0, exec_lo, s0
	s_cbranch_execz .LBB1053_51
; %bb.50:
	v_mov_b32_e32 v6, 24
	v_mov_b32_e32 v8, 0xff
	;; [unrolled: 1-line block ×3, first 2 shown]
	v_and_b32_e32 v22, 0xff0000, v7
	v_perm_b32 v4, v4, v4, 0x3060504
	v_lshrrev_b32_sdwa v6, v6, v5 dst_sel:BYTE_1 dst_unused:UNUSED_PAD src0_sel:DWORD src1_sel:DWORD
	v_and_b32_sdwa v8, v5, v8 dst_sel:DWORD dst_unused:UNUSED_PAD src0_sel:WORD_1 src1_sel:DWORD
	v_lshrrev_b32_sdwa v5, v21, v5 dst_sel:BYTE_1 dst_unused:UNUSED_PAD src0_sel:DWORD src1_sel:DWORD
	v_perm_b32 v30, v7, v22, 0x3020504
	v_perm_b32 v3, v3, v3, 0x3060504
                                        ; implicit-def: $vgpr7
	v_or_b32_sdwa v6, v8, v6 dst_sel:WORD_1 dst_unused:UNUSED_PAD src0_sel:DWORD src1_sel:DWORD
	v_or_b32_sdwa v6, v5, v6 dst_sel:DWORD dst_unused:UNUSED_PAD src0_sel:WORD_0 src1_sel:DWORD
                                        ; implicit-def: $vgpr5
.LBB1053_51:
	s_andn2_saveexec_b32 s1, s0
	s_cbranch_execz .LBB1053_55
; %bb.52:
	v_add_nc_u32_e32 v6, s17, v18
	v_add_nc_u32_e32 v8, s19, v18
	s_mov_b32 s2, 0
	s_mov_b32 s3, exec_lo
	v_mul_lo_u32 v6, v6, s16
	v_mul_lo_u32 v8, v8, s18
	v_sub_nc_u32_e32 v6, v6, v8
	v_cmp_lt_u32_e32 vcc_lo, s20, v6
	v_cmpx_ge_u32_e64 s20, v6
	s_cbranch_execz .LBB1053_54
; %bb.53:
	v_add_nc_u32_e32 v6, s22, v18
	v_add_nc_u32_e32 v8, s40, v18
	v_mul_lo_u32 v6, v6, s21
	v_mul_lo_u32 v8, v8, s23
	v_sub_nc_u32_e32 v6, v6, v8
	v_cmp_lt_u32_e64 s0, s41, v6
	s_and_b32 s2, s0, exec_lo
.LBB1053_54:
	s_or_b32 exec_lo, exec_lo, s3
	v_mov_b32_e32 v6, 8
	v_cndmask_b32_e64 v8, 0, 1, vcc_lo
	v_mov_b32_e32 v21, 0xff
	v_mov_b32_e32 v22, 24
	v_cndmask_b32_e64 v23, 0, 1, s2
	v_lshrrev_b32_sdwa v24, v6, v7 dst_sel:BYTE_1 dst_unused:UNUSED_PAD src0_sel:DWORD src1_sel:DWORD
	v_lshlrev_b16 v8, 8, v8
	v_and_b32_sdwa v25, v7, v21 dst_sel:DWORD dst_unused:UNUSED_PAD src0_sel:WORD_1 src1_sel:DWORD
	v_lshrrev_b32_sdwa v22, v22, v5 dst_sel:BYTE_1 dst_unused:UNUSED_PAD src0_sel:DWORD src1_sel:DWORD
	v_and_b32_sdwa v21, v5, v21 dst_sel:DWORD dst_unused:UNUSED_PAD src0_sel:WORD_1 src1_sel:DWORD
	v_lshrrev_b32_sdwa v5, v6, v5 dst_sel:BYTE_1 dst_unused:UNUSED_PAD src0_sel:DWORD src1_sel:DWORD
	v_or_b32_sdwa v6, v7, v24 dst_sel:DWORD dst_unused:UNUSED_PAD src0_sel:BYTE_0 src1_sel:DWORD
	v_or_b32_sdwa v7, v25, v8 dst_sel:WORD_1 dst_unused:UNUSED_PAD src0_sel:DWORD src1_sel:DWORD
	v_or_b32_sdwa v8, v21, v22 dst_sel:WORD_1 dst_unused:UNUSED_PAD src0_sel:DWORD src1_sel:DWORD
	v_or_b32_e32 v5, v23, v5
	v_or_b32_sdwa v30, v6, v7 dst_sel:DWORD dst_unused:UNUSED_PAD src0_sel:WORD_0 src1_sel:DWORD
	v_or_b32_sdwa v6, v5, v8 dst_sel:DWORD dst_unused:UNUSED_PAD src0_sel:WORD_0 src1_sel:DWORD
.LBB1053_55:
	s_or_b32 exec_lo, exec_lo, s1
	v_add_nc_u32_e32 v5, 4, v29
                                        ; implicit-def: $vgpr7
	v_cmp_le_u32_e32 vcc_lo, s7, v5
                                        ; implicit-def: $vgpr5
	s_and_saveexec_b32 s0, vcc_lo
	s_xor_b32 s0, exec_lo, s0
	s_cbranch_execz .LBB1053_57
; %bb.56:
	v_mov_b32_e32 v5, 24
	v_mov_b32_e32 v7, 0xff
	;; [unrolled: 1-line block ×3, first 2 shown]
	v_perm_b32 v3, v3, v3, 0x3060504
	v_lshrrev_b32_sdwa v21, v5, v4 dst_sel:BYTE_1 dst_unused:UNUSED_PAD src0_sel:DWORD src1_sel:DWORD
	v_and_b32_sdwa v22, v4, v7 dst_sel:DWORD dst_unused:UNUSED_PAD src0_sel:WORD_1 src1_sel:DWORD
	v_lshrrev_b32_sdwa v5, v5, v6 dst_sel:BYTE_1 dst_unused:UNUSED_PAD src0_sel:DWORD src1_sel:DWORD
	v_and_b32_sdwa v7, v6, v7 dst_sel:DWORD dst_unused:UNUSED_PAD src0_sel:WORD_1 src1_sel:DWORD
	v_lshrrev_b32_sdwa v4, v8, v4 dst_sel:BYTE_1 dst_unused:UNUSED_PAD src0_sel:DWORD src1_sel:DWORD
	v_or_b32_sdwa v8, v22, v21 dst_sel:WORD_1 dst_unused:UNUSED_PAD src0_sel:DWORD src1_sel:DWORD
	v_or_b32_e32 v7, v7, v5
	v_or_b32_sdwa v5, v4, v8 dst_sel:DWORD dst_unused:UNUSED_PAD src0_sel:WORD_0 src1_sel:DWORD
                                        ; implicit-def: $vgpr4
	v_perm_b32 v7, v7, v6, 0x5040c00
                                        ; implicit-def: $vgpr6
.LBB1053_57:
	s_andn2_saveexec_b32 s1, s0
	s_cbranch_execz .LBB1053_61
; %bb.58:
	v_add_nc_u32_e32 v5, s17, v15
	v_add_nc_u32_e32 v7, s19, v15
	s_mov_b32 s2, 0
	s_mov_b32 s3, exec_lo
	v_mul_lo_u32 v5, v5, s16
	v_mul_lo_u32 v7, v7, s18
	v_sub_nc_u32_e32 v5, v5, v7
	v_cmp_lt_u32_e32 vcc_lo, s20, v5
	v_cmpx_ge_u32_e64 s20, v5
	s_cbranch_execz .LBB1053_60
; %bb.59:
	v_add_nc_u32_e32 v5, s22, v15
	v_add_nc_u32_e32 v7, s40, v15
	v_mul_lo_u32 v5, v5, s21
	v_mul_lo_u32 v7, v7, s23
	v_sub_nc_u32_e32 v5, v5, v7
	v_cmp_lt_u32_e64 s0, s41, v5
	s_and_b32 s2, s0, exec_lo
.LBB1053_60:
	s_or_b32 exec_lo, exec_lo, s3
	v_mov_b32_e32 v5, 24
	v_mov_b32_e32 v7, 0xff
	v_mov_b32_e32 v8, 8
	v_cndmask_b32_e64 v21, 0, 1, s2
	v_cndmask_b32_e64 v22, 0, 1, vcc_lo
	v_lshrrev_b32_sdwa v23, v5, v4 dst_sel:BYTE_1 dst_unused:UNUSED_PAD src0_sel:DWORD src1_sel:DWORD
	v_and_b32_sdwa v24, v4, v7 dst_sel:DWORD dst_unused:UNUSED_PAD src0_sel:WORD_1 src1_sel:DWORD
	v_lshrrev_b32_sdwa v4, v8, v4 dst_sel:BYTE_1 dst_unused:UNUSED_PAD src0_sel:DWORD src1_sel:DWORD
	v_lshlrev_b16 v8, 8, v21
	v_lshrrev_b32_sdwa v5, v5, v6 dst_sel:BYTE_1 dst_unused:UNUSED_PAD src0_sel:DWORD src1_sel:DWORD
	v_and_b32_sdwa v7, v6, v7 dst_sel:DWORD dst_unused:UNUSED_PAD src0_sel:WORD_1 src1_sel:DWORD
	v_or_b32_sdwa v21, v24, v23 dst_sel:WORD_1 dst_unused:UNUSED_PAD src0_sel:DWORD src1_sel:DWORD
	v_or_b32_e32 v4, v22, v4
	v_or_b32_sdwa v6, v6, v8 dst_sel:DWORD dst_unused:UNUSED_PAD src0_sel:BYTE_0 src1_sel:DWORD
	v_or_b32_sdwa v7, v7, v5 dst_sel:WORD_1 dst_unused:UNUSED_PAD src0_sel:DWORD src1_sel:DWORD
	v_or_b32_sdwa v5, v4, v21 dst_sel:DWORD dst_unused:UNUSED_PAD src0_sel:WORD_0 src1_sel:DWORD
	v_or_b32_sdwa v7, v6, v7 dst_sel:DWORD dst_unused:UNUSED_PAD src0_sel:WORD_0 src1_sel:DWORD
.LBB1053_61:
	s_or_b32 exec_lo, exec_lo, s1
	v_add_nc_u32_e32 v4, 5, v29
                                        ; implicit-def: $vgpr6
	v_cmp_le_u32_e32 vcc_lo, s7, v4
                                        ; implicit-def: $vgpr4
	s_and_saveexec_b32 s0, vcc_lo
	s_xor_b32 s0, exec_lo, s0
	s_cbranch_execz .LBB1053_63
; %bb.62:
	v_lshrrev_b32_e32 v4, 24, v7
	v_mov_b32_e32 v6, 8
	v_mov_b32_e32 v8, 0xff
	v_perm_b32 v3, v3, v3, 0x3060504
	v_perm_b32 v4, v4, v7, 0x40c0100
	v_mov_b32_e32 v7, 24
	v_and_b32_sdwa v8, v5, v8 dst_sel:DWORD dst_unused:UNUSED_PAD src0_sel:WORD_1 src1_sel:DWORD
	v_lshrrev_b32_sdwa v6, v6, v4 dst_sel:BYTE_1 dst_unused:UNUSED_PAD src0_sel:DWORD src1_sel:DWORD
	v_lshrrev_b32_sdwa v7, v7, v5 dst_sel:BYTE_1 dst_unused:UNUSED_PAD src0_sel:DWORD src1_sel:DWORD
	v_or_b32_sdwa v6, v4, v6 dst_sel:DWORD dst_unused:UNUSED_PAD src0_sel:BYTE_0 src1_sel:DWORD
	v_or_b32_e32 v7, v8, v7
	v_and_b32_e32 v8, 0xffff, v6
	v_perm_b32 v6, v7, v5, 0x5040c00
                                        ; implicit-def: $vgpr5
                                        ; implicit-def: $vgpr7
	v_and_or_b32 v4, 0xff000000, v4, v8
.LBB1053_63:
	s_andn2_saveexec_b32 s1, s0
	s_cbranch_execz .LBB1053_67
; %bb.64:
	v_add_nc_u32_e32 v4, s17, v16
	v_add_nc_u32_e32 v6, s19, v16
	s_mov_b32 s2, 0
	s_mov_b32 s3, exec_lo
	v_mul_lo_u32 v4, v4, s16
	v_mul_lo_u32 v6, v6, s18
	v_sub_nc_u32_e32 v4, v4, v6
	v_cmp_lt_u32_e32 vcc_lo, s20, v4
	v_cmpx_ge_u32_e64 s20, v4
	s_cbranch_execz .LBB1053_66
; %bb.65:
	v_add_nc_u32_e32 v4, s22, v16
	v_add_nc_u32_e32 v6, s40, v16
	v_mul_lo_u32 v4, v4, s21
	v_mul_lo_u32 v6, v6, s23
	v_sub_nc_u32_e32 v4, v4, v6
	v_cmp_lt_u32_e64 s0, s41, v4
	s_and_b32 s2, s0, exec_lo
.LBB1053_66:
	s_or_b32 exec_lo, exec_lo, s3
	v_cndmask_b32_e64 v4, 0, 1, vcc_lo
	v_mov_b32_e32 v6, 24
	v_mov_b32_e32 v8, 0xff
	;; [unrolled: 1-line block ×3, first 2 shown]
	v_cndmask_b32_e64 v22, 0, 1, s2
	v_lshlrev_b16 v4, 8, v4
	v_lshrrev_b32_sdwa v23, v6, v5 dst_sel:BYTE_1 dst_unused:UNUSED_PAD src0_sel:DWORD src1_sel:DWORD
	v_and_b32_sdwa v8, v5, v8 dst_sel:DWORD dst_unused:UNUSED_PAD src0_sel:WORD_1 src1_sel:DWORD
	v_lshrrev_b32_sdwa v21, v21, v7 dst_sel:BYTE_1 dst_unused:UNUSED_PAD src0_sel:DWORD src1_sel:DWORD
	v_lshrrev_b32_sdwa v6, v6, v7 dst_sel:BYTE_1 dst_unused:UNUSED_PAD src0_sel:DWORD src1_sel:DWORD
	v_or_b32_sdwa v4, v5, v4 dst_sel:DWORD dst_unused:UNUSED_PAD src0_sel:BYTE_0 src1_sel:DWORD
	v_or_b32_sdwa v5, v8, v23 dst_sel:WORD_1 dst_unused:UNUSED_PAD src0_sel:DWORD src1_sel:DWORD
	v_or_b32_sdwa v7, v7, v21 dst_sel:DWORD dst_unused:UNUSED_PAD src0_sel:BYTE_0 src1_sel:DWORD
	v_or_b32_sdwa v8, v22, v6 dst_sel:WORD_1 dst_unused:UNUSED_PAD src0_sel:DWORD src1_sel:DWORD
	v_or_b32_sdwa v6, v4, v5 dst_sel:DWORD dst_unused:UNUSED_PAD src0_sel:WORD_0 src1_sel:DWORD
	v_or_b32_sdwa v4, v7, v8 dst_sel:DWORD dst_unused:UNUSED_PAD src0_sel:WORD_0 src1_sel:DWORD
.LBB1053_67:
	s_or_b32 exec_lo, exec_lo, s1
	v_add_nc_u32_e32 v5, 6, v29
                                        ; implicit-def: $vgpr31
	v_cmp_le_u32_e32 vcc_lo, s7, v5
                                        ; implicit-def: $vgpr5
	s_and_saveexec_b32 s0, vcc_lo
	s_xor_b32 s0, exec_lo, s0
	s_cbranch_execz .LBB1053_69
; %bb.68:
	v_lshrrev_b32_e32 v5, 24, v6
	v_mov_b32_e32 v7, 8
	v_perm_b32 v3, v3, v3, 0x3060504
	v_perm_b32 v5, v5, v6, 0x40c0100
	v_lshrrev_b32_sdwa v6, v7, v5 dst_sel:BYTE_1 dst_unused:UNUSED_PAD src0_sel:DWORD src1_sel:DWORD
	v_and_b32_e32 v7, 0xff0000, v4
	v_or_b32_sdwa v6, v5, v6 dst_sel:DWORD dst_unused:UNUSED_PAD src0_sel:BYTE_0 src1_sel:DWORD
	v_perm_b32 v31, v4, v7, 0x3020504
                                        ; implicit-def: $vgpr4
	v_and_b32_e32 v6, 0xffff, v6
	v_and_or_b32 v5, 0xff000000, v5, v6
                                        ; implicit-def: $vgpr6
.LBB1053_69:
	s_andn2_saveexec_b32 s1, s0
	s_cbranch_execz .LBB1053_73
; %bb.70:
	v_add_nc_u32_e32 v5, s17, v13
	v_add_nc_u32_e32 v7, s19, v13
	s_mov_b32 s2, 0
	s_mov_b32 s3, exec_lo
	v_mul_lo_u32 v5, v5, s16
	v_mul_lo_u32 v7, v7, s18
	v_sub_nc_u32_e32 v5, v5, v7
	v_cmp_lt_u32_e32 vcc_lo, s20, v5
	v_cmpx_ge_u32_e64 s20, v5
	s_cbranch_execz .LBB1053_72
; %bb.71:
	v_add_nc_u32_e32 v5, s22, v13
	v_add_nc_u32_e32 v7, s40, v13
	v_mul_lo_u32 v5, v5, s21
	v_mul_lo_u32 v7, v7, s23
	v_sub_nc_u32_e32 v5, v5, v7
	v_cmp_lt_u32_e64 s0, s41, v5
	s_and_b32 s2, s0, exec_lo
.LBB1053_72:
	s_or_b32 exec_lo, exec_lo, s3
	v_mov_b32_e32 v5, 8
	v_mov_b32_e32 v7, 24
	v_cndmask_b32_e64 v21, 0, 1, s2
	v_mov_b32_e32 v22, 0xff
	v_cndmask_b32_e64 v8, 0, 1, vcc_lo
	v_lshrrev_b32_sdwa v23, v5, v6 dst_sel:BYTE_1 dst_unused:UNUSED_PAD src0_sel:DWORD src1_sel:DWORD
	v_lshrrev_b32_sdwa v7, v7, v6 dst_sel:BYTE_1 dst_unused:UNUSED_PAD src0_sel:DWORD src1_sel:DWORD
	;; [unrolled: 1-line block ×3, first 2 shown]
	v_lshlrev_b16 v21, 8, v21
	v_and_b32_sdwa v22, v4, v22 dst_sel:DWORD dst_unused:UNUSED_PAD src0_sel:WORD_1 src1_sel:DWORD
	v_or_b32_sdwa v6, v6, v23 dst_sel:DWORD dst_unused:UNUSED_PAD src0_sel:BYTE_0 src1_sel:DWORD
	v_or_b32_sdwa v7, v8, v7 dst_sel:WORD_1 dst_unused:UNUSED_PAD src0_sel:DWORD src1_sel:DWORD
	v_or_b32_sdwa v4, v4, v5 dst_sel:DWORD dst_unused:UNUSED_PAD src0_sel:BYTE_0 src1_sel:DWORD
	v_or_b32_sdwa v8, v22, v21 dst_sel:WORD_1 dst_unused:UNUSED_PAD src0_sel:DWORD src1_sel:DWORD
	v_or_b32_sdwa v5, v6, v7 dst_sel:DWORD dst_unused:UNUSED_PAD src0_sel:WORD_0 src1_sel:DWORD
	v_or_b32_sdwa v31, v4, v8 dst_sel:DWORD dst_unused:UNUSED_PAD src0_sel:WORD_0 src1_sel:DWORD
.LBB1053_73:
	s_or_b32 exec_lo, exec_lo, s1
	v_add_nc_u32_e32 v4, 7, v29
                                        ; implicit-def: $vgpr32
	v_cmp_le_u32_e32 vcc_lo, s7, v4
                                        ; implicit-def: $vgpr4
	s_and_saveexec_b32 s0, vcc_lo
	s_xor_b32 s0, exec_lo, s0
	s_cbranch_execz .LBB1053_75
; %bb.74:
	v_mov_b32_e32 v4, 24
	v_mov_b32_e32 v6, 0xff
	;; [unrolled: 1-line block ×3, first 2 shown]
	v_lshrrev_b32_sdwa v4, v4, v3 dst_sel:BYTE_1 dst_unused:UNUSED_PAD src0_sel:DWORD src1_sel:DWORD
	v_and_b32_sdwa v6, v3, v6 dst_sel:DWORD dst_unused:UNUSED_PAD src0_sel:WORD_1 src1_sel:DWORD
	v_lshrrev_b32_sdwa v3, v7, v3 dst_sel:BYTE_1 dst_unused:UNUSED_PAD src0_sel:DWORD src1_sel:DWORD
	v_and_b32_e32 v7, 0xff0000, v5
	v_or_b32_sdwa v4, v6, v4 dst_sel:WORD_1 dst_unused:UNUSED_PAD src0_sel:DWORD src1_sel:DWORD
	v_perm_b32 v32, v5, v7, 0x3020504
                                        ; implicit-def: $vgpr5
	v_or_b32_sdwa v4, v3, v4 dst_sel:DWORD dst_unused:UNUSED_PAD src0_sel:WORD_0 src1_sel:DWORD
                                        ; implicit-def: $vgpr3
.LBB1053_75:
	s_andn2_saveexec_b32 s1, s0
	s_cbranch_execz .LBB1053_79
; %bb.76:
	v_add_nc_u32_e32 v4, s17, v14
	v_add_nc_u32_e32 v6, s19, v14
	s_mov_b32 s2, 0
	s_mov_b32 s3, exec_lo
	v_mul_lo_u32 v4, v4, s16
	v_mul_lo_u32 v6, v6, s18
	v_sub_nc_u32_e32 v4, v4, v6
	v_cmp_lt_u32_e32 vcc_lo, s20, v4
	v_cmpx_ge_u32_e64 s20, v4
	s_cbranch_execz .LBB1053_78
; %bb.77:
	v_add_nc_u32_e32 v4, s22, v14
	v_add_nc_u32_e32 v6, s40, v14
	v_mul_lo_u32 v4, v4, s21
	v_mul_lo_u32 v6, v6, s23
	v_sub_nc_u32_e32 v4, v4, v6
	v_cmp_lt_u32_e64 s0, s41, v4
	s_and_b32 s2, s0, exec_lo
.LBB1053_78:
	s_or_b32 exec_lo, exec_lo, s3
	v_mov_b32_e32 v4, 8
	v_cndmask_b32_e64 v6, 0, 1, vcc_lo
	v_mov_b32_e32 v7, 0xff
	v_mov_b32_e32 v8, 24
	v_cndmask_b32_e64 v21, 0, 1, s2
	v_lshrrev_b32_sdwa v22, v4, v5 dst_sel:BYTE_1 dst_unused:UNUSED_PAD src0_sel:DWORD src1_sel:DWORD
	v_lshlrev_b16 v6, 8, v6
	v_and_b32_sdwa v23, v5, v7 dst_sel:DWORD dst_unused:UNUSED_PAD src0_sel:WORD_1 src1_sel:DWORD
	v_lshrrev_b32_sdwa v8, v8, v3 dst_sel:BYTE_1 dst_unused:UNUSED_PAD src0_sel:DWORD src1_sel:DWORD
	v_and_b32_sdwa v7, v3, v7 dst_sel:DWORD dst_unused:UNUSED_PAD src0_sel:WORD_1 src1_sel:DWORD
	v_lshrrev_b32_sdwa v3, v4, v3 dst_sel:BYTE_1 dst_unused:UNUSED_PAD src0_sel:DWORD src1_sel:DWORD
	v_or_b32_sdwa v4, v5, v22 dst_sel:DWORD dst_unused:UNUSED_PAD src0_sel:BYTE_0 src1_sel:DWORD
	v_or_b32_sdwa v5, v23, v6 dst_sel:WORD_1 dst_unused:UNUSED_PAD src0_sel:DWORD src1_sel:DWORD
	v_or_b32_sdwa v6, v7, v8 dst_sel:WORD_1 dst_unused:UNUSED_PAD src0_sel:DWORD src1_sel:DWORD
	v_or_b32_e32 v3, v21, v3
	v_or_b32_sdwa v32, v4, v5 dst_sel:DWORD dst_unused:UNUSED_PAD src0_sel:WORD_0 src1_sel:DWORD
	v_or_b32_sdwa v4, v3, v6 dst_sel:DWORD dst_unused:UNUSED_PAD src0_sel:WORD_0 src1_sel:DWORD
.LBB1053_79:
	s_or_b32 exec_lo, exec_lo, s1
	v_add_nc_u32_e32 v3, 8, v29
                                        ; implicit-def: $vgpr5
	v_cmp_le_u32_e32 vcc_lo, s7, v3
                                        ; implicit-def: $vgpr3
	s_and_saveexec_b32 s0, vcc_lo
	s_xor_b32 s0, exec_lo, s0
	s_cbranch_execz .LBB1053_81
; %bb.80:
	v_mov_b32_e32 v3, 24
	v_mov_b32_e32 v5, 0xff
	v_mov_b32_e32 v6, 8
	v_perm_b32 v1, v1, v1, 0x3060504
	v_lshrrev_b32_sdwa v7, v3, v4 dst_sel:BYTE_1 dst_unused:UNUSED_PAD src0_sel:DWORD src1_sel:DWORD
	v_lshrrev_b32_sdwa v3, v3, v2 dst_sel:BYTE_1 dst_unused:UNUSED_PAD src0_sel:DWORD src1_sel:DWORD
	v_and_b32_sdwa v8, v2, v5 dst_sel:DWORD dst_unused:UNUSED_PAD src0_sel:WORD_1 src1_sel:DWORD
	v_and_b32_sdwa v5, v4, v5 dst_sel:DWORD dst_unused:UNUSED_PAD src0_sel:WORD_1 src1_sel:DWORD
	v_lshrrev_b32_sdwa v2, v6, v2 dst_sel:BYTE_1 dst_unused:UNUSED_PAD src0_sel:DWORD src1_sel:DWORD
	v_or_b32_sdwa v3, v8, v3 dst_sel:WORD_1 dst_unused:UNUSED_PAD src0_sel:DWORD src1_sel:DWORD
	v_or_b32_e32 v5, v5, v7
	v_or_b32_sdwa v3, v2, v3 dst_sel:DWORD dst_unused:UNUSED_PAD src0_sel:WORD_0 src1_sel:DWORD
	v_perm_b32 v5, v5, v4, 0x5040c00
                                        ; implicit-def: $vgpr2
                                        ; implicit-def: $vgpr4
.LBB1053_81:
	s_andn2_saveexec_b32 s1, s0
	s_cbranch_execz .LBB1053_85
; %bb.82:
	v_add_nc_u32_e32 v3, s17, v11
	v_add_nc_u32_e32 v5, s19, v11
	s_mov_b32 s2, 0
	s_mov_b32 s3, exec_lo
	v_mul_lo_u32 v3, v3, s16
	v_mul_lo_u32 v5, v5, s18
	v_sub_nc_u32_e32 v3, v3, v5
	v_cmp_lt_u32_e32 vcc_lo, s20, v3
	v_cmpx_ge_u32_e64 s20, v3
	s_cbranch_execz .LBB1053_84
; %bb.83:
	v_add_nc_u32_e32 v3, s22, v11
	v_add_nc_u32_e32 v5, s40, v11
	v_mul_lo_u32 v3, v3, s21
	v_mul_lo_u32 v5, v5, s23
	v_sub_nc_u32_e32 v3, v3, v5
	v_cmp_lt_u32_e64 s0, s41, v3
	s_and_b32 s2, s0, exec_lo
.LBB1053_84:
	s_or_b32 exec_lo, exec_lo, s3
	v_mov_b32_e32 v3, 24
	v_mov_b32_e32 v5, 0xff
	;; [unrolled: 1-line block ×3, first 2 shown]
	v_cndmask_b32_e64 v7, 0, 1, s2
	v_cndmask_b32_e64 v8, 0, 1, vcc_lo
	v_lshrrev_b32_sdwa v21, v3, v2 dst_sel:BYTE_1 dst_unused:UNUSED_PAD src0_sel:DWORD src1_sel:DWORD
	v_and_b32_sdwa v22, v2, v5 dst_sel:DWORD dst_unused:UNUSED_PAD src0_sel:WORD_1 src1_sel:DWORD
	v_lshrrev_b32_sdwa v2, v6, v2 dst_sel:BYTE_1 dst_unused:UNUSED_PAD src0_sel:DWORD src1_sel:DWORD
	v_lshlrev_b16 v6, 8, v7
	v_lshrrev_b32_sdwa v3, v3, v4 dst_sel:BYTE_1 dst_unused:UNUSED_PAD src0_sel:DWORD src1_sel:DWORD
	v_and_b32_sdwa v5, v4, v5 dst_sel:DWORD dst_unused:UNUSED_PAD src0_sel:WORD_1 src1_sel:DWORD
	v_or_b32_sdwa v7, v22, v21 dst_sel:WORD_1 dst_unused:UNUSED_PAD src0_sel:DWORD src1_sel:DWORD
	v_or_b32_e32 v2, v8, v2
	v_or_b32_sdwa v4, v4, v6 dst_sel:DWORD dst_unused:UNUSED_PAD src0_sel:BYTE_0 src1_sel:DWORD
	v_or_b32_sdwa v5, v5, v3 dst_sel:WORD_1 dst_unused:UNUSED_PAD src0_sel:DWORD src1_sel:DWORD
	v_or_b32_sdwa v3, v2, v7 dst_sel:DWORD dst_unused:UNUSED_PAD src0_sel:WORD_0 src1_sel:DWORD
	v_or_b32_sdwa v5, v4, v5 dst_sel:DWORD dst_unused:UNUSED_PAD src0_sel:WORD_0 src1_sel:DWORD
.LBB1053_85:
	s_or_b32 exec_lo, exec_lo, s1
	v_add_nc_u32_e32 v2, 9, v29
                                        ; implicit-def: $vgpr4
	v_cmp_le_u32_e32 vcc_lo, s7, v2
                                        ; implicit-def: $vgpr2
	s_and_saveexec_b32 s0, vcc_lo
	s_xor_b32 s0, exec_lo, s0
	s_cbranch_execz .LBB1053_87
; %bb.86:
	v_lshrrev_b32_e32 v2, 24, v5
	v_mov_b32_e32 v4, 8
	v_mov_b32_e32 v6, 0xff
	v_perm_b32 v1, v1, v1, 0x3060504
	v_perm_b32 v2, v2, v5, 0x40c0100
	v_mov_b32_e32 v5, 24
	v_and_b32_sdwa v6, v3, v6 dst_sel:DWORD dst_unused:UNUSED_PAD src0_sel:WORD_1 src1_sel:DWORD
	v_lshrrev_b32_sdwa v4, v4, v2 dst_sel:BYTE_1 dst_unused:UNUSED_PAD src0_sel:DWORD src1_sel:DWORD
	v_lshrrev_b32_sdwa v5, v5, v3 dst_sel:BYTE_1 dst_unused:UNUSED_PAD src0_sel:DWORD src1_sel:DWORD
	v_or_b32_sdwa v4, v2, v4 dst_sel:DWORD dst_unused:UNUSED_PAD src0_sel:BYTE_0 src1_sel:DWORD
	v_or_b32_e32 v5, v6, v5
	v_and_b32_e32 v6, 0xffff, v4
	v_perm_b32 v4, v5, v3, 0x5040c00
                                        ; implicit-def: $vgpr3
                                        ; implicit-def: $vgpr5
	v_and_or_b32 v2, 0xff000000, v2, v6
.LBB1053_87:
	s_andn2_saveexec_b32 s1, s0
	s_cbranch_execz .LBB1053_91
; %bb.88:
	v_add_nc_u32_e32 v2, s17, v12
	v_add_nc_u32_e32 v4, s19, v12
	s_mov_b32 s2, 0
	s_mov_b32 s3, exec_lo
	v_mul_lo_u32 v2, v2, s16
	v_mul_lo_u32 v4, v4, s18
	v_sub_nc_u32_e32 v2, v2, v4
	v_cmp_lt_u32_e32 vcc_lo, s20, v2
	v_cmpx_ge_u32_e64 s20, v2
	s_cbranch_execz .LBB1053_90
; %bb.89:
	v_add_nc_u32_e32 v2, s22, v12
	v_add_nc_u32_e32 v4, s40, v12
	v_mul_lo_u32 v2, v2, s21
	v_mul_lo_u32 v4, v4, s23
	v_sub_nc_u32_e32 v2, v2, v4
	v_cmp_lt_u32_e64 s0, s41, v2
	s_and_b32 s2, s0, exec_lo
.LBB1053_90:
	s_or_b32 exec_lo, exec_lo, s3
	v_cndmask_b32_e64 v2, 0, 1, vcc_lo
	v_mov_b32_e32 v4, 24
	v_mov_b32_e32 v6, 0xff
	;; [unrolled: 1-line block ×3, first 2 shown]
	v_cndmask_b32_e64 v8, 0, 1, s2
	v_lshlrev_b16 v2, 8, v2
	v_lshrrev_b32_sdwa v21, v4, v3 dst_sel:BYTE_1 dst_unused:UNUSED_PAD src0_sel:DWORD src1_sel:DWORD
	v_and_b32_sdwa v6, v3, v6 dst_sel:DWORD dst_unused:UNUSED_PAD src0_sel:WORD_1 src1_sel:DWORD
	v_lshrrev_b32_sdwa v7, v7, v5 dst_sel:BYTE_1 dst_unused:UNUSED_PAD src0_sel:DWORD src1_sel:DWORD
	v_lshrrev_b32_sdwa v4, v4, v5 dst_sel:BYTE_1 dst_unused:UNUSED_PAD src0_sel:DWORD src1_sel:DWORD
	v_or_b32_sdwa v2, v3, v2 dst_sel:DWORD dst_unused:UNUSED_PAD src0_sel:BYTE_0 src1_sel:DWORD
	v_or_b32_sdwa v3, v6, v21 dst_sel:WORD_1 dst_unused:UNUSED_PAD src0_sel:DWORD src1_sel:DWORD
	v_or_b32_sdwa v5, v5, v7 dst_sel:DWORD dst_unused:UNUSED_PAD src0_sel:BYTE_0 src1_sel:DWORD
	v_or_b32_sdwa v6, v8, v4 dst_sel:WORD_1 dst_unused:UNUSED_PAD src0_sel:DWORD src1_sel:DWORD
	v_or_b32_sdwa v4, v2, v3 dst_sel:DWORD dst_unused:UNUSED_PAD src0_sel:WORD_0 src1_sel:DWORD
	v_or_b32_sdwa v2, v5, v6 dst_sel:DWORD dst_unused:UNUSED_PAD src0_sel:WORD_0 src1_sel:DWORD
.LBB1053_91:
	s_or_b32 exec_lo, exec_lo, s1
	v_add_nc_u32_e32 v3, 10, v29
                                        ; implicit-def: $vgpr33
	v_cmp_le_u32_e32 vcc_lo, s7, v3
                                        ; implicit-def: $vgpr3
	s_and_saveexec_b32 s0, vcc_lo
	s_xor_b32 s0, exec_lo, s0
	s_cbranch_execz .LBB1053_93
; %bb.92:
	v_lshrrev_b32_e32 v3, 24, v4
	v_mov_b32_e32 v5, 8
	v_perm_b32 v1, v1, v1, 0x3060504
	v_perm_b32 v3, v3, v4, 0x40c0100
	v_lshrrev_b32_sdwa v4, v5, v3 dst_sel:BYTE_1 dst_unused:UNUSED_PAD src0_sel:DWORD src1_sel:DWORD
	v_and_b32_e32 v5, 0xff0000, v2
	v_or_b32_sdwa v4, v3, v4 dst_sel:DWORD dst_unused:UNUSED_PAD src0_sel:BYTE_0 src1_sel:DWORD
	v_perm_b32 v33, v2, v5, 0x3020504
                                        ; implicit-def: $vgpr2
	v_and_b32_e32 v4, 0xffff, v4
	v_and_or_b32 v3, 0xff000000, v3, v4
                                        ; implicit-def: $vgpr4
.LBB1053_93:
	s_andn2_saveexec_b32 s1, s0
	s_cbranch_execz .LBB1053_97
; %bb.94:
	v_add_nc_u32_e32 v3, s17, v9
	v_add_nc_u32_e32 v5, s19, v9
	s_mov_b32 s2, 0
	s_mov_b32 s3, exec_lo
	v_mul_lo_u32 v3, v3, s16
	v_mul_lo_u32 v5, v5, s18
	v_sub_nc_u32_e32 v3, v3, v5
	v_cmp_lt_u32_e32 vcc_lo, s20, v3
	v_cmpx_ge_u32_e64 s20, v3
	s_cbranch_execz .LBB1053_96
; %bb.95:
	v_add_nc_u32_e32 v3, s22, v9
	v_add_nc_u32_e32 v5, s40, v9
	v_mul_lo_u32 v3, v3, s21
	v_mul_lo_u32 v5, v5, s23
	v_sub_nc_u32_e32 v3, v3, v5
	v_cmp_lt_u32_e64 s0, s41, v3
	s_and_b32 s2, s0, exec_lo
.LBB1053_96:
	s_or_b32 exec_lo, exec_lo, s3
	v_mov_b32_e32 v3, 8
	v_mov_b32_e32 v5, 24
	v_cndmask_b32_e64 v7, 0, 1, s2
	v_mov_b32_e32 v8, 0xff
	v_cndmask_b32_e64 v6, 0, 1, vcc_lo
	v_lshrrev_b32_sdwa v21, v3, v4 dst_sel:BYTE_1 dst_unused:UNUSED_PAD src0_sel:DWORD src1_sel:DWORD
	v_lshrrev_b32_sdwa v5, v5, v4 dst_sel:BYTE_1 dst_unused:UNUSED_PAD src0_sel:DWORD src1_sel:DWORD
	v_lshrrev_b32_sdwa v3, v3, v2 dst_sel:BYTE_1 dst_unused:UNUSED_PAD src0_sel:DWORD src1_sel:DWORD
	v_lshlrev_b16 v7, 8, v7
	v_and_b32_sdwa v8, v2, v8 dst_sel:DWORD dst_unused:UNUSED_PAD src0_sel:WORD_1 src1_sel:DWORD
	v_or_b32_sdwa v4, v4, v21 dst_sel:DWORD dst_unused:UNUSED_PAD src0_sel:BYTE_0 src1_sel:DWORD
	v_or_b32_sdwa v5, v6, v5 dst_sel:WORD_1 dst_unused:UNUSED_PAD src0_sel:DWORD src1_sel:DWORD
	v_or_b32_sdwa v2, v2, v3 dst_sel:DWORD dst_unused:UNUSED_PAD src0_sel:BYTE_0 src1_sel:DWORD
	v_or_b32_sdwa v6, v8, v7 dst_sel:WORD_1 dst_unused:UNUSED_PAD src0_sel:DWORD src1_sel:DWORD
	v_or_b32_sdwa v3, v4, v5 dst_sel:DWORD dst_unused:UNUSED_PAD src0_sel:WORD_0 src1_sel:DWORD
	v_or_b32_sdwa v33, v2, v6 dst_sel:DWORD dst_unused:UNUSED_PAD src0_sel:WORD_0 src1_sel:DWORD
.LBB1053_97:
	s_or_b32 exec_lo, exec_lo, s1
	v_add_nc_u32_e32 v2, 11, v29
	v_mov_b32_e32 v34, 0
	s_mov_b32 s0, exec_lo
                                        ; implicit-def: $vgpr35
	v_cmpx_le_u32_e64 s7, v2
	s_xor_b32 s0, exec_lo, s0
; %bb.98:
	v_and_b32_e32 v2, 0xff0000, v3
	v_perm_b32 v1, v1, v1, 0x3060504
	v_perm_b32 v35, v3, v2, 0x3020504
                                        ; implicit-def: $vgpr3
; %bb.99:
	s_andn2_saveexec_b32 s1, s0
	s_cbranch_execz .LBB1053_103
; %bb.100:
	v_add_nc_u32_e32 v2, s17, v10
	v_add_nc_u32_e32 v4, s19, v10
	s_mov_b32 s2, 0
	s_mov_b32 s3, exec_lo
	v_mul_lo_u32 v2, v2, s16
	v_mul_lo_u32 v4, v4, s18
	v_sub_nc_u32_e32 v2, v2, v4
	v_cmp_lt_u32_e32 vcc_lo, s20, v2
	v_cmpx_ge_u32_e64 s20, v2
	s_cbranch_execz .LBB1053_102
; %bb.101:
	v_add_nc_u32_e32 v2, s22, v10
	v_add_nc_u32_e32 v4, s40, v10
	v_mul_lo_u32 v2, v2, s21
	v_mul_lo_u32 v4, v4, s23
	v_sub_nc_u32_e32 v2, v2, v4
	v_cmp_lt_u32_e64 s0, s41, v2
	s_and_b32 s2, s0, exec_lo
.LBB1053_102:
	s_or_b32 exec_lo, exec_lo, s3
	v_mov_b32_e32 v2, 8
	v_cndmask_b32_e64 v4, 0, 1, vcc_lo
	v_mov_b32_e32 v5, 0xff
	v_cndmask_b32_e64 v34, 0, 1, s2
	v_lshrrev_b32_sdwa v2, v2, v3 dst_sel:BYTE_1 dst_unused:UNUSED_PAD src0_sel:DWORD src1_sel:DWORD
	v_lshlrev_b16 v4, 8, v4
	v_and_b32_sdwa v5, v3, v5 dst_sel:DWORD dst_unused:UNUSED_PAD src0_sel:WORD_1 src1_sel:DWORD
	v_or_b32_sdwa v2, v3, v2 dst_sel:DWORD dst_unused:UNUSED_PAD src0_sel:BYTE_0 src1_sel:DWORD
	v_or_b32_sdwa v3, v5, v4 dst_sel:WORD_1 dst_unused:UNUSED_PAD src0_sel:DWORD src1_sel:DWORD
	v_or_b32_sdwa v35, v2, v3 dst_sel:DWORD dst_unused:UNUSED_PAD src0_sel:WORD_0 src1_sel:DWORD
.LBB1053_103:
	s_or_b32 exec_lo, exec_lo, s1
	v_add_nc_u32_e32 v2, 12, v29
	s_mov_b32 s0, exec_lo
                                        ; implicit-def: $vgpr36
	v_cmpx_le_u32_e64 s7, v2
	s_xor_b32 s0, exec_lo, s0
	s_cbranch_execz .LBB1053_105
; %bb.104:
	v_mov_b32_e32 v2, 24
	v_mov_b32_e32 v3, 0xff
	;; [unrolled: 1-line block ×3, first 2 shown]
	v_lshrrev_b32_sdwa v2, v2, v1 dst_sel:BYTE_1 dst_unused:UNUSED_PAD src0_sel:DWORD src1_sel:DWORD
	v_and_b32_sdwa v3, v1, v3 dst_sel:DWORD dst_unused:UNUSED_PAD src0_sel:WORD_1 src1_sel:DWORD
	v_lshrrev_b32_sdwa v1, v4, v1 dst_sel:BYTE_1 dst_unused:UNUSED_PAD src0_sel:DWORD src1_sel:DWORD
	v_or_b32_sdwa v2, v3, v2 dst_sel:WORD_1 dst_unused:UNUSED_PAD src0_sel:DWORD src1_sel:DWORD
	v_or_b32_sdwa v36, v1, v2 dst_sel:DWORD dst_unused:UNUSED_PAD src0_sel:WORD_0 src1_sel:DWORD
                                        ; implicit-def: $vgpr1
.LBB1053_105:
	s_or_saveexec_b32 s1, s0
	v_mov_b32_e32 v37, 0
	s_xor_b32 exec_lo, exec_lo, s1
	s_cbranch_execz .LBB1053_109
; %bb.106:
	v_add_nc_u32_e32 v2, s17, v28
	v_add_nc_u32_e32 v3, s19, v28
	s_mov_b32 s2, 0
	s_mov_b32 s3, exec_lo
	v_mul_lo_u32 v2, v2, s16
	v_mul_lo_u32 v3, v3, s18
	v_sub_nc_u32_e32 v2, v2, v3
	v_cmp_lt_u32_e32 vcc_lo, s20, v2
	v_cmpx_ge_u32_e64 s20, v2
	s_cbranch_execz .LBB1053_108
; %bb.107:
	v_add_nc_u32_e32 v2, s22, v28
	v_add_nc_u32_e32 v3, s40, v28
	v_mul_lo_u32 v2, v2, s21
	v_mul_lo_u32 v3, v3, s23
	v_sub_nc_u32_e32 v2, v2, v3
	v_cmp_lt_u32_e64 s0, s41, v2
	s_and_b32 s2, s0, exec_lo
.LBB1053_108:
	s_or_b32 exec_lo, exec_lo, s3
	v_mov_b32_e32 v2, 24
	v_mov_b32_e32 v3, 0xff
	;; [unrolled: 1-line block ×3, first 2 shown]
	v_cndmask_b32_e64 v5, 0, 1, vcc_lo
	v_cndmask_b32_e64 v37, 0, 1, s2
	v_lshrrev_b32_sdwa v2, v2, v1 dst_sel:BYTE_1 dst_unused:UNUSED_PAD src0_sel:DWORD src1_sel:DWORD
	v_and_b32_sdwa v3, v1, v3 dst_sel:DWORD dst_unused:UNUSED_PAD src0_sel:WORD_1 src1_sel:DWORD
	v_lshrrev_b32_sdwa v1, v4, v1 dst_sel:BYTE_1 dst_unused:UNUSED_PAD src0_sel:DWORD src1_sel:DWORD
	v_or_b32_sdwa v2, v3, v2 dst_sel:WORD_1 dst_unused:UNUSED_PAD src0_sel:DWORD src1_sel:DWORD
	v_or_b32_e32 v1, v5, v1
	v_or_b32_sdwa v36, v1, v2 dst_sel:DWORD dst_unused:UNUSED_PAD src0_sel:WORD_0 src1_sel:DWORD
.LBB1053_109:
	s_or_b32 exec_lo, exec_lo, s1
.LBB1053_110:
	v_and_b32_e32 v60, 0xff, v30
	v_bfe_u32 v61, v36, 8, 8
	v_bfe_u32 v57, v30, 8, 8
	;; [unrolled: 1-line block ×4, first 2 shown]
	v_lshrrev_b32_e32 v43, 24, v36
	v_lshrrev_b32_e32 v42, 24, v30
	v_and_b32_e32 v56, 0xff, v31
	v_and_b32_e32 v54, 0xff, v32
	v_bfe_u32 v55, v31, 8, 8
	v_add3_u32 v1, v57, v60, v59
	v_add3_u32 v2, v58, v61, v43
	v_bfe_u32 v52, v32, 8, 8
	v_bfe_u32 v53, v31, 16, 8
	;; [unrolled: 1-line block ×3, first 2 shown]
	v_lshrrev_b32_e32 v41, 24, v31
	v_add3_u32 v1, v1, v42, v54
	v_add3_u32 v2, v2, v56, v55
	v_lshrrev_b32_e32 v40, 24, v32
	v_and_b32_e32 v51, 0xff, v33
	v_and_b32_e32 v49, 0xff, v35
	v_bfe_u32 v50, v33, 8, 8
	v_add3_u32 v1, v1, v52, v46
	v_add3_u32 v2, v2, v53, v41
	v_bfe_u32 v47, v35, 8, 8
	v_bfe_u32 v48, v33, 16, 8
	;; [unrolled: 1-line block ×3, first 2 shown]
	v_lshrrev_b32_e32 v39, 24, v33
	v_add3_u32 v1, v1, v40, v49
	v_add3_u32 v2, v2, v51, v50
	v_mbcnt_lo_u32_b32 v62, -1, 0
	v_lshrrev_b32_e32 v38, 24, v35
	v_and_b32_e32 v44, 0xff, v34
	v_and_b32_e32 v3, 0xff, v36
	;; [unrolled: 1-line block ×3, first 2 shown]
	v_add3_u32 v1, v1, v47, v45
	v_add3_u32 v2, v2, v48, v39
	v_and_b32_e32 v64, 15, v62
	v_and_b32_e32 v66, 16, v62
	v_lshrrev_b32_e32 v63, 5, v0
	v_add3_u32 v67, v1, v38, v3
	v_add3_u32 v68, v2, v44, v4
	v_cmp_eq_u32_e64 s1, 0, v64
	v_cmp_lt_u32_e64 s0, 1, v64
	v_cmp_lt_u32_e64 s2, 3, v64
	v_or_b32_e32 v65, 31, v0
	s_cmp_lg_u32 s6, 0
	s_mov_b32 s3, -1
	v_cmp_lt_u32_e32 vcc_lo, 7, v64
	s_cbranch_scc0 .LBB1053_132
; %bb.111:
	v_mov_b32_dpp v1, v68 row_shr:1 row_mask:0xf bank_mask:0xf
	v_mov_b32_dpp v2, v67 row_shr:1 row_mask:0xf bank_mask:0xf
	s_mov_b32 s3, exec_lo
	v_add_nc_u32_e32 v1, v1, v68
	v_add_nc_u32_e32 v2, v2, v67
	v_cndmask_b32_e64 v1, v1, v68, s1
	v_cndmask_b32_e64 v2, v2, v67, s1
	v_mov_b32_dpp v3, v1 row_shr:2 row_mask:0xf bank_mask:0xf
	v_mov_b32_dpp v4, v2 row_shr:2 row_mask:0xf bank_mask:0xf
	v_add_nc_u32_e32 v3, v1, v3
	v_add_nc_u32_e32 v4, v2, v4
	v_cndmask_b32_e64 v1, v1, v3, s0
	v_cndmask_b32_e64 v2, v2, v4, s0
	v_mov_b32_dpp v3, v1 row_shr:4 row_mask:0xf bank_mask:0xf
	v_mov_b32_dpp v4, v2 row_shr:4 row_mask:0xf bank_mask:0xf
	;; [unrolled: 6-line block ×3, first 2 shown]
	v_add_nc_u32_e32 v3, v1, v3
	v_add_nc_u32_e32 v4, v2, v4
	v_cndmask_b32_e32 v1, v1, v3, vcc_lo
	v_cndmask_b32_e32 v2, v2, v4, vcc_lo
	v_cmp_eq_u32_e32 vcc_lo, 0, v66
	ds_swizzle_b32 v3, v1 offset:swizzle(BROADCAST,32,15)
	ds_swizzle_b32 v4, v2 offset:swizzle(BROADCAST,32,15)
	s_waitcnt lgkmcnt(0)
	v_add_nc_u32_e32 v3, v1, v3
	v_add_nc_u32_e32 v4, v2, v4
	v_cmpx_eq_u32_e64 v0, v65
	s_cbranch_execz .LBB1053_113
; %bb.112:
	v_lshlrev_b32_e32 v7, 3, v63
	v_cndmask_b32_e32 v6, v3, v1, vcc_lo
	v_cndmask_b32_e32 v5, v4, v2, vcc_lo
	ds_write_b64 v7, v[5:6]
.LBB1053_113:
	s_or_b32 exec_lo, exec_lo, s3
	s_mov_b32 s3, exec_lo
	s_waitcnt lgkmcnt(0)
	s_barrier
	buffer_gl0_inv
	v_cmpx_gt_u32_e32 8, v0
	s_cbranch_execz .LBB1053_115
; %bb.114:
	v_lshlrev_b32_e32 v7, 3, v0
	v_and_b32_e32 v22, 7, v62
	ds_read_b64 v[5:6], v7
	v_cmp_eq_u32_e64 s2, 0, v22
	s_waitcnt lgkmcnt(0)
	v_mov_b32_dpp v8, v5 row_shr:1 row_mask:0xf bank_mask:0xf
	v_mov_b32_dpp v21, v6 row_shr:1 row_mask:0xf bank_mask:0xf
	v_add_nc_u32_e32 v8, v8, v5
	v_add_nc_u32_e32 v21, v21, v6
	v_cndmask_b32_e64 v5, v8, v5, s2
	v_cndmask_b32_e64 v6, v21, v6, s2
	v_cmp_lt_u32_e64 s2, 1, v22
	v_mov_b32_dpp v8, v5 row_shr:2 row_mask:0xf bank_mask:0xf
	v_mov_b32_dpp v21, v6 row_shr:2 row_mask:0xf bank_mask:0xf
	v_add_nc_u32_e32 v8, v5, v8
	v_add_nc_u32_e32 v21, v6, v21
	v_cndmask_b32_e64 v5, v5, v8, s2
	v_cndmask_b32_e64 v6, v6, v21, s2
	v_cmp_lt_u32_e64 s2, 3, v22
	v_mov_b32_dpp v8, v5 row_shr:4 row_mask:0xf bank_mask:0xf
	v_mov_b32_dpp v21, v6 row_shr:4 row_mask:0xf bank_mask:0xf
	v_cndmask_b32_e64 v8, 0, v8, s2
	v_cndmask_b32_e64 v21, 0, v21, s2
	v_add_nc_u32_e32 v5, v8, v5
	v_add_nc_u32_e32 v6, v21, v6
	ds_write_b64 v7, v[5:6]
.LBB1053_115:
	s_or_b32 exec_lo, exec_lo, s3
	v_cndmask_b32_e32 v1, v3, v1, vcc_lo
	v_cndmask_b32_e32 v2, v4, v2, vcc_lo
	s_mov_b32 s3, exec_lo
	v_cmp_gt_u32_e32 vcc_lo, 32, v0
	s_waitcnt lgkmcnt(0)
	s_barrier
	buffer_gl0_inv
                                        ; implicit-def: $vgpr21
	v_cmpx_lt_u32_e32 31, v0
	s_cbranch_execz .LBB1053_117
; %bb.116:
	v_lshl_add_u32 v3, v63, 3, -8
	ds_read_b64 v[21:22], v3
	s_waitcnt lgkmcnt(0)
	v_add_nc_u32_e32 v1, v22, v1
	v_add_nc_u32_e32 v2, v21, v2
.LBB1053_117:
	s_or_b32 exec_lo, exec_lo, s3
	v_sub_co_u32 v3, s2, v62, 1
	v_cmp_gt_i32_e64 s3, 0, v3
	v_cndmask_b32_e64 v3, v3, v62, s3
	v_lshlrev_b32_e32 v3, 2, v3
	ds_bpermute_b32 v69, v3, v2
	ds_bpermute_b32 v70, v3, v1
	s_and_saveexec_b32 s3, vcc_lo
	s_cbranch_execz .LBB1053_137
; %bb.118:
	v_mov_b32_e32 v4, 0
	ds_read_b64 v[1:2], v4 offset:56
	s_and_saveexec_b32 s8, s2
	s_cbranch_execz .LBB1053_120
; %bb.119:
	s_add_i32 s10, s6, 32
	s_mov_b32 s11, 0
	v_mov_b32_e32 v3, 1
	s_lshl_b64 s[10:11], s[10:11], 4
	s_add_u32 s10, s4, s10
	s_addc_u32 s11, s5, s11
	v_mov_b32_e32 v5, s10
	v_mov_b32_e32 v6, s11
	s_waitcnt lgkmcnt(0)
	;;#ASMSTART
	global_store_dwordx4 v[5:6], v[1:4] off	
s_waitcnt vmcnt(0)
	;;#ASMEND
.LBB1053_120:
	s_or_b32 exec_lo, exec_lo, s8
	v_xad_u32 v23, v62, -1, s6
	s_mov_b32 s9, 0
	v_add_nc_u32_e32 v3, 32, v23
	v_lshlrev_b64 v[5:6], 4, v[3:4]
	v_add_co_u32 v24, vcc_lo, s4, v5
	v_add_co_ci_u32_e64 v25, null, s5, v6, vcc_lo
	;;#ASMSTART
	global_load_dwordx4 v[5:8], v[24:25] off glc dlc	
s_waitcnt vmcnt(0)
	;;#ASMEND
	v_cmp_eq_u16_sdwa s10, v7, v4 src0_sel:BYTE_0 src1_sel:DWORD
	s_and_saveexec_b32 s8, s10
	s_cbranch_execz .LBB1053_124
; %bb.121:
	v_mov_b32_e32 v3, 0
.LBB1053_122:                           ; =>This Inner Loop Header: Depth=1
	;;#ASMSTART
	global_load_dwordx4 v[5:8], v[24:25] off glc dlc	
s_waitcnt vmcnt(0)
	;;#ASMEND
	v_cmp_ne_u16_sdwa s10, v7, v3 src0_sel:BYTE_0 src1_sel:DWORD
	s_or_b32 s9, s10, s9
	s_andn2_b32 exec_lo, exec_lo, s9
	s_cbranch_execnz .LBB1053_122
; %bb.123:
	s_or_b32 exec_lo, exec_lo, s9
.LBB1053_124:
	s_or_b32 exec_lo, exec_lo, s8
	v_cmp_ne_u32_e32 vcc_lo, 31, v62
	v_mov_b32_e32 v72, 2
	v_lshlrev_b32_e64 v73, v62, -1
	v_add_nc_u32_e32 v75, 2, v62
	v_add_nc_u32_e32 v77, 4, v62
	v_add_co_ci_u32_e64 v3, null, 0, v62, vcc_lo
	v_cmp_eq_u16_sdwa s8, v7, v72 src0_sel:BYTE_0 src1_sel:DWORD
	v_cmp_gt_u32_e32 vcc_lo, 30, v62
	v_add_nc_u32_e32 v79, 8, v62
	v_lshlrev_b32_e32 v71, 2, v3
	v_lshl_or_b32 v80, v62, 2, 64
	v_and_b32_e32 v8, s8, v73
	v_cndmask_b32_e64 v24, 0, 2, vcc_lo
	v_add_nc_u32_e32 v81, 16, v62
	ds_bpermute_b32 v3, v71, v6
	ds_bpermute_b32 v4, v71, v5
	v_or_b32_e32 v8, 0x80000000, v8
	v_add_lshl_u32 v74, v24, v62, 2
	v_ffbl_b32_e32 v8, v8
	v_cmp_lt_u32_e32 vcc_lo, v62, v8
	s_waitcnt lgkmcnt(1)
	v_add_nc_u32_e32 v3, v3, v6
	s_waitcnt lgkmcnt(0)
	v_add_nc_u32_e32 v4, v4, v5
	v_cndmask_b32_e32 v3, v6, v3, vcc_lo
	v_cndmask_b32_e32 v4, v5, v4, vcc_lo
	v_cmp_gt_u32_e32 vcc_lo, 28, v62
	ds_bpermute_b32 v5, v74, v3
	ds_bpermute_b32 v6, v74, v4
	v_cndmask_b32_e64 v24, 0, 4, vcc_lo
	v_cmp_gt_u32_e32 vcc_lo, v75, v8
	v_add_lshl_u32 v76, v24, v62, 2
	s_waitcnt lgkmcnt(1)
	v_add_nc_u32_e32 v5, v3, v5
	s_waitcnt lgkmcnt(0)
	v_add_nc_u32_e32 v6, v4, v6
	v_cndmask_b32_e32 v3, v5, v3, vcc_lo
	v_cndmask_b32_e32 v4, v6, v4, vcc_lo
	v_cmp_gt_u32_e32 vcc_lo, 24, v62
	ds_bpermute_b32 v5, v76, v3
	ds_bpermute_b32 v6, v76, v4
	v_cndmask_b32_e64 v24, 0, 8, vcc_lo
	v_cmp_gt_u32_e32 vcc_lo, v77, v8
	v_add_lshl_u32 v78, v24, v62, 2
	v_mov_b32_e32 v24, 0
	s_waitcnt lgkmcnt(1)
	v_add_nc_u32_e32 v5, v3, v5
	s_waitcnt lgkmcnt(0)
	v_add_nc_u32_e32 v6, v4, v6
	v_cndmask_b32_e32 v3, v5, v3, vcc_lo
	v_cndmask_b32_e32 v4, v6, v4, vcc_lo
	v_cmp_gt_u32_e32 vcc_lo, v79, v8
	ds_bpermute_b32 v5, v78, v3
	ds_bpermute_b32 v6, v78, v4
	s_waitcnt lgkmcnt(1)
	v_add_nc_u32_e32 v5, v3, v5
	s_waitcnt lgkmcnt(0)
	v_add_nc_u32_e32 v6, v4, v6
	v_cndmask_b32_e32 v3, v5, v3, vcc_lo
	v_cndmask_b32_e32 v4, v6, v4, vcc_lo
	v_cmp_le_u32_e32 vcc_lo, v81, v8
	ds_bpermute_b32 v6, v80, v3
	ds_bpermute_b32 v5, v80, v4
	s_waitcnt lgkmcnt(1)
	v_cndmask_b32_e32 v6, 0, v6, vcc_lo
	s_waitcnt lgkmcnt(0)
	v_cndmask_b32_e32 v5, 0, v5, vcc_lo
	v_add_nc_u32_e32 v6, v6, v3
	v_add_nc_u32_e32 v5, v5, v4
	s_branch .LBB1053_128
.LBB1053_125:                           ;   in Loop: Header=BB1053_128 Depth=1
	s_or_b32 exec_lo, exec_lo, s9
.LBB1053_126:                           ;   in Loop: Header=BB1053_128 Depth=1
	s_or_b32 exec_lo, exec_lo, s8
	ds_bpermute_b32 v8, v71, v5
	ds_bpermute_b32 v25, v71, v6
	v_cmp_eq_u16_sdwa s8, v7, v72 src0_sel:BYTE_0 src1_sel:DWORD
	v_subrev_nc_u32_e32 v23, 32, v23
	v_and_or_b32 v26, s8, v73, 0x80000000
	s_mov_b32 s8, 0
	v_ffbl_b32_e32 v26, v26
	v_cmp_lt_u32_e32 vcc_lo, v62, v26
	s_waitcnt lgkmcnt(1)
	v_add_nc_u32_e32 v8, v8, v5
	s_waitcnt lgkmcnt(0)
	v_add_nc_u32_e32 v25, v25, v6
	v_cndmask_b32_e32 v5, v5, v8, vcc_lo
	v_cndmask_b32_e32 v6, v6, v25, vcc_lo
	v_cmp_gt_u32_e32 vcc_lo, v75, v26
	ds_bpermute_b32 v8, v74, v5
	ds_bpermute_b32 v25, v74, v6
	s_waitcnt lgkmcnt(1)
	v_add_nc_u32_e32 v8, v5, v8
	s_waitcnt lgkmcnt(0)
	v_add_nc_u32_e32 v25, v6, v25
	v_cndmask_b32_e32 v5, v8, v5, vcc_lo
	v_cndmask_b32_e32 v6, v25, v6, vcc_lo
	v_cmp_gt_u32_e32 vcc_lo, v77, v26
	ds_bpermute_b32 v8, v76, v5
	ds_bpermute_b32 v25, v76, v6
	;; [unrolled: 9-line block ×3, first 2 shown]
	s_waitcnt lgkmcnt(1)
	v_add_nc_u32_e32 v8, v5, v8
	s_waitcnt lgkmcnt(0)
	v_add_nc_u32_e32 v25, v6, v25
	v_cndmask_b32_e32 v5, v8, v5, vcc_lo
	v_cndmask_b32_e32 v6, v25, v6, vcc_lo
	v_cmp_le_u32_e32 vcc_lo, v81, v26
	ds_bpermute_b32 v8, v80, v5
	ds_bpermute_b32 v25, v80, v6
	s_waitcnt lgkmcnt(1)
	v_cndmask_b32_e32 v8, 0, v8, vcc_lo
	s_waitcnt lgkmcnt(0)
	v_cndmask_b32_e32 v25, 0, v25, vcc_lo
	v_add3_u32 v5, v5, v3, v8
	v_add3_u32 v6, v6, v4, v25
.LBB1053_127:                           ;   in Loop: Header=BB1053_128 Depth=1
	s_and_b32 vcc_lo, exec_lo, s8
	s_cbranch_vccnz .LBB1053_133
.LBB1053_128:                           ; =>This Loop Header: Depth=1
                                        ;     Child Loop BB1053_131 Depth 2
	v_cmp_ne_u16_sdwa s8, v7, v72 src0_sel:BYTE_0 src1_sel:DWORD
	v_mov_b32_e32 v3, v5
	v_mov_b32_e32 v4, v6
                                        ; implicit-def: $vgpr7
                                        ; implicit-def: $vgpr5_vgpr6
	s_cmp_lg_u32 s8, exec_lo
	s_mov_b32 s8, -1
	s_cbranch_scc1 .LBB1053_127
; %bb.129:                              ;   in Loop: Header=BB1053_128 Depth=1
	v_lshlrev_b64 v[5:6], 4, v[23:24]
	v_add_co_u32 v25, vcc_lo, s4, v5
	v_add_co_ci_u32_e64 v26, null, s5, v6, vcc_lo
	;;#ASMSTART
	global_load_dwordx4 v[5:8], v[25:26] off glc dlc	
s_waitcnt vmcnt(0)
	;;#ASMEND
	v_cmp_eq_u16_sdwa s9, v7, v24 src0_sel:BYTE_0 src1_sel:DWORD
	s_and_saveexec_b32 s8, s9
	s_cbranch_execz .LBB1053_126
; %bb.130:                              ;   in Loop: Header=BB1053_128 Depth=1
	s_mov_b32 s9, 0
.LBB1053_131:                           ;   Parent Loop BB1053_128 Depth=1
                                        ; =>  This Inner Loop Header: Depth=2
	;;#ASMSTART
	global_load_dwordx4 v[5:8], v[25:26] off glc dlc	
s_waitcnt vmcnt(0)
	;;#ASMEND
	v_cmp_ne_u16_sdwa s10, v7, v24 src0_sel:BYTE_0 src1_sel:DWORD
	s_or_b32 s9, s10, s9
	s_andn2_b32 exec_lo, exec_lo, s9
	s_cbranch_execnz .LBB1053_131
	s_branch .LBB1053_125
.LBB1053_132:
                                        ; implicit-def: $vgpr23
                                        ; implicit-def: $vgpr3
                                        ; implicit-def: $vgpr24
	s_and_b32 vcc_lo, exec_lo, s3
	s_cbranch_vccnz .LBB1053_138
	s_branch .LBB1053_147
.LBB1053_133:
	s_and_saveexec_b32 s8, s2
	s_cbranch_execnz .LBB1053_375
; %bb.134:
	s_or_b32 exec_lo, exec_lo, s8
	s_and_saveexec_b32 s6, s2
	s_cbranch_execnz .LBB1053_376
.LBB1053_135:
	s_or_b32 exec_lo, exec_lo, s6
	v_cmp_eq_u32_e32 vcc_lo, 0, v0
	s_and_b32 exec_lo, exec_lo, vcc_lo
.LBB1053_136:
	v_mov_b32_e32 v1, 0
	ds_write_b64 v1, v[3:4] offset:56
.LBB1053_137:
	s_or_b32 exec_lo, exec_lo, s3
	v_mov_b32_e32 v1, 0
	s_waitcnt lgkmcnt(0)
	s_barrier
	buffer_gl0_inv
	v_cndmask_b32_e64 v7, v69, v21, s2
	ds_read_b64 v[5:6], v1 offset:56
	s_waitcnt lgkmcnt(0)
	s_barrier
	buffer_gl0_inv
	ds_read_b128 v[1:4], v1 offset:13312
	v_cndmask_b32_e64 v8, v70, v22, s2
	v_cmp_eq_u32_e32 vcc_lo, 0, v0
	v_add_nc_u32_e32 v7, v5, v7
	v_add_nc_u32_e32 v8, v6, v8
	v_cndmask_b32_e32 v24, v7, v5, vcc_lo
	v_cndmask_b32_e32 v23, v8, v6, vcc_lo
	s_branch .LBB1053_147
.LBB1053_138:
	s_waitcnt lgkmcnt(0)
	v_mov_b32_dpp v1, v67 row_shr:1 row_mask:0xf bank_mask:0xf
	v_mov_b32_dpp v2, v68 row_shr:1 row_mask:0xf bank_mask:0xf
	v_cmp_lt_u32_e32 vcc_lo, 3, v64
	v_add_nc_u32_e32 v1, v1, v67
	v_add_nc_u32_e32 v2, v2, v68
	v_cndmask_b32_e64 v1, v1, v67, s1
	v_cndmask_b32_e64 v2, v2, v68, s1
	s_mov_b32 s1, exec_lo
	v_mov_b32_dpp v3, v1 row_shr:2 row_mask:0xf bank_mask:0xf
	v_mov_b32_dpp v4, v2 row_shr:2 row_mask:0xf bank_mask:0xf
	v_add_nc_u32_e32 v3, v1, v3
	v_add_nc_u32_e32 v4, v2, v4
	v_cndmask_b32_e64 v1, v1, v3, s0
	v_cndmask_b32_e64 v2, v2, v4, s0
	v_mov_b32_dpp v3, v1 row_shr:4 row_mask:0xf bank_mask:0xf
	v_mov_b32_dpp v4, v2 row_shr:4 row_mask:0xf bank_mask:0xf
	v_add_nc_u32_e32 v3, v1, v3
	v_add_nc_u32_e32 v4, v2, v4
	v_cndmask_b32_e32 v3, v1, v3, vcc_lo
	v_cndmask_b32_e32 v2, v2, v4, vcc_lo
	v_cmp_lt_u32_e32 vcc_lo, 7, v64
	v_mov_b32_dpp v1, v3 row_shr:8 row_mask:0xf bank_mask:0xf
	v_mov_b32_dpp v4, v2 row_shr:8 row_mask:0xf bank_mask:0xf
	v_add_nc_u32_e32 v5, v3, v1
	v_add_nc_u32_e32 v1, v2, v4
	v_cndmask_b32_e32 v1, v2, v1, vcc_lo
	v_cndmask_b32_e32 v2, v3, v5, vcc_lo
	v_cmp_eq_u32_e32 vcc_lo, 0, v66
	ds_swizzle_b32 v3, v1 offset:swizzle(BROADCAST,32,15)
	ds_swizzle_b32 v4, v2 offset:swizzle(BROADCAST,32,15)
	s_waitcnt lgkmcnt(1)
	v_add_nc_u32_e32 v3, v1, v3
	s_waitcnt lgkmcnt(0)
	v_add_nc_u32_e32 v4, v2, v4
	v_cmpx_eq_u32_e64 v0, v65
	s_cbranch_execz .LBB1053_140
; %bb.139:
	v_cndmask_b32_e32 v5, v4, v2, vcc_lo
	v_cndmask_b32_e32 v6, v3, v1, vcc_lo
	v_lshlrev_b32_e32 v7, 3, v63
	ds_write_b64 v7, v[5:6]
.LBB1053_140:
	s_or_b32 exec_lo, exec_lo, s1
	s_mov_b32 s1, exec_lo
	s_waitcnt lgkmcnt(0)
	s_barrier
	buffer_gl0_inv
	v_cmpx_gt_u32_e32 8, v0
	s_cbranch_execz .LBB1053_142
; %bb.141:
	v_lshlrev_b32_e32 v7, 3, v0
	v_and_b32_e32 v22, 7, v62
	ds_read_b64 v[5:6], v7
	v_cmp_eq_u32_e64 s0, 0, v22
	s_waitcnt lgkmcnt(0)
	v_mov_b32_dpp v8, v5 row_shr:1 row_mask:0xf bank_mask:0xf
	v_mov_b32_dpp v21, v6 row_shr:1 row_mask:0xf bank_mask:0xf
	v_add_nc_u32_e32 v8, v8, v5
	v_add_nc_u32_e32 v21, v21, v6
	v_cndmask_b32_e64 v5, v8, v5, s0
	v_cndmask_b32_e64 v6, v21, v6, s0
	v_cmp_lt_u32_e64 s0, 1, v22
	v_mov_b32_dpp v8, v5 row_shr:2 row_mask:0xf bank_mask:0xf
	v_mov_b32_dpp v21, v6 row_shr:2 row_mask:0xf bank_mask:0xf
	v_add_nc_u32_e32 v8, v5, v8
	v_add_nc_u32_e32 v21, v6, v21
	v_cndmask_b32_e64 v5, v5, v8, s0
	v_cndmask_b32_e64 v6, v6, v21, s0
	v_cmp_lt_u32_e64 s0, 3, v22
	v_mov_b32_dpp v8, v5 row_shr:4 row_mask:0xf bank_mask:0xf
	v_mov_b32_dpp v21, v6 row_shr:4 row_mask:0xf bank_mask:0xf
	v_cndmask_b32_e64 v8, 0, v8, s0
	v_cndmask_b32_e64 v21, 0, v21, s0
	v_add_nc_u32_e32 v5, v8, v5
	v_add_nc_u32_e32 v6, v21, v6
	ds_write_b64 v7, v[5:6]
.LBB1053_142:
	s_or_b32 exec_lo, exec_lo, s1
	v_mov_b32_e32 v7, 0
	v_mov_b32_e32 v5, 0
	;; [unrolled: 1-line block ×3, first 2 shown]
	s_mov_b32 s1, exec_lo
	s_waitcnt lgkmcnt(0)
	s_barrier
	buffer_gl0_inv
	v_cmpx_lt_u32_e32 31, v0
; %bb.143:
	v_lshl_add_u32 v5, v63, 3, -8
	ds_read_b64 v[5:6], v5
; %bb.144:
	s_or_b32 exec_lo, exec_lo, s1
	v_sub_co_u32 v8, s0, v62, 1
	v_cndmask_b32_e32 v2, v4, v2, vcc_lo
	v_cndmask_b32_e32 v1, v3, v1, vcc_lo
	v_cmp_eq_u32_e32 vcc_lo, 0, v0
	v_cmp_gt_i32_e64 s1, 0, v8
	s_waitcnt lgkmcnt(0)
	v_add_nc_u32_e32 v2, v5, v2
	v_add_nc_u32_e32 v1, v6, v1
	v_cndmask_b32_e64 v4, v8, v62, s1
	v_lshlrev_b32_e32 v3, 2, v4
	ds_bpermute_b32 v8, v3, v2
	ds_bpermute_b32 v21, v3, v1
	ds_read_b64 v[1:2], v7 offset:56
	s_and_saveexec_b32 s1, vcc_lo
	s_cbranch_execz .LBB1053_146
; %bb.145:
	s_add_u32 s2, s4, 0x200
	s_addc_u32 s3, s5, 0
	v_mov_b32_e32 v3, 2
	v_mov_b32_e32 v23, s3
	;; [unrolled: 1-line block ×4, first 2 shown]
	s_waitcnt lgkmcnt(0)
	;;#ASMSTART
	global_store_dwordx4 v[22:23], v[1:4] off	
s_waitcnt vmcnt(0)
	;;#ASMEND
.LBB1053_146:
	s_or_b32 exec_lo, exec_lo, s1
	s_waitcnt lgkmcnt(1)
	v_cndmask_b32_e64 v3, v21, v6, s0
	v_cndmask_b32_e64 v5, v8, v5, s0
	v_mov_b32_e32 v4, 0
	s_waitcnt lgkmcnt(0)
	s_barrier
	v_cndmask_b32_e64 v23, v3, 0, vcc_lo
	v_cndmask_b32_e64 v24, v5, 0, vcc_lo
	v_mov_b32_e32 v3, 0
	buffer_gl0_inv
.LBB1053_147:
	v_add_nc_u32_e32 v61, v23, v61
	v_add_nc_u32_e32 v60, v24, v60
	s_waitcnt lgkmcnt(0)
	v_sub_nc_u32_e32 v23, v23, v4
	v_lshrrev_b32_e32 v26, 8, v36
	v_lshlrev_b32_e32 v66, 1, v1
	v_add_nc_u32_e32 v58, v61, v58
	v_sub_nc_u32_e32 v61, v61, v4
	v_add_nc_u32_e32 v57, v60, v57
	v_sub_nc_u32_e32 v24, v24, v3
	v_sub_nc_u32_e32 v60, v60, v3
	v_add_nc_u32_e32 v23, v23, v1
	v_add_nc_u32_e32 v61, v61, v1
	v_and_b32_e32 v26, 1, v26
	v_mov_b32_e32 v68, 1
	v_add3_u32 v29, v66, v2, v29
	v_add_nc_u32_e32 v73, v24, v23
	v_add_nc_u32_e32 v72, v61, v60
	v_cmp_eq_u32_e32 vcc_lo, 1, v26
	v_and_b32_sdwa v71, v68, v36 dst_sel:DWORD dst_unused:UNUSED_PAD src0_sel:DWORD src1_sel:WORD_1
	v_lshrrev_b32_e32 v25, 8, v30
	v_sub_nc_u32_e32 v73, v29, v73
	v_sub_nc_u32_e32 v72, v29, v72
	v_and_b32_e32 v67, 1, v30
	v_add_nc_u32_e32 v62, v58, v43
	v_and_b32_e32 v25, 1, v25
	v_cndmask_b32_e32 v23, v73, v23, vcc_lo
	v_add_nc_u32_e32 v72, 1, v72
	v_cmp_eq_u32_e32 vcc_lo, 1, v71
	v_sub_nc_u32_e32 v58, v58, v4
	v_add_nc_u32_e32 v59, v57, v59
	v_sub_nc_u32_e32 v57, v57, v3
	v_add_co_u32 v5, s0, s28, v3
	v_cndmask_b32_e32 v26, v72, v61, vcc_lo
	v_cmp_eq_u32_e32 vcc_lo, 1, v67
	v_add_nc_u32_e32 v58, v58, v1
	v_add_co_ci_u32_e64 v6, null, s29, 0, s0
	v_sub_co_u32 v64, s0, s30, v1
	v_cndmask_b32_e32 v67, v23, v24, vcc_lo
	v_cmp_eq_u32_e32 vcc_lo, 1, v25
	v_sub_co_ci_u32_e64 v65, null, s31, 0, s0
	v_and_b32_e32 v43, 1, v43
	v_add_nc_u32_e32 v56, v62, v56
	v_cndmask_b32_e32 v25, v26, v60, vcc_lo
	v_add_nc_u32_e32 v26, v58, v57
	v_add_co_u32 v23, vcc_lo, v64, v4
	v_add_co_ci_u32_e64 v24, null, 0, v65, vcc_lo
	v_sub_nc_u32_e32 v26, v29, v26
	v_sub_nc_u32_e32 v62, v62, v4
	v_and_b32_sdwa v30, v68, v30 dst_sel:DWORD dst_unused:UNUSED_PAD src0_sel:DWORD src1_sel:WORD_1
	v_cmp_eq_u32_e32 vcc_lo, 1, v43
	v_add_nc_u32_e32 v63, v59, v42
	v_add_nc_u32_e32 v26, 2, v26
	v_sub_nc_u32_e32 v59, v59, v3
	v_add_nc_u32_e32 v62, v62, v1
	v_add_nc_u32_e32 v55, v56, v55
	v_lshlrev_b32_e32 v60, 2, v67
	v_cndmask_b32_e32 v26, v26, v58, vcc_lo
	v_cmp_eq_u32_e32 vcc_lo, 1, v30
	v_lshlrev_b32_e32 v25, 2, v25
	v_sub_nc_u32_e32 v56, v56, v4
	v_add_nc_u32_e32 v43, v59, v62
	v_sub_nc_u32_e32 v58, v63, v3
	v_cndmask_b32_e32 v26, v26, v57, vcc_lo
	ds_write_b32 v60, v19
	v_add_nc_u32_e32 v56, v56, v1
	v_sub_nc_u32_e32 v19, v29, v43
	ds_write_b32 v25, v20
	v_lshlrev_b32_e32 v25, 2, v26
	v_and_b32_e32 v26, 1, v31
	v_lshrrev_b32_e32 v22, 8, v31
	v_add_nc_u32_e32 v54, v63, v54
	v_add_nc_u32_e32 v20, v58, v56
	;; [unrolled: 1-line block ×3, first 2 shown]
	v_and_b32_e32 v30, 1, v42
	v_sub_nc_u32_e32 v42, v55, v4
	v_cmp_eq_u32_e32 vcc_lo, 1, v26
	v_sub_nc_u32_e32 v20, v29, v20
	v_and_b32_e32 v22, 1, v22
	v_sub_nc_u32_e32 v26, v54, v3
	v_add_nc_u32_e32 v42, v42, v1
	v_cndmask_b32_e32 v19, v19, v62, vcc_lo
	v_cmp_eq_u32_e32 vcc_lo, 1, v30
	v_add_nc_u32_e32 v20, 4, v20
	v_and_b32_e32 v30, 1, v32
	v_add_nc_u32_e32 v43, v26, v42
	v_lshrrev_b32_e32 v21, 8, v32
	v_cndmask_b32_e32 v19, v19, v59, vcc_lo
	v_cmp_eq_u32_e32 vcc_lo, 1, v22
	v_add_nc_u32_e32 v53, v55, v53
	ds_write_b32 v25, v17
	v_and_b32_sdwa v25, v68, v31 dst_sel:DWORD dst_unused:UNUSED_PAD src0_sel:DWORD src1_sel:WORD_1
	v_lshlrev_b32_e32 v17, 2, v19
	v_cndmask_b32_e32 v20, v20, v56, vcc_lo
	v_sub_nc_u32_e32 v19, v29, v43
	v_cmp_eq_u32_e32 vcc_lo, 1, v30
	v_add_nc_u32_e32 v52, v54, v52
	v_add_nc_u32_e32 v69, v53, v41
	v_and_b32_e32 v21, 1, v21
	v_sub_nc_u32_e32 v22, v53, v4
	v_cndmask_b32_e32 v20, v20, v58, vcc_lo
	v_add_nc_u32_e32 v19, 5, v19
	v_cmp_eq_u32_e32 vcc_lo, 1, v25
	v_add_nc_u32_e32 v46, v52, v46
	v_sub_nc_u32_e32 v30, v52, v3
	v_sub_nc_u32_e32 v31, v69, v4
	v_add_nc_u32_e32 v22, v22, v1
	v_cndmask_b32_e32 v19, v19, v42, vcc_lo
	v_cmp_eq_u32_e32 vcc_lo, 1, v21
	v_sub_nc_u32_e32 v25, v46, v3
	v_add_nc_u32_e32 v31, v31, v1
	v_lshlrev_b32_e32 v20, 2, v20
	v_add_nc_u32_e32 v42, v30, v22
	v_cndmask_b32_e32 v19, v19, v26, vcc_lo
	ds_write_b32 v17, v18
	v_add_nc_u32_e32 v21, v25, v31
	ds_write_b32 v20, v15
	v_sub_nc_u32_e32 v17, v29, v42
	v_lshlrev_b32_e32 v15, 2, v19
	v_and_b32_e32 v19, 1, v41
	v_sub_nc_u32_e32 v18, v29, v21
	v_and_b32_e32 v21, 1, v33
	v_add_nc_u32_e32 v17, 6, v17
	v_add_nc_u32_e32 v51, v69, v51
	v_cmp_eq_u32_e32 vcc_lo, 1, v19
	v_and_b32_sdwa v20, v68, v32 dst_sel:DWORD dst_unused:UNUSED_PAD src0_sel:DWORD src1_sel:WORD_1
	v_add_nc_u32_e32 v18, 7, v18
	v_add_nc_u32_e32 v70, v46, v40
	v_sub_nc_u32_e32 v19, v51, v4
	v_cndmask_b32_e32 v17, v17, v22, vcc_lo
	v_cmp_eq_u32_e32 vcc_lo, 1, v21
	v_and_b32_e32 v22, 1, v40
	v_add_nc_u32_e32 v50, v51, v50
	v_sub_nc_u32_e32 v21, v70, v3
	v_add_nc_u32_e32 v19, v19, v1
	v_cndmask_b32_e32 v18, v18, v31, vcc_lo
	v_cmp_eq_u32_e32 vcc_lo, 1, v20
	v_lshrrev_b32_e32 v8, 8, v33
	v_add_nc_u32_e32 v49, v70, v49
	v_add_nc_u32_e32 v20, v21, v19
	ds_write_b32 v15, v16
	v_cndmask_b32_e32 v17, v17, v30, vcc_lo
	v_cmp_eq_u32_e32 vcc_lo, 1, v22
	v_sub_nc_u32_e32 v15, v50, v4
	v_add_nc_u32_e32 v48, v50, v48
	v_and_b32_e32 v8, 1, v8
	v_lshlrev_b32_e32 v16, 2, v17
	v_cndmask_b32_e32 v18, v18, v25, vcc_lo
	v_add_nc_u32_e32 v15, v15, v1
	v_add_nc_u32_e32 v47, v49, v47
	v_cmp_eq_u32_e32 vcc_lo, 1, v8
	v_lshrrev_b32_e32 v7, 8, v35
	v_lshlrev_b32_e32 v17, 2, v18
	v_sub_nc_u32_e32 v18, v29, v20
	v_sub_nc_u32_e32 v20, v49, v3
	ds_write_b32 v16, v13
	ds_write_b32 v17, v14
	v_and_b32_e32 v16, 1, v35
	v_add_nc_u32_e32 v13, 8, v18
	v_add_nc_u32_e32 v14, v20, v15
	v_sub_nc_u32_e32 v17, v48, v4
	v_add_nc_u32_e32 v74, v48, v39
	v_add_nc_u32_e32 v45, v47, v45
	v_cndmask_b32_e32 v8, v13, v19, vcc_lo
	v_sub_nc_u32_e32 v13, v29, v14
	v_sub_nc_u32_e32 v14, v47, v3
	v_add_nc_u32_e32 v17, v17, v1
	v_cmp_eq_u32_e32 vcc_lo, 1, v16
	v_and_b32_sdwa v16, v68, v33 dst_sel:DWORD dst_unused:UNUSED_PAD src0_sel:DWORD src1_sel:WORD_1
	v_add_nc_u32_e32 v44, v74, v44
	v_add_nc_u32_e32 v13, 9, v13
	v_and_b32_e32 v7, 1, v7
	v_cndmask_b32_e32 v8, v8, v21, vcc_lo
	v_add_nc_u32_e32 v18, v14, v17
	v_sub_nc_u32_e32 v19, v74, v4
	v_cmp_eq_u32_e32 vcc_lo, 1, v16
	v_add_nc_u32_e32 v61, v45, v38
	v_and_b32_e32 v25, 1, v37
	v_sub_nc_u32_e32 v16, v29, v18
	v_sub_nc_u32_e32 v18, v45, v3
	v_cndmask_b32_e32 v13, v13, v15, vcc_lo
	v_sub_nc_u32_e32 v15, v44, v4
	v_add_nc_u32_e32 v19, v19, v1
	v_cmp_eq_u32_e32 vcc_lo, 1, v7
	v_sub_nc_u32_e32 v3, v61, v3
	v_add_nc_u32_e32 v16, 10, v16
	v_add_nc_u32_e32 v15, v15, v1
	v_and_b32_sdwa v22, v68, v35 dst_sel:DWORD dst_unused:UNUSED_PAD src0_sel:DWORD src1_sel:WORD_1
	v_cndmask_b32_e32 v7, v13, v20, vcc_lo
	v_add_nc_u32_e32 v13, v18, v19
	v_and_b32_e32 v20, 1, v39
	v_add_nc_u32_e32 v21, v3, v15
	v_lshlrev_b32_e32 v8, 2, v8
	v_lshlrev_b32_e32 v7, 2, v7
	v_sub_nc_u32_e32 v13, v29, v13
	v_cmp_eq_u32_e32 vcc_lo, 1, v20
	v_and_b32_e32 v20, 1, v34
	v_add_nc_u32_e32 v13, 11, v13
	v_cndmask_b32_e32 v16, v16, v17, vcc_lo
	v_sub_nc_u32_e32 v17, v29, v21
	v_cmp_eq_u32_e32 vcc_lo, 1, v20
	v_and_b32_e32 v21, 1, v38
	v_add_nc_u32_e32 v17, 12, v17
	v_cndmask_b32_e32 v13, v13, v19, vcc_lo
	v_cmp_eq_u32_e32 vcc_lo, 1, v25
	v_and_b32_e32 v19, 1, v36
	v_cndmask_b32_e32 v15, v17, v15, vcc_lo
	v_cmp_eq_u32_e32 vcc_lo, 1, v22
	v_cndmask_b32_e32 v14, v16, v14, vcc_lo
	v_cmp_eq_u32_e32 vcc_lo, 1, v21
	v_lshlrev_b32_e32 v14, 2, v14
	v_cndmask_b32_e32 v13, v13, v18, vcc_lo
	v_cmp_eq_u32_e32 vcc_lo, 1, v19
	v_lshlrev_b32_e32 v13, 2, v13
	v_cndmask_b32_e32 v3, v15, v3, vcc_lo
	v_lshlrev_b32_e32 v3, 2, v3
	ds_write_b32 v8, v11
	ds_write_b32 v7, v12
	;; [unrolled: 1-line block ×5, first 2 shown]
	v_add_co_u32 v3, s0, v2, v66
	v_add_co_ci_u32_e64 v7, null, 0, 0, s0
	s_add_u32 s0, s34, s42
	v_add_co_u32 v3, vcc_lo, v3, v23
	v_add_co_ci_u32_e64 v7, null, v7, v24, vcc_lo
	s_addc_u32 s1, s35, 0
	v_add_co_u32 v3, vcc_lo, v3, v5
	v_add_co_ci_u32_e64 v9, null, v7, v6, vcc_lo
	v_lshlrev_b64 v[7:8], 2, v[23:24]
	v_sub_co_u32 v3, vcc_lo, s0, v3
	v_sub_co_ci_u32_e64 v11, null, s1, v9, vcc_lo
	v_lshlrev_b64 v[9:10], 2, v[5:6]
	v_add_co_u32 v7, vcc_lo, s38, v7
	v_add_co_ci_u32_e64 v8, null, s39, v8, vcc_lo
	v_cmp_ne_u32_e32 vcc_lo, 1, v27
	v_add_co_u32 v9, s0, s36, v9
	v_add_nc_u32_e32 v12, v1, v2
	v_add_co_ci_u32_e64 v10, null, s37, v10, s0
	s_and_b32 vcc_lo, exec_lo, vcc_lo
	s_mov_b32 s0, -1
	s_waitcnt lgkmcnt(0)
	s_barrier
	buffer_gl0_inv
	s_cbranch_vccz .LBB1053_151
; %bb.148:
	s_and_b32 vcc_lo, exec_lo, s0
	s_cbranch_vccnz .LBB1053_256
.LBB1053_149:
	v_cmp_eq_u32_e32 vcc_lo, 0, v0
	s_and_b32 s0, vcc_lo, s33
	s_and_saveexec_b32 s1, s0
	s_cbranch_execnz .LBB1053_374
.LBB1053_150:
	s_endpgm
.LBB1053_151:
	s_mov_b32 s0, exec_lo
	v_cmpx_ge_u32_e64 v0, v1
	s_xor_b32 s0, exec_lo, s0
	s_cbranch_execz .LBB1053_157
; %bb.152:
	s_mov_b32 s1, exec_lo
	v_cmpx_ge_u32_e64 v0, v12
	s_xor_b32 s1, exec_lo, s1
	s_cbranch_execz .LBB1053_154
; %bb.153:
	v_lshlrev_b32_e32 v13, 2, v0
	ds_read_b32 v15, v13
	v_add_co_u32 v13, vcc_lo, v3, v0
	v_add_co_ci_u32_e64 v14, null, 0, v11, vcc_lo
	v_lshlrev_b64 v[13:14], 2, v[13:14]
	v_sub_co_u32 v13, vcc_lo, s26, v13
	v_sub_co_ci_u32_e64 v14, null, s27, v14, vcc_lo
	s_waitcnt lgkmcnt(0)
	global_store_dword v[13:14], v15, off offset:-4
.LBB1053_154:
	s_andn2_saveexec_b32 s1, s1
	s_cbranch_execz .LBB1053_156
; %bb.155:
	v_lshlrev_b32_e32 v13, 2, v0
	v_readfirstlane_b32 s2, v7
	v_readfirstlane_b32 s3, v8
	ds_read_b32 v14, v13
	s_waitcnt lgkmcnt(0)
	global_store_dword v13, v14, s[2:3]
.LBB1053_156:
	s_or_b32 exec_lo, exec_lo, s1
.LBB1053_157:
	s_andn2_saveexec_b32 s0, s0
	s_cbranch_execz .LBB1053_159
; %bb.158:
	v_lshlrev_b32_e32 v13, 2, v0
	v_readfirstlane_b32 s2, v9
	v_readfirstlane_b32 s3, v10
	ds_read_b32 v14, v13
	s_waitcnt lgkmcnt(0)
	global_store_dword v13, v14, s[2:3]
.LBB1053_159:
	s_or_b32 exec_lo, exec_lo, s0
	v_or_b32_e32 v13, 0x100, v0
	s_mov_b32 s0, exec_lo
	v_cmpx_ge_u32_e64 v13, v1
	s_xor_b32 s0, exec_lo, s0
	s_cbranch_execz .LBB1053_165
; %bb.160:
	s_mov_b32 s1, exec_lo
	v_cmpx_ge_u32_e64 v13, v12
	s_xor_b32 s1, exec_lo, s1
	s_cbranch_execz .LBB1053_162
; %bb.161:
	v_lshlrev_b32_e32 v13, 2, v0
	ds_read_b32 v15, v13 offset:1024
	v_add_co_u32 v13, vcc_lo, v3, v0
	v_add_co_ci_u32_e64 v14, null, 0, v11, vcc_lo
	v_lshlrev_b64 v[13:14], 2, v[13:14]
	v_sub_co_u32 v13, vcc_lo, s26, v13
	v_sub_co_ci_u32_e64 v14, null, s27, v14, vcc_lo
	s_waitcnt lgkmcnt(0)
	global_store_dword v[13:14], v15, off offset:-1028
.LBB1053_162:
	s_andn2_saveexec_b32 s1, s1
	s_cbranch_execz .LBB1053_164
; %bb.163:
	v_lshlrev_b32_e32 v13, 2, v0
	v_readfirstlane_b32 s2, v7
	v_readfirstlane_b32 s3, v8
	ds_read_b32 v14, v13 offset:1024
	s_waitcnt lgkmcnt(0)
	global_store_dword v13, v14, s[2:3] offset:1024
.LBB1053_164:
	s_or_b32 exec_lo, exec_lo, s1
.LBB1053_165:
	s_andn2_saveexec_b32 s0, s0
	s_cbranch_execz .LBB1053_167
; %bb.166:
	v_lshlrev_b32_e32 v13, 2, v0
	v_readfirstlane_b32 s2, v9
	v_readfirstlane_b32 s3, v10
	ds_read_b32 v14, v13 offset:1024
	s_waitcnt lgkmcnt(0)
	global_store_dword v13, v14, s[2:3] offset:1024
.LBB1053_167:
	s_or_b32 exec_lo, exec_lo, s0
	v_or_b32_e32 v13, 0x200, v0
	s_mov_b32 s0, exec_lo
	v_cmpx_ge_u32_e64 v13, v1
	s_xor_b32 s0, exec_lo, s0
	s_cbranch_execz .LBB1053_173
; %bb.168:
	s_mov_b32 s1, exec_lo
	v_cmpx_ge_u32_e64 v13, v12
	s_xor_b32 s1, exec_lo, s1
	s_cbranch_execz .LBB1053_170
; %bb.169:
	v_lshlrev_b32_e32 v15, 2, v0
	v_add_co_u32 v13, vcc_lo, v3, v0
	v_add_co_ci_u32_e64 v14, null, 0, v11, vcc_lo
	ds_read_b32 v15, v15 offset:2048
	v_lshlrev_b64 v[13:14], 2, v[13:14]
	v_sub_co_u32 v13, vcc_lo, s26, v13
	v_sub_co_ci_u32_e64 v14, null, s27, v14, vcc_lo
	v_add_co_u32 v13, vcc_lo, 0xfffff800, v13
	v_add_co_ci_u32_e64 v14, null, -1, v14, vcc_lo
	s_waitcnt lgkmcnt(0)
	global_store_dword v[13:14], v15, off offset:-4
                                        ; implicit-def: $vgpr13
.LBB1053_170:
	s_andn2_saveexec_b32 s1, s1
	s_cbranch_execz .LBB1053_172
; %bb.171:
	v_lshlrev_b32_e32 v14, 2, v0
	v_lshlrev_b32_e32 v13, 2, v13
	v_readfirstlane_b32 s2, v7
	v_readfirstlane_b32 s3, v8
	ds_read_b32 v14, v14 offset:2048
	s_waitcnt lgkmcnt(0)
	global_store_dword v13, v14, s[2:3]
.LBB1053_172:
	s_or_b32 exec_lo, exec_lo, s1
                                        ; implicit-def: $vgpr13
.LBB1053_173:
	s_andn2_saveexec_b32 s0, s0
	s_cbranch_execz .LBB1053_175
; %bb.174:
	v_lshlrev_b32_e32 v14, 2, v0
	v_lshlrev_b32_e32 v13, 2, v13
	v_readfirstlane_b32 s2, v9
	v_readfirstlane_b32 s3, v10
	ds_read_b32 v14, v14 offset:2048
	s_waitcnt lgkmcnt(0)
	global_store_dword v13, v14, s[2:3]
.LBB1053_175:
	s_or_b32 exec_lo, exec_lo, s0
	v_or_b32_e32 v13, 0x300, v0
	s_mov_b32 s0, exec_lo
	v_cmpx_ge_u32_e64 v13, v1
	s_xor_b32 s0, exec_lo, s0
	s_cbranch_execz .LBB1053_181
; %bb.176:
	s_mov_b32 s1, exec_lo
	v_cmpx_ge_u32_e64 v13, v12
	s_xor_b32 s1, exec_lo, s1
	s_cbranch_execz .LBB1053_178
; %bb.177:
	v_lshlrev_b32_e32 v14, 2, v0
	v_add_co_u32 v13, vcc_lo, v3, v13
	ds_read_b32 v15, v14 offset:3072
	v_add_co_ci_u32_e64 v14, null, 0, v11, vcc_lo
	v_lshlrev_b64 v[13:14], 2, v[13:14]
	v_sub_co_u32 v13, vcc_lo, s26, v13
	v_sub_co_ci_u32_e64 v14, null, s27, v14, vcc_lo
	s_waitcnt lgkmcnt(0)
	global_store_dword v[13:14], v15, off offset:-4
                                        ; implicit-def: $vgpr13
.LBB1053_178:
	s_andn2_saveexec_b32 s1, s1
	s_cbranch_execz .LBB1053_180
; %bb.179:
	v_lshlrev_b32_e32 v14, 2, v0
	v_lshlrev_b32_e32 v13, 2, v13
	v_readfirstlane_b32 s2, v7
	v_readfirstlane_b32 s3, v8
	ds_read_b32 v14, v14 offset:3072
	s_waitcnt lgkmcnt(0)
	global_store_dword v13, v14, s[2:3]
.LBB1053_180:
	s_or_b32 exec_lo, exec_lo, s1
                                        ; implicit-def: $vgpr13
.LBB1053_181:
	s_andn2_saveexec_b32 s0, s0
	s_cbranch_execz .LBB1053_183
; %bb.182:
	v_lshlrev_b32_e32 v14, 2, v0
	v_lshlrev_b32_e32 v13, 2, v13
	v_readfirstlane_b32 s2, v9
	v_readfirstlane_b32 s3, v10
	ds_read_b32 v14, v14 offset:3072
	s_waitcnt lgkmcnt(0)
	global_store_dword v13, v14, s[2:3]
.LBB1053_183:
	s_or_b32 exec_lo, exec_lo, s0
	v_or_b32_e32 v13, 0x400, v0
	s_mov_b32 s0, exec_lo
	v_cmpx_ge_u32_e64 v13, v1
	s_xor_b32 s0, exec_lo, s0
	s_cbranch_execz .LBB1053_189
; %bb.184:
	s_mov_b32 s1, exec_lo
	v_cmpx_ge_u32_e64 v13, v12
	s_xor_b32 s1, exec_lo, s1
	s_cbranch_execz .LBB1053_186
; %bb.185:
	v_lshlrev_b32_e32 v14, 2, v0
	v_add_co_u32 v13, vcc_lo, v3, v13
	ds_read_b32 v15, v14 offset:4096
	v_add_co_ci_u32_e64 v14, null, 0, v11, vcc_lo
	v_lshlrev_b64 v[13:14], 2, v[13:14]
	v_sub_co_u32 v13, vcc_lo, s26, v13
	v_sub_co_ci_u32_e64 v14, null, s27, v14, vcc_lo
	s_waitcnt lgkmcnt(0)
	global_store_dword v[13:14], v15, off offset:-4
                                        ; implicit-def: $vgpr13
.LBB1053_186:
	s_andn2_saveexec_b32 s1, s1
	s_cbranch_execz .LBB1053_188
; %bb.187:
	v_lshlrev_b32_e32 v14, 2, v0
	v_lshlrev_b32_e32 v13, 2, v13
	v_readfirstlane_b32 s2, v7
	v_readfirstlane_b32 s3, v8
	ds_read_b32 v14, v14 offset:4096
	s_waitcnt lgkmcnt(0)
	global_store_dword v13, v14, s[2:3]
.LBB1053_188:
	s_or_b32 exec_lo, exec_lo, s1
                                        ; implicit-def: $vgpr13
.LBB1053_189:
	;; [unrolled: 48-line block ×10, first 2 shown]
	s_andn2_saveexec_b32 s0, s0
	s_cbranch_execz .LBB1053_255
; %bb.254:
	v_lshlrev_b32_e32 v14, 2, v0
	v_lshlrev_b32_e32 v13, 2, v13
	v_readfirstlane_b32 s2, v9
	v_readfirstlane_b32 s3, v10
	ds_read_b32 v14, v14 offset:12288
	s_waitcnt lgkmcnt(0)
	global_store_dword v13, v14, s[2:3]
.LBB1053_255:
	s_or_b32 exec_lo, exec_lo, s0
	s_branch .LBB1053_149
.LBB1053_256:
	s_mov_b32 s0, exec_lo
	v_cmpx_gt_u32_e64 s7, v0
	s_cbranch_execz .LBB1053_265
; %bb.257:
	s_mov_b32 s1, exec_lo
	v_cmpx_ge_u32_e64 v0, v1
	s_xor_b32 s1, exec_lo, s1
	s_cbranch_execz .LBB1053_263
; %bb.258:
	s_mov_b32 s2, exec_lo
	v_cmpx_ge_u32_e64 v0, v12
	s_xor_b32 s2, exec_lo, s2
	s_cbranch_execz .LBB1053_260
; %bb.259:
	v_lshlrev_b32_e32 v13, 2, v0
	ds_read_b32 v15, v13
	v_add_co_u32 v13, vcc_lo, v3, v0
	v_add_co_ci_u32_e64 v14, null, 0, v11, vcc_lo
	v_lshlrev_b64 v[13:14], 2, v[13:14]
	v_sub_co_u32 v13, vcc_lo, s26, v13
	v_sub_co_ci_u32_e64 v14, null, s27, v14, vcc_lo
	s_waitcnt lgkmcnt(0)
	global_store_dword v[13:14], v15, off offset:-4
.LBB1053_260:
	s_andn2_saveexec_b32 s2, s2
	s_cbranch_execz .LBB1053_262
; %bb.261:
	v_lshlrev_b32_e32 v13, 2, v0
	v_readfirstlane_b32 s4, v7
	v_readfirstlane_b32 s5, v8
	ds_read_b32 v14, v13
	s_waitcnt lgkmcnt(0)
	global_store_dword v13, v14, s[4:5]
.LBB1053_262:
	s_or_b32 exec_lo, exec_lo, s2
.LBB1053_263:
	s_andn2_saveexec_b32 s1, s1
	s_cbranch_execz .LBB1053_265
; %bb.264:
	v_lshlrev_b32_e32 v13, 2, v0
	v_readfirstlane_b32 s2, v9
	v_readfirstlane_b32 s3, v10
	ds_read_b32 v14, v13
	s_waitcnt lgkmcnt(0)
	global_store_dword v13, v14, s[2:3]
.LBB1053_265:
	s_or_b32 exec_lo, exec_lo, s0
	v_or_b32_e32 v13, 0x100, v0
	s_mov_b32 s0, exec_lo
	v_cmpx_gt_u32_e64 s7, v13
	s_cbranch_execz .LBB1053_274
; %bb.266:
	s_mov_b32 s1, exec_lo
	v_cmpx_ge_u32_e64 v13, v1
	s_xor_b32 s1, exec_lo, s1
	s_cbranch_execz .LBB1053_272
; %bb.267:
	s_mov_b32 s2, exec_lo
	v_cmpx_ge_u32_e64 v13, v12
	s_xor_b32 s2, exec_lo, s2
	s_cbranch_execz .LBB1053_269
; %bb.268:
	v_lshlrev_b32_e32 v13, 2, v0
	ds_read_b32 v15, v13 offset:1024
	v_add_co_u32 v13, vcc_lo, v3, v0
	v_add_co_ci_u32_e64 v14, null, 0, v11, vcc_lo
	v_lshlrev_b64 v[13:14], 2, v[13:14]
	v_sub_co_u32 v13, vcc_lo, s26, v13
	v_sub_co_ci_u32_e64 v14, null, s27, v14, vcc_lo
	s_waitcnt lgkmcnt(0)
	global_store_dword v[13:14], v15, off offset:-1028
.LBB1053_269:
	s_andn2_saveexec_b32 s2, s2
	s_cbranch_execz .LBB1053_271
; %bb.270:
	v_lshlrev_b32_e32 v13, 2, v0
	v_readfirstlane_b32 s4, v7
	v_readfirstlane_b32 s5, v8
	ds_read_b32 v14, v13 offset:1024
	s_waitcnt lgkmcnt(0)
	global_store_dword v13, v14, s[4:5] offset:1024
.LBB1053_271:
	s_or_b32 exec_lo, exec_lo, s2
.LBB1053_272:
	s_andn2_saveexec_b32 s1, s1
	s_cbranch_execz .LBB1053_274
; %bb.273:
	v_lshlrev_b32_e32 v13, 2, v0
	v_readfirstlane_b32 s2, v9
	v_readfirstlane_b32 s3, v10
	ds_read_b32 v14, v13 offset:1024
	s_waitcnt lgkmcnt(0)
	global_store_dword v13, v14, s[2:3] offset:1024
.LBB1053_274:
	s_or_b32 exec_lo, exec_lo, s0
	v_or_b32_e32 v13, 0x200, v0
	s_mov_b32 s0, exec_lo
	v_cmpx_gt_u32_e64 s7, v13
	s_cbranch_execz .LBB1053_283
; %bb.275:
	s_mov_b32 s1, exec_lo
	v_cmpx_ge_u32_e64 v13, v1
	s_xor_b32 s1, exec_lo, s1
	s_cbranch_execz .LBB1053_281
; %bb.276:
	s_mov_b32 s2, exec_lo
	v_cmpx_ge_u32_e64 v13, v12
	s_xor_b32 s2, exec_lo, s2
	s_cbranch_execz .LBB1053_278
; %bb.277:
	v_lshlrev_b32_e32 v15, 2, v0
	v_add_co_u32 v13, vcc_lo, v3, v0
	v_add_co_ci_u32_e64 v14, null, 0, v11, vcc_lo
	ds_read_b32 v15, v15 offset:2048
	v_lshlrev_b64 v[13:14], 2, v[13:14]
	v_sub_co_u32 v13, vcc_lo, s26, v13
	v_sub_co_ci_u32_e64 v14, null, s27, v14, vcc_lo
	v_add_co_u32 v13, vcc_lo, 0xfffff800, v13
	v_add_co_ci_u32_e64 v14, null, -1, v14, vcc_lo
	s_waitcnt lgkmcnt(0)
	global_store_dword v[13:14], v15, off offset:-4
                                        ; implicit-def: $vgpr13
.LBB1053_278:
	s_andn2_saveexec_b32 s2, s2
	s_cbranch_execz .LBB1053_280
; %bb.279:
	v_lshlrev_b32_e32 v14, 2, v0
	v_lshlrev_b32_e32 v13, 2, v13
	v_readfirstlane_b32 s4, v7
	v_readfirstlane_b32 s5, v8
	ds_read_b32 v14, v14 offset:2048
	s_waitcnt lgkmcnt(0)
	global_store_dword v13, v14, s[4:5]
.LBB1053_280:
	s_or_b32 exec_lo, exec_lo, s2
                                        ; implicit-def: $vgpr13
.LBB1053_281:
	s_andn2_saveexec_b32 s1, s1
	s_cbranch_execz .LBB1053_283
; %bb.282:
	v_lshlrev_b32_e32 v14, 2, v0
	v_lshlrev_b32_e32 v13, 2, v13
	v_readfirstlane_b32 s2, v9
	v_readfirstlane_b32 s3, v10
	ds_read_b32 v14, v14 offset:2048
	s_waitcnt lgkmcnt(0)
	global_store_dword v13, v14, s[2:3]
.LBB1053_283:
	s_or_b32 exec_lo, exec_lo, s0
	v_or_b32_e32 v13, 0x300, v0
	s_mov_b32 s0, exec_lo
	v_cmpx_gt_u32_e64 s7, v13
	s_cbranch_execz .LBB1053_292
; %bb.284:
	s_mov_b32 s1, exec_lo
	v_cmpx_ge_u32_e64 v13, v1
	s_xor_b32 s1, exec_lo, s1
	s_cbranch_execz .LBB1053_290
; %bb.285:
	s_mov_b32 s2, exec_lo
	v_cmpx_ge_u32_e64 v13, v12
	s_xor_b32 s2, exec_lo, s2
	s_cbranch_execz .LBB1053_287
; %bb.286:
	v_lshlrev_b32_e32 v14, 2, v0
	v_add_co_u32 v13, vcc_lo, v3, v13
	ds_read_b32 v15, v14 offset:3072
	v_add_co_ci_u32_e64 v14, null, 0, v11, vcc_lo
	v_lshlrev_b64 v[13:14], 2, v[13:14]
	v_sub_co_u32 v13, vcc_lo, s26, v13
	v_sub_co_ci_u32_e64 v14, null, s27, v14, vcc_lo
	s_waitcnt lgkmcnt(0)
	global_store_dword v[13:14], v15, off offset:-4
                                        ; implicit-def: $vgpr13
.LBB1053_287:
	s_andn2_saveexec_b32 s2, s2
	s_cbranch_execz .LBB1053_289
; %bb.288:
	v_lshlrev_b32_e32 v14, 2, v0
	v_lshlrev_b32_e32 v13, 2, v13
	v_readfirstlane_b32 s4, v7
	v_readfirstlane_b32 s5, v8
	ds_read_b32 v14, v14 offset:3072
	s_waitcnt lgkmcnt(0)
	global_store_dword v13, v14, s[4:5]
.LBB1053_289:
	s_or_b32 exec_lo, exec_lo, s2
                                        ; implicit-def: $vgpr13
.LBB1053_290:
	s_andn2_saveexec_b32 s1, s1
	s_cbranch_execz .LBB1053_292
; %bb.291:
	v_lshlrev_b32_e32 v14, 2, v0
	v_lshlrev_b32_e32 v13, 2, v13
	v_readfirstlane_b32 s2, v9
	v_readfirstlane_b32 s3, v10
	ds_read_b32 v14, v14 offset:3072
	s_waitcnt lgkmcnt(0)
	global_store_dword v13, v14, s[2:3]
.LBB1053_292:
	s_or_b32 exec_lo, exec_lo, s0
	v_or_b32_e32 v13, 0x400, v0
	s_mov_b32 s0, exec_lo
	v_cmpx_gt_u32_e64 s7, v13
	s_cbranch_execz .LBB1053_301
; %bb.293:
	s_mov_b32 s1, exec_lo
	v_cmpx_ge_u32_e64 v13, v1
	s_xor_b32 s1, exec_lo, s1
	s_cbranch_execz .LBB1053_299
; %bb.294:
	s_mov_b32 s2, exec_lo
	v_cmpx_ge_u32_e64 v13, v12
	s_xor_b32 s2, exec_lo, s2
	s_cbranch_execz .LBB1053_296
; %bb.295:
	v_lshlrev_b32_e32 v14, 2, v0
	v_add_co_u32 v13, vcc_lo, v3, v13
	ds_read_b32 v15, v14 offset:4096
	v_add_co_ci_u32_e64 v14, null, 0, v11, vcc_lo
	v_lshlrev_b64 v[13:14], 2, v[13:14]
	v_sub_co_u32 v13, vcc_lo, s26, v13
	v_sub_co_ci_u32_e64 v14, null, s27, v14, vcc_lo
	s_waitcnt lgkmcnt(0)
	global_store_dword v[13:14], v15, off offset:-4
                                        ; implicit-def: $vgpr13
.LBB1053_296:
	s_andn2_saveexec_b32 s2, s2
	s_cbranch_execz .LBB1053_298
; %bb.297:
	v_lshlrev_b32_e32 v14, 2, v0
	v_lshlrev_b32_e32 v13, 2, v13
	v_readfirstlane_b32 s4, v7
	v_readfirstlane_b32 s5, v8
	ds_read_b32 v14, v14 offset:4096
	s_waitcnt lgkmcnt(0)
	global_store_dword v13, v14, s[4:5]
.LBB1053_298:
	s_or_b32 exec_lo, exec_lo, s2
                                        ; implicit-def: $vgpr13
.LBB1053_299:
	s_andn2_saveexec_b32 s1, s1
	s_cbranch_execz .LBB1053_301
; %bb.300:
	v_lshlrev_b32_e32 v14, 2, v0
	v_lshlrev_b32_e32 v13, 2, v13
	v_readfirstlane_b32 s2, v9
	v_readfirstlane_b32 s3, v10
	ds_read_b32 v14, v14 offset:4096
	s_waitcnt lgkmcnt(0)
	global_store_dword v13, v14, s[2:3]
.LBB1053_301:
	s_or_b32 exec_lo, exec_lo, s0
	v_or_b32_e32 v13, 0x500, v0
	s_mov_b32 s0, exec_lo
	v_cmpx_gt_u32_e64 s7, v13
	s_cbranch_execz .LBB1053_310
; %bb.302:
	s_mov_b32 s1, exec_lo
	v_cmpx_ge_u32_e64 v13, v1
	s_xor_b32 s1, exec_lo, s1
	s_cbranch_execz .LBB1053_308
; %bb.303:
	s_mov_b32 s2, exec_lo
	v_cmpx_ge_u32_e64 v13, v12
	s_xor_b32 s2, exec_lo, s2
	s_cbranch_execz .LBB1053_305
; %bb.304:
	v_lshlrev_b32_e32 v14, 2, v0
	v_add_co_u32 v13, vcc_lo, v3, v13
	ds_read_b32 v15, v14 offset:5120
	v_add_co_ci_u32_e64 v14, null, 0, v11, vcc_lo
	v_lshlrev_b64 v[13:14], 2, v[13:14]
	v_sub_co_u32 v13, vcc_lo, s26, v13
	v_sub_co_ci_u32_e64 v14, null, s27, v14, vcc_lo
	s_waitcnt lgkmcnt(0)
	global_store_dword v[13:14], v15, off offset:-4
                                        ; implicit-def: $vgpr13
.LBB1053_305:
	s_andn2_saveexec_b32 s2, s2
	s_cbranch_execz .LBB1053_307
; %bb.306:
	v_lshlrev_b32_e32 v14, 2, v0
	v_lshlrev_b32_e32 v13, 2, v13
	v_readfirstlane_b32 s4, v7
	v_readfirstlane_b32 s5, v8
	ds_read_b32 v14, v14 offset:5120
	s_waitcnt lgkmcnt(0)
	global_store_dword v13, v14, s[4:5]
.LBB1053_307:
	s_or_b32 exec_lo, exec_lo, s2
                                        ; implicit-def: $vgpr13
.LBB1053_308:
	s_andn2_saveexec_b32 s1, s1
	s_cbranch_execz .LBB1053_310
; %bb.309:
	v_lshlrev_b32_e32 v14, 2, v0
	v_lshlrev_b32_e32 v13, 2, v13
	v_readfirstlane_b32 s2, v9
	v_readfirstlane_b32 s3, v10
	ds_read_b32 v14, v14 offset:5120
	s_waitcnt lgkmcnt(0)
	global_store_dword v13, v14, s[2:3]
.LBB1053_310:
	s_or_b32 exec_lo, exec_lo, s0
	v_or_b32_e32 v13, 0x600, v0
	s_mov_b32 s0, exec_lo
	v_cmpx_gt_u32_e64 s7, v13
	s_cbranch_execz .LBB1053_319
; %bb.311:
	s_mov_b32 s1, exec_lo
	v_cmpx_ge_u32_e64 v13, v1
	s_xor_b32 s1, exec_lo, s1
	s_cbranch_execz .LBB1053_317
; %bb.312:
	s_mov_b32 s2, exec_lo
	v_cmpx_ge_u32_e64 v13, v12
	s_xor_b32 s2, exec_lo, s2
	s_cbranch_execz .LBB1053_314
; %bb.313:
	v_lshlrev_b32_e32 v14, 2, v0
	v_add_co_u32 v13, vcc_lo, v3, v13
	ds_read_b32 v15, v14 offset:6144
	v_add_co_ci_u32_e64 v14, null, 0, v11, vcc_lo
	v_lshlrev_b64 v[13:14], 2, v[13:14]
	v_sub_co_u32 v13, vcc_lo, s26, v13
	v_sub_co_ci_u32_e64 v14, null, s27, v14, vcc_lo
	s_waitcnt lgkmcnt(0)
	global_store_dword v[13:14], v15, off offset:-4
                                        ; implicit-def: $vgpr13
.LBB1053_314:
	s_andn2_saveexec_b32 s2, s2
	s_cbranch_execz .LBB1053_316
; %bb.315:
	v_lshlrev_b32_e32 v14, 2, v0
	v_lshlrev_b32_e32 v13, 2, v13
	v_readfirstlane_b32 s4, v7
	v_readfirstlane_b32 s5, v8
	ds_read_b32 v14, v14 offset:6144
	s_waitcnt lgkmcnt(0)
	global_store_dword v13, v14, s[4:5]
.LBB1053_316:
	s_or_b32 exec_lo, exec_lo, s2
                                        ; implicit-def: $vgpr13
.LBB1053_317:
	s_andn2_saveexec_b32 s1, s1
	s_cbranch_execz .LBB1053_319
; %bb.318:
	v_lshlrev_b32_e32 v14, 2, v0
	v_lshlrev_b32_e32 v13, 2, v13
	v_readfirstlane_b32 s2, v9
	v_readfirstlane_b32 s3, v10
	ds_read_b32 v14, v14 offset:6144
	s_waitcnt lgkmcnt(0)
	global_store_dword v13, v14, s[2:3]
.LBB1053_319:
	s_or_b32 exec_lo, exec_lo, s0
	v_or_b32_e32 v13, 0x700, v0
	s_mov_b32 s0, exec_lo
	v_cmpx_gt_u32_e64 s7, v13
	s_cbranch_execz .LBB1053_328
; %bb.320:
	s_mov_b32 s1, exec_lo
	v_cmpx_ge_u32_e64 v13, v1
	s_xor_b32 s1, exec_lo, s1
	s_cbranch_execz .LBB1053_326
; %bb.321:
	s_mov_b32 s2, exec_lo
	v_cmpx_ge_u32_e64 v13, v12
	s_xor_b32 s2, exec_lo, s2
	s_cbranch_execz .LBB1053_323
; %bb.322:
	v_lshlrev_b32_e32 v14, 2, v0
	v_add_co_u32 v13, vcc_lo, v3, v13
	ds_read_b32 v15, v14 offset:7168
	v_add_co_ci_u32_e64 v14, null, 0, v11, vcc_lo
	v_lshlrev_b64 v[13:14], 2, v[13:14]
	v_sub_co_u32 v13, vcc_lo, s26, v13
	v_sub_co_ci_u32_e64 v14, null, s27, v14, vcc_lo
	s_waitcnt lgkmcnt(0)
	global_store_dword v[13:14], v15, off offset:-4
                                        ; implicit-def: $vgpr13
.LBB1053_323:
	s_andn2_saveexec_b32 s2, s2
	s_cbranch_execz .LBB1053_325
; %bb.324:
	v_lshlrev_b32_e32 v14, 2, v0
	v_lshlrev_b32_e32 v13, 2, v13
	v_readfirstlane_b32 s4, v7
	v_readfirstlane_b32 s5, v8
	ds_read_b32 v14, v14 offset:7168
	s_waitcnt lgkmcnt(0)
	global_store_dword v13, v14, s[4:5]
.LBB1053_325:
	s_or_b32 exec_lo, exec_lo, s2
                                        ; implicit-def: $vgpr13
.LBB1053_326:
	s_andn2_saveexec_b32 s1, s1
	s_cbranch_execz .LBB1053_328
; %bb.327:
	v_lshlrev_b32_e32 v14, 2, v0
	v_lshlrev_b32_e32 v13, 2, v13
	v_readfirstlane_b32 s2, v9
	v_readfirstlane_b32 s3, v10
	ds_read_b32 v14, v14 offset:7168
	s_waitcnt lgkmcnt(0)
	global_store_dword v13, v14, s[2:3]
.LBB1053_328:
	s_or_b32 exec_lo, exec_lo, s0
	v_or_b32_e32 v13, 0x800, v0
	s_mov_b32 s0, exec_lo
	v_cmpx_gt_u32_e64 s7, v13
	s_cbranch_execz .LBB1053_337
; %bb.329:
	s_mov_b32 s1, exec_lo
	v_cmpx_ge_u32_e64 v13, v1
	s_xor_b32 s1, exec_lo, s1
	s_cbranch_execz .LBB1053_335
; %bb.330:
	s_mov_b32 s2, exec_lo
	v_cmpx_ge_u32_e64 v13, v12
	s_xor_b32 s2, exec_lo, s2
	s_cbranch_execz .LBB1053_332
; %bb.331:
	v_lshlrev_b32_e32 v14, 2, v0
	v_add_co_u32 v13, vcc_lo, v3, v13
	ds_read_b32 v15, v14 offset:8192
	v_add_co_ci_u32_e64 v14, null, 0, v11, vcc_lo
	v_lshlrev_b64 v[13:14], 2, v[13:14]
	v_sub_co_u32 v13, vcc_lo, s26, v13
	v_sub_co_ci_u32_e64 v14, null, s27, v14, vcc_lo
	s_waitcnt lgkmcnt(0)
	global_store_dword v[13:14], v15, off offset:-4
                                        ; implicit-def: $vgpr13
.LBB1053_332:
	s_andn2_saveexec_b32 s2, s2
	s_cbranch_execz .LBB1053_334
; %bb.333:
	v_lshlrev_b32_e32 v14, 2, v0
	v_lshlrev_b32_e32 v13, 2, v13
	v_readfirstlane_b32 s4, v7
	v_readfirstlane_b32 s5, v8
	ds_read_b32 v14, v14 offset:8192
	s_waitcnt lgkmcnt(0)
	global_store_dword v13, v14, s[4:5]
.LBB1053_334:
	s_or_b32 exec_lo, exec_lo, s2
                                        ; implicit-def: $vgpr13
.LBB1053_335:
	s_andn2_saveexec_b32 s1, s1
	s_cbranch_execz .LBB1053_337
; %bb.336:
	v_lshlrev_b32_e32 v14, 2, v0
	v_lshlrev_b32_e32 v13, 2, v13
	v_readfirstlane_b32 s2, v9
	v_readfirstlane_b32 s3, v10
	ds_read_b32 v14, v14 offset:8192
	s_waitcnt lgkmcnt(0)
	global_store_dword v13, v14, s[2:3]
.LBB1053_337:
	s_or_b32 exec_lo, exec_lo, s0
	v_or_b32_e32 v13, 0x900, v0
	s_mov_b32 s0, exec_lo
	v_cmpx_gt_u32_e64 s7, v13
	s_cbranch_execz .LBB1053_346
; %bb.338:
	s_mov_b32 s1, exec_lo
	v_cmpx_ge_u32_e64 v13, v1
	s_xor_b32 s1, exec_lo, s1
	s_cbranch_execz .LBB1053_344
; %bb.339:
	s_mov_b32 s2, exec_lo
	v_cmpx_ge_u32_e64 v13, v12
	s_xor_b32 s2, exec_lo, s2
	s_cbranch_execz .LBB1053_341
; %bb.340:
	v_lshlrev_b32_e32 v14, 2, v0
	v_add_co_u32 v13, vcc_lo, v3, v13
	ds_read_b32 v15, v14 offset:9216
	v_add_co_ci_u32_e64 v14, null, 0, v11, vcc_lo
	v_lshlrev_b64 v[13:14], 2, v[13:14]
	v_sub_co_u32 v13, vcc_lo, s26, v13
	v_sub_co_ci_u32_e64 v14, null, s27, v14, vcc_lo
	s_waitcnt lgkmcnt(0)
	global_store_dword v[13:14], v15, off offset:-4
                                        ; implicit-def: $vgpr13
.LBB1053_341:
	s_andn2_saveexec_b32 s2, s2
	s_cbranch_execz .LBB1053_343
; %bb.342:
	v_lshlrev_b32_e32 v14, 2, v0
	v_lshlrev_b32_e32 v13, 2, v13
	v_readfirstlane_b32 s4, v7
	v_readfirstlane_b32 s5, v8
	ds_read_b32 v14, v14 offset:9216
	s_waitcnt lgkmcnt(0)
	global_store_dword v13, v14, s[4:5]
.LBB1053_343:
	s_or_b32 exec_lo, exec_lo, s2
                                        ; implicit-def: $vgpr13
.LBB1053_344:
	s_andn2_saveexec_b32 s1, s1
	s_cbranch_execz .LBB1053_346
; %bb.345:
	v_lshlrev_b32_e32 v14, 2, v0
	v_lshlrev_b32_e32 v13, 2, v13
	v_readfirstlane_b32 s2, v9
	v_readfirstlane_b32 s3, v10
	ds_read_b32 v14, v14 offset:9216
	s_waitcnt lgkmcnt(0)
	global_store_dword v13, v14, s[2:3]
.LBB1053_346:
	s_or_b32 exec_lo, exec_lo, s0
	v_or_b32_e32 v13, 0xa00, v0
	s_mov_b32 s0, exec_lo
	v_cmpx_gt_u32_e64 s7, v13
	s_cbranch_execz .LBB1053_355
; %bb.347:
	s_mov_b32 s1, exec_lo
	v_cmpx_ge_u32_e64 v13, v1
	s_xor_b32 s1, exec_lo, s1
	s_cbranch_execz .LBB1053_353
; %bb.348:
	s_mov_b32 s2, exec_lo
	v_cmpx_ge_u32_e64 v13, v12
	s_xor_b32 s2, exec_lo, s2
	s_cbranch_execz .LBB1053_350
; %bb.349:
	v_lshlrev_b32_e32 v14, 2, v0
	v_add_co_u32 v13, vcc_lo, v3, v13
	ds_read_b32 v15, v14 offset:10240
	v_add_co_ci_u32_e64 v14, null, 0, v11, vcc_lo
	v_lshlrev_b64 v[13:14], 2, v[13:14]
	v_sub_co_u32 v13, vcc_lo, s26, v13
	v_sub_co_ci_u32_e64 v14, null, s27, v14, vcc_lo
	s_waitcnt lgkmcnt(0)
	global_store_dword v[13:14], v15, off offset:-4
                                        ; implicit-def: $vgpr13
.LBB1053_350:
	s_andn2_saveexec_b32 s2, s2
	s_cbranch_execz .LBB1053_352
; %bb.351:
	v_lshlrev_b32_e32 v14, 2, v0
	v_lshlrev_b32_e32 v13, 2, v13
	v_readfirstlane_b32 s4, v7
	v_readfirstlane_b32 s5, v8
	ds_read_b32 v14, v14 offset:10240
	s_waitcnt lgkmcnt(0)
	global_store_dword v13, v14, s[4:5]
.LBB1053_352:
	s_or_b32 exec_lo, exec_lo, s2
                                        ; implicit-def: $vgpr13
.LBB1053_353:
	s_andn2_saveexec_b32 s1, s1
	s_cbranch_execz .LBB1053_355
; %bb.354:
	v_lshlrev_b32_e32 v14, 2, v0
	v_lshlrev_b32_e32 v13, 2, v13
	v_readfirstlane_b32 s2, v9
	v_readfirstlane_b32 s3, v10
	ds_read_b32 v14, v14 offset:10240
	s_waitcnt lgkmcnt(0)
	global_store_dword v13, v14, s[2:3]
.LBB1053_355:
	s_or_b32 exec_lo, exec_lo, s0
	v_or_b32_e32 v13, 0xb00, v0
	s_mov_b32 s0, exec_lo
	v_cmpx_gt_u32_e64 s7, v13
	s_cbranch_execz .LBB1053_364
; %bb.356:
	s_mov_b32 s1, exec_lo
	v_cmpx_ge_u32_e64 v13, v1
	s_xor_b32 s1, exec_lo, s1
	s_cbranch_execz .LBB1053_362
; %bb.357:
	s_mov_b32 s2, exec_lo
	v_cmpx_ge_u32_e64 v13, v12
	s_xor_b32 s2, exec_lo, s2
	s_cbranch_execz .LBB1053_359
; %bb.358:
	v_lshlrev_b32_e32 v14, 2, v0
	v_add_co_u32 v13, vcc_lo, v3, v13
	ds_read_b32 v15, v14 offset:11264
	v_add_co_ci_u32_e64 v14, null, 0, v11, vcc_lo
	v_lshlrev_b64 v[13:14], 2, v[13:14]
	v_sub_co_u32 v13, vcc_lo, s26, v13
	v_sub_co_ci_u32_e64 v14, null, s27, v14, vcc_lo
	s_waitcnt lgkmcnt(0)
	global_store_dword v[13:14], v15, off offset:-4
                                        ; implicit-def: $vgpr13
.LBB1053_359:
	s_andn2_saveexec_b32 s2, s2
	s_cbranch_execz .LBB1053_361
; %bb.360:
	v_lshlrev_b32_e32 v14, 2, v0
	v_lshlrev_b32_e32 v13, 2, v13
	v_readfirstlane_b32 s4, v7
	v_readfirstlane_b32 s5, v8
	ds_read_b32 v14, v14 offset:11264
	s_waitcnt lgkmcnt(0)
	global_store_dword v13, v14, s[4:5]
.LBB1053_361:
	s_or_b32 exec_lo, exec_lo, s2
                                        ; implicit-def: $vgpr13
.LBB1053_362:
	s_andn2_saveexec_b32 s1, s1
	s_cbranch_execz .LBB1053_364
; %bb.363:
	v_lshlrev_b32_e32 v14, 2, v0
	v_lshlrev_b32_e32 v13, 2, v13
	v_readfirstlane_b32 s2, v9
	v_readfirstlane_b32 s3, v10
	ds_read_b32 v14, v14 offset:11264
	s_waitcnt lgkmcnt(0)
	global_store_dword v13, v14, s[2:3]
.LBB1053_364:
	s_or_b32 exec_lo, exec_lo, s0
	v_or_b32_e32 v13, 0xc00, v0
	s_mov_b32 s0, exec_lo
	v_cmpx_gt_u32_e64 s7, v13
	s_cbranch_execz .LBB1053_373
; %bb.365:
	s_mov_b32 s1, exec_lo
	v_cmpx_ge_u32_e64 v13, v1
	s_xor_b32 s1, exec_lo, s1
	s_cbranch_execz .LBB1053_371
; %bb.366:
	s_mov_b32 s2, exec_lo
	v_cmpx_ge_u32_e64 v13, v12
	s_xor_b32 s2, exec_lo, s2
	s_cbranch_execz .LBB1053_368
; %bb.367:
	v_lshlrev_b32_e32 v7, 2, v0
	ds_read_b32 v9, v7 offset:12288
	v_add_co_u32 v7, vcc_lo, v3, v13
	v_add_co_ci_u32_e64 v8, null, 0, v11, vcc_lo
                                        ; implicit-def: $vgpr13
	v_lshlrev_b64 v[7:8], 2, v[7:8]
	v_sub_co_u32 v7, vcc_lo, s26, v7
	v_sub_co_ci_u32_e64 v8, null, s27, v8, vcc_lo
	s_waitcnt lgkmcnt(0)
	global_store_dword v[7:8], v9, off offset:-4
                                        ; implicit-def: $vgpr7_vgpr8
.LBB1053_368:
	s_andn2_saveexec_b32 s2, s2
	s_cbranch_execz .LBB1053_370
; %bb.369:
	v_lshlrev_b32_e32 v3, 2, v0
	v_lshlrev_b32_e32 v9, 2, v13
	v_readfirstlane_b32 s4, v7
	v_readfirstlane_b32 s5, v8
	ds_read_b32 v3, v3 offset:12288
	s_waitcnt lgkmcnt(0)
	global_store_dword v9, v3, s[4:5]
.LBB1053_370:
	s_or_b32 exec_lo, exec_lo, s2
                                        ; implicit-def: $vgpr13
                                        ; implicit-def: $vgpr9_vgpr10
.LBB1053_371:
	s_andn2_saveexec_b32 s1, s1
	s_cbranch_execz .LBB1053_373
; %bb.372:
	v_lshlrev_b32_e32 v3, 2, v0
	v_lshlrev_b32_e32 v7, 2, v13
	v_readfirstlane_b32 s2, v9
	v_readfirstlane_b32 s3, v10
	ds_read_b32 v3, v3 offset:12288
	s_waitcnt lgkmcnt(0)
	global_store_dword v7, v3, s[2:3]
.LBB1053_373:
	s_or_b32 exec_lo, exec_lo, s0
	v_cmp_eq_u32_e32 vcc_lo, 0, v0
	s_and_b32 s0, vcc_lo, s33
	s_and_saveexec_b32 s1, s0
	s_cbranch_execz .LBB1053_150
.LBB1053_374:
	v_add_co_u32 v0, s0, s30, v2
	v_add_co_ci_u32_e64 v3, null, s31, 0, s0
	v_mov_b32_e32 v7, 0
	v_add_co_u32 v2, vcc_lo, v0, v4
	v_add_co_ci_u32_e64 v3, null, 0, v3, vcc_lo
	v_add_co_u32 v0, vcc_lo, v5, v1
	v_add_co_ci_u32_e64 v1, null, 0, v6, vcc_lo
	global_store_dwordx4 v7, v[0:3], s[24:25]
	s_endpgm
.LBB1053_375:
	s_add_i32 s10, s6, 32
	s_mov_b32 s11, 0
	v_add_nc_u32_e32 v6, v4, v2
	s_lshl_b64 s[10:11], s[10:11], 4
	v_add_nc_u32_e32 v5, v3, v1
	s_add_u32 s10, s4, s10
	s_addc_u32 s11, s5, s11
	v_mov_b32_e32 v7, 2
	v_mov_b32_e32 v24, s11
	;; [unrolled: 1-line block ×4, first 2 shown]
	;;#ASMSTART
	global_store_dwordx4 v[23:24], v[5:8] off	
s_waitcnt vmcnt(0)
	;;#ASMEND
	s_or_b32 exec_lo, exec_lo, s8
	s_and_saveexec_b32 s6, s2
	s_cbranch_execz .LBB1053_135
.LBB1053_376:
	v_mov_b32_e32 v5, 0
	ds_write_b128 v5, v[1:4] offset:13312
	s_or_b32 exec_lo, exec_lo, s6
	v_cmp_eq_u32_e32 vcc_lo, 0, v0
	s_and_b32 exec_lo, exec_lo, vcc_lo
	s_cbranch_execnz .LBB1053_136
	s_branch .LBB1053_137
	.section	.rodata,"a",@progbits
	.p2align	6, 0x0
	.amdhsa_kernel _ZN7rocprim17ROCPRIM_400000_NS6detail17trampoline_kernelINS0_13select_configILj256ELj13ELNS0_17block_load_methodE3ELS4_3ELS4_3ELNS0_20block_scan_algorithmE0ELj4294967295EEENS1_25partition_config_selectorILNS1_17partition_subalgoE4EjNS0_10empty_typeEbEEZZNS1_14partition_implILS8_4ELb0ES6_15HIP_vector_typeIjLj2EENS0_17counting_iteratorIjlEEPS9_SG_NS0_5tupleIJPjSI_NS0_16reverse_iteratorISI_EEEEENSH_IJSG_SG_SG_EEES9_SI_JZNS1_25segmented_radix_sort_implINS0_14default_configELb1EPKdPdPKlPlN2at6native12_GLOBAL__N_18offset_tEEE10hipError_tPvRmT1_PNSt15iterator_traitsIS12_E10value_typeET2_T3_PNS13_IS18_E10value_typeET4_jRbjT5_S1E_jjP12ihipStream_tbEUljE_ZNSN_ISO_Lb1ESQ_SR_ST_SU_SY_EESZ_S10_S11_S12_S16_S17_S18_S1B_S1C_jS1D_jS1E_S1E_jjS1G_bEUljE0_EEESZ_S10_S11_S18_S1C_S1E_T6_T7_T9_mT8_S1G_bDpT10_ENKUlT_T0_E_clISt17integral_constantIbLb0EES1U_EEDaS1P_S1Q_EUlS1P_E_NS1_11comp_targetILNS1_3genE8ELNS1_11target_archE1030ELNS1_3gpuE2ELNS1_3repE0EEENS1_30default_config_static_selectorELNS0_4arch9wavefront6targetE0EEEvS12_
		.amdhsa_group_segment_fixed_size 13328
		.amdhsa_private_segment_fixed_size 0
		.amdhsa_kernarg_size 176
		.amdhsa_user_sgpr_count 6
		.amdhsa_user_sgpr_private_segment_buffer 1
		.amdhsa_user_sgpr_dispatch_ptr 0
		.amdhsa_user_sgpr_queue_ptr 0
		.amdhsa_user_sgpr_kernarg_segment_ptr 1
		.amdhsa_user_sgpr_dispatch_id 0
		.amdhsa_user_sgpr_flat_scratch_init 0
		.amdhsa_user_sgpr_private_segment_size 0
		.amdhsa_wavefront_size32 1
		.amdhsa_uses_dynamic_stack 0
		.amdhsa_system_sgpr_private_segment_wavefront_offset 0
		.amdhsa_system_sgpr_workgroup_id_x 1
		.amdhsa_system_sgpr_workgroup_id_y 0
		.amdhsa_system_sgpr_workgroup_id_z 0
		.amdhsa_system_sgpr_workgroup_info 0
		.amdhsa_system_vgpr_workitem_id 0
		.amdhsa_next_free_vgpr 82
		.amdhsa_next_free_sgpr 59
		.amdhsa_reserve_vcc 1
		.amdhsa_reserve_flat_scratch 0
		.amdhsa_float_round_mode_32 0
		.amdhsa_float_round_mode_16_64 0
		.amdhsa_float_denorm_mode_32 3
		.amdhsa_float_denorm_mode_16_64 3
		.amdhsa_dx10_clamp 1
		.amdhsa_ieee_mode 1
		.amdhsa_fp16_overflow 0
		.amdhsa_workgroup_processor_mode 1
		.amdhsa_memory_ordered 1
		.amdhsa_forward_progress 1
		.amdhsa_shared_vgpr_count 0
		.amdhsa_exception_fp_ieee_invalid_op 0
		.amdhsa_exception_fp_denorm_src 0
		.amdhsa_exception_fp_ieee_div_zero 0
		.amdhsa_exception_fp_ieee_overflow 0
		.amdhsa_exception_fp_ieee_underflow 0
		.amdhsa_exception_fp_ieee_inexact 0
		.amdhsa_exception_int_div_zero 0
	.end_amdhsa_kernel
	.section	.text._ZN7rocprim17ROCPRIM_400000_NS6detail17trampoline_kernelINS0_13select_configILj256ELj13ELNS0_17block_load_methodE3ELS4_3ELS4_3ELNS0_20block_scan_algorithmE0ELj4294967295EEENS1_25partition_config_selectorILNS1_17partition_subalgoE4EjNS0_10empty_typeEbEEZZNS1_14partition_implILS8_4ELb0ES6_15HIP_vector_typeIjLj2EENS0_17counting_iteratorIjlEEPS9_SG_NS0_5tupleIJPjSI_NS0_16reverse_iteratorISI_EEEEENSH_IJSG_SG_SG_EEES9_SI_JZNS1_25segmented_radix_sort_implINS0_14default_configELb1EPKdPdPKlPlN2at6native12_GLOBAL__N_18offset_tEEE10hipError_tPvRmT1_PNSt15iterator_traitsIS12_E10value_typeET2_T3_PNS13_IS18_E10value_typeET4_jRbjT5_S1E_jjP12ihipStream_tbEUljE_ZNSN_ISO_Lb1ESQ_SR_ST_SU_SY_EESZ_S10_S11_S12_S16_S17_S18_S1B_S1C_jS1D_jS1E_S1E_jjS1G_bEUljE0_EEESZ_S10_S11_S18_S1C_S1E_T6_T7_T9_mT8_S1G_bDpT10_ENKUlT_T0_E_clISt17integral_constantIbLb0EES1U_EEDaS1P_S1Q_EUlS1P_E_NS1_11comp_targetILNS1_3genE8ELNS1_11target_archE1030ELNS1_3gpuE2ELNS1_3repE0EEENS1_30default_config_static_selectorELNS0_4arch9wavefront6targetE0EEEvS12_,"axG",@progbits,_ZN7rocprim17ROCPRIM_400000_NS6detail17trampoline_kernelINS0_13select_configILj256ELj13ELNS0_17block_load_methodE3ELS4_3ELS4_3ELNS0_20block_scan_algorithmE0ELj4294967295EEENS1_25partition_config_selectorILNS1_17partition_subalgoE4EjNS0_10empty_typeEbEEZZNS1_14partition_implILS8_4ELb0ES6_15HIP_vector_typeIjLj2EENS0_17counting_iteratorIjlEEPS9_SG_NS0_5tupleIJPjSI_NS0_16reverse_iteratorISI_EEEEENSH_IJSG_SG_SG_EEES9_SI_JZNS1_25segmented_radix_sort_implINS0_14default_configELb1EPKdPdPKlPlN2at6native12_GLOBAL__N_18offset_tEEE10hipError_tPvRmT1_PNSt15iterator_traitsIS12_E10value_typeET2_T3_PNS13_IS18_E10value_typeET4_jRbjT5_S1E_jjP12ihipStream_tbEUljE_ZNSN_ISO_Lb1ESQ_SR_ST_SU_SY_EESZ_S10_S11_S12_S16_S17_S18_S1B_S1C_jS1D_jS1E_S1E_jjS1G_bEUljE0_EEESZ_S10_S11_S18_S1C_S1E_T6_T7_T9_mT8_S1G_bDpT10_ENKUlT_T0_E_clISt17integral_constantIbLb0EES1U_EEDaS1P_S1Q_EUlS1P_E_NS1_11comp_targetILNS1_3genE8ELNS1_11target_archE1030ELNS1_3gpuE2ELNS1_3repE0EEENS1_30default_config_static_selectorELNS0_4arch9wavefront6targetE0EEEvS12_,comdat
.Lfunc_end1053:
	.size	_ZN7rocprim17ROCPRIM_400000_NS6detail17trampoline_kernelINS0_13select_configILj256ELj13ELNS0_17block_load_methodE3ELS4_3ELS4_3ELNS0_20block_scan_algorithmE0ELj4294967295EEENS1_25partition_config_selectorILNS1_17partition_subalgoE4EjNS0_10empty_typeEbEEZZNS1_14partition_implILS8_4ELb0ES6_15HIP_vector_typeIjLj2EENS0_17counting_iteratorIjlEEPS9_SG_NS0_5tupleIJPjSI_NS0_16reverse_iteratorISI_EEEEENSH_IJSG_SG_SG_EEES9_SI_JZNS1_25segmented_radix_sort_implINS0_14default_configELb1EPKdPdPKlPlN2at6native12_GLOBAL__N_18offset_tEEE10hipError_tPvRmT1_PNSt15iterator_traitsIS12_E10value_typeET2_T3_PNS13_IS18_E10value_typeET4_jRbjT5_S1E_jjP12ihipStream_tbEUljE_ZNSN_ISO_Lb1ESQ_SR_ST_SU_SY_EESZ_S10_S11_S12_S16_S17_S18_S1B_S1C_jS1D_jS1E_S1E_jjS1G_bEUljE0_EEESZ_S10_S11_S18_S1C_S1E_T6_T7_T9_mT8_S1G_bDpT10_ENKUlT_T0_E_clISt17integral_constantIbLb0EES1U_EEDaS1P_S1Q_EUlS1P_E_NS1_11comp_targetILNS1_3genE8ELNS1_11target_archE1030ELNS1_3gpuE2ELNS1_3repE0EEENS1_30default_config_static_selectorELNS0_4arch9wavefront6targetE0EEEvS12_, .Lfunc_end1053-_ZN7rocprim17ROCPRIM_400000_NS6detail17trampoline_kernelINS0_13select_configILj256ELj13ELNS0_17block_load_methodE3ELS4_3ELS4_3ELNS0_20block_scan_algorithmE0ELj4294967295EEENS1_25partition_config_selectorILNS1_17partition_subalgoE4EjNS0_10empty_typeEbEEZZNS1_14partition_implILS8_4ELb0ES6_15HIP_vector_typeIjLj2EENS0_17counting_iteratorIjlEEPS9_SG_NS0_5tupleIJPjSI_NS0_16reverse_iteratorISI_EEEEENSH_IJSG_SG_SG_EEES9_SI_JZNS1_25segmented_radix_sort_implINS0_14default_configELb1EPKdPdPKlPlN2at6native12_GLOBAL__N_18offset_tEEE10hipError_tPvRmT1_PNSt15iterator_traitsIS12_E10value_typeET2_T3_PNS13_IS18_E10value_typeET4_jRbjT5_S1E_jjP12ihipStream_tbEUljE_ZNSN_ISO_Lb1ESQ_SR_ST_SU_SY_EESZ_S10_S11_S12_S16_S17_S18_S1B_S1C_jS1D_jS1E_S1E_jjS1G_bEUljE0_EEESZ_S10_S11_S18_S1C_S1E_T6_T7_T9_mT8_S1G_bDpT10_ENKUlT_T0_E_clISt17integral_constantIbLb0EES1U_EEDaS1P_S1Q_EUlS1P_E_NS1_11comp_targetILNS1_3genE8ELNS1_11target_archE1030ELNS1_3gpuE2ELNS1_3repE0EEENS1_30default_config_static_selectorELNS0_4arch9wavefront6targetE0EEEvS12_
                                        ; -- End function
	.set _ZN7rocprim17ROCPRIM_400000_NS6detail17trampoline_kernelINS0_13select_configILj256ELj13ELNS0_17block_load_methodE3ELS4_3ELS4_3ELNS0_20block_scan_algorithmE0ELj4294967295EEENS1_25partition_config_selectorILNS1_17partition_subalgoE4EjNS0_10empty_typeEbEEZZNS1_14partition_implILS8_4ELb0ES6_15HIP_vector_typeIjLj2EENS0_17counting_iteratorIjlEEPS9_SG_NS0_5tupleIJPjSI_NS0_16reverse_iteratorISI_EEEEENSH_IJSG_SG_SG_EEES9_SI_JZNS1_25segmented_radix_sort_implINS0_14default_configELb1EPKdPdPKlPlN2at6native12_GLOBAL__N_18offset_tEEE10hipError_tPvRmT1_PNSt15iterator_traitsIS12_E10value_typeET2_T3_PNS13_IS18_E10value_typeET4_jRbjT5_S1E_jjP12ihipStream_tbEUljE_ZNSN_ISO_Lb1ESQ_SR_ST_SU_SY_EESZ_S10_S11_S12_S16_S17_S18_S1B_S1C_jS1D_jS1E_S1E_jjS1G_bEUljE0_EEESZ_S10_S11_S18_S1C_S1E_T6_T7_T9_mT8_S1G_bDpT10_ENKUlT_T0_E_clISt17integral_constantIbLb0EES1U_EEDaS1P_S1Q_EUlS1P_E_NS1_11comp_targetILNS1_3genE8ELNS1_11target_archE1030ELNS1_3gpuE2ELNS1_3repE0EEENS1_30default_config_static_selectorELNS0_4arch9wavefront6targetE0EEEvS12_.num_vgpr, 82
	.set _ZN7rocprim17ROCPRIM_400000_NS6detail17trampoline_kernelINS0_13select_configILj256ELj13ELNS0_17block_load_methodE3ELS4_3ELS4_3ELNS0_20block_scan_algorithmE0ELj4294967295EEENS1_25partition_config_selectorILNS1_17partition_subalgoE4EjNS0_10empty_typeEbEEZZNS1_14partition_implILS8_4ELb0ES6_15HIP_vector_typeIjLj2EENS0_17counting_iteratorIjlEEPS9_SG_NS0_5tupleIJPjSI_NS0_16reverse_iteratorISI_EEEEENSH_IJSG_SG_SG_EEES9_SI_JZNS1_25segmented_radix_sort_implINS0_14default_configELb1EPKdPdPKlPlN2at6native12_GLOBAL__N_18offset_tEEE10hipError_tPvRmT1_PNSt15iterator_traitsIS12_E10value_typeET2_T3_PNS13_IS18_E10value_typeET4_jRbjT5_S1E_jjP12ihipStream_tbEUljE_ZNSN_ISO_Lb1ESQ_SR_ST_SU_SY_EESZ_S10_S11_S12_S16_S17_S18_S1B_S1C_jS1D_jS1E_S1E_jjS1G_bEUljE0_EEESZ_S10_S11_S18_S1C_S1E_T6_T7_T9_mT8_S1G_bDpT10_ENKUlT_T0_E_clISt17integral_constantIbLb0EES1U_EEDaS1P_S1Q_EUlS1P_E_NS1_11comp_targetILNS1_3genE8ELNS1_11target_archE1030ELNS1_3gpuE2ELNS1_3repE0EEENS1_30default_config_static_selectorELNS0_4arch9wavefront6targetE0EEEvS12_.num_agpr, 0
	.set _ZN7rocprim17ROCPRIM_400000_NS6detail17trampoline_kernelINS0_13select_configILj256ELj13ELNS0_17block_load_methodE3ELS4_3ELS4_3ELNS0_20block_scan_algorithmE0ELj4294967295EEENS1_25partition_config_selectorILNS1_17partition_subalgoE4EjNS0_10empty_typeEbEEZZNS1_14partition_implILS8_4ELb0ES6_15HIP_vector_typeIjLj2EENS0_17counting_iteratorIjlEEPS9_SG_NS0_5tupleIJPjSI_NS0_16reverse_iteratorISI_EEEEENSH_IJSG_SG_SG_EEES9_SI_JZNS1_25segmented_radix_sort_implINS0_14default_configELb1EPKdPdPKlPlN2at6native12_GLOBAL__N_18offset_tEEE10hipError_tPvRmT1_PNSt15iterator_traitsIS12_E10value_typeET2_T3_PNS13_IS18_E10value_typeET4_jRbjT5_S1E_jjP12ihipStream_tbEUljE_ZNSN_ISO_Lb1ESQ_SR_ST_SU_SY_EESZ_S10_S11_S12_S16_S17_S18_S1B_S1C_jS1D_jS1E_S1E_jjS1G_bEUljE0_EEESZ_S10_S11_S18_S1C_S1E_T6_T7_T9_mT8_S1G_bDpT10_ENKUlT_T0_E_clISt17integral_constantIbLb0EES1U_EEDaS1P_S1Q_EUlS1P_E_NS1_11comp_targetILNS1_3genE8ELNS1_11target_archE1030ELNS1_3gpuE2ELNS1_3repE0EEENS1_30default_config_static_selectorELNS0_4arch9wavefront6targetE0EEEvS12_.numbered_sgpr, 59
	.set _ZN7rocprim17ROCPRIM_400000_NS6detail17trampoline_kernelINS0_13select_configILj256ELj13ELNS0_17block_load_methodE3ELS4_3ELS4_3ELNS0_20block_scan_algorithmE0ELj4294967295EEENS1_25partition_config_selectorILNS1_17partition_subalgoE4EjNS0_10empty_typeEbEEZZNS1_14partition_implILS8_4ELb0ES6_15HIP_vector_typeIjLj2EENS0_17counting_iteratorIjlEEPS9_SG_NS0_5tupleIJPjSI_NS0_16reverse_iteratorISI_EEEEENSH_IJSG_SG_SG_EEES9_SI_JZNS1_25segmented_radix_sort_implINS0_14default_configELb1EPKdPdPKlPlN2at6native12_GLOBAL__N_18offset_tEEE10hipError_tPvRmT1_PNSt15iterator_traitsIS12_E10value_typeET2_T3_PNS13_IS18_E10value_typeET4_jRbjT5_S1E_jjP12ihipStream_tbEUljE_ZNSN_ISO_Lb1ESQ_SR_ST_SU_SY_EESZ_S10_S11_S12_S16_S17_S18_S1B_S1C_jS1D_jS1E_S1E_jjS1G_bEUljE0_EEESZ_S10_S11_S18_S1C_S1E_T6_T7_T9_mT8_S1G_bDpT10_ENKUlT_T0_E_clISt17integral_constantIbLb0EES1U_EEDaS1P_S1Q_EUlS1P_E_NS1_11comp_targetILNS1_3genE8ELNS1_11target_archE1030ELNS1_3gpuE2ELNS1_3repE0EEENS1_30default_config_static_selectorELNS0_4arch9wavefront6targetE0EEEvS12_.num_named_barrier, 0
	.set _ZN7rocprim17ROCPRIM_400000_NS6detail17trampoline_kernelINS0_13select_configILj256ELj13ELNS0_17block_load_methodE3ELS4_3ELS4_3ELNS0_20block_scan_algorithmE0ELj4294967295EEENS1_25partition_config_selectorILNS1_17partition_subalgoE4EjNS0_10empty_typeEbEEZZNS1_14partition_implILS8_4ELb0ES6_15HIP_vector_typeIjLj2EENS0_17counting_iteratorIjlEEPS9_SG_NS0_5tupleIJPjSI_NS0_16reverse_iteratorISI_EEEEENSH_IJSG_SG_SG_EEES9_SI_JZNS1_25segmented_radix_sort_implINS0_14default_configELb1EPKdPdPKlPlN2at6native12_GLOBAL__N_18offset_tEEE10hipError_tPvRmT1_PNSt15iterator_traitsIS12_E10value_typeET2_T3_PNS13_IS18_E10value_typeET4_jRbjT5_S1E_jjP12ihipStream_tbEUljE_ZNSN_ISO_Lb1ESQ_SR_ST_SU_SY_EESZ_S10_S11_S12_S16_S17_S18_S1B_S1C_jS1D_jS1E_S1E_jjS1G_bEUljE0_EEESZ_S10_S11_S18_S1C_S1E_T6_T7_T9_mT8_S1G_bDpT10_ENKUlT_T0_E_clISt17integral_constantIbLb0EES1U_EEDaS1P_S1Q_EUlS1P_E_NS1_11comp_targetILNS1_3genE8ELNS1_11target_archE1030ELNS1_3gpuE2ELNS1_3repE0EEENS1_30default_config_static_selectorELNS0_4arch9wavefront6targetE0EEEvS12_.private_seg_size, 0
	.set _ZN7rocprim17ROCPRIM_400000_NS6detail17trampoline_kernelINS0_13select_configILj256ELj13ELNS0_17block_load_methodE3ELS4_3ELS4_3ELNS0_20block_scan_algorithmE0ELj4294967295EEENS1_25partition_config_selectorILNS1_17partition_subalgoE4EjNS0_10empty_typeEbEEZZNS1_14partition_implILS8_4ELb0ES6_15HIP_vector_typeIjLj2EENS0_17counting_iteratorIjlEEPS9_SG_NS0_5tupleIJPjSI_NS0_16reverse_iteratorISI_EEEEENSH_IJSG_SG_SG_EEES9_SI_JZNS1_25segmented_radix_sort_implINS0_14default_configELb1EPKdPdPKlPlN2at6native12_GLOBAL__N_18offset_tEEE10hipError_tPvRmT1_PNSt15iterator_traitsIS12_E10value_typeET2_T3_PNS13_IS18_E10value_typeET4_jRbjT5_S1E_jjP12ihipStream_tbEUljE_ZNSN_ISO_Lb1ESQ_SR_ST_SU_SY_EESZ_S10_S11_S12_S16_S17_S18_S1B_S1C_jS1D_jS1E_S1E_jjS1G_bEUljE0_EEESZ_S10_S11_S18_S1C_S1E_T6_T7_T9_mT8_S1G_bDpT10_ENKUlT_T0_E_clISt17integral_constantIbLb0EES1U_EEDaS1P_S1Q_EUlS1P_E_NS1_11comp_targetILNS1_3genE8ELNS1_11target_archE1030ELNS1_3gpuE2ELNS1_3repE0EEENS1_30default_config_static_selectorELNS0_4arch9wavefront6targetE0EEEvS12_.uses_vcc, 1
	.set _ZN7rocprim17ROCPRIM_400000_NS6detail17trampoline_kernelINS0_13select_configILj256ELj13ELNS0_17block_load_methodE3ELS4_3ELS4_3ELNS0_20block_scan_algorithmE0ELj4294967295EEENS1_25partition_config_selectorILNS1_17partition_subalgoE4EjNS0_10empty_typeEbEEZZNS1_14partition_implILS8_4ELb0ES6_15HIP_vector_typeIjLj2EENS0_17counting_iteratorIjlEEPS9_SG_NS0_5tupleIJPjSI_NS0_16reverse_iteratorISI_EEEEENSH_IJSG_SG_SG_EEES9_SI_JZNS1_25segmented_radix_sort_implINS0_14default_configELb1EPKdPdPKlPlN2at6native12_GLOBAL__N_18offset_tEEE10hipError_tPvRmT1_PNSt15iterator_traitsIS12_E10value_typeET2_T3_PNS13_IS18_E10value_typeET4_jRbjT5_S1E_jjP12ihipStream_tbEUljE_ZNSN_ISO_Lb1ESQ_SR_ST_SU_SY_EESZ_S10_S11_S12_S16_S17_S18_S1B_S1C_jS1D_jS1E_S1E_jjS1G_bEUljE0_EEESZ_S10_S11_S18_S1C_S1E_T6_T7_T9_mT8_S1G_bDpT10_ENKUlT_T0_E_clISt17integral_constantIbLb0EES1U_EEDaS1P_S1Q_EUlS1P_E_NS1_11comp_targetILNS1_3genE8ELNS1_11target_archE1030ELNS1_3gpuE2ELNS1_3repE0EEENS1_30default_config_static_selectorELNS0_4arch9wavefront6targetE0EEEvS12_.uses_flat_scratch, 0
	.set _ZN7rocprim17ROCPRIM_400000_NS6detail17trampoline_kernelINS0_13select_configILj256ELj13ELNS0_17block_load_methodE3ELS4_3ELS4_3ELNS0_20block_scan_algorithmE0ELj4294967295EEENS1_25partition_config_selectorILNS1_17partition_subalgoE4EjNS0_10empty_typeEbEEZZNS1_14partition_implILS8_4ELb0ES6_15HIP_vector_typeIjLj2EENS0_17counting_iteratorIjlEEPS9_SG_NS0_5tupleIJPjSI_NS0_16reverse_iteratorISI_EEEEENSH_IJSG_SG_SG_EEES9_SI_JZNS1_25segmented_radix_sort_implINS0_14default_configELb1EPKdPdPKlPlN2at6native12_GLOBAL__N_18offset_tEEE10hipError_tPvRmT1_PNSt15iterator_traitsIS12_E10value_typeET2_T3_PNS13_IS18_E10value_typeET4_jRbjT5_S1E_jjP12ihipStream_tbEUljE_ZNSN_ISO_Lb1ESQ_SR_ST_SU_SY_EESZ_S10_S11_S12_S16_S17_S18_S1B_S1C_jS1D_jS1E_S1E_jjS1G_bEUljE0_EEESZ_S10_S11_S18_S1C_S1E_T6_T7_T9_mT8_S1G_bDpT10_ENKUlT_T0_E_clISt17integral_constantIbLb0EES1U_EEDaS1P_S1Q_EUlS1P_E_NS1_11comp_targetILNS1_3genE8ELNS1_11target_archE1030ELNS1_3gpuE2ELNS1_3repE0EEENS1_30default_config_static_selectorELNS0_4arch9wavefront6targetE0EEEvS12_.has_dyn_sized_stack, 0
	.set _ZN7rocprim17ROCPRIM_400000_NS6detail17trampoline_kernelINS0_13select_configILj256ELj13ELNS0_17block_load_methodE3ELS4_3ELS4_3ELNS0_20block_scan_algorithmE0ELj4294967295EEENS1_25partition_config_selectorILNS1_17partition_subalgoE4EjNS0_10empty_typeEbEEZZNS1_14partition_implILS8_4ELb0ES6_15HIP_vector_typeIjLj2EENS0_17counting_iteratorIjlEEPS9_SG_NS0_5tupleIJPjSI_NS0_16reverse_iteratorISI_EEEEENSH_IJSG_SG_SG_EEES9_SI_JZNS1_25segmented_radix_sort_implINS0_14default_configELb1EPKdPdPKlPlN2at6native12_GLOBAL__N_18offset_tEEE10hipError_tPvRmT1_PNSt15iterator_traitsIS12_E10value_typeET2_T3_PNS13_IS18_E10value_typeET4_jRbjT5_S1E_jjP12ihipStream_tbEUljE_ZNSN_ISO_Lb1ESQ_SR_ST_SU_SY_EESZ_S10_S11_S12_S16_S17_S18_S1B_S1C_jS1D_jS1E_S1E_jjS1G_bEUljE0_EEESZ_S10_S11_S18_S1C_S1E_T6_T7_T9_mT8_S1G_bDpT10_ENKUlT_T0_E_clISt17integral_constantIbLb0EES1U_EEDaS1P_S1Q_EUlS1P_E_NS1_11comp_targetILNS1_3genE8ELNS1_11target_archE1030ELNS1_3gpuE2ELNS1_3repE0EEENS1_30default_config_static_selectorELNS0_4arch9wavefront6targetE0EEEvS12_.has_recursion, 0
	.set _ZN7rocprim17ROCPRIM_400000_NS6detail17trampoline_kernelINS0_13select_configILj256ELj13ELNS0_17block_load_methodE3ELS4_3ELS4_3ELNS0_20block_scan_algorithmE0ELj4294967295EEENS1_25partition_config_selectorILNS1_17partition_subalgoE4EjNS0_10empty_typeEbEEZZNS1_14partition_implILS8_4ELb0ES6_15HIP_vector_typeIjLj2EENS0_17counting_iteratorIjlEEPS9_SG_NS0_5tupleIJPjSI_NS0_16reverse_iteratorISI_EEEEENSH_IJSG_SG_SG_EEES9_SI_JZNS1_25segmented_radix_sort_implINS0_14default_configELb1EPKdPdPKlPlN2at6native12_GLOBAL__N_18offset_tEEE10hipError_tPvRmT1_PNSt15iterator_traitsIS12_E10value_typeET2_T3_PNS13_IS18_E10value_typeET4_jRbjT5_S1E_jjP12ihipStream_tbEUljE_ZNSN_ISO_Lb1ESQ_SR_ST_SU_SY_EESZ_S10_S11_S12_S16_S17_S18_S1B_S1C_jS1D_jS1E_S1E_jjS1G_bEUljE0_EEESZ_S10_S11_S18_S1C_S1E_T6_T7_T9_mT8_S1G_bDpT10_ENKUlT_T0_E_clISt17integral_constantIbLb0EES1U_EEDaS1P_S1Q_EUlS1P_E_NS1_11comp_targetILNS1_3genE8ELNS1_11target_archE1030ELNS1_3gpuE2ELNS1_3repE0EEENS1_30default_config_static_selectorELNS0_4arch9wavefront6targetE0EEEvS12_.has_indirect_call, 0
	.section	.AMDGPU.csdata,"",@progbits
; Kernel info:
; codeLenInByte = 16236
; TotalNumSgprs: 61
; NumVgprs: 82
; ScratchSize: 0
; MemoryBound: 0
; FloatMode: 240
; IeeeMode: 1
; LDSByteSize: 13328 bytes/workgroup (compile time only)
; SGPRBlocks: 0
; VGPRBlocks: 10
; NumSGPRsForWavesPerEU: 61
; NumVGPRsForWavesPerEU: 82
; Occupancy: 10
; WaveLimiterHint : 1
; COMPUTE_PGM_RSRC2:SCRATCH_EN: 0
; COMPUTE_PGM_RSRC2:USER_SGPR: 6
; COMPUTE_PGM_RSRC2:TRAP_HANDLER: 0
; COMPUTE_PGM_RSRC2:TGID_X_EN: 1
; COMPUTE_PGM_RSRC2:TGID_Y_EN: 0
; COMPUTE_PGM_RSRC2:TGID_Z_EN: 0
; COMPUTE_PGM_RSRC2:TIDIG_COMP_CNT: 0
	.section	.text._ZN7rocprim17ROCPRIM_400000_NS6detail17trampoline_kernelINS0_13select_configILj256ELj13ELNS0_17block_load_methodE3ELS4_3ELS4_3ELNS0_20block_scan_algorithmE0ELj4294967295EEENS1_25partition_config_selectorILNS1_17partition_subalgoE4EjNS0_10empty_typeEbEEZZNS1_14partition_implILS8_4ELb0ES6_15HIP_vector_typeIjLj2EENS0_17counting_iteratorIjlEEPS9_SG_NS0_5tupleIJPjSI_NS0_16reverse_iteratorISI_EEEEENSH_IJSG_SG_SG_EEES9_SI_JZNS1_25segmented_radix_sort_implINS0_14default_configELb1EPKdPdPKlPlN2at6native12_GLOBAL__N_18offset_tEEE10hipError_tPvRmT1_PNSt15iterator_traitsIS12_E10value_typeET2_T3_PNS13_IS18_E10value_typeET4_jRbjT5_S1E_jjP12ihipStream_tbEUljE_ZNSN_ISO_Lb1ESQ_SR_ST_SU_SY_EESZ_S10_S11_S12_S16_S17_S18_S1B_S1C_jS1D_jS1E_S1E_jjS1G_bEUljE0_EEESZ_S10_S11_S18_S1C_S1E_T6_T7_T9_mT8_S1G_bDpT10_ENKUlT_T0_E_clISt17integral_constantIbLb1EES1U_EEDaS1P_S1Q_EUlS1P_E_NS1_11comp_targetILNS1_3genE0ELNS1_11target_archE4294967295ELNS1_3gpuE0ELNS1_3repE0EEENS1_30default_config_static_selectorELNS0_4arch9wavefront6targetE0EEEvS12_,"axG",@progbits,_ZN7rocprim17ROCPRIM_400000_NS6detail17trampoline_kernelINS0_13select_configILj256ELj13ELNS0_17block_load_methodE3ELS4_3ELS4_3ELNS0_20block_scan_algorithmE0ELj4294967295EEENS1_25partition_config_selectorILNS1_17partition_subalgoE4EjNS0_10empty_typeEbEEZZNS1_14partition_implILS8_4ELb0ES6_15HIP_vector_typeIjLj2EENS0_17counting_iteratorIjlEEPS9_SG_NS0_5tupleIJPjSI_NS0_16reverse_iteratorISI_EEEEENSH_IJSG_SG_SG_EEES9_SI_JZNS1_25segmented_radix_sort_implINS0_14default_configELb1EPKdPdPKlPlN2at6native12_GLOBAL__N_18offset_tEEE10hipError_tPvRmT1_PNSt15iterator_traitsIS12_E10value_typeET2_T3_PNS13_IS18_E10value_typeET4_jRbjT5_S1E_jjP12ihipStream_tbEUljE_ZNSN_ISO_Lb1ESQ_SR_ST_SU_SY_EESZ_S10_S11_S12_S16_S17_S18_S1B_S1C_jS1D_jS1E_S1E_jjS1G_bEUljE0_EEESZ_S10_S11_S18_S1C_S1E_T6_T7_T9_mT8_S1G_bDpT10_ENKUlT_T0_E_clISt17integral_constantIbLb1EES1U_EEDaS1P_S1Q_EUlS1P_E_NS1_11comp_targetILNS1_3genE0ELNS1_11target_archE4294967295ELNS1_3gpuE0ELNS1_3repE0EEENS1_30default_config_static_selectorELNS0_4arch9wavefront6targetE0EEEvS12_,comdat
	.globl	_ZN7rocprim17ROCPRIM_400000_NS6detail17trampoline_kernelINS0_13select_configILj256ELj13ELNS0_17block_load_methodE3ELS4_3ELS4_3ELNS0_20block_scan_algorithmE0ELj4294967295EEENS1_25partition_config_selectorILNS1_17partition_subalgoE4EjNS0_10empty_typeEbEEZZNS1_14partition_implILS8_4ELb0ES6_15HIP_vector_typeIjLj2EENS0_17counting_iteratorIjlEEPS9_SG_NS0_5tupleIJPjSI_NS0_16reverse_iteratorISI_EEEEENSH_IJSG_SG_SG_EEES9_SI_JZNS1_25segmented_radix_sort_implINS0_14default_configELb1EPKdPdPKlPlN2at6native12_GLOBAL__N_18offset_tEEE10hipError_tPvRmT1_PNSt15iterator_traitsIS12_E10value_typeET2_T3_PNS13_IS18_E10value_typeET4_jRbjT5_S1E_jjP12ihipStream_tbEUljE_ZNSN_ISO_Lb1ESQ_SR_ST_SU_SY_EESZ_S10_S11_S12_S16_S17_S18_S1B_S1C_jS1D_jS1E_S1E_jjS1G_bEUljE0_EEESZ_S10_S11_S18_S1C_S1E_T6_T7_T9_mT8_S1G_bDpT10_ENKUlT_T0_E_clISt17integral_constantIbLb1EES1U_EEDaS1P_S1Q_EUlS1P_E_NS1_11comp_targetILNS1_3genE0ELNS1_11target_archE4294967295ELNS1_3gpuE0ELNS1_3repE0EEENS1_30default_config_static_selectorELNS0_4arch9wavefront6targetE0EEEvS12_ ; -- Begin function _ZN7rocprim17ROCPRIM_400000_NS6detail17trampoline_kernelINS0_13select_configILj256ELj13ELNS0_17block_load_methodE3ELS4_3ELS4_3ELNS0_20block_scan_algorithmE0ELj4294967295EEENS1_25partition_config_selectorILNS1_17partition_subalgoE4EjNS0_10empty_typeEbEEZZNS1_14partition_implILS8_4ELb0ES6_15HIP_vector_typeIjLj2EENS0_17counting_iteratorIjlEEPS9_SG_NS0_5tupleIJPjSI_NS0_16reverse_iteratorISI_EEEEENSH_IJSG_SG_SG_EEES9_SI_JZNS1_25segmented_radix_sort_implINS0_14default_configELb1EPKdPdPKlPlN2at6native12_GLOBAL__N_18offset_tEEE10hipError_tPvRmT1_PNSt15iterator_traitsIS12_E10value_typeET2_T3_PNS13_IS18_E10value_typeET4_jRbjT5_S1E_jjP12ihipStream_tbEUljE_ZNSN_ISO_Lb1ESQ_SR_ST_SU_SY_EESZ_S10_S11_S12_S16_S17_S18_S1B_S1C_jS1D_jS1E_S1E_jjS1G_bEUljE0_EEESZ_S10_S11_S18_S1C_S1E_T6_T7_T9_mT8_S1G_bDpT10_ENKUlT_T0_E_clISt17integral_constantIbLb1EES1U_EEDaS1P_S1Q_EUlS1P_E_NS1_11comp_targetILNS1_3genE0ELNS1_11target_archE4294967295ELNS1_3gpuE0ELNS1_3repE0EEENS1_30default_config_static_selectorELNS0_4arch9wavefront6targetE0EEEvS12_
	.p2align	8
	.type	_ZN7rocprim17ROCPRIM_400000_NS6detail17trampoline_kernelINS0_13select_configILj256ELj13ELNS0_17block_load_methodE3ELS4_3ELS4_3ELNS0_20block_scan_algorithmE0ELj4294967295EEENS1_25partition_config_selectorILNS1_17partition_subalgoE4EjNS0_10empty_typeEbEEZZNS1_14partition_implILS8_4ELb0ES6_15HIP_vector_typeIjLj2EENS0_17counting_iteratorIjlEEPS9_SG_NS0_5tupleIJPjSI_NS0_16reverse_iteratorISI_EEEEENSH_IJSG_SG_SG_EEES9_SI_JZNS1_25segmented_radix_sort_implINS0_14default_configELb1EPKdPdPKlPlN2at6native12_GLOBAL__N_18offset_tEEE10hipError_tPvRmT1_PNSt15iterator_traitsIS12_E10value_typeET2_T3_PNS13_IS18_E10value_typeET4_jRbjT5_S1E_jjP12ihipStream_tbEUljE_ZNSN_ISO_Lb1ESQ_SR_ST_SU_SY_EESZ_S10_S11_S12_S16_S17_S18_S1B_S1C_jS1D_jS1E_S1E_jjS1G_bEUljE0_EEESZ_S10_S11_S18_S1C_S1E_T6_T7_T9_mT8_S1G_bDpT10_ENKUlT_T0_E_clISt17integral_constantIbLb1EES1U_EEDaS1P_S1Q_EUlS1P_E_NS1_11comp_targetILNS1_3genE0ELNS1_11target_archE4294967295ELNS1_3gpuE0ELNS1_3repE0EEENS1_30default_config_static_selectorELNS0_4arch9wavefront6targetE0EEEvS12_,@function
_ZN7rocprim17ROCPRIM_400000_NS6detail17trampoline_kernelINS0_13select_configILj256ELj13ELNS0_17block_load_methodE3ELS4_3ELS4_3ELNS0_20block_scan_algorithmE0ELj4294967295EEENS1_25partition_config_selectorILNS1_17partition_subalgoE4EjNS0_10empty_typeEbEEZZNS1_14partition_implILS8_4ELb0ES6_15HIP_vector_typeIjLj2EENS0_17counting_iteratorIjlEEPS9_SG_NS0_5tupleIJPjSI_NS0_16reverse_iteratorISI_EEEEENSH_IJSG_SG_SG_EEES9_SI_JZNS1_25segmented_radix_sort_implINS0_14default_configELb1EPKdPdPKlPlN2at6native12_GLOBAL__N_18offset_tEEE10hipError_tPvRmT1_PNSt15iterator_traitsIS12_E10value_typeET2_T3_PNS13_IS18_E10value_typeET4_jRbjT5_S1E_jjP12ihipStream_tbEUljE_ZNSN_ISO_Lb1ESQ_SR_ST_SU_SY_EESZ_S10_S11_S12_S16_S17_S18_S1B_S1C_jS1D_jS1E_S1E_jjS1G_bEUljE0_EEESZ_S10_S11_S18_S1C_S1E_T6_T7_T9_mT8_S1G_bDpT10_ENKUlT_T0_E_clISt17integral_constantIbLb1EES1U_EEDaS1P_S1Q_EUlS1P_E_NS1_11comp_targetILNS1_3genE0ELNS1_11target_archE4294967295ELNS1_3gpuE0ELNS1_3repE0EEENS1_30default_config_static_selectorELNS0_4arch9wavefront6targetE0EEEvS12_: ; @_ZN7rocprim17ROCPRIM_400000_NS6detail17trampoline_kernelINS0_13select_configILj256ELj13ELNS0_17block_load_methodE3ELS4_3ELS4_3ELNS0_20block_scan_algorithmE0ELj4294967295EEENS1_25partition_config_selectorILNS1_17partition_subalgoE4EjNS0_10empty_typeEbEEZZNS1_14partition_implILS8_4ELb0ES6_15HIP_vector_typeIjLj2EENS0_17counting_iteratorIjlEEPS9_SG_NS0_5tupleIJPjSI_NS0_16reverse_iteratorISI_EEEEENSH_IJSG_SG_SG_EEES9_SI_JZNS1_25segmented_radix_sort_implINS0_14default_configELb1EPKdPdPKlPlN2at6native12_GLOBAL__N_18offset_tEEE10hipError_tPvRmT1_PNSt15iterator_traitsIS12_E10value_typeET2_T3_PNS13_IS18_E10value_typeET4_jRbjT5_S1E_jjP12ihipStream_tbEUljE_ZNSN_ISO_Lb1ESQ_SR_ST_SU_SY_EESZ_S10_S11_S12_S16_S17_S18_S1B_S1C_jS1D_jS1E_S1E_jjS1G_bEUljE0_EEESZ_S10_S11_S18_S1C_S1E_T6_T7_T9_mT8_S1G_bDpT10_ENKUlT_T0_E_clISt17integral_constantIbLb1EES1U_EEDaS1P_S1Q_EUlS1P_E_NS1_11comp_targetILNS1_3genE0ELNS1_11target_archE4294967295ELNS1_3gpuE0ELNS1_3repE0EEENS1_30default_config_static_selectorELNS0_4arch9wavefront6targetE0EEEvS12_
; %bb.0:
	.section	.rodata,"a",@progbits
	.p2align	6, 0x0
	.amdhsa_kernel _ZN7rocprim17ROCPRIM_400000_NS6detail17trampoline_kernelINS0_13select_configILj256ELj13ELNS0_17block_load_methodE3ELS4_3ELS4_3ELNS0_20block_scan_algorithmE0ELj4294967295EEENS1_25partition_config_selectorILNS1_17partition_subalgoE4EjNS0_10empty_typeEbEEZZNS1_14partition_implILS8_4ELb0ES6_15HIP_vector_typeIjLj2EENS0_17counting_iteratorIjlEEPS9_SG_NS0_5tupleIJPjSI_NS0_16reverse_iteratorISI_EEEEENSH_IJSG_SG_SG_EEES9_SI_JZNS1_25segmented_radix_sort_implINS0_14default_configELb1EPKdPdPKlPlN2at6native12_GLOBAL__N_18offset_tEEE10hipError_tPvRmT1_PNSt15iterator_traitsIS12_E10value_typeET2_T3_PNS13_IS18_E10value_typeET4_jRbjT5_S1E_jjP12ihipStream_tbEUljE_ZNSN_ISO_Lb1ESQ_SR_ST_SU_SY_EESZ_S10_S11_S12_S16_S17_S18_S1B_S1C_jS1D_jS1E_S1E_jjS1G_bEUljE0_EEESZ_S10_S11_S18_S1C_S1E_T6_T7_T9_mT8_S1G_bDpT10_ENKUlT_T0_E_clISt17integral_constantIbLb1EES1U_EEDaS1P_S1Q_EUlS1P_E_NS1_11comp_targetILNS1_3genE0ELNS1_11target_archE4294967295ELNS1_3gpuE0ELNS1_3repE0EEENS1_30default_config_static_selectorELNS0_4arch9wavefront6targetE0EEEvS12_
		.amdhsa_group_segment_fixed_size 0
		.amdhsa_private_segment_fixed_size 0
		.amdhsa_kernarg_size 184
		.amdhsa_user_sgpr_count 6
		.amdhsa_user_sgpr_private_segment_buffer 1
		.amdhsa_user_sgpr_dispatch_ptr 0
		.amdhsa_user_sgpr_queue_ptr 0
		.amdhsa_user_sgpr_kernarg_segment_ptr 1
		.amdhsa_user_sgpr_dispatch_id 0
		.amdhsa_user_sgpr_flat_scratch_init 0
		.amdhsa_user_sgpr_private_segment_size 0
		.amdhsa_wavefront_size32 1
		.amdhsa_uses_dynamic_stack 0
		.amdhsa_system_sgpr_private_segment_wavefront_offset 0
		.amdhsa_system_sgpr_workgroup_id_x 1
		.amdhsa_system_sgpr_workgroup_id_y 0
		.amdhsa_system_sgpr_workgroup_id_z 0
		.amdhsa_system_sgpr_workgroup_info 0
		.amdhsa_system_vgpr_workitem_id 0
		.amdhsa_next_free_vgpr 1
		.amdhsa_next_free_sgpr 1
		.amdhsa_reserve_vcc 0
		.amdhsa_reserve_flat_scratch 0
		.amdhsa_float_round_mode_32 0
		.amdhsa_float_round_mode_16_64 0
		.amdhsa_float_denorm_mode_32 3
		.amdhsa_float_denorm_mode_16_64 3
		.amdhsa_dx10_clamp 1
		.amdhsa_ieee_mode 1
		.amdhsa_fp16_overflow 0
		.amdhsa_workgroup_processor_mode 1
		.amdhsa_memory_ordered 1
		.amdhsa_forward_progress 1
		.amdhsa_shared_vgpr_count 0
		.amdhsa_exception_fp_ieee_invalid_op 0
		.amdhsa_exception_fp_denorm_src 0
		.amdhsa_exception_fp_ieee_div_zero 0
		.amdhsa_exception_fp_ieee_overflow 0
		.amdhsa_exception_fp_ieee_underflow 0
		.amdhsa_exception_fp_ieee_inexact 0
		.amdhsa_exception_int_div_zero 0
	.end_amdhsa_kernel
	.section	.text._ZN7rocprim17ROCPRIM_400000_NS6detail17trampoline_kernelINS0_13select_configILj256ELj13ELNS0_17block_load_methodE3ELS4_3ELS4_3ELNS0_20block_scan_algorithmE0ELj4294967295EEENS1_25partition_config_selectorILNS1_17partition_subalgoE4EjNS0_10empty_typeEbEEZZNS1_14partition_implILS8_4ELb0ES6_15HIP_vector_typeIjLj2EENS0_17counting_iteratorIjlEEPS9_SG_NS0_5tupleIJPjSI_NS0_16reverse_iteratorISI_EEEEENSH_IJSG_SG_SG_EEES9_SI_JZNS1_25segmented_radix_sort_implINS0_14default_configELb1EPKdPdPKlPlN2at6native12_GLOBAL__N_18offset_tEEE10hipError_tPvRmT1_PNSt15iterator_traitsIS12_E10value_typeET2_T3_PNS13_IS18_E10value_typeET4_jRbjT5_S1E_jjP12ihipStream_tbEUljE_ZNSN_ISO_Lb1ESQ_SR_ST_SU_SY_EESZ_S10_S11_S12_S16_S17_S18_S1B_S1C_jS1D_jS1E_S1E_jjS1G_bEUljE0_EEESZ_S10_S11_S18_S1C_S1E_T6_T7_T9_mT8_S1G_bDpT10_ENKUlT_T0_E_clISt17integral_constantIbLb1EES1U_EEDaS1P_S1Q_EUlS1P_E_NS1_11comp_targetILNS1_3genE0ELNS1_11target_archE4294967295ELNS1_3gpuE0ELNS1_3repE0EEENS1_30default_config_static_selectorELNS0_4arch9wavefront6targetE0EEEvS12_,"axG",@progbits,_ZN7rocprim17ROCPRIM_400000_NS6detail17trampoline_kernelINS0_13select_configILj256ELj13ELNS0_17block_load_methodE3ELS4_3ELS4_3ELNS0_20block_scan_algorithmE0ELj4294967295EEENS1_25partition_config_selectorILNS1_17partition_subalgoE4EjNS0_10empty_typeEbEEZZNS1_14partition_implILS8_4ELb0ES6_15HIP_vector_typeIjLj2EENS0_17counting_iteratorIjlEEPS9_SG_NS0_5tupleIJPjSI_NS0_16reverse_iteratorISI_EEEEENSH_IJSG_SG_SG_EEES9_SI_JZNS1_25segmented_radix_sort_implINS0_14default_configELb1EPKdPdPKlPlN2at6native12_GLOBAL__N_18offset_tEEE10hipError_tPvRmT1_PNSt15iterator_traitsIS12_E10value_typeET2_T3_PNS13_IS18_E10value_typeET4_jRbjT5_S1E_jjP12ihipStream_tbEUljE_ZNSN_ISO_Lb1ESQ_SR_ST_SU_SY_EESZ_S10_S11_S12_S16_S17_S18_S1B_S1C_jS1D_jS1E_S1E_jjS1G_bEUljE0_EEESZ_S10_S11_S18_S1C_S1E_T6_T7_T9_mT8_S1G_bDpT10_ENKUlT_T0_E_clISt17integral_constantIbLb1EES1U_EEDaS1P_S1Q_EUlS1P_E_NS1_11comp_targetILNS1_3genE0ELNS1_11target_archE4294967295ELNS1_3gpuE0ELNS1_3repE0EEENS1_30default_config_static_selectorELNS0_4arch9wavefront6targetE0EEEvS12_,comdat
.Lfunc_end1054:
	.size	_ZN7rocprim17ROCPRIM_400000_NS6detail17trampoline_kernelINS0_13select_configILj256ELj13ELNS0_17block_load_methodE3ELS4_3ELS4_3ELNS0_20block_scan_algorithmE0ELj4294967295EEENS1_25partition_config_selectorILNS1_17partition_subalgoE4EjNS0_10empty_typeEbEEZZNS1_14partition_implILS8_4ELb0ES6_15HIP_vector_typeIjLj2EENS0_17counting_iteratorIjlEEPS9_SG_NS0_5tupleIJPjSI_NS0_16reverse_iteratorISI_EEEEENSH_IJSG_SG_SG_EEES9_SI_JZNS1_25segmented_radix_sort_implINS0_14default_configELb1EPKdPdPKlPlN2at6native12_GLOBAL__N_18offset_tEEE10hipError_tPvRmT1_PNSt15iterator_traitsIS12_E10value_typeET2_T3_PNS13_IS18_E10value_typeET4_jRbjT5_S1E_jjP12ihipStream_tbEUljE_ZNSN_ISO_Lb1ESQ_SR_ST_SU_SY_EESZ_S10_S11_S12_S16_S17_S18_S1B_S1C_jS1D_jS1E_S1E_jjS1G_bEUljE0_EEESZ_S10_S11_S18_S1C_S1E_T6_T7_T9_mT8_S1G_bDpT10_ENKUlT_T0_E_clISt17integral_constantIbLb1EES1U_EEDaS1P_S1Q_EUlS1P_E_NS1_11comp_targetILNS1_3genE0ELNS1_11target_archE4294967295ELNS1_3gpuE0ELNS1_3repE0EEENS1_30default_config_static_selectorELNS0_4arch9wavefront6targetE0EEEvS12_, .Lfunc_end1054-_ZN7rocprim17ROCPRIM_400000_NS6detail17trampoline_kernelINS0_13select_configILj256ELj13ELNS0_17block_load_methodE3ELS4_3ELS4_3ELNS0_20block_scan_algorithmE0ELj4294967295EEENS1_25partition_config_selectorILNS1_17partition_subalgoE4EjNS0_10empty_typeEbEEZZNS1_14partition_implILS8_4ELb0ES6_15HIP_vector_typeIjLj2EENS0_17counting_iteratorIjlEEPS9_SG_NS0_5tupleIJPjSI_NS0_16reverse_iteratorISI_EEEEENSH_IJSG_SG_SG_EEES9_SI_JZNS1_25segmented_radix_sort_implINS0_14default_configELb1EPKdPdPKlPlN2at6native12_GLOBAL__N_18offset_tEEE10hipError_tPvRmT1_PNSt15iterator_traitsIS12_E10value_typeET2_T3_PNS13_IS18_E10value_typeET4_jRbjT5_S1E_jjP12ihipStream_tbEUljE_ZNSN_ISO_Lb1ESQ_SR_ST_SU_SY_EESZ_S10_S11_S12_S16_S17_S18_S1B_S1C_jS1D_jS1E_S1E_jjS1G_bEUljE0_EEESZ_S10_S11_S18_S1C_S1E_T6_T7_T9_mT8_S1G_bDpT10_ENKUlT_T0_E_clISt17integral_constantIbLb1EES1U_EEDaS1P_S1Q_EUlS1P_E_NS1_11comp_targetILNS1_3genE0ELNS1_11target_archE4294967295ELNS1_3gpuE0ELNS1_3repE0EEENS1_30default_config_static_selectorELNS0_4arch9wavefront6targetE0EEEvS12_
                                        ; -- End function
	.set _ZN7rocprim17ROCPRIM_400000_NS6detail17trampoline_kernelINS0_13select_configILj256ELj13ELNS0_17block_load_methodE3ELS4_3ELS4_3ELNS0_20block_scan_algorithmE0ELj4294967295EEENS1_25partition_config_selectorILNS1_17partition_subalgoE4EjNS0_10empty_typeEbEEZZNS1_14partition_implILS8_4ELb0ES6_15HIP_vector_typeIjLj2EENS0_17counting_iteratorIjlEEPS9_SG_NS0_5tupleIJPjSI_NS0_16reverse_iteratorISI_EEEEENSH_IJSG_SG_SG_EEES9_SI_JZNS1_25segmented_radix_sort_implINS0_14default_configELb1EPKdPdPKlPlN2at6native12_GLOBAL__N_18offset_tEEE10hipError_tPvRmT1_PNSt15iterator_traitsIS12_E10value_typeET2_T3_PNS13_IS18_E10value_typeET4_jRbjT5_S1E_jjP12ihipStream_tbEUljE_ZNSN_ISO_Lb1ESQ_SR_ST_SU_SY_EESZ_S10_S11_S12_S16_S17_S18_S1B_S1C_jS1D_jS1E_S1E_jjS1G_bEUljE0_EEESZ_S10_S11_S18_S1C_S1E_T6_T7_T9_mT8_S1G_bDpT10_ENKUlT_T0_E_clISt17integral_constantIbLb1EES1U_EEDaS1P_S1Q_EUlS1P_E_NS1_11comp_targetILNS1_3genE0ELNS1_11target_archE4294967295ELNS1_3gpuE0ELNS1_3repE0EEENS1_30default_config_static_selectorELNS0_4arch9wavefront6targetE0EEEvS12_.num_vgpr, 0
	.set _ZN7rocprim17ROCPRIM_400000_NS6detail17trampoline_kernelINS0_13select_configILj256ELj13ELNS0_17block_load_methodE3ELS4_3ELS4_3ELNS0_20block_scan_algorithmE0ELj4294967295EEENS1_25partition_config_selectorILNS1_17partition_subalgoE4EjNS0_10empty_typeEbEEZZNS1_14partition_implILS8_4ELb0ES6_15HIP_vector_typeIjLj2EENS0_17counting_iteratorIjlEEPS9_SG_NS0_5tupleIJPjSI_NS0_16reverse_iteratorISI_EEEEENSH_IJSG_SG_SG_EEES9_SI_JZNS1_25segmented_radix_sort_implINS0_14default_configELb1EPKdPdPKlPlN2at6native12_GLOBAL__N_18offset_tEEE10hipError_tPvRmT1_PNSt15iterator_traitsIS12_E10value_typeET2_T3_PNS13_IS18_E10value_typeET4_jRbjT5_S1E_jjP12ihipStream_tbEUljE_ZNSN_ISO_Lb1ESQ_SR_ST_SU_SY_EESZ_S10_S11_S12_S16_S17_S18_S1B_S1C_jS1D_jS1E_S1E_jjS1G_bEUljE0_EEESZ_S10_S11_S18_S1C_S1E_T6_T7_T9_mT8_S1G_bDpT10_ENKUlT_T0_E_clISt17integral_constantIbLb1EES1U_EEDaS1P_S1Q_EUlS1P_E_NS1_11comp_targetILNS1_3genE0ELNS1_11target_archE4294967295ELNS1_3gpuE0ELNS1_3repE0EEENS1_30default_config_static_selectorELNS0_4arch9wavefront6targetE0EEEvS12_.num_agpr, 0
	.set _ZN7rocprim17ROCPRIM_400000_NS6detail17trampoline_kernelINS0_13select_configILj256ELj13ELNS0_17block_load_methodE3ELS4_3ELS4_3ELNS0_20block_scan_algorithmE0ELj4294967295EEENS1_25partition_config_selectorILNS1_17partition_subalgoE4EjNS0_10empty_typeEbEEZZNS1_14partition_implILS8_4ELb0ES6_15HIP_vector_typeIjLj2EENS0_17counting_iteratorIjlEEPS9_SG_NS0_5tupleIJPjSI_NS0_16reverse_iteratorISI_EEEEENSH_IJSG_SG_SG_EEES9_SI_JZNS1_25segmented_radix_sort_implINS0_14default_configELb1EPKdPdPKlPlN2at6native12_GLOBAL__N_18offset_tEEE10hipError_tPvRmT1_PNSt15iterator_traitsIS12_E10value_typeET2_T3_PNS13_IS18_E10value_typeET4_jRbjT5_S1E_jjP12ihipStream_tbEUljE_ZNSN_ISO_Lb1ESQ_SR_ST_SU_SY_EESZ_S10_S11_S12_S16_S17_S18_S1B_S1C_jS1D_jS1E_S1E_jjS1G_bEUljE0_EEESZ_S10_S11_S18_S1C_S1E_T6_T7_T9_mT8_S1G_bDpT10_ENKUlT_T0_E_clISt17integral_constantIbLb1EES1U_EEDaS1P_S1Q_EUlS1P_E_NS1_11comp_targetILNS1_3genE0ELNS1_11target_archE4294967295ELNS1_3gpuE0ELNS1_3repE0EEENS1_30default_config_static_selectorELNS0_4arch9wavefront6targetE0EEEvS12_.numbered_sgpr, 0
	.set _ZN7rocprim17ROCPRIM_400000_NS6detail17trampoline_kernelINS0_13select_configILj256ELj13ELNS0_17block_load_methodE3ELS4_3ELS4_3ELNS0_20block_scan_algorithmE0ELj4294967295EEENS1_25partition_config_selectorILNS1_17partition_subalgoE4EjNS0_10empty_typeEbEEZZNS1_14partition_implILS8_4ELb0ES6_15HIP_vector_typeIjLj2EENS0_17counting_iteratorIjlEEPS9_SG_NS0_5tupleIJPjSI_NS0_16reverse_iteratorISI_EEEEENSH_IJSG_SG_SG_EEES9_SI_JZNS1_25segmented_radix_sort_implINS0_14default_configELb1EPKdPdPKlPlN2at6native12_GLOBAL__N_18offset_tEEE10hipError_tPvRmT1_PNSt15iterator_traitsIS12_E10value_typeET2_T3_PNS13_IS18_E10value_typeET4_jRbjT5_S1E_jjP12ihipStream_tbEUljE_ZNSN_ISO_Lb1ESQ_SR_ST_SU_SY_EESZ_S10_S11_S12_S16_S17_S18_S1B_S1C_jS1D_jS1E_S1E_jjS1G_bEUljE0_EEESZ_S10_S11_S18_S1C_S1E_T6_T7_T9_mT8_S1G_bDpT10_ENKUlT_T0_E_clISt17integral_constantIbLb1EES1U_EEDaS1P_S1Q_EUlS1P_E_NS1_11comp_targetILNS1_3genE0ELNS1_11target_archE4294967295ELNS1_3gpuE0ELNS1_3repE0EEENS1_30default_config_static_selectorELNS0_4arch9wavefront6targetE0EEEvS12_.num_named_barrier, 0
	.set _ZN7rocprim17ROCPRIM_400000_NS6detail17trampoline_kernelINS0_13select_configILj256ELj13ELNS0_17block_load_methodE3ELS4_3ELS4_3ELNS0_20block_scan_algorithmE0ELj4294967295EEENS1_25partition_config_selectorILNS1_17partition_subalgoE4EjNS0_10empty_typeEbEEZZNS1_14partition_implILS8_4ELb0ES6_15HIP_vector_typeIjLj2EENS0_17counting_iteratorIjlEEPS9_SG_NS0_5tupleIJPjSI_NS0_16reverse_iteratorISI_EEEEENSH_IJSG_SG_SG_EEES9_SI_JZNS1_25segmented_radix_sort_implINS0_14default_configELb1EPKdPdPKlPlN2at6native12_GLOBAL__N_18offset_tEEE10hipError_tPvRmT1_PNSt15iterator_traitsIS12_E10value_typeET2_T3_PNS13_IS18_E10value_typeET4_jRbjT5_S1E_jjP12ihipStream_tbEUljE_ZNSN_ISO_Lb1ESQ_SR_ST_SU_SY_EESZ_S10_S11_S12_S16_S17_S18_S1B_S1C_jS1D_jS1E_S1E_jjS1G_bEUljE0_EEESZ_S10_S11_S18_S1C_S1E_T6_T7_T9_mT8_S1G_bDpT10_ENKUlT_T0_E_clISt17integral_constantIbLb1EES1U_EEDaS1P_S1Q_EUlS1P_E_NS1_11comp_targetILNS1_3genE0ELNS1_11target_archE4294967295ELNS1_3gpuE0ELNS1_3repE0EEENS1_30default_config_static_selectorELNS0_4arch9wavefront6targetE0EEEvS12_.private_seg_size, 0
	.set _ZN7rocprim17ROCPRIM_400000_NS6detail17trampoline_kernelINS0_13select_configILj256ELj13ELNS0_17block_load_methodE3ELS4_3ELS4_3ELNS0_20block_scan_algorithmE0ELj4294967295EEENS1_25partition_config_selectorILNS1_17partition_subalgoE4EjNS0_10empty_typeEbEEZZNS1_14partition_implILS8_4ELb0ES6_15HIP_vector_typeIjLj2EENS0_17counting_iteratorIjlEEPS9_SG_NS0_5tupleIJPjSI_NS0_16reverse_iteratorISI_EEEEENSH_IJSG_SG_SG_EEES9_SI_JZNS1_25segmented_radix_sort_implINS0_14default_configELb1EPKdPdPKlPlN2at6native12_GLOBAL__N_18offset_tEEE10hipError_tPvRmT1_PNSt15iterator_traitsIS12_E10value_typeET2_T3_PNS13_IS18_E10value_typeET4_jRbjT5_S1E_jjP12ihipStream_tbEUljE_ZNSN_ISO_Lb1ESQ_SR_ST_SU_SY_EESZ_S10_S11_S12_S16_S17_S18_S1B_S1C_jS1D_jS1E_S1E_jjS1G_bEUljE0_EEESZ_S10_S11_S18_S1C_S1E_T6_T7_T9_mT8_S1G_bDpT10_ENKUlT_T0_E_clISt17integral_constantIbLb1EES1U_EEDaS1P_S1Q_EUlS1P_E_NS1_11comp_targetILNS1_3genE0ELNS1_11target_archE4294967295ELNS1_3gpuE0ELNS1_3repE0EEENS1_30default_config_static_selectorELNS0_4arch9wavefront6targetE0EEEvS12_.uses_vcc, 0
	.set _ZN7rocprim17ROCPRIM_400000_NS6detail17trampoline_kernelINS0_13select_configILj256ELj13ELNS0_17block_load_methodE3ELS4_3ELS4_3ELNS0_20block_scan_algorithmE0ELj4294967295EEENS1_25partition_config_selectorILNS1_17partition_subalgoE4EjNS0_10empty_typeEbEEZZNS1_14partition_implILS8_4ELb0ES6_15HIP_vector_typeIjLj2EENS0_17counting_iteratorIjlEEPS9_SG_NS0_5tupleIJPjSI_NS0_16reverse_iteratorISI_EEEEENSH_IJSG_SG_SG_EEES9_SI_JZNS1_25segmented_radix_sort_implINS0_14default_configELb1EPKdPdPKlPlN2at6native12_GLOBAL__N_18offset_tEEE10hipError_tPvRmT1_PNSt15iterator_traitsIS12_E10value_typeET2_T3_PNS13_IS18_E10value_typeET4_jRbjT5_S1E_jjP12ihipStream_tbEUljE_ZNSN_ISO_Lb1ESQ_SR_ST_SU_SY_EESZ_S10_S11_S12_S16_S17_S18_S1B_S1C_jS1D_jS1E_S1E_jjS1G_bEUljE0_EEESZ_S10_S11_S18_S1C_S1E_T6_T7_T9_mT8_S1G_bDpT10_ENKUlT_T0_E_clISt17integral_constantIbLb1EES1U_EEDaS1P_S1Q_EUlS1P_E_NS1_11comp_targetILNS1_3genE0ELNS1_11target_archE4294967295ELNS1_3gpuE0ELNS1_3repE0EEENS1_30default_config_static_selectorELNS0_4arch9wavefront6targetE0EEEvS12_.uses_flat_scratch, 0
	.set _ZN7rocprim17ROCPRIM_400000_NS6detail17trampoline_kernelINS0_13select_configILj256ELj13ELNS0_17block_load_methodE3ELS4_3ELS4_3ELNS0_20block_scan_algorithmE0ELj4294967295EEENS1_25partition_config_selectorILNS1_17partition_subalgoE4EjNS0_10empty_typeEbEEZZNS1_14partition_implILS8_4ELb0ES6_15HIP_vector_typeIjLj2EENS0_17counting_iteratorIjlEEPS9_SG_NS0_5tupleIJPjSI_NS0_16reverse_iteratorISI_EEEEENSH_IJSG_SG_SG_EEES9_SI_JZNS1_25segmented_radix_sort_implINS0_14default_configELb1EPKdPdPKlPlN2at6native12_GLOBAL__N_18offset_tEEE10hipError_tPvRmT1_PNSt15iterator_traitsIS12_E10value_typeET2_T3_PNS13_IS18_E10value_typeET4_jRbjT5_S1E_jjP12ihipStream_tbEUljE_ZNSN_ISO_Lb1ESQ_SR_ST_SU_SY_EESZ_S10_S11_S12_S16_S17_S18_S1B_S1C_jS1D_jS1E_S1E_jjS1G_bEUljE0_EEESZ_S10_S11_S18_S1C_S1E_T6_T7_T9_mT8_S1G_bDpT10_ENKUlT_T0_E_clISt17integral_constantIbLb1EES1U_EEDaS1P_S1Q_EUlS1P_E_NS1_11comp_targetILNS1_3genE0ELNS1_11target_archE4294967295ELNS1_3gpuE0ELNS1_3repE0EEENS1_30default_config_static_selectorELNS0_4arch9wavefront6targetE0EEEvS12_.has_dyn_sized_stack, 0
	.set _ZN7rocprim17ROCPRIM_400000_NS6detail17trampoline_kernelINS0_13select_configILj256ELj13ELNS0_17block_load_methodE3ELS4_3ELS4_3ELNS0_20block_scan_algorithmE0ELj4294967295EEENS1_25partition_config_selectorILNS1_17partition_subalgoE4EjNS0_10empty_typeEbEEZZNS1_14partition_implILS8_4ELb0ES6_15HIP_vector_typeIjLj2EENS0_17counting_iteratorIjlEEPS9_SG_NS0_5tupleIJPjSI_NS0_16reverse_iteratorISI_EEEEENSH_IJSG_SG_SG_EEES9_SI_JZNS1_25segmented_radix_sort_implINS0_14default_configELb1EPKdPdPKlPlN2at6native12_GLOBAL__N_18offset_tEEE10hipError_tPvRmT1_PNSt15iterator_traitsIS12_E10value_typeET2_T3_PNS13_IS18_E10value_typeET4_jRbjT5_S1E_jjP12ihipStream_tbEUljE_ZNSN_ISO_Lb1ESQ_SR_ST_SU_SY_EESZ_S10_S11_S12_S16_S17_S18_S1B_S1C_jS1D_jS1E_S1E_jjS1G_bEUljE0_EEESZ_S10_S11_S18_S1C_S1E_T6_T7_T9_mT8_S1G_bDpT10_ENKUlT_T0_E_clISt17integral_constantIbLb1EES1U_EEDaS1P_S1Q_EUlS1P_E_NS1_11comp_targetILNS1_3genE0ELNS1_11target_archE4294967295ELNS1_3gpuE0ELNS1_3repE0EEENS1_30default_config_static_selectorELNS0_4arch9wavefront6targetE0EEEvS12_.has_recursion, 0
	.set _ZN7rocprim17ROCPRIM_400000_NS6detail17trampoline_kernelINS0_13select_configILj256ELj13ELNS0_17block_load_methodE3ELS4_3ELS4_3ELNS0_20block_scan_algorithmE0ELj4294967295EEENS1_25partition_config_selectorILNS1_17partition_subalgoE4EjNS0_10empty_typeEbEEZZNS1_14partition_implILS8_4ELb0ES6_15HIP_vector_typeIjLj2EENS0_17counting_iteratorIjlEEPS9_SG_NS0_5tupleIJPjSI_NS0_16reverse_iteratorISI_EEEEENSH_IJSG_SG_SG_EEES9_SI_JZNS1_25segmented_radix_sort_implINS0_14default_configELb1EPKdPdPKlPlN2at6native12_GLOBAL__N_18offset_tEEE10hipError_tPvRmT1_PNSt15iterator_traitsIS12_E10value_typeET2_T3_PNS13_IS18_E10value_typeET4_jRbjT5_S1E_jjP12ihipStream_tbEUljE_ZNSN_ISO_Lb1ESQ_SR_ST_SU_SY_EESZ_S10_S11_S12_S16_S17_S18_S1B_S1C_jS1D_jS1E_S1E_jjS1G_bEUljE0_EEESZ_S10_S11_S18_S1C_S1E_T6_T7_T9_mT8_S1G_bDpT10_ENKUlT_T0_E_clISt17integral_constantIbLb1EES1U_EEDaS1P_S1Q_EUlS1P_E_NS1_11comp_targetILNS1_3genE0ELNS1_11target_archE4294967295ELNS1_3gpuE0ELNS1_3repE0EEENS1_30default_config_static_selectorELNS0_4arch9wavefront6targetE0EEEvS12_.has_indirect_call, 0
	.section	.AMDGPU.csdata,"",@progbits
; Kernel info:
; codeLenInByte = 0
; TotalNumSgprs: 0
; NumVgprs: 0
; ScratchSize: 0
; MemoryBound: 0
; FloatMode: 240
; IeeeMode: 1
; LDSByteSize: 0 bytes/workgroup (compile time only)
; SGPRBlocks: 0
; VGPRBlocks: 0
; NumSGPRsForWavesPerEU: 1
; NumVGPRsForWavesPerEU: 1
; Occupancy: 16
; WaveLimiterHint : 0
; COMPUTE_PGM_RSRC2:SCRATCH_EN: 0
; COMPUTE_PGM_RSRC2:USER_SGPR: 6
; COMPUTE_PGM_RSRC2:TRAP_HANDLER: 0
; COMPUTE_PGM_RSRC2:TGID_X_EN: 1
; COMPUTE_PGM_RSRC2:TGID_Y_EN: 0
; COMPUTE_PGM_RSRC2:TGID_Z_EN: 0
; COMPUTE_PGM_RSRC2:TIDIG_COMP_CNT: 0
	.section	.text._ZN7rocprim17ROCPRIM_400000_NS6detail17trampoline_kernelINS0_13select_configILj256ELj13ELNS0_17block_load_methodE3ELS4_3ELS4_3ELNS0_20block_scan_algorithmE0ELj4294967295EEENS1_25partition_config_selectorILNS1_17partition_subalgoE4EjNS0_10empty_typeEbEEZZNS1_14partition_implILS8_4ELb0ES6_15HIP_vector_typeIjLj2EENS0_17counting_iteratorIjlEEPS9_SG_NS0_5tupleIJPjSI_NS0_16reverse_iteratorISI_EEEEENSH_IJSG_SG_SG_EEES9_SI_JZNS1_25segmented_radix_sort_implINS0_14default_configELb1EPKdPdPKlPlN2at6native12_GLOBAL__N_18offset_tEEE10hipError_tPvRmT1_PNSt15iterator_traitsIS12_E10value_typeET2_T3_PNS13_IS18_E10value_typeET4_jRbjT5_S1E_jjP12ihipStream_tbEUljE_ZNSN_ISO_Lb1ESQ_SR_ST_SU_SY_EESZ_S10_S11_S12_S16_S17_S18_S1B_S1C_jS1D_jS1E_S1E_jjS1G_bEUljE0_EEESZ_S10_S11_S18_S1C_S1E_T6_T7_T9_mT8_S1G_bDpT10_ENKUlT_T0_E_clISt17integral_constantIbLb1EES1U_EEDaS1P_S1Q_EUlS1P_E_NS1_11comp_targetILNS1_3genE5ELNS1_11target_archE942ELNS1_3gpuE9ELNS1_3repE0EEENS1_30default_config_static_selectorELNS0_4arch9wavefront6targetE0EEEvS12_,"axG",@progbits,_ZN7rocprim17ROCPRIM_400000_NS6detail17trampoline_kernelINS0_13select_configILj256ELj13ELNS0_17block_load_methodE3ELS4_3ELS4_3ELNS0_20block_scan_algorithmE0ELj4294967295EEENS1_25partition_config_selectorILNS1_17partition_subalgoE4EjNS0_10empty_typeEbEEZZNS1_14partition_implILS8_4ELb0ES6_15HIP_vector_typeIjLj2EENS0_17counting_iteratorIjlEEPS9_SG_NS0_5tupleIJPjSI_NS0_16reverse_iteratorISI_EEEEENSH_IJSG_SG_SG_EEES9_SI_JZNS1_25segmented_radix_sort_implINS0_14default_configELb1EPKdPdPKlPlN2at6native12_GLOBAL__N_18offset_tEEE10hipError_tPvRmT1_PNSt15iterator_traitsIS12_E10value_typeET2_T3_PNS13_IS18_E10value_typeET4_jRbjT5_S1E_jjP12ihipStream_tbEUljE_ZNSN_ISO_Lb1ESQ_SR_ST_SU_SY_EESZ_S10_S11_S12_S16_S17_S18_S1B_S1C_jS1D_jS1E_S1E_jjS1G_bEUljE0_EEESZ_S10_S11_S18_S1C_S1E_T6_T7_T9_mT8_S1G_bDpT10_ENKUlT_T0_E_clISt17integral_constantIbLb1EES1U_EEDaS1P_S1Q_EUlS1P_E_NS1_11comp_targetILNS1_3genE5ELNS1_11target_archE942ELNS1_3gpuE9ELNS1_3repE0EEENS1_30default_config_static_selectorELNS0_4arch9wavefront6targetE0EEEvS12_,comdat
	.globl	_ZN7rocprim17ROCPRIM_400000_NS6detail17trampoline_kernelINS0_13select_configILj256ELj13ELNS0_17block_load_methodE3ELS4_3ELS4_3ELNS0_20block_scan_algorithmE0ELj4294967295EEENS1_25partition_config_selectorILNS1_17partition_subalgoE4EjNS0_10empty_typeEbEEZZNS1_14partition_implILS8_4ELb0ES6_15HIP_vector_typeIjLj2EENS0_17counting_iteratorIjlEEPS9_SG_NS0_5tupleIJPjSI_NS0_16reverse_iteratorISI_EEEEENSH_IJSG_SG_SG_EEES9_SI_JZNS1_25segmented_radix_sort_implINS0_14default_configELb1EPKdPdPKlPlN2at6native12_GLOBAL__N_18offset_tEEE10hipError_tPvRmT1_PNSt15iterator_traitsIS12_E10value_typeET2_T3_PNS13_IS18_E10value_typeET4_jRbjT5_S1E_jjP12ihipStream_tbEUljE_ZNSN_ISO_Lb1ESQ_SR_ST_SU_SY_EESZ_S10_S11_S12_S16_S17_S18_S1B_S1C_jS1D_jS1E_S1E_jjS1G_bEUljE0_EEESZ_S10_S11_S18_S1C_S1E_T6_T7_T9_mT8_S1G_bDpT10_ENKUlT_T0_E_clISt17integral_constantIbLb1EES1U_EEDaS1P_S1Q_EUlS1P_E_NS1_11comp_targetILNS1_3genE5ELNS1_11target_archE942ELNS1_3gpuE9ELNS1_3repE0EEENS1_30default_config_static_selectorELNS0_4arch9wavefront6targetE0EEEvS12_ ; -- Begin function _ZN7rocprim17ROCPRIM_400000_NS6detail17trampoline_kernelINS0_13select_configILj256ELj13ELNS0_17block_load_methodE3ELS4_3ELS4_3ELNS0_20block_scan_algorithmE0ELj4294967295EEENS1_25partition_config_selectorILNS1_17partition_subalgoE4EjNS0_10empty_typeEbEEZZNS1_14partition_implILS8_4ELb0ES6_15HIP_vector_typeIjLj2EENS0_17counting_iteratorIjlEEPS9_SG_NS0_5tupleIJPjSI_NS0_16reverse_iteratorISI_EEEEENSH_IJSG_SG_SG_EEES9_SI_JZNS1_25segmented_radix_sort_implINS0_14default_configELb1EPKdPdPKlPlN2at6native12_GLOBAL__N_18offset_tEEE10hipError_tPvRmT1_PNSt15iterator_traitsIS12_E10value_typeET2_T3_PNS13_IS18_E10value_typeET4_jRbjT5_S1E_jjP12ihipStream_tbEUljE_ZNSN_ISO_Lb1ESQ_SR_ST_SU_SY_EESZ_S10_S11_S12_S16_S17_S18_S1B_S1C_jS1D_jS1E_S1E_jjS1G_bEUljE0_EEESZ_S10_S11_S18_S1C_S1E_T6_T7_T9_mT8_S1G_bDpT10_ENKUlT_T0_E_clISt17integral_constantIbLb1EES1U_EEDaS1P_S1Q_EUlS1P_E_NS1_11comp_targetILNS1_3genE5ELNS1_11target_archE942ELNS1_3gpuE9ELNS1_3repE0EEENS1_30default_config_static_selectorELNS0_4arch9wavefront6targetE0EEEvS12_
	.p2align	8
	.type	_ZN7rocprim17ROCPRIM_400000_NS6detail17trampoline_kernelINS0_13select_configILj256ELj13ELNS0_17block_load_methodE3ELS4_3ELS4_3ELNS0_20block_scan_algorithmE0ELj4294967295EEENS1_25partition_config_selectorILNS1_17partition_subalgoE4EjNS0_10empty_typeEbEEZZNS1_14partition_implILS8_4ELb0ES6_15HIP_vector_typeIjLj2EENS0_17counting_iteratorIjlEEPS9_SG_NS0_5tupleIJPjSI_NS0_16reverse_iteratorISI_EEEEENSH_IJSG_SG_SG_EEES9_SI_JZNS1_25segmented_radix_sort_implINS0_14default_configELb1EPKdPdPKlPlN2at6native12_GLOBAL__N_18offset_tEEE10hipError_tPvRmT1_PNSt15iterator_traitsIS12_E10value_typeET2_T3_PNS13_IS18_E10value_typeET4_jRbjT5_S1E_jjP12ihipStream_tbEUljE_ZNSN_ISO_Lb1ESQ_SR_ST_SU_SY_EESZ_S10_S11_S12_S16_S17_S18_S1B_S1C_jS1D_jS1E_S1E_jjS1G_bEUljE0_EEESZ_S10_S11_S18_S1C_S1E_T6_T7_T9_mT8_S1G_bDpT10_ENKUlT_T0_E_clISt17integral_constantIbLb1EES1U_EEDaS1P_S1Q_EUlS1P_E_NS1_11comp_targetILNS1_3genE5ELNS1_11target_archE942ELNS1_3gpuE9ELNS1_3repE0EEENS1_30default_config_static_selectorELNS0_4arch9wavefront6targetE0EEEvS12_,@function
_ZN7rocprim17ROCPRIM_400000_NS6detail17trampoline_kernelINS0_13select_configILj256ELj13ELNS0_17block_load_methodE3ELS4_3ELS4_3ELNS0_20block_scan_algorithmE0ELj4294967295EEENS1_25partition_config_selectorILNS1_17partition_subalgoE4EjNS0_10empty_typeEbEEZZNS1_14partition_implILS8_4ELb0ES6_15HIP_vector_typeIjLj2EENS0_17counting_iteratorIjlEEPS9_SG_NS0_5tupleIJPjSI_NS0_16reverse_iteratorISI_EEEEENSH_IJSG_SG_SG_EEES9_SI_JZNS1_25segmented_radix_sort_implINS0_14default_configELb1EPKdPdPKlPlN2at6native12_GLOBAL__N_18offset_tEEE10hipError_tPvRmT1_PNSt15iterator_traitsIS12_E10value_typeET2_T3_PNS13_IS18_E10value_typeET4_jRbjT5_S1E_jjP12ihipStream_tbEUljE_ZNSN_ISO_Lb1ESQ_SR_ST_SU_SY_EESZ_S10_S11_S12_S16_S17_S18_S1B_S1C_jS1D_jS1E_S1E_jjS1G_bEUljE0_EEESZ_S10_S11_S18_S1C_S1E_T6_T7_T9_mT8_S1G_bDpT10_ENKUlT_T0_E_clISt17integral_constantIbLb1EES1U_EEDaS1P_S1Q_EUlS1P_E_NS1_11comp_targetILNS1_3genE5ELNS1_11target_archE942ELNS1_3gpuE9ELNS1_3repE0EEENS1_30default_config_static_selectorELNS0_4arch9wavefront6targetE0EEEvS12_: ; @_ZN7rocprim17ROCPRIM_400000_NS6detail17trampoline_kernelINS0_13select_configILj256ELj13ELNS0_17block_load_methodE3ELS4_3ELS4_3ELNS0_20block_scan_algorithmE0ELj4294967295EEENS1_25partition_config_selectorILNS1_17partition_subalgoE4EjNS0_10empty_typeEbEEZZNS1_14partition_implILS8_4ELb0ES6_15HIP_vector_typeIjLj2EENS0_17counting_iteratorIjlEEPS9_SG_NS0_5tupleIJPjSI_NS0_16reverse_iteratorISI_EEEEENSH_IJSG_SG_SG_EEES9_SI_JZNS1_25segmented_radix_sort_implINS0_14default_configELb1EPKdPdPKlPlN2at6native12_GLOBAL__N_18offset_tEEE10hipError_tPvRmT1_PNSt15iterator_traitsIS12_E10value_typeET2_T3_PNS13_IS18_E10value_typeET4_jRbjT5_S1E_jjP12ihipStream_tbEUljE_ZNSN_ISO_Lb1ESQ_SR_ST_SU_SY_EESZ_S10_S11_S12_S16_S17_S18_S1B_S1C_jS1D_jS1E_S1E_jjS1G_bEUljE0_EEESZ_S10_S11_S18_S1C_S1E_T6_T7_T9_mT8_S1G_bDpT10_ENKUlT_T0_E_clISt17integral_constantIbLb1EES1U_EEDaS1P_S1Q_EUlS1P_E_NS1_11comp_targetILNS1_3genE5ELNS1_11target_archE942ELNS1_3gpuE9ELNS1_3repE0EEENS1_30default_config_static_selectorELNS0_4arch9wavefront6targetE0EEEvS12_
; %bb.0:
	.section	.rodata,"a",@progbits
	.p2align	6, 0x0
	.amdhsa_kernel _ZN7rocprim17ROCPRIM_400000_NS6detail17trampoline_kernelINS0_13select_configILj256ELj13ELNS0_17block_load_methodE3ELS4_3ELS4_3ELNS0_20block_scan_algorithmE0ELj4294967295EEENS1_25partition_config_selectorILNS1_17partition_subalgoE4EjNS0_10empty_typeEbEEZZNS1_14partition_implILS8_4ELb0ES6_15HIP_vector_typeIjLj2EENS0_17counting_iteratorIjlEEPS9_SG_NS0_5tupleIJPjSI_NS0_16reverse_iteratorISI_EEEEENSH_IJSG_SG_SG_EEES9_SI_JZNS1_25segmented_radix_sort_implINS0_14default_configELb1EPKdPdPKlPlN2at6native12_GLOBAL__N_18offset_tEEE10hipError_tPvRmT1_PNSt15iterator_traitsIS12_E10value_typeET2_T3_PNS13_IS18_E10value_typeET4_jRbjT5_S1E_jjP12ihipStream_tbEUljE_ZNSN_ISO_Lb1ESQ_SR_ST_SU_SY_EESZ_S10_S11_S12_S16_S17_S18_S1B_S1C_jS1D_jS1E_S1E_jjS1G_bEUljE0_EEESZ_S10_S11_S18_S1C_S1E_T6_T7_T9_mT8_S1G_bDpT10_ENKUlT_T0_E_clISt17integral_constantIbLb1EES1U_EEDaS1P_S1Q_EUlS1P_E_NS1_11comp_targetILNS1_3genE5ELNS1_11target_archE942ELNS1_3gpuE9ELNS1_3repE0EEENS1_30default_config_static_selectorELNS0_4arch9wavefront6targetE0EEEvS12_
		.amdhsa_group_segment_fixed_size 0
		.amdhsa_private_segment_fixed_size 0
		.amdhsa_kernarg_size 184
		.amdhsa_user_sgpr_count 6
		.amdhsa_user_sgpr_private_segment_buffer 1
		.amdhsa_user_sgpr_dispatch_ptr 0
		.amdhsa_user_sgpr_queue_ptr 0
		.amdhsa_user_sgpr_kernarg_segment_ptr 1
		.amdhsa_user_sgpr_dispatch_id 0
		.amdhsa_user_sgpr_flat_scratch_init 0
		.amdhsa_user_sgpr_private_segment_size 0
		.amdhsa_wavefront_size32 1
		.amdhsa_uses_dynamic_stack 0
		.amdhsa_system_sgpr_private_segment_wavefront_offset 0
		.amdhsa_system_sgpr_workgroup_id_x 1
		.amdhsa_system_sgpr_workgroup_id_y 0
		.amdhsa_system_sgpr_workgroup_id_z 0
		.amdhsa_system_sgpr_workgroup_info 0
		.amdhsa_system_vgpr_workitem_id 0
		.amdhsa_next_free_vgpr 1
		.amdhsa_next_free_sgpr 1
		.amdhsa_reserve_vcc 0
		.amdhsa_reserve_flat_scratch 0
		.amdhsa_float_round_mode_32 0
		.amdhsa_float_round_mode_16_64 0
		.amdhsa_float_denorm_mode_32 3
		.amdhsa_float_denorm_mode_16_64 3
		.amdhsa_dx10_clamp 1
		.amdhsa_ieee_mode 1
		.amdhsa_fp16_overflow 0
		.amdhsa_workgroup_processor_mode 1
		.amdhsa_memory_ordered 1
		.amdhsa_forward_progress 1
		.amdhsa_shared_vgpr_count 0
		.amdhsa_exception_fp_ieee_invalid_op 0
		.amdhsa_exception_fp_denorm_src 0
		.amdhsa_exception_fp_ieee_div_zero 0
		.amdhsa_exception_fp_ieee_overflow 0
		.amdhsa_exception_fp_ieee_underflow 0
		.amdhsa_exception_fp_ieee_inexact 0
		.amdhsa_exception_int_div_zero 0
	.end_amdhsa_kernel
	.section	.text._ZN7rocprim17ROCPRIM_400000_NS6detail17trampoline_kernelINS0_13select_configILj256ELj13ELNS0_17block_load_methodE3ELS4_3ELS4_3ELNS0_20block_scan_algorithmE0ELj4294967295EEENS1_25partition_config_selectorILNS1_17partition_subalgoE4EjNS0_10empty_typeEbEEZZNS1_14partition_implILS8_4ELb0ES6_15HIP_vector_typeIjLj2EENS0_17counting_iteratorIjlEEPS9_SG_NS0_5tupleIJPjSI_NS0_16reverse_iteratorISI_EEEEENSH_IJSG_SG_SG_EEES9_SI_JZNS1_25segmented_radix_sort_implINS0_14default_configELb1EPKdPdPKlPlN2at6native12_GLOBAL__N_18offset_tEEE10hipError_tPvRmT1_PNSt15iterator_traitsIS12_E10value_typeET2_T3_PNS13_IS18_E10value_typeET4_jRbjT5_S1E_jjP12ihipStream_tbEUljE_ZNSN_ISO_Lb1ESQ_SR_ST_SU_SY_EESZ_S10_S11_S12_S16_S17_S18_S1B_S1C_jS1D_jS1E_S1E_jjS1G_bEUljE0_EEESZ_S10_S11_S18_S1C_S1E_T6_T7_T9_mT8_S1G_bDpT10_ENKUlT_T0_E_clISt17integral_constantIbLb1EES1U_EEDaS1P_S1Q_EUlS1P_E_NS1_11comp_targetILNS1_3genE5ELNS1_11target_archE942ELNS1_3gpuE9ELNS1_3repE0EEENS1_30default_config_static_selectorELNS0_4arch9wavefront6targetE0EEEvS12_,"axG",@progbits,_ZN7rocprim17ROCPRIM_400000_NS6detail17trampoline_kernelINS0_13select_configILj256ELj13ELNS0_17block_load_methodE3ELS4_3ELS4_3ELNS0_20block_scan_algorithmE0ELj4294967295EEENS1_25partition_config_selectorILNS1_17partition_subalgoE4EjNS0_10empty_typeEbEEZZNS1_14partition_implILS8_4ELb0ES6_15HIP_vector_typeIjLj2EENS0_17counting_iteratorIjlEEPS9_SG_NS0_5tupleIJPjSI_NS0_16reverse_iteratorISI_EEEEENSH_IJSG_SG_SG_EEES9_SI_JZNS1_25segmented_radix_sort_implINS0_14default_configELb1EPKdPdPKlPlN2at6native12_GLOBAL__N_18offset_tEEE10hipError_tPvRmT1_PNSt15iterator_traitsIS12_E10value_typeET2_T3_PNS13_IS18_E10value_typeET4_jRbjT5_S1E_jjP12ihipStream_tbEUljE_ZNSN_ISO_Lb1ESQ_SR_ST_SU_SY_EESZ_S10_S11_S12_S16_S17_S18_S1B_S1C_jS1D_jS1E_S1E_jjS1G_bEUljE0_EEESZ_S10_S11_S18_S1C_S1E_T6_T7_T9_mT8_S1G_bDpT10_ENKUlT_T0_E_clISt17integral_constantIbLb1EES1U_EEDaS1P_S1Q_EUlS1P_E_NS1_11comp_targetILNS1_3genE5ELNS1_11target_archE942ELNS1_3gpuE9ELNS1_3repE0EEENS1_30default_config_static_selectorELNS0_4arch9wavefront6targetE0EEEvS12_,comdat
.Lfunc_end1055:
	.size	_ZN7rocprim17ROCPRIM_400000_NS6detail17trampoline_kernelINS0_13select_configILj256ELj13ELNS0_17block_load_methodE3ELS4_3ELS4_3ELNS0_20block_scan_algorithmE0ELj4294967295EEENS1_25partition_config_selectorILNS1_17partition_subalgoE4EjNS0_10empty_typeEbEEZZNS1_14partition_implILS8_4ELb0ES6_15HIP_vector_typeIjLj2EENS0_17counting_iteratorIjlEEPS9_SG_NS0_5tupleIJPjSI_NS0_16reverse_iteratorISI_EEEEENSH_IJSG_SG_SG_EEES9_SI_JZNS1_25segmented_radix_sort_implINS0_14default_configELb1EPKdPdPKlPlN2at6native12_GLOBAL__N_18offset_tEEE10hipError_tPvRmT1_PNSt15iterator_traitsIS12_E10value_typeET2_T3_PNS13_IS18_E10value_typeET4_jRbjT5_S1E_jjP12ihipStream_tbEUljE_ZNSN_ISO_Lb1ESQ_SR_ST_SU_SY_EESZ_S10_S11_S12_S16_S17_S18_S1B_S1C_jS1D_jS1E_S1E_jjS1G_bEUljE0_EEESZ_S10_S11_S18_S1C_S1E_T6_T7_T9_mT8_S1G_bDpT10_ENKUlT_T0_E_clISt17integral_constantIbLb1EES1U_EEDaS1P_S1Q_EUlS1P_E_NS1_11comp_targetILNS1_3genE5ELNS1_11target_archE942ELNS1_3gpuE9ELNS1_3repE0EEENS1_30default_config_static_selectorELNS0_4arch9wavefront6targetE0EEEvS12_, .Lfunc_end1055-_ZN7rocprim17ROCPRIM_400000_NS6detail17trampoline_kernelINS0_13select_configILj256ELj13ELNS0_17block_load_methodE3ELS4_3ELS4_3ELNS0_20block_scan_algorithmE0ELj4294967295EEENS1_25partition_config_selectorILNS1_17partition_subalgoE4EjNS0_10empty_typeEbEEZZNS1_14partition_implILS8_4ELb0ES6_15HIP_vector_typeIjLj2EENS0_17counting_iteratorIjlEEPS9_SG_NS0_5tupleIJPjSI_NS0_16reverse_iteratorISI_EEEEENSH_IJSG_SG_SG_EEES9_SI_JZNS1_25segmented_radix_sort_implINS0_14default_configELb1EPKdPdPKlPlN2at6native12_GLOBAL__N_18offset_tEEE10hipError_tPvRmT1_PNSt15iterator_traitsIS12_E10value_typeET2_T3_PNS13_IS18_E10value_typeET4_jRbjT5_S1E_jjP12ihipStream_tbEUljE_ZNSN_ISO_Lb1ESQ_SR_ST_SU_SY_EESZ_S10_S11_S12_S16_S17_S18_S1B_S1C_jS1D_jS1E_S1E_jjS1G_bEUljE0_EEESZ_S10_S11_S18_S1C_S1E_T6_T7_T9_mT8_S1G_bDpT10_ENKUlT_T0_E_clISt17integral_constantIbLb1EES1U_EEDaS1P_S1Q_EUlS1P_E_NS1_11comp_targetILNS1_3genE5ELNS1_11target_archE942ELNS1_3gpuE9ELNS1_3repE0EEENS1_30default_config_static_selectorELNS0_4arch9wavefront6targetE0EEEvS12_
                                        ; -- End function
	.set _ZN7rocprim17ROCPRIM_400000_NS6detail17trampoline_kernelINS0_13select_configILj256ELj13ELNS0_17block_load_methodE3ELS4_3ELS4_3ELNS0_20block_scan_algorithmE0ELj4294967295EEENS1_25partition_config_selectorILNS1_17partition_subalgoE4EjNS0_10empty_typeEbEEZZNS1_14partition_implILS8_4ELb0ES6_15HIP_vector_typeIjLj2EENS0_17counting_iteratorIjlEEPS9_SG_NS0_5tupleIJPjSI_NS0_16reverse_iteratorISI_EEEEENSH_IJSG_SG_SG_EEES9_SI_JZNS1_25segmented_radix_sort_implINS0_14default_configELb1EPKdPdPKlPlN2at6native12_GLOBAL__N_18offset_tEEE10hipError_tPvRmT1_PNSt15iterator_traitsIS12_E10value_typeET2_T3_PNS13_IS18_E10value_typeET4_jRbjT5_S1E_jjP12ihipStream_tbEUljE_ZNSN_ISO_Lb1ESQ_SR_ST_SU_SY_EESZ_S10_S11_S12_S16_S17_S18_S1B_S1C_jS1D_jS1E_S1E_jjS1G_bEUljE0_EEESZ_S10_S11_S18_S1C_S1E_T6_T7_T9_mT8_S1G_bDpT10_ENKUlT_T0_E_clISt17integral_constantIbLb1EES1U_EEDaS1P_S1Q_EUlS1P_E_NS1_11comp_targetILNS1_3genE5ELNS1_11target_archE942ELNS1_3gpuE9ELNS1_3repE0EEENS1_30default_config_static_selectorELNS0_4arch9wavefront6targetE0EEEvS12_.num_vgpr, 0
	.set _ZN7rocprim17ROCPRIM_400000_NS6detail17trampoline_kernelINS0_13select_configILj256ELj13ELNS0_17block_load_methodE3ELS4_3ELS4_3ELNS0_20block_scan_algorithmE0ELj4294967295EEENS1_25partition_config_selectorILNS1_17partition_subalgoE4EjNS0_10empty_typeEbEEZZNS1_14partition_implILS8_4ELb0ES6_15HIP_vector_typeIjLj2EENS0_17counting_iteratorIjlEEPS9_SG_NS0_5tupleIJPjSI_NS0_16reverse_iteratorISI_EEEEENSH_IJSG_SG_SG_EEES9_SI_JZNS1_25segmented_radix_sort_implINS0_14default_configELb1EPKdPdPKlPlN2at6native12_GLOBAL__N_18offset_tEEE10hipError_tPvRmT1_PNSt15iterator_traitsIS12_E10value_typeET2_T3_PNS13_IS18_E10value_typeET4_jRbjT5_S1E_jjP12ihipStream_tbEUljE_ZNSN_ISO_Lb1ESQ_SR_ST_SU_SY_EESZ_S10_S11_S12_S16_S17_S18_S1B_S1C_jS1D_jS1E_S1E_jjS1G_bEUljE0_EEESZ_S10_S11_S18_S1C_S1E_T6_T7_T9_mT8_S1G_bDpT10_ENKUlT_T0_E_clISt17integral_constantIbLb1EES1U_EEDaS1P_S1Q_EUlS1P_E_NS1_11comp_targetILNS1_3genE5ELNS1_11target_archE942ELNS1_3gpuE9ELNS1_3repE0EEENS1_30default_config_static_selectorELNS0_4arch9wavefront6targetE0EEEvS12_.num_agpr, 0
	.set _ZN7rocprim17ROCPRIM_400000_NS6detail17trampoline_kernelINS0_13select_configILj256ELj13ELNS0_17block_load_methodE3ELS4_3ELS4_3ELNS0_20block_scan_algorithmE0ELj4294967295EEENS1_25partition_config_selectorILNS1_17partition_subalgoE4EjNS0_10empty_typeEbEEZZNS1_14partition_implILS8_4ELb0ES6_15HIP_vector_typeIjLj2EENS0_17counting_iteratorIjlEEPS9_SG_NS0_5tupleIJPjSI_NS0_16reverse_iteratorISI_EEEEENSH_IJSG_SG_SG_EEES9_SI_JZNS1_25segmented_radix_sort_implINS0_14default_configELb1EPKdPdPKlPlN2at6native12_GLOBAL__N_18offset_tEEE10hipError_tPvRmT1_PNSt15iterator_traitsIS12_E10value_typeET2_T3_PNS13_IS18_E10value_typeET4_jRbjT5_S1E_jjP12ihipStream_tbEUljE_ZNSN_ISO_Lb1ESQ_SR_ST_SU_SY_EESZ_S10_S11_S12_S16_S17_S18_S1B_S1C_jS1D_jS1E_S1E_jjS1G_bEUljE0_EEESZ_S10_S11_S18_S1C_S1E_T6_T7_T9_mT8_S1G_bDpT10_ENKUlT_T0_E_clISt17integral_constantIbLb1EES1U_EEDaS1P_S1Q_EUlS1P_E_NS1_11comp_targetILNS1_3genE5ELNS1_11target_archE942ELNS1_3gpuE9ELNS1_3repE0EEENS1_30default_config_static_selectorELNS0_4arch9wavefront6targetE0EEEvS12_.numbered_sgpr, 0
	.set _ZN7rocprim17ROCPRIM_400000_NS6detail17trampoline_kernelINS0_13select_configILj256ELj13ELNS0_17block_load_methodE3ELS4_3ELS4_3ELNS0_20block_scan_algorithmE0ELj4294967295EEENS1_25partition_config_selectorILNS1_17partition_subalgoE4EjNS0_10empty_typeEbEEZZNS1_14partition_implILS8_4ELb0ES6_15HIP_vector_typeIjLj2EENS0_17counting_iteratorIjlEEPS9_SG_NS0_5tupleIJPjSI_NS0_16reverse_iteratorISI_EEEEENSH_IJSG_SG_SG_EEES9_SI_JZNS1_25segmented_radix_sort_implINS0_14default_configELb1EPKdPdPKlPlN2at6native12_GLOBAL__N_18offset_tEEE10hipError_tPvRmT1_PNSt15iterator_traitsIS12_E10value_typeET2_T3_PNS13_IS18_E10value_typeET4_jRbjT5_S1E_jjP12ihipStream_tbEUljE_ZNSN_ISO_Lb1ESQ_SR_ST_SU_SY_EESZ_S10_S11_S12_S16_S17_S18_S1B_S1C_jS1D_jS1E_S1E_jjS1G_bEUljE0_EEESZ_S10_S11_S18_S1C_S1E_T6_T7_T9_mT8_S1G_bDpT10_ENKUlT_T0_E_clISt17integral_constantIbLb1EES1U_EEDaS1P_S1Q_EUlS1P_E_NS1_11comp_targetILNS1_3genE5ELNS1_11target_archE942ELNS1_3gpuE9ELNS1_3repE0EEENS1_30default_config_static_selectorELNS0_4arch9wavefront6targetE0EEEvS12_.num_named_barrier, 0
	.set _ZN7rocprim17ROCPRIM_400000_NS6detail17trampoline_kernelINS0_13select_configILj256ELj13ELNS0_17block_load_methodE3ELS4_3ELS4_3ELNS0_20block_scan_algorithmE0ELj4294967295EEENS1_25partition_config_selectorILNS1_17partition_subalgoE4EjNS0_10empty_typeEbEEZZNS1_14partition_implILS8_4ELb0ES6_15HIP_vector_typeIjLj2EENS0_17counting_iteratorIjlEEPS9_SG_NS0_5tupleIJPjSI_NS0_16reverse_iteratorISI_EEEEENSH_IJSG_SG_SG_EEES9_SI_JZNS1_25segmented_radix_sort_implINS0_14default_configELb1EPKdPdPKlPlN2at6native12_GLOBAL__N_18offset_tEEE10hipError_tPvRmT1_PNSt15iterator_traitsIS12_E10value_typeET2_T3_PNS13_IS18_E10value_typeET4_jRbjT5_S1E_jjP12ihipStream_tbEUljE_ZNSN_ISO_Lb1ESQ_SR_ST_SU_SY_EESZ_S10_S11_S12_S16_S17_S18_S1B_S1C_jS1D_jS1E_S1E_jjS1G_bEUljE0_EEESZ_S10_S11_S18_S1C_S1E_T6_T7_T9_mT8_S1G_bDpT10_ENKUlT_T0_E_clISt17integral_constantIbLb1EES1U_EEDaS1P_S1Q_EUlS1P_E_NS1_11comp_targetILNS1_3genE5ELNS1_11target_archE942ELNS1_3gpuE9ELNS1_3repE0EEENS1_30default_config_static_selectorELNS0_4arch9wavefront6targetE0EEEvS12_.private_seg_size, 0
	.set _ZN7rocprim17ROCPRIM_400000_NS6detail17trampoline_kernelINS0_13select_configILj256ELj13ELNS0_17block_load_methodE3ELS4_3ELS4_3ELNS0_20block_scan_algorithmE0ELj4294967295EEENS1_25partition_config_selectorILNS1_17partition_subalgoE4EjNS0_10empty_typeEbEEZZNS1_14partition_implILS8_4ELb0ES6_15HIP_vector_typeIjLj2EENS0_17counting_iteratorIjlEEPS9_SG_NS0_5tupleIJPjSI_NS0_16reverse_iteratorISI_EEEEENSH_IJSG_SG_SG_EEES9_SI_JZNS1_25segmented_radix_sort_implINS0_14default_configELb1EPKdPdPKlPlN2at6native12_GLOBAL__N_18offset_tEEE10hipError_tPvRmT1_PNSt15iterator_traitsIS12_E10value_typeET2_T3_PNS13_IS18_E10value_typeET4_jRbjT5_S1E_jjP12ihipStream_tbEUljE_ZNSN_ISO_Lb1ESQ_SR_ST_SU_SY_EESZ_S10_S11_S12_S16_S17_S18_S1B_S1C_jS1D_jS1E_S1E_jjS1G_bEUljE0_EEESZ_S10_S11_S18_S1C_S1E_T6_T7_T9_mT8_S1G_bDpT10_ENKUlT_T0_E_clISt17integral_constantIbLb1EES1U_EEDaS1P_S1Q_EUlS1P_E_NS1_11comp_targetILNS1_3genE5ELNS1_11target_archE942ELNS1_3gpuE9ELNS1_3repE0EEENS1_30default_config_static_selectorELNS0_4arch9wavefront6targetE0EEEvS12_.uses_vcc, 0
	.set _ZN7rocprim17ROCPRIM_400000_NS6detail17trampoline_kernelINS0_13select_configILj256ELj13ELNS0_17block_load_methodE3ELS4_3ELS4_3ELNS0_20block_scan_algorithmE0ELj4294967295EEENS1_25partition_config_selectorILNS1_17partition_subalgoE4EjNS0_10empty_typeEbEEZZNS1_14partition_implILS8_4ELb0ES6_15HIP_vector_typeIjLj2EENS0_17counting_iteratorIjlEEPS9_SG_NS0_5tupleIJPjSI_NS0_16reverse_iteratorISI_EEEEENSH_IJSG_SG_SG_EEES9_SI_JZNS1_25segmented_radix_sort_implINS0_14default_configELb1EPKdPdPKlPlN2at6native12_GLOBAL__N_18offset_tEEE10hipError_tPvRmT1_PNSt15iterator_traitsIS12_E10value_typeET2_T3_PNS13_IS18_E10value_typeET4_jRbjT5_S1E_jjP12ihipStream_tbEUljE_ZNSN_ISO_Lb1ESQ_SR_ST_SU_SY_EESZ_S10_S11_S12_S16_S17_S18_S1B_S1C_jS1D_jS1E_S1E_jjS1G_bEUljE0_EEESZ_S10_S11_S18_S1C_S1E_T6_T7_T9_mT8_S1G_bDpT10_ENKUlT_T0_E_clISt17integral_constantIbLb1EES1U_EEDaS1P_S1Q_EUlS1P_E_NS1_11comp_targetILNS1_3genE5ELNS1_11target_archE942ELNS1_3gpuE9ELNS1_3repE0EEENS1_30default_config_static_selectorELNS0_4arch9wavefront6targetE0EEEvS12_.uses_flat_scratch, 0
	.set _ZN7rocprim17ROCPRIM_400000_NS6detail17trampoline_kernelINS0_13select_configILj256ELj13ELNS0_17block_load_methodE3ELS4_3ELS4_3ELNS0_20block_scan_algorithmE0ELj4294967295EEENS1_25partition_config_selectorILNS1_17partition_subalgoE4EjNS0_10empty_typeEbEEZZNS1_14partition_implILS8_4ELb0ES6_15HIP_vector_typeIjLj2EENS0_17counting_iteratorIjlEEPS9_SG_NS0_5tupleIJPjSI_NS0_16reverse_iteratorISI_EEEEENSH_IJSG_SG_SG_EEES9_SI_JZNS1_25segmented_radix_sort_implINS0_14default_configELb1EPKdPdPKlPlN2at6native12_GLOBAL__N_18offset_tEEE10hipError_tPvRmT1_PNSt15iterator_traitsIS12_E10value_typeET2_T3_PNS13_IS18_E10value_typeET4_jRbjT5_S1E_jjP12ihipStream_tbEUljE_ZNSN_ISO_Lb1ESQ_SR_ST_SU_SY_EESZ_S10_S11_S12_S16_S17_S18_S1B_S1C_jS1D_jS1E_S1E_jjS1G_bEUljE0_EEESZ_S10_S11_S18_S1C_S1E_T6_T7_T9_mT8_S1G_bDpT10_ENKUlT_T0_E_clISt17integral_constantIbLb1EES1U_EEDaS1P_S1Q_EUlS1P_E_NS1_11comp_targetILNS1_3genE5ELNS1_11target_archE942ELNS1_3gpuE9ELNS1_3repE0EEENS1_30default_config_static_selectorELNS0_4arch9wavefront6targetE0EEEvS12_.has_dyn_sized_stack, 0
	.set _ZN7rocprim17ROCPRIM_400000_NS6detail17trampoline_kernelINS0_13select_configILj256ELj13ELNS0_17block_load_methodE3ELS4_3ELS4_3ELNS0_20block_scan_algorithmE0ELj4294967295EEENS1_25partition_config_selectorILNS1_17partition_subalgoE4EjNS0_10empty_typeEbEEZZNS1_14partition_implILS8_4ELb0ES6_15HIP_vector_typeIjLj2EENS0_17counting_iteratorIjlEEPS9_SG_NS0_5tupleIJPjSI_NS0_16reverse_iteratorISI_EEEEENSH_IJSG_SG_SG_EEES9_SI_JZNS1_25segmented_radix_sort_implINS0_14default_configELb1EPKdPdPKlPlN2at6native12_GLOBAL__N_18offset_tEEE10hipError_tPvRmT1_PNSt15iterator_traitsIS12_E10value_typeET2_T3_PNS13_IS18_E10value_typeET4_jRbjT5_S1E_jjP12ihipStream_tbEUljE_ZNSN_ISO_Lb1ESQ_SR_ST_SU_SY_EESZ_S10_S11_S12_S16_S17_S18_S1B_S1C_jS1D_jS1E_S1E_jjS1G_bEUljE0_EEESZ_S10_S11_S18_S1C_S1E_T6_T7_T9_mT8_S1G_bDpT10_ENKUlT_T0_E_clISt17integral_constantIbLb1EES1U_EEDaS1P_S1Q_EUlS1P_E_NS1_11comp_targetILNS1_3genE5ELNS1_11target_archE942ELNS1_3gpuE9ELNS1_3repE0EEENS1_30default_config_static_selectorELNS0_4arch9wavefront6targetE0EEEvS12_.has_recursion, 0
	.set _ZN7rocprim17ROCPRIM_400000_NS6detail17trampoline_kernelINS0_13select_configILj256ELj13ELNS0_17block_load_methodE3ELS4_3ELS4_3ELNS0_20block_scan_algorithmE0ELj4294967295EEENS1_25partition_config_selectorILNS1_17partition_subalgoE4EjNS0_10empty_typeEbEEZZNS1_14partition_implILS8_4ELb0ES6_15HIP_vector_typeIjLj2EENS0_17counting_iteratorIjlEEPS9_SG_NS0_5tupleIJPjSI_NS0_16reverse_iteratorISI_EEEEENSH_IJSG_SG_SG_EEES9_SI_JZNS1_25segmented_radix_sort_implINS0_14default_configELb1EPKdPdPKlPlN2at6native12_GLOBAL__N_18offset_tEEE10hipError_tPvRmT1_PNSt15iterator_traitsIS12_E10value_typeET2_T3_PNS13_IS18_E10value_typeET4_jRbjT5_S1E_jjP12ihipStream_tbEUljE_ZNSN_ISO_Lb1ESQ_SR_ST_SU_SY_EESZ_S10_S11_S12_S16_S17_S18_S1B_S1C_jS1D_jS1E_S1E_jjS1G_bEUljE0_EEESZ_S10_S11_S18_S1C_S1E_T6_T7_T9_mT8_S1G_bDpT10_ENKUlT_T0_E_clISt17integral_constantIbLb1EES1U_EEDaS1P_S1Q_EUlS1P_E_NS1_11comp_targetILNS1_3genE5ELNS1_11target_archE942ELNS1_3gpuE9ELNS1_3repE0EEENS1_30default_config_static_selectorELNS0_4arch9wavefront6targetE0EEEvS12_.has_indirect_call, 0
	.section	.AMDGPU.csdata,"",@progbits
; Kernel info:
; codeLenInByte = 0
; TotalNumSgprs: 0
; NumVgprs: 0
; ScratchSize: 0
; MemoryBound: 0
; FloatMode: 240
; IeeeMode: 1
; LDSByteSize: 0 bytes/workgroup (compile time only)
; SGPRBlocks: 0
; VGPRBlocks: 0
; NumSGPRsForWavesPerEU: 1
; NumVGPRsForWavesPerEU: 1
; Occupancy: 16
; WaveLimiterHint : 0
; COMPUTE_PGM_RSRC2:SCRATCH_EN: 0
; COMPUTE_PGM_RSRC2:USER_SGPR: 6
; COMPUTE_PGM_RSRC2:TRAP_HANDLER: 0
; COMPUTE_PGM_RSRC2:TGID_X_EN: 1
; COMPUTE_PGM_RSRC2:TGID_Y_EN: 0
; COMPUTE_PGM_RSRC2:TGID_Z_EN: 0
; COMPUTE_PGM_RSRC2:TIDIG_COMP_CNT: 0
	.section	.text._ZN7rocprim17ROCPRIM_400000_NS6detail17trampoline_kernelINS0_13select_configILj256ELj13ELNS0_17block_load_methodE3ELS4_3ELS4_3ELNS0_20block_scan_algorithmE0ELj4294967295EEENS1_25partition_config_selectorILNS1_17partition_subalgoE4EjNS0_10empty_typeEbEEZZNS1_14partition_implILS8_4ELb0ES6_15HIP_vector_typeIjLj2EENS0_17counting_iteratorIjlEEPS9_SG_NS0_5tupleIJPjSI_NS0_16reverse_iteratorISI_EEEEENSH_IJSG_SG_SG_EEES9_SI_JZNS1_25segmented_radix_sort_implINS0_14default_configELb1EPKdPdPKlPlN2at6native12_GLOBAL__N_18offset_tEEE10hipError_tPvRmT1_PNSt15iterator_traitsIS12_E10value_typeET2_T3_PNS13_IS18_E10value_typeET4_jRbjT5_S1E_jjP12ihipStream_tbEUljE_ZNSN_ISO_Lb1ESQ_SR_ST_SU_SY_EESZ_S10_S11_S12_S16_S17_S18_S1B_S1C_jS1D_jS1E_S1E_jjS1G_bEUljE0_EEESZ_S10_S11_S18_S1C_S1E_T6_T7_T9_mT8_S1G_bDpT10_ENKUlT_T0_E_clISt17integral_constantIbLb1EES1U_EEDaS1P_S1Q_EUlS1P_E_NS1_11comp_targetILNS1_3genE4ELNS1_11target_archE910ELNS1_3gpuE8ELNS1_3repE0EEENS1_30default_config_static_selectorELNS0_4arch9wavefront6targetE0EEEvS12_,"axG",@progbits,_ZN7rocprim17ROCPRIM_400000_NS6detail17trampoline_kernelINS0_13select_configILj256ELj13ELNS0_17block_load_methodE3ELS4_3ELS4_3ELNS0_20block_scan_algorithmE0ELj4294967295EEENS1_25partition_config_selectorILNS1_17partition_subalgoE4EjNS0_10empty_typeEbEEZZNS1_14partition_implILS8_4ELb0ES6_15HIP_vector_typeIjLj2EENS0_17counting_iteratorIjlEEPS9_SG_NS0_5tupleIJPjSI_NS0_16reverse_iteratorISI_EEEEENSH_IJSG_SG_SG_EEES9_SI_JZNS1_25segmented_radix_sort_implINS0_14default_configELb1EPKdPdPKlPlN2at6native12_GLOBAL__N_18offset_tEEE10hipError_tPvRmT1_PNSt15iterator_traitsIS12_E10value_typeET2_T3_PNS13_IS18_E10value_typeET4_jRbjT5_S1E_jjP12ihipStream_tbEUljE_ZNSN_ISO_Lb1ESQ_SR_ST_SU_SY_EESZ_S10_S11_S12_S16_S17_S18_S1B_S1C_jS1D_jS1E_S1E_jjS1G_bEUljE0_EEESZ_S10_S11_S18_S1C_S1E_T6_T7_T9_mT8_S1G_bDpT10_ENKUlT_T0_E_clISt17integral_constantIbLb1EES1U_EEDaS1P_S1Q_EUlS1P_E_NS1_11comp_targetILNS1_3genE4ELNS1_11target_archE910ELNS1_3gpuE8ELNS1_3repE0EEENS1_30default_config_static_selectorELNS0_4arch9wavefront6targetE0EEEvS12_,comdat
	.globl	_ZN7rocprim17ROCPRIM_400000_NS6detail17trampoline_kernelINS0_13select_configILj256ELj13ELNS0_17block_load_methodE3ELS4_3ELS4_3ELNS0_20block_scan_algorithmE0ELj4294967295EEENS1_25partition_config_selectorILNS1_17partition_subalgoE4EjNS0_10empty_typeEbEEZZNS1_14partition_implILS8_4ELb0ES6_15HIP_vector_typeIjLj2EENS0_17counting_iteratorIjlEEPS9_SG_NS0_5tupleIJPjSI_NS0_16reverse_iteratorISI_EEEEENSH_IJSG_SG_SG_EEES9_SI_JZNS1_25segmented_radix_sort_implINS0_14default_configELb1EPKdPdPKlPlN2at6native12_GLOBAL__N_18offset_tEEE10hipError_tPvRmT1_PNSt15iterator_traitsIS12_E10value_typeET2_T3_PNS13_IS18_E10value_typeET4_jRbjT5_S1E_jjP12ihipStream_tbEUljE_ZNSN_ISO_Lb1ESQ_SR_ST_SU_SY_EESZ_S10_S11_S12_S16_S17_S18_S1B_S1C_jS1D_jS1E_S1E_jjS1G_bEUljE0_EEESZ_S10_S11_S18_S1C_S1E_T6_T7_T9_mT8_S1G_bDpT10_ENKUlT_T0_E_clISt17integral_constantIbLb1EES1U_EEDaS1P_S1Q_EUlS1P_E_NS1_11comp_targetILNS1_3genE4ELNS1_11target_archE910ELNS1_3gpuE8ELNS1_3repE0EEENS1_30default_config_static_selectorELNS0_4arch9wavefront6targetE0EEEvS12_ ; -- Begin function _ZN7rocprim17ROCPRIM_400000_NS6detail17trampoline_kernelINS0_13select_configILj256ELj13ELNS0_17block_load_methodE3ELS4_3ELS4_3ELNS0_20block_scan_algorithmE0ELj4294967295EEENS1_25partition_config_selectorILNS1_17partition_subalgoE4EjNS0_10empty_typeEbEEZZNS1_14partition_implILS8_4ELb0ES6_15HIP_vector_typeIjLj2EENS0_17counting_iteratorIjlEEPS9_SG_NS0_5tupleIJPjSI_NS0_16reverse_iteratorISI_EEEEENSH_IJSG_SG_SG_EEES9_SI_JZNS1_25segmented_radix_sort_implINS0_14default_configELb1EPKdPdPKlPlN2at6native12_GLOBAL__N_18offset_tEEE10hipError_tPvRmT1_PNSt15iterator_traitsIS12_E10value_typeET2_T3_PNS13_IS18_E10value_typeET4_jRbjT5_S1E_jjP12ihipStream_tbEUljE_ZNSN_ISO_Lb1ESQ_SR_ST_SU_SY_EESZ_S10_S11_S12_S16_S17_S18_S1B_S1C_jS1D_jS1E_S1E_jjS1G_bEUljE0_EEESZ_S10_S11_S18_S1C_S1E_T6_T7_T9_mT8_S1G_bDpT10_ENKUlT_T0_E_clISt17integral_constantIbLb1EES1U_EEDaS1P_S1Q_EUlS1P_E_NS1_11comp_targetILNS1_3genE4ELNS1_11target_archE910ELNS1_3gpuE8ELNS1_3repE0EEENS1_30default_config_static_selectorELNS0_4arch9wavefront6targetE0EEEvS12_
	.p2align	8
	.type	_ZN7rocprim17ROCPRIM_400000_NS6detail17trampoline_kernelINS0_13select_configILj256ELj13ELNS0_17block_load_methodE3ELS4_3ELS4_3ELNS0_20block_scan_algorithmE0ELj4294967295EEENS1_25partition_config_selectorILNS1_17partition_subalgoE4EjNS0_10empty_typeEbEEZZNS1_14partition_implILS8_4ELb0ES6_15HIP_vector_typeIjLj2EENS0_17counting_iteratorIjlEEPS9_SG_NS0_5tupleIJPjSI_NS0_16reverse_iteratorISI_EEEEENSH_IJSG_SG_SG_EEES9_SI_JZNS1_25segmented_radix_sort_implINS0_14default_configELb1EPKdPdPKlPlN2at6native12_GLOBAL__N_18offset_tEEE10hipError_tPvRmT1_PNSt15iterator_traitsIS12_E10value_typeET2_T3_PNS13_IS18_E10value_typeET4_jRbjT5_S1E_jjP12ihipStream_tbEUljE_ZNSN_ISO_Lb1ESQ_SR_ST_SU_SY_EESZ_S10_S11_S12_S16_S17_S18_S1B_S1C_jS1D_jS1E_S1E_jjS1G_bEUljE0_EEESZ_S10_S11_S18_S1C_S1E_T6_T7_T9_mT8_S1G_bDpT10_ENKUlT_T0_E_clISt17integral_constantIbLb1EES1U_EEDaS1P_S1Q_EUlS1P_E_NS1_11comp_targetILNS1_3genE4ELNS1_11target_archE910ELNS1_3gpuE8ELNS1_3repE0EEENS1_30default_config_static_selectorELNS0_4arch9wavefront6targetE0EEEvS12_,@function
_ZN7rocprim17ROCPRIM_400000_NS6detail17trampoline_kernelINS0_13select_configILj256ELj13ELNS0_17block_load_methodE3ELS4_3ELS4_3ELNS0_20block_scan_algorithmE0ELj4294967295EEENS1_25partition_config_selectorILNS1_17partition_subalgoE4EjNS0_10empty_typeEbEEZZNS1_14partition_implILS8_4ELb0ES6_15HIP_vector_typeIjLj2EENS0_17counting_iteratorIjlEEPS9_SG_NS0_5tupleIJPjSI_NS0_16reverse_iteratorISI_EEEEENSH_IJSG_SG_SG_EEES9_SI_JZNS1_25segmented_radix_sort_implINS0_14default_configELb1EPKdPdPKlPlN2at6native12_GLOBAL__N_18offset_tEEE10hipError_tPvRmT1_PNSt15iterator_traitsIS12_E10value_typeET2_T3_PNS13_IS18_E10value_typeET4_jRbjT5_S1E_jjP12ihipStream_tbEUljE_ZNSN_ISO_Lb1ESQ_SR_ST_SU_SY_EESZ_S10_S11_S12_S16_S17_S18_S1B_S1C_jS1D_jS1E_S1E_jjS1G_bEUljE0_EEESZ_S10_S11_S18_S1C_S1E_T6_T7_T9_mT8_S1G_bDpT10_ENKUlT_T0_E_clISt17integral_constantIbLb1EES1U_EEDaS1P_S1Q_EUlS1P_E_NS1_11comp_targetILNS1_3genE4ELNS1_11target_archE910ELNS1_3gpuE8ELNS1_3repE0EEENS1_30default_config_static_selectorELNS0_4arch9wavefront6targetE0EEEvS12_: ; @_ZN7rocprim17ROCPRIM_400000_NS6detail17trampoline_kernelINS0_13select_configILj256ELj13ELNS0_17block_load_methodE3ELS4_3ELS4_3ELNS0_20block_scan_algorithmE0ELj4294967295EEENS1_25partition_config_selectorILNS1_17partition_subalgoE4EjNS0_10empty_typeEbEEZZNS1_14partition_implILS8_4ELb0ES6_15HIP_vector_typeIjLj2EENS0_17counting_iteratorIjlEEPS9_SG_NS0_5tupleIJPjSI_NS0_16reverse_iteratorISI_EEEEENSH_IJSG_SG_SG_EEES9_SI_JZNS1_25segmented_radix_sort_implINS0_14default_configELb1EPKdPdPKlPlN2at6native12_GLOBAL__N_18offset_tEEE10hipError_tPvRmT1_PNSt15iterator_traitsIS12_E10value_typeET2_T3_PNS13_IS18_E10value_typeET4_jRbjT5_S1E_jjP12ihipStream_tbEUljE_ZNSN_ISO_Lb1ESQ_SR_ST_SU_SY_EESZ_S10_S11_S12_S16_S17_S18_S1B_S1C_jS1D_jS1E_S1E_jjS1G_bEUljE0_EEESZ_S10_S11_S18_S1C_S1E_T6_T7_T9_mT8_S1G_bDpT10_ENKUlT_T0_E_clISt17integral_constantIbLb1EES1U_EEDaS1P_S1Q_EUlS1P_E_NS1_11comp_targetILNS1_3genE4ELNS1_11target_archE910ELNS1_3gpuE8ELNS1_3repE0EEENS1_30default_config_static_selectorELNS0_4arch9wavefront6targetE0EEEvS12_
; %bb.0:
	.section	.rodata,"a",@progbits
	.p2align	6, 0x0
	.amdhsa_kernel _ZN7rocprim17ROCPRIM_400000_NS6detail17trampoline_kernelINS0_13select_configILj256ELj13ELNS0_17block_load_methodE3ELS4_3ELS4_3ELNS0_20block_scan_algorithmE0ELj4294967295EEENS1_25partition_config_selectorILNS1_17partition_subalgoE4EjNS0_10empty_typeEbEEZZNS1_14partition_implILS8_4ELb0ES6_15HIP_vector_typeIjLj2EENS0_17counting_iteratorIjlEEPS9_SG_NS0_5tupleIJPjSI_NS0_16reverse_iteratorISI_EEEEENSH_IJSG_SG_SG_EEES9_SI_JZNS1_25segmented_radix_sort_implINS0_14default_configELb1EPKdPdPKlPlN2at6native12_GLOBAL__N_18offset_tEEE10hipError_tPvRmT1_PNSt15iterator_traitsIS12_E10value_typeET2_T3_PNS13_IS18_E10value_typeET4_jRbjT5_S1E_jjP12ihipStream_tbEUljE_ZNSN_ISO_Lb1ESQ_SR_ST_SU_SY_EESZ_S10_S11_S12_S16_S17_S18_S1B_S1C_jS1D_jS1E_S1E_jjS1G_bEUljE0_EEESZ_S10_S11_S18_S1C_S1E_T6_T7_T9_mT8_S1G_bDpT10_ENKUlT_T0_E_clISt17integral_constantIbLb1EES1U_EEDaS1P_S1Q_EUlS1P_E_NS1_11comp_targetILNS1_3genE4ELNS1_11target_archE910ELNS1_3gpuE8ELNS1_3repE0EEENS1_30default_config_static_selectorELNS0_4arch9wavefront6targetE0EEEvS12_
		.amdhsa_group_segment_fixed_size 0
		.amdhsa_private_segment_fixed_size 0
		.amdhsa_kernarg_size 184
		.amdhsa_user_sgpr_count 6
		.amdhsa_user_sgpr_private_segment_buffer 1
		.amdhsa_user_sgpr_dispatch_ptr 0
		.amdhsa_user_sgpr_queue_ptr 0
		.amdhsa_user_sgpr_kernarg_segment_ptr 1
		.amdhsa_user_sgpr_dispatch_id 0
		.amdhsa_user_sgpr_flat_scratch_init 0
		.amdhsa_user_sgpr_private_segment_size 0
		.amdhsa_wavefront_size32 1
		.amdhsa_uses_dynamic_stack 0
		.amdhsa_system_sgpr_private_segment_wavefront_offset 0
		.amdhsa_system_sgpr_workgroup_id_x 1
		.amdhsa_system_sgpr_workgroup_id_y 0
		.amdhsa_system_sgpr_workgroup_id_z 0
		.amdhsa_system_sgpr_workgroup_info 0
		.amdhsa_system_vgpr_workitem_id 0
		.amdhsa_next_free_vgpr 1
		.amdhsa_next_free_sgpr 1
		.amdhsa_reserve_vcc 0
		.amdhsa_reserve_flat_scratch 0
		.amdhsa_float_round_mode_32 0
		.amdhsa_float_round_mode_16_64 0
		.amdhsa_float_denorm_mode_32 3
		.amdhsa_float_denorm_mode_16_64 3
		.amdhsa_dx10_clamp 1
		.amdhsa_ieee_mode 1
		.amdhsa_fp16_overflow 0
		.amdhsa_workgroup_processor_mode 1
		.amdhsa_memory_ordered 1
		.amdhsa_forward_progress 1
		.amdhsa_shared_vgpr_count 0
		.amdhsa_exception_fp_ieee_invalid_op 0
		.amdhsa_exception_fp_denorm_src 0
		.amdhsa_exception_fp_ieee_div_zero 0
		.amdhsa_exception_fp_ieee_overflow 0
		.amdhsa_exception_fp_ieee_underflow 0
		.amdhsa_exception_fp_ieee_inexact 0
		.amdhsa_exception_int_div_zero 0
	.end_amdhsa_kernel
	.section	.text._ZN7rocprim17ROCPRIM_400000_NS6detail17trampoline_kernelINS0_13select_configILj256ELj13ELNS0_17block_load_methodE3ELS4_3ELS4_3ELNS0_20block_scan_algorithmE0ELj4294967295EEENS1_25partition_config_selectorILNS1_17partition_subalgoE4EjNS0_10empty_typeEbEEZZNS1_14partition_implILS8_4ELb0ES6_15HIP_vector_typeIjLj2EENS0_17counting_iteratorIjlEEPS9_SG_NS0_5tupleIJPjSI_NS0_16reverse_iteratorISI_EEEEENSH_IJSG_SG_SG_EEES9_SI_JZNS1_25segmented_radix_sort_implINS0_14default_configELb1EPKdPdPKlPlN2at6native12_GLOBAL__N_18offset_tEEE10hipError_tPvRmT1_PNSt15iterator_traitsIS12_E10value_typeET2_T3_PNS13_IS18_E10value_typeET4_jRbjT5_S1E_jjP12ihipStream_tbEUljE_ZNSN_ISO_Lb1ESQ_SR_ST_SU_SY_EESZ_S10_S11_S12_S16_S17_S18_S1B_S1C_jS1D_jS1E_S1E_jjS1G_bEUljE0_EEESZ_S10_S11_S18_S1C_S1E_T6_T7_T9_mT8_S1G_bDpT10_ENKUlT_T0_E_clISt17integral_constantIbLb1EES1U_EEDaS1P_S1Q_EUlS1P_E_NS1_11comp_targetILNS1_3genE4ELNS1_11target_archE910ELNS1_3gpuE8ELNS1_3repE0EEENS1_30default_config_static_selectorELNS0_4arch9wavefront6targetE0EEEvS12_,"axG",@progbits,_ZN7rocprim17ROCPRIM_400000_NS6detail17trampoline_kernelINS0_13select_configILj256ELj13ELNS0_17block_load_methodE3ELS4_3ELS4_3ELNS0_20block_scan_algorithmE0ELj4294967295EEENS1_25partition_config_selectorILNS1_17partition_subalgoE4EjNS0_10empty_typeEbEEZZNS1_14partition_implILS8_4ELb0ES6_15HIP_vector_typeIjLj2EENS0_17counting_iteratorIjlEEPS9_SG_NS0_5tupleIJPjSI_NS0_16reverse_iteratorISI_EEEEENSH_IJSG_SG_SG_EEES9_SI_JZNS1_25segmented_radix_sort_implINS0_14default_configELb1EPKdPdPKlPlN2at6native12_GLOBAL__N_18offset_tEEE10hipError_tPvRmT1_PNSt15iterator_traitsIS12_E10value_typeET2_T3_PNS13_IS18_E10value_typeET4_jRbjT5_S1E_jjP12ihipStream_tbEUljE_ZNSN_ISO_Lb1ESQ_SR_ST_SU_SY_EESZ_S10_S11_S12_S16_S17_S18_S1B_S1C_jS1D_jS1E_S1E_jjS1G_bEUljE0_EEESZ_S10_S11_S18_S1C_S1E_T6_T7_T9_mT8_S1G_bDpT10_ENKUlT_T0_E_clISt17integral_constantIbLb1EES1U_EEDaS1P_S1Q_EUlS1P_E_NS1_11comp_targetILNS1_3genE4ELNS1_11target_archE910ELNS1_3gpuE8ELNS1_3repE0EEENS1_30default_config_static_selectorELNS0_4arch9wavefront6targetE0EEEvS12_,comdat
.Lfunc_end1056:
	.size	_ZN7rocprim17ROCPRIM_400000_NS6detail17trampoline_kernelINS0_13select_configILj256ELj13ELNS0_17block_load_methodE3ELS4_3ELS4_3ELNS0_20block_scan_algorithmE0ELj4294967295EEENS1_25partition_config_selectorILNS1_17partition_subalgoE4EjNS0_10empty_typeEbEEZZNS1_14partition_implILS8_4ELb0ES6_15HIP_vector_typeIjLj2EENS0_17counting_iteratorIjlEEPS9_SG_NS0_5tupleIJPjSI_NS0_16reverse_iteratorISI_EEEEENSH_IJSG_SG_SG_EEES9_SI_JZNS1_25segmented_radix_sort_implINS0_14default_configELb1EPKdPdPKlPlN2at6native12_GLOBAL__N_18offset_tEEE10hipError_tPvRmT1_PNSt15iterator_traitsIS12_E10value_typeET2_T3_PNS13_IS18_E10value_typeET4_jRbjT5_S1E_jjP12ihipStream_tbEUljE_ZNSN_ISO_Lb1ESQ_SR_ST_SU_SY_EESZ_S10_S11_S12_S16_S17_S18_S1B_S1C_jS1D_jS1E_S1E_jjS1G_bEUljE0_EEESZ_S10_S11_S18_S1C_S1E_T6_T7_T9_mT8_S1G_bDpT10_ENKUlT_T0_E_clISt17integral_constantIbLb1EES1U_EEDaS1P_S1Q_EUlS1P_E_NS1_11comp_targetILNS1_3genE4ELNS1_11target_archE910ELNS1_3gpuE8ELNS1_3repE0EEENS1_30default_config_static_selectorELNS0_4arch9wavefront6targetE0EEEvS12_, .Lfunc_end1056-_ZN7rocprim17ROCPRIM_400000_NS6detail17trampoline_kernelINS0_13select_configILj256ELj13ELNS0_17block_load_methodE3ELS4_3ELS4_3ELNS0_20block_scan_algorithmE0ELj4294967295EEENS1_25partition_config_selectorILNS1_17partition_subalgoE4EjNS0_10empty_typeEbEEZZNS1_14partition_implILS8_4ELb0ES6_15HIP_vector_typeIjLj2EENS0_17counting_iteratorIjlEEPS9_SG_NS0_5tupleIJPjSI_NS0_16reverse_iteratorISI_EEEEENSH_IJSG_SG_SG_EEES9_SI_JZNS1_25segmented_radix_sort_implINS0_14default_configELb1EPKdPdPKlPlN2at6native12_GLOBAL__N_18offset_tEEE10hipError_tPvRmT1_PNSt15iterator_traitsIS12_E10value_typeET2_T3_PNS13_IS18_E10value_typeET4_jRbjT5_S1E_jjP12ihipStream_tbEUljE_ZNSN_ISO_Lb1ESQ_SR_ST_SU_SY_EESZ_S10_S11_S12_S16_S17_S18_S1B_S1C_jS1D_jS1E_S1E_jjS1G_bEUljE0_EEESZ_S10_S11_S18_S1C_S1E_T6_T7_T9_mT8_S1G_bDpT10_ENKUlT_T0_E_clISt17integral_constantIbLb1EES1U_EEDaS1P_S1Q_EUlS1P_E_NS1_11comp_targetILNS1_3genE4ELNS1_11target_archE910ELNS1_3gpuE8ELNS1_3repE0EEENS1_30default_config_static_selectorELNS0_4arch9wavefront6targetE0EEEvS12_
                                        ; -- End function
	.set _ZN7rocprim17ROCPRIM_400000_NS6detail17trampoline_kernelINS0_13select_configILj256ELj13ELNS0_17block_load_methodE3ELS4_3ELS4_3ELNS0_20block_scan_algorithmE0ELj4294967295EEENS1_25partition_config_selectorILNS1_17partition_subalgoE4EjNS0_10empty_typeEbEEZZNS1_14partition_implILS8_4ELb0ES6_15HIP_vector_typeIjLj2EENS0_17counting_iteratorIjlEEPS9_SG_NS0_5tupleIJPjSI_NS0_16reverse_iteratorISI_EEEEENSH_IJSG_SG_SG_EEES9_SI_JZNS1_25segmented_radix_sort_implINS0_14default_configELb1EPKdPdPKlPlN2at6native12_GLOBAL__N_18offset_tEEE10hipError_tPvRmT1_PNSt15iterator_traitsIS12_E10value_typeET2_T3_PNS13_IS18_E10value_typeET4_jRbjT5_S1E_jjP12ihipStream_tbEUljE_ZNSN_ISO_Lb1ESQ_SR_ST_SU_SY_EESZ_S10_S11_S12_S16_S17_S18_S1B_S1C_jS1D_jS1E_S1E_jjS1G_bEUljE0_EEESZ_S10_S11_S18_S1C_S1E_T6_T7_T9_mT8_S1G_bDpT10_ENKUlT_T0_E_clISt17integral_constantIbLb1EES1U_EEDaS1P_S1Q_EUlS1P_E_NS1_11comp_targetILNS1_3genE4ELNS1_11target_archE910ELNS1_3gpuE8ELNS1_3repE0EEENS1_30default_config_static_selectorELNS0_4arch9wavefront6targetE0EEEvS12_.num_vgpr, 0
	.set _ZN7rocprim17ROCPRIM_400000_NS6detail17trampoline_kernelINS0_13select_configILj256ELj13ELNS0_17block_load_methodE3ELS4_3ELS4_3ELNS0_20block_scan_algorithmE0ELj4294967295EEENS1_25partition_config_selectorILNS1_17partition_subalgoE4EjNS0_10empty_typeEbEEZZNS1_14partition_implILS8_4ELb0ES6_15HIP_vector_typeIjLj2EENS0_17counting_iteratorIjlEEPS9_SG_NS0_5tupleIJPjSI_NS0_16reverse_iteratorISI_EEEEENSH_IJSG_SG_SG_EEES9_SI_JZNS1_25segmented_radix_sort_implINS0_14default_configELb1EPKdPdPKlPlN2at6native12_GLOBAL__N_18offset_tEEE10hipError_tPvRmT1_PNSt15iterator_traitsIS12_E10value_typeET2_T3_PNS13_IS18_E10value_typeET4_jRbjT5_S1E_jjP12ihipStream_tbEUljE_ZNSN_ISO_Lb1ESQ_SR_ST_SU_SY_EESZ_S10_S11_S12_S16_S17_S18_S1B_S1C_jS1D_jS1E_S1E_jjS1G_bEUljE0_EEESZ_S10_S11_S18_S1C_S1E_T6_T7_T9_mT8_S1G_bDpT10_ENKUlT_T0_E_clISt17integral_constantIbLb1EES1U_EEDaS1P_S1Q_EUlS1P_E_NS1_11comp_targetILNS1_3genE4ELNS1_11target_archE910ELNS1_3gpuE8ELNS1_3repE0EEENS1_30default_config_static_selectorELNS0_4arch9wavefront6targetE0EEEvS12_.num_agpr, 0
	.set _ZN7rocprim17ROCPRIM_400000_NS6detail17trampoline_kernelINS0_13select_configILj256ELj13ELNS0_17block_load_methodE3ELS4_3ELS4_3ELNS0_20block_scan_algorithmE0ELj4294967295EEENS1_25partition_config_selectorILNS1_17partition_subalgoE4EjNS0_10empty_typeEbEEZZNS1_14partition_implILS8_4ELb0ES6_15HIP_vector_typeIjLj2EENS0_17counting_iteratorIjlEEPS9_SG_NS0_5tupleIJPjSI_NS0_16reverse_iteratorISI_EEEEENSH_IJSG_SG_SG_EEES9_SI_JZNS1_25segmented_radix_sort_implINS0_14default_configELb1EPKdPdPKlPlN2at6native12_GLOBAL__N_18offset_tEEE10hipError_tPvRmT1_PNSt15iterator_traitsIS12_E10value_typeET2_T3_PNS13_IS18_E10value_typeET4_jRbjT5_S1E_jjP12ihipStream_tbEUljE_ZNSN_ISO_Lb1ESQ_SR_ST_SU_SY_EESZ_S10_S11_S12_S16_S17_S18_S1B_S1C_jS1D_jS1E_S1E_jjS1G_bEUljE0_EEESZ_S10_S11_S18_S1C_S1E_T6_T7_T9_mT8_S1G_bDpT10_ENKUlT_T0_E_clISt17integral_constantIbLb1EES1U_EEDaS1P_S1Q_EUlS1P_E_NS1_11comp_targetILNS1_3genE4ELNS1_11target_archE910ELNS1_3gpuE8ELNS1_3repE0EEENS1_30default_config_static_selectorELNS0_4arch9wavefront6targetE0EEEvS12_.numbered_sgpr, 0
	.set _ZN7rocprim17ROCPRIM_400000_NS6detail17trampoline_kernelINS0_13select_configILj256ELj13ELNS0_17block_load_methodE3ELS4_3ELS4_3ELNS0_20block_scan_algorithmE0ELj4294967295EEENS1_25partition_config_selectorILNS1_17partition_subalgoE4EjNS0_10empty_typeEbEEZZNS1_14partition_implILS8_4ELb0ES6_15HIP_vector_typeIjLj2EENS0_17counting_iteratorIjlEEPS9_SG_NS0_5tupleIJPjSI_NS0_16reverse_iteratorISI_EEEEENSH_IJSG_SG_SG_EEES9_SI_JZNS1_25segmented_radix_sort_implINS0_14default_configELb1EPKdPdPKlPlN2at6native12_GLOBAL__N_18offset_tEEE10hipError_tPvRmT1_PNSt15iterator_traitsIS12_E10value_typeET2_T3_PNS13_IS18_E10value_typeET4_jRbjT5_S1E_jjP12ihipStream_tbEUljE_ZNSN_ISO_Lb1ESQ_SR_ST_SU_SY_EESZ_S10_S11_S12_S16_S17_S18_S1B_S1C_jS1D_jS1E_S1E_jjS1G_bEUljE0_EEESZ_S10_S11_S18_S1C_S1E_T6_T7_T9_mT8_S1G_bDpT10_ENKUlT_T0_E_clISt17integral_constantIbLb1EES1U_EEDaS1P_S1Q_EUlS1P_E_NS1_11comp_targetILNS1_3genE4ELNS1_11target_archE910ELNS1_3gpuE8ELNS1_3repE0EEENS1_30default_config_static_selectorELNS0_4arch9wavefront6targetE0EEEvS12_.num_named_barrier, 0
	.set _ZN7rocprim17ROCPRIM_400000_NS6detail17trampoline_kernelINS0_13select_configILj256ELj13ELNS0_17block_load_methodE3ELS4_3ELS4_3ELNS0_20block_scan_algorithmE0ELj4294967295EEENS1_25partition_config_selectorILNS1_17partition_subalgoE4EjNS0_10empty_typeEbEEZZNS1_14partition_implILS8_4ELb0ES6_15HIP_vector_typeIjLj2EENS0_17counting_iteratorIjlEEPS9_SG_NS0_5tupleIJPjSI_NS0_16reverse_iteratorISI_EEEEENSH_IJSG_SG_SG_EEES9_SI_JZNS1_25segmented_radix_sort_implINS0_14default_configELb1EPKdPdPKlPlN2at6native12_GLOBAL__N_18offset_tEEE10hipError_tPvRmT1_PNSt15iterator_traitsIS12_E10value_typeET2_T3_PNS13_IS18_E10value_typeET4_jRbjT5_S1E_jjP12ihipStream_tbEUljE_ZNSN_ISO_Lb1ESQ_SR_ST_SU_SY_EESZ_S10_S11_S12_S16_S17_S18_S1B_S1C_jS1D_jS1E_S1E_jjS1G_bEUljE0_EEESZ_S10_S11_S18_S1C_S1E_T6_T7_T9_mT8_S1G_bDpT10_ENKUlT_T0_E_clISt17integral_constantIbLb1EES1U_EEDaS1P_S1Q_EUlS1P_E_NS1_11comp_targetILNS1_3genE4ELNS1_11target_archE910ELNS1_3gpuE8ELNS1_3repE0EEENS1_30default_config_static_selectorELNS0_4arch9wavefront6targetE0EEEvS12_.private_seg_size, 0
	.set _ZN7rocprim17ROCPRIM_400000_NS6detail17trampoline_kernelINS0_13select_configILj256ELj13ELNS0_17block_load_methodE3ELS4_3ELS4_3ELNS0_20block_scan_algorithmE0ELj4294967295EEENS1_25partition_config_selectorILNS1_17partition_subalgoE4EjNS0_10empty_typeEbEEZZNS1_14partition_implILS8_4ELb0ES6_15HIP_vector_typeIjLj2EENS0_17counting_iteratorIjlEEPS9_SG_NS0_5tupleIJPjSI_NS0_16reverse_iteratorISI_EEEEENSH_IJSG_SG_SG_EEES9_SI_JZNS1_25segmented_radix_sort_implINS0_14default_configELb1EPKdPdPKlPlN2at6native12_GLOBAL__N_18offset_tEEE10hipError_tPvRmT1_PNSt15iterator_traitsIS12_E10value_typeET2_T3_PNS13_IS18_E10value_typeET4_jRbjT5_S1E_jjP12ihipStream_tbEUljE_ZNSN_ISO_Lb1ESQ_SR_ST_SU_SY_EESZ_S10_S11_S12_S16_S17_S18_S1B_S1C_jS1D_jS1E_S1E_jjS1G_bEUljE0_EEESZ_S10_S11_S18_S1C_S1E_T6_T7_T9_mT8_S1G_bDpT10_ENKUlT_T0_E_clISt17integral_constantIbLb1EES1U_EEDaS1P_S1Q_EUlS1P_E_NS1_11comp_targetILNS1_3genE4ELNS1_11target_archE910ELNS1_3gpuE8ELNS1_3repE0EEENS1_30default_config_static_selectorELNS0_4arch9wavefront6targetE0EEEvS12_.uses_vcc, 0
	.set _ZN7rocprim17ROCPRIM_400000_NS6detail17trampoline_kernelINS0_13select_configILj256ELj13ELNS0_17block_load_methodE3ELS4_3ELS4_3ELNS0_20block_scan_algorithmE0ELj4294967295EEENS1_25partition_config_selectorILNS1_17partition_subalgoE4EjNS0_10empty_typeEbEEZZNS1_14partition_implILS8_4ELb0ES6_15HIP_vector_typeIjLj2EENS0_17counting_iteratorIjlEEPS9_SG_NS0_5tupleIJPjSI_NS0_16reverse_iteratorISI_EEEEENSH_IJSG_SG_SG_EEES9_SI_JZNS1_25segmented_radix_sort_implINS0_14default_configELb1EPKdPdPKlPlN2at6native12_GLOBAL__N_18offset_tEEE10hipError_tPvRmT1_PNSt15iterator_traitsIS12_E10value_typeET2_T3_PNS13_IS18_E10value_typeET4_jRbjT5_S1E_jjP12ihipStream_tbEUljE_ZNSN_ISO_Lb1ESQ_SR_ST_SU_SY_EESZ_S10_S11_S12_S16_S17_S18_S1B_S1C_jS1D_jS1E_S1E_jjS1G_bEUljE0_EEESZ_S10_S11_S18_S1C_S1E_T6_T7_T9_mT8_S1G_bDpT10_ENKUlT_T0_E_clISt17integral_constantIbLb1EES1U_EEDaS1P_S1Q_EUlS1P_E_NS1_11comp_targetILNS1_3genE4ELNS1_11target_archE910ELNS1_3gpuE8ELNS1_3repE0EEENS1_30default_config_static_selectorELNS0_4arch9wavefront6targetE0EEEvS12_.uses_flat_scratch, 0
	.set _ZN7rocprim17ROCPRIM_400000_NS6detail17trampoline_kernelINS0_13select_configILj256ELj13ELNS0_17block_load_methodE3ELS4_3ELS4_3ELNS0_20block_scan_algorithmE0ELj4294967295EEENS1_25partition_config_selectorILNS1_17partition_subalgoE4EjNS0_10empty_typeEbEEZZNS1_14partition_implILS8_4ELb0ES6_15HIP_vector_typeIjLj2EENS0_17counting_iteratorIjlEEPS9_SG_NS0_5tupleIJPjSI_NS0_16reverse_iteratorISI_EEEEENSH_IJSG_SG_SG_EEES9_SI_JZNS1_25segmented_radix_sort_implINS0_14default_configELb1EPKdPdPKlPlN2at6native12_GLOBAL__N_18offset_tEEE10hipError_tPvRmT1_PNSt15iterator_traitsIS12_E10value_typeET2_T3_PNS13_IS18_E10value_typeET4_jRbjT5_S1E_jjP12ihipStream_tbEUljE_ZNSN_ISO_Lb1ESQ_SR_ST_SU_SY_EESZ_S10_S11_S12_S16_S17_S18_S1B_S1C_jS1D_jS1E_S1E_jjS1G_bEUljE0_EEESZ_S10_S11_S18_S1C_S1E_T6_T7_T9_mT8_S1G_bDpT10_ENKUlT_T0_E_clISt17integral_constantIbLb1EES1U_EEDaS1P_S1Q_EUlS1P_E_NS1_11comp_targetILNS1_3genE4ELNS1_11target_archE910ELNS1_3gpuE8ELNS1_3repE0EEENS1_30default_config_static_selectorELNS0_4arch9wavefront6targetE0EEEvS12_.has_dyn_sized_stack, 0
	.set _ZN7rocprim17ROCPRIM_400000_NS6detail17trampoline_kernelINS0_13select_configILj256ELj13ELNS0_17block_load_methodE3ELS4_3ELS4_3ELNS0_20block_scan_algorithmE0ELj4294967295EEENS1_25partition_config_selectorILNS1_17partition_subalgoE4EjNS0_10empty_typeEbEEZZNS1_14partition_implILS8_4ELb0ES6_15HIP_vector_typeIjLj2EENS0_17counting_iteratorIjlEEPS9_SG_NS0_5tupleIJPjSI_NS0_16reverse_iteratorISI_EEEEENSH_IJSG_SG_SG_EEES9_SI_JZNS1_25segmented_radix_sort_implINS0_14default_configELb1EPKdPdPKlPlN2at6native12_GLOBAL__N_18offset_tEEE10hipError_tPvRmT1_PNSt15iterator_traitsIS12_E10value_typeET2_T3_PNS13_IS18_E10value_typeET4_jRbjT5_S1E_jjP12ihipStream_tbEUljE_ZNSN_ISO_Lb1ESQ_SR_ST_SU_SY_EESZ_S10_S11_S12_S16_S17_S18_S1B_S1C_jS1D_jS1E_S1E_jjS1G_bEUljE0_EEESZ_S10_S11_S18_S1C_S1E_T6_T7_T9_mT8_S1G_bDpT10_ENKUlT_T0_E_clISt17integral_constantIbLb1EES1U_EEDaS1P_S1Q_EUlS1P_E_NS1_11comp_targetILNS1_3genE4ELNS1_11target_archE910ELNS1_3gpuE8ELNS1_3repE0EEENS1_30default_config_static_selectorELNS0_4arch9wavefront6targetE0EEEvS12_.has_recursion, 0
	.set _ZN7rocprim17ROCPRIM_400000_NS6detail17trampoline_kernelINS0_13select_configILj256ELj13ELNS0_17block_load_methodE3ELS4_3ELS4_3ELNS0_20block_scan_algorithmE0ELj4294967295EEENS1_25partition_config_selectorILNS1_17partition_subalgoE4EjNS0_10empty_typeEbEEZZNS1_14partition_implILS8_4ELb0ES6_15HIP_vector_typeIjLj2EENS0_17counting_iteratorIjlEEPS9_SG_NS0_5tupleIJPjSI_NS0_16reverse_iteratorISI_EEEEENSH_IJSG_SG_SG_EEES9_SI_JZNS1_25segmented_radix_sort_implINS0_14default_configELb1EPKdPdPKlPlN2at6native12_GLOBAL__N_18offset_tEEE10hipError_tPvRmT1_PNSt15iterator_traitsIS12_E10value_typeET2_T3_PNS13_IS18_E10value_typeET4_jRbjT5_S1E_jjP12ihipStream_tbEUljE_ZNSN_ISO_Lb1ESQ_SR_ST_SU_SY_EESZ_S10_S11_S12_S16_S17_S18_S1B_S1C_jS1D_jS1E_S1E_jjS1G_bEUljE0_EEESZ_S10_S11_S18_S1C_S1E_T6_T7_T9_mT8_S1G_bDpT10_ENKUlT_T0_E_clISt17integral_constantIbLb1EES1U_EEDaS1P_S1Q_EUlS1P_E_NS1_11comp_targetILNS1_3genE4ELNS1_11target_archE910ELNS1_3gpuE8ELNS1_3repE0EEENS1_30default_config_static_selectorELNS0_4arch9wavefront6targetE0EEEvS12_.has_indirect_call, 0
	.section	.AMDGPU.csdata,"",@progbits
; Kernel info:
; codeLenInByte = 0
; TotalNumSgprs: 0
; NumVgprs: 0
; ScratchSize: 0
; MemoryBound: 0
; FloatMode: 240
; IeeeMode: 1
; LDSByteSize: 0 bytes/workgroup (compile time only)
; SGPRBlocks: 0
; VGPRBlocks: 0
; NumSGPRsForWavesPerEU: 1
; NumVGPRsForWavesPerEU: 1
; Occupancy: 16
; WaveLimiterHint : 0
; COMPUTE_PGM_RSRC2:SCRATCH_EN: 0
; COMPUTE_PGM_RSRC2:USER_SGPR: 6
; COMPUTE_PGM_RSRC2:TRAP_HANDLER: 0
; COMPUTE_PGM_RSRC2:TGID_X_EN: 1
; COMPUTE_PGM_RSRC2:TGID_Y_EN: 0
; COMPUTE_PGM_RSRC2:TGID_Z_EN: 0
; COMPUTE_PGM_RSRC2:TIDIG_COMP_CNT: 0
	.section	.text._ZN7rocprim17ROCPRIM_400000_NS6detail17trampoline_kernelINS0_13select_configILj256ELj13ELNS0_17block_load_methodE3ELS4_3ELS4_3ELNS0_20block_scan_algorithmE0ELj4294967295EEENS1_25partition_config_selectorILNS1_17partition_subalgoE4EjNS0_10empty_typeEbEEZZNS1_14partition_implILS8_4ELb0ES6_15HIP_vector_typeIjLj2EENS0_17counting_iteratorIjlEEPS9_SG_NS0_5tupleIJPjSI_NS0_16reverse_iteratorISI_EEEEENSH_IJSG_SG_SG_EEES9_SI_JZNS1_25segmented_radix_sort_implINS0_14default_configELb1EPKdPdPKlPlN2at6native12_GLOBAL__N_18offset_tEEE10hipError_tPvRmT1_PNSt15iterator_traitsIS12_E10value_typeET2_T3_PNS13_IS18_E10value_typeET4_jRbjT5_S1E_jjP12ihipStream_tbEUljE_ZNSN_ISO_Lb1ESQ_SR_ST_SU_SY_EESZ_S10_S11_S12_S16_S17_S18_S1B_S1C_jS1D_jS1E_S1E_jjS1G_bEUljE0_EEESZ_S10_S11_S18_S1C_S1E_T6_T7_T9_mT8_S1G_bDpT10_ENKUlT_T0_E_clISt17integral_constantIbLb1EES1U_EEDaS1P_S1Q_EUlS1P_E_NS1_11comp_targetILNS1_3genE3ELNS1_11target_archE908ELNS1_3gpuE7ELNS1_3repE0EEENS1_30default_config_static_selectorELNS0_4arch9wavefront6targetE0EEEvS12_,"axG",@progbits,_ZN7rocprim17ROCPRIM_400000_NS6detail17trampoline_kernelINS0_13select_configILj256ELj13ELNS0_17block_load_methodE3ELS4_3ELS4_3ELNS0_20block_scan_algorithmE0ELj4294967295EEENS1_25partition_config_selectorILNS1_17partition_subalgoE4EjNS0_10empty_typeEbEEZZNS1_14partition_implILS8_4ELb0ES6_15HIP_vector_typeIjLj2EENS0_17counting_iteratorIjlEEPS9_SG_NS0_5tupleIJPjSI_NS0_16reverse_iteratorISI_EEEEENSH_IJSG_SG_SG_EEES9_SI_JZNS1_25segmented_radix_sort_implINS0_14default_configELb1EPKdPdPKlPlN2at6native12_GLOBAL__N_18offset_tEEE10hipError_tPvRmT1_PNSt15iterator_traitsIS12_E10value_typeET2_T3_PNS13_IS18_E10value_typeET4_jRbjT5_S1E_jjP12ihipStream_tbEUljE_ZNSN_ISO_Lb1ESQ_SR_ST_SU_SY_EESZ_S10_S11_S12_S16_S17_S18_S1B_S1C_jS1D_jS1E_S1E_jjS1G_bEUljE0_EEESZ_S10_S11_S18_S1C_S1E_T6_T7_T9_mT8_S1G_bDpT10_ENKUlT_T0_E_clISt17integral_constantIbLb1EES1U_EEDaS1P_S1Q_EUlS1P_E_NS1_11comp_targetILNS1_3genE3ELNS1_11target_archE908ELNS1_3gpuE7ELNS1_3repE0EEENS1_30default_config_static_selectorELNS0_4arch9wavefront6targetE0EEEvS12_,comdat
	.globl	_ZN7rocprim17ROCPRIM_400000_NS6detail17trampoline_kernelINS0_13select_configILj256ELj13ELNS0_17block_load_methodE3ELS4_3ELS4_3ELNS0_20block_scan_algorithmE0ELj4294967295EEENS1_25partition_config_selectorILNS1_17partition_subalgoE4EjNS0_10empty_typeEbEEZZNS1_14partition_implILS8_4ELb0ES6_15HIP_vector_typeIjLj2EENS0_17counting_iteratorIjlEEPS9_SG_NS0_5tupleIJPjSI_NS0_16reverse_iteratorISI_EEEEENSH_IJSG_SG_SG_EEES9_SI_JZNS1_25segmented_radix_sort_implINS0_14default_configELb1EPKdPdPKlPlN2at6native12_GLOBAL__N_18offset_tEEE10hipError_tPvRmT1_PNSt15iterator_traitsIS12_E10value_typeET2_T3_PNS13_IS18_E10value_typeET4_jRbjT5_S1E_jjP12ihipStream_tbEUljE_ZNSN_ISO_Lb1ESQ_SR_ST_SU_SY_EESZ_S10_S11_S12_S16_S17_S18_S1B_S1C_jS1D_jS1E_S1E_jjS1G_bEUljE0_EEESZ_S10_S11_S18_S1C_S1E_T6_T7_T9_mT8_S1G_bDpT10_ENKUlT_T0_E_clISt17integral_constantIbLb1EES1U_EEDaS1P_S1Q_EUlS1P_E_NS1_11comp_targetILNS1_3genE3ELNS1_11target_archE908ELNS1_3gpuE7ELNS1_3repE0EEENS1_30default_config_static_selectorELNS0_4arch9wavefront6targetE0EEEvS12_ ; -- Begin function _ZN7rocprim17ROCPRIM_400000_NS6detail17trampoline_kernelINS0_13select_configILj256ELj13ELNS0_17block_load_methodE3ELS4_3ELS4_3ELNS0_20block_scan_algorithmE0ELj4294967295EEENS1_25partition_config_selectorILNS1_17partition_subalgoE4EjNS0_10empty_typeEbEEZZNS1_14partition_implILS8_4ELb0ES6_15HIP_vector_typeIjLj2EENS0_17counting_iteratorIjlEEPS9_SG_NS0_5tupleIJPjSI_NS0_16reverse_iteratorISI_EEEEENSH_IJSG_SG_SG_EEES9_SI_JZNS1_25segmented_radix_sort_implINS0_14default_configELb1EPKdPdPKlPlN2at6native12_GLOBAL__N_18offset_tEEE10hipError_tPvRmT1_PNSt15iterator_traitsIS12_E10value_typeET2_T3_PNS13_IS18_E10value_typeET4_jRbjT5_S1E_jjP12ihipStream_tbEUljE_ZNSN_ISO_Lb1ESQ_SR_ST_SU_SY_EESZ_S10_S11_S12_S16_S17_S18_S1B_S1C_jS1D_jS1E_S1E_jjS1G_bEUljE0_EEESZ_S10_S11_S18_S1C_S1E_T6_T7_T9_mT8_S1G_bDpT10_ENKUlT_T0_E_clISt17integral_constantIbLb1EES1U_EEDaS1P_S1Q_EUlS1P_E_NS1_11comp_targetILNS1_3genE3ELNS1_11target_archE908ELNS1_3gpuE7ELNS1_3repE0EEENS1_30default_config_static_selectorELNS0_4arch9wavefront6targetE0EEEvS12_
	.p2align	8
	.type	_ZN7rocprim17ROCPRIM_400000_NS6detail17trampoline_kernelINS0_13select_configILj256ELj13ELNS0_17block_load_methodE3ELS4_3ELS4_3ELNS0_20block_scan_algorithmE0ELj4294967295EEENS1_25partition_config_selectorILNS1_17partition_subalgoE4EjNS0_10empty_typeEbEEZZNS1_14partition_implILS8_4ELb0ES6_15HIP_vector_typeIjLj2EENS0_17counting_iteratorIjlEEPS9_SG_NS0_5tupleIJPjSI_NS0_16reverse_iteratorISI_EEEEENSH_IJSG_SG_SG_EEES9_SI_JZNS1_25segmented_radix_sort_implINS0_14default_configELb1EPKdPdPKlPlN2at6native12_GLOBAL__N_18offset_tEEE10hipError_tPvRmT1_PNSt15iterator_traitsIS12_E10value_typeET2_T3_PNS13_IS18_E10value_typeET4_jRbjT5_S1E_jjP12ihipStream_tbEUljE_ZNSN_ISO_Lb1ESQ_SR_ST_SU_SY_EESZ_S10_S11_S12_S16_S17_S18_S1B_S1C_jS1D_jS1E_S1E_jjS1G_bEUljE0_EEESZ_S10_S11_S18_S1C_S1E_T6_T7_T9_mT8_S1G_bDpT10_ENKUlT_T0_E_clISt17integral_constantIbLb1EES1U_EEDaS1P_S1Q_EUlS1P_E_NS1_11comp_targetILNS1_3genE3ELNS1_11target_archE908ELNS1_3gpuE7ELNS1_3repE0EEENS1_30default_config_static_selectorELNS0_4arch9wavefront6targetE0EEEvS12_,@function
_ZN7rocprim17ROCPRIM_400000_NS6detail17trampoline_kernelINS0_13select_configILj256ELj13ELNS0_17block_load_methodE3ELS4_3ELS4_3ELNS0_20block_scan_algorithmE0ELj4294967295EEENS1_25partition_config_selectorILNS1_17partition_subalgoE4EjNS0_10empty_typeEbEEZZNS1_14partition_implILS8_4ELb0ES6_15HIP_vector_typeIjLj2EENS0_17counting_iteratorIjlEEPS9_SG_NS0_5tupleIJPjSI_NS0_16reverse_iteratorISI_EEEEENSH_IJSG_SG_SG_EEES9_SI_JZNS1_25segmented_radix_sort_implINS0_14default_configELb1EPKdPdPKlPlN2at6native12_GLOBAL__N_18offset_tEEE10hipError_tPvRmT1_PNSt15iterator_traitsIS12_E10value_typeET2_T3_PNS13_IS18_E10value_typeET4_jRbjT5_S1E_jjP12ihipStream_tbEUljE_ZNSN_ISO_Lb1ESQ_SR_ST_SU_SY_EESZ_S10_S11_S12_S16_S17_S18_S1B_S1C_jS1D_jS1E_S1E_jjS1G_bEUljE0_EEESZ_S10_S11_S18_S1C_S1E_T6_T7_T9_mT8_S1G_bDpT10_ENKUlT_T0_E_clISt17integral_constantIbLb1EES1U_EEDaS1P_S1Q_EUlS1P_E_NS1_11comp_targetILNS1_3genE3ELNS1_11target_archE908ELNS1_3gpuE7ELNS1_3repE0EEENS1_30default_config_static_selectorELNS0_4arch9wavefront6targetE0EEEvS12_: ; @_ZN7rocprim17ROCPRIM_400000_NS6detail17trampoline_kernelINS0_13select_configILj256ELj13ELNS0_17block_load_methodE3ELS4_3ELS4_3ELNS0_20block_scan_algorithmE0ELj4294967295EEENS1_25partition_config_selectorILNS1_17partition_subalgoE4EjNS0_10empty_typeEbEEZZNS1_14partition_implILS8_4ELb0ES6_15HIP_vector_typeIjLj2EENS0_17counting_iteratorIjlEEPS9_SG_NS0_5tupleIJPjSI_NS0_16reverse_iteratorISI_EEEEENSH_IJSG_SG_SG_EEES9_SI_JZNS1_25segmented_radix_sort_implINS0_14default_configELb1EPKdPdPKlPlN2at6native12_GLOBAL__N_18offset_tEEE10hipError_tPvRmT1_PNSt15iterator_traitsIS12_E10value_typeET2_T3_PNS13_IS18_E10value_typeET4_jRbjT5_S1E_jjP12ihipStream_tbEUljE_ZNSN_ISO_Lb1ESQ_SR_ST_SU_SY_EESZ_S10_S11_S12_S16_S17_S18_S1B_S1C_jS1D_jS1E_S1E_jjS1G_bEUljE0_EEESZ_S10_S11_S18_S1C_S1E_T6_T7_T9_mT8_S1G_bDpT10_ENKUlT_T0_E_clISt17integral_constantIbLb1EES1U_EEDaS1P_S1Q_EUlS1P_E_NS1_11comp_targetILNS1_3genE3ELNS1_11target_archE908ELNS1_3gpuE7ELNS1_3repE0EEENS1_30default_config_static_selectorELNS0_4arch9wavefront6targetE0EEEvS12_
; %bb.0:
	.section	.rodata,"a",@progbits
	.p2align	6, 0x0
	.amdhsa_kernel _ZN7rocprim17ROCPRIM_400000_NS6detail17trampoline_kernelINS0_13select_configILj256ELj13ELNS0_17block_load_methodE3ELS4_3ELS4_3ELNS0_20block_scan_algorithmE0ELj4294967295EEENS1_25partition_config_selectorILNS1_17partition_subalgoE4EjNS0_10empty_typeEbEEZZNS1_14partition_implILS8_4ELb0ES6_15HIP_vector_typeIjLj2EENS0_17counting_iteratorIjlEEPS9_SG_NS0_5tupleIJPjSI_NS0_16reverse_iteratorISI_EEEEENSH_IJSG_SG_SG_EEES9_SI_JZNS1_25segmented_radix_sort_implINS0_14default_configELb1EPKdPdPKlPlN2at6native12_GLOBAL__N_18offset_tEEE10hipError_tPvRmT1_PNSt15iterator_traitsIS12_E10value_typeET2_T3_PNS13_IS18_E10value_typeET4_jRbjT5_S1E_jjP12ihipStream_tbEUljE_ZNSN_ISO_Lb1ESQ_SR_ST_SU_SY_EESZ_S10_S11_S12_S16_S17_S18_S1B_S1C_jS1D_jS1E_S1E_jjS1G_bEUljE0_EEESZ_S10_S11_S18_S1C_S1E_T6_T7_T9_mT8_S1G_bDpT10_ENKUlT_T0_E_clISt17integral_constantIbLb1EES1U_EEDaS1P_S1Q_EUlS1P_E_NS1_11comp_targetILNS1_3genE3ELNS1_11target_archE908ELNS1_3gpuE7ELNS1_3repE0EEENS1_30default_config_static_selectorELNS0_4arch9wavefront6targetE0EEEvS12_
		.amdhsa_group_segment_fixed_size 0
		.amdhsa_private_segment_fixed_size 0
		.amdhsa_kernarg_size 184
		.amdhsa_user_sgpr_count 6
		.amdhsa_user_sgpr_private_segment_buffer 1
		.amdhsa_user_sgpr_dispatch_ptr 0
		.amdhsa_user_sgpr_queue_ptr 0
		.amdhsa_user_sgpr_kernarg_segment_ptr 1
		.amdhsa_user_sgpr_dispatch_id 0
		.amdhsa_user_sgpr_flat_scratch_init 0
		.amdhsa_user_sgpr_private_segment_size 0
		.amdhsa_wavefront_size32 1
		.amdhsa_uses_dynamic_stack 0
		.amdhsa_system_sgpr_private_segment_wavefront_offset 0
		.amdhsa_system_sgpr_workgroup_id_x 1
		.amdhsa_system_sgpr_workgroup_id_y 0
		.amdhsa_system_sgpr_workgroup_id_z 0
		.amdhsa_system_sgpr_workgroup_info 0
		.amdhsa_system_vgpr_workitem_id 0
		.amdhsa_next_free_vgpr 1
		.amdhsa_next_free_sgpr 1
		.amdhsa_reserve_vcc 0
		.amdhsa_reserve_flat_scratch 0
		.amdhsa_float_round_mode_32 0
		.amdhsa_float_round_mode_16_64 0
		.amdhsa_float_denorm_mode_32 3
		.amdhsa_float_denorm_mode_16_64 3
		.amdhsa_dx10_clamp 1
		.amdhsa_ieee_mode 1
		.amdhsa_fp16_overflow 0
		.amdhsa_workgroup_processor_mode 1
		.amdhsa_memory_ordered 1
		.amdhsa_forward_progress 1
		.amdhsa_shared_vgpr_count 0
		.amdhsa_exception_fp_ieee_invalid_op 0
		.amdhsa_exception_fp_denorm_src 0
		.amdhsa_exception_fp_ieee_div_zero 0
		.amdhsa_exception_fp_ieee_overflow 0
		.amdhsa_exception_fp_ieee_underflow 0
		.amdhsa_exception_fp_ieee_inexact 0
		.amdhsa_exception_int_div_zero 0
	.end_amdhsa_kernel
	.section	.text._ZN7rocprim17ROCPRIM_400000_NS6detail17trampoline_kernelINS0_13select_configILj256ELj13ELNS0_17block_load_methodE3ELS4_3ELS4_3ELNS0_20block_scan_algorithmE0ELj4294967295EEENS1_25partition_config_selectorILNS1_17partition_subalgoE4EjNS0_10empty_typeEbEEZZNS1_14partition_implILS8_4ELb0ES6_15HIP_vector_typeIjLj2EENS0_17counting_iteratorIjlEEPS9_SG_NS0_5tupleIJPjSI_NS0_16reverse_iteratorISI_EEEEENSH_IJSG_SG_SG_EEES9_SI_JZNS1_25segmented_radix_sort_implINS0_14default_configELb1EPKdPdPKlPlN2at6native12_GLOBAL__N_18offset_tEEE10hipError_tPvRmT1_PNSt15iterator_traitsIS12_E10value_typeET2_T3_PNS13_IS18_E10value_typeET4_jRbjT5_S1E_jjP12ihipStream_tbEUljE_ZNSN_ISO_Lb1ESQ_SR_ST_SU_SY_EESZ_S10_S11_S12_S16_S17_S18_S1B_S1C_jS1D_jS1E_S1E_jjS1G_bEUljE0_EEESZ_S10_S11_S18_S1C_S1E_T6_T7_T9_mT8_S1G_bDpT10_ENKUlT_T0_E_clISt17integral_constantIbLb1EES1U_EEDaS1P_S1Q_EUlS1P_E_NS1_11comp_targetILNS1_3genE3ELNS1_11target_archE908ELNS1_3gpuE7ELNS1_3repE0EEENS1_30default_config_static_selectorELNS0_4arch9wavefront6targetE0EEEvS12_,"axG",@progbits,_ZN7rocprim17ROCPRIM_400000_NS6detail17trampoline_kernelINS0_13select_configILj256ELj13ELNS0_17block_load_methodE3ELS4_3ELS4_3ELNS0_20block_scan_algorithmE0ELj4294967295EEENS1_25partition_config_selectorILNS1_17partition_subalgoE4EjNS0_10empty_typeEbEEZZNS1_14partition_implILS8_4ELb0ES6_15HIP_vector_typeIjLj2EENS0_17counting_iteratorIjlEEPS9_SG_NS0_5tupleIJPjSI_NS0_16reverse_iteratorISI_EEEEENSH_IJSG_SG_SG_EEES9_SI_JZNS1_25segmented_radix_sort_implINS0_14default_configELb1EPKdPdPKlPlN2at6native12_GLOBAL__N_18offset_tEEE10hipError_tPvRmT1_PNSt15iterator_traitsIS12_E10value_typeET2_T3_PNS13_IS18_E10value_typeET4_jRbjT5_S1E_jjP12ihipStream_tbEUljE_ZNSN_ISO_Lb1ESQ_SR_ST_SU_SY_EESZ_S10_S11_S12_S16_S17_S18_S1B_S1C_jS1D_jS1E_S1E_jjS1G_bEUljE0_EEESZ_S10_S11_S18_S1C_S1E_T6_T7_T9_mT8_S1G_bDpT10_ENKUlT_T0_E_clISt17integral_constantIbLb1EES1U_EEDaS1P_S1Q_EUlS1P_E_NS1_11comp_targetILNS1_3genE3ELNS1_11target_archE908ELNS1_3gpuE7ELNS1_3repE0EEENS1_30default_config_static_selectorELNS0_4arch9wavefront6targetE0EEEvS12_,comdat
.Lfunc_end1057:
	.size	_ZN7rocprim17ROCPRIM_400000_NS6detail17trampoline_kernelINS0_13select_configILj256ELj13ELNS0_17block_load_methodE3ELS4_3ELS4_3ELNS0_20block_scan_algorithmE0ELj4294967295EEENS1_25partition_config_selectorILNS1_17partition_subalgoE4EjNS0_10empty_typeEbEEZZNS1_14partition_implILS8_4ELb0ES6_15HIP_vector_typeIjLj2EENS0_17counting_iteratorIjlEEPS9_SG_NS0_5tupleIJPjSI_NS0_16reverse_iteratorISI_EEEEENSH_IJSG_SG_SG_EEES9_SI_JZNS1_25segmented_radix_sort_implINS0_14default_configELb1EPKdPdPKlPlN2at6native12_GLOBAL__N_18offset_tEEE10hipError_tPvRmT1_PNSt15iterator_traitsIS12_E10value_typeET2_T3_PNS13_IS18_E10value_typeET4_jRbjT5_S1E_jjP12ihipStream_tbEUljE_ZNSN_ISO_Lb1ESQ_SR_ST_SU_SY_EESZ_S10_S11_S12_S16_S17_S18_S1B_S1C_jS1D_jS1E_S1E_jjS1G_bEUljE0_EEESZ_S10_S11_S18_S1C_S1E_T6_T7_T9_mT8_S1G_bDpT10_ENKUlT_T0_E_clISt17integral_constantIbLb1EES1U_EEDaS1P_S1Q_EUlS1P_E_NS1_11comp_targetILNS1_3genE3ELNS1_11target_archE908ELNS1_3gpuE7ELNS1_3repE0EEENS1_30default_config_static_selectorELNS0_4arch9wavefront6targetE0EEEvS12_, .Lfunc_end1057-_ZN7rocprim17ROCPRIM_400000_NS6detail17trampoline_kernelINS0_13select_configILj256ELj13ELNS0_17block_load_methodE3ELS4_3ELS4_3ELNS0_20block_scan_algorithmE0ELj4294967295EEENS1_25partition_config_selectorILNS1_17partition_subalgoE4EjNS0_10empty_typeEbEEZZNS1_14partition_implILS8_4ELb0ES6_15HIP_vector_typeIjLj2EENS0_17counting_iteratorIjlEEPS9_SG_NS0_5tupleIJPjSI_NS0_16reverse_iteratorISI_EEEEENSH_IJSG_SG_SG_EEES9_SI_JZNS1_25segmented_radix_sort_implINS0_14default_configELb1EPKdPdPKlPlN2at6native12_GLOBAL__N_18offset_tEEE10hipError_tPvRmT1_PNSt15iterator_traitsIS12_E10value_typeET2_T3_PNS13_IS18_E10value_typeET4_jRbjT5_S1E_jjP12ihipStream_tbEUljE_ZNSN_ISO_Lb1ESQ_SR_ST_SU_SY_EESZ_S10_S11_S12_S16_S17_S18_S1B_S1C_jS1D_jS1E_S1E_jjS1G_bEUljE0_EEESZ_S10_S11_S18_S1C_S1E_T6_T7_T9_mT8_S1G_bDpT10_ENKUlT_T0_E_clISt17integral_constantIbLb1EES1U_EEDaS1P_S1Q_EUlS1P_E_NS1_11comp_targetILNS1_3genE3ELNS1_11target_archE908ELNS1_3gpuE7ELNS1_3repE0EEENS1_30default_config_static_selectorELNS0_4arch9wavefront6targetE0EEEvS12_
                                        ; -- End function
	.set _ZN7rocprim17ROCPRIM_400000_NS6detail17trampoline_kernelINS0_13select_configILj256ELj13ELNS0_17block_load_methodE3ELS4_3ELS4_3ELNS0_20block_scan_algorithmE0ELj4294967295EEENS1_25partition_config_selectorILNS1_17partition_subalgoE4EjNS0_10empty_typeEbEEZZNS1_14partition_implILS8_4ELb0ES6_15HIP_vector_typeIjLj2EENS0_17counting_iteratorIjlEEPS9_SG_NS0_5tupleIJPjSI_NS0_16reverse_iteratorISI_EEEEENSH_IJSG_SG_SG_EEES9_SI_JZNS1_25segmented_radix_sort_implINS0_14default_configELb1EPKdPdPKlPlN2at6native12_GLOBAL__N_18offset_tEEE10hipError_tPvRmT1_PNSt15iterator_traitsIS12_E10value_typeET2_T3_PNS13_IS18_E10value_typeET4_jRbjT5_S1E_jjP12ihipStream_tbEUljE_ZNSN_ISO_Lb1ESQ_SR_ST_SU_SY_EESZ_S10_S11_S12_S16_S17_S18_S1B_S1C_jS1D_jS1E_S1E_jjS1G_bEUljE0_EEESZ_S10_S11_S18_S1C_S1E_T6_T7_T9_mT8_S1G_bDpT10_ENKUlT_T0_E_clISt17integral_constantIbLb1EES1U_EEDaS1P_S1Q_EUlS1P_E_NS1_11comp_targetILNS1_3genE3ELNS1_11target_archE908ELNS1_3gpuE7ELNS1_3repE0EEENS1_30default_config_static_selectorELNS0_4arch9wavefront6targetE0EEEvS12_.num_vgpr, 0
	.set _ZN7rocprim17ROCPRIM_400000_NS6detail17trampoline_kernelINS0_13select_configILj256ELj13ELNS0_17block_load_methodE3ELS4_3ELS4_3ELNS0_20block_scan_algorithmE0ELj4294967295EEENS1_25partition_config_selectorILNS1_17partition_subalgoE4EjNS0_10empty_typeEbEEZZNS1_14partition_implILS8_4ELb0ES6_15HIP_vector_typeIjLj2EENS0_17counting_iteratorIjlEEPS9_SG_NS0_5tupleIJPjSI_NS0_16reverse_iteratorISI_EEEEENSH_IJSG_SG_SG_EEES9_SI_JZNS1_25segmented_radix_sort_implINS0_14default_configELb1EPKdPdPKlPlN2at6native12_GLOBAL__N_18offset_tEEE10hipError_tPvRmT1_PNSt15iterator_traitsIS12_E10value_typeET2_T3_PNS13_IS18_E10value_typeET4_jRbjT5_S1E_jjP12ihipStream_tbEUljE_ZNSN_ISO_Lb1ESQ_SR_ST_SU_SY_EESZ_S10_S11_S12_S16_S17_S18_S1B_S1C_jS1D_jS1E_S1E_jjS1G_bEUljE0_EEESZ_S10_S11_S18_S1C_S1E_T6_T7_T9_mT8_S1G_bDpT10_ENKUlT_T0_E_clISt17integral_constantIbLb1EES1U_EEDaS1P_S1Q_EUlS1P_E_NS1_11comp_targetILNS1_3genE3ELNS1_11target_archE908ELNS1_3gpuE7ELNS1_3repE0EEENS1_30default_config_static_selectorELNS0_4arch9wavefront6targetE0EEEvS12_.num_agpr, 0
	.set _ZN7rocprim17ROCPRIM_400000_NS6detail17trampoline_kernelINS0_13select_configILj256ELj13ELNS0_17block_load_methodE3ELS4_3ELS4_3ELNS0_20block_scan_algorithmE0ELj4294967295EEENS1_25partition_config_selectorILNS1_17partition_subalgoE4EjNS0_10empty_typeEbEEZZNS1_14partition_implILS8_4ELb0ES6_15HIP_vector_typeIjLj2EENS0_17counting_iteratorIjlEEPS9_SG_NS0_5tupleIJPjSI_NS0_16reverse_iteratorISI_EEEEENSH_IJSG_SG_SG_EEES9_SI_JZNS1_25segmented_radix_sort_implINS0_14default_configELb1EPKdPdPKlPlN2at6native12_GLOBAL__N_18offset_tEEE10hipError_tPvRmT1_PNSt15iterator_traitsIS12_E10value_typeET2_T3_PNS13_IS18_E10value_typeET4_jRbjT5_S1E_jjP12ihipStream_tbEUljE_ZNSN_ISO_Lb1ESQ_SR_ST_SU_SY_EESZ_S10_S11_S12_S16_S17_S18_S1B_S1C_jS1D_jS1E_S1E_jjS1G_bEUljE0_EEESZ_S10_S11_S18_S1C_S1E_T6_T7_T9_mT8_S1G_bDpT10_ENKUlT_T0_E_clISt17integral_constantIbLb1EES1U_EEDaS1P_S1Q_EUlS1P_E_NS1_11comp_targetILNS1_3genE3ELNS1_11target_archE908ELNS1_3gpuE7ELNS1_3repE0EEENS1_30default_config_static_selectorELNS0_4arch9wavefront6targetE0EEEvS12_.numbered_sgpr, 0
	.set _ZN7rocprim17ROCPRIM_400000_NS6detail17trampoline_kernelINS0_13select_configILj256ELj13ELNS0_17block_load_methodE3ELS4_3ELS4_3ELNS0_20block_scan_algorithmE0ELj4294967295EEENS1_25partition_config_selectorILNS1_17partition_subalgoE4EjNS0_10empty_typeEbEEZZNS1_14partition_implILS8_4ELb0ES6_15HIP_vector_typeIjLj2EENS0_17counting_iteratorIjlEEPS9_SG_NS0_5tupleIJPjSI_NS0_16reverse_iteratorISI_EEEEENSH_IJSG_SG_SG_EEES9_SI_JZNS1_25segmented_radix_sort_implINS0_14default_configELb1EPKdPdPKlPlN2at6native12_GLOBAL__N_18offset_tEEE10hipError_tPvRmT1_PNSt15iterator_traitsIS12_E10value_typeET2_T3_PNS13_IS18_E10value_typeET4_jRbjT5_S1E_jjP12ihipStream_tbEUljE_ZNSN_ISO_Lb1ESQ_SR_ST_SU_SY_EESZ_S10_S11_S12_S16_S17_S18_S1B_S1C_jS1D_jS1E_S1E_jjS1G_bEUljE0_EEESZ_S10_S11_S18_S1C_S1E_T6_T7_T9_mT8_S1G_bDpT10_ENKUlT_T0_E_clISt17integral_constantIbLb1EES1U_EEDaS1P_S1Q_EUlS1P_E_NS1_11comp_targetILNS1_3genE3ELNS1_11target_archE908ELNS1_3gpuE7ELNS1_3repE0EEENS1_30default_config_static_selectorELNS0_4arch9wavefront6targetE0EEEvS12_.num_named_barrier, 0
	.set _ZN7rocprim17ROCPRIM_400000_NS6detail17trampoline_kernelINS0_13select_configILj256ELj13ELNS0_17block_load_methodE3ELS4_3ELS4_3ELNS0_20block_scan_algorithmE0ELj4294967295EEENS1_25partition_config_selectorILNS1_17partition_subalgoE4EjNS0_10empty_typeEbEEZZNS1_14partition_implILS8_4ELb0ES6_15HIP_vector_typeIjLj2EENS0_17counting_iteratorIjlEEPS9_SG_NS0_5tupleIJPjSI_NS0_16reverse_iteratorISI_EEEEENSH_IJSG_SG_SG_EEES9_SI_JZNS1_25segmented_radix_sort_implINS0_14default_configELb1EPKdPdPKlPlN2at6native12_GLOBAL__N_18offset_tEEE10hipError_tPvRmT1_PNSt15iterator_traitsIS12_E10value_typeET2_T3_PNS13_IS18_E10value_typeET4_jRbjT5_S1E_jjP12ihipStream_tbEUljE_ZNSN_ISO_Lb1ESQ_SR_ST_SU_SY_EESZ_S10_S11_S12_S16_S17_S18_S1B_S1C_jS1D_jS1E_S1E_jjS1G_bEUljE0_EEESZ_S10_S11_S18_S1C_S1E_T6_T7_T9_mT8_S1G_bDpT10_ENKUlT_T0_E_clISt17integral_constantIbLb1EES1U_EEDaS1P_S1Q_EUlS1P_E_NS1_11comp_targetILNS1_3genE3ELNS1_11target_archE908ELNS1_3gpuE7ELNS1_3repE0EEENS1_30default_config_static_selectorELNS0_4arch9wavefront6targetE0EEEvS12_.private_seg_size, 0
	.set _ZN7rocprim17ROCPRIM_400000_NS6detail17trampoline_kernelINS0_13select_configILj256ELj13ELNS0_17block_load_methodE3ELS4_3ELS4_3ELNS0_20block_scan_algorithmE0ELj4294967295EEENS1_25partition_config_selectorILNS1_17partition_subalgoE4EjNS0_10empty_typeEbEEZZNS1_14partition_implILS8_4ELb0ES6_15HIP_vector_typeIjLj2EENS0_17counting_iteratorIjlEEPS9_SG_NS0_5tupleIJPjSI_NS0_16reverse_iteratorISI_EEEEENSH_IJSG_SG_SG_EEES9_SI_JZNS1_25segmented_radix_sort_implINS0_14default_configELb1EPKdPdPKlPlN2at6native12_GLOBAL__N_18offset_tEEE10hipError_tPvRmT1_PNSt15iterator_traitsIS12_E10value_typeET2_T3_PNS13_IS18_E10value_typeET4_jRbjT5_S1E_jjP12ihipStream_tbEUljE_ZNSN_ISO_Lb1ESQ_SR_ST_SU_SY_EESZ_S10_S11_S12_S16_S17_S18_S1B_S1C_jS1D_jS1E_S1E_jjS1G_bEUljE0_EEESZ_S10_S11_S18_S1C_S1E_T6_T7_T9_mT8_S1G_bDpT10_ENKUlT_T0_E_clISt17integral_constantIbLb1EES1U_EEDaS1P_S1Q_EUlS1P_E_NS1_11comp_targetILNS1_3genE3ELNS1_11target_archE908ELNS1_3gpuE7ELNS1_3repE0EEENS1_30default_config_static_selectorELNS0_4arch9wavefront6targetE0EEEvS12_.uses_vcc, 0
	.set _ZN7rocprim17ROCPRIM_400000_NS6detail17trampoline_kernelINS0_13select_configILj256ELj13ELNS0_17block_load_methodE3ELS4_3ELS4_3ELNS0_20block_scan_algorithmE0ELj4294967295EEENS1_25partition_config_selectorILNS1_17partition_subalgoE4EjNS0_10empty_typeEbEEZZNS1_14partition_implILS8_4ELb0ES6_15HIP_vector_typeIjLj2EENS0_17counting_iteratorIjlEEPS9_SG_NS0_5tupleIJPjSI_NS0_16reverse_iteratorISI_EEEEENSH_IJSG_SG_SG_EEES9_SI_JZNS1_25segmented_radix_sort_implINS0_14default_configELb1EPKdPdPKlPlN2at6native12_GLOBAL__N_18offset_tEEE10hipError_tPvRmT1_PNSt15iterator_traitsIS12_E10value_typeET2_T3_PNS13_IS18_E10value_typeET4_jRbjT5_S1E_jjP12ihipStream_tbEUljE_ZNSN_ISO_Lb1ESQ_SR_ST_SU_SY_EESZ_S10_S11_S12_S16_S17_S18_S1B_S1C_jS1D_jS1E_S1E_jjS1G_bEUljE0_EEESZ_S10_S11_S18_S1C_S1E_T6_T7_T9_mT8_S1G_bDpT10_ENKUlT_T0_E_clISt17integral_constantIbLb1EES1U_EEDaS1P_S1Q_EUlS1P_E_NS1_11comp_targetILNS1_3genE3ELNS1_11target_archE908ELNS1_3gpuE7ELNS1_3repE0EEENS1_30default_config_static_selectorELNS0_4arch9wavefront6targetE0EEEvS12_.uses_flat_scratch, 0
	.set _ZN7rocprim17ROCPRIM_400000_NS6detail17trampoline_kernelINS0_13select_configILj256ELj13ELNS0_17block_load_methodE3ELS4_3ELS4_3ELNS0_20block_scan_algorithmE0ELj4294967295EEENS1_25partition_config_selectorILNS1_17partition_subalgoE4EjNS0_10empty_typeEbEEZZNS1_14partition_implILS8_4ELb0ES6_15HIP_vector_typeIjLj2EENS0_17counting_iteratorIjlEEPS9_SG_NS0_5tupleIJPjSI_NS0_16reverse_iteratorISI_EEEEENSH_IJSG_SG_SG_EEES9_SI_JZNS1_25segmented_radix_sort_implINS0_14default_configELb1EPKdPdPKlPlN2at6native12_GLOBAL__N_18offset_tEEE10hipError_tPvRmT1_PNSt15iterator_traitsIS12_E10value_typeET2_T3_PNS13_IS18_E10value_typeET4_jRbjT5_S1E_jjP12ihipStream_tbEUljE_ZNSN_ISO_Lb1ESQ_SR_ST_SU_SY_EESZ_S10_S11_S12_S16_S17_S18_S1B_S1C_jS1D_jS1E_S1E_jjS1G_bEUljE0_EEESZ_S10_S11_S18_S1C_S1E_T6_T7_T9_mT8_S1G_bDpT10_ENKUlT_T0_E_clISt17integral_constantIbLb1EES1U_EEDaS1P_S1Q_EUlS1P_E_NS1_11comp_targetILNS1_3genE3ELNS1_11target_archE908ELNS1_3gpuE7ELNS1_3repE0EEENS1_30default_config_static_selectorELNS0_4arch9wavefront6targetE0EEEvS12_.has_dyn_sized_stack, 0
	.set _ZN7rocprim17ROCPRIM_400000_NS6detail17trampoline_kernelINS0_13select_configILj256ELj13ELNS0_17block_load_methodE3ELS4_3ELS4_3ELNS0_20block_scan_algorithmE0ELj4294967295EEENS1_25partition_config_selectorILNS1_17partition_subalgoE4EjNS0_10empty_typeEbEEZZNS1_14partition_implILS8_4ELb0ES6_15HIP_vector_typeIjLj2EENS0_17counting_iteratorIjlEEPS9_SG_NS0_5tupleIJPjSI_NS0_16reverse_iteratorISI_EEEEENSH_IJSG_SG_SG_EEES9_SI_JZNS1_25segmented_radix_sort_implINS0_14default_configELb1EPKdPdPKlPlN2at6native12_GLOBAL__N_18offset_tEEE10hipError_tPvRmT1_PNSt15iterator_traitsIS12_E10value_typeET2_T3_PNS13_IS18_E10value_typeET4_jRbjT5_S1E_jjP12ihipStream_tbEUljE_ZNSN_ISO_Lb1ESQ_SR_ST_SU_SY_EESZ_S10_S11_S12_S16_S17_S18_S1B_S1C_jS1D_jS1E_S1E_jjS1G_bEUljE0_EEESZ_S10_S11_S18_S1C_S1E_T6_T7_T9_mT8_S1G_bDpT10_ENKUlT_T0_E_clISt17integral_constantIbLb1EES1U_EEDaS1P_S1Q_EUlS1P_E_NS1_11comp_targetILNS1_3genE3ELNS1_11target_archE908ELNS1_3gpuE7ELNS1_3repE0EEENS1_30default_config_static_selectorELNS0_4arch9wavefront6targetE0EEEvS12_.has_recursion, 0
	.set _ZN7rocprim17ROCPRIM_400000_NS6detail17trampoline_kernelINS0_13select_configILj256ELj13ELNS0_17block_load_methodE3ELS4_3ELS4_3ELNS0_20block_scan_algorithmE0ELj4294967295EEENS1_25partition_config_selectorILNS1_17partition_subalgoE4EjNS0_10empty_typeEbEEZZNS1_14partition_implILS8_4ELb0ES6_15HIP_vector_typeIjLj2EENS0_17counting_iteratorIjlEEPS9_SG_NS0_5tupleIJPjSI_NS0_16reverse_iteratorISI_EEEEENSH_IJSG_SG_SG_EEES9_SI_JZNS1_25segmented_radix_sort_implINS0_14default_configELb1EPKdPdPKlPlN2at6native12_GLOBAL__N_18offset_tEEE10hipError_tPvRmT1_PNSt15iterator_traitsIS12_E10value_typeET2_T3_PNS13_IS18_E10value_typeET4_jRbjT5_S1E_jjP12ihipStream_tbEUljE_ZNSN_ISO_Lb1ESQ_SR_ST_SU_SY_EESZ_S10_S11_S12_S16_S17_S18_S1B_S1C_jS1D_jS1E_S1E_jjS1G_bEUljE0_EEESZ_S10_S11_S18_S1C_S1E_T6_T7_T9_mT8_S1G_bDpT10_ENKUlT_T0_E_clISt17integral_constantIbLb1EES1U_EEDaS1P_S1Q_EUlS1P_E_NS1_11comp_targetILNS1_3genE3ELNS1_11target_archE908ELNS1_3gpuE7ELNS1_3repE0EEENS1_30default_config_static_selectorELNS0_4arch9wavefront6targetE0EEEvS12_.has_indirect_call, 0
	.section	.AMDGPU.csdata,"",@progbits
; Kernel info:
; codeLenInByte = 0
; TotalNumSgprs: 0
; NumVgprs: 0
; ScratchSize: 0
; MemoryBound: 0
; FloatMode: 240
; IeeeMode: 1
; LDSByteSize: 0 bytes/workgroup (compile time only)
; SGPRBlocks: 0
; VGPRBlocks: 0
; NumSGPRsForWavesPerEU: 1
; NumVGPRsForWavesPerEU: 1
; Occupancy: 16
; WaveLimiterHint : 0
; COMPUTE_PGM_RSRC2:SCRATCH_EN: 0
; COMPUTE_PGM_RSRC2:USER_SGPR: 6
; COMPUTE_PGM_RSRC2:TRAP_HANDLER: 0
; COMPUTE_PGM_RSRC2:TGID_X_EN: 1
; COMPUTE_PGM_RSRC2:TGID_Y_EN: 0
; COMPUTE_PGM_RSRC2:TGID_Z_EN: 0
; COMPUTE_PGM_RSRC2:TIDIG_COMP_CNT: 0
	.section	.text._ZN7rocprim17ROCPRIM_400000_NS6detail17trampoline_kernelINS0_13select_configILj256ELj13ELNS0_17block_load_methodE3ELS4_3ELS4_3ELNS0_20block_scan_algorithmE0ELj4294967295EEENS1_25partition_config_selectorILNS1_17partition_subalgoE4EjNS0_10empty_typeEbEEZZNS1_14partition_implILS8_4ELb0ES6_15HIP_vector_typeIjLj2EENS0_17counting_iteratorIjlEEPS9_SG_NS0_5tupleIJPjSI_NS0_16reverse_iteratorISI_EEEEENSH_IJSG_SG_SG_EEES9_SI_JZNS1_25segmented_radix_sort_implINS0_14default_configELb1EPKdPdPKlPlN2at6native12_GLOBAL__N_18offset_tEEE10hipError_tPvRmT1_PNSt15iterator_traitsIS12_E10value_typeET2_T3_PNS13_IS18_E10value_typeET4_jRbjT5_S1E_jjP12ihipStream_tbEUljE_ZNSN_ISO_Lb1ESQ_SR_ST_SU_SY_EESZ_S10_S11_S12_S16_S17_S18_S1B_S1C_jS1D_jS1E_S1E_jjS1G_bEUljE0_EEESZ_S10_S11_S18_S1C_S1E_T6_T7_T9_mT8_S1G_bDpT10_ENKUlT_T0_E_clISt17integral_constantIbLb1EES1U_EEDaS1P_S1Q_EUlS1P_E_NS1_11comp_targetILNS1_3genE2ELNS1_11target_archE906ELNS1_3gpuE6ELNS1_3repE0EEENS1_30default_config_static_selectorELNS0_4arch9wavefront6targetE0EEEvS12_,"axG",@progbits,_ZN7rocprim17ROCPRIM_400000_NS6detail17trampoline_kernelINS0_13select_configILj256ELj13ELNS0_17block_load_methodE3ELS4_3ELS4_3ELNS0_20block_scan_algorithmE0ELj4294967295EEENS1_25partition_config_selectorILNS1_17partition_subalgoE4EjNS0_10empty_typeEbEEZZNS1_14partition_implILS8_4ELb0ES6_15HIP_vector_typeIjLj2EENS0_17counting_iteratorIjlEEPS9_SG_NS0_5tupleIJPjSI_NS0_16reverse_iteratorISI_EEEEENSH_IJSG_SG_SG_EEES9_SI_JZNS1_25segmented_radix_sort_implINS0_14default_configELb1EPKdPdPKlPlN2at6native12_GLOBAL__N_18offset_tEEE10hipError_tPvRmT1_PNSt15iterator_traitsIS12_E10value_typeET2_T3_PNS13_IS18_E10value_typeET4_jRbjT5_S1E_jjP12ihipStream_tbEUljE_ZNSN_ISO_Lb1ESQ_SR_ST_SU_SY_EESZ_S10_S11_S12_S16_S17_S18_S1B_S1C_jS1D_jS1E_S1E_jjS1G_bEUljE0_EEESZ_S10_S11_S18_S1C_S1E_T6_T7_T9_mT8_S1G_bDpT10_ENKUlT_T0_E_clISt17integral_constantIbLb1EES1U_EEDaS1P_S1Q_EUlS1P_E_NS1_11comp_targetILNS1_3genE2ELNS1_11target_archE906ELNS1_3gpuE6ELNS1_3repE0EEENS1_30default_config_static_selectorELNS0_4arch9wavefront6targetE0EEEvS12_,comdat
	.globl	_ZN7rocprim17ROCPRIM_400000_NS6detail17trampoline_kernelINS0_13select_configILj256ELj13ELNS0_17block_load_methodE3ELS4_3ELS4_3ELNS0_20block_scan_algorithmE0ELj4294967295EEENS1_25partition_config_selectorILNS1_17partition_subalgoE4EjNS0_10empty_typeEbEEZZNS1_14partition_implILS8_4ELb0ES6_15HIP_vector_typeIjLj2EENS0_17counting_iteratorIjlEEPS9_SG_NS0_5tupleIJPjSI_NS0_16reverse_iteratorISI_EEEEENSH_IJSG_SG_SG_EEES9_SI_JZNS1_25segmented_radix_sort_implINS0_14default_configELb1EPKdPdPKlPlN2at6native12_GLOBAL__N_18offset_tEEE10hipError_tPvRmT1_PNSt15iterator_traitsIS12_E10value_typeET2_T3_PNS13_IS18_E10value_typeET4_jRbjT5_S1E_jjP12ihipStream_tbEUljE_ZNSN_ISO_Lb1ESQ_SR_ST_SU_SY_EESZ_S10_S11_S12_S16_S17_S18_S1B_S1C_jS1D_jS1E_S1E_jjS1G_bEUljE0_EEESZ_S10_S11_S18_S1C_S1E_T6_T7_T9_mT8_S1G_bDpT10_ENKUlT_T0_E_clISt17integral_constantIbLb1EES1U_EEDaS1P_S1Q_EUlS1P_E_NS1_11comp_targetILNS1_3genE2ELNS1_11target_archE906ELNS1_3gpuE6ELNS1_3repE0EEENS1_30default_config_static_selectorELNS0_4arch9wavefront6targetE0EEEvS12_ ; -- Begin function _ZN7rocprim17ROCPRIM_400000_NS6detail17trampoline_kernelINS0_13select_configILj256ELj13ELNS0_17block_load_methodE3ELS4_3ELS4_3ELNS0_20block_scan_algorithmE0ELj4294967295EEENS1_25partition_config_selectorILNS1_17partition_subalgoE4EjNS0_10empty_typeEbEEZZNS1_14partition_implILS8_4ELb0ES6_15HIP_vector_typeIjLj2EENS0_17counting_iteratorIjlEEPS9_SG_NS0_5tupleIJPjSI_NS0_16reverse_iteratorISI_EEEEENSH_IJSG_SG_SG_EEES9_SI_JZNS1_25segmented_radix_sort_implINS0_14default_configELb1EPKdPdPKlPlN2at6native12_GLOBAL__N_18offset_tEEE10hipError_tPvRmT1_PNSt15iterator_traitsIS12_E10value_typeET2_T3_PNS13_IS18_E10value_typeET4_jRbjT5_S1E_jjP12ihipStream_tbEUljE_ZNSN_ISO_Lb1ESQ_SR_ST_SU_SY_EESZ_S10_S11_S12_S16_S17_S18_S1B_S1C_jS1D_jS1E_S1E_jjS1G_bEUljE0_EEESZ_S10_S11_S18_S1C_S1E_T6_T7_T9_mT8_S1G_bDpT10_ENKUlT_T0_E_clISt17integral_constantIbLb1EES1U_EEDaS1P_S1Q_EUlS1P_E_NS1_11comp_targetILNS1_3genE2ELNS1_11target_archE906ELNS1_3gpuE6ELNS1_3repE0EEENS1_30default_config_static_selectorELNS0_4arch9wavefront6targetE0EEEvS12_
	.p2align	8
	.type	_ZN7rocprim17ROCPRIM_400000_NS6detail17trampoline_kernelINS0_13select_configILj256ELj13ELNS0_17block_load_methodE3ELS4_3ELS4_3ELNS0_20block_scan_algorithmE0ELj4294967295EEENS1_25partition_config_selectorILNS1_17partition_subalgoE4EjNS0_10empty_typeEbEEZZNS1_14partition_implILS8_4ELb0ES6_15HIP_vector_typeIjLj2EENS0_17counting_iteratorIjlEEPS9_SG_NS0_5tupleIJPjSI_NS0_16reverse_iteratorISI_EEEEENSH_IJSG_SG_SG_EEES9_SI_JZNS1_25segmented_radix_sort_implINS0_14default_configELb1EPKdPdPKlPlN2at6native12_GLOBAL__N_18offset_tEEE10hipError_tPvRmT1_PNSt15iterator_traitsIS12_E10value_typeET2_T3_PNS13_IS18_E10value_typeET4_jRbjT5_S1E_jjP12ihipStream_tbEUljE_ZNSN_ISO_Lb1ESQ_SR_ST_SU_SY_EESZ_S10_S11_S12_S16_S17_S18_S1B_S1C_jS1D_jS1E_S1E_jjS1G_bEUljE0_EEESZ_S10_S11_S18_S1C_S1E_T6_T7_T9_mT8_S1G_bDpT10_ENKUlT_T0_E_clISt17integral_constantIbLb1EES1U_EEDaS1P_S1Q_EUlS1P_E_NS1_11comp_targetILNS1_3genE2ELNS1_11target_archE906ELNS1_3gpuE6ELNS1_3repE0EEENS1_30default_config_static_selectorELNS0_4arch9wavefront6targetE0EEEvS12_,@function
_ZN7rocprim17ROCPRIM_400000_NS6detail17trampoline_kernelINS0_13select_configILj256ELj13ELNS0_17block_load_methodE3ELS4_3ELS4_3ELNS0_20block_scan_algorithmE0ELj4294967295EEENS1_25partition_config_selectorILNS1_17partition_subalgoE4EjNS0_10empty_typeEbEEZZNS1_14partition_implILS8_4ELb0ES6_15HIP_vector_typeIjLj2EENS0_17counting_iteratorIjlEEPS9_SG_NS0_5tupleIJPjSI_NS0_16reverse_iteratorISI_EEEEENSH_IJSG_SG_SG_EEES9_SI_JZNS1_25segmented_radix_sort_implINS0_14default_configELb1EPKdPdPKlPlN2at6native12_GLOBAL__N_18offset_tEEE10hipError_tPvRmT1_PNSt15iterator_traitsIS12_E10value_typeET2_T3_PNS13_IS18_E10value_typeET4_jRbjT5_S1E_jjP12ihipStream_tbEUljE_ZNSN_ISO_Lb1ESQ_SR_ST_SU_SY_EESZ_S10_S11_S12_S16_S17_S18_S1B_S1C_jS1D_jS1E_S1E_jjS1G_bEUljE0_EEESZ_S10_S11_S18_S1C_S1E_T6_T7_T9_mT8_S1G_bDpT10_ENKUlT_T0_E_clISt17integral_constantIbLb1EES1U_EEDaS1P_S1Q_EUlS1P_E_NS1_11comp_targetILNS1_3genE2ELNS1_11target_archE906ELNS1_3gpuE6ELNS1_3repE0EEENS1_30default_config_static_selectorELNS0_4arch9wavefront6targetE0EEEvS12_: ; @_ZN7rocprim17ROCPRIM_400000_NS6detail17trampoline_kernelINS0_13select_configILj256ELj13ELNS0_17block_load_methodE3ELS4_3ELS4_3ELNS0_20block_scan_algorithmE0ELj4294967295EEENS1_25partition_config_selectorILNS1_17partition_subalgoE4EjNS0_10empty_typeEbEEZZNS1_14partition_implILS8_4ELb0ES6_15HIP_vector_typeIjLj2EENS0_17counting_iteratorIjlEEPS9_SG_NS0_5tupleIJPjSI_NS0_16reverse_iteratorISI_EEEEENSH_IJSG_SG_SG_EEES9_SI_JZNS1_25segmented_radix_sort_implINS0_14default_configELb1EPKdPdPKlPlN2at6native12_GLOBAL__N_18offset_tEEE10hipError_tPvRmT1_PNSt15iterator_traitsIS12_E10value_typeET2_T3_PNS13_IS18_E10value_typeET4_jRbjT5_S1E_jjP12ihipStream_tbEUljE_ZNSN_ISO_Lb1ESQ_SR_ST_SU_SY_EESZ_S10_S11_S12_S16_S17_S18_S1B_S1C_jS1D_jS1E_S1E_jjS1G_bEUljE0_EEESZ_S10_S11_S18_S1C_S1E_T6_T7_T9_mT8_S1G_bDpT10_ENKUlT_T0_E_clISt17integral_constantIbLb1EES1U_EEDaS1P_S1Q_EUlS1P_E_NS1_11comp_targetILNS1_3genE2ELNS1_11target_archE906ELNS1_3gpuE6ELNS1_3repE0EEENS1_30default_config_static_selectorELNS0_4arch9wavefront6targetE0EEEvS12_
; %bb.0:
	.section	.rodata,"a",@progbits
	.p2align	6, 0x0
	.amdhsa_kernel _ZN7rocprim17ROCPRIM_400000_NS6detail17trampoline_kernelINS0_13select_configILj256ELj13ELNS0_17block_load_methodE3ELS4_3ELS4_3ELNS0_20block_scan_algorithmE0ELj4294967295EEENS1_25partition_config_selectorILNS1_17partition_subalgoE4EjNS0_10empty_typeEbEEZZNS1_14partition_implILS8_4ELb0ES6_15HIP_vector_typeIjLj2EENS0_17counting_iteratorIjlEEPS9_SG_NS0_5tupleIJPjSI_NS0_16reverse_iteratorISI_EEEEENSH_IJSG_SG_SG_EEES9_SI_JZNS1_25segmented_radix_sort_implINS0_14default_configELb1EPKdPdPKlPlN2at6native12_GLOBAL__N_18offset_tEEE10hipError_tPvRmT1_PNSt15iterator_traitsIS12_E10value_typeET2_T3_PNS13_IS18_E10value_typeET4_jRbjT5_S1E_jjP12ihipStream_tbEUljE_ZNSN_ISO_Lb1ESQ_SR_ST_SU_SY_EESZ_S10_S11_S12_S16_S17_S18_S1B_S1C_jS1D_jS1E_S1E_jjS1G_bEUljE0_EEESZ_S10_S11_S18_S1C_S1E_T6_T7_T9_mT8_S1G_bDpT10_ENKUlT_T0_E_clISt17integral_constantIbLb1EES1U_EEDaS1P_S1Q_EUlS1P_E_NS1_11comp_targetILNS1_3genE2ELNS1_11target_archE906ELNS1_3gpuE6ELNS1_3repE0EEENS1_30default_config_static_selectorELNS0_4arch9wavefront6targetE0EEEvS12_
		.amdhsa_group_segment_fixed_size 0
		.amdhsa_private_segment_fixed_size 0
		.amdhsa_kernarg_size 184
		.amdhsa_user_sgpr_count 6
		.amdhsa_user_sgpr_private_segment_buffer 1
		.amdhsa_user_sgpr_dispatch_ptr 0
		.amdhsa_user_sgpr_queue_ptr 0
		.amdhsa_user_sgpr_kernarg_segment_ptr 1
		.amdhsa_user_sgpr_dispatch_id 0
		.amdhsa_user_sgpr_flat_scratch_init 0
		.amdhsa_user_sgpr_private_segment_size 0
		.amdhsa_wavefront_size32 1
		.amdhsa_uses_dynamic_stack 0
		.amdhsa_system_sgpr_private_segment_wavefront_offset 0
		.amdhsa_system_sgpr_workgroup_id_x 1
		.amdhsa_system_sgpr_workgroup_id_y 0
		.amdhsa_system_sgpr_workgroup_id_z 0
		.amdhsa_system_sgpr_workgroup_info 0
		.amdhsa_system_vgpr_workitem_id 0
		.amdhsa_next_free_vgpr 1
		.amdhsa_next_free_sgpr 1
		.amdhsa_reserve_vcc 0
		.amdhsa_reserve_flat_scratch 0
		.amdhsa_float_round_mode_32 0
		.amdhsa_float_round_mode_16_64 0
		.amdhsa_float_denorm_mode_32 3
		.amdhsa_float_denorm_mode_16_64 3
		.amdhsa_dx10_clamp 1
		.amdhsa_ieee_mode 1
		.amdhsa_fp16_overflow 0
		.amdhsa_workgroup_processor_mode 1
		.amdhsa_memory_ordered 1
		.amdhsa_forward_progress 1
		.amdhsa_shared_vgpr_count 0
		.amdhsa_exception_fp_ieee_invalid_op 0
		.amdhsa_exception_fp_denorm_src 0
		.amdhsa_exception_fp_ieee_div_zero 0
		.amdhsa_exception_fp_ieee_overflow 0
		.amdhsa_exception_fp_ieee_underflow 0
		.amdhsa_exception_fp_ieee_inexact 0
		.amdhsa_exception_int_div_zero 0
	.end_amdhsa_kernel
	.section	.text._ZN7rocprim17ROCPRIM_400000_NS6detail17trampoline_kernelINS0_13select_configILj256ELj13ELNS0_17block_load_methodE3ELS4_3ELS4_3ELNS0_20block_scan_algorithmE0ELj4294967295EEENS1_25partition_config_selectorILNS1_17partition_subalgoE4EjNS0_10empty_typeEbEEZZNS1_14partition_implILS8_4ELb0ES6_15HIP_vector_typeIjLj2EENS0_17counting_iteratorIjlEEPS9_SG_NS0_5tupleIJPjSI_NS0_16reverse_iteratorISI_EEEEENSH_IJSG_SG_SG_EEES9_SI_JZNS1_25segmented_radix_sort_implINS0_14default_configELb1EPKdPdPKlPlN2at6native12_GLOBAL__N_18offset_tEEE10hipError_tPvRmT1_PNSt15iterator_traitsIS12_E10value_typeET2_T3_PNS13_IS18_E10value_typeET4_jRbjT5_S1E_jjP12ihipStream_tbEUljE_ZNSN_ISO_Lb1ESQ_SR_ST_SU_SY_EESZ_S10_S11_S12_S16_S17_S18_S1B_S1C_jS1D_jS1E_S1E_jjS1G_bEUljE0_EEESZ_S10_S11_S18_S1C_S1E_T6_T7_T9_mT8_S1G_bDpT10_ENKUlT_T0_E_clISt17integral_constantIbLb1EES1U_EEDaS1P_S1Q_EUlS1P_E_NS1_11comp_targetILNS1_3genE2ELNS1_11target_archE906ELNS1_3gpuE6ELNS1_3repE0EEENS1_30default_config_static_selectorELNS0_4arch9wavefront6targetE0EEEvS12_,"axG",@progbits,_ZN7rocprim17ROCPRIM_400000_NS6detail17trampoline_kernelINS0_13select_configILj256ELj13ELNS0_17block_load_methodE3ELS4_3ELS4_3ELNS0_20block_scan_algorithmE0ELj4294967295EEENS1_25partition_config_selectorILNS1_17partition_subalgoE4EjNS0_10empty_typeEbEEZZNS1_14partition_implILS8_4ELb0ES6_15HIP_vector_typeIjLj2EENS0_17counting_iteratorIjlEEPS9_SG_NS0_5tupleIJPjSI_NS0_16reverse_iteratorISI_EEEEENSH_IJSG_SG_SG_EEES9_SI_JZNS1_25segmented_radix_sort_implINS0_14default_configELb1EPKdPdPKlPlN2at6native12_GLOBAL__N_18offset_tEEE10hipError_tPvRmT1_PNSt15iterator_traitsIS12_E10value_typeET2_T3_PNS13_IS18_E10value_typeET4_jRbjT5_S1E_jjP12ihipStream_tbEUljE_ZNSN_ISO_Lb1ESQ_SR_ST_SU_SY_EESZ_S10_S11_S12_S16_S17_S18_S1B_S1C_jS1D_jS1E_S1E_jjS1G_bEUljE0_EEESZ_S10_S11_S18_S1C_S1E_T6_T7_T9_mT8_S1G_bDpT10_ENKUlT_T0_E_clISt17integral_constantIbLb1EES1U_EEDaS1P_S1Q_EUlS1P_E_NS1_11comp_targetILNS1_3genE2ELNS1_11target_archE906ELNS1_3gpuE6ELNS1_3repE0EEENS1_30default_config_static_selectorELNS0_4arch9wavefront6targetE0EEEvS12_,comdat
.Lfunc_end1058:
	.size	_ZN7rocprim17ROCPRIM_400000_NS6detail17trampoline_kernelINS0_13select_configILj256ELj13ELNS0_17block_load_methodE3ELS4_3ELS4_3ELNS0_20block_scan_algorithmE0ELj4294967295EEENS1_25partition_config_selectorILNS1_17partition_subalgoE4EjNS0_10empty_typeEbEEZZNS1_14partition_implILS8_4ELb0ES6_15HIP_vector_typeIjLj2EENS0_17counting_iteratorIjlEEPS9_SG_NS0_5tupleIJPjSI_NS0_16reverse_iteratorISI_EEEEENSH_IJSG_SG_SG_EEES9_SI_JZNS1_25segmented_radix_sort_implINS0_14default_configELb1EPKdPdPKlPlN2at6native12_GLOBAL__N_18offset_tEEE10hipError_tPvRmT1_PNSt15iterator_traitsIS12_E10value_typeET2_T3_PNS13_IS18_E10value_typeET4_jRbjT5_S1E_jjP12ihipStream_tbEUljE_ZNSN_ISO_Lb1ESQ_SR_ST_SU_SY_EESZ_S10_S11_S12_S16_S17_S18_S1B_S1C_jS1D_jS1E_S1E_jjS1G_bEUljE0_EEESZ_S10_S11_S18_S1C_S1E_T6_T7_T9_mT8_S1G_bDpT10_ENKUlT_T0_E_clISt17integral_constantIbLb1EES1U_EEDaS1P_S1Q_EUlS1P_E_NS1_11comp_targetILNS1_3genE2ELNS1_11target_archE906ELNS1_3gpuE6ELNS1_3repE0EEENS1_30default_config_static_selectorELNS0_4arch9wavefront6targetE0EEEvS12_, .Lfunc_end1058-_ZN7rocprim17ROCPRIM_400000_NS6detail17trampoline_kernelINS0_13select_configILj256ELj13ELNS0_17block_load_methodE3ELS4_3ELS4_3ELNS0_20block_scan_algorithmE0ELj4294967295EEENS1_25partition_config_selectorILNS1_17partition_subalgoE4EjNS0_10empty_typeEbEEZZNS1_14partition_implILS8_4ELb0ES6_15HIP_vector_typeIjLj2EENS0_17counting_iteratorIjlEEPS9_SG_NS0_5tupleIJPjSI_NS0_16reverse_iteratorISI_EEEEENSH_IJSG_SG_SG_EEES9_SI_JZNS1_25segmented_radix_sort_implINS0_14default_configELb1EPKdPdPKlPlN2at6native12_GLOBAL__N_18offset_tEEE10hipError_tPvRmT1_PNSt15iterator_traitsIS12_E10value_typeET2_T3_PNS13_IS18_E10value_typeET4_jRbjT5_S1E_jjP12ihipStream_tbEUljE_ZNSN_ISO_Lb1ESQ_SR_ST_SU_SY_EESZ_S10_S11_S12_S16_S17_S18_S1B_S1C_jS1D_jS1E_S1E_jjS1G_bEUljE0_EEESZ_S10_S11_S18_S1C_S1E_T6_T7_T9_mT8_S1G_bDpT10_ENKUlT_T0_E_clISt17integral_constantIbLb1EES1U_EEDaS1P_S1Q_EUlS1P_E_NS1_11comp_targetILNS1_3genE2ELNS1_11target_archE906ELNS1_3gpuE6ELNS1_3repE0EEENS1_30default_config_static_selectorELNS0_4arch9wavefront6targetE0EEEvS12_
                                        ; -- End function
	.set _ZN7rocprim17ROCPRIM_400000_NS6detail17trampoline_kernelINS0_13select_configILj256ELj13ELNS0_17block_load_methodE3ELS4_3ELS4_3ELNS0_20block_scan_algorithmE0ELj4294967295EEENS1_25partition_config_selectorILNS1_17partition_subalgoE4EjNS0_10empty_typeEbEEZZNS1_14partition_implILS8_4ELb0ES6_15HIP_vector_typeIjLj2EENS0_17counting_iteratorIjlEEPS9_SG_NS0_5tupleIJPjSI_NS0_16reverse_iteratorISI_EEEEENSH_IJSG_SG_SG_EEES9_SI_JZNS1_25segmented_radix_sort_implINS0_14default_configELb1EPKdPdPKlPlN2at6native12_GLOBAL__N_18offset_tEEE10hipError_tPvRmT1_PNSt15iterator_traitsIS12_E10value_typeET2_T3_PNS13_IS18_E10value_typeET4_jRbjT5_S1E_jjP12ihipStream_tbEUljE_ZNSN_ISO_Lb1ESQ_SR_ST_SU_SY_EESZ_S10_S11_S12_S16_S17_S18_S1B_S1C_jS1D_jS1E_S1E_jjS1G_bEUljE0_EEESZ_S10_S11_S18_S1C_S1E_T6_T7_T9_mT8_S1G_bDpT10_ENKUlT_T0_E_clISt17integral_constantIbLb1EES1U_EEDaS1P_S1Q_EUlS1P_E_NS1_11comp_targetILNS1_3genE2ELNS1_11target_archE906ELNS1_3gpuE6ELNS1_3repE0EEENS1_30default_config_static_selectorELNS0_4arch9wavefront6targetE0EEEvS12_.num_vgpr, 0
	.set _ZN7rocprim17ROCPRIM_400000_NS6detail17trampoline_kernelINS0_13select_configILj256ELj13ELNS0_17block_load_methodE3ELS4_3ELS4_3ELNS0_20block_scan_algorithmE0ELj4294967295EEENS1_25partition_config_selectorILNS1_17partition_subalgoE4EjNS0_10empty_typeEbEEZZNS1_14partition_implILS8_4ELb0ES6_15HIP_vector_typeIjLj2EENS0_17counting_iteratorIjlEEPS9_SG_NS0_5tupleIJPjSI_NS0_16reverse_iteratorISI_EEEEENSH_IJSG_SG_SG_EEES9_SI_JZNS1_25segmented_radix_sort_implINS0_14default_configELb1EPKdPdPKlPlN2at6native12_GLOBAL__N_18offset_tEEE10hipError_tPvRmT1_PNSt15iterator_traitsIS12_E10value_typeET2_T3_PNS13_IS18_E10value_typeET4_jRbjT5_S1E_jjP12ihipStream_tbEUljE_ZNSN_ISO_Lb1ESQ_SR_ST_SU_SY_EESZ_S10_S11_S12_S16_S17_S18_S1B_S1C_jS1D_jS1E_S1E_jjS1G_bEUljE0_EEESZ_S10_S11_S18_S1C_S1E_T6_T7_T9_mT8_S1G_bDpT10_ENKUlT_T0_E_clISt17integral_constantIbLb1EES1U_EEDaS1P_S1Q_EUlS1P_E_NS1_11comp_targetILNS1_3genE2ELNS1_11target_archE906ELNS1_3gpuE6ELNS1_3repE0EEENS1_30default_config_static_selectorELNS0_4arch9wavefront6targetE0EEEvS12_.num_agpr, 0
	.set _ZN7rocprim17ROCPRIM_400000_NS6detail17trampoline_kernelINS0_13select_configILj256ELj13ELNS0_17block_load_methodE3ELS4_3ELS4_3ELNS0_20block_scan_algorithmE0ELj4294967295EEENS1_25partition_config_selectorILNS1_17partition_subalgoE4EjNS0_10empty_typeEbEEZZNS1_14partition_implILS8_4ELb0ES6_15HIP_vector_typeIjLj2EENS0_17counting_iteratorIjlEEPS9_SG_NS0_5tupleIJPjSI_NS0_16reverse_iteratorISI_EEEEENSH_IJSG_SG_SG_EEES9_SI_JZNS1_25segmented_radix_sort_implINS0_14default_configELb1EPKdPdPKlPlN2at6native12_GLOBAL__N_18offset_tEEE10hipError_tPvRmT1_PNSt15iterator_traitsIS12_E10value_typeET2_T3_PNS13_IS18_E10value_typeET4_jRbjT5_S1E_jjP12ihipStream_tbEUljE_ZNSN_ISO_Lb1ESQ_SR_ST_SU_SY_EESZ_S10_S11_S12_S16_S17_S18_S1B_S1C_jS1D_jS1E_S1E_jjS1G_bEUljE0_EEESZ_S10_S11_S18_S1C_S1E_T6_T7_T9_mT8_S1G_bDpT10_ENKUlT_T0_E_clISt17integral_constantIbLb1EES1U_EEDaS1P_S1Q_EUlS1P_E_NS1_11comp_targetILNS1_3genE2ELNS1_11target_archE906ELNS1_3gpuE6ELNS1_3repE0EEENS1_30default_config_static_selectorELNS0_4arch9wavefront6targetE0EEEvS12_.numbered_sgpr, 0
	.set _ZN7rocprim17ROCPRIM_400000_NS6detail17trampoline_kernelINS0_13select_configILj256ELj13ELNS0_17block_load_methodE3ELS4_3ELS4_3ELNS0_20block_scan_algorithmE0ELj4294967295EEENS1_25partition_config_selectorILNS1_17partition_subalgoE4EjNS0_10empty_typeEbEEZZNS1_14partition_implILS8_4ELb0ES6_15HIP_vector_typeIjLj2EENS0_17counting_iteratorIjlEEPS9_SG_NS0_5tupleIJPjSI_NS0_16reverse_iteratorISI_EEEEENSH_IJSG_SG_SG_EEES9_SI_JZNS1_25segmented_radix_sort_implINS0_14default_configELb1EPKdPdPKlPlN2at6native12_GLOBAL__N_18offset_tEEE10hipError_tPvRmT1_PNSt15iterator_traitsIS12_E10value_typeET2_T3_PNS13_IS18_E10value_typeET4_jRbjT5_S1E_jjP12ihipStream_tbEUljE_ZNSN_ISO_Lb1ESQ_SR_ST_SU_SY_EESZ_S10_S11_S12_S16_S17_S18_S1B_S1C_jS1D_jS1E_S1E_jjS1G_bEUljE0_EEESZ_S10_S11_S18_S1C_S1E_T6_T7_T9_mT8_S1G_bDpT10_ENKUlT_T0_E_clISt17integral_constantIbLb1EES1U_EEDaS1P_S1Q_EUlS1P_E_NS1_11comp_targetILNS1_3genE2ELNS1_11target_archE906ELNS1_3gpuE6ELNS1_3repE0EEENS1_30default_config_static_selectorELNS0_4arch9wavefront6targetE0EEEvS12_.num_named_barrier, 0
	.set _ZN7rocprim17ROCPRIM_400000_NS6detail17trampoline_kernelINS0_13select_configILj256ELj13ELNS0_17block_load_methodE3ELS4_3ELS4_3ELNS0_20block_scan_algorithmE0ELj4294967295EEENS1_25partition_config_selectorILNS1_17partition_subalgoE4EjNS0_10empty_typeEbEEZZNS1_14partition_implILS8_4ELb0ES6_15HIP_vector_typeIjLj2EENS0_17counting_iteratorIjlEEPS9_SG_NS0_5tupleIJPjSI_NS0_16reverse_iteratorISI_EEEEENSH_IJSG_SG_SG_EEES9_SI_JZNS1_25segmented_radix_sort_implINS0_14default_configELb1EPKdPdPKlPlN2at6native12_GLOBAL__N_18offset_tEEE10hipError_tPvRmT1_PNSt15iterator_traitsIS12_E10value_typeET2_T3_PNS13_IS18_E10value_typeET4_jRbjT5_S1E_jjP12ihipStream_tbEUljE_ZNSN_ISO_Lb1ESQ_SR_ST_SU_SY_EESZ_S10_S11_S12_S16_S17_S18_S1B_S1C_jS1D_jS1E_S1E_jjS1G_bEUljE0_EEESZ_S10_S11_S18_S1C_S1E_T6_T7_T9_mT8_S1G_bDpT10_ENKUlT_T0_E_clISt17integral_constantIbLb1EES1U_EEDaS1P_S1Q_EUlS1P_E_NS1_11comp_targetILNS1_3genE2ELNS1_11target_archE906ELNS1_3gpuE6ELNS1_3repE0EEENS1_30default_config_static_selectorELNS0_4arch9wavefront6targetE0EEEvS12_.private_seg_size, 0
	.set _ZN7rocprim17ROCPRIM_400000_NS6detail17trampoline_kernelINS0_13select_configILj256ELj13ELNS0_17block_load_methodE3ELS4_3ELS4_3ELNS0_20block_scan_algorithmE0ELj4294967295EEENS1_25partition_config_selectorILNS1_17partition_subalgoE4EjNS0_10empty_typeEbEEZZNS1_14partition_implILS8_4ELb0ES6_15HIP_vector_typeIjLj2EENS0_17counting_iteratorIjlEEPS9_SG_NS0_5tupleIJPjSI_NS0_16reverse_iteratorISI_EEEEENSH_IJSG_SG_SG_EEES9_SI_JZNS1_25segmented_radix_sort_implINS0_14default_configELb1EPKdPdPKlPlN2at6native12_GLOBAL__N_18offset_tEEE10hipError_tPvRmT1_PNSt15iterator_traitsIS12_E10value_typeET2_T3_PNS13_IS18_E10value_typeET4_jRbjT5_S1E_jjP12ihipStream_tbEUljE_ZNSN_ISO_Lb1ESQ_SR_ST_SU_SY_EESZ_S10_S11_S12_S16_S17_S18_S1B_S1C_jS1D_jS1E_S1E_jjS1G_bEUljE0_EEESZ_S10_S11_S18_S1C_S1E_T6_T7_T9_mT8_S1G_bDpT10_ENKUlT_T0_E_clISt17integral_constantIbLb1EES1U_EEDaS1P_S1Q_EUlS1P_E_NS1_11comp_targetILNS1_3genE2ELNS1_11target_archE906ELNS1_3gpuE6ELNS1_3repE0EEENS1_30default_config_static_selectorELNS0_4arch9wavefront6targetE0EEEvS12_.uses_vcc, 0
	.set _ZN7rocprim17ROCPRIM_400000_NS6detail17trampoline_kernelINS0_13select_configILj256ELj13ELNS0_17block_load_methodE3ELS4_3ELS4_3ELNS0_20block_scan_algorithmE0ELj4294967295EEENS1_25partition_config_selectorILNS1_17partition_subalgoE4EjNS0_10empty_typeEbEEZZNS1_14partition_implILS8_4ELb0ES6_15HIP_vector_typeIjLj2EENS0_17counting_iteratorIjlEEPS9_SG_NS0_5tupleIJPjSI_NS0_16reverse_iteratorISI_EEEEENSH_IJSG_SG_SG_EEES9_SI_JZNS1_25segmented_radix_sort_implINS0_14default_configELb1EPKdPdPKlPlN2at6native12_GLOBAL__N_18offset_tEEE10hipError_tPvRmT1_PNSt15iterator_traitsIS12_E10value_typeET2_T3_PNS13_IS18_E10value_typeET4_jRbjT5_S1E_jjP12ihipStream_tbEUljE_ZNSN_ISO_Lb1ESQ_SR_ST_SU_SY_EESZ_S10_S11_S12_S16_S17_S18_S1B_S1C_jS1D_jS1E_S1E_jjS1G_bEUljE0_EEESZ_S10_S11_S18_S1C_S1E_T6_T7_T9_mT8_S1G_bDpT10_ENKUlT_T0_E_clISt17integral_constantIbLb1EES1U_EEDaS1P_S1Q_EUlS1P_E_NS1_11comp_targetILNS1_3genE2ELNS1_11target_archE906ELNS1_3gpuE6ELNS1_3repE0EEENS1_30default_config_static_selectorELNS0_4arch9wavefront6targetE0EEEvS12_.uses_flat_scratch, 0
	.set _ZN7rocprim17ROCPRIM_400000_NS6detail17trampoline_kernelINS0_13select_configILj256ELj13ELNS0_17block_load_methodE3ELS4_3ELS4_3ELNS0_20block_scan_algorithmE0ELj4294967295EEENS1_25partition_config_selectorILNS1_17partition_subalgoE4EjNS0_10empty_typeEbEEZZNS1_14partition_implILS8_4ELb0ES6_15HIP_vector_typeIjLj2EENS0_17counting_iteratorIjlEEPS9_SG_NS0_5tupleIJPjSI_NS0_16reverse_iteratorISI_EEEEENSH_IJSG_SG_SG_EEES9_SI_JZNS1_25segmented_radix_sort_implINS0_14default_configELb1EPKdPdPKlPlN2at6native12_GLOBAL__N_18offset_tEEE10hipError_tPvRmT1_PNSt15iterator_traitsIS12_E10value_typeET2_T3_PNS13_IS18_E10value_typeET4_jRbjT5_S1E_jjP12ihipStream_tbEUljE_ZNSN_ISO_Lb1ESQ_SR_ST_SU_SY_EESZ_S10_S11_S12_S16_S17_S18_S1B_S1C_jS1D_jS1E_S1E_jjS1G_bEUljE0_EEESZ_S10_S11_S18_S1C_S1E_T6_T7_T9_mT8_S1G_bDpT10_ENKUlT_T0_E_clISt17integral_constantIbLb1EES1U_EEDaS1P_S1Q_EUlS1P_E_NS1_11comp_targetILNS1_3genE2ELNS1_11target_archE906ELNS1_3gpuE6ELNS1_3repE0EEENS1_30default_config_static_selectorELNS0_4arch9wavefront6targetE0EEEvS12_.has_dyn_sized_stack, 0
	.set _ZN7rocprim17ROCPRIM_400000_NS6detail17trampoline_kernelINS0_13select_configILj256ELj13ELNS0_17block_load_methodE3ELS4_3ELS4_3ELNS0_20block_scan_algorithmE0ELj4294967295EEENS1_25partition_config_selectorILNS1_17partition_subalgoE4EjNS0_10empty_typeEbEEZZNS1_14partition_implILS8_4ELb0ES6_15HIP_vector_typeIjLj2EENS0_17counting_iteratorIjlEEPS9_SG_NS0_5tupleIJPjSI_NS0_16reverse_iteratorISI_EEEEENSH_IJSG_SG_SG_EEES9_SI_JZNS1_25segmented_radix_sort_implINS0_14default_configELb1EPKdPdPKlPlN2at6native12_GLOBAL__N_18offset_tEEE10hipError_tPvRmT1_PNSt15iterator_traitsIS12_E10value_typeET2_T3_PNS13_IS18_E10value_typeET4_jRbjT5_S1E_jjP12ihipStream_tbEUljE_ZNSN_ISO_Lb1ESQ_SR_ST_SU_SY_EESZ_S10_S11_S12_S16_S17_S18_S1B_S1C_jS1D_jS1E_S1E_jjS1G_bEUljE0_EEESZ_S10_S11_S18_S1C_S1E_T6_T7_T9_mT8_S1G_bDpT10_ENKUlT_T0_E_clISt17integral_constantIbLb1EES1U_EEDaS1P_S1Q_EUlS1P_E_NS1_11comp_targetILNS1_3genE2ELNS1_11target_archE906ELNS1_3gpuE6ELNS1_3repE0EEENS1_30default_config_static_selectorELNS0_4arch9wavefront6targetE0EEEvS12_.has_recursion, 0
	.set _ZN7rocprim17ROCPRIM_400000_NS6detail17trampoline_kernelINS0_13select_configILj256ELj13ELNS0_17block_load_methodE3ELS4_3ELS4_3ELNS0_20block_scan_algorithmE0ELj4294967295EEENS1_25partition_config_selectorILNS1_17partition_subalgoE4EjNS0_10empty_typeEbEEZZNS1_14partition_implILS8_4ELb0ES6_15HIP_vector_typeIjLj2EENS0_17counting_iteratorIjlEEPS9_SG_NS0_5tupleIJPjSI_NS0_16reverse_iteratorISI_EEEEENSH_IJSG_SG_SG_EEES9_SI_JZNS1_25segmented_radix_sort_implINS0_14default_configELb1EPKdPdPKlPlN2at6native12_GLOBAL__N_18offset_tEEE10hipError_tPvRmT1_PNSt15iterator_traitsIS12_E10value_typeET2_T3_PNS13_IS18_E10value_typeET4_jRbjT5_S1E_jjP12ihipStream_tbEUljE_ZNSN_ISO_Lb1ESQ_SR_ST_SU_SY_EESZ_S10_S11_S12_S16_S17_S18_S1B_S1C_jS1D_jS1E_S1E_jjS1G_bEUljE0_EEESZ_S10_S11_S18_S1C_S1E_T6_T7_T9_mT8_S1G_bDpT10_ENKUlT_T0_E_clISt17integral_constantIbLb1EES1U_EEDaS1P_S1Q_EUlS1P_E_NS1_11comp_targetILNS1_3genE2ELNS1_11target_archE906ELNS1_3gpuE6ELNS1_3repE0EEENS1_30default_config_static_selectorELNS0_4arch9wavefront6targetE0EEEvS12_.has_indirect_call, 0
	.section	.AMDGPU.csdata,"",@progbits
; Kernel info:
; codeLenInByte = 0
; TotalNumSgprs: 0
; NumVgprs: 0
; ScratchSize: 0
; MemoryBound: 0
; FloatMode: 240
; IeeeMode: 1
; LDSByteSize: 0 bytes/workgroup (compile time only)
; SGPRBlocks: 0
; VGPRBlocks: 0
; NumSGPRsForWavesPerEU: 1
; NumVGPRsForWavesPerEU: 1
; Occupancy: 16
; WaveLimiterHint : 0
; COMPUTE_PGM_RSRC2:SCRATCH_EN: 0
; COMPUTE_PGM_RSRC2:USER_SGPR: 6
; COMPUTE_PGM_RSRC2:TRAP_HANDLER: 0
; COMPUTE_PGM_RSRC2:TGID_X_EN: 1
; COMPUTE_PGM_RSRC2:TGID_Y_EN: 0
; COMPUTE_PGM_RSRC2:TGID_Z_EN: 0
; COMPUTE_PGM_RSRC2:TIDIG_COMP_CNT: 0
	.section	.text._ZN7rocprim17ROCPRIM_400000_NS6detail17trampoline_kernelINS0_13select_configILj256ELj13ELNS0_17block_load_methodE3ELS4_3ELS4_3ELNS0_20block_scan_algorithmE0ELj4294967295EEENS1_25partition_config_selectorILNS1_17partition_subalgoE4EjNS0_10empty_typeEbEEZZNS1_14partition_implILS8_4ELb0ES6_15HIP_vector_typeIjLj2EENS0_17counting_iteratorIjlEEPS9_SG_NS0_5tupleIJPjSI_NS0_16reverse_iteratorISI_EEEEENSH_IJSG_SG_SG_EEES9_SI_JZNS1_25segmented_radix_sort_implINS0_14default_configELb1EPKdPdPKlPlN2at6native12_GLOBAL__N_18offset_tEEE10hipError_tPvRmT1_PNSt15iterator_traitsIS12_E10value_typeET2_T3_PNS13_IS18_E10value_typeET4_jRbjT5_S1E_jjP12ihipStream_tbEUljE_ZNSN_ISO_Lb1ESQ_SR_ST_SU_SY_EESZ_S10_S11_S12_S16_S17_S18_S1B_S1C_jS1D_jS1E_S1E_jjS1G_bEUljE0_EEESZ_S10_S11_S18_S1C_S1E_T6_T7_T9_mT8_S1G_bDpT10_ENKUlT_T0_E_clISt17integral_constantIbLb1EES1U_EEDaS1P_S1Q_EUlS1P_E_NS1_11comp_targetILNS1_3genE10ELNS1_11target_archE1200ELNS1_3gpuE4ELNS1_3repE0EEENS1_30default_config_static_selectorELNS0_4arch9wavefront6targetE0EEEvS12_,"axG",@progbits,_ZN7rocprim17ROCPRIM_400000_NS6detail17trampoline_kernelINS0_13select_configILj256ELj13ELNS0_17block_load_methodE3ELS4_3ELS4_3ELNS0_20block_scan_algorithmE0ELj4294967295EEENS1_25partition_config_selectorILNS1_17partition_subalgoE4EjNS0_10empty_typeEbEEZZNS1_14partition_implILS8_4ELb0ES6_15HIP_vector_typeIjLj2EENS0_17counting_iteratorIjlEEPS9_SG_NS0_5tupleIJPjSI_NS0_16reverse_iteratorISI_EEEEENSH_IJSG_SG_SG_EEES9_SI_JZNS1_25segmented_radix_sort_implINS0_14default_configELb1EPKdPdPKlPlN2at6native12_GLOBAL__N_18offset_tEEE10hipError_tPvRmT1_PNSt15iterator_traitsIS12_E10value_typeET2_T3_PNS13_IS18_E10value_typeET4_jRbjT5_S1E_jjP12ihipStream_tbEUljE_ZNSN_ISO_Lb1ESQ_SR_ST_SU_SY_EESZ_S10_S11_S12_S16_S17_S18_S1B_S1C_jS1D_jS1E_S1E_jjS1G_bEUljE0_EEESZ_S10_S11_S18_S1C_S1E_T6_T7_T9_mT8_S1G_bDpT10_ENKUlT_T0_E_clISt17integral_constantIbLb1EES1U_EEDaS1P_S1Q_EUlS1P_E_NS1_11comp_targetILNS1_3genE10ELNS1_11target_archE1200ELNS1_3gpuE4ELNS1_3repE0EEENS1_30default_config_static_selectorELNS0_4arch9wavefront6targetE0EEEvS12_,comdat
	.globl	_ZN7rocprim17ROCPRIM_400000_NS6detail17trampoline_kernelINS0_13select_configILj256ELj13ELNS0_17block_load_methodE3ELS4_3ELS4_3ELNS0_20block_scan_algorithmE0ELj4294967295EEENS1_25partition_config_selectorILNS1_17partition_subalgoE4EjNS0_10empty_typeEbEEZZNS1_14partition_implILS8_4ELb0ES6_15HIP_vector_typeIjLj2EENS0_17counting_iteratorIjlEEPS9_SG_NS0_5tupleIJPjSI_NS0_16reverse_iteratorISI_EEEEENSH_IJSG_SG_SG_EEES9_SI_JZNS1_25segmented_radix_sort_implINS0_14default_configELb1EPKdPdPKlPlN2at6native12_GLOBAL__N_18offset_tEEE10hipError_tPvRmT1_PNSt15iterator_traitsIS12_E10value_typeET2_T3_PNS13_IS18_E10value_typeET4_jRbjT5_S1E_jjP12ihipStream_tbEUljE_ZNSN_ISO_Lb1ESQ_SR_ST_SU_SY_EESZ_S10_S11_S12_S16_S17_S18_S1B_S1C_jS1D_jS1E_S1E_jjS1G_bEUljE0_EEESZ_S10_S11_S18_S1C_S1E_T6_T7_T9_mT8_S1G_bDpT10_ENKUlT_T0_E_clISt17integral_constantIbLb1EES1U_EEDaS1P_S1Q_EUlS1P_E_NS1_11comp_targetILNS1_3genE10ELNS1_11target_archE1200ELNS1_3gpuE4ELNS1_3repE0EEENS1_30default_config_static_selectorELNS0_4arch9wavefront6targetE0EEEvS12_ ; -- Begin function _ZN7rocprim17ROCPRIM_400000_NS6detail17trampoline_kernelINS0_13select_configILj256ELj13ELNS0_17block_load_methodE3ELS4_3ELS4_3ELNS0_20block_scan_algorithmE0ELj4294967295EEENS1_25partition_config_selectorILNS1_17partition_subalgoE4EjNS0_10empty_typeEbEEZZNS1_14partition_implILS8_4ELb0ES6_15HIP_vector_typeIjLj2EENS0_17counting_iteratorIjlEEPS9_SG_NS0_5tupleIJPjSI_NS0_16reverse_iteratorISI_EEEEENSH_IJSG_SG_SG_EEES9_SI_JZNS1_25segmented_radix_sort_implINS0_14default_configELb1EPKdPdPKlPlN2at6native12_GLOBAL__N_18offset_tEEE10hipError_tPvRmT1_PNSt15iterator_traitsIS12_E10value_typeET2_T3_PNS13_IS18_E10value_typeET4_jRbjT5_S1E_jjP12ihipStream_tbEUljE_ZNSN_ISO_Lb1ESQ_SR_ST_SU_SY_EESZ_S10_S11_S12_S16_S17_S18_S1B_S1C_jS1D_jS1E_S1E_jjS1G_bEUljE0_EEESZ_S10_S11_S18_S1C_S1E_T6_T7_T9_mT8_S1G_bDpT10_ENKUlT_T0_E_clISt17integral_constantIbLb1EES1U_EEDaS1P_S1Q_EUlS1P_E_NS1_11comp_targetILNS1_3genE10ELNS1_11target_archE1200ELNS1_3gpuE4ELNS1_3repE0EEENS1_30default_config_static_selectorELNS0_4arch9wavefront6targetE0EEEvS12_
	.p2align	8
	.type	_ZN7rocprim17ROCPRIM_400000_NS6detail17trampoline_kernelINS0_13select_configILj256ELj13ELNS0_17block_load_methodE3ELS4_3ELS4_3ELNS0_20block_scan_algorithmE0ELj4294967295EEENS1_25partition_config_selectorILNS1_17partition_subalgoE4EjNS0_10empty_typeEbEEZZNS1_14partition_implILS8_4ELb0ES6_15HIP_vector_typeIjLj2EENS0_17counting_iteratorIjlEEPS9_SG_NS0_5tupleIJPjSI_NS0_16reverse_iteratorISI_EEEEENSH_IJSG_SG_SG_EEES9_SI_JZNS1_25segmented_radix_sort_implINS0_14default_configELb1EPKdPdPKlPlN2at6native12_GLOBAL__N_18offset_tEEE10hipError_tPvRmT1_PNSt15iterator_traitsIS12_E10value_typeET2_T3_PNS13_IS18_E10value_typeET4_jRbjT5_S1E_jjP12ihipStream_tbEUljE_ZNSN_ISO_Lb1ESQ_SR_ST_SU_SY_EESZ_S10_S11_S12_S16_S17_S18_S1B_S1C_jS1D_jS1E_S1E_jjS1G_bEUljE0_EEESZ_S10_S11_S18_S1C_S1E_T6_T7_T9_mT8_S1G_bDpT10_ENKUlT_T0_E_clISt17integral_constantIbLb1EES1U_EEDaS1P_S1Q_EUlS1P_E_NS1_11comp_targetILNS1_3genE10ELNS1_11target_archE1200ELNS1_3gpuE4ELNS1_3repE0EEENS1_30default_config_static_selectorELNS0_4arch9wavefront6targetE0EEEvS12_,@function
_ZN7rocprim17ROCPRIM_400000_NS6detail17trampoline_kernelINS0_13select_configILj256ELj13ELNS0_17block_load_methodE3ELS4_3ELS4_3ELNS0_20block_scan_algorithmE0ELj4294967295EEENS1_25partition_config_selectorILNS1_17partition_subalgoE4EjNS0_10empty_typeEbEEZZNS1_14partition_implILS8_4ELb0ES6_15HIP_vector_typeIjLj2EENS0_17counting_iteratorIjlEEPS9_SG_NS0_5tupleIJPjSI_NS0_16reverse_iteratorISI_EEEEENSH_IJSG_SG_SG_EEES9_SI_JZNS1_25segmented_radix_sort_implINS0_14default_configELb1EPKdPdPKlPlN2at6native12_GLOBAL__N_18offset_tEEE10hipError_tPvRmT1_PNSt15iterator_traitsIS12_E10value_typeET2_T3_PNS13_IS18_E10value_typeET4_jRbjT5_S1E_jjP12ihipStream_tbEUljE_ZNSN_ISO_Lb1ESQ_SR_ST_SU_SY_EESZ_S10_S11_S12_S16_S17_S18_S1B_S1C_jS1D_jS1E_S1E_jjS1G_bEUljE0_EEESZ_S10_S11_S18_S1C_S1E_T6_T7_T9_mT8_S1G_bDpT10_ENKUlT_T0_E_clISt17integral_constantIbLb1EES1U_EEDaS1P_S1Q_EUlS1P_E_NS1_11comp_targetILNS1_3genE10ELNS1_11target_archE1200ELNS1_3gpuE4ELNS1_3repE0EEENS1_30default_config_static_selectorELNS0_4arch9wavefront6targetE0EEEvS12_: ; @_ZN7rocprim17ROCPRIM_400000_NS6detail17trampoline_kernelINS0_13select_configILj256ELj13ELNS0_17block_load_methodE3ELS4_3ELS4_3ELNS0_20block_scan_algorithmE0ELj4294967295EEENS1_25partition_config_selectorILNS1_17partition_subalgoE4EjNS0_10empty_typeEbEEZZNS1_14partition_implILS8_4ELb0ES6_15HIP_vector_typeIjLj2EENS0_17counting_iteratorIjlEEPS9_SG_NS0_5tupleIJPjSI_NS0_16reverse_iteratorISI_EEEEENSH_IJSG_SG_SG_EEES9_SI_JZNS1_25segmented_radix_sort_implINS0_14default_configELb1EPKdPdPKlPlN2at6native12_GLOBAL__N_18offset_tEEE10hipError_tPvRmT1_PNSt15iterator_traitsIS12_E10value_typeET2_T3_PNS13_IS18_E10value_typeET4_jRbjT5_S1E_jjP12ihipStream_tbEUljE_ZNSN_ISO_Lb1ESQ_SR_ST_SU_SY_EESZ_S10_S11_S12_S16_S17_S18_S1B_S1C_jS1D_jS1E_S1E_jjS1G_bEUljE0_EEESZ_S10_S11_S18_S1C_S1E_T6_T7_T9_mT8_S1G_bDpT10_ENKUlT_T0_E_clISt17integral_constantIbLb1EES1U_EEDaS1P_S1Q_EUlS1P_E_NS1_11comp_targetILNS1_3genE10ELNS1_11target_archE1200ELNS1_3gpuE4ELNS1_3repE0EEENS1_30default_config_static_selectorELNS0_4arch9wavefront6targetE0EEEvS12_
; %bb.0:
	.section	.rodata,"a",@progbits
	.p2align	6, 0x0
	.amdhsa_kernel _ZN7rocprim17ROCPRIM_400000_NS6detail17trampoline_kernelINS0_13select_configILj256ELj13ELNS0_17block_load_methodE3ELS4_3ELS4_3ELNS0_20block_scan_algorithmE0ELj4294967295EEENS1_25partition_config_selectorILNS1_17partition_subalgoE4EjNS0_10empty_typeEbEEZZNS1_14partition_implILS8_4ELb0ES6_15HIP_vector_typeIjLj2EENS0_17counting_iteratorIjlEEPS9_SG_NS0_5tupleIJPjSI_NS0_16reverse_iteratorISI_EEEEENSH_IJSG_SG_SG_EEES9_SI_JZNS1_25segmented_radix_sort_implINS0_14default_configELb1EPKdPdPKlPlN2at6native12_GLOBAL__N_18offset_tEEE10hipError_tPvRmT1_PNSt15iterator_traitsIS12_E10value_typeET2_T3_PNS13_IS18_E10value_typeET4_jRbjT5_S1E_jjP12ihipStream_tbEUljE_ZNSN_ISO_Lb1ESQ_SR_ST_SU_SY_EESZ_S10_S11_S12_S16_S17_S18_S1B_S1C_jS1D_jS1E_S1E_jjS1G_bEUljE0_EEESZ_S10_S11_S18_S1C_S1E_T6_T7_T9_mT8_S1G_bDpT10_ENKUlT_T0_E_clISt17integral_constantIbLb1EES1U_EEDaS1P_S1Q_EUlS1P_E_NS1_11comp_targetILNS1_3genE10ELNS1_11target_archE1200ELNS1_3gpuE4ELNS1_3repE0EEENS1_30default_config_static_selectorELNS0_4arch9wavefront6targetE0EEEvS12_
		.amdhsa_group_segment_fixed_size 0
		.amdhsa_private_segment_fixed_size 0
		.amdhsa_kernarg_size 184
		.amdhsa_user_sgpr_count 6
		.amdhsa_user_sgpr_private_segment_buffer 1
		.amdhsa_user_sgpr_dispatch_ptr 0
		.amdhsa_user_sgpr_queue_ptr 0
		.amdhsa_user_sgpr_kernarg_segment_ptr 1
		.amdhsa_user_sgpr_dispatch_id 0
		.amdhsa_user_sgpr_flat_scratch_init 0
		.amdhsa_user_sgpr_private_segment_size 0
		.amdhsa_wavefront_size32 1
		.amdhsa_uses_dynamic_stack 0
		.amdhsa_system_sgpr_private_segment_wavefront_offset 0
		.amdhsa_system_sgpr_workgroup_id_x 1
		.amdhsa_system_sgpr_workgroup_id_y 0
		.amdhsa_system_sgpr_workgroup_id_z 0
		.amdhsa_system_sgpr_workgroup_info 0
		.amdhsa_system_vgpr_workitem_id 0
		.amdhsa_next_free_vgpr 1
		.amdhsa_next_free_sgpr 1
		.amdhsa_reserve_vcc 0
		.amdhsa_reserve_flat_scratch 0
		.amdhsa_float_round_mode_32 0
		.amdhsa_float_round_mode_16_64 0
		.amdhsa_float_denorm_mode_32 3
		.amdhsa_float_denorm_mode_16_64 3
		.amdhsa_dx10_clamp 1
		.amdhsa_ieee_mode 1
		.amdhsa_fp16_overflow 0
		.amdhsa_workgroup_processor_mode 1
		.amdhsa_memory_ordered 1
		.amdhsa_forward_progress 1
		.amdhsa_shared_vgpr_count 0
		.amdhsa_exception_fp_ieee_invalid_op 0
		.amdhsa_exception_fp_denorm_src 0
		.amdhsa_exception_fp_ieee_div_zero 0
		.amdhsa_exception_fp_ieee_overflow 0
		.amdhsa_exception_fp_ieee_underflow 0
		.amdhsa_exception_fp_ieee_inexact 0
		.amdhsa_exception_int_div_zero 0
	.end_amdhsa_kernel
	.section	.text._ZN7rocprim17ROCPRIM_400000_NS6detail17trampoline_kernelINS0_13select_configILj256ELj13ELNS0_17block_load_methodE3ELS4_3ELS4_3ELNS0_20block_scan_algorithmE0ELj4294967295EEENS1_25partition_config_selectorILNS1_17partition_subalgoE4EjNS0_10empty_typeEbEEZZNS1_14partition_implILS8_4ELb0ES6_15HIP_vector_typeIjLj2EENS0_17counting_iteratorIjlEEPS9_SG_NS0_5tupleIJPjSI_NS0_16reverse_iteratorISI_EEEEENSH_IJSG_SG_SG_EEES9_SI_JZNS1_25segmented_radix_sort_implINS0_14default_configELb1EPKdPdPKlPlN2at6native12_GLOBAL__N_18offset_tEEE10hipError_tPvRmT1_PNSt15iterator_traitsIS12_E10value_typeET2_T3_PNS13_IS18_E10value_typeET4_jRbjT5_S1E_jjP12ihipStream_tbEUljE_ZNSN_ISO_Lb1ESQ_SR_ST_SU_SY_EESZ_S10_S11_S12_S16_S17_S18_S1B_S1C_jS1D_jS1E_S1E_jjS1G_bEUljE0_EEESZ_S10_S11_S18_S1C_S1E_T6_T7_T9_mT8_S1G_bDpT10_ENKUlT_T0_E_clISt17integral_constantIbLb1EES1U_EEDaS1P_S1Q_EUlS1P_E_NS1_11comp_targetILNS1_3genE10ELNS1_11target_archE1200ELNS1_3gpuE4ELNS1_3repE0EEENS1_30default_config_static_selectorELNS0_4arch9wavefront6targetE0EEEvS12_,"axG",@progbits,_ZN7rocprim17ROCPRIM_400000_NS6detail17trampoline_kernelINS0_13select_configILj256ELj13ELNS0_17block_load_methodE3ELS4_3ELS4_3ELNS0_20block_scan_algorithmE0ELj4294967295EEENS1_25partition_config_selectorILNS1_17partition_subalgoE4EjNS0_10empty_typeEbEEZZNS1_14partition_implILS8_4ELb0ES6_15HIP_vector_typeIjLj2EENS0_17counting_iteratorIjlEEPS9_SG_NS0_5tupleIJPjSI_NS0_16reverse_iteratorISI_EEEEENSH_IJSG_SG_SG_EEES9_SI_JZNS1_25segmented_radix_sort_implINS0_14default_configELb1EPKdPdPKlPlN2at6native12_GLOBAL__N_18offset_tEEE10hipError_tPvRmT1_PNSt15iterator_traitsIS12_E10value_typeET2_T3_PNS13_IS18_E10value_typeET4_jRbjT5_S1E_jjP12ihipStream_tbEUljE_ZNSN_ISO_Lb1ESQ_SR_ST_SU_SY_EESZ_S10_S11_S12_S16_S17_S18_S1B_S1C_jS1D_jS1E_S1E_jjS1G_bEUljE0_EEESZ_S10_S11_S18_S1C_S1E_T6_T7_T9_mT8_S1G_bDpT10_ENKUlT_T0_E_clISt17integral_constantIbLb1EES1U_EEDaS1P_S1Q_EUlS1P_E_NS1_11comp_targetILNS1_3genE10ELNS1_11target_archE1200ELNS1_3gpuE4ELNS1_3repE0EEENS1_30default_config_static_selectorELNS0_4arch9wavefront6targetE0EEEvS12_,comdat
.Lfunc_end1059:
	.size	_ZN7rocprim17ROCPRIM_400000_NS6detail17trampoline_kernelINS0_13select_configILj256ELj13ELNS0_17block_load_methodE3ELS4_3ELS4_3ELNS0_20block_scan_algorithmE0ELj4294967295EEENS1_25partition_config_selectorILNS1_17partition_subalgoE4EjNS0_10empty_typeEbEEZZNS1_14partition_implILS8_4ELb0ES6_15HIP_vector_typeIjLj2EENS0_17counting_iteratorIjlEEPS9_SG_NS0_5tupleIJPjSI_NS0_16reverse_iteratorISI_EEEEENSH_IJSG_SG_SG_EEES9_SI_JZNS1_25segmented_radix_sort_implINS0_14default_configELb1EPKdPdPKlPlN2at6native12_GLOBAL__N_18offset_tEEE10hipError_tPvRmT1_PNSt15iterator_traitsIS12_E10value_typeET2_T3_PNS13_IS18_E10value_typeET4_jRbjT5_S1E_jjP12ihipStream_tbEUljE_ZNSN_ISO_Lb1ESQ_SR_ST_SU_SY_EESZ_S10_S11_S12_S16_S17_S18_S1B_S1C_jS1D_jS1E_S1E_jjS1G_bEUljE0_EEESZ_S10_S11_S18_S1C_S1E_T6_T7_T9_mT8_S1G_bDpT10_ENKUlT_T0_E_clISt17integral_constantIbLb1EES1U_EEDaS1P_S1Q_EUlS1P_E_NS1_11comp_targetILNS1_3genE10ELNS1_11target_archE1200ELNS1_3gpuE4ELNS1_3repE0EEENS1_30default_config_static_selectorELNS0_4arch9wavefront6targetE0EEEvS12_, .Lfunc_end1059-_ZN7rocprim17ROCPRIM_400000_NS6detail17trampoline_kernelINS0_13select_configILj256ELj13ELNS0_17block_load_methodE3ELS4_3ELS4_3ELNS0_20block_scan_algorithmE0ELj4294967295EEENS1_25partition_config_selectorILNS1_17partition_subalgoE4EjNS0_10empty_typeEbEEZZNS1_14partition_implILS8_4ELb0ES6_15HIP_vector_typeIjLj2EENS0_17counting_iteratorIjlEEPS9_SG_NS0_5tupleIJPjSI_NS0_16reverse_iteratorISI_EEEEENSH_IJSG_SG_SG_EEES9_SI_JZNS1_25segmented_radix_sort_implINS0_14default_configELb1EPKdPdPKlPlN2at6native12_GLOBAL__N_18offset_tEEE10hipError_tPvRmT1_PNSt15iterator_traitsIS12_E10value_typeET2_T3_PNS13_IS18_E10value_typeET4_jRbjT5_S1E_jjP12ihipStream_tbEUljE_ZNSN_ISO_Lb1ESQ_SR_ST_SU_SY_EESZ_S10_S11_S12_S16_S17_S18_S1B_S1C_jS1D_jS1E_S1E_jjS1G_bEUljE0_EEESZ_S10_S11_S18_S1C_S1E_T6_T7_T9_mT8_S1G_bDpT10_ENKUlT_T0_E_clISt17integral_constantIbLb1EES1U_EEDaS1P_S1Q_EUlS1P_E_NS1_11comp_targetILNS1_3genE10ELNS1_11target_archE1200ELNS1_3gpuE4ELNS1_3repE0EEENS1_30default_config_static_selectorELNS0_4arch9wavefront6targetE0EEEvS12_
                                        ; -- End function
	.set _ZN7rocprim17ROCPRIM_400000_NS6detail17trampoline_kernelINS0_13select_configILj256ELj13ELNS0_17block_load_methodE3ELS4_3ELS4_3ELNS0_20block_scan_algorithmE0ELj4294967295EEENS1_25partition_config_selectorILNS1_17partition_subalgoE4EjNS0_10empty_typeEbEEZZNS1_14partition_implILS8_4ELb0ES6_15HIP_vector_typeIjLj2EENS0_17counting_iteratorIjlEEPS9_SG_NS0_5tupleIJPjSI_NS0_16reverse_iteratorISI_EEEEENSH_IJSG_SG_SG_EEES9_SI_JZNS1_25segmented_radix_sort_implINS0_14default_configELb1EPKdPdPKlPlN2at6native12_GLOBAL__N_18offset_tEEE10hipError_tPvRmT1_PNSt15iterator_traitsIS12_E10value_typeET2_T3_PNS13_IS18_E10value_typeET4_jRbjT5_S1E_jjP12ihipStream_tbEUljE_ZNSN_ISO_Lb1ESQ_SR_ST_SU_SY_EESZ_S10_S11_S12_S16_S17_S18_S1B_S1C_jS1D_jS1E_S1E_jjS1G_bEUljE0_EEESZ_S10_S11_S18_S1C_S1E_T6_T7_T9_mT8_S1G_bDpT10_ENKUlT_T0_E_clISt17integral_constantIbLb1EES1U_EEDaS1P_S1Q_EUlS1P_E_NS1_11comp_targetILNS1_3genE10ELNS1_11target_archE1200ELNS1_3gpuE4ELNS1_3repE0EEENS1_30default_config_static_selectorELNS0_4arch9wavefront6targetE0EEEvS12_.num_vgpr, 0
	.set _ZN7rocprim17ROCPRIM_400000_NS6detail17trampoline_kernelINS0_13select_configILj256ELj13ELNS0_17block_load_methodE3ELS4_3ELS4_3ELNS0_20block_scan_algorithmE0ELj4294967295EEENS1_25partition_config_selectorILNS1_17partition_subalgoE4EjNS0_10empty_typeEbEEZZNS1_14partition_implILS8_4ELb0ES6_15HIP_vector_typeIjLj2EENS0_17counting_iteratorIjlEEPS9_SG_NS0_5tupleIJPjSI_NS0_16reverse_iteratorISI_EEEEENSH_IJSG_SG_SG_EEES9_SI_JZNS1_25segmented_radix_sort_implINS0_14default_configELb1EPKdPdPKlPlN2at6native12_GLOBAL__N_18offset_tEEE10hipError_tPvRmT1_PNSt15iterator_traitsIS12_E10value_typeET2_T3_PNS13_IS18_E10value_typeET4_jRbjT5_S1E_jjP12ihipStream_tbEUljE_ZNSN_ISO_Lb1ESQ_SR_ST_SU_SY_EESZ_S10_S11_S12_S16_S17_S18_S1B_S1C_jS1D_jS1E_S1E_jjS1G_bEUljE0_EEESZ_S10_S11_S18_S1C_S1E_T6_T7_T9_mT8_S1G_bDpT10_ENKUlT_T0_E_clISt17integral_constantIbLb1EES1U_EEDaS1P_S1Q_EUlS1P_E_NS1_11comp_targetILNS1_3genE10ELNS1_11target_archE1200ELNS1_3gpuE4ELNS1_3repE0EEENS1_30default_config_static_selectorELNS0_4arch9wavefront6targetE0EEEvS12_.num_agpr, 0
	.set _ZN7rocprim17ROCPRIM_400000_NS6detail17trampoline_kernelINS0_13select_configILj256ELj13ELNS0_17block_load_methodE3ELS4_3ELS4_3ELNS0_20block_scan_algorithmE0ELj4294967295EEENS1_25partition_config_selectorILNS1_17partition_subalgoE4EjNS0_10empty_typeEbEEZZNS1_14partition_implILS8_4ELb0ES6_15HIP_vector_typeIjLj2EENS0_17counting_iteratorIjlEEPS9_SG_NS0_5tupleIJPjSI_NS0_16reverse_iteratorISI_EEEEENSH_IJSG_SG_SG_EEES9_SI_JZNS1_25segmented_radix_sort_implINS0_14default_configELb1EPKdPdPKlPlN2at6native12_GLOBAL__N_18offset_tEEE10hipError_tPvRmT1_PNSt15iterator_traitsIS12_E10value_typeET2_T3_PNS13_IS18_E10value_typeET4_jRbjT5_S1E_jjP12ihipStream_tbEUljE_ZNSN_ISO_Lb1ESQ_SR_ST_SU_SY_EESZ_S10_S11_S12_S16_S17_S18_S1B_S1C_jS1D_jS1E_S1E_jjS1G_bEUljE0_EEESZ_S10_S11_S18_S1C_S1E_T6_T7_T9_mT8_S1G_bDpT10_ENKUlT_T0_E_clISt17integral_constantIbLb1EES1U_EEDaS1P_S1Q_EUlS1P_E_NS1_11comp_targetILNS1_3genE10ELNS1_11target_archE1200ELNS1_3gpuE4ELNS1_3repE0EEENS1_30default_config_static_selectorELNS0_4arch9wavefront6targetE0EEEvS12_.numbered_sgpr, 0
	.set _ZN7rocprim17ROCPRIM_400000_NS6detail17trampoline_kernelINS0_13select_configILj256ELj13ELNS0_17block_load_methodE3ELS4_3ELS4_3ELNS0_20block_scan_algorithmE0ELj4294967295EEENS1_25partition_config_selectorILNS1_17partition_subalgoE4EjNS0_10empty_typeEbEEZZNS1_14partition_implILS8_4ELb0ES6_15HIP_vector_typeIjLj2EENS0_17counting_iteratorIjlEEPS9_SG_NS0_5tupleIJPjSI_NS0_16reverse_iteratorISI_EEEEENSH_IJSG_SG_SG_EEES9_SI_JZNS1_25segmented_radix_sort_implINS0_14default_configELb1EPKdPdPKlPlN2at6native12_GLOBAL__N_18offset_tEEE10hipError_tPvRmT1_PNSt15iterator_traitsIS12_E10value_typeET2_T3_PNS13_IS18_E10value_typeET4_jRbjT5_S1E_jjP12ihipStream_tbEUljE_ZNSN_ISO_Lb1ESQ_SR_ST_SU_SY_EESZ_S10_S11_S12_S16_S17_S18_S1B_S1C_jS1D_jS1E_S1E_jjS1G_bEUljE0_EEESZ_S10_S11_S18_S1C_S1E_T6_T7_T9_mT8_S1G_bDpT10_ENKUlT_T0_E_clISt17integral_constantIbLb1EES1U_EEDaS1P_S1Q_EUlS1P_E_NS1_11comp_targetILNS1_3genE10ELNS1_11target_archE1200ELNS1_3gpuE4ELNS1_3repE0EEENS1_30default_config_static_selectorELNS0_4arch9wavefront6targetE0EEEvS12_.num_named_barrier, 0
	.set _ZN7rocprim17ROCPRIM_400000_NS6detail17trampoline_kernelINS0_13select_configILj256ELj13ELNS0_17block_load_methodE3ELS4_3ELS4_3ELNS0_20block_scan_algorithmE0ELj4294967295EEENS1_25partition_config_selectorILNS1_17partition_subalgoE4EjNS0_10empty_typeEbEEZZNS1_14partition_implILS8_4ELb0ES6_15HIP_vector_typeIjLj2EENS0_17counting_iteratorIjlEEPS9_SG_NS0_5tupleIJPjSI_NS0_16reverse_iteratorISI_EEEEENSH_IJSG_SG_SG_EEES9_SI_JZNS1_25segmented_radix_sort_implINS0_14default_configELb1EPKdPdPKlPlN2at6native12_GLOBAL__N_18offset_tEEE10hipError_tPvRmT1_PNSt15iterator_traitsIS12_E10value_typeET2_T3_PNS13_IS18_E10value_typeET4_jRbjT5_S1E_jjP12ihipStream_tbEUljE_ZNSN_ISO_Lb1ESQ_SR_ST_SU_SY_EESZ_S10_S11_S12_S16_S17_S18_S1B_S1C_jS1D_jS1E_S1E_jjS1G_bEUljE0_EEESZ_S10_S11_S18_S1C_S1E_T6_T7_T9_mT8_S1G_bDpT10_ENKUlT_T0_E_clISt17integral_constantIbLb1EES1U_EEDaS1P_S1Q_EUlS1P_E_NS1_11comp_targetILNS1_3genE10ELNS1_11target_archE1200ELNS1_3gpuE4ELNS1_3repE0EEENS1_30default_config_static_selectorELNS0_4arch9wavefront6targetE0EEEvS12_.private_seg_size, 0
	.set _ZN7rocprim17ROCPRIM_400000_NS6detail17trampoline_kernelINS0_13select_configILj256ELj13ELNS0_17block_load_methodE3ELS4_3ELS4_3ELNS0_20block_scan_algorithmE0ELj4294967295EEENS1_25partition_config_selectorILNS1_17partition_subalgoE4EjNS0_10empty_typeEbEEZZNS1_14partition_implILS8_4ELb0ES6_15HIP_vector_typeIjLj2EENS0_17counting_iteratorIjlEEPS9_SG_NS0_5tupleIJPjSI_NS0_16reverse_iteratorISI_EEEEENSH_IJSG_SG_SG_EEES9_SI_JZNS1_25segmented_radix_sort_implINS0_14default_configELb1EPKdPdPKlPlN2at6native12_GLOBAL__N_18offset_tEEE10hipError_tPvRmT1_PNSt15iterator_traitsIS12_E10value_typeET2_T3_PNS13_IS18_E10value_typeET4_jRbjT5_S1E_jjP12ihipStream_tbEUljE_ZNSN_ISO_Lb1ESQ_SR_ST_SU_SY_EESZ_S10_S11_S12_S16_S17_S18_S1B_S1C_jS1D_jS1E_S1E_jjS1G_bEUljE0_EEESZ_S10_S11_S18_S1C_S1E_T6_T7_T9_mT8_S1G_bDpT10_ENKUlT_T0_E_clISt17integral_constantIbLb1EES1U_EEDaS1P_S1Q_EUlS1P_E_NS1_11comp_targetILNS1_3genE10ELNS1_11target_archE1200ELNS1_3gpuE4ELNS1_3repE0EEENS1_30default_config_static_selectorELNS0_4arch9wavefront6targetE0EEEvS12_.uses_vcc, 0
	.set _ZN7rocprim17ROCPRIM_400000_NS6detail17trampoline_kernelINS0_13select_configILj256ELj13ELNS0_17block_load_methodE3ELS4_3ELS4_3ELNS0_20block_scan_algorithmE0ELj4294967295EEENS1_25partition_config_selectorILNS1_17partition_subalgoE4EjNS0_10empty_typeEbEEZZNS1_14partition_implILS8_4ELb0ES6_15HIP_vector_typeIjLj2EENS0_17counting_iteratorIjlEEPS9_SG_NS0_5tupleIJPjSI_NS0_16reverse_iteratorISI_EEEEENSH_IJSG_SG_SG_EEES9_SI_JZNS1_25segmented_radix_sort_implINS0_14default_configELb1EPKdPdPKlPlN2at6native12_GLOBAL__N_18offset_tEEE10hipError_tPvRmT1_PNSt15iterator_traitsIS12_E10value_typeET2_T3_PNS13_IS18_E10value_typeET4_jRbjT5_S1E_jjP12ihipStream_tbEUljE_ZNSN_ISO_Lb1ESQ_SR_ST_SU_SY_EESZ_S10_S11_S12_S16_S17_S18_S1B_S1C_jS1D_jS1E_S1E_jjS1G_bEUljE0_EEESZ_S10_S11_S18_S1C_S1E_T6_T7_T9_mT8_S1G_bDpT10_ENKUlT_T0_E_clISt17integral_constantIbLb1EES1U_EEDaS1P_S1Q_EUlS1P_E_NS1_11comp_targetILNS1_3genE10ELNS1_11target_archE1200ELNS1_3gpuE4ELNS1_3repE0EEENS1_30default_config_static_selectorELNS0_4arch9wavefront6targetE0EEEvS12_.uses_flat_scratch, 0
	.set _ZN7rocprim17ROCPRIM_400000_NS6detail17trampoline_kernelINS0_13select_configILj256ELj13ELNS0_17block_load_methodE3ELS4_3ELS4_3ELNS0_20block_scan_algorithmE0ELj4294967295EEENS1_25partition_config_selectorILNS1_17partition_subalgoE4EjNS0_10empty_typeEbEEZZNS1_14partition_implILS8_4ELb0ES6_15HIP_vector_typeIjLj2EENS0_17counting_iteratorIjlEEPS9_SG_NS0_5tupleIJPjSI_NS0_16reverse_iteratorISI_EEEEENSH_IJSG_SG_SG_EEES9_SI_JZNS1_25segmented_radix_sort_implINS0_14default_configELb1EPKdPdPKlPlN2at6native12_GLOBAL__N_18offset_tEEE10hipError_tPvRmT1_PNSt15iterator_traitsIS12_E10value_typeET2_T3_PNS13_IS18_E10value_typeET4_jRbjT5_S1E_jjP12ihipStream_tbEUljE_ZNSN_ISO_Lb1ESQ_SR_ST_SU_SY_EESZ_S10_S11_S12_S16_S17_S18_S1B_S1C_jS1D_jS1E_S1E_jjS1G_bEUljE0_EEESZ_S10_S11_S18_S1C_S1E_T6_T7_T9_mT8_S1G_bDpT10_ENKUlT_T0_E_clISt17integral_constantIbLb1EES1U_EEDaS1P_S1Q_EUlS1P_E_NS1_11comp_targetILNS1_3genE10ELNS1_11target_archE1200ELNS1_3gpuE4ELNS1_3repE0EEENS1_30default_config_static_selectorELNS0_4arch9wavefront6targetE0EEEvS12_.has_dyn_sized_stack, 0
	.set _ZN7rocprim17ROCPRIM_400000_NS6detail17trampoline_kernelINS0_13select_configILj256ELj13ELNS0_17block_load_methodE3ELS4_3ELS4_3ELNS0_20block_scan_algorithmE0ELj4294967295EEENS1_25partition_config_selectorILNS1_17partition_subalgoE4EjNS0_10empty_typeEbEEZZNS1_14partition_implILS8_4ELb0ES6_15HIP_vector_typeIjLj2EENS0_17counting_iteratorIjlEEPS9_SG_NS0_5tupleIJPjSI_NS0_16reverse_iteratorISI_EEEEENSH_IJSG_SG_SG_EEES9_SI_JZNS1_25segmented_radix_sort_implINS0_14default_configELb1EPKdPdPKlPlN2at6native12_GLOBAL__N_18offset_tEEE10hipError_tPvRmT1_PNSt15iterator_traitsIS12_E10value_typeET2_T3_PNS13_IS18_E10value_typeET4_jRbjT5_S1E_jjP12ihipStream_tbEUljE_ZNSN_ISO_Lb1ESQ_SR_ST_SU_SY_EESZ_S10_S11_S12_S16_S17_S18_S1B_S1C_jS1D_jS1E_S1E_jjS1G_bEUljE0_EEESZ_S10_S11_S18_S1C_S1E_T6_T7_T9_mT8_S1G_bDpT10_ENKUlT_T0_E_clISt17integral_constantIbLb1EES1U_EEDaS1P_S1Q_EUlS1P_E_NS1_11comp_targetILNS1_3genE10ELNS1_11target_archE1200ELNS1_3gpuE4ELNS1_3repE0EEENS1_30default_config_static_selectorELNS0_4arch9wavefront6targetE0EEEvS12_.has_recursion, 0
	.set _ZN7rocprim17ROCPRIM_400000_NS6detail17trampoline_kernelINS0_13select_configILj256ELj13ELNS0_17block_load_methodE3ELS4_3ELS4_3ELNS0_20block_scan_algorithmE0ELj4294967295EEENS1_25partition_config_selectorILNS1_17partition_subalgoE4EjNS0_10empty_typeEbEEZZNS1_14partition_implILS8_4ELb0ES6_15HIP_vector_typeIjLj2EENS0_17counting_iteratorIjlEEPS9_SG_NS0_5tupleIJPjSI_NS0_16reverse_iteratorISI_EEEEENSH_IJSG_SG_SG_EEES9_SI_JZNS1_25segmented_radix_sort_implINS0_14default_configELb1EPKdPdPKlPlN2at6native12_GLOBAL__N_18offset_tEEE10hipError_tPvRmT1_PNSt15iterator_traitsIS12_E10value_typeET2_T3_PNS13_IS18_E10value_typeET4_jRbjT5_S1E_jjP12ihipStream_tbEUljE_ZNSN_ISO_Lb1ESQ_SR_ST_SU_SY_EESZ_S10_S11_S12_S16_S17_S18_S1B_S1C_jS1D_jS1E_S1E_jjS1G_bEUljE0_EEESZ_S10_S11_S18_S1C_S1E_T6_T7_T9_mT8_S1G_bDpT10_ENKUlT_T0_E_clISt17integral_constantIbLb1EES1U_EEDaS1P_S1Q_EUlS1P_E_NS1_11comp_targetILNS1_3genE10ELNS1_11target_archE1200ELNS1_3gpuE4ELNS1_3repE0EEENS1_30default_config_static_selectorELNS0_4arch9wavefront6targetE0EEEvS12_.has_indirect_call, 0
	.section	.AMDGPU.csdata,"",@progbits
; Kernel info:
; codeLenInByte = 0
; TotalNumSgprs: 0
; NumVgprs: 0
; ScratchSize: 0
; MemoryBound: 0
; FloatMode: 240
; IeeeMode: 1
; LDSByteSize: 0 bytes/workgroup (compile time only)
; SGPRBlocks: 0
; VGPRBlocks: 0
; NumSGPRsForWavesPerEU: 1
; NumVGPRsForWavesPerEU: 1
; Occupancy: 16
; WaveLimiterHint : 0
; COMPUTE_PGM_RSRC2:SCRATCH_EN: 0
; COMPUTE_PGM_RSRC2:USER_SGPR: 6
; COMPUTE_PGM_RSRC2:TRAP_HANDLER: 0
; COMPUTE_PGM_RSRC2:TGID_X_EN: 1
; COMPUTE_PGM_RSRC2:TGID_Y_EN: 0
; COMPUTE_PGM_RSRC2:TGID_Z_EN: 0
; COMPUTE_PGM_RSRC2:TIDIG_COMP_CNT: 0
	.section	.text._ZN7rocprim17ROCPRIM_400000_NS6detail17trampoline_kernelINS0_13select_configILj256ELj13ELNS0_17block_load_methodE3ELS4_3ELS4_3ELNS0_20block_scan_algorithmE0ELj4294967295EEENS1_25partition_config_selectorILNS1_17partition_subalgoE4EjNS0_10empty_typeEbEEZZNS1_14partition_implILS8_4ELb0ES6_15HIP_vector_typeIjLj2EENS0_17counting_iteratorIjlEEPS9_SG_NS0_5tupleIJPjSI_NS0_16reverse_iteratorISI_EEEEENSH_IJSG_SG_SG_EEES9_SI_JZNS1_25segmented_radix_sort_implINS0_14default_configELb1EPKdPdPKlPlN2at6native12_GLOBAL__N_18offset_tEEE10hipError_tPvRmT1_PNSt15iterator_traitsIS12_E10value_typeET2_T3_PNS13_IS18_E10value_typeET4_jRbjT5_S1E_jjP12ihipStream_tbEUljE_ZNSN_ISO_Lb1ESQ_SR_ST_SU_SY_EESZ_S10_S11_S12_S16_S17_S18_S1B_S1C_jS1D_jS1E_S1E_jjS1G_bEUljE0_EEESZ_S10_S11_S18_S1C_S1E_T6_T7_T9_mT8_S1G_bDpT10_ENKUlT_T0_E_clISt17integral_constantIbLb1EES1U_EEDaS1P_S1Q_EUlS1P_E_NS1_11comp_targetILNS1_3genE9ELNS1_11target_archE1100ELNS1_3gpuE3ELNS1_3repE0EEENS1_30default_config_static_selectorELNS0_4arch9wavefront6targetE0EEEvS12_,"axG",@progbits,_ZN7rocprim17ROCPRIM_400000_NS6detail17trampoline_kernelINS0_13select_configILj256ELj13ELNS0_17block_load_methodE3ELS4_3ELS4_3ELNS0_20block_scan_algorithmE0ELj4294967295EEENS1_25partition_config_selectorILNS1_17partition_subalgoE4EjNS0_10empty_typeEbEEZZNS1_14partition_implILS8_4ELb0ES6_15HIP_vector_typeIjLj2EENS0_17counting_iteratorIjlEEPS9_SG_NS0_5tupleIJPjSI_NS0_16reverse_iteratorISI_EEEEENSH_IJSG_SG_SG_EEES9_SI_JZNS1_25segmented_radix_sort_implINS0_14default_configELb1EPKdPdPKlPlN2at6native12_GLOBAL__N_18offset_tEEE10hipError_tPvRmT1_PNSt15iterator_traitsIS12_E10value_typeET2_T3_PNS13_IS18_E10value_typeET4_jRbjT5_S1E_jjP12ihipStream_tbEUljE_ZNSN_ISO_Lb1ESQ_SR_ST_SU_SY_EESZ_S10_S11_S12_S16_S17_S18_S1B_S1C_jS1D_jS1E_S1E_jjS1G_bEUljE0_EEESZ_S10_S11_S18_S1C_S1E_T6_T7_T9_mT8_S1G_bDpT10_ENKUlT_T0_E_clISt17integral_constantIbLb1EES1U_EEDaS1P_S1Q_EUlS1P_E_NS1_11comp_targetILNS1_3genE9ELNS1_11target_archE1100ELNS1_3gpuE3ELNS1_3repE0EEENS1_30default_config_static_selectorELNS0_4arch9wavefront6targetE0EEEvS12_,comdat
	.globl	_ZN7rocprim17ROCPRIM_400000_NS6detail17trampoline_kernelINS0_13select_configILj256ELj13ELNS0_17block_load_methodE3ELS4_3ELS4_3ELNS0_20block_scan_algorithmE0ELj4294967295EEENS1_25partition_config_selectorILNS1_17partition_subalgoE4EjNS0_10empty_typeEbEEZZNS1_14partition_implILS8_4ELb0ES6_15HIP_vector_typeIjLj2EENS0_17counting_iteratorIjlEEPS9_SG_NS0_5tupleIJPjSI_NS0_16reverse_iteratorISI_EEEEENSH_IJSG_SG_SG_EEES9_SI_JZNS1_25segmented_radix_sort_implINS0_14default_configELb1EPKdPdPKlPlN2at6native12_GLOBAL__N_18offset_tEEE10hipError_tPvRmT1_PNSt15iterator_traitsIS12_E10value_typeET2_T3_PNS13_IS18_E10value_typeET4_jRbjT5_S1E_jjP12ihipStream_tbEUljE_ZNSN_ISO_Lb1ESQ_SR_ST_SU_SY_EESZ_S10_S11_S12_S16_S17_S18_S1B_S1C_jS1D_jS1E_S1E_jjS1G_bEUljE0_EEESZ_S10_S11_S18_S1C_S1E_T6_T7_T9_mT8_S1G_bDpT10_ENKUlT_T0_E_clISt17integral_constantIbLb1EES1U_EEDaS1P_S1Q_EUlS1P_E_NS1_11comp_targetILNS1_3genE9ELNS1_11target_archE1100ELNS1_3gpuE3ELNS1_3repE0EEENS1_30default_config_static_selectorELNS0_4arch9wavefront6targetE0EEEvS12_ ; -- Begin function _ZN7rocprim17ROCPRIM_400000_NS6detail17trampoline_kernelINS0_13select_configILj256ELj13ELNS0_17block_load_methodE3ELS4_3ELS4_3ELNS0_20block_scan_algorithmE0ELj4294967295EEENS1_25partition_config_selectorILNS1_17partition_subalgoE4EjNS0_10empty_typeEbEEZZNS1_14partition_implILS8_4ELb0ES6_15HIP_vector_typeIjLj2EENS0_17counting_iteratorIjlEEPS9_SG_NS0_5tupleIJPjSI_NS0_16reverse_iteratorISI_EEEEENSH_IJSG_SG_SG_EEES9_SI_JZNS1_25segmented_radix_sort_implINS0_14default_configELb1EPKdPdPKlPlN2at6native12_GLOBAL__N_18offset_tEEE10hipError_tPvRmT1_PNSt15iterator_traitsIS12_E10value_typeET2_T3_PNS13_IS18_E10value_typeET4_jRbjT5_S1E_jjP12ihipStream_tbEUljE_ZNSN_ISO_Lb1ESQ_SR_ST_SU_SY_EESZ_S10_S11_S12_S16_S17_S18_S1B_S1C_jS1D_jS1E_S1E_jjS1G_bEUljE0_EEESZ_S10_S11_S18_S1C_S1E_T6_T7_T9_mT8_S1G_bDpT10_ENKUlT_T0_E_clISt17integral_constantIbLb1EES1U_EEDaS1P_S1Q_EUlS1P_E_NS1_11comp_targetILNS1_3genE9ELNS1_11target_archE1100ELNS1_3gpuE3ELNS1_3repE0EEENS1_30default_config_static_selectorELNS0_4arch9wavefront6targetE0EEEvS12_
	.p2align	8
	.type	_ZN7rocprim17ROCPRIM_400000_NS6detail17trampoline_kernelINS0_13select_configILj256ELj13ELNS0_17block_load_methodE3ELS4_3ELS4_3ELNS0_20block_scan_algorithmE0ELj4294967295EEENS1_25partition_config_selectorILNS1_17partition_subalgoE4EjNS0_10empty_typeEbEEZZNS1_14partition_implILS8_4ELb0ES6_15HIP_vector_typeIjLj2EENS0_17counting_iteratorIjlEEPS9_SG_NS0_5tupleIJPjSI_NS0_16reverse_iteratorISI_EEEEENSH_IJSG_SG_SG_EEES9_SI_JZNS1_25segmented_radix_sort_implINS0_14default_configELb1EPKdPdPKlPlN2at6native12_GLOBAL__N_18offset_tEEE10hipError_tPvRmT1_PNSt15iterator_traitsIS12_E10value_typeET2_T3_PNS13_IS18_E10value_typeET4_jRbjT5_S1E_jjP12ihipStream_tbEUljE_ZNSN_ISO_Lb1ESQ_SR_ST_SU_SY_EESZ_S10_S11_S12_S16_S17_S18_S1B_S1C_jS1D_jS1E_S1E_jjS1G_bEUljE0_EEESZ_S10_S11_S18_S1C_S1E_T6_T7_T9_mT8_S1G_bDpT10_ENKUlT_T0_E_clISt17integral_constantIbLb1EES1U_EEDaS1P_S1Q_EUlS1P_E_NS1_11comp_targetILNS1_3genE9ELNS1_11target_archE1100ELNS1_3gpuE3ELNS1_3repE0EEENS1_30default_config_static_selectorELNS0_4arch9wavefront6targetE0EEEvS12_,@function
_ZN7rocprim17ROCPRIM_400000_NS6detail17trampoline_kernelINS0_13select_configILj256ELj13ELNS0_17block_load_methodE3ELS4_3ELS4_3ELNS0_20block_scan_algorithmE0ELj4294967295EEENS1_25partition_config_selectorILNS1_17partition_subalgoE4EjNS0_10empty_typeEbEEZZNS1_14partition_implILS8_4ELb0ES6_15HIP_vector_typeIjLj2EENS0_17counting_iteratorIjlEEPS9_SG_NS0_5tupleIJPjSI_NS0_16reverse_iteratorISI_EEEEENSH_IJSG_SG_SG_EEES9_SI_JZNS1_25segmented_radix_sort_implINS0_14default_configELb1EPKdPdPKlPlN2at6native12_GLOBAL__N_18offset_tEEE10hipError_tPvRmT1_PNSt15iterator_traitsIS12_E10value_typeET2_T3_PNS13_IS18_E10value_typeET4_jRbjT5_S1E_jjP12ihipStream_tbEUljE_ZNSN_ISO_Lb1ESQ_SR_ST_SU_SY_EESZ_S10_S11_S12_S16_S17_S18_S1B_S1C_jS1D_jS1E_S1E_jjS1G_bEUljE0_EEESZ_S10_S11_S18_S1C_S1E_T6_T7_T9_mT8_S1G_bDpT10_ENKUlT_T0_E_clISt17integral_constantIbLb1EES1U_EEDaS1P_S1Q_EUlS1P_E_NS1_11comp_targetILNS1_3genE9ELNS1_11target_archE1100ELNS1_3gpuE3ELNS1_3repE0EEENS1_30default_config_static_selectorELNS0_4arch9wavefront6targetE0EEEvS12_: ; @_ZN7rocprim17ROCPRIM_400000_NS6detail17trampoline_kernelINS0_13select_configILj256ELj13ELNS0_17block_load_methodE3ELS4_3ELS4_3ELNS0_20block_scan_algorithmE0ELj4294967295EEENS1_25partition_config_selectorILNS1_17partition_subalgoE4EjNS0_10empty_typeEbEEZZNS1_14partition_implILS8_4ELb0ES6_15HIP_vector_typeIjLj2EENS0_17counting_iteratorIjlEEPS9_SG_NS0_5tupleIJPjSI_NS0_16reverse_iteratorISI_EEEEENSH_IJSG_SG_SG_EEES9_SI_JZNS1_25segmented_radix_sort_implINS0_14default_configELb1EPKdPdPKlPlN2at6native12_GLOBAL__N_18offset_tEEE10hipError_tPvRmT1_PNSt15iterator_traitsIS12_E10value_typeET2_T3_PNS13_IS18_E10value_typeET4_jRbjT5_S1E_jjP12ihipStream_tbEUljE_ZNSN_ISO_Lb1ESQ_SR_ST_SU_SY_EESZ_S10_S11_S12_S16_S17_S18_S1B_S1C_jS1D_jS1E_S1E_jjS1G_bEUljE0_EEESZ_S10_S11_S18_S1C_S1E_T6_T7_T9_mT8_S1G_bDpT10_ENKUlT_T0_E_clISt17integral_constantIbLb1EES1U_EEDaS1P_S1Q_EUlS1P_E_NS1_11comp_targetILNS1_3genE9ELNS1_11target_archE1100ELNS1_3gpuE3ELNS1_3repE0EEENS1_30default_config_static_selectorELNS0_4arch9wavefront6targetE0EEEvS12_
; %bb.0:
	.section	.rodata,"a",@progbits
	.p2align	6, 0x0
	.amdhsa_kernel _ZN7rocprim17ROCPRIM_400000_NS6detail17trampoline_kernelINS0_13select_configILj256ELj13ELNS0_17block_load_methodE3ELS4_3ELS4_3ELNS0_20block_scan_algorithmE0ELj4294967295EEENS1_25partition_config_selectorILNS1_17partition_subalgoE4EjNS0_10empty_typeEbEEZZNS1_14partition_implILS8_4ELb0ES6_15HIP_vector_typeIjLj2EENS0_17counting_iteratorIjlEEPS9_SG_NS0_5tupleIJPjSI_NS0_16reverse_iteratorISI_EEEEENSH_IJSG_SG_SG_EEES9_SI_JZNS1_25segmented_radix_sort_implINS0_14default_configELb1EPKdPdPKlPlN2at6native12_GLOBAL__N_18offset_tEEE10hipError_tPvRmT1_PNSt15iterator_traitsIS12_E10value_typeET2_T3_PNS13_IS18_E10value_typeET4_jRbjT5_S1E_jjP12ihipStream_tbEUljE_ZNSN_ISO_Lb1ESQ_SR_ST_SU_SY_EESZ_S10_S11_S12_S16_S17_S18_S1B_S1C_jS1D_jS1E_S1E_jjS1G_bEUljE0_EEESZ_S10_S11_S18_S1C_S1E_T6_T7_T9_mT8_S1G_bDpT10_ENKUlT_T0_E_clISt17integral_constantIbLb1EES1U_EEDaS1P_S1Q_EUlS1P_E_NS1_11comp_targetILNS1_3genE9ELNS1_11target_archE1100ELNS1_3gpuE3ELNS1_3repE0EEENS1_30default_config_static_selectorELNS0_4arch9wavefront6targetE0EEEvS12_
		.amdhsa_group_segment_fixed_size 0
		.amdhsa_private_segment_fixed_size 0
		.amdhsa_kernarg_size 184
		.amdhsa_user_sgpr_count 6
		.amdhsa_user_sgpr_private_segment_buffer 1
		.amdhsa_user_sgpr_dispatch_ptr 0
		.amdhsa_user_sgpr_queue_ptr 0
		.amdhsa_user_sgpr_kernarg_segment_ptr 1
		.amdhsa_user_sgpr_dispatch_id 0
		.amdhsa_user_sgpr_flat_scratch_init 0
		.amdhsa_user_sgpr_private_segment_size 0
		.amdhsa_wavefront_size32 1
		.amdhsa_uses_dynamic_stack 0
		.amdhsa_system_sgpr_private_segment_wavefront_offset 0
		.amdhsa_system_sgpr_workgroup_id_x 1
		.amdhsa_system_sgpr_workgroup_id_y 0
		.amdhsa_system_sgpr_workgroup_id_z 0
		.amdhsa_system_sgpr_workgroup_info 0
		.amdhsa_system_vgpr_workitem_id 0
		.amdhsa_next_free_vgpr 1
		.amdhsa_next_free_sgpr 1
		.amdhsa_reserve_vcc 0
		.amdhsa_reserve_flat_scratch 0
		.amdhsa_float_round_mode_32 0
		.amdhsa_float_round_mode_16_64 0
		.amdhsa_float_denorm_mode_32 3
		.amdhsa_float_denorm_mode_16_64 3
		.amdhsa_dx10_clamp 1
		.amdhsa_ieee_mode 1
		.amdhsa_fp16_overflow 0
		.amdhsa_workgroup_processor_mode 1
		.amdhsa_memory_ordered 1
		.amdhsa_forward_progress 1
		.amdhsa_shared_vgpr_count 0
		.amdhsa_exception_fp_ieee_invalid_op 0
		.amdhsa_exception_fp_denorm_src 0
		.amdhsa_exception_fp_ieee_div_zero 0
		.amdhsa_exception_fp_ieee_overflow 0
		.amdhsa_exception_fp_ieee_underflow 0
		.amdhsa_exception_fp_ieee_inexact 0
		.amdhsa_exception_int_div_zero 0
	.end_amdhsa_kernel
	.section	.text._ZN7rocprim17ROCPRIM_400000_NS6detail17trampoline_kernelINS0_13select_configILj256ELj13ELNS0_17block_load_methodE3ELS4_3ELS4_3ELNS0_20block_scan_algorithmE0ELj4294967295EEENS1_25partition_config_selectorILNS1_17partition_subalgoE4EjNS0_10empty_typeEbEEZZNS1_14partition_implILS8_4ELb0ES6_15HIP_vector_typeIjLj2EENS0_17counting_iteratorIjlEEPS9_SG_NS0_5tupleIJPjSI_NS0_16reverse_iteratorISI_EEEEENSH_IJSG_SG_SG_EEES9_SI_JZNS1_25segmented_radix_sort_implINS0_14default_configELb1EPKdPdPKlPlN2at6native12_GLOBAL__N_18offset_tEEE10hipError_tPvRmT1_PNSt15iterator_traitsIS12_E10value_typeET2_T3_PNS13_IS18_E10value_typeET4_jRbjT5_S1E_jjP12ihipStream_tbEUljE_ZNSN_ISO_Lb1ESQ_SR_ST_SU_SY_EESZ_S10_S11_S12_S16_S17_S18_S1B_S1C_jS1D_jS1E_S1E_jjS1G_bEUljE0_EEESZ_S10_S11_S18_S1C_S1E_T6_T7_T9_mT8_S1G_bDpT10_ENKUlT_T0_E_clISt17integral_constantIbLb1EES1U_EEDaS1P_S1Q_EUlS1P_E_NS1_11comp_targetILNS1_3genE9ELNS1_11target_archE1100ELNS1_3gpuE3ELNS1_3repE0EEENS1_30default_config_static_selectorELNS0_4arch9wavefront6targetE0EEEvS12_,"axG",@progbits,_ZN7rocprim17ROCPRIM_400000_NS6detail17trampoline_kernelINS0_13select_configILj256ELj13ELNS0_17block_load_methodE3ELS4_3ELS4_3ELNS0_20block_scan_algorithmE0ELj4294967295EEENS1_25partition_config_selectorILNS1_17partition_subalgoE4EjNS0_10empty_typeEbEEZZNS1_14partition_implILS8_4ELb0ES6_15HIP_vector_typeIjLj2EENS0_17counting_iteratorIjlEEPS9_SG_NS0_5tupleIJPjSI_NS0_16reverse_iteratorISI_EEEEENSH_IJSG_SG_SG_EEES9_SI_JZNS1_25segmented_radix_sort_implINS0_14default_configELb1EPKdPdPKlPlN2at6native12_GLOBAL__N_18offset_tEEE10hipError_tPvRmT1_PNSt15iterator_traitsIS12_E10value_typeET2_T3_PNS13_IS18_E10value_typeET4_jRbjT5_S1E_jjP12ihipStream_tbEUljE_ZNSN_ISO_Lb1ESQ_SR_ST_SU_SY_EESZ_S10_S11_S12_S16_S17_S18_S1B_S1C_jS1D_jS1E_S1E_jjS1G_bEUljE0_EEESZ_S10_S11_S18_S1C_S1E_T6_T7_T9_mT8_S1G_bDpT10_ENKUlT_T0_E_clISt17integral_constantIbLb1EES1U_EEDaS1P_S1Q_EUlS1P_E_NS1_11comp_targetILNS1_3genE9ELNS1_11target_archE1100ELNS1_3gpuE3ELNS1_3repE0EEENS1_30default_config_static_selectorELNS0_4arch9wavefront6targetE0EEEvS12_,comdat
.Lfunc_end1060:
	.size	_ZN7rocprim17ROCPRIM_400000_NS6detail17trampoline_kernelINS0_13select_configILj256ELj13ELNS0_17block_load_methodE3ELS4_3ELS4_3ELNS0_20block_scan_algorithmE0ELj4294967295EEENS1_25partition_config_selectorILNS1_17partition_subalgoE4EjNS0_10empty_typeEbEEZZNS1_14partition_implILS8_4ELb0ES6_15HIP_vector_typeIjLj2EENS0_17counting_iteratorIjlEEPS9_SG_NS0_5tupleIJPjSI_NS0_16reverse_iteratorISI_EEEEENSH_IJSG_SG_SG_EEES9_SI_JZNS1_25segmented_radix_sort_implINS0_14default_configELb1EPKdPdPKlPlN2at6native12_GLOBAL__N_18offset_tEEE10hipError_tPvRmT1_PNSt15iterator_traitsIS12_E10value_typeET2_T3_PNS13_IS18_E10value_typeET4_jRbjT5_S1E_jjP12ihipStream_tbEUljE_ZNSN_ISO_Lb1ESQ_SR_ST_SU_SY_EESZ_S10_S11_S12_S16_S17_S18_S1B_S1C_jS1D_jS1E_S1E_jjS1G_bEUljE0_EEESZ_S10_S11_S18_S1C_S1E_T6_T7_T9_mT8_S1G_bDpT10_ENKUlT_T0_E_clISt17integral_constantIbLb1EES1U_EEDaS1P_S1Q_EUlS1P_E_NS1_11comp_targetILNS1_3genE9ELNS1_11target_archE1100ELNS1_3gpuE3ELNS1_3repE0EEENS1_30default_config_static_selectorELNS0_4arch9wavefront6targetE0EEEvS12_, .Lfunc_end1060-_ZN7rocprim17ROCPRIM_400000_NS6detail17trampoline_kernelINS0_13select_configILj256ELj13ELNS0_17block_load_methodE3ELS4_3ELS4_3ELNS0_20block_scan_algorithmE0ELj4294967295EEENS1_25partition_config_selectorILNS1_17partition_subalgoE4EjNS0_10empty_typeEbEEZZNS1_14partition_implILS8_4ELb0ES6_15HIP_vector_typeIjLj2EENS0_17counting_iteratorIjlEEPS9_SG_NS0_5tupleIJPjSI_NS0_16reverse_iteratorISI_EEEEENSH_IJSG_SG_SG_EEES9_SI_JZNS1_25segmented_radix_sort_implINS0_14default_configELb1EPKdPdPKlPlN2at6native12_GLOBAL__N_18offset_tEEE10hipError_tPvRmT1_PNSt15iterator_traitsIS12_E10value_typeET2_T3_PNS13_IS18_E10value_typeET4_jRbjT5_S1E_jjP12ihipStream_tbEUljE_ZNSN_ISO_Lb1ESQ_SR_ST_SU_SY_EESZ_S10_S11_S12_S16_S17_S18_S1B_S1C_jS1D_jS1E_S1E_jjS1G_bEUljE0_EEESZ_S10_S11_S18_S1C_S1E_T6_T7_T9_mT8_S1G_bDpT10_ENKUlT_T0_E_clISt17integral_constantIbLb1EES1U_EEDaS1P_S1Q_EUlS1P_E_NS1_11comp_targetILNS1_3genE9ELNS1_11target_archE1100ELNS1_3gpuE3ELNS1_3repE0EEENS1_30default_config_static_selectorELNS0_4arch9wavefront6targetE0EEEvS12_
                                        ; -- End function
	.set _ZN7rocprim17ROCPRIM_400000_NS6detail17trampoline_kernelINS0_13select_configILj256ELj13ELNS0_17block_load_methodE3ELS4_3ELS4_3ELNS0_20block_scan_algorithmE0ELj4294967295EEENS1_25partition_config_selectorILNS1_17partition_subalgoE4EjNS0_10empty_typeEbEEZZNS1_14partition_implILS8_4ELb0ES6_15HIP_vector_typeIjLj2EENS0_17counting_iteratorIjlEEPS9_SG_NS0_5tupleIJPjSI_NS0_16reverse_iteratorISI_EEEEENSH_IJSG_SG_SG_EEES9_SI_JZNS1_25segmented_radix_sort_implINS0_14default_configELb1EPKdPdPKlPlN2at6native12_GLOBAL__N_18offset_tEEE10hipError_tPvRmT1_PNSt15iterator_traitsIS12_E10value_typeET2_T3_PNS13_IS18_E10value_typeET4_jRbjT5_S1E_jjP12ihipStream_tbEUljE_ZNSN_ISO_Lb1ESQ_SR_ST_SU_SY_EESZ_S10_S11_S12_S16_S17_S18_S1B_S1C_jS1D_jS1E_S1E_jjS1G_bEUljE0_EEESZ_S10_S11_S18_S1C_S1E_T6_T7_T9_mT8_S1G_bDpT10_ENKUlT_T0_E_clISt17integral_constantIbLb1EES1U_EEDaS1P_S1Q_EUlS1P_E_NS1_11comp_targetILNS1_3genE9ELNS1_11target_archE1100ELNS1_3gpuE3ELNS1_3repE0EEENS1_30default_config_static_selectorELNS0_4arch9wavefront6targetE0EEEvS12_.num_vgpr, 0
	.set _ZN7rocprim17ROCPRIM_400000_NS6detail17trampoline_kernelINS0_13select_configILj256ELj13ELNS0_17block_load_methodE3ELS4_3ELS4_3ELNS0_20block_scan_algorithmE0ELj4294967295EEENS1_25partition_config_selectorILNS1_17partition_subalgoE4EjNS0_10empty_typeEbEEZZNS1_14partition_implILS8_4ELb0ES6_15HIP_vector_typeIjLj2EENS0_17counting_iteratorIjlEEPS9_SG_NS0_5tupleIJPjSI_NS0_16reverse_iteratorISI_EEEEENSH_IJSG_SG_SG_EEES9_SI_JZNS1_25segmented_radix_sort_implINS0_14default_configELb1EPKdPdPKlPlN2at6native12_GLOBAL__N_18offset_tEEE10hipError_tPvRmT1_PNSt15iterator_traitsIS12_E10value_typeET2_T3_PNS13_IS18_E10value_typeET4_jRbjT5_S1E_jjP12ihipStream_tbEUljE_ZNSN_ISO_Lb1ESQ_SR_ST_SU_SY_EESZ_S10_S11_S12_S16_S17_S18_S1B_S1C_jS1D_jS1E_S1E_jjS1G_bEUljE0_EEESZ_S10_S11_S18_S1C_S1E_T6_T7_T9_mT8_S1G_bDpT10_ENKUlT_T0_E_clISt17integral_constantIbLb1EES1U_EEDaS1P_S1Q_EUlS1P_E_NS1_11comp_targetILNS1_3genE9ELNS1_11target_archE1100ELNS1_3gpuE3ELNS1_3repE0EEENS1_30default_config_static_selectorELNS0_4arch9wavefront6targetE0EEEvS12_.num_agpr, 0
	.set _ZN7rocprim17ROCPRIM_400000_NS6detail17trampoline_kernelINS0_13select_configILj256ELj13ELNS0_17block_load_methodE3ELS4_3ELS4_3ELNS0_20block_scan_algorithmE0ELj4294967295EEENS1_25partition_config_selectorILNS1_17partition_subalgoE4EjNS0_10empty_typeEbEEZZNS1_14partition_implILS8_4ELb0ES6_15HIP_vector_typeIjLj2EENS0_17counting_iteratorIjlEEPS9_SG_NS0_5tupleIJPjSI_NS0_16reverse_iteratorISI_EEEEENSH_IJSG_SG_SG_EEES9_SI_JZNS1_25segmented_radix_sort_implINS0_14default_configELb1EPKdPdPKlPlN2at6native12_GLOBAL__N_18offset_tEEE10hipError_tPvRmT1_PNSt15iterator_traitsIS12_E10value_typeET2_T3_PNS13_IS18_E10value_typeET4_jRbjT5_S1E_jjP12ihipStream_tbEUljE_ZNSN_ISO_Lb1ESQ_SR_ST_SU_SY_EESZ_S10_S11_S12_S16_S17_S18_S1B_S1C_jS1D_jS1E_S1E_jjS1G_bEUljE0_EEESZ_S10_S11_S18_S1C_S1E_T6_T7_T9_mT8_S1G_bDpT10_ENKUlT_T0_E_clISt17integral_constantIbLb1EES1U_EEDaS1P_S1Q_EUlS1P_E_NS1_11comp_targetILNS1_3genE9ELNS1_11target_archE1100ELNS1_3gpuE3ELNS1_3repE0EEENS1_30default_config_static_selectorELNS0_4arch9wavefront6targetE0EEEvS12_.numbered_sgpr, 0
	.set _ZN7rocprim17ROCPRIM_400000_NS6detail17trampoline_kernelINS0_13select_configILj256ELj13ELNS0_17block_load_methodE3ELS4_3ELS4_3ELNS0_20block_scan_algorithmE0ELj4294967295EEENS1_25partition_config_selectorILNS1_17partition_subalgoE4EjNS0_10empty_typeEbEEZZNS1_14partition_implILS8_4ELb0ES6_15HIP_vector_typeIjLj2EENS0_17counting_iteratorIjlEEPS9_SG_NS0_5tupleIJPjSI_NS0_16reverse_iteratorISI_EEEEENSH_IJSG_SG_SG_EEES9_SI_JZNS1_25segmented_radix_sort_implINS0_14default_configELb1EPKdPdPKlPlN2at6native12_GLOBAL__N_18offset_tEEE10hipError_tPvRmT1_PNSt15iterator_traitsIS12_E10value_typeET2_T3_PNS13_IS18_E10value_typeET4_jRbjT5_S1E_jjP12ihipStream_tbEUljE_ZNSN_ISO_Lb1ESQ_SR_ST_SU_SY_EESZ_S10_S11_S12_S16_S17_S18_S1B_S1C_jS1D_jS1E_S1E_jjS1G_bEUljE0_EEESZ_S10_S11_S18_S1C_S1E_T6_T7_T9_mT8_S1G_bDpT10_ENKUlT_T0_E_clISt17integral_constantIbLb1EES1U_EEDaS1P_S1Q_EUlS1P_E_NS1_11comp_targetILNS1_3genE9ELNS1_11target_archE1100ELNS1_3gpuE3ELNS1_3repE0EEENS1_30default_config_static_selectorELNS0_4arch9wavefront6targetE0EEEvS12_.num_named_barrier, 0
	.set _ZN7rocprim17ROCPRIM_400000_NS6detail17trampoline_kernelINS0_13select_configILj256ELj13ELNS0_17block_load_methodE3ELS4_3ELS4_3ELNS0_20block_scan_algorithmE0ELj4294967295EEENS1_25partition_config_selectorILNS1_17partition_subalgoE4EjNS0_10empty_typeEbEEZZNS1_14partition_implILS8_4ELb0ES6_15HIP_vector_typeIjLj2EENS0_17counting_iteratorIjlEEPS9_SG_NS0_5tupleIJPjSI_NS0_16reverse_iteratorISI_EEEEENSH_IJSG_SG_SG_EEES9_SI_JZNS1_25segmented_radix_sort_implINS0_14default_configELb1EPKdPdPKlPlN2at6native12_GLOBAL__N_18offset_tEEE10hipError_tPvRmT1_PNSt15iterator_traitsIS12_E10value_typeET2_T3_PNS13_IS18_E10value_typeET4_jRbjT5_S1E_jjP12ihipStream_tbEUljE_ZNSN_ISO_Lb1ESQ_SR_ST_SU_SY_EESZ_S10_S11_S12_S16_S17_S18_S1B_S1C_jS1D_jS1E_S1E_jjS1G_bEUljE0_EEESZ_S10_S11_S18_S1C_S1E_T6_T7_T9_mT8_S1G_bDpT10_ENKUlT_T0_E_clISt17integral_constantIbLb1EES1U_EEDaS1P_S1Q_EUlS1P_E_NS1_11comp_targetILNS1_3genE9ELNS1_11target_archE1100ELNS1_3gpuE3ELNS1_3repE0EEENS1_30default_config_static_selectorELNS0_4arch9wavefront6targetE0EEEvS12_.private_seg_size, 0
	.set _ZN7rocprim17ROCPRIM_400000_NS6detail17trampoline_kernelINS0_13select_configILj256ELj13ELNS0_17block_load_methodE3ELS4_3ELS4_3ELNS0_20block_scan_algorithmE0ELj4294967295EEENS1_25partition_config_selectorILNS1_17partition_subalgoE4EjNS0_10empty_typeEbEEZZNS1_14partition_implILS8_4ELb0ES6_15HIP_vector_typeIjLj2EENS0_17counting_iteratorIjlEEPS9_SG_NS0_5tupleIJPjSI_NS0_16reverse_iteratorISI_EEEEENSH_IJSG_SG_SG_EEES9_SI_JZNS1_25segmented_radix_sort_implINS0_14default_configELb1EPKdPdPKlPlN2at6native12_GLOBAL__N_18offset_tEEE10hipError_tPvRmT1_PNSt15iterator_traitsIS12_E10value_typeET2_T3_PNS13_IS18_E10value_typeET4_jRbjT5_S1E_jjP12ihipStream_tbEUljE_ZNSN_ISO_Lb1ESQ_SR_ST_SU_SY_EESZ_S10_S11_S12_S16_S17_S18_S1B_S1C_jS1D_jS1E_S1E_jjS1G_bEUljE0_EEESZ_S10_S11_S18_S1C_S1E_T6_T7_T9_mT8_S1G_bDpT10_ENKUlT_T0_E_clISt17integral_constantIbLb1EES1U_EEDaS1P_S1Q_EUlS1P_E_NS1_11comp_targetILNS1_3genE9ELNS1_11target_archE1100ELNS1_3gpuE3ELNS1_3repE0EEENS1_30default_config_static_selectorELNS0_4arch9wavefront6targetE0EEEvS12_.uses_vcc, 0
	.set _ZN7rocprim17ROCPRIM_400000_NS6detail17trampoline_kernelINS0_13select_configILj256ELj13ELNS0_17block_load_methodE3ELS4_3ELS4_3ELNS0_20block_scan_algorithmE0ELj4294967295EEENS1_25partition_config_selectorILNS1_17partition_subalgoE4EjNS0_10empty_typeEbEEZZNS1_14partition_implILS8_4ELb0ES6_15HIP_vector_typeIjLj2EENS0_17counting_iteratorIjlEEPS9_SG_NS0_5tupleIJPjSI_NS0_16reverse_iteratorISI_EEEEENSH_IJSG_SG_SG_EEES9_SI_JZNS1_25segmented_radix_sort_implINS0_14default_configELb1EPKdPdPKlPlN2at6native12_GLOBAL__N_18offset_tEEE10hipError_tPvRmT1_PNSt15iterator_traitsIS12_E10value_typeET2_T3_PNS13_IS18_E10value_typeET4_jRbjT5_S1E_jjP12ihipStream_tbEUljE_ZNSN_ISO_Lb1ESQ_SR_ST_SU_SY_EESZ_S10_S11_S12_S16_S17_S18_S1B_S1C_jS1D_jS1E_S1E_jjS1G_bEUljE0_EEESZ_S10_S11_S18_S1C_S1E_T6_T7_T9_mT8_S1G_bDpT10_ENKUlT_T0_E_clISt17integral_constantIbLb1EES1U_EEDaS1P_S1Q_EUlS1P_E_NS1_11comp_targetILNS1_3genE9ELNS1_11target_archE1100ELNS1_3gpuE3ELNS1_3repE0EEENS1_30default_config_static_selectorELNS0_4arch9wavefront6targetE0EEEvS12_.uses_flat_scratch, 0
	.set _ZN7rocprim17ROCPRIM_400000_NS6detail17trampoline_kernelINS0_13select_configILj256ELj13ELNS0_17block_load_methodE3ELS4_3ELS4_3ELNS0_20block_scan_algorithmE0ELj4294967295EEENS1_25partition_config_selectorILNS1_17partition_subalgoE4EjNS0_10empty_typeEbEEZZNS1_14partition_implILS8_4ELb0ES6_15HIP_vector_typeIjLj2EENS0_17counting_iteratorIjlEEPS9_SG_NS0_5tupleIJPjSI_NS0_16reverse_iteratorISI_EEEEENSH_IJSG_SG_SG_EEES9_SI_JZNS1_25segmented_radix_sort_implINS0_14default_configELb1EPKdPdPKlPlN2at6native12_GLOBAL__N_18offset_tEEE10hipError_tPvRmT1_PNSt15iterator_traitsIS12_E10value_typeET2_T3_PNS13_IS18_E10value_typeET4_jRbjT5_S1E_jjP12ihipStream_tbEUljE_ZNSN_ISO_Lb1ESQ_SR_ST_SU_SY_EESZ_S10_S11_S12_S16_S17_S18_S1B_S1C_jS1D_jS1E_S1E_jjS1G_bEUljE0_EEESZ_S10_S11_S18_S1C_S1E_T6_T7_T9_mT8_S1G_bDpT10_ENKUlT_T0_E_clISt17integral_constantIbLb1EES1U_EEDaS1P_S1Q_EUlS1P_E_NS1_11comp_targetILNS1_3genE9ELNS1_11target_archE1100ELNS1_3gpuE3ELNS1_3repE0EEENS1_30default_config_static_selectorELNS0_4arch9wavefront6targetE0EEEvS12_.has_dyn_sized_stack, 0
	.set _ZN7rocprim17ROCPRIM_400000_NS6detail17trampoline_kernelINS0_13select_configILj256ELj13ELNS0_17block_load_methodE3ELS4_3ELS4_3ELNS0_20block_scan_algorithmE0ELj4294967295EEENS1_25partition_config_selectorILNS1_17partition_subalgoE4EjNS0_10empty_typeEbEEZZNS1_14partition_implILS8_4ELb0ES6_15HIP_vector_typeIjLj2EENS0_17counting_iteratorIjlEEPS9_SG_NS0_5tupleIJPjSI_NS0_16reverse_iteratorISI_EEEEENSH_IJSG_SG_SG_EEES9_SI_JZNS1_25segmented_radix_sort_implINS0_14default_configELb1EPKdPdPKlPlN2at6native12_GLOBAL__N_18offset_tEEE10hipError_tPvRmT1_PNSt15iterator_traitsIS12_E10value_typeET2_T3_PNS13_IS18_E10value_typeET4_jRbjT5_S1E_jjP12ihipStream_tbEUljE_ZNSN_ISO_Lb1ESQ_SR_ST_SU_SY_EESZ_S10_S11_S12_S16_S17_S18_S1B_S1C_jS1D_jS1E_S1E_jjS1G_bEUljE0_EEESZ_S10_S11_S18_S1C_S1E_T6_T7_T9_mT8_S1G_bDpT10_ENKUlT_T0_E_clISt17integral_constantIbLb1EES1U_EEDaS1P_S1Q_EUlS1P_E_NS1_11comp_targetILNS1_3genE9ELNS1_11target_archE1100ELNS1_3gpuE3ELNS1_3repE0EEENS1_30default_config_static_selectorELNS0_4arch9wavefront6targetE0EEEvS12_.has_recursion, 0
	.set _ZN7rocprim17ROCPRIM_400000_NS6detail17trampoline_kernelINS0_13select_configILj256ELj13ELNS0_17block_load_methodE3ELS4_3ELS4_3ELNS0_20block_scan_algorithmE0ELj4294967295EEENS1_25partition_config_selectorILNS1_17partition_subalgoE4EjNS0_10empty_typeEbEEZZNS1_14partition_implILS8_4ELb0ES6_15HIP_vector_typeIjLj2EENS0_17counting_iteratorIjlEEPS9_SG_NS0_5tupleIJPjSI_NS0_16reverse_iteratorISI_EEEEENSH_IJSG_SG_SG_EEES9_SI_JZNS1_25segmented_radix_sort_implINS0_14default_configELb1EPKdPdPKlPlN2at6native12_GLOBAL__N_18offset_tEEE10hipError_tPvRmT1_PNSt15iterator_traitsIS12_E10value_typeET2_T3_PNS13_IS18_E10value_typeET4_jRbjT5_S1E_jjP12ihipStream_tbEUljE_ZNSN_ISO_Lb1ESQ_SR_ST_SU_SY_EESZ_S10_S11_S12_S16_S17_S18_S1B_S1C_jS1D_jS1E_S1E_jjS1G_bEUljE0_EEESZ_S10_S11_S18_S1C_S1E_T6_T7_T9_mT8_S1G_bDpT10_ENKUlT_T0_E_clISt17integral_constantIbLb1EES1U_EEDaS1P_S1Q_EUlS1P_E_NS1_11comp_targetILNS1_3genE9ELNS1_11target_archE1100ELNS1_3gpuE3ELNS1_3repE0EEENS1_30default_config_static_selectorELNS0_4arch9wavefront6targetE0EEEvS12_.has_indirect_call, 0
	.section	.AMDGPU.csdata,"",@progbits
; Kernel info:
; codeLenInByte = 0
; TotalNumSgprs: 0
; NumVgprs: 0
; ScratchSize: 0
; MemoryBound: 0
; FloatMode: 240
; IeeeMode: 1
; LDSByteSize: 0 bytes/workgroup (compile time only)
; SGPRBlocks: 0
; VGPRBlocks: 0
; NumSGPRsForWavesPerEU: 1
; NumVGPRsForWavesPerEU: 1
; Occupancy: 16
; WaveLimiterHint : 0
; COMPUTE_PGM_RSRC2:SCRATCH_EN: 0
; COMPUTE_PGM_RSRC2:USER_SGPR: 6
; COMPUTE_PGM_RSRC2:TRAP_HANDLER: 0
; COMPUTE_PGM_RSRC2:TGID_X_EN: 1
; COMPUTE_PGM_RSRC2:TGID_Y_EN: 0
; COMPUTE_PGM_RSRC2:TGID_Z_EN: 0
; COMPUTE_PGM_RSRC2:TIDIG_COMP_CNT: 0
	.section	.text._ZN7rocprim17ROCPRIM_400000_NS6detail17trampoline_kernelINS0_13select_configILj256ELj13ELNS0_17block_load_methodE3ELS4_3ELS4_3ELNS0_20block_scan_algorithmE0ELj4294967295EEENS1_25partition_config_selectorILNS1_17partition_subalgoE4EjNS0_10empty_typeEbEEZZNS1_14partition_implILS8_4ELb0ES6_15HIP_vector_typeIjLj2EENS0_17counting_iteratorIjlEEPS9_SG_NS0_5tupleIJPjSI_NS0_16reverse_iteratorISI_EEEEENSH_IJSG_SG_SG_EEES9_SI_JZNS1_25segmented_radix_sort_implINS0_14default_configELb1EPKdPdPKlPlN2at6native12_GLOBAL__N_18offset_tEEE10hipError_tPvRmT1_PNSt15iterator_traitsIS12_E10value_typeET2_T3_PNS13_IS18_E10value_typeET4_jRbjT5_S1E_jjP12ihipStream_tbEUljE_ZNSN_ISO_Lb1ESQ_SR_ST_SU_SY_EESZ_S10_S11_S12_S16_S17_S18_S1B_S1C_jS1D_jS1E_S1E_jjS1G_bEUljE0_EEESZ_S10_S11_S18_S1C_S1E_T6_T7_T9_mT8_S1G_bDpT10_ENKUlT_T0_E_clISt17integral_constantIbLb1EES1U_EEDaS1P_S1Q_EUlS1P_E_NS1_11comp_targetILNS1_3genE8ELNS1_11target_archE1030ELNS1_3gpuE2ELNS1_3repE0EEENS1_30default_config_static_selectorELNS0_4arch9wavefront6targetE0EEEvS12_,"axG",@progbits,_ZN7rocprim17ROCPRIM_400000_NS6detail17trampoline_kernelINS0_13select_configILj256ELj13ELNS0_17block_load_methodE3ELS4_3ELS4_3ELNS0_20block_scan_algorithmE0ELj4294967295EEENS1_25partition_config_selectorILNS1_17partition_subalgoE4EjNS0_10empty_typeEbEEZZNS1_14partition_implILS8_4ELb0ES6_15HIP_vector_typeIjLj2EENS0_17counting_iteratorIjlEEPS9_SG_NS0_5tupleIJPjSI_NS0_16reverse_iteratorISI_EEEEENSH_IJSG_SG_SG_EEES9_SI_JZNS1_25segmented_radix_sort_implINS0_14default_configELb1EPKdPdPKlPlN2at6native12_GLOBAL__N_18offset_tEEE10hipError_tPvRmT1_PNSt15iterator_traitsIS12_E10value_typeET2_T3_PNS13_IS18_E10value_typeET4_jRbjT5_S1E_jjP12ihipStream_tbEUljE_ZNSN_ISO_Lb1ESQ_SR_ST_SU_SY_EESZ_S10_S11_S12_S16_S17_S18_S1B_S1C_jS1D_jS1E_S1E_jjS1G_bEUljE0_EEESZ_S10_S11_S18_S1C_S1E_T6_T7_T9_mT8_S1G_bDpT10_ENKUlT_T0_E_clISt17integral_constantIbLb1EES1U_EEDaS1P_S1Q_EUlS1P_E_NS1_11comp_targetILNS1_3genE8ELNS1_11target_archE1030ELNS1_3gpuE2ELNS1_3repE0EEENS1_30default_config_static_selectorELNS0_4arch9wavefront6targetE0EEEvS12_,comdat
	.globl	_ZN7rocprim17ROCPRIM_400000_NS6detail17trampoline_kernelINS0_13select_configILj256ELj13ELNS0_17block_load_methodE3ELS4_3ELS4_3ELNS0_20block_scan_algorithmE0ELj4294967295EEENS1_25partition_config_selectorILNS1_17partition_subalgoE4EjNS0_10empty_typeEbEEZZNS1_14partition_implILS8_4ELb0ES6_15HIP_vector_typeIjLj2EENS0_17counting_iteratorIjlEEPS9_SG_NS0_5tupleIJPjSI_NS0_16reverse_iteratorISI_EEEEENSH_IJSG_SG_SG_EEES9_SI_JZNS1_25segmented_radix_sort_implINS0_14default_configELb1EPKdPdPKlPlN2at6native12_GLOBAL__N_18offset_tEEE10hipError_tPvRmT1_PNSt15iterator_traitsIS12_E10value_typeET2_T3_PNS13_IS18_E10value_typeET4_jRbjT5_S1E_jjP12ihipStream_tbEUljE_ZNSN_ISO_Lb1ESQ_SR_ST_SU_SY_EESZ_S10_S11_S12_S16_S17_S18_S1B_S1C_jS1D_jS1E_S1E_jjS1G_bEUljE0_EEESZ_S10_S11_S18_S1C_S1E_T6_T7_T9_mT8_S1G_bDpT10_ENKUlT_T0_E_clISt17integral_constantIbLb1EES1U_EEDaS1P_S1Q_EUlS1P_E_NS1_11comp_targetILNS1_3genE8ELNS1_11target_archE1030ELNS1_3gpuE2ELNS1_3repE0EEENS1_30default_config_static_selectorELNS0_4arch9wavefront6targetE0EEEvS12_ ; -- Begin function _ZN7rocprim17ROCPRIM_400000_NS6detail17trampoline_kernelINS0_13select_configILj256ELj13ELNS0_17block_load_methodE3ELS4_3ELS4_3ELNS0_20block_scan_algorithmE0ELj4294967295EEENS1_25partition_config_selectorILNS1_17partition_subalgoE4EjNS0_10empty_typeEbEEZZNS1_14partition_implILS8_4ELb0ES6_15HIP_vector_typeIjLj2EENS0_17counting_iteratorIjlEEPS9_SG_NS0_5tupleIJPjSI_NS0_16reverse_iteratorISI_EEEEENSH_IJSG_SG_SG_EEES9_SI_JZNS1_25segmented_radix_sort_implINS0_14default_configELb1EPKdPdPKlPlN2at6native12_GLOBAL__N_18offset_tEEE10hipError_tPvRmT1_PNSt15iterator_traitsIS12_E10value_typeET2_T3_PNS13_IS18_E10value_typeET4_jRbjT5_S1E_jjP12ihipStream_tbEUljE_ZNSN_ISO_Lb1ESQ_SR_ST_SU_SY_EESZ_S10_S11_S12_S16_S17_S18_S1B_S1C_jS1D_jS1E_S1E_jjS1G_bEUljE0_EEESZ_S10_S11_S18_S1C_S1E_T6_T7_T9_mT8_S1G_bDpT10_ENKUlT_T0_E_clISt17integral_constantIbLb1EES1U_EEDaS1P_S1Q_EUlS1P_E_NS1_11comp_targetILNS1_3genE8ELNS1_11target_archE1030ELNS1_3gpuE2ELNS1_3repE0EEENS1_30default_config_static_selectorELNS0_4arch9wavefront6targetE0EEEvS12_
	.p2align	8
	.type	_ZN7rocprim17ROCPRIM_400000_NS6detail17trampoline_kernelINS0_13select_configILj256ELj13ELNS0_17block_load_methodE3ELS4_3ELS4_3ELNS0_20block_scan_algorithmE0ELj4294967295EEENS1_25partition_config_selectorILNS1_17partition_subalgoE4EjNS0_10empty_typeEbEEZZNS1_14partition_implILS8_4ELb0ES6_15HIP_vector_typeIjLj2EENS0_17counting_iteratorIjlEEPS9_SG_NS0_5tupleIJPjSI_NS0_16reverse_iteratorISI_EEEEENSH_IJSG_SG_SG_EEES9_SI_JZNS1_25segmented_radix_sort_implINS0_14default_configELb1EPKdPdPKlPlN2at6native12_GLOBAL__N_18offset_tEEE10hipError_tPvRmT1_PNSt15iterator_traitsIS12_E10value_typeET2_T3_PNS13_IS18_E10value_typeET4_jRbjT5_S1E_jjP12ihipStream_tbEUljE_ZNSN_ISO_Lb1ESQ_SR_ST_SU_SY_EESZ_S10_S11_S12_S16_S17_S18_S1B_S1C_jS1D_jS1E_S1E_jjS1G_bEUljE0_EEESZ_S10_S11_S18_S1C_S1E_T6_T7_T9_mT8_S1G_bDpT10_ENKUlT_T0_E_clISt17integral_constantIbLb1EES1U_EEDaS1P_S1Q_EUlS1P_E_NS1_11comp_targetILNS1_3genE8ELNS1_11target_archE1030ELNS1_3gpuE2ELNS1_3repE0EEENS1_30default_config_static_selectorELNS0_4arch9wavefront6targetE0EEEvS12_,@function
_ZN7rocprim17ROCPRIM_400000_NS6detail17trampoline_kernelINS0_13select_configILj256ELj13ELNS0_17block_load_methodE3ELS4_3ELS4_3ELNS0_20block_scan_algorithmE0ELj4294967295EEENS1_25partition_config_selectorILNS1_17partition_subalgoE4EjNS0_10empty_typeEbEEZZNS1_14partition_implILS8_4ELb0ES6_15HIP_vector_typeIjLj2EENS0_17counting_iteratorIjlEEPS9_SG_NS0_5tupleIJPjSI_NS0_16reverse_iteratorISI_EEEEENSH_IJSG_SG_SG_EEES9_SI_JZNS1_25segmented_radix_sort_implINS0_14default_configELb1EPKdPdPKlPlN2at6native12_GLOBAL__N_18offset_tEEE10hipError_tPvRmT1_PNSt15iterator_traitsIS12_E10value_typeET2_T3_PNS13_IS18_E10value_typeET4_jRbjT5_S1E_jjP12ihipStream_tbEUljE_ZNSN_ISO_Lb1ESQ_SR_ST_SU_SY_EESZ_S10_S11_S12_S16_S17_S18_S1B_S1C_jS1D_jS1E_S1E_jjS1G_bEUljE0_EEESZ_S10_S11_S18_S1C_S1E_T6_T7_T9_mT8_S1G_bDpT10_ENKUlT_T0_E_clISt17integral_constantIbLb1EES1U_EEDaS1P_S1Q_EUlS1P_E_NS1_11comp_targetILNS1_3genE8ELNS1_11target_archE1030ELNS1_3gpuE2ELNS1_3repE0EEENS1_30default_config_static_selectorELNS0_4arch9wavefront6targetE0EEEvS12_: ; @_ZN7rocprim17ROCPRIM_400000_NS6detail17trampoline_kernelINS0_13select_configILj256ELj13ELNS0_17block_load_methodE3ELS4_3ELS4_3ELNS0_20block_scan_algorithmE0ELj4294967295EEENS1_25partition_config_selectorILNS1_17partition_subalgoE4EjNS0_10empty_typeEbEEZZNS1_14partition_implILS8_4ELb0ES6_15HIP_vector_typeIjLj2EENS0_17counting_iteratorIjlEEPS9_SG_NS0_5tupleIJPjSI_NS0_16reverse_iteratorISI_EEEEENSH_IJSG_SG_SG_EEES9_SI_JZNS1_25segmented_radix_sort_implINS0_14default_configELb1EPKdPdPKlPlN2at6native12_GLOBAL__N_18offset_tEEE10hipError_tPvRmT1_PNSt15iterator_traitsIS12_E10value_typeET2_T3_PNS13_IS18_E10value_typeET4_jRbjT5_S1E_jjP12ihipStream_tbEUljE_ZNSN_ISO_Lb1ESQ_SR_ST_SU_SY_EESZ_S10_S11_S12_S16_S17_S18_S1B_S1C_jS1D_jS1E_S1E_jjS1G_bEUljE0_EEESZ_S10_S11_S18_S1C_S1E_T6_T7_T9_mT8_S1G_bDpT10_ENKUlT_T0_E_clISt17integral_constantIbLb1EES1U_EEDaS1P_S1Q_EUlS1P_E_NS1_11comp_targetILNS1_3genE8ELNS1_11target_archE1030ELNS1_3gpuE2ELNS1_3repE0EEENS1_30default_config_static_selectorELNS0_4arch9wavefront6targetE0EEEvS12_
; %bb.0:
	s_endpgm
	.section	.rodata,"a",@progbits
	.p2align	6, 0x0
	.amdhsa_kernel _ZN7rocprim17ROCPRIM_400000_NS6detail17trampoline_kernelINS0_13select_configILj256ELj13ELNS0_17block_load_methodE3ELS4_3ELS4_3ELNS0_20block_scan_algorithmE0ELj4294967295EEENS1_25partition_config_selectorILNS1_17partition_subalgoE4EjNS0_10empty_typeEbEEZZNS1_14partition_implILS8_4ELb0ES6_15HIP_vector_typeIjLj2EENS0_17counting_iteratorIjlEEPS9_SG_NS0_5tupleIJPjSI_NS0_16reverse_iteratorISI_EEEEENSH_IJSG_SG_SG_EEES9_SI_JZNS1_25segmented_radix_sort_implINS0_14default_configELb1EPKdPdPKlPlN2at6native12_GLOBAL__N_18offset_tEEE10hipError_tPvRmT1_PNSt15iterator_traitsIS12_E10value_typeET2_T3_PNS13_IS18_E10value_typeET4_jRbjT5_S1E_jjP12ihipStream_tbEUljE_ZNSN_ISO_Lb1ESQ_SR_ST_SU_SY_EESZ_S10_S11_S12_S16_S17_S18_S1B_S1C_jS1D_jS1E_S1E_jjS1G_bEUljE0_EEESZ_S10_S11_S18_S1C_S1E_T6_T7_T9_mT8_S1G_bDpT10_ENKUlT_T0_E_clISt17integral_constantIbLb1EES1U_EEDaS1P_S1Q_EUlS1P_E_NS1_11comp_targetILNS1_3genE8ELNS1_11target_archE1030ELNS1_3gpuE2ELNS1_3repE0EEENS1_30default_config_static_selectorELNS0_4arch9wavefront6targetE0EEEvS12_
		.amdhsa_group_segment_fixed_size 0
		.amdhsa_private_segment_fixed_size 0
		.amdhsa_kernarg_size 184
		.amdhsa_user_sgpr_count 6
		.amdhsa_user_sgpr_private_segment_buffer 1
		.amdhsa_user_sgpr_dispatch_ptr 0
		.amdhsa_user_sgpr_queue_ptr 0
		.amdhsa_user_sgpr_kernarg_segment_ptr 1
		.amdhsa_user_sgpr_dispatch_id 0
		.amdhsa_user_sgpr_flat_scratch_init 0
		.amdhsa_user_sgpr_private_segment_size 0
		.amdhsa_wavefront_size32 1
		.amdhsa_uses_dynamic_stack 0
		.amdhsa_system_sgpr_private_segment_wavefront_offset 0
		.amdhsa_system_sgpr_workgroup_id_x 1
		.amdhsa_system_sgpr_workgroup_id_y 0
		.amdhsa_system_sgpr_workgroup_id_z 0
		.amdhsa_system_sgpr_workgroup_info 0
		.amdhsa_system_vgpr_workitem_id 0
		.amdhsa_next_free_vgpr 1
		.amdhsa_next_free_sgpr 1
		.amdhsa_reserve_vcc 0
		.amdhsa_reserve_flat_scratch 0
		.amdhsa_float_round_mode_32 0
		.amdhsa_float_round_mode_16_64 0
		.amdhsa_float_denorm_mode_32 3
		.amdhsa_float_denorm_mode_16_64 3
		.amdhsa_dx10_clamp 1
		.amdhsa_ieee_mode 1
		.amdhsa_fp16_overflow 0
		.amdhsa_workgroup_processor_mode 1
		.amdhsa_memory_ordered 1
		.amdhsa_forward_progress 1
		.amdhsa_shared_vgpr_count 0
		.amdhsa_exception_fp_ieee_invalid_op 0
		.amdhsa_exception_fp_denorm_src 0
		.amdhsa_exception_fp_ieee_div_zero 0
		.amdhsa_exception_fp_ieee_overflow 0
		.amdhsa_exception_fp_ieee_underflow 0
		.amdhsa_exception_fp_ieee_inexact 0
		.amdhsa_exception_int_div_zero 0
	.end_amdhsa_kernel
	.section	.text._ZN7rocprim17ROCPRIM_400000_NS6detail17trampoline_kernelINS0_13select_configILj256ELj13ELNS0_17block_load_methodE3ELS4_3ELS4_3ELNS0_20block_scan_algorithmE0ELj4294967295EEENS1_25partition_config_selectorILNS1_17partition_subalgoE4EjNS0_10empty_typeEbEEZZNS1_14partition_implILS8_4ELb0ES6_15HIP_vector_typeIjLj2EENS0_17counting_iteratorIjlEEPS9_SG_NS0_5tupleIJPjSI_NS0_16reverse_iteratorISI_EEEEENSH_IJSG_SG_SG_EEES9_SI_JZNS1_25segmented_radix_sort_implINS0_14default_configELb1EPKdPdPKlPlN2at6native12_GLOBAL__N_18offset_tEEE10hipError_tPvRmT1_PNSt15iterator_traitsIS12_E10value_typeET2_T3_PNS13_IS18_E10value_typeET4_jRbjT5_S1E_jjP12ihipStream_tbEUljE_ZNSN_ISO_Lb1ESQ_SR_ST_SU_SY_EESZ_S10_S11_S12_S16_S17_S18_S1B_S1C_jS1D_jS1E_S1E_jjS1G_bEUljE0_EEESZ_S10_S11_S18_S1C_S1E_T6_T7_T9_mT8_S1G_bDpT10_ENKUlT_T0_E_clISt17integral_constantIbLb1EES1U_EEDaS1P_S1Q_EUlS1P_E_NS1_11comp_targetILNS1_3genE8ELNS1_11target_archE1030ELNS1_3gpuE2ELNS1_3repE0EEENS1_30default_config_static_selectorELNS0_4arch9wavefront6targetE0EEEvS12_,"axG",@progbits,_ZN7rocprim17ROCPRIM_400000_NS6detail17trampoline_kernelINS0_13select_configILj256ELj13ELNS0_17block_load_methodE3ELS4_3ELS4_3ELNS0_20block_scan_algorithmE0ELj4294967295EEENS1_25partition_config_selectorILNS1_17partition_subalgoE4EjNS0_10empty_typeEbEEZZNS1_14partition_implILS8_4ELb0ES6_15HIP_vector_typeIjLj2EENS0_17counting_iteratorIjlEEPS9_SG_NS0_5tupleIJPjSI_NS0_16reverse_iteratorISI_EEEEENSH_IJSG_SG_SG_EEES9_SI_JZNS1_25segmented_radix_sort_implINS0_14default_configELb1EPKdPdPKlPlN2at6native12_GLOBAL__N_18offset_tEEE10hipError_tPvRmT1_PNSt15iterator_traitsIS12_E10value_typeET2_T3_PNS13_IS18_E10value_typeET4_jRbjT5_S1E_jjP12ihipStream_tbEUljE_ZNSN_ISO_Lb1ESQ_SR_ST_SU_SY_EESZ_S10_S11_S12_S16_S17_S18_S1B_S1C_jS1D_jS1E_S1E_jjS1G_bEUljE0_EEESZ_S10_S11_S18_S1C_S1E_T6_T7_T9_mT8_S1G_bDpT10_ENKUlT_T0_E_clISt17integral_constantIbLb1EES1U_EEDaS1P_S1Q_EUlS1P_E_NS1_11comp_targetILNS1_3genE8ELNS1_11target_archE1030ELNS1_3gpuE2ELNS1_3repE0EEENS1_30default_config_static_selectorELNS0_4arch9wavefront6targetE0EEEvS12_,comdat
.Lfunc_end1061:
	.size	_ZN7rocprim17ROCPRIM_400000_NS6detail17trampoline_kernelINS0_13select_configILj256ELj13ELNS0_17block_load_methodE3ELS4_3ELS4_3ELNS0_20block_scan_algorithmE0ELj4294967295EEENS1_25partition_config_selectorILNS1_17partition_subalgoE4EjNS0_10empty_typeEbEEZZNS1_14partition_implILS8_4ELb0ES6_15HIP_vector_typeIjLj2EENS0_17counting_iteratorIjlEEPS9_SG_NS0_5tupleIJPjSI_NS0_16reverse_iteratorISI_EEEEENSH_IJSG_SG_SG_EEES9_SI_JZNS1_25segmented_radix_sort_implINS0_14default_configELb1EPKdPdPKlPlN2at6native12_GLOBAL__N_18offset_tEEE10hipError_tPvRmT1_PNSt15iterator_traitsIS12_E10value_typeET2_T3_PNS13_IS18_E10value_typeET4_jRbjT5_S1E_jjP12ihipStream_tbEUljE_ZNSN_ISO_Lb1ESQ_SR_ST_SU_SY_EESZ_S10_S11_S12_S16_S17_S18_S1B_S1C_jS1D_jS1E_S1E_jjS1G_bEUljE0_EEESZ_S10_S11_S18_S1C_S1E_T6_T7_T9_mT8_S1G_bDpT10_ENKUlT_T0_E_clISt17integral_constantIbLb1EES1U_EEDaS1P_S1Q_EUlS1P_E_NS1_11comp_targetILNS1_3genE8ELNS1_11target_archE1030ELNS1_3gpuE2ELNS1_3repE0EEENS1_30default_config_static_selectorELNS0_4arch9wavefront6targetE0EEEvS12_, .Lfunc_end1061-_ZN7rocprim17ROCPRIM_400000_NS6detail17trampoline_kernelINS0_13select_configILj256ELj13ELNS0_17block_load_methodE3ELS4_3ELS4_3ELNS0_20block_scan_algorithmE0ELj4294967295EEENS1_25partition_config_selectorILNS1_17partition_subalgoE4EjNS0_10empty_typeEbEEZZNS1_14partition_implILS8_4ELb0ES6_15HIP_vector_typeIjLj2EENS0_17counting_iteratorIjlEEPS9_SG_NS0_5tupleIJPjSI_NS0_16reverse_iteratorISI_EEEEENSH_IJSG_SG_SG_EEES9_SI_JZNS1_25segmented_radix_sort_implINS0_14default_configELb1EPKdPdPKlPlN2at6native12_GLOBAL__N_18offset_tEEE10hipError_tPvRmT1_PNSt15iterator_traitsIS12_E10value_typeET2_T3_PNS13_IS18_E10value_typeET4_jRbjT5_S1E_jjP12ihipStream_tbEUljE_ZNSN_ISO_Lb1ESQ_SR_ST_SU_SY_EESZ_S10_S11_S12_S16_S17_S18_S1B_S1C_jS1D_jS1E_S1E_jjS1G_bEUljE0_EEESZ_S10_S11_S18_S1C_S1E_T6_T7_T9_mT8_S1G_bDpT10_ENKUlT_T0_E_clISt17integral_constantIbLb1EES1U_EEDaS1P_S1Q_EUlS1P_E_NS1_11comp_targetILNS1_3genE8ELNS1_11target_archE1030ELNS1_3gpuE2ELNS1_3repE0EEENS1_30default_config_static_selectorELNS0_4arch9wavefront6targetE0EEEvS12_
                                        ; -- End function
	.set _ZN7rocprim17ROCPRIM_400000_NS6detail17trampoline_kernelINS0_13select_configILj256ELj13ELNS0_17block_load_methodE3ELS4_3ELS4_3ELNS0_20block_scan_algorithmE0ELj4294967295EEENS1_25partition_config_selectorILNS1_17partition_subalgoE4EjNS0_10empty_typeEbEEZZNS1_14partition_implILS8_4ELb0ES6_15HIP_vector_typeIjLj2EENS0_17counting_iteratorIjlEEPS9_SG_NS0_5tupleIJPjSI_NS0_16reverse_iteratorISI_EEEEENSH_IJSG_SG_SG_EEES9_SI_JZNS1_25segmented_radix_sort_implINS0_14default_configELb1EPKdPdPKlPlN2at6native12_GLOBAL__N_18offset_tEEE10hipError_tPvRmT1_PNSt15iterator_traitsIS12_E10value_typeET2_T3_PNS13_IS18_E10value_typeET4_jRbjT5_S1E_jjP12ihipStream_tbEUljE_ZNSN_ISO_Lb1ESQ_SR_ST_SU_SY_EESZ_S10_S11_S12_S16_S17_S18_S1B_S1C_jS1D_jS1E_S1E_jjS1G_bEUljE0_EEESZ_S10_S11_S18_S1C_S1E_T6_T7_T9_mT8_S1G_bDpT10_ENKUlT_T0_E_clISt17integral_constantIbLb1EES1U_EEDaS1P_S1Q_EUlS1P_E_NS1_11comp_targetILNS1_3genE8ELNS1_11target_archE1030ELNS1_3gpuE2ELNS1_3repE0EEENS1_30default_config_static_selectorELNS0_4arch9wavefront6targetE0EEEvS12_.num_vgpr, 0
	.set _ZN7rocprim17ROCPRIM_400000_NS6detail17trampoline_kernelINS0_13select_configILj256ELj13ELNS0_17block_load_methodE3ELS4_3ELS4_3ELNS0_20block_scan_algorithmE0ELj4294967295EEENS1_25partition_config_selectorILNS1_17partition_subalgoE4EjNS0_10empty_typeEbEEZZNS1_14partition_implILS8_4ELb0ES6_15HIP_vector_typeIjLj2EENS0_17counting_iteratorIjlEEPS9_SG_NS0_5tupleIJPjSI_NS0_16reverse_iteratorISI_EEEEENSH_IJSG_SG_SG_EEES9_SI_JZNS1_25segmented_radix_sort_implINS0_14default_configELb1EPKdPdPKlPlN2at6native12_GLOBAL__N_18offset_tEEE10hipError_tPvRmT1_PNSt15iterator_traitsIS12_E10value_typeET2_T3_PNS13_IS18_E10value_typeET4_jRbjT5_S1E_jjP12ihipStream_tbEUljE_ZNSN_ISO_Lb1ESQ_SR_ST_SU_SY_EESZ_S10_S11_S12_S16_S17_S18_S1B_S1C_jS1D_jS1E_S1E_jjS1G_bEUljE0_EEESZ_S10_S11_S18_S1C_S1E_T6_T7_T9_mT8_S1G_bDpT10_ENKUlT_T0_E_clISt17integral_constantIbLb1EES1U_EEDaS1P_S1Q_EUlS1P_E_NS1_11comp_targetILNS1_3genE8ELNS1_11target_archE1030ELNS1_3gpuE2ELNS1_3repE0EEENS1_30default_config_static_selectorELNS0_4arch9wavefront6targetE0EEEvS12_.num_agpr, 0
	.set _ZN7rocprim17ROCPRIM_400000_NS6detail17trampoline_kernelINS0_13select_configILj256ELj13ELNS0_17block_load_methodE3ELS4_3ELS4_3ELNS0_20block_scan_algorithmE0ELj4294967295EEENS1_25partition_config_selectorILNS1_17partition_subalgoE4EjNS0_10empty_typeEbEEZZNS1_14partition_implILS8_4ELb0ES6_15HIP_vector_typeIjLj2EENS0_17counting_iteratorIjlEEPS9_SG_NS0_5tupleIJPjSI_NS0_16reverse_iteratorISI_EEEEENSH_IJSG_SG_SG_EEES9_SI_JZNS1_25segmented_radix_sort_implINS0_14default_configELb1EPKdPdPKlPlN2at6native12_GLOBAL__N_18offset_tEEE10hipError_tPvRmT1_PNSt15iterator_traitsIS12_E10value_typeET2_T3_PNS13_IS18_E10value_typeET4_jRbjT5_S1E_jjP12ihipStream_tbEUljE_ZNSN_ISO_Lb1ESQ_SR_ST_SU_SY_EESZ_S10_S11_S12_S16_S17_S18_S1B_S1C_jS1D_jS1E_S1E_jjS1G_bEUljE0_EEESZ_S10_S11_S18_S1C_S1E_T6_T7_T9_mT8_S1G_bDpT10_ENKUlT_T0_E_clISt17integral_constantIbLb1EES1U_EEDaS1P_S1Q_EUlS1P_E_NS1_11comp_targetILNS1_3genE8ELNS1_11target_archE1030ELNS1_3gpuE2ELNS1_3repE0EEENS1_30default_config_static_selectorELNS0_4arch9wavefront6targetE0EEEvS12_.numbered_sgpr, 0
	.set _ZN7rocprim17ROCPRIM_400000_NS6detail17trampoline_kernelINS0_13select_configILj256ELj13ELNS0_17block_load_methodE3ELS4_3ELS4_3ELNS0_20block_scan_algorithmE0ELj4294967295EEENS1_25partition_config_selectorILNS1_17partition_subalgoE4EjNS0_10empty_typeEbEEZZNS1_14partition_implILS8_4ELb0ES6_15HIP_vector_typeIjLj2EENS0_17counting_iteratorIjlEEPS9_SG_NS0_5tupleIJPjSI_NS0_16reverse_iteratorISI_EEEEENSH_IJSG_SG_SG_EEES9_SI_JZNS1_25segmented_radix_sort_implINS0_14default_configELb1EPKdPdPKlPlN2at6native12_GLOBAL__N_18offset_tEEE10hipError_tPvRmT1_PNSt15iterator_traitsIS12_E10value_typeET2_T3_PNS13_IS18_E10value_typeET4_jRbjT5_S1E_jjP12ihipStream_tbEUljE_ZNSN_ISO_Lb1ESQ_SR_ST_SU_SY_EESZ_S10_S11_S12_S16_S17_S18_S1B_S1C_jS1D_jS1E_S1E_jjS1G_bEUljE0_EEESZ_S10_S11_S18_S1C_S1E_T6_T7_T9_mT8_S1G_bDpT10_ENKUlT_T0_E_clISt17integral_constantIbLb1EES1U_EEDaS1P_S1Q_EUlS1P_E_NS1_11comp_targetILNS1_3genE8ELNS1_11target_archE1030ELNS1_3gpuE2ELNS1_3repE0EEENS1_30default_config_static_selectorELNS0_4arch9wavefront6targetE0EEEvS12_.num_named_barrier, 0
	.set _ZN7rocprim17ROCPRIM_400000_NS6detail17trampoline_kernelINS0_13select_configILj256ELj13ELNS0_17block_load_methodE3ELS4_3ELS4_3ELNS0_20block_scan_algorithmE0ELj4294967295EEENS1_25partition_config_selectorILNS1_17partition_subalgoE4EjNS0_10empty_typeEbEEZZNS1_14partition_implILS8_4ELb0ES6_15HIP_vector_typeIjLj2EENS0_17counting_iteratorIjlEEPS9_SG_NS0_5tupleIJPjSI_NS0_16reverse_iteratorISI_EEEEENSH_IJSG_SG_SG_EEES9_SI_JZNS1_25segmented_radix_sort_implINS0_14default_configELb1EPKdPdPKlPlN2at6native12_GLOBAL__N_18offset_tEEE10hipError_tPvRmT1_PNSt15iterator_traitsIS12_E10value_typeET2_T3_PNS13_IS18_E10value_typeET4_jRbjT5_S1E_jjP12ihipStream_tbEUljE_ZNSN_ISO_Lb1ESQ_SR_ST_SU_SY_EESZ_S10_S11_S12_S16_S17_S18_S1B_S1C_jS1D_jS1E_S1E_jjS1G_bEUljE0_EEESZ_S10_S11_S18_S1C_S1E_T6_T7_T9_mT8_S1G_bDpT10_ENKUlT_T0_E_clISt17integral_constantIbLb1EES1U_EEDaS1P_S1Q_EUlS1P_E_NS1_11comp_targetILNS1_3genE8ELNS1_11target_archE1030ELNS1_3gpuE2ELNS1_3repE0EEENS1_30default_config_static_selectorELNS0_4arch9wavefront6targetE0EEEvS12_.private_seg_size, 0
	.set _ZN7rocprim17ROCPRIM_400000_NS6detail17trampoline_kernelINS0_13select_configILj256ELj13ELNS0_17block_load_methodE3ELS4_3ELS4_3ELNS0_20block_scan_algorithmE0ELj4294967295EEENS1_25partition_config_selectorILNS1_17partition_subalgoE4EjNS0_10empty_typeEbEEZZNS1_14partition_implILS8_4ELb0ES6_15HIP_vector_typeIjLj2EENS0_17counting_iteratorIjlEEPS9_SG_NS0_5tupleIJPjSI_NS0_16reverse_iteratorISI_EEEEENSH_IJSG_SG_SG_EEES9_SI_JZNS1_25segmented_radix_sort_implINS0_14default_configELb1EPKdPdPKlPlN2at6native12_GLOBAL__N_18offset_tEEE10hipError_tPvRmT1_PNSt15iterator_traitsIS12_E10value_typeET2_T3_PNS13_IS18_E10value_typeET4_jRbjT5_S1E_jjP12ihipStream_tbEUljE_ZNSN_ISO_Lb1ESQ_SR_ST_SU_SY_EESZ_S10_S11_S12_S16_S17_S18_S1B_S1C_jS1D_jS1E_S1E_jjS1G_bEUljE0_EEESZ_S10_S11_S18_S1C_S1E_T6_T7_T9_mT8_S1G_bDpT10_ENKUlT_T0_E_clISt17integral_constantIbLb1EES1U_EEDaS1P_S1Q_EUlS1P_E_NS1_11comp_targetILNS1_3genE8ELNS1_11target_archE1030ELNS1_3gpuE2ELNS1_3repE0EEENS1_30default_config_static_selectorELNS0_4arch9wavefront6targetE0EEEvS12_.uses_vcc, 0
	.set _ZN7rocprim17ROCPRIM_400000_NS6detail17trampoline_kernelINS0_13select_configILj256ELj13ELNS0_17block_load_methodE3ELS4_3ELS4_3ELNS0_20block_scan_algorithmE0ELj4294967295EEENS1_25partition_config_selectorILNS1_17partition_subalgoE4EjNS0_10empty_typeEbEEZZNS1_14partition_implILS8_4ELb0ES6_15HIP_vector_typeIjLj2EENS0_17counting_iteratorIjlEEPS9_SG_NS0_5tupleIJPjSI_NS0_16reverse_iteratorISI_EEEEENSH_IJSG_SG_SG_EEES9_SI_JZNS1_25segmented_radix_sort_implINS0_14default_configELb1EPKdPdPKlPlN2at6native12_GLOBAL__N_18offset_tEEE10hipError_tPvRmT1_PNSt15iterator_traitsIS12_E10value_typeET2_T3_PNS13_IS18_E10value_typeET4_jRbjT5_S1E_jjP12ihipStream_tbEUljE_ZNSN_ISO_Lb1ESQ_SR_ST_SU_SY_EESZ_S10_S11_S12_S16_S17_S18_S1B_S1C_jS1D_jS1E_S1E_jjS1G_bEUljE0_EEESZ_S10_S11_S18_S1C_S1E_T6_T7_T9_mT8_S1G_bDpT10_ENKUlT_T0_E_clISt17integral_constantIbLb1EES1U_EEDaS1P_S1Q_EUlS1P_E_NS1_11comp_targetILNS1_3genE8ELNS1_11target_archE1030ELNS1_3gpuE2ELNS1_3repE0EEENS1_30default_config_static_selectorELNS0_4arch9wavefront6targetE0EEEvS12_.uses_flat_scratch, 0
	.set _ZN7rocprim17ROCPRIM_400000_NS6detail17trampoline_kernelINS0_13select_configILj256ELj13ELNS0_17block_load_methodE3ELS4_3ELS4_3ELNS0_20block_scan_algorithmE0ELj4294967295EEENS1_25partition_config_selectorILNS1_17partition_subalgoE4EjNS0_10empty_typeEbEEZZNS1_14partition_implILS8_4ELb0ES6_15HIP_vector_typeIjLj2EENS0_17counting_iteratorIjlEEPS9_SG_NS0_5tupleIJPjSI_NS0_16reverse_iteratorISI_EEEEENSH_IJSG_SG_SG_EEES9_SI_JZNS1_25segmented_radix_sort_implINS0_14default_configELb1EPKdPdPKlPlN2at6native12_GLOBAL__N_18offset_tEEE10hipError_tPvRmT1_PNSt15iterator_traitsIS12_E10value_typeET2_T3_PNS13_IS18_E10value_typeET4_jRbjT5_S1E_jjP12ihipStream_tbEUljE_ZNSN_ISO_Lb1ESQ_SR_ST_SU_SY_EESZ_S10_S11_S12_S16_S17_S18_S1B_S1C_jS1D_jS1E_S1E_jjS1G_bEUljE0_EEESZ_S10_S11_S18_S1C_S1E_T6_T7_T9_mT8_S1G_bDpT10_ENKUlT_T0_E_clISt17integral_constantIbLb1EES1U_EEDaS1P_S1Q_EUlS1P_E_NS1_11comp_targetILNS1_3genE8ELNS1_11target_archE1030ELNS1_3gpuE2ELNS1_3repE0EEENS1_30default_config_static_selectorELNS0_4arch9wavefront6targetE0EEEvS12_.has_dyn_sized_stack, 0
	.set _ZN7rocprim17ROCPRIM_400000_NS6detail17trampoline_kernelINS0_13select_configILj256ELj13ELNS0_17block_load_methodE3ELS4_3ELS4_3ELNS0_20block_scan_algorithmE0ELj4294967295EEENS1_25partition_config_selectorILNS1_17partition_subalgoE4EjNS0_10empty_typeEbEEZZNS1_14partition_implILS8_4ELb0ES6_15HIP_vector_typeIjLj2EENS0_17counting_iteratorIjlEEPS9_SG_NS0_5tupleIJPjSI_NS0_16reverse_iteratorISI_EEEEENSH_IJSG_SG_SG_EEES9_SI_JZNS1_25segmented_radix_sort_implINS0_14default_configELb1EPKdPdPKlPlN2at6native12_GLOBAL__N_18offset_tEEE10hipError_tPvRmT1_PNSt15iterator_traitsIS12_E10value_typeET2_T3_PNS13_IS18_E10value_typeET4_jRbjT5_S1E_jjP12ihipStream_tbEUljE_ZNSN_ISO_Lb1ESQ_SR_ST_SU_SY_EESZ_S10_S11_S12_S16_S17_S18_S1B_S1C_jS1D_jS1E_S1E_jjS1G_bEUljE0_EEESZ_S10_S11_S18_S1C_S1E_T6_T7_T9_mT8_S1G_bDpT10_ENKUlT_T0_E_clISt17integral_constantIbLb1EES1U_EEDaS1P_S1Q_EUlS1P_E_NS1_11comp_targetILNS1_3genE8ELNS1_11target_archE1030ELNS1_3gpuE2ELNS1_3repE0EEENS1_30default_config_static_selectorELNS0_4arch9wavefront6targetE0EEEvS12_.has_recursion, 0
	.set _ZN7rocprim17ROCPRIM_400000_NS6detail17trampoline_kernelINS0_13select_configILj256ELj13ELNS0_17block_load_methodE3ELS4_3ELS4_3ELNS0_20block_scan_algorithmE0ELj4294967295EEENS1_25partition_config_selectorILNS1_17partition_subalgoE4EjNS0_10empty_typeEbEEZZNS1_14partition_implILS8_4ELb0ES6_15HIP_vector_typeIjLj2EENS0_17counting_iteratorIjlEEPS9_SG_NS0_5tupleIJPjSI_NS0_16reverse_iteratorISI_EEEEENSH_IJSG_SG_SG_EEES9_SI_JZNS1_25segmented_radix_sort_implINS0_14default_configELb1EPKdPdPKlPlN2at6native12_GLOBAL__N_18offset_tEEE10hipError_tPvRmT1_PNSt15iterator_traitsIS12_E10value_typeET2_T3_PNS13_IS18_E10value_typeET4_jRbjT5_S1E_jjP12ihipStream_tbEUljE_ZNSN_ISO_Lb1ESQ_SR_ST_SU_SY_EESZ_S10_S11_S12_S16_S17_S18_S1B_S1C_jS1D_jS1E_S1E_jjS1G_bEUljE0_EEESZ_S10_S11_S18_S1C_S1E_T6_T7_T9_mT8_S1G_bDpT10_ENKUlT_T0_E_clISt17integral_constantIbLb1EES1U_EEDaS1P_S1Q_EUlS1P_E_NS1_11comp_targetILNS1_3genE8ELNS1_11target_archE1030ELNS1_3gpuE2ELNS1_3repE0EEENS1_30default_config_static_selectorELNS0_4arch9wavefront6targetE0EEEvS12_.has_indirect_call, 0
	.section	.AMDGPU.csdata,"",@progbits
; Kernel info:
; codeLenInByte = 4
; TotalNumSgprs: 0
; NumVgprs: 0
; ScratchSize: 0
; MemoryBound: 0
; FloatMode: 240
; IeeeMode: 1
; LDSByteSize: 0 bytes/workgroup (compile time only)
; SGPRBlocks: 0
; VGPRBlocks: 0
; NumSGPRsForWavesPerEU: 1
; NumVGPRsForWavesPerEU: 1
; Occupancy: 16
; WaveLimiterHint : 0
; COMPUTE_PGM_RSRC2:SCRATCH_EN: 0
; COMPUTE_PGM_RSRC2:USER_SGPR: 6
; COMPUTE_PGM_RSRC2:TRAP_HANDLER: 0
; COMPUTE_PGM_RSRC2:TGID_X_EN: 1
; COMPUTE_PGM_RSRC2:TGID_Y_EN: 0
; COMPUTE_PGM_RSRC2:TGID_Z_EN: 0
; COMPUTE_PGM_RSRC2:TIDIG_COMP_CNT: 0
	.section	.text._ZN7rocprim17ROCPRIM_400000_NS6detail17trampoline_kernelINS0_13select_configILj256ELj13ELNS0_17block_load_methodE3ELS4_3ELS4_3ELNS0_20block_scan_algorithmE0ELj4294967295EEENS1_25partition_config_selectorILNS1_17partition_subalgoE4EjNS0_10empty_typeEbEEZZNS1_14partition_implILS8_4ELb0ES6_15HIP_vector_typeIjLj2EENS0_17counting_iteratorIjlEEPS9_SG_NS0_5tupleIJPjSI_NS0_16reverse_iteratorISI_EEEEENSH_IJSG_SG_SG_EEES9_SI_JZNS1_25segmented_radix_sort_implINS0_14default_configELb1EPKdPdPKlPlN2at6native12_GLOBAL__N_18offset_tEEE10hipError_tPvRmT1_PNSt15iterator_traitsIS12_E10value_typeET2_T3_PNS13_IS18_E10value_typeET4_jRbjT5_S1E_jjP12ihipStream_tbEUljE_ZNSN_ISO_Lb1ESQ_SR_ST_SU_SY_EESZ_S10_S11_S12_S16_S17_S18_S1B_S1C_jS1D_jS1E_S1E_jjS1G_bEUljE0_EEESZ_S10_S11_S18_S1C_S1E_T6_T7_T9_mT8_S1G_bDpT10_ENKUlT_T0_E_clISt17integral_constantIbLb1EES1T_IbLb0EEEEDaS1P_S1Q_EUlS1P_E_NS1_11comp_targetILNS1_3genE0ELNS1_11target_archE4294967295ELNS1_3gpuE0ELNS1_3repE0EEENS1_30default_config_static_selectorELNS0_4arch9wavefront6targetE0EEEvS12_,"axG",@progbits,_ZN7rocprim17ROCPRIM_400000_NS6detail17trampoline_kernelINS0_13select_configILj256ELj13ELNS0_17block_load_methodE3ELS4_3ELS4_3ELNS0_20block_scan_algorithmE0ELj4294967295EEENS1_25partition_config_selectorILNS1_17partition_subalgoE4EjNS0_10empty_typeEbEEZZNS1_14partition_implILS8_4ELb0ES6_15HIP_vector_typeIjLj2EENS0_17counting_iteratorIjlEEPS9_SG_NS0_5tupleIJPjSI_NS0_16reverse_iteratorISI_EEEEENSH_IJSG_SG_SG_EEES9_SI_JZNS1_25segmented_radix_sort_implINS0_14default_configELb1EPKdPdPKlPlN2at6native12_GLOBAL__N_18offset_tEEE10hipError_tPvRmT1_PNSt15iterator_traitsIS12_E10value_typeET2_T3_PNS13_IS18_E10value_typeET4_jRbjT5_S1E_jjP12ihipStream_tbEUljE_ZNSN_ISO_Lb1ESQ_SR_ST_SU_SY_EESZ_S10_S11_S12_S16_S17_S18_S1B_S1C_jS1D_jS1E_S1E_jjS1G_bEUljE0_EEESZ_S10_S11_S18_S1C_S1E_T6_T7_T9_mT8_S1G_bDpT10_ENKUlT_T0_E_clISt17integral_constantIbLb1EES1T_IbLb0EEEEDaS1P_S1Q_EUlS1P_E_NS1_11comp_targetILNS1_3genE0ELNS1_11target_archE4294967295ELNS1_3gpuE0ELNS1_3repE0EEENS1_30default_config_static_selectorELNS0_4arch9wavefront6targetE0EEEvS12_,comdat
	.globl	_ZN7rocprim17ROCPRIM_400000_NS6detail17trampoline_kernelINS0_13select_configILj256ELj13ELNS0_17block_load_methodE3ELS4_3ELS4_3ELNS0_20block_scan_algorithmE0ELj4294967295EEENS1_25partition_config_selectorILNS1_17partition_subalgoE4EjNS0_10empty_typeEbEEZZNS1_14partition_implILS8_4ELb0ES6_15HIP_vector_typeIjLj2EENS0_17counting_iteratorIjlEEPS9_SG_NS0_5tupleIJPjSI_NS0_16reverse_iteratorISI_EEEEENSH_IJSG_SG_SG_EEES9_SI_JZNS1_25segmented_radix_sort_implINS0_14default_configELb1EPKdPdPKlPlN2at6native12_GLOBAL__N_18offset_tEEE10hipError_tPvRmT1_PNSt15iterator_traitsIS12_E10value_typeET2_T3_PNS13_IS18_E10value_typeET4_jRbjT5_S1E_jjP12ihipStream_tbEUljE_ZNSN_ISO_Lb1ESQ_SR_ST_SU_SY_EESZ_S10_S11_S12_S16_S17_S18_S1B_S1C_jS1D_jS1E_S1E_jjS1G_bEUljE0_EEESZ_S10_S11_S18_S1C_S1E_T6_T7_T9_mT8_S1G_bDpT10_ENKUlT_T0_E_clISt17integral_constantIbLb1EES1T_IbLb0EEEEDaS1P_S1Q_EUlS1P_E_NS1_11comp_targetILNS1_3genE0ELNS1_11target_archE4294967295ELNS1_3gpuE0ELNS1_3repE0EEENS1_30default_config_static_selectorELNS0_4arch9wavefront6targetE0EEEvS12_ ; -- Begin function _ZN7rocprim17ROCPRIM_400000_NS6detail17trampoline_kernelINS0_13select_configILj256ELj13ELNS0_17block_load_methodE3ELS4_3ELS4_3ELNS0_20block_scan_algorithmE0ELj4294967295EEENS1_25partition_config_selectorILNS1_17partition_subalgoE4EjNS0_10empty_typeEbEEZZNS1_14partition_implILS8_4ELb0ES6_15HIP_vector_typeIjLj2EENS0_17counting_iteratorIjlEEPS9_SG_NS0_5tupleIJPjSI_NS0_16reverse_iteratorISI_EEEEENSH_IJSG_SG_SG_EEES9_SI_JZNS1_25segmented_radix_sort_implINS0_14default_configELb1EPKdPdPKlPlN2at6native12_GLOBAL__N_18offset_tEEE10hipError_tPvRmT1_PNSt15iterator_traitsIS12_E10value_typeET2_T3_PNS13_IS18_E10value_typeET4_jRbjT5_S1E_jjP12ihipStream_tbEUljE_ZNSN_ISO_Lb1ESQ_SR_ST_SU_SY_EESZ_S10_S11_S12_S16_S17_S18_S1B_S1C_jS1D_jS1E_S1E_jjS1G_bEUljE0_EEESZ_S10_S11_S18_S1C_S1E_T6_T7_T9_mT8_S1G_bDpT10_ENKUlT_T0_E_clISt17integral_constantIbLb1EES1T_IbLb0EEEEDaS1P_S1Q_EUlS1P_E_NS1_11comp_targetILNS1_3genE0ELNS1_11target_archE4294967295ELNS1_3gpuE0ELNS1_3repE0EEENS1_30default_config_static_selectorELNS0_4arch9wavefront6targetE0EEEvS12_
	.p2align	8
	.type	_ZN7rocprim17ROCPRIM_400000_NS6detail17trampoline_kernelINS0_13select_configILj256ELj13ELNS0_17block_load_methodE3ELS4_3ELS4_3ELNS0_20block_scan_algorithmE0ELj4294967295EEENS1_25partition_config_selectorILNS1_17partition_subalgoE4EjNS0_10empty_typeEbEEZZNS1_14partition_implILS8_4ELb0ES6_15HIP_vector_typeIjLj2EENS0_17counting_iteratorIjlEEPS9_SG_NS0_5tupleIJPjSI_NS0_16reverse_iteratorISI_EEEEENSH_IJSG_SG_SG_EEES9_SI_JZNS1_25segmented_radix_sort_implINS0_14default_configELb1EPKdPdPKlPlN2at6native12_GLOBAL__N_18offset_tEEE10hipError_tPvRmT1_PNSt15iterator_traitsIS12_E10value_typeET2_T3_PNS13_IS18_E10value_typeET4_jRbjT5_S1E_jjP12ihipStream_tbEUljE_ZNSN_ISO_Lb1ESQ_SR_ST_SU_SY_EESZ_S10_S11_S12_S16_S17_S18_S1B_S1C_jS1D_jS1E_S1E_jjS1G_bEUljE0_EEESZ_S10_S11_S18_S1C_S1E_T6_T7_T9_mT8_S1G_bDpT10_ENKUlT_T0_E_clISt17integral_constantIbLb1EES1T_IbLb0EEEEDaS1P_S1Q_EUlS1P_E_NS1_11comp_targetILNS1_3genE0ELNS1_11target_archE4294967295ELNS1_3gpuE0ELNS1_3repE0EEENS1_30default_config_static_selectorELNS0_4arch9wavefront6targetE0EEEvS12_,@function
_ZN7rocprim17ROCPRIM_400000_NS6detail17trampoline_kernelINS0_13select_configILj256ELj13ELNS0_17block_load_methodE3ELS4_3ELS4_3ELNS0_20block_scan_algorithmE0ELj4294967295EEENS1_25partition_config_selectorILNS1_17partition_subalgoE4EjNS0_10empty_typeEbEEZZNS1_14partition_implILS8_4ELb0ES6_15HIP_vector_typeIjLj2EENS0_17counting_iteratorIjlEEPS9_SG_NS0_5tupleIJPjSI_NS0_16reverse_iteratorISI_EEEEENSH_IJSG_SG_SG_EEES9_SI_JZNS1_25segmented_radix_sort_implINS0_14default_configELb1EPKdPdPKlPlN2at6native12_GLOBAL__N_18offset_tEEE10hipError_tPvRmT1_PNSt15iterator_traitsIS12_E10value_typeET2_T3_PNS13_IS18_E10value_typeET4_jRbjT5_S1E_jjP12ihipStream_tbEUljE_ZNSN_ISO_Lb1ESQ_SR_ST_SU_SY_EESZ_S10_S11_S12_S16_S17_S18_S1B_S1C_jS1D_jS1E_S1E_jjS1G_bEUljE0_EEESZ_S10_S11_S18_S1C_S1E_T6_T7_T9_mT8_S1G_bDpT10_ENKUlT_T0_E_clISt17integral_constantIbLb1EES1T_IbLb0EEEEDaS1P_S1Q_EUlS1P_E_NS1_11comp_targetILNS1_3genE0ELNS1_11target_archE4294967295ELNS1_3gpuE0ELNS1_3repE0EEENS1_30default_config_static_selectorELNS0_4arch9wavefront6targetE0EEEvS12_: ; @_ZN7rocprim17ROCPRIM_400000_NS6detail17trampoline_kernelINS0_13select_configILj256ELj13ELNS0_17block_load_methodE3ELS4_3ELS4_3ELNS0_20block_scan_algorithmE0ELj4294967295EEENS1_25partition_config_selectorILNS1_17partition_subalgoE4EjNS0_10empty_typeEbEEZZNS1_14partition_implILS8_4ELb0ES6_15HIP_vector_typeIjLj2EENS0_17counting_iteratorIjlEEPS9_SG_NS0_5tupleIJPjSI_NS0_16reverse_iteratorISI_EEEEENSH_IJSG_SG_SG_EEES9_SI_JZNS1_25segmented_radix_sort_implINS0_14default_configELb1EPKdPdPKlPlN2at6native12_GLOBAL__N_18offset_tEEE10hipError_tPvRmT1_PNSt15iterator_traitsIS12_E10value_typeET2_T3_PNS13_IS18_E10value_typeET4_jRbjT5_S1E_jjP12ihipStream_tbEUljE_ZNSN_ISO_Lb1ESQ_SR_ST_SU_SY_EESZ_S10_S11_S12_S16_S17_S18_S1B_S1C_jS1D_jS1E_S1E_jjS1G_bEUljE0_EEESZ_S10_S11_S18_S1C_S1E_T6_T7_T9_mT8_S1G_bDpT10_ENKUlT_T0_E_clISt17integral_constantIbLb1EES1T_IbLb0EEEEDaS1P_S1Q_EUlS1P_E_NS1_11comp_targetILNS1_3genE0ELNS1_11target_archE4294967295ELNS1_3gpuE0ELNS1_3repE0EEENS1_30default_config_static_selectorELNS0_4arch9wavefront6targetE0EEEvS12_
; %bb.0:
	.section	.rodata,"a",@progbits
	.p2align	6, 0x0
	.amdhsa_kernel _ZN7rocprim17ROCPRIM_400000_NS6detail17trampoline_kernelINS0_13select_configILj256ELj13ELNS0_17block_load_methodE3ELS4_3ELS4_3ELNS0_20block_scan_algorithmE0ELj4294967295EEENS1_25partition_config_selectorILNS1_17partition_subalgoE4EjNS0_10empty_typeEbEEZZNS1_14partition_implILS8_4ELb0ES6_15HIP_vector_typeIjLj2EENS0_17counting_iteratorIjlEEPS9_SG_NS0_5tupleIJPjSI_NS0_16reverse_iteratorISI_EEEEENSH_IJSG_SG_SG_EEES9_SI_JZNS1_25segmented_radix_sort_implINS0_14default_configELb1EPKdPdPKlPlN2at6native12_GLOBAL__N_18offset_tEEE10hipError_tPvRmT1_PNSt15iterator_traitsIS12_E10value_typeET2_T3_PNS13_IS18_E10value_typeET4_jRbjT5_S1E_jjP12ihipStream_tbEUljE_ZNSN_ISO_Lb1ESQ_SR_ST_SU_SY_EESZ_S10_S11_S12_S16_S17_S18_S1B_S1C_jS1D_jS1E_S1E_jjS1G_bEUljE0_EEESZ_S10_S11_S18_S1C_S1E_T6_T7_T9_mT8_S1G_bDpT10_ENKUlT_T0_E_clISt17integral_constantIbLb1EES1T_IbLb0EEEEDaS1P_S1Q_EUlS1P_E_NS1_11comp_targetILNS1_3genE0ELNS1_11target_archE4294967295ELNS1_3gpuE0ELNS1_3repE0EEENS1_30default_config_static_selectorELNS0_4arch9wavefront6targetE0EEEvS12_
		.amdhsa_group_segment_fixed_size 0
		.amdhsa_private_segment_fixed_size 0
		.amdhsa_kernarg_size 176
		.amdhsa_user_sgpr_count 6
		.amdhsa_user_sgpr_private_segment_buffer 1
		.amdhsa_user_sgpr_dispatch_ptr 0
		.amdhsa_user_sgpr_queue_ptr 0
		.amdhsa_user_sgpr_kernarg_segment_ptr 1
		.amdhsa_user_sgpr_dispatch_id 0
		.amdhsa_user_sgpr_flat_scratch_init 0
		.amdhsa_user_sgpr_private_segment_size 0
		.amdhsa_wavefront_size32 1
		.amdhsa_uses_dynamic_stack 0
		.amdhsa_system_sgpr_private_segment_wavefront_offset 0
		.amdhsa_system_sgpr_workgroup_id_x 1
		.amdhsa_system_sgpr_workgroup_id_y 0
		.amdhsa_system_sgpr_workgroup_id_z 0
		.amdhsa_system_sgpr_workgroup_info 0
		.amdhsa_system_vgpr_workitem_id 0
		.amdhsa_next_free_vgpr 1
		.amdhsa_next_free_sgpr 1
		.amdhsa_reserve_vcc 0
		.amdhsa_reserve_flat_scratch 0
		.amdhsa_float_round_mode_32 0
		.amdhsa_float_round_mode_16_64 0
		.amdhsa_float_denorm_mode_32 3
		.amdhsa_float_denorm_mode_16_64 3
		.amdhsa_dx10_clamp 1
		.amdhsa_ieee_mode 1
		.amdhsa_fp16_overflow 0
		.amdhsa_workgroup_processor_mode 1
		.amdhsa_memory_ordered 1
		.amdhsa_forward_progress 1
		.amdhsa_shared_vgpr_count 0
		.amdhsa_exception_fp_ieee_invalid_op 0
		.amdhsa_exception_fp_denorm_src 0
		.amdhsa_exception_fp_ieee_div_zero 0
		.amdhsa_exception_fp_ieee_overflow 0
		.amdhsa_exception_fp_ieee_underflow 0
		.amdhsa_exception_fp_ieee_inexact 0
		.amdhsa_exception_int_div_zero 0
	.end_amdhsa_kernel
	.section	.text._ZN7rocprim17ROCPRIM_400000_NS6detail17trampoline_kernelINS0_13select_configILj256ELj13ELNS0_17block_load_methodE3ELS4_3ELS4_3ELNS0_20block_scan_algorithmE0ELj4294967295EEENS1_25partition_config_selectorILNS1_17partition_subalgoE4EjNS0_10empty_typeEbEEZZNS1_14partition_implILS8_4ELb0ES6_15HIP_vector_typeIjLj2EENS0_17counting_iteratorIjlEEPS9_SG_NS0_5tupleIJPjSI_NS0_16reverse_iteratorISI_EEEEENSH_IJSG_SG_SG_EEES9_SI_JZNS1_25segmented_radix_sort_implINS0_14default_configELb1EPKdPdPKlPlN2at6native12_GLOBAL__N_18offset_tEEE10hipError_tPvRmT1_PNSt15iterator_traitsIS12_E10value_typeET2_T3_PNS13_IS18_E10value_typeET4_jRbjT5_S1E_jjP12ihipStream_tbEUljE_ZNSN_ISO_Lb1ESQ_SR_ST_SU_SY_EESZ_S10_S11_S12_S16_S17_S18_S1B_S1C_jS1D_jS1E_S1E_jjS1G_bEUljE0_EEESZ_S10_S11_S18_S1C_S1E_T6_T7_T9_mT8_S1G_bDpT10_ENKUlT_T0_E_clISt17integral_constantIbLb1EES1T_IbLb0EEEEDaS1P_S1Q_EUlS1P_E_NS1_11comp_targetILNS1_3genE0ELNS1_11target_archE4294967295ELNS1_3gpuE0ELNS1_3repE0EEENS1_30default_config_static_selectorELNS0_4arch9wavefront6targetE0EEEvS12_,"axG",@progbits,_ZN7rocprim17ROCPRIM_400000_NS6detail17trampoline_kernelINS0_13select_configILj256ELj13ELNS0_17block_load_methodE3ELS4_3ELS4_3ELNS0_20block_scan_algorithmE0ELj4294967295EEENS1_25partition_config_selectorILNS1_17partition_subalgoE4EjNS0_10empty_typeEbEEZZNS1_14partition_implILS8_4ELb0ES6_15HIP_vector_typeIjLj2EENS0_17counting_iteratorIjlEEPS9_SG_NS0_5tupleIJPjSI_NS0_16reverse_iteratorISI_EEEEENSH_IJSG_SG_SG_EEES9_SI_JZNS1_25segmented_radix_sort_implINS0_14default_configELb1EPKdPdPKlPlN2at6native12_GLOBAL__N_18offset_tEEE10hipError_tPvRmT1_PNSt15iterator_traitsIS12_E10value_typeET2_T3_PNS13_IS18_E10value_typeET4_jRbjT5_S1E_jjP12ihipStream_tbEUljE_ZNSN_ISO_Lb1ESQ_SR_ST_SU_SY_EESZ_S10_S11_S12_S16_S17_S18_S1B_S1C_jS1D_jS1E_S1E_jjS1G_bEUljE0_EEESZ_S10_S11_S18_S1C_S1E_T6_T7_T9_mT8_S1G_bDpT10_ENKUlT_T0_E_clISt17integral_constantIbLb1EES1T_IbLb0EEEEDaS1P_S1Q_EUlS1P_E_NS1_11comp_targetILNS1_3genE0ELNS1_11target_archE4294967295ELNS1_3gpuE0ELNS1_3repE0EEENS1_30default_config_static_selectorELNS0_4arch9wavefront6targetE0EEEvS12_,comdat
.Lfunc_end1062:
	.size	_ZN7rocprim17ROCPRIM_400000_NS6detail17trampoline_kernelINS0_13select_configILj256ELj13ELNS0_17block_load_methodE3ELS4_3ELS4_3ELNS0_20block_scan_algorithmE0ELj4294967295EEENS1_25partition_config_selectorILNS1_17partition_subalgoE4EjNS0_10empty_typeEbEEZZNS1_14partition_implILS8_4ELb0ES6_15HIP_vector_typeIjLj2EENS0_17counting_iteratorIjlEEPS9_SG_NS0_5tupleIJPjSI_NS0_16reverse_iteratorISI_EEEEENSH_IJSG_SG_SG_EEES9_SI_JZNS1_25segmented_radix_sort_implINS0_14default_configELb1EPKdPdPKlPlN2at6native12_GLOBAL__N_18offset_tEEE10hipError_tPvRmT1_PNSt15iterator_traitsIS12_E10value_typeET2_T3_PNS13_IS18_E10value_typeET4_jRbjT5_S1E_jjP12ihipStream_tbEUljE_ZNSN_ISO_Lb1ESQ_SR_ST_SU_SY_EESZ_S10_S11_S12_S16_S17_S18_S1B_S1C_jS1D_jS1E_S1E_jjS1G_bEUljE0_EEESZ_S10_S11_S18_S1C_S1E_T6_T7_T9_mT8_S1G_bDpT10_ENKUlT_T0_E_clISt17integral_constantIbLb1EES1T_IbLb0EEEEDaS1P_S1Q_EUlS1P_E_NS1_11comp_targetILNS1_3genE0ELNS1_11target_archE4294967295ELNS1_3gpuE0ELNS1_3repE0EEENS1_30default_config_static_selectorELNS0_4arch9wavefront6targetE0EEEvS12_, .Lfunc_end1062-_ZN7rocprim17ROCPRIM_400000_NS6detail17trampoline_kernelINS0_13select_configILj256ELj13ELNS0_17block_load_methodE3ELS4_3ELS4_3ELNS0_20block_scan_algorithmE0ELj4294967295EEENS1_25partition_config_selectorILNS1_17partition_subalgoE4EjNS0_10empty_typeEbEEZZNS1_14partition_implILS8_4ELb0ES6_15HIP_vector_typeIjLj2EENS0_17counting_iteratorIjlEEPS9_SG_NS0_5tupleIJPjSI_NS0_16reverse_iteratorISI_EEEEENSH_IJSG_SG_SG_EEES9_SI_JZNS1_25segmented_radix_sort_implINS0_14default_configELb1EPKdPdPKlPlN2at6native12_GLOBAL__N_18offset_tEEE10hipError_tPvRmT1_PNSt15iterator_traitsIS12_E10value_typeET2_T3_PNS13_IS18_E10value_typeET4_jRbjT5_S1E_jjP12ihipStream_tbEUljE_ZNSN_ISO_Lb1ESQ_SR_ST_SU_SY_EESZ_S10_S11_S12_S16_S17_S18_S1B_S1C_jS1D_jS1E_S1E_jjS1G_bEUljE0_EEESZ_S10_S11_S18_S1C_S1E_T6_T7_T9_mT8_S1G_bDpT10_ENKUlT_T0_E_clISt17integral_constantIbLb1EES1T_IbLb0EEEEDaS1P_S1Q_EUlS1P_E_NS1_11comp_targetILNS1_3genE0ELNS1_11target_archE4294967295ELNS1_3gpuE0ELNS1_3repE0EEENS1_30default_config_static_selectorELNS0_4arch9wavefront6targetE0EEEvS12_
                                        ; -- End function
	.set _ZN7rocprim17ROCPRIM_400000_NS6detail17trampoline_kernelINS0_13select_configILj256ELj13ELNS0_17block_load_methodE3ELS4_3ELS4_3ELNS0_20block_scan_algorithmE0ELj4294967295EEENS1_25partition_config_selectorILNS1_17partition_subalgoE4EjNS0_10empty_typeEbEEZZNS1_14partition_implILS8_4ELb0ES6_15HIP_vector_typeIjLj2EENS0_17counting_iteratorIjlEEPS9_SG_NS0_5tupleIJPjSI_NS0_16reverse_iteratorISI_EEEEENSH_IJSG_SG_SG_EEES9_SI_JZNS1_25segmented_radix_sort_implINS0_14default_configELb1EPKdPdPKlPlN2at6native12_GLOBAL__N_18offset_tEEE10hipError_tPvRmT1_PNSt15iterator_traitsIS12_E10value_typeET2_T3_PNS13_IS18_E10value_typeET4_jRbjT5_S1E_jjP12ihipStream_tbEUljE_ZNSN_ISO_Lb1ESQ_SR_ST_SU_SY_EESZ_S10_S11_S12_S16_S17_S18_S1B_S1C_jS1D_jS1E_S1E_jjS1G_bEUljE0_EEESZ_S10_S11_S18_S1C_S1E_T6_T7_T9_mT8_S1G_bDpT10_ENKUlT_T0_E_clISt17integral_constantIbLb1EES1T_IbLb0EEEEDaS1P_S1Q_EUlS1P_E_NS1_11comp_targetILNS1_3genE0ELNS1_11target_archE4294967295ELNS1_3gpuE0ELNS1_3repE0EEENS1_30default_config_static_selectorELNS0_4arch9wavefront6targetE0EEEvS12_.num_vgpr, 0
	.set _ZN7rocprim17ROCPRIM_400000_NS6detail17trampoline_kernelINS0_13select_configILj256ELj13ELNS0_17block_load_methodE3ELS4_3ELS4_3ELNS0_20block_scan_algorithmE0ELj4294967295EEENS1_25partition_config_selectorILNS1_17partition_subalgoE4EjNS0_10empty_typeEbEEZZNS1_14partition_implILS8_4ELb0ES6_15HIP_vector_typeIjLj2EENS0_17counting_iteratorIjlEEPS9_SG_NS0_5tupleIJPjSI_NS0_16reverse_iteratorISI_EEEEENSH_IJSG_SG_SG_EEES9_SI_JZNS1_25segmented_radix_sort_implINS0_14default_configELb1EPKdPdPKlPlN2at6native12_GLOBAL__N_18offset_tEEE10hipError_tPvRmT1_PNSt15iterator_traitsIS12_E10value_typeET2_T3_PNS13_IS18_E10value_typeET4_jRbjT5_S1E_jjP12ihipStream_tbEUljE_ZNSN_ISO_Lb1ESQ_SR_ST_SU_SY_EESZ_S10_S11_S12_S16_S17_S18_S1B_S1C_jS1D_jS1E_S1E_jjS1G_bEUljE0_EEESZ_S10_S11_S18_S1C_S1E_T6_T7_T9_mT8_S1G_bDpT10_ENKUlT_T0_E_clISt17integral_constantIbLb1EES1T_IbLb0EEEEDaS1P_S1Q_EUlS1P_E_NS1_11comp_targetILNS1_3genE0ELNS1_11target_archE4294967295ELNS1_3gpuE0ELNS1_3repE0EEENS1_30default_config_static_selectorELNS0_4arch9wavefront6targetE0EEEvS12_.num_agpr, 0
	.set _ZN7rocprim17ROCPRIM_400000_NS6detail17trampoline_kernelINS0_13select_configILj256ELj13ELNS0_17block_load_methodE3ELS4_3ELS4_3ELNS0_20block_scan_algorithmE0ELj4294967295EEENS1_25partition_config_selectorILNS1_17partition_subalgoE4EjNS0_10empty_typeEbEEZZNS1_14partition_implILS8_4ELb0ES6_15HIP_vector_typeIjLj2EENS0_17counting_iteratorIjlEEPS9_SG_NS0_5tupleIJPjSI_NS0_16reverse_iteratorISI_EEEEENSH_IJSG_SG_SG_EEES9_SI_JZNS1_25segmented_radix_sort_implINS0_14default_configELb1EPKdPdPKlPlN2at6native12_GLOBAL__N_18offset_tEEE10hipError_tPvRmT1_PNSt15iterator_traitsIS12_E10value_typeET2_T3_PNS13_IS18_E10value_typeET4_jRbjT5_S1E_jjP12ihipStream_tbEUljE_ZNSN_ISO_Lb1ESQ_SR_ST_SU_SY_EESZ_S10_S11_S12_S16_S17_S18_S1B_S1C_jS1D_jS1E_S1E_jjS1G_bEUljE0_EEESZ_S10_S11_S18_S1C_S1E_T6_T7_T9_mT8_S1G_bDpT10_ENKUlT_T0_E_clISt17integral_constantIbLb1EES1T_IbLb0EEEEDaS1P_S1Q_EUlS1P_E_NS1_11comp_targetILNS1_3genE0ELNS1_11target_archE4294967295ELNS1_3gpuE0ELNS1_3repE0EEENS1_30default_config_static_selectorELNS0_4arch9wavefront6targetE0EEEvS12_.numbered_sgpr, 0
	.set _ZN7rocprim17ROCPRIM_400000_NS6detail17trampoline_kernelINS0_13select_configILj256ELj13ELNS0_17block_load_methodE3ELS4_3ELS4_3ELNS0_20block_scan_algorithmE0ELj4294967295EEENS1_25partition_config_selectorILNS1_17partition_subalgoE4EjNS0_10empty_typeEbEEZZNS1_14partition_implILS8_4ELb0ES6_15HIP_vector_typeIjLj2EENS0_17counting_iteratorIjlEEPS9_SG_NS0_5tupleIJPjSI_NS0_16reverse_iteratorISI_EEEEENSH_IJSG_SG_SG_EEES9_SI_JZNS1_25segmented_radix_sort_implINS0_14default_configELb1EPKdPdPKlPlN2at6native12_GLOBAL__N_18offset_tEEE10hipError_tPvRmT1_PNSt15iterator_traitsIS12_E10value_typeET2_T3_PNS13_IS18_E10value_typeET4_jRbjT5_S1E_jjP12ihipStream_tbEUljE_ZNSN_ISO_Lb1ESQ_SR_ST_SU_SY_EESZ_S10_S11_S12_S16_S17_S18_S1B_S1C_jS1D_jS1E_S1E_jjS1G_bEUljE0_EEESZ_S10_S11_S18_S1C_S1E_T6_T7_T9_mT8_S1G_bDpT10_ENKUlT_T0_E_clISt17integral_constantIbLb1EES1T_IbLb0EEEEDaS1P_S1Q_EUlS1P_E_NS1_11comp_targetILNS1_3genE0ELNS1_11target_archE4294967295ELNS1_3gpuE0ELNS1_3repE0EEENS1_30default_config_static_selectorELNS0_4arch9wavefront6targetE0EEEvS12_.num_named_barrier, 0
	.set _ZN7rocprim17ROCPRIM_400000_NS6detail17trampoline_kernelINS0_13select_configILj256ELj13ELNS0_17block_load_methodE3ELS4_3ELS4_3ELNS0_20block_scan_algorithmE0ELj4294967295EEENS1_25partition_config_selectorILNS1_17partition_subalgoE4EjNS0_10empty_typeEbEEZZNS1_14partition_implILS8_4ELb0ES6_15HIP_vector_typeIjLj2EENS0_17counting_iteratorIjlEEPS9_SG_NS0_5tupleIJPjSI_NS0_16reverse_iteratorISI_EEEEENSH_IJSG_SG_SG_EEES9_SI_JZNS1_25segmented_radix_sort_implINS0_14default_configELb1EPKdPdPKlPlN2at6native12_GLOBAL__N_18offset_tEEE10hipError_tPvRmT1_PNSt15iterator_traitsIS12_E10value_typeET2_T3_PNS13_IS18_E10value_typeET4_jRbjT5_S1E_jjP12ihipStream_tbEUljE_ZNSN_ISO_Lb1ESQ_SR_ST_SU_SY_EESZ_S10_S11_S12_S16_S17_S18_S1B_S1C_jS1D_jS1E_S1E_jjS1G_bEUljE0_EEESZ_S10_S11_S18_S1C_S1E_T6_T7_T9_mT8_S1G_bDpT10_ENKUlT_T0_E_clISt17integral_constantIbLb1EES1T_IbLb0EEEEDaS1P_S1Q_EUlS1P_E_NS1_11comp_targetILNS1_3genE0ELNS1_11target_archE4294967295ELNS1_3gpuE0ELNS1_3repE0EEENS1_30default_config_static_selectorELNS0_4arch9wavefront6targetE0EEEvS12_.private_seg_size, 0
	.set _ZN7rocprim17ROCPRIM_400000_NS6detail17trampoline_kernelINS0_13select_configILj256ELj13ELNS0_17block_load_methodE3ELS4_3ELS4_3ELNS0_20block_scan_algorithmE0ELj4294967295EEENS1_25partition_config_selectorILNS1_17partition_subalgoE4EjNS0_10empty_typeEbEEZZNS1_14partition_implILS8_4ELb0ES6_15HIP_vector_typeIjLj2EENS0_17counting_iteratorIjlEEPS9_SG_NS0_5tupleIJPjSI_NS0_16reverse_iteratorISI_EEEEENSH_IJSG_SG_SG_EEES9_SI_JZNS1_25segmented_radix_sort_implINS0_14default_configELb1EPKdPdPKlPlN2at6native12_GLOBAL__N_18offset_tEEE10hipError_tPvRmT1_PNSt15iterator_traitsIS12_E10value_typeET2_T3_PNS13_IS18_E10value_typeET4_jRbjT5_S1E_jjP12ihipStream_tbEUljE_ZNSN_ISO_Lb1ESQ_SR_ST_SU_SY_EESZ_S10_S11_S12_S16_S17_S18_S1B_S1C_jS1D_jS1E_S1E_jjS1G_bEUljE0_EEESZ_S10_S11_S18_S1C_S1E_T6_T7_T9_mT8_S1G_bDpT10_ENKUlT_T0_E_clISt17integral_constantIbLb1EES1T_IbLb0EEEEDaS1P_S1Q_EUlS1P_E_NS1_11comp_targetILNS1_3genE0ELNS1_11target_archE4294967295ELNS1_3gpuE0ELNS1_3repE0EEENS1_30default_config_static_selectorELNS0_4arch9wavefront6targetE0EEEvS12_.uses_vcc, 0
	.set _ZN7rocprim17ROCPRIM_400000_NS6detail17trampoline_kernelINS0_13select_configILj256ELj13ELNS0_17block_load_methodE3ELS4_3ELS4_3ELNS0_20block_scan_algorithmE0ELj4294967295EEENS1_25partition_config_selectorILNS1_17partition_subalgoE4EjNS0_10empty_typeEbEEZZNS1_14partition_implILS8_4ELb0ES6_15HIP_vector_typeIjLj2EENS0_17counting_iteratorIjlEEPS9_SG_NS0_5tupleIJPjSI_NS0_16reverse_iteratorISI_EEEEENSH_IJSG_SG_SG_EEES9_SI_JZNS1_25segmented_radix_sort_implINS0_14default_configELb1EPKdPdPKlPlN2at6native12_GLOBAL__N_18offset_tEEE10hipError_tPvRmT1_PNSt15iterator_traitsIS12_E10value_typeET2_T3_PNS13_IS18_E10value_typeET4_jRbjT5_S1E_jjP12ihipStream_tbEUljE_ZNSN_ISO_Lb1ESQ_SR_ST_SU_SY_EESZ_S10_S11_S12_S16_S17_S18_S1B_S1C_jS1D_jS1E_S1E_jjS1G_bEUljE0_EEESZ_S10_S11_S18_S1C_S1E_T6_T7_T9_mT8_S1G_bDpT10_ENKUlT_T0_E_clISt17integral_constantIbLb1EES1T_IbLb0EEEEDaS1P_S1Q_EUlS1P_E_NS1_11comp_targetILNS1_3genE0ELNS1_11target_archE4294967295ELNS1_3gpuE0ELNS1_3repE0EEENS1_30default_config_static_selectorELNS0_4arch9wavefront6targetE0EEEvS12_.uses_flat_scratch, 0
	.set _ZN7rocprim17ROCPRIM_400000_NS6detail17trampoline_kernelINS0_13select_configILj256ELj13ELNS0_17block_load_methodE3ELS4_3ELS4_3ELNS0_20block_scan_algorithmE0ELj4294967295EEENS1_25partition_config_selectorILNS1_17partition_subalgoE4EjNS0_10empty_typeEbEEZZNS1_14partition_implILS8_4ELb0ES6_15HIP_vector_typeIjLj2EENS0_17counting_iteratorIjlEEPS9_SG_NS0_5tupleIJPjSI_NS0_16reverse_iteratorISI_EEEEENSH_IJSG_SG_SG_EEES9_SI_JZNS1_25segmented_radix_sort_implINS0_14default_configELb1EPKdPdPKlPlN2at6native12_GLOBAL__N_18offset_tEEE10hipError_tPvRmT1_PNSt15iterator_traitsIS12_E10value_typeET2_T3_PNS13_IS18_E10value_typeET4_jRbjT5_S1E_jjP12ihipStream_tbEUljE_ZNSN_ISO_Lb1ESQ_SR_ST_SU_SY_EESZ_S10_S11_S12_S16_S17_S18_S1B_S1C_jS1D_jS1E_S1E_jjS1G_bEUljE0_EEESZ_S10_S11_S18_S1C_S1E_T6_T7_T9_mT8_S1G_bDpT10_ENKUlT_T0_E_clISt17integral_constantIbLb1EES1T_IbLb0EEEEDaS1P_S1Q_EUlS1P_E_NS1_11comp_targetILNS1_3genE0ELNS1_11target_archE4294967295ELNS1_3gpuE0ELNS1_3repE0EEENS1_30default_config_static_selectorELNS0_4arch9wavefront6targetE0EEEvS12_.has_dyn_sized_stack, 0
	.set _ZN7rocprim17ROCPRIM_400000_NS6detail17trampoline_kernelINS0_13select_configILj256ELj13ELNS0_17block_load_methodE3ELS4_3ELS4_3ELNS0_20block_scan_algorithmE0ELj4294967295EEENS1_25partition_config_selectorILNS1_17partition_subalgoE4EjNS0_10empty_typeEbEEZZNS1_14partition_implILS8_4ELb0ES6_15HIP_vector_typeIjLj2EENS0_17counting_iteratorIjlEEPS9_SG_NS0_5tupleIJPjSI_NS0_16reverse_iteratorISI_EEEEENSH_IJSG_SG_SG_EEES9_SI_JZNS1_25segmented_radix_sort_implINS0_14default_configELb1EPKdPdPKlPlN2at6native12_GLOBAL__N_18offset_tEEE10hipError_tPvRmT1_PNSt15iterator_traitsIS12_E10value_typeET2_T3_PNS13_IS18_E10value_typeET4_jRbjT5_S1E_jjP12ihipStream_tbEUljE_ZNSN_ISO_Lb1ESQ_SR_ST_SU_SY_EESZ_S10_S11_S12_S16_S17_S18_S1B_S1C_jS1D_jS1E_S1E_jjS1G_bEUljE0_EEESZ_S10_S11_S18_S1C_S1E_T6_T7_T9_mT8_S1G_bDpT10_ENKUlT_T0_E_clISt17integral_constantIbLb1EES1T_IbLb0EEEEDaS1P_S1Q_EUlS1P_E_NS1_11comp_targetILNS1_3genE0ELNS1_11target_archE4294967295ELNS1_3gpuE0ELNS1_3repE0EEENS1_30default_config_static_selectorELNS0_4arch9wavefront6targetE0EEEvS12_.has_recursion, 0
	.set _ZN7rocprim17ROCPRIM_400000_NS6detail17trampoline_kernelINS0_13select_configILj256ELj13ELNS0_17block_load_methodE3ELS4_3ELS4_3ELNS0_20block_scan_algorithmE0ELj4294967295EEENS1_25partition_config_selectorILNS1_17partition_subalgoE4EjNS0_10empty_typeEbEEZZNS1_14partition_implILS8_4ELb0ES6_15HIP_vector_typeIjLj2EENS0_17counting_iteratorIjlEEPS9_SG_NS0_5tupleIJPjSI_NS0_16reverse_iteratorISI_EEEEENSH_IJSG_SG_SG_EEES9_SI_JZNS1_25segmented_radix_sort_implINS0_14default_configELb1EPKdPdPKlPlN2at6native12_GLOBAL__N_18offset_tEEE10hipError_tPvRmT1_PNSt15iterator_traitsIS12_E10value_typeET2_T3_PNS13_IS18_E10value_typeET4_jRbjT5_S1E_jjP12ihipStream_tbEUljE_ZNSN_ISO_Lb1ESQ_SR_ST_SU_SY_EESZ_S10_S11_S12_S16_S17_S18_S1B_S1C_jS1D_jS1E_S1E_jjS1G_bEUljE0_EEESZ_S10_S11_S18_S1C_S1E_T6_T7_T9_mT8_S1G_bDpT10_ENKUlT_T0_E_clISt17integral_constantIbLb1EES1T_IbLb0EEEEDaS1P_S1Q_EUlS1P_E_NS1_11comp_targetILNS1_3genE0ELNS1_11target_archE4294967295ELNS1_3gpuE0ELNS1_3repE0EEENS1_30default_config_static_selectorELNS0_4arch9wavefront6targetE0EEEvS12_.has_indirect_call, 0
	.section	.AMDGPU.csdata,"",@progbits
; Kernel info:
; codeLenInByte = 0
; TotalNumSgprs: 0
; NumVgprs: 0
; ScratchSize: 0
; MemoryBound: 0
; FloatMode: 240
; IeeeMode: 1
; LDSByteSize: 0 bytes/workgroup (compile time only)
; SGPRBlocks: 0
; VGPRBlocks: 0
; NumSGPRsForWavesPerEU: 1
; NumVGPRsForWavesPerEU: 1
; Occupancy: 16
; WaveLimiterHint : 0
; COMPUTE_PGM_RSRC2:SCRATCH_EN: 0
; COMPUTE_PGM_RSRC2:USER_SGPR: 6
; COMPUTE_PGM_RSRC2:TRAP_HANDLER: 0
; COMPUTE_PGM_RSRC2:TGID_X_EN: 1
; COMPUTE_PGM_RSRC2:TGID_Y_EN: 0
; COMPUTE_PGM_RSRC2:TGID_Z_EN: 0
; COMPUTE_PGM_RSRC2:TIDIG_COMP_CNT: 0
	.section	.text._ZN7rocprim17ROCPRIM_400000_NS6detail17trampoline_kernelINS0_13select_configILj256ELj13ELNS0_17block_load_methodE3ELS4_3ELS4_3ELNS0_20block_scan_algorithmE0ELj4294967295EEENS1_25partition_config_selectorILNS1_17partition_subalgoE4EjNS0_10empty_typeEbEEZZNS1_14partition_implILS8_4ELb0ES6_15HIP_vector_typeIjLj2EENS0_17counting_iteratorIjlEEPS9_SG_NS0_5tupleIJPjSI_NS0_16reverse_iteratorISI_EEEEENSH_IJSG_SG_SG_EEES9_SI_JZNS1_25segmented_radix_sort_implINS0_14default_configELb1EPKdPdPKlPlN2at6native12_GLOBAL__N_18offset_tEEE10hipError_tPvRmT1_PNSt15iterator_traitsIS12_E10value_typeET2_T3_PNS13_IS18_E10value_typeET4_jRbjT5_S1E_jjP12ihipStream_tbEUljE_ZNSN_ISO_Lb1ESQ_SR_ST_SU_SY_EESZ_S10_S11_S12_S16_S17_S18_S1B_S1C_jS1D_jS1E_S1E_jjS1G_bEUljE0_EEESZ_S10_S11_S18_S1C_S1E_T6_T7_T9_mT8_S1G_bDpT10_ENKUlT_T0_E_clISt17integral_constantIbLb1EES1T_IbLb0EEEEDaS1P_S1Q_EUlS1P_E_NS1_11comp_targetILNS1_3genE5ELNS1_11target_archE942ELNS1_3gpuE9ELNS1_3repE0EEENS1_30default_config_static_selectorELNS0_4arch9wavefront6targetE0EEEvS12_,"axG",@progbits,_ZN7rocprim17ROCPRIM_400000_NS6detail17trampoline_kernelINS0_13select_configILj256ELj13ELNS0_17block_load_methodE3ELS4_3ELS4_3ELNS0_20block_scan_algorithmE0ELj4294967295EEENS1_25partition_config_selectorILNS1_17partition_subalgoE4EjNS0_10empty_typeEbEEZZNS1_14partition_implILS8_4ELb0ES6_15HIP_vector_typeIjLj2EENS0_17counting_iteratorIjlEEPS9_SG_NS0_5tupleIJPjSI_NS0_16reverse_iteratorISI_EEEEENSH_IJSG_SG_SG_EEES9_SI_JZNS1_25segmented_radix_sort_implINS0_14default_configELb1EPKdPdPKlPlN2at6native12_GLOBAL__N_18offset_tEEE10hipError_tPvRmT1_PNSt15iterator_traitsIS12_E10value_typeET2_T3_PNS13_IS18_E10value_typeET4_jRbjT5_S1E_jjP12ihipStream_tbEUljE_ZNSN_ISO_Lb1ESQ_SR_ST_SU_SY_EESZ_S10_S11_S12_S16_S17_S18_S1B_S1C_jS1D_jS1E_S1E_jjS1G_bEUljE0_EEESZ_S10_S11_S18_S1C_S1E_T6_T7_T9_mT8_S1G_bDpT10_ENKUlT_T0_E_clISt17integral_constantIbLb1EES1T_IbLb0EEEEDaS1P_S1Q_EUlS1P_E_NS1_11comp_targetILNS1_3genE5ELNS1_11target_archE942ELNS1_3gpuE9ELNS1_3repE0EEENS1_30default_config_static_selectorELNS0_4arch9wavefront6targetE0EEEvS12_,comdat
	.globl	_ZN7rocprim17ROCPRIM_400000_NS6detail17trampoline_kernelINS0_13select_configILj256ELj13ELNS0_17block_load_methodE3ELS4_3ELS4_3ELNS0_20block_scan_algorithmE0ELj4294967295EEENS1_25partition_config_selectorILNS1_17partition_subalgoE4EjNS0_10empty_typeEbEEZZNS1_14partition_implILS8_4ELb0ES6_15HIP_vector_typeIjLj2EENS0_17counting_iteratorIjlEEPS9_SG_NS0_5tupleIJPjSI_NS0_16reverse_iteratorISI_EEEEENSH_IJSG_SG_SG_EEES9_SI_JZNS1_25segmented_radix_sort_implINS0_14default_configELb1EPKdPdPKlPlN2at6native12_GLOBAL__N_18offset_tEEE10hipError_tPvRmT1_PNSt15iterator_traitsIS12_E10value_typeET2_T3_PNS13_IS18_E10value_typeET4_jRbjT5_S1E_jjP12ihipStream_tbEUljE_ZNSN_ISO_Lb1ESQ_SR_ST_SU_SY_EESZ_S10_S11_S12_S16_S17_S18_S1B_S1C_jS1D_jS1E_S1E_jjS1G_bEUljE0_EEESZ_S10_S11_S18_S1C_S1E_T6_T7_T9_mT8_S1G_bDpT10_ENKUlT_T0_E_clISt17integral_constantIbLb1EES1T_IbLb0EEEEDaS1P_S1Q_EUlS1P_E_NS1_11comp_targetILNS1_3genE5ELNS1_11target_archE942ELNS1_3gpuE9ELNS1_3repE0EEENS1_30default_config_static_selectorELNS0_4arch9wavefront6targetE0EEEvS12_ ; -- Begin function _ZN7rocprim17ROCPRIM_400000_NS6detail17trampoline_kernelINS0_13select_configILj256ELj13ELNS0_17block_load_methodE3ELS4_3ELS4_3ELNS0_20block_scan_algorithmE0ELj4294967295EEENS1_25partition_config_selectorILNS1_17partition_subalgoE4EjNS0_10empty_typeEbEEZZNS1_14partition_implILS8_4ELb0ES6_15HIP_vector_typeIjLj2EENS0_17counting_iteratorIjlEEPS9_SG_NS0_5tupleIJPjSI_NS0_16reverse_iteratorISI_EEEEENSH_IJSG_SG_SG_EEES9_SI_JZNS1_25segmented_radix_sort_implINS0_14default_configELb1EPKdPdPKlPlN2at6native12_GLOBAL__N_18offset_tEEE10hipError_tPvRmT1_PNSt15iterator_traitsIS12_E10value_typeET2_T3_PNS13_IS18_E10value_typeET4_jRbjT5_S1E_jjP12ihipStream_tbEUljE_ZNSN_ISO_Lb1ESQ_SR_ST_SU_SY_EESZ_S10_S11_S12_S16_S17_S18_S1B_S1C_jS1D_jS1E_S1E_jjS1G_bEUljE0_EEESZ_S10_S11_S18_S1C_S1E_T6_T7_T9_mT8_S1G_bDpT10_ENKUlT_T0_E_clISt17integral_constantIbLb1EES1T_IbLb0EEEEDaS1P_S1Q_EUlS1P_E_NS1_11comp_targetILNS1_3genE5ELNS1_11target_archE942ELNS1_3gpuE9ELNS1_3repE0EEENS1_30default_config_static_selectorELNS0_4arch9wavefront6targetE0EEEvS12_
	.p2align	8
	.type	_ZN7rocprim17ROCPRIM_400000_NS6detail17trampoline_kernelINS0_13select_configILj256ELj13ELNS0_17block_load_methodE3ELS4_3ELS4_3ELNS0_20block_scan_algorithmE0ELj4294967295EEENS1_25partition_config_selectorILNS1_17partition_subalgoE4EjNS0_10empty_typeEbEEZZNS1_14partition_implILS8_4ELb0ES6_15HIP_vector_typeIjLj2EENS0_17counting_iteratorIjlEEPS9_SG_NS0_5tupleIJPjSI_NS0_16reverse_iteratorISI_EEEEENSH_IJSG_SG_SG_EEES9_SI_JZNS1_25segmented_radix_sort_implINS0_14default_configELb1EPKdPdPKlPlN2at6native12_GLOBAL__N_18offset_tEEE10hipError_tPvRmT1_PNSt15iterator_traitsIS12_E10value_typeET2_T3_PNS13_IS18_E10value_typeET4_jRbjT5_S1E_jjP12ihipStream_tbEUljE_ZNSN_ISO_Lb1ESQ_SR_ST_SU_SY_EESZ_S10_S11_S12_S16_S17_S18_S1B_S1C_jS1D_jS1E_S1E_jjS1G_bEUljE0_EEESZ_S10_S11_S18_S1C_S1E_T6_T7_T9_mT8_S1G_bDpT10_ENKUlT_T0_E_clISt17integral_constantIbLb1EES1T_IbLb0EEEEDaS1P_S1Q_EUlS1P_E_NS1_11comp_targetILNS1_3genE5ELNS1_11target_archE942ELNS1_3gpuE9ELNS1_3repE0EEENS1_30default_config_static_selectorELNS0_4arch9wavefront6targetE0EEEvS12_,@function
_ZN7rocprim17ROCPRIM_400000_NS6detail17trampoline_kernelINS0_13select_configILj256ELj13ELNS0_17block_load_methodE3ELS4_3ELS4_3ELNS0_20block_scan_algorithmE0ELj4294967295EEENS1_25partition_config_selectorILNS1_17partition_subalgoE4EjNS0_10empty_typeEbEEZZNS1_14partition_implILS8_4ELb0ES6_15HIP_vector_typeIjLj2EENS0_17counting_iteratorIjlEEPS9_SG_NS0_5tupleIJPjSI_NS0_16reverse_iteratorISI_EEEEENSH_IJSG_SG_SG_EEES9_SI_JZNS1_25segmented_radix_sort_implINS0_14default_configELb1EPKdPdPKlPlN2at6native12_GLOBAL__N_18offset_tEEE10hipError_tPvRmT1_PNSt15iterator_traitsIS12_E10value_typeET2_T3_PNS13_IS18_E10value_typeET4_jRbjT5_S1E_jjP12ihipStream_tbEUljE_ZNSN_ISO_Lb1ESQ_SR_ST_SU_SY_EESZ_S10_S11_S12_S16_S17_S18_S1B_S1C_jS1D_jS1E_S1E_jjS1G_bEUljE0_EEESZ_S10_S11_S18_S1C_S1E_T6_T7_T9_mT8_S1G_bDpT10_ENKUlT_T0_E_clISt17integral_constantIbLb1EES1T_IbLb0EEEEDaS1P_S1Q_EUlS1P_E_NS1_11comp_targetILNS1_3genE5ELNS1_11target_archE942ELNS1_3gpuE9ELNS1_3repE0EEENS1_30default_config_static_selectorELNS0_4arch9wavefront6targetE0EEEvS12_: ; @_ZN7rocprim17ROCPRIM_400000_NS6detail17trampoline_kernelINS0_13select_configILj256ELj13ELNS0_17block_load_methodE3ELS4_3ELS4_3ELNS0_20block_scan_algorithmE0ELj4294967295EEENS1_25partition_config_selectorILNS1_17partition_subalgoE4EjNS0_10empty_typeEbEEZZNS1_14partition_implILS8_4ELb0ES6_15HIP_vector_typeIjLj2EENS0_17counting_iteratorIjlEEPS9_SG_NS0_5tupleIJPjSI_NS0_16reverse_iteratorISI_EEEEENSH_IJSG_SG_SG_EEES9_SI_JZNS1_25segmented_radix_sort_implINS0_14default_configELb1EPKdPdPKlPlN2at6native12_GLOBAL__N_18offset_tEEE10hipError_tPvRmT1_PNSt15iterator_traitsIS12_E10value_typeET2_T3_PNS13_IS18_E10value_typeET4_jRbjT5_S1E_jjP12ihipStream_tbEUljE_ZNSN_ISO_Lb1ESQ_SR_ST_SU_SY_EESZ_S10_S11_S12_S16_S17_S18_S1B_S1C_jS1D_jS1E_S1E_jjS1G_bEUljE0_EEESZ_S10_S11_S18_S1C_S1E_T6_T7_T9_mT8_S1G_bDpT10_ENKUlT_T0_E_clISt17integral_constantIbLb1EES1T_IbLb0EEEEDaS1P_S1Q_EUlS1P_E_NS1_11comp_targetILNS1_3genE5ELNS1_11target_archE942ELNS1_3gpuE9ELNS1_3repE0EEENS1_30default_config_static_selectorELNS0_4arch9wavefront6targetE0EEEvS12_
; %bb.0:
	.section	.rodata,"a",@progbits
	.p2align	6, 0x0
	.amdhsa_kernel _ZN7rocprim17ROCPRIM_400000_NS6detail17trampoline_kernelINS0_13select_configILj256ELj13ELNS0_17block_load_methodE3ELS4_3ELS4_3ELNS0_20block_scan_algorithmE0ELj4294967295EEENS1_25partition_config_selectorILNS1_17partition_subalgoE4EjNS0_10empty_typeEbEEZZNS1_14partition_implILS8_4ELb0ES6_15HIP_vector_typeIjLj2EENS0_17counting_iteratorIjlEEPS9_SG_NS0_5tupleIJPjSI_NS0_16reverse_iteratorISI_EEEEENSH_IJSG_SG_SG_EEES9_SI_JZNS1_25segmented_radix_sort_implINS0_14default_configELb1EPKdPdPKlPlN2at6native12_GLOBAL__N_18offset_tEEE10hipError_tPvRmT1_PNSt15iterator_traitsIS12_E10value_typeET2_T3_PNS13_IS18_E10value_typeET4_jRbjT5_S1E_jjP12ihipStream_tbEUljE_ZNSN_ISO_Lb1ESQ_SR_ST_SU_SY_EESZ_S10_S11_S12_S16_S17_S18_S1B_S1C_jS1D_jS1E_S1E_jjS1G_bEUljE0_EEESZ_S10_S11_S18_S1C_S1E_T6_T7_T9_mT8_S1G_bDpT10_ENKUlT_T0_E_clISt17integral_constantIbLb1EES1T_IbLb0EEEEDaS1P_S1Q_EUlS1P_E_NS1_11comp_targetILNS1_3genE5ELNS1_11target_archE942ELNS1_3gpuE9ELNS1_3repE0EEENS1_30default_config_static_selectorELNS0_4arch9wavefront6targetE0EEEvS12_
		.amdhsa_group_segment_fixed_size 0
		.amdhsa_private_segment_fixed_size 0
		.amdhsa_kernarg_size 176
		.amdhsa_user_sgpr_count 6
		.amdhsa_user_sgpr_private_segment_buffer 1
		.amdhsa_user_sgpr_dispatch_ptr 0
		.amdhsa_user_sgpr_queue_ptr 0
		.amdhsa_user_sgpr_kernarg_segment_ptr 1
		.amdhsa_user_sgpr_dispatch_id 0
		.amdhsa_user_sgpr_flat_scratch_init 0
		.amdhsa_user_sgpr_private_segment_size 0
		.amdhsa_wavefront_size32 1
		.amdhsa_uses_dynamic_stack 0
		.amdhsa_system_sgpr_private_segment_wavefront_offset 0
		.amdhsa_system_sgpr_workgroup_id_x 1
		.amdhsa_system_sgpr_workgroup_id_y 0
		.amdhsa_system_sgpr_workgroup_id_z 0
		.amdhsa_system_sgpr_workgroup_info 0
		.amdhsa_system_vgpr_workitem_id 0
		.amdhsa_next_free_vgpr 1
		.amdhsa_next_free_sgpr 1
		.amdhsa_reserve_vcc 0
		.amdhsa_reserve_flat_scratch 0
		.amdhsa_float_round_mode_32 0
		.amdhsa_float_round_mode_16_64 0
		.amdhsa_float_denorm_mode_32 3
		.amdhsa_float_denorm_mode_16_64 3
		.amdhsa_dx10_clamp 1
		.amdhsa_ieee_mode 1
		.amdhsa_fp16_overflow 0
		.amdhsa_workgroup_processor_mode 1
		.amdhsa_memory_ordered 1
		.amdhsa_forward_progress 1
		.amdhsa_shared_vgpr_count 0
		.amdhsa_exception_fp_ieee_invalid_op 0
		.amdhsa_exception_fp_denorm_src 0
		.amdhsa_exception_fp_ieee_div_zero 0
		.amdhsa_exception_fp_ieee_overflow 0
		.amdhsa_exception_fp_ieee_underflow 0
		.amdhsa_exception_fp_ieee_inexact 0
		.amdhsa_exception_int_div_zero 0
	.end_amdhsa_kernel
	.section	.text._ZN7rocprim17ROCPRIM_400000_NS6detail17trampoline_kernelINS0_13select_configILj256ELj13ELNS0_17block_load_methodE3ELS4_3ELS4_3ELNS0_20block_scan_algorithmE0ELj4294967295EEENS1_25partition_config_selectorILNS1_17partition_subalgoE4EjNS0_10empty_typeEbEEZZNS1_14partition_implILS8_4ELb0ES6_15HIP_vector_typeIjLj2EENS0_17counting_iteratorIjlEEPS9_SG_NS0_5tupleIJPjSI_NS0_16reverse_iteratorISI_EEEEENSH_IJSG_SG_SG_EEES9_SI_JZNS1_25segmented_radix_sort_implINS0_14default_configELb1EPKdPdPKlPlN2at6native12_GLOBAL__N_18offset_tEEE10hipError_tPvRmT1_PNSt15iterator_traitsIS12_E10value_typeET2_T3_PNS13_IS18_E10value_typeET4_jRbjT5_S1E_jjP12ihipStream_tbEUljE_ZNSN_ISO_Lb1ESQ_SR_ST_SU_SY_EESZ_S10_S11_S12_S16_S17_S18_S1B_S1C_jS1D_jS1E_S1E_jjS1G_bEUljE0_EEESZ_S10_S11_S18_S1C_S1E_T6_T7_T9_mT8_S1G_bDpT10_ENKUlT_T0_E_clISt17integral_constantIbLb1EES1T_IbLb0EEEEDaS1P_S1Q_EUlS1P_E_NS1_11comp_targetILNS1_3genE5ELNS1_11target_archE942ELNS1_3gpuE9ELNS1_3repE0EEENS1_30default_config_static_selectorELNS0_4arch9wavefront6targetE0EEEvS12_,"axG",@progbits,_ZN7rocprim17ROCPRIM_400000_NS6detail17trampoline_kernelINS0_13select_configILj256ELj13ELNS0_17block_load_methodE3ELS4_3ELS4_3ELNS0_20block_scan_algorithmE0ELj4294967295EEENS1_25partition_config_selectorILNS1_17partition_subalgoE4EjNS0_10empty_typeEbEEZZNS1_14partition_implILS8_4ELb0ES6_15HIP_vector_typeIjLj2EENS0_17counting_iteratorIjlEEPS9_SG_NS0_5tupleIJPjSI_NS0_16reverse_iteratorISI_EEEEENSH_IJSG_SG_SG_EEES9_SI_JZNS1_25segmented_radix_sort_implINS0_14default_configELb1EPKdPdPKlPlN2at6native12_GLOBAL__N_18offset_tEEE10hipError_tPvRmT1_PNSt15iterator_traitsIS12_E10value_typeET2_T3_PNS13_IS18_E10value_typeET4_jRbjT5_S1E_jjP12ihipStream_tbEUljE_ZNSN_ISO_Lb1ESQ_SR_ST_SU_SY_EESZ_S10_S11_S12_S16_S17_S18_S1B_S1C_jS1D_jS1E_S1E_jjS1G_bEUljE0_EEESZ_S10_S11_S18_S1C_S1E_T6_T7_T9_mT8_S1G_bDpT10_ENKUlT_T0_E_clISt17integral_constantIbLb1EES1T_IbLb0EEEEDaS1P_S1Q_EUlS1P_E_NS1_11comp_targetILNS1_3genE5ELNS1_11target_archE942ELNS1_3gpuE9ELNS1_3repE0EEENS1_30default_config_static_selectorELNS0_4arch9wavefront6targetE0EEEvS12_,comdat
.Lfunc_end1063:
	.size	_ZN7rocprim17ROCPRIM_400000_NS6detail17trampoline_kernelINS0_13select_configILj256ELj13ELNS0_17block_load_methodE3ELS4_3ELS4_3ELNS0_20block_scan_algorithmE0ELj4294967295EEENS1_25partition_config_selectorILNS1_17partition_subalgoE4EjNS0_10empty_typeEbEEZZNS1_14partition_implILS8_4ELb0ES6_15HIP_vector_typeIjLj2EENS0_17counting_iteratorIjlEEPS9_SG_NS0_5tupleIJPjSI_NS0_16reverse_iteratorISI_EEEEENSH_IJSG_SG_SG_EEES9_SI_JZNS1_25segmented_radix_sort_implINS0_14default_configELb1EPKdPdPKlPlN2at6native12_GLOBAL__N_18offset_tEEE10hipError_tPvRmT1_PNSt15iterator_traitsIS12_E10value_typeET2_T3_PNS13_IS18_E10value_typeET4_jRbjT5_S1E_jjP12ihipStream_tbEUljE_ZNSN_ISO_Lb1ESQ_SR_ST_SU_SY_EESZ_S10_S11_S12_S16_S17_S18_S1B_S1C_jS1D_jS1E_S1E_jjS1G_bEUljE0_EEESZ_S10_S11_S18_S1C_S1E_T6_T7_T9_mT8_S1G_bDpT10_ENKUlT_T0_E_clISt17integral_constantIbLb1EES1T_IbLb0EEEEDaS1P_S1Q_EUlS1P_E_NS1_11comp_targetILNS1_3genE5ELNS1_11target_archE942ELNS1_3gpuE9ELNS1_3repE0EEENS1_30default_config_static_selectorELNS0_4arch9wavefront6targetE0EEEvS12_, .Lfunc_end1063-_ZN7rocprim17ROCPRIM_400000_NS6detail17trampoline_kernelINS0_13select_configILj256ELj13ELNS0_17block_load_methodE3ELS4_3ELS4_3ELNS0_20block_scan_algorithmE0ELj4294967295EEENS1_25partition_config_selectorILNS1_17partition_subalgoE4EjNS0_10empty_typeEbEEZZNS1_14partition_implILS8_4ELb0ES6_15HIP_vector_typeIjLj2EENS0_17counting_iteratorIjlEEPS9_SG_NS0_5tupleIJPjSI_NS0_16reverse_iteratorISI_EEEEENSH_IJSG_SG_SG_EEES9_SI_JZNS1_25segmented_radix_sort_implINS0_14default_configELb1EPKdPdPKlPlN2at6native12_GLOBAL__N_18offset_tEEE10hipError_tPvRmT1_PNSt15iterator_traitsIS12_E10value_typeET2_T3_PNS13_IS18_E10value_typeET4_jRbjT5_S1E_jjP12ihipStream_tbEUljE_ZNSN_ISO_Lb1ESQ_SR_ST_SU_SY_EESZ_S10_S11_S12_S16_S17_S18_S1B_S1C_jS1D_jS1E_S1E_jjS1G_bEUljE0_EEESZ_S10_S11_S18_S1C_S1E_T6_T7_T9_mT8_S1G_bDpT10_ENKUlT_T0_E_clISt17integral_constantIbLb1EES1T_IbLb0EEEEDaS1P_S1Q_EUlS1P_E_NS1_11comp_targetILNS1_3genE5ELNS1_11target_archE942ELNS1_3gpuE9ELNS1_3repE0EEENS1_30default_config_static_selectorELNS0_4arch9wavefront6targetE0EEEvS12_
                                        ; -- End function
	.set _ZN7rocprim17ROCPRIM_400000_NS6detail17trampoline_kernelINS0_13select_configILj256ELj13ELNS0_17block_load_methodE3ELS4_3ELS4_3ELNS0_20block_scan_algorithmE0ELj4294967295EEENS1_25partition_config_selectorILNS1_17partition_subalgoE4EjNS0_10empty_typeEbEEZZNS1_14partition_implILS8_4ELb0ES6_15HIP_vector_typeIjLj2EENS0_17counting_iteratorIjlEEPS9_SG_NS0_5tupleIJPjSI_NS0_16reverse_iteratorISI_EEEEENSH_IJSG_SG_SG_EEES9_SI_JZNS1_25segmented_radix_sort_implINS0_14default_configELb1EPKdPdPKlPlN2at6native12_GLOBAL__N_18offset_tEEE10hipError_tPvRmT1_PNSt15iterator_traitsIS12_E10value_typeET2_T3_PNS13_IS18_E10value_typeET4_jRbjT5_S1E_jjP12ihipStream_tbEUljE_ZNSN_ISO_Lb1ESQ_SR_ST_SU_SY_EESZ_S10_S11_S12_S16_S17_S18_S1B_S1C_jS1D_jS1E_S1E_jjS1G_bEUljE0_EEESZ_S10_S11_S18_S1C_S1E_T6_T7_T9_mT8_S1G_bDpT10_ENKUlT_T0_E_clISt17integral_constantIbLb1EES1T_IbLb0EEEEDaS1P_S1Q_EUlS1P_E_NS1_11comp_targetILNS1_3genE5ELNS1_11target_archE942ELNS1_3gpuE9ELNS1_3repE0EEENS1_30default_config_static_selectorELNS0_4arch9wavefront6targetE0EEEvS12_.num_vgpr, 0
	.set _ZN7rocprim17ROCPRIM_400000_NS6detail17trampoline_kernelINS0_13select_configILj256ELj13ELNS0_17block_load_methodE3ELS4_3ELS4_3ELNS0_20block_scan_algorithmE0ELj4294967295EEENS1_25partition_config_selectorILNS1_17partition_subalgoE4EjNS0_10empty_typeEbEEZZNS1_14partition_implILS8_4ELb0ES6_15HIP_vector_typeIjLj2EENS0_17counting_iteratorIjlEEPS9_SG_NS0_5tupleIJPjSI_NS0_16reverse_iteratorISI_EEEEENSH_IJSG_SG_SG_EEES9_SI_JZNS1_25segmented_radix_sort_implINS0_14default_configELb1EPKdPdPKlPlN2at6native12_GLOBAL__N_18offset_tEEE10hipError_tPvRmT1_PNSt15iterator_traitsIS12_E10value_typeET2_T3_PNS13_IS18_E10value_typeET4_jRbjT5_S1E_jjP12ihipStream_tbEUljE_ZNSN_ISO_Lb1ESQ_SR_ST_SU_SY_EESZ_S10_S11_S12_S16_S17_S18_S1B_S1C_jS1D_jS1E_S1E_jjS1G_bEUljE0_EEESZ_S10_S11_S18_S1C_S1E_T6_T7_T9_mT8_S1G_bDpT10_ENKUlT_T0_E_clISt17integral_constantIbLb1EES1T_IbLb0EEEEDaS1P_S1Q_EUlS1P_E_NS1_11comp_targetILNS1_3genE5ELNS1_11target_archE942ELNS1_3gpuE9ELNS1_3repE0EEENS1_30default_config_static_selectorELNS0_4arch9wavefront6targetE0EEEvS12_.num_agpr, 0
	.set _ZN7rocprim17ROCPRIM_400000_NS6detail17trampoline_kernelINS0_13select_configILj256ELj13ELNS0_17block_load_methodE3ELS4_3ELS4_3ELNS0_20block_scan_algorithmE0ELj4294967295EEENS1_25partition_config_selectorILNS1_17partition_subalgoE4EjNS0_10empty_typeEbEEZZNS1_14partition_implILS8_4ELb0ES6_15HIP_vector_typeIjLj2EENS0_17counting_iteratorIjlEEPS9_SG_NS0_5tupleIJPjSI_NS0_16reverse_iteratorISI_EEEEENSH_IJSG_SG_SG_EEES9_SI_JZNS1_25segmented_radix_sort_implINS0_14default_configELb1EPKdPdPKlPlN2at6native12_GLOBAL__N_18offset_tEEE10hipError_tPvRmT1_PNSt15iterator_traitsIS12_E10value_typeET2_T3_PNS13_IS18_E10value_typeET4_jRbjT5_S1E_jjP12ihipStream_tbEUljE_ZNSN_ISO_Lb1ESQ_SR_ST_SU_SY_EESZ_S10_S11_S12_S16_S17_S18_S1B_S1C_jS1D_jS1E_S1E_jjS1G_bEUljE0_EEESZ_S10_S11_S18_S1C_S1E_T6_T7_T9_mT8_S1G_bDpT10_ENKUlT_T0_E_clISt17integral_constantIbLb1EES1T_IbLb0EEEEDaS1P_S1Q_EUlS1P_E_NS1_11comp_targetILNS1_3genE5ELNS1_11target_archE942ELNS1_3gpuE9ELNS1_3repE0EEENS1_30default_config_static_selectorELNS0_4arch9wavefront6targetE0EEEvS12_.numbered_sgpr, 0
	.set _ZN7rocprim17ROCPRIM_400000_NS6detail17trampoline_kernelINS0_13select_configILj256ELj13ELNS0_17block_load_methodE3ELS4_3ELS4_3ELNS0_20block_scan_algorithmE0ELj4294967295EEENS1_25partition_config_selectorILNS1_17partition_subalgoE4EjNS0_10empty_typeEbEEZZNS1_14partition_implILS8_4ELb0ES6_15HIP_vector_typeIjLj2EENS0_17counting_iteratorIjlEEPS9_SG_NS0_5tupleIJPjSI_NS0_16reverse_iteratorISI_EEEEENSH_IJSG_SG_SG_EEES9_SI_JZNS1_25segmented_radix_sort_implINS0_14default_configELb1EPKdPdPKlPlN2at6native12_GLOBAL__N_18offset_tEEE10hipError_tPvRmT1_PNSt15iterator_traitsIS12_E10value_typeET2_T3_PNS13_IS18_E10value_typeET4_jRbjT5_S1E_jjP12ihipStream_tbEUljE_ZNSN_ISO_Lb1ESQ_SR_ST_SU_SY_EESZ_S10_S11_S12_S16_S17_S18_S1B_S1C_jS1D_jS1E_S1E_jjS1G_bEUljE0_EEESZ_S10_S11_S18_S1C_S1E_T6_T7_T9_mT8_S1G_bDpT10_ENKUlT_T0_E_clISt17integral_constantIbLb1EES1T_IbLb0EEEEDaS1P_S1Q_EUlS1P_E_NS1_11comp_targetILNS1_3genE5ELNS1_11target_archE942ELNS1_3gpuE9ELNS1_3repE0EEENS1_30default_config_static_selectorELNS0_4arch9wavefront6targetE0EEEvS12_.num_named_barrier, 0
	.set _ZN7rocprim17ROCPRIM_400000_NS6detail17trampoline_kernelINS0_13select_configILj256ELj13ELNS0_17block_load_methodE3ELS4_3ELS4_3ELNS0_20block_scan_algorithmE0ELj4294967295EEENS1_25partition_config_selectorILNS1_17partition_subalgoE4EjNS0_10empty_typeEbEEZZNS1_14partition_implILS8_4ELb0ES6_15HIP_vector_typeIjLj2EENS0_17counting_iteratorIjlEEPS9_SG_NS0_5tupleIJPjSI_NS0_16reverse_iteratorISI_EEEEENSH_IJSG_SG_SG_EEES9_SI_JZNS1_25segmented_radix_sort_implINS0_14default_configELb1EPKdPdPKlPlN2at6native12_GLOBAL__N_18offset_tEEE10hipError_tPvRmT1_PNSt15iterator_traitsIS12_E10value_typeET2_T3_PNS13_IS18_E10value_typeET4_jRbjT5_S1E_jjP12ihipStream_tbEUljE_ZNSN_ISO_Lb1ESQ_SR_ST_SU_SY_EESZ_S10_S11_S12_S16_S17_S18_S1B_S1C_jS1D_jS1E_S1E_jjS1G_bEUljE0_EEESZ_S10_S11_S18_S1C_S1E_T6_T7_T9_mT8_S1G_bDpT10_ENKUlT_T0_E_clISt17integral_constantIbLb1EES1T_IbLb0EEEEDaS1P_S1Q_EUlS1P_E_NS1_11comp_targetILNS1_3genE5ELNS1_11target_archE942ELNS1_3gpuE9ELNS1_3repE0EEENS1_30default_config_static_selectorELNS0_4arch9wavefront6targetE0EEEvS12_.private_seg_size, 0
	.set _ZN7rocprim17ROCPRIM_400000_NS6detail17trampoline_kernelINS0_13select_configILj256ELj13ELNS0_17block_load_methodE3ELS4_3ELS4_3ELNS0_20block_scan_algorithmE0ELj4294967295EEENS1_25partition_config_selectorILNS1_17partition_subalgoE4EjNS0_10empty_typeEbEEZZNS1_14partition_implILS8_4ELb0ES6_15HIP_vector_typeIjLj2EENS0_17counting_iteratorIjlEEPS9_SG_NS0_5tupleIJPjSI_NS0_16reverse_iteratorISI_EEEEENSH_IJSG_SG_SG_EEES9_SI_JZNS1_25segmented_radix_sort_implINS0_14default_configELb1EPKdPdPKlPlN2at6native12_GLOBAL__N_18offset_tEEE10hipError_tPvRmT1_PNSt15iterator_traitsIS12_E10value_typeET2_T3_PNS13_IS18_E10value_typeET4_jRbjT5_S1E_jjP12ihipStream_tbEUljE_ZNSN_ISO_Lb1ESQ_SR_ST_SU_SY_EESZ_S10_S11_S12_S16_S17_S18_S1B_S1C_jS1D_jS1E_S1E_jjS1G_bEUljE0_EEESZ_S10_S11_S18_S1C_S1E_T6_T7_T9_mT8_S1G_bDpT10_ENKUlT_T0_E_clISt17integral_constantIbLb1EES1T_IbLb0EEEEDaS1P_S1Q_EUlS1P_E_NS1_11comp_targetILNS1_3genE5ELNS1_11target_archE942ELNS1_3gpuE9ELNS1_3repE0EEENS1_30default_config_static_selectorELNS0_4arch9wavefront6targetE0EEEvS12_.uses_vcc, 0
	.set _ZN7rocprim17ROCPRIM_400000_NS6detail17trampoline_kernelINS0_13select_configILj256ELj13ELNS0_17block_load_methodE3ELS4_3ELS4_3ELNS0_20block_scan_algorithmE0ELj4294967295EEENS1_25partition_config_selectorILNS1_17partition_subalgoE4EjNS0_10empty_typeEbEEZZNS1_14partition_implILS8_4ELb0ES6_15HIP_vector_typeIjLj2EENS0_17counting_iteratorIjlEEPS9_SG_NS0_5tupleIJPjSI_NS0_16reverse_iteratorISI_EEEEENSH_IJSG_SG_SG_EEES9_SI_JZNS1_25segmented_radix_sort_implINS0_14default_configELb1EPKdPdPKlPlN2at6native12_GLOBAL__N_18offset_tEEE10hipError_tPvRmT1_PNSt15iterator_traitsIS12_E10value_typeET2_T3_PNS13_IS18_E10value_typeET4_jRbjT5_S1E_jjP12ihipStream_tbEUljE_ZNSN_ISO_Lb1ESQ_SR_ST_SU_SY_EESZ_S10_S11_S12_S16_S17_S18_S1B_S1C_jS1D_jS1E_S1E_jjS1G_bEUljE0_EEESZ_S10_S11_S18_S1C_S1E_T6_T7_T9_mT8_S1G_bDpT10_ENKUlT_T0_E_clISt17integral_constantIbLb1EES1T_IbLb0EEEEDaS1P_S1Q_EUlS1P_E_NS1_11comp_targetILNS1_3genE5ELNS1_11target_archE942ELNS1_3gpuE9ELNS1_3repE0EEENS1_30default_config_static_selectorELNS0_4arch9wavefront6targetE0EEEvS12_.uses_flat_scratch, 0
	.set _ZN7rocprim17ROCPRIM_400000_NS6detail17trampoline_kernelINS0_13select_configILj256ELj13ELNS0_17block_load_methodE3ELS4_3ELS4_3ELNS0_20block_scan_algorithmE0ELj4294967295EEENS1_25partition_config_selectorILNS1_17partition_subalgoE4EjNS0_10empty_typeEbEEZZNS1_14partition_implILS8_4ELb0ES6_15HIP_vector_typeIjLj2EENS0_17counting_iteratorIjlEEPS9_SG_NS0_5tupleIJPjSI_NS0_16reverse_iteratorISI_EEEEENSH_IJSG_SG_SG_EEES9_SI_JZNS1_25segmented_radix_sort_implINS0_14default_configELb1EPKdPdPKlPlN2at6native12_GLOBAL__N_18offset_tEEE10hipError_tPvRmT1_PNSt15iterator_traitsIS12_E10value_typeET2_T3_PNS13_IS18_E10value_typeET4_jRbjT5_S1E_jjP12ihipStream_tbEUljE_ZNSN_ISO_Lb1ESQ_SR_ST_SU_SY_EESZ_S10_S11_S12_S16_S17_S18_S1B_S1C_jS1D_jS1E_S1E_jjS1G_bEUljE0_EEESZ_S10_S11_S18_S1C_S1E_T6_T7_T9_mT8_S1G_bDpT10_ENKUlT_T0_E_clISt17integral_constantIbLb1EES1T_IbLb0EEEEDaS1P_S1Q_EUlS1P_E_NS1_11comp_targetILNS1_3genE5ELNS1_11target_archE942ELNS1_3gpuE9ELNS1_3repE0EEENS1_30default_config_static_selectorELNS0_4arch9wavefront6targetE0EEEvS12_.has_dyn_sized_stack, 0
	.set _ZN7rocprim17ROCPRIM_400000_NS6detail17trampoline_kernelINS0_13select_configILj256ELj13ELNS0_17block_load_methodE3ELS4_3ELS4_3ELNS0_20block_scan_algorithmE0ELj4294967295EEENS1_25partition_config_selectorILNS1_17partition_subalgoE4EjNS0_10empty_typeEbEEZZNS1_14partition_implILS8_4ELb0ES6_15HIP_vector_typeIjLj2EENS0_17counting_iteratorIjlEEPS9_SG_NS0_5tupleIJPjSI_NS0_16reverse_iteratorISI_EEEEENSH_IJSG_SG_SG_EEES9_SI_JZNS1_25segmented_radix_sort_implINS0_14default_configELb1EPKdPdPKlPlN2at6native12_GLOBAL__N_18offset_tEEE10hipError_tPvRmT1_PNSt15iterator_traitsIS12_E10value_typeET2_T3_PNS13_IS18_E10value_typeET4_jRbjT5_S1E_jjP12ihipStream_tbEUljE_ZNSN_ISO_Lb1ESQ_SR_ST_SU_SY_EESZ_S10_S11_S12_S16_S17_S18_S1B_S1C_jS1D_jS1E_S1E_jjS1G_bEUljE0_EEESZ_S10_S11_S18_S1C_S1E_T6_T7_T9_mT8_S1G_bDpT10_ENKUlT_T0_E_clISt17integral_constantIbLb1EES1T_IbLb0EEEEDaS1P_S1Q_EUlS1P_E_NS1_11comp_targetILNS1_3genE5ELNS1_11target_archE942ELNS1_3gpuE9ELNS1_3repE0EEENS1_30default_config_static_selectorELNS0_4arch9wavefront6targetE0EEEvS12_.has_recursion, 0
	.set _ZN7rocprim17ROCPRIM_400000_NS6detail17trampoline_kernelINS0_13select_configILj256ELj13ELNS0_17block_load_methodE3ELS4_3ELS4_3ELNS0_20block_scan_algorithmE0ELj4294967295EEENS1_25partition_config_selectorILNS1_17partition_subalgoE4EjNS0_10empty_typeEbEEZZNS1_14partition_implILS8_4ELb0ES6_15HIP_vector_typeIjLj2EENS0_17counting_iteratorIjlEEPS9_SG_NS0_5tupleIJPjSI_NS0_16reverse_iteratorISI_EEEEENSH_IJSG_SG_SG_EEES9_SI_JZNS1_25segmented_radix_sort_implINS0_14default_configELb1EPKdPdPKlPlN2at6native12_GLOBAL__N_18offset_tEEE10hipError_tPvRmT1_PNSt15iterator_traitsIS12_E10value_typeET2_T3_PNS13_IS18_E10value_typeET4_jRbjT5_S1E_jjP12ihipStream_tbEUljE_ZNSN_ISO_Lb1ESQ_SR_ST_SU_SY_EESZ_S10_S11_S12_S16_S17_S18_S1B_S1C_jS1D_jS1E_S1E_jjS1G_bEUljE0_EEESZ_S10_S11_S18_S1C_S1E_T6_T7_T9_mT8_S1G_bDpT10_ENKUlT_T0_E_clISt17integral_constantIbLb1EES1T_IbLb0EEEEDaS1P_S1Q_EUlS1P_E_NS1_11comp_targetILNS1_3genE5ELNS1_11target_archE942ELNS1_3gpuE9ELNS1_3repE0EEENS1_30default_config_static_selectorELNS0_4arch9wavefront6targetE0EEEvS12_.has_indirect_call, 0
	.section	.AMDGPU.csdata,"",@progbits
; Kernel info:
; codeLenInByte = 0
; TotalNumSgprs: 0
; NumVgprs: 0
; ScratchSize: 0
; MemoryBound: 0
; FloatMode: 240
; IeeeMode: 1
; LDSByteSize: 0 bytes/workgroup (compile time only)
; SGPRBlocks: 0
; VGPRBlocks: 0
; NumSGPRsForWavesPerEU: 1
; NumVGPRsForWavesPerEU: 1
; Occupancy: 16
; WaveLimiterHint : 0
; COMPUTE_PGM_RSRC2:SCRATCH_EN: 0
; COMPUTE_PGM_RSRC2:USER_SGPR: 6
; COMPUTE_PGM_RSRC2:TRAP_HANDLER: 0
; COMPUTE_PGM_RSRC2:TGID_X_EN: 1
; COMPUTE_PGM_RSRC2:TGID_Y_EN: 0
; COMPUTE_PGM_RSRC2:TGID_Z_EN: 0
; COMPUTE_PGM_RSRC2:TIDIG_COMP_CNT: 0
	.section	.text._ZN7rocprim17ROCPRIM_400000_NS6detail17trampoline_kernelINS0_13select_configILj256ELj13ELNS0_17block_load_methodE3ELS4_3ELS4_3ELNS0_20block_scan_algorithmE0ELj4294967295EEENS1_25partition_config_selectorILNS1_17partition_subalgoE4EjNS0_10empty_typeEbEEZZNS1_14partition_implILS8_4ELb0ES6_15HIP_vector_typeIjLj2EENS0_17counting_iteratorIjlEEPS9_SG_NS0_5tupleIJPjSI_NS0_16reverse_iteratorISI_EEEEENSH_IJSG_SG_SG_EEES9_SI_JZNS1_25segmented_radix_sort_implINS0_14default_configELb1EPKdPdPKlPlN2at6native12_GLOBAL__N_18offset_tEEE10hipError_tPvRmT1_PNSt15iterator_traitsIS12_E10value_typeET2_T3_PNS13_IS18_E10value_typeET4_jRbjT5_S1E_jjP12ihipStream_tbEUljE_ZNSN_ISO_Lb1ESQ_SR_ST_SU_SY_EESZ_S10_S11_S12_S16_S17_S18_S1B_S1C_jS1D_jS1E_S1E_jjS1G_bEUljE0_EEESZ_S10_S11_S18_S1C_S1E_T6_T7_T9_mT8_S1G_bDpT10_ENKUlT_T0_E_clISt17integral_constantIbLb1EES1T_IbLb0EEEEDaS1P_S1Q_EUlS1P_E_NS1_11comp_targetILNS1_3genE4ELNS1_11target_archE910ELNS1_3gpuE8ELNS1_3repE0EEENS1_30default_config_static_selectorELNS0_4arch9wavefront6targetE0EEEvS12_,"axG",@progbits,_ZN7rocprim17ROCPRIM_400000_NS6detail17trampoline_kernelINS0_13select_configILj256ELj13ELNS0_17block_load_methodE3ELS4_3ELS4_3ELNS0_20block_scan_algorithmE0ELj4294967295EEENS1_25partition_config_selectorILNS1_17partition_subalgoE4EjNS0_10empty_typeEbEEZZNS1_14partition_implILS8_4ELb0ES6_15HIP_vector_typeIjLj2EENS0_17counting_iteratorIjlEEPS9_SG_NS0_5tupleIJPjSI_NS0_16reverse_iteratorISI_EEEEENSH_IJSG_SG_SG_EEES9_SI_JZNS1_25segmented_radix_sort_implINS0_14default_configELb1EPKdPdPKlPlN2at6native12_GLOBAL__N_18offset_tEEE10hipError_tPvRmT1_PNSt15iterator_traitsIS12_E10value_typeET2_T3_PNS13_IS18_E10value_typeET4_jRbjT5_S1E_jjP12ihipStream_tbEUljE_ZNSN_ISO_Lb1ESQ_SR_ST_SU_SY_EESZ_S10_S11_S12_S16_S17_S18_S1B_S1C_jS1D_jS1E_S1E_jjS1G_bEUljE0_EEESZ_S10_S11_S18_S1C_S1E_T6_T7_T9_mT8_S1G_bDpT10_ENKUlT_T0_E_clISt17integral_constantIbLb1EES1T_IbLb0EEEEDaS1P_S1Q_EUlS1P_E_NS1_11comp_targetILNS1_3genE4ELNS1_11target_archE910ELNS1_3gpuE8ELNS1_3repE0EEENS1_30default_config_static_selectorELNS0_4arch9wavefront6targetE0EEEvS12_,comdat
	.globl	_ZN7rocprim17ROCPRIM_400000_NS6detail17trampoline_kernelINS0_13select_configILj256ELj13ELNS0_17block_load_methodE3ELS4_3ELS4_3ELNS0_20block_scan_algorithmE0ELj4294967295EEENS1_25partition_config_selectorILNS1_17partition_subalgoE4EjNS0_10empty_typeEbEEZZNS1_14partition_implILS8_4ELb0ES6_15HIP_vector_typeIjLj2EENS0_17counting_iteratorIjlEEPS9_SG_NS0_5tupleIJPjSI_NS0_16reverse_iteratorISI_EEEEENSH_IJSG_SG_SG_EEES9_SI_JZNS1_25segmented_radix_sort_implINS0_14default_configELb1EPKdPdPKlPlN2at6native12_GLOBAL__N_18offset_tEEE10hipError_tPvRmT1_PNSt15iterator_traitsIS12_E10value_typeET2_T3_PNS13_IS18_E10value_typeET4_jRbjT5_S1E_jjP12ihipStream_tbEUljE_ZNSN_ISO_Lb1ESQ_SR_ST_SU_SY_EESZ_S10_S11_S12_S16_S17_S18_S1B_S1C_jS1D_jS1E_S1E_jjS1G_bEUljE0_EEESZ_S10_S11_S18_S1C_S1E_T6_T7_T9_mT8_S1G_bDpT10_ENKUlT_T0_E_clISt17integral_constantIbLb1EES1T_IbLb0EEEEDaS1P_S1Q_EUlS1P_E_NS1_11comp_targetILNS1_3genE4ELNS1_11target_archE910ELNS1_3gpuE8ELNS1_3repE0EEENS1_30default_config_static_selectorELNS0_4arch9wavefront6targetE0EEEvS12_ ; -- Begin function _ZN7rocprim17ROCPRIM_400000_NS6detail17trampoline_kernelINS0_13select_configILj256ELj13ELNS0_17block_load_methodE3ELS4_3ELS4_3ELNS0_20block_scan_algorithmE0ELj4294967295EEENS1_25partition_config_selectorILNS1_17partition_subalgoE4EjNS0_10empty_typeEbEEZZNS1_14partition_implILS8_4ELb0ES6_15HIP_vector_typeIjLj2EENS0_17counting_iteratorIjlEEPS9_SG_NS0_5tupleIJPjSI_NS0_16reverse_iteratorISI_EEEEENSH_IJSG_SG_SG_EEES9_SI_JZNS1_25segmented_radix_sort_implINS0_14default_configELb1EPKdPdPKlPlN2at6native12_GLOBAL__N_18offset_tEEE10hipError_tPvRmT1_PNSt15iterator_traitsIS12_E10value_typeET2_T3_PNS13_IS18_E10value_typeET4_jRbjT5_S1E_jjP12ihipStream_tbEUljE_ZNSN_ISO_Lb1ESQ_SR_ST_SU_SY_EESZ_S10_S11_S12_S16_S17_S18_S1B_S1C_jS1D_jS1E_S1E_jjS1G_bEUljE0_EEESZ_S10_S11_S18_S1C_S1E_T6_T7_T9_mT8_S1G_bDpT10_ENKUlT_T0_E_clISt17integral_constantIbLb1EES1T_IbLb0EEEEDaS1P_S1Q_EUlS1P_E_NS1_11comp_targetILNS1_3genE4ELNS1_11target_archE910ELNS1_3gpuE8ELNS1_3repE0EEENS1_30default_config_static_selectorELNS0_4arch9wavefront6targetE0EEEvS12_
	.p2align	8
	.type	_ZN7rocprim17ROCPRIM_400000_NS6detail17trampoline_kernelINS0_13select_configILj256ELj13ELNS0_17block_load_methodE3ELS4_3ELS4_3ELNS0_20block_scan_algorithmE0ELj4294967295EEENS1_25partition_config_selectorILNS1_17partition_subalgoE4EjNS0_10empty_typeEbEEZZNS1_14partition_implILS8_4ELb0ES6_15HIP_vector_typeIjLj2EENS0_17counting_iteratorIjlEEPS9_SG_NS0_5tupleIJPjSI_NS0_16reverse_iteratorISI_EEEEENSH_IJSG_SG_SG_EEES9_SI_JZNS1_25segmented_radix_sort_implINS0_14default_configELb1EPKdPdPKlPlN2at6native12_GLOBAL__N_18offset_tEEE10hipError_tPvRmT1_PNSt15iterator_traitsIS12_E10value_typeET2_T3_PNS13_IS18_E10value_typeET4_jRbjT5_S1E_jjP12ihipStream_tbEUljE_ZNSN_ISO_Lb1ESQ_SR_ST_SU_SY_EESZ_S10_S11_S12_S16_S17_S18_S1B_S1C_jS1D_jS1E_S1E_jjS1G_bEUljE0_EEESZ_S10_S11_S18_S1C_S1E_T6_T7_T9_mT8_S1G_bDpT10_ENKUlT_T0_E_clISt17integral_constantIbLb1EES1T_IbLb0EEEEDaS1P_S1Q_EUlS1P_E_NS1_11comp_targetILNS1_3genE4ELNS1_11target_archE910ELNS1_3gpuE8ELNS1_3repE0EEENS1_30default_config_static_selectorELNS0_4arch9wavefront6targetE0EEEvS12_,@function
_ZN7rocprim17ROCPRIM_400000_NS6detail17trampoline_kernelINS0_13select_configILj256ELj13ELNS0_17block_load_methodE3ELS4_3ELS4_3ELNS0_20block_scan_algorithmE0ELj4294967295EEENS1_25partition_config_selectorILNS1_17partition_subalgoE4EjNS0_10empty_typeEbEEZZNS1_14partition_implILS8_4ELb0ES6_15HIP_vector_typeIjLj2EENS0_17counting_iteratorIjlEEPS9_SG_NS0_5tupleIJPjSI_NS0_16reverse_iteratorISI_EEEEENSH_IJSG_SG_SG_EEES9_SI_JZNS1_25segmented_radix_sort_implINS0_14default_configELb1EPKdPdPKlPlN2at6native12_GLOBAL__N_18offset_tEEE10hipError_tPvRmT1_PNSt15iterator_traitsIS12_E10value_typeET2_T3_PNS13_IS18_E10value_typeET4_jRbjT5_S1E_jjP12ihipStream_tbEUljE_ZNSN_ISO_Lb1ESQ_SR_ST_SU_SY_EESZ_S10_S11_S12_S16_S17_S18_S1B_S1C_jS1D_jS1E_S1E_jjS1G_bEUljE0_EEESZ_S10_S11_S18_S1C_S1E_T6_T7_T9_mT8_S1G_bDpT10_ENKUlT_T0_E_clISt17integral_constantIbLb1EES1T_IbLb0EEEEDaS1P_S1Q_EUlS1P_E_NS1_11comp_targetILNS1_3genE4ELNS1_11target_archE910ELNS1_3gpuE8ELNS1_3repE0EEENS1_30default_config_static_selectorELNS0_4arch9wavefront6targetE0EEEvS12_: ; @_ZN7rocprim17ROCPRIM_400000_NS6detail17trampoline_kernelINS0_13select_configILj256ELj13ELNS0_17block_load_methodE3ELS4_3ELS4_3ELNS0_20block_scan_algorithmE0ELj4294967295EEENS1_25partition_config_selectorILNS1_17partition_subalgoE4EjNS0_10empty_typeEbEEZZNS1_14partition_implILS8_4ELb0ES6_15HIP_vector_typeIjLj2EENS0_17counting_iteratorIjlEEPS9_SG_NS0_5tupleIJPjSI_NS0_16reverse_iteratorISI_EEEEENSH_IJSG_SG_SG_EEES9_SI_JZNS1_25segmented_radix_sort_implINS0_14default_configELb1EPKdPdPKlPlN2at6native12_GLOBAL__N_18offset_tEEE10hipError_tPvRmT1_PNSt15iterator_traitsIS12_E10value_typeET2_T3_PNS13_IS18_E10value_typeET4_jRbjT5_S1E_jjP12ihipStream_tbEUljE_ZNSN_ISO_Lb1ESQ_SR_ST_SU_SY_EESZ_S10_S11_S12_S16_S17_S18_S1B_S1C_jS1D_jS1E_S1E_jjS1G_bEUljE0_EEESZ_S10_S11_S18_S1C_S1E_T6_T7_T9_mT8_S1G_bDpT10_ENKUlT_T0_E_clISt17integral_constantIbLb1EES1T_IbLb0EEEEDaS1P_S1Q_EUlS1P_E_NS1_11comp_targetILNS1_3genE4ELNS1_11target_archE910ELNS1_3gpuE8ELNS1_3repE0EEENS1_30default_config_static_selectorELNS0_4arch9wavefront6targetE0EEEvS12_
; %bb.0:
	.section	.rodata,"a",@progbits
	.p2align	6, 0x0
	.amdhsa_kernel _ZN7rocprim17ROCPRIM_400000_NS6detail17trampoline_kernelINS0_13select_configILj256ELj13ELNS0_17block_load_methodE3ELS4_3ELS4_3ELNS0_20block_scan_algorithmE0ELj4294967295EEENS1_25partition_config_selectorILNS1_17partition_subalgoE4EjNS0_10empty_typeEbEEZZNS1_14partition_implILS8_4ELb0ES6_15HIP_vector_typeIjLj2EENS0_17counting_iteratorIjlEEPS9_SG_NS0_5tupleIJPjSI_NS0_16reverse_iteratorISI_EEEEENSH_IJSG_SG_SG_EEES9_SI_JZNS1_25segmented_radix_sort_implINS0_14default_configELb1EPKdPdPKlPlN2at6native12_GLOBAL__N_18offset_tEEE10hipError_tPvRmT1_PNSt15iterator_traitsIS12_E10value_typeET2_T3_PNS13_IS18_E10value_typeET4_jRbjT5_S1E_jjP12ihipStream_tbEUljE_ZNSN_ISO_Lb1ESQ_SR_ST_SU_SY_EESZ_S10_S11_S12_S16_S17_S18_S1B_S1C_jS1D_jS1E_S1E_jjS1G_bEUljE0_EEESZ_S10_S11_S18_S1C_S1E_T6_T7_T9_mT8_S1G_bDpT10_ENKUlT_T0_E_clISt17integral_constantIbLb1EES1T_IbLb0EEEEDaS1P_S1Q_EUlS1P_E_NS1_11comp_targetILNS1_3genE4ELNS1_11target_archE910ELNS1_3gpuE8ELNS1_3repE0EEENS1_30default_config_static_selectorELNS0_4arch9wavefront6targetE0EEEvS12_
		.amdhsa_group_segment_fixed_size 0
		.amdhsa_private_segment_fixed_size 0
		.amdhsa_kernarg_size 176
		.amdhsa_user_sgpr_count 6
		.amdhsa_user_sgpr_private_segment_buffer 1
		.amdhsa_user_sgpr_dispatch_ptr 0
		.amdhsa_user_sgpr_queue_ptr 0
		.amdhsa_user_sgpr_kernarg_segment_ptr 1
		.amdhsa_user_sgpr_dispatch_id 0
		.amdhsa_user_sgpr_flat_scratch_init 0
		.amdhsa_user_sgpr_private_segment_size 0
		.amdhsa_wavefront_size32 1
		.amdhsa_uses_dynamic_stack 0
		.amdhsa_system_sgpr_private_segment_wavefront_offset 0
		.amdhsa_system_sgpr_workgroup_id_x 1
		.amdhsa_system_sgpr_workgroup_id_y 0
		.amdhsa_system_sgpr_workgroup_id_z 0
		.amdhsa_system_sgpr_workgroup_info 0
		.amdhsa_system_vgpr_workitem_id 0
		.amdhsa_next_free_vgpr 1
		.amdhsa_next_free_sgpr 1
		.amdhsa_reserve_vcc 0
		.amdhsa_reserve_flat_scratch 0
		.amdhsa_float_round_mode_32 0
		.amdhsa_float_round_mode_16_64 0
		.amdhsa_float_denorm_mode_32 3
		.amdhsa_float_denorm_mode_16_64 3
		.amdhsa_dx10_clamp 1
		.amdhsa_ieee_mode 1
		.amdhsa_fp16_overflow 0
		.amdhsa_workgroup_processor_mode 1
		.amdhsa_memory_ordered 1
		.amdhsa_forward_progress 1
		.amdhsa_shared_vgpr_count 0
		.amdhsa_exception_fp_ieee_invalid_op 0
		.amdhsa_exception_fp_denorm_src 0
		.amdhsa_exception_fp_ieee_div_zero 0
		.amdhsa_exception_fp_ieee_overflow 0
		.amdhsa_exception_fp_ieee_underflow 0
		.amdhsa_exception_fp_ieee_inexact 0
		.amdhsa_exception_int_div_zero 0
	.end_amdhsa_kernel
	.section	.text._ZN7rocprim17ROCPRIM_400000_NS6detail17trampoline_kernelINS0_13select_configILj256ELj13ELNS0_17block_load_methodE3ELS4_3ELS4_3ELNS0_20block_scan_algorithmE0ELj4294967295EEENS1_25partition_config_selectorILNS1_17partition_subalgoE4EjNS0_10empty_typeEbEEZZNS1_14partition_implILS8_4ELb0ES6_15HIP_vector_typeIjLj2EENS0_17counting_iteratorIjlEEPS9_SG_NS0_5tupleIJPjSI_NS0_16reverse_iteratorISI_EEEEENSH_IJSG_SG_SG_EEES9_SI_JZNS1_25segmented_radix_sort_implINS0_14default_configELb1EPKdPdPKlPlN2at6native12_GLOBAL__N_18offset_tEEE10hipError_tPvRmT1_PNSt15iterator_traitsIS12_E10value_typeET2_T3_PNS13_IS18_E10value_typeET4_jRbjT5_S1E_jjP12ihipStream_tbEUljE_ZNSN_ISO_Lb1ESQ_SR_ST_SU_SY_EESZ_S10_S11_S12_S16_S17_S18_S1B_S1C_jS1D_jS1E_S1E_jjS1G_bEUljE0_EEESZ_S10_S11_S18_S1C_S1E_T6_T7_T9_mT8_S1G_bDpT10_ENKUlT_T0_E_clISt17integral_constantIbLb1EES1T_IbLb0EEEEDaS1P_S1Q_EUlS1P_E_NS1_11comp_targetILNS1_3genE4ELNS1_11target_archE910ELNS1_3gpuE8ELNS1_3repE0EEENS1_30default_config_static_selectorELNS0_4arch9wavefront6targetE0EEEvS12_,"axG",@progbits,_ZN7rocprim17ROCPRIM_400000_NS6detail17trampoline_kernelINS0_13select_configILj256ELj13ELNS0_17block_load_methodE3ELS4_3ELS4_3ELNS0_20block_scan_algorithmE0ELj4294967295EEENS1_25partition_config_selectorILNS1_17partition_subalgoE4EjNS0_10empty_typeEbEEZZNS1_14partition_implILS8_4ELb0ES6_15HIP_vector_typeIjLj2EENS0_17counting_iteratorIjlEEPS9_SG_NS0_5tupleIJPjSI_NS0_16reverse_iteratorISI_EEEEENSH_IJSG_SG_SG_EEES9_SI_JZNS1_25segmented_radix_sort_implINS0_14default_configELb1EPKdPdPKlPlN2at6native12_GLOBAL__N_18offset_tEEE10hipError_tPvRmT1_PNSt15iterator_traitsIS12_E10value_typeET2_T3_PNS13_IS18_E10value_typeET4_jRbjT5_S1E_jjP12ihipStream_tbEUljE_ZNSN_ISO_Lb1ESQ_SR_ST_SU_SY_EESZ_S10_S11_S12_S16_S17_S18_S1B_S1C_jS1D_jS1E_S1E_jjS1G_bEUljE0_EEESZ_S10_S11_S18_S1C_S1E_T6_T7_T9_mT8_S1G_bDpT10_ENKUlT_T0_E_clISt17integral_constantIbLb1EES1T_IbLb0EEEEDaS1P_S1Q_EUlS1P_E_NS1_11comp_targetILNS1_3genE4ELNS1_11target_archE910ELNS1_3gpuE8ELNS1_3repE0EEENS1_30default_config_static_selectorELNS0_4arch9wavefront6targetE0EEEvS12_,comdat
.Lfunc_end1064:
	.size	_ZN7rocprim17ROCPRIM_400000_NS6detail17trampoline_kernelINS0_13select_configILj256ELj13ELNS0_17block_load_methodE3ELS4_3ELS4_3ELNS0_20block_scan_algorithmE0ELj4294967295EEENS1_25partition_config_selectorILNS1_17partition_subalgoE4EjNS0_10empty_typeEbEEZZNS1_14partition_implILS8_4ELb0ES6_15HIP_vector_typeIjLj2EENS0_17counting_iteratorIjlEEPS9_SG_NS0_5tupleIJPjSI_NS0_16reverse_iteratorISI_EEEEENSH_IJSG_SG_SG_EEES9_SI_JZNS1_25segmented_radix_sort_implINS0_14default_configELb1EPKdPdPKlPlN2at6native12_GLOBAL__N_18offset_tEEE10hipError_tPvRmT1_PNSt15iterator_traitsIS12_E10value_typeET2_T3_PNS13_IS18_E10value_typeET4_jRbjT5_S1E_jjP12ihipStream_tbEUljE_ZNSN_ISO_Lb1ESQ_SR_ST_SU_SY_EESZ_S10_S11_S12_S16_S17_S18_S1B_S1C_jS1D_jS1E_S1E_jjS1G_bEUljE0_EEESZ_S10_S11_S18_S1C_S1E_T6_T7_T9_mT8_S1G_bDpT10_ENKUlT_T0_E_clISt17integral_constantIbLb1EES1T_IbLb0EEEEDaS1P_S1Q_EUlS1P_E_NS1_11comp_targetILNS1_3genE4ELNS1_11target_archE910ELNS1_3gpuE8ELNS1_3repE0EEENS1_30default_config_static_selectorELNS0_4arch9wavefront6targetE0EEEvS12_, .Lfunc_end1064-_ZN7rocprim17ROCPRIM_400000_NS6detail17trampoline_kernelINS0_13select_configILj256ELj13ELNS0_17block_load_methodE3ELS4_3ELS4_3ELNS0_20block_scan_algorithmE0ELj4294967295EEENS1_25partition_config_selectorILNS1_17partition_subalgoE4EjNS0_10empty_typeEbEEZZNS1_14partition_implILS8_4ELb0ES6_15HIP_vector_typeIjLj2EENS0_17counting_iteratorIjlEEPS9_SG_NS0_5tupleIJPjSI_NS0_16reverse_iteratorISI_EEEEENSH_IJSG_SG_SG_EEES9_SI_JZNS1_25segmented_radix_sort_implINS0_14default_configELb1EPKdPdPKlPlN2at6native12_GLOBAL__N_18offset_tEEE10hipError_tPvRmT1_PNSt15iterator_traitsIS12_E10value_typeET2_T3_PNS13_IS18_E10value_typeET4_jRbjT5_S1E_jjP12ihipStream_tbEUljE_ZNSN_ISO_Lb1ESQ_SR_ST_SU_SY_EESZ_S10_S11_S12_S16_S17_S18_S1B_S1C_jS1D_jS1E_S1E_jjS1G_bEUljE0_EEESZ_S10_S11_S18_S1C_S1E_T6_T7_T9_mT8_S1G_bDpT10_ENKUlT_T0_E_clISt17integral_constantIbLb1EES1T_IbLb0EEEEDaS1P_S1Q_EUlS1P_E_NS1_11comp_targetILNS1_3genE4ELNS1_11target_archE910ELNS1_3gpuE8ELNS1_3repE0EEENS1_30default_config_static_selectorELNS0_4arch9wavefront6targetE0EEEvS12_
                                        ; -- End function
	.set _ZN7rocprim17ROCPRIM_400000_NS6detail17trampoline_kernelINS0_13select_configILj256ELj13ELNS0_17block_load_methodE3ELS4_3ELS4_3ELNS0_20block_scan_algorithmE0ELj4294967295EEENS1_25partition_config_selectorILNS1_17partition_subalgoE4EjNS0_10empty_typeEbEEZZNS1_14partition_implILS8_4ELb0ES6_15HIP_vector_typeIjLj2EENS0_17counting_iteratorIjlEEPS9_SG_NS0_5tupleIJPjSI_NS0_16reverse_iteratorISI_EEEEENSH_IJSG_SG_SG_EEES9_SI_JZNS1_25segmented_radix_sort_implINS0_14default_configELb1EPKdPdPKlPlN2at6native12_GLOBAL__N_18offset_tEEE10hipError_tPvRmT1_PNSt15iterator_traitsIS12_E10value_typeET2_T3_PNS13_IS18_E10value_typeET4_jRbjT5_S1E_jjP12ihipStream_tbEUljE_ZNSN_ISO_Lb1ESQ_SR_ST_SU_SY_EESZ_S10_S11_S12_S16_S17_S18_S1B_S1C_jS1D_jS1E_S1E_jjS1G_bEUljE0_EEESZ_S10_S11_S18_S1C_S1E_T6_T7_T9_mT8_S1G_bDpT10_ENKUlT_T0_E_clISt17integral_constantIbLb1EES1T_IbLb0EEEEDaS1P_S1Q_EUlS1P_E_NS1_11comp_targetILNS1_3genE4ELNS1_11target_archE910ELNS1_3gpuE8ELNS1_3repE0EEENS1_30default_config_static_selectorELNS0_4arch9wavefront6targetE0EEEvS12_.num_vgpr, 0
	.set _ZN7rocprim17ROCPRIM_400000_NS6detail17trampoline_kernelINS0_13select_configILj256ELj13ELNS0_17block_load_methodE3ELS4_3ELS4_3ELNS0_20block_scan_algorithmE0ELj4294967295EEENS1_25partition_config_selectorILNS1_17partition_subalgoE4EjNS0_10empty_typeEbEEZZNS1_14partition_implILS8_4ELb0ES6_15HIP_vector_typeIjLj2EENS0_17counting_iteratorIjlEEPS9_SG_NS0_5tupleIJPjSI_NS0_16reverse_iteratorISI_EEEEENSH_IJSG_SG_SG_EEES9_SI_JZNS1_25segmented_radix_sort_implINS0_14default_configELb1EPKdPdPKlPlN2at6native12_GLOBAL__N_18offset_tEEE10hipError_tPvRmT1_PNSt15iterator_traitsIS12_E10value_typeET2_T3_PNS13_IS18_E10value_typeET4_jRbjT5_S1E_jjP12ihipStream_tbEUljE_ZNSN_ISO_Lb1ESQ_SR_ST_SU_SY_EESZ_S10_S11_S12_S16_S17_S18_S1B_S1C_jS1D_jS1E_S1E_jjS1G_bEUljE0_EEESZ_S10_S11_S18_S1C_S1E_T6_T7_T9_mT8_S1G_bDpT10_ENKUlT_T0_E_clISt17integral_constantIbLb1EES1T_IbLb0EEEEDaS1P_S1Q_EUlS1P_E_NS1_11comp_targetILNS1_3genE4ELNS1_11target_archE910ELNS1_3gpuE8ELNS1_3repE0EEENS1_30default_config_static_selectorELNS0_4arch9wavefront6targetE0EEEvS12_.num_agpr, 0
	.set _ZN7rocprim17ROCPRIM_400000_NS6detail17trampoline_kernelINS0_13select_configILj256ELj13ELNS0_17block_load_methodE3ELS4_3ELS4_3ELNS0_20block_scan_algorithmE0ELj4294967295EEENS1_25partition_config_selectorILNS1_17partition_subalgoE4EjNS0_10empty_typeEbEEZZNS1_14partition_implILS8_4ELb0ES6_15HIP_vector_typeIjLj2EENS0_17counting_iteratorIjlEEPS9_SG_NS0_5tupleIJPjSI_NS0_16reverse_iteratorISI_EEEEENSH_IJSG_SG_SG_EEES9_SI_JZNS1_25segmented_radix_sort_implINS0_14default_configELb1EPKdPdPKlPlN2at6native12_GLOBAL__N_18offset_tEEE10hipError_tPvRmT1_PNSt15iterator_traitsIS12_E10value_typeET2_T3_PNS13_IS18_E10value_typeET4_jRbjT5_S1E_jjP12ihipStream_tbEUljE_ZNSN_ISO_Lb1ESQ_SR_ST_SU_SY_EESZ_S10_S11_S12_S16_S17_S18_S1B_S1C_jS1D_jS1E_S1E_jjS1G_bEUljE0_EEESZ_S10_S11_S18_S1C_S1E_T6_T7_T9_mT8_S1G_bDpT10_ENKUlT_T0_E_clISt17integral_constantIbLb1EES1T_IbLb0EEEEDaS1P_S1Q_EUlS1P_E_NS1_11comp_targetILNS1_3genE4ELNS1_11target_archE910ELNS1_3gpuE8ELNS1_3repE0EEENS1_30default_config_static_selectorELNS0_4arch9wavefront6targetE0EEEvS12_.numbered_sgpr, 0
	.set _ZN7rocprim17ROCPRIM_400000_NS6detail17trampoline_kernelINS0_13select_configILj256ELj13ELNS0_17block_load_methodE3ELS4_3ELS4_3ELNS0_20block_scan_algorithmE0ELj4294967295EEENS1_25partition_config_selectorILNS1_17partition_subalgoE4EjNS0_10empty_typeEbEEZZNS1_14partition_implILS8_4ELb0ES6_15HIP_vector_typeIjLj2EENS0_17counting_iteratorIjlEEPS9_SG_NS0_5tupleIJPjSI_NS0_16reverse_iteratorISI_EEEEENSH_IJSG_SG_SG_EEES9_SI_JZNS1_25segmented_radix_sort_implINS0_14default_configELb1EPKdPdPKlPlN2at6native12_GLOBAL__N_18offset_tEEE10hipError_tPvRmT1_PNSt15iterator_traitsIS12_E10value_typeET2_T3_PNS13_IS18_E10value_typeET4_jRbjT5_S1E_jjP12ihipStream_tbEUljE_ZNSN_ISO_Lb1ESQ_SR_ST_SU_SY_EESZ_S10_S11_S12_S16_S17_S18_S1B_S1C_jS1D_jS1E_S1E_jjS1G_bEUljE0_EEESZ_S10_S11_S18_S1C_S1E_T6_T7_T9_mT8_S1G_bDpT10_ENKUlT_T0_E_clISt17integral_constantIbLb1EES1T_IbLb0EEEEDaS1P_S1Q_EUlS1P_E_NS1_11comp_targetILNS1_3genE4ELNS1_11target_archE910ELNS1_3gpuE8ELNS1_3repE0EEENS1_30default_config_static_selectorELNS0_4arch9wavefront6targetE0EEEvS12_.num_named_barrier, 0
	.set _ZN7rocprim17ROCPRIM_400000_NS6detail17trampoline_kernelINS0_13select_configILj256ELj13ELNS0_17block_load_methodE3ELS4_3ELS4_3ELNS0_20block_scan_algorithmE0ELj4294967295EEENS1_25partition_config_selectorILNS1_17partition_subalgoE4EjNS0_10empty_typeEbEEZZNS1_14partition_implILS8_4ELb0ES6_15HIP_vector_typeIjLj2EENS0_17counting_iteratorIjlEEPS9_SG_NS0_5tupleIJPjSI_NS0_16reverse_iteratorISI_EEEEENSH_IJSG_SG_SG_EEES9_SI_JZNS1_25segmented_radix_sort_implINS0_14default_configELb1EPKdPdPKlPlN2at6native12_GLOBAL__N_18offset_tEEE10hipError_tPvRmT1_PNSt15iterator_traitsIS12_E10value_typeET2_T3_PNS13_IS18_E10value_typeET4_jRbjT5_S1E_jjP12ihipStream_tbEUljE_ZNSN_ISO_Lb1ESQ_SR_ST_SU_SY_EESZ_S10_S11_S12_S16_S17_S18_S1B_S1C_jS1D_jS1E_S1E_jjS1G_bEUljE0_EEESZ_S10_S11_S18_S1C_S1E_T6_T7_T9_mT8_S1G_bDpT10_ENKUlT_T0_E_clISt17integral_constantIbLb1EES1T_IbLb0EEEEDaS1P_S1Q_EUlS1P_E_NS1_11comp_targetILNS1_3genE4ELNS1_11target_archE910ELNS1_3gpuE8ELNS1_3repE0EEENS1_30default_config_static_selectorELNS0_4arch9wavefront6targetE0EEEvS12_.private_seg_size, 0
	.set _ZN7rocprim17ROCPRIM_400000_NS6detail17trampoline_kernelINS0_13select_configILj256ELj13ELNS0_17block_load_methodE3ELS4_3ELS4_3ELNS0_20block_scan_algorithmE0ELj4294967295EEENS1_25partition_config_selectorILNS1_17partition_subalgoE4EjNS0_10empty_typeEbEEZZNS1_14partition_implILS8_4ELb0ES6_15HIP_vector_typeIjLj2EENS0_17counting_iteratorIjlEEPS9_SG_NS0_5tupleIJPjSI_NS0_16reverse_iteratorISI_EEEEENSH_IJSG_SG_SG_EEES9_SI_JZNS1_25segmented_radix_sort_implINS0_14default_configELb1EPKdPdPKlPlN2at6native12_GLOBAL__N_18offset_tEEE10hipError_tPvRmT1_PNSt15iterator_traitsIS12_E10value_typeET2_T3_PNS13_IS18_E10value_typeET4_jRbjT5_S1E_jjP12ihipStream_tbEUljE_ZNSN_ISO_Lb1ESQ_SR_ST_SU_SY_EESZ_S10_S11_S12_S16_S17_S18_S1B_S1C_jS1D_jS1E_S1E_jjS1G_bEUljE0_EEESZ_S10_S11_S18_S1C_S1E_T6_T7_T9_mT8_S1G_bDpT10_ENKUlT_T0_E_clISt17integral_constantIbLb1EES1T_IbLb0EEEEDaS1P_S1Q_EUlS1P_E_NS1_11comp_targetILNS1_3genE4ELNS1_11target_archE910ELNS1_3gpuE8ELNS1_3repE0EEENS1_30default_config_static_selectorELNS0_4arch9wavefront6targetE0EEEvS12_.uses_vcc, 0
	.set _ZN7rocprim17ROCPRIM_400000_NS6detail17trampoline_kernelINS0_13select_configILj256ELj13ELNS0_17block_load_methodE3ELS4_3ELS4_3ELNS0_20block_scan_algorithmE0ELj4294967295EEENS1_25partition_config_selectorILNS1_17partition_subalgoE4EjNS0_10empty_typeEbEEZZNS1_14partition_implILS8_4ELb0ES6_15HIP_vector_typeIjLj2EENS0_17counting_iteratorIjlEEPS9_SG_NS0_5tupleIJPjSI_NS0_16reverse_iteratorISI_EEEEENSH_IJSG_SG_SG_EEES9_SI_JZNS1_25segmented_radix_sort_implINS0_14default_configELb1EPKdPdPKlPlN2at6native12_GLOBAL__N_18offset_tEEE10hipError_tPvRmT1_PNSt15iterator_traitsIS12_E10value_typeET2_T3_PNS13_IS18_E10value_typeET4_jRbjT5_S1E_jjP12ihipStream_tbEUljE_ZNSN_ISO_Lb1ESQ_SR_ST_SU_SY_EESZ_S10_S11_S12_S16_S17_S18_S1B_S1C_jS1D_jS1E_S1E_jjS1G_bEUljE0_EEESZ_S10_S11_S18_S1C_S1E_T6_T7_T9_mT8_S1G_bDpT10_ENKUlT_T0_E_clISt17integral_constantIbLb1EES1T_IbLb0EEEEDaS1P_S1Q_EUlS1P_E_NS1_11comp_targetILNS1_3genE4ELNS1_11target_archE910ELNS1_3gpuE8ELNS1_3repE0EEENS1_30default_config_static_selectorELNS0_4arch9wavefront6targetE0EEEvS12_.uses_flat_scratch, 0
	.set _ZN7rocprim17ROCPRIM_400000_NS6detail17trampoline_kernelINS0_13select_configILj256ELj13ELNS0_17block_load_methodE3ELS4_3ELS4_3ELNS0_20block_scan_algorithmE0ELj4294967295EEENS1_25partition_config_selectorILNS1_17partition_subalgoE4EjNS0_10empty_typeEbEEZZNS1_14partition_implILS8_4ELb0ES6_15HIP_vector_typeIjLj2EENS0_17counting_iteratorIjlEEPS9_SG_NS0_5tupleIJPjSI_NS0_16reverse_iteratorISI_EEEEENSH_IJSG_SG_SG_EEES9_SI_JZNS1_25segmented_radix_sort_implINS0_14default_configELb1EPKdPdPKlPlN2at6native12_GLOBAL__N_18offset_tEEE10hipError_tPvRmT1_PNSt15iterator_traitsIS12_E10value_typeET2_T3_PNS13_IS18_E10value_typeET4_jRbjT5_S1E_jjP12ihipStream_tbEUljE_ZNSN_ISO_Lb1ESQ_SR_ST_SU_SY_EESZ_S10_S11_S12_S16_S17_S18_S1B_S1C_jS1D_jS1E_S1E_jjS1G_bEUljE0_EEESZ_S10_S11_S18_S1C_S1E_T6_T7_T9_mT8_S1G_bDpT10_ENKUlT_T0_E_clISt17integral_constantIbLb1EES1T_IbLb0EEEEDaS1P_S1Q_EUlS1P_E_NS1_11comp_targetILNS1_3genE4ELNS1_11target_archE910ELNS1_3gpuE8ELNS1_3repE0EEENS1_30default_config_static_selectorELNS0_4arch9wavefront6targetE0EEEvS12_.has_dyn_sized_stack, 0
	.set _ZN7rocprim17ROCPRIM_400000_NS6detail17trampoline_kernelINS0_13select_configILj256ELj13ELNS0_17block_load_methodE3ELS4_3ELS4_3ELNS0_20block_scan_algorithmE0ELj4294967295EEENS1_25partition_config_selectorILNS1_17partition_subalgoE4EjNS0_10empty_typeEbEEZZNS1_14partition_implILS8_4ELb0ES6_15HIP_vector_typeIjLj2EENS0_17counting_iteratorIjlEEPS9_SG_NS0_5tupleIJPjSI_NS0_16reverse_iteratorISI_EEEEENSH_IJSG_SG_SG_EEES9_SI_JZNS1_25segmented_radix_sort_implINS0_14default_configELb1EPKdPdPKlPlN2at6native12_GLOBAL__N_18offset_tEEE10hipError_tPvRmT1_PNSt15iterator_traitsIS12_E10value_typeET2_T3_PNS13_IS18_E10value_typeET4_jRbjT5_S1E_jjP12ihipStream_tbEUljE_ZNSN_ISO_Lb1ESQ_SR_ST_SU_SY_EESZ_S10_S11_S12_S16_S17_S18_S1B_S1C_jS1D_jS1E_S1E_jjS1G_bEUljE0_EEESZ_S10_S11_S18_S1C_S1E_T6_T7_T9_mT8_S1G_bDpT10_ENKUlT_T0_E_clISt17integral_constantIbLb1EES1T_IbLb0EEEEDaS1P_S1Q_EUlS1P_E_NS1_11comp_targetILNS1_3genE4ELNS1_11target_archE910ELNS1_3gpuE8ELNS1_3repE0EEENS1_30default_config_static_selectorELNS0_4arch9wavefront6targetE0EEEvS12_.has_recursion, 0
	.set _ZN7rocprim17ROCPRIM_400000_NS6detail17trampoline_kernelINS0_13select_configILj256ELj13ELNS0_17block_load_methodE3ELS4_3ELS4_3ELNS0_20block_scan_algorithmE0ELj4294967295EEENS1_25partition_config_selectorILNS1_17partition_subalgoE4EjNS0_10empty_typeEbEEZZNS1_14partition_implILS8_4ELb0ES6_15HIP_vector_typeIjLj2EENS0_17counting_iteratorIjlEEPS9_SG_NS0_5tupleIJPjSI_NS0_16reverse_iteratorISI_EEEEENSH_IJSG_SG_SG_EEES9_SI_JZNS1_25segmented_radix_sort_implINS0_14default_configELb1EPKdPdPKlPlN2at6native12_GLOBAL__N_18offset_tEEE10hipError_tPvRmT1_PNSt15iterator_traitsIS12_E10value_typeET2_T3_PNS13_IS18_E10value_typeET4_jRbjT5_S1E_jjP12ihipStream_tbEUljE_ZNSN_ISO_Lb1ESQ_SR_ST_SU_SY_EESZ_S10_S11_S12_S16_S17_S18_S1B_S1C_jS1D_jS1E_S1E_jjS1G_bEUljE0_EEESZ_S10_S11_S18_S1C_S1E_T6_T7_T9_mT8_S1G_bDpT10_ENKUlT_T0_E_clISt17integral_constantIbLb1EES1T_IbLb0EEEEDaS1P_S1Q_EUlS1P_E_NS1_11comp_targetILNS1_3genE4ELNS1_11target_archE910ELNS1_3gpuE8ELNS1_3repE0EEENS1_30default_config_static_selectorELNS0_4arch9wavefront6targetE0EEEvS12_.has_indirect_call, 0
	.section	.AMDGPU.csdata,"",@progbits
; Kernel info:
; codeLenInByte = 0
; TotalNumSgprs: 0
; NumVgprs: 0
; ScratchSize: 0
; MemoryBound: 0
; FloatMode: 240
; IeeeMode: 1
; LDSByteSize: 0 bytes/workgroup (compile time only)
; SGPRBlocks: 0
; VGPRBlocks: 0
; NumSGPRsForWavesPerEU: 1
; NumVGPRsForWavesPerEU: 1
; Occupancy: 16
; WaveLimiterHint : 0
; COMPUTE_PGM_RSRC2:SCRATCH_EN: 0
; COMPUTE_PGM_RSRC2:USER_SGPR: 6
; COMPUTE_PGM_RSRC2:TRAP_HANDLER: 0
; COMPUTE_PGM_RSRC2:TGID_X_EN: 1
; COMPUTE_PGM_RSRC2:TGID_Y_EN: 0
; COMPUTE_PGM_RSRC2:TGID_Z_EN: 0
; COMPUTE_PGM_RSRC2:TIDIG_COMP_CNT: 0
	.section	.text._ZN7rocprim17ROCPRIM_400000_NS6detail17trampoline_kernelINS0_13select_configILj256ELj13ELNS0_17block_load_methodE3ELS4_3ELS4_3ELNS0_20block_scan_algorithmE0ELj4294967295EEENS1_25partition_config_selectorILNS1_17partition_subalgoE4EjNS0_10empty_typeEbEEZZNS1_14partition_implILS8_4ELb0ES6_15HIP_vector_typeIjLj2EENS0_17counting_iteratorIjlEEPS9_SG_NS0_5tupleIJPjSI_NS0_16reverse_iteratorISI_EEEEENSH_IJSG_SG_SG_EEES9_SI_JZNS1_25segmented_radix_sort_implINS0_14default_configELb1EPKdPdPKlPlN2at6native12_GLOBAL__N_18offset_tEEE10hipError_tPvRmT1_PNSt15iterator_traitsIS12_E10value_typeET2_T3_PNS13_IS18_E10value_typeET4_jRbjT5_S1E_jjP12ihipStream_tbEUljE_ZNSN_ISO_Lb1ESQ_SR_ST_SU_SY_EESZ_S10_S11_S12_S16_S17_S18_S1B_S1C_jS1D_jS1E_S1E_jjS1G_bEUljE0_EEESZ_S10_S11_S18_S1C_S1E_T6_T7_T9_mT8_S1G_bDpT10_ENKUlT_T0_E_clISt17integral_constantIbLb1EES1T_IbLb0EEEEDaS1P_S1Q_EUlS1P_E_NS1_11comp_targetILNS1_3genE3ELNS1_11target_archE908ELNS1_3gpuE7ELNS1_3repE0EEENS1_30default_config_static_selectorELNS0_4arch9wavefront6targetE0EEEvS12_,"axG",@progbits,_ZN7rocprim17ROCPRIM_400000_NS6detail17trampoline_kernelINS0_13select_configILj256ELj13ELNS0_17block_load_methodE3ELS4_3ELS4_3ELNS0_20block_scan_algorithmE0ELj4294967295EEENS1_25partition_config_selectorILNS1_17partition_subalgoE4EjNS0_10empty_typeEbEEZZNS1_14partition_implILS8_4ELb0ES6_15HIP_vector_typeIjLj2EENS0_17counting_iteratorIjlEEPS9_SG_NS0_5tupleIJPjSI_NS0_16reverse_iteratorISI_EEEEENSH_IJSG_SG_SG_EEES9_SI_JZNS1_25segmented_radix_sort_implINS0_14default_configELb1EPKdPdPKlPlN2at6native12_GLOBAL__N_18offset_tEEE10hipError_tPvRmT1_PNSt15iterator_traitsIS12_E10value_typeET2_T3_PNS13_IS18_E10value_typeET4_jRbjT5_S1E_jjP12ihipStream_tbEUljE_ZNSN_ISO_Lb1ESQ_SR_ST_SU_SY_EESZ_S10_S11_S12_S16_S17_S18_S1B_S1C_jS1D_jS1E_S1E_jjS1G_bEUljE0_EEESZ_S10_S11_S18_S1C_S1E_T6_T7_T9_mT8_S1G_bDpT10_ENKUlT_T0_E_clISt17integral_constantIbLb1EES1T_IbLb0EEEEDaS1P_S1Q_EUlS1P_E_NS1_11comp_targetILNS1_3genE3ELNS1_11target_archE908ELNS1_3gpuE7ELNS1_3repE0EEENS1_30default_config_static_selectorELNS0_4arch9wavefront6targetE0EEEvS12_,comdat
	.globl	_ZN7rocprim17ROCPRIM_400000_NS6detail17trampoline_kernelINS0_13select_configILj256ELj13ELNS0_17block_load_methodE3ELS4_3ELS4_3ELNS0_20block_scan_algorithmE0ELj4294967295EEENS1_25partition_config_selectorILNS1_17partition_subalgoE4EjNS0_10empty_typeEbEEZZNS1_14partition_implILS8_4ELb0ES6_15HIP_vector_typeIjLj2EENS0_17counting_iteratorIjlEEPS9_SG_NS0_5tupleIJPjSI_NS0_16reverse_iteratorISI_EEEEENSH_IJSG_SG_SG_EEES9_SI_JZNS1_25segmented_radix_sort_implINS0_14default_configELb1EPKdPdPKlPlN2at6native12_GLOBAL__N_18offset_tEEE10hipError_tPvRmT1_PNSt15iterator_traitsIS12_E10value_typeET2_T3_PNS13_IS18_E10value_typeET4_jRbjT5_S1E_jjP12ihipStream_tbEUljE_ZNSN_ISO_Lb1ESQ_SR_ST_SU_SY_EESZ_S10_S11_S12_S16_S17_S18_S1B_S1C_jS1D_jS1E_S1E_jjS1G_bEUljE0_EEESZ_S10_S11_S18_S1C_S1E_T6_T7_T9_mT8_S1G_bDpT10_ENKUlT_T0_E_clISt17integral_constantIbLb1EES1T_IbLb0EEEEDaS1P_S1Q_EUlS1P_E_NS1_11comp_targetILNS1_3genE3ELNS1_11target_archE908ELNS1_3gpuE7ELNS1_3repE0EEENS1_30default_config_static_selectorELNS0_4arch9wavefront6targetE0EEEvS12_ ; -- Begin function _ZN7rocprim17ROCPRIM_400000_NS6detail17trampoline_kernelINS0_13select_configILj256ELj13ELNS0_17block_load_methodE3ELS4_3ELS4_3ELNS0_20block_scan_algorithmE0ELj4294967295EEENS1_25partition_config_selectorILNS1_17partition_subalgoE4EjNS0_10empty_typeEbEEZZNS1_14partition_implILS8_4ELb0ES6_15HIP_vector_typeIjLj2EENS0_17counting_iteratorIjlEEPS9_SG_NS0_5tupleIJPjSI_NS0_16reverse_iteratorISI_EEEEENSH_IJSG_SG_SG_EEES9_SI_JZNS1_25segmented_radix_sort_implINS0_14default_configELb1EPKdPdPKlPlN2at6native12_GLOBAL__N_18offset_tEEE10hipError_tPvRmT1_PNSt15iterator_traitsIS12_E10value_typeET2_T3_PNS13_IS18_E10value_typeET4_jRbjT5_S1E_jjP12ihipStream_tbEUljE_ZNSN_ISO_Lb1ESQ_SR_ST_SU_SY_EESZ_S10_S11_S12_S16_S17_S18_S1B_S1C_jS1D_jS1E_S1E_jjS1G_bEUljE0_EEESZ_S10_S11_S18_S1C_S1E_T6_T7_T9_mT8_S1G_bDpT10_ENKUlT_T0_E_clISt17integral_constantIbLb1EES1T_IbLb0EEEEDaS1P_S1Q_EUlS1P_E_NS1_11comp_targetILNS1_3genE3ELNS1_11target_archE908ELNS1_3gpuE7ELNS1_3repE0EEENS1_30default_config_static_selectorELNS0_4arch9wavefront6targetE0EEEvS12_
	.p2align	8
	.type	_ZN7rocprim17ROCPRIM_400000_NS6detail17trampoline_kernelINS0_13select_configILj256ELj13ELNS0_17block_load_methodE3ELS4_3ELS4_3ELNS0_20block_scan_algorithmE0ELj4294967295EEENS1_25partition_config_selectorILNS1_17partition_subalgoE4EjNS0_10empty_typeEbEEZZNS1_14partition_implILS8_4ELb0ES6_15HIP_vector_typeIjLj2EENS0_17counting_iteratorIjlEEPS9_SG_NS0_5tupleIJPjSI_NS0_16reverse_iteratorISI_EEEEENSH_IJSG_SG_SG_EEES9_SI_JZNS1_25segmented_radix_sort_implINS0_14default_configELb1EPKdPdPKlPlN2at6native12_GLOBAL__N_18offset_tEEE10hipError_tPvRmT1_PNSt15iterator_traitsIS12_E10value_typeET2_T3_PNS13_IS18_E10value_typeET4_jRbjT5_S1E_jjP12ihipStream_tbEUljE_ZNSN_ISO_Lb1ESQ_SR_ST_SU_SY_EESZ_S10_S11_S12_S16_S17_S18_S1B_S1C_jS1D_jS1E_S1E_jjS1G_bEUljE0_EEESZ_S10_S11_S18_S1C_S1E_T6_T7_T9_mT8_S1G_bDpT10_ENKUlT_T0_E_clISt17integral_constantIbLb1EES1T_IbLb0EEEEDaS1P_S1Q_EUlS1P_E_NS1_11comp_targetILNS1_3genE3ELNS1_11target_archE908ELNS1_3gpuE7ELNS1_3repE0EEENS1_30default_config_static_selectorELNS0_4arch9wavefront6targetE0EEEvS12_,@function
_ZN7rocprim17ROCPRIM_400000_NS6detail17trampoline_kernelINS0_13select_configILj256ELj13ELNS0_17block_load_methodE3ELS4_3ELS4_3ELNS0_20block_scan_algorithmE0ELj4294967295EEENS1_25partition_config_selectorILNS1_17partition_subalgoE4EjNS0_10empty_typeEbEEZZNS1_14partition_implILS8_4ELb0ES6_15HIP_vector_typeIjLj2EENS0_17counting_iteratorIjlEEPS9_SG_NS0_5tupleIJPjSI_NS0_16reverse_iteratorISI_EEEEENSH_IJSG_SG_SG_EEES9_SI_JZNS1_25segmented_radix_sort_implINS0_14default_configELb1EPKdPdPKlPlN2at6native12_GLOBAL__N_18offset_tEEE10hipError_tPvRmT1_PNSt15iterator_traitsIS12_E10value_typeET2_T3_PNS13_IS18_E10value_typeET4_jRbjT5_S1E_jjP12ihipStream_tbEUljE_ZNSN_ISO_Lb1ESQ_SR_ST_SU_SY_EESZ_S10_S11_S12_S16_S17_S18_S1B_S1C_jS1D_jS1E_S1E_jjS1G_bEUljE0_EEESZ_S10_S11_S18_S1C_S1E_T6_T7_T9_mT8_S1G_bDpT10_ENKUlT_T0_E_clISt17integral_constantIbLb1EES1T_IbLb0EEEEDaS1P_S1Q_EUlS1P_E_NS1_11comp_targetILNS1_3genE3ELNS1_11target_archE908ELNS1_3gpuE7ELNS1_3repE0EEENS1_30default_config_static_selectorELNS0_4arch9wavefront6targetE0EEEvS12_: ; @_ZN7rocprim17ROCPRIM_400000_NS6detail17trampoline_kernelINS0_13select_configILj256ELj13ELNS0_17block_load_methodE3ELS4_3ELS4_3ELNS0_20block_scan_algorithmE0ELj4294967295EEENS1_25partition_config_selectorILNS1_17partition_subalgoE4EjNS0_10empty_typeEbEEZZNS1_14partition_implILS8_4ELb0ES6_15HIP_vector_typeIjLj2EENS0_17counting_iteratorIjlEEPS9_SG_NS0_5tupleIJPjSI_NS0_16reverse_iteratorISI_EEEEENSH_IJSG_SG_SG_EEES9_SI_JZNS1_25segmented_radix_sort_implINS0_14default_configELb1EPKdPdPKlPlN2at6native12_GLOBAL__N_18offset_tEEE10hipError_tPvRmT1_PNSt15iterator_traitsIS12_E10value_typeET2_T3_PNS13_IS18_E10value_typeET4_jRbjT5_S1E_jjP12ihipStream_tbEUljE_ZNSN_ISO_Lb1ESQ_SR_ST_SU_SY_EESZ_S10_S11_S12_S16_S17_S18_S1B_S1C_jS1D_jS1E_S1E_jjS1G_bEUljE0_EEESZ_S10_S11_S18_S1C_S1E_T6_T7_T9_mT8_S1G_bDpT10_ENKUlT_T0_E_clISt17integral_constantIbLb1EES1T_IbLb0EEEEDaS1P_S1Q_EUlS1P_E_NS1_11comp_targetILNS1_3genE3ELNS1_11target_archE908ELNS1_3gpuE7ELNS1_3repE0EEENS1_30default_config_static_selectorELNS0_4arch9wavefront6targetE0EEEvS12_
; %bb.0:
	.section	.rodata,"a",@progbits
	.p2align	6, 0x0
	.amdhsa_kernel _ZN7rocprim17ROCPRIM_400000_NS6detail17trampoline_kernelINS0_13select_configILj256ELj13ELNS0_17block_load_methodE3ELS4_3ELS4_3ELNS0_20block_scan_algorithmE0ELj4294967295EEENS1_25partition_config_selectorILNS1_17partition_subalgoE4EjNS0_10empty_typeEbEEZZNS1_14partition_implILS8_4ELb0ES6_15HIP_vector_typeIjLj2EENS0_17counting_iteratorIjlEEPS9_SG_NS0_5tupleIJPjSI_NS0_16reverse_iteratorISI_EEEEENSH_IJSG_SG_SG_EEES9_SI_JZNS1_25segmented_radix_sort_implINS0_14default_configELb1EPKdPdPKlPlN2at6native12_GLOBAL__N_18offset_tEEE10hipError_tPvRmT1_PNSt15iterator_traitsIS12_E10value_typeET2_T3_PNS13_IS18_E10value_typeET4_jRbjT5_S1E_jjP12ihipStream_tbEUljE_ZNSN_ISO_Lb1ESQ_SR_ST_SU_SY_EESZ_S10_S11_S12_S16_S17_S18_S1B_S1C_jS1D_jS1E_S1E_jjS1G_bEUljE0_EEESZ_S10_S11_S18_S1C_S1E_T6_T7_T9_mT8_S1G_bDpT10_ENKUlT_T0_E_clISt17integral_constantIbLb1EES1T_IbLb0EEEEDaS1P_S1Q_EUlS1P_E_NS1_11comp_targetILNS1_3genE3ELNS1_11target_archE908ELNS1_3gpuE7ELNS1_3repE0EEENS1_30default_config_static_selectorELNS0_4arch9wavefront6targetE0EEEvS12_
		.amdhsa_group_segment_fixed_size 0
		.amdhsa_private_segment_fixed_size 0
		.amdhsa_kernarg_size 176
		.amdhsa_user_sgpr_count 6
		.amdhsa_user_sgpr_private_segment_buffer 1
		.amdhsa_user_sgpr_dispatch_ptr 0
		.amdhsa_user_sgpr_queue_ptr 0
		.amdhsa_user_sgpr_kernarg_segment_ptr 1
		.amdhsa_user_sgpr_dispatch_id 0
		.amdhsa_user_sgpr_flat_scratch_init 0
		.amdhsa_user_sgpr_private_segment_size 0
		.amdhsa_wavefront_size32 1
		.amdhsa_uses_dynamic_stack 0
		.amdhsa_system_sgpr_private_segment_wavefront_offset 0
		.amdhsa_system_sgpr_workgroup_id_x 1
		.amdhsa_system_sgpr_workgroup_id_y 0
		.amdhsa_system_sgpr_workgroup_id_z 0
		.amdhsa_system_sgpr_workgroup_info 0
		.amdhsa_system_vgpr_workitem_id 0
		.amdhsa_next_free_vgpr 1
		.amdhsa_next_free_sgpr 1
		.amdhsa_reserve_vcc 0
		.amdhsa_reserve_flat_scratch 0
		.amdhsa_float_round_mode_32 0
		.amdhsa_float_round_mode_16_64 0
		.amdhsa_float_denorm_mode_32 3
		.amdhsa_float_denorm_mode_16_64 3
		.amdhsa_dx10_clamp 1
		.amdhsa_ieee_mode 1
		.amdhsa_fp16_overflow 0
		.amdhsa_workgroup_processor_mode 1
		.amdhsa_memory_ordered 1
		.amdhsa_forward_progress 1
		.amdhsa_shared_vgpr_count 0
		.amdhsa_exception_fp_ieee_invalid_op 0
		.amdhsa_exception_fp_denorm_src 0
		.amdhsa_exception_fp_ieee_div_zero 0
		.amdhsa_exception_fp_ieee_overflow 0
		.amdhsa_exception_fp_ieee_underflow 0
		.amdhsa_exception_fp_ieee_inexact 0
		.amdhsa_exception_int_div_zero 0
	.end_amdhsa_kernel
	.section	.text._ZN7rocprim17ROCPRIM_400000_NS6detail17trampoline_kernelINS0_13select_configILj256ELj13ELNS0_17block_load_methodE3ELS4_3ELS4_3ELNS0_20block_scan_algorithmE0ELj4294967295EEENS1_25partition_config_selectorILNS1_17partition_subalgoE4EjNS0_10empty_typeEbEEZZNS1_14partition_implILS8_4ELb0ES6_15HIP_vector_typeIjLj2EENS0_17counting_iteratorIjlEEPS9_SG_NS0_5tupleIJPjSI_NS0_16reverse_iteratorISI_EEEEENSH_IJSG_SG_SG_EEES9_SI_JZNS1_25segmented_radix_sort_implINS0_14default_configELb1EPKdPdPKlPlN2at6native12_GLOBAL__N_18offset_tEEE10hipError_tPvRmT1_PNSt15iterator_traitsIS12_E10value_typeET2_T3_PNS13_IS18_E10value_typeET4_jRbjT5_S1E_jjP12ihipStream_tbEUljE_ZNSN_ISO_Lb1ESQ_SR_ST_SU_SY_EESZ_S10_S11_S12_S16_S17_S18_S1B_S1C_jS1D_jS1E_S1E_jjS1G_bEUljE0_EEESZ_S10_S11_S18_S1C_S1E_T6_T7_T9_mT8_S1G_bDpT10_ENKUlT_T0_E_clISt17integral_constantIbLb1EES1T_IbLb0EEEEDaS1P_S1Q_EUlS1P_E_NS1_11comp_targetILNS1_3genE3ELNS1_11target_archE908ELNS1_3gpuE7ELNS1_3repE0EEENS1_30default_config_static_selectorELNS0_4arch9wavefront6targetE0EEEvS12_,"axG",@progbits,_ZN7rocprim17ROCPRIM_400000_NS6detail17trampoline_kernelINS0_13select_configILj256ELj13ELNS0_17block_load_methodE3ELS4_3ELS4_3ELNS0_20block_scan_algorithmE0ELj4294967295EEENS1_25partition_config_selectorILNS1_17partition_subalgoE4EjNS0_10empty_typeEbEEZZNS1_14partition_implILS8_4ELb0ES6_15HIP_vector_typeIjLj2EENS0_17counting_iteratorIjlEEPS9_SG_NS0_5tupleIJPjSI_NS0_16reverse_iteratorISI_EEEEENSH_IJSG_SG_SG_EEES9_SI_JZNS1_25segmented_radix_sort_implINS0_14default_configELb1EPKdPdPKlPlN2at6native12_GLOBAL__N_18offset_tEEE10hipError_tPvRmT1_PNSt15iterator_traitsIS12_E10value_typeET2_T3_PNS13_IS18_E10value_typeET4_jRbjT5_S1E_jjP12ihipStream_tbEUljE_ZNSN_ISO_Lb1ESQ_SR_ST_SU_SY_EESZ_S10_S11_S12_S16_S17_S18_S1B_S1C_jS1D_jS1E_S1E_jjS1G_bEUljE0_EEESZ_S10_S11_S18_S1C_S1E_T6_T7_T9_mT8_S1G_bDpT10_ENKUlT_T0_E_clISt17integral_constantIbLb1EES1T_IbLb0EEEEDaS1P_S1Q_EUlS1P_E_NS1_11comp_targetILNS1_3genE3ELNS1_11target_archE908ELNS1_3gpuE7ELNS1_3repE0EEENS1_30default_config_static_selectorELNS0_4arch9wavefront6targetE0EEEvS12_,comdat
.Lfunc_end1065:
	.size	_ZN7rocprim17ROCPRIM_400000_NS6detail17trampoline_kernelINS0_13select_configILj256ELj13ELNS0_17block_load_methodE3ELS4_3ELS4_3ELNS0_20block_scan_algorithmE0ELj4294967295EEENS1_25partition_config_selectorILNS1_17partition_subalgoE4EjNS0_10empty_typeEbEEZZNS1_14partition_implILS8_4ELb0ES6_15HIP_vector_typeIjLj2EENS0_17counting_iteratorIjlEEPS9_SG_NS0_5tupleIJPjSI_NS0_16reverse_iteratorISI_EEEEENSH_IJSG_SG_SG_EEES9_SI_JZNS1_25segmented_radix_sort_implINS0_14default_configELb1EPKdPdPKlPlN2at6native12_GLOBAL__N_18offset_tEEE10hipError_tPvRmT1_PNSt15iterator_traitsIS12_E10value_typeET2_T3_PNS13_IS18_E10value_typeET4_jRbjT5_S1E_jjP12ihipStream_tbEUljE_ZNSN_ISO_Lb1ESQ_SR_ST_SU_SY_EESZ_S10_S11_S12_S16_S17_S18_S1B_S1C_jS1D_jS1E_S1E_jjS1G_bEUljE0_EEESZ_S10_S11_S18_S1C_S1E_T6_T7_T9_mT8_S1G_bDpT10_ENKUlT_T0_E_clISt17integral_constantIbLb1EES1T_IbLb0EEEEDaS1P_S1Q_EUlS1P_E_NS1_11comp_targetILNS1_3genE3ELNS1_11target_archE908ELNS1_3gpuE7ELNS1_3repE0EEENS1_30default_config_static_selectorELNS0_4arch9wavefront6targetE0EEEvS12_, .Lfunc_end1065-_ZN7rocprim17ROCPRIM_400000_NS6detail17trampoline_kernelINS0_13select_configILj256ELj13ELNS0_17block_load_methodE3ELS4_3ELS4_3ELNS0_20block_scan_algorithmE0ELj4294967295EEENS1_25partition_config_selectorILNS1_17partition_subalgoE4EjNS0_10empty_typeEbEEZZNS1_14partition_implILS8_4ELb0ES6_15HIP_vector_typeIjLj2EENS0_17counting_iteratorIjlEEPS9_SG_NS0_5tupleIJPjSI_NS0_16reverse_iteratorISI_EEEEENSH_IJSG_SG_SG_EEES9_SI_JZNS1_25segmented_radix_sort_implINS0_14default_configELb1EPKdPdPKlPlN2at6native12_GLOBAL__N_18offset_tEEE10hipError_tPvRmT1_PNSt15iterator_traitsIS12_E10value_typeET2_T3_PNS13_IS18_E10value_typeET4_jRbjT5_S1E_jjP12ihipStream_tbEUljE_ZNSN_ISO_Lb1ESQ_SR_ST_SU_SY_EESZ_S10_S11_S12_S16_S17_S18_S1B_S1C_jS1D_jS1E_S1E_jjS1G_bEUljE0_EEESZ_S10_S11_S18_S1C_S1E_T6_T7_T9_mT8_S1G_bDpT10_ENKUlT_T0_E_clISt17integral_constantIbLb1EES1T_IbLb0EEEEDaS1P_S1Q_EUlS1P_E_NS1_11comp_targetILNS1_3genE3ELNS1_11target_archE908ELNS1_3gpuE7ELNS1_3repE0EEENS1_30default_config_static_selectorELNS0_4arch9wavefront6targetE0EEEvS12_
                                        ; -- End function
	.set _ZN7rocprim17ROCPRIM_400000_NS6detail17trampoline_kernelINS0_13select_configILj256ELj13ELNS0_17block_load_methodE3ELS4_3ELS4_3ELNS0_20block_scan_algorithmE0ELj4294967295EEENS1_25partition_config_selectorILNS1_17partition_subalgoE4EjNS0_10empty_typeEbEEZZNS1_14partition_implILS8_4ELb0ES6_15HIP_vector_typeIjLj2EENS0_17counting_iteratorIjlEEPS9_SG_NS0_5tupleIJPjSI_NS0_16reverse_iteratorISI_EEEEENSH_IJSG_SG_SG_EEES9_SI_JZNS1_25segmented_radix_sort_implINS0_14default_configELb1EPKdPdPKlPlN2at6native12_GLOBAL__N_18offset_tEEE10hipError_tPvRmT1_PNSt15iterator_traitsIS12_E10value_typeET2_T3_PNS13_IS18_E10value_typeET4_jRbjT5_S1E_jjP12ihipStream_tbEUljE_ZNSN_ISO_Lb1ESQ_SR_ST_SU_SY_EESZ_S10_S11_S12_S16_S17_S18_S1B_S1C_jS1D_jS1E_S1E_jjS1G_bEUljE0_EEESZ_S10_S11_S18_S1C_S1E_T6_T7_T9_mT8_S1G_bDpT10_ENKUlT_T0_E_clISt17integral_constantIbLb1EES1T_IbLb0EEEEDaS1P_S1Q_EUlS1P_E_NS1_11comp_targetILNS1_3genE3ELNS1_11target_archE908ELNS1_3gpuE7ELNS1_3repE0EEENS1_30default_config_static_selectorELNS0_4arch9wavefront6targetE0EEEvS12_.num_vgpr, 0
	.set _ZN7rocprim17ROCPRIM_400000_NS6detail17trampoline_kernelINS0_13select_configILj256ELj13ELNS0_17block_load_methodE3ELS4_3ELS4_3ELNS0_20block_scan_algorithmE0ELj4294967295EEENS1_25partition_config_selectorILNS1_17partition_subalgoE4EjNS0_10empty_typeEbEEZZNS1_14partition_implILS8_4ELb0ES6_15HIP_vector_typeIjLj2EENS0_17counting_iteratorIjlEEPS9_SG_NS0_5tupleIJPjSI_NS0_16reverse_iteratorISI_EEEEENSH_IJSG_SG_SG_EEES9_SI_JZNS1_25segmented_radix_sort_implINS0_14default_configELb1EPKdPdPKlPlN2at6native12_GLOBAL__N_18offset_tEEE10hipError_tPvRmT1_PNSt15iterator_traitsIS12_E10value_typeET2_T3_PNS13_IS18_E10value_typeET4_jRbjT5_S1E_jjP12ihipStream_tbEUljE_ZNSN_ISO_Lb1ESQ_SR_ST_SU_SY_EESZ_S10_S11_S12_S16_S17_S18_S1B_S1C_jS1D_jS1E_S1E_jjS1G_bEUljE0_EEESZ_S10_S11_S18_S1C_S1E_T6_T7_T9_mT8_S1G_bDpT10_ENKUlT_T0_E_clISt17integral_constantIbLb1EES1T_IbLb0EEEEDaS1P_S1Q_EUlS1P_E_NS1_11comp_targetILNS1_3genE3ELNS1_11target_archE908ELNS1_3gpuE7ELNS1_3repE0EEENS1_30default_config_static_selectorELNS0_4arch9wavefront6targetE0EEEvS12_.num_agpr, 0
	.set _ZN7rocprim17ROCPRIM_400000_NS6detail17trampoline_kernelINS0_13select_configILj256ELj13ELNS0_17block_load_methodE3ELS4_3ELS4_3ELNS0_20block_scan_algorithmE0ELj4294967295EEENS1_25partition_config_selectorILNS1_17partition_subalgoE4EjNS0_10empty_typeEbEEZZNS1_14partition_implILS8_4ELb0ES6_15HIP_vector_typeIjLj2EENS0_17counting_iteratorIjlEEPS9_SG_NS0_5tupleIJPjSI_NS0_16reverse_iteratorISI_EEEEENSH_IJSG_SG_SG_EEES9_SI_JZNS1_25segmented_radix_sort_implINS0_14default_configELb1EPKdPdPKlPlN2at6native12_GLOBAL__N_18offset_tEEE10hipError_tPvRmT1_PNSt15iterator_traitsIS12_E10value_typeET2_T3_PNS13_IS18_E10value_typeET4_jRbjT5_S1E_jjP12ihipStream_tbEUljE_ZNSN_ISO_Lb1ESQ_SR_ST_SU_SY_EESZ_S10_S11_S12_S16_S17_S18_S1B_S1C_jS1D_jS1E_S1E_jjS1G_bEUljE0_EEESZ_S10_S11_S18_S1C_S1E_T6_T7_T9_mT8_S1G_bDpT10_ENKUlT_T0_E_clISt17integral_constantIbLb1EES1T_IbLb0EEEEDaS1P_S1Q_EUlS1P_E_NS1_11comp_targetILNS1_3genE3ELNS1_11target_archE908ELNS1_3gpuE7ELNS1_3repE0EEENS1_30default_config_static_selectorELNS0_4arch9wavefront6targetE0EEEvS12_.numbered_sgpr, 0
	.set _ZN7rocprim17ROCPRIM_400000_NS6detail17trampoline_kernelINS0_13select_configILj256ELj13ELNS0_17block_load_methodE3ELS4_3ELS4_3ELNS0_20block_scan_algorithmE0ELj4294967295EEENS1_25partition_config_selectorILNS1_17partition_subalgoE4EjNS0_10empty_typeEbEEZZNS1_14partition_implILS8_4ELb0ES6_15HIP_vector_typeIjLj2EENS0_17counting_iteratorIjlEEPS9_SG_NS0_5tupleIJPjSI_NS0_16reverse_iteratorISI_EEEEENSH_IJSG_SG_SG_EEES9_SI_JZNS1_25segmented_radix_sort_implINS0_14default_configELb1EPKdPdPKlPlN2at6native12_GLOBAL__N_18offset_tEEE10hipError_tPvRmT1_PNSt15iterator_traitsIS12_E10value_typeET2_T3_PNS13_IS18_E10value_typeET4_jRbjT5_S1E_jjP12ihipStream_tbEUljE_ZNSN_ISO_Lb1ESQ_SR_ST_SU_SY_EESZ_S10_S11_S12_S16_S17_S18_S1B_S1C_jS1D_jS1E_S1E_jjS1G_bEUljE0_EEESZ_S10_S11_S18_S1C_S1E_T6_T7_T9_mT8_S1G_bDpT10_ENKUlT_T0_E_clISt17integral_constantIbLb1EES1T_IbLb0EEEEDaS1P_S1Q_EUlS1P_E_NS1_11comp_targetILNS1_3genE3ELNS1_11target_archE908ELNS1_3gpuE7ELNS1_3repE0EEENS1_30default_config_static_selectorELNS0_4arch9wavefront6targetE0EEEvS12_.num_named_barrier, 0
	.set _ZN7rocprim17ROCPRIM_400000_NS6detail17trampoline_kernelINS0_13select_configILj256ELj13ELNS0_17block_load_methodE3ELS4_3ELS4_3ELNS0_20block_scan_algorithmE0ELj4294967295EEENS1_25partition_config_selectorILNS1_17partition_subalgoE4EjNS0_10empty_typeEbEEZZNS1_14partition_implILS8_4ELb0ES6_15HIP_vector_typeIjLj2EENS0_17counting_iteratorIjlEEPS9_SG_NS0_5tupleIJPjSI_NS0_16reverse_iteratorISI_EEEEENSH_IJSG_SG_SG_EEES9_SI_JZNS1_25segmented_radix_sort_implINS0_14default_configELb1EPKdPdPKlPlN2at6native12_GLOBAL__N_18offset_tEEE10hipError_tPvRmT1_PNSt15iterator_traitsIS12_E10value_typeET2_T3_PNS13_IS18_E10value_typeET4_jRbjT5_S1E_jjP12ihipStream_tbEUljE_ZNSN_ISO_Lb1ESQ_SR_ST_SU_SY_EESZ_S10_S11_S12_S16_S17_S18_S1B_S1C_jS1D_jS1E_S1E_jjS1G_bEUljE0_EEESZ_S10_S11_S18_S1C_S1E_T6_T7_T9_mT8_S1G_bDpT10_ENKUlT_T0_E_clISt17integral_constantIbLb1EES1T_IbLb0EEEEDaS1P_S1Q_EUlS1P_E_NS1_11comp_targetILNS1_3genE3ELNS1_11target_archE908ELNS1_3gpuE7ELNS1_3repE0EEENS1_30default_config_static_selectorELNS0_4arch9wavefront6targetE0EEEvS12_.private_seg_size, 0
	.set _ZN7rocprim17ROCPRIM_400000_NS6detail17trampoline_kernelINS0_13select_configILj256ELj13ELNS0_17block_load_methodE3ELS4_3ELS4_3ELNS0_20block_scan_algorithmE0ELj4294967295EEENS1_25partition_config_selectorILNS1_17partition_subalgoE4EjNS0_10empty_typeEbEEZZNS1_14partition_implILS8_4ELb0ES6_15HIP_vector_typeIjLj2EENS0_17counting_iteratorIjlEEPS9_SG_NS0_5tupleIJPjSI_NS0_16reverse_iteratorISI_EEEEENSH_IJSG_SG_SG_EEES9_SI_JZNS1_25segmented_radix_sort_implINS0_14default_configELb1EPKdPdPKlPlN2at6native12_GLOBAL__N_18offset_tEEE10hipError_tPvRmT1_PNSt15iterator_traitsIS12_E10value_typeET2_T3_PNS13_IS18_E10value_typeET4_jRbjT5_S1E_jjP12ihipStream_tbEUljE_ZNSN_ISO_Lb1ESQ_SR_ST_SU_SY_EESZ_S10_S11_S12_S16_S17_S18_S1B_S1C_jS1D_jS1E_S1E_jjS1G_bEUljE0_EEESZ_S10_S11_S18_S1C_S1E_T6_T7_T9_mT8_S1G_bDpT10_ENKUlT_T0_E_clISt17integral_constantIbLb1EES1T_IbLb0EEEEDaS1P_S1Q_EUlS1P_E_NS1_11comp_targetILNS1_3genE3ELNS1_11target_archE908ELNS1_3gpuE7ELNS1_3repE0EEENS1_30default_config_static_selectorELNS0_4arch9wavefront6targetE0EEEvS12_.uses_vcc, 0
	.set _ZN7rocprim17ROCPRIM_400000_NS6detail17trampoline_kernelINS0_13select_configILj256ELj13ELNS0_17block_load_methodE3ELS4_3ELS4_3ELNS0_20block_scan_algorithmE0ELj4294967295EEENS1_25partition_config_selectorILNS1_17partition_subalgoE4EjNS0_10empty_typeEbEEZZNS1_14partition_implILS8_4ELb0ES6_15HIP_vector_typeIjLj2EENS0_17counting_iteratorIjlEEPS9_SG_NS0_5tupleIJPjSI_NS0_16reverse_iteratorISI_EEEEENSH_IJSG_SG_SG_EEES9_SI_JZNS1_25segmented_radix_sort_implINS0_14default_configELb1EPKdPdPKlPlN2at6native12_GLOBAL__N_18offset_tEEE10hipError_tPvRmT1_PNSt15iterator_traitsIS12_E10value_typeET2_T3_PNS13_IS18_E10value_typeET4_jRbjT5_S1E_jjP12ihipStream_tbEUljE_ZNSN_ISO_Lb1ESQ_SR_ST_SU_SY_EESZ_S10_S11_S12_S16_S17_S18_S1B_S1C_jS1D_jS1E_S1E_jjS1G_bEUljE0_EEESZ_S10_S11_S18_S1C_S1E_T6_T7_T9_mT8_S1G_bDpT10_ENKUlT_T0_E_clISt17integral_constantIbLb1EES1T_IbLb0EEEEDaS1P_S1Q_EUlS1P_E_NS1_11comp_targetILNS1_3genE3ELNS1_11target_archE908ELNS1_3gpuE7ELNS1_3repE0EEENS1_30default_config_static_selectorELNS0_4arch9wavefront6targetE0EEEvS12_.uses_flat_scratch, 0
	.set _ZN7rocprim17ROCPRIM_400000_NS6detail17trampoline_kernelINS0_13select_configILj256ELj13ELNS0_17block_load_methodE3ELS4_3ELS4_3ELNS0_20block_scan_algorithmE0ELj4294967295EEENS1_25partition_config_selectorILNS1_17partition_subalgoE4EjNS0_10empty_typeEbEEZZNS1_14partition_implILS8_4ELb0ES6_15HIP_vector_typeIjLj2EENS0_17counting_iteratorIjlEEPS9_SG_NS0_5tupleIJPjSI_NS0_16reverse_iteratorISI_EEEEENSH_IJSG_SG_SG_EEES9_SI_JZNS1_25segmented_radix_sort_implINS0_14default_configELb1EPKdPdPKlPlN2at6native12_GLOBAL__N_18offset_tEEE10hipError_tPvRmT1_PNSt15iterator_traitsIS12_E10value_typeET2_T3_PNS13_IS18_E10value_typeET4_jRbjT5_S1E_jjP12ihipStream_tbEUljE_ZNSN_ISO_Lb1ESQ_SR_ST_SU_SY_EESZ_S10_S11_S12_S16_S17_S18_S1B_S1C_jS1D_jS1E_S1E_jjS1G_bEUljE0_EEESZ_S10_S11_S18_S1C_S1E_T6_T7_T9_mT8_S1G_bDpT10_ENKUlT_T0_E_clISt17integral_constantIbLb1EES1T_IbLb0EEEEDaS1P_S1Q_EUlS1P_E_NS1_11comp_targetILNS1_3genE3ELNS1_11target_archE908ELNS1_3gpuE7ELNS1_3repE0EEENS1_30default_config_static_selectorELNS0_4arch9wavefront6targetE0EEEvS12_.has_dyn_sized_stack, 0
	.set _ZN7rocprim17ROCPRIM_400000_NS6detail17trampoline_kernelINS0_13select_configILj256ELj13ELNS0_17block_load_methodE3ELS4_3ELS4_3ELNS0_20block_scan_algorithmE0ELj4294967295EEENS1_25partition_config_selectorILNS1_17partition_subalgoE4EjNS0_10empty_typeEbEEZZNS1_14partition_implILS8_4ELb0ES6_15HIP_vector_typeIjLj2EENS0_17counting_iteratorIjlEEPS9_SG_NS0_5tupleIJPjSI_NS0_16reverse_iteratorISI_EEEEENSH_IJSG_SG_SG_EEES9_SI_JZNS1_25segmented_radix_sort_implINS0_14default_configELb1EPKdPdPKlPlN2at6native12_GLOBAL__N_18offset_tEEE10hipError_tPvRmT1_PNSt15iterator_traitsIS12_E10value_typeET2_T3_PNS13_IS18_E10value_typeET4_jRbjT5_S1E_jjP12ihipStream_tbEUljE_ZNSN_ISO_Lb1ESQ_SR_ST_SU_SY_EESZ_S10_S11_S12_S16_S17_S18_S1B_S1C_jS1D_jS1E_S1E_jjS1G_bEUljE0_EEESZ_S10_S11_S18_S1C_S1E_T6_T7_T9_mT8_S1G_bDpT10_ENKUlT_T0_E_clISt17integral_constantIbLb1EES1T_IbLb0EEEEDaS1P_S1Q_EUlS1P_E_NS1_11comp_targetILNS1_3genE3ELNS1_11target_archE908ELNS1_3gpuE7ELNS1_3repE0EEENS1_30default_config_static_selectorELNS0_4arch9wavefront6targetE0EEEvS12_.has_recursion, 0
	.set _ZN7rocprim17ROCPRIM_400000_NS6detail17trampoline_kernelINS0_13select_configILj256ELj13ELNS0_17block_load_methodE3ELS4_3ELS4_3ELNS0_20block_scan_algorithmE0ELj4294967295EEENS1_25partition_config_selectorILNS1_17partition_subalgoE4EjNS0_10empty_typeEbEEZZNS1_14partition_implILS8_4ELb0ES6_15HIP_vector_typeIjLj2EENS0_17counting_iteratorIjlEEPS9_SG_NS0_5tupleIJPjSI_NS0_16reverse_iteratorISI_EEEEENSH_IJSG_SG_SG_EEES9_SI_JZNS1_25segmented_radix_sort_implINS0_14default_configELb1EPKdPdPKlPlN2at6native12_GLOBAL__N_18offset_tEEE10hipError_tPvRmT1_PNSt15iterator_traitsIS12_E10value_typeET2_T3_PNS13_IS18_E10value_typeET4_jRbjT5_S1E_jjP12ihipStream_tbEUljE_ZNSN_ISO_Lb1ESQ_SR_ST_SU_SY_EESZ_S10_S11_S12_S16_S17_S18_S1B_S1C_jS1D_jS1E_S1E_jjS1G_bEUljE0_EEESZ_S10_S11_S18_S1C_S1E_T6_T7_T9_mT8_S1G_bDpT10_ENKUlT_T0_E_clISt17integral_constantIbLb1EES1T_IbLb0EEEEDaS1P_S1Q_EUlS1P_E_NS1_11comp_targetILNS1_3genE3ELNS1_11target_archE908ELNS1_3gpuE7ELNS1_3repE0EEENS1_30default_config_static_selectorELNS0_4arch9wavefront6targetE0EEEvS12_.has_indirect_call, 0
	.section	.AMDGPU.csdata,"",@progbits
; Kernel info:
; codeLenInByte = 0
; TotalNumSgprs: 0
; NumVgprs: 0
; ScratchSize: 0
; MemoryBound: 0
; FloatMode: 240
; IeeeMode: 1
; LDSByteSize: 0 bytes/workgroup (compile time only)
; SGPRBlocks: 0
; VGPRBlocks: 0
; NumSGPRsForWavesPerEU: 1
; NumVGPRsForWavesPerEU: 1
; Occupancy: 16
; WaveLimiterHint : 0
; COMPUTE_PGM_RSRC2:SCRATCH_EN: 0
; COMPUTE_PGM_RSRC2:USER_SGPR: 6
; COMPUTE_PGM_RSRC2:TRAP_HANDLER: 0
; COMPUTE_PGM_RSRC2:TGID_X_EN: 1
; COMPUTE_PGM_RSRC2:TGID_Y_EN: 0
; COMPUTE_PGM_RSRC2:TGID_Z_EN: 0
; COMPUTE_PGM_RSRC2:TIDIG_COMP_CNT: 0
	.section	.text._ZN7rocprim17ROCPRIM_400000_NS6detail17trampoline_kernelINS0_13select_configILj256ELj13ELNS0_17block_load_methodE3ELS4_3ELS4_3ELNS0_20block_scan_algorithmE0ELj4294967295EEENS1_25partition_config_selectorILNS1_17partition_subalgoE4EjNS0_10empty_typeEbEEZZNS1_14partition_implILS8_4ELb0ES6_15HIP_vector_typeIjLj2EENS0_17counting_iteratorIjlEEPS9_SG_NS0_5tupleIJPjSI_NS0_16reverse_iteratorISI_EEEEENSH_IJSG_SG_SG_EEES9_SI_JZNS1_25segmented_radix_sort_implINS0_14default_configELb1EPKdPdPKlPlN2at6native12_GLOBAL__N_18offset_tEEE10hipError_tPvRmT1_PNSt15iterator_traitsIS12_E10value_typeET2_T3_PNS13_IS18_E10value_typeET4_jRbjT5_S1E_jjP12ihipStream_tbEUljE_ZNSN_ISO_Lb1ESQ_SR_ST_SU_SY_EESZ_S10_S11_S12_S16_S17_S18_S1B_S1C_jS1D_jS1E_S1E_jjS1G_bEUljE0_EEESZ_S10_S11_S18_S1C_S1E_T6_T7_T9_mT8_S1G_bDpT10_ENKUlT_T0_E_clISt17integral_constantIbLb1EES1T_IbLb0EEEEDaS1P_S1Q_EUlS1P_E_NS1_11comp_targetILNS1_3genE2ELNS1_11target_archE906ELNS1_3gpuE6ELNS1_3repE0EEENS1_30default_config_static_selectorELNS0_4arch9wavefront6targetE0EEEvS12_,"axG",@progbits,_ZN7rocprim17ROCPRIM_400000_NS6detail17trampoline_kernelINS0_13select_configILj256ELj13ELNS0_17block_load_methodE3ELS4_3ELS4_3ELNS0_20block_scan_algorithmE0ELj4294967295EEENS1_25partition_config_selectorILNS1_17partition_subalgoE4EjNS0_10empty_typeEbEEZZNS1_14partition_implILS8_4ELb0ES6_15HIP_vector_typeIjLj2EENS0_17counting_iteratorIjlEEPS9_SG_NS0_5tupleIJPjSI_NS0_16reverse_iteratorISI_EEEEENSH_IJSG_SG_SG_EEES9_SI_JZNS1_25segmented_radix_sort_implINS0_14default_configELb1EPKdPdPKlPlN2at6native12_GLOBAL__N_18offset_tEEE10hipError_tPvRmT1_PNSt15iterator_traitsIS12_E10value_typeET2_T3_PNS13_IS18_E10value_typeET4_jRbjT5_S1E_jjP12ihipStream_tbEUljE_ZNSN_ISO_Lb1ESQ_SR_ST_SU_SY_EESZ_S10_S11_S12_S16_S17_S18_S1B_S1C_jS1D_jS1E_S1E_jjS1G_bEUljE0_EEESZ_S10_S11_S18_S1C_S1E_T6_T7_T9_mT8_S1G_bDpT10_ENKUlT_T0_E_clISt17integral_constantIbLb1EES1T_IbLb0EEEEDaS1P_S1Q_EUlS1P_E_NS1_11comp_targetILNS1_3genE2ELNS1_11target_archE906ELNS1_3gpuE6ELNS1_3repE0EEENS1_30default_config_static_selectorELNS0_4arch9wavefront6targetE0EEEvS12_,comdat
	.globl	_ZN7rocprim17ROCPRIM_400000_NS6detail17trampoline_kernelINS0_13select_configILj256ELj13ELNS0_17block_load_methodE3ELS4_3ELS4_3ELNS0_20block_scan_algorithmE0ELj4294967295EEENS1_25partition_config_selectorILNS1_17partition_subalgoE4EjNS0_10empty_typeEbEEZZNS1_14partition_implILS8_4ELb0ES6_15HIP_vector_typeIjLj2EENS0_17counting_iteratorIjlEEPS9_SG_NS0_5tupleIJPjSI_NS0_16reverse_iteratorISI_EEEEENSH_IJSG_SG_SG_EEES9_SI_JZNS1_25segmented_radix_sort_implINS0_14default_configELb1EPKdPdPKlPlN2at6native12_GLOBAL__N_18offset_tEEE10hipError_tPvRmT1_PNSt15iterator_traitsIS12_E10value_typeET2_T3_PNS13_IS18_E10value_typeET4_jRbjT5_S1E_jjP12ihipStream_tbEUljE_ZNSN_ISO_Lb1ESQ_SR_ST_SU_SY_EESZ_S10_S11_S12_S16_S17_S18_S1B_S1C_jS1D_jS1E_S1E_jjS1G_bEUljE0_EEESZ_S10_S11_S18_S1C_S1E_T6_T7_T9_mT8_S1G_bDpT10_ENKUlT_T0_E_clISt17integral_constantIbLb1EES1T_IbLb0EEEEDaS1P_S1Q_EUlS1P_E_NS1_11comp_targetILNS1_3genE2ELNS1_11target_archE906ELNS1_3gpuE6ELNS1_3repE0EEENS1_30default_config_static_selectorELNS0_4arch9wavefront6targetE0EEEvS12_ ; -- Begin function _ZN7rocprim17ROCPRIM_400000_NS6detail17trampoline_kernelINS0_13select_configILj256ELj13ELNS0_17block_load_methodE3ELS4_3ELS4_3ELNS0_20block_scan_algorithmE0ELj4294967295EEENS1_25partition_config_selectorILNS1_17partition_subalgoE4EjNS0_10empty_typeEbEEZZNS1_14partition_implILS8_4ELb0ES6_15HIP_vector_typeIjLj2EENS0_17counting_iteratorIjlEEPS9_SG_NS0_5tupleIJPjSI_NS0_16reverse_iteratorISI_EEEEENSH_IJSG_SG_SG_EEES9_SI_JZNS1_25segmented_radix_sort_implINS0_14default_configELb1EPKdPdPKlPlN2at6native12_GLOBAL__N_18offset_tEEE10hipError_tPvRmT1_PNSt15iterator_traitsIS12_E10value_typeET2_T3_PNS13_IS18_E10value_typeET4_jRbjT5_S1E_jjP12ihipStream_tbEUljE_ZNSN_ISO_Lb1ESQ_SR_ST_SU_SY_EESZ_S10_S11_S12_S16_S17_S18_S1B_S1C_jS1D_jS1E_S1E_jjS1G_bEUljE0_EEESZ_S10_S11_S18_S1C_S1E_T6_T7_T9_mT8_S1G_bDpT10_ENKUlT_T0_E_clISt17integral_constantIbLb1EES1T_IbLb0EEEEDaS1P_S1Q_EUlS1P_E_NS1_11comp_targetILNS1_3genE2ELNS1_11target_archE906ELNS1_3gpuE6ELNS1_3repE0EEENS1_30default_config_static_selectorELNS0_4arch9wavefront6targetE0EEEvS12_
	.p2align	8
	.type	_ZN7rocprim17ROCPRIM_400000_NS6detail17trampoline_kernelINS0_13select_configILj256ELj13ELNS0_17block_load_methodE3ELS4_3ELS4_3ELNS0_20block_scan_algorithmE0ELj4294967295EEENS1_25partition_config_selectorILNS1_17partition_subalgoE4EjNS0_10empty_typeEbEEZZNS1_14partition_implILS8_4ELb0ES6_15HIP_vector_typeIjLj2EENS0_17counting_iteratorIjlEEPS9_SG_NS0_5tupleIJPjSI_NS0_16reverse_iteratorISI_EEEEENSH_IJSG_SG_SG_EEES9_SI_JZNS1_25segmented_radix_sort_implINS0_14default_configELb1EPKdPdPKlPlN2at6native12_GLOBAL__N_18offset_tEEE10hipError_tPvRmT1_PNSt15iterator_traitsIS12_E10value_typeET2_T3_PNS13_IS18_E10value_typeET4_jRbjT5_S1E_jjP12ihipStream_tbEUljE_ZNSN_ISO_Lb1ESQ_SR_ST_SU_SY_EESZ_S10_S11_S12_S16_S17_S18_S1B_S1C_jS1D_jS1E_S1E_jjS1G_bEUljE0_EEESZ_S10_S11_S18_S1C_S1E_T6_T7_T9_mT8_S1G_bDpT10_ENKUlT_T0_E_clISt17integral_constantIbLb1EES1T_IbLb0EEEEDaS1P_S1Q_EUlS1P_E_NS1_11comp_targetILNS1_3genE2ELNS1_11target_archE906ELNS1_3gpuE6ELNS1_3repE0EEENS1_30default_config_static_selectorELNS0_4arch9wavefront6targetE0EEEvS12_,@function
_ZN7rocprim17ROCPRIM_400000_NS6detail17trampoline_kernelINS0_13select_configILj256ELj13ELNS0_17block_load_methodE3ELS4_3ELS4_3ELNS0_20block_scan_algorithmE0ELj4294967295EEENS1_25partition_config_selectorILNS1_17partition_subalgoE4EjNS0_10empty_typeEbEEZZNS1_14partition_implILS8_4ELb0ES6_15HIP_vector_typeIjLj2EENS0_17counting_iteratorIjlEEPS9_SG_NS0_5tupleIJPjSI_NS0_16reverse_iteratorISI_EEEEENSH_IJSG_SG_SG_EEES9_SI_JZNS1_25segmented_radix_sort_implINS0_14default_configELb1EPKdPdPKlPlN2at6native12_GLOBAL__N_18offset_tEEE10hipError_tPvRmT1_PNSt15iterator_traitsIS12_E10value_typeET2_T3_PNS13_IS18_E10value_typeET4_jRbjT5_S1E_jjP12ihipStream_tbEUljE_ZNSN_ISO_Lb1ESQ_SR_ST_SU_SY_EESZ_S10_S11_S12_S16_S17_S18_S1B_S1C_jS1D_jS1E_S1E_jjS1G_bEUljE0_EEESZ_S10_S11_S18_S1C_S1E_T6_T7_T9_mT8_S1G_bDpT10_ENKUlT_T0_E_clISt17integral_constantIbLb1EES1T_IbLb0EEEEDaS1P_S1Q_EUlS1P_E_NS1_11comp_targetILNS1_3genE2ELNS1_11target_archE906ELNS1_3gpuE6ELNS1_3repE0EEENS1_30default_config_static_selectorELNS0_4arch9wavefront6targetE0EEEvS12_: ; @_ZN7rocprim17ROCPRIM_400000_NS6detail17trampoline_kernelINS0_13select_configILj256ELj13ELNS0_17block_load_methodE3ELS4_3ELS4_3ELNS0_20block_scan_algorithmE0ELj4294967295EEENS1_25partition_config_selectorILNS1_17partition_subalgoE4EjNS0_10empty_typeEbEEZZNS1_14partition_implILS8_4ELb0ES6_15HIP_vector_typeIjLj2EENS0_17counting_iteratorIjlEEPS9_SG_NS0_5tupleIJPjSI_NS0_16reverse_iteratorISI_EEEEENSH_IJSG_SG_SG_EEES9_SI_JZNS1_25segmented_radix_sort_implINS0_14default_configELb1EPKdPdPKlPlN2at6native12_GLOBAL__N_18offset_tEEE10hipError_tPvRmT1_PNSt15iterator_traitsIS12_E10value_typeET2_T3_PNS13_IS18_E10value_typeET4_jRbjT5_S1E_jjP12ihipStream_tbEUljE_ZNSN_ISO_Lb1ESQ_SR_ST_SU_SY_EESZ_S10_S11_S12_S16_S17_S18_S1B_S1C_jS1D_jS1E_S1E_jjS1G_bEUljE0_EEESZ_S10_S11_S18_S1C_S1E_T6_T7_T9_mT8_S1G_bDpT10_ENKUlT_T0_E_clISt17integral_constantIbLb1EES1T_IbLb0EEEEDaS1P_S1Q_EUlS1P_E_NS1_11comp_targetILNS1_3genE2ELNS1_11target_archE906ELNS1_3gpuE6ELNS1_3repE0EEENS1_30default_config_static_selectorELNS0_4arch9wavefront6targetE0EEEvS12_
; %bb.0:
	.section	.rodata,"a",@progbits
	.p2align	6, 0x0
	.amdhsa_kernel _ZN7rocprim17ROCPRIM_400000_NS6detail17trampoline_kernelINS0_13select_configILj256ELj13ELNS0_17block_load_methodE3ELS4_3ELS4_3ELNS0_20block_scan_algorithmE0ELj4294967295EEENS1_25partition_config_selectorILNS1_17partition_subalgoE4EjNS0_10empty_typeEbEEZZNS1_14partition_implILS8_4ELb0ES6_15HIP_vector_typeIjLj2EENS0_17counting_iteratorIjlEEPS9_SG_NS0_5tupleIJPjSI_NS0_16reverse_iteratorISI_EEEEENSH_IJSG_SG_SG_EEES9_SI_JZNS1_25segmented_radix_sort_implINS0_14default_configELb1EPKdPdPKlPlN2at6native12_GLOBAL__N_18offset_tEEE10hipError_tPvRmT1_PNSt15iterator_traitsIS12_E10value_typeET2_T3_PNS13_IS18_E10value_typeET4_jRbjT5_S1E_jjP12ihipStream_tbEUljE_ZNSN_ISO_Lb1ESQ_SR_ST_SU_SY_EESZ_S10_S11_S12_S16_S17_S18_S1B_S1C_jS1D_jS1E_S1E_jjS1G_bEUljE0_EEESZ_S10_S11_S18_S1C_S1E_T6_T7_T9_mT8_S1G_bDpT10_ENKUlT_T0_E_clISt17integral_constantIbLb1EES1T_IbLb0EEEEDaS1P_S1Q_EUlS1P_E_NS1_11comp_targetILNS1_3genE2ELNS1_11target_archE906ELNS1_3gpuE6ELNS1_3repE0EEENS1_30default_config_static_selectorELNS0_4arch9wavefront6targetE0EEEvS12_
		.amdhsa_group_segment_fixed_size 0
		.amdhsa_private_segment_fixed_size 0
		.amdhsa_kernarg_size 176
		.amdhsa_user_sgpr_count 6
		.amdhsa_user_sgpr_private_segment_buffer 1
		.amdhsa_user_sgpr_dispatch_ptr 0
		.amdhsa_user_sgpr_queue_ptr 0
		.amdhsa_user_sgpr_kernarg_segment_ptr 1
		.amdhsa_user_sgpr_dispatch_id 0
		.amdhsa_user_sgpr_flat_scratch_init 0
		.amdhsa_user_sgpr_private_segment_size 0
		.amdhsa_wavefront_size32 1
		.amdhsa_uses_dynamic_stack 0
		.amdhsa_system_sgpr_private_segment_wavefront_offset 0
		.amdhsa_system_sgpr_workgroup_id_x 1
		.amdhsa_system_sgpr_workgroup_id_y 0
		.amdhsa_system_sgpr_workgroup_id_z 0
		.amdhsa_system_sgpr_workgroup_info 0
		.amdhsa_system_vgpr_workitem_id 0
		.amdhsa_next_free_vgpr 1
		.amdhsa_next_free_sgpr 1
		.amdhsa_reserve_vcc 0
		.amdhsa_reserve_flat_scratch 0
		.amdhsa_float_round_mode_32 0
		.amdhsa_float_round_mode_16_64 0
		.amdhsa_float_denorm_mode_32 3
		.amdhsa_float_denorm_mode_16_64 3
		.amdhsa_dx10_clamp 1
		.amdhsa_ieee_mode 1
		.amdhsa_fp16_overflow 0
		.amdhsa_workgroup_processor_mode 1
		.amdhsa_memory_ordered 1
		.amdhsa_forward_progress 1
		.amdhsa_shared_vgpr_count 0
		.amdhsa_exception_fp_ieee_invalid_op 0
		.amdhsa_exception_fp_denorm_src 0
		.amdhsa_exception_fp_ieee_div_zero 0
		.amdhsa_exception_fp_ieee_overflow 0
		.amdhsa_exception_fp_ieee_underflow 0
		.amdhsa_exception_fp_ieee_inexact 0
		.amdhsa_exception_int_div_zero 0
	.end_amdhsa_kernel
	.section	.text._ZN7rocprim17ROCPRIM_400000_NS6detail17trampoline_kernelINS0_13select_configILj256ELj13ELNS0_17block_load_methodE3ELS4_3ELS4_3ELNS0_20block_scan_algorithmE0ELj4294967295EEENS1_25partition_config_selectorILNS1_17partition_subalgoE4EjNS0_10empty_typeEbEEZZNS1_14partition_implILS8_4ELb0ES6_15HIP_vector_typeIjLj2EENS0_17counting_iteratorIjlEEPS9_SG_NS0_5tupleIJPjSI_NS0_16reverse_iteratorISI_EEEEENSH_IJSG_SG_SG_EEES9_SI_JZNS1_25segmented_radix_sort_implINS0_14default_configELb1EPKdPdPKlPlN2at6native12_GLOBAL__N_18offset_tEEE10hipError_tPvRmT1_PNSt15iterator_traitsIS12_E10value_typeET2_T3_PNS13_IS18_E10value_typeET4_jRbjT5_S1E_jjP12ihipStream_tbEUljE_ZNSN_ISO_Lb1ESQ_SR_ST_SU_SY_EESZ_S10_S11_S12_S16_S17_S18_S1B_S1C_jS1D_jS1E_S1E_jjS1G_bEUljE0_EEESZ_S10_S11_S18_S1C_S1E_T6_T7_T9_mT8_S1G_bDpT10_ENKUlT_T0_E_clISt17integral_constantIbLb1EES1T_IbLb0EEEEDaS1P_S1Q_EUlS1P_E_NS1_11comp_targetILNS1_3genE2ELNS1_11target_archE906ELNS1_3gpuE6ELNS1_3repE0EEENS1_30default_config_static_selectorELNS0_4arch9wavefront6targetE0EEEvS12_,"axG",@progbits,_ZN7rocprim17ROCPRIM_400000_NS6detail17trampoline_kernelINS0_13select_configILj256ELj13ELNS0_17block_load_methodE3ELS4_3ELS4_3ELNS0_20block_scan_algorithmE0ELj4294967295EEENS1_25partition_config_selectorILNS1_17partition_subalgoE4EjNS0_10empty_typeEbEEZZNS1_14partition_implILS8_4ELb0ES6_15HIP_vector_typeIjLj2EENS0_17counting_iteratorIjlEEPS9_SG_NS0_5tupleIJPjSI_NS0_16reverse_iteratorISI_EEEEENSH_IJSG_SG_SG_EEES9_SI_JZNS1_25segmented_radix_sort_implINS0_14default_configELb1EPKdPdPKlPlN2at6native12_GLOBAL__N_18offset_tEEE10hipError_tPvRmT1_PNSt15iterator_traitsIS12_E10value_typeET2_T3_PNS13_IS18_E10value_typeET4_jRbjT5_S1E_jjP12ihipStream_tbEUljE_ZNSN_ISO_Lb1ESQ_SR_ST_SU_SY_EESZ_S10_S11_S12_S16_S17_S18_S1B_S1C_jS1D_jS1E_S1E_jjS1G_bEUljE0_EEESZ_S10_S11_S18_S1C_S1E_T6_T7_T9_mT8_S1G_bDpT10_ENKUlT_T0_E_clISt17integral_constantIbLb1EES1T_IbLb0EEEEDaS1P_S1Q_EUlS1P_E_NS1_11comp_targetILNS1_3genE2ELNS1_11target_archE906ELNS1_3gpuE6ELNS1_3repE0EEENS1_30default_config_static_selectorELNS0_4arch9wavefront6targetE0EEEvS12_,comdat
.Lfunc_end1066:
	.size	_ZN7rocprim17ROCPRIM_400000_NS6detail17trampoline_kernelINS0_13select_configILj256ELj13ELNS0_17block_load_methodE3ELS4_3ELS4_3ELNS0_20block_scan_algorithmE0ELj4294967295EEENS1_25partition_config_selectorILNS1_17partition_subalgoE4EjNS0_10empty_typeEbEEZZNS1_14partition_implILS8_4ELb0ES6_15HIP_vector_typeIjLj2EENS0_17counting_iteratorIjlEEPS9_SG_NS0_5tupleIJPjSI_NS0_16reverse_iteratorISI_EEEEENSH_IJSG_SG_SG_EEES9_SI_JZNS1_25segmented_radix_sort_implINS0_14default_configELb1EPKdPdPKlPlN2at6native12_GLOBAL__N_18offset_tEEE10hipError_tPvRmT1_PNSt15iterator_traitsIS12_E10value_typeET2_T3_PNS13_IS18_E10value_typeET4_jRbjT5_S1E_jjP12ihipStream_tbEUljE_ZNSN_ISO_Lb1ESQ_SR_ST_SU_SY_EESZ_S10_S11_S12_S16_S17_S18_S1B_S1C_jS1D_jS1E_S1E_jjS1G_bEUljE0_EEESZ_S10_S11_S18_S1C_S1E_T6_T7_T9_mT8_S1G_bDpT10_ENKUlT_T0_E_clISt17integral_constantIbLb1EES1T_IbLb0EEEEDaS1P_S1Q_EUlS1P_E_NS1_11comp_targetILNS1_3genE2ELNS1_11target_archE906ELNS1_3gpuE6ELNS1_3repE0EEENS1_30default_config_static_selectorELNS0_4arch9wavefront6targetE0EEEvS12_, .Lfunc_end1066-_ZN7rocprim17ROCPRIM_400000_NS6detail17trampoline_kernelINS0_13select_configILj256ELj13ELNS0_17block_load_methodE3ELS4_3ELS4_3ELNS0_20block_scan_algorithmE0ELj4294967295EEENS1_25partition_config_selectorILNS1_17partition_subalgoE4EjNS0_10empty_typeEbEEZZNS1_14partition_implILS8_4ELb0ES6_15HIP_vector_typeIjLj2EENS0_17counting_iteratorIjlEEPS9_SG_NS0_5tupleIJPjSI_NS0_16reverse_iteratorISI_EEEEENSH_IJSG_SG_SG_EEES9_SI_JZNS1_25segmented_radix_sort_implINS0_14default_configELb1EPKdPdPKlPlN2at6native12_GLOBAL__N_18offset_tEEE10hipError_tPvRmT1_PNSt15iterator_traitsIS12_E10value_typeET2_T3_PNS13_IS18_E10value_typeET4_jRbjT5_S1E_jjP12ihipStream_tbEUljE_ZNSN_ISO_Lb1ESQ_SR_ST_SU_SY_EESZ_S10_S11_S12_S16_S17_S18_S1B_S1C_jS1D_jS1E_S1E_jjS1G_bEUljE0_EEESZ_S10_S11_S18_S1C_S1E_T6_T7_T9_mT8_S1G_bDpT10_ENKUlT_T0_E_clISt17integral_constantIbLb1EES1T_IbLb0EEEEDaS1P_S1Q_EUlS1P_E_NS1_11comp_targetILNS1_3genE2ELNS1_11target_archE906ELNS1_3gpuE6ELNS1_3repE0EEENS1_30default_config_static_selectorELNS0_4arch9wavefront6targetE0EEEvS12_
                                        ; -- End function
	.set _ZN7rocprim17ROCPRIM_400000_NS6detail17trampoline_kernelINS0_13select_configILj256ELj13ELNS0_17block_load_methodE3ELS4_3ELS4_3ELNS0_20block_scan_algorithmE0ELj4294967295EEENS1_25partition_config_selectorILNS1_17partition_subalgoE4EjNS0_10empty_typeEbEEZZNS1_14partition_implILS8_4ELb0ES6_15HIP_vector_typeIjLj2EENS0_17counting_iteratorIjlEEPS9_SG_NS0_5tupleIJPjSI_NS0_16reverse_iteratorISI_EEEEENSH_IJSG_SG_SG_EEES9_SI_JZNS1_25segmented_radix_sort_implINS0_14default_configELb1EPKdPdPKlPlN2at6native12_GLOBAL__N_18offset_tEEE10hipError_tPvRmT1_PNSt15iterator_traitsIS12_E10value_typeET2_T3_PNS13_IS18_E10value_typeET4_jRbjT5_S1E_jjP12ihipStream_tbEUljE_ZNSN_ISO_Lb1ESQ_SR_ST_SU_SY_EESZ_S10_S11_S12_S16_S17_S18_S1B_S1C_jS1D_jS1E_S1E_jjS1G_bEUljE0_EEESZ_S10_S11_S18_S1C_S1E_T6_T7_T9_mT8_S1G_bDpT10_ENKUlT_T0_E_clISt17integral_constantIbLb1EES1T_IbLb0EEEEDaS1P_S1Q_EUlS1P_E_NS1_11comp_targetILNS1_3genE2ELNS1_11target_archE906ELNS1_3gpuE6ELNS1_3repE0EEENS1_30default_config_static_selectorELNS0_4arch9wavefront6targetE0EEEvS12_.num_vgpr, 0
	.set _ZN7rocprim17ROCPRIM_400000_NS6detail17trampoline_kernelINS0_13select_configILj256ELj13ELNS0_17block_load_methodE3ELS4_3ELS4_3ELNS0_20block_scan_algorithmE0ELj4294967295EEENS1_25partition_config_selectorILNS1_17partition_subalgoE4EjNS0_10empty_typeEbEEZZNS1_14partition_implILS8_4ELb0ES6_15HIP_vector_typeIjLj2EENS0_17counting_iteratorIjlEEPS9_SG_NS0_5tupleIJPjSI_NS0_16reverse_iteratorISI_EEEEENSH_IJSG_SG_SG_EEES9_SI_JZNS1_25segmented_radix_sort_implINS0_14default_configELb1EPKdPdPKlPlN2at6native12_GLOBAL__N_18offset_tEEE10hipError_tPvRmT1_PNSt15iterator_traitsIS12_E10value_typeET2_T3_PNS13_IS18_E10value_typeET4_jRbjT5_S1E_jjP12ihipStream_tbEUljE_ZNSN_ISO_Lb1ESQ_SR_ST_SU_SY_EESZ_S10_S11_S12_S16_S17_S18_S1B_S1C_jS1D_jS1E_S1E_jjS1G_bEUljE0_EEESZ_S10_S11_S18_S1C_S1E_T6_T7_T9_mT8_S1G_bDpT10_ENKUlT_T0_E_clISt17integral_constantIbLb1EES1T_IbLb0EEEEDaS1P_S1Q_EUlS1P_E_NS1_11comp_targetILNS1_3genE2ELNS1_11target_archE906ELNS1_3gpuE6ELNS1_3repE0EEENS1_30default_config_static_selectorELNS0_4arch9wavefront6targetE0EEEvS12_.num_agpr, 0
	.set _ZN7rocprim17ROCPRIM_400000_NS6detail17trampoline_kernelINS0_13select_configILj256ELj13ELNS0_17block_load_methodE3ELS4_3ELS4_3ELNS0_20block_scan_algorithmE0ELj4294967295EEENS1_25partition_config_selectorILNS1_17partition_subalgoE4EjNS0_10empty_typeEbEEZZNS1_14partition_implILS8_4ELb0ES6_15HIP_vector_typeIjLj2EENS0_17counting_iteratorIjlEEPS9_SG_NS0_5tupleIJPjSI_NS0_16reverse_iteratorISI_EEEEENSH_IJSG_SG_SG_EEES9_SI_JZNS1_25segmented_radix_sort_implINS0_14default_configELb1EPKdPdPKlPlN2at6native12_GLOBAL__N_18offset_tEEE10hipError_tPvRmT1_PNSt15iterator_traitsIS12_E10value_typeET2_T3_PNS13_IS18_E10value_typeET4_jRbjT5_S1E_jjP12ihipStream_tbEUljE_ZNSN_ISO_Lb1ESQ_SR_ST_SU_SY_EESZ_S10_S11_S12_S16_S17_S18_S1B_S1C_jS1D_jS1E_S1E_jjS1G_bEUljE0_EEESZ_S10_S11_S18_S1C_S1E_T6_T7_T9_mT8_S1G_bDpT10_ENKUlT_T0_E_clISt17integral_constantIbLb1EES1T_IbLb0EEEEDaS1P_S1Q_EUlS1P_E_NS1_11comp_targetILNS1_3genE2ELNS1_11target_archE906ELNS1_3gpuE6ELNS1_3repE0EEENS1_30default_config_static_selectorELNS0_4arch9wavefront6targetE0EEEvS12_.numbered_sgpr, 0
	.set _ZN7rocprim17ROCPRIM_400000_NS6detail17trampoline_kernelINS0_13select_configILj256ELj13ELNS0_17block_load_methodE3ELS4_3ELS4_3ELNS0_20block_scan_algorithmE0ELj4294967295EEENS1_25partition_config_selectorILNS1_17partition_subalgoE4EjNS0_10empty_typeEbEEZZNS1_14partition_implILS8_4ELb0ES6_15HIP_vector_typeIjLj2EENS0_17counting_iteratorIjlEEPS9_SG_NS0_5tupleIJPjSI_NS0_16reverse_iteratorISI_EEEEENSH_IJSG_SG_SG_EEES9_SI_JZNS1_25segmented_radix_sort_implINS0_14default_configELb1EPKdPdPKlPlN2at6native12_GLOBAL__N_18offset_tEEE10hipError_tPvRmT1_PNSt15iterator_traitsIS12_E10value_typeET2_T3_PNS13_IS18_E10value_typeET4_jRbjT5_S1E_jjP12ihipStream_tbEUljE_ZNSN_ISO_Lb1ESQ_SR_ST_SU_SY_EESZ_S10_S11_S12_S16_S17_S18_S1B_S1C_jS1D_jS1E_S1E_jjS1G_bEUljE0_EEESZ_S10_S11_S18_S1C_S1E_T6_T7_T9_mT8_S1G_bDpT10_ENKUlT_T0_E_clISt17integral_constantIbLb1EES1T_IbLb0EEEEDaS1P_S1Q_EUlS1P_E_NS1_11comp_targetILNS1_3genE2ELNS1_11target_archE906ELNS1_3gpuE6ELNS1_3repE0EEENS1_30default_config_static_selectorELNS0_4arch9wavefront6targetE0EEEvS12_.num_named_barrier, 0
	.set _ZN7rocprim17ROCPRIM_400000_NS6detail17trampoline_kernelINS0_13select_configILj256ELj13ELNS0_17block_load_methodE3ELS4_3ELS4_3ELNS0_20block_scan_algorithmE0ELj4294967295EEENS1_25partition_config_selectorILNS1_17partition_subalgoE4EjNS0_10empty_typeEbEEZZNS1_14partition_implILS8_4ELb0ES6_15HIP_vector_typeIjLj2EENS0_17counting_iteratorIjlEEPS9_SG_NS0_5tupleIJPjSI_NS0_16reverse_iteratorISI_EEEEENSH_IJSG_SG_SG_EEES9_SI_JZNS1_25segmented_radix_sort_implINS0_14default_configELb1EPKdPdPKlPlN2at6native12_GLOBAL__N_18offset_tEEE10hipError_tPvRmT1_PNSt15iterator_traitsIS12_E10value_typeET2_T3_PNS13_IS18_E10value_typeET4_jRbjT5_S1E_jjP12ihipStream_tbEUljE_ZNSN_ISO_Lb1ESQ_SR_ST_SU_SY_EESZ_S10_S11_S12_S16_S17_S18_S1B_S1C_jS1D_jS1E_S1E_jjS1G_bEUljE0_EEESZ_S10_S11_S18_S1C_S1E_T6_T7_T9_mT8_S1G_bDpT10_ENKUlT_T0_E_clISt17integral_constantIbLb1EES1T_IbLb0EEEEDaS1P_S1Q_EUlS1P_E_NS1_11comp_targetILNS1_3genE2ELNS1_11target_archE906ELNS1_3gpuE6ELNS1_3repE0EEENS1_30default_config_static_selectorELNS0_4arch9wavefront6targetE0EEEvS12_.private_seg_size, 0
	.set _ZN7rocprim17ROCPRIM_400000_NS6detail17trampoline_kernelINS0_13select_configILj256ELj13ELNS0_17block_load_methodE3ELS4_3ELS4_3ELNS0_20block_scan_algorithmE0ELj4294967295EEENS1_25partition_config_selectorILNS1_17partition_subalgoE4EjNS0_10empty_typeEbEEZZNS1_14partition_implILS8_4ELb0ES6_15HIP_vector_typeIjLj2EENS0_17counting_iteratorIjlEEPS9_SG_NS0_5tupleIJPjSI_NS0_16reverse_iteratorISI_EEEEENSH_IJSG_SG_SG_EEES9_SI_JZNS1_25segmented_radix_sort_implINS0_14default_configELb1EPKdPdPKlPlN2at6native12_GLOBAL__N_18offset_tEEE10hipError_tPvRmT1_PNSt15iterator_traitsIS12_E10value_typeET2_T3_PNS13_IS18_E10value_typeET4_jRbjT5_S1E_jjP12ihipStream_tbEUljE_ZNSN_ISO_Lb1ESQ_SR_ST_SU_SY_EESZ_S10_S11_S12_S16_S17_S18_S1B_S1C_jS1D_jS1E_S1E_jjS1G_bEUljE0_EEESZ_S10_S11_S18_S1C_S1E_T6_T7_T9_mT8_S1G_bDpT10_ENKUlT_T0_E_clISt17integral_constantIbLb1EES1T_IbLb0EEEEDaS1P_S1Q_EUlS1P_E_NS1_11comp_targetILNS1_3genE2ELNS1_11target_archE906ELNS1_3gpuE6ELNS1_3repE0EEENS1_30default_config_static_selectorELNS0_4arch9wavefront6targetE0EEEvS12_.uses_vcc, 0
	.set _ZN7rocprim17ROCPRIM_400000_NS6detail17trampoline_kernelINS0_13select_configILj256ELj13ELNS0_17block_load_methodE3ELS4_3ELS4_3ELNS0_20block_scan_algorithmE0ELj4294967295EEENS1_25partition_config_selectorILNS1_17partition_subalgoE4EjNS0_10empty_typeEbEEZZNS1_14partition_implILS8_4ELb0ES6_15HIP_vector_typeIjLj2EENS0_17counting_iteratorIjlEEPS9_SG_NS0_5tupleIJPjSI_NS0_16reverse_iteratorISI_EEEEENSH_IJSG_SG_SG_EEES9_SI_JZNS1_25segmented_radix_sort_implINS0_14default_configELb1EPKdPdPKlPlN2at6native12_GLOBAL__N_18offset_tEEE10hipError_tPvRmT1_PNSt15iterator_traitsIS12_E10value_typeET2_T3_PNS13_IS18_E10value_typeET4_jRbjT5_S1E_jjP12ihipStream_tbEUljE_ZNSN_ISO_Lb1ESQ_SR_ST_SU_SY_EESZ_S10_S11_S12_S16_S17_S18_S1B_S1C_jS1D_jS1E_S1E_jjS1G_bEUljE0_EEESZ_S10_S11_S18_S1C_S1E_T6_T7_T9_mT8_S1G_bDpT10_ENKUlT_T0_E_clISt17integral_constantIbLb1EES1T_IbLb0EEEEDaS1P_S1Q_EUlS1P_E_NS1_11comp_targetILNS1_3genE2ELNS1_11target_archE906ELNS1_3gpuE6ELNS1_3repE0EEENS1_30default_config_static_selectorELNS0_4arch9wavefront6targetE0EEEvS12_.uses_flat_scratch, 0
	.set _ZN7rocprim17ROCPRIM_400000_NS6detail17trampoline_kernelINS0_13select_configILj256ELj13ELNS0_17block_load_methodE3ELS4_3ELS4_3ELNS0_20block_scan_algorithmE0ELj4294967295EEENS1_25partition_config_selectorILNS1_17partition_subalgoE4EjNS0_10empty_typeEbEEZZNS1_14partition_implILS8_4ELb0ES6_15HIP_vector_typeIjLj2EENS0_17counting_iteratorIjlEEPS9_SG_NS0_5tupleIJPjSI_NS0_16reverse_iteratorISI_EEEEENSH_IJSG_SG_SG_EEES9_SI_JZNS1_25segmented_radix_sort_implINS0_14default_configELb1EPKdPdPKlPlN2at6native12_GLOBAL__N_18offset_tEEE10hipError_tPvRmT1_PNSt15iterator_traitsIS12_E10value_typeET2_T3_PNS13_IS18_E10value_typeET4_jRbjT5_S1E_jjP12ihipStream_tbEUljE_ZNSN_ISO_Lb1ESQ_SR_ST_SU_SY_EESZ_S10_S11_S12_S16_S17_S18_S1B_S1C_jS1D_jS1E_S1E_jjS1G_bEUljE0_EEESZ_S10_S11_S18_S1C_S1E_T6_T7_T9_mT8_S1G_bDpT10_ENKUlT_T0_E_clISt17integral_constantIbLb1EES1T_IbLb0EEEEDaS1P_S1Q_EUlS1P_E_NS1_11comp_targetILNS1_3genE2ELNS1_11target_archE906ELNS1_3gpuE6ELNS1_3repE0EEENS1_30default_config_static_selectorELNS0_4arch9wavefront6targetE0EEEvS12_.has_dyn_sized_stack, 0
	.set _ZN7rocprim17ROCPRIM_400000_NS6detail17trampoline_kernelINS0_13select_configILj256ELj13ELNS0_17block_load_methodE3ELS4_3ELS4_3ELNS0_20block_scan_algorithmE0ELj4294967295EEENS1_25partition_config_selectorILNS1_17partition_subalgoE4EjNS0_10empty_typeEbEEZZNS1_14partition_implILS8_4ELb0ES6_15HIP_vector_typeIjLj2EENS0_17counting_iteratorIjlEEPS9_SG_NS0_5tupleIJPjSI_NS0_16reverse_iteratorISI_EEEEENSH_IJSG_SG_SG_EEES9_SI_JZNS1_25segmented_radix_sort_implINS0_14default_configELb1EPKdPdPKlPlN2at6native12_GLOBAL__N_18offset_tEEE10hipError_tPvRmT1_PNSt15iterator_traitsIS12_E10value_typeET2_T3_PNS13_IS18_E10value_typeET4_jRbjT5_S1E_jjP12ihipStream_tbEUljE_ZNSN_ISO_Lb1ESQ_SR_ST_SU_SY_EESZ_S10_S11_S12_S16_S17_S18_S1B_S1C_jS1D_jS1E_S1E_jjS1G_bEUljE0_EEESZ_S10_S11_S18_S1C_S1E_T6_T7_T9_mT8_S1G_bDpT10_ENKUlT_T0_E_clISt17integral_constantIbLb1EES1T_IbLb0EEEEDaS1P_S1Q_EUlS1P_E_NS1_11comp_targetILNS1_3genE2ELNS1_11target_archE906ELNS1_3gpuE6ELNS1_3repE0EEENS1_30default_config_static_selectorELNS0_4arch9wavefront6targetE0EEEvS12_.has_recursion, 0
	.set _ZN7rocprim17ROCPRIM_400000_NS6detail17trampoline_kernelINS0_13select_configILj256ELj13ELNS0_17block_load_methodE3ELS4_3ELS4_3ELNS0_20block_scan_algorithmE0ELj4294967295EEENS1_25partition_config_selectorILNS1_17partition_subalgoE4EjNS0_10empty_typeEbEEZZNS1_14partition_implILS8_4ELb0ES6_15HIP_vector_typeIjLj2EENS0_17counting_iteratorIjlEEPS9_SG_NS0_5tupleIJPjSI_NS0_16reverse_iteratorISI_EEEEENSH_IJSG_SG_SG_EEES9_SI_JZNS1_25segmented_radix_sort_implINS0_14default_configELb1EPKdPdPKlPlN2at6native12_GLOBAL__N_18offset_tEEE10hipError_tPvRmT1_PNSt15iterator_traitsIS12_E10value_typeET2_T3_PNS13_IS18_E10value_typeET4_jRbjT5_S1E_jjP12ihipStream_tbEUljE_ZNSN_ISO_Lb1ESQ_SR_ST_SU_SY_EESZ_S10_S11_S12_S16_S17_S18_S1B_S1C_jS1D_jS1E_S1E_jjS1G_bEUljE0_EEESZ_S10_S11_S18_S1C_S1E_T6_T7_T9_mT8_S1G_bDpT10_ENKUlT_T0_E_clISt17integral_constantIbLb1EES1T_IbLb0EEEEDaS1P_S1Q_EUlS1P_E_NS1_11comp_targetILNS1_3genE2ELNS1_11target_archE906ELNS1_3gpuE6ELNS1_3repE0EEENS1_30default_config_static_selectorELNS0_4arch9wavefront6targetE0EEEvS12_.has_indirect_call, 0
	.section	.AMDGPU.csdata,"",@progbits
; Kernel info:
; codeLenInByte = 0
; TotalNumSgprs: 0
; NumVgprs: 0
; ScratchSize: 0
; MemoryBound: 0
; FloatMode: 240
; IeeeMode: 1
; LDSByteSize: 0 bytes/workgroup (compile time only)
; SGPRBlocks: 0
; VGPRBlocks: 0
; NumSGPRsForWavesPerEU: 1
; NumVGPRsForWavesPerEU: 1
; Occupancy: 16
; WaveLimiterHint : 0
; COMPUTE_PGM_RSRC2:SCRATCH_EN: 0
; COMPUTE_PGM_RSRC2:USER_SGPR: 6
; COMPUTE_PGM_RSRC2:TRAP_HANDLER: 0
; COMPUTE_PGM_RSRC2:TGID_X_EN: 1
; COMPUTE_PGM_RSRC2:TGID_Y_EN: 0
; COMPUTE_PGM_RSRC2:TGID_Z_EN: 0
; COMPUTE_PGM_RSRC2:TIDIG_COMP_CNT: 0
	.section	.text._ZN7rocprim17ROCPRIM_400000_NS6detail17trampoline_kernelINS0_13select_configILj256ELj13ELNS0_17block_load_methodE3ELS4_3ELS4_3ELNS0_20block_scan_algorithmE0ELj4294967295EEENS1_25partition_config_selectorILNS1_17partition_subalgoE4EjNS0_10empty_typeEbEEZZNS1_14partition_implILS8_4ELb0ES6_15HIP_vector_typeIjLj2EENS0_17counting_iteratorIjlEEPS9_SG_NS0_5tupleIJPjSI_NS0_16reverse_iteratorISI_EEEEENSH_IJSG_SG_SG_EEES9_SI_JZNS1_25segmented_radix_sort_implINS0_14default_configELb1EPKdPdPKlPlN2at6native12_GLOBAL__N_18offset_tEEE10hipError_tPvRmT1_PNSt15iterator_traitsIS12_E10value_typeET2_T3_PNS13_IS18_E10value_typeET4_jRbjT5_S1E_jjP12ihipStream_tbEUljE_ZNSN_ISO_Lb1ESQ_SR_ST_SU_SY_EESZ_S10_S11_S12_S16_S17_S18_S1B_S1C_jS1D_jS1E_S1E_jjS1G_bEUljE0_EEESZ_S10_S11_S18_S1C_S1E_T6_T7_T9_mT8_S1G_bDpT10_ENKUlT_T0_E_clISt17integral_constantIbLb1EES1T_IbLb0EEEEDaS1P_S1Q_EUlS1P_E_NS1_11comp_targetILNS1_3genE10ELNS1_11target_archE1200ELNS1_3gpuE4ELNS1_3repE0EEENS1_30default_config_static_selectorELNS0_4arch9wavefront6targetE0EEEvS12_,"axG",@progbits,_ZN7rocprim17ROCPRIM_400000_NS6detail17trampoline_kernelINS0_13select_configILj256ELj13ELNS0_17block_load_methodE3ELS4_3ELS4_3ELNS0_20block_scan_algorithmE0ELj4294967295EEENS1_25partition_config_selectorILNS1_17partition_subalgoE4EjNS0_10empty_typeEbEEZZNS1_14partition_implILS8_4ELb0ES6_15HIP_vector_typeIjLj2EENS0_17counting_iteratorIjlEEPS9_SG_NS0_5tupleIJPjSI_NS0_16reverse_iteratorISI_EEEEENSH_IJSG_SG_SG_EEES9_SI_JZNS1_25segmented_radix_sort_implINS0_14default_configELb1EPKdPdPKlPlN2at6native12_GLOBAL__N_18offset_tEEE10hipError_tPvRmT1_PNSt15iterator_traitsIS12_E10value_typeET2_T3_PNS13_IS18_E10value_typeET4_jRbjT5_S1E_jjP12ihipStream_tbEUljE_ZNSN_ISO_Lb1ESQ_SR_ST_SU_SY_EESZ_S10_S11_S12_S16_S17_S18_S1B_S1C_jS1D_jS1E_S1E_jjS1G_bEUljE0_EEESZ_S10_S11_S18_S1C_S1E_T6_T7_T9_mT8_S1G_bDpT10_ENKUlT_T0_E_clISt17integral_constantIbLb1EES1T_IbLb0EEEEDaS1P_S1Q_EUlS1P_E_NS1_11comp_targetILNS1_3genE10ELNS1_11target_archE1200ELNS1_3gpuE4ELNS1_3repE0EEENS1_30default_config_static_selectorELNS0_4arch9wavefront6targetE0EEEvS12_,comdat
	.globl	_ZN7rocprim17ROCPRIM_400000_NS6detail17trampoline_kernelINS0_13select_configILj256ELj13ELNS0_17block_load_methodE3ELS4_3ELS4_3ELNS0_20block_scan_algorithmE0ELj4294967295EEENS1_25partition_config_selectorILNS1_17partition_subalgoE4EjNS0_10empty_typeEbEEZZNS1_14partition_implILS8_4ELb0ES6_15HIP_vector_typeIjLj2EENS0_17counting_iteratorIjlEEPS9_SG_NS0_5tupleIJPjSI_NS0_16reverse_iteratorISI_EEEEENSH_IJSG_SG_SG_EEES9_SI_JZNS1_25segmented_radix_sort_implINS0_14default_configELb1EPKdPdPKlPlN2at6native12_GLOBAL__N_18offset_tEEE10hipError_tPvRmT1_PNSt15iterator_traitsIS12_E10value_typeET2_T3_PNS13_IS18_E10value_typeET4_jRbjT5_S1E_jjP12ihipStream_tbEUljE_ZNSN_ISO_Lb1ESQ_SR_ST_SU_SY_EESZ_S10_S11_S12_S16_S17_S18_S1B_S1C_jS1D_jS1E_S1E_jjS1G_bEUljE0_EEESZ_S10_S11_S18_S1C_S1E_T6_T7_T9_mT8_S1G_bDpT10_ENKUlT_T0_E_clISt17integral_constantIbLb1EES1T_IbLb0EEEEDaS1P_S1Q_EUlS1P_E_NS1_11comp_targetILNS1_3genE10ELNS1_11target_archE1200ELNS1_3gpuE4ELNS1_3repE0EEENS1_30default_config_static_selectorELNS0_4arch9wavefront6targetE0EEEvS12_ ; -- Begin function _ZN7rocprim17ROCPRIM_400000_NS6detail17trampoline_kernelINS0_13select_configILj256ELj13ELNS0_17block_load_methodE3ELS4_3ELS4_3ELNS0_20block_scan_algorithmE0ELj4294967295EEENS1_25partition_config_selectorILNS1_17partition_subalgoE4EjNS0_10empty_typeEbEEZZNS1_14partition_implILS8_4ELb0ES6_15HIP_vector_typeIjLj2EENS0_17counting_iteratorIjlEEPS9_SG_NS0_5tupleIJPjSI_NS0_16reverse_iteratorISI_EEEEENSH_IJSG_SG_SG_EEES9_SI_JZNS1_25segmented_radix_sort_implINS0_14default_configELb1EPKdPdPKlPlN2at6native12_GLOBAL__N_18offset_tEEE10hipError_tPvRmT1_PNSt15iterator_traitsIS12_E10value_typeET2_T3_PNS13_IS18_E10value_typeET4_jRbjT5_S1E_jjP12ihipStream_tbEUljE_ZNSN_ISO_Lb1ESQ_SR_ST_SU_SY_EESZ_S10_S11_S12_S16_S17_S18_S1B_S1C_jS1D_jS1E_S1E_jjS1G_bEUljE0_EEESZ_S10_S11_S18_S1C_S1E_T6_T7_T9_mT8_S1G_bDpT10_ENKUlT_T0_E_clISt17integral_constantIbLb1EES1T_IbLb0EEEEDaS1P_S1Q_EUlS1P_E_NS1_11comp_targetILNS1_3genE10ELNS1_11target_archE1200ELNS1_3gpuE4ELNS1_3repE0EEENS1_30default_config_static_selectorELNS0_4arch9wavefront6targetE0EEEvS12_
	.p2align	8
	.type	_ZN7rocprim17ROCPRIM_400000_NS6detail17trampoline_kernelINS0_13select_configILj256ELj13ELNS0_17block_load_methodE3ELS4_3ELS4_3ELNS0_20block_scan_algorithmE0ELj4294967295EEENS1_25partition_config_selectorILNS1_17partition_subalgoE4EjNS0_10empty_typeEbEEZZNS1_14partition_implILS8_4ELb0ES6_15HIP_vector_typeIjLj2EENS0_17counting_iteratorIjlEEPS9_SG_NS0_5tupleIJPjSI_NS0_16reverse_iteratorISI_EEEEENSH_IJSG_SG_SG_EEES9_SI_JZNS1_25segmented_radix_sort_implINS0_14default_configELb1EPKdPdPKlPlN2at6native12_GLOBAL__N_18offset_tEEE10hipError_tPvRmT1_PNSt15iterator_traitsIS12_E10value_typeET2_T3_PNS13_IS18_E10value_typeET4_jRbjT5_S1E_jjP12ihipStream_tbEUljE_ZNSN_ISO_Lb1ESQ_SR_ST_SU_SY_EESZ_S10_S11_S12_S16_S17_S18_S1B_S1C_jS1D_jS1E_S1E_jjS1G_bEUljE0_EEESZ_S10_S11_S18_S1C_S1E_T6_T7_T9_mT8_S1G_bDpT10_ENKUlT_T0_E_clISt17integral_constantIbLb1EES1T_IbLb0EEEEDaS1P_S1Q_EUlS1P_E_NS1_11comp_targetILNS1_3genE10ELNS1_11target_archE1200ELNS1_3gpuE4ELNS1_3repE0EEENS1_30default_config_static_selectorELNS0_4arch9wavefront6targetE0EEEvS12_,@function
_ZN7rocprim17ROCPRIM_400000_NS6detail17trampoline_kernelINS0_13select_configILj256ELj13ELNS0_17block_load_methodE3ELS4_3ELS4_3ELNS0_20block_scan_algorithmE0ELj4294967295EEENS1_25partition_config_selectorILNS1_17partition_subalgoE4EjNS0_10empty_typeEbEEZZNS1_14partition_implILS8_4ELb0ES6_15HIP_vector_typeIjLj2EENS0_17counting_iteratorIjlEEPS9_SG_NS0_5tupleIJPjSI_NS0_16reverse_iteratorISI_EEEEENSH_IJSG_SG_SG_EEES9_SI_JZNS1_25segmented_radix_sort_implINS0_14default_configELb1EPKdPdPKlPlN2at6native12_GLOBAL__N_18offset_tEEE10hipError_tPvRmT1_PNSt15iterator_traitsIS12_E10value_typeET2_T3_PNS13_IS18_E10value_typeET4_jRbjT5_S1E_jjP12ihipStream_tbEUljE_ZNSN_ISO_Lb1ESQ_SR_ST_SU_SY_EESZ_S10_S11_S12_S16_S17_S18_S1B_S1C_jS1D_jS1E_S1E_jjS1G_bEUljE0_EEESZ_S10_S11_S18_S1C_S1E_T6_T7_T9_mT8_S1G_bDpT10_ENKUlT_T0_E_clISt17integral_constantIbLb1EES1T_IbLb0EEEEDaS1P_S1Q_EUlS1P_E_NS1_11comp_targetILNS1_3genE10ELNS1_11target_archE1200ELNS1_3gpuE4ELNS1_3repE0EEENS1_30default_config_static_selectorELNS0_4arch9wavefront6targetE0EEEvS12_: ; @_ZN7rocprim17ROCPRIM_400000_NS6detail17trampoline_kernelINS0_13select_configILj256ELj13ELNS0_17block_load_methodE3ELS4_3ELS4_3ELNS0_20block_scan_algorithmE0ELj4294967295EEENS1_25partition_config_selectorILNS1_17partition_subalgoE4EjNS0_10empty_typeEbEEZZNS1_14partition_implILS8_4ELb0ES6_15HIP_vector_typeIjLj2EENS0_17counting_iteratorIjlEEPS9_SG_NS0_5tupleIJPjSI_NS0_16reverse_iteratorISI_EEEEENSH_IJSG_SG_SG_EEES9_SI_JZNS1_25segmented_radix_sort_implINS0_14default_configELb1EPKdPdPKlPlN2at6native12_GLOBAL__N_18offset_tEEE10hipError_tPvRmT1_PNSt15iterator_traitsIS12_E10value_typeET2_T3_PNS13_IS18_E10value_typeET4_jRbjT5_S1E_jjP12ihipStream_tbEUljE_ZNSN_ISO_Lb1ESQ_SR_ST_SU_SY_EESZ_S10_S11_S12_S16_S17_S18_S1B_S1C_jS1D_jS1E_S1E_jjS1G_bEUljE0_EEESZ_S10_S11_S18_S1C_S1E_T6_T7_T9_mT8_S1G_bDpT10_ENKUlT_T0_E_clISt17integral_constantIbLb1EES1T_IbLb0EEEEDaS1P_S1Q_EUlS1P_E_NS1_11comp_targetILNS1_3genE10ELNS1_11target_archE1200ELNS1_3gpuE4ELNS1_3repE0EEENS1_30default_config_static_selectorELNS0_4arch9wavefront6targetE0EEEvS12_
; %bb.0:
	.section	.rodata,"a",@progbits
	.p2align	6, 0x0
	.amdhsa_kernel _ZN7rocprim17ROCPRIM_400000_NS6detail17trampoline_kernelINS0_13select_configILj256ELj13ELNS0_17block_load_methodE3ELS4_3ELS4_3ELNS0_20block_scan_algorithmE0ELj4294967295EEENS1_25partition_config_selectorILNS1_17partition_subalgoE4EjNS0_10empty_typeEbEEZZNS1_14partition_implILS8_4ELb0ES6_15HIP_vector_typeIjLj2EENS0_17counting_iteratorIjlEEPS9_SG_NS0_5tupleIJPjSI_NS0_16reverse_iteratorISI_EEEEENSH_IJSG_SG_SG_EEES9_SI_JZNS1_25segmented_radix_sort_implINS0_14default_configELb1EPKdPdPKlPlN2at6native12_GLOBAL__N_18offset_tEEE10hipError_tPvRmT1_PNSt15iterator_traitsIS12_E10value_typeET2_T3_PNS13_IS18_E10value_typeET4_jRbjT5_S1E_jjP12ihipStream_tbEUljE_ZNSN_ISO_Lb1ESQ_SR_ST_SU_SY_EESZ_S10_S11_S12_S16_S17_S18_S1B_S1C_jS1D_jS1E_S1E_jjS1G_bEUljE0_EEESZ_S10_S11_S18_S1C_S1E_T6_T7_T9_mT8_S1G_bDpT10_ENKUlT_T0_E_clISt17integral_constantIbLb1EES1T_IbLb0EEEEDaS1P_S1Q_EUlS1P_E_NS1_11comp_targetILNS1_3genE10ELNS1_11target_archE1200ELNS1_3gpuE4ELNS1_3repE0EEENS1_30default_config_static_selectorELNS0_4arch9wavefront6targetE0EEEvS12_
		.amdhsa_group_segment_fixed_size 0
		.amdhsa_private_segment_fixed_size 0
		.amdhsa_kernarg_size 176
		.amdhsa_user_sgpr_count 6
		.amdhsa_user_sgpr_private_segment_buffer 1
		.amdhsa_user_sgpr_dispatch_ptr 0
		.amdhsa_user_sgpr_queue_ptr 0
		.amdhsa_user_sgpr_kernarg_segment_ptr 1
		.amdhsa_user_sgpr_dispatch_id 0
		.amdhsa_user_sgpr_flat_scratch_init 0
		.amdhsa_user_sgpr_private_segment_size 0
		.amdhsa_wavefront_size32 1
		.amdhsa_uses_dynamic_stack 0
		.amdhsa_system_sgpr_private_segment_wavefront_offset 0
		.amdhsa_system_sgpr_workgroup_id_x 1
		.amdhsa_system_sgpr_workgroup_id_y 0
		.amdhsa_system_sgpr_workgroup_id_z 0
		.amdhsa_system_sgpr_workgroup_info 0
		.amdhsa_system_vgpr_workitem_id 0
		.amdhsa_next_free_vgpr 1
		.amdhsa_next_free_sgpr 1
		.amdhsa_reserve_vcc 0
		.amdhsa_reserve_flat_scratch 0
		.amdhsa_float_round_mode_32 0
		.amdhsa_float_round_mode_16_64 0
		.amdhsa_float_denorm_mode_32 3
		.amdhsa_float_denorm_mode_16_64 3
		.amdhsa_dx10_clamp 1
		.amdhsa_ieee_mode 1
		.amdhsa_fp16_overflow 0
		.amdhsa_workgroup_processor_mode 1
		.amdhsa_memory_ordered 1
		.amdhsa_forward_progress 1
		.amdhsa_shared_vgpr_count 0
		.amdhsa_exception_fp_ieee_invalid_op 0
		.amdhsa_exception_fp_denorm_src 0
		.amdhsa_exception_fp_ieee_div_zero 0
		.amdhsa_exception_fp_ieee_overflow 0
		.amdhsa_exception_fp_ieee_underflow 0
		.amdhsa_exception_fp_ieee_inexact 0
		.amdhsa_exception_int_div_zero 0
	.end_amdhsa_kernel
	.section	.text._ZN7rocprim17ROCPRIM_400000_NS6detail17trampoline_kernelINS0_13select_configILj256ELj13ELNS0_17block_load_methodE3ELS4_3ELS4_3ELNS0_20block_scan_algorithmE0ELj4294967295EEENS1_25partition_config_selectorILNS1_17partition_subalgoE4EjNS0_10empty_typeEbEEZZNS1_14partition_implILS8_4ELb0ES6_15HIP_vector_typeIjLj2EENS0_17counting_iteratorIjlEEPS9_SG_NS0_5tupleIJPjSI_NS0_16reverse_iteratorISI_EEEEENSH_IJSG_SG_SG_EEES9_SI_JZNS1_25segmented_radix_sort_implINS0_14default_configELb1EPKdPdPKlPlN2at6native12_GLOBAL__N_18offset_tEEE10hipError_tPvRmT1_PNSt15iterator_traitsIS12_E10value_typeET2_T3_PNS13_IS18_E10value_typeET4_jRbjT5_S1E_jjP12ihipStream_tbEUljE_ZNSN_ISO_Lb1ESQ_SR_ST_SU_SY_EESZ_S10_S11_S12_S16_S17_S18_S1B_S1C_jS1D_jS1E_S1E_jjS1G_bEUljE0_EEESZ_S10_S11_S18_S1C_S1E_T6_T7_T9_mT8_S1G_bDpT10_ENKUlT_T0_E_clISt17integral_constantIbLb1EES1T_IbLb0EEEEDaS1P_S1Q_EUlS1P_E_NS1_11comp_targetILNS1_3genE10ELNS1_11target_archE1200ELNS1_3gpuE4ELNS1_3repE0EEENS1_30default_config_static_selectorELNS0_4arch9wavefront6targetE0EEEvS12_,"axG",@progbits,_ZN7rocprim17ROCPRIM_400000_NS6detail17trampoline_kernelINS0_13select_configILj256ELj13ELNS0_17block_load_methodE3ELS4_3ELS4_3ELNS0_20block_scan_algorithmE0ELj4294967295EEENS1_25partition_config_selectorILNS1_17partition_subalgoE4EjNS0_10empty_typeEbEEZZNS1_14partition_implILS8_4ELb0ES6_15HIP_vector_typeIjLj2EENS0_17counting_iteratorIjlEEPS9_SG_NS0_5tupleIJPjSI_NS0_16reverse_iteratorISI_EEEEENSH_IJSG_SG_SG_EEES9_SI_JZNS1_25segmented_radix_sort_implINS0_14default_configELb1EPKdPdPKlPlN2at6native12_GLOBAL__N_18offset_tEEE10hipError_tPvRmT1_PNSt15iterator_traitsIS12_E10value_typeET2_T3_PNS13_IS18_E10value_typeET4_jRbjT5_S1E_jjP12ihipStream_tbEUljE_ZNSN_ISO_Lb1ESQ_SR_ST_SU_SY_EESZ_S10_S11_S12_S16_S17_S18_S1B_S1C_jS1D_jS1E_S1E_jjS1G_bEUljE0_EEESZ_S10_S11_S18_S1C_S1E_T6_T7_T9_mT8_S1G_bDpT10_ENKUlT_T0_E_clISt17integral_constantIbLb1EES1T_IbLb0EEEEDaS1P_S1Q_EUlS1P_E_NS1_11comp_targetILNS1_3genE10ELNS1_11target_archE1200ELNS1_3gpuE4ELNS1_3repE0EEENS1_30default_config_static_selectorELNS0_4arch9wavefront6targetE0EEEvS12_,comdat
.Lfunc_end1067:
	.size	_ZN7rocprim17ROCPRIM_400000_NS6detail17trampoline_kernelINS0_13select_configILj256ELj13ELNS0_17block_load_methodE3ELS4_3ELS4_3ELNS0_20block_scan_algorithmE0ELj4294967295EEENS1_25partition_config_selectorILNS1_17partition_subalgoE4EjNS0_10empty_typeEbEEZZNS1_14partition_implILS8_4ELb0ES6_15HIP_vector_typeIjLj2EENS0_17counting_iteratorIjlEEPS9_SG_NS0_5tupleIJPjSI_NS0_16reverse_iteratorISI_EEEEENSH_IJSG_SG_SG_EEES9_SI_JZNS1_25segmented_radix_sort_implINS0_14default_configELb1EPKdPdPKlPlN2at6native12_GLOBAL__N_18offset_tEEE10hipError_tPvRmT1_PNSt15iterator_traitsIS12_E10value_typeET2_T3_PNS13_IS18_E10value_typeET4_jRbjT5_S1E_jjP12ihipStream_tbEUljE_ZNSN_ISO_Lb1ESQ_SR_ST_SU_SY_EESZ_S10_S11_S12_S16_S17_S18_S1B_S1C_jS1D_jS1E_S1E_jjS1G_bEUljE0_EEESZ_S10_S11_S18_S1C_S1E_T6_T7_T9_mT8_S1G_bDpT10_ENKUlT_T0_E_clISt17integral_constantIbLb1EES1T_IbLb0EEEEDaS1P_S1Q_EUlS1P_E_NS1_11comp_targetILNS1_3genE10ELNS1_11target_archE1200ELNS1_3gpuE4ELNS1_3repE0EEENS1_30default_config_static_selectorELNS0_4arch9wavefront6targetE0EEEvS12_, .Lfunc_end1067-_ZN7rocprim17ROCPRIM_400000_NS6detail17trampoline_kernelINS0_13select_configILj256ELj13ELNS0_17block_load_methodE3ELS4_3ELS4_3ELNS0_20block_scan_algorithmE0ELj4294967295EEENS1_25partition_config_selectorILNS1_17partition_subalgoE4EjNS0_10empty_typeEbEEZZNS1_14partition_implILS8_4ELb0ES6_15HIP_vector_typeIjLj2EENS0_17counting_iteratorIjlEEPS9_SG_NS0_5tupleIJPjSI_NS0_16reverse_iteratorISI_EEEEENSH_IJSG_SG_SG_EEES9_SI_JZNS1_25segmented_radix_sort_implINS0_14default_configELb1EPKdPdPKlPlN2at6native12_GLOBAL__N_18offset_tEEE10hipError_tPvRmT1_PNSt15iterator_traitsIS12_E10value_typeET2_T3_PNS13_IS18_E10value_typeET4_jRbjT5_S1E_jjP12ihipStream_tbEUljE_ZNSN_ISO_Lb1ESQ_SR_ST_SU_SY_EESZ_S10_S11_S12_S16_S17_S18_S1B_S1C_jS1D_jS1E_S1E_jjS1G_bEUljE0_EEESZ_S10_S11_S18_S1C_S1E_T6_T7_T9_mT8_S1G_bDpT10_ENKUlT_T0_E_clISt17integral_constantIbLb1EES1T_IbLb0EEEEDaS1P_S1Q_EUlS1P_E_NS1_11comp_targetILNS1_3genE10ELNS1_11target_archE1200ELNS1_3gpuE4ELNS1_3repE0EEENS1_30default_config_static_selectorELNS0_4arch9wavefront6targetE0EEEvS12_
                                        ; -- End function
	.set _ZN7rocprim17ROCPRIM_400000_NS6detail17trampoline_kernelINS0_13select_configILj256ELj13ELNS0_17block_load_methodE3ELS4_3ELS4_3ELNS0_20block_scan_algorithmE0ELj4294967295EEENS1_25partition_config_selectorILNS1_17partition_subalgoE4EjNS0_10empty_typeEbEEZZNS1_14partition_implILS8_4ELb0ES6_15HIP_vector_typeIjLj2EENS0_17counting_iteratorIjlEEPS9_SG_NS0_5tupleIJPjSI_NS0_16reverse_iteratorISI_EEEEENSH_IJSG_SG_SG_EEES9_SI_JZNS1_25segmented_radix_sort_implINS0_14default_configELb1EPKdPdPKlPlN2at6native12_GLOBAL__N_18offset_tEEE10hipError_tPvRmT1_PNSt15iterator_traitsIS12_E10value_typeET2_T3_PNS13_IS18_E10value_typeET4_jRbjT5_S1E_jjP12ihipStream_tbEUljE_ZNSN_ISO_Lb1ESQ_SR_ST_SU_SY_EESZ_S10_S11_S12_S16_S17_S18_S1B_S1C_jS1D_jS1E_S1E_jjS1G_bEUljE0_EEESZ_S10_S11_S18_S1C_S1E_T6_T7_T9_mT8_S1G_bDpT10_ENKUlT_T0_E_clISt17integral_constantIbLb1EES1T_IbLb0EEEEDaS1P_S1Q_EUlS1P_E_NS1_11comp_targetILNS1_3genE10ELNS1_11target_archE1200ELNS1_3gpuE4ELNS1_3repE0EEENS1_30default_config_static_selectorELNS0_4arch9wavefront6targetE0EEEvS12_.num_vgpr, 0
	.set _ZN7rocprim17ROCPRIM_400000_NS6detail17trampoline_kernelINS0_13select_configILj256ELj13ELNS0_17block_load_methodE3ELS4_3ELS4_3ELNS0_20block_scan_algorithmE0ELj4294967295EEENS1_25partition_config_selectorILNS1_17partition_subalgoE4EjNS0_10empty_typeEbEEZZNS1_14partition_implILS8_4ELb0ES6_15HIP_vector_typeIjLj2EENS0_17counting_iteratorIjlEEPS9_SG_NS0_5tupleIJPjSI_NS0_16reverse_iteratorISI_EEEEENSH_IJSG_SG_SG_EEES9_SI_JZNS1_25segmented_radix_sort_implINS0_14default_configELb1EPKdPdPKlPlN2at6native12_GLOBAL__N_18offset_tEEE10hipError_tPvRmT1_PNSt15iterator_traitsIS12_E10value_typeET2_T3_PNS13_IS18_E10value_typeET4_jRbjT5_S1E_jjP12ihipStream_tbEUljE_ZNSN_ISO_Lb1ESQ_SR_ST_SU_SY_EESZ_S10_S11_S12_S16_S17_S18_S1B_S1C_jS1D_jS1E_S1E_jjS1G_bEUljE0_EEESZ_S10_S11_S18_S1C_S1E_T6_T7_T9_mT8_S1G_bDpT10_ENKUlT_T0_E_clISt17integral_constantIbLb1EES1T_IbLb0EEEEDaS1P_S1Q_EUlS1P_E_NS1_11comp_targetILNS1_3genE10ELNS1_11target_archE1200ELNS1_3gpuE4ELNS1_3repE0EEENS1_30default_config_static_selectorELNS0_4arch9wavefront6targetE0EEEvS12_.num_agpr, 0
	.set _ZN7rocprim17ROCPRIM_400000_NS6detail17trampoline_kernelINS0_13select_configILj256ELj13ELNS0_17block_load_methodE3ELS4_3ELS4_3ELNS0_20block_scan_algorithmE0ELj4294967295EEENS1_25partition_config_selectorILNS1_17partition_subalgoE4EjNS0_10empty_typeEbEEZZNS1_14partition_implILS8_4ELb0ES6_15HIP_vector_typeIjLj2EENS0_17counting_iteratorIjlEEPS9_SG_NS0_5tupleIJPjSI_NS0_16reverse_iteratorISI_EEEEENSH_IJSG_SG_SG_EEES9_SI_JZNS1_25segmented_radix_sort_implINS0_14default_configELb1EPKdPdPKlPlN2at6native12_GLOBAL__N_18offset_tEEE10hipError_tPvRmT1_PNSt15iterator_traitsIS12_E10value_typeET2_T3_PNS13_IS18_E10value_typeET4_jRbjT5_S1E_jjP12ihipStream_tbEUljE_ZNSN_ISO_Lb1ESQ_SR_ST_SU_SY_EESZ_S10_S11_S12_S16_S17_S18_S1B_S1C_jS1D_jS1E_S1E_jjS1G_bEUljE0_EEESZ_S10_S11_S18_S1C_S1E_T6_T7_T9_mT8_S1G_bDpT10_ENKUlT_T0_E_clISt17integral_constantIbLb1EES1T_IbLb0EEEEDaS1P_S1Q_EUlS1P_E_NS1_11comp_targetILNS1_3genE10ELNS1_11target_archE1200ELNS1_3gpuE4ELNS1_3repE0EEENS1_30default_config_static_selectorELNS0_4arch9wavefront6targetE0EEEvS12_.numbered_sgpr, 0
	.set _ZN7rocprim17ROCPRIM_400000_NS6detail17trampoline_kernelINS0_13select_configILj256ELj13ELNS0_17block_load_methodE3ELS4_3ELS4_3ELNS0_20block_scan_algorithmE0ELj4294967295EEENS1_25partition_config_selectorILNS1_17partition_subalgoE4EjNS0_10empty_typeEbEEZZNS1_14partition_implILS8_4ELb0ES6_15HIP_vector_typeIjLj2EENS0_17counting_iteratorIjlEEPS9_SG_NS0_5tupleIJPjSI_NS0_16reverse_iteratorISI_EEEEENSH_IJSG_SG_SG_EEES9_SI_JZNS1_25segmented_radix_sort_implINS0_14default_configELb1EPKdPdPKlPlN2at6native12_GLOBAL__N_18offset_tEEE10hipError_tPvRmT1_PNSt15iterator_traitsIS12_E10value_typeET2_T3_PNS13_IS18_E10value_typeET4_jRbjT5_S1E_jjP12ihipStream_tbEUljE_ZNSN_ISO_Lb1ESQ_SR_ST_SU_SY_EESZ_S10_S11_S12_S16_S17_S18_S1B_S1C_jS1D_jS1E_S1E_jjS1G_bEUljE0_EEESZ_S10_S11_S18_S1C_S1E_T6_T7_T9_mT8_S1G_bDpT10_ENKUlT_T0_E_clISt17integral_constantIbLb1EES1T_IbLb0EEEEDaS1P_S1Q_EUlS1P_E_NS1_11comp_targetILNS1_3genE10ELNS1_11target_archE1200ELNS1_3gpuE4ELNS1_3repE0EEENS1_30default_config_static_selectorELNS0_4arch9wavefront6targetE0EEEvS12_.num_named_barrier, 0
	.set _ZN7rocprim17ROCPRIM_400000_NS6detail17trampoline_kernelINS0_13select_configILj256ELj13ELNS0_17block_load_methodE3ELS4_3ELS4_3ELNS0_20block_scan_algorithmE0ELj4294967295EEENS1_25partition_config_selectorILNS1_17partition_subalgoE4EjNS0_10empty_typeEbEEZZNS1_14partition_implILS8_4ELb0ES6_15HIP_vector_typeIjLj2EENS0_17counting_iteratorIjlEEPS9_SG_NS0_5tupleIJPjSI_NS0_16reverse_iteratorISI_EEEEENSH_IJSG_SG_SG_EEES9_SI_JZNS1_25segmented_radix_sort_implINS0_14default_configELb1EPKdPdPKlPlN2at6native12_GLOBAL__N_18offset_tEEE10hipError_tPvRmT1_PNSt15iterator_traitsIS12_E10value_typeET2_T3_PNS13_IS18_E10value_typeET4_jRbjT5_S1E_jjP12ihipStream_tbEUljE_ZNSN_ISO_Lb1ESQ_SR_ST_SU_SY_EESZ_S10_S11_S12_S16_S17_S18_S1B_S1C_jS1D_jS1E_S1E_jjS1G_bEUljE0_EEESZ_S10_S11_S18_S1C_S1E_T6_T7_T9_mT8_S1G_bDpT10_ENKUlT_T0_E_clISt17integral_constantIbLb1EES1T_IbLb0EEEEDaS1P_S1Q_EUlS1P_E_NS1_11comp_targetILNS1_3genE10ELNS1_11target_archE1200ELNS1_3gpuE4ELNS1_3repE0EEENS1_30default_config_static_selectorELNS0_4arch9wavefront6targetE0EEEvS12_.private_seg_size, 0
	.set _ZN7rocprim17ROCPRIM_400000_NS6detail17trampoline_kernelINS0_13select_configILj256ELj13ELNS0_17block_load_methodE3ELS4_3ELS4_3ELNS0_20block_scan_algorithmE0ELj4294967295EEENS1_25partition_config_selectorILNS1_17partition_subalgoE4EjNS0_10empty_typeEbEEZZNS1_14partition_implILS8_4ELb0ES6_15HIP_vector_typeIjLj2EENS0_17counting_iteratorIjlEEPS9_SG_NS0_5tupleIJPjSI_NS0_16reverse_iteratorISI_EEEEENSH_IJSG_SG_SG_EEES9_SI_JZNS1_25segmented_radix_sort_implINS0_14default_configELb1EPKdPdPKlPlN2at6native12_GLOBAL__N_18offset_tEEE10hipError_tPvRmT1_PNSt15iterator_traitsIS12_E10value_typeET2_T3_PNS13_IS18_E10value_typeET4_jRbjT5_S1E_jjP12ihipStream_tbEUljE_ZNSN_ISO_Lb1ESQ_SR_ST_SU_SY_EESZ_S10_S11_S12_S16_S17_S18_S1B_S1C_jS1D_jS1E_S1E_jjS1G_bEUljE0_EEESZ_S10_S11_S18_S1C_S1E_T6_T7_T9_mT8_S1G_bDpT10_ENKUlT_T0_E_clISt17integral_constantIbLb1EES1T_IbLb0EEEEDaS1P_S1Q_EUlS1P_E_NS1_11comp_targetILNS1_3genE10ELNS1_11target_archE1200ELNS1_3gpuE4ELNS1_3repE0EEENS1_30default_config_static_selectorELNS0_4arch9wavefront6targetE0EEEvS12_.uses_vcc, 0
	.set _ZN7rocprim17ROCPRIM_400000_NS6detail17trampoline_kernelINS0_13select_configILj256ELj13ELNS0_17block_load_methodE3ELS4_3ELS4_3ELNS0_20block_scan_algorithmE0ELj4294967295EEENS1_25partition_config_selectorILNS1_17partition_subalgoE4EjNS0_10empty_typeEbEEZZNS1_14partition_implILS8_4ELb0ES6_15HIP_vector_typeIjLj2EENS0_17counting_iteratorIjlEEPS9_SG_NS0_5tupleIJPjSI_NS0_16reverse_iteratorISI_EEEEENSH_IJSG_SG_SG_EEES9_SI_JZNS1_25segmented_radix_sort_implINS0_14default_configELb1EPKdPdPKlPlN2at6native12_GLOBAL__N_18offset_tEEE10hipError_tPvRmT1_PNSt15iterator_traitsIS12_E10value_typeET2_T3_PNS13_IS18_E10value_typeET4_jRbjT5_S1E_jjP12ihipStream_tbEUljE_ZNSN_ISO_Lb1ESQ_SR_ST_SU_SY_EESZ_S10_S11_S12_S16_S17_S18_S1B_S1C_jS1D_jS1E_S1E_jjS1G_bEUljE0_EEESZ_S10_S11_S18_S1C_S1E_T6_T7_T9_mT8_S1G_bDpT10_ENKUlT_T0_E_clISt17integral_constantIbLb1EES1T_IbLb0EEEEDaS1P_S1Q_EUlS1P_E_NS1_11comp_targetILNS1_3genE10ELNS1_11target_archE1200ELNS1_3gpuE4ELNS1_3repE0EEENS1_30default_config_static_selectorELNS0_4arch9wavefront6targetE0EEEvS12_.uses_flat_scratch, 0
	.set _ZN7rocprim17ROCPRIM_400000_NS6detail17trampoline_kernelINS0_13select_configILj256ELj13ELNS0_17block_load_methodE3ELS4_3ELS4_3ELNS0_20block_scan_algorithmE0ELj4294967295EEENS1_25partition_config_selectorILNS1_17partition_subalgoE4EjNS0_10empty_typeEbEEZZNS1_14partition_implILS8_4ELb0ES6_15HIP_vector_typeIjLj2EENS0_17counting_iteratorIjlEEPS9_SG_NS0_5tupleIJPjSI_NS0_16reverse_iteratorISI_EEEEENSH_IJSG_SG_SG_EEES9_SI_JZNS1_25segmented_radix_sort_implINS0_14default_configELb1EPKdPdPKlPlN2at6native12_GLOBAL__N_18offset_tEEE10hipError_tPvRmT1_PNSt15iterator_traitsIS12_E10value_typeET2_T3_PNS13_IS18_E10value_typeET4_jRbjT5_S1E_jjP12ihipStream_tbEUljE_ZNSN_ISO_Lb1ESQ_SR_ST_SU_SY_EESZ_S10_S11_S12_S16_S17_S18_S1B_S1C_jS1D_jS1E_S1E_jjS1G_bEUljE0_EEESZ_S10_S11_S18_S1C_S1E_T6_T7_T9_mT8_S1G_bDpT10_ENKUlT_T0_E_clISt17integral_constantIbLb1EES1T_IbLb0EEEEDaS1P_S1Q_EUlS1P_E_NS1_11comp_targetILNS1_3genE10ELNS1_11target_archE1200ELNS1_3gpuE4ELNS1_3repE0EEENS1_30default_config_static_selectorELNS0_4arch9wavefront6targetE0EEEvS12_.has_dyn_sized_stack, 0
	.set _ZN7rocprim17ROCPRIM_400000_NS6detail17trampoline_kernelINS0_13select_configILj256ELj13ELNS0_17block_load_methodE3ELS4_3ELS4_3ELNS0_20block_scan_algorithmE0ELj4294967295EEENS1_25partition_config_selectorILNS1_17partition_subalgoE4EjNS0_10empty_typeEbEEZZNS1_14partition_implILS8_4ELb0ES6_15HIP_vector_typeIjLj2EENS0_17counting_iteratorIjlEEPS9_SG_NS0_5tupleIJPjSI_NS0_16reverse_iteratorISI_EEEEENSH_IJSG_SG_SG_EEES9_SI_JZNS1_25segmented_radix_sort_implINS0_14default_configELb1EPKdPdPKlPlN2at6native12_GLOBAL__N_18offset_tEEE10hipError_tPvRmT1_PNSt15iterator_traitsIS12_E10value_typeET2_T3_PNS13_IS18_E10value_typeET4_jRbjT5_S1E_jjP12ihipStream_tbEUljE_ZNSN_ISO_Lb1ESQ_SR_ST_SU_SY_EESZ_S10_S11_S12_S16_S17_S18_S1B_S1C_jS1D_jS1E_S1E_jjS1G_bEUljE0_EEESZ_S10_S11_S18_S1C_S1E_T6_T7_T9_mT8_S1G_bDpT10_ENKUlT_T0_E_clISt17integral_constantIbLb1EES1T_IbLb0EEEEDaS1P_S1Q_EUlS1P_E_NS1_11comp_targetILNS1_3genE10ELNS1_11target_archE1200ELNS1_3gpuE4ELNS1_3repE0EEENS1_30default_config_static_selectorELNS0_4arch9wavefront6targetE0EEEvS12_.has_recursion, 0
	.set _ZN7rocprim17ROCPRIM_400000_NS6detail17trampoline_kernelINS0_13select_configILj256ELj13ELNS0_17block_load_methodE3ELS4_3ELS4_3ELNS0_20block_scan_algorithmE0ELj4294967295EEENS1_25partition_config_selectorILNS1_17partition_subalgoE4EjNS0_10empty_typeEbEEZZNS1_14partition_implILS8_4ELb0ES6_15HIP_vector_typeIjLj2EENS0_17counting_iteratorIjlEEPS9_SG_NS0_5tupleIJPjSI_NS0_16reverse_iteratorISI_EEEEENSH_IJSG_SG_SG_EEES9_SI_JZNS1_25segmented_radix_sort_implINS0_14default_configELb1EPKdPdPKlPlN2at6native12_GLOBAL__N_18offset_tEEE10hipError_tPvRmT1_PNSt15iterator_traitsIS12_E10value_typeET2_T3_PNS13_IS18_E10value_typeET4_jRbjT5_S1E_jjP12ihipStream_tbEUljE_ZNSN_ISO_Lb1ESQ_SR_ST_SU_SY_EESZ_S10_S11_S12_S16_S17_S18_S1B_S1C_jS1D_jS1E_S1E_jjS1G_bEUljE0_EEESZ_S10_S11_S18_S1C_S1E_T6_T7_T9_mT8_S1G_bDpT10_ENKUlT_T0_E_clISt17integral_constantIbLb1EES1T_IbLb0EEEEDaS1P_S1Q_EUlS1P_E_NS1_11comp_targetILNS1_3genE10ELNS1_11target_archE1200ELNS1_3gpuE4ELNS1_3repE0EEENS1_30default_config_static_selectorELNS0_4arch9wavefront6targetE0EEEvS12_.has_indirect_call, 0
	.section	.AMDGPU.csdata,"",@progbits
; Kernel info:
; codeLenInByte = 0
; TotalNumSgprs: 0
; NumVgprs: 0
; ScratchSize: 0
; MemoryBound: 0
; FloatMode: 240
; IeeeMode: 1
; LDSByteSize: 0 bytes/workgroup (compile time only)
; SGPRBlocks: 0
; VGPRBlocks: 0
; NumSGPRsForWavesPerEU: 1
; NumVGPRsForWavesPerEU: 1
; Occupancy: 16
; WaveLimiterHint : 0
; COMPUTE_PGM_RSRC2:SCRATCH_EN: 0
; COMPUTE_PGM_RSRC2:USER_SGPR: 6
; COMPUTE_PGM_RSRC2:TRAP_HANDLER: 0
; COMPUTE_PGM_RSRC2:TGID_X_EN: 1
; COMPUTE_PGM_RSRC2:TGID_Y_EN: 0
; COMPUTE_PGM_RSRC2:TGID_Z_EN: 0
; COMPUTE_PGM_RSRC2:TIDIG_COMP_CNT: 0
	.section	.text._ZN7rocprim17ROCPRIM_400000_NS6detail17trampoline_kernelINS0_13select_configILj256ELj13ELNS0_17block_load_methodE3ELS4_3ELS4_3ELNS0_20block_scan_algorithmE0ELj4294967295EEENS1_25partition_config_selectorILNS1_17partition_subalgoE4EjNS0_10empty_typeEbEEZZNS1_14partition_implILS8_4ELb0ES6_15HIP_vector_typeIjLj2EENS0_17counting_iteratorIjlEEPS9_SG_NS0_5tupleIJPjSI_NS0_16reverse_iteratorISI_EEEEENSH_IJSG_SG_SG_EEES9_SI_JZNS1_25segmented_radix_sort_implINS0_14default_configELb1EPKdPdPKlPlN2at6native12_GLOBAL__N_18offset_tEEE10hipError_tPvRmT1_PNSt15iterator_traitsIS12_E10value_typeET2_T3_PNS13_IS18_E10value_typeET4_jRbjT5_S1E_jjP12ihipStream_tbEUljE_ZNSN_ISO_Lb1ESQ_SR_ST_SU_SY_EESZ_S10_S11_S12_S16_S17_S18_S1B_S1C_jS1D_jS1E_S1E_jjS1G_bEUljE0_EEESZ_S10_S11_S18_S1C_S1E_T6_T7_T9_mT8_S1G_bDpT10_ENKUlT_T0_E_clISt17integral_constantIbLb1EES1T_IbLb0EEEEDaS1P_S1Q_EUlS1P_E_NS1_11comp_targetILNS1_3genE9ELNS1_11target_archE1100ELNS1_3gpuE3ELNS1_3repE0EEENS1_30default_config_static_selectorELNS0_4arch9wavefront6targetE0EEEvS12_,"axG",@progbits,_ZN7rocprim17ROCPRIM_400000_NS6detail17trampoline_kernelINS0_13select_configILj256ELj13ELNS0_17block_load_methodE3ELS4_3ELS4_3ELNS0_20block_scan_algorithmE0ELj4294967295EEENS1_25partition_config_selectorILNS1_17partition_subalgoE4EjNS0_10empty_typeEbEEZZNS1_14partition_implILS8_4ELb0ES6_15HIP_vector_typeIjLj2EENS0_17counting_iteratorIjlEEPS9_SG_NS0_5tupleIJPjSI_NS0_16reverse_iteratorISI_EEEEENSH_IJSG_SG_SG_EEES9_SI_JZNS1_25segmented_radix_sort_implINS0_14default_configELb1EPKdPdPKlPlN2at6native12_GLOBAL__N_18offset_tEEE10hipError_tPvRmT1_PNSt15iterator_traitsIS12_E10value_typeET2_T3_PNS13_IS18_E10value_typeET4_jRbjT5_S1E_jjP12ihipStream_tbEUljE_ZNSN_ISO_Lb1ESQ_SR_ST_SU_SY_EESZ_S10_S11_S12_S16_S17_S18_S1B_S1C_jS1D_jS1E_S1E_jjS1G_bEUljE0_EEESZ_S10_S11_S18_S1C_S1E_T6_T7_T9_mT8_S1G_bDpT10_ENKUlT_T0_E_clISt17integral_constantIbLb1EES1T_IbLb0EEEEDaS1P_S1Q_EUlS1P_E_NS1_11comp_targetILNS1_3genE9ELNS1_11target_archE1100ELNS1_3gpuE3ELNS1_3repE0EEENS1_30default_config_static_selectorELNS0_4arch9wavefront6targetE0EEEvS12_,comdat
	.globl	_ZN7rocprim17ROCPRIM_400000_NS6detail17trampoline_kernelINS0_13select_configILj256ELj13ELNS0_17block_load_methodE3ELS4_3ELS4_3ELNS0_20block_scan_algorithmE0ELj4294967295EEENS1_25partition_config_selectorILNS1_17partition_subalgoE4EjNS0_10empty_typeEbEEZZNS1_14partition_implILS8_4ELb0ES6_15HIP_vector_typeIjLj2EENS0_17counting_iteratorIjlEEPS9_SG_NS0_5tupleIJPjSI_NS0_16reverse_iteratorISI_EEEEENSH_IJSG_SG_SG_EEES9_SI_JZNS1_25segmented_radix_sort_implINS0_14default_configELb1EPKdPdPKlPlN2at6native12_GLOBAL__N_18offset_tEEE10hipError_tPvRmT1_PNSt15iterator_traitsIS12_E10value_typeET2_T3_PNS13_IS18_E10value_typeET4_jRbjT5_S1E_jjP12ihipStream_tbEUljE_ZNSN_ISO_Lb1ESQ_SR_ST_SU_SY_EESZ_S10_S11_S12_S16_S17_S18_S1B_S1C_jS1D_jS1E_S1E_jjS1G_bEUljE0_EEESZ_S10_S11_S18_S1C_S1E_T6_T7_T9_mT8_S1G_bDpT10_ENKUlT_T0_E_clISt17integral_constantIbLb1EES1T_IbLb0EEEEDaS1P_S1Q_EUlS1P_E_NS1_11comp_targetILNS1_3genE9ELNS1_11target_archE1100ELNS1_3gpuE3ELNS1_3repE0EEENS1_30default_config_static_selectorELNS0_4arch9wavefront6targetE0EEEvS12_ ; -- Begin function _ZN7rocprim17ROCPRIM_400000_NS6detail17trampoline_kernelINS0_13select_configILj256ELj13ELNS0_17block_load_methodE3ELS4_3ELS4_3ELNS0_20block_scan_algorithmE0ELj4294967295EEENS1_25partition_config_selectorILNS1_17partition_subalgoE4EjNS0_10empty_typeEbEEZZNS1_14partition_implILS8_4ELb0ES6_15HIP_vector_typeIjLj2EENS0_17counting_iteratorIjlEEPS9_SG_NS0_5tupleIJPjSI_NS0_16reverse_iteratorISI_EEEEENSH_IJSG_SG_SG_EEES9_SI_JZNS1_25segmented_radix_sort_implINS0_14default_configELb1EPKdPdPKlPlN2at6native12_GLOBAL__N_18offset_tEEE10hipError_tPvRmT1_PNSt15iterator_traitsIS12_E10value_typeET2_T3_PNS13_IS18_E10value_typeET4_jRbjT5_S1E_jjP12ihipStream_tbEUljE_ZNSN_ISO_Lb1ESQ_SR_ST_SU_SY_EESZ_S10_S11_S12_S16_S17_S18_S1B_S1C_jS1D_jS1E_S1E_jjS1G_bEUljE0_EEESZ_S10_S11_S18_S1C_S1E_T6_T7_T9_mT8_S1G_bDpT10_ENKUlT_T0_E_clISt17integral_constantIbLb1EES1T_IbLb0EEEEDaS1P_S1Q_EUlS1P_E_NS1_11comp_targetILNS1_3genE9ELNS1_11target_archE1100ELNS1_3gpuE3ELNS1_3repE0EEENS1_30default_config_static_selectorELNS0_4arch9wavefront6targetE0EEEvS12_
	.p2align	8
	.type	_ZN7rocprim17ROCPRIM_400000_NS6detail17trampoline_kernelINS0_13select_configILj256ELj13ELNS0_17block_load_methodE3ELS4_3ELS4_3ELNS0_20block_scan_algorithmE0ELj4294967295EEENS1_25partition_config_selectorILNS1_17partition_subalgoE4EjNS0_10empty_typeEbEEZZNS1_14partition_implILS8_4ELb0ES6_15HIP_vector_typeIjLj2EENS0_17counting_iteratorIjlEEPS9_SG_NS0_5tupleIJPjSI_NS0_16reverse_iteratorISI_EEEEENSH_IJSG_SG_SG_EEES9_SI_JZNS1_25segmented_radix_sort_implINS0_14default_configELb1EPKdPdPKlPlN2at6native12_GLOBAL__N_18offset_tEEE10hipError_tPvRmT1_PNSt15iterator_traitsIS12_E10value_typeET2_T3_PNS13_IS18_E10value_typeET4_jRbjT5_S1E_jjP12ihipStream_tbEUljE_ZNSN_ISO_Lb1ESQ_SR_ST_SU_SY_EESZ_S10_S11_S12_S16_S17_S18_S1B_S1C_jS1D_jS1E_S1E_jjS1G_bEUljE0_EEESZ_S10_S11_S18_S1C_S1E_T6_T7_T9_mT8_S1G_bDpT10_ENKUlT_T0_E_clISt17integral_constantIbLb1EES1T_IbLb0EEEEDaS1P_S1Q_EUlS1P_E_NS1_11comp_targetILNS1_3genE9ELNS1_11target_archE1100ELNS1_3gpuE3ELNS1_3repE0EEENS1_30default_config_static_selectorELNS0_4arch9wavefront6targetE0EEEvS12_,@function
_ZN7rocprim17ROCPRIM_400000_NS6detail17trampoline_kernelINS0_13select_configILj256ELj13ELNS0_17block_load_methodE3ELS4_3ELS4_3ELNS0_20block_scan_algorithmE0ELj4294967295EEENS1_25partition_config_selectorILNS1_17partition_subalgoE4EjNS0_10empty_typeEbEEZZNS1_14partition_implILS8_4ELb0ES6_15HIP_vector_typeIjLj2EENS0_17counting_iteratorIjlEEPS9_SG_NS0_5tupleIJPjSI_NS0_16reverse_iteratorISI_EEEEENSH_IJSG_SG_SG_EEES9_SI_JZNS1_25segmented_radix_sort_implINS0_14default_configELb1EPKdPdPKlPlN2at6native12_GLOBAL__N_18offset_tEEE10hipError_tPvRmT1_PNSt15iterator_traitsIS12_E10value_typeET2_T3_PNS13_IS18_E10value_typeET4_jRbjT5_S1E_jjP12ihipStream_tbEUljE_ZNSN_ISO_Lb1ESQ_SR_ST_SU_SY_EESZ_S10_S11_S12_S16_S17_S18_S1B_S1C_jS1D_jS1E_S1E_jjS1G_bEUljE0_EEESZ_S10_S11_S18_S1C_S1E_T6_T7_T9_mT8_S1G_bDpT10_ENKUlT_T0_E_clISt17integral_constantIbLb1EES1T_IbLb0EEEEDaS1P_S1Q_EUlS1P_E_NS1_11comp_targetILNS1_3genE9ELNS1_11target_archE1100ELNS1_3gpuE3ELNS1_3repE0EEENS1_30default_config_static_selectorELNS0_4arch9wavefront6targetE0EEEvS12_: ; @_ZN7rocprim17ROCPRIM_400000_NS6detail17trampoline_kernelINS0_13select_configILj256ELj13ELNS0_17block_load_methodE3ELS4_3ELS4_3ELNS0_20block_scan_algorithmE0ELj4294967295EEENS1_25partition_config_selectorILNS1_17partition_subalgoE4EjNS0_10empty_typeEbEEZZNS1_14partition_implILS8_4ELb0ES6_15HIP_vector_typeIjLj2EENS0_17counting_iteratorIjlEEPS9_SG_NS0_5tupleIJPjSI_NS0_16reverse_iteratorISI_EEEEENSH_IJSG_SG_SG_EEES9_SI_JZNS1_25segmented_radix_sort_implINS0_14default_configELb1EPKdPdPKlPlN2at6native12_GLOBAL__N_18offset_tEEE10hipError_tPvRmT1_PNSt15iterator_traitsIS12_E10value_typeET2_T3_PNS13_IS18_E10value_typeET4_jRbjT5_S1E_jjP12ihipStream_tbEUljE_ZNSN_ISO_Lb1ESQ_SR_ST_SU_SY_EESZ_S10_S11_S12_S16_S17_S18_S1B_S1C_jS1D_jS1E_S1E_jjS1G_bEUljE0_EEESZ_S10_S11_S18_S1C_S1E_T6_T7_T9_mT8_S1G_bDpT10_ENKUlT_T0_E_clISt17integral_constantIbLb1EES1T_IbLb0EEEEDaS1P_S1Q_EUlS1P_E_NS1_11comp_targetILNS1_3genE9ELNS1_11target_archE1100ELNS1_3gpuE3ELNS1_3repE0EEENS1_30default_config_static_selectorELNS0_4arch9wavefront6targetE0EEEvS12_
; %bb.0:
	.section	.rodata,"a",@progbits
	.p2align	6, 0x0
	.amdhsa_kernel _ZN7rocprim17ROCPRIM_400000_NS6detail17trampoline_kernelINS0_13select_configILj256ELj13ELNS0_17block_load_methodE3ELS4_3ELS4_3ELNS0_20block_scan_algorithmE0ELj4294967295EEENS1_25partition_config_selectorILNS1_17partition_subalgoE4EjNS0_10empty_typeEbEEZZNS1_14partition_implILS8_4ELb0ES6_15HIP_vector_typeIjLj2EENS0_17counting_iteratorIjlEEPS9_SG_NS0_5tupleIJPjSI_NS0_16reverse_iteratorISI_EEEEENSH_IJSG_SG_SG_EEES9_SI_JZNS1_25segmented_radix_sort_implINS0_14default_configELb1EPKdPdPKlPlN2at6native12_GLOBAL__N_18offset_tEEE10hipError_tPvRmT1_PNSt15iterator_traitsIS12_E10value_typeET2_T3_PNS13_IS18_E10value_typeET4_jRbjT5_S1E_jjP12ihipStream_tbEUljE_ZNSN_ISO_Lb1ESQ_SR_ST_SU_SY_EESZ_S10_S11_S12_S16_S17_S18_S1B_S1C_jS1D_jS1E_S1E_jjS1G_bEUljE0_EEESZ_S10_S11_S18_S1C_S1E_T6_T7_T9_mT8_S1G_bDpT10_ENKUlT_T0_E_clISt17integral_constantIbLb1EES1T_IbLb0EEEEDaS1P_S1Q_EUlS1P_E_NS1_11comp_targetILNS1_3genE9ELNS1_11target_archE1100ELNS1_3gpuE3ELNS1_3repE0EEENS1_30default_config_static_selectorELNS0_4arch9wavefront6targetE0EEEvS12_
		.amdhsa_group_segment_fixed_size 0
		.amdhsa_private_segment_fixed_size 0
		.amdhsa_kernarg_size 176
		.amdhsa_user_sgpr_count 6
		.amdhsa_user_sgpr_private_segment_buffer 1
		.amdhsa_user_sgpr_dispatch_ptr 0
		.amdhsa_user_sgpr_queue_ptr 0
		.amdhsa_user_sgpr_kernarg_segment_ptr 1
		.amdhsa_user_sgpr_dispatch_id 0
		.amdhsa_user_sgpr_flat_scratch_init 0
		.amdhsa_user_sgpr_private_segment_size 0
		.amdhsa_wavefront_size32 1
		.amdhsa_uses_dynamic_stack 0
		.amdhsa_system_sgpr_private_segment_wavefront_offset 0
		.amdhsa_system_sgpr_workgroup_id_x 1
		.amdhsa_system_sgpr_workgroup_id_y 0
		.amdhsa_system_sgpr_workgroup_id_z 0
		.amdhsa_system_sgpr_workgroup_info 0
		.amdhsa_system_vgpr_workitem_id 0
		.amdhsa_next_free_vgpr 1
		.amdhsa_next_free_sgpr 1
		.amdhsa_reserve_vcc 0
		.amdhsa_reserve_flat_scratch 0
		.amdhsa_float_round_mode_32 0
		.amdhsa_float_round_mode_16_64 0
		.amdhsa_float_denorm_mode_32 3
		.amdhsa_float_denorm_mode_16_64 3
		.amdhsa_dx10_clamp 1
		.amdhsa_ieee_mode 1
		.amdhsa_fp16_overflow 0
		.amdhsa_workgroup_processor_mode 1
		.amdhsa_memory_ordered 1
		.amdhsa_forward_progress 1
		.amdhsa_shared_vgpr_count 0
		.amdhsa_exception_fp_ieee_invalid_op 0
		.amdhsa_exception_fp_denorm_src 0
		.amdhsa_exception_fp_ieee_div_zero 0
		.amdhsa_exception_fp_ieee_overflow 0
		.amdhsa_exception_fp_ieee_underflow 0
		.amdhsa_exception_fp_ieee_inexact 0
		.amdhsa_exception_int_div_zero 0
	.end_amdhsa_kernel
	.section	.text._ZN7rocprim17ROCPRIM_400000_NS6detail17trampoline_kernelINS0_13select_configILj256ELj13ELNS0_17block_load_methodE3ELS4_3ELS4_3ELNS0_20block_scan_algorithmE0ELj4294967295EEENS1_25partition_config_selectorILNS1_17partition_subalgoE4EjNS0_10empty_typeEbEEZZNS1_14partition_implILS8_4ELb0ES6_15HIP_vector_typeIjLj2EENS0_17counting_iteratorIjlEEPS9_SG_NS0_5tupleIJPjSI_NS0_16reverse_iteratorISI_EEEEENSH_IJSG_SG_SG_EEES9_SI_JZNS1_25segmented_radix_sort_implINS0_14default_configELb1EPKdPdPKlPlN2at6native12_GLOBAL__N_18offset_tEEE10hipError_tPvRmT1_PNSt15iterator_traitsIS12_E10value_typeET2_T3_PNS13_IS18_E10value_typeET4_jRbjT5_S1E_jjP12ihipStream_tbEUljE_ZNSN_ISO_Lb1ESQ_SR_ST_SU_SY_EESZ_S10_S11_S12_S16_S17_S18_S1B_S1C_jS1D_jS1E_S1E_jjS1G_bEUljE0_EEESZ_S10_S11_S18_S1C_S1E_T6_T7_T9_mT8_S1G_bDpT10_ENKUlT_T0_E_clISt17integral_constantIbLb1EES1T_IbLb0EEEEDaS1P_S1Q_EUlS1P_E_NS1_11comp_targetILNS1_3genE9ELNS1_11target_archE1100ELNS1_3gpuE3ELNS1_3repE0EEENS1_30default_config_static_selectorELNS0_4arch9wavefront6targetE0EEEvS12_,"axG",@progbits,_ZN7rocprim17ROCPRIM_400000_NS6detail17trampoline_kernelINS0_13select_configILj256ELj13ELNS0_17block_load_methodE3ELS4_3ELS4_3ELNS0_20block_scan_algorithmE0ELj4294967295EEENS1_25partition_config_selectorILNS1_17partition_subalgoE4EjNS0_10empty_typeEbEEZZNS1_14partition_implILS8_4ELb0ES6_15HIP_vector_typeIjLj2EENS0_17counting_iteratorIjlEEPS9_SG_NS0_5tupleIJPjSI_NS0_16reverse_iteratorISI_EEEEENSH_IJSG_SG_SG_EEES9_SI_JZNS1_25segmented_radix_sort_implINS0_14default_configELb1EPKdPdPKlPlN2at6native12_GLOBAL__N_18offset_tEEE10hipError_tPvRmT1_PNSt15iterator_traitsIS12_E10value_typeET2_T3_PNS13_IS18_E10value_typeET4_jRbjT5_S1E_jjP12ihipStream_tbEUljE_ZNSN_ISO_Lb1ESQ_SR_ST_SU_SY_EESZ_S10_S11_S12_S16_S17_S18_S1B_S1C_jS1D_jS1E_S1E_jjS1G_bEUljE0_EEESZ_S10_S11_S18_S1C_S1E_T6_T7_T9_mT8_S1G_bDpT10_ENKUlT_T0_E_clISt17integral_constantIbLb1EES1T_IbLb0EEEEDaS1P_S1Q_EUlS1P_E_NS1_11comp_targetILNS1_3genE9ELNS1_11target_archE1100ELNS1_3gpuE3ELNS1_3repE0EEENS1_30default_config_static_selectorELNS0_4arch9wavefront6targetE0EEEvS12_,comdat
.Lfunc_end1068:
	.size	_ZN7rocprim17ROCPRIM_400000_NS6detail17trampoline_kernelINS0_13select_configILj256ELj13ELNS0_17block_load_methodE3ELS4_3ELS4_3ELNS0_20block_scan_algorithmE0ELj4294967295EEENS1_25partition_config_selectorILNS1_17partition_subalgoE4EjNS0_10empty_typeEbEEZZNS1_14partition_implILS8_4ELb0ES6_15HIP_vector_typeIjLj2EENS0_17counting_iteratorIjlEEPS9_SG_NS0_5tupleIJPjSI_NS0_16reverse_iteratorISI_EEEEENSH_IJSG_SG_SG_EEES9_SI_JZNS1_25segmented_radix_sort_implINS0_14default_configELb1EPKdPdPKlPlN2at6native12_GLOBAL__N_18offset_tEEE10hipError_tPvRmT1_PNSt15iterator_traitsIS12_E10value_typeET2_T3_PNS13_IS18_E10value_typeET4_jRbjT5_S1E_jjP12ihipStream_tbEUljE_ZNSN_ISO_Lb1ESQ_SR_ST_SU_SY_EESZ_S10_S11_S12_S16_S17_S18_S1B_S1C_jS1D_jS1E_S1E_jjS1G_bEUljE0_EEESZ_S10_S11_S18_S1C_S1E_T6_T7_T9_mT8_S1G_bDpT10_ENKUlT_T0_E_clISt17integral_constantIbLb1EES1T_IbLb0EEEEDaS1P_S1Q_EUlS1P_E_NS1_11comp_targetILNS1_3genE9ELNS1_11target_archE1100ELNS1_3gpuE3ELNS1_3repE0EEENS1_30default_config_static_selectorELNS0_4arch9wavefront6targetE0EEEvS12_, .Lfunc_end1068-_ZN7rocprim17ROCPRIM_400000_NS6detail17trampoline_kernelINS0_13select_configILj256ELj13ELNS0_17block_load_methodE3ELS4_3ELS4_3ELNS0_20block_scan_algorithmE0ELj4294967295EEENS1_25partition_config_selectorILNS1_17partition_subalgoE4EjNS0_10empty_typeEbEEZZNS1_14partition_implILS8_4ELb0ES6_15HIP_vector_typeIjLj2EENS0_17counting_iteratorIjlEEPS9_SG_NS0_5tupleIJPjSI_NS0_16reverse_iteratorISI_EEEEENSH_IJSG_SG_SG_EEES9_SI_JZNS1_25segmented_radix_sort_implINS0_14default_configELb1EPKdPdPKlPlN2at6native12_GLOBAL__N_18offset_tEEE10hipError_tPvRmT1_PNSt15iterator_traitsIS12_E10value_typeET2_T3_PNS13_IS18_E10value_typeET4_jRbjT5_S1E_jjP12ihipStream_tbEUljE_ZNSN_ISO_Lb1ESQ_SR_ST_SU_SY_EESZ_S10_S11_S12_S16_S17_S18_S1B_S1C_jS1D_jS1E_S1E_jjS1G_bEUljE0_EEESZ_S10_S11_S18_S1C_S1E_T6_T7_T9_mT8_S1G_bDpT10_ENKUlT_T0_E_clISt17integral_constantIbLb1EES1T_IbLb0EEEEDaS1P_S1Q_EUlS1P_E_NS1_11comp_targetILNS1_3genE9ELNS1_11target_archE1100ELNS1_3gpuE3ELNS1_3repE0EEENS1_30default_config_static_selectorELNS0_4arch9wavefront6targetE0EEEvS12_
                                        ; -- End function
	.set _ZN7rocprim17ROCPRIM_400000_NS6detail17trampoline_kernelINS0_13select_configILj256ELj13ELNS0_17block_load_methodE3ELS4_3ELS4_3ELNS0_20block_scan_algorithmE0ELj4294967295EEENS1_25partition_config_selectorILNS1_17partition_subalgoE4EjNS0_10empty_typeEbEEZZNS1_14partition_implILS8_4ELb0ES6_15HIP_vector_typeIjLj2EENS0_17counting_iteratorIjlEEPS9_SG_NS0_5tupleIJPjSI_NS0_16reverse_iteratorISI_EEEEENSH_IJSG_SG_SG_EEES9_SI_JZNS1_25segmented_radix_sort_implINS0_14default_configELb1EPKdPdPKlPlN2at6native12_GLOBAL__N_18offset_tEEE10hipError_tPvRmT1_PNSt15iterator_traitsIS12_E10value_typeET2_T3_PNS13_IS18_E10value_typeET4_jRbjT5_S1E_jjP12ihipStream_tbEUljE_ZNSN_ISO_Lb1ESQ_SR_ST_SU_SY_EESZ_S10_S11_S12_S16_S17_S18_S1B_S1C_jS1D_jS1E_S1E_jjS1G_bEUljE0_EEESZ_S10_S11_S18_S1C_S1E_T6_T7_T9_mT8_S1G_bDpT10_ENKUlT_T0_E_clISt17integral_constantIbLb1EES1T_IbLb0EEEEDaS1P_S1Q_EUlS1P_E_NS1_11comp_targetILNS1_3genE9ELNS1_11target_archE1100ELNS1_3gpuE3ELNS1_3repE0EEENS1_30default_config_static_selectorELNS0_4arch9wavefront6targetE0EEEvS12_.num_vgpr, 0
	.set _ZN7rocprim17ROCPRIM_400000_NS6detail17trampoline_kernelINS0_13select_configILj256ELj13ELNS0_17block_load_methodE3ELS4_3ELS4_3ELNS0_20block_scan_algorithmE0ELj4294967295EEENS1_25partition_config_selectorILNS1_17partition_subalgoE4EjNS0_10empty_typeEbEEZZNS1_14partition_implILS8_4ELb0ES6_15HIP_vector_typeIjLj2EENS0_17counting_iteratorIjlEEPS9_SG_NS0_5tupleIJPjSI_NS0_16reverse_iteratorISI_EEEEENSH_IJSG_SG_SG_EEES9_SI_JZNS1_25segmented_radix_sort_implINS0_14default_configELb1EPKdPdPKlPlN2at6native12_GLOBAL__N_18offset_tEEE10hipError_tPvRmT1_PNSt15iterator_traitsIS12_E10value_typeET2_T3_PNS13_IS18_E10value_typeET4_jRbjT5_S1E_jjP12ihipStream_tbEUljE_ZNSN_ISO_Lb1ESQ_SR_ST_SU_SY_EESZ_S10_S11_S12_S16_S17_S18_S1B_S1C_jS1D_jS1E_S1E_jjS1G_bEUljE0_EEESZ_S10_S11_S18_S1C_S1E_T6_T7_T9_mT8_S1G_bDpT10_ENKUlT_T0_E_clISt17integral_constantIbLb1EES1T_IbLb0EEEEDaS1P_S1Q_EUlS1P_E_NS1_11comp_targetILNS1_3genE9ELNS1_11target_archE1100ELNS1_3gpuE3ELNS1_3repE0EEENS1_30default_config_static_selectorELNS0_4arch9wavefront6targetE0EEEvS12_.num_agpr, 0
	.set _ZN7rocprim17ROCPRIM_400000_NS6detail17trampoline_kernelINS0_13select_configILj256ELj13ELNS0_17block_load_methodE3ELS4_3ELS4_3ELNS0_20block_scan_algorithmE0ELj4294967295EEENS1_25partition_config_selectorILNS1_17partition_subalgoE4EjNS0_10empty_typeEbEEZZNS1_14partition_implILS8_4ELb0ES6_15HIP_vector_typeIjLj2EENS0_17counting_iteratorIjlEEPS9_SG_NS0_5tupleIJPjSI_NS0_16reverse_iteratorISI_EEEEENSH_IJSG_SG_SG_EEES9_SI_JZNS1_25segmented_radix_sort_implINS0_14default_configELb1EPKdPdPKlPlN2at6native12_GLOBAL__N_18offset_tEEE10hipError_tPvRmT1_PNSt15iterator_traitsIS12_E10value_typeET2_T3_PNS13_IS18_E10value_typeET4_jRbjT5_S1E_jjP12ihipStream_tbEUljE_ZNSN_ISO_Lb1ESQ_SR_ST_SU_SY_EESZ_S10_S11_S12_S16_S17_S18_S1B_S1C_jS1D_jS1E_S1E_jjS1G_bEUljE0_EEESZ_S10_S11_S18_S1C_S1E_T6_T7_T9_mT8_S1G_bDpT10_ENKUlT_T0_E_clISt17integral_constantIbLb1EES1T_IbLb0EEEEDaS1P_S1Q_EUlS1P_E_NS1_11comp_targetILNS1_3genE9ELNS1_11target_archE1100ELNS1_3gpuE3ELNS1_3repE0EEENS1_30default_config_static_selectorELNS0_4arch9wavefront6targetE0EEEvS12_.numbered_sgpr, 0
	.set _ZN7rocprim17ROCPRIM_400000_NS6detail17trampoline_kernelINS0_13select_configILj256ELj13ELNS0_17block_load_methodE3ELS4_3ELS4_3ELNS0_20block_scan_algorithmE0ELj4294967295EEENS1_25partition_config_selectorILNS1_17partition_subalgoE4EjNS0_10empty_typeEbEEZZNS1_14partition_implILS8_4ELb0ES6_15HIP_vector_typeIjLj2EENS0_17counting_iteratorIjlEEPS9_SG_NS0_5tupleIJPjSI_NS0_16reverse_iteratorISI_EEEEENSH_IJSG_SG_SG_EEES9_SI_JZNS1_25segmented_radix_sort_implINS0_14default_configELb1EPKdPdPKlPlN2at6native12_GLOBAL__N_18offset_tEEE10hipError_tPvRmT1_PNSt15iterator_traitsIS12_E10value_typeET2_T3_PNS13_IS18_E10value_typeET4_jRbjT5_S1E_jjP12ihipStream_tbEUljE_ZNSN_ISO_Lb1ESQ_SR_ST_SU_SY_EESZ_S10_S11_S12_S16_S17_S18_S1B_S1C_jS1D_jS1E_S1E_jjS1G_bEUljE0_EEESZ_S10_S11_S18_S1C_S1E_T6_T7_T9_mT8_S1G_bDpT10_ENKUlT_T0_E_clISt17integral_constantIbLb1EES1T_IbLb0EEEEDaS1P_S1Q_EUlS1P_E_NS1_11comp_targetILNS1_3genE9ELNS1_11target_archE1100ELNS1_3gpuE3ELNS1_3repE0EEENS1_30default_config_static_selectorELNS0_4arch9wavefront6targetE0EEEvS12_.num_named_barrier, 0
	.set _ZN7rocprim17ROCPRIM_400000_NS6detail17trampoline_kernelINS0_13select_configILj256ELj13ELNS0_17block_load_methodE3ELS4_3ELS4_3ELNS0_20block_scan_algorithmE0ELj4294967295EEENS1_25partition_config_selectorILNS1_17partition_subalgoE4EjNS0_10empty_typeEbEEZZNS1_14partition_implILS8_4ELb0ES6_15HIP_vector_typeIjLj2EENS0_17counting_iteratorIjlEEPS9_SG_NS0_5tupleIJPjSI_NS0_16reverse_iteratorISI_EEEEENSH_IJSG_SG_SG_EEES9_SI_JZNS1_25segmented_radix_sort_implINS0_14default_configELb1EPKdPdPKlPlN2at6native12_GLOBAL__N_18offset_tEEE10hipError_tPvRmT1_PNSt15iterator_traitsIS12_E10value_typeET2_T3_PNS13_IS18_E10value_typeET4_jRbjT5_S1E_jjP12ihipStream_tbEUljE_ZNSN_ISO_Lb1ESQ_SR_ST_SU_SY_EESZ_S10_S11_S12_S16_S17_S18_S1B_S1C_jS1D_jS1E_S1E_jjS1G_bEUljE0_EEESZ_S10_S11_S18_S1C_S1E_T6_T7_T9_mT8_S1G_bDpT10_ENKUlT_T0_E_clISt17integral_constantIbLb1EES1T_IbLb0EEEEDaS1P_S1Q_EUlS1P_E_NS1_11comp_targetILNS1_3genE9ELNS1_11target_archE1100ELNS1_3gpuE3ELNS1_3repE0EEENS1_30default_config_static_selectorELNS0_4arch9wavefront6targetE0EEEvS12_.private_seg_size, 0
	.set _ZN7rocprim17ROCPRIM_400000_NS6detail17trampoline_kernelINS0_13select_configILj256ELj13ELNS0_17block_load_methodE3ELS4_3ELS4_3ELNS0_20block_scan_algorithmE0ELj4294967295EEENS1_25partition_config_selectorILNS1_17partition_subalgoE4EjNS0_10empty_typeEbEEZZNS1_14partition_implILS8_4ELb0ES6_15HIP_vector_typeIjLj2EENS0_17counting_iteratorIjlEEPS9_SG_NS0_5tupleIJPjSI_NS0_16reverse_iteratorISI_EEEEENSH_IJSG_SG_SG_EEES9_SI_JZNS1_25segmented_radix_sort_implINS0_14default_configELb1EPKdPdPKlPlN2at6native12_GLOBAL__N_18offset_tEEE10hipError_tPvRmT1_PNSt15iterator_traitsIS12_E10value_typeET2_T3_PNS13_IS18_E10value_typeET4_jRbjT5_S1E_jjP12ihipStream_tbEUljE_ZNSN_ISO_Lb1ESQ_SR_ST_SU_SY_EESZ_S10_S11_S12_S16_S17_S18_S1B_S1C_jS1D_jS1E_S1E_jjS1G_bEUljE0_EEESZ_S10_S11_S18_S1C_S1E_T6_T7_T9_mT8_S1G_bDpT10_ENKUlT_T0_E_clISt17integral_constantIbLb1EES1T_IbLb0EEEEDaS1P_S1Q_EUlS1P_E_NS1_11comp_targetILNS1_3genE9ELNS1_11target_archE1100ELNS1_3gpuE3ELNS1_3repE0EEENS1_30default_config_static_selectorELNS0_4arch9wavefront6targetE0EEEvS12_.uses_vcc, 0
	.set _ZN7rocprim17ROCPRIM_400000_NS6detail17trampoline_kernelINS0_13select_configILj256ELj13ELNS0_17block_load_methodE3ELS4_3ELS4_3ELNS0_20block_scan_algorithmE0ELj4294967295EEENS1_25partition_config_selectorILNS1_17partition_subalgoE4EjNS0_10empty_typeEbEEZZNS1_14partition_implILS8_4ELb0ES6_15HIP_vector_typeIjLj2EENS0_17counting_iteratorIjlEEPS9_SG_NS0_5tupleIJPjSI_NS0_16reverse_iteratorISI_EEEEENSH_IJSG_SG_SG_EEES9_SI_JZNS1_25segmented_radix_sort_implINS0_14default_configELb1EPKdPdPKlPlN2at6native12_GLOBAL__N_18offset_tEEE10hipError_tPvRmT1_PNSt15iterator_traitsIS12_E10value_typeET2_T3_PNS13_IS18_E10value_typeET4_jRbjT5_S1E_jjP12ihipStream_tbEUljE_ZNSN_ISO_Lb1ESQ_SR_ST_SU_SY_EESZ_S10_S11_S12_S16_S17_S18_S1B_S1C_jS1D_jS1E_S1E_jjS1G_bEUljE0_EEESZ_S10_S11_S18_S1C_S1E_T6_T7_T9_mT8_S1G_bDpT10_ENKUlT_T0_E_clISt17integral_constantIbLb1EES1T_IbLb0EEEEDaS1P_S1Q_EUlS1P_E_NS1_11comp_targetILNS1_3genE9ELNS1_11target_archE1100ELNS1_3gpuE3ELNS1_3repE0EEENS1_30default_config_static_selectorELNS0_4arch9wavefront6targetE0EEEvS12_.uses_flat_scratch, 0
	.set _ZN7rocprim17ROCPRIM_400000_NS6detail17trampoline_kernelINS0_13select_configILj256ELj13ELNS0_17block_load_methodE3ELS4_3ELS4_3ELNS0_20block_scan_algorithmE0ELj4294967295EEENS1_25partition_config_selectorILNS1_17partition_subalgoE4EjNS0_10empty_typeEbEEZZNS1_14partition_implILS8_4ELb0ES6_15HIP_vector_typeIjLj2EENS0_17counting_iteratorIjlEEPS9_SG_NS0_5tupleIJPjSI_NS0_16reverse_iteratorISI_EEEEENSH_IJSG_SG_SG_EEES9_SI_JZNS1_25segmented_radix_sort_implINS0_14default_configELb1EPKdPdPKlPlN2at6native12_GLOBAL__N_18offset_tEEE10hipError_tPvRmT1_PNSt15iterator_traitsIS12_E10value_typeET2_T3_PNS13_IS18_E10value_typeET4_jRbjT5_S1E_jjP12ihipStream_tbEUljE_ZNSN_ISO_Lb1ESQ_SR_ST_SU_SY_EESZ_S10_S11_S12_S16_S17_S18_S1B_S1C_jS1D_jS1E_S1E_jjS1G_bEUljE0_EEESZ_S10_S11_S18_S1C_S1E_T6_T7_T9_mT8_S1G_bDpT10_ENKUlT_T0_E_clISt17integral_constantIbLb1EES1T_IbLb0EEEEDaS1P_S1Q_EUlS1P_E_NS1_11comp_targetILNS1_3genE9ELNS1_11target_archE1100ELNS1_3gpuE3ELNS1_3repE0EEENS1_30default_config_static_selectorELNS0_4arch9wavefront6targetE0EEEvS12_.has_dyn_sized_stack, 0
	.set _ZN7rocprim17ROCPRIM_400000_NS6detail17trampoline_kernelINS0_13select_configILj256ELj13ELNS0_17block_load_methodE3ELS4_3ELS4_3ELNS0_20block_scan_algorithmE0ELj4294967295EEENS1_25partition_config_selectorILNS1_17partition_subalgoE4EjNS0_10empty_typeEbEEZZNS1_14partition_implILS8_4ELb0ES6_15HIP_vector_typeIjLj2EENS0_17counting_iteratorIjlEEPS9_SG_NS0_5tupleIJPjSI_NS0_16reverse_iteratorISI_EEEEENSH_IJSG_SG_SG_EEES9_SI_JZNS1_25segmented_radix_sort_implINS0_14default_configELb1EPKdPdPKlPlN2at6native12_GLOBAL__N_18offset_tEEE10hipError_tPvRmT1_PNSt15iterator_traitsIS12_E10value_typeET2_T3_PNS13_IS18_E10value_typeET4_jRbjT5_S1E_jjP12ihipStream_tbEUljE_ZNSN_ISO_Lb1ESQ_SR_ST_SU_SY_EESZ_S10_S11_S12_S16_S17_S18_S1B_S1C_jS1D_jS1E_S1E_jjS1G_bEUljE0_EEESZ_S10_S11_S18_S1C_S1E_T6_T7_T9_mT8_S1G_bDpT10_ENKUlT_T0_E_clISt17integral_constantIbLb1EES1T_IbLb0EEEEDaS1P_S1Q_EUlS1P_E_NS1_11comp_targetILNS1_3genE9ELNS1_11target_archE1100ELNS1_3gpuE3ELNS1_3repE0EEENS1_30default_config_static_selectorELNS0_4arch9wavefront6targetE0EEEvS12_.has_recursion, 0
	.set _ZN7rocprim17ROCPRIM_400000_NS6detail17trampoline_kernelINS0_13select_configILj256ELj13ELNS0_17block_load_methodE3ELS4_3ELS4_3ELNS0_20block_scan_algorithmE0ELj4294967295EEENS1_25partition_config_selectorILNS1_17partition_subalgoE4EjNS0_10empty_typeEbEEZZNS1_14partition_implILS8_4ELb0ES6_15HIP_vector_typeIjLj2EENS0_17counting_iteratorIjlEEPS9_SG_NS0_5tupleIJPjSI_NS0_16reverse_iteratorISI_EEEEENSH_IJSG_SG_SG_EEES9_SI_JZNS1_25segmented_radix_sort_implINS0_14default_configELb1EPKdPdPKlPlN2at6native12_GLOBAL__N_18offset_tEEE10hipError_tPvRmT1_PNSt15iterator_traitsIS12_E10value_typeET2_T3_PNS13_IS18_E10value_typeET4_jRbjT5_S1E_jjP12ihipStream_tbEUljE_ZNSN_ISO_Lb1ESQ_SR_ST_SU_SY_EESZ_S10_S11_S12_S16_S17_S18_S1B_S1C_jS1D_jS1E_S1E_jjS1G_bEUljE0_EEESZ_S10_S11_S18_S1C_S1E_T6_T7_T9_mT8_S1G_bDpT10_ENKUlT_T0_E_clISt17integral_constantIbLb1EES1T_IbLb0EEEEDaS1P_S1Q_EUlS1P_E_NS1_11comp_targetILNS1_3genE9ELNS1_11target_archE1100ELNS1_3gpuE3ELNS1_3repE0EEENS1_30default_config_static_selectorELNS0_4arch9wavefront6targetE0EEEvS12_.has_indirect_call, 0
	.section	.AMDGPU.csdata,"",@progbits
; Kernel info:
; codeLenInByte = 0
; TotalNumSgprs: 0
; NumVgprs: 0
; ScratchSize: 0
; MemoryBound: 0
; FloatMode: 240
; IeeeMode: 1
; LDSByteSize: 0 bytes/workgroup (compile time only)
; SGPRBlocks: 0
; VGPRBlocks: 0
; NumSGPRsForWavesPerEU: 1
; NumVGPRsForWavesPerEU: 1
; Occupancy: 16
; WaveLimiterHint : 0
; COMPUTE_PGM_RSRC2:SCRATCH_EN: 0
; COMPUTE_PGM_RSRC2:USER_SGPR: 6
; COMPUTE_PGM_RSRC2:TRAP_HANDLER: 0
; COMPUTE_PGM_RSRC2:TGID_X_EN: 1
; COMPUTE_PGM_RSRC2:TGID_Y_EN: 0
; COMPUTE_PGM_RSRC2:TGID_Z_EN: 0
; COMPUTE_PGM_RSRC2:TIDIG_COMP_CNT: 0
	.section	.text._ZN7rocprim17ROCPRIM_400000_NS6detail17trampoline_kernelINS0_13select_configILj256ELj13ELNS0_17block_load_methodE3ELS4_3ELS4_3ELNS0_20block_scan_algorithmE0ELj4294967295EEENS1_25partition_config_selectorILNS1_17partition_subalgoE4EjNS0_10empty_typeEbEEZZNS1_14partition_implILS8_4ELb0ES6_15HIP_vector_typeIjLj2EENS0_17counting_iteratorIjlEEPS9_SG_NS0_5tupleIJPjSI_NS0_16reverse_iteratorISI_EEEEENSH_IJSG_SG_SG_EEES9_SI_JZNS1_25segmented_radix_sort_implINS0_14default_configELb1EPKdPdPKlPlN2at6native12_GLOBAL__N_18offset_tEEE10hipError_tPvRmT1_PNSt15iterator_traitsIS12_E10value_typeET2_T3_PNS13_IS18_E10value_typeET4_jRbjT5_S1E_jjP12ihipStream_tbEUljE_ZNSN_ISO_Lb1ESQ_SR_ST_SU_SY_EESZ_S10_S11_S12_S16_S17_S18_S1B_S1C_jS1D_jS1E_S1E_jjS1G_bEUljE0_EEESZ_S10_S11_S18_S1C_S1E_T6_T7_T9_mT8_S1G_bDpT10_ENKUlT_T0_E_clISt17integral_constantIbLb1EES1T_IbLb0EEEEDaS1P_S1Q_EUlS1P_E_NS1_11comp_targetILNS1_3genE8ELNS1_11target_archE1030ELNS1_3gpuE2ELNS1_3repE0EEENS1_30default_config_static_selectorELNS0_4arch9wavefront6targetE0EEEvS12_,"axG",@progbits,_ZN7rocprim17ROCPRIM_400000_NS6detail17trampoline_kernelINS0_13select_configILj256ELj13ELNS0_17block_load_methodE3ELS4_3ELS4_3ELNS0_20block_scan_algorithmE0ELj4294967295EEENS1_25partition_config_selectorILNS1_17partition_subalgoE4EjNS0_10empty_typeEbEEZZNS1_14partition_implILS8_4ELb0ES6_15HIP_vector_typeIjLj2EENS0_17counting_iteratorIjlEEPS9_SG_NS0_5tupleIJPjSI_NS0_16reverse_iteratorISI_EEEEENSH_IJSG_SG_SG_EEES9_SI_JZNS1_25segmented_radix_sort_implINS0_14default_configELb1EPKdPdPKlPlN2at6native12_GLOBAL__N_18offset_tEEE10hipError_tPvRmT1_PNSt15iterator_traitsIS12_E10value_typeET2_T3_PNS13_IS18_E10value_typeET4_jRbjT5_S1E_jjP12ihipStream_tbEUljE_ZNSN_ISO_Lb1ESQ_SR_ST_SU_SY_EESZ_S10_S11_S12_S16_S17_S18_S1B_S1C_jS1D_jS1E_S1E_jjS1G_bEUljE0_EEESZ_S10_S11_S18_S1C_S1E_T6_T7_T9_mT8_S1G_bDpT10_ENKUlT_T0_E_clISt17integral_constantIbLb1EES1T_IbLb0EEEEDaS1P_S1Q_EUlS1P_E_NS1_11comp_targetILNS1_3genE8ELNS1_11target_archE1030ELNS1_3gpuE2ELNS1_3repE0EEENS1_30default_config_static_selectorELNS0_4arch9wavefront6targetE0EEEvS12_,comdat
	.globl	_ZN7rocprim17ROCPRIM_400000_NS6detail17trampoline_kernelINS0_13select_configILj256ELj13ELNS0_17block_load_methodE3ELS4_3ELS4_3ELNS0_20block_scan_algorithmE0ELj4294967295EEENS1_25partition_config_selectorILNS1_17partition_subalgoE4EjNS0_10empty_typeEbEEZZNS1_14partition_implILS8_4ELb0ES6_15HIP_vector_typeIjLj2EENS0_17counting_iteratorIjlEEPS9_SG_NS0_5tupleIJPjSI_NS0_16reverse_iteratorISI_EEEEENSH_IJSG_SG_SG_EEES9_SI_JZNS1_25segmented_radix_sort_implINS0_14default_configELb1EPKdPdPKlPlN2at6native12_GLOBAL__N_18offset_tEEE10hipError_tPvRmT1_PNSt15iterator_traitsIS12_E10value_typeET2_T3_PNS13_IS18_E10value_typeET4_jRbjT5_S1E_jjP12ihipStream_tbEUljE_ZNSN_ISO_Lb1ESQ_SR_ST_SU_SY_EESZ_S10_S11_S12_S16_S17_S18_S1B_S1C_jS1D_jS1E_S1E_jjS1G_bEUljE0_EEESZ_S10_S11_S18_S1C_S1E_T6_T7_T9_mT8_S1G_bDpT10_ENKUlT_T0_E_clISt17integral_constantIbLb1EES1T_IbLb0EEEEDaS1P_S1Q_EUlS1P_E_NS1_11comp_targetILNS1_3genE8ELNS1_11target_archE1030ELNS1_3gpuE2ELNS1_3repE0EEENS1_30default_config_static_selectorELNS0_4arch9wavefront6targetE0EEEvS12_ ; -- Begin function _ZN7rocprim17ROCPRIM_400000_NS6detail17trampoline_kernelINS0_13select_configILj256ELj13ELNS0_17block_load_methodE3ELS4_3ELS4_3ELNS0_20block_scan_algorithmE0ELj4294967295EEENS1_25partition_config_selectorILNS1_17partition_subalgoE4EjNS0_10empty_typeEbEEZZNS1_14partition_implILS8_4ELb0ES6_15HIP_vector_typeIjLj2EENS0_17counting_iteratorIjlEEPS9_SG_NS0_5tupleIJPjSI_NS0_16reverse_iteratorISI_EEEEENSH_IJSG_SG_SG_EEES9_SI_JZNS1_25segmented_radix_sort_implINS0_14default_configELb1EPKdPdPKlPlN2at6native12_GLOBAL__N_18offset_tEEE10hipError_tPvRmT1_PNSt15iterator_traitsIS12_E10value_typeET2_T3_PNS13_IS18_E10value_typeET4_jRbjT5_S1E_jjP12ihipStream_tbEUljE_ZNSN_ISO_Lb1ESQ_SR_ST_SU_SY_EESZ_S10_S11_S12_S16_S17_S18_S1B_S1C_jS1D_jS1E_S1E_jjS1G_bEUljE0_EEESZ_S10_S11_S18_S1C_S1E_T6_T7_T9_mT8_S1G_bDpT10_ENKUlT_T0_E_clISt17integral_constantIbLb1EES1T_IbLb0EEEEDaS1P_S1Q_EUlS1P_E_NS1_11comp_targetILNS1_3genE8ELNS1_11target_archE1030ELNS1_3gpuE2ELNS1_3repE0EEENS1_30default_config_static_selectorELNS0_4arch9wavefront6targetE0EEEvS12_
	.p2align	8
	.type	_ZN7rocprim17ROCPRIM_400000_NS6detail17trampoline_kernelINS0_13select_configILj256ELj13ELNS0_17block_load_methodE3ELS4_3ELS4_3ELNS0_20block_scan_algorithmE0ELj4294967295EEENS1_25partition_config_selectorILNS1_17partition_subalgoE4EjNS0_10empty_typeEbEEZZNS1_14partition_implILS8_4ELb0ES6_15HIP_vector_typeIjLj2EENS0_17counting_iteratorIjlEEPS9_SG_NS0_5tupleIJPjSI_NS0_16reverse_iteratorISI_EEEEENSH_IJSG_SG_SG_EEES9_SI_JZNS1_25segmented_radix_sort_implINS0_14default_configELb1EPKdPdPKlPlN2at6native12_GLOBAL__N_18offset_tEEE10hipError_tPvRmT1_PNSt15iterator_traitsIS12_E10value_typeET2_T3_PNS13_IS18_E10value_typeET4_jRbjT5_S1E_jjP12ihipStream_tbEUljE_ZNSN_ISO_Lb1ESQ_SR_ST_SU_SY_EESZ_S10_S11_S12_S16_S17_S18_S1B_S1C_jS1D_jS1E_S1E_jjS1G_bEUljE0_EEESZ_S10_S11_S18_S1C_S1E_T6_T7_T9_mT8_S1G_bDpT10_ENKUlT_T0_E_clISt17integral_constantIbLb1EES1T_IbLb0EEEEDaS1P_S1Q_EUlS1P_E_NS1_11comp_targetILNS1_3genE8ELNS1_11target_archE1030ELNS1_3gpuE2ELNS1_3repE0EEENS1_30default_config_static_selectorELNS0_4arch9wavefront6targetE0EEEvS12_,@function
_ZN7rocprim17ROCPRIM_400000_NS6detail17trampoline_kernelINS0_13select_configILj256ELj13ELNS0_17block_load_methodE3ELS4_3ELS4_3ELNS0_20block_scan_algorithmE0ELj4294967295EEENS1_25partition_config_selectorILNS1_17partition_subalgoE4EjNS0_10empty_typeEbEEZZNS1_14partition_implILS8_4ELb0ES6_15HIP_vector_typeIjLj2EENS0_17counting_iteratorIjlEEPS9_SG_NS0_5tupleIJPjSI_NS0_16reverse_iteratorISI_EEEEENSH_IJSG_SG_SG_EEES9_SI_JZNS1_25segmented_radix_sort_implINS0_14default_configELb1EPKdPdPKlPlN2at6native12_GLOBAL__N_18offset_tEEE10hipError_tPvRmT1_PNSt15iterator_traitsIS12_E10value_typeET2_T3_PNS13_IS18_E10value_typeET4_jRbjT5_S1E_jjP12ihipStream_tbEUljE_ZNSN_ISO_Lb1ESQ_SR_ST_SU_SY_EESZ_S10_S11_S12_S16_S17_S18_S1B_S1C_jS1D_jS1E_S1E_jjS1G_bEUljE0_EEESZ_S10_S11_S18_S1C_S1E_T6_T7_T9_mT8_S1G_bDpT10_ENKUlT_T0_E_clISt17integral_constantIbLb1EES1T_IbLb0EEEEDaS1P_S1Q_EUlS1P_E_NS1_11comp_targetILNS1_3genE8ELNS1_11target_archE1030ELNS1_3gpuE2ELNS1_3repE0EEENS1_30default_config_static_selectorELNS0_4arch9wavefront6targetE0EEEvS12_: ; @_ZN7rocprim17ROCPRIM_400000_NS6detail17trampoline_kernelINS0_13select_configILj256ELj13ELNS0_17block_load_methodE3ELS4_3ELS4_3ELNS0_20block_scan_algorithmE0ELj4294967295EEENS1_25partition_config_selectorILNS1_17partition_subalgoE4EjNS0_10empty_typeEbEEZZNS1_14partition_implILS8_4ELb0ES6_15HIP_vector_typeIjLj2EENS0_17counting_iteratorIjlEEPS9_SG_NS0_5tupleIJPjSI_NS0_16reverse_iteratorISI_EEEEENSH_IJSG_SG_SG_EEES9_SI_JZNS1_25segmented_radix_sort_implINS0_14default_configELb1EPKdPdPKlPlN2at6native12_GLOBAL__N_18offset_tEEE10hipError_tPvRmT1_PNSt15iterator_traitsIS12_E10value_typeET2_T3_PNS13_IS18_E10value_typeET4_jRbjT5_S1E_jjP12ihipStream_tbEUljE_ZNSN_ISO_Lb1ESQ_SR_ST_SU_SY_EESZ_S10_S11_S12_S16_S17_S18_S1B_S1C_jS1D_jS1E_S1E_jjS1G_bEUljE0_EEESZ_S10_S11_S18_S1C_S1E_T6_T7_T9_mT8_S1G_bDpT10_ENKUlT_T0_E_clISt17integral_constantIbLb1EES1T_IbLb0EEEEDaS1P_S1Q_EUlS1P_E_NS1_11comp_targetILNS1_3genE8ELNS1_11target_archE1030ELNS1_3gpuE2ELNS1_3repE0EEENS1_30default_config_static_selectorELNS0_4arch9wavefront6targetE0EEEvS12_
; %bb.0:
	s_endpgm
	.section	.rodata,"a",@progbits
	.p2align	6, 0x0
	.amdhsa_kernel _ZN7rocprim17ROCPRIM_400000_NS6detail17trampoline_kernelINS0_13select_configILj256ELj13ELNS0_17block_load_methodE3ELS4_3ELS4_3ELNS0_20block_scan_algorithmE0ELj4294967295EEENS1_25partition_config_selectorILNS1_17partition_subalgoE4EjNS0_10empty_typeEbEEZZNS1_14partition_implILS8_4ELb0ES6_15HIP_vector_typeIjLj2EENS0_17counting_iteratorIjlEEPS9_SG_NS0_5tupleIJPjSI_NS0_16reverse_iteratorISI_EEEEENSH_IJSG_SG_SG_EEES9_SI_JZNS1_25segmented_radix_sort_implINS0_14default_configELb1EPKdPdPKlPlN2at6native12_GLOBAL__N_18offset_tEEE10hipError_tPvRmT1_PNSt15iterator_traitsIS12_E10value_typeET2_T3_PNS13_IS18_E10value_typeET4_jRbjT5_S1E_jjP12ihipStream_tbEUljE_ZNSN_ISO_Lb1ESQ_SR_ST_SU_SY_EESZ_S10_S11_S12_S16_S17_S18_S1B_S1C_jS1D_jS1E_S1E_jjS1G_bEUljE0_EEESZ_S10_S11_S18_S1C_S1E_T6_T7_T9_mT8_S1G_bDpT10_ENKUlT_T0_E_clISt17integral_constantIbLb1EES1T_IbLb0EEEEDaS1P_S1Q_EUlS1P_E_NS1_11comp_targetILNS1_3genE8ELNS1_11target_archE1030ELNS1_3gpuE2ELNS1_3repE0EEENS1_30default_config_static_selectorELNS0_4arch9wavefront6targetE0EEEvS12_
		.amdhsa_group_segment_fixed_size 0
		.amdhsa_private_segment_fixed_size 0
		.amdhsa_kernarg_size 176
		.amdhsa_user_sgpr_count 6
		.amdhsa_user_sgpr_private_segment_buffer 1
		.amdhsa_user_sgpr_dispatch_ptr 0
		.amdhsa_user_sgpr_queue_ptr 0
		.amdhsa_user_sgpr_kernarg_segment_ptr 1
		.amdhsa_user_sgpr_dispatch_id 0
		.amdhsa_user_sgpr_flat_scratch_init 0
		.amdhsa_user_sgpr_private_segment_size 0
		.amdhsa_wavefront_size32 1
		.amdhsa_uses_dynamic_stack 0
		.amdhsa_system_sgpr_private_segment_wavefront_offset 0
		.amdhsa_system_sgpr_workgroup_id_x 1
		.amdhsa_system_sgpr_workgroup_id_y 0
		.amdhsa_system_sgpr_workgroup_id_z 0
		.amdhsa_system_sgpr_workgroup_info 0
		.amdhsa_system_vgpr_workitem_id 0
		.amdhsa_next_free_vgpr 1
		.amdhsa_next_free_sgpr 1
		.amdhsa_reserve_vcc 0
		.amdhsa_reserve_flat_scratch 0
		.amdhsa_float_round_mode_32 0
		.amdhsa_float_round_mode_16_64 0
		.amdhsa_float_denorm_mode_32 3
		.amdhsa_float_denorm_mode_16_64 3
		.amdhsa_dx10_clamp 1
		.amdhsa_ieee_mode 1
		.amdhsa_fp16_overflow 0
		.amdhsa_workgroup_processor_mode 1
		.amdhsa_memory_ordered 1
		.amdhsa_forward_progress 1
		.amdhsa_shared_vgpr_count 0
		.amdhsa_exception_fp_ieee_invalid_op 0
		.amdhsa_exception_fp_denorm_src 0
		.amdhsa_exception_fp_ieee_div_zero 0
		.amdhsa_exception_fp_ieee_overflow 0
		.amdhsa_exception_fp_ieee_underflow 0
		.amdhsa_exception_fp_ieee_inexact 0
		.amdhsa_exception_int_div_zero 0
	.end_amdhsa_kernel
	.section	.text._ZN7rocprim17ROCPRIM_400000_NS6detail17trampoline_kernelINS0_13select_configILj256ELj13ELNS0_17block_load_methodE3ELS4_3ELS4_3ELNS0_20block_scan_algorithmE0ELj4294967295EEENS1_25partition_config_selectorILNS1_17partition_subalgoE4EjNS0_10empty_typeEbEEZZNS1_14partition_implILS8_4ELb0ES6_15HIP_vector_typeIjLj2EENS0_17counting_iteratorIjlEEPS9_SG_NS0_5tupleIJPjSI_NS0_16reverse_iteratorISI_EEEEENSH_IJSG_SG_SG_EEES9_SI_JZNS1_25segmented_radix_sort_implINS0_14default_configELb1EPKdPdPKlPlN2at6native12_GLOBAL__N_18offset_tEEE10hipError_tPvRmT1_PNSt15iterator_traitsIS12_E10value_typeET2_T3_PNS13_IS18_E10value_typeET4_jRbjT5_S1E_jjP12ihipStream_tbEUljE_ZNSN_ISO_Lb1ESQ_SR_ST_SU_SY_EESZ_S10_S11_S12_S16_S17_S18_S1B_S1C_jS1D_jS1E_S1E_jjS1G_bEUljE0_EEESZ_S10_S11_S18_S1C_S1E_T6_T7_T9_mT8_S1G_bDpT10_ENKUlT_T0_E_clISt17integral_constantIbLb1EES1T_IbLb0EEEEDaS1P_S1Q_EUlS1P_E_NS1_11comp_targetILNS1_3genE8ELNS1_11target_archE1030ELNS1_3gpuE2ELNS1_3repE0EEENS1_30default_config_static_selectorELNS0_4arch9wavefront6targetE0EEEvS12_,"axG",@progbits,_ZN7rocprim17ROCPRIM_400000_NS6detail17trampoline_kernelINS0_13select_configILj256ELj13ELNS0_17block_load_methodE3ELS4_3ELS4_3ELNS0_20block_scan_algorithmE0ELj4294967295EEENS1_25partition_config_selectorILNS1_17partition_subalgoE4EjNS0_10empty_typeEbEEZZNS1_14partition_implILS8_4ELb0ES6_15HIP_vector_typeIjLj2EENS0_17counting_iteratorIjlEEPS9_SG_NS0_5tupleIJPjSI_NS0_16reverse_iteratorISI_EEEEENSH_IJSG_SG_SG_EEES9_SI_JZNS1_25segmented_radix_sort_implINS0_14default_configELb1EPKdPdPKlPlN2at6native12_GLOBAL__N_18offset_tEEE10hipError_tPvRmT1_PNSt15iterator_traitsIS12_E10value_typeET2_T3_PNS13_IS18_E10value_typeET4_jRbjT5_S1E_jjP12ihipStream_tbEUljE_ZNSN_ISO_Lb1ESQ_SR_ST_SU_SY_EESZ_S10_S11_S12_S16_S17_S18_S1B_S1C_jS1D_jS1E_S1E_jjS1G_bEUljE0_EEESZ_S10_S11_S18_S1C_S1E_T6_T7_T9_mT8_S1G_bDpT10_ENKUlT_T0_E_clISt17integral_constantIbLb1EES1T_IbLb0EEEEDaS1P_S1Q_EUlS1P_E_NS1_11comp_targetILNS1_3genE8ELNS1_11target_archE1030ELNS1_3gpuE2ELNS1_3repE0EEENS1_30default_config_static_selectorELNS0_4arch9wavefront6targetE0EEEvS12_,comdat
.Lfunc_end1069:
	.size	_ZN7rocprim17ROCPRIM_400000_NS6detail17trampoline_kernelINS0_13select_configILj256ELj13ELNS0_17block_load_methodE3ELS4_3ELS4_3ELNS0_20block_scan_algorithmE0ELj4294967295EEENS1_25partition_config_selectorILNS1_17partition_subalgoE4EjNS0_10empty_typeEbEEZZNS1_14partition_implILS8_4ELb0ES6_15HIP_vector_typeIjLj2EENS0_17counting_iteratorIjlEEPS9_SG_NS0_5tupleIJPjSI_NS0_16reverse_iteratorISI_EEEEENSH_IJSG_SG_SG_EEES9_SI_JZNS1_25segmented_radix_sort_implINS0_14default_configELb1EPKdPdPKlPlN2at6native12_GLOBAL__N_18offset_tEEE10hipError_tPvRmT1_PNSt15iterator_traitsIS12_E10value_typeET2_T3_PNS13_IS18_E10value_typeET4_jRbjT5_S1E_jjP12ihipStream_tbEUljE_ZNSN_ISO_Lb1ESQ_SR_ST_SU_SY_EESZ_S10_S11_S12_S16_S17_S18_S1B_S1C_jS1D_jS1E_S1E_jjS1G_bEUljE0_EEESZ_S10_S11_S18_S1C_S1E_T6_T7_T9_mT8_S1G_bDpT10_ENKUlT_T0_E_clISt17integral_constantIbLb1EES1T_IbLb0EEEEDaS1P_S1Q_EUlS1P_E_NS1_11comp_targetILNS1_3genE8ELNS1_11target_archE1030ELNS1_3gpuE2ELNS1_3repE0EEENS1_30default_config_static_selectorELNS0_4arch9wavefront6targetE0EEEvS12_, .Lfunc_end1069-_ZN7rocprim17ROCPRIM_400000_NS6detail17trampoline_kernelINS0_13select_configILj256ELj13ELNS0_17block_load_methodE3ELS4_3ELS4_3ELNS0_20block_scan_algorithmE0ELj4294967295EEENS1_25partition_config_selectorILNS1_17partition_subalgoE4EjNS0_10empty_typeEbEEZZNS1_14partition_implILS8_4ELb0ES6_15HIP_vector_typeIjLj2EENS0_17counting_iteratorIjlEEPS9_SG_NS0_5tupleIJPjSI_NS0_16reverse_iteratorISI_EEEEENSH_IJSG_SG_SG_EEES9_SI_JZNS1_25segmented_radix_sort_implINS0_14default_configELb1EPKdPdPKlPlN2at6native12_GLOBAL__N_18offset_tEEE10hipError_tPvRmT1_PNSt15iterator_traitsIS12_E10value_typeET2_T3_PNS13_IS18_E10value_typeET4_jRbjT5_S1E_jjP12ihipStream_tbEUljE_ZNSN_ISO_Lb1ESQ_SR_ST_SU_SY_EESZ_S10_S11_S12_S16_S17_S18_S1B_S1C_jS1D_jS1E_S1E_jjS1G_bEUljE0_EEESZ_S10_S11_S18_S1C_S1E_T6_T7_T9_mT8_S1G_bDpT10_ENKUlT_T0_E_clISt17integral_constantIbLb1EES1T_IbLb0EEEEDaS1P_S1Q_EUlS1P_E_NS1_11comp_targetILNS1_3genE8ELNS1_11target_archE1030ELNS1_3gpuE2ELNS1_3repE0EEENS1_30default_config_static_selectorELNS0_4arch9wavefront6targetE0EEEvS12_
                                        ; -- End function
	.set _ZN7rocprim17ROCPRIM_400000_NS6detail17trampoline_kernelINS0_13select_configILj256ELj13ELNS0_17block_load_methodE3ELS4_3ELS4_3ELNS0_20block_scan_algorithmE0ELj4294967295EEENS1_25partition_config_selectorILNS1_17partition_subalgoE4EjNS0_10empty_typeEbEEZZNS1_14partition_implILS8_4ELb0ES6_15HIP_vector_typeIjLj2EENS0_17counting_iteratorIjlEEPS9_SG_NS0_5tupleIJPjSI_NS0_16reverse_iteratorISI_EEEEENSH_IJSG_SG_SG_EEES9_SI_JZNS1_25segmented_radix_sort_implINS0_14default_configELb1EPKdPdPKlPlN2at6native12_GLOBAL__N_18offset_tEEE10hipError_tPvRmT1_PNSt15iterator_traitsIS12_E10value_typeET2_T3_PNS13_IS18_E10value_typeET4_jRbjT5_S1E_jjP12ihipStream_tbEUljE_ZNSN_ISO_Lb1ESQ_SR_ST_SU_SY_EESZ_S10_S11_S12_S16_S17_S18_S1B_S1C_jS1D_jS1E_S1E_jjS1G_bEUljE0_EEESZ_S10_S11_S18_S1C_S1E_T6_T7_T9_mT8_S1G_bDpT10_ENKUlT_T0_E_clISt17integral_constantIbLb1EES1T_IbLb0EEEEDaS1P_S1Q_EUlS1P_E_NS1_11comp_targetILNS1_3genE8ELNS1_11target_archE1030ELNS1_3gpuE2ELNS1_3repE0EEENS1_30default_config_static_selectorELNS0_4arch9wavefront6targetE0EEEvS12_.num_vgpr, 0
	.set _ZN7rocprim17ROCPRIM_400000_NS6detail17trampoline_kernelINS0_13select_configILj256ELj13ELNS0_17block_load_methodE3ELS4_3ELS4_3ELNS0_20block_scan_algorithmE0ELj4294967295EEENS1_25partition_config_selectorILNS1_17partition_subalgoE4EjNS0_10empty_typeEbEEZZNS1_14partition_implILS8_4ELb0ES6_15HIP_vector_typeIjLj2EENS0_17counting_iteratorIjlEEPS9_SG_NS0_5tupleIJPjSI_NS0_16reverse_iteratorISI_EEEEENSH_IJSG_SG_SG_EEES9_SI_JZNS1_25segmented_radix_sort_implINS0_14default_configELb1EPKdPdPKlPlN2at6native12_GLOBAL__N_18offset_tEEE10hipError_tPvRmT1_PNSt15iterator_traitsIS12_E10value_typeET2_T3_PNS13_IS18_E10value_typeET4_jRbjT5_S1E_jjP12ihipStream_tbEUljE_ZNSN_ISO_Lb1ESQ_SR_ST_SU_SY_EESZ_S10_S11_S12_S16_S17_S18_S1B_S1C_jS1D_jS1E_S1E_jjS1G_bEUljE0_EEESZ_S10_S11_S18_S1C_S1E_T6_T7_T9_mT8_S1G_bDpT10_ENKUlT_T0_E_clISt17integral_constantIbLb1EES1T_IbLb0EEEEDaS1P_S1Q_EUlS1P_E_NS1_11comp_targetILNS1_3genE8ELNS1_11target_archE1030ELNS1_3gpuE2ELNS1_3repE0EEENS1_30default_config_static_selectorELNS0_4arch9wavefront6targetE0EEEvS12_.num_agpr, 0
	.set _ZN7rocprim17ROCPRIM_400000_NS6detail17trampoline_kernelINS0_13select_configILj256ELj13ELNS0_17block_load_methodE3ELS4_3ELS4_3ELNS0_20block_scan_algorithmE0ELj4294967295EEENS1_25partition_config_selectorILNS1_17partition_subalgoE4EjNS0_10empty_typeEbEEZZNS1_14partition_implILS8_4ELb0ES6_15HIP_vector_typeIjLj2EENS0_17counting_iteratorIjlEEPS9_SG_NS0_5tupleIJPjSI_NS0_16reverse_iteratorISI_EEEEENSH_IJSG_SG_SG_EEES9_SI_JZNS1_25segmented_radix_sort_implINS0_14default_configELb1EPKdPdPKlPlN2at6native12_GLOBAL__N_18offset_tEEE10hipError_tPvRmT1_PNSt15iterator_traitsIS12_E10value_typeET2_T3_PNS13_IS18_E10value_typeET4_jRbjT5_S1E_jjP12ihipStream_tbEUljE_ZNSN_ISO_Lb1ESQ_SR_ST_SU_SY_EESZ_S10_S11_S12_S16_S17_S18_S1B_S1C_jS1D_jS1E_S1E_jjS1G_bEUljE0_EEESZ_S10_S11_S18_S1C_S1E_T6_T7_T9_mT8_S1G_bDpT10_ENKUlT_T0_E_clISt17integral_constantIbLb1EES1T_IbLb0EEEEDaS1P_S1Q_EUlS1P_E_NS1_11comp_targetILNS1_3genE8ELNS1_11target_archE1030ELNS1_3gpuE2ELNS1_3repE0EEENS1_30default_config_static_selectorELNS0_4arch9wavefront6targetE0EEEvS12_.numbered_sgpr, 0
	.set _ZN7rocprim17ROCPRIM_400000_NS6detail17trampoline_kernelINS0_13select_configILj256ELj13ELNS0_17block_load_methodE3ELS4_3ELS4_3ELNS0_20block_scan_algorithmE0ELj4294967295EEENS1_25partition_config_selectorILNS1_17partition_subalgoE4EjNS0_10empty_typeEbEEZZNS1_14partition_implILS8_4ELb0ES6_15HIP_vector_typeIjLj2EENS0_17counting_iteratorIjlEEPS9_SG_NS0_5tupleIJPjSI_NS0_16reverse_iteratorISI_EEEEENSH_IJSG_SG_SG_EEES9_SI_JZNS1_25segmented_radix_sort_implINS0_14default_configELb1EPKdPdPKlPlN2at6native12_GLOBAL__N_18offset_tEEE10hipError_tPvRmT1_PNSt15iterator_traitsIS12_E10value_typeET2_T3_PNS13_IS18_E10value_typeET4_jRbjT5_S1E_jjP12ihipStream_tbEUljE_ZNSN_ISO_Lb1ESQ_SR_ST_SU_SY_EESZ_S10_S11_S12_S16_S17_S18_S1B_S1C_jS1D_jS1E_S1E_jjS1G_bEUljE0_EEESZ_S10_S11_S18_S1C_S1E_T6_T7_T9_mT8_S1G_bDpT10_ENKUlT_T0_E_clISt17integral_constantIbLb1EES1T_IbLb0EEEEDaS1P_S1Q_EUlS1P_E_NS1_11comp_targetILNS1_3genE8ELNS1_11target_archE1030ELNS1_3gpuE2ELNS1_3repE0EEENS1_30default_config_static_selectorELNS0_4arch9wavefront6targetE0EEEvS12_.num_named_barrier, 0
	.set _ZN7rocprim17ROCPRIM_400000_NS6detail17trampoline_kernelINS0_13select_configILj256ELj13ELNS0_17block_load_methodE3ELS4_3ELS4_3ELNS0_20block_scan_algorithmE0ELj4294967295EEENS1_25partition_config_selectorILNS1_17partition_subalgoE4EjNS0_10empty_typeEbEEZZNS1_14partition_implILS8_4ELb0ES6_15HIP_vector_typeIjLj2EENS0_17counting_iteratorIjlEEPS9_SG_NS0_5tupleIJPjSI_NS0_16reverse_iteratorISI_EEEEENSH_IJSG_SG_SG_EEES9_SI_JZNS1_25segmented_radix_sort_implINS0_14default_configELb1EPKdPdPKlPlN2at6native12_GLOBAL__N_18offset_tEEE10hipError_tPvRmT1_PNSt15iterator_traitsIS12_E10value_typeET2_T3_PNS13_IS18_E10value_typeET4_jRbjT5_S1E_jjP12ihipStream_tbEUljE_ZNSN_ISO_Lb1ESQ_SR_ST_SU_SY_EESZ_S10_S11_S12_S16_S17_S18_S1B_S1C_jS1D_jS1E_S1E_jjS1G_bEUljE0_EEESZ_S10_S11_S18_S1C_S1E_T6_T7_T9_mT8_S1G_bDpT10_ENKUlT_T0_E_clISt17integral_constantIbLb1EES1T_IbLb0EEEEDaS1P_S1Q_EUlS1P_E_NS1_11comp_targetILNS1_3genE8ELNS1_11target_archE1030ELNS1_3gpuE2ELNS1_3repE0EEENS1_30default_config_static_selectorELNS0_4arch9wavefront6targetE0EEEvS12_.private_seg_size, 0
	.set _ZN7rocprim17ROCPRIM_400000_NS6detail17trampoline_kernelINS0_13select_configILj256ELj13ELNS0_17block_load_methodE3ELS4_3ELS4_3ELNS0_20block_scan_algorithmE0ELj4294967295EEENS1_25partition_config_selectorILNS1_17partition_subalgoE4EjNS0_10empty_typeEbEEZZNS1_14partition_implILS8_4ELb0ES6_15HIP_vector_typeIjLj2EENS0_17counting_iteratorIjlEEPS9_SG_NS0_5tupleIJPjSI_NS0_16reverse_iteratorISI_EEEEENSH_IJSG_SG_SG_EEES9_SI_JZNS1_25segmented_radix_sort_implINS0_14default_configELb1EPKdPdPKlPlN2at6native12_GLOBAL__N_18offset_tEEE10hipError_tPvRmT1_PNSt15iterator_traitsIS12_E10value_typeET2_T3_PNS13_IS18_E10value_typeET4_jRbjT5_S1E_jjP12ihipStream_tbEUljE_ZNSN_ISO_Lb1ESQ_SR_ST_SU_SY_EESZ_S10_S11_S12_S16_S17_S18_S1B_S1C_jS1D_jS1E_S1E_jjS1G_bEUljE0_EEESZ_S10_S11_S18_S1C_S1E_T6_T7_T9_mT8_S1G_bDpT10_ENKUlT_T0_E_clISt17integral_constantIbLb1EES1T_IbLb0EEEEDaS1P_S1Q_EUlS1P_E_NS1_11comp_targetILNS1_3genE8ELNS1_11target_archE1030ELNS1_3gpuE2ELNS1_3repE0EEENS1_30default_config_static_selectorELNS0_4arch9wavefront6targetE0EEEvS12_.uses_vcc, 0
	.set _ZN7rocprim17ROCPRIM_400000_NS6detail17trampoline_kernelINS0_13select_configILj256ELj13ELNS0_17block_load_methodE3ELS4_3ELS4_3ELNS0_20block_scan_algorithmE0ELj4294967295EEENS1_25partition_config_selectorILNS1_17partition_subalgoE4EjNS0_10empty_typeEbEEZZNS1_14partition_implILS8_4ELb0ES6_15HIP_vector_typeIjLj2EENS0_17counting_iteratorIjlEEPS9_SG_NS0_5tupleIJPjSI_NS0_16reverse_iteratorISI_EEEEENSH_IJSG_SG_SG_EEES9_SI_JZNS1_25segmented_radix_sort_implINS0_14default_configELb1EPKdPdPKlPlN2at6native12_GLOBAL__N_18offset_tEEE10hipError_tPvRmT1_PNSt15iterator_traitsIS12_E10value_typeET2_T3_PNS13_IS18_E10value_typeET4_jRbjT5_S1E_jjP12ihipStream_tbEUljE_ZNSN_ISO_Lb1ESQ_SR_ST_SU_SY_EESZ_S10_S11_S12_S16_S17_S18_S1B_S1C_jS1D_jS1E_S1E_jjS1G_bEUljE0_EEESZ_S10_S11_S18_S1C_S1E_T6_T7_T9_mT8_S1G_bDpT10_ENKUlT_T0_E_clISt17integral_constantIbLb1EES1T_IbLb0EEEEDaS1P_S1Q_EUlS1P_E_NS1_11comp_targetILNS1_3genE8ELNS1_11target_archE1030ELNS1_3gpuE2ELNS1_3repE0EEENS1_30default_config_static_selectorELNS0_4arch9wavefront6targetE0EEEvS12_.uses_flat_scratch, 0
	.set _ZN7rocprim17ROCPRIM_400000_NS6detail17trampoline_kernelINS0_13select_configILj256ELj13ELNS0_17block_load_methodE3ELS4_3ELS4_3ELNS0_20block_scan_algorithmE0ELj4294967295EEENS1_25partition_config_selectorILNS1_17partition_subalgoE4EjNS0_10empty_typeEbEEZZNS1_14partition_implILS8_4ELb0ES6_15HIP_vector_typeIjLj2EENS0_17counting_iteratorIjlEEPS9_SG_NS0_5tupleIJPjSI_NS0_16reverse_iteratorISI_EEEEENSH_IJSG_SG_SG_EEES9_SI_JZNS1_25segmented_radix_sort_implINS0_14default_configELb1EPKdPdPKlPlN2at6native12_GLOBAL__N_18offset_tEEE10hipError_tPvRmT1_PNSt15iterator_traitsIS12_E10value_typeET2_T3_PNS13_IS18_E10value_typeET4_jRbjT5_S1E_jjP12ihipStream_tbEUljE_ZNSN_ISO_Lb1ESQ_SR_ST_SU_SY_EESZ_S10_S11_S12_S16_S17_S18_S1B_S1C_jS1D_jS1E_S1E_jjS1G_bEUljE0_EEESZ_S10_S11_S18_S1C_S1E_T6_T7_T9_mT8_S1G_bDpT10_ENKUlT_T0_E_clISt17integral_constantIbLb1EES1T_IbLb0EEEEDaS1P_S1Q_EUlS1P_E_NS1_11comp_targetILNS1_3genE8ELNS1_11target_archE1030ELNS1_3gpuE2ELNS1_3repE0EEENS1_30default_config_static_selectorELNS0_4arch9wavefront6targetE0EEEvS12_.has_dyn_sized_stack, 0
	.set _ZN7rocprim17ROCPRIM_400000_NS6detail17trampoline_kernelINS0_13select_configILj256ELj13ELNS0_17block_load_methodE3ELS4_3ELS4_3ELNS0_20block_scan_algorithmE0ELj4294967295EEENS1_25partition_config_selectorILNS1_17partition_subalgoE4EjNS0_10empty_typeEbEEZZNS1_14partition_implILS8_4ELb0ES6_15HIP_vector_typeIjLj2EENS0_17counting_iteratorIjlEEPS9_SG_NS0_5tupleIJPjSI_NS0_16reverse_iteratorISI_EEEEENSH_IJSG_SG_SG_EEES9_SI_JZNS1_25segmented_radix_sort_implINS0_14default_configELb1EPKdPdPKlPlN2at6native12_GLOBAL__N_18offset_tEEE10hipError_tPvRmT1_PNSt15iterator_traitsIS12_E10value_typeET2_T3_PNS13_IS18_E10value_typeET4_jRbjT5_S1E_jjP12ihipStream_tbEUljE_ZNSN_ISO_Lb1ESQ_SR_ST_SU_SY_EESZ_S10_S11_S12_S16_S17_S18_S1B_S1C_jS1D_jS1E_S1E_jjS1G_bEUljE0_EEESZ_S10_S11_S18_S1C_S1E_T6_T7_T9_mT8_S1G_bDpT10_ENKUlT_T0_E_clISt17integral_constantIbLb1EES1T_IbLb0EEEEDaS1P_S1Q_EUlS1P_E_NS1_11comp_targetILNS1_3genE8ELNS1_11target_archE1030ELNS1_3gpuE2ELNS1_3repE0EEENS1_30default_config_static_selectorELNS0_4arch9wavefront6targetE0EEEvS12_.has_recursion, 0
	.set _ZN7rocprim17ROCPRIM_400000_NS6detail17trampoline_kernelINS0_13select_configILj256ELj13ELNS0_17block_load_methodE3ELS4_3ELS4_3ELNS0_20block_scan_algorithmE0ELj4294967295EEENS1_25partition_config_selectorILNS1_17partition_subalgoE4EjNS0_10empty_typeEbEEZZNS1_14partition_implILS8_4ELb0ES6_15HIP_vector_typeIjLj2EENS0_17counting_iteratorIjlEEPS9_SG_NS0_5tupleIJPjSI_NS0_16reverse_iteratorISI_EEEEENSH_IJSG_SG_SG_EEES9_SI_JZNS1_25segmented_radix_sort_implINS0_14default_configELb1EPKdPdPKlPlN2at6native12_GLOBAL__N_18offset_tEEE10hipError_tPvRmT1_PNSt15iterator_traitsIS12_E10value_typeET2_T3_PNS13_IS18_E10value_typeET4_jRbjT5_S1E_jjP12ihipStream_tbEUljE_ZNSN_ISO_Lb1ESQ_SR_ST_SU_SY_EESZ_S10_S11_S12_S16_S17_S18_S1B_S1C_jS1D_jS1E_S1E_jjS1G_bEUljE0_EEESZ_S10_S11_S18_S1C_S1E_T6_T7_T9_mT8_S1G_bDpT10_ENKUlT_T0_E_clISt17integral_constantIbLb1EES1T_IbLb0EEEEDaS1P_S1Q_EUlS1P_E_NS1_11comp_targetILNS1_3genE8ELNS1_11target_archE1030ELNS1_3gpuE2ELNS1_3repE0EEENS1_30default_config_static_selectorELNS0_4arch9wavefront6targetE0EEEvS12_.has_indirect_call, 0
	.section	.AMDGPU.csdata,"",@progbits
; Kernel info:
; codeLenInByte = 4
; TotalNumSgprs: 0
; NumVgprs: 0
; ScratchSize: 0
; MemoryBound: 0
; FloatMode: 240
; IeeeMode: 1
; LDSByteSize: 0 bytes/workgroup (compile time only)
; SGPRBlocks: 0
; VGPRBlocks: 0
; NumSGPRsForWavesPerEU: 1
; NumVGPRsForWavesPerEU: 1
; Occupancy: 16
; WaveLimiterHint : 0
; COMPUTE_PGM_RSRC2:SCRATCH_EN: 0
; COMPUTE_PGM_RSRC2:USER_SGPR: 6
; COMPUTE_PGM_RSRC2:TRAP_HANDLER: 0
; COMPUTE_PGM_RSRC2:TGID_X_EN: 1
; COMPUTE_PGM_RSRC2:TGID_Y_EN: 0
; COMPUTE_PGM_RSRC2:TGID_Z_EN: 0
; COMPUTE_PGM_RSRC2:TIDIG_COMP_CNT: 0
	.section	.text._ZN7rocprim17ROCPRIM_400000_NS6detail17trampoline_kernelINS0_13select_configILj256ELj13ELNS0_17block_load_methodE3ELS4_3ELS4_3ELNS0_20block_scan_algorithmE0ELj4294967295EEENS1_25partition_config_selectorILNS1_17partition_subalgoE4EjNS0_10empty_typeEbEEZZNS1_14partition_implILS8_4ELb0ES6_15HIP_vector_typeIjLj2EENS0_17counting_iteratorIjlEEPS9_SG_NS0_5tupleIJPjSI_NS0_16reverse_iteratorISI_EEEEENSH_IJSG_SG_SG_EEES9_SI_JZNS1_25segmented_radix_sort_implINS0_14default_configELb1EPKdPdPKlPlN2at6native12_GLOBAL__N_18offset_tEEE10hipError_tPvRmT1_PNSt15iterator_traitsIS12_E10value_typeET2_T3_PNS13_IS18_E10value_typeET4_jRbjT5_S1E_jjP12ihipStream_tbEUljE_ZNSN_ISO_Lb1ESQ_SR_ST_SU_SY_EESZ_S10_S11_S12_S16_S17_S18_S1B_S1C_jS1D_jS1E_S1E_jjS1G_bEUljE0_EEESZ_S10_S11_S18_S1C_S1E_T6_T7_T9_mT8_S1G_bDpT10_ENKUlT_T0_E_clISt17integral_constantIbLb0EES1T_IbLb1EEEEDaS1P_S1Q_EUlS1P_E_NS1_11comp_targetILNS1_3genE0ELNS1_11target_archE4294967295ELNS1_3gpuE0ELNS1_3repE0EEENS1_30default_config_static_selectorELNS0_4arch9wavefront6targetE0EEEvS12_,"axG",@progbits,_ZN7rocprim17ROCPRIM_400000_NS6detail17trampoline_kernelINS0_13select_configILj256ELj13ELNS0_17block_load_methodE3ELS4_3ELS4_3ELNS0_20block_scan_algorithmE0ELj4294967295EEENS1_25partition_config_selectorILNS1_17partition_subalgoE4EjNS0_10empty_typeEbEEZZNS1_14partition_implILS8_4ELb0ES6_15HIP_vector_typeIjLj2EENS0_17counting_iteratorIjlEEPS9_SG_NS0_5tupleIJPjSI_NS0_16reverse_iteratorISI_EEEEENSH_IJSG_SG_SG_EEES9_SI_JZNS1_25segmented_radix_sort_implINS0_14default_configELb1EPKdPdPKlPlN2at6native12_GLOBAL__N_18offset_tEEE10hipError_tPvRmT1_PNSt15iterator_traitsIS12_E10value_typeET2_T3_PNS13_IS18_E10value_typeET4_jRbjT5_S1E_jjP12ihipStream_tbEUljE_ZNSN_ISO_Lb1ESQ_SR_ST_SU_SY_EESZ_S10_S11_S12_S16_S17_S18_S1B_S1C_jS1D_jS1E_S1E_jjS1G_bEUljE0_EEESZ_S10_S11_S18_S1C_S1E_T6_T7_T9_mT8_S1G_bDpT10_ENKUlT_T0_E_clISt17integral_constantIbLb0EES1T_IbLb1EEEEDaS1P_S1Q_EUlS1P_E_NS1_11comp_targetILNS1_3genE0ELNS1_11target_archE4294967295ELNS1_3gpuE0ELNS1_3repE0EEENS1_30default_config_static_selectorELNS0_4arch9wavefront6targetE0EEEvS12_,comdat
	.globl	_ZN7rocprim17ROCPRIM_400000_NS6detail17trampoline_kernelINS0_13select_configILj256ELj13ELNS0_17block_load_methodE3ELS4_3ELS4_3ELNS0_20block_scan_algorithmE0ELj4294967295EEENS1_25partition_config_selectorILNS1_17partition_subalgoE4EjNS0_10empty_typeEbEEZZNS1_14partition_implILS8_4ELb0ES6_15HIP_vector_typeIjLj2EENS0_17counting_iteratorIjlEEPS9_SG_NS0_5tupleIJPjSI_NS0_16reverse_iteratorISI_EEEEENSH_IJSG_SG_SG_EEES9_SI_JZNS1_25segmented_radix_sort_implINS0_14default_configELb1EPKdPdPKlPlN2at6native12_GLOBAL__N_18offset_tEEE10hipError_tPvRmT1_PNSt15iterator_traitsIS12_E10value_typeET2_T3_PNS13_IS18_E10value_typeET4_jRbjT5_S1E_jjP12ihipStream_tbEUljE_ZNSN_ISO_Lb1ESQ_SR_ST_SU_SY_EESZ_S10_S11_S12_S16_S17_S18_S1B_S1C_jS1D_jS1E_S1E_jjS1G_bEUljE0_EEESZ_S10_S11_S18_S1C_S1E_T6_T7_T9_mT8_S1G_bDpT10_ENKUlT_T0_E_clISt17integral_constantIbLb0EES1T_IbLb1EEEEDaS1P_S1Q_EUlS1P_E_NS1_11comp_targetILNS1_3genE0ELNS1_11target_archE4294967295ELNS1_3gpuE0ELNS1_3repE0EEENS1_30default_config_static_selectorELNS0_4arch9wavefront6targetE0EEEvS12_ ; -- Begin function _ZN7rocprim17ROCPRIM_400000_NS6detail17trampoline_kernelINS0_13select_configILj256ELj13ELNS0_17block_load_methodE3ELS4_3ELS4_3ELNS0_20block_scan_algorithmE0ELj4294967295EEENS1_25partition_config_selectorILNS1_17partition_subalgoE4EjNS0_10empty_typeEbEEZZNS1_14partition_implILS8_4ELb0ES6_15HIP_vector_typeIjLj2EENS0_17counting_iteratorIjlEEPS9_SG_NS0_5tupleIJPjSI_NS0_16reverse_iteratorISI_EEEEENSH_IJSG_SG_SG_EEES9_SI_JZNS1_25segmented_radix_sort_implINS0_14default_configELb1EPKdPdPKlPlN2at6native12_GLOBAL__N_18offset_tEEE10hipError_tPvRmT1_PNSt15iterator_traitsIS12_E10value_typeET2_T3_PNS13_IS18_E10value_typeET4_jRbjT5_S1E_jjP12ihipStream_tbEUljE_ZNSN_ISO_Lb1ESQ_SR_ST_SU_SY_EESZ_S10_S11_S12_S16_S17_S18_S1B_S1C_jS1D_jS1E_S1E_jjS1G_bEUljE0_EEESZ_S10_S11_S18_S1C_S1E_T6_T7_T9_mT8_S1G_bDpT10_ENKUlT_T0_E_clISt17integral_constantIbLb0EES1T_IbLb1EEEEDaS1P_S1Q_EUlS1P_E_NS1_11comp_targetILNS1_3genE0ELNS1_11target_archE4294967295ELNS1_3gpuE0ELNS1_3repE0EEENS1_30default_config_static_selectorELNS0_4arch9wavefront6targetE0EEEvS12_
	.p2align	8
	.type	_ZN7rocprim17ROCPRIM_400000_NS6detail17trampoline_kernelINS0_13select_configILj256ELj13ELNS0_17block_load_methodE3ELS4_3ELS4_3ELNS0_20block_scan_algorithmE0ELj4294967295EEENS1_25partition_config_selectorILNS1_17partition_subalgoE4EjNS0_10empty_typeEbEEZZNS1_14partition_implILS8_4ELb0ES6_15HIP_vector_typeIjLj2EENS0_17counting_iteratorIjlEEPS9_SG_NS0_5tupleIJPjSI_NS0_16reverse_iteratorISI_EEEEENSH_IJSG_SG_SG_EEES9_SI_JZNS1_25segmented_radix_sort_implINS0_14default_configELb1EPKdPdPKlPlN2at6native12_GLOBAL__N_18offset_tEEE10hipError_tPvRmT1_PNSt15iterator_traitsIS12_E10value_typeET2_T3_PNS13_IS18_E10value_typeET4_jRbjT5_S1E_jjP12ihipStream_tbEUljE_ZNSN_ISO_Lb1ESQ_SR_ST_SU_SY_EESZ_S10_S11_S12_S16_S17_S18_S1B_S1C_jS1D_jS1E_S1E_jjS1G_bEUljE0_EEESZ_S10_S11_S18_S1C_S1E_T6_T7_T9_mT8_S1G_bDpT10_ENKUlT_T0_E_clISt17integral_constantIbLb0EES1T_IbLb1EEEEDaS1P_S1Q_EUlS1P_E_NS1_11comp_targetILNS1_3genE0ELNS1_11target_archE4294967295ELNS1_3gpuE0ELNS1_3repE0EEENS1_30default_config_static_selectorELNS0_4arch9wavefront6targetE0EEEvS12_,@function
_ZN7rocprim17ROCPRIM_400000_NS6detail17trampoline_kernelINS0_13select_configILj256ELj13ELNS0_17block_load_methodE3ELS4_3ELS4_3ELNS0_20block_scan_algorithmE0ELj4294967295EEENS1_25partition_config_selectorILNS1_17partition_subalgoE4EjNS0_10empty_typeEbEEZZNS1_14partition_implILS8_4ELb0ES6_15HIP_vector_typeIjLj2EENS0_17counting_iteratorIjlEEPS9_SG_NS0_5tupleIJPjSI_NS0_16reverse_iteratorISI_EEEEENSH_IJSG_SG_SG_EEES9_SI_JZNS1_25segmented_radix_sort_implINS0_14default_configELb1EPKdPdPKlPlN2at6native12_GLOBAL__N_18offset_tEEE10hipError_tPvRmT1_PNSt15iterator_traitsIS12_E10value_typeET2_T3_PNS13_IS18_E10value_typeET4_jRbjT5_S1E_jjP12ihipStream_tbEUljE_ZNSN_ISO_Lb1ESQ_SR_ST_SU_SY_EESZ_S10_S11_S12_S16_S17_S18_S1B_S1C_jS1D_jS1E_S1E_jjS1G_bEUljE0_EEESZ_S10_S11_S18_S1C_S1E_T6_T7_T9_mT8_S1G_bDpT10_ENKUlT_T0_E_clISt17integral_constantIbLb0EES1T_IbLb1EEEEDaS1P_S1Q_EUlS1P_E_NS1_11comp_targetILNS1_3genE0ELNS1_11target_archE4294967295ELNS1_3gpuE0ELNS1_3repE0EEENS1_30default_config_static_selectorELNS0_4arch9wavefront6targetE0EEEvS12_: ; @_ZN7rocprim17ROCPRIM_400000_NS6detail17trampoline_kernelINS0_13select_configILj256ELj13ELNS0_17block_load_methodE3ELS4_3ELS4_3ELNS0_20block_scan_algorithmE0ELj4294967295EEENS1_25partition_config_selectorILNS1_17partition_subalgoE4EjNS0_10empty_typeEbEEZZNS1_14partition_implILS8_4ELb0ES6_15HIP_vector_typeIjLj2EENS0_17counting_iteratorIjlEEPS9_SG_NS0_5tupleIJPjSI_NS0_16reverse_iteratorISI_EEEEENSH_IJSG_SG_SG_EEES9_SI_JZNS1_25segmented_radix_sort_implINS0_14default_configELb1EPKdPdPKlPlN2at6native12_GLOBAL__N_18offset_tEEE10hipError_tPvRmT1_PNSt15iterator_traitsIS12_E10value_typeET2_T3_PNS13_IS18_E10value_typeET4_jRbjT5_S1E_jjP12ihipStream_tbEUljE_ZNSN_ISO_Lb1ESQ_SR_ST_SU_SY_EESZ_S10_S11_S12_S16_S17_S18_S1B_S1C_jS1D_jS1E_S1E_jjS1G_bEUljE0_EEESZ_S10_S11_S18_S1C_S1E_T6_T7_T9_mT8_S1G_bDpT10_ENKUlT_T0_E_clISt17integral_constantIbLb0EES1T_IbLb1EEEEDaS1P_S1Q_EUlS1P_E_NS1_11comp_targetILNS1_3genE0ELNS1_11target_archE4294967295ELNS1_3gpuE0ELNS1_3repE0EEENS1_30default_config_static_selectorELNS0_4arch9wavefront6targetE0EEEvS12_
; %bb.0:
	.section	.rodata,"a",@progbits
	.p2align	6, 0x0
	.amdhsa_kernel _ZN7rocprim17ROCPRIM_400000_NS6detail17trampoline_kernelINS0_13select_configILj256ELj13ELNS0_17block_load_methodE3ELS4_3ELS4_3ELNS0_20block_scan_algorithmE0ELj4294967295EEENS1_25partition_config_selectorILNS1_17partition_subalgoE4EjNS0_10empty_typeEbEEZZNS1_14partition_implILS8_4ELb0ES6_15HIP_vector_typeIjLj2EENS0_17counting_iteratorIjlEEPS9_SG_NS0_5tupleIJPjSI_NS0_16reverse_iteratorISI_EEEEENSH_IJSG_SG_SG_EEES9_SI_JZNS1_25segmented_radix_sort_implINS0_14default_configELb1EPKdPdPKlPlN2at6native12_GLOBAL__N_18offset_tEEE10hipError_tPvRmT1_PNSt15iterator_traitsIS12_E10value_typeET2_T3_PNS13_IS18_E10value_typeET4_jRbjT5_S1E_jjP12ihipStream_tbEUljE_ZNSN_ISO_Lb1ESQ_SR_ST_SU_SY_EESZ_S10_S11_S12_S16_S17_S18_S1B_S1C_jS1D_jS1E_S1E_jjS1G_bEUljE0_EEESZ_S10_S11_S18_S1C_S1E_T6_T7_T9_mT8_S1G_bDpT10_ENKUlT_T0_E_clISt17integral_constantIbLb0EES1T_IbLb1EEEEDaS1P_S1Q_EUlS1P_E_NS1_11comp_targetILNS1_3genE0ELNS1_11target_archE4294967295ELNS1_3gpuE0ELNS1_3repE0EEENS1_30default_config_static_selectorELNS0_4arch9wavefront6targetE0EEEvS12_
		.amdhsa_group_segment_fixed_size 0
		.amdhsa_private_segment_fixed_size 0
		.amdhsa_kernarg_size 184
		.amdhsa_user_sgpr_count 6
		.amdhsa_user_sgpr_private_segment_buffer 1
		.amdhsa_user_sgpr_dispatch_ptr 0
		.amdhsa_user_sgpr_queue_ptr 0
		.amdhsa_user_sgpr_kernarg_segment_ptr 1
		.amdhsa_user_sgpr_dispatch_id 0
		.amdhsa_user_sgpr_flat_scratch_init 0
		.amdhsa_user_sgpr_private_segment_size 0
		.amdhsa_wavefront_size32 1
		.amdhsa_uses_dynamic_stack 0
		.amdhsa_system_sgpr_private_segment_wavefront_offset 0
		.amdhsa_system_sgpr_workgroup_id_x 1
		.amdhsa_system_sgpr_workgroup_id_y 0
		.amdhsa_system_sgpr_workgroup_id_z 0
		.amdhsa_system_sgpr_workgroup_info 0
		.amdhsa_system_vgpr_workitem_id 0
		.amdhsa_next_free_vgpr 1
		.amdhsa_next_free_sgpr 1
		.amdhsa_reserve_vcc 0
		.amdhsa_reserve_flat_scratch 0
		.amdhsa_float_round_mode_32 0
		.amdhsa_float_round_mode_16_64 0
		.amdhsa_float_denorm_mode_32 3
		.amdhsa_float_denorm_mode_16_64 3
		.amdhsa_dx10_clamp 1
		.amdhsa_ieee_mode 1
		.amdhsa_fp16_overflow 0
		.amdhsa_workgroup_processor_mode 1
		.amdhsa_memory_ordered 1
		.amdhsa_forward_progress 1
		.amdhsa_shared_vgpr_count 0
		.amdhsa_exception_fp_ieee_invalid_op 0
		.amdhsa_exception_fp_denorm_src 0
		.amdhsa_exception_fp_ieee_div_zero 0
		.amdhsa_exception_fp_ieee_overflow 0
		.amdhsa_exception_fp_ieee_underflow 0
		.amdhsa_exception_fp_ieee_inexact 0
		.amdhsa_exception_int_div_zero 0
	.end_amdhsa_kernel
	.section	.text._ZN7rocprim17ROCPRIM_400000_NS6detail17trampoline_kernelINS0_13select_configILj256ELj13ELNS0_17block_load_methodE3ELS4_3ELS4_3ELNS0_20block_scan_algorithmE0ELj4294967295EEENS1_25partition_config_selectorILNS1_17partition_subalgoE4EjNS0_10empty_typeEbEEZZNS1_14partition_implILS8_4ELb0ES6_15HIP_vector_typeIjLj2EENS0_17counting_iteratorIjlEEPS9_SG_NS0_5tupleIJPjSI_NS0_16reverse_iteratorISI_EEEEENSH_IJSG_SG_SG_EEES9_SI_JZNS1_25segmented_radix_sort_implINS0_14default_configELb1EPKdPdPKlPlN2at6native12_GLOBAL__N_18offset_tEEE10hipError_tPvRmT1_PNSt15iterator_traitsIS12_E10value_typeET2_T3_PNS13_IS18_E10value_typeET4_jRbjT5_S1E_jjP12ihipStream_tbEUljE_ZNSN_ISO_Lb1ESQ_SR_ST_SU_SY_EESZ_S10_S11_S12_S16_S17_S18_S1B_S1C_jS1D_jS1E_S1E_jjS1G_bEUljE0_EEESZ_S10_S11_S18_S1C_S1E_T6_T7_T9_mT8_S1G_bDpT10_ENKUlT_T0_E_clISt17integral_constantIbLb0EES1T_IbLb1EEEEDaS1P_S1Q_EUlS1P_E_NS1_11comp_targetILNS1_3genE0ELNS1_11target_archE4294967295ELNS1_3gpuE0ELNS1_3repE0EEENS1_30default_config_static_selectorELNS0_4arch9wavefront6targetE0EEEvS12_,"axG",@progbits,_ZN7rocprim17ROCPRIM_400000_NS6detail17trampoline_kernelINS0_13select_configILj256ELj13ELNS0_17block_load_methodE3ELS4_3ELS4_3ELNS0_20block_scan_algorithmE0ELj4294967295EEENS1_25partition_config_selectorILNS1_17partition_subalgoE4EjNS0_10empty_typeEbEEZZNS1_14partition_implILS8_4ELb0ES6_15HIP_vector_typeIjLj2EENS0_17counting_iteratorIjlEEPS9_SG_NS0_5tupleIJPjSI_NS0_16reverse_iteratorISI_EEEEENSH_IJSG_SG_SG_EEES9_SI_JZNS1_25segmented_radix_sort_implINS0_14default_configELb1EPKdPdPKlPlN2at6native12_GLOBAL__N_18offset_tEEE10hipError_tPvRmT1_PNSt15iterator_traitsIS12_E10value_typeET2_T3_PNS13_IS18_E10value_typeET4_jRbjT5_S1E_jjP12ihipStream_tbEUljE_ZNSN_ISO_Lb1ESQ_SR_ST_SU_SY_EESZ_S10_S11_S12_S16_S17_S18_S1B_S1C_jS1D_jS1E_S1E_jjS1G_bEUljE0_EEESZ_S10_S11_S18_S1C_S1E_T6_T7_T9_mT8_S1G_bDpT10_ENKUlT_T0_E_clISt17integral_constantIbLb0EES1T_IbLb1EEEEDaS1P_S1Q_EUlS1P_E_NS1_11comp_targetILNS1_3genE0ELNS1_11target_archE4294967295ELNS1_3gpuE0ELNS1_3repE0EEENS1_30default_config_static_selectorELNS0_4arch9wavefront6targetE0EEEvS12_,comdat
.Lfunc_end1070:
	.size	_ZN7rocprim17ROCPRIM_400000_NS6detail17trampoline_kernelINS0_13select_configILj256ELj13ELNS0_17block_load_methodE3ELS4_3ELS4_3ELNS0_20block_scan_algorithmE0ELj4294967295EEENS1_25partition_config_selectorILNS1_17partition_subalgoE4EjNS0_10empty_typeEbEEZZNS1_14partition_implILS8_4ELb0ES6_15HIP_vector_typeIjLj2EENS0_17counting_iteratorIjlEEPS9_SG_NS0_5tupleIJPjSI_NS0_16reverse_iteratorISI_EEEEENSH_IJSG_SG_SG_EEES9_SI_JZNS1_25segmented_radix_sort_implINS0_14default_configELb1EPKdPdPKlPlN2at6native12_GLOBAL__N_18offset_tEEE10hipError_tPvRmT1_PNSt15iterator_traitsIS12_E10value_typeET2_T3_PNS13_IS18_E10value_typeET4_jRbjT5_S1E_jjP12ihipStream_tbEUljE_ZNSN_ISO_Lb1ESQ_SR_ST_SU_SY_EESZ_S10_S11_S12_S16_S17_S18_S1B_S1C_jS1D_jS1E_S1E_jjS1G_bEUljE0_EEESZ_S10_S11_S18_S1C_S1E_T6_T7_T9_mT8_S1G_bDpT10_ENKUlT_T0_E_clISt17integral_constantIbLb0EES1T_IbLb1EEEEDaS1P_S1Q_EUlS1P_E_NS1_11comp_targetILNS1_3genE0ELNS1_11target_archE4294967295ELNS1_3gpuE0ELNS1_3repE0EEENS1_30default_config_static_selectorELNS0_4arch9wavefront6targetE0EEEvS12_, .Lfunc_end1070-_ZN7rocprim17ROCPRIM_400000_NS6detail17trampoline_kernelINS0_13select_configILj256ELj13ELNS0_17block_load_methodE3ELS4_3ELS4_3ELNS0_20block_scan_algorithmE0ELj4294967295EEENS1_25partition_config_selectorILNS1_17partition_subalgoE4EjNS0_10empty_typeEbEEZZNS1_14partition_implILS8_4ELb0ES6_15HIP_vector_typeIjLj2EENS0_17counting_iteratorIjlEEPS9_SG_NS0_5tupleIJPjSI_NS0_16reverse_iteratorISI_EEEEENSH_IJSG_SG_SG_EEES9_SI_JZNS1_25segmented_radix_sort_implINS0_14default_configELb1EPKdPdPKlPlN2at6native12_GLOBAL__N_18offset_tEEE10hipError_tPvRmT1_PNSt15iterator_traitsIS12_E10value_typeET2_T3_PNS13_IS18_E10value_typeET4_jRbjT5_S1E_jjP12ihipStream_tbEUljE_ZNSN_ISO_Lb1ESQ_SR_ST_SU_SY_EESZ_S10_S11_S12_S16_S17_S18_S1B_S1C_jS1D_jS1E_S1E_jjS1G_bEUljE0_EEESZ_S10_S11_S18_S1C_S1E_T6_T7_T9_mT8_S1G_bDpT10_ENKUlT_T0_E_clISt17integral_constantIbLb0EES1T_IbLb1EEEEDaS1P_S1Q_EUlS1P_E_NS1_11comp_targetILNS1_3genE0ELNS1_11target_archE4294967295ELNS1_3gpuE0ELNS1_3repE0EEENS1_30default_config_static_selectorELNS0_4arch9wavefront6targetE0EEEvS12_
                                        ; -- End function
	.set _ZN7rocprim17ROCPRIM_400000_NS6detail17trampoline_kernelINS0_13select_configILj256ELj13ELNS0_17block_load_methodE3ELS4_3ELS4_3ELNS0_20block_scan_algorithmE0ELj4294967295EEENS1_25partition_config_selectorILNS1_17partition_subalgoE4EjNS0_10empty_typeEbEEZZNS1_14partition_implILS8_4ELb0ES6_15HIP_vector_typeIjLj2EENS0_17counting_iteratorIjlEEPS9_SG_NS0_5tupleIJPjSI_NS0_16reverse_iteratorISI_EEEEENSH_IJSG_SG_SG_EEES9_SI_JZNS1_25segmented_radix_sort_implINS0_14default_configELb1EPKdPdPKlPlN2at6native12_GLOBAL__N_18offset_tEEE10hipError_tPvRmT1_PNSt15iterator_traitsIS12_E10value_typeET2_T3_PNS13_IS18_E10value_typeET4_jRbjT5_S1E_jjP12ihipStream_tbEUljE_ZNSN_ISO_Lb1ESQ_SR_ST_SU_SY_EESZ_S10_S11_S12_S16_S17_S18_S1B_S1C_jS1D_jS1E_S1E_jjS1G_bEUljE0_EEESZ_S10_S11_S18_S1C_S1E_T6_T7_T9_mT8_S1G_bDpT10_ENKUlT_T0_E_clISt17integral_constantIbLb0EES1T_IbLb1EEEEDaS1P_S1Q_EUlS1P_E_NS1_11comp_targetILNS1_3genE0ELNS1_11target_archE4294967295ELNS1_3gpuE0ELNS1_3repE0EEENS1_30default_config_static_selectorELNS0_4arch9wavefront6targetE0EEEvS12_.num_vgpr, 0
	.set _ZN7rocprim17ROCPRIM_400000_NS6detail17trampoline_kernelINS0_13select_configILj256ELj13ELNS0_17block_load_methodE3ELS4_3ELS4_3ELNS0_20block_scan_algorithmE0ELj4294967295EEENS1_25partition_config_selectorILNS1_17partition_subalgoE4EjNS0_10empty_typeEbEEZZNS1_14partition_implILS8_4ELb0ES6_15HIP_vector_typeIjLj2EENS0_17counting_iteratorIjlEEPS9_SG_NS0_5tupleIJPjSI_NS0_16reverse_iteratorISI_EEEEENSH_IJSG_SG_SG_EEES9_SI_JZNS1_25segmented_radix_sort_implINS0_14default_configELb1EPKdPdPKlPlN2at6native12_GLOBAL__N_18offset_tEEE10hipError_tPvRmT1_PNSt15iterator_traitsIS12_E10value_typeET2_T3_PNS13_IS18_E10value_typeET4_jRbjT5_S1E_jjP12ihipStream_tbEUljE_ZNSN_ISO_Lb1ESQ_SR_ST_SU_SY_EESZ_S10_S11_S12_S16_S17_S18_S1B_S1C_jS1D_jS1E_S1E_jjS1G_bEUljE0_EEESZ_S10_S11_S18_S1C_S1E_T6_T7_T9_mT8_S1G_bDpT10_ENKUlT_T0_E_clISt17integral_constantIbLb0EES1T_IbLb1EEEEDaS1P_S1Q_EUlS1P_E_NS1_11comp_targetILNS1_3genE0ELNS1_11target_archE4294967295ELNS1_3gpuE0ELNS1_3repE0EEENS1_30default_config_static_selectorELNS0_4arch9wavefront6targetE0EEEvS12_.num_agpr, 0
	.set _ZN7rocprim17ROCPRIM_400000_NS6detail17trampoline_kernelINS0_13select_configILj256ELj13ELNS0_17block_load_methodE3ELS4_3ELS4_3ELNS0_20block_scan_algorithmE0ELj4294967295EEENS1_25partition_config_selectorILNS1_17partition_subalgoE4EjNS0_10empty_typeEbEEZZNS1_14partition_implILS8_4ELb0ES6_15HIP_vector_typeIjLj2EENS0_17counting_iteratorIjlEEPS9_SG_NS0_5tupleIJPjSI_NS0_16reverse_iteratorISI_EEEEENSH_IJSG_SG_SG_EEES9_SI_JZNS1_25segmented_radix_sort_implINS0_14default_configELb1EPKdPdPKlPlN2at6native12_GLOBAL__N_18offset_tEEE10hipError_tPvRmT1_PNSt15iterator_traitsIS12_E10value_typeET2_T3_PNS13_IS18_E10value_typeET4_jRbjT5_S1E_jjP12ihipStream_tbEUljE_ZNSN_ISO_Lb1ESQ_SR_ST_SU_SY_EESZ_S10_S11_S12_S16_S17_S18_S1B_S1C_jS1D_jS1E_S1E_jjS1G_bEUljE0_EEESZ_S10_S11_S18_S1C_S1E_T6_T7_T9_mT8_S1G_bDpT10_ENKUlT_T0_E_clISt17integral_constantIbLb0EES1T_IbLb1EEEEDaS1P_S1Q_EUlS1P_E_NS1_11comp_targetILNS1_3genE0ELNS1_11target_archE4294967295ELNS1_3gpuE0ELNS1_3repE0EEENS1_30default_config_static_selectorELNS0_4arch9wavefront6targetE0EEEvS12_.numbered_sgpr, 0
	.set _ZN7rocprim17ROCPRIM_400000_NS6detail17trampoline_kernelINS0_13select_configILj256ELj13ELNS0_17block_load_methodE3ELS4_3ELS4_3ELNS0_20block_scan_algorithmE0ELj4294967295EEENS1_25partition_config_selectorILNS1_17partition_subalgoE4EjNS0_10empty_typeEbEEZZNS1_14partition_implILS8_4ELb0ES6_15HIP_vector_typeIjLj2EENS0_17counting_iteratorIjlEEPS9_SG_NS0_5tupleIJPjSI_NS0_16reverse_iteratorISI_EEEEENSH_IJSG_SG_SG_EEES9_SI_JZNS1_25segmented_radix_sort_implINS0_14default_configELb1EPKdPdPKlPlN2at6native12_GLOBAL__N_18offset_tEEE10hipError_tPvRmT1_PNSt15iterator_traitsIS12_E10value_typeET2_T3_PNS13_IS18_E10value_typeET4_jRbjT5_S1E_jjP12ihipStream_tbEUljE_ZNSN_ISO_Lb1ESQ_SR_ST_SU_SY_EESZ_S10_S11_S12_S16_S17_S18_S1B_S1C_jS1D_jS1E_S1E_jjS1G_bEUljE0_EEESZ_S10_S11_S18_S1C_S1E_T6_T7_T9_mT8_S1G_bDpT10_ENKUlT_T0_E_clISt17integral_constantIbLb0EES1T_IbLb1EEEEDaS1P_S1Q_EUlS1P_E_NS1_11comp_targetILNS1_3genE0ELNS1_11target_archE4294967295ELNS1_3gpuE0ELNS1_3repE0EEENS1_30default_config_static_selectorELNS0_4arch9wavefront6targetE0EEEvS12_.num_named_barrier, 0
	.set _ZN7rocprim17ROCPRIM_400000_NS6detail17trampoline_kernelINS0_13select_configILj256ELj13ELNS0_17block_load_methodE3ELS4_3ELS4_3ELNS0_20block_scan_algorithmE0ELj4294967295EEENS1_25partition_config_selectorILNS1_17partition_subalgoE4EjNS0_10empty_typeEbEEZZNS1_14partition_implILS8_4ELb0ES6_15HIP_vector_typeIjLj2EENS0_17counting_iteratorIjlEEPS9_SG_NS0_5tupleIJPjSI_NS0_16reverse_iteratorISI_EEEEENSH_IJSG_SG_SG_EEES9_SI_JZNS1_25segmented_radix_sort_implINS0_14default_configELb1EPKdPdPKlPlN2at6native12_GLOBAL__N_18offset_tEEE10hipError_tPvRmT1_PNSt15iterator_traitsIS12_E10value_typeET2_T3_PNS13_IS18_E10value_typeET4_jRbjT5_S1E_jjP12ihipStream_tbEUljE_ZNSN_ISO_Lb1ESQ_SR_ST_SU_SY_EESZ_S10_S11_S12_S16_S17_S18_S1B_S1C_jS1D_jS1E_S1E_jjS1G_bEUljE0_EEESZ_S10_S11_S18_S1C_S1E_T6_T7_T9_mT8_S1G_bDpT10_ENKUlT_T0_E_clISt17integral_constantIbLb0EES1T_IbLb1EEEEDaS1P_S1Q_EUlS1P_E_NS1_11comp_targetILNS1_3genE0ELNS1_11target_archE4294967295ELNS1_3gpuE0ELNS1_3repE0EEENS1_30default_config_static_selectorELNS0_4arch9wavefront6targetE0EEEvS12_.private_seg_size, 0
	.set _ZN7rocprim17ROCPRIM_400000_NS6detail17trampoline_kernelINS0_13select_configILj256ELj13ELNS0_17block_load_methodE3ELS4_3ELS4_3ELNS0_20block_scan_algorithmE0ELj4294967295EEENS1_25partition_config_selectorILNS1_17partition_subalgoE4EjNS0_10empty_typeEbEEZZNS1_14partition_implILS8_4ELb0ES6_15HIP_vector_typeIjLj2EENS0_17counting_iteratorIjlEEPS9_SG_NS0_5tupleIJPjSI_NS0_16reverse_iteratorISI_EEEEENSH_IJSG_SG_SG_EEES9_SI_JZNS1_25segmented_radix_sort_implINS0_14default_configELb1EPKdPdPKlPlN2at6native12_GLOBAL__N_18offset_tEEE10hipError_tPvRmT1_PNSt15iterator_traitsIS12_E10value_typeET2_T3_PNS13_IS18_E10value_typeET4_jRbjT5_S1E_jjP12ihipStream_tbEUljE_ZNSN_ISO_Lb1ESQ_SR_ST_SU_SY_EESZ_S10_S11_S12_S16_S17_S18_S1B_S1C_jS1D_jS1E_S1E_jjS1G_bEUljE0_EEESZ_S10_S11_S18_S1C_S1E_T6_T7_T9_mT8_S1G_bDpT10_ENKUlT_T0_E_clISt17integral_constantIbLb0EES1T_IbLb1EEEEDaS1P_S1Q_EUlS1P_E_NS1_11comp_targetILNS1_3genE0ELNS1_11target_archE4294967295ELNS1_3gpuE0ELNS1_3repE0EEENS1_30default_config_static_selectorELNS0_4arch9wavefront6targetE0EEEvS12_.uses_vcc, 0
	.set _ZN7rocprim17ROCPRIM_400000_NS6detail17trampoline_kernelINS0_13select_configILj256ELj13ELNS0_17block_load_methodE3ELS4_3ELS4_3ELNS0_20block_scan_algorithmE0ELj4294967295EEENS1_25partition_config_selectorILNS1_17partition_subalgoE4EjNS0_10empty_typeEbEEZZNS1_14partition_implILS8_4ELb0ES6_15HIP_vector_typeIjLj2EENS0_17counting_iteratorIjlEEPS9_SG_NS0_5tupleIJPjSI_NS0_16reverse_iteratorISI_EEEEENSH_IJSG_SG_SG_EEES9_SI_JZNS1_25segmented_radix_sort_implINS0_14default_configELb1EPKdPdPKlPlN2at6native12_GLOBAL__N_18offset_tEEE10hipError_tPvRmT1_PNSt15iterator_traitsIS12_E10value_typeET2_T3_PNS13_IS18_E10value_typeET4_jRbjT5_S1E_jjP12ihipStream_tbEUljE_ZNSN_ISO_Lb1ESQ_SR_ST_SU_SY_EESZ_S10_S11_S12_S16_S17_S18_S1B_S1C_jS1D_jS1E_S1E_jjS1G_bEUljE0_EEESZ_S10_S11_S18_S1C_S1E_T6_T7_T9_mT8_S1G_bDpT10_ENKUlT_T0_E_clISt17integral_constantIbLb0EES1T_IbLb1EEEEDaS1P_S1Q_EUlS1P_E_NS1_11comp_targetILNS1_3genE0ELNS1_11target_archE4294967295ELNS1_3gpuE0ELNS1_3repE0EEENS1_30default_config_static_selectorELNS0_4arch9wavefront6targetE0EEEvS12_.uses_flat_scratch, 0
	.set _ZN7rocprim17ROCPRIM_400000_NS6detail17trampoline_kernelINS0_13select_configILj256ELj13ELNS0_17block_load_methodE3ELS4_3ELS4_3ELNS0_20block_scan_algorithmE0ELj4294967295EEENS1_25partition_config_selectorILNS1_17partition_subalgoE4EjNS0_10empty_typeEbEEZZNS1_14partition_implILS8_4ELb0ES6_15HIP_vector_typeIjLj2EENS0_17counting_iteratorIjlEEPS9_SG_NS0_5tupleIJPjSI_NS0_16reverse_iteratorISI_EEEEENSH_IJSG_SG_SG_EEES9_SI_JZNS1_25segmented_radix_sort_implINS0_14default_configELb1EPKdPdPKlPlN2at6native12_GLOBAL__N_18offset_tEEE10hipError_tPvRmT1_PNSt15iterator_traitsIS12_E10value_typeET2_T3_PNS13_IS18_E10value_typeET4_jRbjT5_S1E_jjP12ihipStream_tbEUljE_ZNSN_ISO_Lb1ESQ_SR_ST_SU_SY_EESZ_S10_S11_S12_S16_S17_S18_S1B_S1C_jS1D_jS1E_S1E_jjS1G_bEUljE0_EEESZ_S10_S11_S18_S1C_S1E_T6_T7_T9_mT8_S1G_bDpT10_ENKUlT_T0_E_clISt17integral_constantIbLb0EES1T_IbLb1EEEEDaS1P_S1Q_EUlS1P_E_NS1_11comp_targetILNS1_3genE0ELNS1_11target_archE4294967295ELNS1_3gpuE0ELNS1_3repE0EEENS1_30default_config_static_selectorELNS0_4arch9wavefront6targetE0EEEvS12_.has_dyn_sized_stack, 0
	.set _ZN7rocprim17ROCPRIM_400000_NS6detail17trampoline_kernelINS0_13select_configILj256ELj13ELNS0_17block_load_methodE3ELS4_3ELS4_3ELNS0_20block_scan_algorithmE0ELj4294967295EEENS1_25partition_config_selectorILNS1_17partition_subalgoE4EjNS0_10empty_typeEbEEZZNS1_14partition_implILS8_4ELb0ES6_15HIP_vector_typeIjLj2EENS0_17counting_iteratorIjlEEPS9_SG_NS0_5tupleIJPjSI_NS0_16reverse_iteratorISI_EEEEENSH_IJSG_SG_SG_EEES9_SI_JZNS1_25segmented_radix_sort_implINS0_14default_configELb1EPKdPdPKlPlN2at6native12_GLOBAL__N_18offset_tEEE10hipError_tPvRmT1_PNSt15iterator_traitsIS12_E10value_typeET2_T3_PNS13_IS18_E10value_typeET4_jRbjT5_S1E_jjP12ihipStream_tbEUljE_ZNSN_ISO_Lb1ESQ_SR_ST_SU_SY_EESZ_S10_S11_S12_S16_S17_S18_S1B_S1C_jS1D_jS1E_S1E_jjS1G_bEUljE0_EEESZ_S10_S11_S18_S1C_S1E_T6_T7_T9_mT8_S1G_bDpT10_ENKUlT_T0_E_clISt17integral_constantIbLb0EES1T_IbLb1EEEEDaS1P_S1Q_EUlS1P_E_NS1_11comp_targetILNS1_3genE0ELNS1_11target_archE4294967295ELNS1_3gpuE0ELNS1_3repE0EEENS1_30default_config_static_selectorELNS0_4arch9wavefront6targetE0EEEvS12_.has_recursion, 0
	.set _ZN7rocprim17ROCPRIM_400000_NS6detail17trampoline_kernelINS0_13select_configILj256ELj13ELNS0_17block_load_methodE3ELS4_3ELS4_3ELNS0_20block_scan_algorithmE0ELj4294967295EEENS1_25partition_config_selectorILNS1_17partition_subalgoE4EjNS0_10empty_typeEbEEZZNS1_14partition_implILS8_4ELb0ES6_15HIP_vector_typeIjLj2EENS0_17counting_iteratorIjlEEPS9_SG_NS0_5tupleIJPjSI_NS0_16reverse_iteratorISI_EEEEENSH_IJSG_SG_SG_EEES9_SI_JZNS1_25segmented_radix_sort_implINS0_14default_configELb1EPKdPdPKlPlN2at6native12_GLOBAL__N_18offset_tEEE10hipError_tPvRmT1_PNSt15iterator_traitsIS12_E10value_typeET2_T3_PNS13_IS18_E10value_typeET4_jRbjT5_S1E_jjP12ihipStream_tbEUljE_ZNSN_ISO_Lb1ESQ_SR_ST_SU_SY_EESZ_S10_S11_S12_S16_S17_S18_S1B_S1C_jS1D_jS1E_S1E_jjS1G_bEUljE0_EEESZ_S10_S11_S18_S1C_S1E_T6_T7_T9_mT8_S1G_bDpT10_ENKUlT_T0_E_clISt17integral_constantIbLb0EES1T_IbLb1EEEEDaS1P_S1Q_EUlS1P_E_NS1_11comp_targetILNS1_3genE0ELNS1_11target_archE4294967295ELNS1_3gpuE0ELNS1_3repE0EEENS1_30default_config_static_selectorELNS0_4arch9wavefront6targetE0EEEvS12_.has_indirect_call, 0
	.section	.AMDGPU.csdata,"",@progbits
; Kernel info:
; codeLenInByte = 0
; TotalNumSgprs: 0
; NumVgprs: 0
; ScratchSize: 0
; MemoryBound: 0
; FloatMode: 240
; IeeeMode: 1
; LDSByteSize: 0 bytes/workgroup (compile time only)
; SGPRBlocks: 0
; VGPRBlocks: 0
; NumSGPRsForWavesPerEU: 1
; NumVGPRsForWavesPerEU: 1
; Occupancy: 16
; WaveLimiterHint : 0
; COMPUTE_PGM_RSRC2:SCRATCH_EN: 0
; COMPUTE_PGM_RSRC2:USER_SGPR: 6
; COMPUTE_PGM_RSRC2:TRAP_HANDLER: 0
; COMPUTE_PGM_RSRC2:TGID_X_EN: 1
; COMPUTE_PGM_RSRC2:TGID_Y_EN: 0
; COMPUTE_PGM_RSRC2:TGID_Z_EN: 0
; COMPUTE_PGM_RSRC2:TIDIG_COMP_CNT: 0
	.section	.text._ZN7rocprim17ROCPRIM_400000_NS6detail17trampoline_kernelINS0_13select_configILj256ELj13ELNS0_17block_load_methodE3ELS4_3ELS4_3ELNS0_20block_scan_algorithmE0ELj4294967295EEENS1_25partition_config_selectorILNS1_17partition_subalgoE4EjNS0_10empty_typeEbEEZZNS1_14partition_implILS8_4ELb0ES6_15HIP_vector_typeIjLj2EENS0_17counting_iteratorIjlEEPS9_SG_NS0_5tupleIJPjSI_NS0_16reverse_iteratorISI_EEEEENSH_IJSG_SG_SG_EEES9_SI_JZNS1_25segmented_radix_sort_implINS0_14default_configELb1EPKdPdPKlPlN2at6native12_GLOBAL__N_18offset_tEEE10hipError_tPvRmT1_PNSt15iterator_traitsIS12_E10value_typeET2_T3_PNS13_IS18_E10value_typeET4_jRbjT5_S1E_jjP12ihipStream_tbEUljE_ZNSN_ISO_Lb1ESQ_SR_ST_SU_SY_EESZ_S10_S11_S12_S16_S17_S18_S1B_S1C_jS1D_jS1E_S1E_jjS1G_bEUljE0_EEESZ_S10_S11_S18_S1C_S1E_T6_T7_T9_mT8_S1G_bDpT10_ENKUlT_T0_E_clISt17integral_constantIbLb0EES1T_IbLb1EEEEDaS1P_S1Q_EUlS1P_E_NS1_11comp_targetILNS1_3genE5ELNS1_11target_archE942ELNS1_3gpuE9ELNS1_3repE0EEENS1_30default_config_static_selectorELNS0_4arch9wavefront6targetE0EEEvS12_,"axG",@progbits,_ZN7rocprim17ROCPRIM_400000_NS6detail17trampoline_kernelINS0_13select_configILj256ELj13ELNS0_17block_load_methodE3ELS4_3ELS4_3ELNS0_20block_scan_algorithmE0ELj4294967295EEENS1_25partition_config_selectorILNS1_17partition_subalgoE4EjNS0_10empty_typeEbEEZZNS1_14partition_implILS8_4ELb0ES6_15HIP_vector_typeIjLj2EENS0_17counting_iteratorIjlEEPS9_SG_NS0_5tupleIJPjSI_NS0_16reverse_iteratorISI_EEEEENSH_IJSG_SG_SG_EEES9_SI_JZNS1_25segmented_radix_sort_implINS0_14default_configELb1EPKdPdPKlPlN2at6native12_GLOBAL__N_18offset_tEEE10hipError_tPvRmT1_PNSt15iterator_traitsIS12_E10value_typeET2_T3_PNS13_IS18_E10value_typeET4_jRbjT5_S1E_jjP12ihipStream_tbEUljE_ZNSN_ISO_Lb1ESQ_SR_ST_SU_SY_EESZ_S10_S11_S12_S16_S17_S18_S1B_S1C_jS1D_jS1E_S1E_jjS1G_bEUljE0_EEESZ_S10_S11_S18_S1C_S1E_T6_T7_T9_mT8_S1G_bDpT10_ENKUlT_T0_E_clISt17integral_constantIbLb0EES1T_IbLb1EEEEDaS1P_S1Q_EUlS1P_E_NS1_11comp_targetILNS1_3genE5ELNS1_11target_archE942ELNS1_3gpuE9ELNS1_3repE0EEENS1_30default_config_static_selectorELNS0_4arch9wavefront6targetE0EEEvS12_,comdat
	.globl	_ZN7rocprim17ROCPRIM_400000_NS6detail17trampoline_kernelINS0_13select_configILj256ELj13ELNS0_17block_load_methodE3ELS4_3ELS4_3ELNS0_20block_scan_algorithmE0ELj4294967295EEENS1_25partition_config_selectorILNS1_17partition_subalgoE4EjNS0_10empty_typeEbEEZZNS1_14partition_implILS8_4ELb0ES6_15HIP_vector_typeIjLj2EENS0_17counting_iteratorIjlEEPS9_SG_NS0_5tupleIJPjSI_NS0_16reverse_iteratorISI_EEEEENSH_IJSG_SG_SG_EEES9_SI_JZNS1_25segmented_radix_sort_implINS0_14default_configELb1EPKdPdPKlPlN2at6native12_GLOBAL__N_18offset_tEEE10hipError_tPvRmT1_PNSt15iterator_traitsIS12_E10value_typeET2_T3_PNS13_IS18_E10value_typeET4_jRbjT5_S1E_jjP12ihipStream_tbEUljE_ZNSN_ISO_Lb1ESQ_SR_ST_SU_SY_EESZ_S10_S11_S12_S16_S17_S18_S1B_S1C_jS1D_jS1E_S1E_jjS1G_bEUljE0_EEESZ_S10_S11_S18_S1C_S1E_T6_T7_T9_mT8_S1G_bDpT10_ENKUlT_T0_E_clISt17integral_constantIbLb0EES1T_IbLb1EEEEDaS1P_S1Q_EUlS1P_E_NS1_11comp_targetILNS1_3genE5ELNS1_11target_archE942ELNS1_3gpuE9ELNS1_3repE0EEENS1_30default_config_static_selectorELNS0_4arch9wavefront6targetE0EEEvS12_ ; -- Begin function _ZN7rocprim17ROCPRIM_400000_NS6detail17trampoline_kernelINS0_13select_configILj256ELj13ELNS0_17block_load_methodE3ELS4_3ELS4_3ELNS0_20block_scan_algorithmE0ELj4294967295EEENS1_25partition_config_selectorILNS1_17partition_subalgoE4EjNS0_10empty_typeEbEEZZNS1_14partition_implILS8_4ELb0ES6_15HIP_vector_typeIjLj2EENS0_17counting_iteratorIjlEEPS9_SG_NS0_5tupleIJPjSI_NS0_16reverse_iteratorISI_EEEEENSH_IJSG_SG_SG_EEES9_SI_JZNS1_25segmented_radix_sort_implINS0_14default_configELb1EPKdPdPKlPlN2at6native12_GLOBAL__N_18offset_tEEE10hipError_tPvRmT1_PNSt15iterator_traitsIS12_E10value_typeET2_T3_PNS13_IS18_E10value_typeET4_jRbjT5_S1E_jjP12ihipStream_tbEUljE_ZNSN_ISO_Lb1ESQ_SR_ST_SU_SY_EESZ_S10_S11_S12_S16_S17_S18_S1B_S1C_jS1D_jS1E_S1E_jjS1G_bEUljE0_EEESZ_S10_S11_S18_S1C_S1E_T6_T7_T9_mT8_S1G_bDpT10_ENKUlT_T0_E_clISt17integral_constantIbLb0EES1T_IbLb1EEEEDaS1P_S1Q_EUlS1P_E_NS1_11comp_targetILNS1_3genE5ELNS1_11target_archE942ELNS1_3gpuE9ELNS1_3repE0EEENS1_30default_config_static_selectorELNS0_4arch9wavefront6targetE0EEEvS12_
	.p2align	8
	.type	_ZN7rocprim17ROCPRIM_400000_NS6detail17trampoline_kernelINS0_13select_configILj256ELj13ELNS0_17block_load_methodE3ELS4_3ELS4_3ELNS0_20block_scan_algorithmE0ELj4294967295EEENS1_25partition_config_selectorILNS1_17partition_subalgoE4EjNS0_10empty_typeEbEEZZNS1_14partition_implILS8_4ELb0ES6_15HIP_vector_typeIjLj2EENS0_17counting_iteratorIjlEEPS9_SG_NS0_5tupleIJPjSI_NS0_16reverse_iteratorISI_EEEEENSH_IJSG_SG_SG_EEES9_SI_JZNS1_25segmented_radix_sort_implINS0_14default_configELb1EPKdPdPKlPlN2at6native12_GLOBAL__N_18offset_tEEE10hipError_tPvRmT1_PNSt15iterator_traitsIS12_E10value_typeET2_T3_PNS13_IS18_E10value_typeET4_jRbjT5_S1E_jjP12ihipStream_tbEUljE_ZNSN_ISO_Lb1ESQ_SR_ST_SU_SY_EESZ_S10_S11_S12_S16_S17_S18_S1B_S1C_jS1D_jS1E_S1E_jjS1G_bEUljE0_EEESZ_S10_S11_S18_S1C_S1E_T6_T7_T9_mT8_S1G_bDpT10_ENKUlT_T0_E_clISt17integral_constantIbLb0EES1T_IbLb1EEEEDaS1P_S1Q_EUlS1P_E_NS1_11comp_targetILNS1_3genE5ELNS1_11target_archE942ELNS1_3gpuE9ELNS1_3repE0EEENS1_30default_config_static_selectorELNS0_4arch9wavefront6targetE0EEEvS12_,@function
_ZN7rocprim17ROCPRIM_400000_NS6detail17trampoline_kernelINS0_13select_configILj256ELj13ELNS0_17block_load_methodE3ELS4_3ELS4_3ELNS0_20block_scan_algorithmE0ELj4294967295EEENS1_25partition_config_selectorILNS1_17partition_subalgoE4EjNS0_10empty_typeEbEEZZNS1_14partition_implILS8_4ELb0ES6_15HIP_vector_typeIjLj2EENS0_17counting_iteratorIjlEEPS9_SG_NS0_5tupleIJPjSI_NS0_16reverse_iteratorISI_EEEEENSH_IJSG_SG_SG_EEES9_SI_JZNS1_25segmented_radix_sort_implINS0_14default_configELb1EPKdPdPKlPlN2at6native12_GLOBAL__N_18offset_tEEE10hipError_tPvRmT1_PNSt15iterator_traitsIS12_E10value_typeET2_T3_PNS13_IS18_E10value_typeET4_jRbjT5_S1E_jjP12ihipStream_tbEUljE_ZNSN_ISO_Lb1ESQ_SR_ST_SU_SY_EESZ_S10_S11_S12_S16_S17_S18_S1B_S1C_jS1D_jS1E_S1E_jjS1G_bEUljE0_EEESZ_S10_S11_S18_S1C_S1E_T6_T7_T9_mT8_S1G_bDpT10_ENKUlT_T0_E_clISt17integral_constantIbLb0EES1T_IbLb1EEEEDaS1P_S1Q_EUlS1P_E_NS1_11comp_targetILNS1_3genE5ELNS1_11target_archE942ELNS1_3gpuE9ELNS1_3repE0EEENS1_30default_config_static_selectorELNS0_4arch9wavefront6targetE0EEEvS12_: ; @_ZN7rocprim17ROCPRIM_400000_NS6detail17trampoline_kernelINS0_13select_configILj256ELj13ELNS0_17block_load_methodE3ELS4_3ELS4_3ELNS0_20block_scan_algorithmE0ELj4294967295EEENS1_25partition_config_selectorILNS1_17partition_subalgoE4EjNS0_10empty_typeEbEEZZNS1_14partition_implILS8_4ELb0ES6_15HIP_vector_typeIjLj2EENS0_17counting_iteratorIjlEEPS9_SG_NS0_5tupleIJPjSI_NS0_16reverse_iteratorISI_EEEEENSH_IJSG_SG_SG_EEES9_SI_JZNS1_25segmented_radix_sort_implINS0_14default_configELb1EPKdPdPKlPlN2at6native12_GLOBAL__N_18offset_tEEE10hipError_tPvRmT1_PNSt15iterator_traitsIS12_E10value_typeET2_T3_PNS13_IS18_E10value_typeET4_jRbjT5_S1E_jjP12ihipStream_tbEUljE_ZNSN_ISO_Lb1ESQ_SR_ST_SU_SY_EESZ_S10_S11_S12_S16_S17_S18_S1B_S1C_jS1D_jS1E_S1E_jjS1G_bEUljE0_EEESZ_S10_S11_S18_S1C_S1E_T6_T7_T9_mT8_S1G_bDpT10_ENKUlT_T0_E_clISt17integral_constantIbLb0EES1T_IbLb1EEEEDaS1P_S1Q_EUlS1P_E_NS1_11comp_targetILNS1_3genE5ELNS1_11target_archE942ELNS1_3gpuE9ELNS1_3repE0EEENS1_30default_config_static_selectorELNS0_4arch9wavefront6targetE0EEEvS12_
; %bb.0:
	.section	.rodata,"a",@progbits
	.p2align	6, 0x0
	.amdhsa_kernel _ZN7rocprim17ROCPRIM_400000_NS6detail17trampoline_kernelINS0_13select_configILj256ELj13ELNS0_17block_load_methodE3ELS4_3ELS4_3ELNS0_20block_scan_algorithmE0ELj4294967295EEENS1_25partition_config_selectorILNS1_17partition_subalgoE4EjNS0_10empty_typeEbEEZZNS1_14partition_implILS8_4ELb0ES6_15HIP_vector_typeIjLj2EENS0_17counting_iteratorIjlEEPS9_SG_NS0_5tupleIJPjSI_NS0_16reverse_iteratorISI_EEEEENSH_IJSG_SG_SG_EEES9_SI_JZNS1_25segmented_radix_sort_implINS0_14default_configELb1EPKdPdPKlPlN2at6native12_GLOBAL__N_18offset_tEEE10hipError_tPvRmT1_PNSt15iterator_traitsIS12_E10value_typeET2_T3_PNS13_IS18_E10value_typeET4_jRbjT5_S1E_jjP12ihipStream_tbEUljE_ZNSN_ISO_Lb1ESQ_SR_ST_SU_SY_EESZ_S10_S11_S12_S16_S17_S18_S1B_S1C_jS1D_jS1E_S1E_jjS1G_bEUljE0_EEESZ_S10_S11_S18_S1C_S1E_T6_T7_T9_mT8_S1G_bDpT10_ENKUlT_T0_E_clISt17integral_constantIbLb0EES1T_IbLb1EEEEDaS1P_S1Q_EUlS1P_E_NS1_11comp_targetILNS1_3genE5ELNS1_11target_archE942ELNS1_3gpuE9ELNS1_3repE0EEENS1_30default_config_static_selectorELNS0_4arch9wavefront6targetE0EEEvS12_
		.amdhsa_group_segment_fixed_size 0
		.amdhsa_private_segment_fixed_size 0
		.amdhsa_kernarg_size 184
		.amdhsa_user_sgpr_count 6
		.amdhsa_user_sgpr_private_segment_buffer 1
		.amdhsa_user_sgpr_dispatch_ptr 0
		.amdhsa_user_sgpr_queue_ptr 0
		.amdhsa_user_sgpr_kernarg_segment_ptr 1
		.amdhsa_user_sgpr_dispatch_id 0
		.amdhsa_user_sgpr_flat_scratch_init 0
		.amdhsa_user_sgpr_private_segment_size 0
		.amdhsa_wavefront_size32 1
		.amdhsa_uses_dynamic_stack 0
		.amdhsa_system_sgpr_private_segment_wavefront_offset 0
		.amdhsa_system_sgpr_workgroup_id_x 1
		.amdhsa_system_sgpr_workgroup_id_y 0
		.amdhsa_system_sgpr_workgroup_id_z 0
		.amdhsa_system_sgpr_workgroup_info 0
		.amdhsa_system_vgpr_workitem_id 0
		.amdhsa_next_free_vgpr 1
		.amdhsa_next_free_sgpr 1
		.amdhsa_reserve_vcc 0
		.amdhsa_reserve_flat_scratch 0
		.amdhsa_float_round_mode_32 0
		.amdhsa_float_round_mode_16_64 0
		.amdhsa_float_denorm_mode_32 3
		.amdhsa_float_denorm_mode_16_64 3
		.amdhsa_dx10_clamp 1
		.amdhsa_ieee_mode 1
		.amdhsa_fp16_overflow 0
		.amdhsa_workgroup_processor_mode 1
		.amdhsa_memory_ordered 1
		.amdhsa_forward_progress 1
		.amdhsa_shared_vgpr_count 0
		.amdhsa_exception_fp_ieee_invalid_op 0
		.amdhsa_exception_fp_denorm_src 0
		.amdhsa_exception_fp_ieee_div_zero 0
		.amdhsa_exception_fp_ieee_overflow 0
		.amdhsa_exception_fp_ieee_underflow 0
		.amdhsa_exception_fp_ieee_inexact 0
		.amdhsa_exception_int_div_zero 0
	.end_amdhsa_kernel
	.section	.text._ZN7rocprim17ROCPRIM_400000_NS6detail17trampoline_kernelINS0_13select_configILj256ELj13ELNS0_17block_load_methodE3ELS4_3ELS4_3ELNS0_20block_scan_algorithmE0ELj4294967295EEENS1_25partition_config_selectorILNS1_17partition_subalgoE4EjNS0_10empty_typeEbEEZZNS1_14partition_implILS8_4ELb0ES6_15HIP_vector_typeIjLj2EENS0_17counting_iteratorIjlEEPS9_SG_NS0_5tupleIJPjSI_NS0_16reverse_iteratorISI_EEEEENSH_IJSG_SG_SG_EEES9_SI_JZNS1_25segmented_radix_sort_implINS0_14default_configELb1EPKdPdPKlPlN2at6native12_GLOBAL__N_18offset_tEEE10hipError_tPvRmT1_PNSt15iterator_traitsIS12_E10value_typeET2_T3_PNS13_IS18_E10value_typeET4_jRbjT5_S1E_jjP12ihipStream_tbEUljE_ZNSN_ISO_Lb1ESQ_SR_ST_SU_SY_EESZ_S10_S11_S12_S16_S17_S18_S1B_S1C_jS1D_jS1E_S1E_jjS1G_bEUljE0_EEESZ_S10_S11_S18_S1C_S1E_T6_T7_T9_mT8_S1G_bDpT10_ENKUlT_T0_E_clISt17integral_constantIbLb0EES1T_IbLb1EEEEDaS1P_S1Q_EUlS1P_E_NS1_11comp_targetILNS1_3genE5ELNS1_11target_archE942ELNS1_3gpuE9ELNS1_3repE0EEENS1_30default_config_static_selectorELNS0_4arch9wavefront6targetE0EEEvS12_,"axG",@progbits,_ZN7rocprim17ROCPRIM_400000_NS6detail17trampoline_kernelINS0_13select_configILj256ELj13ELNS0_17block_load_methodE3ELS4_3ELS4_3ELNS0_20block_scan_algorithmE0ELj4294967295EEENS1_25partition_config_selectorILNS1_17partition_subalgoE4EjNS0_10empty_typeEbEEZZNS1_14partition_implILS8_4ELb0ES6_15HIP_vector_typeIjLj2EENS0_17counting_iteratorIjlEEPS9_SG_NS0_5tupleIJPjSI_NS0_16reverse_iteratorISI_EEEEENSH_IJSG_SG_SG_EEES9_SI_JZNS1_25segmented_radix_sort_implINS0_14default_configELb1EPKdPdPKlPlN2at6native12_GLOBAL__N_18offset_tEEE10hipError_tPvRmT1_PNSt15iterator_traitsIS12_E10value_typeET2_T3_PNS13_IS18_E10value_typeET4_jRbjT5_S1E_jjP12ihipStream_tbEUljE_ZNSN_ISO_Lb1ESQ_SR_ST_SU_SY_EESZ_S10_S11_S12_S16_S17_S18_S1B_S1C_jS1D_jS1E_S1E_jjS1G_bEUljE0_EEESZ_S10_S11_S18_S1C_S1E_T6_T7_T9_mT8_S1G_bDpT10_ENKUlT_T0_E_clISt17integral_constantIbLb0EES1T_IbLb1EEEEDaS1P_S1Q_EUlS1P_E_NS1_11comp_targetILNS1_3genE5ELNS1_11target_archE942ELNS1_3gpuE9ELNS1_3repE0EEENS1_30default_config_static_selectorELNS0_4arch9wavefront6targetE0EEEvS12_,comdat
.Lfunc_end1071:
	.size	_ZN7rocprim17ROCPRIM_400000_NS6detail17trampoline_kernelINS0_13select_configILj256ELj13ELNS0_17block_load_methodE3ELS4_3ELS4_3ELNS0_20block_scan_algorithmE0ELj4294967295EEENS1_25partition_config_selectorILNS1_17partition_subalgoE4EjNS0_10empty_typeEbEEZZNS1_14partition_implILS8_4ELb0ES6_15HIP_vector_typeIjLj2EENS0_17counting_iteratorIjlEEPS9_SG_NS0_5tupleIJPjSI_NS0_16reverse_iteratorISI_EEEEENSH_IJSG_SG_SG_EEES9_SI_JZNS1_25segmented_radix_sort_implINS0_14default_configELb1EPKdPdPKlPlN2at6native12_GLOBAL__N_18offset_tEEE10hipError_tPvRmT1_PNSt15iterator_traitsIS12_E10value_typeET2_T3_PNS13_IS18_E10value_typeET4_jRbjT5_S1E_jjP12ihipStream_tbEUljE_ZNSN_ISO_Lb1ESQ_SR_ST_SU_SY_EESZ_S10_S11_S12_S16_S17_S18_S1B_S1C_jS1D_jS1E_S1E_jjS1G_bEUljE0_EEESZ_S10_S11_S18_S1C_S1E_T6_T7_T9_mT8_S1G_bDpT10_ENKUlT_T0_E_clISt17integral_constantIbLb0EES1T_IbLb1EEEEDaS1P_S1Q_EUlS1P_E_NS1_11comp_targetILNS1_3genE5ELNS1_11target_archE942ELNS1_3gpuE9ELNS1_3repE0EEENS1_30default_config_static_selectorELNS0_4arch9wavefront6targetE0EEEvS12_, .Lfunc_end1071-_ZN7rocprim17ROCPRIM_400000_NS6detail17trampoline_kernelINS0_13select_configILj256ELj13ELNS0_17block_load_methodE3ELS4_3ELS4_3ELNS0_20block_scan_algorithmE0ELj4294967295EEENS1_25partition_config_selectorILNS1_17partition_subalgoE4EjNS0_10empty_typeEbEEZZNS1_14partition_implILS8_4ELb0ES6_15HIP_vector_typeIjLj2EENS0_17counting_iteratorIjlEEPS9_SG_NS0_5tupleIJPjSI_NS0_16reverse_iteratorISI_EEEEENSH_IJSG_SG_SG_EEES9_SI_JZNS1_25segmented_radix_sort_implINS0_14default_configELb1EPKdPdPKlPlN2at6native12_GLOBAL__N_18offset_tEEE10hipError_tPvRmT1_PNSt15iterator_traitsIS12_E10value_typeET2_T3_PNS13_IS18_E10value_typeET4_jRbjT5_S1E_jjP12ihipStream_tbEUljE_ZNSN_ISO_Lb1ESQ_SR_ST_SU_SY_EESZ_S10_S11_S12_S16_S17_S18_S1B_S1C_jS1D_jS1E_S1E_jjS1G_bEUljE0_EEESZ_S10_S11_S18_S1C_S1E_T6_T7_T9_mT8_S1G_bDpT10_ENKUlT_T0_E_clISt17integral_constantIbLb0EES1T_IbLb1EEEEDaS1P_S1Q_EUlS1P_E_NS1_11comp_targetILNS1_3genE5ELNS1_11target_archE942ELNS1_3gpuE9ELNS1_3repE0EEENS1_30default_config_static_selectorELNS0_4arch9wavefront6targetE0EEEvS12_
                                        ; -- End function
	.set _ZN7rocprim17ROCPRIM_400000_NS6detail17trampoline_kernelINS0_13select_configILj256ELj13ELNS0_17block_load_methodE3ELS4_3ELS4_3ELNS0_20block_scan_algorithmE0ELj4294967295EEENS1_25partition_config_selectorILNS1_17partition_subalgoE4EjNS0_10empty_typeEbEEZZNS1_14partition_implILS8_4ELb0ES6_15HIP_vector_typeIjLj2EENS0_17counting_iteratorIjlEEPS9_SG_NS0_5tupleIJPjSI_NS0_16reverse_iteratorISI_EEEEENSH_IJSG_SG_SG_EEES9_SI_JZNS1_25segmented_radix_sort_implINS0_14default_configELb1EPKdPdPKlPlN2at6native12_GLOBAL__N_18offset_tEEE10hipError_tPvRmT1_PNSt15iterator_traitsIS12_E10value_typeET2_T3_PNS13_IS18_E10value_typeET4_jRbjT5_S1E_jjP12ihipStream_tbEUljE_ZNSN_ISO_Lb1ESQ_SR_ST_SU_SY_EESZ_S10_S11_S12_S16_S17_S18_S1B_S1C_jS1D_jS1E_S1E_jjS1G_bEUljE0_EEESZ_S10_S11_S18_S1C_S1E_T6_T7_T9_mT8_S1G_bDpT10_ENKUlT_T0_E_clISt17integral_constantIbLb0EES1T_IbLb1EEEEDaS1P_S1Q_EUlS1P_E_NS1_11comp_targetILNS1_3genE5ELNS1_11target_archE942ELNS1_3gpuE9ELNS1_3repE0EEENS1_30default_config_static_selectorELNS0_4arch9wavefront6targetE0EEEvS12_.num_vgpr, 0
	.set _ZN7rocprim17ROCPRIM_400000_NS6detail17trampoline_kernelINS0_13select_configILj256ELj13ELNS0_17block_load_methodE3ELS4_3ELS4_3ELNS0_20block_scan_algorithmE0ELj4294967295EEENS1_25partition_config_selectorILNS1_17partition_subalgoE4EjNS0_10empty_typeEbEEZZNS1_14partition_implILS8_4ELb0ES6_15HIP_vector_typeIjLj2EENS0_17counting_iteratorIjlEEPS9_SG_NS0_5tupleIJPjSI_NS0_16reverse_iteratorISI_EEEEENSH_IJSG_SG_SG_EEES9_SI_JZNS1_25segmented_radix_sort_implINS0_14default_configELb1EPKdPdPKlPlN2at6native12_GLOBAL__N_18offset_tEEE10hipError_tPvRmT1_PNSt15iterator_traitsIS12_E10value_typeET2_T3_PNS13_IS18_E10value_typeET4_jRbjT5_S1E_jjP12ihipStream_tbEUljE_ZNSN_ISO_Lb1ESQ_SR_ST_SU_SY_EESZ_S10_S11_S12_S16_S17_S18_S1B_S1C_jS1D_jS1E_S1E_jjS1G_bEUljE0_EEESZ_S10_S11_S18_S1C_S1E_T6_T7_T9_mT8_S1G_bDpT10_ENKUlT_T0_E_clISt17integral_constantIbLb0EES1T_IbLb1EEEEDaS1P_S1Q_EUlS1P_E_NS1_11comp_targetILNS1_3genE5ELNS1_11target_archE942ELNS1_3gpuE9ELNS1_3repE0EEENS1_30default_config_static_selectorELNS0_4arch9wavefront6targetE0EEEvS12_.num_agpr, 0
	.set _ZN7rocprim17ROCPRIM_400000_NS6detail17trampoline_kernelINS0_13select_configILj256ELj13ELNS0_17block_load_methodE3ELS4_3ELS4_3ELNS0_20block_scan_algorithmE0ELj4294967295EEENS1_25partition_config_selectorILNS1_17partition_subalgoE4EjNS0_10empty_typeEbEEZZNS1_14partition_implILS8_4ELb0ES6_15HIP_vector_typeIjLj2EENS0_17counting_iteratorIjlEEPS9_SG_NS0_5tupleIJPjSI_NS0_16reverse_iteratorISI_EEEEENSH_IJSG_SG_SG_EEES9_SI_JZNS1_25segmented_radix_sort_implINS0_14default_configELb1EPKdPdPKlPlN2at6native12_GLOBAL__N_18offset_tEEE10hipError_tPvRmT1_PNSt15iterator_traitsIS12_E10value_typeET2_T3_PNS13_IS18_E10value_typeET4_jRbjT5_S1E_jjP12ihipStream_tbEUljE_ZNSN_ISO_Lb1ESQ_SR_ST_SU_SY_EESZ_S10_S11_S12_S16_S17_S18_S1B_S1C_jS1D_jS1E_S1E_jjS1G_bEUljE0_EEESZ_S10_S11_S18_S1C_S1E_T6_T7_T9_mT8_S1G_bDpT10_ENKUlT_T0_E_clISt17integral_constantIbLb0EES1T_IbLb1EEEEDaS1P_S1Q_EUlS1P_E_NS1_11comp_targetILNS1_3genE5ELNS1_11target_archE942ELNS1_3gpuE9ELNS1_3repE0EEENS1_30default_config_static_selectorELNS0_4arch9wavefront6targetE0EEEvS12_.numbered_sgpr, 0
	.set _ZN7rocprim17ROCPRIM_400000_NS6detail17trampoline_kernelINS0_13select_configILj256ELj13ELNS0_17block_load_methodE3ELS4_3ELS4_3ELNS0_20block_scan_algorithmE0ELj4294967295EEENS1_25partition_config_selectorILNS1_17partition_subalgoE4EjNS0_10empty_typeEbEEZZNS1_14partition_implILS8_4ELb0ES6_15HIP_vector_typeIjLj2EENS0_17counting_iteratorIjlEEPS9_SG_NS0_5tupleIJPjSI_NS0_16reverse_iteratorISI_EEEEENSH_IJSG_SG_SG_EEES9_SI_JZNS1_25segmented_radix_sort_implINS0_14default_configELb1EPKdPdPKlPlN2at6native12_GLOBAL__N_18offset_tEEE10hipError_tPvRmT1_PNSt15iterator_traitsIS12_E10value_typeET2_T3_PNS13_IS18_E10value_typeET4_jRbjT5_S1E_jjP12ihipStream_tbEUljE_ZNSN_ISO_Lb1ESQ_SR_ST_SU_SY_EESZ_S10_S11_S12_S16_S17_S18_S1B_S1C_jS1D_jS1E_S1E_jjS1G_bEUljE0_EEESZ_S10_S11_S18_S1C_S1E_T6_T7_T9_mT8_S1G_bDpT10_ENKUlT_T0_E_clISt17integral_constantIbLb0EES1T_IbLb1EEEEDaS1P_S1Q_EUlS1P_E_NS1_11comp_targetILNS1_3genE5ELNS1_11target_archE942ELNS1_3gpuE9ELNS1_3repE0EEENS1_30default_config_static_selectorELNS0_4arch9wavefront6targetE0EEEvS12_.num_named_barrier, 0
	.set _ZN7rocprim17ROCPRIM_400000_NS6detail17trampoline_kernelINS0_13select_configILj256ELj13ELNS0_17block_load_methodE3ELS4_3ELS4_3ELNS0_20block_scan_algorithmE0ELj4294967295EEENS1_25partition_config_selectorILNS1_17partition_subalgoE4EjNS0_10empty_typeEbEEZZNS1_14partition_implILS8_4ELb0ES6_15HIP_vector_typeIjLj2EENS0_17counting_iteratorIjlEEPS9_SG_NS0_5tupleIJPjSI_NS0_16reverse_iteratorISI_EEEEENSH_IJSG_SG_SG_EEES9_SI_JZNS1_25segmented_radix_sort_implINS0_14default_configELb1EPKdPdPKlPlN2at6native12_GLOBAL__N_18offset_tEEE10hipError_tPvRmT1_PNSt15iterator_traitsIS12_E10value_typeET2_T3_PNS13_IS18_E10value_typeET4_jRbjT5_S1E_jjP12ihipStream_tbEUljE_ZNSN_ISO_Lb1ESQ_SR_ST_SU_SY_EESZ_S10_S11_S12_S16_S17_S18_S1B_S1C_jS1D_jS1E_S1E_jjS1G_bEUljE0_EEESZ_S10_S11_S18_S1C_S1E_T6_T7_T9_mT8_S1G_bDpT10_ENKUlT_T0_E_clISt17integral_constantIbLb0EES1T_IbLb1EEEEDaS1P_S1Q_EUlS1P_E_NS1_11comp_targetILNS1_3genE5ELNS1_11target_archE942ELNS1_3gpuE9ELNS1_3repE0EEENS1_30default_config_static_selectorELNS0_4arch9wavefront6targetE0EEEvS12_.private_seg_size, 0
	.set _ZN7rocprim17ROCPRIM_400000_NS6detail17trampoline_kernelINS0_13select_configILj256ELj13ELNS0_17block_load_methodE3ELS4_3ELS4_3ELNS0_20block_scan_algorithmE0ELj4294967295EEENS1_25partition_config_selectorILNS1_17partition_subalgoE4EjNS0_10empty_typeEbEEZZNS1_14partition_implILS8_4ELb0ES6_15HIP_vector_typeIjLj2EENS0_17counting_iteratorIjlEEPS9_SG_NS0_5tupleIJPjSI_NS0_16reverse_iteratorISI_EEEEENSH_IJSG_SG_SG_EEES9_SI_JZNS1_25segmented_radix_sort_implINS0_14default_configELb1EPKdPdPKlPlN2at6native12_GLOBAL__N_18offset_tEEE10hipError_tPvRmT1_PNSt15iterator_traitsIS12_E10value_typeET2_T3_PNS13_IS18_E10value_typeET4_jRbjT5_S1E_jjP12ihipStream_tbEUljE_ZNSN_ISO_Lb1ESQ_SR_ST_SU_SY_EESZ_S10_S11_S12_S16_S17_S18_S1B_S1C_jS1D_jS1E_S1E_jjS1G_bEUljE0_EEESZ_S10_S11_S18_S1C_S1E_T6_T7_T9_mT8_S1G_bDpT10_ENKUlT_T0_E_clISt17integral_constantIbLb0EES1T_IbLb1EEEEDaS1P_S1Q_EUlS1P_E_NS1_11comp_targetILNS1_3genE5ELNS1_11target_archE942ELNS1_3gpuE9ELNS1_3repE0EEENS1_30default_config_static_selectorELNS0_4arch9wavefront6targetE0EEEvS12_.uses_vcc, 0
	.set _ZN7rocprim17ROCPRIM_400000_NS6detail17trampoline_kernelINS0_13select_configILj256ELj13ELNS0_17block_load_methodE3ELS4_3ELS4_3ELNS0_20block_scan_algorithmE0ELj4294967295EEENS1_25partition_config_selectorILNS1_17partition_subalgoE4EjNS0_10empty_typeEbEEZZNS1_14partition_implILS8_4ELb0ES6_15HIP_vector_typeIjLj2EENS0_17counting_iteratorIjlEEPS9_SG_NS0_5tupleIJPjSI_NS0_16reverse_iteratorISI_EEEEENSH_IJSG_SG_SG_EEES9_SI_JZNS1_25segmented_radix_sort_implINS0_14default_configELb1EPKdPdPKlPlN2at6native12_GLOBAL__N_18offset_tEEE10hipError_tPvRmT1_PNSt15iterator_traitsIS12_E10value_typeET2_T3_PNS13_IS18_E10value_typeET4_jRbjT5_S1E_jjP12ihipStream_tbEUljE_ZNSN_ISO_Lb1ESQ_SR_ST_SU_SY_EESZ_S10_S11_S12_S16_S17_S18_S1B_S1C_jS1D_jS1E_S1E_jjS1G_bEUljE0_EEESZ_S10_S11_S18_S1C_S1E_T6_T7_T9_mT8_S1G_bDpT10_ENKUlT_T0_E_clISt17integral_constantIbLb0EES1T_IbLb1EEEEDaS1P_S1Q_EUlS1P_E_NS1_11comp_targetILNS1_3genE5ELNS1_11target_archE942ELNS1_3gpuE9ELNS1_3repE0EEENS1_30default_config_static_selectorELNS0_4arch9wavefront6targetE0EEEvS12_.uses_flat_scratch, 0
	.set _ZN7rocprim17ROCPRIM_400000_NS6detail17trampoline_kernelINS0_13select_configILj256ELj13ELNS0_17block_load_methodE3ELS4_3ELS4_3ELNS0_20block_scan_algorithmE0ELj4294967295EEENS1_25partition_config_selectorILNS1_17partition_subalgoE4EjNS0_10empty_typeEbEEZZNS1_14partition_implILS8_4ELb0ES6_15HIP_vector_typeIjLj2EENS0_17counting_iteratorIjlEEPS9_SG_NS0_5tupleIJPjSI_NS0_16reverse_iteratorISI_EEEEENSH_IJSG_SG_SG_EEES9_SI_JZNS1_25segmented_radix_sort_implINS0_14default_configELb1EPKdPdPKlPlN2at6native12_GLOBAL__N_18offset_tEEE10hipError_tPvRmT1_PNSt15iterator_traitsIS12_E10value_typeET2_T3_PNS13_IS18_E10value_typeET4_jRbjT5_S1E_jjP12ihipStream_tbEUljE_ZNSN_ISO_Lb1ESQ_SR_ST_SU_SY_EESZ_S10_S11_S12_S16_S17_S18_S1B_S1C_jS1D_jS1E_S1E_jjS1G_bEUljE0_EEESZ_S10_S11_S18_S1C_S1E_T6_T7_T9_mT8_S1G_bDpT10_ENKUlT_T0_E_clISt17integral_constantIbLb0EES1T_IbLb1EEEEDaS1P_S1Q_EUlS1P_E_NS1_11comp_targetILNS1_3genE5ELNS1_11target_archE942ELNS1_3gpuE9ELNS1_3repE0EEENS1_30default_config_static_selectorELNS0_4arch9wavefront6targetE0EEEvS12_.has_dyn_sized_stack, 0
	.set _ZN7rocprim17ROCPRIM_400000_NS6detail17trampoline_kernelINS0_13select_configILj256ELj13ELNS0_17block_load_methodE3ELS4_3ELS4_3ELNS0_20block_scan_algorithmE0ELj4294967295EEENS1_25partition_config_selectorILNS1_17partition_subalgoE4EjNS0_10empty_typeEbEEZZNS1_14partition_implILS8_4ELb0ES6_15HIP_vector_typeIjLj2EENS0_17counting_iteratorIjlEEPS9_SG_NS0_5tupleIJPjSI_NS0_16reverse_iteratorISI_EEEEENSH_IJSG_SG_SG_EEES9_SI_JZNS1_25segmented_radix_sort_implINS0_14default_configELb1EPKdPdPKlPlN2at6native12_GLOBAL__N_18offset_tEEE10hipError_tPvRmT1_PNSt15iterator_traitsIS12_E10value_typeET2_T3_PNS13_IS18_E10value_typeET4_jRbjT5_S1E_jjP12ihipStream_tbEUljE_ZNSN_ISO_Lb1ESQ_SR_ST_SU_SY_EESZ_S10_S11_S12_S16_S17_S18_S1B_S1C_jS1D_jS1E_S1E_jjS1G_bEUljE0_EEESZ_S10_S11_S18_S1C_S1E_T6_T7_T9_mT8_S1G_bDpT10_ENKUlT_T0_E_clISt17integral_constantIbLb0EES1T_IbLb1EEEEDaS1P_S1Q_EUlS1P_E_NS1_11comp_targetILNS1_3genE5ELNS1_11target_archE942ELNS1_3gpuE9ELNS1_3repE0EEENS1_30default_config_static_selectorELNS0_4arch9wavefront6targetE0EEEvS12_.has_recursion, 0
	.set _ZN7rocprim17ROCPRIM_400000_NS6detail17trampoline_kernelINS0_13select_configILj256ELj13ELNS0_17block_load_methodE3ELS4_3ELS4_3ELNS0_20block_scan_algorithmE0ELj4294967295EEENS1_25partition_config_selectorILNS1_17partition_subalgoE4EjNS0_10empty_typeEbEEZZNS1_14partition_implILS8_4ELb0ES6_15HIP_vector_typeIjLj2EENS0_17counting_iteratorIjlEEPS9_SG_NS0_5tupleIJPjSI_NS0_16reverse_iteratorISI_EEEEENSH_IJSG_SG_SG_EEES9_SI_JZNS1_25segmented_radix_sort_implINS0_14default_configELb1EPKdPdPKlPlN2at6native12_GLOBAL__N_18offset_tEEE10hipError_tPvRmT1_PNSt15iterator_traitsIS12_E10value_typeET2_T3_PNS13_IS18_E10value_typeET4_jRbjT5_S1E_jjP12ihipStream_tbEUljE_ZNSN_ISO_Lb1ESQ_SR_ST_SU_SY_EESZ_S10_S11_S12_S16_S17_S18_S1B_S1C_jS1D_jS1E_S1E_jjS1G_bEUljE0_EEESZ_S10_S11_S18_S1C_S1E_T6_T7_T9_mT8_S1G_bDpT10_ENKUlT_T0_E_clISt17integral_constantIbLb0EES1T_IbLb1EEEEDaS1P_S1Q_EUlS1P_E_NS1_11comp_targetILNS1_3genE5ELNS1_11target_archE942ELNS1_3gpuE9ELNS1_3repE0EEENS1_30default_config_static_selectorELNS0_4arch9wavefront6targetE0EEEvS12_.has_indirect_call, 0
	.section	.AMDGPU.csdata,"",@progbits
; Kernel info:
; codeLenInByte = 0
; TotalNumSgprs: 0
; NumVgprs: 0
; ScratchSize: 0
; MemoryBound: 0
; FloatMode: 240
; IeeeMode: 1
; LDSByteSize: 0 bytes/workgroup (compile time only)
; SGPRBlocks: 0
; VGPRBlocks: 0
; NumSGPRsForWavesPerEU: 1
; NumVGPRsForWavesPerEU: 1
; Occupancy: 16
; WaveLimiterHint : 0
; COMPUTE_PGM_RSRC2:SCRATCH_EN: 0
; COMPUTE_PGM_RSRC2:USER_SGPR: 6
; COMPUTE_PGM_RSRC2:TRAP_HANDLER: 0
; COMPUTE_PGM_RSRC2:TGID_X_EN: 1
; COMPUTE_PGM_RSRC2:TGID_Y_EN: 0
; COMPUTE_PGM_RSRC2:TGID_Z_EN: 0
; COMPUTE_PGM_RSRC2:TIDIG_COMP_CNT: 0
	.section	.text._ZN7rocprim17ROCPRIM_400000_NS6detail17trampoline_kernelINS0_13select_configILj256ELj13ELNS0_17block_load_methodE3ELS4_3ELS4_3ELNS0_20block_scan_algorithmE0ELj4294967295EEENS1_25partition_config_selectorILNS1_17partition_subalgoE4EjNS0_10empty_typeEbEEZZNS1_14partition_implILS8_4ELb0ES6_15HIP_vector_typeIjLj2EENS0_17counting_iteratorIjlEEPS9_SG_NS0_5tupleIJPjSI_NS0_16reverse_iteratorISI_EEEEENSH_IJSG_SG_SG_EEES9_SI_JZNS1_25segmented_radix_sort_implINS0_14default_configELb1EPKdPdPKlPlN2at6native12_GLOBAL__N_18offset_tEEE10hipError_tPvRmT1_PNSt15iterator_traitsIS12_E10value_typeET2_T3_PNS13_IS18_E10value_typeET4_jRbjT5_S1E_jjP12ihipStream_tbEUljE_ZNSN_ISO_Lb1ESQ_SR_ST_SU_SY_EESZ_S10_S11_S12_S16_S17_S18_S1B_S1C_jS1D_jS1E_S1E_jjS1G_bEUljE0_EEESZ_S10_S11_S18_S1C_S1E_T6_T7_T9_mT8_S1G_bDpT10_ENKUlT_T0_E_clISt17integral_constantIbLb0EES1T_IbLb1EEEEDaS1P_S1Q_EUlS1P_E_NS1_11comp_targetILNS1_3genE4ELNS1_11target_archE910ELNS1_3gpuE8ELNS1_3repE0EEENS1_30default_config_static_selectorELNS0_4arch9wavefront6targetE0EEEvS12_,"axG",@progbits,_ZN7rocprim17ROCPRIM_400000_NS6detail17trampoline_kernelINS0_13select_configILj256ELj13ELNS0_17block_load_methodE3ELS4_3ELS4_3ELNS0_20block_scan_algorithmE0ELj4294967295EEENS1_25partition_config_selectorILNS1_17partition_subalgoE4EjNS0_10empty_typeEbEEZZNS1_14partition_implILS8_4ELb0ES6_15HIP_vector_typeIjLj2EENS0_17counting_iteratorIjlEEPS9_SG_NS0_5tupleIJPjSI_NS0_16reverse_iteratorISI_EEEEENSH_IJSG_SG_SG_EEES9_SI_JZNS1_25segmented_radix_sort_implINS0_14default_configELb1EPKdPdPKlPlN2at6native12_GLOBAL__N_18offset_tEEE10hipError_tPvRmT1_PNSt15iterator_traitsIS12_E10value_typeET2_T3_PNS13_IS18_E10value_typeET4_jRbjT5_S1E_jjP12ihipStream_tbEUljE_ZNSN_ISO_Lb1ESQ_SR_ST_SU_SY_EESZ_S10_S11_S12_S16_S17_S18_S1B_S1C_jS1D_jS1E_S1E_jjS1G_bEUljE0_EEESZ_S10_S11_S18_S1C_S1E_T6_T7_T9_mT8_S1G_bDpT10_ENKUlT_T0_E_clISt17integral_constantIbLb0EES1T_IbLb1EEEEDaS1P_S1Q_EUlS1P_E_NS1_11comp_targetILNS1_3genE4ELNS1_11target_archE910ELNS1_3gpuE8ELNS1_3repE0EEENS1_30default_config_static_selectorELNS0_4arch9wavefront6targetE0EEEvS12_,comdat
	.globl	_ZN7rocprim17ROCPRIM_400000_NS6detail17trampoline_kernelINS0_13select_configILj256ELj13ELNS0_17block_load_methodE3ELS4_3ELS4_3ELNS0_20block_scan_algorithmE0ELj4294967295EEENS1_25partition_config_selectorILNS1_17partition_subalgoE4EjNS0_10empty_typeEbEEZZNS1_14partition_implILS8_4ELb0ES6_15HIP_vector_typeIjLj2EENS0_17counting_iteratorIjlEEPS9_SG_NS0_5tupleIJPjSI_NS0_16reverse_iteratorISI_EEEEENSH_IJSG_SG_SG_EEES9_SI_JZNS1_25segmented_radix_sort_implINS0_14default_configELb1EPKdPdPKlPlN2at6native12_GLOBAL__N_18offset_tEEE10hipError_tPvRmT1_PNSt15iterator_traitsIS12_E10value_typeET2_T3_PNS13_IS18_E10value_typeET4_jRbjT5_S1E_jjP12ihipStream_tbEUljE_ZNSN_ISO_Lb1ESQ_SR_ST_SU_SY_EESZ_S10_S11_S12_S16_S17_S18_S1B_S1C_jS1D_jS1E_S1E_jjS1G_bEUljE0_EEESZ_S10_S11_S18_S1C_S1E_T6_T7_T9_mT8_S1G_bDpT10_ENKUlT_T0_E_clISt17integral_constantIbLb0EES1T_IbLb1EEEEDaS1P_S1Q_EUlS1P_E_NS1_11comp_targetILNS1_3genE4ELNS1_11target_archE910ELNS1_3gpuE8ELNS1_3repE0EEENS1_30default_config_static_selectorELNS0_4arch9wavefront6targetE0EEEvS12_ ; -- Begin function _ZN7rocprim17ROCPRIM_400000_NS6detail17trampoline_kernelINS0_13select_configILj256ELj13ELNS0_17block_load_methodE3ELS4_3ELS4_3ELNS0_20block_scan_algorithmE0ELj4294967295EEENS1_25partition_config_selectorILNS1_17partition_subalgoE4EjNS0_10empty_typeEbEEZZNS1_14partition_implILS8_4ELb0ES6_15HIP_vector_typeIjLj2EENS0_17counting_iteratorIjlEEPS9_SG_NS0_5tupleIJPjSI_NS0_16reverse_iteratorISI_EEEEENSH_IJSG_SG_SG_EEES9_SI_JZNS1_25segmented_radix_sort_implINS0_14default_configELb1EPKdPdPKlPlN2at6native12_GLOBAL__N_18offset_tEEE10hipError_tPvRmT1_PNSt15iterator_traitsIS12_E10value_typeET2_T3_PNS13_IS18_E10value_typeET4_jRbjT5_S1E_jjP12ihipStream_tbEUljE_ZNSN_ISO_Lb1ESQ_SR_ST_SU_SY_EESZ_S10_S11_S12_S16_S17_S18_S1B_S1C_jS1D_jS1E_S1E_jjS1G_bEUljE0_EEESZ_S10_S11_S18_S1C_S1E_T6_T7_T9_mT8_S1G_bDpT10_ENKUlT_T0_E_clISt17integral_constantIbLb0EES1T_IbLb1EEEEDaS1P_S1Q_EUlS1P_E_NS1_11comp_targetILNS1_3genE4ELNS1_11target_archE910ELNS1_3gpuE8ELNS1_3repE0EEENS1_30default_config_static_selectorELNS0_4arch9wavefront6targetE0EEEvS12_
	.p2align	8
	.type	_ZN7rocprim17ROCPRIM_400000_NS6detail17trampoline_kernelINS0_13select_configILj256ELj13ELNS0_17block_load_methodE3ELS4_3ELS4_3ELNS0_20block_scan_algorithmE0ELj4294967295EEENS1_25partition_config_selectorILNS1_17partition_subalgoE4EjNS0_10empty_typeEbEEZZNS1_14partition_implILS8_4ELb0ES6_15HIP_vector_typeIjLj2EENS0_17counting_iteratorIjlEEPS9_SG_NS0_5tupleIJPjSI_NS0_16reverse_iteratorISI_EEEEENSH_IJSG_SG_SG_EEES9_SI_JZNS1_25segmented_radix_sort_implINS0_14default_configELb1EPKdPdPKlPlN2at6native12_GLOBAL__N_18offset_tEEE10hipError_tPvRmT1_PNSt15iterator_traitsIS12_E10value_typeET2_T3_PNS13_IS18_E10value_typeET4_jRbjT5_S1E_jjP12ihipStream_tbEUljE_ZNSN_ISO_Lb1ESQ_SR_ST_SU_SY_EESZ_S10_S11_S12_S16_S17_S18_S1B_S1C_jS1D_jS1E_S1E_jjS1G_bEUljE0_EEESZ_S10_S11_S18_S1C_S1E_T6_T7_T9_mT8_S1G_bDpT10_ENKUlT_T0_E_clISt17integral_constantIbLb0EES1T_IbLb1EEEEDaS1P_S1Q_EUlS1P_E_NS1_11comp_targetILNS1_3genE4ELNS1_11target_archE910ELNS1_3gpuE8ELNS1_3repE0EEENS1_30default_config_static_selectorELNS0_4arch9wavefront6targetE0EEEvS12_,@function
_ZN7rocprim17ROCPRIM_400000_NS6detail17trampoline_kernelINS0_13select_configILj256ELj13ELNS0_17block_load_methodE3ELS4_3ELS4_3ELNS0_20block_scan_algorithmE0ELj4294967295EEENS1_25partition_config_selectorILNS1_17partition_subalgoE4EjNS0_10empty_typeEbEEZZNS1_14partition_implILS8_4ELb0ES6_15HIP_vector_typeIjLj2EENS0_17counting_iteratorIjlEEPS9_SG_NS0_5tupleIJPjSI_NS0_16reverse_iteratorISI_EEEEENSH_IJSG_SG_SG_EEES9_SI_JZNS1_25segmented_radix_sort_implINS0_14default_configELb1EPKdPdPKlPlN2at6native12_GLOBAL__N_18offset_tEEE10hipError_tPvRmT1_PNSt15iterator_traitsIS12_E10value_typeET2_T3_PNS13_IS18_E10value_typeET4_jRbjT5_S1E_jjP12ihipStream_tbEUljE_ZNSN_ISO_Lb1ESQ_SR_ST_SU_SY_EESZ_S10_S11_S12_S16_S17_S18_S1B_S1C_jS1D_jS1E_S1E_jjS1G_bEUljE0_EEESZ_S10_S11_S18_S1C_S1E_T6_T7_T9_mT8_S1G_bDpT10_ENKUlT_T0_E_clISt17integral_constantIbLb0EES1T_IbLb1EEEEDaS1P_S1Q_EUlS1P_E_NS1_11comp_targetILNS1_3genE4ELNS1_11target_archE910ELNS1_3gpuE8ELNS1_3repE0EEENS1_30default_config_static_selectorELNS0_4arch9wavefront6targetE0EEEvS12_: ; @_ZN7rocprim17ROCPRIM_400000_NS6detail17trampoline_kernelINS0_13select_configILj256ELj13ELNS0_17block_load_methodE3ELS4_3ELS4_3ELNS0_20block_scan_algorithmE0ELj4294967295EEENS1_25partition_config_selectorILNS1_17partition_subalgoE4EjNS0_10empty_typeEbEEZZNS1_14partition_implILS8_4ELb0ES6_15HIP_vector_typeIjLj2EENS0_17counting_iteratorIjlEEPS9_SG_NS0_5tupleIJPjSI_NS0_16reverse_iteratorISI_EEEEENSH_IJSG_SG_SG_EEES9_SI_JZNS1_25segmented_radix_sort_implINS0_14default_configELb1EPKdPdPKlPlN2at6native12_GLOBAL__N_18offset_tEEE10hipError_tPvRmT1_PNSt15iterator_traitsIS12_E10value_typeET2_T3_PNS13_IS18_E10value_typeET4_jRbjT5_S1E_jjP12ihipStream_tbEUljE_ZNSN_ISO_Lb1ESQ_SR_ST_SU_SY_EESZ_S10_S11_S12_S16_S17_S18_S1B_S1C_jS1D_jS1E_S1E_jjS1G_bEUljE0_EEESZ_S10_S11_S18_S1C_S1E_T6_T7_T9_mT8_S1G_bDpT10_ENKUlT_T0_E_clISt17integral_constantIbLb0EES1T_IbLb1EEEEDaS1P_S1Q_EUlS1P_E_NS1_11comp_targetILNS1_3genE4ELNS1_11target_archE910ELNS1_3gpuE8ELNS1_3repE0EEENS1_30default_config_static_selectorELNS0_4arch9wavefront6targetE0EEEvS12_
; %bb.0:
	.section	.rodata,"a",@progbits
	.p2align	6, 0x0
	.amdhsa_kernel _ZN7rocprim17ROCPRIM_400000_NS6detail17trampoline_kernelINS0_13select_configILj256ELj13ELNS0_17block_load_methodE3ELS4_3ELS4_3ELNS0_20block_scan_algorithmE0ELj4294967295EEENS1_25partition_config_selectorILNS1_17partition_subalgoE4EjNS0_10empty_typeEbEEZZNS1_14partition_implILS8_4ELb0ES6_15HIP_vector_typeIjLj2EENS0_17counting_iteratorIjlEEPS9_SG_NS0_5tupleIJPjSI_NS0_16reverse_iteratorISI_EEEEENSH_IJSG_SG_SG_EEES9_SI_JZNS1_25segmented_radix_sort_implINS0_14default_configELb1EPKdPdPKlPlN2at6native12_GLOBAL__N_18offset_tEEE10hipError_tPvRmT1_PNSt15iterator_traitsIS12_E10value_typeET2_T3_PNS13_IS18_E10value_typeET4_jRbjT5_S1E_jjP12ihipStream_tbEUljE_ZNSN_ISO_Lb1ESQ_SR_ST_SU_SY_EESZ_S10_S11_S12_S16_S17_S18_S1B_S1C_jS1D_jS1E_S1E_jjS1G_bEUljE0_EEESZ_S10_S11_S18_S1C_S1E_T6_T7_T9_mT8_S1G_bDpT10_ENKUlT_T0_E_clISt17integral_constantIbLb0EES1T_IbLb1EEEEDaS1P_S1Q_EUlS1P_E_NS1_11comp_targetILNS1_3genE4ELNS1_11target_archE910ELNS1_3gpuE8ELNS1_3repE0EEENS1_30default_config_static_selectorELNS0_4arch9wavefront6targetE0EEEvS12_
		.amdhsa_group_segment_fixed_size 0
		.amdhsa_private_segment_fixed_size 0
		.amdhsa_kernarg_size 184
		.amdhsa_user_sgpr_count 6
		.amdhsa_user_sgpr_private_segment_buffer 1
		.amdhsa_user_sgpr_dispatch_ptr 0
		.amdhsa_user_sgpr_queue_ptr 0
		.amdhsa_user_sgpr_kernarg_segment_ptr 1
		.amdhsa_user_sgpr_dispatch_id 0
		.amdhsa_user_sgpr_flat_scratch_init 0
		.amdhsa_user_sgpr_private_segment_size 0
		.amdhsa_wavefront_size32 1
		.amdhsa_uses_dynamic_stack 0
		.amdhsa_system_sgpr_private_segment_wavefront_offset 0
		.amdhsa_system_sgpr_workgroup_id_x 1
		.amdhsa_system_sgpr_workgroup_id_y 0
		.amdhsa_system_sgpr_workgroup_id_z 0
		.amdhsa_system_sgpr_workgroup_info 0
		.amdhsa_system_vgpr_workitem_id 0
		.amdhsa_next_free_vgpr 1
		.amdhsa_next_free_sgpr 1
		.amdhsa_reserve_vcc 0
		.amdhsa_reserve_flat_scratch 0
		.amdhsa_float_round_mode_32 0
		.amdhsa_float_round_mode_16_64 0
		.amdhsa_float_denorm_mode_32 3
		.amdhsa_float_denorm_mode_16_64 3
		.amdhsa_dx10_clamp 1
		.amdhsa_ieee_mode 1
		.amdhsa_fp16_overflow 0
		.amdhsa_workgroup_processor_mode 1
		.amdhsa_memory_ordered 1
		.amdhsa_forward_progress 1
		.amdhsa_shared_vgpr_count 0
		.amdhsa_exception_fp_ieee_invalid_op 0
		.amdhsa_exception_fp_denorm_src 0
		.amdhsa_exception_fp_ieee_div_zero 0
		.amdhsa_exception_fp_ieee_overflow 0
		.amdhsa_exception_fp_ieee_underflow 0
		.amdhsa_exception_fp_ieee_inexact 0
		.amdhsa_exception_int_div_zero 0
	.end_amdhsa_kernel
	.section	.text._ZN7rocprim17ROCPRIM_400000_NS6detail17trampoline_kernelINS0_13select_configILj256ELj13ELNS0_17block_load_methodE3ELS4_3ELS4_3ELNS0_20block_scan_algorithmE0ELj4294967295EEENS1_25partition_config_selectorILNS1_17partition_subalgoE4EjNS0_10empty_typeEbEEZZNS1_14partition_implILS8_4ELb0ES6_15HIP_vector_typeIjLj2EENS0_17counting_iteratorIjlEEPS9_SG_NS0_5tupleIJPjSI_NS0_16reverse_iteratorISI_EEEEENSH_IJSG_SG_SG_EEES9_SI_JZNS1_25segmented_radix_sort_implINS0_14default_configELb1EPKdPdPKlPlN2at6native12_GLOBAL__N_18offset_tEEE10hipError_tPvRmT1_PNSt15iterator_traitsIS12_E10value_typeET2_T3_PNS13_IS18_E10value_typeET4_jRbjT5_S1E_jjP12ihipStream_tbEUljE_ZNSN_ISO_Lb1ESQ_SR_ST_SU_SY_EESZ_S10_S11_S12_S16_S17_S18_S1B_S1C_jS1D_jS1E_S1E_jjS1G_bEUljE0_EEESZ_S10_S11_S18_S1C_S1E_T6_T7_T9_mT8_S1G_bDpT10_ENKUlT_T0_E_clISt17integral_constantIbLb0EES1T_IbLb1EEEEDaS1P_S1Q_EUlS1P_E_NS1_11comp_targetILNS1_3genE4ELNS1_11target_archE910ELNS1_3gpuE8ELNS1_3repE0EEENS1_30default_config_static_selectorELNS0_4arch9wavefront6targetE0EEEvS12_,"axG",@progbits,_ZN7rocprim17ROCPRIM_400000_NS6detail17trampoline_kernelINS0_13select_configILj256ELj13ELNS0_17block_load_methodE3ELS4_3ELS4_3ELNS0_20block_scan_algorithmE0ELj4294967295EEENS1_25partition_config_selectorILNS1_17partition_subalgoE4EjNS0_10empty_typeEbEEZZNS1_14partition_implILS8_4ELb0ES6_15HIP_vector_typeIjLj2EENS0_17counting_iteratorIjlEEPS9_SG_NS0_5tupleIJPjSI_NS0_16reverse_iteratorISI_EEEEENSH_IJSG_SG_SG_EEES9_SI_JZNS1_25segmented_radix_sort_implINS0_14default_configELb1EPKdPdPKlPlN2at6native12_GLOBAL__N_18offset_tEEE10hipError_tPvRmT1_PNSt15iterator_traitsIS12_E10value_typeET2_T3_PNS13_IS18_E10value_typeET4_jRbjT5_S1E_jjP12ihipStream_tbEUljE_ZNSN_ISO_Lb1ESQ_SR_ST_SU_SY_EESZ_S10_S11_S12_S16_S17_S18_S1B_S1C_jS1D_jS1E_S1E_jjS1G_bEUljE0_EEESZ_S10_S11_S18_S1C_S1E_T6_T7_T9_mT8_S1G_bDpT10_ENKUlT_T0_E_clISt17integral_constantIbLb0EES1T_IbLb1EEEEDaS1P_S1Q_EUlS1P_E_NS1_11comp_targetILNS1_3genE4ELNS1_11target_archE910ELNS1_3gpuE8ELNS1_3repE0EEENS1_30default_config_static_selectorELNS0_4arch9wavefront6targetE0EEEvS12_,comdat
.Lfunc_end1072:
	.size	_ZN7rocprim17ROCPRIM_400000_NS6detail17trampoline_kernelINS0_13select_configILj256ELj13ELNS0_17block_load_methodE3ELS4_3ELS4_3ELNS0_20block_scan_algorithmE0ELj4294967295EEENS1_25partition_config_selectorILNS1_17partition_subalgoE4EjNS0_10empty_typeEbEEZZNS1_14partition_implILS8_4ELb0ES6_15HIP_vector_typeIjLj2EENS0_17counting_iteratorIjlEEPS9_SG_NS0_5tupleIJPjSI_NS0_16reverse_iteratorISI_EEEEENSH_IJSG_SG_SG_EEES9_SI_JZNS1_25segmented_radix_sort_implINS0_14default_configELb1EPKdPdPKlPlN2at6native12_GLOBAL__N_18offset_tEEE10hipError_tPvRmT1_PNSt15iterator_traitsIS12_E10value_typeET2_T3_PNS13_IS18_E10value_typeET4_jRbjT5_S1E_jjP12ihipStream_tbEUljE_ZNSN_ISO_Lb1ESQ_SR_ST_SU_SY_EESZ_S10_S11_S12_S16_S17_S18_S1B_S1C_jS1D_jS1E_S1E_jjS1G_bEUljE0_EEESZ_S10_S11_S18_S1C_S1E_T6_T7_T9_mT8_S1G_bDpT10_ENKUlT_T0_E_clISt17integral_constantIbLb0EES1T_IbLb1EEEEDaS1P_S1Q_EUlS1P_E_NS1_11comp_targetILNS1_3genE4ELNS1_11target_archE910ELNS1_3gpuE8ELNS1_3repE0EEENS1_30default_config_static_selectorELNS0_4arch9wavefront6targetE0EEEvS12_, .Lfunc_end1072-_ZN7rocprim17ROCPRIM_400000_NS6detail17trampoline_kernelINS0_13select_configILj256ELj13ELNS0_17block_load_methodE3ELS4_3ELS4_3ELNS0_20block_scan_algorithmE0ELj4294967295EEENS1_25partition_config_selectorILNS1_17partition_subalgoE4EjNS0_10empty_typeEbEEZZNS1_14partition_implILS8_4ELb0ES6_15HIP_vector_typeIjLj2EENS0_17counting_iteratorIjlEEPS9_SG_NS0_5tupleIJPjSI_NS0_16reverse_iteratorISI_EEEEENSH_IJSG_SG_SG_EEES9_SI_JZNS1_25segmented_radix_sort_implINS0_14default_configELb1EPKdPdPKlPlN2at6native12_GLOBAL__N_18offset_tEEE10hipError_tPvRmT1_PNSt15iterator_traitsIS12_E10value_typeET2_T3_PNS13_IS18_E10value_typeET4_jRbjT5_S1E_jjP12ihipStream_tbEUljE_ZNSN_ISO_Lb1ESQ_SR_ST_SU_SY_EESZ_S10_S11_S12_S16_S17_S18_S1B_S1C_jS1D_jS1E_S1E_jjS1G_bEUljE0_EEESZ_S10_S11_S18_S1C_S1E_T6_T7_T9_mT8_S1G_bDpT10_ENKUlT_T0_E_clISt17integral_constantIbLb0EES1T_IbLb1EEEEDaS1P_S1Q_EUlS1P_E_NS1_11comp_targetILNS1_3genE4ELNS1_11target_archE910ELNS1_3gpuE8ELNS1_3repE0EEENS1_30default_config_static_selectorELNS0_4arch9wavefront6targetE0EEEvS12_
                                        ; -- End function
	.set _ZN7rocprim17ROCPRIM_400000_NS6detail17trampoline_kernelINS0_13select_configILj256ELj13ELNS0_17block_load_methodE3ELS4_3ELS4_3ELNS0_20block_scan_algorithmE0ELj4294967295EEENS1_25partition_config_selectorILNS1_17partition_subalgoE4EjNS0_10empty_typeEbEEZZNS1_14partition_implILS8_4ELb0ES6_15HIP_vector_typeIjLj2EENS0_17counting_iteratorIjlEEPS9_SG_NS0_5tupleIJPjSI_NS0_16reverse_iteratorISI_EEEEENSH_IJSG_SG_SG_EEES9_SI_JZNS1_25segmented_radix_sort_implINS0_14default_configELb1EPKdPdPKlPlN2at6native12_GLOBAL__N_18offset_tEEE10hipError_tPvRmT1_PNSt15iterator_traitsIS12_E10value_typeET2_T3_PNS13_IS18_E10value_typeET4_jRbjT5_S1E_jjP12ihipStream_tbEUljE_ZNSN_ISO_Lb1ESQ_SR_ST_SU_SY_EESZ_S10_S11_S12_S16_S17_S18_S1B_S1C_jS1D_jS1E_S1E_jjS1G_bEUljE0_EEESZ_S10_S11_S18_S1C_S1E_T6_T7_T9_mT8_S1G_bDpT10_ENKUlT_T0_E_clISt17integral_constantIbLb0EES1T_IbLb1EEEEDaS1P_S1Q_EUlS1P_E_NS1_11comp_targetILNS1_3genE4ELNS1_11target_archE910ELNS1_3gpuE8ELNS1_3repE0EEENS1_30default_config_static_selectorELNS0_4arch9wavefront6targetE0EEEvS12_.num_vgpr, 0
	.set _ZN7rocprim17ROCPRIM_400000_NS6detail17trampoline_kernelINS0_13select_configILj256ELj13ELNS0_17block_load_methodE3ELS4_3ELS4_3ELNS0_20block_scan_algorithmE0ELj4294967295EEENS1_25partition_config_selectorILNS1_17partition_subalgoE4EjNS0_10empty_typeEbEEZZNS1_14partition_implILS8_4ELb0ES6_15HIP_vector_typeIjLj2EENS0_17counting_iteratorIjlEEPS9_SG_NS0_5tupleIJPjSI_NS0_16reverse_iteratorISI_EEEEENSH_IJSG_SG_SG_EEES9_SI_JZNS1_25segmented_radix_sort_implINS0_14default_configELb1EPKdPdPKlPlN2at6native12_GLOBAL__N_18offset_tEEE10hipError_tPvRmT1_PNSt15iterator_traitsIS12_E10value_typeET2_T3_PNS13_IS18_E10value_typeET4_jRbjT5_S1E_jjP12ihipStream_tbEUljE_ZNSN_ISO_Lb1ESQ_SR_ST_SU_SY_EESZ_S10_S11_S12_S16_S17_S18_S1B_S1C_jS1D_jS1E_S1E_jjS1G_bEUljE0_EEESZ_S10_S11_S18_S1C_S1E_T6_T7_T9_mT8_S1G_bDpT10_ENKUlT_T0_E_clISt17integral_constantIbLb0EES1T_IbLb1EEEEDaS1P_S1Q_EUlS1P_E_NS1_11comp_targetILNS1_3genE4ELNS1_11target_archE910ELNS1_3gpuE8ELNS1_3repE0EEENS1_30default_config_static_selectorELNS0_4arch9wavefront6targetE0EEEvS12_.num_agpr, 0
	.set _ZN7rocprim17ROCPRIM_400000_NS6detail17trampoline_kernelINS0_13select_configILj256ELj13ELNS0_17block_load_methodE3ELS4_3ELS4_3ELNS0_20block_scan_algorithmE0ELj4294967295EEENS1_25partition_config_selectorILNS1_17partition_subalgoE4EjNS0_10empty_typeEbEEZZNS1_14partition_implILS8_4ELb0ES6_15HIP_vector_typeIjLj2EENS0_17counting_iteratorIjlEEPS9_SG_NS0_5tupleIJPjSI_NS0_16reverse_iteratorISI_EEEEENSH_IJSG_SG_SG_EEES9_SI_JZNS1_25segmented_radix_sort_implINS0_14default_configELb1EPKdPdPKlPlN2at6native12_GLOBAL__N_18offset_tEEE10hipError_tPvRmT1_PNSt15iterator_traitsIS12_E10value_typeET2_T3_PNS13_IS18_E10value_typeET4_jRbjT5_S1E_jjP12ihipStream_tbEUljE_ZNSN_ISO_Lb1ESQ_SR_ST_SU_SY_EESZ_S10_S11_S12_S16_S17_S18_S1B_S1C_jS1D_jS1E_S1E_jjS1G_bEUljE0_EEESZ_S10_S11_S18_S1C_S1E_T6_T7_T9_mT8_S1G_bDpT10_ENKUlT_T0_E_clISt17integral_constantIbLb0EES1T_IbLb1EEEEDaS1P_S1Q_EUlS1P_E_NS1_11comp_targetILNS1_3genE4ELNS1_11target_archE910ELNS1_3gpuE8ELNS1_3repE0EEENS1_30default_config_static_selectorELNS0_4arch9wavefront6targetE0EEEvS12_.numbered_sgpr, 0
	.set _ZN7rocprim17ROCPRIM_400000_NS6detail17trampoline_kernelINS0_13select_configILj256ELj13ELNS0_17block_load_methodE3ELS4_3ELS4_3ELNS0_20block_scan_algorithmE0ELj4294967295EEENS1_25partition_config_selectorILNS1_17partition_subalgoE4EjNS0_10empty_typeEbEEZZNS1_14partition_implILS8_4ELb0ES6_15HIP_vector_typeIjLj2EENS0_17counting_iteratorIjlEEPS9_SG_NS0_5tupleIJPjSI_NS0_16reverse_iteratorISI_EEEEENSH_IJSG_SG_SG_EEES9_SI_JZNS1_25segmented_radix_sort_implINS0_14default_configELb1EPKdPdPKlPlN2at6native12_GLOBAL__N_18offset_tEEE10hipError_tPvRmT1_PNSt15iterator_traitsIS12_E10value_typeET2_T3_PNS13_IS18_E10value_typeET4_jRbjT5_S1E_jjP12ihipStream_tbEUljE_ZNSN_ISO_Lb1ESQ_SR_ST_SU_SY_EESZ_S10_S11_S12_S16_S17_S18_S1B_S1C_jS1D_jS1E_S1E_jjS1G_bEUljE0_EEESZ_S10_S11_S18_S1C_S1E_T6_T7_T9_mT8_S1G_bDpT10_ENKUlT_T0_E_clISt17integral_constantIbLb0EES1T_IbLb1EEEEDaS1P_S1Q_EUlS1P_E_NS1_11comp_targetILNS1_3genE4ELNS1_11target_archE910ELNS1_3gpuE8ELNS1_3repE0EEENS1_30default_config_static_selectorELNS0_4arch9wavefront6targetE0EEEvS12_.num_named_barrier, 0
	.set _ZN7rocprim17ROCPRIM_400000_NS6detail17trampoline_kernelINS0_13select_configILj256ELj13ELNS0_17block_load_methodE3ELS4_3ELS4_3ELNS0_20block_scan_algorithmE0ELj4294967295EEENS1_25partition_config_selectorILNS1_17partition_subalgoE4EjNS0_10empty_typeEbEEZZNS1_14partition_implILS8_4ELb0ES6_15HIP_vector_typeIjLj2EENS0_17counting_iteratorIjlEEPS9_SG_NS0_5tupleIJPjSI_NS0_16reverse_iteratorISI_EEEEENSH_IJSG_SG_SG_EEES9_SI_JZNS1_25segmented_radix_sort_implINS0_14default_configELb1EPKdPdPKlPlN2at6native12_GLOBAL__N_18offset_tEEE10hipError_tPvRmT1_PNSt15iterator_traitsIS12_E10value_typeET2_T3_PNS13_IS18_E10value_typeET4_jRbjT5_S1E_jjP12ihipStream_tbEUljE_ZNSN_ISO_Lb1ESQ_SR_ST_SU_SY_EESZ_S10_S11_S12_S16_S17_S18_S1B_S1C_jS1D_jS1E_S1E_jjS1G_bEUljE0_EEESZ_S10_S11_S18_S1C_S1E_T6_T7_T9_mT8_S1G_bDpT10_ENKUlT_T0_E_clISt17integral_constantIbLb0EES1T_IbLb1EEEEDaS1P_S1Q_EUlS1P_E_NS1_11comp_targetILNS1_3genE4ELNS1_11target_archE910ELNS1_3gpuE8ELNS1_3repE0EEENS1_30default_config_static_selectorELNS0_4arch9wavefront6targetE0EEEvS12_.private_seg_size, 0
	.set _ZN7rocprim17ROCPRIM_400000_NS6detail17trampoline_kernelINS0_13select_configILj256ELj13ELNS0_17block_load_methodE3ELS4_3ELS4_3ELNS0_20block_scan_algorithmE0ELj4294967295EEENS1_25partition_config_selectorILNS1_17partition_subalgoE4EjNS0_10empty_typeEbEEZZNS1_14partition_implILS8_4ELb0ES6_15HIP_vector_typeIjLj2EENS0_17counting_iteratorIjlEEPS9_SG_NS0_5tupleIJPjSI_NS0_16reverse_iteratorISI_EEEEENSH_IJSG_SG_SG_EEES9_SI_JZNS1_25segmented_radix_sort_implINS0_14default_configELb1EPKdPdPKlPlN2at6native12_GLOBAL__N_18offset_tEEE10hipError_tPvRmT1_PNSt15iterator_traitsIS12_E10value_typeET2_T3_PNS13_IS18_E10value_typeET4_jRbjT5_S1E_jjP12ihipStream_tbEUljE_ZNSN_ISO_Lb1ESQ_SR_ST_SU_SY_EESZ_S10_S11_S12_S16_S17_S18_S1B_S1C_jS1D_jS1E_S1E_jjS1G_bEUljE0_EEESZ_S10_S11_S18_S1C_S1E_T6_T7_T9_mT8_S1G_bDpT10_ENKUlT_T0_E_clISt17integral_constantIbLb0EES1T_IbLb1EEEEDaS1P_S1Q_EUlS1P_E_NS1_11comp_targetILNS1_3genE4ELNS1_11target_archE910ELNS1_3gpuE8ELNS1_3repE0EEENS1_30default_config_static_selectorELNS0_4arch9wavefront6targetE0EEEvS12_.uses_vcc, 0
	.set _ZN7rocprim17ROCPRIM_400000_NS6detail17trampoline_kernelINS0_13select_configILj256ELj13ELNS0_17block_load_methodE3ELS4_3ELS4_3ELNS0_20block_scan_algorithmE0ELj4294967295EEENS1_25partition_config_selectorILNS1_17partition_subalgoE4EjNS0_10empty_typeEbEEZZNS1_14partition_implILS8_4ELb0ES6_15HIP_vector_typeIjLj2EENS0_17counting_iteratorIjlEEPS9_SG_NS0_5tupleIJPjSI_NS0_16reverse_iteratorISI_EEEEENSH_IJSG_SG_SG_EEES9_SI_JZNS1_25segmented_radix_sort_implINS0_14default_configELb1EPKdPdPKlPlN2at6native12_GLOBAL__N_18offset_tEEE10hipError_tPvRmT1_PNSt15iterator_traitsIS12_E10value_typeET2_T3_PNS13_IS18_E10value_typeET4_jRbjT5_S1E_jjP12ihipStream_tbEUljE_ZNSN_ISO_Lb1ESQ_SR_ST_SU_SY_EESZ_S10_S11_S12_S16_S17_S18_S1B_S1C_jS1D_jS1E_S1E_jjS1G_bEUljE0_EEESZ_S10_S11_S18_S1C_S1E_T6_T7_T9_mT8_S1G_bDpT10_ENKUlT_T0_E_clISt17integral_constantIbLb0EES1T_IbLb1EEEEDaS1P_S1Q_EUlS1P_E_NS1_11comp_targetILNS1_3genE4ELNS1_11target_archE910ELNS1_3gpuE8ELNS1_3repE0EEENS1_30default_config_static_selectorELNS0_4arch9wavefront6targetE0EEEvS12_.uses_flat_scratch, 0
	.set _ZN7rocprim17ROCPRIM_400000_NS6detail17trampoline_kernelINS0_13select_configILj256ELj13ELNS0_17block_load_methodE3ELS4_3ELS4_3ELNS0_20block_scan_algorithmE0ELj4294967295EEENS1_25partition_config_selectorILNS1_17partition_subalgoE4EjNS0_10empty_typeEbEEZZNS1_14partition_implILS8_4ELb0ES6_15HIP_vector_typeIjLj2EENS0_17counting_iteratorIjlEEPS9_SG_NS0_5tupleIJPjSI_NS0_16reverse_iteratorISI_EEEEENSH_IJSG_SG_SG_EEES9_SI_JZNS1_25segmented_radix_sort_implINS0_14default_configELb1EPKdPdPKlPlN2at6native12_GLOBAL__N_18offset_tEEE10hipError_tPvRmT1_PNSt15iterator_traitsIS12_E10value_typeET2_T3_PNS13_IS18_E10value_typeET4_jRbjT5_S1E_jjP12ihipStream_tbEUljE_ZNSN_ISO_Lb1ESQ_SR_ST_SU_SY_EESZ_S10_S11_S12_S16_S17_S18_S1B_S1C_jS1D_jS1E_S1E_jjS1G_bEUljE0_EEESZ_S10_S11_S18_S1C_S1E_T6_T7_T9_mT8_S1G_bDpT10_ENKUlT_T0_E_clISt17integral_constantIbLb0EES1T_IbLb1EEEEDaS1P_S1Q_EUlS1P_E_NS1_11comp_targetILNS1_3genE4ELNS1_11target_archE910ELNS1_3gpuE8ELNS1_3repE0EEENS1_30default_config_static_selectorELNS0_4arch9wavefront6targetE0EEEvS12_.has_dyn_sized_stack, 0
	.set _ZN7rocprim17ROCPRIM_400000_NS6detail17trampoline_kernelINS0_13select_configILj256ELj13ELNS0_17block_load_methodE3ELS4_3ELS4_3ELNS0_20block_scan_algorithmE0ELj4294967295EEENS1_25partition_config_selectorILNS1_17partition_subalgoE4EjNS0_10empty_typeEbEEZZNS1_14partition_implILS8_4ELb0ES6_15HIP_vector_typeIjLj2EENS0_17counting_iteratorIjlEEPS9_SG_NS0_5tupleIJPjSI_NS0_16reverse_iteratorISI_EEEEENSH_IJSG_SG_SG_EEES9_SI_JZNS1_25segmented_radix_sort_implINS0_14default_configELb1EPKdPdPKlPlN2at6native12_GLOBAL__N_18offset_tEEE10hipError_tPvRmT1_PNSt15iterator_traitsIS12_E10value_typeET2_T3_PNS13_IS18_E10value_typeET4_jRbjT5_S1E_jjP12ihipStream_tbEUljE_ZNSN_ISO_Lb1ESQ_SR_ST_SU_SY_EESZ_S10_S11_S12_S16_S17_S18_S1B_S1C_jS1D_jS1E_S1E_jjS1G_bEUljE0_EEESZ_S10_S11_S18_S1C_S1E_T6_T7_T9_mT8_S1G_bDpT10_ENKUlT_T0_E_clISt17integral_constantIbLb0EES1T_IbLb1EEEEDaS1P_S1Q_EUlS1P_E_NS1_11comp_targetILNS1_3genE4ELNS1_11target_archE910ELNS1_3gpuE8ELNS1_3repE0EEENS1_30default_config_static_selectorELNS0_4arch9wavefront6targetE0EEEvS12_.has_recursion, 0
	.set _ZN7rocprim17ROCPRIM_400000_NS6detail17trampoline_kernelINS0_13select_configILj256ELj13ELNS0_17block_load_methodE3ELS4_3ELS4_3ELNS0_20block_scan_algorithmE0ELj4294967295EEENS1_25partition_config_selectorILNS1_17partition_subalgoE4EjNS0_10empty_typeEbEEZZNS1_14partition_implILS8_4ELb0ES6_15HIP_vector_typeIjLj2EENS0_17counting_iteratorIjlEEPS9_SG_NS0_5tupleIJPjSI_NS0_16reverse_iteratorISI_EEEEENSH_IJSG_SG_SG_EEES9_SI_JZNS1_25segmented_radix_sort_implINS0_14default_configELb1EPKdPdPKlPlN2at6native12_GLOBAL__N_18offset_tEEE10hipError_tPvRmT1_PNSt15iterator_traitsIS12_E10value_typeET2_T3_PNS13_IS18_E10value_typeET4_jRbjT5_S1E_jjP12ihipStream_tbEUljE_ZNSN_ISO_Lb1ESQ_SR_ST_SU_SY_EESZ_S10_S11_S12_S16_S17_S18_S1B_S1C_jS1D_jS1E_S1E_jjS1G_bEUljE0_EEESZ_S10_S11_S18_S1C_S1E_T6_T7_T9_mT8_S1G_bDpT10_ENKUlT_T0_E_clISt17integral_constantIbLb0EES1T_IbLb1EEEEDaS1P_S1Q_EUlS1P_E_NS1_11comp_targetILNS1_3genE4ELNS1_11target_archE910ELNS1_3gpuE8ELNS1_3repE0EEENS1_30default_config_static_selectorELNS0_4arch9wavefront6targetE0EEEvS12_.has_indirect_call, 0
	.section	.AMDGPU.csdata,"",@progbits
; Kernel info:
; codeLenInByte = 0
; TotalNumSgprs: 0
; NumVgprs: 0
; ScratchSize: 0
; MemoryBound: 0
; FloatMode: 240
; IeeeMode: 1
; LDSByteSize: 0 bytes/workgroup (compile time only)
; SGPRBlocks: 0
; VGPRBlocks: 0
; NumSGPRsForWavesPerEU: 1
; NumVGPRsForWavesPerEU: 1
; Occupancy: 16
; WaveLimiterHint : 0
; COMPUTE_PGM_RSRC2:SCRATCH_EN: 0
; COMPUTE_PGM_RSRC2:USER_SGPR: 6
; COMPUTE_PGM_RSRC2:TRAP_HANDLER: 0
; COMPUTE_PGM_RSRC2:TGID_X_EN: 1
; COMPUTE_PGM_RSRC2:TGID_Y_EN: 0
; COMPUTE_PGM_RSRC2:TGID_Z_EN: 0
; COMPUTE_PGM_RSRC2:TIDIG_COMP_CNT: 0
	.section	.text._ZN7rocprim17ROCPRIM_400000_NS6detail17trampoline_kernelINS0_13select_configILj256ELj13ELNS0_17block_load_methodE3ELS4_3ELS4_3ELNS0_20block_scan_algorithmE0ELj4294967295EEENS1_25partition_config_selectorILNS1_17partition_subalgoE4EjNS0_10empty_typeEbEEZZNS1_14partition_implILS8_4ELb0ES6_15HIP_vector_typeIjLj2EENS0_17counting_iteratorIjlEEPS9_SG_NS0_5tupleIJPjSI_NS0_16reverse_iteratorISI_EEEEENSH_IJSG_SG_SG_EEES9_SI_JZNS1_25segmented_radix_sort_implINS0_14default_configELb1EPKdPdPKlPlN2at6native12_GLOBAL__N_18offset_tEEE10hipError_tPvRmT1_PNSt15iterator_traitsIS12_E10value_typeET2_T3_PNS13_IS18_E10value_typeET4_jRbjT5_S1E_jjP12ihipStream_tbEUljE_ZNSN_ISO_Lb1ESQ_SR_ST_SU_SY_EESZ_S10_S11_S12_S16_S17_S18_S1B_S1C_jS1D_jS1E_S1E_jjS1G_bEUljE0_EEESZ_S10_S11_S18_S1C_S1E_T6_T7_T9_mT8_S1G_bDpT10_ENKUlT_T0_E_clISt17integral_constantIbLb0EES1T_IbLb1EEEEDaS1P_S1Q_EUlS1P_E_NS1_11comp_targetILNS1_3genE3ELNS1_11target_archE908ELNS1_3gpuE7ELNS1_3repE0EEENS1_30default_config_static_selectorELNS0_4arch9wavefront6targetE0EEEvS12_,"axG",@progbits,_ZN7rocprim17ROCPRIM_400000_NS6detail17trampoline_kernelINS0_13select_configILj256ELj13ELNS0_17block_load_methodE3ELS4_3ELS4_3ELNS0_20block_scan_algorithmE0ELj4294967295EEENS1_25partition_config_selectorILNS1_17partition_subalgoE4EjNS0_10empty_typeEbEEZZNS1_14partition_implILS8_4ELb0ES6_15HIP_vector_typeIjLj2EENS0_17counting_iteratorIjlEEPS9_SG_NS0_5tupleIJPjSI_NS0_16reverse_iteratorISI_EEEEENSH_IJSG_SG_SG_EEES9_SI_JZNS1_25segmented_radix_sort_implINS0_14default_configELb1EPKdPdPKlPlN2at6native12_GLOBAL__N_18offset_tEEE10hipError_tPvRmT1_PNSt15iterator_traitsIS12_E10value_typeET2_T3_PNS13_IS18_E10value_typeET4_jRbjT5_S1E_jjP12ihipStream_tbEUljE_ZNSN_ISO_Lb1ESQ_SR_ST_SU_SY_EESZ_S10_S11_S12_S16_S17_S18_S1B_S1C_jS1D_jS1E_S1E_jjS1G_bEUljE0_EEESZ_S10_S11_S18_S1C_S1E_T6_T7_T9_mT8_S1G_bDpT10_ENKUlT_T0_E_clISt17integral_constantIbLb0EES1T_IbLb1EEEEDaS1P_S1Q_EUlS1P_E_NS1_11comp_targetILNS1_3genE3ELNS1_11target_archE908ELNS1_3gpuE7ELNS1_3repE0EEENS1_30default_config_static_selectorELNS0_4arch9wavefront6targetE0EEEvS12_,comdat
	.globl	_ZN7rocprim17ROCPRIM_400000_NS6detail17trampoline_kernelINS0_13select_configILj256ELj13ELNS0_17block_load_methodE3ELS4_3ELS4_3ELNS0_20block_scan_algorithmE0ELj4294967295EEENS1_25partition_config_selectorILNS1_17partition_subalgoE4EjNS0_10empty_typeEbEEZZNS1_14partition_implILS8_4ELb0ES6_15HIP_vector_typeIjLj2EENS0_17counting_iteratorIjlEEPS9_SG_NS0_5tupleIJPjSI_NS0_16reverse_iteratorISI_EEEEENSH_IJSG_SG_SG_EEES9_SI_JZNS1_25segmented_radix_sort_implINS0_14default_configELb1EPKdPdPKlPlN2at6native12_GLOBAL__N_18offset_tEEE10hipError_tPvRmT1_PNSt15iterator_traitsIS12_E10value_typeET2_T3_PNS13_IS18_E10value_typeET4_jRbjT5_S1E_jjP12ihipStream_tbEUljE_ZNSN_ISO_Lb1ESQ_SR_ST_SU_SY_EESZ_S10_S11_S12_S16_S17_S18_S1B_S1C_jS1D_jS1E_S1E_jjS1G_bEUljE0_EEESZ_S10_S11_S18_S1C_S1E_T6_T7_T9_mT8_S1G_bDpT10_ENKUlT_T0_E_clISt17integral_constantIbLb0EES1T_IbLb1EEEEDaS1P_S1Q_EUlS1P_E_NS1_11comp_targetILNS1_3genE3ELNS1_11target_archE908ELNS1_3gpuE7ELNS1_3repE0EEENS1_30default_config_static_selectorELNS0_4arch9wavefront6targetE0EEEvS12_ ; -- Begin function _ZN7rocprim17ROCPRIM_400000_NS6detail17trampoline_kernelINS0_13select_configILj256ELj13ELNS0_17block_load_methodE3ELS4_3ELS4_3ELNS0_20block_scan_algorithmE0ELj4294967295EEENS1_25partition_config_selectorILNS1_17partition_subalgoE4EjNS0_10empty_typeEbEEZZNS1_14partition_implILS8_4ELb0ES6_15HIP_vector_typeIjLj2EENS0_17counting_iteratorIjlEEPS9_SG_NS0_5tupleIJPjSI_NS0_16reverse_iteratorISI_EEEEENSH_IJSG_SG_SG_EEES9_SI_JZNS1_25segmented_radix_sort_implINS0_14default_configELb1EPKdPdPKlPlN2at6native12_GLOBAL__N_18offset_tEEE10hipError_tPvRmT1_PNSt15iterator_traitsIS12_E10value_typeET2_T3_PNS13_IS18_E10value_typeET4_jRbjT5_S1E_jjP12ihipStream_tbEUljE_ZNSN_ISO_Lb1ESQ_SR_ST_SU_SY_EESZ_S10_S11_S12_S16_S17_S18_S1B_S1C_jS1D_jS1E_S1E_jjS1G_bEUljE0_EEESZ_S10_S11_S18_S1C_S1E_T6_T7_T9_mT8_S1G_bDpT10_ENKUlT_T0_E_clISt17integral_constantIbLb0EES1T_IbLb1EEEEDaS1P_S1Q_EUlS1P_E_NS1_11comp_targetILNS1_3genE3ELNS1_11target_archE908ELNS1_3gpuE7ELNS1_3repE0EEENS1_30default_config_static_selectorELNS0_4arch9wavefront6targetE0EEEvS12_
	.p2align	8
	.type	_ZN7rocprim17ROCPRIM_400000_NS6detail17trampoline_kernelINS0_13select_configILj256ELj13ELNS0_17block_load_methodE3ELS4_3ELS4_3ELNS0_20block_scan_algorithmE0ELj4294967295EEENS1_25partition_config_selectorILNS1_17partition_subalgoE4EjNS0_10empty_typeEbEEZZNS1_14partition_implILS8_4ELb0ES6_15HIP_vector_typeIjLj2EENS0_17counting_iteratorIjlEEPS9_SG_NS0_5tupleIJPjSI_NS0_16reverse_iteratorISI_EEEEENSH_IJSG_SG_SG_EEES9_SI_JZNS1_25segmented_radix_sort_implINS0_14default_configELb1EPKdPdPKlPlN2at6native12_GLOBAL__N_18offset_tEEE10hipError_tPvRmT1_PNSt15iterator_traitsIS12_E10value_typeET2_T3_PNS13_IS18_E10value_typeET4_jRbjT5_S1E_jjP12ihipStream_tbEUljE_ZNSN_ISO_Lb1ESQ_SR_ST_SU_SY_EESZ_S10_S11_S12_S16_S17_S18_S1B_S1C_jS1D_jS1E_S1E_jjS1G_bEUljE0_EEESZ_S10_S11_S18_S1C_S1E_T6_T7_T9_mT8_S1G_bDpT10_ENKUlT_T0_E_clISt17integral_constantIbLb0EES1T_IbLb1EEEEDaS1P_S1Q_EUlS1P_E_NS1_11comp_targetILNS1_3genE3ELNS1_11target_archE908ELNS1_3gpuE7ELNS1_3repE0EEENS1_30default_config_static_selectorELNS0_4arch9wavefront6targetE0EEEvS12_,@function
_ZN7rocprim17ROCPRIM_400000_NS6detail17trampoline_kernelINS0_13select_configILj256ELj13ELNS0_17block_load_methodE3ELS4_3ELS4_3ELNS0_20block_scan_algorithmE0ELj4294967295EEENS1_25partition_config_selectorILNS1_17partition_subalgoE4EjNS0_10empty_typeEbEEZZNS1_14partition_implILS8_4ELb0ES6_15HIP_vector_typeIjLj2EENS0_17counting_iteratorIjlEEPS9_SG_NS0_5tupleIJPjSI_NS0_16reverse_iteratorISI_EEEEENSH_IJSG_SG_SG_EEES9_SI_JZNS1_25segmented_radix_sort_implINS0_14default_configELb1EPKdPdPKlPlN2at6native12_GLOBAL__N_18offset_tEEE10hipError_tPvRmT1_PNSt15iterator_traitsIS12_E10value_typeET2_T3_PNS13_IS18_E10value_typeET4_jRbjT5_S1E_jjP12ihipStream_tbEUljE_ZNSN_ISO_Lb1ESQ_SR_ST_SU_SY_EESZ_S10_S11_S12_S16_S17_S18_S1B_S1C_jS1D_jS1E_S1E_jjS1G_bEUljE0_EEESZ_S10_S11_S18_S1C_S1E_T6_T7_T9_mT8_S1G_bDpT10_ENKUlT_T0_E_clISt17integral_constantIbLb0EES1T_IbLb1EEEEDaS1P_S1Q_EUlS1P_E_NS1_11comp_targetILNS1_3genE3ELNS1_11target_archE908ELNS1_3gpuE7ELNS1_3repE0EEENS1_30default_config_static_selectorELNS0_4arch9wavefront6targetE0EEEvS12_: ; @_ZN7rocprim17ROCPRIM_400000_NS6detail17trampoline_kernelINS0_13select_configILj256ELj13ELNS0_17block_load_methodE3ELS4_3ELS4_3ELNS0_20block_scan_algorithmE0ELj4294967295EEENS1_25partition_config_selectorILNS1_17partition_subalgoE4EjNS0_10empty_typeEbEEZZNS1_14partition_implILS8_4ELb0ES6_15HIP_vector_typeIjLj2EENS0_17counting_iteratorIjlEEPS9_SG_NS0_5tupleIJPjSI_NS0_16reverse_iteratorISI_EEEEENSH_IJSG_SG_SG_EEES9_SI_JZNS1_25segmented_radix_sort_implINS0_14default_configELb1EPKdPdPKlPlN2at6native12_GLOBAL__N_18offset_tEEE10hipError_tPvRmT1_PNSt15iterator_traitsIS12_E10value_typeET2_T3_PNS13_IS18_E10value_typeET4_jRbjT5_S1E_jjP12ihipStream_tbEUljE_ZNSN_ISO_Lb1ESQ_SR_ST_SU_SY_EESZ_S10_S11_S12_S16_S17_S18_S1B_S1C_jS1D_jS1E_S1E_jjS1G_bEUljE0_EEESZ_S10_S11_S18_S1C_S1E_T6_T7_T9_mT8_S1G_bDpT10_ENKUlT_T0_E_clISt17integral_constantIbLb0EES1T_IbLb1EEEEDaS1P_S1Q_EUlS1P_E_NS1_11comp_targetILNS1_3genE3ELNS1_11target_archE908ELNS1_3gpuE7ELNS1_3repE0EEENS1_30default_config_static_selectorELNS0_4arch9wavefront6targetE0EEEvS12_
; %bb.0:
	.section	.rodata,"a",@progbits
	.p2align	6, 0x0
	.amdhsa_kernel _ZN7rocprim17ROCPRIM_400000_NS6detail17trampoline_kernelINS0_13select_configILj256ELj13ELNS0_17block_load_methodE3ELS4_3ELS4_3ELNS0_20block_scan_algorithmE0ELj4294967295EEENS1_25partition_config_selectorILNS1_17partition_subalgoE4EjNS0_10empty_typeEbEEZZNS1_14partition_implILS8_4ELb0ES6_15HIP_vector_typeIjLj2EENS0_17counting_iteratorIjlEEPS9_SG_NS0_5tupleIJPjSI_NS0_16reverse_iteratorISI_EEEEENSH_IJSG_SG_SG_EEES9_SI_JZNS1_25segmented_radix_sort_implINS0_14default_configELb1EPKdPdPKlPlN2at6native12_GLOBAL__N_18offset_tEEE10hipError_tPvRmT1_PNSt15iterator_traitsIS12_E10value_typeET2_T3_PNS13_IS18_E10value_typeET4_jRbjT5_S1E_jjP12ihipStream_tbEUljE_ZNSN_ISO_Lb1ESQ_SR_ST_SU_SY_EESZ_S10_S11_S12_S16_S17_S18_S1B_S1C_jS1D_jS1E_S1E_jjS1G_bEUljE0_EEESZ_S10_S11_S18_S1C_S1E_T6_T7_T9_mT8_S1G_bDpT10_ENKUlT_T0_E_clISt17integral_constantIbLb0EES1T_IbLb1EEEEDaS1P_S1Q_EUlS1P_E_NS1_11comp_targetILNS1_3genE3ELNS1_11target_archE908ELNS1_3gpuE7ELNS1_3repE0EEENS1_30default_config_static_selectorELNS0_4arch9wavefront6targetE0EEEvS12_
		.amdhsa_group_segment_fixed_size 0
		.amdhsa_private_segment_fixed_size 0
		.amdhsa_kernarg_size 184
		.amdhsa_user_sgpr_count 6
		.amdhsa_user_sgpr_private_segment_buffer 1
		.amdhsa_user_sgpr_dispatch_ptr 0
		.amdhsa_user_sgpr_queue_ptr 0
		.amdhsa_user_sgpr_kernarg_segment_ptr 1
		.amdhsa_user_sgpr_dispatch_id 0
		.amdhsa_user_sgpr_flat_scratch_init 0
		.amdhsa_user_sgpr_private_segment_size 0
		.amdhsa_wavefront_size32 1
		.amdhsa_uses_dynamic_stack 0
		.amdhsa_system_sgpr_private_segment_wavefront_offset 0
		.amdhsa_system_sgpr_workgroup_id_x 1
		.amdhsa_system_sgpr_workgroup_id_y 0
		.amdhsa_system_sgpr_workgroup_id_z 0
		.amdhsa_system_sgpr_workgroup_info 0
		.amdhsa_system_vgpr_workitem_id 0
		.amdhsa_next_free_vgpr 1
		.amdhsa_next_free_sgpr 1
		.amdhsa_reserve_vcc 0
		.amdhsa_reserve_flat_scratch 0
		.amdhsa_float_round_mode_32 0
		.amdhsa_float_round_mode_16_64 0
		.amdhsa_float_denorm_mode_32 3
		.amdhsa_float_denorm_mode_16_64 3
		.amdhsa_dx10_clamp 1
		.amdhsa_ieee_mode 1
		.amdhsa_fp16_overflow 0
		.amdhsa_workgroup_processor_mode 1
		.amdhsa_memory_ordered 1
		.amdhsa_forward_progress 1
		.amdhsa_shared_vgpr_count 0
		.amdhsa_exception_fp_ieee_invalid_op 0
		.amdhsa_exception_fp_denorm_src 0
		.amdhsa_exception_fp_ieee_div_zero 0
		.amdhsa_exception_fp_ieee_overflow 0
		.amdhsa_exception_fp_ieee_underflow 0
		.amdhsa_exception_fp_ieee_inexact 0
		.amdhsa_exception_int_div_zero 0
	.end_amdhsa_kernel
	.section	.text._ZN7rocprim17ROCPRIM_400000_NS6detail17trampoline_kernelINS0_13select_configILj256ELj13ELNS0_17block_load_methodE3ELS4_3ELS4_3ELNS0_20block_scan_algorithmE0ELj4294967295EEENS1_25partition_config_selectorILNS1_17partition_subalgoE4EjNS0_10empty_typeEbEEZZNS1_14partition_implILS8_4ELb0ES6_15HIP_vector_typeIjLj2EENS0_17counting_iteratorIjlEEPS9_SG_NS0_5tupleIJPjSI_NS0_16reverse_iteratorISI_EEEEENSH_IJSG_SG_SG_EEES9_SI_JZNS1_25segmented_radix_sort_implINS0_14default_configELb1EPKdPdPKlPlN2at6native12_GLOBAL__N_18offset_tEEE10hipError_tPvRmT1_PNSt15iterator_traitsIS12_E10value_typeET2_T3_PNS13_IS18_E10value_typeET4_jRbjT5_S1E_jjP12ihipStream_tbEUljE_ZNSN_ISO_Lb1ESQ_SR_ST_SU_SY_EESZ_S10_S11_S12_S16_S17_S18_S1B_S1C_jS1D_jS1E_S1E_jjS1G_bEUljE0_EEESZ_S10_S11_S18_S1C_S1E_T6_T7_T9_mT8_S1G_bDpT10_ENKUlT_T0_E_clISt17integral_constantIbLb0EES1T_IbLb1EEEEDaS1P_S1Q_EUlS1P_E_NS1_11comp_targetILNS1_3genE3ELNS1_11target_archE908ELNS1_3gpuE7ELNS1_3repE0EEENS1_30default_config_static_selectorELNS0_4arch9wavefront6targetE0EEEvS12_,"axG",@progbits,_ZN7rocprim17ROCPRIM_400000_NS6detail17trampoline_kernelINS0_13select_configILj256ELj13ELNS0_17block_load_methodE3ELS4_3ELS4_3ELNS0_20block_scan_algorithmE0ELj4294967295EEENS1_25partition_config_selectorILNS1_17partition_subalgoE4EjNS0_10empty_typeEbEEZZNS1_14partition_implILS8_4ELb0ES6_15HIP_vector_typeIjLj2EENS0_17counting_iteratorIjlEEPS9_SG_NS0_5tupleIJPjSI_NS0_16reverse_iteratorISI_EEEEENSH_IJSG_SG_SG_EEES9_SI_JZNS1_25segmented_radix_sort_implINS0_14default_configELb1EPKdPdPKlPlN2at6native12_GLOBAL__N_18offset_tEEE10hipError_tPvRmT1_PNSt15iterator_traitsIS12_E10value_typeET2_T3_PNS13_IS18_E10value_typeET4_jRbjT5_S1E_jjP12ihipStream_tbEUljE_ZNSN_ISO_Lb1ESQ_SR_ST_SU_SY_EESZ_S10_S11_S12_S16_S17_S18_S1B_S1C_jS1D_jS1E_S1E_jjS1G_bEUljE0_EEESZ_S10_S11_S18_S1C_S1E_T6_T7_T9_mT8_S1G_bDpT10_ENKUlT_T0_E_clISt17integral_constantIbLb0EES1T_IbLb1EEEEDaS1P_S1Q_EUlS1P_E_NS1_11comp_targetILNS1_3genE3ELNS1_11target_archE908ELNS1_3gpuE7ELNS1_3repE0EEENS1_30default_config_static_selectorELNS0_4arch9wavefront6targetE0EEEvS12_,comdat
.Lfunc_end1073:
	.size	_ZN7rocprim17ROCPRIM_400000_NS6detail17trampoline_kernelINS0_13select_configILj256ELj13ELNS0_17block_load_methodE3ELS4_3ELS4_3ELNS0_20block_scan_algorithmE0ELj4294967295EEENS1_25partition_config_selectorILNS1_17partition_subalgoE4EjNS0_10empty_typeEbEEZZNS1_14partition_implILS8_4ELb0ES6_15HIP_vector_typeIjLj2EENS0_17counting_iteratorIjlEEPS9_SG_NS0_5tupleIJPjSI_NS0_16reverse_iteratorISI_EEEEENSH_IJSG_SG_SG_EEES9_SI_JZNS1_25segmented_radix_sort_implINS0_14default_configELb1EPKdPdPKlPlN2at6native12_GLOBAL__N_18offset_tEEE10hipError_tPvRmT1_PNSt15iterator_traitsIS12_E10value_typeET2_T3_PNS13_IS18_E10value_typeET4_jRbjT5_S1E_jjP12ihipStream_tbEUljE_ZNSN_ISO_Lb1ESQ_SR_ST_SU_SY_EESZ_S10_S11_S12_S16_S17_S18_S1B_S1C_jS1D_jS1E_S1E_jjS1G_bEUljE0_EEESZ_S10_S11_S18_S1C_S1E_T6_T7_T9_mT8_S1G_bDpT10_ENKUlT_T0_E_clISt17integral_constantIbLb0EES1T_IbLb1EEEEDaS1P_S1Q_EUlS1P_E_NS1_11comp_targetILNS1_3genE3ELNS1_11target_archE908ELNS1_3gpuE7ELNS1_3repE0EEENS1_30default_config_static_selectorELNS0_4arch9wavefront6targetE0EEEvS12_, .Lfunc_end1073-_ZN7rocprim17ROCPRIM_400000_NS6detail17trampoline_kernelINS0_13select_configILj256ELj13ELNS0_17block_load_methodE3ELS4_3ELS4_3ELNS0_20block_scan_algorithmE0ELj4294967295EEENS1_25partition_config_selectorILNS1_17partition_subalgoE4EjNS0_10empty_typeEbEEZZNS1_14partition_implILS8_4ELb0ES6_15HIP_vector_typeIjLj2EENS0_17counting_iteratorIjlEEPS9_SG_NS0_5tupleIJPjSI_NS0_16reverse_iteratorISI_EEEEENSH_IJSG_SG_SG_EEES9_SI_JZNS1_25segmented_radix_sort_implINS0_14default_configELb1EPKdPdPKlPlN2at6native12_GLOBAL__N_18offset_tEEE10hipError_tPvRmT1_PNSt15iterator_traitsIS12_E10value_typeET2_T3_PNS13_IS18_E10value_typeET4_jRbjT5_S1E_jjP12ihipStream_tbEUljE_ZNSN_ISO_Lb1ESQ_SR_ST_SU_SY_EESZ_S10_S11_S12_S16_S17_S18_S1B_S1C_jS1D_jS1E_S1E_jjS1G_bEUljE0_EEESZ_S10_S11_S18_S1C_S1E_T6_T7_T9_mT8_S1G_bDpT10_ENKUlT_T0_E_clISt17integral_constantIbLb0EES1T_IbLb1EEEEDaS1P_S1Q_EUlS1P_E_NS1_11comp_targetILNS1_3genE3ELNS1_11target_archE908ELNS1_3gpuE7ELNS1_3repE0EEENS1_30default_config_static_selectorELNS0_4arch9wavefront6targetE0EEEvS12_
                                        ; -- End function
	.set _ZN7rocprim17ROCPRIM_400000_NS6detail17trampoline_kernelINS0_13select_configILj256ELj13ELNS0_17block_load_methodE3ELS4_3ELS4_3ELNS0_20block_scan_algorithmE0ELj4294967295EEENS1_25partition_config_selectorILNS1_17partition_subalgoE4EjNS0_10empty_typeEbEEZZNS1_14partition_implILS8_4ELb0ES6_15HIP_vector_typeIjLj2EENS0_17counting_iteratorIjlEEPS9_SG_NS0_5tupleIJPjSI_NS0_16reverse_iteratorISI_EEEEENSH_IJSG_SG_SG_EEES9_SI_JZNS1_25segmented_radix_sort_implINS0_14default_configELb1EPKdPdPKlPlN2at6native12_GLOBAL__N_18offset_tEEE10hipError_tPvRmT1_PNSt15iterator_traitsIS12_E10value_typeET2_T3_PNS13_IS18_E10value_typeET4_jRbjT5_S1E_jjP12ihipStream_tbEUljE_ZNSN_ISO_Lb1ESQ_SR_ST_SU_SY_EESZ_S10_S11_S12_S16_S17_S18_S1B_S1C_jS1D_jS1E_S1E_jjS1G_bEUljE0_EEESZ_S10_S11_S18_S1C_S1E_T6_T7_T9_mT8_S1G_bDpT10_ENKUlT_T0_E_clISt17integral_constantIbLb0EES1T_IbLb1EEEEDaS1P_S1Q_EUlS1P_E_NS1_11comp_targetILNS1_3genE3ELNS1_11target_archE908ELNS1_3gpuE7ELNS1_3repE0EEENS1_30default_config_static_selectorELNS0_4arch9wavefront6targetE0EEEvS12_.num_vgpr, 0
	.set _ZN7rocprim17ROCPRIM_400000_NS6detail17trampoline_kernelINS0_13select_configILj256ELj13ELNS0_17block_load_methodE3ELS4_3ELS4_3ELNS0_20block_scan_algorithmE0ELj4294967295EEENS1_25partition_config_selectorILNS1_17partition_subalgoE4EjNS0_10empty_typeEbEEZZNS1_14partition_implILS8_4ELb0ES6_15HIP_vector_typeIjLj2EENS0_17counting_iteratorIjlEEPS9_SG_NS0_5tupleIJPjSI_NS0_16reverse_iteratorISI_EEEEENSH_IJSG_SG_SG_EEES9_SI_JZNS1_25segmented_radix_sort_implINS0_14default_configELb1EPKdPdPKlPlN2at6native12_GLOBAL__N_18offset_tEEE10hipError_tPvRmT1_PNSt15iterator_traitsIS12_E10value_typeET2_T3_PNS13_IS18_E10value_typeET4_jRbjT5_S1E_jjP12ihipStream_tbEUljE_ZNSN_ISO_Lb1ESQ_SR_ST_SU_SY_EESZ_S10_S11_S12_S16_S17_S18_S1B_S1C_jS1D_jS1E_S1E_jjS1G_bEUljE0_EEESZ_S10_S11_S18_S1C_S1E_T6_T7_T9_mT8_S1G_bDpT10_ENKUlT_T0_E_clISt17integral_constantIbLb0EES1T_IbLb1EEEEDaS1P_S1Q_EUlS1P_E_NS1_11comp_targetILNS1_3genE3ELNS1_11target_archE908ELNS1_3gpuE7ELNS1_3repE0EEENS1_30default_config_static_selectorELNS0_4arch9wavefront6targetE0EEEvS12_.num_agpr, 0
	.set _ZN7rocprim17ROCPRIM_400000_NS6detail17trampoline_kernelINS0_13select_configILj256ELj13ELNS0_17block_load_methodE3ELS4_3ELS4_3ELNS0_20block_scan_algorithmE0ELj4294967295EEENS1_25partition_config_selectorILNS1_17partition_subalgoE4EjNS0_10empty_typeEbEEZZNS1_14partition_implILS8_4ELb0ES6_15HIP_vector_typeIjLj2EENS0_17counting_iteratorIjlEEPS9_SG_NS0_5tupleIJPjSI_NS0_16reverse_iteratorISI_EEEEENSH_IJSG_SG_SG_EEES9_SI_JZNS1_25segmented_radix_sort_implINS0_14default_configELb1EPKdPdPKlPlN2at6native12_GLOBAL__N_18offset_tEEE10hipError_tPvRmT1_PNSt15iterator_traitsIS12_E10value_typeET2_T3_PNS13_IS18_E10value_typeET4_jRbjT5_S1E_jjP12ihipStream_tbEUljE_ZNSN_ISO_Lb1ESQ_SR_ST_SU_SY_EESZ_S10_S11_S12_S16_S17_S18_S1B_S1C_jS1D_jS1E_S1E_jjS1G_bEUljE0_EEESZ_S10_S11_S18_S1C_S1E_T6_T7_T9_mT8_S1G_bDpT10_ENKUlT_T0_E_clISt17integral_constantIbLb0EES1T_IbLb1EEEEDaS1P_S1Q_EUlS1P_E_NS1_11comp_targetILNS1_3genE3ELNS1_11target_archE908ELNS1_3gpuE7ELNS1_3repE0EEENS1_30default_config_static_selectorELNS0_4arch9wavefront6targetE0EEEvS12_.numbered_sgpr, 0
	.set _ZN7rocprim17ROCPRIM_400000_NS6detail17trampoline_kernelINS0_13select_configILj256ELj13ELNS0_17block_load_methodE3ELS4_3ELS4_3ELNS0_20block_scan_algorithmE0ELj4294967295EEENS1_25partition_config_selectorILNS1_17partition_subalgoE4EjNS0_10empty_typeEbEEZZNS1_14partition_implILS8_4ELb0ES6_15HIP_vector_typeIjLj2EENS0_17counting_iteratorIjlEEPS9_SG_NS0_5tupleIJPjSI_NS0_16reverse_iteratorISI_EEEEENSH_IJSG_SG_SG_EEES9_SI_JZNS1_25segmented_radix_sort_implINS0_14default_configELb1EPKdPdPKlPlN2at6native12_GLOBAL__N_18offset_tEEE10hipError_tPvRmT1_PNSt15iterator_traitsIS12_E10value_typeET2_T3_PNS13_IS18_E10value_typeET4_jRbjT5_S1E_jjP12ihipStream_tbEUljE_ZNSN_ISO_Lb1ESQ_SR_ST_SU_SY_EESZ_S10_S11_S12_S16_S17_S18_S1B_S1C_jS1D_jS1E_S1E_jjS1G_bEUljE0_EEESZ_S10_S11_S18_S1C_S1E_T6_T7_T9_mT8_S1G_bDpT10_ENKUlT_T0_E_clISt17integral_constantIbLb0EES1T_IbLb1EEEEDaS1P_S1Q_EUlS1P_E_NS1_11comp_targetILNS1_3genE3ELNS1_11target_archE908ELNS1_3gpuE7ELNS1_3repE0EEENS1_30default_config_static_selectorELNS0_4arch9wavefront6targetE0EEEvS12_.num_named_barrier, 0
	.set _ZN7rocprim17ROCPRIM_400000_NS6detail17trampoline_kernelINS0_13select_configILj256ELj13ELNS0_17block_load_methodE3ELS4_3ELS4_3ELNS0_20block_scan_algorithmE0ELj4294967295EEENS1_25partition_config_selectorILNS1_17partition_subalgoE4EjNS0_10empty_typeEbEEZZNS1_14partition_implILS8_4ELb0ES6_15HIP_vector_typeIjLj2EENS0_17counting_iteratorIjlEEPS9_SG_NS0_5tupleIJPjSI_NS0_16reverse_iteratorISI_EEEEENSH_IJSG_SG_SG_EEES9_SI_JZNS1_25segmented_radix_sort_implINS0_14default_configELb1EPKdPdPKlPlN2at6native12_GLOBAL__N_18offset_tEEE10hipError_tPvRmT1_PNSt15iterator_traitsIS12_E10value_typeET2_T3_PNS13_IS18_E10value_typeET4_jRbjT5_S1E_jjP12ihipStream_tbEUljE_ZNSN_ISO_Lb1ESQ_SR_ST_SU_SY_EESZ_S10_S11_S12_S16_S17_S18_S1B_S1C_jS1D_jS1E_S1E_jjS1G_bEUljE0_EEESZ_S10_S11_S18_S1C_S1E_T6_T7_T9_mT8_S1G_bDpT10_ENKUlT_T0_E_clISt17integral_constantIbLb0EES1T_IbLb1EEEEDaS1P_S1Q_EUlS1P_E_NS1_11comp_targetILNS1_3genE3ELNS1_11target_archE908ELNS1_3gpuE7ELNS1_3repE0EEENS1_30default_config_static_selectorELNS0_4arch9wavefront6targetE0EEEvS12_.private_seg_size, 0
	.set _ZN7rocprim17ROCPRIM_400000_NS6detail17trampoline_kernelINS0_13select_configILj256ELj13ELNS0_17block_load_methodE3ELS4_3ELS4_3ELNS0_20block_scan_algorithmE0ELj4294967295EEENS1_25partition_config_selectorILNS1_17partition_subalgoE4EjNS0_10empty_typeEbEEZZNS1_14partition_implILS8_4ELb0ES6_15HIP_vector_typeIjLj2EENS0_17counting_iteratorIjlEEPS9_SG_NS0_5tupleIJPjSI_NS0_16reverse_iteratorISI_EEEEENSH_IJSG_SG_SG_EEES9_SI_JZNS1_25segmented_radix_sort_implINS0_14default_configELb1EPKdPdPKlPlN2at6native12_GLOBAL__N_18offset_tEEE10hipError_tPvRmT1_PNSt15iterator_traitsIS12_E10value_typeET2_T3_PNS13_IS18_E10value_typeET4_jRbjT5_S1E_jjP12ihipStream_tbEUljE_ZNSN_ISO_Lb1ESQ_SR_ST_SU_SY_EESZ_S10_S11_S12_S16_S17_S18_S1B_S1C_jS1D_jS1E_S1E_jjS1G_bEUljE0_EEESZ_S10_S11_S18_S1C_S1E_T6_T7_T9_mT8_S1G_bDpT10_ENKUlT_T0_E_clISt17integral_constantIbLb0EES1T_IbLb1EEEEDaS1P_S1Q_EUlS1P_E_NS1_11comp_targetILNS1_3genE3ELNS1_11target_archE908ELNS1_3gpuE7ELNS1_3repE0EEENS1_30default_config_static_selectorELNS0_4arch9wavefront6targetE0EEEvS12_.uses_vcc, 0
	.set _ZN7rocprim17ROCPRIM_400000_NS6detail17trampoline_kernelINS0_13select_configILj256ELj13ELNS0_17block_load_methodE3ELS4_3ELS4_3ELNS0_20block_scan_algorithmE0ELj4294967295EEENS1_25partition_config_selectorILNS1_17partition_subalgoE4EjNS0_10empty_typeEbEEZZNS1_14partition_implILS8_4ELb0ES6_15HIP_vector_typeIjLj2EENS0_17counting_iteratorIjlEEPS9_SG_NS0_5tupleIJPjSI_NS0_16reverse_iteratorISI_EEEEENSH_IJSG_SG_SG_EEES9_SI_JZNS1_25segmented_radix_sort_implINS0_14default_configELb1EPKdPdPKlPlN2at6native12_GLOBAL__N_18offset_tEEE10hipError_tPvRmT1_PNSt15iterator_traitsIS12_E10value_typeET2_T3_PNS13_IS18_E10value_typeET4_jRbjT5_S1E_jjP12ihipStream_tbEUljE_ZNSN_ISO_Lb1ESQ_SR_ST_SU_SY_EESZ_S10_S11_S12_S16_S17_S18_S1B_S1C_jS1D_jS1E_S1E_jjS1G_bEUljE0_EEESZ_S10_S11_S18_S1C_S1E_T6_T7_T9_mT8_S1G_bDpT10_ENKUlT_T0_E_clISt17integral_constantIbLb0EES1T_IbLb1EEEEDaS1P_S1Q_EUlS1P_E_NS1_11comp_targetILNS1_3genE3ELNS1_11target_archE908ELNS1_3gpuE7ELNS1_3repE0EEENS1_30default_config_static_selectorELNS0_4arch9wavefront6targetE0EEEvS12_.uses_flat_scratch, 0
	.set _ZN7rocprim17ROCPRIM_400000_NS6detail17trampoline_kernelINS0_13select_configILj256ELj13ELNS0_17block_load_methodE3ELS4_3ELS4_3ELNS0_20block_scan_algorithmE0ELj4294967295EEENS1_25partition_config_selectorILNS1_17partition_subalgoE4EjNS0_10empty_typeEbEEZZNS1_14partition_implILS8_4ELb0ES6_15HIP_vector_typeIjLj2EENS0_17counting_iteratorIjlEEPS9_SG_NS0_5tupleIJPjSI_NS0_16reverse_iteratorISI_EEEEENSH_IJSG_SG_SG_EEES9_SI_JZNS1_25segmented_radix_sort_implINS0_14default_configELb1EPKdPdPKlPlN2at6native12_GLOBAL__N_18offset_tEEE10hipError_tPvRmT1_PNSt15iterator_traitsIS12_E10value_typeET2_T3_PNS13_IS18_E10value_typeET4_jRbjT5_S1E_jjP12ihipStream_tbEUljE_ZNSN_ISO_Lb1ESQ_SR_ST_SU_SY_EESZ_S10_S11_S12_S16_S17_S18_S1B_S1C_jS1D_jS1E_S1E_jjS1G_bEUljE0_EEESZ_S10_S11_S18_S1C_S1E_T6_T7_T9_mT8_S1G_bDpT10_ENKUlT_T0_E_clISt17integral_constantIbLb0EES1T_IbLb1EEEEDaS1P_S1Q_EUlS1P_E_NS1_11comp_targetILNS1_3genE3ELNS1_11target_archE908ELNS1_3gpuE7ELNS1_3repE0EEENS1_30default_config_static_selectorELNS0_4arch9wavefront6targetE0EEEvS12_.has_dyn_sized_stack, 0
	.set _ZN7rocprim17ROCPRIM_400000_NS6detail17trampoline_kernelINS0_13select_configILj256ELj13ELNS0_17block_load_methodE3ELS4_3ELS4_3ELNS0_20block_scan_algorithmE0ELj4294967295EEENS1_25partition_config_selectorILNS1_17partition_subalgoE4EjNS0_10empty_typeEbEEZZNS1_14partition_implILS8_4ELb0ES6_15HIP_vector_typeIjLj2EENS0_17counting_iteratorIjlEEPS9_SG_NS0_5tupleIJPjSI_NS0_16reverse_iteratorISI_EEEEENSH_IJSG_SG_SG_EEES9_SI_JZNS1_25segmented_radix_sort_implINS0_14default_configELb1EPKdPdPKlPlN2at6native12_GLOBAL__N_18offset_tEEE10hipError_tPvRmT1_PNSt15iterator_traitsIS12_E10value_typeET2_T3_PNS13_IS18_E10value_typeET4_jRbjT5_S1E_jjP12ihipStream_tbEUljE_ZNSN_ISO_Lb1ESQ_SR_ST_SU_SY_EESZ_S10_S11_S12_S16_S17_S18_S1B_S1C_jS1D_jS1E_S1E_jjS1G_bEUljE0_EEESZ_S10_S11_S18_S1C_S1E_T6_T7_T9_mT8_S1G_bDpT10_ENKUlT_T0_E_clISt17integral_constantIbLb0EES1T_IbLb1EEEEDaS1P_S1Q_EUlS1P_E_NS1_11comp_targetILNS1_3genE3ELNS1_11target_archE908ELNS1_3gpuE7ELNS1_3repE0EEENS1_30default_config_static_selectorELNS0_4arch9wavefront6targetE0EEEvS12_.has_recursion, 0
	.set _ZN7rocprim17ROCPRIM_400000_NS6detail17trampoline_kernelINS0_13select_configILj256ELj13ELNS0_17block_load_methodE3ELS4_3ELS4_3ELNS0_20block_scan_algorithmE0ELj4294967295EEENS1_25partition_config_selectorILNS1_17partition_subalgoE4EjNS0_10empty_typeEbEEZZNS1_14partition_implILS8_4ELb0ES6_15HIP_vector_typeIjLj2EENS0_17counting_iteratorIjlEEPS9_SG_NS0_5tupleIJPjSI_NS0_16reverse_iteratorISI_EEEEENSH_IJSG_SG_SG_EEES9_SI_JZNS1_25segmented_radix_sort_implINS0_14default_configELb1EPKdPdPKlPlN2at6native12_GLOBAL__N_18offset_tEEE10hipError_tPvRmT1_PNSt15iterator_traitsIS12_E10value_typeET2_T3_PNS13_IS18_E10value_typeET4_jRbjT5_S1E_jjP12ihipStream_tbEUljE_ZNSN_ISO_Lb1ESQ_SR_ST_SU_SY_EESZ_S10_S11_S12_S16_S17_S18_S1B_S1C_jS1D_jS1E_S1E_jjS1G_bEUljE0_EEESZ_S10_S11_S18_S1C_S1E_T6_T7_T9_mT8_S1G_bDpT10_ENKUlT_T0_E_clISt17integral_constantIbLb0EES1T_IbLb1EEEEDaS1P_S1Q_EUlS1P_E_NS1_11comp_targetILNS1_3genE3ELNS1_11target_archE908ELNS1_3gpuE7ELNS1_3repE0EEENS1_30default_config_static_selectorELNS0_4arch9wavefront6targetE0EEEvS12_.has_indirect_call, 0
	.section	.AMDGPU.csdata,"",@progbits
; Kernel info:
; codeLenInByte = 0
; TotalNumSgprs: 0
; NumVgprs: 0
; ScratchSize: 0
; MemoryBound: 0
; FloatMode: 240
; IeeeMode: 1
; LDSByteSize: 0 bytes/workgroup (compile time only)
; SGPRBlocks: 0
; VGPRBlocks: 0
; NumSGPRsForWavesPerEU: 1
; NumVGPRsForWavesPerEU: 1
; Occupancy: 16
; WaveLimiterHint : 0
; COMPUTE_PGM_RSRC2:SCRATCH_EN: 0
; COMPUTE_PGM_RSRC2:USER_SGPR: 6
; COMPUTE_PGM_RSRC2:TRAP_HANDLER: 0
; COMPUTE_PGM_RSRC2:TGID_X_EN: 1
; COMPUTE_PGM_RSRC2:TGID_Y_EN: 0
; COMPUTE_PGM_RSRC2:TGID_Z_EN: 0
; COMPUTE_PGM_RSRC2:TIDIG_COMP_CNT: 0
	.section	.text._ZN7rocprim17ROCPRIM_400000_NS6detail17trampoline_kernelINS0_13select_configILj256ELj13ELNS0_17block_load_methodE3ELS4_3ELS4_3ELNS0_20block_scan_algorithmE0ELj4294967295EEENS1_25partition_config_selectorILNS1_17partition_subalgoE4EjNS0_10empty_typeEbEEZZNS1_14partition_implILS8_4ELb0ES6_15HIP_vector_typeIjLj2EENS0_17counting_iteratorIjlEEPS9_SG_NS0_5tupleIJPjSI_NS0_16reverse_iteratorISI_EEEEENSH_IJSG_SG_SG_EEES9_SI_JZNS1_25segmented_radix_sort_implINS0_14default_configELb1EPKdPdPKlPlN2at6native12_GLOBAL__N_18offset_tEEE10hipError_tPvRmT1_PNSt15iterator_traitsIS12_E10value_typeET2_T3_PNS13_IS18_E10value_typeET4_jRbjT5_S1E_jjP12ihipStream_tbEUljE_ZNSN_ISO_Lb1ESQ_SR_ST_SU_SY_EESZ_S10_S11_S12_S16_S17_S18_S1B_S1C_jS1D_jS1E_S1E_jjS1G_bEUljE0_EEESZ_S10_S11_S18_S1C_S1E_T6_T7_T9_mT8_S1G_bDpT10_ENKUlT_T0_E_clISt17integral_constantIbLb0EES1T_IbLb1EEEEDaS1P_S1Q_EUlS1P_E_NS1_11comp_targetILNS1_3genE2ELNS1_11target_archE906ELNS1_3gpuE6ELNS1_3repE0EEENS1_30default_config_static_selectorELNS0_4arch9wavefront6targetE0EEEvS12_,"axG",@progbits,_ZN7rocprim17ROCPRIM_400000_NS6detail17trampoline_kernelINS0_13select_configILj256ELj13ELNS0_17block_load_methodE3ELS4_3ELS4_3ELNS0_20block_scan_algorithmE0ELj4294967295EEENS1_25partition_config_selectorILNS1_17partition_subalgoE4EjNS0_10empty_typeEbEEZZNS1_14partition_implILS8_4ELb0ES6_15HIP_vector_typeIjLj2EENS0_17counting_iteratorIjlEEPS9_SG_NS0_5tupleIJPjSI_NS0_16reverse_iteratorISI_EEEEENSH_IJSG_SG_SG_EEES9_SI_JZNS1_25segmented_radix_sort_implINS0_14default_configELb1EPKdPdPKlPlN2at6native12_GLOBAL__N_18offset_tEEE10hipError_tPvRmT1_PNSt15iterator_traitsIS12_E10value_typeET2_T3_PNS13_IS18_E10value_typeET4_jRbjT5_S1E_jjP12ihipStream_tbEUljE_ZNSN_ISO_Lb1ESQ_SR_ST_SU_SY_EESZ_S10_S11_S12_S16_S17_S18_S1B_S1C_jS1D_jS1E_S1E_jjS1G_bEUljE0_EEESZ_S10_S11_S18_S1C_S1E_T6_T7_T9_mT8_S1G_bDpT10_ENKUlT_T0_E_clISt17integral_constantIbLb0EES1T_IbLb1EEEEDaS1P_S1Q_EUlS1P_E_NS1_11comp_targetILNS1_3genE2ELNS1_11target_archE906ELNS1_3gpuE6ELNS1_3repE0EEENS1_30default_config_static_selectorELNS0_4arch9wavefront6targetE0EEEvS12_,comdat
	.globl	_ZN7rocprim17ROCPRIM_400000_NS6detail17trampoline_kernelINS0_13select_configILj256ELj13ELNS0_17block_load_methodE3ELS4_3ELS4_3ELNS0_20block_scan_algorithmE0ELj4294967295EEENS1_25partition_config_selectorILNS1_17partition_subalgoE4EjNS0_10empty_typeEbEEZZNS1_14partition_implILS8_4ELb0ES6_15HIP_vector_typeIjLj2EENS0_17counting_iteratorIjlEEPS9_SG_NS0_5tupleIJPjSI_NS0_16reverse_iteratorISI_EEEEENSH_IJSG_SG_SG_EEES9_SI_JZNS1_25segmented_radix_sort_implINS0_14default_configELb1EPKdPdPKlPlN2at6native12_GLOBAL__N_18offset_tEEE10hipError_tPvRmT1_PNSt15iterator_traitsIS12_E10value_typeET2_T3_PNS13_IS18_E10value_typeET4_jRbjT5_S1E_jjP12ihipStream_tbEUljE_ZNSN_ISO_Lb1ESQ_SR_ST_SU_SY_EESZ_S10_S11_S12_S16_S17_S18_S1B_S1C_jS1D_jS1E_S1E_jjS1G_bEUljE0_EEESZ_S10_S11_S18_S1C_S1E_T6_T7_T9_mT8_S1G_bDpT10_ENKUlT_T0_E_clISt17integral_constantIbLb0EES1T_IbLb1EEEEDaS1P_S1Q_EUlS1P_E_NS1_11comp_targetILNS1_3genE2ELNS1_11target_archE906ELNS1_3gpuE6ELNS1_3repE0EEENS1_30default_config_static_selectorELNS0_4arch9wavefront6targetE0EEEvS12_ ; -- Begin function _ZN7rocprim17ROCPRIM_400000_NS6detail17trampoline_kernelINS0_13select_configILj256ELj13ELNS0_17block_load_methodE3ELS4_3ELS4_3ELNS0_20block_scan_algorithmE0ELj4294967295EEENS1_25partition_config_selectorILNS1_17partition_subalgoE4EjNS0_10empty_typeEbEEZZNS1_14partition_implILS8_4ELb0ES6_15HIP_vector_typeIjLj2EENS0_17counting_iteratorIjlEEPS9_SG_NS0_5tupleIJPjSI_NS0_16reverse_iteratorISI_EEEEENSH_IJSG_SG_SG_EEES9_SI_JZNS1_25segmented_radix_sort_implINS0_14default_configELb1EPKdPdPKlPlN2at6native12_GLOBAL__N_18offset_tEEE10hipError_tPvRmT1_PNSt15iterator_traitsIS12_E10value_typeET2_T3_PNS13_IS18_E10value_typeET4_jRbjT5_S1E_jjP12ihipStream_tbEUljE_ZNSN_ISO_Lb1ESQ_SR_ST_SU_SY_EESZ_S10_S11_S12_S16_S17_S18_S1B_S1C_jS1D_jS1E_S1E_jjS1G_bEUljE0_EEESZ_S10_S11_S18_S1C_S1E_T6_T7_T9_mT8_S1G_bDpT10_ENKUlT_T0_E_clISt17integral_constantIbLb0EES1T_IbLb1EEEEDaS1P_S1Q_EUlS1P_E_NS1_11comp_targetILNS1_3genE2ELNS1_11target_archE906ELNS1_3gpuE6ELNS1_3repE0EEENS1_30default_config_static_selectorELNS0_4arch9wavefront6targetE0EEEvS12_
	.p2align	8
	.type	_ZN7rocprim17ROCPRIM_400000_NS6detail17trampoline_kernelINS0_13select_configILj256ELj13ELNS0_17block_load_methodE3ELS4_3ELS4_3ELNS0_20block_scan_algorithmE0ELj4294967295EEENS1_25partition_config_selectorILNS1_17partition_subalgoE4EjNS0_10empty_typeEbEEZZNS1_14partition_implILS8_4ELb0ES6_15HIP_vector_typeIjLj2EENS0_17counting_iteratorIjlEEPS9_SG_NS0_5tupleIJPjSI_NS0_16reverse_iteratorISI_EEEEENSH_IJSG_SG_SG_EEES9_SI_JZNS1_25segmented_radix_sort_implINS0_14default_configELb1EPKdPdPKlPlN2at6native12_GLOBAL__N_18offset_tEEE10hipError_tPvRmT1_PNSt15iterator_traitsIS12_E10value_typeET2_T3_PNS13_IS18_E10value_typeET4_jRbjT5_S1E_jjP12ihipStream_tbEUljE_ZNSN_ISO_Lb1ESQ_SR_ST_SU_SY_EESZ_S10_S11_S12_S16_S17_S18_S1B_S1C_jS1D_jS1E_S1E_jjS1G_bEUljE0_EEESZ_S10_S11_S18_S1C_S1E_T6_T7_T9_mT8_S1G_bDpT10_ENKUlT_T0_E_clISt17integral_constantIbLb0EES1T_IbLb1EEEEDaS1P_S1Q_EUlS1P_E_NS1_11comp_targetILNS1_3genE2ELNS1_11target_archE906ELNS1_3gpuE6ELNS1_3repE0EEENS1_30default_config_static_selectorELNS0_4arch9wavefront6targetE0EEEvS12_,@function
_ZN7rocprim17ROCPRIM_400000_NS6detail17trampoline_kernelINS0_13select_configILj256ELj13ELNS0_17block_load_methodE3ELS4_3ELS4_3ELNS0_20block_scan_algorithmE0ELj4294967295EEENS1_25partition_config_selectorILNS1_17partition_subalgoE4EjNS0_10empty_typeEbEEZZNS1_14partition_implILS8_4ELb0ES6_15HIP_vector_typeIjLj2EENS0_17counting_iteratorIjlEEPS9_SG_NS0_5tupleIJPjSI_NS0_16reverse_iteratorISI_EEEEENSH_IJSG_SG_SG_EEES9_SI_JZNS1_25segmented_radix_sort_implINS0_14default_configELb1EPKdPdPKlPlN2at6native12_GLOBAL__N_18offset_tEEE10hipError_tPvRmT1_PNSt15iterator_traitsIS12_E10value_typeET2_T3_PNS13_IS18_E10value_typeET4_jRbjT5_S1E_jjP12ihipStream_tbEUljE_ZNSN_ISO_Lb1ESQ_SR_ST_SU_SY_EESZ_S10_S11_S12_S16_S17_S18_S1B_S1C_jS1D_jS1E_S1E_jjS1G_bEUljE0_EEESZ_S10_S11_S18_S1C_S1E_T6_T7_T9_mT8_S1G_bDpT10_ENKUlT_T0_E_clISt17integral_constantIbLb0EES1T_IbLb1EEEEDaS1P_S1Q_EUlS1P_E_NS1_11comp_targetILNS1_3genE2ELNS1_11target_archE906ELNS1_3gpuE6ELNS1_3repE0EEENS1_30default_config_static_selectorELNS0_4arch9wavefront6targetE0EEEvS12_: ; @_ZN7rocprim17ROCPRIM_400000_NS6detail17trampoline_kernelINS0_13select_configILj256ELj13ELNS0_17block_load_methodE3ELS4_3ELS4_3ELNS0_20block_scan_algorithmE0ELj4294967295EEENS1_25partition_config_selectorILNS1_17partition_subalgoE4EjNS0_10empty_typeEbEEZZNS1_14partition_implILS8_4ELb0ES6_15HIP_vector_typeIjLj2EENS0_17counting_iteratorIjlEEPS9_SG_NS0_5tupleIJPjSI_NS0_16reverse_iteratorISI_EEEEENSH_IJSG_SG_SG_EEES9_SI_JZNS1_25segmented_radix_sort_implINS0_14default_configELb1EPKdPdPKlPlN2at6native12_GLOBAL__N_18offset_tEEE10hipError_tPvRmT1_PNSt15iterator_traitsIS12_E10value_typeET2_T3_PNS13_IS18_E10value_typeET4_jRbjT5_S1E_jjP12ihipStream_tbEUljE_ZNSN_ISO_Lb1ESQ_SR_ST_SU_SY_EESZ_S10_S11_S12_S16_S17_S18_S1B_S1C_jS1D_jS1E_S1E_jjS1G_bEUljE0_EEESZ_S10_S11_S18_S1C_S1E_T6_T7_T9_mT8_S1G_bDpT10_ENKUlT_T0_E_clISt17integral_constantIbLb0EES1T_IbLb1EEEEDaS1P_S1Q_EUlS1P_E_NS1_11comp_targetILNS1_3genE2ELNS1_11target_archE906ELNS1_3gpuE6ELNS1_3repE0EEENS1_30default_config_static_selectorELNS0_4arch9wavefront6targetE0EEEvS12_
; %bb.0:
	.section	.rodata,"a",@progbits
	.p2align	6, 0x0
	.amdhsa_kernel _ZN7rocprim17ROCPRIM_400000_NS6detail17trampoline_kernelINS0_13select_configILj256ELj13ELNS0_17block_load_methodE3ELS4_3ELS4_3ELNS0_20block_scan_algorithmE0ELj4294967295EEENS1_25partition_config_selectorILNS1_17partition_subalgoE4EjNS0_10empty_typeEbEEZZNS1_14partition_implILS8_4ELb0ES6_15HIP_vector_typeIjLj2EENS0_17counting_iteratorIjlEEPS9_SG_NS0_5tupleIJPjSI_NS0_16reverse_iteratorISI_EEEEENSH_IJSG_SG_SG_EEES9_SI_JZNS1_25segmented_radix_sort_implINS0_14default_configELb1EPKdPdPKlPlN2at6native12_GLOBAL__N_18offset_tEEE10hipError_tPvRmT1_PNSt15iterator_traitsIS12_E10value_typeET2_T3_PNS13_IS18_E10value_typeET4_jRbjT5_S1E_jjP12ihipStream_tbEUljE_ZNSN_ISO_Lb1ESQ_SR_ST_SU_SY_EESZ_S10_S11_S12_S16_S17_S18_S1B_S1C_jS1D_jS1E_S1E_jjS1G_bEUljE0_EEESZ_S10_S11_S18_S1C_S1E_T6_T7_T9_mT8_S1G_bDpT10_ENKUlT_T0_E_clISt17integral_constantIbLb0EES1T_IbLb1EEEEDaS1P_S1Q_EUlS1P_E_NS1_11comp_targetILNS1_3genE2ELNS1_11target_archE906ELNS1_3gpuE6ELNS1_3repE0EEENS1_30default_config_static_selectorELNS0_4arch9wavefront6targetE0EEEvS12_
		.amdhsa_group_segment_fixed_size 0
		.amdhsa_private_segment_fixed_size 0
		.amdhsa_kernarg_size 184
		.amdhsa_user_sgpr_count 6
		.amdhsa_user_sgpr_private_segment_buffer 1
		.amdhsa_user_sgpr_dispatch_ptr 0
		.amdhsa_user_sgpr_queue_ptr 0
		.amdhsa_user_sgpr_kernarg_segment_ptr 1
		.amdhsa_user_sgpr_dispatch_id 0
		.amdhsa_user_sgpr_flat_scratch_init 0
		.amdhsa_user_sgpr_private_segment_size 0
		.amdhsa_wavefront_size32 1
		.amdhsa_uses_dynamic_stack 0
		.amdhsa_system_sgpr_private_segment_wavefront_offset 0
		.amdhsa_system_sgpr_workgroup_id_x 1
		.amdhsa_system_sgpr_workgroup_id_y 0
		.amdhsa_system_sgpr_workgroup_id_z 0
		.amdhsa_system_sgpr_workgroup_info 0
		.amdhsa_system_vgpr_workitem_id 0
		.amdhsa_next_free_vgpr 1
		.amdhsa_next_free_sgpr 1
		.amdhsa_reserve_vcc 0
		.amdhsa_reserve_flat_scratch 0
		.amdhsa_float_round_mode_32 0
		.amdhsa_float_round_mode_16_64 0
		.amdhsa_float_denorm_mode_32 3
		.amdhsa_float_denorm_mode_16_64 3
		.amdhsa_dx10_clamp 1
		.amdhsa_ieee_mode 1
		.amdhsa_fp16_overflow 0
		.amdhsa_workgroup_processor_mode 1
		.amdhsa_memory_ordered 1
		.amdhsa_forward_progress 1
		.amdhsa_shared_vgpr_count 0
		.amdhsa_exception_fp_ieee_invalid_op 0
		.amdhsa_exception_fp_denorm_src 0
		.amdhsa_exception_fp_ieee_div_zero 0
		.amdhsa_exception_fp_ieee_overflow 0
		.amdhsa_exception_fp_ieee_underflow 0
		.amdhsa_exception_fp_ieee_inexact 0
		.amdhsa_exception_int_div_zero 0
	.end_amdhsa_kernel
	.section	.text._ZN7rocprim17ROCPRIM_400000_NS6detail17trampoline_kernelINS0_13select_configILj256ELj13ELNS0_17block_load_methodE3ELS4_3ELS4_3ELNS0_20block_scan_algorithmE0ELj4294967295EEENS1_25partition_config_selectorILNS1_17partition_subalgoE4EjNS0_10empty_typeEbEEZZNS1_14partition_implILS8_4ELb0ES6_15HIP_vector_typeIjLj2EENS0_17counting_iteratorIjlEEPS9_SG_NS0_5tupleIJPjSI_NS0_16reverse_iteratorISI_EEEEENSH_IJSG_SG_SG_EEES9_SI_JZNS1_25segmented_radix_sort_implINS0_14default_configELb1EPKdPdPKlPlN2at6native12_GLOBAL__N_18offset_tEEE10hipError_tPvRmT1_PNSt15iterator_traitsIS12_E10value_typeET2_T3_PNS13_IS18_E10value_typeET4_jRbjT5_S1E_jjP12ihipStream_tbEUljE_ZNSN_ISO_Lb1ESQ_SR_ST_SU_SY_EESZ_S10_S11_S12_S16_S17_S18_S1B_S1C_jS1D_jS1E_S1E_jjS1G_bEUljE0_EEESZ_S10_S11_S18_S1C_S1E_T6_T7_T9_mT8_S1G_bDpT10_ENKUlT_T0_E_clISt17integral_constantIbLb0EES1T_IbLb1EEEEDaS1P_S1Q_EUlS1P_E_NS1_11comp_targetILNS1_3genE2ELNS1_11target_archE906ELNS1_3gpuE6ELNS1_3repE0EEENS1_30default_config_static_selectorELNS0_4arch9wavefront6targetE0EEEvS12_,"axG",@progbits,_ZN7rocprim17ROCPRIM_400000_NS6detail17trampoline_kernelINS0_13select_configILj256ELj13ELNS0_17block_load_methodE3ELS4_3ELS4_3ELNS0_20block_scan_algorithmE0ELj4294967295EEENS1_25partition_config_selectorILNS1_17partition_subalgoE4EjNS0_10empty_typeEbEEZZNS1_14partition_implILS8_4ELb0ES6_15HIP_vector_typeIjLj2EENS0_17counting_iteratorIjlEEPS9_SG_NS0_5tupleIJPjSI_NS0_16reverse_iteratorISI_EEEEENSH_IJSG_SG_SG_EEES9_SI_JZNS1_25segmented_radix_sort_implINS0_14default_configELb1EPKdPdPKlPlN2at6native12_GLOBAL__N_18offset_tEEE10hipError_tPvRmT1_PNSt15iterator_traitsIS12_E10value_typeET2_T3_PNS13_IS18_E10value_typeET4_jRbjT5_S1E_jjP12ihipStream_tbEUljE_ZNSN_ISO_Lb1ESQ_SR_ST_SU_SY_EESZ_S10_S11_S12_S16_S17_S18_S1B_S1C_jS1D_jS1E_S1E_jjS1G_bEUljE0_EEESZ_S10_S11_S18_S1C_S1E_T6_T7_T9_mT8_S1G_bDpT10_ENKUlT_T0_E_clISt17integral_constantIbLb0EES1T_IbLb1EEEEDaS1P_S1Q_EUlS1P_E_NS1_11comp_targetILNS1_3genE2ELNS1_11target_archE906ELNS1_3gpuE6ELNS1_3repE0EEENS1_30default_config_static_selectorELNS0_4arch9wavefront6targetE0EEEvS12_,comdat
.Lfunc_end1074:
	.size	_ZN7rocprim17ROCPRIM_400000_NS6detail17trampoline_kernelINS0_13select_configILj256ELj13ELNS0_17block_load_methodE3ELS4_3ELS4_3ELNS0_20block_scan_algorithmE0ELj4294967295EEENS1_25partition_config_selectorILNS1_17partition_subalgoE4EjNS0_10empty_typeEbEEZZNS1_14partition_implILS8_4ELb0ES6_15HIP_vector_typeIjLj2EENS0_17counting_iteratorIjlEEPS9_SG_NS0_5tupleIJPjSI_NS0_16reverse_iteratorISI_EEEEENSH_IJSG_SG_SG_EEES9_SI_JZNS1_25segmented_radix_sort_implINS0_14default_configELb1EPKdPdPKlPlN2at6native12_GLOBAL__N_18offset_tEEE10hipError_tPvRmT1_PNSt15iterator_traitsIS12_E10value_typeET2_T3_PNS13_IS18_E10value_typeET4_jRbjT5_S1E_jjP12ihipStream_tbEUljE_ZNSN_ISO_Lb1ESQ_SR_ST_SU_SY_EESZ_S10_S11_S12_S16_S17_S18_S1B_S1C_jS1D_jS1E_S1E_jjS1G_bEUljE0_EEESZ_S10_S11_S18_S1C_S1E_T6_T7_T9_mT8_S1G_bDpT10_ENKUlT_T0_E_clISt17integral_constantIbLb0EES1T_IbLb1EEEEDaS1P_S1Q_EUlS1P_E_NS1_11comp_targetILNS1_3genE2ELNS1_11target_archE906ELNS1_3gpuE6ELNS1_3repE0EEENS1_30default_config_static_selectorELNS0_4arch9wavefront6targetE0EEEvS12_, .Lfunc_end1074-_ZN7rocprim17ROCPRIM_400000_NS6detail17trampoline_kernelINS0_13select_configILj256ELj13ELNS0_17block_load_methodE3ELS4_3ELS4_3ELNS0_20block_scan_algorithmE0ELj4294967295EEENS1_25partition_config_selectorILNS1_17partition_subalgoE4EjNS0_10empty_typeEbEEZZNS1_14partition_implILS8_4ELb0ES6_15HIP_vector_typeIjLj2EENS0_17counting_iteratorIjlEEPS9_SG_NS0_5tupleIJPjSI_NS0_16reverse_iteratorISI_EEEEENSH_IJSG_SG_SG_EEES9_SI_JZNS1_25segmented_radix_sort_implINS0_14default_configELb1EPKdPdPKlPlN2at6native12_GLOBAL__N_18offset_tEEE10hipError_tPvRmT1_PNSt15iterator_traitsIS12_E10value_typeET2_T3_PNS13_IS18_E10value_typeET4_jRbjT5_S1E_jjP12ihipStream_tbEUljE_ZNSN_ISO_Lb1ESQ_SR_ST_SU_SY_EESZ_S10_S11_S12_S16_S17_S18_S1B_S1C_jS1D_jS1E_S1E_jjS1G_bEUljE0_EEESZ_S10_S11_S18_S1C_S1E_T6_T7_T9_mT8_S1G_bDpT10_ENKUlT_T0_E_clISt17integral_constantIbLb0EES1T_IbLb1EEEEDaS1P_S1Q_EUlS1P_E_NS1_11comp_targetILNS1_3genE2ELNS1_11target_archE906ELNS1_3gpuE6ELNS1_3repE0EEENS1_30default_config_static_selectorELNS0_4arch9wavefront6targetE0EEEvS12_
                                        ; -- End function
	.set _ZN7rocprim17ROCPRIM_400000_NS6detail17trampoline_kernelINS0_13select_configILj256ELj13ELNS0_17block_load_methodE3ELS4_3ELS4_3ELNS0_20block_scan_algorithmE0ELj4294967295EEENS1_25partition_config_selectorILNS1_17partition_subalgoE4EjNS0_10empty_typeEbEEZZNS1_14partition_implILS8_4ELb0ES6_15HIP_vector_typeIjLj2EENS0_17counting_iteratorIjlEEPS9_SG_NS0_5tupleIJPjSI_NS0_16reverse_iteratorISI_EEEEENSH_IJSG_SG_SG_EEES9_SI_JZNS1_25segmented_radix_sort_implINS0_14default_configELb1EPKdPdPKlPlN2at6native12_GLOBAL__N_18offset_tEEE10hipError_tPvRmT1_PNSt15iterator_traitsIS12_E10value_typeET2_T3_PNS13_IS18_E10value_typeET4_jRbjT5_S1E_jjP12ihipStream_tbEUljE_ZNSN_ISO_Lb1ESQ_SR_ST_SU_SY_EESZ_S10_S11_S12_S16_S17_S18_S1B_S1C_jS1D_jS1E_S1E_jjS1G_bEUljE0_EEESZ_S10_S11_S18_S1C_S1E_T6_T7_T9_mT8_S1G_bDpT10_ENKUlT_T0_E_clISt17integral_constantIbLb0EES1T_IbLb1EEEEDaS1P_S1Q_EUlS1P_E_NS1_11comp_targetILNS1_3genE2ELNS1_11target_archE906ELNS1_3gpuE6ELNS1_3repE0EEENS1_30default_config_static_selectorELNS0_4arch9wavefront6targetE0EEEvS12_.num_vgpr, 0
	.set _ZN7rocprim17ROCPRIM_400000_NS6detail17trampoline_kernelINS0_13select_configILj256ELj13ELNS0_17block_load_methodE3ELS4_3ELS4_3ELNS0_20block_scan_algorithmE0ELj4294967295EEENS1_25partition_config_selectorILNS1_17partition_subalgoE4EjNS0_10empty_typeEbEEZZNS1_14partition_implILS8_4ELb0ES6_15HIP_vector_typeIjLj2EENS0_17counting_iteratorIjlEEPS9_SG_NS0_5tupleIJPjSI_NS0_16reverse_iteratorISI_EEEEENSH_IJSG_SG_SG_EEES9_SI_JZNS1_25segmented_radix_sort_implINS0_14default_configELb1EPKdPdPKlPlN2at6native12_GLOBAL__N_18offset_tEEE10hipError_tPvRmT1_PNSt15iterator_traitsIS12_E10value_typeET2_T3_PNS13_IS18_E10value_typeET4_jRbjT5_S1E_jjP12ihipStream_tbEUljE_ZNSN_ISO_Lb1ESQ_SR_ST_SU_SY_EESZ_S10_S11_S12_S16_S17_S18_S1B_S1C_jS1D_jS1E_S1E_jjS1G_bEUljE0_EEESZ_S10_S11_S18_S1C_S1E_T6_T7_T9_mT8_S1G_bDpT10_ENKUlT_T0_E_clISt17integral_constantIbLb0EES1T_IbLb1EEEEDaS1P_S1Q_EUlS1P_E_NS1_11comp_targetILNS1_3genE2ELNS1_11target_archE906ELNS1_3gpuE6ELNS1_3repE0EEENS1_30default_config_static_selectorELNS0_4arch9wavefront6targetE0EEEvS12_.num_agpr, 0
	.set _ZN7rocprim17ROCPRIM_400000_NS6detail17trampoline_kernelINS0_13select_configILj256ELj13ELNS0_17block_load_methodE3ELS4_3ELS4_3ELNS0_20block_scan_algorithmE0ELj4294967295EEENS1_25partition_config_selectorILNS1_17partition_subalgoE4EjNS0_10empty_typeEbEEZZNS1_14partition_implILS8_4ELb0ES6_15HIP_vector_typeIjLj2EENS0_17counting_iteratorIjlEEPS9_SG_NS0_5tupleIJPjSI_NS0_16reverse_iteratorISI_EEEEENSH_IJSG_SG_SG_EEES9_SI_JZNS1_25segmented_radix_sort_implINS0_14default_configELb1EPKdPdPKlPlN2at6native12_GLOBAL__N_18offset_tEEE10hipError_tPvRmT1_PNSt15iterator_traitsIS12_E10value_typeET2_T3_PNS13_IS18_E10value_typeET4_jRbjT5_S1E_jjP12ihipStream_tbEUljE_ZNSN_ISO_Lb1ESQ_SR_ST_SU_SY_EESZ_S10_S11_S12_S16_S17_S18_S1B_S1C_jS1D_jS1E_S1E_jjS1G_bEUljE0_EEESZ_S10_S11_S18_S1C_S1E_T6_T7_T9_mT8_S1G_bDpT10_ENKUlT_T0_E_clISt17integral_constantIbLb0EES1T_IbLb1EEEEDaS1P_S1Q_EUlS1P_E_NS1_11comp_targetILNS1_3genE2ELNS1_11target_archE906ELNS1_3gpuE6ELNS1_3repE0EEENS1_30default_config_static_selectorELNS0_4arch9wavefront6targetE0EEEvS12_.numbered_sgpr, 0
	.set _ZN7rocprim17ROCPRIM_400000_NS6detail17trampoline_kernelINS0_13select_configILj256ELj13ELNS0_17block_load_methodE3ELS4_3ELS4_3ELNS0_20block_scan_algorithmE0ELj4294967295EEENS1_25partition_config_selectorILNS1_17partition_subalgoE4EjNS0_10empty_typeEbEEZZNS1_14partition_implILS8_4ELb0ES6_15HIP_vector_typeIjLj2EENS0_17counting_iteratorIjlEEPS9_SG_NS0_5tupleIJPjSI_NS0_16reverse_iteratorISI_EEEEENSH_IJSG_SG_SG_EEES9_SI_JZNS1_25segmented_radix_sort_implINS0_14default_configELb1EPKdPdPKlPlN2at6native12_GLOBAL__N_18offset_tEEE10hipError_tPvRmT1_PNSt15iterator_traitsIS12_E10value_typeET2_T3_PNS13_IS18_E10value_typeET4_jRbjT5_S1E_jjP12ihipStream_tbEUljE_ZNSN_ISO_Lb1ESQ_SR_ST_SU_SY_EESZ_S10_S11_S12_S16_S17_S18_S1B_S1C_jS1D_jS1E_S1E_jjS1G_bEUljE0_EEESZ_S10_S11_S18_S1C_S1E_T6_T7_T9_mT8_S1G_bDpT10_ENKUlT_T0_E_clISt17integral_constantIbLb0EES1T_IbLb1EEEEDaS1P_S1Q_EUlS1P_E_NS1_11comp_targetILNS1_3genE2ELNS1_11target_archE906ELNS1_3gpuE6ELNS1_3repE0EEENS1_30default_config_static_selectorELNS0_4arch9wavefront6targetE0EEEvS12_.num_named_barrier, 0
	.set _ZN7rocprim17ROCPRIM_400000_NS6detail17trampoline_kernelINS0_13select_configILj256ELj13ELNS0_17block_load_methodE3ELS4_3ELS4_3ELNS0_20block_scan_algorithmE0ELj4294967295EEENS1_25partition_config_selectorILNS1_17partition_subalgoE4EjNS0_10empty_typeEbEEZZNS1_14partition_implILS8_4ELb0ES6_15HIP_vector_typeIjLj2EENS0_17counting_iteratorIjlEEPS9_SG_NS0_5tupleIJPjSI_NS0_16reverse_iteratorISI_EEEEENSH_IJSG_SG_SG_EEES9_SI_JZNS1_25segmented_radix_sort_implINS0_14default_configELb1EPKdPdPKlPlN2at6native12_GLOBAL__N_18offset_tEEE10hipError_tPvRmT1_PNSt15iterator_traitsIS12_E10value_typeET2_T3_PNS13_IS18_E10value_typeET4_jRbjT5_S1E_jjP12ihipStream_tbEUljE_ZNSN_ISO_Lb1ESQ_SR_ST_SU_SY_EESZ_S10_S11_S12_S16_S17_S18_S1B_S1C_jS1D_jS1E_S1E_jjS1G_bEUljE0_EEESZ_S10_S11_S18_S1C_S1E_T6_T7_T9_mT8_S1G_bDpT10_ENKUlT_T0_E_clISt17integral_constantIbLb0EES1T_IbLb1EEEEDaS1P_S1Q_EUlS1P_E_NS1_11comp_targetILNS1_3genE2ELNS1_11target_archE906ELNS1_3gpuE6ELNS1_3repE0EEENS1_30default_config_static_selectorELNS0_4arch9wavefront6targetE0EEEvS12_.private_seg_size, 0
	.set _ZN7rocprim17ROCPRIM_400000_NS6detail17trampoline_kernelINS0_13select_configILj256ELj13ELNS0_17block_load_methodE3ELS4_3ELS4_3ELNS0_20block_scan_algorithmE0ELj4294967295EEENS1_25partition_config_selectorILNS1_17partition_subalgoE4EjNS0_10empty_typeEbEEZZNS1_14partition_implILS8_4ELb0ES6_15HIP_vector_typeIjLj2EENS0_17counting_iteratorIjlEEPS9_SG_NS0_5tupleIJPjSI_NS0_16reverse_iteratorISI_EEEEENSH_IJSG_SG_SG_EEES9_SI_JZNS1_25segmented_radix_sort_implINS0_14default_configELb1EPKdPdPKlPlN2at6native12_GLOBAL__N_18offset_tEEE10hipError_tPvRmT1_PNSt15iterator_traitsIS12_E10value_typeET2_T3_PNS13_IS18_E10value_typeET4_jRbjT5_S1E_jjP12ihipStream_tbEUljE_ZNSN_ISO_Lb1ESQ_SR_ST_SU_SY_EESZ_S10_S11_S12_S16_S17_S18_S1B_S1C_jS1D_jS1E_S1E_jjS1G_bEUljE0_EEESZ_S10_S11_S18_S1C_S1E_T6_T7_T9_mT8_S1G_bDpT10_ENKUlT_T0_E_clISt17integral_constantIbLb0EES1T_IbLb1EEEEDaS1P_S1Q_EUlS1P_E_NS1_11comp_targetILNS1_3genE2ELNS1_11target_archE906ELNS1_3gpuE6ELNS1_3repE0EEENS1_30default_config_static_selectorELNS0_4arch9wavefront6targetE0EEEvS12_.uses_vcc, 0
	.set _ZN7rocprim17ROCPRIM_400000_NS6detail17trampoline_kernelINS0_13select_configILj256ELj13ELNS0_17block_load_methodE3ELS4_3ELS4_3ELNS0_20block_scan_algorithmE0ELj4294967295EEENS1_25partition_config_selectorILNS1_17partition_subalgoE4EjNS0_10empty_typeEbEEZZNS1_14partition_implILS8_4ELb0ES6_15HIP_vector_typeIjLj2EENS0_17counting_iteratorIjlEEPS9_SG_NS0_5tupleIJPjSI_NS0_16reverse_iteratorISI_EEEEENSH_IJSG_SG_SG_EEES9_SI_JZNS1_25segmented_radix_sort_implINS0_14default_configELb1EPKdPdPKlPlN2at6native12_GLOBAL__N_18offset_tEEE10hipError_tPvRmT1_PNSt15iterator_traitsIS12_E10value_typeET2_T3_PNS13_IS18_E10value_typeET4_jRbjT5_S1E_jjP12ihipStream_tbEUljE_ZNSN_ISO_Lb1ESQ_SR_ST_SU_SY_EESZ_S10_S11_S12_S16_S17_S18_S1B_S1C_jS1D_jS1E_S1E_jjS1G_bEUljE0_EEESZ_S10_S11_S18_S1C_S1E_T6_T7_T9_mT8_S1G_bDpT10_ENKUlT_T0_E_clISt17integral_constantIbLb0EES1T_IbLb1EEEEDaS1P_S1Q_EUlS1P_E_NS1_11comp_targetILNS1_3genE2ELNS1_11target_archE906ELNS1_3gpuE6ELNS1_3repE0EEENS1_30default_config_static_selectorELNS0_4arch9wavefront6targetE0EEEvS12_.uses_flat_scratch, 0
	.set _ZN7rocprim17ROCPRIM_400000_NS6detail17trampoline_kernelINS0_13select_configILj256ELj13ELNS0_17block_load_methodE3ELS4_3ELS4_3ELNS0_20block_scan_algorithmE0ELj4294967295EEENS1_25partition_config_selectorILNS1_17partition_subalgoE4EjNS0_10empty_typeEbEEZZNS1_14partition_implILS8_4ELb0ES6_15HIP_vector_typeIjLj2EENS0_17counting_iteratorIjlEEPS9_SG_NS0_5tupleIJPjSI_NS0_16reverse_iteratorISI_EEEEENSH_IJSG_SG_SG_EEES9_SI_JZNS1_25segmented_radix_sort_implINS0_14default_configELb1EPKdPdPKlPlN2at6native12_GLOBAL__N_18offset_tEEE10hipError_tPvRmT1_PNSt15iterator_traitsIS12_E10value_typeET2_T3_PNS13_IS18_E10value_typeET4_jRbjT5_S1E_jjP12ihipStream_tbEUljE_ZNSN_ISO_Lb1ESQ_SR_ST_SU_SY_EESZ_S10_S11_S12_S16_S17_S18_S1B_S1C_jS1D_jS1E_S1E_jjS1G_bEUljE0_EEESZ_S10_S11_S18_S1C_S1E_T6_T7_T9_mT8_S1G_bDpT10_ENKUlT_T0_E_clISt17integral_constantIbLb0EES1T_IbLb1EEEEDaS1P_S1Q_EUlS1P_E_NS1_11comp_targetILNS1_3genE2ELNS1_11target_archE906ELNS1_3gpuE6ELNS1_3repE0EEENS1_30default_config_static_selectorELNS0_4arch9wavefront6targetE0EEEvS12_.has_dyn_sized_stack, 0
	.set _ZN7rocprim17ROCPRIM_400000_NS6detail17trampoline_kernelINS0_13select_configILj256ELj13ELNS0_17block_load_methodE3ELS4_3ELS4_3ELNS0_20block_scan_algorithmE0ELj4294967295EEENS1_25partition_config_selectorILNS1_17partition_subalgoE4EjNS0_10empty_typeEbEEZZNS1_14partition_implILS8_4ELb0ES6_15HIP_vector_typeIjLj2EENS0_17counting_iteratorIjlEEPS9_SG_NS0_5tupleIJPjSI_NS0_16reverse_iteratorISI_EEEEENSH_IJSG_SG_SG_EEES9_SI_JZNS1_25segmented_radix_sort_implINS0_14default_configELb1EPKdPdPKlPlN2at6native12_GLOBAL__N_18offset_tEEE10hipError_tPvRmT1_PNSt15iterator_traitsIS12_E10value_typeET2_T3_PNS13_IS18_E10value_typeET4_jRbjT5_S1E_jjP12ihipStream_tbEUljE_ZNSN_ISO_Lb1ESQ_SR_ST_SU_SY_EESZ_S10_S11_S12_S16_S17_S18_S1B_S1C_jS1D_jS1E_S1E_jjS1G_bEUljE0_EEESZ_S10_S11_S18_S1C_S1E_T6_T7_T9_mT8_S1G_bDpT10_ENKUlT_T0_E_clISt17integral_constantIbLb0EES1T_IbLb1EEEEDaS1P_S1Q_EUlS1P_E_NS1_11comp_targetILNS1_3genE2ELNS1_11target_archE906ELNS1_3gpuE6ELNS1_3repE0EEENS1_30default_config_static_selectorELNS0_4arch9wavefront6targetE0EEEvS12_.has_recursion, 0
	.set _ZN7rocprim17ROCPRIM_400000_NS6detail17trampoline_kernelINS0_13select_configILj256ELj13ELNS0_17block_load_methodE3ELS4_3ELS4_3ELNS0_20block_scan_algorithmE0ELj4294967295EEENS1_25partition_config_selectorILNS1_17partition_subalgoE4EjNS0_10empty_typeEbEEZZNS1_14partition_implILS8_4ELb0ES6_15HIP_vector_typeIjLj2EENS0_17counting_iteratorIjlEEPS9_SG_NS0_5tupleIJPjSI_NS0_16reverse_iteratorISI_EEEEENSH_IJSG_SG_SG_EEES9_SI_JZNS1_25segmented_radix_sort_implINS0_14default_configELb1EPKdPdPKlPlN2at6native12_GLOBAL__N_18offset_tEEE10hipError_tPvRmT1_PNSt15iterator_traitsIS12_E10value_typeET2_T3_PNS13_IS18_E10value_typeET4_jRbjT5_S1E_jjP12ihipStream_tbEUljE_ZNSN_ISO_Lb1ESQ_SR_ST_SU_SY_EESZ_S10_S11_S12_S16_S17_S18_S1B_S1C_jS1D_jS1E_S1E_jjS1G_bEUljE0_EEESZ_S10_S11_S18_S1C_S1E_T6_T7_T9_mT8_S1G_bDpT10_ENKUlT_T0_E_clISt17integral_constantIbLb0EES1T_IbLb1EEEEDaS1P_S1Q_EUlS1P_E_NS1_11comp_targetILNS1_3genE2ELNS1_11target_archE906ELNS1_3gpuE6ELNS1_3repE0EEENS1_30default_config_static_selectorELNS0_4arch9wavefront6targetE0EEEvS12_.has_indirect_call, 0
	.section	.AMDGPU.csdata,"",@progbits
; Kernel info:
; codeLenInByte = 0
; TotalNumSgprs: 0
; NumVgprs: 0
; ScratchSize: 0
; MemoryBound: 0
; FloatMode: 240
; IeeeMode: 1
; LDSByteSize: 0 bytes/workgroup (compile time only)
; SGPRBlocks: 0
; VGPRBlocks: 0
; NumSGPRsForWavesPerEU: 1
; NumVGPRsForWavesPerEU: 1
; Occupancy: 16
; WaveLimiterHint : 0
; COMPUTE_PGM_RSRC2:SCRATCH_EN: 0
; COMPUTE_PGM_RSRC2:USER_SGPR: 6
; COMPUTE_PGM_RSRC2:TRAP_HANDLER: 0
; COMPUTE_PGM_RSRC2:TGID_X_EN: 1
; COMPUTE_PGM_RSRC2:TGID_Y_EN: 0
; COMPUTE_PGM_RSRC2:TGID_Z_EN: 0
; COMPUTE_PGM_RSRC2:TIDIG_COMP_CNT: 0
	.section	.text._ZN7rocprim17ROCPRIM_400000_NS6detail17trampoline_kernelINS0_13select_configILj256ELj13ELNS0_17block_load_methodE3ELS4_3ELS4_3ELNS0_20block_scan_algorithmE0ELj4294967295EEENS1_25partition_config_selectorILNS1_17partition_subalgoE4EjNS0_10empty_typeEbEEZZNS1_14partition_implILS8_4ELb0ES6_15HIP_vector_typeIjLj2EENS0_17counting_iteratorIjlEEPS9_SG_NS0_5tupleIJPjSI_NS0_16reverse_iteratorISI_EEEEENSH_IJSG_SG_SG_EEES9_SI_JZNS1_25segmented_radix_sort_implINS0_14default_configELb1EPKdPdPKlPlN2at6native12_GLOBAL__N_18offset_tEEE10hipError_tPvRmT1_PNSt15iterator_traitsIS12_E10value_typeET2_T3_PNS13_IS18_E10value_typeET4_jRbjT5_S1E_jjP12ihipStream_tbEUljE_ZNSN_ISO_Lb1ESQ_SR_ST_SU_SY_EESZ_S10_S11_S12_S16_S17_S18_S1B_S1C_jS1D_jS1E_S1E_jjS1G_bEUljE0_EEESZ_S10_S11_S18_S1C_S1E_T6_T7_T9_mT8_S1G_bDpT10_ENKUlT_T0_E_clISt17integral_constantIbLb0EES1T_IbLb1EEEEDaS1P_S1Q_EUlS1P_E_NS1_11comp_targetILNS1_3genE10ELNS1_11target_archE1200ELNS1_3gpuE4ELNS1_3repE0EEENS1_30default_config_static_selectorELNS0_4arch9wavefront6targetE0EEEvS12_,"axG",@progbits,_ZN7rocprim17ROCPRIM_400000_NS6detail17trampoline_kernelINS0_13select_configILj256ELj13ELNS0_17block_load_methodE3ELS4_3ELS4_3ELNS0_20block_scan_algorithmE0ELj4294967295EEENS1_25partition_config_selectorILNS1_17partition_subalgoE4EjNS0_10empty_typeEbEEZZNS1_14partition_implILS8_4ELb0ES6_15HIP_vector_typeIjLj2EENS0_17counting_iteratorIjlEEPS9_SG_NS0_5tupleIJPjSI_NS0_16reverse_iteratorISI_EEEEENSH_IJSG_SG_SG_EEES9_SI_JZNS1_25segmented_radix_sort_implINS0_14default_configELb1EPKdPdPKlPlN2at6native12_GLOBAL__N_18offset_tEEE10hipError_tPvRmT1_PNSt15iterator_traitsIS12_E10value_typeET2_T3_PNS13_IS18_E10value_typeET4_jRbjT5_S1E_jjP12ihipStream_tbEUljE_ZNSN_ISO_Lb1ESQ_SR_ST_SU_SY_EESZ_S10_S11_S12_S16_S17_S18_S1B_S1C_jS1D_jS1E_S1E_jjS1G_bEUljE0_EEESZ_S10_S11_S18_S1C_S1E_T6_T7_T9_mT8_S1G_bDpT10_ENKUlT_T0_E_clISt17integral_constantIbLb0EES1T_IbLb1EEEEDaS1P_S1Q_EUlS1P_E_NS1_11comp_targetILNS1_3genE10ELNS1_11target_archE1200ELNS1_3gpuE4ELNS1_3repE0EEENS1_30default_config_static_selectorELNS0_4arch9wavefront6targetE0EEEvS12_,comdat
	.globl	_ZN7rocprim17ROCPRIM_400000_NS6detail17trampoline_kernelINS0_13select_configILj256ELj13ELNS0_17block_load_methodE3ELS4_3ELS4_3ELNS0_20block_scan_algorithmE0ELj4294967295EEENS1_25partition_config_selectorILNS1_17partition_subalgoE4EjNS0_10empty_typeEbEEZZNS1_14partition_implILS8_4ELb0ES6_15HIP_vector_typeIjLj2EENS0_17counting_iteratorIjlEEPS9_SG_NS0_5tupleIJPjSI_NS0_16reverse_iteratorISI_EEEEENSH_IJSG_SG_SG_EEES9_SI_JZNS1_25segmented_radix_sort_implINS0_14default_configELb1EPKdPdPKlPlN2at6native12_GLOBAL__N_18offset_tEEE10hipError_tPvRmT1_PNSt15iterator_traitsIS12_E10value_typeET2_T3_PNS13_IS18_E10value_typeET4_jRbjT5_S1E_jjP12ihipStream_tbEUljE_ZNSN_ISO_Lb1ESQ_SR_ST_SU_SY_EESZ_S10_S11_S12_S16_S17_S18_S1B_S1C_jS1D_jS1E_S1E_jjS1G_bEUljE0_EEESZ_S10_S11_S18_S1C_S1E_T6_T7_T9_mT8_S1G_bDpT10_ENKUlT_T0_E_clISt17integral_constantIbLb0EES1T_IbLb1EEEEDaS1P_S1Q_EUlS1P_E_NS1_11comp_targetILNS1_3genE10ELNS1_11target_archE1200ELNS1_3gpuE4ELNS1_3repE0EEENS1_30default_config_static_selectorELNS0_4arch9wavefront6targetE0EEEvS12_ ; -- Begin function _ZN7rocprim17ROCPRIM_400000_NS6detail17trampoline_kernelINS0_13select_configILj256ELj13ELNS0_17block_load_methodE3ELS4_3ELS4_3ELNS0_20block_scan_algorithmE0ELj4294967295EEENS1_25partition_config_selectorILNS1_17partition_subalgoE4EjNS0_10empty_typeEbEEZZNS1_14partition_implILS8_4ELb0ES6_15HIP_vector_typeIjLj2EENS0_17counting_iteratorIjlEEPS9_SG_NS0_5tupleIJPjSI_NS0_16reverse_iteratorISI_EEEEENSH_IJSG_SG_SG_EEES9_SI_JZNS1_25segmented_radix_sort_implINS0_14default_configELb1EPKdPdPKlPlN2at6native12_GLOBAL__N_18offset_tEEE10hipError_tPvRmT1_PNSt15iterator_traitsIS12_E10value_typeET2_T3_PNS13_IS18_E10value_typeET4_jRbjT5_S1E_jjP12ihipStream_tbEUljE_ZNSN_ISO_Lb1ESQ_SR_ST_SU_SY_EESZ_S10_S11_S12_S16_S17_S18_S1B_S1C_jS1D_jS1E_S1E_jjS1G_bEUljE0_EEESZ_S10_S11_S18_S1C_S1E_T6_T7_T9_mT8_S1G_bDpT10_ENKUlT_T0_E_clISt17integral_constantIbLb0EES1T_IbLb1EEEEDaS1P_S1Q_EUlS1P_E_NS1_11comp_targetILNS1_3genE10ELNS1_11target_archE1200ELNS1_3gpuE4ELNS1_3repE0EEENS1_30default_config_static_selectorELNS0_4arch9wavefront6targetE0EEEvS12_
	.p2align	8
	.type	_ZN7rocprim17ROCPRIM_400000_NS6detail17trampoline_kernelINS0_13select_configILj256ELj13ELNS0_17block_load_methodE3ELS4_3ELS4_3ELNS0_20block_scan_algorithmE0ELj4294967295EEENS1_25partition_config_selectorILNS1_17partition_subalgoE4EjNS0_10empty_typeEbEEZZNS1_14partition_implILS8_4ELb0ES6_15HIP_vector_typeIjLj2EENS0_17counting_iteratorIjlEEPS9_SG_NS0_5tupleIJPjSI_NS0_16reverse_iteratorISI_EEEEENSH_IJSG_SG_SG_EEES9_SI_JZNS1_25segmented_radix_sort_implINS0_14default_configELb1EPKdPdPKlPlN2at6native12_GLOBAL__N_18offset_tEEE10hipError_tPvRmT1_PNSt15iterator_traitsIS12_E10value_typeET2_T3_PNS13_IS18_E10value_typeET4_jRbjT5_S1E_jjP12ihipStream_tbEUljE_ZNSN_ISO_Lb1ESQ_SR_ST_SU_SY_EESZ_S10_S11_S12_S16_S17_S18_S1B_S1C_jS1D_jS1E_S1E_jjS1G_bEUljE0_EEESZ_S10_S11_S18_S1C_S1E_T6_T7_T9_mT8_S1G_bDpT10_ENKUlT_T0_E_clISt17integral_constantIbLb0EES1T_IbLb1EEEEDaS1P_S1Q_EUlS1P_E_NS1_11comp_targetILNS1_3genE10ELNS1_11target_archE1200ELNS1_3gpuE4ELNS1_3repE0EEENS1_30default_config_static_selectorELNS0_4arch9wavefront6targetE0EEEvS12_,@function
_ZN7rocprim17ROCPRIM_400000_NS6detail17trampoline_kernelINS0_13select_configILj256ELj13ELNS0_17block_load_methodE3ELS4_3ELS4_3ELNS0_20block_scan_algorithmE0ELj4294967295EEENS1_25partition_config_selectorILNS1_17partition_subalgoE4EjNS0_10empty_typeEbEEZZNS1_14partition_implILS8_4ELb0ES6_15HIP_vector_typeIjLj2EENS0_17counting_iteratorIjlEEPS9_SG_NS0_5tupleIJPjSI_NS0_16reverse_iteratorISI_EEEEENSH_IJSG_SG_SG_EEES9_SI_JZNS1_25segmented_radix_sort_implINS0_14default_configELb1EPKdPdPKlPlN2at6native12_GLOBAL__N_18offset_tEEE10hipError_tPvRmT1_PNSt15iterator_traitsIS12_E10value_typeET2_T3_PNS13_IS18_E10value_typeET4_jRbjT5_S1E_jjP12ihipStream_tbEUljE_ZNSN_ISO_Lb1ESQ_SR_ST_SU_SY_EESZ_S10_S11_S12_S16_S17_S18_S1B_S1C_jS1D_jS1E_S1E_jjS1G_bEUljE0_EEESZ_S10_S11_S18_S1C_S1E_T6_T7_T9_mT8_S1G_bDpT10_ENKUlT_T0_E_clISt17integral_constantIbLb0EES1T_IbLb1EEEEDaS1P_S1Q_EUlS1P_E_NS1_11comp_targetILNS1_3genE10ELNS1_11target_archE1200ELNS1_3gpuE4ELNS1_3repE0EEENS1_30default_config_static_selectorELNS0_4arch9wavefront6targetE0EEEvS12_: ; @_ZN7rocprim17ROCPRIM_400000_NS6detail17trampoline_kernelINS0_13select_configILj256ELj13ELNS0_17block_load_methodE3ELS4_3ELS4_3ELNS0_20block_scan_algorithmE0ELj4294967295EEENS1_25partition_config_selectorILNS1_17partition_subalgoE4EjNS0_10empty_typeEbEEZZNS1_14partition_implILS8_4ELb0ES6_15HIP_vector_typeIjLj2EENS0_17counting_iteratorIjlEEPS9_SG_NS0_5tupleIJPjSI_NS0_16reverse_iteratorISI_EEEEENSH_IJSG_SG_SG_EEES9_SI_JZNS1_25segmented_radix_sort_implINS0_14default_configELb1EPKdPdPKlPlN2at6native12_GLOBAL__N_18offset_tEEE10hipError_tPvRmT1_PNSt15iterator_traitsIS12_E10value_typeET2_T3_PNS13_IS18_E10value_typeET4_jRbjT5_S1E_jjP12ihipStream_tbEUljE_ZNSN_ISO_Lb1ESQ_SR_ST_SU_SY_EESZ_S10_S11_S12_S16_S17_S18_S1B_S1C_jS1D_jS1E_S1E_jjS1G_bEUljE0_EEESZ_S10_S11_S18_S1C_S1E_T6_T7_T9_mT8_S1G_bDpT10_ENKUlT_T0_E_clISt17integral_constantIbLb0EES1T_IbLb1EEEEDaS1P_S1Q_EUlS1P_E_NS1_11comp_targetILNS1_3genE10ELNS1_11target_archE1200ELNS1_3gpuE4ELNS1_3repE0EEENS1_30default_config_static_selectorELNS0_4arch9wavefront6targetE0EEEvS12_
; %bb.0:
	.section	.rodata,"a",@progbits
	.p2align	6, 0x0
	.amdhsa_kernel _ZN7rocprim17ROCPRIM_400000_NS6detail17trampoline_kernelINS0_13select_configILj256ELj13ELNS0_17block_load_methodE3ELS4_3ELS4_3ELNS0_20block_scan_algorithmE0ELj4294967295EEENS1_25partition_config_selectorILNS1_17partition_subalgoE4EjNS0_10empty_typeEbEEZZNS1_14partition_implILS8_4ELb0ES6_15HIP_vector_typeIjLj2EENS0_17counting_iteratorIjlEEPS9_SG_NS0_5tupleIJPjSI_NS0_16reverse_iteratorISI_EEEEENSH_IJSG_SG_SG_EEES9_SI_JZNS1_25segmented_radix_sort_implINS0_14default_configELb1EPKdPdPKlPlN2at6native12_GLOBAL__N_18offset_tEEE10hipError_tPvRmT1_PNSt15iterator_traitsIS12_E10value_typeET2_T3_PNS13_IS18_E10value_typeET4_jRbjT5_S1E_jjP12ihipStream_tbEUljE_ZNSN_ISO_Lb1ESQ_SR_ST_SU_SY_EESZ_S10_S11_S12_S16_S17_S18_S1B_S1C_jS1D_jS1E_S1E_jjS1G_bEUljE0_EEESZ_S10_S11_S18_S1C_S1E_T6_T7_T9_mT8_S1G_bDpT10_ENKUlT_T0_E_clISt17integral_constantIbLb0EES1T_IbLb1EEEEDaS1P_S1Q_EUlS1P_E_NS1_11comp_targetILNS1_3genE10ELNS1_11target_archE1200ELNS1_3gpuE4ELNS1_3repE0EEENS1_30default_config_static_selectorELNS0_4arch9wavefront6targetE0EEEvS12_
		.amdhsa_group_segment_fixed_size 0
		.amdhsa_private_segment_fixed_size 0
		.amdhsa_kernarg_size 184
		.amdhsa_user_sgpr_count 6
		.amdhsa_user_sgpr_private_segment_buffer 1
		.amdhsa_user_sgpr_dispatch_ptr 0
		.amdhsa_user_sgpr_queue_ptr 0
		.amdhsa_user_sgpr_kernarg_segment_ptr 1
		.amdhsa_user_sgpr_dispatch_id 0
		.amdhsa_user_sgpr_flat_scratch_init 0
		.amdhsa_user_sgpr_private_segment_size 0
		.amdhsa_wavefront_size32 1
		.amdhsa_uses_dynamic_stack 0
		.amdhsa_system_sgpr_private_segment_wavefront_offset 0
		.amdhsa_system_sgpr_workgroup_id_x 1
		.amdhsa_system_sgpr_workgroup_id_y 0
		.amdhsa_system_sgpr_workgroup_id_z 0
		.amdhsa_system_sgpr_workgroup_info 0
		.amdhsa_system_vgpr_workitem_id 0
		.amdhsa_next_free_vgpr 1
		.amdhsa_next_free_sgpr 1
		.amdhsa_reserve_vcc 0
		.amdhsa_reserve_flat_scratch 0
		.amdhsa_float_round_mode_32 0
		.amdhsa_float_round_mode_16_64 0
		.amdhsa_float_denorm_mode_32 3
		.amdhsa_float_denorm_mode_16_64 3
		.amdhsa_dx10_clamp 1
		.amdhsa_ieee_mode 1
		.amdhsa_fp16_overflow 0
		.amdhsa_workgroup_processor_mode 1
		.amdhsa_memory_ordered 1
		.amdhsa_forward_progress 1
		.amdhsa_shared_vgpr_count 0
		.amdhsa_exception_fp_ieee_invalid_op 0
		.amdhsa_exception_fp_denorm_src 0
		.amdhsa_exception_fp_ieee_div_zero 0
		.amdhsa_exception_fp_ieee_overflow 0
		.amdhsa_exception_fp_ieee_underflow 0
		.amdhsa_exception_fp_ieee_inexact 0
		.amdhsa_exception_int_div_zero 0
	.end_amdhsa_kernel
	.section	.text._ZN7rocprim17ROCPRIM_400000_NS6detail17trampoline_kernelINS0_13select_configILj256ELj13ELNS0_17block_load_methodE3ELS4_3ELS4_3ELNS0_20block_scan_algorithmE0ELj4294967295EEENS1_25partition_config_selectorILNS1_17partition_subalgoE4EjNS0_10empty_typeEbEEZZNS1_14partition_implILS8_4ELb0ES6_15HIP_vector_typeIjLj2EENS0_17counting_iteratorIjlEEPS9_SG_NS0_5tupleIJPjSI_NS0_16reverse_iteratorISI_EEEEENSH_IJSG_SG_SG_EEES9_SI_JZNS1_25segmented_radix_sort_implINS0_14default_configELb1EPKdPdPKlPlN2at6native12_GLOBAL__N_18offset_tEEE10hipError_tPvRmT1_PNSt15iterator_traitsIS12_E10value_typeET2_T3_PNS13_IS18_E10value_typeET4_jRbjT5_S1E_jjP12ihipStream_tbEUljE_ZNSN_ISO_Lb1ESQ_SR_ST_SU_SY_EESZ_S10_S11_S12_S16_S17_S18_S1B_S1C_jS1D_jS1E_S1E_jjS1G_bEUljE0_EEESZ_S10_S11_S18_S1C_S1E_T6_T7_T9_mT8_S1G_bDpT10_ENKUlT_T0_E_clISt17integral_constantIbLb0EES1T_IbLb1EEEEDaS1P_S1Q_EUlS1P_E_NS1_11comp_targetILNS1_3genE10ELNS1_11target_archE1200ELNS1_3gpuE4ELNS1_3repE0EEENS1_30default_config_static_selectorELNS0_4arch9wavefront6targetE0EEEvS12_,"axG",@progbits,_ZN7rocprim17ROCPRIM_400000_NS6detail17trampoline_kernelINS0_13select_configILj256ELj13ELNS0_17block_load_methodE3ELS4_3ELS4_3ELNS0_20block_scan_algorithmE0ELj4294967295EEENS1_25partition_config_selectorILNS1_17partition_subalgoE4EjNS0_10empty_typeEbEEZZNS1_14partition_implILS8_4ELb0ES6_15HIP_vector_typeIjLj2EENS0_17counting_iteratorIjlEEPS9_SG_NS0_5tupleIJPjSI_NS0_16reverse_iteratorISI_EEEEENSH_IJSG_SG_SG_EEES9_SI_JZNS1_25segmented_radix_sort_implINS0_14default_configELb1EPKdPdPKlPlN2at6native12_GLOBAL__N_18offset_tEEE10hipError_tPvRmT1_PNSt15iterator_traitsIS12_E10value_typeET2_T3_PNS13_IS18_E10value_typeET4_jRbjT5_S1E_jjP12ihipStream_tbEUljE_ZNSN_ISO_Lb1ESQ_SR_ST_SU_SY_EESZ_S10_S11_S12_S16_S17_S18_S1B_S1C_jS1D_jS1E_S1E_jjS1G_bEUljE0_EEESZ_S10_S11_S18_S1C_S1E_T6_T7_T9_mT8_S1G_bDpT10_ENKUlT_T0_E_clISt17integral_constantIbLb0EES1T_IbLb1EEEEDaS1P_S1Q_EUlS1P_E_NS1_11comp_targetILNS1_3genE10ELNS1_11target_archE1200ELNS1_3gpuE4ELNS1_3repE0EEENS1_30default_config_static_selectorELNS0_4arch9wavefront6targetE0EEEvS12_,comdat
.Lfunc_end1075:
	.size	_ZN7rocprim17ROCPRIM_400000_NS6detail17trampoline_kernelINS0_13select_configILj256ELj13ELNS0_17block_load_methodE3ELS4_3ELS4_3ELNS0_20block_scan_algorithmE0ELj4294967295EEENS1_25partition_config_selectorILNS1_17partition_subalgoE4EjNS0_10empty_typeEbEEZZNS1_14partition_implILS8_4ELb0ES6_15HIP_vector_typeIjLj2EENS0_17counting_iteratorIjlEEPS9_SG_NS0_5tupleIJPjSI_NS0_16reverse_iteratorISI_EEEEENSH_IJSG_SG_SG_EEES9_SI_JZNS1_25segmented_radix_sort_implINS0_14default_configELb1EPKdPdPKlPlN2at6native12_GLOBAL__N_18offset_tEEE10hipError_tPvRmT1_PNSt15iterator_traitsIS12_E10value_typeET2_T3_PNS13_IS18_E10value_typeET4_jRbjT5_S1E_jjP12ihipStream_tbEUljE_ZNSN_ISO_Lb1ESQ_SR_ST_SU_SY_EESZ_S10_S11_S12_S16_S17_S18_S1B_S1C_jS1D_jS1E_S1E_jjS1G_bEUljE0_EEESZ_S10_S11_S18_S1C_S1E_T6_T7_T9_mT8_S1G_bDpT10_ENKUlT_T0_E_clISt17integral_constantIbLb0EES1T_IbLb1EEEEDaS1P_S1Q_EUlS1P_E_NS1_11comp_targetILNS1_3genE10ELNS1_11target_archE1200ELNS1_3gpuE4ELNS1_3repE0EEENS1_30default_config_static_selectorELNS0_4arch9wavefront6targetE0EEEvS12_, .Lfunc_end1075-_ZN7rocprim17ROCPRIM_400000_NS6detail17trampoline_kernelINS0_13select_configILj256ELj13ELNS0_17block_load_methodE3ELS4_3ELS4_3ELNS0_20block_scan_algorithmE0ELj4294967295EEENS1_25partition_config_selectorILNS1_17partition_subalgoE4EjNS0_10empty_typeEbEEZZNS1_14partition_implILS8_4ELb0ES6_15HIP_vector_typeIjLj2EENS0_17counting_iteratorIjlEEPS9_SG_NS0_5tupleIJPjSI_NS0_16reverse_iteratorISI_EEEEENSH_IJSG_SG_SG_EEES9_SI_JZNS1_25segmented_radix_sort_implINS0_14default_configELb1EPKdPdPKlPlN2at6native12_GLOBAL__N_18offset_tEEE10hipError_tPvRmT1_PNSt15iterator_traitsIS12_E10value_typeET2_T3_PNS13_IS18_E10value_typeET4_jRbjT5_S1E_jjP12ihipStream_tbEUljE_ZNSN_ISO_Lb1ESQ_SR_ST_SU_SY_EESZ_S10_S11_S12_S16_S17_S18_S1B_S1C_jS1D_jS1E_S1E_jjS1G_bEUljE0_EEESZ_S10_S11_S18_S1C_S1E_T6_T7_T9_mT8_S1G_bDpT10_ENKUlT_T0_E_clISt17integral_constantIbLb0EES1T_IbLb1EEEEDaS1P_S1Q_EUlS1P_E_NS1_11comp_targetILNS1_3genE10ELNS1_11target_archE1200ELNS1_3gpuE4ELNS1_3repE0EEENS1_30default_config_static_selectorELNS0_4arch9wavefront6targetE0EEEvS12_
                                        ; -- End function
	.set _ZN7rocprim17ROCPRIM_400000_NS6detail17trampoline_kernelINS0_13select_configILj256ELj13ELNS0_17block_load_methodE3ELS4_3ELS4_3ELNS0_20block_scan_algorithmE0ELj4294967295EEENS1_25partition_config_selectorILNS1_17partition_subalgoE4EjNS0_10empty_typeEbEEZZNS1_14partition_implILS8_4ELb0ES6_15HIP_vector_typeIjLj2EENS0_17counting_iteratorIjlEEPS9_SG_NS0_5tupleIJPjSI_NS0_16reverse_iteratorISI_EEEEENSH_IJSG_SG_SG_EEES9_SI_JZNS1_25segmented_radix_sort_implINS0_14default_configELb1EPKdPdPKlPlN2at6native12_GLOBAL__N_18offset_tEEE10hipError_tPvRmT1_PNSt15iterator_traitsIS12_E10value_typeET2_T3_PNS13_IS18_E10value_typeET4_jRbjT5_S1E_jjP12ihipStream_tbEUljE_ZNSN_ISO_Lb1ESQ_SR_ST_SU_SY_EESZ_S10_S11_S12_S16_S17_S18_S1B_S1C_jS1D_jS1E_S1E_jjS1G_bEUljE0_EEESZ_S10_S11_S18_S1C_S1E_T6_T7_T9_mT8_S1G_bDpT10_ENKUlT_T0_E_clISt17integral_constantIbLb0EES1T_IbLb1EEEEDaS1P_S1Q_EUlS1P_E_NS1_11comp_targetILNS1_3genE10ELNS1_11target_archE1200ELNS1_3gpuE4ELNS1_3repE0EEENS1_30default_config_static_selectorELNS0_4arch9wavefront6targetE0EEEvS12_.num_vgpr, 0
	.set _ZN7rocprim17ROCPRIM_400000_NS6detail17trampoline_kernelINS0_13select_configILj256ELj13ELNS0_17block_load_methodE3ELS4_3ELS4_3ELNS0_20block_scan_algorithmE0ELj4294967295EEENS1_25partition_config_selectorILNS1_17partition_subalgoE4EjNS0_10empty_typeEbEEZZNS1_14partition_implILS8_4ELb0ES6_15HIP_vector_typeIjLj2EENS0_17counting_iteratorIjlEEPS9_SG_NS0_5tupleIJPjSI_NS0_16reverse_iteratorISI_EEEEENSH_IJSG_SG_SG_EEES9_SI_JZNS1_25segmented_radix_sort_implINS0_14default_configELb1EPKdPdPKlPlN2at6native12_GLOBAL__N_18offset_tEEE10hipError_tPvRmT1_PNSt15iterator_traitsIS12_E10value_typeET2_T3_PNS13_IS18_E10value_typeET4_jRbjT5_S1E_jjP12ihipStream_tbEUljE_ZNSN_ISO_Lb1ESQ_SR_ST_SU_SY_EESZ_S10_S11_S12_S16_S17_S18_S1B_S1C_jS1D_jS1E_S1E_jjS1G_bEUljE0_EEESZ_S10_S11_S18_S1C_S1E_T6_T7_T9_mT8_S1G_bDpT10_ENKUlT_T0_E_clISt17integral_constantIbLb0EES1T_IbLb1EEEEDaS1P_S1Q_EUlS1P_E_NS1_11comp_targetILNS1_3genE10ELNS1_11target_archE1200ELNS1_3gpuE4ELNS1_3repE0EEENS1_30default_config_static_selectorELNS0_4arch9wavefront6targetE0EEEvS12_.num_agpr, 0
	.set _ZN7rocprim17ROCPRIM_400000_NS6detail17trampoline_kernelINS0_13select_configILj256ELj13ELNS0_17block_load_methodE3ELS4_3ELS4_3ELNS0_20block_scan_algorithmE0ELj4294967295EEENS1_25partition_config_selectorILNS1_17partition_subalgoE4EjNS0_10empty_typeEbEEZZNS1_14partition_implILS8_4ELb0ES6_15HIP_vector_typeIjLj2EENS0_17counting_iteratorIjlEEPS9_SG_NS0_5tupleIJPjSI_NS0_16reverse_iteratorISI_EEEEENSH_IJSG_SG_SG_EEES9_SI_JZNS1_25segmented_radix_sort_implINS0_14default_configELb1EPKdPdPKlPlN2at6native12_GLOBAL__N_18offset_tEEE10hipError_tPvRmT1_PNSt15iterator_traitsIS12_E10value_typeET2_T3_PNS13_IS18_E10value_typeET4_jRbjT5_S1E_jjP12ihipStream_tbEUljE_ZNSN_ISO_Lb1ESQ_SR_ST_SU_SY_EESZ_S10_S11_S12_S16_S17_S18_S1B_S1C_jS1D_jS1E_S1E_jjS1G_bEUljE0_EEESZ_S10_S11_S18_S1C_S1E_T6_T7_T9_mT8_S1G_bDpT10_ENKUlT_T0_E_clISt17integral_constantIbLb0EES1T_IbLb1EEEEDaS1P_S1Q_EUlS1P_E_NS1_11comp_targetILNS1_3genE10ELNS1_11target_archE1200ELNS1_3gpuE4ELNS1_3repE0EEENS1_30default_config_static_selectorELNS0_4arch9wavefront6targetE0EEEvS12_.numbered_sgpr, 0
	.set _ZN7rocprim17ROCPRIM_400000_NS6detail17trampoline_kernelINS0_13select_configILj256ELj13ELNS0_17block_load_methodE3ELS4_3ELS4_3ELNS0_20block_scan_algorithmE0ELj4294967295EEENS1_25partition_config_selectorILNS1_17partition_subalgoE4EjNS0_10empty_typeEbEEZZNS1_14partition_implILS8_4ELb0ES6_15HIP_vector_typeIjLj2EENS0_17counting_iteratorIjlEEPS9_SG_NS0_5tupleIJPjSI_NS0_16reverse_iteratorISI_EEEEENSH_IJSG_SG_SG_EEES9_SI_JZNS1_25segmented_radix_sort_implINS0_14default_configELb1EPKdPdPKlPlN2at6native12_GLOBAL__N_18offset_tEEE10hipError_tPvRmT1_PNSt15iterator_traitsIS12_E10value_typeET2_T3_PNS13_IS18_E10value_typeET4_jRbjT5_S1E_jjP12ihipStream_tbEUljE_ZNSN_ISO_Lb1ESQ_SR_ST_SU_SY_EESZ_S10_S11_S12_S16_S17_S18_S1B_S1C_jS1D_jS1E_S1E_jjS1G_bEUljE0_EEESZ_S10_S11_S18_S1C_S1E_T6_T7_T9_mT8_S1G_bDpT10_ENKUlT_T0_E_clISt17integral_constantIbLb0EES1T_IbLb1EEEEDaS1P_S1Q_EUlS1P_E_NS1_11comp_targetILNS1_3genE10ELNS1_11target_archE1200ELNS1_3gpuE4ELNS1_3repE0EEENS1_30default_config_static_selectorELNS0_4arch9wavefront6targetE0EEEvS12_.num_named_barrier, 0
	.set _ZN7rocprim17ROCPRIM_400000_NS6detail17trampoline_kernelINS0_13select_configILj256ELj13ELNS0_17block_load_methodE3ELS4_3ELS4_3ELNS0_20block_scan_algorithmE0ELj4294967295EEENS1_25partition_config_selectorILNS1_17partition_subalgoE4EjNS0_10empty_typeEbEEZZNS1_14partition_implILS8_4ELb0ES6_15HIP_vector_typeIjLj2EENS0_17counting_iteratorIjlEEPS9_SG_NS0_5tupleIJPjSI_NS0_16reverse_iteratorISI_EEEEENSH_IJSG_SG_SG_EEES9_SI_JZNS1_25segmented_radix_sort_implINS0_14default_configELb1EPKdPdPKlPlN2at6native12_GLOBAL__N_18offset_tEEE10hipError_tPvRmT1_PNSt15iterator_traitsIS12_E10value_typeET2_T3_PNS13_IS18_E10value_typeET4_jRbjT5_S1E_jjP12ihipStream_tbEUljE_ZNSN_ISO_Lb1ESQ_SR_ST_SU_SY_EESZ_S10_S11_S12_S16_S17_S18_S1B_S1C_jS1D_jS1E_S1E_jjS1G_bEUljE0_EEESZ_S10_S11_S18_S1C_S1E_T6_T7_T9_mT8_S1G_bDpT10_ENKUlT_T0_E_clISt17integral_constantIbLb0EES1T_IbLb1EEEEDaS1P_S1Q_EUlS1P_E_NS1_11comp_targetILNS1_3genE10ELNS1_11target_archE1200ELNS1_3gpuE4ELNS1_3repE0EEENS1_30default_config_static_selectorELNS0_4arch9wavefront6targetE0EEEvS12_.private_seg_size, 0
	.set _ZN7rocprim17ROCPRIM_400000_NS6detail17trampoline_kernelINS0_13select_configILj256ELj13ELNS0_17block_load_methodE3ELS4_3ELS4_3ELNS0_20block_scan_algorithmE0ELj4294967295EEENS1_25partition_config_selectorILNS1_17partition_subalgoE4EjNS0_10empty_typeEbEEZZNS1_14partition_implILS8_4ELb0ES6_15HIP_vector_typeIjLj2EENS0_17counting_iteratorIjlEEPS9_SG_NS0_5tupleIJPjSI_NS0_16reverse_iteratorISI_EEEEENSH_IJSG_SG_SG_EEES9_SI_JZNS1_25segmented_radix_sort_implINS0_14default_configELb1EPKdPdPKlPlN2at6native12_GLOBAL__N_18offset_tEEE10hipError_tPvRmT1_PNSt15iterator_traitsIS12_E10value_typeET2_T3_PNS13_IS18_E10value_typeET4_jRbjT5_S1E_jjP12ihipStream_tbEUljE_ZNSN_ISO_Lb1ESQ_SR_ST_SU_SY_EESZ_S10_S11_S12_S16_S17_S18_S1B_S1C_jS1D_jS1E_S1E_jjS1G_bEUljE0_EEESZ_S10_S11_S18_S1C_S1E_T6_T7_T9_mT8_S1G_bDpT10_ENKUlT_T0_E_clISt17integral_constantIbLb0EES1T_IbLb1EEEEDaS1P_S1Q_EUlS1P_E_NS1_11comp_targetILNS1_3genE10ELNS1_11target_archE1200ELNS1_3gpuE4ELNS1_3repE0EEENS1_30default_config_static_selectorELNS0_4arch9wavefront6targetE0EEEvS12_.uses_vcc, 0
	.set _ZN7rocprim17ROCPRIM_400000_NS6detail17trampoline_kernelINS0_13select_configILj256ELj13ELNS0_17block_load_methodE3ELS4_3ELS4_3ELNS0_20block_scan_algorithmE0ELj4294967295EEENS1_25partition_config_selectorILNS1_17partition_subalgoE4EjNS0_10empty_typeEbEEZZNS1_14partition_implILS8_4ELb0ES6_15HIP_vector_typeIjLj2EENS0_17counting_iteratorIjlEEPS9_SG_NS0_5tupleIJPjSI_NS0_16reverse_iteratorISI_EEEEENSH_IJSG_SG_SG_EEES9_SI_JZNS1_25segmented_radix_sort_implINS0_14default_configELb1EPKdPdPKlPlN2at6native12_GLOBAL__N_18offset_tEEE10hipError_tPvRmT1_PNSt15iterator_traitsIS12_E10value_typeET2_T3_PNS13_IS18_E10value_typeET4_jRbjT5_S1E_jjP12ihipStream_tbEUljE_ZNSN_ISO_Lb1ESQ_SR_ST_SU_SY_EESZ_S10_S11_S12_S16_S17_S18_S1B_S1C_jS1D_jS1E_S1E_jjS1G_bEUljE0_EEESZ_S10_S11_S18_S1C_S1E_T6_T7_T9_mT8_S1G_bDpT10_ENKUlT_T0_E_clISt17integral_constantIbLb0EES1T_IbLb1EEEEDaS1P_S1Q_EUlS1P_E_NS1_11comp_targetILNS1_3genE10ELNS1_11target_archE1200ELNS1_3gpuE4ELNS1_3repE0EEENS1_30default_config_static_selectorELNS0_4arch9wavefront6targetE0EEEvS12_.uses_flat_scratch, 0
	.set _ZN7rocprim17ROCPRIM_400000_NS6detail17trampoline_kernelINS0_13select_configILj256ELj13ELNS0_17block_load_methodE3ELS4_3ELS4_3ELNS0_20block_scan_algorithmE0ELj4294967295EEENS1_25partition_config_selectorILNS1_17partition_subalgoE4EjNS0_10empty_typeEbEEZZNS1_14partition_implILS8_4ELb0ES6_15HIP_vector_typeIjLj2EENS0_17counting_iteratorIjlEEPS9_SG_NS0_5tupleIJPjSI_NS0_16reverse_iteratorISI_EEEEENSH_IJSG_SG_SG_EEES9_SI_JZNS1_25segmented_radix_sort_implINS0_14default_configELb1EPKdPdPKlPlN2at6native12_GLOBAL__N_18offset_tEEE10hipError_tPvRmT1_PNSt15iterator_traitsIS12_E10value_typeET2_T3_PNS13_IS18_E10value_typeET4_jRbjT5_S1E_jjP12ihipStream_tbEUljE_ZNSN_ISO_Lb1ESQ_SR_ST_SU_SY_EESZ_S10_S11_S12_S16_S17_S18_S1B_S1C_jS1D_jS1E_S1E_jjS1G_bEUljE0_EEESZ_S10_S11_S18_S1C_S1E_T6_T7_T9_mT8_S1G_bDpT10_ENKUlT_T0_E_clISt17integral_constantIbLb0EES1T_IbLb1EEEEDaS1P_S1Q_EUlS1P_E_NS1_11comp_targetILNS1_3genE10ELNS1_11target_archE1200ELNS1_3gpuE4ELNS1_3repE0EEENS1_30default_config_static_selectorELNS0_4arch9wavefront6targetE0EEEvS12_.has_dyn_sized_stack, 0
	.set _ZN7rocprim17ROCPRIM_400000_NS6detail17trampoline_kernelINS0_13select_configILj256ELj13ELNS0_17block_load_methodE3ELS4_3ELS4_3ELNS0_20block_scan_algorithmE0ELj4294967295EEENS1_25partition_config_selectorILNS1_17partition_subalgoE4EjNS0_10empty_typeEbEEZZNS1_14partition_implILS8_4ELb0ES6_15HIP_vector_typeIjLj2EENS0_17counting_iteratorIjlEEPS9_SG_NS0_5tupleIJPjSI_NS0_16reverse_iteratorISI_EEEEENSH_IJSG_SG_SG_EEES9_SI_JZNS1_25segmented_radix_sort_implINS0_14default_configELb1EPKdPdPKlPlN2at6native12_GLOBAL__N_18offset_tEEE10hipError_tPvRmT1_PNSt15iterator_traitsIS12_E10value_typeET2_T3_PNS13_IS18_E10value_typeET4_jRbjT5_S1E_jjP12ihipStream_tbEUljE_ZNSN_ISO_Lb1ESQ_SR_ST_SU_SY_EESZ_S10_S11_S12_S16_S17_S18_S1B_S1C_jS1D_jS1E_S1E_jjS1G_bEUljE0_EEESZ_S10_S11_S18_S1C_S1E_T6_T7_T9_mT8_S1G_bDpT10_ENKUlT_T0_E_clISt17integral_constantIbLb0EES1T_IbLb1EEEEDaS1P_S1Q_EUlS1P_E_NS1_11comp_targetILNS1_3genE10ELNS1_11target_archE1200ELNS1_3gpuE4ELNS1_3repE0EEENS1_30default_config_static_selectorELNS0_4arch9wavefront6targetE0EEEvS12_.has_recursion, 0
	.set _ZN7rocprim17ROCPRIM_400000_NS6detail17trampoline_kernelINS0_13select_configILj256ELj13ELNS0_17block_load_methodE3ELS4_3ELS4_3ELNS0_20block_scan_algorithmE0ELj4294967295EEENS1_25partition_config_selectorILNS1_17partition_subalgoE4EjNS0_10empty_typeEbEEZZNS1_14partition_implILS8_4ELb0ES6_15HIP_vector_typeIjLj2EENS0_17counting_iteratorIjlEEPS9_SG_NS0_5tupleIJPjSI_NS0_16reverse_iteratorISI_EEEEENSH_IJSG_SG_SG_EEES9_SI_JZNS1_25segmented_radix_sort_implINS0_14default_configELb1EPKdPdPKlPlN2at6native12_GLOBAL__N_18offset_tEEE10hipError_tPvRmT1_PNSt15iterator_traitsIS12_E10value_typeET2_T3_PNS13_IS18_E10value_typeET4_jRbjT5_S1E_jjP12ihipStream_tbEUljE_ZNSN_ISO_Lb1ESQ_SR_ST_SU_SY_EESZ_S10_S11_S12_S16_S17_S18_S1B_S1C_jS1D_jS1E_S1E_jjS1G_bEUljE0_EEESZ_S10_S11_S18_S1C_S1E_T6_T7_T9_mT8_S1G_bDpT10_ENKUlT_T0_E_clISt17integral_constantIbLb0EES1T_IbLb1EEEEDaS1P_S1Q_EUlS1P_E_NS1_11comp_targetILNS1_3genE10ELNS1_11target_archE1200ELNS1_3gpuE4ELNS1_3repE0EEENS1_30default_config_static_selectorELNS0_4arch9wavefront6targetE0EEEvS12_.has_indirect_call, 0
	.section	.AMDGPU.csdata,"",@progbits
; Kernel info:
; codeLenInByte = 0
; TotalNumSgprs: 0
; NumVgprs: 0
; ScratchSize: 0
; MemoryBound: 0
; FloatMode: 240
; IeeeMode: 1
; LDSByteSize: 0 bytes/workgroup (compile time only)
; SGPRBlocks: 0
; VGPRBlocks: 0
; NumSGPRsForWavesPerEU: 1
; NumVGPRsForWavesPerEU: 1
; Occupancy: 16
; WaveLimiterHint : 0
; COMPUTE_PGM_RSRC2:SCRATCH_EN: 0
; COMPUTE_PGM_RSRC2:USER_SGPR: 6
; COMPUTE_PGM_RSRC2:TRAP_HANDLER: 0
; COMPUTE_PGM_RSRC2:TGID_X_EN: 1
; COMPUTE_PGM_RSRC2:TGID_Y_EN: 0
; COMPUTE_PGM_RSRC2:TGID_Z_EN: 0
; COMPUTE_PGM_RSRC2:TIDIG_COMP_CNT: 0
	.section	.text._ZN7rocprim17ROCPRIM_400000_NS6detail17trampoline_kernelINS0_13select_configILj256ELj13ELNS0_17block_load_methodE3ELS4_3ELS4_3ELNS0_20block_scan_algorithmE0ELj4294967295EEENS1_25partition_config_selectorILNS1_17partition_subalgoE4EjNS0_10empty_typeEbEEZZNS1_14partition_implILS8_4ELb0ES6_15HIP_vector_typeIjLj2EENS0_17counting_iteratorIjlEEPS9_SG_NS0_5tupleIJPjSI_NS0_16reverse_iteratorISI_EEEEENSH_IJSG_SG_SG_EEES9_SI_JZNS1_25segmented_radix_sort_implINS0_14default_configELb1EPKdPdPKlPlN2at6native12_GLOBAL__N_18offset_tEEE10hipError_tPvRmT1_PNSt15iterator_traitsIS12_E10value_typeET2_T3_PNS13_IS18_E10value_typeET4_jRbjT5_S1E_jjP12ihipStream_tbEUljE_ZNSN_ISO_Lb1ESQ_SR_ST_SU_SY_EESZ_S10_S11_S12_S16_S17_S18_S1B_S1C_jS1D_jS1E_S1E_jjS1G_bEUljE0_EEESZ_S10_S11_S18_S1C_S1E_T6_T7_T9_mT8_S1G_bDpT10_ENKUlT_T0_E_clISt17integral_constantIbLb0EES1T_IbLb1EEEEDaS1P_S1Q_EUlS1P_E_NS1_11comp_targetILNS1_3genE9ELNS1_11target_archE1100ELNS1_3gpuE3ELNS1_3repE0EEENS1_30default_config_static_selectorELNS0_4arch9wavefront6targetE0EEEvS12_,"axG",@progbits,_ZN7rocprim17ROCPRIM_400000_NS6detail17trampoline_kernelINS0_13select_configILj256ELj13ELNS0_17block_load_methodE3ELS4_3ELS4_3ELNS0_20block_scan_algorithmE0ELj4294967295EEENS1_25partition_config_selectorILNS1_17partition_subalgoE4EjNS0_10empty_typeEbEEZZNS1_14partition_implILS8_4ELb0ES6_15HIP_vector_typeIjLj2EENS0_17counting_iteratorIjlEEPS9_SG_NS0_5tupleIJPjSI_NS0_16reverse_iteratorISI_EEEEENSH_IJSG_SG_SG_EEES9_SI_JZNS1_25segmented_radix_sort_implINS0_14default_configELb1EPKdPdPKlPlN2at6native12_GLOBAL__N_18offset_tEEE10hipError_tPvRmT1_PNSt15iterator_traitsIS12_E10value_typeET2_T3_PNS13_IS18_E10value_typeET4_jRbjT5_S1E_jjP12ihipStream_tbEUljE_ZNSN_ISO_Lb1ESQ_SR_ST_SU_SY_EESZ_S10_S11_S12_S16_S17_S18_S1B_S1C_jS1D_jS1E_S1E_jjS1G_bEUljE0_EEESZ_S10_S11_S18_S1C_S1E_T6_T7_T9_mT8_S1G_bDpT10_ENKUlT_T0_E_clISt17integral_constantIbLb0EES1T_IbLb1EEEEDaS1P_S1Q_EUlS1P_E_NS1_11comp_targetILNS1_3genE9ELNS1_11target_archE1100ELNS1_3gpuE3ELNS1_3repE0EEENS1_30default_config_static_selectorELNS0_4arch9wavefront6targetE0EEEvS12_,comdat
	.globl	_ZN7rocprim17ROCPRIM_400000_NS6detail17trampoline_kernelINS0_13select_configILj256ELj13ELNS0_17block_load_methodE3ELS4_3ELS4_3ELNS0_20block_scan_algorithmE0ELj4294967295EEENS1_25partition_config_selectorILNS1_17partition_subalgoE4EjNS0_10empty_typeEbEEZZNS1_14partition_implILS8_4ELb0ES6_15HIP_vector_typeIjLj2EENS0_17counting_iteratorIjlEEPS9_SG_NS0_5tupleIJPjSI_NS0_16reverse_iteratorISI_EEEEENSH_IJSG_SG_SG_EEES9_SI_JZNS1_25segmented_radix_sort_implINS0_14default_configELb1EPKdPdPKlPlN2at6native12_GLOBAL__N_18offset_tEEE10hipError_tPvRmT1_PNSt15iterator_traitsIS12_E10value_typeET2_T3_PNS13_IS18_E10value_typeET4_jRbjT5_S1E_jjP12ihipStream_tbEUljE_ZNSN_ISO_Lb1ESQ_SR_ST_SU_SY_EESZ_S10_S11_S12_S16_S17_S18_S1B_S1C_jS1D_jS1E_S1E_jjS1G_bEUljE0_EEESZ_S10_S11_S18_S1C_S1E_T6_T7_T9_mT8_S1G_bDpT10_ENKUlT_T0_E_clISt17integral_constantIbLb0EES1T_IbLb1EEEEDaS1P_S1Q_EUlS1P_E_NS1_11comp_targetILNS1_3genE9ELNS1_11target_archE1100ELNS1_3gpuE3ELNS1_3repE0EEENS1_30default_config_static_selectorELNS0_4arch9wavefront6targetE0EEEvS12_ ; -- Begin function _ZN7rocprim17ROCPRIM_400000_NS6detail17trampoline_kernelINS0_13select_configILj256ELj13ELNS0_17block_load_methodE3ELS4_3ELS4_3ELNS0_20block_scan_algorithmE0ELj4294967295EEENS1_25partition_config_selectorILNS1_17partition_subalgoE4EjNS0_10empty_typeEbEEZZNS1_14partition_implILS8_4ELb0ES6_15HIP_vector_typeIjLj2EENS0_17counting_iteratorIjlEEPS9_SG_NS0_5tupleIJPjSI_NS0_16reverse_iteratorISI_EEEEENSH_IJSG_SG_SG_EEES9_SI_JZNS1_25segmented_radix_sort_implINS0_14default_configELb1EPKdPdPKlPlN2at6native12_GLOBAL__N_18offset_tEEE10hipError_tPvRmT1_PNSt15iterator_traitsIS12_E10value_typeET2_T3_PNS13_IS18_E10value_typeET4_jRbjT5_S1E_jjP12ihipStream_tbEUljE_ZNSN_ISO_Lb1ESQ_SR_ST_SU_SY_EESZ_S10_S11_S12_S16_S17_S18_S1B_S1C_jS1D_jS1E_S1E_jjS1G_bEUljE0_EEESZ_S10_S11_S18_S1C_S1E_T6_T7_T9_mT8_S1G_bDpT10_ENKUlT_T0_E_clISt17integral_constantIbLb0EES1T_IbLb1EEEEDaS1P_S1Q_EUlS1P_E_NS1_11comp_targetILNS1_3genE9ELNS1_11target_archE1100ELNS1_3gpuE3ELNS1_3repE0EEENS1_30default_config_static_selectorELNS0_4arch9wavefront6targetE0EEEvS12_
	.p2align	8
	.type	_ZN7rocprim17ROCPRIM_400000_NS6detail17trampoline_kernelINS0_13select_configILj256ELj13ELNS0_17block_load_methodE3ELS4_3ELS4_3ELNS0_20block_scan_algorithmE0ELj4294967295EEENS1_25partition_config_selectorILNS1_17partition_subalgoE4EjNS0_10empty_typeEbEEZZNS1_14partition_implILS8_4ELb0ES6_15HIP_vector_typeIjLj2EENS0_17counting_iteratorIjlEEPS9_SG_NS0_5tupleIJPjSI_NS0_16reverse_iteratorISI_EEEEENSH_IJSG_SG_SG_EEES9_SI_JZNS1_25segmented_radix_sort_implINS0_14default_configELb1EPKdPdPKlPlN2at6native12_GLOBAL__N_18offset_tEEE10hipError_tPvRmT1_PNSt15iterator_traitsIS12_E10value_typeET2_T3_PNS13_IS18_E10value_typeET4_jRbjT5_S1E_jjP12ihipStream_tbEUljE_ZNSN_ISO_Lb1ESQ_SR_ST_SU_SY_EESZ_S10_S11_S12_S16_S17_S18_S1B_S1C_jS1D_jS1E_S1E_jjS1G_bEUljE0_EEESZ_S10_S11_S18_S1C_S1E_T6_T7_T9_mT8_S1G_bDpT10_ENKUlT_T0_E_clISt17integral_constantIbLb0EES1T_IbLb1EEEEDaS1P_S1Q_EUlS1P_E_NS1_11comp_targetILNS1_3genE9ELNS1_11target_archE1100ELNS1_3gpuE3ELNS1_3repE0EEENS1_30default_config_static_selectorELNS0_4arch9wavefront6targetE0EEEvS12_,@function
_ZN7rocprim17ROCPRIM_400000_NS6detail17trampoline_kernelINS0_13select_configILj256ELj13ELNS0_17block_load_methodE3ELS4_3ELS4_3ELNS0_20block_scan_algorithmE0ELj4294967295EEENS1_25partition_config_selectorILNS1_17partition_subalgoE4EjNS0_10empty_typeEbEEZZNS1_14partition_implILS8_4ELb0ES6_15HIP_vector_typeIjLj2EENS0_17counting_iteratorIjlEEPS9_SG_NS0_5tupleIJPjSI_NS0_16reverse_iteratorISI_EEEEENSH_IJSG_SG_SG_EEES9_SI_JZNS1_25segmented_radix_sort_implINS0_14default_configELb1EPKdPdPKlPlN2at6native12_GLOBAL__N_18offset_tEEE10hipError_tPvRmT1_PNSt15iterator_traitsIS12_E10value_typeET2_T3_PNS13_IS18_E10value_typeET4_jRbjT5_S1E_jjP12ihipStream_tbEUljE_ZNSN_ISO_Lb1ESQ_SR_ST_SU_SY_EESZ_S10_S11_S12_S16_S17_S18_S1B_S1C_jS1D_jS1E_S1E_jjS1G_bEUljE0_EEESZ_S10_S11_S18_S1C_S1E_T6_T7_T9_mT8_S1G_bDpT10_ENKUlT_T0_E_clISt17integral_constantIbLb0EES1T_IbLb1EEEEDaS1P_S1Q_EUlS1P_E_NS1_11comp_targetILNS1_3genE9ELNS1_11target_archE1100ELNS1_3gpuE3ELNS1_3repE0EEENS1_30default_config_static_selectorELNS0_4arch9wavefront6targetE0EEEvS12_: ; @_ZN7rocprim17ROCPRIM_400000_NS6detail17trampoline_kernelINS0_13select_configILj256ELj13ELNS0_17block_load_methodE3ELS4_3ELS4_3ELNS0_20block_scan_algorithmE0ELj4294967295EEENS1_25partition_config_selectorILNS1_17partition_subalgoE4EjNS0_10empty_typeEbEEZZNS1_14partition_implILS8_4ELb0ES6_15HIP_vector_typeIjLj2EENS0_17counting_iteratorIjlEEPS9_SG_NS0_5tupleIJPjSI_NS0_16reverse_iteratorISI_EEEEENSH_IJSG_SG_SG_EEES9_SI_JZNS1_25segmented_radix_sort_implINS0_14default_configELb1EPKdPdPKlPlN2at6native12_GLOBAL__N_18offset_tEEE10hipError_tPvRmT1_PNSt15iterator_traitsIS12_E10value_typeET2_T3_PNS13_IS18_E10value_typeET4_jRbjT5_S1E_jjP12ihipStream_tbEUljE_ZNSN_ISO_Lb1ESQ_SR_ST_SU_SY_EESZ_S10_S11_S12_S16_S17_S18_S1B_S1C_jS1D_jS1E_S1E_jjS1G_bEUljE0_EEESZ_S10_S11_S18_S1C_S1E_T6_T7_T9_mT8_S1G_bDpT10_ENKUlT_T0_E_clISt17integral_constantIbLb0EES1T_IbLb1EEEEDaS1P_S1Q_EUlS1P_E_NS1_11comp_targetILNS1_3genE9ELNS1_11target_archE1100ELNS1_3gpuE3ELNS1_3repE0EEENS1_30default_config_static_selectorELNS0_4arch9wavefront6targetE0EEEvS12_
; %bb.0:
	.section	.rodata,"a",@progbits
	.p2align	6, 0x0
	.amdhsa_kernel _ZN7rocprim17ROCPRIM_400000_NS6detail17trampoline_kernelINS0_13select_configILj256ELj13ELNS0_17block_load_methodE3ELS4_3ELS4_3ELNS0_20block_scan_algorithmE0ELj4294967295EEENS1_25partition_config_selectorILNS1_17partition_subalgoE4EjNS0_10empty_typeEbEEZZNS1_14partition_implILS8_4ELb0ES6_15HIP_vector_typeIjLj2EENS0_17counting_iteratorIjlEEPS9_SG_NS0_5tupleIJPjSI_NS0_16reverse_iteratorISI_EEEEENSH_IJSG_SG_SG_EEES9_SI_JZNS1_25segmented_radix_sort_implINS0_14default_configELb1EPKdPdPKlPlN2at6native12_GLOBAL__N_18offset_tEEE10hipError_tPvRmT1_PNSt15iterator_traitsIS12_E10value_typeET2_T3_PNS13_IS18_E10value_typeET4_jRbjT5_S1E_jjP12ihipStream_tbEUljE_ZNSN_ISO_Lb1ESQ_SR_ST_SU_SY_EESZ_S10_S11_S12_S16_S17_S18_S1B_S1C_jS1D_jS1E_S1E_jjS1G_bEUljE0_EEESZ_S10_S11_S18_S1C_S1E_T6_T7_T9_mT8_S1G_bDpT10_ENKUlT_T0_E_clISt17integral_constantIbLb0EES1T_IbLb1EEEEDaS1P_S1Q_EUlS1P_E_NS1_11comp_targetILNS1_3genE9ELNS1_11target_archE1100ELNS1_3gpuE3ELNS1_3repE0EEENS1_30default_config_static_selectorELNS0_4arch9wavefront6targetE0EEEvS12_
		.amdhsa_group_segment_fixed_size 0
		.amdhsa_private_segment_fixed_size 0
		.amdhsa_kernarg_size 184
		.amdhsa_user_sgpr_count 6
		.amdhsa_user_sgpr_private_segment_buffer 1
		.amdhsa_user_sgpr_dispatch_ptr 0
		.amdhsa_user_sgpr_queue_ptr 0
		.amdhsa_user_sgpr_kernarg_segment_ptr 1
		.amdhsa_user_sgpr_dispatch_id 0
		.amdhsa_user_sgpr_flat_scratch_init 0
		.amdhsa_user_sgpr_private_segment_size 0
		.amdhsa_wavefront_size32 1
		.amdhsa_uses_dynamic_stack 0
		.amdhsa_system_sgpr_private_segment_wavefront_offset 0
		.amdhsa_system_sgpr_workgroup_id_x 1
		.amdhsa_system_sgpr_workgroup_id_y 0
		.amdhsa_system_sgpr_workgroup_id_z 0
		.amdhsa_system_sgpr_workgroup_info 0
		.amdhsa_system_vgpr_workitem_id 0
		.amdhsa_next_free_vgpr 1
		.amdhsa_next_free_sgpr 1
		.amdhsa_reserve_vcc 0
		.amdhsa_reserve_flat_scratch 0
		.amdhsa_float_round_mode_32 0
		.amdhsa_float_round_mode_16_64 0
		.amdhsa_float_denorm_mode_32 3
		.amdhsa_float_denorm_mode_16_64 3
		.amdhsa_dx10_clamp 1
		.amdhsa_ieee_mode 1
		.amdhsa_fp16_overflow 0
		.amdhsa_workgroup_processor_mode 1
		.amdhsa_memory_ordered 1
		.amdhsa_forward_progress 1
		.amdhsa_shared_vgpr_count 0
		.amdhsa_exception_fp_ieee_invalid_op 0
		.amdhsa_exception_fp_denorm_src 0
		.amdhsa_exception_fp_ieee_div_zero 0
		.amdhsa_exception_fp_ieee_overflow 0
		.amdhsa_exception_fp_ieee_underflow 0
		.amdhsa_exception_fp_ieee_inexact 0
		.amdhsa_exception_int_div_zero 0
	.end_amdhsa_kernel
	.section	.text._ZN7rocprim17ROCPRIM_400000_NS6detail17trampoline_kernelINS0_13select_configILj256ELj13ELNS0_17block_load_methodE3ELS4_3ELS4_3ELNS0_20block_scan_algorithmE0ELj4294967295EEENS1_25partition_config_selectorILNS1_17partition_subalgoE4EjNS0_10empty_typeEbEEZZNS1_14partition_implILS8_4ELb0ES6_15HIP_vector_typeIjLj2EENS0_17counting_iteratorIjlEEPS9_SG_NS0_5tupleIJPjSI_NS0_16reverse_iteratorISI_EEEEENSH_IJSG_SG_SG_EEES9_SI_JZNS1_25segmented_radix_sort_implINS0_14default_configELb1EPKdPdPKlPlN2at6native12_GLOBAL__N_18offset_tEEE10hipError_tPvRmT1_PNSt15iterator_traitsIS12_E10value_typeET2_T3_PNS13_IS18_E10value_typeET4_jRbjT5_S1E_jjP12ihipStream_tbEUljE_ZNSN_ISO_Lb1ESQ_SR_ST_SU_SY_EESZ_S10_S11_S12_S16_S17_S18_S1B_S1C_jS1D_jS1E_S1E_jjS1G_bEUljE0_EEESZ_S10_S11_S18_S1C_S1E_T6_T7_T9_mT8_S1G_bDpT10_ENKUlT_T0_E_clISt17integral_constantIbLb0EES1T_IbLb1EEEEDaS1P_S1Q_EUlS1P_E_NS1_11comp_targetILNS1_3genE9ELNS1_11target_archE1100ELNS1_3gpuE3ELNS1_3repE0EEENS1_30default_config_static_selectorELNS0_4arch9wavefront6targetE0EEEvS12_,"axG",@progbits,_ZN7rocprim17ROCPRIM_400000_NS6detail17trampoline_kernelINS0_13select_configILj256ELj13ELNS0_17block_load_methodE3ELS4_3ELS4_3ELNS0_20block_scan_algorithmE0ELj4294967295EEENS1_25partition_config_selectorILNS1_17partition_subalgoE4EjNS0_10empty_typeEbEEZZNS1_14partition_implILS8_4ELb0ES6_15HIP_vector_typeIjLj2EENS0_17counting_iteratorIjlEEPS9_SG_NS0_5tupleIJPjSI_NS0_16reverse_iteratorISI_EEEEENSH_IJSG_SG_SG_EEES9_SI_JZNS1_25segmented_radix_sort_implINS0_14default_configELb1EPKdPdPKlPlN2at6native12_GLOBAL__N_18offset_tEEE10hipError_tPvRmT1_PNSt15iterator_traitsIS12_E10value_typeET2_T3_PNS13_IS18_E10value_typeET4_jRbjT5_S1E_jjP12ihipStream_tbEUljE_ZNSN_ISO_Lb1ESQ_SR_ST_SU_SY_EESZ_S10_S11_S12_S16_S17_S18_S1B_S1C_jS1D_jS1E_S1E_jjS1G_bEUljE0_EEESZ_S10_S11_S18_S1C_S1E_T6_T7_T9_mT8_S1G_bDpT10_ENKUlT_T0_E_clISt17integral_constantIbLb0EES1T_IbLb1EEEEDaS1P_S1Q_EUlS1P_E_NS1_11comp_targetILNS1_3genE9ELNS1_11target_archE1100ELNS1_3gpuE3ELNS1_3repE0EEENS1_30default_config_static_selectorELNS0_4arch9wavefront6targetE0EEEvS12_,comdat
.Lfunc_end1076:
	.size	_ZN7rocprim17ROCPRIM_400000_NS6detail17trampoline_kernelINS0_13select_configILj256ELj13ELNS0_17block_load_methodE3ELS4_3ELS4_3ELNS0_20block_scan_algorithmE0ELj4294967295EEENS1_25partition_config_selectorILNS1_17partition_subalgoE4EjNS0_10empty_typeEbEEZZNS1_14partition_implILS8_4ELb0ES6_15HIP_vector_typeIjLj2EENS0_17counting_iteratorIjlEEPS9_SG_NS0_5tupleIJPjSI_NS0_16reverse_iteratorISI_EEEEENSH_IJSG_SG_SG_EEES9_SI_JZNS1_25segmented_radix_sort_implINS0_14default_configELb1EPKdPdPKlPlN2at6native12_GLOBAL__N_18offset_tEEE10hipError_tPvRmT1_PNSt15iterator_traitsIS12_E10value_typeET2_T3_PNS13_IS18_E10value_typeET4_jRbjT5_S1E_jjP12ihipStream_tbEUljE_ZNSN_ISO_Lb1ESQ_SR_ST_SU_SY_EESZ_S10_S11_S12_S16_S17_S18_S1B_S1C_jS1D_jS1E_S1E_jjS1G_bEUljE0_EEESZ_S10_S11_S18_S1C_S1E_T6_T7_T9_mT8_S1G_bDpT10_ENKUlT_T0_E_clISt17integral_constantIbLb0EES1T_IbLb1EEEEDaS1P_S1Q_EUlS1P_E_NS1_11comp_targetILNS1_3genE9ELNS1_11target_archE1100ELNS1_3gpuE3ELNS1_3repE0EEENS1_30default_config_static_selectorELNS0_4arch9wavefront6targetE0EEEvS12_, .Lfunc_end1076-_ZN7rocprim17ROCPRIM_400000_NS6detail17trampoline_kernelINS0_13select_configILj256ELj13ELNS0_17block_load_methodE3ELS4_3ELS4_3ELNS0_20block_scan_algorithmE0ELj4294967295EEENS1_25partition_config_selectorILNS1_17partition_subalgoE4EjNS0_10empty_typeEbEEZZNS1_14partition_implILS8_4ELb0ES6_15HIP_vector_typeIjLj2EENS0_17counting_iteratorIjlEEPS9_SG_NS0_5tupleIJPjSI_NS0_16reverse_iteratorISI_EEEEENSH_IJSG_SG_SG_EEES9_SI_JZNS1_25segmented_radix_sort_implINS0_14default_configELb1EPKdPdPKlPlN2at6native12_GLOBAL__N_18offset_tEEE10hipError_tPvRmT1_PNSt15iterator_traitsIS12_E10value_typeET2_T3_PNS13_IS18_E10value_typeET4_jRbjT5_S1E_jjP12ihipStream_tbEUljE_ZNSN_ISO_Lb1ESQ_SR_ST_SU_SY_EESZ_S10_S11_S12_S16_S17_S18_S1B_S1C_jS1D_jS1E_S1E_jjS1G_bEUljE0_EEESZ_S10_S11_S18_S1C_S1E_T6_T7_T9_mT8_S1G_bDpT10_ENKUlT_T0_E_clISt17integral_constantIbLb0EES1T_IbLb1EEEEDaS1P_S1Q_EUlS1P_E_NS1_11comp_targetILNS1_3genE9ELNS1_11target_archE1100ELNS1_3gpuE3ELNS1_3repE0EEENS1_30default_config_static_selectorELNS0_4arch9wavefront6targetE0EEEvS12_
                                        ; -- End function
	.set _ZN7rocprim17ROCPRIM_400000_NS6detail17trampoline_kernelINS0_13select_configILj256ELj13ELNS0_17block_load_methodE3ELS4_3ELS4_3ELNS0_20block_scan_algorithmE0ELj4294967295EEENS1_25partition_config_selectorILNS1_17partition_subalgoE4EjNS0_10empty_typeEbEEZZNS1_14partition_implILS8_4ELb0ES6_15HIP_vector_typeIjLj2EENS0_17counting_iteratorIjlEEPS9_SG_NS0_5tupleIJPjSI_NS0_16reverse_iteratorISI_EEEEENSH_IJSG_SG_SG_EEES9_SI_JZNS1_25segmented_radix_sort_implINS0_14default_configELb1EPKdPdPKlPlN2at6native12_GLOBAL__N_18offset_tEEE10hipError_tPvRmT1_PNSt15iterator_traitsIS12_E10value_typeET2_T3_PNS13_IS18_E10value_typeET4_jRbjT5_S1E_jjP12ihipStream_tbEUljE_ZNSN_ISO_Lb1ESQ_SR_ST_SU_SY_EESZ_S10_S11_S12_S16_S17_S18_S1B_S1C_jS1D_jS1E_S1E_jjS1G_bEUljE0_EEESZ_S10_S11_S18_S1C_S1E_T6_T7_T9_mT8_S1G_bDpT10_ENKUlT_T0_E_clISt17integral_constantIbLb0EES1T_IbLb1EEEEDaS1P_S1Q_EUlS1P_E_NS1_11comp_targetILNS1_3genE9ELNS1_11target_archE1100ELNS1_3gpuE3ELNS1_3repE0EEENS1_30default_config_static_selectorELNS0_4arch9wavefront6targetE0EEEvS12_.num_vgpr, 0
	.set _ZN7rocprim17ROCPRIM_400000_NS6detail17trampoline_kernelINS0_13select_configILj256ELj13ELNS0_17block_load_methodE3ELS4_3ELS4_3ELNS0_20block_scan_algorithmE0ELj4294967295EEENS1_25partition_config_selectorILNS1_17partition_subalgoE4EjNS0_10empty_typeEbEEZZNS1_14partition_implILS8_4ELb0ES6_15HIP_vector_typeIjLj2EENS0_17counting_iteratorIjlEEPS9_SG_NS0_5tupleIJPjSI_NS0_16reverse_iteratorISI_EEEEENSH_IJSG_SG_SG_EEES9_SI_JZNS1_25segmented_radix_sort_implINS0_14default_configELb1EPKdPdPKlPlN2at6native12_GLOBAL__N_18offset_tEEE10hipError_tPvRmT1_PNSt15iterator_traitsIS12_E10value_typeET2_T3_PNS13_IS18_E10value_typeET4_jRbjT5_S1E_jjP12ihipStream_tbEUljE_ZNSN_ISO_Lb1ESQ_SR_ST_SU_SY_EESZ_S10_S11_S12_S16_S17_S18_S1B_S1C_jS1D_jS1E_S1E_jjS1G_bEUljE0_EEESZ_S10_S11_S18_S1C_S1E_T6_T7_T9_mT8_S1G_bDpT10_ENKUlT_T0_E_clISt17integral_constantIbLb0EES1T_IbLb1EEEEDaS1P_S1Q_EUlS1P_E_NS1_11comp_targetILNS1_3genE9ELNS1_11target_archE1100ELNS1_3gpuE3ELNS1_3repE0EEENS1_30default_config_static_selectorELNS0_4arch9wavefront6targetE0EEEvS12_.num_agpr, 0
	.set _ZN7rocprim17ROCPRIM_400000_NS6detail17trampoline_kernelINS0_13select_configILj256ELj13ELNS0_17block_load_methodE3ELS4_3ELS4_3ELNS0_20block_scan_algorithmE0ELj4294967295EEENS1_25partition_config_selectorILNS1_17partition_subalgoE4EjNS0_10empty_typeEbEEZZNS1_14partition_implILS8_4ELb0ES6_15HIP_vector_typeIjLj2EENS0_17counting_iteratorIjlEEPS9_SG_NS0_5tupleIJPjSI_NS0_16reverse_iteratorISI_EEEEENSH_IJSG_SG_SG_EEES9_SI_JZNS1_25segmented_radix_sort_implINS0_14default_configELb1EPKdPdPKlPlN2at6native12_GLOBAL__N_18offset_tEEE10hipError_tPvRmT1_PNSt15iterator_traitsIS12_E10value_typeET2_T3_PNS13_IS18_E10value_typeET4_jRbjT5_S1E_jjP12ihipStream_tbEUljE_ZNSN_ISO_Lb1ESQ_SR_ST_SU_SY_EESZ_S10_S11_S12_S16_S17_S18_S1B_S1C_jS1D_jS1E_S1E_jjS1G_bEUljE0_EEESZ_S10_S11_S18_S1C_S1E_T6_T7_T9_mT8_S1G_bDpT10_ENKUlT_T0_E_clISt17integral_constantIbLb0EES1T_IbLb1EEEEDaS1P_S1Q_EUlS1P_E_NS1_11comp_targetILNS1_3genE9ELNS1_11target_archE1100ELNS1_3gpuE3ELNS1_3repE0EEENS1_30default_config_static_selectorELNS0_4arch9wavefront6targetE0EEEvS12_.numbered_sgpr, 0
	.set _ZN7rocprim17ROCPRIM_400000_NS6detail17trampoline_kernelINS0_13select_configILj256ELj13ELNS0_17block_load_methodE3ELS4_3ELS4_3ELNS0_20block_scan_algorithmE0ELj4294967295EEENS1_25partition_config_selectorILNS1_17partition_subalgoE4EjNS0_10empty_typeEbEEZZNS1_14partition_implILS8_4ELb0ES6_15HIP_vector_typeIjLj2EENS0_17counting_iteratorIjlEEPS9_SG_NS0_5tupleIJPjSI_NS0_16reverse_iteratorISI_EEEEENSH_IJSG_SG_SG_EEES9_SI_JZNS1_25segmented_radix_sort_implINS0_14default_configELb1EPKdPdPKlPlN2at6native12_GLOBAL__N_18offset_tEEE10hipError_tPvRmT1_PNSt15iterator_traitsIS12_E10value_typeET2_T3_PNS13_IS18_E10value_typeET4_jRbjT5_S1E_jjP12ihipStream_tbEUljE_ZNSN_ISO_Lb1ESQ_SR_ST_SU_SY_EESZ_S10_S11_S12_S16_S17_S18_S1B_S1C_jS1D_jS1E_S1E_jjS1G_bEUljE0_EEESZ_S10_S11_S18_S1C_S1E_T6_T7_T9_mT8_S1G_bDpT10_ENKUlT_T0_E_clISt17integral_constantIbLb0EES1T_IbLb1EEEEDaS1P_S1Q_EUlS1P_E_NS1_11comp_targetILNS1_3genE9ELNS1_11target_archE1100ELNS1_3gpuE3ELNS1_3repE0EEENS1_30default_config_static_selectorELNS0_4arch9wavefront6targetE0EEEvS12_.num_named_barrier, 0
	.set _ZN7rocprim17ROCPRIM_400000_NS6detail17trampoline_kernelINS0_13select_configILj256ELj13ELNS0_17block_load_methodE3ELS4_3ELS4_3ELNS0_20block_scan_algorithmE0ELj4294967295EEENS1_25partition_config_selectorILNS1_17partition_subalgoE4EjNS0_10empty_typeEbEEZZNS1_14partition_implILS8_4ELb0ES6_15HIP_vector_typeIjLj2EENS0_17counting_iteratorIjlEEPS9_SG_NS0_5tupleIJPjSI_NS0_16reverse_iteratorISI_EEEEENSH_IJSG_SG_SG_EEES9_SI_JZNS1_25segmented_radix_sort_implINS0_14default_configELb1EPKdPdPKlPlN2at6native12_GLOBAL__N_18offset_tEEE10hipError_tPvRmT1_PNSt15iterator_traitsIS12_E10value_typeET2_T3_PNS13_IS18_E10value_typeET4_jRbjT5_S1E_jjP12ihipStream_tbEUljE_ZNSN_ISO_Lb1ESQ_SR_ST_SU_SY_EESZ_S10_S11_S12_S16_S17_S18_S1B_S1C_jS1D_jS1E_S1E_jjS1G_bEUljE0_EEESZ_S10_S11_S18_S1C_S1E_T6_T7_T9_mT8_S1G_bDpT10_ENKUlT_T0_E_clISt17integral_constantIbLb0EES1T_IbLb1EEEEDaS1P_S1Q_EUlS1P_E_NS1_11comp_targetILNS1_3genE9ELNS1_11target_archE1100ELNS1_3gpuE3ELNS1_3repE0EEENS1_30default_config_static_selectorELNS0_4arch9wavefront6targetE0EEEvS12_.private_seg_size, 0
	.set _ZN7rocprim17ROCPRIM_400000_NS6detail17trampoline_kernelINS0_13select_configILj256ELj13ELNS0_17block_load_methodE3ELS4_3ELS4_3ELNS0_20block_scan_algorithmE0ELj4294967295EEENS1_25partition_config_selectorILNS1_17partition_subalgoE4EjNS0_10empty_typeEbEEZZNS1_14partition_implILS8_4ELb0ES6_15HIP_vector_typeIjLj2EENS0_17counting_iteratorIjlEEPS9_SG_NS0_5tupleIJPjSI_NS0_16reverse_iteratorISI_EEEEENSH_IJSG_SG_SG_EEES9_SI_JZNS1_25segmented_radix_sort_implINS0_14default_configELb1EPKdPdPKlPlN2at6native12_GLOBAL__N_18offset_tEEE10hipError_tPvRmT1_PNSt15iterator_traitsIS12_E10value_typeET2_T3_PNS13_IS18_E10value_typeET4_jRbjT5_S1E_jjP12ihipStream_tbEUljE_ZNSN_ISO_Lb1ESQ_SR_ST_SU_SY_EESZ_S10_S11_S12_S16_S17_S18_S1B_S1C_jS1D_jS1E_S1E_jjS1G_bEUljE0_EEESZ_S10_S11_S18_S1C_S1E_T6_T7_T9_mT8_S1G_bDpT10_ENKUlT_T0_E_clISt17integral_constantIbLb0EES1T_IbLb1EEEEDaS1P_S1Q_EUlS1P_E_NS1_11comp_targetILNS1_3genE9ELNS1_11target_archE1100ELNS1_3gpuE3ELNS1_3repE0EEENS1_30default_config_static_selectorELNS0_4arch9wavefront6targetE0EEEvS12_.uses_vcc, 0
	.set _ZN7rocprim17ROCPRIM_400000_NS6detail17trampoline_kernelINS0_13select_configILj256ELj13ELNS0_17block_load_methodE3ELS4_3ELS4_3ELNS0_20block_scan_algorithmE0ELj4294967295EEENS1_25partition_config_selectorILNS1_17partition_subalgoE4EjNS0_10empty_typeEbEEZZNS1_14partition_implILS8_4ELb0ES6_15HIP_vector_typeIjLj2EENS0_17counting_iteratorIjlEEPS9_SG_NS0_5tupleIJPjSI_NS0_16reverse_iteratorISI_EEEEENSH_IJSG_SG_SG_EEES9_SI_JZNS1_25segmented_radix_sort_implINS0_14default_configELb1EPKdPdPKlPlN2at6native12_GLOBAL__N_18offset_tEEE10hipError_tPvRmT1_PNSt15iterator_traitsIS12_E10value_typeET2_T3_PNS13_IS18_E10value_typeET4_jRbjT5_S1E_jjP12ihipStream_tbEUljE_ZNSN_ISO_Lb1ESQ_SR_ST_SU_SY_EESZ_S10_S11_S12_S16_S17_S18_S1B_S1C_jS1D_jS1E_S1E_jjS1G_bEUljE0_EEESZ_S10_S11_S18_S1C_S1E_T6_T7_T9_mT8_S1G_bDpT10_ENKUlT_T0_E_clISt17integral_constantIbLb0EES1T_IbLb1EEEEDaS1P_S1Q_EUlS1P_E_NS1_11comp_targetILNS1_3genE9ELNS1_11target_archE1100ELNS1_3gpuE3ELNS1_3repE0EEENS1_30default_config_static_selectorELNS0_4arch9wavefront6targetE0EEEvS12_.uses_flat_scratch, 0
	.set _ZN7rocprim17ROCPRIM_400000_NS6detail17trampoline_kernelINS0_13select_configILj256ELj13ELNS0_17block_load_methodE3ELS4_3ELS4_3ELNS0_20block_scan_algorithmE0ELj4294967295EEENS1_25partition_config_selectorILNS1_17partition_subalgoE4EjNS0_10empty_typeEbEEZZNS1_14partition_implILS8_4ELb0ES6_15HIP_vector_typeIjLj2EENS0_17counting_iteratorIjlEEPS9_SG_NS0_5tupleIJPjSI_NS0_16reverse_iteratorISI_EEEEENSH_IJSG_SG_SG_EEES9_SI_JZNS1_25segmented_radix_sort_implINS0_14default_configELb1EPKdPdPKlPlN2at6native12_GLOBAL__N_18offset_tEEE10hipError_tPvRmT1_PNSt15iterator_traitsIS12_E10value_typeET2_T3_PNS13_IS18_E10value_typeET4_jRbjT5_S1E_jjP12ihipStream_tbEUljE_ZNSN_ISO_Lb1ESQ_SR_ST_SU_SY_EESZ_S10_S11_S12_S16_S17_S18_S1B_S1C_jS1D_jS1E_S1E_jjS1G_bEUljE0_EEESZ_S10_S11_S18_S1C_S1E_T6_T7_T9_mT8_S1G_bDpT10_ENKUlT_T0_E_clISt17integral_constantIbLb0EES1T_IbLb1EEEEDaS1P_S1Q_EUlS1P_E_NS1_11comp_targetILNS1_3genE9ELNS1_11target_archE1100ELNS1_3gpuE3ELNS1_3repE0EEENS1_30default_config_static_selectorELNS0_4arch9wavefront6targetE0EEEvS12_.has_dyn_sized_stack, 0
	.set _ZN7rocprim17ROCPRIM_400000_NS6detail17trampoline_kernelINS0_13select_configILj256ELj13ELNS0_17block_load_methodE3ELS4_3ELS4_3ELNS0_20block_scan_algorithmE0ELj4294967295EEENS1_25partition_config_selectorILNS1_17partition_subalgoE4EjNS0_10empty_typeEbEEZZNS1_14partition_implILS8_4ELb0ES6_15HIP_vector_typeIjLj2EENS0_17counting_iteratorIjlEEPS9_SG_NS0_5tupleIJPjSI_NS0_16reverse_iteratorISI_EEEEENSH_IJSG_SG_SG_EEES9_SI_JZNS1_25segmented_radix_sort_implINS0_14default_configELb1EPKdPdPKlPlN2at6native12_GLOBAL__N_18offset_tEEE10hipError_tPvRmT1_PNSt15iterator_traitsIS12_E10value_typeET2_T3_PNS13_IS18_E10value_typeET4_jRbjT5_S1E_jjP12ihipStream_tbEUljE_ZNSN_ISO_Lb1ESQ_SR_ST_SU_SY_EESZ_S10_S11_S12_S16_S17_S18_S1B_S1C_jS1D_jS1E_S1E_jjS1G_bEUljE0_EEESZ_S10_S11_S18_S1C_S1E_T6_T7_T9_mT8_S1G_bDpT10_ENKUlT_T0_E_clISt17integral_constantIbLb0EES1T_IbLb1EEEEDaS1P_S1Q_EUlS1P_E_NS1_11comp_targetILNS1_3genE9ELNS1_11target_archE1100ELNS1_3gpuE3ELNS1_3repE0EEENS1_30default_config_static_selectorELNS0_4arch9wavefront6targetE0EEEvS12_.has_recursion, 0
	.set _ZN7rocprim17ROCPRIM_400000_NS6detail17trampoline_kernelINS0_13select_configILj256ELj13ELNS0_17block_load_methodE3ELS4_3ELS4_3ELNS0_20block_scan_algorithmE0ELj4294967295EEENS1_25partition_config_selectorILNS1_17partition_subalgoE4EjNS0_10empty_typeEbEEZZNS1_14partition_implILS8_4ELb0ES6_15HIP_vector_typeIjLj2EENS0_17counting_iteratorIjlEEPS9_SG_NS0_5tupleIJPjSI_NS0_16reverse_iteratorISI_EEEEENSH_IJSG_SG_SG_EEES9_SI_JZNS1_25segmented_radix_sort_implINS0_14default_configELb1EPKdPdPKlPlN2at6native12_GLOBAL__N_18offset_tEEE10hipError_tPvRmT1_PNSt15iterator_traitsIS12_E10value_typeET2_T3_PNS13_IS18_E10value_typeET4_jRbjT5_S1E_jjP12ihipStream_tbEUljE_ZNSN_ISO_Lb1ESQ_SR_ST_SU_SY_EESZ_S10_S11_S12_S16_S17_S18_S1B_S1C_jS1D_jS1E_S1E_jjS1G_bEUljE0_EEESZ_S10_S11_S18_S1C_S1E_T6_T7_T9_mT8_S1G_bDpT10_ENKUlT_T0_E_clISt17integral_constantIbLb0EES1T_IbLb1EEEEDaS1P_S1Q_EUlS1P_E_NS1_11comp_targetILNS1_3genE9ELNS1_11target_archE1100ELNS1_3gpuE3ELNS1_3repE0EEENS1_30default_config_static_selectorELNS0_4arch9wavefront6targetE0EEEvS12_.has_indirect_call, 0
	.section	.AMDGPU.csdata,"",@progbits
; Kernel info:
; codeLenInByte = 0
; TotalNumSgprs: 0
; NumVgprs: 0
; ScratchSize: 0
; MemoryBound: 0
; FloatMode: 240
; IeeeMode: 1
; LDSByteSize: 0 bytes/workgroup (compile time only)
; SGPRBlocks: 0
; VGPRBlocks: 0
; NumSGPRsForWavesPerEU: 1
; NumVGPRsForWavesPerEU: 1
; Occupancy: 16
; WaveLimiterHint : 0
; COMPUTE_PGM_RSRC2:SCRATCH_EN: 0
; COMPUTE_PGM_RSRC2:USER_SGPR: 6
; COMPUTE_PGM_RSRC2:TRAP_HANDLER: 0
; COMPUTE_PGM_RSRC2:TGID_X_EN: 1
; COMPUTE_PGM_RSRC2:TGID_Y_EN: 0
; COMPUTE_PGM_RSRC2:TGID_Z_EN: 0
; COMPUTE_PGM_RSRC2:TIDIG_COMP_CNT: 0
	.section	.text._ZN7rocprim17ROCPRIM_400000_NS6detail17trampoline_kernelINS0_13select_configILj256ELj13ELNS0_17block_load_methodE3ELS4_3ELS4_3ELNS0_20block_scan_algorithmE0ELj4294967295EEENS1_25partition_config_selectorILNS1_17partition_subalgoE4EjNS0_10empty_typeEbEEZZNS1_14partition_implILS8_4ELb0ES6_15HIP_vector_typeIjLj2EENS0_17counting_iteratorIjlEEPS9_SG_NS0_5tupleIJPjSI_NS0_16reverse_iteratorISI_EEEEENSH_IJSG_SG_SG_EEES9_SI_JZNS1_25segmented_radix_sort_implINS0_14default_configELb1EPKdPdPKlPlN2at6native12_GLOBAL__N_18offset_tEEE10hipError_tPvRmT1_PNSt15iterator_traitsIS12_E10value_typeET2_T3_PNS13_IS18_E10value_typeET4_jRbjT5_S1E_jjP12ihipStream_tbEUljE_ZNSN_ISO_Lb1ESQ_SR_ST_SU_SY_EESZ_S10_S11_S12_S16_S17_S18_S1B_S1C_jS1D_jS1E_S1E_jjS1G_bEUljE0_EEESZ_S10_S11_S18_S1C_S1E_T6_T7_T9_mT8_S1G_bDpT10_ENKUlT_T0_E_clISt17integral_constantIbLb0EES1T_IbLb1EEEEDaS1P_S1Q_EUlS1P_E_NS1_11comp_targetILNS1_3genE8ELNS1_11target_archE1030ELNS1_3gpuE2ELNS1_3repE0EEENS1_30default_config_static_selectorELNS0_4arch9wavefront6targetE0EEEvS12_,"axG",@progbits,_ZN7rocprim17ROCPRIM_400000_NS6detail17trampoline_kernelINS0_13select_configILj256ELj13ELNS0_17block_load_methodE3ELS4_3ELS4_3ELNS0_20block_scan_algorithmE0ELj4294967295EEENS1_25partition_config_selectorILNS1_17partition_subalgoE4EjNS0_10empty_typeEbEEZZNS1_14partition_implILS8_4ELb0ES6_15HIP_vector_typeIjLj2EENS0_17counting_iteratorIjlEEPS9_SG_NS0_5tupleIJPjSI_NS0_16reverse_iteratorISI_EEEEENSH_IJSG_SG_SG_EEES9_SI_JZNS1_25segmented_radix_sort_implINS0_14default_configELb1EPKdPdPKlPlN2at6native12_GLOBAL__N_18offset_tEEE10hipError_tPvRmT1_PNSt15iterator_traitsIS12_E10value_typeET2_T3_PNS13_IS18_E10value_typeET4_jRbjT5_S1E_jjP12ihipStream_tbEUljE_ZNSN_ISO_Lb1ESQ_SR_ST_SU_SY_EESZ_S10_S11_S12_S16_S17_S18_S1B_S1C_jS1D_jS1E_S1E_jjS1G_bEUljE0_EEESZ_S10_S11_S18_S1C_S1E_T6_T7_T9_mT8_S1G_bDpT10_ENKUlT_T0_E_clISt17integral_constantIbLb0EES1T_IbLb1EEEEDaS1P_S1Q_EUlS1P_E_NS1_11comp_targetILNS1_3genE8ELNS1_11target_archE1030ELNS1_3gpuE2ELNS1_3repE0EEENS1_30default_config_static_selectorELNS0_4arch9wavefront6targetE0EEEvS12_,comdat
	.globl	_ZN7rocprim17ROCPRIM_400000_NS6detail17trampoline_kernelINS0_13select_configILj256ELj13ELNS0_17block_load_methodE3ELS4_3ELS4_3ELNS0_20block_scan_algorithmE0ELj4294967295EEENS1_25partition_config_selectorILNS1_17partition_subalgoE4EjNS0_10empty_typeEbEEZZNS1_14partition_implILS8_4ELb0ES6_15HIP_vector_typeIjLj2EENS0_17counting_iteratorIjlEEPS9_SG_NS0_5tupleIJPjSI_NS0_16reverse_iteratorISI_EEEEENSH_IJSG_SG_SG_EEES9_SI_JZNS1_25segmented_radix_sort_implINS0_14default_configELb1EPKdPdPKlPlN2at6native12_GLOBAL__N_18offset_tEEE10hipError_tPvRmT1_PNSt15iterator_traitsIS12_E10value_typeET2_T3_PNS13_IS18_E10value_typeET4_jRbjT5_S1E_jjP12ihipStream_tbEUljE_ZNSN_ISO_Lb1ESQ_SR_ST_SU_SY_EESZ_S10_S11_S12_S16_S17_S18_S1B_S1C_jS1D_jS1E_S1E_jjS1G_bEUljE0_EEESZ_S10_S11_S18_S1C_S1E_T6_T7_T9_mT8_S1G_bDpT10_ENKUlT_T0_E_clISt17integral_constantIbLb0EES1T_IbLb1EEEEDaS1P_S1Q_EUlS1P_E_NS1_11comp_targetILNS1_3genE8ELNS1_11target_archE1030ELNS1_3gpuE2ELNS1_3repE0EEENS1_30default_config_static_selectorELNS0_4arch9wavefront6targetE0EEEvS12_ ; -- Begin function _ZN7rocprim17ROCPRIM_400000_NS6detail17trampoline_kernelINS0_13select_configILj256ELj13ELNS0_17block_load_methodE3ELS4_3ELS4_3ELNS0_20block_scan_algorithmE0ELj4294967295EEENS1_25partition_config_selectorILNS1_17partition_subalgoE4EjNS0_10empty_typeEbEEZZNS1_14partition_implILS8_4ELb0ES6_15HIP_vector_typeIjLj2EENS0_17counting_iteratorIjlEEPS9_SG_NS0_5tupleIJPjSI_NS0_16reverse_iteratorISI_EEEEENSH_IJSG_SG_SG_EEES9_SI_JZNS1_25segmented_radix_sort_implINS0_14default_configELb1EPKdPdPKlPlN2at6native12_GLOBAL__N_18offset_tEEE10hipError_tPvRmT1_PNSt15iterator_traitsIS12_E10value_typeET2_T3_PNS13_IS18_E10value_typeET4_jRbjT5_S1E_jjP12ihipStream_tbEUljE_ZNSN_ISO_Lb1ESQ_SR_ST_SU_SY_EESZ_S10_S11_S12_S16_S17_S18_S1B_S1C_jS1D_jS1E_S1E_jjS1G_bEUljE0_EEESZ_S10_S11_S18_S1C_S1E_T6_T7_T9_mT8_S1G_bDpT10_ENKUlT_T0_E_clISt17integral_constantIbLb0EES1T_IbLb1EEEEDaS1P_S1Q_EUlS1P_E_NS1_11comp_targetILNS1_3genE8ELNS1_11target_archE1030ELNS1_3gpuE2ELNS1_3repE0EEENS1_30default_config_static_selectorELNS0_4arch9wavefront6targetE0EEEvS12_
	.p2align	8
	.type	_ZN7rocprim17ROCPRIM_400000_NS6detail17trampoline_kernelINS0_13select_configILj256ELj13ELNS0_17block_load_methodE3ELS4_3ELS4_3ELNS0_20block_scan_algorithmE0ELj4294967295EEENS1_25partition_config_selectorILNS1_17partition_subalgoE4EjNS0_10empty_typeEbEEZZNS1_14partition_implILS8_4ELb0ES6_15HIP_vector_typeIjLj2EENS0_17counting_iteratorIjlEEPS9_SG_NS0_5tupleIJPjSI_NS0_16reverse_iteratorISI_EEEEENSH_IJSG_SG_SG_EEES9_SI_JZNS1_25segmented_radix_sort_implINS0_14default_configELb1EPKdPdPKlPlN2at6native12_GLOBAL__N_18offset_tEEE10hipError_tPvRmT1_PNSt15iterator_traitsIS12_E10value_typeET2_T3_PNS13_IS18_E10value_typeET4_jRbjT5_S1E_jjP12ihipStream_tbEUljE_ZNSN_ISO_Lb1ESQ_SR_ST_SU_SY_EESZ_S10_S11_S12_S16_S17_S18_S1B_S1C_jS1D_jS1E_S1E_jjS1G_bEUljE0_EEESZ_S10_S11_S18_S1C_S1E_T6_T7_T9_mT8_S1G_bDpT10_ENKUlT_T0_E_clISt17integral_constantIbLb0EES1T_IbLb1EEEEDaS1P_S1Q_EUlS1P_E_NS1_11comp_targetILNS1_3genE8ELNS1_11target_archE1030ELNS1_3gpuE2ELNS1_3repE0EEENS1_30default_config_static_selectorELNS0_4arch9wavefront6targetE0EEEvS12_,@function
_ZN7rocprim17ROCPRIM_400000_NS6detail17trampoline_kernelINS0_13select_configILj256ELj13ELNS0_17block_load_methodE3ELS4_3ELS4_3ELNS0_20block_scan_algorithmE0ELj4294967295EEENS1_25partition_config_selectorILNS1_17partition_subalgoE4EjNS0_10empty_typeEbEEZZNS1_14partition_implILS8_4ELb0ES6_15HIP_vector_typeIjLj2EENS0_17counting_iteratorIjlEEPS9_SG_NS0_5tupleIJPjSI_NS0_16reverse_iteratorISI_EEEEENSH_IJSG_SG_SG_EEES9_SI_JZNS1_25segmented_radix_sort_implINS0_14default_configELb1EPKdPdPKlPlN2at6native12_GLOBAL__N_18offset_tEEE10hipError_tPvRmT1_PNSt15iterator_traitsIS12_E10value_typeET2_T3_PNS13_IS18_E10value_typeET4_jRbjT5_S1E_jjP12ihipStream_tbEUljE_ZNSN_ISO_Lb1ESQ_SR_ST_SU_SY_EESZ_S10_S11_S12_S16_S17_S18_S1B_S1C_jS1D_jS1E_S1E_jjS1G_bEUljE0_EEESZ_S10_S11_S18_S1C_S1E_T6_T7_T9_mT8_S1G_bDpT10_ENKUlT_T0_E_clISt17integral_constantIbLb0EES1T_IbLb1EEEEDaS1P_S1Q_EUlS1P_E_NS1_11comp_targetILNS1_3genE8ELNS1_11target_archE1030ELNS1_3gpuE2ELNS1_3repE0EEENS1_30default_config_static_selectorELNS0_4arch9wavefront6targetE0EEEvS12_: ; @_ZN7rocprim17ROCPRIM_400000_NS6detail17trampoline_kernelINS0_13select_configILj256ELj13ELNS0_17block_load_methodE3ELS4_3ELS4_3ELNS0_20block_scan_algorithmE0ELj4294967295EEENS1_25partition_config_selectorILNS1_17partition_subalgoE4EjNS0_10empty_typeEbEEZZNS1_14partition_implILS8_4ELb0ES6_15HIP_vector_typeIjLj2EENS0_17counting_iteratorIjlEEPS9_SG_NS0_5tupleIJPjSI_NS0_16reverse_iteratorISI_EEEEENSH_IJSG_SG_SG_EEES9_SI_JZNS1_25segmented_radix_sort_implINS0_14default_configELb1EPKdPdPKlPlN2at6native12_GLOBAL__N_18offset_tEEE10hipError_tPvRmT1_PNSt15iterator_traitsIS12_E10value_typeET2_T3_PNS13_IS18_E10value_typeET4_jRbjT5_S1E_jjP12ihipStream_tbEUljE_ZNSN_ISO_Lb1ESQ_SR_ST_SU_SY_EESZ_S10_S11_S12_S16_S17_S18_S1B_S1C_jS1D_jS1E_S1E_jjS1G_bEUljE0_EEESZ_S10_S11_S18_S1C_S1E_T6_T7_T9_mT8_S1G_bDpT10_ENKUlT_T0_E_clISt17integral_constantIbLb0EES1T_IbLb1EEEEDaS1P_S1Q_EUlS1P_E_NS1_11comp_targetILNS1_3genE8ELNS1_11target_archE1030ELNS1_3gpuE2ELNS1_3repE0EEENS1_30default_config_static_selectorELNS0_4arch9wavefront6targetE0EEEvS12_
; %bb.0:
	s_clause 0x7
	s_load_dwordx2 s[34:35], s[4:5], 0x10
	s_load_dwordx4 s[28:31], s[4:5], 0x28
	s_load_dwordx2 s[14:15], s[4:5], 0x38
	s_load_dwordx4 s[24:27], s[4:5], 0x58
	s_load_dwordx2 s[2:3], s[4:5], 0x68
	s_load_dwordx2 s[36:37], s[4:5], 0x78
	;; [unrolled: 1-line block ×3, first 2 shown]
	s_load_dwordx8 s[16:23], s[4:5], 0x90
	v_cmp_eq_u32_e64 s0, 0, v0
	s_and_saveexec_b32 s1, s0
	s_cbranch_execz .LBB1077_4
; %bb.1:
	s_mov_b32 s7, exec_lo
	s_mov_b32 s6, exec_lo
	v_mbcnt_lo_u32_b32 v1, s7, 0
                                        ; implicit-def: $vgpr2
	v_cmpx_eq_u32_e32 0, v1
	s_cbranch_execz .LBB1077_3
; %bb.2:
	s_load_dwordx2 s[8:9], s[4:5], 0x88
	s_bcnt1_i32_b32 s7, s7
	v_mov_b32_e32 v2, 0
	v_mov_b32_e32 v3, s7
	s_waitcnt lgkmcnt(0)
	global_atomic_add v2, v2, v3, s[8:9] glc
.LBB1077_3:
	s_or_b32 exec_lo, exec_lo, s6
	s_waitcnt vmcnt(0)
	v_readfirstlane_b32 s6, v2
	v_mov_b32_e32 v2, 0
	v_add_nc_u32_e32 v1, s6, v1
	ds_write_b32 v2, v1
.LBB1077_4:
	s_or_b32 exec_lo, exec_lo, s1
	v_mov_b32_e32 v1, 0
	s_clause 0x1
	s_load_dword s6, s[4:5], 0x8
	s_load_dword s1, s[4:5], 0x80
	s_waitcnt lgkmcnt(0)
	s_barrier
	buffer_gl0_inv
	ds_read_b32 v5, v1
	s_waitcnt lgkmcnt(0)
	s_barrier
	buffer_gl0_inv
	global_load_dwordx4 v[1:4], v1, s[26:27]
	s_add_i32 s5, s6, s34
	s_mul_i32 s4, s1, 0xd00
	s_add_i32 s1, s1, -1
	s_add_u32 s6, s34, s4
	s_addc_u32 s7, s35, 0
	v_mul_lo_u32 v31, 0xd00, v5
	v_readfirstlane_b32 s27, v5
	v_cmp_gt_u64_e64 s3, s[2:3], s[6:7]
	v_cmp_ne_u32_e32 vcc_lo, s1, v5
	s_cmp_eq_u32 s27, s1
	s_cselect_b32 s26, -1, 0
	v_add3_u32 v5, v31, s5, v0
	s_or_b32 s1, s3, vcc_lo
	s_mov_b32 s3, -1
	s_and_b32 vcc_lo, exec_lo, s1
	v_add_nc_u32_e32 v6, 0x100, v5
	v_add_nc_u32_e32 v7, 0x200, v5
	;; [unrolled: 1-line block ×12, first 2 shown]
	s_cbranch_vccz .LBB1077_6
; %bb.5:
	v_lshlrev_b32_e32 v18, 2, v0
	s_mov_b32 s3, 0
	ds_write2st64_b32 v18, v5, v6 offset1:4
	ds_write2st64_b32 v18, v7, v8 offset0:8 offset1:12
	ds_write2st64_b32 v18, v9, v10 offset0:16 offset1:20
	;; [unrolled: 1-line block ×5, first 2 shown]
	ds_write_b32 v18, v17 offset:12288
	s_waitcnt vmcnt(0) lgkmcnt(0)
	s_barrier
.LBB1077_6:
	s_andn2_b32 vcc_lo, exec_lo, s3
	s_add_i32 s4, s4, s34
	s_cbranch_vccnz .LBB1077_8
; %bb.7:
	v_lshlrev_b32_e32 v18, 2, v0
	ds_write2st64_b32 v18, v5, v6 offset1:4
	ds_write2st64_b32 v18, v7, v8 offset0:8 offset1:12
	ds_write2st64_b32 v18, v9, v10 offset0:16 offset1:20
	;; [unrolled: 1-line block ×5, first 2 shown]
	ds_write_b32 v18, v17 offset:12288
	s_waitcnt vmcnt(0) lgkmcnt(0)
	s_barrier
.LBB1077_8:
	v_mul_u32_u24_e32 v34, 13, v0
	s_waitcnt vmcnt(0)
	buffer_gl0_inv
	v_cndmask_b32_e64 v32, 0, 1, s1
	s_sub_i32 s33, s2, s4
	s_andn2_b32 vcc_lo, exec_lo, s1
	v_lshlrev_b32_e32 v5, 2, v34
	ds_read_b32 v33, v5 offset:48
	ds_read2_b32 v[13:14], v5 offset0:10 offset1:11
	ds_read2_b32 v[15:16], v5 offset0:8 offset1:9
	ds_read2_b32 v[17:18], v5 offset0:6 offset1:7
	ds_read2_b32 v[19:20], v5 offset0:4 offset1:5
	ds_read2_b32 v[23:24], v5 offset1:1
	ds_read2_b32 v[21:22], v5 offset0:2 offset1:3
	s_waitcnt lgkmcnt(0)
	s_barrier
	buffer_gl0_inv
	s_cbranch_vccnz .LBB1077_36
; %bb.9:
	v_add_nc_u32_e32 v5, s17, v23
	v_add_nc_u32_e32 v6, s19, v23
	s_mov_b32 s41, 0
	s_mov_b32 s40, 0
	s_mov_b32 s2, exec_lo
	v_mul_lo_u32 v5, v5, s16
	v_mul_lo_u32 v6, v6, s18
	v_sub_nc_u32_e32 v5, v5, v6
	v_cmp_lt_u32_e32 vcc_lo, s20, v5
	v_cmpx_ge_u32_e64 s20, v5
	s_cbranch_execz .LBB1077_11
; %bb.10:
	v_add_nc_u32_e32 v5, s22, v23
	v_add_nc_u32_e32 v6, s38, v23
	v_mul_lo_u32 v5, v5, s21
	v_mul_lo_u32 v6, v6, s23
	v_sub_nc_u32_e32 v5, v5, v6
	v_cmp_lt_u32_e64 s1, s39, v5
	s_and_b32 s40, s1, exec_lo
.LBB1077_11:
	s_or_b32 exec_lo, exec_lo, s2
	v_add_nc_u32_e32 v5, s17, v24
	v_add_nc_u32_e32 v6, s19, v24
	s_mov_b32 s3, exec_lo
	v_mul_lo_u32 v5, v5, s16
	v_mul_lo_u32 v6, v6, s18
	v_sub_nc_u32_e32 v5, v5, v6
	v_cmp_lt_u32_e64 s1, s20, v5
	v_cmpx_ge_u32_e64 s20, v5
	s_cbranch_execz .LBB1077_13
; %bb.12:
	v_add_nc_u32_e32 v5, s22, v24
	v_add_nc_u32_e32 v6, s38, v24
	v_mul_lo_u32 v5, v5, s21
	v_mul_lo_u32 v6, v6, s23
	v_sub_nc_u32_e32 v5, v5, v6
	v_cmp_lt_u32_e64 s2, s39, v5
	s_and_b32 s41, s2, exec_lo
.LBB1077_13:
	s_or_b32 exec_lo, exec_lo, s3
	v_add_nc_u32_e32 v5, s17, v21
	v_add_nc_u32_e32 v6, s19, v21
	s_mov_b32 s43, 0
	s_mov_b32 s42, 0
	s_mov_b32 s4, exec_lo
	v_mul_lo_u32 v5, v5, s16
	v_mul_lo_u32 v6, v6, s18
	v_sub_nc_u32_e32 v5, v5, v6
	v_cmp_lt_u32_e64 s2, s20, v5
	v_cmpx_ge_u32_e64 s20, v5
	s_cbranch_execz .LBB1077_15
; %bb.14:
	v_add_nc_u32_e32 v5, s22, v21
	v_add_nc_u32_e32 v6, s38, v21
	v_mul_lo_u32 v5, v5, s21
	v_mul_lo_u32 v6, v6, s23
	v_sub_nc_u32_e32 v5, v5, v6
	v_cmp_lt_u32_e64 s3, s39, v5
	s_and_b32 s42, s3, exec_lo
.LBB1077_15:
	s_or_b32 exec_lo, exec_lo, s4
	v_add_nc_u32_e32 v5, s17, v22
	v_add_nc_u32_e32 v6, s19, v22
	s_mov_b32 s5, exec_lo
	v_mul_lo_u32 v5, v5, s16
	v_mul_lo_u32 v6, v6, s18
	v_sub_nc_u32_e32 v5, v5, v6
	v_cmp_lt_u32_e64 s3, s20, v5
	v_cmpx_ge_u32_e64 s20, v5
	s_cbranch_execz .LBB1077_17
; %bb.16:
	v_add_nc_u32_e32 v5, s22, v22
	v_add_nc_u32_e32 v6, s38, v22
	v_mul_lo_u32 v5, v5, s21
	v_mul_lo_u32 v6, v6, s23
	v_sub_nc_u32_e32 v5, v5, v6
	v_cmp_lt_u32_e64 s4, s39, v5
	s_and_b32 s43, s4, exec_lo
.LBB1077_17:
	s_or_b32 exec_lo, exec_lo, s5
	v_add_nc_u32_e32 v5, s17, v19
	v_add_nc_u32_e32 v6, s19, v19
	s_mov_b32 s45, 0
	s_mov_b32 s44, 0
	s_mov_b32 s6, exec_lo
	v_mul_lo_u32 v5, v5, s16
	v_mul_lo_u32 v6, v6, s18
	v_sub_nc_u32_e32 v5, v5, v6
	v_cmp_lt_u32_e64 s4, s20, v5
	;; [unrolled: 40-line block ×6, first 2 shown]
	v_cmpx_ge_u32_e64 s20, v5
	s_cbranch_execz .LBB1077_35
; %bb.34:
	v_add_nc_u32_e32 v5, s22, v33
	v_add_nc_u32_e32 v6, s38, v33
	v_mul_lo_u32 v5, v5, s21
	v_mul_lo_u32 v6, v6, s23
	v_sub_nc_u32_e32 v5, v5, v6
	v_cmp_lt_u32_e64 s13, s39, v5
	s_and_b32 s53, s13, exec_lo
.LBB1077_35:
	s_or_b32 exec_lo, exec_lo, s54
	v_cndmask_b32_e64 v6, 0, 1, s1
	v_cndmask_b32_e64 v8, 0, 1, s3
	v_cndmask_b32_e64 v5, 0, 1, vcc_lo
	v_cndmask_b32_e64 v7, 0, 1, s2
	v_cndmask_b32_e64 v10, 0, 1, s5
	v_lshlrev_b16 v6, 8, v6
	v_lshlrev_b16 v8, 8, v8
	v_cndmask_b32_e64 v12, 0, 1, s7
	v_cndmask_b32_e64 v26, 0, 1, s9
	;; [unrolled: 1-line block ×3, first 2 shown]
	v_or_b32_e32 v5, v5, v6
	v_or_b32_sdwa v6, v7, v8 dst_sel:WORD_1 dst_unused:UNUSED_PAD src0_sel:DWORD src1_sel:DWORD
	v_cndmask_b32_e64 v7, 0, 1, s40
	v_cndmask_b32_e64 v9, 0, 1, s4
	;; [unrolled: 1-line block ×11, first 2 shown]
	v_or_b32_sdwa v35, v5, v6 dst_sel:DWORD dst_unused:UNUSED_PAD src0_sel:WORD_0 src1_sel:DWORD
	v_lshlrev_b16 v5, 8, v10
	v_lshlrev_b16 v6, 8, v12
	;; [unrolled: 1-line block ×5, first 2 shown]
	v_cndmask_b32_e64 v30, 0, 1, s49
	v_cndmask_b32_e64 v37, 0, 1, s47
	;; [unrolled: 1-line block ×5, first 2 shown]
	v_or_b32_e32 v5, v9, v5
	v_or_b32_sdwa v6, v11, v6 dst_sel:WORD_1 dst_unused:UNUSED_PAD src0_sel:DWORD src1_sel:DWORD
	v_or_b32_e32 v9, v25, v10
	v_or_b32_sdwa v10, v27, v12 dst_sel:WORD_1 dst_unused:UNUSED_PAD src0_sel:DWORD src1_sel:DWORD
	v_or_b32_e32 v7, v8, v7
	v_lshlrev_b16 v8, 8, v44
	v_lshlrev_b16 v11, 8, v41
	;; [unrolled: 1-line block ×5, first 2 shown]
	v_or_b32_sdwa v8, v45, v8 dst_sel:WORD_1 dst_unused:UNUSED_PAD src0_sel:DWORD src1_sel:DWORD
	v_or_b32_e32 v11, v43, v11
	v_or_b32_sdwa v12, v40, v12 dst_sel:WORD_1 dst_unused:UNUSED_PAD src0_sel:DWORD src1_sel:DWORD
	v_or_b32_e32 v25, v37, v25
	v_or_b32_sdwa v26, v30, v26 dst_sel:WORD_1 dst_unused:UNUSED_PAD src0_sel:DWORD src1_sel:DWORD
	v_cndmask_b32_e64 v39, 0, 1, s51
	v_cndmask_b32_e64 v42, 0, 1, s53
	v_or_b32_sdwa v37, v5, v6 dst_sel:DWORD dst_unused:UNUSED_PAD src0_sel:WORD_0 src1_sel:DWORD
	v_or_b32_sdwa v40, v9, v10 dst_sel:DWORD dst_unused:UNUSED_PAD src0_sel:WORD_0 src1_sel:DWORD
	;; [unrolled: 1-line block ×5, first 2 shown]
	s_and_b32 vcc_lo, exec_lo, s50
	s_add_i32 s5, s33, 0xd00
	s_cbranch_vccnz .LBB1077_37
	s_branch .LBB1077_114
.LBB1077_36:
                                        ; implicit-def: $vgpr42
                                        ; implicit-def: $vgpr39
                                        ; implicit-def: $vgpr38
                                        ; implicit-def: $vgpr36
                                        ; implicit-def: $vgpr41
                                        ; implicit-def: $vgpr40
                                        ; implicit-def: $vgpr37
                                        ; implicit-def: $vgpr35
	s_add_i32 s5, s33, 0xd00
	s_cbranch_execz .LBB1077_114
.LBB1077_37:
	v_mov_b32_e32 v6, 0
	v_mov_b32_e32 v5, 0
	s_mov_b32 s2, exec_lo
	v_cmpx_gt_u32_e64 s5, v34
	s_cbranch_execz .LBB1077_41
; %bb.38:
	v_add_nc_u32_e32 v5, s17, v23
	v_add_nc_u32_e32 v6, s19, v23
	s_mov_b32 s4, 0
	s_mov_b32 s3, exec_lo
	v_mul_lo_u32 v5, v5, s16
	v_mul_lo_u32 v6, v6, s18
	v_sub_nc_u32_e32 v5, v5, v6
	v_cmp_lt_u32_e32 vcc_lo, s20, v5
	v_cmpx_ge_u32_e64 s20, v5
	s_cbranch_execz .LBB1077_40
; %bb.39:
	v_add_nc_u32_e32 v5, s22, v23
	v_add_nc_u32_e32 v6, s38, v23
	v_mul_lo_u32 v5, v5, s21
	v_mul_lo_u32 v6, v6, s23
	v_sub_nc_u32_e32 v5, v5, v6
	v_cmp_lt_u32_e64 s1, s39, v5
	s_and_b32 s4, s1, exec_lo
.LBB1077_40:
	s_or_b32 exec_lo, exec_lo, s3
	v_cndmask_b32_e64 v6, 0, 1, s4
	v_cndmask_b32_e64 v5, 0, 1, vcc_lo
.LBB1077_41:
	s_or_b32 exec_lo, exec_lo, s2
	v_add_nc_u32_e32 v7, 1, v34
	v_lshlrev_b16 v25, 8, v6
	v_and_b32_e32 v10, 0xff, v5
	v_lshlrev_b16 v11, 8, 0
                                        ; implicit-def: $vgpr9
                                        ; implicit-def: $vgpr12
                                        ; implicit-def: $vgpr6
                                        ; implicit-def: $vgpr8
	v_cmp_le_u32_e32 vcc_lo, s5, v7
                                        ; implicit-def: $vgpr7
	s_and_saveexec_b32 s1, vcc_lo
	s_xor_b32 s1, exec_lo, s1
	s_cbranch_execz .LBB1077_43
; %bb.42:
	v_mov_b32_e32 v5, 8
	v_mov_b32_e32 v6, 0xff
	;; [unrolled: 1-line block ×3, first 2 shown]
	v_and_b32_e32 v8, 0xffff, v11
	v_and_b32_e32 v7, 0xffff, v11
	v_lshrrev_b32_sdwa v5, v5, v25 dst_sel:BYTE_1 dst_unused:UNUSED_PAD src0_sel:DWORD src1_sel:WORD_0
	v_and_b32_sdwa v6, v25, v6 dst_sel:DWORD dst_unused:UNUSED_PAD src0_sel:WORD_0 src1_sel:DWORD
                                        ; implicit-def: $vgpr25
	v_or_b32_e32 v5, v6, v5
	v_and_b32_e32 v6, 0xffff, v11
                                        ; implicit-def: $vgpr11
	v_and_b32_e32 v12, 0xffff, v5
                                        ; implicit-def: $vgpr5
.LBB1077_43:
	s_andn2_saveexec_b32 s2, s1
	s_cbranch_execz .LBB1077_47
; %bb.44:
	v_add_nc_u32_e32 v6, s17, v24
	v_add_nc_u32_e32 v7, s19, v24
	s_mov_b32 s3, 0
	s_mov_b32 s4, exec_lo
	v_mul_lo_u32 v6, v6, s16
	v_mul_lo_u32 v7, v7, s18
	v_sub_nc_u32_e32 v6, v6, v7
	v_cmp_lt_u32_e32 vcc_lo, s20, v6
	v_cmpx_ge_u32_e64 s20, v6
	s_cbranch_execz .LBB1077_46
; %bb.45:
	v_add_nc_u32_e32 v6, s22, v24
	v_add_nc_u32_e32 v7, s38, v24
	v_mul_lo_u32 v6, v6, s21
	v_mul_lo_u32 v7, v7, s23
	v_sub_nc_u32_e32 v6, v6, v7
	v_cmp_lt_u32_e64 s1, s39, v6
	s_and_b32 s3, s1, exec_lo
.LBB1077_46:
	s_or_b32 exec_lo, exec_lo, s4
	v_mov_b32_e32 v6, 0xff
	v_mov_b32_e32 v7, 8
	v_cndmask_b32_e64 v8, 0, 1, vcc_lo
	v_mov_b32_e32 v9, 0
	v_and_b32_sdwa v6, v25, v6 dst_sel:DWORD dst_unused:UNUSED_PAD src0_sel:WORD_0 src1_sel:DWORD
	v_lshrrev_b32_sdwa v7, v7, v25 dst_sel:BYTE_1 dst_unused:UNUSED_PAD src0_sel:DWORD src1_sel:WORD_0
	v_lshlrev_b16 v8, 8, v8
	v_or_b32_e32 v6, v6, v7
	v_cndmask_b32_e64 v7, 0, 1, s3
	v_or_b32_sdwa v5, v5, v8 dst_sel:DWORD dst_unused:UNUSED_PAD src0_sel:BYTE_0 src1_sel:DWORD
	v_and_b32_e32 v8, 0xffff, v11
	v_and_b32_e32 v12, 0xffff, v6
	v_mov_b32_e32 v6, 0
	v_and_b32_e32 v10, 0xffff, v5
	v_lshl_or_b32 v12, v7, 16, v12
	v_and_b32_e32 v7, 0xffff, v11
.LBB1077_47:
	s_or_b32 exec_lo, exec_lo, s2
	v_add_nc_u32_e32 v5, 2, v34
                                        ; implicit-def: $vgpr11
	v_cmp_le_u32_e32 vcc_lo, s5, v5
                                        ; implicit-def: $vgpr5
	s_and_saveexec_b32 s1, vcc_lo
	s_xor_b32 s1, exec_lo, s1
	s_cbranch_execz .LBB1077_49
; %bb.48:
	v_lshrrev_b32_e32 v5, 24, v10
	v_mov_b32_e32 v11, 8
	v_and_b32_e32 v25, 0xff0000, v12
	v_perm_b32 v8, v8, v8, 0x3060504
	v_perm_b32 v5, v5, v10, 0x40c0100
	v_lshrrev_b32_sdwa v10, v11, v5 dst_sel:BYTE_1 dst_unused:UNUSED_PAD src0_sel:DWORD src1_sel:DWORD
	v_or_b32_sdwa v10, v5, v10 dst_sel:DWORD dst_unused:UNUSED_PAD src0_sel:BYTE_0 src1_sel:DWORD
	v_and_b32_e32 v10, 0xffff, v10
	v_and_or_b32 v11, 0xff000000, v5, v10
	v_perm_b32 v5, v12, v25, 0x3020504
                                        ; implicit-def: $vgpr10
                                        ; implicit-def: $vgpr12
.LBB1077_49:
	s_andn2_saveexec_b32 s2, s1
	s_cbranch_execz .LBB1077_53
; %bb.50:
	v_add_nc_u32_e32 v5, s17, v21
	v_add_nc_u32_e32 v11, s19, v21
	s_mov_b32 s3, 0
	s_mov_b32 s4, exec_lo
	v_mul_lo_u32 v5, v5, s16
	v_mul_lo_u32 v11, v11, s18
	v_sub_nc_u32_e32 v5, v5, v11
	v_cmp_lt_u32_e32 vcc_lo, s20, v5
	v_cmpx_ge_u32_e64 s20, v5
	s_cbranch_execz .LBB1077_52
; %bb.51:
	v_add_nc_u32_e32 v5, s22, v21
	v_add_nc_u32_e32 v11, s38, v21
	v_mul_lo_u32 v5, v5, s21
	v_mul_lo_u32 v11, v11, s23
	v_sub_nc_u32_e32 v5, v5, v11
	v_cmp_lt_u32_e64 s1, s39, v5
	s_and_b32 s3, s1, exec_lo
.LBB1077_52:
	s_or_b32 exec_lo, exec_lo, s4
	v_mov_b32_e32 v5, 8
	v_mov_b32_e32 v11, 24
	v_cndmask_b32_e64 v26, 0, 1, s3
	v_mov_b32_e32 v27, 0xff
	v_cndmask_b32_e64 v25, 0, 1, vcc_lo
	v_lshrrev_b32_sdwa v28, v5, v10 dst_sel:BYTE_1 dst_unused:UNUSED_PAD src0_sel:DWORD src1_sel:DWORD
	v_lshrrev_b32_sdwa v11, v11, v10 dst_sel:BYTE_1 dst_unused:UNUSED_PAD src0_sel:DWORD src1_sel:DWORD
	;; [unrolled: 1-line block ×3, first 2 shown]
	v_lshlrev_b16 v26, 8, v26
	v_and_b32_sdwa v27, v12, v27 dst_sel:DWORD dst_unused:UNUSED_PAD src0_sel:WORD_1 src1_sel:DWORD
	v_or_b32_sdwa v10, v10, v28 dst_sel:DWORD dst_unused:UNUSED_PAD src0_sel:BYTE_0 src1_sel:DWORD
	v_or_b32_sdwa v11, v25, v11 dst_sel:WORD_1 dst_unused:UNUSED_PAD src0_sel:DWORD src1_sel:DWORD
	v_or_b32_sdwa v5, v12, v5 dst_sel:DWORD dst_unused:UNUSED_PAD src0_sel:BYTE_0 src1_sel:DWORD
	v_or_b32_sdwa v12, v27, v26 dst_sel:WORD_1 dst_unused:UNUSED_PAD src0_sel:DWORD src1_sel:DWORD
	v_or_b32_sdwa v11, v10, v11 dst_sel:DWORD dst_unused:UNUSED_PAD src0_sel:WORD_0 src1_sel:DWORD
	v_or_b32_sdwa v5, v5, v12 dst_sel:DWORD dst_unused:UNUSED_PAD src0_sel:WORD_0 src1_sel:DWORD
.LBB1077_53:
	s_or_b32 exec_lo, exec_lo, s2
	v_add_nc_u32_e32 v10, 3, v34
                                        ; implicit-def: $vgpr35
	v_cmp_le_u32_e32 vcc_lo, s5, v10
                                        ; implicit-def: $vgpr10
	s_and_saveexec_b32 s1, vcc_lo
	s_xor_b32 s1, exec_lo, s1
	s_cbranch_execz .LBB1077_55
; %bb.54:
	v_mov_b32_e32 v10, 24
	v_mov_b32_e32 v12, 0xff
	;; [unrolled: 1-line block ×3, first 2 shown]
	v_and_b32_e32 v26, 0xff0000, v11
	v_perm_b32 v8, v8, v8, 0x3060504
	v_lshrrev_b32_sdwa v10, v10, v9 dst_sel:BYTE_1 dst_unused:UNUSED_PAD src0_sel:DWORD src1_sel:DWORD
	v_and_b32_sdwa v12, v9, v12 dst_sel:DWORD dst_unused:UNUSED_PAD src0_sel:WORD_1 src1_sel:DWORD
	v_lshrrev_b32_sdwa v9, v25, v9 dst_sel:BYTE_1 dst_unused:UNUSED_PAD src0_sel:DWORD src1_sel:DWORD
	v_perm_b32 v35, v11, v26, 0x3020504
	v_perm_b32 v7, v7, v7, 0x3060504
                                        ; implicit-def: $vgpr11
	v_or_b32_sdwa v10, v12, v10 dst_sel:WORD_1 dst_unused:UNUSED_PAD src0_sel:DWORD src1_sel:DWORD
	v_or_b32_sdwa v10, v9, v10 dst_sel:DWORD dst_unused:UNUSED_PAD src0_sel:WORD_0 src1_sel:DWORD
                                        ; implicit-def: $vgpr9
.LBB1077_55:
	s_andn2_saveexec_b32 s2, s1
	s_cbranch_execz .LBB1077_59
; %bb.56:
	v_add_nc_u32_e32 v10, s17, v22
	v_add_nc_u32_e32 v12, s19, v22
	s_mov_b32 s3, 0
	s_mov_b32 s4, exec_lo
	v_mul_lo_u32 v10, v10, s16
	v_mul_lo_u32 v12, v12, s18
	v_sub_nc_u32_e32 v10, v10, v12
	v_cmp_lt_u32_e32 vcc_lo, s20, v10
	v_cmpx_ge_u32_e64 s20, v10
	s_cbranch_execz .LBB1077_58
; %bb.57:
	v_add_nc_u32_e32 v10, s22, v22
	v_add_nc_u32_e32 v12, s38, v22
	v_mul_lo_u32 v10, v10, s21
	v_mul_lo_u32 v12, v12, s23
	v_sub_nc_u32_e32 v10, v10, v12
	v_cmp_lt_u32_e64 s1, s39, v10
	s_and_b32 s3, s1, exec_lo
.LBB1077_58:
	s_or_b32 exec_lo, exec_lo, s4
	v_mov_b32_e32 v10, 8
	v_cndmask_b32_e64 v12, 0, 1, vcc_lo
	v_mov_b32_e32 v25, 0xff
	v_mov_b32_e32 v26, 24
	v_cndmask_b32_e64 v27, 0, 1, s3
	v_lshrrev_b32_sdwa v28, v10, v11 dst_sel:BYTE_1 dst_unused:UNUSED_PAD src0_sel:DWORD src1_sel:DWORD
	v_lshlrev_b16 v12, 8, v12
	v_and_b32_sdwa v29, v11, v25 dst_sel:DWORD dst_unused:UNUSED_PAD src0_sel:WORD_1 src1_sel:DWORD
	v_lshrrev_b32_sdwa v26, v26, v9 dst_sel:BYTE_1 dst_unused:UNUSED_PAD src0_sel:DWORD src1_sel:DWORD
	v_and_b32_sdwa v25, v9, v25 dst_sel:DWORD dst_unused:UNUSED_PAD src0_sel:WORD_1 src1_sel:DWORD
	v_lshrrev_b32_sdwa v9, v10, v9 dst_sel:BYTE_1 dst_unused:UNUSED_PAD src0_sel:DWORD src1_sel:DWORD
	v_or_b32_sdwa v10, v11, v28 dst_sel:DWORD dst_unused:UNUSED_PAD src0_sel:BYTE_0 src1_sel:DWORD
	v_or_b32_sdwa v11, v29, v12 dst_sel:WORD_1 dst_unused:UNUSED_PAD src0_sel:DWORD src1_sel:DWORD
	v_or_b32_sdwa v12, v25, v26 dst_sel:WORD_1 dst_unused:UNUSED_PAD src0_sel:DWORD src1_sel:DWORD
	v_or_b32_e32 v9, v27, v9
	v_or_b32_sdwa v35, v10, v11 dst_sel:DWORD dst_unused:UNUSED_PAD src0_sel:WORD_0 src1_sel:DWORD
	v_or_b32_sdwa v10, v9, v12 dst_sel:DWORD dst_unused:UNUSED_PAD src0_sel:WORD_0 src1_sel:DWORD
.LBB1077_59:
	s_or_b32 exec_lo, exec_lo, s2
	v_add_nc_u32_e32 v9, 4, v34
                                        ; implicit-def: $vgpr11
	v_cmp_le_u32_e32 vcc_lo, s5, v9
                                        ; implicit-def: $vgpr9
	s_and_saveexec_b32 s1, vcc_lo
	s_xor_b32 s1, exec_lo, s1
	s_cbranch_execz .LBB1077_61
; %bb.60:
	v_mov_b32_e32 v9, 24
	v_mov_b32_e32 v11, 0xff
	v_mov_b32_e32 v12, 8
	v_perm_b32 v7, v7, v7, 0x3060504
	v_lshrrev_b32_sdwa v25, v9, v8 dst_sel:BYTE_1 dst_unused:UNUSED_PAD src0_sel:DWORD src1_sel:DWORD
	v_and_b32_sdwa v26, v8, v11 dst_sel:DWORD dst_unused:UNUSED_PAD src0_sel:WORD_1 src1_sel:DWORD
	v_lshrrev_b32_sdwa v9, v9, v10 dst_sel:BYTE_1 dst_unused:UNUSED_PAD src0_sel:DWORD src1_sel:DWORD
	v_and_b32_sdwa v11, v10, v11 dst_sel:DWORD dst_unused:UNUSED_PAD src0_sel:WORD_1 src1_sel:DWORD
	v_lshrrev_b32_sdwa v8, v12, v8 dst_sel:BYTE_1 dst_unused:UNUSED_PAD src0_sel:DWORD src1_sel:DWORD
	v_or_b32_sdwa v12, v26, v25 dst_sel:WORD_1 dst_unused:UNUSED_PAD src0_sel:DWORD src1_sel:DWORD
	v_or_b32_e32 v11, v11, v9
	v_or_b32_sdwa v9, v8, v12 dst_sel:DWORD dst_unused:UNUSED_PAD src0_sel:WORD_0 src1_sel:DWORD
                                        ; implicit-def: $vgpr8
	v_perm_b32 v11, v11, v10, 0x5040c00
                                        ; implicit-def: $vgpr10
.LBB1077_61:
	s_andn2_saveexec_b32 s2, s1
	s_cbranch_execz .LBB1077_65
; %bb.62:
	v_add_nc_u32_e32 v9, s17, v19
	v_add_nc_u32_e32 v11, s19, v19
	s_mov_b32 s3, 0
	s_mov_b32 s4, exec_lo
	v_mul_lo_u32 v9, v9, s16
	v_mul_lo_u32 v11, v11, s18
	v_sub_nc_u32_e32 v9, v9, v11
	v_cmp_lt_u32_e32 vcc_lo, s20, v9
	v_cmpx_ge_u32_e64 s20, v9
	s_cbranch_execz .LBB1077_64
; %bb.63:
	v_add_nc_u32_e32 v9, s22, v19
	v_add_nc_u32_e32 v11, s38, v19
	v_mul_lo_u32 v9, v9, s21
	v_mul_lo_u32 v11, v11, s23
	v_sub_nc_u32_e32 v9, v9, v11
	v_cmp_lt_u32_e64 s1, s39, v9
	s_and_b32 s3, s1, exec_lo
.LBB1077_64:
	s_or_b32 exec_lo, exec_lo, s4
	v_mov_b32_e32 v9, 24
	v_mov_b32_e32 v11, 0xff
	;; [unrolled: 1-line block ×3, first 2 shown]
	v_cndmask_b32_e64 v25, 0, 1, s3
	v_cndmask_b32_e64 v26, 0, 1, vcc_lo
	v_lshrrev_b32_sdwa v27, v9, v8 dst_sel:BYTE_1 dst_unused:UNUSED_PAD src0_sel:DWORD src1_sel:DWORD
	v_and_b32_sdwa v28, v8, v11 dst_sel:DWORD dst_unused:UNUSED_PAD src0_sel:WORD_1 src1_sel:DWORD
	v_lshrrev_b32_sdwa v8, v12, v8 dst_sel:BYTE_1 dst_unused:UNUSED_PAD src0_sel:DWORD src1_sel:DWORD
	v_lshlrev_b16 v12, 8, v25
	v_lshrrev_b32_sdwa v9, v9, v10 dst_sel:BYTE_1 dst_unused:UNUSED_PAD src0_sel:DWORD src1_sel:DWORD
	v_and_b32_sdwa v11, v10, v11 dst_sel:DWORD dst_unused:UNUSED_PAD src0_sel:WORD_1 src1_sel:DWORD
	v_or_b32_sdwa v25, v28, v27 dst_sel:WORD_1 dst_unused:UNUSED_PAD src0_sel:DWORD src1_sel:DWORD
	v_or_b32_e32 v8, v26, v8
	v_or_b32_sdwa v10, v10, v12 dst_sel:DWORD dst_unused:UNUSED_PAD src0_sel:BYTE_0 src1_sel:DWORD
	v_or_b32_sdwa v11, v11, v9 dst_sel:WORD_1 dst_unused:UNUSED_PAD src0_sel:DWORD src1_sel:DWORD
	v_or_b32_sdwa v9, v8, v25 dst_sel:DWORD dst_unused:UNUSED_PAD src0_sel:WORD_0 src1_sel:DWORD
	v_or_b32_sdwa v11, v10, v11 dst_sel:DWORD dst_unused:UNUSED_PAD src0_sel:WORD_0 src1_sel:DWORD
.LBB1077_65:
	s_or_b32 exec_lo, exec_lo, s2
	v_add_nc_u32_e32 v8, 5, v34
                                        ; implicit-def: $vgpr10
	v_cmp_le_u32_e32 vcc_lo, s5, v8
                                        ; implicit-def: $vgpr8
	s_and_saveexec_b32 s1, vcc_lo
	s_xor_b32 s1, exec_lo, s1
	s_cbranch_execz .LBB1077_67
; %bb.66:
	v_lshrrev_b32_e32 v8, 24, v11
	v_mov_b32_e32 v10, 8
	v_mov_b32_e32 v12, 0xff
	v_perm_b32 v7, v7, v7, 0x3060504
	v_perm_b32 v8, v8, v11, 0x40c0100
	v_mov_b32_e32 v11, 24
	v_and_b32_sdwa v12, v9, v12 dst_sel:DWORD dst_unused:UNUSED_PAD src0_sel:WORD_1 src1_sel:DWORD
	v_lshrrev_b32_sdwa v10, v10, v8 dst_sel:BYTE_1 dst_unused:UNUSED_PAD src0_sel:DWORD src1_sel:DWORD
	v_lshrrev_b32_sdwa v11, v11, v9 dst_sel:BYTE_1 dst_unused:UNUSED_PAD src0_sel:DWORD src1_sel:DWORD
	v_or_b32_sdwa v10, v8, v10 dst_sel:DWORD dst_unused:UNUSED_PAD src0_sel:BYTE_0 src1_sel:DWORD
	v_or_b32_e32 v11, v12, v11
	v_and_b32_e32 v12, 0xffff, v10
	v_perm_b32 v10, v11, v9, 0x5040c00
                                        ; implicit-def: $vgpr9
                                        ; implicit-def: $vgpr11
	v_and_or_b32 v8, 0xff000000, v8, v12
.LBB1077_67:
	s_andn2_saveexec_b32 s2, s1
	s_cbranch_execz .LBB1077_71
; %bb.68:
	v_add_nc_u32_e32 v8, s17, v20
	v_add_nc_u32_e32 v10, s19, v20
	s_mov_b32 s3, 0
	s_mov_b32 s4, exec_lo
	v_mul_lo_u32 v8, v8, s16
	v_mul_lo_u32 v10, v10, s18
	v_sub_nc_u32_e32 v8, v8, v10
	v_cmp_lt_u32_e32 vcc_lo, s20, v8
	v_cmpx_ge_u32_e64 s20, v8
	s_cbranch_execz .LBB1077_70
; %bb.69:
	v_add_nc_u32_e32 v8, s22, v20
	v_add_nc_u32_e32 v10, s38, v20
	v_mul_lo_u32 v8, v8, s21
	v_mul_lo_u32 v10, v10, s23
	v_sub_nc_u32_e32 v8, v8, v10
	v_cmp_lt_u32_e64 s1, s39, v8
	s_and_b32 s3, s1, exec_lo
.LBB1077_70:
	s_or_b32 exec_lo, exec_lo, s4
	v_cndmask_b32_e64 v8, 0, 1, vcc_lo
	v_mov_b32_e32 v10, 24
	v_mov_b32_e32 v12, 0xff
	;; [unrolled: 1-line block ×3, first 2 shown]
	v_cndmask_b32_e64 v26, 0, 1, s3
	v_lshlrev_b16 v8, 8, v8
	v_lshrrev_b32_sdwa v27, v10, v9 dst_sel:BYTE_1 dst_unused:UNUSED_PAD src0_sel:DWORD src1_sel:DWORD
	v_and_b32_sdwa v12, v9, v12 dst_sel:DWORD dst_unused:UNUSED_PAD src0_sel:WORD_1 src1_sel:DWORD
	v_lshrrev_b32_sdwa v25, v25, v11 dst_sel:BYTE_1 dst_unused:UNUSED_PAD src0_sel:DWORD src1_sel:DWORD
	v_lshrrev_b32_sdwa v10, v10, v11 dst_sel:BYTE_1 dst_unused:UNUSED_PAD src0_sel:DWORD src1_sel:DWORD
	v_or_b32_sdwa v8, v9, v8 dst_sel:DWORD dst_unused:UNUSED_PAD src0_sel:BYTE_0 src1_sel:DWORD
	v_or_b32_sdwa v9, v12, v27 dst_sel:WORD_1 dst_unused:UNUSED_PAD src0_sel:DWORD src1_sel:DWORD
	v_or_b32_sdwa v11, v11, v25 dst_sel:DWORD dst_unused:UNUSED_PAD src0_sel:BYTE_0 src1_sel:DWORD
	v_or_b32_sdwa v12, v26, v10 dst_sel:WORD_1 dst_unused:UNUSED_PAD src0_sel:DWORD src1_sel:DWORD
	v_or_b32_sdwa v10, v8, v9 dst_sel:DWORD dst_unused:UNUSED_PAD src0_sel:WORD_0 src1_sel:DWORD
	v_or_b32_sdwa v8, v11, v12 dst_sel:DWORD dst_unused:UNUSED_PAD src0_sel:WORD_0 src1_sel:DWORD
.LBB1077_71:
	s_or_b32 exec_lo, exec_lo, s2
	v_add_nc_u32_e32 v9, 6, v34
                                        ; implicit-def: $vgpr36
	v_cmp_le_u32_e32 vcc_lo, s5, v9
                                        ; implicit-def: $vgpr9
	s_and_saveexec_b32 s1, vcc_lo
	s_xor_b32 s1, exec_lo, s1
	s_cbranch_execz .LBB1077_73
; %bb.72:
	v_lshrrev_b32_e32 v9, 24, v10
	v_mov_b32_e32 v11, 8
	v_perm_b32 v7, v7, v7, 0x3060504
	v_perm_b32 v9, v9, v10, 0x40c0100
	v_lshrrev_b32_sdwa v10, v11, v9 dst_sel:BYTE_1 dst_unused:UNUSED_PAD src0_sel:DWORD src1_sel:DWORD
	v_and_b32_e32 v11, 0xff0000, v8
	v_or_b32_sdwa v10, v9, v10 dst_sel:DWORD dst_unused:UNUSED_PAD src0_sel:BYTE_0 src1_sel:DWORD
	v_perm_b32 v36, v8, v11, 0x3020504
                                        ; implicit-def: $vgpr8
	v_and_b32_e32 v10, 0xffff, v10
	v_and_or_b32 v9, 0xff000000, v9, v10
                                        ; implicit-def: $vgpr10
.LBB1077_73:
	s_andn2_saveexec_b32 s2, s1
	s_cbranch_execz .LBB1077_77
; %bb.74:
	v_add_nc_u32_e32 v9, s17, v17
	v_add_nc_u32_e32 v11, s19, v17
	s_mov_b32 s3, 0
	s_mov_b32 s4, exec_lo
	v_mul_lo_u32 v9, v9, s16
	v_mul_lo_u32 v11, v11, s18
	v_sub_nc_u32_e32 v9, v9, v11
	v_cmp_lt_u32_e32 vcc_lo, s20, v9
	v_cmpx_ge_u32_e64 s20, v9
	s_cbranch_execz .LBB1077_76
; %bb.75:
	v_add_nc_u32_e32 v9, s22, v17
	v_add_nc_u32_e32 v11, s38, v17
	v_mul_lo_u32 v9, v9, s21
	v_mul_lo_u32 v11, v11, s23
	v_sub_nc_u32_e32 v9, v9, v11
	v_cmp_lt_u32_e64 s1, s39, v9
	s_and_b32 s3, s1, exec_lo
.LBB1077_76:
	s_or_b32 exec_lo, exec_lo, s4
	v_mov_b32_e32 v9, 8
	v_mov_b32_e32 v11, 24
	v_cndmask_b32_e64 v25, 0, 1, s3
	v_mov_b32_e32 v26, 0xff
	v_cndmask_b32_e64 v12, 0, 1, vcc_lo
	v_lshrrev_b32_sdwa v27, v9, v10 dst_sel:BYTE_1 dst_unused:UNUSED_PAD src0_sel:DWORD src1_sel:DWORD
	v_lshrrev_b32_sdwa v11, v11, v10 dst_sel:BYTE_1 dst_unused:UNUSED_PAD src0_sel:DWORD src1_sel:DWORD
	;; [unrolled: 1-line block ×3, first 2 shown]
	v_lshlrev_b16 v25, 8, v25
	v_and_b32_sdwa v26, v8, v26 dst_sel:DWORD dst_unused:UNUSED_PAD src0_sel:WORD_1 src1_sel:DWORD
	v_or_b32_sdwa v10, v10, v27 dst_sel:DWORD dst_unused:UNUSED_PAD src0_sel:BYTE_0 src1_sel:DWORD
	v_or_b32_sdwa v11, v12, v11 dst_sel:WORD_1 dst_unused:UNUSED_PAD src0_sel:DWORD src1_sel:DWORD
	v_or_b32_sdwa v8, v8, v9 dst_sel:DWORD dst_unused:UNUSED_PAD src0_sel:BYTE_0 src1_sel:DWORD
	v_or_b32_sdwa v12, v26, v25 dst_sel:WORD_1 dst_unused:UNUSED_PAD src0_sel:DWORD src1_sel:DWORD
	v_or_b32_sdwa v9, v10, v11 dst_sel:DWORD dst_unused:UNUSED_PAD src0_sel:WORD_0 src1_sel:DWORD
	v_or_b32_sdwa v36, v8, v12 dst_sel:DWORD dst_unused:UNUSED_PAD src0_sel:WORD_0 src1_sel:DWORD
.LBB1077_77:
	s_or_b32 exec_lo, exec_lo, s2
	v_add_nc_u32_e32 v8, 7, v34
                                        ; implicit-def: $vgpr37
	v_cmp_le_u32_e32 vcc_lo, s5, v8
                                        ; implicit-def: $vgpr8
	s_and_saveexec_b32 s1, vcc_lo
	s_xor_b32 s1, exec_lo, s1
	s_cbranch_execz .LBB1077_79
; %bb.78:
	v_mov_b32_e32 v8, 24
	v_mov_b32_e32 v10, 0xff
	;; [unrolled: 1-line block ×3, first 2 shown]
	v_lshrrev_b32_sdwa v8, v8, v7 dst_sel:BYTE_1 dst_unused:UNUSED_PAD src0_sel:DWORD src1_sel:DWORD
	v_and_b32_sdwa v10, v7, v10 dst_sel:DWORD dst_unused:UNUSED_PAD src0_sel:WORD_1 src1_sel:DWORD
	v_lshrrev_b32_sdwa v7, v11, v7 dst_sel:BYTE_1 dst_unused:UNUSED_PAD src0_sel:DWORD src1_sel:DWORD
	v_and_b32_e32 v11, 0xff0000, v9
	v_or_b32_sdwa v8, v10, v8 dst_sel:WORD_1 dst_unused:UNUSED_PAD src0_sel:DWORD src1_sel:DWORD
	v_perm_b32 v37, v9, v11, 0x3020504
                                        ; implicit-def: $vgpr9
	v_or_b32_sdwa v8, v7, v8 dst_sel:DWORD dst_unused:UNUSED_PAD src0_sel:WORD_0 src1_sel:DWORD
                                        ; implicit-def: $vgpr7
.LBB1077_79:
	s_andn2_saveexec_b32 s2, s1
	s_cbranch_execz .LBB1077_83
; %bb.80:
	v_add_nc_u32_e32 v8, s17, v18
	v_add_nc_u32_e32 v10, s19, v18
	s_mov_b32 s3, 0
	s_mov_b32 s4, exec_lo
	v_mul_lo_u32 v8, v8, s16
	v_mul_lo_u32 v10, v10, s18
	v_sub_nc_u32_e32 v8, v8, v10
	v_cmp_lt_u32_e32 vcc_lo, s20, v8
	v_cmpx_ge_u32_e64 s20, v8
	s_cbranch_execz .LBB1077_82
; %bb.81:
	v_add_nc_u32_e32 v8, s22, v18
	v_add_nc_u32_e32 v10, s38, v18
	v_mul_lo_u32 v8, v8, s21
	v_mul_lo_u32 v10, v10, s23
	v_sub_nc_u32_e32 v8, v8, v10
	v_cmp_lt_u32_e64 s1, s39, v8
	s_and_b32 s3, s1, exec_lo
.LBB1077_82:
	s_or_b32 exec_lo, exec_lo, s4
	v_mov_b32_e32 v8, 8
	v_cndmask_b32_e64 v10, 0, 1, vcc_lo
	v_mov_b32_e32 v11, 0xff
	v_mov_b32_e32 v12, 24
	v_cndmask_b32_e64 v25, 0, 1, s3
	v_lshrrev_b32_sdwa v26, v8, v9 dst_sel:BYTE_1 dst_unused:UNUSED_PAD src0_sel:DWORD src1_sel:DWORD
	v_lshlrev_b16 v10, 8, v10
	v_and_b32_sdwa v27, v9, v11 dst_sel:DWORD dst_unused:UNUSED_PAD src0_sel:WORD_1 src1_sel:DWORD
	v_lshrrev_b32_sdwa v12, v12, v7 dst_sel:BYTE_1 dst_unused:UNUSED_PAD src0_sel:DWORD src1_sel:DWORD
	v_and_b32_sdwa v11, v7, v11 dst_sel:DWORD dst_unused:UNUSED_PAD src0_sel:WORD_1 src1_sel:DWORD
	v_lshrrev_b32_sdwa v7, v8, v7 dst_sel:BYTE_1 dst_unused:UNUSED_PAD src0_sel:DWORD src1_sel:DWORD
	v_or_b32_sdwa v8, v9, v26 dst_sel:DWORD dst_unused:UNUSED_PAD src0_sel:BYTE_0 src1_sel:DWORD
	v_or_b32_sdwa v9, v27, v10 dst_sel:WORD_1 dst_unused:UNUSED_PAD src0_sel:DWORD src1_sel:DWORD
	v_or_b32_sdwa v10, v11, v12 dst_sel:WORD_1 dst_unused:UNUSED_PAD src0_sel:DWORD src1_sel:DWORD
	v_or_b32_e32 v7, v25, v7
	v_or_b32_sdwa v37, v8, v9 dst_sel:DWORD dst_unused:UNUSED_PAD src0_sel:WORD_0 src1_sel:DWORD
	v_or_b32_sdwa v8, v7, v10 dst_sel:DWORD dst_unused:UNUSED_PAD src0_sel:WORD_0 src1_sel:DWORD
.LBB1077_83:
	s_or_b32 exec_lo, exec_lo, s2
	v_add_nc_u32_e32 v7, 8, v34
                                        ; implicit-def: $vgpr9
	v_cmp_le_u32_e32 vcc_lo, s5, v7
                                        ; implicit-def: $vgpr7
	s_and_saveexec_b32 s1, vcc_lo
	s_xor_b32 s1, exec_lo, s1
	s_cbranch_execz .LBB1077_85
; %bb.84:
	v_mov_b32_e32 v7, 24
	v_mov_b32_e32 v9, 0xff
	;; [unrolled: 1-line block ×3, first 2 shown]
	v_perm_b32 v5, v5, v5, 0x3060504
	v_lshrrev_b32_sdwa v11, v7, v8 dst_sel:BYTE_1 dst_unused:UNUSED_PAD src0_sel:DWORD src1_sel:DWORD
	v_lshrrev_b32_sdwa v7, v7, v6 dst_sel:BYTE_1 dst_unused:UNUSED_PAD src0_sel:DWORD src1_sel:DWORD
	v_and_b32_sdwa v12, v6, v9 dst_sel:DWORD dst_unused:UNUSED_PAD src0_sel:WORD_1 src1_sel:DWORD
	v_and_b32_sdwa v9, v8, v9 dst_sel:DWORD dst_unused:UNUSED_PAD src0_sel:WORD_1 src1_sel:DWORD
	v_lshrrev_b32_sdwa v6, v10, v6 dst_sel:BYTE_1 dst_unused:UNUSED_PAD src0_sel:DWORD src1_sel:DWORD
	v_or_b32_sdwa v7, v12, v7 dst_sel:WORD_1 dst_unused:UNUSED_PAD src0_sel:DWORD src1_sel:DWORD
	v_or_b32_e32 v9, v9, v11
	v_or_b32_sdwa v7, v6, v7 dst_sel:DWORD dst_unused:UNUSED_PAD src0_sel:WORD_0 src1_sel:DWORD
	v_perm_b32 v9, v9, v8, 0x5040c00
                                        ; implicit-def: $vgpr6
                                        ; implicit-def: $vgpr8
.LBB1077_85:
	s_andn2_saveexec_b32 s2, s1
	s_cbranch_execz .LBB1077_89
; %bb.86:
	v_add_nc_u32_e32 v7, s17, v15
	v_add_nc_u32_e32 v9, s19, v15
	s_mov_b32 s3, 0
	s_mov_b32 s4, exec_lo
	v_mul_lo_u32 v7, v7, s16
	v_mul_lo_u32 v9, v9, s18
	v_sub_nc_u32_e32 v7, v7, v9
	v_cmp_lt_u32_e32 vcc_lo, s20, v7
	v_cmpx_ge_u32_e64 s20, v7
	s_cbranch_execz .LBB1077_88
; %bb.87:
	v_add_nc_u32_e32 v7, s22, v15
	v_add_nc_u32_e32 v9, s38, v15
	v_mul_lo_u32 v7, v7, s21
	v_mul_lo_u32 v9, v9, s23
	v_sub_nc_u32_e32 v7, v7, v9
	v_cmp_lt_u32_e64 s1, s39, v7
	s_and_b32 s3, s1, exec_lo
.LBB1077_88:
	s_or_b32 exec_lo, exec_lo, s4
	v_mov_b32_e32 v7, 24
	v_mov_b32_e32 v9, 0xff
	;; [unrolled: 1-line block ×3, first 2 shown]
	v_cndmask_b32_e64 v11, 0, 1, s3
	v_cndmask_b32_e64 v12, 0, 1, vcc_lo
	v_lshrrev_b32_sdwa v25, v7, v6 dst_sel:BYTE_1 dst_unused:UNUSED_PAD src0_sel:DWORD src1_sel:DWORD
	v_and_b32_sdwa v26, v6, v9 dst_sel:DWORD dst_unused:UNUSED_PAD src0_sel:WORD_1 src1_sel:DWORD
	v_lshrrev_b32_sdwa v6, v10, v6 dst_sel:BYTE_1 dst_unused:UNUSED_PAD src0_sel:DWORD src1_sel:DWORD
	v_lshlrev_b16 v10, 8, v11
	v_lshrrev_b32_sdwa v7, v7, v8 dst_sel:BYTE_1 dst_unused:UNUSED_PAD src0_sel:DWORD src1_sel:DWORD
	v_and_b32_sdwa v9, v8, v9 dst_sel:DWORD dst_unused:UNUSED_PAD src0_sel:WORD_1 src1_sel:DWORD
	v_or_b32_sdwa v11, v26, v25 dst_sel:WORD_1 dst_unused:UNUSED_PAD src0_sel:DWORD src1_sel:DWORD
	v_or_b32_e32 v6, v12, v6
	v_or_b32_sdwa v8, v8, v10 dst_sel:DWORD dst_unused:UNUSED_PAD src0_sel:BYTE_0 src1_sel:DWORD
	v_or_b32_sdwa v9, v9, v7 dst_sel:WORD_1 dst_unused:UNUSED_PAD src0_sel:DWORD src1_sel:DWORD
	v_or_b32_sdwa v7, v6, v11 dst_sel:DWORD dst_unused:UNUSED_PAD src0_sel:WORD_0 src1_sel:DWORD
	v_or_b32_sdwa v9, v8, v9 dst_sel:DWORD dst_unused:UNUSED_PAD src0_sel:WORD_0 src1_sel:DWORD
.LBB1077_89:
	s_or_b32 exec_lo, exec_lo, s2
	v_add_nc_u32_e32 v6, 9, v34
                                        ; implicit-def: $vgpr8
	v_cmp_le_u32_e32 vcc_lo, s5, v6
                                        ; implicit-def: $vgpr6
	s_and_saveexec_b32 s1, vcc_lo
	s_xor_b32 s1, exec_lo, s1
	s_cbranch_execz .LBB1077_91
; %bb.90:
	v_lshrrev_b32_e32 v6, 24, v9
	v_mov_b32_e32 v8, 8
	v_mov_b32_e32 v10, 0xff
	v_perm_b32 v5, v5, v5, 0x3060504
	v_perm_b32 v6, v6, v9, 0x40c0100
	v_mov_b32_e32 v9, 24
	v_and_b32_sdwa v10, v7, v10 dst_sel:DWORD dst_unused:UNUSED_PAD src0_sel:WORD_1 src1_sel:DWORD
	v_lshrrev_b32_sdwa v8, v8, v6 dst_sel:BYTE_1 dst_unused:UNUSED_PAD src0_sel:DWORD src1_sel:DWORD
	v_lshrrev_b32_sdwa v9, v9, v7 dst_sel:BYTE_1 dst_unused:UNUSED_PAD src0_sel:DWORD src1_sel:DWORD
	v_or_b32_sdwa v8, v6, v8 dst_sel:DWORD dst_unused:UNUSED_PAD src0_sel:BYTE_0 src1_sel:DWORD
	v_or_b32_e32 v9, v10, v9
	v_and_b32_e32 v10, 0xffff, v8
	v_perm_b32 v8, v9, v7, 0x5040c00
                                        ; implicit-def: $vgpr7
                                        ; implicit-def: $vgpr9
	v_and_or_b32 v6, 0xff000000, v6, v10
.LBB1077_91:
	s_andn2_saveexec_b32 s2, s1
	s_cbranch_execz .LBB1077_95
; %bb.92:
	v_add_nc_u32_e32 v6, s17, v16
	v_add_nc_u32_e32 v8, s19, v16
	s_mov_b32 s3, 0
	s_mov_b32 s4, exec_lo
	v_mul_lo_u32 v6, v6, s16
	v_mul_lo_u32 v8, v8, s18
	v_sub_nc_u32_e32 v6, v6, v8
	v_cmp_lt_u32_e32 vcc_lo, s20, v6
	v_cmpx_ge_u32_e64 s20, v6
	s_cbranch_execz .LBB1077_94
; %bb.93:
	v_add_nc_u32_e32 v6, s22, v16
	v_add_nc_u32_e32 v8, s38, v16
	v_mul_lo_u32 v6, v6, s21
	v_mul_lo_u32 v8, v8, s23
	v_sub_nc_u32_e32 v6, v6, v8
	v_cmp_lt_u32_e64 s1, s39, v6
	s_and_b32 s3, s1, exec_lo
.LBB1077_94:
	s_or_b32 exec_lo, exec_lo, s4
	v_cndmask_b32_e64 v6, 0, 1, vcc_lo
	v_mov_b32_e32 v8, 24
	v_mov_b32_e32 v10, 0xff
	;; [unrolled: 1-line block ×3, first 2 shown]
	v_cndmask_b32_e64 v12, 0, 1, s3
	v_lshlrev_b16 v6, 8, v6
	v_lshrrev_b32_sdwa v25, v8, v7 dst_sel:BYTE_1 dst_unused:UNUSED_PAD src0_sel:DWORD src1_sel:DWORD
	v_and_b32_sdwa v10, v7, v10 dst_sel:DWORD dst_unused:UNUSED_PAD src0_sel:WORD_1 src1_sel:DWORD
	v_lshrrev_b32_sdwa v11, v11, v9 dst_sel:BYTE_1 dst_unused:UNUSED_PAD src0_sel:DWORD src1_sel:DWORD
	v_lshrrev_b32_sdwa v8, v8, v9 dst_sel:BYTE_1 dst_unused:UNUSED_PAD src0_sel:DWORD src1_sel:DWORD
	v_or_b32_sdwa v6, v7, v6 dst_sel:DWORD dst_unused:UNUSED_PAD src0_sel:BYTE_0 src1_sel:DWORD
	v_or_b32_sdwa v7, v10, v25 dst_sel:WORD_1 dst_unused:UNUSED_PAD src0_sel:DWORD src1_sel:DWORD
	v_or_b32_sdwa v9, v9, v11 dst_sel:DWORD dst_unused:UNUSED_PAD src0_sel:BYTE_0 src1_sel:DWORD
	v_or_b32_sdwa v10, v12, v8 dst_sel:WORD_1 dst_unused:UNUSED_PAD src0_sel:DWORD src1_sel:DWORD
	v_or_b32_sdwa v8, v6, v7 dst_sel:DWORD dst_unused:UNUSED_PAD src0_sel:WORD_0 src1_sel:DWORD
	v_or_b32_sdwa v6, v9, v10 dst_sel:DWORD dst_unused:UNUSED_PAD src0_sel:WORD_0 src1_sel:DWORD
.LBB1077_95:
	s_or_b32 exec_lo, exec_lo, s2
	v_add_nc_u32_e32 v7, 10, v34
                                        ; implicit-def: $vgpr38
	v_cmp_le_u32_e32 vcc_lo, s5, v7
                                        ; implicit-def: $vgpr7
	s_and_saveexec_b32 s1, vcc_lo
	s_xor_b32 s1, exec_lo, s1
	s_cbranch_execz .LBB1077_97
; %bb.96:
	v_lshrrev_b32_e32 v7, 24, v8
	v_mov_b32_e32 v9, 8
	v_perm_b32 v5, v5, v5, 0x3060504
	v_perm_b32 v7, v7, v8, 0x40c0100
	v_lshrrev_b32_sdwa v8, v9, v7 dst_sel:BYTE_1 dst_unused:UNUSED_PAD src0_sel:DWORD src1_sel:DWORD
	v_and_b32_e32 v9, 0xff0000, v6
	v_or_b32_sdwa v8, v7, v8 dst_sel:DWORD dst_unused:UNUSED_PAD src0_sel:BYTE_0 src1_sel:DWORD
	v_perm_b32 v38, v6, v9, 0x3020504
                                        ; implicit-def: $vgpr6
	v_and_b32_e32 v8, 0xffff, v8
	v_and_or_b32 v7, 0xff000000, v7, v8
                                        ; implicit-def: $vgpr8
.LBB1077_97:
	s_andn2_saveexec_b32 s2, s1
	s_cbranch_execz .LBB1077_101
; %bb.98:
	v_add_nc_u32_e32 v7, s17, v13
	v_add_nc_u32_e32 v9, s19, v13
	s_mov_b32 s3, 0
	s_mov_b32 s4, exec_lo
	v_mul_lo_u32 v7, v7, s16
	v_mul_lo_u32 v9, v9, s18
	v_sub_nc_u32_e32 v7, v7, v9
	v_cmp_lt_u32_e32 vcc_lo, s20, v7
	v_cmpx_ge_u32_e64 s20, v7
	s_cbranch_execz .LBB1077_100
; %bb.99:
	v_add_nc_u32_e32 v7, s22, v13
	v_add_nc_u32_e32 v9, s38, v13
	v_mul_lo_u32 v7, v7, s21
	v_mul_lo_u32 v9, v9, s23
	v_sub_nc_u32_e32 v7, v7, v9
	v_cmp_lt_u32_e64 s1, s39, v7
	s_and_b32 s3, s1, exec_lo
.LBB1077_100:
	s_or_b32 exec_lo, exec_lo, s4
	v_mov_b32_e32 v7, 8
	v_mov_b32_e32 v9, 24
	v_cndmask_b32_e64 v11, 0, 1, s3
	v_mov_b32_e32 v12, 0xff
	v_cndmask_b32_e64 v10, 0, 1, vcc_lo
	v_lshrrev_b32_sdwa v25, v7, v8 dst_sel:BYTE_1 dst_unused:UNUSED_PAD src0_sel:DWORD src1_sel:DWORD
	v_lshrrev_b32_sdwa v9, v9, v8 dst_sel:BYTE_1 dst_unused:UNUSED_PAD src0_sel:DWORD src1_sel:DWORD
	;; [unrolled: 1-line block ×3, first 2 shown]
	v_lshlrev_b16 v11, 8, v11
	v_and_b32_sdwa v12, v6, v12 dst_sel:DWORD dst_unused:UNUSED_PAD src0_sel:WORD_1 src1_sel:DWORD
	v_or_b32_sdwa v8, v8, v25 dst_sel:DWORD dst_unused:UNUSED_PAD src0_sel:BYTE_0 src1_sel:DWORD
	v_or_b32_sdwa v9, v10, v9 dst_sel:WORD_1 dst_unused:UNUSED_PAD src0_sel:DWORD src1_sel:DWORD
	v_or_b32_sdwa v6, v6, v7 dst_sel:DWORD dst_unused:UNUSED_PAD src0_sel:BYTE_0 src1_sel:DWORD
	v_or_b32_sdwa v10, v12, v11 dst_sel:WORD_1 dst_unused:UNUSED_PAD src0_sel:DWORD src1_sel:DWORD
	v_or_b32_sdwa v7, v8, v9 dst_sel:DWORD dst_unused:UNUSED_PAD src0_sel:WORD_0 src1_sel:DWORD
	v_or_b32_sdwa v38, v6, v10 dst_sel:DWORD dst_unused:UNUSED_PAD src0_sel:WORD_0 src1_sel:DWORD
.LBB1077_101:
	s_or_b32 exec_lo, exec_lo, s2
	v_add_nc_u32_e32 v6, 11, v34
	v_mov_b32_e32 v39, 0
	s_mov_b32 s1, exec_lo
                                        ; implicit-def: $vgpr40
	v_cmpx_le_u32_e64 s5, v6
	s_xor_b32 s1, exec_lo, s1
; %bb.102:
	v_and_b32_e32 v6, 0xff0000, v7
	v_perm_b32 v5, v5, v5, 0x3060504
	v_perm_b32 v40, v7, v6, 0x3020504
                                        ; implicit-def: $vgpr7
; %bb.103:
	s_andn2_saveexec_b32 s2, s1
	s_cbranch_execz .LBB1077_107
; %bb.104:
	v_add_nc_u32_e32 v6, s17, v14
	v_add_nc_u32_e32 v8, s19, v14
	s_mov_b32 s3, 0
	s_mov_b32 s4, exec_lo
	v_mul_lo_u32 v6, v6, s16
	v_mul_lo_u32 v8, v8, s18
	v_sub_nc_u32_e32 v6, v6, v8
	v_cmp_lt_u32_e32 vcc_lo, s20, v6
	v_cmpx_ge_u32_e64 s20, v6
	s_cbranch_execz .LBB1077_106
; %bb.105:
	v_add_nc_u32_e32 v6, s22, v14
	v_add_nc_u32_e32 v8, s38, v14
	v_mul_lo_u32 v6, v6, s21
	v_mul_lo_u32 v8, v8, s23
	v_sub_nc_u32_e32 v6, v6, v8
	v_cmp_lt_u32_e64 s1, s39, v6
	s_and_b32 s3, s1, exec_lo
.LBB1077_106:
	s_or_b32 exec_lo, exec_lo, s4
	v_mov_b32_e32 v6, 8
	v_cndmask_b32_e64 v8, 0, 1, vcc_lo
	v_mov_b32_e32 v9, 0xff
	v_cndmask_b32_e64 v39, 0, 1, s3
	v_lshrrev_b32_sdwa v6, v6, v7 dst_sel:BYTE_1 dst_unused:UNUSED_PAD src0_sel:DWORD src1_sel:DWORD
	v_lshlrev_b16 v8, 8, v8
	v_and_b32_sdwa v9, v7, v9 dst_sel:DWORD dst_unused:UNUSED_PAD src0_sel:WORD_1 src1_sel:DWORD
	v_or_b32_sdwa v6, v7, v6 dst_sel:DWORD dst_unused:UNUSED_PAD src0_sel:BYTE_0 src1_sel:DWORD
	v_or_b32_sdwa v7, v9, v8 dst_sel:WORD_1 dst_unused:UNUSED_PAD src0_sel:DWORD src1_sel:DWORD
	v_or_b32_sdwa v40, v6, v7 dst_sel:DWORD dst_unused:UNUSED_PAD src0_sel:WORD_0 src1_sel:DWORD
.LBB1077_107:
	s_or_b32 exec_lo, exec_lo, s2
	v_add_nc_u32_e32 v6, 12, v34
	s_mov_b32 s1, exec_lo
                                        ; implicit-def: $vgpr41
	v_cmpx_le_u32_e64 s5, v6
	s_xor_b32 s1, exec_lo, s1
	s_cbranch_execz .LBB1077_109
; %bb.108:
	v_mov_b32_e32 v6, 24
	v_mov_b32_e32 v7, 0xff
	;; [unrolled: 1-line block ×3, first 2 shown]
	v_lshrrev_b32_sdwa v6, v6, v5 dst_sel:BYTE_1 dst_unused:UNUSED_PAD src0_sel:DWORD src1_sel:DWORD
	v_and_b32_sdwa v7, v5, v7 dst_sel:DWORD dst_unused:UNUSED_PAD src0_sel:WORD_1 src1_sel:DWORD
	v_lshrrev_b32_sdwa v5, v8, v5 dst_sel:BYTE_1 dst_unused:UNUSED_PAD src0_sel:DWORD src1_sel:DWORD
	v_or_b32_sdwa v6, v7, v6 dst_sel:WORD_1 dst_unused:UNUSED_PAD src0_sel:DWORD src1_sel:DWORD
	v_or_b32_sdwa v41, v5, v6 dst_sel:DWORD dst_unused:UNUSED_PAD src0_sel:WORD_0 src1_sel:DWORD
                                        ; implicit-def: $vgpr5
.LBB1077_109:
	s_or_saveexec_b32 s2, s1
	v_mov_b32_e32 v42, 0
	s_xor_b32 exec_lo, exec_lo, s2
	s_cbranch_execz .LBB1077_113
; %bb.110:
	v_add_nc_u32_e32 v6, s17, v33
	v_add_nc_u32_e32 v7, s19, v33
	s_mov_b32 s3, 0
	s_mov_b32 s4, exec_lo
	v_mul_lo_u32 v6, v6, s16
	v_mul_lo_u32 v7, v7, s18
	v_sub_nc_u32_e32 v6, v6, v7
	v_cmp_lt_u32_e32 vcc_lo, s20, v6
	v_cmpx_ge_u32_e64 s20, v6
	s_cbranch_execz .LBB1077_112
; %bb.111:
	v_add_nc_u32_e32 v6, s22, v33
	v_add_nc_u32_e32 v7, s38, v33
	v_mul_lo_u32 v6, v6, s21
	v_mul_lo_u32 v7, v7, s23
	v_sub_nc_u32_e32 v6, v6, v7
	v_cmp_lt_u32_e64 s1, s39, v6
	s_and_b32 s3, s1, exec_lo
.LBB1077_112:
	s_or_b32 exec_lo, exec_lo, s4
	v_mov_b32_e32 v6, 24
	v_mov_b32_e32 v7, 0xff
	;; [unrolled: 1-line block ×3, first 2 shown]
	v_cndmask_b32_e64 v9, 0, 1, vcc_lo
	v_cndmask_b32_e64 v42, 0, 1, s3
	v_lshrrev_b32_sdwa v6, v6, v5 dst_sel:BYTE_1 dst_unused:UNUSED_PAD src0_sel:DWORD src1_sel:DWORD
	v_and_b32_sdwa v7, v5, v7 dst_sel:DWORD dst_unused:UNUSED_PAD src0_sel:WORD_1 src1_sel:DWORD
	v_lshrrev_b32_sdwa v5, v8, v5 dst_sel:BYTE_1 dst_unused:UNUSED_PAD src0_sel:DWORD src1_sel:DWORD
	v_or_b32_sdwa v6, v7, v6 dst_sel:WORD_1 dst_unused:UNUSED_PAD src0_sel:DWORD src1_sel:DWORD
	v_or_b32_e32 v5, v9, v5
	v_or_b32_sdwa v41, v5, v6 dst_sel:DWORD dst_unused:UNUSED_PAD src0_sel:WORD_0 src1_sel:DWORD
.LBB1077_113:
	s_or_b32 exec_lo, exec_lo, s2
.LBB1077_114:
	v_and_b32_e32 v65, 0xff, v35
	v_bfe_u32 v66, v41, 8, 8
	v_bfe_u32 v62, v35, 8, 8
	v_bfe_u32 v63, v41, 16, 8
	v_bfe_u32 v64, v35, 16, 8
	v_lshrrev_b32_e32 v48, 24, v41
	v_lshrrev_b32_e32 v47, 24, v35
	v_and_b32_e32 v61, 0xff, v36
	v_and_b32_e32 v59, 0xff, v37
	v_bfe_u32 v60, v36, 8, 8
	v_add3_u32 v5, v62, v65, v64
	v_add3_u32 v6, v63, v66, v48
	v_bfe_u32 v57, v37, 8, 8
	v_bfe_u32 v58, v36, 16, 8
	;; [unrolled: 1-line block ×3, first 2 shown]
	v_lshrrev_b32_e32 v46, 24, v36
	v_add3_u32 v5, v5, v47, v59
	v_add3_u32 v6, v6, v61, v60
	v_lshrrev_b32_e32 v45, 24, v37
	v_and_b32_e32 v56, 0xff, v38
	v_and_b32_e32 v54, 0xff, v40
	v_bfe_u32 v55, v38, 8, 8
	v_add3_u32 v5, v5, v57, v52
	v_add3_u32 v6, v6, v58, v46
	v_bfe_u32 v51, v40, 8, 8
	v_bfe_u32 v53, v38, 16, 8
	;; [unrolled: 1-line block ×3, first 2 shown]
	v_lshrrev_b32_e32 v44, 24, v38
	v_add3_u32 v5, v5, v45, v54
	v_add3_u32 v6, v6, v56, v55
	v_mbcnt_lo_u32_b32 v67, -1, 0
	v_lshrrev_b32_e32 v43, 24, v40
	v_and_b32_e32 v50, 0xff, v39
	v_and_b32_e32 v7, 0xff, v41
	v_and_b32_e32 v8, 0xff, v42
	v_add3_u32 v5, v5, v51, v49
	v_add3_u32 v6, v6, v53, v44
	v_and_b32_e32 v69, 15, v67
	v_and_b32_e32 v71, 16, v67
	v_lshrrev_b32_e32 v68, 5, v0
	v_add3_u32 v72, v5, v43, v7
	v_add3_u32 v73, v6, v50, v8
	v_cmp_eq_u32_e64 s2, 0, v69
	v_cmp_lt_u32_e64 s1, 1, v69
	v_cmp_lt_u32_e64 s3, 3, v69
	v_or_b32_e32 v70, 31, v0
	s_cmp_lg_u32 s27, 0
	s_mov_b32 s4, -1
	v_cmp_lt_u32_e32 vcc_lo, 7, v69
	s_cbranch_scc0 .LBB1077_136
; %bb.115:
	v_mov_b32_dpp v5, v73 row_shr:1 row_mask:0xf bank_mask:0xf
	v_mov_b32_dpp v6, v72 row_shr:1 row_mask:0xf bank_mask:0xf
	s_mov_b32 s4, exec_lo
	v_add_nc_u32_e32 v5, v5, v73
	v_add_nc_u32_e32 v6, v6, v72
	v_cndmask_b32_e64 v5, v5, v73, s2
	v_cndmask_b32_e64 v6, v6, v72, s2
	v_mov_b32_dpp v7, v5 row_shr:2 row_mask:0xf bank_mask:0xf
	v_mov_b32_dpp v8, v6 row_shr:2 row_mask:0xf bank_mask:0xf
	v_add_nc_u32_e32 v7, v5, v7
	v_add_nc_u32_e32 v8, v6, v8
	v_cndmask_b32_e64 v5, v5, v7, s1
	v_cndmask_b32_e64 v6, v6, v8, s1
	v_mov_b32_dpp v7, v5 row_shr:4 row_mask:0xf bank_mask:0xf
	v_mov_b32_dpp v8, v6 row_shr:4 row_mask:0xf bank_mask:0xf
	v_add_nc_u32_e32 v7, v5, v7
	v_add_nc_u32_e32 v8, v6, v8
	v_cndmask_b32_e64 v5, v5, v7, s3
	v_cndmask_b32_e64 v6, v6, v8, s3
	v_mov_b32_dpp v7, v5 row_shr:8 row_mask:0xf bank_mask:0xf
	v_mov_b32_dpp v8, v6 row_shr:8 row_mask:0xf bank_mask:0xf
	v_add_nc_u32_e32 v7, v5, v7
	v_add_nc_u32_e32 v8, v6, v8
	v_cndmask_b32_e32 v5, v5, v7, vcc_lo
	v_cndmask_b32_e32 v6, v6, v8, vcc_lo
	v_cmp_eq_u32_e32 vcc_lo, 0, v71
	ds_swizzle_b32 v7, v5 offset:swizzle(BROADCAST,32,15)
	ds_swizzle_b32 v8, v6 offset:swizzle(BROADCAST,32,15)
	s_waitcnt lgkmcnt(1)
	v_add_nc_u32_e32 v7, v5, v7
	s_waitcnt lgkmcnt(0)
	v_add_nc_u32_e32 v8, v6, v8
	v_cmpx_eq_u32_e64 v0, v70
	s_cbranch_execz .LBB1077_117
; %bb.116:
	v_lshlrev_b32_e32 v11, 3, v68
	v_cndmask_b32_e32 v10, v7, v5, vcc_lo
	v_cndmask_b32_e32 v9, v8, v6, vcc_lo
	ds_write_b64 v11, v[9:10]
.LBB1077_117:
	s_or_b32 exec_lo, exec_lo, s4
	s_mov_b32 s4, exec_lo
	s_waitcnt lgkmcnt(0)
	s_barrier
	buffer_gl0_inv
	v_cmpx_gt_u32_e32 8, v0
	s_cbranch_execz .LBB1077_119
; %bb.118:
	v_lshlrev_b32_e32 v11, 3, v0
	v_and_b32_e32 v26, 7, v67
	ds_read_b64 v[9:10], v11
	v_cmp_eq_u32_e64 s3, 0, v26
	s_waitcnt lgkmcnt(0)
	v_mov_b32_dpp v12, v9 row_shr:1 row_mask:0xf bank_mask:0xf
	v_mov_b32_dpp v25, v10 row_shr:1 row_mask:0xf bank_mask:0xf
	v_add_nc_u32_e32 v12, v12, v9
	v_add_nc_u32_e32 v25, v25, v10
	v_cndmask_b32_e64 v9, v12, v9, s3
	v_cndmask_b32_e64 v10, v25, v10, s3
	v_cmp_lt_u32_e64 s3, 1, v26
	v_mov_b32_dpp v12, v9 row_shr:2 row_mask:0xf bank_mask:0xf
	v_mov_b32_dpp v25, v10 row_shr:2 row_mask:0xf bank_mask:0xf
	v_add_nc_u32_e32 v12, v9, v12
	v_add_nc_u32_e32 v25, v10, v25
	v_cndmask_b32_e64 v9, v9, v12, s3
	v_cndmask_b32_e64 v10, v10, v25, s3
	v_cmp_lt_u32_e64 s3, 3, v26
	v_mov_b32_dpp v12, v9 row_shr:4 row_mask:0xf bank_mask:0xf
	v_mov_b32_dpp v25, v10 row_shr:4 row_mask:0xf bank_mask:0xf
	v_cndmask_b32_e64 v12, 0, v12, s3
	v_cndmask_b32_e64 v25, 0, v25, s3
	v_add_nc_u32_e32 v9, v12, v9
	v_add_nc_u32_e32 v10, v25, v10
	ds_write_b64 v11, v[9:10]
.LBB1077_119:
	s_or_b32 exec_lo, exec_lo, s4
	v_cndmask_b32_e32 v5, v7, v5, vcc_lo
	v_cndmask_b32_e32 v6, v8, v6, vcc_lo
	s_mov_b32 s4, exec_lo
	v_cmp_gt_u32_e32 vcc_lo, 32, v0
	s_waitcnt lgkmcnt(0)
	s_barrier
	buffer_gl0_inv
                                        ; implicit-def: $vgpr25
	v_cmpx_lt_u32_e32 31, v0
	s_cbranch_execz .LBB1077_121
; %bb.120:
	v_lshl_add_u32 v7, v68, 3, -8
	ds_read_b64 v[25:26], v7
	s_waitcnt lgkmcnt(0)
	v_add_nc_u32_e32 v5, v26, v5
	v_add_nc_u32_e32 v6, v25, v6
.LBB1077_121:
	s_or_b32 exec_lo, exec_lo, s4
	v_sub_co_u32 v7, s3, v67, 1
	v_cmp_gt_i32_e64 s4, 0, v7
	v_cndmask_b32_e64 v7, v7, v67, s4
	v_lshlrev_b32_e32 v7, 2, v7
	ds_bpermute_b32 v74, v7, v6
	ds_bpermute_b32 v75, v7, v5
	s_and_saveexec_b32 s4, vcc_lo
	s_cbranch_execz .LBB1077_141
; %bb.122:
	v_mov_b32_e32 v8, 0
	ds_read_b64 v[5:6], v8 offset:56
	s_and_saveexec_b32 s6, s3
	s_cbranch_execz .LBB1077_124
; %bb.123:
	s_add_i32 s8, s27, 32
	s_mov_b32 s9, 0
	v_mov_b32_e32 v7, 1
	s_lshl_b64 s[8:9], s[8:9], 4
	s_add_u32 s8, s36, s8
	s_addc_u32 s9, s37, s9
	v_mov_b32_e32 v10, s9
	v_mov_b32_e32 v9, s8
	s_waitcnt lgkmcnt(0)
	;;#ASMSTART
	global_store_dwordx4 v[9:10], v[5:8] off	
s_waitcnt vmcnt(0)
	;;#ASMEND
.LBB1077_124:
	s_or_b32 exec_lo, exec_lo, s6
	v_xad_u32 v27, v67, -1, s27
	s_mov_b32 s7, 0
	v_add_nc_u32_e32 v7, 32, v27
	v_lshlrev_b64 v[9:10], 4, v[7:8]
	v_add_co_u32 v28, vcc_lo, s36, v9
	v_add_co_ci_u32_e64 v29, null, s37, v10, vcc_lo
	;;#ASMSTART
	global_load_dwordx4 v[9:12], v[28:29] off glc dlc	
s_waitcnt vmcnt(0)
	;;#ASMEND
	v_cmp_eq_u16_sdwa s8, v11, v8 src0_sel:BYTE_0 src1_sel:DWORD
	s_and_saveexec_b32 s6, s8
	s_cbranch_execz .LBB1077_128
; %bb.125:
	v_mov_b32_e32 v7, 0
.LBB1077_126:                           ; =>This Inner Loop Header: Depth=1
	;;#ASMSTART
	global_load_dwordx4 v[9:12], v[28:29] off glc dlc	
s_waitcnt vmcnt(0)
	;;#ASMEND
	v_cmp_ne_u16_sdwa s8, v11, v7 src0_sel:BYTE_0 src1_sel:DWORD
	s_or_b32 s7, s8, s7
	s_andn2_b32 exec_lo, exec_lo, s7
	s_cbranch_execnz .LBB1077_126
; %bb.127:
	s_or_b32 exec_lo, exec_lo, s7
.LBB1077_128:
	s_or_b32 exec_lo, exec_lo, s6
	v_cmp_ne_u32_e32 vcc_lo, 31, v67
	v_mov_b32_e32 v77, 2
	v_lshlrev_b32_e64 v78, v67, -1
	v_add_nc_u32_e32 v80, 2, v67
	v_add_nc_u32_e32 v82, 4, v67
	v_add_co_ci_u32_e64 v7, null, 0, v67, vcc_lo
	v_cmp_eq_u16_sdwa s6, v11, v77 src0_sel:BYTE_0 src1_sel:DWORD
	v_cmp_gt_u32_e32 vcc_lo, 30, v67
	v_add_nc_u32_e32 v84, 8, v67
	v_lshlrev_b32_e32 v76, 2, v7
	v_lshl_or_b32 v85, v67, 2, 64
	v_and_b32_e32 v12, s6, v78
	v_cndmask_b32_e64 v28, 0, 2, vcc_lo
	v_add_nc_u32_e32 v86, 16, v67
	ds_bpermute_b32 v7, v76, v10
	ds_bpermute_b32 v8, v76, v9
	v_or_b32_e32 v12, 0x80000000, v12
	v_add_lshl_u32 v79, v28, v67, 2
	v_ffbl_b32_e32 v12, v12
	v_cmp_lt_u32_e32 vcc_lo, v67, v12
	s_waitcnt lgkmcnt(1)
	v_add_nc_u32_e32 v7, v7, v10
	s_waitcnt lgkmcnt(0)
	v_add_nc_u32_e32 v8, v8, v9
	v_cndmask_b32_e32 v7, v10, v7, vcc_lo
	v_cndmask_b32_e32 v8, v9, v8, vcc_lo
	v_cmp_gt_u32_e32 vcc_lo, 28, v67
	ds_bpermute_b32 v9, v79, v7
	ds_bpermute_b32 v10, v79, v8
	v_cndmask_b32_e64 v28, 0, 4, vcc_lo
	v_cmp_gt_u32_e32 vcc_lo, v80, v12
	v_add_lshl_u32 v81, v28, v67, 2
	s_waitcnt lgkmcnt(1)
	v_add_nc_u32_e32 v9, v7, v9
	s_waitcnt lgkmcnt(0)
	v_add_nc_u32_e32 v10, v8, v10
	v_cndmask_b32_e32 v7, v9, v7, vcc_lo
	v_cndmask_b32_e32 v8, v10, v8, vcc_lo
	v_cmp_gt_u32_e32 vcc_lo, 24, v67
	ds_bpermute_b32 v9, v81, v7
	ds_bpermute_b32 v10, v81, v8
	v_cndmask_b32_e64 v28, 0, 8, vcc_lo
	v_cmp_gt_u32_e32 vcc_lo, v82, v12
	v_add_lshl_u32 v83, v28, v67, 2
	v_mov_b32_e32 v28, 0
	s_waitcnt lgkmcnt(1)
	v_add_nc_u32_e32 v9, v7, v9
	s_waitcnt lgkmcnt(0)
	v_add_nc_u32_e32 v10, v8, v10
	v_cndmask_b32_e32 v7, v9, v7, vcc_lo
	v_cndmask_b32_e32 v8, v10, v8, vcc_lo
	v_cmp_gt_u32_e32 vcc_lo, v84, v12
	ds_bpermute_b32 v9, v83, v7
	ds_bpermute_b32 v10, v83, v8
	s_waitcnt lgkmcnt(1)
	v_add_nc_u32_e32 v9, v7, v9
	s_waitcnt lgkmcnt(0)
	v_add_nc_u32_e32 v10, v8, v10
	v_cndmask_b32_e32 v7, v9, v7, vcc_lo
	v_cndmask_b32_e32 v8, v10, v8, vcc_lo
	v_cmp_le_u32_e32 vcc_lo, v86, v12
	ds_bpermute_b32 v10, v85, v7
	ds_bpermute_b32 v9, v85, v8
	s_waitcnt lgkmcnt(1)
	v_cndmask_b32_e32 v10, 0, v10, vcc_lo
	s_waitcnt lgkmcnt(0)
	v_cndmask_b32_e32 v9, 0, v9, vcc_lo
	v_add_nc_u32_e32 v10, v10, v7
	v_add_nc_u32_e32 v9, v9, v8
	s_branch .LBB1077_132
.LBB1077_129:                           ;   in Loop: Header=BB1077_132 Depth=1
	s_or_b32 exec_lo, exec_lo, s7
.LBB1077_130:                           ;   in Loop: Header=BB1077_132 Depth=1
	s_or_b32 exec_lo, exec_lo, s6
	ds_bpermute_b32 v12, v76, v9
	ds_bpermute_b32 v29, v76, v10
	v_cmp_eq_u16_sdwa s6, v11, v77 src0_sel:BYTE_0 src1_sel:DWORD
	v_subrev_nc_u32_e32 v27, 32, v27
	v_and_or_b32 v30, s6, v78, 0x80000000
	s_mov_b32 s6, 0
	v_ffbl_b32_e32 v30, v30
	v_cmp_lt_u32_e32 vcc_lo, v67, v30
	s_waitcnt lgkmcnt(1)
	v_add_nc_u32_e32 v12, v12, v9
	s_waitcnt lgkmcnt(0)
	v_add_nc_u32_e32 v29, v29, v10
	v_cndmask_b32_e32 v9, v9, v12, vcc_lo
	v_cndmask_b32_e32 v10, v10, v29, vcc_lo
	v_cmp_gt_u32_e32 vcc_lo, v80, v30
	ds_bpermute_b32 v12, v79, v9
	ds_bpermute_b32 v29, v79, v10
	s_waitcnt lgkmcnt(1)
	v_add_nc_u32_e32 v12, v9, v12
	s_waitcnt lgkmcnt(0)
	v_add_nc_u32_e32 v29, v10, v29
	v_cndmask_b32_e32 v9, v12, v9, vcc_lo
	v_cndmask_b32_e32 v10, v29, v10, vcc_lo
	v_cmp_gt_u32_e32 vcc_lo, v82, v30
	ds_bpermute_b32 v12, v81, v9
	ds_bpermute_b32 v29, v81, v10
	;; [unrolled: 9-line block ×3, first 2 shown]
	s_waitcnt lgkmcnt(1)
	v_add_nc_u32_e32 v12, v9, v12
	s_waitcnt lgkmcnt(0)
	v_add_nc_u32_e32 v29, v10, v29
	v_cndmask_b32_e32 v9, v12, v9, vcc_lo
	v_cndmask_b32_e32 v10, v29, v10, vcc_lo
	v_cmp_le_u32_e32 vcc_lo, v86, v30
	ds_bpermute_b32 v12, v85, v9
	ds_bpermute_b32 v29, v85, v10
	s_waitcnt lgkmcnt(1)
	v_cndmask_b32_e32 v12, 0, v12, vcc_lo
	s_waitcnt lgkmcnt(0)
	v_cndmask_b32_e32 v29, 0, v29, vcc_lo
	v_add3_u32 v9, v9, v7, v12
	v_add3_u32 v10, v10, v8, v29
.LBB1077_131:                           ;   in Loop: Header=BB1077_132 Depth=1
	s_and_b32 vcc_lo, exec_lo, s6
	s_cbranch_vccnz .LBB1077_137
.LBB1077_132:                           ; =>This Loop Header: Depth=1
                                        ;     Child Loop BB1077_135 Depth 2
	v_cmp_ne_u16_sdwa s6, v11, v77 src0_sel:BYTE_0 src1_sel:DWORD
	v_mov_b32_e32 v7, v9
	v_mov_b32_e32 v8, v10
                                        ; implicit-def: $vgpr11
                                        ; implicit-def: $vgpr9_vgpr10
	s_cmp_lg_u32 s6, exec_lo
	s_mov_b32 s6, -1
	s_cbranch_scc1 .LBB1077_131
; %bb.133:                              ;   in Loop: Header=BB1077_132 Depth=1
	v_lshlrev_b64 v[9:10], 4, v[27:28]
	v_add_co_u32 v29, vcc_lo, s36, v9
	v_add_co_ci_u32_e64 v30, null, s37, v10, vcc_lo
	;;#ASMSTART
	global_load_dwordx4 v[9:12], v[29:30] off glc dlc	
s_waitcnt vmcnt(0)
	;;#ASMEND
	v_cmp_eq_u16_sdwa s7, v11, v28 src0_sel:BYTE_0 src1_sel:DWORD
	s_and_saveexec_b32 s6, s7
	s_cbranch_execz .LBB1077_130
; %bb.134:                              ;   in Loop: Header=BB1077_132 Depth=1
	s_mov_b32 s7, 0
.LBB1077_135:                           ;   Parent Loop BB1077_132 Depth=1
                                        ; =>  This Inner Loop Header: Depth=2
	;;#ASMSTART
	global_load_dwordx4 v[9:12], v[29:30] off glc dlc	
s_waitcnt vmcnt(0)
	;;#ASMEND
	v_cmp_ne_u16_sdwa s8, v11, v28 src0_sel:BYTE_0 src1_sel:DWORD
	s_or_b32 s7, s8, s7
	s_andn2_b32 exec_lo, exec_lo, s7
	s_cbranch_execnz .LBB1077_135
	s_branch .LBB1077_129
.LBB1077_136:
                                        ; implicit-def: $vgpr25
                                        ; implicit-def: $vgpr7
                                        ; implicit-def: $vgpr26
	s_and_b32 vcc_lo, exec_lo, s4
	s_cbranch_vccnz .LBB1077_142
	s_branch .LBB1077_151
.LBB1077_137:
	s_and_saveexec_b32 s6, s3
	s_cbranch_execnz .LBB1077_379
; %bb.138:
	s_or_b32 exec_lo, exec_lo, s6
	s_and_saveexec_b32 s6, s3
	s_cbranch_execnz .LBB1077_380
.LBB1077_139:
	s_or_b32 exec_lo, exec_lo, s6
	s_and_b32 exec_lo, exec_lo, s0
.LBB1077_140:
	v_mov_b32_e32 v5, 0
	ds_write_b64 v5, v[7:8] offset:56
.LBB1077_141:
	s_or_b32 exec_lo, exec_lo, s4
	v_mov_b32_e32 v5, 0
	s_waitcnt lgkmcnt(0)
	s_barrier
	buffer_gl0_inv
	v_cndmask_b32_e64 v11, v75, v26, s3
	ds_read_b64 v[9:10], v5 offset:56
	s_waitcnt lgkmcnt(0)
	s_barrier
	buffer_gl0_inv
	ds_read_b128 v[5:8], v5 offset:13312
	v_cndmask_b32_e64 v12, v74, v25, s3
	v_add_nc_u32_e32 v11, v10, v11
	v_add_nc_u32_e32 v12, v9, v12
	v_cndmask_b32_e64 v25, v11, v10, s0
	v_cndmask_b32_e64 v26, v12, v9, s0
	s_branch .LBB1077_151
.LBB1077_142:
	s_waitcnt lgkmcnt(0)
	v_mov_b32_dpp v5, v72 row_shr:1 row_mask:0xf bank_mask:0xf
	v_mov_b32_dpp v6, v73 row_shr:1 row_mask:0xf bank_mask:0xf
	v_cmp_lt_u32_e32 vcc_lo, 3, v69
	v_add_nc_u32_e32 v5, v5, v72
	v_add_nc_u32_e32 v6, v6, v73
	v_cndmask_b32_e64 v5, v5, v72, s2
	v_cndmask_b32_e64 v6, v6, v73, s2
	s_mov_b32 s2, exec_lo
	v_mov_b32_dpp v7, v5 row_shr:2 row_mask:0xf bank_mask:0xf
	v_mov_b32_dpp v8, v6 row_shr:2 row_mask:0xf bank_mask:0xf
	v_add_nc_u32_e32 v7, v5, v7
	v_add_nc_u32_e32 v8, v6, v8
	v_cndmask_b32_e64 v5, v5, v7, s1
	v_cndmask_b32_e64 v6, v6, v8, s1
	v_mov_b32_dpp v7, v5 row_shr:4 row_mask:0xf bank_mask:0xf
	v_mov_b32_dpp v8, v6 row_shr:4 row_mask:0xf bank_mask:0xf
	v_add_nc_u32_e32 v7, v5, v7
	v_add_nc_u32_e32 v8, v6, v8
	v_cndmask_b32_e32 v7, v5, v7, vcc_lo
	v_cndmask_b32_e32 v6, v6, v8, vcc_lo
	v_cmp_lt_u32_e32 vcc_lo, 7, v69
	v_mov_b32_dpp v5, v7 row_shr:8 row_mask:0xf bank_mask:0xf
	v_mov_b32_dpp v8, v6 row_shr:8 row_mask:0xf bank_mask:0xf
	v_add_nc_u32_e32 v9, v7, v5
	v_add_nc_u32_e32 v5, v6, v8
	v_cndmask_b32_e32 v5, v6, v5, vcc_lo
	v_cndmask_b32_e32 v6, v7, v9, vcc_lo
	v_cmp_eq_u32_e32 vcc_lo, 0, v71
	ds_swizzle_b32 v7, v5 offset:swizzle(BROADCAST,32,15)
	ds_swizzle_b32 v8, v6 offset:swizzle(BROADCAST,32,15)
	s_waitcnt lgkmcnt(1)
	v_add_nc_u32_e32 v7, v5, v7
	s_waitcnt lgkmcnt(0)
	v_add_nc_u32_e32 v8, v6, v8
	v_cmpx_eq_u32_e64 v0, v70
	s_cbranch_execz .LBB1077_144
; %bb.143:
	v_cndmask_b32_e32 v9, v8, v6, vcc_lo
	v_cndmask_b32_e32 v10, v7, v5, vcc_lo
	v_lshlrev_b32_e32 v11, 3, v68
	ds_write_b64 v11, v[9:10]
.LBB1077_144:
	s_or_b32 exec_lo, exec_lo, s2
	s_mov_b32 s2, exec_lo
	s_waitcnt lgkmcnt(0)
	s_barrier
	buffer_gl0_inv
	v_cmpx_gt_u32_e32 8, v0
	s_cbranch_execz .LBB1077_146
; %bb.145:
	v_lshlrev_b32_e32 v11, 3, v0
	v_and_b32_e32 v26, 7, v67
	ds_read_b64 v[9:10], v11
	v_cmp_eq_u32_e64 s1, 0, v26
	s_waitcnt lgkmcnt(0)
	v_mov_b32_dpp v12, v9 row_shr:1 row_mask:0xf bank_mask:0xf
	v_mov_b32_dpp v25, v10 row_shr:1 row_mask:0xf bank_mask:0xf
	v_add_nc_u32_e32 v12, v12, v9
	v_add_nc_u32_e32 v25, v25, v10
	v_cndmask_b32_e64 v9, v12, v9, s1
	v_cndmask_b32_e64 v10, v25, v10, s1
	v_cmp_lt_u32_e64 s1, 1, v26
	v_mov_b32_dpp v12, v9 row_shr:2 row_mask:0xf bank_mask:0xf
	v_mov_b32_dpp v25, v10 row_shr:2 row_mask:0xf bank_mask:0xf
	v_add_nc_u32_e32 v12, v9, v12
	v_add_nc_u32_e32 v25, v10, v25
	v_cndmask_b32_e64 v9, v9, v12, s1
	v_cndmask_b32_e64 v10, v10, v25, s1
	v_cmp_lt_u32_e64 s1, 3, v26
	v_mov_b32_dpp v12, v9 row_shr:4 row_mask:0xf bank_mask:0xf
	v_mov_b32_dpp v25, v10 row_shr:4 row_mask:0xf bank_mask:0xf
	v_cndmask_b32_e64 v12, 0, v12, s1
	v_cndmask_b32_e64 v25, 0, v25, s1
	v_add_nc_u32_e32 v9, v12, v9
	v_add_nc_u32_e32 v10, v25, v10
	ds_write_b64 v11, v[9:10]
.LBB1077_146:
	s_or_b32 exec_lo, exec_lo, s2
	v_mov_b32_e32 v11, 0
	v_mov_b32_e32 v9, 0
	;; [unrolled: 1-line block ×3, first 2 shown]
	s_mov_b32 s2, exec_lo
	s_waitcnt lgkmcnt(0)
	s_barrier
	buffer_gl0_inv
	v_cmpx_lt_u32_e32 31, v0
; %bb.147:
	v_lshl_add_u32 v9, v68, 3, -8
	ds_read_b64 v[9:10], v9
; %bb.148:
	s_or_b32 exec_lo, exec_lo, s2
	v_sub_co_u32 v12, s1, v67, 1
	v_cndmask_b32_e32 v6, v8, v6, vcc_lo
	v_cndmask_b32_e32 v5, v7, v5, vcc_lo
	v_cmp_gt_i32_e64 s2, 0, v12
	s_waitcnt lgkmcnt(0)
	v_add_nc_u32_e32 v6, v9, v6
	v_add_nc_u32_e32 v5, v10, v5
	v_cndmask_b32_e64 v8, v12, v67, s2
	v_lshlrev_b32_e32 v7, 2, v8
	ds_bpermute_b32 v12, v7, v6
	ds_bpermute_b32 v25, v7, v5
	ds_read_b64 v[5:6], v11 offset:56
	s_and_saveexec_b32 s2, s0
	s_cbranch_execz .LBB1077_150
; %bb.149:
	s_add_u32 s6, s36, 0x200
	s_addc_u32 s7, s37, 0
	v_mov_b32_e32 v7, 2
	v_mov_b32_e32 v27, s7
	;; [unrolled: 1-line block ×4, first 2 shown]
	s_waitcnt lgkmcnt(0)
	;;#ASMSTART
	global_store_dwordx4 v[26:27], v[5:8] off	
s_waitcnt vmcnt(0)
	;;#ASMEND
.LBB1077_150:
	s_or_b32 exec_lo, exec_lo, s2
	s_waitcnt lgkmcnt(1)
	v_cndmask_b32_e64 v7, v25, v10, s1
	v_cndmask_b32_e64 v9, v12, v9, s1
	v_mov_b32_e32 v8, 0
	s_waitcnt lgkmcnt(0)
	s_barrier
	v_cndmask_b32_e64 v25, v7, 0, s0
	v_cndmask_b32_e64 v26, v9, 0, s0
	v_mov_b32_e32 v7, 0
	buffer_gl0_inv
.LBB1077_151:
	v_add_nc_u32_e32 v30, v25, v66
	v_add_nc_u32_e32 v29, v26, v65
	s_waitcnt lgkmcnt(0)
	v_sub_nc_u32_e32 v25, v25, v8
	v_lshrrev_b32_e32 v28, 8, v41
	v_lshlrev_b32_e32 v69, 1, v5
	v_add_nc_u32_e32 v63, v30, v63
	v_sub_nc_u32_e32 v30, v30, v8
	v_add_nc_u32_e32 v62, v29, v62
	v_sub_nc_u32_e32 v26, v26, v7
	;; [unrolled: 2-line block ×3, first 2 shown]
	v_add_nc_u32_e32 v30, v30, v5
	v_and_b32_e32 v28, 1, v28
	v_mov_b32_e32 v71, 1
	v_add3_u32 v34, v69, v6, v34
	v_add_nc_u32_e32 v75, v26, v25
	v_add_nc_u32_e32 v76, v30, v29
	v_add_co_u32 v1, vcc_lo, v1, v7
	v_add_co_ci_u32_e64 v2, null, 0, v2, vcc_lo
	v_sub_co_u32 v67, vcc_lo, v3, v5
	v_subrev_co_ci_u32_e64 v68, null, 0, v4, vcc_lo
	v_and_b32_sdwa v74, v71, v41 dst_sel:DWORD dst_unused:UNUSED_PAD src0_sel:DWORD src1_sel:WORD_1
	v_sub_nc_u32_e32 v76, v34, v76
	v_sub_nc_u32_e32 v75, v34, v75
	v_cmp_eq_u32_e32 vcc_lo, 1, v28
	v_lshrrev_b32_e32 v27, 8, v35
	v_add_nc_u32_e32 v65, v63, v48
	v_and_b32_e32 v70, 1, v35
	v_sub_nc_u32_e32 v63, v63, v8
	v_add_nc_u32_e32 v76, 1, v76
	v_cndmask_b32_e32 v25, v75, v25, vcc_lo
	v_cmp_eq_u32_e32 vcc_lo, 1, v74
	v_add_nc_u32_e32 v64, v62, v64
	v_and_b32_e32 v27, 1, v27
	v_sub_nc_u32_e32 v62, v62, v7
	v_add_nc_u32_e32 v63, v63, v5
	v_cndmask_b32_e32 v30, v76, v30, vcc_lo
	v_cmp_eq_u32_e32 vcc_lo, 1, v70
	v_and_b32_e32 v48, 1, v48
	v_add_nc_u32_e32 v61, v65, v61
	v_add_nc_u32_e32 v74, v63, v62
	v_and_b32_sdwa v35, v71, v35 dst_sel:DWORD dst_unused:UNUSED_PAD src0_sel:DWORD src1_sel:WORD_1
	v_cndmask_b32_e32 v70, v25, v26, vcc_lo
	v_cmp_eq_u32_e32 vcc_lo, 1, v27
	v_sub_nc_u32_e32 v65, v65, v8
	v_add_nc_u32_e32 v66, v64, v47
	v_add_nc_u32_e32 v60, v61, v60
	v_sub_nc_u32_e32 v61, v61, v8
	v_cndmask_b32_e32 v27, v30, v29, vcc_lo
	v_sub_nc_u32_e32 v29, v34, v74
	v_add_co_u32 v25, vcc_lo, v67, v8
	v_add_co_ci_u32_e64 v26, null, 0, v68, vcc_lo
	v_add_nc_u32_e32 v29, 2, v29
	v_cmp_eq_u32_e32 vcc_lo, 1, v48
	v_sub_nc_u32_e32 v48, v64, v7
	v_lshlrev_b32_e32 v30, 2, v70
	v_add_nc_u32_e32 v61, v61, v5
	v_lshlrev_b32_e32 v27, 2, v27
	v_cndmask_b32_e32 v29, v29, v63, vcc_lo
	v_add_nc_u32_e32 v63, v65, v5
	v_cmp_eq_u32_e32 vcc_lo, 1, v35
	v_sub_nc_u32_e32 v35, v66, v7
	v_lshrrev_b32_e32 v12, 8, v36
	ds_write_b32 v30, v23
	ds_write_b32 v27, v24
	v_and_b32_e32 v30, 1, v36
	v_cndmask_b32_e32 v29, v29, v62, vcc_lo
	v_add_nc_u32_e32 v62, v48, v63
	v_add_nc_u32_e32 v24, v35, v61
	;; [unrolled: 1-line block ×3, first 2 shown]
	v_and_b32_e32 v12, 1, v12
	v_lshlrev_b32_e32 v23, 2, v29
	v_sub_nc_u32_e32 v27, v34, v62
	v_and_b32_e32 v29, 1, v47
	v_sub_nc_u32_e32 v47, v60, v8
	v_sub_nc_u32_e32 v24, v34, v24
	v_cmp_eq_u32_e32 vcc_lo, 1, v30
	v_add_nc_u32_e32 v27, 3, v27
	v_add_nc_u32_e32 v57, v59, v57
	v_sub_nc_u32_e32 v59, v59, v7
	v_add_nc_u32_e32 v47, v47, v5
	v_add_nc_u32_e32 v24, 4, v24
	v_cndmask_b32_e32 v27, v27, v63, vcc_lo
	v_cmp_eq_u32_e32 vcc_lo, 1, v12
	v_add_nc_u32_e32 v58, v60, v58
	v_and_b32_e32 v30, 1, v37
	v_add_nc_u32_e32 v60, v59, v47
	v_lshrrev_b32_e32 v11, 8, v37
	v_cndmask_b32_e32 v12, v24, v61, vcc_lo
	v_cmp_eq_u32_e32 vcc_lo, 1, v29
	ds_write_b32 v23, v21
	v_and_b32_sdwa v23, v71, v36 dst_sel:DWORD dst_unused:UNUSED_PAD src0_sel:DWORD src1_sel:WORD_1
	v_add_nc_u32_e32 v72, v58, v46
	v_and_b32_e32 v11, 1, v11
	v_cndmask_b32_e32 v24, v27, v48, vcc_lo
	v_sub_nc_u32_e32 v27, v34, v60
	v_cmp_eq_u32_e32 vcc_lo, 1, v30
	v_add_nc_u32_e32 v52, v57, v52
	v_sub_nc_u32_e32 v29, v72, v8
	v_lshlrev_b32_e32 v21, 2, v24
	v_add_nc_u32_e32 v24, 5, v27
	v_cndmask_b32_e32 v12, v12, v35, vcc_lo
	v_sub_nc_u32_e32 v27, v58, v8
	v_cmp_eq_u32_e32 vcc_lo, 1, v23
	v_add_nc_u32_e32 v29, v29, v5
	v_add_nc_u32_e32 v56, v72, v56
	v_lshlrev_b32_e32 v12, 2, v12
	v_add_nc_u32_e32 v27, v27, v5
	v_cndmask_b32_e32 v23, v24, v47, vcc_lo
	v_sub_nc_u32_e32 v24, v57, v7
	v_cmp_eq_u32_e32 vcc_lo, 1, v11
	ds_write_b32 v21, v22
	ds_write_b32 v12, v19
	v_and_b32_e32 v22, 1, v46
	v_and_b32_e32 v35, 1, v38
	v_add_nc_u32_e32 v30, v24, v27
	v_cndmask_b32_e32 v11, v23, v59, vcc_lo
	v_sub_nc_u32_e32 v23, v52, v7
	v_cmp_eq_u32_e32 vcc_lo, 1, v22
	v_add_nc_u32_e32 v73, v52, v45
	v_sub_nc_u32_e32 v19, v34, v30
	v_sub_nc_u32_e32 v30, v56, v8
	v_add_nc_u32_e32 v12, v23, v29
	v_and_b32_sdwa v21, v71, v37 dst_sel:DWORD dst_unused:UNUSED_PAD src0_sel:DWORD src1_sel:WORD_1
	v_sub_nc_u32_e32 v36, v73, v7
	v_add_nc_u32_e32 v19, 6, v19
	v_add_nc_u32_e32 v30, v30, v5
	v_sub_nc_u32_e32 v12, v34, v12
	v_and_b32_e32 v22, 1, v45
	v_lshrrev_b32_e32 v10, 8, v38
	v_cndmask_b32_e32 v19, v19, v27, vcc_lo
	v_cmp_eq_u32_e32 vcc_lo, 1, v35
	v_add_nc_u32_e32 v12, 7, v12
	v_add_nc_u32_e32 v55, v56, v55
	;; [unrolled: 1-line block ×4, first 2 shown]
	v_and_b32_e32 v10, 1, v10
	v_cndmask_b32_e32 v12, v12, v29, vcc_lo
	v_cmp_eq_u32_e32 vcc_lo, 1, v21
	v_sub_nc_u32_e32 v21, v34, v27
	v_add_nc_u32_e32 v53, v55, v53
	v_lshlrev_b32_e32 v11, 2, v11
	v_add_nc_u32_e32 v51, v54, v51
	v_cndmask_b32_e32 v19, v19, v24, vcc_lo
	v_cmp_eq_u32_e32 vcc_lo, 1, v22
	v_sub_nc_u32_e32 v22, v55, v8
	v_add_nc_u32_e32 v21, 8, v21
	v_sub_nc_u32_e32 v24, v54, v7
	v_lshlrev_b32_e32 v19, 2, v19
	v_cndmask_b32_e32 v12, v12, v23, vcc_lo
	v_add_nc_u32_e32 v22, v22, v5
	v_cmp_eq_u32_e32 vcc_lo, 1, v10
	v_add_nc_u32_e32 v77, v53, v44
	v_and_b32_e32 v23, 1, v40
	v_lshlrev_b32_e32 v12, 2, v12
	ds_write_b32 v11, v20
	ds_write_b32 v19, v17
	;; [unrolled: 1-line block ×3, first 2 shown]
	v_cndmask_b32_e32 v10, v21, v30, vcc_lo
	v_add_nc_u32_e32 v21, v24, v22
	v_sub_nc_u32_e32 v12, v53, v8
	v_lshrrev_b32_e32 v9, 8, v40
	v_add_nc_u32_e32 v49, v51, v49
	v_cmp_eq_u32_e32 vcc_lo, 1, v23
	v_sub_nc_u32_e32 v11, v34, v21
	v_and_b32_sdwa v17, v71, v38 dst_sel:DWORD dst_unused:UNUSED_PAD src0_sel:DWORD src1_sel:WORD_1
	v_sub_nc_u32_e32 v18, v51, v7
	v_sub_nc_u32_e32 v19, v77, v8
	v_add_nc_u32_e32 v12, v12, v5
	v_cndmask_b32_e32 v10, v10, v36, vcc_lo
	v_and_b32_e32 v9, 1, v9
	v_add_nc_u32_e32 v11, 9, v11
	v_cmp_eq_u32_e32 vcc_lo, 1, v17
	v_sub_nc_u32_e32 v17, v49, v7
	v_add_nc_u32_e32 v19, v19, v5
	v_add_nc_u32_e32 v20, v18, v12
	;; [unrolled: 1-line block ×3, first 2 shown]
	v_cndmask_b32_e32 v11, v11, v22, vcc_lo
	v_cmp_eq_u32_e32 vcc_lo, 1, v9
	v_add_nc_u32_e32 v21, v17, v19
	v_sub_nc_u32_e32 v20, v34, v20
	v_and_b32_e32 v23, 1, v44
	v_add_nc_u32_e32 v50, v49, v43
	v_cndmask_b32_e32 v9, v11, v24, vcc_lo
	v_sub_nc_u32_e32 v11, v28, v8
	v_sub_nc_u32_e32 v21, v34, v21
	v_add_nc_u32_e32 v20, 10, v20
	v_and_b32_e32 v24, 1, v39
	v_cmp_eq_u32_e32 vcc_lo, 1, v23
	v_and_b32_sdwa v22, v71, v40 dst_sel:DWORD dst_unused:UNUSED_PAD src0_sel:DWORD src1_sel:WORD_1
	v_sub_nc_u32_e32 v7, v50, v7
	v_add_nc_u32_e32 v11, v11, v5
	v_add_nc_u32_e32 v21, 11, v21
	v_cndmask_b32_e32 v12, v20, v12, vcc_lo
	v_cmp_eq_u32_e32 vcc_lo, 1, v24
	v_and_b32_e32 v20, 1, v43
	v_add_nc_u32_e32 v27, v7, v11
	v_lshlrev_b32_e32 v10, 2, v10
	v_lshlrev_b32_e32 v9, 2, v9
	v_cndmask_b32_e32 v19, v21, v19, vcc_lo
	v_cmp_eq_u32_e32 vcc_lo, 1, v22
	v_sub_nc_u32_e32 v23, v34, v27
	v_cndmask_b32_e32 v12, v12, v18, vcc_lo
	v_and_b32_e32 v18, 1, v42
	v_cmp_eq_u32_e32 vcc_lo, 1, v20
	v_add_nc_u32_e32 v21, 12, v23
	v_lshlrev_b32_e32 v12, 2, v12
	v_cndmask_b32_e32 v17, v19, v17, vcc_lo
	v_and_b32_e32 v19, 1, v41
	v_cmp_eq_u32_e32 vcc_lo, 1, v18
	v_lshlrev_b32_e32 v17, 2, v17
	ds_write_b32 v10, v15
	ds_write_b32 v9, v16
	;; [unrolled: 1-line block ×4, first 2 shown]
	v_cndmask_b32_e32 v11, v21, v11, vcc_lo
	v_cmp_eq_u32_e32 vcc_lo, 1, v19
	v_add_co_u32 v9, s1, v6, v69
	v_add_co_ci_u32_e64 v10, null, 0, 0, s1
	v_cndmask_b32_e32 v7, v11, v7, vcc_lo
	v_add_co_u32 v11, s1, s34, v31
	v_add_co_ci_u32_e64 v12, null, s35, 0, s1
	v_lshlrev_b32_e32 v7, 2, v7
	v_add_nc_u32_e32 v14, v5, v6
	ds_write_b32 v7, v33
	v_add_co_u32 v7, vcc_lo, v9, v25
	v_add_co_ci_u32_e64 v9, null, v10, v26, vcc_lo
	s_waitcnt lgkmcnt(0)
	v_add_co_u32 v7, vcc_lo, v7, v1
	v_add_co_ci_u32_e64 v13, null, v9, v2, vcc_lo
	v_lshlrev_b64 v[9:10], 2, v[25:26]
	v_sub_co_u32 v7, vcc_lo, v11, v7
	v_sub_co_ci_u32_e64 v13, null, v12, v13, vcc_lo
	v_lshlrev_b64 v[11:12], 2, v[1:2]
	v_add_co_u32 v9, vcc_lo, s30, v9
	v_add_co_ci_u32_e64 v10, null, s31, v10, vcc_lo
	v_cmp_ne_u32_e32 vcc_lo, 1, v32
	v_add_co_u32 v11, s1, s28, v11
	v_add_co_ci_u32_e64 v12, null, s29, v12, s1
	s_mov_b32 s1, -1
	s_barrier
	buffer_gl0_inv
	s_cbranch_vccz .LBB1077_155
; %bb.152:
	s_and_b32 vcc_lo, exec_lo, s1
	s_cbranch_vccnz .LBB1077_260
.LBB1077_153:
	s_and_b32 s0, s0, s26
	s_and_saveexec_b32 s1, s0
	s_cbranch_execnz .LBB1077_378
.LBB1077_154:
	s_endpgm
.LBB1077_155:
	s_mov_b32 s1, exec_lo
	v_cmpx_ge_u32_e64 v0, v5
	s_xor_b32 s1, exec_lo, s1
	s_cbranch_execz .LBB1077_161
; %bb.156:
	s_mov_b32 s2, exec_lo
	v_cmpx_ge_u32_e64 v0, v14
	s_xor_b32 s2, exec_lo, s2
	s_cbranch_execz .LBB1077_158
; %bb.157:
	v_lshlrev_b32_e32 v15, 2, v0
	ds_read_b32 v17, v15
	v_add_co_u32 v15, vcc_lo, v7, v0
	v_add_co_ci_u32_e64 v16, null, 0, v13, vcc_lo
	v_lshlrev_b64 v[15:16], 2, v[15:16]
	v_sub_co_u32 v15, vcc_lo, s14, v15
	v_sub_co_ci_u32_e64 v16, null, s15, v16, vcc_lo
	s_waitcnt lgkmcnt(0)
	global_store_dword v[15:16], v17, off offset:-4
.LBB1077_158:
	s_andn2_saveexec_b32 s2, s2
	s_cbranch_execz .LBB1077_160
; %bb.159:
	v_lshlrev_b32_e32 v15, 2, v0
	v_readfirstlane_b32 s6, v9
	v_readfirstlane_b32 s7, v10
	ds_read_b32 v16, v15
	s_waitcnt lgkmcnt(0)
	global_store_dword v15, v16, s[6:7]
.LBB1077_160:
	s_or_b32 exec_lo, exec_lo, s2
.LBB1077_161:
	s_andn2_saveexec_b32 s1, s1
	s_cbranch_execz .LBB1077_163
; %bb.162:
	v_lshlrev_b32_e32 v15, 2, v0
	v_readfirstlane_b32 s2, v11
	v_readfirstlane_b32 s3, v12
	ds_read_b32 v16, v15
	s_waitcnt lgkmcnt(0)
	global_store_dword v15, v16, s[2:3]
.LBB1077_163:
	s_or_b32 exec_lo, exec_lo, s1
	v_or_b32_e32 v15, 0x100, v0
	s_mov_b32 s1, exec_lo
	v_cmpx_ge_u32_e64 v15, v5
	s_xor_b32 s1, exec_lo, s1
	s_cbranch_execz .LBB1077_169
; %bb.164:
	s_mov_b32 s2, exec_lo
	v_cmpx_ge_u32_e64 v15, v14
	s_xor_b32 s2, exec_lo, s2
	s_cbranch_execz .LBB1077_166
; %bb.165:
	v_lshlrev_b32_e32 v15, 2, v0
	ds_read_b32 v17, v15 offset:1024
	v_add_co_u32 v15, vcc_lo, v7, v0
	v_add_co_ci_u32_e64 v16, null, 0, v13, vcc_lo
	v_lshlrev_b64 v[15:16], 2, v[15:16]
	v_sub_co_u32 v15, vcc_lo, s14, v15
	v_sub_co_ci_u32_e64 v16, null, s15, v16, vcc_lo
	s_waitcnt lgkmcnt(0)
	global_store_dword v[15:16], v17, off offset:-1028
.LBB1077_166:
	s_andn2_saveexec_b32 s2, s2
	s_cbranch_execz .LBB1077_168
; %bb.167:
	v_lshlrev_b32_e32 v15, 2, v0
	v_readfirstlane_b32 s6, v9
	v_readfirstlane_b32 s7, v10
	ds_read_b32 v16, v15 offset:1024
	s_waitcnt lgkmcnt(0)
	global_store_dword v15, v16, s[6:7] offset:1024
.LBB1077_168:
	s_or_b32 exec_lo, exec_lo, s2
.LBB1077_169:
	s_andn2_saveexec_b32 s1, s1
	s_cbranch_execz .LBB1077_171
; %bb.170:
	v_lshlrev_b32_e32 v15, 2, v0
	v_readfirstlane_b32 s2, v11
	v_readfirstlane_b32 s3, v12
	ds_read_b32 v16, v15 offset:1024
	s_waitcnt lgkmcnt(0)
	global_store_dword v15, v16, s[2:3] offset:1024
.LBB1077_171:
	s_or_b32 exec_lo, exec_lo, s1
	v_or_b32_e32 v15, 0x200, v0
	s_mov_b32 s1, exec_lo
	v_cmpx_ge_u32_e64 v15, v5
	s_xor_b32 s1, exec_lo, s1
	s_cbranch_execz .LBB1077_177
; %bb.172:
	s_mov_b32 s2, exec_lo
	v_cmpx_ge_u32_e64 v15, v14
	s_xor_b32 s2, exec_lo, s2
	s_cbranch_execz .LBB1077_174
; %bb.173:
	v_lshlrev_b32_e32 v17, 2, v0
	v_add_co_u32 v15, vcc_lo, v7, v0
	v_add_co_ci_u32_e64 v16, null, 0, v13, vcc_lo
	ds_read_b32 v17, v17 offset:2048
	v_lshlrev_b64 v[15:16], 2, v[15:16]
	v_sub_co_u32 v15, vcc_lo, s14, v15
	v_sub_co_ci_u32_e64 v16, null, s15, v16, vcc_lo
	v_add_co_u32 v15, vcc_lo, 0xfffff800, v15
	v_add_co_ci_u32_e64 v16, null, -1, v16, vcc_lo
	s_waitcnt lgkmcnt(0)
	global_store_dword v[15:16], v17, off offset:-4
                                        ; implicit-def: $vgpr15
.LBB1077_174:
	s_andn2_saveexec_b32 s2, s2
	s_cbranch_execz .LBB1077_176
; %bb.175:
	v_lshlrev_b32_e32 v16, 2, v0
	v_lshlrev_b32_e32 v15, 2, v15
	v_readfirstlane_b32 s6, v9
	v_readfirstlane_b32 s7, v10
	ds_read_b32 v16, v16 offset:2048
	s_waitcnt lgkmcnt(0)
	global_store_dword v15, v16, s[6:7]
.LBB1077_176:
	s_or_b32 exec_lo, exec_lo, s2
                                        ; implicit-def: $vgpr15
.LBB1077_177:
	s_andn2_saveexec_b32 s1, s1
	s_cbranch_execz .LBB1077_179
; %bb.178:
	v_lshlrev_b32_e32 v16, 2, v0
	v_lshlrev_b32_e32 v15, 2, v15
	v_readfirstlane_b32 s2, v11
	v_readfirstlane_b32 s3, v12
	ds_read_b32 v16, v16 offset:2048
	s_waitcnt lgkmcnt(0)
	global_store_dword v15, v16, s[2:3]
.LBB1077_179:
	s_or_b32 exec_lo, exec_lo, s1
	v_or_b32_e32 v15, 0x300, v0
	s_mov_b32 s1, exec_lo
	v_cmpx_ge_u32_e64 v15, v5
	s_xor_b32 s1, exec_lo, s1
	s_cbranch_execz .LBB1077_185
; %bb.180:
	s_mov_b32 s2, exec_lo
	v_cmpx_ge_u32_e64 v15, v14
	s_xor_b32 s2, exec_lo, s2
	s_cbranch_execz .LBB1077_182
; %bb.181:
	v_lshlrev_b32_e32 v16, 2, v0
	v_add_co_u32 v15, vcc_lo, v7, v15
	ds_read_b32 v17, v16 offset:3072
	v_add_co_ci_u32_e64 v16, null, 0, v13, vcc_lo
	v_lshlrev_b64 v[15:16], 2, v[15:16]
	v_sub_co_u32 v15, vcc_lo, s14, v15
	v_sub_co_ci_u32_e64 v16, null, s15, v16, vcc_lo
	s_waitcnt lgkmcnt(0)
	global_store_dword v[15:16], v17, off offset:-4
                                        ; implicit-def: $vgpr15
.LBB1077_182:
	s_andn2_saveexec_b32 s2, s2
	s_cbranch_execz .LBB1077_184
; %bb.183:
	v_lshlrev_b32_e32 v16, 2, v0
	v_lshlrev_b32_e32 v15, 2, v15
	v_readfirstlane_b32 s6, v9
	v_readfirstlane_b32 s7, v10
	ds_read_b32 v16, v16 offset:3072
	s_waitcnt lgkmcnt(0)
	global_store_dword v15, v16, s[6:7]
.LBB1077_184:
	s_or_b32 exec_lo, exec_lo, s2
                                        ; implicit-def: $vgpr15
.LBB1077_185:
	s_andn2_saveexec_b32 s1, s1
	s_cbranch_execz .LBB1077_187
; %bb.186:
	v_lshlrev_b32_e32 v16, 2, v0
	v_lshlrev_b32_e32 v15, 2, v15
	v_readfirstlane_b32 s2, v11
	v_readfirstlane_b32 s3, v12
	ds_read_b32 v16, v16 offset:3072
	s_waitcnt lgkmcnt(0)
	global_store_dword v15, v16, s[2:3]
.LBB1077_187:
	s_or_b32 exec_lo, exec_lo, s1
	v_or_b32_e32 v15, 0x400, v0
	s_mov_b32 s1, exec_lo
	v_cmpx_ge_u32_e64 v15, v5
	s_xor_b32 s1, exec_lo, s1
	s_cbranch_execz .LBB1077_193
; %bb.188:
	s_mov_b32 s2, exec_lo
	v_cmpx_ge_u32_e64 v15, v14
	s_xor_b32 s2, exec_lo, s2
	s_cbranch_execz .LBB1077_190
; %bb.189:
	v_lshlrev_b32_e32 v16, 2, v0
	v_add_co_u32 v15, vcc_lo, v7, v15
	ds_read_b32 v17, v16 offset:4096
	v_add_co_ci_u32_e64 v16, null, 0, v13, vcc_lo
	v_lshlrev_b64 v[15:16], 2, v[15:16]
	v_sub_co_u32 v15, vcc_lo, s14, v15
	v_sub_co_ci_u32_e64 v16, null, s15, v16, vcc_lo
	s_waitcnt lgkmcnt(0)
	global_store_dword v[15:16], v17, off offset:-4
                                        ; implicit-def: $vgpr15
.LBB1077_190:
	s_andn2_saveexec_b32 s2, s2
	s_cbranch_execz .LBB1077_192
; %bb.191:
	v_lshlrev_b32_e32 v16, 2, v0
	v_lshlrev_b32_e32 v15, 2, v15
	v_readfirstlane_b32 s6, v9
	v_readfirstlane_b32 s7, v10
	ds_read_b32 v16, v16 offset:4096
	s_waitcnt lgkmcnt(0)
	global_store_dword v15, v16, s[6:7]
.LBB1077_192:
	s_or_b32 exec_lo, exec_lo, s2
                                        ; implicit-def: $vgpr15
.LBB1077_193:
	;; [unrolled: 48-line block ×10, first 2 shown]
	s_andn2_saveexec_b32 s1, s1
	s_cbranch_execz .LBB1077_259
; %bb.258:
	v_lshlrev_b32_e32 v16, 2, v0
	v_lshlrev_b32_e32 v15, 2, v15
	v_readfirstlane_b32 s2, v11
	v_readfirstlane_b32 s3, v12
	ds_read_b32 v16, v16 offset:12288
	s_waitcnt lgkmcnt(0)
	global_store_dword v15, v16, s[2:3]
.LBB1077_259:
	s_or_b32 exec_lo, exec_lo, s1
	s_branch .LBB1077_153
.LBB1077_260:
	s_mov_b32 s1, exec_lo
	v_cmpx_gt_u32_e64 s5, v0
	s_cbranch_execz .LBB1077_269
; %bb.261:
	s_mov_b32 s2, exec_lo
	v_cmpx_ge_u32_e64 v0, v5
	s_xor_b32 s2, exec_lo, s2
	s_cbranch_execz .LBB1077_267
; %bb.262:
	s_mov_b32 s3, exec_lo
	v_cmpx_ge_u32_e64 v0, v14
	s_xor_b32 s3, exec_lo, s3
	s_cbranch_execz .LBB1077_264
; %bb.263:
	v_lshlrev_b32_e32 v15, 2, v0
	ds_read_b32 v17, v15
	v_add_co_u32 v15, vcc_lo, v7, v0
	v_add_co_ci_u32_e64 v16, null, 0, v13, vcc_lo
	v_lshlrev_b64 v[15:16], 2, v[15:16]
	v_sub_co_u32 v15, vcc_lo, s14, v15
	v_sub_co_ci_u32_e64 v16, null, s15, v16, vcc_lo
	s_waitcnt lgkmcnt(0)
	global_store_dword v[15:16], v17, off offset:-4
.LBB1077_264:
	s_andn2_saveexec_b32 s3, s3
	s_cbranch_execz .LBB1077_266
; %bb.265:
	v_lshlrev_b32_e32 v15, 2, v0
	v_readfirstlane_b32 s6, v9
	v_readfirstlane_b32 s7, v10
	ds_read_b32 v16, v15
	s_waitcnt lgkmcnt(0)
	global_store_dword v15, v16, s[6:7]
.LBB1077_266:
	s_or_b32 exec_lo, exec_lo, s3
.LBB1077_267:
	s_andn2_saveexec_b32 s2, s2
	s_cbranch_execz .LBB1077_269
; %bb.268:
	v_lshlrev_b32_e32 v15, 2, v0
	v_readfirstlane_b32 s2, v11
	v_readfirstlane_b32 s3, v12
	ds_read_b32 v16, v15
	s_waitcnt lgkmcnt(0)
	global_store_dword v15, v16, s[2:3]
.LBB1077_269:
	s_or_b32 exec_lo, exec_lo, s1
	v_or_b32_e32 v15, 0x100, v0
	s_mov_b32 s1, exec_lo
	v_cmpx_gt_u32_e64 s5, v15
	s_cbranch_execz .LBB1077_278
; %bb.270:
	s_mov_b32 s2, exec_lo
	v_cmpx_ge_u32_e64 v15, v5
	s_xor_b32 s2, exec_lo, s2
	s_cbranch_execz .LBB1077_276
; %bb.271:
	s_mov_b32 s3, exec_lo
	v_cmpx_ge_u32_e64 v15, v14
	s_xor_b32 s3, exec_lo, s3
	s_cbranch_execz .LBB1077_273
; %bb.272:
	v_lshlrev_b32_e32 v15, 2, v0
	ds_read_b32 v17, v15 offset:1024
	v_add_co_u32 v15, vcc_lo, v7, v0
	v_add_co_ci_u32_e64 v16, null, 0, v13, vcc_lo
	v_lshlrev_b64 v[15:16], 2, v[15:16]
	v_sub_co_u32 v15, vcc_lo, s14, v15
	v_sub_co_ci_u32_e64 v16, null, s15, v16, vcc_lo
	s_waitcnt lgkmcnt(0)
	global_store_dword v[15:16], v17, off offset:-1028
.LBB1077_273:
	s_andn2_saveexec_b32 s3, s3
	s_cbranch_execz .LBB1077_275
; %bb.274:
	v_lshlrev_b32_e32 v15, 2, v0
	v_readfirstlane_b32 s6, v9
	v_readfirstlane_b32 s7, v10
	ds_read_b32 v16, v15 offset:1024
	s_waitcnt lgkmcnt(0)
	global_store_dword v15, v16, s[6:7] offset:1024
.LBB1077_275:
	s_or_b32 exec_lo, exec_lo, s3
.LBB1077_276:
	s_andn2_saveexec_b32 s2, s2
	s_cbranch_execz .LBB1077_278
; %bb.277:
	v_lshlrev_b32_e32 v15, 2, v0
	v_readfirstlane_b32 s2, v11
	v_readfirstlane_b32 s3, v12
	ds_read_b32 v16, v15 offset:1024
	s_waitcnt lgkmcnt(0)
	global_store_dword v15, v16, s[2:3] offset:1024
.LBB1077_278:
	s_or_b32 exec_lo, exec_lo, s1
	v_or_b32_e32 v15, 0x200, v0
	s_mov_b32 s1, exec_lo
	v_cmpx_gt_u32_e64 s5, v15
	s_cbranch_execz .LBB1077_287
; %bb.279:
	s_mov_b32 s2, exec_lo
	v_cmpx_ge_u32_e64 v15, v5
	s_xor_b32 s2, exec_lo, s2
	s_cbranch_execz .LBB1077_285
; %bb.280:
	s_mov_b32 s3, exec_lo
	v_cmpx_ge_u32_e64 v15, v14
	s_xor_b32 s3, exec_lo, s3
	s_cbranch_execz .LBB1077_282
; %bb.281:
	v_lshlrev_b32_e32 v17, 2, v0
	v_add_co_u32 v15, vcc_lo, v7, v0
	v_add_co_ci_u32_e64 v16, null, 0, v13, vcc_lo
	ds_read_b32 v17, v17 offset:2048
	v_lshlrev_b64 v[15:16], 2, v[15:16]
	v_sub_co_u32 v15, vcc_lo, s14, v15
	v_sub_co_ci_u32_e64 v16, null, s15, v16, vcc_lo
	v_add_co_u32 v15, vcc_lo, 0xfffff800, v15
	v_add_co_ci_u32_e64 v16, null, -1, v16, vcc_lo
	s_waitcnt lgkmcnt(0)
	global_store_dword v[15:16], v17, off offset:-4
                                        ; implicit-def: $vgpr15
.LBB1077_282:
	s_andn2_saveexec_b32 s3, s3
	s_cbranch_execz .LBB1077_284
; %bb.283:
	v_lshlrev_b32_e32 v16, 2, v0
	v_lshlrev_b32_e32 v15, 2, v15
	v_readfirstlane_b32 s6, v9
	v_readfirstlane_b32 s7, v10
	ds_read_b32 v16, v16 offset:2048
	s_waitcnt lgkmcnt(0)
	global_store_dword v15, v16, s[6:7]
.LBB1077_284:
	s_or_b32 exec_lo, exec_lo, s3
                                        ; implicit-def: $vgpr15
.LBB1077_285:
	s_andn2_saveexec_b32 s2, s2
	s_cbranch_execz .LBB1077_287
; %bb.286:
	v_lshlrev_b32_e32 v16, 2, v0
	v_lshlrev_b32_e32 v15, 2, v15
	v_readfirstlane_b32 s2, v11
	v_readfirstlane_b32 s3, v12
	ds_read_b32 v16, v16 offset:2048
	s_waitcnt lgkmcnt(0)
	global_store_dword v15, v16, s[2:3]
.LBB1077_287:
	s_or_b32 exec_lo, exec_lo, s1
	v_or_b32_e32 v15, 0x300, v0
	s_mov_b32 s1, exec_lo
	v_cmpx_gt_u32_e64 s5, v15
	s_cbranch_execz .LBB1077_296
; %bb.288:
	s_mov_b32 s2, exec_lo
	v_cmpx_ge_u32_e64 v15, v5
	s_xor_b32 s2, exec_lo, s2
	s_cbranch_execz .LBB1077_294
; %bb.289:
	s_mov_b32 s3, exec_lo
	v_cmpx_ge_u32_e64 v15, v14
	s_xor_b32 s3, exec_lo, s3
	s_cbranch_execz .LBB1077_291
; %bb.290:
	v_lshlrev_b32_e32 v16, 2, v0
	v_add_co_u32 v15, vcc_lo, v7, v15
	ds_read_b32 v17, v16 offset:3072
	v_add_co_ci_u32_e64 v16, null, 0, v13, vcc_lo
	v_lshlrev_b64 v[15:16], 2, v[15:16]
	v_sub_co_u32 v15, vcc_lo, s14, v15
	v_sub_co_ci_u32_e64 v16, null, s15, v16, vcc_lo
	s_waitcnt lgkmcnt(0)
	global_store_dword v[15:16], v17, off offset:-4
                                        ; implicit-def: $vgpr15
.LBB1077_291:
	s_andn2_saveexec_b32 s3, s3
	s_cbranch_execz .LBB1077_293
; %bb.292:
	v_lshlrev_b32_e32 v16, 2, v0
	v_lshlrev_b32_e32 v15, 2, v15
	v_readfirstlane_b32 s6, v9
	v_readfirstlane_b32 s7, v10
	ds_read_b32 v16, v16 offset:3072
	s_waitcnt lgkmcnt(0)
	global_store_dword v15, v16, s[6:7]
.LBB1077_293:
	s_or_b32 exec_lo, exec_lo, s3
                                        ; implicit-def: $vgpr15
.LBB1077_294:
	s_andn2_saveexec_b32 s2, s2
	s_cbranch_execz .LBB1077_296
; %bb.295:
	v_lshlrev_b32_e32 v16, 2, v0
	v_lshlrev_b32_e32 v15, 2, v15
	v_readfirstlane_b32 s2, v11
	v_readfirstlane_b32 s3, v12
	ds_read_b32 v16, v16 offset:3072
	s_waitcnt lgkmcnt(0)
	global_store_dword v15, v16, s[2:3]
.LBB1077_296:
	s_or_b32 exec_lo, exec_lo, s1
	v_or_b32_e32 v15, 0x400, v0
	s_mov_b32 s1, exec_lo
	v_cmpx_gt_u32_e64 s5, v15
	s_cbranch_execz .LBB1077_305
; %bb.297:
	s_mov_b32 s2, exec_lo
	v_cmpx_ge_u32_e64 v15, v5
	s_xor_b32 s2, exec_lo, s2
	s_cbranch_execz .LBB1077_303
; %bb.298:
	s_mov_b32 s3, exec_lo
	v_cmpx_ge_u32_e64 v15, v14
	s_xor_b32 s3, exec_lo, s3
	s_cbranch_execz .LBB1077_300
; %bb.299:
	v_lshlrev_b32_e32 v16, 2, v0
	v_add_co_u32 v15, vcc_lo, v7, v15
	ds_read_b32 v17, v16 offset:4096
	v_add_co_ci_u32_e64 v16, null, 0, v13, vcc_lo
	v_lshlrev_b64 v[15:16], 2, v[15:16]
	v_sub_co_u32 v15, vcc_lo, s14, v15
	v_sub_co_ci_u32_e64 v16, null, s15, v16, vcc_lo
	s_waitcnt lgkmcnt(0)
	global_store_dword v[15:16], v17, off offset:-4
                                        ; implicit-def: $vgpr15
.LBB1077_300:
	s_andn2_saveexec_b32 s3, s3
	s_cbranch_execz .LBB1077_302
; %bb.301:
	v_lshlrev_b32_e32 v16, 2, v0
	v_lshlrev_b32_e32 v15, 2, v15
	v_readfirstlane_b32 s6, v9
	v_readfirstlane_b32 s7, v10
	ds_read_b32 v16, v16 offset:4096
	s_waitcnt lgkmcnt(0)
	global_store_dword v15, v16, s[6:7]
.LBB1077_302:
	s_or_b32 exec_lo, exec_lo, s3
                                        ; implicit-def: $vgpr15
.LBB1077_303:
	s_andn2_saveexec_b32 s2, s2
	s_cbranch_execz .LBB1077_305
; %bb.304:
	v_lshlrev_b32_e32 v16, 2, v0
	v_lshlrev_b32_e32 v15, 2, v15
	v_readfirstlane_b32 s2, v11
	v_readfirstlane_b32 s3, v12
	ds_read_b32 v16, v16 offset:4096
	s_waitcnt lgkmcnt(0)
	global_store_dword v15, v16, s[2:3]
.LBB1077_305:
	;; [unrolled: 52-line block ×9, first 2 shown]
	s_or_b32 exec_lo, exec_lo, s1
	v_or_b32_e32 v15, 0xc00, v0
	s_mov_b32 s1, exec_lo
	v_cmpx_gt_u32_e64 s5, v15
	s_cbranch_execz .LBB1077_377
; %bb.369:
	s_mov_b32 s2, exec_lo
	v_cmpx_ge_u32_e64 v15, v5
	s_xor_b32 s2, exec_lo, s2
	s_cbranch_execz .LBB1077_375
; %bb.370:
	s_mov_b32 s3, exec_lo
	v_cmpx_ge_u32_e64 v15, v14
	s_xor_b32 s3, exec_lo, s3
	s_cbranch_execz .LBB1077_372
; %bb.371:
	v_lshlrev_b32_e32 v0, 2, v0
	v_add_co_u32 v9, vcc_lo, v7, v15
	v_add_co_ci_u32_e64 v10, null, 0, v13, vcc_lo
	ds_read_b32 v0, v0 offset:12288
                                        ; implicit-def: $vgpr15
	v_lshlrev_b64 v[9:10], 2, v[9:10]
	v_sub_co_u32 v9, vcc_lo, s14, v9
	v_sub_co_ci_u32_e64 v10, null, s15, v10, vcc_lo
	s_waitcnt lgkmcnt(0)
	global_store_dword v[9:10], v0, off offset:-4
                                        ; implicit-def: $vgpr0
                                        ; implicit-def: $vgpr9_vgpr10
.LBB1077_372:
	s_andn2_saveexec_b32 s3, s3
	s_cbranch_execz .LBB1077_374
; %bb.373:
	v_lshlrev_b32_e32 v0, 2, v0
	v_lshlrev_b32_e32 v7, 2, v15
	v_readfirstlane_b32 s4, v9
	v_readfirstlane_b32 s5, v10
	ds_read_b32 v0, v0 offset:12288
	s_waitcnt lgkmcnt(0)
	global_store_dword v7, v0, s[4:5]
.LBB1077_374:
	s_or_b32 exec_lo, exec_lo, s3
                                        ; implicit-def: $vgpr0
                                        ; implicit-def: $vgpr15
                                        ; implicit-def: $vgpr11_vgpr12
.LBB1077_375:
	s_andn2_saveexec_b32 s2, s2
	s_cbranch_execz .LBB1077_377
; %bb.376:
	v_lshlrev_b32_e32 v0, 2, v0
	v_lshlrev_b32_e32 v7, 2, v15
	v_readfirstlane_b32 s2, v11
	v_readfirstlane_b32 s3, v12
	ds_read_b32 v0, v0 offset:12288
	s_waitcnt lgkmcnt(0)
	global_store_dword v7, v0, s[2:3]
.LBB1077_377:
	s_or_b32 exec_lo, exec_lo, s1
	s_and_b32 s0, s0, s26
	s_and_saveexec_b32 s1, s0
	s_cbranch_execz .LBB1077_154
.LBB1077_378:
	v_add_co_u32 v0, vcc_lo, v3, v6
	v_add_co_ci_u32_e64 v4, null, 0, v4, vcc_lo
	v_mov_b32_e32 v6, 0
	v_add_co_u32 v3, vcc_lo, v0, v8
	v_add_co_ci_u32_e64 v4, null, 0, v4, vcc_lo
	v_add_co_u32 v1, vcc_lo, v1, v5
	v_add_co_ci_u32_e64 v2, null, 0, v2, vcc_lo
	global_store_dwordx4 v6, v[1:4], s[24:25]
	s_endpgm
.LBB1077_379:
	s_add_i32 s8, s27, 32
	s_mov_b32 s9, 0
	v_add_nc_u32_e32 v10, v8, v6
	s_lshl_b64 s[8:9], s[8:9], 4
	v_add_nc_u32_e32 v9, v7, v5
	s_add_u32 s8, s36, s8
	s_addc_u32 s9, s37, s9
	v_mov_b32_e32 v11, 2
	v_mov_b32_e32 v28, s9
	v_mov_b32_e32 v12, 0
	v_mov_b32_e32 v27, s8
	;;#ASMSTART
	global_store_dwordx4 v[27:28], v[9:12] off	
s_waitcnt vmcnt(0)
	;;#ASMEND
	s_or_b32 exec_lo, exec_lo, s6
	s_and_saveexec_b32 s6, s3
	s_cbranch_execz .LBB1077_139
.LBB1077_380:
	v_mov_b32_e32 v9, 0
	ds_write_b128 v9, v[5:8] offset:13312
	s_or_b32 exec_lo, exec_lo, s6
	s_and_b32 exec_lo, exec_lo, s0
	s_cbranch_execnz .LBB1077_140
	s_branch .LBB1077_141
	.section	.rodata,"a",@progbits
	.p2align	6, 0x0
	.amdhsa_kernel _ZN7rocprim17ROCPRIM_400000_NS6detail17trampoline_kernelINS0_13select_configILj256ELj13ELNS0_17block_load_methodE3ELS4_3ELS4_3ELNS0_20block_scan_algorithmE0ELj4294967295EEENS1_25partition_config_selectorILNS1_17partition_subalgoE4EjNS0_10empty_typeEbEEZZNS1_14partition_implILS8_4ELb0ES6_15HIP_vector_typeIjLj2EENS0_17counting_iteratorIjlEEPS9_SG_NS0_5tupleIJPjSI_NS0_16reverse_iteratorISI_EEEEENSH_IJSG_SG_SG_EEES9_SI_JZNS1_25segmented_radix_sort_implINS0_14default_configELb1EPKdPdPKlPlN2at6native12_GLOBAL__N_18offset_tEEE10hipError_tPvRmT1_PNSt15iterator_traitsIS12_E10value_typeET2_T3_PNS13_IS18_E10value_typeET4_jRbjT5_S1E_jjP12ihipStream_tbEUljE_ZNSN_ISO_Lb1ESQ_SR_ST_SU_SY_EESZ_S10_S11_S12_S16_S17_S18_S1B_S1C_jS1D_jS1E_S1E_jjS1G_bEUljE0_EEESZ_S10_S11_S18_S1C_S1E_T6_T7_T9_mT8_S1G_bDpT10_ENKUlT_T0_E_clISt17integral_constantIbLb0EES1T_IbLb1EEEEDaS1P_S1Q_EUlS1P_E_NS1_11comp_targetILNS1_3genE8ELNS1_11target_archE1030ELNS1_3gpuE2ELNS1_3repE0EEENS1_30default_config_static_selectorELNS0_4arch9wavefront6targetE0EEEvS12_
		.amdhsa_group_segment_fixed_size 13328
		.amdhsa_private_segment_fixed_size 0
		.amdhsa_kernarg_size 184
		.amdhsa_user_sgpr_count 6
		.amdhsa_user_sgpr_private_segment_buffer 1
		.amdhsa_user_sgpr_dispatch_ptr 0
		.amdhsa_user_sgpr_queue_ptr 0
		.amdhsa_user_sgpr_kernarg_segment_ptr 1
		.amdhsa_user_sgpr_dispatch_id 0
		.amdhsa_user_sgpr_flat_scratch_init 0
		.amdhsa_user_sgpr_private_segment_size 0
		.amdhsa_wavefront_size32 1
		.amdhsa_uses_dynamic_stack 0
		.amdhsa_system_sgpr_private_segment_wavefront_offset 0
		.amdhsa_system_sgpr_workgroup_id_x 1
		.amdhsa_system_sgpr_workgroup_id_y 0
		.amdhsa_system_sgpr_workgroup_id_z 0
		.amdhsa_system_sgpr_workgroup_info 0
		.amdhsa_system_vgpr_workitem_id 0
		.amdhsa_next_free_vgpr 87
		.amdhsa_next_free_sgpr 55
		.amdhsa_reserve_vcc 1
		.amdhsa_reserve_flat_scratch 0
		.amdhsa_float_round_mode_32 0
		.amdhsa_float_round_mode_16_64 0
		.amdhsa_float_denorm_mode_32 3
		.amdhsa_float_denorm_mode_16_64 3
		.amdhsa_dx10_clamp 1
		.amdhsa_ieee_mode 1
		.amdhsa_fp16_overflow 0
		.amdhsa_workgroup_processor_mode 1
		.amdhsa_memory_ordered 1
		.amdhsa_forward_progress 1
		.amdhsa_shared_vgpr_count 0
		.amdhsa_exception_fp_ieee_invalid_op 0
		.amdhsa_exception_fp_denorm_src 0
		.amdhsa_exception_fp_ieee_div_zero 0
		.amdhsa_exception_fp_ieee_overflow 0
		.amdhsa_exception_fp_ieee_underflow 0
		.amdhsa_exception_fp_ieee_inexact 0
		.amdhsa_exception_int_div_zero 0
	.end_amdhsa_kernel
	.section	.text._ZN7rocprim17ROCPRIM_400000_NS6detail17trampoline_kernelINS0_13select_configILj256ELj13ELNS0_17block_load_methodE3ELS4_3ELS4_3ELNS0_20block_scan_algorithmE0ELj4294967295EEENS1_25partition_config_selectorILNS1_17partition_subalgoE4EjNS0_10empty_typeEbEEZZNS1_14partition_implILS8_4ELb0ES6_15HIP_vector_typeIjLj2EENS0_17counting_iteratorIjlEEPS9_SG_NS0_5tupleIJPjSI_NS0_16reverse_iteratorISI_EEEEENSH_IJSG_SG_SG_EEES9_SI_JZNS1_25segmented_radix_sort_implINS0_14default_configELb1EPKdPdPKlPlN2at6native12_GLOBAL__N_18offset_tEEE10hipError_tPvRmT1_PNSt15iterator_traitsIS12_E10value_typeET2_T3_PNS13_IS18_E10value_typeET4_jRbjT5_S1E_jjP12ihipStream_tbEUljE_ZNSN_ISO_Lb1ESQ_SR_ST_SU_SY_EESZ_S10_S11_S12_S16_S17_S18_S1B_S1C_jS1D_jS1E_S1E_jjS1G_bEUljE0_EEESZ_S10_S11_S18_S1C_S1E_T6_T7_T9_mT8_S1G_bDpT10_ENKUlT_T0_E_clISt17integral_constantIbLb0EES1T_IbLb1EEEEDaS1P_S1Q_EUlS1P_E_NS1_11comp_targetILNS1_3genE8ELNS1_11target_archE1030ELNS1_3gpuE2ELNS1_3repE0EEENS1_30default_config_static_selectorELNS0_4arch9wavefront6targetE0EEEvS12_,"axG",@progbits,_ZN7rocprim17ROCPRIM_400000_NS6detail17trampoline_kernelINS0_13select_configILj256ELj13ELNS0_17block_load_methodE3ELS4_3ELS4_3ELNS0_20block_scan_algorithmE0ELj4294967295EEENS1_25partition_config_selectorILNS1_17partition_subalgoE4EjNS0_10empty_typeEbEEZZNS1_14partition_implILS8_4ELb0ES6_15HIP_vector_typeIjLj2EENS0_17counting_iteratorIjlEEPS9_SG_NS0_5tupleIJPjSI_NS0_16reverse_iteratorISI_EEEEENSH_IJSG_SG_SG_EEES9_SI_JZNS1_25segmented_radix_sort_implINS0_14default_configELb1EPKdPdPKlPlN2at6native12_GLOBAL__N_18offset_tEEE10hipError_tPvRmT1_PNSt15iterator_traitsIS12_E10value_typeET2_T3_PNS13_IS18_E10value_typeET4_jRbjT5_S1E_jjP12ihipStream_tbEUljE_ZNSN_ISO_Lb1ESQ_SR_ST_SU_SY_EESZ_S10_S11_S12_S16_S17_S18_S1B_S1C_jS1D_jS1E_S1E_jjS1G_bEUljE0_EEESZ_S10_S11_S18_S1C_S1E_T6_T7_T9_mT8_S1G_bDpT10_ENKUlT_T0_E_clISt17integral_constantIbLb0EES1T_IbLb1EEEEDaS1P_S1Q_EUlS1P_E_NS1_11comp_targetILNS1_3genE8ELNS1_11target_archE1030ELNS1_3gpuE2ELNS1_3repE0EEENS1_30default_config_static_selectorELNS0_4arch9wavefront6targetE0EEEvS12_,comdat
.Lfunc_end1077:
	.size	_ZN7rocprim17ROCPRIM_400000_NS6detail17trampoline_kernelINS0_13select_configILj256ELj13ELNS0_17block_load_methodE3ELS4_3ELS4_3ELNS0_20block_scan_algorithmE0ELj4294967295EEENS1_25partition_config_selectorILNS1_17partition_subalgoE4EjNS0_10empty_typeEbEEZZNS1_14partition_implILS8_4ELb0ES6_15HIP_vector_typeIjLj2EENS0_17counting_iteratorIjlEEPS9_SG_NS0_5tupleIJPjSI_NS0_16reverse_iteratorISI_EEEEENSH_IJSG_SG_SG_EEES9_SI_JZNS1_25segmented_radix_sort_implINS0_14default_configELb1EPKdPdPKlPlN2at6native12_GLOBAL__N_18offset_tEEE10hipError_tPvRmT1_PNSt15iterator_traitsIS12_E10value_typeET2_T3_PNS13_IS18_E10value_typeET4_jRbjT5_S1E_jjP12ihipStream_tbEUljE_ZNSN_ISO_Lb1ESQ_SR_ST_SU_SY_EESZ_S10_S11_S12_S16_S17_S18_S1B_S1C_jS1D_jS1E_S1E_jjS1G_bEUljE0_EEESZ_S10_S11_S18_S1C_S1E_T6_T7_T9_mT8_S1G_bDpT10_ENKUlT_T0_E_clISt17integral_constantIbLb0EES1T_IbLb1EEEEDaS1P_S1Q_EUlS1P_E_NS1_11comp_targetILNS1_3genE8ELNS1_11target_archE1030ELNS1_3gpuE2ELNS1_3repE0EEENS1_30default_config_static_selectorELNS0_4arch9wavefront6targetE0EEEvS12_, .Lfunc_end1077-_ZN7rocprim17ROCPRIM_400000_NS6detail17trampoline_kernelINS0_13select_configILj256ELj13ELNS0_17block_load_methodE3ELS4_3ELS4_3ELNS0_20block_scan_algorithmE0ELj4294967295EEENS1_25partition_config_selectorILNS1_17partition_subalgoE4EjNS0_10empty_typeEbEEZZNS1_14partition_implILS8_4ELb0ES6_15HIP_vector_typeIjLj2EENS0_17counting_iteratorIjlEEPS9_SG_NS0_5tupleIJPjSI_NS0_16reverse_iteratorISI_EEEEENSH_IJSG_SG_SG_EEES9_SI_JZNS1_25segmented_radix_sort_implINS0_14default_configELb1EPKdPdPKlPlN2at6native12_GLOBAL__N_18offset_tEEE10hipError_tPvRmT1_PNSt15iterator_traitsIS12_E10value_typeET2_T3_PNS13_IS18_E10value_typeET4_jRbjT5_S1E_jjP12ihipStream_tbEUljE_ZNSN_ISO_Lb1ESQ_SR_ST_SU_SY_EESZ_S10_S11_S12_S16_S17_S18_S1B_S1C_jS1D_jS1E_S1E_jjS1G_bEUljE0_EEESZ_S10_S11_S18_S1C_S1E_T6_T7_T9_mT8_S1G_bDpT10_ENKUlT_T0_E_clISt17integral_constantIbLb0EES1T_IbLb1EEEEDaS1P_S1Q_EUlS1P_E_NS1_11comp_targetILNS1_3genE8ELNS1_11target_archE1030ELNS1_3gpuE2ELNS1_3repE0EEENS1_30default_config_static_selectorELNS0_4arch9wavefront6targetE0EEEvS12_
                                        ; -- End function
	.set _ZN7rocprim17ROCPRIM_400000_NS6detail17trampoline_kernelINS0_13select_configILj256ELj13ELNS0_17block_load_methodE3ELS4_3ELS4_3ELNS0_20block_scan_algorithmE0ELj4294967295EEENS1_25partition_config_selectorILNS1_17partition_subalgoE4EjNS0_10empty_typeEbEEZZNS1_14partition_implILS8_4ELb0ES6_15HIP_vector_typeIjLj2EENS0_17counting_iteratorIjlEEPS9_SG_NS0_5tupleIJPjSI_NS0_16reverse_iteratorISI_EEEEENSH_IJSG_SG_SG_EEES9_SI_JZNS1_25segmented_radix_sort_implINS0_14default_configELb1EPKdPdPKlPlN2at6native12_GLOBAL__N_18offset_tEEE10hipError_tPvRmT1_PNSt15iterator_traitsIS12_E10value_typeET2_T3_PNS13_IS18_E10value_typeET4_jRbjT5_S1E_jjP12ihipStream_tbEUljE_ZNSN_ISO_Lb1ESQ_SR_ST_SU_SY_EESZ_S10_S11_S12_S16_S17_S18_S1B_S1C_jS1D_jS1E_S1E_jjS1G_bEUljE0_EEESZ_S10_S11_S18_S1C_S1E_T6_T7_T9_mT8_S1G_bDpT10_ENKUlT_T0_E_clISt17integral_constantIbLb0EES1T_IbLb1EEEEDaS1P_S1Q_EUlS1P_E_NS1_11comp_targetILNS1_3genE8ELNS1_11target_archE1030ELNS1_3gpuE2ELNS1_3repE0EEENS1_30default_config_static_selectorELNS0_4arch9wavefront6targetE0EEEvS12_.num_vgpr, 87
	.set _ZN7rocprim17ROCPRIM_400000_NS6detail17trampoline_kernelINS0_13select_configILj256ELj13ELNS0_17block_load_methodE3ELS4_3ELS4_3ELNS0_20block_scan_algorithmE0ELj4294967295EEENS1_25partition_config_selectorILNS1_17partition_subalgoE4EjNS0_10empty_typeEbEEZZNS1_14partition_implILS8_4ELb0ES6_15HIP_vector_typeIjLj2EENS0_17counting_iteratorIjlEEPS9_SG_NS0_5tupleIJPjSI_NS0_16reverse_iteratorISI_EEEEENSH_IJSG_SG_SG_EEES9_SI_JZNS1_25segmented_radix_sort_implINS0_14default_configELb1EPKdPdPKlPlN2at6native12_GLOBAL__N_18offset_tEEE10hipError_tPvRmT1_PNSt15iterator_traitsIS12_E10value_typeET2_T3_PNS13_IS18_E10value_typeET4_jRbjT5_S1E_jjP12ihipStream_tbEUljE_ZNSN_ISO_Lb1ESQ_SR_ST_SU_SY_EESZ_S10_S11_S12_S16_S17_S18_S1B_S1C_jS1D_jS1E_S1E_jjS1G_bEUljE0_EEESZ_S10_S11_S18_S1C_S1E_T6_T7_T9_mT8_S1G_bDpT10_ENKUlT_T0_E_clISt17integral_constantIbLb0EES1T_IbLb1EEEEDaS1P_S1Q_EUlS1P_E_NS1_11comp_targetILNS1_3genE8ELNS1_11target_archE1030ELNS1_3gpuE2ELNS1_3repE0EEENS1_30default_config_static_selectorELNS0_4arch9wavefront6targetE0EEEvS12_.num_agpr, 0
	.set _ZN7rocprim17ROCPRIM_400000_NS6detail17trampoline_kernelINS0_13select_configILj256ELj13ELNS0_17block_load_methodE3ELS4_3ELS4_3ELNS0_20block_scan_algorithmE0ELj4294967295EEENS1_25partition_config_selectorILNS1_17partition_subalgoE4EjNS0_10empty_typeEbEEZZNS1_14partition_implILS8_4ELb0ES6_15HIP_vector_typeIjLj2EENS0_17counting_iteratorIjlEEPS9_SG_NS0_5tupleIJPjSI_NS0_16reverse_iteratorISI_EEEEENSH_IJSG_SG_SG_EEES9_SI_JZNS1_25segmented_radix_sort_implINS0_14default_configELb1EPKdPdPKlPlN2at6native12_GLOBAL__N_18offset_tEEE10hipError_tPvRmT1_PNSt15iterator_traitsIS12_E10value_typeET2_T3_PNS13_IS18_E10value_typeET4_jRbjT5_S1E_jjP12ihipStream_tbEUljE_ZNSN_ISO_Lb1ESQ_SR_ST_SU_SY_EESZ_S10_S11_S12_S16_S17_S18_S1B_S1C_jS1D_jS1E_S1E_jjS1G_bEUljE0_EEESZ_S10_S11_S18_S1C_S1E_T6_T7_T9_mT8_S1G_bDpT10_ENKUlT_T0_E_clISt17integral_constantIbLb0EES1T_IbLb1EEEEDaS1P_S1Q_EUlS1P_E_NS1_11comp_targetILNS1_3genE8ELNS1_11target_archE1030ELNS1_3gpuE2ELNS1_3repE0EEENS1_30default_config_static_selectorELNS0_4arch9wavefront6targetE0EEEvS12_.numbered_sgpr, 55
	.set _ZN7rocprim17ROCPRIM_400000_NS6detail17trampoline_kernelINS0_13select_configILj256ELj13ELNS0_17block_load_methodE3ELS4_3ELS4_3ELNS0_20block_scan_algorithmE0ELj4294967295EEENS1_25partition_config_selectorILNS1_17partition_subalgoE4EjNS0_10empty_typeEbEEZZNS1_14partition_implILS8_4ELb0ES6_15HIP_vector_typeIjLj2EENS0_17counting_iteratorIjlEEPS9_SG_NS0_5tupleIJPjSI_NS0_16reverse_iteratorISI_EEEEENSH_IJSG_SG_SG_EEES9_SI_JZNS1_25segmented_radix_sort_implINS0_14default_configELb1EPKdPdPKlPlN2at6native12_GLOBAL__N_18offset_tEEE10hipError_tPvRmT1_PNSt15iterator_traitsIS12_E10value_typeET2_T3_PNS13_IS18_E10value_typeET4_jRbjT5_S1E_jjP12ihipStream_tbEUljE_ZNSN_ISO_Lb1ESQ_SR_ST_SU_SY_EESZ_S10_S11_S12_S16_S17_S18_S1B_S1C_jS1D_jS1E_S1E_jjS1G_bEUljE0_EEESZ_S10_S11_S18_S1C_S1E_T6_T7_T9_mT8_S1G_bDpT10_ENKUlT_T0_E_clISt17integral_constantIbLb0EES1T_IbLb1EEEEDaS1P_S1Q_EUlS1P_E_NS1_11comp_targetILNS1_3genE8ELNS1_11target_archE1030ELNS1_3gpuE2ELNS1_3repE0EEENS1_30default_config_static_selectorELNS0_4arch9wavefront6targetE0EEEvS12_.num_named_barrier, 0
	.set _ZN7rocprim17ROCPRIM_400000_NS6detail17trampoline_kernelINS0_13select_configILj256ELj13ELNS0_17block_load_methodE3ELS4_3ELS4_3ELNS0_20block_scan_algorithmE0ELj4294967295EEENS1_25partition_config_selectorILNS1_17partition_subalgoE4EjNS0_10empty_typeEbEEZZNS1_14partition_implILS8_4ELb0ES6_15HIP_vector_typeIjLj2EENS0_17counting_iteratorIjlEEPS9_SG_NS0_5tupleIJPjSI_NS0_16reverse_iteratorISI_EEEEENSH_IJSG_SG_SG_EEES9_SI_JZNS1_25segmented_radix_sort_implINS0_14default_configELb1EPKdPdPKlPlN2at6native12_GLOBAL__N_18offset_tEEE10hipError_tPvRmT1_PNSt15iterator_traitsIS12_E10value_typeET2_T3_PNS13_IS18_E10value_typeET4_jRbjT5_S1E_jjP12ihipStream_tbEUljE_ZNSN_ISO_Lb1ESQ_SR_ST_SU_SY_EESZ_S10_S11_S12_S16_S17_S18_S1B_S1C_jS1D_jS1E_S1E_jjS1G_bEUljE0_EEESZ_S10_S11_S18_S1C_S1E_T6_T7_T9_mT8_S1G_bDpT10_ENKUlT_T0_E_clISt17integral_constantIbLb0EES1T_IbLb1EEEEDaS1P_S1Q_EUlS1P_E_NS1_11comp_targetILNS1_3genE8ELNS1_11target_archE1030ELNS1_3gpuE2ELNS1_3repE0EEENS1_30default_config_static_selectorELNS0_4arch9wavefront6targetE0EEEvS12_.private_seg_size, 0
	.set _ZN7rocprim17ROCPRIM_400000_NS6detail17trampoline_kernelINS0_13select_configILj256ELj13ELNS0_17block_load_methodE3ELS4_3ELS4_3ELNS0_20block_scan_algorithmE0ELj4294967295EEENS1_25partition_config_selectorILNS1_17partition_subalgoE4EjNS0_10empty_typeEbEEZZNS1_14partition_implILS8_4ELb0ES6_15HIP_vector_typeIjLj2EENS0_17counting_iteratorIjlEEPS9_SG_NS0_5tupleIJPjSI_NS0_16reverse_iteratorISI_EEEEENSH_IJSG_SG_SG_EEES9_SI_JZNS1_25segmented_radix_sort_implINS0_14default_configELb1EPKdPdPKlPlN2at6native12_GLOBAL__N_18offset_tEEE10hipError_tPvRmT1_PNSt15iterator_traitsIS12_E10value_typeET2_T3_PNS13_IS18_E10value_typeET4_jRbjT5_S1E_jjP12ihipStream_tbEUljE_ZNSN_ISO_Lb1ESQ_SR_ST_SU_SY_EESZ_S10_S11_S12_S16_S17_S18_S1B_S1C_jS1D_jS1E_S1E_jjS1G_bEUljE0_EEESZ_S10_S11_S18_S1C_S1E_T6_T7_T9_mT8_S1G_bDpT10_ENKUlT_T0_E_clISt17integral_constantIbLb0EES1T_IbLb1EEEEDaS1P_S1Q_EUlS1P_E_NS1_11comp_targetILNS1_3genE8ELNS1_11target_archE1030ELNS1_3gpuE2ELNS1_3repE0EEENS1_30default_config_static_selectorELNS0_4arch9wavefront6targetE0EEEvS12_.uses_vcc, 1
	.set _ZN7rocprim17ROCPRIM_400000_NS6detail17trampoline_kernelINS0_13select_configILj256ELj13ELNS0_17block_load_methodE3ELS4_3ELS4_3ELNS0_20block_scan_algorithmE0ELj4294967295EEENS1_25partition_config_selectorILNS1_17partition_subalgoE4EjNS0_10empty_typeEbEEZZNS1_14partition_implILS8_4ELb0ES6_15HIP_vector_typeIjLj2EENS0_17counting_iteratorIjlEEPS9_SG_NS0_5tupleIJPjSI_NS0_16reverse_iteratorISI_EEEEENSH_IJSG_SG_SG_EEES9_SI_JZNS1_25segmented_radix_sort_implINS0_14default_configELb1EPKdPdPKlPlN2at6native12_GLOBAL__N_18offset_tEEE10hipError_tPvRmT1_PNSt15iterator_traitsIS12_E10value_typeET2_T3_PNS13_IS18_E10value_typeET4_jRbjT5_S1E_jjP12ihipStream_tbEUljE_ZNSN_ISO_Lb1ESQ_SR_ST_SU_SY_EESZ_S10_S11_S12_S16_S17_S18_S1B_S1C_jS1D_jS1E_S1E_jjS1G_bEUljE0_EEESZ_S10_S11_S18_S1C_S1E_T6_T7_T9_mT8_S1G_bDpT10_ENKUlT_T0_E_clISt17integral_constantIbLb0EES1T_IbLb1EEEEDaS1P_S1Q_EUlS1P_E_NS1_11comp_targetILNS1_3genE8ELNS1_11target_archE1030ELNS1_3gpuE2ELNS1_3repE0EEENS1_30default_config_static_selectorELNS0_4arch9wavefront6targetE0EEEvS12_.uses_flat_scratch, 0
	.set _ZN7rocprim17ROCPRIM_400000_NS6detail17trampoline_kernelINS0_13select_configILj256ELj13ELNS0_17block_load_methodE3ELS4_3ELS4_3ELNS0_20block_scan_algorithmE0ELj4294967295EEENS1_25partition_config_selectorILNS1_17partition_subalgoE4EjNS0_10empty_typeEbEEZZNS1_14partition_implILS8_4ELb0ES6_15HIP_vector_typeIjLj2EENS0_17counting_iteratorIjlEEPS9_SG_NS0_5tupleIJPjSI_NS0_16reverse_iteratorISI_EEEEENSH_IJSG_SG_SG_EEES9_SI_JZNS1_25segmented_radix_sort_implINS0_14default_configELb1EPKdPdPKlPlN2at6native12_GLOBAL__N_18offset_tEEE10hipError_tPvRmT1_PNSt15iterator_traitsIS12_E10value_typeET2_T3_PNS13_IS18_E10value_typeET4_jRbjT5_S1E_jjP12ihipStream_tbEUljE_ZNSN_ISO_Lb1ESQ_SR_ST_SU_SY_EESZ_S10_S11_S12_S16_S17_S18_S1B_S1C_jS1D_jS1E_S1E_jjS1G_bEUljE0_EEESZ_S10_S11_S18_S1C_S1E_T6_T7_T9_mT8_S1G_bDpT10_ENKUlT_T0_E_clISt17integral_constantIbLb0EES1T_IbLb1EEEEDaS1P_S1Q_EUlS1P_E_NS1_11comp_targetILNS1_3genE8ELNS1_11target_archE1030ELNS1_3gpuE2ELNS1_3repE0EEENS1_30default_config_static_selectorELNS0_4arch9wavefront6targetE0EEEvS12_.has_dyn_sized_stack, 0
	.set _ZN7rocprim17ROCPRIM_400000_NS6detail17trampoline_kernelINS0_13select_configILj256ELj13ELNS0_17block_load_methodE3ELS4_3ELS4_3ELNS0_20block_scan_algorithmE0ELj4294967295EEENS1_25partition_config_selectorILNS1_17partition_subalgoE4EjNS0_10empty_typeEbEEZZNS1_14partition_implILS8_4ELb0ES6_15HIP_vector_typeIjLj2EENS0_17counting_iteratorIjlEEPS9_SG_NS0_5tupleIJPjSI_NS0_16reverse_iteratorISI_EEEEENSH_IJSG_SG_SG_EEES9_SI_JZNS1_25segmented_radix_sort_implINS0_14default_configELb1EPKdPdPKlPlN2at6native12_GLOBAL__N_18offset_tEEE10hipError_tPvRmT1_PNSt15iterator_traitsIS12_E10value_typeET2_T3_PNS13_IS18_E10value_typeET4_jRbjT5_S1E_jjP12ihipStream_tbEUljE_ZNSN_ISO_Lb1ESQ_SR_ST_SU_SY_EESZ_S10_S11_S12_S16_S17_S18_S1B_S1C_jS1D_jS1E_S1E_jjS1G_bEUljE0_EEESZ_S10_S11_S18_S1C_S1E_T6_T7_T9_mT8_S1G_bDpT10_ENKUlT_T0_E_clISt17integral_constantIbLb0EES1T_IbLb1EEEEDaS1P_S1Q_EUlS1P_E_NS1_11comp_targetILNS1_3genE8ELNS1_11target_archE1030ELNS1_3gpuE2ELNS1_3repE0EEENS1_30default_config_static_selectorELNS0_4arch9wavefront6targetE0EEEvS12_.has_recursion, 0
	.set _ZN7rocprim17ROCPRIM_400000_NS6detail17trampoline_kernelINS0_13select_configILj256ELj13ELNS0_17block_load_methodE3ELS4_3ELS4_3ELNS0_20block_scan_algorithmE0ELj4294967295EEENS1_25partition_config_selectorILNS1_17partition_subalgoE4EjNS0_10empty_typeEbEEZZNS1_14partition_implILS8_4ELb0ES6_15HIP_vector_typeIjLj2EENS0_17counting_iteratorIjlEEPS9_SG_NS0_5tupleIJPjSI_NS0_16reverse_iteratorISI_EEEEENSH_IJSG_SG_SG_EEES9_SI_JZNS1_25segmented_radix_sort_implINS0_14default_configELb1EPKdPdPKlPlN2at6native12_GLOBAL__N_18offset_tEEE10hipError_tPvRmT1_PNSt15iterator_traitsIS12_E10value_typeET2_T3_PNS13_IS18_E10value_typeET4_jRbjT5_S1E_jjP12ihipStream_tbEUljE_ZNSN_ISO_Lb1ESQ_SR_ST_SU_SY_EESZ_S10_S11_S12_S16_S17_S18_S1B_S1C_jS1D_jS1E_S1E_jjS1G_bEUljE0_EEESZ_S10_S11_S18_S1C_S1E_T6_T7_T9_mT8_S1G_bDpT10_ENKUlT_T0_E_clISt17integral_constantIbLb0EES1T_IbLb1EEEEDaS1P_S1Q_EUlS1P_E_NS1_11comp_targetILNS1_3genE8ELNS1_11target_archE1030ELNS1_3gpuE2ELNS1_3repE0EEENS1_30default_config_static_selectorELNS0_4arch9wavefront6targetE0EEEvS12_.has_indirect_call, 0
	.section	.AMDGPU.csdata,"",@progbits
; Kernel info:
; codeLenInByte = 16368
; TotalNumSgprs: 57
; NumVgprs: 87
; ScratchSize: 0
; MemoryBound: 0
; FloatMode: 240
; IeeeMode: 1
; LDSByteSize: 13328 bytes/workgroup (compile time only)
; SGPRBlocks: 0
; VGPRBlocks: 10
; NumSGPRsForWavesPerEU: 57
; NumVGPRsForWavesPerEU: 87
; Occupancy: 10
; WaveLimiterHint : 1
; COMPUTE_PGM_RSRC2:SCRATCH_EN: 0
; COMPUTE_PGM_RSRC2:USER_SGPR: 6
; COMPUTE_PGM_RSRC2:TRAP_HANDLER: 0
; COMPUTE_PGM_RSRC2:TGID_X_EN: 1
; COMPUTE_PGM_RSRC2:TGID_Y_EN: 0
; COMPUTE_PGM_RSRC2:TGID_Z_EN: 0
; COMPUTE_PGM_RSRC2:TIDIG_COMP_CNT: 0
	.section	.text._ZN7rocprim17ROCPRIM_400000_NS6detail17trampoline_kernelINS0_13select_configILj256ELj13ELNS0_17block_load_methodE3ELS4_3ELS4_3ELNS0_20block_scan_algorithmE0ELj4294967295EEENS1_25partition_config_selectorILNS1_17partition_subalgoE3EjNS0_10empty_typeEbEEZZNS1_14partition_implILS8_3ELb0ES6_jNS0_17counting_iteratorIjlEEPS9_SE_NS0_5tupleIJPjSE_EEENSF_IJSE_SE_EEES9_SG_JZNS1_25segmented_radix_sort_implINS0_14default_configELb1EPKdPdPKlPlN2at6native12_GLOBAL__N_18offset_tEEE10hipError_tPvRmT1_PNSt15iterator_traitsISY_E10value_typeET2_T3_PNSZ_IS14_E10value_typeET4_jRbjT5_S1A_jjP12ihipStream_tbEUljE_EEESV_SW_SX_S14_S18_S1A_T6_T7_T9_mT8_S1C_bDpT10_ENKUlT_T0_E_clISt17integral_constantIbLb0EES1P_EEDaS1K_S1L_EUlS1K_E_NS1_11comp_targetILNS1_3genE0ELNS1_11target_archE4294967295ELNS1_3gpuE0ELNS1_3repE0EEENS1_30default_config_static_selectorELNS0_4arch9wavefront6targetE0EEEvSY_,"axG",@progbits,_ZN7rocprim17ROCPRIM_400000_NS6detail17trampoline_kernelINS0_13select_configILj256ELj13ELNS0_17block_load_methodE3ELS4_3ELS4_3ELNS0_20block_scan_algorithmE0ELj4294967295EEENS1_25partition_config_selectorILNS1_17partition_subalgoE3EjNS0_10empty_typeEbEEZZNS1_14partition_implILS8_3ELb0ES6_jNS0_17counting_iteratorIjlEEPS9_SE_NS0_5tupleIJPjSE_EEENSF_IJSE_SE_EEES9_SG_JZNS1_25segmented_radix_sort_implINS0_14default_configELb1EPKdPdPKlPlN2at6native12_GLOBAL__N_18offset_tEEE10hipError_tPvRmT1_PNSt15iterator_traitsISY_E10value_typeET2_T3_PNSZ_IS14_E10value_typeET4_jRbjT5_S1A_jjP12ihipStream_tbEUljE_EEESV_SW_SX_S14_S18_S1A_T6_T7_T9_mT8_S1C_bDpT10_ENKUlT_T0_E_clISt17integral_constantIbLb0EES1P_EEDaS1K_S1L_EUlS1K_E_NS1_11comp_targetILNS1_3genE0ELNS1_11target_archE4294967295ELNS1_3gpuE0ELNS1_3repE0EEENS1_30default_config_static_selectorELNS0_4arch9wavefront6targetE0EEEvSY_,comdat
	.globl	_ZN7rocprim17ROCPRIM_400000_NS6detail17trampoline_kernelINS0_13select_configILj256ELj13ELNS0_17block_load_methodE3ELS4_3ELS4_3ELNS0_20block_scan_algorithmE0ELj4294967295EEENS1_25partition_config_selectorILNS1_17partition_subalgoE3EjNS0_10empty_typeEbEEZZNS1_14partition_implILS8_3ELb0ES6_jNS0_17counting_iteratorIjlEEPS9_SE_NS0_5tupleIJPjSE_EEENSF_IJSE_SE_EEES9_SG_JZNS1_25segmented_radix_sort_implINS0_14default_configELb1EPKdPdPKlPlN2at6native12_GLOBAL__N_18offset_tEEE10hipError_tPvRmT1_PNSt15iterator_traitsISY_E10value_typeET2_T3_PNSZ_IS14_E10value_typeET4_jRbjT5_S1A_jjP12ihipStream_tbEUljE_EEESV_SW_SX_S14_S18_S1A_T6_T7_T9_mT8_S1C_bDpT10_ENKUlT_T0_E_clISt17integral_constantIbLb0EES1P_EEDaS1K_S1L_EUlS1K_E_NS1_11comp_targetILNS1_3genE0ELNS1_11target_archE4294967295ELNS1_3gpuE0ELNS1_3repE0EEENS1_30default_config_static_selectorELNS0_4arch9wavefront6targetE0EEEvSY_ ; -- Begin function _ZN7rocprim17ROCPRIM_400000_NS6detail17trampoline_kernelINS0_13select_configILj256ELj13ELNS0_17block_load_methodE3ELS4_3ELS4_3ELNS0_20block_scan_algorithmE0ELj4294967295EEENS1_25partition_config_selectorILNS1_17partition_subalgoE3EjNS0_10empty_typeEbEEZZNS1_14partition_implILS8_3ELb0ES6_jNS0_17counting_iteratorIjlEEPS9_SE_NS0_5tupleIJPjSE_EEENSF_IJSE_SE_EEES9_SG_JZNS1_25segmented_radix_sort_implINS0_14default_configELb1EPKdPdPKlPlN2at6native12_GLOBAL__N_18offset_tEEE10hipError_tPvRmT1_PNSt15iterator_traitsISY_E10value_typeET2_T3_PNSZ_IS14_E10value_typeET4_jRbjT5_S1A_jjP12ihipStream_tbEUljE_EEESV_SW_SX_S14_S18_S1A_T6_T7_T9_mT8_S1C_bDpT10_ENKUlT_T0_E_clISt17integral_constantIbLb0EES1P_EEDaS1K_S1L_EUlS1K_E_NS1_11comp_targetILNS1_3genE0ELNS1_11target_archE4294967295ELNS1_3gpuE0ELNS1_3repE0EEENS1_30default_config_static_selectorELNS0_4arch9wavefront6targetE0EEEvSY_
	.p2align	8
	.type	_ZN7rocprim17ROCPRIM_400000_NS6detail17trampoline_kernelINS0_13select_configILj256ELj13ELNS0_17block_load_methodE3ELS4_3ELS4_3ELNS0_20block_scan_algorithmE0ELj4294967295EEENS1_25partition_config_selectorILNS1_17partition_subalgoE3EjNS0_10empty_typeEbEEZZNS1_14partition_implILS8_3ELb0ES6_jNS0_17counting_iteratorIjlEEPS9_SE_NS0_5tupleIJPjSE_EEENSF_IJSE_SE_EEES9_SG_JZNS1_25segmented_radix_sort_implINS0_14default_configELb1EPKdPdPKlPlN2at6native12_GLOBAL__N_18offset_tEEE10hipError_tPvRmT1_PNSt15iterator_traitsISY_E10value_typeET2_T3_PNSZ_IS14_E10value_typeET4_jRbjT5_S1A_jjP12ihipStream_tbEUljE_EEESV_SW_SX_S14_S18_S1A_T6_T7_T9_mT8_S1C_bDpT10_ENKUlT_T0_E_clISt17integral_constantIbLb0EES1P_EEDaS1K_S1L_EUlS1K_E_NS1_11comp_targetILNS1_3genE0ELNS1_11target_archE4294967295ELNS1_3gpuE0ELNS1_3repE0EEENS1_30default_config_static_selectorELNS0_4arch9wavefront6targetE0EEEvSY_,@function
_ZN7rocprim17ROCPRIM_400000_NS6detail17trampoline_kernelINS0_13select_configILj256ELj13ELNS0_17block_load_methodE3ELS4_3ELS4_3ELNS0_20block_scan_algorithmE0ELj4294967295EEENS1_25partition_config_selectorILNS1_17partition_subalgoE3EjNS0_10empty_typeEbEEZZNS1_14partition_implILS8_3ELb0ES6_jNS0_17counting_iteratorIjlEEPS9_SE_NS0_5tupleIJPjSE_EEENSF_IJSE_SE_EEES9_SG_JZNS1_25segmented_radix_sort_implINS0_14default_configELb1EPKdPdPKlPlN2at6native12_GLOBAL__N_18offset_tEEE10hipError_tPvRmT1_PNSt15iterator_traitsISY_E10value_typeET2_T3_PNSZ_IS14_E10value_typeET4_jRbjT5_S1A_jjP12ihipStream_tbEUljE_EEESV_SW_SX_S14_S18_S1A_T6_T7_T9_mT8_S1C_bDpT10_ENKUlT_T0_E_clISt17integral_constantIbLb0EES1P_EEDaS1K_S1L_EUlS1K_E_NS1_11comp_targetILNS1_3genE0ELNS1_11target_archE4294967295ELNS1_3gpuE0ELNS1_3repE0EEENS1_30default_config_static_selectorELNS0_4arch9wavefront6targetE0EEEvSY_: ; @_ZN7rocprim17ROCPRIM_400000_NS6detail17trampoline_kernelINS0_13select_configILj256ELj13ELNS0_17block_load_methodE3ELS4_3ELS4_3ELNS0_20block_scan_algorithmE0ELj4294967295EEENS1_25partition_config_selectorILNS1_17partition_subalgoE3EjNS0_10empty_typeEbEEZZNS1_14partition_implILS8_3ELb0ES6_jNS0_17counting_iteratorIjlEEPS9_SE_NS0_5tupleIJPjSE_EEENSF_IJSE_SE_EEES9_SG_JZNS1_25segmented_radix_sort_implINS0_14default_configELb1EPKdPdPKlPlN2at6native12_GLOBAL__N_18offset_tEEE10hipError_tPvRmT1_PNSt15iterator_traitsISY_E10value_typeET2_T3_PNSZ_IS14_E10value_typeET4_jRbjT5_S1A_jjP12ihipStream_tbEUljE_EEESV_SW_SX_S14_S18_S1A_T6_T7_T9_mT8_S1C_bDpT10_ENKUlT_T0_E_clISt17integral_constantIbLb0EES1P_EEDaS1K_S1L_EUlS1K_E_NS1_11comp_targetILNS1_3genE0ELNS1_11target_archE4294967295ELNS1_3gpuE0ELNS1_3repE0EEENS1_30default_config_static_selectorELNS0_4arch9wavefront6targetE0EEEvSY_
; %bb.0:
	.section	.rodata,"a",@progbits
	.p2align	6, 0x0
	.amdhsa_kernel _ZN7rocprim17ROCPRIM_400000_NS6detail17trampoline_kernelINS0_13select_configILj256ELj13ELNS0_17block_load_methodE3ELS4_3ELS4_3ELNS0_20block_scan_algorithmE0ELj4294967295EEENS1_25partition_config_selectorILNS1_17partition_subalgoE3EjNS0_10empty_typeEbEEZZNS1_14partition_implILS8_3ELb0ES6_jNS0_17counting_iteratorIjlEEPS9_SE_NS0_5tupleIJPjSE_EEENSF_IJSE_SE_EEES9_SG_JZNS1_25segmented_radix_sort_implINS0_14default_configELb1EPKdPdPKlPlN2at6native12_GLOBAL__N_18offset_tEEE10hipError_tPvRmT1_PNSt15iterator_traitsISY_E10value_typeET2_T3_PNSZ_IS14_E10value_typeET4_jRbjT5_S1A_jjP12ihipStream_tbEUljE_EEESV_SW_SX_S14_S18_S1A_T6_T7_T9_mT8_S1C_bDpT10_ENKUlT_T0_E_clISt17integral_constantIbLb0EES1P_EEDaS1K_S1L_EUlS1K_E_NS1_11comp_targetILNS1_3genE0ELNS1_11target_archE4294967295ELNS1_3gpuE0ELNS1_3repE0EEENS1_30default_config_static_selectorELNS0_4arch9wavefront6targetE0EEEvSY_
		.amdhsa_group_segment_fixed_size 0
		.amdhsa_private_segment_fixed_size 0
		.amdhsa_kernarg_size 144
		.amdhsa_user_sgpr_count 6
		.amdhsa_user_sgpr_private_segment_buffer 1
		.amdhsa_user_sgpr_dispatch_ptr 0
		.amdhsa_user_sgpr_queue_ptr 0
		.amdhsa_user_sgpr_kernarg_segment_ptr 1
		.amdhsa_user_sgpr_dispatch_id 0
		.amdhsa_user_sgpr_flat_scratch_init 0
		.amdhsa_user_sgpr_private_segment_size 0
		.amdhsa_wavefront_size32 1
		.amdhsa_uses_dynamic_stack 0
		.amdhsa_system_sgpr_private_segment_wavefront_offset 0
		.amdhsa_system_sgpr_workgroup_id_x 1
		.amdhsa_system_sgpr_workgroup_id_y 0
		.amdhsa_system_sgpr_workgroup_id_z 0
		.amdhsa_system_sgpr_workgroup_info 0
		.amdhsa_system_vgpr_workitem_id 0
		.amdhsa_next_free_vgpr 1
		.amdhsa_next_free_sgpr 1
		.amdhsa_reserve_vcc 0
		.amdhsa_reserve_flat_scratch 0
		.amdhsa_float_round_mode_32 0
		.amdhsa_float_round_mode_16_64 0
		.amdhsa_float_denorm_mode_32 3
		.amdhsa_float_denorm_mode_16_64 3
		.amdhsa_dx10_clamp 1
		.amdhsa_ieee_mode 1
		.amdhsa_fp16_overflow 0
		.amdhsa_workgroup_processor_mode 1
		.amdhsa_memory_ordered 1
		.amdhsa_forward_progress 1
		.amdhsa_shared_vgpr_count 0
		.amdhsa_exception_fp_ieee_invalid_op 0
		.amdhsa_exception_fp_denorm_src 0
		.amdhsa_exception_fp_ieee_div_zero 0
		.amdhsa_exception_fp_ieee_overflow 0
		.amdhsa_exception_fp_ieee_underflow 0
		.amdhsa_exception_fp_ieee_inexact 0
		.amdhsa_exception_int_div_zero 0
	.end_amdhsa_kernel
	.section	.text._ZN7rocprim17ROCPRIM_400000_NS6detail17trampoline_kernelINS0_13select_configILj256ELj13ELNS0_17block_load_methodE3ELS4_3ELS4_3ELNS0_20block_scan_algorithmE0ELj4294967295EEENS1_25partition_config_selectorILNS1_17partition_subalgoE3EjNS0_10empty_typeEbEEZZNS1_14partition_implILS8_3ELb0ES6_jNS0_17counting_iteratorIjlEEPS9_SE_NS0_5tupleIJPjSE_EEENSF_IJSE_SE_EEES9_SG_JZNS1_25segmented_radix_sort_implINS0_14default_configELb1EPKdPdPKlPlN2at6native12_GLOBAL__N_18offset_tEEE10hipError_tPvRmT1_PNSt15iterator_traitsISY_E10value_typeET2_T3_PNSZ_IS14_E10value_typeET4_jRbjT5_S1A_jjP12ihipStream_tbEUljE_EEESV_SW_SX_S14_S18_S1A_T6_T7_T9_mT8_S1C_bDpT10_ENKUlT_T0_E_clISt17integral_constantIbLb0EES1P_EEDaS1K_S1L_EUlS1K_E_NS1_11comp_targetILNS1_3genE0ELNS1_11target_archE4294967295ELNS1_3gpuE0ELNS1_3repE0EEENS1_30default_config_static_selectorELNS0_4arch9wavefront6targetE0EEEvSY_,"axG",@progbits,_ZN7rocprim17ROCPRIM_400000_NS6detail17trampoline_kernelINS0_13select_configILj256ELj13ELNS0_17block_load_methodE3ELS4_3ELS4_3ELNS0_20block_scan_algorithmE0ELj4294967295EEENS1_25partition_config_selectorILNS1_17partition_subalgoE3EjNS0_10empty_typeEbEEZZNS1_14partition_implILS8_3ELb0ES6_jNS0_17counting_iteratorIjlEEPS9_SE_NS0_5tupleIJPjSE_EEENSF_IJSE_SE_EEES9_SG_JZNS1_25segmented_radix_sort_implINS0_14default_configELb1EPKdPdPKlPlN2at6native12_GLOBAL__N_18offset_tEEE10hipError_tPvRmT1_PNSt15iterator_traitsISY_E10value_typeET2_T3_PNSZ_IS14_E10value_typeET4_jRbjT5_S1A_jjP12ihipStream_tbEUljE_EEESV_SW_SX_S14_S18_S1A_T6_T7_T9_mT8_S1C_bDpT10_ENKUlT_T0_E_clISt17integral_constantIbLb0EES1P_EEDaS1K_S1L_EUlS1K_E_NS1_11comp_targetILNS1_3genE0ELNS1_11target_archE4294967295ELNS1_3gpuE0ELNS1_3repE0EEENS1_30default_config_static_selectorELNS0_4arch9wavefront6targetE0EEEvSY_,comdat
.Lfunc_end1078:
	.size	_ZN7rocprim17ROCPRIM_400000_NS6detail17trampoline_kernelINS0_13select_configILj256ELj13ELNS0_17block_load_methodE3ELS4_3ELS4_3ELNS0_20block_scan_algorithmE0ELj4294967295EEENS1_25partition_config_selectorILNS1_17partition_subalgoE3EjNS0_10empty_typeEbEEZZNS1_14partition_implILS8_3ELb0ES6_jNS0_17counting_iteratorIjlEEPS9_SE_NS0_5tupleIJPjSE_EEENSF_IJSE_SE_EEES9_SG_JZNS1_25segmented_radix_sort_implINS0_14default_configELb1EPKdPdPKlPlN2at6native12_GLOBAL__N_18offset_tEEE10hipError_tPvRmT1_PNSt15iterator_traitsISY_E10value_typeET2_T3_PNSZ_IS14_E10value_typeET4_jRbjT5_S1A_jjP12ihipStream_tbEUljE_EEESV_SW_SX_S14_S18_S1A_T6_T7_T9_mT8_S1C_bDpT10_ENKUlT_T0_E_clISt17integral_constantIbLb0EES1P_EEDaS1K_S1L_EUlS1K_E_NS1_11comp_targetILNS1_3genE0ELNS1_11target_archE4294967295ELNS1_3gpuE0ELNS1_3repE0EEENS1_30default_config_static_selectorELNS0_4arch9wavefront6targetE0EEEvSY_, .Lfunc_end1078-_ZN7rocprim17ROCPRIM_400000_NS6detail17trampoline_kernelINS0_13select_configILj256ELj13ELNS0_17block_load_methodE3ELS4_3ELS4_3ELNS0_20block_scan_algorithmE0ELj4294967295EEENS1_25partition_config_selectorILNS1_17partition_subalgoE3EjNS0_10empty_typeEbEEZZNS1_14partition_implILS8_3ELb0ES6_jNS0_17counting_iteratorIjlEEPS9_SE_NS0_5tupleIJPjSE_EEENSF_IJSE_SE_EEES9_SG_JZNS1_25segmented_radix_sort_implINS0_14default_configELb1EPKdPdPKlPlN2at6native12_GLOBAL__N_18offset_tEEE10hipError_tPvRmT1_PNSt15iterator_traitsISY_E10value_typeET2_T3_PNSZ_IS14_E10value_typeET4_jRbjT5_S1A_jjP12ihipStream_tbEUljE_EEESV_SW_SX_S14_S18_S1A_T6_T7_T9_mT8_S1C_bDpT10_ENKUlT_T0_E_clISt17integral_constantIbLb0EES1P_EEDaS1K_S1L_EUlS1K_E_NS1_11comp_targetILNS1_3genE0ELNS1_11target_archE4294967295ELNS1_3gpuE0ELNS1_3repE0EEENS1_30default_config_static_selectorELNS0_4arch9wavefront6targetE0EEEvSY_
                                        ; -- End function
	.set _ZN7rocprim17ROCPRIM_400000_NS6detail17trampoline_kernelINS0_13select_configILj256ELj13ELNS0_17block_load_methodE3ELS4_3ELS4_3ELNS0_20block_scan_algorithmE0ELj4294967295EEENS1_25partition_config_selectorILNS1_17partition_subalgoE3EjNS0_10empty_typeEbEEZZNS1_14partition_implILS8_3ELb0ES6_jNS0_17counting_iteratorIjlEEPS9_SE_NS0_5tupleIJPjSE_EEENSF_IJSE_SE_EEES9_SG_JZNS1_25segmented_radix_sort_implINS0_14default_configELb1EPKdPdPKlPlN2at6native12_GLOBAL__N_18offset_tEEE10hipError_tPvRmT1_PNSt15iterator_traitsISY_E10value_typeET2_T3_PNSZ_IS14_E10value_typeET4_jRbjT5_S1A_jjP12ihipStream_tbEUljE_EEESV_SW_SX_S14_S18_S1A_T6_T7_T9_mT8_S1C_bDpT10_ENKUlT_T0_E_clISt17integral_constantIbLb0EES1P_EEDaS1K_S1L_EUlS1K_E_NS1_11comp_targetILNS1_3genE0ELNS1_11target_archE4294967295ELNS1_3gpuE0ELNS1_3repE0EEENS1_30default_config_static_selectorELNS0_4arch9wavefront6targetE0EEEvSY_.num_vgpr, 0
	.set _ZN7rocprim17ROCPRIM_400000_NS6detail17trampoline_kernelINS0_13select_configILj256ELj13ELNS0_17block_load_methodE3ELS4_3ELS4_3ELNS0_20block_scan_algorithmE0ELj4294967295EEENS1_25partition_config_selectorILNS1_17partition_subalgoE3EjNS0_10empty_typeEbEEZZNS1_14partition_implILS8_3ELb0ES6_jNS0_17counting_iteratorIjlEEPS9_SE_NS0_5tupleIJPjSE_EEENSF_IJSE_SE_EEES9_SG_JZNS1_25segmented_radix_sort_implINS0_14default_configELb1EPKdPdPKlPlN2at6native12_GLOBAL__N_18offset_tEEE10hipError_tPvRmT1_PNSt15iterator_traitsISY_E10value_typeET2_T3_PNSZ_IS14_E10value_typeET4_jRbjT5_S1A_jjP12ihipStream_tbEUljE_EEESV_SW_SX_S14_S18_S1A_T6_T7_T9_mT8_S1C_bDpT10_ENKUlT_T0_E_clISt17integral_constantIbLb0EES1P_EEDaS1K_S1L_EUlS1K_E_NS1_11comp_targetILNS1_3genE0ELNS1_11target_archE4294967295ELNS1_3gpuE0ELNS1_3repE0EEENS1_30default_config_static_selectorELNS0_4arch9wavefront6targetE0EEEvSY_.num_agpr, 0
	.set _ZN7rocprim17ROCPRIM_400000_NS6detail17trampoline_kernelINS0_13select_configILj256ELj13ELNS0_17block_load_methodE3ELS4_3ELS4_3ELNS0_20block_scan_algorithmE0ELj4294967295EEENS1_25partition_config_selectorILNS1_17partition_subalgoE3EjNS0_10empty_typeEbEEZZNS1_14partition_implILS8_3ELb0ES6_jNS0_17counting_iteratorIjlEEPS9_SE_NS0_5tupleIJPjSE_EEENSF_IJSE_SE_EEES9_SG_JZNS1_25segmented_radix_sort_implINS0_14default_configELb1EPKdPdPKlPlN2at6native12_GLOBAL__N_18offset_tEEE10hipError_tPvRmT1_PNSt15iterator_traitsISY_E10value_typeET2_T3_PNSZ_IS14_E10value_typeET4_jRbjT5_S1A_jjP12ihipStream_tbEUljE_EEESV_SW_SX_S14_S18_S1A_T6_T7_T9_mT8_S1C_bDpT10_ENKUlT_T0_E_clISt17integral_constantIbLb0EES1P_EEDaS1K_S1L_EUlS1K_E_NS1_11comp_targetILNS1_3genE0ELNS1_11target_archE4294967295ELNS1_3gpuE0ELNS1_3repE0EEENS1_30default_config_static_selectorELNS0_4arch9wavefront6targetE0EEEvSY_.numbered_sgpr, 0
	.set _ZN7rocprim17ROCPRIM_400000_NS6detail17trampoline_kernelINS0_13select_configILj256ELj13ELNS0_17block_load_methodE3ELS4_3ELS4_3ELNS0_20block_scan_algorithmE0ELj4294967295EEENS1_25partition_config_selectorILNS1_17partition_subalgoE3EjNS0_10empty_typeEbEEZZNS1_14partition_implILS8_3ELb0ES6_jNS0_17counting_iteratorIjlEEPS9_SE_NS0_5tupleIJPjSE_EEENSF_IJSE_SE_EEES9_SG_JZNS1_25segmented_radix_sort_implINS0_14default_configELb1EPKdPdPKlPlN2at6native12_GLOBAL__N_18offset_tEEE10hipError_tPvRmT1_PNSt15iterator_traitsISY_E10value_typeET2_T3_PNSZ_IS14_E10value_typeET4_jRbjT5_S1A_jjP12ihipStream_tbEUljE_EEESV_SW_SX_S14_S18_S1A_T6_T7_T9_mT8_S1C_bDpT10_ENKUlT_T0_E_clISt17integral_constantIbLb0EES1P_EEDaS1K_S1L_EUlS1K_E_NS1_11comp_targetILNS1_3genE0ELNS1_11target_archE4294967295ELNS1_3gpuE0ELNS1_3repE0EEENS1_30default_config_static_selectorELNS0_4arch9wavefront6targetE0EEEvSY_.num_named_barrier, 0
	.set _ZN7rocprim17ROCPRIM_400000_NS6detail17trampoline_kernelINS0_13select_configILj256ELj13ELNS0_17block_load_methodE3ELS4_3ELS4_3ELNS0_20block_scan_algorithmE0ELj4294967295EEENS1_25partition_config_selectorILNS1_17partition_subalgoE3EjNS0_10empty_typeEbEEZZNS1_14partition_implILS8_3ELb0ES6_jNS0_17counting_iteratorIjlEEPS9_SE_NS0_5tupleIJPjSE_EEENSF_IJSE_SE_EEES9_SG_JZNS1_25segmented_radix_sort_implINS0_14default_configELb1EPKdPdPKlPlN2at6native12_GLOBAL__N_18offset_tEEE10hipError_tPvRmT1_PNSt15iterator_traitsISY_E10value_typeET2_T3_PNSZ_IS14_E10value_typeET4_jRbjT5_S1A_jjP12ihipStream_tbEUljE_EEESV_SW_SX_S14_S18_S1A_T6_T7_T9_mT8_S1C_bDpT10_ENKUlT_T0_E_clISt17integral_constantIbLb0EES1P_EEDaS1K_S1L_EUlS1K_E_NS1_11comp_targetILNS1_3genE0ELNS1_11target_archE4294967295ELNS1_3gpuE0ELNS1_3repE0EEENS1_30default_config_static_selectorELNS0_4arch9wavefront6targetE0EEEvSY_.private_seg_size, 0
	.set _ZN7rocprim17ROCPRIM_400000_NS6detail17trampoline_kernelINS0_13select_configILj256ELj13ELNS0_17block_load_methodE3ELS4_3ELS4_3ELNS0_20block_scan_algorithmE0ELj4294967295EEENS1_25partition_config_selectorILNS1_17partition_subalgoE3EjNS0_10empty_typeEbEEZZNS1_14partition_implILS8_3ELb0ES6_jNS0_17counting_iteratorIjlEEPS9_SE_NS0_5tupleIJPjSE_EEENSF_IJSE_SE_EEES9_SG_JZNS1_25segmented_radix_sort_implINS0_14default_configELb1EPKdPdPKlPlN2at6native12_GLOBAL__N_18offset_tEEE10hipError_tPvRmT1_PNSt15iterator_traitsISY_E10value_typeET2_T3_PNSZ_IS14_E10value_typeET4_jRbjT5_S1A_jjP12ihipStream_tbEUljE_EEESV_SW_SX_S14_S18_S1A_T6_T7_T9_mT8_S1C_bDpT10_ENKUlT_T0_E_clISt17integral_constantIbLb0EES1P_EEDaS1K_S1L_EUlS1K_E_NS1_11comp_targetILNS1_3genE0ELNS1_11target_archE4294967295ELNS1_3gpuE0ELNS1_3repE0EEENS1_30default_config_static_selectorELNS0_4arch9wavefront6targetE0EEEvSY_.uses_vcc, 0
	.set _ZN7rocprim17ROCPRIM_400000_NS6detail17trampoline_kernelINS0_13select_configILj256ELj13ELNS0_17block_load_methodE3ELS4_3ELS4_3ELNS0_20block_scan_algorithmE0ELj4294967295EEENS1_25partition_config_selectorILNS1_17partition_subalgoE3EjNS0_10empty_typeEbEEZZNS1_14partition_implILS8_3ELb0ES6_jNS0_17counting_iteratorIjlEEPS9_SE_NS0_5tupleIJPjSE_EEENSF_IJSE_SE_EEES9_SG_JZNS1_25segmented_radix_sort_implINS0_14default_configELb1EPKdPdPKlPlN2at6native12_GLOBAL__N_18offset_tEEE10hipError_tPvRmT1_PNSt15iterator_traitsISY_E10value_typeET2_T3_PNSZ_IS14_E10value_typeET4_jRbjT5_S1A_jjP12ihipStream_tbEUljE_EEESV_SW_SX_S14_S18_S1A_T6_T7_T9_mT8_S1C_bDpT10_ENKUlT_T0_E_clISt17integral_constantIbLb0EES1P_EEDaS1K_S1L_EUlS1K_E_NS1_11comp_targetILNS1_3genE0ELNS1_11target_archE4294967295ELNS1_3gpuE0ELNS1_3repE0EEENS1_30default_config_static_selectorELNS0_4arch9wavefront6targetE0EEEvSY_.uses_flat_scratch, 0
	.set _ZN7rocprim17ROCPRIM_400000_NS6detail17trampoline_kernelINS0_13select_configILj256ELj13ELNS0_17block_load_methodE3ELS4_3ELS4_3ELNS0_20block_scan_algorithmE0ELj4294967295EEENS1_25partition_config_selectorILNS1_17partition_subalgoE3EjNS0_10empty_typeEbEEZZNS1_14partition_implILS8_3ELb0ES6_jNS0_17counting_iteratorIjlEEPS9_SE_NS0_5tupleIJPjSE_EEENSF_IJSE_SE_EEES9_SG_JZNS1_25segmented_radix_sort_implINS0_14default_configELb1EPKdPdPKlPlN2at6native12_GLOBAL__N_18offset_tEEE10hipError_tPvRmT1_PNSt15iterator_traitsISY_E10value_typeET2_T3_PNSZ_IS14_E10value_typeET4_jRbjT5_S1A_jjP12ihipStream_tbEUljE_EEESV_SW_SX_S14_S18_S1A_T6_T7_T9_mT8_S1C_bDpT10_ENKUlT_T0_E_clISt17integral_constantIbLb0EES1P_EEDaS1K_S1L_EUlS1K_E_NS1_11comp_targetILNS1_3genE0ELNS1_11target_archE4294967295ELNS1_3gpuE0ELNS1_3repE0EEENS1_30default_config_static_selectorELNS0_4arch9wavefront6targetE0EEEvSY_.has_dyn_sized_stack, 0
	.set _ZN7rocprim17ROCPRIM_400000_NS6detail17trampoline_kernelINS0_13select_configILj256ELj13ELNS0_17block_load_methodE3ELS4_3ELS4_3ELNS0_20block_scan_algorithmE0ELj4294967295EEENS1_25partition_config_selectorILNS1_17partition_subalgoE3EjNS0_10empty_typeEbEEZZNS1_14partition_implILS8_3ELb0ES6_jNS0_17counting_iteratorIjlEEPS9_SE_NS0_5tupleIJPjSE_EEENSF_IJSE_SE_EEES9_SG_JZNS1_25segmented_radix_sort_implINS0_14default_configELb1EPKdPdPKlPlN2at6native12_GLOBAL__N_18offset_tEEE10hipError_tPvRmT1_PNSt15iterator_traitsISY_E10value_typeET2_T3_PNSZ_IS14_E10value_typeET4_jRbjT5_S1A_jjP12ihipStream_tbEUljE_EEESV_SW_SX_S14_S18_S1A_T6_T7_T9_mT8_S1C_bDpT10_ENKUlT_T0_E_clISt17integral_constantIbLb0EES1P_EEDaS1K_S1L_EUlS1K_E_NS1_11comp_targetILNS1_3genE0ELNS1_11target_archE4294967295ELNS1_3gpuE0ELNS1_3repE0EEENS1_30default_config_static_selectorELNS0_4arch9wavefront6targetE0EEEvSY_.has_recursion, 0
	.set _ZN7rocprim17ROCPRIM_400000_NS6detail17trampoline_kernelINS0_13select_configILj256ELj13ELNS0_17block_load_methodE3ELS4_3ELS4_3ELNS0_20block_scan_algorithmE0ELj4294967295EEENS1_25partition_config_selectorILNS1_17partition_subalgoE3EjNS0_10empty_typeEbEEZZNS1_14partition_implILS8_3ELb0ES6_jNS0_17counting_iteratorIjlEEPS9_SE_NS0_5tupleIJPjSE_EEENSF_IJSE_SE_EEES9_SG_JZNS1_25segmented_radix_sort_implINS0_14default_configELb1EPKdPdPKlPlN2at6native12_GLOBAL__N_18offset_tEEE10hipError_tPvRmT1_PNSt15iterator_traitsISY_E10value_typeET2_T3_PNSZ_IS14_E10value_typeET4_jRbjT5_S1A_jjP12ihipStream_tbEUljE_EEESV_SW_SX_S14_S18_S1A_T6_T7_T9_mT8_S1C_bDpT10_ENKUlT_T0_E_clISt17integral_constantIbLb0EES1P_EEDaS1K_S1L_EUlS1K_E_NS1_11comp_targetILNS1_3genE0ELNS1_11target_archE4294967295ELNS1_3gpuE0ELNS1_3repE0EEENS1_30default_config_static_selectorELNS0_4arch9wavefront6targetE0EEEvSY_.has_indirect_call, 0
	.section	.AMDGPU.csdata,"",@progbits
; Kernel info:
; codeLenInByte = 0
; TotalNumSgprs: 0
; NumVgprs: 0
; ScratchSize: 0
; MemoryBound: 0
; FloatMode: 240
; IeeeMode: 1
; LDSByteSize: 0 bytes/workgroup (compile time only)
; SGPRBlocks: 0
; VGPRBlocks: 0
; NumSGPRsForWavesPerEU: 1
; NumVGPRsForWavesPerEU: 1
; Occupancy: 16
; WaveLimiterHint : 0
; COMPUTE_PGM_RSRC2:SCRATCH_EN: 0
; COMPUTE_PGM_RSRC2:USER_SGPR: 6
; COMPUTE_PGM_RSRC2:TRAP_HANDLER: 0
; COMPUTE_PGM_RSRC2:TGID_X_EN: 1
; COMPUTE_PGM_RSRC2:TGID_Y_EN: 0
; COMPUTE_PGM_RSRC2:TGID_Z_EN: 0
; COMPUTE_PGM_RSRC2:TIDIG_COMP_CNT: 0
	.section	.text._ZN7rocprim17ROCPRIM_400000_NS6detail17trampoline_kernelINS0_13select_configILj256ELj13ELNS0_17block_load_methodE3ELS4_3ELS4_3ELNS0_20block_scan_algorithmE0ELj4294967295EEENS1_25partition_config_selectorILNS1_17partition_subalgoE3EjNS0_10empty_typeEbEEZZNS1_14partition_implILS8_3ELb0ES6_jNS0_17counting_iteratorIjlEEPS9_SE_NS0_5tupleIJPjSE_EEENSF_IJSE_SE_EEES9_SG_JZNS1_25segmented_radix_sort_implINS0_14default_configELb1EPKdPdPKlPlN2at6native12_GLOBAL__N_18offset_tEEE10hipError_tPvRmT1_PNSt15iterator_traitsISY_E10value_typeET2_T3_PNSZ_IS14_E10value_typeET4_jRbjT5_S1A_jjP12ihipStream_tbEUljE_EEESV_SW_SX_S14_S18_S1A_T6_T7_T9_mT8_S1C_bDpT10_ENKUlT_T0_E_clISt17integral_constantIbLb0EES1P_EEDaS1K_S1L_EUlS1K_E_NS1_11comp_targetILNS1_3genE5ELNS1_11target_archE942ELNS1_3gpuE9ELNS1_3repE0EEENS1_30default_config_static_selectorELNS0_4arch9wavefront6targetE0EEEvSY_,"axG",@progbits,_ZN7rocprim17ROCPRIM_400000_NS6detail17trampoline_kernelINS0_13select_configILj256ELj13ELNS0_17block_load_methodE3ELS4_3ELS4_3ELNS0_20block_scan_algorithmE0ELj4294967295EEENS1_25partition_config_selectorILNS1_17partition_subalgoE3EjNS0_10empty_typeEbEEZZNS1_14partition_implILS8_3ELb0ES6_jNS0_17counting_iteratorIjlEEPS9_SE_NS0_5tupleIJPjSE_EEENSF_IJSE_SE_EEES9_SG_JZNS1_25segmented_radix_sort_implINS0_14default_configELb1EPKdPdPKlPlN2at6native12_GLOBAL__N_18offset_tEEE10hipError_tPvRmT1_PNSt15iterator_traitsISY_E10value_typeET2_T3_PNSZ_IS14_E10value_typeET4_jRbjT5_S1A_jjP12ihipStream_tbEUljE_EEESV_SW_SX_S14_S18_S1A_T6_T7_T9_mT8_S1C_bDpT10_ENKUlT_T0_E_clISt17integral_constantIbLb0EES1P_EEDaS1K_S1L_EUlS1K_E_NS1_11comp_targetILNS1_3genE5ELNS1_11target_archE942ELNS1_3gpuE9ELNS1_3repE0EEENS1_30default_config_static_selectorELNS0_4arch9wavefront6targetE0EEEvSY_,comdat
	.globl	_ZN7rocprim17ROCPRIM_400000_NS6detail17trampoline_kernelINS0_13select_configILj256ELj13ELNS0_17block_load_methodE3ELS4_3ELS4_3ELNS0_20block_scan_algorithmE0ELj4294967295EEENS1_25partition_config_selectorILNS1_17partition_subalgoE3EjNS0_10empty_typeEbEEZZNS1_14partition_implILS8_3ELb0ES6_jNS0_17counting_iteratorIjlEEPS9_SE_NS0_5tupleIJPjSE_EEENSF_IJSE_SE_EEES9_SG_JZNS1_25segmented_radix_sort_implINS0_14default_configELb1EPKdPdPKlPlN2at6native12_GLOBAL__N_18offset_tEEE10hipError_tPvRmT1_PNSt15iterator_traitsISY_E10value_typeET2_T3_PNSZ_IS14_E10value_typeET4_jRbjT5_S1A_jjP12ihipStream_tbEUljE_EEESV_SW_SX_S14_S18_S1A_T6_T7_T9_mT8_S1C_bDpT10_ENKUlT_T0_E_clISt17integral_constantIbLb0EES1P_EEDaS1K_S1L_EUlS1K_E_NS1_11comp_targetILNS1_3genE5ELNS1_11target_archE942ELNS1_3gpuE9ELNS1_3repE0EEENS1_30default_config_static_selectorELNS0_4arch9wavefront6targetE0EEEvSY_ ; -- Begin function _ZN7rocprim17ROCPRIM_400000_NS6detail17trampoline_kernelINS0_13select_configILj256ELj13ELNS0_17block_load_methodE3ELS4_3ELS4_3ELNS0_20block_scan_algorithmE0ELj4294967295EEENS1_25partition_config_selectorILNS1_17partition_subalgoE3EjNS0_10empty_typeEbEEZZNS1_14partition_implILS8_3ELb0ES6_jNS0_17counting_iteratorIjlEEPS9_SE_NS0_5tupleIJPjSE_EEENSF_IJSE_SE_EEES9_SG_JZNS1_25segmented_radix_sort_implINS0_14default_configELb1EPKdPdPKlPlN2at6native12_GLOBAL__N_18offset_tEEE10hipError_tPvRmT1_PNSt15iterator_traitsISY_E10value_typeET2_T3_PNSZ_IS14_E10value_typeET4_jRbjT5_S1A_jjP12ihipStream_tbEUljE_EEESV_SW_SX_S14_S18_S1A_T6_T7_T9_mT8_S1C_bDpT10_ENKUlT_T0_E_clISt17integral_constantIbLb0EES1P_EEDaS1K_S1L_EUlS1K_E_NS1_11comp_targetILNS1_3genE5ELNS1_11target_archE942ELNS1_3gpuE9ELNS1_3repE0EEENS1_30default_config_static_selectorELNS0_4arch9wavefront6targetE0EEEvSY_
	.p2align	8
	.type	_ZN7rocprim17ROCPRIM_400000_NS6detail17trampoline_kernelINS0_13select_configILj256ELj13ELNS0_17block_load_methodE3ELS4_3ELS4_3ELNS0_20block_scan_algorithmE0ELj4294967295EEENS1_25partition_config_selectorILNS1_17partition_subalgoE3EjNS0_10empty_typeEbEEZZNS1_14partition_implILS8_3ELb0ES6_jNS0_17counting_iteratorIjlEEPS9_SE_NS0_5tupleIJPjSE_EEENSF_IJSE_SE_EEES9_SG_JZNS1_25segmented_radix_sort_implINS0_14default_configELb1EPKdPdPKlPlN2at6native12_GLOBAL__N_18offset_tEEE10hipError_tPvRmT1_PNSt15iterator_traitsISY_E10value_typeET2_T3_PNSZ_IS14_E10value_typeET4_jRbjT5_S1A_jjP12ihipStream_tbEUljE_EEESV_SW_SX_S14_S18_S1A_T6_T7_T9_mT8_S1C_bDpT10_ENKUlT_T0_E_clISt17integral_constantIbLb0EES1P_EEDaS1K_S1L_EUlS1K_E_NS1_11comp_targetILNS1_3genE5ELNS1_11target_archE942ELNS1_3gpuE9ELNS1_3repE0EEENS1_30default_config_static_selectorELNS0_4arch9wavefront6targetE0EEEvSY_,@function
_ZN7rocprim17ROCPRIM_400000_NS6detail17trampoline_kernelINS0_13select_configILj256ELj13ELNS0_17block_load_methodE3ELS4_3ELS4_3ELNS0_20block_scan_algorithmE0ELj4294967295EEENS1_25partition_config_selectorILNS1_17partition_subalgoE3EjNS0_10empty_typeEbEEZZNS1_14partition_implILS8_3ELb0ES6_jNS0_17counting_iteratorIjlEEPS9_SE_NS0_5tupleIJPjSE_EEENSF_IJSE_SE_EEES9_SG_JZNS1_25segmented_radix_sort_implINS0_14default_configELb1EPKdPdPKlPlN2at6native12_GLOBAL__N_18offset_tEEE10hipError_tPvRmT1_PNSt15iterator_traitsISY_E10value_typeET2_T3_PNSZ_IS14_E10value_typeET4_jRbjT5_S1A_jjP12ihipStream_tbEUljE_EEESV_SW_SX_S14_S18_S1A_T6_T7_T9_mT8_S1C_bDpT10_ENKUlT_T0_E_clISt17integral_constantIbLb0EES1P_EEDaS1K_S1L_EUlS1K_E_NS1_11comp_targetILNS1_3genE5ELNS1_11target_archE942ELNS1_3gpuE9ELNS1_3repE0EEENS1_30default_config_static_selectorELNS0_4arch9wavefront6targetE0EEEvSY_: ; @_ZN7rocprim17ROCPRIM_400000_NS6detail17trampoline_kernelINS0_13select_configILj256ELj13ELNS0_17block_load_methodE3ELS4_3ELS4_3ELNS0_20block_scan_algorithmE0ELj4294967295EEENS1_25partition_config_selectorILNS1_17partition_subalgoE3EjNS0_10empty_typeEbEEZZNS1_14partition_implILS8_3ELb0ES6_jNS0_17counting_iteratorIjlEEPS9_SE_NS0_5tupleIJPjSE_EEENSF_IJSE_SE_EEES9_SG_JZNS1_25segmented_radix_sort_implINS0_14default_configELb1EPKdPdPKlPlN2at6native12_GLOBAL__N_18offset_tEEE10hipError_tPvRmT1_PNSt15iterator_traitsISY_E10value_typeET2_T3_PNSZ_IS14_E10value_typeET4_jRbjT5_S1A_jjP12ihipStream_tbEUljE_EEESV_SW_SX_S14_S18_S1A_T6_T7_T9_mT8_S1C_bDpT10_ENKUlT_T0_E_clISt17integral_constantIbLb0EES1P_EEDaS1K_S1L_EUlS1K_E_NS1_11comp_targetILNS1_3genE5ELNS1_11target_archE942ELNS1_3gpuE9ELNS1_3repE0EEENS1_30default_config_static_selectorELNS0_4arch9wavefront6targetE0EEEvSY_
; %bb.0:
	.section	.rodata,"a",@progbits
	.p2align	6, 0x0
	.amdhsa_kernel _ZN7rocprim17ROCPRIM_400000_NS6detail17trampoline_kernelINS0_13select_configILj256ELj13ELNS0_17block_load_methodE3ELS4_3ELS4_3ELNS0_20block_scan_algorithmE0ELj4294967295EEENS1_25partition_config_selectorILNS1_17partition_subalgoE3EjNS0_10empty_typeEbEEZZNS1_14partition_implILS8_3ELb0ES6_jNS0_17counting_iteratorIjlEEPS9_SE_NS0_5tupleIJPjSE_EEENSF_IJSE_SE_EEES9_SG_JZNS1_25segmented_radix_sort_implINS0_14default_configELb1EPKdPdPKlPlN2at6native12_GLOBAL__N_18offset_tEEE10hipError_tPvRmT1_PNSt15iterator_traitsISY_E10value_typeET2_T3_PNSZ_IS14_E10value_typeET4_jRbjT5_S1A_jjP12ihipStream_tbEUljE_EEESV_SW_SX_S14_S18_S1A_T6_T7_T9_mT8_S1C_bDpT10_ENKUlT_T0_E_clISt17integral_constantIbLb0EES1P_EEDaS1K_S1L_EUlS1K_E_NS1_11comp_targetILNS1_3genE5ELNS1_11target_archE942ELNS1_3gpuE9ELNS1_3repE0EEENS1_30default_config_static_selectorELNS0_4arch9wavefront6targetE0EEEvSY_
		.amdhsa_group_segment_fixed_size 0
		.amdhsa_private_segment_fixed_size 0
		.amdhsa_kernarg_size 144
		.amdhsa_user_sgpr_count 6
		.amdhsa_user_sgpr_private_segment_buffer 1
		.amdhsa_user_sgpr_dispatch_ptr 0
		.amdhsa_user_sgpr_queue_ptr 0
		.amdhsa_user_sgpr_kernarg_segment_ptr 1
		.amdhsa_user_sgpr_dispatch_id 0
		.amdhsa_user_sgpr_flat_scratch_init 0
		.amdhsa_user_sgpr_private_segment_size 0
		.amdhsa_wavefront_size32 1
		.amdhsa_uses_dynamic_stack 0
		.amdhsa_system_sgpr_private_segment_wavefront_offset 0
		.amdhsa_system_sgpr_workgroup_id_x 1
		.amdhsa_system_sgpr_workgroup_id_y 0
		.amdhsa_system_sgpr_workgroup_id_z 0
		.amdhsa_system_sgpr_workgroup_info 0
		.amdhsa_system_vgpr_workitem_id 0
		.amdhsa_next_free_vgpr 1
		.amdhsa_next_free_sgpr 1
		.amdhsa_reserve_vcc 0
		.amdhsa_reserve_flat_scratch 0
		.amdhsa_float_round_mode_32 0
		.amdhsa_float_round_mode_16_64 0
		.amdhsa_float_denorm_mode_32 3
		.amdhsa_float_denorm_mode_16_64 3
		.amdhsa_dx10_clamp 1
		.amdhsa_ieee_mode 1
		.amdhsa_fp16_overflow 0
		.amdhsa_workgroup_processor_mode 1
		.amdhsa_memory_ordered 1
		.amdhsa_forward_progress 1
		.amdhsa_shared_vgpr_count 0
		.amdhsa_exception_fp_ieee_invalid_op 0
		.amdhsa_exception_fp_denorm_src 0
		.amdhsa_exception_fp_ieee_div_zero 0
		.amdhsa_exception_fp_ieee_overflow 0
		.amdhsa_exception_fp_ieee_underflow 0
		.amdhsa_exception_fp_ieee_inexact 0
		.amdhsa_exception_int_div_zero 0
	.end_amdhsa_kernel
	.section	.text._ZN7rocprim17ROCPRIM_400000_NS6detail17trampoline_kernelINS0_13select_configILj256ELj13ELNS0_17block_load_methodE3ELS4_3ELS4_3ELNS0_20block_scan_algorithmE0ELj4294967295EEENS1_25partition_config_selectorILNS1_17partition_subalgoE3EjNS0_10empty_typeEbEEZZNS1_14partition_implILS8_3ELb0ES6_jNS0_17counting_iteratorIjlEEPS9_SE_NS0_5tupleIJPjSE_EEENSF_IJSE_SE_EEES9_SG_JZNS1_25segmented_radix_sort_implINS0_14default_configELb1EPKdPdPKlPlN2at6native12_GLOBAL__N_18offset_tEEE10hipError_tPvRmT1_PNSt15iterator_traitsISY_E10value_typeET2_T3_PNSZ_IS14_E10value_typeET4_jRbjT5_S1A_jjP12ihipStream_tbEUljE_EEESV_SW_SX_S14_S18_S1A_T6_T7_T9_mT8_S1C_bDpT10_ENKUlT_T0_E_clISt17integral_constantIbLb0EES1P_EEDaS1K_S1L_EUlS1K_E_NS1_11comp_targetILNS1_3genE5ELNS1_11target_archE942ELNS1_3gpuE9ELNS1_3repE0EEENS1_30default_config_static_selectorELNS0_4arch9wavefront6targetE0EEEvSY_,"axG",@progbits,_ZN7rocprim17ROCPRIM_400000_NS6detail17trampoline_kernelINS0_13select_configILj256ELj13ELNS0_17block_load_methodE3ELS4_3ELS4_3ELNS0_20block_scan_algorithmE0ELj4294967295EEENS1_25partition_config_selectorILNS1_17partition_subalgoE3EjNS0_10empty_typeEbEEZZNS1_14partition_implILS8_3ELb0ES6_jNS0_17counting_iteratorIjlEEPS9_SE_NS0_5tupleIJPjSE_EEENSF_IJSE_SE_EEES9_SG_JZNS1_25segmented_radix_sort_implINS0_14default_configELb1EPKdPdPKlPlN2at6native12_GLOBAL__N_18offset_tEEE10hipError_tPvRmT1_PNSt15iterator_traitsISY_E10value_typeET2_T3_PNSZ_IS14_E10value_typeET4_jRbjT5_S1A_jjP12ihipStream_tbEUljE_EEESV_SW_SX_S14_S18_S1A_T6_T7_T9_mT8_S1C_bDpT10_ENKUlT_T0_E_clISt17integral_constantIbLb0EES1P_EEDaS1K_S1L_EUlS1K_E_NS1_11comp_targetILNS1_3genE5ELNS1_11target_archE942ELNS1_3gpuE9ELNS1_3repE0EEENS1_30default_config_static_selectorELNS0_4arch9wavefront6targetE0EEEvSY_,comdat
.Lfunc_end1079:
	.size	_ZN7rocprim17ROCPRIM_400000_NS6detail17trampoline_kernelINS0_13select_configILj256ELj13ELNS0_17block_load_methodE3ELS4_3ELS4_3ELNS0_20block_scan_algorithmE0ELj4294967295EEENS1_25partition_config_selectorILNS1_17partition_subalgoE3EjNS0_10empty_typeEbEEZZNS1_14partition_implILS8_3ELb0ES6_jNS0_17counting_iteratorIjlEEPS9_SE_NS0_5tupleIJPjSE_EEENSF_IJSE_SE_EEES9_SG_JZNS1_25segmented_radix_sort_implINS0_14default_configELb1EPKdPdPKlPlN2at6native12_GLOBAL__N_18offset_tEEE10hipError_tPvRmT1_PNSt15iterator_traitsISY_E10value_typeET2_T3_PNSZ_IS14_E10value_typeET4_jRbjT5_S1A_jjP12ihipStream_tbEUljE_EEESV_SW_SX_S14_S18_S1A_T6_T7_T9_mT8_S1C_bDpT10_ENKUlT_T0_E_clISt17integral_constantIbLb0EES1P_EEDaS1K_S1L_EUlS1K_E_NS1_11comp_targetILNS1_3genE5ELNS1_11target_archE942ELNS1_3gpuE9ELNS1_3repE0EEENS1_30default_config_static_selectorELNS0_4arch9wavefront6targetE0EEEvSY_, .Lfunc_end1079-_ZN7rocprim17ROCPRIM_400000_NS6detail17trampoline_kernelINS0_13select_configILj256ELj13ELNS0_17block_load_methodE3ELS4_3ELS4_3ELNS0_20block_scan_algorithmE0ELj4294967295EEENS1_25partition_config_selectorILNS1_17partition_subalgoE3EjNS0_10empty_typeEbEEZZNS1_14partition_implILS8_3ELb0ES6_jNS0_17counting_iteratorIjlEEPS9_SE_NS0_5tupleIJPjSE_EEENSF_IJSE_SE_EEES9_SG_JZNS1_25segmented_radix_sort_implINS0_14default_configELb1EPKdPdPKlPlN2at6native12_GLOBAL__N_18offset_tEEE10hipError_tPvRmT1_PNSt15iterator_traitsISY_E10value_typeET2_T3_PNSZ_IS14_E10value_typeET4_jRbjT5_S1A_jjP12ihipStream_tbEUljE_EEESV_SW_SX_S14_S18_S1A_T6_T7_T9_mT8_S1C_bDpT10_ENKUlT_T0_E_clISt17integral_constantIbLb0EES1P_EEDaS1K_S1L_EUlS1K_E_NS1_11comp_targetILNS1_3genE5ELNS1_11target_archE942ELNS1_3gpuE9ELNS1_3repE0EEENS1_30default_config_static_selectorELNS0_4arch9wavefront6targetE0EEEvSY_
                                        ; -- End function
	.set _ZN7rocprim17ROCPRIM_400000_NS6detail17trampoline_kernelINS0_13select_configILj256ELj13ELNS0_17block_load_methodE3ELS4_3ELS4_3ELNS0_20block_scan_algorithmE0ELj4294967295EEENS1_25partition_config_selectorILNS1_17partition_subalgoE3EjNS0_10empty_typeEbEEZZNS1_14partition_implILS8_3ELb0ES6_jNS0_17counting_iteratorIjlEEPS9_SE_NS0_5tupleIJPjSE_EEENSF_IJSE_SE_EEES9_SG_JZNS1_25segmented_radix_sort_implINS0_14default_configELb1EPKdPdPKlPlN2at6native12_GLOBAL__N_18offset_tEEE10hipError_tPvRmT1_PNSt15iterator_traitsISY_E10value_typeET2_T3_PNSZ_IS14_E10value_typeET4_jRbjT5_S1A_jjP12ihipStream_tbEUljE_EEESV_SW_SX_S14_S18_S1A_T6_T7_T9_mT8_S1C_bDpT10_ENKUlT_T0_E_clISt17integral_constantIbLb0EES1P_EEDaS1K_S1L_EUlS1K_E_NS1_11comp_targetILNS1_3genE5ELNS1_11target_archE942ELNS1_3gpuE9ELNS1_3repE0EEENS1_30default_config_static_selectorELNS0_4arch9wavefront6targetE0EEEvSY_.num_vgpr, 0
	.set _ZN7rocprim17ROCPRIM_400000_NS6detail17trampoline_kernelINS0_13select_configILj256ELj13ELNS0_17block_load_methodE3ELS4_3ELS4_3ELNS0_20block_scan_algorithmE0ELj4294967295EEENS1_25partition_config_selectorILNS1_17partition_subalgoE3EjNS0_10empty_typeEbEEZZNS1_14partition_implILS8_3ELb0ES6_jNS0_17counting_iteratorIjlEEPS9_SE_NS0_5tupleIJPjSE_EEENSF_IJSE_SE_EEES9_SG_JZNS1_25segmented_radix_sort_implINS0_14default_configELb1EPKdPdPKlPlN2at6native12_GLOBAL__N_18offset_tEEE10hipError_tPvRmT1_PNSt15iterator_traitsISY_E10value_typeET2_T3_PNSZ_IS14_E10value_typeET4_jRbjT5_S1A_jjP12ihipStream_tbEUljE_EEESV_SW_SX_S14_S18_S1A_T6_T7_T9_mT8_S1C_bDpT10_ENKUlT_T0_E_clISt17integral_constantIbLb0EES1P_EEDaS1K_S1L_EUlS1K_E_NS1_11comp_targetILNS1_3genE5ELNS1_11target_archE942ELNS1_3gpuE9ELNS1_3repE0EEENS1_30default_config_static_selectorELNS0_4arch9wavefront6targetE0EEEvSY_.num_agpr, 0
	.set _ZN7rocprim17ROCPRIM_400000_NS6detail17trampoline_kernelINS0_13select_configILj256ELj13ELNS0_17block_load_methodE3ELS4_3ELS4_3ELNS0_20block_scan_algorithmE0ELj4294967295EEENS1_25partition_config_selectorILNS1_17partition_subalgoE3EjNS0_10empty_typeEbEEZZNS1_14partition_implILS8_3ELb0ES6_jNS0_17counting_iteratorIjlEEPS9_SE_NS0_5tupleIJPjSE_EEENSF_IJSE_SE_EEES9_SG_JZNS1_25segmented_radix_sort_implINS0_14default_configELb1EPKdPdPKlPlN2at6native12_GLOBAL__N_18offset_tEEE10hipError_tPvRmT1_PNSt15iterator_traitsISY_E10value_typeET2_T3_PNSZ_IS14_E10value_typeET4_jRbjT5_S1A_jjP12ihipStream_tbEUljE_EEESV_SW_SX_S14_S18_S1A_T6_T7_T9_mT8_S1C_bDpT10_ENKUlT_T0_E_clISt17integral_constantIbLb0EES1P_EEDaS1K_S1L_EUlS1K_E_NS1_11comp_targetILNS1_3genE5ELNS1_11target_archE942ELNS1_3gpuE9ELNS1_3repE0EEENS1_30default_config_static_selectorELNS0_4arch9wavefront6targetE0EEEvSY_.numbered_sgpr, 0
	.set _ZN7rocprim17ROCPRIM_400000_NS6detail17trampoline_kernelINS0_13select_configILj256ELj13ELNS0_17block_load_methodE3ELS4_3ELS4_3ELNS0_20block_scan_algorithmE0ELj4294967295EEENS1_25partition_config_selectorILNS1_17partition_subalgoE3EjNS0_10empty_typeEbEEZZNS1_14partition_implILS8_3ELb0ES6_jNS0_17counting_iteratorIjlEEPS9_SE_NS0_5tupleIJPjSE_EEENSF_IJSE_SE_EEES9_SG_JZNS1_25segmented_radix_sort_implINS0_14default_configELb1EPKdPdPKlPlN2at6native12_GLOBAL__N_18offset_tEEE10hipError_tPvRmT1_PNSt15iterator_traitsISY_E10value_typeET2_T3_PNSZ_IS14_E10value_typeET4_jRbjT5_S1A_jjP12ihipStream_tbEUljE_EEESV_SW_SX_S14_S18_S1A_T6_T7_T9_mT8_S1C_bDpT10_ENKUlT_T0_E_clISt17integral_constantIbLb0EES1P_EEDaS1K_S1L_EUlS1K_E_NS1_11comp_targetILNS1_3genE5ELNS1_11target_archE942ELNS1_3gpuE9ELNS1_3repE0EEENS1_30default_config_static_selectorELNS0_4arch9wavefront6targetE0EEEvSY_.num_named_barrier, 0
	.set _ZN7rocprim17ROCPRIM_400000_NS6detail17trampoline_kernelINS0_13select_configILj256ELj13ELNS0_17block_load_methodE3ELS4_3ELS4_3ELNS0_20block_scan_algorithmE0ELj4294967295EEENS1_25partition_config_selectorILNS1_17partition_subalgoE3EjNS0_10empty_typeEbEEZZNS1_14partition_implILS8_3ELb0ES6_jNS0_17counting_iteratorIjlEEPS9_SE_NS0_5tupleIJPjSE_EEENSF_IJSE_SE_EEES9_SG_JZNS1_25segmented_radix_sort_implINS0_14default_configELb1EPKdPdPKlPlN2at6native12_GLOBAL__N_18offset_tEEE10hipError_tPvRmT1_PNSt15iterator_traitsISY_E10value_typeET2_T3_PNSZ_IS14_E10value_typeET4_jRbjT5_S1A_jjP12ihipStream_tbEUljE_EEESV_SW_SX_S14_S18_S1A_T6_T7_T9_mT8_S1C_bDpT10_ENKUlT_T0_E_clISt17integral_constantIbLb0EES1P_EEDaS1K_S1L_EUlS1K_E_NS1_11comp_targetILNS1_3genE5ELNS1_11target_archE942ELNS1_3gpuE9ELNS1_3repE0EEENS1_30default_config_static_selectorELNS0_4arch9wavefront6targetE0EEEvSY_.private_seg_size, 0
	.set _ZN7rocprim17ROCPRIM_400000_NS6detail17trampoline_kernelINS0_13select_configILj256ELj13ELNS0_17block_load_methodE3ELS4_3ELS4_3ELNS0_20block_scan_algorithmE0ELj4294967295EEENS1_25partition_config_selectorILNS1_17partition_subalgoE3EjNS0_10empty_typeEbEEZZNS1_14partition_implILS8_3ELb0ES6_jNS0_17counting_iteratorIjlEEPS9_SE_NS0_5tupleIJPjSE_EEENSF_IJSE_SE_EEES9_SG_JZNS1_25segmented_radix_sort_implINS0_14default_configELb1EPKdPdPKlPlN2at6native12_GLOBAL__N_18offset_tEEE10hipError_tPvRmT1_PNSt15iterator_traitsISY_E10value_typeET2_T3_PNSZ_IS14_E10value_typeET4_jRbjT5_S1A_jjP12ihipStream_tbEUljE_EEESV_SW_SX_S14_S18_S1A_T6_T7_T9_mT8_S1C_bDpT10_ENKUlT_T0_E_clISt17integral_constantIbLb0EES1P_EEDaS1K_S1L_EUlS1K_E_NS1_11comp_targetILNS1_3genE5ELNS1_11target_archE942ELNS1_3gpuE9ELNS1_3repE0EEENS1_30default_config_static_selectorELNS0_4arch9wavefront6targetE0EEEvSY_.uses_vcc, 0
	.set _ZN7rocprim17ROCPRIM_400000_NS6detail17trampoline_kernelINS0_13select_configILj256ELj13ELNS0_17block_load_methodE3ELS4_3ELS4_3ELNS0_20block_scan_algorithmE0ELj4294967295EEENS1_25partition_config_selectorILNS1_17partition_subalgoE3EjNS0_10empty_typeEbEEZZNS1_14partition_implILS8_3ELb0ES6_jNS0_17counting_iteratorIjlEEPS9_SE_NS0_5tupleIJPjSE_EEENSF_IJSE_SE_EEES9_SG_JZNS1_25segmented_radix_sort_implINS0_14default_configELb1EPKdPdPKlPlN2at6native12_GLOBAL__N_18offset_tEEE10hipError_tPvRmT1_PNSt15iterator_traitsISY_E10value_typeET2_T3_PNSZ_IS14_E10value_typeET4_jRbjT5_S1A_jjP12ihipStream_tbEUljE_EEESV_SW_SX_S14_S18_S1A_T6_T7_T9_mT8_S1C_bDpT10_ENKUlT_T0_E_clISt17integral_constantIbLb0EES1P_EEDaS1K_S1L_EUlS1K_E_NS1_11comp_targetILNS1_3genE5ELNS1_11target_archE942ELNS1_3gpuE9ELNS1_3repE0EEENS1_30default_config_static_selectorELNS0_4arch9wavefront6targetE0EEEvSY_.uses_flat_scratch, 0
	.set _ZN7rocprim17ROCPRIM_400000_NS6detail17trampoline_kernelINS0_13select_configILj256ELj13ELNS0_17block_load_methodE3ELS4_3ELS4_3ELNS0_20block_scan_algorithmE0ELj4294967295EEENS1_25partition_config_selectorILNS1_17partition_subalgoE3EjNS0_10empty_typeEbEEZZNS1_14partition_implILS8_3ELb0ES6_jNS0_17counting_iteratorIjlEEPS9_SE_NS0_5tupleIJPjSE_EEENSF_IJSE_SE_EEES9_SG_JZNS1_25segmented_radix_sort_implINS0_14default_configELb1EPKdPdPKlPlN2at6native12_GLOBAL__N_18offset_tEEE10hipError_tPvRmT1_PNSt15iterator_traitsISY_E10value_typeET2_T3_PNSZ_IS14_E10value_typeET4_jRbjT5_S1A_jjP12ihipStream_tbEUljE_EEESV_SW_SX_S14_S18_S1A_T6_T7_T9_mT8_S1C_bDpT10_ENKUlT_T0_E_clISt17integral_constantIbLb0EES1P_EEDaS1K_S1L_EUlS1K_E_NS1_11comp_targetILNS1_3genE5ELNS1_11target_archE942ELNS1_3gpuE9ELNS1_3repE0EEENS1_30default_config_static_selectorELNS0_4arch9wavefront6targetE0EEEvSY_.has_dyn_sized_stack, 0
	.set _ZN7rocprim17ROCPRIM_400000_NS6detail17trampoline_kernelINS0_13select_configILj256ELj13ELNS0_17block_load_methodE3ELS4_3ELS4_3ELNS0_20block_scan_algorithmE0ELj4294967295EEENS1_25partition_config_selectorILNS1_17partition_subalgoE3EjNS0_10empty_typeEbEEZZNS1_14partition_implILS8_3ELb0ES6_jNS0_17counting_iteratorIjlEEPS9_SE_NS0_5tupleIJPjSE_EEENSF_IJSE_SE_EEES9_SG_JZNS1_25segmented_radix_sort_implINS0_14default_configELb1EPKdPdPKlPlN2at6native12_GLOBAL__N_18offset_tEEE10hipError_tPvRmT1_PNSt15iterator_traitsISY_E10value_typeET2_T3_PNSZ_IS14_E10value_typeET4_jRbjT5_S1A_jjP12ihipStream_tbEUljE_EEESV_SW_SX_S14_S18_S1A_T6_T7_T9_mT8_S1C_bDpT10_ENKUlT_T0_E_clISt17integral_constantIbLb0EES1P_EEDaS1K_S1L_EUlS1K_E_NS1_11comp_targetILNS1_3genE5ELNS1_11target_archE942ELNS1_3gpuE9ELNS1_3repE0EEENS1_30default_config_static_selectorELNS0_4arch9wavefront6targetE0EEEvSY_.has_recursion, 0
	.set _ZN7rocprim17ROCPRIM_400000_NS6detail17trampoline_kernelINS0_13select_configILj256ELj13ELNS0_17block_load_methodE3ELS4_3ELS4_3ELNS0_20block_scan_algorithmE0ELj4294967295EEENS1_25partition_config_selectorILNS1_17partition_subalgoE3EjNS0_10empty_typeEbEEZZNS1_14partition_implILS8_3ELb0ES6_jNS0_17counting_iteratorIjlEEPS9_SE_NS0_5tupleIJPjSE_EEENSF_IJSE_SE_EEES9_SG_JZNS1_25segmented_radix_sort_implINS0_14default_configELb1EPKdPdPKlPlN2at6native12_GLOBAL__N_18offset_tEEE10hipError_tPvRmT1_PNSt15iterator_traitsISY_E10value_typeET2_T3_PNSZ_IS14_E10value_typeET4_jRbjT5_S1A_jjP12ihipStream_tbEUljE_EEESV_SW_SX_S14_S18_S1A_T6_T7_T9_mT8_S1C_bDpT10_ENKUlT_T0_E_clISt17integral_constantIbLb0EES1P_EEDaS1K_S1L_EUlS1K_E_NS1_11comp_targetILNS1_3genE5ELNS1_11target_archE942ELNS1_3gpuE9ELNS1_3repE0EEENS1_30default_config_static_selectorELNS0_4arch9wavefront6targetE0EEEvSY_.has_indirect_call, 0
	.section	.AMDGPU.csdata,"",@progbits
; Kernel info:
; codeLenInByte = 0
; TotalNumSgprs: 0
; NumVgprs: 0
; ScratchSize: 0
; MemoryBound: 0
; FloatMode: 240
; IeeeMode: 1
; LDSByteSize: 0 bytes/workgroup (compile time only)
; SGPRBlocks: 0
; VGPRBlocks: 0
; NumSGPRsForWavesPerEU: 1
; NumVGPRsForWavesPerEU: 1
; Occupancy: 16
; WaveLimiterHint : 0
; COMPUTE_PGM_RSRC2:SCRATCH_EN: 0
; COMPUTE_PGM_RSRC2:USER_SGPR: 6
; COMPUTE_PGM_RSRC2:TRAP_HANDLER: 0
; COMPUTE_PGM_RSRC2:TGID_X_EN: 1
; COMPUTE_PGM_RSRC2:TGID_Y_EN: 0
; COMPUTE_PGM_RSRC2:TGID_Z_EN: 0
; COMPUTE_PGM_RSRC2:TIDIG_COMP_CNT: 0
	.section	.text._ZN7rocprim17ROCPRIM_400000_NS6detail17trampoline_kernelINS0_13select_configILj256ELj13ELNS0_17block_load_methodE3ELS4_3ELS4_3ELNS0_20block_scan_algorithmE0ELj4294967295EEENS1_25partition_config_selectorILNS1_17partition_subalgoE3EjNS0_10empty_typeEbEEZZNS1_14partition_implILS8_3ELb0ES6_jNS0_17counting_iteratorIjlEEPS9_SE_NS0_5tupleIJPjSE_EEENSF_IJSE_SE_EEES9_SG_JZNS1_25segmented_radix_sort_implINS0_14default_configELb1EPKdPdPKlPlN2at6native12_GLOBAL__N_18offset_tEEE10hipError_tPvRmT1_PNSt15iterator_traitsISY_E10value_typeET2_T3_PNSZ_IS14_E10value_typeET4_jRbjT5_S1A_jjP12ihipStream_tbEUljE_EEESV_SW_SX_S14_S18_S1A_T6_T7_T9_mT8_S1C_bDpT10_ENKUlT_T0_E_clISt17integral_constantIbLb0EES1P_EEDaS1K_S1L_EUlS1K_E_NS1_11comp_targetILNS1_3genE4ELNS1_11target_archE910ELNS1_3gpuE8ELNS1_3repE0EEENS1_30default_config_static_selectorELNS0_4arch9wavefront6targetE0EEEvSY_,"axG",@progbits,_ZN7rocprim17ROCPRIM_400000_NS6detail17trampoline_kernelINS0_13select_configILj256ELj13ELNS0_17block_load_methodE3ELS4_3ELS4_3ELNS0_20block_scan_algorithmE0ELj4294967295EEENS1_25partition_config_selectorILNS1_17partition_subalgoE3EjNS0_10empty_typeEbEEZZNS1_14partition_implILS8_3ELb0ES6_jNS0_17counting_iteratorIjlEEPS9_SE_NS0_5tupleIJPjSE_EEENSF_IJSE_SE_EEES9_SG_JZNS1_25segmented_radix_sort_implINS0_14default_configELb1EPKdPdPKlPlN2at6native12_GLOBAL__N_18offset_tEEE10hipError_tPvRmT1_PNSt15iterator_traitsISY_E10value_typeET2_T3_PNSZ_IS14_E10value_typeET4_jRbjT5_S1A_jjP12ihipStream_tbEUljE_EEESV_SW_SX_S14_S18_S1A_T6_T7_T9_mT8_S1C_bDpT10_ENKUlT_T0_E_clISt17integral_constantIbLb0EES1P_EEDaS1K_S1L_EUlS1K_E_NS1_11comp_targetILNS1_3genE4ELNS1_11target_archE910ELNS1_3gpuE8ELNS1_3repE0EEENS1_30default_config_static_selectorELNS0_4arch9wavefront6targetE0EEEvSY_,comdat
	.globl	_ZN7rocprim17ROCPRIM_400000_NS6detail17trampoline_kernelINS0_13select_configILj256ELj13ELNS0_17block_load_methodE3ELS4_3ELS4_3ELNS0_20block_scan_algorithmE0ELj4294967295EEENS1_25partition_config_selectorILNS1_17partition_subalgoE3EjNS0_10empty_typeEbEEZZNS1_14partition_implILS8_3ELb0ES6_jNS0_17counting_iteratorIjlEEPS9_SE_NS0_5tupleIJPjSE_EEENSF_IJSE_SE_EEES9_SG_JZNS1_25segmented_radix_sort_implINS0_14default_configELb1EPKdPdPKlPlN2at6native12_GLOBAL__N_18offset_tEEE10hipError_tPvRmT1_PNSt15iterator_traitsISY_E10value_typeET2_T3_PNSZ_IS14_E10value_typeET4_jRbjT5_S1A_jjP12ihipStream_tbEUljE_EEESV_SW_SX_S14_S18_S1A_T6_T7_T9_mT8_S1C_bDpT10_ENKUlT_T0_E_clISt17integral_constantIbLb0EES1P_EEDaS1K_S1L_EUlS1K_E_NS1_11comp_targetILNS1_3genE4ELNS1_11target_archE910ELNS1_3gpuE8ELNS1_3repE0EEENS1_30default_config_static_selectorELNS0_4arch9wavefront6targetE0EEEvSY_ ; -- Begin function _ZN7rocprim17ROCPRIM_400000_NS6detail17trampoline_kernelINS0_13select_configILj256ELj13ELNS0_17block_load_methodE3ELS4_3ELS4_3ELNS0_20block_scan_algorithmE0ELj4294967295EEENS1_25partition_config_selectorILNS1_17partition_subalgoE3EjNS0_10empty_typeEbEEZZNS1_14partition_implILS8_3ELb0ES6_jNS0_17counting_iteratorIjlEEPS9_SE_NS0_5tupleIJPjSE_EEENSF_IJSE_SE_EEES9_SG_JZNS1_25segmented_radix_sort_implINS0_14default_configELb1EPKdPdPKlPlN2at6native12_GLOBAL__N_18offset_tEEE10hipError_tPvRmT1_PNSt15iterator_traitsISY_E10value_typeET2_T3_PNSZ_IS14_E10value_typeET4_jRbjT5_S1A_jjP12ihipStream_tbEUljE_EEESV_SW_SX_S14_S18_S1A_T6_T7_T9_mT8_S1C_bDpT10_ENKUlT_T0_E_clISt17integral_constantIbLb0EES1P_EEDaS1K_S1L_EUlS1K_E_NS1_11comp_targetILNS1_3genE4ELNS1_11target_archE910ELNS1_3gpuE8ELNS1_3repE0EEENS1_30default_config_static_selectorELNS0_4arch9wavefront6targetE0EEEvSY_
	.p2align	8
	.type	_ZN7rocprim17ROCPRIM_400000_NS6detail17trampoline_kernelINS0_13select_configILj256ELj13ELNS0_17block_load_methodE3ELS4_3ELS4_3ELNS0_20block_scan_algorithmE0ELj4294967295EEENS1_25partition_config_selectorILNS1_17partition_subalgoE3EjNS0_10empty_typeEbEEZZNS1_14partition_implILS8_3ELb0ES6_jNS0_17counting_iteratorIjlEEPS9_SE_NS0_5tupleIJPjSE_EEENSF_IJSE_SE_EEES9_SG_JZNS1_25segmented_radix_sort_implINS0_14default_configELb1EPKdPdPKlPlN2at6native12_GLOBAL__N_18offset_tEEE10hipError_tPvRmT1_PNSt15iterator_traitsISY_E10value_typeET2_T3_PNSZ_IS14_E10value_typeET4_jRbjT5_S1A_jjP12ihipStream_tbEUljE_EEESV_SW_SX_S14_S18_S1A_T6_T7_T9_mT8_S1C_bDpT10_ENKUlT_T0_E_clISt17integral_constantIbLb0EES1P_EEDaS1K_S1L_EUlS1K_E_NS1_11comp_targetILNS1_3genE4ELNS1_11target_archE910ELNS1_3gpuE8ELNS1_3repE0EEENS1_30default_config_static_selectorELNS0_4arch9wavefront6targetE0EEEvSY_,@function
_ZN7rocprim17ROCPRIM_400000_NS6detail17trampoline_kernelINS0_13select_configILj256ELj13ELNS0_17block_load_methodE3ELS4_3ELS4_3ELNS0_20block_scan_algorithmE0ELj4294967295EEENS1_25partition_config_selectorILNS1_17partition_subalgoE3EjNS0_10empty_typeEbEEZZNS1_14partition_implILS8_3ELb0ES6_jNS0_17counting_iteratorIjlEEPS9_SE_NS0_5tupleIJPjSE_EEENSF_IJSE_SE_EEES9_SG_JZNS1_25segmented_radix_sort_implINS0_14default_configELb1EPKdPdPKlPlN2at6native12_GLOBAL__N_18offset_tEEE10hipError_tPvRmT1_PNSt15iterator_traitsISY_E10value_typeET2_T3_PNSZ_IS14_E10value_typeET4_jRbjT5_S1A_jjP12ihipStream_tbEUljE_EEESV_SW_SX_S14_S18_S1A_T6_T7_T9_mT8_S1C_bDpT10_ENKUlT_T0_E_clISt17integral_constantIbLb0EES1P_EEDaS1K_S1L_EUlS1K_E_NS1_11comp_targetILNS1_3genE4ELNS1_11target_archE910ELNS1_3gpuE8ELNS1_3repE0EEENS1_30default_config_static_selectorELNS0_4arch9wavefront6targetE0EEEvSY_: ; @_ZN7rocprim17ROCPRIM_400000_NS6detail17trampoline_kernelINS0_13select_configILj256ELj13ELNS0_17block_load_methodE3ELS4_3ELS4_3ELNS0_20block_scan_algorithmE0ELj4294967295EEENS1_25partition_config_selectorILNS1_17partition_subalgoE3EjNS0_10empty_typeEbEEZZNS1_14partition_implILS8_3ELb0ES6_jNS0_17counting_iteratorIjlEEPS9_SE_NS0_5tupleIJPjSE_EEENSF_IJSE_SE_EEES9_SG_JZNS1_25segmented_radix_sort_implINS0_14default_configELb1EPKdPdPKlPlN2at6native12_GLOBAL__N_18offset_tEEE10hipError_tPvRmT1_PNSt15iterator_traitsISY_E10value_typeET2_T3_PNSZ_IS14_E10value_typeET4_jRbjT5_S1A_jjP12ihipStream_tbEUljE_EEESV_SW_SX_S14_S18_S1A_T6_T7_T9_mT8_S1C_bDpT10_ENKUlT_T0_E_clISt17integral_constantIbLb0EES1P_EEDaS1K_S1L_EUlS1K_E_NS1_11comp_targetILNS1_3genE4ELNS1_11target_archE910ELNS1_3gpuE8ELNS1_3repE0EEENS1_30default_config_static_selectorELNS0_4arch9wavefront6targetE0EEEvSY_
; %bb.0:
	.section	.rodata,"a",@progbits
	.p2align	6, 0x0
	.amdhsa_kernel _ZN7rocprim17ROCPRIM_400000_NS6detail17trampoline_kernelINS0_13select_configILj256ELj13ELNS0_17block_load_methodE3ELS4_3ELS4_3ELNS0_20block_scan_algorithmE0ELj4294967295EEENS1_25partition_config_selectorILNS1_17partition_subalgoE3EjNS0_10empty_typeEbEEZZNS1_14partition_implILS8_3ELb0ES6_jNS0_17counting_iteratorIjlEEPS9_SE_NS0_5tupleIJPjSE_EEENSF_IJSE_SE_EEES9_SG_JZNS1_25segmented_radix_sort_implINS0_14default_configELb1EPKdPdPKlPlN2at6native12_GLOBAL__N_18offset_tEEE10hipError_tPvRmT1_PNSt15iterator_traitsISY_E10value_typeET2_T3_PNSZ_IS14_E10value_typeET4_jRbjT5_S1A_jjP12ihipStream_tbEUljE_EEESV_SW_SX_S14_S18_S1A_T6_T7_T9_mT8_S1C_bDpT10_ENKUlT_T0_E_clISt17integral_constantIbLb0EES1P_EEDaS1K_S1L_EUlS1K_E_NS1_11comp_targetILNS1_3genE4ELNS1_11target_archE910ELNS1_3gpuE8ELNS1_3repE0EEENS1_30default_config_static_selectorELNS0_4arch9wavefront6targetE0EEEvSY_
		.amdhsa_group_segment_fixed_size 0
		.amdhsa_private_segment_fixed_size 0
		.amdhsa_kernarg_size 144
		.amdhsa_user_sgpr_count 6
		.amdhsa_user_sgpr_private_segment_buffer 1
		.amdhsa_user_sgpr_dispatch_ptr 0
		.amdhsa_user_sgpr_queue_ptr 0
		.amdhsa_user_sgpr_kernarg_segment_ptr 1
		.amdhsa_user_sgpr_dispatch_id 0
		.amdhsa_user_sgpr_flat_scratch_init 0
		.amdhsa_user_sgpr_private_segment_size 0
		.amdhsa_wavefront_size32 1
		.amdhsa_uses_dynamic_stack 0
		.amdhsa_system_sgpr_private_segment_wavefront_offset 0
		.amdhsa_system_sgpr_workgroup_id_x 1
		.amdhsa_system_sgpr_workgroup_id_y 0
		.amdhsa_system_sgpr_workgroup_id_z 0
		.amdhsa_system_sgpr_workgroup_info 0
		.amdhsa_system_vgpr_workitem_id 0
		.amdhsa_next_free_vgpr 1
		.amdhsa_next_free_sgpr 1
		.amdhsa_reserve_vcc 0
		.amdhsa_reserve_flat_scratch 0
		.amdhsa_float_round_mode_32 0
		.amdhsa_float_round_mode_16_64 0
		.amdhsa_float_denorm_mode_32 3
		.amdhsa_float_denorm_mode_16_64 3
		.amdhsa_dx10_clamp 1
		.amdhsa_ieee_mode 1
		.amdhsa_fp16_overflow 0
		.amdhsa_workgroup_processor_mode 1
		.amdhsa_memory_ordered 1
		.amdhsa_forward_progress 1
		.amdhsa_shared_vgpr_count 0
		.amdhsa_exception_fp_ieee_invalid_op 0
		.amdhsa_exception_fp_denorm_src 0
		.amdhsa_exception_fp_ieee_div_zero 0
		.amdhsa_exception_fp_ieee_overflow 0
		.amdhsa_exception_fp_ieee_underflow 0
		.amdhsa_exception_fp_ieee_inexact 0
		.amdhsa_exception_int_div_zero 0
	.end_amdhsa_kernel
	.section	.text._ZN7rocprim17ROCPRIM_400000_NS6detail17trampoline_kernelINS0_13select_configILj256ELj13ELNS0_17block_load_methodE3ELS4_3ELS4_3ELNS0_20block_scan_algorithmE0ELj4294967295EEENS1_25partition_config_selectorILNS1_17partition_subalgoE3EjNS0_10empty_typeEbEEZZNS1_14partition_implILS8_3ELb0ES6_jNS0_17counting_iteratorIjlEEPS9_SE_NS0_5tupleIJPjSE_EEENSF_IJSE_SE_EEES9_SG_JZNS1_25segmented_radix_sort_implINS0_14default_configELb1EPKdPdPKlPlN2at6native12_GLOBAL__N_18offset_tEEE10hipError_tPvRmT1_PNSt15iterator_traitsISY_E10value_typeET2_T3_PNSZ_IS14_E10value_typeET4_jRbjT5_S1A_jjP12ihipStream_tbEUljE_EEESV_SW_SX_S14_S18_S1A_T6_T7_T9_mT8_S1C_bDpT10_ENKUlT_T0_E_clISt17integral_constantIbLb0EES1P_EEDaS1K_S1L_EUlS1K_E_NS1_11comp_targetILNS1_3genE4ELNS1_11target_archE910ELNS1_3gpuE8ELNS1_3repE0EEENS1_30default_config_static_selectorELNS0_4arch9wavefront6targetE0EEEvSY_,"axG",@progbits,_ZN7rocprim17ROCPRIM_400000_NS6detail17trampoline_kernelINS0_13select_configILj256ELj13ELNS0_17block_load_methodE3ELS4_3ELS4_3ELNS0_20block_scan_algorithmE0ELj4294967295EEENS1_25partition_config_selectorILNS1_17partition_subalgoE3EjNS0_10empty_typeEbEEZZNS1_14partition_implILS8_3ELb0ES6_jNS0_17counting_iteratorIjlEEPS9_SE_NS0_5tupleIJPjSE_EEENSF_IJSE_SE_EEES9_SG_JZNS1_25segmented_radix_sort_implINS0_14default_configELb1EPKdPdPKlPlN2at6native12_GLOBAL__N_18offset_tEEE10hipError_tPvRmT1_PNSt15iterator_traitsISY_E10value_typeET2_T3_PNSZ_IS14_E10value_typeET4_jRbjT5_S1A_jjP12ihipStream_tbEUljE_EEESV_SW_SX_S14_S18_S1A_T6_T7_T9_mT8_S1C_bDpT10_ENKUlT_T0_E_clISt17integral_constantIbLb0EES1P_EEDaS1K_S1L_EUlS1K_E_NS1_11comp_targetILNS1_3genE4ELNS1_11target_archE910ELNS1_3gpuE8ELNS1_3repE0EEENS1_30default_config_static_selectorELNS0_4arch9wavefront6targetE0EEEvSY_,comdat
.Lfunc_end1080:
	.size	_ZN7rocprim17ROCPRIM_400000_NS6detail17trampoline_kernelINS0_13select_configILj256ELj13ELNS0_17block_load_methodE3ELS4_3ELS4_3ELNS0_20block_scan_algorithmE0ELj4294967295EEENS1_25partition_config_selectorILNS1_17partition_subalgoE3EjNS0_10empty_typeEbEEZZNS1_14partition_implILS8_3ELb0ES6_jNS0_17counting_iteratorIjlEEPS9_SE_NS0_5tupleIJPjSE_EEENSF_IJSE_SE_EEES9_SG_JZNS1_25segmented_radix_sort_implINS0_14default_configELb1EPKdPdPKlPlN2at6native12_GLOBAL__N_18offset_tEEE10hipError_tPvRmT1_PNSt15iterator_traitsISY_E10value_typeET2_T3_PNSZ_IS14_E10value_typeET4_jRbjT5_S1A_jjP12ihipStream_tbEUljE_EEESV_SW_SX_S14_S18_S1A_T6_T7_T9_mT8_S1C_bDpT10_ENKUlT_T0_E_clISt17integral_constantIbLb0EES1P_EEDaS1K_S1L_EUlS1K_E_NS1_11comp_targetILNS1_3genE4ELNS1_11target_archE910ELNS1_3gpuE8ELNS1_3repE0EEENS1_30default_config_static_selectorELNS0_4arch9wavefront6targetE0EEEvSY_, .Lfunc_end1080-_ZN7rocprim17ROCPRIM_400000_NS6detail17trampoline_kernelINS0_13select_configILj256ELj13ELNS0_17block_load_methodE3ELS4_3ELS4_3ELNS0_20block_scan_algorithmE0ELj4294967295EEENS1_25partition_config_selectorILNS1_17partition_subalgoE3EjNS0_10empty_typeEbEEZZNS1_14partition_implILS8_3ELb0ES6_jNS0_17counting_iteratorIjlEEPS9_SE_NS0_5tupleIJPjSE_EEENSF_IJSE_SE_EEES9_SG_JZNS1_25segmented_radix_sort_implINS0_14default_configELb1EPKdPdPKlPlN2at6native12_GLOBAL__N_18offset_tEEE10hipError_tPvRmT1_PNSt15iterator_traitsISY_E10value_typeET2_T3_PNSZ_IS14_E10value_typeET4_jRbjT5_S1A_jjP12ihipStream_tbEUljE_EEESV_SW_SX_S14_S18_S1A_T6_T7_T9_mT8_S1C_bDpT10_ENKUlT_T0_E_clISt17integral_constantIbLb0EES1P_EEDaS1K_S1L_EUlS1K_E_NS1_11comp_targetILNS1_3genE4ELNS1_11target_archE910ELNS1_3gpuE8ELNS1_3repE0EEENS1_30default_config_static_selectorELNS0_4arch9wavefront6targetE0EEEvSY_
                                        ; -- End function
	.set _ZN7rocprim17ROCPRIM_400000_NS6detail17trampoline_kernelINS0_13select_configILj256ELj13ELNS0_17block_load_methodE3ELS4_3ELS4_3ELNS0_20block_scan_algorithmE0ELj4294967295EEENS1_25partition_config_selectorILNS1_17partition_subalgoE3EjNS0_10empty_typeEbEEZZNS1_14partition_implILS8_3ELb0ES6_jNS0_17counting_iteratorIjlEEPS9_SE_NS0_5tupleIJPjSE_EEENSF_IJSE_SE_EEES9_SG_JZNS1_25segmented_radix_sort_implINS0_14default_configELb1EPKdPdPKlPlN2at6native12_GLOBAL__N_18offset_tEEE10hipError_tPvRmT1_PNSt15iterator_traitsISY_E10value_typeET2_T3_PNSZ_IS14_E10value_typeET4_jRbjT5_S1A_jjP12ihipStream_tbEUljE_EEESV_SW_SX_S14_S18_S1A_T6_T7_T9_mT8_S1C_bDpT10_ENKUlT_T0_E_clISt17integral_constantIbLb0EES1P_EEDaS1K_S1L_EUlS1K_E_NS1_11comp_targetILNS1_3genE4ELNS1_11target_archE910ELNS1_3gpuE8ELNS1_3repE0EEENS1_30default_config_static_selectorELNS0_4arch9wavefront6targetE0EEEvSY_.num_vgpr, 0
	.set _ZN7rocprim17ROCPRIM_400000_NS6detail17trampoline_kernelINS0_13select_configILj256ELj13ELNS0_17block_load_methodE3ELS4_3ELS4_3ELNS0_20block_scan_algorithmE0ELj4294967295EEENS1_25partition_config_selectorILNS1_17partition_subalgoE3EjNS0_10empty_typeEbEEZZNS1_14partition_implILS8_3ELb0ES6_jNS0_17counting_iteratorIjlEEPS9_SE_NS0_5tupleIJPjSE_EEENSF_IJSE_SE_EEES9_SG_JZNS1_25segmented_radix_sort_implINS0_14default_configELb1EPKdPdPKlPlN2at6native12_GLOBAL__N_18offset_tEEE10hipError_tPvRmT1_PNSt15iterator_traitsISY_E10value_typeET2_T3_PNSZ_IS14_E10value_typeET4_jRbjT5_S1A_jjP12ihipStream_tbEUljE_EEESV_SW_SX_S14_S18_S1A_T6_T7_T9_mT8_S1C_bDpT10_ENKUlT_T0_E_clISt17integral_constantIbLb0EES1P_EEDaS1K_S1L_EUlS1K_E_NS1_11comp_targetILNS1_3genE4ELNS1_11target_archE910ELNS1_3gpuE8ELNS1_3repE0EEENS1_30default_config_static_selectorELNS0_4arch9wavefront6targetE0EEEvSY_.num_agpr, 0
	.set _ZN7rocprim17ROCPRIM_400000_NS6detail17trampoline_kernelINS0_13select_configILj256ELj13ELNS0_17block_load_methodE3ELS4_3ELS4_3ELNS0_20block_scan_algorithmE0ELj4294967295EEENS1_25partition_config_selectorILNS1_17partition_subalgoE3EjNS0_10empty_typeEbEEZZNS1_14partition_implILS8_3ELb0ES6_jNS0_17counting_iteratorIjlEEPS9_SE_NS0_5tupleIJPjSE_EEENSF_IJSE_SE_EEES9_SG_JZNS1_25segmented_radix_sort_implINS0_14default_configELb1EPKdPdPKlPlN2at6native12_GLOBAL__N_18offset_tEEE10hipError_tPvRmT1_PNSt15iterator_traitsISY_E10value_typeET2_T3_PNSZ_IS14_E10value_typeET4_jRbjT5_S1A_jjP12ihipStream_tbEUljE_EEESV_SW_SX_S14_S18_S1A_T6_T7_T9_mT8_S1C_bDpT10_ENKUlT_T0_E_clISt17integral_constantIbLb0EES1P_EEDaS1K_S1L_EUlS1K_E_NS1_11comp_targetILNS1_3genE4ELNS1_11target_archE910ELNS1_3gpuE8ELNS1_3repE0EEENS1_30default_config_static_selectorELNS0_4arch9wavefront6targetE0EEEvSY_.numbered_sgpr, 0
	.set _ZN7rocprim17ROCPRIM_400000_NS6detail17trampoline_kernelINS0_13select_configILj256ELj13ELNS0_17block_load_methodE3ELS4_3ELS4_3ELNS0_20block_scan_algorithmE0ELj4294967295EEENS1_25partition_config_selectorILNS1_17partition_subalgoE3EjNS0_10empty_typeEbEEZZNS1_14partition_implILS8_3ELb0ES6_jNS0_17counting_iteratorIjlEEPS9_SE_NS0_5tupleIJPjSE_EEENSF_IJSE_SE_EEES9_SG_JZNS1_25segmented_radix_sort_implINS0_14default_configELb1EPKdPdPKlPlN2at6native12_GLOBAL__N_18offset_tEEE10hipError_tPvRmT1_PNSt15iterator_traitsISY_E10value_typeET2_T3_PNSZ_IS14_E10value_typeET4_jRbjT5_S1A_jjP12ihipStream_tbEUljE_EEESV_SW_SX_S14_S18_S1A_T6_T7_T9_mT8_S1C_bDpT10_ENKUlT_T0_E_clISt17integral_constantIbLb0EES1P_EEDaS1K_S1L_EUlS1K_E_NS1_11comp_targetILNS1_3genE4ELNS1_11target_archE910ELNS1_3gpuE8ELNS1_3repE0EEENS1_30default_config_static_selectorELNS0_4arch9wavefront6targetE0EEEvSY_.num_named_barrier, 0
	.set _ZN7rocprim17ROCPRIM_400000_NS6detail17trampoline_kernelINS0_13select_configILj256ELj13ELNS0_17block_load_methodE3ELS4_3ELS4_3ELNS0_20block_scan_algorithmE0ELj4294967295EEENS1_25partition_config_selectorILNS1_17partition_subalgoE3EjNS0_10empty_typeEbEEZZNS1_14partition_implILS8_3ELb0ES6_jNS0_17counting_iteratorIjlEEPS9_SE_NS0_5tupleIJPjSE_EEENSF_IJSE_SE_EEES9_SG_JZNS1_25segmented_radix_sort_implINS0_14default_configELb1EPKdPdPKlPlN2at6native12_GLOBAL__N_18offset_tEEE10hipError_tPvRmT1_PNSt15iterator_traitsISY_E10value_typeET2_T3_PNSZ_IS14_E10value_typeET4_jRbjT5_S1A_jjP12ihipStream_tbEUljE_EEESV_SW_SX_S14_S18_S1A_T6_T7_T9_mT8_S1C_bDpT10_ENKUlT_T0_E_clISt17integral_constantIbLb0EES1P_EEDaS1K_S1L_EUlS1K_E_NS1_11comp_targetILNS1_3genE4ELNS1_11target_archE910ELNS1_3gpuE8ELNS1_3repE0EEENS1_30default_config_static_selectorELNS0_4arch9wavefront6targetE0EEEvSY_.private_seg_size, 0
	.set _ZN7rocprim17ROCPRIM_400000_NS6detail17trampoline_kernelINS0_13select_configILj256ELj13ELNS0_17block_load_methodE3ELS4_3ELS4_3ELNS0_20block_scan_algorithmE0ELj4294967295EEENS1_25partition_config_selectorILNS1_17partition_subalgoE3EjNS0_10empty_typeEbEEZZNS1_14partition_implILS8_3ELb0ES6_jNS0_17counting_iteratorIjlEEPS9_SE_NS0_5tupleIJPjSE_EEENSF_IJSE_SE_EEES9_SG_JZNS1_25segmented_radix_sort_implINS0_14default_configELb1EPKdPdPKlPlN2at6native12_GLOBAL__N_18offset_tEEE10hipError_tPvRmT1_PNSt15iterator_traitsISY_E10value_typeET2_T3_PNSZ_IS14_E10value_typeET4_jRbjT5_S1A_jjP12ihipStream_tbEUljE_EEESV_SW_SX_S14_S18_S1A_T6_T7_T9_mT8_S1C_bDpT10_ENKUlT_T0_E_clISt17integral_constantIbLb0EES1P_EEDaS1K_S1L_EUlS1K_E_NS1_11comp_targetILNS1_3genE4ELNS1_11target_archE910ELNS1_3gpuE8ELNS1_3repE0EEENS1_30default_config_static_selectorELNS0_4arch9wavefront6targetE0EEEvSY_.uses_vcc, 0
	.set _ZN7rocprim17ROCPRIM_400000_NS6detail17trampoline_kernelINS0_13select_configILj256ELj13ELNS0_17block_load_methodE3ELS4_3ELS4_3ELNS0_20block_scan_algorithmE0ELj4294967295EEENS1_25partition_config_selectorILNS1_17partition_subalgoE3EjNS0_10empty_typeEbEEZZNS1_14partition_implILS8_3ELb0ES6_jNS0_17counting_iteratorIjlEEPS9_SE_NS0_5tupleIJPjSE_EEENSF_IJSE_SE_EEES9_SG_JZNS1_25segmented_radix_sort_implINS0_14default_configELb1EPKdPdPKlPlN2at6native12_GLOBAL__N_18offset_tEEE10hipError_tPvRmT1_PNSt15iterator_traitsISY_E10value_typeET2_T3_PNSZ_IS14_E10value_typeET4_jRbjT5_S1A_jjP12ihipStream_tbEUljE_EEESV_SW_SX_S14_S18_S1A_T6_T7_T9_mT8_S1C_bDpT10_ENKUlT_T0_E_clISt17integral_constantIbLb0EES1P_EEDaS1K_S1L_EUlS1K_E_NS1_11comp_targetILNS1_3genE4ELNS1_11target_archE910ELNS1_3gpuE8ELNS1_3repE0EEENS1_30default_config_static_selectorELNS0_4arch9wavefront6targetE0EEEvSY_.uses_flat_scratch, 0
	.set _ZN7rocprim17ROCPRIM_400000_NS6detail17trampoline_kernelINS0_13select_configILj256ELj13ELNS0_17block_load_methodE3ELS4_3ELS4_3ELNS0_20block_scan_algorithmE0ELj4294967295EEENS1_25partition_config_selectorILNS1_17partition_subalgoE3EjNS0_10empty_typeEbEEZZNS1_14partition_implILS8_3ELb0ES6_jNS0_17counting_iteratorIjlEEPS9_SE_NS0_5tupleIJPjSE_EEENSF_IJSE_SE_EEES9_SG_JZNS1_25segmented_radix_sort_implINS0_14default_configELb1EPKdPdPKlPlN2at6native12_GLOBAL__N_18offset_tEEE10hipError_tPvRmT1_PNSt15iterator_traitsISY_E10value_typeET2_T3_PNSZ_IS14_E10value_typeET4_jRbjT5_S1A_jjP12ihipStream_tbEUljE_EEESV_SW_SX_S14_S18_S1A_T6_T7_T9_mT8_S1C_bDpT10_ENKUlT_T0_E_clISt17integral_constantIbLb0EES1P_EEDaS1K_S1L_EUlS1K_E_NS1_11comp_targetILNS1_3genE4ELNS1_11target_archE910ELNS1_3gpuE8ELNS1_3repE0EEENS1_30default_config_static_selectorELNS0_4arch9wavefront6targetE0EEEvSY_.has_dyn_sized_stack, 0
	.set _ZN7rocprim17ROCPRIM_400000_NS6detail17trampoline_kernelINS0_13select_configILj256ELj13ELNS0_17block_load_methodE3ELS4_3ELS4_3ELNS0_20block_scan_algorithmE0ELj4294967295EEENS1_25partition_config_selectorILNS1_17partition_subalgoE3EjNS0_10empty_typeEbEEZZNS1_14partition_implILS8_3ELb0ES6_jNS0_17counting_iteratorIjlEEPS9_SE_NS0_5tupleIJPjSE_EEENSF_IJSE_SE_EEES9_SG_JZNS1_25segmented_radix_sort_implINS0_14default_configELb1EPKdPdPKlPlN2at6native12_GLOBAL__N_18offset_tEEE10hipError_tPvRmT1_PNSt15iterator_traitsISY_E10value_typeET2_T3_PNSZ_IS14_E10value_typeET4_jRbjT5_S1A_jjP12ihipStream_tbEUljE_EEESV_SW_SX_S14_S18_S1A_T6_T7_T9_mT8_S1C_bDpT10_ENKUlT_T0_E_clISt17integral_constantIbLb0EES1P_EEDaS1K_S1L_EUlS1K_E_NS1_11comp_targetILNS1_3genE4ELNS1_11target_archE910ELNS1_3gpuE8ELNS1_3repE0EEENS1_30default_config_static_selectorELNS0_4arch9wavefront6targetE0EEEvSY_.has_recursion, 0
	.set _ZN7rocprim17ROCPRIM_400000_NS6detail17trampoline_kernelINS0_13select_configILj256ELj13ELNS0_17block_load_methodE3ELS4_3ELS4_3ELNS0_20block_scan_algorithmE0ELj4294967295EEENS1_25partition_config_selectorILNS1_17partition_subalgoE3EjNS0_10empty_typeEbEEZZNS1_14partition_implILS8_3ELb0ES6_jNS0_17counting_iteratorIjlEEPS9_SE_NS0_5tupleIJPjSE_EEENSF_IJSE_SE_EEES9_SG_JZNS1_25segmented_radix_sort_implINS0_14default_configELb1EPKdPdPKlPlN2at6native12_GLOBAL__N_18offset_tEEE10hipError_tPvRmT1_PNSt15iterator_traitsISY_E10value_typeET2_T3_PNSZ_IS14_E10value_typeET4_jRbjT5_S1A_jjP12ihipStream_tbEUljE_EEESV_SW_SX_S14_S18_S1A_T6_T7_T9_mT8_S1C_bDpT10_ENKUlT_T0_E_clISt17integral_constantIbLb0EES1P_EEDaS1K_S1L_EUlS1K_E_NS1_11comp_targetILNS1_3genE4ELNS1_11target_archE910ELNS1_3gpuE8ELNS1_3repE0EEENS1_30default_config_static_selectorELNS0_4arch9wavefront6targetE0EEEvSY_.has_indirect_call, 0
	.section	.AMDGPU.csdata,"",@progbits
; Kernel info:
; codeLenInByte = 0
; TotalNumSgprs: 0
; NumVgprs: 0
; ScratchSize: 0
; MemoryBound: 0
; FloatMode: 240
; IeeeMode: 1
; LDSByteSize: 0 bytes/workgroup (compile time only)
; SGPRBlocks: 0
; VGPRBlocks: 0
; NumSGPRsForWavesPerEU: 1
; NumVGPRsForWavesPerEU: 1
; Occupancy: 16
; WaveLimiterHint : 0
; COMPUTE_PGM_RSRC2:SCRATCH_EN: 0
; COMPUTE_PGM_RSRC2:USER_SGPR: 6
; COMPUTE_PGM_RSRC2:TRAP_HANDLER: 0
; COMPUTE_PGM_RSRC2:TGID_X_EN: 1
; COMPUTE_PGM_RSRC2:TGID_Y_EN: 0
; COMPUTE_PGM_RSRC2:TGID_Z_EN: 0
; COMPUTE_PGM_RSRC2:TIDIG_COMP_CNT: 0
	.section	.text._ZN7rocprim17ROCPRIM_400000_NS6detail17trampoline_kernelINS0_13select_configILj256ELj13ELNS0_17block_load_methodE3ELS4_3ELS4_3ELNS0_20block_scan_algorithmE0ELj4294967295EEENS1_25partition_config_selectorILNS1_17partition_subalgoE3EjNS0_10empty_typeEbEEZZNS1_14partition_implILS8_3ELb0ES6_jNS0_17counting_iteratorIjlEEPS9_SE_NS0_5tupleIJPjSE_EEENSF_IJSE_SE_EEES9_SG_JZNS1_25segmented_radix_sort_implINS0_14default_configELb1EPKdPdPKlPlN2at6native12_GLOBAL__N_18offset_tEEE10hipError_tPvRmT1_PNSt15iterator_traitsISY_E10value_typeET2_T3_PNSZ_IS14_E10value_typeET4_jRbjT5_S1A_jjP12ihipStream_tbEUljE_EEESV_SW_SX_S14_S18_S1A_T6_T7_T9_mT8_S1C_bDpT10_ENKUlT_T0_E_clISt17integral_constantIbLb0EES1P_EEDaS1K_S1L_EUlS1K_E_NS1_11comp_targetILNS1_3genE3ELNS1_11target_archE908ELNS1_3gpuE7ELNS1_3repE0EEENS1_30default_config_static_selectorELNS0_4arch9wavefront6targetE0EEEvSY_,"axG",@progbits,_ZN7rocprim17ROCPRIM_400000_NS6detail17trampoline_kernelINS0_13select_configILj256ELj13ELNS0_17block_load_methodE3ELS4_3ELS4_3ELNS0_20block_scan_algorithmE0ELj4294967295EEENS1_25partition_config_selectorILNS1_17partition_subalgoE3EjNS0_10empty_typeEbEEZZNS1_14partition_implILS8_3ELb0ES6_jNS0_17counting_iteratorIjlEEPS9_SE_NS0_5tupleIJPjSE_EEENSF_IJSE_SE_EEES9_SG_JZNS1_25segmented_radix_sort_implINS0_14default_configELb1EPKdPdPKlPlN2at6native12_GLOBAL__N_18offset_tEEE10hipError_tPvRmT1_PNSt15iterator_traitsISY_E10value_typeET2_T3_PNSZ_IS14_E10value_typeET4_jRbjT5_S1A_jjP12ihipStream_tbEUljE_EEESV_SW_SX_S14_S18_S1A_T6_T7_T9_mT8_S1C_bDpT10_ENKUlT_T0_E_clISt17integral_constantIbLb0EES1P_EEDaS1K_S1L_EUlS1K_E_NS1_11comp_targetILNS1_3genE3ELNS1_11target_archE908ELNS1_3gpuE7ELNS1_3repE0EEENS1_30default_config_static_selectorELNS0_4arch9wavefront6targetE0EEEvSY_,comdat
	.globl	_ZN7rocprim17ROCPRIM_400000_NS6detail17trampoline_kernelINS0_13select_configILj256ELj13ELNS0_17block_load_methodE3ELS4_3ELS4_3ELNS0_20block_scan_algorithmE0ELj4294967295EEENS1_25partition_config_selectorILNS1_17partition_subalgoE3EjNS0_10empty_typeEbEEZZNS1_14partition_implILS8_3ELb0ES6_jNS0_17counting_iteratorIjlEEPS9_SE_NS0_5tupleIJPjSE_EEENSF_IJSE_SE_EEES9_SG_JZNS1_25segmented_radix_sort_implINS0_14default_configELb1EPKdPdPKlPlN2at6native12_GLOBAL__N_18offset_tEEE10hipError_tPvRmT1_PNSt15iterator_traitsISY_E10value_typeET2_T3_PNSZ_IS14_E10value_typeET4_jRbjT5_S1A_jjP12ihipStream_tbEUljE_EEESV_SW_SX_S14_S18_S1A_T6_T7_T9_mT8_S1C_bDpT10_ENKUlT_T0_E_clISt17integral_constantIbLb0EES1P_EEDaS1K_S1L_EUlS1K_E_NS1_11comp_targetILNS1_3genE3ELNS1_11target_archE908ELNS1_3gpuE7ELNS1_3repE0EEENS1_30default_config_static_selectorELNS0_4arch9wavefront6targetE0EEEvSY_ ; -- Begin function _ZN7rocprim17ROCPRIM_400000_NS6detail17trampoline_kernelINS0_13select_configILj256ELj13ELNS0_17block_load_methodE3ELS4_3ELS4_3ELNS0_20block_scan_algorithmE0ELj4294967295EEENS1_25partition_config_selectorILNS1_17partition_subalgoE3EjNS0_10empty_typeEbEEZZNS1_14partition_implILS8_3ELb0ES6_jNS0_17counting_iteratorIjlEEPS9_SE_NS0_5tupleIJPjSE_EEENSF_IJSE_SE_EEES9_SG_JZNS1_25segmented_radix_sort_implINS0_14default_configELb1EPKdPdPKlPlN2at6native12_GLOBAL__N_18offset_tEEE10hipError_tPvRmT1_PNSt15iterator_traitsISY_E10value_typeET2_T3_PNSZ_IS14_E10value_typeET4_jRbjT5_S1A_jjP12ihipStream_tbEUljE_EEESV_SW_SX_S14_S18_S1A_T6_T7_T9_mT8_S1C_bDpT10_ENKUlT_T0_E_clISt17integral_constantIbLb0EES1P_EEDaS1K_S1L_EUlS1K_E_NS1_11comp_targetILNS1_3genE3ELNS1_11target_archE908ELNS1_3gpuE7ELNS1_3repE0EEENS1_30default_config_static_selectorELNS0_4arch9wavefront6targetE0EEEvSY_
	.p2align	8
	.type	_ZN7rocprim17ROCPRIM_400000_NS6detail17trampoline_kernelINS0_13select_configILj256ELj13ELNS0_17block_load_methodE3ELS4_3ELS4_3ELNS0_20block_scan_algorithmE0ELj4294967295EEENS1_25partition_config_selectorILNS1_17partition_subalgoE3EjNS0_10empty_typeEbEEZZNS1_14partition_implILS8_3ELb0ES6_jNS0_17counting_iteratorIjlEEPS9_SE_NS0_5tupleIJPjSE_EEENSF_IJSE_SE_EEES9_SG_JZNS1_25segmented_radix_sort_implINS0_14default_configELb1EPKdPdPKlPlN2at6native12_GLOBAL__N_18offset_tEEE10hipError_tPvRmT1_PNSt15iterator_traitsISY_E10value_typeET2_T3_PNSZ_IS14_E10value_typeET4_jRbjT5_S1A_jjP12ihipStream_tbEUljE_EEESV_SW_SX_S14_S18_S1A_T6_T7_T9_mT8_S1C_bDpT10_ENKUlT_T0_E_clISt17integral_constantIbLb0EES1P_EEDaS1K_S1L_EUlS1K_E_NS1_11comp_targetILNS1_3genE3ELNS1_11target_archE908ELNS1_3gpuE7ELNS1_3repE0EEENS1_30default_config_static_selectorELNS0_4arch9wavefront6targetE0EEEvSY_,@function
_ZN7rocprim17ROCPRIM_400000_NS6detail17trampoline_kernelINS0_13select_configILj256ELj13ELNS0_17block_load_methodE3ELS4_3ELS4_3ELNS0_20block_scan_algorithmE0ELj4294967295EEENS1_25partition_config_selectorILNS1_17partition_subalgoE3EjNS0_10empty_typeEbEEZZNS1_14partition_implILS8_3ELb0ES6_jNS0_17counting_iteratorIjlEEPS9_SE_NS0_5tupleIJPjSE_EEENSF_IJSE_SE_EEES9_SG_JZNS1_25segmented_radix_sort_implINS0_14default_configELb1EPKdPdPKlPlN2at6native12_GLOBAL__N_18offset_tEEE10hipError_tPvRmT1_PNSt15iterator_traitsISY_E10value_typeET2_T3_PNSZ_IS14_E10value_typeET4_jRbjT5_S1A_jjP12ihipStream_tbEUljE_EEESV_SW_SX_S14_S18_S1A_T6_T7_T9_mT8_S1C_bDpT10_ENKUlT_T0_E_clISt17integral_constantIbLb0EES1P_EEDaS1K_S1L_EUlS1K_E_NS1_11comp_targetILNS1_3genE3ELNS1_11target_archE908ELNS1_3gpuE7ELNS1_3repE0EEENS1_30default_config_static_selectorELNS0_4arch9wavefront6targetE0EEEvSY_: ; @_ZN7rocprim17ROCPRIM_400000_NS6detail17trampoline_kernelINS0_13select_configILj256ELj13ELNS0_17block_load_methodE3ELS4_3ELS4_3ELNS0_20block_scan_algorithmE0ELj4294967295EEENS1_25partition_config_selectorILNS1_17partition_subalgoE3EjNS0_10empty_typeEbEEZZNS1_14partition_implILS8_3ELb0ES6_jNS0_17counting_iteratorIjlEEPS9_SE_NS0_5tupleIJPjSE_EEENSF_IJSE_SE_EEES9_SG_JZNS1_25segmented_radix_sort_implINS0_14default_configELb1EPKdPdPKlPlN2at6native12_GLOBAL__N_18offset_tEEE10hipError_tPvRmT1_PNSt15iterator_traitsISY_E10value_typeET2_T3_PNSZ_IS14_E10value_typeET4_jRbjT5_S1A_jjP12ihipStream_tbEUljE_EEESV_SW_SX_S14_S18_S1A_T6_T7_T9_mT8_S1C_bDpT10_ENKUlT_T0_E_clISt17integral_constantIbLb0EES1P_EEDaS1K_S1L_EUlS1K_E_NS1_11comp_targetILNS1_3genE3ELNS1_11target_archE908ELNS1_3gpuE7ELNS1_3repE0EEENS1_30default_config_static_selectorELNS0_4arch9wavefront6targetE0EEEvSY_
; %bb.0:
	.section	.rodata,"a",@progbits
	.p2align	6, 0x0
	.amdhsa_kernel _ZN7rocprim17ROCPRIM_400000_NS6detail17trampoline_kernelINS0_13select_configILj256ELj13ELNS0_17block_load_methodE3ELS4_3ELS4_3ELNS0_20block_scan_algorithmE0ELj4294967295EEENS1_25partition_config_selectorILNS1_17partition_subalgoE3EjNS0_10empty_typeEbEEZZNS1_14partition_implILS8_3ELb0ES6_jNS0_17counting_iteratorIjlEEPS9_SE_NS0_5tupleIJPjSE_EEENSF_IJSE_SE_EEES9_SG_JZNS1_25segmented_radix_sort_implINS0_14default_configELb1EPKdPdPKlPlN2at6native12_GLOBAL__N_18offset_tEEE10hipError_tPvRmT1_PNSt15iterator_traitsISY_E10value_typeET2_T3_PNSZ_IS14_E10value_typeET4_jRbjT5_S1A_jjP12ihipStream_tbEUljE_EEESV_SW_SX_S14_S18_S1A_T6_T7_T9_mT8_S1C_bDpT10_ENKUlT_T0_E_clISt17integral_constantIbLb0EES1P_EEDaS1K_S1L_EUlS1K_E_NS1_11comp_targetILNS1_3genE3ELNS1_11target_archE908ELNS1_3gpuE7ELNS1_3repE0EEENS1_30default_config_static_selectorELNS0_4arch9wavefront6targetE0EEEvSY_
		.amdhsa_group_segment_fixed_size 0
		.amdhsa_private_segment_fixed_size 0
		.amdhsa_kernarg_size 144
		.amdhsa_user_sgpr_count 6
		.amdhsa_user_sgpr_private_segment_buffer 1
		.amdhsa_user_sgpr_dispatch_ptr 0
		.amdhsa_user_sgpr_queue_ptr 0
		.amdhsa_user_sgpr_kernarg_segment_ptr 1
		.amdhsa_user_sgpr_dispatch_id 0
		.amdhsa_user_sgpr_flat_scratch_init 0
		.amdhsa_user_sgpr_private_segment_size 0
		.amdhsa_wavefront_size32 1
		.amdhsa_uses_dynamic_stack 0
		.amdhsa_system_sgpr_private_segment_wavefront_offset 0
		.amdhsa_system_sgpr_workgroup_id_x 1
		.amdhsa_system_sgpr_workgroup_id_y 0
		.amdhsa_system_sgpr_workgroup_id_z 0
		.amdhsa_system_sgpr_workgroup_info 0
		.amdhsa_system_vgpr_workitem_id 0
		.amdhsa_next_free_vgpr 1
		.amdhsa_next_free_sgpr 1
		.amdhsa_reserve_vcc 0
		.amdhsa_reserve_flat_scratch 0
		.amdhsa_float_round_mode_32 0
		.amdhsa_float_round_mode_16_64 0
		.amdhsa_float_denorm_mode_32 3
		.amdhsa_float_denorm_mode_16_64 3
		.amdhsa_dx10_clamp 1
		.amdhsa_ieee_mode 1
		.amdhsa_fp16_overflow 0
		.amdhsa_workgroup_processor_mode 1
		.amdhsa_memory_ordered 1
		.amdhsa_forward_progress 1
		.amdhsa_shared_vgpr_count 0
		.amdhsa_exception_fp_ieee_invalid_op 0
		.amdhsa_exception_fp_denorm_src 0
		.amdhsa_exception_fp_ieee_div_zero 0
		.amdhsa_exception_fp_ieee_overflow 0
		.amdhsa_exception_fp_ieee_underflow 0
		.amdhsa_exception_fp_ieee_inexact 0
		.amdhsa_exception_int_div_zero 0
	.end_amdhsa_kernel
	.section	.text._ZN7rocprim17ROCPRIM_400000_NS6detail17trampoline_kernelINS0_13select_configILj256ELj13ELNS0_17block_load_methodE3ELS4_3ELS4_3ELNS0_20block_scan_algorithmE0ELj4294967295EEENS1_25partition_config_selectorILNS1_17partition_subalgoE3EjNS0_10empty_typeEbEEZZNS1_14partition_implILS8_3ELb0ES6_jNS0_17counting_iteratorIjlEEPS9_SE_NS0_5tupleIJPjSE_EEENSF_IJSE_SE_EEES9_SG_JZNS1_25segmented_radix_sort_implINS0_14default_configELb1EPKdPdPKlPlN2at6native12_GLOBAL__N_18offset_tEEE10hipError_tPvRmT1_PNSt15iterator_traitsISY_E10value_typeET2_T3_PNSZ_IS14_E10value_typeET4_jRbjT5_S1A_jjP12ihipStream_tbEUljE_EEESV_SW_SX_S14_S18_S1A_T6_T7_T9_mT8_S1C_bDpT10_ENKUlT_T0_E_clISt17integral_constantIbLb0EES1P_EEDaS1K_S1L_EUlS1K_E_NS1_11comp_targetILNS1_3genE3ELNS1_11target_archE908ELNS1_3gpuE7ELNS1_3repE0EEENS1_30default_config_static_selectorELNS0_4arch9wavefront6targetE0EEEvSY_,"axG",@progbits,_ZN7rocprim17ROCPRIM_400000_NS6detail17trampoline_kernelINS0_13select_configILj256ELj13ELNS0_17block_load_methodE3ELS4_3ELS4_3ELNS0_20block_scan_algorithmE0ELj4294967295EEENS1_25partition_config_selectorILNS1_17partition_subalgoE3EjNS0_10empty_typeEbEEZZNS1_14partition_implILS8_3ELb0ES6_jNS0_17counting_iteratorIjlEEPS9_SE_NS0_5tupleIJPjSE_EEENSF_IJSE_SE_EEES9_SG_JZNS1_25segmented_radix_sort_implINS0_14default_configELb1EPKdPdPKlPlN2at6native12_GLOBAL__N_18offset_tEEE10hipError_tPvRmT1_PNSt15iterator_traitsISY_E10value_typeET2_T3_PNSZ_IS14_E10value_typeET4_jRbjT5_S1A_jjP12ihipStream_tbEUljE_EEESV_SW_SX_S14_S18_S1A_T6_T7_T9_mT8_S1C_bDpT10_ENKUlT_T0_E_clISt17integral_constantIbLb0EES1P_EEDaS1K_S1L_EUlS1K_E_NS1_11comp_targetILNS1_3genE3ELNS1_11target_archE908ELNS1_3gpuE7ELNS1_3repE0EEENS1_30default_config_static_selectorELNS0_4arch9wavefront6targetE0EEEvSY_,comdat
.Lfunc_end1081:
	.size	_ZN7rocprim17ROCPRIM_400000_NS6detail17trampoline_kernelINS0_13select_configILj256ELj13ELNS0_17block_load_methodE3ELS4_3ELS4_3ELNS0_20block_scan_algorithmE0ELj4294967295EEENS1_25partition_config_selectorILNS1_17partition_subalgoE3EjNS0_10empty_typeEbEEZZNS1_14partition_implILS8_3ELb0ES6_jNS0_17counting_iteratorIjlEEPS9_SE_NS0_5tupleIJPjSE_EEENSF_IJSE_SE_EEES9_SG_JZNS1_25segmented_radix_sort_implINS0_14default_configELb1EPKdPdPKlPlN2at6native12_GLOBAL__N_18offset_tEEE10hipError_tPvRmT1_PNSt15iterator_traitsISY_E10value_typeET2_T3_PNSZ_IS14_E10value_typeET4_jRbjT5_S1A_jjP12ihipStream_tbEUljE_EEESV_SW_SX_S14_S18_S1A_T6_T7_T9_mT8_S1C_bDpT10_ENKUlT_T0_E_clISt17integral_constantIbLb0EES1P_EEDaS1K_S1L_EUlS1K_E_NS1_11comp_targetILNS1_3genE3ELNS1_11target_archE908ELNS1_3gpuE7ELNS1_3repE0EEENS1_30default_config_static_selectorELNS0_4arch9wavefront6targetE0EEEvSY_, .Lfunc_end1081-_ZN7rocprim17ROCPRIM_400000_NS6detail17trampoline_kernelINS0_13select_configILj256ELj13ELNS0_17block_load_methodE3ELS4_3ELS4_3ELNS0_20block_scan_algorithmE0ELj4294967295EEENS1_25partition_config_selectorILNS1_17partition_subalgoE3EjNS0_10empty_typeEbEEZZNS1_14partition_implILS8_3ELb0ES6_jNS0_17counting_iteratorIjlEEPS9_SE_NS0_5tupleIJPjSE_EEENSF_IJSE_SE_EEES9_SG_JZNS1_25segmented_radix_sort_implINS0_14default_configELb1EPKdPdPKlPlN2at6native12_GLOBAL__N_18offset_tEEE10hipError_tPvRmT1_PNSt15iterator_traitsISY_E10value_typeET2_T3_PNSZ_IS14_E10value_typeET4_jRbjT5_S1A_jjP12ihipStream_tbEUljE_EEESV_SW_SX_S14_S18_S1A_T6_T7_T9_mT8_S1C_bDpT10_ENKUlT_T0_E_clISt17integral_constantIbLb0EES1P_EEDaS1K_S1L_EUlS1K_E_NS1_11comp_targetILNS1_3genE3ELNS1_11target_archE908ELNS1_3gpuE7ELNS1_3repE0EEENS1_30default_config_static_selectorELNS0_4arch9wavefront6targetE0EEEvSY_
                                        ; -- End function
	.set _ZN7rocprim17ROCPRIM_400000_NS6detail17trampoline_kernelINS0_13select_configILj256ELj13ELNS0_17block_load_methodE3ELS4_3ELS4_3ELNS0_20block_scan_algorithmE0ELj4294967295EEENS1_25partition_config_selectorILNS1_17partition_subalgoE3EjNS0_10empty_typeEbEEZZNS1_14partition_implILS8_3ELb0ES6_jNS0_17counting_iteratorIjlEEPS9_SE_NS0_5tupleIJPjSE_EEENSF_IJSE_SE_EEES9_SG_JZNS1_25segmented_radix_sort_implINS0_14default_configELb1EPKdPdPKlPlN2at6native12_GLOBAL__N_18offset_tEEE10hipError_tPvRmT1_PNSt15iterator_traitsISY_E10value_typeET2_T3_PNSZ_IS14_E10value_typeET4_jRbjT5_S1A_jjP12ihipStream_tbEUljE_EEESV_SW_SX_S14_S18_S1A_T6_T7_T9_mT8_S1C_bDpT10_ENKUlT_T0_E_clISt17integral_constantIbLb0EES1P_EEDaS1K_S1L_EUlS1K_E_NS1_11comp_targetILNS1_3genE3ELNS1_11target_archE908ELNS1_3gpuE7ELNS1_3repE0EEENS1_30default_config_static_selectorELNS0_4arch9wavefront6targetE0EEEvSY_.num_vgpr, 0
	.set _ZN7rocprim17ROCPRIM_400000_NS6detail17trampoline_kernelINS0_13select_configILj256ELj13ELNS0_17block_load_methodE3ELS4_3ELS4_3ELNS0_20block_scan_algorithmE0ELj4294967295EEENS1_25partition_config_selectorILNS1_17partition_subalgoE3EjNS0_10empty_typeEbEEZZNS1_14partition_implILS8_3ELb0ES6_jNS0_17counting_iteratorIjlEEPS9_SE_NS0_5tupleIJPjSE_EEENSF_IJSE_SE_EEES9_SG_JZNS1_25segmented_radix_sort_implINS0_14default_configELb1EPKdPdPKlPlN2at6native12_GLOBAL__N_18offset_tEEE10hipError_tPvRmT1_PNSt15iterator_traitsISY_E10value_typeET2_T3_PNSZ_IS14_E10value_typeET4_jRbjT5_S1A_jjP12ihipStream_tbEUljE_EEESV_SW_SX_S14_S18_S1A_T6_T7_T9_mT8_S1C_bDpT10_ENKUlT_T0_E_clISt17integral_constantIbLb0EES1P_EEDaS1K_S1L_EUlS1K_E_NS1_11comp_targetILNS1_3genE3ELNS1_11target_archE908ELNS1_3gpuE7ELNS1_3repE0EEENS1_30default_config_static_selectorELNS0_4arch9wavefront6targetE0EEEvSY_.num_agpr, 0
	.set _ZN7rocprim17ROCPRIM_400000_NS6detail17trampoline_kernelINS0_13select_configILj256ELj13ELNS0_17block_load_methodE3ELS4_3ELS4_3ELNS0_20block_scan_algorithmE0ELj4294967295EEENS1_25partition_config_selectorILNS1_17partition_subalgoE3EjNS0_10empty_typeEbEEZZNS1_14partition_implILS8_3ELb0ES6_jNS0_17counting_iteratorIjlEEPS9_SE_NS0_5tupleIJPjSE_EEENSF_IJSE_SE_EEES9_SG_JZNS1_25segmented_radix_sort_implINS0_14default_configELb1EPKdPdPKlPlN2at6native12_GLOBAL__N_18offset_tEEE10hipError_tPvRmT1_PNSt15iterator_traitsISY_E10value_typeET2_T3_PNSZ_IS14_E10value_typeET4_jRbjT5_S1A_jjP12ihipStream_tbEUljE_EEESV_SW_SX_S14_S18_S1A_T6_T7_T9_mT8_S1C_bDpT10_ENKUlT_T0_E_clISt17integral_constantIbLb0EES1P_EEDaS1K_S1L_EUlS1K_E_NS1_11comp_targetILNS1_3genE3ELNS1_11target_archE908ELNS1_3gpuE7ELNS1_3repE0EEENS1_30default_config_static_selectorELNS0_4arch9wavefront6targetE0EEEvSY_.numbered_sgpr, 0
	.set _ZN7rocprim17ROCPRIM_400000_NS6detail17trampoline_kernelINS0_13select_configILj256ELj13ELNS0_17block_load_methodE3ELS4_3ELS4_3ELNS0_20block_scan_algorithmE0ELj4294967295EEENS1_25partition_config_selectorILNS1_17partition_subalgoE3EjNS0_10empty_typeEbEEZZNS1_14partition_implILS8_3ELb0ES6_jNS0_17counting_iteratorIjlEEPS9_SE_NS0_5tupleIJPjSE_EEENSF_IJSE_SE_EEES9_SG_JZNS1_25segmented_radix_sort_implINS0_14default_configELb1EPKdPdPKlPlN2at6native12_GLOBAL__N_18offset_tEEE10hipError_tPvRmT1_PNSt15iterator_traitsISY_E10value_typeET2_T3_PNSZ_IS14_E10value_typeET4_jRbjT5_S1A_jjP12ihipStream_tbEUljE_EEESV_SW_SX_S14_S18_S1A_T6_T7_T9_mT8_S1C_bDpT10_ENKUlT_T0_E_clISt17integral_constantIbLb0EES1P_EEDaS1K_S1L_EUlS1K_E_NS1_11comp_targetILNS1_3genE3ELNS1_11target_archE908ELNS1_3gpuE7ELNS1_3repE0EEENS1_30default_config_static_selectorELNS0_4arch9wavefront6targetE0EEEvSY_.num_named_barrier, 0
	.set _ZN7rocprim17ROCPRIM_400000_NS6detail17trampoline_kernelINS0_13select_configILj256ELj13ELNS0_17block_load_methodE3ELS4_3ELS4_3ELNS0_20block_scan_algorithmE0ELj4294967295EEENS1_25partition_config_selectorILNS1_17partition_subalgoE3EjNS0_10empty_typeEbEEZZNS1_14partition_implILS8_3ELb0ES6_jNS0_17counting_iteratorIjlEEPS9_SE_NS0_5tupleIJPjSE_EEENSF_IJSE_SE_EEES9_SG_JZNS1_25segmented_radix_sort_implINS0_14default_configELb1EPKdPdPKlPlN2at6native12_GLOBAL__N_18offset_tEEE10hipError_tPvRmT1_PNSt15iterator_traitsISY_E10value_typeET2_T3_PNSZ_IS14_E10value_typeET4_jRbjT5_S1A_jjP12ihipStream_tbEUljE_EEESV_SW_SX_S14_S18_S1A_T6_T7_T9_mT8_S1C_bDpT10_ENKUlT_T0_E_clISt17integral_constantIbLb0EES1P_EEDaS1K_S1L_EUlS1K_E_NS1_11comp_targetILNS1_3genE3ELNS1_11target_archE908ELNS1_3gpuE7ELNS1_3repE0EEENS1_30default_config_static_selectorELNS0_4arch9wavefront6targetE0EEEvSY_.private_seg_size, 0
	.set _ZN7rocprim17ROCPRIM_400000_NS6detail17trampoline_kernelINS0_13select_configILj256ELj13ELNS0_17block_load_methodE3ELS4_3ELS4_3ELNS0_20block_scan_algorithmE0ELj4294967295EEENS1_25partition_config_selectorILNS1_17partition_subalgoE3EjNS0_10empty_typeEbEEZZNS1_14partition_implILS8_3ELb0ES6_jNS0_17counting_iteratorIjlEEPS9_SE_NS0_5tupleIJPjSE_EEENSF_IJSE_SE_EEES9_SG_JZNS1_25segmented_radix_sort_implINS0_14default_configELb1EPKdPdPKlPlN2at6native12_GLOBAL__N_18offset_tEEE10hipError_tPvRmT1_PNSt15iterator_traitsISY_E10value_typeET2_T3_PNSZ_IS14_E10value_typeET4_jRbjT5_S1A_jjP12ihipStream_tbEUljE_EEESV_SW_SX_S14_S18_S1A_T6_T7_T9_mT8_S1C_bDpT10_ENKUlT_T0_E_clISt17integral_constantIbLb0EES1P_EEDaS1K_S1L_EUlS1K_E_NS1_11comp_targetILNS1_3genE3ELNS1_11target_archE908ELNS1_3gpuE7ELNS1_3repE0EEENS1_30default_config_static_selectorELNS0_4arch9wavefront6targetE0EEEvSY_.uses_vcc, 0
	.set _ZN7rocprim17ROCPRIM_400000_NS6detail17trampoline_kernelINS0_13select_configILj256ELj13ELNS0_17block_load_methodE3ELS4_3ELS4_3ELNS0_20block_scan_algorithmE0ELj4294967295EEENS1_25partition_config_selectorILNS1_17partition_subalgoE3EjNS0_10empty_typeEbEEZZNS1_14partition_implILS8_3ELb0ES6_jNS0_17counting_iteratorIjlEEPS9_SE_NS0_5tupleIJPjSE_EEENSF_IJSE_SE_EEES9_SG_JZNS1_25segmented_radix_sort_implINS0_14default_configELb1EPKdPdPKlPlN2at6native12_GLOBAL__N_18offset_tEEE10hipError_tPvRmT1_PNSt15iterator_traitsISY_E10value_typeET2_T3_PNSZ_IS14_E10value_typeET4_jRbjT5_S1A_jjP12ihipStream_tbEUljE_EEESV_SW_SX_S14_S18_S1A_T6_T7_T9_mT8_S1C_bDpT10_ENKUlT_T0_E_clISt17integral_constantIbLb0EES1P_EEDaS1K_S1L_EUlS1K_E_NS1_11comp_targetILNS1_3genE3ELNS1_11target_archE908ELNS1_3gpuE7ELNS1_3repE0EEENS1_30default_config_static_selectorELNS0_4arch9wavefront6targetE0EEEvSY_.uses_flat_scratch, 0
	.set _ZN7rocprim17ROCPRIM_400000_NS6detail17trampoline_kernelINS0_13select_configILj256ELj13ELNS0_17block_load_methodE3ELS4_3ELS4_3ELNS0_20block_scan_algorithmE0ELj4294967295EEENS1_25partition_config_selectorILNS1_17partition_subalgoE3EjNS0_10empty_typeEbEEZZNS1_14partition_implILS8_3ELb0ES6_jNS0_17counting_iteratorIjlEEPS9_SE_NS0_5tupleIJPjSE_EEENSF_IJSE_SE_EEES9_SG_JZNS1_25segmented_radix_sort_implINS0_14default_configELb1EPKdPdPKlPlN2at6native12_GLOBAL__N_18offset_tEEE10hipError_tPvRmT1_PNSt15iterator_traitsISY_E10value_typeET2_T3_PNSZ_IS14_E10value_typeET4_jRbjT5_S1A_jjP12ihipStream_tbEUljE_EEESV_SW_SX_S14_S18_S1A_T6_T7_T9_mT8_S1C_bDpT10_ENKUlT_T0_E_clISt17integral_constantIbLb0EES1P_EEDaS1K_S1L_EUlS1K_E_NS1_11comp_targetILNS1_3genE3ELNS1_11target_archE908ELNS1_3gpuE7ELNS1_3repE0EEENS1_30default_config_static_selectorELNS0_4arch9wavefront6targetE0EEEvSY_.has_dyn_sized_stack, 0
	.set _ZN7rocprim17ROCPRIM_400000_NS6detail17trampoline_kernelINS0_13select_configILj256ELj13ELNS0_17block_load_methodE3ELS4_3ELS4_3ELNS0_20block_scan_algorithmE0ELj4294967295EEENS1_25partition_config_selectorILNS1_17partition_subalgoE3EjNS0_10empty_typeEbEEZZNS1_14partition_implILS8_3ELb0ES6_jNS0_17counting_iteratorIjlEEPS9_SE_NS0_5tupleIJPjSE_EEENSF_IJSE_SE_EEES9_SG_JZNS1_25segmented_radix_sort_implINS0_14default_configELb1EPKdPdPKlPlN2at6native12_GLOBAL__N_18offset_tEEE10hipError_tPvRmT1_PNSt15iterator_traitsISY_E10value_typeET2_T3_PNSZ_IS14_E10value_typeET4_jRbjT5_S1A_jjP12ihipStream_tbEUljE_EEESV_SW_SX_S14_S18_S1A_T6_T7_T9_mT8_S1C_bDpT10_ENKUlT_T0_E_clISt17integral_constantIbLb0EES1P_EEDaS1K_S1L_EUlS1K_E_NS1_11comp_targetILNS1_3genE3ELNS1_11target_archE908ELNS1_3gpuE7ELNS1_3repE0EEENS1_30default_config_static_selectorELNS0_4arch9wavefront6targetE0EEEvSY_.has_recursion, 0
	.set _ZN7rocprim17ROCPRIM_400000_NS6detail17trampoline_kernelINS0_13select_configILj256ELj13ELNS0_17block_load_methodE3ELS4_3ELS4_3ELNS0_20block_scan_algorithmE0ELj4294967295EEENS1_25partition_config_selectorILNS1_17partition_subalgoE3EjNS0_10empty_typeEbEEZZNS1_14partition_implILS8_3ELb0ES6_jNS0_17counting_iteratorIjlEEPS9_SE_NS0_5tupleIJPjSE_EEENSF_IJSE_SE_EEES9_SG_JZNS1_25segmented_radix_sort_implINS0_14default_configELb1EPKdPdPKlPlN2at6native12_GLOBAL__N_18offset_tEEE10hipError_tPvRmT1_PNSt15iterator_traitsISY_E10value_typeET2_T3_PNSZ_IS14_E10value_typeET4_jRbjT5_S1A_jjP12ihipStream_tbEUljE_EEESV_SW_SX_S14_S18_S1A_T6_T7_T9_mT8_S1C_bDpT10_ENKUlT_T0_E_clISt17integral_constantIbLb0EES1P_EEDaS1K_S1L_EUlS1K_E_NS1_11comp_targetILNS1_3genE3ELNS1_11target_archE908ELNS1_3gpuE7ELNS1_3repE0EEENS1_30default_config_static_selectorELNS0_4arch9wavefront6targetE0EEEvSY_.has_indirect_call, 0
	.section	.AMDGPU.csdata,"",@progbits
; Kernel info:
; codeLenInByte = 0
; TotalNumSgprs: 0
; NumVgprs: 0
; ScratchSize: 0
; MemoryBound: 0
; FloatMode: 240
; IeeeMode: 1
; LDSByteSize: 0 bytes/workgroup (compile time only)
; SGPRBlocks: 0
; VGPRBlocks: 0
; NumSGPRsForWavesPerEU: 1
; NumVGPRsForWavesPerEU: 1
; Occupancy: 16
; WaveLimiterHint : 0
; COMPUTE_PGM_RSRC2:SCRATCH_EN: 0
; COMPUTE_PGM_RSRC2:USER_SGPR: 6
; COMPUTE_PGM_RSRC2:TRAP_HANDLER: 0
; COMPUTE_PGM_RSRC2:TGID_X_EN: 1
; COMPUTE_PGM_RSRC2:TGID_Y_EN: 0
; COMPUTE_PGM_RSRC2:TGID_Z_EN: 0
; COMPUTE_PGM_RSRC2:TIDIG_COMP_CNT: 0
	.section	.text._ZN7rocprim17ROCPRIM_400000_NS6detail17trampoline_kernelINS0_13select_configILj256ELj13ELNS0_17block_load_methodE3ELS4_3ELS4_3ELNS0_20block_scan_algorithmE0ELj4294967295EEENS1_25partition_config_selectorILNS1_17partition_subalgoE3EjNS0_10empty_typeEbEEZZNS1_14partition_implILS8_3ELb0ES6_jNS0_17counting_iteratorIjlEEPS9_SE_NS0_5tupleIJPjSE_EEENSF_IJSE_SE_EEES9_SG_JZNS1_25segmented_radix_sort_implINS0_14default_configELb1EPKdPdPKlPlN2at6native12_GLOBAL__N_18offset_tEEE10hipError_tPvRmT1_PNSt15iterator_traitsISY_E10value_typeET2_T3_PNSZ_IS14_E10value_typeET4_jRbjT5_S1A_jjP12ihipStream_tbEUljE_EEESV_SW_SX_S14_S18_S1A_T6_T7_T9_mT8_S1C_bDpT10_ENKUlT_T0_E_clISt17integral_constantIbLb0EES1P_EEDaS1K_S1L_EUlS1K_E_NS1_11comp_targetILNS1_3genE2ELNS1_11target_archE906ELNS1_3gpuE6ELNS1_3repE0EEENS1_30default_config_static_selectorELNS0_4arch9wavefront6targetE0EEEvSY_,"axG",@progbits,_ZN7rocprim17ROCPRIM_400000_NS6detail17trampoline_kernelINS0_13select_configILj256ELj13ELNS0_17block_load_methodE3ELS4_3ELS4_3ELNS0_20block_scan_algorithmE0ELj4294967295EEENS1_25partition_config_selectorILNS1_17partition_subalgoE3EjNS0_10empty_typeEbEEZZNS1_14partition_implILS8_3ELb0ES6_jNS0_17counting_iteratorIjlEEPS9_SE_NS0_5tupleIJPjSE_EEENSF_IJSE_SE_EEES9_SG_JZNS1_25segmented_radix_sort_implINS0_14default_configELb1EPKdPdPKlPlN2at6native12_GLOBAL__N_18offset_tEEE10hipError_tPvRmT1_PNSt15iterator_traitsISY_E10value_typeET2_T3_PNSZ_IS14_E10value_typeET4_jRbjT5_S1A_jjP12ihipStream_tbEUljE_EEESV_SW_SX_S14_S18_S1A_T6_T7_T9_mT8_S1C_bDpT10_ENKUlT_T0_E_clISt17integral_constantIbLb0EES1P_EEDaS1K_S1L_EUlS1K_E_NS1_11comp_targetILNS1_3genE2ELNS1_11target_archE906ELNS1_3gpuE6ELNS1_3repE0EEENS1_30default_config_static_selectorELNS0_4arch9wavefront6targetE0EEEvSY_,comdat
	.globl	_ZN7rocprim17ROCPRIM_400000_NS6detail17trampoline_kernelINS0_13select_configILj256ELj13ELNS0_17block_load_methodE3ELS4_3ELS4_3ELNS0_20block_scan_algorithmE0ELj4294967295EEENS1_25partition_config_selectorILNS1_17partition_subalgoE3EjNS0_10empty_typeEbEEZZNS1_14partition_implILS8_3ELb0ES6_jNS0_17counting_iteratorIjlEEPS9_SE_NS0_5tupleIJPjSE_EEENSF_IJSE_SE_EEES9_SG_JZNS1_25segmented_radix_sort_implINS0_14default_configELb1EPKdPdPKlPlN2at6native12_GLOBAL__N_18offset_tEEE10hipError_tPvRmT1_PNSt15iterator_traitsISY_E10value_typeET2_T3_PNSZ_IS14_E10value_typeET4_jRbjT5_S1A_jjP12ihipStream_tbEUljE_EEESV_SW_SX_S14_S18_S1A_T6_T7_T9_mT8_S1C_bDpT10_ENKUlT_T0_E_clISt17integral_constantIbLb0EES1P_EEDaS1K_S1L_EUlS1K_E_NS1_11comp_targetILNS1_3genE2ELNS1_11target_archE906ELNS1_3gpuE6ELNS1_3repE0EEENS1_30default_config_static_selectorELNS0_4arch9wavefront6targetE0EEEvSY_ ; -- Begin function _ZN7rocprim17ROCPRIM_400000_NS6detail17trampoline_kernelINS0_13select_configILj256ELj13ELNS0_17block_load_methodE3ELS4_3ELS4_3ELNS0_20block_scan_algorithmE0ELj4294967295EEENS1_25partition_config_selectorILNS1_17partition_subalgoE3EjNS0_10empty_typeEbEEZZNS1_14partition_implILS8_3ELb0ES6_jNS0_17counting_iteratorIjlEEPS9_SE_NS0_5tupleIJPjSE_EEENSF_IJSE_SE_EEES9_SG_JZNS1_25segmented_radix_sort_implINS0_14default_configELb1EPKdPdPKlPlN2at6native12_GLOBAL__N_18offset_tEEE10hipError_tPvRmT1_PNSt15iterator_traitsISY_E10value_typeET2_T3_PNSZ_IS14_E10value_typeET4_jRbjT5_S1A_jjP12ihipStream_tbEUljE_EEESV_SW_SX_S14_S18_S1A_T6_T7_T9_mT8_S1C_bDpT10_ENKUlT_T0_E_clISt17integral_constantIbLb0EES1P_EEDaS1K_S1L_EUlS1K_E_NS1_11comp_targetILNS1_3genE2ELNS1_11target_archE906ELNS1_3gpuE6ELNS1_3repE0EEENS1_30default_config_static_selectorELNS0_4arch9wavefront6targetE0EEEvSY_
	.p2align	8
	.type	_ZN7rocprim17ROCPRIM_400000_NS6detail17trampoline_kernelINS0_13select_configILj256ELj13ELNS0_17block_load_methodE3ELS4_3ELS4_3ELNS0_20block_scan_algorithmE0ELj4294967295EEENS1_25partition_config_selectorILNS1_17partition_subalgoE3EjNS0_10empty_typeEbEEZZNS1_14partition_implILS8_3ELb0ES6_jNS0_17counting_iteratorIjlEEPS9_SE_NS0_5tupleIJPjSE_EEENSF_IJSE_SE_EEES9_SG_JZNS1_25segmented_radix_sort_implINS0_14default_configELb1EPKdPdPKlPlN2at6native12_GLOBAL__N_18offset_tEEE10hipError_tPvRmT1_PNSt15iterator_traitsISY_E10value_typeET2_T3_PNSZ_IS14_E10value_typeET4_jRbjT5_S1A_jjP12ihipStream_tbEUljE_EEESV_SW_SX_S14_S18_S1A_T6_T7_T9_mT8_S1C_bDpT10_ENKUlT_T0_E_clISt17integral_constantIbLb0EES1P_EEDaS1K_S1L_EUlS1K_E_NS1_11comp_targetILNS1_3genE2ELNS1_11target_archE906ELNS1_3gpuE6ELNS1_3repE0EEENS1_30default_config_static_selectorELNS0_4arch9wavefront6targetE0EEEvSY_,@function
_ZN7rocprim17ROCPRIM_400000_NS6detail17trampoline_kernelINS0_13select_configILj256ELj13ELNS0_17block_load_methodE3ELS4_3ELS4_3ELNS0_20block_scan_algorithmE0ELj4294967295EEENS1_25partition_config_selectorILNS1_17partition_subalgoE3EjNS0_10empty_typeEbEEZZNS1_14partition_implILS8_3ELb0ES6_jNS0_17counting_iteratorIjlEEPS9_SE_NS0_5tupleIJPjSE_EEENSF_IJSE_SE_EEES9_SG_JZNS1_25segmented_radix_sort_implINS0_14default_configELb1EPKdPdPKlPlN2at6native12_GLOBAL__N_18offset_tEEE10hipError_tPvRmT1_PNSt15iterator_traitsISY_E10value_typeET2_T3_PNSZ_IS14_E10value_typeET4_jRbjT5_S1A_jjP12ihipStream_tbEUljE_EEESV_SW_SX_S14_S18_S1A_T6_T7_T9_mT8_S1C_bDpT10_ENKUlT_T0_E_clISt17integral_constantIbLb0EES1P_EEDaS1K_S1L_EUlS1K_E_NS1_11comp_targetILNS1_3genE2ELNS1_11target_archE906ELNS1_3gpuE6ELNS1_3repE0EEENS1_30default_config_static_selectorELNS0_4arch9wavefront6targetE0EEEvSY_: ; @_ZN7rocprim17ROCPRIM_400000_NS6detail17trampoline_kernelINS0_13select_configILj256ELj13ELNS0_17block_load_methodE3ELS4_3ELS4_3ELNS0_20block_scan_algorithmE0ELj4294967295EEENS1_25partition_config_selectorILNS1_17partition_subalgoE3EjNS0_10empty_typeEbEEZZNS1_14partition_implILS8_3ELb0ES6_jNS0_17counting_iteratorIjlEEPS9_SE_NS0_5tupleIJPjSE_EEENSF_IJSE_SE_EEES9_SG_JZNS1_25segmented_radix_sort_implINS0_14default_configELb1EPKdPdPKlPlN2at6native12_GLOBAL__N_18offset_tEEE10hipError_tPvRmT1_PNSt15iterator_traitsISY_E10value_typeET2_T3_PNSZ_IS14_E10value_typeET4_jRbjT5_S1A_jjP12ihipStream_tbEUljE_EEESV_SW_SX_S14_S18_S1A_T6_T7_T9_mT8_S1C_bDpT10_ENKUlT_T0_E_clISt17integral_constantIbLb0EES1P_EEDaS1K_S1L_EUlS1K_E_NS1_11comp_targetILNS1_3genE2ELNS1_11target_archE906ELNS1_3gpuE6ELNS1_3repE0EEENS1_30default_config_static_selectorELNS0_4arch9wavefront6targetE0EEEvSY_
; %bb.0:
	.section	.rodata,"a",@progbits
	.p2align	6, 0x0
	.amdhsa_kernel _ZN7rocprim17ROCPRIM_400000_NS6detail17trampoline_kernelINS0_13select_configILj256ELj13ELNS0_17block_load_methodE3ELS4_3ELS4_3ELNS0_20block_scan_algorithmE0ELj4294967295EEENS1_25partition_config_selectorILNS1_17partition_subalgoE3EjNS0_10empty_typeEbEEZZNS1_14partition_implILS8_3ELb0ES6_jNS0_17counting_iteratorIjlEEPS9_SE_NS0_5tupleIJPjSE_EEENSF_IJSE_SE_EEES9_SG_JZNS1_25segmented_radix_sort_implINS0_14default_configELb1EPKdPdPKlPlN2at6native12_GLOBAL__N_18offset_tEEE10hipError_tPvRmT1_PNSt15iterator_traitsISY_E10value_typeET2_T3_PNSZ_IS14_E10value_typeET4_jRbjT5_S1A_jjP12ihipStream_tbEUljE_EEESV_SW_SX_S14_S18_S1A_T6_T7_T9_mT8_S1C_bDpT10_ENKUlT_T0_E_clISt17integral_constantIbLb0EES1P_EEDaS1K_S1L_EUlS1K_E_NS1_11comp_targetILNS1_3genE2ELNS1_11target_archE906ELNS1_3gpuE6ELNS1_3repE0EEENS1_30default_config_static_selectorELNS0_4arch9wavefront6targetE0EEEvSY_
		.amdhsa_group_segment_fixed_size 0
		.amdhsa_private_segment_fixed_size 0
		.amdhsa_kernarg_size 144
		.amdhsa_user_sgpr_count 6
		.amdhsa_user_sgpr_private_segment_buffer 1
		.amdhsa_user_sgpr_dispatch_ptr 0
		.amdhsa_user_sgpr_queue_ptr 0
		.amdhsa_user_sgpr_kernarg_segment_ptr 1
		.amdhsa_user_sgpr_dispatch_id 0
		.amdhsa_user_sgpr_flat_scratch_init 0
		.amdhsa_user_sgpr_private_segment_size 0
		.amdhsa_wavefront_size32 1
		.amdhsa_uses_dynamic_stack 0
		.amdhsa_system_sgpr_private_segment_wavefront_offset 0
		.amdhsa_system_sgpr_workgroup_id_x 1
		.amdhsa_system_sgpr_workgroup_id_y 0
		.amdhsa_system_sgpr_workgroup_id_z 0
		.amdhsa_system_sgpr_workgroup_info 0
		.amdhsa_system_vgpr_workitem_id 0
		.amdhsa_next_free_vgpr 1
		.amdhsa_next_free_sgpr 1
		.amdhsa_reserve_vcc 0
		.amdhsa_reserve_flat_scratch 0
		.amdhsa_float_round_mode_32 0
		.amdhsa_float_round_mode_16_64 0
		.amdhsa_float_denorm_mode_32 3
		.amdhsa_float_denorm_mode_16_64 3
		.amdhsa_dx10_clamp 1
		.amdhsa_ieee_mode 1
		.amdhsa_fp16_overflow 0
		.amdhsa_workgroup_processor_mode 1
		.amdhsa_memory_ordered 1
		.amdhsa_forward_progress 1
		.amdhsa_shared_vgpr_count 0
		.amdhsa_exception_fp_ieee_invalid_op 0
		.amdhsa_exception_fp_denorm_src 0
		.amdhsa_exception_fp_ieee_div_zero 0
		.amdhsa_exception_fp_ieee_overflow 0
		.amdhsa_exception_fp_ieee_underflow 0
		.amdhsa_exception_fp_ieee_inexact 0
		.amdhsa_exception_int_div_zero 0
	.end_amdhsa_kernel
	.section	.text._ZN7rocprim17ROCPRIM_400000_NS6detail17trampoline_kernelINS0_13select_configILj256ELj13ELNS0_17block_load_methodE3ELS4_3ELS4_3ELNS0_20block_scan_algorithmE0ELj4294967295EEENS1_25partition_config_selectorILNS1_17partition_subalgoE3EjNS0_10empty_typeEbEEZZNS1_14partition_implILS8_3ELb0ES6_jNS0_17counting_iteratorIjlEEPS9_SE_NS0_5tupleIJPjSE_EEENSF_IJSE_SE_EEES9_SG_JZNS1_25segmented_radix_sort_implINS0_14default_configELb1EPKdPdPKlPlN2at6native12_GLOBAL__N_18offset_tEEE10hipError_tPvRmT1_PNSt15iterator_traitsISY_E10value_typeET2_T3_PNSZ_IS14_E10value_typeET4_jRbjT5_S1A_jjP12ihipStream_tbEUljE_EEESV_SW_SX_S14_S18_S1A_T6_T7_T9_mT8_S1C_bDpT10_ENKUlT_T0_E_clISt17integral_constantIbLb0EES1P_EEDaS1K_S1L_EUlS1K_E_NS1_11comp_targetILNS1_3genE2ELNS1_11target_archE906ELNS1_3gpuE6ELNS1_3repE0EEENS1_30default_config_static_selectorELNS0_4arch9wavefront6targetE0EEEvSY_,"axG",@progbits,_ZN7rocprim17ROCPRIM_400000_NS6detail17trampoline_kernelINS0_13select_configILj256ELj13ELNS0_17block_load_methodE3ELS4_3ELS4_3ELNS0_20block_scan_algorithmE0ELj4294967295EEENS1_25partition_config_selectorILNS1_17partition_subalgoE3EjNS0_10empty_typeEbEEZZNS1_14partition_implILS8_3ELb0ES6_jNS0_17counting_iteratorIjlEEPS9_SE_NS0_5tupleIJPjSE_EEENSF_IJSE_SE_EEES9_SG_JZNS1_25segmented_radix_sort_implINS0_14default_configELb1EPKdPdPKlPlN2at6native12_GLOBAL__N_18offset_tEEE10hipError_tPvRmT1_PNSt15iterator_traitsISY_E10value_typeET2_T3_PNSZ_IS14_E10value_typeET4_jRbjT5_S1A_jjP12ihipStream_tbEUljE_EEESV_SW_SX_S14_S18_S1A_T6_T7_T9_mT8_S1C_bDpT10_ENKUlT_T0_E_clISt17integral_constantIbLb0EES1P_EEDaS1K_S1L_EUlS1K_E_NS1_11comp_targetILNS1_3genE2ELNS1_11target_archE906ELNS1_3gpuE6ELNS1_3repE0EEENS1_30default_config_static_selectorELNS0_4arch9wavefront6targetE0EEEvSY_,comdat
.Lfunc_end1082:
	.size	_ZN7rocprim17ROCPRIM_400000_NS6detail17trampoline_kernelINS0_13select_configILj256ELj13ELNS0_17block_load_methodE3ELS4_3ELS4_3ELNS0_20block_scan_algorithmE0ELj4294967295EEENS1_25partition_config_selectorILNS1_17partition_subalgoE3EjNS0_10empty_typeEbEEZZNS1_14partition_implILS8_3ELb0ES6_jNS0_17counting_iteratorIjlEEPS9_SE_NS0_5tupleIJPjSE_EEENSF_IJSE_SE_EEES9_SG_JZNS1_25segmented_radix_sort_implINS0_14default_configELb1EPKdPdPKlPlN2at6native12_GLOBAL__N_18offset_tEEE10hipError_tPvRmT1_PNSt15iterator_traitsISY_E10value_typeET2_T3_PNSZ_IS14_E10value_typeET4_jRbjT5_S1A_jjP12ihipStream_tbEUljE_EEESV_SW_SX_S14_S18_S1A_T6_T7_T9_mT8_S1C_bDpT10_ENKUlT_T0_E_clISt17integral_constantIbLb0EES1P_EEDaS1K_S1L_EUlS1K_E_NS1_11comp_targetILNS1_3genE2ELNS1_11target_archE906ELNS1_3gpuE6ELNS1_3repE0EEENS1_30default_config_static_selectorELNS0_4arch9wavefront6targetE0EEEvSY_, .Lfunc_end1082-_ZN7rocprim17ROCPRIM_400000_NS6detail17trampoline_kernelINS0_13select_configILj256ELj13ELNS0_17block_load_methodE3ELS4_3ELS4_3ELNS0_20block_scan_algorithmE0ELj4294967295EEENS1_25partition_config_selectorILNS1_17partition_subalgoE3EjNS0_10empty_typeEbEEZZNS1_14partition_implILS8_3ELb0ES6_jNS0_17counting_iteratorIjlEEPS9_SE_NS0_5tupleIJPjSE_EEENSF_IJSE_SE_EEES9_SG_JZNS1_25segmented_radix_sort_implINS0_14default_configELb1EPKdPdPKlPlN2at6native12_GLOBAL__N_18offset_tEEE10hipError_tPvRmT1_PNSt15iterator_traitsISY_E10value_typeET2_T3_PNSZ_IS14_E10value_typeET4_jRbjT5_S1A_jjP12ihipStream_tbEUljE_EEESV_SW_SX_S14_S18_S1A_T6_T7_T9_mT8_S1C_bDpT10_ENKUlT_T0_E_clISt17integral_constantIbLb0EES1P_EEDaS1K_S1L_EUlS1K_E_NS1_11comp_targetILNS1_3genE2ELNS1_11target_archE906ELNS1_3gpuE6ELNS1_3repE0EEENS1_30default_config_static_selectorELNS0_4arch9wavefront6targetE0EEEvSY_
                                        ; -- End function
	.set _ZN7rocprim17ROCPRIM_400000_NS6detail17trampoline_kernelINS0_13select_configILj256ELj13ELNS0_17block_load_methodE3ELS4_3ELS4_3ELNS0_20block_scan_algorithmE0ELj4294967295EEENS1_25partition_config_selectorILNS1_17partition_subalgoE3EjNS0_10empty_typeEbEEZZNS1_14partition_implILS8_3ELb0ES6_jNS0_17counting_iteratorIjlEEPS9_SE_NS0_5tupleIJPjSE_EEENSF_IJSE_SE_EEES9_SG_JZNS1_25segmented_radix_sort_implINS0_14default_configELb1EPKdPdPKlPlN2at6native12_GLOBAL__N_18offset_tEEE10hipError_tPvRmT1_PNSt15iterator_traitsISY_E10value_typeET2_T3_PNSZ_IS14_E10value_typeET4_jRbjT5_S1A_jjP12ihipStream_tbEUljE_EEESV_SW_SX_S14_S18_S1A_T6_T7_T9_mT8_S1C_bDpT10_ENKUlT_T0_E_clISt17integral_constantIbLb0EES1P_EEDaS1K_S1L_EUlS1K_E_NS1_11comp_targetILNS1_3genE2ELNS1_11target_archE906ELNS1_3gpuE6ELNS1_3repE0EEENS1_30default_config_static_selectorELNS0_4arch9wavefront6targetE0EEEvSY_.num_vgpr, 0
	.set _ZN7rocprim17ROCPRIM_400000_NS6detail17trampoline_kernelINS0_13select_configILj256ELj13ELNS0_17block_load_methodE3ELS4_3ELS4_3ELNS0_20block_scan_algorithmE0ELj4294967295EEENS1_25partition_config_selectorILNS1_17partition_subalgoE3EjNS0_10empty_typeEbEEZZNS1_14partition_implILS8_3ELb0ES6_jNS0_17counting_iteratorIjlEEPS9_SE_NS0_5tupleIJPjSE_EEENSF_IJSE_SE_EEES9_SG_JZNS1_25segmented_radix_sort_implINS0_14default_configELb1EPKdPdPKlPlN2at6native12_GLOBAL__N_18offset_tEEE10hipError_tPvRmT1_PNSt15iterator_traitsISY_E10value_typeET2_T3_PNSZ_IS14_E10value_typeET4_jRbjT5_S1A_jjP12ihipStream_tbEUljE_EEESV_SW_SX_S14_S18_S1A_T6_T7_T9_mT8_S1C_bDpT10_ENKUlT_T0_E_clISt17integral_constantIbLb0EES1P_EEDaS1K_S1L_EUlS1K_E_NS1_11comp_targetILNS1_3genE2ELNS1_11target_archE906ELNS1_3gpuE6ELNS1_3repE0EEENS1_30default_config_static_selectorELNS0_4arch9wavefront6targetE0EEEvSY_.num_agpr, 0
	.set _ZN7rocprim17ROCPRIM_400000_NS6detail17trampoline_kernelINS0_13select_configILj256ELj13ELNS0_17block_load_methodE3ELS4_3ELS4_3ELNS0_20block_scan_algorithmE0ELj4294967295EEENS1_25partition_config_selectorILNS1_17partition_subalgoE3EjNS0_10empty_typeEbEEZZNS1_14partition_implILS8_3ELb0ES6_jNS0_17counting_iteratorIjlEEPS9_SE_NS0_5tupleIJPjSE_EEENSF_IJSE_SE_EEES9_SG_JZNS1_25segmented_radix_sort_implINS0_14default_configELb1EPKdPdPKlPlN2at6native12_GLOBAL__N_18offset_tEEE10hipError_tPvRmT1_PNSt15iterator_traitsISY_E10value_typeET2_T3_PNSZ_IS14_E10value_typeET4_jRbjT5_S1A_jjP12ihipStream_tbEUljE_EEESV_SW_SX_S14_S18_S1A_T6_T7_T9_mT8_S1C_bDpT10_ENKUlT_T0_E_clISt17integral_constantIbLb0EES1P_EEDaS1K_S1L_EUlS1K_E_NS1_11comp_targetILNS1_3genE2ELNS1_11target_archE906ELNS1_3gpuE6ELNS1_3repE0EEENS1_30default_config_static_selectorELNS0_4arch9wavefront6targetE0EEEvSY_.numbered_sgpr, 0
	.set _ZN7rocprim17ROCPRIM_400000_NS6detail17trampoline_kernelINS0_13select_configILj256ELj13ELNS0_17block_load_methodE3ELS4_3ELS4_3ELNS0_20block_scan_algorithmE0ELj4294967295EEENS1_25partition_config_selectorILNS1_17partition_subalgoE3EjNS0_10empty_typeEbEEZZNS1_14partition_implILS8_3ELb0ES6_jNS0_17counting_iteratorIjlEEPS9_SE_NS0_5tupleIJPjSE_EEENSF_IJSE_SE_EEES9_SG_JZNS1_25segmented_radix_sort_implINS0_14default_configELb1EPKdPdPKlPlN2at6native12_GLOBAL__N_18offset_tEEE10hipError_tPvRmT1_PNSt15iterator_traitsISY_E10value_typeET2_T3_PNSZ_IS14_E10value_typeET4_jRbjT5_S1A_jjP12ihipStream_tbEUljE_EEESV_SW_SX_S14_S18_S1A_T6_T7_T9_mT8_S1C_bDpT10_ENKUlT_T0_E_clISt17integral_constantIbLb0EES1P_EEDaS1K_S1L_EUlS1K_E_NS1_11comp_targetILNS1_3genE2ELNS1_11target_archE906ELNS1_3gpuE6ELNS1_3repE0EEENS1_30default_config_static_selectorELNS0_4arch9wavefront6targetE0EEEvSY_.num_named_barrier, 0
	.set _ZN7rocprim17ROCPRIM_400000_NS6detail17trampoline_kernelINS0_13select_configILj256ELj13ELNS0_17block_load_methodE3ELS4_3ELS4_3ELNS0_20block_scan_algorithmE0ELj4294967295EEENS1_25partition_config_selectorILNS1_17partition_subalgoE3EjNS0_10empty_typeEbEEZZNS1_14partition_implILS8_3ELb0ES6_jNS0_17counting_iteratorIjlEEPS9_SE_NS0_5tupleIJPjSE_EEENSF_IJSE_SE_EEES9_SG_JZNS1_25segmented_radix_sort_implINS0_14default_configELb1EPKdPdPKlPlN2at6native12_GLOBAL__N_18offset_tEEE10hipError_tPvRmT1_PNSt15iterator_traitsISY_E10value_typeET2_T3_PNSZ_IS14_E10value_typeET4_jRbjT5_S1A_jjP12ihipStream_tbEUljE_EEESV_SW_SX_S14_S18_S1A_T6_T7_T9_mT8_S1C_bDpT10_ENKUlT_T0_E_clISt17integral_constantIbLb0EES1P_EEDaS1K_S1L_EUlS1K_E_NS1_11comp_targetILNS1_3genE2ELNS1_11target_archE906ELNS1_3gpuE6ELNS1_3repE0EEENS1_30default_config_static_selectorELNS0_4arch9wavefront6targetE0EEEvSY_.private_seg_size, 0
	.set _ZN7rocprim17ROCPRIM_400000_NS6detail17trampoline_kernelINS0_13select_configILj256ELj13ELNS0_17block_load_methodE3ELS4_3ELS4_3ELNS0_20block_scan_algorithmE0ELj4294967295EEENS1_25partition_config_selectorILNS1_17partition_subalgoE3EjNS0_10empty_typeEbEEZZNS1_14partition_implILS8_3ELb0ES6_jNS0_17counting_iteratorIjlEEPS9_SE_NS0_5tupleIJPjSE_EEENSF_IJSE_SE_EEES9_SG_JZNS1_25segmented_radix_sort_implINS0_14default_configELb1EPKdPdPKlPlN2at6native12_GLOBAL__N_18offset_tEEE10hipError_tPvRmT1_PNSt15iterator_traitsISY_E10value_typeET2_T3_PNSZ_IS14_E10value_typeET4_jRbjT5_S1A_jjP12ihipStream_tbEUljE_EEESV_SW_SX_S14_S18_S1A_T6_T7_T9_mT8_S1C_bDpT10_ENKUlT_T0_E_clISt17integral_constantIbLb0EES1P_EEDaS1K_S1L_EUlS1K_E_NS1_11comp_targetILNS1_3genE2ELNS1_11target_archE906ELNS1_3gpuE6ELNS1_3repE0EEENS1_30default_config_static_selectorELNS0_4arch9wavefront6targetE0EEEvSY_.uses_vcc, 0
	.set _ZN7rocprim17ROCPRIM_400000_NS6detail17trampoline_kernelINS0_13select_configILj256ELj13ELNS0_17block_load_methodE3ELS4_3ELS4_3ELNS0_20block_scan_algorithmE0ELj4294967295EEENS1_25partition_config_selectorILNS1_17partition_subalgoE3EjNS0_10empty_typeEbEEZZNS1_14partition_implILS8_3ELb0ES6_jNS0_17counting_iteratorIjlEEPS9_SE_NS0_5tupleIJPjSE_EEENSF_IJSE_SE_EEES9_SG_JZNS1_25segmented_radix_sort_implINS0_14default_configELb1EPKdPdPKlPlN2at6native12_GLOBAL__N_18offset_tEEE10hipError_tPvRmT1_PNSt15iterator_traitsISY_E10value_typeET2_T3_PNSZ_IS14_E10value_typeET4_jRbjT5_S1A_jjP12ihipStream_tbEUljE_EEESV_SW_SX_S14_S18_S1A_T6_T7_T9_mT8_S1C_bDpT10_ENKUlT_T0_E_clISt17integral_constantIbLb0EES1P_EEDaS1K_S1L_EUlS1K_E_NS1_11comp_targetILNS1_3genE2ELNS1_11target_archE906ELNS1_3gpuE6ELNS1_3repE0EEENS1_30default_config_static_selectorELNS0_4arch9wavefront6targetE0EEEvSY_.uses_flat_scratch, 0
	.set _ZN7rocprim17ROCPRIM_400000_NS6detail17trampoline_kernelINS0_13select_configILj256ELj13ELNS0_17block_load_methodE3ELS4_3ELS4_3ELNS0_20block_scan_algorithmE0ELj4294967295EEENS1_25partition_config_selectorILNS1_17partition_subalgoE3EjNS0_10empty_typeEbEEZZNS1_14partition_implILS8_3ELb0ES6_jNS0_17counting_iteratorIjlEEPS9_SE_NS0_5tupleIJPjSE_EEENSF_IJSE_SE_EEES9_SG_JZNS1_25segmented_radix_sort_implINS0_14default_configELb1EPKdPdPKlPlN2at6native12_GLOBAL__N_18offset_tEEE10hipError_tPvRmT1_PNSt15iterator_traitsISY_E10value_typeET2_T3_PNSZ_IS14_E10value_typeET4_jRbjT5_S1A_jjP12ihipStream_tbEUljE_EEESV_SW_SX_S14_S18_S1A_T6_T7_T9_mT8_S1C_bDpT10_ENKUlT_T0_E_clISt17integral_constantIbLb0EES1P_EEDaS1K_S1L_EUlS1K_E_NS1_11comp_targetILNS1_3genE2ELNS1_11target_archE906ELNS1_3gpuE6ELNS1_3repE0EEENS1_30default_config_static_selectorELNS0_4arch9wavefront6targetE0EEEvSY_.has_dyn_sized_stack, 0
	.set _ZN7rocprim17ROCPRIM_400000_NS6detail17trampoline_kernelINS0_13select_configILj256ELj13ELNS0_17block_load_methodE3ELS4_3ELS4_3ELNS0_20block_scan_algorithmE0ELj4294967295EEENS1_25partition_config_selectorILNS1_17partition_subalgoE3EjNS0_10empty_typeEbEEZZNS1_14partition_implILS8_3ELb0ES6_jNS0_17counting_iteratorIjlEEPS9_SE_NS0_5tupleIJPjSE_EEENSF_IJSE_SE_EEES9_SG_JZNS1_25segmented_radix_sort_implINS0_14default_configELb1EPKdPdPKlPlN2at6native12_GLOBAL__N_18offset_tEEE10hipError_tPvRmT1_PNSt15iterator_traitsISY_E10value_typeET2_T3_PNSZ_IS14_E10value_typeET4_jRbjT5_S1A_jjP12ihipStream_tbEUljE_EEESV_SW_SX_S14_S18_S1A_T6_T7_T9_mT8_S1C_bDpT10_ENKUlT_T0_E_clISt17integral_constantIbLb0EES1P_EEDaS1K_S1L_EUlS1K_E_NS1_11comp_targetILNS1_3genE2ELNS1_11target_archE906ELNS1_3gpuE6ELNS1_3repE0EEENS1_30default_config_static_selectorELNS0_4arch9wavefront6targetE0EEEvSY_.has_recursion, 0
	.set _ZN7rocprim17ROCPRIM_400000_NS6detail17trampoline_kernelINS0_13select_configILj256ELj13ELNS0_17block_load_methodE3ELS4_3ELS4_3ELNS0_20block_scan_algorithmE0ELj4294967295EEENS1_25partition_config_selectorILNS1_17partition_subalgoE3EjNS0_10empty_typeEbEEZZNS1_14partition_implILS8_3ELb0ES6_jNS0_17counting_iteratorIjlEEPS9_SE_NS0_5tupleIJPjSE_EEENSF_IJSE_SE_EEES9_SG_JZNS1_25segmented_radix_sort_implINS0_14default_configELb1EPKdPdPKlPlN2at6native12_GLOBAL__N_18offset_tEEE10hipError_tPvRmT1_PNSt15iterator_traitsISY_E10value_typeET2_T3_PNSZ_IS14_E10value_typeET4_jRbjT5_S1A_jjP12ihipStream_tbEUljE_EEESV_SW_SX_S14_S18_S1A_T6_T7_T9_mT8_S1C_bDpT10_ENKUlT_T0_E_clISt17integral_constantIbLb0EES1P_EEDaS1K_S1L_EUlS1K_E_NS1_11comp_targetILNS1_3genE2ELNS1_11target_archE906ELNS1_3gpuE6ELNS1_3repE0EEENS1_30default_config_static_selectorELNS0_4arch9wavefront6targetE0EEEvSY_.has_indirect_call, 0
	.section	.AMDGPU.csdata,"",@progbits
; Kernel info:
; codeLenInByte = 0
; TotalNumSgprs: 0
; NumVgprs: 0
; ScratchSize: 0
; MemoryBound: 0
; FloatMode: 240
; IeeeMode: 1
; LDSByteSize: 0 bytes/workgroup (compile time only)
; SGPRBlocks: 0
; VGPRBlocks: 0
; NumSGPRsForWavesPerEU: 1
; NumVGPRsForWavesPerEU: 1
; Occupancy: 16
; WaveLimiterHint : 0
; COMPUTE_PGM_RSRC2:SCRATCH_EN: 0
; COMPUTE_PGM_RSRC2:USER_SGPR: 6
; COMPUTE_PGM_RSRC2:TRAP_HANDLER: 0
; COMPUTE_PGM_RSRC2:TGID_X_EN: 1
; COMPUTE_PGM_RSRC2:TGID_Y_EN: 0
; COMPUTE_PGM_RSRC2:TGID_Z_EN: 0
; COMPUTE_PGM_RSRC2:TIDIG_COMP_CNT: 0
	.section	.text._ZN7rocprim17ROCPRIM_400000_NS6detail17trampoline_kernelINS0_13select_configILj256ELj13ELNS0_17block_load_methodE3ELS4_3ELS4_3ELNS0_20block_scan_algorithmE0ELj4294967295EEENS1_25partition_config_selectorILNS1_17partition_subalgoE3EjNS0_10empty_typeEbEEZZNS1_14partition_implILS8_3ELb0ES6_jNS0_17counting_iteratorIjlEEPS9_SE_NS0_5tupleIJPjSE_EEENSF_IJSE_SE_EEES9_SG_JZNS1_25segmented_radix_sort_implINS0_14default_configELb1EPKdPdPKlPlN2at6native12_GLOBAL__N_18offset_tEEE10hipError_tPvRmT1_PNSt15iterator_traitsISY_E10value_typeET2_T3_PNSZ_IS14_E10value_typeET4_jRbjT5_S1A_jjP12ihipStream_tbEUljE_EEESV_SW_SX_S14_S18_S1A_T6_T7_T9_mT8_S1C_bDpT10_ENKUlT_T0_E_clISt17integral_constantIbLb0EES1P_EEDaS1K_S1L_EUlS1K_E_NS1_11comp_targetILNS1_3genE10ELNS1_11target_archE1200ELNS1_3gpuE4ELNS1_3repE0EEENS1_30default_config_static_selectorELNS0_4arch9wavefront6targetE0EEEvSY_,"axG",@progbits,_ZN7rocprim17ROCPRIM_400000_NS6detail17trampoline_kernelINS0_13select_configILj256ELj13ELNS0_17block_load_methodE3ELS4_3ELS4_3ELNS0_20block_scan_algorithmE0ELj4294967295EEENS1_25partition_config_selectorILNS1_17partition_subalgoE3EjNS0_10empty_typeEbEEZZNS1_14partition_implILS8_3ELb0ES6_jNS0_17counting_iteratorIjlEEPS9_SE_NS0_5tupleIJPjSE_EEENSF_IJSE_SE_EEES9_SG_JZNS1_25segmented_radix_sort_implINS0_14default_configELb1EPKdPdPKlPlN2at6native12_GLOBAL__N_18offset_tEEE10hipError_tPvRmT1_PNSt15iterator_traitsISY_E10value_typeET2_T3_PNSZ_IS14_E10value_typeET4_jRbjT5_S1A_jjP12ihipStream_tbEUljE_EEESV_SW_SX_S14_S18_S1A_T6_T7_T9_mT8_S1C_bDpT10_ENKUlT_T0_E_clISt17integral_constantIbLb0EES1P_EEDaS1K_S1L_EUlS1K_E_NS1_11comp_targetILNS1_3genE10ELNS1_11target_archE1200ELNS1_3gpuE4ELNS1_3repE0EEENS1_30default_config_static_selectorELNS0_4arch9wavefront6targetE0EEEvSY_,comdat
	.globl	_ZN7rocprim17ROCPRIM_400000_NS6detail17trampoline_kernelINS0_13select_configILj256ELj13ELNS0_17block_load_methodE3ELS4_3ELS4_3ELNS0_20block_scan_algorithmE0ELj4294967295EEENS1_25partition_config_selectorILNS1_17partition_subalgoE3EjNS0_10empty_typeEbEEZZNS1_14partition_implILS8_3ELb0ES6_jNS0_17counting_iteratorIjlEEPS9_SE_NS0_5tupleIJPjSE_EEENSF_IJSE_SE_EEES9_SG_JZNS1_25segmented_radix_sort_implINS0_14default_configELb1EPKdPdPKlPlN2at6native12_GLOBAL__N_18offset_tEEE10hipError_tPvRmT1_PNSt15iterator_traitsISY_E10value_typeET2_T3_PNSZ_IS14_E10value_typeET4_jRbjT5_S1A_jjP12ihipStream_tbEUljE_EEESV_SW_SX_S14_S18_S1A_T6_T7_T9_mT8_S1C_bDpT10_ENKUlT_T0_E_clISt17integral_constantIbLb0EES1P_EEDaS1K_S1L_EUlS1K_E_NS1_11comp_targetILNS1_3genE10ELNS1_11target_archE1200ELNS1_3gpuE4ELNS1_3repE0EEENS1_30default_config_static_selectorELNS0_4arch9wavefront6targetE0EEEvSY_ ; -- Begin function _ZN7rocprim17ROCPRIM_400000_NS6detail17trampoline_kernelINS0_13select_configILj256ELj13ELNS0_17block_load_methodE3ELS4_3ELS4_3ELNS0_20block_scan_algorithmE0ELj4294967295EEENS1_25partition_config_selectorILNS1_17partition_subalgoE3EjNS0_10empty_typeEbEEZZNS1_14partition_implILS8_3ELb0ES6_jNS0_17counting_iteratorIjlEEPS9_SE_NS0_5tupleIJPjSE_EEENSF_IJSE_SE_EEES9_SG_JZNS1_25segmented_radix_sort_implINS0_14default_configELb1EPKdPdPKlPlN2at6native12_GLOBAL__N_18offset_tEEE10hipError_tPvRmT1_PNSt15iterator_traitsISY_E10value_typeET2_T3_PNSZ_IS14_E10value_typeET4_jRbjT5_S1A_jjP12ihipStream_tbEUljE_EEESV_SW_SX_S14_S18_S1A_T6_T7_T9_mT8_S1C_bDpT10_ENKUlT_T0_E_clISt17integral_constantIbLb0EES1P_EEDaS1K_S1L_EUlS1K_E_NS1_11comp_targetILNS1_3genE10ELNS1_11target_archE1200ELNS1_3gpuE4ELNS1_3repE0EEENS1_30default_config_static_selectorELNS0_4arch9wavefront6targetE0EEEvSY_
	.p2align	8
	.type	_ZN7rocprim17ROCPRIM_400000_NS6detail17trampoline_kernelINS0_13select_configILj256ELj13ELNS0_17block_load_methodE3ELS4_3ELS4_3ELNS0_20block_scan_algorithmE0ELj4294967295EEENS1_25partition_config_selectorILNS1_17partition_subalgoE3EjNS0_10empty_typeEbEEZZNS1_14partition_implILS8_3ELb0ES6_jNS0_17counting_iteratorIjlEEPS9_SE_NS0_5tupleIJPjSE_EEENSF_IJSE_SE_EEES9_SG_JZNS1_25segmented_radix_sort_implINS0_14default_configELb1EPKdPdPKlPlN2at6native12_GLOBAL__N_18offset_tEEE10hipError_tPvRmT1_PNSt15iterator_traitsISY_E10value_typeET2_T3_PNSZ_IS14_E10value_typeET4_jRbjT5_S1A_jjP12ihipStream_tbEUljE_EEESV_SW_SX_S14_S18_S1A_T6_T7_T9_mT8_S1C_bDpT10_ENKUlT_T0_E_clISt17integral_constantIbLb0EES1P_EEDaS1K_S1L_EUlS1K_E_NS1_11comp_targetILNS1_3genE10ELNS1_11target_archE1200ELNS1_3gpuE4ELNS1_3repE0EEENS1_30default_config_static_selectorELNS0_4arch9wavefront6targetE0EEEvSY_,@function
_ZN7rocprim17ROCPRIM_400000_NS6detail17trampoline_kernelINS0_13select_configILj256ELj13ELNS0_17block_load_methodE3ELS4_3ELS4_3ELNS0_20block_scan_algorithmE0ELj4294967295EEENS1_25partition_config_selectorILNS1_17partition_subalgoE3EjNS0_10empty_typeEbEEZZNS1_14partition_implILS8_3ELb0ES6_jNS0_17counting_iteratorIjlEEPS9_SE_NS0_5tupleIJPjSE_EEENSF_IJSE_SE_EEES9_SG_JZNS1_25segmented_radix_sort_implINS0_14default_configELb1EPKdPdPKlPlN2at6native12_GLOBAL__N_18offset_tEEE10hipError_tPvRmT1_PNSt15iterator_traitsISY_E10value_typeET2_T3_PNSZ_IS14_E10value_typeET4_jRbjT5_S1A_jjP12ihipStream_tbEUljE_EEESV_SW_SX_S14_S18_S1A_T6_T7_T9_mT8_S1C_bDpT10_ENKUlT_T0_E_clISt17integral_constantIbLb0EES1P_EEDaS1K_S1L_EUlS1K_E_NS1_11comp_targetILNS1_3genE10ELNS1_11target_archE1200ELNS1_3gpuE4ELNS1_3repE0EEENS1_30default_config_static_selectorELNS0_4arch9wavefront6targetE0EEEvSY_: ; @_ZN7rocprim17ROCPRIM_400000_NS6detail17trampoline_kernelINS0_13select_configILj256ELj13ELNS0_17block_load_methodE3ELS4_3ELS4_3ELNS0_20block_scan_algorithmE0ELj4294967295EEENS1_25partition_config_selectorILNS1_17partition_subalgoE3EjNS0_10empty_typeEbEEZZNS1_14partition_implILS8_3ELb0ES6_jNS0_17counting_iteratorIjlEEPS9_SE_NS0_5tupleIJPjSE_EEENSF_IJSE_SE_EEES9_SG_JZNS1_25segmented_radix_sort_implINS0_14default_configELb1EPKdPdPKlPlN2at6native12_GLOBAL__N_18offset_tEEE10hipError_tPvRmT1_PNSt15iterator_traitsISY_E10value_typeET2_T3_PNSZ_IS14_E10value_typeET4_jRbjT5_S1A_jjP12ihipStream_tbEUljE_EEESV_SW_SX_S14_S18_S1A_T6_T7_T9_mT8_S1C_bDpT10_ENKUlT_T0_E_clISt17integral_constantIbLb0EES1P_EEDaS1K_S1L_EUlS1K_E_NS1_11comp_targetILNS1_3genE10ELNS1_11target_archE1200ELNS1_3gpuE4ELNS1_3repE0EEENS1_30default_config_static_selectorELNS0_4arch9wavefront6targetE0EEEvSY_
; %bb.0:
	.section	.rodata,"a",@progbits
	.p2align	6, 0x0
	.amdhsa_kernel _ZN7rocprim17ROCPRIM_400000_NS6detail17trampoline_kernelINS0_13select_configILj256ELj13ELNS0_17block_load_methodE3ELS4_3ELS4_3ELNS0_20block_scan_algorithmE0ELj4294967295EEENS1_25partition_config_selectorILNS1_17partition_subalgoE3EjNS0_10empty_typeEbEEZZNS1_14partition_implILS8_3ELb0ES6_jNS0_17counting_iteratorIjlEEPS9_SE_NS0_5tupleIJPjSE_EEENSF_IJSE_SE_EEES9_SG_JZNS1_25segmented_radix_sort_implINS0_14default_configELb1EPKdPdPKlPlN2at6native12_GLOBAL__N_18offset_tEEE10hipError_tPvRmT1_PNSt15iterator_traitsISY_E10value_typeET2_T3_PNSZ_IS14_E10value_typeET4_jRbjT5_S1A_jjP12ihipStream_tbEUljE_EEESV_SW_SX_S14_S18_S1A_T6_T7_T9_mT8_S1C_bDpT10_ENKUlT_T0_E_clISt17integral_constantIbLb0EES1P_EEDaS1K_S1L_EUlS1K_E_NS1_11comp_targetILNS1_3genE10ELNS1_11target_archE1200ELNS1_3gpuE4ELNS1_3repE0EEENS1_30default_config_static_selectorELNS0_4arch9wavefront6targetE0EEEvSY_
		.amdhsa_group_segment_fixed_size 0
		.amdhsa_private_segment_fixed_size 0
		.amdhsa_kernarg_size 144
		.amdhsa_user_sgpr_count 6
		.amdhsa_user_sgpr_private_segment_buffer 1
		.amdhsa_user_sgpr_dispatch_ptr 0
		.amdhsa_user_sgpr_queue_ptr 0
		.amdhsa_user_sgpr_kernarg_segment_ptr 1
		.amdhsa_user_sgpr_dispatch_id 0
		.amdhsa_user_sgpr_flat_scratch_init 0
		.amdhsa_user_sgpr_private_segment_size 0
		.amdhsa_wavefront_size32 1
		.amdhsa_uses_dynamic_stack 0
		.amdhsa_system_sgpr_private_segment_wavefront_offset 0
		.amdhsa_system_sgpr_workgroup_id_x 1
		.amdhsa_system_sgpr_workgroup_id_y 0
		.amdhsa_system_sgpr_workgroup_id_z 0
		.amdhsa_system_sgpr_workgroup_info 0
		.amdhsa_system_vgpr_workitem_id 0
		.amdhsa_next_free_vgpr 1
		.amdhsa_next_free_sgpr 1
		.amdhsa_reserve_vcc 0
		.amdhsa_reserve_flat_scratch 0
		.amdhsa_float_round_mode_32 0
		.amdhsa_float_round_mode_16_64 0
		.amdhsa_float_denorm_mode_32 3
		.amdhsa_float_denorm_mode_16_64 3
		.amdhsa_dx10_clamp 1
		.amdhsa_ieee_mode 1
		.amdhsa_fp16_overflow 0
		.amdhsa_workgroup_processor_mode 1
		.amdhsa_memory_ordered 1
		.amdhsa_forward_progress 1
		.amdhsa_shared_vgpr_count 0
		.amdhsa_exception_fp_ieee_invalid_op 0
		.amdhsa_exception_fp_denorm_src 0
		.amdhsa_exception_fp_ieee_div_zero 0
		.amdhsa_exception_fp_ieee_overflow 0
		.amdhsa_exception_fp_ieee_underflow 0
		.amdhsa_exception_fp_ieee_inexact 0
		.amdhsa_exception_int_div_zero 0
	.end_amdhsa_kernel
	.section	.text._ZN7rocprim17ROCPRIM_400000_NS6detail17trampoline_kernelINS0_13select_configILj256ELj13ELNS0_17block_load_methodE3ELS4_3ELS4_3ELNS0_20block_scan_algorithmE0ELj4294967295EEENS1_25partition_config_selectorILNS1_17partition_subalgoE3EjNS0_10empty_typeEbEEZZNS1_14partition_implILS8_3ELb0ES6_jNS0_17counting_iteratorIjlEEPS9_SE_NS0_5tupleIJPjSE_EEENSF_IJSE_SE_EEES9_SG_JZNS1_25segmented_radix_sort_implINS0_14default_configELb1EPKdPdPKlPlN2at6native12_GLOBAL__N_18offset_tEEE10hipError_tPvRmT1_PNSt15iterator_traitsISY_E10value_typeET2_T3_PNSZ_IS14_E10value_typeET4_jRbjT5_S1A_jjP12ihipStream_tbEUljE_EEESV_SW_SX_S14_S18_S1A_T6_T7_T9_mT8_S1C_bDpT10_ENKUlT_T0_E_clISt17integral_constantIbLb0EES1P_EEDaS1K_S1L_EUlS1K_E_NS1_11comp_targetILNS1_3genE10ELNS1_11target_archE1200ELNS1_3gpuE4ELNS1_3repE0EEENS1_30default_config_static_selectorELNS0_4arch9wavefront6targetE0EEEvSY_,"axG",@progbits,_ZN7rocprim17ROCPRIM_400000_NS6detail17trampoline_kernelINS0_13select_configILj256ELj13ELNS0_17block_load_methodE3ELS4_3ELS4_3ELNS0_20block_scan_algorithmE0ELj4294967295EEENS1_25partition_config_selectorILNS1_17partition_subalgoE3EjNS0_10empty_typeEbEEZZNS1_14partition_implILS8_3ELb0ES6_jNS0_17counting_iteratorIjlEEPS9_SE_NS0_5tupleIJPjSE_EEENSF_IJSE_SE_EEES9_SG_JZNS1_25segmented_radix_sort_implINS0_14default_configELb1EPKdPdPKlPlN2at6native12_GLOBAL__N_18offset_tEEE10hipError_tPvRmT1_PNSt15iterator_traitsISY_E10value_typeET2_T3_PNSZ_IS14_E10value_typeET4_jRbjT5_S1A_jjP12ihipStream_tbEUljE_EEESV_SW_SX_S14_S18_S1A_T6_T7_T9_mT8_S1C_bDpT10_ENKUlT_T0_E_clISt17integral_constantIbLb0EES1P_EEDaS1K_S1L_EUlS1K_E_NS1_11comp_targetILNS1_3genE10ELNS1_11target_archE1200ELNS1_3gpuE4ELNS1_3repE0EEENS1_30default_config_static_selectorELNS0_4arch9wavefront6targetE0EEEvSY_,comdat
.Lfunc_end1083:
	.size	_ZN7rocprim17ROCPRIM_400000_NS6detail17trampoline_kernelINS0_13select_configILj256ELj13ELNS0_17block_load_methodE3ELS4_3ELS4_3ELNS0_20block_scan_algorithmE0ELj4294967295EEENS1_25partition_config_selectorILNS1_17partition_subalgoE3EjNS0_10empty_typeEbEEZZNS1_14partition_implILS8_3ELb0ES6_jNS0_17counting_iteratorIjlEEPS9_SE_NS0_5tupleIJPjSE_EEENSF_IJSE_SE_EEES9_SG_JZNS1_25segmented_radix_sort_implINS0_14default_configELb1EPKdPdPKlPlN2at6native12_GLOBAL__N_18offset_tEEE10hipError_tPvRmT1_PNSt15iterator_traitsISY_E10value_typeET2_T3_PNSZ_IS14_E10value_typeET4_jRbjT5_S1A_jjP12ihipStream_tbEUljE_EEESV_SW_SX_S14_S18_S1A_T6_T7_T9_mT8_S1C_bDpT10_ENKUlT_T0_E_clISt17integral_constantIbLb0EES1P_EEDaS1K_S1L_EUlS1K_E_NS1_11comp_targetILNS1_3genE10ELNS1_11target_archE1200ELNS1_3gpuE4ELNS1_3repE0EEENS1_30default_config_static_selectorELNS0_4arch9wavefront6targetE0EEEvSY_, .Lfunc_end1083-_ZN7rocprim17ROCPRIM_400000_NS6detail17trampoline_kernelINS0_13select_configILj256ELj13ELNS0_17block_load_methodE3ELS4_3ELS4_3ELNS0_20block_scan_algorithmE0ELj4294967295EEENS1_25partition_config_selectorILNS1_17partition_subalgoE3EjNS0_10empty_typeEbEEZZNS1_14partition_implILS8_3ELb0ES6_jNS0_17counting_iteratorIjlEEPS9_SE_NS0_5tupleIJPjSE_EEENSF_IJSE_SE_EEES9_SG_JZNS1_25segmented_radix_sort_implINS0_14default_configELb1EPKdPdPKlPlN2at6native12_GLOBAL__N_18offset_tEEE10hipError_tPvRmT1_PNSt15iterator_traitsISY_E10value_typeET2_T3_PNSZ_IS14_E10value_typeET4_jRbjT5_S1A_jjP12ihipStream_tbEUljE_EEESV_SW_SX_S14_S18_S1A_T6_T7_T9_mT8_S1C_bDpT10_ENKUlT_T0_E_clISt17integral_constantIbLb0EES1P_EEDaS1K_S1L_EUlS1K_E_NS1_11comp_targetILNS1_3genE10ELNS1_11target_archE1200ELNS1_3gpuE4ELNS1_3repE0EEENS1_30default_config_static_selectorELNS0_4arch9wavefront6targetE0EEEvSY_
                                        ; -- End function
	.set _ZN7rocprim17ROCPRIM_400000_NS6detail17trampoline_kernelINS0_13select_configILj256ELj13ELNS0_17block_load_methodE3ELS4_3ELS4_3ELNS0_20block_scan_algorithmE0ELj4294967295EEENS1_25partition_config_selectorILNS1_17partition_subalgoE3EjNS0_10empty_typeEbEEZZNS1_14partition_implILS8_3ELb0ES6_jNS0_17counting_iteratorIjlEEPS9_SE_NS0_5tupleIJPjSE_EEENSF_IJSE_SE_EEES9_SG_JZNS1_25segmented_radix_sort_implINS0_14default_configELb1EPKdPdPKlPlN2at6native12_GLOBAL__N_18offset_tEEE10hipError_tPvRmT1_PNSt15iterator_traitsISY_E10value_typeET2_T3_PNSZ_IS14_E10value_typeET4_jRbjT5_S1A_jjP12ihipStream_tbEUljE_EEESV_SW_SX_S14_S18_S1A_T6_T7_T9_mT8_S1C_bDpT10_ENKUlT_T0_E_clISt17integral_constantIbLb0EES1P_EEDaS1K_S1L_EUlS1K_E_NS1_11comp_targetILNS1_3genE10ELNS1_11target_archE1200ELNS1_3gpuE4ELNS1_3repE0EEENS1_30default_config_static_selectorELNS0_4arch9wavefront6targetE0EEEvSY_.num_vgpr, 0
	.set _ZN7rocprim17ROCPRIM_400000_NS6detail17trampoline_kernelINS0_13select_configILj256ELj13ELNS0_17block_load_methodE3ELS4_3ELS4_3ELNS0_20block_scan_algorithmE0ELj4294967295EEENS1_25partition_config_selectorILNS1_17partition_subalgoE3EjNS0_10empty_typeEbEEZZNS1_14partition_implILS8_3ELb0ES6_jNS0_17counting_iteratorIjlEEPS9_SE_NS0_5tupleIJPjSE_EEENSF_IJSE_SE_EEES9_SG_JZNS1_25segmented_radix_sort_implINS0_14default_configELb1EPKdPdPKlPlN2at6native12_GLOBAL__N_18offset_tEEE10hipError_tPvRmT1_PNSt15iterator_traitsISY_E10value_typeET2_T3_PNSZ_IS14_E10value_typeET4_jRbjT5_S1A_jjP12ihipStream_tbEUljE_EEESV_SW_SX_S14_S18_S1A_T6_T7_T9_mT8_S1C_bDpT10_ENKUlT_T0_E_clISt17integral_constantIbLb0EES1P_EEDaS1K_S1L_EUlS1K_E_NS1_11comp_targetILNS1_3genE10ELNS1_11target_archE1200ELNS1_3gpuE4ELNS1_3repE0EEENS1_30default_config_static_selectorELNS0_4arch9wavefront6targetE0EEEvSY_.num_agpr, 0
	.set _ZN7rocprim17ROCPRIM_400000_NS6detail17trampoline_kernelINS0_13select_configILj256ELj13ELNS0_17block_load_methodE3ELS4_3ELS4_3ELNS0_20block_scan_algorithmE0ELj4294967295EEENS1_25partition_config_selectorILNS1_17partition_subalgoE3EjNS0_10empty_typeEbEEZZNS1_14partition_implILS8_3ELb0ES6_jNS0_17counting_iteratorIjlEEPS9_SE_NS0_5tupleIJPjSE_EEENSF_IJSE_SE_EEES9_SG_JZNS1_25segmented_radix_sort_implINS0_14default_configELb1EPKdPdPKlPlN2at6native12_GLOBAL__N_18offset_tEEE10hipError_tPvRmT1_PNSt15iterator_traitsISY_E10value_typeET2_T3_PNSZ_IS14_E10value_typeET4_jRbjT5_S1A_jjP12ihipStream_tbEUljE_EEESV_SW_SX_S14_S18_S1A_T6_T7_T9_mT8_S1C_bDpT10_ENKUlT_T0_E_clISt17integral_constantIbLb0EES1P_EEDaS1K_S1L_EUlS1K_E_NS1_11comp_targetILNS1_3genE10ELNS1_11target_archE1200ELNS1_3gpuE4ELNS1_3repE0EEENS1_30default_config_static_selectorELNS0_4arch9wavefront6targetE0EEEvSY_.numbered_sgpr, 0
	.set _ZN7rocprim17ROCPRIM_400000_NS6detail17trampoline_kernelINS0_13select_configILj256ELj13ELNS0_17block_load_methodE3ELS4_3ELS4_3ELNS0_20block_scan_algorithmE0ELj4294967295EEENS1_25partition_config_selectorILNS1_17partition_subalgoE3EjNS0_10empty_typeEbEEZZNS1_14partition_implILS8_3ELb0ES6_jNS0_17counting_iteratorIjlEEPS9_SE_NS0_5tupleIJPjSE_EEENSF_IJSE_SE_EEES9_SG_JZNS1_25segmented_radix_sort_implINS0_14default_configELb1EPKdPdPKlPlN2at6native12_GLOBAL__N_18offset_tEEE10hipError_tPvRmT1_PNSt15iterator_traitsISY_E10value_typeET2_T3_PNSZ_IS14_E10value_typeET4_jRbjT5_S1A_jjP12ihipStream_tbEUljE_EEESV_SW_SX_S14_S18_S1A_T6_T7_T9_mT8_S1C_bDpT10_ENKUlT_T0_E_clISt17integral_constantIbLb0EES1P_EEDaS1K_S1L_EUlS1K_E_NS1_11comp_targetILNS1_3genE10ELNS1_11target_archE1200ELNS1_3gpuE4ELNS1_3repE0EEENS1_30default_config_static_selectorELNS0_4arch9wavefront6targetE0EEEvSY_.num_named_barrier, 0
	.set _ZN7rocprim17ROCPRIM_400000_NS6detail17trampoline_kernelINS0_13select_configILj256ELj13ELNS0_17block_load_methodE3ELS4_3ELS4_3ELNS0_20block_scan_algorithmE0ELj4294967295EEENS1_25partition_config_selectorILNS1_17partition_subalgoE3EjNS0_10empty_typeEbEEZZNS1_14partition_implILS8_3ELb0ES6_jNS0_17counting_iteratorIjlEEPS9_SE_NS0_5tupleIJPjSE_EEENSF_IJSE_SE_EEES9_SG_JZNS1_25segmented_radix_sort_implINS0_14default_configELb1EPKdPdPKlPlN2at6native12_GLOBAL__N_18offset_tEEE10hipError_tPvRmT1_PNSt15iterator_traitsISY_E10value_typeET2_T3_PNSZ_IS14_E10value_typeET4_jRbjT5_S1A_jjP12ihipStream_tbEUljE_EEESV_SW_SX_S14_S18_S1A_T6_T7_T9_mT8_S1C_bDpT10_ENKUlT_T0_E_clISt17integral_constantIbLb0EES1P_EEDaS1K_S1L_EUlS1K_E_NS1_11comp_targetILNS1_3genE10ELNS1_11target_archE1200ELNS1_3gpuE4ELNS1_3repE0EEENS1_30default_config_static_selectorELNS0_4arch9wavefront6targetE0EEEvSY_.private_seg_size, 0
	.set _ZN7rocprim17ROCPRIM_400000_NS6detail17trampoline_kernelINS0_13select_configILj256ELj13ELNS0_17block_load_methodE3ELS4_3ELS4_3ELNS0_20block_scan_algorithmE0ELj4294967295EEENS1_25partition_config_selectorILNS1_17partition_subalgoE3EjNS0_10empty_typeEbEEZZNS1_14partition_implILS8_3ELb0ES6_jNS0_17counting_iteratorIjlEEPS9_SE_NS0_5tupleIJPjSE_EEENSF_IJSE_SE_EEES9_SG_JZNS1_25segmented_radix_sort_implINS0_14default_configELb1EPKdPdPKlPlN2at6native12_GLOBAL__N_18offset_tEEE10hipError_tPvRmT1_PNSt15iterator_traitsISY_E10value_typeET2_T3_PNSZ_IS14_E10value_typeET4_jRbjT5_S1A_jjP12ihipStream_tbEUljE_EEESV_SW_SX_S14_S18_S1A_T6_T7_T9_mT8_S1C_bDpT10_ENKUlT_T0_E_clISt17integral_constantIbLb0EES1P_EEDaS1K_S1L_EUlS1K_E_NS1_11comp_targetILNS1_3genE10ELNS1_11target_archE1200ELNS1_3gpuE4ELNS1_3repE0EEENS1_30default_config_static_selectorELNS0_4arch9wavefront6targetE0EEEvSY_.uses_vcc, 0
	.set _ZN7rocprim17ROCPRIM_400000_NS6detail17trampoline_kernelINS0_13select_configILj256ELj13ELNS0_17block_load_methodE3ELS4_3ELS4_3ELNS0_20block_scan_algorithmE0ELj4294967295EEENS1_25partition_config_selectorILNS1_17partition_subalgoE3EjNS0_10empty_typeEbEEZZNS1_14partition_implILS8_3ELb0ES6_jNS0_17counting_iteratorIjlEEPS9_SE_NS0_5tupleIJPjSE_EEENSF_IJSE_SE_EEES9_SG_JZNS1_25segmented_radix_sort_implINS0_14default_configELb1EPKdPdPKlPlN2at6native12_GLOBAL__N_18offset_tEEE10hipError_tPvRmT1_PNSt15iterator_traitsISY_E10value_typeET2_T3_PNSZ_IS14_E10value_typeET4_jRbjT5_S1A_jjP12ihipStream_tbEUljE_EEESV_SW_SX_S14_S18_S1A_T6_T7_T9_mT8_S1C_bDpT10_ENKUlT_T0_E_clISt17integral_constantIbLb0EES1P_EEDaS1K_S1L_EUlS1K_E_NS1_11comp_targetILNS1_3genE10ELNS1_11target_archE1200ELNS1_3gpuE4ELNS1_3repE0EEENS1_30default_config_static_selectorELNS0_4arch9wavefront6targetE0EEEvSY_.uses_flat_scratch, 0
	.set _ZN7rocprim17ROCPRIM_400000_NS6detail17trampoline_kernelINS0_13select_configILj256ELj13ELNS0_17block_load_methodE3ELS4_3ELS4_3ELNS0_20block_scan_algorithmE0ELj4294967295EEENS1_25partition_config_selectorILNS1_17partition_subalgoE3EjNS0_10empty_typeEbEEZZNS1_14partition_implILS8_3ELb0ES6_jNS0_17counting_iteratorIjlEEPS9_SE_NS0_5tupleIJPjSE_EEENSF_IJSE_SE_EEES9_SG_JZNS1_25segmented_radix_sort_implINS0_14default_configELb1EPKdPdPKlPlN2at6native12_GLOBAL__N_18offset_tEEE10hipError_tPvRmT1_PNSt15iterator_traitsISY_E10value_typeET2_T3_PNSZ_IS14_E10value_typeET4_jRbjT5_S1A_jjP12ihipStream_tbEUljE_EEESV_SW_SX_S14_S18_S1A_T6_T7_T9_mT8_S1C_bDpT10_ENKUlT_T0_E_clISt17integral_constantIbLb0EES1P_EEDaS1K_S1L_EUlS1K_E_NS1_11comp_targetILNS1_3genE10ELNS1_11target_archE1200ELNS1_3gpuE4ELNS1_3repE0EEENS1_30default_config_static_selectorELNS0_4arch9wavefront6targetE0EEEvSY_.has_dyn_sized_stack, 0
	.set _ZN7rocprim17ROCPRIM_400000_NS6detail17trampoline_kernelINS0_13select_configILj256ELj13ELNS0_17block_load_methodE3ELS4_3ELS4_3ELNS0_20block_scan_algorithmE0ELj4294967295EEENS1_25partition_config_selectorILNS1_17partition_subalgoE3EjNS0_10empty_typeEbEEZZNS1_14partition_implILS8_3ELb0ES6_jNS0_17counting_iteratorIjlEEPS9_SE_NS0_5tupleIJPjSE_EEENSF_IJSE_SE_EEES9_SG_JZNS1_25segmented_radix_sort_implINS0_14default_configELb1EPKdPdPKlPlN2at6native12_GLOBAL__N_18offset_tEEE10hipError_tPvRmT1_PNSt15iterator_traitsISY_E10value_typeET2_T3_PNSZ_IS14_E10value_typeET4_jRbjT5_S1A_jjP12ihipStream_tbEUljE_EEESV_SW_SX_S14_S18_S1A_T6_T7_T9_mT8_S1C_bDpT10_ENKUlT_T0_E_clISt17integral_constantIbLb0EES1P_EEDaS1K_S1L_EUlS1K_E_NS1_11comp_targetILNS1_3genE10ELNS1_11target_archE1200ELNS1_3gpuE4ELNS1_3repE0EEENS1_30default_config_static_selectorELNS0_4arch9wavefront6targetE0EEEvSY_.has_recursion, 0
	.set _ZN7rocprim17ROCPRIM_400000_NS6detail17trampoline_kernelINS0_13select_configILj256ELj13ELNS0_17block_load_methodE3ELS4_3ELS4_3ELNS0_20block_scan_algorithmE0ELj4294967295EEENS1_25partition_config_selectorILNS1_17partition_subalgoE3EjNS0_10empty_typeEbEEZZNS1_14partition_implILS8_3ELb0ES6_jNS0_17counting_iteratorIjlEEPS9_SE_NS0_5tupleIJPjSE_EEENSF_IJSE_SE_EEES9_SG_JZNS1_25segmented_radix_sort_implINS0_14default_configELb1EPKdPdPKlPlN2at6native12_GLOBAL__N_18offset_tEEE10hipError_tPvRmT1_PNSt15iterator_traitsISY_E10value_typeET2_T3_PNSZ_IS14_E10value_typeET4_jRbjT5_S1A_jjP12ihipStream_tbEUljE_EEESV_SW_SX_S14_S18_S1A_T6_T7_T9_mT8_S1C_bDpT10_ENKUlT_T0_E_clISt17integral_constantIbLb0EES1P_EEDaS1K_S1L_EUlS1K_E_NS1_11comp_targetILNS1_3genE10ELNS1_11target_archE1200ELNS1_3gpuE4ELNS1_3repE0EEENS1_30default_config_static_selectorELNS0_4arch9wavefront6targetE0EEEvSY_.has_indirect_call, 0
	.section	.AMDGPU.csdata,"",@progbits
; Kernel info:
; codeLenInByte = 0
; TotalNumSgprs: 0
; NumVgprs: 0
; ScratchSize: 0
; MemoryBound: 0
; FloatMode: 240
; IeeeMode: 1
; LDSByteSize: 0 bytes/workgroup (compile time only)
; SGPRBlocks: 0
; VGPRBlocks: 0
; NumSGPRsForWavesPerEU: 1
; NumVGPRsForWavesPerEU: 1
; Occupancy: 16
; WaveLimiterHint : 0
; COMPUTE_PGM_RSRC2:SCRATCH_EN: 0
; COMPUTE_PGM_RSRC2:USER_SGPR: 6
; COMPUTE_PGM_RSRC2:TRAP_HANDLER: 0
; COMPUTE_PGM_RSRC2:TGID_X_EN: 1
; COMPUTE_PGM_RSRC2:TGID_Y_EN: 0
; COMPUTE_PGM_RSRC2:TGID_Z_EN: 0
; COMPUTE_PGM_RSRC2:TIDIG_COMP_CNT: 0
	.section	.text._ZN7rocprim17ROCPRIM_400000_NS6detail17trampoline_kernelINS0_13select_configILj256ELj13ELNS0_17block_load_methodE3ELS4_3ELS4_3ELNS0_20block_scan_algorithmE0ELj4294967295EEENS1_25partition_config_selectorILNS1_17partition_subalgoE3EjNS0_10empty_typeEbEEZZNS1_14partition_implILS8_3ELb0ES6_jNS0_17counting_iteratorIjlEEPS9_SE_NS0_5tupleIJPjSE_EEENSF_IJSE_SE_EEES9_SG_JZNS1_25segmented_radix_sort_implINS0_14default_configELb1EPKdPdPKlPlN2at6native12_GLOBAL__N_18offset_tEEE10hipError_tPvRmT1_PNSt15iterator_traitsISY_E10value_typeET2_T3_PNSZ_IS14_E10value_typeET4_jRbjT5_S1A_jjP12ihipStream_tbEUljE_EEESV_SW_SX_S14_S18_S1A_T6_T7_T9_mT8_S1C_bDpT10_ENKUlT_T0_E_clISt17integral_constantIbLb0EES1P_EEDaS1K_S1L_EUlS1K_E_NS1_11comp_targetILNS1_3genE9ELNS1_11target_archE1100ELNS1_3gpuE3ELNS1_3repE0EEENS1_30default_config_static_selectorELNS0_4arch9wavefront6targetE0EEEvSY_,"axG",@progbits,_ZN7rocprim17ROCPRIM_400000_NS6detail17trampoline_kernelINS0_13select_configILj256ELj13ELNS0_17block_load_methodE3ELS4_3ELS4_3ELNS0_20block_scan_algorithmE0ELj4294967295EEENS1_25partition_config_selectorILNS1_17partition_subalgoE3EjNS0_10empty_typeEbEEZZNS1_14partition_implILS8_3ELb0ES6_jNS0_17counting_iteratorIjlEEPS9_SE_NS0_5tupleIJPjSE_EEENSF_IJSE_SE_EEES9_SG_JZNS1_25segmented_radix_sort_implINS0_14default_configELb1EPKdPdPKlPlN2at6native12_GLOBAL__N_18offset_tEEE10hipError_tPvRmT1_PNSt15iterator_traitsISY_E10value_typeET2_T3_PNSZ_IS14_E10value_typeET4_jRbjT5_S1A_jjP12ihipStream_tbEUljE_EEESV_SW_SX_S14_S18_S1A_T6_T7_T9_mT8_S1C_bDpT10_ENKUlT_T0_E_clISt17integral_constantIbLb0EES1P_EEDaS1K_S1L_EUlS1K_E_NS1_11comp_targetILNS1_3genE9ELNS1_11target_archE1100ELNS1_3gpuE3ELNS1_3repE0EEENS1_30default_config_static_selectorELNS0_4arch9wavefront6targetE0EEEvSY_,comdat
	.globl	_ZN7rocprim17ROCPRIM_400000_NS6detail17trampoline_kernelINS0_13select_configILj256ELj13ELNS0_17block_load_methodE3ELS4_3ELS4_3ELNS0_20block_scan_algorithmE0ELj4294967295EEENS1_25partition_config_selectorILNS1_17partition_subalgoE3EjNS0_10empty_typeEbEEZZNS1_14partition_implILS8_3ELb0ES6_jNS0_17counting_iteratorIjlEEPS9_SE_NS0_5tupleIJPjSE_EEENSF_IJSE_SE_EEES9_SG_JZNS1_25segmented_radix_sort_implINS0_14default_configELb1EPKdPdPKlPlN2at6native12_GLOBAL__N_18offset_tEEE10hipError_tPvRmT1_PNSt15iterator_traitsISY_E10value_typeET2_T3_PNSZ_IS14_E10value_typeET4_jRbjT5_S1A_jjP12ihipStream_tbEUljE_EEESV_SW_SX_S14_S18_S1A_T6_T7_T9_mT8_S1C_bDpT10_ENKUlT_T0_E_clISt17integral_constantIbLb0EES1P_EEDaS1K_S1L_EUlS1K_E_NS1_11comp_targetILNS1_3genE9ELNS1_11target_archE1100ELNS1_3gpuE3ELNS1_3repE0EEENS1_30default_config_static_selectorELNS0_4arch9wavefront6targetE0EEEvSY_ ; -- Begin function _ZN7rocprim17ROCPRIM_400000_NS6detail17trampoline_kernelINS0_13select_configILj256ELj13ELNS0_17block_load_methodE3ELS4_3ELS4_3ELNS0_20block_scan_algorithmE0ELj4294967295EEENS1_25partition_config_selectorILNS1_17partition_subalgoE3EjNS0_10empty_typeEbEEZZNS1_14partition_implILS8_3ELb0ES6_jNS0_17counting_iteratorIjlEEPS9_SE_NS0_5tupleIJPjSE_EEENSF_IJSE_SE_EEES9_SG_JZNS1_25segmented_radix_sort_implINS0_14default_configELb1EPKdPdPKlPlN2at6native12_GLOBAL__N_18offset_tEEE10hipError_tPvRmT1_PNSt15iterator_traitsISY_E10value_typeET2_T3_PNSZ_IS14_E10value_typeET4_jRbjT5_S1A_jjP12ihipStream_tbEUljE_EEESV_SW_SX_S14_S18_S1A_T6_T7_T9_mT8_S1C_bDpT10_ENKUlT_T0_E_clISt17integral_constantIbLb0EES1P_EEDaS1K_S1L_EUlS1K_E_NS1_11comp_targetILNS1_3genE9ELNS1_11target_archE1100ELNS1_3gpuE3ELNS1_3repE0EEENS1_30default_config_static_selectorELNS0_4arch9wavefront6targetE0EEEvSY_
	.p2align	8
	.type	_ZN7rocprim17ROCPRIM_400000_NS6detail17trampoline_kernelINS0_13select_configILj256ELj13ELNS0_17block_load_methodE3ELS4_3ELS4_3ELNS0_20block_scan_algorithmE0ELj4294967295EEENS1_25partition_config_selectorILNS1_17partition_subalgoE3EjNS0_10empty_typeEbEEZZNS1_14partition_implILS8_3ELb0ES6_jNS0_17counting_iteratorIjlEEPS9_SE_NS0_5tupleIJPjSE_EEENSF_IJSE_SE_EEES9_SG_JZNS1_25segmented_radix_sort_implINS0_14default_configELb1EPKdPdPKlPlN2at6native12_GLOBAL__N_18offset_tEEE10hipError_tPvRmT1_PNSt15iterator_traitsISY_E10value_typeET2_T3_PNSZ_IS14_E10value_typeET4_jRbjT5_S1A_jjP12ihipStream_tbEUljE_EEESV_SW_SX_S14_S18_S1A_T6_T7_T9_mT8_S1C_bDpT10_ENKUlT_T0_E_clISt17integral_constantIbLb0EES1P_EEDaS1K_S1L_EUlS1K_E_NS1_11comp_targetILNS1_3genE9ELNS1_11target_archE1100ELNS1_3gpuE3ELNS1_3repE0EEENS1_30default_config_static_selectorELNS0_4arch9wavefront6targetE0EEEvSY_,@function
_ZN7rocprim17ROCPRIM_400000_NS6detail17trampoline_kernelINS0_13select_configILj256ELj13ELNS0_17block_load_methodE3ELS4_3ELS4_3ELNS0_20block_scan_algorithmE0ELj4294967295EEENS1_25partition_config_selectorILNS1_17partition_subalgoE3EjNS0_10empty_typeEbEEZZNS1_14partition_implILS8_3ELb0ES6_jNS0_17counting_iteratorIjlEEPS9_SE_NS0_5tupleIJPjSE_EEENSF_IJSE_SE_EEES9_SG_JZNS1_25segmented_radix_sort_implINS0_14default_configELb1EPKdPdPKlPlN2at6native12_GLOBAL__N_18offset_tEEE10hipError_tPvRmT1_PNSt15iterator_traitsISY_E10value_typeET2_T3_PNSZ_IS14_E10value_typeET4_jRbjT5_S1A_jjP12ihipStream_tbEUljE_EEESV_SW_SX_S14_S18_S1A_T6_T7_T9_mT8_S1C_bDpT10_ENKUlT_T0_E_clISt17integral_constantIbLb0EES1P_EEDaS1K_S1L_EUlS1K_E_NS1_11comp_targetILNS1_3genE9ELNS1_11target_archE1100ELNS1_3gpuE3ELNS1_3repE0EEENS1_30default_config_static_selectorELNS0_4arch9wavefront6targetE0EEEvSY_: ; @_ZN7rocprim17ROCPRIM_400000_NS6detail17trampoline_kernelINS0_13select_configILj256ELj13ELNS0_17block_load_methodE3ELS4_3ELS4_3ELNS0_20block_scan_algorithmE0ELj4294967295EEENS1_25partition_config_selectorILNS1_17partition_subalgoE3EjNS0_10empty_typeEbEEZZNS1_14partition_implILS8_3ELb0ES6_jNS0_17counting_iteratorIjlEEPS9_SE_NS0_5tupleIJPjSE_EEENSF_IJSE_SE_EEES9_SG_JZNS1_25segmented_radix_sort_implINS0_14default_configELb1EPKdPdPKlPlN2at6native12_GLOBAL__N_18offset_tEEE10hipError_tPvRmT1_PNSt15iterator_traitsISY_E10value_typeET2_T3_PNSZ_IS14_E10value_typeET4_jRbjT5_S1A_jjP12ihipStream_tbEUljE_EEESV_SW_SX_S14_S18_S1A_T6_T7_T9_mT8_S1C_bDpT10_ENKUlT_T0_E_clISt17integral_constantIbLb0EES1P_EEDaS1K_S1L_EUlS1K_E_NS1_11comp_targetILNS1_3genE9ELNS1_11target_archE1100ELNS1_3gpuE3ELNS1_3repE0EEENS1_30default_config_static_selectorELNS0_4arch9wavefront6targetE0EEEvSY_
; %bb.0:
	.section	.rodata,"a",@progbits
	.p2align	6, 0x0
	.amdhsa_kernel _ZN7rocprim17ROCPRIM_400000_NS6detail17trampoline_kernelINS0_13select_configILj256ELj13ELNS0_17block_load_methodE3ELS4_3ELS4_3ELNS0_20block_scan_algorithmE0ELj4294967295EEENS1_25partition_config_selectorILNS1_17partition_subalgoE3EjNS0_10empty_typeEbEEZZNS1_14partition_implILS8_3ELb0ES6_jNS0_17counting_iteratorIjlEEPS9_SE_NS0_5tupleIJPjSE_EEENSF_IJSE_SE_EEES9_SG_JZNS1_25segmented_radix_sort_implINS0_14default_configELb1EPKdPdPKlPlN2at6native12_GLOBAL__N_18offset_tEEE10hipError_tPvRmT1_PNSt15iterator_traitsISY_E10value_typeET2_T3_PNSZ_IS14_E10value_typeET4_jRbjT5_S1A_jjP12ihipStream_tbEUljE_EEESV_SW_SX_S14_S18_S1A_T6_T7_T9_mT8_S1C_bDpT10_ENKUlT_T0_E_clISt17integral_constantIbLb0EES1P_EEDaS1K_S1L_EUlS1K_E_NS1_11comp_targetILNS1_3genE9ELNS1_11target_archE1100ELNS1_3gpuE3ELNS1_3repE0EEENS1_30default_config_static_selectorELNS0_4arch9wavefront6targetE0EEEvSY_
		.amdhsa_group_segment_fixed_size 0
		.amdhsa_private_segment_fixed_size 0
		.amdhsa_kernarg_size 144
		.amdhsa_user_sgpr_count 6
		.amdhsa_user_sgpr_private_segment_buffer 1
		.amdhsa_user_sgpr_dispatch_ptr 0
		.amdhsa_user_sgpr_queue_ptr 0
		.amdhsa_user_sgpr_kernarg_segment_ptr 1
		.amdhsa_user_sgpr_dispatch_id 0
		.amdhsa_user_sgpr_flat_scratch_init 0
		.amdhsa_user_sgpr_private_segment_size 0
		.amdhsa_wavefront_size32 1
		.amdhsa_uses_dynamic_stack 0
		.amdhsa_system_sgpr_private_segment_wavefront_offset 0
		.amdhsa_system_sgpr_workgroup_id_x 1
		.amdhsa_system_sgpr_workgroup_id_y 0
		.amdhsa_system_sgpr_workgroup_id_z 0
		.amdhsa_system_sgpr_workgroup_info 0
		.amdhsa_system_vgpr_workitem_id 0
		.amdhsa_next_free_vgpr 1
		.amdhsa_next_free_sgpr 1
		.amdhsa_reserve_vcc 0
		.amdhsa_reserve_flat_scratch 0
		.amdhsa_float_round_mode_32 0
		.amdhsa_float_round_mode_16_64 0
		.amdhsa_float_denorm_mode_32 3
		.amdhsa_float_denorm_mode_16_64 3
		.amdhsa_dx10_clamp 1
		.amdhsa_ieee_mode 1
		.amdhsa_fp16_overflow 0
		.amdhsa_workgroup_processor_mode 1
		.amdhsa_memory_ordered 1
		.amdhsa_forward_progress 1
		.amdhsa_shared_vgpr_count 0
		.amdhsa_exception_fp_ieee_invalid_op 0
		.amdhsa_exception_fp_denorm_src 0
		.amdhsa_exception_fp_ieee_div_zero 0
		.amdhsa_exception_fp_ieee_overflow 0
		.amdhsa_exception_fp_ieee_underflow 0
		.amdhsa_exception_fp_ieee_inexact 0
		.amdhsa_exception_int_div_zero 0
	.end_amdhsa_kernel
	.section	.text._ZN7rocprim17ROCPRIM_400000_NS6detail17trampoline_kernelINS0_13select_configILj256ELj13ELNS0_17block_load_methodE3ELS4_3ELS4_3ELNS0_20block_scan_algorithmE0ELj4294967295EEENS1_25partition_config_selectorILNS1_17partition_subalgoE3EjNS0_10empty_typeEbEEZZNS1_14partition_implILS8_3ELb0ES6_jNS0_17counting_iteratorIjlEEPS9_SE_NS0_5tupleIJPjSE_EEENSF_IJSE_SE_EEES9_SG_JZNS1_25segmented_radix_sort_implINS0_14default_configELb1EPKdPdPKlPlN2at6native12_GLOBAL__N_18offset_tEEE10hipError_tPvRmT1_PNSt15iterator_traitsISY_E10value_typeET2_T3_PNSZ_IS14_E10value_typeET4_jRbjT5_S1A_jjP12ihipStream_tbEUljE_EEESV_SW_SX_S14_S18_S1A_T6_T7_T9_mT8_S1C_bDpT10_ENKUlT_T0_E_clISt17integral_constantIbLb0EES1P_EEDaS1K_S1L_EUlS1K_E_NS1_11comp_targetILNS1_3genE9ELNS1_11target_archE1100ELNS1_3gpuE3ELNS1_3repE0EEENS1_30default_config_static_selectorELNS0_4arch9wavefront6targetE0EEEvSY_,"axG",@progbits,_ZN7rocprim17ROCPRIM_400000_NS6detail17trampoline_kernelINS0_13select_configILj256ELj13ELNS0_17block_load_methodE3ELS4_3ELS4_3ELNS0_20block_scan_algorithmE0ELj4294967295EEENS1_25partition_config_selectorILNS1_17partition_subalgoE3EjNS0_10empty_typeEbEEZZNS1_14partition_implILS8_3ELb0ES6_jNS0_17counting_iteratorIjlEEPS9_SE_NS0_5tupleIJPjSE_EEENSF_IJSE_SE_EEES9_SG_JZNS1_25segmented_radix_sort_implINS0_14default_configELb1EPKdPdPKlPlN2at6native12_GLOBAL__N_18offset_tEEE10hipError_tPvRmT1_PNSt15iterator_traitsISY_E10value_typeET2_T3_PNSZ_IS14_E10value_typeET4_jRbjT5_S1A_jjP12ihipStream_tbEUljE_EEESV_SW_SX_S14_S18_S1A_T6_T7_T9_mT8_S1C_bDpT10_ENKUlT_T0_E_clISt17integral_constantIbLb0EES1P_EEDaS1K_S1L_EUlS1K_E_NS1_11comp_targetILNS1_3genE9ELNS1_11target_archE1100ELNS1_3gpuE3ELNS1_3repE0EEENS1_30default_config_static_selectorELNS0_4arch9wavefront6targetE0EEEvSY_,comdat
.Lfunc_end1084:
	.size	_ZN7rocprim17ROCPRIM_400000_NS6detail17trampoline_kernelINS0_13select_configILj256ELj13ELNS0_17block_load_methodE3ELS4_3ELS4_3ELNS0_20block_scan_algorithmE0ELj4294967295EEENS1_25partition_config_selectorILNS1_17partition_subalgoE3EjNS0_10empty_typeEbEEZZNS1_14partition_implILS8_3ELb0ES6_jNS0_17counting_iteratorIjlEEPS9_SE_NS0_5tupleIJPjSE_EEENSF_IJSE_SE_EEES9_SG_JZNS1_25segmented_radix_sort_implINS0_14default_configELb1EPKdPdPKlPlN2at6native12_GLOBAL__N_18offset_tEEE10hipError_tPvRmT1_PNSt15iterator_traitsISY_E10value_typeET2_T3_PNSZ_IS14_E10value_typeET4_jRbjT5_S1A_jjP12ihipStream_tbEUljE_EEESV_SW_SX_S14_S18_S1A_T6_T7_T9_mT8_S1C_bDpT10_ENKUlT_T0_E_clISt17integral_constantIbLb0EES1P_EEDaS1K_S1L_EUlS1K_E_NS1_11comp_targetILNS1_3genE9ELNS1_11target_archE1100ELNS1_3gpuE3ELNS1_3repE0EEENS1_30default_config_static_selectorELNS0_4arch9wavefront6targetE0EEEvSY_, .Lfunc_end1084-_ZN7rocprim17ROCPRIM_400000_NS6detail17trampoline_kernelINS0_13select_configILj256ELj13ELNS0_17block_load_methodE3ELS4_3ELS4_3ELNS0_20block_scan_algorithmE0ELj4294967295EEENS1_25partition_config_selectorILNS1_17partition_subalgoE3EjNS0_10empty_typeEbEEZZNS1_14partition_implILS8_3ELb0ES6_jNS0_17counting_iteratorIjlEEPS9_SE_NS0_5tupleIJPjSE_EEENSF_IJSE_SE_EEES9_SG_JZNS1_25segmented_radix_sort_implINS0_14default_configELb1EPKdPdPKlPlN2at6native12_GLOBAL__N_18offset_tEEE10hipError_tPvRmT1_PNSt15iterator_traitsISY_E10value_typeET2_T3_PNSZ_IS14_E10value_typeET4_jRbjT5_S1A_jjP12ihipStream_tbEUljE_EEESV_SW_SX_S14_S18_S1A_T6_T7_T9_mT8_S1C_bDpT10_ENKUlT_T0_E_clISt17integral_constantIbLb0EES1P_EEDaS1K_S1L_EUlS1K_E_NS1_11comp_targetILNS1_3genE9ELNS1_11target_archE1100ELNS1_3gpuE3ELNS1_3repE0EEENS1_30default_config_static_selectorELNS0_4arch9wavefront6targetE0EEEvSY_
                                        ; -- End function
	.set _ZN7rocprim17ROCPRIM_400000_NS6detail17trampoline_kernelINS0_13select_configILj256ELj13ELNS0_17block_load_methodE3ELS4_3ELS4_3ELNS0_20block_scan_algorithmE0ELj4294967295EEENS1_25partition_config_selectorILNS1_17partition_subalgoE3EjNS0_10empty_typeEbEEZZNS1_14partition_implILS8_3ELb0ES6_jNS0_17counting_iteratorIjlEEPS9_SE_NS0_5tupleIJPjSE_EEENSF_IJSE_SE_EEES9_SG_JZNS1_25segmented_radix_sort_implINS0_14default_configELb1EPKdPdPKlPlN2at6native12_GLOBAL__N_18offset_tEEE10hipError_tPvRmT1_PNSt15iterator_traitsISY_E10value_typeET2_T3_PNSZ_IS14_E10value_typeET4_jRbjT5_S1A_jjP12ihipStream_tbEUljE_EEESV_SW_SX_S14_S18_S1A_T6_T7_T9_mT8_S1C_bDpT10_ENKUlT_T0_E_clISt17integral_constantIbLb0EES1P_EEDaS1K_S1L_EUlS1K_E_NS1_11comp_targetILNS1_3genE9ELNS1_11target_archE1100ELNS1_3gpuE3ELNS1_3repE0EEENS1_30default_config_static_selectorELNS0_4arch9wavefront6targetE0EEEvSY_.num_vgpr, 0
	.set _ZN7rocprim17ROCPRIM_400000_NS6detail17trampoline_kernelINS0_13select_configILj256ELj13ELNS0_17block_load_methodE3ELS4_3ELS4_3ELNS0_20block_scan_algorithmE0ELj4294967295EEENS1_25partition_config_selectorILNS1_17partition_subalgoE3EjNS0_10empty_typeEbEEZZNS1_14partition_implILS8_3ELb0ES6_jNS0_17counting_iteratorIjlEEPS9_SE_NS0_5tupleIJPjSE_EEENSF_IJSE_SE_EEES9_SG_JZNS1_25segmented_radix_sort_implINS0_14default_configELb1EPKdPdPKlPlN2at6native12_GLOBAL__N_18offset_tEEE10hipError_tPvRmT1_PNSt15iterator_traitsISY_E10value_typeET2_T3_PNSZ_IS14_E10value_typeET4_jRbjT5_S1A_jjP12ihipStream_tbEUljE_EEESV_SW_SX_S14_S18_S1A_T6_T7_T9_mT8_S1C_bDpT10_ENKUlT_T0_E_clISt17integral_constantIbLb0EES1P_EEDaS1K_S1L_EUlS1K_E_NS1_11comp_targetILNS1_3genE9ELNS1_11target_archE1100ELNS1_3gpuE3ELNS1_3repE0EEENS1_30default_config_static_selectorELNS0_4arch9wavefront6targetE0EEEvSY_.num_agpr, 0
	.set _ZN7rocprim17ROCPRIM_400000_NS6detail17trampoline_kernelINS0_13select_configILj256ELj13ELNS0_17block_load_methodE3ELS4_3ELS4_3ELNS0_20block_scan_algorithmE0ELj4294967295EEENS1_25partition_config_selectorILNS1_17partition_subalgoE3EjNS0_10empty_typeEbEEZZNS1_14partition_implILS8_3ELb0ES6_jNS0_17counting_iteratorIjlEEPS9_SE_NS0_5tupleIJPjSE_EEENSF_IJSE_SE_EEES9_SG_JZNS1_25segmented_radix_sort_implINS0_14default_configELb1EPKdPdPKlPlN2at6native12_GLOBAL__N_18offset_tEEE10hipError_tPvRmT1_PNSt15iterator_traitsISY_E10value_typeET2_T3_PNSZ_IS14_E10value_typeET4_jRbjT5_S1A_jjP12ihipStream_tbEUljE_EEESV_SW_SX_S14_S18_S1A_T6_T7_T9_mT8_S1C_bDpT10_ENKUlT_T0_E_clISt17integral_constantIbLb0EES1P_EEDaS1K_S1L_EUlS1K_E_NS1_11comp_targetILNS1_3genE9ELNS1_11target_archE1100ELNS1_3gpuE3ELNS1_3repE0EEENS1_30default_config_static_selectorELNS0_4arch9wavefront6targetE0EEEvSY_.numbered_sgpr, 0
	.set _ZN7rocprim17ROCPRIM_400000_NS6detail17trampoline_kernelINS0_13select_configILj256ELj13ELNS0_17block_load_methodE3ELS4_3ELS4_3ELNS0_20block_scan_algorithmE0ELj4294967295EEENS1_25partition_config_selectorILNS1_17partition_subalgoE3EjNS0_10empty_typeEbEEZZNS1_14partition_implILS8_3ELb0ES6_jNS0_17counting_iteratorIjlEEPS9_SE_NS0_5tupleIJPjSE_EEENSF_IJSE_SE_EEES9_SG_JZNS1_25segmented_radix_sort_implINS0_14default_configELb1EPKdPdPKlPlN2at6native12_GLOBAL__N_18offset_tEEE10hipError_tPvRmT1_PNSt15iterator_traitsISY_E10value_typeET2_T3_PNSZ_IS14_E10value_typeET4_jRbjT5_S1A_jjP12ihipStream_tbEUljE_EEESV_SW_SX_S14_S18_S1A_T6_T7_T9_mT8_S1C_bDpT10_ENKUlT_T0_E_clISt17integral_constantIbLb0EES1P_EEDaS1K_S1L_EUlS1K_E_NS1_11comp_targetILNS1_3genE9ELNS1_11target_archE1100ELNS1_3gpuE3ELNS1_3repE0EEENS1_30default_config_static_selectorELNS0_4arch9wavefront6targetE0EEEvSY_.num_named_barrier, 0
	.set _ZN7rocprim17ROCPRIM_400000_NS6detail17trampoline_kernelINS0_13select_configILj256ELj13ELNS0_17block_load_methodE3ELS4_3ELS4_3ELNS0_20block_scan_algorithmE0ELj4294967295EEENS1_25partition_config_selectorILNS1_17partition_subalgoE3EjNS0_10empty_typeEbEEZZNS1_14partition_implILS8_3ELb0ES6_jNS0_17counting_iteratorIjlEEPS9_SE_NS0_5tupleIJPjSE_EEENSF_IJSE_SE_EEES9_SG_JZNS1_25segmented_radix_sort_implINS0_14default_configELb1EPKdPdPKlPlN2at6native12_GLOBAL__N_18offset_tEEE10hipError_tPvRmT1_PNSt15iterator_traitsISY_E10value_typeET2_T3_PNSZ_IS14_E10value_typeET4_jRbjT5_S1A_jjP12ihipStream_tbEUljE_EEESV_SW_SX_S14_S18_S1A_T6_T7_T9_mT8_S1C_bDpT10_ENKUlT_T0_E_clISt17integral_constantIbLb0EES1P_EEDaS1K_S1L_EUlS1K_E_NS1_11comp_targetILNS1_3genE9ELNS1_11target_archE1100ELNS1_3gpuE3ELNS1_3repE0EEENS1_30default_config_static_selectorELNS0_4arch9wavefront6targetE0EEEvSY_.private_seg_size, 0
	.set _ZN7rocprim17ROCPRIM_400000_NS6detail17trampoline_kernelINS0_13select_configILj256ELj13ELNS0_17block_load_methodE3ELS4_3ELS4_3ELNS0_20block_scan_algorithmE0ELj4294967295EEENS1_25partition_config_selectorILNS1_17partition_subalgoE3EjNS0_10empty_typeEbEEZZNS1_14partition_implILS8_3ELb0ES6_jNS0_17counting_iteratorIjlEEPS9_SE_NS0_5tupleIJPjSE_EEENSF_IJSE_SE_EEES9_SG_JZNS1_25segmented_radix_sort_implINS0_14default_configELb1EPKdPdPKlPlN2at6native12_GLOBAL__N_18offset_tEEE10hipError_tPvRmT1_PNSt15iterator_traitsISY_E10value_typeET2_T3_PNSZ_IS14_E10value_typeET4_jRbjT5_S1A_jjP12ihipStream_tbEUljE_EEESV_SW_SX_S14_S18_S1A_T6_T7_T9_mT8_S1C_bDpT10_ENKUlT_T0_E_clISt17integral_constantIbLb0EES1P_EEDaS1K_S1L_EUlS1K_E_NS1_11comp_targetILNS1_3genE9ELNS1_11target_archE1100ELNS1_3gpuE3ELNS1_3repE0EEENS1_30default_config_static_selectorELNS0_4arch9wavefront6targetE0EEEvSY_.uses_vcc, 0
	.set _ZN7rocprim17ROCPRIM_400000_NS6detail17trampoline_kernelINS0_13select_configILj256ELj13ELNS0_17block_load_methodE3ELS4_3ELS4_3ELNS0_20block_scan_algorithmE0ELj4294967295EEENS1_25partition_config_selectorILNS1_17partition_subalgoE3EjNS0_10empty_typeEbEEZZNS1_14partition_implILS8_3ELb0ES6_jNS0_17counting_iteratorIjlEEPS9_SE_NS0_5tupleIJPjSE_EEENSF_IJSE_SE_EEES9_SG_JZNS1_25segmented_radix_sort_implINS0_14default_configELb1EPKdPdPKlPlN2at6native12_GLOBAL__N_18offset_tEEE10hipError_tPvRmT1_PNSt15iterator_traitsISY_E10value_typeET2_T3_PNSZ_IS14_E10value_typeET4_jRbjT5_S1A_jjP12ihipStream_tbEUljE_EEESV_SW_SX_S14_S18_S1A_T6_T7_T9_mT8_S1C_bDpT10_ENKUlT_T0_E_clISt17integral_constantIbLb0EES1P_EEDaS1K_S1L_EUlS1K_E_NS1_11comp_targetILNS1_3genE9ELNS1_11target_archE1100ELNS1_3gpuE3ELNS1_3repE0EEENS1_30default_config_static_selectorELNS0_4arch9wavefront6targetE0EEEvSY_.uses_flat_scratch, 0
	.set _ZN7rocprim17ROCPRIM_400000_NS6detail17trampoline_kernelINS0_13select_configILj256ELj13ELNS0_17block_load_methodE3ELS4_3ELS4_3ELNS0_20block_scan_algorithmE0ELj4294967295EEENS1_25partition_config_selectorILNS1_17partition_subalgoE3EjNS0_10empty_typeEbEEZZNS1_14partition_implILS8_3ELb0ES6_jNS0_17counting_iteratorIjlEEPS9_SE_NS0_5tupleIJPjSE_EEENSF_IJSE_SE_EEES9_SG_JZNS1_25segmented_radix_sort_implINS0_14default_configELb1EPKdPdPKlPlN2at6native12_GLOBAL__N_18offset_tEEE10hipError_tPvRmT1_PNSt15iterator_traitsISY_E10value_typeET2_T3_PNSZ_IS14_E10value_typeET4_jRbjT5_S1A_jjP12ihipStream_tbEUljE_EEESV_SW_SX_S14_S18_S1A_T6_T7_T9_mT8_S1C_bDpT10_ENKUlT_T0_E_clISt17integral_constantIbLb0EES1P_EEDaS1K_S1L_EUlS1K_E_NS1_11comp_targetILNS1_3genE9ELNS1_11target_archE1100ELNS1_3gpuE3ELNS1_3repE0EEENS1_30default_config_static_selectorELNS0_4arch9wavefront6targetE0EEEvSY_.has_dyn_sized_stack, 0
	.set _ZN7rocprim17ROCPRIM_400000_NS6detail17trampoline_kernelINS0_13select_configILj256ELj13ELNS0_17block_load_methodE3ELS4_3ELS4_3ELNS0_20block_scan_algorithmE0ELj4294967295EEENS1_25partition_config_selectorILNS1_17partition_subalgoE3EjNS0_10empty_typeEbEEZZNS1_14partition_implILS8_3ELb0ES6_jNS0_17counting_iteratorIjlEEPS9_SE_NS0_5tupleIJPjSE_EEENSF_IJSE_SE_EEES9_SG_JZNS1_25segmented_radix_sort_implINS0_14default_configELb1EPKdPdPKlPlN2at6native12_GLOBAL__N_18offset_tEEE10hipError_tPvRmT1_PNSt15iterator_traitsISY_E10value_typeET2_T3_PNSZ_IS14_E10value_typeET4_jRbjT5_S1A_jjP12ihipStream_tbEUljE_EEESV_SW_SX_S14_S18_S1A_T6_T7_T9_mT8_S1C_bDpT10_ENKUlT_T0_E_clISt17integral_constantIbLb0EES1P_EEDaS1K_S1L_EUlS1K_E_NS1_11comp_targetILNS1_3genE9ELNS1_11target_archE1100ELNS1_3gpuE3ELNS1_3repE0EEENS1_30default_config_static_selectorELNS0_4arch9wavefront6targetE0EEEvSY_.has_recursion, 0
	.set _ZN7rocprim17ROCPRIM_400000_NS6detail17trampoline_kernelINS0_13select_configILj256ELj13ELNS0_17block_load_methodE3ELS4_3ELS4_3ELNS0_20block_scan_algorithmE0ELj4294967295EEENS1_25partition_config_selectorILNS1_17partition_subalgoE3EjNS0_10empty_typeEbEEZZNS1_14partition_implILS8_3ELb0ES6_jNS0_17counting_iteratorIjlEEPS9_SE_NS0_5tupleIJPjSE_EEENSF_IJSE_SE_EEES9_SG_JZNS1_25segmented_radix_sort_implINS0_14default_configELb1EPKdPdPKlPlN2at6native12_GLOBAL__N_18offset_tEEE10hipError_tPvRmT1_PNSt15iterator_traitsISY_E10value_typeET2_T3_PNSZ_IS14_E10value_typeET4_jRbjT5_S1A_jjP12ihipStream_tbEUljE_EEESV_SW_SX_S14_S18_S1A_T6_T7_T9_mT8_S1C_bDpT10_ENKUlT_T0_E_clISt17integral_constantIbLb0EES1P_EEDaS1K_S1L_EUlS1K_E_NS1_11comp_targetILNS1_3genE9ELNS1_11target_archE1100ELNS1_3gpuE3ELNS1_3repE0EEENS1_30default_config_static_selectorELNS0_4arch9wavefront6targetE0EEEvSY_.has_indirect_call, 0
	.section	.AMDGPU.csdata,"",@progbits
; Kernel info:
; codeLenInByte = 0
; TotalNumSgprs: 0
; NumVgprs: 0
; ScratchSize: 0
; MemoryBound: 0
; FloatMode: 240
; IeeeMode: 1
; LDSByteSize: 0 bytes/workgroup (compile time only)
; SGPRBlocks: 0
; VGPRBlocks: 0
; NumSGPRsForWavesPerEU: 1
; NumVGPRsForWavesPerEU: 1
; Occupancy: 16
; WaveLimiterHint : 0
; COMPUTE_PGM_RSRC2:SCRATCH_EN: 0
; COMPUTE_PGM_RSRC2:USER_SGPR: 6
; COMPUTE_PGM_RSRC2:TRAP_HANDLER: 0
; COMPUTE_PGM_RSRC2:TGID_X_EN: 1
; COMPUTE_PGM_RSRC2:TGID_Y_EN: 0
; COMPUTE_PGM_RSRC2:TGID_Z_EN: 0
; COMPUTE_PGM_RSRC2:TIDIG_COMP_CNT: 0
	.section	.text._ZN7rocprim17ROCPRIM_400000_NS6detail17trampoline_kernelINS0_13select_configILj256ELj13ELNS0_17block_load_methodE3ELS4_3ELS4_3ELNS0_20block_scan_algorithmE0ELj4294967295EEENS1_25partition_config_selectorILNS1_17partition_subalgoE3EjNS0_10empty_typeEbEEZZNS1_14partition_implILS8_3ELb0ES6_jNS0_17counting_iteratorIjlEEPS9_SE_NS0_5tupleIJPjSE_EEENSF_IJSE_SE_EEES9_SG_JZNS1_25segmented_radix_sort_implINS0_14default_configELb1EPKdPdPKlPlN2at6native12_GLOBAL__N_18offset_tEEE10hipError_tPvRmT1_PNSt15iterator_traitsISY_E10value_typeET2_T3_PNSZ_IS14_E10value_typeET4_jRbjT5_S1A_jjP12ihipStream_tbEUljE_EEESV_SW_SX_S14_S18_S1A_T6_T7_T9_mT8_S1C_bDpT10_ENKUlT_T0_E_clISt17integral_constantIbLb0EES1P_EEDaS1K_S1L_EUlS1K_E_NS1_11comp_targetILNS1_3genE8ELNS1_11target_archE1030ELNS1_3gpuE2ELNS1_3repE0EEENS1_30default_config_static_selectorELNS0_4arch9wavefront6targetE0EEEvSY_,"axG",@progbits,_ZN7rocprim17ROCPRIM_400000_NS6detail17trampoline_kernelINS0_13select_configILj256ELj13ELNS0_17block_load_methodE3ELS4_3ELS4_3ELNS0_20block_scan_algorithmE0ELj4294967295EEENS1_25partition_config_selectorILNS1_17partition_subalgoE3EjNS0_10empty_typeEbEEZZNS1_14partition_implILS8_3ELb0ES6_jNS0_17counting_iteratorIjlEEPS9_SE_NS0_5tupleIJPjSE_EEENSF_IJSE_SE_EEES9_SG_JZNS1_25segmented_radix_sort_implINS0_14default_configELb1EPKdPdPKlPlN2at6native12_GLOBAL__N_18offset_tEEE10hipError_tPvRmT1_PNSt15iterator_traitsISY_E10value_typeET2_T3_PNSZ_IS14_E10value_typeET4_jRbjT5_S1A_jjP12ihipStream_tbEUljE_EEESV_SW_SX_S14_S18_S1A_T6_T7_T9_mT8_S1C_bDpT10_ENKUlT_T0_E_clISt17integral_constantIbLb0EES1P_EEDaS1K_S1L_EUlS1K_E_NS1_11comp_targetILNS1_3genE8ELNS1_11target_archE1030ELNS1_3gpuE2ELNS1_3repE0EEENS1_30default_config_static_selectorELNS0_4arch9wavefront6targetE0EEEvSY_,comdat
	.globl	_ZN7rocprim17ROCPRIM_400000_NS6detail17trampoline_kernelINS0_13select_configILj256ELj13ELNS0_17block_load_methodE3ELS4_3ELS4_3ELNS0_20block_scan_algorithmE0ELj4294967295EEENS1_25partition_config_selectorILNS1_17partition_subalgoE3EjNS0_10empty_typeEbEEZZNS1_14partition_implILS8_3ELb0ES6_jNS0_17counting_iteratorIjlEEPS9_SE_NS0_5tupleIJPjSE_EEENSF_IJSE_SE_EEES9_SG_JZNS1_25segmented_radix_sort_implINS0_14default_configELb1EPKdPdPKlPlN2at6native12_GLOBAL__N_18offset_tEEE10hipError_tPvRmT1_PNSt15iterator_traitsISY_E10value_typeET2_T3_PNSZ_IS14_E10value_typeET4_jRbjT5_S1A_jjP12ihipStream_tbEUljE_EEESV_SW_SX_S14_S18_S1A_T6_T7_T9_mT8_S1C_bDpT10_ENKUlT_T0_E_clISt17integral_constantIbLb0EES1P_EEDaS1K_S1L_EUlS1K_E_NS1_11comp_targetILNS1_3genE8ELNS1_11target_archE1030ELNS1_3gpuE2ELNS1_3repE0EEENS1_30default_config_static_selectorELNS0_4arch9wavefront6targetE0EEEvSY_ ; -- Begin function _ZN7rocprim17ROCPRIM_400000_NS6detail17trampoline_kernelINS0_13select_configILj256ELj13ELNS0_17block_load_methodE3ELS4_3ELS4_3ELNS0_20block_scan_algorithmE0ELj4294967295EEENS1_25partition_config_selectorILNS1_17partition_subalgoE3EjNS0_10empty_typeEbEEZZNS1_14partition_implILS8_3ELb0ES6_jNS0_17counting_iteratorIjlEEPS9_SE_NS0_5tupleIJPjSE_EEENSF_IJSE_SE_EEES9_SG_JZNS1_25segmented_radix_sort_implINS0_14default_configELb1EPKdPdPKlPlN2at6native12_GLOBAL__N_18offset_tEEE10hipError_tPvRmT1_PNSt15iterator_traitsISY_E10value_typeET2_T3_PNSZ_IS14_E10value_typeET4_jRbjT5_S1A_jjP12ihipStream_tbEUljE_EEESV_SW_SX_S14_S18_S1A_T6_T7_T9_mT8_S1C_bDpT10_ENKUlT_T0_E_clISt17integral_constantIbLb0EES1P_EEDaS1K_S1L_EUlS1K_E_NS1_11comp_targetILNS1_3genE8ELNS1_11target_archE1030ELNS1_3gpuE2ELNS1_3repE0EEENS1_30default_config_static_selectorELNS0_4arch9wavefront6targetE0EEEvSY_
	.p2align	8
	.type	_ZN7rocprim17ROCPRIM_400000_NS6detail17trampoline_kernelINS0_13select_configILj256ELj13ELNS0_17block_load_methodE3ELS4_3ELS4_3ELNS0_20block_scan_algorithmE0ELj4294967295EEENS1_25partition_config_selectorILNS1_17partition_subalgoE3EjNS0_10empty_typeEbEEZZNS1_14partition_implILS8_3ELb0ES6_jNS0_17counting_iteratorIjlEEPS9_SE_NS0_5tupleIJPjSE_EEENSF_IJSE_SE_EEES9_SG_JZNS1_25segmented_radix_sort_implINS0_14default_configELb1EPKdPdPKlPlN2at6native12_GLOBAL__N_18offset_tEEE10hipError_tPvRmT1_PNSt15iterator_traitsISY_E10value_typeET2_T3_PNSZ_IS14_E10value_typeET4_jRbjT5_S1A_jjP12ihipStream_tbEUljE_EEESV_SW_SX_S14_S18_S1A_T6_T7_T9_mT8_S1C_bDpT10_ENKUlT_T0_E_clISt17integral_constantIbLb0EES1P_EEDaS1K_S1L_EUlS1K_E_NS1_11comp_targetILNS1_3genE8ELNS1_11target_archE1030ELNS1_3gpuE2ELNS1_3repE0EEENS1_30default_config_static_selectorELNS0_4arch9wavefront6targetE0EEEvSY_,@function
_ZN7rocprim17ROCPRIM_400000_NS6detail17trampoline_kernelINS0_13select_configILj256ELj13ELNS0_17block_load_methodE3ELS4_3ELS4_3ELNS0_20block_scan_algorithmE0ELj4294967295EEENS1_25partition_config_selectorILNS1_17partition_subalgoE3EjNS0_10empty_typeEbEEZZNS1_14partition_implILS8_3ELb0ES6_jNS0_17counting_iteratorIjlEEPS9_SE_NS0_5tupleIJPjSE_EEENSF_IJSE_SE_EEES9_SG_JZNS1_25segmented_radix_sort_implINS0_14default_configELb1EPKdPdPKlPlN2at6native12_GLOBAL__N_18offset_tEEE10hipError_tPvRmT1_PNSt15iterator_traitsISY_E10value_typeET2_T3_PNSZ_IS14_E10value_typeET4_jRbjT5_S1A_jjP12ihipStream_tbEUljE_EEESV_SW_SX_S14_S18_S1A_T6_T7_T9_mT8_S1C_bDpT10_ENKUlT_T0_E_clISt17integral_constantIbLb0EES1P_EEDaS1K_S1L_EUlS1K_E_NS1_11comp_targetILNS1_3genE8ELNS1_11target_archE1030ELNS1_3gpuE2ELNS1_3repE0EEENS1_30default_config_static_selectorELNS0_4arch9wavefront6targetE0EEEvSY_: ; @_ZN7rocprim17ROCPRIM_400000_NS6detail17trampoline_kernelINS0_13select_configILj256ELj13ELNS0_17block_load_methodE3ELS4_3ELS4_3ELNS0_20block_scan_algorithmE0ELj4294967295EEENS1_25partition_config_selectorILNS1_17partition_subalgoE3EjNS0_10empty_typeEbEEZZNS1_14partition_implILS8_3ELb0ES6_jNS0_17counting_iteratorIjlEEPS9_SE_NS0_5tupleIJPjSE_EEENSF_IJSE_SE_EEES9_SG_JZNS1_25segmented_radix_sort_implINS0_14default_configELb1EPKdPdPKlPlN2at6native12_GLOBAL__N_18offset_tEEE10hipError_tPvRmT1_PNSt15iterator_traitsISY_E10value_typeET2_T3_PNSZ_IS14_E10value_typeET4_jRbjT5_S1A_jjP12ihipStream_tbEUljE_EEESV_SW_SX_S14_S18_S1A_T6_T7_T9_mT8_S1C_bDpT10_ENKUlT_T0_E_clISt17integral_constantIbLb0EES1P_EEDaS1K_S1L_EUlS1K_E_NS1_11comp_targetILNS1_3genE8ELNS1_11target_archE1030ELNS1_3gpuE2ELNS1_3repE0EEENS1_30default_config_static_selectorELNS0_4arch9wavefront6targetE0EEEvSY_
; %bb.0:
	s_clause 0x6
	s_load_dword s0, s[4:5], 0x70
	s_load_dwordx2 s[16:17], s[4:5], 0x10
	s_load_dwordx4 s[12:15], s[4:5], 0x48
	s_load_dwordx2 s[18:19], s[4:5], 0x58
	s_load_dword s7, s[4:5], 0x8
	s_load_dwordx4 s[8:11], s[4:5], 0x78
	s_load_dword s1, s[4:5], 0x88
	s_mul_i32 s26, s6, 0xd00
	v_lshlrev_b32_e32 v42, 2, v0
	s_waitcnt lgkmcnt(0)
	s_mul_i32 s2, s0, 0xd00
	s_add_i32 s0, s0, -1
	s_add_i32 s3, s2, s16
	s_load_dwordx2 s[20:21], s[14:15], 0x0
	s_sub_i32 s25, s18, s3
	s_addk_i32 s25, 0xd00
	s_add_u32 s2, s16, s2
	s_addc_u32 s3, s17, 0
	s_cmp_eq_u32 s6, s0
	v_cmp_gt_u64_e64 s2, s[18:19], s[2:3]
	s_cselect_b32 s24, -1, 0
	s_cmp_lg_u32 s6, s0
	s_cselect_b32 s0, -1, 0
	s_add_i32 s3, s7, s26
	s_or_b32 s2, s0, s2
	s_add_i32 s3, s3, s16
	s_and_b32 vcc_lo, exec_lo, s2
	v_add_nc_u32_e32 v1, s3, v0
	s_mov_b32 s7, -1
	s_cbranch_vccz .LBB1085_2
; %bb.1:
	v_add_nc_u32_e32 v2, 0x100, v1
	v_add_nc_u32_e32 v3, 0x200, v1
	v_add_nc_u32_e32 v4, 0x300, v1
	v_add_nc_u32_e32 v5, 0x400, v1
	v_add_nc_u32_e32 v6, 0x500, v1
	v_add_nc_u32_e32 v7, 0x600, v1
	v_add_nc_u32_e32 v8, 0x700, v1
	v_add_nc_u32_e32 v9, 0x800, v1
	v_add_nc_u32_e32 v10, 0x900, v1
	v_add_nc_u32_e32 v11, 0xa00, v1
	v_add_nc_u32_e32 v12, 0xb00, v1
	v_add_nc_u32_e32 v13, 0xc00, v1
	ds_write2st64_b32 v42, v1, v2 offset1:4
	ds_write2st64_b32 v42, v3, v4 offset0:8 offset1:12
	ds_write2st64_b32 v42, v5, v6 offset0:16 offset1:20
	;; [unrolled: 1-line block ×5, first 2 shown]
	ds_write_b32 v42, v13 offset:12288
	s_waitcnt lgkmcnt(0)
	s_mov_b32 s7, 0
	s_barrier
.LBB1085_2:
	v_cmp_gt_u32_e64 s0, s25, v0
	v_or_b32_e32 v41, 0x100, v0
	v_or_b32_e32 v40, 0x200, v0
	;; [unrolled: 1-line block ×12, first 2 shown]
	s_andn2_b32 vcc_lo, exec_lo, s7
	s_cbranch_vccnz .LBB1085_4
; %bb.3:
	v_add_nc_u32_e32 v2, s3, v41
	v_cmp_gt_u32_e32 vcc_lo, s25, v41
	v_add_nc_u32_e32 v3, s3, v40
	v_add_nc_u32_e32 v4, s3, v39
	;; [unrolled: 1-line block ×4, first 2 shown]
	v_cndmask_b32_e32 v2, 0, v2, vcc_lo
	v_cmp_gt_u32_e32 vcc_lo, s25, v40
	v_add_nc_u32_e32 v7, s3, v36
	v_add_nc_u32_e32 v8, s3, v35
	;; [unrolled: 1-line block ×4, first 2 shown]
	v_cndmask_b32_e32 v3, 0, v3, vcc_lo
	v_cmp_gt_u32_e32 vcc_lo, s25, v39
	v_add_nc_u32_e32 v11, s3, v32
	v_add_nc_u32_e32 v12, s3, v31
	v_cndmask_b32_e64 v1, 0, v1, s0
	v_add_nc_u32_e32 v13, s3, v30
	v_cndmask_b32_e32 v4, 0, v4, vcc_lo
	v_cmp_gt_u32_e32 vcc_lo, s25, v38
	v_cndmask_b32_e32 v5, 0, v5, vcc_lo
	v_cmp_gt_u32_e32 vcc_lo, s25, v37
	;; [unrolled: 2-line block ×9, first 2 shown]
	v_cndmask_b32_e32 v13, 0, v13, vcc_lo
	ds_write2st64_b32 v42, v1, v2 offset1:4
	ds_write2st64_b32 v42, v3, v4 offset0:8 offset1:12
	ds_write2st64_b32 v42, v5, v6 offset0:16 offset1:20
	;; [unrolled: 1-line block ×5, first 2 shown]
	ds_write_b32 v42, v13 offset:12288
	s_waitcnt lgkmcnt(0)
	s_barrier
.LBB1085_4:
	v_mul_u32_u24_e32 v45, 13, v0
	s_waitcnt lgkmcnt(0)
	buffer_gl0_inv
	v_cndmask_b32_e64 v43, 0, 1, s2
	s_andn2_b32 vcc_lo, exec_lo, s2
	v_lshlrev_b32_e32 v1, 2, v45
	ds_read2_b32 v[26:27], v1 offset0:2 offset1:3
	ds_read2_b32 v[22:23], v1 offset0:6 offset1:7
	;; [unrolled: 1-line block ×3, first 2 shown]
	ds_read2_b32 v[28:29], v1 offset1:1
	ds_read2_b32 v[18:19], v1 offset0:10 offset1:11
	ds_read_b32 v44, v1 offset:48
	ds_read2_b32 v[20:21], v1 offset0:8 offset1:9
	s_waitcnt lgkmcnt(0)
	s_barrier
	buffer_gl0_inv
	s_cbranch_vccnz .LBB1085_6
; %bb.5:
	v_add_nc_u32_e32 v1, s9, v27
	v_add_nc_u32_e32 v4, s9, v26
	;; [unrolled: 1-line block ×6, first 2 shown]
	v_mul_lo_u32 v4, v4, s8
	v_mul_lo_u32 v1, v1, s8
	v_mul_lo_u32 v5, v5, s10
	v_mul_lo_u32 v8, v8, s10
	v_add_nc_u32_e32 v3, s9, v28
	v_add_nc_u32_e32 v7, s11, v28
	v_mul_lo_u32 v2, v2, s8
	v_mul_lo_u32 v6, v6, s10
	v_add_nc_u32_e32 v10, s11, v25
	v_mul_lo_u32 v3, v3, s8
	v_mul_lo_u32 v7, v7, s10
	v_sub_nc_u32_e32 v1, v1, v5
	v_sub_nc_u32_e32 v4, v4, v8
	v_add_nc_u32_e32 v5, s9, v23
	v_add_nc_u32_e32 v8, s11, v23
	v_sub_nc_u32_e32 v2, v2, v6
	v_add_nc_u32_e32 v6, s9, v25
	v_add_nc_u32_e32 v9, s9, v22
	v_mul_lo_u32 v5, v5, s8
	v_mul_lo_u32 v8, v8, s10
	v_sub_nc_u32_e32 v3, v3, v7
	v_add_nc_u32_e32 v7, s9, v24
	v_add_nc_u32_e32 v11, s11, v22
	v_mul_lo_u32 v6, v6, s8
	v_mul_lo_u32 v10, v10, s10
	v_add_nc_u32_e32 v12, s11, v24
	v_mul_lo_u32 v9, v9, s8
	v_mul_lo_u32 v7, v7, s8
	;; [unrolled: 1-line block ×3, first 2 shown]
	v_sub_nc_u32_e32 v5, v5, v8
	v_mul_lo_u32 v8, v12, s10
	v_cmp_lt_u32_e32 vcc_lo, s1, v1
	v_sub_nc_u32_e32 v6, v6, v10
	v_add_nc_u32_e32 v10, s9, v19
	v_add_nc_u32_e32 v14, s11, v19
	;; [unrolled: 1-line block ×3, first 2 shown]
	v_cndmask_b32_e64 v1, 0, 1, vcc_lo
	v_cmp_lt_u32_e32 vcc_lo, s1, v2
	v_sub_nc_u32_e32 v7, v7, v8
	v_sub_nc_u32_e32 v8, v9, v11
	v_add_nc_u32_e32 v11, s9, v21
	v_mul_lo_u32 v10, v10, s8
	v_mul_lo_u32 v14, v14, s10
	v_cndmask_b32_e64 v2, 0, 1, vcc_lo
	v_cmp_lt_u32_e32 vcc_lo, s1, v5
	v_mul_lo_u32 v11, v11, s8
	v_mul_lo_u32 v15, v15, s10
	v_mov_b32_e32 v9, 8
	v_lshlrev_b16 v2, 8, v2
	v_cndmask_b32_e64 v5, 0, 1, vcc_lo
	v_cmp_lt_u32_e32 vcc_lo, s1, v6
	v_sub_nc_u32_e32 v10, v10, v14
	v_add_nc_u32_e32 v12, s9, v20
	v_add_nc_u32_e32 v16, s11, v20
	v_sub_nc_u32_e32 v11, v11, v15
	v_cndmask_b32_e64 v6, 0, 1, vcc_lo
	v_cmp_lt_u32_e32 vcc_lo, s1, v10
	v_lshrrev_b32_sdwa v2, v9, v2 dst_sel:BYTE_1 dst_unused:UNUSED_PAD src0_sel:DWORD src1_sel:DWORD
	v_add_nc_u32_e32 v13, s9, v18
	v_add_nc_u32_e32 v17, s11, v18
	v_mul_lo_u32 v12, v12, s8
	v_cndmask_b32_e64 v10, 0, 1, vcc_lo
	v_cmp_lt_u32_e32 vcc_lo, s1, v11
	v_mul_lo_u32 v16, v16, s10
	v_mul_lo_u32 v13, v13, s8
	;; [unrolled: 1-line block ×3, first 2 shown]
	v_add_nc_u32_e32 v14, s9, v44
	v_cndmask_b32_e64 v11, 0, 1, vcc_lo
	v_cmp_lt_u32_e32 vcc_lo, s1, v3
	v_add_nc_u32_e32 v15, s11, v44
	v_lshlrev_b16 v1, 8, v1
	v_sub_nc_u32_e32 v12, v12, v16
	v_lshlrev_b16 v11, 8, v11
	v_cndmask_b32_e64 v3, 0, 1, vcc_lo
	v_cmp_lt_u32_e32 vcc_lo, s1, v4
	v_sub_nc_u32_e32 v13, v13, v17
	v_mul_lo_u32 v14, v14, s8
	v_mul_lo_u32 v15, v15, s10
	v_or_b32_e32 v2, v3, v2
	v_cndmask_b32_e64 v3, 0, 1, vcc_lo
	v_cmp_lt_u32_e32 vcc_lo, s1, v7
	v_lshlrev_b16 v6, 8, v6
	v_lshlrev_b16 v10, 8, v10
	;; [unrolled: 1-line block ×3, first 2 shown]
	v_lshrrev_b32_sdwa v1, v9, v1 dst_sel:BYTE_1 dst_unused:UNUSED_PAD src0_sel:DWORD src1_sel:DWORD
	v_cndmask_b32_e64 v4, 0, 1, vcc_lo
	v_cmp_lt_u32_e32 vcc_lo, s1, v8
	v_lshrrev_b32_sdwa v8, v9, v11 dst_sel:BYTE_1 dst_unused:UNUSED_PAD src0_sel:DWORD src1_sel:DWORD
	v_lshrrev_b32_sdwa v6, v9, v6 dst_sel:BYTE_1 dst_unused:UNUSED_PAD src0_sel:DWORD src1_sel:DWORD
	v_sub_nc_u32_e32 v14, v14, v15
	v_lshrrev_b32_sdwa v9, v9, v10 dst_sel:BYTE_1 dst_unused:UNUSED_PAD src0_sel:DWORD src1_sel:DWORD
	v_cndmask_b32_e64 v7, 0, 1, vcc_lo
	v_cmp_lt_u32_e32 vcc_lo, s1, v12
	v_or_b32_sdwa v1, v3, v1 dst_sel:WORD_1 dst_unused:UNUSED_PAD src0_sel:DWORD src1_sel:DWORD
	v_or_b32_e32 v3, v4, v6
	v_or_b32_sdwa v4, v7, v5 dst_sel:WORD_1 dst_unused:UNUSED_PAD src0_sel:DWORD src1_sel:DWORD
	v_cndmask_b32_e64 v11, 0, 1, vcc_lo
	v_cmp_lt_u32_e32 vcc_lo, s1, v13
	v_or_b32_sdwa v50, v2, v1 dst_sel:DWORD dst_unused:UNUSED_PAD src0_sel:WORD_0 src1_sel:DWORD
	v_or_b32_sdwa v48, v3, v4 dst_sel:DWORD dst_unused:UNUSED_PAD src0_sel:WORD_0 src1_sel:DWORD
	v_or_b32_e32 v5, v11, v8
	v_cndmask_b32_e64 v10, 0, 1, vcc_lo
	v_cmp_lt_u32_e32 vcc_lo, s1, v14
	v_or_b32_sdwa v6, v10, v9 dst_sel:WORD_1 dst_unused:UNUSED_PAD src0_sel:DWORD src1_sel:DWORD
	v_cndmask_b32_e64 v46, 0, 1, vcc_lo
	v_or_b32_sdwa v47, v5, v6 dst_sel:DWORD dst_unused:UNUSED_PAD src0_sel:WORD_0 src1_sel:DWORD
	s_clause 0x1
	s_load_dwordx2 s[14:15], s[4:5], 0x28
	s_load_dwordx2 s[22:23], s[4:5], 0x68
	s_cbranch_execz .LBB1085_7
	s_branch .LBB1085_34
.LBB1085_6:
                                        ; implicit-def: $vgpr46
                                        ; implicit-def: $vgpr47
                                        ; implicit-def: $vgpr48
                                        ; implicit-def: $vgpr50
	s_clause 0x1
	s_load_dwordx2 s[14:15], s[4:5], 0x28
	s_load_dwordx2 s[22:23], s[4:5], 0x68
.LBB1085_7:
	v_mov_b32_e32 v2, 0
	v_mov_b32_e32 v1, 0
	s_mov_b32 s0, exec_lo
	v_cmpx_gt_u32_e64 s25, v45
	s_cbranch_execz .LBB1085_9
; %bb.8:
	v_add_nc_u32_e32 v1, s9, v28
	v_add_nc_u32_e32 v3, s11, v28
	v_mul_lo_u32 v1, v1, s8
	v_mul_lo_u32 v3, v3, s10
	v_sub_nc_u32_e32 v1, v1, v3
	v_cmp_lt_u32_e32 vcc_lo, s1, v1
	v_cndmask_b32_e64 v1, 0, 1, vcc_lo
.LBB1085_9:
	s_or_b32 exec_lo, exec_lo, s0
	v_add_nc_u32_e32 v3, 1, v45
	s_mov_b32 s0, exec_lo
	v_cmpx_gt_u32_e64 s25, v3
	s_cbranch_execz .LBB1085_11
; %bb.10:
	v_add_nc_u32_e32 v2, s9, v29
	v_add_nc_u32_e32 v3, s11, v29
	v_mul_lo_u32 v2, v2, s8
	v_mul_lo_u32 v3, v3, s10
	v_sub_nc_u32_e32 v2, v2, v3
	v_cmp_lt_u32_e32 vcc_lo, s1, v2
	v_cndmask_b32_e64 v2, 0, 1, vcc_lo
.LBB1085_11:
	s_or_b32 exec_lo, exec_lo, s0
	v_add_nc_u32_e32 v3, 2, v45
	v_mov_b32_e32 v4, 0
	v_cmp_gt_u32_e32 vcc_lo, s25, v3
	v_mov_b32_e32 v3, 0
	s_and_saveexec_b32 s0, vcc_lo
	s_cbranch_execz .LBB1085_13
; %bb.12:
	v_add_nc_u32_e32 v3, s9, v26
	v_add_nc_u32_e32 v5, s11, v26
	v_mul_lo_u32 v3, v3, s8
	v_mul_lo_u32 v5, v5, s10
	v_sub_nc_u32_e32 v3, v3, v5
	v_cmp_lt_u32_e32 vcc_lo, s1, v3
	v_cndmask_b32_e64 v3, 0, 1, vcc_lo
.LBB1085_13:
	s_or_b32 exec_lo, exec_lo, s0
	v_add_nc_u32_e32 v5, 3, v45
	s_mov_b32 s0, exec_lo
	v_cmpx_gt_u32_e64 s25, v5
	s_cbranch_execz .LBB1085_15
; %bb.14:
	v_add_nc_u32_e32 v4, s9, v27
	v_add_nc_u32_e32 v5, s11, v27
	v_mul_lo_u32 v4, v4, s8
	v_mul_lo_u32 v5, v5, s10
	v_sub_nc_u32_e32 v4, v4, v5
	v_cmp_lt_u32_e32 vcc_lo, s1, v4
	v_cndmask_b32_e64 v4, 0, 1, vcc_lo
.LBB1085_15:
	s_or_b32 exec_lo, exec_lo, s0
	v_add_nc_u32_e32 v5, 4, v45
	v_mov_b32_e32 v6, 0
	v_cmp_gt_u32_e32 vcc_lo, s25, v5
	v_mov_b32_e32 v5, 0
	s_and_saveexec_b32 s0, vcc_lo
	s_cbranch_execz .LBB1085_17
; %bb.16:
	v_add_nc_u32_e32 v5, s9, v24
	v_add_nc_u32_e32 v7, s11, v24
	v_mul_lo_u32 v5, v5, s8
	v_mul_lo_u32 v7, v7, s10
	v_sub_nc_u32_e32 v5, v5, v7
	v_cmp_lt_u32_e32 vcc_lo, s1, v5
	v_cndmask_b32_e64 v5, 0, 1, vcc_lo
.LBB1085_17:
	s_or_b32 exec_lo, exec_lo, s0
	v_add_nc_u32_e32 v7, 5, v45
	s_mov_b32 s0, exec_lo
	v_cmpx_gt_u32_e64 s25, v7
	s_cbranch_execz .LBB1085_19
; %bb.18:
	v_add_nc_u32_e32 v6, s9, v25
	v_add_nc_u32_e32 v7, s11, v25
	v_mul_lo_u32 v6, v6, s8
	v_mul_lo_u32 v7, v7, s10
	v_sub_nc_u32_e32 v6, v6, v7
	v_cmp_lt_u32_e32 vcc_lo, s1, v6
	v_cndmask_b32_e64 v6, 0, 1, vcc_lo
.LBB1085_19:
	s_or_b32 exec_lo, exec_lo, s0
	v_add_nc_u32_e32 v7, 6, v45
	v_mov_b32_e32 v8, 0
	v_cmp_gt_u32_e32 vcc_lo, s25, v7
	v_mov_b32_e32 v7, 0
	s_and_saveexec_b32 s0, vcc_lo
	s_cbranch_execz .LBB1085_21
; %bb.20:
	v_add_nc_u32_e32 v7, s9, v22
	v_add_nc_u32_e32 v9, s11, v22
	v_mul_lo_u32 v7, v7, s8
	v_mul_lo_u32 v9, v9, s10
	v_sub_nc_u32_e32 v7, v7, v9
	v_cmp_lt_u32_e32 vcc_lo, s1, v7
	v_cndmask_b32_e64 v7, 0, 1, vcc_lo
.LBB1085_21:
	s_or_b32 exec_lo, exec_lo, s0
	v_add_nc_u32_e32 v9, 7, v45
	s_mov_b32 s0, exec_lo
	v_cmpx_gt_u32_e64 s25, v9
	s_cbranch_execz .LBB1085_23
; %bb.22:
	v_add_nc_u32_e32 v8, s9, v23
	v_add_nc_u32_e32 v9, s11, v23
	v_mul_lo_u32 v8, v8, s8
	v_mul_lo_u32 v9, v9, s10
	v_sub_nc_u32_e32 v8, v8, v9
	v_cmp_lt_u32_e32 vcc_lo, s1, v8
	v_cndmask_b32_e64 v8, 0, 1, vcc_lo
.LBB1085_23:
	s_or_b32 exec_lo, exec_lo, s0
	v_add_nc_u32_e32 v9, 8, v45
	v_mov_b32_e32 v10, 0
	v_cmp_gt_u32_e32 vcc_lo, s25, v9
	v_mov_b32_e32 v9, 0
	s_and_saveexec_b32 s0, vcc_lo
	s_cbranch_execz .LBB1085_25
; %bb.24:
	v_add_nc_u32_e32 v9, s9, v20
	v_add_nc_u32_e32 v11, s11, v20
	v_mul_lo_u32 v9, v9, s8
	v_mul_lo_u32 v11, v11, s10
	v_sub_nc_u32_e32 v9, v9, v11
	v_cmp_lt_u32_e32 vcc_lo, s1, v9
	v_cndmask_b32_e64 v9, 0, 1, vcc_lo
.LBB1085_25:
	s_or_b32 exec_lo, exec_lo, s0
	v_add_nc_u32_e32 v11, 9, v45
	s_mov_b32 s0, exec_lo
	v_cmpx_gt_u32_e64 s25, v11
	s_cbranch_execz .LBB1085_27
; %bb.26:
	v_add_nc_u32_e32 v10, s9, v21
	v_add_nc_u32_e32 v11, s11, v21
	v_mul_lo_u32 v10, v10, s8
	v_mul_lo_u32 v11, v11, s10
	v_sub_nc_u32_e32 v10, v10, v11
	v_cmp_lt_u32_e32 vcc_lo, s1, v10
	v_cndmask_b32_e64 v10, 0, 1, vcc_lo
.LBB1085_27:
	s_or_b32 exec_lo, exec_lo, s0
	v_add_nc_u32_e32 v11, 10, v45
	v_mov_b32_e32 v12, 0
	v_cmp_gt_u32_e32 vcc_lo, s25, v11
	v_mov_b32_e32 v11, 0
	s_and_saveexec_b32 s0, vcc_lo
	s_cbranch_execz .LBB1085_29
; %bb.28:
	v_add_nc_u32_e32 v11, s9, v18
	v_add_nc_u32_e32 v13, s11, v18
	v_mul_lo_u32 v11, v11, s8
	v_mul_lo_u32 v13, v13, s10
	v_sub_nc_u32_e32 v11, v11, v13
	v_cmp_lt_u32_e32 vcc_lo, s1, v11
	v_cndmask_b32_e64 v11, 0, 1, vcc_lo
.LBB1085_29:
	s_or_b32 exec_lo, exec_lo, s0
	v_add_nc_u32_e32 v13, 11, v45
	s_mov_b32 s0, exec_lo
	v_cmpx_gt_u32_e64 s25, v13
	s_cbranch_execz .LBB1085_31
; %bb.30:
	v_add_nc_u32_e32 v12, s9, v19
	v_add_nc_u32_e32 v13, s11, v19
	v_mul_lo_u32 v12, v12, s8
	v_mul_lo_u32 v13, v13, s10
	v_sub_nc_u32_e32 v12, v12, v13
	v_cmp_lt_u32_e32 vcc_lo, s1, v12
	v_cndmask_b32_e64 v12, 0, 1, vcc_lo
.LBB1085_31:
	s_or_b32 exec_lo, exec_lo, s0
	v_add_nc_u32_e32 v13, 12, v45
	v_mov_b32_e32 v46, 0
	s_mov_b32 s0, exec_lo
	v_cmpx_gt_u32_e64 s25, v13
	s_cbranch_execz .LBB1085_33
; %bb.32:
	v_add_nc_u32_e32 v13, s9, v44
	v_add_nc_u32_e32 v14, s11, v44
	v_mul_lo_u32 v13, v13, s8
	v_mul_lo_u32 v14, v14, s10
	v_sub_nc_u32_e32 v13, v13, v14
	v_cmp_lt_u32_e32 vcc_lo, s1, v13
	v_cndmask_b32_e64 v46, 0, 1, vcc_lo
.LBB1085_33:
	s_or_b32 exec_lo, exec_lo, s0
	v_lshlrev_b16 v2, 8, v2
	v_lshlrev_b16 v4, 8, v4
	;; [unrolled: 1-line block ×5, first 2 shown]
	v_or_b32_e32 v1, v1, v2
	v_lshlrev_b16 v2, 8, v12
	v_or_b32_sdwa v3, v3, v4 dst_sel:WORD_1 dst_unused:UNUSED_PAD src0_sel:DWORD src1_sel:DWORD
	v_or_b32_e32 v4, v5, v6
	v_or_b32_sdwa v5, v7, v8 dst_sel:WORD_1 dst_unused:UNUSED_PAD src0_sel:DWORD src1_sel:DWORD
	v_or_b32_e32 v6, v9, v10
	v_or_b32_sdwa v2, v11, v2 dst_sel:WORD_1 dst_unused:UNUSED_PAD src0_sel:DWORD src1_sel:DWORD
	v_or_b32_sdwa v50, v1, v3 dst_sel:DWORD dst_unused:UNUSED_PAD src0_sel:WORD_0 src1_sel:DWORD
	v_or_b32_sdwa v48, v4, v5 dst_sel:DWORD dst_unused:UNUSED_PAD src0_sel:WORD_0 src1_sel:DWORD
	;; [unrolled: 1-line block ×3, first 2 shown]
.LBB1085_34:
	v_and_b32_e32 v53, 0xff, v50
	v_bfe_u32 v54, v50, 8, 8
	v_bfe_u32 v55, v50, 16, 8
	v_lshrrev_b32_e32 v52, 24, v50
	v_and_b32_e32 v56, 0xff, v48
	v_bfe_u32 v57, v48, 8, 8
	v_bfe_u32 v58, v48, 16, 8
	v_add3_u32 v1, v54, v53, v55
	v_lshrrev_b32_e32 v51, 24, v48
	v_and_b32_e32 v59, 0xff, v47
	v_bfe_u32 v60, v47, 8, 8
	v_mbcnt_lo_u32_b32 v62, -1, 0
	v_add3_u32 v1, v1, v52, v56
	v_bfe_u32 v61, v47, 16, 8
	v_lshrrev_b32_e32 v49, 24, v47
	v_and_b32_e32 v2, 0xff, v46
	v_and_b32_e32 v3, 15, v62
	v_add3_u32 v1, v1, v57, v58
	v_or_b32_e32 v4, 31, v0
	v_and_b32_e32 v5, 16, v62
	v_lshrrev_b32_e32 v63, 5, v0
	v_cmp_eq_u32_e64 s5, 0, v3
	v_add3_u32 v1, v1, v51, v59
	v_cmp_lt_u32_e64 s4, 1, v3
	v_cmp_lt_u32_e64 s3, 3, v3
	;; [unrolled: 1-line block ×3, first 2 shown]
	v_cmp_eq_u32_e64 s1, 0, v5
	v_add3_u32 v1, v1, v60, v61
	v_cmp_eq_u32_e64 s0, v0, v4
	s_cmp_lg_u32 s6, 0
	s_mov_b32 s7, -1
	v_add3_u32 v64, v1, v49, v2
	s_cbranch_scc0 .LBB1085_56
; %bb.35:
	v_mov_b32_dpp v1, v64 row_shr:1 row_mask:0xf bank_mask:0xf
	v_cndmask_b32_e64 v1, v1, 0, s5
	v_add_nc_u32_e32 v1, v1, v64
	v_mov_b32_dpp v2, v1 row_shr:2 row_mask:0xf bank_mask:0xf
	v_cndmask_b32_e64 v2, 0, v2, s4
	v_add_nc_u32_e32 v1, v1, v2
	;; [unrolled: 3-line block ×4, first 2 shown]
	ds_swizzle_b32 v2, v1 offset:swizzle(BROADCAST,32,15)
	s_waitcnt lgkmcnt(0)
	v_cndmask_b32_e64 v2, v2, 0, s1
	v_add_nc_u32_e32 v1, v1, v2
	s_and_saveexec_b32 s7, s0
; %bb.36:
	v_lshlrev_b32_e32 v2, 2, v63
	ds_write_b32 v2, v1
; %bb.37:
	s_or_b32 exec_lo, exec_lo, s7
	s_mov_b32 s7, exec_lo
	s_waitcnt lgkmcnt(0)
	s_barrier
	buffer_gl0_inv
	v_cmpx_gt_u32_e32 8, v0
	s_cbranch_execz .LBB1085_39
; %bb.38:
	ds_read_b32 v2, v42
	v_and_b32_e32 v3, 7, v62
	v_cmp_ne_u32_e32 vcc_lo, 0, v3
	s_waitcnt lgkmcnt(0)
	v_mov_b32_dpp v4, v2 row_shr:1 row_mask:0xf bank_mask:0xf
	v_cndmask_b32_e32 v4, 0, v4, vcc_lo
	v_cmp_lt_u32_e32 vcc_lo, 1, v3
	v_add_nc_u32_e32 v2, v4, v2
	v_mov_b32_dpp v4, v2 row_shr:2 row_mask:0xf bank_mask:0xf
	v_cndmask_b32_e32 v4, 0, v4, vcc_lo
	v_cmp_lt_u32_e32 vcc_lo, 3, v3
	v_add_nc_u32_e32 v2, v2, v4
	v_mov_b32_dpp v4, v2 row_shr:4 row_mask:0xf bank_mask:0xf
	v_cndmask_b32_e32 v3, 0, v4, vcc_lo
	v_add_nc_u32_e32 v2, v2, v3
	ds_write_b32 v42, v2
.LBB1085_39:
	s_or_b32 exec_lo, exec_lo, s7
	s_mov_b32 s8, exec_lo
	v_cmp_gt_u32_e32 vcc_lo, 32, v0
	s_waitcnt lgkmcnt(0)
	s_barrier
	buffer_gl0_inv
                                        ; implicit-def: $vgpr10
	v_cmpx_lt_u32_e32 31, v0
	s_cbranch_execz .LBB1085_41
; %bb.40:
	v_lshl_add_u32 v2, v63, 2, -4
	ds_read_b32 v10, v2
	s_waitcnt lgkmcnt(0)
	v_add_nc_u32_e32 v1, v10, v1
.LBB1085_41:
	s_or_b32 exec_lo, exec_lo, s8
	v_sub_co_u32 v2, s7, v62, 1
	v_cmp_gt_i32_e64 s8, 0, v2
	v_cndmask_b32_e64 v2, v2, v62, s8
	v_lshlrev_b32_e32 v2, 2, v2
	ds_bpermute_b32 v11, v2, v1
	s_and_saveexec_b32 s8, vcc_lo
	s_cbranch_execz .LBB1085_61
; %bb.42:
	v_mov_b32_e32 v7, 0
	ds_read_b32 v1, v7 offset:28
	s_and_saveexec_b32 s9, s7
	s_cbranch_execz .LBB1085_44
; %bb.43:
	s_add_i32 s10, s6, 32
	s_mov_b32 s11, 0
	v_mov_b32_e32 v2, 1
	s_lshl_b64 s[10:11], s[10:11], 3
	s_add_u32 s10, s22, s10
	s_addc_u32 s11, s23, s11
	s_waitcnt lgkmcnt(0)
	global_store_dwordx2 v7, v[1:2], s[10:11]
.LBB1085_44:
	s_or_b32 exec_lo, exec_lo, s9
	v_xad_u32 v3, v62, -1, s6
	s_mov_b32 s10, 0
	v_add_nc_u32_e32 v6, 32, v3
	v_lshlrev_b64 v[4:5], 3, v[6:7]
	v_add_co_u32 v8, vcc_lo, s22, v4
	v_add_co_ci_u32_e64 v9, null, s23, v5, vcc_lo
	global_load_dwordx2 v[5:6], v[8:9], off glc dlc
	s_waitcnt vmcnt(0)
	v_cmp_eq_u16_sdwa s11, v6, v7 src0_sel:BYTE_0 src1_sel:DWORD
	s_and_saveexec_b32 s9, s11
	s_cbranch_execz .LBB1085_48
; %bb.45:
	v_mov_b32_e32 v2, 0
.LBB1085_46:                            ; =>This Inner Loop Header: Depth=1
	global_load_dwordx2 v[5:6], v[8:9], off glc dlc
	s_waitcnt vmcnt(0)
	v_cmp_ne_u16_sdwa s11, v6, v2 src0_sel:BYTE_0 src1_sel:DWORD
	s_or_b32 s10, s11, s10
	s_andn2_b32 exec_lo, exec_lo, s10
	s_cbranch_execnz .LBB1085_46
; %bb.47:
	s_or_b32 exec_lo, exec_lo, s10
.LBB1085_48:
	s_or_b32 exec_lo, exec_lo, s9
	v_cmp_ne_u32_e32 vcc_lo, 31, v62
	v_mov_b32_e32 v12, 2
	v_lshlrev_b32_e64 v13, v62, -1
	v_add_nc_u32_e32 v15, 2, v62
	v_add_nc_u32_e32 v17, 4, v62
	v_add_co_ci_u32_e64 v2, null, 0, v62, vcc_lo
	v_cmp_eq_u16_sdwa s9, v6, v12 src0_sel:BYTE_0 src1_sel:DWORD
	v_cmp_gt_u32_e32 vcc_lo, 30, v62
	v_add_nc_u32_e32 v66, 8, v62
	v_lshlrev_b32_e32 v9, 2, v2
	v_lshl_or_b32 v67, v62, 2, 64
	v_and_or_b32 v4, s9, v13, 0x80000000
	v_cndmask_b32_e64 v7, 0, 2, vcc_lo
	v_add_nc_u32_e32 v68, 16, v62
	ds_bpermute_b32 v2, v9, v5
	v_ffbl_b32_e32 v4, v4
	v_add_lshl_u32 v14, v7, v62, 2
	v_cmp_lt_u32_e32 vcc_lo, v62, v4
	s_waitcnt lgkmcnt(0)
	v_cndmask_b32_e32 v2, 0, v2, vcc_lo
	v_cmp_gt_u32_e32 vcc_lo, 28, v62
	v_add_nc_u32_e32 v2, v2, v5
	v_cndmask_b32_e64 v7, 0, 4, vcc_lo
	v_cmp_le_u32_e32 vcc_lo, v15, v4
	ds_bpermute_b32 v5, v14, v2
	v_add_lshl_u32 v16, v7, v62, 2
	s_waitcnt lgkmcnt(0)
	v_cndmask_b32_e32 v5, 0, v5, vcc_lo
	v_cmp_gt_u32_e32 vcc_lo, 24, v62
	v_add_nc_u32_e32 v2, v2, v5
	v_cndmask_b32_e64 v7, 0, 8, vcc_lo
	v_cmp_le_u32_e32 vcc_lo, v17, v4
	ds_bpermute_b32 v5, v16, v2
	v_add_lshl_u32 v65, v7, v62, 2
	s_waitcnt lgkmcnt(0)
	v_cndmask_b32_e32 v5, 0, v5, vcc_lo
	v_cmp_le_u32_e32 vcc_lo, v66, v4
	v_add_nc_u32_e32 v2, v2, v5
	ds_bpermute_b32 v5, v65, v2
	s_waitcnt lgkmcnt(0)
	v_cndmask_b32_e32 v5, 0, v5, vcc_lo
	v_cmp_le_u32_e32 vcc_lo, v68, v4
	v_add_nc_u32_e32 v2, v2, v5
	ds_bpermute_b32 v5, v67, v2
	s_waitcnt lgkmcnt(0)
	v_cndmask_b32_e32 v4, 0, v5, vcc_lo
	v_add_nc_u32_e32 v5, v2, v4
	v_mov_b32_e32 v4, 0
	s_branch .LBB1085_52
.LBB1085_49:                            ;   in Loop: Header=BB1085_52 Depth=1
	s_or_b32 exec_lo, exec_lo, s10
.LBB1085_50:                            ;   in Loop: Header=BB1085_52 Depth=1
	s_or_b32 exec_lo, exec_lo, s9
	ds_bpermute_b32 v7, v9, v5
	v_cmp_eq_u16_sdwa s9, v6, v12 src0_sel:BYTE_0 src1_sel:DWORD
	v_subrev_nc_u32_e32 v3, 32, v3
	v_and_or_b32 v8, s9, v13, 0x80000000
	s_mov_b32 s9, 0
	v_ffbl_b32_e32 v8, v8
	v_cmp_lt_u32_e32 vcc_lo, v62, v8
	s_waitcnt lgkmcnt(0)
	v_cndmask_b32_e32 v7, 0, v7, vcc_lo
	v_cmp_le_u32_e32 vcc_lo, v15, v8
	v_add_nc_u32_e32 v5, v7, v5
	ds_bpermute_b32 v7, v14, v5
	s_waitcnt lgkmcnt(0)
	v_cndmask_b32_e32 v7, 0, v7, vcc_lo
	v_cmp_le_u32_e32 vcc_lo, v17, v8
	v_add_nc_u32_e32 v5, v5, v7
	ds_bpermute_b32 v7, v16, v5
	;; [unrolled: 5-line block ×4, first 2 shown]
	s_waitcnt lgkmcnt(0)
	v_cndmask_b32_e32 v7, 0, v7, vcc_lo
	v_add3_u32 v5, v7, v2, v5
.LBB1085_51:                            ;   in Loop: Header=BB1085_52 Depth=1
	s_and_b32 vcc_lo, exec_lo, s9
	s_cbranch_vccnz .LBB1085_57
.LBB1085_52:                            ; =>This Loop Header: Depth=1
                                        ;     Child Loop BB1085_55 Depth 2
	v_cmp_ne_u16_sdwa s9, v6, v12 src0_sel:BYTE_0 src1_sel:DWORD
	v_mov_b32_e32 v2, v5
                                        ; implicit-def: $vgpr5
                                        ; implicit-def: $vgpr6
	s_cmp_lg_u32 s9, exec_lo
	s_mov_b32 s9, -1
	s_cbranch_scc1 .LBB1085_51
; %bb.53:                               ;   in Loop: Header=BB1085_52 Depth=1
	v_lshlrev_b64 v[5:6], 3, v[3:4]
	v_add_co_u32 v7, vcc_lo, s22, v5
	v_add_co_ci_u32_e64 v8, null, s23, v6, vcc_lo
	global_load_dwordx2 v[5:6], v[7:8], off glc dlc
	s_waitcnt vmcnt(0)
	v_cmp_eq_u16_sdwa s10, v6, v4 src0_sel:BYTE_0 src1_sel:DWORD
	s_and_saveexec_b32 s9, s10
	s_cbranch_execz .LBB1085_50
; %bb.54:                               ;   in Loop: Header=BB1085_52 Depth=1
	s_mov_b32 s10, 0
.LBB1085_55:                            ;   Parent Loop BB1085_52 Depth=1
                                        ; =>  This Inner Loop Header: Depth=2
	global_load_dwordx2 v[5:6], v[7:8], off glc dlc
	s_waitcnt vmcnt(0)
	v_cmp_ne_u16_sdwa s11, v6, v4 src0_sel:BYTE_0 src1_sel:DWORD
	s_or_b32 s10, s11, s10
	s_andn2_b32 exec_lo, exec_lo, s10
	s_cbranch_execnz .LBB1085_55
	s_branch .LBB1085_49
.LBB1085_56:
                                        ; implicit-def: $vgpr17
                                        ; implicit-def: $vgpr1_vgpr2_vgpr3_vgpr4_vgpr5_vgpr6_vgpr7_vgpr8_vgpr9_vgpr10_vgpr11_vgpr12_vgpr13_vgpr14_vgpr15_vgpr16
	s_and_b32 vcc_lo, exec_lo, s7
	s_cbranch_vccnz .LBB1085_62
	s_branch .LBB1085_71
.LBB1085_57:
	s_and_saveexec_b32 s9, s7
	s_cbranch_execz .LBB1085_59
; %bb.58:
	s_add_i32 s10, s6, 32
	s_mov_b32 s11, 0
	v_add_nc_u32_e32 v3, v2, v1
	v_mov_b32_e32 v4, 2
	s_lshl_b64 s[10:11], s[10:11], 3
	v_mov_b32_e32 v5, 0
	s_add_u32 s10, s22, s10
	s_addc_u32 s11, s23, s11
	global_store_dwordx2 v5, v[3:4], s[10:11]
	ds_write_b64 v5, v[1:2] offset:13312
.LBB1085_59:
	s_or_b32 exec_lo, exec_lo, s9
	v_cmp_eq_u32_e32 vcc_lo, 0, v0
	s_and_b32 exec_lo, exec_lo, vcc_lo
; %bb.60:
	v_mov_b32_e32 v1, 0
	ds_write_b32 v1, v2 offset:28
.LBB1085_61:
	s_or_b32 exec_lo, exec_lo, s8
	v_mov_b32_e32 v12, 0
	s_waitcnt lgkmcnt(0)
	s_waitcnt_vscnt null, 0x0
	s_barrier
	buffer_gl0_inv
	v_cndmask_b32_e64 v2, v11, v10, s7
	ds_read_b32 v1, v12 offset:28
	v_cmp_ne_u32_e32 vcc_lo, 0, v0
	s_waitcnt lgkmcnt(0)
	s_barrier
	buffer_gl0_inv
	ds_read_b64 v[16:17], v12 offset:13312
	v_cndmask_b32_e32 v2, 0, v2, vcc_lo
	v_add_nc_u32_e32 v1, v1, v2
	v_add_nc_u32_e32 v2, v1, v53
	;; [unrolled: 1-line block ×13, first 2 shown]
	s_branch .LBB1085_71
.LBB1085_62:
	v_mov_b32_dpp v1, v64 row_shr:1 row_mask:0xf bank_mask:0xf
	v_cndmask_b32_e64 v1, v1, 0, s5
	v_add_nc_u32_e32 v1, v1, v64
	v_mov_b32_dpp v2, v1 row_shr:2 row_mask:0xf bank_mask:0xf
	v_cndmask_b32_e64 v2, 0, v2, s4
	v_add_nc_u32_e32 v1, v1, v2
	v_mov_b32_dpp v2, v1 row_shr:4 row_mask:0xf bank_mask:0xf
	v_cndmask_b32_e64 v2, 0, v2, s3
	v_add_nc_u32_e32 v1, v1, v2
	v_mov_b32_dpp v2, v1 row_shr:8 row_mask:0xf bank_mask:0xf
	v_cndmask_b32_e64 v2, 0, v2, s2
	v_add_nc_u32_e32 v1, v1, v2
	ds_swizzle_b32 v2, v1 offset:swizzle(BROADCAST,32,15)
	s_waitcnt lgkmcnt(0)
	v_cndmask_b32_e64 v2, v2, 0, s1
	v_add_nc_u32_e32 v1, v1, v2
	s_and_saveexec_b32 s1, s0
; %bb.63:
	v_lshlrev_b32_e32 v2, 2, v63
	ds_write_b32 v2, v1
; %bb.64:
	s_or_b32 exec_lo, exec_lo, s1
	s_mov_b32 s0, exec_lo
	s_waitcnt lgkmcnt(0)
	s_barrier
	buffer_gl0_inv
	v_cmpx_gt_u32_e32 8, v0
	s_cbranch_execz .LBB1085_66
; %bb.65:
	ds_read_b32 v2, v42
	v_and_b32_e32 v3, 7, v62
	v_cmp_ne_u32_e32 vcc_lo, 0, v3
	s_waitcnt lgkmcnt(0)
	v_mov_b32_dpp v4, v2 row_shr:1 row_mask:0xf bank_mask:0xf
	v_cndmask_b32_e32 v4, 0, v4, vcc_lo
	v_cmp_lt_u32_e32 vcc_lo, 1, v3
	v_add_nc_u32_e32 v2, v4, v2
	v_mov_b32_dpp v4, v2 row_shr:2 row_mask:0xf bank_mask:0xf
	v_cndmask_b32_e32 v4, 0, v4, vcc_lo
	v_cmp_lt_u32_e32 vcc_lo, 3, v3
	v_add_nc_u32_e32 v2, v2, v4
	v_mov_b32_dpp v4, v2 row_shr:4 row_mask:0xf bank_mask:0xf
	v_cndmask_b32_e32 v3, 0, v4, vcc_lo
	v_add_nc_u32_e32 v2, v2, v3
	ds_write_b32 v42, v2
.LBB1085_66:
	s_or_b32 exec_lo, exec_lo, s0
	v_mov_b32_e32 v3, 0
	v_mov_b32_e32 v2, 0
	s_mov_b32 s0, exec_lo
	s_waitcnt lgkmcnt(0)
	s_barrier
	buffer_gl0_inv
	v_cmpx_lt_u32_e32 31, v0
; %bb.67:
	v_lshl_add_u32 v2, v63, 2, -4
	ds_read_b32 v2, v2
; %bb.68:
	s_or_b32 exec_lo, exec_lo, s0
	v_sub_co_u32 v4, vcc_lo, v62, 1
	s_waitcnt lgkmcnt(0)
	v_add_nc_u32_e32 v1, v2, v1
	ds_read_b32 v16, v3 offset:28
	v_cmp_gt_i32_e64 s0, 0, v4
	v_cndmask_b32_e64 v4, v4, v62, s0
	v_cmp_eq_u32_e64 s0, 0, v0
	v_lshlrev_b32_e32 v4, 2, v4
	ds_bpermute_b32 v1, v4, v1
	s_and_saveexec_b32 s1, s0
	s_cbranch_execz .LBB1085_70
; %bb.69:
	v_mov_b32_e32 v3, 0
	v_mov_b32_e32 v17, 2
	s_waitcnt lgkmcnt(1)
	global_store_dwordx2 v3, v[16:17], s[22:23] offset:256
.LBB1085_70:
	s_or_b32 exec_lo, exec_lo, s1
	s_waitcnt lgkmcnt(0)
	v_cndmask_b32_e32 v1, v1, v2, vcc_lo
	v_mov_b32_e32 v17, 0
	s_waitcnt_vscnt null, 0x0
	s_barrier
	buffer_gl0_inv
	v_cndmask_b32_e64 v1, v1, 0, s0
	v_add_nc_u32_e32 v2, v1, v53
	v_add_nc_u32_e32 v3, v2, v54
	;; [unrolled: 1-line block ×12, first 2 shown]
.LBB1085_71:
	s_waitcnt lgkmcnt(0)
	v_add_nc_u32_e32 v45, v16, v45
	v_sub_nc_u32_e32 v1, v1, v17
	v_and_b32_e32 v54, 1, v50
	v_lshrrev_b32_e32 v53, 8, v50
	v_sub_nc_u32_e32 v2, v2, v17
	v_sub_nc_u32_e32 v3, v3, v17
	;; [unrolled: 1-line block ×3, first 2 shown]
	v_cmp_eq_u32_e32 vcc_lo, 1, v54
	v_and_b32_e32 v53, 1, v53
	v_mov_b32_e32 v56, 1
	v_sub_nc_u32_e32 v54, v45, v2
	v_sub_nc_u32_e32 v4, v4, v17
	v_cndmask_b32_e32 v1, v55, v1, vcc_lo
	v_sub_nc_u32_e32 v55, v45, v3
	v_and_b32_sdwa v50, v56, v50 dst_sel:DWORD dst_unused:UNUSED_PAD src0_sel:DWORD src1_sel:WORD_1
	v_add_nc_u32_e32 v54, 1, v54
	v_cmp_eq_u32_e32 vcc_lo, 1, v53
	v_lshlrev_b32_e32 v1, 2, v1
	v_and_b32_e32 v52, 1, v52
	v_sub_nc_u32_e32 v57, v45, v4
	v_add_nc_u32_e32 v55, 2, v55
	v_lshrrev_b32_e32 v15, 8, v48
	ds_write_b32 v1, v28
	v_cndmask_b32_e32 v1, v54, v2, vcc_lo
	v_cmp_eq_u32_e32 vcc_lo, 1, v50
	v_add_nc_u32_e32 v57, 3, v57
	v_lshrrev_b32_e32 v14, 8, v47
	v_lshlrev_b32_e32 v1, 2, v1
	v_cndmask_b32_e32 v2, v55, v3, vcc_lo
	v_cmp_eq_u32_e32 vcc_lo, 1, v52
	ds_write_b32 v1, v29
	v_lshlrev_b32_e32 v2, 2, v2
	v_cndmask_b32_e32 v3, v57, v4, vcc_lo
	v_sub_nc_u32_e32 v4, v5, v17
	v_sub_nc_u32_e32 v5, v6, v17
	v_lshlrev_b32_e32 v3, 2, v3
	v_sub_nc_u32_e32 v1, v45, v4
	v_sub_nc_u32_e32 v6, v45, v5
	ds_write_b32 v2, v26
	ds_write_b32 v3, v27
	v_and_b32_e32 v2, 1, v48
	v_add_nc_u32_e32 v1, 4, v1
	v_add_nc_u32_e32 v3, 5, v6
	v_sub_nc_u32_e32 v6, v7, v17
	v_and_b32_e32 v7, 1, v15
	v_cmp_eq_u32_e32 vcc_lo, 1, v2
	v_sub_nc_u32_e32 v2, v8, v17
	v_and_b32_e32 v8, 1, v51
	v_add_co_u32 v15, s0, s20, v17
	v_cndmask_b32_e32 v1, v1, v4, vcc_lo
	v_sub_nc_u32_e32 v4, v45, v6
	v_cmp_eq_u32_e32 vcc_lo, 1, v7
	v_and_b32_sdwa v7, v56, v48 dst_sel:DWORD dst_unused:UNUSED_PAD src0_sel:DWORD src1_sel:WORD_1
	v_lshlrev_b32_e32 v1, 2, v1
	v_add_nc_u32_e32 v4, 6, v4
	v_cndmask_b32_e32 v3, v3, v5, vcc_lo
	v_sub_nc_u32_e32 v5, v45, v2
	v_cmp_eq_u32_e32 vcc_lo, 1, v7
	v_sub_nc_u32_e32 v7, v13, v17
	v_lshlrev_b32_e32 v3, 2, v3
	v_add_nc_u32_e32 v5, 7, v5
	v_cndmask_b32_e32 v4, v4, v6, vcc_lo
	v_cmp_eq_u32_e32 vcc_lo, 1, v8
	v_sub_nc_u32_e32 v6, v9, v17
	ds_write_b32 v1, v24
	ds_write_b32 v3, v25
	v_lshlrev_b32_e32 v3, 2, v4
	v_cndmask_b32_e32 v2, v5, v2, vcc_lo
	v_sub_nc_u32_e32 v1, v45, v6
	v_and_b32_e32 v5, 1, v47
	v_sub_nc_u32_e32 v4, v10, v17
	v_and_b32_e32 v10, 1, v49
	v_lshlrev_b32_e32 v2, 2, v2
	v_add_nc_u32_e32 v1, 8, v1
	ds_write_b32 v3, v22
	ds_write_b32 v2, v23
	v_cmp_eq_u32_e32 vcc_lo, 1, v5
	v_sub_nc_u32_e32 v3, v11, v17
	v_sub_nc_u32_e32 v2, v45, v4
	;; [unrolled: 1-line block ×3, first 2 shown]
	v_and_b32_e32 v11, 1, v46
	v_cndmask_b32_e32 v1, v1, v6, vcc_lo
	v_and_b32_e32 v6, 1, v14
	v_sub_nc_u32_e32 v8, v45, v3
	v_add_nc_u32_e32 v2, 9, v2
	v_sub_nc_u32_e32 v9, v45, v5
	v_lshlrev_b32_e32 v1, 2, v1
	v_cmp_eq_u32_e32 vcc_lo, 1, v6
	v_add_nc_u32_e32 v6, 10, v8
	v_and_b32_sdwa v8, v56, v47 dst_sel:DWORD dst_unused:UNUSED_PAD src0_sel:DWORD src1_sel:WORD_1
	v_add_nc_u32_e32 v9, 11, v9
	v_add_co_ci_u32_e64 v17, null, s21, 0, s0
	v_cndmask_b32_e32 v2, v2, v4, vcc_lo
	v_cmp_eq_u32_e32 vcc_lo, 1, v8
	v_sub_nc_u32_e32 v4, v45, v7
	v_lshlrev_b32_e32 v2, 2, v2
	v_cndmask_b32_e32 v3, v6, v3, vcc_lo
	v_cmp_eq_u32_e32 vcc_lo, 1, v10
	v_add_nc_u32_e32 v4, 12, v4
	v_lshlrev_b32_e32 v3, 2, v3
	v_cndmask_b32_e32 v5, v9, v5, vcc_lo
	v_cmp_eq_u32_e32 vcc_lo, 1, v11
	v_lshlrev_b32_e32 v5, 2, v5
	v_cndmask_b32_e32 v4, v4, v7, vcc_lo
	v_cmp_ne_u32_e32 vcc_lo, 1, v43
	v_lshlrev_b32_e32 v4, 2, v4
	ds_write_b32 v1, v20
	ds_write_b32 v2, v21
	;; [unrolled: 1-line block ×5, first 2 shown]
	s_waitcnt lgkmcnt(0)
	s_barrier
	buffer_gl0_inv
	ds_read2st64_b32 v[11:12], v42 offset1:4
	ds_read2st64_b32 v[9:10], v42 offset0:8 offset1:12
	ds_read2st64_b32 v[7:8], v42 offset0:16 offset1:20
	;; [unrolled: 1-line block ×5, first 2 shown]
	ds_read_b32 v18, v42 offset:12288
	s_cbranch_vccnz .LBB1085_125
; %bb.72:
	s_sub_u32 s0, s18, s26
	v_sub_co_u32 v13, vcc_lo, v15, s16
	s_subb_u32 s1, s19, 0
	v_add_co_u32 v19, s0, s0, v16
	v_subrev_co_ci_u32_e64 v14, null, s17, v17, vcc_lo
	v_add_co_ci_u32_e64 v20, null, s1, 0, s0
	v_add_co_u32 v19, vcc_lo, v19, v13
	s_mov_b32 s0, exec_lo
	v_add_co_ci_u32_e64 v20, null, v20, v14, vcc_lo
                                        ; implicit-def: $vgpr13_vgpr14
	v_cmpx_ge_u32_e64 v0, v16
	s_xor_b32 s0, exec_lo, s0
; %bb.73:
	v_not_b32_e32 v13, v0
	v_ashrrev_i32_e32 v14, 31, v13
	v_add_co_u32 v13, vcc_lo, v19, v13
	v_add_co_ci_u32_e64 v14, null, v20, v14, vcc_lo
; %bb.74:
	s_andn2_saveexec_b32 s0, s0
; %bb.75:
	v_add_co_u32 v13, vcc_lo, v15, v0
	v_add_co_ci_u32_e64 v14, null, 0, v17, vcc_lo
; %bb.76:
	s_or_b32 exec_lo, exec_lo, s0
	v_lshlrev_b64 v[13:14], 2, v[13:14]
	s_mov_b32 s0, exec_lo
	v_add_co_u32 v13, vcc_lo, s14, v13
	v_add_co_ci_u32_e64 v14, null, s15, v14, vcc_lo
	s_waitcnt lgkmcnt(6)
	global_store_dword v[13:14], v11, off
                                        ; implicit-def: $vgpr13_vgpr14
	v_cmpx_ge_u32_e64 v41, v16
	s_xor_b32 s0, exec_lo, s0
; %bb.77:
	v_xor_b32_e32 v13, 0xfffffeff, v0
	v_ashrrev_i32_e32 v14, 31, v13
	v_add_co_u32 v13, vcc_lo, v19, v13
	v_add_co_ci_u32_e64 v14, null, v20, v14, vcc_lo
; %bb.78:
	s_andn2_saveexec_b32 s0, s0
; %bb.79:
	v_add_co_u32 v13, vcc_lo, v15, v41
	v_add_co_ci_u32_e64 v14, null, 0, v17, vcc_lo
; %bb.80:
	s_or_b32 exec_lo, exec_lo, s0
	v_lshlrev_b64 v[13:14], 2, v[13:14]
	s_mov_b32 s0, exec_lo
	v_add_co_u32 v13, vcc_lo, s14, v13
	v_add_co_ci_u32_e64 v14, null, s15, v14, vcc_lo
	global_store_dword v[13:14], v12, off
                                        ; implicit-def: $vgpr13_vgpr14
	v_cmpx_ge_u32_e64 v40, v16
	s_xor_b32 s0, exec_lo, s0
; %bb.81:
	v_xor_b32_e32 v13, 0xfffffdff, v0
	v_ashrrev_i32_e32 v14, 31, v13
	v_add_co_u32 v13, vcc_lo, v19, v13
	v_add_co_ci_u32_e64 v14, null, v20, v14, vcc_lo
; %bb.82:
	s_andn2_saveexec_b32 s0, s0
; %bb.83:
	v_add_co_u32 v13, vcc_lo, v15, v40
	v_add_co_ci_u32_e64 v14, null, 0, v17, vcc_lo
; %bb.84:
	s_or_b32 exec_lo, exec_lo, s0
	v_lshlrev_b64 v[13:14], 2, v[13:14]
	s_mov_b32 s0, exec_lo
	v_add_co_u32 v13, vcc_lo, s14, v13
	v_add_co_ci_u32_e64 v14, null, s15, v14, vcc_lo
	s_waitcnt lgkmcnt(5)
	global_store_dword v[13:14], v9, off
                                        ; implicit-def: $vgpr13_vgpr14
	v_cmpx_ge_u32_e64 v39, v16
	s_xor_b32 s0, exec_lo, s0
; %bb.85:
	v_xor_b32_e32 v13, 0xfffffcff, v0
	v_ashrrev_i32_e32 v14, 31, v13
	v_add_co_u32 v13, vcc_lo, v19, v13
	v_add_co_ci_u32_e64 v14, null, v20, v14, vcc_lo
; %bb.86:
	s_andn2_saveexec_b32 s0, s0
; %bb.87:
	v_add_co_u32 v13, vcc_lo, v15, v39
	v_add_co_ci_u32_e64 v14, null, 0, v17, vcc_lo
; %bb.88:
	s_or_b32 exec_lo, exec_lo, s0
	v_lshlrev_b64 v[13:14], 2, v[13:14]
	s_mov_b32 s0, exec_lo
	v_add_co_u32 v13, vcc_lo, s14, v13
	v_add_co_ci_u32_e64 v14, null, s15, v14, vcc_lo
	global_store_dword v[13:14], v10, off
                                        ; implicit-def: $vgpr13_vgpr14
	v_cmpx_ge_u32_e64 v38, v16
	s_xor_b32 s0, exec_lo, s0
; %bb.89:
	v_xor_b32_e32 v13, 0xfffffbff, v0
	v_ashrrev_i32_e32 v14, 31, v13
	v_add_co_u32 v13, vcc_lo, v19, v13
	v_add_co_ci_u32_e64 v14, null, v20, v14, vcc_lo
; %bb.90:
	s_andn2_saveexec_b32 s0, s0
; %bb.91:
	v_add_co_u32 v13, vcc_lo, v15, v38
	v_add_co_ci_u32_e64 v14, null, 0, v17, vcc_lo
; %bb.92:
	s_or_b32 exec_lo, exec_lo, s0
	v_lshlrev_b64 v[13:14], 2, v[13:14]
	s_mov_b32 s0, exec_lo
	v_add_co_u32 v13, vcc_lo, s14, v13
	v_add_co_ci_u32_e64 v14, null, s15, v14, vcc_lo
	s_waitcnt lgkmcnt(4)
	global_store_dword v[13:14], v7, off
                                        ; implicit-def: $vgpr13_vgpr14
	v_cmpx_ge_u32_e64 v37, v16
	s_xor_b32 s0, exec_lo, s0
; %bb.93:
	v_xor_b32_e32 v13, 0xfffffaff, v0
	v_ashrrev_i32_e32 v14, 31, v13
	v_add_co_u32 v13, vcc_lo, v19, v13
	v_add_co_ci_u32_e64 v14, null, v20, v14, vcc_lo
; %bb.94:
	s_andn2_saveexec_b32 s0, s0
; %bb.95:
	v_add_co_u32 v13, vcc_lo, v15, v37
	v_add_co_ci_u32_e64 v14, null, 0, v17, vcc_lo
; %bb.96:
	s_or_b32 exec_lo, exec_lo, s0
	v_lshlrev_b64 v[13:14], 2, v[13:14]
	s_mov_b32 s0, exec_lo
	v_add_co_u32 v13, vcc_lo, s14, v13
	v_add_co_ci_u32_e64 v14, null, s15, v14, vcc_lo
	global_store_dword v[13:14], v8, off
                                        ; implicit-def: $vgpr13_vgpr14
	v_cmpx_ge_u32_e64 v36, v16
	s_xor_b32 s0, exec_lo, s0
; %bb.97:
	v_xor_b32_e32 v13, 0xfffff9ff, v0
	v_ashrrev_i32_e32 v14, 31, v13
	v_add_co_u32 v13, vcc_lo, v19, v13
	v_add_co_ci_u32_e64 v14, null, v20, v14, vcc_lo
; %bb.98:
	s_andn2_saveexec_b32 s0, s0
; %bb.99:
	v_add_co_u32 v13, vcc_lo, v15, v36
	v_add_co_ci_u32_e64 v14, null, 0, v17, vcc_lo
; %bb.100:
	s_or_b32 exec_lo, exec_lo, s0
	v_lshlrev_b64 v[13:14], 2, v[13:14]
	s_mov_b32 s0, exec_lo
	v_add_co_u32 v13, vcc_lo, s14, v13
	v_add_co_ci_u32_e64 v14, null, s15, v14, vcc_lo
	s_waitcnt lgkmcnt(3)
	global_store_dword v[13:14], v5, off
                                        ; implicit-def: $vgpr13_vgpr14
	v_cmpx_ge_u32_e64 v35, v16
	s_xor_b32 s0, exec_lo, s0
; %bb.101:
	v_xor_b32_e32 v13, 0xfffff8ff, v0
	v_ashrrev_i32_e32 v14, 31, v13
	v_add_co_u32 v13, vcc_lo, v19, v13
	v_add_co_ci_u32_e64 v14, null, v20, v14, vcc_lo
; %bb.102:
	s_andn2_saveexec_b32 s0, s0
; %bb.103:
	v_add_co_u32 v13, vcc_lo, v15, v35
	v_add_co_ci_u32_e64 v14, null, 0, v17, vcc_lo
; %bb.104:
	s_or_b32 exec_lo, exec_lo, s0
	v_lshlrev_b64 v[13:14], 2, v[13:14]
	s_mov_b32 s0, exec_lo
	v_add_co_u32 v13, vcc_lo, s14, v13
	v_add_co_ci_u32_e64 v14, null, s15, v14, vcc_lo
	global_store_dword v[13:14], v6, off
                                        ; implicit-def: $vgpr13_vgpr14
	v_cmpx_ge_u32_e64 v34, v16
	s_xor_b32 s0, exec_lo, s0
; %bb.105:
	v_xor_b32_e32 v13, 0xfffff7ff, v0
	v_ashrrev_i32_e32 v14, 31, v13
	v_add_co_u32 v13, vcc_lo, v19, v13
	v_add_co_ci_u32_e64 v14, null, v20, v14, vcc_lo
; %bb.106:
	s_andn2_saveexec_b32 s0, s0
; %bb.107:
	v_add_co_u32 v13, vcc_lo, v15, v34
	v_add_co_ci_u32_e64 v14, null, 0, v17, vcc_lo
; %bb.108:
	s_or_b32 exec_lo, exec_lo, s0
	v_lshlrev_b64 v[13:14], 2, v[13:14]
	s_mov_b32 s0, exec_lo
	v_add_co_u32 v13, vcc_lo, s14, v13
	v_add_co_ci_u32_e64 v14, null, s15, v14, vcc_lo
	s_waitcnt lgkmcnt(2)
	global_store_dword v[13:14], v3, off
                                        ; implicit-def: $vgpr13_vgpr14
	v_cmpx_ge_u32_e64 v33, v16
	s_xor_b32 s0, exec_lo, s0
; %bb.109:
	v_xor_b32_e32 v13, 0xfffff6ff, v0
	v_ashrrev_i32_e32 v14, 31, v13
	v_add_co_u32 v13, vcc_lo, v19, v13
	v_add_co_ci_u32_e64 v14, null, v20, v14, vcc_lo
; %bb.110:
	s_andn2_saveexec_b32 s0, s0
; %bb.111:
	v_add_co_u32 v13, vcc_lo, v15, v33
	v_add_co_ci_u32_e64 v14, null, 0, v17, vcc_lo
; %bb.112:
	s_or_b32 exec_lo, exec_lo, s0
	v_lshlrev_b64 v[13:14], 2, v[13:14]
	s_mov_b32 s0, exec_lo
	v_add_co_u32 v13, vcc_lo, s14, v13
	v_add_co_ci_u32_e64 v14, null, s15, v14, vcc_lo
	global_store_dword v[13:14], v4, off
                                        ; implicit-def: $vgpr13_vgpr14
	v_cmpx_ge_u32_e64 v32, v16
	s_xor_b32 s0, exec_lo, s0
; %bb.113:
	v_xor_b32_e32 v13, 0xfffff5ff, v0
	v_ashrrev_i32_e32 v14, 31, v13
	v_add_co_u32 v13, vcc_lo, v19, v13
	v_add_co_ci_u32_e64 v14, null, v20, v14, vcc_lo
; %bb.114:
	s_andn2_saveexec_b32 s0, s0
; %bb.115:
	v_add_co_u32 v13, vcc_lo, v15, v32
	v_add_co_ci_u32_e64 v14, null, 0, v17, vcc_lo
; %bb.116:
	s_or_b32 exec_lo, exec_lo, s0
	v_lshlrev_b64 v[13:14], 2, v[13:14]
	s_mov_b32 s0, exec_lo
	v_add_co_u32 v13, vcc_lo, s14, v13
	v_add_co_ci_u32_e64 v14, null, s15, v14, vcc_lo
	s_waitcnt lgkmcnt(1)
	global_store_dword v[13:14], v1, off
                                        ; implicit-def: $vgpr13_vgpr14
	v_cmpx_ge_u32_e64 v31, v16
	s_xor_b32 s0, exec_lo, s0
; %bb.117:
	v_xor_b32_e32 v13, 0xfffff4ff, v0
	v_ashrrev_i32_e32 v14, 31, v13
	v_add_co_u32 v13, vcc_lo, v19, v13
	v_add_co_ci_u32_e64 v14, null, v20, v14, vcc_lo
; %bb.118:
	s_andn2_saveexec_b32 s0, s0
; %bb.119:
	v_add_co_u32 v13, vcc_lo, v15, v31
	v_add_co_ci_u32_e64 v14, null, 0, v17, vcc_lo
; %bb.120:
	s_or_b32 exec_lo, exec_lo, s0
	v_lshlrev_b64 v[13:14], 2, v[13:14]
	s_mov_b32 s0, exec_lo
	v_add_co_u32 v13, vcc_lo, s14, v13
	v_add_co_ci_u32_e64 v14, null, s15, v14, vcc_lo
	global_store_dword v[13:14], v2, off
                                        ; implicit-def: $vgpr13_vgpr14
	v_cmpx_ge_u32_e64 v30, v16
	s_xor_b32 s0, exec_lo, s0
; %bb.121:
	v_xor_b32_e32 v13, 0xfffff3ff, v0
	v_ashrrev_i32_e32 v14, 31, v13
	v_add_co_u32 v13, vcc_lo, v19, v13
	v_add_co_ci_u32_e64 v14, null, v20, v14, vcc_lo
; %bb.122:
	s_andn2_saveexec_b32 s0, s0
; %bb.123:
	v_add_co_u32 v13, vcc_lo, v15, v30
	v_add_co_ci_u32_e64 v14, null, 0, v17, vcc_lo
; %bb.124:
	s_or_b32 exec_lo, exec_lo, s0
	s_mov_b32 s0, -1
	s_branch .LBB1085_205
.LBB1085_125:
	s_mov_b32 s0, 0
                                        ; implicit-def: $vgpr13_vgpr14
	s_cbranch_execz .LBB1085_205
; %bb.126:
	s_add_u32 s1, s16, s26
	s_addc_u32 s2, s17, 0
	s_sub_u32 s1, s18, s1
	s_subb_u32 s2, s19, s2
	v_add_co_u32 v13, s1, s1, v16
	v_add_co_ci_u32_e64 v14, null, s2, 0, s1
	s_mov_b32 s1, exec_lo
	v_add_co_u32 v19, vcc_lo, v13, v15
	v_add_co_ci_u32_e64 v20, null, v14, v17, vcc_lo
	v_cmpx_gt_u32_e64 s25, v0
	s_cbranch_execz .LBB1085_162
; %bb.127:
	s_mov_b32 s2, exec_lo
                                        ; implicit-def: $vgpr13_vgpr14
	v_cmpx_ge_u32_e64 v0, v16
	s_xor_b32 s2, exec_lo, s2
; %bb.128:
	v_not_b32_e32 v13, v0
	v_ashrrev_i32_e32 v14, 31, v13
	v_add_co_u32 v13, vcc_lo, v19, v13
	v_add_co_ci_u32_e64 v14, null, v20, v14, vcc_lo
; %bb.129:
	s_andn2_saveexec_b32 s2, s2
; %bb.130:
	v_add_co_u32 v13, vcc_lo, v15, v0
	v_add_co_ci_u32_e64 v14, null, 0, v17, vcc_lo
; %bb.131:
	s_or_b32 exec_lo, exec_lo, s2
	v_lshlrev_b64 v[13:14], 2, v[13:14]
	v_add_co_u32 v13, vcc_lo, s14, v13
	v_add_co_ci_u32_e64 v14, null, s15, v14, vcc_lo
	s_waitcnt lgkmcnt(6)
	global_store_dword v[13:14], v11, off
	s_or_b32 exec_lo, exec_lo, s1
	s_mov_b32 s1, exec_lo
	v_cmpx_gt_u32_e64 s25, v41
	s_cbranch_execnz .LBB1085_163
.LBB1085_132:
	s_or_b32 exec_lo, exec_lo, s1
	s_mov_b32 s1, exec_lo
	v_cmpx_gt_u32_e64 s25, v40
	s_cbranch_execz .LBB1085_168
.LBB1085_133:
	s_mov_b32 s2, exec_lo
                                        ; implicit-def: $vgpr11_vgpr12
	v_cmpx_ge_u32_e64 v40, v16
	s_xor_b32 s2, exec_lo, s2
	s_cbranch_execz .LBB1085_135
; %bb.134:
	s_waitcnt lgkmcnt(6)
	v_xor_b32_e32 v11, 0xfffffdff, v0
                                        ; implicit-def: $vgpr40
	v_ashrrev_i32_e32 v12, 31, v11
	v_add_co_u32 v11, vcc_lo, v19, v11
	v_add_co_ci_u32_e64 v12, null, v20, v12, vcc_lo
.LBB1085_135:
	s_andn2_saveexec_b32 s2, s2
	s_cbranch_execz .LBB1085_137
; %bb.136:
	s_waitcnt lgkmcnt(6)
	v_add_co_u32 v11, vcc_lo, v15, v40
	v_add_co_ci_u32_e64 v12, null, 0, v17, vcc_lo
.LBB1085_137:
	s_or_b32 exec_lo, exec_lo, s2
	s_waitcnt lgkmcnt(6)
	v_lshlrev_b64 v[11:12], 2, v[11:12]
	v_add_co_u32 v11, vcc_lo, s14, v11
	v_add_co_ci_u32_e64 v12, null, s15, v12, vcc_lo
	s_waitcnt lgkmcnt(5)
	global_store_dword v[11:12], v9, off
	s_or_b32 exec_lo, exec_lo, s1
	s_mov_b32 s1, exec_lo
	v_cmpx_gt_u32_e64 s25, v39
	s_cbranch_execnz .LBB1085_169
.LBB1085_138:
	s_or_b32 exec_lo, exec_lo, s1
	s_mov_b32 s1, exec_lo
	v_cmpx_gt_u32_e64 s25, v38
	s_cbranch_execz .LBB1085_174
.LBB1085_139:
	s_mov_b32 s2, exec_lo
                                        ; implicit-def: $vgpr9_vgpr10
	v_cmpx_ge_u32_e64 v38, v16
	s_xor_b32 s2, exec_lo, s2
	s_cbranch_execz .LBB1085_141
; %bb.140:
	s_waitcnt lgkmcnt(5)
	v_xor_b32_e32 v9, 0xfffffbff, v0
                                        ; implicit-def: $vgpr38
	v_ashrrev_i32_e32 v10, 31, v9
	v_add_co_u32 v9, vcc_lo, v19, v9
	v_add_co_ci_u32_e64 v10, null, v20, v10, vcc_lo
.LBB1085_141:
	s_andn2_saveexec_b32 s2, s2
	s_cbranch_execz .LBB1085_143
; %bb.142:
	s_waitcnt lgkmcnt(5)
	v_add_co_u32 v9, vcc_lo, v15, v38
	v_add_co_ci_u32_e64 v10, null, 0, v17, vcc_lo
.LBB1085_143:
	s_or_b32 exec_lo, exec_lo, s2
	s_waitcnt lgkmcnt(5)
	v_lshlrev_b64 v[9:10], 2, v[9:10]
	v_add_co_u32 v9, vcc_lo, s14, v9
	v_add_co_ci_u32_e64 v10, null, s15, v10, vcc_lo
	s_waitcnt lgkmcnt(4)
	global_store_dword v[9:10], v7, off
	s_or_b32 exec_lo, exec_lo, s1
	s_mov_b32 s1, exec_lo
	v_cmpx_gt_u32_e64 s25, v37
	s_cbranch_execnz .LBB1085_175
.LBB1085_144:
	s_or_b32 exec_lo, exec_lo, s1
	s_mov_b32 s1, exec_lo
	v_cmpx_gt_u32_e64 s25, v36
	s_cbranch_execz .LBB1085_180
.LBB1085_145:
	s_mov_b32 s2, exec_lo
                                        ; implicit-def: $vgpr7_vgpr8
	v_cmpx_ge_u32_e64 v36, v16
	s_xor_b32 s2, exec_lo, s2
	s_cbranch_execz .LBB1085_147
; %bb.146:
	s_waitcnt lgkmcnt(4)
	v_xor_b32_e32 v7, 0xfffff9ff, v0
                                        ; implicit-def: $vgpr36
	v_ashrrev_i32_e32 v8, 31, v7
	v_add_co_u32 v7, vcc_lo, v19, v7
	v_add_co_ci_u32_e64 v8, null, v20, v8, vcc_lo
.LBB1085_147:
	s_andn2_saveexec_b32 s2, s2
	s_cbranch_execz .LBB1085_149
; %bb.148:
	s_waitcnt lgkmcnt(4)
	v_add_co_u32 v7, vcc_lo, v15, v36
	v_add_co_ci_u32_e64 v8, null, 0, v17, vcc_lo
.LBB1085_149:
	s_or_b32 exec_lo, exec_lo, s2
	s_waitcnt lgkmcnt(4)
	v_lshlrev_b64 v[7:8], 2, v[7:8]
	v_add_co_u32 v7, vcc_lo, s14, v7
	v_add_co_ci_u32_e64 v8, null, s15, v8, vcc_lo
	s_waitcnt lgkmcnt(3)
	global_store_dword v[7:8], v5, off
	s_or_b32 exec_lo, exec_lo, s1
	s_mov_b32 s1, exec_lo
	v_cmpx_gt_u32_e64 s25, v35
	s_cbranch_execnz .LBB1085_181
.LBB1085_150:
	s_or_b32 exec_lo, exec_lo, s1
	s_mov_b32 s1, exec_lo
	v_cmpx_gt_u32_e64 s25, v34
	s_cbranch_execz .LBB1085_186
.LBB1085_151:
	s_mov_b32 s2, exec_lo
                                        ; implicit-def: $vgpr5_vgpr6
	v_cmpx_ge_u32_e64 v34, v16
	s_xor_b32 s2, exec_lo, s2
	s_cbranch_execz .LBB1085_153
; %bb.152:
	s_waitcnt lgkmcnt(3)
	v_xor_b32_e32 v5, 0xfffff7ff, v0
                                        ; implicit-def: $vgpr34
	v_ashrrev_i32_e32 v6, 31, v5
	v_add_co_u32 v5, vcc_lo, v19, v5
	v_add_co_ci_u32_e64 v6, null, v20, v6, vcc_lo
.LBB1085_153:
	s_andn2_saveexec_b32 s2, s2
	s_cbranch_execz .LBB1085_155
; %bb.154:
	s_waitcnt lgkmcnt(3)
	v_add_co_u32 v5, vcc_lo, v15, v34
	v_add_co_ci_u32_e64 v6, null, 0, v17, vcc_lo
.LBB1085_155:
	s_or_b32 exec_lo, exec_lo, s2
	s_waitcnt lgkmcnt(3)
	v_lshlrev_b64 v[5:6], 2, v[5:6]
	v_add_co_u32 v5, vcc_lo, s14, v5
	v_add_co_ci_u32_e64 v6, null, s15, v6, vcc_lo
	s_waitcnt lgkmcnt(2)
	global_store_dword v[5:6], v3, off
	s_or_b32 exec_lo, exec_lo, s1
	s_mov_b32 s1, exec_lo
	v_cmpx_gt_u32_e64 s25, v33
	s_cbranch_execnz .LBB1085_187
.LBB1085_156:
	s_or_b32 exec_lo, exec_lo, s1
	s_mov_b32 s1, exec_lo
	v_cmpx_gt_u32_e64 s25, v32
	s_cbranch_execz .LBB1085_192
.LBB1085_157:
	s_mov_b32 s2, exec_lo
                                        ; implicit-def: $vgpr3_vgpr4
	v_cmpx_ge_u32_e64 v32, v16
	s_xor_b32 s2, exec_lo, s2
	s_cbranch_execz .LBB1085_159
; %bb.158:
	s_waitcnt lgkmcnt(2)
	v_xor_b32_e32 v3, 0xfffff5ff, v0
                                        ; implicit-def: $vgpr32
	v_ashrrev_i32_e32 v4, 31, v3
	v_add_co_u32 v3, vcc_lo, v19, v3
	v_add_co_ci_u32_e64 v4, null, v20, v4, vcc_lo
.LBB1085_159:
	s_andn2_saveexec_b32 s2, s2
	s_cbranch_execz .LBB1085_161
; %bb.160:
	s_waitcnt lgkmcnt(2)
	v_add_co_u32 v3, vcc_lo, v15, v32
	v_add_co_ci_u32_e64 v4, null, 0, v17, vcc_lo
.LBB1085_161:
	s_or_b32 exec_lo, exec_lo, s2
	s_waitcnt lgkmcnt(2)
	v_lshlrev_b64 v[3:4], 2, v[3:4]
	v_add_co_u32 v3, vcc_lo, s14, v3
	v_add_co_ci_u32_e64 v4, null, s15, v4, vcc_lo
	s_waitcnt lgkmcnt(1)
	global_store_dword v[3:4], v1, off
	s_or_b32 exec_lo, exec_lo, s1
	s_mov_b32 s1, exec_lo
	v_cmpx_gt_u32_e64 s25, v31
	s_cbranch_execz .LBB1085_198
	s_branch .LBB1085_193
.LBB1085_162:
	s_or_b32 exec_lo, exec_lo, s1
	s_mov_b32 s1, exec_lo
	v_cmpx_gt_u32_e64 s25, v41
	s_cbranch_execz .LBB1085_132
.LBB1085_163:
	s_mov_b32 s2, exec_lo
                                        ; implicit-def: $vgpr13_vgpr14
	v_cmpx_ge_u32_e64 v41, v16
	s_xor_b32 s2, exec_lo, s2
	s_cbranch_execz .LBB1085_165
; %bb.164:
	s_waitcnt lgkmcnt(6)
	v_xor_b32_e32 v11, 0xfffffeff, v0
                                        ; implicit-def: $vgpr41
	v_ashrrev_i32_e32 v14, 31, v11
	v_add_co_u32 v13, vcc_lo, v19, v11
	v_add_co_ci_u32_e64 v14, null, v20, v14, vcc_lo
.LBB1085_165:
	s_andn2_saveexec_b32 s2, s2
; %bb.166:
	v_add_co_u32 v13, vcc_lo, v15, v41
	v_add_co_ci_u32_e64 v14, null, 0, v17, vcc_lo
; %bb.167:
	s_or_b32 exec_lo, exec_lo, s2
	v_lshlrev_b64 v[13:14], 2, v[13:14]
	v_add_co_u32 v13, vcc_lo, s14, v13
	v_add_co_ci_u32_e64 v14, null, s15, v14, vcc_lo
	s_waitcnt lgkmcnt(6)
	global_store_dword v[13:14], v12, off
	s_or_b32 exec_lo, exec_lo, s1
	s_mov_b32 s1, exec_lo
	v_cmpx_gt_u32_e64 s25, v40
	s_cbranch_execnz .LBB1085_133
.LBB1085_168:
	s_or_b32 exec_lo, exec_lo, s1
	s_mov_b32 s1, exec_lo
	v_cmpx_gt_u32_e64 s25, v39
	s_cbranch_execz .LBB1085_138
.LBB1085_169:
	s_mov_b32 s2, exec_lo
                                        ; implicit-def: $vgpr11_vgpr12
	v_cmpx_ge_u32_e64 v39, v16
	s_xor_b32 s2, exec_lo, s2
	s_cbranch_execz .LBB1085_171
; %bb.170:
	s_waitcnt lgkmcnt(5)
	v_xor_b32_e32 v9, 0xfffffcff, v0
                                        ; implicit-def: $vgpr39
	v_ashrrev_i32_e32 v12, 31, v9
	v_add_co_u32 v11, vcc_lo, v19, v9
	v_add_co_ci_u32_e64 v12, null, v20, v12, vcc_lo
.LBB1085_171:
	s_andn2_saveexec_b32 s2, s2
	s_cbranch_execz .LBB1085_173
; %bb.172:
	s_waitcnt lgkmcnt(6)
	v_add_co_u32 v11, vcc_lo, v15, v39
	v_add_co_ci_u32_e64 v12, null, 0, v17, vcc_lo
.LBB1085_173:
	s_or_b32 exec_lo, exec_lo, s2
	s_waitcnt lgkmcnt(6)
	v_lshlrev_b64 v[11:12], 2, v[11:12]
	v_add_co_u32 v11, vcc_lo, s14, v11
	v_add_co_ci_u32_e64 v12, null, s15, v12, vcc_lo
	s_waitcnt lgkmcnt(5)
	global_store_dword v[11:12], v10, off
	s_or_b32 exec_lo, exec_lo, s1
	s_mov_b32 s1, exec_lo
	v_cmpx_gt_u32_e64 s25, v38
	s_cbranch_execnz .LBB1085_139
.LBB1085_174:
	s_or_b32 exec_lo, exec_lo, s1
	s_mov_b32 s1, exec_lo
	v_cmpx_gt_u32_e64 s25, v37
	s_cbranch_execz .LBB1085_144
.LBB1085_175:
	s_mov_b32 s2, exec_lo
                                        ; implicit-def: $vgpr9_vgpr10
	v_cmpx_ge_u32_e64 v37, v16
	s_xor_b32 s2, exec_lo, s2
	s_cbranch_execz .LBB1085_177
; %bb.176:
	s_waitcnt lgkmcnt(4)
	v_xor_b32_e32 v7, 0xfffffaff, v0
                                        ; implicit-def: $vgpr37
	v_ashrrev_i32_e32 v10, 31, v7
	v_add_co_u32 v9, vcc_lo, v19, v7
	v_add_co_ci_u32_e64 v10, null, v20, v10, vcc_lo
.LBB1085_177:
	s_andn2_saveexec_b32 s2, s2
	s_cbranch_execz .LBB1085_179
; %bb.178:
	s_waitcnt lgkmcnt(5)
	v_add_co_u32 v9, vcc_lo, v15, v37
	v_add_co_ci_u32_e64 v10, null, 0, v17, vcc_lo
.LBB1085_179:
	s_or_b32 exec_lo, exec_lo, s2
	s_waitcnt lgkmcnt(5)
	v_lshlrev_b64 v[9:10], 2, v[9:10]
	v_add_co_u32 v9, vcc_lo, s14, v9
	v_add_co_ci_u32_e64 v10, null, s15, v10, vcc_lo
	s_waitcnt lgkmcnt(4)
	global_store_dword v[9:10], v8, off
	s_or_b32 exec_lo, exec_lo, s1
	s_mov_b32 s1, exec_lo
	v_cmpx_gt_u32_e64 s25, v36
	s_cbranch_execnz .LBB1085_145
.LBB1085_180:
	s_or_b32 exec_lo, exec_lo, s1
	s_mov_b32 s1, exec_lo
	v_cmpx_gt_u32_e64 s25, v35
	s_cbranch_execz .LBB1085_150
.LBB1085_181:
	s_mov_b32 s2, exec_lo
                                        ; implicit-def: $vgpr7_vgpr8
	v_cmpx_ge_u32_e64 v35, v16
	s_xor_b32 s2, exec_lo, s2
	s_cbranch_execz .LBB1085_183
; %bb.182:
	s_waitcnt lgkmcnt(3)
	v_xor_b32_e32 v5, 0xfffff8ff, v0
                                        ; implicit-def: $vgpr35
	v_ashrrev_i32_e32 v8, 31, v5
	v_add_co_u32 v7, vcc_lo, v19, v5
	v_add_co_ci_u32_e64 v8, null, v20, v8, vcc_lo
.LBB1085_183:
	s_andn2_saveexec_b32 s2, s2
	s_cbranch_execz .LBB1085_185
; %bb.184:
	s_waitcnt lgkmcnt(4)
	v_add_co_u32 v7, vcc_lo, v15, v35
	v_add_co_ci_u32_e64 v8, null, 0, v17, vcc_lo
.LBB1085_185:
	s_or_b32 exec_lo, exec_lo, s2
	s_waitcnt lgkmcnt(4)
	v_lshlrev_b64 v[7:8], 2, v[7:8]
	v_add_co_u32 v7, vcc_lo, s14, v7
	v_add_co_ci_u32_e64 v8, null, s15, v8, vcc_lo
	s_waitcnt lgkmcnt(3)
	global_store_dword v[7:8], v6, off
	s_or_b32 exec_lo, exec_lo, s1
	s_mov_b32 s1, exec_lo
	v_cmpx_gt_u32_e64 s25, v34
	s_cbranch_execnz .LBB1085_151
.LBB1085_186:
	s_or_b32 exec_lo, exec_lo, s1
	s_mov_b32 s1, exec_lo
	v_cmpx_gt_u32_e64 s25, v33
	s_cbranch_execz .LBB1085_156
.LBB1085_187:
	s_mov_b32 s2, exec_lo
                                        ; implicit-def: $vgpr5_vgpr6
	v_cmpx_ge_u32_e64 v33, v16
	s_xor_b32 s2, exec_lo, s2
	s_cbranch_execz .LBB1085_189
; %bb.188:
	s_waitcnt lgkmcnt(2)
	v_xor_b32_e32 v3, 0xfffff6ff, v0
                                        ; implicit-def: $vgpr33
	v_ashrrev_i32_e32 v6, 31, v3
	v_add_co_u32 v5, vcc_lo, v19, v3
	v_add_co_ci_u32_e64 v6, null, v20, v6, vcc_lo
.LBB1085_189:
	s_andn2_saveexec_b32 s2, s2
	s_cbranch_execz .LBB1085_191
; %bb.190:
	s_waitcnt lgkmcnt(3)
	v_add_co_u32 v5, vcc_lo, v15, v33
	v_add_co_ci_u32_e64 v6, null, 0, v17, vcc_lo
.LBB1085_191:
	s_or_b32 exec_lo, exec_lo, s2
	s_waitcnt lgkmcnt(3)
	v_lshlrev_b64 v[5:6], 2, v[5:6]
	v_add_co_u32 v5, vcc_lo, s14, v5
	v_add_co_ci_u32_e64 v6, null, s15, v6, vcc_lo
	s_waitcnt lgkmcnt(2)
	global_store_dword v[5:6], v4, off
	s_or_b32 exec_lo, exec_lo, s1
	s_mov_b32 s1, exec_lo
	v_cmpx_gt_u32_e64 s25, v32
	s_cbranch_execnz .LBB1085_157
.LBB1085_192:
	s_or_b32 exec_lo, exec_lo, s1
	s_mov_b32 s1, exec_lo
	v_cmpx_gt_u32_e64 s25, v31
	s_cbranch_execz .LBB1085_198
.LBB1085_193:
	s_mov_b32 s2, exec_lo
                                        ; implicit-def: $vgpr3_vgpr4
	v_cmpx_ge_u32_e64 v31, v16
	s_xor_b32 s2, exec_lo, s2
	s_cbranch_execz .LBB1085_195
; %bb.194:
	s_waitcnt lgkmcnt(1)
	v_xor_b32_e32 v1, 0xfffff4ff, v0
                                        ; implicit-def: $vgpr31
	v_ashrrev_i32_e32 v4, 31, v1
	v_add_co_u32 v3, vcc_lo, v19, v1
	v_add_co_ci_u32_e64 v4, null, v20, v4, vcc_lo
.LBB1085_195:
	s_andn2_saveexec_b32 s2, s2
	s_cbranch_execz .LBB1085_197
; %bb.196:
	s_waitcnt lgkmcnt(2)
	v_add_co_u32 v3, vcc_lo, v15, v31
	v_add_co_ci_u32_e64 v4, null, 0, v17, vcc_lo
.LBB1085_197:
	s_or_b32 exec_lo, exec_lo, s2
	s_waitcnt lgkmcnt(2)
	v_lshlrev_b64 v[3:4], 2, v[3:4]
	v_add_co_u32 v3, vcc_lo, s14, v3
	v_add_co_ci_u32_e64 v4, null, s15, v4, vcc_lo
	s_waitcnt lgkmcnt(1)
	global_store_dword v[3:4], v2, off
.LBB1085_198:
	s_or_b32 exec_lo, exec_lo, s1
	s_mov_b32 s1, exec_lo
                                        ; implicit-def: $vgpr13_vgpr14
	v_cmpx_gt_u32_e64 s25, v30
	s_cbranch_execz .LBB1085_204
; %bb.199:
	s_mov_b32 s2, exec_lo
                                        ; implicit-def: $vgpr13_vgpr14
	v_cmpx_ge_u32_e64 v30, v16
	s_xor_b32 s2, exec_lo, s2
	s_cbranch_execz .LBB1085_201
; %bb.200:
	s_waitcnt lgkmcnt(1)
	v_xor_b32_e32 v1, 0xfffff3ff, v0
                                        ; implicit-def: $vgpr30
	v_ashrrev_i32_e32 v2, 31, v1
	v_add_co_u32 v13, vcc_lo, v19, v1
	v_add_co_ci_u32_e64 v14, null, v20, v2, vcc_lo
.LBB1085_201:
	s_andn2_saveexec_b32 s2, s2
; %bb.202:
	v_add_co_u32 v13, vcc_lo, v15, v30
	v_add_co_ci_u32_e64 v14, null, 0, v17, vcc_lo
; %bb.203:
	s_or_b32 exec_lo, exec_lo, s2
	s_or_b32 s0, s0, exec_lo
.LBB1085_204:
	s_or_b32 exec_lo, exec_lo, s1
.LBB1085_205:
	s_and_saveexec_b32 s1, s0
	s_cbranch_execz .LBB1085_207
; %bb.206:
	s_waitcnt lgkmcnt(1)
	v_lshlrev_b64 v[1:2], 2, v[13:14]
	v_add_co_u32 v1, vcc_lo, s14, v1
	v_add_co_ci_u32_e64 v2, null, s15, v2, vcc_lo
	s_waitcnt lgkmcnt(0)
	global_store_dword v[1:2], v18, off
.LBB1085_207:
	s_or_b32 exec_lo, exec_lo, s1
	v_cmp_eq_u32_e32 vcc_lo, 0, v0
	s_and_b32 s0, vcc_lo, s24
	s_and_saveexec_b32 s1, s0
	s_cbranch_execz .LBB1085_209
; %bb.208:
	v_add_co_u32 v0, vcc_lo, v15, v16
	s_waitcnt lgkmcnt(1)
	v_mov_b32_e32 v2, 0
	v_add_co_ci_u32_e64 v1, null, 0, v17, vcc_lo
	global_store_dwordx2 v2, v[0:1], s[12:13]
.LBB1085_209:
	s_endpgm
	.section	.rodata,"a",@progbits
	.p2align	6, 0x0
	.amdhsa_kernel _ZN7rocprim17ROCPRIM_400000_NS6detail17trampoline_kernelINS0_13select_configILj256ELj13ELNS0_17block_load_methodE3ELS4_3ELS4_3ELNS0_20block_scan_algorithmE0ELj4294967295EEENS1_25partition_config_selectorILNS1_17partition_subalgoE3EjNS0_10empty_typeEbEEZZNS1_14partition_implILS8_3ELb0ES6_jNS0_17counting_iteratorIjlEEPS9_SE_NS0_5tupleIJPjSE_EEENSF_IJSE_SE_EEES9_SG_JZNS1_25segmented_radix_sort_implINS0_14default_configELb1EPKdPdPKlPlN2at6native12_GLOBAL__N_18offset_tEEE10hipError_tPvRmT1_PNSt15iterator_traitsISY_E10value_typeET2_T3_PNSZ_IS14_E10value_typeET4_jRbjT5_S1A_jjP12ihipStream_tbEUljE_EEESV_SW_SX_S14_S18_S1A_T6_T7_T9_mT8_S1C_bDpT10_ENKUlT_T0_E_clISt17integral_constantIbLb0EES1P_EEDaS1K_S1L_EUlS1K_E_NS1_11comp_targetILNS1_3genE8ELNS1_11target_archE1030ELNS1_3gpuE2ELNS1_3repE0EEENS1_30default_config_static_selectorELNS0_4arch9wavefront6targetE0EEEvSY_
		.amdhsa_group_segment_fixed_size 13320
		.amdhsa_private_segment_fixed_size 0
		.amdhsa_kernarg_size 144
		.amdhsa_user_sgpr_count 6
		.amdhsa_user_sgpr_private_segment_buffer 1
		.amdhsa_user_sgpr_dispatch_ptr 0
		.amdhsa_user_sgpr_queue_ptr 0
		.amdhsa_user_sgpr_kernarg_segment_ptr 1
		.amdhsa_user_sgpr_dispatch_id 0
		.amdhsa_user_sgpr_flat_scratch_init 0
		.amdhsa_user_sgpr_private_segment_size 0
		.amdhsa_wavefront_size32 1
		.amdhsa_uses_dynamic_stack 0
		.amdhsa_system_sgpr_private_segment_wavefront_offset 0
		.amdhsa_system_sgpr_workgroup_id_x 1
		.amdhsa_system_sgpr_workgroup_id_y 0
		.amdhsa_system_sgpr_workgroup_id_z 0
		.amdhsa_system_sgpr_workgroup_info 0
		.amdhsa_system_vgpr_workitem_id 0
		.amdhsa_next_free_vgpr 69
		.amdhsa_next_free_sgpr 27
		.amdhsa_reserve_vcc 1
		.amdhsa_reserve_flat_scratch 0
		.amdhsa_float_round_mode_32 0
		.amdhsa_float_round_mode_16_64 0
		.amdhsa_float_denorm_mode_32 3
		.amdhsa_float_denorm_mode_16_64 3
		.amdhsa_dx10_clamp 1
		.amdhsa_ieee_mode 1
		.amdhsa_fp16_overflow 0
		.amdhsa_workgroup_processor_mode 1
		.amdhsa_memory_ordered 1
		.amdhsa_forward_progress 1
		.amdhsa_shared_vgpr_count 0
		.amdhsa_exception_fp_ieee_invalid_op 0
		.amdhsa_exception_fp_denorm_src 0
		.amdhsa_exception_fp_ieee_div_zero 0
		.amdhsa_exception_fp_ieee_overflow 0
		.amdhsa_exception_fp_ieee_underflow 0
		.amdhsa_exception_fp_ieee_inexact 0
		.amdhsa_exception_int_div_zero 0
	.end_amdhsa_kernel
	.section	.text._ZN7rocprim17ROCPRIM_400000_NS6detail17trampoline_kernelINS0_13select_configILj256ELj13ELNS0_17block_load_methodE3ELS4_3ELS4_3ELNS0_20block_scan_algorithmE0ELj4294967295EEENS1_25partition_config_selectorILNS1_17partition_subalgoE3EjNS0_10empty_typeEbEEZZNS1_14partition_implILS8_3ELb0ES6_jNS0_17counting_iteratorIjlEEPS9_SE_NS0_5tupleIJPjSE_EEENSF_IJSE_SE_EEES9_SG_JZNS1_25segmented_radix_sort_implINS0_14default_configELb1EPKdPdPKlPlN2at6native12_GLOBAL__N_18offset_tEEE10hipError_tPvRmT1_PNSt15iterator_traitsISY_E10value_typeET2_T3_PNSZ_IS14_E10value_typeET4_jRbjT5_S1A_jjP12ihipStream_tbEUljE_EEESV_SW_SX_S14_S18_S1A_T6_T7_T9_mT8_S1C_bDpT10_ENKUlT_T0_E_clISt17integral_constantIbLb0EES1P_EEDaS1K_S1L_EUlS1K_E_NS1_11comp_targetILNS1_3genE8ELNS1_11target_archE1030ELNS1_3gpuE2ELNS1_3repE0EEENS1_30default_config_static_selectorELNS0_4arch9wavefront6targetE0EEEvSY_,"axG",@progbits,_ZN7rocprim17ROCPRIM_400000_NS6detail17trampoline_kernelINS0_13select_configILj256ELj13ELNS0_17block_load_methodE3ELS4_3ELS4_3ELNS0_20block_scan_algorithmE0ELj4294967295EEENS1_25partition_config_selectorILNS1_17partition_subalgoE3EjNS0_10empty_typeEbEEZZNS1_14partition_implILS8_3ELb0ES6_jNS0_17counting_iteratorIjlEEPS9_SE_NS0_5tupleIJPjSE_EEENSF_IJSE_SE_EEES9_SG_JZNS1_25segmented_radix_sort_implINS0_14default_configELb1EPKdPdPKlPlN2at6native12_GLOBAL__N_18offset_tEEE10hipError_tPvRmT1_PNSt15iterator_traitsISY_E10value_typeET2_T3_PNSZ_IS14_E10value_typeET4_jRbjT5_S1A_jjP12ihipStream_tbEUljE_EEESV_SW_SX_S14_S18_S1A_T6_T7_T9_mT8_S1C_bDpT10_ENKUlT_T0_E_clISt17integral_constantIbLb0EES1P_EEDaS1K_S1L_EUlS1K_E_NS1_11comp_targetILNS1_3genE8ELNS1_11target_archE1030ELNS1_3gpuE2ELNS1_3repE0EEENS1_30default_config_static_selectorELNS0_4arch9wavefront6targetE0EEEvSY_,comdat
.Lfunc_end1085:
	.size	_ZN7rocprim17ROCPRIM_400000_NS6detail17trampoline_kernelINS0_13select_configILj256ELj13ELNS0_17block_load_methodE3ELS4_3ELS4_3ELNS0_20block_scan_algorithmE0ELj4294967295EEENS1_25partition_config_selectorILNS1_17partition_subalgoE3EjNS0_10empty_typeEbEEZZNS1_14partition_implILS8_3ELb0ES6_jNS0_17counting_iteratorIjlEEPS9_SE_NS0_5tupleIJPjSE_EEENSF_IJSE_SE_EEES9_SG_JZNS1_25segmented_radix_sort_implINS0_14default_configELb1EPKdPdPKlPlN2at6native12_GLOBAL__N_18offset_tEEE10hipError_tPvRmT1_PNSt15iterator_traitsISY_E10value_typeET2_T3_PNSZ_IS14_E10value_typeET4_jRbjT5_S1A_jjP12ihipStream_tbEUljE_EEESV_SW_SX_S14_S18_S1A_T6_T7_T9_mT8_S1C_bDpT10_ENKUlT_T0_E_clISt17integral_constantIbLb0EES1P_EEDaS1K_S1L_EUlS1K_E_NS1_11comp_targetILNS1_3genE8ELNS1_11target_archE1030ELNS1_3gpuE2ELNS1_3repE0EEENS1_30default_config_static_selectorELNS0_4arch9wavefront6targetE0EEEvSY_, .Lfunc_end1085-_ZN7rocprim17ROCPRIM_400000_NS6detail17trampoline_kernelINS0_13select_configILj256ELj13ELNS0_17block_load_methodE3ELS4_3ELS4_3ELNS0_20block_scan_algorithmE0ELj4294967295EEENS1_25partition_config_selectorILNS1_17partition_subalgoE3EjNS0_10empty_typeEbEEZZNS1_14partition_implILS8_3ELb0ES6_jNS0_17counting_iteratorIjlEEPS9_SE_NS0_5tupleIJPjSE_EEENSF_IJSE_SE_EEES9_SG_JZNS1_25segmented_radix_sort_implINS0_14default_configELb1EPKdPdPKlPlN2at6native12_GLOBAL__N_18offset_tEEE10hipError_tPvRmT1_PNSt15iterator_traitsISY_E10value_typeET2_T3_PNSZ_IS14_E10value_typeET4_jRbjT5_S1A_jjP12ihipStream_tbEUljE_EEESV_SW_SX_S14_S18_S1A_T6_T7_T9_mT8_S1C_bDpT10_ENKUlT_T0_E_clISt17integral_constantIbLb0EES1P_EEDaS1K_S1L_EUlS1K_E_NS1_11comp_targetILNS1_3genE8ELNS1_11target_archE1030ELNS1_3gpuE2ELNS1_3repE0EEENS1_30default_config_static_selectorELNS0_4arch9wavefront6targetE0EEEvSY_
                                        ; -- End function
	.set _ZN7rocprim17ROCPRIM_400000_NS6detail17trampoline_kernelINS0_13select_configILj256ELj13ELNS0_17block_load_methodE3ELS4_3ELS4_3ELNS0_20block_scan_algorithmE0ELj4294967295EEENS1_25partition_config_selectorILNS1_17partition_subalgoE3EjNS0_10empty_typeEbEEZZNS1_14partition_implILS8_3ELb0ES6_jNS0_17counting_iteratorIjlEEPS9_SE_NS0_5tupleIJPjSE_EEENSF_IJSE_SE_EEES9_SG_JZNS1_25segmented_radix_sort_implINS0_14default_configELb1EPKdPdPKlPlN2at6native12_GLOBAL__N_18offset_tEEE10hipError_tPvRmT1_PNSt15iterator_traitsISY_E10value_typeET2_T3_PNSZ_IS14_E10value_typeET4_jRbjT5_S1A_jjP12ihipStream_tbEUljE_EEESV_SW_SX_S14_S18_S1A_T6_T7_T9_mT8_S1C_bDpT10_ENKUlT_T0_E_clISt17integral_constantIbLb0EES1P_EEDaS1K_S1L_EUlS1K_E_NS1_11comp_targetILNS1_3genE8ELNS1_11target_archE1030ELNS1_3gpuE2ELNS1_3repE0EEENS1_30default_config_static_selectorELNS0_4arch9wavefront6targetE0EEEvSY_.num_vgpr, 69
	.set _ZN7rocprim17ROCPRIM_400000_NS6detail17trampoline_kernelINS0_13select_configILj256ELj13ELNS0_17block_load_methodE3ELS4_3ELS4_3ELNS0_20block_scan_algorithmE0ELj4294967295EEENS1_25partition_config_selectorILNS1_17partition_subalgoE3EjNS0_10empty_typeEbEEZZNS1_14partition_implILS8_3ELb0ES6_jNS0_17counting_iteratorIjlEEPS9_SE_NS0_5tupleIJPjSE_EEENSF_IJSE_SE_EEES9_SG_JZNS1_25segmented_radix_sort_implINS0_14default_configELb1EPKdPdPKlPlN2at6native12_GLOBAL__N_18offset_tEEE10hipError_tPvRmT1_PNSt15iterator_traitsISY_E10value_typeET2_T3_PNSZ_IS14_E10value_typeET4_jRbjT5_S1A_jjP12ihipStream_tbEUljE_EEESV_SW_SX_S14_S18_S1A_T6_T7_T9_mT8_S1C_bDpT10_ENKUlT_T0_E_clISt17integral_constantIbLb0EES1P_EEDaS1K_S1L_EUlS1K_E_NS1_11comp_targetILNS1_3genE8ELNS1_11target_archE1030ELNS1_3gpuE2ELNS1_3repE0EEENS1_30default_config_static_selectorELNS0_4arch9wavefront6targetE0EEEvSY_.num_agpr, 0
	.set _ZN7rocprim17ROCPRIM_400000_NS6detail17trampoline_kernelINS0_13select_configILj256ELj13ELNS0_17block_load_methodE3ELS4_3ELS4_3ELNS0_20block_scan_algorithmE0ELj4294967295EEENS1_25partition_config_selectorILNS1_17partition_subalgoE3EjNS0_10empty_typeEbEEZZNS1_14partition_implILS8_3ELb0ES6_jNS0_17counting_iteratorIjlEEPS9_SE_NS0_5tupleIJPjSE_EEENSF_IJSE_SE_EEES9_SG_JZNS1_25segmented_radix_sort_implINS0_14default_configELb1EPKdPdPKlPlN2at6native12_GLOBAL__N_18offset_tEEE10hipError_tPvRmT1_PNSt15iterator_traitsISY_E10value_typeET2_T3_PNSZ_IS14_E10value_typeET4_jRbjT5_S1A_jjP12ihipStream_tbEUljE_EEESV_SW_SX_S14_S18_S1A_T6_T7_T9_mT8_S1C_bDpT10_ENKUlT_T0_E_clISt17integral_constantIbLb0EES1P_EEDaS1K_S1L_EUlS1K_E_NS1_11comp_targetILNS1_3genE8ELNS1_11target_archE1030ELNS1_3gpuE2ELNS1_3repE0EEENS1_30default_config_static_selectorELNS0_4arch9wavefront6targetE0EEEvSY_.numbered_sgpr, 27
	.set _ZN7rocprim17ROCPRIM_400000_NS6detail17trampoline_kernelINS0_13select_configILj256ELj13ELNS0_17block_load_methodE3ELS4_3ELS4_3ELNS0_20block_scan_algorithmE0ELj4294967295EEENS1_25partition_config_selectorILNS1_17partition_subalgoE3EjNS0_10empty_typeEbEEZZNS1_14partition_implILS8_3ELb0ES6_jNS0_17counting_iteratorIjlEEPS9_SE_NS0_5tupleIJPjSE_EEENSF_IJSE_SE_EEES9_SG_JZNS1_25segmented_radix_sort_implINS0_14default_configELb1EPKdPdPKlPlN2at6native12_GLOBAL__N_18offset_tEEE10hipError_tPvRmT1_PNSt15iterator_traitsISY_E10value_typeET2_T3_PNSZ_IS14_E10value_typeET4_jRbjT5_S1A_jjP12ihipStream_tbEUljE_EEESV_SW_SX_S14_S18_S1A_T6_T7_T9_mT8_S1C_bDpT10_ENKUlT_T0_E_clISt17integral_constantIbLb0EES1P_EEDaS1K_S1L_EUlS1K_E_NS1_11comp_targetILNS1_3genE8ELNS1_11target_archE1030ELNS1_3gpuE2ELNS1_3repE0EEENS1_30default_config_static_selectorELNS0_4arch9wavefront6targetE0EEEvSY_.num_named_barrier, 0
	.set _ZN7rocprim17ROCPRIM_400000_NS6detail17trampoline_kernelINS0_13select_configILj256ELj13ELNS0_17block_load_methodE3ELS4_3ELS4_3ELNS0_20block_scan_algorithmE0ELj4294967295EEENS1_25partition_config_selectorILNS1_17partition_subalgoE3EjNS0_10empty_typeEbEEZZNS1_14partition_implILS8_3ELb0ES6_jNS0_17counting_iteratorIjlEEPS9_SE_NS0_5tupleIJPjSE_EEENSF_IJSE_SE_EEES9_SG_JZNS1_25segmented_radix_sort_implINS0_14default_configELb1EPKdPdPKlPlN2at6native12_GLOBAL__N_18offset_tEEE10hipError_tPvRmT1_PNSt15iterator_traitsISY_E10value_typeET2_T3_PNSZ_IS14_E10value_typeET4_jRbjT5_S1A_jjP12ihipStream_tbEUljE_EEESV_SW_SX_S14_S18_S1A_T6_T7_T9_mT8_S1C_bDpT10_ENKUlT_T0_E_clISt17integral_constantIbLb0EES1P_EEDaS1K_S1L_EUlS1K_E_NS1_11comp_targetILNS1_3genE8ELNS1_11target_archE1030ELNS1_3gpuE2ELNS1_3repE0EEENS1_30default_config_static_selectorELNS0_4arch9wavefront6targetE0EEEvSY_.private_seg_size, 0
	.set _ZN7rocprim17ROCPRIM_400000_NS6detail17trampoline_kernelINS0_13select_configILj256ELj13ELNS0_17block_load_methodE3ELS4_3ELS4_3ELNS0_20block_scan_algorithmE0ELj4294967295EEENS1_25partition_config_selectorILNS1_17partition_subalgoE3EjNS0_10empty_typeEbEEZZNS1_14partition_implILS8_3ELb0ES6_jNS0_17counting_iteratorIjlEEPS9_SE_NS0_5tupleIJPjSE_EEENSF_IJSE_SE_EEES9_SG_JZNS1_25segmented_radix_sort_implINS0_14default_configELb1EPKdPdPKlPlN2at6native12_GLOBAL__N_18offset_tEEE10hipError_tPvRmT1_PNSt15iterator_traitsISY_E10value_typeET2_T3_PNSZ_IS14_E10value_typeET4_jRbjT5_S1A_jjP12ihipStream_tbEUljE_EEESV_SW_SX_S14_S18_S1A_T6_T7_T9_mT8_S1C_bDpT10_ENKUlT_T0_E_clISt17integral_constantIbLb0EES1P_EEDaS1K_S1L_EUlS1K_E_NS1_11comp_targetILNS1_3genE8ELNS1_11target_archE1030ELNS1_3gpuE2ELNS1_3repE0EEENS1_30default_config_static_selectorELNS0_4arch9wavefront6targetE0EEEvSY_.uses_vcc, 1
	.set _ZN7rocprim17ROCPRIM_400000_NS6detail17trampoline_kernelINS0_13select_configILj256ELj13ELNS0_17block_load_methodE3ELS4_3ELS4_3ELNS0_20block_scan_algorithmE0ELj4294967295EEENS1_25partition_config_selectorILNS1_17partition_subalgoE3EjNS0_10empty_typeEbEEZZNS1_14partition_implILS8_3ELb0ES6_jNS0_17counting_iteratorIjlEEPS9_SE_NS0_5tupleIJPjSE_EEENSF_IJSE_SE_EEES9_SG_JZNS1_25segmented_radix_sort_implINS0_14default_configELb1EPKdPdPKlPlN2at6native12_GLOBAL__N_18offset_tEEE10hipError_tPvRmT1_PNSt15iterator_traitsISY_E10value_typeET2_T3_PNSZ_IS14_E10value_typeET4_jRbjT5_S1A_jjP12ihipStream_tbEUljE_EEESV_SW_SX_S14_S18_S1A_T6_T7_T9_mT8_S1C_bDpT10_ENKUlT_T0_E_clISt17integral_constantIbLb0EES1P_EEDaS1K_S1L_EUlS1K_E_NS1_11comp_targetILNS1_3genE8ELNS1_11target_archE1030ELNS1_3gpuE2ELNS1_3repE0EEENS1_30default_config_static_selectorELNS0_4arch9wavefront6targetE0EEEvSY_.uses_flat_scratch, 0
	.set _ZN7rocprim17ROCPRIM_400000_NS6detail17trampoline_kernelINS0_13select_configILj256ELj13ELNS0_17block_load_methodE3ELS4_3ELS4_3ELNS0_20block_scan_algorithmE0ELj4294967295EEENS1_25partition_config_selectorILNS1_17partition_subalgoE3EjNS0_10empty_typeEbEEZZNS1_14partition_implILS8_3ELb0ES6_jNS0_17counting_iteratorIjlEEPS9_SE_NS0_5tupleIJPjSE_EEENSF_IJSE_SE_EEES9_SG_JZNS1_25segmented_radix_sort_implINS0_14default_configELb1EPKdPdPKlPlN2at6native12_GLOBAL__N_18offset_tEEE10hipError_tPvRmT1_PNSt15iterator_traitsISY_E10value_typeET2_T3_PNSZ_IS14_E10value_typeET4_jRbjT5_S1A_jjP12ihipStream_tbEUljE_EEESV_SW_SX_S14_S18_S1A_T6_T7_T9_mT8_S1C_bDpT10_ENKUlT_T0_E_clISt17integral_constantIbLb0EES1P_EEDaS1K_S1L_EUlS1K_E_NS1_11comp_targetILNS1_3genE8ELNS1_11target_archE1030ELNS1_3gpuE2ELNS1_3repE0EEENS1_30default_config_static_selectorELNS0_4arch9wavefront6targetE0EEEvSY_.has_dyn_sized_stack, 0
	.set _ZN7rocprim17ROCPRIM_400000_NS6detail17trampoline_kernelINS0_13select_configILj256ELj13ELNS0_17block_load_methodE3ELS4_3ELS4_3ELNS0_20block_scan_algorithmE0ELj4294967295EEENS1_25partition_config_selectorILNS1_17partition_subalgoE3EjNS0_10empty_typeEbEEZZNS1_14partition_implILS8_3ELb0ES6_jNS0_17counting_iteratorIjlEEPS9_SE_NS0_5tupleIJPjSE_EEENSF_IJSE_SE_EEES9_SG_JZNS1_25segmented_radix_sort_implINS0_14default_configELb1EPKdPdPKlPlN2at6native12_GLOBAL__N_18offset_tEEE10hipError_tPvRmT1_PNSt15iterator_traitsISY_E10value_typeET2_T3_PNSZ_IS14_E10value_typeET4_jRbjT5_S1A_jjP12ihipStream_tbEUljE_EEESV_SW_SX_S14_S18_S1A_T6_T7_T9_mT8_S1C_bDpT10_ENKUlT_T0_E_clISt17integral_constantIbLb0EES1P_EEDaS1K_S1L_EUlS1K_E_NS1_11comp_targetILNS1_3genE8ELNS1_11target_archE1030ELNS1_3gpuE2ELNS1_3repE0EEENS1_30default_config_static_selectorELNS0_4arch9wavefront6targetE0EEEvSY_.has_recursion, 0
	.set _ZN7rocprim17ROCPRIM_400000_NS6detail17trampoline_kernelINS0_13select_configILj256ELj13ELNS0_17block_load_methodE3ELS4_3ELS4_3ELNS0_20block_scan_algorithmE0ELj4294967295EEENS1_25partition_config_selectorILNS1_17partition_subalgoE3EjNS0_10empty_typeEbEEZZNS1_14partition_implILS8_3ELb0ES6_jNS0_17counting_iteratorIjlEEPS9_SE_NS0_5tupleIJPjSE_EEENSF_IJSE_SE_EEES9_SG_JZNS1_25segmented_radix_sort_implINS0_14default_configELb1EPKdPdPKlPlN2at6native12_GLOBAL__N_18offset_tEEE10hipError_tPvRmT1_PNSt15iterator_traitsISY_E10value_typeET2_T3_PNSZ_IS14_E10value_typeET4_jRbjT5_S1A_jjP12ihipStream_tbEUljE_EEESV_SW_SX_S14_S18_S1A_T6_T7_T9_mT8_S1C_bDpT10_ENKUlT_T0_E_clISt17integral_constantIbLb0EES1P_EEDaS1K_S1L_EUlS1K_E_NS1_11comp_targetILNS1_3genE8ELNS1_11target_archE1030ELNS1_3gpuE2ELNS1_3repE0EEENS1_30default_config_static_selectorELNS0_4arch9wavefront6targetE0EEEvSY_.has_indirect_call, 0
	.section	.AMDGPU.csdata,"",@progbits
; Kernel info:
; codeLenInByte = 8564
; TotalNumSgprs: 29
; NumVgprs: 69
; ScratchSize: 0
; MemoryBound: 0
; FloatMode: 240
; IeeeMode: 1
; LDSByteSize: 13320 bytes/workgroup (compile time only)
; SGPRBlocks: 0
; VGPRBlocks: 8
; NumSGPRsForWavesPerEU: 29
; NumVGPRsForWavesPerEU: 69
; Occupancy: 12
; WaveLimiterHint : 0
; COMPUTE_PGM_RSRC2:SCRATCH_EN: 0
; COMPUTE_PGM_RSRC2:USER_SGPR: 6
; COMPUTE_PGM_RSRC2:TRAP_HANDLER: 0
; COMPUTE_PGM_RSRC2:TGID_X_EN: 1
; COMPUTE_PGM_RSRC2:TGID_Y_EN: 0
; COMPUTE_PGM_RSRC2:TGID_Z_EN: 0
; COMPUTE_PGM_RSRC2:TIDIG_COMP_CNT: 0
	.section	.text._ZN7rocprim17ROCPRIM_400000_NS6detail17trampoline_kernelINS0_13select_configILj256ELj13ELNS0_17block_load_methodE3ELS4_3ELS4_3ELNS0_20block_scan_algorithmE0ELj4294967295EEENS1_25partition_config_selectorILNS1_17partition_subalgoE3EjNS0_10empty_typeEbEEZZNS1_14partition_implILS8_3ELb0ES6_jNS0_17counting_iteratorIjlEEPS9_SE_NS0_5tupleIJPjSE_EEENSF_IJSE_SE_EEES9_SG_JZNS1_25segmented_radix_sort_implINS0_14default_configELb1EPKdPdPKlPlN2at6native12_GLOBAL__N_18offset_tEEE10hipError_tPvRmT1_PNSt15iterator_traitsISY_E10value_typeET2_T3_PNSZ_IS14_E10value_typeET4_jRbjT5_S1A_jjP12ihipStream_tbEUljE_EEESV_SW_SX_S14_S18_S1A_T6_T7_T9_mT8_S1C_bDpT10_ENKUlT_T0_E_clISt17integral_constantIbLb1EES1P_EEDaS1K_S1L_EUlS1K_E_NS1_11comp_targetILNS1_3genE0ELNS1_11target_archE4294967295ELNS1_3gpuE0ELNS1_3repE0EEENS1_30default_config_static_selectorELNS0_4arch9wavefront6targetE0EEEvSY_,"axG",@progbits,_ZN7rocprim17ROCPRIM_400000_NS6detail17trampoline_kernelINS0_13select_configILj256ELj13ELNS0_17block_load_methodE3ELS4_3ELS4_3ELNS0_20block_scan_algorithmE0ELj4294967295EEENS1_25partition_config_selectorILNS1_17partition_subalgoE3EjNS0_10empty_typeEbEEZZNS1_14partition_implILS8_3ELb0ES6_jNS0_17counting_iteratorIjlEEPS9_SE_NS0_5tupleIJPjSE_EEENSF_IJSE_SE_EEES9_SG_JZNS1_25segmented_radix_sort_implINS0_14default_configELb1EPKdPdPKlPlN2at6native12_GLOBAL__N_18offset_tEEE10hipError_tPvRmT1_PNSt15iterator_traitsISY_E10value_typeET2_T3_PNSZ_IS14_E10value_typeET4_jRbjT5_S1A_jjP12ihipStream_tbEUljE_EEESV_SW_SX_S14_S18_S1A_T6_T7_T9_mT8_S1C_bDpT10_ENKUlT_T0_E_clISt17integral_constantIbLb1EES1P_EEDaS1K_S1L_EUlS1K_E_NS1_11comp_targetILNS1_3genE0ELNS1_11target_archE4294967295ELNS1_3gpuE0ELNS1_3repE0EEENS1_30default_config_static_selectorELNS0_4arch9wavefront6targetE0EEEvSY_,comdat
	.globl	_ZN7rocprim17ROCPRIM_400000_NS6detail17trampoline_kernelINS0_13select_configILj256ELj13ELNS0_17block_load_methodE3ELS4_3ELS4_3ELNS0_20block_scan_algorithmE0ELj4294967295EEENS1_25partition_config_selectorILNS1_17partition_subalgoE3EjNS0_10empty_typeEbEEZZNS1_14partition_implILS8_3ELb0ES6_jNS0_17counting_iteratorIjlEEPS9_SE_NS0_5tupleIJPjSE_EEENSF_IJSE_SE_EEES9_SG_JZNS1_25segmented_radix_sort_implINS0_14default_configELb1EPKdPdPKlPlN2at6native12_GLOBAL__N_18offset_tEEE10hipError_tPvRmT1_PNSt15iterator_traitsISY_E10value_typeET2_T3_PNSZ_IS14_E10value_typeET4_jRbjT5_S1A_jjP12ihipStream_tbEUljE_EEESV_SW_SX_S14_S18_S1A_T6_T7_T9_mT8_S1C_bDpT10_ENKUlT_T0_E_clISt17integral_constantIbLb1EES1P_EEDaS1K_S1L_EUlS1K_E_NS1_11comp_targetILNS1_3genE0ELNS1_11target_archE4294967295ELNS1_3gpuE0ELNS1_3repE0EEENS1_30default_config_static_selectorELNS0_4arch9wavefront6targetE0EEEvSY_ ; -- Begin function _ZN7rocprim17ROCPRIM_400000_NS6detail17trampoline_kernelINS0_13select_configILj256ELj13ELNS0_17block_load_methodE3ELS4_3ELS4_3ELNS0_20block_scan_algorithmE0ELj4294967295EEENS1_25partition_config_selectorILNS1_17partition_subalgoE3EjNS0_10empty_typeEbEEZZNS1_14partition_implILS8_3ELb0ES6_jNS0_17counting_iteratorIjlEEPS9_SE_NS0_5tupleIJPjSE_EEENSF_IJSE_SE_EEES9_SG_JZNS1_25segmented_radix_sort_implINS0_14default_configELb1EPKdPdPKlPlN2at6native12_GLOBAL__N_18offset_tEEE10hipError_tPvRmT1_PNSt15iterator_traitsISY_E10value_typeET2_T3_PNSZ_IS14_E10value_typeET4_jRbjT5_S1A_jjP12ihipStream_tbEUljE_EEESV_SW_SX_S14_S18_S1A_T6_T7_T9_mT8_S1C_bDpT10_ENKUlT_T0_E_clISt17integral_constantIbLb1EES1P_EEDaS1K_S1L_EUlS1K_E_NS1_11comp_targetILNS1_3genE0ELNS1_11target_archE4294967295ELNS1_3gpuE0ELNS1_3repE0EEENS1_30default_config_static_selectorELNS0_4arch9wavefront6targetE0EEEvSY_
	.p2align	8
	.type	_ZN7rocprim17ROCPRIM_400000_NS6detail17trampoline_kernelINS0_13select_configILj256ELj13ELNS0_17block_load_methodE3ELS4_3ELS4_3ELNS0_20block_scan_algorithmE0ELj4294967295EEENS1_25partition_config_selectorILNS1_17partition_subalgoE3EjNS0_10empty_typeEbEEZZNS1_14partition_implILS8_3ELb0ES6_jNS0_17counting_iteratorIjlEEPS9_SE_NS0_5tupleIJPjSE_EEENSF_IJSE_SE_EEES9_SG_JZNS1_25segmented_radix_sort_implINS0_14default_configELb1EPKdPdPKlPlN2at6native12_GLOBAL__N_18offset_tEEE10hipError_tPvRmT1_PNSt15iterator_traitsISY_E10value_typeET2_T3_PNSZ_IS14_E10value_typeET4_jRbjT5_S1A_jjP12ihipStream_tbEUljE_EEESV_SW_SX_S14_S18_S1A_T6_T7_T9_mT8_S1C_bDpT10_ENKUlT_T0_E_clISt17integral_constantIbLb1EES1P_EEDaS1K_S1L_EUlS1K_E_NS1_11comp_targetILNS1_3genE0ELNS1_11target_archE4294967295ELNS1_3gpuE0ELNS1_3repE0EEENS1_30default_config_static_selectorELNS0_4arch9wavefront6targetE0EEEvSY_,@function
_ZN7rocprim17ROCPRIM_400000_NS6detail17trampoline_kernelINS0_13select_configILj256ELj13ELNS0_17block_load_methodE3ELS4_3ELS4_3ELNS0_20block_scan_algorithmE0ELj4294967295EEENS1_25partition_config_selectorILNS1_17partition_subalgoE3EjNS0_10empty_typeEbEEZZNS1_14partition_implILS8_3ELb0ES6_jNS0_17counting_iteratorIjlEEPS9_SE_NS0_5tupleIJPjSE_EEENSF_IJSE_SE_EEES9_SG_JZNS1_25segmented_radix_sort_implINS0_14default_configELb1EPKdPdPKlPlN2at6native12_GLOBAL__N_18offset_tEEE10hipError_tPvRmT1_PNSt15iterator_traitsISY_E10value_typeET2_T3_PNSZ_IS14_E10value_typeET4_jRbjT5_S1A_jjP12ihipStream_tbEUljE_EEESV_SW_SX_S14_S18_S1A_T6_T7_T9_mT8_S1C_bDpT10_ENKUlT_T0_E_clISt17integral_constantIbLb1EES1P_EEDaS1K_S1L_EUlS1K_E_NS1_11comp_targetILNS1_3genE0ELNS1_11target_archE4294967295ELNS1_3gpuE0ELNS1_3repE0EEENS1_30default_config_static_selectorELNS0_4arch9wavefront6targetE0EEEvSY_: ; @_ZN7rocprim17ROCPRIM_400000_NS6detail17trampoline_kernelINS0_13select_configILj256ELj13ELNS0_17block_load_methodE3ELS4_3ELS4_3ELNS0_20block_scan_algorithmE0ELj4294967295EEENS1_25partition_config_selectorILNS1_17partition_subalgoE3EjNS0_10empty_typeEbEEZZNS1_14partition_implILS8_3ELb0ES6_jNS0_17counting_iteratorIjlEEPS9_SE_NS0_5tupleIJPjSE_EEENSF_IJSE_SE_EEES9_SG_JZNS1_25segmented_radix_sort_implINS0_14default_configELb1EPKdPdPKlPlN2at6native12_GLOBAL__N_18offset_tEEE10hipError_tPvRmT1_PNSt15iterator_traitsISY_E10value_typeET2_T3_PNSZ_IS14_E10value_typeET4_jRbjT5_S1A_jjP12ihipStream_tbEUljE_EEESV_SW_SX_S14_S18_S1A_T6_T7_T9_mT8_S1C_bDpT10_ENKUlT_T0_E_clISt17integral_constantIbLb1EES1P_EEDaS1K_S1L_EUlS1K_E_NS1_11comp_targetILNS1_3genE0ELNS1_11target_archE4294967295ELNS1_3gpuE0ELNS1_3repE0EEENS1_30default_config_static_selectorELNS0_4arch9wavefront6targetE0EEEvSY_
; %bb.0:
	.section	.rodata,"a",@progbits
	.p2align	6, 0x0
	.amdhsa_kernel _ZN7rocprim17ROCPRIM_400000_NS6detail17trampoline_kernelINS0_13select_configILj256ELj13ELNS0_17block_load_methodE3ELS4_3ELS4_3ELNS0_20block_scan_algorithmE0ELj4294967295EEENS1_25partition_config_selectorILNS1_17partition_subalgoE3EjNS0_10empty_typeEbEEZZNS1_14partition_implILS8_3ELb0ES6_jNS0_17counting_iteratorIjlEEPS9_SE_NS0_5tupleIJPjSE_EEENSF_IJSE_SE_EEES9_SG_JZNS1_25segmented_radix_sort_implINS0_14default_configELb1EPKdPdPKlPlN2at6native12_GLOBAL__N_18offset_tEEE10hipError_tPvRmT1_PNSt15iterator_traitsISY_E10value_typeET2_T3_PNSZ_IS14_E10value_typeET4_jRbjT5_S1A_jjP12ihipStream_tbEUljE_EEESV_SW_SX_S14_S18_S1A_T6_T7_T9_mT8_S1C_bDpT10_ENKUlT_T0_E_clISt17integral_constantIbLb1EES1P_EEDaS1K_S1L_EUlS1K_E_NS1_11comp_targetILNS1_3genE0ELNS1_11target_archE4294967295ELNS1_3gpuE0ELNS1_3repE0EEENS1_30default_config_static_selectorELNS0_4arch9wavefront6targetE0EEEvSY_
		.amdhsa_group_segment_fixed_size 0
		.amdhsa_private_segment_fixed_size 0
		.amdhsa_kernarg_size 152
		.amdhsa_user_sgpr_count 6
		.amdhsa_user_sgpr_private_segment_buffer 1
		.amdhsa_user_sgpr_dispatch_ptr 0
		.amdhsa_user_sgpr_queue_ptr 0
		.amdhsa_user_sgpr_kernarg_segment_ptr 1
		.amdhsa_user_sgpr_dispatch_id 0
		.amdhsa_user_sgpr_flat_scratch_init 0
		.amdhsa_user_sgpr_private_segment_size 0
		.amdhsa_wavefront_size32 1
		.amdhsa_uses_dynamic_stack 0
		.amdhsa_system_sgpr_private_segment_wavefront_offset 0
		.amdhsa_system_sgpr_workgroup_id_x 1
		.amdhsa_system_sgpr_workgroup_id_y 0
		.amdhsa_system_sgpr_workgroup_id_z 0
		.amdhsa_system_sgpr_workgroup_info 0
		.amdhsa_system_vgpr_workitem_id 0
		.amdhsa_next_free_vgpr 1
		.amdhsa_next_free_sgpr 1
		.amdhsa_reserve_vcc 0
		.amdhsa_reserve_flat_scratch 0
		.amdhsa_float_round_mode_32 0
		.amdhsa_float_round_mode_16_64 0
		.amdhsa_float_denorm_mode_32 3
		.amdhsa_float_denorm_mode_16_64 3
		.amdhsa_dx10_clamp 1
		.amdhsa_ieee_mode 1
		.amdhsa_fp16_overflow 0
		.amdhsa_workgroup_processor_mode 1
		.amdhsa_memory_ordered 1
		.amdhsa_forward_progress 1
		.amdhsa_shared_vgpr_count 0
		.amdhsa_exception_fp_ieee_invalid_op 0
		.amdhsa_exception_fp_denorm_src 0
		.amdhsa_exception_fp_ieee_div_zero 0
		.amdhsa_exception_fp_ieee_overflow 0
		.amdhsa_exception_fp_ieee_underflow 0
		.amdhsa_exception_fp_ieee_inexact 0
		.amdhsa_exception_int_div_zero 0
	.end_amdhsa_kernel
	.section	.text._ZN7rocprim17ROCPRIM_400000_NS6detail17trampoline_kernelINS0_13select_configILj256ELj13ELNS0_17block_load_methodE3ELS4_3ELS4_3ELNS0_20block_scan_algorithmE0ELj4294967295EEENS1_25partition_config_selectorILNS1_17partition_subalgoE3EjNS0_10empty_typeEbEEZZNS1_14partition_implILS8_3ELb0ES6_jNS0_17counting_iteratorIjlEEPS9_SE_NS0_5tupleIJPjSE_EEENSF_IJSE_SE_EEES9_SG_JZNS1_25segmented_radix_sort_implINS0_14default_configELb1EPKdPdPKlPlN2at6native12_GLOBAL__N_18offset_tEEE10hipError_tPvRmT1_PNSt15iterator_traitsISY_E10value_typeET2_T3_PNSZ_IS14_E10value_typeET4_jRbjT5_S1A_jjP12ihipStream_tbEUljE_EEESV_SW_SX_S14_S18_S1A_T6_T7_T9_mT8_S1C_bDpT10_ENKUlT_T0_E_clISt17integral_constantIbLb1EES1P_EEDaS1K_S1L_EUlS1K_E_NS1_11comp_targetILNS1_3genE0ELNS1_11target_archE4294967295ELNS1_3gpuE0ELNS1_3repE0EEENS1_30default_config_static_selectorELNS0_4arch9wavefront6targetE0EEEvSY_,"axG",@progbits,_ZN7rocprim17ROCPRIM_400000_NS6detail17trampoline_kernelINS0_13select_configILj256ELj13ELNS0_17block_load_methodE3ELS4_3ELS4_3ELNS0_20block_scan_algorithmE0ELj4294967295EEENS1_25partition_config_selectorILNS1_17partition_subalgoE3EjNS0_10empty_typeEbEEZZNS1_14partition_implILS8_3ELb0ES6_jNS0_17counting_iteratorIjlEEPS9_SE_NS0_5tupleIJPjSE_EEENSF_IJSE_SE_EEES9_SG_JZNS1_25segmented_radix_sort_implINS0_14default_configELb1EPKdPdPKlPlN2at6native12_GLOBAL__N_18offset_tEEE10hipError_tPvRmT1_PNSt15iterator_traitsISY_E10value_typeET2_T3_PNSZ_IS14_E10value_typeET4_jRbjT5_S1A_jjP12ihipStream_tbEUljE_EEESV_SW_SX_S14_S18_S1A_T6_T7_T9_mT8_S1C_bDpT10_ENKUlT_T0_E_clISt17integral_constantIbLb1EES1P_EEDaS1K_S1L_EUlS1K_E_NS1_11comp_targetILNS1_3genE0ELNS1_11target_archE4294967295ELNS1_3gpuE0ELNS1_3repE0EEENS1_30default_config_static_selectorELNS0_4arch9wavefront6targetE0EEEvSY_,comdat
.Lfunc_end1086:
	.size	_ZN7rocprim17ROCPRIM_400000_NS6detail17trampoline_kernelINS0_13select_configILj256ELj13ELNS0_17block_load_methodE3ELS4_3ELS4_3ELNS0_20block_scan_algorithmE0ELj4294967295EEENS1_25partition_config_selectorILNS1_17partition_subalgoE3EjNS0_10empty_typeEbEEZZNS1_14partition_implILS8_3ELb0ES6_jNS0_17counting_iteratorIjlEEPS9_SE_NS0_5tupleIJPjSE_EEENSF_IJSE_SE_EEES9_SG_JZNS1_25segmented_radix_sort_implINS0_14default_configELb1EPKdPdPKlPlN2at6native12_GLOBAL__N_18offset_tEEE10hipError_tPvRmT1_PNSt15iterator_traitsISY_E10value_typeET2_T3_PNSZ_IS14_E10value_typeET4_jRbjT5_S1A_jjP12ihipStream_tbEUljE_EEESV_SW_SX_S14_S18_S1A_T6_T7_T9_mT8_S1C_bDpT10_ENKUlT_T0_E_clISt17integral_constantIbLb1EES1P_EEDaS1K_S1L_EUlS1K_E_NS1_11comp_targetILNS1_3genE0ELNS1_11target_archE4294967295ELNS1_3gpuE0ELNS1_3repE0EEENS1_30default_config_static_selectorELNS0_4arch9wavefront6targetE0EEEvSY_, .Lfunc_end1086-_ZN7rocprim17ROCPRIM_400000_NS6detail17trampoline_kernelINS0_13select_configILj256ELj13ELNS0_17block_load_methodE3ELS4_3ELS4_3ELNS0_20block_scan_algorithmE0ELj4294967295EEENS1_25partition_config_selectorILNS1_17partition_subalgoE3EjNS0_10empty_typeEbEEZZNS1_14partition_implILS8_3ELb0ES6_jNS0_17counting_iteratorIjlEEPS9_SE_NS0_5tupleIJPjSE_EEENSF_IJSE_SE_EEES9_SG_JZNS1_25segmented_radix_sort_implINS0_14default_configELb1EPKdPdPKlPlN2at6native12_GLOBAL__N_18offset_tEEE10hipError_tPvRmT1_PNSt15iterator_traitsISY_E10value_typeET2_T3_PNSZ_IS14_E10value_typeET4_jRbjT5_S1A_jjP12ihipStream_tbEUljE_EEESV_SW_SX_S14_S18_S1A_T6_T7_T9_mT8_S1C_bDpT10_ENKUlT_T0_E_clISt17integral_constantIbLb1EES1P_EEDaS1K_S1L_EUlS1K_E_NS1_11comp_targetILNS1_3genE0ELNS1_11target_archE4294967295ELNS1_3gpuE0ELNS1_3repE0EEENS1_30default_config_static_selectorELNS0_4arch9wavefront6targetE0EEEvSY_
                                        ; -- End function
	.set _ZN7rocprim17ROCPRIM_400000_NS6detail17trampoline_kernelINS0_13select_configILj256ELj13ELNS0_17block_load_methodE3ELS4_3ELS4_3ELNS0_20block_scan_algorithmE0ELj4294967295EEENS1_25partition_config_selectorILNS1_17partition_subalgoE3EjNS0_10empty_typeEbEEZZNS1_14partition_implILS8_3ELb0ES6_jNS0_17counting_iteratorIjlEEPS9_SE_NS0_5tupleIJPjSE_EEENSF_IJSE_SE_EEES9_SG_JZNS1_25segmented_radix_sort_implINS0_14default_configELb1EPKdPdPKlPlN2at6native12_GLOBAL__N_18offset_tEEE10hipError_tPvRmT1_PNSt15iterator_traitsISY_E10value_typeET2_T3_PNSZ_IS14_E10value_typeET4_jRbjT5_S1A_jjP12ihipStream_tbEUljE_EEESV_SW_SX_S14_S18_S1A_T6_T7_T9_mT8_S1C_bDpT10_ENKUlT_T0_E_clISt17integral_constantIbLb1EES1P_EEDaS1K_S1L_EUlS1K_E_NS1_11comp_targetILNS1_3genE0ELNS1_11target_archE4294967295ELNS1_3gpuE0ELNS1_3repE0EEENS1_30default_config_static_selectorELNS0_4arch9wavefront6targetE0EEEvSY_.num_vgpr, 0
	.set _ZN7rocprim17ROCPRIM_400000_NS6detail17trampoline_kernelINS0_13select_configILj256ELj13ELNS0_17block_load_methodE3ELS4_3ELS4_3ELNS0_20block_scan_algorithmE0ELj4294967295EEENS1_25partition_config_selectorILNS1_17partition_subalgoE3EjNS0_10empty_typeEbEEZZNS1_14partition_implILS8_3ELb0ES6_jNS0_17counting_iteratorIjlEEPS9_SE_NS0_5tupleIJPjSE_EEENSF_IJSE_SE_EEES9_SG_JZNS1_25segmented_radix_sort_implINS0_14default_configELb1EPKdPdPKlPlN2at6native12_GLOBAL__N_18offset_tEEE10hipError_tPvRmT1_PNSt15iterator_traitsISY_E10value_typeET2_T3_PNSZ_IS14_E10value_typeET4_jRbjT5_S1A_jjP12ihipStream_tbEUljE_EEESV_SW_SX_S14_S18_S1A_T6_T7_T9_mT8_S1C_bDpT10_ENKUlT_T0_E_clISt17integral_constantIbLb1EES1P_EEDaS1K_S1L_EUlS1K_E_NS1_11comp_targetILNS1_3genE0ELNS1_11target_archE4294967295ELNS1_3gpuE0ELNS1_3repE0EEENS1_30default_config_static_selectorELNS0_4arch9wavefront6targetE0EEEvSY_.num_agpr, 0
	.set _ZN7rocprim17ROCPRIM_400000_NS6detail17trampoline_kernelINS0_13select_configILj256ELj13ELNS0_17block_load_methodE3ELS4_3ELS4_3ELNS0_20block_scan_algorithmE0ELj4294967295EEENS1_25partition_config_selectorILNS1_17partition_subalgoE3EjNS0_10empty_typeEbEEZZNS1_14partition_implILS8_3ELb0ES6_jNS0_17counting_iteratorIjlEEPS9_SE_NS0_5tupleIJPjSE_EEENSF_IJSE_SE_EEES9_SG_JZNS1_25segmented_radix_sort_implINS0_14default_configELb1EPKdPdPKlPlN2at6native12_GLOBAL__N_18offset_tEEE10hipError_tPvRmT1_PNSt15iterator_traitsISY_E10value_typeET2_T3_PNSZ_IS14_E10value_typeET4_jRbjT5_S1A_jjP12ihipStream_tbEUljE_EEESV_SW_SX_S14_S18_S1A_T6_T7_T9_mT8_S1C_bDpT10_ENKUlT_T0_E_clISt17integral_constantIbLb1EES1P_EEDaS1K_S1L_EUlS1K_E_NS1_11comp_targetILNS1_3genE0ELNS1_11target_archE4294967295ELNS1_3gpuE0ELNS1_3repE0EEENS1_30default_config_static_selectorELNS0_4arch9wavefront6targetE0EEEvSY_.numbered_sgpr, 0
	.set _ZN7rocprim17ROCPRIM_400000_NS6detail17trampoline_kernelINS0_13select_configILj256ELj13ELNS0_17block_load_methodE3ELS4_3ELS4_3ELNS0_20block_scan_algorithmE0ELj4294967295EEENS1_25partition_config_selectorILNS1_17partition_subalgoE3EjNS0_10empty_typeEbEEZZNS1_14partition_implILS8_3ELb0ES6_jNS0_17counting_iteratorIjlEEPS9_SE_NS0_5tupleIJPjSE_EEENSF_IJSE_SE_EEES9_SG_JZNS1_25segmented_radix_sort_implINS0_14default_configELb1EPKdPdPKlPlN2at6native12_GLOBAL__N_18offset_tEEE10hipError_tPvRmT1_PNSt15iterator_traitsISY_E10value_typeET2_T3_PNSZ_IS14_E10value_typeET4_jRbjT5_S1A_jjP12ihipStream_tbEUljE_EEESV_SW_SX_S14_S18_S1A_T6_T7_T9_mT8_S1C_bDpT10_ENKUlT_T0_E_clISt17integral_constantIbLb1EES1P_EEDaS1K_S1L_EUlS1K_E_NS1_11comp_targetILNS1_3genE0ELNS1_11target_archE4294967295ELNS1_3gpuE0ELNS1_3repE0EEENS1_30default_config_static_selectorELNS0_4arch9wavefront6targetE0EEEvSY_.num_named_barrier, 0
	.set _ZN7rocprim17ROCPRIM_400000_NS6detail17trampoline_kernelINS0_13select_configILj256ELj13ELNS0_17block_load_methodE3ELS4_3ELS4_3ELNS0_20block_scan_algorithmE0ELj4294967295EEENS1_25partition_config_selectorILNS1_17partition_subalgoE3EjNS0_10empty_typeEbEEZZNS1_14partition_implILS8_3ELb0ES6_jNS0_17counting_iteratorIjlEEPS9_SE_NS0_5tupleIJPjSE_EEENSF_IJSE_SE_EEES9_SG_JZNS1_25segmented_radix_sort_implINS0_14default_configELb1EPKdPdPKlPlN2at6native12_GLOBAL__N_18offset_tEEE10hipError_tPvRmT1_PNSt15iterator_traitsISY_E10value_typeET2_T3_PNSZ_IS14_E10value_typeET4_jRbjT5_S1A_jjP12ihipStream_tbEUljE_EEESV_SW_SX_S14_S18_S1A_T6_T7_T9_mT8_S1C_bDpT10_ENKUlT_T0_E_clISt17integral_constantIbLb1EES1P_EEDaS1K_S1L_EUlS1K_E_NS1_11comp_targetILNS1_3genE0ELNS1_11target_archE4294967295ELNS1_3gpuE0ELNS1_3repE0EEENS1_30default_config_static_selectorELNS0_4arch9wavefront6targetE0EEEvSY_.private_seg_size, 0
	.set _ZN7rocprim17ROCPRIM_400000_NS6detail17trampoline_kernelINS0_13select_configILj256ELj13ELNS0_17block_load_methodE3ELS4_3ELS4_3ELNS0_20block_scan_algorithmE0ELj4294967295EEENS1_25partition_config_selectorILNS1_17partition_subalgoE3EjNS0_10empty_typeEbEEZZNS1_14partition_implILS8_3ELb0ES6_jNS0_17counting_iteratorIjlEEPS9_SE_NS0_5tupleIJPjSE_EEENSF_IJSE_SE_EEES9_SG_JZNS1_25segmented_radix_sort_implINS0_14default_configELb1EPKdPdPKlPlN2at6native12_GLOBAL__N_18offset_tEEE10hipError_tPvRmT1_PNSt15iterator_traitsISY_E10value_typeET2_T3_PNSZ_IS14_E10value_typeET4_jRbjT5_S1A_jjP12ihipStream_tbEUljE_EEESV_SW_SX_S14_S18_S1A_T6_T7_T9_mT8_S1C_bDpT10_ENKUlT_T0_E_clISt17integral_constantIbLb1EES1P_EEDaS1K_S1L_EUlS1K_E_NS1_11comp_targetILNS1_3genE0ELNS1_11target_archE4294967295ELNS1_3gpuE0ELNS1_3repE0EEENS1_30default_config_static_selectorELNS0_4arch9wavefront6targetE0EEEvSY_.uses_vcc, 0
	.set _ZN7rocprim17ROCPRIM_400000_NS6detail17trampoline_kernelINS0_13select_configILj256ELj13ELNS0_17block_load_methodE3ELS4_3ELS4_3ELNS0_20block_scan_algorithmE0ELj4294967295EEENS1_25partition_config_selectorILNS1_17partition_subalgoE3EjNS0_10empty_typeEbEEZZNS1_14partition_implILS8_3ELb0ES6_jNS0_17counting_iteratorIjlEEPS9_SE_NS0_5tupleIJPjSE_EEENSF_IJSE_SE_EEES9_SG_JZNS1_25segmented_radix_sort_implINS0_14default_configELb1EPKdPdPKlPlN2at6native12_GLOBAL__N_18offset_tEEE10hipError_tPvRmT1_PNSt15iterator_traitsISY_E10value_typeET2_T3_PNSZ_IS14_E10value_typeET4_jRbjT5_S1A_jjP12ihipStream_tbEUljE_EEESV_SW_SX_S14_S18_S1A_T6_T7_T9_mT8_S1C_bDpT10_ENKUlT_T0_E_clISt17integral_constantIbLb1EES1P_EEDaS1K_S1L_EUlS1K_E_NS1_11comp_targetILNS1_3genE0ELNS1_11target_archE4294967295ELNS1_3gpuE0ELNS1_3repE0EEENS1_30default_config_static_selectorELNS0_4arch9wavefront6targetE0EEEvSY_.uses_flat_scratch, 0
	.set _ZN7rocprim17ROCPRIM_400000_NS6detail17trampoline_kernelINS0_13select_configILj256ELj13ELNS0_17block_load_methodE3ELS4_3ELS4_3ELNS0_20block_scan_algorithmE0ELj4294967295EEENS1_25partition_config_selectorILNS1_17partition_subalgoE3EjNS0_10empty_typeEbEEZZNS1_14partition_implILS8_3ELb0ES6_jNS0_17counting_iteratorIjlEEPS9_SE_NS0_5tupleIJPjSE_EEENSF_IJSE_SE_EEES9_SG_JZNS1_25segmented_radix_sort_implINS0_14default_configELb1EPKdPdPKlPlN2at6native12_GLOBAL__N_18offset_tEEE10hipError_tPvRmT1_PNSt15iterator_traitsISY_E10value_typeET2_T3_PNSZ_IS14_E10value_typeET4_jRbjT5_S1A_jjP12ihipStream_tbEUljE_EEESV_SW_SX_S14_S18_S1A_T6_T7_T9_mT8_S1C_bDpT10_ENKUlT_T0_E_clISt17integral_constantIbLb1EES1P_EEDaS1K_S1L_EUlS1K_E_NS1_11comp_targetILNS1_3genE0ELNS1_11target_archE4294967295ELNS1_3gpuE0ELNS1_3repE0EEENS1_30default_config_static_selectorELNS0_4arch9wavefront6targetE0EEEvSY_.has_dyn_sized_stack, 0
	.set _ZN7rocprim17ROCPRIM_400000_NS6detail17trampoline_kernelINS0_13select_configILj256ELj13ELNS0_17block_load_methodE3ELS4_3ELS4_3ELNS0_20block_scan_algorithmE0ELj4294967295EEENS1_25partition_config_selectorILNS1_17partition_subalgoE3EjNS0_10empty_typeEbEEZZNS1_14partition_implILS8_3ELb0ES6_jNS0_17counting_iteratorIjlEEPS9_SE_NS0_5tupleIJPjSE_EEENSF_IJSE_SE_EEES9_SG_JZNS1_25segmented_radix_sort_implINS0_14default_configELb1EPKdPdPKlPlN2at6native12_GLOBAL__N_18offset_tEEE10hipError_tPvRmT1_PNSt15iterator_traitsISY_E10value_typeET2_T3_PNSZ_IS14_E10value_typeET4_jRbjT5_S1A_jjP12ihipStream_tbEUljE_EEESV_SW_SX_S14_S18_S1A_T6_T7_T9_mT8_S1C_bDpT10_ENKUlT_T0_E_clISt17integral_constantIbLb1EES1P_EEDaS1K_S1L_EUlS1K_E_NS1_11comp_targetILNS1_3genE0ELNS1_11target_archE4294967295ELNS1_3gpuE0ELNS1_3repE0EEENS1_30default_config_static_selectorELNS0_4arch9wavefront6targetE0EEEvSY_.has_recursion, 0
	.set _ZN7rocprim17ROCPRIM_400000_NS6detail17trampoline_kernelINS0_13select_configILj256ELj13ELNS0_17block_load_methodE3ELS4_3ELS4_3ELNS0_20block_scan_algorithmE0ELj4294967295EEENS1_25partition_config_selectorILNS1_17partition_subalgoE3EjNS0_10empty_typeEbEEZZNS1_14partition_implILS8_3ELb0ES6_jNS0_17counting_iteratorIjlEEPS9_SE_NS0_5tupleIJPjSE_EEENSF_IJSE_SE_EEES9_SG_JZNS1_25segmented_radix_sort_implINS0_14default_configELb1EPKdPdPKlPlN2at6native12_GLOBAL__N_18offset_tEEE10hipError_tPvRmT1_PNSt15iterator_traitsISY_E10value_typeET2_T3_PNSZ_IS14_E10value_typeET4_jRbjT5_S1A_jjP12ihipStream_tbEUljE_EEESV_SW_SX_S14_S18_S1A_T6_T7_T9_mT8_S1C_bDpT10_ENKUlT_T0_E_clISt17integral_constantIbLb1EES1P_EEDaS1K_S1L_EUlS1K_E_NS1_11comp_targetILNS1_3genE0ELNS1_11target_archE4294967295ELNS1_3gpuE0ELNS1_3repE0EEENS1_30default_config_static_selectorELNS0_4arch9wavefront6targetE0EEEvSY_.has_indirect_call, 0
	.section	.AMDGPU.csdata,"",@progbits
; Kernel info:
; codeLenInByte = 0
; TotalNumSgprs: 0
; NumVgprs: 0
; ScratchSize: 0
; MemoryBound: 0
; FloatMode: 240
; IeeeMode: 1
; LDSByteSize: 0 bytes/workgroup (compile time only)
; SGPRBlocks: 0
; VGPRBlocks: 0
; NumSGPRsForWavesPerEU: 1
; NumVGPRsForWavesPerEU: 1
; Occupancy: 16
; WaveLimiterHint : 0
; COMPUTE_PGM_RSRC2:SCRATCH_EN: 0
; COMPUTE_PGM_RSRC2:USER_SGPR: 6
; COMPUTE_PGM_RSRC2:TRAP_HANDLER: 0
; COMPUTE_PGM_RSRC2:TGID_X_EN: 1
; COMPUTE_PGM_RSRC2:TGID_Y_EN: 0
; COMPUTE_PGM_RSRC2:TGID_Z_EN: 0
; COMPUTE_PGM_RSRC2:TIDIG_COMP_CNT: 0
	.section	.text._ZN7rocprim17ROCPRIM_400000_NS6detail17trampoline_kernelINS0_13select_configILj256ELj13ELNS0_17block_load_methodE3ELS4_3ELS4_3ELNS0_20block_scan_algorithmE0ELj4294967295EEENS1_25partition_config_selectorILNS1_17partition_subalgoE3EjNS0_10empty_typeEbEEZZNS1_14partition_implILS8_3ELb0ES6_jNS0_17counting_iteratorIjlEEPS9_SE_NS0_5tupleIJPjSE_EEENSF_IJSE_SE_EEES9_SG_JZNS1_25segmented_radix_sort_implINS0_14default_configELb1EPKdPdPKlPlN2at6native12_GLOBAL__N_18offset_tEEE10hipError_tPvRmT1_PNSt15iterator_traitsISY_E10value_typeET2_T3_PNSZ_IS14_E10value_typeET4_jRbjT5_S1A_jjP12ihipStream_tbEUljE_EEESV_SW_SX_S14_S18_S1A_T6_T7_T9_mT8_S1C_bDpT10_ENKUlT_T0_E_clISt17integral_constantIbLb1EES1P_EEDaS1K_S1L_EUlS1K_E_NS1_11comp_targetILNS1_3genE5ELNS1_11target_archE942ELNS1_3gpuE9ELNS1_3repE0EEENS1_30default_config_static_selectorELNS0_4arch9wavefront6targetE0EEEvSY_,"axG",@progbits,_ZN7rocprim17ROCPRIM_400000_NS6detail17trampoline_kernelINS0_13select_configILj256ELj13ELNS0_17block_load_methodE3ELS4_3ELS4_3ELNS0_20block_scan_algorithmE0ELj4294967295EEENS1_25partition_config_selectorILNS1_17partition_subalgoE3EjNS0_10empty_typeEbEEZZNS1_14partition_implILS8_3ELb0ES6_jNS0_17counting_iteratorIjlEEPS9_SE_NS0_5tupleIJPjSE_EEENSF_IJSE_SE_EEES9_SG_JZNS1_25segmented_radix_sort_implINS0_14default_configELb1EPKdPdPKlPlN2at6native12_GLOBAL__N_18offset_tEEE10hipError_tPvRmT1_PNSt15iterator_traitsISY_E10value_typeET2_T3_PNSZ_IS14_E10value_typeET4_jRbjT5_S1A_jjP12ihipStream_tbEUljE_EEESV_SW_SX_S14_S18_S1A_T6_T7_T9_mT8_S1C_bDpT10_ENKUlT_T0_E_clISt17integral_constantIbLb1EES1P_EEDaS1K_S1L_EUlS1K_E_NS1_11comp_targetILNS1_3genE5ELNS1_11target_archE942ELNS1_3gpuE9ELNS1_3repE0EEENS1_30default_config_static_selectorELNS0_4arch9wavefront6targetE0EEEvSY_,comdat
	.globl	_ZN7rocprim17ROCPRIM_400000_NS6detail17trampoline_kernelINS0_13select_configILj256ELj13ELNS0_17block_load_methodE3ELS4_3ELS4_3ELNS0_20block_scan_algorithmE0ELj4294967295EEENS1_25partition_config_selectorILNS1_17partition_subalgoE3EjNS0_10empty_typeEbEEZZNS1_14partition_implILS8_3ELb0ES6_jNS0_17counting_iteratorIjlEEPS9_SE_NS0_5tupleIJPjSE_EEENSF_IJSE_SE_EEES9_SG_JZNS1_25segmented_radix_sort_implINS0_14default_configELb1EPKdPdPKlPlN2at6native12_GLOBAL__N_18offset_tEEE10hipError_tPvRmT1_PNSt15iterator_traitsISY_E10value_typeET2_T3_PNSZ_IS14_E10value_typeET4_jRbjT5_S1A_jjP12ihipStream_tbEUljE_EEESV_SW_SX_S14_S18_S1A_T6_T7_T9_mT8_S1C_bDpT10_ENKUlT_T0_E_clISt17integral_constantIbLb1EES1P_EEDaS1K_S1L_EUlS1K_E_NS1_11comp_targetILNS1_3genE5ELNS1_11target_archE942ELNS1_3gpuE9ELNS1_3repE0EEENS1_30default_config_static_selectorELNS0_4arch9wavefront6targetE0EEEvSY_ ; -- Begin function _ZN7rocprim17ROCPRIM_400000_NS6detail17trampoline_kernelINS0_13select_configILj256ELj13ELNS0_17block_load_methodE3ELS4_3ELS4_3ELNS0_20block_scan_algorithmE0ELj4294967295EEENS1_25partition_config_selectorILNS1_17partition_subalgoE3EjNS0_10empty_typeEbEEZZNS1_14partition_implILS8_3ELb0ES6_jNS0_17counting_iteratorIjlEEPS9_SE_NS0_5tupleIJPjSE_EEENSF_IJSE_SE_EEES9_SG_JZNS1_25segmented_radix_sort_implINS0_14default_configELb1EPKdPdPKlPlN2at6native12_GLOBAL__N_18offset_tEEE10hipError_tPvRmT1_PNSt15iterator_traitsISY_E10value_typeET2_T3_PNSZ_IS14_E10value_typeET4_jRbjT5_S1A_jjP12ihipStream_tbEUljE_EEESV_SW_SX_S14_S18_S1A_T6_T7_T9_mT8_S1C_bDpT10_ENKUlT_T0_E_clISt17integral_constantIbLb1EES1P_EEDaS1K_S1L_EUlS1K_E_NS1_11comp_targetILNS1_3genE5ELNS1_11target_archE942ELNS1_3gpuE9ELNS1_3repE0EEENS1_30default_config_static_selectorELNS0_4arch9wavefront6targetE0EEEvSY_
	.p2align	8
	.type	_ZN7rocprim17ROCPRIM_400000_NS6detail17trampoline_kernelINS0_13select_configILj256ELj13ELNS0_17block_load_methodE3ELS4_3ELS4_3ELNS0_20block_scan_algorithmE0ELj4294967295EEENS1_25partition_config_selectorILNS1_17partition_subalgoE3EjNS0_10empty_typeEbEEZZNS1_14partition_implILS8_3ELb0ES6_jNS0_17counting_iteratorIjlEEPS9_SE_NS0_5tupleIJPjSE_EEENSF_IJSE_SE_EEES9_SG_JZNS1_25segmented_radix_sort_implINS0_14default_configELb1EPKdPdPKlPlN2at6native12_GLOBAL__N_18offset_tEEE10hipError_tPvRmT1_PNSt15iterator_traitsISY_E10value_typeET2_T3_PNSZ_IS14_E10value_typeET4_jRbjT5_S1A_jjP12ihipStream_tbEUljE_EEESV_SW_SX_S14_S18_S1A_T6_T7_T9_mT8_S1C_bDpT10_ENKUlT_T0_E_clISt17integral_constantIbLb1EES1P_EEDaS1K_S1L_EUlS1K_E_NS1_11comp_targetILNS1_3genE5ELNS1_11target_archE942ELNS1_3gpuE9ELNS1_3repE0EEENS1_30default_config_static_selectorELNS0_4arch9wavefront6targetE0EEEvSY_,@function
_ZN7rocprim17ROCPRIM_400000_NS6detail17trampoline_kernelINS0_13select_configILj256ELj13ELNS0_17block_load_methodE3ELS4_3ELS4_3ELNS0_20block_scan_algorithmE0ELj4294967295EEENS1_25partition_config_selectorILNS1_17partition_subalgoE3EjNS0_10empty_typeEbEEZZNS1_14partition_implILS8_3ELb0ES6_jNS0_17counting_iteratorIjlEEPS9_SE_NS0_5tupleIJPjSE_EEENSF_IJSE_SE_EEES9_SG_JZNS1_25segmented_radix_sort_implINS0_14default_configELb1EPKdPdPKlPlN2at6native12_GLOBAL__N_18offset_tEEE10hipError_tPvRmT1_PNSt15iterator_traitsISY_E10value_typeET2_T3_PNSZ_IS14_E10value_typeET4_jRbjT5_S1A_jjP12ihipStream_tbEUljE_EEESV_SW_SX_S14_S18_S1A_T6_T7_T9_mT8_S1C_bDpT10_ENKUlT_T0_E_clISt17integral_constantIbLb1EES1P_EEDaS1K_S1L_EUlS1K_E_NS1_11comp_targetILNS1_3genE5ELNS1_11target_archE942ELNS1_3gpuE9ELNS1_3repE0EEENS1_30default_config_static_selectorELNS0_4arch9wavefront6targetE0EEEvSY_: ; @_ZN7rocprim17ROCPRIM_400000_NS6detail17trampoline_kernelINS0_13select_configILj256ELj13ELNS0_17block_load_methodE3ELS4_3ELS4_3ELNS0_20block_scan_algorithmE0ELj4294967295EEENS1_25partition_config_selectorILNS1_17partition_subalgoE3EjNS0_10empty_typeEbEEZZNS1_14partition_implILS8_3ELb0ES6_jNS0_17counting_iteratorIjlEEPS9_SE_NS0_5tupleIJPjSE_EEENSF_IJSE_SE_EEES9_SG_JZNS1_25segmented_radix_sort_implINS0_14default_configELb1EPKdPdPKlPlN2at6native12_GLOBAL__N_18offset_tEEE10hipError_tPvRmT1_PNSt15iterator_traitsISY_E10value_typeET2_T3_PNSZ_IS14_E10value_typeET4_jRbjT5_S1A_jjP12ihipStream_tbEUljE_EEESV_SW_SX_S14_S18_S1A_T6_T7_T9_mT8_S1C_bDpT10_ENKUlT_T0_E_clISt17integral_constantIbLb1EES1P_EEDaS1K_S1L_EUlS1K_E_NS1_11comp_targetILNS1_3genE5ELNS1_11target_archE942ELNS1_3gpuE9ELNS1_3repE0EEENS1_30default_config_static_selectorELNS0_4arch9wavefront6targetE0EEEvSY_
; %bb.0:
	.section	.rodata,"a",@progbits
	.p2align	6, 0x0
	.amdhsa_kernel _ZN7rocprim17ROCPRIM_400000_NS6detail17trampoline_kernelINS0_13select_configILj256ELj13ELNS0_17block_load_methodE3ELS4_3ELS4_3ELNS0_20block_scan_algorithmE0ELj4294967295EEENS1_25partition_config_selectorILNS1_17partition_subalgoE3EjNS0_10empty_typeEbEEZZNS1_14partition_implILS8_3ELb0ES6_jNS0_17counting_iteratorIjlEEPS9_SE_NS0_5tupleIJPjSE_EEENSF_IJSE_SE_EEES9_SG_JZNS1_25segmented_radix_sort_implINS0_14default_configELb1EPKdPdPKlPlN2at6native12_GLOBAL__N_18offset_tEEE10hipError_tPvRmT1_PNSt15iterator_traitsISY_E10value_typeET2_T3_PNSZ_IS14_E10value_typeET4_jRbjT5_S1A_jjP12ihipStream_tbEUljE_EEESV_SW_SX_S14_S18_S1A_T6_T7_T9_mT8_S1C_bDpT10_ENKUlT_T0_E_clISt17integral_constantIbLb1EES1P_EEDaS1K_S1L_EUlS1K_E_NS1_11comp_targetILNS1_3genE5ELNS1_11target_archE942ELNS1_3gpuE9ELNS1_3repE0EEENS1_30default_config_static_selectorELNS0_4arch9wavefront6targetE0EEEvSY_
		.amdhsa_group_segment_fixed_size 0
		.amdhsa_private_segment_fixed_size 0
		.amdhsa_kernarg_size 152
		.amdhsa_user_sgpr_count 6
		.amdhsa_user_sgpr_private_segment_buffer 1
		.amdhsa_user_sgpr_dispatch_ptr 0
		.amdhsa_user_sgpr_queue_ptr 0
		.amdhsa_user_sgpr_kernarg_segment_ptr 1
		.amdhsa_user_sgpr_dispatch_id 0
		.amdhsa_user_sgpr_flat_scratch_init 0
		.amdhsa_user_sgpr_private_segment_size 0
		.amdhsa_wavefront_size32 1
		.amdhsa_uses_dynamic_stack 0
		.amdhsa_system_sgpr_private_segment_wavefront_offset 0
		.amdhsa_system_sgpr_workgroup_id_x 1
		.amdhsa_system_sgpr_workgroup_id_y 0
		.amdhsa_system_sgpr_workgroup_id_z 0
		.amdhsa_system_sgpr_workgroup_info 0
		.amdhsa_system_vgpr_workitem_id 0
		.amdhsa_next_free_vgpr 1
		.amdhsa_next_free_sgpr 1
		.amdhsa_reserve_vcc 0
		.amdhsa_reserve_flat_scratch 0
		.amdhsa_float_round_mode_32 0
		.amdhsa_float_round_mode_16_64 0
		.amdhsa_float_denorm_mode_32 3
		.amdhsa_float_denorm_mode_16_64 3
		.amdhsa_dx10_clamp 1
		.amdhsa_ieee_mode 1
		.amdhsa_fp16_overflow 0
		.amdhsa_workgroup_processor_mode 1
		.amdhsa_memory_ordered 1
		.amdhsa_forward_progress 1
		.amdhsa_shared_vgpr_count 0
		.amdhsa_exception_fp_ieee_invalid_op 0
		.amdhsa_exception_fp_denorm_src 0
		.amdhsa_exception_fp_ieee_div_zero 0
		.amdhsa_exception_fp_ieee_overflow 0
		.amdhsa_exception_fp_ieee_underflow 0
		.amdhsa_exception_fp_ieee_inexact 0
		.amdhsa_exception_int_div_zero 0
	.end_amdhsa_kernel
	.section	.text._ZN7rocprim17ROCPRIM_400000_NS6detail17trampoline_kernelINS0_13select_configILj256ELj13ELNS0_17block_load_methodE3ELS4_3ELS4_3ELNS0_20block_scan_algorithmE0ELj4294967295EEENS1_25partition_config_selectorILNS1_17partition_subalgoE3EjNS0_10empty_typeEbEEZZNS1_14partition_implILS8_3ELb0ES6_jNS0_17counting_iteratorIjlEEPS9_SE_NS0_5tupleIJPjSE_EEENSF_IJSE_SE_EEES9_SG_JZNS1_25segmented_radix_sort_implINS0_14default_configELb1EPKdPdPKlPlN2at6native12_GLOBAL__N_18offset_tEEE10hipError_tPvRmT1_PNSt15iterator_traitsISY_E10value_typeET2_T3_PNSZ_IS14_E10value_typeET4_jRbjT5_S1A_jjP12ihipStream_tbEUljE_EEESV_SW_SX_S14_S18_S1A_T6_T7_T9_mT8_S1C_bDpT10_ENKUlT_T0_E_clISt17integral_constantIbLb1EES1P_EEDaS1K_S1L_EUlS1K_E_NS1_11comp_targetILNS1_3genE5ELNS1_11target_archE942ELNS1_3gpuE9ELNS1_3repE0EEENS1_30default_config_static_selectorELNS0_4arch9wavefront6targetE0EEEvSY_,"axG",@progbits,_ZN7rocprim17ROCPRIM_400000_NS6detail17trampoline_kernelINS0_13select_configILj256ELj13ELNS0_17block_load_methodE3ELS4_3ELS4_3ELNS0_20block_scan_algorithmE0ELj4294967295EEENS1_25partition_config_selectorILNS1_17partition_subalgoE3EjNS0_10empty_typeEbEEZZNS1_14partition_implILS8_3ELb0ES6_jNS0_17counting_iteratorIjlEEPS9_SE_NS0_5tupleIJPjSE_EEENSF_IJSE_SE_EEES9_SG_JZNS1_25segmented_radix_sort_implINS0_14default_configELb1EPKdPdPKlPlN2at6native12_GLOBAL__N_18offset_tEEE10hipError_tPvRmT1_PNSt15iterator_traitsISY_E10value_typeET2_T3_PNSZ_IS14_E10value_typeET4_jRbjT5_S1A_jjP12ihipStream_tbEUljE_EEESV_SW_SX_S14_S18_S1A_T6_T7_T9_mT8_S1C_bDpT10_ENKUlT_T0_E_clISt17integral_constantIbLb1EES1P_EEDaS1K_S1L_EUlS1K_E_NS1_11comp_targetILNS1_3genE5ELNS1_11target_archE942ELNS1_3gpuE9ELNS1_3repE0EEENS1_30default_config_static_selectorELNS0_4arch9wavefront6targetE0EEEvSY_,comdat
.Lfunc_end1087:
	.size	_ZN7rocprim17ROCPRIM_400000_NS6detail17trampoline_kernelINS0_13select_configILj256ELj13ELNS0_17block_load_methodE3ELS4_3ELS4_3ELNS0_20block_scan_algorithmE0ELj4294967295EEENS1_25partition_config_selectorILNS1_17partition_subalgoE3EjNS0_10empty_typeEbEEZZNS1_14partition_implILS8_3ELb0ES6_jNS0_17counting_iteratorIjlEEPS9_SE_NS0_5tupleIJPjSE_EEENSF_IJSE_SE_EEES9_SG_JZNS1_25segmented_radix_sort_implINS0_14default_configELb1EPKdPdPKlPlN2at6native12_GLOBAL__N_18offset_tEEE10hipError_tPvRmT1_PNSt15iterator_traitsISY_E10value_typeET2_T3_PNSZ_IS14_E10value_typeET4_jRbjT5_S1A_jjP12ihipStream_tbEUljE_EEESV_SW_SX_S14_S18_S1A_T6_T7_T9_mT8_S1C_bDpT10_ENKUlT_T0_E_clISt17integral_constantIbLb1EES1P_EEDaS1K_S1L_EUlS1K_E_NS1_11comp_targetILNS1_3genE5ELNS1_11target_archE942ELNS1_3gpuE9ELNS1_3repE0EEENS1_30default_config_static_selectorELNS0_4arch9wavefront6targetE0EEEvSY_, .Lfunc_end1087-_ZN7rocprim17ROCPRIM_400000_NS6detail17trampoline_kernelINS0_13select_configILj256ELj13ELNS0_17block_load_methodE3ELS4_3ELS4_3ELNS0_20block_scan_algorithmE0ELj4294967295EEENS1_25partition_config_selectorILNS1_17partition_subalgoE3EjNS0_10empty_typeEbEEZZNS1_14partition_implILS8_3ELb0ES6_jNS0_17counting_iteratorIjlEEPS9_SE_NS0_5tupleIJPjSE_EEENSF_IJSE_SE_EEES9_SG_JZNS1_25segmented_radix_sort_implINS0_14default_configELb1EPKdPdPKlPlN2at6native12_GLOBAL__N_18offset_tEEE10hipError_tPvRmT1_PNSt15iterator_traitsISY_E10value_typeET2_T3_PNSZ_IS14_E10value_typeET4_jRbjT5_S1A_jjP12ihipStream_tbEUljE_EEESV_SW_SX_S14_S18_S1A_T6_T7_T9_mT8_S1C_bDpT10_ENKUlT_T0_E_clISt17integral_constantIbLb1EES1P_EEDaS1K_S1L_EUlS1K_E_NS1_11comp_targetILNS1_3genE5ELNS1_11target_archE942ELNS1_3gpuE9ELNS1_3repE0EEENS1_30default_config_static_selectorELNS0_4arch9wavefront6targetE0EEEvSY_
                                        ; -- End function
	.set _ZN7rocprim17ROCPRIM_400000_NS6detail17trampoline_kernelINS0_13select_configILj256ELj13ELNS0_17block_load_methodE3ELS4_3ELS4_3ELNS0_20block_scan_algorithmE0ELj4294967295EEENS1_25partition_config_selectorILNS1_17partition_subalgoE3EjNS0_10empty_typeEbEEZZNS1_14partition_implILS8_3ELb0ES6_jNS0_17counting_iteratorIjlEEPS9_SE_NS0_5tupleIJPjSE_EEENSF_IJSE_SE_EEES9_SG_JZNS1_25segmented_radix_sort_implINS0_14default_configELb1EPKdPdPKlPlN2at6native12_GLOBAL__N_18offset_tEEE10hipError_tPvRmT1_PNSt15iterator_traitsISY_E10value_typeET2_T3_PNSZ_IS14_E10value_typeET4_jRbjT5_S1A_jjP12ihipStream_tbEUljE_EEESV_SW_SX_S14_S18_S1A_T6_T7_T9_mT8_S1C_bDpT10_ENKUlT_T0_E_clISt17integral_constantIbLb1EES1P_EEDaS1K_S1L_EUlS1K_E_NS1_11comp_targetILNS1_3genE5ELNS1_11target_archE942ELNS1_3gpuE9ELNS1_3repE0EEENS1_30default_config_static_selectorELNS0_4arch9wavefront6targetE0EEEvSY_.num_vgpr, 0
	.set _ZN7rocprim17ROCPRIM_400000_NS6detail17trampoline_kernelINS0_13select_configILj256ELj13ELNS0_17block_load_methodE3ELS4_3ELS4_3ELNS0_20block_scan_algorithmE0ELj4294967295EEENS1_25partition_config_selectorILNS1_17partition_subalgoE3EjNS0_10empty_typeEbEEZZNS1_14partition_implILS8_3ELb0ES6_jNS0_17counting_iteratorIjlEEPS9_SE_NS0_5tupleIJPjSE_EEENSF_IJSE_SE_EEES9_SG_JZNS1_25segmented_radix_sort_implINS0_14default_configELb1EPKdPdPKlPlN2at6native12_GLOBAL__N_18offset_tEEE10hipError_tPvRmT1_PNSt15iterator_traitsISY_E10value_typeET2_T3_PNSZ_IS14_E10value_typeET4_jRbjT5_S1A_jjP12ihipStream_tbEUljE_EEESV_SW_SX_S14_S18_S1A_T6_T7_T9_mT8_S1C_bDpT10_ENKUlT_T0_E_clISt17integral_constantIbLb1EES1P_EEDaS1K_S1L_EUlS1K_E_NS1_11comp_targetILNS1_3genE5ELNS1_11target_archE942ELNS1_3gpuE9ELNS1_3repE0EEENS1_30default_config_static_selectorELNS0_4arch9wavefront6targetE0EEEvSY_.num_agpr, 0
	.set _ZN7rocprim17ROCPRIM_400000_NS6detail17trampoline_kernelINS0_13select_configILj256ELj13ELNS0_17block_load_methodE3ELS4_3ELS4_3ELNS0_20block_scan_algorithmE0ELj4294967295EEENS1_25partition_config_selectorILNS1_17partition_subalgoE3EjNS0_10empty_typeEbEEZZNS1_14partition_implILS8_3ELb0ES6_jNS0_17counting_iteratorIjlEEPS9_SE_NS0_5tupleIJPjSE_EEENSF_IJSE_SE_EEES9_SG_JZNS1_25segmented_radix_sort_implINS0_14default_configELb1EPKdPdPKlPlN2at6native12_GLOBAL__N_18offset_tEEE10hipError_tPvRmT1_PNSt15iterator_traitsISY_E10value_typeET2_T3_PNSZ_IS14_E10value_typeET4_jRbjT5_S1A_jjP12ihipStream_tbEUljE_EEESV_SW_SX_S14_S18_S1A_T6_T7_T9_mT8_S1C_bDpT10_ENKUlT_T0_E_clISt17integral_constantIbLb1EES1P_EEDaS1K_S1L_EUlS1K_E_NS1_11comp_targetILNS1_3genE5ELNS1_11target_archE942ELNS1_3gpuE9ELNS1_3repE0EEENS1_30default_config_static_selectorELNS0_4arch9wavefront6targetE0EEEvSY_.numbered_sgpr, 0
	.set _ZN7rocprim17ROCPRIM_400000_NS6detail17trampoline_kernelINS0_13select_configILj256ELj13ELNS0_17block_load_methodE3ELS4_3ELS4_3ELNS0_20block_scan_algorithmE0ELj4294967295EEENS1_25partition_config_selectorILNS1_17partition_subalgoE3EjNS0_10empty_typeEbEEZZNS1_14partition_implILS8_3ELb0ES6_jNS0_17counting_iteratorIjlEEPS9_SE_NS0_5tupleIJPjSE_EEENSF_IJSE_SE_EEES9_SG_JZNS1_25segmented_radix_sort_implINS0_14default_configELb1EPKdPdPKlPlN2at6native12_GLOBAL__N_18offset_tEEE10hipError_tPvRmT1_PNSt15iterator_traitsISY_E10value_typeET2_T3_PNSZ_IS14_E10value_typeET4_jRbjT5_S1A_jjP12ihipStream_tbEUljE_EEESV_SW_SX_S14_S18_S1A_T6_T7_T9_mT8_S1C_bDpT10_ENKUlT_T0_E_clISt17integral_constantIbLb1EES1P_EEDaS1K_S1L_EUlS1K_E_NS1_11comp_targetILNS1_3genE5ELNS1_11target_archE942ELNS1_3gpuE9ELNS1_3repE0EEENS1_30default_config_static_selectorELNS0_4arch9wavefront6targetE0EEEvSY_.num_named_barrier, 0
	.set _ZN7rocprim17ROCPRIM_400000_NS6detail17trampoline_kernelINS0_13select_configILj256ELj13ELNS0_17block_load_methodE3ELS4_3ELS4_3ELNS0_20block_scan_algorithmE0ELj4294967295EEENS1_25partition_config_selectorILNS1_17partition_subalgoE3EjNS0_10empty_typeEbEEZZNS1_14partition_implILS8_3ELb0ES6_jNS0_17counting_iteratorIjlEEPS9_SE_NS0_5tupleIJPjSE_EEENSF_IJSE_SE_EEES9_SG_JZNS1_25segmented_radix_sort_implINS0_14default_configELb1EPKdPdPKlPlN2at6native12_GLOBAL__N_18offset_tEEE10hipError_tPvRmT1_PNSt15iterator_traitsISY_E10value_typeET2_T3_PNSZ_IS14_E10value_typeET4_jRbjT5_S1A_jjP12ihipStream_tbEUljE_EEESV_SW_SX_S14_S18_S1A_T6_T7_T9_mT8_S1C_bDpT10_ENKUlT_T0_E_clISt17integral_constantIbLb1EES1P_EEDaS1K_S1L_EUlS1K_E_NS1_11comp_targetILNS1_3genE5ELNS1_11target_archE942ELNS1_3gpuE9ELNS1_3repE0EEENS1_30default_config_static_selectorELNS0_4arch9wavefront6targetE0EEEvSY_.private_seg_size, 0
	.set _ZN7rocprim17ROCPRIM_400000_NS6detail17trampoline_kernelINS0_13select_configILj256ELj13ELNS0_17block_load_methodE3ELS4_3ELS4_3ELNS0_20block_scan_algorithmE0ELj4294967295EEENS1_25partition_config_selectorILNS1_17partition_subalgoE3EjNS0_10empty_typeEbEEZZNS1_14partition_implILS8_3ELb0ES6_jNS0_17counting_iteratorIjlEEPS9_SE_NS0_5tupleIJPjSE_EEENSF_IJSE_SE_EEES9_SG_JZNS1_25segmented_radix_sort_implINS0_14default_configELb1EPKdPdPKlPlN2at6native12_GLOBAL__N_18offset_tEEE10hipError_tPvRmT1_PNSt15iterator_traitsISY_E10value_typeET2_T3_PNSZ_IS14_E10value_typeET4_jRbjT5_S1A_jjP12ihipStream_tbEUljE_EEESV_SW_SX_S14_S18_S1A_T6_T7_T9_mT8_S1C_bDpT10_ENKUlT_T0_E_clISt17integral_constantIbLb1EES1P_EEDaS1K_S1L_EUlS1K_E_NS1_11comp_targetILNS1_3genE5ELNS1_11target_archE942ELNS1_3gpuE9ELNS1_3repE0EEENS1_30default_config_static_selectorELNS0_4arch9wavefront6targetE0EEEvSY_.uses_vcc, 0
	.set _ZN7rocprim17ROCPRIM_400000_NS6detail17trampoline_kernelINS0_13select_configILj256ELj13ELNS0_17block_load_methodE3ELS4_3ELS4_3ELNS0_20block_scan_algorithmE0ELj4294967295EEENS1_25partition_config_selectorILNS1_17partition_subalgoE3EjNS0_10empty_typeEbEEZZNS1_14partition_implILS8_3ELb0ES6_jNS0_17counting_iteratorIjlEEPS9_SE_NS0_5tupleIJPjSE_EEENSF_IJSE_SE_EEES9_SG_JZNS1_25segmented_radix_sort_implINS0_14default_configELb1EPKdPdPKlPlN2at6native12_GLOBAL__N_18offset_tEEE10hipError_tPvRmT1_PNSt15iterator_traitsISY_E10value_typeET2_T3_PNSZ_IS14_E10value_typeET4_jRbjT5_S1A_jjP12ihipStream_tbEUljE_EEESV_SW_SX_S14_S18_S1A_T6_T7_T9_mT8_S1C_bDpT10_ENKUlT_T0_E_clISt17integral_constantIbLb1EES1P_EEDaS1K_S1L_EUlS1K_E_NS1_11comp_targetILNS1_3genE5ELNS1_11target_archE942ELNS1_3gpuE9ELNS1_3repE0EEENS1_30default_config_static_selectorELNS0_4arch9wavefront6targetE0EEEvSY_.uses_flat_scratch, 0
	.set _ZN7rocprim17ROCPRIM_400000_NS6detail17trampoline_kernelINS0_13select_configILj256ELj13ELNS0_17block_load_methodE3ELS4_3ELS4_3ELNS0_20block_scan_algorithmE0ELj4294967295EEENS1_25partition_config_selectorILNS1_17partition_subalgoE3EjNS0_10empty_typeEbEEZZNS1_14partition_implILS8_3ELb0ES6_jNS0_17counting_iteratorIjlEEPS9_SE_NS0_5tupleIJPjSE_EEENSF_IJSE_SE_EEES9_SG_JZNS1_25segmented_radix_sort_implINS0_14default_configELb1EPKdPdPKlPlN2at6native12_GLOBAL__N_18offset_tEEE10hipError_tPvRmT1_PNSt15iterator_traitsISY_E10value_typeET2_T3_PNSZ_IS14_E10value_typeET4_jRbjT5_S1A_jjP12ihipStream_tbEUljE_EEESV_SW_SX_S14_S18_S1A_T6_T7_T9_mT8_S1C_bDpT10_ENKUlT_T0_E_clISt17integral_constantIbLb1EES1P_EEDaS1K_S1L_EUlS1K_E_NS1_11comp_targetILNS1_3genE5ELNS1_11target_archE942ELNS1_3gpuE9ELNS1_3repE0EEENS1_30default_config_static_selectorELNS0_4arch9wavefront6targetE0EEEvSY_.has_dyn_sized_stack, 0
	.set _ZN7rocprim17ROCPRIM_400000_NS6detail17trampoline_kernelINS0_13select_configILj256ELj13ELNS0_17block_load_methodE3ELS4_3ELS4_3ELNS0_20block_scan_algorithmE0ELj4294967295EEENS1_25partition_config_selectorILNS1_17partition_subalgoE3EjNS0_10empty_typeEbEEZZNS1_14partition_implILS8_3ELb0ES6_jNS0_17counting_iteratorIjlEEPS9_SE_NS0_5tupleIJPjSE_EEENSF_IJSE_SE_EEES9_SG_JZNS1_25segmented_radix_sort_implINS0_14default_configELb1EPKdPdPKlPlN2at6native12_GLOBAL__N_18offset_tEEE10hipError_tPvRmT1_PNSt15iterator_traitsISY_E10value_typeET2_T3_PNSZ_IS14_E10value_typeET4_jRbjT5_S1A_jjP12ihipStream_tbEUljE_EEESV_SW_SX_S14_S18_S1A_T6_T7_T9_mT8_S1C_bDpT10_ENKUlT_T0_E_clISt17integral_constantIbLb1EES1P_EEDaS1K_S1L_EUlS1K_E_NS1_11comp_targetILNS1_3genE5ELNS1_11target_archE942ELNS1_3gpuE9ELNS1_3repE0EEENS1_30default_config_static_selectorELNS0_4arch9wavefront6targetE0EEEvSY_.has_recursion, 0
	.set _ZN7rocprim17ROCPRIM_400000_NS6detail17trampoline_kernelINS0_13select_configILj256ELj13ELNS0_17block_load_methodE3ELS4_3ELS4_3ELNS0_20block_scan_algorithmE0ELj4294967295EEENS1_25partition_config_selectorILNS1_17partition_subalgoE3EjNS0_10empty_typeEbEEZZNS1_14partition_implILS8_3ELb0ES6_jNS0_17counting_iteratorIjlEEPS9_SE_NS0_5tupleIJPjSE_EEENSF_IJSE_SE_EEES9_SG_JZNS1_25segmented_radix_sort_implINS0_14default_configELb1EPKdPdPKlPlN2at6native12_GLOBAL__N_18offset_tEEE10hipError_tPvRmT1_PNSt15iterator_traitsISY_E10value_typeET2_T3_PNSZ_IS14_E10value_typeET4_jRbjT5_S1A_jjP12ihipStream_tbEUljE_EEESV_SW_SX_S14_S18_S1A_T6_T7_T9_mT8_S1C_bDpT10_ENKUlT_T0_E_clISt17integral_constantIbLb1EES1P_EEDaS1K_S1L_EUlS1K_E_NS1_11comp_targetILNS1_3genE5ELNS1_11target_archE942ELNS1_3gpuE9ELNS1_3repE0EEENS1_30default_config_static_selectorELNS0_4arch9wavefront6targetE0EEEvSY_.has_indirect_call, 0
	.section	.AMDGPU.csdata,"",@progbits
; Kernel info:
; codeLenInByte = 0
; TotalNumSgprs: 0
; NumVgprs: 0
; ScratchSize: 0
; MemoryBound: 0
; FloatMode: 240
; IeeeMode: 1
; LDSByteSize: 0 bytes/workgroup (compile time only)
; SGPRBlocks: 0
; VGPRBlocks: 0
; NumSGPRsForWavesPerEU: 1
; NumVGPRsForWavesPerEU: 1
; Occupancy: 16
; WaveLimiterHint : 0
; COMPUTE_PGM_RSRC2:SCRATCH_EN: 0
; COMPUTE_PGM_RSRC2:USER_SGPR: 6
; COMPUTE_PGM_RSRC2:TRAP_HANDLER: 0
; COMPUTE_PGM_RSRC2:TGID_X_EN: 1
; COMPUTE_PGM_RSRC2:TGID_Y_EN: 0
; COMPUTE_PGM_RSRC2:TGID_Z_EN: 0
; COMPUTE_PGM_RSRC2:TIDIG_COMP_CNT: 0
	.section	.text._ZN7rocprim17ROCPRIM_400000_NS6detail17trampoline_kernelINS0_13select_configILj256ELj13ELNS0_17block_load_methodE3ELS4_3ELS4_3ELNS0_20block_scan_algorithmE0ELj4294967295EEENS1_25partition_config_selectorILNS1_17partition_subalgoE3EjNS0_10empty_typeEbEEZZNS1_14partition_implILS8_3ELb0ES6_jNS0_17counting_iteratorIjlEEPS9_SE_NS0_5tupleIJPjSE_EEENSF_IJSE_SE_EEES9_SG_JZNS1_25segmented_radix_sort_implINS0_14default_configELb1EPKdPdPKlPlN2at6native12_GLOBAL__N_18offset_tEEE10hipError_tPvRmT1_PNSt15iterator_traitsISY_E10value_typeET2_T3_PNSZ_IS14_E10value_typeET4_jRbjT5_S1A_jjP12ihipStream_tbEUljE_EEESV_SW_SX_S14_S18_S1A_T6_T7_T9_mT8_S1C_bDpT10_ENKUlT_T0_E_clISt17integral_constantIbLb1EES1P_EEDaS1K_S1L_EUlS1K_E_NS1_11comp_targetILNS1_3genE4ELNS1_11target_archE910ELNS1_3gpuE8ELNS1_3repE0EEENS1_30default_config_static_selectorELNS0_4arch9wavefront6targetE0EEEvSY_,"axG",@progbits,_ZN7rocprim17ROCPRIM_400000_NS6detail17trampoline_kernelINS0_13select_configILj256ELj13ELNS0_17block_load_methodE3ELS4_3ELS4_3ELNS0_20block_scan_algorithmE0ELj4294967295EEENS1_25partition_config_selectorILNS1_17partition_subalgoE3EjNS0_10empty_typeEbEEZZNS1_14partition_implILS8_3ELb0ES6_jNS0_17counting_iteratorIjlEEPS9_SE_NS0_5tupleIJPjSE_EEENSF_IJSE_SE_EEES9_SG_JZNS1_25segmented_radix_sort_implINS0_14default_configELb1EPKdPdPKlPlN2at6native12_GLOBAL__N_18offset_tEEE10hipError_tPvRmT1_PNSt15iterator_traitsISY_E10value_typeET2_T3_PNSZ_IS14_E10value_typeET4_jRbjT5_S1A_jjP12ihipStream_tbEUljE_EEESV_SW_SX_S14_S18_S1A_T6_T7_T9_mT8_S1C_bDpT10_ENKUlT_T0_E_clISt17integral_constantIbLb1EES1P_EEDaS1K_S1L_EUlS1K_E_NS1_11comp_targetILNS1_3genE4ELNS1_11target_archE910ELNS1_3gpuE8ELNS1_3repE0EEENS1_30default_config_static_selectorELNS0_4arch9wavefront6targetE0EEEvSY_,comdat
	.globl	_ZN7rocprim17ROCPRIM_400000_NS6detail17trampoline_kernelINS0_13select_configILj256ELj13ELNS0_17block_load_methodE3ELS4_3ELS4_3ELNS0_20block_scan_algorithmE0ELj4294967295EEENS1_25partition_config_selectorILNS1_17partition_subalgoE3EjNS0_10empty_typeEbEEZZNS1_14partition_implILS8_3ELb0ES6_jNS0_17counting_iteratorIjlEEPS9_SE_NS0_5tupleIJPjSE_EEENSF_IJSE_SE_EEES9_SG_JZNS1_25segmented_radix_sort_implINS0_14default_configELb1EPKdPdPKlPlN2at6native12_GLOBAL__N_18offset_tEEE10hipError_tPvRmT1_PNSt15iterator_traitsISY_E10value_typeET2_T3_PNSZ_IS14_E10value_typeET4_jRbjT5_S1A_jjP12ihipStream_tbEUljE_EEESV_SW_SX_S14_S18_S1A_T6_T7_T9_mT8_S1C_bDpT10_ENKUlT_T0_E_clISt17integral_constantIbLb1EES1P_EEDaS1K_S1L_EUlS1K_E_NS1_11comp_targetILNS1_3genE4ELNS1_11target_archE910ELNS1_3gpuE8ELNS1_3repE0EEENS1_30default_config_static_selectorELNS0_4arch9wavefront6targetE0EEEvSY_ ; -- Begin function _ZN7rocprim17ROCPRIM_400000_NS6detail17trampoline_kernelINS0_13select_configILj256ELj13ELNS0_17block_load_methodE3ELS4_3ELS4_3ELNS0_20block_scan_algorithmE0ELj4294967295EEENS1_25partition_config_selectorILNS1_17partition_subalgoE3EjNS0_10empty_typeEbEEZZNS1_14partition_implILS8_3ELb0ES6_jNS0_17counting_iteratorIjlEEPS9_SE_NS0_5tupleIJPjSE_EEENSF_IJSE_SE_EEES9_SG_JZNS1_25segmented_radix_sort_implINS0_14default_configELb1EPKdPdPKlPlN2at6native12_GLOBAL__N_18offset_tEEE10hipError_tPvRmT1_PNSt15iterator_traitsISY_E10value_typeET2_T3_PNSZ_IS14_E10value_typeET4_jRbjT5_S1A_jjP12ihipStream_tbEUljE_EEESV_SW_SX_S14_S18_S1A_T6_T7_T9_mT8_S1C_bDpT10_ENKUlT_T0_E_clISt17integral_constantIbLb1EES1P_EEDaS1K_S1L_EUlS1K_E_NS1_11comp_targetILNS1_3genE4ELNS1_11target_archE910ELNS1_3gpuE8ELNS1_3repE0EEENS1_30default_config_static_selectorELNS0_4arch9wavefront6targetE0EEEvSY_
	.p2align	8
	.type	_ZN7rocprim17ROCPRIM_400000_NS6detail17trampoline_kernelINS0_13select_configILj256ELj13ELNS0_17block_load_methodE3ELS4_3ELS4_3ELNS0_20block_scan_algorithmE0ELj4294967295EEENS1_25partition_config_selectorILNS1_17partition_subalgoE3EjNS0_10empty_typeEbEEZZNS1_14partition_implILS8_3ELb0ES6_jNS0_17counting_iteratorIjlEEPS9_SE_NS0_5tupleIJPjSE_EEENSF_IJSE_SE_EEES9_SG_JZNS1_25segmented_radix_sort_implINS0_14default_configELb1EPKdPdPKlPlN2at6native12_GLOBAL__N_18offset_tEEE10hipError_tPvRmT1_PNSt15iterator_traitsISY_E10value_typeET2_T3_PNSZ_IS14_E10value_typeET4_jRbjT5_S1A_jjP12ihipStream_tbEUljE_EEESV_SW_SX_S14_S18_S1A_T6_T7_T9_mT8_S1C_bDpT10_ENKUlT_T0_E_clISt17integral_constantIbLb1EES1P_EEDaS1K_S1L_EUlS1K_E_NS1_11comp_targetILNS1_3genE4ELNS1_11target_archE910ELNS1_3gpuE8ELNS1_3repE0EEENS1_30default_config_static_selectorELNS0_4arch9wavefront6targetE0EEEvSY_,@function
_ZN7rocprim17ROCPRIM_400000_NS6detail17trampoline_kernelINS0_13select_configILj256ELj13ELNS0_17block_load_methodE3ELS4_3ELS4_3ELNS0_20block_scan_algorithmE0ELj4294967295EEENS1_25partition_config_selectorILNS1_17partition_subalgoE3EjNS0_10empty_typeEbEEZZNS1_14partition_implILS8_3ELb0ES6_jNS0_17counting_iteratorIjlEEPS9_SE_NS0_5tupleIJPjSE_EEENSF_IJSE_SE_EEES9_SG_JZNS1_25segmented_radix_sort_implINS0_14default_configELb1EPKdPdPKlPlN2at6native12_GLOBAL__N_18offset_tEEE10hipError_tPvRmT1_PNSt15iterator_traitsISY_E10value_typeET2_T3_PNSZ_IS14_E10value_typeET4_jRbjT5_S1A_jjP12ihipStream_tbEUljE_EEESV_SW_SX_S14_S18_S1A_T6_T7_T9_mT8_S1C_bDpT10_ENKUlT_T0_E_clISt17integral_constantIbLb1EES1P_EEDaS1K_S1L_EUlS1K_E_NS1_11comp_targetILNS1_3genE4ELNS1_11target_archE910ELNS1_3gpuE8ELNS1_3repE0EEENS1_30default_config_static_selectorELNS0_4arch9wavefront6targetE0EEEvSY_: ; @_ZN7rocprim17ROCPRIM_400000_NS6detail17trampoline_kernelINS0_13select_configILj256ELj13ELNS0_17block_load_methodE3ELS4_3ELS4_3ELNS0_20block_scan_algorithmE0ELj4294967295EEENS1_25partition_config_selectorILNS1_17partition_subalgoE3EjNS0_10empty_typeEbEEZZNS1_14partition_implILS8_3ELb0ES6_jNS0_17counting_iteratorIjlEEPS9_SE_NS0_5tupleIJPjSE_EEENSF_IJSE_SE_EEES9_SG_JZNS1_25segmented_radix_sort_implINS0_14default_configELb1EPKdPdPKlPlN2at6native12_GLOBAL__N_18offset_tEEE10hipError_tPvRmT1_PNSt15iterator_traitsISY_E10value_typeET2_T3_PNSZ_IS14_E10value_typeET4_jRbjT5_S1A_jjP12ihipStream_tbEUljE_EEESV_SW_SX_S14_S18_S1A_T6_T7_T9_mT8_S1C_bDpT10_ENKUlT_T0_E_clISt17integral_constantIbLb1EES1P_EEDaS1K_S1L_EUlS1K_E_NS1_11comp_targetILNS1_3genE4ELNS1_11target_archE910ELNS1_3gpuE8ELNS1_3repE0EEENS1_30default_config_static_selectorELNS0_4arch9wavefront6targetE0EEEvSY_
; %bb.0:
	.section	.rodata,"a",@progbits
	.p2align	6, 0x0
	.amdhsa_kernel _ZN7rocprim17ROCPRIM_400000_NS6detail17trampoline_kernelINS0_13select_configILj256ELj13ELNS0_17block_load_methodE3ELS4_3ELS4_3ELNS0_20block_scan_algorithmE0ELj4294967295EEENS1_25partition_config_selectorILNS1_17partition_subalgoE3EjNS0_10empty_typeEbEEZZNS1_14partition_implILS8_3ELb0ES6_jNS0_17counting_iteratorIjlEEPS9_SE_NS0_5tupleIJPjSE_EEENSF_IJSE_SE_EEES9_SG_JZNS1_25segmented_radix_sort_implINS0_14default_configELb1EPKdPdPKlPlN2at6native12_GLOBAL__N_18offset_tEEE10hipError_tPvRmT1_PNSt15iterator_traitsISY_E10value_typeET2_T3_PNSZ_IS14_E10value_typeET4_jRbjT5_S1A_jjP12ihipStream_tbEUljE_EEESV_SW_SX_S14_S18_S1A_T6_T7_T9_mT8_S1C_bDpT10_ENKUlT_T0_E_clISt17integral_constantIbLb1EES1P_EEDaS1K_S1L_EUlS1K_E_NS1_11comp_targetILNS1_3genE4ELNS1_11target_archE910ELNS1_3gpuE8ELNS1_3repE0EEENS1_30default_config_static_selectorELNS0_4arch9wavefront6targetE0EEEvSY_
		.amdhsa_group_segment_fixed_size 0
		.amdhsa_private_segment_fixed_size 0
		.amdhsa_kernarg_size 152
		.amdhsa_user_sgpr_count 6
		.amdhsa_user_sgpr_private_segment_buffer 1
		.amdhsa_user_sgpr_dispatch_ptr 0
		.amdhsa_user_sgpr_queue_ptr 0
		.amdhsa_user_sgpr_kernarg_segment_ptr 1
		.amdhsa_user_sgpr_dispatch_id 0
		.amdhsa_user_sgpr_flat_scratch_init 0
		.amdhsa_user_sgpr_private_segment_size 0
		.amdhsa_wavefront_size32 1
		.amdhsa_uses_dynamic_stack 0
		.amdhsa_system_sgpr_private_segment_wavefront_offset 0
		.amdhsa_system_sgpr_workgroup_id_x 1
		.amdhsa_system_sgpr_workgroup_id_y 0
		.amdhsa_system_sgpr_workgroup_id_z 0
		.amdhsa_system_sgpr_workgroup_info 0
		.amdhsa_system_vgpr_workitem_id 0
		.amdhsa_next_free_vgpr 1
		.amdhsa_next_free_sgpr 1
		.amdhsa_reserve_vcc 0
		.amdhsa_reserve_flat_scratch 0
		.amdhsa_float_round_mode_32 0
		.amdhsa_float_round_mode_16_64 0
		.amdhsa_float_denorm_mode_32 3
		.amdhsa_float_denorm_mode_16_64 3
		.amdhsa_dx10_clamp 1
		.amdhsa_ieee_mode 1
		.amdhsa_fp16_overflow 0
		.amdhsa_workgroup_processor_mode 1
		.amdhsa_memory_ordered 1
		.amdhsa_forward_progress 1
		.amdhsa_shared_vgpr_count 0
		.amdhsa_exception_fp_ieee_invalid_op 0
		.amdhsa_exception_fp_denorm_src 0
		.amdhsa_exception_fp_ieee_div_zero 0
		.amdhsa_exception_fp_ieee_overflow 0
		.amdhsa_exception_fp_ieee_underflow 0
		.amdhsa_exception_fp_ieee_inexact 0
		.amdhsa_exception_int_div_zero 0
	.end_amdhsa_kernel
	.section	.text._ZN7rocprim17ROCPRIM_400000_NS6detail17trampoline_kernelINS0_13select_configILj256ELj13ELNS0_17block_load_methodE3ELS4_3ELS4_3ELNS0_20block_scan_algorithmE0ELj4294967295EEENS1_25partition_config_selectorILNS1_17partition_subalgoE3EjNS0_10empty_typeEbEEZZNS1_14partition_implILS8_3ELb0ES6_jNS0_17counting_iteratorIjlEEPS9_SE_NS0_5tupleIJPjSE_EEENSF_IJSE_SE_EEES9_SG_JZNS1_25segmented_radix_sort_implINS0_14default_configELb1EPKdPdPKlPlN2at6native12_GLOBAL__N_18offset_tEEE10hipError_tPvRmT1_PNSt15iterator_traitsISY_E10value_typeET2_T3_PNSZ_IS14_E10value_typeET4_jRbjT5_S1A_jjP12ihipStream_tbEUljE_EEESV_SW_SX_S14_S18_S1A_T6_T7_T9_mT8_S1C_bDpT10_ENKUlT_T0_E_clISt17integral_constantIbLb1EES1P_EEDaS1K_S1L_EUlS1K_E_NS1_11comp_targetILNS1_3genE4ELNS1_11target_archE910ELNS1_3gpuE8ELNS1_3repE0EEENS1_30default_config_static_selectorELNS0_4arch9wavefront6targetE0EEEvSY_,"axG",@progbits,_ZN7rocprim17ROCPRIM_400000_NS6detail17trampoline_kernelINS0_13select_configILj256ELj13ELNS0_17block_load_methodE3ELS4_3ELS4_3ELNS0_20block_scan_algorithmE0ELj4294967295EEENS1_25partition_config_selectorILNS1_17partition_subalgoE3EjNS0_10empty_typeEbEEZZNS1_14partition_implILS8_3ELb0ES6_jNS0_17counting_iteratorIjlEEPS9_SE_NS0_5tupleIJPjSE_EEENSF_IJSE_SE_EEES9_SG_JZNS1_25segmented_radix_sort_implINS0_14default_configELb1EPKdPdPKlPlN2at6native12_GLOBAL__N_18offset_tEEE10hipError_tPvRmT1_PNSt15iterator_traitsISY_E10value_typeET2_T3_PNSZ_IS14_E10value_typeET4_jRbjT5_S1A_jjP12ihipStream_tbEUljE_EEESV_SW_SX_S14_S18_S1A_T6_T7_T9_mT8_S1C_bDpT10_ENKUlT_T0_E_clISt17integral_constantIbLb1EES1P_EEDaS1K_S1L_EUlS1K_E_NS1_11comp_targetILNS1_3genE4ELNS1_11target_archE910ELNS1_3gpuE8ELNS1_3repE0EEENS1_30default_config_static_selectorELNS0_4arch9wavefront6targetE0EEEvSY_,comdat
.Lfunc_end1088:
	.size	_ZN7rocprim17ROCPRIM_400000_NS6detail17trampoline_kernelINS0_13select_configILj256ELj13ELNS0_17block_load_methodE3ELS4_3ELS4_3ELNS0_20block_scan_algorithmE0ELj4294967295EEENS1_25partition_config_selectorILNS1_17partition_subalgoE3EjNS0_10empty_typeEbEEZZNS1_14partition_implILS8_3ELb0ES6_jNS0_17counting_iteratorIjlEEPS9_SE_NS0_5tupleIJPjSE_EEENSF_IJSE_SE_EEES9_SG_JZNS1_25segmented_radix_sort_implINS0_14default_configELb1EPKdPdPKlPlN2at6native12_GLOBAL__N_18offset_tEEE10hipError_tPvRmT1_PNSt15iterator_traitsISY_E10value_typeET2_T3_PNSZ_IS14_E10value_typeET4_jRbjT5_S1A_jjP12ihipStream_tbEUljE_EEESV_SW_SX_S14_S18_S1A_T6_T7_T9_mT8_S1C_bDpT10_ENKUlT_T0_E_clISt17integral_constantIbLb1EES1P_EEDaS1K_S1L_EUlS1K_E_NS1_11comp_targetILNS1_3genE4ELNS1_11target_archE910ELNS1_3gpuE8ELNS1_3repE0EEENS1_30default_config_static_selectorELNS0_4arch9wavefront6targetE0EEEvSY_, .Lfunc_end1088-_ZN7rocprim17ROCPRIM_400000_NS6detail17trampoline_kernelINS0_13select_configILj256ELj13ELNS0_17block_load_methodE3ELS4_3ELS4_3ELNS0_20block_scan_algorithmE0ELj4294967295EEENS1_25partition_config_selectorILNS1_17partition_subalgoE3EjNS0_10empty_typeEbEEZZNS1_14partition_implILS8_3ELb0ES6_jNS0_17counting_iteratorIjlEEPS9_SE_NS0_5tupleIJPjSE_EEENSF_IJSE_SE_EEES9_SG_JZNS1_25segmented_radix_sort_implINS0_14default_configELb1EPKdPdPKlPlN2at6native12_GLOBAL__N_18offset_tEEE10hipError_tPvRmT1_PNSt15iterator_traitsISY_E10value_typeET2_T3_PNSZ_IS14_E10value_typeET4_jRbjT5_S1A_jjP12ihipStream_tbEUljE_EEESV_SW_SX_S14_S18_S1A_T6_T7_T9_mT8_S1C_bDpT10_ENKUlT_T0_E_clISt17integral_constantIbLb1EES1P_EEDaS1K_S1L_EUlS1K_E_NS1_11comp_targetILNS1_3genE4ELNS1_11target_archE910ELNS1_3gpuE8ELNS1_3repE0EEENS1_30default_config_static_selectorELNS0_4arch9wavefront6targetE0EEEvSY_
                                        ; -- End function
	.set _ZN7rocprim17ROCPRIM_400000_NS6detail17trampoline_kernelINS0_13select_configILj256ELj13ELNS0_17block_load_methodE3ELS4_3ELS4_3ELNS0_20block_scan_algorithmE0ELj4294967295EEENS1_25partition_config_selectorILNS1_17partition_subalgoE3EjNS0_10empty_typeEbEEZZNS1_14partition_implILS8_3ELb0ES6_jNS0_17counting_iteratorIjlEEPS9_SE_NS0_5tupleIJPjSE_EEENSF_IJSE_SE_EEES9_SG_JZNS1_25segmented_radix_sort_implINS0_14default_configELb1EPKdPdPKlPlN2at6native12_GLOBAL__N_18offset_tEEE10hipError_tPvRmT1_PNSt15iterator_traitsISY_E10value_typeET2_T3_PNSZ_IS14_E10value_typeET4_jRbjT5_S1A_jjP12ihipStream_tbEUljE_EEESV_SW_SX_S14_S18_S1A_T6_T7_T9_mT8_S1C_bDpT10_ENKUlT_T0_E_clISt17integral_constantIbLb1EES1P_EEDaS1K_S1L_EUlS1K_E_NS1_11comp_targetILNS1_3genE4ELNS1_11target_archE910ELNS1_3gpuE8ELNS1_3repE0EEENS1_30default_config_static_selectorELNS0_4arch9wavefront6targetE0EEEvSY_.num_vgpr, 0
	.set _ZN7rocprim17ROCPRIM_400000_NS6detail17trampoline_kernelINS0_13select_configILj256ELj13ELNS0_17block_load_methodE3ELS4_3ELS4_3ELNS0_20block_scan_algorithmE0ELj4294967295EEENS1_25partition_config_selectorILNS1_17partition_subalgoE3EjNS0_10empty_typeEbEEZZNS1_14partition_implILS8_3ELb0ES6_jNS0_17counting_iteratorIjlEEPS9_SE_NS0_5tupleIJPjSE_EEENSF_IJSE_SE_EEES9_SG_JZNS1_25segmented_radix_sort_implINS0_14default_configELb1EPKdPdPKlPlN2at6native12_GLOBAL__N_18offset_tEEE10hipError_tPvRmT1_PNSt15iterator_traitsISY_E10value_typeET2_T3_PNSZ_IS14_E10value_typeET4_jRbjT5_S1A_jjP12ihipStream_tbEUljE_EEESV_SW_SX_S14_S18_S1A_T6_T7_T9_mT8_S1C_bDpT10_ENKUlT_T0_E_clISt17integral_constantIbLb1EES1P_EEDaS1K_S1L_EUlS1K_E_NS1_11comp_targetILNS1_3genE4ELNS1_11target_archE910ELNS1_3gpuE8ELNS1_3repE0EEENS1_30default_config_static_selectorELNS0_4arch9wavefront6targetE0EEEvSY_.num_agpr, 0
	.set _ZN7rocprim17ROCPRIM_400000_NS6detail17trampoline_kernelINS0_13select_configILj256ELj13ELNS0_17block_load_methodE3ELS4_3ELS4_3ELNS0_20block_scan_algorithmE0ELj4294967295EEENS1_25partition_config_selectorILNS1_17partition_subalgoE3EjNS0_10empty_typeEbEEZZNS1_14partition_implILS8_3ELb0ES6_jNS0_17counting_iteratorIjlEEPS9_SE_NS0_5tupleIJPjSE_EEENSF_IJSE_SE_EEES9_SG_JZNS1_25segmented_radix_sort_implINS0_14default_configELb1EPKdPdPKlPlN2at6native12_GLOBAL__N_18offset_tEEE10hipError_tPvRmT1_PNSt15iterator_traitsISY_E10value_typeET2_T3_PNSZ_IS14_E10value_typeET4_jRbjT5_S1A_jjP12ihipStream_tbEUljE_EEESV_SW_SX_S14_S18_S1A_T6_T7_T9_mT8_S1C_bDpT10_ENKUlT_T0_E_clISt17integral_constantIbLb1EES1P_EEDaS1K_S1L_EUlS1K_E_NS1_11comp_targetILNS1_3genE4ELNS1_11target_archE910ELNS1_3gpuE8ELNS1_3repE0EEENS1_30default_config_static_selectorELNS0_4arch9wavefront6targetE0EEEvSY_.numbered_sgpr, 0
	.set _ZN7rocprim17ROCPRIM_400000_NS6detail17trampoline_kernelINS0_13select_configILj256ELj13ELNS0_17block_load_methodE3ELS4_3ELS4_3ELNS0_20block_scan_algorithmE0ELj4294967295EEENS1_25partition_config_selectorILNS1_17partition_subalgoE3EjNS0_10empty_typeEbEEZZNS1_14partition_implILS8_3ELb0ES6_jNS0_17counting_iteratorIjlEEPS9_SE_NS0_5tupleIJPjSE_EEENSF_IJSE_SE_EEES9_SG_JZNS1_25segmented_radix_sort_implINS0_14default_configELb1EPKdPdPKlPlN2at6native12_GLOBAL__N_18offset_tEEE10hipError_tPvRmT1_PNSt15iterator_traitsISY_E10value_typeET2_T3_PNSZ_IS14_E10value_typeET4_jRbjT5_S1A_jjP12ihipStream_tbEUljE_EEESV_SW_SX_S14_S18_S1A_T6_T7_T9_mT8_S1C_bDpT10_ENKUlT_T0_E_clISt17integral_constantIbLb1EES1P_EEDaS1K_S1L_EUlS1K_E_NS1_11comp_targetILNS1_3genE4ELNS1_11target_archE910ELNS1_3gpuE8ELNS1_3repE0EEENS1_30default_config_static_selectorELNS0_4arch9wavefront6targetE0EEEvSY_.num_named_barrier, 0
	.set _ZN7rocprim17ROCPRIM_400000_NS6detail17trampoline_kernelINS0_13select_configILj256ELj13ELNS0_17block_load_methodE3ELS4_3ELS4_3ELNS0_20block_scan_algorithmE0ELj4294967295EEENS1_25partition_config_selectorILNS1_17partition_subalgoE3EjNS0_10empty_typeEbEEZZNS1_14partition_implILS8_3ELb0ES6_jNS0_17counting_iteratorIjlEEPS9_SE_NS0_5tupleIJPjSE_EEENSF_IJSE_SE_EEES9_SG_JZNS1_25segmented_radix_sort_implINS0_14default_configELb1EPKdPdPKlPlN2at6native12_GLOBAL__N_18offset_tEEE10hipError_tPvRmT1_PNSt15iterator_traitsISY_E10value_typeET2_T3_PNSZ_IS14_E10value_typeET4_jRbjT5_S1A_jjP12ihipStream_tbEUljE_EEESV_SW_SX_S14_S18_S1A_T6_T7_T9_mT8_S1C_bDpT10_ENKUlT_T0_E_clISt17integral_constantIbLb1EES1P_EEDaS1K_S1L_EUlS1K_E_NS1_11comp_targetILNS1_3genE4ELNS1_11target_archE910ELNS1_3gpuE8ELNS1_3repE0EEENS1_30default_config_static_selectorELNS0_4arch9wavefront6targetE0EEEvSY_.private_seg_size, 0
	.set _ZN7rocprim17ROCPRIM_400000_NS6detail17trampoline_kernelINS0_13select_configILj256ELj13ELNS0_17block_load_methodE3ELS4_3ELS4_3ELNS0_20block_scan_algorithmE0ELj4294967295EEENS1_25partition_config_selectorILNS1_17partition_subalgoE3EjNS0_10empty_typeEbEEZZNS1_14partition_implILS8_3ELb0ES6_jNS0_17counting_iteratorIjlEEPS9_SE_NS0_5tupleIJPjSE_EEENSF_IJSE_SE_EEES9_SG_JZNS1_25segmented_radix_sort_implINS0_14default_configELb1EPKdPdPKlPlN2at6native12_GLOBAL__N_18offset_tEEE10hipError_tPvRmT1_PNSt15iterator_traitsISY_E10value_typeET2_T3_PNSZ_IS14_E10value_typeET4_jRbjT5_S1A_jjP12ihipStream_tbEUljE_EEESV_SW_SX_S14_S18_S1A_T6_T7_T9_mT8_S1C_bDpT10_ENKUlT_T0_E_clISt17integral_constantIbLb1EES1P_EEDaS1K_S1L_EUlS1K_E_NS1_11comp_targetILNS1_3genE4ELNS1_11target_archE910ELNS1_3gpuE8ELNS1_3repE0EEENS1_30default_config_static_selectorELNS0_4arch9wavefront6targetE0EEEvSY_.uses_vcc, 0
	.set _ZN7rocprim17ROCPRIM_400000_NS6detail17trampoline_kernelINS0_13select_configILj256ELj13ELNS0_17block_load_methodE3ELS4_3ELS4_3ELNS0_20block_scan_algorithmE0ELj4294967295EEENS1_25partition_config_selectorILNS1_17partition_subalgoE3EjNS0_10empty_typeEbEEZZNS1_14partition_implILS8_3ELb0ES6_jNS0_17counting_iteratorIjlEEPS9_SE_NS0_5tupleIJPjSE_EEENSF_IJSE_SE_EEES9_SG_JZNS1_25segmented_radix_sort_implINS0_14default_configELb1EPKdPdPKlPlN2at6native12_GLOBAL__N_18offset_tEEE10hipError_tPvRmT1_PNSt15iterator_traitsISY_E10value_typeET2_T3_PNSZ_IS14_E10value_typeET4_jRbjT5_S1A_jjP12ihipStream_tbEUljE_EEESV_SW_SX_S14_S18_S1A_T6_T7_T9_mT8_S1C_bDpT10_ENKUlT_T0_E_clISt17integral_constantIbLb1EES1P_EEDaS1K_S1L_EUlS1K_E_NS1_11comp_targetILNS1_3genE4ELNS1_11target_archE910ELNS1_3gpuE8ELNS1_3repE0EEENS1_30default_config_static_selectorELNS0_4arch9wavefront6targetE0EEEvSY_.uses_flat_scratch, 0
	.set _ZN7rocprim17ROCPRIM_400000_NS6detail17trampoline_kernelINS0_13select_configILj256ELj13ELNS0_17block_load_methodE3ELS4_3ELS4_3ELNS0_20block_scan_algorithmE0ELj4294967295EEENS1_25partition_config_selectorILNS1_17partition_subalgoE3EjNS0_10empty_typeEbEEZZNS1_14partition_implILS8_3ELb0ES6_jNS0_17counting_iteratorIjlEEPS9_SE_NS0_5tupleIJPjSE_EEENSF_IJSE_SE_EEES9_SG_JZNS1_25segmented_radix_sort_implINS0_14default_configELb1EPKdPdPKlPlN2at6native12_GLOBAL__N_18offset_tEEE10hipError_tPvRmT1_PNSt15iterator_traitsISY_E10value_typeET2_T3_PNSZ_IS14_E10value_typeET4_jRbjT5_S1A_jjP12ihipStream_tbEUljE_EEESV_SW_SX_S14_S18_S1A_T6_T7_T9_mT8_S1C_bDpT10_ENKUlT_T0_E_clISt17integral_constantIbLb1EES1P_EEDaS1K_S1L_EUlS1K_E_NS1_11comp_targetILNS1_3genE4ELNS1_11target_archE910ELNS1_3gpuE8ELNS1_3repE0EEENS1_30default_config_static_selectorELNS0_4arch9wavefront6targetE0EEEvSY_.has_dyn_sized_stack, 0
	.set _ZN7rocprim17ROCPRIM_400000_NS6detail17trampoline_kernelINS0_13select_configILj256ELj13ELNS0_17block_load_methodE3ELS4_3ELS4_3ELNS0_20block_scan_algorithmE0ELj4294967295EEENS1_25partition_config_selectorILNS1_17partition_subalgoE3EjNS0_10empty_typeEbEEZZNS1_14partition_implILS8_3ELb0ES6_jNS0_17counting_iteratorIjlEEPS9_SE_NS0_5tupleIJPjSE_EEENSF_IJSE_SE_EEES9_SG_JZNS1_25segmented_radix_sort_implINS0_14default_configELb1EPKdPdPKlPlN2at6native12_GLOBAL__N_18offset_tEEE10hipError_tPvRmT1_PNSt15iterator_traitsISY_E10value_typeET2_T3_PNSZ_IS14_E10value_typeET4_jRbjT5_S1A_jjP12ihipStream_tbEUljE_EEESV_SW_SX_S14_S18_S1A_T6_T7_T9_mT8_S1C_bDpT10_ENKUlT_T0_E_clISt17integral_constantIbLb1EES1P_EEDaS1K_S1L_EUlS1K_E_NS1_11comp_targetILNS1_3genE4ELNS1_11target_archE910ELNS1_3gpuE8ELNS1_3repE0EEENS1_30default_config_static_selectorELNS0_4arch9wavefront6targetE0EEEvSY_.has_recursion, 0
	.set _ZN7rocprim17ROCPRIM_400000_NS6detail17trampoline_kernelINS0_13select_configILj256ELj13ELNS0_17block_load_methodE3ELS4_3ELS4_3ELNS0_20block_scan_algorithmE0ELj4294967295EEENS1_25partition_config_selectorILNS1_17partition_subalgoE3EjNS0_10empty_typeEbEEZZNS1_14partition_implILS8_3ELb0ES6_jNS0_17counting_iteratorIjlEEPS9_SE_NS0_5tupleIJPjSE_EEENSF_IJSE_SE_EEES9_SG_JZNS1_25segmented_radix_sort_implINS0_14default_configELb1EPKdPdPKlPlN2at6native12_GLOBAL__N_18offset_tEEE10hipError_tPvRmT1_PNSt15iterator_traitsISY_E10value_typeET2_T3_PNSZ_IS14_E10value_typeET4_jRbjT5_S1A_jjP12ihipStream_tbEUljE_EEESV_SW_SX_S14_S18_S1A_T6_T7_T9_mT8_S1C_bDpT10_ENKUlT_T0_E_clISt17integral_constantIbLb1EES1P_EEDaS1K_S1L_EUlS1K_E_NS1_11comp_targetILNS1_3genE4ELNS1_11target_archE910ELNS1_3gpuE8ELNS1_3repE0EEENS1_30default_config_static_selectorELNS0_4arch9wavefront6targetE0EEEvSY_.has_indirect_call, 0
	.section	.AMDGPU.csdata,"",@progbits
; Kernel info:
; codeLenInByte = 0
; TotalNumSgprs: 0
; NumVgprs: 0
; ScratchSize: 0
; MemoryBound: 0
; FloatMode: 240
; IeeeMode: 1
; LDSByteSize: 0 bytes/workgroup (compile time only)
; SGPRBlocks: 0
; VGPRBlocks: 0
; NumSGPRsForWavesPerEU: 1
; NumVGPRsForWavesPerEU: 1
; Occupancy: 16
; WaveLimiterHint : 0
; COMPUTE_PGM_RSRC2:SCRATCH_EN: 0
; COMPUTE_PGM_RSRC2:USER_SGPR: 6
; COMPUTE_PGM_RSRC2:TRAP_HANDLER: 0
; COMPUTE_PGM_RSRC2:TGID_X_EN: 1
; COMPUTE_PGM_RSRC2:TGID_Y_EN: 0
; COMPUTE_PGM_RSRC2:TGID_Z_EN: 0
; COMPUTE_PGM_RSRC2:TIDIG_COMP_CNT: 0
	.section	.text._ZN7rocprim17ROCPRIM_400000_NS6detail17trampoline_kernelINS0_13select_configILj256ELj13ELNS0_17block_load_methodE3ELS4_3ELS4_3ELNS0_20block_scan_algorithmE0ELj4294967295EEENS1_25partition_config_selectorILNS1_17partition_subalgoE3EjNS0_10empty_typeEbEEZZNS1_14partition_implILS8_3ELb0ES6_jNS0_17counting_iteratorIjlEEPS9_SE_NS0_5tupleIJPjSE_EEENSF_IJSE_SE_EEES9_SG_JZNS1_25segmented_radix_sort_implINS0_14default_configELb1EPKdPdPKlPlN2at6native12_GLOBAL__N_18offset_tEEE10hipError_tPvRmT1_PNSt15iterator_traitsISY_E10value_typeET2_T3_PNSZ_IS14_E10value_typeET4_jRbjT5_S1A_jjP12ihipStream_tbEUljE_EEESV_SW_SX_S14_S18_S1A_T6_T7_T9_mT8_S1C_bDpT10_ENKUlT_T0_E_clISt17integral_constantIbLb1EES1P_EEDaS1K_S1L_EUlS1K_E_NS1_11comp_targetILNS1_3genE3ELNS1_11target_archE908ELNS1_3gpuE7ELNS1_3repE0EEENS1_30default_config_static_selectorELNS0_4arch9wavefront6targetE0EEEvSY_,"axG",@progbits,_ZN7rocprim17ROCPRIM_400000_NS6detail17trampoline_kernelINS0_13select_configILj256ELj13ELNS0_17block_load_methodE3ELS4_3ELS4_3ELNS0_20block_scan_algorithmE0ELj4294967295EEENS1_25partition_config_selectorILNS1_17partition_subalgoE3EjNS0_10empty_typeEbEEZZNS1_14partition_implILS8_3ELb0ES6_jNS0_17counting_iteratorIjlEEPS9_SE_NS0_5tupleIJPjSE_EEENSF_IJSE_SE_EEES9_SG_JZNS1_25segmented_radix_sort_implINS0_14default_configELb1EPKdPdPKlPlN2at6native12_GLOBAL__N_18offset_tEEE10hipError_tPvRmT1_PNSt15iterator_traitsISY_E10value_typeET2_T3_PNSZ_IS14_E10value_typeET4_jRbjT5_S1A_jjP12ihipStream_tbEUljE_EEESV_SW_SX_S14_S18_S1A_T6_T7_T9_mT8_S1C_bDpT10_ENKUlT_T0_E_clISt17integral_constantIbLb1EES1P_EEDaS1K_S1L_EUlS1K_E_NS1_11comp_targetILNS1_3genE3ELNS1_11target_archE908ELNS1_3gpuE7ELNS1_3repE0EEENS1_30default_config_static_selectorELNS0_4arch9wavefront6targetE0EEEvSY_,comdat
	.globl	_ZN7rocprim17ROCPRIM_400000_NS6detail17trampoline_kernelINS0_13select_configILj256ELj13ELNS0_17block_load_methodE3ELS4_3ELS4_3ELNS0_20block_scan_algorithmE0ELj4294967295EEENS1_25partition_config_selectorILNS1_17partition_subalgoE3EjNS0_10empty_typeEbEEZZNS1_14partition_implILS8_3ELb0ES6_jNS0_17counting_iteratorIjlEEPS9_SE_NS0_5tupleIJPjSE_EEENSF_IJSE_SE_EEES9_SG_JZNS1_25segmented_radix_sort_implINS0_14default_configELb1EPKdPdPKlPlN2at6native12_GLOBAL__N_18offset_tEEE10hipError_tPvRmT1_PNSt15iterator_traitsISY_E10value_typeET2_T3_PNSZ_IS14_E10value_typeET4_jRbjT5_S1A_jjP12ihipStream_tbEUljE_EEESV_SW_SX_S14_S18_S1A_T6_T7_T9_mT8_S1C_bDpT10_ENKUlT_T0_E_clISt17integral_constantIbLb1EES1P_EEDaS1K_S1L_EUlS1K_E_NS1_11comp_targetILNS1_3genE3ELNS1_11target_archE908ELNS1_3gpuE7ELNS1_3repE0EEENS1_30default_config_static_selectorELNS0_4arch9wavefront6targetE0EEEvSY_ ; -- Begin function _ZN7rocprim17ROCPRIM_400000_NS6detail17trampoline_kernelINS0_13select_configILj256ELj13ELNS0_17block_load_methodE3ELS4_3ELS4_3ELNS0_20block_scan_algorithmE0ELj4294967295EEENS1_25partition_config_selectorILNS1_17partition_subalgoE3EjNS0_10empty_typeEbEEZZNS1_14partition_implILS8_3ELb0ES6_jNS0_17counting_iteratorIjlEEPS9_SE_NS0_5tupleIJPjSE_EEENSF_IJSE_SE_EEES9_SG_JZNS1_25segmented_radix_sort_implINS0_14default_configELb1EPKdPdPKlPlN2at6native12_GLOBAL__N_18offset_tEEE10hipError_tPvRmT1_PNSt15iterator_traitsISY_E10value_typeET2_T3_PNSZ_IS14_E10value_typeET4_jRbjT5_S1A_jjP12ihipStream_tbEUljE_EEESV_SW_SX_S14_S18_S1A_T6_T7_T9_mT8_S1C_bDpT10_ENKUlT_T0_E_clISt17integral_constantIbLb1EES1P_EEDaS1K_S1L_EUlS1K_E_NS1_11comp_targetILNS1_3genE3ELNS1_11target_archE908ELNS1_3gpuE7ELNS1_3repE0EEENS1_30default_config_static_selectorELNS0_4arch9wavefront6targetE0EEEvSY_
	.p2align	8
	.type	_ZN7rocprim17ROCPRIM_400000_NS6detail17trampoline_kernelINS0_13select_configILj256ELj13ELNS0_17block_load_methodE3ELS4_3ELS4_3ELNS0_20block_scan_algorithmE0ELj4294967295EEENS1_25partition_config_selectorILNS1_17partition_subalgoE3EjNS0_10empty_typeEbEEZZNS1_14partition_implILS8_3ELb0ES6_jNS0_17counting_iteratorIjlEEPS9_SE_NS0_5tupleIJPjSE_EEENSF_IJSE_SE_EEES9_SG_JZNS1_25segmented_radix_sort_implINS0_14default_configELb1EPKdPdPKlPlN2at6native12_GLOBAL__N_18offset_tEEE10hipError_tPvRmT1_PNSt15iterator_traitsISY_E10value_typeET2_T3_PNSZ_IS14_E10value_typeET4_jRbjT5_S1A_jjP12ihipStream_tbEUljE_EEESV_SW_SX_S14_S18_S1A_T6_T7_T9_mT8_S1C_bDpT10_ENKUlT_T0_E_clISt17integral_constantIbLb1EES1P_EEDaS1K_S1L_EUlS1K_E_NS1_11comp_targetILNS1_3genE3ELNS1_11target_archE908ELNS1_3gpuE7ELNS1_3repE0EEENS1_30default_config_static_selectorELNS0_4arch9wavefront6targetE0EEEvSY_,@function
_ZN7rocprim17ROCPRIM_400000_NS6detail17trampoline_kernelINS0_13select_configILj256ELj13ELNS0_17block_load_methodE3ELS4_3ELS4_3ELNS0_20block_scan_algorithmE0ELj4294967295EEENS1_25partition_config_selectorILNS1_17partition_subalgoE3EjNS0_10empty_typeEbEEZZNS1_14partition_implILS8_3ELb0ES6_jNS0_17counting_iteratorIjlEEPS9_SE_NS0_5tupleIJPjSE_EEENSF_IJSE_SE_EEES9_SG_JZNS1_25segmented_radix_sort_implINS0_14default_configELb1EPKdPdPKlPlN2at6native12_GLOBAL__N_18offset_tEEE10hipError_tPvRmT1_PNSt15iterator_traitsISY_E10value_typeET2_T3_PNSZ_IS14_E10value_typeET4_jRbjT5_S1A_jjP12ihipStream_tbEUljE_EEESV_SW_SX_S14_S18_S1A_T6_T7_T9_mT8_S1C_bDpT10_ENKUlT_T0_E_clISt17integral_constantIbLb1EES1P_EEDaS1K_S1L_EUlS1K_E_NS1_11comp_targetILNS1_3genE3ELNS1_11target_archE908ELNS1_3gpuE7ELNS1_3repE0EEENS1_30default_config_static_selectorELNS0_4arch9wavefront6targetE0EEEvSY_: ; @_ZN7rocprim17ROCPRIM_400000_NS6detail17trampoline_kernelINS0_13select_configILj256ELj13ELNS0_17block_load_methodE3ELS4_3ELS4_3ELNS0_20block_scan_algorithmE0ELj4294967295EEENS1_25partition_config_selectorILNS1_17partition_subalgoE3EjNS0_10empty_typeEbEEZZNS1_14partition_implILS8_3ELb0ES6_jNS0_17counting_iteratorIjlEEPS9_SE_NS0_5tupleIJPjSE_EEENSF_IJSE_SE_EEES9_SG_JZNS1_25segmented_radix_sort_implINS0_14default_configELb1EPKdPdPKlPlN2at6native12_GLOBAL__N_18offset_tEEE10hipError_tPvRmT1_PNSt15iterator_traitsISY_E10value_typeET2_T3_PNSZ_IS14_E10value_typeET4_jRbjT5_S1A_jjP12ihipStream_tbEUljE_EEESV_SW_SX_S14_S18_S1A_T6_T7_T9_mT8_S1C_bDpT10_ENKUlT_T0_E_clISt17integral_constantIbLb1EES1P_EEDaS1K_S1L_EUlS1K_E_NS1_11comp_targetILNS1_3genE3ELNS1_11target_archE908ELNS1_3gpuE7ELNS1_3repE0EEENS1_30default_config_static_selectorELNS0_4arch9wavefront6targetE0EEEvSY_
; %bb.0:
	.section	.rodata,"a",@progbits
	.p2align	6, 0x0
	.amdhsa_kernel _ZN7rocprim17ROCPRIM_400000_NS6detail17trampoline_kernelINS0_13select_configILj256ELj13ELNS0_17block_load_methodE3ELS4_3ELS4_3ELNS0_20block_scan_algorithmE0ELj4294967295EEENS1_25partition_config_selectorILNS1_17partition_subalgoE3EjNS0_10empty_typeEbEEZZNS1_14partition_implILS8_3ELb0ES6_jNS0_17counting_iteratorIjlEEPS9_SE_NS0_5tupleIJPjSE_EEENSF_IJSE_SE_EEES9_SG_JZNS1_25segmented_radix_sort_implINS0_14default_configELb1EPKdPdPKlPlN2at6native12_GLOBAL__N_18offset_tEEE10hipError_tPvRmT1_PNSt15iterator_traitsISY_E10value_typeET2_T3_PNSZ_IS14_E10value_typeET4_jRbjT5_S1A_jjP12ihipStream_tbEUljE_EEESV_SW_SX_S14_S18_S1A_T6_T7_T9_mT8_S1C_bDpT10_ENKUlT_T0_E_clISt17integral_constantIbLb1EES1P_EEDaS1K_S1L_EUlS1K_E_NS1_11comp_targetILNS1_3genE3ELNS1_11target_archE908ELNS1_3gpuE7ELNS1_3repE0EEENS1_30default_config_static_selectorELNS0_4arch9wavefront6targetE0EEEvSY_
		.amdhsa_group_segment_fixed_size 0
		.amdhsa_private_segment_fixed_size 0
		.amdhsa_kernarg_size 152
		.amdhsa_user_sgpr_count 6
		.amdhsa_user_sgpr_private_segment_buffer 1
		.amdhsa_user_sgpr_dispatch_ptr 0
		.amdhsa_user_sgpr_queue_ptr 0
		.amdhsa_user_sgpr_kernarg_segment_ptr 1
		.amdhsa_user_sgpr_dispatch_id 0
		.amdhsa_user_sgpr_flat_scratch_init 0
		.amdhsa_user_sgpr_private_segment_size 0
		.amdhsa_wavefront_size32 1
		.amdhsa_uses_dynamic_stack 0
		.amdhsa_system_sgpr_private_segment_wavefront_offset 0
		.amdhsa_system_sgpr_workgroup_id_x 1
		.amdhsa_system_sgpr_workgroup_id_y 0
		.amdhsa_system_sgpr_workgroup_id_z 0
		.amdhsa_system_sgpr_workgroup_info 0
		.amdhsa_system_vgpr_workitem_id 0
		.amdhsa_next_free_vgpr 1
		.amdhsa_next_free_sgpr 1
		.amdhsa_reserve_vcc 0
		.amdhsa_reserve_flat_scratch 0
		.amdhsa_float_round_mode_32 0
		.amdhsa_float_round_mode_16_64 0
		.amdhsa_float_denorm_mode_32 3
		.amdhsa_float_denorm_mode_16_64 3
		.amdhsa_dx10_clamp 1
		.amdhsa_ieee_mode 1
		.amdhsa_fp16_overflow 0
		.amdhsa_workgroup_processor_mode 1
		.amdhsa_memory_ordered 1
		.amdhsa_forward_progress 1
		.amdhsa_shared_vgpr_count 0
		.amdhsa_exception_fp_ieee_invalid_op 0
		.amdhsa_exception_fp_denorm_src 0
		.amdhsa_exception_fp_ieee_div_zero 0
		.amdhsa_exception_fp_ieee_overflow 0
		.amdhsa_exception_fp_ieee_underflow 0
		.amdhsa_exception_fp_ieee_inexact 0
		.amdhsa_exception_int_div_zero 0
	.end_amdhsa_kernel
	.section	.text._ZN7rocprim17ROCPRIM_400000_NS6detail17trampoline_kernelINS0_13select_configILj256ELj13ELNS0_17block_load_methodE3ELS4_3ELS4_3ELNS0_20block_scan_algorithmE0ELj4294967295EEENS1_25partition_config_selectorILNS1_17partition_subalgoE3EjNS0_10empty_typeEbEEZZNS1_14partition_implILS8_3ELb0ES6_jNS0_17counting_iteratorIjlEEPS9_SE_NS0_5tupleIJPjSE_EEENSF_IJSE_SE_EEES9_SG_JZNS1_25segmented_radix_sort_implINS0_14default_configELb1EPKdPdPKlPlN2at6native12_GLOBAL__N_18offset_tEEE10hipError_tPvRmT1_PNSt15iterator_traitsISY_E10value_typeET2_T3_PNSZ_IS14_E10value_typeET4_jRbjT5_S1A_jjP12ihipStream_tbEUljE_EEESV_SW_SX_S14_S18_S1A_T6_T7_T9_mT8_S1C_bDpT10_ENKUlT_T0_E_clISt17integral_constantIbLb1EES1P_EEDaS1K_S1L_EUlS1K_E_NS1_11comp_targetILNS1_3genE3ELNS1_11target_archE908ELNS1_3gpuE7ELNS1_3repE0EEENS1_30default_config_static_selectorELNS0_4arch9wavefront6targetE0EEEvSY_,"axG",@progbits,_ZN7rocprim17ROCPRIM_400000_NS6detail17trampoline_kernelINS0_13select_configILj256ELj13ELNS0_17block_load_methodE3ELS4_3ELS4_3ELNS0_20block_scan_algorithmE0ELj4294967295EEENS1_25partition_config_selectorILNS1_17partition_subalgoE3EjNS0_10empty_typeEbEEZZNS1_14partition_implILS8_3ELb0ES6_jNS0_17counting_iteratorIjlEEPS9_SE_NS0_5tupleIJPjSE_EEENSF_IJSE_SE_EEES9_SG_JZNS1_25segmented_radix_sort_implINS0_14default_configELb1EPKdPdPKlPlN2at6native12_GLOBAL__N_18offset_tEEE10hipError_tPvRmT1_PNSt15iterator_traitsISY_E10value_typeET2_T3_PNSZ_IS14_E10value_typeET4_jRbjT5_S1A_jjP12ihipStream_tbEUljE_EEESV_SW_SX_S14_S18_S1A_T6_T7_T9_mT8_S1C_bDpT10_ENKUlT_T0_E_clISt17integral_constantIbLb1EES1P_EEDaS1K_S1L_EUlS1K_E_NS1_11comp_targetILNS1_3genE3ELNS1_11target_archE908ELNS1_3gpuE7ELNS1_3repE0EEENS1_30default_config_static_selectorELNS0_4arch9wavefront6targetE0EEEvSY_,comdat
.Lfunc_end1089:
	.size	_ZN7rocprim17ROCPRIM_400000_NS6detail17trampoline_kernelINS0_13select_configILj256ELj13ELNS0_17block_load_methodE3ELS4_3ELS4_3ELNS0_20block_scan_algorithmE0ELj4294967295EEENS1_25partition_config_selectorILNS1_17partition_subalgoE3EjNS0_10empty_typeEbEEZZNS1_14partition_implILS8_3ELb0ES6_jNS0_17counting_iteratorIjlEEPS9_SE_NS0_5tupleIJPjSE_EEENSF_IJSE_SE_EEES9_SG_JZNS1_25segmented_radix_sort_implINS0_14default_configELb1EPKdPdPKlPlN2at6native12_GLOBAL__N_18offset_tEEE10hipError_tPvRmT1_PNSt15iterator_traitsISY_E10value_typeET2_T3_PNSZ_IS14_E10value_typeET4_jRbjT5_S1A_jjP12ihipStream_tbEUljE_EEESV_SW_SX_S14_S18_S1A_T6_T7_T9_mT8_S1C_bDpT10_ENKUlT_T0_E_clISt17integral_constantIbLb1EES1P_EEDaS1K_S1L_EUlS1K_E_NS1_11comp_targetILNS1_3genE3ELNS1_11target_archE908ELNS1_3gpuE7ELNS1_3repE0EEENS1_30default_config_static_selectorELNS0_4arch9wavefront6targetE0EEEvSY_, .Lfunc_end1089-_ZN7rocprim17ROCPRIM_400000_NS6detail17trampoline_kernelINS0_13select_configILj256ELj13ELNS0_17block_load_methodE3ELS4_3ELS4_3ELNS0_20block_scan_algorithmE0ELj4294967295EEENS1_25partition_config_selectorILNS1_17partition_subalgoE3EjNS0_10empty_typeEbEEZZNS1_14partition_implILS8_3ELb0ES6_jNS0_17counting_iteratorIjlEEPS9_SE_NS0_5tupleIJPjSE_EEENSF_IJSE_SE_EEES9_SG_JZNS1_25segmented_radix_sort_implINS0_14default_configELb1EPKdPdPKlPlN2at6native12_GLOBAL__N_18offset_tEEE10hipError_tPvRmT1_PNSt15iterator_traitsISY_E10value_typeET2_T3_PNSZ_IS14_E10value_typeET4_jRbjT5_S1A_jjP12ihipStream_tbEUljE_EEESV_SW_SX_S14_S18_S1A_T6_T7_T9_mT8_S1C_bDpT10_ENKUlT_T0_E_clISt17integral_constantIbLb1EES1P_EEDaS1K_S1L_EUlS1K_E_NS1_11comp_targetILNS1_3genE3ELNS1_11target_archE908ELNS1_3gpuE7ELNS1_3repE0EEENS1_30default_config_static_selectorELNS0_4arch9wavefront6targetE0EEEvSY_
                                        ; -- End function
	.set _ZN7rocprim17ROCPRIM_400000_NS6detail17trampoline_kernelINS0_13select_configILj256ELj13ELNS0_17block_load_methodE3ELS4_3ELS4_3ELNS0_20block_scan_algorithmE0ELj4294967295EEENS1_25partition_config_selectorILNS1_17partition_subalgoE3EjNS0_10empty_typeEbEEZZNS1_14partition_implILS8_3ELb0ES6_jNS0_17counting_iteratorIjlEEPS9_SE_NS0_5tupleIJPjSE_EEENSF_IJSE_SE_EEES9_SG_JZNS1_25segmented_radix_sort_implINS0_14default_configELb1EPKdPdPKlPlN2at6native12_GLOBAL__N_18offset_tEEE10hipError_tPvRmT1_PNSt15iterator_traitsISY_E10value_typeET2_T3_PNSZ_IS14_E10value_typeET4_jRbjT5_S1A_jjP12ihipStream_tbEUljE_EEESV_SW_SX_S14_S18_S1A_T6_T7_T9_mT8_S1C_bDpT10_ENKUlT_T0_E_clISt17integral_constantIbLb1EES1P_EEDaS1K_S1L_EUlS1K_E_NS1_11comp_targetILNS1_3genE3ELNS1_11target_archE908ELNS1_3gpuE7ELNS1_3repE0EEENS1_30default_config_static_selectorELNS0_4arch9wavefront6targetE0EEEvSY_.num_vgpr, 0
	.set _ZN7rocprim17ROCPRIM_400000_NS6detail17trampoline_kernelINS0_13select_configILj256ELj13ELNS0_17block_load_methodE3ELS4_3ELS4_3ELNS0_20block_scan_algorithmE0ELj4294967295EEENS1_25partition_config_selectorILNS1_17partition_subalgoE3EjNS0_10empty_typeEbEEZZNS1_14partition_implILS8_3ELb0ES6_jNS0_17counting_iteratorIjlEEPS9_SE_NS0_5tupleIJPjSE_EEENSF_IJSE_SE_EEES9_SG_JZNS1_25segmented_radix_sort_implINS0_14default_configELb1EPKdPdPKlPlN2at6native12_GLOBAL__N_18offset_tEEE10hipError_tPvRmT1_PNSt15iterator_traitsISY_E10value_typeET2_T3_PNSZ_IS14_E10value_typeET4_jRbjT5_S1A_jjP12ihipStream_tbEUljE_EEESV_SW_SX_S14_S18_S1A_T6_T7_T9_mT8_S1C_bDpT10_ENKUlT_T0_E_clISt17integral_constantIbLb1EES1P_EEDaS1K_S1L_EUlS1K_E_NS1_11comp_targetILNS1_3genE3ELNS1_11target_archE908ELNS1_3gpuE7ELNS1_3repE0EEENS1_30default_config_static_selectorELNS0_4arch9wavefront6targetE0EEEvSY_.num_agpr, 0
	.set _ZN7rocprim17ROCPRIM_400000_NS6detail17trampoline_kernelINS0_13select_configILj256ELj13ELNS0_17block_load_methodE3ELS4_3ELS4_3ELNS0_20block_scan_algorithmE0ELj4294967295EEENS1_25partition_config_selectorILNS1_17partition_subalgoE3EjNS0_10empty_typeEbEEZZNS1_14partition_implILS8_3ELb0ES6_jNS0_17counting_iteratorIjlEEPS9_SE_NS0_5tupleIJPjSE_EEENSF_IJSE_SE_EEES9_SG_JZNS1_25segmented_radix_sort_implINS0_14default_configELb1EPKdPdPKlPlN2at6native12_GLOBAL__N_18offset_tEEE10hipError_tPvRmT1_PNSt15iterator_traitsISY_E10value_typeET2_T3_PNSZ_IS14_E10value_typeET4_jRbjT5_S1A_jjP12ihipStream_tbEUljE_EEESV_SW_SX_S14_S18_S1A_T6_T7_T9_mT8_S1C_bDpT10_ENKUlT_T0_E_clISt17integral_constantIbLb1EES1P_EEDaS1K_S1L_EUlS1K_E_NS1_11comp_targetILNS1_3genE3ELNS1_11target_archE908ELNS1_3gpuE7ELNS1_3repE0EEENS1_30default_config_static_selectorELNS0_4arch9wavefront6targetE0EEEvSY_.numbered_sgpr, 0
	.set _ZN7rocprim17ROCPRIM_400000_NS6detail17trampoline_kernelINS0_13select_configILj256ELj13ELNS0_17block_load_methodE3ELS4_3ELS4_3ELNS0_20block_scan_algorithmE0ELj4294967295EEENS1_25partition_config_selectorILNS1_17partition_subalgoE3EjNS0_10empty_typeEbEEZZNS1_14partition_implILS8_3ELb0ES6_jNS0_17counting_iteratorIjlEEPS9_SE_NS0_5tupleIJPjSE_EEENSF_IJSE_SE_EEES9_SG_JZNS1_25segmented_radix_sort_implINS0_14default_configELb1EPKdPdPKlPlN2at6native12_GLOBAL__N_18offset_tEEE10hipError_tPvRmT1_PNSt15iterator_traitsISY_E10value_typeET2_T3_PNSZ_IS14_E10value_typeET4_jRbjT5_S1A_jjP12ihipStream_tbEUljE_EEESV_SW_SX_S14_S18_S1A_T6_T7_T9_mT8_S1C_bDpT10_ENKUlT_T0_E_clISt17integral_constantIbLb1EES1P_EEDaS1K_S1L_EUlS1K_E_NS1_11comp_targetILNS1_3genE3ELNS1_11target_archE908ELNS1_3gpuE7ELNS1_3repE0EEENS1_30default_config_static_selectorELNS0_4arch9wavefront6targetE0EEEvSY_.num_named_barrier, 0
	.set _ZN7rocprim17ROCPRIM_400000_NS6detail17trampoline_kernelINS0_13select_configILj256ELj13ELNS0_17block_load_methodE3ELS4_3ELS4_3ELNS0_20block_scan_algorithmE0ELj4294967295EEENS1_25partition_config_selectorILNS1_17partition_subalgoE3EjNS0_10empty_typeEbEEZZNS1_14partition_implILS8_3ELb0ES6_jNS0_17counting_iteratorIjlEEPS9_SE_NS0_5tupleIJPjSE_EEENSF_IJSE_SE_EEES9_SG_JZNS1_25segmented_radix_sort_implINS0_14default_configELb1EPKdPdPKlPlN2at6native12_GLOBAL__N_18offset_tEEE10hipError_tPvRmT1_PNSt15iterator_traitsISY_E10value_typeET2_T3_PNSZ_IS14_E10value_typeET4_jRbjT5_S1A_jjP12ihipStream_tbEUljE_EEESV_SW_SX_S14_S18_S1A_T6_T7_T9_mT8_S1C_bDpT10_ENKUlT_T0_E_clISt17integral_constantIbLb1EES1P_EEDaS1K_S1L_EUlS1K_E_NS1_11comp_targetILNS1_3genE3ELNS1_11target_archE908ELNS1_3gpuE7ELNS1_3repE0EEENS1_30default_config_static_selectorELNS0_4arch9wavefront6targetE0EEEvSY_.private_seg_size, 0
	.set _ZN7rocprim17ROCPRIM_400000_NS6detail17trampoline_kernelINS0_13select_configILj256ELj13ELNS0_17block_load_methodE3ELS4_3ELS4_3ELNS0_20block_scan_algorithmE0ELj4294967295EEENS1_25partition_config_selectorILNS1_17partition_subalgoE3EjNS0_10empty_typeEbEEZZNS1_14partition_implILS8_3ELb0ES6_jNS0_17counting_iteratorIjlEEPS9_SE_NS0_5tupleIJPjSE_EEENSF_IJSE_SE_EEES9_SG_JZNS1_25segmented_radix_sort_implINS0_14default_configELb1EPKdPdPKlPlN2at6native12_GLOBAL__N_18offset_tEEE10hipError_tPvRmT1_PNSt15iterator_traitsISY_E10value_typeET2_T3_PNSZ_IS14_E10value_typeET4_jRbjT5_S1A_jjP12ihipStream_tbEUljE_EEESV_SW_SX_S14_S18_S1A_T6_T7_T9_mT8_S1C_bDpT10_ENKUlT_T0_E_clISt17integral_constantIbLb1EES1P_EEDaS1K_S1L_EUlS1K_E_NS1_11comp_targetILNS1_3genE3ELNS1_11target_archE908ELNS1_3gpuE7ELNS1_3repE0EEENS1_30default_config_static_selectorELNS0_4arch9wavefront6targetE0EEEvSY_.uses_vcc, 0
	.set _ZN7rocprim17ROCPRIM_400000_NS6detail17trampoline_kernelINS0_13select_configILj256ELj13ELNS0_17block_load_methodE3ELS4_3ELS4_3ELNS0_20block_scan_algorithmE0ELj4294967295EEENS1_25partition_config_selectorILNS1_17partition_subalgoE3EjNS0_10empty_typeEbEEZZNS1_14partition_implILS8_3ELb0ES6_jNS0_17counting_iteratorIjlEEPS9_SE_NS0_5tupleIJPjSE_EEENSF_IJSE_SE_EEES9_SG_JZNS1_25segmented_radix_sort_implINS0_14default_configELb1EPKdPdPKlPlN2at6native12_GLOBAL__N_18offset_tEEE10hipError_tPvRmT1_PNSt15iterator_traitsISY_E10value_typeET2_T3_PNSZ_IS14_E10value_typeET4_jRbjT5_S1A_jjP12ihipStream_tbEUljE_EEESV_SW_SX_S14_S18_S1A_T6_T7_T9_mT8_S1C_bDpT10_ENKUlT_T0_E_clISt17integral_constantIbLb1EES1P_EEDaS1K_S1L_EUlS1K_E_NS1_11comp_targetILNS1_3genE3ELNS1_11target_archE908ELNS1_3gpuE7ELNS1_3repE0EEENS1_30default_config_static_selectorELNS0_4arch9wavefront6targetE0EEEvSY_.uses_flat_scratch, 0
	.set _ZN7rocprim17ROCPRIM_400000_NS6detail17trampoline_kernelINS0_13select_configILj256ELj13ELNS0_17block_load_methodE3ELS4_3ELS4_3ELNS0_20block_scan_algorithmE0ELj4294967295EEENS1_25partition_config_selectorILNS1_17partition_subalgoE3EjNS0_10empty_typeEbEEZZNS1_14partition_implILS8_3ELb0ES6_jNS0_17counting_iteratorIjlEEPS9_SE_NS0_5tupleIJPjSE_EEENSF_IJSE_SE_EEES9_SG_JZNS1_25segmented_radix_sort_implINS0_14default_configELb1EPKdPdPKlPlN2at6native12_GLOBAL__N_18offset_tEEE10hipError_tPvRmT1_PNSt15iterator_traitsISY_E10value_typeET2_T3_PNSZ_IS14_E10value_typeET4_jRbjT5_S1A_jjP12ihipStream_tbEUljE_EEESV_SW_SX_S14_S18_S1A_T6_T7_T9_mT8_S1C_bDpT10_ENKUlT_T0_E_clISt17integral_constantIbLb1EES1P_EEDaS1K_S1L_EUlS1K_E_NS1_11comp_targetILNS1_3genE3ELNS1_11target_archE908ELNS1_3gpuE7ELNS1_3repE0EEENS1_30default_config_static_selectorELNS0_4arch9wavefront6targetE0EEEvSY_.has_dyn_sized_stack, 0
	.set _ZN7rocprim17ROCPRIM_400000_NS6detail17trampoline_kernelINS0_13select_configILj256ELj13ELNS0_17block_load_methodE3ELS4_3ELS4_3ELNS0_20block_scan_algorithmE0ELj4294967295EEENS1_25partition_config_selectorILNS1_17partition_subalgoE3EjNS0_10empty_typeEbEEZZNS1_14partition_implILS8_3ELb0ES6_jNS0_17counting_iteratorIjlEEPS9_SE_NS0_5tupleIJPjSE_EEENSF_IJSE_SE_EEES9_SG_JZNS1_25segmented_radix_sort_implINS0_14default_configELb1EPKdPdPKlPlN2at6native12_GLOBAL__N_18offset_tEEE10hipError_tPvRmT1_PNSt15iterator_traitsISY_E10value_typeET2_T3_PNSZ_IS14_E10value_typeET4_jRbjT5_S1A_jjP12ihipStream_tbEUljE_EEESV_SW_SX_S14_S18_S1A_T6_T7_T9_mT8_S1C_bDpT10_ENKUlT_T0_E_clISt17integral_constantIbLb1EES1P_EEDaS1K_S1L_EUlS1K_E_NS1_11comp_targetILNS1_3genE3ELNS1_11target_archE908ELNS1_3gpuE7ELNS1_3repE0EEENS1_30default_config_static_selectorELNS0_4arch9wavefront6targetE0EEEvSY_.has_recursion, 0
	.set _ZN7rocprim17ROCPRIM_400000_NS6detail17trampoline_kernelINS0_13select_configILj256ELj13ELNS0_17block_load_methodE3ELS4_3ELS4_3ELNS0_20block_scan_algorithmE0ELj4294967295EEENS1_25partition_config_selectorILNS1_17partition_subalgoE3EjNS0_10empty_typeEbEEZZNS1_14partition_implILS8_3ELb0ES6_jNS0_17counting_iteratorIjlEEPS9_SE_NS0_5tupleIJPjSE_EEENSF_IJSE_SE_EEES9_SG_JZNS1_25segmented_radix_sort_implINS0_14default_configELb1EPKdPdPKlPlN2at6native12_GLOBAL__N_18offset_tEEE10hipError_tPvRmT1_PNSt15iterator_traitsISY_E10value_typeET2_T3_PNSZ_IS14_E10value_typeET4_jRbjT5_S1A_jjP12ihipStream_tbEUljE_EEESV_SW_SX_S14_S18_S1A_T6_T7_T9_mT8_S1C_bDpT10_ENKUlT_T0_E_clISt17integral_constantIbLb1EES1P_EEDaS1K_S1L_EUlS1K_E_NS1_11comp_targetILNS1_3genE3ELNS1_11target_archE908ELNS1_3gpuE7ELNS1_3repE0EEENS1_30default_config_static_selectorELNS0_4arch9wavefront6targetE0EEEvSY_.has_indirect_call, 0
	.section	.AMDGPU.csdata,"",@progbits
; Kernel info:
; codeLenInByte = 0
; TotalNumSgprs: 0
; NumVgprs: 0
; ScratchSize: 0
; MemoryBound: 0
; FloatMode: 240
; IeeeMode: 1
; LDSByteSize: 0 bytes/workgroup (compile time only)
; SGPRBlocks: 0
; VGPRBlocks: 0
; NumSGPRsForWavesPerEU: 1
; NumVGPRsForWavesPerEU: 1
; Occupancy: 16
; WaveLimiterHint : 0
; COMPUTE_PGM_RSRC2:SCRATCH_EN: 0
; COMPUTE_PGM_RSRC2:USER_SGPR: 6
; COMPUTE_PGM_RSRC2:TRAP_HANDLER: 0
; COMPUTE_PGM_RSRC2:TGID_X_EN: 1
; COMPUTE_PGM_RSRC2:TGID_Y_EN: 0
; COMPUTE_PGM_RSRC2:TGID_Z_EN: 0
; COMPUTE_PGM_RSRC2:TIDIG_COMP_CNT: 0
	.section	.text._ZN7rocprim17ROCPRIM_400000_NS6detail17trampoline_kernelINS0_13select_configILj256ELj13ELNS0_17block_load_methodE3ELS4_3ELS4_3ELNS0_20block_scan_algorithmE0ELj4294967295EEENS1_25partition_config_selectorILNS1_17partition_subalgoE3EjNS0_10empty_typeEbEEZZNS1_14partition_implILS8_3ELb0ES6_jNS0_17counting_iteratorIjlEEPS9_SE_NS0_5tupleIJPjSE_EEENSF_IJSE_SE_EEES9_SG_JZNS1_25segmented_radix_sort_implINS0_14default_configELb1EPKdPdPKlPlN2at6native12_GLOBAL__N_18offset_tEEE10hipError_tPvRmT1_PNSt15iterator_traitsISY_E10value_typeET2_T3_PNSZ_IS14_E10value_typeET4_jRbjT5_S1A_jjP12ihipStream_tbEUljE_EEESV_SW_SX_S14_S18_S1A_T6_T7_T9_mT8_S1C_bDpT10_ENKUlT_T0_E_clISt17integral_constantIbLb1EES1P_EEDaS1K_S1L_EUlS1K_E_NS1_11comp_targetILNS1_3genE2ELNS1_11target_archE906ELNS1_3gpuE6ELNS1_3repE0EEENS1_30default_config_static_selectorELNS0_4arch9wavefront6targetE0EEEvSY_,"axG",@progbits,_ZN7rocprim17ROCPRIM_400000_NS6detail17trampoline_kernelINS0_13select_configILj256ELj13ELNS0_17block_load_methodE3ELS4_3ELS4_3ELNS0_20block_scan_algorithmE0ELj4294967295EEENS1_25partition_config_selectorILNS1_17partition_subalgoE3EjNS0_10empty_typeEbEEZZNS1_14partition_implILS8_3ELb0ES6_jNS0_17counting_iteratorIjlEEPS9_SE_NS0_5tupleIJPjSE_EEENSF_IJSE_SE_EEES9_SG_JZNS1_25segmented_radix_sort_implINS0_14default_configELb1EPKdPdPKlPlN2at6native12_GLOBAL__N_18offset_tEEE10hipError_tPvRmT1_PNSt15iterator_traitsISY_E10value_typeET2_T3_PNSZ_IS14_E10value_typeET4_jRbjT5_S1A_jjP12ihipStream_tbEUljE_EEESV_SW_SX_S14_S18_S1A_T6_T7_T9_mT8_S1C_bDpT10_ENKUlT_T0_E_clISt17integral_constantIbLb1EES1P_EEDaS1K_S1L_EUlS1K_E_NS1_11comp_targetILNS1_3genE2ELNS1_11target_archE906ELNS1_3gpuE6ELNS1_3repE0EEENS1_30default_config_static_selectorELNS0_4arch9wavefront6targetE0EEEvSY_,comdat
	.globl	_ZN7rocprim17ROCPRIM_400000_NS6detail17trampoline_kernelINS0_13select_configILj256ELj13ELNS0_17block_load_methodE3ELS4_3ELS4_3ELNS0_20block_scan_algorithmE0ELj4294967295EEENS1_25partition_config_selectorILNS1_17partition_subalgoE3EjNS0_10empty_typeEbEEZZNS1_14partition_implILS8_3ELb0ES6_jNS0_17counting_iteratorIjlEEPS9_SE_NS0_5tupleIJPjSE_EEENSF_IJSE_SE_EEES9_SG_JZNS1_25segmented_radix_sort_implINS0_14default_configELb1EPKdPdPKlPlN2at6native12_GLOBAL__N_18offset_tEEE10hipError_tPvRmT1_PNSt15iterator_traitsISY_E10value_typeET2_T3_PNSZ_IS14_E10value_typeET4_jRbjT5_S1A_jjP12ihipStream_tbEUljE_EEESV_SW_SX_S14_S18_S1A_T6_T7_T9_mT8_S1C_bDpT10_ENKUlT_T0_E_clISt17integral_constantIbLb1EES1P_EEDaS1K_S1L_EUlS1K_E_NS1_11comp_targetILNS1_3genE2ELNS1_11target_archE906ELNS1_3gpuE6ELNS1_3repE0EEENS1_30default_config_static_selectorELNS0_4arch9wavefront6targetE0EEEvSY_ ; -- Begin function _ZN7rocprim17ROCPRIM_400000_NS6detail17trampoline_kernelINS0_13select_configILj256ELj13ELNS0_17block_load_methodE3ELS4_3ELS4_3ELNS0_20block_scan_algorithmE0ELj4294967295EEENS1_25partition_config_selectorILNS1_17partition_subalgoE3EjNS0_10empty_typeEbEEZZNS1_14partition_implILS8_3ELb0ES6_jNS0_17counting_iteratorIjlEEPS9_SE_NS0_5tupleIJPjSE_EEENSF_IJSE_SE_EEES9_SG_JZNS1_25segmented_radix_sort_implINS0_14default_configELb1EPKdPdPKlPlN2at6native12_GLOBAL__N_18offset_tEEE10hipError_tPvRmT1_PNSt15iterator_traitsISY_E10value_typeET2_T3_PNSZ_IS14_E10value_typeET4_jRbjT5_S1A_jjP12ihipStream_tbEUljE_EEESV_SW_SX_S14_S18_S1A_T6_T7_T9_mT8_S1C_bDpT10_ENKUlT_T0_E_clISt17integral_constantIbLb1EES1P_EEDaS1K_S1L_EUlS1K_E_NS1_11comp_targetILNS1_3genE2ELNS1_11target_archE906ELNS1_3gpuE6ELNS1_3repE0EEENS1_30default_config_static_selectorELNS0_4arch9wavefront6targetE0EEEvSY_
	.p2align	8
	.type	_ZN7rocprim17ROCPRIM_400000_NS6detail17trampoline_kernelINS0_13select_configILj256ELj13ELNS0_17block_load_methodE3ELS4_3ELS4_3ELNS0_20block_scan_algorithmE0ELj4294967295EEENS1_25partition_config_selectorILNS1_17partition_subalgoE3EjNS0_10empty_typeEbEEZZNS1_14partition_implILS8_3ELb0ES6_jNS0_17counting_iteratorIjlEEPS9_SE_NS0_5tupleIJPjSE_EEENSF_IJSE_SE_EEES9_SG_JZNS1_25segmented_radix_sort_implINS0_14default_configELb1EPKdPdPKlPlN2at6native12_GLOBAL__N_18offset_tEEE10hipError_tPvRmT1_PNSt15iterator_traitsISY_E10value_typeET2_T3_PNSZ_IS14_E10value_typeET4_jRbjT5_S1A_jjP12ihipStream_tbEUljE_EEESV_SW_SX_S14_S18_S1A_T6_T7_T9_mT8_S1C_bDpT10_ENKUlT_T0_E_clISt17integral_constantIbLb1EES1P_EEDaS1K_S1L_EUlS1K_E_NS1_11comp_targetILNS1_3genE2ELNS1_11target_archE906ELNS1_3gpuE6ELNS1_3repE0EEENS1_30default_config_static_selectorELNS0_4arch9wavefront6targetE0EEEvSY_,@function
_ZN7rocprim17ROCPRIM_400000_NS6detail17trampoline_kernelINS0_13select_configILj256ELj13ELNS0_17block_load_methodE3ELS4_3ELS4_3ELNS0_20block_scan_algorithmE0ELj4294967295EEENS1_25partition_config_selectorILNS1_17partition_subalgoE3EjNS0_10empty_typeEbEEZZNS1_14partition_implILS8_3ELb0ES6_jNS0_17counting_iteratorIjlEEPS9_SE_NS0_5tupleIJPjSE_EEENSF_IJSE_SE_EEES9_SG_JZNS1_25segmented_radix_sort_implINS0_14default_configELb1EPKdPdPKlPlN2at6native12_GLOBAL__N_18offset_tEEE10hipError_tPvRmT1_PNSt15iterator_traitsISY_E10value_typeET2_T3_PNSZ_IS14_E10value_typeET4_jRbjT5_S1A_jjP12ihipStream_tbEUljE_EEESV_SW_SX_S14_S18_S1A_T6_T7_T9_mT8_S1C_bDpT10_ENKUlT_T0_E_clISt17integral_constantIbLb1EES1P_EEDaS1K_S1L_EUlS1K_E_NS1_11comp_targetILNS1_3genE2ELNS1_11target_archE906ELNS1_3gpuE6ELNS1_3repE0EEENS1_30default_config_static_selectorELNS0_4arch9wavefront6targetE0EEEvSY_: ; @_ZN7rocprim17ROCPRIM_400000_NS6detail17trampoline_kernelINS0_13select_configILj256ELj13ELNS0_17block_load_methodE3ELS4_3ELS4_3ELNS0_20block_scan_algorithmE0ELj4294967295EEENS1_25partition_config_selectorILNS1_17partition_subalgoE3EjNS0_10empty_typeEbEEZZNS1_14partition_implILS8_3ELb0ES6_jNS0_17counting_iteratorIjlEEPS9_SE_NS0_5tupleIJPjSE_EEENSF_IJSE_SE_EEES9_SG_JZNS1_25segmented_radix_sort_implINS0_14default_configELb1EPKdPdPKlPlN2at6native12_GLOBAL__N_18offset_tEEE10hipError_tPvRmT1_PNSt15iterator_traitsISY_E10value_typeET2_T3_PNSZ_IS14_E10value_typeET4_jRbjT5_S1A_jjP12ihipStream_tbEUljE_EEESV_SW_SX_S14_S18_S1A_T6_T7_T9_mT8_S1C_bDpT10_ENKUlT_T0_E_clISt17integral_constantIbLb1EES1P_EEDaS1K_S1L_EUlS1K_E_NS1_11comp_targetILNS1_3genE2ELNS1_11target_archE906ELNS1_3gpuE6ELNS1_3repE0EEENS1_30default_config_static_selectorELNS0_4arch9wavefront6targetE0EEEvSY_
; %bb.0:
	.section	.rodata,"a",@progbits
	.p2align	6, 0x0
	.amdhsa_kernel _ZN7rocprim17ROCPRIM_400000_NS6detail17trampoline_kernelINS0_13select_configILj256ELj13ELNS0_17block_load_methodE3ELS4_3ELS4_3ELNS0_20block_scan_algorithmE0ELj4294967295EEENS1_25partition_config_selectorILNS1_17partition_subalgoE3EjNS0_10empty_typeEbEEZZNS1_14partition_implILS8_3ELb0ES6_jNS0_17counting_iteratorIjlEEPS9_SE_NS0_5tupleIJPjSE_EEENSF_IJSE_SE_EEES9_SG_JZNS1_25segmented_radix_sort_implINS0_14default_configELb1EPKdPdPKlPlN2at6native12_GLOBAL__N_18offset_tEEE10hipError_tPvRmT1_PNSt15iterator_traitsISY_E10value_typeET2_T3_PNSZ_IS14_E10value_typeET4_jRbjT5_S1A_jjP12ihipStream_tbEUljE_EEESV_SW_SX_S14_S18_S1A_T6_T7_T9_mT8_S1C_bDpT10_ENKUlT_T0_E_clISt17integral_constantIbLb1EES1P_EEDaS1K_S1L_EUlS1K_E_NS1_11comp_targetILNS1_3genE2ELNS1_11target_archE906ELNS1_3gpuE6ELNS1_3repE0EEENS1_30default_config_static_selectorELNS0_4arch9wavefront6targetE0EEEvSY_
		.amdhsa_group_segment_fixed_size 0
		.amdhsa_private_segment_fixed_size 0
		.amdhsa_kernarg_size 152
		.amdhsa_user_sgpr_count 6
		.amdhsa_user_sgpr_private_segment_buffer 1
		.amdhsa_user_sgpr_dispatch_ptr 0
		.amdhsa_user_sgpr_queue_ptr 0
		.amdhsa_user_sgpr_kernarg_segment_ptr 1
		.amdhsa_user_sgpr_dispatch_id 0
		.amdhsa_user_sgpr_flat_scratch_init 0
		.amdhsa_user_sgpr_private_segment_size 0
		.amdhsa_wavefront_size32 1
		.amdhsa_uses_dynamic_stack 0
		.amdhsa_system_sgpr_private_segment_wavefront_offset 0
		.amdhsa_system_sgpr_workgroup_id_x 1
		.amdhsa_system_sgpr_workgroup_id_y 0
		.amdhsa_system_sgpr_workgroup_id_z 0
		.amdhsa_system_sgpr_workgroup_info 0
		.amdhsa_system_vgpr_workitem_id 0
		.amdhsa_next_free_vgpr 1
		.amdhsa_next_free_sgpr 1
		.amdhsa_reserve_vcc 0
		.amdhsa_reserve_flat_scratch 0
		.amdhsa_float_round_mode_32 0
		.amdhsa_float_round_mode_16_64 0
		.amdhsa_float_denorm_mode_32 3
		.amdhsa_float_denorm_mode_16_64 3
		.amdhsa_dx10_clamp 1
		.amdhsa_ieee_mode 1
		.amdhsa_fp16_overflow 0
		.amdhsa_workgroup_processor_mode 1
		.amdhsa_memory_ordered 1
		.amdhsa_forward_progress 1
		.amdhsa_shared_vgpr_count 0
		.amdhsa_exception_fp_ieee_invalid_op 0
		.amdhsa_exception_fp_denorm_src 0
		.amdhsa_exception_fp_ieee_div_zero 0
		.amdhsa_exception_fp_ieee_overflow 0
		.amdhsa_exception_fp_ieee_underflow 0
		.amdhsa_exception_fp_ieee_inexact 0
		.amdhsa_exception_int_div_zero 0
	.end_amdhsa_kernel
	.section	.text._ZN7rocprim17ROCPRIM_400000_NS6detail17trampoline_kernelINS0_13select_configILj256ELj13ELNS0_17block_load_methodE3ELS4_3ELS4_3ELNS0_20block_scan_algorithmE0ELj4294967295EEENS1_25partition_config_selectorILNS1_17partition_subalgoE3EjNS0_10empty_typeEbEEZZNS1_14partition_implILS8_3ELb0ES6_jNS0_17counting_iteratorIjlEEPS9_SE_NS0_5tupleIJPjSE_EEENSF_IJSE_SE_EEES9_SG_JZNS1_25segmented_radix_sort_implINS0_14default_configELb1EPKdPdPKlPlN2at6native12_GLOBAL__N_18offset_tEEE10hipError_tPvRmT1_PNSt15iterator_traitsISY_E10value_typeET2_T3_PNSZ_IS14_E10value_typeET4_jRbjT5_S1A_jjP12ihipStream_tbEUljE_EEESV_SW_SX_S14_S18_S1A_T6_T7_T9_mT8_S1C_bDpT10_ENKUlT_T0_E_clISt17integral_constantIbLb1EES1P_EEDaS1K_S1L_EUlS1K_E_NS1_11comp_targetILNS1_3genE2ELNS1_11target_archE906ELNS1_3gpuE6ELNS1_3repE0EEENS1_30default_config_static_selectorELNS0_4arch9wavefront6targetE0EEEvSY_,"axG",@progbits,_ZN7rocprim17ROCPRIM_400000_NS6detail17trampoline_kernelINS0_13select_configILj256ELj13ELNS0_17block_load_methodE3ELS4_3ELS4_3ELNS0_20block_scan_algorithmE0ELj4294967295EEENS1_25partition_config_selectorILNS1_17partition_subalgoE3EjNS0_10empty_typeEbEEZZNS1_14partition_implILS8_3ELb0ES6_jNS0_17counting_iteratorIjlEEPS9_SE_NS0_5tupleIJPjSE_EEENSF_IJSE_SE_EEES9_SG_JZNS1_25segmented_radix_sort_implINS0_14default_configELb1EPKdPdPKlPlN2at6native12_GLOBAL__N_18offset_tEEE10hipError_tPvRmT1_PNSt15iterator_traitsISY_E10value_typeET2_T3_PNSZ_IS14_E10value_typeET4_jRbjT5_S1A_jjP12ihipStream_tbEUljE_EEESV_SW_SX_S14_S18_S1A_T6_T7_T9_mT8_S1C_bDpT10_ENKUlT_T0_E_clISt17integral_constantIbLb1EES1P_EEDaS1K_S1L_EUlS1K_E_NS1_11comp_targetILNS1_3genE2ELNS1_11target_archE906ELNS1_3gpuE6ELNS1_3repE0EEENS1_30default_config_static_selectorELNS0_4arch9wavefront6targetE0EEEvSY_,comdat
.Lfunc_end1090:
	.size	_ZN7rocprim17ROCPRIM_400000_NS6detail17trampoline_kernelINS0_13select_configILj256ELj13ELNS0_17block_load_methodE3ELS4_3ELS4_3ELNS0_20block_scan_algorithmE0ELj4294967295EEENS1_25partition_config_selectorILNS1_17partition_subalgoE3EjNS0_10empty_typeEbEEZZNS1_14partition_implILS8_3ELb0ES6_jNS0_17counting_iteratorIjlEEPS9_SE_NS0_5tupleIJPjSE_EEENSF_IJSE_SE_EEES9_SG_JZNS1_25segmented_radix_sort_implINS0_14default_configELb1EPKdPdPKlPlN2at6native12_GLOBAL__N_18offset_tEEE10hipError_tPvRmT1_PNSt15iterator_traitsISY_E10value_typeET2_T3_PNSZ_IS14_E10value_typeET4_jRbjT5_S1A_jjP12ihipStream_tbEUljE_EEESV_SW_SX_S14_S18_S1A_T6_T7_T9_mT8_S1C_bDpT10_ENKUlT_T0_E_clISt17integral_constantIbLb1EES1P_EEDaS1K_S1L_EUlS1K_E_NS1_11comp_targetILNS1_3genE2ELNS1_11target_archE906ELNS1_3gpuE6ELNS1_3repE0EEENS1_30default_config_static_selectorELNS0_4arch9wavefront6targetE0EEEvSY_, .Lfunc_end1090-_ZN7rocprim17ROCPRIM_400000_NS6detail17trampoline_kernelINS0_13select_configILj256ELj13ELNS0_17block_load_methodE3ELS4_3ELS4_3ELNS0_20block_scan_algorithmE0ELj4294967295EEENS1_25partition_config_selectorILNS1_17partition_subalgoE3EjNS0_10empty_typeEbEEZZNS1_14partition_implILS8_3ELb0ES6_jNS0_17counting_iteratorIjlEEPS9_SE_NS0_5tupleIJPjSE_EEENSF_IJSE_SE_EEES9_SG_JZNS1_25segmented_radix_sort_implINS0_14default_configELb1EPKdPdPKlPlN2at6native12_GLOBAL__N_18offset_tEEE10hipError_tPvRmT1_PNSt15iterator_traitsISY_E10value_typeET2_T3_PNSZ_IS14_E10value_typeET4_jRbjT5_S1A_jjP12ihipStream_tbEUljE_EEESV_SW_SX_S14_S18_S1A_T6_T7_T9_mT8_S1C_bDpT10_ENKUlT_T0_E_clISt17integral_constantIbLb1EES1P_EEDaS1K_S1L_EUlS1K_E_NS1_11comp_targetILNS1_3genE2ELNS1_11target_archE906ELNS1_3gpuE6ELNS1_3repE0EEENS1_30default_config_static_selectorELNS0_4arch9wavefront6targetE0EEEvSY_
                                        ; -- End function
	.set _ZN7rocprim17ROCPRIM_400000_NS6detail17trampoline_kernelINS0_13select_configILj256ELj13ELNS0_17block_load_methodE3ELS4_3ELS4_3ELNS0_20block_scan_algorithmE0ELj4294967295EEENS1_25partition_config_selectorILNS1_17partition_subalgoE3EjNS0_10empty_typeEbEEZZNS1_14partition_implILS8_3ELb0ES6_jNS0_17counting_iteratorIjlEEPS9_SE_NS0_5tupleIJPjSE_EEENSF_IJSE_SE_EEES9_SG_JZNS1_25segmented_radix_sort_implINS0_14default_configELb1EPKdPdPKlPlN2at6native12_GLOBAL__N_18offset_tEEE10hipError_tPvRmT1_PNSt15iterator_traitsISY_E10value_typeET2_T3_PNSZ_IS14_E10value_typeET4_jRbjT5_S1A_jjP12ihipStream_tbEUljE_EEESV_SW_SX_S14_S18_S1A_T6_T7_T9_mT8_S1C_bDpT10_ENKUlT_T0_E_clISt17integral_constantIbLb1EES1P_EEDaS1K_S1L_EUlS1K_E_NS1_11comp_targetILNS1_3genE2ELNS1_11target_archE906ELNS1_3gpuE6ELNS1_3repE0EEENS1_30default_config_static_selectorELNS0_4arch9wavefront6targetE0EEEvSY_.num_vgpr, 0
	.set _ZN7rocprim17ROCPRIM_400000_NS6detail17trampoline_kernelINS0_13select_configILj256ELj13ELNS0_17block_load_methodE3ELS4_3ELS4_3ELNS0_20block_scan_algorithmE0ELj4294967295EEENS1_25partition_config_selectorILNS1_17partition_subalgoE3EjNS0_10empty_typeEbEEZZNS1_14partition_implILS8_3ELb0ES6_jNS0_17counting_iteratorIjlEEPS9_SE_NS0_5tupleIJPjSE_EEENSF_IJSE_SE_EEES9_SG_JZNS1_25segmented_radix_sort_implINS0_14default_configELb1EPKdPdPKlPlN2at6native12_GLOBAL__N_18offset_tEEE10hipError_tPvRmT1_PNSt15iterator_traitsISY_E10value_typeET2_T3_PNSZ_IS14_E10value_typeET4_jRbjT5_S1A_jjP12ihipStream_tbEUljE_EEESV_SW_SX_S14_S18_S1A_T6_T7_T9_mT8_S1C_bDpT10_ENKUlT_T0_E_clISt17integral_constantIbLb1EES1P_EEDaS1K_S1L_EUlS1K_E_NS1_11comp_targetILNS1_3genE2ELNS1_11target_archE906ELNS1_3gpuE6ELNS1_3repE0EEENS1_30default_config_static_selectorELNS0_4arch9wavefront6targetE0EEEvSY_.num_agpr, 0
	.set _ZN7rocprim17ROCPRIM_400000_NS6detail17trampoline_kernelINS0_13select_configILj256ELj13ELNS0_17block_load_methodE3ELS4_3ELS4_3ELNS0_20block_scan_algorithmE0ELj4294967295EEENS1_25partition_config_selectorILNS1_17partition_subalgoE3EjNS0_10empty_typeEbEEZZNS1_14partition_implILS8_3ELb0ES6_jNS0_17counting_iteratorIjlEEPS9_SE_NS0_5tupleIJPjSE_EEENSF_IJSE_SE_EEES9_SG_JZNS1_25segmented_radix_sort_implINS0_14default_configELb1EPKdPdPKlPlN2at6native12_GLOBAL__N_18offset_tEEE10hipError_tPvRmT1_PNSt15iterator_traitsISY_E10value_typeET2_T3_PNSZ_IS14_E10value_typeET4_jRbjT5_S1A_jjP12ihipStream_tbEUljE_EEESV_SW_SX_S14_S18_S1A_T6_T7_T9_mT8_S1C_bDpT10_ENKUlT_T0_E_clISt17integral_constantIbLb1EES1P_EEDaS1K_S1L_EUlS1K_E_NS1_11comp_targetILNS1_3genE2ELNS1_11target_archE906ELNS1_3gpuE6ELNS1_3repE0EEENS1_30default_config_static_selectorELNS0_4arch9wavefront6targetE0EEEvSY_.numbered_sgpr, 0
	.set _ZN7rocprim17ROCPRIM_400000_NS6detail17trampoline_kernelINS0_13select_configILj256ELj13ELNS0_17block_load_methodE3ELS4_3ELS4_3ELNS0_20block_scan_algorithmE0ELj4294967295EEENS1_25partition_config_selectorILNS1_17partition_subalgoE3EjNS0_10empty_typeEbEEZZNS1_14partition_implILS8_3ELb0ES6_jNS0_17counting_iteratorIjlEEPS9_SE_NS0_5tupleIJPjSE_EEENSF_IJSE_SE_EEES9_SG_JZNS1_25segmented_radix_sort_implINS0_14default_configELb1EPKdPdPKlPlN2at6native12_GLOBAL__N_18offset_tEEE10hipError_tPvRmT1_PNSt15iterator_traitsISY_E10value_typeET2_T3_PNSZ_IS14_E10value_typeET4_jRbjT5_S1A_jjP12ihipStream_tbEUljE_EEESV_SW_SX_S14_S18_S1A_T6_T7_T9_mT8_S1C_bDpT10_ENKUlT_T0_E_clISt17integral_constantIbLb1EES1P_EEDaS1K_S1L_EUlS1K_E_NS1_11comp_targetILNS1_3genE2ELNS1_11target_archE906ELNS1_3gpuE6ELNS1_3repE0EEENS1_30default_config_static_selectorELNS0_4arch9wavefront6targetE0EEEvSY_.num_named_barrier, 0
	.set _ZN7rocprim17ROCPRIM_400000_NS6detail17trampoline_kernelINS0_13select_configILj256ELj13ELNS0_17block_load_methodE3ELS4_3ELS4_3ELNS0_20block_scan_algorithmE0ELj4294967295EEENS1_25partition_config_selectorILNS1_17partition_subalgoE3EjNS0_10empty_typeEbEEZZNS1_14partition_implILS8_3ELb0ES6_jNS0_17counting_iteratorIjlEEPS9_SE_NS0_5tupleIJPjSE_EEENSF_IJSE_SE_EEES9_SG_JZNS1_25segmented_radix_sort_implINS0_14default_configELb1EPKdPdPKlPlN2at6native12_GLOBAL__N_18offset_tEEE10hipError_tPvRmT1_PNSt15iterator_traitsISY_E10value_typeET2_T3_PNSZ_IS14_E10value_typeET4_jRbjT5_S1A_jjP12ihipStream_tbEUljE_EEESV_SW_SX_S14_S18_S1A_T6_T7_T9_mT8_S1C_bDpT10_ENKUlT_T0_E_clISt17integral_constantIbLb1EES1P_EEDaS1K_S1L_EUlS1K_E_NS1_11comp_targetILNS1_3genE2ELNS1_11target_archE906ELNS1_3gpuE6ELNS1_3repE0EEENS1_30default_config_static_selectorELNS0_4arch9wavefront6targetE0EEEvSY_.private_seg_size, 0
	.set _ZN7rocprim17ROCPRIM_400000_NS6detail17trampoline_kernelINS0_13select_configILj256ELj13ELNS0_17block_load_methodE3ELS4_3ELS4_3ELNS0_20block_scan_algorithmE0ELj4294967295EEENS1_25partition_config_selectorILNS1_17partition_subalgoE3EjNS0_10empty_typeEbEEZZNS1_14partition_implILS8_3ELb0ES6_jNS0_17counting_iteratorIjlEEPS9_SE_NS0_5tupleIJPjSE_EEENSF_IJSE_SE_EEES9_SG_JZNS1_25segmented_radix_sort_implINS0_14default_configELb1EPKdPdPKlPlN2at6native12_GLOBAL__N_18offset_tEEE10hipError_tPvRmT1_PNSt15iterator_traitsISY_E10value_typeET2_T3_PNSZ_IS14_E10value_typeET4_jRbjT5_S1A_jjP12ihipStream_tbEUljE_EEESV_SW_SX_S14_S18_S1A_T6_T7_T9_mT8_S1C_bDpT10_ENKUlT_T0_E_clISt17integral_constantIbLb1EES1P_EEDaS1K_S1L_EUlS1K_E_NS1_11comp_targetILNS1_3genE2ELNS1_11target_archE906ELNS1_3gpuE6ELNS1_3repE0EEENS1_30default_config_static_selectorELNS0_4arch9wavefront6targetE0EEEvSY_.uses_vcc, 0
	.set _ZN7rocprim17ROCPRIM_400000_NS6detail17trampoline_kernelINS0_13select_configILj256ELj13ELNS0_17block_load_methodE3ELS4_3ELS4_3ELNS0_20block_scan_algorithmE0ELj4294967295EEENS1_25partition_config_selectorILNS1_17partition_subalgoE3EjNS0_10empty_typeEbEEZZNS1_14partition_implILS8_3ELb0ES6_jNS0_17counting_iteratorIjlEEPS9_SE_NS0_5tupleIJPjSE_EEENSF_IJSE_SE_EEES9_SG_JZNS1_25segmented_radix_sort_implINS0_14default_configELb1EPKdPdPKlPlN2at6native12_GLOBAL__N_18offset_tEEE10hipError_tPvRmT1_PNSt15iterator_traitsISY_E10value_typeET2_T3_PNSZ_IS14_E10value_typeET4_jRbjT5_S1A_jjP12ihipStream_tbEUljE_EEESV_SW_SX_S14_S18_S1A_T6_T7_T9_mT8_S1C_bDpT10_ENKUlT_T0_E_clISt17integral_constantIbLb1EES1P_EEDaS1K_S1L_EUlS1K_E_NS1_11comp_targetILNS1_3genE2ELNS1_11target_archE906ELNS1_3gpuE6ELNS1_3repE0EEENS1_30default_config_static_selectorELNS0_4arch9wavefront6targetE0EEEvSY_.uses_flat_scratch, 0
	.set _ZN7rocprim17ROCPRIM_400000_NS6detail17trampoline_kernelINS0_13select_configILj256ELj13ELNS0_17block_load_methodE3ELS4_3ELS4_3ELNS0_20block_scan_algorithmE0ELj4294967295EEENS1_25partition_config_selectorILNS1_17partition_subalgoE3EjNS0_10empty_typeEbEEZZNS1_14partition_implILS8_3ELb0ES6_jNS0_17counting_iteratorIjlEEPS9_SE_NS0_5tupleIJPjSE_EEENSF_IJSE_SE_EEES9_SG_JZNS1_25segmented_radix_sort_implINS0_14default_configELb1EPKdPdPKlPlN2at6native12_GLOBAL__N_18offset_tEEE10hipError_tPvRmT1_PNSt15iterator_traitsISY_E10value_typeET2_T3_PNSZ_IS14_E10value_typeET4_jRbjT5_S1A_jjP12ihipStream_tbEUljE_EEESV_SW_SX_S14_S18_S1A_T6_T7_T9_mT8_S1C_bDpT10_ENKUlT_T0_E_clISt17integral_constantIbLb1EES1P_EEDaS1K_S1L_EUlS1K_E_NS1_11comp_targetILNS1_3genE2ELNS1_11target_archE906ELNS1_3gpuE6ELNS1_3repE0EEENS1_30default_config_static_selectorELNS0_4arch9wavefront6targetE0EEEvSY_.has_dyn_sized_stack, 0
	.set _ZN7rocprim17ROCPRIM_400000_NS6detail17trampoline_kernelINS0_13select_configILj256ELj13ELNS0_17block_load_methodE3ELS4_3ELS4_3ELNS0_20block_scan_algorithmE0ELj4294967295EEENS1_25partition_config_selectorILNS1_17partition_subalgoE3EjNS0_10empty_typeEbEEZZNS1_14partition_implILS8_3ELb0ES6_jNS0_17counting_iteratorIjlEEPS9_SE_NS0_5tupleIJPjSE_EEENSF_IJSE_SE_EEES9_SG_JZNS1_25segmented_radix_sort_implINS0_14default_configELb1EPKdPdPKlPlN2at6native12_GLOBAL__N_18offset_tEEE10hipError_tPvRmT1_PNSt15iterator_traitsISY_E10value_typeET2_T3_PNSZ_IS14_E10value_typeET4_jRbjT5_S1A_jjP12ihipStream_tbEUljE_EEESV_SW_SX_S14_S18_S1A_T6_T7_T9_mT8_S1C_bDpT10_ENKUlT_T0_E_clISt17integral_constantIbLb1EES1P_EEDaS1K_S1L_EUlS1K_E_NS1_11comp_targetILNS1_3genE2ELNS1_11target_archE906ELNS1_3gpuE6ELNS1_3repE0EEENS1_30default_config_static_selectorELNS0_4arch9wavefront6targetE0EEEvSY_.has_recursion, 0
	.set _ZN7rocprim17ROCPRIM_400000_NS6detail17trampoline_kernelINS0_13select_configILj256ELj13ELNS0_17block_load_methodE3ELS4_3ELS4_3ELNS0_20block_scan_algorithmE0ELj4294967295EEENS1_25partition_config_selectorILNS1_17partition_subalgoE3EjNS0_10empty_typeEbEEZZNS1_14partition_implILS8_3ELb0ES6_jNS0_17counting_iteratorIjlEEPS9_SE_NS0_5tupleIJPjSE_EEENSF_IJSE_SE_EEES9_SG_JZNS1_25segmented_radix_sort_implINS0_14default_configELb1EPKdPdPKlPlN2at6native12_GLOBAL__N_18offset_tEEE10hipError_tPvRmT1_PNSt15iterator_traitsISY_E10value_typeET2_T3_PNSZ_IS14_E10value_typeET4_jRbjT5_S1A_jjP12ihipStream_tbEUljE_EEESV_SW_SX_S14_S18_S1A_T6_T7_T9_mT8_S1C_bDpT10_ENKUlT_T0_E_clISt17integral_constantIbLb1EES1P_EEDaS1K_S1L_EUlS1K_E_NS1_11comp_targetILNS1_3genE2ELNS1_11target_archE906ELNS1_3gpuE6ELNS1_3repE0EEENS1_30default_config_static_selectorELNS0_4arch9wavefront6targetE0EEEvSY_.has_indirect_call, 0
	.section	.AMDGPU.csdata,"",@progbits
; Kernel info:
; codeLenInByte = 0
; TotalNumSgprs: 0
; NumVgprs: 0
; ScratchSize: 0
; MemoryBound: 0
; FloatMode: 240
; IeeeMode: 1
; LDSByteSize: 0 bytes/workgroup (compile time only)
; SGPRBlocks: 0
; VGPRBlocks: 0
; NumSGPRsForWavesPerEU: 1
; NumVGPRsForWavesPerEU: 1
; Occupancy: 16
; WaveLimiterHint : 0
; COMPUTE_PGM_RSRC2:SCRATCH_EN: 0
; COMPUTE_PGM_RSRC2:USER_SGPR: 6
; COMPUTE_PGM_RSRC2:TRAP_HANDLER: 0
; COMPUTE_PGM_RSRC2:TGID_X_EN: 1
; COMPUTE_PGM_RSRC2:TGID_Y_EN: 0
; COMPUTE_PGM_RSRC2:TGID_Z_EN: 0
; COMPUTE_PGM_RSRC2:TIDIG_COMP_CNT: 0
	.section	.text._ZN7rocprim17ROCPRIM_400000_NS6detail17trampoline_kernelINS0_13select_configILj256ELj13ELNS0_17block_load_methodE3ELS4_3ELS4_3ELNS0_20block_scan_algorithmE0ELj4294967295EEENS1_25partition_config_selectorILNS1_17partition_subalgoE3EjNS0_10empty_typeEbEEZZNS1_14partition_implILS8_3ELb0ES6_jNS0_17counting_iteratorIjlEEPS9_SE_NS0_5tupleIJPjSE_EEENSF_IJSE_SE_EEES9_SG_JZNS1_25segmented_radix_sort_implINS0_14default_configELb1EPKdPdPKlPlN2at6native12_GLOBAL__N_18offset_tEEE10hipError_tPvRmT1_PNSt15iterator_traitsISY_E10value_typeET2_T3_PNSZ_IS14_E10value_typeET4_jRbjT5_S1A_jjP12ihipStream_tbEUljE_EEESV_SW_SX_S14_S18_S1A_T6_T7_T9_mT8_S1C_bDpT10_ENKUlT_T0_E_clISt17integral_constantIbLb1EES1P_EEDaS1K_S1L_EUlS1K_E_NS1_11comp_targetILNS1_3genE10ELNS1_11target_archE1200ELNS1_3gpuE4ELNS1_3repE0EEENS1_30default_config_static_selectorELNS0_4arch9wavefront6targetE0EEEvSY_,"axG",@progbits,_ZN7rocprim17ROCPRIM_400000_NS6detail17trampoline_kernelINS0_13select_configILj256ELj13ELNS0_17block_load_methodE3ELS4_3ELS4_3ELNS0_20block_scan_algorithmE0ELj4294967295EEENS1_25partition_config_selectorILNS1_17partition_subalgoE3EjNS0_10empty_typeEbEEZZNS1_14partition_implILS8_3ELb0ES6_jNS0_17counting_iteratorIjlEEPS9_SE_NS0_5tupleIJPjSE_EEENSF_IJSE_SE_EEES9_SG_JZNS1_25segmented_radix_sort_implINS0_14default_configELb1EPKdPdPKlPlN2at6native12_GLOBAL__N_18offset_tEEE10hipError_tPvRmT1_PNSt15iterator_traitsISY_E10value_typeET2_T3_PNSZ_IS14_E10value_typeET4_jRbjT5_S1A_jjP12ihipStream_tbEUljE_EEESV_SW_SX_S14_S18_S1A_T6_T7_T9_mT8_S1C_bDpT10_ENKUlT_T0_E_clISt17integral_constantIbLb1EES1P_EEDaS1K_S1L_EUlS1K_E_NS1_11comp_targetILNS1_3genE10ELNS1_11target_archE1200ELNS1_3gpuE4ELNS1_3repE0EEENS1_30default_config_static_selectorELNS0_4arch9wavefront6targetE0EEEvSY_,comdat
	.globl	_ZN7rocprim17ROCPRIM_400000_NS6detail17trampoline_kernelINS0_13select_configILj256ELj13ELNS0_17block_load_methodE3ELS4_3ELS4_3ELNS0_20block_scan_algorithmE0ELj4294967295EEENS1_25partition_config_selectorILNS1_17partition_subalgoE3EjNS0_10empty_typeEbEEZZNS1_14partition_implILS8_3ELb0ES6_jNS0_17counting_iteratorIjlEEPS9_SE_NS0_5tupleIJPjSE_EEENSF_IJSE_SE_EEES9_SG_JZNS1_25segmented_radix_sort_implINS0_14default_configELb1EPKdPdPKlPlN2at6native12_GLOBAL__N_18offset_tEEE10hipError_tPvRmT1_PNSt15iterator_traitsISY_E10value_typeET2_T3_PNSZ_IS14_E10value_typeET4_jRbjT5_S1A_jjP12ihipStream_tbEUljE_EEESV_SW_SX_S14_S18_S1A_T6_T7_T9_mT8_S1C_bDpT10_ENKUlT_T0_E_clISt17integral_constantIbLb1EES1P_EEDaS1K_S1L_EUlS1K_E_NS1_11comp_targetILNS1_3genE10ELNS1_11target_archE1200ELNS1_3gpuE4ELNS1_3repE0EEENS1_30default_config_static_selectorELNS0_4arch9wavefront6targetE0EEEvSY_ ; -- Begin function _ZN7rocprim17ROCPRIM_400000_NS6detail17trampoline_kernelINS0_13select_configILj256ELj13ELNS0_17block_load_methodE3ELS4_3ELS4_3ELNS0_20block_scan_algorithmE0ELj4294967295EEENS1_25partition_config_selectorILNS1_17partition_subalgoE3EjNS0_10empty_typeEbEEZZNS1_14partition_implILS8_3ELb0ES6_jNS0_17counting_iteratorIjlEEPS9_SE_NS0_5tupleIJPjSE_EEENSF_IJSE_SE_EEES9_SG_JZNS1_25segmented_radix_sort_implINS0_14default_configELb1EPKdPdPKlPlN2at6native12_GLOBAL__N_18offset_tEEE10hipError_tPvRmT1_PNSt15iterator_traitsISY_E10value_typeET2_T3_PNSZ_IS14_E10value_typeET4_jRbjT5_S1A_jjP12ihipStream_tbEUljE_EEESV_SW_SX_S14_S18_S1A_T6_T7_T9_mT8_S1C_bDpT10_ENKUlT_T0_E_clISt17integral_constantIbLb1EES1P_EEDaS1K_S1L_EUlS1K_E_NS1_11comp_targetILNS1_3genE10ELNS1_11target_archE1200ELNS1_3gpuE4ELNS1_3repE0EEENS1_30default_config_static_selectorELNS0_4arch9wavefront6targetE0EEEvSY_
	.p2align	8
	.type	_ZN7rocprim17ROCPRIM_400000_NS6detail17trampoline_kernelINS0_13select_configILj256ELj13ELNS0_17block_load_methodE3ELS4_3ELS4_3ELNS0_20block_scan_algorithmE0ELj4294967295EEENS1_25partition_config_selectorILNS1_17partition_subalgoE3EjNS0_10empty_typeEbEEZZNS1_14partition_implILS8_3ELb0ES6_jNS0_17counting_iteratorIjlEEPS9_SE_NS0_5tupleIJPjSE_EEENSF_IJSE_SE_EEES9_SG_JZNS1_25segmented_radix_sort_implINS0_14default_configELb1EPKdPdPKlPlN2at6native12_GLOBAL__N_18offset_tEEE10hipError_tPvRmT1_PNSt15iterator_traitsISY_E10value_typeET2_T3_PNSZ_IS14_E10value_typeET4_jRbjT5_S1A_jjP12ihipStream_tbEUljE_EEESV_SW_SX_S14_S18_S1A_T6_T7_T9_mT8_S1C_bDpT10_ENKUlT_T0_E_clISt17integral_constantIbLb1EES1P_EEDaS1K_S1L_EUlS1K_E_NS1_11comp_targetILNS1_3genE10ELNS1_11target_archE1200ELNS1_3gpuE4ELNS1_3repE0EEENS1_30default_config_static_selectorELNS0_4arch9wavefront6targetE0EEEvSY_,@function
_ZN7rocprim17ROCPRIM_400000_NS6detail17trampoline_kernelINS0_13select_configILj256ELj13ELNS0_17block_load_methodE3ELS4_3ELS4_3ELNS0_20block_scan_algorithmE0ELj4294967295EEENS1_25partition_config_selectorILNS1_17partition_subalgoE3EjNS0_10empty_typeEbEEZZNS1_14partition_implILS8_3ELb0ES6_jNS0_17counting_iteratorIjlEEPS9_SE_NS0_5tupleIJPjSE_EEENSF_IJSE_SE_EEES9_SG_JZNS1_25segmented_radix_sort_implINS0_14default_configELb1EPKdPdPKlPlN2at6native12_GLOBAL__N_18offset_tEEE10hipError_tPvRmT1_PNSt15iterator_traitsISY_E10value_typeET2_T3_PNSZ_IS14_E10value_typeET4_jRbjT5_S1A_jjP12ihipStream_tbEUljE_EEESV_SW_SX_S14_S18_S1A_T6_T7_T9_mT8_S1C_bDpT10_ENKUlT_T0_E_clISt17integral_constantIbLb1EES1P_EEDaS1K_S1L_EUlS1K_E_NS1_11comp_targetILNS1_3genE10ELNS1_11target_archE1200ELNS1_3gpuE4ELNS1_3repE0EEENS1_30default_config_static_selectorELNS0_4arch9wavefront6targetE0EEEvSY_: ; @_ZN7rocprim17ROCPRIM_400000_NS6detail17trampoline_kernelINS0_13select_configILj256ELj13ELNS0_17block_load_methodE3ELS4_3ELS4_3ELNS0_20block_scan_algorithmE0ELj4294967295EEENS1_25partition_config_selectorILNS1_17partition_subalgoE3EjNS0_10empty_typeEbEEZZNS1_14partition_implILS8_3ELb0ES6_jNS0_17counting_iteratorIjlEEPS9_SE_NS0_5tupleIJPjSE_EEENSF_IJSE_SE_EEES9_SG_JZNS1_25segmented_radix_sort_implINS0_14default_configELb1EPKdPdPKlPlN2at6native12_GLOBAL__N_18offset_tEEE10hipError_tPvRmT1_PNSt15iterator_traitsISY_E10value_typeET2_T3_PNSZ_IS14_E10value_typeET4_jRbjT5_S1A_jjP12ihipStream_tbEUljE_EEESV_SW_SX_S14_S18_S1A_T6_T7_T9_mT8_S1C_bDpT10_ENKUlT_T0_E_clISt17integral_constantIbLb1EES1P_EEDaS1K_S1L_EUlS1K_E_NS1_11comp_targetILNS1_3genE10ELNS1_11target_archE1200ELNS1_3gpuE4ELNS1_3repE0EEENS1_30default_config_static_selectorELNS0_4arch9wavefront6targetE0EEEvSY_
; %bb.0:
	.section	.rodata,"a",@progbits
	.p2align	6, 0x0
	.amdhsa_kernel _ZN7rocprim17ROCPRIM_400000_NS6detail17trampoline_kernelINS0_13select_configILj256ELj13ELNS0_17block_load_methodE3ELS4_3ELS4_3ELNS0_20block_scan_algorithmE0ELj4294967295EEENS1_25partition_config_selectorILNS1_17partition_subalgoE3EjNS0_10empty_typeEbEEZZNS1_14partition_implILS8_3ELb0ES6_jNS0_17counting_iteratorIjlEEPS9_SE_NS0_5tupleIJPjSE_EEENSF_IJSE_SE_EEES9_SG_JZNS1_25segmented_radix_sort_implINS0_14default_configELb1EPKdPdPKlPlN2at6native12_GLOBAL__N_18offset_tEEE10hipError_tPvRmT1_PNSt15iterator_traitsISY_E10value_typeET2_T3_PNSZ_IS14_E10value_typeET4_jRbjT5_S1A_jjP12ihipStream_tbEUljE_EEESV_SW_SX_S14_S18_S1A_T6_T7_T9_mT8_S1C_bDpT10_ENKUlT_T0_E_clISt17integral_constantIbLb1EES1P_EEDaS1K_S1L_EUlS1K_E_NS1_11comp_targetILNS1_3genE10ELNS1_11target_archE1200ELNS1_3gpuE4ELNS1_3repE0EEENS1_30default_config_static_selectorELNS0_4arch9wavefront6targetE0EEEvSY_
		.amdhsa_group_segment_fixed_size 0
		.amdhsa_private_segment_fixed_size 0
		.amdhsa_kernarg_size 152
		.amdhsa_user_sgpr_count 6
		.amdhsa_user_sgpr_private_segment_buffer 1
		.amdhsa_user_sgpr_dispatch_ptr 0
		.amdhsa_user_sgpr_queue_ptr 0
		.amdhsa_user_sgpr_kernarg_segment_ptr 1
		.amdhsa_user_sgpr_dispatch_id 0
		.amdhsa_user_sgpr_flat_scratch_init 0
		.amdhsa_user_sgpr_private_segment_size 0
		.amdhsa_wavefront_size32 1
		.amdhsa_uses_dynamic_stack 0
		.amdhsa_system_sgpr_private_segment_wavefront_offset 0
		.amdhsa_system_sgpr_workgroup_id_x 1
		.amdhsa_system_sgpr_workgroup_id_y 0
		.amdhsa_system_sgpr_workgroup_id_z 0
		.amdhsa_system_sgpr_workgroup_info 0
		.amdhsa_system_vgpr_workitem_id 0
		.amdhsa_next_free_vgpr 1
		.amdhsa_next_free_sgpr 1
		.amdhsa_reserve_vcc 0
		.amdhsa_reserve_flat_scratch 0
		.amdhsa_float_round_mode_32 0
		.amdhsa_float_round_mode_16_64 0
		.amdhsa_float_denorm_mode_32 3
		.amdhsa_float_denorm_mode_16_64 3
		.amdhsa_dx10_clamp 1
		.amdhsa_ieee_mode 1
		.amdhsa_fp16_overflow 0
		.amdhsa_workgroup_processor_mode 1
		.amdhsa_memory_ordered 1
		.amdhsa_forward_progress 1
		.amdhsa_shared_vgpr_count 0
		.amdhsa_exception_fp_ieee_invalid_op 0
		.amdhsa_exception_fp_denorm_src 0
		.amdhsa_exception_fp_ieee_div_zero 0
		.amdhsa_exception_fp_ieee_overflow 0
		.amdhsa_exception_fp_ieee_underflow 0
		.amdhsa_exception_fp_ieee_inexact 0
		.amdhsa_exception_int_div_zero 0
	.end_amdhsa_kernel
	.section	.text._ZN7rocprim17ROCPRIM_400000_NS6detail17trampoline_kernelINS0_13select_configILj256ELj13ELNS0_17block_load_methodE3ELS4_3ELS4_3ELNS0_20block_scan_algorithmE0ELj4294967295EEENS1_25partition_config_selectorILNS1_17partition_subalgoE3EjNS0_10empty_typeEbEEZZNS1_14partition_implILS8_3ELb0ES6_jNS0_17counting_iteratorIjlEEPS9_SE_NS0_5tupleIJPjSE_EEENSF_IJSE_SE_EEES9_SG_JZNS1_25segmented_radix_sort_implINS0_14default_configELb1EPKdPdPKlPlN2at6native12_GLOBAL__N_18offset_tEEE10hipError_tPvRmT1_PNSt15iterator_traitsISY_E10value_typeET2_T3_PNSZ_IS14_E10value_typeET4_jRbjT5_S1A_jjP12ihipStream_tbEUljE_EEESV_SW_SX_S14_S18_S1A_T6_T7_T9_mT8_S1C_bDpT10_ENKUlT_T0_E_clISt17integral_constantIbLb1EES1P_EEDaS1K_S1L_EUlS1K_E_NS1_11comp_targetILNS1_3genE10ELNS1_11target_archE1200ELNS1_3gpuE4ELNS1_3repE0EEENS1_30default_config_static_selectorELNS0_4arch9wavefront6targetE0EEEvSY_,"axG",@progbits,_ZN7rocprim17ROCPRIM_400000_NS6detail17trampoline_kernelINS0_13select_configILj256ELj13ELNS0_17block_load_methodE3ELS4_3ELS4_3ELNS0_20block_scan_algorithmE0ELj4294967295EEENS1_25partition_config_selectorILNS1_17partition_subalgoE3EjNS0_10empty_typeEbEEZZNS1_14partition_implILS8_3ELb0ES6_jNS0_17counting_iteratorIjlEEPS9_SE_NS0_5tupleIJPjSE_EEENSF_IJSE_SE_EEES9_SG_JZNS1_25segmented_radix_sort_implINS0_14default_configELb1EPKdPdPKlPlN2at6native12_GLOBAL__N_18offset_tEEE10hipError_tPvRmT1_PNSt15iterator_traitsISY_E10value_typeET2_T3_PNSZ_IS14_E10value_typeET4_jRbjT5_S1A_jjP12ihipStream_tbEUljE_EEESV_SW_SX_S14_S18_S1A_T6_T7_T9_mT8_S1C_bDpT10_ENKUlT_T0_E_clISt17integral_constantIbLb1EES1P_EEDaS1K_S1L_EUlS1K_E_NS1_11comp_targetILNS1_3genE10ELNS1_11target_archE1200ELNS1_3gpuE4ELNS1_3repE0EEENS1_30default_config_static_selectorELNS0_4arch9wavefront6targetE0EEEvSY_,comdat
.Lfunc_end1091:
	.size	_ZN7rocprim17ROCPRIM_400000_NS6detail17trampoline_kernelINS0_13select_configILj256ELj13ELNS0_17block_load_methodE3ELS4_3ELS4_3ELNS0_20block_scan_algorithmE0ELj4294967295EEENS1_25partition_config_selectorILNS1_17partition_subalgoE3EjNS0_10empty_typeEbEEZZNS1_14partition_implILS8_3ELb0ES6_jNS0_17counting_iteratorIjlEEPS9_SE_NS0_5tupleIJPjSE_EEENSF_IJSE_SE_EEES9_SG_JZNS1_25segmented_radix_sort_implINS0_14default_configELb1EPKdPdPKlPlN2at6native12_GLOBAL__N_18offset_tEEE10hipError_tPvRmT1_PNSt15iterator_traitsISY_E10value_typeET2_T3_PNSZ_IS14_E10value_typeET4_jRbjT5_S1A_jjP12ihipStream_tbEUljE_EEESV_SW_SX_S14_S18_S1A_T6_T7_T9_mT8_S1C_bDpT10_ENKUlT_T0_E_clISt17integral_constantIbLb1EES1P_EEDaS1K_S1L_EUlS1K_E_NS1_11comp_targetILNS1_3genE10ELNS1_11target_archE1200ELNS1_3gpuE4ELNS1_3repE0EEENS1_30default_config_static_selectorELNS0_4arch9wavefront6targetE0EEEvSY_, .Lfunc_end1091-_ZN7rocprim17ROCPRIM_400000_NS6detail17trampoline_kernelINS0_13select_configILj256ELj13ELNS0_17block_load_methodE3ELS4_3ELS4_3ELNS0_20block_scan_algorithmE0ELj4294967295EEENS1_25partition_config_selectorILNS1_17partition_subalgoE3EjNS0_10empty_typeEbEEZZNS1_14partition_implILS8_3ELb0ES6_jNS0_17counting_iteratorIjlEEPS9_SE_NS0_5tupleIJPjSE_EEENSF_IJSE_SE_EEES9_SG_JZNS1_25segmented_radix_sort_implINS0_14default_configELb1EPKdPdPKlPlN2at6native12_GLOBAL__N_18offset_tEEE10hipError_tPvRmT1_PNSt15iterator_traitsISY_E10value_typeET2_T3_PNSZ_IS14_E10value_typeET4_jRbjT5_S1A_jjP12ihipStream_tbEUljE_EEESV_SW_SX_S14_S18_S1A_T6_T7_T9_mT8_S1C_bDpT10_ENKUlT_T0_E_clISt17integral_constantIbLb1EES1P_EEDaS1K_S1L_EUlS1K_E_NS1_11comp_targetILNS1_3genE10ELNS1_11target_archE1200ELNS1_3gpuE4ELNS1_3repE0EEENS1_30default_config_static_selectorELNS0_4arch9wavefront6targetE0EEEvSY_
                                        ; -- End function
	.set _ZN7rocprim17ROCPRIM_400000_NS6detail17trampoline_kernelINS0_13select_configILj256ELj13ELNS0_17block_load_methodE3ELS4_3ELS4_3ELNS0_20block_scan_algorithmE0ELj4294967295EEENS1_25partition_config_selectorILNS1_17partition_subalgoE3EjNS0_10empty_typeEbEEZZNS1_14partition_implILS8_3ELb0ES6_jNS0_17counting_iteratorIjlEEPS9_SE_NS0_5tupleIJPjSE_EEENSF_IJSE_SE_EEES9_SG_JZNS1_25segmented_radix_sort_implINS0_14default_configELb1EPKdPdPKlPlN2at6native12_GLOBAL__N_18offset_tEEE10hipError_tPvRmT1_PNSt15iterator_traitsISY_E10value_typeET2_T3_PNSZ_IS14_E10value_typeET4_jRbjT5_S1A_jjP12ihipStream_tbEUljE_EEESV_SW_SX_S14_S18_S1A_T6_T7_T9_mT8_S1C_bDpT10_ENKUlT_T0_E_clISt17integral_constantIbLb1EES1P_EEDaS1K_S1L_EUlS1K_E_NS1_11comp_targetILNS1_3genE10ELNS1_11target_archE1200ELNS1_3gpuE4ELNS1_3repE0EEENS1_30default_config_static_selectorELNS0_4arch9wavefront6targetE0EEEvSY_.num_vgpr, 0
	.set _ZN7rocprim17ROCPRIM_400000_NS6detail17trampoline_kernelINS0_13select_configILj256ELj13ELNS0_17block_load_methodE3ELS4_3ELS4_3ELNS0_20block_scan_algorithmE0ELj4294967295EEENS1_25partition_config_selectorILNS1_17partition_subalgoE3EjNS0_10empty_typeEbEEZZNS1_14partition_implILS8_3ELb0ES6_jNS0_17counting_iteratorIjlEEPS9_SE_NS0_5tupleIJPjSE_EEENSF_IJSE_SE_EEES9_SG_JZNS1_25segmented_radix_sort_implINS0_14default_configELb1EPKdPdPKlPlN2at6native12_GLOBAL__N_18offset_tEEE10hipError_tPvRmT1_PNSt15iterator_traitsISY_E10value_typeET2_T3_PNSZ_IS14_E10value_typeET4_jRbjT5_S1A_jjP12ihipStream_tbEUljE_EEESV_SW_SX_S14_S18_S1A_T6_T7_T9_mT8_S1C_bDpT10_ENKUlT_T0_E_clISt17integral_constantIbLb1EES1P_EEDaS1K_S1L_EUlS1K_E_NS1_11comp_targetILNS1_3genE10ELNS1_11target_archE1200ELNS1_3gpuE4ELNS1_3repE0EEENS1_30default_config_static_selectorELNS0_4arch9wavefront6targetE0EEEvSY_.num_agpr, 0
	.set _ZN7rocprim17ROCPRIM_400000_NS6detail17trampoline_kernelINS0_13select_configILj256ELj13ELNS0_17block_load_methodE3ELS4_3ELS4_3ELNS0_20block_scan_algorithmE0ELj4294967295EEENS1_25partition_config_selectorILNS1_17partition_subalgoE3EjNS0_10empty_typeEbEEZZNS1_14partition_implILS8_3ELb0ES6_jNS0_17counting_iteratorIjlEEPS9_SE_NS0_5tupleIJPjSE_EEENSF_IJSE_SE_EEES9_SG_JZNS1_25segmented_radix_sort_implINS0_14default_configELb1EPKdPdPKlPlN2at6native12_GLOBAL__N_18offset_tEEE10hipError_tPvRmT1_PNSt15iterator_traitsISY_E10value_typeET2_T3_PNSZ_IS14_E10value_typeET4_jRbjT5_S1A_jjP12ihipStream_tbEUljE_EEESV_SW_SX_S14_S18_S1A_T6_T7_T9_mT8_S1C_bDpT10_ENKUlT_T0_E_clISt17integral_constantIbLb1EES1P_EEDaS1K_S1L_EUlS1K_E_NS1_11comp_targetILNS1_3genE10ELNS1_11target_archE1200ELNS1_3gpuE4ELNS1_3repE0EEENS1_30default_config_static_selectorELNS0_4arch9wavefront6targetE0EEEvSY_.numbered_sgpr, 0
	.set _ZN7rocprim17ROCPRIM_400000_NS6detail17trampoline_kernelINS0_13select_configILj256ELj13ELNS0_17block_load_methodE3ELS4_3ELS4_3ELNS0_20block_scan_algorithmE0ELj4294967295EEENS1_25partition_config_selectorILNS1_17partition_subalgoE3EjNS0_10empty_typeEbEEZZNS1_14partition_implILS8_3ELb0ES6_jNS0_17counting_iteratorIjlEEPS9_SE_NS0_5tupleIJPjSE_EEENSF_IJSE_SE_EEES9_SG_JZNS1_25segmented_radix_sort_implINS0_14default_configELb1EPKdPdPKlPlN2at6native12_GLOBAL__N_18offset_tEEE10hipError_tPvRmT1_PNSt15iterator_traitsISY_E10value_typeET2_T3_PNSZ_IS14_E10value_typeET4_jRbjT5_S1A_jjP12ihipStream_tbEUljE_EEESV_SW_SX_S14_S18_S1A_T6_T7_T9_mT8_S1C_bDpT10_ENKUlT_T0_E_clISt17integral_constantIbLb1EES1P_EEDaS1K_S1L_EUlS1K_E_NS1_11comp_targetILNS1_3genE10ELNS1_11target_archE1200ELNS1_3gpuE4ELNS1_3repE0EEENS1_30default_config_static_selectorELNS0_4arch9wavefront6targetE0EEEvSY_.num_named_barrier, 0
	.set _ZN7rocprim17ROCPRIM_400000_NS6detail17trampoline_kernelINS0_13select_configILj256ELj13ELNS0_17block_load_methodE3ELS4_3ELS4_3ELNS0_20block_scan_algorithmE0ELj4294967295EEENS1_25partition_config_selectorILNS1_17partition_subalgoE3EjNS0_10empty_typeEbEEZZNS1_14partition_implILS8_3ELb0ES6_jNS0_17counting_iteratorIjlEEPS9_SE_NS0_5tupleIJPjSE_EEENSF_IJSE_SE_EEES9_SG_JZNS1_25segmented_radix_sort_implINS0_14default_configELb1EPKdPdPKlPlN2at6native12_GLOBAL__N_18offset_tEEE10hipError_tPvRmT1_PNSt15iterator_traitsISY_E10value_typeET2_T3_PNSZ_IS14_E10value_typeET4_jRbjT5_S1A_jjP12ihipStream_tbEUljE_EEESV_SW_SX_S14_S18_S1A_T6_T7_T9_mT8_S1C_bDpT10_ENKUlT_T0_E_clISt17integral_constantIbLb1EES1P_EEDaS1K_S1L_EUlS1K_E_NS1_11comp_targetILNS1_3genE10ELNS1_11target_archE1200ELNS1_3gpuE4ELNS1_3repE0EEENS1_30default_config_static_selectorELNS0_4arch9wavefront6targetE0EEEvSY_.private_seg_size, 0
	.set _ZN7rocprim17ROCPRIM_400000_NS6detail17trampoline_kernelINS0_13select_configILj256ELj13ELNS0_17block_load_methodE3ELS4_3ELS4_3ELNS0_20block_scan_algorithmE0ELj4294967295EEENS1_25partition_config_selectorILNS1_17partition_subalgoE3EjNS0_10empty_typeEbEEZZNS1_14partition_implILS8_3ELb0ES6_jNS0_17counting_iteratorIjlEEPS9_SE_NS0_5tupleIJPjSE_EEENSF_IJSE_SE_EEES9_SG_JZNS1_25segmented_radix_sort_implINS0_14default_configELb1EPKdPdPKlPlN2at6native12_GLOBAL__N_18offset_tEEE10hipError_tPvRmT1_PNSt15iterator_traitsISY_E10value_typeET2_T3_PNSZ_IS14_E10value_typeET4_jRbjT5_S1A_jjP12ihipStream_tbEUljE_EEESV_SW_SX_S14_S18_S1A_T6_T7_T9_mT8_S1C_bDpT10_ENKUlT_T0_E_clISt17integral_constantIbLb1EES1P_EEDaS1K_S1L_EUlS1K_E_NS1_11comp_targetILNS1_3genE10ELNS1_11target_archE1200ELNS1_3gpuE4ELNS1_3repE0EEENS1_30default_config_static_selectorELNS0_4arch9wavefront6targetE0EEEvSY_.uses_vcc, 0
	.set _ZN7rocprim17ROCPRIM_400000_NS6detail17trampoline_kernelINS0_13select_configILj256ELj13ELNS0_17block_load_methodE3ELS4_3ELS4_3ELNS0_20block_scan_algorithmE0ELj4294967295EEENS1_25partition_config_selectorILNS1_17partition_subalgoE3EjNS0_10empty_typeEbEEZZNS1_14partition_implILS8_3ELb0ES6_jNS0_17counting_iteratorIjlEEPS9_SE_NS0_5tupleIJPjSE_EEENSF_IJSE_SE_EEES9_SG_JZNS1_25segmented_radix_sort_implINS0_14default_configELb1EPKdPdPKlPlN2at6native12_GLOBAL__N_18offset_tEEE10hipError_tPvRmT1_PNSt15iterator_traitsISY_E10value_typeET2_T3_PNSZ_IS14_E10value_typeET4_jRbjT5_S1A_jjP12ihipStream_tbEUljE_EEESV_SW_SX_S14_S18_S1A_T6_T7_T9_mT8_S1C_bDpT10_ENKUlT_T0_E_clISt17integral_constantIbLb1EES1P_EEDaS1K_S1L_EUlS1K_E_NS1_11comp_targetILNS1_3genE10ELNS1_11target_archE1200ELNS1_3gpuE4ELNS1_3repE0EEENS1_30default_config_static_selectorELNS0_4arch9wavefront6targetE0EEEvSY_.uses_flat_scratch, 0
	.set _ZN7rocprim17ROCPRIM_400000_NS6detail17trampoline_kernelINS0_13select_configILj256ELj13ELNS0_17block_load_methodE3ELS4_3ELS4_3ELNS0_20block_scan_algorithmE0ELj4294967295EEENS1_25partition_config_selectorILNS1_17partition_subalgoE3EjNS0_10empty_typeEbEEZZNS1_14partition_implILS8_3ELb0ES6_jNS0_17counting_iteratorIjlEEPS9_SE_NS0_5tupleIJPjSE_EEENSF_IJSE_SE_EEES9_SG_JZNS1_25segmented_radix_sort_implINS0_14default_configELb1EPKdPdPKlPlN2at6native12_GLOBAL__N_18offset_tEEE10hipError_tPvRmT1_PNSt15iterator_traitsISY_E10value_typeET2_T3_PNSZ_IS14_E10value_typeET4_jRbjT5_S1A_jjP12ihipStream_tbEUljE_EEESV_SW_SX_S14_S18_S1A_T6_T7_T9_mT8_S1C_bDpT10_ENKUlT_T0_E_clISt17integral_constantIbLb1EES1P_EEDaS1K_S1L_EUlS1K_E_NS1_11comp_targetILNS1_3genE10ELNS1_11target_archE1200ELNS1_3gpuE4ELNS1_3repE0EEENS1_30default_config_static_selectorELNS0_4arch9wavefront6targetE0EEEvSY_.has_dyn_sized_stack, 0
	.set _ZN7rocprim17ROCPRIM_400000_NS6detail17trampoline_kernelINS0_13select_configILj256ELj13ELNS0_17block_load_methodE3ELS4_3ELS4_3ELNS0_20block_scan_algorithmE0ELj4294967295EEENS1_25partition_config_selectorILNS1_17partition_subalgoE3EjNS0_10empty_typeEbEEZZNS1_14partition_implILS8_3ELb0ES6_jNS0_17counting_iteratorIjlEEPS9_SE_NS0_5tupleIJPjSE_EEENSF_IJSE_SE_EEES9_SG_JZNS1_25segmented_radix_sort_implINS0_14default_configELb1EPKdPdPKlPlN2at6native12_GLOBAL__N_18offset_tEEE10hipError_tPvRmT1_PNSt15iterator_traitsISY_E10value_typeET2_T3_PNSZ_IS14_E10value_typeET4_jRbjT5_S1A_jjP12ihipStream_tbEUljE_EEESV_SW_SX_S14_S18_S1A_T6_T7_T9_mT8_S1C_bDpT10_ENKUlT_T0_E_clISt17integral_constantIbLb1EES1P_EEDaS1K_S1L_EUlS1K_E_NS1_11comp_targetILNS1_3genE10ELNS1_11target_archE1200ELNS1_3gpuE4ELNS1_3repE0EEENS1_30default_config_static_selectorELNS0_4arch9wavefront6targetE0EEEvSY_.has_recursion, 0
	.set _ZN7rocprim17ROCPRIM_400000_NS6detail17trampoline_kernelINS0_13select_configILj256ELj13ELNS0_17block_load_methodE3ELS4_3ELS4_3ELNS0_20block_scan_algorithmE0ELj4294967295EEENS1_25partition_config_selectorILNS1_17partition_subalgoE3EjNS0_10empty_typeEbEEZZNS1_14partition_implILS8_3ELb0ES6_jNS0_17counting_iteratorIjlEEPS9_SE_NS0_5tupleIJPjSE_EEENSF_IJSE_SE_EEES9_SG_JZNS1_25segmented_radix_sort_implINS0_14default_configELb1EPKdPdPKlPlN2at6native12_GLOBAL__N_18offset_tEEE10hipError_tPvRmT1_PNSt15iterator_traitsISY_E10value_typeET2_T3_PNSZ_IS14_E10value_typeET4_jRbjT5_S1A_jjP12ihipStream_tbEUljE_EEESV_SW_SX_S14_S18_S1A_T6_T7_T9_mT8_S1C_bDpT10_ENKUlT_T0_E_clISt17integral_constantIbLb1EES1P_EEDaS1K_S1L_EUlS1K_E_NS1_11comp_targetILNS1_3genE10ELNS1_11target_archE1200ELNS1_3gpuE4ELNS1_3repE0EEENS1_30default_config_static_selectorELNS0_4arch9wavefront6targetE0EEEvSY_.has_indirect_call, 0
	.section	.AMDGPU.csdata,"",@progbits
; Kernel info:
; codeLenInByte = 0
; TotalNumSgprs: 0
; NumVgprs: 0
; ScratchSize: 0
; MemoryBound: 0
; FloatMode: 240
; IeeeMode: 1
; LDSByteSize: 0 bytes/workgroup (compile time only)
; SGPRBlocks: 0
; VGPRBlocks: 0
; NumSGPRsForWavesPerEU: 1
; NumVGPRsForWavesPerEU: 1
; Occupancy: 16
; WaveLimiterHint : 0
; COMPUTE_PGM_RSRC2:SCRATCH_EN: 0
; COMPUTE_PGM_RSRC2:USER_SGPR: 6
; COMPUTE_PGM_RSRC2:TRAP_HANDLER: 0
; COMPUTE_PGM_RSRC2:TGID_X_EN: 1
; COMPUTE_PGM_RSRC2:TGID_Y_EN: 0
; COMPUTE_PGM_RSRC2:TGID_Z_EN: 0
; COMPUTE_PGM_RSRC2:TIDIG_COMP_CNT: 0
	.section	.text._ZN7rocprim17ROCPRIM_400000_NS6detail17trampoline_kernelINS0_13select_configILj256ELj13ELNS0_17block_load_methodE3ELS4_3ELS4_3ELNS0_20block_scan_algorithmE0ELj4294967295EEENS1_25partition_config_selectorILNS1_17partition_subalgoE3EjNS0_10empty_typeEbEEZZNS1_14partition_implILS8_3ELb0ES6_jNS0_17counting_iteratorIjlEEPS9_SE_NS0_5tupleIJPjSE_EEENSF_IJSE_SE_EEES9_SG_JZNS1_25segmented_radix_sort_implINS0_14default_configELb1EPKdPdPKlPlN2at6native12_GLOBAL__N_18offset_tEEE10hipError_tPvRmT1_PNSt15iterator_traitsISY_E10value_typeET2_T3_PNSZ_IS14_E10value_typeET4_jRbjT5_S1A_jjP12ihipStream_tbEUljE_EEESV_SW_SX_S14_S18_S1A_T6_T7_T9_mT8_S1C_bDpT10_ENKUlT_T0_E_clISt17integral_constantIbLb1EES1P_EEDaS1K_S1L_EUlS1K_E_NS1_11comp_targetILNS1_3genE9ELNS1_11target_archE1100ELNS1_3gpuE3ELNS1_3repE0EEENS1_30default_config_static_selectorELNS0_4arch9wavefront6targetE0EEEvSY_,"axG",@progbits,_ZN7rocprim17ROCPRIM_400000_NS6detail17trampoline_kernelINS0_13select_configILj256ELj13ELNS0_17block_load_methodE3ELS4_3ELS4_3ELNS0_20block_scan_algorithmE0ELj4294967295EEENS1_25partition_config_selectorILNS1_17partition_subalgoE3EjNS0_10empty_typeEbEEZZNS1_14partition_implILS8_3ELb0ES6_jNS0_17counting_iteratorIjlEEPS9_SE_NS0_5tupleIJPjSE_EEENSF_IJSE_SE_EEES9_SG_JZNS1_25segmented_radix_sort_implINS0_14default_configELb1EPKdPdPKlPlN2at6native12_GLOBAL__N_18offset_tEEE10hipError_tPvRmT1_PNSt15iterator_traitsISY_E10value_typeET2_T3_PNSZ_IS14_E10value_typeET4_jRbjT5_S1A_jjP12ihipStream_tbEUljE_EEESV_SW_SX_S14_S18_S1A_T6_T7_T9_mT8_S1C_bDpT10_ENKUlT_T0_E_clISt17integral_constantIbLb1EES1P_EEDaS1K_S1L_EUlS1K_E_NS1_11comp_targetILNS1_3genE9ELNS1_11target_archE1100ELNS1_3gpuE3ELNS1_3repE0EEENS1_30default_config_static_selectorELNS0_4arch9wavefront6targetE0EEEvSY_,comdat
	.globl	_ZN7rocprim17ROCPRIM_400000_NS6detail17trampoline_kernelINS0_13select_configILj256ELj13ELNS0_17block_load_methodE3ELS4_3ELS4_3ELNS0_20block_scan_algorithmE0ELj4294967295EEENS1_25partition_config_selectorILNS1_17partition_subalgoE3EjNS0_10empty_typeEbEEZZNS1_14partition_implILS8_3ELb0ES6_jNS0_17counting_iteratorIjlEEPS9_SE_NS0_5tupleIJPjSE_EEENSF_IJSE_SE_EEES9_SG_JZNS1_25segmented_radix_sort_implINS0_14default_configELb1EPKdPdPKlPlN2at6native12_GLOBAL__N_18offset_tEEE10hipError_tPvRmT1_PNSt15iterator_traitsISY_E10value_typeET2_T3_PNSZ_IS14_E10value_typeET4_jRbjT5_S1A_jjP12ihipStream_tbEUljE_EEESV_SW_SX_S14_S18_S1A_T6_T7_T9_mT8_S1C_bDpT10_ENKUlT_T0_E_clISt17integral_constantIbLb1EES1P_EEDaS1K_S1L_EUlS1K_E_NS1_11comp_targetILNS1_3genE9ELNS1_11target_archE1100ELNS1_3gpuE3ELNS1_3repE0EEENS1_30default_config_static_selectorELNS0_4arch9wavefront6targetE0EEEvSY_ ; -- Begin function _ZN7rocprim17ROCPRIM_400000_NS6detail17trampoline_kernelINS0_13select_configILj256ELj13ELNS0_17block_load_methodE3ELS4_3ELS4_3ELNS0_20block_scan_algorithmE0ELj4294967295EEENS1_25partition_config_selectorILNS1_17partition_subalgoE3EjNS0_10empty_typeEbEEZZNS1_14partition_implILS8_3ELb0ES6_jNS0_17counting_iteratorIjlEEPS9_SE_NS0_5tupleIJPjSE_EEENSF_IJSE_SE_EEES9_SG_JZNS1_25segmented_radix_sort_implINS0_14default_configELb1EPKdPdPKlPlN2at6native12_GLOBAL__N_18offset_tEEE10hipError_tPvRmT1_PNSt15iterator_traitsISY_E10value_typeET2_T3_PNSZ_IS14_E10value_typeET4_jRbjT5_S1A_jjP12ihipStream_tbEUljE_EEESV_SW_SX_S14_S18_S1A_T6_T7_T9_mT8_S1C_bDpT10_ENKUlT_T0_E_clISt17integral_constantIbLb1EES1P_EEDaS1K_S1L_EUlS1K_E_NS1_11comp_targetILNS1_3genE9ELNS1_11target_archE1100ELNS1_3gpuE3ELNS1_3repE0EEENS1_30default_config_static_selectorELNS0_4arch9wavefront6targetE0EEEvSY_
	.p2align	8
	.type	_ZN7rocprim17ROCPRIM_400000_NS6detail17trampoline_kernelINS0_13select_configILj256ELj13ELNS0_17block_load_methodE3ELS4_3ELS4_3ELNS0_20block_scan_algorithmE0ELj4294967295EEENS1_25partition_config_selectorILNS1_17partition_subalgoE3EjNS0_10empty_typeEbEEZZNS1_14partition_implILS8_3ELb0ES6_jNS0_17counting_iteratorIjlEEPS9_SE_NS0_5tupleIJPjSE_EEENSF_IJSE_SE_EEES9_SG_JZNS1_25segmented_radix_sort_implINS0_14default_configELb1EPKdPdPKlPlN2at6native12_GLOBAL__N_18offset_tEEE10hipError_tPvRmT1_PNSt15iterator_traitsISY_E10value_typeET2_T3_PNSZ_IS14_E10value_typeET4_jRbjT5_S1A_jjP12ihipStream_tbEUljE_EEESV_SW_SX_S14_S18_S1A_T6_T7_T9_mT8_S1C_bDpT10_ENKUlT_T0_E_clISt17integral_constantIbLb1EES1P_EEDaS1K_S1L_EUlS1K_E_NS1_11comp_targetILNS1_3genE9ELNS1_11target_archE1100ELNS1_3gpuE3ELNS1_3repE0EEENS1_30default_config_static_selectorELNS0_4arch9wavefront6targetE0EEEvSY_,@function
_ZN7rocprim17ROCPRIM_400000_NS6detail17trampoline_kernelINS0_13select_configILj256ELj13ELNS0_17block_load_methodE3ELS4_3ELS4_3ELNS0_20block_scan_algorithmE0ELj4294967295EEENS1_25partition_config_selectorILNS1_17partition_subalgoE3EjNS0_10empty_typeEbEEZZNS1_14partition_implILS8_3ELb0ES6_jNS0_17counting_iteratorIjlEEPS9_SE_NS0_5tupleIJPjSE_EEENSF_IJSE_SE_EEES9_SG_JZNS1_25segmented_radix_sort_implINS0_14default_configELb1EPKdPdPKlPlN2at6native12_GLOBAL__N_18offset_tEEE10hipError_tPvRmT1_PNSt15iterator_traitsISY_E10value_typeET2_T3_PNSZ_IS14_E10value_typeET4_jRbjT5_S1A_jjP12ihipStream_tbEUljE_EEESV_SW_SX_S14_S18_S1A_T6_T7_T9_mT8_S1C_bDpT10_ENKUlT_T0_E_clISt17integral_constantIbLb1EES1P_EEDaS1K_S1L_EUlS1K_E_NS1_11comp_targetILNS1_3genE9ELNS1_11target_archE1100ELNS1_3gpuE3ELNS1_3repE0EEENS1_30default_config_static_selectorELNS0_4arch9wavefront6targetE0EEEvSY_: ; @_ZN7rocprim17ROCPRIM_400000_NS6detail17trampoline_kernelINS0_13select_configILj256ELj13ELNS0_17block_load_methodE3ELS4_3ELS4_3ELNS0_20block_scan_algorithmE0ELj4294967295EEENS1_25partition_config_selectorILNS1_17partition_subalgoE3EjNS0_10empty_typeEbEEZZNS1_14partition_implILS8_3ELb0ES6_jNS0_17counting_iteratorIjlEEPS9_SE_NS0_5tupleIJPjSE_EEENSF_IJSE_SE_EEES9_SG_JZNS1_25segmented_radix_sort_implINS0_14default_configELb1EPKdPdPKlPlN2at6native12_GLOBAL__N_18offset_tEEE10hipError_tPvRmT1_PNSt15iterator_traitsISY_E10value_typeET2_T3_PNSZ_IS14_E10value_typeET4_jRbjT5_S1A_jjP12ihipStream_tbEUljE_EEESV_SW_SX_S14_S18_S1A_T6_T7_T9_mT8_S1C_bDpT10_ENKUlT_T0_E_clISt17integral_constantIbLb1EES1P_EEDaS1K_S1L_EUlS1K_E_NS1_11comp_targetILNS1_3genE9ELNS1_11target_archE1100ELNS1_3gpuE3ELNS1_3repE0EEENS1_30default_config_static_selectorELNS0_4arch9wavefront6targetE0EEEvSY_
; %bb.0:
	.section	.rodata,"a",@progbits
	.p2align	6, 0x0
	.amdhsa_kernel _ZN7rocprim17ROCPRIM_400000_NS6detail17trampoline_kernelINS0_13select_configILj256ELj13ELNS0_17block_load_methodE3ELS4_3ELS4_3ELNS0_20block_scan_algorithmE0ELj4294967295EEENS1_25partition_config_selectorILNS1_17partition_subalgoE3EjNS0_10empty_typeEbEEZZNS1_14partition_implILS8_3ELb0ES6_jNS0_17counting_iteratorIjlEEPS9_SE_NS0_5tupleIJPjSE_EEENSF_IJSE_SE_EEES9_SG_JZNS1_25segmented_radix_sort_implINS0_14default_configELb1EPKdPdPKlPlN2at6native12_GLOBAL__N_18offset_tEEE10hipError_tPvRmT1_PNSt15iterator_traitsISY_E10value_typeET2_T3_PNSZ_IS14_E10value_typeET4_jRbjT5_S1A_jjP12ihipStream_tbEUljE_EEESV_SW_SX_S14_S18_S1A_T6_T7_T9_mT8_S1C_bDpT10_ENKUlT_T0_E_clISt17integral_constantIbLb1EES1P_EEDaS1K_S1L_EUlS1K_E_NS1_11comp_targetILNS1_3genE9ELNS1_11target_archE1100ELNS1_3gpuE3ELNS1_3repE0EEENS1_30default_config_static_selectorELNS0_4arch9wavefront6targetE0EEEvSY_
		.amdhsa_group_segment_fixed_size 0
		.amdhsa_private_segment_fixed_size 0
		.amdhsa_kernarg_size 152
		.amdhsa_user_sgpr_count 6
		.amdhsa_user_sgpr_private_segment_buffer 1
		.amdhsa_user_sgpr_dispatch_ptr 0
		.amdhsa_user_sgpr_queue_ptr 0
		.amdhsa_user_sgpr_kernarg_segment_ptr 1
		.amdhsa_user_sgpr_dispatch_id 0
		.amdhsa_user_sgpr_flat_scratch_init 0
		.amdhsa_user_sgpr_private_segment_size 0
		.amdhsa_wavefront_size32 1
		.amdhsa_uses_dynamic_stack 0
		.amdhsa_system_sgpr_private_segment_wavefront_offset 0
		.amdhsa_system_sgpr_workgroup_id_x 1
		.amdhsa_system_sgpr_workgroup_id_y 0
		.amdhsa_system_sgpr_workgroup_id_z 0
		.amdhsa_system_sgpr_workgroup_info 0
		.amdhsa_system_vgpr_workitem_id 0
		.amdhsa_next_free_vgpr 1
		.amdhsa_next_free_sgpr 1
		.amdhsa_reserve_vcc 0
		.amdhsa_reserve_flat_scratch 0
		.amdhsa_float_round_mode_32 0
		.amdhsa_float_round_mode_16_64 0
		.amdhsa_float_denorm_mode_32 3
		.amdhsa_float_denorm_mode_16_64 3
		.amdhsa_dx10_clamp 1
		.amdhsa_ieee_mode 1
		.amdhsa_fp16_overflow 0
		.amdhsa_workgroup_processor_mode 1
		.amdhsa_memory_ordered 1
		.amdhsa_forward_progress 1
		.amdhsa_shared_vgpr_count 0
		.amdhsa_exception_fp_ieee_invalid_op 0
		.amdhsa_exception_fp_denorm_src 0
		.amdhsa_exception_fp_ieee_div_zero 0
		.amdhsa_exception_fp_ieee_overflow 0
		.amdhsa_exception_fp_ieee_underflow 0
		.amdhsa_exception_fp_ieee_inexact 0
		.amdhsa_exception_int_div_zero 0
	.end_amdhsa_kernel
	.section	.text._ZN7rocprim17ROCPRIM_400000_NS6detail17trampoline_kernelINS0_13select_configILj256ELj13ELNS0_17block_load_methodE3ELS4_3ELS4_3ELNS0_20block_scan_algorithmE0ELj4294967295EEENS1_25partition_config_selectorILNS1_17partition_subalgoE3EjNS0_10empty_typeEbEEZZNS1_14partition_implILS8_3ELb0ES6_jNS0_17counting_iteratorIjlEEPS9_SE_NS0_5tupleIJPjSE_EEENSF_IJSE_SE_EEES9_SG_JZNS1_25segmented_radix_sort_implINS0_14default_configELb1EPKdPdPKlPlN2at6native12_GLOBAL__N_18offset_tEEE10hipError_tPvRmT1_PNSt15iterator_traitsISY_E10value_typeET2_T3_PNSZ_IS14_E10value_typeET4_jRbjT5_S1A_jjP12ihipStream_tbEUljE_EEESV_SW_SX_S14_S18_S1A_T6_T7_T9_mT8_S1C_bDpT10_ENKUlT_T0_E_clISt17integral_constantIbLb1EES1P_EEDaS1K_S1L_EUlS1K_E_NS1_11comp_targetILNS1_3genE9ELNS1_11target_archE1100ELNS1_3gpuE3ELNS1_3repE0EEENS1_30default_config_static_selectorELNS0_4arch9wavefront6targetE0EEEvSY_,"axG",@progbits,_ZN7rocprim17ROCPRIM_400000_NS6detail17trampoline_kernelINS0_13select_configILj256ELj13ELNS0_17block_load_methodE3ELS4_3ELS4_3ELNS0_20block_scan_algorithmE0ELj4294967295EEENS1_25partition_config_selectorILNS1_17partition_subalgoE3EjNS0_10empty_typeEbEEZZNS1_14partition_implILS8_3ELb0ES6_jNS0_17counting_iteratorIjlEEPS9_SE_NS0_5tupleIJPjSE_EEENSF_IJSE_SE_EEES9_SG_JZNS1_25segmented_radix_sort_implINS0_14default_configELb1EPKdPdPKlPlN2at6native12_GLOBAL__N_18offset_tEEE10hipError_tPvRmT1_PNSt15iterator_traitsISY_E10value_typeET2_T3_PNSZ_IS14_E10value_typeET4_jRbjT5_S1A_jjP12ihipStream_tbEUljE_EEESV_SW_SX_S14_S18_S1A_T6_T7_T9_mT8_S1C_bDpT10_ENKUlT_T0_E_clISt17integral_constantIbLb1EES1P_EEDaS1K_S1L_EUlS1K_E_NS1_11comp_targetILNS1_3genE9ELNS1_11target_archE1100ELNS1_3gpuE3ELNS1_3repE0EEENS1_30default_config_static_selectorELNS0_4arch9wavefront6targetE0EEEvSY_,comdat
.Lfunc_end1092:
	.size	_ZN7rocprim17ROCPRIM_400000_NS6detail17trampoline_kernelINS0_13select_configILj256ELj13ELNS0_17block_load_methodE3ELS4_3ELS4_3ELNS0_20block_scan_algorithmE0ELj4294967295EEENS1_25partition_config_selectorILNS1_17partition_subalgoE3EjNS0_10empty_typeEbEEZZNS1_14partition_implILS8_3ELb0ES6_jNS0_17counting_iteratorIjlEEPS9_SE_NS0_5tupleIJPjSE_EEENSF_IJSE_SE_EEES9_SG_JZNS1_25segmented_radix_sort_implINS0_14default_configELb1EPKdPdPKlPlN2at6native12_GLOBAL__N_18offset_tEEE10hipError_tPvRmT1_PNSt15iterator_traitsISY_E10value_typeET2_T3_PNSZ_IS14_E10value_typeET4_jRbjT5_S1A_jjP12ihipStream_tbEUljE_EEESV_SW_SX_S14_S18_S1A_T6_T7_T9_mT8_S1C_bDpT10_ENKUlT_T0_E_clISt17integral_constantIbLb1EES1P_EEDaS1K_S1L_EUlS1K_E_NS1_11comp_targetILNS1_3genE9ELNS1_11target_archE1100ELNS1_3gpuE3ELNS1_3repE0EEENS1_30default_config_static_selectorELNS0_4arch9wavefront6targetE0EEEvSY_, .Lfunc_end1092-_ZN7rocprim17ROCPRIM_400000_NS6detail17trampoline_kernelINS0_13select_configILj256ELj13ELNS0_17block_load_methodE3ELS4_3ELS4_3ELNS0_20block_scan_algorithmE0ELj4294967295EEENS1_25partition_config_selectorILNS1_17partition_subalgoE3EjNS0_10empty_typeEbEEZZNS1_14partition_implILS8_3ELb0ES6_jNS0_17counting_iteratorIjlEEPS9_SE_NS0_5tupleIJPjSE_EEENSF_IJSE_SE_EEES9_SG_JZNS1_25segmented_radix_sort_implINS0_14default_configELb1EPKdPdPKlPlN2at6native12_GLOBAL__N_18offset_tEEE10hipError_tPvRmT1_PNSt15iterator_traitsISY_E10value_typeET2_T3_PNSZ_IS14_E10value_typeET4_jRbjT5_S1A_jjP12ihipStream_tbEUljE_EEESV_SW_SX_S14_S18_S1A_T6_T7_T9_mT8_S1C_bDpT10_ENKUlT_T0_E_clISt17integral_constantIbLb1EES1P_EEDaS1K_S1L_EUlS1K_E_NS1_11comp_targetILNS1_3genE9ELNS1_11target_archE1100ELNS1_3gpuE3ELNS1_3repE0EEENS1_30default_config_static_selectorELNS0_4arch9wavefront6targetE0EEEvSY_
                                        ; -- End function
	.set _ZN7rocprim17ROCPRIM_400000_NS6detail17trampoline_kernelINS0_13select_configILj256ELj13ELNS0_17block_load_methodE3ELS4_3ELS4_3ELNS0_20block_scan_algorithmE0ELj4294967295EEENS1_25partition_config_selectorILNS1_17partition_subalgoE3EjNS0_10empty_typeEbEEZZNS1_14partition_implILS8_3ELb0ES6_jNS0_17counting_iteratorIjlEEPS9_SE_NS0_5tupleIJPjSE_EEENSF_IJSE_SE_EEES9_SG_JZNS1_25segmented_radix_sort_implINS0_14default_configELb1EPKdPdPKlPlN2at6native12_GLOBAL__N_18offset_tEEE10hipError_tPvRmT1_PNSt15iterator_traitsISY_E10value_typeET2_T3_PNSZ_IS14_E10value_typeET4_jRbjT5_S1A_jjP12ihipStream_tbEUljE_EEESV_SW_SX_S14_S18_S1A_T6_T7_T9_mT8_S1C_bDpT10_ENKUlT_T0_E_clISt17integral_constantIbLb1EES1P_EEDaS1K_S1L_EUlS1K_E_NS1_11comp_targetILNS1_3genE9ELNS1_11target_archE1100ELNS1_3gpuE3ELNS1_3repE0EEENS1_30default_config_static_selectorELNS0_4arch9wavefront6targetE0EEEvSY_.num_vgpr, 0
	.set _ZN7rocprim17ROCPRIM_400000_NS6detail17trampoline_kernelINS0_13select_configILj256ELj13ELNS0_17block_load_methodE3ELS4_3ELS4_3ELNS0_20block_scan_algorithmE0ELj4294967295EEENS1_25partition_config_selectorILNS1_17partition_subalgoE3EjNS0_10empty_typeEbEEZZNS1_14partition_implILS8_3ELb0ES6_jNS0_17counting_iteratorIjlEEPS9_SE_NS0_5tupleIJPjSE_EEENSF_IJSE_SE_EEES9_SG_JZNS1_25segmented_radix_sort_implINS0_14default_configELb1EPKdPdPKlPlN2at6native12_GLOBAL__N_18offset_tEEE10hipError_tPvRmT1_PNSt15iterator_traitsISY_E10value_typeET2_T3_PNSZ_IS14_E10value_typeET4_jRbjT5_S1A_jjP12ihipStream_tbEUljE_EEESV_SW_SX_S14_S18_S1A_T6_T7_T9_mT8_S1C_bDpT10_ENKUlT_T0_E_clISt17integral_constantIbLb1EES1P_EEDaS1K_S1L_EUlS1K_E_NS1_11comp_targetILNS1_3genE9ELNS1_11target_archE1100ELNS1_3gpuE3ELNS1_3repE0EEENS1_30default_config_static_selectorELNS0_4arch9wavefront6targetE0EEEvSY_.num_agpr, 0
	.set _ZN7rocprim17ROCPRIM_400000_NS6detail17trampoline_kernelINS0_13select_configILj256ELj13ELNS0_17block_load_methodE3ELS4_3ELS4_3ELNS0_20block_scan_algorithmE0ELj4294967295EEENS1_25partition_config_selectorILNS1_17partition_subalgoE3EjNS0_10empty_typeEbEEZZNS1_14partition_implILS8_3ELb0ES6_jNS0_17counting_iteratorIjlEEPS9_SE_NS0_5tupleIJPjSE_EEENSF_IJSE_SE_EEES9_SG_JZNS1_25segmented_radix_sort_implINS0_14default_configELb1EPKdPdPKlPlN2at6native12_GLOBAL__N_18offset_tEEE10hipError_tPvRmT1_PNSt15iterator_traitsISY_E10value_typeET2_T3_PNSZ_IS14_E10value_typeET4_jRbjT5_S1A_jjP12ihipStream_tbEUljE_EEESV_SW_SX_S14_S18_S1A_T6_T7_T9_mT8_S1C_bDpT10_ENKUlT_T0_E_clISt17integral_constantIbLb1EES1P_EEDaS1K_S1L_EUlS1K_E_NS1_11comp_targetILNS1_3genE9ELNS1_11target_archE1100ELNS1_3gpuE3ELNS1_3repE0EEENS1_30default_config_static_selectorELNS0_4arch9wavefront6targetE0EEEvSY_.numbered_sgpr, 0
	.set _ZN7rocprim17ROCPRIM_400000_NS6detail17trampoline_kernelINS0_13select_configILj256ELj13ELNS0_17block_load_methodE3ELS4_3ELS4_3ELNS0_20block_scan_algorithmE0ELj4294967295EEENS1_25partition_config_selectorILNS1_17partition_subalgoE3EjNS0_10empty_typeEbEEZZNS1_14partition_implILS8_3ELb0ES6_jNS0_17counting_iteratorIjlEEPS9_SE_NS0_5tupleIJPjSE_EEENSF_IJSE_SE_EEES9_SG_JZNS1_25segmented_radix_sort_implINS0_14default_configELb1EPKdPdPKlPlN2at6native12_GLOBAL__N_18offset_tEEE10hipError_tPvRmT1_PNSt15iterator_traitsISY_E10value_typeET2_T3_PNSZ_IS14_E10value_typeET4_jRbjT5_S1A_jjP12ihipStream_tbEUljE_EEESV_SW_SX_S14_S18_S1A_T6_T7_T9_mT8_S1C_bDpT10_ENKUlT_T0_E_clISt17integral_constantIbLb1EES1P_EEDaS1K_S1L_EUlS1K_E_NS1_11comp_targetILNS1_3genE9ELNS1_11target_archE1100ELNS1_3gpuE3ELNS1_3repE0EEENS1_30default_config_static_selectorELNS0_4arch9wavefront6targetE0EEEvSY_.num_named_barrier, 0
	.set _ZN7rocprim17ROCPRIM_400000_NS6detail17trampoline_kernelINS0_13select_configILj256ELj13ELNS0_17block_load_methodE3ELS4_3ELS4_3ELNS0_20block_scan_algorithmE0ELj4294967295EEENS1_25partition_config_selectorILNS1_17partition_subalgoE3EjNS0_10empty_typeEbEEZZNS1_14partition_implILS8_3ELb0ES6_jNS0_17counting_iteratorIjlEEPS9_SE_NS0_5tupleIJPjSE_EEENSF_IJSE_SE_EEES9_SG_JZNS1_25segmented_radix_sort_implINS0_14default_configELb1EPKdPdPKlPlN2at6native12_GLOBAL__N_18offset_tEEE10hipError_tPvRmT1_PNSt15iterator_traitsISY_E10value_typeET2_T3_PNSZ_IS14_E10value_typeET4_jRbjT5_S1A_jjP12ihipStream_tbEUljE_EEESV_SW_SX_S14_S18_S1A_T6_T7_T9_mT8_S1C_bDpT10_ENKUlT_T0_E_clISt17integral_constantIbLb1EES1P_EEDaS1K_S1L_EUlS1K_E_NS1_11comp_targetILNS1_3genE9ELNS1_11target_archE1100ELNS1_3gpuE3ELNS1_3repE0EEENS1_30default_config_static_selectorELNS0_4arch9wavefront6targetE0EEEvSY_.private_seg_size, 0
	.set _ZN7rocprim17ROCPRIM_400000_NS6detail17trampoline_kernelINS0_13select_configILj256ELj13ELNS0_17block_load_methodE3ELS4_3ELS4_3ELNS0_20block_scan_algorithmE0ELj4294967295EEENS1_25partition_config_selectorILNS1_17partition_subalgoE3EjNS0_10empty_typeEbEEZZNS1_14partition_implILS8_3ELb0ES6_jNS0_17counting_iteratorIjlEEPS9_SE_NS0_5tupleIJPjSE_EEENSF_IJSE_SE_EEES9_SG_JZNS1_25segmented_radix_sort_implINS0_14default_configELb1EPKdPdPKlPlN2at6native12_GLOBAL__N_18offset_tEEE10hipError_tPvRmT1_PNSt15iterator_traitsISY_E10value_typeET2_T3_PNSZ_IS14_E10value_typeET4_jRbjT5_S1A_jjP12ihipStream_tbEUljE_EEESV_SW_SX_S14_S18_S1A_T6_T7_T9_mT8_S1C_bDpT10_ENKUlT_T0_E_clISt17integral_constantIbLb1EES1P_EEDaS1K_S1L_EUlS1K_E_NS1_11comp_targetILNS1_3genE9ELNS1_11target_archE1100ELNS1_3gpuE3ELNS1_3repE0EEENS1_30default_config_static_selectorELNS0_4arch9wavefront6targetE0EEEvSY_.uses_vcc, 0
	.set _ZN7rocprim17ROCPRIM_400000_NS6detail17trampoline_kernelINS0_13select_configILj256ELj13ELNS0_17block_load_methodE3ELS4_3ELS4_3ELNS0_20block_scan_algorithmE0ELj4294967295EEENS1_25partition_config_selectorILNS1_17partition_subalgoE3EjNS0_10empty_typeEbEEZZNS1_14partition_implILS8_3ELb0ES6_jNS0_17counting_iteratorIjlEEPS9_SE_NS0_5tupleIJPjSE_EEENSF_IJSE_SE_EEES9_SG_JZNS1_25segmented_radix_sort_implINS0_14default_configELb1EPKdPdPKlPlN2at6native12_GLOBAL__N_18offset_tEEE10hipError_tPvRmT1_PNSt15iterator_traitsISY_E10value_typeET2_T3_PNSZ_IS14_E10value_typeET4_jRbjT5_S1A_jjP12ihipStream_tbEUljE_EEESV_SW_SX_S14_S18_S1A_T6_T7_T9_mT8_S1C_bDpT10_ENKUlT_T0_E_clISt17integral_constantIbLb1EES1P_EEDaS1K_S1L_EUlS1K_E_NS1_11comp_targetILNS1_3genE9ELNS1_11target_archE1100ELNS1_3gpuE3ELNS1_3repE0EEENS1_30default_config_static_selectorELNS0_4arch9wavefront6targetE0EEEvSY_.uses_flat_scratch, 0
	.set _ZN7rocprim17ROCPRIM_400000_NS6detail17trampoline_kernelINS0_13select_configILj256ELj13ELNS0_17block_load_methodE3ELS4_3ELS4_3ELNS0_20block_scan_algorithmE0ELj4294967295EEENS1_25partition_config_selectorILNS1_17partition_subalgoE3EjNS0_10empty_typeEbEEZZNS1_14partition_implILS8_3ELb0ES6_jNS0_17counting_iteratorIjlEEPS9_SE_NS0_5tupleIJPjSE_EEENSF_IJSE_SE_EEES9_SG_JZNS1_25segmented_radix_sort_implINS0_14default_configELb1EPKdPdPKlPlN2at6native12_GLOBAL__N_18offset_tEEE10hipError_tPvRmT1_PNSt15iterator_traitsISY_E10value_typeET2_T3_PNSZ_IS14_E10value_typeET4_jRbjT5_S1A_jjP12ihipStream_tbEUljE_EEESV_SW_SX_S14_S18_S1A_T6_T7_T9_mT8_S1C_bDpT10_ENKUlT_T0_E_clISt17integral_constantIbLb1EES1P_EEDaS1K_S1L_EUlS1K_E_NS1_11comp_targetILNS1_3genE9ELNS1_11target_archE1100ELNS1_3gpuE3ELNS1_3repE0EEENS1_30default_config_static_selectorELNS0_4arch9wavefront6targetE0EEEvSY_.has_dyn_sized_stack, 0
	.set _ZN7rocprim17ROCPRIM_400000_NS6detail17trampoline_kernelINS0_13select_configILj256ELj13ELNS0_17block_load_methodE3ELS4_3ELS4_3ELNS0_20block_scan_algorithmE0ELj4294967295EEENS1_25partition_config_selectorILNS1_17partition_subalgoE3EjNS0_10empty_typeEbEEZZNS1_14partition_implILS8_3ELb0ES6_jNS0_17counting_iteratorIjlEEPS9_SE_NS0_5tupleIJPjSE_EEENSF_IJSE_SE_EEES9_SG_JZNS1_25segmented_radix_sort_implINS0_14default_configELb1EPKdPdPKlPlN2at6native12_GLOBAL__N_18offset_tEEE10hipError_tPvRmT1_PNSt15iterator_traitsISY_E10value_typeET2_T3_PNSZ_IS14_E10value_typeET4_jRbjT5_S1A_jjP12ihipStream_tbEUljE_EEESV_SW_SX_S14_S18_S1A_T6_T7_T9_mT8_S1C_bDpT10_ENKUlT_T0_E_clISt17integral_constantIbLb1EES1P_EEDaS1K_S1L_EUlS1K_E_NS1_11comp_targetILNS1_3genE9ELNS1_11target_archE1100ELNS1_3gpuE3ELNS1_3repE0EEENS1_30default_config_static_selectorELNS0_4arch9wavefront6targetE0EEEvSY_.has_recursion, 0
	.set _ZN7rocprim17ROCPRIM_400000_NS6detail17trampoline_kernelINS0_13select_configILj256ELj13ELNS0_17block_load_methodE3ELS4_3ELS4_3ELNS0_20block_scan_algorithmE0ELj4294967295EEENS1_25partition_config_selectorILNS1_17partition_subalgoE3EjNS0_10empty_typeEbEEZZNS1_14partition_implILS8_3ELb0ES6_jNS0_17counting_iteratorIjlEEPS9_SE_NS0_5tupleIJPjSE_EEENSF_IJSE_SE_EEES9_SG_JZNS1_25segmented_radix_sort_implINS0_14default_configELb1EPKdPdPKlPlN2at6native12_GLOBAL__N_18offset_tEEE10hipError_tPvRmT1_PNSt15iterator_traitsISY_E10value_typeET2_T3_PNSZ_IS14_E10value_typeET4_jRbjT5_S1A_jjP12ihipStream_tbEUljE_EEESV_SW_SX_S14_S18_S1A_T6_T7_T9_mT8_S1C_bDpT10_ENKUlT_T0_E_clISt17integral_constantIbLb1EES1P_EEDaS1K_S1L_EUlS1K_E_NS1_11comp_targetILNS1_3genE9ELNS1_11target_archE1100ELNS1_3gpuE3ELNS1_3repE0EEENS1_30default_config_static_selectorELNS0_4arch9wavefront6targetE0EEEvSY_.has_indirect_call, 0
	.section	.AMDGPU.csdata,"",@progbits
; Kernel info:
; codeLenInByte = 0
; TotalNumSgprs: 0
; NumVgprs: 0
; ScratchSize: 0
; MemoryBound: 0
; FloatMode: 240
; IeeeMode: 1
; LDSByteSize: 0 bytes/workgroup (compile time only)
; SGPRBlocks: 0
; VGPRBlocks: 0
; NumSGPRsForWavesPerEU: 1
; NumVGPRsForWavesPerEU: 1
; Occupancy: 16
; WaveLimiterHint : 0
; COMPUTE_PGM_RSRC2:SCRATCH_EN: 0
; COMPUTE_PGM_RSRC2:USER_SGPR: 6
; COMPUTE_PGM_RSRC2:TRAP_HANDLER: 0
; COMPUTE_PGM_RSRC2:TGID_X_EN: 1
; COMPUTE_PGM_RSRC2:TGID_Y_EN: 0
; COMPUTE_PGM_RSRC2:TGID_Z_EN: 0
; COMPUTE_PGM_RSRC2:TIDIG_COMP_CNT: 0
	.section	.text._ZN7rocprim17ROCPRIM_400000_NS6detail17trampoline_kernelINS0_13select_configILj256ELj13ELNS0_17block_load_methodE3ELS4_3ELS4_3ELNS0_20block_scan_algorithmE0ELj4294967295EEENS1_25partition_config_selectorILNS1_17partition_subalgoE3EjNS0_10empty_typeEbEEZZNS1_14partition_implILS8_3ELb0ES6_jNS0_17counting_iteratorIjlEEPS9_SE_NS0_5tupleIJPjSE_EEENSF_IJSE_SE_EEES9_SG_JZNS1_25segmented_radix_sort_implINS0_14default_configELb1EPKdPdPKlPlN2at6native12_GLOBAL__N_18offset_tEEE10hipError_tPvRmT1_PNSt15iterator_traitsISY_E10value_typeET2_T3_PNSZ_IS14_E10value_typeET4_jRbjT5_S1A_jjP12ihipStream_tbEUljE_EEESV_SW_SX_S14_S18_S1A_T6_T7_T9_mT8_S1C_bDpT10_ENKUlT_T0_E_clISt17integral_constantIbLb1EES1P_EEDaS1K_S1L_EUlS1K_E_NS1_11comp_targetILNS1_3genE8ELNS1_11target_archE1030ELNS1_3gpuE2ELNS1_3repE0EEENS1_30default_config_static_selectorELNS0_4arch9wavefront6targetE0EEEvSY_,"axG",@progbits,_ZN7rocprim17ROCPRIM_400000_NS6detail17trampoline_kernelINS0_13select_configILj256ELj13ELNS0_17block_load_methodE3ELS4_3ELS4_3ELNS0_20block_scan_algorithmE0ELj4294967295EEENS1_25partition_config_selectorILNS1_17partition_subalgoE3EjNS0_10empty_typeEbEEZZNS1_14partition_implILS8_3ELb0ES6_jNS0_17counting_iteratorIjlEEPS9_SE_NS0_5tupleIJPjSE_EEENSF_IJSE_SE_EEES9_SG_JZNS1_25segmented_radix_sort_implINS0_14default_configELb1EPKdPdPKlPlN2at6native12_GLOBAL__N_18offset_tEEE10hipError_tPvRmT1_PNSt15iterator_traitsISY_E10value_typeET2_T3_PNSZ_IS14_E10value_typeET4_jRbjT5_S1A_jjP12ihipStream_tbEUljE_EEESV_SW_SX_S14_S18_S1A_T6_T7_T9_mT8_S1C_bDpT10_ENKUlT_T0_E_clISt17integral_constantIbLb1EES1P_EEDaS1K_S1L_EUlS1K_E_NS1_11comp_targetILNS1_3genE8ELNS1_11target_archE1030ELNS1_3gpuE2ELNS1_3repE0EEENS1_30default_config_static_selectorELNS0_4arch9wavefront6targetE0EEEvSY_,comdat
	.globl	_ZN7rocprim17ROCPRIM_400000_NS6detail17trampoline_kernelINS0_13select_configILj256ELj13ELNS0_17block_load_methodE3ELS4_3ELS4_3ELNS0_20block_scan_algorithmE0ELj4294967295EEENS1_25partition_config_selectorILNS1_17partition_subalgoE3EjNS0_10empty_typeEbEEZZNS1_14partition_implILS8_3ELb0ES6_jNS0_17counting_iteratorIjlEEPS9_SE_NS0_5tupleIJPjSE_EEENSF_IJSE_SE_EEES9_SG_JZNS1_25segmented_radix_sort_implINS0_14default_configELb1EPKdPdPKlPlN2at6native12_GLOBAL__N_18offset_tEEE10hipError_tPvRmT1_PNSt15iterator_traitsISY_E10value_typeET2_T3_PNSZ_IS14_E10value_typeET4_jRbjT5_S1A_jjP12ihipStream_tbEUljE_EEESV_SW_SX_S14_S18_S1A_T6_T7_T9_mT8_S1C_bDpT10_ENKUlT_T0_E_clISt17integral_constantIbLb1EES1P_EEDaS1K_S1L_EUlS1K_E_NS1_11comp_targetILNS1_3genE8ELNS1_11target_archE1030ELNS1_3gpuE2ELNS1_3repE0EEENS1_30default_config_static_selectorELNS0_4arch9wavefront6targetE0EEEvSY_ ; -- Begin function _ZN7rocprim17ROCPRIM_400000_NS6detail17trampoline_kernelINS0_13select_configILj256ELj13ELNS0_17block_load_methodE3ELS4_3ELS4_3ELNS0_20block_scan_algorithmE0ELj4294967295EEENS1_25partition_config_selectorILNS1_17partition_subalgoE3EjNS0_10empty_typeEbEEZZNS1_14partition_implILS8_3ELb0ES6_jNS0_17counting_iteratorIjlEEPS9_SE_NS0_5tupleIJPjSE_EEENSF_IJSE_SE_EEES9_SG_JZNS1_25segmented_radix_sort_implINS0_14default_configELb1EPKdPdPKlPlN2at6native12_GLOBAL__N_18offset_tEEE10hipError_tPvRmT1_PNSt15iterator_traitsISY_E10value_typeET2_T3_PNSZ_IS14_E10value_typeET4_jRbjT5_S1A_jjP12ihipStream_tbEUljE_EEESV_SW_SX_S14_S18_S1A_T6_T7_T9_mT8_S1C_bDpT10_ENKUlT_T0_E_clISt17integral_constantIbLb1EES1P_EEDaS1K_S1L_EUlS1K_E_NS1_11comp_targetILNS1_3genE8ELNS1_11target_archE1030ELNS1_3gpuE2ELNS1_3repE0EEENS1_30default_config_static_selectorELNS0_4arch9wavefront6targetE0EEEvSY_
	.p2align	8
	.type	_ZN7rocprim17ROCPRIM_400000_NS6detail17trampoline_kernelINS0_13select_configILj256ELj13ELNS0_17block_load_methodE3ELS4_3ELS4_3ELNS0_20block_scan_algorithmE0ELj4294967295EEENS1_25partition_config_selectorILNS1_17partition_subalgoE3EjNS0_10empty_typeEbEEZZNS1_14partition_implILS8_3ELb0ES6_jNS0_17counting_iteratorIjlEEPS9_SE_NS0_5tupleIJPjSE_EEENSF_IJSE_SE_EEES9_SG_JZNS1_25segmented_radix_sort_implINS0_14default_configELb1EPKdPdPKlPlN2at6native12_GLOBAL__N_18offset_tEEE10hipError_tPvRmT1_PNSt15iterator_traitsISY_E10value_typeET2_T3_PNSZ_IS14_E10value_typeET4_jRbjT5_S1A_jjP12ihipStream_tbEUljE_EEESV_SW_SX_S14_S18_S1A_T6_T7_T9_mT8_S1C_bDpT10_ENKUlT_T0_E_clISt17integral_constantIbLb1EES1P_EEDaS1K_S1L_EUlS1K_E_NS1_11comp_targetILNS1_3genE8ELNS1_11target_archE1030ELNS1_3gpuE2ELNS1_3repE0EEENS1_30default_config_static_selectorELNS0_4arch9wavefront6targetE0EEEvSY_,@function
_ZN7rocprim17ROCPRIM_400000_NS6detail17trampoline_kernelINS0_13select_configILj256ELj13ELNS0_17block_load_methodE3ELS4_3ELS4_3ELNS0_20block_scan_algorithmE0ELj4294967295EEENS1_25partition_config_selectorILNS1_17partition_subalgoE3EjNS0_10empty_typeEbEEZZNS1_14partition_implILS8_3ELb0ES6_jNS0_17counting_iteratorIjlEEPS9_SE_NS0_5tupleIJPjSE_EEENSF_IJSE_SE_EEES9_SG_JZNS1_25segmented_radix_sort_implINS0_14default_configELb1EPKdPdPKlPlN2at6native12_GLOBAL__N_18offset_tEEE10hipError_tPvRmT1_PNSt15iterator_traitsISY_E10value_typeET2_T3_PNSZ_IS14_E10value_typeET4_jRbjT5_S1A_jjP12ihipStream_tbEUljE_EEESV_SW_SX_S14_S18_S1A_T6_T7_T9_mT8_S1C_bDpT10_ENKUlT_T0_E_clISt17integral_constantIbLb1EES1P_EEDaS1K_S1L_EUlS1K_E_NS1_11comp_targetILNS1_3genE8ELNS1_11target_archE1030ELNS1_3gpuE2ELNS1_3repE0EEENS1_30default_config_static_selectorELNS0_4arch9wavefront6targetE0EEEvSY_: ; @_ZN7rocprim17ROCPRIM_400000_NS6detail17trampoline_kernelINS0_13select_configILj256ELj13ELNS0_17block_load_methodE3ELS4_3ELS4_3ELNS0_20block_scan_algorithmE0ELj4294967295EEENS1_25partition_config_selectorILNS1_17partition_subalgoE3EjNS0_10empty_typeEbEEZZNS1_14partition_implILS8_3ELb0ES6_jNS0_17counting_iteratorIjlEEPS9_SE_NS0_5tupleIJPjSE_EEENSF_IJSE_SE_EEES9_SG_JZNS1_25segmented_radix_sort_implINS0_14default_configELb1EPKdPdPKlPlN2at6native12_GLOBAL__N_18offset_tEEE10hipError_tPvRmT1_PNSt15iterator_traitsISY_E10value_typeET2_T3_PNSZ_IS14_E10value_typeET4_jRbjT5_S1A_jjP12ihipStream_tbEUljE_EEESV_SW_SX_S14_S18_S1A_T6_T7_T9_mT8_S1C_bDpT10_ENKUlT_T0_E_clISt17integral_constantIbLb1EES1P_EEDaS1K_S1L_EUlS1K_E_NS1_11comp_targetILNS1_3genE8ELNS1_11target_archE1030ELNS1_3gpuE2ELNS1_3repE0EEENS1_30default_config_static_selectorELNS0_4arch9wavefront6targetE0EEEvSY_
; %bb.0:
	s_endpgm
	.section	.rodata,"a",@progbits
	.p2align	6, 0x0
	.amdhsa_kernel _ZN7rocprim17ROCPRIM_400000_NS6detail17trampoline_kernelINS0_13select_configILj256ELj13ELNS0_17block_load_methodE3ELS4_3ELS4_3ELNS0_20block_scan_algorithmE0ELj4294967295EEENS1_25partition_config_selectorILNS1_17partition_subalgoE3EjNS0_10empty_typeEbEEZZNS1_14partition_implILS8_3ELb0ES6_jNS0_17counting_iteratorIjlEEPS9_SE_NS0_5tupleIJPjSE_EEENSF_IJSE_SE_EEES9_SG_JZNS1_25segmented_radix_sort_implINS0_14default_configELb1EPKdPdPKlPlN2at6native12_GLOBAL__N_18offset_tEEE10hipError_tPvRmT1_PNSt15iterator_traitsISY_E10value_typeET2_T3_PNSZ_IS14_E10value_typeET4_jRbjT5_S1A_jjP12ihipStream_tbEUljE_EEESV_SW_SX_S14_S18_S1A_T6_T7_T9_mT8_S1C_bDpT10_ENKUlT_T0_E_clISt17integral_constantIbLb1EES1P_EEDaS1K_S1L_EUlS1K_E_NS1_11comp_targetILNS1_3genE8ELNS1_11target_archE1030ELNS1_3gpuE2ELNS1_3repE0EEENS1_30default_config_static_selectorELNS0_4arch9wavefront6targetE0EEEvSY_
		.amdhsa_group_segment_fixed_size 0
		.amdhsa_private_segment_fixed_size 0
		.amdhsa_kernarg_size 152
		.amdhsa_user_sgpr_count 6
		.amdhsa_user_sgpr_private_segment_buffer 1
		.amdhsa_user_sgpr_dispatch_ptr 0
		.amdhsa_user_sgpr_queue_ptr 0
		.amdhsa_user_sgpr_kernarg_segment_ptr 1
		.amdhsa_user_sgpr_dispatch_id 0
		.amdhsa_user_sgpr_flat_scratch_init 0
		.amdhsa_user_sgpr_private_segment_size 0
		.amdhsa_wavefront_size32 1
		.amdhsa_uses_dynamic_stack 0
		.amdhsa_system_sgpr_private_segment_wavefront_offset 0
		.amdhsa_system_sgpr_workgroup_id_x 1
		.amdhsa_system_sgpr_workgroup_id_y 0
		.amdhsa_system_sgpr_workgroup_id_z 0
		.amdhsa_system_sgpr_workgroup_info 0
		.amdhsa_system_vgpr_workitem_id 0
		.amdhsa_next_free_vgpr 1
		.amdhsa_next_free_sgpr 1
		.amdhsa_reserve_vcc 0
		.amdhsa_reserve_flat_scratch 0
		.amdhsa_float_round_mode_32 0
		.amdhsa_float_round_mode_16_64 0
		.amdhsa_float_denorm_mode_32 3
		.amdhsa_float_denorm_mode_16_64 3
		.amdhsa_dx10_clamp 1
		.amdhsa_ieee_mode 1
		.amdhsa_fp16_overflow 0
		.amdhsa_workgroup_processor_mode 1
		.amdhsa_memory_ordered 1
		.amdhsa_forward_progress 1
		.amdhsa_shared_vgpr_count 0
		.amdhsa_exception_fp_ieee_invalid_op 0
		.amdhsa_exception_fp_denorm_src 0
		.amdhsa_exception_fp_ieee_div_zero 0
		.amdhsa_exception_fp_ieee_overflow 0
		.amdhsa_exception_fp_ieee_underflow 0
		.amdhsa_exception_fp_ieee_inexact 0
		.amdhsa_exception_int_div_zero 0
	.end_amdhsa_kernel
	.section	.text._ZN7rocprim17ROCPRIM_400000_NS6detail17trampoline_kernelINS0_13select_configILj256ELj13ELNS0_17block_load_methodE3ELS4_3ELS4_3ELNS0_20block_scan_algorithmE0ELj4294967295EEENS1_25partition_config_selectorILNS1_17partition_subalgoE3EjNS0_10empty_typeEbEEZZNS1_14partition_implILS8_3ELb0ES6_jNS0_17counting_iteratorIjlEEPS9_SE_NS0_5tupleIJPjSE_EEENSF_IJSE_SE_EEES9_SG_JZNS1_25segmented_radix_sort_implINS0_14default_configELb1EPKdPdPKlPlN2at6native12_GLOBAL__N_18offset_tEEE10hipError_tPvRmT1_PNSt15iterator_traitsISY_E10value_typeET2_T3_PNSZ_IS14_E10value_typeET4_jRbjT5_S1A_jjP12ihipStream_tbEUljE_EEESV_SW_SX_S14_S18_S1A_T6_T7_T9_mT8_S1C_bDpT10_ENKUlT_T0_E_clISt17integral_constantIbLb1EES1P_EEDaS1K_S1L_EUlS1K_E_NS1_11comp_targetILNS1_3genE8ELNS1_11target_archE1030ELNS1_3gpuE2ELNS1_3repE0EEENS1_30default_config_static_selectorELNS0_4arch9wavefront6targetE0EEEvSY_,"axG",@progbits,_ZN7rocprim17ROCPRIM_400000_NS6detail17trampoline_kernelINS0_13select_configILj256ELj13ELNS0_17block_load_methodE3ELS4_3ELS4_3ELNS0_20block_scan_algorithmE0ELj4294967295EEENS1_25partition_config_selectorILNS1_17partition_subalgoE3EjNS0_10empty_typeEbEEZZNS1_14partition_implILS8_3ELb0ES6_jNS0_17counting_iteratorIjlEEPS9_SE_NS0_5tupleIJPjSE_EEENSF_IJSE_SE_EEES9_SG_JZNS1_25segmented_radix_sort_implINS0_14default_configELb1EPKdPdPKlPlN2at6native12_GLOBAL__N_18offset_tEEE10hipError_tPvRmT1_PNSt15iterator_traitsISY_E10value_typeET2_T3_PNSZ_IS14_E10value_typeET4_jRbjT5_S1A_jjP12ihipStream_tbEUljE_EEESV_SW_SX_S14_S18_S1A_T6_T7_T9_mT8_S1C_bDpT10_ENKUlT_T0_E_clISt17integral_constantIbLb1EES1P_EEDaS1K_S1L_EUlS1K_E_NS1_11comp_targetILNS1_3genE8ELNS1_11target_archE1030ELNS1_3gpuE2ELNS1_3repE0EEENS1_30default_config_static_selectorELNS0_4arch9wavefront6targetE0EEEvSY_,comdat
.Lfunc_end1093:
	.size	_ZN7rocprim17ROCPRIM_400000_NS6detail17trampoline_kernelINS0_13select_configILj256ELj13ELNS0_17block_load_methodE3ELS4_3ELS4_3ELNS0_20block_scan_algorithmE0ELj4294967295EEENS1_25partition_config_selectorILNS1_17partition_subalgoE3EjNS0_10empty_typeEbEEZZNS1_14partition_implILS8_3ELb0ES6_jNS0_17counting_iteratorIjlEEPS9_SE_NS0_5tupleIJPjSE_EEENSF_IJSE_SE_EEES9_SG_JZNS1_25segmented_radix_sort_implINS0_14default_configELb1EPKdPdPKlPlN2at6native12_GLOBAL__N_18offset_tEEE10hipError_tPvRmT1_PNSt15iterator_traitsISY_E10value_typeET2_T3_PNSZ_IS14_E10value_typeET4_jRbjT5_S1A_jjP12ihipStream_tbEUljE_EEESV_SW_SX_S14_S18_S1A_T6_T7_T9_mT8_S1C_bDpT10_ENKUlT_T0_E_clISt17integral_constantIbLb1EES1P_EEDaS1K_S1L_EUlS1K_E_NS1_11comp_targetILNS1_3genE8ELNS1_11target_archE1030ELNS1_3gpuE2ELNS1_3repE0EEENS1_30default_config_static_selectorELNS0_4arch9wavefront6targetE0EEEvSY_, .Lfunc_end1093-_ZN7rocprim17ROCPRIM_400000_NS6detail17trampoline_kernelINS0_13select_configILj256ELj13ELNS0_17block_load_methodE3ELS4_3ELS4_3ELNS0_20block_scan_algorithmE0ELj4294967295EEENS1_25partition_config_selectorILNS1_17partition_subalgoE3EjNS0_10empty_typeEbEEZZNS1_14partition_implILS8_3ELb0ES6_jNS0_17counting_iteratorIjlEEPS9_SE_NS0_5tupleIJPjSE_EEENSF_IJSE_SE_EEES9_SG_JZNS1_25segmented_radix_sort_implINS0_14default_configELb1EPKdPdPKlPlN2at6native12_GLOBAL__N_18offset_tEEE10hipError_tPvRmT1_PNSt15iterator_traitsISY_E10value_typeET2_T3_PNSZ_IS14_E10value_typeET4_jRbjT5_S1A_jjP12ihipStream_tbEUljE_EEESV_SW_SX_S14_S18_S1A_T6_T7_T9_mT8_S1C_bDpT10_ENKUlT_T0_E_clISt17integral_constantIbLb1EES1P_EEDaS1K_S1L_EUlS1K_E_NS1_11comp_targetILNS1_3genE8ELNS1_11target_archE1030ELNS1_3gpuE2ELNS1_3repE0EEENS1_30default_config_static_selectorELNS0_4arch9wavefront6targetE0EEEvSY_
                                        ; -- End function
	.set _ZN7rocprim17ROCPRIM_400000_NS6detail17trampoline_kernelINS0_13select_configILj256ELj13ELNS0_17block_load_methodE3ELS4_3ELS4_3ELNS0_20block_scan_algorithmE0ELj4294967295EEENS1_25partition_config_selectorILNS1_17partition_subalgoE3EjNS0_10empty_typeEbEEZZNS1_14partition_implILS8_3ELb0ES6_jNS0_17counting_iteratorIjlEEPS9_SE_NS0_5tupleIJPjSE_EEENSF_IJSE_SE_EEES9_SG_JZNS1_25segmented_radix_sort_implINS0_14default_configELb1EPKdPdPKlPlN2at6native12_GLOBAL__N_18offset_tEEE10hipError_tPvRmT1_PNSt15iterator_traitsISY_E10value_typeET2_T3_PNSZ_IS14_E10value_typeET4_jRbjT5_S1A_jjP12ihipStream_tbEUljE_EEESV_SW_SX_S14_S18_S1A_T6_T7_T9_mT8_S1C_bDpT10_ENKUlT_T0_E_clISt17integral_constantIbLb1EES1P_EEDaS1K_S1L_EUlS1K_E_NS1_11comp_targetILNS1_3genE8ELNS1_11target_archE1030ELNS1_3gpuE2ELNS1_3repE0EEENS1_30default_config_static_selectorELNS0_4arch9wavefront6targetE0EEEvSY_.num_vgpr, 0
	.set _ZN7rocprim17ROCPRIM_400000_NS6detail17trampoline_kernelINS0_13select_configILj256ELj13ELNS0_17block_load_methodE3ELS4_3ELS4_3ELNS0_20block_scan_algorithmE0ELj4294967295EEENS1_25partition_config_selectorILNS1_17partition_subalgoE3EjNS0_10empty_typeEbEEZZNS1_14partition_implILS8_3ELb0ES6_jNS0_17counting_iteratorIjlEEPS9_SE_NS0_5tupleIJPjSE_EEENSF_IJSE_SE_EEES9_SG_JZNS1_25segmented_radix_sort_implINS0_14default_configELb1EPKdPdPKlPlN2at6native12_GLOBAL__N_18offset_tEEE10hipError_tPvRmT1_PNSt15iterator_traitsISY_E10value_typeET2_T3_PNSZ_IS14_E10value_typeET4_jRbjT5_S1A_jjP12ihipStream_tbEUljE_EEESV_SW_SX_S14_S18_S1A_T6_T7_T9_mT8_S1C_bDpT10_ENKUlT_T0_E_clISt17integral_constantIbLb1EES1P_EEDaS1K_S1L_EUlS1K_E_NS1_11comp_targetILNS1_3genE8ELNS1_11target_archE1030ELNS1_3gpuE2ELNS1_3repE0EEENS1_30default_config_static_selectorELNS0_4arch9wavefront6targetE0EEEvSY_.num_agpr, 0
	.set _ZN7rocprim17ROCPRIM_400000_NS6detail17trampoline_kernelINS0_13select_configILj256ELj13ELNS0_17block_load_methodE3ELS4_3ELS4_3ELNS0_20block_scan_algorithmE0ELj4294967295EEENS1_25partition_config_selectorILNS1_17partition_subalgoE3EjNS0_10empty_typeEbEEZZNS1_14partition_implILS8_3ELb0ES6_jNS0_17counting_iteratorIjlEEPS9_SE_NS0_5tupleIJPjSE_EEENSF_IJSE_SE_EEES9_SG_JZNS1_25segmented_radix_sort_implINS0_14default_configELb1EPKdPdPKlPlN2at6native12_GLOBAL__N_18offset_tEEE10hipError_tPvRmT1_PNSt15iterator_traitsISY_E10value_typeET2_T3_PNSZ_IS14_E10value_typeET4_jRbjT5_S1A_jjP12ihipStream_tbEUljE_EEESV_SW_SX_S14_S18_S1A_T6_T7_T9_mT8_S1C_bDpT10_ENKUlT_T0_E_clISt17integral_constantIbLb1EES1P_EEDaS1K_S1L_EUlS1K_E_NS1_11comp_targetILNS1_3genE8ELNS1_11target_archE1030ELNS1_3gpuE2ELNS1_3repE0EEENS1_30default_config_static_selectorELNS0_4arch9wavefront6targetE0EEEvSY_.numbered_sgpr, 0
	.set _ZN7rocprim17ROCPRIM_400000_NS6detail17trampoline_kernelINS0_13select_configILj256ELj13ELNS0_17block_load_methodE3ELS4_3ELS4_3ELNS0_20block_scan_algorithmE0ELj4294967295EEENS1_25partition_config_selectorILNS1_17partition_subalgoE3EjNS0_10empty_typeEbEEZZNS1_14partition_implILS8_3ELb0ES6_jNS0_17counting_iteratorIjlEEPS9_SE_NS0_5tupleIJPjSE_EEENSF_IJSE_SE_EEES9_SG_JZNS1_25segmented_radix_sort_implINS0_14default_configELb1EPKdPdPKlPlN2at6native12_GLOBAL__N_18offset_tEEE10hipError_tPvRmT1_PNSt15iterator_traitsISY_E10value_typeET2_T3_PNSZ_IS14_E10value_typeET4_jRbjT5_S1A_jjP12ihipStream_tbEUljE_EEESV_SW_SX_S14_S18_S1A_T6_T7_T9_mT8_S1C_bDpT10_ENKUlT_T0_E_clISt17integral_constantIbLb1EES1P_EEDaS1K_S1L_EUlS1K_E_NS1_11comp_targetILNS1_3genE8ELNS1_11target_archE1030ELNS1_3gpuE2ELNS1_3repE0EEENS1_30default_config_static_selectorELNS0_4arch9wavefront6targetE0EEEvSY_.num_named_barrier, 0
	.set _ZN7rocprim17ROCPRIM_400000_NS6detail17trampoline_kernelINS0_13select_configILj256ELj13ELNS0_17block_load_methodE3ELS4_3ELS4_3ELNS0_20block_scan_algorithmE0ELj4294967295EEENS1_25partition_config_selectorILNS1_17partition_subalgoE3EjNS0_10empty_typeEbEEZZNS1_14partition_implILS8_3ELb0ES6_jNS0_17counting_iteratorIjlEEPS9_SE_NS0_5tupleIJPjSE_EEENSF_IJSE_SE_EEES9_SG_JZNS1_25segmented_radix_sort_implINS0_14default_configELb1EPKdPdPKlPlN2at6native12_GLOBAL__N_18offset_tEEE10hipError_tPvRmT1_PNSt15iterator_traitsISY_E10value_typeET2_T3_PNSZ_IS14_E10value_typeET4_jRbjT5_S1A_jjP12ihipStream_tbEUljE_EEESV_SW_SX_S14_S18_S1A_T6_T7_T9_mT8_S1C_bDpT10_ENKUlT_T0_E_clISt17integral_constantIbLb1EES1P_EEDaS1K_S1L_EUlS1K_E_NS1_11comp_targetILNS1_3genE8ELNS1_11target_archE1030ELNS1_3gpuE2ELNS1_3repE0EEENS1_30default_config_static_selectorELNS0_4arch9wavefront6targetE0EEEvSY_.private_seg_size, 0
	.set _ZN7rocprim17ROCPRIM_400000_NS6detail17trampoline_kernelINS0_13select_configILj256ELj13ELNS0_17block_load_methodE3ELS4_3ELS4_3ELNS0_20block_scan_algorithmE0ELj4294967295EEENS1_25partition_config_selectorILNS1_17partition_subalgoE3EjNS0_10empty_typeEbEEZZNS1_14partition_implILS8_3ELb0ES6_jNS0_17counting_iteratorIjlEEPS9_SE_NS0_5tupleIJPjSE_EEENSF_IJSE_SE_EEES9_SG_JZNS1_25segmented_radix_sort_implINS0_14default_configELb1EPKdPdPKlPlN2at6native12_GLOBAL__N_18offset_tEEE10hipError_tPvRmT1_PNSt15iterator_traitsISY_E10value_typeET2_T3_PNSZ_IS14_E10value_typeET4_jRbjT5_S1A_jjP12ihipStream_tbEUljE_EEESV_SW_SX_S14_S18_S1A_T6_T7_T9_mT8_S1C_bDpT10_ENKUlT_T0_E_clISt17integral_constantIbLb1EES1P_EEDaS1K_S1L_EUlS1K_E_NS1_11comp_targetILNS1_3genE8ELNS1_11target_archE1030ELNS1_3gpuE2ELNS1_3repE0EEENS1_30default_config_static_selectorELNS0_4arch9wavefront6targetE0EEEvSY_.uses_vcc, 0
	.set _ZN7rocprim17ROCPRIM_400000_NS6detail17trampoline_kernelINS0_13select_configILj256ELj13ELNS0_17block_load_methodE3ELS4_3ELS4_3ELNS0_20block_scan_algorithmE0ELj4294967295EEENS1_25partition_config_selectorILNS1_17partition_subalgoE3EjNS0_10empty_typeEbEEZZNS1_14partition_implILS8_3ELb0ES6_jNS0_17counting_iteratorIjlEEPS9_SE_NS0_5tupleIJPjSE_EEENSF_IJSE_SE_EEES9_SG_JZNS1_25segmented_radix_sort_implINS0_14default_configELb1EPKdPdPKlPlN2at6native12_GLOBAL__N_18offset_tEEE10hipError_tPvRmT1_PNSt15iterator_traitsISY_E10value_typeET2_T3_PNSZ_IS14_E10value_typeET4_jRbjT5_S1A_jjP12ihipStream_tbEUljE_EEESV_SW_SX_S14_S18_S1A_T6_T7_T9_mT8_S1C_bDpT10_ENKUlT_T0_E_clISt17integral_constantIbLb1EES1P_EEDaS1K_S1L_EUlS1K_E_NS1_11comp_targetILNS1_3genE8ELNS1_11target_archE1030ELNS1_3gpuE2ELNS1_3repE0EEENS1_30default_config_static_selectorELNS0_4arch9wavefront6targetE0EEEvSY_.uses_flat_scratch, 0
	.set _ZN7rocprim17ROCPRIM_400000_NS6detail17trampoline_kernelINS0_13select_configILj256ELj13ELNS0_17block_load_methodE3ELS4_3ELS4_3ELNS0_20block_scan_algorithmE0ELj4294967295EEENS1_25partition_config_selectorILNS1_17partition_subalgoE3EjNS0_10empty_typeEbEEZZNS1_14partition_implILS8_3ELb0ES6_jNS0_17counting_iteratorIjlEEPS9_SE_NS0_5tupleIJPjSE_EEENSF_IJSE_SE_EEES9_SG_JZNS1_25segmented_radix_sort_implINS0_14default_configELb1EPKdPdPKlPlN2at6native12_GLOBAL__N_18offset_tEEE10hipError_tPvRmT1_PNSt15iterator_traitsISY_E10value_typeET2_T3_PNSZ_IS14_E10value_typeET4_jRbjT5_S1A_jjP12ihipStream_tbEUljE_EEESV_SW_SX_S14_S18_S1A_T6_T7_T9_mT8_S1C_bDpT10_ENKUlT_T0_E_clISt17integral_constantIbLb1EES1P_EEDaS1K_S1L_EUlS1K_E_NS1_11comp_targetILNS1_3genE8ELNS1_11target_archE1030ELNS1_3gpuE2ELNS1_3repE0EEENS1_30default_config_static_selectorELNS0_4arch9wavefront6targetE0EEEvSY_.has_dyn_sized_stack, 0
	.set _ZN7rocprim17ROCPRIM_400000_NS6detail17trampoline_kernelINS0_13select_configILj256ELj13ELNS0_17block_load_methodE3ELS4_3ELS4_3ELNS0_20block_scan_algorithmE0ELj4294967295EEENS1_25partition_config_selectorILNS1_17partition_subalgoE3EjNS0_10empty_typeEbEEZZNS1_14partition_implILS8_3ELb0ES6_jNS0_17counting_iteratorIjlEEPS9_SE_NS0_5tupleIJPjSE_EEENSF_IJSE_SE_EEES9_SG_JZNS1_25segmented_radix_sort_implINS0_14default_configELb1EPKdPdPKlPlN2at6native12_GLOBAL__N_18offset_tEEE10hipError_tPvRmT1_PNSt15iterator_traitsISY_E10value_typeET2_T3_PNSZ_IS14_E10value_typeET4_jRbjT5_S1A_jjP12ihipStream_tbEUljE_EEESV_SW_SX_S14_S18_S1A_T6_T7_T9_mT8_S1C_bDpT10_ENKUlT_T0_E_clISt17integral_constantIbLb1EES1P_EEDaS1K_S1L_EUlS1K_E_NS1_11comp_targetILNS1_3genE8ELNS1_11target_archE1030ELNS1_3gpuE2ELNS1_3repE0EEENS1_30default_config_static_selectorELNS0_4arch9wavefront6targetE0EEEvSY_.has_recursion, 0
	.set _ZN7rocprim17ROCPRIM_400000_NS6detail17trampoline_kernelINS0_13select_configILj256ELj13ELNS0_17block_load_methodE3ELS4_3ELS4_3ELNS0_20block_scan_algorithmE0ELj4294967295EEENS1_25partition_config_selectorILNS1_17partition_subalgoE3EjNS0_10empty_typeEbEEZZNS1_14partition_implILS8_3ELb0ES6_jNS0_17counting_iteratorIjlEEPS9_SE_NS0_5tupleIJPjSE_EEENSF_IJSE_SE_EEES9_SG_JZNS1_25segmented_radix_sort_implINS0_14default_configELb1EPKdPdPKlPlN2at6native12_GLOBAL__N_18offset_tEEE10hipError_tPvRmT1_PNSt15iterator_traitsISY_E10value_typeET2_T3_PNSZ_IS14_E10value_typeET4_jRbjT5_S1A_jjP12ihipStream_tbEUljE_EEESV_SW_SX_S14_S18_S1A_T6_T7_T9_mT8_S1C_bDpT10_ENKUlT_T0_E_clISt17integral_constantIbLb1EES1P_EEDaS1K_S1L_EUlS1K_E_NS1_11comp_targetILNS1_3genE8ELNS1_11target_archE1030ELNS1_3gpuE2ELNS1_3repE0EEENS1_30default_config_static_selectorELNS0_4arch9wavefront6targetE0EEEvSY_.has_indirect_call, 0
	.section	.AMDGPU.csdata,"",@progbits
; Kernel info:
; codeLenInByte = 4
; TotalNumSgprs: 0
; NumVgprs: 0
; ScratchSize: 0
; MemoryBound: 0
; FloatMode: 240
; IeeeMode: 1
; LDSByteSize: 0 bytes/workgroup (compile time only)
; SGPRBlocks: 0
; VGPRBlocks: 0
; NumSGPRsForWavesPerEU: 1
; NumVGPRsForWavesPerEU: 1
; Occupancy: 16
; WaveLimiterHint : 0
; COMPUTE_PGM_RSRC2:SCRATCH_EN: 0
; COMPUTE_PGM_RSRC2:USER_SGPR: 6
; COMPUTE_PGM_RSRC2:TRAP_HANDLER: 0
; COMPUTE_PGM_RSRC2:TGID_X_EN: 1
; COMPUTE_PGM_RSRC2:TGID_Y_EN: 0
; COMPUTE_PGM_RSRC2:TGID_Z_EN: 0
; COMPUTE_PGM_RSRC2:TIDIG_COMP_CNT: 0
	.section	.text._ZN7rocprim17ROCPRIM_400000_NS6detail17trampoline_kernelINS0_13select_configILj256ELj13ELNS0_17block_load_methodE3ELS4_3ELS4_3ELNS0_20block_scan_algorithmE0ELj4294967295EEENS1_25partition_config_selectorILNS1_17partition_subalgoE3EjNS0_10empty_typeEbEEZZNS1_14partition_implILS8_3ELb0ES6_jNS0_17counting_iteratorIjlEEPS9_SE_NS0_5tupleIJPjSE_EEENSF_IJSE_SE_EEES9_SG_JZNS1_25segmented_radix_sort_implINS0_14default_configELb1EPKdPdPKlPlN2at6native12_GLOBAL__N_18offset_tEEE10hipError_tPvRmT1_PNSt15iterator_traitsISY_E10value_typeET2_T3_PNSZ_IS14_E10value_typeET4_jRbjT5_S1A_jjP12ihipStream_tbEUljE_EEESV_SW_SX_S14_S18_S1A_T6_T7_T9_mT8_S1C_bDpT10_ENKUlT_T0_E_clISt17integral_constantIbLb1EES1O_IbLb0EEEEDaS1K_S1L_EUlS1K_E_NS1_11comp_targetILNS1_3genE0ELNS1_11target_archE4294967295ELNS1_3gpuE0ELNS1_3repE0EEENS1_30default_config_static_selectorELNS0_4arch9wavefront6targetE0EEEvSY_,"axG",@progbits,_ZN7rocprim17ROCPRIM_400000_NS6detail17trampoline_kernelINS0_13select_configILj256ELj13ELNS0_17block_load_methodE3ELS4_3ELS4_3ELNS0_20block_scan_algorithmE0ELj4294967295EEENS1_25partition_config_selectorILNS1_17partition_subalgoE3EjNS0_10empty_typeEbEEZZNS1_14partition_implILS8_3ELb0ES6_jNS0_17counting_iteratorIjlEEPS9_SE_NS0_5tupleIJPjSE_EEENSF_IJSE_SE_EEES9_SG_JZNS1_25segmented_radix_sort_implINS0_14default_configELb1EPKdPdPKlPlN2at6native12_GLOBAL__N_18offset_tEEE10hipError_tPvRmT1_PNSt15iterator_traitsISY_E10value_typeET2_T3_PNSZ_IS14_E10value_typeET4_jRbjT5_S1A_jjP12ihipStream_tbEUljE_EEESV_SW_SX_S14_S18_S1A_T6_T7_T9_mT8_S1C_bDpT10_ENKUlT_T0_E_clISt17integral_constantIbLb1EES1O_IbLb0EEEEDaS1K_S1L_EUlS1K_E_NS1_11comp_targetILNS1_3genE0ELNS1_11target_archE4294967295ELNS1_3gpuE0ELNS1_3repE0EEENS1_30default_config_static_selectorELNS0_4arch9wavefront6targetE0EEEvSY_,comdat
	.globl	_ZN7rocprim17ROCPRIM_400000_NS6detail17trampoline_kernelINS0_13select_configILj256ELj13ELNS0_17block_load_methodE3ELS4_3ELS4_3ELNS0_20block_scan_algorithmE0ELj4294967295EEENS1_25partition_config_selectorILNS1_17partition_subalgoE3EjNS0_10empty_typeEbEEZZNS1_14partition_implILS8_3ELb0ES6_jNS0_17counting_iteratorIjlEEPS9_SE_NS0_5tupleIJPjSE_EEENSF_IJSE_SE_EEES9_SG_JZNS1_25segmented_radix_sort_implINS0_14default_configELb1EPKdPdPKlPlN2at6native12_GLOBAL__N_18offset_tEEE10hipError_tPvRmT1_PNSt15iterator_traitsISY_E10value_typeET2_T3_PNSZ_IS14_E10value_typeET4_jRbjT5_S1A_jjP12ihipStream_tbEUljE_EEESV_SW_SX_S14_S18_S1A_T6_T7_T9_mT8_S1C_bDpT10_ENKUlT_T0_E_clISt17integral_constantIbLb1EES1O_IbLb0EEEEDaS1K_S1L_EUlS1K_E_NS1_11comp_targetILNS1_3genE0ELNS1_11target_archE4294967295ELNS1_3gpuE0ELNS1_3repE0EEENS1_30default_config_static_selectorELNS0_4arch9wavefront6targetE0EEEvSY_ ; -- Begin function _ZN7rocprim17ROCPRIM_400000_NS6detail17trampoline_kernelINS0_13select_configILj256ELj13ELNS0_17block_load_methodE3ELS4_3ELS4_3ELNS0_20block_scan_algorithmE0ELj4294967295EEENS1_25partition_config_selectorILNS1_17partition_subalgoE3EjNS0_10empty_typeEbEEZZNS1_14partition_implILS8_3ELb0ES6_jNS0_17counting_iteratorIjlEEPS9_SE_NS0_5tupleIJPjSE_EEENSF_IJSE_SE_EEES9_SG_JZNS1_25segmented_radix_sort_implINS0_14default_configELb1EPKdPdPKlPlN2at6native12_GLOBAL__N_18offset_tEEE10hipError_tPvRmT1_PNSt15iterator_traitsISY_E10value_typeET2_T3_PNSZ_IS14_E10value_typeET4_jRbjT5_S1A_jjP12ihipStream_tbEUljE_EEESV_SW_SX_S14_S18_S1A_T6_T7_T9_mT8_S1C_bDpT10_ENKUlT_T0_E_clISt17integral_constantIbLb1EES1O_IbLb0EEEEDaS1K_S1L_EUlS1K_E_NS1_11comp_targetILNS1_3genE0ELNS1_11target_archE4294967295ELNS1_3gpuE0ELNS1_3repE0EEENS1_30default_config_static_selectorELNS0_4arch9wavefront6targetE0EEEvSY_
	.p2align	8
	.type	_ZN7rocprim17ROCPRIM_400000_NS6detail17trampoline_kernelINS0_13select_configILj256ELj13ELNS0_17block_load_methodE3ELS4_3ELS4_3ELNS0_20block_scan_algorithmE0ELj4294967295EEENS1_25partition_config_selectorILNS1_17partition_subalgoE3EjNS0_10empty_typeEbEEZZNS1_14partition_implILS8_3ELb0ES6_jNS0_17counting_iteratorIjlEEPS9_SE_NS0_5tupleIJPjSE_EEENSF_IJSE_SE_EEES9_SG_JZNS1_25segmented_radix_sort_implINS0_14default_configELb1EPKdPdPKlPlN2at6native12_GLOBAL__N_18offset_tEEE10hipError_tPvRmT1_PNSt15iterator_traitsISY_E10value_typeET2_T3_PNSZ_IS14_E10value_typeET4_jRbjT5_S1A_jjP12ihipStream_tbEUljE_EEESV_SW_SX_S14_S18_S1A_T6_T7_T9_mT8_S1C_bDpT10_ENKUlT_T0_E_clISt17integral_constantIbLb1EES1O_IbLb0EEEEDaS1K_S1L_EUlS1K_E_NS1_11comp_targetILNS1_3genE0ELNS1_11target_archE4294967295ELNS1_3gpuE0ELNS1_3repE0EEENS1_30default_config_static_selectorELNS0_4arch9wavefront6targetE0EEEvSY_,@function
_ZN7rocprim17ROCPRIM_400000_NS6detail17trampoline_kernelINS0_13select_configILj256ELj13ELNS0_17block_load_methodE3ELS4_3ELS4_3ELNS0_20block_scan_algorithmE0ELj4294967295EEENS1_25partition_config_selectorILNS1_17partition_subalgoE3EjNS0_10empty_typeEbEEZZNS1_14partition_implILS8_3ELb0ES6_jNS0_17counting_iteratorIjlEEPS9_SE_NS0_5tupleIJPjSE_EEENSF_IJSE_SE_EEES9_SG_JZNS1_25segmented_radix_sort_implINS0_14default_configELb1EPKdPdPKlPlN2at6native12_GLOBAL__N_18offset_tEEE10hipError_tPvRmT1_PNSt15iterator_traitsISY_E10value_typeET2_T3_PNSZ_IS14_E10value_typeET4_jRbjT5_S1A_jjP12ihipStream_tbEUljE_EEESV_SW_SX_S14_S18_S1A_T6_T7_T9_mT8_S1C_bDpT10_ENKUlT_T0_E_clISt17integral_constantIbLb1EES1O_IbLb0EEEEDaS1K_S1L_EUlS1K_E_NS1_11comp_targetILNS1_3genE0ELNS1_11target_archE4294967295ELNS1_3gpuE0ELNS1_3repE0EEENS1_30default_config_static_selectorELNS0_4arch9wavefront6targetE0EEEvSY_: ; @_ZN7rocprim17ROCPRIM_400000_NS6detail17trampoline_kernelINS0_13select_configILj256ELj13ELNS0_17block_load_methodE3ELS4_3ELS4_3ELNS0_20block_scan_algorithmE0ELj4294967295EEENS1_25partition_config_selectorILNS1_17partition_subalgoE3EjNS0_10empty_typeEbEEZZNS1_14partition_implILS8_3ELb0ES6_jNS0_17counting_iteratorIjlEEPS9_SE_NS0_5tupleIJPjSE_EEENSF_IJSE_SE_EEES9_SG_JZNS1_25segmented_radix_sort_implINS0_14default_configELb1EPKdPdPKlPlN2at6native12_GLOBAL__N_18offset_tEEE10hipError_tPvRmT1_PNSt15iterator_traitsISY_E10value_typeET2_T3_PNSZ_IS14_E10value_typeET4_jRbjT5_S1A_jjP12ihipStream_tbEUljE_EEESV_SW_SX_S14_S18_S1A_T6_T7_T9_mT8_S1C_bDpT10_ENKUlT_T0_E_clISt17integral_constantIbLb1EES1O_IbLb0EEEEDaS1K_S1L_EUlS1K_E_NS1_11comp_targetILNS1_3genE0ELNS1_11target_archE4294967295ELNS1_3gpuE0ELNS1_3repE0EEENS1_30default_config_static_selectorELNS0_4arch9wavefront6targetE0EEEvSY_
; %bb.0:
	.section	.rodata,"a",@progbits
	.p2align	6, 0x0
	.amdhsa_kernel _ZN7rocprim17ROCPRIM_400000_NS6detail17trampoline_kernelINS0_13select_configILj256ELj13ELNS0_17block_load_methodE3ELS4_3ELS4_3ELNS0_20block_scan_algorithmE0ELj4294967295EEENS1_25partition_config_selectorILNS1_17partition_subalgoE3EjNS0_10empty_typeEbEEZZNS1_14partition_implILS8_3ELb0ES6_jNS0_17counting_iteratorIjlEEPS9_SE_NS0_5tupleIJPjSE_EEENSF_IJSE_SE_EEES9_SG_JZNS1_25segmented_radix_sort_implINS0_14default_configELb1EPKdPdPKlPlN2at6native12_GLOBAL__N_18offset_tEEE10hipError_tPvRmT1_PNSt15iterator_traitsISY_E10value_typeET2_T3_PNSZ_IS14_E10value_typeET4_jRbjT5_S1A_jjP12ihipStream_tbEUljE_EEESV_SW_SX_S14_S18_S1A_T6_T7_T9_mT8_S1C_bDpT10_ENKUlT_T0_E_clISt17integral_constantIbLb1EES1O_IbLb0EEEEDaS1K_S1L_EUlS1K_E_NS1_11comp_targetILNS1_3genE0ELNS1_11target_archE4294967295ELNS1_3gpuE0ELNS1_3repE0EEENS1_30default_config_static_selectorELNS0_4arch9wavefront6targetE0EEEvSY_
		.amdhsa_group_segment_fixed_size 0
		.amdhsa_private_segment_fixed_size 0
		.amdhsa_kernarg_size 144
		.amdhsa_user_sgpr_count 6
		.amdhsa_user_sgpr_private_segment_buffer 1
		.amdhsa_user_sgpr_dispatch_ptr 0
		.amdhsa_user_sgpr_queue_ptr 0
		.amdhsa_user_sgpr_kernarg_segment_ptr 1
		.amdhsa_user_sgpr_dispatch_id 0
		.amdhsa_user_sgpr_flat_scratch_init 0
		.amdhsa_user_sgpr_private_segment_size 0
		.amdhsa_wavefront_size32 1
		.amdhsa_uses_dynamic_stack 0
		.amdhsa_system_sgpr_private_segment_wavefront_offset 0
		.amdhsa_system_sgpr_workgroup_id_x 1
		.amdhsa_system_sgpr_workgroup_id_y 0
		.amdhsa_system_sgpr_workgroup_id_z 0
		.amdhsa_system_sgpr_workgroup_info 0
		.amdhsa_system_vgpr_workitem_id 0
		.amdhsa_next_free_vgpr 1
		.amdhsa_next_free_sgpr 1
		.amdhsa_reserve_vcc 0
		.amdhsa_reserve_flat_scratch 0
		.amdhsa_float_round_mode_32 0
		.amdhsa_float_round_mode_16_64 0
		.amdhsa_float_denorm_mode_32 3
		.amdhsa_float_denorm_mode_16_64 3
		.amdhsa_dx10_clamp 1
		.amdhsa_ieee_mode 1
		.amdhsa_fp16_overflow 0
		.amdhsa_workgroup_processor_mode 1
		.amdhsa_memory_ordered 1
		.amdhsa_forward_progress 1
		.amdhsa_shared_vgpr_count 0
		.amdhsa_exception_fp_ieee_invalid_op 0
		.amdhsa_exception_fp_denorm_src 0
		.amdhsa_exception_fp_ieee_div_zero 0
		.amdhsa_exception_fp_ieee_overflow 0
		.amdhsa_exception_fp_ieee_underflow 0
		.amdhsa_exception_fp_ieee_inexact 0
		.amdhsa_exception_int_div_zero 0
	.end_amdhsa_kernel
	.section	.text._ZN7rocprim17ROCPRIM_400000_NS6detail17trampoline_kernelINS0_13select_configILj256ELj13ELNS0_17block_load_methodE3ELS4_3ELS4_3ELNS0_20block_scan_algorithmE0ELj4294967295EEENS1_25partition_config_selectorILNS1_17partition_subalgoE3EjNS0_10empty_typeEbEEZZNS1_14partition_implILS8_3ELb0ES6_jNS0_17counting_iteratorIjlEEPS9_SE_NS0_5tupleIJPjSE_EEENSF_IJSE_SE_EEES9_SG_JZNS1_25segmented_radix_sort_implINS0_14default_configELb1EPKdPdPKlPlN2at6native12_GLOBAL__N_18offset_tEEE10hipError_tPvRmT1_PNSt15iterator_traitsISY_E10value_typeET2_T3_PNSZ_IS14_E10value_typeET4_jRbjT5_S1A_jjP12ihipStream_tbEUljE_EEESV_SW_SX_S14_S18_S1A_T6_T7_T9_mT8_S1C_bDpT10_ENKUlT_T0_E_clISt17integral_constantIbLb1EES1O_IbLb0EEEEDaS1K_S1L_EUlS1K_E_NS1_11comp_targetILNS1_3genE0ELNS1_11target_archE4294967295ELNS1_3gpuE0ELNS1_3repE0EEENS1_30default_config_static_selectorELNS0_4arch9wavefront6targetE0EEEvSY_,"axG",@progbits,_ZN7rocprim17ROCPRIM_400000_NS6detail17trampoline_kernelINS0_13select_configILj256ELj13ELNS0_17block_load_methodE3ELS4_3ELS4_3ELNS0_20block_scan_algorithmE0ELj4294967295EEENS1_25partition_config_selectorILNS1_17partition_subalgoE3EjNS0_10empty_typeEbEEZZNS1_14partition_implILS8_3ELb0ES6_jNS0_17counting_iteratorIjlEEPS9_SE_NS0_5tupleIJPjSE_EEENSF_IJSE_SE_EEES9_SG_JZNS1_25segmented_radix_sort_implINS0_14default_configELb1EPKdPdPKlPlN2at6native12_GLOBAL__N_18offset_tEEE10hipError_tPvRmT1_PNSt15iterator_traitsISY_E10value_typeET2_T3_PNSZ_IS14_E10value_typeET4_jRbjT5_S1A_jjP12ihipStream_tbEUljE_EEESV_SW_SX_S14_S18_S1A_T6_T7_T9_mT8_S1C_bDpT10_ENKUlT_T0_E_clISt17integral_constantIbLb1EES1O_IbLb0EEEEDaS1K_S1L_EUlS1K_E_NS1_11comp_targetILNS1_3genE0ELNS1_11target_archE4294967295ELNS1_3gpuE0ELNS1_3repE0EEENS1_30default_config_static_selectorELNS0_4arch9wavefront6targetE0EEEvSY_,comdat
.Lfunc_end1094:
	.size	_ZN7rocprim17ROCPRIM_400000_NS6detail17trampoline_kernelINS0_13select_configILj256ELj13ELNS0_17block_load_methodE3ELS4_3ELS4_3ELNS0_20block_scan_algorithmE0ELj4294967295EEENS1_25partition_config_selectorILNS1_17partition_subalgoE3EjNS0_10empty_typeEbEEZZNS1_14partition_implILS8_3ELb0ES6_jNS0_17counting_iteratorIjlEEPS9_SE_NS0_5tupleIJPjSE_EEENSF_IJSE_SE_EEES9_SG_JZNS1_25segmented_radix_sort_implINS0_14default_configELb1EPKdPdPKlPlN2at6native12_GLOBAL__N_18offset_tEEE10hipError_tPvRmT1_PNSt15iterator_traitsISY_E10value_typeET2_T3_PNSZ_IS14_E10value_typeET4_jRbjT5_S1A_jjP12ihipStream_tbEUljE_EEESV_SW_SX_S14_S18_S1A_T6_T7_T9_mT8_S1C_bDpT10_ENKUlT_T0_E_clISt17integral_constantIbLb1EES1O_IbLb0EEEEDaS1K_S1L_EUlS1K_E_NS1_11comp_targetILNS1_3genE0ELNS1_11target_archE4294967295ELNS1_3gpuE0ELNS1_3repE0EEENS1_30default_config_static_selectorELNS0_4arch9wavefront6targetE0EEEvSY_, .Lfunc_end1094-_ZN7rocprim17ROCPRIM_400000_NS6detail17trampoline_kernelINS0_13select_configILj256ELj13ELNS0_17block_load_methodE3ELS4_3ELS4_3ELNS0_20block_scan_algorithmE0ELj4294967295EEENS1_25partition_config_selectorILNS1_17partition_subalgoE3EjNS0_10empty_typeEbEEZZNS1_14partition_implILS8_3ELb0ES6_jNS0_17counting_iteratorIjlEEPS9_SE_NS0_5tupleIJPjSE_EEENSF_IJSE_SE_EEES9_SG_JZNS1_25segmented_radix_sort_implINS0_14default_configELb1EPKdPdPKlPlN2at6native12_GLOBAL__N_18offset_tEEE10hipError_tPvRmT1_PNSt15iterator_traitsISY_E10value_typeET2_T3_PNSZ_IS14_E10value_typeET4_jRbjT5_S1A_jjP12ihipStream_tbEUljE_EEESV_SW_SX_S14_S18_S1A_T6_T7_T9_mT8_S1C_bDpT10_ENKUlT_T0_E_clISt17integral_constantIbLb1EES1O_IbLb0EEEEDaS1K_S1L_EUlS1K_E_NS1_11comp_targetILNS1_3genE0ELNS1_11target_archE4294967295ELNS1_3gpuE0ELNS1_3repE0EEENS1_30default_config_static_selectorELNS0_4arch9wavefront6targetE0EEEvSY_
                                        ; -- End function
	.set _ZN7rocprim17ROCPRIM_400000_NS6detail17trampoline_kernelINS0_13select_configILj256ELj13ELNS0_17block_load_methodE3ELS4_3ELS4_3ELNS0_20block_scan_algorithmE0ELj4294967295EEENS1_25partition_config_selectorILNS1_17partition_subalgoE3EjNS0_10empty_typeEbEEZZNS1_14partition_implILS8_3ELb0ES6_jNS0_17counting_iteratorIjlEEPS9_SE_NS0_5tupleIJPjSE_EEENSF_IJSE_SE_EEES9_SG_JZNS1_25segmented_radix_sort_implINS0_14default_configELb1EPKdPdPKlPlN2at6native12_GLOBAL__N_18offset_tEEE10hipError_tPvRmT1_PNSt15iterator_traitsISY_E10value_typeET2_T3_PNSZ_IS14_E10value_typeET4_jRbjT5_S1A_jjP12ihipStream_tbEUljE_EEESV_SW_SX_S14_S18_S1A_T6_T7_T9_mT8_S1C_bDpT10_ENKUlT_T0_E_clISt17integral_constantIbLb1EES1O_IbLb0EEEEDaS1K_S1L_EUlS1K_E_NS1_11comp_targetILNS1_3genE0ELNS1_11target_archE4294967295ELNS1_3gpuE0ELNS1_3repE0EEENS1_30default_config_static_selectorELNS0_4arch9wavefront6targetE0EEEvSY_.num_vgpr, 0
	.set _ZN7rocprim17ROCPRIM_400000_NS6detail17trampoline_kernelINS0_13select_configILj256ELj13ELNS0_17block_load_methodE3ELS4_3ELS4_3ELNS0_20block_scan_algorithmE0ELj4294967295EEENS1_25partition_config_selectorILNS1_17partition_subalgoE3EjNS0_10empty_typeEbEEZZNS1_14partition_implILS8_3ELb0ES6_jNS0_17counting_iteratorIjlEEPS9_SE_NS0_5tupleIJPjSE_EEENSF_IJSE_SE_EEES9_SG_JZNS1_25segmented_radix_sort_implINS0_14default_configELb1EPKdPdPKlPlN2at6native12_GLOBAL__N_18offset_tEEE10hipError_tPvRmT1_PNSt15iterator_traitsISY_E10value_typeET2_T3_PNSZ_IS14_E10value_typeET4_jRbjT5_S1A_jjP12ihipStream_tbEUljE_EEESV_SW_SX_S14_S18_S1A_T6_T7_T9_mT8_S1C_bDpT10_ENKUlT_T0_E_clISt17integral_constantIbLb1EES1O_IbLb0EEEEDaS1K_S1L_EUlS1K_E_NS1_11comp_targetILNS1_3genE0ELNS1_11target_archE4294967295ELNS1_3gpuE0ELNS1_3repE0EEENS1_30default_config_static_selectorELNS0_4arch9wavefront6targetE0EEEvSY_.num_agpr, 0
	.set _ZN7rocprim17ROCPRIM_400000_NS6detail17trampoline_kernelINS0_13select_configILj256ELj13ELNS0_17block_load_methodE3ELS4_3ELS4_3ELNS0_20block_scan_algorithmE0ELj4294967295EEENS1_25partition_config_selectorILNS1_17partition_subalgoE3EjNS0_10empty_typeEbEEZZNS1_14partition_implILS8_3ELb0ES6_jNS0_17counting_iteratorIjlEEPS9_SE_NS0_5tupleIJPjSE_EEENSF_IJSE_SE_EEES9_SG_JZNS1_25segmented_radix_sort_implINS0_14default_configELb1EPKdPdPKlPlN2at6native12_GLOBAL__N_18offset_tEEE10hipError_tPvRmT1_PNSt15iterator_traitsISY_E10value_typeET2_T3_PNSZ_IS14_E10value_typeET4_jRbjT5_S1A_jjP12ihipStream_tbEUljE_EEESV_SW_SX_S14_S18_S1A_T6_T7_T9_mT8_S1C_bDpT10_ENKUlT_T0_E_clISt17integral_constantIbLb1EES1O_IbLb0EEEEDaS1K_S1L_EUlS1K_E_NS1_11comp_targetILNS1_3genE0ELNS1_11target_archE4294967295ELNS1_3gpuE0ELNS1_3repE0EEENS1_30default_config_static_selectorELNS0_4arch9wavefront6targetE0EEEvSY_.numbered_sgpr, 0
	.set _ZN7rocprim17ROCPRIM_400000_NS6detail17trampoline_kernelINS0_13select_configILj256ELj13ELNS0_17block_load_methodE3ELS4_3ELS4_3ELNS0_20block_scan_algorithmE0ELj4294967295EEENS1_25partition_config_selectorILNS1_17partition_subalgoE3EjNS0_10empty_typeEbEEZZNS1_14partition_implILS8_3ELb0ES6_jNS0_17counting_iteratorIjlEEPS9_SE_NS0_5tupleIJPjSE_EEENSF_IJSE_SE_EEES9_SG_JZNS1_25segmented_radix_sort_implINS0_14default_configELb1EPKdPdPKlPlN2at6native12_GLOBAL__N_18offset_tEEE10hipError_tPvRmT1_PNSt15iterator_traitsISY_E10value_typeET2_T3_PNSZ_IS14_E10value_typeET4_jRbjT5_S1A_jjP12ihipStream_tbEUljE_EEESV_SW_SX_S14_S18_S1A_T6_T7_T9_mT8_S1C_bDpT10_ENKUlT_T0_E_clISt17integral_constantIbLb1EES1O_IbLb0EEEEDaS1K_S1L_EUlS1K_E_NS1_11comp_targetILNS1_3genE0ELNS1_11target_archE4294967295ELNS1_3gpuE0ELNS1_3repE0EEENS1_30default_config_static_selectorELNS0_4arch9wavefront6targetE0EEEvSY_.num_named_barrier, 0
	.set _ZN7rocprim17ROCPRIM_400000_NS6detail17trampoline_kernelINS0_13select_configILj256ELj13ELNS0_17block_load_methodE3ELS4_3ELS4_3ELNS0_20block_scan_algorithmE0ELj4294967295EEENS1_25partition_config_selectorILNS1_17partition_subalgoE3EjNS0_10empty_typeEbEEZZNS1_14partition_implILS8_3ELb0ES6_jNS0_17counting_iteratorIjlEEPS9_SE_NS0_5tupleIJPjSE_EEENSF_IJSE_SE_EEES9_SG_JZNS1_25segmented_radix_sort_implINS0_14default_configELb1EPKdPdPKlPlN2at6native12_GLOBAL__N_18offset_tEEE10hipError_tPvRmT1_PNSt15iterator_traitsISY_E10value_typeET2_T3_PNSZ_IS14_E10value_typeET4_jRbjT5_S1A_jjP12ihipStream_tbEUljE_EEESV_SW_SX_S14_S18_S1A_T6_T7_T9_mT8_S1C_bDpT10_ENKUlT_T0_E_clISt17integral_constantIbLb1EES1O_IbLb0EEEEDaS1K_S1L_EUlS1K_E_NS1_11comp_targetILNS1_3genE0ELNS1_11target_archE4294967295ELNS1_3gpuE0ELNS1_3repE0EEENS1_30default_config_static_selectorELNS0_4arch9wavefront6targetE0EEEvSY_.private_seg_size, 0
	.set _ZN7rocprim17ROCPRIM_400000_NS6detail17trampoline_kernelINS0_13select_configILj256ELj13ELNS0_17block_load_methodE3ELS4_3ELS4_3ELNS0_20block_scan_algorithmE0ELj4294967295EEENS1_25partition_config_selectorILNS1_17partition_subalgoE3EjNS0_10empty_typeEbEEZZNS1_14partition_implILS8_3ELb0ES6_jNS0_17counting_iteratorIjlEEPS9_SE_NS0_5tupleIJPjSE_EEENSF_IJSE_SE_EEES9_SG_JZNS1_25segmented_radix_sort_implINS0_14default_configELb1EPKdPdPKlPlN2at6native12_GLOBAL__N_18offset_tEEE10hipError_tPvRmT1_PNSt15iterator_traitsISY_E10value_typeET2_T3_PNSZ_IS14_E10value_typeET4_jRbjT5_S1A_jjP12ihipStream_tbEUljE_EEESV_SW_SX_S14_S18_S1A_T6_T7_T9_mT8_S1C_bDpT10_ENKUlT_T0_E_clISt17integral_constantIbLb1EES1O_IbLb0EEEEDaS1K_S1L_EUlS1K_E_NS1_11comp_targetILNS1_3genE0ELNS1_11target_archE4294967295ELNS1_3gpuE0ELNS1_3repE0EEENS1_30default_config_static_selectorELNS0_4arch9wavefront6targetE0EEEvSY_.uses_vcc, 0
	.set _ZN7rocprim17ROCPRIM_400000_NS6detail17trampoline_kernelINS0_13select_configILj256ELj13ELNS0_17block_load_methodE3ELS4_3ELS4_3ELNS0_20block_scan_algorithmE0ELj4294967295EEENS1_25partition_config_selectorILNS1_17partition_subalgoE3EjNS0_10empty_typeEbEEZZNS1_14partition_implILS8_3ELb0ES6_jNS0_17counting_iteratorIjlEEPS9_SE_NS0_5tupleIJPjSE_EEENSF_IJSE_SE_EEES9_SG_JZNS1_25segmented_radix_sort_implINS0_14default_configELb1EPKdPdPKlPlN2at6native12_GLOBAL__N_18offset_tEEE10hipError_tPvRmT1_PNSt15iterator_traitsISY_E10value_typeET2_T3_PNSZ_IS14_E10value_typeET4_jRbjT5_S1A_jjP12ihipStream_tbEUljE_EEESV_SW_SX_S14_S18_S1A_T6_T7_T9_mT8_S1C_bDpT10_ENKUlT_T0_E_clISt17integral_constantIbLb1EES1O_IbLb0EEEEDaS1K_S1L_EUlS1K_E_NS1_11comp_targetILNS1_3genE0ELNS1_11target_archE4294967295ELNS1_3gpuE0ELNS1_3repE0EEENS1_30default_config_static_selectorELNS0_4arch9wavefront6targetE0EEEvSY_.uses_flat_scratch, 0
	.set _ZN7rocprim17ROCPRIM_400000_NS6detail17trampoline_kernelINS0_13select_configILj256ELj13ELNS0_17block_load_methodE3ELS4_3ELS4_3ELNS0_20block_scan_algorithmE0ELj4294967295EEENS1_25partition_config_selectorILNS1_17partition_subalgoE3EjNS0_10empty_typeEbEEZZNS1_14partition_implILS8_3ELb0ES6_jNS0_17counting_iteratorIjlEEPS9_SE_NS0_5tupleIJPjSE_EEENSF_IJSE_SE_EEES9_SG_JZNS1_25segmented_radix_sort_implINS0_14default_configELb1EPKdPdPKlPlN2at6native12_GLOBAL__N_18offset_tEEE10hipError_tPvRmT1_PNSt15iterator_traitsISY_E10value_typeET2_T3_PNSZ_IS14_E10value_typeET4_jRbjT5_S1A_jjP12ihipStream_tbEUljE_EEESV_SW_SX_S14_S18_S1A_T6_T7_T9_mT8_S1C_bDpT10_ENKUlT_T0_E_clISt17integral_constantIbLb1EES1O_IbLb0EEEEDaS1K_S1L_EUlS1K_E_NS1_11comp_targetILNS1_3genE0ELNS1_11target_archE4294967295ELNS1_3gpuE0ELNS1_3repE0EEENS1_30default_config_static_selectorELNS0_4arch9wavefront6targetE0EEEvSY_.has_dyn_sized_stack, 0
	.set _ZN7rocprim17ROCPRIM_400000_NS6detail17trampoline_kernelINS0_13select_configILj256ELj13ELNS0_17block_load_methodE3ELS4_3ELS4_3ELNS0_20block_scan_algorithmE0ELj4294967295EEENS1_25partition_config_selectorILNS1_17partition_subalgoE3EjNS0_10empty_typeEbEEZZNS1_14partition_implILS8_3ELb0ES6_jNS0_17counting_iteratorIjlEEPS9_SE_NS0_5tupleIJPjSE_EEENSF_IJSE_SE_EEES9_SG_JZNS1_25segmented_radix_sort_implINS0_14default_configELb1EPKdPdPKlPlN2at6native12_GLOBAL__N_18offset_tEEE10hipError_tPvRmT1_PNSt15iterator_traitsISY_E10value_typeET2_T3_PNSZ_IS14_E10value_typeET4_jRbjT5_S1A_jjP12ihipStream_tbEUljE_EEESV_SW_SX_S14_S18_S1A_T6_T7_T9_mT8_S1C_bDpT10_ENKUlT_T0_E_clISt17integral_constantIbLb1EES1O_IbLb0EEEEDaS1K_S1L_EUlS1K_E_NS1_11comp_targetILNS1_3genE0ELNS1_11target_archE4294967295ELNS1_3gpuE0ELNS1_3repE0EEENS1_30default_config_static_selectorELNS0_4arch9wavefront6targetE0EEEvSY_.has_recursion, 0
	.set _ZN7rocprim17ROCPRIM_400000_NS6detail17trampoline_kernelINS0_13select_configILj256ELj13ELNS0_17block_load_methodE3ELS4_3ELS4_3ELNS0_20block_scan_algorithmE0ELj4294967295EEENS1_25partition_config_selectorILNS1_17partition_subalgoE3EjNS0_10empty_typeEbEEZZNS1_14partition_implILS8_3ELb0ES6_jNS0_17counting_iteratorIjlEEPS9_SE_NS0_5tupleIJPjSE_EEENSF_IJSE_SE_EEES9_SG_JZNS1_25segmented_radix_sort_implINS0_14default_configELb1EPKdPdPKlPlN2at6native12_GLOBAL__N_18offset_tEEE10hipError_tPvRmT1_PNSt15iterator_traitsISY_E10value_typeET2_T3_PNSZ_IS14_E10value_typeET4_jRbjT5_S1A_jjP12ihipStream_tbEUljE_EEESV_SW_SX_S14_S18_S1A_T6_T7_T9_mT8_S1C_bDpT10_ENKUlT_T0_E_clISt17integral_constantIbLb1EES1O_IbLb0EEEEDaS1K_S1L_EUlS1K_E_NS1_11comp_targetILNS1_3genE0ELNS1_11target_archE4294967295ELNS1_3gpuE0ELNS1_3repE0EEENS1_30default_config_static_selectorELNS0_4arch9wavefront6targetE0EEEvSY_.has_indirect_call, 0
	.section	.AMDGPU.csdata,"",@progbits
; Kernel info:
; codeLenInByte = 0
; TotalNumSgprs: 0
; NumVgprs: 0
; ScratchSize: 0
; MemoryBound: 0
; FloatMode: 240
; IeeeMode: 1
; LDSByteSize: 0 bytes/workgroup (compile time only)
; SGPRBlocks: 0
; VGPRBlocks: 0
; NumSGPRsForWavesPerEU: 1
; NumVGPRsForWavesPerEU: 1
; Occupancy: 16
; WaveLimiterHint : 0
; COMPUTE_PGM_RSRC2:SCRATCH_EN: 0
; COMPUTE_PGM_RSRC2:USER_SGPR: 6
; COMPUTE_PGM_RSRC2:TRAP_HANDLER: 0
; COMPUTE_PGM_RSRC2:TGID_X_EN: 1
; COMPUTE_PGM_RSRC2:TGID_Y_EN: 0
; COMPUTE_PGM_RSRC2:TGID_Z_EN: 0
; COMPUTE_PGM_RSRC2:TIDIG_COMP_CNT: 0
	.section	.text._ZN7rocprim17ROCPRIM_400000_NS6detail17trampoline_kernelINS0_13select_configILj256ELj13ELNS0_17block_load_methodE3ELS4_3ELS4_3ELNS0_20block_scan_algorithmE0ELj4294967295EEENS1_25partition_config_selectorILNS1_17partition_subalgoE3EjNS0_10empty_typeEbEEZZNS1_14partition_implILS8_3ELb0ES6_jNS0_17counting_iteratorIjlEEPS9_SE_NS0_5tupleIJPjSE_EEENSF_IJSE_SE_EEES9_SG_JZNS1_25segmented_radix_sort_implINS0_14default_configELb1EPKdPdPKlPlN2at6native12_GLOBAL__N_18offset_tEEE10hipError_tPvRmT1_PNSt15iterator_traitsISY_E10value_typeET2_T3_PNSZ_IS14_E10value_typeET4_jRbjT5_S1A_jjP12ihipStream_tbEUljE_EEESV_SW_SX_S14_S18_S1A_T6_T7_T9_mT8_S1C_bDpT10_ENKUlT_T0_E_clISt17integral_constantIbLb1EES1O_IbLb0EEEEDaS1K_S1L_EUlS1K_E_NS1_11comp_targetILNS1_3genE5ELNS1_11target_archE942ELNS1_3gpuE9ELNS1_3repE0EEENS1_30default_config_static_selectorELNS0_4arch9wavefront6targetE0EEEvSY_,"axG",@progbits,_ZN7rocprim17ROCPRIM_400000_NS6detail17trampoline_kernelINS0_13select_configILj256ELj13ELNS0_17block_load_methodE3ELS4_3ELS4_3ELNS0_20block_scan_algorithmE0ELj4294967295EEENS1_25partition_config_selectorILNS1_17partition_subalgoE3EjNS0_10empty_typeEbEEZZNS1_14partition_implILS8_3ELb0ES6_jNS0_17counting_iteratorIjlEEPS9_SE_NS0_5tupleIJPjSE_EEENSF_IJSE_SE_EEES9_SG_JZNS1_25segmented_radix_sort_implINS0_14default_configELb1EPKdPdPKlPlN2at6native12_GLOBAL__N_18offset_tEEE10hipError_tPvRmT1_PNSt15iterator_traitsISY_E10value_typeET2_T3_PNSZ_IS14_E10value_typeET4_jRbjT5_S1A_jjP12ihipStream_tbEUljE_EEESV_SW_SX_S14_S18_S1A_T6_T7_T9_mT8_S1C_bDpT10_ENKUlT_T0_E_clISt17integral_constantIbLb1EES1O_IbLb0EEEEDaS1K_S1L_EUlS1K_E_NS1_11comp_targetILNS1_3genE5ELNS1_11target_archE942ELNS1_3gpuE9ELNS1_3repE0EEENS1_30default_config_static_selectorELNS0_4arch9wavefront6targetE0EEEvSY_,comdat
	.globl	_ZN7rocprim17ROCPRIM_400000_NS6detail17trampoline_kernelINS0_13select_configILj256ELj13ELNS0_17block_load_methodE3ELS4_3ELS4_3ELNS0_20block_scan_algorithmE0ELj4294967295EEENS1_25partition_config_selectorILNS1_17partition_subalgoE3EjNS0_10empty_typeEbEEZZNS1_14partition_implILS8_3ELb0ES6_jNS0_17counting_iteratorIjlEEPS9_SE_NS0_5tupleIJPjSE_EEENSF_IJSE_SE_EEES9_SG_JZNS1_25segmented_radix_sort_implINS0_14default_configELb1EPKdPdPKlPlN2at6native12_GLOBAL__N_18offset_tEEE10hipError_tPvRmT1_PNSt15iterator_traitsISY_E10value_typeET2_T3_PNSZ_IS14_E10value_typeET4_jRbjT5_S1A_jjP12ihipStream_tbEUljE_EEESV_SW_SX_S14_S18_S1A_T6_T7_T9_mT8_S1C_bDpT10_ENKUlT_T0_E_clISt17integral_constantIbLb1EES1O_IbLb0EEEEDaS1K_S1L_EUlS1K_E_NS1_11comp_targetILNS1_3genE5ELNS1_11target_archE942ELNS1_3gpuE9ELNS1_3repE0EEENS1_30default_config_static_selectorELNS0_4arch9wavefront6targetE0EEEvSY_ ; -- Begin function _ZN7rocprim17ROCPRIM_400000_NS6detail17trampoline_kernelINS0_13select_configILj256ELj13ELNS0_17block_load_methodE3ELS4_3ELS4_3ELNS0_20block_scan_algorithmE0ELj4294967295EEENS1_25partition_config_selectorILNS1_17partition_subalgoE3EjNS0_10empty_typeEbEEZZNS1_14partition_implILS8_3ELb0ES6_jNS0_17counting_iteratorIjlEEPS9_SE_NS0_5tupleIJPjSE_EEENSF_IJSE_SE_EEES9_SG_JZNS1_25segmented_radix_sort_implINS0_14default_configELb1EPKdPdPKlPlN2at6native12_GLOBAL__N_18offset_tEEE10hipError_tPvRmT1_PNSt15iterator_traitsISY_E10value_typeET2_T3_PNSZ_IS14_E10value_typeET4_jRbjT5_S1A_jjP12ihipStream_tbEUljE_EEESV_SW_SX_S14_S18_S1A_T6_T7_T9_mT8_S1C_bDpT10_ENKUlT_T0_E_clISt17integral_constantIbLb1EES1O_IbLb0EEEEDaS1K_S1L_EUlS1K_E_NS1_11comp_targetILNS1_3genE5ELNS1_11target_archE942ELNS1_3gpuE9ELNS1_3repE0EEENS1_30default_config_static_selectorELNS0_4arch9wavefront6targetE0EEEvSY_
	.p2align	8
	.type	_ZN7rocprim17ROCPRIM_400000_NS6detail17trampoline_kernelINS0_13select_configILj256ELj13ELNS0_17block_load_methodE3ELS4_3ELS4_3ELNS0_20block_scan_algorithmE0ELj4294967295EEENS1_25partition_config_selectorILNS1_17partition_subalgoE3EjNS0_10empty_typeEbEEZZNS1_14partition_implILS8_3ELb0ES6_jNS0_17counting_iteratorIjlEEPS9_SE_NS0_5tupleIJPjSE_EEENSF_IJSE_SE_EEES9_SG_JZNS1_25segmented_radix_sort_implINS0_14default_configELb1EPKdPdPKlPlN2at6native12_GLOBAL__N_18offset_tEEE10hipError_tPvRmT1_PNSt15iterator_traitsISY_E10value_typeET2_T3_PNSZ_IS14_E10value_typeET4_jRbjT5_S1A_jjP12ihipStream_tbEUljE_EEESV_SW_SX_S14_S18_S1A_T6_T7_T9_mT8_S1C_bDpT10_ENKUlT_T0_E_clISt17integral_constantIbLb1EES1O_IbLb0EEEEDaS1K_S1L_EUlS1K_E_NS1_11comp_targetILNS1_3genE5ELNS1_11target_archE942ELNS1_3gpuE9ELNS1_3repE0EEENS1_30default_config_static_selectorELNS0_4arch9wavefront6targetE0EEEvSY_,@function
_ZN7rocprim17ROCPRIM_400000_NS6detail17trampoline_kernelINS0_13select_configILj256ELj13ELNS0_17block_load_methodE3ELS4_3ELS4_3ELNS0_20block_scan_algorithmE0ELj4294967295EEENS1_25partition_config_selectorILNS1_17partition_subalgoE3EjNS0_10empty_typeEbEEZZNS1_14partition_implILS8_3ELb0ES6_jNS0_17counting_iteratorIjlEEPS9_SE_NS0_5tupleIJPjSE_EEENSF_IJSE_SE_EEES9_SG_JZNS1_25segmented_radix_sort_implINS0_14default_configELb1EPKdPdPKlPlN2at6native12_GLOBAL__N_18offset_tEEE10hipError_tPvRmT1_PNSt15iterator_traitsISY_E10value_typeET2_T3_PNSZ_IS14_E10value_typeET4_jRbjT5_S1A_jjP12ihipStream_tbEUljE_EEESV_SW_SX_S14_S18_S1A_T6_T7_T9_mT8_S1C_bDpT10_ENKUlT_T0_E_clISt17integral_constantIbLb1EES1O_IbLb0EEEEDaS1K_S1L_EUlS1K_E_NS1_11comp_targetILNS1_3genE5ELNS1_11target_archE942ELNS1_3gpuE9ELNS1_3repE0EEENS1_30default_config_static_selectorELNS0_4arch9wavefront6targetE0EEEvSY_: ; @_ZN7rocprim17ROCPRIM_400000_NS6detail17trampoline_kernelINS0_13select_configILj256ELj13ELNS0_17block_load_methodE3ELS4_3ELS4_3ELNS0_20block_scan_algorithmE0ELj4294967295EEENS1_25partition_config_selectorILNS1_17partition_subalgoE3EjNS0_10empty_typeEbEEZZNS1_14partition_implILS8_3ELb0ES6_jNS0_17counting_iteratorIjlEEPS9_SE_NS0_5tupleIJPjSE_EEENSF_IJSE_SE_EEES9_SG_JZNS1_25segmented_radix_sort_implINS0_14default_configELb1EPKdPdPKlPlN2at6native12_GLOBAL__N_18offset_tEEE10hipError_tPvRmT1_PNSt15iterator_traitsISY_E10value_typeET2_T3_PNSZ_IS14_E10value_typeET4_jRbjT5_S1A_jjP12ihipStream_tbEUljE_EEESV_SW_SX_S14_S18_S1A_T6_T7_T9_mT8_S1C_bDpT10_ENKUlT_T0_E_clISt17integral_constantIbLb1EES1O_IbLb0EEEEDaS1K_S1L_EUlS1K_E_NS1_11comp_targetILNS1_3genE5ELNS1_11target_archE942ELNS1_3gpuE9ELNS1_3repE0EEENS1_30default_config_static_selectorELNS0_4arch9wavefront6targetE0EEEvSY_
; %bb.0:
	.section	.rodata,"a",@progbits
	.p2align	6, 0x0
	.amdhsa_kernel _ZN7rocprim17ROCPRIM_400000_NS6detail17trampoline_kernelINS0_13select_configILj256ELj13ELNS0_17block_load_methodE3ELS4_3ELS4_3ELNS0_20block_scan_algorithmE0ELj4294967295EEENS1_25partition_config_selectorILNS1_17partition_subalgoE3EjNS0_10empty_typeEbEEZZNS1_14partition_implILS8_3ELb0ES6_jNS0_17counting_iteratorIjlEEPS9_SE_NS0_5tupleIJPjSE_EEENSF_IJSE_SE_EEES9_SG_JZNS1_25segmented_radix_sort_implINS0_14default_configELb1EPKdPdPKlPlN2at6native12_GLOBAL__N_18offset_tEEE10hipError_tPvRmT1_PNSt15iterator_traitsISY_E10value_typeET2_T3_PNSZ_IS14_E10value_typeET4_jRbjT5_S1A_jjP12ihipStream_tbEUljE_EEESV_SW_SX_S14_S18_S1A_T6_T7_T9_mT8_S1C_bDpT10_ENKUlT_T0_E_clISt17integral_constantIbLb1EES1O_IbLb0EEEEDaS1K_S1L_EUlS1K_E_NS1_11comp_targetILNS1_3genE5ELNS1_11target_archE942ELNS1_3gpuE9ELNS1_3repE0EEENS1_30default_config_static_selectorELNS0_4arch9wavefront6targetE0EEEvSY_
		.amdhsa_group_segment_fixed_size 0
		.amdhsa_private_segment_fixed_size 0
		.amdhsa_kernarg_size 144
		.amdhsa_user_sgpr_count 6
		.amdhsa_user_sgpr_private_segment_buffer 1
		.amdhsa_user_sgpr_dispatch_ptr 0
		.amdhsa_user_sgpr_queue_ptr 0
		.amdhsa_user_sgpr_kernarg_segment_ptr 1
		.amdhsa_user_sgpr_dispatch_id 0
		.amdhsa_user_sgpr_flat_scratch_init 0
		.amdhsa_user_sgpr_private_segment_size 0
		.amdhsa_wavefront_size32 1
		.amdhsa_uses_dynamic_stack 0
		.amdhsa_system_sgpr_private_segment_wavefront_offset 0
		.amdhsa_system_sgpr_workgroup_id_x 1
		.amdhsa_system_sgpr_workgroup_id_y 0
		.amdhsa_system_sgpr_workgroup_id_z 0
		.amdhsa_system_sgpr_workgroup_info 0
		.amdhsa_system_vgpr_workitem_id 0
		.amdhsa_next_free_vgpr 1
		.amdhsa_next_free_sgpr 1
		.amdhsa_reserve_vcc 0
		.amdhsa_reserve_flat_scratch 0
		.amdhsa_float_round_mode_32 0
		.amdhsa_float_round_mode_16_64 0
		.amdhsa_float_denorm_mode_32 3
		.amdhsa_float_denorm_mode_16_64 3
		.amdhsa_dx10_clamp 1
		.amdhsa_ieee_mode 1
		.amdhsa_fp16_overflow 0
		.amdhsa_workgroup_processor_mode 1
		.amdhsa_memory_ordered 1
		.amdhsa_forward_progress 1
		.amdhsa_shared_vgpr_count 0
		.amdhsa_exception_fp_ieee_invalid_op 0
		.amdhsa_exception_fp_denorm_src 0
		.amdhsa_exception_fp_ieee_div_zero 0
		.amdhsa_exception_fp_ieee_overflow 0
		.amdhsa_exception_fp_ieee_underflow 0
		.amdhsa_exception_fp_ieee_inexact 0
		.amdhsa_exception_int_div_zero 0
	.end_amdhsa_kernel
	.section	.text._ZN7rocprim17ROCPRIM_400000_NS6detail17trampoline_kernelINS0_13select_configILj256ELj13ELNS0_17block_load_methodE3ELS4_3ELS4_3ELNS0_20block_scan_algorithmE0ELj4294967295EEENS1_25partition_config_selectorILNS1_17partition_subalgoE3EjNS0_10empty_typeEbEEZZNS1_14partition_implILS8_3ELb0ES6_jNS0_17counting_iteratorIjlEEPS9_SE_NS0_5tupleIJPjSE_EEENSF_IJSE_SE_EEES9_SG_JZNS1_25segmented_radix_sort_implINS0_14default_configELb1EPKdPdPKlPlN2at6native12_GLOBAL__N_18offset_tEEE10hipError_tPvRmT1_PNSt15iterator_traitsISY_E10value_typeET2_T3_PNSZ_IS14_E10value_typeET4_jRbjT5_S1A_jjP12ihipStream_tbEUljE_EEESV_SW_SX_S14_S18_S1A_T6_T7_T9_mT8_S1C_bDpT10_ENKUlT_T0_E_clISt17integral_constantIbLb1EES1O_IbLb0EEEEDaS1K_S1L_EUlS1K_E_NS1_11comp_targetILNS1_3genE5ELNS1_11target_archE942ELNS1_3gpuE9ELNS1_3repE0EEENS1_30default_config_static_selectorELNS0_4arch9wavefront6targetE0EEEvSY_,"axG",@progbits,_ZN7rocprim17ROCPRIM_400000_NS6detail17trampoline_kernelINS0_13select_configILj256ELj13ELNS0_17block_load_methodE3ELS4_3ELS4_3ELNS0_20block_scan_algorithmE0ELj4294967295EEENS1_25partition_config_selectorILNS1_17partition_subalgoE3EjNS0_10empty_typeEbEEZZNS1_14partition_implILS8_3ELb0ES6_jNS0_17counting_iteratorIjlEEPS9_SE_NS0_5tupleIJPjSE_EEENSF_IJSE_SE_EEES9_SG_JZNS1_25segmented_radix_sort_implINS0_14default_configELb1EPKdPdPKlPlN2at6native12_GLOBAL__N_18offset_tEEE10hipError_tPvRmT1_PNSt15iterator_traitsISY_E10value_typeET2_T3_PNSZ_IS14_E10value_typeET4_jRbjT5_S1A_jjP12ihipStream_tbEUljE_EEESV_SW_SX_S14_S18_S1A_T6_T7_T9_mT8_S1C_bDpT10_ENKUlT_T0_E_clISt17integral_constantIbLb1EES1O_IbLb0EEEEDaS1K_S1L_EUlS1K_E_NS1_11comp_targetILNS1_3genE5ELNS1_11target_archE942ELNS1_3gpuE9ELNS1_3repE0EEENS1_30default_config_static_selectorELNS0_4arch9wavefront6targetE0EEEvSY_,comdat
.Lfunc_end1095:
	.size	_ZN7rocprim17ROCPRIM_400000_NS6detail17trampoline_kernelINS0_13select_configILj256ELj13ELNS0_17block_load_methodE3ELS4_3ELS4_3ELNS0_20block_scan_algorithmE0ELj4294967295EEENS1_25partition_config_selectorILNS1_17partition_subalgoE3EjNS0_10empty_typeEbEEZZNS1_14partition_implILS8_3ELb0ES6_jNS0_17counting_iteratorIjlEEPS9_SE_NS0_5tupleIJPjSE_EEENSF_IJSE_SE_EEES9_SG_JZNS1_25segmented_radix_sort_implINS0_14default_configELb1EPKdPdPKlPlN2at6native12_GLOBAL__N_18offset_tEEE10hipError_tPvRmT1_PNSt15iterator_traitsISY_E10value_typeET2_T3_PNSZ_IS14_E10value_typeET4_jRbjT5_S1A_jjP12ihipStream_tbEUljE_EEESV_SW_SX_S14_S18_S1A_T6_T7_T9_mT8_S1C_bDpT10_ENKUlT_T0_E_clISt17integral_constantIbLb1EES1O_IbLb0EEEEDaS1K_S1L_EUlS1K_E_NS1_11comp_targetILNS1_3genE5ELNS1_11target_archE942ELNS1_3gpuE9ELNS1_3repE0EEENS1_30default_config_static_selectorELNS0_4arch9wavefront6targetE0EEEvSY_, .Lfunc_end1095-_ZN7rocprim17ROCPRIM_400000_NS6detail17trampoline_kernelINS0_13select_configILj256ELj13ELNS0_17block_load_methodE3ELS4_3ELS4_3ELNS0_20block_scan_algorithmE0ELj4294967295EEENS1_25partition_config_selectorILNS1_17partition_subalgoE3EjNS0_10empty_typeEbEEZZNS1_14partition_implILS8_3ELb0ES6_jNS0_17counting_iteratorIjlEEPS9_SE_NS0_5tupleIJPjSE_EEENSF_IJSE_SE_EEES9_SG_JZNS1_25segmented_radix_sort_implINS0_14default_configELb1EPKdPdPKlPlN2at6native12_GLOBAL__N_18offset_tEEE10hipError_tPvRmT1_PNSt15iterator_traitsISY_E10value_typeET2_T3_PNSZ_IS14_E10value_typeET4_jRbjT5_S1A_jjP12ihipStream_tbEUljE_EEESV_SW_SX_S14_S18_S1A_T6_T7_T9_mT8_S1C_bDpT10_ENKUlT_T0_E_clISt17integral_constantIbLb1EES1O_IbLb0EEEEDaS1K_S1L_EUlS1K_E_NS1_11comp_targetILNS1_3genE5ELNS1_11target_archE942ELNS1_3gpuE9ELNS1_3repE0EEENS1_30default_config_static_selectorELNS0_4arch9wavefront6targetE0EEEvSY_
                                        ; -- End function
	.set _ZN7rocprim17ROCPRIM_400000_NS6detail17trampoline_kernelINS0_13select_configILj256ELj13ELNS0_17block_load_methodE3ELS4_3ELS4_3ELNS0_20block_scan_algorithmE0ELj4294967295EEENS1_25partition_config_selectorILNS1_17partition_subalgoE3EjNS0_10empty_typeEbEEZZNS1_14partition_implILS8_3ELb0ES6_jNS0_17counting_iteratorIjlEEPS9_SE_NS0_5tupleIJPjSE_EEENSF_IJSE_SE_EEES9_SG_JZNS1_25segmented_radix_sort_implINS0_14default_configELb1EPKdPdPKlPlN2at6native12_GLOBAL__N_18offset_tEEE10hipError_tPvRmT1_PNSt15iterator_traitsISY_E10value_typeET2_T3_PNSZ_IS14_E10value_typeET4_jRbjT5_S1A_jjP12ihipStream_tbEUljE_EEESV_SW_SX_S14_S18_S1A_T6_T7_T9_mT8_S1C_bDpT10_ENKUlT_T0_E_clISt17integral_constantIbLb1EES1O_IbLb0EEEEDaS1K_S1L_EUlS1K_E_NS1_11comp_targetILNS1_3genE5ELNS1_11target_archE942ELNS1_3gpuE9ELNS1_3repE0EEENS1_30default_config_static_selectorELNS0_4arch9wavefront6targetE0EEEvSY_.num_vgpr, 0
	.set _ZN7rocprim17ROCPRIM_400000_NS6detail17trampoline_kernelINS0_13select_configILj256ELj13ELNS0_17block_load_methodE3ELS4_3ELS4_3ELNS0_20block_scan_algorithmE0ELj4294967295EEENS1_25partition_config_selectorILNS1_17partition_subalgoE3EjNS0_10empty_typeEbEEZZNS1_14partition_implILS8_3ELb0ES6_jNS0_17counting_iteratorIjlEEPS9_SE_NS0_5tupleIJPjSE_EEENSF_IJSE_SE_EEES9_SG_JZNS1_25segmented_radix_sort_implINS0_14default_configELb1EPKdPdPKlPlN2at6native12_GLOBAL__N_18offset_tEEE10hipError_tPvRmT1_PNSt15iterator_traitsISY_E10value_typeET2_T3_PNSZ_IS14_E10value_typeET4_jRbjT5_S1A_jjP12ihipStream_tbEUljE_EEESV_SW_SX_S14_S18_S1A_T6_T7_T9_mT8_S1C_bDpT10_ENKUlT_T0_E_clISt17integral_constantIbLb1EES1O_IbLb0EEEEDaS1K_S1L_EUlS1K_E_NS1_11comp_targetILNS1_3genE5ELNS1_11target_archE942ELNS1_3gpuE9ELNS1_3repE0EEENS1_30default_config_static_selectorELNS0_4arch9wavefront6targetE0EEEvSY_.num_agpr, 0
	.set _ZN7rocprim17ROCPRIM_400000_NS6detail17trampoline_kernelINS0_13select_configILj256ELj13ELNS0_17block_load_methodE3ELS4_3ELS4_3ELNS0_20block_scan_algorithmE0ELj4294967295EEENS1_25partition_config_selectorILNS1_17partition_subalgoE3EjNS0_10empty_typeEbEEZZNS1_14partition_implILS8_3ELb0ES6_jNS0_17counting_iteratorIjlEEPS9_SE_NS0_5tupleIJPjSE_EEENSF_IJSE_SE_EEES9_SG_JZNS1_25segmented_radix_sort_implINS0_14default_configELb1EPKdPdPKlPlN2at6native12_GLOBAL__N_18offset_tEEE10hipError_tPvRmT1_PNSt15iterator_traitsISY_E10value_typeET2_T3_PNSZ_IS14_E10value_typeET4_jRbjT5_S1A_jjP12ihipStream_tbEUljE_EEESV_SW_SX_S14_S18_S1A_T6_T7_T9_mT8_S1C_bDpT10_ENKUlT_T0_E_clISt17integral_constantIbLb1EES1O_IbLb0EEEEDaS1K_S1L_EUlS1K_E_NS1_11comp_targetILNS1_3genE5ELNS1_11target_archE942ELNS1_3gpuE9ELNS1_3repE0EEENS1_30default_config_static_selectorELNS0_4arch9wavefront6targetE0EEEvSY_.numbered_sgpr, 0
	.set _ZN7rocprim17ROCPRIM_400000_NS6detail17trampoline_kernelINS0_13select_configILj256ELj13ELNS0_17block_load_methodE3ELS4_3ELS4_3ELNS0_20block_scan_algorithmE0ELj4294967295EEENS1_25partition_config_selectorILNS1_17partition_subalgoE3EjNS0_10empty_typeEbEEZZNS1_14partition_implILS8_3ELb0ES6_jNS0_17counting_iteratorIjlEEPS9_SE_NS0_5tupleIJPjSE_EEENSF_IJSE_SE_EEES9_SG_JZNS1_25segmented_radix_sort_implINS0_14default_configELb1EPKdPdPKlPlN2at6native12_GLOBAL__N_18offset_tEEE10hipError_tPvRmT1_PNSt15iterator_traitsISY_E10value_typeET2_T3_PNSZ_IS14_E10value_typeET4_jRbjT5_S1A_jjP12ihipStream_tbEUljE_EEESV_SW_SX_S14_S18_S1A_T6_T7_T9_mT8_S1C_bDpT10_ENKUlT_T0_E_clISt17integral_constantIbLb1EES1O_IbLb0EEEEDaS1K_S1L_EUlS1K_E_NS1_11comp_targetILNS1_3genE5ELNS1_11target_archE942ELNS1_3gpuE9ELNS1_3repE0EEENS1_30default_config_static_selectorELNS0_4arch9wavefront6targetE0EEEvSY_.num_named_barrier, 0
	.set _ZN7rocprim17ROCPRIM_400000_NS6detail17trampoline_kernelINS0_13select_configILj256ELj13ELNS0_17block_load_methodE3ELS4_3ELS4_3ELNS0_20block_scan_algorithmE0ELj4294967295EEENS1_25partition_config_selectorILNS1_17partition_subalgoE3EjNS0_10empty_typeEbEEZZNS1_14partition_implILS8_3ELb0ES6_jNS0_17counting_iteratorIjlEEPS9_SE_NS0_5tupleIJPjSE_EEENSF_IJSE_SE_EEES9_SG_JZNS1_25segmented_radix_sort_implINS0_14default_configELb1EPKdPdPKlPlN2at6native12_GLOBAL__N_18offset_tEEE10hipError_tPvRmT1_PNSt15iterator_traitsISY_E10value_typeET2_T3_PNSZ_IS14_E10value_typeET4_jRbjT5_S1A_jjP12ihipStream_tbEUljE_EEESV_SW_SX_S14_S18_S1A_T6_T7_T9_mT8_S1C_bDpT10_ENKUlT_T0_E_clISt17integral_constantIbLb1EES1O_IbLb0EEEEDaS1K_S1L_EUlS1K_E_NS1_11comp_targetILNS1_3genE5ELNS1_11target_archE942ELNS1_3gpuE9ELNS1_3repE0EEENS1_30default_config_static_selectorELNS0_4arch9wavefront6targetE0EEEvSY_.private_seg_size, 0
	.set _ZN7rocprim17ROCPRIM_400000_NS6detail17trampoline_kernelINS0_13select_configILj256ELj13ELNS0_17block_load_methodE3ELS4_3ELS4_3ELNS0_20block_scan_algorithmE0ELj4294967295EEENS1_25partition_config_selectorILNS1_17partition_subalgoE3EjNS0_10empty_typeEbEEZZNS1_14partition_implILS8_3ELb0ES6_jNS0_17counting_iteratorIjlEEPS9_SE_NS0_5tupleIJPjSE_EEENSF_IJSE_SE_EEES9_SG_JZNS1_25segmented_radix_sort_implINS0_14default_configELb1EPKdPdPKlPlN2at6native12_GLOBAL__N_18offset_tEEE10hipError_tPvRmT1_PNSt15iterator_traitsISY_E10value_typeET2_T3_PNSZ_IS14_E10value_typeET4_jRbjT5_S1A_jjP12ihipStream_tbEUljE_EEESV_SW_SX_S14_S18_S1A_T6_T7_T9_mT8_S1C_bDpT10_ENKUlT_T0_E_clISt17integral_constantIbLb1EES1O_IbLb0EEEEDaS1K_S1L_EUlS1K_E_NS1_11comp_targetILNS1_3genE5ELNS1_11target_archE942ELNS1_3gpuE9ELNS1_3repE0EEENS1_30default_config_static_selectorELNS0_4arch9wavefront6targetE0EEEvSY_.uses_vcc, 0
	.set _ZN7rocprim17ROCPRIM_400000_NS6detail17trampoline_kernelINS0_13select_configILj256ELj13ELNS0_17block_load_methodE3ELS4_3ELS4_3ELNS0_20block_scan_algorithmE0ELj4294967295EEENS1_25partition_config_selectorILNS1_17partition_subalgoE3EjNS0_10empty_typeEbEEZZNS1_14partition_implILS8_3ELb0ES6_jNS0_17counting_iteratorIjlEEPS9_SE_NS0_5tupleIJPjSE_EEENSF_IJSE_SE_EEES9_SG_JZNS1_25segmented_radix_sort_implINS0_14default_configELb1EPKdPdPKlPlN2at6native12_GLOBAL__N_18offset_tEEE10hipError_tPvRmT1_PNSt15iterator_traitsISY_E10value_typeET2_T3_PNSZ_IS14_E10value_typeET4_jRbjT5_S1A_jjP12ihipStream_tbEUljE_EEESV_SW_SX_S14_S18_S1A_T6_T7_T9_mT8_S1C_bDpT10_ENKUlT_T0_E_clISt17integral_constantIbLb1EES1O_IbLb0EEEEDaS1K_S1L_EUlS1K_E_NS1_11comp_targetILNS1_3genE5ELNS1_11target_archE942ELNS1_3gpuE9ELNS1_3repE0EEENS1_30default_config_static_selectorELNS0_4arch9wavefront6targetE0EEEvSY_.uses_flat_scratch, 0
	.set _ZN7rocprim17ROCPRIM_400000_NS6detail17trampoline_kernelINS0_13select_configILj256ELj13ELNS0_17block_load_methodE3ELS4_3ELS4_3ELNS0_20block_scan_algorithmE0ELj4294967295EEENS1_25partition_config_selectorILNS1_17partition_subalgoE3EjNS0_10empty_typeEbEEZZNS1_14partition_implILS8_3ELb0ES6_jNS0_17counting_iteratorIjlEEPS9_SE_NS0_5tupleIJPjSE_EEENSF_IJSE_SE_EEES9_SG_JZNS1_25segmented_radix_sort_implINS0_14default_configELb1EPKdPdPKlPlN2at6native12_GLOBAL__N_18offset_tEEE10hipError_tPvRmT1_PNSt15iterator_traitsISY_E10value_typeET2_T3_PNSZ_IS14_E10value_typeET4_jRbjT5_S1A_jjP12ihipStream_tbEUljE_EEESV_SW_SX_S14_S18_S1A_T6_T7_T9_mT8_S1C_bDpT10_ENKUlT_T0_E_clISt17integral_constantIbLb1EES1O_IbLb0EEEEDaS1K_S1L_EUlS1K_E_NS1_11comp_targetILNS1_3genE5ELNS1_11target_archE942ELNS1_3gpuE9ELNS1_3repE0EEENS1_30default_config_static_selectorELNS0_4arch9wavefront6targetE0EEEvSY_.has_dyn_sized_stack, 0
	.set _ZN7rocprim17ROCPRIM_400000_NS6detail17trampoline_kernelINS0_13select_configILj256ELj13ELNS0_17block_load_methodE3ELS4_3ELS4_3ELNS0_20block_scan_algorithmE0ELj4294967295EEENS1_25partition_config_selectorILNS1_17partition_subalgoE3EjNS0_10empty_typeEbEEZZNS1_14partition_implILS8_3ELb0ES6_jNS0_17counting_iteratorIjlEEPS9_SE_NS0_5tupleIJPjSE_EEENSF_IJSE_SE_EEES9_SG_JZNS1_25segmented_radix_sort_implINS0_14default_configELb1EPKdPdPKlPlN2at6native12_GLOBAL__N_18offset_tEEE10hipError_tPvRmT1_PNSt15iterator_traitsISY_E10value_typeET2_T3_PNSZ_IS14_E10value_typeET4_jRbjT5_S1A_jjP12ihipStream_tbEUljE_EEESV_SW_SX_S14_S18_S1A_T6_T7_T9_mT8_S1C_bDpT10_ENKUlT_T0_E_clISt17integral_constantIbLb1EES1O_IbLb0EEEEDaS1K_S1L_EUlS1K_E_NS1_11comp_targetILNS1_3genE5ELNS1_11target_archE942ELNS1_3gpuE9ELNS1_3repE0EEENS1_30default_config_static_selectorELNS0_4arch9wavefront6targetE0EEEvSY_.has_recursion, 0
	.set _ZN7rocprim17ROCPRIM_400000_NS6detail17trampoline_kernelINS0_13select_configILj256ELj13ELNS0_17block_load_methodE3ELS4_3ELS4_3ELNS0_20block_scan_algorithmE0ELj4294967295EEENS1_25partition_config_selectorILNS1_17partition_subalgoE3EjNS0_10empty_typeEbEEZZNS1_14partition_implILS8_3ELb0ES6_jNS0_17counting_iteratorIjlEEPS9_SE_NS0_5tupleIJPjSE_EEENSF_IJSE_SE_EEES9_SG_JZNS1_25segmented_radix_sort_implINS0_14default_configELb1EPKdPdPKlPlN2at6native12_GLOBAL__N_18offset_tEEE10hipError_tPvRmT1_PNSt15iterator_traitsISY_E10value_typeET2_T3_PNSZ_IS14_E10value_typeET4_jRbjT5_S1A_jjP12ihipStream_tbEUljE_EEESV_SW_SX_S14_S18_S1A_T6_T7_T9_mT8_S1C_bDpT10_ENKUlT_T0_E_clISt17integral_constantIbLb1EES1O_IbLb0EEEEDaS1K_S1L_EUlS1K_E_NS1_11comp_targetILNS1_3genE5ELNS1_11target_archE942ELNS1_3gpuE9ELNS1_3repE0EEENS1_30default_config_static_selectorELNS0_4arch9wavefront6targetE0EEEvSY_.has_indirect_call, 0
	.section	.AMDGPU.csdata,"",@progbits
; Kernel info:
; codeLenInByte = 0
; TotalNumSgprs: 0
; NumVgprs: 0
; ScratchSize: 0
; MemoryBound: 0
; FloatMode: 240
; IeeeMode: 1
; LDSByteSize: 0 bytes/workgroup (compile time only)
; SGPRBlocks: 0
; VGPRBlocks: 0
; NumSGPRsForWavesPerEU: 1
; NumVGPRsForWavesPerEU: 1
; Occupancy: 16
; WaveLimiterHint : 0
; COMPUTE_PGM_RSRC2:SCRATCH_EN: 0
; COMPUTE_PGM_RSRC2:USER_SGPR: 6
; COMPUTE_PGM_RSRC2:TRAP_HANDLER: 0
; COMPUTE_PGM_RSRC2:TGID_X_EN: 1
; COMPUTE_PGM_RSRC2:TGID_Y_EN: 0
; COMPUTE_PGM_RSRC2:TGID_Z_EN: 0
; COMPUTE_PGM_RSRC2:TIDIG_COMP_CNT: 0
	.section	.text._ZN7rocprim17ROCPRIM_400000_NS6detail17trampoline_kernelINS0_13select_configILj256ELj13ELNS0_17block_load_methodE3ELS4_3ELS4_3ELNS0_20block_scan_algorithmE0ELj4294967295EEENS1_25partition_config_selectorILNS1_17partition_subalgoE3EjNS0_10empty_typeEbEEZZNS1_14partition_implILS8_3ELb0ES6_jNS0_17counting_iteratorIjlEEPS9_SE_NS0_5tupleIJPjSE_EEENSF_IJSE_SE_EEES9_SG_JZNS1_25segmented_radix_sort_implINS0_14default_configELb1EPKdPdPKlPlN2at6native12_GLOBAL__N_18offset_tEEE10hipError_tPvRmT1_PNSt15iterator_traitsISY_E10value_typeET2_T3_PNSZ_IS14_E10value_typeET4_jRbjT5_S1A_jjP12ihipStream_tbEUljE_EEESV_SW_SX_S14_S18_S1A_T6_T7_T9_mT8_S1C_bDpT10_ENKUlT_T0_E_clISt17integral_constantIbLb1EES1O_IbLb0EEEEDaS1K_S1L_EUlS1K_E_NS1_11comp_targetILNS1_3genE4ELNS1_11target_archE910ELNS1_3gpuE8ELNS1_3repE0EEENS1_30default_config_static_selectorELNS0_4arch9wavefront6targetE0EEEvSY_,"axG",@progbits,_ZN7rocprim17ROCPRIM_400000_NS6detail17trampoline_kernelINS0_13select_configILj256ELj13ELNS0_17block_load_methodE3ELS4_3ELS4_3ELNS0_20block_scan_algorithmE0ELj4294967295EEENS1_25partition_config_selectorILNS1_17partition_subalgoE3EjNS0_10empty_typeEbEEZZNS1_14partition_implILS8_3ELb0ES6_jNS0_17counting_iteratorIjlEEPS9_SE_NS0_5tupleIJPjSE_EEENSF_IJSE_SE_EEES9_SG_JZNS1_25segmented_radix_sort_implINS0_14default_configELb1EPKdPdPKlPlN2at6native12_GLOBAL__N_18offset_tEEE10hipError_tPvRmT1_PNSt15iterator_traitsISY_E10value_typeET2_T3_PNSZ_IS14_E10value_typeET4_jRbjT5_S1A_jjP12ihipStream_tbEUljE_EEESV_SW_SX_S14_S18_S1A_T6_T7_T9_mT8_S1C_bDpT10_ENKUlT_T0_E_clISt17integral_constantIbLb1EES1O_IbLb0EEEEDaS1K_S1L_EUlS1K_E_NS1_11comp_targetILNS1_3genE4ELNS1_11target_archE910ELNS1_3gpuE8ELNS1_3repE0EEENS1_30default_config_static_selectorELNS0_4arch9wavefront6targetE0EEEvSY_,comdat
	.globl	_ZN7rocprim17ROCPRIM_400000_NS6detail17trampoline_kernelINS0_13select_configILj256ELj13ELNS0_17block_load_methodE3ELS4_3ELS4_3ELNS0_20block_scan_algorithmE0ELj4294967295EEENS1_25partition_config_selectorILNS1_17partition_subalgoE3EjNS0_10empty_typeEbEEZZNS1_14partition_implILS8_3ELb0ES6_jNS0_17counting_iteratorIjlEEPS9_SE_NS0_5tupleIJPjSE_EEENSF_IJSE_SE_EEES9_SG_JZNS1_25segmented_radix_sort_implINS0_14default_configELb1EPKdPdPKlPlN2at6native12_GLOBAL__N_18offset_tEEE10hipError_tPvRmT1_PNSt15iterator_traitsISY_E10value_typeET2_T3_PNSZ_IS14_E10value_typeET4_jRbjT5_S1A_jjP12ihipStream_tbEUljE_EEESV_SW_SX_S14_S18_S1A_T6_T7_T9_mT8_S1C_bDpT10_ENKUlT_T0_E_clISt17integral_constantIbLb1EES1O_IbLb0EEEEDaS1K_S1L_EUlS1K_E_NS1_11comp_targetILNS1_3genE4ELNS1_11target_archE910ELNS1_3gpuE8ELNS1_3repE0EEENS1_30default_config_static_selectorELNS0_4arch9wavefront6targetE0EEEvSY_ ; -- Begin function _ZN7rocprim17ROCPRIM_400000_NS6detail17trampoline_kernelINS0_13select_configILj256ELj13ELNS0_17block_load_methodE3ELS4_3ELS4_3ELNS0_20block_scan_algorithmE0ELj4294967295EEENS1_25partition_config_selectorILNS1_17partition_subalgoE3EjNS0_10empty_typeEbEEZZNS1_14partition_implILS8_3ELb0ES6_jNS0_17counting_iteratorIjlEEPS9_SE_NS0_5tupleIJPjSE_EEENSF_IJSE_SE_EEES9_SG_JZNS1_25segmented_radix_sort_implINS0_14default_configELb1EPKdPdPKlPlN2at6native12_GLOBAL__N_18offset_tEEE10hipError_tPvRmT1_PNSt15iterator_traitsISY_E10value_typeET2_T3_PNSZ_IS14_E10value_typeET4_jRbjT5_S1A_jjP12ihipStream_tbEUljE_EEESV_SW_SX_S14_S18_S1A_T6_T7_T9_mT8_S1C_bDpT10_ENKUlT_T0_E_clISt17integral_constantIbLb1EES1O_IbLb0EEEEDaS1K_S1L_EUlS1K_E_NS1_11comp_targetILNS1_3genE4ELNS1_11target_archE910ELNS1_3gpuE8ELNS1_3repE0EEENS1_30default_config_static_selectorELNS0_4arch9wavefront6targetE0EEEvSY_
	.p2align	8
	.type	_ZN7rocprim17ROCPRIM_400000_NS6detail17trampoline_kernelINS0_13select_configILj256ELj13ELNS0_17block_load_methodE3ELS4_3ELS4_3ELNS0_20block_scan_algorithmE0ELj4294967295EEENS1_25partition_config_selectorILNS1_17partition_subalgoE3EjNS0_10empty_typeEbEEZZNS1_14partition_implILS8_3ELb0ES6_jNS0_17counting_iteratorIjlEEPS9_SE_NS0_5tupleIJPjSE_EEENSF_IJSE_SE_EEES9_SG_JZNS1_25segmented_radix_sort_implINS0_14default_configELb1EPKdPdPKlPlN2at6native12_GLOBAL__N_18offset_tEEE10hipError_tPvRmT1_PNSt15iterator_traitsISY_E10value_typeET2_T3_PNSZ_IS14_E10value_typeET4_jRbjT5_S1A_jjP12ihipStream_tbEUljE_EEESV_SW_SX_S14_S18_S1A_T6_T7_T9_mT8_S1C_bDpT10_ENKUlT_T0_E_clISt17integral_constantIbLb1EES1O_IbLb0EEEEDaS1K_S1L_EUlS1K_E_NS1_11comp_targetILNS1_3genE4ELNS1_11target_archE910ELNS1_3gpuE8ELNS1_3repE0EEENS1_30default_config_static_selectorELNS0_4arch9wavefront6targetE0EEEvSY_,@function
_ZN7rocprim17ROCPRIM_400000_NS6detail17trampoline_kernelINS0_13select_configILj256ELj13ELNS0_17block_load_methodE3ELS4_3ELS4_3ELNS0_20block_scan_algorithmE0ELj4294967295EEENS1_25partition_config_selectorILNS1_17partition_subalgoE3EjNS0_10empty_typeEbEEZZNS1_14partition_implILS8_3ELb0ES6_jNS0_17counting_iteratorIjlEEPS9_SE_NS0_5tupleIJPjSE_EEENSF_IJSE_SE_EEES9_SG_JZNS1_25segmented_radix_sort_implINS0_14default_configELb1EPKdPdPKlPlN2at6native12_GLOBAL__N_18offset_tEEE10hipError_tPvRmT1_PNSt15iterator_traitsISY_E10value_typeET2_T3_PNSZ_IS14_E10value_typeET4_jRbjT5_S1A_jjP12ihipStream_tbEUljE_EEESV_SW_SX_S14_S18_S1A_T6_T7_T9_mT8_S1C_bDpT10_ENKUlT_T0_E_clISt17integral_constantIbLb1EES1O_IbLb0EEEEDaS1K_S1L_EUlS1K_E_NS1_11comp_targetILNS1_3genE4ELNS1_11target_archE910ELNS1_3gpuE8ELNS1_3repE0EEENS1_30default_config_static_selectorELNS0_4arch9wavefront6targetE0EEEvSY_: ; @_ZN7rocprim17ROCPRIM_400000_NS6detail17trampoline_kernelINS0_13select_configILj256ELj13ELNS0_17block_load_methodE3ELS4_3ELS4_3ELNS0_20block_scan_algorithmE0ELj4294967295EEENS1_25partition_config_selectorILNS1_17partition_subalgoE3EjNS0_10empty_typeEbEEZZNS1_14partition_implILS8_3ELb0ES6_jNS0_17counting_iteratorIjlEEPS9_SE_NS0_5tupleIJPjSE_EEENSF_IJSE_SE_EEES9_SG_JZNS1_25segmented_radix_sort_implINS0_14default_configELb1EPKdPdPKlPlN2at6native12_GLOBAL__N_18offset_tEEE10hipError_tPvRmT1_PNSt15iterator_traitsISY_E10value_typeET2_T3_PNSZ_IS14_E10value_typeET4_jRbjT5_S1A_jjP12ihipStream_tbEUljE_EEESV_SW_SX_S14_S18_S1A_T6_T7_T9_mT8_S1C_bDpT10_ENKUlT_T0_E_clISt17integral_constantIbLb1EES1O_IbLb0EEEEDaS1K_S1L_EUlS1K_E_NS1_11comp_targetILNS1_3genE4ELNS1_11target_archE910ELNS1_3gpuE8ELNS1_3repE0EEENS1_30default_config_static_selectorELNS0_4arch9wavefront6targetE0EEEvSY_
; %bb.0:
	.section	.rodata,"a",@progbits
	.p2align	6, 0x0
	.amdhsa_kernel _ZN7rocprim17ROCPRIM_400000_NS6detail17trampoline_kernelINS0_13select_configILj256ELj13ELNS0_17block_load_methodE3ELS4_3ELS4_3ELNS0_20block_scan_algorithmE0ELj4294967295EEENS1_25partition_config_selectorILNS1_17partition_subalgoE3EjNS0_10empty_typeEbEEZZNS1_14partition_implILS8_3ELb0ES6_jNS0_17counting_iteratorIjlEEPS9_SE_NS0_5tupleIJPjSE_EEENSF_IJSE_SE_EEES9_SG_JZNS1_25segmented_radix_sort_implINS0_14default_configELb1EPKdPdPKlPlN2at6native12_GLOBAL__N_18offset_tEEE10hipError_tPvRmT1_PNSt15iterator_traitsISY_E10value_typeET2_T3_PNSZ_IS14_E10value_typeET4_jRbjT5_S1A_jjP12ihipStream_tbEUljE_EEESV_SW_SX_S14_S18_S1A_T6_T7_T9_mT8_S1C_bDpT10_ENKUlT_T0_E_clISt17integral_constantIbLb1EES1O_IbLb0EEEEDaS1K_S1L_EUlS1K_E_NS1_11comp_targetILNS1_3genE4ELNS1_11target_archE910ELNS1_3gpuE8ELNS1_3repE0EEENS1_30default_config_static_selectorELNS0_4arch9wavefront6targetE0EEEvSY_
		.amdhsa_group_segment_fixed_size 0
		.amdhsa_private_segment_fixed_size 0
		.amdhsa_kernarg_size 144
		.amdhsa_user_sgpr_count 6
		.amdhsa_user_sgpr_private_segment_buffer 1
		.amdhsa_user_sgpr_dispatch_ptr 0
		.amdhsa_user_sgpr_queue_ptr 0
		.amdhsa_user_sgpr_kernarg_segment_ptr 1
		.amdhsa_user_sgpr_dispatch_id 0
		.amdhsa_user_sgpr_flat_scratch_init 0
		.amdhsa_user_sgpr_private_segment_size 0
		.amdhsa_wavefront_size32 1
		.amdhsa_uses_dynamic_stack 0
		.amdhsa_system_sgpr_private_segment_wavefront_offset 0
		.amdhsa_system_sgpr_workgroup_id_x 1
		.amdhsa_system_sgpr_workgroup_id_y 0
		.amdhsa_system_sgpr_workgroup_id_z 0
		.amdhsa_system_sgpr_workgroup_info 0
		.amdhsa_system_vgpr_workitem_id 0
		.amdhsa_next_free_vgpr 1
		.amdhsa_next_free_sgpr 1
		.amdhsa_reserve_vcc 0
		.amdhsa_reserve_flat_scratch 0
		.amdhsa_float_round_mode_32 0
		.amdhsa_float_round_mode_16_64 0
		.amdhsa_float_denorm_mode_32 3
		.amdhsa_float_denorm_mode_16_64 3
		.amdhsa_dx10_clamp 1
		.amdhsa_ieee_mode 1
		.amdhsa_fp16_overflow 0
		.amdhsa_workgroup_processor_mode 1
		.amdhsa_memory_ordered 1
		.amdhsa_forward_progress 1
		.amdhsa_shared_vgpr_count 0
		.amdhsa_exception_fp_ieee_invalid_op 0
		.amdhsa_exception_fp_denorm_src 0
		.amdhsa_exception_fp_ieee_div_zero 0
		.amdhsa_exception_fp_ieee_overflow 0
		.amdhsa_exception_fp_ieee_underflow 0
		.amdhsa_exception_fp_ieee_inexact 0
		.amdhsa_exception_int_div_zero 0
	.end_amdhsa_kernel
	.section	.text._ZN7rocprim17ROCPRIM_400000_NS6detail17trampoline_kernelINS0_13select_configILj256ELj13ELNS0_17block_load_methodE3ELS4_3ELS4_3ELNS0_20block_scan_algorithmE0ELj4294967295EEENS1_25partition_config_selectorILNS1_17partition_subalgoE3EjNS0_10empty_typeEbEEZZNS1_14partition_implILS8_3ELb0ES6_jNS0_17counting_iteratorIjlEEPS9_SE_NS0_5tupleIJPjSE_EEENSF_IJSE_SE_EEES9_SG_JZNS1_25segmented_radix_sort_implINS0_14default_configELb1EPKdPdPKlPlN2at6native12_GLOBAL__N_18offset_tEEE10hipError_tPvRmT1_PNSt15iterator_traitsISY_E10value_typeET2_T3_PNSZ_IS14_E10value_typeET4_jRbjT5_S1A_jjP12ihipStream_tbEUljE_EEESV_SW_SX_S14_S18_S1A_T6_T7_T9_mT8_S1C_bDpT10_ENKUlT_T0_E_clISt17integral_constantIbLb1EES1O_IbLb0EEEEDaS1K_S1L_EUlS1K_E_NS1_11comp_targetILNS1_3genE4ELNS1_11target_archE910ELNS1_3gpuE8ELNS1_3repE0EEENS1_30default_config_static_selectorELNS0_4arch9wavefront6targetE0EEEvSY_,"axG",@progbits,_ZN7rocprim17ROCPRIM_400000_NS6detail17trampoline_kernelINS0_13select_configILj256ELj13ELNS0_17block_load_methodE3ELS4_3ELS4_3ELNS0_20block_scan_algorithmE0ELj4294967295EEENS1_25partition_config_selectorILNS1_17partition_subalgoE3EjNS0_10empty_typeEbEEZZNS1_14partition_implILS8_3ELb0ES6_jNS0_17counting_iteratorIjlEEPS9_SE_NS0_5tupleIJPjSE_EEENSF_IJSE_SE_EEES9_SG_JZNS1_25segmented_radix_sort_implINS0_14default_configELb1EPKdPdPKlPlN2at6native12_GLOBAL__N_18offset_tEEE10hipError_tPvRmT1_PNSt15iterator_traitsISY_E10value_typeET2_T3_PNSZ_IS14_E10value_typeET4_jRbjT5_S1A_jjP12ihipStream_tbEUljE_EEESV_SW_SX_S14_S18_S1A_T6_T7_T9_mT8_S1C_bDpT10_ENKUlT_T0_E_clISt17integral_constantIbLb1EES1O_IbLb0EEEEDaS1K_S1L_EUlS1K_E_NS1_11comp_targetILNS1_3genE4ELNS1_11target_archE910ELNS1_3gpuE8ELNS1_3repE0EEENS1_30default_config_static_selectorELNS0_4arch9wavefront6targetE0EEEvSY_,comdat
.Lfunc_end1096:
	.size	_ZN7rocprim17ROCPRIM_400000_NS6detail17trampoline_kernelINS0_13select_configILj256ELj13ELNS0_17block_load_methodE3ELS4_3ELS4_3ELNS0_20block_scan_algorithmE0ELj4294967295EEENS1_25partition_config_selectorILNS1_17partition_subalgoE3EjNS0_10empty_typeEbEEZZNS1_14partition_implILS8_3ELb0ES6_jNS0_17counting_iteratorIjlEEPS9_SE_NS0_5tupleIJPjSE_EEENSF_IJSE_SE_EEES9_SG_JZNS1_25segmented_radix_sort_implINS0_14default_configELb1EPKdPdPKlPlN2at6native12_GLOBAL__N_18offset_tEEE10hipError_tPvRmT1_PNSt15iterator_traitsISY_E10value_typeET2_T3_PNSZ_IS14_E10value_typeET4_jRbjT5_S1A_jjP12ihipStream_tbEUljE_EEESV_SW_SX_S14_S18_S1A_T6_T7_T9_mT8_S1C_bDpT10_ENKUlT_T0_E_clISt17integral_constantIbLb1EES1O_IbLb0EEEEDaS1K_S1L_EUlS1K_E_NS1_11comp_targetILNS1_3genE4ELNS1_11target_archE910ELNS1_3gpuE8ELNS1_3repE0EEENS1_30default_config_static_selectorELNS0_4arch9wavefront6targetE0EEEvSY_, .Lfunc_end1096-_ZN7rocprim17ROCPRIM_400000_NS6detail17trampoline_kernelINS0_13select_configILj256ELj13ELNS0_17block_load_methodE3ELS4_3ELS4_3ELNS0_20block_scan_algorithmE0ELj4294967295EEENS1_25partition_config_selectorILNS1_17partition_subalgoE3EjNS0_10empty_typeEbEEZZNS1_14partition_implILS8_3ELb0ES6_jNS0_17counting_iteratorIjlEEPS9_SE_NS0_5tupleIJPjSE_EEENSF_IJSE_SE_EEES9_SG_JZNS1_25segmented_radix_sort_implINS0_14default_configELb1EPKdPdPKlPlN2at6native12_GLOBAL__N_18offset_tEEE10hipError_tPvRmT1_PNSt15iterator_traitsISY_E10value_typeET2_T3_PNSZ_IS14_E10value_typeET4_jRbjT5_S1A_jjP12ihipStream_tbEUljE_EEESV_SW_SX_S14_S18_S1A_T6_T7_T9_mT8_S1C_bDpT10_ENKUlT_T0_E_clISt17integral_constantIbLb1EES1O_IbLb0EEEEDaS1K_S1L_EUlS1K_E_NS1_11comp_targetILNS1_3genE4ELNS1_11target_archE910ELNS1_3gpuE8ELNS1_3repE0EEENS1_30default_config_static_selectorELNS0_4arch9wavefront6targetE0EEEvSY_
                                        ; -- End function
	.set _ZN7rocprim17ROCPRIM_400000_NS6detail17trampoline_kernelINS0_13select_configILj256ELj13ELNS0_17block_load_methodE3ELS4_3ELS4_3ELNS0_20block_scan_algorithmE0ELj4294967295EEENS1_25partition_config_selectorILNS1_17partition_subalgoE3EjNS0_10empty_typeEbEEZZNS1_14partition_implILS8_3ELb0ES6_jNS0_17counting_iteratorIjlEEPS9_SE_NS0_5tupleIJPjSE_EEENSF_IJSE_SE_EEES9_SG_JZNS1_25segmented_radix_sort_implINS0_14default_configELb1EPKdPdPKlPlN2at6native12_GLOBAL__N_18offset_tEEE10hipError_tPvRmT1_PNSt15iterator_traitsISY_E10value_typeET2_T3_PNSZ_IS14_E10value_typeET4_jRbjT5_S1A_jjP12ihipStream_tbEUljE_EEESV_SW_SX_S14_S18_S1A_T6_T7_T9_mT8_S1C_bDpT10_ENKUlT_T0_E_clISt17integral_constantIbLb1EES1O_IbLb0EEEEDaS1K_S1L_EUlS1K_E_NS1_11comp_targetILNS1_3genE4ELNS1_11target_archE910ELNS1_3gpuE8ELNS1_3repE0EEENS1_30default_config_static_selectorELNS0_4arch9wavefront6targetE0EEEvSY_.num_vgpr, 0
	.set _ZN7rocprim17ROCPRIM_400000_NS6detail17trampoline_kernelINS0_13select_configILj256ELj13ELNS0_17block_load_methodE3ELS4_3ELS4_3ELNS0_20block_scan_algorithmE0ELj4294967295EEENS1_25partition_config_selectorILNS1_17partition_subalgoE3EjNS0_10empty_typeEbEEZZNS1_14partition_implILS8_3ELb0ES6_jNS0_17counting_iteratorIjlEEPS9_SE_NS0_5tupleIJPjSE_EEENSF_IJSE_SE_EEES9_SG_JZNS1_25segmented_radix_sort_implINS0_14default_configELb1EPKdPdPKlPlN2at6native12_GLOBAL__N_18offset_tEEE10hipError_tPvRmT1_PNSt15iterator_traitsISY_E10value_typeET2_T3_PNSZ_IS14_E10value_typeET4_jRbjT5_S1A_jjP12ihipStream_tbEUljE_EEESV_SW_SX_S14_S18_S1A_T6_T7_T9_mT8_S1C_bDpT10_ENKUlT_T0_E_clISt17integral_constantIbLb1EES1O_IbLb0EEEEDaS1K_S1L_EUlS1K_E_NS1_11comp_targetILNS1_3genE4ELNS1_11target_archE910ELNS1_3gpuE8ELNS1_3repE0EEENS1_30default_config_static_selectorELNS0_4arch9wavefront6targetE0EEEvSY_.num_agpr, 0
	.set _ZN7rocprim17ROCPRIM_400000_NS6detail17trampoline_kernelINS0_13select_configILj256ELj13ELNS0_17block_load_methodE3ELS4_3ELS4_3ELNS0_20block_scan_algorithmE0ELj4294967295EEENS1_25partition_config_selectorILNS1_17partition_subalgoE3EjNS0_10empty_typeEbEEZZNS1_14partition_implILS8_3ELb0ES6_jNS0_17counting_iteratorIjlEEPS9_SE_NS0_5tupleIJPjSE_EEENSF_IJSE_SE_EEES9_SG_JZNS1_25segmented_radix_sort_implINS0_14default_configELb1EPKdPdPKlPlN2at6native12_GLOBAL__N_18offset_tEEE10hipError_tPvRmT1_PNSt15iterator_traitsISY_E10value_typeET2_T3_PNSZ_IS14_E10value_typeET4_jRbjT5_S1A_jjP12ihipStream_tbEUljE_EEESV_SW_SX_S14_S18_S1A_T6_T7_T9_mT8_S1C_bDpT10_ENKUlT_T0_E_clISt17integral_constantIbLb1EES1O_IbLb0EEEEDaS1K_S1L_EUlS1K_E_NS1_11comp_targetILNS1_3genE4ELNS1_11target_archE910ELNS1_3gpuE8ELNS1_3repE0EEENS1_30default_config_static_selectorELNS0_4arch9wavefront6targetE0EEEvSY_.numbered_sgpr, 0
	.set _ZN7rocprim17ROCPRIM_400000_NS6detail17trampoline_kernelINS0_13select_configILj256ELj13ELNS0_17block_load_methodE3ELS4_3ELS4_3ELNS0_20block_scan_algorithmE0ELj4294967295EEENS1_25partition_config_selectorILNS1_17partition_subalgoE3EjNS0_10empty_typeEbEEZZNS1_14partition_implILS8_3ELb0ES6_jNS0_17counting_iteratorIjlEEPS9_SE_NS0_5tupleIJPjSE_EEENSF_IJSE_SE_EEES9_SG_JZNS1_25segmented_radix_sort_implINS0_14default_configELb1EPKdPdPKlPlN2at6native12_GLOBAL__N_18offset_tEEE10hipError_tPvRmT1_PNSt15iterator_traitsISY_E10value_typeET2_T3_PNSZ_IS14_E10value_typeET4_jRbjT5_S1A_jjP12ihipStream_tbEUljE_EEESV_SW_SX_S14_S18_S1A_T6_T7_T9_mT8_S1C_bDpT10_ENKUlT_T0_E_clISt17integral_constantIbLb1EES1O_IbLb0EEEEDaS1K_S1L_EUlS1K_E_NS1_11comp_targetILNS1_3genE4ELNS1_11target_archE910ELNS1_3gpuE8ELNS1_3repE0EEENS1_30default_config_static_selectorELNS0_4arch9wavefront6targetE0EEEvSY_.num_named_barrier, 0
	.set _ZN7rocprim17ROCPRIM_400000_NS6detail17trampoline_kernelINS0_13select_configILj256ELj13ELNS0_17block_load_methodE3ELS4_3ELS4_3ELNS0_20block_scan_algorithmE0ELj4294967295EEENS1_25partition_config_selectorILNS1_17partition_subalgoE3EjNS0_10empty_typeEbEEZZNS1_14partition_implILS8_3ELb0ES6_jNS0_17counting_iteratorIjlEEPS9_SE_NS0_5tupleIJPjSE_EEENSF_IJSE_SE_EEES9_SG_JZNS1_25segmented_radix_sort_implINS0_14default_configELb1EPKdPdPKlPlN2at6native12_GLOBAL__N_18offset_tEEE10hipError_tPvRmT1_PNSt15iterator_traitsISY_E10value_typeET2_T3_PNSZ_IS14_E10value_typeET4_jRbjT5_S1A_jjP12ihipStream_tbEUljE_EEESV_SW_SX_S14_S18_S1A_T6_T7_T9_mT8_S1C_bDpT10_ENKUlT_T0_E_clISt17integral_constantIbLb1EES1O_IbLb0EEEEDaS1K_S1L_EUlS1K_E_NS1_11comp_targetILNS1_3genE4ELNS1_11target_archE910ELNS1_3gpuE8ELNS1_3repE0EEENS1_30default_config_static_selectorELNS0_4arch9wavefront6targetE0EEEvSY_.private_seg_size, 0
	.set _ZN7rocprim17ROCPRIM_400000_NS6detail17trampoline_kernelINS0_13select_configILj256ELj13ELNS0_17block_load_methodE3ELS4_3ELS4_3ELNS0_20block_scan_algorithmE0ELj4294967295EEENS1_25partition_config_selectorILNS1_17partition_subalgoE3EjNS0_10empty_typeEbEEZZNS1_14partition_implILS8_3ELb0ES6_jNS0_17counting_iteratorIjlEEPS9_SE_NS0_5tupleIJPjSE_EEENSF_IJSE_SE_EEES9_SG_JZNS1_25segmented_radix_sort_implINS0_14default_configELb1EPKdPdPKlPlN2at6native12_GLOBAL__N_18offset_tEEE10hipError_tPvRmT1_PNSt15iterator_traitsISY_E10value_typeET2_T3_PNSZ_IS14_E10value_typeET4_jRbjT5_S1A_jjP12ihipStream_tbEUljE_EEESV_SW_SX_S14_S18_S1A_T6_T7_T9_mT8_S1C_bDpT10_ENKUlT_T0_E_clISt17integral_constantIbLb1EES1O_IbLb0EEEEDaS1K_S1L_EUlS1K_E_NS1_11comp_targetILNS1_3genE4ELNS1_11target_archE910ELNS1_3gpuE8ELNS1_3repE0EEENS1_30default_config_static_selectorELNS0_4arch9wavefront6targetE0EEEvSY_.uses_vcc, 0
	.set _ZN7rocprim17ROCPRIM_400000_NS6detail17trampoline_kernelINS0_13select_configILj256ELj13ELNS0_17block_load_methodE3ELS4_3ELS4_3ELNS0_20block_scan_algorithmE0ELj4294967295EEENS1_25partition_config_selectorILNS1_17partition_subalgoE3EjNS0_10empty_typeEbEEZZNS1_14partition_implILS8_3ELb0ES6_jNS0_17counting_iteratorIjlEEPS9_SE_NS0_5tupleIJPjSE_EEENSF_IJSE_SE_EEES9_SG_JZNS1_25segmented_radix_sort_implINS0_14default_configELb1EPKdPdPKlPlN2at6native12_GLOBAL__N_18offset_tEEE10hipError_tPvRmT1_PNSt15iterator_traitsISY_E10value_typeET2_T3_PNSZ_IS14_E10value_typeET4_jRbjT5_S1A_jjP12ihipStream_tbEUljE_EEESV_SW_SX_S14_S18_S1A_T6_T7_T9_mT8_S1C_bDpT10_ENKUlT_T0_E_clISt17integral_constantIbLb1EES1O_IbLb0EEEEDaS1K_S1L_EUlS1K_E_NS1_11comp_targetILNS1_3genE4ELNS1_11target_archE910ELNS1_3gpuE8ELNS1_3repE0EEENS1_30default_config_static_selectorELNS0_4arch9wavefront6targetE0EEEvSY_.uses_flat_scratch, 0
	.set _ZN7rocprim17ROCPRIM_400000_NS6detail17trampoline_kernelINS0_13select_configILj256ELj13ELNS0_17block_load_methodE3ELS4_3ELS4_3ELNS0_20block_scan_algorithmE0ELj4294967295EEENS1_25partition_config_selectorILNS1_17partition_subalgoE3EjNS0_10empty_typeEbEEZZNS1_14partition_implILS8_3ELb0ES6_jNS0_17counting_iteratorIjlEEPS9_SE_NS0_5tupleIJPjSE_EEENSF_IJSE_SE_EEES9_SG_JZNS1_25segmented_radix_sort_implINS0_14default_configELb1EPKdPdPKlPlN2at6native12_GLOBAL__N_18offset_tEEE10hipError_tPvRmT1_PNSt15iterator_traitsISY_E10value_typeET2_T3_PNSZ_IS14_E10value_typeET4_jRbjT5_S1A_jjP12ihipStream_tbEUljE_EEESV_SW_SX_S14_S18_S1A_T6_T7_T9_mT8_S1C_bDpT10_ENKUlT_T0_E_clISt17integral_constantIbLb1EES1O_IbLb0EEEEDaS1K_S1L_EUlS1K_E_NS1_11comp_targetILNS1_3genE4ELNS1_11target_archE910ELNS1_3gpuE8ELNS1_3repE0EEENS1_30default_config_static_selectorELNS0_4arch9wavefront6targetE0EEEvSY_.has_dyn_sized_stack, 0
	.set _ZN7rocprim17ROCPRIM_400000_NS6detail17trampoline_kernelINS0_13select_configILj256ELj13ELNS0_17block_load_methodE3ELS4_3ELS4_3ELNS0_20block_scan_algorithmE0ELj4294967295EEENS1_25partition_config_selectorILNS1_17partition_subalgoE3EjNS0_10empty_typeEbEEZZNS1_14partition_implILS8_3ELb0ES6_jNS0_17counting_iteratorIjlEEPS9_SE_NS0_5tupleIJPjSE_EEENSF_IJSE_SE_EEES9_SG_JZNS1_25segmented_radix_sort_implINS0_14default_configELb1EPKdPdPKlPlN2at6native12_GLOBAL__N_18offset_tEEE10hipError_tPvRmT1_PNSt15iterator_traitsISY_E10value_typeET2_T3_PNSZ_IS14_E10value_typeET4_jRbjT5_S1A_jjP12ihipStream_tbEUljE_EEESV_SW_SX_S14_S18_S1A_T6_T7_T9_mT8_S1C_bDpT10_ENKUlT_T0_E_clISt17integral_constantIbLb1EES1O_IbLb0EEEEDaS1K_S1L_EUlS1K_E_NS1_11comp_targetILNS1_3genE4ELNS1_11target_archE910ELNS1_3gpuE8ELNS1_3repE0EEENS1_30default_config_static_selectorELNS0_4arch9wavefront6targetE0EEEvSY_.has_recursion, 0
	.set _ZN7rocprim17ROCPRIM_400000_NS6detail17trampoline_kernelINS0_13select_configILj256ELj13ELNS0_17block_load_methodE3ELS4_3ELS4_3ELNS0_20block_scan_algorithmE0ELj4294967295EEENS1_25partition_config_selectorILNS1_17partition_subalgoE3EjNS0_10empty_typeEbEEZZNS1_14partition_implILS8_3ELb0ES6_jNS0_17counting_iteratorIjlEEPS9_SE_NS0_5tupleIJPjSE_EEENSF_IJSE_SE_EEES9_SG_JZNS1_25segmented_radix_sort_implINS0_14default_configELb1EPKdPdPKlPlN2at6native12_GLOBAL__N_18offset_tEEE10hipError_tPvRmT1_PNSt15iterator_traitsISY_E10value_typeET2_T3_PNSZ_IS14_E10value_typeET4_jRbjT5_S1A_jjP12ihipStream_tbEUljE_EEESV_SW_SX_S14_S18_S1A_T6_T7_T9_mT8_S1C_bDpT10_ENKUlT_T0_E_clISt17integral_constantIbLb1EES1O_IbLb0EEEEDaS1K_S1L_EUlS1K_E_NS1_11comp_targetILNS1_3genE4ELNS1_11target_archE910ELNS1_3gpuE8ELNS1_3repE0EEENS1_30default_config_static_selectorELNS0_4arch9wavefront6targetE0EEEvSY_.has_indirect_call, 0
	.section	.AMDGPU.csdata,"",@progbits
; Kernel info:
; codeLenInByte = 0
; TotalNumSgprs: 0
; NumVgprs: 0
; ScratchSize: 0
; MemoryBound: 0
; FloatMode: 240
; IeeeMode: 1
; LDSByteSize: 0 bytes/workgroup (compile time only)
; SGPRBlocks: 0
; VGPRBlocks: 0
; NumSGPRsForWavesPerEU: 1
; NumVGPRsForWavesPerEU: 1
; Occupancy: 16
; WaveLimiterHint : 0
; COMPUTE_PGM_RSRC2:SCRATCH_EN: 0
; COMPUTE_PGM_RSRC2:USER_SGPR: 6
; COMPUTE_PGM_RSRC2:TRAP_HANDLER: 0
; COMPUTE_PGM_RSRC2:TGID_X_EN: 1
; COMPUTE_PGM_RSRC2:TGID_Y_EN: 0
; COMPUTE_PGM_RSRC2:TGID_Z_EN: 0
; COMPUTE_PGM_RSRC2:TIDIG_COMP_CNT: 0
	.section	.text._ZN7rocprim17ROCPRIM_400000_NS6detail17trampoline_kernelINS0_13select_configILj256ELj13ELNS0_17block_load_methodE3ELS4_3ELS4_3ELNS0_20block_scan_algorithmE0ELj4294967295EEENS1_25partition_config_selectorILNS1_17partition_subalgoE3EjNS0_10empty_typeEbEEZZNS1_14partition_implILS8_3ELb0ES6_jNS0_17counting_iteratorIjlEEPS9_SE_NS0_5tupleIJPjSE_EEENSF_IJSE_SE_EEES9_SG_JZNS1_25segmented_radix_sort_implINS0_14default_configELb1EPKdPdPKlPlN2at6native12_GLOBAL__N_18offset_tEEE10hipError_tPvRmT1_PNSt15iterator_traitsISY_E10value_typeET2_T3_PNSZ_IS14_E10value_typeET4_jRbjT5_S1A_jjP12ihipStream_tbEUljE_EEESV_SW_SX_S14_S18_S1A_T6_T7_T9_mT8_S1C_bDpT10_ENKUlT_T0_E_clISt17integral_constantIbLb1EES1O_IbLb0EEEEDaS1K_S1L_EUlS1K_E_NS1_11comp_targetILNS1_3genE3ELNS1_11target_archE908ELNS1_3gpuE7ELNS1_3repE0EEENS1_30default_config_static_selectorELNS0_4arch9wavefront6targetE0EEEvSY_,"axG",@progbits,_ZN7rocprim17ROCPRIM_400000_NS6detail17trampoline_kernelINS0_13select_configILj256ELj13ELNS0_17block_load_methodE3ELS4_3ELS4_3ELNS0_20block_scan_algorithmE0ELj4294967295EEENS1_25partition_config_selectorILNS1_17partition_subalgoE3EjNS0_10empty_typeEbEEZZNS1_14partition_implILS8_3ELb0ES6_jNS0_17counting_iteratorIjlEEPS9_SE_NS0_5tupleIJPjSE_EEENSF_IJSE_SE_EEES9_SG_JZNS1_25segmented_radix_sort_implINS0_14default_configELb1EPKdPdPKlPlN2at6native12_GLOBAL__N_18offset_tEEE10hipError_tPvRmT1_PNSt15iterator_traitsISY_E10value_typeET2_T3_PNSZ_IS14_E10value_typeET4_jRbjT5_S1A_jjP12ihipStream_tbEUljE_EEESV_SW_SX_S14_S18_S1A_T6_T7_T9_mT8_S1C_bDpT10_ENKUlT_T0_E_clISt17integral_constantIbLb1EES1O_IbLb0EEEEDaS1K_S1L_EUlS1K_E_NS1_11comp_targetILNS1_3genE3ELNS1_11target_archE908ELNS1_3gpuE7ELNS1_3repE0EEENS1_30default_config_static_selectorELNS0_4arch9wavefront6targetE0EEEvSY_,comdat
	.globl	_ZN7rocprim17ROCPRIM_400000_NS6detail17trampoline_kernelINS0_13select_configILj256ELj13ELNS0_17block_load_methodE3ELS4_3ELS4_3ELNS0_20block_scan_algorithmE0ELj4294967295EEENS1_25partition_config_selectorILNS1_17partition_subalgoE3EjNS0_10empty_typeEbEEZZNS1_14partition_implILS8_3ELb0ES6_jNS0_17counting_iteratorIjlEEPS9_SE_NS0_5tupleIJPjSE_EEENSF_IJSE_SE_EEES9_SG_JZNS1_25segmented_radix_sort_implINS0_14default_configELb1EPKdPdPKlPlN2at6native12_GLOBAL__N_18offset_tEEE10hipError_tPvRmT1_PNSt15iterator_traitsISY_E10value_typeET2_T3_PNSZ_IS14_E10value_typeET4_jRbjT5_S1A_jjP12ihipStream_tbEUljE_EEESV_SW_SX_S14_S18_S1A_T6_T7_T9_mT8_S1C_bDpT10_ENKUlT_T0_E_clISt17integral_constantIbLb1EES1O_IbLb0EEEEDaS1K_S1L_EUlS1K_E_NS1_11comp_targetILNS1_3genE3ELNS1_11target_archE908ELNS1_3gpuE7ELNS1_3repE0EEENS1_30default_config_static_selectorELNS0_4arch9wavefront6targetE0EEEvSY_ ; -- Begin function _ZN7rocprim17ROCPRIM_400000_NS6detail17trampoline_kernelINS0_13select_configILj256ELj13ELNS0_17block_load_methodE3ELS4_3ELS4_3ELNS0_20block_scan_algorithmE0ELj4294967295EEENS1_25partition_config_selectorILNS1_17partition_subalgoE3EjNS0_10empty_typeEbEEZZNS1_14partition_implILS8_3ELb0ES6_jNS0_17counting_iteratorIjlEEPS9_SE_NS0_5tupleIJPjSE_EEENSF_IJSE_SE_EEES9_SG_JZNS1_25segmented_radix_sort_implINS0_14default_configELb1EPKdPdPKlPlN2at6native12_GLOBAL__N_18offset_tEEE10hipError_tPvRmT1_PNSt15iterator_traitsISY_E10value_typeET2_T3_PNSZ_IS14_E10value_typeET4_jRbjT5_S1A_jjP12ihipStream_tbEUljE_EEESV_SW_SX_S14_S18_S1A_T6_T7_T9_mT8_S1C_bDpT10_ENKUlT_T0_E_clISt17integral_constantIbLb1EES1O_IbLb0EEEEDaS1K_S1L_EUlS1K_E_NS1_11comp_targetILNS1_3genE3ELNS1_11target_archE908ELNS1_3gpuE7ELNS1_3repE0EEENS1_30default_config_static_selectorELNS0_4arch9wavefront6targetE0EEEvSY_
	.p2align	8
	.type	_ZN7rocprim17ROCPRIM_400000_NS6detail17trampoline_kernelINS0_13select_configILj256ELj13ELNS0_17block_load_methodE3ELS4_3ELS4_3ELNS0_20block_scan_algorithmE0ELj4294967295EEENS1_25partition_config_selectorILNS1_17partition_subalgoE3EjNS0_10empty_typeEbEEZZNS1_14partition_implILS8_3ELb0ES6_jNS0_17counting_iteratorIjlEEPS9_SE_NS0_5tupleIJPjSE_EEENSF_IJSE_SE_EEES9_SG_JZNS1_25segmented_radix_sort_implINS0_14default_configELb1EPKdPdPKlPlN2at6native12_GLOBAL__N_18offset_tEEE10hipError_tPvRmT1_PNSt15iterator_traitsISY_E10value_typeET2_T3_PNSZ_IS14_E10value_typeET4_jRbjT5_S1A_jjP12ihipStream_tbEUljE_EEESV_SW_SX_S14_S18_S1A_T6_T7_T9_mT8_S1C_bDpT10_ENKUlT_T0_E_clISt17integral_constantIbLb1EES1O_IbLb0EEEEDaS1K_S1L_EUlS1K_E_NS1_11comp_targetILNS1_3genE3ELNS1_11target_archE908ELNS1_3gpuE7ELNS1_3repE0EEENS1_30default_config_static_selectorELNS0_4arch9wavefront6targetE0EEEvSY_,@function
_ZN7rocprim17ROCPRIM_400000_NS6detail17trampoline_kernelINS0_13select_configILj256ELj13ELNS0_17block_load_methodE3ELS4_3ELS4_3ELNS0_20block_scan_algorithmE0ELj4294967295EEENS1_25partition_config_selectorILNS1_17partition_subalgoE3EjNS0_10empty_typeEbEEZZNS1_14partition_implILS8_3ELb0ES6_jNS0_17counting_iteratorIjlEEPS9_SE_NS0_5tupleIJPjSE_EEENSF_IJSE_SE_EEES9_SG_JZNS1_25segmented_radix_sort_implINS0_14default_configELb1EPKdPdPKlPlN2at6native12_GLOBAL__N_18offset_tEEE10hipError_tPvRmT1_PNSt15iterator_traitsISY_E10value_typeET2_T3_PNSZ_IS14_E10value_typeET4_jRbjT5_S1A_jjP12ihipStream_tbEUljE_EEESV_SW_SX_S14_S18_S1A_T6_T7_T9_mT8_S1C_bDpT10_ENKUlT_T0_E_clISt17integral_constantIbLb1EES1O_IbLb0EEEEDaS1K_S1L_EUlS1K_E_NS1_11comp_targetILNS1_3genE3ELNS1_11target_archE908ELNS1_3gpuE7ELNS1_3repE0EEENS1_30default_config_static_selectorELNS0_4arch9wavefront6targetE0EEEvSY_: ; @_ZN7rocprim17ROCPRIM_400000_NS6detail17trampoline_kernelINS0_13select_configILj256ELj13ELNS0_17block_load_methodE3ELS4_3ELS4_3ELNS0_20block_scan_algorithmE0ELj4294967295EEENS1_25partition_config_selectorILNS1_17partition_subalgoE3EjNS0_10empty_typeEbEEZZNS1_14partition_implILS8_3ELb0ES6_jNS0_17counting_iteratorIjlEEPS9_SE_NS0_5tupleIJPjSE_EEENSF_IJSE_SE_EEES9_SG_JZNS1_25segmented_radix_sort_implINS0_14default_configELb1EPKdPdPKlPlN2at6native12_GLOBAL__N_18offset_tEEE10hipError_tPvRmT1_PNSt15iterator_traitsISY_E10value_typeET2_T3_PNSZ_IS14_E10value_typeET4_jRbjT5_S1A_jjP12ihipStream_tbEUljE_EEESV_SW_SX_S14_S18_S1A_T6_T7_T9_mT8_S1C_bDpT10_ENKUlT_T0_E_clISt17integral_constantIbLb1EES1O_IbLb0EEEEDaS1K_S1L_EUlS1K_E_NS1_11comp_targetILNS1_3genE3ELNS1_11target_archE908ELNS1_3gpuE7ELNS1_3repE0EEENS1_30default_config_static_selectorELNS0_4arch9wavefront6targetE0EEEvSY_
; %bb.0:
	.section	.rodata,"a",@progbits
	.p2align	6, 0x0
	.amdhsa_kernel _ZN7rocprim17ROCPRIM_400000_NS6detail17trampoline_kernelINS0_13select_configILj256ELj13ELNS0_17block_load_methodE3ELS4_3ELS4_3ELNS0_20block_scan_algorithmE0ELj4294967295EEENS1_25partition_config_selectorILNS1_17partition_subalgoE3EjNS0_10empty_typeEbEEZZNS1_14partition_implILS8_3ELb0ES6_jNS0_17counting_iteratorIjlEEPS9_SE_NS0_5tupleIJPjSE_EEENSF_IJSE_SE_EEES9_SG_JZNS1_25segmented_radix_sort_implINS0_14default_configELb1EPKdPdPKlPlN2at6native12_GLOBAL__N_18offset_tEEE10hipError_tPvRmT1_PNSt15iterator_traitsISY_E10value_typeET2_T3_PNSZ_IS14_E10value_typeET4_jRbjT5_S1A_jjP12ihipStream_tbEUljE_EEESV_SW_SX_S14_S18_S1A_T6_T7_T9_mT8_S1C_bDpT10_ENKUlT_T0_E_clISt17integral_constantIbLb1EES1O_IbLb0EEEEDaS1K_S1L_EUlS1K_E_NS1_11comp_targetILNS1_3genE3ELNS1_11target_archE908ELNS1_3gpuE7ELNS1_3repE0EEENS1_30default_config_static_selectorELNS0_4arch9wavefront6targetE0EEEvSY_
		.amdhsa_group_segment_fixed_size 0
		.amdhsa_private_segment_fixed_size 0
		.amdhsa_kernarg_size 144
		.amdhsa_user_sgpr_count 6
		.amdhsa_user_sgpr_private_segment_buffer 1
		.amdhsa_user_sgpr_dispatch_ptr 0
		.amdhsa_user_sgpr_queue_ptr 0
		.amdhsa_user_sgpr_kernarg_segment_ptr 1
		.amdhsa_user_sgpr_dispatch_id 0
		.amdhsa_user_sgpr_flat_scratch_init 0
		.amdhsa_user_sgpr_private_segment_size 0
		.amdhsa_wavefront_size32 1
		.amdhsa_uses_dynamic_stack 0
		.amdhsa_system_sgpr_private_segment_wavefront_offset 0
		.amdhsa_system_sgpr_workgroup_id_x 1
		.amdhsa_system_sgpr_workgroup_id_y 0
		.amdhsa_system_sgpr_workgroup_id_z 0
		.amdhsa_system_sgpr_workgroup_info 0
		.amdhsa_system_vgpr_workitem_id 0
		.amdhsa_next_free_vgpr 1
		.amdhsa_next_free_sgpr 1
		.amdhsa_reserve_vcc 0
		.amdhsa_reserve_flat_scratch 0
		.amdhsa_float_round_mode_32 0
		.amdhsa_float_round_mode_16_64 0
		.amdhsa_float_denorm_mode_32 3
		.amdhsa_float_denorm_mode_16_64 3
		.amdhsa_dx10_clamp 1
		.amdhsa_ieee_mode 1
		.amdhsa_fp16_overflow 0
		.amdhsa_workgroup_processor_mode 1
		.amdhsa_memory_ordered 1
		.amdhsa_forward_progress 1
		.amdhsa_shared_vgpr_count 0
		.amdhsa_exception_fp_ieee_invalid_op 0
		.amdhsa_exception_fp_denorm_src 0
		.amdhsa_exception_fp_ieee_div_zero 0
		.amdhsa_exception_fp_ieee_overflow 0
		.amdhsa_exception_fp_ieee_underflow 0
		.amdhsa_exception_fp_ieee_inexact 0
		.amdhsa_exception_int_div_zero 0
	.end_amdhsa_kernel
	.section	.text._ZN7rocprim17ROCPRIM_400000_NS6detail17trampoline_kernelINS0_13select_configILj256ELj13ELNS0_17block_load_methodE3ELS4_3ELS4_3ELNS0_20block_scan_algorithmE0ELj4294967295EEENS1_25partition_config_selectorILNS1_17partition_subalgoE3EjNS0_10empty_typeEbEEZZNS1_14partition_implILS8_3ELb0ES6_jNS0_17counting_iteratorIjlEEPS9_SE_NS0_5tupleIJPjSE_EEENSF_IJSE_SE_EEES9_SG_JZNS1_25segmented_radix_sort_implINS0_14default_configELb1EPKdPdPKlPlN2at6native12_GLOBAL__N_18offset_tEEE10hipError_tPvRmT1_PNSt15iterator_traitsISY_E10value_typeET2_T3_PNSZ_IS14_E10value_typeET4_jRbjT5_S1A_jjP12ihipStream_tbEUljE_EEESV_SW_SX_S14_S18_S1A_T6_T7_T9_mT8_S1C_bDpT10_ENKUlT_T0_E_clISt17integral_constantIbLb1EES1O_IbLb0EEEEDaS1K_S1L_EUlS1K_E_NS1_11comp_targetILNS1_3genE3ELNS1_11target_archE908ELNS1_3gpuE7ELNS1_3repE0EEENS1_30default_config_static_selectorELNS0_4arch9wavefront6targetE0EEEvSY_,"axG",@progbits,_ZN7rocprim17ROCPRIM_400000_NS6detail17trampoline_kernelINS0_13select_configILj256ELj13ELNS0_17block_load_methodE3ELS4_3ELS4_3ELNS0_20block_scan_algorithmE0ELj4294967295EEENS1_25partition_config_selectorILNS1_17partition_subalgoE3EjNS0_10empty_typeEbEEZZNS1_14partition_implILS8_3ELb0ES6_jNS0_17counting_iteratorIjlEEPS9_SE_NS0_5tupleIJPjSE_EEENSF_IJSE_SE_EEES9_SG_JZNS1_25segmented_radix_sort_implINS0_14default_configELb1EPKdPdPKlPlN2at6native12_GLOBAL__N_18offset_tEEE10hipError_tPvRmT1_PNSt15iterator_traitsISY_E10value_typeET2_T3_PNSZ_IS14_E10value_typeET4_jRbjT5_S1A_jjP12ihipStream_tbEUljE_EEESV_SW_SX_S14_S18_S1A_T6_T7_T9_mT8_S1C_bDpT10_ENKUlT_T0_E_clISt17integral_constantIbLb1EES1O_IbLb0EEEEDaS1K_S1L_EUlS1K_E_NS1_11comp_targetILNS1_3genE3ELNS1_11target_archE908ELNS1_3gpuE7ELNS1_3repE0EEENS1_30default_config_static_selectorELNS0_4arch9wavefront6targetE0EEEvSY_,comdat
.Lfunc_end1097:
	.size	_ZN7rocprim17ROCPRIM_400000_NS6detail17trampoline_kernelINS0_13select_configILj256ELj13ELNS0_17block_load_methodE3ELS4_3ELS4_3ELNS0_20block_scan_algorithmE0ELj4294967295EEENS1_25partition_config_selectorILNS1_17partition_subalgoE3EjNS0_10empty_typeEbEEZZNS1_14partition_implILS8_3ELb0ES6_jNS0_17counting_iteratorIjlEEPS9_SE_NS0_5tupleIJPjSE_EEENSF_IJSE_SE_EEES9_SG_JZNS1_25segmented_radix_sort_implINS0_14default_configELb1EPKdPdPKlPlN2at6native12_GLOBAL__N_18offset_tEEE10hipError_tPvRmT1_PNSt15iterator_traitsISY_E10value_typeET2_T3_PNSZ_IS14_E10value_typeET4_jRbjT5_S1A_jjP12ihipStream_tbEUljE_EEESV_SW_SX_S14_S18_S1A_T6_T7_T9_mT8_S1C_bDpT10_ENKUlT_T0_E_clISt17integral_constantIbLb1EES1O_IbLb0EEEEDaS1K_S1L_EUlS1K_E_NS1_11comp_targetILNS1_3genE3ELNS1_11target_archE908ELNS1_3gpuE7ELNS1_3repE0EEENS1_30default_config_static_selectorELNS0_4arch9wavefront6targetE0EEEvSY_, .Lfunc_end1097-_ZN7rocprim17ROCPRIM_400000_NS6detail17trampoline_kernelINS0_13select_configILj256ELj13ELNS0_17block_load_methodE3ELS4_3ELS4_3ELNS0_20block_scan_algorithmE0ELj4294967295EEENS1_25partition_config_selectorILNS1_17partition_subalgoE3EjNS0_10empty_typeEbEEZZNS1_14partition_implILS8_3ELb0ES6_jNS0_17counting_iteratorIjlEEPS9_SE_NS0_5tupleIJPjSE_EEENSF_IJSE_SE_EEES9_SG_JZNS1_25segmented_radix_sort_implINS0_14default_configELb1EPKdPdPKlPlN2at6native12_GLOBAL__N_18offset_tEEE10hipError_tPvRmT1_PNSt15iterator_traitsISY_E10value_typeET2_T3_PNSZ_IS14_E10value_typeET4_jRbjT5_S1A_jjP12ihipStream_tbEUljE_EEESV_SW_SX_S14_S18_S1A_T6_T7_T9_mT8_S1C_bDpT10_ENKUlT_T0_E_clISt17integral_constantIbLb1EES1O_IbLb0EEEEDaS1K_S1L_EUlS1K_E_NS1_11comp_targetILNS1_3genE3ELNS1_11target_archE908ELNS1_3gpuE7ELNS1_3repE0EEENS1_30default_config_static_selectorELNS0_4arch9wavefront6targetE0EEEvSY_
                                        ; -- End function
	.set _ZN7rocprim17ROCPRIM_400000_NS6detail17trampoline_kernelINS0_13select_configILj256ELj13ELNS0_17block_load_methodE3ELS4_3ELS4_3ELNS0_20block_scan_algorithmE0ELj4294967295EEENS1_25partition_config_selectorILNS1_17partition_subalgoE3EjNS0_10empty_typeEbEEZZNS1_14partition_implILS8_3ELb0ES6_jNS0_17counting_iteratorIjlEEPS9_SE_NS0_5tupleIJPjSE_EEENSF_IJSE_SE_EEES9_SG_JZNS1_25segmented_radix_sort_implINS0_14default_configELb1EPKdPdPKlPlN2at6native12_GLOBAL__N_18offset_tEEE10hipError_tPvRmT1_PNSt15iterator_traitsISY_E10value_typeET2_T3_PNSZ_IS14_E10value_typeET4_jRbjT5_S1A_jjP12ihipStream_tbEUljE_EEESV_SW_SX_S14_S18_S1A_T6_T7_T9_mT8_S1C_bDpT10_ENKUlT_T0_E_clISt17integral_constantIbLb1EES1O_IbLb0EEEEDaS1K_S1L_EUlS1K_E_NS1_11comp_targetILNS1_3genE3ELNS1_11target_archE908ELNS1_3gpuE7ELNS1_3repE0EEENS1_30default_config_static_selectorELNS0_4arch9wavefront6targetE0EEEvSY_.num_vgpr, 0
	.set _ZN7rocprim17ROCPRIM_400000_NS6detail17trampoline_kernelINS0_13select_configILj256ELj13ELNS0_17block_load_methodE3ELS4_3ELS4_3ELNS0_20block_scan_algorithmE0ELj4294967295EEENS1_25partition_config_selectorILNS1_17partition_subalgoE3EjNS0_10empty_typeEbEEZZNS1_14partition_implILS8_3ELb0ES6_jNS0_17counting_iteratorIjlEEPS9_SE_NS0_5tupleIJPjSE_EEENSF_IJSE_SE_EEES9_SG_JZNS1_25segmented_radix_sort_implINS0_14default_configELb1EPKdPdPKlPlN2at6native12_GLOBAL__N_18offset_tEEE10hipError_tPvRmT1_PNSt15iterator_traitsISY_E10value_typeET2_T3_PNSZ_IS14_E10value_typeET4_jRbjT5_S1A_jjP12ihipStream_tbEUljE_EEESV_SW_SX_S14_S18_S1A_T6_T7_T9_mT8_S1C_bDpT10_ENKUlT_T0_E_clISt17integral_constantIbLb1EES1O_IbLb0EEEEDaS1K_S1L_EUlS1K_E_NS1_11comp_targetILNS1_3genE3ELNS1_11target_archE908ELNS1_3gpuE7ELNS1_3repE0EEENS1_30default_config_static_selectorELNS0_4arch9wavefront6targetE0EEEvSY_.num_agpr, 0
	.set _ZN7rocprim17ROCPRIM_400000_NS6detail17trampoline_kernelINS0_13select_configILj256ELj13ELNS0_17block_load_methodE3ELS4_3ELS4_3ELNS0_20block_scan_algorithmE0ELj4294967295EEENS1_25partition_config_selectorILNS1_17partition_subalgoE3EjNS0_10empty_typeEbEEZZNS1_14partition_implILS8_3ELb0ES6_jNS0_17counting_iteratorIjlEEPS9_SE_NS0_5tupleIJPjSE_EEENSF_IJSE_SE_EEES9_SG_JZNS1_25segmented_radix_sort_implINS0_14default_configELb1EPKdPdPKlPlN2at6native12_GLOBAL__N_18offset_tEEE10hipError_tPvRmT1_PNSt15iterator_traitsISY_E10value_typeET2_T3_PNSZ_IS14_E10value_typeET4_jRbjT5_S1A_jjP12ihipStream_tbEUljE_EEESV_SW_SX_S14_S18_S1A_T6_T7_T9_mT8_S1C_bDpT10_ENKUlT_T0_E_clISt17integral_constantIbLb1EES1O_IbLb0EEEEDaS1K_S1L_EUlS1K_E_NS1_11comp_targetILNS1_3genE3ELNS1_11target_archE908ELNS1_3gpuE7ELNS1_3repE0EEENS1_30default_config_static_selectorELNS0_4arch9wavefront6targetE0EEEvSY_.numbered_sgpr, 0
	.set _ZN7rocprim17ROCPRIM_400000_NS6detail17trampoline_kernelINS0_13select_configILj256ELj13ELNS0_17block_load_methodE3ELS4_3ELS4_3ELNS0_20block_scan_algorithmE0ELj4294967295EEENS1_25partition_config_selectorILNS1_17partition_subalgoE3EjNS0_10empty_typeEbEEZZNS1_14partition_implILS8_3ELb0ES6_jNS0_17counting_iteratorIjlEEPS9_SE_NS0_5tupleIJPjSE_EEENSF_IJSE_SE_EEES9_SG_JZNS1_25segmented_radix_sort_implINS0_14default_configELb1EPKdPdPKlPlN2at6native12_GLOBAL__N_18offset_tEEE10hipError_tPvRmT1_PNSt15iterator_traitsISY_E10value_typeET2_T3_PNSZ_IS14_E10value_typeET4_jRbjT5_S1A_jjP12ihipStream_tbEUljE_EEESV_SW_SX_S14_S18_S1A_T6_T7_T9_mT8_S1C_bDpT10_ENKUlT_T0_E_clISt17integral_constantIbLb1EES1O_IbLb0EEEEDaS1K_S1L_EUlS1K_E_NS1_11comp_targetILNS1_3genE3ELNS1_11target_archE908ELNS1_3gpuE7ELNS1_3repE0EEENS1_30default_config_static_selectorELNS0_4arch9wavefront6targetE0EEEvSY_.num_named_barrier, 0
	.set _ZN7rocprim17ROCPRIM_400000_NS6detail17trampoline_kernelINS0_13select_configILj256ELj13ELNS0_17block_load_methodE3ELS4_3ELS4_3ELNS0_20block_scan_algorithmE0ELj4294967295EEENS1_25partition_config_selectorILNS1_17partition_subalgoE3EjNS0_10empty_typeEbEEZZNS1_14partition_implILS8_3ELb0ES6_jNS0_17counting_iteratorIjlEEPS9_SE_NS0_5tupleIJPjSE_EEENSF_IJSE_SE_EEES9_SG_JZNS1_25segmented_radix_sort_implINS0_14default_configELb1EPKdPdPKlPlN2at6native12_GLOBAL__N_18offset_tEEE10hipError_tPvRmT1_PNSt15iterator_traitsISY_E10value_typeET2_T3_PNSZ_IS14_E10value_typeET4_jRbjT5_S1A_jjP12ihipStream_tbEUljE_EEESV_SW_SX_S14_S18_S1A_T6_T7_T9_mT8_S1C_bDpT10_ENKUlT_T0_E_clISt17integral_constantIbLb1EES1O_IbLb0EEEEDaS1K_S1L_EUlS1K_E_NS1_11comp_targetILNS1_3genE3ELNS1_11target_archE908ELNS1_3gpuE7ELNS1_3repE0EEENS1_30default_config_static_selectorELNS0_4arch9wavefront6targetE0EEEvSY_.private_seg_size, 0
	.set _ZN7rocprim17ROCPRIM_400000_NS6detail17trampoline_kernelINS0_13select_configILj256ELj13ELNS0_17block_load_methodE3ELS4_3ELS4_3ELNS0_20block_scan_algorithmE0ELj4294967295EEENS1_25partition_config_selectorILNS1_17partition_subalgoE3EjNS0_10empty_typeEbEEZZNS1_14partition_implILS8_3ELb0ES6_jNS0_17counting_iteratorIjlEEPS9_SE_NS0_5tupleIJPjSE_EEENSF_IJSE_SE_EEES9_SG_JZNS1_25segmented_radix_sort_implINS0_14default_configELb1EPKdPdPKlPlN2at6native12_GLOBAL__N_18offset_tEEE10hipError_tPvRmT1_PNSt15iterator_traitsISY_E10value_typeET2_T3_PNSZ_IS14_E10value_typeET4_jRbjT5_S1A_jjP12ihipStream_tbEUljE_EEESV_SW_SX_S14_S18_S1A_T6_T7_T9_mT8_S1C_bDpT10_ENKUlT_T0_E_clISt17integral_constantIbLb1EES1O_IbLb0EEEEDaS1K_S1L_EUlS1K_E_NS1_11comp_targetILNS1_3genE3ELNS1_11target_archE908ELNS1_3gpuE7ELNS1_3repE0EEENS1_30default_config_static_selectorELNS0_4arch9wavefront6targetE0EEEvSY_.uses_vcc, 0
	.set _ZN7rocprim17ROCPRIM_400000_NS6detail17trampoline_kernelINS0_13select_configILj256ELj13ELNS0_17block_load_methodE3ELS4_3ELS4_3ELNS0_20block_scan_algorithmE0ELj4294967295EEENS1_25partition_config_selectorILNS1_17partition_subalgoE3EjNS0_10empty_typeEbEEZZNS1_14partition_implILS8_3ELb0ES6_jNS0_17counting_iteratorIjlEEPS9_SE_NS0_5tupleIJPjSE_EEENSF_IJSE_SE_EEES9_SG_JZNS1_25segmented_radix_sort_implINS0_14default_configELb1EPKdPdPKlPlN2at6native12_GLOBAL__N_18offset_tEEE10hipError_tPvRmT1_PNSt15iterator_traitsISY_E10value_typeET2_T3_PNSZ_IS14_E10value_typeET4_jRbjT5_S1A_jjP12ihipStream_tbEUljE_EEESV_SW_SX_S14_S18_S1A_T6_T7_T9_mT8_S1C_bDpT10_ENKUlT_T0_E_clISt17integral_constantIbLb1EES1O_IbLb0EEEEDaS1K_S1L_EUlS1K_E_NS1_11comp_targetILNS1_3genE3ELNS1_11target_archE908ELNS1_3gpuE7ELNS1_3repE0EEENS1_30default_config_static_selectorELNS0_4arch9wavefront6targetE0EEEvSY_.uses_flat_scratch, 0
	.set _ZN7rocprim17ROCPRIM_400000_NS6detail17trampoline_kernelINS0_13select_configILj256ELj13ELNS0_17block_load_methodE3ELS4_3ELS4_3ELNS0_20block_scan_algorithmE0ELj4294967295EEENS1_25partition_config_selectorILNS1_17partition_subalgoE3EjNS0_10empty_typeEbEEZZNS1_14partition_implILS8_3ELb0ES6_jNS0_17counting_iteratorIjlEEPS9_SE_NS0_5tupleIJPjSE_EEENSF_IJSE_SE_EEES9_SG_JZNS1_25segmented_radix_sort_implINS0_14default_configELb1EPKdPdPKlPlN2at6native12_GLOBAL__N_18offset_tEEE10hipError_tPvRmT1_PNSt15iterator_traitsISY_E10value_typeET2_T3_PNSZ_IS14_E10value_typeET4_jRbjT5_S1A_jjP12ihipStream_tbEUljE_EEESV_SW_SX_S14_S18_S1A_T6_T7_T9_mT8_S1C_bDpT10_ENKUlT_T0_E_clISt17integral_constantIbLb1EES1O_IbLb0EEEEDaS1K_S1L_EUlS1K_E_NS1_11comp_targetILNS1_3genE3ELNS1_11target_archE908ELNS1_3gpuE7ELNS1_3repE0EEENS1_30default_config_static_selectorELNS0_4arch9wavefront6targetE0EEEvSY_.has_dyn_sized_stack, 0
	.set _ZN7rocprim17ROCPRIM_400000_NS6detail17trampoline_kernelINS0_13select_configILj256ELj13ELNS0_17block_load_methodE3ELS4_3ELS4_3ELNS0_20block_scan_algorithmE0ELj4294967295EEENS1_25partition_config_selectorILNS1_17partition_subalgoE3EjNS0_10empty_typeEbEEZZNS1_14partition_implILS8_3ELb0ES6_jNS0_17counting_iteratorIjlEEPS9_SE_NS0_5tupleIJPjSE_EEENSF_IJSE_SE_EEES9_SG_JZNS1_25segmented_radix_sort_implINS0_14default_configELb1EPKdPdPKlPlN2at6native12_GLOBAL__N_18offset_tEEE10hipError_tPvRmT1_PNSt15iterator_traitsISY_E10value_typeET2_T3_PNSZ_IS14_E10value_typeET4_jRbjT5_S1A_jjP12ihipStream_tbEUljE_EEESV_SW_SX_S14_S18_S1A_T6_T7_T9_mT8_S1C_bDpT10_ENKUlT_T0_E_clISt17integral_constantIbLb1EES1O_IbLb0EEEEDaS1K_S1L_EUlS1K_E_NS1_11comp_targetILNS1_3genE3ELNS1_11target_archE908ELNS1_3gpuE7ELNS1_3repE0EEENS1_30default_config_static_selectorELNS0_4arch9wavefront6targetE0EEEvSY_.has_recursion, 0
	.set _ZN7rocprim17ROCPRIM_400000_NS6detail17trampoline_kernelINS0_13select_configILj256ELj13ELNS0_17block_load_methodE3ELS4_3ELS4_3ELNS0_20block_scan_algorithmE0ELj4294967295EEENS1_25partition_config_selectorILNS1_17partition_subalgoE3EjNS0_10empty_typeEbEEZZNS1_14partition_implILS8_3ELb0ES6_jNS0_17counting_iteratorIjlEEPS9_SE_NS0_5tupleIJPjSE_EEENSF_IJSE_SE_EEES9_SG_JZNS1_25segmented_radix_sort_implINS0_14default_configELb1EPKdPdPKlPlN2at6native12_GLOBAL__N_18offset_tEEE10hipError_tPvRmT1_PNSt15iterator_traitsISY_E10value_typeET2_T3_PNSZ_IS14_E10value_typeET4_jRbjT5_S1A_jjP12ihipStream_tbEUljE_EEESV_SW_SX_S14_S18_S1A_T6_T7_T9_mT8_S1C_bDpT10_ENKUlT_T0_E_clISt17integral_constantIbLb1EES1O_IbLb0EEEEDaS1K_S1L_EUlS1K_E_NS1_11comp_targetILNS1_3genE3ELNS1_11target_archE908ELNS1_3gpuE7ELNS1_3repE0EEENS1_30default_config_static_selectorELNS0_4arch9wavefront6targetE0EEEvSY_.has_indirect_call, 0
	.section	.AMDGPU.csdata,"",@progbits
; Kernel info:
; codeLenInByte = 0
; TotalNumSgprs: 0
; NumVgprs: 0
; ScratchSize: 0
; MemoryBound: 0
; FloatMode: 240
; IeeeMode: 1
; LDSByteSize: 0 bytes/workgroup (compile time only)
; SGPRBlocks: 0
; VGPRBlocks: 0
; NumSGPRsForWavesPerEU: 1
; NumVGPRsForWavesPerEU: 1
; Occupancy: 16
; WaveLimiterHint : 0
; COMPUTE_PGM_RSRC2:SCRATCH_EN: 0
; COMPUTE_PGM_RSRC2:USER_SGPR: 6
; COMPUTE_PGM_RSRC2:TRAP_HANDLER: 0
; COMPUTE_PGM_RSRC2:TGID_X_EN: 1
; COMPUTE_PGM_RSRC2:TGID_Y_EN: 0
; COMPUTE_PGM_RSRC2:TGID_Z_EN: 0
; COMPUTE_PGM_RSRC2:TIDIG_COMP_CNT: 0
	.section	.text._ZN7rocprim17ROCPRIM_400000_NS6detail17trampoline_kernelINS0_13select_configILj256ELj13ELNS0_17block_load_methodE3ELS4_3ELS4_3ELNS0_20block_scan_algorithmE0ELj4294967295EEENS1_25partition_config_selectorILNS1_17partition_subalgoE3EjNS0_10empty_typeEbEEZZNS1_14partition_implILS8_3ELb0ES6_jNS0_17counting_iteratorIjlEEPS9_SE_NS0_5tupleIJPjSE_EEENSF_IJSE_SE_EEES9_SG_JZNS1_25segmented_radix_sort_implINS0_14default_configELb1EPKdPdPKlPlN2at6native12_GLOBAL__N_18offset_tEEE10hipError_tPvRmT1_PNSt15iterator_traitsISY_E10value_typeET2_T3_PNSZ_IS14_E10value_typeET4_jRbjT5_S1A_jjP12ihipStream_tbEUljE_EEESV_SW_SX_S14_S18_S1A_T6_T7_T9_mT8_S1C_bDpT10_ENKUlT_T0_E_clISt17integral_constantIbLb1EES1O_IbLb0EEEEDaS1K_S1L_EUlS1K_E_NS1_11comp_targetILNS1_3genE2ELNS1_11target_archE906ELNS1_3gpuE6ELNS1_3repE0EEENS1_30default_config_static_selectorELNS0_4arch9wavefront6targetE0EEEvSY_,"axG",@progbits,_ZN7rocprim17ROCPRIM_400000_NS6detail17trampoline_kernelINS0_13select_configILj256ELj13ELNS0_17block_load_methodE3ELS4_3ELS4_3ELNS0_20block_scan_algorithmE0ELj4294967295EEENS1_25partition_config_selectorILNS1_17partition_subalgoE3EjNS0_10empty_typeEbEEZZNS1_14partition_implILS8_3ELb0ES6_jNS0_17counting_iteratorIjlEEPS9_SE_NS0_5tupleIJPjSE_EEENSF_IJSE_SE_EEES9_SG_JZNS1_25segmented_radix_sort_implINS0_14default_configELb1EPKdPdPKlPlN2at6native12_GLOBAL__N_18offset_tEEE10hipError_tPvRmT1_PNSt15iterator_traitsISY_E10value_typeET2_T3_PNSZ_IS14_E10value_typeET4_jRbjT5_S1A_jjP12ihipStream_tbEUljE_EEESV_SW_SX_S14_S18_S1A_T6_T7_T9_mT8_S1C_bDpT10_ENKUlT_T0_E_clISt17integral_constantIbLb1EES1O_IbLb0EEEEDaS1K_S1L_EUlS1K_E_NS1_11comp_targetILNS1_3genE2ELNS1_11target_archE906ELNS1_3gpuE6ELNS1_3repE0EEENS1_30default_config_static_selectorELNS0_4arch9wavefront6targetE0EEEvSY_,comdat
	.globl	_ZN7rocprim17ROCPRIM_400000_NS6detail17trampoline_kernelINS0_13select_configILj256ELj13ELNS0_17block_load_methodE3ELS4_3ELS4_3ELNS0_20block_scan_algorithmE0ELj4294967295EEENS1_25partition_config_selectorILNS1_17partition_subalgoE3EjNS0_10empty_typeEbEEZZNS1_14partition_implILS8_3ELb0ES6_jNS0_17counting_iteratorIjlEEPS9_SE_NS0_5tupleIJPjSE_EEENSF_IJSE_SE_EEES9_SG_JZNS1_25segmented_radix_sort_implINS0_14default_configELb1EPKdPdPKlPlN2at6native12_GLOBAL__N_18offset_tEEE10hipError_tPvRmT1_PNSt15iterator_traitsISY_E10value_typeET2_T3_PNSZ_IS14_E10value_typeET4_jRbjT5_S1A_jjP12ihipStream_tbEUljE_EEESV_SW_SX_S14_S18_S1A_T6_T7_T9_mT8_S1C_bDpT10_ENKUlT_T0_E_clISt17integral_constantIbLb1EES1O_IbLb0EEEEDaS1K_S1L_EUlS1K_E_NS1_11comp_targetILNS1_3genE2ELNS1_11target_archE906ELNS1_3gpuE6ELNS1_3repE0EEENS1_30default_config_static_selectorELNS0_4arch9wavefront6targetE0EEEvSY_ ; -- Begin function _ZN7rocprim17ROCPRIM_400000_NS6detail17trampoline_kernelINS0_13select_configILj256ELj13ELNS0_17block_load_methodE3ELS4_3ELS4_3ELNS0_20block_scan_algorithmE0ELj4294967295EEENS1_25partition_config_selectorILNS1_17partition_subalgoE3EjNS0_10empty_typeEbEEZZNS1_14partition_implILS8_3ELb0ES6_jNS0_17counting_iteratorIjlEEPS9_SE_NS0_5tupleIJPjSE_EEENSF_IJSE_SE_EEES9_SG_JZNS1_25segmented_radix_sort_implINS0_14default_configELb1EPKdPdPKlPlN2at6native12_GLOBAL__N_18offset_tEEE10hipError_tPvRmT1_PNSt15iterator_traitsISY_E10value_typeET2_T3_PNSZ_IS14_E10value_typeET4_jRbjT5_S1A_jjP12ihipStream_tbEUljE_EEESV_SW_SX_S14_S18_S1A_T6_T7_T9_mT8_S1C_bDpT10_ENKUlT_T0_E_clISt17integral_constantIbLb1EES1O_IbLb0EEEEDaS1K_S1L_EUlS1K_E_NS1_11comp_targetILNS1_3genE2ELNS1_11target_archE906ELNS1_3gpuE6ELNS1_3repE0EEENS1_30default_config_static_selectorELNS0_4arch9wavefront6targetE0EEEvSY_
	.p2align	8
	.type	_ZN7rocprim17ROCPRIM_400000_NS6detail17trampoline_kernelINS0_13select_configILj256ELj13ELNS0_17block_load_methodE3ELS4_3ELS4_3ELNS0_20block_scan_algorithmE0ELj4294967295EEENS1_25partition_config_selectorILNS1_17partition_subalgoE3EjNS0_10empty_typeEbEEZZNS1_14partition_implILS8_3ELb0ES6_jNS0_17counting_iteratorIjlEEPS9_SE_NS0_5tupleIJPjSE_EEENSF_IJSE_SE_EEES9_SG_JZNS1_25segmented_radix_sort_implINS0_14default_configELb1EPKdPdPKlPlN2at6native12_GLOBAL__N_18offset_tEEE10hipError_tPvRmT1_PNSt15iterator_traitsISY_E10value_typeET2_T3_PNSZ_IS14_E10value_typeET4_jRbjT5_S1A_jjP12ihipStream_tbEUljE_EEESV_SW_SX_S14_S18_S1A_T6_T7_T9_mT8_S1C_bDpT10_ENKUlT_T0_E_clISt17integral_constantIbLb1EES1O_IbLb0EEEEDaS1K_S1L_EUlS1K_E_NS1_11comp_targetILNS1_3genE2ELNS1_11target_archE906ELNS1_3gpuE6ELNS1_3repE0EEENS1_30default_config_static_selectorELNS0_4arch9wavefront6targetE0EEEvSY_,@function
_ZN7rocprim17ROCPRIM_400000_NS6detail17trampoline_kernelINS0_13select_configILj256ELj13ELNS0_17block_load_methodE3ELS4_3ELS4_3ELNS0_20block_scan_algorithmE0ELj4294967295EEENS1_25partition_config_selectorILNS1_17partition_subalgoE3EjNS0_10empty_typeEbEEZZNS1_14partition_implILS8_3ELb0ES6_jNS0_17counting_iteratorIjlEEPS9_SE_NS0_5tupleIJPjSE_EEENSF_IJSE_SE_EEES9_SG_JZNS1_25segmented_radix_sort_implINS0_14default_configELb1EPKdPdPKlPlN2at6native12_GLOBAL__N_18offset_tEEE10hipError_tPvRmT1_PNSt15iterator_traitsISY_E10value_typeET2_T3_PNSZ_IS14_E10value_typeET4_jRbjT5_S1A_jjP12ihipStream_tbEUljE_EEESV_SW_SX_S14_S18_S1A_T6_T7_T9_mT8_S1C_bDpT10_ENKUlT_T0_E_clISt17integral_constantIbLb1EES1O_IbLb0EEEEDaS1K_S1L_EUlS1K_E_NS1_11comp_targetILNS1_3genE2ELNS1_11target_archE906ELNS1_3gpuE6ELNS1_3repE0EEENS1_30default_config_static_selectorELNS0_4arch9wavefront6targetE0EEEvSY_: ; @_ZN7rocprim17ROCPRIM_400000_NS6detail17trampoline_kernelINS0_13select_configILj256ELj13ELNS0_17block_load_methodE3ELS4_3ELS4_3ELNS0_20block_scan_algorithmE0ELj4294967295EEENS1_25partition_config_selectorILNS1_17partition_subalgoE3EjNS0_10empty_typeEbEEZZNS1_14partition_implILS8_3ELb0ES6_jNS0_17counting_iteratorIjlEEPS9_SE_NS0_5tupleIJPjSE_EEENSF_IJSE_SE_EEES9_SG_JZNS1_25segmented_radix_sort_implINS0_14default_configELb1EPKdPdPKlPlN2at6native12_GLOBAL__N_18offset_tEEE10hipError_tPvRmT1_PNSt15iterator_traitsISY_E10value_typeET2_T3_PNSZ_IS14_E10value_typeET4_jRbjT5_S1A_jjP12ihipStream_tbEUljE_EEESV_SW_SX_S14_S18_S1A_T6_T7_T9_mT8_S1C_bDpT10_ENKUlT_T0_E_clISt17integral_constantIbLb1EES1O_IbLb0EEEEDaS1K_S1L_EUlS1K_E_NS1_11comp_targetILNS1_3genE2ELNS1_11target_archE906ELNS1_3gpuE6ELNS1_3repE0EEENS1_30default_config_static_selectorELNS0_4arch9wavefront6targetE0EEEvSY_
; %bb.0:
	.section	.rodata,"a",@progbits
	.p2align	6, 0x0
	.amdhsa_kernel _ZN7rocprim17ROCPRIM_400000_NS6detail17trampoline_kernelINS0_13select_configILj256ELj13ELNS0_17block_load_methodE3ELS4_3ELS4_3ELNS0_20block_scan_algorithmE0ELj4294967295EEENS1_25partition_config_selectorILNS1_17partition_subalgoE3EjNS0_10empty_typeEbEEZZNS1_14partition_implILS8_3ELb0ES6_jNS0_17counting_iteratorIjlEEPS9_SE_NS0_5tupleIJPjSE_EEENSF_IJSE_SE_EEES9_SG_JZNS1_25segmented_radix_sort_implINS0_14default_configELb1EPKdPdPKlPlN2at6native12_GLOBAL__N_18offset_tEEE10hipError_tPvRmT1_PNSt15iterator_traitsISY_E10value_typeET2_T3_PNSZ_IS14_E10value_typeET4_jRbjT5_S1A_jjP12ihipStream_tbEUljE_EEESV_SW_SX_S14_S18_S1A_T6_T7_T9_mT8_S1C_bDpT10_ENKUlT_T0_E_clISt17integral_constantIbLb1EES1O_IbLb0EEEEDaS1K_S1L_EUlS1K_E_NS1_11comp_targetILNS1_3genE2ELNS1_11target_archE906ELNS1_3gpuE6ELNS1_3repE0EEENS1_30default_config_static_selectorELNS0_4arch9wavefront6targetE0EEEvSY_
		.amdhsa_group_segment_fixed_size 0
		.amdhsa_private_segment_fixed_size 0
		.amdhsa_kernarg_size 144
		.amdhsa_user_sgpr_count 6
		.amdhsa_user_sgpr_private_segment_buffer 1
		.amdhsa_user_sgpr_dispatch_ptr 0
		.amdhsa_user_sgpr_queue_ptr 0
		.amdhsa_user_sgpr_kernarg_segment_ptr 1
		.amdhsa_user_sgpr_dispatch_id 0
		.amdhsa_user_sgpr_flat_scratch_init 0
		.amdhsa_user_sgpr_private_segment_size 0
		.amdhsa_wavefront_size32 1
		.amdhsa_uses_dynamic_stack 0
		.amdhsa_system_sgpr_private_segment_wavefront_offset 0
		.amdhsa_system_sgpr_workgroup_id_x 1
		.amdhsa_system_sgpr_workgroup_id_y 0
		.amdhsa_system_sgpr_workgroup_id_z 0
		.amdhsa_system_sgpr_workgroup_info 0
		.amdhsa_system_vgpr_workitem_id 0
		.amdhsa_next_free_vgpr 1
		.amdhsa_next_free_sgpr 1
		.amdhsa_reserve_vcc 0
		.amdhsa_reserve_flat_scratch 0
		.amdhsa_float_round_mode_32 0
		.amdhsa_float_round_mode_16_64 0
		.amdhsa_float_denorm_mode_32 3
		.amdhsa_float_denorm_mode_16_64 3
		.amdhsa_dx10_clamp 1
		.amdhsa_ieee_mode 1
		.amdhsa_fp16_overflow 0
		.amdhsa_workgroup_processor_mode 1
		.amdhsa_memory_ordered 1
		.amdhsa_forward_progress 1
		.amdhsa_shared_vgpr_count 0
		.amdhsa_exception_fp_ieee_invalid_op 0
		.amdhsa_exception_fp_denorm_src 0
		.amdhsa_exception_fp_ieee_div_zero 0
		.amdhsa_exception_fp_ieee_overflow 0
		.amdhsa_exception_fp_ieee_underflow 0
		.amdhsa_exception_fp_ieee_inexact 0
		.amdhsa_exception_int_div_zero 0
	.end_amdhsa_kernel
	.section	.text._ZN7rocprim17ROCPRIM_400000_NS6detail17trampoline_kernelINS0_13select_configILj256ELj13ELNS0_17block_load_methodE3ELS4_3ELS4_3ELNS0_20block_scan_algorithmE0ELj4294967295EEENS1_25partition_config_selectorILNS1_17partition_subalgoE3EjNS0_10empty_typeEbEEZZNS1_14partition_implILS8_3ELb0ES6_jNS0_17counting_iteratorIjlEEPS9_SE_NS0_5tupleIJPjSE_EEENSF_IJSE_SE_EEES9_SG_JZNS1_25segmented_radix_sort_implINS0_14default_configELb1EPKdPdPKlPlN2at6native12_GLOBAL__N_18offset_tEEE10hipError_tPvRmT1_PNSt15iterator_traitsISY_E10value_typeET2_T3_PNSZ_IS14_E10value_typeET4_jRbjT5_S1A_jjP12ihipStream_tbEUljE_EEESV_SW_SX_S14_S18_S1A_T6_T7_T9_mT8_S1C_bDpT10_ENKUlT_T0_E_clISt17integral_constantIbLb1EES1O_IbLb0EEEEDaS1K_S1L_EUlS1K_E_NS1_11comp_targetILNS1_3genE2ELNS1_11target_archE906ELNS1_3gpuE6ELNS1_3repE0EEENS1_30default_config_static_selectorELNS0_4arch9wavefront6targetE0EEEvSY_,"axG",@progbits,_ZN7rocprim17ROCPRIM_400000_NS6detail17trampoline_kernelINS0_13select_configILj256ELj13ELNS0_17block_load_methodE3ELS4_3ELS4_3ELNS0_20block_scan_algorithmE0ELj4294967295EEENS1_25partition_config_selectorILNS1_17partition_subalgoE3EjNS0_10empty_typeEbEEZZNS1_14partition_implILS8_3ELb0ES6_jNS0_17counting_iteratorIjlEEPS9_SE_NS0_5tupleIJPjSE_EEENSF_IJSE_SE_EEES9_SG_JZNS1_25segmented_radix_sort_implINS0_14default_configELb1EPKdPdPKlPlN2at6native12_GLOBAL__N_18offset_tEEE10hipError_tPvRmT1_PNSt15iterator_traitsISY_E10value_typeET2_T3_PNSZ_IS14_E10value_typeET4_jRbjT5_S1A_jjP12ihipStream_tbEUljE_EEESV_SW_SX_S14_S18_S1A_T6_T7_T9_mT8_S1C_bDpT10_ENKUlT_T0_E_clISt17integral_constantIbLb1EES1O_IbLb0EEEEDaS1K_S1L_EUlS1K_E_NS1_11comp_targetILNS1_3genE2ELNS1_11target_archE906ELNS1_3gpuE6ELNS1_3repE0EEENS1_30default_config_static_selectorELNS0_4arch9wavefront6targetE0EEEvSY_,comdat
.Lfunc_end1098:
	.size	_ZN7rocprim17ROCPRIM_400000_NS6detail17trampoline_kernelINS0_13select_configILj256ELj13ELNS0_17block_load_methodE3ELS4_3ELS4_3ELNS0_20block_scan_algorithmE0ELj4294967295EEENS1_25partition_config_selectorILNS1_17partition_subalgoE3EjNS0_10empty_typeEbEEZZNS1_14partition_implILS8_3ELb0ES6_jNS0_17counting_iteratorIjlEEPS9_SE_NS0_5tupleIJPjSE_EEENSF_IJSE_SE_EEES9_SG_JZNS1_25segmented_radix_sort_implINS0_14default_configELb1EPKdPdPKlPlN2at6native12_GLOBAL__N_18offset_tEEE10hipError_tPvRmT1_PNSt15iterator_traitsISY_E10value_typeET2_T3_PNSZ_IS14_E10value_typeET4_jRbjT5_S1A_jjP12ihipStream_tbEUljE_EEESV_SW_SX_S14_S18_S1A_T6_T7_T9_mT8_S1C_bDpT10_ENKUlT_T0_E_clISt17integral_constantIbLb1EES1O_IbLb0EEEEDaS1K_S1L_EUlS1K_E_NS1_11comp_targetILNS1_3genE2ELNS1_11target_archE906ELNS1_3gpuE6ELNS1_3repE0EEENS1_30default_config_static_selectorELNS0_4arch9wavefront6targetE0EEEvSY_, .Lfunc_end1098-_ZN7rocprim17ROCPRIM_400000_NS6detail17trampoline_kernelINS0_13select_configILj256ELj13ELNS0_17block_load_methodE3ELS4_3ELS4_3ELNS0_20block_scan_algorithmE0ELj4294967295EEENS1_25partition_config_selectorILNS1_17partition_subalgoE3EjNS0_10empty_typeEbEEZZNS1_14partition_implILS8_3ELb0ES6_jNS0_17counting_iteratorIjlEEPS9_SE_NS0_5tupleIJPjSE_EEENSF_IJSE_SE_EEES9_SG_JZNS1_25segmented_radix_sort_implINS0_14default_configELb1EPKdPdPKlPlN2at6native12_GLOBAL__N_18offset_tEEE10hipError_tPvRmT1_PNSt15iterator_traitsISY_E10value_typeET2_T3_PNSZ_IS14_E10value_typeET4_jRbjT5_S1A_jjP12ihipStream_tbEUljE_EEESV_SW_SX_S14_S18_S1A_T6_T7_T9_mT8_S1C_bDpT10_ENKUlT_T0_E_clISt17integral_constantIbLb1EES1O_IbLb0EEEEDaS1K_S1L_EUlS1K_E_NS1_11comp_targetILNS1_3genE2ELNS1_11target_archE906ELNS1_3gpuE6ELNS1_3repE0EEENS1_30default_config_static_selectorELNS0_4arch9wavefront6targetE0EEEvSY_
                                        ; -- End function
	.set _ZN7rocprim17ROCPRIM_400000_NS6detail17trampoline_kernelINS0_13select_configILj256ELj13ELNS0_17block_load_methodE3ELS4_3ELS4_3ELNS0_20block_scan_algorithmE0ELj4294967295EEENS1_25partition_config_selectorILNS1_17partition_subalgoE3EjNS0_10empty_typeEbEEZZNS1_14partition_implILS8_3ELb0ES6_jNS0_17counting_iteratorIjlEEPS9_SE_NS0_5tupleIJPjSE_EEENSF_IJSE_SE_EEES9_SG_JZNS1_25segmented_radix_sort_implINS0_14default_configELb1EPKdPdPKlPlN2at6native12_GLOBAL__N_18offset_tEEE10hipError_tPvRmT1_PNSt15iterator_traitsISY_E10value_typeET2_T3_PNSZ_IS14_E10value_typeET4_jRbjT5_S1A_jjP12ihipStream_tbEUljE_EEESV_SW_SX_S14_S18_S1A_T6_T7_T9_mT8_S1C_bDpT10_ENKUlT_T0_E_clISt17integral_constantIbLb1EES1O_IbLb0EEEEDaS1K_S1L_EUlS1K_E_NS1_11comp_targetILNS1_3genE2ELNS1_11target_archE906ELNS1_3gpuE6ELNS1_3repE0EEENS1_30default_config_static_selectorELNS0_4arch9wavefront6targetE0EEEvSY_.num_vgpr, 0
	.set _ZN7rocprim17ROCPRIM_400000_NS6detail17trampoline_kernelINS0_13select_configILj256ELj13ELNS0_17block_load_methodE3ELS4_3ELS4_3ELNS0_20block_scan_algorithmE0ELj4294967295EEENS1_25partition_config_selectorILNS1_17partition_subalgoE3EjNS0_10empty_typeEbEEZZNS1_14partition_implILS8_3ELb0ES6_jNS0_17counting_iteratorIjlEEPS9_SE_NS0_5tupleIJPjSE_EEENSF_IJSE_SE_EEES9_SG_JZNS1_25segmented_radix_sort_implINS0_14default_configELb1EPKdPdPKlPlN2at6native12_GLOBAL__N_18offset_tEEE10hipError_tPvRmT1_PNSt15iterator_traitsISY_E10value_typeET2_T3_PNSZ_IS14_E10value_typeET4_jRbjT5_S1A_jjP12ihipStream_tbEUljE_EEESV_SW_SX_S14_S18_S1A_T6_T7_T9_mT8_S1C_bDpT10_ENKUlT_T0_E_clISt17integral_constantIbLb1EES1O_IbLb0EEEEDaS1K_S1L_EUlS1K_E_NS1_11comp_targetILNS1_3genE2ELNS1_11target_archE906ELNS1_3gpuE6ELNS1_3repE0EEENS1_30default_config_static_selectorELNS0_4arch9wavefront6targetE0EEEvSY_.num_agpr, 0
	.set _ZN7rocprim17ROCPRIM_400000_NS6detail17trampoline_kernelINS0_13select_configILj256ELj13ELNS0_17block_load_methodE3ELS4_3ELS4_3ELNS0_20block_scan_algorithmE0ELj4294967295EEENS1_25partition_config_selectorILNS1_17partition_subalgoE3EjNS0_10empty_typeEbEEZZNS1_14partition_implILS8_3ELb0ES6_jNS0_17counting_iteratorIjlEEPS9_SE_NS0_5tupleIJPjSE_EEENSF_IJSE_SE_EEES9_SG_JZNS1_25segmented_radix_sort_implINS0_14default_configELb1EPKdPdPKlPlN2at6native12_GLOBAL__N_18offset_tEEE10hipError_tPvRmT1_PNSt15iterator_traitsISY_E10value_typeET2_T3_PNSZ_IS14_E10value_typeET4_jRbjT5_S1A_jjP12ihipStream_tbEUljE_EEESV_SW_SX_S14_S18_S1A_T6_T7_T9_mT8_S1C_bDpT10_ENKUlT_T0_E_clISt17integral_constantIbLb1EES1O_IbLb0EEEEDaS1K_S1L_EUlS1K_E_NS1_11comp_targetILNS1_3genE2ELNS1_11target_archE906ELNS1_3gpuE6ELNS1_3repE0EEENS1_30default_config_static_selectorELNS0_4arch9wavefront6targetE0EEEvSY_.numbered_sgpr, 0
	.set _ZN7rocprim17ROCPRIM_400000_NS6detail17trampoline_kernelINS0_13select_configILj256ELj13ELNS0_17block_load_methodE3ELS4_3ELS4_3ELNS0_20block_scan_algorithmE0ELj4294967295EEENS1_25partition_config_selectorILNS1_17partition_subalgoE3EjNS0_10empty_typeEbEEZZNS1_14partition_implILS8_3ELb0ES6_jNS0_17counting_iteratorIjlEEPS9_SE_NS0_5tupleIJPjSE_EEENSF_IJSE_SE_EEES9_SG_JZNS1_25segmented_radix_sort_implINS0_14default_configELb1EPKdPdPKlPlN2at6native12_GLOBAL__N_18offset_tEEE10hipError_tPvRmT1_PNSt15iterator_traitsISY_E10value_typeET2_T3_PNSZ_IS14_E10value_typeET4_jRbjT5_S1A_jjP12ihipStream_tbEUljE_EEESV_SW_SX_S14_S18_S1A_T6_T7_T9_mT8_S1C_bDpT10_ENKUlT_T0_E_clISt17integral_constantIbLb1EES1O_IbLb0EEEEDaS1K_S1L_EUlS1K_E_NS1_11comp_targetILNS1_3genE2ELNS1_11target_archE906ELNS1_3gpuE6ELNS1_3repE0EEENS1_30default_config_static_selectorELNS0_4arch9wavefront6targetE0EEEvSY_.num_named_barrier, 0
	.set _ZN7rocprim17ROCPRIM_400000_NS6detail17trampoline_kernelINS0_13select_configILj256ELj13ELNS0_17block_load_methodE3ELS4_3ELS4_3ELNS0_20block_scan_algorithmE0ELj4294967295EEENS1_25partition_config_selectorILNS1_17partition_subalgoE3EjNS0_10empty_typeEbEEZZNS1_14partition_implILS8_3ELb0ES6_jNS0_17counting_iteratorIjlEEPS9_SE_NS0_5tupleIJPjSE_EEENSF_IJSE_SE_EEES9_SG_JZNS1_25segmented_radix_sort_implINS0_14default_configELb1EPKdPdPKlPlN2at6native12_GLOBAL__N_18offset_tEEE10hipError_tPvRmT1_PNSt15iterator_traitsISY_E10value_typeET2_T3_PNSZ_IS14_E10value_typeET4_jRbjT5_S1A_jjP12ihipStream_tbEUljE_EEESV_SW_SX_S14_S18_S1A_T6_T7_T9_mT8_S1C_bDpT10_ENKUlT_T0_E_clISt17integral_constantIbLb1EES1O_IbLb0EEEEDaS1K_S1L_EUlS1K_E_NS1_11comp_targetILNS1_3genE2ELNS1_11target_archE906ELNS1_3gpuE6ELNS1_3repE0EEENS1_30default_config_static_selectorELNS0_4arch9wavefront6targetE0EEEvSY_.private_seg_size, 0
	.set _ZN7rocprim17ROCPRIM_400000_NS6detail17trampoline_kernelINS0_13select_configILj256ELj13ELNS0_17block_load_methodE3ELS4_3ELS4_3ELNS0_20block_scan_algorithmE0ELj4294967295EEENS1_25partition_config_selectorILNS1_17partition_subalgoE3EjNS0_10empty_typeEbEEZZNS1_14partition_implILS8_3ELb0ES6_jNS0_17counting_iteratorIjlEEPS9_SE_NS0_5tupleIJPjSE_EEENSF_IJSE_SE_EEES9_SG_JZNS1_25segmented_radix_sort_implINS0_14default_configELb1EPKdPdPKlPlN2at6native12_GLOBAL__N_18offset_tEEE10hipError_tPvRmT1_PNSt15iterator_traitsISY_E10value_typeET2_T3_PNSZ_IS14_E10value_typeET4_jRbjT5_S1A_jjP12ihipStream_tbEUljE_EEESV_SW_SX_S14_S18_S1A_T6_T7_T9_mT8_S1C_bDpT10_ENKUlT_T0_E_clISt17integral_constantIbLb1EES1O_IbLb0EEEEDaS1K_S1L_EUlS1K_E_NS1_11comp_targetILNS1_3genE2ELNS1_11target_archE906ELNS1_3gpuE6ELNS1_3repE0EEENS1_30default_config_static_selectorELNS0_4arch9wavefront6targetE0EEEvSY_.uses_vcc, 0
	.set _ZN7rocprim17ROCPRIM_400000_NS6detail17trampoline_kernelINS0_13select_configILj256ELj13ELNS0_17block_load_methodE3ELS4_3ELS4_3ELNS0_20block_scan_algorithmE0ELj4294967295EEENS1_25partition_config_selectorILNS1_17partition_subalgoE3EjNS0_10empty_typeEbEEZZNS1_14partition_implILS8_3ELb0ES6_jNS0_17counting_iteratorIjlEEPS9_SE_NS0_5tupleIJPjSE_EEENSF_IJSE_SE_EEES9_SG_JZNS1_25segmented_radix_sort_implINS0_14default_configELb1EPKdPdPKlPlN2at6native12_GLOBAL__N_18offset_tEEE10hipError_tPvRmT1_PNSt15iterator_traitsISY_E10value_typeET2_T3_PNSZ_IS14_E10value_typeET4_jRbjT5_S1A_jjP12ihipStream_tbEUljE_EEESV_SW_SX_S14_S18_S1A_T6_T7_T9_mT8_S1C_bDpT10_ENKUlT_T0_E_clISt17integral_constantIbLb1EES1O_IbLb0EEEEDaS1K_S1L_EUlS1K_E_NS1_11comp_targetILNS1_3genE2ELNS1_11target_archE906ELNS1_3gpuE6ELNS1_3repE0EEENS1_30default_config_static_selectorELNS0_4arch9wavefront6targetE0EEEvSY_.uses_flat_scratch, 0
	.set _ZN7rocprim17ROCPRIM_400000_NS6detail17trampoline_kernelINS0_13select_configILj256ELj13ELNS0_17block_load_methodE3ELS4_3ELS4_3ELNS0_20block_scan_algorithmE0ELj4294967295EEENS1_25partition_config_selectorILNS1_17partition_subalgoE3EjNS0_10empty_typeEbEEZZNS1_14partition_implILS8_3ELb0ES6_jNS0_17counting_iteratorIjlEEPS9_SE_NS0_5tupleIJPjSE_EEENSF_IJSE_SE_EEES9_SG_JZNS1_25segmented_radix_sort_implINS0_14default_configELb1EPKdPdPKlPlN2at6native12_GLOBAL__N_18offset_tEEE10hipError_tPvRmT1_PNSt15iterator_traitsISY_E10value_typeET2_T3_PNSZ_IS14_E10value_typeET4_jRbjT5_S1A_jjP12ihipStream_tbEUljE_EEESV_SW_SX_S14_S18_S1A_T6_T7_T9_mT8_S1C_bDpT10_ENKUlT_T0_E_clISt17integral_constantIbLb1EES1O_IbLb0EEEEDaS1K_S1L_EUlS1K_E_NS1_11comp_targetILNS1_3genE2ELNS1_11target_archE906ELNS1_3gpuE6ELNS1_3repE0EEENS1_30default_config_static_selectorELNS0_4arch9wavefront6targetE0EEEvSY_.has_dyn_sized_stack, 0
	.set _ZN7rocprim17ROCPRIM_400000_NS6detail17trampoline_kernelINS0_13select_configILj256ELj13ELNS0_17block_load_methodE3ELS4_3ELS4_3ELNS0_20block_scan_algorithmE0ELj4294967295EEENS1_25partition_config_selectorILNS1_17partition_subalgoE3EjNS0_10empty_typeEbEEZZNS1_14partition_implILS8_3ELb0ES6_jNS0_17counting_iteratorIjlEEPS9_SE_NS0_5tupleIJPjSE_EEENSF_IJSE_SE_EEES9_SG_JZNS1_25segmented_radix_sort_implINS0_14default_configELb1EPKdPdPKlPlN2at6native12_GLOBAL__N_18offset_tEEE10hipError_tPvRmT1_PNSt15iterator_traitsISY_E10value_typeET2_T3_PNSZ_IS14_E10value_typeET4_jRbjT5_S1A_jjP12ihipStream_tbEUljE_EEESV_SW_SX_S14_S18_S1A_T6_T7_T9_mT8_S1C_bDpT10_ENKUlT_T0_E_clISt17integral_constantIbLb1EES1O_IbLb0EEEEDaS1K_S1L_EUlS1K_E_NS1_11comp_targetILNS1_3genE2ELNS1_11target_archE906ELNS1_3gpuE6ELNS1_3repE0EEENS1_30default_config_static_selectorELNS0_4arch9wavefront6targetE0EEEvSY_.has_recursion, 0
	.set _ZN7rocprim17ROCPRIM_400000_NS6detail17trampoline_kernelINS0_13select_configILj256ELj13ELNS0_17block_load_methodE3ELS4_3ELS4_3ELNS0_20block_scan_algorithmE0ELj4294967295EEENS1_25partition_config_selectorILNS1_17partition_subalgoE3EjNS0_10empty_typeEbEEZZNS1_14partition_implILS8_3ELb0ES6_jNS0_17counting_iteratorIjlEEPS9_SE_NS0_5tupleIJPjSE_EEENSF_IJSE_SE_EEES9_SG_JZNS1_25segmented_radix_sort_implINS0_14default_configELb1EPKdPdPKlPlN2at6native12_GLOBAL__N_18offset_tEEE10hipError_tPvRmT1_PNSt15iterator_traitsISY_E10value_typeET2_T3_PNSZ_IS14_E10value_typeET4_jRbjT5_S1A_jjP12ihipStream_tbEUljE_EEESV_SW_SX_S14_S18_S1A_T6_T7_T9_mT8_S1C_bDpT10_ENKUlT_T0_E_clISt17integral_constantIbLb1EES1O_IbLb0EEEEDaS1K_S1L_EUlS1K_E_NS1_11comp_targetILNS1_3genE2ELNS1_11target_archE906ELNS1_3gpuE6ELNS1_3repE0EEENS1_30default_config_static_selectorELNS0_4arch9wavefront6targetE0EEEvSY_.has_indirect_call, 0
	.section	.AMDGPU.csdata,"",@progbits
; Kernel info:
; codeLenInByte = 0
; TotalNumSgprs: 0
; NumVgprs: 0
; ScratchSize: 0
; MemoryBound: 0
; FloatMode: 240
; IeeeMode: 1
; LDSByteSize: 0 bytes/workgroup (compile time only)
; SGPRBlocks: 0
; VGPRBlocks: 0
; NumSGPRsForWavesPerEU: 1
; NumVGPRsForWavesPerEU: 1
; Occupancy: 16
; WaveLimiterHint : 0
; COMPUTE_PGM_RSRC2:SCRATCH_EN: 0
; COMPUTE_PGM_RSRC2:USER_SGPR: 6
; COMPUTE_PGM_RSRC2:TRAP_HANDLER: 0
; COMPUTE_PGM_RSRC2:TGID_X_EN: 1
; COMPUTE_PGM_RSRC2:TGID_Y_EN: 0
; COMPUTE_PGM_RSRC2:TGID_Z_EN: 0
; COMPUTE_PGM_RSRC2:TIDIG_COMP_CNT: 0
	.section	.text._ZN7rocprim17ROCPRIM_400000_NS6detail17trampoline_kernelINS0_13select_configILj256ELj13ELNS0_17block_load_methodE3ELS4_3ELS4_3ELNS0_20block_scan_algorithmE0ELj4294967295EEENS1_25partition_config_selectorILNS1_17partition_subalgoE3EjNS0_10empty_typeEbEEZZNS1_14partition_implILS8_3ELb0ES6_jNS0_17counting_iteratorIjlEEPS9_SE_NS0_5tupleIJPjSE_EEENSF_IJSE_SE_EEES9_SG_JZNS1_25segmented_radix_sort_implINS0_14default_configELb1EPKdPdPKlPlN2at6native12_GLOBAL__N_18offset_tEEE10hipError_tPvRmT1_PNSt15iterator_traitsISY_E10value_typeET2_T3_PNSZ_IS14_E10value_typeET4_jRbjT5_S1A_jjP12ihipStream_tbEUljE_EEESV_SW_SX_S14_S18_S1A_T6_T7_T9_mT8_S1C_bDpT10_ENKUlT_T0_E_clISt17integral_constantIbLb1EES1O_IbLb0EEEEDaS1K_S1L_EUlS1K_E_NS1_11comp_targetILNS1_3genE10ELNS1_11target_archE1200ELNS1_3gpuE4ELNS1_3repE0EEENS1_30default_config_static_selectorELNS0_4arch9wavefront6targetE0EEEvSY_,"axG",@progbits,_ZN7rocprim17ROCPRIM_400000_NS6detail17trampoline_kernelINS0_13select_configILj256ELj13ELNS0_17block_load_methodE3ELS4_3ELS4_3ELNS0_20block_scan_algorithmE0ELj4294967295EEENS1_25partition_config_selectorILNS1_17partition_subalgoE3EjNS0_10empty_typeEbEEZZNS1_14partition_implILS8_3ELb0ES6_jNS0_17counting_iteratorIjlEEPS9_SE_NS0_5tupleIJPjSE_EEENSF_IJSE_SE_EEES9_SG_JZNS1_25segmented_radix_sort_implINS0_14default_configELb1EPKdPdPKlPlN2at6native12_GLOBAL__N_18offset_tEEE10hipError_tPvRmT1_PNSt15iterator_traitsISY_E10value_typeET2_T3_PNSZ_IS14_E10value_typeET4_jRbjT5_S1A_jjP12ihipStream_tbEUljE_EEESV_SW_SX_S14_S18_S1A_T6_T7_T9_mT8_S1C_bDpT10_ENKUlT_T0_E_clISt17integral_constantIbLb1EES1O_IbLb0EEEEDaS1K_S1L_EUlS1K_E_NS1_11comp_targetILNS1_3genE10ELNS1_11target_archE1200ELNS1_3gpuE4ELNS1_3repE0EEENS1_30default_config_static_selectorELNS0_4arch9wavefront6targetE0EEEvSY_,comdat
	.globl	_ZN7rocprim17ROCPRIM_400000_NS6detail17trampoline_kernelINS0_13select_configILj256ELj13ELNS0_17block_load_methodE3ELS4_3ELS4_3ELNS0_20block_scan_algorithmE0ELj4294967295EEENS1_25partition_config_selectorILNS1_17partition_subalgoE3EjNS0_10empty_typeEbEEZZNS1_14partition_implILS8_3ELb0ES6_jNS0_17counting_iteratorIjlEEPS9_SE_NS0_5tupleIJPjSE_EEENSF_IJSE_SE_EEES9_SG_JZNS1_25segmented_radix_sort_implINS0_14default_configELb1EPKdPdPKlPlN2at6native12_GLOBAL__N_18offset_tEEE10hipError_tPvRmT1_PNSt15iterator_traitsISY_E10value_typeET2_T3_PNSZ_IS14_E10value_typeET4_jRbjT5_S1A_jjP12ihipStream_tbEUljE_EEESV_SW_SX_S14_S18_S1A_T6_T7_T9_mT8_S1C_bDpT10_ENKUlT_T0_E_clISt17integral_constantIbLb1EES1O_IbLb0EEEEDaS1K_S1L_EUlS1K_E_NS1_11comp_targetILNS1_3genE10ELNS1_11target_archE1200ELNS1_3gpuE4ELNS1_3repE0EEENS1_30default_config_static_selectorELNS0_4arch9wavefront6targetE0EEEvSY_ ; -- Begin function _ZN7rocprim17ROCPRIM_400000_NS6detail17trampoline_kernelINS0_13select_configILj256ELj13ELNS0_17block_load_methodE3ELS4_3ELS4_3ELNS0_20block_scan_algorithmE0ELj4294967295EEENS1_25partition_config_selectorILNS1_17partition_subalgoE3EjNS0_10empty_typeEbEEZZNS1_14partition_implILS8_3ELb0ES6_jNS0_17counting_iteratorIjlEEPS9_SE_NS0_5tupleIJPjSE_EEENSF_IJSE_SE_EEES9_SG_JZNS1_25segmented_radix_sort_implINS0_14default_configELb1EPKdPdPKlPlN2at6native12_GLOBAL__N_18offset_tEEE10hipError_tPvRmT1_PNSt15iterator_traitsISY_E10value_typeET2_T3_PNSZ_IS14_E10value_typeET4_jRbjT5_S1A_jjP12ihipStream_tbEUljE_EEESV_SW_SX_S14_S18_S1A_T6_T7_T9_mT8_S1C_bDpT10_ENKUlT_T0_E_clISt17integral_constantIbLb1EES1O_IbLb0EEEEDaS1K_S1L_EUlS1K_E_NS1_11comp_targetILNS1_3genE10ELNS1_11target_archE1200ELNS1_3gpuE4ELNS1_3repE0EEENS1_30default_config_static_selectorELNS0_4arch9wavefront6targetE0EEEvSY_
	.p2align	8
	.type	_ZN7rocprim17ROCPRIM_400000_NS6detail17trampoline_kernelINS0_13select_configILj256ELj13ELNS0_17block_load_methodE3ELS4_3ELS4_3ELNS0_20block_scan_algorithmE0ELj4294967295EEENS1_25partition_config_selectorILNS1_17partition_subalgoE3EjNS0_10empty_typeEbEEZZNS1_14partition_implILS8_3ELb0ES6_jNS0_17counting_iteratorIjlEEPS9_SE_NS0_5tupleIJPjSE_EEENSF_IJSE_SE_EEES9_SG_JZNS1_25segmented_radix_sort_implINS0_14default_configELb1EPKdPdPKlPlN2at6native12_GLOBAL__N_18offset_tEEE10hipError_tPvRmT1_PNSt15iterator_traitsISY_E10value_typeET2_T3_PNSZ_IS14_E10value_typeET4_jRbjT5_S1A_jjP12ihipStream_tbEUljE_EEESV_SW_SX_S14_S18_S1A_T6_T7_T9_mT8_S1C_bDpT10_ENKUlT_T0_E_clISt17integral_constantIbLb1EES1O_IbLb0EEEEDaS1K_S1L_EUlS1K_E_NS1_11comp_targetILNS1_3genE10ELNS1_11target_archE1200ELNS1_3gpuE4ELNS1_3repE0EEENS1_30default_config_static_selectorELNS0_4arch9wavefront6targetE0EEEvSY_,@function
_ZN7rocprim17ROCPRIM_400000_NS6detail17trampoline_kernelINS0_13select_configILj256ELj13ELNS0_17block_load_methodE3ELS4_3ELS4_3ELNS0_20block_scan_algorithmE0ELj4294967295EEENS1_25partition_config_selectorILNS1_17partition_subalgoE3EjNS0_10empty_typeEbEEZZNS1_14partition_implILS8_3ELb0ES6_jNS0_17counting_iteratorIjlEEPS9_SE_NS0_5tupleIJPjSE_EEENSF_IJSE_SE_EEES9_SG_JZNS1_25segmented_radix_sort_implINS0_14default_configELb1EPKdPdPKlPlN2at6native12_GLOBAL__N_18offset_tEEE10hipError_tPvRmT1_PNSt15iterator_traitsISY_E10value_typeET2_T3_PNSZ_IS14_E10value_typeET4_jRbjT5_S1A_jjP12ihipStream_tbEUljE_EEESV_SW_SX_S14_S18_S1A_T6_T7_T9_mT8_S1C_bDpT10_ENKUlT_T0_E_clISt17integral_constantIbLb1EES1O_IbLb0EEEEDaS1K_S1L_EUlS1K_E_NS1_11comp_targetILNS1_3genE10ELNS1_11target_archE1200ELNS1_3gpuE4ELNS1_3repE0EEENS1_30default_config_static_selectorELNS0_4arch9wavefront6targetE0EEEvSY_: ; @_ZN7rocprim17ROCPRIM_400000_NS6detail17trampoline_kernelINS0_13select_configILj256ELj13ELNS0_17block_load_methodE3ELS4_3ELS4_3ELNS0_20block_scan_algorithmE0ELj4294967295EEENS1_25partition_config_selectorILNS1_17partition_subalgoE3EjNS0_10empty_typeEbEEZZNS1_14partition_implILS8_3ELb0ES6_jNS0_17counting_iteratorIjlEEPS9_SE_NS0_5tupleIJPjSE_EEENSF_IJSE_SE_EEES9_SG_JZNS1_25segmented_radix_sort_implINS0_14default_configELb1EPKdPdPKlPlN2at6native12_GLOBAL__N_18offset_tEEE10hipError_tPvRmT1_PNSt15iterator_traitsISY_E10value_typeET2_T3_PNSZ_IS14_E10value_typeET4_jRbjT5_S1A_jjP12ihipStream_tbEUljE_EEESV_SW_SX_S14_S18_S1A_T6_T7_T9_mT8_S1C_bDpT10_ENKUlT_T0_E_clISt17integral_constantIbLb1EES1O_IbLb0EEEEDaS1K_S1L_EUlS1K_E_NS1_11comp_targetILNS1_3genE10ELNS1_11target_archE1200ELNS1_3gpuE4ELNS1_3repE0EEENS1_30default_config_static_selectorELNS0_4arch9wavefront6targetE0EEEvSY_
; %bb.0:
	.section	.rodata,"a",@progbits
	.p2align	6, 0x0
	.amdhsa_kernel _ZN7rocprim17ROCPRIM_400000_NS6detail17trampoline_kernelINS0_13select_configILj256ELj13ELNS0_17block_load_methodE3ELS4_3ELS4_3ELNS0_20block_scan_algorithmE0ELj4294967295EEENS1_25partition_config_selectorILNS1_17partition_subalgoE3EjNS0_10empty_typeEbEEZZNS1_14partition_implILS8_3ELb0ES6_jNS0_17counting_iteratorIjlEEPS9_SE_NS0_5tupleIJPjSE_EEENSF_IJSE_SE_EEES9_SG_JZNS1_25segmented_radix_sort_implINS0_14default_configELb1EPKdPdPKlPlN2at6native12_GLOBAL__N_18offset_tEEE10hipError_tPvRmT1_PNSt15iterator_traitsISY_E10value_typeET2_T3_PNSZ_IS14_E10value_typeET4_jRbjT5_S1A_jjP12ihipStream_tbEUljE_EEESV_SW_SX_S14_S18_S1A_T6_T7_T9_mT8_S1C_bDpT10_ENKUlT_T0_E_clISt17integral_constantIbLb1EES1O_IbLb0EEEEDaS1K_S1L_EUlS1K_E_NS1_11comp_targetILNS1_3genE10ELNS1_11target_archE1200ELNS1_3gpuE4ELNS1_3repE0EEENS1_30default_config_static_selectorELNS0_4arch9wavefront6targetE0EEEvSY_
		.amdhsa_group_segment_fixed_size 0
		.amdhsa_private_segment_fixed_size 0
		.amdhsa_kernarg_size 144
		.amdhsa_user_sgpr_count 6
		.amdhsa_user_sgpr_private_segment_buffer 1
		.amdhsa_user_sgpr_dispatch_ptr 0
		.amdhsa_user_sgpr_queue_ptr 0
		.amdhsa_user_sgpr_kernarg_segment_ptr 1
		.amdhsa_user_sgpr_dispatch_id 0
		.amdhsa_user_sgpr_flat_scratch_init 0
		.amdhsa_user_sgpr_private_segment_size 0
		.amdhsa_wavefront_size32 1
		.amdhsa_uses_dynamic_stack 0
		.amdhsa_system_sgpr_private_segment_wavefront_offset 0
		.amdhsa_system_sgpr_workgroup_id_x 1
		.amdhsa_system_sgpr_workgroup_id_y 0
		.amdhsa_system_sgpr_workgroup_id_z 0
		.amdhsa_system_sgpr_workgroup_info 0
		.amdhsa_system_vgpr_workitem_id 0
		.amdhsa_next_free_vgpr 1
		.amdhsa_next_free_sgpr 1
		.amdhsa_reserve_vcc 0
		.amdhsa_reserve_flat_scratch 0
		.amdhsa_float_round_mode_32 0
		.amdhsa_float_round_mode_16_64 0
		.amdhsa_float_denorm_mode_32 3
		.amdhsa_float_denorm_mode_16_64 3
		.amdhsa_dx10_clamp 1
		.amdhsa_ieee_mode 1
		.amdhsa_fp16_overflow 0
		.amdhsa_workgroup_processor_mode 1
		.amdhsa_memory_ordered 1
		.amdhsa_forward_progress 1
		.amdhsa_shared_vgpr_count 0
		.amdhsa_exception_fp_ieee_invalid_op 0
		.amdhsa_exception_fp_denorm_src 0
		.amdhsa_exception_fp_ieee_div_zero 0
		.amdhsa_exception_fp_ieee_overflow 0
		.amdhsa_exception_fp_ieee_underflow 0
		.amdhsa_exception_fp_ieee_inexact 0
		.amdhsa_exception_int_div_zero 0
	.end_amdhsa_kernel
	.section	.text._ZN7rocprim17ROCPRIM_400000_NS6detail17trampoline_kernelINS0_13select_configILj256ELj13ELNS0_17block_load_methodE3ELS4_3ELS4_3ELNS0_20block_scan_algorithmE0ELj4294967295EEENS1_25partition_config_selectorILNS1_17partition_subalgoE3EjNS0_10empty_typeEbEEZZNS1_14partition_implILS8_3ELb0ES6_jNS0_17counting_iteratorIjlEEPS9_SE_NS0_5tupleIJPjSE_EEENSF_IJSE_SE_EEES9_SG_JZNS1_25segmented_radix_sort_implINS0_14default_configELb1EPKdPdPKlPlN2at6native12_GLOBAL__N_18offset_tEEE10hipError_tPvRmT1_PNSt15iterator_traitsISY_E10value_typeET2_T3_PNSZ_IS14_E10value_typeET4_jRbjT5_S1A_jjP12ihipStream_tbEUljE_EEESV_SW_SX_S14_S18_S1A_T6_T7_T9_mT8_S1C_bDpT10_ENKUlT_T0_E_clISt17integral_constantIbLb1EES1O_IbLb0EEEEDaS1K_S1L_EUlS1K_E_NS1_11comp_targetILNS1_3genE10ELNS1_11target_archE1200ELNS1_3gpuE4ELNS1_3repE0EEENS1_30default_config_static_selectorELNS0_4arch9wavefront6targetE0EEEvSY_,"axG",@progbits,_ZN7rocprim17ROCPRIM_400000_NS6detail17trampoline_kernelINS0_13select_configILj256ELj13ELNS0_17block_load_methodE3ELS4_3ELS4_3ELNS0_20block_scan_algorithmE0ELj4294967295EEENS1_25partition_config_selectorILNS1_17partition_subalgoE3EjNS0_10empty_typeEbEEZZNS1_14partition_implILS8_3ELb0ES6_jNS0_17counting_iteratorIjlEEPS9_SE_NS0_5tupleIJPjSE_EEENSF_IJSE_SE_EEES9_SG_JZNS1_25segmented_radix_sort_implINS0_14default_configELb1EPKdPdPKlPlN2at6native12_GLOBAL__N_18offset_tEEE10hipError_tPvRmT1_PNSt15iterator_traitsISY_E10value_typeET2_T3_PNSZ_IS14_E10value_typeET4_jRbjT5_S1A_jjP12ihipStream_tbEUljE_EEESV_SW_SX_S14_S18_S1A_T6_T7_T9_mT8_S1C_bDpT10_ENKUlT_T0_E_clISt17integral_constantIbLb1EES1O_IbLb0EEEEDaS1K_S1L_EUlS1K_E_NS1_11comp_targetILNS1_3genE10ELNS1_11target_archE1200ELNS1_3gpuE4ELNS1_3repE0EEENS1_30default_config_static_selectorELNS0_4arch9wavefront6targetE0EEEvSY_,comdat
.Lfunc_end1099:
	.size	_ZN7rocprim17ROCPRIM_400000_NS6detail17trampoline_kernelINS0_13select_configILj256ELj13ELNS0_17block_load_methodE3ELS4_3ELS4_3ELNS0_20block_scan_algorithmE0ELj4294967295EEENS1_25partition_config_selectorILNS1_17partition_subalgoE3EjNS0_10empty_typeEbEEZZNS1_14partition_implILS8_3ELb0ES6_jNS0_17counting_iteratorIjlEEPS9_SE_NS0_5tupleIJPjSE_EEENSF_IJSE_SE_EEES9_SG_JZNS1_25segmented_radix_sort_implINS0_14default_configELb1EPKdPdPKlPlN2at6native12_GLOBAL__N_18offset_tEEE10hipError_tPvRmT1_PNSt15iterator_traitsISY_E10value_typeET2_T3_PNSZ_IS14_E10value_typeET4_jRbjT5_S1A_jjP12ihipStream_tbEUljE_EEESV_SW_SX_S14_S18_S1A_T6_T7_T9_mT8_S1C_bDpT10_ENKUlT_T0_E_clISt17integral_constantIbLb1EES1O_IbLb0EEEEDaS1K_S1L_EUlS1K_E_NS1_11comp_targetILNS1_3genE10ELNS1_11target_archE1200ELNS1_3gpuE4ELNS1_3repE0EEENS1_30default_config_static_selectorELNS0_4arch9wavefront6targetE0EEEvSY_, .Lfunc_end1099-_ZN7rocprim17ROCPRIM_400000_NS6detail17trampoline_kernelINS0_13select_configILj256ELj13ELNS0_17block_load_methodE3ELS4_3ELS4_3ELNS0_20block_scan_algorithmE0ELj4294967295EEENS1_25partition_config_selectorILNS1_17partition_subalgoE3EjNS0_10empty_typeEbEEZZNS1_14partition_implILS8_3ELb0ES6_jNS0_17counting_iteratorIjlEEPS9_SE_NS0_5tupleIJPjSE_EEENSF_IJSE_SE_EEES9_SG_JZNS1_25segmented_radix_sort_implINS0_14default_configELb1EPKdPdPKlPlN2at6native12_GLOBAL__N_18offset_tEEE10hipError_tPvRmT1_PNSt15iterator_traitsISY_E10value_typeET2_T3_PNSZ_IS14_E10value_typeET4_jRbjT5_S1A_jjP12ihipStream_tbEUljE_EEESV_SW_SX_S14_S18_S1A_T6_T7_T9_mT8_S1C_bDpT10_ENKUlT_T0_E_clISt17integral_constantIbLb1EES1O_IbLb0EEEEDaS1K_S1L_EUlS1K_E_NS1_11comp_targetILNS1_3genE10ELNS1_11target_archE1200ELNS1_3gpuE4ELNS1_3repE0EEENS1_30default_config_static_selectorELNS0_4arch9wavefront6targetE0EEEvSY_
                                        ; -- End function
	.set _ZN7rocprim17ROCPRIM_400000_NS6detail17trampoline_kernelINS0_13select_configILj256ELj13ELNS0_17block_load_methodE3ELS4_3ELS4_3ELNS0_20block_scan_algorithmE0ELj4294967295EEENS1_25partition_config_selectorILNS1_17partition_subalgoE3EjNS0_10empty_typeEbEEZZNS1_14partition_implILS8_3ELb0ES6_jNS0_17counting_iteratorIjlEEPS9_SE_NS0_5tupleIJPjSE_EEENSF_IJSE_SE_EEES9_SG_JZNS1_25segmented_radix_sort_implINS0_14default_configELb1EPKdPdPKlPlN2at6native12_GLOBAL__N_18offset_tEEE10hipError_tPvRmT1_PNSt15iterator_traitsISY_E10value_typeET2_T3_PNSZ_IS14_E10value_typeET4_jRbjT5_S1A_jjP12ihipStream_tbEUljE_EEESV_SW_SX_S14_S18_S1A_T6_T7_T9_mT8_S1C_bDpT10_ENKUlT_T0_E_clISt17integral_constantIbLb1EES1O_IbLb0EEEEDaS1K_S1L_EUlS1K_E_NS1_11comp_targetILNS1_3genE10ELNS1_11target_archE1200ELNS1_3gpuE4ELNS1_3repE0EEENS1_30default_config_static_selectorELNS0_4arch9wavefront6targetE0EEEvSY_.num_vgpr, 0
	.set _ZN7rocprim17ROCPRIM_400000_NS6detail17trampoline_kernelINS0_13select_configILj256ELj13ELNS0_17block_load_methodE3ELS4_3ELS4_3ELNS0_20block_scan_algorithmE0ELj4294967295EEENS1_25partition_config_selectorILNS1_17partition_subalgoE3EjNS0_10empty_typeEbEEZZNS1_14partition_implILS8_3ELb0ES6_jNS0_17counting_iteratorIjlEEPS9_SE_NS0_5tupleIJPjSE_EEENSF_IJSE_SE_EEES9_SG_JZNS1_25segmented_radix_sort_implINS0_14default_configELb1EPKdPdPKlPlN2at6native12_GLOBAL__N_18offset_tEEE10hipError_tPvRmT1_PNSt15iterator_traitsISY_E10value_typeET2_T3_PNSZ_IS14_E10value_typeET4_jRbjT5_S1A_jjP12ihipStream_tbEUljE_EEESV_SW_SX_S14_S18_S1A_T6_T7_T9_mT8_S1C_bDpT10_ENKUlT_T0_E_clISt17integral_constantIbLb1EES1O_IbLb0EEEEDaS1K_S1L_EUlS1K_E_NS1_11comp_targetILNS1_3genE10ELNS1_11target_archE1200ELNS1_3gpuE4ELNS1_3repE0EEENS1_30default_config_static_selectorELNS0_4arch9wavefront6targetE0EEEvSY_.num_agpr, 0
	.set _ZN7rocprim17ROCPRIM_400000_NS6detail17trampoline_kernelINS0_13select_configILj256ELj13ELNS0_17block_load_methodE3ELS4_3ELS4_3ELNS0_20block_scan_algorithmE0ELj4294967295EEENS1_25partition_config_selectorILNS1_17partition_subalgoE3EjNS0_10empty_typeEbEEZZNS1_14partition_implILS8_3ELb0ES6_jNS0_17counting_iteratorIjlEEPS9_SE_NS0_5tupleIJPjSE_EEENSF_IJSE_SE_EEES9_SG_JZNS1_25segmented_radix_sort_implINS0_14default_configELb1EPKdPdPKlPlN2at6native12_GLOBAL__N_18offset_tEEE10hipError_tPvRmT1_PNSt15iterator_traitsISY_E10value_typeET2_T3_PNSZ_IS14_E10value_typeET4_jRbjT5_S1A_jjP12ihipStream_tbEUljE_EEESV_SW_SX_S14_S18_S1A_T6_T7_T9_mT8_S1C_bDpT10_ENKUlT_T0_E_clISt17integral_constantIbLb1EES1O_IbLb0EEEEDaS1K_S1L_EUlS1K_E_NS1_11comp_targetILNS1_3genE10ELNS1_11target_archE1200ELNS1_3gpuE4ELNS1_3repE0EEENS1_30default_config_static_selectorELNS0_4arch9wavefront6targetE0EEEvSY_.numbered_sgpr, 0
	.set _ZN7rocprim17ROCPRIM_400000_NS6detail17trampoline_kernelINS0_13select_configILj256ELj13ELNS0_17block_load_methodE3ELS4_3ELS4_3ELNS0_20block_scan_algorithmE0ELj4294967295EEENS1_25partition_config_selectorILNS1_17partition_subalgoE3EjNS0_10empty_typeEbEEZZNS1_14partition_implILS8_3ELb0ES6_jNS0_17counting_iteratorIjlEEPS9_SE_NS0_5tupleIJPjSE_EEENSF_IJSE_SE_EEES9_SG_JZNS1_25segmented_radix_sort_implINS0_14default_configELb1EPKdPdPKlPlN2at6native12_GLOBAL__N_18offset_tEEE10hipError_tPvRmT1_PNSt15iterator_traitsISY_E10value_typeET2_T3_PNSZ_IS14_E10value_typeET4_jRbjT5_S1A_jjP12ihipStream_tbEUljE_EEESV_SW_SX_S14_S18_S1A_T6_T7_T9_mT8_S1C_bDpT10_ENKUlT_T0_E_clISt17integral_constantIbLb1EES1O_IbLb0EEEEDaS1K_S1L_EUlS1K_E_NS1_11comp_targetILNS1_3genE10ELNS1_11target_archE1200ELNS1_3gpuE4ELNS1_3repE0EEENS1_30default_config_static_selectorELNS0_4arch9wavefront6targetE0EEEvSY_.num_named_barrier, 0
	.set _ZN7rocprim17ROCPRIM_400000_NS6detail17trampoline_kernelINS0_13select_configILj256ELj13ELNS0_17block_load_methodE3ELS4_3ELS4_3ELNS0_20block_scan_algorithmE0ELj4294967295EEENS1_25partition_config_selectorILNS1_17partition_subalgoE3EjNS0_10empty_typeEbEEZZNS1_14partition_implILS8_3ELb0ES6_jNS0_17counting_iteratorIjlEEPS9_SE_NS0_5tupleIJPjSE_EEENSF_IJSE_SE_EEES9_SG_JZNS1_25segmented_radix_sort_implINS0_14default_configELb1EPKdPdPKlPlN2at6native12_GLOBAL__N_18offset_tEEE10hipError_tPvRmT1_PNSt15iterator_traitsISY_E10value_typeET2_T3_PNSZ_IS14_E10value_typeET4_jRbjT5_S1A_jjP12ihipStream_tbEUljE_EEESV_SW_SX_S14_S18_S1A_T6_T7_T9_mT8_S1C_bDpT10_ENKUlT_T0_E_clISt17integral_constantIbLb1EES1O_IbLb0EEEEDaS1K_S1L_EUlS1K_E_NS1_11comp_targetILNS1_3genE10ELNS1_11target_archE1200ELNS1_3gpuE4ELNS1_3repE0EEENS1_30default_config_static_selectorELNS0_4arch9wavefront6targetE0EEEvSY_.private_seg_size, 0
	.set _ZN7rocprim17ROCPRIM_400000_NS6detail17trampoline_kernelINS0_13select_configILj256ELj13ELNS0_17block_load_methodE3ELS4_3ELS4_3ELNS0_20block_scan_algorithmE0ELj4294967295EEENS1_25partition_config_selectorILNS1_17partition_subalgoE3EjNS0_10empty_typeEbEEZZNS1_14partition_implILS8_3ELb0ES6_jNS0_17counting_iteratorIjlEEPS9_SE_NS0_5tupleIJPjSE_EEENSF_IJSE_SE_EEES9_SG_JZNS1_25segmented_radix_sort_implINS0_14default_configELb1EPKdPdPKlPlN2at6native12_GLOBAL__N_18offset_tEEE10hipError_tPvRmT1_PNSt15iterator_traitsISY_E10value_typeET2_T3_PNSZ_IS14_E10value_typeET4_jRbjT5_S1A_jjP12ihipStream_tbEUljE_EEESV_SW_SX_S14_S18_S1A_T6_T7_T9_mT8_S1C_bDpT10_ENKUlT_T0_E_clISt17integral_constantIbLb1EES1O_IbLb0EEEEDaS1K_S1L_EUlS1K_E_NS1_11comp_targetILNS1_3genE10ELNS1_11target_archE1200ELNS1_3gpuE4ELNS1_3repE0EEENS1_30default_config_static_selectorELNS0_4arch9wavefront6targetE0EEEvSY_.uses_vcc, 0
	.set _ZN7rocprim17ROCPRIM_400000_NS6detail17trampoline_kernelINS0_13select_configILj256ELj13ELNS0_17block_load_methodE3ELS4_3ELS4_3ELNS0_20block_scan_algorithmE0ELj4294967295EEENS1_25partition_config_selectorILNS1_17partition_subalgoE3EjNS0_10empty_typeEbEEZZNS1_14partition_implILS8_3ELb0ES6_jNS0_17counting_iteratorIjlEEPS9_SE_NS0_5tupleIJPjSE_EEENSF_IJSE_SE_EEES9_SG_JZNS1_25segmented_radix_sort_implINS0_14default_configELb1EPKdPdPKlPlN2at6native12_GLOBAL__N_18offset_tEEE10hipError_tPvRmT1_PNSt15iterator_traitsISY_E10value_typeET2_T3_PNSZ_IS14_E10value_typeET4_jRbjT5_S1A_jjP12ihipStream_tbEUljE_EEESV_SW_SX_S14_S18_S1A_T6_T7_T9_mT8_S1C_bDpT10_ENKUlT_T0_E_clISt17integral_constantIbLb1EES1O_IbLb0EEEEDaS1K_S1L_EUlS1K_E_NS1_11comp_targetILNS1_3genE10ELNS1_11target_archE1200ELNS1_3gpuE4ELNS1_3repE0EEENS1_30default_config_static_selectorELNS0_4arch9wavefront6targetE0EEEvSY_.uses_flat_scratch, 0
	.set _ZN7rocprim17ROCPRIM_400000_NS6detail17trampoline_kernelINS0_13select_configILj256ELj13ELNS0_17block_load_methodE3ELS4_3ELS4_3ELNS0_20block_scan_algorithmE0ELj4294967295EEENS1_25partition_config_selectorILNS1_17partition_subalgoE3EjNS0_10empty_typeEbEEZZNS1_14partition_implILS8_3ELb0ES6_jNS0_17counting_iteratorIjlEEPS9_SE_NS0_5tupleIJPjSE_EEENSF_IJSE_SE_EEES9_SG_JZNS1_25segmented_radix_sort_implINS0_14default_configELb1EPKdPdPKlPlN2at6native12_GLOBAL__N_18offset_tEEE10hipError_tPvRmT1_PNSt15iterator_traitsISY_E10value_typeET2_T3_PNSZ_IS14_E10value_typeET4_jRbjT5_S1A_jjP12ihipStream_tbEUljE_EEESV_SW_SX_S14_S18_S1A_T6_T7_T9_mT8_S1C_bDpT10_ENKUlT_T0_E_clISt17integral_constantIbLb1EES1O_IbLb0EEEEDaS1K_S1L_EUlS1K_E_NS1_11comp_targetILNS1_3genE10ELNS1_11target_archE1200ELNS1_3gpuE4ELNS1_3repE0EEENS1_30default_config_static_selectorELNS0_4arch9wavefront6targetE0EEEvSY_.has_dyn_sized_stack, 0
	.set _ZN7rocprim17ROCPRIM_400000_NS6detail17trampoline_kernelINS0_13select_configILj256ELj13ELNS0_17block_load_methodE3ELS4_3ELS4_3ELNS0_20block_scan_algorithmE0ELj4294967295EEENS1_25partition_config_selectorILNS1_17partition_subalgoE3EjNS0_10empty_typeEbEEZZNS1_14partition_implILS8_3ELb0ES6_jNS0_17counting_iteratorIjlEEPS9_SE_NS0_5tupleIJPjSE_EEENSF_IJSE_SE_EEES9_SG_JZNS1_25segmented_radix_sort_implINS0_14default_configELb1EPKdPdPKlPlN2at6native12_GLOBAL__N_18offset_tEEE10hipError_tPvRmT1_PNSt15iterator_traitsISY_E10value_typeET2_T3_PNSZ_IS14_E10value_typeET4_jRbjT5_S1A_jjP12ihipStream_tbEUljE_EEESV_SW_SX_S14_S18_S1A_T6_T7_T9_mT8_S1C_bDpT10_ENKUlT_T0_E_clISt17integral_constantIbLb1EES1O_IbLb0EEEEDaS1K_S1L_EUlS1K_E_NS1_11comp_targetILNS1_3genE10ELNS1_11target_archE1200ELNS1_3gpuE4ELNS1_3repE0EEENS1_30default_config_static_selectorELNS0_4arch9wavefront6targetE0EEEvSY_.has_recursion, 0
	.set _ZN7rocprim17ROCPRIM_400000_NS6detail17trampoline_kernelINS0_13select_configILj256ELj13ELNS0_17block_load_methodE3ELS4_3ELS4_3ELNS0_20block_scan_algorithmE0ELj4294967295EEENS1_25partition_config_selectorILNS1_17partition_subalgoE3EjNS0_10empty_typeEbEEZZNS1_14partition_implILS8_3ELb0ES6_jNS0_17counting_iteratorIjlEEPS9_SE_NS0_5tupleIJPjSE_EEENSF_IJSE_SE_EEES9_SG_JZNS1_25segmented_radix_sort_implINS0_14default_configELb1EPKdPdPKlPlN2at6native12_GLOBAL__N_18offset_tEEE10hipError_tPvRmT1_PNSt15iterator_traitsISY_E10value_typeET2_T3_PNSZ_IS14_E10value_typeET4_jRbjT5_S1A_jjP12ihipStream_tbEUljE_EEESV_SW_SX_S14_S18_S1A_T6_T7_T9_mT8_S1C_bDpT10_ENKUlT_T0_E_clISt17integral_constantIbLb1EES1O_IbLb0EEEEDaS1K_S1L_EUlS1K_E_NS1_11comp_targetILNS1_3genE10ELNS1_11target_archE1200ELNS1_3gpuE4ELNS1_3repE0EEENS1_30default_config_static_selectorELNS0_4arch9wavefront6targetE0EEEvSY_.has_indirect_call, 0
	.section	.AMDGPU.csdata,"",@progbits
; Kernel info:
; codeLenInByte = 0
; TotalNumSgprs: 0
; NumVgprs: 0
; ScratchSize: 0
; MemoryBound: 0
; FloatMode: 240
; IeeeMode: 1
; LDSByteSize: 0 bytes/workgroup (compile time only)
; SGPRBlocks: 0
; VGPRBlocks: 0
; NumSGPRsForWavesPerEU: 1
; NumVGPRsForWavesPerEU: 1
; Occupancy: 16
; WaveLimiterHint : 0
; COMPUTE_PGM_RSRC2:SCRATCH_EN: 0
; COMPUTE_PGM_RSRC2:USER_SGPR: 6
; COMPUTE_PGM_RSRC2:TRAP_HANDLER: 0
; COMPUTE_PGM_RSRC2:TGID_X_EN: 1
; COMPUTE_PGM_RSRC2:TGID_Y_EN: 0
; COMPUTE_PGM_RSRC2:TGID_Z_EN: 0
; COMPUTE_PGM_RSRC2:TIDIG_COMP_CNT: 0
	.section	.text._ZN7rocprim17ROCPRIM_400000_NS6detail17trampoline_kernelINS0_13select_configILj256ELj13ELNS0_17block_load_methodE3ELS4_3ELS4_3ELNS0_20block_scan_algorithmE0ELj4294967295EEENS1_25partition_config_selectorILNS1_17partition_subalgoE3EjNS0_10empty_typeEbEEZZNS1_14partition_implILS8_3ELb0ES6_jNS0_17counting_iteratorIjlEEPS9_SE_NS0_5tupleIJPjSE_EEENSF_IJSE_SE_EEES9_SG_JZNS1_25segmented_radix_sort_implINS0_14default_configELb1EPKdPdPKlPlN2at6native12_GLOBAL__N_18offset_tEEE10hipError_tPvRmT1_PNSt15iterator_traitsISY_E10value_typeET2_T3_PNSZ_IS14_E10value_typeET4_jRbjT5_S1A_jjP12ihipStream_tbEUljE_EEESV_SW_SX_S14_S18_S1A_T6_T7_T9_mT8_S1C_bDpT10_ENKUlT_T0_E_clISt17integral_constantIbLb1EES1O_IbLb0EEEEDaS1K_S1L_EUlS1K_E_NS1_11comp_targetILNS1_3genE9ELNS1_11target_archE1100ELNS1_3gpuE3ELNS1_3repE0EEENS1_30default_config_static_selectorELNS0_4arch9wavefront6targetE0EEEvSY_,"axG",@progbits,_ZN7rocprim17ROCPRIM_400000_NS6detail17trampoline_kernelINS0_13select_configILj256ELj13ELNS0_17block_load_methodE3ELS4_3ELS4_3ELNS0_20block_scan_algorithmE0ELj4294967295EEENS1_25partition_config_selectorILNS1_17partition_subalgoE3EjNS0_10empty_typeEbEEZZNS1_14partition_implILS8_3ELb0ES6_jNS0_17counting_iteratorIjlEEPS9_SE_NS0_5tupleIJPjSE_EEENSF_IJSE_SE_EEES9_SG_JZNS1_25segmented_radix_sort_implINS0_14default_configELb1EPKdPdPKlPlN2at6native12_GLOBAL__N_18offset_tEEE10hipError_tPvRmT1_PNSt15iterator_traitsISY_E10value_typeET2_T3_PNSZ_IS14_E10value_typeET4_jRbjT5_S1A_jjP12ihipStream_tbEUljE_EEESV_SW_SX_S14_S18_S1A_T6_T7_T9_mT8_S1C_bDpT10_ENKUlT_T0_E_clISt17integral_constantIbLb1EES1O_IbLb0EEEEDaS1K_S1L_EUlS1K_E_NS1_11comp_targetILNS1_3genE9ELNS1_11target_archE1100ELNS1_3gpuE3ELNS1_3repE0EEENS1_30default_config_static_selectorELNS0_4arch9wavefront6targetE0EEEvSY_,comdat
	.globl	_ZN7rocprim17ROCPRIM_400000_NS6detail17trampoline_kernelINS0_13select_configILj256ELj13ELNS0_17block_load_methodE3ELS4_3ELS4_3ELNS0_20block_scan_algorithmE0ELj4294967295EEENS1_25partition_config_selectorILNS1_17partition_subalgoE3EjNS0_10empty_typeEbEEZZNS1_14partition_implILS8_3ELb0ES6_jNS0_17counting_iteratorIjlEEPS9_SE_NS0_5tupleIJPjSE_EEENSF_IJSE_SE_EEES9_SG_JZNS1_25segmented_radix_sort_implINS0_14default_configELb1EPKdPdPKlPlN2at6native12_GLOBAL__N_18offset_tEEE10hipError_tPvRmT1_PNSt15iterator_traitsISY_E10value_typeET2_T3_PNSZ_IS14_E10value_typeET4_jRbjT5_S1A_jjP12ihipStream_tbEUljE_EEESV_SW_SX_S14_S18_S1A_T6_T7_T9_mT8_S1C_bDpT10_ENKUlT_T0_E_clISt17integral_constantIbLb1EES1O_IbLb0EEEEDaS1K_S1L_EUlS1K_E_NS1_11comp_targetILNS1_3genE9ELNS1_11target_archE1100ELNS1_3gpuE3ELNS1_3repE0EEENS1_30default_config_static_selectorELNS0_4arch9wavefront6targetE0EEEvSY_ ; -- Begin function _ZN7rocprim17ROCPRIM_400000_NS6detail17trampoline_kernelINS0_13select_configILj256ELj13ELNS0_17block_load_methodE3ELS4_3ELS4_3ELNS0_20block_scan_algorithmE0ELj4294967295EEENS1_25partition_config_selectorILNS1_17partition_subalgoE3EjNS0_10empty_typeEbEEZZNS1_14partition_implILS8_3ELb0ES6_jNS0_17counting_iteratorIjlEEPS9_SE_NS0_5tupleIJPjSE_EEENSF_IJSE_SE_EEES9_SG_JZNS1_25segmented_radix_sort_implINS0_14default_configELb1EPKdPdPKlPlN2at6native12_GLOBAL__N_18offset_tEEE10hipError_tPvRmT1_PNSt15iterator_traitsISY_E10value_typeET2_T3_PNSZ_IS14_E10value_typeET4_jRbjT5_S1A_jjP12ihipStream_tbEUljE_EEESV_SW_SX_S14_S18_S1A_T6_T7_T9_mT8_S1C_bDpT10_ENKUlT_T0_E_clISt17integral_constantIbLb1EES1O_IbLb0EEEEDaS1K_S1L_EUlS1K_E_NS1_11comp_targetILNS1_3genE9ELNS1_11target_archE1100ELNS1_3gpuE3ELNS1_3repE0EEENS1_30default_config_static_selectorELNS0_4arch9wavefront6targetE0EEEvSY_
	.p2align	8
	.type	_ZN7rocprim17ROCPRIM_400000_NS6detail17trampoline_kernelINS0_13select_configILj256ELj13ELNS0_17block_load_methodE3ELS4_3ELS4_3ELNS0_20block_scan_algorithmE0ELj4294967295EEENS1_25partition_config_selectorILNS1_17partition_subalgoE3EjNS0_10empty_typeEbEEZZNS1_14partition_implILS8_3ELb0ES6_jNS0_17counting_iteratorIjlEEPS9_SE_NS0_5tupleIJPjSE_EEENSF_IJSE_SE_EEES9_SG_JZNS1_25segmented_radix_sort_implINS0_14default_configELb1EPKdPdPKlPlN2at6native12_GLOBAL__N_18offset_tEEE10hipError_tPvRmT1_PNSt15iterator_traitsISY_E10value_typeET2_T3_PNSZ_IS14_E10value_typeET4_jRbjT5_S1A_jjP12ihipStream_tbEUljE_EEESV_SW_SX_S14_S18_S1A_T6_T7_T9_mT8_S1C_bDpT10_ENKUlT_T0_E_clISt17integral_constantIbLb1EES1O_IbLb0EEEEDaS1K_S1L_EUlS1K_E_NS1_11comp_targetILNS1_3genE9ELNS1_11target_archE1100ELNS1_3gpuE3ELNS1_3repE0EEENS1_30default_config_static_selectorELNS0_4arch9wavefront6targetE0EEEvSY_,@function
_ZN7rocprim17ROCPRIM_400000_NS6detail17trampoline_kernelINS0_13select_configILj256ELj13ELNS0_17block_load_methodE3ELS4_3ELS4_3ELNS0_20block_scan_algorithmE0ELj4294967295EEENS1_25partition_config_selectorILNS1_17partition_subalgoE3EjNS0_10empty_typeEbEEZZNS1_14partition_implILS8_3ELb0ES6_jNS0_17counting_iteratorIjlEEPS9_SE_NS0_5tupleIJPjSE_EEENSF_IJSE_SE_EEES9_SG_JZNS1_25segmented_radix_sort_implINS0_14default_configELb1EPKdPdPKlPlN2at6native12_GLOBAL__N_18offset_tEEE10hipError_tPvRmT1_PNSt15iterator_traitsISY_E10value_typeET2_T3_PNSZ_IS14_E10value_typeET4_jRbjT5_S1A_jjP12ihipStream_tbEUljE_EEESV_SW_SX_S14_S18_S1A_T6_T7_T9_mT8_S1C_bDpT10_ENKUlT_T0_E_clISt17integral_constantIbLb1EES1O_IbLb0EEEEDaS1K_S1L_EUlS1K_E_NS1_11comp_targetILNS1_3genE9ELNS1_11target_archE1100ELNS1_3gpuE3ELNS1_3repE0EEENS1_30default_config_static_selectorELNS0_4arch9wavefront6targetE0EEEvSY_: ; @_ZN7rocprim17ROCPRIM_400000_NS6detail17trampoline_kernelINS0_13select_configILj256ELj13ELNS0_17block_load_methodE3ELS4_3ELS4_3ELNS0_20block_scan_algorithmE0ELj4294967295EEENS1_25partition_config_selectorILNS1_17partition_subalgoE3EjNS0_10empty_typeEbEEZZNS1_14partition_implILS8_3ELb0ES6_jNS0_17counting_iteratorIjlEEPS9_SE_NS0_5tupleIJPjSE_EEENSF_IJSE_SE_EEES9_SG_JZNS1_25segmented_radix_sort_implINS0_14default_configELb1EPKdPdPKlPlN2at6native12_GLOBAL__N_18offset_tEEE10hipError_tPvRmT1_PNSt15iterator_traitsISY_E10value_typeET2_T3_PNSZ_IS14_E10value_typeET4_jRbjT5_S1A_jjP12ihipStream_tbEUljE_EEESV_SW_SX_S14_S18_S1A_T6_T7_T9_mT8_S1C_bDpT10_ENKUlT_T0_E_clISt17integral_constantIbLb1EES1O_IbLb0EEEEDaS1K_S1L_EUlS1K_E_NS1_11comp_targetILNS1_3genE9ELNS1_11target_archE1100ELNS1_3gpuE3ELNS1_3repE0EEENS1_30default_config_static_selectorELNS0_4arch9wavefront6targetE0EEEvSY_
; %bb.0:
	.section	.rodata,"a",@progbits
	.p2align	6, 0x0
	.amdhsa_kernel _ZN7rocprim17ROCPRIM_400000_NS6detail17trampoline_kernelINS0_13select_configILj256ELj13ELNS0_17block_load_methodE3ELS4_3ELS4_3ELNS0_20block_scan_algorithmE0ELj4294967295EEENS1_25partition_config_selectorILNS1_17partition_subalgoE3EjNS0_10empty_typeEbEEZZNS1_14partition_implILS8_3ELb0ES6_jNS0_17counting_iteratorIjlEEPS9_SE_NS0_5tupleIJPjSE_EEENSF_IJSE_SE_EEES9_SG_JZNS1_25segmented_radix_sort_implINS0_14default_configELb1EPKdPdPKlPlN2at6native12_GLOBAL__N_18offset_tEEE10hipError_tPvRmT1_PNSt15iterator_traitsISY_E10value_typeET2_T3_PNSZ_IS14_E10value_typeET4_jRbjT5_S1A_jjP12ihipStream_tbEUljE_EEESV_SW_SX_S14_S18_S1A_T6_T7_T9_mT8_S1C_bDpT10_ENKUlT_T0_E_clISt17integral_constantIbLb1EES1O_IbLb0EEEEDaS1K_S1L_EUlS1K_E_NS1_11comp_targetILNS1_3genE9ELNS1_11target_archE1100ELNS1_3gpuE3ELNS1_3repE0EEENS1_30default_config_static_selectorELNS0_4arch9wavefront6targetE0EEEvSY_
		.amdhsa_group_segment_fixed_size 0
		.amdhsa_private_segment_fixed_size 0
		.amdhsa_kernarg_size 144
		.amdhsa_user_sgpr_count 6
		.amdhsa_user_sgpr_private_segment_buffer 1
		.amdhsa_user_sgpr_dispatch_ptr 0
		.amdhsa_user_sgpr_queue_ptr 0
		.amdhsa_user_sgpr_kernarg_segment_ptr 1
		.amdhsa_user_sgpr_dispatch_id 0
		.amdhsa_user_sgpr_flat_scratch_init 0
		.amdhsa_user_sgpr_private_segment_size 0
		.amdhsa_wavefront_size32 1
		.amdhsa_uses_dynamic_stack 0
		.amdhsa_system_sgpr_private_segment_wavefront_offset 0
		.amdhsa_system_sgpr_workgroup_id_x 1
		.amdhsa_system_sgpr_workgroup_id_y 0
		.amdhsa_system_sgpr_workgroup_id_z 0
		.amdhsa_system_sgpr_workgroup_info 0
		.amdhsa_system_vgpr_workitem_id 0
		.amdhsa_next_free_vgpr 1
		.amdhsa_next_free_sgpr 1
		.amdhsa_reserve_vcc 0
		.amdhsa_reserve_flat_scratch 0
		.amdhsa_float_round_mode_32 0
		.amdhsa_float_round_mode_16_64 0
		.amdhsa_float_denorm_mode_32 3
		.amdhsa_float_denorm_mode_16_64 3
		.amdhsa_dx10_clamp 1
		.amdhsa_ieee_mode 1
		.amdhsa_fp16_overflow 0
		.amdhsa_workgroup_processor_mode 1
		.amdhsa_memory_ordered 1
		.amdhsa_forward_progress 1
		.amdhsa_shared_vgpr_count 0
		.amdhsa_exception_fp_ieee_invalid_op 0
		.amdhsa_exception_fp_denorm_src 0
		.amdhsa_exception_fp_ieee_div_zero 0
		.amdhsa_exception_fp_ieee_overflow 0
		.amdhsa_exception_fp_ieee_underflow 0
		.amdhsa_exception_fp_ieee_inexact 0
		.amdhsa_exception_int_div_zero 0
	.end_amdhsa_kernel
	.section	.text._ZN7rocprim17ROCPRIM_400000_NS6detail17trampoline_kernelINS0_13select_configILj256ELj13ELNS0_17block_load_methodE3ELS4_3ELS4_3ELNS0_20block_scan_algorithmE0ELj4294967295EEENS1_25partition_config_selectorILNS1_17partition_subalgoE3EjNS0_10empty_typeEbEEZZNS1_14partition_implILS8_3ELb0ES6_jNS0_17counting_iteratorIjlEEPS9_SE_NS0_5tupleIJPjSE_EEENSF_IJSE_SE_EEES9_SG_JZNS1_25segmented_radix_sort_implINS0_14default_configELb1EPKdPdPKlPlN2at6native12_GLOBAL__N_18offset_tEEE10hipError_tPvRmT1_PNSt15iterator_traitsISY_E10value_typeET2_T3_PNSZ_IS14_E10value_typeET4_jRbjT5_S1A_jjP12ihipStream_tbEUljE_EEESV_SW_SX_S14_S18_S1A_T6_T7_T9_mT8_S1C_bDpT10_ENKUlT_T0_E_clISt17integral_constantIbLb1EES1O_IbLb0EEEEDaS1K_S1L_EUlS1K_E_NS1_11comp_targetILNS1_3genE9ELNS1_11target_archE1100ELNS1_3gpuE3ELNS1_3repE0EEENS1_30default_config_static_selectorELNS0_4arch9wavefront6targetE0EEEvSY_,"axG",@progbits,_ZN7rocprim17ROCPRIM_400000_NS6detail17trampoline_kernelINS0_13select_configILj256ELj13ELNS0_17block_load_methodE3ELS4_3ELS4_3ELNS0_20block_scan_algorithmE0ELj4294967295EEENS1_25partition_config_selectorILNS1_17partition_subalgoE3EjNS0_10empty_typeEbEEZZNS1_14partition_implILS8_3ELb0ES6_jNS0_17counting_iteratorIjlEEPS9_SE_NS0_5tupleIJPjSE_EEENSF_IJSE_SE_EEES9_SG_JZNS1_25segmented_radix_sort_implINS0_14default_configELb1EPKdPdPKlPlN2at6native12_GLOBAL__N_18offset_tEEE10hipError_tPvRmT1_PNSt15iterator_traitsISY_E10value_typeET2_T3_PNSZ_IS14_E10value_typeET4_jRbjT5_S1A_jjP12ihipStream_tbEUljE_EEESV_SW_SX_S14_S18_S1A_T6_T7_T9_mT8_S1C_bDpT10_ENKUlT_T0_E_clISt17integral_constantIbLb1EES1O_IbLb0EEEEDaS1K_S1L_EUlS1K_E_NS1_11comp_targetILNS1_3genE9ELNS1_11target_archE1100ELNS1_3gpuE3ELNS1_3repE0EEENS1_30default_config_static_selectorELNS0_4arch9wavefront6targetE0EEEvSY_,comdat
.Lfunc_end1100:
	.size	_ZN7rocprim17ROCPRIM_400000_NS6detail17trampoline_kernelINS0_13select_configILj256ELj13ELNS0_17block_load_methodE3ELS4_3ELS4_3ELNS0_20block_scan_algorithmE0ELj4294967295EEENS1_25partition_config_selectorILNS1_17partition_subalgoE3EjNS0_10empty_typeEbEEZZNS1_14partition_implILS8_3ELb0ES6_jNS0_17counting_iteratorIjlEEPS9_SE_NS0_5tupleIJPjSE_EEENSF_IJSE_SE_EEES9_SG_JZNS1_25segmented_radix_sort_implINS0_14default_configELb1EPKdPdPKlPlN2at6native12_GLOBAL__N_18offset_tEEE10hipError_tPvRmT1_PNSt15iterator_traitsISY_E10value_typeET2_T3_PNSZ_IS14_E10value_typeET4_jRbjT5_S1A_jjP12ihipStream_tbEUljE_EEESV_SW_SX_S14_S18_S1A_T6_T7_T9_mT8_S1C_bDpT10_ENKUlT_T0_E_clISt17integral_constantIbLb1EES1O_IbLb0EEEEDaS1K_S1L_EUlS1K_E_NS1_11comp_targetILNS1_3genE9ELNS1_11target_archE1100ELNS1_3gpuE3ELNS1_3repE0EEENS1_30default_config_static_selectorELNS0_4arch9wavefront6targetE0EEEvSY_, .Lfunc_end1100-_ZN7rocprim17ROCPRIM_400000_NS6detail17trampoline_kernelINS0_13select_configILj256ELj13ELNS0_17block_load_methodE3ELS4_3ELS4_3ELNS0_20block_scan_algorithmE0ELj4294967295EEENS1_25partition_config_selectorILNS1_17partition_subalgoE3EjNS0_10empty_typeEbEEZZNS1_14partition_implILS8_3ELb0ES6_jNS0_17counting_iteratorIjlEEPS9_SE_NS0_5tupleIJPjSE_EEENSF_IJSE_SE_EEES9_SG_JZNS1_25segmented_radix_sort_implINS0_14default_configELb1EPKdPdPKlPlN2at6native12_GLOBAL__N_18offset_tEEE10hipError_tPvRmT1_PNSt15iterator_traitsISY_E10value_typeET2_T3_PNSZ_IS14_E10value_typeET4_jRbjT5_S1A_jjP12ihipStream_tbEUljE_EEESV_SW_SX_S14_S18_S1A_T6_T7_T9_mT8_S1C_bDpT10_ENKUlT_T0_E_clISt17integral_constantIbLb1EES1O_IbLb0EEEEDaS1K_S1L_EUlS1K_E_NS1_11comp_targetILNS1_3genE9ELNS1_11target_archE1100ELNS1_3gpuE3ELNS1_3repE0EEENS1_30default_config_static_selectorELNS0_4arch9wavefront6targetE0EEEvSY_
                                        ; -- End function
	.set _ZN7rocprim17ROCPRIM_400000_NS6detail17trampoline_kernelINS0_13select_configILj256ELj13ELNS0_17block_load_methodE3ELS4_3ELS4_3ELNS0_20block_scan_algorithmE0ELj4294967295EEENS1_25partition_config_selectorILNS1_17partition_subalgoE3EjNS0_10empty_typeEbEEZZNS1_14partition_implILS8_3ELb0ES6_jNS0_17counting_iteratorIjlEEPS9_SE_NS0_5tupleIJPjSE_EEENSF_IJSE_SE_EEES9_SG_JZNS1_25segmented_radix_sort_implINS0_14default_configELb1EPKdPdPKlPlN2at6native12_GLOBAL__N_18offset_tEEE10hipError_tPvRmT1_PNSt15iterator_traitsISY_E10value_typeET2_T3_PNSZ_IS14_E10value_typeET4_jRbjT5_S1A_jjP12ihipStream_tbEUljE_EEESV_SW_SX_S14_S18_S1A_T6_T7_T9_mT8_S1C_bDpT10_ENKUlT_T0_E_clISt17integral_constantIbLb1EES1O_IbLb0EEEEDaS1K_S1L_EUlS1K_E_NS1_11comp_targetILNS1_3genE9ELNS1_11target_archE1100ELNS1_3gpuE3ELNS1_3repE0EEENS1_30default_config_static_selectorELNS0_4arch9wavefront6targetE0EEEvSY_.num_vgpr, 0
	.set _ZN7rocprim17ROCPRIM_400000_NS6detail17trampoline_kernelINS0_13select_configILj256ELj13ELNS0_17block_load_methodE3ELS4_3ELS4_3ELNS0_20block_scan_algorithmE0ELj4294967295EEENS1_25partition_config_selectorILNS1_17partition_subalgoE3EjNS0_10empty_typeEbEEZZNS1_14partition_implILS8_3ELb0ES6_jNS0_17counting_iteratorIjlEEPS9_SE_NS0_5tupleIJPjSE_EEENSF_IJSE_SE_EEES9_SG_JZNS1_25segmented_radix_sort_implINS0_14default_configELb1EPKdPdPKlPlN2at6native12_GLOBAL__N_18offset_tEEE10hipError_tPvRmT1_PNSt15iterator_traitsISY_E10value_typeET2_T3_PNSZ_IS14_E10value_typeET4_jRbjT5_S1A_jjP12ihipStream_tbEUljE_EEESV_SW_SX_S14_S18_S1A_T6_T7_T9_mT8_S1C_bDpT10_ENKUlT_T0_E_clISt17integral_constantIbLb1EES1O_IbLb0EEEEDaS1K_S1L_EUlS1K_E_NS1_11comp_targetILNS1_3genE9ELNS1_11target_archE1100ELNS1_3gpuE3ELNS1_3repE0EEENS1_30default_config_static_selectorELNS0_4arch9wavefront6targetE0EEEvSY_.num_agpr, 0
	.set _ZN7rocprim17ROCPRIM_400000_NS6detail17trampoline_kernelINS0_13select_configILj256ELj13ELNS0_17block_load_methodE3ELS4_3ELS4_3ELNS0_20block_scan_algorithmE0ELj4294967295EEENS1_25partition_config_selectorILNS1_17partition_subalgoE3EjNS0_10empty_typeEbEEZZNS1_14partition_implILS8_3ELb0ES6_jNS0_17counting_iteratorIjlEEPS9_SE_NS0_5tupleIJPjSE_EEENSF_IJSE_SE_EEES9_SG_JZNS1_25segmented_radix_sort_implINS0_14default_configELb1EPKdPdPKlPlN2at6native12_GLOBAL__N_18offset_tEEE10hipError_tPvRmT1_PNSt15iterator_traitsISY_E10value_typeET2_T3_PNSZ_IS14_E10value_typeET4_jRbjT5_S1A_jjP12ihipStream_tbEUljE_EEESV_SW_SX_S14_S18_S1A_T6_T7_T9_mT8_S1C_bDpT10_ENKUlT_T0_E_clISt17integral_constantIbLb1EES1O_IbLb0EEEEDaS1K_S1L_EUlS1K_E_NS1_11comp_targetILNS1_3genE9ELNS1_11target_archE1100ELNS1_3gpuE3ELNS1_3repE0EEENS1_30default_config_static_selectorELNS0_4arch9wavefront6targetE0EEEvSY_.numbered_sgpr, 0
	.set _ZN7rocprim17ROCPRIM_400000_NS6detail17trampoline_kernelINS0_13select_configILj256ELj13ELNS0_17block_load_methodE3ELS4_3ELS4_3ELNS0_20block_scan_algorithmE0ELj4294967295EEENS1_25partition_config_selectorILNS1_17partition_subalgoE3EjNS0_10empty_typeEbEEZZNS1_14partition_implILS8_3ELb0ES6_jNS0_17counting_iteratorIjlEEPS9_SE_NS0_5tupleIJPjSE_EEENSF_IJSE_SE_EEES9_SG_JZNS1_25segmented_radix_sort_implINS0_14default_configELb1EPKdPdPKlPlN2at6native12_GLOBAL__N_18offset_tEEE10hipError_tPvRmT1_PNSt15iterator_traitsISY_E10value_typeET2_T3_PNSZ_IS14_E10value_typeET4_jRbjT5_S1A_jjP12ihipStream_tbEUljE_EEESV_SW_SX_S14_S18_S1A_T6_T7_T9_mT8_S1C_bDpT10_ENKUlT_T0_E_clISt17integral_constantIbLb1EES1O_IbLb0EEEEDaS1K_S1L_EUlS1K_E_NS1_11comp_targetILNS1_3genE9ELNS1_11target_archE1100ELNS1_3gpuE3ELNS1_3repE0EEENS1_30default_config_static_selectorELNS0_4arch9wavefront6targetE0EEEvSY_.num_named_barrier, 0
	.set _ZN7rocprim17ROCPRIM_400000_NS6detail17trampoline_kernelINS0_13select_configILj256ELj13ELNS0_17block_load_methodE3ELS4_3ELS4_3ELNS0_20block_scan_algorithmE0ELj4294967295EEENS1_25partition_config_selectorILNS1_17partition_subalgoE3EjNS0_10empty_typeEbEEZZNS1_14partition_implILS8_3ELb0ES6_jNS0_17counting_iteratorIjlEEPS9_SE_NS0_5tupleIJPjSE_EEENSF_IJSE_SE_EEES9_SG_JZNS1_25segmented_radix_sort_implINS0_14default_configELb1EPKdPdPKlPlN2at6native12_GLOBAL__N_18offset_tEEE10hipError_tPvRmT1_PNSt15iterator_traitsISY_E10value_typeET2_T3_PNSZ_IS14_E10value_typeET4_jRbjT5_S1A_jjP12ihipStream_tbEUljE_EEESV_SW_SX_S14_S18_S1A_T6_T7_T9_mT8_S1C_bDpT10_ENKUlT_T0_E_clISt17integral_constantIbLb1EES1O_IbLb0EEEEDaS1K_S1L_EUlS1K_E_NS1_11comp_targetILNS1_3genE9ELNS1_11target_archE1100ELNS1_3gpuE3ELNS1_3repE0EEENS1_30default_config_static_selectorELNS0_4arch9wavefront6targetE0EEEvSY_.private_seg_size, 0
	.set _ZN7rocprim17ROCPRIM_400000_NS6detail17trampoline_kernelINS0_13select_configILj256ELj13ELNS0_17block_load_methodE3ELS4_3ELS4_3ELNS0_20block_scan_algorithmE0ELj4294967295EEENS1_25partition_config_selectorILNS1_17partition_subalgoE3EjNS0_10empty_typeEbEEZZNS1_14partition_implILS8_3ELb0ES6_jNS0_17counting_iteratorIjlEEPS9_SE_NS0_5tupleIJPjSE_EEENSF_IJSE_SE_EEES9_SG_JZNS1_25segmented_radix_sort_implINS0_14default_configELb1EPKdPdPKlPlN2at6native12_GLOBAL__N_18offset_tEEE10hipError_tPvRmT1_PNSt15iterator_traitsISY_E10value_typeET2_T3_PNSZ_IS14_E10value_typeET4_jRbjT5_S1A_jjP12ihipStream_tbEUljE_EEESV_SW_SX_S14_S18_S1A_T6_T7_T9_mT8_S1C_bDpT10_ENKUlT_T0_E_clISt17integral_constantIbLb1EES1O_IbLb0EEEEDaS1K_S1L_EUlS1K_E_NS1_11comp_targetILNS1_3genE9ELNS1_11target_archE1100ELNS1_3gpuE3ELNS1_3repE0EEENS1_30default_config_static_selectorELNS0_4arch9wavefront6targetE0EEEvSY_.uses_vcc, 0
	.set _ZN7rocprim17ROCPRIM_400000_NS6detail17trampoline_kernelINS0_13select_configILj256ELj13ELNS0_17block_load_methodE3ELS4_3ELS4_3ELNS0_20block_scan_algorithmE0ELj4294967295EEENS1_25partition_config_selectorILNS1_17partition_subalgoE3EjNS0_10empty_typeEbEEZZNS1_14partition_implILS8_3ELb0ES6_jNS0_17counting_iteratorIjlEEPS9_SE_NS0_5tupleIJPjSE_EEENSF_IJSE_SE_EEES9_SG_JZNS1_25segmented_radix_sort_implINS0_14default_configELb1EPKdPdPKlPlN2at6native12_GLOBAL__N_18offset_tEEE10hipError_tPvRmT1_PNSt15iterator_traitsISY_E10value_typeET2_T3_PNSZ_IS14_E10value_typeET4_jRbjT5_S1A_jjP12ihipStream_tbEUljE_EEESV_SW_SX_S14_S18_S1A_T6_T7_T9_mT8_S1C_bDpT10_ENKUlT_T0_E_clISt17integral_constantIbLb1EES1O_IbLb0EEEEDaS1K_S1L_EUlS1K_E_NS1_11comp_targetILNS1_3genE9ELNS1_11target_archE1100ELNS1_3gpuE3ELNS1_3repE0EEENS1_30default_config_static_selectorELNS0_4arch9wavefront6targetE0EEEvSY_.uses_flat_scratch, 0
	.set _ZN7rocprim17ROCPRIM_400000_NS6detail17trampoline_kernelINS0_13select_configILj256ELj13ELNS0_17block_load_methodE3ELS4_3ELS4_3ELNS0_20block_scan_algorithmE0ELj4294967295EEENS1_25partition_config_selectorILNS1_17partition_subalgoE3EjNS0_10empty_typeEbEEZZNS1_14partition_implILS8_3ELb0ES6_jNS0_17counting_iteratorIjlEEPS9_SE_NS0_5tupleIJPjSE_EEENSF_IJSE_SE_EEES9_SG_JZNS1_25segmented_radix_sort_implINS0_14default_configELb1EPKdPdPKlPlN2at6native12_GLOBAL__N_18offset_tEEE10hipError_tPvRmT1_PNSt15iterator_traitsISY_E10value_typeET2_T3_PNSZ_IS14_E10value_typeET4_jRbjT5_S1A_jjP12ihipStream_tbEUljE_EEESV_SW_SX_S14_S18_S1A_T6_T7_T9_mT8_S1C_bDpT10_ENKUlT_T0_E_clISt17integral_constantIbLb1EES1O_IbLb0EEEEDaS1K_S1L_EUlS1K_E_NS1_11comp_targetILNS1_3genE9ELNS1_11target_archE1100ELNS1_3gpuE3ELNS1_3repE0EEENS1_30default_config_static_selectorELNS0_4arch9wavefront6targetE0EEEvSY_.has_dyn_sized_stack, 0
	.set _ZN7rocprim17ROCPRIM_400000_NS6detail17trampoline_kernelINS0_13select_configILj256ELj13ELNS0_17block_load_methodE3ELS4_3ELS4_3ELNS0_20block_scan_algorithmE0ELj4294967295EEENS1_25partition_config_selectorILNS1_17partition_subalgoE3EjNS0_10empty_typeEbEEZZNS1_14partition_implILS8_3ELb0ES6_jNS0_17counting_iteratorIjlEEPS9_SE_NS0_5tupleIJPjSE_EEENSF_IJSE_SE_EEES9_SG_JZNS1_25segmented_radix_sort_implINS0_14default_configELb1EPKdPdPKlPlN2at6native12_GLOBAL__N_18offset_tEEE10hipError_tPvRmT1_PNSt15iterator_traitsISY_E10value_typeET2_T3_PNSZ_IS14_E10value_typeET4_jRbjT5_S1A_jjP12ihipStream_tbEUljE_EEESV_SW_SX_S14_S18_S1A_T6_T7_T9_mT8_S1C_bDpT10_ENKUlT_T0_E_clISt17integral_constantIbLb1EES1O_IbLb0EEEEDaS1K_S1L_EUlS1K_E_NS1_11comp_targetILNS1_3genE9ELNS1_11target_archE1100ELNS1_3gpuE3ELNS1_3repE0EEENS1_30default_config_static_selectorELNS0_4arch9wavefront6targetE0EEEvSY_.has_recursion, 0
	.set _ZN7rocprim17ROCPRIM_400000_NS6detail17trampoline_kernelINS0_13select_configILj256ELj13ELNS0_17block_load_methodE3ELS4_3ELS4_3ELNS0_20block_scan_algorithmE0ELj4294967295EEENS1_25partition_config_selectorILNS1_17partition_subalgoE3EjNS0_10empty_typeEbEEZZNS1_14partition_implILS8_3ELb0ES6_jNS0_17counting_iteratorIjlEEPS9_SE_NS0_5tupleIJPjSE_EEENSF_IJSE_SE_EEES9_SG_JZNS1_25segmented_radix_sort_implINS0_14default_configELb1EPKdPdPKlPlN2at6native12_GLOBAL__N_18offset_tEEE10hipError_tPvRmT1_PNSt15iterator_traitsISY_E10value_typeET2_T3_PNSZ_IS14_E10value_typeET4_jRbjT5_S1A_jjP12ihipStream_tbEUljE_EEESV_SW_SX_S14_S18_S1A_T6_T7_T9_mT8_S1C_bDpT10_ENKUlT_T0_E_clISt17integral_constantIbLb1EES1O_IbLb0EEEEDaS1K_S1L_EUlS1K_E_NS1_11comp_targetILNS1_3genE9ELNS1_11target_archE1100ELNS1_3gpuE3ELNS1_3repE0EEENS1_30default_config_static_selectorELNS0_4arch9wavefront6targetE0EEEvSY_.has_indirect_call, 0
	.section	.AMDGPU.csdata,"",@progbits
; Kernel info:
; codeLenInByte = 0
; TotalNumSgprs: 0
; NumVgprs: 0
; ScratchSize: 0
; MemoryBound: 0
; FloatMode: 240
; IeeeMode: 1
; LDSByteSize: 0 bytes/workgroup (compile time only)
; SGPRBlocks: 0
; VGPRBlocks: 0
; NumSGPRsForWavesPerEU: 1
; NumVGPRsForWavesPerEU: 1
; Occupancy: 16
; WaveLimiterHint : 0
; COMPUTE_PGM_RSRC2:SCRATCH_EN: 0
; COMPUTE_PGM_RSRC2:USER_SGPR: 6
; COMPUTE_PGM_RSRC2:TRAP_HANDLER: 0
; COMPUTE_PGM_RSRC2:TGID_X_EN: 1
; COMPUTE_PGM_RSRC2:TGID_Y_EN: 0
; COMPUTE_PGM_RSRC2:TGID_Z_EN: 0
; COMPUTE_PGM_RSRC2:TIDIG_COMP_CNT: 0
	.section	.text._ZN7rocprim17ROCPRIM_400000_NS6detail17trampoline_kernelINS0_13select_configILj256ELj13ELNS0_17block_load_methodE3ELS4_3ELS4_3ELNS0_20block_scan_algorithmE0ELj4294967295EEENS1_25partition_config_selectorILNS1_17partition_subalgoE3EjNS0_10empty_typeEbEEZZNS1_14partition_implILS8_3ELb0ES6_jNS0_17counting_iteratorIjlEEPS9_SE_NS0_5tupleIJPjSE_EEENSF_IJSE_SE_EEES9_SG_JZNS1_25segmented_radix_sort_implINS0_14default_configELb1EPKdPdPKlPlN2at6native12_GLOBAL__N_18offset_tEEE10hipError_tPvRmT1_PNSt15iterator_traitsISY_E10value_typeET2_T3_PNSZ_IS14_E10value_typeET4_jRbjT5_S1A_jjP12ihipStream_tbEUljE_EEESV_SW_SX_S14_S18_S1A_T6_T7_T9_mT8_S1C_bDpT10_ENKUlT_T0_E_clISt17integral_constantIbLb1EES1O_IbLb0EEEEDaS1K_S1L_EUlS1K_E_NS1_11comp_targetILNS1_3genE8ELNS1_11target_archE1030ELNS1_3gpuE2ELNS1_3repE0EEENS1_30default_config_static_selectorELNS0_4arch9wavefront6targetE0EEEvSY_,"axG",@progbits,_ZN7rocprim17ROCPRIM_400000_NS6detail17trampoline_kernelINS0_13select_configILj256ELj13ELNS0_17block_load_methodE3ELS4_3ELS4_3ELNS0_20block_scan_algorithmE0ELj4294967295EEENS1_25partition_config_selectorILNS1_17partition_subalgoE3EjNS0_10empty_typeEbEEZZNS1_14partition_implILS8_3ELb0ES6_jNS0_17counting_iteratorIjlEEPS9_SE_NS0_5tupleIJPjSE_EEENSF_IJSE_SE_EEES9_SG_JZNS1_25segmented_radix_sort_implINS0_14default_configELb1EPKdPdPKlPlN2at6native12_GLOBAL__N_18offset_tEEE10hipError_tPvRmT1_PNSt15iterator_traitsISY_E10value_typeET2_T3_PNSZ_IS14_E10value_typeET4_jRbjT5_S1A_jjP12ihipStream_tbEUljE_EEESV_SW_SX_S14_S18_S1A_T6_T7_T9_mT8_S1C_bDpT10_ENKUlT_T0_E_clISt17integral_constantIbLb1EES1O_IbLb0EEEEDaS1K_S1L_EUlS1K_E_NS1_11comp_targetILNS1_3genE8ELNS1_11target_archE1030ELNS1_3gpuE2ELNS1_3repE0EEENS1_30default_config_static_selectorELNS0_4arch9wavefront6targetE0EEEvSY_,comdat
	.globl	_ZN7rocprim17ROCPRIM_400000_NS6detail17trampoline_kernelINS0_13select_configILj256ELj13ELNS0_17block_load_methodE3ELS4_3ELS4_3ELNS0_20block_scan_algorithmE0ELj4294967295EEENS1_25partition_config_selectorILNS1_17partition_subalgoE3EjNS0_10empty_typeEbEEZZNS1_14partition_implILS8_3ELb0ES6_jNS0_17counting_iteratorIjlEEPS9_SE_NS0_5tupleIJPjSE_EEENSF_IJSE_SE_EEES9_SG_JZNS1_25segmented_radix_sort_implINS0_14default_configELb1EPKdPdPKlPlN2at6native12_GLOBAL__N_18offset_tEEE10hipError_tPvRmT1_PNSt15iterator_traitsISY_E10value_typeET2_T3_PNSZ_IS14_E10value_typeET4_jRbjT5_S1A_jjP12ihipStream_tbEUljE_EEESV_SW_SX_S14_S18_S1A_T6_T7_T9_mT8_S1C_bDpT10_ENKUlT_T0_E_clISt17integral_constantIbLb1EES1O_IbLb0EEEEDaS1K_S1L_EUlS1K_E_NS1_11comp_targetILNS1_3genE8ELNS1_11target_archE1030ELNS1_3gpuE2ELNS1_3repE0EEENS1_30default_config_static_selectorELNS0_4arch9wavefront6targetE0EEEvSY_ ; -- Begin function _ZN7rocprim17ROCPRIM_400000_NS6detail17trampoline_kernelINS0_13select_configILj256ELj13ELNS0_17block_load_methodE3ELS4_3ELS4_3ELNS0_20block_scan_algorithmE0ELj4294967295EEENS1_25partition_config_selectorILNS1_17partition_subalgoE3EjNS0_10empty_typeEbEEZZNS1_14partition_implILS8_3ELb0ES6_jNS0_17counting_iteratorIjlEEPS9_SE_NS0_5tupleIJPjSE_EEENSF_IJSE_SE_EEES9_SG_JZNS1_25segmented_radix_sort_implINS0_14default_configELb1EPKdPdPKlPlN2at6native12_GLOBAL__N_18offset_tEEE10hipError_tPvRmT1_PNSt15iterator_traitsISY_E10value_typeET2_T3_PNSZ_IS14_E10value_typeET4_jRbjT5_S1A_jjP12ihipStream_tbEUljE_EEESV_SW_SX_S14_S18_S1A_T6_T7_T9_mT8_S1C_bDpT10_ENKUlT_T0_E_clISt17integral_constantIbLb1EES1O_IbLb0EEEEDaS1K_S1L_EUlS1K_E_NS1_11comp_targetILNS1_3genE8ELNS1_11target_archE1030ELNS1_3gpuE2ELNS1_3repE0EEENS1_30default_config_static_selectorELNS0_4arch9wavefront6targetE0EEEvSY_
	.p2align	8
	.type	_ZN7rocprim17ROCPRIM_400000_NS6detail17trampoline_kernelINS0_13select_configILj256ELj13ELNS0_17block_load_methodE3ELS4_3ELS4_3ELNS0_20block_scan_algorithmE0ELj4294967295EEENS1_25partition_config_selectorILNS1_17partition_subalgoE3EjNS0_10empty_typeEbEEZZNS1_14partition_implILS8_3ELb0ES6_jNS0_17counting_iteratorIjlEEPS9_SE_NS0_5tupleIJPjSE_EEENSF_IJSE_SE_EEES9_SG_JZNS1_25segmented_radix_sort_implINS0_14default_configELb1EPKdPdPKlPlN2at6native12_GLOBAL__N_18offset_tEEE10hipError_tPvRmT1_PNSt15iterator_traitsISY_E10value_typeET2_T3_PNSZ_IS14_E10value_typeET4_jRbjT5_S1A_jjP12ihipStream_tbEUljE_EEESV_SW_SX_S14_S18_S1A_T6_T7_T9_mT8_S1C_bDpT10_ENKUlT_T0_E_clISt17integral_constantIbLb1EES1O_IbLb0EEEEDaS1K_S1L_EUlS1K_E_NS1_11comp_targetILNS1_3genE8ELNS1_11target_archE1030ELNS1_3gpuE2ELNS1_3repE0EEENS1_30default_config_static_selectorELNS0_4arch9wavefront6targetE0EEEvSY_,@function
_ZN7rocprim17ROCPRIM_400000_NS6detail17trampoline_kernelINS0_13select_configILj256ELj13ELNS0_17block_load_methodE3ELS4_3ELS4_3ELNS0_20block_scan_algorithmE0ELj4294967295EEENS1_25partition_config_selectorILNS1_17partition_subalgoE3EjNS0_10empty_typeEbEEZZNS1_14partition_implILS8_3ELb0ES6_jNS0_17counting_iteratorIjlEEPS9_SE_NS0_5tupleIJPjSE_EEENSF_IJSE_SE_EEES9_SG_JZNS1_25segmented_radix_sort_implINS0_14default_configELb1EPKdPdPKlPlN2at6native12_GLOBAL__N_18offset_tEEE10hipError_tPvRmT1_PNSt15iterator_traitsISY_E10value_typeET2_T3_PNSZ_IS14_E10value_typeET4_jRbjT5_S1A_jjP12ihipStream_tbEUljE_EEESV_SW_SX_S14_S18_S1A_T6_T7_T9_mT8_S1C_bDpT10_ENKUlT_T0_E_clISt17integral_constantIbLb1EES1O_IbLb0EEEEDaS1K_S1L_EUlS1K_E_NS1_11comp_targetILNS1_3genE8ELNS1_11target_archE1030ELNS1_3gpuE2ELNS1_3repE0EEENS1_30default_config_static_selectorELNS0_4arch9wavefront6targetE0EEEvSY_: ; @_ZN7rocprim17ROCPRIM_400000_NS6detail17trampoline_kernelINS0_13select_configILj256ELj13ELNS0_17block_load_methodE3ELS4_3ELS4_3ELNS0_20block_scan_algorithmE0ELj4294967295EEENS1_25partition_config_selectorILNS1_17partition_subalgoE3EjNS0_10empty_typeEbEEZZNS1_14partition_implILS8_3ELb0ES6_jNS0_17counting_iteratorIjlEEPS9_SE_NS0_5tupleIJPjSE_EEENSF_IJSE_SE_EEES9_SG_JZNS1_25segmented_radix_sort_implINS0_14default_configELb1EPKdPdPKlPlN2at6native12_GLOBAL__N_18offset_tEEE10hipError_tPvRmT1_PNSt15iterator_traitsISY_E10value_typeET2_T3_PNSZ_IS14_E10value_typeET4_jRbjT5_S1A_jjP12ihipStream_tbEUljE_EEESV_SW_SX_S14_S18_S1A_T6_T7_T9_mT8_S1C_bDpT10_ENKUlT_T0_E_clISt17integral_constantIbLb1EES1O_IbLb0EEEEDaS1K_S1L_EUlS1K_E_NS1_11comp_targetILNS1_3genE8ELNS1_11target_archE1030ELNS1_3gpuE2ELNS1_3repE0EEENS1_30default_config_static_selectorELNS0_4arch9wavefront6targetE0EEEvSY_
; %bb.0:
	s_endpgm
	.section	.rodata,"a",@progbits
	.p2align	6, 0x0
	.amdhsa_kernel _ZN7rocprim17ROCPRIM_400000_NS6detail17trampoline_kernelINS0_13select_configILj256ELj13ELNS0_17block_load_methodE3ELS4_3ELS4_3ELNS0_20block_scan_algorithmE0ELj4294967295EEENS1_25partition_config_selectorILNS1_17partition_subalgoE3EjNS0_10empty_typeEbEEZZNS1_14partition_implILS8_3ELb0ES6_jNS0_17counting_iteratorIjlEEPS9_SE_NS0_5tupleIJPjSE_EEENSF_IJSE_SE_EEES9_SG_JZNS1_25segmented_radix_sort_implINS0_14default_configELb1EPKdPdPKlPlN2at6native12_GLOBAL__N_18offset_tEEE10hipError_tPvRmT1_PNSt15iterator_traitsISY_E10value_typeET2_T3_PNSZ_IS14_E10value_typeET4_jRbjT5_S1A_jjP12ihipStream_tbEUljE_EEESV_SW_SX_S14_S18_S1A_T6_T7_T9_mT8_S1C_bDpT10_ENKUlT_T0_E_clISt17integral_constantIbLb1EES1O_IbLb0EEEEDaS1K_S1L_EUlS1K_E_NS1_11comp_targetILNS1_3genE8ELNS1_11target_archE1030ELNS1_3gpuE2ELNS1_3repE0EEENS1_30default_config_static_selectorELNS0_4arch9wavefront6targetE0EEEvSY_
		.amdhsa_group_segment_fixed_size 0
		.amdhsa_private_segment_fixed_size 0
		.amdhsa_kernarg_size 144
		.amdhsa_user_sgpr_count 6
		.amdhsa_user_sgpr_private_segment_buffer 1
		.amdhsa_user_sgpr_dispatch_ptr 0
		.amdhsa_user_sgpr_queue_ptr 0
		.amdhsa_user_sgpr_kernarg_segment_ptr 1
		.amdhsa_user_sgpr_dispatch_id 0
		.amdhsa_user_sgpr_flat_scratch_init 0
		.amdhsa_user_sgpr_private_segment_size 0
		.amdhsa_wavefront_size32 1
		.amdhsa_uses_dynamic_stack 0
		.amdhsa_system_sgpr_private_segment_wavefront_offset 0
		.amdhsa_system_sgpr_workgroup_id_x 1
		.amdhsa_system_sgpr_workgroup_id_y 0
		.amdhsa_system_sgpr_workgroup_id_z 0
		.amdhsa_system_sgpr_workgroup_info 0
		.amdhsa_system_vgpr_workitem_id 0
		.amdhsa_next_free_vgpr 1
		.amdhsa_next_free_sgpr 1
		.amdhsa_reserve_vcc 0
		.amdhsa_reserve_flat_scratch 0
		.amdhsa_float_round_mode_32 0
		.amdhsa_float_round_mode_16_64 0
		.amdhsa_float_denorm_mode_32 3
		.amdhsa_float_denorm_mode_16_64 3
		.amdhsa_dx10_clamp 1
		.amdhsa_ieee_mode 1
		.amdhsa_fp16_overflow 0
		.amdhsa_workgroup_processor_mode 1
		.amdhsa_memory_ordered 1
		.amdhsa_forward_progress 1
		.amdhsa_shared_vgpr_count 0
		.amdhsa_exception_fp_ieee_invalid_op 0
		.amdhsa_exception_fp_denorm_src 0
		.amdhsa_exception_fp_ieee_div_zero 0
		.amdhsa_exception_fp_ieee_overflow 0
		.amdhsa_exception_fp_ieee_underflow 0
		.amdhsa_exception_fp_ieee_inexact 0
		.amdhsa_exception_int_div_zero 0
	.end_amdhsa_kernel
	.section	.text._ZN7rocprim17ROCPRIM_400000_NS6detail17trampoline_kernelINS0_13select_configILj256ELj13ELNS0_17block_load_methodE3ELS4_3ELS4_3ELNS0_20block_scan_algorithmE0ELj4294967295EEENS1_25partition_config_selectorILNS1_17partition_subalgoE3EjNS0_10empty_typeEbEEZZNS1_14partition_implILS8_3ELb0ES6_jNS0_17counting_iteratorIjlEEPS9_SE_NS0_5tupleIJPjSE_EEENSF_IJSE_SE_EEES9_SG_JZNS1_25segmented_radix_sort_implINS0_14default_configELb1EPKdPdPKlPlN2at6native12_GLOBAL__N_18offset_tEEE10hipError_tPvRmT1_PNSt15iterator_traitsISY_E10value_typeET2_T3_PNSZ_IS14_E10value_typeET4_jRbjT5_S1A_jjP12ihipStream_tbEUljE_EEESV_SW_SX_S14_S18_S1A_T6_T7_T9_mT8_S1C_bDpT10_ENKUlT_T0_E_clISt17integral_constantIbLb1EES1O_IbLb0EEEEDaS1K_S1L_EUlS1K_E_NS1_11comp_targetILNS1_3genE8ELNS1_11target_archE1030ELNS1_3gpuE2ELNS1_3repE0EEENS1_30default_config_static_selectorELNS0_4arch9wavefront6targetE0EEEvSY_,"axG",@progbits,_ZN7rocprim17ROCPRIM_400000_NS6detail17trampoline_kernelINS0_13select_configILj256ELj13ELNS0_17block_load_methodE3ELS4_3ELS4_3ELNS0_20block_scan_algorithmE0ELj4294967295EEENS1_25partition_config_selectorILNS1_17partition_subalgoE3EjNS0_10empty_typeEbEEZZNS1_14partition_implILS8_3ELb0ES6_jNS0_17counting_iteratorIjlEEPS9_SE_NS0_5tupleIJPjSE_EEENSF_IJSE_SE_EEES9_SG_JZNS1_25segmented_radix_sort_implINS0_14default_configELb1EPKdPdPKlPlN2at6native12_GLOBAL__N_18offset_tEEE10hipError_tPvRmT1_PNSt15iterator_traitsISY_E10value_typeET2_T3_PNSZ_IS14_E10value_typeET4_jRbjT5_S1A_jjP12ihipStream_tbEUljE_EEESV_SW_SX_S14_S18_S1A_T6_T7_T9_mT8_S1C_bDpT10_ENKUlT_T0_E_clISt17integral_constantIbLb1EES1O_IbLb0EEEEDaS1K_S1L_EUlS1K_E_NS1_11comp_targetILNS1_3genE8ELNS1_11target_archE1030ELNS1_3gpuE2ELNS1_3repE0EEENS1_30default_config_static_selectorELNS0_4arch9wavefront6targetE0EEEvSY_,comdat
.Lfunc_end1101:
	.size	_ZN7rocprim17ROCPRIM_400000_NS6detail17trampoline_kernelINS0_13select_configILj256ELj13ELNS0_17block_load_methodE3ELS4_3ELS4_3ELNS0_20block_scan_algorithmE0ELj4294967295EEENS1_25partition_config_selectorILNS1_17partition_subalgoE3EjNS0_10empty_typeEbEEZZNS1_14partition_implILS8_3ELb0ES6_jNS0_17counting_iteratorIjlEEPS9_SE_NS0_5tupleIJPjSE_EEENSF_IJSE_SE_EEES9_SG_JZNS1_25segmented_radix_sort_implINS0_14default_configELb1EPKdPdPKlPlN2at6native12_GLOBAL__N_18offset_tEEE10hipError_tPvRmT1_PNSt15iterator_traitsISY_E10value_typeET2_T3_PNSZ_IS14_E10value_typeET4_jRbjT5_S1A_jjP12ihipStream_tbEUljE_EEESV_SW_SX_S14_S18_S1A_T6_T7_T9_mT8_S1C_bDpT10_ENKUlT_T0_E_clISt17integral_constantIbLb1EES1O_IbLb0EEEEDaS1K_S1L_EUlS1K_E_NS1_11comp_targetILNS1_3genE8ELNS1_11target_archE1030ELNS1_3gpuE2ELNS1_3repE0EEENS1_30default_config_static_selectorELNS0_4arch9wavefront6targetE0EEEvSY_, .Lfunc_end1101-_ZN7rocprim17ROCPRIM_400000_NS6detail17trampoline_kernelINS0_13select_configILj256ELj13ELNS0_17block_load_methodE3ELS4_3ELS4_3ELNS0_20block_scan_algorithmE0ELj4294967295EEENS1_25partition_config_selectorILNS1_17partition_subalgoE3EjNS0_10empty_typeEbEEZZNS1_14partition_implILS8_3ELb0ES6_jNS0_17counting_iteratorIjlEEPS9_SE_NS0_5tupleIJPjSE_EEENSF_IJSE_SE_EEES9_SG_JZNS1_25segmented_radix_sort_implINS0_14default_configELb1EPKdPdPKlPlN2at6native12_GLOBAL__N_18offset_tEEE10hipError_tPvRmT1_PNSt15iterator_traitsISY_E10value_typeET2_T3_PNSZ_IS14_E10value_typeET4_jRbjT5_S1A_jjP12ihipStream_tbEUljE_EEESV_SW_SX_S14_S18_S1A_T6_T7_T9_mT8_S1C_bDpT10_ENKUlT_T0_E_clISt17integral_constantIbLb1EES1O_IbLb0EEEEDaS1K_S1L_EUlS1K_E_NS1_11comp_targetILNS1_3genE8ELNS1_11target_archE1030ELNS1_3gpuE2ELNS1_3repE0EEENS1_30default_config_static_selectorELNS0_4arch9wavefront6targetE0EEEvSY_
                                        ; -- End function
	.set _ZN7rocprim17ROCPRIM_400000_NS6detail17trampoline_kernelINS0_13select_configILj256ELj13ELNS0_17block_load_methodE3ELS4_3ELS4_3ELNS0_20block_scan_algorithmE0ELj4294967295EEENS1_25partition_config_selectorILNS1_17partition_subalgoE3EjNS0_10empty_typeEbEEZZNS1_14partition_implILS8_3ELb0ES6_jNS0_17counting_iteratorIjlEEPS9_SE_NS0_5tupleIJPjSE_EEENSF_IJSE_SE_EEES9_SG_JZNS1_25segmented_radix_sort_implINS0_14default_configELb1EPKdPdPKlPlN2at6native12_GLOBAL__N_18offset_tEEE10hipError_tPvRmT1_PNSt15iterator_traitsISY_E10value_typeET2_T3_PNSZ_IS14_E10value_typeET4_jRbjT5_S1A_jjP12ihipStream_tbEUljE_EEESV_SW_SX_S14_S18_S1A_T6_T7_T9_mT8_S1C_bDpT10_ENKUlT_T0_E_clISt17integral_constantIbLb1EES1O_IbLb0EEEEDaS1K_S1L_EUlS1K_E_NS1_11comp_targetILNS1_3genE8ELNS1_11target_archE1030ELNS1_3gpuE2ELNS1_3repE0EEENS1_30default_config_static_selectorELNS0_4arch9wavefront6targetE0EEEvSY_.num_vgpr, 0
	.set _ZN7rocprim17ROCPRIM_400000_NS6detail17trampoline_kernelINS0_13select_configILj256ELj13ELNS0_17block_load_methodE3ELS4_3ELS4_3ELNS0_20block_scan_algorithmE0ELj4294967295EEENS1_25partition_config_selectorILNS1_17partition_subalgoE3EjNS0_10empty_typeEbEEZZNS1_14partition_implILS8_3ELb0ES6_jNS0_17counting_iteratorIjlEEPS9_SE_NS0_5tupleIJPjSE_EEENSF_IJSE_SE_EEES9_SG_JZNS1_25segmented_radix_sort_implINS0_14default_configELb1EPKdPdPKlPlN2at6native12_GLOBAL__N_18offset_tEEE10hipError_tPvRmT1_PNSt15iterator_traitsISY_E10value_typeET2_T3_PNSZ_IS14_E10value_typeET4_jRbjT5_S1A_jjP12ihipStream_tbEUljE_EEESV_SW_SX_S14_S18_S1A_T6_T7_T9_mT8_S1C_bDpT10_ENKUlT_T0_E_clISt17integral_constantIbLb1EES1O_IbLb0EEEEDaS1K_S1L_EUlS1K_E_NS1_11comp_targetILNS1_3genE8ELNS1_11target_archE1030ELNS1_3gpuE2ELNS1_3repE0EEENS1_30default_config_static_selectorELNS0_4arch9wavefront6targetE0EEEvSY_.num_agpr, 0
	.set _ZN7rocprim17ROCPRIM_400000_NS6detail17trampoline_kernelINS0_13select_configILj256ELj13ELNS0_17block_load_methodE3ELS4_3ELS4_3ELNS0_20block_scan_algorithmE0ELj4294967295EEENS1_25partition_config_selectorILNS1_17partition_subalgoE3EjNS0_10empty_typeEbEEZZNS1_14partition_implILS8_3ELb0ES6_jNS0_17counting_iteratorIjlEEPS9_SE_NS0_5tupleIJPjSE_EEENSF_IJSE_SE_EEES9_SG_JZNS1_25segmented_radix_sort_implINS0_14default_configELb1EPKdPdPKlPlN2at6native12_GLOBAL__N_18offset_tEEE10hipError_tPvRmT1_PNSt15iterator_traitsISY_E10value_typeET2_T3_PNSZ_IS14_E10value_typeET4_jRbjT5_S1A_jjP12ihipStream_tbEUljE_EEESV_SW_SX_S14_S18_S1A_T6_T7_T9_mT8_S1C_bDpT10_ENKUlT_T0_E_clISt17integral_constantIbLb1EES1O_IbLb0EEEEDaS1K_S1L_EUlS1K_E_NS1_11comp_targetILNS1_3genE8ELNS1_11target_archE1030ELNS1_3gpuE2ELNS1_3repE0EEENS1_30default_config_static_selectorELNS0_4arch9wavefront6targetE0EEEvSY_.numbered_sgpr, 0
	.set _ZN7rocprim17ROCPRIM_400000_NS6detail17trampoline_kernelINS0_13select_configILj256ELj13ELNS0_17block_load_methodE3ELS4_3ELS4_3ELNS0_20block_scan_algorithmE0ELj4294967295EEENS1_25partition_config_selectorILNS1_17partition_subalgoE3EjNS0_10empty_typeEbEEZZNS1_14partition_implILS8_3ELb0ES6_jNS0_17counting_iteratorIjlEEPS9_SE_NS0_5tupleIJPjSE_EEENSF_IJSE_SE_EEES9_SG_JZNS1_25segmented_radix_sort_implINS0_14default_configELb1EPKdPdPKlPlN2at6native12_GLOBAL__N_18offset_tEEE10hipError_tPvRmT1_PNSt15iterator_traitsISY_E10value_typeET2_T3_PNSZ_IS14_E10value_typeET4_jRbjT5_S1A_jjP12ihipStream_tbEUljE_EEESV_SW_SX_S14_S18_S1A_T6_T7_T9_mT8_S1C_bDpT10_ENKUlT_T0_E_clISt17integral_constantIbLb1EES1O_IbLb0EEEEDaS1K_S1L_EUlS1K_E_NS1_11comp_targetILNS1_3genE8ELNS1_11target_archE1030ELNS1_3gpuE2ELNS1_3repE0EEENS1_30default_config_static_selectorELNS0_4arch9wavefront6targetE0EEEvSY_.num_named_barrier, 0
	.set _ZN7rocprim17ROCPRIM_400000_NS6detail17trampoline_kernelINS0_13select_configILj256ELj13ELNS0_17block_load_methodE3ELS4_3ELS4_3ELNS0_20block_scan_algorithmE0ELj4294967295EEENS1_25partition_config_selectorILNS1_17partition_subalgoE3EjNS0_10empty_typeEbEEZZNS1_14partition_implILS8_3ELb0ES6_jNS0_17counting_iteratorIjlEEPS9_SE_NS0_5tupleIJPjSE_EEENSF_IJSE_SE_EEES9_SG_JZNS1_25segmented_radix_sort_implINS0_14default_configELb1EPKdPdPKlPlN2at6native12_GLOBAL__N_18offset_tEEE10hipError_tPvRmT1_PNSt15iterator_traitsISY_E10value_typeET2_T3_PNSZ_IS14_E10value_typeET4_jRbjT5_S1A_jjP12ihipStream_tbEUljE_EEESV_SW_SX_S14_S18_S1A_T6_T7_T9_mT8_S1C_bDpT10_ENKUlT_T0_E_clISt17integral_constantIbLb1EES1O_IbLb0EEEEDaS1K_S1L_EUlS1K_E_NS1_11comp_targetILNS1_3genE8ELNS1_11target_archE1030ELNS1_3gpuE2ELNS1_3repE0EEENS1_30default_config_static_selectorELNS0_4arch9wavefront6targetE0EEEvSY_.private_seg_size, 0
	.set _ZN7rocprim17ROCPRIM_400000_NS6detail17trampoline_kernelINS0_13select_configILj256ELj13ELNS0_17block_load_methodE3ELS4_3ELS4_3ELNS0_20block_scan_algorithmE0ELj4294967295EEENS1_25partition_config_selectorILNS1_17partition_subalgoE3EjNS0_10empty_typeEbEEZZNS1_14partition_implILS8_3ELb0ES6_jNS0_17counting_iteratorIjlEEPS9_SE_NS0_5tupleIJPjSE_EEENSF_IJSE_SE_EEES9_SG_JZNS1_25segmented_radix_sort_implINS0_14default_configELb1EPKdPdPKlPlN2at6native12_GLOBAL__N_18offset_tEEE10hipError_tPvRmT1_PNSt15iterator_traitsISY_E10value_typeET2_T3_PNSZ_IS14_E10value_typeET4_jRbjT5_S1A_jjP12ihipStream_tbEUljE_EEESV_SW_SX_S14_S18_S1A_T6_T7_T9_mT8_S1C_bDpT10_ENKUlT_T0_E_clISt17integral_constantIbLb1EES1O_IbLb0EEEEDaS1K_S1L_EUlS1K_E_NS1_11comp_targetILNS1_3genE8ELNS1_11target_archE1030ELNS1_3gpuE2ELNS1_3repE0EEENS1_30default_config_static_selectorELNS0_4arch9wavefront6targetE0EEEvSY_.uses_vcc, 0
	.set _ZN7rocprim17ROCPRIM_400000_NS6detail17trampoline_kernelINS0_13select_configILj256ELj13ELNS0_17block_load_methodE3ELS4_3ELS4_3ELNS0_20block_scan_algorithmE0ELj4294967295EEENS1_25partition_config_selectorILNS1_17partition_subalgoE3EjNS0_10empty_typeEbEEZZNS1_14partition_implILS8_3ELb0ES6_jNS0_17counting_iteratorIjlEEPS9_SE_NS0_5tupleIJPjSE_EEENSF_IJSE_SE_EEES9_SG_JZNS1_25segmented_radix_sort_implINS0_14default_configELb1EPKdPdPKlPlN2at6native12_GLOBAL__N_18offset_tEEE10hipError_tPvRmT1_PNSt15iterator_traitsISY_E10value_typeET2_T3_PNSZ_IS14_E10value_typeET4_jRbjT5_S1A_jjP12ihipStream_tbEUljE_EEESV_SW_SX_S14_S18_S1A_T6_T7_T9_mT8_S1C_bDpT10_ENKUlT_T0_E_clISt17integral_constantIbLb1EES1O_IbLb0EEEEDaS1K_S1L_EUlS1K_E_NS1_11comp_targetILNS1_3genE8ELNS1_11target_archE1030ELNS1_3gpuE2ELNS1_3repE0EEENS1_30default_config_static_selectorELNS0_4arch9wavefront6targetE0EEEvSY_.uses_flat_scratch, 0
	.set _ZN7rocprim17ROCPRIM_400000_NS6detail17trampoline_kernelINS0_13select_configILj256ELj13ELNS0_17block_load_methodE3ELS4_3ELS4_3ELNS0_20block_scan_algorithmE0ELj4294967295EEENS1_25partition_config_selectorILNS1_17partition_subalgoE3EjNS0_10empty_typeEbEEZZNS1_14partition_implILS8_3ELb0ES6_jNS0_17counting_iteratorIjlEEPS9_SE_NS0_5tupleIJPjSE_EEENSF_IJSE_SE_EEES9_SG_JZNS1_25segmented_radix_sort_implINS0_14default_configELb1EPKdPdPKlPlN2at6native12_GLOBAL__N_18offset_tEEE10hipError_tPvRmT1_PNSt15iterator_traitsISY_E10value_typeET2_T3_PNSZ_IS14_E10value_typeET4_jRbjT5_S1A_jjP12ihipStream_tbEUljE_EEESV_SW_SX_S14_S18_S1A_T6_T7_T9_mT8_S1C_bDpT10_ENKUlT_T0_E_clISt17integral_constantIbLb1EES1O_IbLb0EEEEDaS1K_S1L_EUlS1K_E_NS1_11comp_targetILNS1_3genE8ELNS1_11target_archE1030ELNS1_3gpuE2ELNS1_3repE0EEENS1_30default_config_static_selectorELNS0_4arch9wavefront6targetE0EEEvSY_.has_dyn_sized_stack, 0
	.set _ZN7rocprim17ROCPRIM_400000_NS6detail17trampoline_kernelINS0_13select_configILj256ELj13ELNS0_17block_load_methodE3ELS4_3ELS4_3ELNS0_20block_scan_algorithmE0ELj4294967295EEENS1_25partition_config_selectorILNS1_17partition_subalgoE3EjNS0_10empty_typeEbEEZZNS1_14partition_implILS8_3ELb0ES6_jNS0_17counting_iteratorIjlEEPS9_SE_NS0_5tupleIJPjSE_EEENSF_IJSE_SE_EEES9_SG_JZNS1_25segmented_radix_sort_implINS0_14default_configELb1EPKdPdPKlPlN2at6native12_GLOBAL__N_18offset_tEEE10hipError_tPvRmT1_PNSt15iterator_traitsISY_E10value_typeET2_T3_PNSZ_IS14_E10value_typeET4_jRbjT5_S1A_jjP12ihipStream_tbEUljE_EEESV_SW_SX_S14_S18_S1A_T6_T7_T9_mT8_S1C_bDpT10_ENKUlT_T0_E_clISt17integral_constantIbLb1EES1O_IbLb0EEEEDaS1K_S1L_EUlS1K_E_NS1_11comp_targetILNS1_3genE8ELNS1_11target_archE1030ELNS1_3gpuE2ELNS1_3repE0EEENS1_30default_config_static_selectorELNS0_4arch9wavefront6targetE0EEEvSY_.has_recursion, 0
	.set _ZN7rocprim17ROCPRIM_400000_NS6detail17trampoline_kernelINS0_13select_configILj256ELj13ELNS0_17block_load_methodE3ELS4_3ELS4_3ELNS0_20block_scan_algorithmE0ELj4294967295EEENS1_25partition_config_selectorILNS1_17partition_subalgoE3EjNS0_10empty_typeEbEEZZNS1_14partition_implILS8_3ELb0ES6_jNS0_17counting_iteratorIjlEEPS9_SE_NS0_5tupleIJPjSE_EEENSF_IJSE_SE_EEES9_SG_JZNS1_25segmented_radix_sort_implINS0_14default_configELb1EPKdPdPKlPlN2at6native12_GLOBAL__N_18offset_tEEE10hipError_tPvRmT1_PNSt15iterator_traitsISY_E10value_typeET2_T3_PNSZ_IS14_E10value_typeET4_jRbjT5_S1A_jjP12ihipStream_tbEUljE_EEESV_SW_SX_S14_S18_S1A_T6_T7_T9_mT8_S1C_bDpT10_ENKUlT_T0_E_clISt17integral_constantIbLb1EES1O_IbLb0EEEEDaS1K_S1L_EUlS1K_E_NS1_11comp_targetILNS1_3genE8ELNS1_11target_archE1030ELNS1_3gpuE2ELNS1_3repE0EEENS1_30default_config_static_selectorELNS0_4arch9wavefront6targetE0EEEvSY_.has_indirect_call, 0
	.section	.AMDGPU.csdata,"",@progbits
; Kernel info:
; codeLenInByte = 4
; TotalNumSgprs: 0
; NumVgprs: 0
; ScratchSize: 0
; MemoryBound: 0
; FloatMode: 240
; IeeeMode: 1
; LDSByteSize: 0 bytes/workgroup (compile time only)
; SGPRBlocks: 0
; VGPRBlocks: 0
; NumSGPRsForWavesPerEU: 1
; NumVGPRsForWavesPerEU: 1
; Occupancy: 16
; WaveLimiterHint : 0
; COMPUTE_PGM_RSRC2:SCRATCH_EN: 0
; COMPUTE_PGM_RSRC2:USER_SGPR: 6
; COMPUTE_PGM_RSRC2:TRAP_HANDLER: 0
; COMPUTE_PGM_RSRC2:TGID_X_EN: 1
; COMPUTE_PGM_RSRC2:TGID_Y_EN: 0
; COMPUTE_PGM_RSRC2:TGID_Z_EN: 0
; COMPUTE_PGM_RSRC2:TIDIG_COMP_CNT: 0
	.section	.text._ZN7rocprim17ROCPRIM_400000_NS6detail17trampoline_kernelINS0_13select_configILj256ELj13ELNS0_17block_load_methodE3ELS4_3ELS4_3ELNS0_20block_scan_algorithmE0ELj4294967295EEENS1_25partition_config_selectorILNS1_17partition_subalgoE3EjNS0_10empty_typeEbEEZZNS1_14partition_implILS8_3ELb0ES6_jNS0_17counting_iteratorIjlEEPS9_SE_NS0_5tupleIJPjSE_EEENSF_IJSE_SE_EEES9_SG_JZNS1_25segmented_radix_sort_implINS0_14default_configELb1EPKdPdPKlPlN2at6native12_GLOBAL__N_18offset_tEEE10hipError_tPvRmT1_PNSt15iterator_traitsISY_E10value_typeET2_T3_PNSZ_IS14_E10value_typeET4_jRbjT5_S1A_jjP12ihipStream_tbEUljE_EEESV_SW_SX_S14_S18_S1A_T6_T7_T9_mT8_S1C_bDpT10_ENKUlT_T0_E_clISt17integral_constantIbLb0EES1O_IbLb1EEEEDaS1K_S1L_EUlS1K_E_NS1_11comp_targetILNS1_3genE0ELNS1_11target_archE4294967295ELNS1_3gpuE0ELNS1_3repE0EEENS1_30default_config_static_selectorELNS0_4arch9wavefront6targetE0EEEvSY_,"axG",@progbits,_ZN7rocprim17ROCPRIM_400000_NS6detail17trampoline_kernelINS0_13select_configILj256ELj13ELNS0_17block_load_methodE3ELS4_3ELS4_3ELNS0_20block_scan_algorithmE0ELj4294967295EEENS1_25partition_config_selectorILNS1_17partition_subalgoE3EjNS0_10empty_typeEbEEZZNS1_14partition_implILS8_3ELb0ES6_jNS0_17counting_iteratorIjlEEPS9_SE_NS0_5tupleIJPjSE_EEENSF_IJSE_SE_EEES9_SG_JZNS1_25segmented_radix_sort_implINS0_14default_configELb1EPKdPdPKlPlN2at6native12_GLOBAL__N_18offset_tEEE10hipError_tPvRmT1_PNSt15iterator_traitsISY_E10value_typeET2_T3_PNSZ_IS14_E10value_typeET4_jRbjT5_S1A_jjP12ihipStream_tbEUljE_EEESV_SW_SX_S14_S18_S1A_T6_T7_T9_mT8_S1C_bDpT10_ENKUlT_T0_E_clISt17integral_constantIbLb0EES1O_IbLb1EEEEDaS1K_S1L_EUlS1K_E_NS1_11comp_targetILNS1_3genE0ELNS1_11target_archE4294967295ELNS1_3gpuE0ELNS1_3repE0EEENS1_30default_config_static_selectorELNS0_4arch9wavefront6targetE0EEEvSY_,comdat
	.globl	_ZN7rocprim17ROCPRIM_400000_NS6detail17trampoline_kernelINS0_13select_configILj256ELj13ELNS0_17block_load_methodE3ELS4_3ELS4_3ELNS0_20block_scan_algorithmE0ELj4294967295EEENS1_25partition_config_selectorILNS1_17partition_subalgoE3EjNS0_10empty_typeEbEEZZNS1_14partition_implILS8_3ELb0ES6_jNS0_17counting_iteratorIjlEEPS9_SE_NS0_5tupleIJPjSE_EEENSF_IJSE_SE_EEES9_SG_JZNS1_25segmented_radix_sort_implINS0_14default_configELb1EPKdPdPKlPlN2at6native12_GLOBAL__N_18offset_tEEE10hipError_tPvRmT1_PNSt15iterator_traitsISY_E10value_typeET2_T3_PNSZ_IS14_E10value_typeET4_jRbjT5_S1A_jjP12ihipStream_tbEUljE_EEESV_SW_SX_S14_S18_S1A_T6_T7_T9_mT8_S1C_bDpT10_ENKUlT_T0_E_clISt17integral_constantIbLb0EES1O_IbLb1EEEEDaS1K_S1L_EUlS1K_E_NS1_11comp_targetILNS1_3genE0ELNS1_11target_archE4294967295ELNS1_3gpuE0ELNS1_3repE0EEENS1_30default_config_static_selectorELNS0_4arch9wavefront6targetE0EEEvSY_ ; -- Begin function _ZN7rocprim17ROCPRIM_400000_NS6detail17trampoline_kernelINS0_13select_configILj256ELj13ELNS0_17block_load_methodE3ELS4_3ELS4_3ELNS0_20block_scan_algorithmE0ELj4294967295EEENS1_25partition_config_selectorILNS1_17partition_subalgoE3EjNS0_10empty_typeEbEEZZNS1_14partition_implILS8_3ELb0ES6_jNS0_17counting_iteratorIjlEEPS9_SE_NS0_5tupleIJPjSE_EEENSF_IJSE_SE_EEES9_SG_JZNS1_25segmented_radix_sort_implINS0_14default_configELb1EPKdPdPKlPlN2at6native12_GLOBAL__N_18offset_tEEE10hipError_tPvRmT1_PNSt15iterator_traitsISY_E10value_typeET2_T3_PNSZ_IS14_E10value_typeET4_jRbjT5_S1A_jjP12ihipStream_tbEUljE_EEESV_SW_SX_S14_S18_S1A_T6_T7_T9_mT8_S1C_bDpT10_ENKUlT_T0_E_clISt17integral_constantIbLb0EES1O_IbLb1EEEEDaS1K_S1L_EUlS1K_E_NS1_11comp_targetILNS1_3genE0ELNS1_11target_archE4294967295ELNS1_3gpuE0ELNS1_3repE0EEENS1_30default_config_static_selectorELNS0_4arch9wavefront6targetE0EEEvSY_
	.p2align	8
	.type	_ZN7rocprim17ROCPRIM_400000_NS6detail17trampoline_kernelINS0_13select_configILj256ELj13ELNS0_17block_load_methodE3ELS4_3ELS4_3ELNS0_20block_scan_algorithmE0ELj4294967295EEENS1_25partition_config_selectorILNS1_17partition_subalgoE3EjNS0_10empty_typeEbEEZZNS1_14partition_implILS8_3ELb0ES6_jNS0_17counting_iteratorIjlEEPS9_SE_NS0_5tupleIJPjSE_EEENSF_IJSE_SE_EEES9_SG_JZNS1_25segmented_radix_sort_implINS0_14default_configELb1EPKdPdPKlPlN2at6native12_GLOBAL__N_18offset_tEEE10hipError_tPvRmT1_PNSt15iterator_traitsISY_E10value_typeET2_T3_PNSZ_IS14_E10value_typeET4_jRbjT5_S1A_jjP12ihipStream_tbEUljE_EEESV_SW_SX_S14_S18_S1A_T6_T7_T9_mT8_S1C_bDpT10_ENKUlT_T0_E_clISt17integral_constantIbLb0EES1O_IbLb1EEEEDaS1K_S1L_EUlS1K_E_NS1_11comp_targetILNS1_3genE0ELNS1_11target_archE4294967295ELNS1_3gpuE0ELNS1_3repE0EEENS1_30default_config_static_selectorELNS0_4arch9wavefront6targetE0EEEvSY_,@function
_ZN7rocprim17ROCPRIM_400000_NS6detail17trampoline_kernelINS0_13select_configILj256ELj13ELNS0_17block_load_methodE3ELS4_3ELS4_3ELNS0_20block_scan_algorithmE0ELj4294967295EEENS1_25partition_config_selectorILNS1_17partition_subalgoE3EjNS0_10empty_typeEbEEZZNS1_14partition_implILS8_3ELb0ES6_jNS0_17counting_iteratorIjlEEPS9_SE_NS0_5tupleIJPjSE_EEENSF_IJSE_SE_EEES9_SG_JZNS1_25segmented_radix_sort_implINS0_14default_configELb1EPKdPdPKlPlN2at6native12_GLOBAL__N_18offset_tEEE10hipError_tPvRmT1_PNSt15iterator_traitsISY_E10value_typeET2_T3_PNSZ_IS14_E10value_typeET4_jRbjT5_S1A_jjP12ihipStream_tbEUljE_EEESV_SW_SX_S14_S18_S1A_T6_T7_T9_mT8_S1C_bDpT10_ENKUlT_T0_E_clISt17integral_constantIbLb0EES1O_IbLb1EEEEDaS1K_S1L_EUlS1K_E_NS1_11comp_targetILNS1_3genE0ELNS1_11target_archE4294967295ELNS1_3gpuE0ELNS1_3repE0EEENS1_30default_config_static_selectorELNS0_4arch9wavefront6targetE0EEEvSY_: ; @_ZN7rocprim17ROCPRIM_400000_NS6detail17trampoline_kernelINS0_13select_configILj256ELj13ELNS0_17block_load_methodE3ELS4_3ELS4_3ELNS0_20block_scan_algorithmE0ELj4294967295EEENS1_25partition_config_selectorILNS1_17partition_subalgoE3EjNS0_10empty_typeEbEEZZNS1_14partition_implILS8_3ELb0ES6_jNS0_17counting_iteratorIjlEEPS9_SE_NS0_5tupleIJPjSE_EEENSF_IJSE_SE_EEES9_SG_JZNS1_25segmented_radix_sort_implINS0_14default_configELb1EPKdPdPKlPlN2at6native12_GLOBAL__N_18offset_tEEE10hipError_tPvRmT1_PNSt15iterator_traitsISY_E10value_typeET2_T3_PNSZ_IS14_E10value_typeET4_jRbjT5_S1A_jjP12ihipStream_tbEUljE_EEESV_SW_SX_S14_S18_S1A_T6_T7_T9_mT8_S1C_bDpT10_ENKUlT_T0_E_clISt17integral_constantIbLb0EES1O_IbLb1EEEEDaS1K_S1L_EUlS1K_E_NS1_11comp_targetILNS1_3genE0ELNS1_11target_archE4294967295ELNS1_3gpuE0ELNS1_3repE0EEENS1_30default_config_static_selectorELNS0_4arch9wavefront6targetE0EEEvSY_
; %bb.0:
	.section	.rodata,"a",@progbits
	.p2align	6, 0x0
	.amdhsa_kernel _ZN7rocprim17ROCPRIM_400000_NS6detail17trampoline_kernelINS0_13select_configILj256ELj13ELNS0_17block_load_methodE3ELS4_3ELS4_3ELNS0_20block_scan_algorithmE0ELj4294967295EEENS1_25partition_config_selectorILNS1_17partition_subalgoE3EjNS0_10empty_typeEbEEZZNS1_14partition_implILS8_3ELb0ES6_jNS0_17counting_iteratorIjlEEPS9_SE_NS0_5tupleIJPjSE_EEENSF_IJSE_SE_EEES9_SG_JZNS1_25segmented_radix_sort_implINS0_14default_configELb1EPKdPdPKlPlN2at6native12_GLOBAL__N_18offset_tEEE10hipError_tPvRmT1_PNSt15iterator_traitsISY_E10value_typeET2_T3_PNSZ_IS14_E10value_typeET4_jRbjT5_S1A_jjP12ihipStream_tbEUljE_EEESV_SW_SX_S14_S18_S1A_T6_T7_T9_mT8_S1C_bDpT10_ENKUlT_T0_E_clISt17integral_constantIbLb0EES1O_IbLb1EEEEDaS1K_S1L_EUlS1K_E_NS1_11comp_targetILNS1_3genE0ELNS1_11target_archE4294967295ELNS1_3gpuE0ELNS1_3repE0EEENS1_30default_config_static_selectorELNS0_4arch9wavefront6targetE0EEEvSY_
		.amdhsa_group_segment_fixed_size 0
		.amdhsa_private_segment_fixed_size 0
		.amdhsa_kernarg_size 152
		.amdhsa_user_sgpr_count 6
		.amdhsa_user_sgpr_private_segment_buffer 1
		.amdhsa_user_sgpr_dispatch_ptr 0
		.amdhsa_user_sgpr_queue_ptr 0
		.amdhsa_user_sgpr_kernarg_segment_ptr 1
		.amdhsa_user_sgpr_dispatch_id 0
		.amdhsa_user_sgpr_flat_scratch_init 0
		.amdhsa_user_sgpr_private_segment_size 0
		.amdhsa_wavefront_size32 1
		.amdhsa_uses_dynamic_stack 0
		.amdhsa_system_sgpr_private_segment_wavefront_offset 0
		.amdhsa_system_sgpr_workgroup_id_x 1
		.amdhsa_system_sgpr_workgroup_id_y 0
		.amdhsa_system_sgpr_workgroup_id_z 0
		.amdhsa_system_sgpr_workgroup_info 0
		.amdhsa_system_vgpr_workitem_id 0
		.amdhsa_next_free_vgpr 1
		.amdhsa_next_free_sgpr 1
		.amdhsa_reserve_vcc 0
		.amdhsa_reserve_flat_scratch 0
		.amdhsa_float_round_mode_32 0
		.amdhsa_float_round_mode_16_64 0
		.amdhsa_float_denorm_mode_32 3
		.amdhsa_float_denorm_mode_16_64 3
		.amdhsa_dx10_clamp 1
		.amdhsa_ieee_mode 1
		.amdhsa_fp16_overflow 0
		.amdhsa_workgroup_processor_mode 1
		.amdhsa_memory_ordered 1
		.amdhsa_forward_progress 1
		.amdhsa_shared_vgpr_count 0
		.amdhsa_exception_fp_ieee_invalid_op 0
		.amdhsa_exception_fp_denorm_src 0
		.amdhsa_exception_fp_ieee_div_zero 0
		.amdhsa_exception_fp_ieee_overflow 0
		.amdhsa_exception_fp_ieee_underflow 0
		.amdhsa_exception_fp_ieee_inexact 0
		.amdhsa_exception_int_div_zero 0
	.end_amdhsa_kernel
	.section	.text._ZN7rocprim17ROCPRIM_400000_NS6detail17trampoline_kernelINS0_13select_configILj256ELj13ELNS0_17block_load_methodE3ELS4_3ELS4_3ELNS0_20block_scan_algorithmE0ELj4294967295EEENS1_25partition_config_selectorILNS1_17partition_subalgoE3EjNS0_10empty_typeEbEEZZNS1_14partition_implILS8_3ELb0ES6_jNS0_17counting_iteratorIjlEEPS9_SE_NS0_5tupleIJPjSE_EEENSF_IJSE_SE_EEES9_SG_JZNS1_25segmented_radix_sort_implINS0_14default_configELb1EPKdPdPKlPlN2at6native12_GLOBAL__N_18offset_tEEE10hipError_tPvRmT1_PNSt15iterator_traitsISY_E10value_typeET2_T3_PNSZ_IS14_E10value_typeET4_jRbjT5_S1A_jjP12ihipStream_tbEUljE_EEESV_SW_SX_S14_S18_S1A_T6_T7_T9_mT8_S1C_bDpT10_ENKUlT_T0_E_clISt17integral_constantIbLb0EES1O_IbLb1EEEEDaS1K_S1L_EUlS1K_E_NS1_11comp_targetILNS1_3genE0ELNS1_11target_archE4294967295ELNS1_3gpuE0ELNS1_3repE0EEENS1_30default_config_static_selectorELNS0_4arch9wavefront6targetE0EEEvSY_,"axG",@progbits,_ZN7rocprim17ROCPRIM_400000_NS6detail17trampoline_kernelINS0_13select_configILj256ELj13ELNS0_17block_load_methodE3ELS4_3ELS4_3ELNS0_20block_scan_algorithmE0ELj4294967295EEENS1_25partition_config_selectorILNS1_17partition_subalgoE3EjNS0_10empty_typeEbEEZZNS1_14partition_implILS8_3ELb0ES6_jNS0_17counting_iteratorIjlEEPS9_SE_NS0_5tupleIJPjSE_EEENSF_IJSE_SE_EEES9_SG_JZNS1_25segmented_radix_sort_implINS0_14default_configELb1EPKdPdPKlPlN2at6native12_GLOBAL__N_18offset_tEEE10hipError_tPvRmT1_PNSt15iterator_traitsISY_E10value_typeET2_T3_PNSZ_IS14_E10value_typeET4_jRbjT5_S1A_jjP12ihipStream_tbEUljE_EEESV_SW_SX_S14_S18_S1A_T6_T7_T9_mT8_S1C_bDpT10_ENKUlT_T0_E_clISt17integral_constantIbLb0EES1O_IbLb1EEEEDaS1K_S1L_EUlS1K_E_NS1_11comp_targetILNS1_3genE0ELNS1_11target_archE4294967295ELNS1_3gpuE0ELNS1_3repE0EEENS1_30default_config_static_selectorELNS0_4arch9wavefront6targetE0EEEvSY_,comdat
.Lfunc_end1102:
	.size	_ZN7rocprim17ROCPRIM_400000_NS6detail17trampoline_kernelINS0_13select_configILj256ELj13ELNS0_17block_load_methodE3ELS4_3ELS4_3ELNS0_20block_scan_algorithmE0ELj4294967295EEENS1_25partition_config_selectorILNS1_17partition_subalgoE3EjNS0_10empty_typeEbEEZZNS1_14partition_implILS8_3ELb0ES6_jNS0_17counting_iteratorIjlEEPS9_SE_NS0_5tupleIJPjSE_EEENSF_IJSE_SE_EEES9_SG_JZNS1_25segmented_radix_sort_implINS0_14default_configELb1EPKdPdPKlPlN2at6native12_GLOBAL__N_18offset_tEEE10hipError_tPvRmT1_PNSt15iterator_traitsISY_E10value_typeET2_T3_PNSZ_IS14_E10value_typeET4_jRbjT5_S1A_jjP12ihipStream_tbEUljE_EEESV_SW_SX_S14_S18_S1A_T6_T7_T9_mT8_S1C_bDpT10_ENKUlT_T0_E_clISt17integral_constantIbLb0EES1O_IbLb1EEEEDaS1K_S1L_EUlS1K_E_NS1_11comp_targetILNS1_3genE0ELNS1_11target_archE4294967295ELNS1_3gpuE0ELNS1_3repE0EEENS1_30default_config_static_selectorELNS0_4arch9wavefront6targetE0EEEvSY_, .Lfunc_end1102-_ZN7rocprim17ROCPRIM_400000_NS6detail17trampoline_kernelINS0_13select_configILj256ELj13ELNS0_17block_load_methodE3ELS4_3ELS4_3ELNS0_20block_scan_algorithmE0ELj4294967295EEENS1_25partition_config_selectorILNS1_17partition_subalgoE3EjNS0_10empty_typeEbEEZZNS1_14partition_implILS8_3ELb0ES6_jNS0_17counting_iteratorIjlEEPS9_SE_NS0_5tupleIJPjSE_EEENSF_IJSE_SE_EEES9_SG_JZNS1_25segmented_radix_sort_implINS0_14default_configELb1EPKdPdPKlPlN2at6native12_GLOBAL__N_18offset_tEEE10hipError_tPvRmT1_PNSt15iterator_traitsISY_E10value_typeET2_T3_PNSZ_IS14_E10value_typeET4_jRbjT5_S1A_jjP12ihipStream_tbEUljE_EEESV_SW_SX_S14_S18_S1A_T6_T7_T9_mT8_S1C_bDpT10_ENKUlT_T0_E_clISt17integral_constantIbLb0EES1O_IbLb1EEEEDaS1K_S1L_EUlS1K_E_NS1_11comp_targetILNS1_3genE0ELNS1_11target_archE4294967295ELNS1_3gpuE0ELNS1_3repE0EEENS1_30default_config_static_selectorELNS0_4arch9wavefront6targetE0EEEvSY_
                                        ; -- End function
	.set _ZN7rocprim17ROCPRIM_400000_NS6detail17trampoline_kernelINS0_13select_configILj256ELj13ELNS0_17block_load_methodE3ELS4_3ELS4_3ELNS0_20block_scan_algorithmE0ELj4294967295EEENS1_25partition_config_selectorILNS1_17partition_subalgoE3EjNS0_10empty_typeEbEEZZNS1_14partition_implILS8_3ELb0ES6_jNS0_17counting_iteratorIjlEEPS9_SE_NS0_5tupleIJPjSE_EEENSF_IJSE_SE_EEES9_SG_JZNS1_25segmented_radix_sort_implINS0_14default_configELb1EPKdPdPKlPlN2at6native12_GLOBAL__N_18offset_tEEE10hipError_tPvRmT1_PNSt15iterator_traitsISY_E10value_typeET2_T3_PNSZ_IS14_E10value_typeET4_jRbjT5_S1A_jjP12ihipStream_tbEUljE_EEESV_SW_SX_S14_S18_S1A_T6_T7_T9_mT8_S1C_bDpT10_ENKUlT_T0_E_clISt17integral_constantIbLb0EES1O_IbLb1EEEEDaS1K_S1L_EUlS1K_E_NS1_11comp_targetILNS1_3genE0ELNS1_11target_archE4294967295ELNS1_3gpuE0ELNS1_3repE0EEENS1_30default_config_static_selectorELNS0_4arch9wavefront6targetE0EEEvSY_.num_vgpr, 0
	.set _ZN7rocprim17ROCPRIM_400000_NS6detail17trampoline_kernelINS0_13select_configILj256ELj13ELNS0_17block_load_methodE3ELS4_3ELS4_3ELNS0_20block_scan_algorithmE0ELj4294967295EEENS1_25partition_config_selectorILNS1_17partition_subalgoE3EjNS0_10empty_typeEbEEZZNS1_14partition_implILS8_3ELb0ES6_jNS0_17counting_iteratorIjlEEPS9_SE_NS0_5tupleIJPjSE_EEENSF_IJSE_SE_EEES9_SG_JZNS1_25segmented_radix_sort_implINS0_14default_configELb1EPKdPdPKlPlN2at6native12_GLOBAL__N_18offset_tEEE10hipError_tPvRmT1_PNSt15iterator_traitsISY_E10value_typeET2_T3_PNSZ_IS14_E10value_typeET4_jRbjT5_S1A_jjP12ihipStream_tbEUljE_EEESV_SW_SX_S14_S18_S1A_T6_T7_T9_mT8_S1C_bDpT10_ENKUlT_T0_E_clISt17integral_constantIbLb0EES1O_IbLb1EEEEDaS1K_S1L_EUlS1K_E_NS1_11comp_targetILNS1_3genE0ELNS1_11target_archE4294967295ELNS1_3gpuE0ELNS1_3repE0EEENS1_30default_config_static_selectorELNS0_4arch9wavefront6targetE0EEEvSY_.num_agpr, 0
	.set _ZN7rocprim17ROCPRIM_400000_NS6detail17trampoline_kernelINS0_13select_configILj256ELj13ELNS0_17block_load_methodE3ELS4_3ELS4_3ELNS0_20block_scan_algorithmE0ELj4294967295EEENS1_25partition_config_selectorILNS1_17partition_subalgoE3EjNS0_10empty_typeEbEEZZNS1_14partition_implILS8_3ELb0ES6_jNS0_17counting_iteratorIjlEEPS9_SE_NS0_5tupleIJPjSE_EEENSF_IJSE_SE_EEES9_SG_JZNS1_25segmented_radix_sort_implINS0_14default_configELb1EPKdPdPKlPlN2at6native12_GLOBAL__N_18offset_tEEE10hipError_tPvRmT1_PNSt15iterator_traitsISY_E10value_typeET2_T3_PNSZ_IS14_E10value_typeET4_jRbjT5_S1A_jjP12ihipStream_tbEUljE_EEESV_SW_SX_S14_S18_S1A_T6_T7_T9_mT8_S1C_bDpT10_ENKUlT_T0_E_clISt17integral_constantIbLb0EES1O_IbLb1EEEEDaS1K_S1L_EUlS1K_E_NS1_11comp_targetILNS1_3genE0ELNS1_11target_archE4294967295ELNS1_3gpuE0ELNS1_3repE0EEENS1_30default_config_static_selectorELNS0_4arch9wavefront6targetE0EEEvSY_.numbered_sgpr, 0
	.set _ZN7rocprim17ROCPRIM_400000_NS6detail17trampoline_kernelINS0_13select_configILj256ELj13ELNS0_17block_load_methodE3ELS4_3ELS4_3ELNS0_20block_scan_algorithmE0ELj4294967295EEENS1_25partition_config_selectorILNS1_17partition_subalgoE3EjNS0_10empty_typeEbEEZZNS1_14partition_implILS8_3ELb0ES6_jNS0_17counting_iteratorIjlEEPS9_SE_NS0_5tupleIJPjSE_EEENSF_IJSE_SE_EEES9_SG_JZNS1_25segmented_radix_sort_implINS0_14default_configELb1EPKdPdPKlPlN2at6native12_GLOBAL__N_18offset_tEEE10hipError_tPvRmT1_PNSt15iterator_traitsISY_E10value_typeET2_T3_PNSZ_IS14_E10value_typeET4_jRbjT5_S1A_jjP12ihipStream_tbEUljE_EEESV_SW_SX_S14_S18_S1A_T6_T7_T9_mT8_S1C_bDpT10_ENKUlT_T0_E_clISt17integral_constantIbLb0EES1O_IbLb1EEEEDaS1K_S1L_EUlS1K_E_NS1_11comp_targetILNS1_3genE0ELNS1_11target_archE4294967295ELNS1_3gpuE0ELNS1_3repE0EEENS1_30default_config_static_selectorELNS0_4arch9wavefront6targetE0EEEvSY_.num_named_barrier, 0
	.set _ZN7rocprim17ROCPRIM_400000_NS6detail17trampoline_kernelINS0_13select_configILj256ELj13ELNS0_17block_load_methodE3ELS4_3ELS4_3ELNS0_20block_scan_algorithmE0ELj4294967295EEENS1_25partition_config_selectorILNS1_17partition_subalgoE3EjNS0_10empty_typeEbEEZZNS1_14partition_implILS8_3ELb0ES6_jNS0_17counting_iteratorIjlEEPS9_SE_NS0_5tupleIJPjSE_EEENSF_IJSE_SE_EEES9_SG_JZNS1_25segmented_radix_sort_implINS0_14default_configELb1EPKdPdPKlPlN2at6native12_GLOBAL__N_18offset_tEEE10hipError_tPvRmT1_PNSt15iterator_traitsISY_E10value_typeET2_T3_PNSZ_IS14_E10value_typeET4_jRbjT5_S1A_jjP12ihipStream_tbEUljE_EEESV_SW_SX_S14_S18_S1A_T6_T7_T9_mT8_S1C_bDpT10_ENKUlT_T0_E_clISt17integral_constantIbLb0EES1O_IbLb1EEEEDaS1K_S1L_EUlS1K_E_NS1_11comp_targetILNS1_3genE0ELNS1_11target_archE4294967295ELNS1_3gpuE0ELNS1_3repE0EEENS1_30default_config_static_selectorELNS0_4arch9wavefront6targetE0EEEvSY_.private_seg_size, 0
	.set _ZN7rocprim17ROCPRIM_400000_NS6detail17trampoline_kernelINS0_13select_configILj256ELj13ELNS0_17block_load_methodE3ELS4_3ELS4_3ELNS0_20block_scan_algorithmE0ELj4294967295EEENS1_25partition_config_selectorILNS1_17partition_subalgoE3EjNS0_10empty_typeEbEEZZNS1_14partition_implILS8_3ELb0ES6_jNS0_17counting_iteratorIjlEEPS9_SE_NS0_5tupleIJPjSE_EEENSF_IJSE_SE_EEES9_SG_JZNS1_25segmented_radix_sort_implINS0_14default_configELb1EPKdPdPKlPlN2at6native12_GLOBAL__N_18offset_tEEE10hipError_tPvRmT1_PNSt15iterator_traitsISY_E10value_typeET2_T3_PNSZ_IS14_E10value_typeET4_jRbjT5_S1A_jjP12ihipStream_tbEUljE_EEESV_SW_SX_S14_S18_S1A_T6_T7_T9_mT8_S1C_bDpT10_ENKUlT_T0_E_clISt17integral_constantIbLb0EES1O_IbLb1EEEEDaS1K_S1L_EUlS1K_E_NS1_11comp_targetILNS1_3genE0ELNS1_11target_archE4294967295ELNS1_3gpuE0ELNS1_3repE0EEENS1_30default_config_static_selectorELNS0_4arch9wavefront6targetE0EEEvSY_.uses_vcc, 0
	.set _ZN7rocprim17ROCPRIM_400000_NS6detail17trampoline_kernelINS0_13select_configILj256ELj13ELNS0_17block_load_methodE3ELS4_3ELS4_3ELNS0_20block_scan_algorithmE0ELj4294967295EEENS1_25partition_config_selectorILNS1_17partition_subalgoE3EjNS0_10empty_typeEbEEZZNS1_14partition_implILS8_3ELb0ES6_jNS0_17counting_iteratorIjlEEPS9_SE_NS0_5tupleIJPjSE_EEENSF_IJSE_SE_EEES9_SG_JZNS1_25segmented_radix_sort_implINS0_14default_configELb1EPKdPdPKlPlN2at6native12_GLOBAL__N_18offset_tEEE10hipError_tPvRmT1_PNSt15iterator_traitsISY_E10value_typeET2_T3_PNSZ_IS14_E10value_typeET4_jRbjT5_S1A_jjP12ihipStream_tbEUljE_EEESV_SW_SX_S14_S18_S1A_T6_T7_T9_mT8_S1C_bDpT10_ENKUlT_T0_E_clISt17integral_constantIbLb0EES1O_IbLb1EEEEDaS1K_S1L_EUlS1K_E_NS1_11comp_targetILNS1_3genE0ELNS1_11target_archE4294967295ELNS1_3gpuE0ELNS1_3repE0EEENS1_30default_config_static_selectorELNS0_4arch9wavefront6targetE0EEEvSY_.uses_flat_scratch, 0
	.set _ZN7rocprim17ROCPRIM_400000_NS6detail17trampoline_kernelINS0_13select_configILj256ELj13ELNS0_17block_load_methodE3ELS4_3ELS4_3ELNS0_20block_scan_algorithmE0ELj4294967295EEENS1_25partition_config_selectorILNS1_17partition_subalgoE3EjNS0_10empty_typeEbEEZZNS1_14partition_implILS8_3ELb0ES6_jNS0_17counting_iteratorIjlEEPS9_SE_NS0_5tupleIJPjSE_EEENSF_IJSE_SE_EEES9_SG_JZNS1_25segmented_radix_sort_implINS0_14default_configELb1EPKdPdPKlPlN2at6native12_GLOBAL__N_18offset_tEEE10hipError_tPvRmT1_PNSt15iterator_traitsISY_E10value_typeET2_T3_PNSZ_IS14_E10value_typeET4_jRbjT5_S1A_jjP12ihipStream_tbEUljE_EEESV_SW_SX_S14_S18_S1A_T6_T7_T9_mT8_S1C_bDpT10_ENKUlT_T0_E_clISt17integral_constantIbLb0EES1O_IbLb1EEEEDaS1K_S1L_EUlS1K_E_NS1_11comp_targetILNS1_3genE0ELNS1_11target_archE4294967295ELNS1_3gpuE0ELNS1_3repE0EEENS1_30default_config_static_selectorELNS0_4arch9wavefront6targetE0EEEvSY_.has_dyn_sized_stack, 0
	.set _ZN7rocprim17ROCPRIM_400000_NS6detail17trampoline_kernelINS0_13select_configILj256ELj13ELNS0_17block_load_methodE3ELS4_3ELS4_3ELNS0_20block_scan_algorithmE0ELj4294967295EEENS1_25partition_config_selectorILNS1_17partition_subalgoE3EjNS0_10empty_typeEbEEZZNS1_14partition_implILS8_3ELb0ES6_jNS0_17counting_iteratorIjlEEPS9_SE_NS0_5tupleIJPjSE_EEENSF_IJSE_SE_EEES9_SG_JZNS1_25segmented_radix_sort_implINS0_14default_configELb1EPKdPdPKlPlN2at6native12_GLOBAL__N_18offset_tEEE10hipError_tPvRmT1_PNSt15iterator_traitsISY_E10value_typeET2_T3_PNSZ_IS14_E10value_typeET4_jRbjT5_S1A_jjP12ihipStream_tbEUljE_EEESV_SW_SX_S14_S18_S1A_T6_T7_T9_mT8_S1C_bDpT10_ENKUlT_T0_E_clISt17integral_constantIbLb0EES1O_IbLb1EEEEDaS1K_S1L_EUlS1K_E_NS1_11comp_targetILNS1_3genE0ELNS1_11target_archE4294967295ELNS1_3gpuE0ELNS1_3repE0EEENS1_30default_config_static_selectorELNS0_4arch9wavefront6targetE0EEEvSY_.has_recursion, 0
	.set _ZN7rocprim17ROCPRIM_400000_NS6detail17trampoline_kernelINS0_13select_configILj256ELj13ELNS0_17block_load_methodE3ELS4_3ELS4_3ELNS0_20block_scan_algorithmE0ELj4294967295EEENS1_25partition_config_selectorILNS1_17partition_subalgoE3EjNS0_10empty_typeEbEEZZNS1_14partition_implILS8_3ELb0ES6_jNS0_17counting_iteratorIjlEEPS9_SE_NS0_5tupleIJPjSE_EEENSF_IJSE_SE_EEES9_SG_JZNS1_25segmented_radix_sort_implINS0_14default_configELb1EPKdPdPKlPlN2at6native12_GLOBAL__N_18offset_tEEE10hipError_tPvRmT1_PNSt15iterator_traitsISY_E10value_typeET2_T3_PNSZ_IS14_E10value_typeET4_jRbjT5_S1A_jjP12ihipStream_tbEUljE_EEESV_SW_SX_S14_S18_S1A_T6_T7_T9_mT8_S1C_bDpT10_ENKUlT_T0_E_clISt17integral_constantIbLb0EES1O_IbLb1EEEEDaS1K_S1L_EUlS1K_E_NS1_11comp_targetILNS1_3genE0ELNS1_11target_archE4294967295ELNS1_3gpuE0ELNS1_3repE0EEENS1_30default_config_static_selectorELNS0_4arch9wavefront6targetE0EEEvSY_.has_indirect_call, 0
	.section	.AMDGPU.csdata,"",@progbits
; Kernel info:
; codeLenInByte = 0
; TotalNumSgprs: 0
; NumVgprs: 0
; ScratchSize: 0
; MemoryBound: 0
; FloatMode: 240
; IeeeMode: 1
; LDSByteSize: 0 bytes/workgroup (compile time only)
; SGPRBlocks: 0
; VGPRBlocks: 0
; NumSGPRsForWavesPerEU: 1
; NumVGPRsForWavesPerEU: 1
; Occupancy: 16
; WaveLimiterHint : 0
; COMPUTE_PGM_RSRC2:SCRATCH_EN: 0
; COMPUTE_PGM_RSRC2:USER_SGPR: 6
; COMPUTE_PGM_RSRC2:TRAP_HANDLER: 0
; COMPUTE_PGM_RSRC2:TGID_X_EN: 1
; COMPUTE_PGM_RSRC2:TGID_Y_EN: 0
; COMPUTE_PGM_RSRC2:TGID_Z_EN: 0
; COMPUTE_PGM_RSRC2:TIDIG_COMP_CNT: 0
	.section	.text._ZN7rocprim17ROCPRIM_400000_NS6detail17trampoline_kernelINS0_13select_configILj256ELj13ELNS0_17block_load_methodE3ELS4_3ELS4_3ELNS0_20block_scan_algorithmE0ELj4294967295EEENS1_25partition_config_selectorILNS1_17partition_subalgoE3EjNS0_10empty_typeEbEEZZNS1_14partition_implILS8_3ELb0ES6_jNS0_17counting_iteratorIjlEEPS9_SE_NS0_5tupleIJPjSE_EEENSF_IJSE_SE_EEES9_SG_JZNS1_25segmented_radix_sort_implINS0_14default_configELb1EPKdPdPKlPlN2at6native12_GLOBAL__N_18offset_tEEE10hipError_tPvRmT1_PNSt15iterator_traitsISY_E10value_typeET2_T3_PNSZ_IS14_E10value_typeET4_jRbjT5_S1A_jjP12ihipStream_tbEUljE_EEESV_SW_SX_S14_S18_S1A_T6_T7_T9_mT8_S1C_bDpT10_ENKUlT_T0_E_clISt17integral_constantIbLb0EES1O_IbLb1EEEEDaS1K_S1L_EUlS1K_E_NS1_11comp_targetILNS1_3genE5ELNS1_11target_archE942ELNS1_3gpuE9ELNS1_3repE0EEENS1_30default_config_static_selectorELNS0_4arch9wavefront6targetE0EEEvSY_,"axG",@progbits,_ZN7rocprim17ROCPRIM_400000_NS6detail17trampoline_kernelINS0_13select_configILj256ELj13ELNS0_17block_load_methodE3ELS4_3ELS4_3ELNS0_20block_scan_algorithmE0ELj4294967295EEENS1_25partition_config_selectorILNS1_17partition_subalgoE3EjNS0_10empty_typeEbEEZZNS1_14partition_implILS8_3ELb0ES6_jNS0_17counting_iteratorIjlEEPS9_SE_NS0_5tupleIJPjSE_EEENSF_IJSE_SE_EEES9_SG_JZNS1_25segmented_radix_sort_implINS0_14default_configELb1EPKdPdPKlPlN2at6native12_GLOBAL__N_18offset_tEEE10hipError_tPvRmT1_PNSt15iterator_traitsISY_E10value_typeET2_T3_PNSZ_IS14_E10value_typeET4_jRbjT5_S1A_jjP12ihipStream_tbEUljE_EEESV_SW_SX_S14_S18_S1A_T6_T7_T9_mT8_S1C_bDpT10_ENKUlT_T0_E_clISt17integral_constantIbLb0EES1O_IbLb1EEEEDaS1K_S1L_EUlS1K_E_NS1_11comp_targetILNS1_3genE5ELNS1_11target_archE942ELNS1_3gpuE9ELNS1_3repE0EEENS1_30default_config_static_selectorELNS0_4arch9wavefront6targetE0EEEvSY_,comdat
	.globl	_ZN7rocprim17ROCPRIM_400000_NS6detail17trampoline_kernelINS0_13select_configILj256ELj13ELNS0_17block_load_methodE3ELS4_3ELS4_3ELNS0_20block_scan_algorithmE0ELj4294967295EEENS1_25partition_config_selectorILNS1_17partition_subalgoE3EjNS0_10empty_typeEbEEZZNS1_14partition_implILS8_3ELb0ES6_jNS0_17counting_iteratorIjlEEPS9_SE_NS0_5tupleIJPjSE_EEENSF_IJSE_SE_EEES9_SG_JZNS1_25segmented_radix_sort_implINS0_14default_configELb1EPKdPdPKlPlN2at6native12_GLOBAL__N_18offset_tEEE10hipError_tPvRmT1_PNSt15iterator_traitsISY_E10value_typeET2_T3_PNSZ_IS14_E10value_typeET4_jRbjT5_S1A_jjP12ihipStream_tbEUljE_EEESV_SW_SX_S14_S18_S1A_T6_T7_T9_mT8_S1C_bDpT10_ENKUlT_T0_E_clISt17integral_constantIbLb0EES1O_IbLb1EEEEDaS1K_S1L_EUlS1K_E_NS1_11comp_targetILNS1_3genE5ELNS1_11target_archE942ELNS1_3gpuE9ELNS1_3repE0EEENS1_30default_config_static_selectorELNS0_4arch9wavefront6targetE0EEEvSY_ ; -- Begin function _ZN7rocprim17ROCPRIM_400000_NS6detail17trampoline_kernelINS0_13select_configILj256ELj13ELNS0_17block_load_methodE3ELS4_3ELS4_3ELNS0_20block_scan_algorithmE0ELj4294967295EEENS1_25partition_config_selectorILNS1_17partition_subalgoE3EjNS0_10empty_typeEbEEZZNS1_14partition_implILS8_3ELb0ES6_jNS0_17counting_iteratorIjlEEPS9_SE_NS0_5tupleIJPjSE_EEENSF_IJSE_SE_EEES9_SG_JZNS1_25segmented_radix_sort_implINS0_14default_configELb1EPKdPdPKlPlN2at6native12_GLOBAL__N_18offset_tEEE10hipError_tPvRmT1_PNSt15iterator_traitsISY_E10value_typeET2_T3_PNSZ_IS14_E10value_typeET4_jRbjT5_S1A_jjP12ihipStream_tbEUljE_EEESV_SW_SX_S14_S18_S1A_T6_T7_T9_mT8_S1C_bDpT10_ENKUlT_T0_E_clISt17integral_constantIbLb0EES1O_IbLb1EEEEDaS1K_S1L_EUlS1K_E_NS1_11comp_targetILNS1_3genE5ELNS1_11target_archE942ELNS1_3gpuE9ELNS1_3repE0EEENS1_30default_config_static_selectorELNS0_4arch9wavefront6targetE0EEEvSY_
	.p2align	8
	.type	_ZN7rocprim17ROCPRIM_400000_NS6detail17trampoline_kernelINS0_13select_configILj256ELj13ELNS0_17block_load_methodE3ELS4_3ELS4_3ELNS0_20block_scan_algorithmE0ELj4294967295EEENS1_25partition_config_selectorILNS1_17partition_subalgoE3EjNS0_10empty_typeEbEEZZNS1_14partition_implILS8_3ELb0ES6_jNS0_17counting_iteratorIjlEEPS9_SE_NS0_5tupleIJPjSE_EEENSF_IJSE_SE_EEES9_SG_JZNS1_25segmented_radix_sort_implINS0_14default_configELb1EPKdPdPKlPlN2at6native12_GLOBAL__N_18offset_tEEE10hipError_tPvRmT1_PNSt15iterator_traitsISY_E10value_typeET2_T3_PNSZ_IS14_E10value_typeET4_jRbjT5_S1A_jjP12ihipStream_tbEUljE_EEESV_SW_SX_S14_S18_S1A_T6_T7_T9_mT8_S1C_bDpT10_ENKUlT_T0_E_clISt17integral_constantIbLb0EES1O_IbLb1EEEEDaS1K_S1L_EUlS1K_E_NS1_11comp_targetILNS1_3genE5ELNS1_11target_archE942ELNS1_3gpuE9ELNS1_3repE0EEENS1_30default_config_static_selectorELNS0_4arch9wavefront6targetE0EEEvSY_,@function
_ZN7rocprim17ROCPRIM_400000_NS6detail17trampoline_kernelINS0_13select_configILj256ELj13ELNS0_17block_load_methodE3ELS4_3ELS4_3ELNS0_20block_scan_algorithmE0ELj4294967295EEENS1_25partition_config_selectorILNS1_17partition_subalgoE3EjNS0_10empty_typeEbEEZZNS1_14partition_implILS8_3ELb0ES6_jNS0_17counting_iteratorIjlEEPS9_SE_NS0_5tupleIJPjSE_EEENSF_IJSE_SE_EEES9_SG_JZNS1_25segmented_radix_sort_implINS0_14default_configELb1EPKdPdPKlPlN2at6native12_GLOBAL__N_18offset_tEEE10hipError_tPvRmT1_PNSt15iterator_traitsISY_E10value_typeET2_T3_PNSZ_IS14_E10value_typeET4_jRbjT5_S1A_jjP12ihipStream_tbEUljE_EEESV_SW_SX_S14_S18_S1A_T6_T7_T9_mT8_S1C_bDpT10_ENKUlT_T0_E_clISt17integral_constantIbLb0EES1O_IbLb1EEEEDaS1K_S1L_EUlS1K_E_NS1_11comp_targetILNS1_3genE5ELNS1_11target_archE942ELNS1_3gpuE9ELNS1_3repE0EEENS1_30default_config_static_selectorELNS0_4arch9wavefront6targetE0EEEvSY_: ; @_ZN7rocprim17ROCPRIM_400000_NS6detail17trampoline_kernelINS0_13select_configILj256ELj13ELNS0_17block_load_methodE3ELS4_3ELS4_3ELNS0_20block_scan_algorithmE0ELj4294967295EEENS1_25partition_config_selectorILNS1_17partition_subalgoE3EjNS0_10empty_typeEbEEZZNS1_14partition_implILS8_3ELb0ES6_jNS0_17counting_iteratorIjlEEPS9_SE_NS0_5tupleIJPjSE_EEENSF_IJSE_SE_EEES9_SG_JZNS1_25segmented_radix_sort_implINS0_14default_configELb1EPKdPdPKlPlN2at6native12_GLOBAL__N_18offset_tEEE10hipError_tPvRmT1_PNSt15iterator_traitsISY_E10value_typeET2_T3_PNSZ_IS14_E10value_typeET4_jRbjT5_S1A_jjP12ihipStream_tbEUljE_EEESV_SW_SX_S14_S18_S1A_T6_T7_T9_mT8_S1C_bDpT10_ENKUlT_T0_E_clISt17integral_constantIbLb0EES1O_IbLb1EEEEDaS1K_S1L_EUlS1K_E_NS1_11comp_targetILNS1_3genE5ELNS1_11target_archE942ELNS1_3gpuE9ELNS1_3repE0EEENS1_30default_config_static_selectorELNS0_4arch9wavefront6targetE0EEEvSY_
; %bb.0:
	.section	.rodata,"a",@progbits
	.p2align	6, 0x0
	.amdhsa_kernel _ZN7rocprim17ROCPRIM_400000_NS6detail17trampoline_kernelINS0_13select_configILj256ELj13ELNS0_17block_load_methodE3ELS4_3ELS4_3ELNS0_20block_scan_algorithmE0ELj4294967295EEENS1_25partition_config_selectorILNS1_17partition_subalgoE3EjNS0_10empty_typeEbEEZZNS1_14partition_implILS8_3ELb0ES6_jNS0_17counting_iteratorIjlEEPS9_SE_NS0_5tupleIJPjSE_EEENSF_IJSE_SE_EEES9_SG_JZNS1_25segmented_radix_sort_implINS0_14default_configELb1EPKdPdPKlPlN2at6native12_GLOBAL__N_18offset_tEEE10hipError_tPvRmT1_PNSt15iterator_traitsISY_E10value_typeET2_T3_PNSZ_IS14_E10value_typeET4_jRbjT5_S1A_jjP12ihipStream_tbEUljE_EEESV_SW_SX_S14_S18_S1A_T6_T7_T9_mT8_S1C_bDpT10_ENKUlT_T0_E_clISt17integral_constantIbLb0EES1O_IbLb1EEEEDaS1K_S1L_EUlS1K_E_NS1_11comp_targetILNS1_3genE5ELNS1_11target_archE942ELNS1_3gpuE9ELNS1_3repE0EEENS1_30default_config_static_selectorELNS0_4arch9wavefront6targetE0EEEvSY_
		.amdhsa_group_segment_fixed_size 0
		.amdhsa_private_segment_fixed_size 0
		.amdhsa_kernarg_size 152
		.amdhsa_user_sgpr_count 6
		.amdhsa_user_sgpr_private_segment_buffer 1
		.amdhsa_user_sgpr_dispatch_ptr 0
		.amdhsa_user_sgpr_queue_ptr 0
		.amdhsa_user_sgpr_kernarg_segment_ptr 1
		.amdhsa_user_sgpr_dispatch_id 0
		.amdhsa_user_sgpr_flat_scratch_init 0
		.amdhsa_user_sgpr_private_segment_size 0
		.amdhsa_wavefront_size32 1
		.amdhsa_uses_dynamic_stack 0
		.amdhsa_system_sgpr_private_segment_wavefront_offset 0
		.amdhsa_system_sgpr_workgroup_id_x 1
		.amdhsa_system_sgpr_workgroup_id_y 0
		.amdhsa_system_sgpr_workgroup_id_z 0
		.amdhsa_system_sgpr_workgroup_info 0
		.amdhsa_system_vgpr_workitem_id 0
		.amdhsa_next_free_vgpr 1
		.amdhsa_next_free_sgpr 1
		.amdhsa_reserve_vcc 0
		.amdhsa_reserve_flat_scratch 0
		.amdhsa_float_round_mode_32 0
		.amdhsa_float_round_mode_16_64 0
		.amdhsa_float_denorm_mode_32 3
		.amdhsa_float_denorm_mode_16_64 3
		.amdhsa_dx10_clamp 1
		.amdhsa_ieee_mode 1
		.amdhsa_fp16_overflow 0
		.amdhsa_workgroup_processor_mode 1
		.amdhsa_memory_ordered 1
		.amdhsa_forward_progress 1
		.amdhsa_shared_vgpr_count 0
		.amdhsa_exception_fp_ieee_invalid_op 0
		.amdhsa_exception_fp_denorm_src 0
		.amdhsa_exception_fp_ieee_div_zero 0
		.amdhsa_exception_fp_ieee_overflow 0
		.amdhsa_exception_fp_ieee_underflow 0
		.amdhsa_exception_fp_ieee_inexact 0
		.amdhsa_exception_int_div_zero 0
	.end_amdhsa_kernel
	.section	.text._ZN7rocprim17ROCPRIM_400000_NS6detail17trampoline_kernelINS0_13select_configILj256ELj13ELNS0_17block_load_methodE3ELS4_3ELS4_3ELNS0_20block_scan_algorithmE0ELj4294967295EEENS1_25partition_config_selectorILNS1_17partition_subalgoE3EjNS0_10empty_typeEbEEZZNS1_14partition_implILS8_3ELb0ES6_jNS0_17counting_iteratorIjlEEPS9_SE_NS0_5tupleIJPjSE_EEENSF_IJSE_SE_EEES9_SG_JZNS1_25segmented_radix_sort_implINS0_14default_configELb1EPKdPdPKlPlN2at6native12_GLOBAL__N_18offset_tEEE10hipError_tPvRmT1_PNSt15iterator_traitsISY_E10value_typeET2_T3_PNSZ_IS14_E10value_typeET4_jRbjT5_S1A_jjP12ihipStream_tbEUljE_EEESV_SW_SX_S14_S18_S1A_T6_T7_T9_mT8_S1C_bDpT10_ENKUlT_T0_E_clISt17integral_constantIbLb0EES1O_IbLb1EEEEDaS1K_S1L_EUlS1K_E_NS1_11comp_targetILNS1_3genE5ELNS1_11target_archE942ELNS1_3gpuE9ELNS1_3repE0EEENS1_30default_config_static_selectorELNS0_4arch9wavefront6targetE0EEEvSY_,"axG",@progbits,_ZN7rocprim17ROCPRIM_400000_NS6detail17trampoline_kernelINS0_13select_configILj256ELj13ELNS0_17block_load_methodE3ELS4_3ELS4_3ELNS0_20block_scan_algorithmE0ELj4294967295EEENS1_25partition_config_selectorILNS1_17partition_subalgoE3EjNS0_10empty_typeEbEEZZNS1_14partition_implILS8_3ELb0ES6_jNS0_17counting_iteratorIjlEEPS9_SE_NS0_5tupleIJPjSE_EEENSF_IJSE_SE_EEES9_SG_JZNS1_25segmented_radix_sort_implINS0_14default_configELb1EPKdPdPKlPlN2at6native12_GLOBAL__N_18offset_tEEE10hipError_tPvRmT1_PNSt15iterator_traitsISY_E10value_typeET2_T3_PNSZ_IS14_E10value_typeET4_jRbjT5_S1A_jjP12ihipStream_tbEUljE_EEESV_SW_SX_S14_S18_S1A_T6_T7_T9_mT8_S1C_bDpT10_ENKUlT_T0_E_clISt17integral_constantIbLb0EES1O_IbLb1EEEEDaS1K_S1L_EUlS1K_E_NS1_11comp_targetILNS1_3genE5ELNS1_11target_archE942ELNS1_3gpuE9ELNS1_3repE0EEENS1_30default_config_static_selectorELNS0_4arch9wavefront6targetE0EEEvSY_,comdat
.Lfunc_end1103:
	.size	_ZN7rocprim17ROCPRIM_400000_NS6detail17trampoline_kernelINS0_13select_configILj256ELj13ELNS0_17block_load_methodE3ELS4_3ELS4_3ELNS0_20block_scan_algorithmE0ELj4294967295EEENS1_25partition_config_selectorILNS1_17partition_subalgoE3EjNS0_10empty_typeEbEEZZNS1_14partition_implILS8_3ELb0ES6_jNS0_17counting_iteratorIjlEEPS9_SE_NS0_5tupleIJPjSE_EEENSF_IJSE_SE_EEES9_SG_JZNS1_25segmented_radix_sort_implINS0_14default_configELb1EPKdPdPKlPlN2at6native12_GLOBAL__N_18offset_tEEE10hipError_tPvRmT1_PNSt15iterator_traitsISY_E10value_typeET2_T3_PNSZ_IS14_E10value_typeET4_jRbjT5_S1A_jjP12ihipStream_tbEUljE_EEESV_SW_SX_S14_S18_S1A_T6_T7_T9_mT8_S1C_bDpT10_ENKUlT_T0_E_clISt17integral_constantIbLb0EES1O_IbLb1EEEEDaS1K_S1L_EUlS1K_E_NS1_11comp_targetILNS1_3genE5ELNS1_11target_archE942ELNS1_3gpuE9ELNS1_3repE0EEENS1_30default_config_static_selectorELNS0_4arch9wavefront6targetE0EEEvSY_, .Lfunc_end1103-_ZN7rocprim17ROCPRIM_400000_NS6detail17trampoline_kernelINS0_13select_configILj256ELj13ELNS0_17block_load_methodE3ELS4_3ELS4_3ELNS0_20block_scan_algorithmE0ELj4294967295EEENS1_25partition_config_selectorILNS1_17partition_subalgoE3EjNS0_10empty_typeEbEEZZNS1_14partition_implILS8_3ELb0ES6_jNS0_17counting_iteratorIjlEEPS9_SE_NS0_5tupleIJPjSE_EEENSF_IJSE_SE_EEES9_SG_JZNS1_25segmented_radix_sort_implINS0_14default_configELb1EPKdPdPKlPlN2at6native12_GLOBAL__N_18offset_tEEE10hipError_tPvRmT1_PNSt15iterator_traitsISY_E10value_typeET2_T3_PNSZ_IS14_E10value_typeET4_jRbjT5_S1A_jjP12ihipStream_tbEUljE_EEESV_SW_SX_S14_S18_S1A_T6_T7_T9_mT8_S1C_bDpT10_ENKUlT_T0_E_clISt17integral_constantIbLb0EES1O_IbLb1EEEEDaS1K_S1L_EUlS1K_E_NS1_11comp_targetILNS1_3genE5ELNS1_11target_archE942ELNS1_3gpuE9ELNS1_3repE0EEENS1_30default_config_static_selectorELNS0_4arch9wavefront6targetE0EEEvSY_
                                        ; -- End function
	.set _ZN7rocprim17ROCPRIM_400000_NS6detail17trampoline_kernelINS0_13select_configILj256ELj13ELNS0_17block_load_methodE3ELS4_3ELS4_3ELNS0_20block_scan_algorithmE0ELj4294967295EEENS1_25partition_config_selectorILNS1_17partition_subalgoE3EjNS0_10empty_typeEbEEZZNS1_14partition_implILS8_3ELb0ES6_jNS0_17counting_iteratorIjlEEPS9_SE_NS0_5tupleIJPjSE_EEENSF_IJSE_SE_EEES9_SG_JZNS1_25segmented_radix_sort_implINS0_14default_configELb1EPKdPdPKlPlN2at6native12_GLOBAL__N_18offset_tEEE10hipError_tPvRmT1_PNSt15iterator_traitsISY_E10value_typeET2_T3_PNSZ_IS14_E10value_typeET4_jRbjT5_S1A_jjP12ihipStream_tbEUljE_EEESV_SW_SX_S14_S18_S1A_T6_T7_T9_mT8_S1C_bDpT10_ENKUlT_T0_E_clISt17integral_constantIbLb0EES1O_IbLb1EEEEDaS1K_S1L_EUlS1K_E_NS1_11comp_targetILNS1_3genE5ELNS1_11target_archE942ELNS1_3gpuE9ELNS1_3repE0EEENS1_30default_config_static_selectorELNS0_4arch9wavefront6targetE0EEEvSY_.num_vgpr, 0
	.set _ZN7rocprim17ROCPRIM_400000_NS6detail17trampoline_kernelINS0_13select_configILj256ELj13ELNS0_17block_load_methodE3ELS4_3ELS4_3ELNS0_20block_scan_algorithmE0ELj4294967295EEENS1_25partition_config_selectorILNS1_17partition_subalgoE3EjNS0_10empty_typeEbEEZZNS1_14partition_implILS8_3ELb0ES6_jNS0_17counting_iteratorIjlEEPS9_SE_NS0_5tupleIJPjSE_EEENSF_IJSE_SE_EEES9_SG_JZNS1_25segmented_radix_sort_implINS0_14default_configELb1EPKdPdPKlPlN2at6native12_GLOBAL__N_18offset_tEEE10hipError_tPvRmT1_PNSt15iterator_traitsISY_E10value_typeET2_T3_PNSZ_IS14_E10value_typeET4_jRbjT5_S1A_jjP12ihipStream_tbEUljE_EEESV_SW_SX_S14_S18_S1A_T6_T7_T9_mT8_S1C_bDpT10_ENKUlT_T0_E_clISt17integral_constantIbLb0EES1O_IbLb1EEEEDaS1K_S1L_EUlS1K_E_NS1_11comp_targetILNS1_3genE5ELNS1_11target_archE942ELNS1_3gpuE9ELNS1_3repE0EEENS1_30default_config_static_selectorELNS0_4arch9wavefront6targetE0EEEvSY_.num_agpr, 0
	.set _ZN7rocprim17ROCPRIM_400000_NS6detail17trampoline_kernelINS0_13select_configILj256ELj13ELNS0_17block_load_methodE3ELS4_3ELS4_3ELNS0_20block_scan_algorithmE0ELj4294967295EEENS1_25partition_config_selectorILNS1_17partition_subalgoE3EjNS0_10empty_typeEbEEZZNS1_14partition_implILS8_3ELb0ES6_jNS0_17counting_iteratorIjlEEPS9_SE_NS0_5tupleIJPjSE_EEENSF_IJSE_SE_EEES9_SG_JZNS1_25segmented_radix_sort_implINS0_14default_configELb1EPKdPdPKlPlN2at6native12_GLOBAL__N_18offset_tEEE10hipError_tPvRmT1_PNSt15iterator_traitsISY_E10value_typeET2_T3_PNSZ_IS14_E10value_typeET4_jRbjT5_S1A_jjP12ihipStream_tbEUljE_EEESV_SW_SX_S14_S18_S1A_T6_T7_T9_mT8_S1C_bDpT10_ENKUlT_T0_E_clISt17integral_constantIbLb0EES1O_IbLb1EEEEDaS1K_S1L_EUlS1K_E_NS1_11comp_targetILNS1_3genE5ELNS1_11target_archE942ELNS1_3gpuE9ELNS1_3repE0EEENS1_30default_config_static_selectorELNS0_4arch9wavefront6targetE0EEEvSY_.numbered_sgpr, 0
	.set _ZN7rocprim17ROCPRIM_400000_NS6detail17trampoline_kernelINS0_13select_configILj256ELj13ELNS0_17block_load_methodE3ELS4_3ELS4_3ELNS0_20block_scan_algorithmE0ELj4294967295EEENS1_25partition_config_selectorILNS1_17partition_subalgoE3EjNS0_10empty_typeEbEEZZNS1_14partition_implILS8_3ELb0ES6_jNS0_17counting_iteratorIjlEEPS9_SE_NS0_5tupleIJPjSE_EEENSF_IJSE_SE_EEES9_SG_JZNS1_25segmented_radix_sort_implINS0_14default_configELb1EPKdPdPKlPlN2at6native12_GLOBAL__N_18offset_tEEE10hipError_tPvRmT1_PNSt15iterator_traitsISY_E10value_typeET2_T3_PNSZ_IS14_E10value_typeET4_jRbjT5_S1A_jjP12ihipStream_tbEUljE_EEESV_SW_SX_S14_S18_S1A_T6_T7_T9_mT8_S1C_bDpT10_ENKUlT_T0_E_clISt17integral_constantIbLb0EES1O_IbLb1EEEEDaS1K_S1L_EUlS1K_E_NS1_11comp_targetILNS1_3genE5ELNS1_11target_archE942ELNS1_3gpuE9ELNS1_3repE0EEENS1_30default_config_static_selectorELNS0_4arch9wavefront6targetE0EEEvSY_.num_named_barrier, 0
	.set _ZN7rocprim17ROCPRIM_400000_NS6detail17trampoline_kernelINS0_13select_configILj256ELj13ELNS0_17block_load_methodE3ELS4_3ELS4_3ELNS0_20block_scan_algorithmE0ELj4294967295EEENS1_25partition_config_selectorILNS1_17partition_subalgoE3EjNS0_10empty_typeEbEEZZNS1_14partition_implILS8_3ELb0ES6_jNS0_17counting_iteratorIjlEEPS9_SE_NS0_5tupleIJPjSE_EEENSF_IJSE_SE_EEES9_SG_JZNS1_25segmented_radix_sort_implINS0_14default_configELb1EPKdPdPKlPlN2at6native12_GLOBAL__N_18offset_tEEE10hipError_tPvRmT1_PNSt15iterator_traitsISY_E10value_typeET2_T3_PNSZ_IS14_E10value_typeET4_jRbjT5_S1A_jjP12ihipStream_tbEUljE_EEESV_SW_SX_S14_S18_S1A_T6_T7_T9_mT8_S1C_bDpT10_ENKUlT_T0_E_clISt17integral_constantIbLb0EES1O_IbLb1EEEEDaS1K_S1L_EUlS1K_E_NS1_11comp_targetILNS1_3genE5ELNS1_11target_archE942ELNS1_3gpuE9ELNS1_3repE0EEENS1_30default_config_static_selectorELNS0_4arch9wavefront6targetE0EEEvSY_.private_seg_size, 0
	.set _ZN7rocprim17ROCPRIM_400000_NS6detail17trampoline_kernelINS0_13select_configILj256ELj13ELNS0_17block_load_methodE3ELS4_3ELS4_3ELNS0_20block_scan_algorithmE0ELj4294967295EEENS1_25partition_config_selectorILNS1_17partition_subalgoE3EjNS0_10empty_typeEbEEZZNS1_14partition_implILS8_3ELb0ES6_jNS0_17counting_iteratorIjlEEPS9_SE_NS0_5tupleIJPjSE_EEENSF_IJSE_SE_EEES9_SG_JZNS1_25segmented_radix_sort_implINS0_14default_configELb1EPKdPdPKlPlN2at6native12_GLOBAL__N_18offset_tEEE10hipError_tPvRmT1_PNSt15iterator_traitsISY_E10value_typeET2_T3_PNSZ_IS14_E10value_typeET4_jRbjT5_S1A_jjP12ihipStream_tbEUljE_EEESV_SW_SX_S14_S18_S1A_T6_T7_T9_mT8_S1C_bDpT10_ENKUlT_T0_E_clISt17integral_constantIbLb0EES1O_IbLb1EEEEDaS1K_S1L_EUlS1K_E_NS1_11comp_targetILNS1_3genE5ELNS1_11target_archE942ELNS1_3gpuE9ELNS1_3repE0EEENS1_30default_config_static_selectorELNS0_4arch9wavefront6targetE0EEEvSY_.uses_vcc, 0
	.set _ZN7rocprim17ROCPRIM_400000_NS6detail17trampoline_kernelINS0_13select_configILj256ELj13ELNS0_17block_load_methodE3ELS4_3ELS4_3ELNS0_20block_scan_algorithmE0ELj4294967295EEENS1_25partition_config_selectorILNS1_17partition_subalgoE3EjNS0_10empty_typeEbEEZZNS1_14partition_implILS8_3ELb0ES6_jNS0_17counting_iteratorIjlEEPS9_SE_NS0_5tupleIJPjSE_EEENSF_IJSE_SE_EEES9_SG_JZNS1_25segmented_radix_sort_implINS0_14default_configELb1EPKdPdPKlPlN2at6native12_GLOBAL__N_18offset_tEEE10hipError_tPvRmT1_PNSt15iterator_traitsISY_E10value_typeET2_T3_PNSZ_IS14_E10value_typeET4_jRbjT5_S1A_jjP12ihipStream_tbEUljE_EEESV_SW_SX_S14_S18_S1A_T6_T7_T9_mT8_S1C_bDpT10_ENKUlT_T0_E_clISt17integral_constantIbLb0EES1O_IbLb1EEEEDaS1K_S1L_EUlS1K_E_NS1_11comp_targetILNS1_3genE5ELNS1_11target_archE942ELNS1_3gpuE9ELNS1_3repE0EEENS1_30default_config_static_selectorELNS0_4arch9wavefront6targetE0EEEvSY_.uses_flat_scratch, 0
	.set _ZN7rocprim17ROCPRIM_400000_NS6detail17trampoline_kernelINS0_13select_configILj256ELj13ELNS0_17block_load_methodE3ELS4_3ELS4_3ELNS0_20block_scan_algorithmE0ELj4294967295EEENS1_25partition_config_selectorILNS1_17partition_subalgoE3EjNS0_10empty_typeEbEEZZNS1_14partition_implILS8_3ELb0ES6_jNS0_17counting_iteratorIjlEEPS9_SE_NS0_5tupleIJPjSE_EEENSF_IJSE_SE_EEES9_SG_JZNS1_25segmented_radix_sort_implINS0_14default_configELb1EPKdPdPKlPlN2at6native12_GLOBAL__N_18offset_tEEE10hipError_tPvRmT1_PNSt15iterator_traitsISY_E10value_typeET2_T3_PNSZ_IS14_E10value_typeET4_jRbjT5_S1A_jjP12ihipStream_tbEUljE_EEESV_SW_SX_S14_S18_S1A_T6_T7_T9_mT8_S1C_bDpT10_ENKUlT_T0_E_clISt17integral_constantIbLb0EES1O_IbLb1EEEEDaS1K_S1L_EUlS1K_E_NS1_11comp_targetILNS1_3genE5ELNS1_11target_archE942ELNS1_3gpuE9ELNS1_3repE0EEENS1_30default_config_static_selectorELNS0_4arch9wavefront6targetE0EEEvSY_.has_dyn_sized_stack, 0
	.set _ZN7rocprim17ROCPRIM_400000_NS6detail17trampoline_kernelINS0_13select_configILj256ELj13ELNS0_17block_load_methodE3ELS4_3ELS4_3ELNS0_20block_scan_algorithmE0ELj4294967295EEENS1_25partition_config_selectorILNS1_17partition_subalgoE3EjNS0_10empty_typeEbEEZZNS1_14partition_implILS8_3ELb0ES6_jNS0_17counting_iteratorIjlEEPS9_SE_NS0_5tupleIJPjSE_EEENSF_IJSE_SE_EEES9_SG_JZNS1_25segmented_radix_sort_implINS0_14default_configELb1EPKdPdPKlPlN2at6native12_GLOBAL__N_18offset_tEEE10hipError_tPvRmT1_PNSt15iterator_traitsISY_E10value_typeET2_T3_PNSZ_IS14_E10value_typeET4_jRbjT5_S1A_jjP12ihipStream_tbEUljE_EEESV_SW_SX_S14_S18_S1A_T6_T7_T9_mT8_S1C_bDpT10_ENKUlT_T0_E_clISt17integral_constantIbLb0EES1O_IbLb1EEEEDaS1K_S1L_EUlS1K_E_NS1_11comp_targetILNS1_3genE5ELNS1_11target_archE942ELNS1_3gpuE9ELNS1_3repE0EEENS1_30default_config_static_selectorELNS0_4arch9wavefront6targetE0EEEvSY_.has_recursion, 0
	.set _ZN7rocprim17ROCPRIM_400000_NS6detail17trampoline_kernelINS0_13select_configILj256ELj13ELNS0_17block_load_methodE3ELS4_3ELS4_3ELNS0_20block_scan_algorithmE0ELj4294967295EEENS1_25partition_config_selectorILNS1_17partition_subalgoE3EjNS0_10empty_typeEbEEZZNS1_14partition_implILS8_3ELb0ES6_jNS0_17counting_iteratorIjlEEPS9_SE_NS0_5tupleIJPjSE_EEENSF_IJSE_SE_EEES9_SG_JZNS1_25segmented_radix_sort_implINS0_14default_configELb1EPKdPdPKlPlN2at6native12_GLOBAL__N_18offset_tEEE10hipError_tPvRmT1_PNSt15iterator_traitsISY_E10value_typeET2_T3_PNSZ_IS14_E10value_typeET4_jRbjT5_S1A_jjP12ihipStream_tbEUljE_EEESV_SW_SX_S14_S18_S1A_T6_T7_T9_mT8_S1C_bDpT10_ENKUlT_T0_E_clISt17integral_constantIbLb0EES1O_IbLb1EEEEDaS1K_S1L_EUlS1K_E_NS1_11comp_targetILNS1_3genE5ELNS1_11target_archE942ELNS1_3gpuE9ELNS1_3repE0EEENS1_30default_config_static_selectorELNS0_4arch9wavefront6targetE0EEEvSY_.has_indirect_call, 0
	.section	.AMDGPU.csdata,"",@progbits
; Kernel info:
; codeLenInByte = 0
; TotalNumSgprs: 0
; NumVgprs: 0
; ScratchSize: 0
; MemoryBound: 0
; FloatMode: 240
; IeeeMode: 1
; LDSByteSize: 0 bytes/workgroup (compile time only)
; SGPRBlocks: 0
; VGPRBlocks: 0
; NumSGPRsForWavesPerEU: 1
; NumVGPRsForWavesPerEU: 1
; Occupancy: 16
; WaveLimiterHint : 0
; COMPUTE_PGM_RSRC2:SCRATCH_EN: 0
; COMPUTE_PGM_RSRC2:USER_SGPR: 6
; COMPUTE_PGM_RSRC2:TRAP_HANDLER: 0
; COMPUTE_PGM_RSRC2:TGID_X_EN: 1
; COMPUTE_PGM_RSRC2:TGID_Y_EN: 0
; COMPUTE_PGM_RSRC2:TGID_Z_EN: 0
; COMPUTE_PGM_RSRC2:TIDIG_COMP_CNT: 0
	.section	.text._ZN7rocprim17ROCPRIM_400000_NS6detail17trampoline_kernelINS0_13select_configILj256ELj13ELNS0_17block_load_methodE3ELS4_3ELS4_3ELNS0_20block_scan_algorithmE0ELj4294967295EEENS1_25partition_config_selectorILNS1_17partition_subalgoE3EjNS0_10empty_typeEbEEZZNS1_14partition_implILS8_3ELb0ES6_jNS0_17counting_iteratorIjlEEPS9_SE_NS0_5tupleIJPjSE_EEENSF_IJSE_SE_EEES9_SG_JZNS1_25segmented_radix_sort_implINS0_14default_configELb1EPKdPdPKlPlN2at6native12_GLOBAL__N_18offset_tEEE10hipError_tPvRmT1_PNSt15iterator_traitsISY_E10value_typeET2_T3_PNSZ_IS14_E10value_typeET4_jRbjT5_S1A_jjP12ihipStream_tbEUljE_EEESV_SW_SX_S14_S18_S1A_T6_T7_T9_mT8_S1C_bDpT10_ENKUlT_T0_E_clISt17integral_constantIbLb0EES1O_IbLb1EEEEDaS1K_S1L_EUlS1K_E_NS1_11comp_targetILNS1_3genE4ELNS1_11target_archE910ELNS1_3gpuE8ELNS1_3repE0EEENS1_30default_config_static_selectorELNS0_4arch9wavefront6targetE0EEEvSY_,"axG",@progbits,_ZN7rocprim17ROCPRIM_400000_NS6detail17trampoline_kernelINS0_13select_configILj256ELj13ELNS0_17block_load_methodE3ELS4_3ELS4_3ELNS0_20block_scan_algorithmE0ELj4294967295EEENS1_25partition_config_selectorILNS1_17partition_subalgoE3EjNS0_10empty_typeEbEEZZNS1_14partition_implILS8_3ELb0ES6_jNS0_17counting_iteratorIjlEEPS9_SE_NS0_5tupleIJPjSE_EEENSF_IJSE_SE_EEES9_SG_JZNS1_25segmented_radix_sort_implINS0_14default_configELb1EPKdPdPKlPlN2at6native12_GLOBAL__N_18offset_tEEE10hipError_tPvRmT1_PNSt15iterator_traitsISY_E10value_typeET2_T3_PNSZ_IS14_E10value_typeET4_jRbjT5_S1A_jjP12ihipStream_tbEUljE_EEESV_SW_SX_S14_S18_S1A_T6_T7_T9_mT8_S1C_bDpT10_ENKUlT_T0_E_clISt17integral_constantIbLb0EES1O_IbLb1EEEEDaS1K_S1L_EUlS1K_E_NS1_11comp_targetILNS1_3genE4ELNS1_11target_archE910ELNS1_3gpuE8ELNS1_3repE0EEENS1_30default_config_static_selectorELNS0_4arch9wavefront6targetE0EEEvSY_,comdat
	.globl	_ZN7rocprim17ROCPRIM_400000_NS6detail17trampoline_kernelINS0_13select_configILj256ELj13ELNS0_17block_load_methodE3ELS4_3ELS4_3ELNS0_20block_scan_algorithmE0ELj4294967295EEENS1_25partition_config_selectorILNS1_17partition_subalgoE3EjNS0_10empty_typeEbEEZZNS1_14partition_implILS8_3ELb0ES6_jNS0_17counting_iteratorIjlEEPS9_SE_NS0_5tupleIJPjSE_EEENSF_IJSE_SE_EEES9_SG_JZNS1_25segmented_radix_sort_implINS0_14default_configELb1EPKdPdPKlPlN2at6native12_GLOBAL__N_18offset_tEEE10hipError_tPvRmT1_PNSt15iterator_traitsISY_E10value_typeET2_T3_PNSZ_IS14_E10value_typeET4_jRbjT5_S1A_jjP12ihipStream_tbEUljE_EEESV_SW_SX_S14_S18_S1A_T6_T7_T9_mT8_S1C_bDpT10_ENKUlT_T0_E_clISt17integral_constantIbLb0EES1O_IbLb1EEEEDaS1K_S1L_EUlS1K_E_NS1_11comp_targetILNS1_3genE4ELNS1_11target_archE910ELNS1_3gpuE8ELNS1_3repE0EEENS1_30default_config_static_selectorELNS0_4arch9wavefront6targetE0EEEvSY_ ; -- Begin function _ZN7rocprim17ROCPRIM_400000_NS6detail17trampoline_kernelINS0_13select_configILj256ELj13ELNS0_17block_load_methodE3ELS4_3ELS4_3ELNS0_20block_scan_algorithmE0ELj4294967295EEENS1_25partition_config_selectorILNS1_17partition_subalgoE3EjNS0_10empty_typeEbEEZZNS1_14partition_implILS8_3ELb0ES6_jNS0_17counting_iteratorIjlEEPS9_SE_NS0_5tupleIJPjSE_EEENSF_IJSE_SE_EEES9_SG_JZNS1_25segmented_radix_sort_implINS0_14default_configELb1EPKdPdPKlPlN2at6native12_GLOBAL__N_18offset_tEEE10hipError_tPvRmT1_PNSt15iterator_traitsISY_E10value_typeET2_T3_PNSZ_IS14_E10value_typeET4_jRbjT5_S1A_jjP12ihipStream_tbEUljE_EEESV_SW_SX_S14_S18_S1A_T6_T7_T9_mT8_S1C_bDpT10_ENKUlT_T0_E_clISt17integral_constantIbLb0EES1O_IbLb1EEEEDaS1K_S1L_EUlS1K_E_NS1_11comp_targetILNS1_3genE4ELNS1_11target_archE910ELNS1_3gpuE8ELNS1_3repE0EEENS1_30default_config_static_selectorELNS0_4arch9wavefront6targetE0EEEvSY_
	.p2align	8
	.type	_ZN7rocprim17ROCPRIM_400000_NS6detail17trampoline_kernelINS0_13select_configILj256ELj13ELNS0_17block_load_methodE3ELS4_3ELS4_3ELNS0_20block_scan_algorithmE0ELj4294967295EEENS1_25partition_config_selectorILNS1_17partition_subalgoE3EjNS0_10empty_typeEbEEZZNS1_14partition_implILS8_3ELb0ES6_jNS0_17counting_iteratorIjlEEPS9_SE_NS0_5tupleIJPjSE_EEENSF_IJSE_SE_EEES9_SG_JZNS1_25segmented_radix_sort_implINS0_14default_configELb1EPKdPdPKlPlN2at6native12_GLOBAL__N_18offset_tEEE10hipError_tPvRmT1_PNSt15iterator_traitsISY_E10value_typeET2_T3_PNSZ_IS14_E10value_typeET4_jRbjT5_S1A_jjP12ihipStream_tbEUljE_EEESV_SW_SX_S14_S18_S1A_T6_T7_T9_mT8_S1C_bDpT10_ENKUlT_T0_E_clISt17integral_constantIbLb0EES1O_IbLb1EEEEDaS1K_S1L_EUlS1K_E_NS1_11comp_targetILNS1_3genE4ELNS1_11target_archE910ELNS1_3gpuE8ELNS1_3repE0EEENS1_30default_config_static_selectorELNS0_4arch9wavefront6targetE0EEEvSY_,@function
_ZN7rocprim17ROCPRIM_400000_NS6detail17trampoline_kernelINS0_13select_configILj256ELj13ELNS0_17block_load_methodE3ELS4_3ELS4_3ELNS0_20block_scan_algorithmE0ELj4294967295EEENS1_25partition_config_selectorILNS1_17partition_subalgoE3EjNS0_10empty_typeEbEEZZNS1_14partition_implILS8_3ELb0ES6_jNS0_17counting_iteratorIjlEEPS9_SE_NS0_5tupleIJPjSE_EEENSF_IJSE_SE_EEES9_SG_JZNS1_25segmented_radix_sort_implINS0_14default_configELb1EPKdPdPKlPlN2at6native12_GLOBAL__N_18offset_tEEE10hipError_tPvRmT1_PNSt15iterator_traitsISY_E10value_typeET2_T3_PNSZ_IS14_E10value_typeET4_jRbjT5_S1A_jjP12ihipStream_tbEUljE_EEESV_SW_SX_S14_S18_S1A_T6_T7_T9_mT8_S1C_bDpT10_ENKUlT_T0_E_clISt17integral_constantIbLb0EES1O_IbLb1EEEEDaS1K_S1L_EUlS1K_E_NS1_11comp_targetILNS1_3genE4ELNS1_11target_archE910ELNS1_3gpuE8ELNS1_3repE0EEENS1_30default_config_static_selectorELNS0_4arch9wavefront6targetE0EEEvSY_: ; @_ZN7rocprim17ROCPRIM_400000_NS6detail17trampoline_kernelINS0_13select_configILj256ELj13ELNS0_17block_load_methodE3ELS4_3ELS4_3ELNS0_20block_scan_algorithmE0ELj4294967295EEENS1_25partition_config_selectorILNS1_17partition_subalgoE3EjNS0_10empty_typeEbEEZZNS1_14partition_implILS8_3ELb0ES6_jNS0_17counting_iteratorIjlEEPS9_SE_NS0_5tupleIJPjSE_EEENSF_IJSE_SE_EEES9_SG_JZNS1_25segmented_radix_sort_implINS0_14default_configELb1EPKdPdPKlPlN2at6native12_GLOBAL__N_18offset_tEEE10hipError_tPvRmT1_PNSt15iterator_traitsISY_E10value_typeET2_T3_PNSZ_IS14_E10value_typeET4_jRbjT5_S1A_jjP12ihipStream_tbEUljE_EEESV_SW_SX_S14_S18_S1A_T6_T7_T9_mT8_S1C_bDpT10_ENKUlT_T0_E_clISt17integral_constantIbLb0EES1O_IbLb1EEEEDaS1K_S1L_EUlS1K_E_NS1_11comp_targetILNS1_3genE4ELNS1_11target_archE910ELNS1_3gpuE8ELNS1_3repE0EEENS1_30default_config_static_selectorELNS0_4arch9wavefront6targetE0EEEvSY_
; %bb.0:
	.section	.rodata,"a",@progbits
	.p2align	6, 0x0
	.amdhsa_kernel _ZN7rocprim17ROCPRIM_400000_NS6detail17trampoline_kernelINS0_13select_configILj256ELj13ELNS0_17block_load_methodE3ELS4_3ELS4_3ELNS0_20block_scan_algorithmE0ELj4294967295EEENS1_25partition_config_selectorILNS1_17partition_subalgoE3EjNS0_10empty_typeEbEEZZNS1_14partition_implILS8_3ELb0ES6_jNS0_17counting_iteratorIjlEEPS9_SE_NS0_5tupleIJPjSE_EEENSF_IJSE_SE_EEES9_SG_JZNS1_25segmented_radix_sort_implINS0_14default_configELb1EPKdPdPKlPlN2at6native12_GLOBAL__N_18offset_tEEE10hipError_tPvRmT1_PNSt15iterator_traitsISY_E10value_typeET2_T3_PNSZ_IS14_E10value_typeET4_jRbjT5_S1A_jjP12ihipStream_tbEUljE_EEESV_SW_SX_S14_S18_S1A_T6_T7_T9_mT8_S1C_bDpT10_ENKUlT_T0_E_clISt17integral_constantIbLb0EES1O_IbLb1EEEEDaS1K_S1L_EUlS1K_E_NS1_11comp_targetILNS1_3genE4ELNS1_11target_archE910ELNS1_3gpuE8ELNS1_3repE0EEENS1_30default_config_static_selectorELNS0_4arch9wavefront6targetE0EEEvSY_
		.amdhsa_group_segment_fixed_size 0
		.amdhsa_private_segment_fixed_size 0
		.amdhsa_kernarg_size 152
		.amdhsa_user_sgpr_count 6
		.amdhsa_user_sgpr_private_segment_buffer 1
		.amdhsa_user_sgpr_dispatch_ptr 0
		.amdhsa_user_sgpr_queue_ptr 0
		.amdhsa_user_sgpr_kernarg_segment_ptr 1
		.amdhsa_user_sgpr_dispatch_id 0
		.amdhsa_user_sgpr_flat_scratch_init 0
		.amdhsa_user_sgpr_private_segment_size 0
		.amdhsa_wavefront_size32 1
		.amdhsa_uses_dynamic_stack 0
		.amdhsa_system_sgpr_private_segment_wavefront_offset 0
		.amdhsa_system_sgpr_workgroup_id_x 1
		.amdhsa_system_sgpr_workgroup_id_y 0
		.amdhsa_system_sgpr_workgroup_id_z 0
		.amdhsa_system_sgpr_workgroup_info 0
		.amdhsa_system_vgpr_workitem_id 0
		.amdhsa_next_free_vgpr 1
		.amdhsa_next_free_sgpr 1
		.amdhsa_reserve_vcc 0
		.amdhsa_reserve_flat_scratch 0
		.amdhsa_float_round_mode_32 0
		.amdhsa_float_round_mode_16_64 0
		.amdhsa_float_denorm_mode_32 3
		.amdhsa_float_denorm_mode_16_64 3
		.amdhsa_dx10_clamp 1
		.amdhsa_ieee_mode 1
		.amdhsa_fp16_overflow 0
		.amdhsa_workgroup_processor_mode 1
		.amdhsa_memory_ordered 1
		.amdhsa_forward_progress 1
		.amdhsa_shared_vgpr_count 0
		.amdhsa_exception_fp_ieee_invalid_op 0
		.amdhsa_exception_fp_denorm_src 0
		.amdhsa_exception_fp_ieee_div_zero 0
		.amdhsa_exception_fp_ieee_overflow 0
		.amdhsa_exception_fp_ieee_underflow 0
		.amdhsa_exception_fp_ieee_inexact 0
		.amdhsa_exception_int_div_zero 0
	.end_amdhsa_kernel
	.section	.text._ZN7rocprim17ROCPRIM_400000_NS6detail17trampoline_kernelINS0_13select_configILj256ELj13ELNS0_17block_load_methodE3ELS4_3ELS4_3ELNS0_20block_scan_algorithmE0ELj4294967295EEENS1_25partition_config_selectorILNS1_17partition_subalgoE3EjNS0_10empty_typeEbEEZZNS1_14partition_implILS8_3ELb0ES6_jNS0_17counting_iteratorIjlEEPS9_SE_NS0_5tupleIJPjSE_EEENSF_IJSE_SE_EEES9_SG_JZNS1_25segmented_radix_sort_implINS0_14default_configELb1EPKdPdPKlPlN2at6native12_GLOBAL__N_18offset_tEEE10hipError_tPvRmT1_PNSt15iterator_traitsISY_E10value_typeET2_T3_PNSZ_IS14_E10value_typeET4_jRbjT5_S1A_jjP12ihipStream_tbEUljE_EEESV_SW_SX_S14_S18_S1A_T6_T7_T9_mT8_S1C_bDpT10_ENKUlT_T0_E_clISt17integral_constantIbLb0EES1O_IbLb1EEEEDaS1K_S1L_EUlS1K_E_NS1_11comp_targetILNS1_3genE4ELNS1_11target_archE910ELNS1_3gpuE8ELNS1_3repE0EEENS1_30default_config_static_selectorELNS0_4arch9wavefront6targetE0EEEvSY_,"axG",@progbits,_ZN7rocprim17ROCPRIM_400000_NS6detail17trampoline_kernelINS0_13select_configILj256ELj13ELNS0_17block_load_methodE3ELS4_3ELS4_3ELNS0_20block_scan_algorithmE0ELj4294967295EEENS1_25partition_config_selectorILNS1_17partition_subalgoE3EjNS0_10empty_typeEbEEZZNS1_14partition_implILS8_3ELb0ES6_jNS0_17counting_iteratorIjlEEPS9_SE_NS0_5tupleIJPjSE_EEENSF_IJSE_SE_EEES9_SG_JZNS1_25segmented_radix_sort_implINS0_14default_configELb1EPKdPdPKlPlN2at6native12_GLOBAL__N_18offset_tEEE10hipError_tPvRmT1_PNSt15iterator_traitsISY_E10value_typeET2_T3_PNSZ_IS14_E10value_typeET4_jRbjT5_S1A_jjP12ihipStream_tbEUljE_EEESV_SW_SX_S14_S18_S1A_T6_T7_T9_mT8_S1C_bDpT10_ENKUlT_T0_E_clISt17integral_constantIbLb0EES1O_IbLb1EEEEDaS1K_S1L_EUlS1K_E_NS1_11comp_targetILNS1_3genE4ELNS1_11target_archE910ELNS1_3gpuE8ELNS1_3repE0EEENS1_30default_config_static_selectorELNS0_4arch9wavefront6targetE0EEEvSY_,comdat
.Lfunc_end1104:
	.size	_ZN7rocprim17ROCPRIM_400000_NS6detail17trampoline_kernelINS0_13select_configILj256ELj13ELNS0_17block_load_methodE3ELS4_3ELS4_3ELNS0_20block_scan_algorithmE0ELj4294967295EEENS1_25partition_config_selectorILNS1_17partition_subalgoE3EjNS0_10empty_typeEbEEZZNS1_14partition_implILS8_3ELb0ES6_jNS0_17counting_iteratorIjlEEPS9_SE_NS0_5tupleIJPjSE_EEENSF_IJSE_SE_EEES9_SG_JZNS1_25segmented_radix_sort_implINS0_14default_configELb1EPKdPdPKlPlN2at6native12_GLOBAL__N_18offset_tEEE10hipError_tPvRmT1_PNSt15iterator_traitsISY_E10value_typeET2_T3_PNSZ_IS14_E10value_typeET4_jRbjT5_S1A_jjP12ihipStream_tbEUljE_EEESV_SW_SX_S14_S18_S1A_T6_T7_T9_mT8_S1C_bDpT10_ENKUlT_T0_E_clISt17integral_constantIbLb0EES1O_IbLb1EEEEDaS1K_S1L_EUlS1K_E_NS1_11comp_targetILNS1_3genE4ELNS1_11target_archE910ELNS1_3gpuE8ELNS1_3repE0EEENS1_30default_config_static_selectorELNS0_4arch9wavefront6targetE0EEEvSY_, .Lfunc_end1104-_ZN7rocprim17ROCPRIM_400000_NS6detail17trampoline_kernelINS0_13select_configILj256ELj13ELNS0_17block_load_methodE3ELS4_3ELS4_3ELNS0_20block_scan_algorithmE0ELj4294967295EEENS1_25partition_config_selectorILNS1_17partition_subalgoE3EjNS0_10empty_typeEbEEZZNS1_14partition_implILS8_3ELb0ES6_jNS0_17counting_iteratorIjlEEPS9_SE_NS0_5tupleIJPjSE_EEENSF_IJSE_SE_EEES9_SG_JZNS1_25segmented_radix_sort_implINS0_14default_configELb1EPKdPdPKlPlN2at6native12_GLOBAL__N_18offset_tEEE10hipError_tPvRmT1_PNSt15iterator_traitsISY_E10value_typeET2_T3_PNSZ_IS14_E10value_typeET4_jRbjT5_S1A_jjP12ihipStream_tbEUljE_EEESV_SW_SX_S14_S18_S1A_T6_T7_T9_mT8_S1C_bDpT10_ENKUlT_T0_E_clISt17integral_constantIbLb0EES1O_IbLb1EEEEDaS1K_S1L_EUlS1K_E_NS1_11comp_targetILNS1_3genE4ELNS1_11target_archE910ELNS1_3gpuE8ELNS1_3repE0EEENS1_30default_config_static_selectorELNS0_4arch9wavefront6targetE0EEEvSY_
                                        ; -- End function
	.set _ZN7rocprim17ROCPRIM_400000_NS6detail17trampoline_kernelINS0_13select_configILj256ELj13ELNS0_17block_load_methodE3ELS4_3ELS4_3ELNS0_20block_scan_algorithmE0ELj4294967295EEENS1_25partition_config_selectorILNS1_17partition_subalgoE3EjNS0_10empty_typeEbEEZZNS1_14partition_implILS8_3ELb0ES6_jNS0_17counting_iteratorIjlEEPS9_SE_NS0_5tupleIJPjSE_EEENSF_IJSE_SE_EEES9_SG_JZNS1_25segmented_radix_sort_implINS0_14default_configELb1EPKdPdPKlPlN2at6native12_GLOBAL__N_18offset_tEEE10hipError_tPvRmT1_PNSt15iterator_traitsISY_E10value_typeET2_T3_PNSZ_IS14_E10value_typeET4_jRbjT5_S1A_jjP12ihipStream_tbEUljE_EEESV_SW_SX_S14_S18_S1A_T6_T7_T9_mT8_S1C_bDpT10_ENKUlT_T0_E_clISt17integral_constantIbLb0EES1O_IbLb1EEEEDaS1K_S1L_EUlS1K_E_NS1_11comp_targetILNS1_3genE4ELNS1_11target_archE910ELNS1_3gpuE8ELNS1_3repE0EEENS1_30default_config_static_selectorELNS0_4arch9wavefront6targetE0EEEvSY_.num_vgpr, 0
	.set _ZN7rocprim17ROCPRIM_400000_NS6detail17trampoline_kernelINS0_13select_configILj256ELj13ELNS0_17block_load_methodE3ELS4_3ELS4_3ELNS0_20block_scan_algorithmE0ELj4294967295EEENS1_25partition_config_selectorILNS1_17partition_subalgoE3EjNS0_10empty_typeEbEEZZNS1_14partition_implILS8_3ELb0ES6_jNS0_17counting_iteratorIjlEEPS9_SE_NS0_5tupleIJPjSE_EEENSF_IJSE_SE_EEES9_SG_JZNS1_25segmented_radix_sort_implINS0_14default_configELb1EPKdPdPKlPlN2at6native12_GLOBAL__N_18offset_tEEE10hipError_tPvRmT1_PNSt15iterator_traitsISY_E10value_typeET2_T3_PNSZ_IS14_E10value_typeET4_jRbjT5_S1A_jjP12ihipStream_tbEUljE_EEESV_SW_SX_S14_S18_S1A_T6_T7_T9_mT8_S1C_bDpT10_ENKUlT_T0_E_clISt17integral_constantIbLb0EES1O_IbLb1EEEEDaS1K_S1L_EUlS1K_E_NS1_11comp_targetILNS1_3genE4ELNS1_11target_archE910ELNS1_3gpuE8ELNS1_3repE0EEENS1_30default_config_static_selectorELNS0_4arch9wavefront6targetE0EEEvSY_.num_agpr, 0
	.set _ZN7rocprim17ROCPRIM_400000_NS6detail17trampoline_kernelINS0_13select_configILj256ELj13ELNS0_17block_load_methodE3ELS4_3ELS4_3ELNS0_20block_scan_algorithmE0ELj4294967295EEENS1_25partition_config_selectorILNS1_17partition_subalgoE3EjNS0_10empty_typeEbEEZZNS1_14partition_implILS8_3ELb0ES6_jNS0_17counting_iteratorIjlEEPS9_SE_NS0_5tupleIJPjSE_EEENSF_IJSE_SE_EEES9_SG_JZNS1_25segmented_radix_sort_implINS0_14default_configELb1EPKdPdPKlPlN2at6native12_GLOBAL__N_18offset_tEEE10hipError_tPvRmT1_PNSt15iterator_traitsISY_E10value_typeET2_T3_PNSZ_IS14_E10value_typeET4_jRbjT5_S1A_jjP12ihipStream_tbEUljE_EEESV_SW_SX_S14_S18_S1A_T6_T7_T9_mT8_S1C_bDpT10_ENKUlT_T0_E_clISt17integral_constantIbLb0EES1O_IbLb1EEEEDaS1K_S1L_EUlS1K_E_NS1_11comp_targetILNS1_3genE4ELNS1_11target_archE910ELNS1_3gpuE8ELNS1_3repE0EEENS1_30default_config_static_selectorELNS0_4arch9wavefront6targetE0EEEvSY_.numbered_sgpr, 0
	.set _ZN7rocprim17ROCPRIM_400000_NS6detail17trampoline_kernelINS0_13select_configILj256ELj13ELNS0_17block_load_methodE3ELS4_3ELS4_3ELNS0_20block_scan_algorithmE0ELj4294967295EEENS1_25partition_config_selectorILNS1_17partition_subalgoE3EjNS0_10empty_typeEbEEZZNS1_14partition_implILS8_3ELb0ES6_jNS0_17counting_iteratorIjlEEPS9_SE_NS0_5tupleIJPjSE_EEENSF_IJSE_SE_EEES9_SG_JZNS1_25segmented_radix_sort_implINS0_14default_configELb1EPKdPdPKlPlN2at6native12_GLOBAL__N_18offset_tEEE10hipError_tPvRmT1_PNSt15iterator_traitsISY_E10value_typeET2_T3_PNSZ_IS14_E10value_typeET4_jRbjT5_S1A_jjP12ihipStream_tbEUljE_EEESV_SW_SX_S14_S18_S1A_T6_T7_T9_mT8_S1C_bDpT10_ENKUlT_T0_E_clISt17integral_constantIbLb0EES1O_IbLb1EEEEDaS1K_S1L_EUlS1K_E_NS1_11comp_targetILNS1_3genE4ELNS1_11target_archE910ELNS1_3gpuE8ELNS1_3repE0EEENS1_30default_config_static_selectorELNS0_4arch9wavefront6targetE0EEEvSY_.num_named_barrier, 0
	.set _ZN7rocprim17ROCPRIM_400000_NS6detail17trampoline_kernelINS0_13select_configILj256ELj13ELNS0_17block_load_methodE3ELS4_3ELS4_3ELNS0_20block_scan_algorithmE0ELj4294967295EEENS1_25partition_config_selectorILNS1_17partition_subalgoE3EjNS0_10empty_typeEbEEZZNS1_14partition_implILS8_3ELb0ES6_jNS0_17counting_iteratorIjlEEPS9_SE_NS0_5tupleIJPjSE_EEENSF_IJSE_SE_EEES9_SG_JZNS1_25segmented_radix_sort_implINS0_14default_configELb1EPKdPdPKlPlN2at6native12_GLOBAL__N_18offset_tEEE10hipError_tPvRmT1_PNSt15iterator_traitsISY_E10value_typeET2_T3_PNSZ_IS14_E10value_typeET4_jRbjT5_S1A_jjP12ihipStream_tbEUljE_EEESV_SW_SX_S14_S18_S1A_T6_T7_T9_mT8_S1C_bDpT10_ENKUlT_T0_E_clISt17integral_constantIbLb0EES1O_IbLb1EEEEDaS1K_S1L_EUlS1K_E_NS1_11comp_targetILNS1_3genE4ELNS1_11target_archE910ELNS1_3gpuE8ELNS1_3repE0EEENS1_30default_config_static_selectorELNS0_4arch9wavefront6targetE0EEEvSY_.private_seg_size, 0
	.set _ZN7rocprim17ROCPRIM_400000_NS6detail17trampoline_kernelINS0_13select_configILj256ELj13ELNS0_17block_load_methodE3ELS4_3ELS4_3ELNS0_20block_scan_algorithmE0ELj4294967295EEENS1_25partition_config_selectorILNS1_17partition_subalgoE3EjNS0_10empty_typeEbEEZZNS1_14partition_implILS8_3ELb0ES6_jNS0_17counting_iteratorIjlEEPS9_SE_NS0_5tupleIJPjSE_EEENSF_IJSE_SE_EEES9_SG_JZNS1_25segmented_radix_sort_implINS0_14default_configELb1EPKdPdPKlPlN2at6native12_GLOBAL__N_18offset_tEEE10hipError_tPvRmT1_PNSt15iterator_traitsISY_E10value_typeET2_T3_PNSZ_IS14_E10value_typeET4_jRbjT5_S1A_jjP12ihipStream_tbEUljE_EEESV_SW_SX_S14_S18_S1A_T6_T7_T9_mT8_S1C_bDpT10_ENKUlT_T0_E_clISt17integral_constantIbLb0EES1O_IbLb1EEEEDaS1K_S1L_EUlS1K_E_NS1_11comp_targetILNS1_3genE4ELNS1_11target_archE910ELNS1_3gpuE8ELNS1_3repE0EEENS1_30default_config_static_selectorELNS0_4arch9wavefront6targetE0EEEvSY_.uses_vcc, 0
	.set _ZN7rocprim17ROCPRIM_400000_NS6detail17trampoline_kernelINS0_13select_configILj256ELj13ELNS0_17block_load_methodE3ELS4_3ELS4_3ELNS0_20block_scan_algorithmE0ELj4294967295EEENS1_25partition_config_selectorILNS1_17partition_subalgoE3EjNS0_10empty_typeEbEEZZNS1_14partition_implILS8_3ELb0ES6_jNS0_17counting_iteratorIjlEEPS9_SE_NS0_5tupleIJPjSE_EEENSF_IJSE_SE_EEES9_SG_JZNS1_25segmented_radix_sort_implINS0_14default_configELb1EPKdPdPKlPlN2at6native12_GLOBAL__N_18offset_tEEE10hipError_tPvRmT1_PNSt15iterator_traitsISY_E10value_typeET2_T3_PNSZ_IS14_E10value_typeET4_jRbjT5_S1A_jjP12ihipStream_tbEUljE_EEESV_SW_SX_S14_S18_S1A_T6_T7_T9_mT8_S1C_bDpT10_ENKUlT_T0_E_clISt17integral_constantIbLb0EES1O_IbLb1EEEEDaS1K_S1L_EUlS1K_E_NS1_11comp_targetILNS1_3genE4ELNS1_11target_archE910ELNS1_3gpuE8ELNS1_3repE0EEENS1_30default_config_static_selectorELNS0_4arch9wavefront6targetE0EEEvSY_.uses_flat_scratch, 0
	.set _ZN7rocprim17ROCPRIM_400000_NS6detail17trampoline_kernelINS0_13select_configILj256ELj13ELNS0_17block_load_methodE3ELS4_3ELS4_3ELNS0_20block_scan_algorithmE0ELj4294967295EEENS1_25partition_config_selectorILNS1_17partition_subalgoE3EjNS0_10empty_typeEbEEZZNS1_14partition_implILS8_3ELb0ES6_jNS0_17counting_iteratorIjlEEPS9_SE_NS0_5tupleIJPjSE_EEENSF_IJSE_SE_EEES9_SG_JZNS1_25segmented_radix_sort_implINS0_14default_configELb1EPKdPdPKlPlN2at6native12_GLOBAL__N_18offset_tEEE10hipError_tPvRmT1_PNSt15iterator_traitsISY_E10value_typeET2_T3_PNSZ_IS14_E10value_typeET4_jRbjT5_S1A_jjP12ihipStream_tbEUljE_EEESV_SW_SX_S14_S18_S1A_T6_T7_T9_mT8_S1C_bDpT10_ENKUlT_T0_E_clISt17integral_constantIbLb0EES1O_IbLb1EEEEDaS1K_S1L_EUlS1K_E_NS1_11comp_targetILNS1_3genE4ELNS1_11target_archE910ELNS1_3gpuE8ELNS1_3repE0EEENS1_30default_config_static_selectorELNS0_4arch9wavefront6targetE0EEEvSY_.has_dyn_sized_stack, 0
	.set _ZN7rocprim17ROCPRIM_400000_NS6detail17trampoline_kernelINS0_13select_configILj256ELj13ELNS0_17block_load_methodE3ELS4_3ELS4_3ELNS0_20block_scan_algorithmE0ELj4294967295EEENS1_25partition_config_selectorILNS1_17partition_subalgoE3EjNS0_10empty_typeEbEEZZNS1_14partition_implILS8_3ELb0ES6_jNS0_17counting_iteratorIjlEEPS9_SE_NS0_5tupleIJPjSE_EEENSF_IJSE_SE_EEES9_SG_JZNS1_25segmented_radix_sort_implINS0_14default_configELb1EPKdPdPKlPlN2at6native12_GLOBAL__N_18offset_tEEE10hipError_tPvRmT1_PNSt15iterator_traitsISY_E10value_typeET2_T3_PNSZ_IS14_E10value_typeET4_jRbjT5_S1A_jjP12ihipStream_tbEUljE_EEESV_SW_SX_S14_S18_S1A_T6_T7_T9_mT8_S1C_bDpT10_ENKUlT_T0_E_clISt17integral_constantIbLb0EES1O_IbLb1EEEEDaS1K_S1L_EUlS1K_E_NS1_11comp_targetILNS1_3genE4ELNS1_11target_archE910ELNS1_3gpuE8ELNS1_3repE0EEENS1_30default_config_static_selectorELNS0_4arch9wavefront6targetE0EEEvSY_.has_recursion, 0
	.set _ZN7rocprim17ROCPRIM_400000_NS6detail17trampoline_kernelINS0_13select_configILj256ELj13ELNS0_17block_load_methodE3ELS4_3ELS4_3ELNS0_20block_scan_algorithmE0ELj4294967295EEENS1_25partition_config_selectorILNS1_17partition_subalgoE3EjNS0_10empty_typeEbEEZZNS1_14partition_implILS8_3ELb0ES6_jNS0_17counting_iteratorIjlEEPS9_SE_NS0_5tupleIJPjSE_EEENSF_IJSE_SE_EEES9_SG_JZNS1_25segmented_radix_sort_implINS0_14default_configELb1EPKdPdPKlPlN2at6native12_GLOBAL__N_18offset_tEEE10hipError_tPvRmT1_PNSt15iterator_traitsISY_E10value_typeET2_T3_PNSZ_IS14_E10value_typeET4_jRbjT5_S1A_jjP12ihipStream_tbEUljE_EEESV_SW_SX_S14_S18_S1A_T6_T7_T9_mT8_S1C_bDpT10_ENKUlT_T0_E_clISt17integral_constantIbLb0EES1O_IbLb1EEEEDaS1K_S1L_EUlS1K_E_NS1_11comp_targetILNS1_3genE4ELNS1_11target_archE910ELNS1_3gpuE8ELNS1_3repE0EEENS1_30default_config_static_selectorELNS0_4arch9wavefront6targetE0EEEvSY_.has_indirect_call, 0
	.section	.AMDGPU.csdata,"",@progbits
; Kernel info:
; codeLenInByte = 0
; TotalNumSgprs: 0
; NumVgprs: 0
; ScratchSize: 0
; MemoryBound: 0
; FloatMode: 240
; IeeeMode: 1
; LDSByteSize: 0 bytes/workgroup (compile time only)
; SGPRBlocks: 0
; VGPRBlocks: 0
; NumSGPRsForWavesPerEU: 1
; NumVGPRsForWavesPerEU: 1
; Occupancy: 16
; WaveLimiterHint : 0
; COMPUTE_PGM_RSRC2:SCRATCH_EN: 0
; COMPUTE_PGM_RSRC2:USER_SGPR: 6
; COMPUTE_PGM_RSRC2:TRAP_HANDLER: 0
; COMPUTE_PGM_RSRC2:TGID_X_EN: 1
; COMPUTE_PGM_RSRC2:TGID_Y_EN: 0
; COMPUTE_PGM_RSRC2:TGID_Z_EN: 0
; COMPUTE_PGM_RSRC2:TIDIG_COMP_CNT: 0
	.section	.text._ZN7rocprim17ROCPRIM_400000_NS6detail17trampoline_kernelINS0_13select_configILj256ELj13ELNS0_17block_load_methodE3ELS4_3ELS4_3ELNS0_20block_scan_algorithmE0ELj4294967295EEENS1_25partition_config_selectorILNS1_17partition_subalgoE3EjNS0_10empty_typeEbEEZZNS1_14partition_implILS8_3ELb0ES6_jNS0_17counting_iteratorIjlEEPS9_SE_NS0_5tupleIJPjSE_EEENSF_IJSE_SE_EEES9_SG_JZNS1_25segmented_radix_sort_implINS0_14default_configELb1EPKdPdPKlPlN2at6native12_GLOBAL__N_18offset_tEEE10hipError_tPvRmT1_PNSt15iterator_traitsISY_E10value_typeET2_T3_PNSZ_IS14_E10value_typeET4_jRbjT5_S1A_jjP12ihipStream_tbEUljE_EEESV_SW_SX_S14_S18_S1A_T6_T7_T9_mT8_S1C_bDpT10_ENKUlT_T0_E_clISt17integral_constantIbLb0EES1O_IbLb1EEEEDaS1K_S1L_EUlS1K_E_NS1_11comp_targetILNS1_3genE3ELNS1_11target_archE908ELNS1_3gpuE7ELNS1_3repE0EEENS1_30default_config_static_selectorELNS0_4arch9wavefront6targetE0EEEvSY_,"axG",@progbits,_ZN7rocprim17ROCPRIM_400000_NS6detail17trampoline_kernelINS0_13select_configILj256ELj13ELNS0_17block_load_methodE3ELS4_3ELS4_3ELNS0_20block_scan_algorithmE0ELj4294967295EEENS1_25partition_config_selectorILNS1_17partition_subalgoE3EjNS0_10empty_typeEbEEZZNS1_14partition_implILS8_3ELb0ES6_jNS0_17counting_iteratorIjlEEPS9_SE_NS0_5tupleIJPjSE_EEENSF_IJSE_SE_EEES9_SG_JZNS1_25segmented_radix_sort_implINS0_14default_configELb1EPKdPdPKlPlN2at6native12_GLOBAL__N_18offset_tEEE10hipError_tPvRmT1_PNSt15iterator_traitsISY_E10value_typeET2_T3_PNSZ_IS14_E10value_typeET4_jRbjT5_S1A_jjP12ihipStream_tbEUljE_EEESV_SW_SX_S14_S18_S1A_T6_T7_T9_mT8_S1C_bDpT10_ENKUlT_T0_E_clISt17integral_constantIbLb0EES1O_IbLb1EEEEDaS1K_S1L_EUlS1K_E_NS1_11comp_targetILNS1_3genE3ELNS1_11target_archE908ELNS1_3gpuE7ELNS1_3repE0EEENS1_30default_config_static_selectorELNS0_4arch9wavefront6targetE0EEEvSY_,comdat
	.globl	_ZN7rocprim17ROCPRIM_400000_NS6detail17trampoline_kernelINS0_13select_configILj256ELj13ELNS0_17block_load_methodE3ELS4_3ELS4_3ELNS0_20block_scan_algorithmE0ELj4294967295EEENS1_25partition_config_selectorILNS1_17partition_subalgoE3EjNS0_10empty_typeEbEEZZNS1_14partition_implILS8_3ELb0ES6_jNS0_17counting_iteratorIjlEEPS9_SE_NS0_5tupleIJPjSE_EEENSF_IJSE_SE_EEES9_SG_JZNS1_25segmented_radix_sort_implINS0_14default_configELb1EPKdPdPKlPlN2at6native12_GLOBAL__N_18offset_tEEE10hipError_tPvRmT1_PNSt15iterator_traitsISY_E10value_typeET2_T3_PNSZ_IS14_E10value_typeET4_jRbjT5_S1A_jjP12ihipStream_tbEUljE_EEESV_SW_SX_S14_S18_S1A_T6_T7_T9_mT8_S1C_bDpT10_ENKUlT_T0_E_clISt17integral_constantIbLb0EES1O_IbLb1EEEEDaS1K_S1L_EUlS1K_E_NS1_11comp_targetILNS1_3genE3ELNS1_11target_archE908ELNS1_3gpuE7ELNS1_3repE0EEENS1_30default_config_static_selectorELNS0_4arch9wavefront6targetE0EEEvSY_ ; -- Begin function _ZN7rocprim17ROCPRIM_400000_NS6detail17trampoline_kernelINS0_13select_configILj256ELj13ELNS0_17block_load_methodE3ELS4_3ELS4_3ELNS0_20block_scan_algorithmE0ELj4294967295EEENS1_25partition_config_selectorILNS1_17partition_subalgoE3EjNS0_10empty_typeEbEEZZNS1_14partition_implILS8_3ELb0ES6_jNS0_17counting_iteratorIjlEEPS9_SE_NS0_5tupleIJPjSE_EEENSF_IJSE_SE_EEES9_SG_JZNS1_25segmented_radix_sort_implINS0_14default_configELb1EPKdPdPKlPlN2at6native12_GLOBAL__N_18offset_tEEE10hipError_tPvRmT1_PNSt15iterator_traitsISY_E10value_typeET2_T3_PNSZ_IS14_E10value_typeET4_jRbjT5_S1A_jjP12ihipStream_tbEUljE_EEESV_SW_SX_S14_S18_S1A_T6_T7_T9_mT8_S1C_bDpT10_ENKUlT_T0_E_clISt17integral_constantIbLb0EES1O_IbLb1EEEEDaS1K_S1L_EUlS1K_E_NS1_11comp_targetILNS1_3genE3ELNS1_11target_archE908ELNS1_3gpuE7ELNS1_3repE0EEENS1_30default_config_static_selectorELNS0_4arch9wavefront6targetE0EEEvSY_
	.p2align	8
	.type	_ZN7rocprim17ROCPRIM_400000_NS6detail17trampoline_kernelINS0_13select_configILj256ELj13ELNS0_17block_load_methodE3ELS4_3ELS4_3ELNS0_20block_scan_algorithmE0ELj4294967295EEENS1_25partition_config_selectorILNS1_17partition_subalgoE3EjNS0_10empty_typeEbEEZZNS1_14partition_implILS8_3ELb0ES6_jNS0_17counting_iteratorIjlEEPS9_SE_NS0_5tupleIJPjSE_EEENSF_IJSE_SE_EEES9_SG_JZNS1_25segmented_radix_sort_implINS0_14default_configELb1EPKdPdPKlPlN2at6native12_GLOBAL__N_18offset_tEEE10hipError_tPvRmT1_PNSt15iterator_traitsISY_E10value_typeET2_T3_PNSZ_IS14_E10value_typeET4_jRbjT5_S1A_jjP12ihipStream_tbEUljE_EEESV_SW_SX_S14_S18_S1A_T6_T7_T9_mT8_S1C_bDpT10_ENKUlT_T0_E_clISt17integral_constantIbLb0EES1O_IbLb1EEEEDaS1K_S1L_EUlS1K_E_NS1_11comp_targetILNS1_3genE3ELNS1_11target_archE908ELNS1_3gpuE7ELNS1_3repE0EEENS1_30default_config_static_selectorELNS0_4arch9wavefront6targetE0EEEvSY_,@function
_ZN7rocprim17ROCPRIM_400000_NS6detail17trampoline_kernelINS0_13select_configILj256ELj13ELNS0_17block_load_methodE3ELS4_3ELS4_3ELNS0_20block_scan_algorithmE0ELj4294967295EEENS1_25partition_config_selectorILNS1_17partition_subalgoE3EjNS0_10empty_typeEbEEZZNS1_14partition_implILS8_3ELb0ES6_jNS0_17counting_iteratorIjlEEPS9_SE_NS0_5tupleIJPjSE_EEENSF_IJSE_SE_EEES9_SG_JZNS1_25segmented_radix_sort_implINS0_14default_configELb1EPKdPdPKlPlN2at6native12_GLOBAL__N_18offset_tEEE10hipError_tPvRmT1_PNSt15iterator_traitsISY_E10value_typeET2_T3_PNSZ_IS14_E10value_typeET4_jRbjT5_S1A_jjP12ihipStream_tbEUljE_EEESV_SW_SX_S14_S18_S1A_T6_T7_T9_mT8_S1C_bDpT10_ENKUlT_T0_E_clISt17integral_constantIbLb0EES1O_IbLb1EEEEDaS1K_S1L_EUlS1K_E_NS1_11comp_targetILNS1_3genE3ELNS1_11target_archE908ELNS1_3gpuE7ELNS1_3repE0EEENS1_30default_config_static_selectorELNS0_4arch9wavefront6targetE0EEEvSY_: ; @_ZN7rocprim17ROCPRIM_400000_NS6detail17trampoline_kernelINS0_13select_configILj256ELj13ELNS0_17block_load_methodE3ELS4_3ELS4_3ELNS0_20block_scan_algorithmE0ELj4294967295EEENS1_25partition_config_selectorILNS1_17partition_subalgoE3EjNS0_10empty_typeEbEEZZNS1_14partition_implILS8_3ELb0ES6_jNS0_17counting_iteratorIjlEEPS9_SE_NS0_5tupleIJPjSE_EEENSF_IJSE_SE_EEES9_SG_JZNS1_25segmented_radix_sort_implINS0_14default_configELb1EPKdPdPKlPlN2at6native12_GLOBAL__N_18offset_tEEE10hipError_tPvRmT1_PNSt15iterator_traitsISY_E10value_typeET2_T3_PNSZ_IS14_E10value_typeET4_jRbjT5_S1A_jjP12ihipStream_tbEUljE_EEESV_SW_SX_S14_S18_S1A_T6_T7_T9_mT8_S1C_bDpT10_ENKUlT_T0_E_clISt17integral_constantIbLb0EES1O_IbLb1EEEEDaS1K_S1L_EUlS1K_E_NS1_11comp_targetILNS1_3genE3ELNS1_11target_archE908ELNS1_3gpuE7ELNS1_3repE0EEENS1_30default_config_static_selectorELNS0_4arch9wavefront6targetE0EEEvSY_
; %bb.0:
	.section	.rodata,"a",@progbits
	.p2align	6, 0x0
	.amdhsa_kernel _ZN7rocprim17ROCPRIM_400000_NS6detail17trampoline_kernelINS0_13select_configILj256ELj13ELNS0_17block_load_methodE3ELS4_3ELS4_3ELNS0_20block_scan_algorithmE0ELj4294967295EEENS1_25partition_config_selectorILNS1_17partition_subalgoE3EjNS0_10empty_typeEbEEZZNS1_14partition_implILS8_3ELb0ES6_jNS0_17counting_iteratorIjlEEPS9_SE_NS0_5tupleIJPjSE_EEENSF_IJSE_SE_EEES9_SG_JZNS1_25segmented_radix_sort_implINS0_14default_configELb1EPKdPdPKlPlN2at6native12_GLOBAL__N_18offset_tEEE10hipError_tPvRmT1_PNSt15iterator_traitsISY_E10value_typeET2_T3_PNSZ_IS14_E10value_typeET4_jRbjT5_S1A_jjP12ihipStream_tbEUljE_EEESV_SW_SX_S14_S18_S1A_T6_T7_T9_mT8_S1C_bDpT10_ENKUlT_T0_E_clISt17integral_constantIbLb0EES1O_IbLb1EEEEDaS1K_S1L_EUlS1K_E_NS1_11comp_targetILNS1_3genE3ELNS1_11target_archE908ELNS1_3gpuE7ELNS1_3repE0EEENS1_30default_config_static_selectorELNS0_4arch9wavefront6targetE0EEEvSY_
		.amdhsa_group_segment_fixed_size 0
		.amdhsa_private_segment_fixed_size 0
		.amdhsa_kernarg_size 152
		.amdhsa_user_sgpr_count 6
		.amdhsa_user_sgpr_private_segment_buffer 1
		.amdhsa_user_sgpr_dispatch_ptr 0
		.amdhsa_user_sgpr_queue_ptr 0
		.amdhsa_user_sgpr_kernarg_segment_ptr 1
		.amdhsa_user_sgpr_dispatch_id 0
		.amdhsa_user_sgpr_flat_scratch_init 0
		.amdhsa_user_sgpr_private_segment_size 0
		.amdhsa_wavefront_size32 1
		.amdhsa_uses_dynamic_stack 0
		.amdhsa_system_sgpr_private_segment_wavefront_offset 0
		.amdhsa_system_sgpr_workgroup_id_x 1
		.amdhsa_system_sgpr_workgroup_id_y 0
		.amdhsa_system_sgpr_workgroup_id_z 0
		.amdhsa_system_sgpr_workgroup_info 0
		.amdhsa_system_vgpr_workitem_id 0
		.amdhsa_next_free_vgpr 1
		.amdhsa_next_free_sgpr 1
		.amdhsa_reserve_vcc 0
		.amdhsa_reserve_flat_scratch 0
		.amdhsa_float_round_mode_32 0
		.amdhsa_float_round_mode_16_64 0
		.amdhsa_float_denorm_mode_32 3
		.amdhsa_float_denorm_mode_16_64 3
		.amdhsa_dx10_clamp 1
		.amdhsa_ieee_mode 1
		.amdhsa_fp16_overflow 0
		.amdhsa_workgroup_processor_mode 1
		.amdhsa_memory_ordered 1
		.amdhsa_forward_progress 1
		.amdhsa_shared_vgpr_count 0
		.amdhsa_exception_fp_ieee_invalid_op 0
		.amdhsa_exception_fp_denorm_src 0
		.amdhsa_exception_fp_ieee_div_zero 0
		.amdhsa_exception_fp_ieee_overflow 0
		.amdhsa_exception_fp_ieee_underflow 0
		.amdhsa_exception_fp_ieee_inexact 0
		.amdhsa_exception_int_div_zero 0
	.end_amdhsa_kernel
	.section	.text._ZN7rocprim17ROCPRIM_400000_NS6detail17trampoline_kernelINS0_13select_configILj256ELj13ELNS0_17block_load_methodE3ELS4_3ELS4_3ELNS0_20block_scan_algorithmE0ELj4294967295EEENS1_25partition_config_selectorILNS1_17partition_subalgoE3EjNS0_10empty_typeEbEEZZNS1_14partition_implILS8_3ELb0ES6_jNS0_17counting_iteratorIjlEEPS9_SE_NS0_5tupleIJPjSE_EEENSF_IJSE_SE_EEES9_SG_JZNS1_25segmented_radix_sort_implINS0_14default_configELb1EPKdPdPKlPlN2at6native12_GLOBAL__N_18offset_tEEE10hipError_tPvRmT1_PNSt15iterator_traitsISY_E10value_typeET2_T3_PNSZ_IS14_E10value_typeET4_jRbjT5_S1A_jjP12ihipStream_tbEUljE_EEESV_SW_SX_S14_S18_S1A_T6_T7_T9_mT8_S1C_bDpT10_ENKUlT_T0_E_clISt17integral_constantIbLb0EES1O_IbLb1EEEEDaS1K_S1L_EUlS1K_E_NS1_11comp_targetILNS1_3genE3ELNS1_11target_archE908ELNS1_3gpuE7ELNS1_3repE0EEENS1_30default_config_static_selectorELNS0_4arch9wavefront6targetE0EEEvSY_,"axG",@progbits,_ZN7rocprim17ROCPRIM_400000_NS6detail17trampoline_kernelINS0_13select_configILj256ELj13ELNS0_17block_load_methodE3ELS4_3ELS4_3ELNS0_20block_scan_algorithmE0ELj4294967295EEENS1_25partition_config_selectorILNS1_17partition_subalgoE3EjNS0_10empty_typeEbEEZZNS1_14partition_implILS8_3ELb0ES6_jNS0_17counting_iteratorIjlEEPS9_SE_NS0_5tupleIJPjSE_EEENSF_IJSE_SE_EEES9_SG_JZNS1_25segmented_radix_sort_implINS0_14default_configELb1EPKdPdPKlPlN2at6native12_GLOBAL__N_18offset_tEEE10hipError_tPvRmT1_PNSt15iterator_traitsISY_E10value_typeET2_T3_PNSZ_IS14_E10value_typeET4_jRbjT5_S1A_jjP12ihipStream_tbEUljE_EEESV_SW_SX_S14_S18_S1A_T6_T7_T9_mT8_S1C_bDpT10_ENKUlT_T0_E_clISt17integral_constantIbLb0EES1O_IbLb1EEEEDaS1K_S1L_EUlS1K_E_NS1_11comp_targetILNS1_3genE3ELNS1_11target_archE908ELNS1_3gpuE7ELNS1_3repE0EEENS1_30default_config_static_selectorELNS0_4arch9wavefront6targetE0EEEvSY_,comdat
.Lfunc_end1105:
	.size	_ZN7rocprim17ROCPRIM_400000_NS6detail17trampoline_kernelINS0_13select_configILj256ELj13ELNS0_17block_load_methodE3ELS4_3ELS4_3ELNS0_20block_scan_algorithmE0ELj4294967295EEENS1_25partition_config_selectorILNS1_17partition_subalgoE3EjNS0_10empty_typeEbEEZZNS1_14partition_implILS8_3ELb0ES6_jNS0_17counting_iteratorIjlEEPS9_SE_NS0_5tupleIJPjSE_EEENSF_IJSE_SE_EEES9_SG_JZNS1_25segmented_radix_sort_implINS0_14default_configELb1EPKdPdPKlPlN2at6native12_GLOBAL__N_18offset_tEEE10hipError_tPvRmT1_PNSt15iterator_traitsISY_E10value_typeET2_T3_PNSZ_IS14_E10value_typeET4_jRbjT5_S1A_jjP12ihipStream_tbEUljE_EEESV_SW_SX_S14_S18_S1A_T6_T7_T9_mT8_S1C_bDpT10_ENKUlT_T0_E_clISt17integral_constantIbLb0EES1O_IbLb1EEEEDaS1K_S1L_EUlS1K_E_NS1_11comp_targetILNS1_3genE3ELNS1_11target_archE908ELNS1_3gpuE7ELNS1_3repE0EEENS1_30default_config_static_selectorELNS0_4arch9wavefront6targetE0EEEvSY_, .Lfunc_end1105-_ZN7rocprim17ROCPRIM_400000_NS6detail17trampoline_kernelINS0_13select_configILj256ELj13ELNS0_17block_load_methodE3ELS4_3ELS4_3ELNS0_20block_scan_algorithmE0ELj4294967295EEENS1_25partition_config_selectorILNS1_17partition_subalgoE3EjNS0_10empty_typeEbEEZZNS1_14partition_implILS8_3ELb0ES6_jNS0_17counting_iteratorIjlEEPS9_SE_NS0_5tupleIJPjSE_EEENSF_IJSE_SE_EEES9_SG_JZNS1_25segmented_radix_sort_implINS0_14default_configELb1EPKdPdPKlPlN2at6native12_GLOBAL__N_18offset_tEEE10hipError_tPvRmT1_PNSt15iterator_traitsISY_E10value_typeET2_T3_PNSZ_IS14_E10value_typeET4_jRbjT5_S1A_jjP12ihipStream_tbEUljE_EEESV_SW_SX_S14_S18_S1A_T6_T7_T9_mT8_S1C_bDpT10_ENKUlT_T0_E_clISt17integral_constantIbLb0EES1O_IbLb1EEEEDaS1K_S1L_EUlS1K_E_NS1_11comp_targetILNS1_3genE3ELNS1_11target_archE908ELNS1_3gpuE7ELNS1_3repE0EEENS1_30default_config_static_selectorELNS0_4arch9wavefront6targetE0EEEvSY_
                                        ; -- End function
	.set _ZN7rocprim17ROCPRIM_400000_NS6detail17trampoline_kernelINS0_13select_configILj256ELj13ELNS0_17block_load_methodE3ELS4_3ELS4_3ELNS0_20block_scan_algorithmE0ELj4294967295EEENS1_25partition_config_selectorILNS1_17partition_subalgoE3EjNS0_10empty_typeEbEEZZNS1_14partition_implILS8_3ELb0ES6_jNS0_17counting_iteratorIjlEEPS9_SE_NS0_5tupleIJPjSE_EEENSF_IJSE_SE_EEES9_SG_JZNS1_25segmented_radix_sort_implINS0_14default_configELb1EPKdPdPKlPlN2at6native12_GLOBAL__N_18offset_tEEE10hipError_tPvRmT1_PNSt15iterator_traitsISY_E10value_typeET2_T3_PNSZ_IS14_E10value_typeET4_jRbjT5_S1A_jjP12ihipStream_tbEUljE_EEESV_SW_SX_S14_S18_S1A_T6_T7_T9_mT8_S1C_bDpT10_ENKUlT_T0_E_clISt17integral_constantIbLb0EES1O_IbLb1EEEEDaS1K_S1L_EUlS1K_E_NS1_11comp_targetILNS1_3genE3ELNS1_11target_archE908ELNS1_3gpuE7ELNS1_3repE0EEENS1_30default_config_static_selectorELNS0_4arch9wavefront6targetE0EEEvSY_.num_vgpr, 0
	.set _ZN7rocprim17ROCPRIM_400000_NS6detail17trampoline_kernelINS0_13select_configILj256ELj13ELNS0_17block_load_methodE3ELS4_3ELS4_3ELNS0_20block_scan_algorithmE0ELj4294967295EEENS1_25partition_config_selectorILNS1_17partition_subalgoE3EjNS0_10empty_typeEbEEZZNS1_14partition_implILS8_3ELb0ES6_jNS0_17counting_iteratorIjlEEPS9_SE_NS0_5tupleIJPjSE_EEENSF_IJSE_SE_EEES9_SG_JZNS1_25segmented_radix_sort_implINS0_14default_configELb1EPKdPdPKlPlN2at6native12_GLOBAL__N_18offset_tEEE10hipError_tPvRmT1_PNSt15iterator_traitsISY_E10value_typeET2_T3_PNSZ_IS14_E10value_typeET4_jRbjT5_S1A_jjP12ihipStream_tbEUljE_EEESV_SW_SX_S14_S18_S1A_T6_T7_T9_mT8_S1C_bDpT10_ENKUlT_T0_E_clISt17integral_constantIbLb0EES1O_IbLb1EEEEDaS1K_S1L_EUlS1K_E_NS1_11comp_targetILNS1_3genE3ELNS1_11target_archE908ELNS1_3gpuE7ELNS1_3repE0EEENS1_30default_config_static_selectorELNS0_4arch9wavefront6targetE0EEEvSY_.num_agpr, 0
	.set _ZN7rocprim17ROCPRIM_400000_NS6detail17trampoline_kernelINS0_13select_configILj256ELj13ELNS0_17block_load_methodE3ELS4_3ELS4_3ELNS0_20block_scan_algorithmE0ELj4294967295EEENS1_25partition_config_selectorILNS1_17partition_subalgoE3EjNS0_10empty_typeEbEEZZNS1_14partition_implILS8_3ELb0ES6_jNS0_17counting_iteratorIjlEEPS9_SE_NS0_5tupleIJPjSE_EEENSF_IJSE_SE_EEES9_SG_JZNS1_25segmented_radix_sort_implINS0_14default_configELb1EPKdPdPKlPlN2at6native12_GLOBAL__N_18offset_tEEE10hipError_tPvRmT1_PNSt15iterator_traitsISY_E10value_typeET2_T3_PNSZ_IS14_E10value_typeET4_jRbjT5_S1A_jjP12ihipStream_tbEUljE_EEESV_SW_SX_S14_S18_S1A_T6_T7_T9_mT8_S1C_bDpT10_ENKUlT_T0_E_clISt17integral_constantIbLb0EES1O_IbLb1EEEEDaS1K_S1L_EUlS1K_E_NS1_11comp_targetILNS1_3genE3ELNS1_11target_archE908ELNS1_3gpuE7ELNS1_3repE0EEENS1_30default_config_static_selectorELNS0_4arch9wavefront6targetE0EEEvSY_.numbered_sgpr, 0
	.set _ZN7rocprim17ROCPRIM_400000_NS6detail17trampoline_kernelINS0_13select_configILj256ELj13ELNS0_17block_load_methodE3ELS4_3ELS4_3ELNS0_20block_scan_algorithmE0ELj4294967295EEENS1_25partition_config_selectorILNS1_17partition_subalgoE3EjNS0_10empty_typeEbEEZZNS1_14partition_implILS8_3ELb0ES6_jNS0_17counting_iteratorIjlEEPS9_SE_NS0_5tupleIJPjSE_EEENSF_IJSE_SE_EEES9_SG_JZNS1_25segmented_radix_sort_implINS0_14default_configELb1EPKdPdPKlPlN2at6native12_GLOBAL__N_18offset_tEEE10hipError_tPvRmT1_PNSt15iterator_traitsISY_E10value_typeET2_T3_PNSZ_IS14_E10value_typeET4_jRbjT5_S1A_jjP12ihipStream_tbEUljE_EEESV_SW_SX_S14_S18_S1A_T6_T7_T9_mT8_S1C_bDpT10_ENKUlT_T0_E_clISt17integral_constantIbLb0EES1O_IbLb1EEEEDaS1K_S1L_EUlS1K_E_NS1_11comp_targetILNS1_3genE3ELNS1_11target_archE908ELNS1_3gpuE7ELNS1_3repE0EEENS1_30default_config_static_selectorELNS0_4arch9wavefront6targetE0EEEvSY_.num_named_barrier, 0
	.set _ZN7rocprim17ROCPRIM_400000_NS6detail17trampoline_kernelINS0_13select_configILj256ELj13ELNS0_17block_load_methodE3ELS4_3ELS4_3ELNS0_20block_scan_algorithmE0ELj4294967295EEENS1_25partition_config_selectorILNS1_17partition_subalgoE3EjNS0_10empty_typeEbEEZZNS1_14partition_implILS8_3ELb0ES6_jNS0_17counting_iteratorIjlEEPS9_SE_NS0_5tupleIJPjSE_EEENSF_IJSE_SE_EEES9_SG_JZNS1_25segmented_radix_sort_implINS0_14default_configELb1EPKdPdPKlPlN2at6native12_GLOBAL__N_18offset_tEEE10hipError_tPvRmT1_PNSt15iterator_traitsISY_E10value_typeET2_T3_PNSZ_IS14_E10value_typeET4_jRbjT5_S1A_jjP12ihipStream_tbEUljE_EEESV_SW_SX_S14_S18_S1A_T6_T7_T9_mT8_S1C_bDpT10_ENKUlT_T0_E_clISt17integral_constantIbLb0EES1O_IbLb1EEEEDaS1K_S1L_EUlS1K_E_NS1_11comp_targetILNS1_3genE3ELNS1_11target_archE908ELNS1_3gpuE7ELNS1_3repE0EEENS1_30default_config_static_selectorELNS0_4arch9wavefront6targetE0EEEvSY_.private_seg_size, 0
	.set _ZN7rocprim17ROCPRIM_400000_NS6detail17trampoline_kernelINS0_13select_configILj256ELj13ELNS0_17block_load_methodE3ELS4_3ELS4_3ELNS0_20block_scan_algorithmE0ELj4294967295EEENS1_25partition_config_selectorILNS1_17partition_subalgoE3EjNS0_10empty_typeEbEEZZNS1_14partition_implILS8_3ELb0ES6_jNS0_17counting_iteratorIjlEEPS9_SE_NS0_5tupleIJPjSE_EEENSF_IJSE_SE_EEES9_SG_JZNS1_25segmented_radix_sort_implINS0_14default_configELb1EPKdPdPKlPlN2at6native12_GLOBAL__N_18offset_tEEE10hipError_tPvRmT1_PNSt15iterator_traitsISY_E10value_typeET2_T3_PNSZ_IS14_E10value_typeET4_jRbjT5_S1A_jjP12ihipStream_tbEUljE_EEESV_SW_SX_S14_S18_S1A_T6_T7_T9_mT8_S1C_bDpT10_ENKUlT_T0_E_clISt17integral_constantIbLb0EES1O_IbLb1EEEEDaS1K_S1L_EUlS1K_E_NS1_11comp_targetILNS1_3genE3ELNS1_11target_archE908ELNS1_3gpuE7ELNS1_3repE0EEENS1_30default_config_static_selectorELNS0_4arch9wavefront6targetE0EEEvSY_.uses_vcc, 0
	.set _ZN7rocprim17ROCPRIM_400000_NS6detail17trampoline_kernelINS0_13select_configILj256ELj13ELNS0_17block_load_methodE3ELS4_3ELS4_3ELNS0_20block_scan_algorithmE0ELj4294967295EEENS1_25partition_config_selectorILNS1_17partition_subalgoE3EjNS0_10empty_typeEbEEZZNS1_14partition_implILS8_3ELb0ES6_jNS0_17counting_iteratorIjlEEPS9_SE_NS0_5tupleIJPjSE_EEENSF_IJSE_SE_EEES9_SG_JZNS1_25segmented_radix_sort_implINS0_14default_configELb1EPKdPdPKlPlN2at6native12_GLOBAL__N_18offset_tEEE10hipError_tPvRmT1_PNSt15iterator_traitsISY_E10value_typeET2_T3_PNSZ_IS14_E10value_typeET4_jRbjT5_S1A_jjP12ihipStream_tbEUljE_EEESV_SW_SX_S14_S18_S1A_T6_T7_T9_mT8_S1C_bDpT10_ENKUlT_T0_E_clISt17integral_constantIbLb0EES1O_IbLb1EEEEDaS1K_S1L_EUlS1K_E_NS1_11comp_targetILNS1_3genE3ELNS1_11target_archE908ELNS1_3gpuE7ELNS1_3repE0EEENS1_30default_config_static_selectorELNS0_4arch9wavefront6targetE0EEEvSY_.uses_flat_scratch, 0
	.set _ZN7rocprim17ROCPRIM_400000_NS6detail17trampoline_kernelINS0_13select_configILj256ELj13ELNS0_17block_load_methodE3ELS4_3ELS4_3ELNS0_20block_scan_algorithmE0ELj4294967295EEENS1_25partition_config_selectorILNS1_17partition_subalgoE3EjNS0_10empty_typeEbEEZZNS1_14partition_implILS8_3ELb0ES6_jNS0_17counting_iteratorIjlEEPS9_SE_NS0_5tupleIJPjSE_EEENSF_IJSE_SE_EEES9_SG_JZNS1_25segmented_radix_sort_implINS0_14default_configELb1EPKdPdPKlPlN2at6native12_GLOBAL__N_18offset_tEEE10hipError_tPvRmT1_PNSt15iterator_traitsISY_E10value_typeET2_T3_PNSZ_IS14_E10value_typeET4_jRbjT5_S1A_jjP12ihipStream_tbEUljE_EEESV_SW_SX_S14_S18_S1A_T6_T7_T9_mT8_S1C_bDpT10_ENKUlT_T0_E_clISt17integral_constantIbLb0EES1O_IbLb1EEEEDaS1K_S1L_EUlS1K_E_NS1_11comp_targetILNS1_3genE3ELNS1_11target_archE908ELNS1_3gpuE7ELNS1_3repE0EEENS1_30default_config_static_selectorELNS0_4arch9wavefront6targetE0EEEvSY_.has_dyn_sized_stack, 0
	.set _ZN7rocprim17ROCPRIM_400000_NS6detail17trampoline_kernelINS0_13select_configILj256ELj13ELNS0_17block_load_methodE3ELS4_3ELS4_3ELNS0_20block_scan_algorithmE0ELj4294967295EEENS1_25partition_config_selectorILNS1_17partition_subalgoE3EjNS0_10empty_typeEbEEZZNS1_14partition_implILS8_3ELb0ES6_jNS0_17counting_iteratorIjlEEPS9_SE_NS0_5tupleIJPjSE_EEENSF_IJSE_SE_EEES9_SG_JZNS1_25segmented_radix_sort_implINS0_14default_configELb1EPKdPdPKlPlN2at6native12_GLOBAL__N_18offset_tEEE10hipError_tPvRmT1_PNSt15iterator_traitsISY_E10value_typeET2_T3_PNSZ_IS14_E10value_typeET4_jRbjT5_S1A_jjP12ihipStream_tbEUljE_EEESV_SW_SX_S14_S18_S1A_T6_T7_T9_mT8_S1C_bDpT10_ENKUlT_T0_E_clISt17integral_constantIbLb0EES1O_IbLb1EEEEDaS1K_S1L_EUlS1K_E_NS1_11comp_targetILNS1_3genE3ELNS1_11target_archE908ELNS1_3gpuE7ELNS1_3repE0EEENS1_30default_config_static_selectorELNS0_4arch9wavefront6targetE0EEEvSY_.has_recursion, 0
	.set _ZN7rocprim17ROCPRIM_400000_NS6detail17trampoline_kernelINS0_13select_configILj256ELj13ELNS0_17block_load_methodE3ELS4_3ELS4_3ELNS0_20block_scan_algorithmE0ELj4294967295EEENS1_25partition_config_selectorILNS1_17partition_subalgoE3EjNS0_10empty_typeEbEEZZNS1_14partition_implILS8_3ELb0ES6_jNS0_17counting_iteratorIjlEEPS9_SE_NS0_5tupleIJPjSE_EEENSF_IJSE_SE_EEES9_SG_JZNS1_25segmented_radix_sort_implINS0_14default_configELb1EPKdPdPKlPlN2at6native12_GLOBAL__N_18offset_tEEE10hipError_tPvRmT1_PNSt15iterator_traitsISY_E10value_typeET2_T3_PNSZ_IS14_E10value_typeET4_jRbjT5_S1A_jjP12ihipStream_tbEUljE_EEESV_SW_SX_S14_S18_S1A_T6_T7_T9_mT8_S1C_bDpT10_ENKUlT_T0_E_clISt17integral_constantIbLb0EES1O_IbLb1EEEEDaS1K_S1L_EUlS1K_E_NS1_11comp_targetILNS1_3genE3ELNS1_11target_archE908ELNS1_3gpuE7ELNS1_3repE0EEENS1_30default_config_static_selectorELNS0_4arch9wavefront6targetE0EEEvSY_.has_indirect_call, 0
	.section	.AMDGPU.csdata,"",@progbits
; Kernel info:
; codeLenInByte = 0
; TotalNumSgprs: 0
; NumVgprs: 0
; ScratchSize: 0
; MemoryBound: 0
; FloatMode: 240
; IeeeMode: 1
; LDSByteSize: 0 bytes/workgroup (compile time only)
; SGPRBlocks: 0
; VGPRBlocks: 0
; NumSGPRsForWavesPerEU: 1
; NumVGPRsForWavesPerEU: 1
; Occupancy: 16
; WaveLimiterHint : 0
; COMPUTE_PGM_RSRC2:SCRATCH_EN: 0
; COMPUTE_PGM_RSRC2:USER_SGPR: 6
; COMPUTE_PGM_RSRC2:TRAP_HANDLER: 0
; COMPUTE_PGM_RSRC2:TGID_X_EN: 1
; COMPUTE_PGM_RSRC2:TGID_Y_EN: 0
; COMPUTE_PGM_RSRC2:TGID_Z_EN: 0
; COMPUTE_PGM_RSRC2:TIDIG_COMP_CNT: 0
	.section	.text._ZN7rocprim17ROCPRIM_400000_NS6detail17trampoline_kernelINS0_13select_configILj256ELj13ELNS0_17block_load_methodE3ELS4_3ELS4_3ELNS0_20block_scan_algorithmE0ELj4294967295EEENS1_25partition_config_selectorILNS1_17partition_subalgoE3EjNS0_10empty_typeEbEEZZNS1_14partition_implILS8_3ELb0ES6_jNS0_17counting_iteratorIjlEEPS9_SE_NS0_5tupleIJPjSE_EEENSF_IJSE_SE_EEES9_SG_JZNS1_25segmented_radix_sort_implINS0_14default_configELb1EPKdPdPKlPlN2at6native12_GLOBAL__N_18offset_tEEE10hipError_tPvRmT1_PNSt15iterator_traitsISY_E10value_typeET2_T3_PNSZ_IS14_E10value_typeET4_jRbjT5_S1A_jjP12ihipStream_tbEUljE_EEESV_SW_SX_S14_S18_S1A_T6_T7_T9_mT8_S1C_bDpT10_ENKUlT_T0_E_clISt17integral_constantIbLb0EES1O_IbLb1EEEEDaS1K_S1L_EUlS1K_E_NS1_11comp_targetILNS1_3genE2ELNS1_11target_archE906ELNS1_3gpuE6ELNS1_3repE0EEENS1_30default_config_static_selectorELNS0_4arch9wavefront6targetE0EEEvSY_,"axG",@progbits,_ZN7rocprim17ROCPRIM_400000_NS6detail17trampoline_kernelINS0_13select_configILj256ELj13ELNS0_17block_load_methodE3ELS4_3ELS4_3ELNS0_20block_scan_algorithmE0ELj4294967295EEENS1_25partition_config_selectorILNS1_17partition_subalgoE3EjNS0_10empty_typeEbEEZZNS1_14partition_implILS8_3ELb0ES6_jNS0_17counting_iteratorIjlEEPS9_SE_NS0_5tupleIJPjSE_EEENSF_IJSE_SE_EEES9_SG_JZNS1_25segmented_radix_sort_implINS0_14default_configELb1EPKdPdPKlPlN2at6native12_GLOBAL__N_18offset_tEEE10hipError_tPvRmT1_PNSt15iterator_traitsISY_E10value_typeET2_T3_PNSZ_IS14_E10value_typeET4_jRbjT5_S1A_jjP12ihipStream_tbEUljE_EEESV_SW_SX_S14_S18_S1A_T6_T7_T9_mT8_S1C_bDpT10_ENKUlT_T0_E_clISt17integral_constantIbLb0EES1O_IbLb1EEEEDaS1K_S1L_EUlS1K_E_NS1_11comp_targetILNS1_3genE2ELNS1_11target_archE906ELNS1_3gpuE6ELNS1_3repE0EEENS1_30default_config_static_selectorELNS0_4arch9wavefront6targetE0EEEvSY_,comdat
	.globl	_ZN7rocprim17ROCPRIM_400000_NS6detail17trampoline_kernelINS0_13select_configILj256ELj13ELNS0_17block_load_methodE3ELS4_3ELS4_3ELNS0_20block_scan_algorithmE0ELj4294967295EEENS1_25partition_config_selectorILNS1_17partition_subalgoE3EjNS0_10empty_typeEbEEZZNS1_14partition_implILS8_3ELb0ES6_jNS0_17counting_iteratorIjlEEPS9_SE_NS0_5tupleIJPjSE_EEENSF_IJSE_SE_EEES9_SG_JZNS1_25segmented_radix_sort_implINS0_14default_configELb1EPKdPdPKlPlN2at6native12_GLOBAL__N_18offset_tEEE10hipError_tPvRmT1_PNSt15iterator_traitsISY_E10value_typeET2_T3_PNSZ_IS14_E10value_typeET4_jRbjT5_S1A_jjP12ihipStream_tbEUljE_EEESV_SW_SX_S14_S18_S1A_T6_T7_T9_mT8_S1C_bDpT10_ENKUlT_T0_E_clISt17integral_constantIbLb0EES1O_IbLb1EEEEDaS1K_S1L_EUlS1K_E_NS1_11comp_targetILNS1_3genE2ELNS1_11target_archE906ELNS1_3gpuE6ELNS1_3repE0EEENS1_30default_config_static_selectorELNS0_4arch9wavefront6targetE0EEEvSY_ ; -- Begin function _ZN7rocprim17ROCPRIM_400000_NS6detail17trampoline_kernelINS0_13select_configILj256ELj13ELNS0_17block_load_methodE3ELS4_3ELS4_3ELNS0_20block_scan_algorithmE0ELj4294967295EEENS1_25partition_config_selectorILNS1_17partition_subalgoE3EjNS0_10empty_typeEbEEZZNS1_14partition_implILS8_3ELb0ES6_jNS0_17counting_iteratorIjlEEPS9_SE_NS0_5tupleIJPjSE_EEENSF_IJSE_SE_EEES9_SG_JZNS1_25segmented_radix_sort_implINS0_14default_configELb1EPKdPdPKlPlN2at6native12_GLOBAL__N_18offset_tEEE10hipError_tPvRmT1_PNSt15iterator_traitsISY_E10value_typeET2_T3_PNSZ_IS14_E10value_typeET4_jRbjT5_S1A_jjP12ihipStream_tbEUljE_EEESV_SW_SX_S14_S18_S1A_T6_T7_T9_mT8_S1C_bDpT10_ENKUlT_T0_E_clISt17integral_constantIbLb0EES1O_IbLb1EEEEDaS1K_S1L_EUlS1K_E_NS1_11comp_targetILNS1_3genE2ELNS1_11target_archE906ELNS1_3gpuE6ELNS1_3repE0EEENS1_30default_config_static_selectorELNS0_4arch9wavefront6targetE0EEEvSY_
	.p2align	8
	.type	_ZN7rocprim17ROCPRIM_400000_NS6detail17trampoline_kernelINS0_13select_configILj256ELj13ELNS0_17block_load_methodE3ELS4_3ELS4_3ELNS0_20block_scan_algorithmE0ELj4294967295EEENS1_25partition_config_selectorILNS1_17partition_subalgoE3EjNS0_10empty_typeEbEEZZNS1_14partition_implILS8_3ELb0ES6_jNS0_17counting_iteratorIjlEEPS9_SE_NS0_5tupleIJPjSE_EEENSF_IJSE_SE_EEES9_SG_JZNS1_25segmented_radix_sort_implINS0_14default_configELb1EPKdPdPKlPlN2at6native12_GLOBAL__N_18offset_tEEE10hipError_tPvRmT1_PNSt15iterator_traitsISY_E10value_typeET2_T3_PNSZ_IS14_E10value_typeET4_jRbjT5_S1A_jjP12ihipStream_tbEUljE_EEESV_SW_SX_S14_S18_S1A_T6_T7_T9_mT8_S1C_bDpT10_ENKUlT_T0_E_clISt17integral_constantIbLb0EES1O_IbLb1EEEEDaS1K_S1L_EUlS1K_E_NS1_11comp_targetILNS1_3genE2ELNS1_11target_archE906ELNS1_3gpuE6ELNS1_3repE0EEENS1_30default_config_static_selectorELNS0_4arch9wavefront6targetE0EEEvSY_,@function
_ZN7rocprim17ROCPRIM_400000_NS6detail17trampoline_kernelINS0_13select_configILj256ELj13ELNS0_17block_load_methodE3ELS4_3ELS4_3ELNS0_20block_scan_algorithmE0ELj4294967295EEENS1_25partition_config_selectorILNS1_17partition_subalgoE3EjNS0_10empty_typeEbEEZZNS1_14partition_implILS8_3ELb0ES6_jNS0_17counting_iteratorIjlEEPS9_SE_NS0_5tupleIJPjSE_EEENSF_IJSE_SE_EEES9_SG_JZNS1_25segmented_radix_sort_implINS0_14default_configELb1EPKdPdPKlPlN2at6native12_GLOBAL__N_18offset_tEEE10hipError_tPvRmT1_PNSt15iterator_traitsISY_E10value_typeET2_T3_PNSZ_IS14_E10value_typeET4_jRbjT5_S1A_jjP12ihipStream_tbEUljE_EEESV_SW_SX_S14_S18_S1A_T6_T7_T9_mT8_S1C_bDpT10_ENKUlT_T0_E_clISt17integral_constantIbLb0EES1O_IbLb1EEEEDaS1K_S1L_EUlS1K_E_NS1_11comp_targetILNS1_3genE2ELNS1_11target_archE906ELNS1_3gpuE6ELNS1_3repE0EEENS1_30default_config_static_selectorELNS0_4arch9wavefront6targetE0EEEvSY_: ; @_ZN7rocprim17ROCPRIM_400000_NS6detail17trampoline_kernelINS0_13select_configILj256ELj13ELNS0_17block_load_methodE3ELS4_3ELS4_3ELNS0_20block_scan_algorithmE0ELj4294967295EEENS1_25partition_config_selectorILNS1_17partition_subalgoE3EjNS0_10empty_typeEbEEZZNS1_14partition_implILS8_3ELb0ES6_jNS0_17counting_iteratorIjlEEPS9_SE_NS0_5tupleIJPjSE_EEENSF_IJSE_SE_EEES9_SG_JZNS1_25segmented_radix_sort_implINS0_14default_configELb1EPKdPdPKlPlN2at6native12_GLOBAL__N_18offset_tEEE10hipError_tPvRmT1_PNSt15iterator_traitsISY_E10value_typeET2_T3_PNSZ_IS14_E10value_typeET4_jRbjT5_S1A_jjP12ihipStream_tbEUljE_EEESV_SW_SX_S14_S18_S1A_T6_T7_T9_mT8_S1C_bDpT10_ENKUlT_T0_E_clISt17integral_constantIbLb0EES1O_IbLb1EEEEDaS1K_S1L_EUlS1K_E_NS1_11comp_targetILNS1_3genE2ELNS1_11target_archE906ELNS1_3gpuE6ELNS1_3repE0EEENS1_30default_config_static_selectorELNS0_4arch9wavefront6targetE0EEEvSY_
; %bb.0:
	.section	.rodata,"a",@progbits
	.p2align	6, 0x0
	.amdhsa_kernel _ZN7rocprim17ROCPRIM_400000_NS6detail17trampoline_kernelINS0_13select_configILj256ELj13ELNS0_17block_load_methodE3ELS4_3ELS4_3ELNS0_20block_scan_algorithmE0ELj4294967295EEENS1_25partition_config_selectorILNS1_17partition_subalgoE3EjNS0_10empty_typeEbEEZZNS1_14partition_implILS8_3ELb0ES6_jNS0_17counting_iteratorIjlEEPS9_SE_NS0_5tupleIJPjSE_EEENSF_IJSE_SE_EEES9_SG_JZNS1_25segmented_radix_sort_implINS0_14default_configELb1EPKdPdPKlPlN2at6native12_GLOBAL__N_18offset_tEEE10hipError_tPvRmT1_PNSt15iterator_traitsISY_E10value_typeET2_T3_PNSZ_IS14_E10value_typeET4_jRbjT5_S1A_jjP12ihipStream_tbEUljE_EEESV_SW_SX_S14_S18_S1A_T6_T7_T9_mT8_S1C_bDpT10_ENKUlT_T0_E_clISt17integral_constantIbLb0EES1O_IbLb1EEEEDaS1K_S1L_EUlS1K_E_NS1_11comp_targetILNS1_3genE2ELNS1_11target_archE906ELNS1_3gpuE6ELNS1_3repE0EEENS1_30default_config_static_selectorELNS0_4arch9wavefront6targetE0EEEvSY_
		.amdhsa_group_segment_fixed_size 0
		.amdhsa_private_segment_fixed_size 0
		.amdhsa_kernarg_size 152
		.amdhsa_user_sgpr_count 6
		.amdhsa_user_sgpr_private_segment_buffer 1
		.amdhsa_user_sgpr_dispatch_ptr 0
		.amdhsa_user_sgpr_queue_ptr 0
		.amdhsa_user_sgpr_kernarg_segment_ptr 1
		.amdhsa_user_sgpr_dispatch_id 0
		.amdhsa_user_sgpr_flat_scratch_init 0
		.amdhsa_user_sgpr_private_segment_size 0
		.amdhsa_wavefront_size32 1
		.amdhsa_uses_dynamic_stack 0
		.amdhsa_system_sgpr_private_segment_wavefront_offset 0
		.amdhsa_system_sgpr_workgroup_id_x 1
		.amdhsa_system_sgpr_workgroup_id_y 0
		.amdhsa_system_sgpr_workgroup_id_z 0
		.amdhsa_system_sgpr_workgroup_info 0
		.amdhsa_system_vgpr_workitem_id 0
		.amdhsa_next_free_vgpr 1
		.amdhsa_next_free_sgpr 1
		.amdhsa_reserve_vcc 0
		.amdhsa_reserve_flat_scratch 0
		.amdhsa_float_round_mode_32 0
		.amdhsa_float_round_mode_16_64 0
		.amdhsa_float_denorm_mode_32 3
		.amdhsa_float_denorm_mode_16_64 3
		.amdhsa_dx10_clamp 1
		.amdhsa_ieee_mode 1
		.amdhsa_fp16_overflow 0
		.amdhsa_workgroup_processor_mode 1
		.amdhsa_memory_ordered 1
		.amdhsa_forward_progress 1
		.amdhsa_shared_vgpr_count 0
		.amdhsa_exception_fp_ieee_invalid_op 0
		.amdhsa_exception_fp_denorm_src 0
		.amdhsa_exception_fp_ieee_div_zero 0
		.amdhsa_exception_fp_ieee_overflow 0
		.amdhsa_exception_fp_ieee_underflow 0
		.amdhsa_exception_fp_ieee_inexact 0
		.amdhsa_exception_int_div_zero 0
	.end_amdhsa_kernel
	.section	.text._ZN7rocprim17ROCPRIM_400000_NS6detail17trampoline_kernelINS0_13select_configILj256ELj13ELNS0_17block_load_methodE3ELS4_3ELS4_3ELNS0_20block_scan_algorithmE0ELj4294967295EEENS1_25partition_config_selectorILNS1_17partition_subalgoE3EjNS0_10empty_typeEbEEZZNS1_14partition_implILS8_3ELb0ES6_jNS0_17counting_iteratorIjlEEPS9_SE_NS0_5tupleIJPjSE_EEENSF_IJSE_SE_EEES9_SG_JZNS1_25segmented_radix_sort_implINS0_14default_configELb1EPKdPdPKlPlN2at6native12_GLOBAL__N_18offset_tEEE10hipError_tPvRmT1_PNSt15iterator_traitsISY_E10value_typeET2_T3_PNSZ_IS14_E10value_typeET4_jRbjT5_S1A_jjP12ihipStream_tbEUljE_EEESV_SW_SX_S14_S18_S1A_T6_T7_T9_mT8_S1C_bDpT10_ENKUlT_T0_E_clISt17integral_constantIbLb0EES1O_IbLb1EEEEDaS1K_S1L_EUlS1K_E_NS1_11comp_targetILNS1_3genE2ELNS1_11target_archE906ELNS1_3gpuE6ELNS1_3repE0EEENS1_30default_config_static_selectorELNS0_4arch9wavefront6targetE0EEEvSY_,"axG",@progbits,_ZN7rocprim17ROCPRIM_400000_NS6detail17trampoline_kernelINS0_13select_configILj256ELj13ELNS0_17block_load_methodE3ELS4_3ELS4_3ELNS0_20block_scan_algorithmE0ELj4294967295EEENS1_25partition_config_selectorILNS1_17partition_subalgoE3EjNS0_10empty_typeEbEEZZNS1_14partition_implILS8_3ELb0ES6_jNS0_17counting_iteratorIjlEEPS9_SE_NS0_5tupleIJPjSE_EEENSF_IJSE_SE_EEES9_SG_JZNS1_25segmented_radix_sort_implINS0_14default_configELb1EPKdPdPKlPlN2at6native12_GLOBAL__N_18offset_tEEE10hipError_tPvRmT1_PNSt15iterator_traitsISY_E10value_typeET2_T3_PNSZ_IS14_E10value_typeET4_jRbjT5_S1A_jjP12ihipStream_tbEUljE_EEESV_SW_SX_S14_S18_S1A_T6_T7_T9_mT8_S1C_bDpT10_ENKUlT_T0_E_clISt17integral_constantIbLb0EES1O_IbLb1EEEEDaS1K_S1L_EUlS1K_E_NS1_11comp_targetILNS1_3genE2ELNS1_11target_archE906ELNS1_3gpuE6ELNS1_3repE0EEENS1_30default_config_static_selectorELNS0_4arch9wavefront6targetE0EEEvSY_,comdat
.Lfunc_end1106:
	.size	_ZN7rocprim17ROCPRIM_400000_NS6detail17trampoline_kernelINS0_13select_configILj256ELj13ELNS0_17block_load_methodE3ELS4_3ELS4_3ELNS0_20block_scan_algorithmE0ELj4294967295EEENS1_25partition_config_selectorILNS1_17partition_subalgoE3EjNS0_10empty_typeEbEEZZNS1_14partition_implILS8_3ELb0ES6_jNS0_17counting_iteratorIjlEEPS9_SE_NS0_5tupleIJPjSE_EEENSF_IJSE_SE_EEES9_SG_JZNS1_25segmented_radix_sort_implINS0_14default_configELb1EPKdPdPKlPlN2at6native12_GLOBAL__N_18offset_tEEE10hipError_tPvRmT1_PNSt15iterator_traitsISY_E10value_typeET2_T3_PNSZ_IS14_E10value_typeET4_jRbjT5_S1A_jjP12ihipStream_tbEUljE_EEESV_SW_SX_S14_S18_S1A_T6_T7_T9_mT8_S1C_bDpT10_ENKUlT_T0_E_clISt17integral_constantIbLb0EES1O_IbLb1EEEEDaS1K_S1L_EUlS1K_E_NS1_11comp_targetILNS1_3genE2ELNS1_11target_archE906ELNS1_3gpuE6ELNS1_3repE0EEENS1_30default_config_static_selectorELNS0_4arch9wavefront6targetE0EEEvSY_, .Lfunc_end1106-_ZN7rocprim17ROCPRIM_400000_NS6detail17trampoline_kernelINS0_13select_configILj256ELj13ELNS0_17block_load_methodE3ELS4_3ELS4_3ELNS0_20block_scan_algorithmE0ELj4294967295EEENS1_25partition_config_selectorILNS1_17partition_subalgoE3EjNS0_10empty_typeEbEEZZNS1_14partition_implILS8_3ELb0ES6_jNS0_17counting_iteratorIjlEEPS9_SE_NS0_5tupleIJPjSE_EEENSF_IJSE_SE_EEES9_SG_JZNS1_25segmented_radix_sort_implINS0_14default_configELb1EPKdPdPKlPlN2at6native12_GLOBAL__N_18offset_tEEE10hipError_tPvRmT1_PNSt15iterator_traitsISY_E10value_typeET2_T3_PNSZ_IS14_E10value_typeET4_jRbjT5_S1A_jjP12ihipStream_tbEUljE_EEESV_SW_SX_S14_S18_S1A_T6_T7_T9_mT8_S1C_bDpT10_ENKUlT_T0_E_clISt17integral_constantIbLb0EES1O_IbLb1EEEEDaS1K_S1L_EUlS1K_E_NS1_11comp_targetILNS1_3genE2ELNS1_11target_archE906ELNS1_3gpuE6ELNS1_3repE0EEENS1_30default_config_static_selectorELNS0_4arch9wavefront6targetE0EEEvSY_
                                        ; -- End function
	.set _ZN7rocprim17ROCPRIM_400000_NS6detail17trampoline_kernelINS0_13select_configILj256ELj13ELNS0_17block_load_methodE3ELS4_3ELS4_3ELNS0_20block_scan_algorithmE0ELj4294967295EEENS1_25partition_config_selectorILNS1_17partition_subalgoE3EjNS0_10empty_typeEbEEZZNS1_14partition_implILS8_3ELb0ES6_jNS0_17counting_iteratorIjlEEPS9_SE_NS0_5tupleIJPjSE_EEENSF_IJSE_SE_EEES9_SG_JZNS1_25segmented_radix_sort_implINS0_14default_configELb1EPKdPdPKlPlN2at6native12_GLOBAL__N_18offset_tEEE10hipError_tPvRmT1_PNSt15iterator_traitsISY_E10value_typeET2_T3_PNSZ_IS14_E10value_typeET4_jRbjT5_S1A_jjP12ihipStream_tbEUljE_EEESV_SW_SX_S14_S18_S1A_T6_T7_T9_mT8_S1C_bDpT10_ENKUlT_T0_E_clISt17integral_constantIbLb0EES1O_IbLb1EEEEDaS1K_S1L_EUlS1K_E_NS1_11comp_targetILNS1_3genE2ELNS1_11target_archE906ELNS1_3gpuE6ELNS1_3repE0EEENS1_30default_config_static_selectorELNS0_4arch9wavefront6targetE0EEEvSY_.num_vgpr, 0
	.set _ZN7rocprim17ROCPRIM_400000_NS6detail17trampoline_kernelINS0_13select_configILj256ELj13ELNS0_17block_load_methodE3ELS4_3ELS4_3ELNS0_20block_scan_algorithmE0ELj4294967295EEENS1_25partition_config_selectorILNS1_17partition_subalgoE3EjNS0_10empty_typeEbEEZZNS1_14partition_implILS8_3ELb0ES6_jNS0_17counting_iteratorIjlEEPS9_SE_NS0_5tupleIJPjSE_EEENSF_IJSE_SE_EEES9_SG_JZNS1_25segmented_radix_sort_implINS0_14default_configELb1EPKdPdPKlPlN2at6native12_GLOBAL__N_18offset_tEEE10hipError_tPvRmT1_PNSt15iterator_traitsISY_E10value_typeET2_T3_PNSZ_IS14_E10value_typeET4_jRbjT5_S1A_jjP12ihipStream_tbEUljE_EEESV_SW_SX_S14_S18_S1A_T6_T7_T9_mT8_S1C_bDpT10_ENKUlT_T0_E_clISt17integral_constantIbLb0EES1O_IbLb1EEEEDaS1K_S1L_EUlS1K_E_NS1_11comp_targetILNS1_3genE2ELNS1_11target_archE906ELNS1_3gpuE6ELNS1_3repE0EEENS1_30default_config_static_selectorELNS0_4arch9wavefront6targetE0EEEvSY_.num_agpr, 0
	.set _ZN7rocprim17ROCPRIM_400000_NS6detail17trampoline_kernelINS0_13select_configILj256ELj13ELNS0_17block_load_methodE3ELS4_3ELS4_3ELNS0_20block_scan_algorithmE0ELj4294967295EEENS1_25partition_config_selectorILNS1_17partition_subalgoE3EjNS0_10empty_typeEbEEZZNS1_14partition_implILS8_3ELb0ES6_jNS0_17counting_iteratorIjlEEPS9_SE_NS0_5tupleIJPjSE_EEENSF_IJSE_SE_EEES9_SG_JZNS1_25segmented_radix_sort_implINS0_14default_configELb1EPKdPdPKlPlN2at6native12_GLOBAL__N_18offset_tEEE10hipError_tPvRmT1_PNSt15iterator_traitsISY_E10value_typeET2_T3_PNSZ_IS14_E10value_typeET4_jRbjT5_S1A_jjP12ihipStream_tbEUljE_EEESV_SW_SX_S14_S18_S1A_T6_T7_T9_mT8_S1C_bDpT10_ENKUlT_T0_E_clISt17integral_constantIbLb0EES1O_IbLb1EEEEDaS1K_S1L_EUlS1K_E_NS1_11comp_targetILNS1_3genE2ELNS1_11target_archE906ELNS1_3gpuE6ELNS1_3repE0EEENS1_30default_config_static_selectorELNS0_4arch9wavefront6targetE0EEEvSY_.numbered_sgpr, 0
	.set _ZN7rocprim17ROCPRIM_400000_NS6detail17trampoline_kernelINS0_13select_configILj256ELj13ELNS0_17block_load_methodE3ELS4_3ELS4_3ELNS0_20block_scan_algorithmE0ELj4294967295EEENS1_25partition_config_selectorILNS1_17partition_subalgoE3EjNS0_10empty_typeEbEEZZNS1_14partition_implILS8_3ELb0ES6_jNS0_17counting_iteratorIjlEEPS9_SE_NS0_5tupleIJPjSE_EEENSF_IJSE_SE_EEES9_SG_JZNS1_25segmented_radix_sort_implINS0_14default_configELb1EPKdPdPKlPlN2at6native12_GLOBAL__N_18offset_tEEE10hipError_tPvRmT1_PNSt15iterator_traitsISY_E10value_typeET2_T3_PNSZ_IS14_E10value_typeET4_jRbjT5_S1A_jjP12ihipStream_tbEUljE_EEESV_SW_SX_S14_S18_S1A_T6_T7_T9_mT8_S1C_bDpT10_ENKUlT_T0_E_clISt17integral_constantIbLb0EES1O_IbLb1EEEEDaS1K_S1L_EUlS1K_E_NS1_11comp_targetILNS1_3genE2ELNS1_11target_archE906ELNS1_3gpuE6ELNS1_3repE0EEENS1_30default_config_static_selectorELNS0_4arch9wavefront6targetE0EEEvSY_.num_named_barrier, 0
	.set _ZN7rocprim17ROCPRIM_400000_NS6detail17trampoline_kernelINS0_13select_configILj256ELj13ELNS0_17block_load_methodE3ELS4_3ELS4_3ELNS0_20block_scan_algorithmE0ELj4294967295EEENS1_25partition_config_selectorILNS1_17partition_subalgoE3EjNS0_10empty_typeEbEEZZNS1_14partition_implILS8_3ELb0ES6_jNS0_17counting_iteratorIjlEEPS9_SE_NS0_5tupleIJPjSE_EEENSF_IJSE_SE_EEES9_SG_JZNS1_25segmented_radix_sort_implINS0_14default_configELb1EPKdPdPKlPlN2at6native12_GLOBAL__N_18offset_tEEE10hipError_tPvRmT1_PNSt15iterator_traitsISY_E10value_typeET2_T3_PNSZ_IS14_E10value_typeET4_jRbjT5_S1A_jjP12ihipStream_tbEUljE_EEESV_SW_SX_S14_S18_S1A_T6_T7_T9_mT8_S1C_bDpT10_ENKUlT_T0_E_clISt17integral_constantIbLb0EES1O_IbLb1EEEEDaS1K_S1L_EUlS1K_E_NS1_11comp_targetILNS1_3genE2ELNS1_11target_archE906ELNS1_3gpuE6ELNS1_3repE0EEENS1_30default_config_static_selectorELNS0_4arch9wavefront6targetE0EEEvSY_.private_seg_size, 0
	.set _ZN7rocprim17ROCPRIM_400000_NS6detail17trampoline_kernelINS0_13select_configILj256ELj13ELNS0_17block_load_methodE3ELS4_3ELS4_3ELNS0_20block_scan_algorithmE0ELj4294967295EEENS1_25partition_config_selectorILNS1_17partition_subalgoE3EjNS0_10empty_typeEbEEZZNS1_14partition_implILS8_3ELb0ES6_jNS0_17counting_iteratorIjlEEPS9_SE_NS0_5tupleIJPjSE_EEENSF_IJSE_SE_EEES9_SG_JZNS1_25segmented_radix_sort_implINS0_14default_configELb1EPKdPdPKlPlN2at6native12_GLOBAL__N_18offset_tEEE10hipError_tPvRmT1_PNSt15iterator_traitsISY_E10value_typeET2_T3_PNSZ_IS14_E10value_typeET4_jRbjT5_S1A_jjP12ihipStream_tbEUljE_EEESV_SW_SX_S14_S18_S1A_T6_T7_T9_mT8_S1C_bDpT10_ENKUlT_T0_E_clISt17integral_constantIbLb0EES1O_IbLb1EEEEDaS1K_S1L_EUlS1K_E_NS1_11comp_targetILNS1_3genE2ELNS1_11target_archE906ELNS1_3gpuE6ELNS1_3repE0EEENS1_30default_config_static_selectorELNS0_4arch9wavefront6targetE0EEEvSY_.uses_vcc, 0
	.set _ZN7rocprim17ROCPRIM_400000_NS6detail17trampoline_kernelINS0_13select_configILj256ELj13ELNS0_17block_load_methodE3ELS4_3ELS4_3ELNS0_20block_scan_algorithmE0ELj4294967295EEENS1_25partition_config_selectorILNS1_17partition_subalgoE3EjNS0_10empty_typeEbEEZZNS1_14partition_implILS8_3ELb0ES6_jNS0_17counting_iteratorIjlEEPS9_SE_NS0_5tupleIJPjSE_EEENSF_IJSE_SE_EEES9_SG_JZNS1_25segmented_radix_sort_implINS0_14default_configELb1EPKdPdPKlPlN2at6native12_GLOBAL__N_18offset_tEEE10hipError_tPvRmT1_PNSt15iterator_traitsISY_E10value_typeET2_T3_PNSZ_IS14_E10value_typeET4_jRbjT5_S1A_jjP12ihipStream_tbEUljE_EEESV_SW_SX_S14_S18_S1A_T6_T7_T9_mT8_S1C_bDpT10_ENKUlT_T0_E_clISt17integral_constantIbLb0EES1O_IbLb1EEEEDaS1K_S1L_EUlS1K_E_NS1_11comp_targetILNS1_3genE2ELNS1_11target_archE906ELNS1_3gpuE6ELNS1_3repE0EEENS1_30default_config_static_selectorELNS0_4arch9wavefront6targetE0EEEvSY_.uses_flat_scratch, 0
	.set _ZN7rocprim17ROCPRIM_400000_NS6detail17trampoline_kernelINS0_13select_configILj256ELj13ELNS0_17block_load_methodE3ELS4_3ELS4_3ELNS0_20block_scan_algorithmE0ELj4294967295EEENS1_25partition_config_selectorILNS1_17partition_subalgoE3EjNS0_10empty_typeEbEEZZNS1_14partition_implILS8_3ELb0ES6_jNS0_17counting_iteratorIjlEEPS9_SE_NS0_5tupleIJPjSE_EEENSF_IJSE_SE_EEES9_SG_JZNS1_25segmented_radix_sort_implINS0_14default_configELb1EPKdPdPKlPlN2at6native12_GLOBAL__N_18offset_tEEE10hipError_tPvRmT1_PNSt15iterator_traitsISY_E10value_typeET2_T3_PNSZ_IS14_E10value_typeET4_jRbjT5_S1A_jjP12ihipStream_tbEUljE_EEESV_SW_SX_S14_S18_S1A_T6_T7_T9_mT8_S1C_bDpT10_ENKUlT_T0_E_clISt17integral_constantIbLb0EES1O_IbLb1EEEEDaS1K_S1L_EUlS1K_E_NS1_11comp_targetILNS1_3genE2ELNS1_11target_archE906ELNS1_3gpuE6ELNS1_3repE0EEENS1_30default_config_static_selectorELNS0_4arch9wavefront6targetE0EEEvSY_.has_dyn_sized_stack, 0
	.set _ZN7rocprim17ROCPRIM_400000_NS6detail17trampoline_kernelINS0_13select_configILj256ELj13ELNS0_17block_load_methodE3ELS4_3ELS4_3ELNS0_20block_scan_algorithmE0ELj4294967295EEENS1_25partition_config_selectorILNS1_17partition_subalgoE3EjNS0_10empty_typeEbEEZZNS1_14partition_implILS8_3ELb0ES6_jNS0_17counting_iteratorIjlEEPS9_SE_NS0_5tupleIJPjSE_EEENSF_IJSE_SE_EEES9_SG_JZNS1_25segmented_radix_sort_implINS0_14default_configELb1EPKdPdPKlPlN2at6native12_GLOBAL__N_18offset_tEEE10hipError_tPvRmT1_PNSt15iterator_traitsISY_E10value_typeET2_T3_PNSZ_IS14_E10value_typeET4_jRbjT5_S1A_jjP12ihipStream_tbEUljE_EEESV_SW_SX_S14_S18_S1A_T6_T7_T9_mT8_S1C_bDpT10_ENKUlT_T0_E_clISt17integral_constantIbLb0EES1O_IbLb1EEEEDaS1K_S1L_EUlS1K_E_NS1_11comp_targetILNS1_3genE2ELNS1_11target_archE906ELNS1_3gpuE6ELNS1_3repE0EEENS1_30default_config_static_selectorELNS0_4arch9wavefront6targetE0EEEvSY_.has_recursion, 0
	.set _ZN7rocprim17ROCPRIM_400000_NS6detail17trampoline_kernelINS0_13select_configILj256ELj13ELNS0_17block_load_methodE3ELS4_3ELS4_3ELNS0_20block_scan_algorithmE0ELj4294967295EEENS1_25partition_config_selectorILNS1_17partition_subalgoE3EjNS0_10empty_typeEbEEZZNS1_14partition_implILS8_3ELb0ES6_jNS0_17counting_iteratorIjlEEPS9_SE_NS0_5tupleIJPjSE_EEENSF_IJSE_SE_EEES9_SG_JZNS1_25segmented_radix_sort_implINS0_14default_configELb1EPKdPdPKlPlN2at6native12_GLOBAL__N_18offset_tEEE10hipError_tPvRmT1_PNSt15iterator_traitsISY_E10value_typeET2_T3_PNSZ_IS14_E10value_typeET4_jRbjT5_S1A_jjP12ihipStream_tbEUljE_EEESV_SW_SX_S14_S18_S1A_T6_T7_T9_mT8_S1C_bDpT10_ENKUlT_T0_E_clISt17integral_constantIbLb0EES1O_IbLb1EEEEDaS1K_S1L_EUlS1K_E_NS1_11comp_targetILNS1_3genE2ELNS1_11target_archE906ELNS1_3gpuE6ELNS1_3repE0EEENS1_30default_config_static_selectorELNS0_4arch9wavefront6targetE0EEEvSY_.has_indirect_call, 0
	.section	.AMDGPU.csdata,"",@progbits
; Kernel info:
; codeLenInByte = 0
; TotalNumSgprs: 0
; NumVgprs: 0
; ScratchSize: 0
; MemoryBound: 0
; FloatMode: 240
; IeeeMode: 1
; LDSByteSize: 0 bytes/workgroup (compile time only)
; SGPRBlocks: 0
; VGPRBlocks: 0
; NumSGPRsForWavesPerEU: 1
; NumVGPRsForWavesPerEU: 1
; Occupancy: 16
; WaveLimiterHint : 0
; COMPUTE_PGM_RSRC2:SCRATCH_EN: 0
; COMPUTE_PGM_RSRC2:USER_SGPR: 6
; COMPUTE_PGM_RSRC2:TRAP_HANDLER: 0
; COMPUTE_PGM_RSRC2:TGID_X_EN: 1
; COMPUTE_PGM_RSRC2:TGID_Y_EN: 0
; COMPUTE_PGM_RSRC2:TGID_Z_EN: 0
; COMPUTE_PGM_RSRC2:TIDIG_COMP_CNT: 0
	.section	.text._ZN7rocprim17ROCPRIM_400000_NS6detail17trampoline_kernelINS0_13select_configILj256ELj13ELNS0_17block_load_methodE3ELS4_3ELS4_3ELNS0_20block_scan_algorithmE0ELj4294967295EEENS1_25partition_config_selectorILNS1_17partition_subalgoE3EjNS0_10empty_typeEbEEZZNS1_14partition_implILS8_3ELb0ES6_jNS0_17counting_iteratorIjlEEPS9_SE_NS0_5tupleIJPjSE_EEENSF_IJSE_SE_EEES9_SG_JZNS1_25segmented_radix_sort_implINS0_14default_configELb1EPKdPdPKlPlN2at6native12_GLOBAL__N_18offset_tEEE10hipError_tPvRmT1_PNSt15iterator_traitsISY_E10value_typeET2_T3_PNSZ_IS14_E10value_typeET4_jRbjT5_S1A_jjP12ihipStream_tbEUljE_EEESV_SW_SX_S14_S18_S1A_T6_T7_T9_mT8_S1C_bDpT10_ENKUlT_T0_E_clISt17integral_constantIbLb0EES1O_IbLb1EEEEDaS1K_S1L_EUlS1K_E_NS1_11comp_targetILNS1_3genE10ELNS1_11target_archE1200ELNS1_3gpuE4ELNS1_3repE0EEENS1_30default_config_static_selectorELNS0_4arch9wavefront6targetE0EEEvSY_,"axG",@progbits,_ZN7rocprim17ROCPRIM_400000_NS6detail17trampoline_kernelINS0_13select_configILj256ELj13ELNS0_17block_load_methodE3ELS4_3ELS4_3ELNS0_20block_scan_algorithmE0ELj4294967295EEENS1_25partition_config_selectorILNS1_17partition_subalgoE3EjNS0_10empty_typeEbEEZZNS1_14partition_implILS8_3ELb0ES6_jNS0_17counting_iteratorIjlEEPS9_SE_NS0_5tupleIJPjSE_EEENSF_IJSE_SE_EEES9_SG_JZNS1_25segmented_radix_sort_implINS0_14default_configELb1EPKdPdPKlPlN2at6native12_GLOBAL__N_18offset_tEEE10hipError_tPvRmT1_PNSt15iterator_traitsISY_E10value_typeET2_T3_PNSZ_IS14_E10value_typeET4_jRbjT5_S1A_jjP12ihipStream_tbEUljE_EEESV_SW_SX_S14_S18_S1A_T6_T7_T9_mT8_S1C_bDpT10_ENKUlT_T0_E_clISt17integral_constantIbLb0EES1O_IbLb1EEEEDaS1K_S1L_EUlS1K_E_NS1_11comp_targetILNS1_3genE10ELNS1_11target_archE1200ELNS1_3gpuE4ELNS1_3repE0EEENS1_30default_config_static_selectorELNS0_4arch9wavefront6targetE0EEEvSY_,comdat
	.globl	_ZN7rocprim17ROCPRIM_400000_NS6detail17trampoline_kernelINS0_13select_configILj256ELj13ELNS0_17block_load_methodE3ELS4_3ELS4_3ELNS0_20block_scan_algorithmE0ELj4294967295EEENS1_25partition_config_selectorILNS1_17partition_subalgoE3EjNS0_10empty_typeEbEEZZNS1_14partition_implILS8_3ELb0ES6_jNS0_17counting_iteratorIjlEEPS9_SE_NS0_5tupleIJPjSE_EEENSF_IJSE_SE_EEES9_SG_JZNS1_25segmented_radix_sort_implINS0_14default_configELb1EPKdPdPKlPlN2at6native12_GLOBAL__N_18offset_tEEE10hipError_tPvRmT1_PNSt15iterator_traitsISY_E10value_typeET2_T3_PNSZ_IS14_E10value_typeET4_jRbjT5_S1A_jjP12ihipStream_tbEUljE_EEESV_SW_SX_S14_S18_S1A_T6_T7_T9_mT8_S1C_bDpT10_ENKUlT_T0_E_clISt17integral_constantIbLb0EES1O_IbLb1EEEEDaS1K_S1L_EUlS1K_E_NS1_11comp_targetILNS1_3genE10ELNS1_11target_archE1200ELNS1_3gpuE4ELNS1_3repE0EEENS1_30default_config_static_selectorELNS0_4arch9wavefront6targetE0EEEvSY_ ; -- Begin function _ZN7rocprim17ROCPRIM_400000_NS6detail17trampoline_kernelINS0_13select_configILj256ELj13ELNS0_17block_load_methodE3ELS4_3ELS4_3ELNS0_20block_scan_algorithmE0ELj4294967295EEENS1_25partition_config_selectorILNS1_17partition_subalgoE3EjNS0_10empty_typeEbEEZZNS1_14partition_implILS8_3ELb0ES6_jNS0_17counting_iteratorIjlEEPS9_SE_NS0_5tupleIJPjSE_EEENSF_IJSE_SE_EEES9_SG_JZNS1_25segmented_radix_sort_implINS0_14default_configELb1EPKdPdPKlPlN2at6native12_GLOBAL__N_18offset_tEEE10hipError_tPvRmT1_PNSt15iterator_traitsISY_E10value_typeET2_T3_PNSZ_IS14_E10value_typeET4_jRbjT5_S1A_jjP12ihipStream_tbEUljE_EEESV_SW_SX_S14_S18_S1A_T6_T7_T9_mT8_S1C_bDpT10_ENKUlT_T0_E_clISt17integral_constantIbLb0EES1O_IbLb1EEEEDaS1K_S1L_EUlS1K_E_NS1_11comp_targetILNS1_3genE10ELNS1_11target_archE1200ELNS1_3gpuE4ELNS1_3repE0EEENS1_30default_config_static_selectorELNS0_4arch9wavefront6targetE0EEEvSY_
	.p2align	8
	.type	_ZN7rocprim17ROCPRIM_400000_NS6detail17trampoline_kernelINS0_13select_configILj256ELj13ELNS0_17block_load_methodE3ELS4_3ELS4_3ELNS0_20block_scan_algorithmE0ELj4294967295EEENS1_25partition_config_selectorILNS1_17partition_subalgoE3EjNS0_10empty_typeEbEEZZNS1_14partition_implILS8_3ELb0ES6_jNS0_17counting_iteratorIjlEEPS9_SE_NS0_5tupleIJPjSE_EEENSF_IJSE_SE_EEES9_SG_JZNS1_25segmented_radix_sort_implINS0_14default_configELb1EPKdPdPKlPlN2at6native12_GLOBAL__N_18offset_tEEE10hipError_tPvRmT1_PNSt15iterator_traitsISY_E10value_typeET2_T3_PNSZ_IS14_E10value_typeET4_jRbjT5_S1A_jjP12ihipStream_tbEUljE_EEESV_SW_SX_S14_S18_S1A_T6_T7_T9_mT8_S1C_bDpT10_ENKUlT_T0_E_clISt17integral_constantIbLb0EES1O_IbLb1EEEEDaS1K_S1L_EUlS1K_E_NS1_11comp_targetILNS1_3genE10ELNS1_11target_archE1200ELNS1_3gpuE4ELNS1_3repE0EEENS1_30default_config_static_selectorELNS0_4arch9wavefront6targetE0EEEvSY_,@function
_ZN7rocprim17ROCPRIM_400000_NS6detail17trampoline_kernelINS0_13select_configILj256ELj13ELNS0_17block_load_methodE3ELS4_3ELS4_3ELNS0_20block_scan_algorithmE0ELj4294967295EEENS1_25partition_config_selectorILNS1_17partition_subalgoE3EjNS0_10empty_typeEbEEZZNS1_14partition_implILS8_3ELb0ES6_jNS0_17counting_iteratorIjlEEPS9_SE_NS0_5tupleIJPjSE_EEENSF_IJSE_SE_EEES9_SG_JZNS1_25segmented_radix_sort_implINS0_14default_configELb1EPKdPdPKlPlN2at6native12_GLOBAL__N_18offset_tEEE10hipError_tPvRmT1_PNSt15iterator_traitsISY_E10value_typeET2_T3_PNSZ_IS14_E10value_typeET4_jRbjT5_S1A_jjP12ihipStream_tbEUljE_EEESV_SW_SX_S14_S18_S1A_T6_T7_T9_mT8_S1C_bDpT10_ENKUlT_T0_E_clISt17integral_constantIbLb0EES1O_IbLb1EEEEDaS1K_S1L_EUlS1K_E_NS1_11comp_targetILNS1_3genE10ELNS1_11target_archE1200ELNS1_3gpuE4ELNS1_3repE0EEENS1_30default_config_static_selectorELNS0_4arch9wavefront6targetE0EEEvSY_: ; @_ZN7rocprim17ROCPRIM_400000_NS6detail17trampoline_kernelINS0_13select_configILj256ELj13ELNS0_17block_load_methodE3ELS4_3ELS4_3ELNS0_20block_scan_algorithmE0ELj4294967295EEENS1_25partition_config_selectorILNS1_17partition_subalgoE3EjNS0_10empty_typeEbEEZZNS1_14partition_implILS8_3ELb0ES6_jNS0_17counting_iteratorIjlEEPS9_SE_NS0_5tupleIJPjSE_EEENSF_IJSE_SE_EEES9_SG_JZNS1_25segmented_radix_sort_implINS0_14default_configELb1EPKdPdPKlPlN2at6native12_GLOBAL__N_18offset_tEEE10hipError_tPvRmT1_PNSt15iterator_traitsISY_E10value_typeET2_T3_PNSZ_IS14_E10value_typeET4_jRbjT5_S1A_jjP12ihipStream_tbEUljE_EEESV_SW_SX_S14_S18_S1A_T6_T7_T9_mT8_S1C_bDpT10_ENKUlT_T0_E_clISt17integral_constantIbLb0EES1O_IbLb1EEEEDaS1K_S1L_EUlS1K_E_NS1_11comp_targetILNS1_3genE10ELNS1_11target_archE1200ELNS1_3gpuE4ELNS1_3repE0EEENS1_30default_config_static_selectorELNS0_4arch9wavefront6targetE0EEEvSY_
; %bb.0:
	.section	.rodata,"a",@progbits
	.p2align	6, 0x0
	.amdhsa_kernel _ZN7rocprim17ROCPRIM_400000_NS6detail17trampoline_kernelINS0_13select_configILj256ELj13ELNS0_17block_load_methodE3ELS4_3ELS4_3ELNS0_20block_scan_algorithmE0ELj4294967295EEENS1_25partition_config_selectorILNS1_17partition_subalgoE3EjNS0_10empty_typeEbEEZZNS1_14partition_implILS8_3ELb0ES6_jNS0_17counting_iteratorIjlEEPS9_SE_NS0_5tupleIJPjSE_EEENSF_IJSE_SE_EEES9_SG_JZNS1_25segmented_radix_sort_implINS0_14default_configELb1EPKdPdPKlPlN2at6native12_GLOBAL__N_18offset_tEEE10hipError_tPvRmT1_PNSt15iterator_traitsISY_E10value_typeET2_T3_PNSZ_IS14_E10value_typeET4_jRbjT5_S1A_jjP12ihipStream_tbEUljE_EEESV_SW_SX_S14_S18_S1A_T6_T7_T9_mT8_S1C_bDpT10_ENKUlT_T0_E_clISt17integral_constantIbLb0EES1O_IbLb1EEEEDaS1K_S1L_EUlS1K_E_NS1_11comp_targetILNS1_3genE10ELNS1_11target_archE1200ELNS1_3gpuE4ELNS1_3repE0EEENS1_30default_config_static_selectorELNS0_4arch9wavefront6targetE0EEEvSY_
		.amdhsa_group_segment_fixed_size 0
		.amdhsa_private_segment_fixed_size 0
		.amdhsa_kernarg_size 152
		.amdhsa_user_sgpr_count 6
		.amdhsa_user_sgpr_private_segment_buffer 1
		.amdhsa_user_sgpr_dispatch_ptr 0
		.amdhsa_user_sgpr_queue_ptr 0
		.amdhsa_user_sgpr_kernarg_segment_ptr 1
		.amdhsa_user_sgpr_dispatch_id 0
		.amdhsa_user_sgpr_flat_scratch_init 0
		.amdhsa_user_sgpr_private_segment_size 0
		.amdhsa_wavefront_size32 1
		.amdhsa_uses_dynamic_stack 0
		.amdhsa_system_sgpr_private_segment_wavefront_offset 0
		.amdhsa_system_sgpr_workgroup_id_x 1
		.amdhsa_system_sgpr_workgroup_id_y 0
		.amdhsa_system_sgpr_workgroup_id_z 0
		.amdhsa_system_sgpr_workgroup_info 0
		.amdhsa_system_vgpr_workitem_id 0
		.amdhsa_next_free_vgpr 1
		.amdhsa_next_free_sgpr 1
		.amdhsa_reserve_vcc 0
		.amdhsa_reserve_flat_scratch 0
		.amdhsa_float_round_mode_32 0
		.amdhsa_float_round_mode_16_64 0
		.amdhsa_float_denorm_mode_32 3
		.amdhsa_float_denorm_mode_16_64 3
		.amdhsa_dx10_clamp 1
		.amdhsa_ieee_mode 1
		.amdhsa_fp16_overflow 0
		.amdhsa_workgroup_processor_mode 1
		.amdhsa_memory_ordered 1
		.amdhsa_forward_progress 1
		.amdhsa_shared_vgpr_count 0
		.amdhsa_exception_fp_ieee_invalid_op 0
		.amdhsa_exception_fp_denorm_src 0
		.amdhsa_exception_fp_ieee_div_zero 0
		.amdhsa_exception_fp_ieee_overflow 0
		.amdhsa_exception_fp_ieee_underflow 0
		.amdhsa_exception_fp_ieee_inexact 0
		.amdhsa_exception_int_div_zero 0
	.end_amdhsa_kernel
	.section	.text._ZN7rocprim17ROCPRIM_400000_NS6detail17trampoline_kernelINS0_13select_configILj256ELj13ELNS0_17block_load_methodE3ELS4_3ELS4_3ELNS0_20block_scan_algorithmE0ELj4294967295EEENS1_25partition_config_selectorILNS1_17partition_subalgoE3EjNS0_10empty_typeEbEEZZNS1_14partition_implILS8_3ELb0ES6_jNS0_17counting_iteratorIjlEEPS9_SE_NS0_5tupleIJPjSE_EEENSF_IJSE_SE_EEES9_SG_JZNS1_25segmented_radix_sort_implINS0_14default_configELb1EPKdPdPKlPlN2at6native12_GLOBAL__N_18offset_tEEE10hipError_tPvRmT1_PNSt15iterator_traitsISY_E10value_typeET2_T3_PNSZ_IS14_E10value_typeET4_jRbjT5_S1A_jjP12ihipStream_tbEUljE_EEESV_SW_SX_S14_S18_S1A_T6_T7_T9_mT8_S1C_bDpT10_ENKUlT_T0_E_clISt17integral_constantIbLb0EES1O_IbLb1EEEEDaS1K_S1L_EUlS1K_E_NS1_11comp_targetILNS1_3genE10ELNS1_11target_archE1200ELNS1_3gpuE4ELNS1_3repE0EEENS1_30default_config_static_selectorELNS0_4arch9wavefront6targetE0EEEvSY_,"axG",@progbits,_ZN7rocprim17ROCPRIM_400000_NS6detail17trampoline_kernelINS0_13select_configILj256ELj13ELNS0_17block_load_methodE3ELS4_3ELS4_3ELNS0_20block_scan_algorithmE0ELj4294967295EEENS1_25partition_config_selectorILNS1_17partition_subalgoE3EjNS0_10empty_typeEbEEZZNS1_14partition_implILS8_3ELb0ES6_jNS0_17counting_iteratorIjlEEPS9_SE_NS0_5tupleIJPjSE_EEENSF_IJSE_SE_EEES9_SG_JZNS1_25segmented_radix_sort_implINS0_14default_configELb1EPKdPdPKlPlN2at6native12_GLOBAL__N_18offset_tEEE10hipError_tPvRmT1_PNSt15iterator_traitsISY_E10value_typeET2_T3_PNSZ_IS14_E10value_typeET4_jRbjT5_S1A_jjP12ihipStream_tbEUljE_EEESV_SW_SX_S14_S18_S1A_T6_T7_T9_mT8_S1C_bDpT10_ENKUlT_T0_E_clISt17integral_constantIbLb0EES1O_IbLb1EEEEDaS1K_S1L_EUlS1K_E_NS1_11comp_targetILNS1_3genE10ELNS1_11target_archE1200ELNS1_3gpuE4ELNS1_3repE0EEENS1_30default_config_static_selectorELNS0_4arch9wavefront6targetE0EEEvSY_,comdat
.Lfunc_end1107:
	.size	_ZN7rocprim17ROCPRIM_400000_NS6detail17trampoline_kernelINS0_13select_configILj256ELj13ELNS0_17block_load_methodE3ELS4_3ELS4_3ELNS0_20block_scan_algorithmE0ELj4294967295EEENS1_25partition_config_selectorILNS1_17partition_subalgoE3EjNS0_10empty_typeEbEEZZNS1_14partition_implILS8_3ELb0ES6_jNS0_17counting_iteratorIjlEEPS9_SE_NS0_5tupleIJPjSE_EEENSF_IJSE_SE_EEES9_SG_JZNS1_25segmented_radix_sort_implINS0_14default_configELb1EPKdPdPKlPlN2at6native12_GLOBAL__N_18offset_tEEE10hipError_tPvRmT1_PNSt15iterator_traitsISY_E10value_typeET2_T3_PNSZ_IS14_E10value_typeET4_jRbjT5_S1A_jjP12ihipStream_tbEUljE_EEESV_SW_SX_S14_S18_S1A_T6_T7_T9_mT8_S1C_bDpT10_ENKUlT_T0_E_clISt17integral_constantIbLb0EES1O_IbLb1EEEEDaS1K_S1L_EUlS1K_E_NS1_11comp_targetILNS1_3genE10ELNS1_11target_archE1200ELNS1_3gpuE4ELNS1_3repE0EEENS1_30default_config_static_selectorELNS0_4arch9wavefront6targetE0EEEvSY_, .Lfunc_end1107-_ZN7rocprim17ROCPRIM_400000_NS6detail17trampoline_kernelINS0_13select_configILj256ELj13ELNS0_17block_load_methodE3ELS4_3ELS4_3ELNS0_20block_scan_algorithmE0ELj4294967295EEENS1_25partition_config_selectorILNS1_17partition_subalgoE3EjNS0_10empty_typeEbEEZZNS1_14partition_implILS8_3ELb0ES6_jNS0_17counting_iteratorIjlEEPS9_SE_NS0_5tupleIJPjSE_EEENSF_IJSE_SE_EEES9_SG_JZNS1_25segmented_radix_sort_implINS0_14default_configELb1EPKdPdPKlPlN2at6native12_GLOBAL__N_18offset_tEEE10hipError_tPvRmT1_PNSt15iterator_traitsISY_E10value_typeET2_T3_PNSZ_IS14_E10value_typeET4_jRbjT5_S1A_jjP12ihipStream_tbEUljE_EEESV_SW_SX_S14_S18_S1A_T6_T7_T9_mT8_S1C_bDpT10_ENKUlT_T0_E_clISt17integral_constantIbLb0EES1O_IbLb1EEEEDaS1K_S1L_EUlS1K_E_NS1_11comp_targetILNS1_3genE10ELNS1_11target_archE1200ELNS1_3gpuE4ELNS1_3repE0EEENS1_30default_config_static_selectorELNS0_4arch9wavefront6targetE0EEEvSY_
                                        ; -- End function
	.set _ZN7rocprim17ROCPRIM_400000_NS6detail17trampoline_kernelINS0_13select_configILj256ELj13ELNS0_17block_load_methodE3ELS4_3ELS4_3ELNS0_20block_scan_algorithmE0ELj4294967295EEENS1_25partition_config_selectorILNS1_17partition_subalgoE3EjNS0_10empty_typeEbEEZZNS1_14partition_implILS8_3ELb0ES6_jNS0_17counting_iteratorIjlEEPS9_SE_NS0_5tupleIJPjSE_EEENSF_IJSE_SE_EEES9_SG_JZNS1_25segmented_radix_sort_implINS0_14default_configELb1EPKdPdPKlPlN2at6native12_GLOBAL__N_18offset_tEEE10hipError_tPvRmT1_PNSt15iterator_traitsISY_E10value_typeET2_T3_PNSZ_IS14_E10value_typeET4_jRbjT5_S1A_jjP12ihipStream_tbEUljE_EEESV_SW_SX_S14_S18_S1A_T6_T7_T9_mT8_S1C_bDpT10_ENKUlT_T0_E_clISt17integral_constantIbLb0EES1O_IbLb1EEEEDaS1K_S1L_EUlS1K_E_NS1_11comp_targetILNS1_3genE10ELNS1_11target_archE1200ELNS1_3gpuE4ELNS1_3repE0EEENS1_30default_config_static_selectorELNS0_4arch9wavefront6targetE0EEEvSY_.num_vgpr, 0
	.set _ZN7rocprim17ROCPRIM_400000_NS6detail17trampoline_kernelINS0_13select_configILj256ELj13ELNS0_17block_load_methodE3ELS4_3ELS4_3ELNS0_20block_scan_algorithmE0ELj4294967295EEENS1_25partition_config_selectorILNS1_17partition_subalgoE3EjNS0_10empty_typeEbEEZZNS1_14partition_implILS8_3ELb0ES6_jNS0_17counting_iteratorIjlEEPS9_SE_NS0_5tupleIJPjSE_EEENSF_IJSE_SE_EEES9_SG_JZNS1_25segmented_radix_sort_implINS0_14default_configELb1EPKdPdPKlPlN2at6native12_GLOBAL__N_18offset_tEEE10hipError_tPvRmT1_PNSt15iterator_traitsISY_E10value_typeET2_T3_PNSZ_IS14_E10value_typeET4_jRbjT5_S1A_jjP12ihipStream_tbEUljE_EEESV_SW_SX_S14_S18_S1A_T6_T7_T9_mT8_S1C_bDpT10_ENKUlT_T0_E_clISt17integral_constantIbLb0EES1O_IbLb1EEEEDaS1K_S1L_EUlS1K_E_NS1_11comp_targetILNS1_3genE10ELNS1_11target_archE1200ELNS1_3gpuE4ELNS1_3repE0EEENS1_30default_config_static_selectorELNS0_4arch9wavefront6targetE0EEEvSY_.num_agpr, 0
	.set _ZN7rocprim17ROCPRIM_400000_NS6detail17trampoline_kernelINS0_13select_configILj256ELj13ELNS0_17block_load_methodE3ELS4_3ELS4_3ELNS0_20block_scan_algorithmE0ELj4294967295EEENS1_25partition_config_selectorILNS1_17partition_subalgoE3EjNS0_10empty_typeEbEEZZNS1_14partition_implILS8_3ELb0ES6_jNS0_17counting_iteratorIjlEEPS9_SE_NS0_5tupleIJPjSE_EEENSF_IJSE_SE_EEES9_SG_JZNS1_25segmented_radix_sort_implINS0_14default_configELb1EPKdPdPKlPlN2at6native12_GLOBAL__N_18offset_tEEE10hipError_tPvRmT1_PNSt15iterator_traitsISY_E10value_typeET2_T3_PNSZ_IS14_E10value_typeET4_jRbjT5_S1A_jjP12ihipStream_tbEUljE_EEESV_SW_SX_S14_S18_S1A_T6_T7_T9_mT8_S1C_bDpT10_ENKUlT_T0_E_clISt17integral_constantIbLb0EES1O_IbLb1EEEEDaS1K_S1L_EUlS1K_E_NS1_11comp_targetILNS1_3genE10ELNS1_11target_archE1200ELNS1_3gpuE4ELNS1_3repE0EEENS1_30default_config_static_selectorELNS0_4arch9wavefront6targetE0EEEvSY_.numbered_sgpr, 0
	.set _ZN7rocprim17ROCPRIM_400000_NS6detail17trampoline_kernelINS0_13select_configILj256ELj13ELNS0_17block_load_methodE3ELS4_3ELS4_3ELNS0_20block_scan_algorithmE0ELj4294967295EEENS1_25partition_config_selectorILNS1_17partition_subalgoE3EjNS0_10empty_typeEbEEZZNS1_14partition_implILS8_3ELb0ES6_jNS0_17counting_iteratorIjlEEPS9_SE_NS0_5tupleIJPjSE_EEENSF_IJSE_SE_EEES9_SG_JZNS1_25segmented_radix_sort_implINS0_14default_configELb1EPKdPdPKlPlN2at6native12_GLOBAL__N_18offset_tEEE10hipError_tPvRmT1_PNSt15iterator_traitsISY_E10value_typeET2_T3_PNSZ_IS14_E10value_typeET4_jRbjT5_S1A_jjP12ihipStream_tbEUljE_EEESV_SW_SX_S14_S18_S1A_T6_T7_T9_mT8_S1C_bDpT10_ENKUlT_T0_E_clISt17integral_constantIbLb0EES1O_IbLb1EEEEDaS1K_S1L_EUlS1K_E_NS1_11comp_targetILNS1_3genE10ELNS1_11target_archE1200ELNS1_3gpuE4ELNS1_3repE0EEENS1_30default_config_static_selectorELNS0_4arch9wavefront6targetE0EEEvSY_.num_named_barrier, 0
	.set _ZN7rocprim17ROCPRIM_400000_NS6detail17trampoline_kernelINS0_13select_configILj256ELj13ELNS0_17block_load_methodE3ELS4_3ELS4_3ELNS0_20block_scan_algorithmE0ELj4294967295EEENS1_25partition_config_selectorILNS1_17partition_subalgoE3EjNS0_10empty_typeEbEEZZNS1_14partition_implILS8_3ELb0ES6_jNS0_17counting_iteratorIjlEEPS9_SE_NS0_5tupleIJPjSE_EEENSF_IJSE_SE_EEES9_SG_JZNS1_25segmented_radix_sort_implINS0_14default_configELb1EPKdPdPKlPlN2at6native12_GLOBAL__N_18offset_tEEE10hipError_tPvRmT1_PNSt15iterator_traitsISY_E10value_typeET2_T3_PNSZ_IS14_E10value_typeET4_jRbjT5_S1A_jjP12ihipStream_tbEUljE_EEESV_SW_SX_S14_S18_S1A_T6_T7_T9_mT8_S1C_bDpT10_ENKUlT_T0_E_clISt17integral_constantIbLb0EES1O_IbLb1EEEEDaS1K_S1L_EUlS1K_E_NS1_11comp_targetILNS1_3genE10ELNS1_11target_archE1200ELNS1_3gpuE4ELNS1_3repE0EEENS1_30default_config_static_selectorELNS0_4arch9wavefront6targetE0EEEvSY_.private_seg_size, 0
	.set _ZN7rocprim17ROCPRIM_400000_NS6detail17trampoline_kernelINS0_13select_configILj256ELj13ELNS0_17block_load_methodE3ELS4_3ELS4_3ELNS0_20block_scan_algorithmE0ELj4294967295EEENS1_25partition_config_selectorILNS1_17partition_subalgoE3EjNS0_10empty_typeEbEEZZNS1_14partition_implILS8_3ELb0ES6_jNS0_17counting_iteratorIjlEEPS9_SE_NS0_5tupleIJPjSE_EEENSF_IJSE_SE_EEES9_SG_JZNS1_25segmented_radix_sort_implINS0_14default_configELb1EPKdPdPKlPlN2at6native12_GLOBAL__N_18offset_tEEE10hipError_tPvRmT1_PNSt15iterator_traitsISY_E10value_typeET2_T3_PNSZ_IS14_E10value_typeET4_jRbjT5_S1A_jjP12ihipStream_tbEUljE_EEESV_SW_SX_S14_S18_S1A_T6_T7_T9_mT8_S1C_bDpT10_ENKUlT_T0_E_clISt17integral_constantIbLb0EES1O_IbLb1EEEEDaS1K_S1L_EUlS1K_E_NS1_11comp_targetILNS1_3genE10ELNS1_11target_archE1200ELNS1_3gpuE4ELNS1_3repE0EEENS1_30default_config_static_selectorELNS0_4arch9wavefront6targetE0EEEvSY_.uses_vcc, 0
	.set _ZN7rocprim17ROCPRIM_400000_NS6detail17trampoline_kernelINS0_13select_configILj256ELj13ELNS0_17block_load_methodE3ELS4_3ELS4_3ELNS0_20block_scan_algorithmE0ELj4294967295EEENS1_25partition_config_selectorILNS1_17partition_subalgoE3EjNS0_10empty_typeEbEEZZNS1_14partition_implILS8_3ELb0ES6_jNS0_17counting_iteratorIjlEEPS9_SE_NS0_5tupleIJPjSE_EEENSF_IJSE_SE_EEES9_SG_JZNS1_25segmented_radix_sort_implINS0_14default_configELb1EPKdPdPKlPlN2at6native12_GLOBAL__N_18offset_tEEE10hipError_tPvRmT1_PNSt15iterator_traitsISY_E10value_typeET2_T3_PNSZ_IS14_E10value_typeET4_jRbjT5_S1A_jjP12ihipStream_tbEUljE_EEESV_SW_SX_S14_S18_S1A_T6_T7_T9_mT8_S1C_bDpT10_ENKUlT_T0_E_clISt17integral_constantIbLb0EES1O_IbLb1EEEEDaS1K_S1L_EUlS1K_E_NS1_11comp_targetILNS1_3genE10ELNS1_11target_archE1200ELNS1_3gpuE4ELNS1_3repE0EEENS1_30default_config_static_selectorELNS0_4arch9wavefront6targetE0EEEvSY_.uses_flat_scratch, 0
	.set _ZN7rocprim17ROCPRIM_400000_NS6detail17trampoline_kernelINS0_13select_configILj256ELj13ELNS0_17block_load_methodE3ELS4_3ELS4_3ELNS0_20block_scan_algorithmE0ELj4294967295EEENS1_25partition_config_selectorILNS1_17partition_subalgoE3EjNS0_10empty_typeEbEEZZNS1_14partition_implILS8_3ELb0ES6_jNS0_17counting_iteratorIjlEEPS9_SE_NS0_5tupleIJPjSE_EEENSF_IJSE_SE_EEES9_SG_JZNS1_25segmented_radix_sort_implINS0_14default_configELb1EPKdPdPKlPlN2at6native12_GLOBAL__N_18offset_tEEE10hipError_tPvRmT1_PNSt15iterator_traitsISY_E10value_typeET2_T3_PNSZ_IS14_E10value_typeET4_jRbjT5_S1A_jjP12ihipStream_tbEUljE_EEESV_SW_SX_S14_S18_S1A_T6_T7_T9_mT8_S1C_bDpT10_ENKUlT_T0_E_clISt17integral_constantIbLb0EES1O_IbLb1EEEEDaS1K_S1L_EUlS1K_E_NS1_11comp_targetILNS1_3genE10ELNS1_11target_archE1200ELNS1_3gpuE4ELNS1_3repE0EEENS1_30default_config_static_selectorELNS0_4arch9wavefront6targetE0EEEvSY_.has_dyn_sized_stack, 0
	.set _ZN7rocprim17ROCPRIM_400000_NS6detail17trampoline_kernelINS0_13select_configILj256ELj13ELNS0_17block_load_methodE3ELS4_3ELS4_3ELNS0_20block_scan_algorithmE0ELj4294967295EEENS1_25partition_config_selectorILNS1_17partition_subalgoE3EjNS0_10empty_typeEbEEZZNS1_14partition_implILS8_3ELb0ES6_jNS0_17counting_iteratorIjlEEPS9_SE_NS0_5tupleIJPjSE_EEENSF_IJSE_SE_EEES9_SG_JZNS1_25segmented_radix_sort_implINS0_14default_configELb1EPKdPdPKlPlN2at6native12_GLOBAL__N_18offset_tEEE10hipError_tPvRmT1_PNSt15iterator_traitsISY_E10value_typeET2_T3_PNSZ_IS14_E10value_typeET4_jRbjT5_S1A_jjP12ihipStream_tbEUljE_EEESV_SW_SX_S14_S18_S1A_T6_T7_T9_mT8_S1C_bDpT10_ENKUlT_T0_E_clISt17integral_constantIbLb0EES1O_IbLb1EEEEDaS1K_S1L_EUlS1K_E_NS1_11comp_targetILNS1_3genE10ELNS1_11target_archE1200ELNS1_3gpuE4ELNS1_3repE0EEENS1_30default_config_static_selectorELNS0_4arch9wavefront6targetE0EEEvSY_.has_recursion, 0
	.set _ZN7rocprim17ROCPRIM_400000_NS6detail17trampoline_kernelINS0_13select_configILj256ELj13ELNS0_17block_load_methodE3ELS4_3ELS4_3ELNS0_20block_scan_algorithmE0ELj4294967295EEENS1_25partition_config_selectorILNS1_17partition_subalgoE3EjNS0_10empty_typeEbEEZZNS1_14partition_implILS8_3ELb0ES6_jNS0_17counting_iteratorIjlEEPS9_SE_NS0_5tupleIJPjSE_EEENSF_IJSE_SE_EEES9_SG_JZNS1_25segmented_radix_sort_implINS0_14default_configELb1EPKdPdPKlPlN2at6native12_GLOBAL__N_18offset_tEEE10hipError_tPvRmT1_PNSt15iterator_traitsISY_E10value_typeET2_T3_PNSZ_IS14_E10value_typeET4_jRbjT5_S1A_jjP12ihipStream_tbEUljE_EEESV_SW_SX_S14_S18_S1A_T6_T7_T9_mT8_S1C_bDpT10_ENKUlT_T0_E_clISt17integral_constantIbLb0EES1O_IbLb1EEEEDaS1K_S1L_EUlS1K_E_NS1_11comp_targetILNS1_3genE10ELNS1_11target_archE1200ELNS1_3gpuE4ELNS1_3repE0EEENS1_30default_config_static_selectorELNS0_4arch9wavefront6targetE0EEEvSY_.has_indirect_call, 0
	.section	.AMDGPU.csdata,"",@progbits
; Kernel info:
; codeLenInByte = 0
; TotalNumSgprs: 0
; NumVgprs: 0
; ScratchSize: 0
; MemoryBound: 0
; FloatMode: 240
; IeeeMode: 1
; LDSByteSize: 0 bytes/workgroup (compile time only)
; SGPRBlocks: 0
; VGPRBlocks: 0
; NumSGPRsForWavesPerEU: 1
; NumVGPRsForWavesPerEU: 1
; Occupancy: 16
; WaveLimiterHint : 0
; COMPUTE_PGM_RSRC2:SCRATCH_EN: 0
; COMPUTE_PGM_RSRC2:USER_SGPR: 6
; COMPUTE_PGM_RSRC2:TRAP_HANDLER: 0
; COMPUTE_PGM_RSRC2:TGID_X_EN: 1
; COMPUTE_PGM_RSRC2:TGID_Y_EN: 0
; COMPUTE_PGM_RSRC2:TGID_Z_EN: 0
; COMPUTE_PGM_RSRC2:TIDIG_COMP_CNT: 0
	.section	.text._ZN7rocprim17ROCPRIM_400000_NS6detail17trampoline_kernelINS0_13select_configILj256ELj13ELNS0_17block_load_methodE3ELS4_3ELS4_3ELNS0_20block_scan_algorithmE0ELj4294967295EEENS1_25partition_config_selectorILNS1_17partition_subalgoE3EjNS0_10empty_typeEbEEZZNS1_14partition_implILS8_3ELb0ES6_jNS0_17counting_iteratorIjlEEPS9_SE_NS0_5tupleIJPjSE_EEENSF_IJSE_SE_EEES9_SG_JZNS1_25segmented_radix_sort_implINS0_14default_configELb1EPKdPdPKlPlN2at6native12_GLOBAL__N_18offset_tEEE10hipError_tPvRmT1_PNSt15iterator_traitsISY_E10value_typeET2_T3_PNSZ_IS14_E10value_typeET4_jRbjT5_S1A_jjP12ihipStream_tbEUljE_EEESV_SW_SX_S14_S18_S1A_T6_T7_T9_mT8_S1C_bDpT10_ENKUlT_T0_E_clISt17integral_constantIbLb0EES1O_IbLb1EEEEDaS1K_S1L_EUlS1K_E_NS1_11comp_targetILNS1_3genE9ELNS1_11target_archE1100ELNS1_3gpuE3ELNS1_3repE0EEENS1_30default_config_static_selectorELNS0_4arch9wavefront6targetE0EEEvSY_,"axG",@progbits,_ZN7rocprim17ROCPRIM_400000_NS6detail17trampoline_kernelINS0_13select_configILj256ELj13ELNS0_17block_load_methodE3ELS4_3ELS4_3ELNS0_20block_scan_algorithmE0ELj4294967295EEENS1_25partition_config_selectorILNS1_17partition_subalgoE3EjNS0_10empty_typeEbEEZZNS1_14partition_implILS8_3ELb0ES6_jNS0_17counting_iteratorIjlEEPS9_SE_NS0_5tupleIJPjSE_EEENSF_IJSE_SE_EEES9_SG_JZNS1_25segmented_radix_sort_implINS0_14default_configELb1EPKdPdPKlPlN2at6native12_GLOBAL__N_18offset_tEEE10hipError_tPvRmT1_PNSt15iterator_traitsISY_E10value_typeET2_T3_PNSZ_IS14_E10value_typeET4_jRbjT5_S1A_jjP12ihipStream_tbEUljE_EEESV_SW_SX_S14_S18_S1A_T6_T7_T9_mT8_S1C_bDpT10_ENKUlT_T0_E_clISt17integral_constantIbLb0EES1O_IbLb1EEEEDaS1K_S1L_EUlS1K_E_NS1_11comp_targetILNS1_3genE9ELNS1_11target_archE1100ELNS1_3gpuE3ELNS1_3repE0EEENS1_30default_config_static_selectorELNS0_4arch9wavefront6targetE0EEEvSY_,comdat
	.globl	_ZN7rocprim17ROCPRIM_400000_NS6detail17trampoline_kernelINS0_13select_configILj256ELj13ELNS0_17block_load_methodE3ELS4_3ELS4_3ELNS0_20block_scan_algorithmE0ELj4294967295EEENS1_25partition_config_selectorILNS1_17partition_subalgoE3EjNS0_10empty_typeEbEEZZNS1_14partition_implILS8_3ELb0ES6_jNS0_17counting_iteratorIjlEEPS9_SE_NS0_5tupleIJPjSE_EEENSF_IJSE_SE_EEES9_SG_JZNS1_25segmented_radix_sort_implINS0_14default_configELb1EPKdPdPKlPlN2at6native12_GLOBAL__N_18offset_tEEE10hipError_tPvRmT1_PNSt15iterator_traitsISY_E10value_typeET2_T3_PNSZ_IS14_E10value_typeET4_jRbjT5_S1A_jjP12ihipStream_tbEUljE_EEESV_SW_SX_S14_S18_S1A_T6_T7_T9_mT8_S1C_bDpT10_ENKUlT_T0_E_clISt17integral_constantIbLb0EES1O_IbLb1EEEEDaS1K_S1L_EUlS1K_E_NS1_11comp_targetILNS1_3genE9ELNS1_11target_archE1100ELNS1_3gpuE3ELNS1_3repE0EEENS1_30default_config_static_selectorELNS0_4arch9wavefront6targetE0EEEvSY_ ; -- Begin function _ZN7rocprim17ROCPRIM_400000_NS6detail17trampoline_kernelINS0_13select_configILj256ELj13ELNS0_17block_load_methodE3ELS4_3ELS4_3ELNS0_20block_scan_algorithmE0ELj4294967295EEENS1_25partition_config_selectorILNS1_17partition_subalgoE3EjNS0_10empty_typeEbEEZZNS1_14partition_implILS8_3ELb0ES6_jNS0_17counting_iteratorIjlEEPS9_SE_NS0_5tupleIJPjSE_EEENSF_IJSE_SE_EEES9_SG_JZNS1_25segmented_radix_sort_implINS0_14default_configELb1EPKdPdPKlPlN2at6native12_GLOBAL__N_18offset_tEEE10hipError_tPvRmT1_PNSt15iterator_traitsISY_E10value_typeET2_T3_PNSZ_IS14_E10value_typeET4_jRbjT5_S1A_jjP12ihipStream_tbEUljE_EEESV_SW_SX_S14_S18_S1A_T6_T7_T9_mT8_S1C_bDpT10_ENKUlT_T0_E_clISt17integral_constantIbLb0EES1O_IbLb1EEEEDaS1K_S1L_EUlS1K_E_NS1_11comp_targetILNS1_3genE9ELNS1_11target_archE1100ELNS1_3gpuE3ELNS1_3repE0EEENS1_30default_config_static_selectorELNS0_4arch9wavefront6targetE0EEEvSY_
	.p2align	8
	.type	_ZN7rocprim17ROCPRIM_400000_NS6detail17trampoline_kernelINS0_13select_configILj256ELj13ELNS0_17block_load_methodE3ELS4_3ELS4_3ELNS0_20block_scan_algorithmE0ELj4294967295EEENS1_25partition_config_selectorILNS1_17partition_subalgoE3EjNS0_10empty_typeEbEEZZNS1_14partition_implILS8_3ELb0ES6_jNS0_17counting_iteratorIjlEEPS9_SE_NS0_5tupleIJPjSE_EEENSF_IJSE_SE_EEES9_SG_JZNS1_25segmented_radix_sort_implINS0_14default_configELb1EPKdPdPKlPlN2at6native12_GLOBAL__N_18offset_tEEE10hipError_tPvRmT1_PNSt15iterator_traitsISY_E10value_typeET2_T3_PNSZ_IS14_E10value_typeET4_jRbjT5_S1A_jjP12ihipStream_tbEUljE_EEESV_SW_SX_S14_S18_S1A_T6_T7_T9_mT8_S1C_bDpT10_ENKUlT_T0_E_clISt17integral_constantIbLb0EES1O_IbLb1EEEEDaS1K_S1L_EUlS1K_E_NS1_11comp_targetILNS1_3genE9ELNS1_11target_archE1100ELNS1_3gpuE3ELNS1_3repE0EEENS1_30default_config_static_selectorELNS0_4arch9wavefront6targetE0EEEvSY_,@function
_ZN7rocprim17ROCPRIM_400000_NS6detail17trampoline_kernelINS0_13select_configILj256ELj13ELNS0_17block_load_methodE3ELS4_3ELS4_3ELNS0_20block_scan_algorithmE0ELj4294967295EEENS1_25partition_config_selectorILNS1_17partition_subalgoE3EjNS0_10empty_typeEbEEZZNS1_14partition_implILS8_3ELb0ES6_jNS0_17counting_iteratorIjlEEPS9_SE_NS0_5tupleIJPjSE_EEENSF_IJSE_SE_EEES9_SG_JZNS1_25segmented_radix_sort_implINS0_14default_configELb1EPKdPdPKlPlN2at6native12_GLOBAL__N_18offset_tEEE10hipError_tPvRmT1_PNSt15iterator_traitsISY_E10value_typeET2_T3_PNSZ_IS14_E10value_typeET4_jRbjT5_S1A_jjP12ihipStream_tbEUljE_EEESV_SW_SX_S14_S18_S1A_T6_T7_T9_mT8_S1C_bDpT10_ENKUlT_T0_E_clISt17integral_constantIbLb0EES1O_IbLb1EEEEDaS1K_S1L_EUlS1K_E_NS1_11comp_targetILNS1_3genE9ELNS1_11target_archE1100ELNS1_3gpuE3ELNS1_3repE0EEENS1_30default_config_static_selectorELNS0_4arch9wavefront6targetE0EEEvSY_: ; @_ZN7rocprim17ROCPRIM_400000_NS6detail17trampoline_kernelINS0_13select_configILj256ELj13ELNS0_17block_load_methodE3ELS4_3ELS4_3ELNS0_20block_scan_algorithmE0ELj4294967295EEENS1_25partition_config_selectorILNS1_17partition_subalgoE3EjNS0_10empty_typeEbEEZZNS1_14partition_implILS8_3ELb0ES6_jNS0_17counting_iteratorIjlEEPS9_SE_NS0_5tupleIJPjSE_EEENSF_IJSE_SE_EEES9_SG_JZNS1_25segmented_radix_sort_implINS0_14default_configELb1EPKdPdPKlPlN2at6native12_GLOBAL__N_18offset_tEEE10hipError_tPvRmT1_PNSt15iterator_traitsISY_E10value_typeET2_T3_PNSZ_IS14_E10value_typeET4_jRbjT5_S1A_jjP12ihipStream_tbEUljE_EEESV_SW_SX_S14_S18_S1A_T6_T7_T9_mT8_S1C_bDpT10_ENKUlT_T0_E_clISt17integral_constantIbLb0EES1O_IbLb1EEEEDaS1K_S1L_EUlS1K_E_NS1_11comp_targetILNS1_3genE9ELNS1_11target_archE1100ELNS1_3gpuE3ELNS1_3repE0EEENS1_30default_config_static_selectorELNS0_4arch9wavefront6targetE0EEEvSY_
; %bb.0:
	.section	.rodata,"a",@progbits
	.p2align	6, 0x0
	.amdhsa_kernel _ZN7rocprim17ROCPRIM_400000_NS6detail17trampoline_kernelINS0_13select_configILj256ELj13ELNS0_17block_load_methodE3ELS4_3ELS4_3ELNS0_20block_scan_algorithmE0ELj4294967295EEENS1_25partition_config_selectorILNS1_17partition_subalgoE3EjNS0_10empty_typeEbEEZZNS1_14partition_implILS8_3ELb0ES6_jNS0_17counting_iteratorIjlEEPS9_SE_NS0_5tupleIJPjSE_EEENSF_IJSE_SE_EEES9_SG_JZNS1_25segmented_radix_sort_implINS0_14default_configELb1EPKdPdPKlPlN2at6native12_GLOBAL__N_18offset_tEEE10hipError_tPvRmT1_PNSt15iterator_traitsISY_E10value_typeET2_T3_PNSZ_IS14_E10value_typeET4_jRbjT5_S1A_jjP12ihipStream_tbEUljE_EEESV_SW_SX_S14_S18_S1A_T6_T7_T9_mT8_S1C_bDpT10_ENKUlT_T0_E_clISt17integral_constantIbLb0EES1O_IbLb1EEEEDaS1K_S1L_EUlS1K_E_NS1_11comp_targetILNS1_3genE9ELNS1_11target_archE1100ELNS1_3gpuE3ELNS1_3repE0EEENS1_30default_config_static_selectorELNS0_4arch9wavefront6targetE0EEEvSY_
		.amdhsa_group_segment_fixed_size 0
		.amdhsa_private_segment_fixed_size 0
		.amdhsa_kernarg_size 152
		.amdhsa_user_sgpr_count 6
		.amdhsa_user_sgpr_private_segment_buffer 1
		.amdhsa_user_sgpr_dispatch_ptr 0
		.amdhsa_user_sgpr_queue_ptr 0
		.amdhsa_user_sgpr_kernarg_segment_ptr 1
		.amdhsa_user_sgpr_dispatch_id 0
		.amdhsa_user_sgpr_flat_scratch_init 0
		.amdhsa_user_sgpr_private_segment_size 0
		.amdhsa_wavefront_size32 1
		.amdhsa_uses_dynamic_stack 0
		.amdhsa_system_sgpr_private_segment_wavefront_offset 0
		.amdhsa_system_sgpr_workgroup_id_x 1
		.amdhsa_system_sgpr_workgroup_id_y 0
		.amdhsa_system_sgpr_workgroup_id_z 0
		.amdhsa_system_sgpr_workgroup_info 0
		.amdhsa_system_vgpr_workitem_id 0
		.amdhsa_next_free_vgpr 1
		.amdhsa_next_free_sgpr 1
		.amdhsa_reserve_vcc 0
		.amdhsa_reserve_flat_scratch 0
		.amdhsa_float_round_mode_32 0
		.amdhsa_float_round_mode_16_64 0
		.amdhsa_float_denorm_mode_32 3
		.amdhsa_float_denorm_mode_16_64 3
		.amdhsa_dx10_clamp 1
		.amdhsa_ieee_mode 1
		.amdhsa_fp16_overflow 0
		.amdhsa_workgroup_processor_mode 1
		.amdhsa_memory_ordered 1
		.amdhsa_forward_progress 1
		.amdhsa_shared_vgpr_count 0
		.amdhsa_exception_fp_ieee_invalid_op 0
		.amdhsa_exception_fp_denorm_src 0
		.amdhsa_exception_fp_ieee_div_zero 0
		.amdhsa_exception_fp_ieee_overflow 0
		.amdhsa_exception_fp_ieee_underflow 0
		.amdhsa_exception_fp_ieee_inexact 0
		.amdhsa_exception_int_div_zero 0
	.end_amdhsa_kernel
	.section	.text._ZN7rocprim17ROCPRIM_400000_NS6detail17trampoline_kernelINS0_13select_configILj256ELj13ELNS0_17block_load_methodE3ELS4_3ELS4_3ELNS0_20block_scan_algorithmE0ELj4294967295EEENS1_25partition_config_selectorILNS1_17partition_subalgoE3EjNS0_10empty_typeEbEEZZNS1_14partition_implILS8_3ELb0ES6_jNS0_17counting_iteratorIjlEEPS9_SE_NS0_5tupleIJPjSE_EEENSF_IJSE_SE_EEES9_SG_JZNS1_25segmented_radix_sort_implINS0_14default_configELb1EPKdPdPKlPlN2at6native12_GLOBAL__N_18offset_tEEE10hipError_tPvRmT1_PNSt15iterator_traitsISY_E10value_typeET2_T3_PNSZ_IS14_E10value_typeET4_jRbjT5_S1A_jjP12ihipStream_tbEUljE_EEESV_SW_SX_S14_S18_S1A_T6_T7_T9_mT8_S1C_bDpT10_ENKUlT_T0_E_clISt17integral_constantIbLb0EES1O_IbLb1EEEEDaS1K_S1L_EUlS1K_E_NS1_11comp_targetILNS1_3genE9ELNS1_11target_archE1100ELNS1_3gpuE3ELNS1_3repE0EEENS1_30default_config_static_selectorELNS0_4arch9wavefront6targetE0EEEvSY_,"axG",@progbits,_ZN7rocprim17ROCPRIM_400000_NS6detail17trampoline_kernelINS0_13select_configILj256ELj13ELNS0_17block_load_methodE3ELS4_3ELS4_3ELNS0_20block_scan_algorithmE0ELj4294967295EEENS1_25partition_config_selectorILNS1_17partition_subalgoE3EjNS0_10empty_typeEbEEZZNS1_14partition_implILS8_3ELb0ES6_jNS0_17counting_iteratorIjlEEPS9_SE_NS0_5tupleIJPjSE_EEENSF_IJSE_SE_EEES9_SG_JZNS1_25segmented_radix_sort_implINS0_14default_configELb1EPKdPdPKlPlN2at6native12_GLOBAL__N_18offset_tEEE10hipError_tPvRmT1_PNSt15iterator_traitsISY_E10value_typeET2_T3_PNSZ_IS14_E10value_typeET4_jRbjT5_S1A_jjP12ihipStream_tbEUljE_EEESV_SW_SX_S14_S18_S1A_T6_T7_T9_mT8_S1C_bDpT10_ENKUlT_T0_E_clISt17integral_constantIbLb0EES1O_IbLb1EEEEDaS1K_S1L_EUlS1K_E_NS1_11comp_targetILNS1_3genE9ELNS1_11target_archE1100ELNS1_3gpuE3ELNS1_3repE0EEENS1_30default_config_static_selectorELNS0_4arch9wavefront6targetE0EEEvSY_,comdat
.Lfunc_end1108:
	.size	_ZN7rocprim17ROCPRIM_400000_NS6detail17trampoline_kernelINS0_13select_configILj256ELj13ELNS0_17block_load_methodE3ELS4_3ELS4_3ELNS0_20block_scan_algorithmE0ELj4294967295EEENS1_25partition_config_selectorILNS1_17partition_subalgoE3EjNS0_10empty_typeEbEEZZNS1_14partition_implILS8_3ELb0ES6_jNS0_17counting_iteratorIjlEEPS9_SE_NS0_5tupleIJPjSE_EEENSF_IJSE_SE_EEES9_SG_JZNS1_25segmented_radix_sort_implINS0_14default_configELb1EPKdPdPKlPlN2at6native12_GLOBAL__N_18offset_tEEE10hipError_tPvRmT1_PNSt15iterator_traitsISY_E10value_typeET2_T3_PNSZ_IS14_E10value_typeET4_jRbjT5_S1A_jjP12ihipStream_tbEUljE_EEESV_SW_SX_S14_S18_S1A_T6_T7_T9_mT8_S1C_bDpT10_ENKUlT_T0_E_clISt17integral_constantIbLb0EES1O_IbLb1EEEEDaS1K_S1L_EUlS1K_E_NS1_11comp_targetILNS1_3genE9ELNS1_11target_archE1100ELNS1_3gpuE3ELNS1_3repE0EEENS1_30default_config_static_selectorELNS0_4arch9wavefront6targetE0EEEvSY_, .Lfunc_end1108-_ZN7rocprim17ROCPRIM_400000_NS6detail17trampoline_kernelINS0_13select_configILj256ELj13ELNS0_17block_load_methodE3ELS4_3ELS4_3ELNS0_20block_scan_algorithmE0ELj4294967295EEENS1_25partition_config_selectorILNS1_17partition_subalgoE3EjNS0_10empty_typeEbEEZZNS1_14partition_implILS8_3ELb0ES6_jNS0_17counting_iteratorIjlEEPS9_SE_NS0_5tupleIJPjSE_EEENSF_IJSE_SE_EEES9_SG_JZNS1_25segmented_radix_sort_implINS0_14default_configELb1EPKdPdPKlPlN2at6native12_GLOBAL__N_18offset_tEEE10hipError_tPvRmT1_PNSt15iterator_traitsISY_E10value_typeET2_T3_PNSZ_IS14_E10value_typeET4_jRbjT5_S1A_jjP12ihipStream_tbEUljE_EEESV_SW_SX_S14_S18_S1A_T6_T7_T9_mT8_S1C_bDpT10_ENKUlT_T0_E_clISt17integral_constantIbLb0EES1O_IbLb1EEEEDaS1K_S1L_EUlS1K_E_NS1_11comp_targetILNS1_3genE9ELNS1_11target_archE1100ELNS1_3gpuE3ELNS1_3repE0EEENS1_30default_config_static_selectorELNS0_4arch9wavefront6targetE0EEEvSY_
                                        ; -- End function
	.set _ZN7rocprim17ROCPRIM_400000_NS6detail17trampoline_kernelINS0_13select_configILj256ELj13ELNS0_17block_load_methodE3ELS4_3ELS4_3ELNS0_20block_scan_algorithmE0ELj4294967295EEENS1_25partition_config_selectorILNS1_17partition_subalgoE3EjNS0_10empty_typeEbEEZZNS1_14partition_implILS8_3ELb0ES6_jNS0_17counting_iteratorIjlEEPS9_SE_NS0_5tupleIJPjSE_EEENSF_IJSE_SE_EEES9_SG_JZNS1_25segmented_radix_sort_implINS0_14default_configELb1EPKdPdPKlPlN2at6native12_GLOBAL__N_18offset_tEEE10hipError_tPvRmT1_PNSt15iterator_traitsISY_E10value_typeET2_T3_PNSZ_IS14_E10value_typeET4_jRbjT5_S1A_jjP12ihipStream_tbEUljE_EEESV_SW_SX_S14_S18_S1A_T6_T7_T9_mT8_S1C_bDpT10_ENKUlT_T0_E_clISt17integral_constantIbLb0EES1O_IbLb1EEEEDaS1K_S1L_EUlS1K_E_NS1_11comp_targetILNS1_3genE9ELNS1_11target_archE1100ELNS1_3gpuE3ELNS1_3repE0EEENS1_30default_config_static_selectorELNS0_4arch9wavefront6targetE0EEEvSY_.num_vgpr, 0
	.set _ZN7rocprim17ROCPRIM_400000_NS6detail17trampoline_kernelINS0_13select_configILj256ELj13ELNS0_17block_load_methodE3ELS4_3ELS4_3ELNS0_20block_scan_algorithmE0ELj4294967295EEENS1_25partition_config_selectorILNS1_17partition_subalgoE3EjNS0_10empty_typeEbEEZZNS1_14partition_implILS8_3ELb0ES6_jNS0_17counting_iteratorIjlEEPS9_SE_NS0_5tupleIJPjSE_EEENSF_IJSE_SE_EEES9_SG_JZNS1_25segmented_radix_sort_implINS0_14default_configELb1EPKdPdPKlPlN2at6native12_GLOBAL__N_18offset_tEEE10hipError_tPvRmT1_PNSt15iterator_traitsISY_E10value_typeET2_T3_PNSZ_IS14_E10value_typeET4_jRbjT5_S1A_jjP12ihipStream_tbEUljE_EEESV_SW_SX_S14_S18_S1A_T6_T7_T9_mT8_S1C_bDpT10_ENKUlT_T0_E_clISt17integral_constantIbLb0EES1O_IbLb1EEEEDaS1K_S1L_EUlS1K_E_NS1_11comp_targetILNS1_3genE9ELNS1_11target_archE1100ELNS1_3gpuE3ELNS1_3repE0EEENS1_30default_config_static_selectorELNS0_4arch9wavefront6targetE0EEEvSY_.num_agpr, 0
	.set _ZN7rocprim17ROCPRIM_400000_NS6detail17trampoline_kernelINS0_13select_configILj256ELj13ELNS0_17block_load_methodE3ELS4_3ELS4_3ELNS0_20block_scan_algorithmE0ELj4294967295EEENS1_25partition_config_selectorILNS1_17partition_subalgoE3EjNS0_10empty_typeEbEEZZNS1_14partition_implILS8_3ELb0ES6_jNS0_17counting_iteratorIjlEEPS9_SE_NS0_5tupleIJPjSE_EEENSF_IJSE_SE_EEES9_SG_JZNS1_25segmented_radix_sort_implINS0_14default_configELb1EPKdPdPKlPlN2at6native12_GLOBAL__N_18offset_tEEE10hipError_tPvRmT1_PNSt15iterator_traitsISY_E10value_typeET2_T3_PNSZ_IS14_E10value_typeET4_jRbjT5_S1A_jjP12ihipStream_tbEUljE_EEESV_SW_SX_S14_S18_S1A_T6_T7_T9_mT8_S1C_bDpT10_ENKUlT_T0_E_clISt17integral_constantIbLb0EES1O_IbLb1EEEEDaS1K_S1L_EUlS1K_E_NS1_11comp_targetILNS1_3genE9ELNS1_11target_archE1100ELNS1_3gpuE3ELNS1_3repE0EEENS1_30default_config_static_selectorELNS0_4arch9wavefront6targetE0EEEvSY_.numbered_sgpr, 0
	.set _ZN7rocprim17ROCPRIM_400000_NS6detail17trampoline_kernelINS0_13select_configILj256ELj13ELNS0_17block_load_methodE3ELS4_3ELS4_3ELNS0_20block_scan_algorithmE0ELj4294967295EEENS1_25partition_config_selectorILNS1_17partition_subalgoE3EjNS0_10empty_typeEbEEZZNS1_14partition_implILS8_3ELb0ES6_jNS0_17counting_iteratorIjlEEPS9_SE_NS0_5tupleIJPjSE_EEENSF_IJSE_SE_EEES9_SG_JZNS1_25segmented_radix_sort_implINS0_14default_configELb1EPKdPdPKlPlN2at6native12_GLOBAL__N_18offset_tEEE10hipError_tPvRmT1_PNSt15iterator_traitsISY_E10value_typeET2_T3_PNSZ_IS14_E10value_typeET4_jRbjT5_S1A_jjP12ihipStream_tbEUljE_EEESV_SW_SX_S14_S18_S1A_T6_T7_T9_mT8_S1C_bDpT10_ENKUlT_T0_E_clISt17integral_constantIbLb0EES1O_IbLb1EEEEDaS1K_S1L_EUlS1K_E_NS1_11comp_targetILNS1_3genE9ELNS1_11target_archE1100ELNS1_3gpuE3ELNS1_3repE0EEENS1_30default_config_static_selectorELNS0_4arch9wavefront6targetE0EEEvSY_.num_named_barrier, 0
	.set _ZN7rocprim17ROCPRIM_400000_NS6detail17trampoline_kernelINS0_13select_configILj256ELj13ELNS0_17block_load_methodE3ELS4_3ELS4_3ELNS0_20block_scan_algorithmE0ELj4294967295EEENS1_25partition_config_selectorILNS1_17partition_subalgoE3EjNS0_10empty_typeEbEEZZNS1_14partition_implILS8_3ELb0ES6_jNS0_17counting_iteratorIjlEEPS9_SE_NS0_5tupleIJPjSE_EEENSF_IJSE_SE_EEES9_SG_JZNS1_25segmented_radix_sort_implINS0_14default_configELb1EPKdPdPKlPlN2at6native12_GLOBAL__N_18offset_tEEE10hipError_tPvRmT1_PNSt15iterator_traitsISY_E10value_typeET2_T3_PNSZ_IS14_E10value_typeET4_jRbjT5_S1A_jjP12ihipStream_tbEUljE_EEESV_SW_SX_S14_S18_S1A_T6_T7_T9_mT8_S1C_bDpT10_ENKUlT_T0_E_clISt17integral_constantIbLb0EES1O_IbLb1EEEEDaS1K_S1L_EUlS1K_E_NS1_11comp_targetILNS1_3genE9ELNS1_11target_archE1100ELNS1_3gpuE3ELNS1_3repE0EEENS1_30default_config_static_selectorELNS0_4arch9wavefront6targetE0EEEvSY_.private_seg_size, 0
	.set _ZN7rocprim17ROCPRIM_400000_NS6detail17trampoline_kernelINS0_13select_configILj256ELj13ELNS0_17block_load_methodE3ELS4_3ELS4_3ELNS0_20block_scan_algorithmE0ELj4294967295EEENS1_25partition_config_selectorILNS1_17partition_subalgoE3EjNS0_10empty_typeEbEEZZNS1_14partition_implILS8_3ELb0ES6_jNS0_17counting_iteratorIjlEEPS9_SE_NS0_5tupleIJPjSE_EEENSF_IJSE_SE_EEES9_SG_JZNS1_25segmented_radix_sort_implINS0_14default_configELb1EPKdPdPKlPlN2at6native12_GLOBAL__N_18offset_tEEE10hipError_tPvRmT1_PNSt15iterator_traitsISY_E10value_typeET2_T3_PNSZ_IS14_E10value_typeET4_jRbjT5_S1A_jjP12ihipStream_tbEUljE_EEESV_SW_SX_S14_S18_S1A_T6_T7_T9_mT8_S1C_bDpT10_ENKUlT_T0_E_clISt17integral_constantIbLb0EES1O_IbLb1EEEEDaS1K_S1L_EUlS1K_E_NS1_11comp_targetILNS1_3genE9ELNS1_11target_archE1100ELNS1_3gpuE3ELNS1_3repE0EEENS1_30default_config_static_selectorELNS0_4arch9wavefront6targetE0EEEvSY_.uses_vcc, 0
	.set _ZN7rocprim17ROCPRIM_400000_NS6detail17trampoline_kernelINS0_13select_configILj256ELj13ELNS0_17block_load_methodE3ELS4_3ELS4_3ELNS0_20block_scan_algorithmE0ELj4294967295EEENS1_25partition_config_selectorILNS1_17partition_subalgoE3EjNS0_10empty_typeEbEEZZNS1_14partition_implILS8_3ELb0ES6_jNS0_17counting_iteratorIjlEEPS9_SE_NS0_5tupleIJPjSE_EEENSF_IJSE_SE_EEES9_SG_JZNS1_25segmented_radix_sort_implINS0_14default_configELb1EPKdPdPKlPlN2at6native12_GLOBAL__N_18offset_tEEE10hipError_tPvRmT1_PNSt15iterator_traitsISY_E10value_typeET2_T3_PNSZ_IS14_E10value_typeET4_jRbjT5_S1A_jjP12ihipStream_tbEUljE_EEESV_SW_SX_S14_S18_S1A_T6_T7_T9_mT8_S1C_bDpT10_ENKUlT_T0_E_clISt17integral_constantIbLb0EES1O_IbLb1EEEEDaS1K_S1L_EUlS1K_E_NS1_11comp_targetILNS1_3genE9ELNS1_11target_archE1100ELNS1_3gpuE3ELNS1_3repE0EEENS1_30default_config_static_selectorELNS0_4arch9wavefront6targetE0EEEvSY_.uses_flat_scratch, 0
	.set _ZN7rocprim17ROCPRIM_400000_NS6detail17trampoline_kernelINS0_13select_configILj256ELj13ELNS0_17block_load_methodE3ELS4_3ELS4_3ELNS0_20block_scan_algorithmE0ELj4294967295EEENS1_25partition_config_selectorILNS1_17partition_subalgoE3EjNS0_10empty_typeEbEEZZNS1_14partition_implILS8_3ELb0ES6_jNS0_17counting_iteratorIjlEEPS9_SE_NS0_5tupleIJPjSE_EEENSF_IJSE_SE_EEES9_SG_JZNS1_25segmented_radix_sort_implINS0_14default_configELb1EPKdPdPKlPlN2at6native12_GLOBAL__N_18offset_tEEE10hipError_tPvRmT1_PNSt15iterator_traitsISY_E10value_typeET2_T3_PNSZ_IS14_E10value_typeET4_jRbjT5_S1A_jjP12ihipStream_tbEUljE_EEESV_SW_SX_S14_S18_S1A_T6_T7_T9_mT8_S1C_bDpT10_ENKUlT_T0_E_clISt17integral_constantIbLb0EES1O_IbLb1EEEEDaS1K_S1L_EUlS1K_E_NS1_11comp_targetILNS1_3genE9ELNS1_11target_archE1100ELNS1_3gpuE3ELNS1_3repE0EEENS1_30default_config_static_selectorELNS0_4arch9wavefront6targetE0EEEvSY_.has_dyn_sized_stack, 0
	.set _ZN7rocprim17ROCPRIM_400000_NS6detail17trampoline_kernelINS0_13select_configILj256ELj13ELNS0_17block_load_methodE3ELS4_3ELS4_3ELNS0_20block_scan_algorithmE0ELj4294967295EEENS1_25partition_config_selectorILNS1_17partition_subalgoE3EjNS0_10empty_typeEbEEZZNS1_14partition_implILS8_3ELb0ES6_jNS0_17counting_iteratorIjlEEPS9_SE_NS0_5tupleIJPjSE_EEENSF_IJSE_SE_EEES9_SG_JZNS1_25segmented_radix_sort_implINS0_14default_configELb1EPKdPdPKlPlN2at6native12_GLOBAL__N_18offset_tEEE10hipError_tPvRmT1_PNSt15iterator_traitsISY_E10value_typeET2_T3_PNSZ_IS14_E10value_typeET4_jRbjT5_S1A_jjP12ihipStream_tbEUljE_EEESV_SW_SX_S14_S18_S1A_T6_T7_T9_mT8_S1C_bDpT10_ENKUlT_T0_E_clISt17integral_constantIbLb0EES1O_IbLb1EEEEDaS1K_S1L_EUlS1K_E_NS1_11comp_targetILNS1_3genE9ELNS1_11target_archE1100ELNS1_3gpuE3ELNS1_3repE0EEENS1_30default_config_static_selectorELNS0_4arch9wavefront6targetE0EEEvSY_.has_recursion, 0
	.set _ZN7rocprim17ROCPRIM_400000_NS6detail17trampoline_kernelINS0_13select_configILj256ELj13ELNS0_17block_load_methodE3ELS4_3ELS4_3ELNS0_20block_scan_algorithmE0ELj4294967295EEENS1_25partition_config_selectorILNS1_17partition_subalgoE3EjNS0_10empty_typeEbEEZZNS1_14partition_implILS8_3ELb0ES6_jNS0_17counting_iteratorIjlEEPS9_SE_NS0_5tupleIJPjSE_EEENSF_IJSE_SE_EEES9_SG_JZNS1_25segmented_radix_sort_implINS0_14default_configELb1EPKdPdPKlPlN2at6native12_GLOBAL__N_18offset_tEEE10hipError_tPvRmT1_PNSt15iterator_traitsISY_E10value_typeET2_T3_PNSZ_IS14_E10value_typeET4_jRbjT5_S1A_jjP12ihipStream_tbEUljE_EEESV_SW_SX_S14_S18_S1A_T6_T7_T9_mT8_S1C_bDpT10_ENKUlT_T0_E_clISt17integral_constantIbLb0EES1O_IbLb1EEEEDaS1K_S1L_EUlS1K_E_NS1_11comp_targetILNS1_3genE9ELNS1_11target_archE1100ELNS1_3gpuE3ELNS1_3repE0EEENS1_30default_config_static_selectorELNS0_4arch9wavefront6targetE0EEEvSY_.has_indirect_call, 0
	.section	.AMDGPU.csdata,"",@progbits
; Kernel info:
; codeLenInByte = 0
; TotalNumSgprs: 0
; NumVgprs: 0
; ScratchSize: 0
; MemoryBound: 0
; FloatMode: 240
; IeeeMode: 1
; LDSByteSize: 0 bytes/workgroup (compile time only)
; SGPRBlocks: 0
; VGPRBlocks: 0
; NumSGPRsForWavesPerEU: 1
; NumVGPRsForWavesPerEU: 1
; Occupancy: 16
; WaveLimiterHint : 0
; COMPUTE_PGM_RSRC2:SCRATCH_EN: 0
; COMPUTE_PGM_RSRC2:USER_SGPR: 6
; COMPUTE_PGM_RSRC2:TRAP_HANDLER: 0
; COMPUTE_PGM_RSRC2:TGID_X_EN: 1
; COMPUTE_PGM_RSRC2:TGID_Y_EN: 0
; COMPUTE_PGM_RSRC2:TGID_Z_EN: 0
; COMPUTE_PGM_RSRC2:TIDIG_COMP_CNT: 0
	.section	.text._ZN7rocprim17ROCPRIM_400000_NS6detail17trampoline_kernelINS0_13select_configILj256ELj13ELNS0_17block_load_methodE3ELS4_3ELS4_3ELNS0_20block_scan_algorithmE0ELj4294967295EEENS1_25partition_config_selectorILNS1_17partition_subalgoE3EjNS0_10empty_typeEbEEZZNS1_14partition_implILS8_3ELb0ES6_jNS0_17counting_iteratorIjlEEPS9_SE_NS0_5tupleIJPjSE_EEENSF_IJSE_SE_EEES9_SG_JZNS1_25segmented_radix_sort_implINS0_14default_configELb1EPKdPdPKlPlN2at6native12_GLOBAL__N_18offset_tEEE10hipError_tPvRmT1_PNSt15iterator_traitsISY_E10value_typeET2_T3_PNSZ_IS14_E10value_typeET4_jRbjT5_S1A_jjP12ihipStream_tbEUljE_EEESV_SW_SX_S14_S18_S1A_T6_T7_T9_mT8_S1C_bDpT10_ENKUlT_T0_E_clISt17integral_constantIbLb0EES1O_IbLb1EEEEDaS1K_S1L_EUlS1K_E_NS1_11comp_targetILNS1_3genE8ELNS1_11target_archE1030ELNS1_3gpuE2ELNS1_3repE0EEENS1_30default_config_static_selectorELNS0_4arch9wavefront6targetE0EEEvSY_,"axG",@progbits,_ZN7rocprim17ROCPRIM_400000_NS6detail17trampoline_kernelINS0_13select_configILj256ELj13ELNS0_17block_load_methodE3ELS4_3ELS4_3ELNS0_20block_scan_algorithmE0ELj4294967295EEENS1_25partition_config_selectorILNS1_17partition_subalgoE3EjNS0_10empty_typeEbEEZZNS1_14partition_implILS8_3ELb0ES6_jNS0_17counting_iteratorIjlEEPS9_SE_NS0_5tupleIJPjSE_EEENSF_IJSE_SE_EEES9_SG_JZNS1_25segmented_radix_sort_implINS0_14default_configELb1EPKdPdPKlPlN2at6native12_GLOBAL__N_18offset_tEEE10hipError_tPvRmT1_PNSt15iterator_traitsISY_E10value_typeET2_T3_PNSZ_IS14_E10value_typeET4_jRbjT5_S1A_jjP12ihipStream_tbEUljE_EEESV_SW_SX_S14_S18_S1A_T6_T7_T9_mT8_S1C_bDpT10_ENKUlT_T0_E_clISt17integral_constantIbLb0EES1O_IbLb1EEEEDaS1K_S1L_EUlS1K_E_NS1_11comp_targetILNS1_3genE8ELNS1_11target_archE1030ELNS1_3gpuE2ELNS1_3repE0EEENS1_30default_config_static_selectorELNS0_4arch9wavefront6targetE0EEEvSY_,comdat
	.globl	_ZN7rocprim17ROCPRIM_400000_NS6detail17trampoline_kernelINS0_13select_configILj256ELj13ELNS0_17block_load_methodE3ELS4_3ELS4_3ELNS0_20block_scan_algorithmE0ELj4294967295EEENS1_25partition_config_selectorILNS1_17partition_subalgoE3EjNS0_10empty_typeEbEEZZNS1_14partition_implILS8_3ELb0ES6_jNS0_17counting_iteratorIjlEEPS9_SE_NS0_5tupleIJPjSE_EEENSF_IJSE_SE_EEES9_SG_JZNS1_25segmented_radix_sort_implINS0_14default_configELb1EPKdPdPKlPlN2at6native12_GLOBAL__N_18offset_tEEE10hipError_tPvRmT1_PNSt15iterator_traitsISY_E10value_typeET2_T3_PNSZ_IS14_E10value_typeET4_jRbjT5_S1A_jjP12ihipStream_tbEUljE_EEESV_SW_SX_S14_S18_S1A_T6_T7_T9_mT8_S1C_bDpT10_ENKUlT_T0_E_clISt17integral_constantIbLb0EES1O_IbLb1EEEEDaS1K_S1L_EUlS1K_E_NS1_11comp_targetILNS1_3genE8ELNS1_11target_archE1030ELNS1_3gpuE2ELNS1_3repE0EEENS1_30default_config_static_selectorELNS0_4arch9wavefront6targetE0EEEvSY_ ; -- Begin function _ZN7rocprim17ROCPRIM_400000_NS6detail17trampoline_kernelINS0_13select_configILj256ELj13ELNS0_17block_load_methodE3ELS4_3ELS4_3ELNS0_20block_scan_algorithmE0ELj4294967295EEENS1_25partition_config_selectorILNS1_17partition_subalgoE3EjNS0_10empty_typeEbEEZZNS1_14partition_implILS8_3ELb0ES6_jNS0_17counting_iteratorIjlEEPS9_SE_NS0_5tupleIJPjSE_EEENSF_IJSE_SE_EEES9_SG_JZNS1_25segmented_radix_sort_implINS0_14default_configELb1EPKdPdPKlPlN2at6native12_GLOBAL__N_18offset_tEEE10hipError_tPvRmT1_PNSt15iterator_traitsISY_E10value_typeET2_T3_PNSZ_IS14_E10value_typeET4_jRbjT5_S1A_jjP12ihipStream_tbEUljE_EEESV_SW_SX_S14_S18_S1A_T6_T7_T9_mT8_S1C_bDpT10_ENKUlT_T0_E_clISt17integral_constantIbLb0EES1O_IbLb1EEEEDaS1K_S1L_EUlS1K_E_NS1_11comp_targetILNS1_3genE8ELNS1_11target_archE1030ELNS1_3gpuE2ELNS1_3repE0EEENS1_30default_config_static_selectorELNS0_4arch9wavefront6targetE0EEEvSY_
	.p2align	8
	.type	_ZN7rocprim17ROCPRIM_400000_NS6detail17trampoline_kernelINS0_13select_configILj256ELj13ELNS0_17block_load_methodE3ELS4_3ELS4_3ELNS0_20block_scan_algorithmE0ELj4294967295EEENS1_25partition_config_selectorILNS1_17partition_subalgoE3EjNS0_10empty_typeEbEEZZNS1_14partition_implILS8_3ELb0ES6_jNS0_17counting_iteratorIjlEEPS9_SE_NS0_5tupleIJPjSE_EEENSF_IJSE_SE_EEES9_SG_JZNS1_25segmented_radix_sort_implINS0_14default_configELb1EPKdPdPKlPlN2at6native12_GLOBAL__N_18offset_tEEE10hipError_tPvRmT1_PNSt15iterator_traitsISY_E10value_typeET2_T3_PNSZ_IS14_E10value_typeET4_jRbjT5_S1A_jjP12ihipStream_tbEUljE_EEESV_SW_SX_S14_S18_S1A_T6_T7_T9_mT8_S1C_bDpT10_ENKUlT_T0_E_clISt17integral_constantIbLb0EES1O_IbLb1EEEEDaS1K_S1L_EUlS1K_E_NS1_11comp_targetILNS1_3genE8ELNS1_11target_archE1030ELNS1_3gpuE2ELNS1_3repE0EEENS1_30default_config_static_selectorELNS0_4arch9wavefront6targetE0EEEvSY_,@function
_ZN7rocprim17ROCPRIM_400000_NS6detail17trampoline_kernelINS0_13select_configILj256ELj13ELNS0_17block_load_methodE3ELS4_3ELS4_3ELNS0_20block_scan_algorithmE0ELj4294967295EEENS1_25partition_config_selectorILNS1_17partition_subalgoE3EjNS0_10empty_typeEbEEZZNS1_14partition_implILS8_3ELb0ES6_jNS0_17counting_iteratorIjlEEPS9_SE_NS0_5tupleIJPjSE_EEENSF_IJSE_SE_EEES9_SG_JZNS1_25segmented_radix_sort_implINS0_14default_configELb1EPKdPdPKlPlN2at6native12_GLOBAL__N_18offset_tEEE10hipError_tPvRmT1_PNSt15iterator_traitsISY_E10value_typeET2_T3_PNSZ_IS14_E10value_typeET4_jRbjT5_S1A_jjP12ihipStream_tbEUljE_EEESV_SW_SX_S14_S18_S1A_T6_T7_T9_mT8_S1C_bDpT10_ENKUlT_T0_E_clISt17integral_constantIbLb0EES1O_IbLb1EEEEDaS1K_S1L_EUlS1K_E_NS1_11comp_targetILNS1_3genE8ELNS1_11target_archE1030ELNS1_3gpuE2ELNS1_3repE0EEENS1_30default_config_static_selectorELNS0_4arch9wavefront6targetE0EEEvSY_: ; @_ZN7rocprim17ROCPRIM_400000_NS6detail17trampoline_kernelINS0_13select_configILj256ELj13ELNS0_17block_load_methodE3ELS4_3ELS4_3ELNS0_20block_scan_algorithmE0ELj4294967295EEENS1_25partition_config_selectorILNS1_17partition_subalgoE3EjNS0_10empty_typeEbEEZZNS1_14partition_implILS8_3ELb0ES6_jNS0_17counting_iteratorIjlEEPS9_SE_NS0_5tupleIJPjSE_EEENSF_IJSE_SE_EEES9_SG_JZNS1_25segmented_radix_sort_implINS0_14default_configELb1EPKdPdPKlPlN2at6native12_GLOBAL__N_18offset_tEEE10hipError_tPvRmT1_PNSt15iterator_traitsISY_E10value_typeET2_T3_PNSZ_IS14_E10value_typeET4_jRbjT5_S1A_jjP12ihipStream_tbEUljE_EEESV_SW_SX_S14_S18_S1A_T6_T7_T9_mT8_S1C_bDpT10_ENKUlT_T0_E_clISt17integral_constantIbLb0EES1O_IbLb1EEEEDaS1K_S1L_EUlS1K_E_NS1_11comp_targetILNS1_3genE8ELNS1_11target_archE1030ELNS1_3gpuE2ELNS1_3repE0EEENS1_30default_config_static_selectorELNS0_4arch9wavefront6targetE0EEEvSY_
; %bb.0:
	s_clause 0x6
	s_load_dwordx2 s[18:19], s[4:5], 0x10
	s_load_dwordx2 s[16:17], s[4:5], 0x28
	;; [unrolled: 1-line block ×3, first 2 shown]
	s_load_dwordx4 s[12:15], s[4:5], 0x48
	s_load_dword s2, s[4:5], 0x90
	s_load_dwordx2 s[22:23], s[4:5], 0x68
	s_load_dwordx4 s[8:11], s[4:5], 0x80
	v_cmp_eq_u32_e64 s0, 0, v0
	s_and_saveexec_b32 s1, s0
	s_cbranch_execz .LBB1109_4
; %bb.1:
	s_mov_b32 s6, exec_lo
	s_mov_b32 s3, exec_lo
	v_mbcnt_lo_u32_b32 v1, s6, 0
                                        ; implicit-def: $vgpr2
	v_cmpx_eq_u32_e32 0, v1
	s_cbranch_execz .LBB1109_3
; %bb.2:
	s_load_dwordx2 s[24:25], s[4:5], 0x78
	s_bcnt1_i32_b32 s6, s6
	v_mov_b32_e32 v2, 0
	v_mov_b32_e32 v3, s6
	s_waitcnt lgkmcnt(0)
	global_atomic_add v2, v2, v3, s[24:25] glc
.LBB1109_3:
	s_or_b32 exec_lo, exec_lo, s3
	s_waitcnt vmcnt(0)
	v_readfirstlane_b32 s3, v2
	v_mov_b32_e32 v2, 0
	v_add_nc_u32_e32 v1, s3, v1
	ds_write_b32 v2, v1
.LBB1109_4:
	s_or_b32 exec_lo, exec_lo, s1
	v_mov_b32_e32 v1, 0
	s_clause 0x1
	s_load_dword s3, s[4:5], 0x8
	s_load_dword s1, s[4:5], 0x70
	s_waitcnt lgkmcnt(0)
	s_barrier
	buffer_gl0_inv
	ds_read_b32 v2, v1
	s_waitcnt lgkmcnt(0)
	s_barrier
	buffer_gl0_inv
	global_load_dwordx2 v[18:19], v1, s[14:15]
	v_lshlrev_b32_e32 v44, 2, v0
	s_add_i32 s4, s3, s18
	s_mul_i32 s5, s1, 0xd00
	s_add_i32 s1, s1, -1
	s_add_i32 s3, s5, s18
	s_sub_i32 s15, s20, s3
	v_readfirstlane_b32 s25, v2
	s_addk_i32 s15, 0xd00
	s_add_u32 s6, s18, s5
	s_addc_u32 s7, s19, 0
	v_cmp_ne_u32_e32 vcc_lo, s1, v2
	v_cmp_gt_u64_e64 s3, s[20:21], s[6:7]
	s_cmp_eq_u32 s25, s1
	s_mul_i32 s24, s25, 0xd00
	s_cselect_b32 s14, -1, 0
	s_mov_b32 s5, -1
	s_or_b32 s3, s3, vcc_lo
	s_and_b32 vcc_lo, exec_lo, s3
	s_cbranch_vccz .LBB1109_6
; %bb.5:
	v_add3_u32 v1, s24, s4, v0
	s_mov_b32 s5, 0
	v_add_nc_u32_e32 v2, 0x100, v1
	v_add_nc_u32_e32 v3, 0x200, v1
	;; [unrolled: 1-line block ×12, first 2 shown]
	ds_write2st64_b32 v44, v1, v2 offset1:4
	ds_write2st64_b32 v44, v3, v4 offset0:8 offset1:12
	ds_write2st64_b32 v44, v5, v6 offset0:16 offset1:20
	;; [unrolled: 1-line block ×5, first 2 shown]
	ds_write_b32 v44, v13 offset:12288
	s_waitcnt vmcnt(0) lgkmcnt(0)
	s_barrier
.LBB1109_6:
	v_cmp_gt_u32_e64 s1, s15, v0
	v_or_b32_e32 v43, 0x100, v0
	v_or_b32_e32 v42, 0x200, v0
	;; [unrolled: 1-line block ×12, first 2 shown]
	s_andn2_b32 vcc_lo, exec_lo, s5
	s_cbranch_vccnz .LBB1109_8
; %bb.7:
	s_add_i32 s4, s24, s4
	v_cmp_gt_u32_e32 vcc_lo, s15, v43
	v_add_nc_u32_e32 v2, s4, v43
	v_add_nc_u32_e32 v3, s4, v42
	;; [unrolled: 1-line block ×5, first 2 shown]
	v_cndmask_b32_e32 v2, 0, v2, vcc_lo
	v_cmp_gt_u32_e32 vcc_lo, s15, v42
	v_add_nc_u32_e32 v7, s4, v38
	v_add_nc_u32_e32 v8, s4, v37
	;; [unrolled: 1-line block ×4, first 2 shown]
	v_cndmask_b32_e32 v3, 0, v3, vcc_lo
	v_cmp_gt_u32_e32 vcc_lo, s15, v41
	v_add_nc_u32_e32 v11, s4, v34
	v_add_nc_u32_e32 v1, s4, v0
	;; [unrolled: 1-line block ×4, first 2 shown]
	v_cndmask_b32_e32 v4, 0, v4, vcc_lo
	v_cmp_gt_u32_e32 vcc_lo, s15, v40
	v_cndmask_b32_e64 v1, 0, v1, s1
	v_cndmask_b32_e32 v5, 0, v5, vcc_lo
	v_cmp_gt_u32_e32 vcc_lo, s15, v39
	v_cndmask_b32_e32 v6, 0, v6, vcc_lo
	v_cmp_gt_u32_e32 vcc_lo, s15, v38
	;; [unrolled: 2-line block ×8, first 2 shown]
	v_cndmask_b32_e32 v13, 0, v13, vcc_lo
	ds_write2st64_b32 v44, v1, v2 offset1:4
	ds_write2st64_b32 v44, v3, v4 offset0:8 offset1:12
	ds_write2st64_b32 v44, v5, v6 offset0:16 offset1:20
	;; [unrolled: 1-line block ×5, first 2 shown]
	ds_write_b32 v44, v13 offset:12288
	s_waitcnt vmcnt(0) lgkmcnt(0)
	s_barrier
.LBB1109_8:
	v_mul_u32_u24_e32 v47, 13, v0
	s_waitcnt vmcnt(0)
	buffer_gl0_inv
	v_cndmask_b32_e64 v45, 0, 1, s3
	s_andn2_b32 vcc_lo, exec_lo, s3
	v_lshlrev_b32_e32 v1, 2, v47
	ds_read2_b32 v[28:29], v1 offset0:2 offset1:3
	ds_read2_b32 v[24:25], v1 offset0:6 offset1:7
	ds_read2_b32 v[26:27], v1 offset0:4 offset1:5
	ds_read2_b32 v[30:31], v1 offset1:1
	ds_read2_b32 v[20:21], v1 offset0:10 offset1:11
	ds_read_b32 v46, v1 offset:48
	ds_read2_b32 v[22:23], v1 offset0:8 offset1:9
	s_waitcnt lgkmcnt(0)
	s_barrier
	buffer_gl0_inv
	s_cbranch_vccnz .LBB1109_10
; %bb.9:
	v_add_nc_u32_e32 v1, s9, v29
	v_add_nc_u32_e32 v4, s9, v28
	;; [unrolled: 1-line block ×6, first 2 shown]
	v_mul_lo_u32 v4, v4, s8
	v_mul_lo_u32 v1, v1, s8
	;; [unrolled: 1-line block ×4, first 2 shown]
	v_add_nc_u32_e32 v3, s9, v30
	v_add_nc_u32_e32 v7, s11, v30
	v_mul_lo_u32 v2, v2, s8
	v_mul_lo_u32 v6, v6, s10
	v_add_nc_u32_e32 v10, s11, v27
	v_mul_lo_u32 v3, v3, s8
	v_mul_lo_u32 v7, v7, s10
	v_sub_nc_u32_e32 v1, v1, v5
	v_sub_nc_u32_e32 v4, v4, v8
	v_add_nc_u32_e32 v5, s9, v25
	v_add_nc_u32_e32 v8, s11, v25
	v_sub_nc_u32_e32 v2, v2, v6
	v_add_nc_u32_e32 v6, s9, v27
	v_add_nc_u32_e32 v9, s9, v24
	v_mul_lo_u32 v5, v5, s8
	v_mul_lo_u32 v8, v8, s10
	v_sub_nc_u32_e32 v3, v3, v7
	v_add_nc_u32_e32 v7, s9, v26
	v_add_nc_u32_e32 v11, s11, v24
	v_mul_lo_u32 v6, v6, s8
	v_mul_lo_u32 v10, v10, s10
	v_add_nc_u32_e32 v12, s11, v26
	v_mul_lo_u32 v9, v9, s8
	v_mul_lo_u32 v7, v7, s8
	;; [unrolled: 1-line block ×3, first 2 shown]
	v_sub_nc_u32_e32 v5, v5, v8
	v_mul_lo_u32 v8, v12, s10
	v_cmp_lt_u32_e32 vcc_lo, s2, v1
	v_sub_nc_u32_e32 v6, v6, v10
	v_add_nc_u32_e32 v10, s9, v21
	v_add_nc_u32_e32 v14, s11, v21
	;; [unrolled: 1-line block ×3, first 2 shown]
	v_cndmask_b32_e64 v1, 0, 1, vcc_lo
	v_cmp_lt_u32_e32 vcc_lo, s2, v2
	v_sub_nc_u32_e32 v7, v7, v8
	v_sub_nc_u32_e32 v8, v9, v11
	v_add_nc_u32_e32 v11, s9, v23
	v_mul_lo_u32 v10, v10, s8
	v_mul_lo_u32 v14, v14, s10
	v_cndmask_b32_e64 v2, 0, 1, vcc_lo
	v_cmp_lt_u32_e32 vcc_lo, s2, v5
	v_mul_lo_u32 v11, v11, s8
	v_mul_lo_u32 v15, v15, s10
	v_mov_b32_e32 v9, 8
	v_lshlrev_b16 v2, 8, v2
	v_cndmask_b32_e64 v5, 0, 1, vcc_lo
	v_cmp_lt_u32_e32 vcc_lo, s2, v6
	v_sub_nc_u32_e32 v10, v10, v14
	v_add_nc_u32_e32 v12, s9, v22
	v_add_nc_u32_e32 v16, s11, v22
	v_sub_nc_u32_e32 v11, v11, v15
	v_cndmask_b32_e64 v6, 0, 1, vcc_lo
	v_cmp_lt_u32_e32 vcc_lo, s2, v10
	v_lshrrev_b32_sdwa v2, v9, v2 dst_sel:BYTE_1 dst_unused:UNUSED_PAD src0_sel:DWORD src1_sel:DWORD
	v_add_nc_u32_e32 v13, s9, v20
	v_add_nc_u32_e32 v17, s11, v20
	v_mul_lo_u32 v12, v12, s8
	v_cndmask_b32_e64 v10, 0, 1, vcc_lo
	v_cmp_lt_u32_e32 vcc_lo, s2, v11
	v_mul_lo_u32 v16, v16, s10
	v_mul_lo_u32 v13, v13, s8
	;; [unrolled: 1-line block ×3, first 2 shown]
	v_add_nc_u32_e32 v14, s9, v46
	v_cndmask_b32_e64 v11, 0, 1, vcc_lo
	v_cmp_lt_u32_e32 vcc_lo, s2, v3
	v_add_nc_u32_e32 v15, s11, v46
	v_lshlrev_b16 v1, 8, v1
	v_sub_nc_u32_e32 v12, v12, v16
	v_lshlrev_b16 v11, 8, v11
	v_cndmask_b32_e64 v3, 0, 1, vcc_lo
	v_cmp_lt_u32_e32 vcc_lo, s2, v4
	v_sub_nc_u32_e32 v13, v13, v17
	v_mul_lo_u32 v14, v14, s8
	v_mul_lo_u32 v15, v15, s10
	v_or_b32_e32 v2, v3, v2
	v_cndmask_b32_e64 v3, 0, 1, vcc_lo
	v_cmp_lt_u32_e32 vcc_lo, s2, v7
	v_lshlrev_b16 v6, 8, v6
	v_lshlrev_b16 v10, 8, v10
	;; [unrolled: 1-line block ×3, first 2 shown]
	v_lshrrev_b32_sdwa v1, v9, v1 dst_sel:BYTE_1 dst_unused:UNUSED_PAD src0_sel:DWORD src1_sel:DWORD
	v_cndmask_b32_e64 v4, 0, 1, vcc_lo
	v_cmp_lt_u32_e32 vcc_lo, s2, v8
	v_lshrrev_b32_sdwa v8, v9, v11 dst_sel:BYTE_1 dst_unused:UNUSED_PAD src0_sel:DWORD src1_sel:DWORD
	v_lshrrev_b32_sdwa v6, v9, v6 dst_sel:BYTE_1 dst_unused:UNUSED_PAD src0_sel:DWORD src1_sel:DWORD
	v_sub_nc_u32_e32 v14, v14, v15
	v_lshrrev_b32_sdwa v9, v9, v10 dst_sel:BYTE_1 dst_unused:UNUSED_PAD src0_sel:DWORD src1_sel:DWORD
	v_cndmask_b32_e64 v7, 0, 1, vcc_lo
	v_cmp_lt_u32_e32 vcc_lo, s2, v12
	v_or_b32_sdwa v1, v3, v1 dst_sel:WORD_1 dst_unused:UNUSED_PAD src0_sel:DWORD src1_sel:DWORD
	v_or_b32_e32 v3, v4, v6
	v_or_b32_sdwa v4, v7, v5 dst_sel:WORD_1 dst_unused:UNUSED_PAD src0_sel:DWORD src1_sel:DWORD
	v_cndmask_b32_e64 v11, 0, 1, vcc_lo
	v_cmp_lt_u32_e32 vcc_lo, s2, v13
	v_or_b32_sdwa v52, v2, v1 dst_sel:DWORD dst_unused:UNUSED_PAD src0_sel:WORD_0 src1_sel:DWORD
	v_or_b32_sdwa v50, v3, v4 dst_sel:DWORD dst_unused:UNUSED_PAD src0_sel:WORD_0 src1_sel:DWORD
	v_or_b32_e32 v5, v11, v8
	v_cndmask_b32_e64 v10, 0, 1, vcc_lo
	v_cmp_lt_u32_e32 vcc_lo, s2, v14
	v_or_b32_sdwa v6, v10, v9 dst_sel:WORD_1 dst_unused:UNUSED_PAD src0_sel:DWORD src1_sel:DWORD
	v_cndmask_b32_e64 v48, 0, 1, vcc_lo
	v_or_b32_sdwa v49, v5, v6 dst_sel:DWORD dst_unused:UNUSED_PAD src0_sel:WORD_0 src1_sel:DWORD
	s_cbranch_execz .LBB1109_11
	s_branch .LBB1109_38
.LBB1109_10:
                                        ; implicit-def: $vgpr48
                                        ; implicit-def: $vgpr49
                                        ; implicit-def: $vgpr50
                                        ; implicit-def: $vgpr52
.LBB1109_11:
	v_mov_b32_e32 v2, 0
	v_mov_b32_e32 v1, 0
	s_mov_b32 s1, exec_lo
	v_cmpx_gt_u32_e64 s15, v47
	s_cbranch_execz .LBB1109_13
; %bb.12:
	v_add_nc_u32_e32 v1, s9, v30
	v_add_nc_u32_e32 v3, s11, v30
	v_mul_lo_u32 v1, v1, s8
	v_mul_lo_u32 v3, v3, s10
	v_sub_nc_u32_e32 v1, v1, v3
	v_cmp_lt_u32_e32 vcc_lo, s2, v1
	v_cndmask_b32_e64 v1, 0, 1, vcc_lo
.LBB1109_13:
	s_or_b32 exec_lo, exec_lo, s1
	v_add_nc_u32_e32 v3, 1, v47
	s_mov_b32 s1, exec_lo
	v_cmpx_gt_u32_e64 s15, v3
	s_cbranch_execz .LBB1109_15
; %bb.14:
	v_add_nc_u32_e32 v2, s9, v31
	v_add_nc_u32_e32 v3, s11, v31
	v_mul_lo_u32 v2, v2, s8
	v_mul_lo_u32 v3, v3, s10
	v_sub_nc_u32_e32 v2, v2, v3
	v_cmp_lt_u32_e32 vcc_lo, s2, v2
	v_cndmask_b32_e64 v2, 0, 1, vcc_lo
.LBB1109_15:
	s_or_b32 exec_lo, exec_lo, s1
	v_add_nc_u32_e32 v3, 2, v47
	v_mov_b32_e32 v4, 0
	v_cmp_gt_u32_e32 vcc_lo, s15, v3
	v_mov_b32_e32 v3, 0
	s_and_saveexec_b32 s1, vcc_lo
	s_cbranch_execz .LBB1109_17
; %bb.16:
	v_add_nc_u32_e32 v3, s9, v28
	v_add_nc_u32_e32 v5, s11, v28
	v_mul_lo_u32 v3, v3, s8
	v_mul_lo_u32 v5, v5, s10
	v_sub_nc_u32_e32 v3, v3, v5
	v_cmp_lt_u32_e32 vcc_lo, s2, v3
	v_cndmask_b32_e64 v3, 0, 1, vcc_lo
.LBB1109_17:
	s_or_b32 exec_lo, exec_lo, s1
	v_add_nc_u32_e32 v5, 3, v47
	s_mov_b32 s1, exec_lo
	v_cmpx_gt_u32_e64 s15, v5
	s_cbranch_execz .LBB1109_19
; %bb.18:
	v_add_nc_u32_e32 v4, s9, v29
	v_add_nc_u32_e32 v5, s11, v29
	v_mul_lo_u32 v4, v4, s8
	v_mul_lo_u32 v5, v5, s10
	v_sub_nc_u32_e32 v4, v4, v5
	v_cmp_lt_u32_e32 vcc_lo, s2, v4
	v_cndmask_b32_e64 v4, 0, 1, vcc_lo
.LBB1109_19:
	s_or_b32 exec_lo, exec_lo, s1
	v_add_nc_u32_e32 v5, 4, v47
	v_mov_b32_e32 v6, 0
	v_cmp_gt_u32_e32 vcc_lo, s15, v5
	v_mov_b32_e32 v5, 0
	s_and_saveexec_b32 s1, vcc_lo
	;; [unrolled: 30-line block ×5, first 2 shown]
	s_cbranch_execz .LBB1109_33
; %bb.32:
	v_add_nc_u32_e32 v11, s9, v20
	v_add_nc_u32_e32 v13, s11, v20
	v_mul_lo_u32 v11, v11, s8
	v_mul_lo_u32 v13, v13, s10
	v_sub_nc_u32_e32 v11, v11, v13
	v_cmp_lt_u32_e32 vcc_lo, s2, v11
	v_cndmask_b32_e64 v11, 0, 1, vcc_lo
.LBB1109_33:
	s_or_b32 exec_lo, exec_lo, s1
	v_add_nc_u32_e32 v13, 11, v47
	s_mov_b32 s1, exec_lo
	v_cmpx_gt_u32_e64 s15, v13
	s_cbranch_execz .LBB1109_35
; %bb.34:
	v_add_nc_u32_e32 v12, s9, v21
	v_add_nc_u32_e32 v13, s11, v21
	v_mul_lo_u32 v12, v12, s8
	v_mul_lo_u32 v13, v13, s10
	v_sub_nc_u32_e32 v12, v12, v13
	v_cmp_lt_u32_e32 vcc_lo, s2, v12
	v_cndmask_b32_e64 v12, 0, 1, vcc_lo
.LBB1109_35:
	s_or_b32 exec_lo, exec_lo, s1
	v_add_nc_u32_e32 v13, 12, v47
	v_mov_b32_e32 v48, 0
	s_mov_b32 s1, exec_lo
	v_cmpx_gt_u32_e64 s15, v13
	s_cbranch_execz .LBB1109_37
; %bb.36:
	v_add_nc_u32_e32 v13, s9, v46
	v_add_nc_u32_e32 v14, s11, v46
	v_mul_lo_u32 v13, v13, s8
	v_mul_lo_u32 v14, v14, s10
	v_sub_nc_u32_e32 v13, v13, v14
	v_cmp_lt_u32_e32 vcc_lo, s2, v13
	v_cndmask_b32_e64 v48, 0, 1, vcc_lo
.LBB1109_37:
	s_or_b32 exec_lo, exec_lo, s1
	v_lshlrev_b16 v2, 8, v2
	v_lshlrev_b16 v4, 8, v4
	;; [unrolled: 1-line block ×5, first 2 shown]
	v_or_b32_e32 v1, v1, v2
	v_lshlrev_b16 v2, 8, v12
	v_or_b32_sdwa v3, v3, v4 dst_sel:WORD_1 dst_unused:UNUSED_PAD src0_sel:DWORD src1_sel:DWORD
	v_or_b32_e32 v4, v5, v6
	v_or_b32_sdwa v5, v7, v8 dst_sel:WORD_1 dst_unused:UNUSED_PAD src0_sel:DWORD src1_sel:DWORD
	v_or_b32_e32 v6, v9, v10
	v_or_b32_sdwa v2, v11, v2 dst_sel:WORD_1 dst_unused:UNUSED_PAD src0_sel:DWORD src1_sel:DWORD
	v_or_b32_sdwa v52, v1, v3 dst_sel:DWORD dst_unused:UNUSED_PAD src0_sel:WORD_0 src1_sel:DWORD
	v_or_b32_sdwa v50, v4, v5 dst_sel:DWORD dst_unused:UNUSED_PAD src0_sel:WORD_0 src1_sel:DWORD
	;; [unrolled: 1-line block ×3, first 2 shown]
.LBB1109_38:
	v_and_b32_e32 v55, 0xff, v52
	v_bfe_u32 v56, v52, 8, 8
	v_bfe_u32 v57, v52, 16, 8
	v_lshrrev_b32_e32 v54, 24, v52
	v_and_b32_e32 v58, 0xff, v50
	v_bfe_u32 v59, v50, 8, 8
	v_bfe_u32 v60, v50, 16, 8
	v_add3_u32 v1, v56, v55, v57
	v_lshrrev_b32_e32 v53, 24, v50
	v_and_b32_e32 v61, 0xff, v49
	v_bfe_u32 v62, v49, 8, 8
	v_mbcnt_lo_u32_b32 v64, -1, 0
	v_add3_u32 v1, v1, v54, v58
	v_bfe_u32 v63, v49, 16, 8
	v_lshrrev_b32_e32 v51, 24, v49
	v_and_b32_e32 v2, 0xff, v48
	v_and_b32_e32 v3, 15, v64
	v_add3_u32 v1, v1, v59, v60
	v_or_b32_e32 v4, 31, v0
	v_and_b32_e32 v5, 16, v64
	v_lshrrev_b32_e32 v65, 5, v0
	v_cmp_eq_u32_e64 s6, 0, v3
	v_add3_u32 v1, v1, v53, v61
	v_cmp_lt_u32_e64 s5, 1, v3
	v_cmp_lt_u32_e64 s4, 3, v3
	;; [unrolled: 1-line block ×3, first 2 shown]
	v_cmp_eq_u32_e64 s2, 0, v5
	v_add3_u32 v1, v1, v62, v63
	v_cmp_eq_u32_e64 s1, v0, v4
	s_cmp_lg_u32 s25, 0
	s_mov_b32 s7, -1
	v_add3_u32 v66, v1, v51, v2
	s_cbranch_scc0 .LBB1109_60
; %bb.39:
	v_mov_b32_dpp v1, v66 row_shr:1 row_mask:0xf bank_mask:0xf
	v_cndmask_b32_e64 v1, v1, 0, s6
	v_add_nc_u32_e32 v1, v1, v66
	v_mov_b32_dpp v2, v1 row_shr:2 row_mask:0xf bank_mask:0xf
	v_cndmask_b32_e64 v2, 0, v2, s5
	v_add_nc_u32_e32 v1, v1, v2
	;; [unrolled: 3-line block ×4, first 2 shown]
	ds_swizzle_b32 v2, v1 offset:swizzle(BROADCAST,32,15)
	s_waitcnt lgkmcnt(0)
	v_cndmask_b32_e64 v2, v2, 0, s2
	v_add_nc_u32_e32 v1, v1, v2
	s_and_saveexec_b32 s7, s1
; %bb.40:
	v_lshlrev_b32_e32 v2, 2, v65
	ds_write_b32 v2, v1
; %bb.41:
	s_or_b32 exec_lo, exec_lo, s7
	s_mov_b32 s7, exec_lo
	s_waitcnt lgkmcnt(0)
	s_barrier
	buffer_gl0_inv
	v_cmpx_gt_u32_e32 8, v0
	s_cbranch_execz .LBB1109_43
; %bb.42:
	ds_read_b32 v2, v44
	v_and_b32_e32 v3, 7, v64
	v_cmp_ne_u32_e32 vcc_lo, 0, v3
	s_waitcnt lgkmcnt(0)
	v_mov_b32_dpp v4, v2 row_shr:1 row_mask:0xf bank_mask:0xf
	v_cndmask_b32_e32 v4, 0, v4, vcc_lo
	v_cmp_lt_u32_e32 vcc_lo, 1, v3
	v_add_nc_u32_e32 v2, v4, v2
	v_mov_b32_dpp v4, v2 row_shr:2 row_mask:0xf bank_mask:0xf
	v_cndmask_b32_e32 v4, 0, v4, vcc_lo
	v_cmp_lt_u32_e32 vcc_lo, 3, v3
	v_add_nc_u32_e32 v2, v2, v4
	v_mov_b32_dpp v4, v2 row_shr:4 row_mask:0xf bank_mask:0xf
	v_cndmask_b32_e32 v3, 0, v4, vcc_lo
	v_add_nc_u32_e32 v2, v2, v3
	ds_write_b32 v44, v2
.LBB1109_43:
	s_or_b32 exec_lo, exec_lo, s7
	s_mov_b32 s8, exec_lo
	v_cmp_gt_u32_e32 vcc_lo, 32, v0
	s_waitcnt lgkmcnt(0)
	s_barrier
	buffer_gl0_inv
                                        ; implicit-def: $vgpr10
	v_cmpx_lt_u32_e32 31, v0
	s_cbranch_execz .LBB1109_45
; %bb.44:
	v_lshl_add_u32 v2, v65, 2, -4
	ds_read_b32 v10, v2
	s_waitcnt lgkmcnt(0)
	v_add_nc_u32_e32 v1, v10, v1
.LBB1109_45:
	s_or_b32 exec_lo, exec_lo, s8
	v_sub_co_u32 v2, s7, v64, 1
	v_cmp_gt_i32_e64 s8, 0, v2
	v_cndmask_b32_e64 v2, v2, v64, s8
	v_lshlrev_b32_e32 v2, 2, v2
	ds_bpermute_b32 v11, v2, v1
	s_and_saveexec_b32 s8, vcc_lo
	s_cbranch_execz .LBB1109_65
; %bb.46:
	v_mov_b32_e32 v7, 0
	ds_read_b32 v1, v7 offset:28
	s_and_saveexec_b32 s9, s7
	s_cbranch_execz .LBB1109_48
; %bb.47:
	s_add_i32 s10, s25, 32
	s_mov_b32 s11, 0
	v_mov_b32_e32 v2, 1
	s_lshl_b64 s[10:11], s[10:11], 3
	s_add_u32 s10, s22, s10
	s_addc_u32 s11, s23, s11
	s_waitcnt lgkmcnt(0)
	global_store_dwordx2 v7, v[1:2], s[10:11]
.LBB1109_48:
	s_or_b32 exec_lo, exec_lo, s9
	v_xad_u32 v3, v64, -1, s25
	s_mov_b32 s10, 0
	v_add_nc_u32_e32 v6, 32, v3
	v_lshlrev_b64 v[4:5], 3, v[6:7]
	v_add_co_u32 v8, vcc_lo, s22, v4
	v_add_co_ci_u32_e64 v9, null, s23, v5, vcc_lo
	global_load_dwordx2 v[5:6], v[8:9], off glc dlc
	s_waitcnt vmcnt(0)
	v_cmp_eq_u16_sdwa s11, v6, v7 src0_sel:BYTE_0 src1_sel:DWORD
	s_and_saveexec_b32 s9, s11
	s_cbranch_execz .LBB1109_52
; %bb.49:
	v_mov_b32_e32 v2, 0
.LBB1109_50:                            ; =>This Inner Loop Header: Depth=1
	global_load_dwordx2 v[5:6], v[8:9], off glc dlc
	s_waitcnt vmcnt(0)
	v_cmp_ne_u16_sdwa s11, v6, v2 src0_sel:BYTE_0 src1_sel:DWORD
	s_or_b32 s10, s11, s10
	s_andn2_b32 exec_lo, exec_lo, s10
	s_cbranch_execnz .LBB1109_50
; %bb.51:
	s_or_b32 exec_lo, exec_lo, s10
.LBB1109_52:
	s_or_b32 exec_lo, exec_lo, s9
	v_cmp_ne_u32_e32 vcc_lo, 31, v64
	v_mov_b32_e32 v12, 2
	v_lshlrev_b32_e64 v13, v64, -1
	v_add_nc_u32_e32 v15, 2, v64
	v_add_nc_u32_e32 v17, 4, v64
	v_add_co_ci_u32_e64 v2, null, 0, v64, vcc_lo
	v_cmp_eq_u16_sdwa s9, v6, v12 src0_sel:BYTE_0 src1_sel:DWORD
	v_cmp_gt_u32_e32 vcc_lo, 30, v64
	v_add_nc_u32_e32 v68, 8, v64
	v_lshlrev_b32_e32 v9, 2, v2
	v_lshl_or_b32 v69, v64, 2, 64
	v_and_or_b32 v4, s9, v13, 0x80000000
	v_cndmask_b32_e64 v7, 0, 2, vcc_lo
	v_add_nc_u32_e32 v70, 16, v64
	ds_bpermute_b32 v2, v9, v5
	v_ffbl_b32_e32 v4, v4
	v_add_lshl_u32 v14, v7, v64, 2
	v_cmp_lt_u32_e32 vcc_lo, v64, v4
	s_waitcnt lgkmcnt(0)
	v_cndmask_b32_e32 v2, 0, v2, vcc_lo
	v_cmp_gt_u32_e32 vcc_lo, 28, v64
	v_add_nc_u32_e32 v2, v2, v5
	v_cndmask_b32_e64 v7, 0, 4, vcc_lo
	v_cmp_le_u32_e32 vcc_lo, v15, v4
	ds_bpermute_b32 v5, v14, v2
	v_add_lshl_u32 v16, v7, v64, 2
	s_waitcnt lgkmcnt(0)
	v_cndmask_b32_e32 v5, 0, v5, vcc_lo
	v_cmp_gt_u32_e32 vcc_lo, 24, v64
	v_add_nc_u32_e32 v2, v2, v5
	v_cndmask_b32_e64 v7, 0, 8, vcc_lo
	v_cmp_le_u32_e32 vcc_lo, v17, v4
	ds_bpermute_b32 v5, v16, v2
	v_add_lshl_u32 v67, v7, v64, 2
	s_waitcnt lgkmcnt(0)
	v_cndmask_b32_e32 v5, 0, v5, vcc_lo
	v_cmp_le_u32_e32 vcc_lo, v68, v4
	v_add_nc_u32_e32 v2, v2, v5
	ds_bpermute_b32 v5, v67, v2
	s_waitcnt lgkmcnt(0)
	v_cndmask_b32_e32 v5, 0, v5, vcc_lo
	v_cmp_le_u32_e32 vcc_lo, v70, v4
	v_add_nc_u32_e32 v2, v2, v5
	ds_bpermute_b32 v5, v69, v2
	s_waitcnt lgkmcnt(0)
	v_cndmask_b32_e32 v4, 0, v5, vcc_lo
	v_add_nc_u32_e32 v5, v2, v4
	v_mov_b32_e32 v4, 0
	s_branch .LBB1109_56
.LBB1109_53:                            ;   in Loop: Header=BB1109_56 Depth=1
	s_or_b32 exec_lo, exec_lo, s10
.LBB1109_54:                            ;   in Loop: Header=BB1109_56 Depth=1
	s_or_b32 exec_lo, exec_lo, s9
	ds_bpermute_b32 v7, v9, v5
	v_cmp_eq_u16_sdwa s9, v6, v12 src0_sel:BYTE_0 src1_sel:DWORD
	v_subrev_nc_u32_e32 v3, 32, v3
	v_and_or_b32 v8, s9, v13, 0x80000000
	s_mov_b32 s9, 0
	v_ffbl_b32_e32 v8, v8
	v_cmp_lt_u32_e32 vcc_lo, v64, v8
	s_waitcnt lgkmcnt(0)
	v_cndmask_b32_e32 v7, 0, v7, vcc_lo
	v_cmp_le_u32_e32 vcc_lo, v15, v8
	v_add_nc_u32_e32 v5, v7, v5
	ds_bpermute_b32 v7, v14, v5
	s_waitcnt lgkmcnt(0)
	v_cndmask_b32_e32 v7, 0, v7, vcc_lo
	v_cmp_le_u32_e32 vcc_lo, v17, v8
	v_add_nc_u32_e32 v5, v5, v7
	ds_bpermute_b32 v7, v16, v5
	s_waitcnt lgkmcnt(0)
	v_cndmask_b32_e32 v7, 0, v7, vcc_lo
	v_cmp_le_u32_e32 vcc_lo, v68, v8
	v_add_nc_u32_e32 v5, v5, v7
	ds_bpermute_b32 v7, v67, v5
	s_waitcnt lgkmcnt(0)
	v_cndmask_b32_e32 v7, 0, v7, vcc_lo
	v_cmp_le_u32_e32 vcc_lo, v70, v8
	v_add_nc_u32_e32 v5, v5, v7
	ds_bpermute_b32 v7, v69, v5
	s_waitcnt lgkmcnt(0)
	v_cndmask_b32_e32 v7, 0, v7, vcc_lo
	v_add3_u32 v5, v7, v2, v5
.LBB1109_55:                            ;   in Loop: Header=BB1109_56 Depth=1
	s_and_b32 vcc_lo, exec_lo, s9
	s_cbranch_vccnz .LBB1109_61
.LBB1109_56:                            ; =>This Loop Header: Depth=1
                                        ;     Child Loop BB1109_59 Depth 2
	v_cmp_ne_u16_sdwa s9, v6, v12 src0_sel:BYTE_0 src1_sel:DWORD
	v_mov_b32_e32 v2, v5
                                        ; implicit-def: $vgpr5
                                        ; implicit-def: $vgpr6
	s_cmp_lg_u32 s9, exec_lo
	s_mov_b32 s9, -1
	s_cbranch_scc1 .LBB1109_55
; %bb.57:                               ;   in Loop: Header=BB1109_56 Depth=1
	v_lshlrev_b64 v[5:6], 3, v[3:4]
	v_add_co_u32 v7, vcc_lo, s22, v5
	v_add_co_ci_u32_e64 v8, null, s23, v6, vcc_lo
	global_load_dwordx2 v[5:6], v[7:8], off glc dlc
	s_waitcnt vmcnt(0)
	v_cmp_eq_u16_sdwa s10, v6, v4 src0_sel:BYTE_0 src1_sel:DWORD
	s_and_saveexec_b32 s9, s10
	s_cbranch_execz .LBB1109_54
; %bb.58:                               ;   in Loop: Header=BB1109_56 Depth=1
	s_mov_b32 s10, 0
.LBB1109_59:                            ;   Parent Loop BB1109_56 Depth=1
                                        ; =>  This Inner Loop Header: Depth=2
	global_load_dwordx2 v[5:6], v[7:8], off glc dlc
	s_waitcnt vmcnt(0)
	v_cmp_ne_u16_sdwa s11, v6, v4 src0_sel:BYTE_0 src1_sel:DWORD
	s_or_b32 s10, s11, s10
	s_andn2_b32 exec_lo, exec_lo, s10
	s_cbranch_execnz .LBB1109_59
	s_branch .LBB1109_53
.LBB1109_60:
                                        ; implicit-def: $vgpr17
                                        ; implicit-def: $vgpr1_vgpr2_vgpr3_vgpr4_vgpr5_vgpr6_vgpr7_vgpr8_vgpr9_vgpr10_vgpr11_vgpr12_vgpr13_vgpr14_vgpr15_vgpr16
	s_and_b32 vcc_lo, exec_lo, s7
	s_cbranch_vccnz .LBB1109_66
	s_branch .LBB1109_75
.LBB1109_61:
	s_and_saveexec_b32 s9, s7
	s_cbranch_execz .LBB1109_63
; %bb.62:
	s_add_i32 s10, s25, 32
	s_mov_b32 s11, 0
	v_add_nc_u32_e32 v3, v2, v1
	v_mov_b32_e32 v4, 2
	s_lshl_b64 s[10:11], s[10:11], 3
	v_mov_b32_e32 v5, 0
	s_add_u32 s10, s22, s10
	s_addc_u32 s11, s23, s11
	global_store_dwordx2 v5, v[3:4], s[10:11]
	ds_write_b64 v5, v[1:2] offset:13312
.LBB1109_63:
	s_or_b32 exec_lo, exec_lo, s9
	s_and_b32 exec_lo, exec_lo, s0
; %bb.64:
	v_mov_b32_e32 v1, 0
	ds_write_b32 v1, v2 offset:28
.LBB1109_65:
	s_or_b32 exec_lo, exec_lo, s8
	v_mov_b32_e32 v12, 0
	s_waitcnt lgkmcnt(0)
	s_waitcnt_vscnt null, 0x0
	s_barrier
	buffer_gl0_inv
	v_cndmask_b32_e64 v2, v11, v10, s7
	ds_read_b32 v1, v12 offset:28
	s_waitcnt lgkmcnt(0)
	s_barrier
	buffer_gl0_inv
	v_cndmask_b32_e64 v2, v2, 0, s0
	ds_read_b64 v[16:17], v12 offset:13312
	v_add_nc_u32_e32 v1, v1, v2
	v_add_nc_u32_e32 v2, v1, v55
	;; [unrolled: 1-line block ×13, first 2 shown]
	s_branch .LBB1109_75
.LBB1109_66:
	v_mov_b32_dpp v1, v66 row_shr:1 row_mask:0xf bank_mask:0xf
	v_cndmask_b32_e64 v1, v1, 0, s6
	v_add_nc_u32_e32 v1, v1, v66
	v_mov_b32_dpp v2, v1 row_shr:2 row_mask:0xf bank_mask:0xf
	v_cndmask_b32_e64 v2, 0, v2, s5
	v_add_nc_u32_e32 v1, v1, v2
	;; [unrolled: 3-line block ×4, first 2 shown]
	ds_swizzle_b32 v2, v1 offset:swizzle(BROADCAST,32,15)
	s_waitcnt lgkmcnt(0)
	v_cndmask_b32_e64 v2, v2, 0, s2
	v_add_nc_u32_e32 v1, v1, v2
	s_and_saveexec_b32 s2, s1
; %bb.67:
	v_lshlrev_b32_e32 v2, 2, v65
	ds_write_b32 v2, v1
; %bb.68:
	s_or_b32 exec_lo, exec_lo, s2
	s_mov_b32 s1, exec_lo
	s_waitcnt lgkmcnt(0)
	s_barrier
	buffer_gl0_inv
	v_cmpx_gt_u32_e32 8, v0
	s_cbranch_execz .LBB1109_70
; %bb.69:
	ds_read_b32 v2, v44
	v_and_b32_e32 v3, 7, v64
	v_cmp_ne_u32_e32 vcc_lo, 0, v3
	s_waitcnt lgkmcnt(0)
	v_mov_b32_dpp v4, v2 row_shr:1 row_mask:0xf bank_mask:0xf
	v_cndmask_b32_e32 v4, 0, v4, vcc_lo
	v_cmp_lt_u32_e32 vcc_lo, 1, v3
	v_add_nc_u32_e32 v2, v4, v2
	v_mov_b32_dpp v4, v2 row_shr:2 row_mask:0xf bank_mask:0xf
	v_cndmask_b32_e32 v4, 0, v4, vcc_lo
	v_cmp_lt_u32_e32 vcc_lo, 3, v3
	v_add_nc_u32_e32 v2, v2, v4
	v_mov_b32_dpp v4, v2 row_shr:4 row_mask:0xf bank_mask:0xf
	v_cndmask_b32_e32 v3, 0, v4, vcc_lo
	v_add_nc_u32_e32 v2, v2, v3
	ds_write_b32 v44, v2
.LBB1109_70:
	s_or_b32 exec_lo, exec_lo, s1
	v_mov_b32_e32 v3, 0
	v_mov_b32_e32 v2, 0
	s_mov_b32 s1, exec_lo
	s_waitcnt lgkmcnt(0)
	s_barrier
	buffer_gl0_inv
	v_cmpx_lt_u32_e32 31, v0
; %bb.71:
	v_lshl_add_u32 v2, v65, 2, -4
	ds_read_b32 v2, v2
; %bb.72:
	s_or_b32 exec_lo, exec_lo, s1
	v_sub_co_u32 v4, vcc_lo, v64, 1
	s_waitcnt lgkmcnt(0)
	v_add_nc_u32_e32 v1, v2, v1
	ds_read_b32 v16, v3 offset:28
	v_cmp_gt_i32_e64 s1, 0, v4
	v_cndmask_b32_e64 v4, v4, v64, s1
	v_lshlrev_b32_e32 v4, 2, v4
	ds_bpermute_b32 v1, v4, v1
	s_and_saveexec_b32 s1, s0
	s_cbranch_execz .LBB1109_74
; %bb.73:
	v_mov_b32_e32 v3, 0
	v_mov_b32_e32 v17, 2
	s_waitcnt lgkmcnt(1)
	global_store_dwordx2 v3, v[16:17], s[22:23] offset:256
.LBB1109_74:
	s_or_b32 exec_lo, exec_lo, s1
	s_waitcnt lgkmcnt(0)
	v_cndmask_b32_e32 v1, v1, v2, vcc_lo
	v_mov_b32_e32 v17, 0
	s_waitcnt_vscnt null, 0x0
	s_barrier
	buffer_gl0_inv
	v_cndmask_b32_e64 v1, v1, 0, s0
	v_add_nc_u32_e32 v2, v1, v55
	v_add_nc_u32_e32 v3, v2, v56
	;; [unrolled: 1-line block ×12, first 2 shown]
.LBB1109_75:
	s_waitcnt lgkmcnt(0)
	v_add_nc_u32_e32 v47, v16, v47
	v_sub_nc_u32_e32 v1, v1, v17
	v_and_b32_e32 v56, 1, v52
	v_lshrrev_b32_e32 v55, 8, v52
	v_sub_nc_u32_e32 v2, v2, v17
	v_sub_nc_u32_e32 v3, v3, v17
	;; [unrolled: 1-line block ×3, first 2 shown]
	v_cmp_eq_u32_e32 vcc_lo, 1, v56
	v_and_b32_e32 v55, 1, v55
	v_mov_b32_e32 v58, 1
	v_sub_nc_u32_e32 v56, v47, v2
	v_sub_nc_u32_e32 v4, v4, v17
	v_cndmask_b32_e32 v1, v57, v1, vcc_lo
	v_sub_nc_u32_e32 v57, v47, v3
	v_and_b32_sdwa v52, v58, v52 dst_sel:DWORD dst_unused:UNUSED_PAD src0_sel:DWORD src1_sel:WORD_1
	v_add_nc_u32_e32 v56, 1, v56
	v_cmp_eq_u32_e32 vcc_lo, 1, v55
	v_lshlrev_b32_e32 v1, 2, v1
	v_and_b32_e32 v54, 1, v54
	v_sub_nc_u32_e32 v59, v47, v4
	v_add_nc_u32_e32 v57, 2, v57
	v_lshrrev_b32_e32 v15, 8, v50
	ds_write_b32 v1, v30
	v_cndmask_b32_e32 v1, v56, v2, vcc_lo
	v_cmp_eq_u32_e32 vcc_lo, 1, v52
	v_add_nc_u32_e32 v59, 3, v59
	v_lshrrev_b32_e32 v14, 8, v49
	v_lshlrev_b32_e32 v1, 2, v1
	v_cndmask_b32_e32 v2, v57, v3, vcc_lo
	v_cmp_eq_u32_e32 vcc_lo, 1, v54
	ds_write_b32 v1, v31
	v_lshlrev_b32_e32 v2, 2, v2
	v_cndmask_b32_e32 v3, v59, v4, vcc_lo
	v_sub_nc_u32_e32 v4, v5, v17
	v_sub_nc_u32_e32 v5, v6, v17
	v_lshlrev_b32_e32 v3, 2, v3
	v_sub_nc_u32_e32 v1, v47, v4
	v_sub_nc_u32_e32 v6, v47, v5
	ds_write_b32 v2, v28
	ds_write_b32 v3, v29
	v_and_b32_e32 v2, 1, v50
	v_add_nc_u32_e32 v1, 4, v1
	v_add_nc_u32_e32 v3, 5, v6
	v_sub_nc_u32_e32 v6, v7, v17
	v_and_b32_e32 v7, 1, v15
	v_cmp_eq_u32_e32 vcc_lo, 1, v2
	v_sub_nc_u32_e32 v2, v8, v17
	v_and_b32_e32 v8, 1, v53
	v_add_co_u32 v15, s1, v18, v17
	v_cndmask_b32_e32 v1, v1, v4, vcc_lo
	v_sub_nc_u32_e32 v4, v47, v6
	v_cmp_eq_u32_e32 vcc_lo, 1, v7
	v_and_b32_sdwa v7, v58, v50 dst_sel:DWORD dst_unused:UNUSED_PAD src0_sel:DWORD src1_sel:WORD_1
	v_lshlrev_b32_e32 v1, 2, v1
	v_add_nc_u32_e32 v4, 6, v4
	v_cndmask_b32_e32 v3, v3, v5, vcc_lo
	v_sub_nc_u32_e32 v5, v47, v2
	v_cmp_eq_u32_e32 vcc_lo, 1, v7
	v_sub_nc_u32_e32 v7, v13, v17
	v_lshlrev_b32_e32 v3, 2, v3
	v_add_nc_u32_e32 v5, 7, v5
	v_cndmask_b32_e32 v4, v4, v6, vcc_lo
	v_cmp_eq_u32_e32 vcc_lo, 1, v8
	v_sub_nc_u32_e32 v6, v9, v17
	ds_write_b32 v1, v26
	ds_write_b32 v3, v27
	v_lshlrev_b32_e32 v3, 2, v4
	v_cndmask_b32_e32 v2, v5, v2, vcc_lo
	v_sub_nc_u32_e32 v1, v47, v6
	v_and_b32_e32 v5, 1, v49
	v_sub_nc_u32_e32 v4, v10, v17
	v_and_b32_e32 v10, 1, v51
	v_lshlrev_b32_e32 v2, 2, v2
	v_add_nc_u32_e32 v1, 8, v1
	ds_write_b32 v3, v24
	ds_write_b32 v2, v25
	v_cmp_eq_u32_e32 vcc_lo, 1, v5
	v_sub_nc_u32_e32 v3, v11, v17
	v_sub_nc_u32_e32 v2, v47, v4
	;; [unrolled: 1-line block ×3, first 2 shown]
	v_and_b32_e32 v11, 1, v48
	v_cndmask_b32_e32 v1, v1, v6, vcc_lo
	v_and_b32_e32 v6, 1, v14
	v_sub_nc_u32_e32 v8, v47, v3
	v_add_nc_u32_e32 v2, 9, v2
	v_sub_nc_u32_e32 v9, v47, v5
	v_lshlrev_b32_e32 v1, 2, v1
	v_cmp_eq_u32_e32 vcc_lo, 1, v6
	v_add_nc_u32_e32 v6, 10, v8
	v_and_b32_sdwa v8, v58, v49 dst_sel:DWORD dst_unused:UNUSED_PAD src0_sel:DWORD src1_sel:WORD_1
	v_add_nc_u32_e32 v9, 11, v9
	v_add_co_ci_u32_e64 v17, null, 0, v19, s1
	v_cndmask_b32_e32 v2, v2, v4, vcc_lo
	v_cmp_eq_u32_e32 vcc_lo, 1, v8
	v_sub_nc_u32_e32 v4, v47, v7
	v_lshlrev_b32_e32 v2, 2, v2
	v_cndmask_b32_e32 v3, v6, v3, vcc_lo
	v_cmp_eq_u32_e32 vcc_lo, 1, v10
	v_add_nc_u32_e32 v4, 12, v4
	v_lshlrev_b32_e32 v3, 2, v3
	v_cndmask_b32_e32 v5, v9, v5, vcc_lo
	v_cmp_eq_u32_e32 vcc_lo, 1, v11
	v_lshlrev_b32_e32 v5, 2, v5
	v_cndmask_b32_e32 v4, v4, v7, vcc_lo
	v_cmp_ne_u32_e32 vcc_lo, 1, v45
	v_lshlrev_b32_e32 v4, 2, v4
	ds_write_b32 v1, v22
	ds_write_b32 v2, v23
	ds_write_b32 v3, v20
	ds_write_b32 v5, v21
	ds_write_b32 v4, v46
	s_waitcnt lgkmcnt(0)
	s_barrier
	buffer_gl0_inv
	ds_read2st64_b32 v[11:12], v44 offset1:4
	ds_read2st64_b32 v[9:10], v44 offset0:8 offset1:12
	ds_read2st64_b32 v[7:8], v44 offset0:16 offset1:20
	;; [unrolled: 1-line block ×5, first 2 shown]
	ds_read_b32 v20, v44 offset:12288
	s_cbranch_vccnz .LBB1109_132
; %bb.76:
	s_sub_u32 s1, s20, s24
	v_sub_co_u32 v13, vcc_lo, v15, s18
	s_subb_u32 s2, s21, 0
	v_add_co_u32 v18, s1, s1, v16
	v_subrev_co_ci_u32_e64 v14, null, s19, v17, vcc_lo
	v_add_co_ci_u32_e64 v19, null, s2, 0, s1
	v_add_co_u32 v18, vcc_lo, v18, v13
	s_mov_b32 s1, exec_lo
	v_add_co_ci_u32_e64 v19, null, v19, v14, vcc_lo
                                        ; implicit-def: $vgpr13_vgpr14
	v_cmpx_ge_u32_e64 v0, v16
	s_xor_b32 s1, exec_lo, s1
; %bb.77:
	v_not_b32_e32 v13, v0
	v_ashrrev_i32_e32 v14, 31, v13
	v_add_co_u32 v13, vcc_lo, v18, v13
	v_add_co_ci_u32_e64 v14, null, v19, v14, vcc_lo
; %bb.78:
	s_andn2_saveexec_b32 s1, s1
; %bb.79:
	v_add_co_u32 v13, vcc_lo, v15, v0
	v_add_co_ci_u32_e64 v14, null, 0, v17, vcc_lo
; %bb.80:
	s_or_b32 exec_lo, exec_lo, s1
	v_lshlrev_b64 v[13:14], 2, v[13:14]
	s_mov_b32 s1, exec_lo
	v_add_co_u32 v13, vcc_lo, s16, v13
	v_add_co_ci_u32_e64 v14, null, s17, v14, vcc_lo
	s_waitcnt lgkmcnt(6)
	global_store_dword v[13:14], v11, off
                                        ; implicit-def: $vgpr13_vgpr14
	v_cmpx_ge_u32_e64 v43, v16
	s_xor_b32 s1, exec_lo, s1
; %bb.81:
	v_xor_b32_e32 v13, 0xfffffeff, v0
	v_ashrrev_i32_e32 v14, 31, v13
	v_add_co_u32 v13, vcc_lo, v18, v13
	v_add_co_ci_u32_e64 v14, null, v19, v14, vcc_lo
; %bb.82:
	s_andn2_saveexec_b32 s1, s1
; %bb.83:
	v_add_co_u32 v13, vcc_lo, v15, v43
	v_add_co_ci_u32_e64 v14, null, 0, v17, vcc_lo
; %bb.84:
	s_or_b32 exec_lo, exec_lo, s1
	v_lshlrev_b64 v[13:14], 2, v[13:14]
	s_mov_b32 s1, exec_lo
	v_add_co_u32 v13, vcc_lo, s16, v13
	v_add_co_ci_u32_e64 v14, null, s17, v14, vcc_lo
	global_store_dword v[13:14], v12, off
                                        ; implicit-def: $vgpr13_vgpr14
	v_cmpx_ge_u32_e64 v42, v16
	s_xor_b32 s1, exec_lo, s1
; %bb.85:
	v_xor_b32_e32 v13, 0xfffffdff, v0
	v_ashrrev_i32_e32 v14, 31, v13
	v_add_co_u32 v13, vcc_lo, v18, v13
	v_add_co_ci_u32_e64 v14, null, v19, v14, vcc_lo
; %bb.86:
	s_andn2_saveexec_b32 s1, s1
; %bb.87:
	v_add_co_u32 v13, vcc_lo, v15, v42
	v_add_co_ci_u32_e64 v14, null, 0, v17, vcc_lo
; %bb.88:
	s_or_b32 exec_lo, exec_lo, s1
	v_lshlrev_b64 v[13:14], 2, v[13:14]
	s_mov_b32 s1, exec_lo
	v_add_co_u32 v13, vcc_lo, s16, v13
	v_add_co_ci_u32_e64 v14, null, s17, v14, vcc_lo
	s_waitcnt lgkmcnt(5)
	global_store_dword v[13:14], v9, off
                                        ; implicit-def: $vgpr13_vgpr14
	v_cmpx_ge_u32_e64 v41, v16
	s_xor_b32 s1, exec_lo, s1
; %bb.89:
	v_xor_b32_e32 v13, 0xfffffcff, v0
	v_ashrrev_i32_e32 v14, 31, v13
	v_add_co_u32 v13, vcc_lo, v18, v13
	v_add_co_ci_u32_e64 v14, null, v19, v14, vcc_lo
; %bb.90:
	s_andn2_saveexec_b32 s1, s1
; %bb.91:
	v_add_co_u32 v13, vcc_lo, v15, v41
	v_add_co_ci_u32_e64 v14, null, 0, v17, vcc_lo
; %bb.92:
	s_or_b32 exec_lo, exec_lo, s1
	v_lshlrev_b64 v[13:14], 2, v[13:14]
	s_mov_b32 s1, exec_lo
	v_add_co_u32 v13, vcc_lo, s16, v13
	v_add_co_ci_u32_e64 v14, null, s17, v14, vcc_lo
	global_store_dword v[13:14], v10, off
                                        ; implicit-def: $vgpr13_vgpr14
	v_cmpx_ge_u32_e64 v40, v16
	s_xor_b32 s1, exec_lo, s1
; %bb.93:
	v_xor_b32_e32 v13, 0xfffffbff, v0
	;; [unrolled: 41-line block ×6, first 2 shown]
	v_ashrrev_i32_e32 v14, 31, v13
	v_add_co_u32 v13, vcc_lo, v18, v13
	v_add_co_ci_u32_e64 v14, null, v19, v14, vcc_lo
; %bb.126:
	s_andn2_saveexec_b32 s1, s1
; %bb.127:
	v_add_co_u32 v13, vcc_lo, v15, v32
	v_add_co_ci_u32_e64 v14, null, 0, v17, vcc_lo
; %bb.128:
	s_or_b32 exec_lo, exec_lo, s1
	s_mov_b32 s1, -1
.LBB1109_129:
	s_and_saveexec_b32 s2, s1
	s_cbranch_execz .LBB1109_212
.LBB1109_130:
	s_waitcnt lgkmcnt(1)
	v_lshlrev_b64 v[0:1], 2, v[13:14]
	v_add_co_u32 v0, vcc_lo, s16, v0
	v_add_co_ci_u32_e64 v1, null, s17, v1, vcc_lo
	s_waitcnt lgkmcnt(0)
	global_store_dword v[0:1], v20, off
	s_or_b32 exec_lo, exec_lo, s2
	s_and_b32 s0, s0, s14
	s_and_saveexec_b32 s1, s0
	s_cbranch_execnz .LBB1109_213
.LBB1109_131:
	s_endpgm
.LBB1109_132:
	s_mov_b32 s1, 0
                                        ; implicit-def: $vgpr13_vgpr14
	s_cbranch_execz .LBB1109_129
; %bb.133:
	s_add_u32 s2, s18, s24
	s_addc_u32 s3, s19, 0
	s_sub_u32 s2, s20, s2
	s_subb_u32 s3, s21, s3
	v_add_co_u32 v13, s2, s2, v16
	v_add_co_ci_u32_e64 v14, null, s3, 0, s2
	s_mov_b32 s2, exec_lo
	v_add_co_u32 v18, vcc_lo, v13, v15
	v_add_co_ci_u32_e64 v19, null, v14, v17, vcc_lo
	v_cmpx_gt_u32_e64 s15, v0
	s_cbranch_execz .LBB1109_169
; %bb.134:
	s_mov_b32 s3, exec_lo
                                        ; implicit-def: $vgpr13_vgpr14
	v_cmpx_ge_u32_e64 v0, v16
	s_xor_b32 s3, exec_lo, s3
; %bb.135:
	v_not_b32_e32 v13, v0
	v_ashrrev_i32_e32 v14, 31, v13
	v_add_co_u32 v13, vcc_lo, v18, v13
	v_add_co_ci_u32_e64 v14, null, v19, v14, vcc_lo
; %bb.136:
	s_andn2_saveexec_b32 s3, s3
; %bb.137:
	v_add_co_u32 v13, vcc_lo, v15, v0
	v_add_co_ci_u32_e64 v14, null, 0, v17, vcc_lo
; %bb.138:
	s_or_b32 exec_lo, exec_lo, s3
	v_lshlrev_b64 v[13:14], 2, v[13:14]
	v_add_co_u32 v13, vcc_lo, s16, v13
	v_add_co_ci_u32_e64 v14, null, s17, v14, vcc_lo
	s_waitcnt lgkmcnt(6)
	global_store_dword v[13:14], v11, off
	s_or_b32 exec_lo, exec_lo, s2
	s_mov_b32 s2, exec_lo
	v_cmpx_gt_u32_e64 s15, v43
	s_cbranch_execnz .LBB1109_170
.LBB1109_139:
	s_or_b32 exec_lo, exec_lo, s2
	s_mov_b32 s2, exec_lo
	v_cmpx_gt_u32_e64 s15, v42
	s_cbranch_execz .LBB1109_175
.LBB1109_140:
	s_mov_b32 s3, exec_lo
                                        ; implicit-def: $vgpr11_vgpr12
	v_cmpx_ge_u32_e64 v42, v16
	s_xor_b32 s3, exec_lo, s3
	s_cbranch_execz .LBB1109_142
; %bb.141:
	s_waitcnt lgkmcnt(6)
	v_xor_b32_e32 v11, 0xfffffdff, v0
                                        ; implicit-def: $vgpr42
	v_ashrrev_i32_e32 v12, 31, v11
	v_add_co_u32 v11, vcc_lo, v18, v11
	v_add_co_ci_u32_e64 v12, null, v19, v12, vcc_lo
.LBB1109_142:
	s_andn2_saveexec_b32 s3, s3
	s_cbranch_execz .LBB1109_144
; %bb.143:
	s_waitcnt lgkmcnt(6)
	v_add_co_u32 v11, vcc_lo, v15, v42
	v_add_co_ci_u32_e64 v12, null, 0, v17, vcc_lo
.LBB1109_144:
	s_or_b32 exec_lo, exec_lo, s3
	s_waitcnt lgkmcnt(6)
	v_lshlrev_b64 v[11:12], 2, v[11:12]
	v_add_co_u32 v11, vcc_lo, s16, v11
	v_add_co_ci_u32_e64 v12, null, s17, v12, vcc_lo
	s_waitcnt lgkmcnt(5)
	global_store_dword v[11:12], v9, off
	s_or_b32 exec_lo, exec_lo, s2
	s_mov_b32 s2, exec_lo
	v_cmpx_gt_u32_e64 s15, v41
	s_cbranch_execnz .LBB1109_176
.LBB1109_145:
	s_or_b32 exec_lo, exec_lo, s2
	s_mov_b32 s2, exec_lo
	v_cmpx_gt_u32_e64 s15, v40
	s_cbranch_execz .LBB1109_181
.LBB1109_146:
	s_mov_b32 s3, exec_lo
                                        ; implicit-def: $vgpr9_vgpr10
	v_cmpx_ge_u32_e64 v40, v16
	s_xor_b32 s3, exec_lo, s3
	s_cbranch_execz .LBB1109_148
; %bb.147:
	s_waitcnt lgkmcnt(5)
	v_xor_b32_e32 v9, 0xfffffbff, v0
                                        ; implicit-def: $vgpr40
	v_ashrrev_i32_e32 v10, 31, v9
	v_add_co_u32 v9, vcc_lo, v18, v9
	v_add_co_ci_u32_e64 v10, null, v19, v10, vcc_lo
.LBB1109_148:
	s_andn2_saveexec_b32 s3, s3
	s_cbranch_execz .LBB1109_150
; %bb.149:
	s_waitcnt lgkmcnt(5)
	v_add_co_u32 v9, vcc_lo, v15, v40
	v_add_co_ci_u32_e64 v10, null, 0, v17, vcc_lo
.LBB1109_150:
	s_or_b32 exec_lo, exec_lo, s3
	s_waitcnt lgkmcnt(5)
	v_lshlrev_b64 v[9:10], 2, v[9:10]
	v_add_co_u32 v9, vcc_lo, s16, v9
	v_add_co_ci_u32_e64 v10, null, s17, v10, vcc_lo
	s_waitcnt lgkmcnt(4)
	global_store_dword v[9:10], v7, off
	s_or_b32 exec_lo, exec_lo, s2
	s_mov_b32 s2, exec_lo
	v_cmpx_gt_u32_e64 s15, v39
	s_cbranch_execnz .LBB1109_182
.LBB1109_151:
	s_or_b32 exec_lo, exec_lo, s2
	s_mov_b32 s2, exec_lo
	v_cmpx_gt_u32_e64 s15, v38
	s_cbranch_execz .LBB1109_187
.LBB1109_152:
	s_mov_b32 s3, exec_lo
                                        ; implicit-def: $vgpr7_vgpr8
	v_cmpx_ge_u32_e64 v38, v16
	s_xor_b32 s3, exec_lo, s3
	s_cbranch_execz .LBB1109_154
; %bb.153:
	s_waitcnt lgkmcnt(4)
	v_xor_b32_e32 v7, 0xfffff9ff, v0
                                        ; implicit-def: $vgpr38
	v_ashrrev_i32_e32 v8, 31, v7
	v_add_co_u32 v7, vcc_lo, v18, v7
	v_add_co_ci_u32_e64 v8, null, v19, v8, vcc_lo
.LBB1109_154:
	s_andn2_saveexec_b32 s3, s3
	s_cbranch_execz .LBB1109_156
; %bb.155:
	s_waitcnt lgkmcnt(4)
	v_add_co_u32 v7, vcc_lo, v15, v38
	v_add_co_ci_u32_e64 v8, null, 0, v17, vcc_lo
.LBB1109_156:
	s_or_b32 exec_lo, exec_lo, s3
	s_waitcnt lgkmcnt(4)
	v_lshlrev_b64 v[7:8], 2, v[7:8]
	v_add_co_u32 v7, vcc_lo, s16, v7
	v_add_co_ci_u32_e64 v8, null, s17, v8, vcc_lo
	s_waitcnt lgkmcnt(3)
	global_store_dword v[7:8], v5, off
	s_or_b32 exec_lo, exec_lo, s2
	s_mov_b32 s2, exec_lo
	v_cmpx_gt_u32_e64 s15, v37
	s_cbranch_execnz .LBB1109_188
.LBB1109_157:
	s_or_b32 exec_lo, exec_lo, s2
	s_mov_b32 s2, exec_lo
	v_cmpx_gt_u32_e64 s15, v36
	s_cbranch_execz .LBB1109_193
.LBB1109_158:
	s_mov_b32 s3, exec_lo
                                        ; implicit-def: $vgpr5_vgpr6
	v_cmpx_ge_u32_e64 v36, v16
	s_xor_b32 s3, exec_lo, s3
	s_cbranch_execz .LBB1109_160
; %bb.159:
	s_waitcnt lgkmcnt(3)
	v_xor_b32_e32 v5, 0xfffff7ff, v0
                                        ; implicit-def: $vgpr36
	v_ashrrev_i32_e32 v6, 31, v5
	v_add_co_u32 v5, vcc_lo, v18, v5
	v_add_co_ci_u32_e64 v6, null, v19, v6, vcc_lo
.LBB1109_160:
	s_andn2_saveexec_b32 s3, s3
	s_cbranch_execz .LBB1109_162
; %bb.161:
	s_waitcnt lgkmcnt(3)
	v_add_co_u32 v5, vcc_lo, v15, v36
	v_add_co_ci_u32_e64 v6, null, 0, v17, vcc_lo
.LBB1109_162:
	s_or_b32 exec_lo, exec_lo, s3
	s_waitcnt lgkmcnt(3)
	v_lshlrev_b64 v[5:6], 2, v[5:6]
	v_add_co_u32 v5, vcc_lo, s16, v5
	v_add_co_ci_u32_e64 v6, null, s17, v6, vcc_lo
	s_waitcnt lgkmcnt(2)
	global_store_dword v[5:6], v3, off
	s_or_b32 exec_lo, exec_lo, s2
	s_mov_b32 s2, exec_lo
	v_cmpx_gt_u32_e64 s15, v35
	s_cbranch_execnz .LBB1109_194
.LBB1109_163:
	s_or_b32 exec_lo, exec_lo, s2
	s_mov_b32 s2, exec_lo
	v_cmpx_gt_u32_e64 s15, v34
	s_cbranch_execz .LBB1109_199
.LBB1109_164:
	s_mov_b32 s3, exec_lo
                                        ; implicit-def: $vgpr3_vgpr4
	v_cmpx_ge_u32_e64 v34, v16
	s_xor_b32 s3, exec_lo, s3
	s_cbranch_execz .LBB1109_166
; %bb.165:
	s_waitcnt lgkmcnt(2)
	v_xor_b32_e32 v3, 0xfffff5ff, v0
                                        ; implicit-def: $vgpr34
	v_ashrrev_i32_e32 v4, 31, v3
	v_add_co_u32 v3, vcc_lo, v18, v3
	v_add_co_ci_u32_e64 v4, null, v19, v4, vcc_lo
.LBB1109_166:
	s_andn2_saveexec_b32 s3, s3
	s_cbranch_execz .LBB1109_168
; %bb.167:
	s_waitcnt lgkmcnt(2)
	v_add_co_u32 v3, vcc_lo, v15, v34
	v_add_co_ci_u32_e64 v4, null, 0, v17, vcc_lo
.LBB1109_168:
	s_or_b32 exec_lo, exec_lo, s3
	s_waitcnt lgkmcnt(2)
	v_lshlrev_b64 v[3:4], 2, v[3:4]
	v_add_co_u32 v3, vcc_lo, s16, v3
	v_add_co_ci_u32_e64 v4, null, s17, v4, vcc_lo
	s_waitcnt lgkmcnt(1)
	global_store_dword v[3:4], v1, off
	s_or_b32 exec_lo, exec_lo, s2
	s_mov_b32 s2, exec_lo
	v_cmpx_gt_u32_e64 s15, v33
	s_cbranch_execz .LBB1109_205
	s_branch .LBB1109_200
.LBB1109_169:
	s_or_b32 exec_lo, exec_lo, s2
	s_mov_b32 s2, exec_lo
	v_cmpx_gt_u32_e64 s15, v43
	s_cbranch_execz .LBB1109_139
.LBB1109_170:
	s_mov_b32 s3, exec_lo
                                        ; implicit-def: $vgpr13_vgpr14
	v_cmpx_ge_u32_e64 v43, v16
	s_xor_b32 s3, exec_lo, s3
	s_cbranch_execz .LBB1109_172
; %bb.171:
	s_waitcnt lgkmcnt(6)
	v_xor_b32_e32 v11, 0xfffffeff, v0
                                        ; implicit-def: $vgpr43
	v_ashrrev_i32_e32 v14, 31, v11
	v_add_co_u32 v13, vcc_lo, v18, v11
	v_add_co_ci_u32_e64 v14, null, v19, v14, vcc_lo
.LBB1109_172:
	s_andn2_saveexec_b32 s3, s3
; %bb.173:
	v_add_co_u32 v13, vcc_lo, v15, v43
	v_add_co_ci_u32_e64 v14, null, 0, v17, vcc_lo
; %bb.174:
	s_or_b32 exec_lo, exec_lo, s3
	v_lshlrev_b64 v[13:14], 2, v[13:14]
	v_add_co_u32 v13, vcc_lo, s16, v13
	v_add_co_ci_u32_e64 v14, null, s17, v14, vcc_lo
	s_waitcnt lgkmcnt(6)
	global_store_dword v[13:14], v12, off
	s_or_b32 exec_lo, exec_lo, s2
	s_mov_b32 s2, exec_lo
	v_cmpx_gt_u32_e64 s15, v42
	s_cbranch_execnz .LBB1109_140
.LBB1109_175:
	s_or_b32 exec_lo, exec_lo, s2
	s_mov_b32 s2, exec_lo
	v_cmpx_gt_u32_e64 s15, v41
	s_cbranch_execz .LBB1109_145
.LBB1109_176:
	s_mov_b32 s3, exec_lo
                                        ; implicit-def: $vgpr11_vgpr12
	v_cmpx_ge_u32_e64 v41, v16
	s_xor_b32 s3, exec_lo, s3
	s_cbranch_execz .LBB1109_178
; %bb.177:
	s_waitcnt lgkmcnt(5)
	v_xor_b32_e32 v9, 0xfffffcff, v0
                                        ; implicit-def: $vgpr41
	v_ashrrev_i32_e32 v12, 31, v9
	v_add_co_u32 v11, vcc_lo, v18, v9
	v_add_co_ci_u32_e64 v12, null, v19, v12, vcc_lo
.LBB1109_178:
	s_andn2_saveexec_b32 s3, s3
	s_cbranch_execz .LBB1109_180
; %bb.179:
	s_waitcnt lgkmcnt(6)
	v_add_co_u32 v11, vcc_lo, v15, v41
	v_add_co_ci_u32_e64 v12, null, 0, v17, vcc_lo
.LBB1109_180:
	s_or_b32 exec_lo, exec_lo, s3
	s_waitcnt lgkmcnt(6)
	v_lshlrev_b64 v[11:12], 2, v[11:12]
	v_add_co_u32 v11, vcc_lo, s16, v11
	v_add_co_ci_u32_e64 v12, null, s17, v12, vcc_lo
	s_waitcnt lgkmcnt(5)
	global_store_dword v[11:12], v10, off
	s_or_b32 exec_lo, exec_lo, s2
	s_mov_b32 s2, exec_lo
	v_cmpx_gt_u32_e64 s15, v40
	s_cbranch_execnz .LBB1109_146
.LBB1109_181:
	s_or_b32 exec_lo, exec_lo, s2
	s_mov_b32 s2, exec_lo
	v_cmpx_gt_u32_e64 s15, v39
	s_cbranch_execz .LBB1109_151
.LBB1109_182:
	s_mov_b32 s3, exec_lo
                                        ; implicit-def: $vgpr9_vgpr10
	v_cmpx_ge_u32_e64 v39, v16
	s_xor_b32 s3, exec_lo, s3
	s_cbranch_execz .LBB1109_184
; %bb.183:
	s_waitcnt lgkmcnt(4)
	v_xor_b32_e32 v7, 0xfffffaff, v0
                                        ; implicit-def: $vgpr39
	v_ashrrev_i32_e32 v10, 31, v7
	v_add_co_u32 v9, vcc_lo, v18, v7
	v_add_co_ci_u32_e64 v10, null, v19, v10, vcc_lo
.LBB1109_184:
	s_andn2_saveexec_b32 s3, s3
	s_cbranch_execz .LBB1109_186
; %bb.185:
	s_waitcnt lgkmcnt(5)
	v_add_co_u32 v9, vcc_lo, v15, v39
	v_add_co_ci_u32_e64 v10, null, 0, v17, vcc_lo
.LBB1109_186:
	s_or_b32 exec_lo, exec_lo, s3
	s_waitcnt lgkmcnt(5)
	v_lshlrev_b64 v[9:10], 2, v[9:10]
	v_add_co_u32 v9, vcc_lo, s16, v9
	v_add_co_ci_u32_e64 v10, null, s17, v10, vcc_lo
	s_waitcnt lgkmcnt(4)
	global_store_dword v[9:10], v8, off
	s_or_b32 exec_lo, exec_lo, s2
	s_mov_b32 s2, exec_lo
	v_cmpx_gt_u32_e64 s15, v38
	s_cbranch_execnz .LBB1109_152
.LBB1109_187:
	s_or_b32 exec_lo, exec_lo, s2
	s_mov_b32 s2, exec_lo
	v_cmpx_gt_u32_e64 s15, v37
	s_cbranch_execz .LBB1109_157
.LBB1109_188:
	s_mov_b32 s3, exec_lo
                                        ; implicit-def: $vgpr7_vgpr8
	v_cmpx_ge_u32_e64 v37, v16
	s_xor_b32 s3, exec_lo, s3
	s_cbranch_execz .LBB1109_190
; %bb.189:
	s_waitcnt lgkmcnt(3)
	v_xor_b32_e32 v5, 0xfffff8ff, v0
                                        ; implicit-def: $vgpr37
	v_ashrrev_i32_e32 v8, 31, v5
	v_add_co_u32 v7, vcc_lo, v18, v5
	v_add_co_ci_u32_e64 v8, null, v19, v8, vcc_lo
.LBB1109_190:
	s_andn2_saveexec_b32 s3, s3
	s_cbranch_execz .LBB1109_192
; %bb.191:
	s_waitcnt lgkmcnt(4)
	v_add_co_u32 v7, vcc_lo, v15, v37
	v_add_co_ci_u32_e64 v8, null, 0, v17, vcc_lo
.LBB1109_192:
	s_or_b32 exec_lo, exec_lo, s3
	s_waitcnt lgkmcnt(4)
	v_lshlrev_b64 v[7:8], 2, v[7:8]
	v_add_co_u32 v7, vcc_lo, s16, v7
	v_add_co_ci_u32_e64 v8, null, s17, v8, vcc_lo
	s_waitcnt lgkmcnt(3)
	global_store_dword v[7:8], v6, off
	s_or_b32 exec_lo, exec_lo, s2
	s_mov_b32 s2, exec_lo
	v_cmpx_gt_u32_e64 s15, v36
	s_cbranch_execnz .LBB1109_158
.LBB1109_193:
	s_or_b32 exec_lo, exec_lo, s2
	s_mov_b32 s2, exec_lo
	v_cmpx_gt_u32_e64 s15, v35
	s_cbranch_execz .LBB1109_163
.LBB1109_194:
	s_mov_b32 s3, exec_lo
                                        ; implicit-def: $vgpr5_vgpr6
	v_cmpx_ge_u32_e64 v35, v16
	s_xor_b32 s3, exec_lo, s3
	s_cbranch_execz .LBB1109_196
; %bb.195:
	s_waitcnt lgkmcnt(2)
	v_xor_b32_e32 v3, 0xfffff6ff, v0
                                        ; implicit-def: $vgpr35
	v_ashrrev_i32_e32 v6, 31, v3
	v_add_co_u32 v5, vcc_lo, v18, v3
	v_add_co_ci_u32_e64 v6, null, v19, v6, vcc_lo
.LBB1109_196:
	s_andn2_saveexec_b32 s3, s3
	s_cbranch_execz .LBB1109_198
; %bb.197:
	s_waitcnt lgkmcnt(3)
	v_add_co_u32 v5, vcc_lo, v15, v35
	v_add_co_ci_u32_e64 v6, null, 0, v17, vcc_lo
.LBB1109_198:
	s_or_b32 exec_lo, exec_lo, s3
	s_waitcnt lgkmcnt(3)
	v_lshlrev_b64 v[5:6], 2, v[5:6]
	v_add_co_u32 v5, vcc_lo, s16, v5
	v_add_co_ci_u32_e64 v6, null, s17, v6, vcc_lo
	s_waitcnt lgkmcnt(2)
	global_store_dword v[5:6], v4, off
	s_or_b32 exec_lo, exec_lo, s2
	s_mov_b32 s2, exec_lo
	v_cmpx_gt_u32_e64 s15, v34
	s_cbranch_execnz .LBB1109_164
.LBB1109_199:
	s_or_b32 exec_lo, exec_lo, s2
	s_mov_b32 s2, exec_lo
	v_cmpx_gt_u32_e64 s15, v33
	s_cbranch_execz .LBB1109_205
.LBB1109_200:
	s_mov_b32 s3, exec_lo
                                        ; implicit-def: $vgpr3_vgpr4
	v_cmpx_ge_u32_e64 v33, v16
	s_xor_b32 s3, exec_lo, s3
	s_cbranch_execz .LBB1109_202
; %bb.201:
	s_waitcnt lgkmcnt(1)
	v_xor_b32_e32 v1, 0xfffff4ff, v0
                                        ; implicit-def: $vgpr33
	v_ashrrev_i32_e32 v4, 31, v1
	v_add_co_u32 v3, vcc_lo, v18, v1
	v_add_co_ci_u32_e64 v4, null, v19, v4, vcc_lo
.LBB1109_202:
	s_andn2_saveexec_b32 s3, s3
	s_cbranch_execz .LBB1109_204
; %bb.203:
	s_waitcnt lgkmcnt(2)
	v_add_co_u32 v3, vcc_lo, v15, v33
	v_add_co_ci_u32_e64 v4, null, 0, v17, vcc_lo
.LBB1109_204:
	s_or_b32 exec_lo, exec_lo, s3
	s_waitcnt lgkmcnt(2)
	v_lshlrev_b64 v[3:4], 2, v[3:4]
	v_add_co_u32 v3, vcc_lo, s16, v3
	v_add_co_ci_u32_e64 v4, null, s17, v4, vcc_lo
	s_waitcnt lgkmcnt(1)
	global_store_dword v[3:4], v2, off
.LBB1109_205:
	s_or_b32 exec_lo, exec_lo, s2
	s_mov_b32 s2, exec_lo
                                        ; implicit-def: $vgpr13_vgpr14
	v_cmpx_gt_u32_e64 s15, v32
	s_cbranch_execz .LBB1109_211
; %bb.206:
	s_mov_b32 s3, exec_lo
                                        ; implicit-def: $vgpr13_vgpr14
	v_cmpx_ge_u32_e64 v32, v16
	s_xor_b32 s3, exec_lo, s3
	s_cbranch_execz .LBB1109_208
; %bb.207:
	v_xor_b32_e32 v0, 0xfffff3ff, v0
                                        ; implicit-def: $vgpr32
	s_waitcnt lgkmcnt(1)
	v_ashrrev_i32_e32 v1, 31, v0
	v_add_co_u32 v13, vcc_lo, v18, v0
	v_add_co_ci_u32_e64 v14, null, v19, v1, vcc_lo
.LBB1109_208:
	s_andn2_saveexec_b32 s3, s3
; %bb.209:
	v_add_co_u32 v13, vcc_lo, v15, v32
	v_add_co_ci_u32_e64 v14, null, 0, v17, vcc_lo
; %bb.210:
	s_or_b32 exec_lo, exec_lo, s3
	s_or_b32 s1, s1, exec_lo
.LBB1109_211:
	s_or_b32 exec_lo, exec_lo, s2
	s_and_saveexec_b32 s2, s1
	s_cbranch_execnz .LBB1109_130
.LBB1109_212:
	s_or_b32 exec_lo, exec_lo, s2
	s_and_b32 s0, s0, s14
	s_and_saveexec_b32 s1, s0
	s_cbranch_execz .LBB1109_131
.LBB1109_213:
	v_add_co_u32 v0, vcc_lo, v15, v16
	s_waitcnt lgkmcnt(1)
	v_mov_b32_e32 v2, 0
	v_add_co_ci_u32_e64 v1, null, 0, v17, vcc_lo
	global_store_dwordx2 v2, v[0:1], s[12:13]
	s_endpgm
	.section	.rodata,"a",@progbits
	.p2align	6, 0x0
	.amdhsa_kernel _ZN7rocprim17ROCPRIM_400000_NS6detail17trampoline_kernelINS0_13select_configILj256ELj13ELNS0_17block_load_methodE3ELS4_3ELS4_3ELNS0_20block_scan_algorithmE0ELj4294967295EEENS1_25partition_config_selectorILNS1_17partition_subalgoE3EjNS0_10empty_typeEbEEZZNS1_14partition_implILS8_3ELb0ES6_jNS0_17counting_iteratorIjlEEPS9_SE_NS0_5tupleIJPjSE_EEENSF_IJSE_SE_EEES9_SG_JZNS1_25segmented_radix_sort_implINS0_14default_configELb1EPKdPdPKlPlN2at6native12_GLOBAL__N_18offset_tEEE10hipError_tPvRmT1_PNSt15iterator_traitsISY_E10value_typeET2_T3_PNSZ_IS14_E10value_typeET4_jRbjT5_S1A_jjP12ihipStream_tbEUljE_EEESV_SW_SX_S14_S18_S1A_T6_T7_T9_mT8_S1C_bDpT10_ENKUlT_T0_E_clISt17integral_constantIbLb0EES1O_IbLb1EEEEDaS1K_S1L_EUlS1K_E_NS1_11comp_targetILNS1_3genE8ELNS1_11target_archE1030ELNS1_3gpuE2ELNS1_3repE0EEENS1_30default_config_static_selectorELNS0_4arch9wavefront6targetE0EEEvSY_
		.amdhsa_group_segment_fixed_size 13320
		.amdhsa_private_segment_fixed_size 0
		.amdhsa_kernarg_size 152
		.amdhsa_user_sgpr_count 6
		.amdhsa_user_sgpr_private_segment_buffer 1
		.amdhsa_user_sgpr_dispatch_ptr 0
		.amdhsa_user_sgpr_queue_ptr 0
		.amdhsa_user_sgpr_kernarg_segment_ptr 1
		.amdhsa_user_sgpr_dispatch_id 0
		.amdhsa_user_sgpr_flat_scratch_init 0
		.amdhsa_user_sgpr_private_segment_size 0
		.amdhsa_wavefront_size32 1
		.amdhsa_uses_dynamic_stack 0
		.amdhsa_system_sgpr_private_segment_wavefront_offset 0
		.amdhsa_system_sgpr_workgroup_id_x 1
		.amdhsa_system_sgpr_workgroup_id_y 0
		.amdhsa_system_sgpr_workgroup_id_z 0
		.amdhsa_system_sgpr_workgroup_info 0
		.amdhsa_system_vgpr_workitem_id 0
		.amdhsa_next_free_vgpr 71
		.amdhsa_next_free_sgpr 26
		.amdhsa_reserve_vcc 1
		.amdhsa_reserve_flat_scratch 0
		.amdhsa_float_round_mode_32 0
		.amdhsa_float_round_mode_16_64 0
		.amdhsa_float_denorm_mode_32 3
		.amdhsa_float_denorm_mode_16_64 3
		.amdhsa_dx10_clamp 1
		.amdhsa_ieee_mode 1
		.amdhsa_fp16_overflow 0
		.amdhsa_workgroup_processor_mode 1
		.amdhsa_memory_ordered 1
		.amdhsa_forward_progress 1
		.amdhsa_shared_vgpr_count 0
		.amdhsa_exception_fp_ieee_invalid_op 0
		.amdhsa_exception_fp_denorm_src 0
		.amdhsa_exception_fp_ieee_div_zero 0
		.amdhsa_exception_fp_ieee_overflow 0
		.amdhsa_exception_fp_ieee_underflow 0
		.amdhsa_exception_fp_ieee_inexact 0
		.amdhsa_exception_int_div_zero 0
	.end_amdhsa_kernel
	.section	.text._ZN7rocprim17ROCPRIM_400000_NS6detail17trampoline_kernelINS0_13select_configILj256ELj13ELNS0_17block_load_methodE3ELS4_3ELS4_3ELNS0_20block_scan_algorithmE0ELj4294967295EEENS1_25partition_config_selectorILNS1_17partition_subalgoE3EjNS0_10empty_typeEbEEZZNS1_14partition_implILS8_3ELb0ES6_jNS0_17counting_iteratorIjlEEPS9_SE_NS0_5tupleIJPjSE_EEENSF_IJSE_SE_EEES9_SG_JZNS1_25segmented_radix_sort_implINS0_14default_configELb1EPKdPdPKlPlN2at6native12_GLOBAL__N_18offset_tEEE10hipError_tPvRmT1_PNSt15iterator_traitsISY_E10value_typeET2_T3_PNSZ_IS14_E10value_typeET4_jRbjT5_S1A_jjP12ihipStream_tbEUljE_EEESV_SW_SX_S14_S18_S1A_T6_T7_T9_mT8_S1C_bDpT10_ENKUlT_T0_E_clISt17integral_constantIbLb0EES1O_IbLb1EEEEDaS1K_S1L_EUlS1K_E_NS1_11comp_targetILNS1_3genE8ELNS1_11target_archE1030ELNS1_3gpuE2ELNS1_3repE0EEENS1_30default_config_static_selectorELNS0_4arch9wavefront6targetE0EEEvSY_,"axG",@progbits,_ZN7rocprim17ROCPRIM_400000_NS6detail17trampoline_kernelINS0_13select_configILj256ELj13ELNS0_17block_load_methodE3ELS4_3ELS4_3ELNS0_20block_scan_algorithmE0ELj4294967295EEENS1_25partition_config_selectorILNS1_17partition_subalgoE3EjNS0_10empty_typeEbEEZZNS1_14partition_implILS8_3ELb0ES6_jNS0_17counting_iteratorIjlEEPS9_SE_NS0_5tupleIJPjSE_EEENSF_IJSE_SE_EEES9_SG_JZNS1_25segmented_radix_sort_implINS0_14default_configELb1EPKdPdPKlPlN2at6native12_GLOBAL__N_18offset_tEEE10hipError_tPvRmT1_PNSt15iterator_traitsISY_E10value_typeET2_T3_PNSZ_IS14_E10value_typeET4_jRbjT5_S1A_jjP12ihipStream_tbEUljE_EEESV_SW_SX_S14_S18_S1A_T6_T7_T9_mT8_S1C_bDpT10_ENKUlT_T0_E_clISt17integral_constantIbLb0EES1O_IbLb1EEEEDaS1K_S1L_EUlS1K_E_NS1_11comp_targetILNS1_3genE8ELNS1_11target_archE1030ELNS1_3gpuE2ELNS1_3repE0EEENS1_30default_config_static_selectorELNS0_4arch9wavefront6targetE0EEEvSY_,comdat
.Lfunc_end1109:
	.size	_ZN7rocprim17ROCPRIM_400000_NS6detail17trampoline_kernelINS0_13select_configILj256ELj13ELNS0_17block_load_methodE3ELS4_3ELS4_3ELNS0_20block_scan_algorithmE0ELj4294967295EEENS1_25partition_config_selectorILNS1_17partition_subalgoE3EjNS0_10empty_typeEbEEZZNS1_14partition_implILS8_3ELb0ES6_jNS0_17counting_iteratorIjlEEPS9_SE_NS0_5tupleIJPjSE_EEENSF_IJSE_SE_EEES9_SG_JZNS1_25segmented_radix_sort_implINS0_14default_configELb1EPKdPdPKlPlN2at6native12_GLOBAL__N_18offset_tEEE10hipError_tPvRmT1_PNSt15iterator_traitsISY_E10value_typeET2_T3_PNSZ_IS14_E10value_typeET4_jRbjT5_S1A_jjP12ihipStream_tbEUljE_EEESV_SW_SX_S14_S18_S1A_T6_T7_T9_mT8_S1C_bDpT10_ENKUlT_T0_E_clISt17integral_constantIbLb0EES1O_IbLb1EEEEDaS1K_S1L_EUlS1K_E_NS1_11comp_targetILNS1_3genE8ELNS1_11target_archE1030ELNS1_3gpuE2ELNS1_3repE0EEENS1_30default_config_static_selectorELNS0_4arch9wavefront6targetE0EEEvSY_, .Lfunc_end1109-_ZN7rocprim17ROCPRIM_400000_NS6detail17trampoline_kernelINS0_13select_configILj256ELj13ELNS0_17block_load_methodE3ELS4_3ELS4_3ELNS0_20block_scan_algorithmE0ELj4294967295EEENS1_25partition_config_selectorILNS1_17partition_subalgoE3EjNS0_10empty_typeEbEEZZNS1_14partition_implILS8_3ELb0ES6_jNS0_17counting_iteratorIjlEEPS9_SE_NS0_5tupleIJPjSE_EEENSF_IJSE_SE_EEES9_SG_JZNS1_25segmented_radix_sort_implINS0_14default_configELb1EPKdPdPKlPlN2at6native12_GLOBAL__N_18offset_tEEE10hipError_tPvRmT1_PNSt15iterator_traitsISY_E10value_typeET2_T3_PNSZ_IS14_E10value_typeET4_jRbjT5_S1A_jjP12ihipStream_tbEUljE_EEESV_SW_SX_S14_S18_S1A_T6_T7_T9_mT8_S1C_bDpT10_ENKUlT_T0_E_clISt17integral_constantIbLb0EES1O_IbLb1EEEEDaS1K_S1L_EUlS1K_E_NS1_11comp_targetILNS1_3genE8ELNS1_11target_archE1030ELNS1_3gpuE2ELNS1_3repE0EEENS1_30default_config_static_selectorELNS0_4arch9wavefront6targetE0EEEvSY_
                                        ; -- End function
	.set _ZN7rocprim17ROCPRIM_400000_NS6detail17trampoline_kernelINS0_13select_configILj256ELj13ELNS0_17block_load_methodE3ELS4_3ELS4_3ELNS0_20block_scan_algorithmE0ELj4294967295EEENS1_25partition_config_selectorILNS1_17partition_subalgoE3EjNS0_10empty_typeEbEEZZNS1_14partition_implILS8_3ELb0ES6_jNS0_17counting_iteratorIjlEEPS9_SE_NS0_5tupleIJPjSE_EEENSF_IJSE_SE_EEES9_SG_JZNS1_25segmented_radix_sort_implINS0_14default_configELb1EPKdPdPKlPlN2at6native12_GLOBAL__N_18offset_tEEE10hipError_tPvRmT1_PNSt15iterator_traitsISY_E10value_typeET2_T3_PNSZ_IS14_E10value_typeET4_jRbjT5_S1A_jjP12ihipStream_tbEUljE_EEESV_SW_SX_S14_S18_S1A_T6_T7_T9_mT8_S1C_bDpT10_ENKUlT_T0_E_clISt17integral_constantIbLb0EES1O_IbLb1EEEEDaS1K_S1L_EUlS1K_E_NS1_11comp_targetILNS1_3genE8ELNS1_11target_archE1030ELNS1_3gpuE2ELNS1_3repE0EEENS1_30default_config_static_selectorELNS0_4arch9wavefront6targetE0EEEvSY_.num_vgpr, 71
	.set _ZN7rocprim17ROCPRIM_400000_NS6detail17trampoline_kernelINS0_13select_configILj256ELj13ELNS0_17block_load_methodE3ELS4_3ELS4_3ELNS0_20block_scan_algorithmE0ELj4294967295EEENS1_25partition_config_selectorILNS1_17partition_subalgoE3EjNS0_10empty_typeEbEEZZNS1_14partition_implILS8_3ELb0ES6_jNS0_17counting_iteratorIjlEEPS9_SE_NS0_5tupleIJPjSE_EEENSF_IJSE_SE_EEES9_SG_JZNS1_25segmented_radix_sort_implINS0_14default_configELb1EPKdPdPKlPlN2at6native12_GLOBAL__N_18offset_tEEE10hipError_tPvRmT1_PNSt15iterator_traitsISY_E10value_typeET2_T3_PNSZ_IS14_E10value_typeET4_jRbjT5_S1A_jjP12ihipStream_tbEUljE_EEESV_SW_SX_S14_S18_S1A_T6_T7_T9_mT8_S1C_bDpT10_ENKUlT_T0_E_clISt17integral_constantIbLb0EES1O_IbLb1EEEEDaS1K_S1L_EUlS1K_E_NS1_11comp_targetILNS1_3genE8ELNS1_11target_archE1030ELNS1_3gpuE2ELNS1_3repE0EEENS1_30default_config_static_selectorELNS0_4arch9wavefront6targetE0EEEvSY_.num_agpr, 0
	.set _ZN7rocprim17ROCPRIM_400000_NS6detail17trampoline_kernelINS0_13select_configILj256ELj13ELNS0_17block_load_methodE3ELS4_3ELS4_3ELNS0_20block_scan_algorithmE0ELj4294967295EEENS1_25partition_config_selectorILNS1_17partition_subalgoE3EjNS0_10empty_typeEbEEZZNS1_14partition_implILS8_3ELb0ES6_jNS0_17counting_iteratorIjlEEPS9_SE_NS0_5tupleIJPjSE_EEENSF_IJSE_SE_EEES9_SG_JZNS1_25segmented_radix_sort_implINS0_14default_configELb1EPKdPdPKlPlN2at6native12_GLOBAL__N_18offset_tEEE10hipError_tPvRmT1_PNSt15iterator_traitsISY_E10value_typeET2_T3_PNSZ_IS14_E10value_typeET4_jRbjT5_S1A_jjP12ihipStream_tbEUljE_EEESV_SW_SX_S14_S18_S1A_T6_T7_T9_mT8_S1C_bDpT10_ENKUlT_T0_E_clISt17integral_constantIbLb0EES1O_IbLb1EEEEDaS1K_S1L_EUlS1K_E_NS1_11comp_targetILNS1_3genE8ELNS1_11target_archE1030ELNS1_3gpuE2ELNS1_3repE0EEENS1_30default_config_static_selectorELNS0_4arch9wavefront6targetE0EEEvSY_.numbered_sgpr, 26
	.set _ZN7rocprim17ROCPRIM_400000_NS6detail17trampoline_kernelINS0_13select_configILj256ELj13ELNS0_17block_load_methodE3ELS4_3ELS4_3ELNS0_20block_scan_algorithmE0ELj4294967295EEENS1_25partition_config_selectorILNS1_17partition_subalgoE3EjNS0_10empty_typeEbEEZZNS1_14partition_implILS8_3ELb0ES6_jNS0_17counting_iteratorIjlEEPS9_SE_NS0_5tupleIJPjSE_EEENSF_IJSE_SE_EEES9_SG_JZNS1_25segmented_radix_sort_implINS0_14default_configELb1EPKdPdPKlPlN2at6native12_GLOBAL__N_18offset_tEEE10hipError_tPvRmT1_PNSt15iterator_traitsISY_E10value_typeET2_T3_PNSZ_IS14_E10value_typeET4_jRbjT5_S1A_jjP12ihipStream_tbEUljE_EEESV_SW_SX_S14_S18_S1A_T6_T7_T9_mT8_S1C_bDpT10_ENKUlT_T0_E_clISt17integral_constantIbLb0EES1O_IbLb1EEEEDaS1K_S1L_EUlS1K_E_NS1_11comp_targetILNS1_3genE8ELNS1_11target_archE1030ELNS1_3gpuE2ELNS1_3repE0EEENS1_30default_config_static_selectorELNS0_4arch9wavefront6targetE0EEEvSY_.num_named_barrier, 0
	.set _ZN7rocprim17ROCPRIM_400000_NS6detail17trampoline_kernelINS0_13select_configILj256ELj13ELNS0_17block_load_methodE3ELS4_3ELS4_3ELNS0_20block_scan_algorithmE0ELj4294967295EEENS1_25partition_config_selectorILNS1_17partition_subalgoE3EjNS0_10empty_typeEbEEZZNS1_14partition_implILS8_3ELb0ES6_jNS0_17counting_iteratorIjlEEPS9_SE_NS0_5tupleIJPjSE_EEENSF_IJSE_SE_EEES9_SG_JZNS1_25segmented_radix_sort_implINS0_14default_configELb1EPKdPdPKlPlN2at6native12_GLOBAL__N_18offset_tEEE10hipError_tPvRmT1_PNSt15iterator_traitsISY_E10value_typeET2_T3_PNSZ_IS14_E10value_typeET4_jRbjT5_S1A_jjP12ihipStream_tbEUljE_EEESV_SW_SX_S14_S18_S1A_T6_T7_T9_mT8_S1C_bDpT10_ENKUlT_T0_E_clISt17integral_constantIbLb0EES1O_IbLb1EEEEDaS1K_S1L_EUlS1K_E_NS1_11comp_targetILNS1_3genE8ELNS1_11target_archE1030ELNS1_3gpuE2ELNS1_3repE0EEENS1_30default_config_static_selectorELNS0_4arch9wavefront6targetE0EEEvSY_.private_seg_size, 0
	.set _ZN7rocprim17ROCPRIM_400000_NS6detail17trampoline_kernelINS0_13select_configILj256ELj13ELNS0_17block_load_methodE3ELS4_3ELS4_3ELNS0_20block_scan_algorithmE0ELj4294967295EEENS1_25partition_config_selectorILNS1_17partition_subalgoE3EjNS0_10empty_typeEbEEZZNS1_14partition_implILS8_3ELb0ES6_jNS0_17counting_iteratorIjlEEPS9_SE_NS0_5tupleIJPjSE_EEENSF_IJSE_SE_EEES9_SG_JZNS1_25segmented_radix_sort_implINS0_14default_configELb1EPKdPdPKlPlN2at6native12_GLOBAL__N_18offset_tEEE10hipError_tPvRmT1_PNSt15iterator_traitsISY_E10value_typeET2_T3_PNSZ_IS14_E10value_typeET4_jRbjT5_S1A_jjP12ihipStream_tbEUljE_EEESV_SW_SX_S14_S18_S1A_T6_T7_T9_mT8_S1C_bDpT10_ENKUlT_T0_E_clISt17integral_constantIbLb0EES1O_IbLb1EEEEDaS1K_S1L_EUlS1K_E_NS1_11comp_targetILNS1_3genE8ELNS1_11target_archE1030ELNS1_3gpuE2ELNS1_3repE0EEENS1_30default_config_static_selectorELNS0_4arch9wavefront6targetE0EEEvSY_.uses_vcc, 1
	.set _ZN7rocprim17ROCPRIM_400000_NS6detail17trampoline_kernelINS0_13select_configILj256ELj13ELNS0_17block_load_methodE3ELS4_3ELS4_3ELNS0_20block_scan_algorithmE0ELj4294967295EEENS1_25partition_config_selectorILNS1_17partition_subalgoE3EjNS0_10empty_typeEbEEZZNS1_14partition_implILS8_3ELb0ES6_jNS0_17counting_iteratorIjlEEPS9_SE_NS0_5tupleIJPjSE_EEENSF_IJSE_SE_EEES9_SG_JZNS1_25segmented_radix_sort_implINS0_14default_configELb1EPKdPdPKlPlN2at6native12_GLOBAL__N_18offset_tEEE10hipError_tPvRmT1_PNSt15iterator_traitsISY_E10value_typeET2_T3_PNSZ_IS14_E10value_typeET4_jRbjT5_S1A_jjP12ihipStream_tbEUljE_EEESV_SW_SX_S14_S18_S1A_T6_T7_T9_mT8_S1C_bDpT10_ENKUlT_T0_E_clISt17integral_constantIbLb0EES1O_IbLb1EEEEDaS1K_S1L_EUlS1K_E_NS1_11comp_targetILNS1_3genE8ELNS1_11target_archE1030ELNS1_3gpuE2ELNS1_3repE0EEENS1_30default_config_static_selectorELNS0_4arch9wavefront6targetE0EEEvSY_.uses_flat_scratch, 0
	.set _ZN7rocprim17ROCPRIM_400000_NS6detail17trampoline_kernelINS0_13select_configILj256ELj13ELNS0_17block_load_methodE3ELS4_3ELS4_3ELNS0_20block_scan_algorithmE0ELj4294967295EEENS1_25partition_config_selectorILNS1_17partition_subalgoE3EjNS0_10empty_typeEbEEZZNS1_14partition_implILS8_3ELb0ES6_jNS0_17counting_iteratorIjlEEPS9_SE_NS0_5tupleIJPjSE_EEENSF_IJSE_SE_EEES9_SG_JZNS1_25segmented_radix_sort_implINS0_14default_configELb1EPKdPdPKlPlN2at6native12_GLOBAL__N_18offset_tEEE10hipError_tPvRmT1_PNSt15iterator_traitsISY_E10value_typeET2_T3_PNSZ_IS14_E10value_typeET4_jRbjT5_S1A_jjP12ihipStream_tbEUljE_EEESV_SW_SX_S14_S18_S1A_T6_T7_T9_mT8_S1C_bDpT10_ENKUlT_T0_E_clISt17integral_constantIbLb0EES1O_IbLb1EEEEDaS1K_S1L_EUlS1K_E_NS1_11comp_targetILNS1_3genE8ELNS1_11target_archE1030ELNS1_3gpuE2ELNS1_3repE0EEENS1_30default_config_static_selectorELNS0_4arch9wavefront6targetE0EEEvSY_.has_dyn_sized_stack, 0
	.set _ZN7rocprim17ROCPRIM_400000_NS6detail17trampoline_kernelINS0_13select_configILj256ELj13ELNS0_17block_load_methodE3ELS4_3ELS4_3ELNS0_20block_scan_algorithmE0ELj4294967295EEENS1_25partition_config_selectorILNS1_17partition_subalgoE3EjNS0_10empty_typeEbEEZZNS1_14partition_implILS8_3ELb0ES6_jNS0_17counting_iteratorIjlEEPS9_SE_NS0_5tupleIJPjSE_EEENSF_IJSE_SE_EEES9_SG_JZNS1_25segmented_radix_sort_implINS0_14default_configELb1EPKdPdPKlPlN2at6native12_GLOBAL__N_18offset_tEEE10hipError_tPvRmT1_PNSt15iterator_traitsISY_E10value_typeET2_T3_PNSZ_IS14_E10value_typeET4_jRbjT5_S1A_jjP12ihipStream_tbEUljE_EEESV_SW_SX_S14_S18_S1A_T6_T7_T9_mT8_S1C_bDpT10_ENKUlT_T0_E_clISt17integral_constantIbLb0EES1O_IbLb1EEEEDaS1K_S1L_EUlS1K_E_NS1_11comp_targetILNS1_3genE8ELNS1_11target_archE1030ELNS1_3gpuE2ELNS1_3repE0EEENS1_30default_config_static_selectorELNS0_4arch9wavefront6targetE0EEEvSY_.has_recursion, 0
	.set _ZN7rocprim17ROCPRIM_400000_NS6detail17trampoline_kernelINS0_13select_configILj256ELj13ELNS0_17block_load_methodE3ELS4_3ELS4_3ELNS0_20block_scan_algorithmE0ELj4294967295EEENS1_25partition_config_selectorILNS1_17partition_subalgoE3EjNS0_10empty_typeEbEEZZNS1_14partition_implILS8_3ELb0ES6_jNS0_17counting_iteratorIjlEEPS9_SE_NS0_5tupleIJPjSE_EEENSF_IJSE_SE_EEES9_SG_JZNS1_25segmented_radix_sort_implINS0_14default_configELb1EPKdPdPKlPlN2at6native12_GLOBAL__N_18offset_tEEE10hipError_tPvRmT1_PNSt15iterator_traitsISY_E10value_typeET2_T3_PNSZ_IS14_E10value_typeET4_jRbjT5_S1A_jjP12ihipStream_tbEUljE_EEESV_SW_SX_S14_S18_S1A_T6_T7_T9_mT8_S1C_bDpT10_ENKUlT_T0_E_clISt17integral_constantIbLb0EES1O_IbLb1EEEEDaS1K_S1L_EUlS1K_E_NS1_11comp_targetILNS1_3genE8ELNS1_11target_archE1030ELNS1_3gpuE2ELNS1_3repE0EEENS1_30default_config_static_selectorELNS0_4arch9wavefront6targetE0EEEvSY_.has_indirect_call, 0
	.section	.AMDGPU.csdata,"",@progbits
; Kernel info:
; codeLenInByte = 8704
; TotalNumSgprs: 28
; NumVgprs: 71
; ScratchSize: 0
; MemoryBound: 0
; FloatMode: 240
; IeeeMode: 1
; LDSByteSize: 13320 bytes/workgroup (compile time only)
; SGPRBlocks: 0
; VGPRBlocks: 8
; NumSGPRsForWavesPerEU: 28
; NumVGPRsForWavesPerEU: 71
; Occupancy: 12
; WaveLimiterHint : 0
; COMPUTE_PGM_RSRC2:SCRATCH_EN: 0
; COMPUTE_PGM_RSRC2:USER_SGPR: 6
; COMPUTE_PGM_RSRC2:TRAP_HANDLER: 0
; COMPUTE_PGM_RSRC2:TGID_X_EN: 1
; COMPUTE_PGM_RSRC2:TGID_Y_EN: 0
; COMPUTE_PGM_RSRC2:TGID_Z_EN: 0
; COMPUTE_PGM_RSRC2:TIDIG_COMP_CNT: 0
	.section	.text._ZN7rocprim17ROCPRIM_400000_NS6detail17trampoline_kernelINS0_14default_configENS1_36segmented_radix_sort_config_selectorIdlEEZNS1_25segmented_radix_sort_implIS3_Lb1EPKdPdPKlPlN2at6native12_GLOBAL__N_18offset_tEEE10hipError_tPvRmT1_PNSt15iterator_traitsISK_E10value_typeET2_T3_PNSL_ISQ_E10value_typeET4_jRbjT5_SW_jjP12ihipStream_tbEUlT_E_NS1_11comp_targetILNS1_3genE0ELNS1_11target_archE4294967295ELNS1_3gpuE0ELNS1_3repE0EEENS1_30default_config_static_selectorELNS0_4arch9wavefront6targetE0EEEvSK_,"axG",@progbits,_ZN7rocprim17ROCPRIM_400000_NS6detail17trampoline_kernelINS0_14default_configENS1_36segmented_radix_sort_config_selectorIdlEEZNS1_25segmented_radix_sort_implIS3_Lb1EPKdPdPKlPlN2at6native12_GLOBAL__N_18offset_tEEE10hipError_tPvRmT1_PNSt15iterator_traitsISK_E10value_typeET2_T3_PNSL_ISQ_E10value_typeET4_jRbjT5_SW_jjP12ihipStream_tbEUlT_E_NS1_11comp_targetILNS1_3genE0ELNS1_11target_archE4294967295ELNS1_3gpuE0ELNS1_3repE0EEENS1_30default_config_static_selectorELNS0_4arch9wavefront6targetE0EEEvSK_,comdat
	.globl	_ZN7rocprim17ROCPRIM_400000_NS6detail17trampoline_kernelINS0_14default_configENS1_36segmented_radix_sort_config_selectorIdlEEZNS1_25segmented_radix_sort_implIS3_Lb1EPKdPdPKlPlN2at6native12_GLOBAL__N_18offset_tEEE10hipError_tPvRmT1_PNSt15iterator_traitsISK_E10value_typeET2_T3_PNSL_ISQ_E10value_typeET4_jRbjT5_SW_jjP12ihipStream_tbEUlT_E_NS1_11comp_targetILNS1_3genE0ELNS1_11target_archE4294967295ELNS1_3gpuE0ELNS1_3repE0EEENS1_30default_config_static_selectorELNS0_4arch9wavefront6targetE0EEEvSK_ ; -- Begin function _ZN7rocprim17ROCPRIM_400000_NS6detail17trampoline_kernelINS0_14default_configENS1_36segmented_radix_sort_config_selectorIdlEEZNS1_25segmented_radix_sort_implIS3_Lb1EPKdPdPKlPlN2at6native12_GLOBAL__N_18offset_tEEE10hipError_tPvRmT1_PNSt15iterator_traitsISK_E10value_typeET2_T3_PNSL_ISQ_E10value_typeET4_jRbjT5_SW_jjP12ihipStream_tbEUlT_E_NS1_11comp_targetILNS1_3genE0ELNS1_11target_archE4294967295ELNS1_3gpuE0ELNS1_3repE0EEENS1_30default_config_static_selectorELNS0_4arch9wavefront6targetE0EEEvSK_
	.p2align	8
	.type	_ZN7rocprim17ROCPRIM_400000_NS6detail17trampoline_kernelINS0_14default_configENS1_36segmented_radix_sort_config_selectorIdlEEZNS1_25segmented_radix_sort_implIS3_Lb1EPKdPdPKlPlN2at6native12_GLOBAL__N_18offset_tEEE10hipError_tPvRmT1_PNSt15iterator_traitsISK_E10value_typeET2_T3_PNSL_ISQ_E10value_typeET4_jRbjT5_SW_jjP12ihipStream_tbEUlT_E_NS1_11comp_targetILNS1_3genE0ELNS1_11target_archE4294967295ELNS1_3gpuE0ELNS1_3repE0EEENS1_30default_config_static_selectorELNS0_4arch9wavefront6targetE0EEEvSK_,@function
_ZN7rocprim17ROCPRIM_400000_NS6detail17trampoline_kernelINS0_14default_configENS1_36segmented_radix_sort_config_selectorIdlEEZNS1_25segmented_radix_sort_implIS3_Lb1EPKdPdPKlPlN2at6native12_GLOBAL__N_18offset_tEEE10hipError_tPvRmT1_PNSt15iterator_traitsISK_E10value_typeET2_T3_PNSL_ISQ_E10value_typeET4_jRbjT5_SW_jjP12ihipStream_tbEUlT_E_NS1_11comp_targetILNS1_3genE0ELNS1_11target_archE4294967295ELNS1_3gpuE0ELNS1_3repE0EEENS1_30default_config_static_selectorELNS0_4arch9wavefront6targetE0EEEvSK_: ; @_ZN7rocprim17ROCPRIM_400000_NS6detail17trampoline_kernelINS0_14default_configENS1_36segmented_radix_sort_config_selectorIdlEEZNS1_25segmented_radix_sort_implIS3_Lb1EPKdPdPKlPlN2at6native12_GLOBAL__N_18offset_tEEE10hipError_tPvRmT1_PNSt15iterator_traitsISK_E10value_typeET2_T3_PNSL_ISQ_E10value_typeET4_jRbjT5_SW_jjP12ihipStream_tbEUlT_E_NS1_11comp_targetILNS1_3genE0ELNS1_11target_archE4294967295ELNS1_3gpuE0ELNS1_3repE0EEENS1_30default_config_static_selectorELNS0_4arch9wavefront6targetE0EEEvSK_
; %bb.0:
	.section	.rodata,"a",@progbits
	.p2align	6, 0x0
	.amdhsa_kernel _ZN7rocprim17ROCPRIM_400000_NS6detail17trampoline_kernelINS0_14default_configENS1_36segmented_radix_sort_config_selectorIdlEEZNS1_25segmented_radix_sort_implIS3_Lb1EPKdPdPKlPlN2at6native12_GLOBAL__N_18offset_tEEE10hipError_tPvRmT1_PNSt15iterator_traitsISK_E10value_typeET2_T3_PNSL_ISQ_E10value_typeET4_jRbjT5_SW_jjP12ihipStream_tbEUlT_E_NS1_11comp_targetILNS1_3genE0ELNS1_11target_archE4294967295ELNS1_3gpuE0ELNS1_3repE0EEENS1_30default_config_static_selectorELNS0_4arch9wavefront6targetE0EEEvSK_
		.amdhsa_group_segment_fixed_size 0
		.amdhsa_private_segment_fixed_size 0
		.amdhsa_kernarg_size 96
		.amdhsa_user_sgpr_count 6
		.amdhsa_user_sgpr_private_segment_buffer 1
		.amdhsa_user_sgpr_dispatch_ptr 0
		.amdhsa_user_sgpr_queue_ptr 0
		.amdhsa_user_sgpr_kernarg_segment_ptr 1
		.amdhsa_user_sgpr_dispatch_id 0
		.amdhsa_user_sgpr_flat_scratch_init 0
		.amdhsa_user_sgpr_private_segment_size 0
		.amdhsa_wavefront_size32 1
		.amdhsa_uses_dynamic_stack 0
		.amdhsa_system_sgpr_private_segment_wavefront_offset 0
		.amdhsa_system_sgpr_workgroup_id_x 1
		.amdhsa_system_sgpr_workgroup_id_y 0
		.amdhsa_system_sgpr_workgroup_id_z 0
		.amdhsa_system_sgpr_workgroup_info 0
		.amdhsa_system_vgpr_workitem_id 0
		.amdhsa_next_free_vgpr 1
		.amdhsa_next_free_sgpr 1
		.amdhsa_reserve_vcc 0
		.amdhsa_reserve_flat_scratch 0
		.amdhsa_float_round_mode_32 0
		.amdhsa_float_round_mode_16_64 0
		.amdhsa_float_denorm_mode_32 3
		.amdhsa_float_denorm_mode_16_64 3
		.amdhsa_dx10_clamp 1
		.amdhsa_ieee_mode 1
		.amdhsa_fp16_overflow 0
		.amdhsa_workgroup_processor_mode 1
		.amdhsa_memory_ordered 1
		.amdhsa_forward_progress 1
		.amdhsa_shared_vgpr_count 0
		.amdhsa_exception_fp_ieee_invalid_op 0
		.amdhsa_exception_fp_denorm_src 0
		.amdhsa_exception_fp_ieee_div_zero 0
		.amdhsa_exception_fp_ieee_overflow 0
		.amdhsa_exception_fp_ieee_underflow 0
		.amdhsa_exception_fp_ieee_inexact 0
		.amdhsa_exception_int_div_zero 0
	.end_amdhsa_kernel
	.section	.text._ZN7rocprim17ROCPRIM_400000_NS6detail17trampoline_kernelINS0_14default_configENS1_36segmented_radix_sort_config_selectorIdlEEZNS1_25segmented_radix_sort_implIS3_Lb1EPKdPdPKlPlN2at6native12_GLOBAL__N_18offset_tEEE10hipError_tPvRmT1_PNSt15iterator_traitsISK_E10value_typeET2_T3_PNSL_ISQ_E10value_typeET4_jRbjT5_SW_jjP12ihipStream_tbEUlT_E_NS1_11comp_targetILNS1_3genE0ELNS1_11target_archE4294967295ELNS1_3gpuE0ELNS1_3repE0EEENS1_30default_config_static_selectorELNS0_4arch9wavefront6targetE0EEEvSK_,"axG",@progbits,_ZN7rocprim17ROCPRIM_400000_NS6detail17trampoline_kernelINS0_14default_configENS1_36segmented_radix_sort_config_selectorIdlEEZNS1_25segmented_radix_sort_implIS3_Lb1EPKdPdPKlPlN2at6native12_GLOBAL__N_18offset_tEEE10hipError_tPvRmT1_PNSt15iterator_traitsISK_E10value_typeET2_T3_PNSL_ISQ_E10value_typeET4_jRbjT5_SW_jjP12ihipStream_tbEUlT_E_NS1_11comp_targetILNS1_3genE0ELNS1_11target_archE4294967295ELNS1_3gpuE0ELNS1_3repE0EEENS1_30default_config_static_selectorELNS0_4arch9wavefront6targetE0EEEvSK_,comdat
.Lfunc_end1110:
	.size	_ZN7rocprim17ROCPRIM_400000_NS6detail17trampoline_kernelINS0_14default_configENS1_36segmented_radix_sort_config_selectorIdlEEZNS1_25segmented_radix_sort_implIS3_Lb1EPKdPdPKlPlN2at6native12_GLOBAL__N_18offset_tEEE10hipError_tPvRmT1_PNSt15iterator_traitsISK_E10value_typeET2_T3_PNSL_ISQ_E10value_typeET4_jRbjT5_SW_jjP12ihipStream_tbEUlT_E_NS1_11comp_targetILNS1_3genE0ELNS1_11target_archE4294967295ELNS1_3gpuE0ELNS1_3repE0EEENS1_30default_config_static_selectorELNS0_4arch9wavefront6targetE0EEEvSK_, .Lfunc_end1110-_ZN7rocprim17ROCPRIM_400000_NS6detail17trampoline_kernelINS0_14default_configENS1_36segmented_radix_sort_config_selectorIdlEEZNS1_25segmented_radix_sort_implIS3_Lb1EPKdPdPKlPlN2at6native12_GLOBAL__N_18offset_tEEE10hipError_tPvRmT1_PNSt15iterator_traitsISK_E10value_typeET2_T3_PNSL_ISQ_E10value_typeET4_jRbjT5_SW_jjP12ihipStream_tbEUlT_E_NS1_11comp_targetILNS1_3genE0ELNS1_11target_archE4294967295ELNS1_3gpuE0ELNS1_3repE0EEENS1_30default_config_static_selectorELNS0_4arch9wavefront6targetE0EEEvSK_
                                        ; -- End function
	.set _ZN7rocprim17ROCPRIM_400000_NS6detail17trampoline_kernelINS0_14default_configENS1_36segmented_radix_sort_config_selectorIdlEEZNS1_25segmented_radix_sort_implIS3_Lb1EPKdPdPKlPlN2at6native12_GLOBAL__N_18offset_tEEE10hipError_tPvRmT1_PNSt15iterator_traitsISK_E10value_typeET2_T3_PNSL_ISQ_E10value_typeET4_jRbjT5_SW_jjP12ihipStream_tbEUlT_E_NS1_11comp_targetILNS1_3genE0ELNS1_11target_archE4294967295ELNS1_3gpuE0ELNS1_3repE0EEENS1_30default_config_static_selectorELNS0_4arch9wavefront6targetE0EEEvSK_.num_vgpr, 0
	.set _ZN7rocprim17ROCPRIM_400000_NS6detail17trampoline_kernelINS0_14default_configENS1_36segmented_radix_sort_config_selectorIdlEEZNS1_25segmented_radix_sort_implIS3_Lb1EPKdPdPKlPlN2at6native12_GLOBAL__N_18offset_tEEE10hipError_tPvRmT1_PNSt15iterator_traitsISK_E10value_typeET2_T3_PNSL_ISQ_E10value_typeET4_jRbjT5_SW_jjP12ihipStream_tbEUlT_E_NS1_11comp_targetILNS1_3genE0ELNS1_11target_archE4294967295ELNS1_3gpuE0ELNS1_3repE0EEENS1_30default_config_static_selectorELNS0_4arch9wavefront6targetE0EEEvSK_.num_agpr, 0
	.set _ZN7rocprim17ROCPRIM_400000_NS6detail17trampoline_kernelINS0_14default_configENS1_36segmented_radix_sort_config_selectorIdlEEZNS1_25segmented_radix_sort_implIS3_Lb1EPKdPdPKlPlN2at6native12_GLOBAL__N_18offset_tEEE10hipError_tPvRmT1_PNSt15iterator_traitsISK_E10value_typeET2_T3_PNSL_ISQ_E10value_typeET4_jRbjT5_SW_jjP12ihipStream_tbEUlT_E_NS1_11comp_targetILNS1_3genE0ELNS1_11target_archE4294967295ELNS1_3gpuE0ELNS1_3repE0EEENS1_30default_config_static_selectorELNS0_4arch9wavefront6targetE0EEEvSK_.numbered_sgpr, 0
	.set _ZN7rocprim17ROCPRIM_400000_NS6detail17trampoline_kernelINS0_14default_configENS1_36segmented_radix_sort_config_selectorIdlEEZNS1_25segmented_radix_sort_implIS3_Lb1EPKdPdPKlPlN2at6native12_GLOBAL__N_18offset_tEEE10hipError_tPvRmT1_PNSt15iterator_traitsISK_E10value_typeET2_T3_PNSL_ISQ_E10value_typeET4_jRbjT5_SW_jjP12ihipStream_tbEUlT_E_NS1_11comp_targetILNS1_3genE0ELNS1_11target_archE4294967295ELNS1_3gpuE0ELNS1_3repE0EEENS1_30default_config_static_selectorELNS0_4arch9wavefront6targetE0EEEvSK_.num_named_barrier, 0
	.set _ZN7rocprim17ROCPRIM_400000_NS6detail17trampoline_kernelINS0_14default_configENS1_36segmented_radix_sort_config_selectorIdlEEZNS1_25segmented_radix_sort_implIS3_Lb1EPKdPdPKlPlN2at6native12_GLOBAL__N_18offset_tEEE10hipError_tPvRmT1_PNSt15iterator_traitsISK_E10value_typeET2_T3_PNSL_ISQ_E10value_typeET4_jRbjT5_SW_jjP12ihipStream_tbEUlT_E_NS1_11comp_targetILNS1_3genE0ELNS1_11target_archE4294967295ELNS1_3gpuE0ELNS1_3repE0EEENS1_30default_config_static_selectorELNS0_4arch9wavefront6targetE0EEEvSK_.private_seg_size, 0
	.set _ZN7rocprim17ROCPRIM_400000_NS6detail17trampoline_kernelINS0_14default_configENS1_36segmented_radix_sort_config_selectorIdlEEZNS1_25segmented_radix_sort_implIS3_Lb1EPKdPdPKlPlN2at6native12_GLOBAL__N_18offset_tEEE10hipError_tPvRmT1_PNSt15iterator_traitsISK_E10value_typeET2_T3_PNSL_ISQ_E10value_typeET4_jRbjT5_SW_jjP12ihipStream_tbEUlT_E_NS1_11comp_targetILNS1_3genE0ELNS1_11target_archE4294967295ELNS1_3gpuE0ELNS1_3repE0EEENS1_30default_config_static_selectorELNS0_4arch9wavefront6targetE0EEEvSK_.uses_vcc, 0
	.set _ZN7rocprim17ROCPRIM_400000_NS6detail17trampoline_kernelINS0_14default_configENS1_36segmented_radix_sort_config_selectorIdlEEZNS1_25segmented_radix_sort_implIS3_Lb1EPKdPdPKlPlN2at6native12_GLOBAL__N_18offset_tEEE10hipError_tPvRmT1_PNSt15iterator_traitsISK_E10value_typeET2_T3_PNSL_ISQ_E10value_typeET4_jRbjT5_SW_jjP12ihipStream_tbEUlT_E_NS1_11comp_targetILNS1_3genE0ELNS1_11target_archE4294967295ELNS1_3gpuE0ELNS1_3repE0EEENS1_30default_config_static_selectorELNS0_4arch9wavefront6targetE0EEEvSK_.uses_flat_scratch, 0
	.set _ZN7rocprim17ROCPRIM_400000_NS6detail17trampoline_kernelINS0_14default_configENS1_36segmented_radix_sort_config_selectorIdlEEZNS1_25segmented_radix_sort_implIS3_Lb1EPKdPdPKlPlN2at6native12_GLOBAL__N_18offset_tEEE10hipError_tPvRmT1_PNSt15iterator_traitsISK_E10value_typeET2_T3_PNSL_ISQ_E10value_typeET4_jRbjT5_SW_jjP12ihipStream_tbEUlT_E_NS1_11comp_targetILNS1_3genE0ELNS1_11target_archE4294967295ELNS1_3gpuE0ELNS1_3repE0EEENS1_30default_config_static_selectorELNS0_4arch9wavefront6targetE0EEEvSK_.has_dyn_sized_stack, 0
	.set _ZN7rocprim17ROCPRIM_400000_NS6detail17trampoline_kernelINS0_14default_configENS1_36segmented_radix_sort_config_selectorIdlEEZNS1_25segmented_radix_sort_implIS3_Lb1EPKdPdPKlPlN2at6native12_GLOBAL__N_18offset_tEEE10hipError_tPvRmT1_PNSt15iterator_traitsISK_E10value_typeET2_T3_PNSL_ISQ_E10value_typeET4_jRbjT5_SW_jjP12ihipStream_tbEUlT_E_NS1_11comp_targetILNS1_3genE0ELNS1_11target_archE4294967295ELNS1_3gpuE0ELNS1_3repE0EEENS1_30default_config_static_selectorELNS0_4arch9wavefront6targetE0EEEvSK_.has_recursion, 0
	.set _ZN7rocprim17ROCPRIM_400000_NS6detail17trampoline_kernelINS0_14default_configENS1_36segmented_radix_sort_config_selectorIdlEEZNS1_25segmented_radix_sort_implIS3_Lb1EPKdPdPKlPlN2at6native12_GLOBAL__N_18offset_tEEE10hipError_tPvRmT1_PNSt15iterator_traitsISK_E10value_typeET2_T3_PNSL_ISQ_E10value_typeET4_jRbjT5_SW_jjP12ihipStream_tbEUlT_E_NS1_11comp_targetILNS1_3genE0ELNS1_11target_archE4294967295ELNS1_3gpuE0ELNS1_3repE0EEENS1_30default_config_static_selectorELNS0_4arch9wavefront6targetE0EEEvSK_.has_indirect_call, 0
	.section	.AMDGPU.csdata,"",@progbits
; Kernel info:
; codeLenInByte = 0
; TotalNumSgprs: 0
; NumVgprs: 0
; ScratchSize: 0
; MemoryBound: 0
; FloatMode: 240
; IeeeMode: 1
; LDSByteSize: 0 bytes/workgroup (compile time only)
; SGPRBlocks: 0
; VGPRBlocks: 0
; NumSGPRsForWavesPerEU: 1
; NumVGPRsForWavesPerEU: 1
; Occupancy: 16
; WaveLimiterHint : 0
; COMPUTE_PGM_RSRC2:SCRATCH_EN: 0
; COMPUTE_PGM_RSRC2:USER_SGPR: 6
; COMPUTE_PGM_RSRC2:TRAP_HANDLER: 0
; COMPUTE_PGM_RSRC2:TGID_X_EN: 1
; COMPUTE_PGM_RSRC2:TGID_Y_EN: 0
; COMPUTE_PGM_RSRC2:TGID_Z_EN: 0
; COMPUTE_PGM_RSRC2:TIDIG_COMP_CNT: 0
	.section	.text._ZN7rocprim17ROCPRIM_400000_NS6detail17trampoline_kernelINS0_14default_configENS1_36segmented_radix_sort_config_selectorIdlEEZNS1_25segmented_radix_sort_implIS3_Lb1EPKdPdPKlPlN2at6native12_GLOBAL__N_18offset_tEEE10hipError_tPvRmT1_PNSt15iterator_traitsISK_E10value_typeET2_T3_PNSL_ISQ_E10value_typeET4_jRbjT5_SW_jjP12ihipStream_tbEUlT_E_NS1_11comp_targetILNS1_3genE5ELNS1_11target_archE942ELNS1_3gpuE9ELNS1_3repE0EEENS1_30default_config_static_selectorELNS0_4arch9wavefront6targetE0EEEvSK_,"axG",@progbits,_ZN7rocprim17ROCPRIM_400000_NS6detail17trampoline_kernelINS0_14default_configENS1_36segmented_radix_sort_config_selectorIdlEEZNS1_25segmented_radix_sort_implIS3_Lb1EPKdPdPKlPlN2at6native12_GLOBAL__N_18offset_tEEE10hipError_tPvRmT1_PNSt15iterator_traitsISK_E10value_typeET2_T3_PNSL_ISQ_E10value_typeET4_jRbjT5_SW_jjP12ihipStream_tbEUlT_E_NS1_11comp_targetILNS1_3genE5ELNS1_11target_archE942ELNS1_3gpuE9ELNS1_3repE0EEENS1_30default_config_static_selectorELNS0_4arch9wavefront6targetE0EEEvSK_,comdat
	.globl	_ZN7rocprim17ROCPRIM_400000_NS6detail17trampoline_kernelINS0_14default_configENS1_36segmented_radix_sort_config_selectorIdlEEZNS1_25segmented_radix_sort_implIS3_Lb1EPKdPdPKlPlN2at6native12_GLOBAL__N_18offset_tEEE10hipError_tPvRmT1_PNSt15iterator_traitsISK_E10value_typeET2_T3_PNSL_ISQ_E10value_typeET4_jRbjT5_SW_jjP12ihipStream_tbEUlT_E_NS1_11comp_targetILNS1_3genE5ELNS1_11target_archE942ELNS1_3gpuE9ELNS1_3repE0EEENS1_30default_config_static_selectorELNS0_4arch9wavefront6targetE0EEEvSK_ ; -- Begin function _ZN7rocprim17ROCPRIM_400000_NS6detail17trampoline_kernelINS0_14default_configENS1_36segmented_radix_sort_config_selectorIdlEEZNS1_25segmented_radix_sort_implIS3_Lb1EPKdPdPKlPlN2at6native12_GLOBAL__N_18offset_tEEE10hipError_tPvRmT1_PNSt15iterator_traitsISK_E10value_typeET2_T3_PNSL_ISQ_E10value_typeET4_jRbjT5_SW_jjP12ihipStream_tbEUlT_E_NS1_11comp_targetILNS1_3genE5ELNS1_11target_archE942ELNS1_3gpuE9ELNS1_3repE0EEENS1_30default_config_static_selectorELNS0_4arch9wavefront6targetE0EEEvSK_
	.p2align	8
	.type	_ZN7rocprim17ROCPRIM_400000_NS6detail17trampoline_kernelINS0_14default_configENS1_36segmented_radix_sort_config_selectorIdlEEZNS1_25segmented_radix_sort_implIS3_Lb1EPKdPdPKlPlN2at6native12_GLOBAL__N_18offset_tEEE10hipError_tPvRmT1_PNSt15iterator_traitsISK_E10value_typeET2_T3_PNSL_ISQ_E10value_typeET4_jRbjT5_SW_jjP12ihipStream_tbEUlT_E_NS1_11comp_targetILNS1_3genE5ELNS1_11target_archE942ELNS1_3gpuE9ELNS1_3repE0EEENS1_30default_config_static_selectorELNS0_4arch9wavefront6targetE0EEEvSK_,@function
_ZN7rocprim17ROCPRIM_400000_NS6detail17trampoline_kernelINS0_14default_configENS1_36segmented_radix_sort_config_selectorIdlEEZNS1_25segmented_radix_sort_implIS3_Lb1EPKdPdPKlPlN2at6native12_GLOBAL__N_18offset_tEEE10hipError_tPvRmT1_PNSt15iterator_traitsISK_E10value_typeET2_T3_PNSL_ISQ_E10value_typeET4_jRbjT5_SW_jjP12ihipStream_tbEUlT_E_NS1_11comp_targetILNS1_3genE5ELNS1_11target_archE942ELNS1_3gpuE9ELNS1_3repE0EEENS1_30default_config_static_selectorELNS0_4arch9wavefront6targetE0EEEvSK_: ; @_ZN7rocprim17ROCPRIM_400000_NS6detail17trampoline_kernelINS0_14default_configENS1_36segmented_radix_sort_config_selectorIdlEEZNS1_25segmented_radix_sort_implIS3_Lb1EPKdPdPKlPlN2at6native12_GLOBAL__N_18offset_tEEE10hipError_tPvRmT1_PNSt15iterator_traitsISK_E10value_typeET2_T3_PNSL_ISQ_E10value_typeET4_jRbjT5_SW_jjP12ihipStream_tbEUlT_E_NS1_11comp_targetILNS1_3genE5ELNS1_11target_archE942ELNS1_3gpuE9ELNS1_3repE0EEENS1_30default_config_static_selectorELNS0_4arch9wavefront6targetE0EEEvSK_
; %bb.0:
	.section	.rodata,"a",@progbits
	.p2align	6, 0x0
	.amdhsa_kernel _ZN7rocprim17ROCPRIM_400000_NS6detail17trampoline_kernelINS0_14default_configENS1_36segmented_radix_sort_config_selectorIdlEEZNS1_25segmented_radix_sort_implIS3_Lb1EPKdPdPKlPlN2at6native12_GLOBAL__N_18offset_tEEE10hipError_tPvRmT1_PNSt15iterator_traitsISK_E10value_typeET2_T3_PNSL_ISQ_E10value_typeET4_jRbjT5_SW_jjP12ihipStream_tbEUlT_E_NS1_11comp_targetILNS1_3genE5ELNS1_11target_archE942ELNS1_3gpuE9ELNS1_3repE0EEENS1_30default_config_static_selectorELNS0_4arch9wavefront6targetE0EEEvSK_
		.amdhsa_group_segment_fixed_size 0
		.amdhsa_private_segment_fixed_size 0
		.amdhsa_kernarg_size 96
		.amdhsa_user_sgpr_count 6
		.amdhsa_user_sgpr_private_segment_buffer 1
		.amdhsa_user_sgpr_dispatch_ptr 0
		.amdhsa_user_sgpr_queue_ptr 0
		.amdhsa_user_sgpr_kernarg_segment_ptr 1
		.amdhsa_user_sgpr_dispatch_id 0
		.amdhsa_user_sgpr_flat_scratch_init 0
		.amdhsa_user_sgpr_private_segment_size 0
		.amdhsa_wavefront_size32 1
		.amdhsa_uses_dynamic_stack 0
		.amdhsa_system_sgpr_private_segment_wavefront_offset 0
		.amdhsa_system_sgpr_workgroup_id_x 1
		.amdhsa_system_sgpr_workgroup_id_y 0
		.amdhsa_system_sgpr_workgroup_id_z 0
		.amdhsa_system_sgpr_workgroup_info 0
		.amdhsa_system_vgpr_workitem_id 0
		.amdhsa_next_free_vgpr 1
		.amdhsa_next_free_sgpr 1
		.amdhsa_reserve_vcc 0
		.amdhsa_reserve_flat_scratch 0
		.amdhsa_float_round_mode_32 0
		.amdhsa_float_round_mode_16_64 0
		.amdhsa_float_denorm_mode_32 3
		.amdhsa_float_denorm_mode_16_64 3
		.amdhsa_dx10_clamp 1
		.amdhsa_ieee_mode 1
		.amdhsa_fp16_overflow 0
		.amdhsa_workgroup_processor_mode 1
		.amdhsa_memory_ordered 1
		.amdhsa_forward_progress 1
		.amdhsa_shared_vgpr_count 0
		.amdhsa_exception_fp_ieee_invalid_op 0
		.amdhsa_exception_fp_denorm_src 0
		.amdhsa_exception_fp_ieee_div_zero 0
		.amdhsa_exception_fp_ieee_overflow 0
		.amdhsa_exception_fp_ieee_underflow 0
		.amdhsa_exception_fp_ieee_inexact 0
		.amdhsa_exception_int_div_zero 0
	.end_amdhsa_kernel
	.section	.text._ZN7rocprim17ROCPRIM_400000_NS6detail17trampoline_kernelINS0_14default_configENS1_36segmented_radix_sort_config_selectorIdlEEZNS1_25segmented_radix_sort_implIS3_Lb1EPKdPdPKlPlN2at6native12_GLOBAL__N_18offset_tEEE10hipError_tPvRmT1_PNSt15iterator_traitsISK_E10value_typeET2_T3_PNSL_ISQ_E10value_typeET4_jRbjT5_SW_jjP12ihipStream_tbEUlT_E_NS1_11comp_targetILNS1_3genE5ELNS1_11target_archE942ELNS1_3gpuE9ELNS1_3repE0EEENS1_30default_config_static_selectorELNS0_4arch9wavefront6targetE0EEEvSK_,"axG",@progbits,_ZN7rocprim17ROCPRIM_400000_NS6detail17trampoline_kernelINS0_14default_configENS1_36segmented_radix_sort_config_selectorIdlEEZNS1_25segmented_radix_sort_implIS3_Lb1EPKdPdPKlPlN2at6native12_GLOBAL__N_18offset_tEEE10hipError_tPvRmT1_PNSt15iterator_traitsISK_E10value_typeET2_T3_PNSL_ISQ_E10value_typeET4_jRbjT5_SW_jjP12ihipStream_tbEUlT_E_NS1_11comp_targetILNS1_3genE5ELNS1_11target_archE942ELNS1_3gpuE9ELNS1_3repE0EEENS1_30default_config_static_selectorELNS0_4arch9wavefront6targetE0EEEvSK_,comdat
.Lfunc_end1111:
	.size	_ZN7rocprim17ROCPRIM_400000_NS6detail17trampoline_kernelINS0_14default_configENS1_36segmented_radix_sort_config_selectorIdlEEZNS1_25segmented_radix_sort_implIS3_Lb1EPKdPdPKlPlN2at6native12_GLOBAL__N_18offset_tEEE10hipError_tPvRmT1_PNSt15iterator_traitsISK_E10value_typeET2_T3_PNSL_ISQ_E10value_typeET4_jRbjT5_SW_jjP12ihipStream_tbEUlT_E_NS1_11comp_targetILNS1_3genE5ELNS1_11target_archE942ELNS1_3gpuE9ELNS1_3repE0EEENS1_30default_config_static_selectorELNS0_4arch9wavefront6targetE0EEEvSK_, .Lfunc_end1111-_ZN7rocprim17ROCPRIM_400000_NS6detail17trampoline_kernelINS0_14default_configENS1_36segmented_radix_sort_config_selectorIdlEEZNS1_25segmented_radix_sort_implIS3_Lb1EPKdPdPKlPlN2at6native12_GLOBAL__N_18offset_tEEE10hipError_tPvRmT1_PNSt15iterator_traitsISK_E10value_typeET2_T3_PNSL_ISQ_E10value_typeET4_jRbjT5_SW_jjP12ihipStream_tbEUlT_E_NS1_11comp_targetILNS1_3genE5ELNS1_11target_archE942ELNS1_3gpuE9ELNS1_3repE0EEENS1_30default_config_static_selectorELNS0_4arch9wavefront6targetE0EEEvSK_
                                        ; -- End function
	.set _ZN7rocprim17ROCPRIM_400000_NS6detail17trampoline_kernelINS0_14default_configENS1_36segmented_radix_sort_config_selectorIdlEEZNS1_25segmented_radix_sort_implIS3_Lb1EPKdPdPKlPlN2at6native12_GLOBAL__N_18offset_tEEE10hipError_tPvRmT1_PNSt15iterator_traitsISK_E10value_typeET2_T3_PNSL_ISQ_E10value_typeET4_jRbjT5_SW_jjP12ihipStream_tbEUlT_E_NS1_11comp_targetILNS1_3genE5ELNS1_11target_archE942ELNS1_3gpuE9ELNS1_3repE0EEENS1_30default_config_static_selectorELNS0_4arch9wavefront6targetE0EEEvSK_.num_vgpr, 0
	.set _ZN7rocprim17ROCPRIM_400000_NS6detail17trampoline_kernelINS0_14default_configENS1_36segmented_radix_sort_config_selectorIdlEEZNS1_25segmented_radix_sort_implIS3_Lb1EPKdPdPKlPlN2at6native12_GLOBAL__N_18offset_tEEE10hipError_tPvRmT1_PNSt15iterator_traitsISK_E10value_typeET2_T3_PNSL_ISQ_E10value_typeET4_jRbjT5_SW_jjP12ihipStream_tbEUlT_E_NS1_11comp_targetILNS1_3genE5ELNS1_11target_archE942ELNS1_3gpuE9ELNS1_3repE0EEENS1_30default_config_static_selectorELNS0_4arch9wavefront6targetE0EEEvSK_.num_agpr, 0
	.set _ZN7rocprim17ROCPRIM_400000_NS6detail17trampoline_kernelINS0_14default_configENS1_36segmented_radix_sort_config_selectorIdlEEZNS1_25segmented_radix_sort_implIS3_Lb1EPKdPdPKlPlN2at6native12_GLOBAL__N_18offset_tEEE10hipError_tPvRmT1_PNSt15iterator_traitsISK_E10value_typeET2_T3_PNSL_ISQ_E10value_typeET4_jRbjT5_SW_jjP12ihipStream_tbEUlT_E_NS1_11comp_targetILNS1_3genE5ELNS1_11target_archE942ELNS1_3gpuE9ELNS1_3repE0EEENS1_30default_config_static_selectorELNS0_4arch9wavefront6targetE0EEEvSK_.numbered_sgpr, 0
	.set _ZN7rocprim17ROCPRIM_400000_NS6detail17trampoline_kernelINS0_14default_configENS1_36segmented_radix_sort_config_selectorIdlEEZNS1_25segmented_radix_sort_implIS3_Lb1EPKdPdPKlPlN2at6native12_GLOBAL__N_18offset_tEEE10hipError_tPvRmT1_PNSt15iterator_traitsISK_E10value_typeET2_T3_PNSL_ISQ_E10value_typeET4_jRbjT5_SW_jjP12ihipStream_tbEUlT_E_NS1_11comp_targetILNS1_3genE5ELNS1_11target_archE942ELNS1_3gpuE9ELNS1_3repE0EEENS1_30default_config_static_selectorELNS0_4arch9wavefront6targetE0EEEvSK_.num_named_barrier, 0
	.set _ZN7rocprim17ROCPRIM_400000_NS6detail17trampoline_kernelINS0_14default_configENS1_36segmented_radix_sort_config_selectorIdlEEZNS1_25segmented_radix_sort_implIS3_Lb1EPKdPdPKlPlN2at6native12_GLOBAL__N_18offset_tEEE10hipError_tPvRmT1_PNSt15iterator_traitsISK_E10value_typeET2_T3_PNSL_ISQ_E10value_typeET4_jRbjT5_SW_jjP12ihipStream_tbEUlT_E_NS1_11comp_targetILNS1_3genE5ELNS1_11target_archE942ELNS1_3gpuE9ELNS1_3repE0EEENS1_30default_config_static_selectorELNS0_4arch9wavefront6targetE0EEEvSK_.private_seg_size, 0
	.set _ZN7rocprim17ROCPRIM_400000_NS6detail17trampoline_kernelINS0_14default_configENS1_36segmented_radix_sort_config_selectorIdlEEZNS1_25segmented_radix_sort_implIS3_Lb1EPKdPdPKlPlN2at6native12_GLOBAL__N_18offset_tEEE10hipError_tPvRmT1_PNSt15iterator_traitsISK_E10value_typeET2_T3_PNSL_ISQ_E10value_typeET4_jRbjT5_SW_jjP12ihipStream_tbEUlT_E_NS1_11comp_targetILNS1_3genE5ELNS1_11target_archE942ELNS1_3gpuE9ELNS1_3repE0EEENS1_30default_config_static_selectorELNS0_4arch9wavefront6targetE0EEEvSK_.uses_vcc, 0
	.set _ZN7rocprim17ROCPRIM_400000_NS6detail17trampoline_kernelINS0_14default_configENS1_36segmented_radix_sort_config_selectorIdlEEZNS1_25segmented_radix_sort_implIS3_Lb1EPKdPdPKlPlN2at6native12_GLOBAL__N_18offset_tEEE10hipError_tPvRmT1_PNSt15iterator_traitsISK_E10value_typeET2_T3_PNSL_ISQ_E10value_typeET4_jRbjT5_SW_jjP12ihipStream_tbEUlT_E_NS1_11comp_targetILNS1_3genE5ELNS1_11target_archE942ELNS1_3gpuE9ELNS1_3repE0EEENS1_30default_config_static_selectorELNS0_4arch9wavefront6targetE0EEEvSK_.uses_flat_scratch, 0
	.set _ZN7rocprim17ROCPRIM_400000_NS6detail17trampoline_kernelINS0_14default_configENS1_36segmented_radix_sort_config_selectorIdlEEZNS1_25segmented_radix_sort_implIS3_Lb1EPKdPdPKlPlN2at6native12_GLOBAL__N_18offset_tEEE10hipError_tPvRmT1_PNSt15iterator_traitsISK_E10value_typeET2_T3_PNSL_ISQ_E10value_typeET4_jRbjT5_SW_jjP12ihipStream_tbEUlT_E_NS1_11comp_targetILNS1_3genE5ELNS1_11target_archE942ELNS1_3gpuE9ELNS1_3repE0EEENS1_30default_config_static_selectorELNS0_4arch9wavefront6targetE0EEEvSK_.has_dyn_sized_stack, 0
	.set _ZN7rocprim17ROCPRIM_400000_NS6detail17trampoline_kernelINS0_14default_configENS1_36segmented_radix_sort_config_selectorIdlEEZNS1_25segmented_radix_sort_implIS3_Lb1EPKdPdPKlPlN2at6native12_GLOBAL__N_18offset_tEEE10hipError_tPvRmT1_PNSt15iterator_traitsISK_E10value_typeET2_T3_PNSL_ISQ_E10value_typeET4_jRbjT5_SW_jjP12ihipStream_tbEUlT_E_NS1_11comp_targetILNS1_3genE5ELNS1_11target_archE942ELNS1_3gpuE9ELNS1_3repE0EEENS1_30default_config_static_selectorELNS0_4arch9wavefront6targetE0EEEvSK_.has_recursion, 0
	.set _ZN7rocprim17ROCPRIM_400000_NS6detail17trampoline_kernelINS0_14default_configENS1_36segmented_radix_sort_config_selectorIdlEEZNS1_25segmented_radix_sort_implIS3_Lb1EPKdPdPKlPlN2at6native12_GLOBAL__N_18offset_tEEE10hipError_tPvRmT1_PNSt15iterator_traitsISK_E10value_typeET2_T3_PNSL_ISQ_E10value_typeET4_jRbjT5_SW_jjP12ihipStream_tbEUlT_E_NS1_11comp_targetILNS1_3genE5ELNS1_11target_archE942ELNS1_3gpuE9ELNS1_3repE0EEENS1_30default_config_static_selectorELNS0_4arch9wavefront6targetE0EEEvSK_.has_indirect_call, 0
	.section	.AMDGPU.csdata,"",@progbits
; Kernel info:
; codeLenInByte = 0
; TotalNumSgprs: 0
; NumVgprs: 0
; ScratchSize: 0
; MemoryBound: 0
; FloatMode: 240
; IeeeMode: 1
; LDSByteSize: 0 bytes/workgroup (compile time only)
; SGPRBlocks: 0
; VGPRBlocks: 0
; NumSGPRsForWavesPerEU: 1
; NumVGPRsForWavesPerEU: 1
; Occupancy: 16
; WaveLimiterHint : 0
; COMPUTE_PGM_RSRC2:SCRATCH_EN: 0
; COMPUTE_PGM_RSRC2:USER_SGPR: 6
; COMPUTE_PGM_RSRC2:TRAP_HANDLER: 0
; COMPUTE_PGM_RSRC2:TGID_X_EN: 1
; COMPUTE_PGM_RSRC2:TGID_Y_EN: 0
; COMPUTE_PGM_RSRC2:TGID_Z_EN: 0
; COMPUTE_PGM_RSRC2:TIDIG_COMP_CNT: 0
	.section	.text._ZN7rocprim17ROCPRIM_400000_NS6detail17trampoline_kernelINS0_14default_configENS1_36segmented_radix_sort_config_selectorIdlEEZNS1_25segmented_radix_sort_implIS3_Lb1EPKdPdPKlPlN2at6native12_GLOBAL__N_18offset_tEEE10hipError_tPvRmT1_PNSt15iterator_traitsISK_E10value_typeET2_T3_PNSL_ISQ_E10value_typeET4_jRbjT5_SW_jjP12ihipStream_tbEUlT_E_NS1_11comp_targetILNS1_3genE4ELNS1_11target_archE910ELNS1_3gpuE8ELNS1_3repE0EEENS1_30default_config_static_selectorELNS0_4arch9wavefront6targetE0EEEvSK_,"axG",@progbits,_ZN7rocprim17ROCPRIM_400000_NS6detail17trampoline_kernelINS0_14default_configENS1_36segmented_radix_sort_config_selectorIdlEEZNS1_25segmented_radix_sort_implIS3_Lb1EPKdPdPKlPlN2at6native12_GLOBAL__N_18offset_tEEE10hipError_tPvRmT1_PNSt15iterator_traitsISK_E10value_typeET2_T3_PNSL_ISQ_E10value_typeET4_jRbjT5_SW_jjP12ihipStream_tbEUlT_E_NS1_11comp_targetILNS1_3genE4ELNS1_11target_archE910ELNS1_3gpuE8ELNS1_3repE0EEENS1_30default_config_static_selectorELNS0_4arch9wavefront6targetE0EEEvSK_,comdat
	.globl	_ZN7rocprim17ROCPRIM_400000_NS6detail17trampoline_kernelINS0_14default_configENS1_36segmented_radix_sort_config_selectorIdlEEZNS1_25segmented_radix_sort_implIS3_Lb1EPKdPdPKlPlN2at6native12_GLOBAL__N_18offset_tEEE10hipError_tPvRmT1_PNSt15iterator_traitsISK_E10value_typeET2_T3_PNSL_ISQ_E10value_typeET4_jRbjT5_SW_jjP12ihipStream_tbEUlT_E_NS1_11comp_targetILNS1_3genE4ELNS1_11target_archE910ELNS1_3gpuE8ELNS1_3repE0EEENS1_30default_config_static_selectorELNS0_4arch9wavefront6targetE0EEEvSK_ ; -- Begin function _ZN7rocprim17ROCPRIM_400000_NS6detail17trampoline_kernelINS0_14default_configENS1_36segmented_radix_sort_config_selectorIdlEEZNS1_25segmented_radix_sort_implIS3_Lb1EPKdPdPKlPlN2at6native12_GLOBAL__N_18offset_tEEE10hipError_tPvRmT1_PNSt15iterator_traitsISK_E10value_typeET2_T3_PNSL_ISQ_E10value_typeET4_jRbjT5_SW_jjP12ihipStream_tbEUlT_E_NS1_11comp_targetILNS1_3genE4ELNS1_11target_archE910ELNS1_3gpuE8ELNS1_3repE0EEENS1_30default_config_static_selectorELNS0_4arch9wavefront6targetE0EEEvSK_
	.p2align	8
	.type	_ZN7rocprim17ROCPRIM_400000_NS6detail17trampoline_kernelINS0_14default_configENS1_36segmented_radix_sort_config_selectorIdlEEZNS1_25segmented_radix_sort_implIS3_Lb1EPKdPdPKlPlN2at6native12_GLOBAL__N_18offset_tEEE10hipError_tPvRmT1_PNSt15iterator_traitsISK_E10value_typeET2_T3_PNSL_ISQ_E10value_typeET4_jRbjT5_SW_jjP12ihipStream_tbEUlT_E_NS1_11comp_targetILNS1_3genE4ELNS1_11target_archE910ELNS1_3gpuE8ELNS1_3repE0EEENS1_30default_config_static_selectorELNS0_4arch9wavefront6targetE0EEEvSK_,@function
_ZN7rocprim17ROCPRIM_400000_NS6detail17trampoline_kernelINS0_14default_configENS1_36segmented_radix_sort_config_selectorIdlEEZNS1_25segmented_radix_sort_implIS3_Lb1EPKdPdPKlPlN2at6native12_GLOBAL__N_18offset_tEEE10hipError_tPvRmT1_PNSt15iterator_traitsISK_E10value_typeET2_T3_PNSL_ISQ_E10value_typeET4_jRbjT5_SW_jjP12ihipStream_tbEUlT_E_NS1_11comp_targetILNS1_3genE4ELNS1_11target_archE910ELNS1_3gpuE8ELNS1_3repE0EEENS1_30default_config_static_selectorELNS0_4arch9wavefront6targetE0EEEvSK_: ; @_ZN7rocprim17ROCPRIM_400000_NS6detail17trampoline_kernelINS0_14default_configENS1_36segmented_radix_sort_config_selectorIdlEEZNS1_25segmented_radix_sort_implIS3_Lb1EPKdPdPKlPlN2at6native12_GLOBAL__N_18offset_tEEE10hipError_tPvRmT1_PNSt15iterator_traitsISK_E10value_typeET2_T3_PNSL_ISQ_E10value_typeET4_jRbjT5_SW_jjP12ihipStream_tbEUlT_E_NS1_11comp_targetILNS1_3genE4ELNS1_11target_archE910ELNS1_3gpuE8ELNS1_3repE0EEENS1_30default_config_static_selectorELNS0_4arch9wavefront6targetE0EEEvSK_
; %bb.0:
	.section	.rodata,"a",@progbits
	.p2align	6, 0x0
	.amdhsa_kernel _ZN7rocprim17ROCPRIM_400000_NS6detail17trampoline_kernelINS0_14default_configENS1_36segmented_radix_sort_config_selectorIdlEEZNS1_25segmented_radix_sort_implIS3_Lb1EPKdPdPKlPlN2at6native12_GLOBAL__N_18offset_tEEE10hipError_tPvRmT1_PNSt15iterator_traitsISK_E10value_typeET2_T3_PNSL_ISQ_E10value_typeET4_jRbjT5_SW_jjP12ihipStream_tbEUlT_E_NS1_11comp_targetILNS1_3genE4ELNS1_11target_archE910ELNS1_3gpuE8ELNS1_3repE0EEENS1_30default_config_static_selectorELNS0_4arch9wavefront6targetE0EEEvSK_
		.amdhsa_group_segment_fixed_size 0
		.amdhsa_private_segment_fixed_size 0
		.amdhsa_kernarg_size 96
		.amdhsa_user_sgpr_count 6
		.amdhsa_user_sgpr_private_segment_buffer 1
		.amdhsa_user_sgpr_dispatch_ptr 0
		.amdhsa_user_sgpr_queue_ptr 0
		.amdhsa_user_sgpr_kernarg_segment_ptr 1
		.amdhsa_user_sgpr_dispatch_id 0
		.amdhsa_user_sgpr_flat_scratch_init 0
		.amdhsa_user_sgpr_private_segment_size 0
		.amdhsa_wavefront_size32 1
		.amdhsa_uses_dynamic_stack 0
		.amdhsa_system_sgpr_private_segment_wavefront_offset 0
		.amdhsa_system_sgpr_workgroup_id_x 1
		.amdhsa_system_sgpr_workgroup_id_y 0
		.amdhsa_system_sgpr_workgroup_id_z 0
		.amdhsa_system_sgpr_workgroup_info 0
		.amdhsa_system_vgpr_workitem_id 0
		.amdhsa_next_free_vgpr 1
		.amdhsa_next_free_sgpr 1
		.amdhsa_reserve_vcc 0
		.amdhsa_reserve_flat_scratch 0
		.amdhsa_float_round_mode_32 0
		.amdhsa_float_round_mode_16_64 0
		.amdhsa_float_denorm_mode_32 3
		.amdhsa_float_denorm_mode_16_64 3
		.amdhsa_dx10_clamp 1
		.amdhsa_ieee_mode 1
		.amdhsa_fp16_overflow 0
		.amdhsa_workgroup_processor_mode 1
		.amdhsa_memory_ordered 1
		.amdhsa_forward_progress 1
		.amdhsa_shared_vgpr_count 0
		.amdhsa_exception_fp_ieee_invalid_op 0
		.amdhsa_exception_fp_denorm_src 0
		.amdhsa_exception_fp_ieee_div_zero 0
		.amdhsa_exception_fp_ieee_overflow 0
		.amdhsa_exception_fp_ieee_underflow 0
		.amdhsa_exception_fp_ieee_inexact 0
		.amdhsa_exception_int_div_zero 0
	.end_amdhsa_kernel
	.section	.text._ZN7rocprim17ROCPRIM_400000_NS6detail17trampoline_kernelINS0_14default_configENS1_36segmented_radix_sort_config_selectorIdlEEZNS1_25segmented_radix_sort_implIS3_Lb1EPKdPdPKlPlN2at6native12_GLOBAL__N_18offset_tEEE10hipError_tPvRmT1_PNSt15iterator_traitsISK_E10value_typeET2_T3_PNSL_ISQ_E10value_typeET4_jRbjT5_SW_jjP12ihipStream_tbEUlT_E_NS1_11comp_targetILNS1_3genE4ELNS1_11target_archE910ELNS1_3gpuE8ELNS1_3repE0EEENS1_30default_config_static_selectorELNS0_4arch9wavefront6targetE0EEEvSK_,"axG",@progbits,_ZN7rocprim17ROCPRIM_400000_NS6detail17trampoline_kernelINS0_14default_configENS1_36segmented_radix_sort_config_selectorIdlEEZNS1_25segmented_radix_sort_implIS3_Lb1EPKdPdPKlPlN2at6native12_GLOBAL__N_18offset_tEEE10hipError_tPvRmT1_PNSt15iterator_traitsISK_E10value_typeET2_T3_PNSL_ISQ_E10value_typeET4_jRbjT5_SW_jjP12ihipStream_tbEUlT_E_NS1_11comp_targetILNS1_3genE4ELNS1_11target_archE910ELNS1_3gpuE8ELNS1_3repE0EEENS1_30default_config_static_selectorELNS0_4arch9wavefront6targetE0EEEvSK_,comdat
.Lfunc_end1112:
	.size	_ZN7rocprim17ROCPRIM_400000_NS6detail17trampoline_kernelINS0_14default_configENS1_36segmented_radix_sort_config_selectorIdlEEZNS1_25segmented_radix_sort_implIS3_Lb1EPKdPdPKlPlN2at6native12_GLOBAL__N_18offset_tEEE10hipError_tPvRmT1_PNSt15iterator_traitsISK_E10value_typeET2_T3_PNSL_ISQ_E10value_typeET4_jRbjT5_SW_jjP12ihipStream_tbEUlT_E_NS1_11comp_targetILNS1_3genE4ELNS1_11target_archE910ELNS1_3gpuE8ELNS1_3repE0EEENS1_30default_config_static_selectorELNS0_4arch9wavefront6targetE0EEEvSK_, .Lfunc_end1112-_ZN7rocprim17ROCPRIM_400000_NS6detail17trampoline_kernelINS0_14default_configENS1_36segmented_radix_sort_config_selectorIdlEEZNS1_25segmented_radix_sort_implIS3_Lb1EPKdPdPKlPlN2at6native12_GLOBAL__N_18offset_tEEE10hipError_tPvRmT1_PNSt15iterator_traitsISK_E10value_typeET2_T3_PNSL_ISQ_E10value_typeET4_jRbjT5_SW_jjP12ihipStream_tbEUlT_E_NS1_11comp_targetILNS1_3genE4ELNS1_11target_archE910ELNS1_3gpuE8ELNS1_3repE0EEENS1_30default_config_static_selectorELNS0_4arch9wavefront6targetE0EEEvSK_
                                        ; -- End function
	.set _ZN7rocprim17ROCPRIM_400000_NS6detail17trampoline_kernelINS0_14default_configENS1_36segmented_radix_sort_config_selectorIdlEEZNS1_25segmented_radix_sort_implIS3_Lb1EPKdPdPKlPlN2at6native12_GLOBAL__N_18offset_tEEE10hipError_tPvRmT1_PNSt15iterator_traitsISK_E10value_typeET2_T3_PNSL_ISQ_E10value_typeET4_jRbjT5_SW_jjP12ihipStream_tbEUlT_E_NS1_11comp_targetILNS1_3genE4ELNS1_11target_archE910ELNS1_3gpuE8ELNS1_3repE0EEENS1_30default_config_static_selectorELNS0_4arch9wavefront6targetE0EEEvSK_.num_vgpr, 0
	.set _ZN7rocprim17ROCPRIM_400000_NS6detail17trampoline_kernelINS0_14default_configENS1_36segmented_radix_sort_config_selectorIdlEEZNS1_25segmented_radix_sort_implIS3_Lb1EPKdPdPKlPlN2at6native12_GLOBAL__N_18offset_tEEE10hipError_tPvRmT1_PNSt15iterator_traitsISK_E10value_typeET2_T3_PNSL_ISQ_E10value_typeET4_jRbjT5_SW_jjP12ihipStream_tbEUlT_E_NS1_11comp_targetILNS1_3genE4ELNS1_11target_archE910ELNS1_3gpuE8ELNS1_3repE0EEENS1_30default_config_static_selectorELNS0_4arch9wavefront6targetE0EEEvSK_.num_agpr, 0
	.set _ZN7rocprim17ROCPRIM_400000_NS6detail17trampoline_kernelINS0_14default_configENS1_36segmented_radix_sort_config_selectorIdlEEZNS1_25segmented_radix_sort_implIS3_Lb1EPKdPdPKlPlN2at6native12_GLOBAL__N_18offset_tEEE10hipError_tPvRmT1_PNSt15iterator_traitsISK_E10value_typeET2_T3_PNSL_ISQ_E10value_typeET4_jRbjT5_SW_jjP12ihipStream_tbEUlT_E_NS1_11comp_targetILNS1_3genE4ELNS1_11target_archE910ELNS1_3gpuE8ELNS1_3repE0EEENS1_30default_config_static_selectorELNS0_4arch9wavefront6targetE0EEEvSK_.numbered_sgpr, 0
	.set _ZN7rocprim17ROCPRIM_400000_NS6detail17trampoline_kernelINS0_14default_configENS1_36segmented_radix_sort_config_selectorIdlEEZNS1_25segmented_radix_sort_implIS3_Lb1EPKdPdPKlPlN2at6native12_GLOBAL__N_18offset_tEEE10hipError_tPvRmT1_PNSt15iterator_traitsISK_E10value_typeET2_T3_PNSL_ISQ_E10value_typeET4_jRbjT5_SW_jjP12ihipStream_tbEUlT_E_NS1_11comp_targetILNS1_3genE4ELNS1_11target_archE910ELNS1_3gpuE8ELNS1_3repE0EEENS1_30default_config_static_selectorELNS0_4arch9wavefront6targetE0EEEvSK_.num_named_barrier, 0
	.set _ZN7rocprim17ROCPRIM_400000_NS6detail17trampoline_kernelINS0_14default_configENS1_36segmented_radix_sort_config_selectorIdlEEZNS1_25segmented_radix_sort_implIS3_Lb1EPKdPdPKlPlN2at6native12_GLOBAL__N_18offset_tEEE10hipError_tPvRmT1_PNSt15iterator_traitsISK_E10value_typeET2_T3_PNSL_ISQ_E10value_typeET4_jRbjT5_SW_jjP12ihipStream_tbEUlT_E_NS1_11comp_targetILNS1_3genE4ELNS1_11target_archE910ELNS1_3gpuE8ELNS1_3repE0EEENS1_30default_config_static_selectorELNS0_4arch9wavefront6targetE0EEEvSK_.private_seg_size, 0
	.set _ZN7rocprim17ROCPRIM_400000_NS6detail17trampoline_kernelINS0_14default_configENS1_36segmented_radix_sort_config_selectorIdlEEZNS1_25segmented_radix_sort_implIS3_Lb1EPKdPdPKlPlN2at6native12_GLOBAL__N_18offset_tEEE10hipError_tPvRmT1_PNSt15iterator_traitsISK_E10value_typeET2_T3_PNSL_ISQ_E10value_typeET4_jRbjT5_SW_jjP12ihipStream_tbEUlT_E_NS1_11comp_targetILNS1_3genE4ELNS1_11target_archE910ELNS1_3gpuE8ELNS1_3repE0EEENS1_30default_config_static_selectorELNS0_4arch9wavefront6targetE0EEEvSK_.uses_vcc, 0
	.set _ZN7rocprim17ROCPRIM_400000_NS6detail17trampoline_kernelINS0_14default_configENS1_36segmented_radix_sort_config_selectorIdlEEZNS1_25segmented_radix_sort_implIS3_Lb1EPKdPdPKlPlN2at6native12_GLOBAL__N_18offset_tEEE10hipError_tPvRmT1_PNSt15iterator_traitsISK_E10value_typeET2_T3_PNSL_ISQ_E10value_typeET4_jRbjT5_SW_jjP12ihipStream_tbEUlT_E_NS1_11comp_targetILNS1_3genE4ELNS1_11target_archE910ELNS1_3gpuE8ELNS1_3repE0EEENS1_30default_config_static_selectorELNS0_4arch9wavefront6targetE0EEEvSK_.uses_flat_scratch, 0
	.set _ZN7rocprim17ROCPRIM_400000_NS6detail17trampoline_kernelINS0_14default_configENS1_36segmented_radix_sort_config_selectorIdlEEZNS1_25segmented_radix_sort_implIS3_Lb1EPKdPdPKlPlN2at6native12_GLOBAL__N_18offset_tEEE10hipError_tPvRmT1_PNSt15iterator_traitsISK_E10value_typeET2_T3_PNSL_ISQ_E10value_typeET4_jRbjT5_SW_jjP12ihipStream_tbEUlT_E_NS1_11comp_targetILNS1_3genE4ELNS1_11target_archE910ELNS1_3gpuE8ELNS1_3repE0EEENS1_30default_config_static_selectorELNS0_4arch9wavefront6targetE0EEEvSK_.has_dyn_sized_stack, 0
	.set _ZN7rocprim17ROCPRIM_400000_NS6detail17trampoline_kernelINS0_14default_configENS1_36segmented_radix_sort_config_selectorIdlEEZNS1_25segmented_radix_sort_implIS3_Lb1EPKdPdPKlPlN2at6native12_GLOBAL__N_18offset_tEEE10hipError_tPvRmT1_PNSt15iterator_traitsISK_E10value_typeET2_T3_PNSL_ISQ_E10value_typeET4_jRbjT5_SW_jjP12ihipStream_tbEUlT_E_NS1_11comp_targetILNS1_3genE4ELNS1_11target_archE910ELNS1_3gpuE8ELNS1_3repE0EEENS1_30default_config_static_selectorELNS0_4arch9wavefront6targetE0EEEvSK_.has_recursion, 0
	.set _ZN7rocprim17ROCPRIM_400000_NS6detail17trampoline_kernelINS0_14default_configENS1_36segmented_radix_sort_config_selectorIdlEEZNS1_25segmented_radix_sort_implIS3_Lb1EPKdPdPKlPlN2at6native12_GLOBAL__N_18offset_tEEE10hipError_tPvRmT1_PNSt15iterator_traitsISK_E10value_typeET2_T3_PNSL_ISQ_E10value_typeET4_jRbjT5_SW_jjP12ihipStream_tbEUlT_E_NS1_11comp_targetILNS1_3genE4ELNS1_11target_archE910ELNS1_3gpuE8ELNS1_3repE0EEENS1_30default_config_static_selectorELNS0_4arch9wavefront6targetE0EEEvSK_.has_indirect_call, 0
	.section	.AMDGPU.csdata,"",@progbits
; Kernel info:
; codeLenInByte = 0
; TotalNumSgprs: 0
; NumVgprs: 0
; ScratchSize: 0
; MemoryBound: 0
; FloatMode: 240
; IeeeMode: 1
; LDSByteSize: 0 bytes/workgroup (compile time only)
; SGPRBlocks: 0
; VGPRBlocks: 0
; NumSGPRsForWavesPerEU: 1
; NumVGPRsForWavesPerEU: 1
; Occupancy: 16
; WaveLimiterHint : 0
; COMPUTE_PGM_RSRC2:SCRATCH_EN: 0
; COMPUTE_PGM_RSRC2:USER_SGPR: 6
; COMPUTE_PGM_RSRC2:TRAP_HANDLER: 0
; COMPUTE_PGM_RSRC2:TGID_X_EN: 1
; COMPUTE_PGM_RSRC2:TGID_Y_EN: 0
; COMPUTE_PGM_RSRC2:TGID_Z_EN: 0
; COMPUTE_PGM_RSRC2:TIDIG_COMP_CNT: 0
	.section	.text._ZN7rocprim17ROCPRIM_400000_NS6detail17trampoline_kernelINS0_14default_configENS1_36segmented_radix_sort_config_selectorIdlEEZNS1_25segmented_radix_sort_implIS3_Lb1EPKdPdPKlPlN2at6native12_GLOBAL__N_18offset_tEEE10hipError_tPvRmT1_PNSt15iterator_traitsISK_E10value_typeET2_T3_PNSL_ISQ_E10value_typeET4_jRbjT5_SW_jjP12ihipStream_tbEUlT_E_NS1_11comp_targetILNS1_3genE3ELNS1_11target_archE908ELNS1_3gpuE7ELNS1_3repE0EEENS1_30default_config_static_selectorELNS0_4arch9wavefront6targetE0EEEvSK_,"axG",@progbits,_ZN7rocprim17ROCPRIM_400000_NS6detail17trampoline_kernelINS0_14default_configENS1_36segmented_radix_sort_config_selectorIdlEEZNS1_25segmented_radix_sort_implIS3_Lb1EPKdPdPKlPlN2at6native12_GLOBAL__N_18offset_tEEE10hipError_tPvRmT1_PNSt15iterator_traitsISK_E10value_typeET2_T3_PNSL_ISQ_E10value_typeET4_jRbjT5_SW_jjP12ihipStream_tbEUlT_E_NS1_11comp_targetILNS1_3genE3ELNS1_11target_archE908ELNS1_3gpuE7ELNS1_3repE0EEENS1_30default_config_static_selectorELNS0_4arch9wavefront6targetE0EEEvSK_,comdat
	.globl	_ZN7rocprim17ROCPRIM_400000_NS6detail17trampoline_kernelINS0_14default_configENS1_36segmented_radix_sort_config_selectorIdlEEZNS1_25segmented_radix_sort_implIS3_Lb1EPKdPdPKlPlN2at6native12_GLOBAL__N_18offset_tEEE10hipError_tPvRmT1_PNSt15iterator_traitsISK_E10value_typeET2_T3_PNSL_ISQ_E10value_typeET4_jRbjT5_SW_jjP12ihipStream_tbEUlT_E_NS1_11comp_targetILNS1_3genE3ELNS1_11target_archE908ELNS1_3gpuE7ELNS1_3repE0EEENS1_30default_config_static_selectorELNS0_4arch9wavefront6targetE0EEEvSK_ ; -- Begin function _ZN7rocprim17ROCPRIM_400000_NS6detail17trampoline_kernelINS0_14default_configENS1_36segmented_radix_sort_config_selectorIdlEEZNS1_25segmented_radix_sort_implIS3_Lb1EPKdPdPKlPlN2at6native12_GLOBAL__N_18offset_tEEE10hipError_tPvRmT1_PNSt15iterator_traitsISK_E10value_typeET2_T3_PNSL_ISQ_E10value_typeET4_jRbjT5_SW_jjP12ihipStream_tbEUlT_E_NS1_11comp_targetILNS1_3genE3ELNS1_11target_archE908ELNS1_3gpuE7ELNS1_3repE0EEENS1_30default_config_static_selectorELNS0_4arch9wavefront6targetE0EEEvSK_
	.p2align	8
	.type	_ZN7rocprim17ROCPRIM_400000_NS6detail17trampoline_kernelINS0_14default_configENS1_36segmented_radix_sort_config_selectorIdlEEZNS1_25segmented_radix_sort_implIS3_Lb1EPKdPdPKlPlN2at6native12_GLOBAL__N_18offset_tEEE10hipError_tPvRmT1_PNSt15iterator_traitsISK_E10value_typeET2_T3_PNSL_ISQ_E10value_typeET4_jRbjT5_SW_jjP12ihipStream_tbEUlT_E_NS1_11comp_targetILNS1_3genE3ELNS1_11target_archE908ELNS1_3gpuE7ELNS1_3repE0EEENS1_30default_config_static_selectorELNS0_4arch9wavefront6targetE0EEEvSK_,@function
_ZN7rocprim17ROCPRIM_400000_NS6detail17trampoline_kernelINS0_14default_configENS1_36segmented_radix_sort_config_selectorIdlEEZNS1_25segmented_radix_sort_implIS3_Lb1EPKdPdPKlPlN2at6native12_GLOBAL__N_18offset_tEEE10hipError_tPvRmT1_PNSt15iterator_traitsISK_E10value_typeET2_T3_PNSL_ISQ_E10value_typeET4_jRbjT5_SW_jjP12ihipStream_tbEUlT_E_NS1_11comp_targetILNS1_3genE3ELNS1_11target_archE908ELNS1_3gpuE7ELNS1_3repE0EEENS1_30default_config_static_selectorELNS0_4arch9wavefront6targetE0EEEvSK_: ; @_ZN7rocprim17ROCPRIM_400000_NS6detail17trampoline_kernelINS0_14default_configENS1_36segmented_radix_sort_config_selectorIdlEEZNS1_25segmented_radix_sort_implIS3_Lb1EPKdPdPKlPlN2at6native12_GLOBAL__N_18offset_tEEE10hipError_tPvRmT1_PNSt15iterator_traitsISK_E10value_typeET2_T3_PNSL_ISQ_E10value_typeET4_jRbjT5_SW_jjP12ihipStream_tbEUlT_E_NS1_11comp_targetILNS1_3genE3ELNS1_11target_archE908ELNS1_3gpuE7ELNS1_3repE0EEENS1_30default_config_static_selectorELNS0_4arch9wavefront6targetE0EEEvSK_
; %bb.0:
	.section	.rodata,"a",@progbits
	.p2align	6, 0x0
	.amdhsa_kernel _ZN7rocprim17ROCPRIM_400000_NS6detail17trampoline_kernelINS0_14default_configENS1_36segmented_radix_sort_config_selectorIdlEEZNS1_25segmented_radix_sort_implIS3_Lb1EPKdPdPKlPlN2at6native12_GLOBAL__N_18offset_tEEE10hipError_tPvRmT1_PNSt15iterator_traitsISK_E10value_typeET2_T3_PNSL_ISQ_E10value_typeET4_jRbjT5_SW_jjP12ihipStream_tbEUlT_E_NS1_11comp_targetILNS1_3genE3ELNS1_11target_archE908ELNS1_3gpuE7ELNS1_3repE0EEENS1_30default_config_static_selectorELNS0_4arch9wavefront6targetE0EEEvSK_
		.amdhsa_group_segment_fixed_size 0
		.amdhsa_private_segment_fixed_size 0
		.amdhsa_kernarg_size 96
		.amdhsa_user_sgpr_count 6
		.amdhsa_user_sgpr_private_segment_buffer 1
		.amdhsa_user_sgpr_dispatch_ptr 0
		.amdhsa_user_sgpr_queue_ptr 0
		.amdhsa_user_sgpr_kernarg_segment_ptr 1
		.amdhsa_user_sgpr_dispatch_id 0
		.amdhsa_user_sgpr_flat_scratch_init 0
		.amdhsa_user_sgpr_private_segment_size 0
		.amdhsa_wavefront_size32 1
		.amdhsa_uses_dynamic_stack 0
		.amdhsa_system_sgpr_private_segment_wavefront_offset 0
		.amdhsa_system_sgpr_workgroup_id_x 1
		.amdhsa_system_sgpr_workgroup_id_y 0
		.amdhsa_system_sgpr_workgroup_id_z 0
		.amdhsa_system_sgpr_workgroup_info 0
		.amdhsa_system_vgpr_workitem_id 0
		.amdhsa_next_free_vgpr 1
		.amdhsa_next_free_sgpr 1
		.amdhsa_reserve_vcc 0
		.amdhsa_reserve_flat_scratch 0
		.amdhsa_float_round_mode_32 0
		.amdhsa_float_round_mode_16_64 0
		.amdhsa_float_denorm_mode_32 3
		.amdhsa_float_denorm_mode_16_64 3
		.amdhsa_dx10_clamp 1
		.amdhsa_ieee_mode 1
		.amdhsa_fp16_overflow 0
		.amdhsa_workgroup_processor_mode 1
		.amdhsa_memory_ordered 1
		.amdhsa_forward_progress 1
		.amdhsa_shared_vgpr_count 0
		.amdhsa_exception_fp_ieee_invalid_op 0
		.amdhsa_exception_fp_denorm_src 0
		.amdhsa_exception_fp_ieee_div_zero 0
		.amdhsa_exception_fp_ieee_overflow 0
		.amdhsa_exception_fp_ieee_underflow 0
		.amdhsa_exception_fp_ieee_inexact 0
		.amdhsa_exception_int_div_zero 0
	.end_amdhsa_kernel
	.section	.text._ZN7rocprim17ROCPRIM_400000_NS6detail17trampoline_kernelINS0_14default_configENS1_36segmented_radix_sort_config_selectorIdlEEZNS1_25segmented_radix_sort_implIS3_Lb1EPKdPdPKlPlN2at6native12_GLOBAL__N_18offset_tEEE10hipError_tPvRmT1_PNSt15iterator_traitsISK_E10value_typeET2_T3_PNSL_ISQ_E10value_typeET4_jRbjT5_SW_jjP12ihipStream_tbEUlT_E_NS1_11comp_targetILNS1_3genE3ELNS1_11target_archE908ELNS1_3gpuE7ELNS1_3repE0EEENS1_30default_config_static_selectorELNS0_4arch9wavefront6targetE0EEEvSK_,"axG",@progbits,_ZN7rocprim17ROCPRIM_400000_NS6detail17trampoline_kernelINS0_14default_configENS1_36segmented_radix_sort_config_selectorIdlEEZNS1_25segmented_radix_sort_implIS3_Lb1EPKdPdPKlPlN2at6native12_GLOBAL__N_18offset_tEEE10hipError_tPvRmT1_PNSt15iterator_traitsISK_E10value_typeET2_T3_PNSL_ISQ_E10value_typeET4_jRbjT5_SW_jjP12ihipStream_tbEUlT_E_NS1_11comp_targetILNS1_3genE3ELNS1_11target_archE908ELNS1_3gpuE7ELNS1_3repE0EEENS1_30default_config_static_selectorELNS0_4arch9wavefront6targetE0EEEvSK_,comdat
.Lfunc_end1113:
	.size	_ZN7rocprim17ROCPRIM_400000_NS6detail17trampoline_kernelINS0_14default_configENS1_36segmented_radix_sort_config_selectorIdlEEZNS1_25segmented_radix_sort_implIS3_Lb1EPKdPdPKlPlN2at6native12_GLOBAL__N_18offset_tEEE10hipError_tPvRmT1_PNSt15iterator_traitsISK_E10value_typeET2_T3_PNSL_ISQ_E10value_typeET4_jRbjT5_SW_jjP12ihipStream_tbEUlT_E_NS1_11comp_targetILNS1_3genE3ELNS1_11target_archE908ELNS1_3gpuE7ELNS1_3repE0EEENS1_30default_config_static_selectorELNS0_4arch9wavefront6targetE0EEEvSK_, .Lfunc_end1113-_ZN7rocprim17ROCPRIM_400000_NS6detail17trampoline_kernelINS0_14default_configENS1_36segmented_radix_sort_config_selectorIdlEEZNS1_25segmented_radix_sort_implIS3_Lb1EPKdPdPKlPlN2at6native12_GLOBAL__N_18offset_tEEE10hipError_tPvRmT1_PNSt15iterator_traitsISK_E10value_typeET2_T3_PNSL_ISQ_E10value_typeET4_jRbjT5_SW_jjP12ihipStream_tbEUlT_E_NS1_11comp_targetILNS1_3genE3ELNS1_11target_archE908ELNS1_3gpuE7ELNS1_3repE0EEENS1_30default_config_static_selectorELNS0_4arch9wavefront6targetE0EEEvSK_
                                        ; -- End function
	.set _ZN7rocprim17ROCPRIM_400000_NS6detail17trampoline_kernelINS0_14default_configENS1_36segmented_radix_sort_config_selectorIdlEEZNS1_25segmented_radix_sort_implIS3_Lb1EPKdPdPKlPlN2at6native12_GLOBAL__N_18offset_tEEE10hipError_tPvRmT1_PNSt15iterator_traitsISK_E10value_typeET2_T3_PNSL_ISQ_E10value_typeET4_jRbjT5_SW_jjP12ihipStream_tbEUlT_E_NS1_11comp_targetILNS1_3genE3ELNS1_11target_archE908ELNS1_3gpuE7ELNS1_3repE0EEENS1_30default_config_static_selectorELNS0_4arch9wavefront6targetE0EEEvSK_.num_vgpr, 0
	.set _ZN7rocprim17ROCPRIM_400000_NS6detail17trampoline_kernelINS0_14default_configENS1_36segmented_radix_sort_config_selectorIdlEEZNS1_25segmented_radix_sort_implIS3_Lb1EPKdPdPKlPlN2at6native12_GLOBAL__N_18offset_tEEE10hipError_tPvRmT1_PNSt15iterator_traitsISK_E10value_typeET2_T3_PNSL_ISQ_E10value_typeET4_jRbjT5_SW_jjP12ihipStream_tbEUlT_E_NS1_11comp_targetILNS1_3genE3ELNS1_11target_archE908ELNS1_3gpuE7ELNS1_3repE0EEENS1_30default_config_static_selectorELNS0_4arch9wavefront6targetE0EEEvSK_.num_agpr, 0
	.set _ZN7rocprim17ROCPRIM_400000_NS6detail17trampoline_kernelINS0_14default_configENS1_36segmented_radix_sort_config_selectorIdlEEZNS1_25segmented_radix_sort_implIS3_Lb1EPKdPdPKlPlN2at6native12_GLOBAL__N_18offset_tEEE10hipError_tPvRmT1_PNSt15iterator_traitsISK_E10value_typeET2_T3_PNSL_ISQ_E10value_typeET4_jRbjT5_SW_jjP12ihipStream_tbEUlT_E_NS1_11comp_targetILNS1_3genE3ELNS1_11target_archE908ELNS1_3gpuE7ELNS1_3repE0EEENS1_30default_config_static_selectorELNS0_4arch9wavefront6targetE0EEEvSK_.numbered_sgpr, 0
	.set _ZN7rocprim17ROCPRIM_400000_NS6detail17trampoline_kernelINS0_14default_configENS1_36segmented_radix_sort_config_selectorIdlEEZNS1_25segmented_radix_sort_implIS3_Lb1EPKdPdPKlPlN2at6native12_GLOBAL__N_18offset_tEEE10hipError_tPvRmT1_PNSt15iterator_traitsISK_E10value_typeET2_T3_PNSL_ISQ_E10value_typeET4_jRbjT5_SW_jjP12ihipStream_tbEUlT_E_NS1_11comp_targetILNS1_3genE3ELNS1_11target_archE908ELNS1_3gpuE7ELNS1_3repE0EEENS1_30default_config_static_selectorELNS0_4arch9wavefront6targetE0EEEvSK_.num_named_barrier, 0
	.set _ZN7rocprim17ROCPRIM_400000_NS6detail17trampoline_kernelINS0_14default_configENS1_36segmented_radix_sort_config_selectorIdlEEZNS1_25segmented_radix_sort_implIS3_Lb1EPKdPdPKlPlN2at6native12_GLOBAL__N_18offset_tEEE10hipError_tPvRmT1_PNSt15iterator_traitsISK_E10value_typeET2_T3_PNSL_ISQ_E10value_typeET4_jRbjT5_SW_jjP12ihipStream_tbEUlT_E_NS1_11comp_targetILNS1_3genE3ELNS1_11target_archE908ELNS1_3gpuE7ELNS1_3repE0EEENS1_30default_config_static_selectorELNS0_4arch9wavefront6targetE0EEEvSK_.private_seg_size, 0
	.set _ZN7rocprim17ROCPRIM_400000_NS6detail17trampoline_kernelINS0_14default_configENS1_36segmented_radix_sort_config_selectorIdlEEZNS1_25segmented_radix_sort_implIS3_Lb1EPKdPdPKlPlN2at6native12_GLOBAL__N_18offset_tEEE10hipError_tPvRmT1_PNSt15iterator_traitsISK_E10value_typeET2_T3_PNSL_ISQ_E10value_typeET4_jRbjT5_SW_jjP12ihipStream_tbEUlT_E_NS1_11comp_targetILNS1_3genE3ELNS1_11target_archE908ELNS1_3gpuE7ELNS1_3repE0EEENS1_30default_config_static_selectorELNS0_4arch9wavefront6targetE0EEEvSK_.uses_vcc, 0
	.set _ZN7rocprim17ROCPRIM_400000_NS6detail17trampoline_kernelINS0_14default_configENS1_36segmented_radix_sort_config_selectorIdlEEZNS1_25segmented_radix_sort_implIS3_Lb1EPKdPdPKlPlN2at6native12_GLOBAL__N_18offset_tEEE10hipError_tPvRmT1_PNSt15iterator_traitsISK_E10value_typeET2_T3_PNSL_ISQ_E10value_typeET4_jRbjT5_SW_jjP12ihipStream_tbEUlT_E_NS1_11comp_targetILNS1_3genE3ELNS1_11target_archE908ELNS1_3gpuE7ELNS1_3repE0EEENS1_30default_config_static_selectorELNS0_4arch9wavefront6targetE0EEEvSK_.uses_flat_scratch, 0
	.set _ZN7rocprim17ROCPRIM_400000_NS6detail17trampoline_kernelINS0_14default_configENS1_36segmented_radix_sort_config_selectorIdlEEZNS1_25segmented_radix_sort_implIS3_Lb1EPKdPdPKlPlN2at6native12_GLOBAL__N_18offset_tEEE10hipError_tPvRmT1_PNSt15iterator_traitsISK_E10value_typeET2_T3_PNSL_ISQ_E10value_typeET4_jRbjT5_SW_jjP12ihipStream_tbEUlT_E_NS1_11comp_targetILNS1_3genE3ELNS1_11target_archE908ELNS1_3gpuE7ELNS1_3repE0EEENS1_30default_config_static_selectorELNS0_4arch9wavefront6targetE0EEEvSK_.has_dyn_sized_stack, 0
	.set _ZN7rocprim17ROCPRIM_400000_NS6detail17trampoline_kernelINS0_14default_configENS1_36segmented_radix_sort_config_selectorIdlEEZNS1_25segmented_radix_sort_implIS3_Lb1EPKdPdPKlPlN2at6native12_GLOBAL__N_18offset_tEEE10hipError_tPvRmT1_PNSt15iterator_traitsISK_E10value_typeET2_T3_PNSL_ISQ_E10value_typeET4_jRbjT5_SW_jjP12ihipStream_tbEUlT_E_NS1_11comp_targetILNS1_3genE3ELNS1_11target_archE908ELNS1_3gpuE7ELNS1_3repE0EEENS1_30default_config_static_selectorELNS0_4arch9wavefront6targetE0EEEvSK_.has_recursion, 0
	.set _ZN7rocprim17ROCPRIM_400000_NS6detail17trampoline_kernelINS0_14default_configENS1_36segmented_radix_sort_config_selectorIdlEEZNS1_25segmented_radix_sort_implIS3_Lb1EPKdPdPKlPlN2at6native12_GLOBAL__N_18offset_tEEE10hipError_tPvRmT1_PNSt15iterator_traitsISK_E10value_typeET2_T3_PNSL_ISQ_E10value_typeET4_jRbjT5_SW_jjP12ihipStream_tbEUlT_E_NS1_11comp_targetILNS1_3genE3ELNS1_11target_archE908ELNS1_3gpuE7ELNS1_3repE0EEENS1_30default_config_static_selectorELNS0_4arch9wavefront6targetE0EEEvSK_.has_indirect_call, 0
	.section	.AMDGPU.csdata,"",@progbits
; Kernel info:
; codeLenInByte = 0
; TotalNumSgprs: 0
; NumVgprs: 0
; ScratchSize: 0
; MemoryBound: 0
; FloatMode: 240
; IeeeMode: 1
; LDSByteSize: 0 bytes/workgroup (compile time only)
; SGPRBlocks: 0
; VGPRBlocks: 0
; NumSGPRsForWavesPerEU: 1
; NumVGPRsForWavesPerEU: 1
; Occupancy: 16
; WaveLimiterHint : 0
; COMPUTE_PGM_RSRC2:SCRATCH_EN: 0
; COMPUTE_PGM_RSRC2:USER_SGPR: 6
; COMPUTE_PGM_RSRC2:TRAP_HANDLER: 0
; COMPUTE_PGM_RSRC2:TGID_X_EN: 1
; COMPUTE_PGM_RSRC2:TGID_Y_EN: 0
; COMPUTE_PGM_RSRC2:TGID_Z_EN: 0
; COMPUTE_PGM_RSRC2:TIDIG_COMP_CNT: 0
	.section	.text._ZN7rocprim17ROCPRIM_400000_NS6detail17trampoline_kernelINS0_14default_configENS1_36segmented_radix_sort_config_selectorIdlEEZNS1_25segmented_radix_sort_implIS3_Lb1EPKdPdPKlPlN2at6native12_GLOBAL__N_18offset_tEEE10hipError_tPvRmT1_PNSt15iterator_traitsISK_E10value_typeET2_T3_PNSL_ISQ_E10value_typeET4_jRbjT5_SW_jjP12ihipStream_tbEUlT_E_NS1_11comp_targetILNS1_3genE2ELNS1_11target_archE906ELNS1_3gpuE6ELNS1_3repE0EEENS1_30default_config_static_selectorELNS0_4arch9wavefront6targetE0EEEvSK_,"axG",@progbits,_ZN7rocprim17ROCPRIM_400000_NS6detail17trampoline_kernelINS0_14default_configENS1_36segmented_radix_sort_config_selectorIdlEEZNS1_25segmented_radix_sort_implIS3_Lb1EPKdPdPKlPlN2at6native12_GLOBAL__N_18offset_tEEE10hipError_tPvRmT1_PNSt15iterator_traitsISK_E10value_typeET2_T3_PNSL_ISQ_E10value_typeET4_jRbjT5_SW_jjP12ihipStream_tbEUlT_E_NS1_11comp_targetILNS1_3genE2ELNS1_11target_archE906ELNS1_3gpuE6ELNS1_3repE0EEENS1_30default_config_static_selectorELNS0_4arch9wavefront6targetE0EEEvSK_,comdat
	.globl	_ZN7rocprim17ROCPRIM_400000_NS6detail17trampoline_kernelINS0_14default_configENS1_36segmented_radix_sort_config_selectorIdlEEZNS1_25segmented_radix_sort_implIS3_Lb1EPKdPdPKlPlN2at6native12_GLOBAL__N_18offset_tEEE10hipError_tPvRmT1_PNSt15iterator_traitsISK_E10value_typeET2_T3_PNSL_ISQ_E10value_typeET4_jRbjT5_SW_jjP12ihipStream_tbEUlT_E_NS1_11comp_targetILNS1_3genE2ELNS1_11target_archE906ELNS1_3gpuE6ELNS1_3repE0EEENS1_30default_config_static_selectorELNS0_4arch9wavefront6targetE0EEEvSK_ ; -- Begin function _ZN7rocprim17ROCPRIM_400000_NS6detail17trampoline_kernelINS0_14default_configENS1_36segmented_radix_sort_config_selectorIdlEEZNS1_25segmented_radix_sort_implIS3_Lb1EPKdPdPKlPlN2at6native12_GLOBAL__N_18offset_tEEE10hipError_tPvRmT1_PNSt15iterator_traitsISK_E10value_typeET2_T3_PNSL_ISQ_E10value_typeET4_jRbjT5_SW_jjP12ihipStream_tbEUlT_E_NS1_11comp_targetILNS1_3genE2ELNS1_11target_archE906ELNS1_3gpuE6ELNS1_3repE0EEENS1_30default_config_static_selectorELNS0_4arch9wavefront6targetE0EEEvSK_
	.p2align	8
	.type	_ZN7rocprim17ROCPRIM_400000_NS6detail17trampoline_kernelINS0_14default_configENS1_36segmented_radix_sort_config_selectorIdlEEZNS1_25segmented_radix_sort_implIS3_Lb1EPKdPdPKlPlN2at6native12_GLOBAL__N_18offset_tEEE10hipError_tPvRmT1_PNSt15iterator_traitsISK_E10value_typeET2_T3_PNSL_ISQ_E10value_typeET4_jRbjT5_SW_jjP12ihipStream_tbEUlT_E_NS1_11comp_targetILNS1_3genE2ELNS1_11target_archE906ELNS1_3gpuE6ELNS1_3repE0EEENS1_30default_config_static_selectorELNS0_4arch9wavefront6targetE0EEEvSK_,@function
_ZN7rocprim17ROCPRIM_400000_NS6detail17trampoline_kernelINS0_14default_configENS1_36segmented_radix_sort_config_selectorIdlEEZNS1_25segmented_radix_sort_implIS3_Lb1EPKdPdPKlPlN2at6native12_GLOBAL__N_18offset_tEEE10hipError_tPvRmT1_PNSt15iterator_traitsISK_E10value_typeET2_T3_PNSL_ISQ_E10value_typeET4_jRbjT5_SW_jjP12ihipStream_tbEUlT_E_NS1_11comp_targetILNS1_3genE2ELNS1_11target_archE906ELNS1_3gpuE6ELNS1_3repE0EEENS1_30default_config_static_selectorELNS0_4arch9wavefront6targetE0EEEvSK_: ; @_ZN7rocprim17ROCPRIM_400000_NS6detail17trampoline_kernelINS0_14default_configENS1_36segmented_radix_sort_config_selectorIdlEEZNS1_25segmented_radix_sort_implIS3_Lb1EPKdPdPKlPlN2at6native12_GLOBAL__N_18offset_tEEE10hipError_tPvRmT1_PNSt15iterator_traitsISK_E10value_typeET2_T3_PNSL_ISQ_E10value_typeET4_jRbjT5_SW_jjP12ihipStream_tbEUlT_E_NS1_11comp_targetILNS1_3genE2ELNS1_11target_archE906ELNS1_3gpuE6ELNS1_3repE0EEENS1_30default_config_static_selectorELNS0_4arch9wavefront6targetE0EEEvSK_
; %bb.0:
	.section	.rodata,"a",@progbits
	.p2align	6, 0x0
	.amdhsa_kernel _ZN7rocprim17ROCPRIM_400000_NS6detail17trampoline_kernelINS0_14default_configENS1_36segmented_radix_sort_config_selectorIdlEEZNS1_25segmented_radix_sort_implIS3_Lb1EPKdPdPKlPlN2at6native12_GLOBAL__N_18offset_tEEE10hipError_tPvRmT1_PNSt15iterator_traitsISK_E10value_typeET2_T3_PNSL_ISQ_E10value_typeET4_jRbjT5_SW_jjP12ihipStream_tbEUlT_E_NS1_11comp_targetILNS1_3genE2ELNS1_11target_archE906ELNS1_3gpuE6ELNS1_3repE0EEENS1_30default_config_static_selectorELNS0_4arch9wavefront6targetE0EEEvSK_
		.amdhsa_group_segment_fixed_size 0
		.amdhsa_private_segment_fixed_size 0
		.amdhsa_kernarg_size 96
		.amdhsa_user_sgpr_count 6
		.amdhsa_user_sgpr_private_segment_buffer 1
		.amdhsa_user_sgpr_dispatch_ptr 0
		.amdhsa_user_sgpr_queue_ptr 0
		.amdhsa_user_sgpr_kernarg_segment_ptr 1
		.amdhsa_user_sgpr_dispatch_id 0
		.amdhsa_user_sgpr_flat_scratch_init 0
		.amdhsa_user_sgpr_private_segment_size 0
		.amdhsa_wavefront_size32 1
		.amdhsa_uses_dynamic_stack 0
		.amdhsa_system_sgpr_private_segment_wavefront_offset 0
		.amdhsa_system_sgpr_workgroup_id_x 1
		.amdhsa_system_sgpr_workgroup_id_y 0
		.amdhsa_system_sgpr_workgroup_id_z 0
		.amdhsa_system_sgpr_workgroup_info 0
		.amdhsa_system_vgpr_workitem_id 0
		.amdhsa_next_free_vgpr 1
		.amdhsa_next_free_sgpr 1
		.amdhsa_reserve_vcc 0
		.amdhsa_reserve_flat_scratch 0
		.amdhsa_float_round_mode_32 0
		.amdhsa_float_round_mode_16_64 0
		.amdhsa_float_denorm_mode_32 3
		.amdhsa_float_denorm_mode_16_64 3
		.amdhsa_dx10_clamp 1
		.amdhsa_ieee_mode 1
		.amdhsa_fp16_overflow 0
		.amdhsa_workgroup_processor_mode 1
		.amdhsa_memory_ordered 1
		.amdhsa_forward_progress 1
		.amdhsa_shared_vgpr_count 0
		.amdhsa_exception_fp_ieee_invalid_op 0
		.amdhsa_exception_fp_denorm_src 0
		.amdhsa_exception_fp_ieee_div_zero 0
		.amdhsa_exception_fp_ieee_overflow 0
		.amdhsa_exception_fp_ieee_underflow 0
		.amdhsa_exception_fp_ieee_inexact 0
		.amdhsa_exception_int_div_zero 0
	.end_amdhsa_kernel
	.section	.text._ZN7rocprim17ROCPRIM_400000_NS6detail17trampoline_kernelINS0_14default_configENS1_36segmented_radix_sort_config_selectorIdlEEZNS1_25segmented_radix_sort_implIS3_Lb1EPKdPdPKlPlN2at6native12_GLOBAL__N_18offset_tEEE10hipError_tPvRmT1_PNSt15iterator_traitsISK_E10value_typeET2_T3_PNSL_ISQ_E10value_typeET4_jRbjT5_SW_jjP12ihipStream_tbEUlT_E_NS1_11comp_targetILNS1_3genE2ELNS1_11target_archE906ELNS1_3gpuE6ELNS1_3repE0EEENS1_30default_config_static_selectorELNS0_4arch9wavefront6targetE0EEEvSK_,"axG",@progbits,_ZN7rocprim17ROCPRIM_400000_NS6detail17trampoline_kernelINS0_14default_configENS1_36segmented_radix_sort_config_selectorIdlEEZNS1_25segmented_radix_sort_implIS3_Lb1EPKdPdPKlPlN2at6native12_GLOBAL__N_18offset_tEEE10hipError_tPvRmT1_PNSt15iterator_traitsISK_E10value_typeET2_T3_PNSL_ISQ_E10value_typeET4_jRbjT5_SW_jjP12ihipStream_tbEUlT_E_NS1_11comp_targetILNS1_3genE2ELNS1_11target_archE906ELNS1_3gpuE6ELNS1_3repE0EEENS1_30default_config_static_selectorELNS0_4arch9wavefront6targetE0EEEvSK_,comdat
.Lfunc_end1114:
	.size	_ZN7rocprim17ROCPRIM_400000_NS6detail17trampoline_kernelINS0_14default_configENS1_36segmented_radix_sort_config_selectorIdlEEZNS1_25segmented_radix_sort_implIS3_Lb1EPKdPdPKlPlN2at6native12_GLOBAL__N_18offset_tEEE10hipError_tPvRmT1_PNSt15iterator_traitsISK_E10value_typeET2_T3_PNSL_ISQ_E10value_typeET4_jRbjT5_SW_jjP12ihipStream_tbEUlT_E_NS1_11comp_targetILNS1_3genE2ELNS1_11target_archE906ELNS1_3gpuE6ELNS1_3repE0EEENS1_30default_config_static_selectorELNS0_4arch9wavefront6targetE0EEEvSK_, .Lfunc_end1114-_ZN7rocprim17ROCPRIM_400000_NS6detail17trampoline_kernelINS0_14default_configENS1_36segmented_radix_sort_config_selectorIdlEEZNS1_25segmented_radix_sort_implIS3_Lb1EPKdPdPKlPlN2at6native12_GLOBAL__N_18offset_tEEE10hipError_tPvRmT1_PNSt15iterator_traitsISK_E10value_typeET2_T3_PNSL_ISQ_E10value_typeET4_jRbjT5_SW_jjP12ihipStream_tbEUlT_E_NS1_11comp_targetILNS1_3genE2ELNS1_11target_archE906ELNS1_3gpuE6ELNS1_3repE0EEENS1_30default_config_static_selectorELNS0_4arch9wavefront6targetE0EEEvSK_
                                        ; -- End function
	.set _ZN7rocprim17ROCPRIM_400000_NS6detail17trampoline_kernelINS0_14default_configENS1_36segmented_radix_sort_config_selectorIdlEEZNS1_25segmented_radix_sort_implIS3_Lb1EPKdPdPKlPlN2at6native12_GLOBAL__N_18offset_tEEE10hipError_tPvRmT1_PNSt15iterator_traitsISK_E10value_typeET2_T3_PNSL_ISQ_E10value_typeET4_jRbjT5_SW_jjP12ihipStream_tbEUlT_E_NS1_11comp_targetILNS1_3genE2ELNS1_11target_archE906ELNS1_3gpuE6ELNS1_3repE0EEENS1_30default_config_static_selectorELNS0_4arch9wavefront6targetE0EEEvSK_.num_vgpr, 0
	.set _ZN7rocprim17ROCPRIM_400000_NS6detail17trampoline_kernelINS0_14default_configENS1_36segmented_radix_sort_config_selectorIdlEEZNS1_25segmented_radix_sort_implIS3_Lb1EPKdPdPKlPlN2at6native12_GLOBAL__N_18offset_tEEE10hipError_tPvRmT1_PNSt15iterator_traitsISK_E10value_typeET2_T3_PNSL_ISQ_E10value_typeET4_jRbjT5_SW_jjP12ihipStream_tbEUlT_E_NS1_11comp_targetILNS1_3genE2ELNS1_11target_archE906ELNS1_3gpuE6ELNS1_3repE0EEENS1_30default_config_static_selectorELNS0_4arch9wavefront6targetE0EEEvSK_.num_agpr, 0
	.set _ZN7rocprim17ROCPRIM_400000_NS6detail17trampoline_kernelINS0_14default_configENS1_36segmented_radix_sort_config_selectorIdlEEZNS1_25segmented_radix_sort_implIS3_Lb1EPKdPdPKlPlN2at6native12_GLOBAL__N_18offset_tEEE10hipError_tPvRmT1_PNSt15iterator_traitsISK_E10value_typeET2_T3_PNSL_ISQ_E10value_typeET4_jRbjT5_SW_jjP12ihipStream_tbEUlT_E_NS1_11comp_targetILNS1_3genE2ELNS1_11target_archE906ELNS1_3gpuE6ELNS1_3repE0EEENS1_30default_config_static_selectorELNS0_4arch9wavefront6targetE0EEEvSK_.numbered_sgpr, 0
	.set _ZN7rocprim17ROCPRIM_400000_NS6detail17trampoline_kernelINS0_14default_configENS1_36segmented_radix_sort_config_selectorIdlEEZNS1_25segmented_radix_sort_implIS3_Lb1EPKdPdPKlPlN2at6native12_GLOBAL__N_18offset_tEEE10hipError_tPvRmT1_PNSt15iterator_traitsISK_E10value_typeET2_T3_PNSL_ISQ_E10value_typeET4_jRbjT5_SW_jjP12ihipStream_tbEUlT_E_NS1_11comp_targetILNS1_3genE2ELNS1_11target_archE906ELNS1_3gpuE6ELNS1_3repE0EEENS1_30default_config_static_selectorELNS0_4arch9wavefront6targetE0EEEvSK_.num_named_barrier, 0
	.set _ZN7rocprim17ROCPRIM_400000_NS6detail17trampoline_kernelINS0_14default_configENS1_36segmented_radix_sort_config_selectorIdlEEZNS1_25segmented_radix_sort_implIS3_Lb1EPKdPdPKlPlN2at6native12_GLOBAL__N_18offset_tEEE10hipError_tPvRmT1_PNSt15iterator_traitsISK_E10value_typeET2_T3_PNSL_ISQ_E10value_typeET4_jRbjT5_SW_jjP12ihipStream_tbEUlT_E_NS1_11comp_targetILNS1_3genE2ELNS1_11target_archE906ELNS1_3gpuE6ELNS1_3repE0EEENS1_30default_config_static_selectorELNS0_4arch9wavefront6targetE0EEEvSK_.private_seg_size, 0
	.set _ZN7rocprim17ROCPRIM_400000_NS6detail17trampoline_kernelINS0_14default_configENS1_36segmented_radix_sort_config_selectorIdlEEZNS1_25segmented_radix_sort_implIS3_Lb1EPKdPdPKlPlN2at6native12_GLOBAL__N_18offset_tEEE10hipError_tPvRmT1_PNSt15iterator_traitsISK_E10value_typeET2_T3_PNSL_ISQ_E10value_typeET4_jRbjT5_SW_jjP12ihipStream_tbEUlT_E_NS1_11comp_targetILNS1_3genE2ELNS1_11target_archE906ELNS1_3gpuE6ELNS1_3repE0EEENS1_30default_config_static_selectorELNS0_4arch9wavefront6targetE0EEEvSK_.uses_vcc, 0
	.set _ZN7rocprim17ROCPRIM_400000_NS6detail17trampoline_kernelINS0_14default_configENS1_36segmented_radix_sort_config_selectorIdlEEZNS1_25segmented_radix_sort_implIS3_Lb1EPKdPdPKlPlN2at6native12_GLOBAL__N_18offset_tEEE10hipError_tPvRmT1_PNSt15iterator_traitsISK_E10value_typeET2_T3_PNSL_ISQ_E10value_typeET4_jRbjT5_SW_jjP12ihipStream_tbEUlT_E_NS1_11comp_targetILNS1_3genE2ELNS1_11target_archE906ELNS1_3gpuE6ELNS1_3repE0EEENS1_30default_config_static_selectorELNS0_4arch9wavefront6targetE0EEEvSK_.uses_flat_scratch, 0
	.set _ZN7rocprim17ROCPRIM_400000_NS6detail17trampoline_kernelINS0_14default_configENS1_36segmented_radix_sort_config_selectorIdlEEZNS1_25segmented_radix_sort_implIS3_Lb1EPKdPdPKlPlN2at6native12_GLOBAL__N_18offset_tEEE10hipError_tPvRmT1_PNSt15iterator_traitsISK_E10value_typeET2_T3_PNSL_ISQ_E10value_typeET4_jRbjT5_SW_jjP12ihipStream_tbEUlT_E_NS1_11comp_targetILNS1_3genE2ELNS1_11target_archE906ELNS1_3gpuE6ELNS1_3repE0EEENS1_30default_config_static_selectorELNS0_4arch9wavefront6targetE0EEEvSK_.has_dyn_sized_stack, 0
	.set _ZN7rocprim17ROCPRIM_400000_NS6detail17trampoline_kernelINS0_14default_configENS1_36segmented_radix_sort_config_selectorIdlEEZNS1_25segmented_radix_sort_implIS3_Lb1EPKdPdPKlPlN2at6native12_GLOBAL__N_18offset_tEEE10hipError_tPvRmT1_PNSt15iterator_traitsISK_E10value_typeET2_T3_PNSL_ISQ_E10value_typeET4_jRbjT5_SW_jjP12ihipStream_tbEUlT_E_NS1_11comp_targetILNS1_3genE2ELNS1_11target_archE906ELNS1_3gpuE6ELNS1_3repE0EEENS1_30default_config_static_selectorELNS0_4arch9wavefront6targetE0EEEvSK_.has_recursion, 0
	.set _ZN7rocprim17ROCPRIM_400000_NS6detail17trampoline_kernelINS0_14default_configENS1_36segmented_radix_sort_config_selectorIdlEEZNS1_25segmented_radix_sort_implIS3_Lb1EPKdPdPKlPlN2at6native12_GLOBAL__N_18offset_tEEE10hipError_tPvRmT1_PNSt15iterator_traitsISK_E10value_typeET2_T3_PNSL_ISQ_E10value_typeET4_jRbjT5_SW_jjP12ihipStream_tbEUlT_E_NS1_11comp_targetILNS1_3genE2ELNS1_11target_archE906ELNS1_3gpuE6ELNS1_3repE0EEENS1_30default_config_static_selectorELNS0_4arch9wavefront6targetE0EEEvSK_.has_indirect_call, 0
	.section	.AMDGPU.csdata,"",@progbits
; Kernel info:
; codeLenInByte = 0
; TotalNumSgprs: 0
; NumVgprs: 0
; ScratchSize: 0
; MemoryBound: 0
; FloatMode: 240
; IeeeMode: 1
; LDSByteSize: 0 bytes/workgroup (compile time only)
; SGPRBlocks: 0
; VGPRBlocks: 0
; NumSGPRsForWavesPerEU: 1
; NumVGPRsForWavesPerEU: 1
; Occupancy: 16
; WaveLimiterHint : 0
; COMPUTE_PGM_RSRC2:SCRATCH_EN: 0
; COMPUTE_PGM_RSRC2:USER_SGPR: 6
; COMPUTE_PGM_RSRC2:TRAP_HANDLER: 0
; COMPUTE_PGM_RSRC2:TGID_X_EN: 1
; COMPUTE_PGM_RSRC2:TGID_Y_EN: 0
; COMPUTE_PGM_RSRC2:TGID_Z_EN: 0
; COMPUTE_PGM_RSRC2:TIDIG_COMP_CNT: 0
	.section	.text._ZN7rocprim17ROCPRIM_400000_NS6detail17trampoline_kernelINS0_14default_configENS1_36segmented_radix_sort_config_selectorIdlEEZNS1_25segmented_radix_sort_implIS3_Lb1EPKdPdPKlPlN2at6native12_GLOBAL__N_18offset_tEEE10hipError_tPvRmT1_PNSt15iterator_traitsISK_E10value_typeET2_T3_PNSL_ISQ_E10value_typeET4_jRbjT5_SW_jjP12ihipStream_tbEUlT_E_NS1_11comp_targetILNS1_3genE10ELNS1_11target_archE1201ELNS1_3gpuE5ELNS1_3repE0EEENS1_30default_config_static_selectorELNS0_4arch9wavefront6targetE0EEEvSK_,"axG",@progbits,_ZN7rocprim17ROCPRIM_400000_NS6detail17trampoline_kernelINS0_14default_configENS1_36segmented_radix_sort_config_selectorIdlEEZNS1_25segmented_radix_sort_implIS3_Lb1EPKdPdPKlPlN2at6native12_GLOBAL__N_18offset_tEEE10hipError_tPvRmT1_PNSt15iterator_traitsISK_E10value_typeET2_T3_PNSL_ISQ_E10value_typeET4_jRbjT5_SW_jjP12ihipStream_tbEUlT_E_NS1_11comp_targetILNS1_3genE10ELNS1_11target_archE1201ELNS1_3gpuE5ELNS1_3repE0EEENS1_30default_config_static_selectorELNS0_4arch9wavefront6targetE0EEEvSK_,comdat
	.globl	_ZN7rocprim17ROCPRIM_400000_NS6detail17trampoline_kernelINS0_14default_configENS1_36segmented_radix_sort_config_selectorIdlEEZNS1_25segmented_radix_sort_implIS3_Lb1EPKdPdPKlPlN2at6native12_GLOBAL__N_18offset_tEEE10hipError_tPvRmT1_PNSt15iterator_traitsISK_E10value_typeET2_T3_PNSL_ISQ_E10value_typeET4_jRbjT5_SW_jjP12ihipStream_tbEUlT_E_NS1_11comp_targetILNS1_3genE10ELNS1_11target_archE1201ELNS1_3gpuE5ELNS1_3repE0EEENS1_30default_config_static_selectorELNS0_4arch9wavefront6targetE0EEEvSK_ ; -- Begin function _ZN7rocprim17ROCPRIM_400000_NS6detail17trampoline_kernelINS0_14default_configENS1_36segmented_radix_sort_config_selectorIdlEEZNS1_25segmented_radix_sort_implIS3_Lb1EPKdPdPKlPlN2at6native12_GLOBAL__N_18offset_tEEE10hipError_tPvRmT1_PNSt15iterator_traitsISK_E10value_typeET2_T3_PNSL_ISQ_E10value_typeET4_jRbjT5_SW_jjP12ihipStream_tbEUlT_E_NS1_11comp_targetILNS1_3genE10ELNS1_11target_archE1201ELNS1_3gpuE5ELNS1_3repE0EEENS1_30default_config_static_selectorELNS0_4arch9wavefront6targetE0EEEvSK_
	.p2align	8
	.type	_ZN7rocprim17ROCPRIM_400000_NS6detail17trampoline_kernelINS0_14default_configENS1_36segmented_radix_sort_config_selectorIdlEEZNS1_25segmented_radix_sort_implIS3_Lb1EPKdPdPKlPlN2at6native12_GLOBAL__N_18offset_tEEE10hipError_tPvRmT1_PNSt15iterator_traitsISK_E10value_typeET2_T3_PNSL_ISQ_E10value_typeET4_jRbjT5_SW_jjP12ihipStream_tbEUlT_E_NS1_11comp_targetILNS1_3genE10ELNS1_11target_archE1201ELNS1_3gpuE5ELNS1_3repE0EEENS1_30default_config_static_selectorELNS0_4arch9wavefront6targetE0EEEvSK_,@function
_ZN7rocprim17ROCPRIM_400000_NS6detail17trampoline_kernelINS0_14default_configENS1_36segmented_radix_sort_config_selectorIdlEEZNS1_25segmented_radix_sort_implIS3_Lb1EPKdPdPKlPlN2at6native12_GLOBAL__N_18offset_tEEE10hipError_tPvRmT1_PNSt15iterator_traitsISK_E10value_typeET2_T3_PNSL_ISQ_E10value_typeET4_jRbjT5_SW_jjP12ihipStream_tbEUlT_E_NS1_11comp_targetILNS1_3genE10ELNS1_11target_archE1201ELNS1_3gpuE5ELNS1_3repE0EEENS1_30default_config_static_selectorELNS0_4arch9wavefront6targetE0EEEvSK_: ; @_ZN7rocprim17ROCPRIM_400000_NS6detail17trampoline_kernelINS0_14default_configENS1_36segmented_radix_sort_config_selectorIdlEEZNS1_25segmented_radix_sort_implIS3_Lb1EPKdPdPKlPlN2at6native12_GLOBAL__N_18offset_tEEE10hipError_tPvRmT1_PNSt15iterator_traitsISK_E10value_typeET2_T3_PNSL_ISQ_E10value_typeET4_jRbjT5_SW_jjP12ihipStream_tbEUlT_E_NS1_11comp_targetILNS1_3genE10ELNS1_11target_archE1201ELNS1_3gpuE5ELNS1_3repE0EEENS1_30default_config_static_selectorELNS0_4arch9wavefront6targetE0EEEvSK_
; %bb.0:
	.section	.rodata,"a",@progbits
	.p2align	6, 0x0
	.amdhsa_kernel _ZN7rocprim17ROCPRIM_400000_NS6detail17trampoline_kernelINS0_14default_configENS1_36segmented_radix_sort_config_selectorIdlEEZNS1_25segmented_radix_sort_implIS3_Lb1EPKdPdPKlPlN2at6native12_GLOBAL__N_18offset_tEEE10hipError_tPvRmT1_PNSt15iterator_traitsISK_E10value_typeET2_T3_PNSL_ISQ_E10value_typeET4_jRbjT5_SW_jjP12ihipStream_tbEUlT_E_NS1_11comp_targetILNS1_3genE10ELNS1_11target_archE1201ELNS1_3gpuE5ELNS1_3repE0EEENS1_30default_config_static_selectorELNS0_4arch9wavefront6targetE0EEEvSK_
		.amdhsa_group_segment_fixed_size 0
		.amdhsa_private_segment_fixed_size 0
		.amdhsa_kernarg_size 96
		.amdhsa_user_sgpr_count 6
		.amdhsa_user_sgpr_private_segment_buffer 1
		.amdhsa_user_sgpr_dispatch_ptr 0
		.amdhsa_user_sgpr_queue_ptr 0
		.amdhsa_user_sgpr_kernarg_segment_ptr 1
		.amdhsa_user_sgpr_dispatch_id 0
		.amdhsa_user_sgpr_flat_scratch_init 0
		.amdhsa_user_sgpr_private_segment_size 0
		.amdhsa_wavefront_size32 1
		.amdhsa_uses_dynamic_stack 0
		.amdhsa_system_sgpr_private_segment_wavefront_offset 0
		.amdhsa_system_sgpr_workgroup_id_x 1
		.amdhsa_system_sgpr_workgroup_id_y 0
		.amdhsa_system_sgpr_workgroup_id_z 0
		.amdhsa_system_sgpr_workgroup_info 0
		.amdhsa_system_vgpr_workitem_id 0
		.amdhsa_next_free_vgpr 1
		.amdhsa_next_free_sgpr 1
		.amdhsa_reserve_vcc 0
		.amdhsa_reserve_flat_scratch 0
		.amdhsa_float_round_mode_32 0
		.amdhsa_float_round_mode_16_64 0
		.amdhsa_float_denorm_mode_32 3
		.amdhsa_float_denorm_mode_16_64 3
		.amdhsa_dx10_clamp 1
		.amdhsa_ieee_mode 1
		.amdhsa_fp16_overflow 0
		.amdhsa_workgroup_processor_mode 1
		.amdhsa_memory_ordered 1
		.amdhsa_forward_progress 1
		.amdhsa_shared_vgpr_count 0
		.amdhsa_exception_fp_ieee_invalid_op 0
		.amdhsa_exception_fp_denorm_src 0
		.amdhsa_exception_fp_ieee_div_zero 0
		.amdhsa_exception_fp_ieee_overflow 0
		.amdhsa_exception_fp_ieee_underflow 0
		.amdhsa_exception_fp_ieee_inexact 0
		.amdhsa_exception_int_div_zero 0
	.end_amdhsa_kernel
	.section	.text._ZN7rocprim17ROCPRIM_400000_NS6detail17trampoline_kernelINS0_14default_configENS1_36segmented_radix_sort_config_selectorIdlEEZNS1_25segmented_radix_sort_implIS3_Lb1EPKdPdPKlPlN2at6native12_GLOBAL__N_18offset_tEEE10hipError_tPvRmT1_PNSt15iterator_traitsISK_E10value_typeET2_T3_PNSL_ISQ_E10value_typeET4_jRbjT5_SW_jjP12ihipStream_tbEUlT_E_NS1_11comp_targetILNS1_3genE10ELNS1_11target_archE1201ELNS1_3gpuE5ELNS1_3repE0EEENS1_30default_config_static_selectorELNS0_4arch9wavefront6targetE0EEEvSK_,"axG",@progbits,_ZN7rocprim17ROCPRIM_400000_NS6detail17trampoline_kernelINS0_14default_configENS1_36segmented_radix_sort_config_selectorIdlEEZNS1_25segmented_radix_sort_implIS3_Lb1EPKdPdPKlPlN2at6native12_GLOBAL__N_18offset_tEEE10hipError_tPvRmT1_PNSt15iterator_traitsISK_E10value_typeET2_T3_PNSL_ISQ_E10value_typeET4_jRbjT5_SW_jjP12ihipStream_tbEUlT_E_NS1_11comp_targetILNS1_3genE10ELNS1_11target_archE1201ELNS1_3gpuE5ELNS1_3repE0EEENS1_30default_config_static_selectorELNS0_4arch9wavefront6targetE0EEEvSK_,comdat
.Lfunc_end1115:
	.size	_ZN7rocprim17ROCPRIM_400000_NS6detail17trampoline_kernelINS0_14default_configENS1_36segmented_radix_sort_config_selectorIdlEEZNS1_25segmented_radix_sort_implIS3_Lb1EPKdPdPKlPlN2at6native12_GLOBAL__N_18offset_tEEE10hipError_tPvRmT1_PNSt15iterator_traitsISK_E10value_typeET2_T3_PNSL_ISQ_E10value_typeET4_jRbjT5_SW_jjP12ihipStream_tbEUlT_E_NS1_11comp_targetILNS1_3genE10ELNS1_11target_archE1201ELNS1_3gpuE5ELNS1_3repE0EEENS1_30default_config_static_selectorELNS0_4arch9wavefront6targetE0EEEvSK_, .Lfunc_end1115-_ZN7rocprim17ROCPRIM_400000_NS6detail17trampoline_kernelINS0_14default_configENS1_36segmented_radix_sort_config_selectorIdlEEZNS1_25segmented_radix_sort_implIS3_Lb1EPKdPdPKlPlN2at6native12_GLOBAL__N_18offset_tEEE10hipError_tPvRmT1_PNSt15iterator_traitsISK_E10value_typeET2_T3_PNSL_ISQ_E10value_typeET4_jRbjT5_SW_jjP12ihipStream_tbEUlT_E_NS1_11comp_targetILNS1_3genE10ELNS1_11target_archE1201ELNS1_3gpuE5ELNS1_3repE0EEENS1_30default_config_static_selectorELNS0_4arch9wavefront6targetE0EEEvSK_
                                        ; -- End function
	.set _ZN7rocprim17ROCPRIM_400000_NS6detail17trampoline_kernelINS0_14default_configENS1_36segmented_radix_sort_config_selectorIdlEEZNS1_25segmented_radix_sort_implIS3_Lb1EPKdPdPKlPlN2at6native12_GLOBAL__N_18offset_tEEE10hipError_tPvRmT1_PNSt15iterator_traitsISK_E10value_typeET2_T3_PNSL_ISQ_E10value_typeET4_jRbjT5_SW_jjP12ihipStream_tbEUlT_E_NS1_11comp_targetILNS1_3genE10ELNS1_11target_archE1201ELNS1_3gpuE5ELNS1_3repE0EEENS1_30default_config_static_selectorELNS0_4arch9wavefront6targetE0EEEvSK_.num_vgpr, 0
	.set _ZN7rocprim17ROCPRIM_400000_NS6detail17trampoline_kernelINS0_14default_configENS1_36segmented_radix_sort_config_selectorIdlEEZNS1_25segmented_radix_sort_implIS3_Lb1EPKdPdPKlPlN2at6native12_GLOBAL__N_18offset_tEEE10hipError_tPvRmT1_PNSt15iterator_traitsISK_E10value_typeET2_T3_PNSL_ISQ_E10value_typeET4_jRbjT5_SW_jjP12ihipStream_tbEUlT_E_NS1_11comp_targetILNS1_3genE10ELNS1_11target_archE1201ELNS1_3gpuE5ELNS1_3repE0EEENS1_30default_config_static_selectorELNS0_4arch9wavefront6targetE0EEEvSK_.num_agpr, 0
	.set _ZN7rocprim17ROCPRIM_400000_NS6detail17trampoline_kernelINS0_14default_configENS1_36segmented_radix_sort_config_selectorIdlEEZNS1_25segmented_radix_sort_implIS3_Lb1EPKdPdPKlPlN2at6native12_GLOBAL__N_18offset_tEEE10hipError_tPvRmT1_PNSt15iterator_traitsISK_E10value_typeET2_T3_PNSL_ISQ_E10value_typeET4_jRbjT5_SW_jjP12ihipStream_tbEUlT_E_NS1_11comp_targetILNS1_3genE10ELNS1_11target_archE1201ELNS1_3gpuE5ELNS1_3repE0EEENS1_30default_config_static_selectorELNS0_4arch9wavefront6targetE0EEEvSK_.numbered_sgpr, 0
	.set _ZN7rocprim17ROCPRIM_400000_NS6detail17trampoline_kernelINS0_14default_configENS1_36segmented_radix_sort_config_selectorIdlEEZNS1_25segmented_radix_sort_implIS3_Lb1EPKdPdPKlPlN2at6native12_GLOBAL__N_18offset_tEEE10hipError_tPvRmT1_PNSt15iterator_traitsISK_E10value_typeET2_T3_PNSL_ISQ_E10value_typeET4_jRbjT5_SW_jjP12ihipStream_tbEUlT_E_NS1_11comp_targetILNS1_3genE10ELNS1_11target_archE1201ELNS1_3gpuE5ELNS1_3repE0EEENS1_30default_config_static_selectorELNS0_4arch9wavefront6targetE0EEEvSK_.num_named_barrier, 0
	.set _ZN7rocprim17ROCPRIM_400000_NS6detail17trampoline_kernelINS0_14default_configENS1_36segmented_radix_sort_config_selectorIdlEEZNS1_25segmented_radix_sort_implIS3_Lb1EPKdPdPKlPlN2at6native12_GLOBAL__N_18offset_tEEE10hipError_tPvRmT1_PNSt15iterator_traitsISK_E10value_typeET2_T3_PNSL_ISQ_E10value_typeET4_jRbjT5_SW_jjP12ihipStream_tbEUlT_E_NS1_11comp_targetILNS1_3genE10ELNS1_11target_archE1201ELNS1_3gpuE5ELNS1_3repE0EEENS1_30default_config_static_selectorELNS0_4arch9wavefront6targetE0EEEvSK_.private_seg_size, 0
	.set _ZN7rocprim17ROCPRIM_400000_NS6detail17trampoline_kernelINS0_14default_configENS1_36segmented_radix_sort_config_selectorIdlEEZNS1_25segmented_radix_sort_implIS3_Lb1EPKdPdPKlPlN2at6native12_GLOBAL__N_18offset_tEEE10hipError_tPvRmT1_PNSt15iterator_traitsISK_E10value_typeET2_T3_PNSL_ISQ_E10value_typeET4_jRbjT5_SW_jjP12ihipStream_tbEUlT_E_NS1_11comp_targetILNS1_3genE10ELNS1_11target_archE1201ELNS1_3gpuE5ELNS1_3repE0EEENS1_30default_config_static_selectorELNS0_4arch9wavefront6targetE0EEEvSK_.uses_vcc, 0
	.set _ZN7rocprim17ROCPRIM_400000_NS6detail17trampoline_kernelINS0_14default_configENS1_36segmented_radix_sort_config_selectorIdlEEZNS1_25segmented_radix_sort_implIS3_Lb1EPKdPdPKlPlN2at6native12_GLOBAL__N_18offset_tEEE10hipError_tPvRmT1_PNSt15iterator_traitsISK_E10value_typeET2_T3_PNSL_ISQ_E10value_typeET4_jRbjT5_SW_jjP12ihipStream_tbEUlT_E_NS1_11comp_targetILNS1_3genE10ELNS1_11target_archE1201ELNS1_3gpuE5ELNS1_3repE0EEENS1_30default_config_static_selectorELNS0_4arch9wavefront6targetE0EEEvSK_.uses_flat_scratch, 0
	.set _ZN7rocprim17ROCPRIM_400000_NS6detail17trampoline_kernelINS0_14default_configENS1_36segmented_radix_sort_config_selectorIdlEEZNS1_25segmented_radix_sort_implIS3_Lb1EPKdPdPKlPlN2at6native12_GLOBAL__N_18offset_tEEE10hipError_tPvRmT1_PNSt15iterator_traitsISK_E10value_typeET2_T3_PNSL_ISQ_E10value_typeET4_jRbjT5_SW_jjP12ihipStream_tbEUlT_E_NS1_11comp_targetILNS1_3genE10ELNS1_11target_archE1201ELNS1_3gpuE5ELNS1_3repE0EEENS1_30default_config_static_selectorELNS0_4arch9wavefront6targetE0EEEvSK_.has_dyn_sized_stack, 0
	.set _ZN7rocprim17ROCPRIM_400000_NS6detail17trampoline_kernelINS0_14default_configENS1_36segmented_radix_sort_config_selectorIdlEEZNS1_25segmented_radix_sort_implIS3_Lb1EPKdPdPKlPlN2at6native12_GLOBAL__N_18offset_tEEE10hipError_tPvRmT1_PNSt15iterator_traitsISK_E10value_typeET2_T3_PNSL_ISQ_E10value_typeET4_jRbjT5_SW_jjP12ihipStream_tbEUlT_E_NS1_11comp_targetILNS1_3genE10ELNS1_11target_archE1201ELNS1_3gpuE5ELNS1_3repE0EEENS1_30default_config_static_selectorELNS0_4arch9wavefront6targetE0EEEvSK_.has_recursion, 0
	.set _ZN7rocprim17ROCPRIM_400000_NS6detail17trampoline_kernelINS0_14default_configENS1_36segmented_radix_sort_config_selectorIdlEEZNS1_25segmented_radix_sort_implIS3_Lb1EPKdPdPKlPlN2at6native12_GLOBAL__N_18offset_tEEE10hipError_tPvRmT1_PNSt15iterator_traitsISK_E10value_typeET2_T3_PNSL_ISQ_E10value_typeET4_jRbjT5_SW_jjP12ihipStream_tbEUlT_E_NS1_11comp_targetILNS1_3genE10ELNS1_11target_archE1201ELNS1_3gpuE5ELNS1_3repE0EEENS1_30default_config_static_selectorELNS0_4arch9wavefront6targetE0EEEvSK_.has_indirect_call, 0
	.section	.AMDGPU.csdata,"",@progbits
; Kernel info:
; codeLenInByte = 0
; TotalNumSgprs: 0
; NumVgprs: 0
; ScratchSize: 0
; MemoryBound: 0
; FloatMode: 240
; IeeeMode: 1
; LDSByteSize: 0 bytes/workgroup (compile time only)
; SGPRBlocks: 0
; VGPRBlocks: 0
; NumSGPRsForWavesPerEU: 1
; NumVGPRsForWavesPerEU: 1
; Occupancy: 16
; WaveLimiterHint : 0
; COMPUTE_PGM_RSRC2:SCRATCH_EN: 0
; COMPUTE_PGM_RSRC2:USER_SGPR: 6
; COMPUTE_PGM_RSRC2:TRAP_HANDLER: 0
; COMPUTE_PGM_RSRC2:TGID_X_EN: 1
; COMPUTE_PGM_RSRC2:TGID_Y_EN: 0
; COMPUTE_PGM_RSRC2:TGID_Z_EN: 0
; COMPUTE_PGM_RSRC2:TIDIG_COMP_CNT: 0
	.section	.text._ZN7rocprim17ROCPRIM_400000_NS6detail17trampoline_kernelINS0_14default_configENS1_36segmented_radix_sort_config_selectorIdlEEZNS1_25segmented_radix_sort_implIS3_Lb1EPKdPdPKlPlN2at6native12_GLOBAL__N_18offset_tEEE10hipError_tPvRmT1_PNSt15iterator_traitsISK_E10value_typeET2_T3_PNSL_ISQ_E10value_typeET4_jRbjT5_SW_jjP12ihipStream_tbEUlT_E_NS1_11comp_targetILNS1_3genE10ELNS1_11target_archE1200ELNS1_3gpuE4ELNS1_3repE0EEENS1_30default_config_static_selectorELNS0_4arch9wavefront6targetE0EEEvSK_,"axG",@progbits,_ZN7rocprim17ROCPRIM_400000_NS6detail17trampoline_kernelINS0_14default_configENS1_36segmented_radix_sort_config_selectorIdlEEZNS1_25segmented_radix_sort_implIS3_Lb1EPKdPdPKlPlN2at6native12_GLOBAL__N_18offset_tEEE10hipError_tPvRmT1_PNSt15iterator_traitsISK_E10value_typeET2_T3_PNSL_ISQ_E10value_typeET4_jRbjT5_SW_jjP12ihipStream_tbEUlT_E_NS1_11comp_targetILNS1_3genE10ELNS1_11target_archE1200ELNS1_3gpuE4ELNS1_3repE0EEENS1_30default_config_static_selectorELNS0_4arch9wavefront6targetE0EEEvSK_,comdat
	.globl	_ZN7rocprim17ROCPRIM_400000_NS6detail17trampoline_kernelINS0_14default_configENS1_36segmented_radix_sort_config_selectorIdlEEZNS1_25segmented_radix_sort_implIS3_Lb1EPKdPdPKlPlN2at6native12_GLOBAL__N_18offset_tEEE10hipError_tPvRmT1_PNSt15iterator_traitsISK_E10value_typeET2_T3_PNSL_ISQ_E10value_typeET4_jRbjT5_SW_jjP12ihipStream_tbEUlT_E_NS1_11comp_targetILNS1_3genE10ELNS1_11target_archE1200ELNS1_3gpuE4ELNS1_3repE0EEENS1_30default_config_static_selectorELNS0_4arch9wavefront6targetE0EEEvSK_ ; -- Begin function _ZN7rocprim17ROCPRIM_400000_NS6detail17trampoline_kernelINS0_14default_configENS1_36segmented_radix_sort_config_selectorIdlEEZNS1_25segmented_radix_sort_implIS3_Lb1EPKdPdPKlPlN2at6native12_GLOBAL__N_18offset_tEEE10hipError_tPvRmT1_PNSt15iterator_traitsISK_E10value_typeET2_T3_PNSL_ISQ_E10value_typeET4_jRbjT5_SW_jjP12ihipStream_tbEUlT_E_NS1_11comp_targetILNS1_3genE10ELNS1_11target_archE1200ELNS1_3gpuE4ELNS1_3repE0EEENS1_30default_config_static_selectorELNS0_4arch9wavefront6targetE0EEEvSK_
	.p2align	8
	.type	_ZN7rocprim17ROCPRIM_400000_NS6detail17trampoline_kernelINS0_14default_configENS1_36segmented_radix_sort_config_selectorIdlEEZNS1_25segmented_radix_sort_implIS3_Lb1EPKdPdPKlPlN2at6native12_GLOBAL__N_18offset_tEEE10hipError_tPvRmT1_PNSt15iterator_traitsISK_E10value_typeET2_T3_PNSL_ISQ_E10value_typeET4_jRbjT5_SW_jjP12ihipStream_tbEUlT_E_NS1_11comp_targetILNS1_3genE10ELNS1_11target_archE1200ELNS1_3gpuE4ELNS1_3repE0EEENS1_30default_config_static_selectorELNS0_4arch9wavefront6targetE0EEEvSK_,@function
_ZN7rocprim17ROCPRIM_400000_NS6detail17trampoline_kernelINS0_14default_configENS1_36segmented_radix_sort_config_selectorIdlEEZNS1_25segmented_radix_sort_implIS3_Lb1EPKdPdPKlPlN2at6native12_GLOBAL__N_18offset_tEEE10hipError_tPvRmT1_PNSt15iterator_traitsISK_E10value_typeET2_T3_PNSL_ISQ_E10value_typeET4_jRbjT5_SW_jjP12ihipStream_tbEUlT_E_NS1_11comp_targetILNS1_3genE10ELNS1_11target_archE1200ELNS1_3gpuE4ELNS1_3repE0EEENS1_30default_config_static_selectorELNS0_4arch9wavefront6targetE0EEEvSK_: ; @_ZN7rocprim17ROCPRIM_400000_NS6detail17trampoline_kernelINS0_14default_configENS1_36segmented_radix_sort_config_selectorIdlEEZNS1_25segmented_radix_sort_implIS3_Lb1EPKdPdPKlPlN2at6native12_GLOBAL__N_18offset_tEEE10hipError_tPvRmT1_PNSt15iterator_traitsISK_E10value_typeET2_T3_PNSL_ISQ_E10value_typeET4_jRbjT5_SW_jjP12ihipStream_tbEUlT_E_NS1_11comp_targetILNS1_3genE10ELNS1_11target_archE1200ELNS1_3gpuE4ELNS1_3repE0EEENS1_30default_config_static_selectorELNS0_4arch9wavefront6targetE0EEEvSK_
; %bb.0:
	.section	.rodata,"a",@progbits
	.p2align	6, 0x0
	.amdhsa_kernel _ZN7rocprim17ROCPRIM_400000_NS6detail17trampoline_kernelINS0_14default_configENS1_36segmented_radix_sort_config_selectorIdlEEZNS1_25segmented_radix_sort_implIS3_Lb1EPKdPdPKlPlN2at6native12_GLOBAL__N_18offset_tEEE10hipError_tPvRmT1_PNSt15iterator_traitsISK_E10value_typeET2_T3_PNSL_ISQ_E10value_typeET4_jRbjT5_SW_jjP12ihipStream_tbEUlT_E_NS1_11comp_targetILNS1_3genE10ELNS1_11target_archE1200ELNS1_3gpuE4ELNS1_3repE0EEENS1_30default_config_static_selectorELNS0_4arch9wavefront6targetE0EEEvSK_
		.amdhsa_group_segment_fixed_size 0
		.amdhsa_private_segment_fixed_size 0
		.amdhsa_kernarg_size 96
		.amdhsa_user_sgpr_count 6
		.amdhsa_user_sgpr_private_segment_buffer 1
		.amdhsa_user_sgpr_dispatch_ptr 0
		.amdhsa_user_sgpr_queue_ptr 0
		.amdhsa_user_sgpr_kernarg_segment_ptr 1
		.amdhsa_user_sgpr_dispatch_id 0
		.amdhsa_user_sgpr_flat_scratch_init 0
		.amdhsa_user_sgpr_private_segment_size 0
		.amdhsa_wavefront_size32 1
		.amdhsa_uses_dynamic_stack 0
		.amdhsa_system_sgpr_private_segment_wavefront_offset 0
		.amdhsa_system_sgpr_workgroup_id_x 1
		.amdhsa_system_sgpr_workgroup_id_y 0
		.amdhsa_system_sgpr_workgroup_id_z 0
		.amdhsa_system_sgpr_workgroup_info 0
		.amdhsa_system_vgpr_workitem_id 0
		.amdhsa_next_free_vgpr 1
		.amdhsa_next_free_sgpr 1
		.amdhsa_reserve_vcc 0
		.amdhsa_reserve_flat_scratch 0
		.amdhsa_float_round_mode_32 0
		.amdhsa_float_round_mode_16_64 0
		.amdhsa_float_denorm_mode_32 3
		.amdhsa_float_denorm_mode_16_64 3
		.amdhsa_dx10_clamp 1
		.amdhsa_ieee_mode 1
		.amdhsa_fp16_overflow 0
		.amdhsa_workgroup_processor_mode 1
		.amdhsa_memory_ordered 1
		.amdhsa_forward_progress 1
		.amdhsa_shared_vgpr_count 0
		.amdhsa_exception_fp_ieee_invalid_op 0
		.amdhsa_exception_fp_denorm_src 0
		.amdhsa_exception_fp_ieee_div_zero 0
		.amdhsa_exception_fp_ieee_overflow 0
		.amdhsa_exception_fp_ieee_underflow 0
		.amdhsa_exception_fp_ieee_inexact 0
		.amdhsa_exception_int_div_zero 0
	.end_amdhsa_kernel
	.section	.text._ZN7rocprim17ROCPRIM_400000_NS6detail17trampoline_kernelINS0_14default_configENS1_36segmented_radix_sort_config_selectorIdlEEZNS1_25segmented_radix_sort_implIS3_Lb1EPKdPdPKlPlN2at6native12_GLOBAL__N_18offset_tEEE10hipError_tPvRmT1_PNSt15iterator_traitsISK_E10value_typeET2_T3_PNSL_ISQ_E10value_typeET4_jRbjT5_SW_jjP12ihipStream_tbEUlT_E_NS1_11comp_targetILNS1_3genE10ELNS1_11target_archE1200ELNS1_3gpuE4ELNS1_3repE0EEENS1_30default_config_static_selectorELNS0_4arch9wavefront6targetE0EEEvSK_,"axG",@progbits,_ZN7rocprim17ROCPRIM_400000_NS6detail17trampoline_kernelINS0_14default_configENS1_36segmented_radix_sort_config_selectorIdlEEZNS1_25segmented_radix_sort_implIS3_Lb1EPKdPdPKlPlN2at6native12_GLOBAL__N_18offset_tEEE10hipError_tPvRmT1_PNSt15iterator_traitsISK_E10value_typeET2_T3_PNSL_ISQ_E10value_typeET4_jRbjT5_SW_jjP12ihipStream_tbEUlT_E_NS1_11comp_targetILNS1_3genE10ELNS1_11target_archE1200ELNS1_3gpuE4ELNS1_3repE0EEENS1_30default_config_static_selectorELNS0_4arch9wavefront6targetE0EEEvSK_,comdat
.Lfunc_end1116:
	.size	_ZN7rocprim17ROCPRIM_400000_NS6detail17trampoline_kernelINS0_14default_configENS1_36segmented_radix_sort_config_selectorIdlEEZNS1_25segmented_radix_sort_implIS3_Lb1EPKdPdPKlPlN2at6native12_GLOBAL__N_18offset_tEEE10hipError_tPvRmT1_PNSt15iterator_traitsISK_E10value_typeET2_T3_PNSL_ISQ_E10value_typeET4_jRbjT5_SW_jjP12ihipStream_tbEUlT_E_NS1_11comp_targetILNS1_3genE10ELNS1_11target_archE1200ELNS1_3gpuE4ELNS1_3repE0EEENS1_30default_config_static_selectorELNS0_4arch9wavefront6targetE0EEEvSK_, .Lfunc_end1116-_ZN7rocprim17ROCPRIM_400000_NS6detail17trampoline_kernelINS0_14default_configENS1_36segmented_radix_sort_config_selectorIdlEEZNS1_25segmented_radix_sort_implIS3_Lb1EPKdPdPKlPlN2at6native12_GLOBAL__N_18offset_tEEE10hipError_tPvRmT1_PNSt15iterator_traitsISK_E10value_typeET2_T3_PNSL_ISQ_E10value_typeET4_jRbjT5_SW_jjP12ihipStream_tbEUlT_E_NS1_11comp_targetILNS1_3genE10ELNS1_11target_archE1200ELNS1_3gpuE4ELNS1_3repE0EEENS1_30default_config_static_selectorELNS0_4arch9wavefront6targetE0EEEvSK_
                                        ; -- End function
	.set _ZN7rocprim17ROCPRIM_400000_NS6detail17trampoline_kernelINS0_14default_configENS1_36segmented_radix_sort_config_selectorIdlEEZNS1_25segmented_radix_sort_implIS3_Lb1EPKdPdPKlPlN2at6native12_GLOBAL__N_18offset_tEEE10hipError_tPvRmT1_PNSt15iterator_traitsISK_E10value_typeET2_T3_PNSL_ISQ_E10value_typeET4_jRbjT5_SW_jjP12ihipStream_tbEUlT_E_NS1_11comp_targetILNS1_3genE10ELNS1_11target_archE1200ELNS1_3gpuE4ELNS1_3repE0EEENS1_30default_config_static_selectorELNS0_4arch9wavefront6targetE0EEEvSK_.num_vgpr, 0
	.set _ZN7rocprim17ROCPRIM_400000_NS6detail17trampoline_kernelINS0_14default_configENS1_36segmented_radix_sort_config_selectorIdlEEZNS1_25segmented_radix_sort_implIS3_Lb1EPKdPdPKlPlN2at6native12_GLOBAL__N_18offset_tEEE10hipError_tPvRmT1_PNSt15iterator_traitsISK_E10value_typeET2_T3_PNSL_ISQ_E10value_typeET4_jRbjT5_SW_jjP12ihipStream_tbEUlT_E_NS1_11comp_targetILNS1_3genE10ELNS1_11target_archE1200ELNS1_3gpuE4ELNS1_3repE0EEENS1_30default_config_static_selectorELNS0_4arch9wavefront6targetE0EEEvSK_.num_agpr, 0
	.set _ZN7rocprim17ROCPRIM_400000_NS6detail17trampoline_kernelINS0_14default_configENS1_36segmented_radix_sort_config_selectorIdlEEZNS1_25segmented_radix_sort_implIS3_Lb1EPKdPdPKlPlN2at6native12_GLOBAL__N_18offset_tEEE10hipError_tPvRmT1_PNSt15iterator_traitsISK_E10value_typeET2_T3_PNSL_ISQ_E10value_typeET4_jRbjT5_SW_jjP12ihipStream_tbEUlT_E_NS1_11comp_targetILNS1_3genE10ELNS1_11target_archE1200ELNS1_3gpuE4ELNS1_3repE0EEENS1_30default_config_static_selectorELNS0_4arch9wavefront6targetE0EEEvSK_.numbered_sgpr, 0
	.set _ZN7rocprim17ROCPRIM_400000_NS6detail17trampoline_kernelINS0_14default_configENS1_36segmented_radix_sort_config_selectorIdlEEZNS1_25segmented_radix_sort_implIS3_Lb1EPKdPdPKlPlN2at6native12_GLOBAL__N_18offset_tEEE10hipError_tPvRmT1_PNSt15iterator_traitsISK_E10value_typeET2_T3_PNSL_ISQ_E10value_typeET4_jRbjT5_SW_jjP12ihipStream_tbEUlT_E_NS1_11comp_targetILNS1_3genE10ELNS1_11target_archE1200ELNS1_3gpuE4ELNS1_3repE0EEENS1_30default_config_static_selectorELNS0_4arch9wavefront6targetE0EEEvSK_.num_named_barrier, 0
	.set _ZN7rocprim17ROCPRIM_400000_NS6detail17trampoline_kernelINS0_14default_configENS1_36segmented_radix_sort_config_selectorIdlEEZNS1_25segmented_radix_sort_implIS3_Lb1EPKdPdPKlPlN2at6native12_GLOBAL__N_18offset_tEEE10hipError_tPvRmT1_PNSt15iterator_traitsISK_E10value_typeET2_T3_PNSL_ISQ_E10value_typeET4_jRbjT5_SW_jjP12ihipStream_tbEUlT_E_NS1_11comp_targetILNS1_3genE10ELNS1_11target_archE1200ELNS1_3gpuE4ELNS1_3repE0EEENS1_30default_config_static_selectorELNS0_4arch9wavefront6targetE0EEEvSK_.private_seg_size, 0
	.set _ZN7rocprim17ROCPRIM_400000_NS6detail17trampoline_kernelINS0_14default_configENS1_36segmented_radix_sort_config_selectorIdlEEZNS1_25segmented_radix_sort_implIS3_Lb1EPKdPdPKlPlN2at6native12_GLOBAL__N_18offset_tEEE10hipError_tPvRmT1_PNSt15iterator_traitsISK_E10value_typeET2_T3_PNSL_ISQ_E10value_typeET4_jRbjT5_SW_jjP12ihipStream_tbEUlT_E_NS1_11comp_targetILNS1_3genE10ELNS1_11target_archE1200ELNS1_3gpuE4ELNS1_3repE0EEENS1_30default_config_static_selectorELNS0_4arch9wavefront6targetE0EEEvSK_.uses_vcc, 0
	.set _ZN7rocprim17ROCPRIM_400000_NS6detail17trampoline_kernelINS0_14default_configENS1_36segmented_radix_sort_config_selectorIdlEEZNS1_25segmented_radix_sort_implIS3_Lb1EPKdPdPKlPlN2at6native12_GLOBAL__N_18offset_tEEE10hipError_tPvRmT1_PNSt15iterator_traitsISK_E10value_typeET2_T3_PNSL_ISQ_E10value_typeET4_jRbjT5_SW_jjP12ihipStream_tbEUlT_E_NS1_11comp_targetILNS1_3genE10ELNS1_11target_archE1200ELNS1_3gpuE4ELNS1_3repE0EEENS1_30default_config_static_selectorELNS0_4arch9wavefront6targetE0EEEvSK_.uses_flat_scratch, 0
	.set _ZN7rocprim17ROCPRIM_400000_NS6detail17trampoline_kernelINS0_14default_configENS1_36segmented_radix_sort_config_selectorIdlEEZNS1_25segmented_radix_sort_implIS3_Lb1EPKdPdPKlPlN2at6native12_GLOBAL__N_18offset_tEEE10hipError_tPvRmT1_PNSt15iterator_traitsISK_E10value_typeET2_T3_PNSL_ISQ_E10value_typeET4_jRbjT5_SW_jjP12ihipStream_tbEUlT_E_NS1_11comp_targetILNS1_3genE10ELNS1_11target_archE1200ELNS1_3gpuE4ELNS1_3repE0EEENS1_30default_config_static_selectorELNS0_4arch9wavefront6targetE0EEEvSK_.has_dyn_sized_stack, 0
	.set _ZN7rocprim17ROCPRIM_400000_NS6detail17trampoline_kernelINS0_14default_configENS1_36segmented_radix_sort_config_selectorIdlEEZNS1_25segmented_radix_sort_implIS3_Lb1EPKdPdPKlPlN2at6native12_GLOBAL__N_18offset_tEEE10hipError_tPvRmT1_PNSt15iterator_traitsISK_E10value_typeET2_T3_PNSL_ISQ_E10value_typeET4_jRbjT5_SW_jjP12ihipStream_tbEUlT_E_NS1_11comp_targetILNS1_3genE10ELNS1_11target_archE1200ELNS1_3gpuE4ELNS1_3repE0EEENS1_30default_config_static_selectorELNS0_4arch9wavefront6targetE0EEEvSK_.has_recursion, 0
	.set _ZN7rocprim17ROCPRIM_400000_NS6detail17trampoline_kernelINS0_14default_configENS1_36segmented_radix_sort_config_selectorIdlEEZNS1_25segmented_radix_sort_implIS3_Lb1EPKdPdPKlPlN2at6native12_GLOBAL__N_18offset_tEEE10hipError_tPvRmT1_PNSt15iterator_traitsISK_E10value_typeET2_T3_PNSL_ISQ_E10value_typeET4_jRbjT5_SW_jjP12ihipStream_tbEUlT_E_NS1_11comp_targetILNS1_3genE10ELNS1_11target_archE1200ELNS1_3gpuE4ELNS1_3repE0EEENS1_30default_config_static_selectorELNS0_4arch9wavefront6targetE0EEEvSK_.has_indirect_call, 0
	.section	.AMDGPU.csdata,"",@progbits
; Kernel info:
; codeLenInByte = 0
; TotalNumSgprs: 0
; NumVgprs: 0
; ScratchSize: 0
; MemoryBound: 0
; FloatMode: 240
; IeeeMode: 1
; LDSByteSize: 0 bytes/workgroup (compile time only)
; SGPRBlocks: 0
; VGPRBlocks: 0
; NumSGPRsForWavesPerEU: 1
; NumVGPRsForWavesPerEU: 1
; Occupancy: 16
; WaveLimiterHint : 0
; COMPUTE_PGM_RSRC2:SCRATCH_EN: 0
; COMPUTE_PGM_RSRC2:USER_SGPR: 6
; COMPUTE_PGM_RSRC2:TRAP_HANDLER: 0
; COMPUTE_PGM_RSRC2:TGID_X_EN: 1
; COMPUTE_PGM_RSRC2:TGID_Y_EN: 0
; COMPUTE_PGM_RSRC2:TGID_Z_EN: 0
; COMPUTE_PGM_RSRC2:TIDIG_COMP_CNT: 0
	.section	.text._ZN7rocprim17ROCPRIM_400000_NS6detail17trampoline_kernelINS0_14default_configENS1_36segmented_radix_sort_config_selectorIdlEEZNS1_25segmented_radix_sort_implIS3_Lb1EPKdPdPKlPlN2at6native12_GLOBAL__N_18offset_tEEE10hipError_tPvRmT1_PNSt15iterator_traitsISK_E10value_typeET2_T3_PNSL_ISQ_E10value_typeET4_jRbjT5_SW_jjP12ihipStream_tbEUlT_E_NS1_11comp_targetILNS1_3genE9ELNS1_11target_archE1100ELNS1_3gpuE3ELNS1_3repE0EEENS1_30default_config_static_selectorELNS0_4arch9wavefront6targetE0EEEvSK_,"axG",@progbits,_ZN7rocprim17ROCPRIM_400000_NS6detail17trampoline_kernelINS0_14default_configENS1_36segmented_radix_sort_config_selectorIdlEEZNS1_25segmented_radix_sort_implIS3_Lb1EPKdPdPKlPlN2at6native12_GLOBAL__N_18offset_tEEE10hipError_tPvRmT1_PNSt15iterator_traitsISK_E10value_typeET2_T3_PNSL_ISQ_E10value_typeET4_jRbjT5_SW_jjP12ihipStream_tbEUlT_E_NS1_11comp_targetILNS1_3genE9ELNS1_11target_archE1100ELNS1_3gpuE3ELNS1_3repE0EEENS1_30default_config_static_selectorELNS0_4arch9wavefront6targetE0EEEvSK_,comdat
	.globl	_ZN7rocprim17ROCPRIM_400000_NS6detail17trampoline_kernelINS0_14default_configENS1_36segmented_radix_sort_config_selectorIdlEEZNS1_25segmented_radix_sort_implIS3_Lb1EPKdPdPKlPlN2at6native12_GLOBAL__N_18offset_tEEE10hipError_tPvRmT1_PNSt15iterator_traitsISK_E10value_typeET2_T3_PNSL_ISQ_E10value_typeET4_jRbjT5_SW_jjP12ihipStream_tbEUlT_E_NS1_11comp_targetILNS1_3genE9ELNS1_11target_archE1100ELNS1_3gpuE3ELNS1_3repE0EEENS1_30default_config_static_selectorELNS0_4arch9wavefront6targetE0EEEvSK_ ; -- Begin function _ZN7rocprim17ROCPRIM_400000_NS6detail17trampoline_kernelINS0_14default_configENS1_36segmented_radix_sort_config_selectorIdlEEZNS1_25segmented_radix_sort_implIS3_Lb1EPKdPdPKlPlN2at6native12_GLOBAL__N_18offset_tEEE10hipError_tPvRmT1_PNSt15iterator_traitsISK_E10value_typeET2_T3_PNSL_ISQ_E10value_typeET4_jRbjT5_SW_jjP12ihipStream_tbEUlT_E_NS1_11comp_targetILNS1_3genE9ELNS1_11target_archE1100ELNS1_3gpuE3ELNS1_3repE0EEENS1_30default_config_static_selectorELNS0_4arch9wavefront6targetE0EEEvSK_
	.p2align	8
	.type	_ZN7rocprim17ROCPRIM_400000_NS6detail17trampoline_kernelINS0_14default_configENS1_36segmented_radix_sort_config_selectorIdlEEZNS1_25segmented_radix_sort_implIS3_Lb1EPKdPdPKlPlN2at6native12_GLOBAL__N_18offset_tEEE10hipError_tPvRmT1_PNSt15iterator_traitsISK_E10value_typeET2_T3_PNSL_ISQ_E10value_typeET4_jRbjT5_SW_jjP12ihipStream_tbEUlT_E_NS1_11comp_targetILNS1_3genE9ELNS1_11target_archE1100ELNS1_3gpuE3ELNS1_3repE0EEENS1_30default_config_static_selectorELNS0_4arch9wavefront6targetE0EEEvSK_,@function
_ZN7rocprim17ROCPRIM_400000_NS6detail17trampoline_kernelINS0_14default_configENS1_36segmented_radix_sort_config_selectorIdlEEZNS1_25segmented_radix_sort_implIS3_Lb1EPKdPdPKlPlN2at6native12_GLOBAL__N_18offset_tEEE10hipError_tPvRmT1_PNSt15iterator_traitsISK_E10value_typeET2_T3_PNSL_ISQ_E10value_typeET4_jRbjT5_SW_jjP12ihipStream_tbEUlT_E_NS1_11comp_targetILNS1_3genE9ELNS1_11target_archE1100ELNS1_3gpuE3ELNS1_3repE0EEENS1_30default_config_static_selectorELNS0_4arch9wavefront6targetE0EEEvSK_: ; @_ZN7rocprim17ROCPRIM_400000_NS6detail17trampoline_kernelINS0_14default_configENS1_36segmented_radix_sort_config_selectorIdlEEZNS1_25segmented_radix_sort_implIS3_Lb1EPKdPdPKlPlN2at6native12_GLOBAL__N_18offset_tEEE10hipError_tPvRmT1_PNSt15iterator_traitsISK_E10value_typeET2_T3_PNSL_ISQ_E10value_typeET4_jRbjT5_SW_jjP12ihipStream_tbEUlT_E_NS1_11comp_targetILNS1_3genE9ELNS1_11target_archE1100ELNS1_3gpuE3ELNS1_3repE0EEENS1_30default_config_static_selectorELNS0_4arch9wavefront6targetE0EEEvSK_
; %bb.0:
	.section	.rodata,"a",@progbits
	.p2align	6, 0x0
	.amdhsa_kernel _ZN7rocprim17ROCPRIM_400000_NS6detail17trampoline_kernelINS0_14default_configENS1_36segmented_radix_sort_config_selectorIdlEEZNS1_25segmented_radix_sort_implIS3_Lb1EPKdPdPKlPlN2at6native12_GLOBAL__N_18offset_tEEE10hipError_tPvRmT1_PNSt15iterator_traitsISK_E10value_typeET2_T3_PNSL_ISQ_E10value_typeET4_jRbjT5_SW_jjP12ihipStream_tbEUlT_E_NS1_11comp_targetILNS1_3genE9ELNS1_11target_archE1100ELNS1_3gpuE3ELNS1_3repE0EEENS1_30default_config_static_selectorELNS0_4arch9wavefront6targetE0EEEvSK_
		.amdhsa_group_segment_fixed_size 0
		.amdhsa_private_segment_fixed_size 0
		.amdhsa_kernarg_size 96
		.amdhsa_user_sgpr_count 6
		.amdhsa_user_sgpr_private_segment_buffer 1
		.amdhsa_user_sgpr_dispatch_ptr 0
		.amdhsa_user_sgpr_queue_ptr 0
		.amdhsa_user_sgpr_kernarg_segment_ptr 1
		.amdhsa_user_sgpr_dispatch_id 0
		.amdhsa_user_sgpr_flat_scratch_init 0
		.amdhsa_user_sgpr_private_segment_size 0
		.amdhsa_wavefront_size32 1
		.amdhsa_uses_dynamic_stack 0
		.amdhsa_system_sgpr_private_segment_wavefront_offset 0
		.amdhsa_system_sgpr_workgroup_id_x 1
		.amdhsa_system_sgpr_workgroup_id_y 0
		.amdhsa_system_sgpr_workgroup_id_z 0
		.amdhsa_system_sgpr_workgroup_info 0
		.amdhsa_system_vgpr_workitem_id 0
		.amdhsa_next_free_vgpr 1
		.amdhsa_next_free_sgpr 1
		.amdhsa_reserve_vcc 0
		.amdhsa_reserve_flat_scratch 0
		.amdhsa_float_round_mode_32 0
		.amdhsa_float_round_mode_16_64 0
		.amdhsa_float_denorm_mode_32 3
		.amdhsa_float_denorm_mode_16_64 3
		.amdhsa_dx10_clamp 1
		.amdhsa_ieee_mode 1
		.amdhsa_fp16_overflow 0
		.amdhsa_workgroup_processor_mode 1
		.amdhsa_memory_ordered 1
		.amdhsa_forward_progress 1
		.amdhsa_shared_vgpr_count 0
		.amdhsa_exception_fp_ieee_invalid_op 0
		.amdhsa_exception_fp_denorm_src 0
		.amdhsa_exception_fp_ieee_div_zero 0
		.amdhsa_exception_fp_ieee_overflow 0
		.amdhsa_exception_fp_ieee_underflow 0
		.amdhsa_exception_fp_ieee_inexact 0
		.amdhsa_exception_int_div_zero 0
	.end_amdhsa_kernel
	.section	.text._ZN7rocprim17ROCPRIM_400000_NS6detail17trampoline_kernelINS0_14default_configENS1_36segmented_radix_sort_config_selectorIdlEEZNS1_25segmented_radix_sort_implIS3_Lb1EPKdPdPKlPlN2at6native12_GLOBAL__N_18offset_tEEE10hipError_tPvRmT1_PNSt15iterator_traitsISK_E10value_typeET2_T3_PNSL_ISQ_E10value_typeET4_jRbjT5_SW_jjP12ihipStream_tbEUlT_E_NS1_11comp_targetILNS1_3genE9ELNS1_11target_archE1100ELNS1_3gpuE3ELNS1_3repE0EEENS1_30default_config_static_selectorELNS0_4arch9wavefront6targetE0EEEvSK_,"axG",@progbits,_ZN7rocprim17ROCPRIM_400000_NS6detail17trampoline_kernelINS0_14default_configENS1_36segmented_radix_sort_config_selectorIdlEEZNS1_25segmented_radix_sort_implIS3_Lb1EPKdPdPKlPlN2at6native12_GLOBAL__N_18offset_tEEE10hipError_tPvRmT1_PNSt15iterator_traitsISK_E10value_typeET2_T3_PNSL_ISQ_E10value_typeET4_jRbjT5_SW_jjP12ihipStream_tbEUlT_E_NS1_11comp_targetILNS1_3genE9ELNS1_11target_archE1100ELNS1_3gpuE3ELNS1_3repE0EEENS1_30default_config_static_selectorELNS0_4arch9wavefront6targetE0EEEvSK_,comdat
.Lfunc_end1117:
	.size	_ZN7rocprim17ROCPRIM_400000_NS6detail17trampoline_kernelINS0_14default_configENS1_36segmented_radix_sort_config_selectorIdlEEZNS1_25segmented_radix_sort_implIS3_Lb1EPKdPdPKlPlN2at6native12_GLOBAL__N_18offset_tEEE10hipError_tPvRmT1_PNSt15iterator_traitsISK_E10value_typeET2_T3_PNSL_ISQ_E10value_typeET4_jRbjT5_SW_jjP12ihipStream_tbEUlT_E_NS1_11comp_targetILNS1_3genE9ELNS1_11target_archE1100ELNS1_3gpuE3ELNS1_3repE0EEENS1_30default_config_static_selectorELNS0_4arch9wavefront6targetE0EEEvSK_, .Lfunc_end1117-_ZN7rocprim17ROCPRIM_400000_NS6detail17trampoline_kernelINS0_14default_configENS1_36segmented_radix_sort_config_selectorIdlEEZNS1_25segmented_radix_sort_implIS3_Lb1EPKdPdPKlPlN2at6native12_GLOBAL__N_18offset_tEEE10hipError_tPvRmT1_PNSt15iterator_traitsISK_E10value_typeET2_T3_PNSL_ISQ_E10value_typeET4_jRbjT5_SW_jjP12ihipStream_tbEUlT_E_NS1_11comp_targetILNS1_3genE9ELNS1_11target_archE1100ELNS1_3gpuE3ELNS1_3repE0EEENS1_30default_config_static_selectorELNS0_4arch9wavefront6targetE0EEEvSK_
                                        ; -- End function
	.set _ZN7rocprim17ROCPRIM_400000_NS6detail17trampoline_kernelINS0_14default_configENS1_36segmented_radix_sort_config_selectorIdlEEZNS1_25segmented_radix_sort_implIS3_Lb1EPKdPdPKlPlN2at6native12_GLOBAL__N_18offset_tEEE10hipError_tPvRmT1_PNSt15iterator_traitsISK_E10value_typeET2_T3_PNSL_ISQ_E10value_typeET4_jRbjT5_SW_jjP12ihipStream_tbEUlT_E_NS1_11comp_targetILNS1_3genE9ELNS1_11target_archE1100ELNS1_3gpuE3ELNS1_3repE0EEENS1_30default_config_static_selectorELNS0_4arch9wavefront6targetE0EEEvSK_.num_vgpr, 0
	.set _ZN7rocprim17ROCPRIM_400000_NS6detail17trampoline_kernelINS0_14default_configENS1_36segmented_radix_sort_config_selectorIdlEEZNS1_25segmented_radix_sort_implIS3_Lb1EPKdPdPKlPlN2at6native12_GLOBAL__N_18offset_tEEE10hipError_tPvRmT1_PNSt15iterator_traitsISK_E10value_typeET2_T3_PNSL_ISQ_E10value_typeET4_jRbjT5_SW_jjP12ihipStream_tbEUlT_E_NS1_11comp_targetILNS1_3genE9ELNS1_11target_archE1100ELNS1_3gpuE3ELNS1_3repE0EEENS1_30default_config_static_selectorELNS0_4arch9wavefront6targetE0EEEvSK_.num_agpr, 0
	.set _ZN7rocprim17ROCPRIM_400000_NS6detail17trampoline_kernelINS0_14default_configENS1_36segmented_radix_sort_config_selectorIdlEEZNS1_25segmented_radix_sort_implIS3_Lb1EPKdPdPKlPlN2at6native12_GLOBAL__N_18offset_tEEE10hipError_tPvRmT1_PNSt15iterator_traitsISK_E10value_typeET2_T3_PNSL_ISQ_E10value_typeET4_jRbjT5_SW_jjP12ihipStream_tbEUlT_E_NS1_11comp_targetILNS1_3genE9ELNS1_11target_archE1100ELNS1_3gpuE3ELNS1_3repE0EEENS1_30default_config_static_selectorELNS0_4arch9wavefront6targetE0EEEvSK_.numbered_sgpr, 0
	.set _ZN7rocprim17ROCPRIM_400000_NS6detail17trampoline_kernelINS0_14default_configENS1_36segmented_radix_sort_config_selectorIdlEEZNS1_25segmented_radix_sort_implIS3_Lb1EPKdPdPKlPlN2at6native12_GLOBAL__N_18offset_tEEE10hipError_tPvRmT1_PNSt15iterator_traitsISK_E10value_typeET2_T3_PNSL_ISQ_E10value_typeET4_jRbjT5_SW_jjP12ihipStream_tbEUlT_E_NS1_11comp_targetILNS1_3genE9ELNS1_11target_archE1100ELNS1_3gpuE3ELNS1_3repE0EEENS1_30default_config_static_selectorELNS0_4arch9wavefront6targetE0EEEvSK_.num_named_barrier, 0
	.set _ZN7rocprim17ROCPRIM_400000_NS6detail17trampoline_kernelINS0_14default_configENS1_36segmented_radix_sort_config_selectorIdlEEZNS1_25segmented_radix_sort_implIS3_Lb1EPKdPdPKlPlN2at6native12_GLOBAL__N_18offset_tEEE10hipError_tPvRmT1_PNSt15iterator_traitsISK_E10value_typeET2_T3_PNSL_ISQ_E10value_typeET4_jRbjT5_SW_jjP12ihipStream_tbEUlT_E_NS1_11comp_targetILNS1_3genE9ELNS1_11target_archE1100ELNS1_3gpuE3ELNS1_3repE0EEENS1_30default_config_static_selectorELNS0_4arch9wavefront6targetE0EEEvSK_.private_seg_size, 0
	.set _ZN7rocprim17ROCPRIM_400000_NS6detail17trampoline_kernelINS0_14default_configENS1_36segmented_radix_sort_config_selectorIdlEEZNS1_25segmented_radix_sort_implIS3_Lb1EPKdPdPKlPlN2at6native12_GLOBAL__N_18offset_tEEE10hipError_tPvRmT1_PNSt15iterator_traitsISK_E10value_typeET2_T3_PNSL_ISQ_E10value_typeET4_jRbjT5_SW_jjP12ihipStream_tbEUlT_E_NS1_11comp_targetILNS1_3genE9ELNS1_11target_archE1100ELNS1_3gpuE3ELNS1_3repE0EEENS1_30default_config_static_selectorELNS0_4arch9wavefront6targetE0EEEvSK_.uses_vcc, 0
	.set _ZN7rocprim17ROCPRIM_400000_NS6detail17trampoline_kernelINS0_14default_configENS1_36segmented_radix_sort_config_selectorIdlEEZNS1_25segmented_radix_sort_implIS3_Lb1EPKdPdPKlPlN2at6native12_GLOBAL__N_18offset_tEEE10hipError_tPvRmT1_PNSt15iterator_traitsISK_E10value_typeET2_T3_PNSL_ISQ_E10value_typeET4_jRbjT5_SW_jjP12ihipStream_tbEUlT_E_NS1_11comp_targetILNS1_3genE9ELNS1_11target_archE1100ELNS1_3gpuE3ELNS1_3repE0EEENS1_30default_config_static_selectorELNS0_4arch9wavefront6targetE0EEEvSK_.uses_flat_scratch, 0
	.set _ZN7rocprim17ROCPRIM_400000_NS6detail17trampoline_kernelINS0_14default_configENS1_36segmented_radix_sort_config_selectorIdlEEZNS1_25segmented_radix_sort_implIS3_Lb1EPKdPdPKlPlN2at6native12_GLOBAL__N_18offset_tEEE10hipError_tPvRmT1_PNSt15iterator_traitsISK_E10value_typeET2_T3_PNSL_ISQ_E10value_typeET4_jRbjT5_SW_jjP12ihipStream_tbEUlT_E_NS1_11comp_targetILNS1_3genE9ELNS1_11target_archE1100ELNS1_3gpuE3ELNS1_3repE0EEENS1_30default_config_static_selectorELNS0_4arch9wavefront6targetE0EEEvSK_.has_dyn_sized_stack, 0
	.set _ZN7rocprim17ROCPRIM_400000_NS6detail17trampoline_kernelINS0_14default_configENS1_36segmented_radix_sort_config_selectorIdlEEZNS1_25segmented_radix_sort_implIS3_Lb1EPKdPdPKlPlN2at6native12_GLOBAL__N_18offset_tEEE10hipError_tPvRmT1_PNSt15iterator_traitsISK_E10value_typeET2_T3_PNSL_ISQ_E10value_typeET4_jRbjT5_SW_jjP12ihipStream_tbEUlT_E_NS1_11comp_targetILNS1_3genE9ELNS1_11target_archE1100ELNS1_3gpuE3ELNS1_3repE0EEENS1_30default_config_static_selectorELNS0_4arch9wavefront6targetE0EEEvSK_.has_recursion, 0
	.set _ZN7rocprim17ROCPRIM_400000_NS6detail17trampoline_kernelINS0_14default_configENS1_36segmented_radix_sort_config_selectorIdlEEZNS1_25segmented_radix_sort_implIS3_Lb1EPKdPdPKlPlN2at6native12_GLOBAL__N_18offset_tEEE10hipError_tPvRmT1_PNSt15iterator_traitsISK_E10value_typeET2_T3_PNSL_ISQ_E10value_typeET4_jRbjT5_SW_jjP12ihipStream_tbEUlT_E_NS1_11comp_targetILNS1_3genE9ELNS1_11target_archE1100ELNS1_3gpuE3ELNS1_3repE0EEENS1_30default_config_static_selectorELNS0_4arch9wavefront6targetE0EEEvSK_.has_indirect_call, 0
	.section	.AMDGPU.csdata,"",@progbits
; Kernel info:
; codeLenInByte = 0
; TotalNumSgprs: 0
; NumVgprs: 0
; ScratchSize: 0
; MemoryBound: 0
; FloatMode: 240
; IeeeMode: 1
; LDSByteSize: 0 bytes/workgroup (compile time only)
; SGPRBlocks: 0
; VGPRBlocks: 0
; NumSGPRsForWavesPerEU: 1
; NumVGPRsForWavesPerEU: 1
; Occupancy: 16
; WaveLimiterHint : 0
; COMPUTE_PGM_RSRC2:SCRATCH_EN: 0
; COMPUTE_PGM_RSRC2:USER_SGPR: 6
; COMPUTE_PGM_RSRC2:TRAP_HANDLER: 0
; COMPUTE_PGM_RSRC2:TGID_X_EN: 1
; COMPUTE_PGM_RSRC2:TGID_Y_EN: 0
; COMPUTE_PGM_RSRC2:TGID_Z_EN: 0
; COMPUTE_PGM_RSRC2:TIDIG_COMP_CNT: 0
	.text
	.p2align	2                               ; -- Begin function _ZN7rocprim17ROCPRIM_400000_NS6detail40segmented_radix_sort_single_block_helperIdlLj256ELj16ELb1EE4sortIPKdPdPKlPlEEbT_T0_T1_T2_jjjjRNS3_12storage_typeE
	.type	_ZN7rocprim17ROCPRIM_400000_NS6detail40segmented_radix_sort_single_block_helperIdlLj256ELj16ELb1EE4sortIPKdPdPKlPlEEbT_T0_T1_T2_jjjjRNS3_12storage_typeE,@function
_ZN7rocprim17ROCPRIM_400000_NS6detail40segmented_radix_sort_single_block_helperIdlLj256ELj16ELb1EE4sortIPKdPdPKlPlEEbT_T0_T1_T2_jjjjRNS3_12storage_typeE: ; @_ZN7rocprim17ROCPRIM_400000_NS6detail40segmented_radix_sort_single_block_helperIdlLj256ELj16ELb1EE4sortIPKdPdPKlPlEEbT_T0_T1_T2_jjjjRNS3_12storage_typeE
; %bb.0:
	s_waitcnt vmcnt(0) expcnt(0) lgkmcnt(0)
	buffer_store_dword v40, off, s[0:3], s32 offset:168 ; 4-byte Folded Spill
	buffer_store_dword v41, off, s[0:3], s32 offset:164 ; 4-byte Folded Spill
	;; [unrolled: 1-line block ×42, first 2 shown]
	buffer_store_dword v122, off, s[0:3], s32 ; 4-byte Folded Spill
	v_sub_nc_u32_e32 v119, v9, v8
	s_mov_b32 s24, exec_lo
	v_cmpx_gt_u32_e32 0x1001, v119
	s_cbranch_execz .LBB1118_372
; %bb.1:
	v_bfe_u32 v13, v31, 10, 10
	v_bfe_u32 v14, v31, 20, 10
	v_and_b32_e32 v21, 0x3ff, v31
	v_mbcnt_lo_u32_b32 v54, -1, 0
	s_mov_b32 s4, exec_lo
	v_cmpx_lt_u32_e32 0x800, v119
	s_xor_b32 s25, exec_lo, s4
	s_cbranch_execz .LBB1118_143
; %bb.2:
	s_load_dwordx2 s[4:5], s[8:9], 0x0
	v_mov_b32_e32 v9, 0
	v_lshlrev_b32_e32 v55, 3, v54
	v_lshlrev_b64 v[112:113], 3, v[8:9]
	v_add_co_u32 v0, vcc_lo, v0, v112
	v_add_co_ci_u32_e64 v1, null, v1, v113, vcc_lo
	v_add_co_u32 v0, vcc_lo, v0, v55
	v_add_co_ci_u32_e64 v1, null, 0, v1, vcc_lo
	s_waitcnt lgkmcnt(0)
	s_cmp_lt_u32 s13, s5
	s_cselect_b32 s5, 14, 20
	s_add_u32 s6, s8, s5
	s_addc_u32 s7, s9, 0
	s_cmp_lt_u32 s12, s4
	global_load_ushort v15, v9, s[6:7]
	s_cselect_b32 s4, 12, 18
	s_add_u32 s4, s8, s4
	s_addc_u32 s5, s9, 0
	global_load_ushort v16, v9, s[4:5]
	s_waitcnt vmcnt(1)
	v_mad_u32_u24 v13, v14, v15, v13
	s_waitcnt vmcnt(0)
	v_mad_u64_u32 v[114:115], null, v13, v16, v[21:22]
	v_mov_b32_e32 v13, -1
	v_mov_b32_e32 v15, -1
	;; [unrolled: 1-line block ×4, first 2 shown]
	v_lshlrev_b32_e32 v17, 4, v114
	v_and_b32_e32 v8, 0xfffffe00, v17
	v_lshlrev_b64 v[50:51], 3, v[8:9]
	v_or_b32_e32 v64, v8, v54
	v_add_co_u32 v52, vcc_lo, v0, v50
	v_add_co_ci_u32_e64 v53, null, v1, v51, vcc_lo
	v_cmp_lt_u32_e32 vcc_lo, v64, v119
	s_and_saveexec_b32 s4, vcc_lo
	s_cbranch_execz .LBB1118_4
; %bb.3:
	flat_load_dwordx2 v[15:16], v[52:53]
.LBB1118_4:
	s_or_b32 exec_lo, exec_lo, s4
	v_or_b32_e32 v0, 32, v64
	v_cmp_lt_u32_e64 s4, v0, v119
	s_and_saveexec_b32 s5, s4
	s_cbranch_execz .LBB1118_6
; %bb.5:
	flat_load_dwordx2 v[13:14], v[52:53] offset:256
.LBB1118_6:
	s_or_b32 exec_lo, exec_lo, s5
	v_or_b32_e32 v17, 64, v64
	v_mov_b32_e32 v0, -1
	v_mov_b32_e32 v8, -1
	v_mov_b32_e32 v1, -1
	v_mov_b32_e32 v9, -1
	v_cmp_lt_u32_e64 s5, v17, v119
	s_and_saveexec_b32 s6, s5
	s_cbranch_execz .LBB1118_8
; %bb.7:
	flat_load_dwordx2 v[8:9], v[52:53] offset:512
.LBB1118_8:
	s_or_b32 exec_lo, exec_lo, s6
	v_or_b32_e32 v17, 0x60, v64
	v_cmp_lt_u32_e64 s6, v17, v119
	s_and_saveexec_b32 s7, s6
	s_cbranch_execz .LBB1118_10
; %bb.9:
	flat_load_dwordx2 v[0:1], v[52:53] offset:768
.LBB1118_10:
	s_or_b32 exec_lo, exec_lo, s7
	v_or_b32_e32 v19, 0x80, v64
	v_mov_b32_e32 v17, -1
	v_mov_b32_e32 v26, -1
	v_mov_b32_e32 v18, -1
	v_mov_b32_e32 v27, -1
	v_cmp_lt_u32_e64 s7, v19, v119
	s_and_saveexec_b32 s10, s7
	s_cbranch_execz .LBB1118_12
; %bb.11:
	flat_load_dwordx2 v[26:27], v[52:53] offset:1024
.LBB1118_12:
	s_or_b32 exec_lo, exec_lo, s10
	v_or_b32_e32 v19, 0xa0, v64
	v_cmp_lt_u32_e64 s10, v19, v119
	s_and_saveexec_b32 s11, s10
	s_cbranch_execz .LBB1118_14
; %bb.13:
	flat_load_dwordx2 v[17:18], v[52:53] offset:1280
.LBB1118_14:
	s_or_b32 exec_lo, exec_lo, s11
	v_or_b32_e32 v22, 0xc0, v64
	v_mov_b32_e32 v19, -1
	v_mov_b32_e32 v28, -1
	v_mov_b32_e32 v20, -1
	v_mov_b32_e32 v29, -1
	v_cmp_lt_u32_e64 s11, v22, v119
	s_and_saveexec_b32 s14, s11
	s_cbranch_execz .LBB1118_16
; %bb.15:
	flat_load_dwordx2 v[28:29], v[52:53] offset:1536
.LBB1118_16:
	s_or_b32 exec_lo, exec_lo, s14
	v_or_b32_e32 v22, 0xe0, v64
	v_cmp_lt_u32_e64 s14, v22, v119
	s_and_saveexec_b32 s15, s14
	s_cbranch_execz .LBB1118_18
; %bb.17:
	flat_load_dwordx2 v[19:20], v[52:53] offset:1792
.LBB1118_18:
	s_or_b32 exec_lo, exec_lo, s15
	v_or_b32_e32 v30, 0x100, v64
	v_mov_b32_e32 v22, -1
	v_mov_b32_e32 v24, -1
	;; [unrolled: 1-line block ×4, first 2 shown]
	v_cmp_lt_u32_e64 s15, v30, v119
	s_and_saveexec_b32 s17, s15
	s_cbranch_execz .LBB1118_20
; %bb.19:
	v_add_co_u32 v24, s16, 0x800, v52
	v_add_co_ci_u32_e64 v25, null, 0, v53, s16
	flat_load_dwordx2 v[24:25], v[24:25]
.LBB1118_20:
	s_or_b32 exec_lo, exec_lo, s17
	v_or_b32_e32 v30, 0x120, v64
	v_cmp_lt_u32_e64 s16, v30, v119
	s_and_saveexec_b32 s18, s16
	s_cbranch_execz .LBB1118_22
; %bb.21:
	v_add_co_u32 v22, s17, 0x800, v52
	v_add_co_ci_u32_e64 v23, null, 0, v53, s17
	flat_load_dwordx2 v[22:23], v[22:23] offset:256
.LBB1118_22:
	s_or_b32 exec_lo, exec_lo, s18
	v_or_b32_e32 v32, 0x140, v64
	v_mov_b32_e32 v30, -1
	v_mov_b32_e32 v34, -1
	v_mov_b32_e32 v31, -1
	v_mov_b32_e32 v35, -1
	v_cmp_lt_u32_e64 s17, v32, v119
	s_and_saveexec_b32 s19, s17
	s_cbranch_execz .LBB1118_24
; %bb.23:
	v_add_co_u32 v32, s18, 0x800, v52
	v_add_co_ci_u32_e64 v33, null, 0, v53, s18
	flat_load_dwordx2 v[34:35], v[32:33] offset:512
.LBB1118_24:
	s_or_b32 exec_lo, exec_lo, s19
	v_or_b32_e32 v32, 0x160, v64
	v_cmp_lt_u32_e64 s18, v32, v119
	s_and_saveexec_b32 s20, s18
	s_cbranch_execz .LBB1118_26
; %bb.25:
	v_add_co_u32 v30, s19, 0x800, v52
	v_add_co_ci_u32_e64 v31, null, 0, v53, s19
	flat_load_dwordx2 v[30:31], v[30:31] offset:768
.LBB1118_26:
	s_or_b32 exec_lo, exec_lo, s20
	v_or_b32_e32 v36, 0x180, v64
	v_mov_b32_e32 v32, -1
	v_mov_b32_e32 v38, -1
	v_mov_b32_e32 v33, -1
	v_mov_b32_e32 v39, -1
	v_cmp_lt_u32_e64 s19, v36, v119
	s_and_saveexec_b32 s21, s19
	s_cbranch_execz .LBB1118_28
; %bb.27:
	v_add_co_u32 v36, s20, 0x800, v52
	v_add_co_ci_u32_e64 v37, null, 0, v53, s20
	flat_load_dwordx2 v[38:39], v[36:37] offset:1024
.LBB1118_28:
	;; [unrolled: 24-line block ×3, first 2 shown]
	s_or_b32 exec_lo, exec_lo, s23
	v_or_b32_e32 v64, 0x1e0, v64
	v_cmp_lt_u32_e64 s22, v64, v119
	s_and_saveexec_b32 s26, s22
	s_cbranch_execz .LBB1118_34
; %bb.33:
	v_add_co_u32 v36, s23, 0x800, v52
	v_add_co_ci_u32_e64 v37, null, 0, v53, s23
	flat_load_dwordx2 v[36:37], v[36:37] offset:1792
.LBB1118_34:
	s_or_b32 exec_lo, exec_lo, s26
	v_add_co_u32 v4, s23, v4, v112
	v_add_co_ci_u32_e64 v5, null, v5, v113, s23
                                        ; implicit-def: $vgpr117_vgpr118
	v_add_co_u32 v4, s23, v4, v55
	v_add_co_ci_u32_e64 v5, null, 0, v5, s23
	v_add_co_u32 v4, s23, v4, v50
	v_add_co_ci_u32_e64 v5, null, v5, v51, s23
	s_and_saveexec_b32 s23, vcc_lo
	s_cbranch_execnz .LBB1118_196
; %bb.35:
	s_or_b32 exec_lo, exec_lo, s23
                                        ; implicit-def: $vgpr130_vgpr131
	s_and_saveexec_b32 s23, s4
	s_cbranch_execnz .LBB1118_197
.LBB1118_36:
	s_or_b32 exec_lo, exec_lo, s23
                                        ; implicit-def: $vgpr134_vgpr135
	s_and_saveexec_b32 s4, s5
	s_cbranch_execnz .LBB1118_198
.LBB1118_37:
	s_or_b32 exec_lo, exec_lo, s4
                                        ; implicit-def: $vgpr128_vgpr129
	s_and_saveexec_b32 s4, s6
	s_cbranch_execnz .LBB1118_199
.LBB1118_38:
	s_or_b32 exec_lo, exec_lo, s4
                                        ; implicit-def: $vgpr132_vgpr133
	s_and_saveexec_b32 s4, s7
	s_cbranch_execnz .LBB1118_200
.LBB1118_39:
	s_or_b32 exec_lo, exec_lo, s4
                                        ; implicit-def: $vgpr144_vgpr145
	s_and_saveexec_b32 s4, s10
	s_cbranch_execnz .LBB1118_201
.LBB1118_40:
	s_or_b32 exec_lo, exec_lo, s4
                                        ; implicit-def: $vgpr146_vgpr147
	s_and_saveexec_b32 s4, s11
	s_cbranch_execnz .LBB1118_202
.LBB1118_41:
	s_or_b32 exec_lo, exec_lo, s4
                                        ; implicit-def: $vgpr148_vgpr149
	s_and_saveexec_b32 s4, s14
	s_cbranch_execnz .LBB1118_203
.LBB1118_42:
	s_or_b32 exec_lo, exec_lo, s4
                                        ; implicit-def: $vgpr150_vgpr151
	s_and_saveexec_b32 s4, s15
	s_cbranch_execnz .LBB1118_204
.LBB1118_43:
	s_or_b32 exec_lo, exec_lo, s4
                                        ; implicit-def: $vgpr160_vgpr161
	s_and_saveexec_b32 s4, s16
	s_cbranch_execnz .LBB1118_205
.LBB1118_44:
	s_or_b32 exec_lo, exec_lo, s4
                                        ; implicit-def: $vgpr162_vgpr163
	s_and_saveexec_b32 s4, s17
	s_cbranch_execnz .LBB1118_206
.LBB1118_45:
	s_or_b32 exec_lo, exec_lo, s4
                                        ; implicit-def: $vgpr164_vgpr165
	s_and_saveexec_b32 s4, s18
	s_cbranch_execnz .LBB1118_207
.LBB1118_46:
	s_or_b32 exec_lo, exec_lo, s4
                                        ; implicit-def: $vgpr166_vgpr167
	s_and_saveexec_b32 s4, s19
	s_cbranch_execnz .LBB1118_208
.LBB1118_47:
	s_or_b32 exec_lo, exec_lo, s4
                                        ; implicit-def: $vgpr176_vgpr177
	s_and_saveexec_b32 s4, s20
	s_cbranch_execnz .LBB1118_209
.LBB1118_48:
	s_or_b32 exec_lo, exec_lo, s4
                                        ; implicit-def: $vgpr178_vgpr179
	s_and_saveexec_b32 s4, s21
	s_cbranch_execnz .LBB1118_210
.LBB1118_49:
	s_or_b32 exec_lo, exec_lo, s4
                                        ; implicit-def: $vgpr192_vgpr193
	s_and_saveexec_b32 s4, s22
	s_cbranch_execz .LBB1118_51
.LBB1118_50:
	v_add_co_u32 v4, vcc_lo, 0x800, v4
	v_add_co_ci_u32_e64 v5, null, 0, v5, vcc_lo
	flat_load_dwordx2 v[192:193], v[4:5] offset:1792
.LBB1118_51:
	s_or_b32 exec_lo, exec_lo, s4
	s_waitcnt vmcnt(0) lgkmcnt(0)
	v_cmp_gt_i64_e32 vcc_lo, 0, v[15:16]
	v_ashrrev_i32_e32 v4, 31, v16
	v_ashrrev_i32_e32 v50, 31, v14
	s_getpc_b64 s[4:5]
	s_add_u32 s4, s4, _ZN7rocprim17ROCPRIM_400000_NS16block_radix_sortIdLj256ELj16ElLj1ELj1ELj8ELNS0_26block_radix_rank_algorithmE2ELNS0_18block_padding_hintE2ELNS0_4arch9wavefront6targetE0EE19radix_bits_per_passE@rel32@lo+4
	s_addc_u32 s5, s5, _ZN7rocprim17ROCPRIM_400000_NS16block_radix_sortIdLj256ELj16ElLj1ELj1ELj8ELNS0_26block_radix_rank_algorithmE2ELNS0_18block_padding_hintE2ELNS0_4arch9wavefront6targetE0EE19radix_bits_per_passE@rel32@hi+12
	v_lshrrev_b32_e32 v46, 5, v114
	s_load_dword s26, s[4:5], 0x0
	v_cndmask_b32_e64 v5, 0x7fffffff, 0, vcc_lo
	v_cmp_gt_i64_e32 vcc_lo, 0, v[13:14]
	v_not_b32_e32 v4, v4
	v_cmp_lt_u32_e64 s15, 31, v21
	v_cmp_eq_u32_e64 s16, 0, v21
	v_xor_b32_e32 v209, v5, v16
	v_ashrrev_i32_e32 v5, 31, v9
	v_cndmask_b32_e64 v51, 0x7fffffff, 0, vcc_lo
	v_cmp_gt_i64_e32 vcc_lo, 0, v[8:9]
	v_xor_b32_e32 v208, v4, v15
	v_not_b32_e32 v4, v50
	v_lshl_add_u32 v57, v21, 2, v12
	v_xor_b32_e32 v181, v51, v14
	v_sub_nc_u32_e32 v91, v11, v10
	v_cndmask_b32_e64 v15, 0x7fffffff, 0, vcc_lo
	v_cmp_gt_i64_e32 vcc_lo, 0, v[0:1]
	v_xor_b32_e32 v180, v4, v13
	v_not_b32_e32 v4, v5
	v_ashrrev_i32_e32 v13, 31, v27
	v_xor_b32_e32 v183, v15, v9
	v_ashrrev_i32_e32 v5, 31, v1
	v_cndmask_b32_e64 v9, 0x7fffffff, 0, vcc_lo
	v_cmp_gt_i64_e32 vcc_lo, 0, v[26:27]
	v_xor_b32_e32 v182, v4, v8
	v_not_b32_e32 v4, v13
	v_not_b32_e32 v5, v5
	v_xor_b32_e32 v197, v9, v1
	v_ashrrev_i32_e32 v1, 31, v29
	v_cndmask_b32_e64 v14, 0x7fffffff, 0, vcc_lo
	v_cmp_gt_i64_e32 vcc_lo, 0, v[17:18]
	v_xor_b32_e32 v194, v4, v26
	v_xor_b32_e32 v196, v5, v0
	v_ashrrev_i32_e32 v0, 31, v18
	v_not_b32_e32 v1, v1
	v_xor_b32_e32 v195, v14, v27
	v_cndmask_b32_e64 v4, 0x7fffffff, 0, vcc_lo
	v_cmp_gt_i64_e32 vcc_lo, 0, v[28:29]
	v_not_b32_e32 v0, v0
	v_xor_b32_e32 v210, v1, v28
	s_mov_b32 s22, 0
	v_xor_b32_e32 v199, v4, v18
	v_ashrrev_i32_e32 v4, 31, v25
	v_cndmask_b32_e64 v5, 0x7fffffff, 0, vcc_lo
	v_cmp_gt_i64_e32 vcc_lo, 0, v[19:20]
	v_xor_b32_e32 v198, v0, v17
	v_ashrrev_i32_e32 v0, 31, v20
	s_brev_b32 s23, 1
	v_xor_b32_e32 v211, v5, v29
	s_mov_b32 s27, s22
	v_cndmask_b32_e64 v1, 0x7fffffff, 0, vcc_lo
	v_cmp_gt_i64_e32 vcc_lo, 0, v[24:25]
	v_not_b32_e32 v0, v0
	s_waitcnt lgkmcnt(0)
	s_waitcnt_vscnt null, 0x0
	s_barrier
	v_xor_b32_e32 v213, v1, v20
	v_ashrrev_i32_e32 v1, 31, v23
	v_cndmask_b32_e64 v5, 0x7fffffff, 0, vcc_lo
	v_cmp_gt_i64_e32 vcc_lo, 0, v[22:23]
	v_xor_b32_e32 v212, v0, v19
	v_not_b32_e32 v0, v4
	v_not_b32_e32 v1, v1
	v_xor_b32_e32 v215, v5, v25
	v_ashrrev_i32_e32 v5, 31, v35
	v_cndmask_b32_e64 v4, 0x7fffffff, 0, vcc_lo
	v_cmp_gt_i64_e32 vcc_lo, 0, v[34:35]
	v_xor_b32_e32 v214, v0, v24
	v_xor_b32_e32 v226, v1, v22
	v_not_b32_e32 v0, v5
	v_xor_b32_e32 v227, v4, v23
	v_ashrrev_i32_e32 v1, 31, v31
	v_cndmask_b32_e64 v8, 0x7fffffff, 0, vcc_lo
	v_cmp_gt_i64_e32 vcc_lo, 0, v[30:31]
	v_xor_b32_e32 v224, v0, v34
	v_ashrrev_i32_e32 v0, 31, v39
	v_not_b32_e32 v1, v1
	v_xor_b32_e32 v225, v8, v35
	buffer_gl0_inv
	v_cndmask_b32_e64 v4, 0x7fffffff, 0, vcc_lo
	v_cmp_gt_i64_e32 vcc_lo, 0, v[38:39]
	v_not_b32_e32 v0, v0
	v_xor_b32_e32 v228, v1, v30
	v_ashrrev_i32_e32 v1, 31, v33
	v_xor_b32_e32 v229, v4, v31
	v_ashrrev_i32_e32 v4, 31, v49
	v_cndmask_b32_e64 v5, 0x7fffffff, 0, vcc_lo
	v_cmp_gt_i64_e32 vcc_lo, 0, v[32:33]
	v_xor_b32_e32 v230, v0, v38
	v_not_b32_e32 v1, v1
	v_xor_b32_e32 v231, v5, v39
	v_cndmask_b32_e64 v0, 0x7fffffff, 0, vcc_lo
	v_cmp_gt_i64_e32 vcc_lo, 0, v[48:49]
	v_xor_b32_e32 v240, v1, v32
	v_not_b32_e32 v1, v4
	v_xor_b32_e32 v241, v0, v33
	v_ashrrev_i32_e32 v0, 31, v37
	v_cndmask_b32_e64 v5, 0x7fffffff, 0, vcc_lo
	v_cmp_gt_i64_e32 vcc_lo, 0, v[36:37]
	v_xor_b32_e32 v242, v1, v48
	v_and_b32_e32 v1, 15, v54
	v_not_b32_e32 v0, v0
	v_xor_b32_e32 v243, v5, v49
	v_lshl_add_u32 v5, v21, 5, v12
	v_cndmask_b32_e64 v4, 0x7fffffff, 0, vcc_lo
	v_cmp_eq_u32_e32 vcc_lo, 0, v1
	v_xor_b32_e32 v244, v0, v36
	v_and_b32_e32 v0, 0x3e0, v21
	v_add_nc_u32_e32 v246, 32, v5
	v_xor_b32_e32 v245, v4, v37
	v_and_b32_e32 v4, 16, v54
	v_add_nc_u32_e32 v247, 36, v5
	v_min_u32_e32 v0, 0xe0, v0
	v_add_nc_u32_e32 v40, 40, v5
	v_add_nc_u32_e32 v41, 44, v5
	;; [unrolled: 1-line block ×4, first 2 shown]
	v_or_b32_e32 v0, 31, v0
	v_add_nc_u32_e32 v44, 56, v5
	v_add_nc_u32_e32 v45, 60, v5
	v_sub_co_u32 v5, s6, v54, 1
	v_cmp_eq_u32_e64 s10, 0, v4
	v_cmp_eq_u32_e64 s11, v21, v0
	v_lshrrev_b32_e32 v0, 3, v21
	v_lshlrev_b32_e32 v4, 4, v21
	v_cmp_gt_i32_e64 s14, 0, v5
	v_cmp_lt_u32_e64 s4, 1, v1
	v_cmp_lt_u32_e64 s5, 3, v1
	v_and_b32_e32 v0, 0x7c, v0
	v_and_or_b32 v4, 0x3e00, v4, v54
	v_cmp_lt_u32_e64 s7, 7, v1
	v_cndmask_b32_e64 v1, v5, v54, s14
	v_and_b32_e32 v5, 7, v54
	v_add_nc_u32_e32 v56, v12, v0
	v_lshl_add_u32 v58, v4, 3, v12
	v_cmp_gt_u32_e64 s14, 8, v21
	v_lshlrev_b32_e32 v47, 2, v1
	v_mov_b32_e32 v1, 0
	v_cmp_eq_u32_e64 s17, 0, v5
	v_cmp_lt_u32_e64 s18, 1, v5
	v_cmp_lt_u32_e64 s19, 3, v5
	v_add_nc_u32_e32 v59, -4, v56
	v_add_nc_u32_e32 v60, 0x100, v58
	v_add_nc_u32_e32 v61, 0x200, v58
	;; [unrolled: 1-line block ×15, first 2 shown]
	s_branch .LBB1118_53
.LBB1118_52:                            ;   in Loop: Header=BB1118_53 Depth=1
	s_or_b32 exec_lo, exec_lo, s21
	s_and_b32 s20, exec_lo, s28
	s_or_b32 s27, s20, s27
	s_andn2_b32 exec_lo, exec_lo, s27
	s_cbranch_execz .LBB1118_93
.LBB1118_53:                            ; =>This Inner Loop Header: Depth=1
	v_mov_b32_e32 v48, v208
	v_mov_b32_e32 v49, v209
	v_min_u32_e32 v0, s26, v91
	v_mov_b32_e32 v8, v130
	v_mov_b32_e32 v9, v131
	;; [unrolled: 1-line block ×3, first 2 shown]
	v_cmp_ne_u64_e64 s20, s[22:23], v[48:49]
	v_lshlrev_b32_e64 v0, v0, -1
	v_mov_b32_e32 v14, v118
	v_mov_b32_e32 v15, v128
	v_mov_b32_e32 v16, v129
	v_mov_b32_e32 v4, v134
	v_cndmask_b32_e64 v29, 0x7fffffff, v49, s20
	v_cndmask_b32_e64 v28, -1, v48, s20
	v_not_b32_e32 v130, v0
	v_mov_b32_e32 v19, v132
	v_mov_b32_e32 v17, v144
	;; [unrolled: 1-line block ×3, first 2 shown]
	v_lshrrev_b64 v[36:37], v10, v[28:29]
	v_mov_b32_e32 v24, v148
	v_mov_b32_e32 v22, v150
	;; [unrolled: 1-line block ×5, first 2 shown]
	v_and_b32_e32 v0, v36, v130
	v_mov_b32_e32 v28, v166
	v_mov_b32_e32 v115, v176
	;; [unrolled: 1-line block ×4, first 2 shown]
	v_and_b32_e32 v64, 1, v0
	v_lshlrev_b32_e32 v80, 30, v0
	v_lshlrev_b32_e32 v83, 29, v0
	;; [unrolled: 1-line block ×4, first 2 shown]
	v_add_co_u32 v81, s20, v64, -1
	v_cndmask_b32_e64 v70, 0, 1, s20
	v_not_b32_e32 v82, v80
	v_cmp_gt_i32_e64 s21, 0, v80
	v_not_b32_e32 v85, v83
	v_not_b32_e32 v96, v86
	v_cmp_ne_u32_e64 s20, 0, v70
	v_ashrrev_i32_e32 v82, 31, v82
	v_lshlrev_b32_e32 v99, 26, v0
	v_ashrrev_i32_e32 v85, 31, v85
	v_lshlrev_b32_e32 v117, 24, v0
	v_xor_b32_e32 v84, s20, v81
	v_xor_b32_e32 v87, s21, v82
	v_cmp_gt_i32_e64 s20, 0, v83
	v_mov_b32_e32 v50, v180
	v_not_b32_e32 v128, v117
	v_and_b32_e32 v84, exec_lo, v84
	v_mov_b32_e32 v54, v182
	v_xor_b32_e32 v98, s20, v85
	v_cmp_gt_i32_e64 s20, 0, v86
	v_ashrrev_i32_e32 v86, 31, v96
	v_and_b32_e32 v87, v84, v87
	v_not_b32_e32 v96, v97
	v_mov_b32_e32 v52, v196
	v_mov_b32_e32 v68, v194
	v_xor_b32_e32 v100, s20, v86
	v_and_b32_e32 v98, v87, v98
	v_cmp_gt_i32_e64 s20, 0, v97
	v_ashrrev_i32_e32 v96, 31, v96
	v_not_b32_e32 v97, v99
	v_mov_b32_e32 v66, v198
	v_and_b32_e32 v98, v98, v100
	v_lshlrev_b32_e32 v100, 25, v0
	v_xor_b32_e32 v101, s20, v96
	v_cmp_gt_i32_e64 s20, 0, v99
	v_ashrrev_i32_e32 v99, 31, v97
	v_lshl_add_u32 v0, v0, 3, v46
	v_not_b32_e32 v102, v100
	v_and_b32_e32 v101, v98, v101
	v_mov_b32_e32 v64, v210
	v_xor_b32_e32 v118, s20, v99
	v_cmp_gt_i32_e64 s20, 0, v100
	v_ashrrev_i32_e32 v100, 31, v102
	v_mov_b32_e32 v70, v212
	v_mov_b32_e32 v80, v214
	v_and_b32_e32 v118, v101, v118
	v_mov_b32_e32 v82, v226
	v_xor_b32_e32 v129, s20, v100
	v_cmp_gt_i32_e64 s20, 0, v117
	v_ashrrev_i32_e32 v117, 31, v128
	v_mov_b32_e32 v84, v224
	v_mov_b32_e32 v86, v228
	v_and_b32_e32 v118, v118, v129
	v_lshlrev_b64 v[128:129], 2, v[0:1]
	v_xor_b32_e32 v117, s20, v117
	v_mov_b32_e32 v96, v230
	v_mov_b32_e32 v98, v240
	;; [unrolled: 1-line block ×4, first 2 shown]
	v_and_b32_e32 v118, v118, v117
	v_add_co_u32 v117, null, v12, v128
	v_mov_b32_e32 v5, v135
	v_mov_b32_e32 v20, v133
	v_mbcnt_lo_u32_b32 v0, v118, 0
	v_cmp_ne_u32_e64 s21, 0, v118
	v_mov_b32_e32 v18, v145
	v_mov_b32_e32 v27, v147
	;; [unrolled: 1-line block ×3, first 2 shown]
	v_cmp_eq_u32_e64 s20, 0, v0
	v_mov_b32_e32 v23, v151
	v_mov_b32_e32 v35, v161
	;; [unrolled: 1-line block ×23, first 2 shown]
	v_add_co_u32 v117, null, v117, 32
	s_and_b32 s21, s21, s20
	ds_write_b32 v246, v1
	ds_write_b32 v247, v1
	;; [unrolled: 1-line block ×8, first 2 shown]
	s_waitcnt lgkmcnt(0)
	s_barrier
	buffer_gl0_inv
	; wave barrier
	s_and_saveexec_b32 s20, s21
; %bb.54:                               ;   in Loop: Header=BB1118_53 Depth=1
	v_bcnt_u32_b32 v118, v118, 0
	ds_write_b32 v117, v118
; %bb.55:                               ;   in Loop: Header=BB1118_53 Depth=1
	s_or_b32 exec_lo, exec_lo, s20
	v_cmp_ne_u64_e64 s20, s[22:23], v[50:51]
	; wave barrier
	v_cndmask_b32_e64 v129, 0x7fffffff, v51, s20
	v_cndmask_b32_e64 v128, -1, v50, s20
	v_lshrrev_b64 v[128:129], v10, v[128:129]
	v_and_b32_e32 v118, v128, v130
	v_and_b32_e32 v128, 1, v118
	v_lshlrev_b32_e32 v129, 30, v118
	v_lshlrev_b32_e32 v131, 29, v118
	;; [unrolled: 1-line block ×4, first 2 shown]
	v_add_co_u32 v128, s20, v128, -1
	v_cndmask_b32_e64 v133, 0, 1, s20
	v_not_b32_e32 v145, v129
	v_cmp_gt_i32_e64 s21, 0, v129
	v_not_b32_e32 v129, v131
	v_lshlrev_b32_e32 v135, 26, v118
	v_cmp_ne_u32_e64 s20, 0, v133
	v_ashrrev_i32_e32 v145, 31, v145
	v_lshlrev_b32_e32 v144, 25, v118
	v_ashrrev_i32_e32 v129, 31, v129
	v_lshlrev_b32_e32 v133, 24, v118
	v_xor_b32_e32 v128, s20, v128
	v_cmp_gt_i32_e64 s20, 0, v131
	v_not_b32_e32 v131, v132
	v_xor_b32_e32 v145, s21, v145
	v_cmp_gt_i32_e64 s21, 0, v132
	v_and_b32_e32 v128, exec_lo, v128
	v_not_b32_e32 v132, v134
	v_ashrrev_i32_e32 v131, 31, v131
	v_xor_b32_e32 v129, s20, v129
	v_cmp_gt_i32_e64 s20, 0, v134
	v_and_b32_e32 v128, v128, v145
	v_not_b32_e32 v134, v135
	v_ashrrev_i32_e32 v132, 31, v132
	v_xor_b32_e32 v131, s21, v131
	v_cmp_gt_i32_e64 s21, 0, v135
	v_and_b32_e32 v128, v128, v129
	;; [unrolled: 5-line block ×3, first 2 shown]
	v_not_b32_e32 v131, v133
	v_ashrrev_i32_e32 v129, 31, v129
	v_xor_b32_e32 v134, s21, v134
	v_lshl_add_u32 v118, v118, 3, v46
	v_and_b32_e32 v128, v128, v132
	v_cmp_gt_i32_e64 s21, 0, v133
	v_ashrrev_i32_e32 v131, 31, v131
	v_xor_b32_e32 v129, s20, v129
	v_lshl_add_u32 v132, v118, 2, v12
	v_and_b32_e32 v128, v128, v134
	v_xor_b32_e32 v131, s21, v131
	ds_read_b32 v118, v132 offset:32
	v_and_b32_e32 v128, v128, v129
	v_add_nc_u32_e32 v129, 32, v132
	; wave barrier
	v_and_b32_e32 v131, v128, v131
	v_mbcnt_lo_u32_b32 v128, v131, 0
	v_cmp_ne_u32_e64 s21, 0, v131
	v_cmp_eq_u32_e64 s20, 0, v128
	s_and_b32 s21, s21, s20
	s_and_saveexec_b32 s20, s21
	s_cbranch_execz .LBB1118_57
; %bb.56:                               ;   in Loop: Header=BB1118_53 Depth=1
	s_waitcnt lgkmcnt(0)
	v_bcnt_u32_b32 v131, v131, v118
	ds_write_b32 v129, v131
.LBB1118_57:                            ;   in Loop: Header=BB1118_53 Depth=1
	s_or_b32 exec_lo, exec_lo, s20
	v_cmp_ne_u64_e64 s20, s[22:23], v[54:55]
	; wave barrier
	v_cndmask_b32_e64 v132, 0x7fffffff, v55, s20
	v_cndmask_b32_e64 v131, -1, v54, s20
	v_lshrrev_b64 v[131:132], v10, v[131:132]
	v_and_b32_e32 v131, v131, v130
	v_and_b32_e32 v132, 1, v131
	v_lshlrev_b32_e32 v133, 30, v131
	v_lshlrev_b32_e32 v134, 29, v131
	;; [unrolled: 1-line block ×4, first 2 shown]
	v_add_co_u32 v132, s20, v132, -1
	v_cndmask_b32_e64 v144, 0, 1, s20
	v_not_b32_e32 v148, v133
	v_cmp_gt_i32_e64 s21, 0, v133
	v_not_b32_e32 v133, v134
	v_lshlrev_b32_e32 v146, 26, v131
	v_cmp_ne_u32_e64 s20, 0, v144
	v_ashrrev_i32_e32 v148, 31, v148
	v_lshlrev_b32_e32 v147, 25, v131
	v_ashrrev_i32_e32 v133, 31, v133
	v_lshlrev_b32_e32 v144, 24, v131
	v_xor_b32_e32 v132, s20, v132
	v_cmp_gt_i32_e64 s20, 0, v134
	v_not_b32_e32 v134, v135
	v_xor_b32_e32 v148, s21, v148
	v_cmp_gt_i32_e64 s21, 0, v135
	v_and_b32_e32 v132, exec_lo, v132
	v_not_b32_e32 v135, v145
	v_ashrrev_i32_e32 v134, 31, v134
	v_xor_b32_e32 v133, s20, v133
	v_cmp_gt_i32_e64 s20, 0, v145
	v_and_b32_e32 v132, v132, v148
	v_not_b32_e32 v145, v146
	v_ashrrev_i32_e32 v135, 31, v135
	v_xor_b32_e32 v134, s21, v134
	v_cmp_gt_i32_e64 s21, 0, v146
	v_and_b32_e32 v132, v132, v133
	;; [unrolled: 5-line block ×3, first 2 shown]
	v_not_b32_e32 v134, v144
	v_ashrrev_i32_e32 v133, 31, v133
	v_xor_b32_e32 v145, s21, v145
	v_lshl_add_u32 v131, v131, 3, v46
	v_and_b32_e32 v132, v132, v135
	v_cmp_gt_i32_e64 s21, 0, v144
	v_ashrrev_i32_e32 v134, 31, v134
	v_xor_b32_e32 v133, s20, v133
	v_lshl_add_u32 v135, v131, 2, v12
	v_and_b32_e32 v132, v132, v145
	v_xor_b32_e32 v134, s21, v134
	ds_read_b32 v131, v135 offset:32
	v_and_b32_e32 v132, v132, v133
	v_add_nc_u32_e32 v133, 32, v135
	; wave barrier
	v_and_b32_e32 v134, v132, v134
	v_mbcnt_lo_u32_b32 v132, v134, 0
	v_cmp_ne_u32_e64 s21, 0, v134
	v_cmp_eq_u32_e64 s20, 0, v132
	s_and_b32 s21, s21, s20
	s_and_saveexec_b32 s20, s21
	s_cbranch_execz .LBB1118_59
; %bb.58:                               ;   in Loop: Header=BB1118_53 Depth=1
	s_waitcnt lgkmcnt(0)
	v_bcnt_u32_b32 v134, v134, v131
	ds_write_b32 v133, v134
.LBB1118_59:                            ;   in Loop: Header=BB1118_53 Depth=1
	s_or_b32 exec_lo, exec_lo, s20
	v_cmp_ne_u64_e64 s20, s[22:23], v[52:53]
	; wave barrier
	v_cndmask_b32_e64 v135, 0x7fffffff, v53, s20
	v_cndmask_b32_e64 v134, -1, v52, s20
	v_lshrrev_b64 v[134:135], v10, v[134:135]
	v_and_b32_e32 v134, v134, v130
	v_and_b32_e32 v135, 1, v134
	v_lshlrev_b32_e32 v144, 30, v134
	v_lshlrev_b32_e32 v145, 29, v134
	;; [unrolled: 1-line block ×4, first 2 shown]
	v_add_co_u32 v135, s20, v135, -1
	v_cndmask_b32_e64 v147, 0, 1, s20
	v_not_b32_e32 v151, v144
	v_cmp_gt_i32_e64 s21, 0, v144
	v_not_b32_e32 v144, v145
	v_lshlrev_b32_e32 v149, 26, v134
	v_cmp_ne_u32_e64 s20, 0, v147
	v_ashrrev_i32_e32 v151, 31, v151
	v_lshlrev_b32_e32 v150, 25, v134
	v_ashrrev_i32_e32 v144, 31, v144
	v_lshlrev_b32_e32 v147, 24, v134
	v_xor_b32_e32 v135, s20, v135
	v_cmp_gt_i32_e64 s20, 0, v145
	v_not_b32_e32 v145, v146
	v_xor_b32_e32 v151, s21, v151
	v_cmp_gt_i32_e64 s21, 0, v146
	v_and_b32_e32 v135, exec_lo, v135
	v_not_b32_e32 v146, v148
	v_ashrrev_i32_e32 v145, 31, v145
	v_xor_b32_e32 v144, s20, v144
	v_cmp_gt_i32_e64 s20, 0, v148
	v_and_b32_e32 v135, v135, v151
	v_not_b32_e32 v148, v149
	v_ashrrev_i32_e32 v146, 31, v146
	v_xor_b32_e32 v145, s21, v145
	v_cmp_gt_i32_e64 s21, 0, v149
	v_and_b32_e32 v135, v135, v144
	v_not_b32_e32 v144, v150
	v_ashrrev_i32_e32 v148, 31, v148
	v_xor_b32_e32 v146, s20, v146
	v_cmp_gt_i32_e64 s20, 0, v150
	v_and_b32_e32 v135, v135, v145
	v_not_b32_e32 v145, v147
	v_ashrrev_i32_e32 v144, 31, v144
	v_xor_b32_e32 v148, s21, v148
	v_lshl_add_u32 v134, v134, 3, v46
	v_and_b32_e32 v135, v135, v146
	v_cmp_gt_i32_e64 s21, 0, v147
	v_ashrrev_i32_e32 v145, 31, v145
	v_xor_b32_e32 v144, s20, v144
	v_lshl_add_u32 v146, v134, 2, v12
	v_and_b32_e32 v135, v135, v148
	v_xor_b32_e32 v145, s21, v145
	ds_read_b32 v134, v146 offset:32
	v_and_b32_e32 v135, v135, v144
	v_add_nc_u32_e32 v144, 32, v146
	; wave barrier
	v_and_b32_e32 v145, v135, v145
	v_mbcnt_lo_u32_b32 v135, v145, 0
	v_cmp_ne_u32_e64 s21, 0, v145
	v_cmp_eq_u32_e64 s20, 0, v135
	s_and_b32 s21, s21, s20
	s_and_saveexec_b32 s20, s21
	s_cbranch_execz .LBB1118_61
; %bb.60:                               ;   in Loop: Header=BB1118_53 Depth=1
	s_waitcnt lgkmcnt(0)
	v_bcnt_u32_b32 v145, v145, v134
	ds_write_b32 v144, v145
.LBB1118_61:                            ;   in Loop: Header=BB1118_53 Depth=1
	s_or_b32 exec_lo, exec_lo, s20
	v_cmp_ne_u64_e64 s20, s[22:23], v[68:69]
	; wave barrier
	v_cndmask_b32_e64 v146, 0x7fffffff, v69, s20
	v_cndmask_b32_e64 v145, -1, v68, s20
	v_lshrrev_b64 v[145:146], v10, v[145:146]
	v_and_b32_e32 v145, v145, v130
	v_and_b32_e32 v146, 1, v145
	v_lshlrev_b32_e32 v147, 30, v145
	v_lshlrev_b32_e32 v148, 29, v145
	v_lshlrev_b32_e32 v149, 28, v145
	v_lshlrev_b32_e32 v151, 27, v145
	v_add_co_u32 v146, s20, v146, -1
	v_cndmask_b32_e64 v150, 0, 1, s20
	v_not_b32_e32 v162, v147
	v_cmp_gt_i32_e64 s21, 0, v147
	v_not_b32_e32 v147, v148
	v_lshlrev_b32_e32 v160, 26, v145
	v_cmp_ne_u32_e64 s20, 0, v150
	v_ashrrev_i32_e32 v162, 31, v162
	v_lshlrev_b32_e32 v161, 25, v145
	v_ashrrev_i32_e32 v147, 31, v147
	v_lshlrev_b32_e32 v150, 24, v145
	v_xor_b32_e32 v146, s20, v146
	v_cmp_gt_i32_e64 s20, 0, v148
	v_not_b32_e32 v148, v149
	v_xor_b32_e32 v162, s21, v162
	v_cmp_gt_i32_e64 s21, 0, v149
	v_and_b32_e32 v146, exec_lo, v146
	v_not_b32_e32 v149, v151
	v_ashrrev_i32_e32 v148, 31, v148
	v_xor_b32_e32 v147, s20, v147
	v_cmp_gt_i32_e64 s20, 0, v151
	v_and_b32_e32 v146, v146, v162
	v_not_b32_e32 v151, v160
	v_ashrrev_i32_e32 v149, 31, v149
	v_xor_b32_e32 v148, s21, v148
	v_cmp_gt_i32_e64 s21, 0, v160
	v_and_b32_e32 v146, v146, v147
	;; [unrolled: 5-line block ×3, first 2 shown]
	v_not_b32_e32 v148, v150
	v_ashrrev_i32_e32 v147, 31, v147
	v_xor_b32_e32 v151, s21, v151
	v_lshl_add_u32 v145, v145, 3, v46
	v_and_b32_e32 v146, v146, v149
	v_cmp_gt_i32_e64 s21, 0, v150
	v_ashrrev_i32_e32 v148, 31, v148
	v_xor_b32_e32 v147, s20, v147
	v_lshl_add_u32 v149, v145, 2, v12
	v_and_b32_e32 v146, v146, v151
	v_xor_b32_e32 v148, s21, v148
	ds_read_b32 v145, v149 offset:32
	v_and_b32_e32 v146, v146, v147
	v_add_nc_u32_e32 v147, 32, v149
	; wave barrier
	v_and_b32_e32 v148, v146, v148
	v_mbcnt_lo_u32_b32 v146, v148, 0
	v_cmp_ne_u32_e64 s21, 0, v148
	v_cmp_eq_u32_e64 s20, 0, v146
	s_and_b32 s21, s21, s20
	s_and_saveexec_b32 s20, s21
	s_cbranch_execz .LBB1118_63
; %bb.62:                               ;   in Loop: Header=BB1118_53 Depth=1
	s_waitcnt lgkmcnt(0)
	v_bcnt_u32_b32 v148, v148, v145
	ds_write_b32 v147, v148
.LBB1118_63:                            ;   in Loop: Header=BB1118_53 Depth=1
	s_or_b32 exec_lo, exec_lo, s20
	v_cmp_ne_u64_e64 s20, s[22:23], v[66:67]
	; wave barrier
	v_cndmask_b32_e64 v149, 0x7fffffff, v67, s20
	v_cndmask_b32_e64 v148, -1, v66, s20
	v_lshrrev_b64 v[148:149], v10, v[148:149]
	v_and_b32_e32 v148, v148, v130
	v_and_b32_e32 v149, 1, v148
	v_lshlrev_b32_e32 v150, 30, v148
	v_lshlrev_b32_e32 v151, 29, v148
	;; [unrolled: 1-line block ×4, first 2 shown]
	v_add_co_u32 v149, s20, v149, -1
	v_cndmask_b32_e64 v161, 0, 1, s20
	v_not_b32_e32 v165, v150
	v_cmp_gt_i32_e64 s21, 0, v150
	v_not_b32_e32 v150, v151
	v_lshlrev_b32_e32 v163, 26, v148
	v_cmp_ne_u32_e64 s20, 0, v161
	v_ashrrev_i32_e32 v165, 31, v165
	v_lshlrev_b32_e32 v164, 25, v148
	v_ashrrev_i32_e32 v150, 31, v150
	v_lshlrev_b32_e32 v161, 24, v148
	v_xor_b32_e32 v149, s20, v149
	v_cmp_gt_i32_e64 s20, 0, v151
	v_not_b32_e32 v151, v160
	v_xor_b32_e32 v165, s21, v165
	v_cmp_gt_i32_e64 s21, 0, v160
	v_and_b32_e32 v149, exec_lo, v149
	v_not_b32_e32 v160, v162
	v_ashrrev_i32_e32 v151, 31, v151
	v_xor_b32_e32 v150, s20, v150
	v_cmp_gt_i32_e64 s20, 0, v162
	v_and_b32_e32 v149, v149, v165
	v_not_b32_e32 v162, v163
	v_ashrrev_i32_e32 v160, 31, v160
	v_xor_b32_e32 v151, s21, v151
	v_cmp_gt_i32_e64 s21, 0, v163
	v_and_b32_e32 v149, v149, v150
	;; [unrolled: 5-line block ×3, first 2 shown]
	v_not_b32_e32 v151, v161
	v_ashrrev_i32_e32 v150, 31, v150
	v_xor_b32_e32 v162, s21, v162
	v_lshl_add_u32 v148, v148, 3, v46
	v_and_b32_e32 v149, v149, v160
	v_cmp_gt_i32_e64 s21, 0, v161
	v_ashrrev_i32_e32 v151, 31, v151
	v_xor_b32_e32 v150, s20, v150
	v_lshl_add_u32 v160, v148, 2, v12
	v_and_b32_e32 v149, v149, v162
	v_xor_b32_e32 v151, s21, v151
	ds_read_b32 v148, v160 offset:32
	v_and_b32_e32 v149, v149, v150
	v_add_nc_u32_e32 v150, 32, v160
	; wave barrier
	v_and_b32_e32 v151, v149, v151
	v_mbcnt_lo_u32_b32 v149, v151, 0
	v_cmp_ne_u32_e64 s21, 0, v151
	v_cmp_eq_u32_e64 s20, 0, v149
	s_and_b32 s21, s21, s20
	s_and_saveexec_b32 s20, s21
	s_cbranch_execz .LBB1118_65
; %bb.64:                               ;   in Loop: Header=BB1118_53 Depth=1
	s_waitcnt lgkmcnt(0)
	v_bcnt_u32_b32 v151, v151, v148
	ds_write_b32 v150, v151
.LBB1118_65:                            ;   in Loop: Header=BB1118_53 Depth=1
	s_or_b32 exec_lo, exec_lo, s20
	v_cmp_ne_u64_e64 s20, s[22:23], v[64:65]
	; wave barrier
	v_cndmask_b32_e64 v161, 0x7fffffff, v65, s20
	v_cndmask_b32_e64 v160, -1, v64, s20
	v_lshrrev_b64 v[160:161], v10, v[160:161]
	v_and_b32_e32 v151, v160, v130
	v_and_b32_e32 v160, 1, v151
	v_lshlrev_b32_e32 v161, 30, v151
	v_lshlrev_b32_e32 v162, 29, v151
	;; [unrolled: 1-line block ×4, first 2 shown]
	v_add_co_u32 v160, s20, v160, -1
	v_cndmask_b32_e64 v164, 0, 1, s20
	v_not_b32_e32 v176, v161
	v_cmp_gt_i32_e64 s21, 0, v161
	v_not_b32_e32 v161, v162
	v_lshlrev_b32_e32 v166, 26, v151
	v_cmp_ne_u32_e64 s20, 0, v164
	v_ashrrev_i32_e32 v176, 31, v176
	v_lshlrev_b32_e32 v167, 25, v151
	v_ashrrev_i32_e32 v161, 31, v161
	v_lshlrev_b32_e32 v164, 24, v151
	v_xor_b32_e32 v160, s20, v160
	v_cmp_gt_i32_e64 s20, 0, v162
	v_not_b32_e32 v162, v163
	v_xor_b32_e32 v176, s21, v176
	v_cmp_gt_i32_e64 s21, 0, v163
	v_and_b32_e32 v160, exec_lo, v160
	v_not_b32_e32 v163, v165
	v_ashrrev_i32_e32 v162, 31, v162
	v_xor_b32_e32 v161, s20, v161
	v_cmp_gt_i32_e64 s20, 0, v165
	v_and_b32_e32 v160, v160, v176
	v_not_b32_e32 v165, v166
	v_ashrrev_i32_e32 v163, 31, v163
	v_xor_b32_e32 v162, s21, v162
	v_cmp_gt_i32_e64 s21, 0, v166
	v_and_b32_e32 v160, v160, v161
	;; [unrolled: 5-line block ×3, first 2 shown]
	v_not_b32_e32 v162, v164
	v_ashrrev_i32_e32 v161, 31, v161
	v_xor_b32_e32 v165, s21, v165
	v_lshl_add_u32 v151, v151, 3, v46
	v_and_b32_e32 v160, v160, v163
	v_cmp_gt_i32_e64 s21, 0, v164
	v_ashrrev_i32_e32 v162, 31, v162
	v_xor_b32_e32 v161, s20, v161
	v_lshl_add_u32 v163, v151, 2, v12
	v_and_b32_e32 v160, v160, v165
	v_xor_b32_e32 v162, s21, v162
	ds_read_b32 v151, v163 offset:32
	v_and_b32_e32 v160, v160, v161
	v_add_nc_u32_e32 v161, 32, v163
	; wave barrier
	v_and_b32_e32 v162, v160, v162
	v_mbcnt_lo_u32_b32 v160, v162, 0
	v_cmp_ne_u32_e64 s21, 0, v162
	v_cmp_eq_u32_e64 s20, 0, v160
	s_and_b32 s21, s21, s20
	s_and_saveexec_b32 s20, s21
	s_cbranch_execz .LBB1118_67
; %bb.66:                               ;   in Loop: Header=BB1118_53 Depth=1
	s_waitcnt lgkmcnt(0)
	v_bcnt_u32_b32 v162, v162, v151
	ds_write_b32 v161, v162
.LBB1118_67:                            ;   in Loop: Header=BB1118_53 Depth=1
	s_or_b32 exec_lo, exec_lo, s20
	v_cmp_ne_u64_e64 s20, s[22:23], v[70:71]
	; wave barrier
	v_cndmask_b32_e64 v163, 0x7fffffff, v71, s20
	v_cndmask_b32_e64 v162, -1, v70, s20
	v_lshrrev_b64 v[162:163], v10, v[162:163]
	v_and_b32_e32 v162, v162, v130
	v_and_b32_e32 v163, 1, v162
	v_lshlrev_b32_e32 v164, 30, v162
	v_lshlrev_b32_e32 v165, 29, v162
	;; [unrolled: 1-line block ×4, first 2 shown]
	v_add_co_u32 v163, s20, v163, -1
	v_cndmask_b32_e64 v167, 0, 1, s20
	v_not_b32_e32 v179, v164
	v_cmp_gt_i32_e64 s21, 0, v164
	v_not_b32_e32 v164, v165
	v_lshlrev_b32_e32 v177, 26, v162
	v_cmp_ne_u32_e64 s20, 0, v167
	v_ashrrev_i32_e32 v179, 31, v179
	v_lshlrev_b32_e32 v178, 25, v162
	v_ashrrev_i32_e32 v164, 31, v164
	v_lshlrev_b32_e32 v167, 24, v162
	v_xor_b32_e32 v163, s20, v163
	v_cmp_gt_i32_e64 s20, 0, v165
	v_not_b32_e32 v165, v166
	v_xor_b32_e32 v179, s21, v179
	v_cmp_gt_i32_e64 s21, 0, v166
	v_and_b32_e32 v163, exec_lo, v163
	v_not_b32_e32 v166, v176
	v_ashrrev_i32_e32 v165, 31, v165
	v_xor_b32_e32 v164, s20, v164
	v_cmp_gt_i32_e64 s20, 0, v176
	v_and_b32_e32 v163, v163, v179
	v_not_b32_e32 v176, v177
	v_ashrrev_i32_e32 v166, 31, v166
	v_xor_b32_e32 v165, s21, v165
	v_cmp_gt_i32_e64 s21, 0, v177
	v_and_b32_e32 v163, v163, v164
	;; [unrolled: 5-line block ×3, first 2 shown]
	v_not_b32_e32 v165, v167
	v_ashrrev_i32_e32 v164, 31, v164
	v_xor_b32_e32 v176, s21, v176
	v_lshl_add_u32 v162, v162, 3, v46
	v_and_b32_e32 v163, v163, v166
	v_cmp_gt_i32_e64 s21, 0, v167
	v_ashrrev_i32_e32 v165, 31, v165
	v_xor_b32_e32 v164, s20, v164
	v_lshl_add_u32 v166, v162, 2, v12
	v_and_b32_e32 v163, v163, v176
	v_xor_b32_e32 v165, s21, v165
	ds_read_b32 v162, v166 offset:32
	v_and_b32_e32 v163, v163, v164
	v_add_nc_u32_e32 v164, 32, v166
	; wave barrier
	v_and_b32_e32 v165, v163, v165
	v_mbcnt_lo_u32_b32 v163, v165, 0
	v_cmp_ne_u32_e64 s21, 0, v165
	v_cmp_eq_u32_e64 s20, 0, v163
	s_and_b32 s21, s21, s20
	s_and_saveexec_b32 s20, s21
	s_cbranch_execz .LBB1118_69
; %bb.68:                               ;   in Loop: Header=BB1118_53 Depth=1
	s_waitcnt lgkmcnt(0)
	v_bcnt_u32_b32 v165, v165, v162
	ds_write_b32 v164, v165
.LBB1118_69:                            ;   in Loop: Header=BB1118_53 Depth=1
	s_or_b32 exec_lo, exec_lo, s20
	v_cmp_ne_u64_e64 s20, s[22:23], v[80:81]
	; wave barrier
	v_cndmask_b32_e64 v166, 0x7fffffff, v81, s20
	v_cndmask_b32_e64 v165, -1, v80, s20
	v_lshrrev_b64 v[165:166], v10, v[165:166]
	v_and_b32_e32 v165, v165, v130
	v_and_b32_e32 v166, 1, v165
	v_lshlrev_b32_e32 v167, 30, v165
	v_lshlrev_b32_e32 v176, 29, v165
	;; [unrolled: 1-line block ×4, first 2 shown]
	v_add_co_u32 v166, s20, v166, -1
	v_cndmask_b32_e64 v178, 0, 1, s20
	v_not_b32_e32 v182, v167
	v_cmp_gt_i32_e64 s21, 0, v167
	v_not_b32_e32 v167, v176
	v_lshlrev_b32_e32 v180, 26, v165
	v_cmp_ne_u32_e64 s20, 0, v178
	v_ashrrev_i32_e32 v182, 31, v182
	v_lshlrev_b32_e32 v181, 25, v165
	v_ashrrev_i32_e32 v167, 31, v167
	v_lshlrev_b32_e32 v178, 24, v165
	v_xor_b32_e32 v166, s20, v166
	v_cmp_gt_i32_e64 s20, 0, v176
	v_not_b32_e32 v176, v177
	v_xor_b32_e32 v182, s21, v182
	v_cmp_gt_i32_e64 s21, 0, v177
	v_and_b32_e32 v166, exec_lo, v166
	v_not_b32_e32 v177, v179
	v_ashrrev_i32_e32 v176, 31, v176
	v_xor_b32_e32 v167, s20, v167
	v_cmp_gt_i32_e64 s20, 0, v179
	v_and_b32_e32 v166, v166, v182
	v_not_b32_e32 v179, v180
	v_ashrrev_i32_e32 v177, 31, v177
	v_xor_b32_e32 v176, s21, v176
	v_cmp_gt_i32_e64 s21, 0, v180
	v_and_b32_e32 v166, v166, v167
	;; [unrolled: 5-line block ×3, first 2 shown]
	v_not_b32_e32 v176, v178
	v_ashrrev_i32_e32 v167, 31, v167
	v_xor_b32_e32 v179, s21, v179
	v_lshl_add_u32 v165, v165, 3, v46
	v_and_b32_e32 v166, v166, v177
	v_cmp_gt_i32_e64 s21, 0, v178
	v_ashrrev_i32_e32 v176, 31, v176
	v_xor_b32_e32 v167, s20, v167
	v_lshl_add_u32 v177, v165, 2, v12
	v_and_b32_e32 v166, v166, v179
	v_xor_b32_e32 v176, s21, v176
	ds_read_b32 v165, v177 offset:32
	v_and_b32_e32 v166, v166, v167
	v_add_nc_u32_e32 v167, 32, v177
	; wave barrier
	v_and_b32_e32 v176, v166, v176
	v_mbcnt_lo_u32_b32 v166, v176, 0
	v_cmp_ne_u32_e64 s21, 0, v176
	v_cmp_eq_u32_e64 s20, 0, v166
	s_and_b32 s21, s21, s20
	s_and_saveexec_b32 s20, s21
	s_cbranch_execz .LBB1118_71
; %bb.70:                               ;   in Loop: Header=BB1118_53 Depth=1
	s_waitcnt lgkmcnt(0)
	v_bcnt_u32_b32 v176, v176, v165
	ds_write_b32 v167, v176
.LBB1118_71:                            ;   in Loop: Header=BB1118_53 Depth=1
	s_or_b32 exec_lo, exec_lo, s20
	v_cmp_ne_u64_e64 s20, s[22:23], v[82:83]
	; wave barrier
	v_cndmask_b32_e64 v177, 0x7fffffff, v83, s20
	v_cndmask_b32_e64 v176, -1, v82, s20
	v_lshrrev_b64 v[176:177], v10, v[176:177]
	v_and_b32_e32 v176, v176, v130
	v_and_b32_e32 v177, 1, v176
	v_lshlrev_b32_e32 v178, 30, v176
	v_lshlrev_b32_e32 v179, 29, v176
	;; [unrolled: 1-line block ×4, first 2 shown]
	v_add_co_u32 v177, s20, v177, -1
	v_cndmask_b32_e64 v181, 0, 1, s20
	v_not_b32_e32 v193, v178
	v_cmp_gt_i32_e64 s21, 0, v178
	v_not_b32_e32 v178, v179
	v_lshlrev_b32_e32 v183, 26, v176
	v_cmp_ne_u32_e64 s20, 0, v181
	v_ashrrev_i32_e32 v193, 31, v193
	v_lshlrev_b32_e32 v192, 25, v176
	v_ashrrev_i32_e32 v178, 31, v178
	v_lshlrev_b32_e32 v181, 24, v176
	v_xor_b32_e32 v177, s20, v177
	v_cmp_gt_i32_e64 s20, 0, v179
	v_not_b32_e32 v179, v180
	v_xor_b32_e32 v193, s21, v193
	v_cmp_gt_i32_e64 s21, 0, v180
	v_and_b32_e32 v177, exec_lo, v177
	v_not_b32_e32 v180, v182
	v_ashrrev_i32_e32 v179, 31, v179
	v_xor_b32_e32 v178, s20, v178
	v_cmp_gt_i32_e64 s20, 0, v182
	v_and_b32_e32 v177, v177, v193
	v_not_b32_e32 v182, v183
	v_ashrrev_i32_e32 v180, 31, v180
	v_xor_b32_e32 v179, s21, v179
	v_cmp_gt_i32_e64 s21, 0, v183
	v_and_b32_e32 v177, v177, v178
	;; [unrolled: 5-line block ×3, first 2 shown]
	v_not_b32_e32 v179, v181
	v_ashrrev_i32_e32 v178, 31, v178
	v_xor_b32_e32 v182, s21, v182
	v_lshl_add_u32 v176, v176, 3, v46
	v_and_b32_e32 v177, v177, v180
	v_cmp_gt_i32_e64 s21, 0, v181
	v_ashrrev_i32_e32 v179, 31, v179
	v_xor_b32_e32 v178, s20, v178
	v_lshl_add_u32 v180, v176, 2, v12
	v_and_b32_e32 v177, v177, v182
	v_xor_b32_e32 v179, s21, v179
	ds_read_b32 v176, v180 offset:32
	v_and_b32_e32 v177, v177, v178
	v_add_nc_u32_e32 v178, 32, v180
	; wave barrier
	v_and_b32_e32 v179, v177, v179
	v_mbcnt_lo_u32_b32 v177, v179, 0
	v_cmp_ne_u32_e64 s21, 0, v179
	v_cmp_eq_u32_e64 s20, 0, v177
	s_and_b32 s21, s21, s20
	s_and_saveexec_b32 s20, s21
	s_cbranch_execz .LBB1118_73
; %bb.72:                               ;   in Loop: Header=BB1118_53 Depth=1
	s_waitcnt lgkmcnt(0)
	v_bcnt_u32_b32 v179, v179, v176
	ds_write_b32 v178, v179
.LBB1118_73:                            ;   in Loop: Header=BB1118_53 Depth=1
	s_or_b32 exec_lo, exec_lo, s20
	v_cmp_ne_u64_e64 s20, s[22:23], v[84:85]
	; wave barrier
	v_cndmask_b32_e64 v180, 0x7fffffff, v85, s20
	v_cndmask_b32_e64 v179, -1, v84, s20
	v_lshrrev_b64 v[179:180], v10, v[179:180]
	v_and_b32_e32 v179, v179, v130
	v_and_b32_e32 v180, 1, v179
	v_lshlrev_b32_e32 v181, 30, v179
	v_lshlrev_b32_e32 v182, 29, v179
	;; [unrolled: 1-line block ×4, first 2 shown]
	v_add_co_u32 v180, s20, v180, -1
	v_cndmask_b32_e64 v192, 0, 1, s20
	v_not_b32_e32 v196, v181
	v_cmp_gt_i32_e64 s21, 0, v181
	v_not_b32_e32 v181, v182
	v_lshlrev_b32_e32 v194, 26, v179
	v_cmp_ne_u32_e64 s20, 0, v192
	v_ashrrev_i32_e32 v196, 31, v196
	v_lshlrev_b32_e32 v195, 25, v179
	v_ashrrev_i32_e32 v181, 31, v181
	v_lshlrev_b32_e32 v192, 24, v179
	v_xor_b32_e32 v180, s20, v180
	v_cmp_gt_i32_e64 s20, 0, v182
	v_not_b32_e32 v182, v183
	v_xor_b32_e32 v196, s21, v196
	v_cmp_gt_i32_e64 s21, 0, v183
	v_and_b32_e32 v180, exec_lo, v180
	v_not_b32_e32 v183, v193
	v_ashrrev_i32_e32 v182, 31, v182
	v_xor_b32_e32 v181, s20, v181
	v_cmp_gt_i32_e64 s20, 0, v193
	v_and_b32_e32 v180, v180, v196
	v_not_b32_e32 v193, v194
	v_ashrrev_i32_e32 v183, 31, v183
	v_xor_b32_e32 v182, s21, v182
	v_cmp_gt_i32_e64 s21, 0, v194
	v_and_b32_e32 v180, v180, v181
	;; [unrolled: 5-line block ×3, first 2 shown]
	v_not_b32_e32 v182, v192
	v_ashrrev_i32_e32 v181, 31, v181
	v_xor_b32_e32 v193, s21, v193
	v_lshl_add_u32 v179, v179, 3, v46
	v_and_b32_e32 v180, v180, v183
	v_cmp_gt_i32_e64 s21, 0, v192
	v_ashrrev_i32_e32 v182, 31, v182
	v_xor_b32_e32 v181, s20, v181
	v_lshl_add_u32 v183, v179, 2, v12
	v_and_b32_e32 v180, v180, v193
	v_xor_b32_e32 v182, s21, v182
	ds_read_b32 v179, v183 offset:32
	v_and_b32_e32 v180, v180, v181
	v_add_nc_u32_e32 v181, 32, v183
	; wave barrier
	v_and_b32_e32 v182, v180, v182
	v_mbcnt_lo_u32_b32 v180, v182, 0
	v_cmp_ne_u32_e64 s21, 0, v182
	v_cmp_eq_u32_e64 s20, 0, v180
	s_and_b32 s21, s21, s20
	s_and_saveexec_b32 s20, s21
	s_cbranch_execz .LBB1118_75
; %bb.74:                               ;   in Loop: Header=BB1118_53 Depth=1
	s_waitcnt lgkmcnt(0)
	v_bcnt_u32_b32 v182, v182, v179
	ds_write_b32 v181, v182
.LBB1118_75:                            ;   in Loop: Header=BB1118_53 Depth=1
	s_or_b32 exec_lo, exec_lo, s20
	v_cmp_ne_u64_e64 s20, s[22:23], v[86:87]
	; wave barrier
	v_cndmask_b32_e64 v183, 0x7fffffff, v87, s20
	v_cndmask_b32_e64 v182, -1, v86, s20
	v_lshrrev_b64 v[182:183], v10, v[182:183]
	v_and_b32_e32 v182, v182, v130
	v_and_b32_e32 v183, 1, v182
	v_lshlrev_b32_e32 v192, 30, v182
	v_lshlrev_b32_e32 v193, 29, v182
	v_lshlrev_b32_e32 v194, 28, v182
	v_lshlrev_b32_e32 v196, 27, v182
	v_add_co_u32 v183, s20, v183, -1
	v_cndmask_b32_e64 v195, 0, 1, s20
	v_not_b32_e32 v199, v192
	v_cmp_gt_i32_e64 s21, 0, v192
	v_not_b32_e32 v192, v193
	v_lshlrev_b32_e32 v197, 26, v182
	v_cmp_ne_u32_e64 s20, 0, v195
	v_ashrrev_i32_e32 v199, 31, v199
	v_lshlrev_b32_e32 v198, 25, v182
	v_ashrrev_i32_e32 v192, 31, v192
	v_lshlrev_b32_e32 v195, 24, v182
	v_xor_b32_e32 v183, s20, v183
	v_cmp_gt_i32_e64 s20, 0, v193
	v_not_b32_e32 v193, v194
	v_xor_b32_e32 v199, s21, v199
	v_cmp_gt_i32_e64 s21, 0, v194
	v_and_b32_e32 v183, exec_lo, v183
	v_not_b32_e32 v194, v196
	v_ashrrev_i32_e32 v193, 31, v193
	v_xor_b32_e32 v192, s20, v192
	v_cmp_gt_i32_e64 s20, 0, v196
	v_and_b32_e32 v183, v183, v199
	v_not_b32_e32 v196, v197
	v_ashrrev_i32_e32 v194, 31, v194
	v_xor_b32_e32 v193, s21, v193
	v_cmp_gt_i32_e64 s21, 0, v197
	v_and_b32_e32 v183, v183, v192
	;; [unrolled: 5-line block ×3, first 2 shown]
	v_not_b32_e32 v193, v195
	v_ashrrev_i32_e32 v192, 31, v192
	v_xor_b32_e32 v196, s21, v196
	v_lshl_add_u32 v182, v182, 3, v46
	v_and_b32_e32 v183, v183, v194
	v_cmp_gt_i32_e64 s21, 0, v195
	v_ashrrev_i32_e32 v193, 31, v193
	v_xor_b32_e32 v192, s20, v192
	v_lshl_add_u32 v194, v182, 2, v12
	v_and_b32_e32 v183, v183, v196
	v_xor_b32_e32 v193, s21, v193
	ds_read_b32 v182, v194 offset:32
	v_and_b32_e32 v183, v183, v192
	v_add_nc_u32_e32 v192, 32, v194
	; wave barrier
	v_and_b32_e32 v193, v183, v193
	v_mbcnt_lo_u32_b32 v183, v193, 0
	v_cmp_ne_u32_e64 s21, 0, v193
	v_cmp_eq_u32_e64 s20, 0, v183
	s_and_b32 s21, s21, s20
	s_and_saveexec_b32 s20, s21
	s_cbranch_execz .LBB1118_77
; %bb.76:                               ;   in Loop: Header=BB1118_53 Depth=1
	s_waitcnt lgkmcnt(0)
	v_bcnt_u32_b32 v193, v193, v182
	ds_write_b32 v192, v193
.LBB1118_77:                            ;   in Loop: Header=BB1118_53 Depth=1
	s_or_b32 exec_lo, exec_lo, s20
	v_cmp_ne_u64_e64 s20, s[22:23], v[96:97]
	; wave barrier
	v_cndmask_b32_e64 v194, 0x7fffffff, v97, s20
	v_cndmask_b32_e64 v193, -1, v96, s20
	v_lshrrev_b64 v[193:194], v10, v[193:194]
	v_and_b32_e32 v193, v193, v130
	v_and_b32_e32 v194, 1, v193
	v_lshlrev_b32_e32 v195, 30, v193
	v_lshlrev_b32_e32 v196, 29, v193
	;; [unrolled: 1-line block ×4, first 2 shown]
	v_add_co_u32 v194, s20, v194, -1
	v_cndmask_b32_e64 v198, 0, 1, s20
	v_not_b32_e32 v210, v195
	v_cmp_gt_i32_e64 s21, 0, v195
	v_not_b32_e32 v195, v196
	v_lshlrev_b32_e32 v208, 26, v193
	v_cmp_ne_u32_e64 s20, 0, v198
	v_ashrrev_i32_e32 v210, 31, v210
	v_lshlrev_b32_e32 v209, 25, v193
	v_ashrrev_i32_e32 v195, 31, v195
	v_lshlrev_b32_e32 v198, 24, v193
	v_xor_b32_e32 v194, s20, v194
	v_cmp_gt_i32_e64 s20, 0, v196
	v_not_b32_e32 v196, v197
	v_xor_b32_e32 v210, s21, v210
	v_cmp_gt_i32_e64 s21, 0, v197
	v_and_b32_e32 v194, exec_lo, v194
	v_not_b32_e32 v197, v199
	v_ashrrev_i32_e32 v196, 31, v196
	v_xor_b32_e32 v195, s20, v195
	v_cmp_gt_i32_e64 s20, 0, v199
	v_and_b32_e32 v194, v194, v210
	v_not_b32_e32 v199, v208
	v_ashrrev_i32_e32 v197, 31, v197
	v_xor_b32_e32 v196, s21, v196
	v_cmp_gt_i32_e64 s21, 0, v208
	v_and_b32_e32 v194, v194, v195
	;; [unrolled: 5-line block ×3, first 2 shown]
	v_not_b32_e32 v196, v198
	v_ashrrev_i32_e32 v195, 31, v195
	v_xor_b32_e32 v199, s21, v199
	v_lshl_add_u32 v193, v193, 3, v46
	v_and_b32_e32 v194, v194, v197
	v_cmp_gt_i32_e64 s21, 0, v198
	v_ashrrev_i32_e32 v196, 31, v196
	v_xor_b32_e32 v195, s20, v195
	v_lshl_add_u32 v197, v193, 2, v12
	v_and_b32_e32 v194, v194, v199
	v_xor_b32_e32 v196, s21, v196
	ds_read_b32 v193, v197 offset:32
	v_and_b32_e32 v194, v194, v195
	v_add_nc_u32_e32 v195, 32, v197
	; wave barrier
	v_and_b32_e32 v196, v194, v196
	v_mbcnt_lo_u32_b32 v194, v196, 0
	v_cmp_ne_u32_e64 s21, 0, v196
	v_cmp_eq_u32_e64 s20, 0, v194
	s_and_b32 s21, s21, s20
	s_and_saveexec_b32 s20, s21
	s_cbranch_execz .LBB1118_79
; %bb.78:                               ;   in Loop: Header=BB1118_53 Depth=1
	s_waitcnt lgkmcnt(0)
	v_bcnt_u32_b32 v196, v196, v193
	ds_write_b32 v195, v196
.LBB1118_79:                            ;   in Loop: Header=BB1118_53 Depth=1
	s_or_b32 exec_lo, exec_lo, s20
	v_cmp_ne_u64_e64 s20, s[22:23], v[98:99]
	; wave barrier
	v_cndmask_b32_e64 v197, 0x7fffffff, v99, s20
	v_cndmask_b32_e64 v196, -1, v98, s20
	v_lshrrev_b64 v[196:197], v10, v[196:197]
	v_and_b32_e32 v196, v196, v130
	v_and_b32_e32 v197, 1, v196
	v_lshlrev_b32_e32 v198, 30, v196
	v_lshlrev_b32_e32 v199, 29, v196
	;; [unrolled: 1-line block ×4, first 2 shown]
	v_add_co_u32 v197, s20, v197, -1
	v_cndmask_b32_e64 v209, 0, 1, s20
	v_not_b32_e32 v213, v198
	v_cmp_gt_i32_e64 s21, 0, v198
	v_not_b32_e32 v198, v199
	v_lshlrev_b32_e32 v211, 26, v196
	v_cmp_ne_u32_e64 s20, 0, v209
	v_ashrrev_i32_e32 v213, 31, v213
	v_lshlrev_b32_e32 v212, 25, v196
	v_ashrrev_i32_e32 v198, 31, v198
	v_lshlrev_b32_e32 v209, 24, v196
	v_xor_b32_e32 v197, s20, v197
	v_cmp_gt_i32_e64 s20, 0, v199
	v_not_b32_e32 v199, v208
	v_xor_b32_e32 v213, s21, v213
	v_cmp_gt_i32_e64 s21, 0, v208
	v_and_b32_e32 v197, exec_lo, v197
	v_not_b32_e32 v208, v210
	v_ashrrev_i32_e32 v199, 31, v199
	v_xor_b32_e32 v198, s20, v198
	v_cmp_gt_i32_e64 s20, 0, v210
	v_and_b32_e32 v197, v197, v213
	v_not_b32_e32 v210, v211
	v_ashrrev_i32_e32 v208, 31, v208
	v_xor_b32_e32 v199, s21, v199
	v_cmp_gt_i32_e64 s21, 0, v211
	v_and_b32_e32 v197, v197, v198
	;; [unrolled: 5-line block ×3, first 2 shown]
	v_not_b32_e32 v199, v209
	v_ashrrev_i32_e32 v198, 31, v198
	v_xor_b32_e32 v210, s21, v210
	v_lshl_add_u32 v196, v196, 3, v46
	v_and_b32_e32 v197, v197, v208
	v_cmp_gt_i32_e64 s21, 0, v209
	v_ashrrev_i32_e32 v199, 31, v199
	v_xor_b32_e32 v198, s20, v198
	v_lshl_add_u32 v208, v196, 2, v12
	v_and_b32_e32 v197, v197, v210
	v_xor_b32_e32 v199, s21, v199
	ds_read_b32 v196, v208 offset:32
	v_and_b32_e32 v197, v197, v198
	v_add_nc_u32_e32 v198, 32, v208
	; wave barrier
	v_and_b32_e32 v199, v197, v199
	v_mbcnt_lo_u32_b32 v197, v199, 0
	v_cmp_ne_u32_e64 s21, 0, v199
	v_cmp_eq_u32_e64 s20, 0, v197
	s_and_b32 s21, s21, s20
	s_and_saveexec_b32 s20, s21
	s_cbranch_execz .LBB1118_81
; %bb.80:                               ;   in Loop: Header=BB1118_53 Depth=1
	s_waitcnt lgkmcnt(0)
	v_bcnt_u32_b32 v199, v199, v196
	ds_write_b32 v198, v199
.LBB1118_81:                            ;   in Loop: Header=BB1118_53 Depth=1
	s_or_b32 exec_lo, exec_lo, s20
	v_cmp_ne_u64_e64 s20, s[22:23], v[102:103]
	; wave barrier
	v_cndmask_b32_e64 v209, 0x7fffffff, v103, s20
	v_cndmask_b32_e64 v208, -1, v102, s20
	v_lshrrev_b64 v[208:209], v10, v[208:209]
	v_and_b32_e32 v199, v208, v130
	v_and_b32_e32 v208, 1, v199
	v_lshlrev_b32_e32 v209, 30, v199
	v_lshlrev_b32_e32 v210, 29, v199
	;; [unrolled: 1-line block ×4, first 2 shown]
	v_add_co_u32 v208, s20, v208, -1
	v_cndmask_b32_e64 v212, 0, 1, s20
	v_not_b32_e32 v224, v209
	v_cmp_gt_i32_e64 s21, 0, v209
	v_not_b32_e32 v209, v210
	v_lshlrev_b32_e32 v214, 26, v199
	v_cmp_ne_u32_e64 s20, 0, v212
	v_ashrrev_i32_e32 v224, 31, v224
	v_lshlrev_b32_e32 v215, 25, v199
	v_ashrrev_i32_e32 v209, 31, v209
	v_lshlrev_b32_e32 v212, 24, v199
	v_xor_b32_e32 v208, s20, v208
	v_cmp_gt_i32_e64 s20, 0, v210
	v_not_b32_e32 v210, v211
	v_xor_b32_e32 v224, s21, v224
	v_cmp_gt_i32_e64 s21, 0, v211
	v_and_b32_e32 v208, exec_lo, v208
	v_not_b32_e32 v211, v213
	v_ashrrev_i32_e32 v210, 31, v210
	v_xor_b32_e32 v209, s20, v209
	v_cmp_gt_i32_e64 s20, 0, v213
	v_and_b32_e32 v208, v208, v224
	v_not_b32_e32 v213, v214
	v_ashrrev_i32_e32 v211, 31, v211
	v_xor_b32_e32 v210, s21, v210
	v_cmp_gt_i32_e64 s21, 0, v214
	v_and_b32_e32 v208, v208, v209
	;; [unrolled: 5-line block ×3, first 2 shown]
	v_not_b32_e32 v210, v212
	v_ashrrev_i32_e32 v209, 31, v209
	v_xor_b32_e32 v213, s21, v213
	v_lshl_add_u32 v199, v199, 3, v46
	v_and_b32_e32 v208, v208, v211
	v_cmp_gt_i32_e64 s21, 0, v212
	v_ashrrev_i32_e32 v210, 31, v210
	v_xor_b32_e32 v209, s20, v209
	v_lshl_add_u32 v211, v199, 2, v12
	v_and_b32_e32 v208, v208, v213
	v_xor_b32_e32 v210, s21, v210
	ds_read_b32 v199, v211 offset:32
	v_and_b32_e32 v208, v208, v209
	v_add_nc_u32_e32 v209, 32, v211
	; wave barrier
	v_and_b32_e32 v210, v208, v210
	v_mbcnt_lo_u32_b32 v208, v210, 0
	v_cmp_ne_u32_e64 s21, 0, v210
	v_cmp_eq_u32_e64 s20, 0, v208
	s_and_b32 s21, s21, s20
	s_and_saveexec_b32 s20, s21
	s_cbranch_execz .LBB1118_83
; %bb.82:                               ;   in Loop: Header=BB1118_53 Depth=1
	s_waitcnt lgkmcnt(0)
	v_bcnt_u32_b32 v210, v210, v199
	ds_write_b32 v209, v210
.LBB1118_83:                            ;   in Loop: Header=BB1118_53 Depth=1
	s_or_b32 exec_lo, exec_lo, s20
	v_cmp_ne_u64_e64 s20, s[22:23], v[100:101]
	; wave barrier
	v_cndmask_b32_e64 v211, 0x7fffffff, v101, s20
	v_cndmask_b32_e64 v210, -1, v100, s20
	v_lshrrev_b64 v[210:211], v10, v[210:211]
	v_and_b32_e32 v130, v210, v130
	v_and_b32_e32 v210, 1, v130
	v_lshlrev_b32_e32 v211, 30, v130
	v_lshlrev_b32_e32 v212, 29, v130
	;; [unrolled: 1-line block ×4, first 2 shown]
	v_add_co_u32 v210, s20, v210, -1
	v_cndmask_b32_e64 v214, 0, 1, s20
	v_not_b32_e32 v226, v211
	v_cmp_gt_i32_e64 s21, 0, v211
	v_not_b32_e32 v211, v212
	v_lshlrev_b32_e32 v224, 26, v130
	v_cmp_ne_u32_e64 s20, 0, v214
	v_ashrrev_i32_e32 v226, 31, v226
	v_lshlrev_b32_e32 v225, 25, v130
	v_ashrrev_i32_e32 v211, 31, v211
	v_lshlrev_b32_e32 v214, 24, v130
	v_xor_b32_e32 v210, s20, v210
	v_cmp_gt_i32_e64 s20, 0, v212
	v_not_b32_e32 v212, v213
	v_xor_b32_e32 v226, s21, v226
	v_cmp_gt_i32_e64 s21, 0, v213
	v_and_b32_e32 v210, exec_lo, v210
	v_not_b32_e32 v213, v215
	v_ashrrev_i32_e32 v212, 31, v212
	v_xor_b32_e32 v211, s20, v211
	v_cmp_gt_i32_e64 s20, 0, v215
	v_and_b32_e32 v210, v210, v226
	v_not_b32_e32 v215, v224
	v_ashrrev_i32_e32 v213, 31, v213
	v_xor_b32_e32 v212, s21, v212
	v_cmp_gt_i32_e64 s21, 0, v224
	v_and_b32_e32 v210, v210, v211
	;; [unrolled: 5-line block ×3, first 2 shown]
	v_not_b32_e32 v212, v214
	v_ashrrev_i32_e32 v211, 31, v211
	v_xor_b32_e32 v215, s21, v215
	v_lshl_add_u32 v130, v130, 3, v46
	v_and_b32_e32 v210, v210, v213
	v_cmp_gt_i32_e64 s21, 0, v214
	v_ashrrev_i32_e32 v212, 31, v212
	v_xor_b32_e32 v211, s20, v211
	v_lshl_add_u32 v213, v130, 2, v12
	v_and_b32_e32 v210, v210, v215
	v_xor_b32_e32 v212, s21, v212
	ds_read_b32 v130, v213 offset:32
	v_and_b32_e32 v210, v210, v211
	v_add_nc_u32_e32 v211, 32, v213
	; wave barrier
	v_and_b32_e32 v212, v210, v212
	v_mbcnt_lo_u32_b32 v210, v212, 0
	v_cmp_ne_u32_e64 s21, 0, v212
	v_cmp_eq_u32_e64 s20, 0, v210
	s_and_b32 s21, s21, s20
	s_and_saveexec_b32 s20, s21
	s_cbranch_execz .LBB1118_85
; %bb.84:                               ;   in Loop: Header=BB1118_53 Depth=1
	s_waitcnt lgkmcnt(0)
	v_bcnt_u32_b32 v212, v212, v130
	ds_write_b32 v211, v212
.LBB1118_85:                            ;   in Loop: Header=BB1118_53 Depth=1
	s_or_b32 exec_lo, exec_lo, s20
	; wave barrier
	s_waitcnt lgkmcnt(0)
	s_barrier
	buffer_gl0_inv
	ds_read_b32 v224, v246
	ds_read_b32 v225, v247
	;; [unrolled: 1-line block ×8, first 2 shown]
	s_waitcnt lgkmcnt(6)
	v_add_nc_u32_e32 v228, v225, v224
	s_waitcnt lgkmcnt(4)
	v_add3_u32 v228, v228, v226, v215
	s_waitcnt lgkmcnt(2)
	v_add3_u32 v228, v228, v214, v213
	;; [unrolled: 2-line block ×3, first 2 shown]
	v_mov_b32_dpp v228, v227 row_shr:1 row_mask:0xf bank_mask:0xf
	v_cndmask_b32_e64 v228, v228, 0, vcc_lo
	v_add_nc_u32_e32 v227, v228, v227
	v_mov_b32_dpp v228, v227 row_shr:2 row_mask:0xf bank_mask:0xf
	v_cndmask_b32_e64 v228, 0, v228, s4
	v_add_nc_u32_e32 v227, v227, v228
	v_mov_b32_dpp v228, v227 row_shr:4 row_mask:0xf bank_mask:0xf
	v_cndmask_b32_e64 v228, 0, v228, s5
	;; [unrolled: 3-line block ×3, first 2 shown]
	v_add_nc_u32_e32 v227, v227, v228
	ds_swizzle_b32 v228, v227 offset:swizzle(BROADCAST,32,15)
	s_waitcnt lgkmcnt(0)
	v_cndmask_b32_e64 v228, v228, 0, s10
	v_add_nc_u32_e32 v227, v227, v228
	s_and_saveexec_b32 s20, s11
; %bb.86:                               ;   in Loop: Header=BB1118_53 Depth=1
	ds_write_b32 v56, v227
; %bb.87:                               ;   in Loop: Header=BB1118_53 Depth=1
	s_or_b32 exec_lo, exec_lo, s20
	s_waitcnt lgkmcnt(0)
	s_barrier
	buffer_gl0_inv
	s_and_saveexec_b32 s20, s14
	s_cbranch_execz .LBB1118_89
; %bb.88:                               ;   in Loop: Header=BB1118_53 Depth=1
	ds_read_b32 v228, v57
	s_waitcnt lgkmcnt(0)
	v_mov_b32_dpp v229, v228 row_shr:1 row_mask:0xf bank_mask:0xf
	v_cndmask_b32_e64 v229, v229, 0, s17
	v_add_nc_u32_e32 v228, v229, v228
	v_mov_b32_dpp v229, v228 row_shr:2 row_mask:0xf bank_mask:0xf
	v_cndmask_b32_e64 v229, 0, v229, s18
	v_add_nc_u32_e32 v228, v228, v229
	v_mov_b32_dpp v229, v228 row_shr:4 row_mask:0xf bank_mask:0xf
	v_cndmask_b32_e64 v229, 0, v229, s19
	v_add_nc_u32_e32 v228, v228, v229
	ds_write_b32 v57, v228
.LBB1118_89:                            ;   in Loop: Header=BB1118_53 Depth=1
	s_or_b32 exec_lo, exec_lo, s20
	v_mov_b32_e32 v228, 0
	s_waitcnt lgkmcnt(0)
	s_barrier
	buffer_gl0_inv
	s_and_saveexec_b32 s20, s15
; %bb.90:                               ;   in Loop: Header=BB1118_53 Depth=1
	ds_read_b32 v228, v59
; %bb.91:                               ;   in Loop: Header=BB1118_53 Depth=1
	s_or_b32 exec_lo, exec_lo, s20
	s_waitcnt lgkmcnt(0)
	v_add_nc_u32_e32 v227, v228, v227
	v_mov_b32_e32 v229, v1
	v_mov_b32_e32 v231, v1
	;; [unrolled: 1-line block ×4, first 2 shown]
	ds_bpermute_b32 v227, v47, v227
	v_mov_b32_e32 v245, v1
	v_add_nc_u32_e32 v10, 8, v10
	s_mov_b32 s28, -1
	v_cmp_lt_u32_e64 s20, v10, v11
	s_waitcnt lgkmcnt(0)
	v_cndmask_b32_e64 v227, v227, v228, s6
	v_cndmask_b32_e64 v228, v227, 0, s16
	v_mov_b32_e32 v227, v1
	v_add_nc_u32_e32 v224, v228, v224
	v_add_nc_u32_e32 v230, v224, v225
	v_mov_b32_e32 v225, v1
	ds_write_b32 v246, v228
	ds_write_b32 v247, v224
	;; [unrolled: 1-line block ×3, first 2 shown]
	v_add_nc_u32_e32 v226, v230, v226
	v_add_nc_u32_e32 v240, v226, v215
	v_mov_b32_e32 v215, v1
	v_add_nc_u32_e32 v214, v240, v214
	v_add_nc_u32_e32 v242, v214, v213
	v_mov_b32_e32 v213, v1
	v_add_nc_u32_e32 v212, v242, v212
	ds_write_b32 v41, v226
	ds_write_b32 v42, v240
	;; [unrolled: 1-line block ×5, first 2 shown]
	s_waitcnt lgkmcnt(0)
	s_barrier
	buffer_gl0_inv
	ds_read_b32 v117, v117
	ds_read_b32 v212, v129
	;; [unrolled: 1-line block ×16, first 2 shown]
	v_mov_b32_e32 v129, v1
	v_mov_b32_e32 v133, v1
	;; [unrolled: 1-line block ×3, first 2 shown]
	s_waitcnt lgkmcnt(0)
	v_add_nc_u32_e32 v0, v117, v0
	v_add3_u32 v214, v128, v118, v212
	v_add3_u32 v224, v132, v131, v224
	;; [unrolled: 1-line block ×8, first 2 shown]
	v_lshlrev_b64 v[144:145], 3, v[0:1]
	v_add3_u32 v128, v180, v179, v181
	v_add3_u32 v132, v183, v182, v192
	;; [unrolled: 1-line block ×5, first 2 shown]
	v_lshlrev_b64 v[128:129], 3, v[128:129]
	v_add3_u32 v134, v210, v130, v211
	v_lshlrev_b64 v[129:130], 3, v[132:133]
	v_mov_b32_e32 v132, v1
	v_add3_u32 v117, v197, v196, v198
	v_lshlrev_b64 v[160:161], 3, v[228:229]
	v_mov_b32_e32 v118, v1
	v_mov_b32_e32 v135, v1
	v_lshlrev_b64 v[161:162], 3, v[230:231]
	v_lshlrev_b64 v[162:163], 3, v[240:241]
	;; [unrolled: 1-line block ×6, first 2 shown]
	v_add_co_u32 v109, null, v12, v128
	v_add_co_u32 v110, null, v12, v129
	v_lshlrev_b64 v[128:129], 3, v[131:132]
	v_lshlrev_b64 v[150:151], 3, v[226:227]
	;; [unrolled: 1-line block ×3, first 2 shown]
	v_add_co_u32 v0, null, v12, v144
	v_lshlrev_b64 v[144:145], 3, v[146:147]
	v_lshlrev_b64 v[117:118], 3, v[117:118]
	;; [unrolled: 1-line block ×3, first 2 shown]
	v_add_co_u32 v92, null, v12, v148
	v_add_co_u32 v93, null, v12, v149
	;; [unrolled: 1-line block ×13, first 2 shown]
                                        ; implicit-def: $vgpr117_vgpr118
                                        ; implicit-def: $vgpr130_vgpr131
                                        ; implicit-def: $vgpr134_vgpr135
                                        ; implicit-def: $vgpr128_vgpr129
                                        ; implicit-def: $vgpr132_vgpr133
                                        ; implicit-def: $vgpr144_vgpr145
                                        ; implicit-def: $vgpr146_vgpr147
                                        ; implicit-def: $vgpr148_vgpr149
                                        ; implicit-def: $vgpr150_vgpr151
                                        ; implicit-def: $vgpr160_vgpr161
                                        ; implicit-def: $vgpr162_vgpr163
                                        ; implicit-def: $vgpr164_vgpr165
                                        ; implicit-def: $vgpr166_vgpr167
                                        ; implicit-def: $vgpr176_vgpr177
                                        ; implicit-def: $vgpr178_vgpr179
                                        ; implicit-def: $vgpr192_vgpr193
                                        ; implicit-def: $vgpr208_vgpr209
                                        ; implicit-def: $vgpr180_vgpr181
                                        ; implicit-def: $vgpr182_vgpr183
                                        ; implicit-def: $vgpr196_vgpr197
                                        ; implicit-def: $vgpr194_vgpr195
                                        ; implicit-def: $vgpr198_vgpr199
                                        ; implicit-def: $vgpr210_vgpr211
                                        ; implicit-def: $vgpr212_vgpr213
                                        ; implicit-def: $vgpr214_vgpr215
                                        ; implicit-def: $vgpr226_vgpr227
                                        ; implicit-def: $vgpr224_vgpr225
                                        ; implicit-def: $vgpr228_vgpr229
                                        ; implicit-def: $vgpr230_vgpr231
                                        ; implicit-def: $vgpr240_vgpr241
                                        ; implicit-def: $vgpr242_vgpr243
                                        ; implicit-def: $vgpr244_vgpr245
	s_and_saveexec_b32 s21, s20
	s_cbranch_execz .LBB1118_52
; %bb.92:                               ;   in Loop: Header=BB1118_53 Depth=1
	s_barrier
	buffer_gl0_inv
	ds_write_b64 v0, v[48:49]
	ds_write_b64 v92, v[50:51]
	;; [unrolled: 1-line block ×16, first 2 shown]
	s_waitcnt lgkmcnt(0)
	s_barrier
	buffer_gl0_inv
	ds_read_b64 v[208:209], v58
	ds_read_b64 v[180:181], v60
	;; [unrolled: 1-line block ×16, first 2 shown]
	s_waitcnt lgkmcnt(0)
	s_barrier
	buffer_gl0_inv
	ds_write_b64 v0, v[13:14]
	ds_write_b64 v92, v[8:9]
	;; [unrolled: 1-line block ×16, first 2 shown]
	s_waitcnt lgkmcnt(0)
	s_barrier
	buffer_gl0_inv
	ds_read_b64 v[117:118], v58
	ds_read_b64 v[130:131], v60
	;; [unrolled: 1-line block ×16, first 2 shown]
	v_add_nc_u32_e32 v91, -8, v91
	s_xor_b32 s28, exec_lo, -1
	s_waitcnt lgkmcnt(0)
	s_barrier
	buffer_gl0_inv
	s_branch .LBB1118_52
.LBB1118_93:
	s_or_b32 exec_lo, exec_lo, s27
	v_lshl_add_u32 v1, v21, 3, v12
	s_barrier
	buffer_gl0_inv
	ds_write_b64 v0, v[48:49]
	ds_write_b64 v92, v[50:51]
	ds_write_b64 v93, v[54:55]
	ds_write_b64 v94, v[52:53]
	ds_write_b64 v95, v[68:69]
	ds_write_b64 v104, v[66:67]
	ds_write_b64 v105, v[64:65]
	ds_write_b64 v106, v[70:71]
	ds_write_b64 v107, v[80:81]
	ds_write_b64 v108, v[82:83]
	ds_write_b64 v109, v[84:85]
	ds_write_b64 v110, v[86:87]
	ds_write_b64 v111, v[96:97]
	ds_write_b64 v120, v[98:99]
	ds_write_b64 v121, v[102:103]
	ds_write_b64 v122, v[100:101]
	s_waitcnt lgkmcnt(0)
	s_barrier
	buffer_gl0_inv
	ds_read2st64_b64 v[100:103], v1 offset1:4
	ds_read2st64_b64 v[96:99], v1 offset0:8 offset1:12
	ds_read2st64_b64 v[84:87], v1 offset0:16 offset1:20
	;; [unrolled: 1-line block ×7, first 2 shown]
	s_waitcnt lgkmcnt(0)
	s_barrier
	buffer_gl0_inv
	ds_write_b64 v0, v[13:14]
	ds_write_b64 v92, v[8:9]
	ds_write_b64 v93, v[4:5]
	ds_write_b64 v94, v[15:16]
	ds_write_b64 v95, v[19:20]
	ds_write_b64 v104, v[17:18]
	ds_write_b64 v105, v[26:27]
	ds_write_b64 v106, v[24:25]
	ds_write_b64 v107, v[22:23]
	ds_write_b64 v108, v[34:35]
	ds_write_b64 v109, v[32:33]
	ds_write_b64 v110, v[30:31]
	ds_write_b64 v111, v[28:29]
	ds_write_b64 v120, v[115:116]
	ds_write_b64 v121, v[38:39]
	ds_write_b64 v122, v[36:37]
	s_waitcnt lgkmcnt(0)
	s_barrier
	buffer_gl0_inv
	ds_read2st64_b64 v[36:39], v1 offset1:4
	ds_read2st64_b64 v[32:35], v1 offset0:8 offset1:12
	ds_read2st64_b64 v[28:31], v1 offset0:16 offset1:20
	;; [unrolled: 1-line block ×7, first 2 shown]
	v_mov_b32_e32 v115, 0
	v_add_co_u32 v2, vcc_lo, v2, v112
	v_add_co_ci_u32_e64 v3, null, v3, v113, vcc_lo
	v_lshlrev_b64 v[0:1], 3, v[114:115]
	s_waitcnt lgkmcnt(0)
	s_barrier
	buffer_gl0_inv
	v_add_co_u32 v2, vcc_lo, v2, v0
	v_add_co_ci_u32_e64 v3, null, v3, v1, vcc_lo
	v_cmp_lt_u32_e32 vcc_lo, v114, v119
	s_and_saveexec_b32 s5, vcc_lo
	s_cbranch_execz .LBB1118_95
; %bb.94:
	v_cmp_gt_i64_e64 s4, 0, v[100:101]
	v_ashrrev_i32_e32 v4, 31, v101
	v_not_b32_e32 v4, v4
	v_cndmask_b32_e64 v5, 0x7fffffff, 0, s4
	v_xor_b32_e32 v4, v4, v100
	v_xor_b32_e32 v5, v5, v101
	flat_store_dwordx2 v[2:3], v[4:5]
.LBB1118_95:
	s_or_b32 exec_lo, exec_lo, s5
	v_add_nc_u32_e32 v4, 0x100, v114
	v_cmp_lt_u32_e64 s4, v4, v119
	s_and_saveexec_b32 s6, s4
	s_cbranch_execz .LBB1118_97
; %bb.96:
	v_cmp_gt_i64_e64 s5, 0, v[102:103]
	v_ashrrev_i32_e32 v4, 31, v103
	v_not_b32_e32 v4, v4
	v_cndmask_b32_e64 v5, 0x7fffffff, 0, s5
	v_add_co_u32 v100, s5, 0x800, v2
	v_add_co_ci_u32_e64 v101, null, 0, v3, s5
	v_xor_b32_e32 v5, v5, v103
	v_xor_b32_e32 v4, v4, v102
	flat_store_dwordx2 v[100:101], v[4:5]
.LBB1118_97:
	s_or_b32 exec_lo, exec_lo, s6
	v_add_nc_u32_e32 v4, 0x200, v114
	v_cmp_lt_u32_e64 s5, v4, v119
	s_and_saveexec_b32 s7, s5
	s_cbranch_execz .LBB1118_99
; %bb.98:
	v_ashrrev_i32_e32 v4, 31, v97
	v_cmp_gt_i64_e64 s6, 0, v[96:97]
	v_not_b32_e32 v4, v4
	v_cndmask_b32_e64 v5, 0x7fffffff, 0, s6
	v_xor_b32_e32 v4, v4, v96
	v_add_co_u32 v96, s6, 0x1000, v2
	v_xor_b32_e32 v5, v5, v97
	v_add_co_ci_u32_e64 v97, null, 0, v3, s6
	flat_store_dwordx2 v[96:97], v[4:5]
.LBB1118_99:
	s_or_b32 exec_lo, exec_lo, s7
	v_add_nc_u32_e32 v4, 0x300, v114
	v_cmp_lt_u32_e64 s6, v4, v119
	s_and_saveexec_b32 s10, s6
	s_cbranch_execz .LBB1118_101
; %bb.100:
	v_cmp_gt_i64_e64 s7, 0, v[98:99]
	v_ashrrev_i32_e32 v4, 31, v99
	v_not_b32_e32 v4, v4
	v_cndmask_b32_e64 v5, 0x7fffffff, 0, s7
	v_add_co_u32 v96, s7, 0x1800, v2
	v_add_co_ci_u32_e64 v97, null, 0, v3, s7
	v_xor_b32_e32 v5, v5, v99
	v_xor_b32_e32 v4, v4, v98
	flat_store_dwordx2 v[96:97], v[4:5]
.LBB1118_101:
	s_or_b32 exec_lo, exec_lo, s10
	v_add_nc_u32_e32 v4, 0x400, v114
	v_cmp_lt_u32_e64 s7, v4, v119
	s_and_saveexec_b32 s11, s7
	s_cbranch_execz .LBB1118_103
; %bb.102:
	v_ashrrev_i32_e32 v4, 31, v85
	v_cmp_gt_i64_e64 s10, 0, v[84:85]
	v_not_b32_e32 v4, v4
	v_cndmask_b32_e64 v5, 0x7fffffff, 0, s10
	v_xor_b32_e32 v4, v4, v84
	v_add_co_u32 v84, s10, 0x2000, v2
	v_xor_b32_e32 v5, v5, v85
	v_add_co_ci_u32_e64 v85, null, 0, v3, s10
	flat_store_dwordx2 v[84:85], v[4:5]
.LBB1118_103:
	;; [unrolled: 32-line block ×7, first 2 shown]
	s_or_b32 exec_lo, exec_lo, s23
	v_add_nc_u32_e32 v4, 0xf00, v114
	v_cmp_lt_u32_e64 s22, v4, v119
	s_and_saveexec_b32 s26, s22
	s_cbranch_execz .LBB1118_125
; %bb.124:
	v_cmp_gt_i64_e64 s23, 0, v[50:51]
	v_ashrrev_i32_e32 v4, 31, v51
	v_not_b32_e32 v4, v4
	v_cndmask_b32_e64 v5, 0x7fffffff, 0, s23
	v_add_co_u32 v2, s23, 0x7800, v2
	v_add_co_ci_u32_e64 v3, null, 0, v3, s23
	v_xor_b32_e32 v5, v5, v51
	v_xor_b32_e32 v4, v4, v50
	flat_store_dwordx2 v[2:3], v[4:5]
.LBB1118_125:
	s_or_b32 exec_lo, exec_lo, s26
	v_add_co_u32 v2, s23, v6, v112
	v_add_co_ci_u32_e64 v3, null, v7, v113, s23
	v_add_co_u32 v0, s23, v2, v0
	v_add_co_ci_u32_e64 v1, null, v3, v1, s23
	s_and_saveexec_b32 s23, vcc_lo
	s_cbranch_execnz .LBB1118_211
; %bb.126:
	s_or_b32 exec_lo, exec_lo, s23
	s_and_saveexec_b32 s23, s4
	s_cbranch_execnz .LBB1118_212
.LBB1118_127:
	s_or_b32 exec_lo, exec_lo, s23
	s_and_saveexec_b32 s4, s5
	s_cbranch_execnz .LBB1118_213
.LBB1118_128:
	s_or_b32 exec_lo, exec_lo, s4
	s_and_saveexec_b32 s4, s6
	s_cbranch_execnz .LBB1118_214
.LBB1118_129:
	s_or_b32 exec_lo, exec_lo, s4
	s_and_saveexec_b32 s4, s7
	s_cbranch_execnz .LBB1118_215
.LBB1118_130:
	s_or_b32 exec_lo, exec_lo, s4
	s_and_saveexec_b32 s4, s10
	s_cbranch_execnz .LBB1118_216
.LBB1118_131:
	s_or_b32 exec_lo, exec_lo, s4
	s_and_saveexec_b32 s4, s11
	s_cbranch_execnz .LBB1118_217
.LBB1118_132:
	s_or_b32 exec_lo, exec_lo, s4
	s_and_saveexec_b32 s4, s14
	s_cbranch_execnz .LBB1118_218
.LBB1118_133:
	s_or_b32 exec_lo, exec_lo, s4
	s_and_saveexec_b32 s4, s15
	s_cbranch_execnz .LBB1118_219
.LBB1118_134:
	s_or_b32 exec_lo, exec_lo, s4
	s_and_saveexec_b32 s4, s16
	s_cbranch_execnz .LBB1118_220
.LBB1118_135:
	s_or_b32 exec_lo, exec_lo, s4
	s_and_saveexec_b32 s4, s17
	s_cbranch_execnz .LBB1118_221
.LBB1118_136:
	s_or_b32 exec_lo, exec_lo, s4
	s_and_saveexec_b32 s4, s18
	s_cbranch_execnz .LBB1118_222
.LBB1118_137:
	s_or_b32 exec_lo, exec_lo, s4
	s_and_saveexec_b32 s4, s19
	s_cbranch_execnz .LBB1118_223
.LBB1118_138:
	s_or_b32 exec_lo, exec_lo, s4
	s_and_saveexec_b32 s4, s20
	s_cbranch_execnz .LBB1118_224
.LBB1118_139:
	s_or_b32 exec_lo, exec_lo, s4
	s_and_saveexec_b32 s4, s21
	s_cbranch_execnz .LBB1118_225
.LBB1118_140:
	s_or_b32 exec_lo, exec_lo, s4
	s_and_saveexec_b32 s4, s22
	s_cbranch_execz .LBB1118_142
.LBB1118_141:
	v_add_co_u32 v0, vcc_lo, 0x7800, v0
	v_add_co_ci_u32_e64 v1, null, 0, v1, vcc_lo
	flat_store_dwordx2 v[0:1], v[10:11]
.LBB1118_142:
	s_or_b32 exec_lo, exec_lo, s4
                                        ; implicit-def: $vgpr119
                                        ; implicit-def: $vgpr0
                                        ; implicit-def: $vgpr1
                                        ; implicit-def: $vgpr2
                                        ; implicit-def: $vgpr3
                                        ; implicit-def: $vgpr4
                                        ; implicit-def: $vgpr5
                                        ; implicit-def: $vgpr6
                                        ; implicit-def: $vgpr7
                                        ; implicit-def: $vgpr8
                                        ; implicit-def: $vgpr10
                                        ; implicit-def: $vgpr11
                                        ; implicit-def: $vgpr12
                                        ; implicit-def: $vgpr13
                                        ; implicit-def: $vgpr14
                                        ; implicit-def: $vgpr21
                                        ; implicit-def: $vgpr54
.LBB1118_143:
	s_andn2_saveexec_b32 s4, s25
	s_cbranch_execz .LBB1118_372
; %bb.144:
	s_mov_b32 s4, exec_lo
	v_cmpx_lt_u32_e32 0x400, v119
	s_xor_b32 s25, exec_lo, s4
	s_cbranch_execz .LBB1118_252
; %bb.145:
	s_load_dwordx2 s[4:5], s[8:9], 0x0
	v_mov_b32_e32 v9, 0
	v_lshlrev_b32_e32 v30, 3, v54
	v_lshlrev_b64 v[48:49], 3, v[8:9]
	v_add_co_u32 v0, vcc_lo, v0, v48
	v_add_co_ci_u32_e64 v1, null, v1, v49, vcc_lo
	v_add_co_u32 v0, vcc_lo, v0, v30
	v_add_co_ci_u32_e64 v1, null, 0, v1, vcc_lo
	s_waitcnt lgkmcnt(0)
	s_cmp_lt_u32 s13, s5
	s_cselect_b32 s5, 14, 20
	s_add_u32 s6, s8, s5
	s_addc_u32 s7, s9, 0
	s_cmp_lt_u32 s12, s4
	global_load_ushort v15, v9, s[6:7]
	s_cselect_b32 s4, 12, 18
	s_add_u32 s4, s8, s4
	s_addc_u32 s5, s9, 0
	global_load_ushort v16, v9, s[4:5]
	s_waitcnt vmcnt(1)
	v_mad_u32_u24 v13, v14, v15, v13
	s_waitcnt vmcnt(0)
	v_mad_u64_u32 v[50:51], null, v13, v16, v[21:22]
	v_mov_b32_e32 v13, -1
	v_mov_b32_e32 v15, -1
	;; [unrolled: 1-line block ×4, first 2 shown]
	v_lshlrev_b32_e32 v17, 3, v50
	v_and_b32_e32 v8, 0xffffff00, v17
	v_lshlrev_b64 v[26:27], 3, v[8:9]
	v_or_b32_e32 v31, v8, v54
	v_add_co_u32 v28, vcc_lo, v0, v26
	v_add_co_ci_u32_e64 v29, null, v1, v27, vcc_lo
	v_cmp_lt_u32_e32 vcc_lo, v31, v119
	s_and_saveexec_b32 s4, vcc_lo
	s_cbranch_execz .LBB1118_147
; %bb.146:
	flat_load_dwordx2 v[15:16], v[28:29]
.LBB1118_147:
	s_or_b32 exec_lo, exec_lo, s4
	v_or_b32_e32 v0, 32, v31
	v_cmp_lt_u32_e64 s4, v0, v119
	s_and_saveexec_b32 s5, s4
	s_cbranch_execz .LBB1118_149
; %bb.148:
	flat_load_dwordx2 v[13:14], v[28:29] offset:256
.LBB1118_149:
	s_or_b32 exec_lo, exec_lo, s5
	v_or_b32_e32 v8, 64, v31
	v_mov_b32_e32 v0, -1
	v_mov_b32_e32 v22, -1
	v_mov_b32_e32 v1, -1
	v_mov_b32_e32 v23, -1
	v_cmp_lt_u32_e64 s5, v8, v119
	s_and_saveexec_b32 s6, s5
	s_cbranch_execz .LBB1118_151
; %bb.150:
	flat_load_dwordx2 v[22:23], v[28:29] offset:512
.LBB1118_151:
	s_or_b32 exec_lo, exec_lo, s6
	v_or_b32_e32 v8, 0x60, v31
	v_cmp_lt_u32_e64 s6, v8, v119
	s_and_saveexec_b32 s7, s6
	s_cbranch_execz .LBB1118_153
; %bb.152:
	flat_load_dwordx2 v[0:1], v[28:29] offset:768
.LBB1118_153:
	s_or_b32 exec_lo, exec_lo, s7
	v_or_b32_e32 v17, 0x80, v31
	v_mov_b32_e32 v8, -1
	v_mov_b32_e32 v24, -1
	v_mov_b32_e32 v9, -1
	v_mov_b32_e32 v25, -1
	v_cmp_lt_u32_e64 s7, v17, v119
	s_and_saveexec_b32 s10, s7
	s_cbranch_execz .LBB1118_155
; %bb.154:
	flat_load_dwordx2 v[24:25], v[28:29] offset:1024
.LBB1118_155:
	;; [unrolled: 20-line block ×3, first 2 shown]
	s_or_b32 exec_lo, exec_lo, s14
	v_or_b32_e32 v31, 0xe0, v31
	v_cmp_lt_u32_e64 s14, v31, v119
	s_and_saveexec_b32 s15, s14
	s_cbranch_execz .LBB1118_161
; %bb.160:
	flat_load_dwordx2 v[17:18], v[28:29] offset:1792
.LBB1118_161:
	s_or_b32 exec_lo, exec_lo, s15
	v_add_co_u32 v4, s15, v4, v48
	v_add_co_ci_u32_e64 v5, null, v5, v49, s15
                                        ; implicit-def: $vgpr38_vgpr39
	v_add_co_u32 v4, s15, v4, v30
	v_add_co_ci_u32_e64 v5, null, 0, v5, s15
	v_add_co_u32 v4, s15, v4, v26
	v_add_co_ci_u32_e64 v5, null, v5, v27, s15
	s_and_saveexec_b32 s15, vcc_lo
	s_cbranch_execnz .LBB1118_285
; %bb.162:
	s_or_b32 exec_lo, exec_lo, s15
                                        ; implicit-def: $vgpr64_vgpr65
	s_and_saveexec_b32 s15, s4
	s_cbranch_execnz .LBB1118_286
.LBB1118_163:
	s_or_b32 exec_lo, exec_lo, s15
                                        ; implicit-def: $vgpr66_vgpr67
	s_and_saveexec_b32 s4, s5
	s_cbranch_execnz .LBB1118_287
.LBB1118_164:
	s_or_b32 exec_lo, exec_lo, s4
                                        ; implicit-def: $vgpr68_vgpr69
	s_and_saveexec_b32 s4, s6
	s_cbranch_execnz .LBB1118_288
.LBB1118_165:
	s_or_b32 exec_lo, exec_lo, s4
                                        ; implicit-def: $vgpr70_vgpr71
	s_and_saveexec_b32 s4, s7
	s_cbranch_execnz .LBB1118_289
.LBB1118_166:
	s_or_b32 exec_lo, exec_lo, s4
                                        ; implicit-def: $vgpr80_vgpr81
	s_and_saveexec_b32 s4, s10
	s_cbranch_execnz .LBB1118_290
.LBB1118_167:
	s_or_b32 exec_lo, exec_lo, s4
                                        ; implicit-def: $vgpr82_vgpr83
	s_and_saveexec_b32 s4, s11
	s_cbranch_execnz .LBB1118_291
.LBB1118_168:
	s_or_b32 exec_lo, exec_lo, s4
                                        ; implicit-def: $vgpr84_vgpr85
	s_and_saveexec_b32 s4, s14
	s_cbranch_execz .LBB1118_170
.LBB1118_169:
	flat_load_dwordx2 v[84:85], v[4:5] offset:1792
.LBB1118_170:
	s_or_b32 exec_lo, exec_lo, s4
	s_waitcnt vmcnt(0) lgkmcnt(0)
	v_cmp_gt_i64_e32 vcc_lo, 0, v[15:16]
	v_ashrrev_i32_e32 v4, 31, v16
	v_ashrrev_i32_e32 v26, 31, v14
	s_getpc_b64 s[4:5]
	s_add_u32 s4, s4, _ZN7rocprim17ROCPRIM_400000_NS16block_radix_sortIdLj256ELj8ElLj1ELj1ELj8ELNS0_26block_radix_rank_algorithmE2ELNS0_18block_padding_hintE2ELNS0_4arch9wavefront6targetE0EE19radix_bits_per_passE@rel32@lo+4
	s_addc_u32 s5, s5, _ZN7rocprim17ROCPRIM_400000_NS16block_radix_sortIdLj256ELj8ElLj1ELj1ELj8ELNS0_26block_radix_rank_algorithmE2ELNS0_18block_padding_hintE2ELNS0_4arch9wavefront6targetE0EE19radix_bits_per_passE@rel32@hi+12
	v_lshrrev_b32_e32 v134, 5, v50
	s_load_dword s26, s[4:5], 0x0
	v_cndmask_b32_e64 v5, 0x7fffffff, 0, vcc_lo
	v_cmp_gt_i64_e32 vcc_lo, 0, v[13:14]
	v_not_b32_e32 v4, v4
	v_not_b32_e32 v26, v26
	v_cmp_gt_u32_e64 s14, 8, v21
	v_xor_b32_e32 v103, v5, v16
	v_ashrrev_i32_e32 v16, 31, v23
	v_cndmask_b32_e64 v5, 0x7fffffff, 0, vcc_lo
	v_cmp_gt_i64_e32 vcc_lo, 0, v[22:23]
	v_xor_b32_e32 v102, v4, v15
	v_xor_b32_e32 v98, v26, v13
	v_not_b32_e32 v4, v16
	v_xor_b32_e32 v99, v5, v14
	v_ashrrev_i32_e32 v5, 31, v1
	v_cndmask_b32_e64 v27, 0x7fffffff, 0, vcc_lo
	v_cmp_gt_i64_e32 vcc_lo, 0, v[0:1]
	v_xor_b32_e32 v100, v4, v22
	v_ashrrev_i32_e32 v4, 31, v25
	v_not_b32_e32 v5, v5
	v_xor_b32_e32 v101, v27, v23
	v_cmp_lt_u32_e64 s15, 31, v21
	v_cndmask_b32_e64 v13, 0x7fffffff, 0, vcc_lo
	v_cmp_gt_i64_e32 vcc_lo, 0, v[24:25]
	v_not_b32_e32 v4, v4
	v_xor_b32_e32 v112, v5, v0
	v_ashrrev_i32_e32 v0, 31, v9
	v_xor_b32_e32 v113, v13, v1
	v_cmp_eq_u32_e64 s16, 0, v21
	v_cndmask_b32_e64 v14, 0x7fffffff, 0, vcc_lo
	v_cmp_gt_i64_e32 vcc_lo, 0, v[8:9]
	v_xor_b32_e32 v114, v4, v24
	v_ashrrev_i32_e32 v4, 31, v20
	v_not_b32_e32 v0, v0
	v_xor_b32_e32 v115, v14, v25
	v_lshl_add_u32 v145, v21, 2, v12
	v_cndmask_b32_e64 v1, 0x7fffffff, 0, vcc_lo
	v_cmp_gt_i64_e32 vcc_lo, 0, v[19:20]
	v_xor_b32_e32 v116, v0, v8
	v_ashrrev_i32_e32 v0, 31, v18
	v_sub_co_u32 v8, s6, v54, 1
	v_xor_b32_e32 v117, v1, v9
	v_not_b32_e32 v1, v4
	v_cndmask_b32_e64 v5, 0x7fffffff, 0, vcc_lo
	v_cmp_gt_i64_e32 vcc_lo, 0, v[17:18]
	v_not_b32_e32 v0, v0
	v_cmp_gt_i32_e64 s11, 0, v8
	v_xor_b32_e32 v86, v1, v19
	v_lshl_add_u32 v1, v21, 5, v12
	v_xor_b32_e32 v87, v5, v20
	v_cndmask_b32_e64 v4, 0x7fffffff, 0, vcc_lo
	v_xor_b32_e32 v96, v0, v17
	v_lshlrev_b32_e32 v0, 3, v21
	v_add_nc_u32_e32 v55, 32, v1
	v_add_nc_u32_e32 v118, 36, v1
	;; [unrolled: 1-line block ×8, first 2 shown]
	v_and_b32_e32 v1, 0x3e0, v21
	v_xor_b32_e32 v97, v4, v18
	v_and_b32_e32 v4, 15, v54
	v_and_b32_e32 v5, 16, v54
	v_and_or_b32 v0, 0x1f00, v0, v54
	v_min_u32_e32 v1, 0xe0, v1
	v_sub_nc_u32_e32 v163, v11, v10
	v_cmp_eq_u32_e32 vcc_lo, 0, v4
	v_cmp_lt_u32_e64 s4, 1, v4
	v_cmp_lt_u32_e64 s5, 3, v4
	;; [unrolled: 1-line block ×3, first 2 shown]
	v_or_b32_e32 v1, 31, v1
	v_lshrrev_b32_e32 v4, 3, v21
	v_cmp_eq_u32_e64 s10, 0, v5
	v_cndmask_b32_e64 v5, v8, v54, s11
	v_lshl_add_u32 v146, v0, 3, v12
	v_cmp_eq_u32_e64 s11, v21, v1
	v_and_b32_e32 v1, 0x7c, v4
	v_and_b32_e32 v4, 7, v54
	v_lshlrev_b32_e32 v135, 2, v5
	v_add_nc_u32_e32 v148, 0x100, v146
	v_add_nc_u32_e32 v149, 0x200, v146
	;; [unrolled: 1-line block ×3, first 2 shown]
	v_mov_b32_e32 v1, 0
	v_cmp_eq_u32_e64 s17, 0, v4
	v_cmp_lt_u32_e64 s18, 1, v4
	v_cmp_lt_u32_e64 s19, 3, v4
	v_add_nc_u32_e32 v147, -4, v144
	v_add_nc_u32_e32 v150, 0x300, v146
	v_add_nc_u32_e32 v151, 0x400, v146
	;; [unrolled: 1-line block ×5, first 2 shown]
	s_mov_b32 s22, 0
	s_brev_b32 s23, 1
	s_mov_b32 s27, s22
	s_waitcnt lgkmcnt(0)
	s_waitcnt_vscnt null, 0x0
	s_barrier
	buffer_gl0_inv
	s_branch .LBB1118_172
.LBB1118_171:                           ;   in Loop: Header=BB1118_172 Depth=1
	s_or_b32 exec_lo, exec_lo, s21
	s_and_b32 s20, exec_lo, s28
	s_or_b32 s27, s20, s27
	s_andn2_b32 exec_lo, exec_lo, s27
	s_cbranch_execz .LBB1118_226
.LBB1118_172:                           ; =>This Inner Loop Header: Depth=1
	v_mov_b32_e32 v19, v102
	v_mov_b32_e32 v20, v103
	v_min_u32_e32 v0, s26, v163
	v_mov_b32_e32 v4, v64
	v_mov_b32_e32 v5, v65
	;; [unrolled: 1-line block ×3, first 2 shown]
	v_cmp_ne_u64_e64 s20, s[22:23], v[19:20]
	v_lshlrev_b32_e64 v0, v0, -1
	v_mov_b32_e32 v9, v39
	v_mov_b32_e32 v17, v66
	;; [unrolled: 1-line block ×4, first 2 shown]
	v_cndmask_b32_e64 v23, 0x7fffffff, v20, s20
	v_cndmask_b32_e64 v22, -1, v19, s20
	v_not_b32_e32 v65, v0
	v_mov_b32_e32 v13, v70
	v_mov_b32_e32 v53, v80
	;; [unrolled: 1-line block ×3, first 2 shown]
	v_lshrrev_b64 v[26:27], v10, v[22:23]
	v_mov_b32_e32 v22, v84
	v_mov_b32_e32 v24, v98
	;; [unrolled: 1-line block ×5, first 2 shown]
	v_and_b32_e32 v0, v26, v65
	v_mov_b32_e32 v26, v116
	v_mov_b32_e32 v16, v69
	v_mov_b32_e32 v14, v71
	v_mov_b32_e32 v54, v81
	v_and_b32_e32 v34, 1, v0
	v_lshlrev_b32_e32 v35, 30, v0
	v_lshlrev_b32_e32 v36, 29, v0
	;; [unrolled: 1-line block ×4, first 2 shown]
	v_add_co_u32 v34, s20, v34, -1
	v_cndmask_b32_e64 v38, 0, 1, s20
	v_not_b32_e32 v67, v35
	v_cmp_gt_i32_e64 s21, 0, v35
	v_not_b32_e32 v35, v36
	v_lshlrev_b32_e32 v64, 26, v0
	v_cmp_ne_u32_e64 s20, 0, v38
	v_ashrrev_i32_e32 v67, 31, v67
	v_lshlrev_b32_e32 v66, 25, v0
	v_ashrrev_i32_e32 v35, 31, v35
	v_lshlrev_b32_e32 v38, 24, v0
	v_xor_b32_e32 v34, s20, v34
	v_cmp_gt_i32_e64 s20, 0, v36
	v_not_b32_e32 v36, v37
	v_xor_b32_e32 v67, s21, v67
	v_cmp_gt_i32_e64 s21, 0, v37
	v_and_b32_e32 v34, exec_lo, v34
	v_not_b32_e32 v37, v39
	v_ashrrev_i32_e32 v36, 31, v36
	v_xor_b32_e32 v35, s20, v35
	v_cmp_gt_i32_e64 s20, 0, v39
	v_and_b32_e32 v34, v34, v67
	v_not_b32_e32 v39, v64
	v_ashrrev_i32_e32 v37, 31, v37
	v_xor_b32_e32 v36, s21, v36
	v_cmp_gt_i32_e64 s21, 0, v64
	v_and_b32_e32 v34, v34, v35
	;; [unrolled: 5-line block ×4, first 2 shown]
	v_ashrrev_i32_e32 v38, 31, v64
	v_xor_b32_e32 v64, s20, v35
	v_lshl_add_u32 v0, v0, 3, v134
	v_mov_b32_e32 v36, v86
	v_and_b32_e32 v39, v34, v39
	v_xor_b32_e32 v38, s21, v38
	v_mov_b32_e32 v34, v96
	v_lshlrev_b64 v[66:67], 2, v[0:1]
	v_mov_b32_e32 v52, v83
	v_and_b32_e32 v39, v39, v64
	v_mov_b32_e32 v23, v85
	v_mov_b32_e32 v25, v99
	;; [unrolled: 1-line block ×4, first 2 shown]
	v_and_b32_e32 v39, v39, v38
	v_add_co_u32 v38, null, v12, v66
	v_mov_b32_e32 v29, v115
	v_mov_b32_e32 v27, v117
	v_mbcnt_lo_u32_b32 v0, v39, 0
	v_cmp_ne_u32_e64 s21, 0, v39
	v_mov_b32_e32 v37, v87
	v_mov_b32_e32 v35, v97
	v_add_co_u32 v38, null, v38, 32
	v_cmp_eq_u32_e64 s20, 0, v0
	ds_write_b32 v55, v1
	ds_write_b32 v118, v1
	;; [unrolled: 1-line block ×6, first 2 shown]
	s_and_b32 s21, s21, s20
	ds_write_b32 v132, v1
	ds_write_b32 v133, v1
	s_waitcnt lgkmcnt(0)
	s_barrier
	buffer_gl0_inv
	; wave barrier
	s_and_saveexec_b32 s20, s21
; %bb.173:                              ;   in Loop: Header=BB1118_172 Depth=1
	v_bcnt_u32_b32 v39, v39, 0
	ds_write_b32 v38, v39
; %bb.174:                              ;   in Loop: Header=BB1118_172 Depth=1
	s_or_b32 exec_lo, exec_lo, s20
	v_cmp_ne_u64_e64 s20, s[22:23], v[24:25]
	; wave barrier
	v_cndmask_b32_e64 v67, 0x7fffffff, v25, s20
	v_cndmask_b32_e64 v66, -1, v24, s20
	v_lshrrev_b64 v[66:67], v10, v[66:67]
	v_and_b32_e32 v39, v66, v65
	v_and_b32_e32 v64, 1, v39
	v_lshlrev_b32_e32 v66, 30, v39
	v_lshlrev_b32_e32 v67, 29, v39
	;; [unrolled: 1-line block ×4, first 2 shown]
	v_add_co_u32 v64, s20, v64, -1
	v_cndmask_b32_e64 v69, 0, 1, s20
	v_not_b32_e32 v81, v66
	v_cmp_gt_i32_e64 s21, 0, v66
	v_not_b32_e32 v66, v67
	v_lshlrev_b32_e32 v71, 26, v39
	v_cmp_ne_u32_e64 s20, 0, v69
	v_ashrrev_i32_e32 v81, 31, v81
	v_lshlrev_b32_e32 v80, 25, v39
	v_ashrrev_i32_e32 v66, 31, v66
	v_lshlrev_b32_e32 v69, 24, v39
	v_xor_b32_e32 v64, s20, v64
	v_cmp_gt_i32_e64 s20, 0, v67
	v_not_b32_e32 v67, v68
	v_xor_b32_e32 v81, s21, v81
	v_cmp_gt_i32_e64 s21, 0, v68
	v_and_b32_e32 v64, exec_lo, v64
	v_not_b32_e32 v68, v70
	v_ashrrev_i32_e32 v67, 31, v67
	v_xor_b32_e32 v66, s20, v66
	v_cmp_gt_i32_e64 s20, 0, v70
	v_and_b32_e32 v64, v64, v81
	v_not_b32_e32 v70, v71
	v_ashrrev_i32_e32 v68, 31, v68
	v_xor_b32_e32 v67, s21, v67
	v_cmp_gt_i32_e64 s21, 0, v71
	v_and_b32_e32 v64, v64, v66
	;; [unrolled: 5-line block ×3, first 2 shown]
	v_not_b32_e32 v67, v69
	v_ashrrev_i32_e32 v66, 31, v66
	v_xor_b32_e32 v70, s21, v70
	v_lshl_add_u32 v39, v39, 3, v134
	v_and_b32_e32 v64, v64, v68
	v_cmp_gt_i32_e64 s21, 0, v69
	v_ashrrev_i32_e32 v67, 31, v67
	v_xor_b32_e32 v66, s20, v66
	v_lshl_add_u32 v68, v39, 2, v12
	v_and_b32_e32 v64, v64, v70
	v_xor_b32_e32 v67, s21, v67
	ds_read_b32 v39, v68 offset:32
	v_and_b32_e32 v64, v64, v66
	v_add_nc_u32_e32 v66, 32, v68
	; wave barrier
	v_and_b32_e32 v67, v64, v67
	v_mbcnt_lo_u32_b32 v64, v67, 0
	v_cmp_ne_u32_e64 s21, 0, v67
	v_cmp_eq_u32_e64 s20, 0, v64
	s_and_b32 s21, s21, s20
	s_and_saveexec_b32 s20, s21
	s_cbranch_execz .LBB1118_176
; %bb.175:                              ;   in Loop: Header=BB1118_172 Depth=1
	s_waitcnt lgkmcnt(0)
	v_bcnt_u32_b32 v67, v67, v39
	ds_write_b32 v66, v67
.LBB1118_176:                           ;   in Loop: Header=BB1118_172 Depth=1
	s_or_b32 exec_lo, exec_lo, s20
	v_cmp_ne_u64_e64 s20, s[22:23], v[32:33]
	; wave barrier
	v_cndmask_b32_e64 v68, 0x7fffffff, v33, s20
	v_cndmask_b32_e64 v67, -1, v32, s20
	v_lshrrev_b64 v[67:68], v10, v[67:68]
	v_and_b32_e32 v67, v67, v65
	v_and_b32_e32 v68, 1, v67
	v_lshlrev_b32_e32 v69, 30, v67
	v_lshlrev_b32_e32 v70, 29, v67
	;; [unrolled: 1-line block ×4, first 2 shown]
	v_add_co_u32 v68, s20, v68, -1
	v_cndmask_b32_e64 v80, 0, 1, s20
	v_not_b32_e32 v84, v69
	v_cmp_gt_i32_e64 s21, 0, v69
	v_not_b32_e32 v69, v70
	v_lshlrev_b32_e32 v82, 26, v67
	v_cmp_ne_u32_e64 s20, 0, v80
	v_ashrrev_i32_e32 v84, 31, v84
	v_lshlrev_b32_e32 v83, 25, v67
	v_ashrrev_i32_e32 v69, 31, v69
	v_lshlrev_b32_e32 v80, 24, v67
	v_xor_b32_e32 v68, s20, v68
	v_cmp_gt_i32_e64 s20, 0, v70
	v_not_b32_e32 v70, v71
	v_xor_b32_e32 v84, s21, v84
	v_cmp_gt_i32_e64 s21, 0, v71
	v_and_b32_e32 v68, exec_lo, v68
	v_not_b32_e32 v71, v81
	v_ashrrev_i32_e32 v70, 31, v70
	v_xor_b32_e32 v69, s20, v69
	v_cmp_gt_i32_e64 s20, 0, v81
	v_and_b32_e32 v68, v68, v84
	v_not_b32_e32 v81, v82
	v_ashrrev_i32_e32 v71, 31, v71
	v_xor_b32_e32 v70, s21, v70
	v_cmp_gt_i32_e64 s21, 0, v82
	v_and_b32_e32 v68, v68, v69
	;; [unrolled: 5-line block ×3, first 2 shown]
	v_not_b32_e32 v70, v80
	v_ashrrev_i32_e32 v69, 31, v69
	v_xor_b32_e32 v81, s21, v81
	v_lshl_add_u32 v67, v67, 3, v134
	v_and_b32_e32 v68, v68, v71
	v_cmp_gt_i32_e64 s21, 0, v80
	v_ashrrev_i32_e32 v70, 31, v70
	v_xor_b32_e32 v69, s20, v69
	v_lshl_add_u32 v71, v67, 2, v12
	v_and_b32_e32 v68, v68, v81
	v_xor_b32_e32 v70, s21, v70
	ds_read_b32 v67, v71 offset:32
	v_and_b32_e32 v68, v68, v69
	v_add_nc_u32_e32 v69, 32, v71
	; wave barrier
	v_and_b32_e32 v70, v68, v70
	v_mbcnt_lo_u32_b32 v68, v70, 0
	v_cmp_ne_u32_e64 s21, 0, v70
	v_cmp_eq_u32_e64 s20, 0, v68
	s_and_b32 s21, s21, s20
	s_and_saveexec_b32 s20, s21
	s_cbranch_execz .LBB1118_178
; %bb.177:                              ;   in Loop: Header=BB1118_172 Depth=1
	s_waitcnt lgkmcnt(0)
	v_bcnt_u32_b32 v70, v70, v67
	ds_write_b32 v69, v70
.LBB1118_178:                           ;   in Loop: Header=BB1118_172 Depth=1
	s_or_b32 exec_lo, exec_lo, s20
	v_cmp_ne_u64_e64 s20, s[22:23], v[30:31]
	; wave barrier
	v_cndmask_b32_e64 v71, 0x7fffffff, v31, s20
	v_cndmask_b32_e64 v70, -1, v30, s20
	v_lshrrev_b64 v[70:71], v10, v[70:71]
	v_and_b32_e32 v70, v70, v65
	v_and_b32_e32 v71, 1, v70
	v_lshlrev_b32_e32 v80, 30, v70
	v_lshlrev_b32_e32 v81, 29, v70
	;; [unrolled: 1-line block ×4, first 2 shown]
	v_add_co_u32 v71, s20, v71, -1
	v_cndmask_b32_e64 v83, 0, 1, s20
	v_not_b32_e32 v87, v80
	v_cmp_gt_i32_e64 s21, 0, v80
	v_not_b32_e32 v80, v81
	v_lshlrev_b32_e32 v85, 26, v70
	v_cmp_ne_u32_e64 s20, 0, v83
	v_ashrrev_i32_e32 v87, 31, v87
	v_lshlrev_b32_e32 v86, 25, v70
	v_ashrrev_i32_e32 v80, 31, v80
	v_lshlrev_b32_e32 v83, 24, v70
	v_xor_b32_e32 v71, s20, v71
	v_cmp_gt_i32_e64 s20, 0, v81
	v_not_b32_e32 v81, v82
	v_xor_b32_e32 v87, s21, v87
	v_cmp_gt_i32_e64 s21, 0, v82
	v_and_b32_e32 v71, exec_lo, v71
	v_not_b32_e32 v82, v84
	v_ashrrev_i32_e32 v81, 31, v81
	v_xor_b32_e32 v80, s20, v80
	v_cmp_gt_i32_e64 s20, 0, v84
	v_and_b32_e32 v71, v71, v87
	v_not_b32_e32 v84, v85
	v_ashrrev_i32_e32 v82, 31, v82
	v_xor_b32_e32 v81, s21, v81
	v_cmp_gt_i32_e64 s21, 0, v85
	v_and_b32_e32 v71, v71, v80
	;; [unrolled: 5-line block ×3, first 2 shown]
	v_not_b32_e32 v81, v83
	v_ashrrev_i32_e32 v80, 31, v80
	v_xor_b32_e32 v84, s21, v84
	v_lshl_add_u32 v70, v70, 3, v134
	v_and_b32_e32 v71, v71, v82
	v_cmp_gt_i32_e64 s21, 0, v83
	v_ashrrev_i32_e32 v81, 31, v81
	v_xor_b32_e32 v80, s20, v80
	v_lshl_add_u32 v82, v70, 2, v12
	v_and_b32_e32 v71, v71, v84
	v_xor_b32_e32 v81, s21, v81
	ds_read_b32 v70, v82 offset:32
	v_and_b32_e32 v71, v71, v80
	v_add_nc_u32_e32 v80, 32, v82
	; wave barrier
	v_and_b32_e32 v81, v71, v81
	v_mbcnt_lo_u32_b32 v71, v81, 0
	v_cmp_ne_u32_e64 s21, 0, v81
	v_cmp_eq_u32_e64 s20, 0, v71
	s_and_b32 s21, s21, s20
	s_and_saveexec_b32 s20, s21
	s_cbranch_execz .LBB1118_180
; %bb.179:                              ;   in Loop: Header=BB1118_172 Depth=1
	s_waitcnt lgkmcnt(0)
	v_bcnt_u32_b32 v81, v81, v70
	ds_write_b32 v80, v81
.LBB1118_180:                           ;   in Loop: Header=BB1118_172 Depth=1
	s_or_b32 exec_lo, exec_lo, s20
	v_cmp_ne_u64_e64 s20, s[22:23], v[28:29]
	; wave barrier
	v_cndmask_b32_e64 v82, 0x7fffffff, v29, s20
	v_cndmask_b32_e64 v81, -1, v28, s20
	v_lshrrev_b64 v[81:82], v10, v[81:82]
	v_and_b32_e32 v81, v81, v65
	v_and_b32_e32 v82, 1, v81
	v_lshlrev_b32_e32 v83, 30, v81
	v_lshlrev_b32_e32 v84, 29, v81
	;; [unrolled: 1-line block ×4, first 2 shown]
	v_add_co_u32 v82, s20, v82, -1
	v_cndmask_b32_e64 v86, 0, 1, s20
	v_not_b32_e32 v98, v83
	v_cmp_gt_i32_e64 s21, 0, v83
	v_not_b32_e32 v83, v84
	v_lshlrev_b32_e32 v96, 26, v81
	v_cmp_ne_u32_e64 s20, 0, v86
	v_ashrrev_i32_e32 v98, 31, v98
	v_lshlrev_b32_e32 v97, 25, v81
	v_ashrrev_i32_e32 v83, 31, v83
	v_lshlrev_b32_e32 v86, 24, v81
	v_xor_b32_e32 v82, s20, v82
	v_cmp_gt_i32_e64 s20, 0, v84
	v_not_b32_e32 v84, v85
	v_xor_b32_e32 v98, s21, v98
	v_cmp_gt_i32_e64 s21, 0, v85
	v_and_b32_e32 v82, exec_lo, v82
	v_not_b32_e32 v85, v87
	v_ashrrev_i32_e32 v84, 31, v84
	v_xor_b32_e32 v83, s20, v83
	v_cmp_gt_i32_e64 s20, 0, v87
	v_and_b32_e32 v82, v82, v98
	v_not_b32_e32 v87, v96
	v_ashrrev_i32_e32 v85, 31, v85
	v_xor_b32_e32 v84, s21, v84
	v_cmp_gt_i32_e64 s21, 0, v96
	v_and_b32_e32 v82, v82, v83
	;; [unrolled: 5-line block ×3, first 2 shown]
	v_not_b32_e32 v84, v86
	v_ashrrev_i32_e32 v83, 31, v83
	v_xor_b32_e32 v87, s21, v87
	v_lshl_add_u32 v81, v81, 3, v134
	v_and_b32_e32 v82, v82, v85
	v_cmp_gt_i32_e64 s21, 0, v86
	v_ashrrev_i32_e32 v84, 31, v84
	v_xor_b32_e32 v83, s20, v83
	v_lshl_add_u32 v85, v81, 2, v12
	v_and_b32_e32 v82, v82, v87
	v_xor_b32_e32 v84, s21, v84
	ds_read_b32 v81, v85 offset:32
	v_and_b32_e32 v82, v82, v83
	v_add_nc_u32_e32 v83, 32, v85
	; wave barrier
	v_and_b32_e32 v84, v82, v84
	v_mbcnt_lo_u32_b32 v82, v84, 0
	v_cmp_ne_u32_e64 s21, 0, v84
	v_cmp_eq_u32_e64 s20, 0, v82
	s_and_b32 s21, s21, s20
	s_and_saveexec_b32 s20, s21
	s_cbranch_execz .LBB1118_182
; %bb.181:                              ;   in Loop: Header=BB1118_172 Depth=1
	s_waitcnt lgkmcnt(0)
	v_bcnt_u32_b32 v84, v84, v81
	ds_write_b32 v83, v84
.LBB1118_182:                           ;   in Loop: Header=BB1118_172 Depth=1
	s_or_b32 exec_lo, exec_lo, s20
	v_cmp_ne_u64_e64 s20, s[22:23], v[26:27]
	; wave barrier
	v_cndmask_b32_e64 v85, 0x7fffffff, v27, s20
	v_cndmask_b32_e64 v84, -1, v26, s20
	v_lshrrev_b64 v[84:85], v10, v[84:85]
	v_and_b32_e32 v84, v84, v65
	v_and_b32_e32 v85, 1, v84
	v_lshlrev_b32_e32 v86, 30, v84
	v_lshlrev_b32_e32 v87, 29, v84
	v_lshlrev_b32_e32 v96, 28, v84
	v_lshlrev_b32_e32 v98, 27, v84
	v_add_co_u32 v85, s20, v85, -1
	v_cndmask_b32_e64 v97, 0, 1, s20
	v_not_b32_e32 v101, v86
	v_cmp_gt_i32_e64 s21, 0, v86
	v_not_b32_e32 v86, v87
	v_lshlrev_b32_e32 v99, 26, v84
	v_cmp_ne_u32_e64 s20, 0, v97
	v_ashrrev_i32_e32 v101, 31, v101
	v_lshlrev_b32_e32 v100, 25, v84
	v_ashrrev_i32_e32 v86, 31, v86
	v_lshlrev_b32_e32 v97, 24, v84
	v_xor_b32_e32 v85, s20, v85
	v_cmp_gt_i32_e64 s20, 0, v87
	v_not_b32_e32 v87, v96
	v_xor_b32_e32 v101, s21, v101
	v_cmp_gt_i32_e64 s21, 0, v96
	v_and_b32_e32 v85, exec_lo, v85
	v_not_b32_e32 v96, v98
	v_ashrrev_i32_e32 v87, 31, v87
	v_xor_b32_e32 v86, s20, v86
	v_cmp_gt_i32_e64 s20, 0, v98
	v_and_b32_e32 v85, v85, v101
	v_not_b32_e32 v98, v99
	v_ashrrev_i32_e32 v96, 31, v96
	v_xor_b32_e32 v87, s21, v87
	v_cmp_gt_i32_e64 s21, 0, v99
	v_and_b32_e32 v85, v85, v86
	;; [unrolled: 5-line block ×3, first 2 shown]
	v_not_b32_e32 v87, v97
	v_ashrrev_i32_e32 v86, 31, v86
	v_xor_b32_e32 v98, s21, v98
	v_lshl_add_u32 v84, v84, 3, v134
	v_and_b32_e32 v85, v85, v96
	v_cmp_gt_i32_e64 s21, 0, v97
	v_ashrrev_i32_e32 v87, 31, v87
	v_xor_b32_e32 v86, s20, v86
	v_lshl_add_u32 v96, v84, 2, v12
	v_and_b32_e32 v85, v85, v98
	v_xor_b32_e32 v87, s21, v87
	ds_read_b32 v84, v96 offset:32
	v_and_b32_e32 v85, v85, v86
	v_add_nc_u32_e32 v86, 32, v96
	; wave barrier
	v_and_b32_e32 v87, v85, v87
	v_mbcnt_lo_u32_b32 v85, v87, 0
	v_cmp_ne_u32_e64 s21, 0, v87
	v_cmp_eq_u32_e64 s20, 0, v85
	s_and_b32 s21, s21, s20
	s_and_saveexec_b32 s20, s21
	s_cbranch_execz .LBB1118_184
; %bb.183:                              ;   in Loop: Header=BB1118_172 Depth=1
	s_waitcnt lgkmcnt(0)
	v_bcnt_u32_b32 v87, v87, v84
	ds_write_b32 v86, v87
.LBB1118_184:                           ;   in Loop: Header=BB1118_172 Depth=1
	s_or_b32 exec_lo, exec_lo, s20
	v_cmp_ne_u64_e64 s20, s[22:23], v[36:37]
	; wave barrier
	v_cndmask_b32_e64 v97, 0x7fffffff, v37, s20
	v_cndmask_b32_e64 v96, -1, v36, s20
	v_lshrrev_b64 v[96:97], v10, v[96:97]
	v_and_b32_e32 v87, v96, v65
	v_and_b32_e32 v96, 1, v87
	v_lshlrev_b32_e32 v97, 30, v87
	v_lshlrev_b32_e32 v98, 29, v87
	v_lshlrev_b32_e32 v99, 28, v87
	v_lshlrev_b32_e32 v101, 27, v87
	v_add_co_u32 v96, s20, v96, -1
	v_cndmask_b32_e64 v100, 0, 1, s20
	v_not_b32_e32 v112, v97
	v_cmp_gt_i32_e64 s21, 0, v97
	v_not_b32_e32 v97, v98
	v_lshlrev_b32_e32 v102, 26, v87
	v_cmp_ne_u32_e64 s20, 0, v100
	v_ashrrev_i32_e32 v112, 31, v112
	v_lshlrev_b32_e32 v103, 25, v87
	v_ashrrev_i32_e32 v97, 31, v97
	v_lshlrev_b32_e32 v100, 24, v87
	v_xor_b32_e32 v96, s20, v96
	v_cmp_gt_i32_e64 s20, 0, v98
	v_not_b32_e32 v98, v99
	v_xor_b32_e32 v112, s21, v112
	v_cmp_gt_i32_e64 s21, 0, v99
	v_and_b32_e32 v96, exec_lo, v96
	v_not_b32_e32 v99, v101
	v_ashrrev_i32_e32 v98, 31, v98
	v_xor_b32_e32 v97, s20, v97
	v_cmp_gt_i32_e64 s20, 0, v101
	v_and_b32_e32 v96, v96, v112
	v_not_b32_e32 v101, v102
	v_ashrrev_i32_e32 v99, 31, v99
	v_xor_b32_e32 v98, s21, v98
	v_cmp_gt_i32_e64 s21, 0, v102
	v_and_b32_e32 v96, v96, v97
	;; [unrolled: 5-line block ×3, first 2 shown]
	v_not_b32_e32 v98, v100
	v_ashrrev_i32_e32 v97, 31, v97
	v_xor_b32_e32 v101, s21, v101
	v_lshl_add_u32 v87, v87, 3, v134
	v_and_b32_e32 v96, v96, v99
	v_cmp_gt_i32_e64 s21, 0, v100
	v_ashrrev_i32_e32 v98, 31, v98
	v_xor_b32_e32 v97, s20, v97
	v_lshl_add_u32 v99, v87, 2, v12
	v_and_b32_e32 v96, v96, v101
	v_xor_b32_e32 v98, s21, v98
	ds_read_b32 v87, v99 offset:32
	v_and_b32_e32 v96, v96, v97
	v_add_nc_u32_e32 v97, 32, v99
	; wave barrier
	v_and_b32_e32 v98, v96, v98
	v_mbcnt_lo_u32_b32 v96, v98, 0
	v_cmp_ne_u32_e64 s21, 0, v98
	v_cmp_eq_u32_e64 s20, 0, v96
	s_and_b32 s21, s21, s20
	s_and_saveexec_b32 s20, s21
	s_cbranch_execz .LBB1118_186
; %bb.185:                              ;   in Loop: Header=BB1118_172 Depth=1
	s_waitcnt lgkmcnt(0)
	v_bcnt_u32_b32 v98, v98, v87
	ds_write_b32 v97, v98
.LBB1118_186:                           ;   in Loop: Header=BB1118_172 Depth=1
	s_or_b32 exec_lo, exec_lo, s20
	v_cmp_ne_u64_e64 s20, s[22:23], v[34:35]
	; wave barrier
	v_cndmask_b32_e64 v99, 0x7fffffff, v35, s20
	v_cndmask_b32_e64 v98, -1, v34, s20
	v_lshrrev_b64 v[98:99], v10, v[98:99]
	v_and_b32_e32 v65, v98, v65
	v_and_b32_e32 v98, 1, v65
	v_lshlrev_b32_e32 v99, 30, v65
	v_lshlrev_b32_e32 v100, 29, v65
	;; [unrolled: 1-line block ×4, first 2 shown]
	v_add_co_u32 v98, s20, v98, -1
	v_cndmask_b32_e64 v102, 0, 1, s20
	v_not_b32_e32 v114, v99
	v_cmp_gt_i32_e64 s21, 0, v99
	v_not_b32_e32 v99, v100
	v_lshlrev_b32_e32 v112, 26, v65
	v_cmp_ne_u32_e64 s20, 0, v102
	v_ashrrev_i32_e32 v114, 31, v114
	v_lshlrev_b32_e32 v113, 25, v65
	v_ashrrev_i32_e32 v99, 31, v99
	v_lshlrev_b32_e32 v102, 24, v65
	v_xor_b32_e32 v98, s20, v98
	v_cmp_gt_i32_e64 s20, 0, v100
	v_not_b32_e32 v100, v101
	v_xor_b32_e32 v114, s21, v114
	v_cmp_gt_i32_e64 s21, 0, v101
	v_and_b32_e32 v98, exec_lo, v98
	v_not_b32_e32 v101, v103
	v_ashrrev_i32_e32 v100, 31, v100
	v_xor_b32_e32 v99, s20, v99
	v_cmp_gt_i32_e64 s20, 0, v103
	v_and_b32_e32 v98, v98, v114
	v_not_b32_e32 v103, v112
	v_ashrrev_i32_e32 v101, 31, v101
	v_xor_b32_e32 v100, s21, v100
	v_cmp_gt_i32_e64 s21, 0, v112
	v_and_b32_e32 v98, v98, v99
	v_not_b32_e32 v99, v113
	v_ashrrev_i32_e32 v103, 31, v103
	v_xor_b32_e32 v101, s20, v101
	v_cmp_gt_i32_e64 s20, 0, v113
	v_and_b32_e32 v98, v98, v100
	v_not_b32_e32 v100, v102
	v_ashrrev_i32_e32 v99, 31, v99
	v_xor_b32_e32 v103, s21, v103
	v_lshl_add_u32 v65, v65, 3, v134
	v_and_b32_e32 v98, v98, v101
	v_cmp_gt_i32_e64 s21, 0, v102
	v_ashrrev_i32_e32 v100, 31, v100
	v_xor_b32_e32 v99, s20, v99
	v_lshl_add_u32 v101, v65, 2, v12
	v_and_b32_e32 v98, v98, v103
	v_xor_b32_e32 v100, s21, v100
	ds_read_b32 v65, v101 offset:32
	v_and_b32_e32 v98, v98, v99
	v_add_nc_u32_e32 v99, 32, v101
	; wave barrier
	v_and_b32_e32 v100, v98, v100
	v_mbcnt_lo_u32_b32 v98, v100, 0
	v_cmp_ne_u32_e64 s21, 0, v100
	v_cmp_eq_u32_e64 s20, 0, v98
	s_and_b32 s21, s21, s20
	s_and_saveexec_b32 s20, s21
	s_cbranch_execz .LBB1118_188
; %bb.187:                              ;   in Loop: Header=BB1118_172 Depth=1
	s_waitcnt lgkmcnt(0)
	v_bcnt_u32_b32 v100, v100, v65
	ds_write_b32 v99, v100
.LBB1118_188:                           ;   in Loop: Header=BB1118_172 Depth=1
	s_or_b32 exec_lo, exec_lo, s20
	; wave barrier
	s_waitcnt lgkmcnt(0)
	s_barrier
	buffer_gl0_inv
	ds_read_b32 v101, v55
	ds_read_b32 v102, v118
	;; [unrolled: 1-line block ×8, first 2 shown]
	s_waitcnt lgkmcnt(6)
	v_add_nc_u32_e32 v116, v102, v101
	s_waitcnt lgkmcnt(4)
	v_add3_u32 v116, v116, v103, v112
	s_waitcnt lgkmcnt(2)
	v_add3_u32 v116, v116, v113, v114
	;; [unrolled: 2-line block ×3, first 2 shown]
	v_mov_b32_dpp v116, v115 row_shr:1 row_mask:0xf bank_mask:0xf
	v_cndmask_b32_e64 v116, v116, 0, vcc_lo
	v_add_nc_u32_e32 v115, v116, v115
	v_mov_b32_dpp v116, v115 row_shr:2 row_mask:0xf bank_mask:0xf
	v_cndmask_b32_e64 v116, 0, v116, s4
	v_add_nc_u32_e32 v115, v115, v116
	v_mov_b32_dpp v116, v115 row_shr:4 row_mask:0xf bank_mask:0xf
	v_cndmask_b32_e64 v116, 0, v116, s5
	;; [unrolled: 3-line block ×3, first 2 shown]
	v_add_nc_u32_e32 v115, v115, v116
	ds_swizzle_b32 v116, v115 offset:swizzle(BROADCAST,32,15)
	s_waitcnt lgkmcnt(0)
	v_cndmask_b32_e64 v116, v116, 0, s10
	v_add_nc_u32_e32 v115, v115, v116
	s_and_saveexec_b32 s20, s11
; %bb.189:                              ;   in Loop: Header=BB1118_172 Depth=1
	ds_write_b32 v144, v115
; %bb.190:                              ;   in Loop: Header=BB1118_172 Depth=1
	s_or_b32 exec_lo, exec_lo, s20
	s_waitcnt lgkmcnt(0)
	s_barrier
	buffer_gl0_inv
	s_and_saveexec_b32 s20, s14
	s_cbranch_execz .LBB1118_192
; %bb.191:                              ;   in Loop: Header=BB1118_172 Depth=1
	ds_read_b32 v116, v145
	s_waitcnt lgkmcnt(0)
	v_mov_b32_dpp v117, v116 row_shr:1 row_mask:0xf bank_mask:0xf
	v_cndmask_b32_e64 v117, v117, 0, s17
	v_add_nc_u32_e32 v116, v117, v116
	v_mov_b32_dpp v117, v116 row_shr:2 row_mask:0xf bank_mask:0xf
	v_cndmask_b32_e64 v117, 0, v117, s18
	v_add_nc_u32_e32 v116, v116, v117
	;; [unrolled: 3-line block ×3, first 2 shown]
	ds_write_b32 v145, v116
.LBB1118_192:                           ;   in Loop: Header=BB1118_172 Depth=1
	s_or_b32 exec_lo, exec_lo, s20
	v_mov_b32_e32 v116, 0
	s_waitcnt lgkmcnt(0)
	s_barrier
	buffer_gl0_inv
	s_and_saveexec_b32 s20, s15
; %bb.193:                              ;   in Loop: Header=BB1118_172 Depth=1
	ds_read_b32 v116, v147
; %bb.194:                              ;   in Loop: Header=BB1118_172 Depth=1
	s_or_b32 exec_lo, exec_lo, s20
	s_waitcnt lgkmcnt(0)
	v_add_nc_u32_e32 v115, v116, v115
	v_add_nc_u32_e32 v10, 8, v10
	s_mov_b32 s28, -1
	ds_bpermute_b32 v115, v135, v115
	v_cmp_lt_u32_e64 s20, v10, v11
	s_waitcnt lgkmcnt(0)
	v_cndmask_b32_e64 v115, v115, v116, s6
                                        ; implicit-def: $vgpr116_vgpr117
	v_cndmask_b32_e64 v115, v115, 0, s16
	v_add_nc_u32_e32 v101, v115, v101
	v_add_nc_u32_e32 v102, v101, v102
	ds_write_b32 v55, v115
	ds_write_b32 v118, v101
	;; [unrolled: 1-line block ×3, first 2 shown]
	v_add_nc_u32_e32 v103, v102, v103
	v_mov_b32_e32 v102, v1
	v_add_nc_u32_e32 v112, v103, v112
	v_add_nc_u32_e32 v113, v112, v113
	;; [unrolled: 1-line block ×4, first 2 shown]
	ds_write_b32 v129, v103
	ds_write_b32 v130, v112
	;; [unrolled: 1-line block ×5, first 2 shown]
	s_waitcnt lgkmcnt(0)
	s_barrier
	buffer_gl0_inv
	ds_read_b32 v38, v38
	ds_read_b32 v101, v66
	;; [unrolled: 1-line block ×8, first 2 shown]
	v_mov_b32_e32 v83, v1
	v_mov_b32_e32 v69, v1
	;; [unrolled: 1-line block ×6, first 2 shown]
	s_waitcnt lgkmcnt(0)
	v_add_nc_u32_e32 v0, v38, v0
	v_add3_u32 v99, v64, v39, v101
	v_add3_u32 v68, v68, v67, v103
	;; [unrolled: 1-line block ×7, first 2 shown]
	v_lshlrev_b64 v[67:68], 3, v[68:69]
	v_lshlrev_b64 v[80:81], 3, v[82:83]
	;; [unrolled: 1-line block ×8, first 2 shown]
	v_add_co_u32 v165, null, v12, v67
	v_add_co_u32 v0, null, v12, v38
	;; [unrolled: 1-line block ×8, first 2 shown]
                                        ; implicit-def: $vgpr38_vgpr39
                                        ; implicit-def: $vgpr64_vgpr65
                                        ; implicit-def: $vgpr66_vgpr67
                                        ; implicit-def: $vgpr68_vgpr69
                                        ; implicit-def: $vgpr70_vgpr71
                                        ; implicit-def: $vgpr80_vgpr81
                                        ; implicit-def: $vgpr82_vgpr83
                                        ; implicit-def: $vgpr84_vgpr85
                                        ; implicit-def: $vgpr102_vgpr103
                                        ; implicit-def: $vgpr98_vgpr99
                                        ; implicit-def: $vgpr100_vgpr101
                                        ; implicit-def: $vgpr112_vgpr113
                                        ; implicit-def: $vgpr114_vgpr115
                                        ; implicit-def: $vgpr86_vgpr87
                                        ; implicit-def: $vgpr96_vgpr97
	s_and_saveexec_b32 s21, s20
	s_cbranch_execz .LBB1118_171
; %bb.195:                              ;   in Loop: Header=BB1118_172 Depth=1
	s_barrier
	buffer_gl0_inv
	ds_write_b64 v0, v[19:20]
	ds_write_b64 v164, v[24:25]
	;; [unrolled: 1-line block ×8, first 2 shown]
	s_waitcnt lgkmcnt(0)
	s_barrier
	buffer_gl0_inv
	ds_read_b64 v[102:103], v146
	ds_read_b64 v[98:99], v148
	;; [unrolled: 1-line block ×8, first 2 shown]
	s_waitcnt lgkmcnt(0)
	s_barrier
	buffer_gl0_inv
	ds_write_b64 v0, v[8:9]
	ds_write_b64 v164, v[4:5]
	;; [unrolled: 1-line block ×8, first 2 shown]
	s_waitcnt lgkmcnt(0)
	s_barrier
	buffer_gl0_inv
	ds_read_b64 v[38:39], v146
	ds_read_b64 v[64:65], v148
	;; [unrolled: 1-line block ×8, first 2 shown]
	v_add_nc_u32_e32 v163, -8, v163
	s_xor_b32 s28, exec_lo, -1
	s_waitcnt lgkmcnt(0)
	s_barrier
	buffer_gl0_inv
	s_branch .LBB1118_171
.LBB1118_196:
	flat_load_dwordx2 v[117:118], v[4:5]
	s_or_b32 exec_lo, exec_lo, s23
                                        ; implicit-def: $vgpr130_vgpr131
	s_and_saveexec_b32 s23, s4
	s_cbranch_execz .LBB1118_36
.LBB1118_197:
	flat_load_dwordx2 v[130:131], v[4:5] offset:256
	s_or_b32 exec_lo, exec_lo, s23
                                        ; implicit-def: $vgpr134_vgpr135
	s_and_saveexec_b32 s4, s5
	s_cbranch_execz .LBB1118_37
.LBB1118_198:
	flat_load_dwordx2 v[134:135], v[4:5] offset:512
	s_or_b32 exec_lo, exec_lo, s4
                                        ; implicit-def: $vgpr128_vgpr129
	s_and_saveexec_b32 s4, s6
	s_cbranch_execz .LBB1118_38
.LBB1118_199:
	flat_load_dwordx2 v[128:129], v[4:5] offset:768
	s_or_b32 exec_lo, exec_lo, s4
                                        ; implicit-def: $vgpr132_vgpr133
	s_and_saveexec_b32 s4, s7
	s_cbranch_execz .LBB1118_39
.LBB1118_200:
	flat_load_dwordx2 v[132:133], v[4:5] offset:1024
	s_or_b32 exec_lo, exec_lo, s4
                                        ; implicit-def: $vgpr144_vgpr145
	s_and_saveexec_b32 s4, s10
	s_cbranch_execz .LBB1118_40
.LBB1118_201:
	flat_load_dwordx2 v[144:145], v[4:5] offset:1280
	s_or_b32 exec_lo, exec_lo, s4
                                        ; implicit-def: $vgpr146_vgpr147
	s_and_saveexec_b32 s4, s11
	s_cbranch_execz .LBB1118_41
.LBB1118_202:
	flat_load_dwordx2 v[146:147], v[4:5] offset:1536
	s_or_b32 exec_lo, exec_lo, s4
                                        ; implicit-def: $vgpr148_vgpr149
	s_and_saveexec_b32 s4, s14
	s_cbranch_execz .LBB1118_42
.LBB1118_203:
	flat_load_dwordx2 v[148:149], v[4:5] offset:1792
	s_or_b32 exec_lo, exec_lo, s4
                                        ; implicit-def: $vgpr150_vgpr151
	s_and_saveexec_b32 s4, s15
	s_cbranch_execz .LBB1118_43
.LBB1118_204:
	v_add_co_u32 v50, vcc_lo, 0x800, v4
	v_add_co_ci_u32_e64 v51, null, 0, v5, vcc_lo
	flat_load_dwordx2 v[150:151], v[50:51]
	s_or_b32 exec_lo, exec_lo, s4
                                        ; implicit-def: $vgpr160_vgpr161
	s_and_saveexec_b32 s4, s16
	s_cbranch_execz .LBB1118_44
.LBB1118_205:
	v_add_co_u32 v50, vcc_lo, 0x800, v4
	v_add_co_ci_u32_e64 v51, null, 0, v5, vcc_lo
	flat_load_dwordx2 v[160:161], v[50:51] offset:256
	s_or_b32 exec_lo, exec_lo, s4
                                        ; implicit-def: $vgpr162_vgpr163
	s_and_saveexec_b32 s4, s17
	s_cbranch_execz .LBB1118_45
.LBB1118_206:
	v_add_co_u32 v50, vcc_lo, 0x800, v4
	v_add_co_ci_u32_e64 v51, null, 0, v5, vcc_lo
	flat_load_dwordx2 v[162:163], v[50:51] offset:512
	s_or_b32 exec_lo, exec_lo, s4
                                        ; implicit-def: $vgpr164_vgpr165
	s_and_saveexec_b32 s4, s18
	s_cbranch_execz .LBB1118_46
.LBB1118_207:
	v_add_co_u32 v50, vcc_lo, 0x800, v4
	v_add_co_ci_u32_e64 v51, null, 0, v5, vcc_lo
	flat_load_dwordx2 v[164:165], v[50:51] offset:768
	s_or_b32 exec_lo, exec_lo, s4
                                        ; implicit-def: $vgpr166_vgpr167
	s_and_saveexec_b32 s4, s19
	s_cbranch_execz .LBB1118_47
.LBB1118_208:
	v_add_co_u32 v50, vcc_lo, 0x800, v4
	v_add_co_ci_u32_e64 v51, null, 0, v5, vcc_lo
	flat_load_dwordx2 v[166:167], v[50:51] offset:1024
	s_or_b32 exec_lo, exec_lo, s4
                                        ; implicit-def: $vgpr176_vgpr177
	s_and_saveexec_b32 s4, s20
	s_cbranch_execz .LBB1118_48
.LBB1118_209:
	v_add_co_u32 v50, vcc_lo, 0x800, v4
	v_add_co_ci_u32_e64 v51, null, 0, v5, vcc_lo
	flat_load_dwordx2 v[176:177], v[50:51] offset:1280
	s_or_b32 exec_lo, exec_lo, s4
                                        ; implicit-def: $vgpr178_vgpr179
	s_and_saveexec_b32 s4, s21
	s_cbranch_execz .LBB1118_49
.LBB1118_210:
	v_add_co_u32 v50, vcc_lo, 0x800, v4
	v_add_co_ci_u32_e64 v51, null, 0, v5, vcc_lo
	flat_load_dwordx2 v[178:179], v[50:51] offset:1536
	s_or_b32 exec_lo, exec_lo, s4
                                        ; implicit-def: $vgpr192_vgpr193
	s_and_saveexec_b32 s4, s22
	s_cbranch_execnz .LBB1118_50
	s_branch .LBB1118_51
.LBB1118_211:
	flat_store_dwordx2 v[0:1], v[36:37]
	s_or_b32 exec_lo, exec_lo, s23
	s_and_saveexec_b32 s23, s4
	s_cbranch_execz .LBB1118_127
.LBB1118_212:
	v_add_co_u32 v2, vcc_lo, 0x800, v0
	v_add_co_ci_u32_e64 v3, null, 0, v1, vcc_lo
	flat_store_dwordx2 v[2:3], v[38:39]
	s_or_b32 exec_lo, exec_lo, s23
	s_and_saveexec_b32 s4, s5
	s_cbranch_execz .LBB1118_128
.LBB1118_213:
	v_add_co_u32 v2, vcc_lo, 0x1000, v0
	v_add_co_ci_u32_e64 v3, null, 0, v1, vcc_lo
	flat_store_dwordx2 v[2:3], v[32:33]
	s_or_b32 exec_lo, exec_lo, s4
	s_and_saveexec_b32 s4, s6
	s_cbranch_execz .LBB1118_129
.LBB1118_214:
	v_add_co_u32 v2, vcc_lo, 0x1800, v0
	v_add_co_ci_u32_e64 v3, null, 0, v1, vcc_lo
	flat_store_dwordx2 v[2:3], v[34:35]
	s_or_b32 exec_lo, exec_lo, s4
	s_and_saveexec_b32 s4, s7
	s_cbranch_execz .LBB1118_130
.LBB1118_215:
	v_add_co_u32 v2, vcc_lo, 0x2000, v0
	v_add_co_ci_u32_e64 v3, null, 0, v1, vcc_lo
	flat_store_dwordx2 v[2:3], v[28:29]
	s_or_b32 exec_lo, exec_lo, s4
	s_and_saveexec_b32 s4, s10
	s_cbranch_execz .LBB1118_131
.LBB1118_216:
	v_add_co_u32 v2, vcc_lo, 0x2800, v0
	v_add_co_ci_u32_e64 v3, null, 0, v1, vcc_lo
	flat_store_dwordx2 v[2:3], v[30:31]
	s_or_b32 exec_lo, exec_lo, s4
	s_and_saveexec_b32 s4, s11
	s_cbranch_execz .LBB1118_132
.LBB1118_217:
	v_add_co_u32 v2, vcc_lo, 0x3000, v0
	v_add_co_ci_u32_e64 v3, null, 0, v1, vcc_lo
	flat_store_dwordx2 v[2:3], v[24:25]
	s_or_b32 exec_lo, exec_lo, s4
	s_and_saveexec_b32 s4, s14
	s_cbranch_execz .LBB1118_133
.LBB1118_218:
	v_add_co_u32 v2, vcc_lo, 0x3800, v0
	v_add_co_ci_u32_e64 v3, null, 0, v1, vcc_lo
	flat_store_dwordx2 v[2:3], v[26:27]
	s_or_b32 exec_lo, exec_lo, s4
	s_and_saveexec_b32 s4, s15
	s_cbranch_execz .LBB1118_134
.LBB1118_219:
	v_add_co_u32 v2, vcc_lo, 0x4000, v0
	v_add_co_ci_u32_e64 v3, null, 0, v1, vcc_lo
	flat_store_dwordx2 v[2:3], v[20:21]
	s_or_b32 exec_lo, exec_lo, s4
	s_and_saveexec_b32 s4, s16
	s_cbranch_execz .LBB1118_135
.LBB1118_220:
	v_add_co_u32 v2, vcc_lo, 0x4800, v0
	v_add_co_ci_u32_e64 v3, null, 0, v1, vcc_lo
	flat_store_dwordx2 v[2:3], v[22:23]
	s_or_b32 exec_lo, exec_lo, s4
	s_and_saveexec_b32 s4, s17
	s_cbranch_execz .LBB1118_136
.LBB1118_221:
	v_add_co_u32 v2, vcc_lo, 0x5000, v0
	v_add_co_ci_u32_e64 v3, null, 0, v1, vcc_lo
	flat_store_dwordx2 v[2:3], v[16:17]
	s_or_b32 exec_lo, exec_lo, s4
	s_and_saveexec_b32 s4, s18
	s_cbranch_execz .LBB1118_137
.LBB1118_222:
	v_add_co_u32 v2, vcc_lo, 0x5800, v0
	v_add_co_ci_u32_e64 v3, null, 0, v1, vcc_lo
	flat_store_dwordx2 v[2:3], v[18:19]
	s_or_b32 exec_lo, exec_lo, s4
	s_and_saveexec_b32 s4, s19
	s_cbranch_execz .LBB1118_138
.LBB1118_223:
	v_add_co_u32 v2, vcc_lo, 0x6000, v0
	v_add_co_ci_u32_e64 v3, null, 0, v1, vcc_lo
	flat_store_dwordx2 v[2:3], v[12:13]
	s_or_b32 exec_lo, exec_lo, s4
	s_and_saveexec_b32 s4, s20
	s_cbranch_execz .LBB1118_139
.LBB1118_224:
	v_add_co_u32 v2, vcc_lo, 0x6800, v0
	v_add_co_ci_u32_e64 v3, null, 0, v1, vcc_lo
	flat_store_dwordx2 v[2:3], v[14:15]
	s_or_b32 exec_lo, exec_lo, s4
	s_and_saveexec_b32 s4, s21
	s_cbranch_execz .LBB1118_140
.LBB1118_225:
	v_add_co_u32 v2, vcc_lo, 0x7000, v0
	v_add_co_ci_u32_e64 v3, null, 0, v1, vcc_lo
	flat_store_dwordx2 v[2:3], v[8:9]
	s_or_b32 exec_lo, exec_lo, s4
	s_and_saveexec_b32 s4, s22
	s_cbranch_execnz .LBB1118_141
	s_branch .LBB1118_142
.LBB1118_226:
	s_or_b32 exec_lo, exec_lo, s27
	v_lshl_add_u32 v1, v21, 3, v12
	s_barrier
	buffer_gl0_inv
	ds_write_b64 v0, v[19:20]
	ds_write_b64 v164, v[24:25]
	ds_write_b64 v165, v[32:33]
	ds_write_b64 v166, v[30:31]
	ds_write_b64 v167, v[28:29]
	ds_write_b64 v176, v[26:27]
	ds_write_b64 v177, v[36:37]
	ds_write_b64 v178, v[34:35]
	s_waitcnt lgkmcnt(0)
	s_barrier
	buffer_gl0_inv
	ds_read2st64_b64 v[36:39], v1 offset1:4
	ds_read2st64_b64 v[32:35], v1 offset0:8 offset1:12
	ds_read2st64_b64 v[28:31], v1 offset0:16 offset1:20
	;; [unrolled: 1-line block ×3, first 2 shown]
	s_waitcnt lgkmcnt(0)
	s_barrier
	buffer_gl0_inv
	ds_write_b64 v0, v[8:9]
	ds_write_b64 v164, v[4:5]
	ds_write_b64 v165, v[17:18]
	ds_write_b64 v166, v[15:16]
	ds_write_b64 v167, v[13:14]
	ds_write_b64 v176, v[53:54]
	ds_write_b64 v177, v[51:52]
	ds_write_b64 v178, v[22:23]
	s_waitcnt lgkmcnt(0)
	s_barrier
	buffer_gl0_inv
	ds_read2st64_b64 v[20:23], v1 offset1:4
	ds_read2st64_b64 v[16:19], v1 offset0:8 offset1:12
	ds_read2st64_b64 v[12:15], v1 offset0:16 offset1:20
	;; [unrolled: 1-line block ×3, first 2 shown]
	v_mov_b32_e32 v51, 0
	v_add_co_u32 v2, vcc_lo, v2, v48
	v_add_co_ci_u32_e64 v3, null, v3, v49, vcc_lo
	v_lshlrev_b64 v[0:1], 3, v[50:51]
	s_waitcnt lgkmcnt(0)
	s_barrier
	buffer_gl0_inv
	v_add_co_u32 v2, vcc_lo, v2, v0
	v_add_co_ci_u32_e64 v3, null, v3, v1, vcc_lo
	v_cmp_lt_u32_e32 vcc_lo, v50, v119
	s_and_saveexec_b32 s5, vcc_lo
	s_cbranch_execz .LBB1118_228
; %bb.227:
	v_cmp_gt_i64_e64 s4, 0, v[36:37]
	v_ashrrev_i32_e32 v4, 31, v37
	v_not_b32_e32 v4, v4
	v_cndmask_b32_e64 v5, 0x7fffffff, 0, s4
	v_xor_b32_e32 v4, v4, v36
	v_xor_b32_e32 v5, v5, v37
	flat_store_dwordx2 v[2:3], v[4:5]
.LBB1118_228:
	s_or_b32 exec_lo, exec_lo, s5
	v_add_nc_u32_e32 v4, 0x100, v50
	v_cmp_lt_u32_e64 s4, v4, v119
	s_and_saveexec_b32 s6, s4
	s_cbranch_execz .LBB1118_230
; %bb.229:
	v_cmp_gt_i64_e64 s5, 0, v[38:39]
	v_ashrrev_i32_e32 v4, 31, v39
	v_not_b32_e32 v4, v4
	v_cndmask_b32_e64 v5, 0x7fffffff, 0, s5
	v_add_co_u32 v36, s5, 0x800, v2
	v_add_co_ci_u32_e64 v37, null, 0, v3, s5
	v_xor_b32_e32 v5, v5, v39
	v_xor_b32_e32 v4, v4, v38
	flat_store_dwordx2 v[36:37], v[4:5]
.LBB1118_230:
	s_or_b32 exec_lo, exec_lo, s6
	v_add_nc_u32_e32 v4, 0x200, v50
	v_cmp_lt_u32_e64 s5, v4, v119
	s_and_saveexec_b32 s7, s5
	s_cbranch_execz .LBB1118_232
; %bb.231:
	v_ashrrev_i32_e32 v4, 31, v33
	v_cmp_gt_i64_e64 s6, 0, v[32:33]
	v_not_b32_e32 v4, v4
	v_cndmask_b32_e64 v5, 0x7fffffff, 0, s6
	v_xor_b32_e32 v4, v4, v32
	v_add_co_u32 v32, s6, 0x1000, v2
	v_xor_b32_e32 v5, v5, v33
	v_add_co_ci_u32_e64 v33, null, 0, v3, s6
	flat_store_dwordx2 v[32:33], v[4:5]
.LBB1118_232:
	s_or_b32 exec_lo, exec_lo, s7
	v_add_nc_u32_e32 v4, 0x300, v50
	v_cmp_lt_u32_e64 s6, v4, v119
	s_and_saveexec_b32 s10, s6
	s_cbranch_execz .LBB1118_234
; %bb.233:
	v_cmp_gt_i64_e64 s7, 0, v[34:35]
	v_ashrrev_i32_e32 v4, 31, v35
	v_not_b32_e32 v4, v4
	v_cndmask_b32_e64 v5, 0x7fffffff, 0, s7
	v_add_co_u32 v32, s7, 0x1800, v2
	v_add_co_ci_u32_e64 v33, null, 0, v3, s7
	v_xor_b32_e32 v5, v5, v35
	v_xor_b32_e32 v4, v4, v34
	flat_store_dwordx2 v[32:33], v[4:5]
.LBB1118_234:
	s_or_b32 exec_lo, exec_lo, s10
	v_add_nc_u32_e32 v4, 0x400, v50
	v_cmp_lt_u32_e64 s7, v4, v119
	s_and_saveexec_b32 s11, s7
	s_cbranch_execz .LBB1118_236
; %bb.235:
	v_ashrrev_i32_e32 v4, 31, v29
	v_cmp_gt_i64_e64 s10, 0, v[28:29]
	v_not_b32_e32 v4, v4
	v_cndmask_b32_e64 v5, 0x7fffffff, 0, s10
	v_xor_b32_e32 v4, v4, v28
	v_add_co_u32 v28, s10, 0x2000, v2
	v_xor_b32_e32 v5, v5, v29
	v_add_co_ci_u32_e64 v29, null, 0, v3, s10
	flat_store_dwordx2 v[28:29], v[4:5]
.LBB1118_236:
	;; [unrolled: 32-line block ×3, first 2 shown]
	s_or_b32 exec_lo, exec_lo, s15
	v_add_nc_u32_e32 v4, 0x700, v50
	v_cmp_lt_u32_e64 s14, v4, v119
	s_and_saveexec_b32 s16, s14
	s_cbranch_execz .LBB1118_242
; %bb.241:
	v_cmp_gt_i64_e64 s15, 0, v[26:27]
	v_ashrrev_i32_e32 v4, 31, v27
	v_not_b32_e32 v4, v4
	v_cndmask_b32_e64 v5, 0x7fffffff, 0, s15
	v_add_co_u32 v2, s15, 0x3800, v2
	v_add_co_ci_u32_e64 v3, null, 0, v3, s15
	v_xor_b32_e32 v5, v5, v27
	v_xor_b32_e32 v4, v4, v26
	flat_store_dwordx2 v[2:3], v[4:5]
.LBB1118_242:
	s_or_b32 exec_lo, exec_lo, s16
	v_add_co_u32 v2, s15, v6, v48
	v_add_co_ci_u32_e64 v3, null, v7, v49, s15
	v_add_co_u32 v0, s15, v2, v0
	v_add_co_ci_u32_e64 v1, null, v3, v1, s15
	s_and_saveexec_b32 s15, vcc_lo
	s_cbranch_execnz .LBB1118_292
; %bb.243:
	s_or_b32 exec_lo, exec_lo, s15
	s_and_saveexec_b32 s15, s4
	s_cbranch_execnz .LBB1118_293
.LBB1118_244:
	s_or_b32 exec_lo, exec_lo, s15
	s_and_saveexec_b32 s4, s5
	s_cbranch_execnz .LBB1118_294
.LBB1118_245:
	s_or_b32 exec_lo, exec_lo, s4
	s_and_saveexec_b32 s4, s6
	s_cbranch_execnz .LBB1118_295
.LBB1118_246:
	s_or_b32 exec_lo, exec_lo, s4
	s_and_saveexec_b32 s4, s7
	s_cbranch_execnz .LBB1118_296
.LBB1118_247:
	s_or_b32 exec_lo, exec_lo, s4
	s_and_saveexec_b32 s4, s10
	s_cbranch_execnz .LBB1118_297
.LBB1118_248:
	s_or_b32 exec_lo, exec_lo, s4
	s_and_saveexec_b32 s4, s11
	s_cbranch_execnz .LBB1118_298
.LBB1118_249:
	s_or_b32 exec_lo, exec_lo, s4
	s_and_saveexec_b32 s4, s14
	s_cbranch_execz .LBB1118_251
.LBB1118_250:
	v_add_co_u32 v0, vcc_lo, 0x3800, v0
	v_add_co_ci_u32_e64 v1, null, 0, v1, vcc_lo
	flat_store_dwordx2 v[0:1], v[10:11]
.LBB1118_251:
	s_or_b32 exec_lo, exec_lo, s4
                                        ; implicit-def: $vgpr119
                                        ; implicit-def: $vgpr0
                                        ; implicit-def: $vgpr1
                                        ; implicit-def: $vgpr2
                                        ; implicit-def: $vgpr3
                                        ; implicit-def: $vgpr4
                                        ; implicit-def: $vgpr5
                                        ; implicit-def: $vgpr6
                                        ; implicit-def: $vgpr7
                                        ; implicit-def: $vgpr8
                                        ; implicit-def: $vgpr10
                                        ; implicit-def: $vgpr11
                                        ; implicit-def: $vgpr12
                                        ; implicit-def: $vgpr13
                                        ; implicit-def: $vgpr14
                                        ; implicit-def: $vgpr21
                                        ; implicit-def: $vgpr54
.LBB1118_252:
	s_andn2_saveexec_b32 s4, s25
	s_cbranch_execz .LBB1118_372
; %bb.253:
	s_mov_b32 s4, exec_lo
	v_cmpx_lt_u32_e32 0x200, v119
	s_xor_b32 s25, exec_lo, s4
	s_cbranch_execz .LBB1118_313
; %bb.254:
	s_load_dwordx2 s[4:5], s[8:9], 0x0
	v_mov_b32_e32 v9, 0
	v_lshlrev_b64 v[24:25], 3, v[8:9]
	v_add_co_u32 v20, vcc_lo, v0, v24
	s_waitcnt lgkmcnt(0)
	s_cmp_lt_u32 s13, s5
	s_cselect_b32 s5, 14, 20
	s_add_u32 s6, s8, s5
	s_addc_u32 s7, s9, 0
	s_cmp_lt_u32 s12, s4
	global_load_ushort v15, v9, s[6:7]
	s_cselect_b32 s4, 12, 18
	s_add_u32 s4, s8, s4
	s_addc_u32 s5, s9, 0
	global_load_ushort v16, v9, s[4:5]
	s_waitcnt vmcnt(1)
	v_mad_u32_u24 v13, v14, v15, v13
	s_waitcnt vmcnt(0)
	v_mad_u64_u32 v[26:27], null, v13, v16, v[21:22]
	v_lshlrev_b32_e32 v22, 3, v54
	v_add_co_ci_u32_e64 v27, null, v1, v25, vcc_lo
	v_mov_b32_e32 v13, -1
	v_lshlrev_b32_e32 v8, 2, v26
	v_mov_b32_e32 v14, v13
	v_mov_b32_e32 v15, v13
	v_mov_b32_e32 v16, v13
	v_and_b32_e32 v8, 0xffffff80, v8
	v_mov_b32_e32 v17, v13
	v_mov_b32_e32 v18, v13
	;; [unrolled: 1-line block ×3, first 2 shown]
	v_lshlrev_b64 v[0:1], 3, v[8:9]
	v_or_b32_e32 v23, v8, v54
	v_add_co_u32 v8, vcc_lo, v20, v22
	v_add_co_ci_u32_e64 v9, null, 0, v27, vcc_lo
	v_cmp_lt_u32_e32 vcc_lo, v23, v119
	v_add_co_u32 v8, s4, v8, v0
	v_add_co_ci_u32_e64 v9, null, v9, v1, s4
	v_mov_b32_e32 v20, v13
	s_and_saveexec_b32 s4, vcc_lo
	s_cbranch_execz .LBB1118_256
; %bb.255:
	flat_load_dwordx2 v[27:28], v[8:9]
	v_mov_b32_e32 v29, v13
	v_mov_b32_e32 v30, v13
	;; [unrolled: 1-line block ×6, first 2 shown]
	s_waitcnt vmcnt(0) lgkmcnt(0)
	v_mov_b32_e32 v13, v27
	v_mov_b32_e32 v14, v28
	;; [unrolled: 1-line block ×8, first 2 shown]
.LBB1118_256:
	s_or_b32 exec_lo, exec_lo, s4
	v_or_b32_e32 v27, 32, v23
	v_cmp_lt_u32_e64 s4, v27, v119
	s_and_saveexec_b32 s5, s4
	s_cbranch_execz .LBB1118_258
; %bb.257:
	flat_load_dwordx2 v[15:16], v[8:9] offset:256
.LBB1118_258:
	s_or_b32 exec_lo, exec_lo, s5
	v_or_b32_e32 v27, 64, v23
	v_cmp_lt_u32_e64 s5, v27, v119
	s_and_saveexec_b32 s6, s5
	s_cbranch_execz .LBB1118_260
; %bb.259:
	flat_load_dwordx2 v[17:18], v[8:9] offset:512
.LBB1118_260:
	;; [unrolled: 8-line block ×3, first 2 shown]
	s_or_b32 exec_lo, exec_lo, s7
	v_add_co_u32 v4, s7, v4, v24
	v_add_co_ci_u32_e64 v5, null, v5, v25, s7
                                        ; implicit-def: $vgpr33_vgpr34
	v_add_co_u32 v4, s7, v4, v22
	v_add_co_ci_u32_e64 v5, null, 0, v5, s7
	v_add_co_u32 v0, s7, v4, v0
	v_add_co_ci_u32_e64 v1, null, v5, v1, s7
	s_and_saveexec_b32 s7, vcc_lo
	s_cbranch_execnz .LBB1118_337
; %bb.263:
	s_or_b32 exec_lo, exec_lo, s7
                                        ; implicit-def: $vgpr35_vgpr36
	s_and_saveexec_b32 s7, s4
	s_cbranch_execnz .LBB1118_338
.LBB1118_264:
	s_or_b32 exec_lo, exec_lo, s7
                                        ; implicit-def: $vgpr22_vgpr23
	s_and_saveexec_b32 s4, s5
	s_cbranch_execnz .LBB1118_339
.LBB1118_265:
	s_or_b32 exec_lo, exec_lo, s4
                                        ; implicit-def: $vgpr31_vgpr32
	s_and_saveexec_b32 s4, s6
	s_cbranch_execz .LBB1118_267
.LBB1118_266:
	flat_load_dwordx2 v[31:32], v[0:1] offset:768
.LBB1118_267:
	s_or_b32 exec_lo, exec_lo, s4
	v_ashrrev_i32_e32 v0, 31, v14
	s_waitcnt vmcnt(0) lgkmcnt(0)
	v_ashrrev_i32_e32 v4, 31, v16
	v_cmp_gt_i64_e32 vcc_lo, 0, v[13:14]
	s_getpc_b64 s[4:5]
	s_add_u32 s4, s4, _ZN7rocprim17ROCPRIM_400000_NS16block_radix_sortIdLj256ELj4ElLj1ELj1ELj8ELNS0_26block_radix_rank_algorithmE2ELNS0_18block_padding_hintE2ELNS0_4arch9wavefront6targetE0EE19radix_bits_per_passE@rel32@lo+4
	s_addc_u32 s5, s5, _ZN7rocprim17ROCPRIM_400000_NS16block_radix_sortIdLj256ELj4ElLj1ELj1ELj8ELNS0_26block_radix_rank_algorithmE2ELNS0_18block_padding_hintE2ELNS0_4arch9wavefront6targetE0EE19radix_bits_per_passE@rel32@hi+12
	v_and_b32_e32 v8, 7, v54
	v_not_b32_e32 v0, v0
	s_load_dword s26, s[4:5], 0x0
	v_lshrrev_b32_e32 v70, 5, v26
	v_cndmask_b32_e64 v1, 0x7fffffff, 0, vcc_lo
	v_cmp_gt_i64_e32 vcc_lo, 0, v[15:16]
	v_xor_b32_e32 v50, v0, v13
	v_not_b32_e32 v0, v4
	v_cmp_lt_u32_e64 s15, 31, v21
	v_xor_b32_e32 v51, v1, v14
	v_ashrrev_i32_e32 v1, 31, v18
	v_cndmask_b32_e64 v5, 0x7fffffff, 0, vcc_lo
	v_xor_b32_e32 v37, v0, v15
	v_ashrrev_i32_e32 v0, 31, v20
	v_cmp_gt_i64_e32 vcc_lo, 0, v[17:18]
	v_not_b32_e32 v1, v1
	v_xor_b32_e32 v38, v5, v16
	v_lshl_add_u32 v5, v21, 5, v12
	v_not_b32_e32 v0, v0
	v_cmp_eq_u32_e64 s16, 0, v21
	v_cndmask_b32_e64 v4, 0x7fffffff, 0, vcc_lo
	v_cmp_gt_i64_e32 vcc_lo, 0, v[19:20]
	v_add_nc_u32_e32 v39, 32, v5
	v_xor_b32_e32 v52, v0, v19
	v_and_b32_e32 v0, 0x3e0, v21
	v_xor_b32_e32 v49, v4, v18
	v_add_nc_u32_e32 v55, 36, v5
	v_cndmask_b32_e64 v4, 0x7fffffff, 0, vcc_lo
	v_add_nc_u32_e32 v64, 40, v5
	v_min_u32_e32 v0, 0xe0, v0
	v_add_nc_u32_e32 v65, 44, v5
	v_add_nc_u32_e32 v66, 48, v5
	v_xor_b32_e32 v53, v4, v20
	v_add_nc_u32_e32 v67, 52, v5
	v_add_nc_u32_e32 v68, 56, v5
	;; [unrolled: 1-line block ×3, first 2 shown]
	v_and_b32_e32 v4, 16, v54
	v_or_b32_e32 v0, 31, v0
	v_sub_co_u32 v5, s6, v54, 1
	v_xor_b32_e32 v48, v1, v17
	v_and_b32_e32 v1, 15, v54
	v_cmp_eq_u32_e64 s10, 0, v4
	v_cmp_eq_u32_e64 s11, v21, v0
	v_lshrrev_b32_e32 v0, 3, v21
	v_cmp_gt_i32_e64 s14, 0, v5
	v_lshlrev_b32_e32 v4, 2, v21
	v_cmp_eq_u32_e32 vcc_lo, 0, v1
	v_cmp_lt_u32_e64 s4, 1, v1
	v_cmp_lt_u32_e64 s5, 3, v1
	;; [unrolled: 1-line block ×3, first 2 shown]
	v_cndmask_b32_e64 v1, v5, v54, s14
	v_and_b32_e32 v0, 0x7c, v0
	v_and_or_b32 v5, 0xf80, v4, v54
	v_cmp_gt_u32_e64 s14, 8, v21
	v_add_nc_u32_e32 v80, v12, v4
	v_lshlrev_b32_e32 v71, 2, v1
	v_add_nc_u32_e32 v54, v12, v0
	v_lshl_add_u32 v81, v5, 3, v12
	v_mov_b32_e32 v1, 0
	v_cmp_eq_u32_e64 s17, 0, v8
	v_cmp_lt_u32_e64 s18, 1, v8
	v_cmp_lt_u32_e64 s19, 3, v8
	v_add_nc_u32_e32 v82, -4, v54
	v_add_nc_u32_e32 v83, 0x100, v81
	v_add_nc_u32_e32 v84, 0x200, v81
	;; [unrolled: 1-line block ×3, first 2 shown]
	v_sub_nc_u32_e32 v86, v11, v10
	s_mov_b32 s22, 0
	s_brev_b32 s23, 1
	s_mov_b32 s27, s22
	s_waitcnt lgkmcnt(0)
	s_waitcnt_vscnt null, 0x0
	s_barrier
	buffer_gl0_inv
	s_branch .LBB1118_269
.LBB1118_268:                           ;   in Loop: Header=BB1118_269 Depth=1
	s_or_b32 exec_lo, exec_lo, s21
	s_and_b32 s20, exec_lo, s28
	s_or_b32 s27, s20, s27
	s_andn2_b32 exec_lo, exec_lo, s27
	s_cbranch_execz .LBB1118_299
.LBB1118_269:                           ; =>This Inner Loop Header: Depth=1
	v_mov_b32_e32 v4, v50
	v_mov_b32_e32 v5, v51
	v_min_u32_e32 v0, s26, v86
	v_mov_b32_e32 v13, v33
	v_mov_b32_e32 v14, v34
	;; [unrolled: 1-line block ×3, first 2 shown]
	v_cmp_ne_u64_e64 s20, s[22:23], v[4:5]
	v_lshlrev_b32_e64 v0, v0, -1
	v_mov_b32_e32 v20, v38
	v_mov_b32_e32 v15, v52
	;; [unrolled: 1-line block ×4, first 2 shown]
	v_cndmask_b32_e64 v9, 0x7fffffff, v5, s20
	v_cndmask_b32_e64 v8, -1, v4, s20
	v_not_b32_e32 v50, v0
	v_mov_b32_e32 v18, v49
	ds_write_b32 v39, v1
	ds_write_b32 v55, v1
	;; [unrolled: 1-line block ×3, first 2 shown]
	v_lshrrev_b64 v[8:9], v10, v[8:9]
	ds_write_b32 v65, v1
	ds_write_b32 v66, v1
	;; [unrolled: 1-line block ×5, first 2 shown]
	s_waitcnt lgkmcnt(0)
	s_barrier
	v_and_b32_e32 v0, v8, v50
	v_mov_b32_e32 v8, v35
	v_mov_b32_e32 v9, v36
	buffer_gl0_inv
	v_and_b32_e32 v27, 1, v0
	v_lshlrev_b32_e32 v28, 30, v0
	v_lshlrev_b32_e32 v29, 29, v0
	;; [unrolled: 1-line block ×4, first 2 shown]
	v_add_co_u32 v27, s20, v27, -1
	v_cndmask_b32_e64 v33, 0, 1, s20
	v_not_b32_e32 v37, v28
	v_cmp_gt_i32_e64 s21, 0, v28
	v_not_b32_e32 v28, v29
	v_lshlrev_b32_e32 v35, 26, v0
	v_cmp_ne_u32_e64 s20, 0, v33
	v_ashrrev_i32_e32 v37, 31, v37
	v_lshlrev_b32_e32 v36, 25, v0
	v_ashrrev_i32_e32 v28, 31, v28
	v_lshlrev_b32_e32 v33, 24, v0
	v_xor_b32_e32 v27, s20, v27
	v_cmp_gt_i32_e64 s20, 0, v29
	v_not_b32_e32 v29, v30
	v_xor_b32_e32 v37, s21, v37
	v_cmp_gt_i32_e64 s21, 0, v30
	v_and_b32_e32 v27, exec_lo, v27
	v_not_b32_e32 v30, v34
	v_ashrrev_i32_e32 v29, 31, v29
	v_xor_b32_e32 v28, s20, v28
	v_cmp_gt_i32_e64 s20, 0, v34
	v_and_b32_e32 v27, v27, v37
	v_not_b32_e32 v34, v35
	v_ashrrev_i32_e32 v30, 31, v30
	v_xor_b32_e32 v29, s21, v29
	v_cmp_gt_i32_e64 s21, 0, v35
	v_and_b32_e32 v27, v27, v28
	v_not_b32_e32 v28, v36
	v_ashrrev_i32_e32 v34, 31, v34
	v_xor_b32_e32 v30, s20, v30
	v_cmp_gt_i32_e64 s20, 0, v36
	v_and_b32_e32 v27, v27, v29
	v_not_b32_e32 v29, v33
	v_ashrrev_i32_e32 v35, 31, v28
	v_xor_b32_e32 v34, s21, v34
	v_cmp_gt_i32_e64 s21, 0, v33
	v_and_b32_e32 v30, v27, v30
	v_mov_b32_e32 v28, v23
	v_mov_b32_e32 v27, v22
	v_ashrrev_i32_e32 v22, 31, v29
	v_xor_b32_e32 v23, s20, v35
	v_and_b32_e32 v33, v30, v34
	v_lshl_add_u32 v0, v0, 3, v70
	v_mov_b32_e32 v29, v31
	v_xor_b32_e32 v22, s21, v22
	v_mov_b32_e32 v30, v32
	v_and_b32_e32 v23, v33, v23
	v_lshlrev_b64 v[31:32], 2, v[0:1]
	; wave barrier
	v_and_b32_e32 v23, v23, v22
	v_add_co_u32 v22, null, v12, v31
	v_mbcnt_lo_u32_b32 v0, v23, 0
	v_cmp_ne_u32_e64 s21, 0, v23
	v_add_co_u32 v22, null, v22, 32
	v_cmp_eq_u32_e64 s20, 0, v0
	s_and_b32 s21, s21, s20
	s_and_saveexec_b32 s20, s21
; %bb.270:                              ;   in Loop: Header=BB1118_269 Depth=1
	v_bcnt_u32_b32 v23, v23, 0
	ds_write_b32 v22, v23
; %bb.271:                              ;   in Loop: Header=BB1118_269 Depth=1
	s_or_b32 exec_lo, exec_lo, s20
	v_cmp_ne_u64_e64 s20, s[22:23], v[19:20]
	; wave barrier
	v_cndmask_b32_e64 v32, 0x7fffffff, v20, s20
	v_cndmask_b32_e64 v31, -1, v19, s20
	v_lshrrev_b64 v[31:32], v10, v[31:32]
	v_and_b32_e32 v23, v31, v50
	v_and_b32_e32 v31, 1, v23
	v_lshlrev_b32_e32 v32, 30, v23
	v_lshlrev_b32_e32 v33, 29, v23
	;; [unrolled: 1-line block ×4, first 2 shown]
	v_add_co_u32 v31, s20, v31, -1
	v_cndmask_b32_e64 v35, 0, 1, s20
	v_not_b32_e32 v48, v32
	v_cmp_gt_i32_e64 s21, 0, v32
	v_not_b32_e32 v32, v33
	v_lshlrev_b32_e32 v37, 26, v23
	v_cmp_ne_u32_e64 s20, 0, v35
	v_ashrrev_i32_e32 v48, 31, v48
	v_lshlrev_b32_e32 v38, 25, v23
	v_ashrrev_i32_e32 v32, 31, v32
	v_lshlrev_b32_e32 v35, 24, v23
	v_xor_b32_e32 v31, s20, v31
	v_cmp_gt_i32_e64 s20, 0, v33
	v_not_b32_e32 v33, v34
	v_xor_b32_e32 v48, s21, v48
	v_cmp_gt_i32_e64 s21, 0, v34
	v_and_b32_e32 v31, exec_lo, v31
	v_not_b32_e32 v34, v36
	v_ashrrev_i32_e32 v33, 31, v33
	v_xor_b32_e32 v32, s20, v32
	v_cmp_gt_i32_e64 s20, 0, v36
	v_and_b32_e32 v31, v31, v48
	v_not_b32_e32 v36, v37
	v_ashrrev_i32_e32 v34, 31, v34
	v_xor_b32_e32 v33, s21, v33
	v_cmp_gt_i32_e64 s21, 0, v37
	v_and_b32_e32 v31, v31, v32
	;; [unrolled: 5-line block ×3, first 2 shown]
	v_not_b32_e32 v33, v35
	v_ashrrev_i32_e32 v32, 31, v32
	v_xor_b32_e32 v36, s21, v36
	v_lshl_add_u32 v23, v23, 3, v70
	v_and_b32_e32 v31, v31, v34
	v_cmp_gt_i32_e64 s21, 0, v35
	v_ashrrev_i32_e32 v33, 31, v33
	v_xor_b32_e32 v32, s20, v32
	v_lshl_add_u32 v34, v23, 2, v12
	v_and_b32_e32 v31, v31, v36
	v_xor_b32_e32 v33, s21, v33
	ds_read_b32 v23, v34 offset:32
	v_and_b32_e32 v31, v31, v32
	v_add_nc_u32_e32 v32, 32, v34
	; wave barrier
	v_and_b32_e32 v33, v31, v33
	v_mbcnt_lo_u32_b32 v31, v33, 0
	v_cmp_ne_u32_e64 s21, 0, v33
	v_cmp_eq_u32_e64 s20, 0, v31
	s_and_b32 s21, s21, s20
	s_and_saveexec_b32 s20, s21
	s_cbranch_execz .LBB1118_273
; %bb.272:                              ;   in Loop: Header=BB1118_269 Depth=1
	s_waitcnt lgkmcnt(0)
	v_bcnt_u32_b32 v33, v33, v23
	ds_write_b32 v32, v33
.LBB1118_273:                           ;   in Loop: Header=BB1118_269 Depth=1
	s_or_b32 exec_lo, exec_lo, s20
	v_cmp_ne_u64_e64 s20, s[22:23], v[17:18]
	; wave barrier
	v_cndmask_b32_e64 v34, 0x7fffffff, v18, s20
	v_cndmask_b32_e64 v33, -1, v17, s20
	v_lshrrev_b64 v[33:34], v10, v[33:34]
	v_and_b32_e32 v33, v33, v50
	v_and_b32_e32 v34, 1, v33
	v_lshlrev_b32_e32 v35, 30, v33
	v_lshlrev_b32_e32 v36, 29, v33
	v_lshlrev_b32_e32 v37, 28, v33
	v_lshlrev_b32_e32 v48, 27, v33
	v_add_co_u32 v34, s20, v34, -1
	v_cndmask_b32_e64 v38, 0, 1, s20
	v_not_b32_e32 v52, v35
	v_cmp_gt_i32_e64 s21, 0, v35
	v_not_b32_e32 v35, v36
	v_lshlrev_b32_e32 v49, 26, v33
	v_cmp_ne_u32_e64 s20, 0, v38
	v_ashrrev_i32_e32 v52, 31, v52
	v_lshlrev_b32_e32 v51, 25, v33
	v_ashrrev_i32_e32 v35, 31, v35
	v_lshlrev_b32_e32 v38, 24, v33
	v_xor_b32_e32 v34, s20, v34
	v_cmp_gt_i32_e64 s20, 0, v36
	v_not_b32_e32 v36, v37
	v_xor_b32_e32 v52, s21, v52
	v_cmp_gt_i32_e64 s21, 0, v37
	v_and_b32_e32 v34, exec_lo, v34
	v_not_b32_e32 v37, v48
	v_ashrrev_i32_e32 v36, 31, v36
	v_xor_b32_e32 v35, s20, v35
	v_cmp_gt_i32_e64 s20, 0, v48
	v_and_b32_e32 v34, v34, v52
	v_not_b32_e32 v48, v49
	v_ashrrev_i32_e32 v37, 31, v37
	v_xor_b32_e32 v36, s21, v36
	v_cmp_gt_i32_e64 s21, 0, v49
	v_and_b32_e32 v34, v34, v35
	;; [unrolled: 5-line block ×3, first 2 shown]
	v_not_b32_e32 v36, v38
	v_ashrrev_i32_e32 v35, 31, v35
	v_xor_b32_e32 v48, s21, v48
	v_lshl_add_u32 v33, v33, 3, v70
	v_and_b32_e32 v34, v34, v37
	v_cmp_gt_i32_e64 s21, 0, v38
	v_ashrrev_i32_e32 v36, 31, v36
	v_xor_b32_e32 v35, s20, v35
	v_lshl_add_u32 v37, v33, 2, v12
	v_and_b32_e32 v34, v34, v48
	v_xor_b32_e32 v36, s21, v36
	ds_read_b32 v33, v37 offset:32
	v_and_b32_e32 v34, v34, v35
	v_add_nc_u32_e32 v35, 32, v37
	; wave barrier
	v_and_b32_e32 v36, v34, v36
	v_mbcnt_lo_u32_b32 v34, v36, 0
	v_cmp_ne_u32_e64 s21, 0, v36
	v_cmp_eq_u32_e64 s20, 0, v34
	s_and_b32 s21, s21, s20
	s_and_saveexec_b32 s20, s21
	s_cbranch_execz .LBB1118_275
; %bb.274:                              ;   in Loop: Header=BB1118_269 Depth=1
	s_waitcnt lgkmcnt(0)
	v_bcnt_u32_b32 v36, v36, v33
	ds_write_b32 v35, v36
.LBB1118_275:                           ;   in Loop: Header=BB1118_269 Depth=1
	s_or_b32 exec_lo, exec_lo, s20
	v_cmp_ne_u64_e64 s20, s[22:23], v[15:16]
	; wave barrier
	v_cndmask_b32_e64 v37, 0x7fffffff, v16, s20
	v_cndmask_b32_e64 v36, -1, v15, s20
	v_lshrrev_b64 v[36:37], v10, v[36:37]
	v_and_b32_e32 v36, v36, v50
	v_and_b32_e32 v37, 1, v36
	v_lshlrev_b32_e32 v38, 30, v36
	v_lshlrev_b32_e32 v48, 29, v36
	;; [unrolled: 1-line block ×4, first 2 shown]
	v_add_co_u32 v37, s20, v37, -1
	v_cndmask_b32_e64 v50, 0, 1, s20
	v_not_b32_e32 v87, v38
	v_cmp_gt_i32_e64 s21, 0, v38
	v_not_b32_e32 v38, v48
	v_lshlrev_b32_e32 v52, 26, v36
	v_cmp_ne_u32_e64 s20, 0, v50
	v_ashrrev_i32_e32 v87, 31, v87
	v_lshlrev_b32_e32 v53, 25, v36
	v_ashrrev_i32_e32 v38, 31, v38
	v_lshlrev_b32_e32 v50, 24, v36
	v_xor_b32_e32 v37, s20, v37
	v_cmp_gt_i32_e64 s20, 0, v48
	v_not_b32_e32 v48, v49
	v_xor_b32_e32 v87, s21, v87
	v_cmp_gt_i32_e64 s21, 0, v49
	v_and_b32_e32 v37, exec_lo, v37
	v_not_b32_e32 v49, v51
	v_ashrrev_i32_e32 v48, 31, v48
	v_xor_b32_e32 v38, s20, v38
	v_cmp_gt_i32_e64 s20, 0, v51
	v_and_b32_e32 v37, v37, v87
	v_not_b32_e32 v51, v52
	v_ashrrev_i32_e32 v49, 31, v49
	v_xor_b32_e32 v48, s21, v48
	v_cmp_gt_i32_e64 s21, 0, v52
	v_and_b32_e32 v37, v37, v38
	;; [unrolled: 5-line block ×3, first 2 shown]
	v_not_b32_e32 v48, v50
	v_ashrrev_i32_e32 v38, 31, v38
	v_xor_b32_e32 v51, s21, v51
	v_lshl_add_u32 v36, v36, 3, v70
	v_and_b32_e32 v37, v37, v49
	v_cmp_gt_i32_e64 s21, 0, v50
	v_ashrrev_i32_e32 v48, 31, v48
	v_xor_b32_e32 v38, s20, v38
	v_lshl_add_u32 v49, v36, 2, v12
	v_and_b32_e32 v37, v37, v51
	v_xor_b32_e32 v48, s21, v48
	ds_read_b32 v36, v49 offset:32
	v_and_b32_e32 v37, v37, v38
	v_add_nc_u32_e32 v38, 32, v49
	; wave barrier
	v_and_b32_e32 v48, v37, v48
	v_mbcnt_lo_u32_b32 v37, v48, 0
	v_cmp_ne_u32_e64 s21, 0, v48
	v_cmp_eq_u32_e64 s20, 0, v37
	s_and_b32 s21, s21, s20
	s_and_saveexec_b32 s20, s21
	s_cbranch_execz .LBB1118_277
; %bb.276:                              ;   in Loop: Header=BB1118_269 Depth=1
	s_waitcnt lgkmcnt(0)
	v_bcnt_u32_b32 v48, v48, v36
	ds_write_b32 v38, v48
.LBB1118_277:                           ;   in Loop: Header=BB1118_269 Depth=1
	s_or_b32 exec_lo, exec_lo, s20
	; wave barrier
	s_waitcnt lgkmcnt(0)
	s_barrier
	buffer_gl0_inv
	ds_read_b32 v49, v39
	ds_read_b32 v50, v55
	;; [unrolled: 1-line block ×8, first 2 shown]
	s_waitcnt lgkmcnt(6)
	v_add_nc_u32_e32 v97, v50, v49
	s_waitcnt lgkmcnt(4)
	v_add3_u32 v97, v97, v51, v52
	s_waitcnt lgkmcnt(2)
	v_add3_u32 v97, v97, v53, v87
	;; [unrolled: 2-line block ×3, first 2 shown]
	v_mov_b32_dpp v97, v96 row_shr:1 row_mask:0xf bank_mask:0xf
	v_cndmask_b32_e64 v97, v97, 0, vcc_lo
	v_add_nc_u32_e32 v96, v97, v96
	v_mov_b32_dpp v97, v96 row_shr:2 row_mask:0xf bank_mask:0xf
	v_cndmask_b32_e64 v97, 0, v97, s4
	v_add_nc_u32_e32 v96, v96, v97
	v_mov_b32_dpp v97, v96 row_shr:4 row_mask:0xf bank_mask:0xf
	v_cndmask_b32_e64 v97, 0, v97, s5
	;; [unrolled: 3-line block ×3, first 2 shown]
	v_add_nc_u32_e32 v96, v96, v97
	ds_swizzle_b32 v97, v96 offset:swizzle(BROADCAST,32,15)
	s_waitcnt lgkmcnt(0)
	v_cndmask_b32_e64 v97, v97, 0, s10
	v_add_nc_u32_e32 v96, v96, v97
	s_and_saveexec_b32 s20, s11
; %bb.278:                              ;   in Loop: Header=BB1118_269 Depth=1
	ds_write_b32 v54, v96
; %bb.279:                              ;   in Loop: Header=BB1118_269 Depth=1
	s_or_b32 exec_lo, exec_lo, s20
	s_waitcnt lgkmcnt(0)
	s_barrier
	buffer_gl0_inv
	s_and_saveexec_b32 s20, s14
	s_cbranch_execz .LBB1118_281
; %bb.280:                              ;   in Loop: Header=BB1118_269 Depth=1
	ds_read_b32 v97, v80
	s_waitcnt lgkmcnt(0)
	v_mov_b32_dpp v98, v97 row_shr:1 row_mask:0xf bank_mask:0xf
	v_cndmask_b32_e64 v98, v98, 0, s17
	v_add_nc_u32_e32 v97, v98, v97
	v_mov_b32_dpp v98, v97 row_shr:2 row_mask:0xf bank_mask:0xf
	v_cndmask_b32_e64 v98, 0, v98, s18
	v_add_nc_u32_e32 v97, v97, v98
	;; [unrolled: 3-line block ×3, first 2 shown]
	ds_write_b32 v80, v97
.LBB1118_281:                           ;   in Loop: Header=BB1118_269 Depth=1
	s_or_b32 exec_lo, exec_lo, s20
	v_mov_b32_e32 v97, 0
	s_waitcnt lgkmcnt(0)
	s_barrier
	buffer_gl0_inv
	s_and_saveexec_b32 s20, s15
; %bb.282:                              ;   in Loop: Header=BB1118_269 Depth=1
	ds_read_b32 v97, v82
; %bb.283:                              ;   in Loop: Header=BB1118_269 Depth=1
	s_or_b32 exec_lo, exec_lo, s20
	s_waitcnt lgkmcnt(0)
	v_add_nc_u32_e32 v96, v97, v96
	v_add_nc_u32_e32 v10, 8, v10
	s_mov_b32 s28, -1
	s_mov_b32 s21, exec_lo
	ds_bpermute_b32 v96, v71, v96
	s_waitcnt lgkmcnt(0)
	v_cndmask_b32_e64 v96, v96, v97, s6
	v_cndmask_b32_e64 v96, v96, 0, s16
	v_add_nc_u32_e32 v49, v96, v49
	v_add_nc_u32_e32 v50, v49, v50
	ds_write_b32 v39, v96
	ds_write_b32 v55, v49
	;; [unrolled: 1-line block ×3, first 2 shown]
	v_add_nc_u32_e32 v51, v50, v51
	v_add_nc_u32_e32 v52, v51, v52
	;; [unrolled: 1-line block ×5, first 2 shown]
	ds_write_b32 v65, v51
	ds_write_b32 v66, v52
	ds_write_b32 v67, v53
	ds_write_b32 v68, v87
	ds_write_b32 v69, v48
	s_waitcnt lgkmcnt(0)
	s_barrier
	buffer_gl0_inv
	ds_read_b32 v22, v22
	ds_read_b32 v48, v32
	;; [unrolled: 1-line block ×4, first 2 shown]
	v_mov_b32_e32 v32, v1
	v_mov_b32_e32 v35, v1
	;; [unrolled: 1-line block ×3, first 2 shown]
	s_waitcnt lgkmcnt(0)
                                        ; implicit-def: $vgpr52_vgpr53
	v_add_nc_u32_e32 v0, v22, v0
	v_add3_u32 v31, v31, v23, v48
	v_add3_u32 v34, v34, v33, v49
	;; [unrolled: 1-line block ×3, first 2 shown]
                                        ; implicit-def: $vgpr48_vgpr49
                                        ; implicit-def: $vgpr50_vgpr51
	v_lshlrev_b64 v[22:23], 3, v[0:1]
	v_lshlrev_b64 v[31:32], 3, v[31:32]
	;; [unrolled: 1-line block ×4, first 2 shown]
                                        ; implicit-def: $vgpr37_vgpr38
                                        ; implicit-def: $vgpr35_vgpr36
	v_add_co_u32 v0, null, v12, v22
	v_add_co_u32 v87, null, v12, v31
	;; [unrolled: 1-line block ×4, first 2 shown]
                                        ; implicit-def: $vgpr33_vgpr34
                                        ; implicit-def: $vgpr22_vgpr23
                                        ; implicit-def: $vgpr31_vgpr32
	v_cmpx_lt_u32_e64 v10, v11
	s_cbranch_execz .LBB1118_268
; %bb.284:                              ;   in Loop: Header=BB1118_269 Depth=1
	s_barrier
	buffer_gl0_inv
	ds_write_b64 v0, v[4:5]
	ds_write_b64 v87, v[19:20]
	;; [unrolled: 1-line block ×4, first 2 shown]
	s_waitcnt lgkmcnt(0)
	s_barrier
	buffer_gl0_inv
	ds_read_b64 v[50:51], v81
	ds_read_b64 v[37:38], v83
	;; [unrolled: 1-line block ×4, first 2 shown]
	s_waitcnt lgkmcnt(0)
	s_barrier
	buffer_gl0_inv
	ds_write_b64 v0, v[13:14]
	ds_write_b64 v87, v[8:9]
	;; [unrolled: 1-line block ×4, first 2 shown]
	s_waitcnt lgkmcnt(0)
	s_barrier
	buffer_gl0_inv
	ds_read_b64 v[33:34], v81
	ds_read_b64 v[35:36], v83
	;; [unrolled: 1-line block ×4, first 2 shown]
	v_add_nc_u32_e32 v86, -8, v86
	s_xor_b32 s28, exec_lo, -1
	s_waitcnt lgkmcnt(0)
	s_barrier
	buffer_gl0_inv
	s_branch .LBB1118_268
.LBB1118_285:
	flat_load_dwordx2 v[38:39], v[4:5]
	s_or_b32 exec_lo, exec_lo, s15
                                        ; implicit-def: $vgpr64_vgpr65
	s_and_saveexec_b32 s15, s4
	s_cbranch_execz .LBB1118_163
.LBB1118_286:
	flat_load_dwordx2 v[64:65], v[4:5] offset:256
	s_or_b32 exec_lo, exec_lo, s15
                                        ; implicit-def: $vgpr66_vgpr67
	s_and_saveexec_b32 s4, s5
	s_cbranch_execz .LBB1118_164
.LBB1118_287:
	flat_load_dwordx2 v[66:67], v[4:5] offset:512
	s_or_b32 exec_lo, exec_lo, s4
                                        ; implicit-def: $vgpr68_vgpr69
	s_and_saveexec_b32 s4, s6
	s_cbranch_execz .LBB1118_165
.LBB1118_288:
	flat_load_dwordx2 v[68:69], v[4:5] offset:768
	s_or_b32 exec_lo, exec_lo, s4
                                        ; implicit-def: $vgpr70_vgpr71
	s_and_saveexec_b32 s4, s7
	s_cbranch_execz .LBB1118_166
.LBB1118_289:
	flat_load_dwordx2 v[70:71], v[4:5] offset:1024
	s_or_b32 exec_lo, exec_lo, s4
                                        ; implicit-def: $vgpr80_vgpr81
	s_and_saveexec_b32 s4, s10
	s_cbranch_execz .LBB1118_167
.LBB1118_290:
	flat_load_dwordx2 v[80:81], v[4:5] offset:1280
	s_or_b32 exec_lo, exec_lo, s4
                                        ; implicit-def: $vgpr82_vgpr83
	s_and_saveexec_b32 s4, s11
	s_cbranch_execz .LBB1118_168
.LBB1118_291:
	flat_load_dwordx2 v[82:83], v[4:5] offset:1536
	s_or_b32 exec_lo, exec_lo, s4
                                        ; implicit-def: $vgpr84_vgpr85
	s_and_saveexec_b32 s4, s14
	s_cbranch_execnz .LBB1118_169
	s_branch .LBB1118_170
.LBB1118_292:
	flat_store_dwordx2 v[0:1], v[20:21]
	s_or_b32 exec_lo, exec_lo, s15
	s_and_saveexec_b32 s15, s4
	s_cbranch_execz .LBB1118_244
.LBB1118_293:
	v_add_co_u32 v2, vcc_lo, 0x800, v0
	v_add_co_ci_u32_e64 v3, null, 0, v1, vcc_lo
	flat_store_dwordx2 v[2:3], v[22:23]
	s_or_b32 exec_lo, exec_lo, s15
	s_and_saveexec_b32 s4, s5
	s_cbranch_execz .LBB1118_245
.LBB1118_294:
	v_add_co_u32 v2, vcc_lo, 0x1000, v0
	v_add_co_ci_u32_e64 v3, null, 0, v1, vcc_lo
	flat_store_dwordx2 v[2:3], v[16:17]
	s_or_b32 exec_lo, exec_lo, s4
	s_and_saveexec_b32 s4, s6
	s_cbranch_execz .LBB1118_246
.LBB1118_295:
	v_add_co_u32 v2, vcc_lo, 0x1800, v0
	v_add_co_ci_u32_e64 v3, null, 0, v1, vcc_lo
	flat_store_dwordx2 v[2:3], v[18:19]
	s_or_b32 exec_lo, exec_lo, s4
	s_and_saveexec_b32 s4, s7
	s_cbranch_execz .LBB1118_247
.LBB1118_296:
	v_add_co_u32 v2, vcc_lo, 0x2000, v0
	v_add_co_ci_u32_e64 v3, null, 0, v1, vcc_lo
	flat_store_dwordx2 v[2:3], v[12:13]
	s_or_b32 exec_lo, exec_lo, s4
	s_and_saveexec_b32 s4, s10
	s_cbranch_execz .LBB1118_248
.LBB1118_297:
	v_add_co_u32 v2, vcc_lo, 0x2800, v0
	v_add_co_ci_u32_e64 v3, null, 0, v1, vcc_lo
	flat_store_dwordx2 v[2:3], v[14:15]
	s_or_b32 exec_lo, exec_lo, s4
	s_and_saveexec_b32 s4, s11
	s_cbranch_execz .LBB1118_249
.LBB1118_298:
	v_add_co_u32 v2, vcc_lo, 0x3000, v0
	v_add_co_ci_u32_e64 v3, null, 0, v1, vcc_lo
	flat_store_dwordx2 v[2:3], v[8:9]
	s_or_b32 exec_lo, exec_lo, s4
	s_and_saveexec_b32 s4, s14
	s_cbranch_execnz .LBB1118_250
	s_branch .LBB1118_251
.LBB1118_299:
	s_or_b32 exec_lo, exec_lo, s27
	v_lshl_add_u32 v1, v21, 3, v12
	s_barrier
	buffer_gl0_inv
	ds_write_b64 v0, v[4:5]
	ds_write_b64 v87, v[19:20]
	;; [unrolled: 1-line block ×4, first 2 shown]
	s_waitcnt lgkmcnt(0)
	s_barrier
	buffer_gl0_inv
	ds_read2st64_b64 v[20:23], v1 offset1:4
	ds_read2st64_b64 v[16:19], v1 offset0:8 offset1:12
	s_waitcnt lgkmcnt(0)
	s_barrier
	buffer_gl0_inv
	ds_write_b64 v0, v[13:14]
	ds_write_b64 v87, v[8:9]
	;; [unrolled: 1-line block ×4, first 2 shown]
	s_waitcnt lgkmcnt(0)
	s_barrier
	buffer_gl0_inv
	ds_read2st64_b64 v[12:15], v1 offset1:4
	ds_read2st64_b64 v[8:11], v1 offset0:8 offset1:12
	v_mov_b32_e32 v27, 0
	v_add_co_u32 v2, vcc_lo, v2, v24
	v_add_co_ci_u32_e64 v3, null, v3, v25, vcc_lo
	v_lshlrev_b64 v[0:1], 3, v[26:27]
	s_waitcnt lgkmcnt(0)
	s_barrier
	buffer_gl0_inv
	v_add_co_u32 v2, vcc_lo, v2, v0
	v_add_co_ci_u32_e64 v3, null, v3, v1, vcc_lo
	v_cmp_lt_u32_e32 vcc_lo, v26, v119
	s_and_saveexec_b32 s5, vcc_lo
	s_cbranch_execz .LBB1118_301
; %bb.300:
	v_cmp_gt_i64_e64 s4, 0, v[20:21]
	v_ashrrev_i32_e32 v4, 31, v21
	v_not_b32_e32 v4, v4
	v_cndmask_b32_e64 v5, 0x7fffffff, 0, s4
	v_xor_b32_e32 v4, v4, v20
	v_xor_b32_e32 v5, v5, v21
	flat_store_dwordx2 v[2:3], v[4:5]
.LBB1118_301:
	s_or_b32 exec_lo, exec_lo, s5
	v_add_nc_u32_e32 v4, 0x100, v26
	v_cmp_lt_u32_e64 s4, v4, v119
	s_and_saveexec_b32 s6, s4
	s_cbranch_execz .LBB1118_303
; %bb.302:
	v_cmp_gt_i64_e64 s5, 0, v[22:23]
	v_ashrrev_i32_e32 v4, 31, v23
	v_not_b32_e32 v4, v4
	v_cndmask_b32_e64 v5, 0x7fffffff, 0, s5
	v_add_co_u32 v20, s5, 0x800, v2
	v_add_co_ci_u32_e64 v21, null, 0, v3, s5
	v_xor_b32_e32 v5, v5, v23
	v_xor_b32_e32 v4, v4, v22
	flat_store_dwordx2 v[20:21], v[4:5]
.LBB1118_303:
	s_or_b32 exec_lo, exec_lo, s6
	v_add_nc_u32_e32 v4, 0x200, v26
	v_cmp_lt_u32_e64 s5, v4, v119
	s_and_saveexec_b32 s7, s5
	s_cbranch_execz .LBB1118_305
; %bb.304:
	v_ashrrev_i32_e32 v4, 31, v17
	v_cmp_gt_i64_e64 s6, 0, v[16:17]
	v_not_b32_e32 v4, v4
	v_cndmask_b32_e64 v5, 0x7fffffff, 0, s6
	v_xor_b32_e32 v4, v4, v16
	v_add_co_u32 v16, s6, 0x1000, v2
	v_xor_b32_e32 v5, v5, v17
	v_add_co_ci_u32_e64 v17, null, 0, v3, s6
	flat_store_dwordx2 v[16:17], v[4:5]
.LBB1118_305:
	s_or_b32 exec_lo, exec_lo, s7
	v_add_nc_u32_e32 v4, 0x300, v26
	v_cmp_lt_u32_e64 s6, v4, v119
	s_and_saveexec_b32 s10, s6
	s_cbranch_execz .LBB1118_307
; %bb.306:
	v_cmp_gt_i64_e64 s7, 0, v[18:19]
	v_ashrrev_i32_e32 v4, 31, v19
	v_not_b32_e32 v4, v4
	v_cndmask_b32_e64 v5, 0x7fffffff, 0, s7
	v_add_co_u32 v2, s7, 0x1800, v2
	v_add_co_ci_u32_e64 v3, null, 0, v3, s7
	v_xor_b32_e32 v5, v5, v19
	v_xor_b32_e32 v4, v4, v18
	flat_store_dwordx2 v[2:3], v[4:5]
.LBB1118_307:
	s_or_b32 exec_lo, exec_lo, s10
	v_add_co_u32 v2, s7, v6, v24
	v_add_co_ci_u32_e64 v3, null, v7, v25, s7
	v_add_co_u32 v0, s7, v2, v0
	v_add_co_ci_u32_e64 v1, null, v3, v1, s7
	s_and_saveexec_b32 s7, vcc_lo
	s_cbranch_execnz .LBB1118_340
; %bb.308:
	s_or_b32 exec_lo, exec_lo, s7
	s_and_saveexec_b32 s7, s4
	s_cbranch_execnz .LBB1118_341
.LBB1118_309:
	s_or_b32 exec_lo, exec_lo, s7
	s_and_saveexec_b32 s4, s5
	s_cbranch_execnz .LBB1118_342
.LBB1118_310:
	s_or_b32 exec_lo, exec_lo, s4
	s_and_saveexec_b32 s4, s6
	s_cbranch_execz .LBB1118_312
.LBB1118_311:
	v_add_co_u32 v0, vcc_lo, 0x1800, v0
	v_add_co_ci_u32_e64 v1, null, 0, v1, vcc_lo
	flat_store_dwordx2 v[0:1], v[10:11]
.LBB1118_312:
	s_or_b32 exec_lo, exec_lo, s4
                                        ; implicit-def: $vgpr119
                                        ; implicit-def: $vgpr0
                                        ; implicit-def: $vgpr1
                                        ; implicit-def: $vgpr2
                                        ; implicit-def: $vgpr3
                                        ; implicit-def: $vgpr4
                                        ; implicit-def: $vgpr5
                                        ; implicit-def: $vgpr6
                                        ; implicit-def: $vgpr7
                                        ; implicit-def: $vgpr8
                                        ; implicit-def: $vgpr10
                                        ; implicit-def: $vgpr11
                                        ; implicit-def: $vgpr12
                                        ; implicit-def: $vgpr13
                                        ; implicit-def: $vgpr14
                                        ; implicit-def: $vgpr21
                                        ; implicit-def: $vgpr54
.LBB1118_313:
	s_andn2_saveexec_b32 s4, s25
	s_cbranch_execz .LBB1118_372
; %bb.314:
	s_load_dwordx2 s[4:5], s[8:9], 0x0
	v_mov_b32_e32 v9, 0
	v_lshlrev_b64 v[17:18], 3, v[8:9]
	s_waitcnt lgkmcnt(0)
	s_cmp_lt_u32 s13, s5
	s_cselect_b32 s5, 14, 20
	s_add_u32 s6, s8, s5
	s_addc_u32 s7, s9, 0
	s_cmp_lt_u32 s12, s4
	global_load_ushort v15, v9, s[6:7]
	s_cselect_b32 s4, 12, 18
	s_add_u32 s4, s8, s4
	s_addc_u32 s5, s9, 0
	global_load_ushort v16, v9, s[4:5]
	s_mov_b32 s4, exec_lo
	s_waitcnt vmcnt(1)
	v_mad_u32_u24 v13, v14, v15, v13
	s_waitcnt vmcnt(0)
	v_mad_u64_u32 v[19:20], null, v13, v16, v[21:22]
	v_cmpx_lt_u32_e32 0x100, v119
	s_xor_b32 s20, exec_lo, s4
	s_cbranch_execz .LBB1118_352
; %bb.315:
	v_lshlrev_b32_e32 v8, 1, v19
	v_lshlrev_b32_e32 v20, 3, v54
	v_add_co_u32 v14, vcc_lo, v0, v17
	v_add_co_ci_u32_e64 v15, null, v1, v18, vcc_lo
	v_and_b32_e32 v8, 0xffffffc0, v8
	v_mov_b32_e32 v13, -1
	v_lshlrev_b64 v[0:1], 3, v[8:9]
	v_add_co_u32 v9, vcc_lo, v14, v20
	v_add_co_ci_u32_e64 v14, null, 0, v15, vcc_lo
	v_or_b32_e32 v22, v54, v8
	v_add_co_u32 v8, vcc_lo, v9, v0
	v_add_co_ci_u32_e64 v9, null, v14, v1, vcc_lo
	v_cmp_lt_u32_e32 vcc_lo, v22, v119
	v_mov_b32_e32 v14, v13
	v_mov_b32_e32 v15, v13
	;; [unrolled: 1-line block ×3, first 2 shown]
	s_and_saveexec_b32 s4, vcc_lo
	s_cbranch_execz .LBB1118_317
; %bb.316:
	flat_load_dwordx2 v[23:24], v[8:9]
	v_mov_b32_e32 v25, v13
	v_mov_b32_e32 v26, v13
	s_waitcnt vmcnt(0) lgkmcnt(0)
	v_mov_b32_e32 v13, v23
	v_mov_b32_e32 v14, v24
	;; [unrolled: 1-line block ×4, first 2 shown]
.LBB1118_317:
	s_or_b32 exec_lo, exec_lo, s4
	v_or_b32_e32 v22, 32, v22
	v_cmp_lt_u32_e64 s4, v22, v119
	s_and_saveexec_b32 s5, s4
	s_cbranch_execz .LBB1118_319
; %bb.318:
	flat_load_dwordx2 v[15:16], v[8:9] offset:256
.LBB1118_319:
	s_or_b32 exec_lo, exec_lo, s5
	v_add_co_u32 v4, s5, v4, v17
	v_add_co_ci_u32_e64 v5, null, v5, v18, s5
	v_mov_b32_e32 v28, 0
	v_add_co_u32 v4, s5, v4, v20
	v_add_co_ci_u32_e64 v5, null, 0, v5, s5
	v_mov_b32_e32 v26, 0
	v_add_co_u32 v0, s5, v4, v0
	v_mov_b32_e32 v29, 0
	v_mov_b32_e32 v27, 0
	v_add_co_ci_u32_e64 v1, null, v5, v1, s5
	s_and_saveexec_b32 s5, vcc_lo
	s_cbranch_execz .LBB1118_321
; %bb.320:
	flat_load_dwordx2 v[26:27], v[0:1]
.LBB1118_321:
	s_or_b32 exec_lo, exec_lo, s5
	s_and_saveexec_b32 s5, s4
	s_cbranch_execz .LBB1118_323
; %bb.322:
	flat_load_dwordx2 v[28:29], v[0:1] offset:256
.LBB1118_323:
	s_or_b32 exec_lo, exec_lo, s5
	v_ashrrev_i32_e32 v0, 31, v14
	v_cmp_gt_i64_e32 vcc_lo, 0, v[13:14]
	s_waitcnt vmcnt(0) lgkmcnt(0)
	v_ashrrev_i32_e32 v4, 31, v16
	v_lshl_add_u32 v5, v21, 5, v12
	s_getpc_b64 s[4:5]
	s_add_u32 s4, s4, _ZN7rocprim17ROCPRIM_400000_NS16block_radix_sortIdLj256ELj2ElLj1ELj1ELj8ELNS0_26block_radix_rank_algorithmE2ELNS0_18block_padding_hintE2ELNS0_4arch9wavefront6targetE0EE19radix_bits_per_passE@rel32@lo+4
	s_addc_u32 s5, s5, _ZN7rocprim17ROCPRIM_400000_NS16block_radix_sortIdLj256ELj2ElLj1ELj1ELj8ELNS0_26block_radix_rank_algorithmE2ELNS0_18block_padding_hintE2ELNS0_4arch9wavefront6targetE0EE19radix_bits_per_passE@rel32@hi+12
	v_not_b32_e32 v0, v0
	s_load_dword s21, s[4:5], 0x0
	v_cndmask_b32_e64 v1, 0x7fffffff, 0, vcc_lo
	v_cmp_gt_i64_e32 vcc_lo, 0, v[15:16]
	v_not_b32_e32 v4, v4
	v_xor_b32_e32 v30, v0, v13
	v_and_b32_e32 v0, 0x3e0, v21
	v_xor_b32_e32 v31, v1, v14
	v_add_nc_u32_e32 v20, 40, v5
	v_cndmask_b32_e64 v1, 0x7fffffff, 0, vcc_lo
	v_xor_b32_e32 v13, v4, v15
	v_min_u32_e32 v0, 0xe0, v0
	v_and_b32_e32 v4, 16, v54
	v_add_nc_u32_e32 v15, 32, v5
	v_xor_b32_e32 v14, v1, v16
	v_add_nc_u32_e32 v16, 36, v5
	v_or_b32_e32 v0, 31, v0
	v_add_nc_u32_e32 v32, 44, v5
	v_add_nc_u32_e32 v33, 48, v5
	;; [unrolled: 1-line block ×5, first 2 shown]
	v_sub_co_u32 v5, s6, v54, 1
	v_cmp_eq_u32_e64 s8, 0, v4
	v_cmp_eq_u32_e64 s9, v21, v0
	v_lshrrev_b32_e32 v0, 3, v21
	v_lshlrev_b32_e32 v4, 1, v21
	v_and_b32_e32 v1, 15, v54
	v_cmp_gt_i32_e64 s10, 0, v5
	v_lshrrev_b32_e32 v37, 5, v19
	v_and_b32_e32 v0, 0x7c, v0
	v_and_or_b32 v4, 0x7c0, v4, v54
	v_cmp_eq_u32_e32 vcc_lo, 0, v1
	v_cmp_lt_u32_e64 s4, 1, v1
	v_cmp_lt_u32_e64 s5, 3, v1
	v_cmp_lt_u32_e64 s7, 7, v1
	v_cndmask_b32_e64 v1, v5, v54, s10
	v_and_b32_e32 v5, 7, v54
	v_add_nc_u32_e32 v39, v12, v0
	v_lshl_add_u32 v49, v4, 3, v12
	v_cmp_gt_u32_e64 s10, 8, v21
	v_cmp_lt_u32_e64 s11, 31, v21
	v_lshlrev_b32_e32 v38, 2, v1
	v_cmp_eq_u32_e64 s12, 0, v21
	v_mov_b32_e32 v1, 0
	v_lshl_add_u32 v48, v21, 2, v12
	v_cmp_eq_u32_e64 s13, 0, v5
	v_cmp_lt_u32_e64 s14, 1, v5
	v_cmp_lt_u32_e64 s15, 3, v5
	v_add_nc_u32_e32 v50, -4, v39
	v_add_nc_u32_e32 v51, 0x100, v49
	v_sub_nc_u32_e32 v52, v11, v10
	s_mov_b32 s18, 0
	s_brev_b32 s19, 1
	s_mov_b32 s22, s18
	s_waitcnt lgkmcnt(0)
	s_waitcnt_vscnt null, 0x0
	s_barrier
	buffer_gl0_inv
	s_branch .LBB1118_325
.LBB1118_324:                           ;   in Loop: Header=BB1118_325 Depth=1
	s_or_b32 exec_lo, exec_lo, s17
	s_and_b32 s16, exec_lo, s23
	s_or_b32 s22, s16, s22
	s_andn2_b32 exec_lo, exec_lo, s22
	s_cbranch_execz .LBB1118_343
.LBB1118_325:                           ; =>This Inner Loop Header: Depth=1
	v_mov_b32_e32 v4, v30
	v_mov_b32_e32 v5, v31
	v_min_u32_e32 v0, s21, v52
	ds_write_b32 v15, v1
	ds_write_b32 v16, v1
	;; [unrolled: 1-line block ×5, first 2 shown]
	v_cmp_ne_u64_e64 s16, s[18:19], v[4:5]
	v_lshlrev_b32_e64 v0, v0, -1
	ds_write_b32 v34, v1
	ds_write_b32 v35, v1
	ds_write_b32 v36, v1
	s_waitcnt lgkmcnt(0)
	s_barrier
	v_cndmask_b32_e64 v9, 0x7fffffff, v5, s16
	v_cndmask_b32_e64 v8, -1, v4, s16
	v_not_b32_e32 v30, v0
	buffer_gl0_inv
	; wave barrier
	v_lshrrev_b64 v[8:9], v10, v[8:9]
	v_and_b32_e32 v0, v8, v30
	v_mov_b32_e32 v8, v13
	v_mov_b32_e32 v9, v14
	v_and_b32_e32 v13, 1, v0
	v_lshlrev_b32_e32 v14, 30, v0
	v_lshlrev_b32_e32 v22, 29, v0
	;; [unrolled: 1-line block ×4, first 2 shown]
	v_add_co_u32 v13, s16, v13, -1
	v_cndmask_b32_e64 v24, 0, 1, s16
	v_not_b32_e32 v54, v14
	v_cmp_gt_i32_e64 s17, 0, v14
	v_not_b32_e32 v14, v22
	v_lshlrev_b32_e32 v31, 26, v0
	v_cmp_ne_u32_e64 s16, 0, v24
	v_ashrrev_i32_e32 v54, 31, v54
	v_lshlrev_b32_e32 v53, 25, v0
	v_ashrrev_i32_e32 v14, 31, v14
	v_lshlrev_b32_e32 v24, 24, v0
	v_xor_b32_e32 v13, s16, v13
	v_cmp_gt_i32_e64 s16, 0, v22
	v_not_b32_e32 v22, v23
	v_xor_b32_e32 v54, s17, v54
	v_cmp_gt_i32_e64 s17, 0, v23
	v_and_b32_e32 v13, exec_lo, v13
	v_not_b32_e32 v23, v25
	v_ashrrev_i32_e32 v22, 31, v22
	v_xor_b32_e32 v14, s16, v14
	v_cmp_gt_i32_e64 s16, 0, v25
	v_and_b32_e32 v13, v13, v54
	v_not_b32_e32 v25, v31
	v_ashrrev_i32_e32 v23, 31, v23
	v_xor_b32_e32 v22, s17, v22
	v_cmp_gt_i32_e64 s17, 0, v31
	v_and_b32_e32 v13, v13, v14
	v_not_b32_e32 v14, v53
	v_ashrrev_i32_e32 v25, 31, v25
	v_xor_b32_e32 v23, s16, v23
	v_cmp_gt_i32_e64 s16, 0, v53
	v_and_b32_e32 v13, v13, v22
	v_not_b32_e32 v31, v24
	v_ashrrev_i32_e32 v14, 31, v14
	v_xor_b32_e32 v25, s17, v25
	v_cmp_gt_i32_e64 s17, 0, v24
	v_and_b32_e32 v13, v13, v23
	v_mov_b32_e32 v22, v28
	v_mov_b32_e32 v23, v29
	v_ashrrev_i32_e32 v28, 31, v31
	v_xor_b32_e32 v14, s16, v14
	v_and_b32_e32 v13, v13, v25
	v_mov_b32_e32 v24, v26
	v_mov_b32_e32 v25, v27
	v_xor_b32_e32 v26, s17, v28
	v_lshl_add_u32 v0, v0, 3, v37
	v_and_b32_e32 v13, v13, v14
	v_and_b32_e32 v14, v13, v26
	v_lshlrev_b64 v[26:27], 2, v[0:1]
	v_mbcnt_lo_u32_b32 v0, v14, 0
	v_cmp_ne_u32_e64 s17, 0, v14
	v_add_co_u32 v13, null, v12, v26
	v_cmp_eq_u32_e64 s16, 0, v0
	v_add_co_u32 v13, null, v13, 32
	s_and_b32 s17, s17, s16
	s_and_saveexec_b32 s16, s17
; %bb.326:                              ;   in Loop: Header=BB1118_325 Depth=1
	v_bcnt_u32_b32 v14, v14, 0
	ds_write_b32 v13, v14
; %bb.327:                              ;   in Loop: Header=BB1118_325 Depth=1
	s_or_b32 exec_lo, exec_lo, s16
	v_cmp_ne_u64_e64 s16, s[18:19], v[8:9]
	; wave barrier
	v_cndmask_b32_e64 v27, 0x7fffffff, v9, s16
	v_cndmask_b32_e64 v26, -1, v8, s16
	v_lshrrev_b64 v[26:27], v10, v[26:27]
	v_and_b32_e32 v14, v26, v30
	v_and_b32_e32 v26, 1, v14
	v_lshlrev_b32_e32 v27, 30, v14
	v_lshlrev_b32_e32 v28, 29, v14
	;; [unrolled: 1-line block ×4, first 2 shown]
	v_add_co_u32 v26, s16, v26, -1
	v_cndmask_b32_e64 v30, 0, 1, s16
	v_not_b32_e32 v55, v27
	v_cmp_gt_i32_e64 s17, 0, v27
	v_not_b32_e32 v27, v28
	v_lshlrev_b32_e32 v53, 26, v14
	v_cmp_ne_u32_e64 s16, 0, v30
	v_ashrrev_i32_e32 v55, 31, v55
	v_lshlrev_b32_e32 v54, 25, v14
	v_ashrrev_i32_e32 v27, 31, v27
	v_lshlrev_b32_e32 v30, 24, v14
	v_xor_b32_e32 v26, s16, v26
	v_cmp_gt_i32_e64 s16, 0, v28
	v_not_b32_e32 v28, v29
	v_xor_b32_e32 v55, s17, v55
	v_cmp_gt_i32_e64 s17, 0, v29
	v_and_b32_e32 v26, exec_lo, v26
	v_not_b32_e32 v29, v31
	v_ashrrev_i32_e32 v28, 31, v28
	v_xor_b32_e32 v27, s16, v27
	v_cmp_gt_i32_e64 s16, 0, v31
	v_and_b32_e32 v26, v26, v55
	v_not_b32_e32 v31, v53
	v_ashrrev_i32_e32 v29, 31, v29
	v_xor_b32_e32 v28, s17, v28
	v_cmp_gt_i32_e64 s17, 0, v53
	v_and_b32_e32 v26, v26, v27
	;; [unrolled: 5-line block ×3, first 2 shown]
	v_not_b32_e32 v28, v30
	v_ashrrev_i32_e32 v27, 31, v27
	v_xor_b32_e32 v31, s17, v31
	v_lshl_add_u32 v14, v14, 3, v37
	v_and_b32_e32 v26, v26, v29
	v_cmp_gt_i32_e64 s17, 0, v30
	v_ashrrev_i32_e32 v28, 31, v28
	v_xor_b32_e32 v27, s16, v27
	v_lshl_add_u32 v29, v14, 2, v12
	v_and_b32_e32 v26, v26, v31
	v_xor_b32_e32 v28, s17, v28
	ds_read_b32 v14, v29 offset:32
	v_and_b32_e32 v26, v26, v27
	v_add_nc_u32_e32 v27, 32, v29
	; wave barrier
	v_and_b32_e32 v28, v26, v28
	v_mbcnt_lo_u32_b32 v26, v28, 0
	v_cmp_ne_u32_e64 s17, 0, v28
	v_cmp_eq_u32_e64 s16, 0, v26
	s_and_b32 s17, s17, s16
	s_and_saveexec_b32 s16, s17
	s_cbranch_execz .LBB1118_329
; %bb.328:                              ;   in Loop: Header=BB1118_325 Depth=1
	s_waitcnt lgkmcnt(0)
	v_bcnt_u32_b32 v28, v28, v14
	ds_write_b32 v27, v28
.LBB1118_329:                           ;   in Loop: Header=BB1118_325 Depth=1
	s_or_b32 exec_lo, exec_lo, s16
	; wave barrier
	s_waitcnt lgkmcnt(0)
	s_barrier
	buffer_gl0_inv
	ds_read_b32 v29, v15
	ds_read_b32 v30, v16
	;; [unrolled: 1-line block ×8, first 2 shown]
	s_waitcnt lgkmcnt(6)
	v_add_nc_u32_e32 v65, v30, v29
	s_waitcnt lgkmcnt(4)
	v_add3_u32 v65, v65, v31, v53
	s_waitcnt lgkmcnt(2)
	v_add3_u32 v65, v65, v54, v55
	;; [unrolled: 2-line block ×3, first 2 shown]
	v_mov_b32_dpp v65, v64 row_shr:1 row_mask:0xf bank_mask:0xf
	v_cndmask_b32_e64 v65, v65, 0, vcc_lo
	v_add_nc_u32_e32 v64, v65, v64
	v_mov_b32_dpp v65, v64 row_shr:2 row_mask:0xf bank_mask:0xf
	v_cndmask_b32_e64 v65, 0, v65, s4
	v_add_nc_u32_e32 v64, v64, v65
	v_mov_b32_dpp v65, v64 row_shr:4 row_mask:0xf bank_mask:0xf
	v_cndmask_b32_e64 v65, 0, v65, s5
	v_add_nc_u32_e32 v64, v64, v65
	v_mov_b32_dpp v65, v64 row_shr:8 row_mask:0xf bank_mask:0xf
	v_cndmask_b32_e64 v65, 0, v65, s7
	v_add_nc_u32_e32 v64, v64, v65
	ds_swizzle_b32 v65, v64 offset:swizzle(BROADCAST,32,15)
	s_waitcnt lgkmcnt(0)
	v_cndmask_b32_e64 v65, v65, 0, s8
	v_add_nc_u32_e32 v64, v64, v65
	s_and_saveexec_b32 s16, s9
; %bb.330:                              ;   in Loop: Header=BB1118_325 Depth=1
	ds_write_b32 v39, v64
; %bb.331:                              ;   in Loop: Header=BB1118_325 Depth=1
	s_or_b32 exec_lo, exec_lo, s16
	s_waitcnt lgkmcnt(0)
	s_barrier
	buffer_gl0_inv
	s_and_saveexec_b32 s16, s10
	s_cbranch_execz .LBB1118_333
; %bb.332:                              ;   in Loop: Header=BB1118_325 Depth=1
	ds_read_b32 v65, v48
	s_waitcnt lgkmcnt(0)
	v_mov_b32_dpp v66, v65 row_shr:1 row_mask:0xf bank_mask:0xf
	v_cndmask_b32_e64 v66, v66, 0, s13
	v_add_nc_u32_e32 v65, v66, v65
	v_mov_b32_dpp v66, v65 row_shr:2 row_mask:0xf bank_mask:0xf
	v_cndmask_b32_e64 v66, 0, v66, s14
	v_add_nc_u32_e32 v65, v65, v66
	;; [unrolled: 3-line block ×3, first 2 shown]
	ds_write_b32 v48, v65
.LBB1118_333:                           ;   in Loop: Header=BB1118_325 Depth=1
	s_or_b32 exec_lo, exec_lo, s16
	v_mov_b32_e32 v65, 0
	s_waitcnt lgkmcnt(0)
	s_barrier
	buffer_gl0_inv
	s_and_saveexec_b32 s16, s11
; %bb.334:                              ;   in Loop: Header=BB1118_325 Depth=1
	ds_read_b32 v65, v50
; %bb.335:                              ;   in Loop: Header=BB1118_325 Depth=1
	s_or_b32 exec_lo, exec_lo, s16
	s_waitcnt lgkmcnt(0)
	v_add_nc_u32_e32 v64, v65, v64
	v_add_nc_u32_e32 v10, 8, v10
	s_mov_b32 s23, -1
	s_mov_b32 s17, exec_lo
	ds_bpermute_b32 v64, v38, v64
	s_waitcnt lgkmcnt(0)
	v_cndmask_b32_e64 v64, v64, v65, s6
	v_cndmask_b32_e64 v64, v64, 0, s12
	v_add_nc_u32_e32 v29, v64, v29
	v_add_nc_u32_e32 v30, v29, v30
	ds_write_b32 v15, v64
	ds_write_b32 v16, v29
	;; [unrolled: 1-line block ×3, first 2 shown]
	v_add_nc_u32_e32 v31, v30, v31
	v_add_nc_u32_e32 v53, v31, v53
	;; [unrolled: 1-line block ×5, first 2 shown]
	ds_write_b32 v32, v31
	ds_write_b32 v33, v53
	;; [unrolled: 1-line block ×5, first 2 shown]
	s_waitcnt lgkmcnt(0)
	s_barrier
	buffer_gl0_inv
	ds_read_b32 v13, v13
	ds_read_b32 v28, v27
	v_mov_b32_e32 v27, v1
	s_waitcnt lgkmcnt(0)
                                        ; implicit-def: $vgpr30_vgpr31
	v_add_nc_u32_e32 v0, v13, v0
	v_add3_u32 v26, v26, v14, v28
                                        ; implicit-def: $vgpr28_vgpr29
	v_lshlrev_b64 v[13:14], 3, v[0:1]
	v_lshlrev_b64 v[26:27], 3, v[26:27]
	v_add_co_u32 v0, null, v12, v13
	v_add_co_u32 v53, null, v12, v26
                                        ; implicit-def: $vgpr13_vgpr14
                                        ; implicit-def: $vgpr26_vgpr27
	v_cmpx_lt_u32_e64 v10, v11
	s_cbranch_execz .LBB1118_324
; %bb.336:                              ;   in Loop: Header=BB1118_325 Depth=1
	s_barrier
	buffer_gl0_inv
	ds_write_b64 v0, v[4:5]
	ds_write_b64 v53, v[8:9]
	s_waitcnt lgkmcnt(0)
	s_barrier
	buffer_gl0_inv
	ds_read_b64 v[30:31], v49
	ds_read_b64 v[13:14], v51
	s_waitcnt lgkmcnt(0)
	s_barrier
	buffer_gl0_inv
	ds_write_b64 v0, v[24:25]
	ds_write_b64 v53, v[22:23]
	s_waitcnt lgkmcnt(0)
	s_barrier
	buffer_gl0_inv
	ds_read_b64 v[26:27], v49
	ds_read_b64 v[28:29], v51
	v_add_nc_u32_e32 v52, -8, v52
	s_xor_b32 s23, exec_lo, -1
	s_waitcnt lgkmcnt(0)
	s_barrier
	buffer_gl0_inv
	s_branch .LBB1118_324
.LBB1118_337:
	flat_load_dwordx2 v[33:34], v[0:1]
	s_or_b32 exec_lo, exec_lo, s7
                                        ; implicit-def: $vgpr35_vgpr36
	s_and_saveexec_b32 s7, s4
	s_cbranch_execz .LBB1118_264
.LBB1118_338:
	flat_load_dwordx2 v[35:36], v[0:1] offset:256
	s_or_b32 exec_lo, exec_lo, s7
                                        ; implicit-def: $vgpr22_vgpr23
	s_and_saveexec_b32 s4, s5
	s_cbranch_execz .LBB1118_265
.LBB1118_339:
	flat_load_dwordx2 v[22:23], v[0:1] offset:512
	s_or_b32 exec_lo, exec_lo, s4
                                        ; implicit-def: $vgpr31_vgpr32
	s_and_saveexec_b32 s4, s6
	s_cbranch_execnz .LBB1118_266
	s_branch .LBB1118_267
.LBB1118_340:
	flat_store_dwordx2 v[0:1], v[12:13]
	s_or_b32 exec_lo, exec_lo, s7
	s_and_saveexec_b32 s7, s4
	s_cbranch_execz .LBB1118_309
.LBB1118_341:
	v_add_co_u32 v2, vcc_lo, 0x800, v0
	v_add_co_ci_u32_e64 v3, null, 0, v1, vcc_lo
	flat_store_dwordx2 v[2:3], v[14:15]
	s_or_b32 exec_lo, exec_lo, s7
	s_and_saveexec_b32 s4, s5
	s_cbranch_execz .LBB1118_310
.LBB1118_342:
	v_add_co_u32 v2, vcc_lo, 0x1000, v0
	v_add_co_ci_u32_e64 v3, null, 0, v1, vcc_lo
	flat_store_dwordx2 v[2:3], v[8:9]
	s_or_b32 exec_lo, exec_lo, s4
	s_and_saveexec_b32 s4, s6
	s_cbranch_execnz .LBB1118_311
	s_branch .LBB1118_312
.LBB1118_343:
	s_or_b32 exec_lo, exec_lo, s22
	v_lshl_add_u32 v1, v21, 3, v12
	s_barrier
	buffer_gl0_inv
	ds_write_b64 v0, v[4:5]
	ds_write_b64 v53, v[8:9]
	s_waitcnt lgkmcnt(0)
	s_barrier
	buffer_gl0_inv
	ds_read2st64_b64 v[12:15], v1 offset1:4
	s_waitcnt lgkmcnt(0)
	s_barrier
	buffer_gl0_inv
	ds_write_b64 v0, v[24:25]
	ds_write_b64 v53, v[22:23]
	s_waitcnt lgkmcnt(0)
	s_barrier
	buffer_gl0_inv
	ds_read2st64_b64 v[8:11], v1 offset1:4
	v_mov_b32_e32 v20, 0
	v_add_co_u32 v2, vcc_lo, v2, v17
	v_add_co_ci_u32_e64 v3, null, v3, v18, vcc_lo
	v_lshlrev_b64 v[0:1], 3, v[19:20]
	s_waitcnt lgkmcnt(0)
	s_barrier
	buffer_gl0_inv
	v_add_co_u32 v2, vcc_lo, v2, v0
	v_add_co_ci_u32_e64 v3, null, v3, v1, vcc_lo
	v_cmp_lt_u32_e32 vcc_lo, v19, v119
	s_and_saveexec_b32 s5, vcc_lo
	s_cbranch_execz .LBB1118_345
; %bb.344:
	v_cmp_gt_i64_e64 s4, 0, v[12:13]
	v_ashrrev_i32_e32 v4, 31, v13
	v_not_b32_e32 v4, v4
	v_cndmask_b32_e64 v5, 0x7fffffff, 0, s4
	v_xor_b32_e32 v4, v4, v12
	v_xor_b32_e32 v5, v5, v13
	flat_store_dwordx2 v[2:3], v[4:5]
.LBB1118_345:
	s_or_b32 exec_lo, exec_lo, s5
	v_add_nc_u32_e32 v4, 0x100, v19
	v_cmp_lt_u32_e64 s4, v4, v119
	s_and_saveexec_b32 s6, s4
	s_cbranch_execz .LBB1118_347
; %bb.346:
	v_cmp_gt_i64_e64 s5, 0, v[14:15]
	v_ashrrev_i32_e32 v4, 31, v15
	v_not_b32_e32 v4, v4
	v_cndmask_b32_e64 v5, 0x7fffffff, 0, s5
	v_add_co_u32 v2, s5, 0x800, v2
	v_add_co_ci_u32_e64 v3, null, 0, v3, s5
	v_xor_b32_e32 v5, v5, v15
	v_xor_b32_e32 v4, v4, v14
	flat_store_dwordx2 v[2:3], v[4:5]
.LBB1118_347:
	s_or_b32 exec_lo, exec_lo, s6
	v_add_co_u32 v2, s5, v6, v17
	v_add_co_ci_u32_e64 v3, null, v7, v18, s5
	v_add_co_u32 v0, s5, v2, v0
	v_add_co_ci_u32_e64 v1, null, v3, v1, s5
	s_and_saveexec_b32 s5, vcc_lo
	s_cbranch_execz .LBB1118_349
; %bb.348:
	flat_store_dwordx2 v[0:1], v[8:9]
.LBB1118_349:
	s_or_b32 exec_lo, exec_lo, s5
	s_and_saveexec_b32 s5, s4
	s_cbranch_execz .LBB1118_351
; %bb.350:
	v_add_co_u32 v0, vcc_lo, 0x800, v0
	v_add_co_ci_u32_e64 v1, null, 0, v1, vcc_lo
	flat_store_dwordx2 v[0:1], v[10:11]
.LBB1118_351:
	s_or_b32 exec_lo, exec_lo, s5
                                        ; implicit-def: $vgpr19_vgpr20
                                        ; implicit-def: $vgpr17_vgpr18
                                        ; implicit-def: $vgpr119
                                        ; implicit-def: $vgpr0
                                        ; implicit-def: $vgpr1
                                        ; implicit-def: $vgpr2
                                        ; implicit-def: $vgpr3
                                        ; implicit-def: $vgpr4
                                        ; implicit-def: $vgpr5
                                        ; implicit-def: $vgpr6
                                        ; implicit-def: $vgpr7
                                        ; implicit-def: $vgpr10
                                        ; implicit-def: $vgpr11
                                        ; implicit-def: $vgpr12
                                        ; implicit-def: $vgpr21
                                        ; implicit-def: $vgpr54
.LBB1118_352:
	s_andn2_saveexec_b32 s4, s20
	s_cbranch_execz .LBB1118_372
; %bb.353:
	v_and_b32_e32 v15, 0xffffffe0, v19
	v_mov_b32_e32 v13, -1
	v_mov_b32_e32 v14, -1
	v_lshlrev_b32_e32 v20, 3, v54
	v_or_b32_e32 v8, v54, v15
	v_cmp_lt_u32_e32 vcc_lo, v8, v119
	s_and_saveexec_b32 s5, vcc_lo
	s_cbranch_execz .LBB1118_355
; %bb.354:
	v_mov_b32_e32 v16, 0
	v_add_co_u32 v8, s4, v0, v17
	v_add_co_ci_u32_e64 v9, null, v1, v18, s4
	v_lshlrev_b64 v[0:1], 3, v[15:16]
	v_add_co_u32 v8, s4, v8, v20
	v_add_co_ci_u32_e64 v9, null, 0, v9, s4
	v_add_co_u32 v0, s4, v8, v0
	v_add_co_ci_u32_e64 v1, null, v9, v1, s4
	flat_load_dwordx2 v[13:14], v[0:1]
.LBB1118_355:
	s_or_b32 exec_lo, exec_lo, s5
                                        ; implicit-def: $vgpr8_vgpr9
	s_and_saveexec_b32 s4, vcc_lo
	s_cbranch_execz .LBB1118_357
; %bb.356:
	v_mov_b32_e32 v16, 0
	v_add_co_u32 v4, vcc_lo, v4, v17
	v_add_co_ci_u32_e64 v5, null, v5, v18, vcc_lo
	v_lshlrev_b64 v[0:1], 3, v[15:16]
	v_add_co_u32 v4, vcc_lo, v4, v20
	v_add_co_ci_u32_e64 v5, null, 0, v5, vcc_lo
	v_add_co_u32 v0, vcc_lo, v4, v0
	v_add_co_ci_u32_e64 v1, null, v5, v1, vcc_lo
	flat_load_dwordx2 v[8:9], v[0:1]
.LBB1118_357:
	s_or_b32 exec_lo, exec_lo, s4
	s_waitcnt vmcnt(0) lgkmcnt(0)
	v_cmp_gt_i64_e32 vcc_lo, 0, v[13:14]
	v_ashrrev_i32_e32 v0, 31, v14
	v_lshl_add_u32 v4, v21, 5, v12
	s_getpc_b64 s[4:5]
	s_add_u32 s4, s4, _ZN7rocprim17ROCPRIM_400000_NS16block_radix_sortIdLj256ELj1ElLj1ELj1ELj8ELNS0_26block_radix_rank_algorithmE2ELNS0_18block_padding_hintE2ELNS0_4arch9wavefront6targetE0EE19radix_bits_per_passE@rel32@lo+4
	s_addc_u32 s5, s5, _ZN7rocprim17ROCPRIM_400000_NS16block_radix_sortIdLj256ELj1ElLj1ELj1ELj8ELNS0_26block_radix_rank_algorithmE2ELNS0_18block_padding_hintE2ELNS0_4arch9wavefront6targetE0EE19radix_bits_per_passE@rel32@hi+12
	v_and_b32_e32 v5, 16, v54
	s_load_dword s20, s[4:5], 0x0
	v_cndmask_b32_e64 v1, 0x7fffffff, 0, vcc_lo
	v_not_b32_e32 v0, v0
	v_add_nc_u32_e32 v20, 32, v4
	v_add_nc_u32_e32 v22, 36, v4
	;; [unrolled: 1-line block ×8, first 2 shown]
	v_and_b32_e32 v4, 0x3e0, v21
	v_xor_b32_e32 v16, v1, v14
	v_xor_b32_e32 v15, v0, v13
	v_and_b32_e32 v0, 15, v54
	v_sub_co_u32 v13, s6, v54, 1
	v_min_u32_e32 v1, 0xe0, v4
	v_cmp_eq_u32_e64 s8, 0, v5
	v_cmp_eq_u32_e32 vcc_lo, 0, v0
	v_cmp_lt_u32_e64 s4, 1, v0
	v_cmp_lt_u32_e64 s5, 3, v0
	;; [unrolled: 1-line block ×3, first 2 shown]
	v_or_b32_e32 v0, 31, v1
	v_lshrrev_b32_e32 v1, 3, v21
	v_cmp_gt_i32_e64 s9, 0, v13
	v_lshrrev_b32_e32 v29, 5, v19
	v_cmp_gt_u32_e64 s10, 8, v21
	v_cmp_lt_u32_e64 s11, 31, v21
	v_cmp_eq_u32_e64 s12, 0, v21
	v_cndmask_b32_e64 v5, v13, v54, s9
	v_cmp_eq_u32_e64 s9, v21, v0
	v_and_b32_e32 v0, 0x7c, v1
	v_mov_b32_e32 v1, 0
	v_lshl_add_u32 v32, v21, 2, v12
	v_lshlrev_b32_e32 v30, 2, v5
	v_and_b32_e32 v5, 7, v54
	v_add_nc_u32_e32 v31, v12, v0
	v_or_b32_e32 v0, v54, v4
	v_sub_nc_u32_e32 v35, v11, v10
	s_mov_b32 s18, 0
	v_cmp_eq_u32_e64 s13, 0, v5
	v_cmp_lt_u32_e64 s14, 1, v5
	v_cmp_lt_u32_e64 s15, 3, v5
	v_add_nc_u32_e32 v33, -4, v31
	v_lshl_add_u32 v34, v0, 3, v12
	s_brev_b32 s19, 1
	s_mov_b32 s21, s18
	s_waitcnt lgkmcnt(0)
	s_waitcnt_vscnt null, 0x0
	s_barrier
	buffer_gl0_inv
	s_branch .LBB1118_359
.LBB1118_358:                           ;   in Loop: Header=BB1118_359 Depth=1
	s_or_b32 exec_lo, exec_lo, s17
	s_and_b32 s16, exec_lo, s22
	s_or_b32 s21, s16, s21
	s_andn2_b32 exec_lo, exec_lo, s21
	s_cbranch_execz .LBB1118_369
.LBB1118_359:                           ; =>This Inner Loop Header: Depth=1
	v_mov_b32_e32 v4, v15
	v_mov_b32_e32 v5, v16
	v_min_u32_e32 v0, s20, v35
	ds_write_b32 v20, v1
	ds_write_b32 v22, v1
	;; [unrolled: 1-line block ×5, first 2 shown]
	v_cmp_ne_u64_e64 s16, s[18:19], v[4:5]
	ds_write_b32 v26, v1
	ds_write_b32 v27, v1
	;; [unrolled: 1-line block ×3, first 2 shown]
	s_waitcnt lgkmcnt(0)
	s_barrier
	buffer_gl0_inv
	v_cndmask_b32_e64 v14, 0x7fffffff, v5, s16
	v_cndmask_b32_e64 v13, -1, v4, s16
	; wave barrier
	v_lshrrev_b64 v[13:14], v10, v[13:14]
	v_bfe_u32 v0, v13, 0, v0
	v_and_b32_e32 v13, 1, v0
	v_lshlrev_b32_e32 v14, 30, v0
	v_lshlrev_b32_e32 v15, 29, v0
	;; [unrolled: 1-line block ×4, first 2 shown]
	v_add_co_u32 v13, s16, v13, -1
	v_cndmask_b32_e64 v36, 0, 1, s16
	v_not_b32_e32 v48, v14
	v_cmp_gt_i32_e64 s17, 0, v14
	v_not_b32_e32 v14, v15
	v_lshlrev_b32_e32 v38, 26, v0
	v_cmp_ne_u32_e64 s16, 0, v36
	v_ashrrev_i32_e32 v48, 31, v48
	v_lshlrev_b32_e32 v39, 25, v0
	v_ashrrev_i32_e32 v14, 31, v14
	v_lshlrev_b32_e32 v36, 24, v0
	v_xor_b32_e32 v13, s16, v13
	v_cmp_gt_i32_e64 s16, 0, v15
	v_not_b32_e32 v15, v16
	v_xor_b32_e32 v48, s17, v48
	v_cmp_gt_i32_e64 s17, 0, v16
	v_and_b32_e32 v13, exec_lo, v13
	v_not_b32_e32 v16, v37
	v_ashrrev_i32_e32 v15, 31, v15
	v_xor_b32_e32 v14, s16, v14
	v_cmp_gt_i32_e64 s16, 0, v37
	v_and_b32_e32 v13, v13, v48
	v_not_b32_e32 v37, v38
	v_ashrrev_i32_e32 v16, 31, v16
	v_xor_b32_e32 v15, s17, v15
	v_cmp_gt_i32_e64 s17, 0, v38
	v_and_b32_e32 v13, v13, v14
	;; [unrolled: 5-line block ×4, first 2 shown]
	v_ashrrev_i32_e32 v15, 31, v15
	v_xor_b32_e32 v16, s16, v14
	v_lshl_add_u32 v0, v0, 3, v29
	v_and_b32_e32 v36, v13, v37
	v_mov_b32_e32 v14, v9
	v_mov_b32_e32 v13, v8
	v_xor_b32_e32 v8, s17, v15
	v_and_b32_e32 v9, v36, v16
	v_lshlrev_b64 v[15:16], 2, v[0:1]
	v_and_b32_e32 v9, v9, v8
	v_add_co_u32 v8, null, v12, v15
	v_mbcnt_lo_u32_b32 v0, v9, 0
	v_cmp_ne_u32_e64 s17, 0, v9
	v_add_co_u32 v8, null, v8, 32
	v_cmp_eq_u32_e64 s16, 0, v0
	s_and_b32 s17, s17, s16
	s_and_saveexec_b32 s16, s17
; %bb.360:                              ;   in Loop: Header=BB1118_359 Depth=1
	v_bcnt_u32_b32 v9, v9, 0
	ds_write_b32 v8, v9
; %bb.361:                              ;   in Loop: Header=BB1118_359 Depth=1
	s_or_b32 exec_lo, exec_lo, s16
	; wave barrier
	s_waitcnt lgkmcnt(0)
	s_barrier
	buffer_gl0_inv
	ds_read_b32 v15, v20
	ds_read_b32 v16, v22
	;; [unrolled: 1-line block ×8, first 2 shown]
	s_waitcnt lgkmcnt(6)
	v_add_nc_u32_e32 v49, v16, v15
	s_waitcnt lgkmcnt(4)
	v_add3_u32 v49, v49, v36, v37
	s_waitcnt lgkmcnt(2)
	v_add3_u32 v49, v49, v38, v39
	;; [unrolled: 2-line block ×3, first 2 shown]
	v_mov_b32_dpp v49, v48 row_shr:1 row_mask:0xf bank_mask:0xf
	v_cndmask_b32_e64 v49, v49, 0, vcc_lo
	v_add_nc_u32_e32 v48, v49, v48
	v_mov_b32_dpp v49, v48 row_shr:2 row_mask:0xf bank_mask:0xf
	v_cndmask_b32_e64 v49, 0, v49, s4
	v_add_nc_u32_e32 v48, v48, v49
	v_mov_b32_dpp v49, v48 row_shr:4 row_mask:0xf bank_mask:0xf
	v_cndmask_b32_e64 v49, 0, v49, s5
	;; [unrolled: 3-line block ×3, first 2 shown]
	v_add_nc_u32_e32 v48, v48, v49
	ds_swizzle_b32 v49, v48 offset:swizzle(BROADCAST,32,15)
	s_waitcnt lgkmcnt(0)
	v_cndmask_b32_e64 v49, v49, 0, s8
	v_add_nc_u32_e32 v48, v48, v49
	s_and_saveexec_b32 s16, s9
; %bb.362:                              ;   in Loop: Header=BB1118_359 Depth=1
	ds_write_b32 v31, v48
; %bb.363:                              ;   in Loop: Header=BB1118_359 Depth=1
	s_or_b32 exec_lo, exec_lo, s16
	s_waitcnt lgkmcnt(0)
	s_barrier
	buffer_gl0_inv
	s_and_saveexec_b32 s16, s10
	s_cbranch_execz .LBB1118_365
; %bb.364:                              ;   in Loop: Header=BB1118_359 Depth=1
	ds_read_b32 v49, v32
	s_waitcnt lgkmcnt(0)
	v_mov_b32_dpp v50, v49 row_shr:1 row_mask:0xf bank_mask:0xf
	v_cndmask_b32_e64 v50, v50, 0, s13
	v_add_nc_u32_e32 v49, v50, v49
	v_mov_b32_dpp v50, v49 row_shr:2 row_mask:0xf bank_mask:0xf
	v_cndmask_b32_e64 v50, 0, v50, s14
	v_add_nc_u32_e32 v49, v49, v50
	;; [unrolled: 3-line block ×3, first 2 shown]
	ds_write_b32 v32, v49
.LBB1118_365:                           ;   in Loop: Header=BB1118_359 Depth=1
	s_or_b32 exec_lo, exec_lo, s16
	v_mov_b32_e32 v49, 0
	s_waitcnt lgkmcnt(0)
	s_barrier
	buffer_gl0_inv
	s_and_saveexec_b32 s16, s11
; %bb.366:                              ;   in Loop: Header=BB1118_359 Depth=1
	ds_read_b32 v49, v33
; %bb.367:                              ;   in Loop: Header=BB1118_359 Depth=1
	s_or_b32 exec_lo, exec_lo, s16
	s_waitcnt lgkmcnt(0)
	v_add_nc_u32_e32 v48, v49, v48
	v_add_nc_u32_e32 v10, 8, v10
	s_mov_b32 s22, -1
	s_mov_b32 s17, exec_lo
	ds_bpermute_b32 v48, v30, v48
	s_waitcnt lgkmcnt(0)
	v_cndmask_b32_e64 v48, v48, v49, s6
	v_cndmask_b32_e64 v48, v48, 0, s12
	v_add_nc_u32_e32 v15, v48, v15
	v_add_nc_u32_e32 v16, v15, v16
	ds_write_b32 v20, v48
	ds_write_b32 v22, v15
	;; [unrolled: 1-line block ×3, first 2 shown]
	v_add_nc_u32_e32 v36, v16, v36
                                        ; implicit-def: $vgpr15_vgpr16
	v_add_nc_u32_e32 v37, v36, v37
	v_add_nc_u32_e32 v38, v37, v38
	;; [unrolled: 1-line block ×4, first 2 shown]
	ds_write_b32 v24, v36
	ds_write_b32 v25, v37
	;; [unrolled: 1-line block ×5, first 2 shown]
	s_waitcnt lgkmcnt(0)
	s_barrier
	buffer_gl0_inv
	ds_read_b32 v8, v8
	s_waitcnt lgkmcnt(0)
	v_add_nc_u32_e32 v0, v8, v0
	v_lshlrev_b64 v[8:9], 3, v[0:1]
	v_add_co_u32 v36, null, v12, v8
                                        ; implicit-def: $vgpr8_vgpr9
	v_cmpx_lt_u32_e64 v10, v11
	s_cbranch_execz .LBB1118_358
; %bb.368:                              ;   in Loop: Header=BB1118_359 Depth=1
	s_barrier
	buffer_gl0_inv
	ds_write_b64 v36, v[4:5]
	s_waitcnt lgkmcnt(0)
	s_barrier
	buffer_gl0_inv
	ds_read_b64 v[15:16], v34
	s_waitcnt lgkmcnt(0)
	s_barrier
	buffer_gl0_inv
	ds_write_b64 v36, v[13:14]
	s_waitcnt lgkmcnt(0)
	s_barrier
	buffer_gl0_inv
	ds_read_b64 v[8:9], v34
	v_add_nc_u32_e32 v35, -8, v35
	s_xor_b32 s22, exec_lo, -1
	s_waitcnt lgkmcnt(0)
	s_barrier
	buffer_gl0_inv
	s_branch .LBB1118_358
.LBB1118_369:
	s_or_b32 exec_lo, exec_lo, s21
	v_lshl_add_u32 v8, v21, 3, v12
	s_barrier
	buffer_gl0_inv
	ds_write_b64 v36, v[4:5]
	s_waitcnt lgkmcnt(0)
	s_barrier
	buffer_gl0_inv
	ds_read_b64 v[0:1], v8
	s_waitcnt lgkmcnt(0)
	s_barrier
	buffer_gl0_inv
	ds_write_b64 v36, v[13:14]
	s_waitcnt lgkmcnt(0)
	s_barrier
	buffer_gl0_inv
	ds_read_b64 v[4:5], v8
	s_mov_b32 s4, exec_lo
	s_waitcnt lgkmcnt(0)
	s_barrier
	buffer_gl0_inv
	v_cmpx_lt_u32_e64 v19, v119
	s_cbranch_execz .LBB1118_371
; %bb.370:
	v_mov_b32_e32 v20, 0
	v_add_co_u32 v2, vcc_lo, v2, v17
	v_add_co_ci_u32_e64 v3, null, v3, v18, vcc_lo
	v_lshlrev_b64 v[8:9], 3, v[19:20]
	v_cmp_gt_i64_e32 vcc_lo, 0, v[0:1]
	v_ashrrev_i32_e32 v11, 31, v1
	v_cndmask_b32_e64 v10, 0x7fffffff, 0, vcc_lo
	v_add_co_u32 v2, vcc_lo, v2, v8
	v_add_co_ci_u32_e64 v3, null, v3, v9, vcc_lo
	v_add_co_u32 v6, vcc_lo, v6, v17
	v_not_b32_e32 v11, v11
	v_add_co_ci_u32_e64 v7, null, v7, v18, vcc_lo
	v_add_co_u32 v6, vcc_lo, v6, v8
	v_xor_b32_e32 v1, v10, v1
	v_xor_b32_e32 v0, v11, v0
	v_add_co_ci_u32_e64 v7, null, v7, v9, vcc_lo
	flat_store_dwordx2 v[2:3], v[0:1]
	flat_store_dwordx2 v[6:7], v[4:5]
.LBB1118_371:
	s_or_b32 exec_lo, exec_lo, s4
.LBB1118_372:
	s_or_b32 exec_lo, exec_lo, s24
	s_clause 0x2a
	buffer_load_dword v122, off, s[0:3], s32
	buffer_load_dword v121, off, s[0:3], s32 offset:4
	buffer_load_dword v120, off, s[0:3], s32 offset:8
	;; [unrolled: 1-line block ×42, first 2 shown]
	s_waitcnt vmcnt(0) lgkmcnt(0)
	s_setpc_b64 s[30:31]
.Lfunc_end1118:
	.size	_ZN7rocprim17ROCPRIM_400000_NS6detail40segmented_radix_sort_single_block_helperIdlLj256ELj16ELb1EE4sortIPKdPdPKlPlEEbT_T0_T1_T2_jjjjRNS3_12storage_typeE, .Lfunc_end1118-_ZN7rocprim17ROCPRIM_400000_NS6detail40segmented_radix_sort_single_block_helperIdlLj256ELj16ELb1EE4sortIPKdPdPKlPlEEbT_T0_T1_T2_jjjjRNS3_12storage_typeE
                                        ; -- End function
	.set .L_ZN7rocprim17ROCPRIM_400000_NS6detail40segmented_radix_sort_single_block_helperIdlLj256ELj16ELb1EE4sortIPKdPdPKlPlEEbT_T0_T1_T2_jjjjRNS3_12storage_typeE.num_vgpr, 248
	.set .L_ZN7rocprim17ROCPRIM_400000_NS6detail40segmented_radix_sort_single_block_helperIdlLj256ELj16ELb1EE4sortIPKdPdPKlPlEEbT_T0_T1_T2_jjjjRNS3_12storage_typeE.num_agpr, 0
	.set .L_ZN7rocprim17ROCPRIM_400000_NS6detail40segmented_radix_sort_single_block_helperIdlLj256ELj16ELb1EE4sortIPKdPdPKlPlEEbT_T0_T1_T2_jjjjRNS3_12storage_typeE.numbered_sgpr, 33
	.set .L_ZN7rocprim17ROCPRIM_400000_NS6detail40segmented_radix_sort_single_block_helperIdlLj256ELj16ELb1EE4sortIPKdPdPKlPlEEbT_T0_T1_T2_jjjjRNS3_12storage_typeE.num_named_barrier, 0
	.set .L_ZN7rocprim17ROCPRIM_400000_NS6detail40segmented_radix_sort_single_block_helperIdlLj256ELj16ELb1EE4sortIPKdPdPKlPlEEbT_T0_T1_T2_jjjjRNS3_12storage_typeE.private_seg_size, 176
	.set .L_ZN7rocprim17ROCPRIM_400000_NS6detail40segmented_radix_sort_single_block_helperIdlLj256ELj16ELb1EE4sortIPKdPdPKlPlEEbT_T0_T1_T2_jjjjRNS3_12storage_typeE.uses_vcc, 1
	.set .L_ZN7rocprim17ROCPRIM_400000_NS6detail40segmented_radix_sort_single_block_helperIdlLj256ELj16ELb1EE4sortIPKdPdPKlPlEEbT_T0_T1_T2_jjjjRNS3_12storage_typeE.uses_flat_scratch, 0
	.set .L_ZN7rocprim17ROCPRIM_400000_NS6detail40segmented_radix_sort_single_block_helperIdlLj256ELj16ELb1EE4sortIPKdPdPKlPlEEbT_T0_T1_T2_jjjjRNS3_12storage_typeE.has_dyn_sized_stack, 0
	.set .L_ZN7rocprim17ROCPRIM_400000_NS6detail40segmented_radix_sort_single_block_helperIdlLj256ELj16ELb1EE4sortIPKdPdPKlPlEEbT_T0_T1_T2_jjjjRNS3_12storage_typeE.has_recursion, 0
	.set .L_ZN7rocprim17ROCPRIM_400000_NS6detail40segmented_radix_sort_single_block_helperIdlLj256ELj16ELb1EE4sortIPKdPdPKlPlEEbT_T0_T1_T2_jjjjRNS3_12storage_typeE.has_indirect_call, 0
	.section	.AMDGPU.csdata,"",@progbits
; Function info:
; codeLenInByte = 30544
; TotalNumSgprs: 35
; NumVgprs: 248
; ScratchSize: 176
; MemoryBound: 1
	.section	.text._ZN7rocprim17ROCPRIM_400000_NS6detail17trampoline_kernelINS0_14default_configENS1_36segmented_radix_sort_config_selectorIdlEEZNS1_25segmented_radix_sort_implIS3_Lb1EPKdPdPKlPlN2at6native12_GLOBAL__N_18offset_tEEE10hipError_tPvRmT1_PNSt15iterator_traitsISK_E10value_typeET2_T3_PNSL_ISQ_E10value_typeET4_jRbjT5_SW_jjP12ihipStream_tbEUlT_E_NS1_11comp_targetILNS1_3genE8ELNS1_11target_archE1030ELNS1_3gpuE2ELNS1_3repE0EEENS1_30default_config_static_selectorELNS0_4arch9wavefront6targetE0EEEvSK_,"axG",@progbits,_ZN7rocprim17ROCPRIM_400000_NS6detail17trampoline_kernelINS0_14default_configENS1_36segmented_radix_sort_config_selectorIdlEEZNS1_25segmented_radix_sort_implIS3_Lb1EPKdPdPKlPlN2at6native12_GLOBAL__N_18offset_tEEE10hipError_tPvRmT1_PNSt15iterator_traitsISK_E10value_typeET2_T3_PNSL_ISQ_E10value_typeET4_jRbjT5_SW_jjP12ihipStream_tbEUlT_E_NS1_11comp_targetILNS1_3genE8ELNS1_11target_archE1030ELNS1_3gpuE2ELNS1_3repE0EEENS1_30default_config_static_selectorELNS0_4arch9wavefront6targetE0EEEvSK_,comdat
	.globl	_ZN7rocprim17ROCPRIM_400000_NS6detail17trampoline_kernelINS0_14default_configENS1_36segmented_radix_sort_config_selectorIdlEEZNS1_25segmented_radix_sort_implIS3_Lb1EPKdPdPKlPlN2at6native12_GLOBAL__N_18offset_tEEE10hipError_tPvRmT1_PNSt15iterator_traitsISK_E10value_typeET2_T3_PNSL_ISQ_E10value_typeET4_jRbjT5_SW_jjP12ihipStream_tbEUlT_E_NS1_11comp_targetILNS1_3genE8ELNS1_11target_archE1030ELNS1_3gpuE2ELNS1_3repE0EEENS1_30default_config_static_selectorELNS0_4arch9wavefront6targetE0EEEvSK_ ; -- Begin function _ZN7rocprim17ROCPRIM_400000_NS6detail17trampoline_kernelINS0_14default_configENS1_36segmented_radix_sort_config_selectorIdlEEZNS1_25segmented_radix_sort_implIS3_Lb1EPKdPdPKlPlN2at6native12_GLOBAL__N_18offset_tEEE10hipError_tPvRmT1_PNSt15iterator_traitsISK_E10value_typeET2_T3_PNSL_ISQ_E10value_typeET4_jRbjT5_SW_jjP12ihipStream_tbEUlT_E_NS1_11comp_targetILNS1_3genE8ELNS1_11target_archE1030ELNS1_3gpuE2ELNS1_3repE0EEENS1_30default_config_static_selectorELNS0_4arch9wavefront6targetE0EEEvSK_
	.p2align	8
	.type	_ZN7rocprim17ROCPRIM_400000_NS6detail17trampoline_kernelINS0_14default_configENS1_36segmented_radix_sort_config_selectorIdlEEZNS1_25segmented_radix_sort_implIS3_Lb1EPKdPdPKlPlN2at6native12_GLOBAL__N_18offset_tEEE10hipError_tPvRmT1_PNSt15iterator_traitsISK_E10value_typeET2_T3_PNSL_ISQ_E10value_typeET4_jRbjT5_SW_jjP12ihipStream_tbEUlT_E_NS1_11comp_targetILNS1_3genE8ELNS1_11target_archE1030ELNS1_3gpuE2ELNS1_3repE0EEENS1_30default_config_static_selectorELNS0_4arch9wavefront6targetE0EEEvSK_,@function
_ZN7rocprim17ROCPRIM_400000_NS6detail17trampoline_kernelINS0_14default_configENS1_36segmented_radix_sort_config_selectorIdlEEZNS1_25segmented_radix_sort_implIS3_Lb1EPKdPdPKlPlN2at6native12_GLOBAL__N_18offset_tEEE10hipError_tPvRmT1_PNSt15iterator_traitsISK_E10value_typeET2_T3_PNSL_ISQ_E10value_typeET4_jRbjT5_SW_jjP12ihipStream_tbEUlT_E_NS1_11comp_targetILNS1_3genE8ELNS1_11target_archE1030ELNS1_3gpuE2ELNS1_3repE0EEENS1_30default_config_static_selectorELNS0_4arch9wavefront6targetE0EEEvSK_: ; @_ZN7rocprim17ROCPRIM_400000_NS6detail17trampoline_kernelINS0_14default_configENS1_36segmented_radix_sort_config_selectorIdlEEZNS1_25segmented_radix_sort_implIS3_Lb1EPKdPdPKlPlN2at6native12_GLOBAL__N_18offset_tEEE10hipError_tPvRmT1_PNSt15iterator_traitsISK_E10value_typeET2_T3_PNSL_ISQ_E10value_typeET4_jRbjT5_SW_jjP12ihipStream_tbEUlT_E_NS1_11comp_targetILNS1_3genE8ELNS1_11target_archE1030ELNS1_3gpuE2ELNS1_3repE0EEENS1_30default_config_static_selectorELNS0_4arch9wavefront6targetE0EEEvSK_
; %bb.0:
	s_load_dwordx2 s[12:13], s[4:5], 0x38
	s_mov_b32 s29, s7
	s_mov_b32 s7, 0
	s_add_u32 s0, s0, s8
	s_addc_u32 s1, s1, 0
	s_lshl_b64 s[14:15], s[6:7], 2
	s_load_dwordx4 s[8:11], s[4:5], 0x40
	s_mov_b32 s32, 0
	s_waitcnt lgkmcnt(0)
	s_add_u32 s12, s12, s14
	s_addc_u32 s13, s13, s15
	s_load_dword s7, s[12:13], 0x0
	s_waitcnt lgkmcnt(0)
	s_add_i32 s60, s7, s9
	s_add_i32 s61, s7, s11
	s_mul_i32 s60, s60, s8
	s_mul_i32 s61, s61, s10
	s_cmp_le_u32 s61, s60
	s_cbranch_scc1 .LBB1119_1190
; %bb.1:
	s_clause 0x3
	s_load_dword s7, s[4:5], 0x30
	s_load_dwordx4 s[48:51], s[4:5], 0x20
	s_load_dwordx4 s[52:55], s[4:5], 0x50
	s_load_dwordx8 s[40:47], s[4:5], 0x0
	s_waitcnt lgkmcnt(0)
	s_bitcmp1_b32 s7, 0
	s_mov_b32 s7, -1
	s_cselect_b32 s55, -1, 0
	s_sub_i32 s62, s61, s60
	s_cmpk_lt_u32 s62, 0x1001
	s_cbranch_scc0 .LBB1119_7
; %bb.2:
	v_cndmask_b32_e64 v3, 0, 1, s55
	s_and_b32 s7, s52, 1
	v_lshlrev_b32_e32 v41, 20, v2
	v_lshlrev_b32_e32 v42, 10, v1
	v_cmp_ne_u32_e32 vcc_lo, s7, v3
	s_mov_b32 s7, -1
	s_cbranch_vccnz .LBB1119_4
; %bb.3:
	s_mov_b64 s[10:11], src_shared_base
	v_or3_b32 v31, v0, v42, v41
	v_mov_b32_e32 v40, v0
	v_mov_b32_e32 v0, s40
	;; [unrolled: 1-line block ×17, first 2 shown]
	s_add_u32 s8, s4, 0x60
	s_addc_u32 s9, s5, 0
	s_getpc_b64 s[14:15]
	s_add_u32 s14, s14, _ZN7rocprim17ROCPRIM_400000_NS6detail40segmented_radix_sort_single_block_helperIdlLj256ELj16ELb1EE4sortIPKdPdPKlPlEEbT_T0_T1_T2_jjjjRNS3_12storage_typeE@rel32@lo+4
	s_addc_u32 s15, s15, _ZN7rocprim17ROCPRIM_400000_NS6detail40segmented_radix_sort_single_block_helperIdlLj256ELj16ELb1EE4sortIPKdPdPKlPlEEbT_T0_T1_T2_jjjjRNS3_12storage_typeE@rel32@hi+12
	s_mov_b32 s12, s6
	s_mov_b32 s13, s29
	;; [unrolled: 1-line block ×3, first 2 shown]
	s_mov_b64 s[36:37], s[4:5]
	s_swappc_b64 s[30:31], s[14:15]
	v_mov_b32_e32 v1, v43
	v_mov_b32_e32 v2, v44
	v_mov_b32_e32 v0, v40
	s_mov_b64 s[4:5], s[36:37]
	s_mov_b32 s6, s34
	s_mov_b32 s7, 0
.LBB1119_4:
	s_andn2_b32 vcc_lo, exec_lo, s7
	s_cbranch_vccnz .LBB1119_6
; %bb.5:
	s_mov_b64 s[10:11], src_shared_base
	v_or3_b32 v31, v0, v42, v41
	v_mov_b32_e32 v40, v0
	v_mov_b32_e32 v0, s40
	;; [unrolled: 1-line block ×17, first 2 shown]
	s_add_u32 s8, s4, 0x60
	s_addc_u32 s9, s5, 0
	s_getpc_b64 s[14:15]
	s_add_u32 s14, s14, _ZN7rocprim17ROCPRIM_400000_NS6detail40segmented_radix_sort_single_block_helperIdlLj256ELj16ELb1EE4sortIPKdPdPKlPlEEbT_T0_T1_T2_jjjjRNS3_12storage_typeE@rel32@lo+4
	s_addc_u32 s15, s15, _ZN7rocprim17ROCPRIM_400000_NS6detail40segmented_radix_sort_single_block_helperIdlLj256ELj16ELb1EE4sortIPKdPdPKlPlEEbT_T0_T1_T2_jjjjRNS3_12storage_typeE@rel32@hi+12
	s_mov_b32 s12, s6
	s_mov_b32 s13, s29
	;; [unrolled: 1-line block ×3, first 2 shown]
	s_mov_b64 s[36:37], s[4:5]
	s_swappc_b64 s[30:31], s[14:15]
	v_mov_b32_e32 v1, v41
	v_mov_b32_e32 v2, v42
	;; [unrolled: 1-line block ×3, first 2 shown]
	s_mov_b64 s[4:5], s[36:37]
	s_mov_b32 s6, s34
.LBB1119_6:
	s_mov_b32 s7, 0
.LBB1119_7:
	s_andn2_b32 vcc_lo, exec_lo, s7
	s_cbranch_vccnz .LBB1119_1190
; %bb.8:
	s_cmp_ge_u32 s53, s54
	s_cbranch_scc1 .LBB1119_1190
; %bb.9:
	v_and_b32_e32 v6, 0xe0, v0
	v_and_b32_e32 v5, 3, v0
	v_lshlrev_b32_e32 v73, 2, v0
	v_lshlrev_b32_e32 v3, 3, v0
	v_lshrrev_b32_e32 v8, 3, v0
	v_min_u32_e32 v7, 0x60, v6
	v_lshlrev_b32_e32 v91, 2, v5
	v_mad_u32_u24 v93, v0, 12, v73
	v_or_b32_e32 v74, 0x100, v0
	v_or_b32_e32 v77, 0x200, v0
	v_or_b32_e32 v5, 31, v7
	v_lshlrev_b32_e32 v7, 4, v0
	v_add_nc_u32_e32 v98, v93, v73
	v_or_b32_e32 v78, 0x300, v0
	v_or_b32_e32 v79, 0x400, v0
	v_cmp_eq_u32_e64 s8, v0, v5
	v_and_b32_e32 v97, 0xe00, v7
	v_or_b32_e32 v5, 31, v6
	v_sub_nc_u32_e32 v99, v98, v7
	v_or_b32_e32 v80, 0x500, v0
	v_and_b32_e32 v92, 28, v8
	v_lshlrev_b32_e32 v6, 3, v97
	s_add_u32 s58, s4, 0x60
	v_cmp_eq_u32_e64 s4, v0, v5
	v_add_nc_u32_e32 v5, 1, v0
	v_lshl_add_u32 v101, v0, 5, v99
	v_add_co_u32 v102, s13, s50, v6
	v_add_co_ci_u32_e64 v103, null, s51, 0, s13
	v_add_co_u32 v104, s13, s44, v6
	v_add_co_ci_u32_e64 v105, null, s45, 0, s13
	;; [unrolled: 2-line block ×6, first 2 shown]
	v_add_co_u32 v115, s13, s46, v6
	v_add_co_u32 v75, s7, s44, v3
	v_add_co_ci_u32_e64 v116, null, s47, 0, s13
	v_add_co_u32 v117, s13, s40, v6
	v_mov_b32_e32 v4, 0
	v_add_co_ci_u32_e64 v76, null, s45, 0, s7
	v_or_b32_e32 v81, 0x600, v0
	v_or_b32_e32 v82, 0x700, v0
	;; [unrolled: 1-line block ×10, first 2 shown]
	v_cmp_gt_u32_e64 s7, 0x80, v0
	v_or_b32_e32 v94, 0x8200, v92
	v_cmp_gt_u32_e64 s9, 4, v0
	v_add_nc_u32_e32 v95, 0x8200, v73
	v_cmp_lt_u32_e64 s10, 31, v0
	v_add_nc_u32_e32 v96, 0x81fc, v92
	s_addc_u32 s59, s5, 0
	v_cmp_gt_u32_e64 s5, 8, v0
	v_cmp_eq_u32_e64 s11, 0, v0
	v_mul_u32_u24_e32 v100, 36, v5
	v_cmp_ne_u32_e64 s12, 0x80, v5
	v_mad_i32_i24 v106, 0xffffffe4, v0, v101
	v_add_co_ci_u32_e64 v118, null, s41, 0, s13
	v_mov_b32_e32 v119, 1
	v_lshlrev_b32_e32 v120, 3, v0
	v_lshlrev_b32_e32 v121, 3, v74
	;; [unrolled: 1-line block ×6, first 2 shown]
	v_mbcnt_lo_u32_b32 v126, -1, 0
	s_mov_b32 s56, 0
	s_brev_b32 s57, 1
	s_mov_b32 s52, s53
	s_mov_b32 s63, s53
	s_branch .LBB1119_12
.LBB1119_10:                            ;   in Loop: Header=BB1119_12 Depth=1
	s_waitcnt lgkmcnt(0)
	s_barrier
.LBB1119_11:                            ;   in Loop: Header=BB1119_12 Depth=1
	s_add_i32 s63, s63, 7
	buffer_gl0_inv
	s_cmp_ge_u32 s63, s54
	s_cbranch_scc1 .LBB1119_1190
.LBB1119_12:                            ; =>This Loop Header: Depth=1
                                        ;     Child Loop BB1119_16 Depth 2
                                        ;     Child Loop BB1119_96 Depth 2
	;; [unrolled: 1-line block ×8, first 2 shown]
	s_sub_i32 s13, s54, s63
	s_xor_b32 s55, s55, -1
	s_min_u32 s64, s13, 7
	s_cmp_lg_u32 s63, s53
	s_mov_b32 s13, -1
	ds_write2st64_b32 v73, v4, v4 offset1:4
	s_waitcnt lgkmcnt(0)
	s_waitcnt_vscnt null, 0x0
	s_cbranch_scc0 .LBB1119_602
; %bb.13:                               ;   in Loop: Header=BB1119_12 Depth=1
	s_lshl_b32 s13, -1, s64
	s_and_b32 vcc_lo, exec_lo, s55
	s_not_b32 s65, s13
	s_mov_b32 s13, -1
	s_cbranch_vccz .LBB1119_307
; %bb.14:                               ;   in Loop: Header=BB1119_12 Depth=1
	s_mov_b32 s13, s62
	s_mov_b32 s14, s60
	s_barrier
	buffer_gl0_inv
                                        ; implicit-def: $vgpr5_vgpr6
                                        ; implicit-def: $vgpr7_vgpr8
                                        ; implicit-def: $vgpr9_vgpr10
                                        ; implicit-def: $vgpr11_vgpr12
                                        ; implicit-def: $vgpr13_vgpr14
                                        ; implicit-def: $vgpr15_vgpr16
                                        ; implicit-def: $vgpr17_vgpr18
                                        ; implicit-def: $vgpr19_vgpr20
                                        ; implicit-def: $vgpr21_vgpr22
                                        ; implicit-def: $vgpr23_vgpr24
                                        ; implicit-def: $vgpr25_vgpr26
                                        ; implicit-def: $vgpr27_vgpr28
                                        ; implicit-def: $vgpr29_vgpr30
                                        ; implicit-def: $vgpr31_vgpr32
                                        ; implicit-def: $vgpr33_vgpr34
                                        ; implicit-def: $vgpr35_vgpr36
	s_branch .LBB1119_16
.LBB1119_15:                            ;   in Loop: Header=BB1119_16 Depth=2
	s_or_b32 exec_lo, exec_lo, s14
	s_addk_i32 s13, 0xf000
	s_cmp_ge_u32 s16, s61
	s_mov_b32 s14, s16
	s_cbranch_scc1 .LBB1119_84
.LBB1119_16:                            ;   Parent Loop BB1119_12 Depth=1
                                        ; =>  This Inner Loop Header: Depth=2
	s_add_i32 s16, s14, 0x1000
	s_mov_b32 s15, -1
	s_cmp_gt_u32 s16, s61
                                        ; implicit-def: $vgpr47_vgpr48
                                        ; implicit-def: $vgpr51_vgpr52
                                        ; implicit-def: $vgpr55_vgpr56
                                        ; implicit-def: $vgpr37_vgpr38
                                        ; implicit-def: $vgpr39_vgpr40
                                        ; implicit-def: $vgpr41_vgpr42
                                        ; implicit-def: $vgpr43_vgpr44
                                        ; implicit-def: $vgpr45_vgpr46
                                        ; implicit-def: $vgpr49_vgpr50
                                        ; implicit-def: $vgpr53_vgpr54
                                        ; implicit-def: $vgpr57_vgpr58
                                        ; implicit-def: $vgpr59_vgpr60
                                        ; implicit-def: $vgpr61_vgpr62
                                        ; implicit-def: $vgpr63_vgpr64
                                        ; implicit-def: $vgpr65_vgpr66
                                        ; implicit-def: $vgpr67_vgpr68
	s_cbranch_scc1 .LBB1119_18
; %bb.17:                               ;   in Loop: Header=BB1119_16 Depth=2
	s_mov_b32 s15, s56
	s_lshl_b64 s[18:19], s[14:15], 3
	s_mov_b32 s15, 0
	v_add_co_u32 v47, vcc_lo, v75, s18
	v_add_co_ci_u32_e64 v48, null, s19, v76, vcc_lo
	v_add_co_u32 v55, vcc_lo, v47, 0x1000
	v_add_co_ci_u32_e64 v56, null, 0, v48, vcc_lo
	;; [unrolled: 2-line block ×6, first 2 shown]
	s_clause 0x7
	global_load_dwordx2 v[37:38], v[39:40], off offset:-2048
	global_load_dwordx2 v[39:40], v[39:40], off
	global_load_dwordx2 v[41:42], v[43:44], off offset:-2048
	global_load_dwordx2 v[43:44], v[43:44], off
	;; [unrolled: 2-line block ×4, first 2 shown]
	v_add_co_u32 v51, vcc_lo, v47, 0x6000
	v_add_co_ci_u32_e64 v52, null, 0, v48, vcc_lo
	v_add_co_u32 v65, vcc_lo, v47, 0x7000
	v_add_co_ci_u32_e64 v66, null, 0, v48, vcc_lo
	;; [unrolled: 2-line block ×3, first 2 shown]
	s_clause 0x7
	global_load_dwordx2 v[59:60], v[51:52], off offset:-2048
	global_load_dwordx2 v[61:62], v[51:52], off
	global_load_dwordx2 v[63:64], v[65:66], off offset:-2048
	global_load_dwordx2 v[65:66], v[65:66], off
	global_load_dwordx2 v[47:48], v[47:48], off
	global_load_dwordx2 v[51:52], v[55:56], off offset:-2048
	global_load_dwordx2 v[55:56], v[55:56], off
	global_load_dwordx2 v[67:68], v[67:68], off
.LBB1119_18:                            ;   in Loop: Header=BB1119_16 Depth=2
	s_andn2_b32 vcc_lo, exec_lo, s15
	s_movk_i32 s15, 0x1000
	s_cbranch_vccnz .LBB1119_37
; %bb.19:                               ;   in Loop: Header=BB1119_16 Depth=2
	s_mov_b32 s15, s56
	s_mov_b32 s17, exec_lo
	s_lshl_b64 s[14:15], s[14:15], 3
	s_add_u32 s14, s44, s14
	s_addc_u32 s15, s45, s15
	v_cmpx_gt_u32_e64 s13, v0
	s_cbranch_execnz .LBB1119_69
; %bb.20:                               ;   in Loop: Header=BB1119_16 Depth=2
	s_or_b32 exec_lo, exec_lo, s17
	s_mov_b32 s17, exec_lo
	v_cmpx_gt_u32_e64 s13, v74
	s_cbranch_execnz .LBB1119_70
.LBB1119_21:                            ;   in Loop: Header=BB1119_16 Depth=2
	s_or_b32 exec_lo, exec_lo, s17
	s_mov_b32 s17, exec_lo
	v_cmpx_gt_u32_e64 s13, v77
	s_cbranch_execnz .LBB1119_71
.LBB1119_22:                            ;   in Loop: Header=BB1119_16 Depth=2
	s_or_b32 exec_lo, exec_lo, s17
	s_mov_b32 s17, exec_lo
	v_cmpx_gt_u32_e64 s13, v78
	s_cbranch_execnz .LBB1119_72
.LBB1119_23:                            ;   in Loop: Header=BB1119_16 Depth=2
	s_or_b32 exec_lo, exec_lo, s17
	s_mov_b32 s17, exec_lo
	v_cmpx_gt_u32_e64 s13, v79
	s_cbranch_execnz .LBB1119_73
.LBB1119_24:                            ;   in Loop: Header=BB1119_16 Depth=2
	s_or_b32 exec_lo, exec_lo, s17
	s_mov_b32 s17, exec_lo
	v_cmpx_gt_u32_e64 s13, v80
	s_cbranch_execnz .LBB1119_74
.LBB1119_25:                            ;   in Loop: Header=BB1119_16 Depth=2
	s_or_b32 exec_lo, exec_lo, s17
	s_mov_b32 s17, exec_lo
	v_cmpx_gt_u32_e64 s13, v81
	s_cbranch_execnz .LBB1119_75
.LBB1119_26:                            ;   in Loop: Header=BB1119_16 Depth=2
	s_or_b32 exec_lo, exec_lo, s17
	s_mov_b32 s17, exec_lo
	v_cmpx_gt_u32_e64 s13, v82
	s_cbranch_execnz .LBB1119_76
.LBB1119_27:                            ;   in Loop: Header=BB1119_16 Depth=2
	s_or_b32 exec_lo, exec_lo, s17
	s_mov_b32 s17, exec_lo
	v_cmpx_gt_u32_e64 s13, v83
	s_cbranch_execnz .LBB1119_77
.LBB1119_28:                            ;   in Loop: Header=BB1119_16 Depth=2
	s_or_b32 exec_lo, exec_lo, s17
	s_mov_b32 s17, exec_lo
	v_cmpx_gt_u32_e64 s13, v84
	s_cbranch_execnz .LBB1119_78
.LBB1119_29:                            ;   in Loop: Header=BB1119_16 Depth=2
	s_or_b32 exec_lo, exec_lo, s17
	s_mov_b32 s17, exec_lo
	v_cmpx_gt_u32_e64 s13, v85
	s_cbranch_execnz .LBB1119_79
.LBB1119_30:                            ;   in Loop: Header=BB1119_16 Depth=2
	s_or_b32 exec_lo, exec_lo, s17
	s_mov_b32 s17, exec_lo
	v_cmpx_gt_u32_e64 s13, v86
	s_cbranch_execnz .LBB1119_80
.LBB1119_31:                            ;   in Loop: Header=BB1119_16 Depth=2
	s_or_b32 exec_lo, exec_lo, s17
	s_mov_b32 s17, exec_lo
	v_cmpx_gt_u32_e64 s13, v87
	s_cbranch_execnz .LBB1119_81
.LBB1119_32:                            ;   in Loop: Header=BB1119_16 Depth=2
	s_or_b32 exec_lo, exec_lo, s17
	s_mov_b32 s17, exec_lo
	v_cmpx_gt_u32_e64 s13, v88
	s_cbranch_execnz .LBB1119_82
.LBB1119_33:                            ;   in Loop: Header=BB1119_16 Depth=2
	s_or_b32 exec_lo, exec_lo, s17
	s_mov_b32 s17, exec_lo
	v_cmpx_gt_u32_e64 s13, v89
	s_cbranch_execnz .LBB1119_83
.LBB1119_34:                            ;   in Loop: Header=BB1119_16 Depth=2
	s_or_b32 exec_lo, exec_lo, s17
	s_mov_b32 s17, exec_lo
	v_cmpx_gt_u32_e64 s13, v90
	s_cbranch_execz .LBB1119_36
.LBB1119_35:                            ;   in Loop: Header=BB1119_16 Depth=2
	v_lshlrev_b32_e32 v3, 3, v90
	global_load_dwordx2 v[5:6], v3, s[14:15]
.LBB1119_36:                            ;   in Loop: Header=BB1119_16 Depth=2
	s_or_b32 exec_lo, exec_lo, s17
	s_waitcnt vmcnt(0)
	v_mov_b32_e32 v48, v36
	v_mov_b32_e32 v52, v34
	;; [unrolled: 1-line block ×32, first 2 shown]
	s_mov_b32 s15, s13
.LBB1119_37:                            ;   in Loop: Header=BB1119_16 Depth=2
	s_waitcnt vmcnt(0)
	v_mov_b32_e32 v5, v67
	v_mov_b32_e32 v7, v65
	;; [unrolled: 1-line block ×32, first 2 shown]
	s_mov_b32 s14, exec_lo
	v_cmpx_gt_u32_e64 s15, v0
	s_cbranch_execnz .LBB1119_53
; %bb.38:                               ;   in Loop: Header=BB1119_16 Depth=2
	s_or_b32 exec_lo, exec_lo, s14
	s_mov_b32 s14, exec_lo
	v_cmpx_gt_u32_e64 s15, v74
	s_cbranch_execnz .LBB1119_54
.LBB1119_39:                            ;   in Loop: Header=BB1119_16 Depth=2
	s_or_b32 exec_lo, exec_lo, s14
	s_mov_b32 s14, exec_lo
	v_cmpx_gt_u32_e64 s15, v77
	s_cbranch_execnz .LBB1119_55
.LBB1119_40:                            ;   in Loop: Header=BB1119_16 Depth=2
	s_or_b32 exec_lo, exec_lo, s14
	s_mov_b32 s14, exec_lo
	v_cmpx_gt_u32_e64 s15, v78
	s_cbranch_execnz .LBB1119_56
.LBB1119_41:                            ;   in Loop: Header=BB1119_16 Depth=2
	s_or_b32 exec_lo, exec_lo, s14
	s_mov_b32 s14, exec_lo
	v_cmpx_gt_u32_e64 s15, v79
	s_cbranch_execnz .LBB1119_57
.LBB1119_42:                            ;   in Loop: Header=BB1119_16 Depth=2
	s_or_b32 exec_lo, exec_lo, s14
	s_mov_b32 s14, exec_lo
	v_cmpx_gt_u32_e64 s15, v80
	s_cbranch_execnz .LBB1119_58
.LBB1119_43:                            ;   in Loop: Header=BB1119_16 Depth=2
	s_or_b32 exec_lo, exec_lo, s14
	s_mov_b32 s14, exec_lo
	v_cmpx_gt_u32_e64 s15, v81
	s_cbranch_execnz .LBB1119_59
.LBB1119_44:                            ;   in Loop: Header=BB1119_16 Depth=2
	s_or_b32 exec_lo, exec_lo, s14
	s_mov_b32 s14, exec_lo
	v_cmpx_gt_u32_e64 s15, v82
	s_cbranch_execnz .LBB1119_60
.LBB1119_45:                            ;   in Loop: Header=BB1119_16 Depth=2
	s_or_b32 exec_lo, exec_lo, s14
	s_mov_b32 s14, exec_lo
	v_cmpx_gt_u32_e64 s15, v83
	s_cbranch_execnz .LBB1119_61
.LBB1119_46:                            ;   in Loop: Header=BB1119_16 Depth=2
	s_or_b32 exec_lo, exec_lo, s14
	s_mov_b32 s14, exec_lo
	v_cmpx_gt_u32_e64 s15, v84
	s_cbranch_execnz .LBB1119_62
.LBB1119_47:                            ;   in Loop: Header=BB1119_16 Depth=2
	s_or_b32 exec_lo, exec_lo, s14
	s_mov_b32 s14, exec_lo
	v_cmpx_gt_u32_e64 s15, v85
	s_cbranch_execnz .LBB1119_63
.LBB1119_48:                            ;   in Loop: Header=BB1119_16 Depth=2
	s_or_b32 exec_lo, exec_lo, s14
	s_mov_b32 s14, exec_lo
	v_cmpx_gt_u32_e64 s15, v86
	s_cbranch_execnz .LBB1119_64
.LBB1119_49:                            ;   in Loop: Header=BB1119_16 Depth=2
	s_or_b32 exec_lo, exec_lo, s14
	s_mov_b32 s14, exec_lo
	v_cmpx_gt_u32_e64 s15, v87
	s_cbranch_execnz .LBB1119_65
.LBB1119_50:                            ;   in Loop: Header=BB1119_16 Depth=2
	s_or_b32 exec_lo, exec_lo, s14
	s_mov_b32 s14, exec_lo
	v_cmpx_gt_u32_e64 s15, v88
	s_cbranch_execnz .LBB1119_66
.LBB1119_51:                            ;   in Loop: Header=BB1119_16 Depth=2
	s_or_b32 exec_lo, exec_lo, s14
	s_mov_b32 s14, exec_lo
	v_cmpx_gt_u32_e64 s15, v89
	s_cbranch_execnz .LBB1119_67
.LBB1119_52:                            ;   in Loop: Header=BB1119_16 Depth=2
	s_or_b32 exec_lo, exec_lo, s14
	s_mov_b32 s14, exec_lo
	v_cmpx_gt_u32_e64 s15, v90
	s_cbranch_execz .LBB1119_15
	s_branch .LBB1119_68
.LBB1119_53:                            ;   in Loop: Header=BB1119_16 Depth=2
	v_cmp_gt_i64_e32 vcc_lo, 0, v[35:36]
	v_ashrrev_i32_e32 v3, 31, v36
	v_not_b32_e32 v3, v3
	v_cndmask_b32_e64 v37, 0x7fffffff, 0, vcc_lo
	v_xor_b32_e32 v38, v37, v36
	v_xor_b32_e32 v37, v3, v35
	v_cmp_ne_u64_e32 vcc_lo, s[56:57], v[37:38]
	v_cndmask_b32_e32 v38, 0x7fffffff, v38, vcc_lo
	v_cndmask_b32_e32 v37, -1, v37, vcc_lo
	v_lshrrev_b64 v[37:38], s63, v[37:38]
	v_and_b32_e32 v3, s65, v37
	v_lshl_or_b32 v3, v3, 4, v91
	ds_add_u32 v3, v119
	s_or_b32 exec_lo, exec_lo, s14
	s_mov_b32 s14, exec_lo
	v_cmpx_gt_u32_e64 s15, v74
	s_cbranch_execz .LBB1119_39
.LBB1119_54:                            ;   in Loop: Header=BB1119_16 Depth=2
	v_cmp_gt_i64_e32 vcc_lo, 0, v[33:34]
	v_ashrrev_i32_e32 v3, 31, v34
	v_not_b32_e32 v3, v3
	v_cndmask_b32_e64 v37, 0x7fffffff, 0, vcc_lo
	v_xor_b32_e32 v38, v37, v34
	v_xor_b32_e32 v37, v3, v33
	v_cmp_ne_u64_e32 vcc_lo, s[56:57], v[37:38]
	v_cndmask_b32_e32 v38, 0x7fffffff, v38, vcc_lo
	v_cndmask_b32_e32 v37, -1, v37, vcc_lo
	v_lshrrev_b64 v[37:38], s63, v[37:38]
	v_and_b32_e32 v3, s65, v37
	v_lshl_or_b32 v3, v3, 4, v91
	ds_add_u32 v3, v119
	s_or_b32 exec_lo, exec_lo, s14
	s_mov_b32 s14, exec_lo
	v_cmpx_gt_u32_e64 s15, v77
	s_cbranch_execz .LBB1119_40
.LBB1119_55:                            ;   in Loop: Header=BB1119_16 Depth=2
	v_cmp_gt_i64_e32 vcc_lo, 0, v[31:32]
	v_ashrrev_i32_e32 v3, 31, v32
	v_not_b32_e32 v3, v3
	v_cndmask_b32_e64 v37, 0x7fffffff, 0, vcc_lo
	v_xor_b32_e32 v38, v37, v32
	v_xor_b32_e32 v37, v3, v31
	v_cmp_ne_u64_e32 vcc_lo, s[56:57], v[37:38]
	v_cndmask_b32_e32 v38, 0x7fffffff, v38, vcc_lo
	v_cndmask_b32_e32 v37, -1, v37, vcc_lo
	v_lshrrev_b64 v[37:38], s63, v[37:38]
	v_and_b32_e32 v3, s65, v37
	v_lshl_or_b32 v3, v3, 4, v91
	ds_add_u32 v3, v119
	s_or_b32 exec_lo, exec_lo, s14
	s_mov_b32 s14, exec_lo
	v_cmpx_gt_u32_e64 s15, v78
	s_cbranch_execz .LBB1119_41
.LBB1119_56:                            ;   in Loop: Header=BB1119_16 Depth=2
	v_cmp_gt_i64_e32 vcc_lo, 0, v[29:30]
	v_ashrrev_i32_e32 v3, 31, v30
	v_not_b32_e32 v3, v3
	v_cndmask_b32_e64 v37, 0x7fffffff, 0, vcc_lo
	v_xor_b32_e32 v38, v37, v30
	v_xor_b32_e32 v37, v3, v29
	v_cmp_ne_u64_e32 vcc_lo, s[56:57], v[37:38]
	v_cndmask_b32_e32 v38, 0x7fffffff, v38, vcc_lo
	v_cndmask_b32_e32 v37, -1, v37, vcc_lo
	v_lshrrev_b64 v[37:38], s63, v[37:38]
	v_and_b32_e32 v3, s65, v37
	v_lshl_or_b32 v3, v3, 4, v91
	ds_add_u32 v3, v119
	s_or_b32 exec_lo, exec_lo, s14
	s_mov_b32 s14, exec_lo
	v_cmpx_gt_u32_e64 s15, v79
	s_cbranch_execz .LBB1119_42
.LBB1119_57:                            ;   in Loop: Header=BB1119_16 Depth=2
	v_cmp_gt_i64_e32 vcc_lo, 0, v[27:28]
	v_ashrrev_i32_e32 v3, 31, v28
	v_not_b32_e32 v3, v3
	v_cndmask_b32_e64 v37, 0x7fffffff, 0, vcc_lo
	v_xor_b32_e32 v38, v37, v28
	v_xor_b32_e32 v37, v3, v27
	v_cmp_ne_u64_e32 vcc_lo, s[56:57], v[37:38]
	v_cndmask_b32_e32 v38, 0x7fffffff, v38, vcc_lo
	v_cndmask_b32_e32 v37, -1, v37, vcc_lo
	v_lshrrev_b64 v[37:38], s63, v[37:38]
	v_and_b32_e32 v3, s65, v37
	v_lshl_or_b32 v3, v3, 4, v91
	ds_add_u32 v3, v119
	s_or_b32 exec_lo, exec_lo, s14
	s_mov_b32 s14, exec_lo
	v_cmpx_gt_u32_e64 s15, v80
	s_cbranch_execz .LBB1119_43
.LBB1119_58:                            ;   in Loop: Header=BB1119_16 Depth=2
	v_cmp_gt_i64_e32 vcc_lo, 0, v[25:26]
	v_ashrrev_i32_e32 v3, 31, v26
	v_not_b32_e32 v3, v3
	v_cndmask_b32_e64 v37, 0x7fffffff, 0, vcc_lo
	v_xor_b32_e32 v38, v37, v26
	v_xor_b32_e32 v37, v3, v25
	v_cmp_ne_u64_e32 vcc_lo, s[56:57], v[37:38]
	v_cndmask_b32_e32 v38, 0x7fffffff, v38, vcc_lo
	v_cndmask_b32_e32 v37, -1, v37, vcc_lo
	v_lshrrev_b64 v[37:38], s63, v[37:38]
	v_and_b32_e32 v3, s65, v37
	v_lshl_or_b32 v3, v3, 4, v91
	ds_add_u32 v3, v119
	s_or_b32 exec_lo, exec_lo, s14
	s_mov_b32 s14, exec_lo
	v_cmpx_gt_u32_e64 s15, v81
	s_cbranch_execz .LBB1119_44
.LBB1119_59:                            ;   in Loop: Header=BB1119_16 Depth=2
	v_cmp_gt_i64_e32 vcc_lo, 0, v[23:24]
	v_ashrrev_i32_e32 v3, 31, v24
	v_not_b32_e32 v3, v3
	v_cndmask_b32_e64 v37, 0x7fffffff, 0, vcc_lo
	v_xor_b32_e32 v38, v37, v24
	v_xor_b32_e32 v37, v3, v23
	v_cmp_ne_u64_e32 vcc_lo, s[56:57], v[37:38]
	v_cndmask_b32_e32 v38, 0x7fffffff, v38, vcc_lo
	v_cndmask_b32_e32 v37, -1, v37, vcc_lo
	v_lshrrev_b64 v[37:38], s63, v[37:38]
	v_and_b32_e32 v3, s65, v37
	v_lshl_or_b32 v3, v3, 4, v91
	ds_add_u32 v3, v119
	s_or_b32 exec_lo, exec_lo, s14
	s_mov_b32 s14, exec_lo
	v_cmpx_gt_u32_e64 s15, v82
	s_cbranch_execz .LBB1119_45
.LBB1119_60:                            ;   in Loop: Header=BB1119_16 Depth=2
	v_cmp_gt_i64_e32 vcc_lo, 0, v[21:22]
	v_ashrrev_i32_e32 v3, 31, v22
	v_not_b32_e32 v3, v3
	v_cndmask_b32_e64 v37, 0x7fffffff, 0, vcc_lo
	v_xor_b32_e32 v38, v37, v22
	v_xor_b32_e32 v37, v3, v21
	v_cmp_ne_u64_e32 vcc_lo, s[56:57], v[37:38]
	v_cndmask_b32_e32 v38, 0x7fffffff, v38, vcc_lo
	v_cndmask_b32_e32 v37, -1, v37, vcc_lo
	v_lshrrev_b64 v[37:38], s63, v[37:38]
	v_and_b32_e32 v3, s65, v37
	v_lshl_or_b32 v3, v3, 4, v91
	ds_add_u32 v3, v119
	s_or_b32 exec_lo, exec_lo, s14
	s_mov_b32 s14, exec_lo
	v_cmpx_gt_u32_e64 s15, v83
	s_cbranch_execz .LBB1119_46
.LBB1119_61:                            ;   in Loop: Header=BB1119_16 Depth=2
	v_cmp_gt_i64_e32 vcc_lo, 0, v[19:20]
	v_ashrrev_i32_e32 v3, 31, v20
	v_not_b32_e32 v3, v3
	v_cndmask_b32_e64 v37, 0x7fffffff, 0, vcc_lo
	v_xor_b32_e32 v38, v37, v20
	v_xor_b32_e32 v37, v3, v19
	v_cmp_ne_u64_e32 vcc_lo, s[56:57], v[37:38]
	v_cndmask_b32_e32 v38, 0x7fffffff, v38, vcc_lo
	v_cndmask_b32_e32 v37, -1, v37, vcc_lo
	v_lshrrev_b64 v[37:38], s63, v[37:38]
	v_and_b32_e32 v3, s65, v37
	v_lshl_or_b32 v3, v3, 4, v91
	ds_add_u32 v3, v119
	s_or_b32 exec_lo, exec_lo, s14
	s_mov_b32 s14, exec_lo
	v_cmpx_gt_u32_e64 s15, v84
	s_cbranch_execz .LBB1119_47
.LBB1119_62:                            ;   in Loop: Header=BB1119_16 Depth=2
	v_cmp_gt_i64_e32 vcc_lo, 0, v[17:18]
	v_ashrrev_i32_e32 v3, 31, v18
	v_not_b32_e32 v3, v3
	v_cndmask_b32_e64 v37, 0x7fffffff, 0, vcc_lo
	v_xor_b32_e32 v38, v37, v18
	v_xor_b32_e32 v37, v3, v17
	v_cmp_ne_u64_e32 vcc_lo, s[56:57], v[37:38]
	v_cndmask_b32_e32 v38, 0x7fffffff, v38, vcc_lo
	v_cndmask_b32_e32 v37, -1, v37, vcc_lo
	v_lshrrev_b64 v[37:38], s63, v[37:38]
	v_and_b32_e32 v3, s65, v37
	v_lshl_or_b32 v3, v3, 4, v91
	ds_add_u32 v3, v119
	s_or_b32 exec_lo, exec_lo, s14
	s_mov_b32 s14, exec_lo
	v_cmpx_gt_u32_e64 s15, v85
	s_cbranch_execz .LBB1119_48
.LBB1119_63:                            ;   in Loop: Header=BB1119_16 Depth=2
	v_cmp_gt_i64_e32 vcc_lo, 0, v[15:16]
	v_ashrrev_i32_e32 v3, 31, v16
	v_not_b32_e32 v3, v3
	v_cndmask_b32_e64 v37, 0x7fffffff, 0, vcc_lo
	v_xor_b32_e32 v38, v37, v16
	v_xor_b32_e32 v37, v3, v15
	v_cmp_ne_u64_e32 vcc_lo, s[56:57], v[37:38]
	v_cndmask_b32_e32 v38, 0x7fffffff, v38, vcc_lo
	v_cndmask_b32_e32 v37, -1, v37, vcc_lo
	v_lshrrev_b64 v[37:38], s63, v[37:38]
	v_and_b32_e32 v3, s65, v37
	v_lshl_or_b32 v3, v3, 4, v91
	ds_add_u32 v3, v119
	s_or_b32 exec_lo, exec_lo, s14
	s_mov_b32 s14, exec_lo
	v_cmpx_gt_u32_e64 s15, v86
	s_cbranch_execz .LBB1119_49
.LBB1119_64:                            ;   in Loop: Header=BB1119_16 Depth=2
	v_cmp_gt_i64_e32 vcc_lo, 0, v[13:14]
	v_ashrrev_i32_e32 v3, 31, v14
	v_not_b32_e32 v3, v3
	v_cndmask_b32_e64 v37, 0x7fffffff, 0, vcc_lo
	v_xor_b32_e32 v38, v37, v14
	v_xor_b32_e32 v37, v3, v13
	v_cmp_ne_u64_e32 vcc_lo, s[56:57], v[37:38]
	v_cndmask_b32_e32 v38, 0x7fffffff, v38, vcc_lo
	v_cndmask_b32_e32 v37, -1, v37, vcc_lo
	v_lshrrev_b64 v[37:38], s63, v[37:38]
	v_and_b32_e32 v3, s65, v37
	v_lshl_or_b32 v3, v3, 4, v91
	ds_add_u32 v3, v119
	s_or_b32 exec_lo, exec_lo, s14
	s_mov_b32 s14, exec_lo
	v_cmpx_gt_u32_e64 s15, v87
	s_cbranch_execz .LBB1119_50
.LBB1119_65:                            ;   in Loop: Header=BB1119_16 Depth=2
	v_cmp_gt_i64_e32 vcc_lo, 0, v[11:12]
	v_ashrrev_i32_e32 v3, 31, v12
	v_not_b32_e32 v3, v3
	v_cndmask_b32_e64 v37, 0x7fffffff, 0, vcc_lo
	v_xor_b32_e32 v38, v37, v12
	v_xor_b32_e32 v37, v3, v11
	v_cmp_ne_u64_e32 vcc_lo, s[56:57], v[37:38]
	v_cndmask_b32_e32 v38, 0x7fffffff, v38, vcc_lo
	v_cndmask_b32_e32 v37, -1, v37, vcc_lo
	v_lshrrev_b64 v[37:38], s63, v[37:38]
	v_and_b32_e32 v3, s65, v37
	v_lshl_or_b32 v3, v3, 4, v91
	ds_add_u32 v3, v119
	s_or_b32 exec_lo, exec_lo, s14
	s_mov_b32 s14, exec_lo
	v_cmpx_gt_u32_e64 s15, v88
	s_cbranch_execz .LBB1119_51
.LBB1119_66:                            ;   in Loop: Header=BB1119_16 Depth=2
	v_cmp_gt_i64_e32 vcc_lo, 0, v[9:10]
	v_ashrrev_i32_e32 v3, 31, v10
	v_not_b32_e32 v3, v3
	v_cndmask_b32_e64 v37, 0x7fffffff, 0, vcc_lo
	v_xor_b32_e32 v38, v37, v10
	v_xor_b32_e32 v37, v3, v9
	v_cmp_ne_u64_e32 vcc_lo, s[56:57], v[37:38]
	v_cndmask_b32_e32 v38, 0x7fffffff, v38, vcc_lo
	v_cndmask_b32_e32 v37, -1, v37, vcc_lo
	v_lshrrev_b64 v[37:38], s63, v[37:38]
	v_and_b32_e32 v3, s65, v37
	v_lshl_or_b32 v3, v3, 4, v91
	ds_add_u32 v3, v119
	s_or_b32 exec_lo, exec_lo, s14
	s_mov_b32 s14, exec_lo
	v_cmpx_gt_u32_e64 s15, v89
	s_cbranch_execz .LBB1119_52
.LBB1119_67:                            ;   in Loop: Header=BB1119_16 Depth=2
	v_cmp_gt_i64_e32 vcc_lo, 0, v[7:8]
	v_ashrrev_i32_e32 v3, 31, v8
	v_not_b32_e32 v3, v3
	v_cndmask_b32_e64 v37, 0x7fffffff, 0, vcc_lo
	v_xor_b32_e32 v38, v37, v8
	v_xor_b32_e32 v37, v3, v7
	v_cmp_ne_u64_e32 vcc_lo, s[56:57], v[37:38]
	v_cndmask_b32_e32 v38, 0x7fffffff, v38, vcc_lo
	v_cndmask_b32_e32 v37, -1, v37, vcc_lo
	v_lshrrev_b64 v[37:38], s63, v[37:38]
	v_and_b32_e32 v3, s65, v37
	v_lshl_or_b32 v3, v3, 4, v91
	ds_add_u32 v3, v119
	s_or_b32 exec_lo, exec_lo, s14
	s_mov_b32 s14, exec_lo
	v_cmpx_gt_u32_e64 s15, v90
	s_cbranch_execz .LBB1119_15
.LBB1119_68:                            ;   in Loop: Header=BB1119_16 Depth=2
	v_cmp_gt_i64_e32 vcc_lo, 0, v[5:6]
	v_ashrrev_i32_e32 v3, 31, v6
	v_not_b32_e32 v3, v3
	v_cndmask_b32_e64 v37, 0x7fffffff, 0, vcc_lo
	v_xor_b32_e32 v38, v37, v6
	v_xor_b32_e32 v37, v3, v5
	v_cmp_ne_u64_e32 vcc_lo, s[56:57], v[37:38]
	v_cndmask_b32_e32 v38, 0x7fffffff, v38, vcc_lo
	v_cndmask_b32_e32 v37, -1, v37, vcc_lo
	v_lshrrev_b64 v[37:38], s63, v[37:38]
	v_and_b32_e32 v3, s65, v37
	v_lshl_or_b32 v3, v3, 4, v91
	ds_add_u32 v3, v119
	s_branch .LBB1119_15
.LBB1119_69:                            ;   in Loop: Header=BB1119_16 Depth=2
	global_load_dwordx2 v[35:36], v120, s[14:15]
	s_or_b32 exec_lo, exec_lo, s17
	s_mov_b32 s17, exec_lo
	v_cmpx_gt_u32_e64 s13, v74
	s_cbranch_execz .LBB1119_21
.LBB1119_70:                            ;   in Loop: Header=BB1119_16 Depth=2
	global_load_dwordx2 v[33:34], v121, s[14:15]
	s_or_b32 exec_lo, exec_lo, s17
	s_mov_b32 s17, exec_lo
	v_cmpx_gt_u32_e64 s13, v77
	s_cbranch_execz .LBB1119_22
.LBB1119_71:                            ;   in Loop: Header=BB1119_16 Depth=2
	global_load_dwordx2 v[31:32], v122, s[14:15]
	s_or_b32 exec_lo, exec_lo, s17
	s_mov_b32 s17, exec_lo
	v_cmpx_gt_u32_e64 s13, v78
	s_cbranch_execz .LBB1119_23
.LBB1119_72:                            ;   in Loop: Header=BB1119_16 Depth=2
	global_load_dwordx2 v[29:30], v123, s[14:15]
	s_or_b32 exec_lo, exec_lo, s17
	s_mov_b32 s17, exec_lo
	v_cmpx_gt_u32_e64 s13, v79
	s_cbranch_execz .LBB1119_24
.LBB1119_73:                            ;   in Loop: Header=BB1119_16 Depth=2
	global_load_dwordx2 v[27:28], v124, s[14:15]
	s_or_b32 exec_lo, exec_lo, s17
	s_mov_b32 s17, exec_lo
	v_cmpx_gt_u32_e64 s13, v80
	s_cbranch_execz .LBB1119_25
.LBB1119_74:                            ;   in Loop: Header=BB1119_16 Depth=2
	global_load_dwordx2 v[25:26], v125, s[14:15]
	s_or_b32 exec_lo, exec_lo, s17
	s_mov_b32 s17, exec_lo
	v_cmpx_gt_u32_e64 s13, v81
	s_cbranch_execz .LBB1119_26
.LBB1119_75:                            ;   in Loop: Header=BB1119_16 Depth=2
	v_lshlrev_b32_e32 v3, 3, v81
	global_load_dwordx2 v[23:24], v3, s[14:15]
	s_or_b32 exec_lo, exec_lo, s17
	s_mov_b32 s17, exec_lo
	v_cmpx_gt_u32_e64 s13, v82
	s_cbranch_execz .LBB1119_27
.LBB1119_76:                            ;   in Loop: Header=BB1119_16 Depth=2
	v_lshlrev_b32_e32 v3, 3, v82
	global_load_dwordx2 v[21:22], v3, s[14:15]
	s_or_b32 exec_lo, exec_lo, s17
	s_mov_b32 s17, exec_lo
	v_cmpx_gt_u32_e64 s13, v83
	s_cbranch_execz .LBB1119_28
.LBB1119_77:                            ;   in Loop: Header=BB1119_16 Depth=2
	v_lshlrev_b32_e32 v3, 3, v83
	global_load_dwordx2 v[19:20], v3, s[14:15]
	s_or_b32 exec_lo, exec_lo, s17
	s_mov_b32 s17, exec_lo
	v_cmpx_gt_u32_e64 s13, v84
	s_cbranch_execz .LBB1119_29
.LBB1119_78:                            ;   in Loop: Header=BB1119_16 Depth=2
	v_lshlrev_b32_e32 v3, 3, v84
	global_load_dwordx2 v[17:18], v3, s[14:15]
	s_or_b32 exec_lo, exec_lo, s17
	s_mov_b32 s17, exec_lo
	v_cmpx_gt_u32_e64 s13, v85
	s_cbranch_execz .LBB1119_30
.LBB1119_79:                            ;   in Loop: Header=BB1119_16 Depth=2
	v_lshlrev_b32_e32 v3, 3, v85
	global_load_dwordx2 v[15:16], v3, s[14:15]
	s_or_b32 exec_lo, exec_lo, s17
	s_mov_b32 s17, exec_lo
	v_cmpx_gt_u32_e64 s13, v86
	s_cbranch_execz .LBB1119_31
.LBB1119_80:                            ;   in Loop: Header=BB1119_16 Depth=2
	v_lshlrev_b32_e32 v3, 3, v86
	global_load_dwordx2 v[13:14], v3, s[14:15]
	s_or_b32 exec_lo, exec_lo, s17
	s_mov_b32 s17, exec_lo
	v_cmpx_gt_u32_e64 s13, v87
	s_cbranch_execz .LBB1119_32
.LBB1119_81:                            ;   in Loop: Header=BB1119_16 Depth=2
	v_lshlrev_b32_e32 v3, 3, v87
	global_load_dwordx2 v[11:12], v3, s[14:15]
	s_or_b32 exec_lo, exec_lo, s17
	s_mov_b32 s17, exec_lo
	v_cmpx_gt_u32_e64 s13, v88
	s_cbranch_execz .LBB1119_33
.LBB1119_82:                            ;   in Loop: Header=BB1119_16 Depth=2
	v_lshlrev_b32_e32 v3, 3, v88
	global_load_dwordx2 v[9:10], v3, s[14:15]
	s_or_b32 exec_lo, exec_lo, s17
	s_mov_b32 s17, exec_lo
	v_cmpx_gt_u32_e64 s13, v89
	s_cbranch_execz .LBB1119_34
.LBB1119_83:                            ;   in Loop: Header=BB1119_16 Depth=2
	v_lshlrev_b32_e32 v3, 3, v89
	global_load_dwordx2 v[7:8], v3, s[14:15]
	s_or_b32 exec_lo, exec_lo, s17
	s_mov_b32 s17, exec_lo
	v_cmpx_gt_u32_e64 s13, v90
	s_cbranch_execnz .LBB1119_35
	s_branch .LBB1119_36
.LBB1119_84:                            ;   in Loop: Header=BB1119_12 Depth=1
	v_mov_b32_e32 v3, 0
	s_waitcnt lgkmcnt(0)
	s_barrier
	buffer_gl0_inv
	s_and_saveexec_b32 s13, s7
	s_cbranch_execz .LBB1119_86
; %bb.85:                               ;   in Loop: Header=BB1119_12 Depth=1
	ds_read2_b64 v[5:8], v93 offset1:1
	s_waitcnt lgkmcnt(0)
	v_add_nc_u32_e32 v3, v6, v5
	v_add3_u32 v3, v3, v7, v8
.LBB1119_86:                            ;   in Loop: Header=BB1119_12 Depth=1
	s_or_b32 exec_lo, exec_lo, s13
	v_and_b32_e32 v5, 15, v126
	v_mov_b32_dpp v6, v3 row_shr:1 row_mask:0xf bank_mask:0xf
	v_and_b32_e32 v7, 16, v126
	v_cmp_eq_u32_e64 s13, 0, v5
	v_cmp_lt_u32_e64 s14, 1, v5
	v_cmp_lt_u32_e64 s15, 3, v5
	;; [unrolled: 1-line block ×3, first 2 shown]
	v_cmp_eq_u32_e64 s17, 0, v7
	v_cndmask_b32_e64 v6, v6, 0, s13
	v_add_nc_u32_e32 v3, v6, v3
	v_mov_b32_dpp v6, v3 row_shr:2 row_mask:0xf bank_mask:0xf
	v_cndmask_b32_e64 v6, 0, v6, s14
	v_add_nc_u32_e32 v3, v3, v6
	v_mov_b32_dpp v6, v3 row_shr:4 row_mask:0xf bank_mask:0xf
	;; [unrolled: 3-line block ×3, first 2 shown]
	v_cndmask_b32_e64 v5, 0, v6, s16
	v_bfe_i32 v6, v126, 4, 1
	v_add_nc_u32_e32 v3, v3, v5
	ds_swizzle_b32 v5, v3 offset:swizzle(BROADCAST,32,15)
	s_waitcnt lgkmcnt(0)
	v_and_b32_e32 v5, v6, v5
	v_add_nc_u32_e32 v3, v3, v5
	s_and_saveexec_b32 s18, s8
; %bb.87:                               ;   in Loop: Header=BB1119_12 Depth=1
	ds_write_b32 v94, v3
; %bb.88:                               ;   in Loop: Header=BB1119_12 Depth=1
	s_or_b32 exec_lo, exec_lo, s18
	s_waitcnt lgkmcnt(0)
	s_barrier
	buffer_gl0_inv
	s_and_saveexec_b32 s18, s9
	s_cbranch_execz .LBB1119_90
; %bb.89:                               ;   in Loop: Header=BB1119_12 Depth=1
	ds_read_b32 v5, v95
	v_and_b32_e32 v6, 3, v126
	v_cmp_ne_u32_e32 vcc_lo, 0, v6
	s_waitcnt lgkmcnt(0)
	v_mov_b32_dpp v7, v5 row_shr:1 row_mask:0xf bank_mask:0xf
	v_cndmask_b32_e32 v7, 0, v7, vcc_lo
	v_cmp_lt_u32_e32 vcc_lo, 1, v6
	v_add_nc_u32_e32 v5, v7, v5
	v_mov_b32_dpp v7, v5 row_shr:2 row_mask:0xf bank_mask:0xf
	v_cndmask_b32_e32 v6, 0, v7, vcc_lo
	v_add_nc_u32_e32 v5, v5, v6
	ds_write_b32 v95, v5
.LBB1119_90:                            ;   in Loop: Header=BB1119_12 Depth=1
	s_or_b32 exec_lo, exec_lo, s18
	v_mov_b32_e32 v5, 0
	s_waitcnt lgkmcnt(0)
	s_barrier
	buffer_gl0_inv
	s_and_saveexec_b32 s18, s10
; %bb.91:                               ;   in Loop: Header=BB1119_12 Depth=1
	ds_read_b32 v5, v96
; %bb.92:                               ;   in Loop: Header=BB1119_12 Depth=1
	s_or_b32 exec_lo, exec_lo, s18
	v_sub_co_u32 v6, s18, v126, 1
	s_waitcnt lgkmcnt(0)
	v_add_nc_u32_e32 v3, v5, v3
	s_barrier
	v_cmp_gt_i32_e32 vcc_lo, 0, v6
	buffer_gl0_inv
	v_cndmask_b32_e32 v6, v6, v126, vcc_lo
	v_lshlrev_b32_e32 v127, 2, v6
	ds_bpermute_b32 v3, v127, v3
	s_and_saveexec_b32 s19, s7
	s_cbranch_execz .LBB1119_94
; %bb.93:                               ;   in Loop: Header=BB1119_12 Depth=1
	s_waitcnt lgkmcnt(0)
	v_cndmask_b32_e64 v3, v3, v5, s18
	v_add_nc_u32_e32 v3, s60, v3
	ds_write_b32 v73, v3
.LBB1119_94:                            ;   in Loop: Header=BB1119_12 Depth=1
	s_or_b32 exec_lo, exec_lo, s19
	s_clause 0x1
	s_load_dword s19, s[58:59], 0x4
	s_load_dword s22, s[58:59], 0xc
	v_and_b32_e32 v5, 7, v126
	v_lshlrev_b32_e32 v7, 3, v126
	v_or_b32_e32 v128, v126, v97
	s_mov_b32 s66, s62
	s_mov_b32 s46, s60
                                        ; implicit-def: $vgpr9_vgpr10
                                        ; implicit-def: $vgpr11_vgpr12
                                        ; implicit-def: $vgpr13_vgpr14
                                        ; implicit-def: $vgpr17_vgpr18
                                        ; implicit-def: $vgpr21_vgpr22
                                        ; implicit-def: $vgpr25_vgpr26
                                        ; implicit-def: $vgpr15_vgpr16
                                        ; implicit-def: $vgpr19_vgpr20
                                        ; implicit-def: $vgpr23_vgpr24
                                        ; implicit-def: $vgpr27_vgpr28
                                        ; implicit-def: $vgpr29_vgpr30
                                        ; implicit-def: $vgpr31_vgpr32
                                        ; implicit-def: $vgpr33_vgpr34
                                        ; implicit-def: $vgpr35_vgpr36
                                        ; implicit-def: $vgpr149
                                        ; implicit-def: $vgpr150
                                        ; implicit-def: $vgpr151
                                        ; implicit-def: $vgpr152
                                        ; implicit-def: $vgpr153
                                        ; implicit-def: $vgpr154
                                        ; implicit-def: $vgpr155
                                        ; implicit-def: $vgpr157
                                        ; implicit-def: $vgpr158
                                        ; implicit-def: $vgpr159
                                        ; implicit-def: $vgpr160
                                        ; implicit-def: $vgpr161
                                        ; implicit-def: $vgpr162
                                        ; implicit-def: $vgpr163
                                        ; implicit-def: $vgpr164
                                        ; implicit-def: $vgpr165
                                        ; implicit-def: $vgpr156
                                        ; implicit-def: $vgpr166
	v_add_co_u32 v129, vcc_lo, v102, v7
	v_add_co_ci_u32_e64 v130, null, 0, v103, vcc_lo
	v_add_co_u32 v146, vcc_lo, v104, v7
	v_or_b32_e32 v131, 32, v128
	v_or_b32_e32 v132, 64, v128
	;; [unrolled: 1-line block ×6, first 2 shown]
	s_waitcnt lgkmcnt(0)
	s_cmp_lt_u32 s29, s19
	v_or_b32_e32 v137, 0xe0, v128
	s_cselect_b32 s19, 14, 20
	v_or_b32_e32 v138, 0x100, v128
	s_add_u32 s20, s58, s19
	s_addc_u32 s21, s59, 0
	s_and_b32 s22, s22, 0xffff
	global_load_ushort v3, v4, s[20:21]
	v_cmp_eq_u32_e64 s19, 0, v5
	v_cmp_lt_u32_e64 s20, 1, v5
	v_cmp_lt_u32_e64 s21, 3, v5
	v_or_b32_e32 v139, 0x120, v128
	v_or_b32_e32 v140, 0x140, v128
	;; [unrolled: 1-line block ×7, first 2 shown]
	v_add_co_ci_u32_e64 v147, null, 0, v105, vcc_lo
                                        ; implicit-def: $vgpr7_vgpr8
	s_waitcnt vmcnt(0)
	v_mad_u32_u24 v3, v2, v3, v1
	v_mad_u64_u32 v[5:6], null, v3, s22, v[0:1]
	v_lshrrev_b32_e32 v3, 3, v5
                                        ; implicit-def: $vgpr5_vgpr6
	v_and_b32_e32 v148, 0x1ffffffc, v3
	s_branch .LBB1119_96
.LBB1119_95:                            ;   in Loop: Header=BB1119_96 Depth=2
	s_or_b32 exec_lo, exec_lo, s22
	s_addk_i32 s66, 0xf000
	s_cmp_lt_u32 s67, s61
	s_mov_b32 s46, s67
	s_cbranch_scc0 .LBB1119_306
.LBB1119_96:                            ;   Parent Loop BB1119_12 Depth=1
                                        ; =>  This Inner Loop Header: Depth=2
	s_add_i32 s67, s46, 0x1000
	s_cmp_gt_u32 s67, s61
	s_cbranch_scc1 .LBB1119_98
; %bb.97:                               ;   in Loop: Header=BB1119_96 Depth=2
	s_mov_b32 s47, s56
	s_lshl_b64 s[22:23], s[46:47], 3
	v_add_co_u32 v43, vcc_lo, v146, s22
	v_add_co_ci_u32_e64 v44, null, s23, v147, vcc_lo
	v_add_co_u32 v45, vcc_lo, 0x800, v43
	v_add_co_ci_u32_e64 v46, null, 0, v44, vcc_lo
	s_clause 0xe
	global_load_dwordx2 v[37:38], v[43:44], off
	global_load_dwordx2 v[39:40], v[43:44], off offset:256
	global_load_dwordx2 v[41:42], v[43:44], off offset:512
	global_load_dwordx2 v[49:50], v[43:44], off offset:768
	global_load_dwordx2 v[53:54], v[43:44], off offset:1024
	global_load_dwordx2 v[57:58], v[43:44], off offset:1280
	global_load_dwordx2 v[61:62], v[43:44], off offset:1536
	global_load_dwordx2 v[65:66], v[43:44], off offset:1792
	global_load_dwordx2 v[67:68], v[45:46], off
	global_load_dwordx2 v[63:64], v[45:46], off offset:256
	global_load_dwordx2 v[59:60], v[45:46], off offset:512
	;; [unrolled: 1-line block ×6, first 2 shown]
	s_mov_b32 s22, -1
	s_movk_i32 s23, 0x1000
	s_cbranch_execz .LBB1119_99
	s_branch .LBB1119_130
.LBB1119_98:                            ;   in Loop: Header=BB1119_96 Depth=2
	s_mov_b32 s22, 0
                                        ; implicit-def: $vgpr37_vgpr38
                                        ; implicit-def: $vgpr39_vgpr40
                                        ; implicit-def: $vgpr41_vgpr42
                                        ; implicit-def: $vgpr49_vgpr50
                                        ; implicit-def: $vgpr53_vgpr54
                                        ; implicit-def: $vgpr57_vgpr58
                                        ; implicit-def: $vgpr61_vgpr62
                                        ; implicit-def: $vgpr65_vgpr66
                                        ; implicit-def: $vgpr67_vgpr68
                                        ; implicit-def: $vgpr63_vgpr64
                                        ; implicit-def: $vgpr59_vgpr60
                                        ; implicit-def: $vgpr55_vgpr56
                                        ; implicit-def: $vgpr51_vgpr52
                                        ; implicit-def: $vgpr47_vgpr48
                                        ; implicit-def: $vgpr43_vgpr44
	s_movk_i32 s23, 0x1000
.LBB1119_99:                            ;   in Loop: Header=BB1119_96 Depth=2
	s_mov_b32 s47, s56
	s_waitcnt vmcnt(13)
	v_mov_b32_e32 v39, -1
	s_lshl_b64 s[22:23], s[46:47], 3
	v_mov_b32_e32 v37, -1
	v_add_co_u32 v45, vcc_lo, v146, s22
	v_add_co_ci_u32_e64 v46, null, s23, v147, vcc_lo
	v_mov_b32_e32 v40, -1
	v_mov_b32_e32 v38, -1
	s_mov_b32 s22, exec_lo
	v_cmpx_gt_u32_e64 s66, v128
	s_cbranch_execz .LBB1119_101
; %bb.100:                              ;   in Loop: Header=BB1119_96 Depth=2
	global_load_dwordx2 v[37:38], v[45:46], off
.LBB1119_101:                           ;   in Loop: Header=BB1119_96 Depth=2
	s_or_b32 exec_lo, exec_lo, s22
	s_mov_b32 s22, exec_lo
	v_cmpx_gt_u32_e64 s66, v131
	s_cbranch_execz .LBB1119_103
; %bb.102:                              ;   in Loop: Header=BB1119_96 Depth=2
	global_load_dwordx2 v[39:40], v[45:46], off offset:256
.LBB1119_103:                           ;   in Loop: Header=BB1119_96 Depth=2
	s_or_b32 exec_lo, exec_lo, s22
	s_waitcnt vmcnt(11)
	v_mov_b32_e32 v49, -1
	v_mov_b32_e32 v41, -1
	v_mov_b32_e32 v50, -1
	v_mov_b32_e32 v42, -1
	s_mov_b32 s22, exec_lo
	v_cmpx_gt_u32_e64 s66, v132
	s_cbranch_execz .LBB1119_105
; %bb.104:                              ;   in Loop: Header=BB1119_96 Depth=2
	global_load_dwordx2 v[41:42], v[45:46], off offset:512
.LBB1119_105:                           ;   in Loop: Header=BB1119_96 Depth=2
	s_or_b32 exec_lo, exec_lo, s22
	s_mov_b32 s22, exec_lo
	v_cmpx_gt_u32_e64 s66, v133
	s_cbranch_execz .LBB1119_107
; %bb.106:                              ;   in Loop: Header=BB1119_96 Depth=2
	global_load_dwordx2 v[49:50], v[45:46], off offset:768
.LBB1119_107:                           ;   in Loop: Header=BB1119_96 Depth=2
	s_or_b32 exec_lo, exec_lo, s22
	s_waitcnt vmcnt(9)
	v_mov_b32_e32 v57, -1
	v_mov_b32_e32 v53, -1
	v_mov_b32_e32 v58, -1
	v_mov_b32_e32 v54, -1
	s_mov_b32 s22, exec_lo
	v_cmpx_gt_u32_e64 s66, v134
	s_cbranch_execz .LBB1119_109
; %bb.108:                              ;   in Loop: Header=BB1119_96 Depth=2
	global_load_dwordx2 v[53:54], v[45:46], off offset:1024
.LBB1119_109:                           ;   in Loop: Header=BB1119_96 Depth=2
	;; [unrolled: 19-line block ×3, first 2 shown]
	s_or_b32 exec_lo, exec_lo, s22
	s_mov_b32 s22, exec_lo
	v_cmpx_gt_u32_e64 s66, v137
	s_cbranch_execz .LBB1119_115
; %bb.114:                              ;   in Loop: Header=BB1119_96 Depth=2
	global_load_dwordx2 v[65:66], v[45:46], off offset:1792
.LBB1119_115:                           ;   in Loop: Header=BB1119_96 Depth=2
	s_or_b32 exec_lo, exec_lo, s22
	s_waitcnt vmcnt(5)
	v_mov_b32_e32 v63, -1
	v_mov_b32_e32 v67, -1
	;; [unrolled: 1-line block ×4, first 2 shown]
	s_mov_b32 s22, exec_lo
	v_cmpx_gt_u32_e64 s66, v138
	s_cbranch_execz .LBB1119_117
; %bb.116:                              ;   in Loop: Header=BB1119_96 Depth=2
	s_waitcnt vmcnt(0)
	v_add_co_u32 v43, vcc_lo, 0x800, v45
	v_add_co_ci_u32_e64 v44, null, 0, v46, vcc_lo
	global_load_dwordx2 v[67:68], v[43:44], off
.LBB1119_117:                           ;   in Loop: Header=BB1119_96 Depth=2
	s_or_b32 exec_lo, exec_lo, s22
	s_mov_b32 s22, exec_lo
	v_cmpx_gt_u32_e64 s66, v139
	s_cbranch_execz .LBB1119_119
; %bb.118:                              ;   in Loop: Header=BB1119_96 Depth=2
	s_waitcnt vmcnt(0)
	v_add_co_u32 v43, vcc_lo, 0x800, v45
	v_add_co_ci_u32_e64 v44, null, 0, v46, vcc_lo
	global_load_dwordx2 v[63:64], v[43:44], off offset:256
.LBB1119_119:                           ;   in Loop: Header=BB1119_96 Depth=2
	s_or_b32 exec_lo, exec_lo, s22
	s_waitcnt vmcnt(3)
	v_mov_b32_e32 v55, -1
	v_mov_b32_e32 v59, -1
	;; [unrolled: 1-line block ×4, first 2 shown]
	s_mov_b32 s22, exec_lo
	v_cmpx_gt_u32_e64 s66, v140
	s_cbranch_execz .LBB1119_121
; %bb.120:                              ;   in Loop: Header=BB1119_96 Depth=2
	s_waitcnt vmcnt(0)
	v_add_co_u32 v43, vcc_lo, 0x800, v45
	v_add_co_ci_u32_e64 v44, null, 0, v46, vcc_lo
	global_load_dwordx2 v[59:60], v[43:44], off offset:512
.LBB1119_121:                           ;   in Loop: Header=BB1119_96 Depth=2
	s_or_b32 exec_lo, exec_lo, s22
	s_mov_b32 s22, exec_lo
	v_cmpx_gt_u32_e64 s66, v141
	s_cbranch_execz .LBB1119_123
; %bb.122:                              ;   in Loop: Header=BB1119_96 Depth=2
	s_waitcnt vmcnt(0)
	v_add_co_u32 v43, vcc_lo, 0x800, v45
	v_add_co_ci_u32_e64 v44, null, 0, v46, vcc_lo
	global_load_dwordx2 v[55:56], v[43:44], off offset:768
.LBB1119_123:                           ;   in Loop: Header=BB1119_96 Depth=2
	s_or_b32 exec_lo, exec_lo, s22
	s_waitcnt vmcnt(1)
	v_mov_b32_e32 v47, -1
	v_mov_b32_e32 v51, -1
	;; [unrolled: 1-line block ×4, first 2 shown]
	s_mov_b32 s22, exec_lo
	v_cmpx_gt_u32_e64 s66, v142
	s_cbranch_execz .LBB1119_125
; %bb.124:                              ;   in Loop: Header=BB1119_96 Depth=2
	s_waitcnt vmcnt(0)
	v_add_co_u32 v43, vcc_lo, 0x800, v45
	v_add_co_ci_u32_e64 v44, null, 0, v46, vcc_lo
	global_load_dwordx2 v[51:52], v[43:44], off offset:1024
.LBB1119_125:                           ;   in Loop: Header=BB1119_96 Depth=2
	s_or_b32 exec_lo, exec_lo, s22
	s_mov_b32 s22, exec_lo
	v_cmpx_gt_u32_e64 s66, v143
	s_cbranch_execz .LBB1119_127
; %bb.126:                              ;   in Loop: Header=BB1119_96 Depth=2
	s_waitcnt vmcnt(0)
	v_add_co_u32 v43, vcc_lo, 0x800, v45
	v_add_co_ci_u32_e64 v44, null, 0, v46, vcc_lo
	global_load_dwordx2 v[47:48], v[43:44], off offset:1280
.LBB1119_127:                           ;   in Loop: Header=BB1119_96 Depth=2
	s_or_b32 exec_lo, exec_lo, s22
	s_waitcnt vmcnt(0)
	v_mov_b32_e32 v43, -1
	v_mov_b32_e32 v44, -1
	s_mov_b32 s22, exec_lo
	v_cmpx_gt_u32_e64 s66, v144
	s_cbranch_execz .LBB1119_129
; %bb.128:                              ;   in Loop: Header=BB1119_96 Depth=2
	v_add_co_u32 v43, vcc_lo, 0x800, v45
	v_add_co_ci_u32_e64 v44, null, 0, v46, vcc_lo
	global_load_dwordx2 v[43:44], v[43:44], off offset:1536
.LBB1119_129:                           ;   in Loop: Header=BB1119_96 Depth=2
	s_or_b32 exec_lo, exec_lo, s22
	v_cmp_gt_u32_e64 s22, s66, v145
	s_sub_i32 s23, s61, s46
.LBB1119_130:                           ;   in Loop: Header=BB1119_96 Depth=2
	v_mov_b32_e32 v45, -1
	v_mov_b32_e32 v46, -1
	v_mov_b32_e32 v167, s66
	s_and_saveexec_b32 s24, s22
	s_cbranch_execz .LBB1119_132
; %bb.131:                              ;   in Loop: Header=BB1119_96 Depth=2
	s_lshl_b64 s[26:27], s[46:47], 3
	v_mov_b32_e32 v167, s23
	v_add_co_u32 v3, vcc_lo, v146, s26
	v_add_co_ci_u32_e64 v46, null, s27, v147, vcc_lo
	v_add_co_u32 v45, vcc_lo, 0x800, v3
	v_add_co_ci_u32_e64 v46, null, 0, v46, vcc_lo
	global_load_dwordx2 v[45:46], v[45:46], off offset:1792
.LBB1119_132:                           ;   in Loop: Header=BB1119_96 Depth=2
	s_or_b32 exec_lo, exec_lo, s24
	s_waitcnt vmcnt(14)
	v_cmp_gt_i64_e32 vcc_lo, 0, v[37:38]
	v_ashrrev_i32_e32 v3, 31, v38
	ds_write2_b32 v98, v4, v4 offset0:136 offset1:137
	ds_write2_b32 v98, v4, v4 offset0:138 offset1:139
	ds_write_b32 v98, v4 offset:560
	s_waitcnt vmcnt(0) lgkmcnt(0)
	s_barrier
	v_cndmask_b32_e64 v69, 0x7fffffff, 0, vcc_lo
	v_not_b32_e32 v3, v3
	buffer_gl0_inv
	; wave barrier
	v_xor_b32_e32 v38, v69, v38
	v_xor_b32_e32 v37, v3, v37
	v_cmp_ne_u64_e32 vcc_lo, s[56:57], v[37:38]
	v_cndmask_b32_e32 v70, 0x7fffffff, v38, vcc_lo
	v_cndmask_b32_e32 v69, -1, v37, vcc_lo
	v_lshrrev_b64 v[69:70], s63, v[69:70]
	v_and_b32_e32 v70, s65, v69
	v_and_b32_e32 v3, 1, v70
	v_lshlrev_b32_e32 v69, 30, v70
	v_lshlrev_b32_e32 v71, 29, v70
	;; [unrolled: 1-line block ×4, first 2 shown]
	v_add_co_u32 v3, s22, v3, -1
	v_cndmask_b32_e64 v72, 0, 1, s22
	v_not_b32_e32 v171, v69
	v_cmp_gt_i32_e64 s22, 0, v69
	v_not_b32_e32 v69, v71
	v_lshlrev_b32_e32 v170, 26, v70
	v_cmp_ne_u32_e32 vcc_lo, 0, v72
	v_ashrrev_i32_e32 v171, 31, v171
	v_lshlrev_b32_e32 v72, 25, v70
	v_ashrrev_i32_e32 v69, 31, v69
	v_mul_u32_u24_e32 v70, 36, v70
	v_xor_b32_e32 v3, vcc_lo, v3
	v_cmp_gt_i32_e32 vcc_lo, 0, v71
	v_not_b32_e32 v71, v168
	v_xor_b32_e32 v171, s22, v171
	v_cmp_gt_i32_e64 s22, 0, v168
	v_and_b32_e32 v3, exec_lo, v3
	v_not_b32_e32 v168, v169
	v_ashrrev_i32_e32 v71, 31, v71
	v_xor_b32_e32 v69, vcc_lo, v69
	v_cmp_gt_i32_e32 vcc_lo, 0, v169
	v_and_b32_e32 v3, v3, v171
	v_not_b32_e32 v169, v170
	v_ashrrev_i32_e32 v168, 31, v168
	v_xor_b32_e32 v71, s22, v71
	v_cmp_gt_i32_e64 s22, 0, v170
	v_and_b32_e32 v3, v3, v69
	v_not_b32_e32 v69, v72
	v_ashrrev_i32_e32 v169, 31, v169
	v_xor_b32_e32 v168, vcc_lo, v168
	v_cmp_gt_i32_e32 vcc_lo, 0, v72
	v_and_b32_e32 v3, v3, v71
	v_ashrrev_i32_e32 v69, 31, v69
	v_xor_b32_e32 v71, s22, v169
	v_and_b32_e32 v3, v3, v168
	v_xor_b32_e32 v69, vcc_lo, v69
	v_add_nc_u32_e32 v168, v148, v70
	v_and_b32_e32 v3, v3, v71
	v_and_b32_e32 v69, v3, v69
	v_mbcnt_lo_u32_b32 v3, v69, 0
	v_cmp_ne_u32_e64 s22, 0, v69
	v_cmp_eq_u32_e32 vcc_lo, 0, v3
	s_and_b32 s23, s22, vcc_lo
	s_and_saveexec_b32 s22, s23
; %bb.133:                              ;   in Loop: Header=BB1119_96 Depth=2
	v_bcnt_u32_b32 v69, v69, 0
	ds_write_b32 v168, v69 offset:544
; %bb.134:                              ;   in Loop: Header=BB1119_96 Depth=2
	s_or_b32 exec_lo, exec_lo, s22
	v_cmp_gt_i64_e32 vcc_lo, 0, v[39:40]
	v_ashrrev_i32_e32 v69, 31, v40
	; wave barrier
	v_not_b32_e32 v69, v69
	v_cndmask_b32_e64 v70, 0x7fffffff, 0, vcc_lo
	v_xor_b32_e32 v39, v69, v39
	v_xor_b32_e32 v40, v70, v40
	v_cmp_ne_u64_e32 vcc_lo, s[56:57], v[39:40]
	v_cndmask_b32_e32 v70, 0x7fffffff, v40, vcc_lo
	v_cndmask_b32_e32 v69, -1, v39, vcc_lo
	v_lshrrev_b64 v[69:70], s63, v[69:70]
	v_and_b32_e32 v70, s65, v69
	v_and_b32_e32 v69, 1, v70
	v_lshlrev_b32_e32 v71, 30, v70
	v_lshlrev_b32_e32 v72, 29, v70
	;; [unrolled: 1-line block ×4, first 2 shown]
	v_add_co_u32 v69, s22, v69, -1
	v_cndmask_b32_e64 v169, 0, 1, s22
	v_not_b32_e32 v173, v71
	v_cmp_gt_i32_e64 s22, 0, v71
	v_not_b32_e32 v71, v72
	v_lshlrev_b32_e32 v172, 26, v70
	v_cmp_ne_u32_e32 vcc_lo, 0, v169
	v_ashrrev_i32_e32 v173, 31, v173
	v_lshlrev_b32_e32 v169, 25, v70
	v_ashrrev_i32_e32 v71, 31, v71
	v_xor_b32_e32 v69, vcc_lo, v69
	v_cmp_gt_i32_e32 vcc_lo, 0, v72
	v_not_b32_e32 v72, v170
	v_xor_b32_e32 v173, s22, v173
	v_cmp_gt_i32_e64 s22, 0, v170
	v_and_b32_e32 v69, exec_lo, v69
	v_not_b32_e32 v170, v171
	v_ashrrev_i32_e32 v72, 31, v72
	v_xor_b32_e32 v71, vcc_lo, v71
	v_cmp_gt_i32_e32 vcc_lo, 0, v171
	v_and_b32_e32 v69, v69, v173
	v_not_b32_e32 v171, v172
	v_ashrrev_i32_e32 v170, 31, v170
	v_xor_b32_e32 v72, s22, v72
	v_cmp_gt_i32_e64 s22, 0, v172
	v_and_b32_e32 v69, v69, v71
	v_not_b32_e32 v71, v169
	v_ashrrev_i32_e32 v171, 31, v171
	v_xor_b32_e32 v170, vcc_lo, v170
	v_cmp_gt_i32_e32 vcc_lo, 0, v169
	v_and_b32_e32 v69, v69, v72
	v_ashrrev_i32_e32 v71, 31, v71
	v_xor_b32_e32 v72, s22, v171
	v_mad_u32_u24 v169, v70, 36, v148
	v_mul_u32_u24_e32 v70, 36, v70
	v_and_b32_e32 v69, v69, v170
	v_xor_b32_e32 v71, vcc_lo, v71
	ds_read_b32 v169, v169 offset:544
	v_add_nc_u32_e32 v171, v148, v70
	v_and_b32_e32 v69, v69, v72
	; wave barrier
	v_and_b32_e32 v69, v69, v71
	v_mbcnt_lo_u32_b32 v170, v69, 0
	v_cmp_ne_u32_e64 s22, 0, v69
	v_cmp_eq_u32_e32 vcc_lo, 0, v170
	s_and_b32 s23, s22, vcc_lo
	s_and_saveexec_b32 s22, s23
	s_cbranch_execz .LBB1119_136
; %bb.135:                              ;   in Loop: Header=BB1119_96 Depth=2
	s_waitcnt lgkmcnt(0)
	v_bcnt_u32_b32 v69, v69, v169
	ds_write_b32 v171, v69 offset:544
.LBB1119_136:                           ;   in Loop: Header=BB1119_96 Depth=2
	s_or_b32 exec_lo, exec_lo, s22
	v_cmp_gt_i64_e32 vcc_lo, 0, v[41:42]
	v_ashrrev_i32_e32 v69, 31, v42
	; wave barrier
	v_not_b32_e32 v69, v69
	v_cndmask_b32_e64 v70, 0x7fffffff, 0, vcc_lo
	v_xor_b32_e32 v41, v69, v41
	v_xor_b32_e32 v42, v70, v42
	v_cmp_ne_u64_e32 vcc_lo, s[56:57], v[41:42]
	v_cndmask_b32_e32 v70, 0x7fffffff, v42, vcc_lo
	v_cndmask_b32_e32 v69, -1, v41, vcc_lo
	v_lshrrev_b64 v[69:70], s63, v[69:70]
	v_and_b32_e32 v70, s65, v69
	v_and_b32_e32 v69, 1, v70
	v_lshlrev_b32_e32 v71, 30, v70
	v_lshlrev_b32_e32 v72, 29, v70
	;; [unrolled: 1-line block ×4, first 2 shown]
	v_add_co_u32 v69, s22, v69, -1
	v_cndmask_b32_e64 v172, 0, 1, s22
	v_not_b32_e32 v176, v71
	v_cmp_gt_i32_e64 s22, 0, v71
	v_not_b32_e32 v71, v72
	v_lshlrev_b32_e32 v175, 26, v70
	v_cmp_ne_u32_e32 vcc_lo, 0, v172
	v_ashrrev_i32_e32 v176, 31, v176
	v_lshlrev_b32_e32 v172, 25, v70
	v_ashrrev_i32_e32 v71, 31, v71
	v_xor_b32_e32 v69, vcc_lo, v69
	v_cmp_gt_i32_e32 vcc_lo, 0, v72
	v_not_b32_e32 v72, v173
	v_xor_b32_e32 v176, s22, v176
	v_cmp_gt_i32_e64 s22, 0, v173
	v_and_b32_e32 v69, exec_lo, v69
	v_not_b32_e32 v173, v174
	v_ashrrev_i32_e32 v72, 31, v72
	v_xor_b32_e32 v71, vcc_lo, v71
	v_cmp_gt_i32_e32 vcc_lo, 0, v174
	v_and_b32_e32 v69, v69, v176
	v_not_b32_e32 v174, v175
	v_ashrrev_i32_e32 v173, 31, v173
	v_xor_b32_e32 v72, s22, v72
	v_cmp_gt_i32_e64 s22, 0, v175
	v_and_b32_e32 v69, v69, v71
	v_not_b32_e32 v71, v172
	v_ashrrev_i32_e32 v174, 31, v174
	v_xor_b32_e32 v173, vcc_lo, v173
	v_cmp_gt_i32_e32 vcc_lo, 0, v172
	v_and_b32_e32 v69, v69, v72
	v_ashrrev_i32_e32 v71, 31, v71
	v_xor_b32_e32 v72, s22, v174
	v_mad_u32_u24 v172, v70, 36, v148
	v_mul_u32_u24_e32 v70, 36, v70
	v_and_b32_e32 v69, v69, v173
	v_xor_b32_e32 v71, vcc_lo, v71
	ds_read_b32 v172, v172 offset:544
	v_add_nc_u32_e32 v174, v148, v70
	v_and_b32_e32 v69, v69, v72
	; wave barrier
	v_and_b32_e32 v69, v69, v71
	v_mbcnt_lo_u32_b32 v173, v69, 0
	v_cmp_ne_u32_e64 s22, 0, v69
	v_cmp_eq_u32_e32 vcc_lo, 0, v173
	s_and_b32 s23, s22, vcc_lo
	s_and_saveexec_b32 s22, s23
	s_cbranch_execz .LBB1119_138
; %bb.137:                              ;   in Loop: Header=BB1119_96 Depth=2
	s_waitcnt lgkmcnt(0)
	v_bcnt_u32_b32 v69, v69, v172
	ds_write_b32 v174, v69 offset:544
.LBB1119_138:                           ;   in Loop: Header=BB1119_96 Depth=2
	s_or_b32 exec_lo, exec_lo, s22
	v_cmp_gt_i64_e32 vcc_lo, 0, v[49:50]
	v_ashrrev_i32_e32 v69, 31, v50
	; wave barrier
	v_not_b32_e32 v69, v69
	v_cndmask_b32_e64 v70, 0x7fffffff, 0, vcc_lo
	v_xor_b32_e32 v49, v69, v49
	v_xor_b32_e32 v50, v70, v50
	v_cmp_ne_u64_e32 vcc_lo, s[56:57], v[49:50]
	v_cndmask_b32_e32 v70, 0x7fffffff, v50, vcc_lo
	v_cndmask_b32_e32 v69, -1, v49, vcc_lo
	v_lshrrev_b64 v[69:70], s63, v[69:70]
	v_and_b32_e32 v70, s65, v69
	v_and_b32_e32 v69, 1, v70
	v_lshlrev_b32_e32 v71, 30, v70
	v_lshlrev_b32_e32 v72, 29, v70
	;; [unrolled: 1-line block ×4, first 2 shown]
	v_add_co_u32 v69, s22, v69, -1
	v_cndmask_b32_e64 v175, 0, 1, s22
	v_not_b32_e32 v179, v71
	v_cmp_gt_i32_e64 s22, 0, v71
	v_not_b32_e32 v71, v72
	v_lshlrev_b32_e32 v178, 26, v70
	v_cmp_ne_u32_e32 vcc_lo, 0, v175
	v_ashrrev_i32_e32 v179, 31, v179
	v_lshlrev_b32_e32 v175, 25, v70
	v_ashrrev_i32_e32 v71, 31, v71
	v_xor_b32_e32 v69, vcc_lo, v69
	v_cmp_gt_i32_e32 vcc_lo, 0, v72
	v_not_b32_e32 v72, v176
	v_xor_b32_e32 v179, s22, v179
	v_cmp_gt_i32_e64 s22, 0, v176
	v_and_b32_e32 v69, exec_lo, v69
	v_not_b32_e32 v176, v177
	v_ashrrev_i32_e32 v72, 31, v72
	v_xor_b32_e32 v71, vcc_lo, v71
	v_cmp_gt_i32_e32 vcc_lo, 0, v177
	v_and_b32_e32 v69, v69, v179
	v_not_b32_e32 v177, v178
	v_ashrrev_i32_e32 v176, 31, v176
	v_xor_b32_e32 v72, s22, v72
	v_cmp_gt_i32_e64 s22, 0, v178
	v_and_b32_e32 v69, v69, v71
	v_not_b32_e32 v71, v175
	v_ashrrev_i32_e32 v177, 31, v177
	v_xor_b32_e32 v176, vcc_lo, v176
	v_cmp_gt_i32_e32 vcc_lo, 0, v175
	v_and_b32_e32 v69, v69, v72
	v_ashrrev_i32_e32 v71, 31, v71
	v_xor_b32_e32 v72, s22, v177
	v_mad_u32_u24 v175, v70, 36, v148
	v_mul_u32_u24_e32 v70, 36, v70
	v_and_b32_e32 v69, v69, v176
	v_xor_b32_e32 v71, vcc_lo, v71
	ds_read_b32 v175, v175 offset:544
	v_add_nc_u32_e32 v177, v148, v70
	v_and_b32_e32 v69, v69, v72
	; wave barrier
	v_and_b32_e32 v69, v69, v71
	v_mbcnt_lo_u32_b32 v176, v69, 0
	v_cmp_ne_u32_e64 s22, 0, v69
	v_cmp_eq_u32_e32 vcc_lo, 0, v176
	s_and_b32 s23, s22, vcc_lo
	s_and_saveexec_b32 s22, s23
	s_cbranch_execz .LBB1119_140
; %bb.139:                              ;   in Loop: Header=BB1119_96 Depth=2
	s_waitcnt lgkmcnt(0)
	v_bcnt_u32_b32 v69, v69, v175
	ds_write_b32 v177, v69 offset:544
.LBB1119_140:                           ;   in Loop: Header=BB1119_96 Depth=2
	s_or_b32 exec_lo, exec_lo, s22
	v_cmp_gt_i64_e32 vcc_lo, 0, v[53:54]
	v_ashrrev_i32_e32 v69, 31, v54
	; wave barrier
	v_not_b32_e32 v69, v69
	v_cndmask_b32_e64 v70, 0x7fffffff, 0, vcc_lo
	v_xor_b32_e32 v53, v69, v53
	v_xor_b32_e32 v54, v70, v54
	v_cmp_ne_u64_e32 vcc_lo, s[56:57], v[53:54]
	v_cndmask_b32_e32 v70, 0x7fffffff, v54, vcc_lo
	v_cndmask_b32_e32 v69, -1, v53, vcc_lo
	v_lshrrev_b64 v[69:70], s63, v[69:70]
	v_and_b32_e32 v70, s65, v69
	v_and_b32_e32 v69, 1, v70
	v_lshlrev_b32_e32 v71, 30, v70
	v_lshlrev_b32_e32 v72, 29, v70
	;; [unrolled: 1-line block ×4, first 2 shown]
	v_add_co_u32 v69, s22, v69, -1
	v_cndmask_b32_e64 v178, 0, 1, s22
	v_not_b32_e32 v182, v71
	v_cmp_gt_i32_e64 s22, 0, v71
	v_not_b32_e32 v71, v72
	v_lshlrev_b32_e32 v181, 26, v70
	v_cmp_ne_u32_e32 vcc_lo, 0, v178
	v_ashrrev_i32_e32 v182, 31, v182
	v_lshlrev_b32_e32 v178, 25, v70
	v_ashrrev_i32_e32 v71, 31, v71
	v_xor_b32_e32 v69, vcc_lo, v69
	v_cmp_gt_i32_e32 vcc_lo, 0, v72
	v_not_b32_e32 v72, v179
	v_xor_b32_e32 v182, s22, v182
	v_cmp_gt_i32_e64 s22, 0, v179
	v_and_b32_e32 v69, exec_lo, v69
	v_not_b32_e32 v179, v180
	v_ashrrev_i32_e32 v72, 31, v72
	v_xor_b32_e32 v71, vcc_lo, v71
	v_cmp_gt_i32_e32 vcc_lo, 0, v180
	v_and_b32_e32 v69, v69, v182
	v_not_b32_e32 v180, v181
	v_ashrrev_i32_e32 v179, 31, v179
	v_xor_b32_e32 v72, s22, v72
	v_cmp_gt_i32_e64 s22, 0, v181
	v_and_b32_e32 v69, v69, v71
	v_not_b32_e32 v71, v178
	v_ashrrev_i32_e32 v180, 31, v180
	v_xor_b32_e32 v179, vcc_lo, v179
	v_cmp_gt_i32_e32 vcc_lo, 0, v178
	v_and_b32_e32 v69, v69, v72
	v_ashrrev_i32_e32 v71, 31, v71
	v_xor_b32_e32 v72, s22, v180
	v_mad_u32_u24 v178, v70, 36, v148
	v_mul_u32_u24_e32 v70, 36, v70
	v_and_b32_e32 v69, v69, v179
	v_xor_b32_e32 v71, vcc_lo, v71
	ds_read_b32 v178, v178 offset:544
	v_add_nc_u32_e32 v180, v148, v70
	v_and_b32_e32 v69, v69, v72
	; wave barrier
	v_and_b32_e32 v69, v69, v71
	v_mbcnt_lo_u32_b32 v179, v69, 0
	v_cmp_ne_u32_e64 s22, 0, v69
	v_cmp_eq_u32_e32 vcc_lo, 0, v179
	s_and_b32 s23, s22, vcc_lo
	s_and_saveexec_b32 s22, s23
	s_cbranch_execz .LBB1119_142
; %bb.141:                              ;   in Loop: Header=BB1119_96 Depth=2
	s_waitcnt lgkmcnt(0)
	v_bcnt_u32_b32 v69, v69, v178
	ds_write_b32 v180, v69 offset:544
.LBB1119_142:                           ;   in Loop: Header=BB1119_96 Depth=2
	s_or_b32 exec_lo, exec_lo, s22
	v_cmp_gt_i64_e32 vcc_lo, 0, v[57:58]
	v_ashrrev_i32_e32 v69, 31, v58
	; wave barrier
	v_not_b32_e32 v69, v69
	v_cndmask_b32_e64 v70, 0x7fffffff, 0, vcc_lo
	v_xor_b32_e32 v57, v69, v57
	v_xor_b32_e32 v58, v70, v58
	v_cmp_ne_u64_e32 vcc_lo, s[56:57], v[57:58]
	v_cndmask_b32_e32 v70, 0x7fffffff, v58, vcc_lo
	v_cndmask_b32_e32 v69, -1, v57, vcc_lo
	v_lshrrev_b64 v[69:70], s63, v[69:70]
	v_and_b32_e32 v70, s65, v69
	v_and_b32_e32 v69, 1, v70
	v_lshlrev_b32_e32 v71, 30, v70
	v_lshlrev_b32_e32 v72, 29, v70
	;; [unrolled: 1-line block ×4, first 2 shown]
	v_add_co_u32 v69, s22, v69, -1
	v_cndmask_b32_e64 v181, 0, 1, s22
	v_not_b32_e32 v185, v71
	v_cmp_gt_i32_e64 s22, 0, v71
	v_not_b32_e32 v71, v72
	v_lshlrev_b32_e32 v184, 26, v70
	v_cmp_ne_u32_e32 vcc_lo, 0, v181
	v_ashrrev_i32_e32 v185, 31, v185
	v_lshlrev_b32_e32 v181, 25, v70
	v_ashrrev_i32_e32 v71, 31, v71
	v_xor_b32_e32 v69, vcc_lo, v69
	v_cmp_gt_i32_e32 vcc_lo, 0, v72
	v_not_b32_e32 v72, v182
	v_xor_b32_e32 v185, s22, v185
	v_cmp_gt_i32_e64 s22, 0, v182
	v_and_b32_e32 v69, exec_lo, v69
	v_not_b32_e32 v182, v183
	v_ashrrev_i32_e32 v72, 31, v72
	v_xor_b32_e32 v71, vcc_lo, v71
	v_cmp_gt_i32_e32 vcc_lo, 0, v183
	v_and_b32_e32 v69, v69, v185
	v_not_b32_e32 v183, v184
	v_ashrrev_i32_e32 v182, 31, v182
	v_xor_b32_e32 v72, s22, v72
	v_cmp_gt_i32_e64 s22, 0, v184
	v_and_b32_e32 v69, v69, v71
	v_not_b32_e32 v71, v181
	v_ashrrev_i32_e32 v183, 31, v183
	v_xor_b32_e32 v182, vcc_lo, v182
	v_cmp_gt_i32_e32 vcc_lo, 0, v181
	v_and_b32_e32 v69, v69, v72
	v_ashrrev_i32_e32 v71, 31, v71
	v_xor_b32_e32 v72, s22, v183
	v_mad_u32_u24 v181, v70, 36, v148
	v_mul_u32_u24_e32 v70, 36, v70
	v_and_b32_e32 v69, v69, v182
	v_xor_b32_e32 v71, vcc_lo, v71
	ds_read_b32 v181, v181 offset:544
	v_add_nc_u32_e32 v183, v148, v70
	v_and_b32_e32 v69, v69, v72
	; wave barrier
	v_and_b32_e32 v69, v69, v71
	v_mbcnt_lo_u32_b32 v182, v69, 0
	v_cmp_ne_u32_e64 s22, 0, v69
	v_cmp_eq_u32_e32 vcc_lo, 0, v182
	s_and_b32 s23, s22, vcc_lo
	s_and_saveexec_b32 s22, s23
	s_cbranch_execz .LBB1119_144
; %bb.143:                              ;   in Loop: Header=BB1119_96 Depth=2
	s_waitcnt lgkmcnt(0)
	v_bcnt_u32_b32 v69, v69, v181
	ds_write_b32 v183, v69 offset:544
.LBB1119_144:                           ;   in Loop: Header=BB1119_96 Depth=2
	s_or_b32 exec_lo, exec_lo, s22
	v_cmp_gt_i64_e32 vcc_lo, 0, v[61:62]
	v_ashrrev_i32_e32 v69, 31, v62
	; wave barrier
	v_not_b32_e32 v69, v69
	v_cndmask_b32_e64 v70, 0x7fffffff, 0, vcc_lo
	v_xor_b32_e32 v61, v69, v61
	v_xor_b32_e32 v62, v70, v62
	v_cmp_ne_u64_e32 vcc_lo, s[56:57], v[61:62]
	v_cndmask_b32_e32 v70, 0x7fffffff, v62, vcc_lo
	v_cndmask_b32_e32 v69, -1, v61, vcc_lo
	v_lshrrev_b64 v[69:70], s63, v[69:70]
	v_and_b32_e32 v70, s65, v69
	v_and_b32_e32 v69, 1, v70
	v_lshlrev_b32_e32 v71, 30, v70
	v_lshlrev_b32_e32 v72, 29, v70
	;; [unrolled: 1-line block ×4, first 2 shown]
	v_add_co_u32 v69, s22, v69, -1
	v_cndmask_b32_e64 v184, 0, 1, s22
	v_not_b32_e32 v188, v71
	v_cmp_gt_i32_e64 s22, 0, v71
	v_not_b32_e32 v71, v72
	v_lshlrev_b32_e32 v187, 26, v70
	v_cmp_ne_u32_e32 vcc_lo, 0, v184
	v_ashrrev_i32_e32 v188, 31, v188
	v_lshlrev_b32_e32 v184, 25, v70
	v_ashrrev_i32_e32 v71, 31, v71
	v_xor_b32_e32 v69, vcc_lo, v69
	v_cmp_gt_i32_e32 vcc_lo, 0, v72
	v_not_b32_e32 v72, v185
	v_xor_b32_e32 v188, s22, v188
	v_cmp_gt_i32_e64 s22, 0, v185
	v_and_b32_e32 v69, exec_lo, v69
	v_not_b32_e32 v185, v186
	v_ashrrev_i32_e32 v72, 31, v72
	v_xor_b32_e32 v71, vcc_lo, v71
	v_cmp_gt_i32_e32 vcc_lo, 0, v186
	v_and_b32_e32 v69, v69, v188
	v_not_b32_e32 v186, v187
	v_ashrrev_i32_e32 v185, 31, v185
	v_xor_b32_e32 v72, s22, v72
	v_cmp_gt_i32_e64 s22, 0, v187
	v_and_b32_e32 v69, v69, v71
	v_not_b32_e32 v71, v184
	v_ashrrev_i32_e32 v186, 31, v186
	v_xor_b32_e32 v185, vcc_lo, v185
	v_cmp_gt_i32_e32 vcc_lo, 0, v184
	v_and_b32_e32 v69, v69, v72
	v_ashrrev_i32_e32 v71, 31, v71
	v_xor_b32_e32 v72, s22, v186
	v_mad_u32_u24 v184, v70, 36, v148
	v_mul_u32_u24_e32 v70, 36, v70
	v_and_b32_e32 v69, v69, v185
	v_xor_b32_e32 v71, vcc_lo, v71
	ds_read_b32 v184, v184 offset:544
	v_add_nc_u32_e32 v186, v148, v70
	v_and_b32_e32 v69, v69, v72
	; wave barrier
	v_and_b32_e32 v69, v69, v71
	v_mbcnt_lo_u32_b32 v185, v69, 0
	v_cmp_ne_u32_e64 s22, 0, v69
	v_cmp_eq_u32_e32 vcc_lo, 0, v185
	s_and_b32 s23, s22, vcc_lo
	s_and_saveexec_b32 s22, s23
	s_cbranch_execz .LBB1119_146
; %bb.145:                              ;   in Loop: Header=BB1119_96 Depth=2
	s_waitcnt lgkmcnt(0)
	v_bcnt_u32_b32 v69, v69, v184
	ds_write_b32 v186, v69 offset:544
.LBB1119_146:                           ;   in Loop: Header=BB1119_96 Depth=2
	s_or_b32 exec_lo, exec_lo, s22
	v_cmp_gt_i64_e32 vcc_lo, 0, v[65:66]
	v_ashrrev_i32_e32 v69, 31, v66
	; wave barrier
	v_not_b32_e32 v69, v69
	v_cndmask_b32_e64 v70, 0x7fffffff, 0, vcc_lo
	v_xor_b32_e32 v65, v69, v65
	v_xor_b32_e32 v66, v70, v66
	v_cmp_ne_u64_e32 vcc_lo, s[56:57], v[65:66]
	v_cndmask_b32_e32 v70, 0x7fffffff, v66, vcc_lo
	v_cndmask_b32_e32 v69, -1, v65, vcc_lo
	v_lshrrev_b64 v[69:70], s63, v[69:70]
	v_and_b32_e32 v70, s65, v69
	v_and_b32_e32 v69, 1, v70
	v_lshlrev_b32_e32 v71, 30, v70
	v_lshlrev_b32_e32 v72, 29, v70
	;; [unrolled: 1-line block ×4, first 2 shown]
	v_add_co_u32 v69, s22, v69, -1
	v_cndmask_b32_e64 v187, 0, 1, s22
	v_not_b32_e32 v191, v71
	v_cmp_gt_i32_e64 s22, 0, v71
	v_not_b32_e32 v71, v72
	v_lshlrev_b32_e32 v190, 26, v70
	v_cmp_ne_u32_e32 vcc_lo, 0, v187
	v_ashrrev_i32_e32 v191, 31, v191
	v_lshlrev_b32_e32 v187, 25, v70
	v_ashrrev_i32_e32 v71, 31, v71
	v_xor_b32_e32 v69, vcc_lo, v69
	v_cmp_gt_i32_e32 vcc_lo, 0, v72
	v_not_b32_e32 v72, v188
	v_xor_b32_e32 v191, s22, v191
	v_cmp_gt_i32_e64 s22, 0, v188
	v_and_b32_e32 v69, exec_lo, v69
	v_not_b32_e32 v188, v189
	v_ashrrev_i32_e32 v72, 31, v72
	v_xor_b32_e32 v71, vcc_lo, v71
	v_cmp_gt_i32_e32 vcc_lo, 0, v189
	v_and_b32_e32 v69, v69, v191
	v_not_b32_e32 v189, v190
	v_ashrrev_i32_e32 v188, 31, v188
	v_xor_b32_e32 v72, s22, v72
	v_cmp_gt_i32_e64 s22, 0, v190
	v_and_b32_e32 v69, v69, v71
	v_not_b32_e32 v71, v187
	v_ashrrev_i32_e32 v189, 31, v189
	v_xor_b32_e32 v188, vcc_lo, v188
	v_cmp_gt_i32_e32 vcc_lo, 0, v187
	v_and_b32_e32 v69, v69, v72
	v_ashrrev_i32_e32 v71, 31, v71
	v_xor_b32_e32 v72, s22, v189
	v_mad_u32_u24 v187, v70, 36, v148
	v_mul_u32_u24_e32 v70, 36, v70
	v_and_b32_e32 v69, v69, v188
	v_xor_b32_e32 v71, vcc_lo, v71
	ds_read_b32 v187, v187 offset:544
	v_add_nc_u32_e32 v189, v148, v70
	v_and_b32_e32 v69, v69, v72
	; wave barrier
	v_and_b32_e32 v69, v69, v71
	v_mbcnt_lo_u32_b32 v188, v69, 0
	v_cmp_ne_u32_e64 s22, 0, v69
	v_cmp_eq_u32_e32 vcc_lo, 0, v188
	s_and_b32 s23, s22, vcc_lo
	s_and_saveexec_b32 s22, s23
	s_cbranch_execz .LBB1119_148
; %bb.147:                              ;   in Loop: Header=BB1119_96 Depth=2
	s_waitcnt lgkmcnt(0)
	v_bcnt_u32_b32 v69, v69, v187
	ds_write_b32 v189, v69 offset:544
.LBB1119_148:                           ;   in Loop: Header=BB1119_96 Depth=2
	s_or_b32 exec_lo, exec_lo, s22
	v_cmp_gt_i64_e32 vcc_lo, 0, v[67:68]
	v_ashrrev_i32_e32 v69, 31, v68
	; wave barrier
	v_not_b32_e32 v69, v69
	v_cndmask_b32_e64 v70, 0x7fffffff, 0, vcc_lo
	v_xor_b32_e32 v67, v69, v67
	v_xor_b32_e32 v68, v70, v68
	v_cmp_ne_u64_e32 vcc_lo, s[56:57], v[67:68]
	v_cndmask_b32_e32 v70, 0x7fffffff, v68, vcc_lo
	v_cndmask_b32_e32 v69, -1, v67, vcc_lo
	v_lshrrev_b64 v[69:70], s63, v[69:70]
	v_and_b32_e32 v70, s65, v69
	v_and_b32_e32 v69, 1, v70
	v_lshlrev_b32_e32 v71, 30, v70
	v_lshlrev_b32_e32 v72, 29, v70
	;; [unrolled: 1-line block ×4, first 2 shown]
	v_add_co_u32 v69, s22, v69, -1
	v_cndmask_b32_e64 v190, 0, 1, s22
	v_not_b32_e32 v194, v71
	v_cmp_gt_i32_e64 s22, 0, v71
	v_not_b32_e32 v71, v72
	v_lshlrev_b32_e32 v193, 26, v70
	v_cmp_ne_u32_e32 vcc_lo, 0, v190
	v_ashrrev_i32_e32 v194, 31, v194
	v_lshlrev_b32_e32 v190, 25, v70
	v_ashrrev_i32_e32 v71, 31, v71
	v_xor_b32_e32 v69, vcc_lo, v69
	v_cmp_gt_i32_e32 vcc_lo, 0, v72
	v_not_b32_e32 v72, v191
	v_xor_b32_e32 v194, s22, v194
	v_cmp_gt_i32_e64 s22, 0, v191
	v_and_b32_e32 v69, exec_lo, v69
	v_not_b32_e32 v191, v192
	v_ashrrev_i32_e32 v72, 31, v72
	v_xor_b32_e32 v71, vcc_lo, v71
	v_cmp_gt_i32_e32 vcc_lo, 0, v192
	v_and_b32_e32 v69, v69, v194
	v_not_b32_e32 v192, v193
	v_ashrrev_i32_e32 v191, 31, v191
	v_xor_b32_e32 v72, s22, v72
	v_cmp_gt_i32_e64 s22, 0, v193
	v_and_b32_e32 v69, v69, v71
	v_not_b32_e32 v71, v190
	v_ashrrev_i32_e32 v192, 31, v192
	v_xor_b32_e32 v191, vcc_lo, v191
	v_cmp_gt_i32_e32 vcc_lo, 0, v190
	v_and_b32_e32 v69, v69, v72
	v_ashrrev_i32_e32 v71, 31, v71
	v_xor_b32_e32 v72, s22, v192
	v_mad_u32_u24 v190, v70, 36, v148
	v_mul_u32_u24_e32 v70, 36, v70
	v_and_b32_e32 v69, v69, v191
	v_xor_b32_e32 v71, vcc_lo, v71
	ds_read_b32 v190, v190 offset:544
	v_add_nc_u32_e32 v192, v148, v70
	v_and_b32_e32 v69, v69, v72
	; wave barrier
	v_and_b32_e32 v69, v69, v71
	v_mbcnt_lo_u32_b32 v191, v69, 0
	v_cmp_ne_u32_e64 s22, 0, v69
	v_cmp_eq_u32_e32 vcc_lo, 0, v191
	s_and_b32 s23, s22, vcc_lo
	s_and_saveexec_b32 s22, s23
	s_cbranch_execz .LBB1119_150
; %bb.149:                              ;   in Loop: Header=BB1119_96 Depth=2
	s_waitcnt lgkmcnt(0)
	v_bcnt_u32_b32 v69, v69, v190
	ds_write_b32 v192, v69 offset:544
.LBB1119_150:                           ;   in Loop: Header=BB1119_96 Depth=2
	s_or_b32 exec_lo, exec_lo, s22
	v_cmp_gt_i64_e32 vcc_lo, 0, v[63:64]
	v_ashrrev_i32_e32 v69, 31, v64
	; wave barrier
	v_not_b32_e32 v69, v69
	v_cndmask_b32_e64 v70, 0x7fffffff, 0, vcc_lo
	v_xor_b32_e32 v63, v69, v63
	v_xor_b32_e32 v64, v70, v64
	v_cmp_ne_u64_e32 vcc_lo, s[56:57], v[63:64]
	v_cndmask_b32_e32 v70, 0x7fffffff, v64, vcc_lo
	v_cndmask_b32_e32 v69, -1, v63, vcc_lo
	v_lshrrev_b64 v[69:70], s63, v[69:70]
	v_and_b32_e32 v70, s65, v69
	v_and_b32_e32 v69, 1, v70
	v_lshlrev_b32_e32 v71, 30, v70
	v_lshlrev_b32_e32 v72, 29, v70
	;; [unrolled: 1-line block ×4, first 2 shown]
	v_add_co_u32 v69, s22, v69, -1
	v_cndmask_b32_e64 v193, 0, 1, s22
	v_not_b32_e32 v197, v71
	v_cmp_gt_i32_e64 s22, 0, v71
	v_not_b32_e32 v71, v72
	v_lshlrev_b32_e32 v196, 26, v70
	v_cmp_ne_u32_e32 vcc_lo, 0, v193
	v_ashrrev_i32_e32 v197, 31, v197
	v_lshlrev_b32_e32 v193, 25, v70
	v_ashrrev_i32_e32 v71, 31, v71
	v_xor_b32_e32 v69, vcc_lo, v69
	v_cmp_gt_i32_e32 vcc_lo, 0, v72
	v_not_b32_e32 v72, v194
	v_xor_b32_e32 v197, s22, v197
	v_cmp_gt_i32_e64 s22, 0, v194
	v_and_b32_e32 v69, exec_lo, v69
	v_not_b32_e32 v194, v195
	v_ashrrev_i32_e32 v72, 31, v72
	v_xor_b32_e32 v71, vcc_lo, v71
	v_cmp_gt_i32_e32 vcc_lo, 0, v195
	v_and_b32_e32 v69, v69, v197
	v_not_b32_e32 v195, v196
	v_ashrrev_i32_e32 v194, 31, v194
	v_xor_b32_e32 v72, s22, v72
	v_cmp_gt_i32_e64 s22, 0, v196
	v_and_b32_e32 v69, v69, v71
	v_not_b32_e32 v71, v193
	v_ashrrev_i32_e32 v195, 31, v195
	v_xor_b32_e32 v194, vcc_lo, v194
	v_cmp_gt_i32_e32 vcc_lo, 0, v193
	v_and_b32_e32 v69, v69, v72
	v_ashrrev_i32_e32 v71, 31, v71
	v_xor_b32_e32 v72, s22, v195
	v_mad_u32_u24 v193, v70, 36, v148
	v_mul_u32_u24_e32 v70, 36, v70
	v_and_b32_e32 v69, v69, v194
	v_xor_b32_e32 v71, vcc_lo, v71
	ds_read_b32 v193, v193 offset:544
	v_add_nc_u32_e32 v195, v148, v70
	v_and_b32_e32 v69, v69, v72
	; wave barrier
	v_and_b32_e32 v69, v69, v71
	v_mbcnt_lo_u32_b32 v194, v69, 0
	v_cmp_ne_u32_e64 s22, 0, v69
	v_cmp_eq_u32_e32 vcc_lo, 0, v194
	s_and_b32 s23, s22, vcc_lo
	s_and_saveexec_b32 s22, s23
	s_cbranch_execz .LBB1119_152
; %bb.151:                              ;   in Loop: Header=BB1119_96 Depth=2
	s_waitcnt lgkmcnt(0)
	v_bcnt_u32_b32 v69, v69, v193
	ds_write_b32 v195, v69 offset:544
.LBB1119_152:                           ;   in Loop: Header=BB1119_96 Depth=2
	s_or_b32 exec_lo, exec_lo, s22
	v_cmp_gt_i64_e32 vcc_lo, 0, v[59:60]
	v_ashrrev_i32_e32 v69, 31, v60
	; wave barrier
	v_not_b32_e32 v69, v69
	v_cndmask_b32_e64 v70, 0x7fffffff, 0, vcc_lo
	v_xor_b32_e32 v59, v69, v59
	v_xor_b32_e32 v60, v70, v60
	v_cmp_ne_u64_e32 vcc_lo, s[56:57], v[59:60]
	v_cndmask_b32_e32 v70, 0x7fffffff, v60, vcc_lo
	v_cndmask_b32_e32 v69, -1, v59, vcc_lo
	v_lshrrev_b64 v[69:70], s63, v[69:70]
	v_and_b32_e32 v70, s65, v69
	v_and_b32_e32 v69, 1, v70
	v_lshlrev_b32_e32 v71, 30, v70
	v_lshlrev_b32_e32 v72, 29, v70
	;; [unrolled: 1-line block ×4, first 2 shown]
	v_add_co_u32 v69, s22, v69, -1
	v_cndmask_b32_e64 v196, 0, 1, s22
	v_not_b32_e32 v200, v71
	v_cmp_gt_i32_e64 s22, 0, v71
	v_not_b32_e32 v71, v72
	v_lshlrev_b32_e32 v199, 26, v70
	v_cmp_ne_u32_e32 vcc_lo, 0, v196
	v_ashrrev_i32_e32 v200, 31, v200
	v_lshlrev_b32_e32 v196, 25, v70
	v_ashrrev_i32_e32 v71, 31, v71
	v_xor_b32_e32 v69, vcc_lo, v69
	v_cmp_gt_i32_e32 vcc_lo, 0, v72
	v_not_b32_e32 v72, v197
	v_xor_b32_e32 v200, s22, v200
	v_cmp_gt_i32_e64 s22, 0, v197
	v_and_b32_e32 v69, exec_lo, v69
	v_not_b32_e32 v197, v198
	v_ashrrev_i32_e32 v72, 31, v72
	v_xor_b32_e32 v71, vcc_lo, v71
	v_cmp_gt_i32_e32 vcc_lo, 0, v198
	v_and_b32_e32 v69, v69, v200
	v_not_b32_e32 v198, v199
	v_ashrrev_i32_e32 v197, 31, v197
	v_xor_b32_e32 v72, s22, v72
	v_cmp_gt_i32_e64 s22, 0, v199
	v_and_b32_e32 v69, v69, v71
	v_not_b32_e32 v71, v196
	v_ashrrev_i32_e32 v198, 31, v198
	v_xor_b32_e32 v197, vcc_lo, v197
	v_cmp_gt_i32_e32 vcc_lo, 0, v196
	v_and_b32_e32 v69, v69, v72
	v_ashrrev_i32_e32 v71, 31, v71
	v_xor_b32_e32 v72, s22, v198
	v_mad_u32_u24 v196, v70, 36, v148
	v_mul_u32_u24_e32 v70, 36, v70
	v_and_b32_e32 v69, v69, v197
	v_xor_b32_e32 v71, vcc_lo, v71
	ds_read_b32 v196, v196 offset:544
	v_add_nc_u32_e32 v200, v148, v70
	v_and_b32_e32 v69, v69, v72
	; wave barrier
	v_and_b32_e32 v69, v69, v71
	v_mbcnt_lo_u32_b32 v197, v69, 0
	v_cmp_ne_u32_e64 s22, 0, v69
	v_cmp_eq_u32_e32 vcc_lo, 0, v197
	s_and_b32 s23, s22, vcc_lo
	s_and_saveexec_b32 s22, s23
	s_cbranch_execz .LBB1119_154
; %bb.153:                              ;   in Loop: Header=BB1119_96 Depth=2
	s_waitcnt lgkmcnt(0)
	v_bcnt_u32_b32 v69, v69, v196
	ds_write_b32 v200, v69 offset:544
.LBB1119_154:                           ;   in Loop: Header=BB1119_96 Depth=2
	s_or_b32 exec_lo, exec_lo, s22
	v_cmp_gt_i64_e32 vcc_lo, 0, v[55:56]
	v_ashrrev_i32_e32 v69, 31, v56
	; wave barrier
	v_not_b32_e32 v69, v69
	v_cndmask_b32_e64 v70, 0x7fffffff, 0, vcc_lo
	v_xor_b32_e32 v55, v69, v55
	v_xor_b32_e32 v56, v70, v56
	v_cmp_ne_u64_e32 vcc_lo, s[56:57], v[55:56]
	v_cndmask_b32_e32 v70, 0x7fffffff, v56, vcc_lo
	v_cndmask_b32_e32 v69, -1, v55, vcc_lo
	v_lshrrev_b64 v[69:70], s63, v[69:70]
	v_and_b32_e32 v70, s65, v69
	v_and_b32_e32 v69, 1, v70
	v_lshlrev_b32_e32 v71, 30, v70
	v_lshlrev_b32_e32 v72, 29, v70
	;; [unrolled: 1-line block ×4, first 2 shown]
	v_add_co_u32 v69, s22, v69, -1
	v_cndmask_b32_e64 v198, 0, 1, s22
	v_not_b32_e32 v203, v71
	v_cmp_gt_i32_e64 s22, 0, v71
	v_not_b32_e32 v71, v72
	v_lshlrev_b32_e32 v202, 26, v70
	v_cmp_ne_u32_e32 vcc_lo, 0, v198
	v_ashrrev_i32_e32 v203, 31, v203
	v_lshlrev_b32_e32 v198, 25, v70
	v_ashrrev_i32_e32 v71, 31, v71
	v_xor_b32_e32 v69, vcc_lo, v69
	v_cmp_gt_i32_e32 vcc_lo, 0, v72
	v_not_b32_e32 v72, v199
	v_xor_b32_e32 v203, s22, v203
	v_cmp_gt_i32_e64 s22, 0, v199
	v_and_b32_e32 v69, exec_lo, v69
	v_not_b32_e32 v199, v201
	v_ashrrev_i32_e32 v72, 31, v72
	v_xor_b32_e32 v71, vcc_lo, v71
	v_cmp_gt_i32_e32 vcc_lo, 0, v201
	v_and_b32_e32 v69, v69, v203
	v_not_b32_e32 v201, v202
	v_ashrrev_i32_e32 v199, 31, v199
	v_xor_b32_e32 v72, s22, v72
	v_cmp_gt_i32_e64 s22, 0, v202
	v_and_b32_e32 v69, v69, v71
	v_not_b32_e32 v71, v198
	v_ashrrev_i32_e32 v201, 31, v201
	v_xor_b32_e32 v199, vcc_lo, v199
	v_cmp_gt_i32_e32 vcc_lo, 0, v198
	v_and_b32_e32 v69, v69, v72
	v_ashrrev_i32_e32 v71, 31, v71
	v_xor_b32_e32 v72, s22, v201
	v_mad_u32_u24 v198, v70, 36, v148
	v_mul_u32_u24_e32 v70, 36, v70
	v_and_b32_e32 v69, v69, v199
	v_xor_b32_e32 v71, vcc_lo, v71
	ds_read_b32 v198, v198 offset:544
	v_add_nc_u32_e32 v203, v148, v70
	v_and_b32_e32 v69, v69, v72
	; wave barrier
	v_and_b32_e32 v69, v69, v71
	v_mbcnt_lo_u32_b32 v199, v69, 0
	v_cmp_ne_u32_e64 s22, 0, v69
	v_cmp_eq_u32_e32 vcc_lo, 0, v199
	s_and_b32 s23, s22, vcc_lo
	s_and_saveexec_b32 s22, s23
	s_cbranch_execz .LBB1119_156
; %bb.155:                              ;   in Loop: Header=BB1119_96 Depth=2
	s_waitcnt lgkmcnt(0)
	v_bcnt_u32_b32 v69, v69, v198
	ds_write_b32 v203, v69 offset:544
.LBB1119_156:                           ;   in Loop: Header=BB1119_96 Depth=2
	s_or_b32 exec_lo, exec_lo, s22
	v_cmp_gt_i64_e32 vcc_lo, 0, v[51:52]
	v_ashrrev_i32_e32 v69, 31, v52
	; wave barrier
	v_not_b32_e32 v69, v69
	v_cndmask_b32_e64 v70, 0x7fffffff, 0, vcc_lo
	v_xor_b32_e32 v51, v69, v51
	v_xor_b32_e32 v52, v70, v52
	v_cmp_ne_u64_e32 vcc_lo, s[56:57], v[51:52]
	v_cndmask_b32_e32 v70, 0x7fffffff, v52, vcc_lo
	v_cndmask_b32_e32 v69, -1, v51, vcc_lo
	v_lshrrev_b64 v[69:70], s63, v[69:70]
	v_and_b32_e32 v70, s65, v69
	v_and_b32_e32 v69, 1, v70
	v_lshlrev_b32_e32 v71, 30, v70
	v_lshlrev_b32_e32 v72, 29, v70
	;; [unrolled: 1-line block ×4, first 2 shown]
	v_add_co_u32 v69, s22, v69, -1
	v_cndmask_b32_e64 v201, 0, 1, s22
	v_not_b32_e32 v206, v71
	v_cmp_gt_i32_e64 s22, 0, v71
	v_not_b32_e32 v71, v72
	v_lshlrev_b32_e32 v205, 26, v70
	v_cmp_ne_u32_e32 vcc_lo, 0, v201
	v_ashrrev_i32_e32 v206, 31, v206
	v_lshlrev_b32_e32 v201, 25, v70
	v_ashrrev_i32_e32 v71, 31, v71
	v_xor_b32_e32 v69, vcc_lo, v69
	v_cmp_gt_i32_e32 vcc_lo, 0, v72
	v_not_b32_e32 v72, v202
	v_xor_b32_e32 v206, s22, v206
	v_cmp_gt_i32_e64 s22, 0, v202
	v_and_b32_e32 v69, exec_lo, v69
	v_not_b32_e32 v202, v204
	v_ashrrev_i32_e32 v72, 31, v72
	v_xor_b32_e32 v71, vcc_lo, v71
	v_cmp_gt_i32_e32 vcc_lo, 0, v204
	v_and_b32_e32 v69, v69, v206
	v_not_b32_e32 v204, v205
	v_ashrrev_i32_e32 v202, 31, v202
	v_xor_b32_e32 v72, s22, v72
	v_cmp_gt_i32_e64 s22, 0, v205
	v_and_b32_e32 v69, v69, v71
	v_not_b32_e32 v71, v201
	v_ashrrev_i32_e32 v204, 31, v204
	v_xor_b32_e32 v202, vcc_lo, v202
	v_cmp_gt_i32_e32 vcc_lo, 0, v201
	v_and_b32_e32 v69, v69, v72
	v_ashrrev_i32_e32 v71, 31, v71
	v_xor_b32_e32 v72, s22, v204
	v_mad_u32_u24 v201, v70, 36, v148
	v_mul_u32_u24_e32 v70, 36, v70
	v_and_b32_e32 v69, v69, v202
	v_xor_b32_e32 v71, vcc_lo, v71
	ds_read_b32 v201, v201 offset:544
	v_add_nc_u32_e32 v206, v148, v70
	v_and_b32_e32 v69, v69, v72
	; wave barrier
	v_and_b32_e32 v69, v69, v71
	v_mbcnt_lo_u32_b32 v202, v69, 0
	v_cmp_ne_u32_e64 s22, 0, v69
	v_cmp_eq_u32_e32 vcc_lo, 0, v202
	s_and_b32 s23, s22, vcc_lo
	s_and_saveexec_b32 s22, s23
	s_cbranch_execz .LBB1119_158
; %bb.157:                              ;   in Loop: Header=BB1119_96 Depth=2
	s_waitcnt lgkmcnt(0)
	v_bcnt_u32_b32 v69, v69, v201
	ds_write_b32 v206, v69 offset:544
.LBB1119_158:                           ;   in Loop: Header=BB1119_96 Depth=2
	s_or_b32 exec_lo, exec_lo, s22
	v_cmp_gt_i64_e32 vcc_lo, 0, v[47:48]
	v_ashrrev_i32_e32 v69, 31, v48
	; wave barrier
	v_not_b32_e32 v69, v69
	v_cndmask_b32_e64 v70, 0x7fffffff, 0, vcc_lo
	v_xor_b32_e32 v47, v69, v47
	v_xor_b32_e32 v48, v70, v48
	v_cmp_ne_u64_e32 vcc_lo, s[56:57], v[47:48]
	v_cndmask_b32_e32 v70, 0x7fffffff, v48, vcc_lo
	v_cndmask_b32_e32 v69, -1, v47, vcc_lo
	v_lshrrev_b64 v[69:70], s63, v[69:70]
	v_and_b32_e32 v70, s65, v69
	v_and_b32_e32 v69, 1, v70
	v_lshlrev_b32_e32 v71, 30, v70
	v_lshlrev_b32_e32 v72, 29, v70
	;; [unrolled: 1-line block ×4, first 2 shown]
	v_add_co_u32 v69, s22, v69, -1
	v_cndmask_b32_e64 v204, 0, 1, s22
	v_not_b32_e32 v209, v71
	v_cmp_gt_i32_e64 s22, 0, v71
	v_not_b32_e32 v71, v72
	v_lshlrev_b32_e32 v208, 26, v70
	v_cmp_ne_u32_e32 vcc_lo, 0, v204
	v_ashrrev_i32_e32 v209, 31, v209
	v_lshlrev_b32_e32 v204, 25, v70
	v_ashrrev_i32_e32 v71, 31, v71
	v_xor_b32_e32 v69, vcc_lo, v69
	v_cmp_gt_i32_e32 vcc_lo, 0, v72
	v_not_b32_e32 v72, v205
	v_xor_b32_e32 v209, s22, v209
	v_cmp_gt_i32_e64 s22, 0, v205
	v_and_b32_e32 v69, exec_lo, v69
	v_not_b32_e32 v205, v207
	v_ashrrev_i32_e32 v72, 31, v72
	v_xor_b32_e32 v71, vcc_lo, v71
	v_cmp_gt_i32_e32 vcc_lo, 0, v207
	v_and_b32_e32 v69, v69, v209
	v_not_b32_e32 v207, v208
	v_ashrrev_i32_e32 v205, 31, v205
	v_xor_b32_e32 v72, s22, v72
	v_cmp_gt_i32_e64 s22, 0, v208
	v_and_b32_e32 v69, v69, v71
	v_not_b32_e32 v71, v204
	v_ashrrev_i32_e32 v207, 31, v207
	v_xor_b32_e32 v205, vcc_lo, v205
	v_cmp_gt_i32_e32 vcc_lo, 0, v204
	v_and_b32_e32 v69, v69, v72
	v_ashrrev_i32_e32 v71, 31, v71
	v_xor_b32_e32 v72, s22, v207
	v_mad_u32_u24 v204, v70, 36, v148
	v_mul_u32_u24_e32 v70, 36, v70
	v_and_b32_e32 v69, v69, v205
	v_xor_b32_e32 v71, vcc_lo, v71
	ds_read_b32 v204, v204 offset:544
	v_add_nc_u32_e32 v209, v148, v70
	v_and_b32_e32 v69, v69, v72
	; wave barrier
	v_and_b32_e32 v69, v69, v71
	v_mbcnt_lo_u32_b32 v205, v69, 0
	v_cmp_ne_u32_e64 s22, 0, v69
	v_cmp_eq_u32_e32 vcc_lo, 0, v205
	s_and_b32 s23, s22, vcc_lo
	s_and_saveexec_b32 s22, s23
	s_cbranch_execz .LBB1119_160
; %bb.159:                              ;   in Loop: Header=BB1119_96 Depth=2
	s_waitcnt lgkmcnt(0)
	v_bcnt_u32_b32 v69, v69, v204
	ds_write_b32 v209, v69 offset:544
.LBB1119_160:                           ;   in Loop: Header=BB1119_96 Depth=2
	s_or_b32 exec_lo, exec_lo, s22
	v_cmp_gt_i64_e32 vcc_lo, 0, v[43:44]
	v_ashrrev_i32_e32 v69, 31, v44
	; wave barrier
	v_not_b32_e32 v69, v69
	v_cndmask_b32_e64 v70, 0x7fffffff, 0, vcc_lo
	v_xor_b32_e32 v43, v69, v43
	v_xor_b32_e32 v44, v70, v44
	v_cmp_ne_u64_e32 vcc_lo, s[56:57], v[43:44]
	v_cndmask_b32_e32 v70, 0x7fffffff, v44, vcc_lo
	v_cndmask_b32_e32 v69, -1, v43, vcc_lo
	v_lshrrev_b64 v[69:70], s63, v[69:70]
	v_and_b32_e32 v70, s65, v69
	v_and_b32_e32 v69, 1, v70
	v_lshlrev_b32_e32 v71, 30, v70
	v_lshlrev_b32_e32 v72, 29, v70
	v_lshlrev_b32_e32 v208, 28, v70
	v_lshlrev_b32_e32 v210, 27, v70
	v_add_co_u32 v69, s22, v69, -1
	v_cndmask_b32_e64 v207, 0, 1, s22
	v_not_b32_e32 v212, v71
	v_cmp_gt_i32_e64 s22, 0, v71
	v_not_b32_e32 v71, v72
	v_lshlrev_b32_e32 v211, 26, v70
	v_cmp_ne_u32_e32 vcc_lo, 0, v207
	v_ashrrev_i32_e32 v212, 31, v212
	v_lshlrev_b32_e32 v207, 25, v70
	v_ashrrev_i32_e32 v71, 31, v71
	v_xor_b32_e32 v69, vcc_lo, v69
	v_cmp_gt_i32_e32 vcc_lo, 0, v72
	v_not_b32_e32 v72, v208
	v_xor_b32_e32 v212, s22, v212
	v_cmp_gt_i32_e64 s22, 0, v208
	v_and_b32_e32 v69, exec_lo, v69
	v_not_b32_e32 v208, v210
	v_ashrrev_i32_e32 v72, 31, v72
	v_xor_b32_e32 v71, vcc_lo, v71
	v_cmp_gt_i32_e32 vcc_lo, 0, v210
	v_and_b32_e32 v69, v69, v212
	v_not_b32_e32 v210, v211
	v_ashrrev_i32_e32 v208, 31, v208
	v_xor_b32_e32 v72, s22, v72
	v_cmp_gt_i32_e64 s22, 0, v211
	v_and_b32_e32 v69, v69, v71
	v_not_b32_e32 v71, v207
	v_ashrrev_i32_e32 v210, 31, v210
	v_xor_b32_e32 v208, vcc_lo, v208
	v_cmp_gt_i32_e32 vcc_lo, 0, v207
	v_and_b32_e32 v69, v69, v72
	v_ashrrev_i32_e32 v71, 31, v71
	v_xor_b32_e32 v72, s22, v210
	v_mad_u32_u24 v207, v70, 36, v148
	v_mul_u32_u24_e32 v70, 36, v70
	v_and_b32_e32 v69, v69, v208
	v_xor_b32_e32 v71, vcc_lo, v71
	ds_read_b32 v207, v207 offset:544
	v_add_nc_u32_e32 v212, v148, v70
	v_and_b32_e32 v69, v69, v72
	; wave barrier
	v_and_b32_e32 v69, v69, v71
	v_mbcnt_lo_u32_b32 v208, v69, 0
	v_cmp_ne_u32_e64 s22, 0, v69
	v_cmp_eq_u32_e32 vcc_lo, 0, v208
	s_and_b32 s23, s22, vcc_lo
	s_and_saveexec_b32 s22, s23
	s_cbranch_execz .LBB1119_162
; %bb.161:                              ;   in Loop: Header=BB1119_96 Depth=2
	s_waitcnt lgkmcnt(0)
	v_bcnt_u32_b32 v69, v69, v207
	ds_write_b32 v212, v69 offset:544
.LBB1119_162:                           ;   in Loop: Header=BB1119_96 Depth=2
	s_or_b32 exec_lo, exec_lo, s22
	v_cmp_gt_i64_e32 vcc_lo, 0, v[45:46]
	v_ashrrev_i32_e32 v69, 31, v46
	; wave barrier
	v_not_b32_e32 v69, v69
	v_cndmask_b32_e64 v70, 0x7fffffff, 0, vcc_lo
	v_xor_b32_e32 v45, v69, v45
	v_xor_b32_e32 v46, v70, v46
	v_cmp_ne_u64_e32 vcc_lo, s[56:57], v[45:46]
	v_cndmask_b32_e32 v70, 0x7fffffff, v46, vcc_lo
	v_cndmask_b32_e32 v69, -1, v45, vcc_lo
	v_lshrrev_b64 v[69:70], s63, v[69:70]
	v_and_b32_e32 v70, s65, v69
	v_and_b32_e32 v69, 1, v70
	v_lshlrev_b32_e32 v71, 30, v70
	v_lshlrev_b32_e32 v72, 29, v70
	;; [unrolled: 1-line block ×4, first 2 shown]
	v_add_co_u32 v69, s22, v69, -1
	v_cndmask_b32_e64 v210, 0, 1, s22
	v_not_b32_e32 v215, v71
	v_cmp_gt_i32_e64 s22, 0, v71
	v_not_b32_e32 v71, v72
	v_lshlrev_b32_e32 v214, 26, v70
	v_cmp_ne_u32_e32 vcc_lo, 0, v210
	v_ashrrev_i32_e32 v215, 31, v215
	v_lshlrev_b32_e32 v210, 25, v70
	v_ashrrev_i32_e32 v71, 31, v71
	v_xor_b32_e32 v69, vcc_lo, v69
	v_cmp_gt_i32_e32 vcc_lo, 0, v72
	v_not_b32_e32 v72, v211
	v_xor_b32_e32 v215, s22, v215
	v_cmp_gt_i32_e64 s22, 0, v211
	v_and_b32_e32 v69, exec_lo, v69
	v_not_b32_e32 v211, v213
	v_ashrrev_i32_e32 v72, 31, v72
	v_xor_b32_e32 v71, vcc_lo, v71
	v_cmp_gt_i32_e32 vcc_lo, 0, v213
	v_and_b32_e32 v69, v69, v215
	v_not_b32_e32 v213, v214
	v_ashrrev_i32_e32 v211, 31, v211
	v_xor_b32_e32 v72, s22, v72
	v_cmp_gt_i32_e64 s22, 0, v214
	v_and_b32_e32 v69, v69, v71
	v_not_b32_e32 v71, v210
	v_ashrrev_i32_e32 v213, 31, v213
	v_xor_b32_e32 v211, vcc_lo, v211
	v_cmp_gt_i32_e32 vcc_lo, 0, v210
	v_and_b32_e32 v69, v69, v72
	v_ashrrev_i32_e32 v71, 31, v71
	v_xor_b32_e32 v72, s22, v213
	v_mad_u32_u24 v210, v70, 36, v148
	v_mul_u32_u24_e32 v70, 36, v70
	v_and_b32_e32 v69, v69, v211
	v_xor_b32_e32 v71, vcc_lo, v71
	ds_read_b32 v210, v210 offset:544
	v_add_nc_u32_e32 v213, v148, v70
	v_and_b32_e32 v69, v69, v72
	; wave barrier
	v_and_b32_e32 v69, v69, v71
	v_mbcnt_lo_u32_b32 v211, v69, 0
	v_cmp_ne_u32_e64 s22, 0, v69
	v_cmp_eq_u32_e32 vcc_lo, 0, v211
	s_and_b32 s23, s22, vcc_lo
	s_and_saveexec_b32 s22, s23
	s_cbranch_execz .LBB1119_164
; %bb.163:                              ;   in Loop: Header=BB1119_96 Depth=2
	s_waitcnt lgkmcnt(0)
	v_bcnt_u32_b32 v69, v69, v210
	ds_write_b32 v213, v69 offset:544
.LBB1119_164:                           ;   in Loop: Header=BB1119_96 Depth=2
	s_or_b32 exec_lo, exec_lo, s22
	; wave barrier
	s_waitcnt lgkmcnt(0)
	s_barrier
	buffer_gl0_inv
	ds_read2_b32 v[71:72], v98 offset0:136 offset1:137
	ds_read2_b32 v[69:70], v98 offset0:138 offset1:139
	ds_read_b32 v214, v98 offset:560
	s_waitcnt lgkmcnt(1)
	v_add3_u32 v215, v72, v71, v69
	s_waitcnt lgkmcnt(0)
	v_add3_u32 v214, v215, v70, v214
	v_mov_b32_dpp v215, v214 row_shr:1 row_mask:0xf bank_mask:0xf
	v_cndmask_b32_e64 v215, v215, 0, s13
	v_add_nc_u32_e32 v214, v215, v214
	v_mov_b32_dpp v215, v214 row_shr:2 row_mask:0xf bank_mask:0xf
	v_cndmask_b32_e64 v215, 0, v215, s14
	v_add_nc_u32_e32 v214, v214, v215
	;; [unrolled: 3-line block ×4, first 2 shown]
	ds_swizzle_b32 v215, v214 offset:swizzle(BROADCAST,32,15)
	s_waitcnt lgkmcnt(0)
	v_cndmask_b32_e64 v215, v215, 0, s17
	v_add_nc_u32_e32 v214, v214, v215
	s_and_saveexec_b32 s22, s4
; %bb.165:                              ;   in Loop: Header=BB1119_96 Depth=2
	ds_write_b32 v92, v214 offset:512
; %bb.166:                              ;   in Loop: Header=BB1119_96 Depth=2
	s_or_b32 exec_lo, exec_lo, s22
	s_waitcnt lgkmcnt(0)
	s_barrier
	buffer_gl0_inv
	s_and_saveexec_b32 s22, s5
	s_cbranch_execz .LBB1119_168
; %bb.167:                              ;   in Loop: Header=BB1119_96 Depth=2
	ds_read_b32 v215, v99 offset:512
	s_waitcnt lgkmcnt(0)
	v_mov_b32_dpp v216, v215 row_shr:1 row_mask:0xf bank_mask:0xf
	v_cndmask_b32_e64 v216, v216, 0, s19
	v_add_nc_u32_e32 v215, v216, v215
	v_mov_b32_dpp v216, v215 row_shr:2 row_mask:0xf bank_mask:0xf
	v_cndmask_b32_e64 v216, 0, v216, s20
	v_add_nc_u32_e32 v215, v215, v216
	;; [unrolled: 3-line block ×3, first 2 shown]
	ds_write_b32 v99, v215 offset:512
.LBB1119_168:                           ;   in Loop: Header=BB1119_96 Depth=2
	s_or_b32 exec_lo, exec_lo, s22
	v_mov_b32_e32 v215, 0
	s_waitcnt lgkmcnt(0)
	s_barrier
	buffer_gl0_inv
	s_and_saveexec_b32 s22, s10
; %bb.169:                              ;   in Loop: Header=BB1119_96 Depth=2
	ds_read_b32 v215, v92 offset:508
; %bb.170:                              ;   in Loop: Header=BB1119_96 Depth=2
	s_or_b32 exec_lo, exec_lo, s22
	s_waitcnt lgkmcnt(0)
	v_add_nc_u32_e32 v214, v215, v214
	ds_bpermute_b32 v214, v127, v214
	s_waitcnt lgkmcnt(0)
	v_cndmask_b32_e64 v214, v214, v215, s18
	v_cndmask_b32_e64 v214, v214, 0, s11
	v_add_nc_u32_e32 v71, v214, v71
	v_add_nc_u32_e32 v72, v71, v72
	;; [unrolled: 1-line block ×4, first 2 shown]
	ds_write2_b32 v98, v214, v71 offset0:136 offset1:137
	ds_write2_b32 v98, v72, v69 offset0:138 offset1:139
	ds_write_b32 v98, v70 offset:560
	s_waitcnt lgkmcnt(0)
	s_barrier
	buffer_gl0_inv
	ds_read_b32 v69, v168 offset:544
	ds_read_b32 v217, v171 offset:544
	ds_read_b32 v70, v174 offset:544
	ds_read_b32 v216, v177 offset:544
	ds_read_b32 v72, v180 offset:544
	ds_read_b32 v71, v183 offset:544
	ds_read_b32 v215, v186 offset:544
	ds_read_b32 v214, v189 offset:544
	ds_read_b32 v189, v192 offset:544
	ds_read_b32 v186, v195 offset:544
	ds_read_b32 v183, v200 offset:544
	ds_read_b32 v180, v203 offset:544
	ds_read_b32 v177, v206 offset:544
	ds_read_b32 v174, v209 offset:544
	ds_read_b32 v171, v212 offset:544
	ds_read_b32 v168, v213 offset:544
	s_and_saveexec_b32 s22, s7
	s_cbranch_execz .LBB1119_174
; %bb.171:                              ;   in Loop: Header=BB1119_96 Depth=2
	ds_read_b32 v156, v101 offset:544
	v_mov_b32_e32 v166, 0x1000
	s_and_saveexec_b32 s23, s12
; %bb.172:                              ;   in Loop: Header=BB1119_96 Depth=2
	ds_read_b32 v166, v100 offset:544
; %bb.173:                              ;   in Loop: Header=BB1119_96 Depth=2
	s_or_b32 exec_lo, exec_lo, s23
	s_waitcnt lgkmcnt(0)
	v_sub_nc_u32_e32 v166, v166, v156
.LBB1119_174:                           ;   in Loop: Header=BB1119_96 Depth=2
	s_or_b32 exec_lo, exec_lo, s22
	s_waitcnt lgkmcnt(0)
	s_barrier
	buffer_gl0_inv
	s_and_saveexec_b32 s22, s7
	s_cbranch_execz .LBB1119_176
; %bb.175:                              ;   in Loop: Header=BB1119_96 Depth=2
	ds_read_b32 v192, v73
	s_waitcnt lgkmcnt(0)
	v_sub_nc_u32_e32 v192, v192, v156
	ds_write_b32 v73, v192
.LBB1119_176:                           ;   in Loop: Header=BB1119_96 Depth=2
	s_or_b32 exec_lo, exec_lo, s22
	v_lshlrev_b32_e32 v3, 3, v3
	v_lshlrev_b32_e32 v170, 3, v170
	;; [unrolled: 1-line block ×5, first 2 shown]
	v_lshl_add_u32 v69, v69, 3, v3
	v_lshlrev_b32_e32 v3, 3, v172
	v_lshlrev_b32_e32 v172, 3, v70
	;; [unrolled: 1-line block ×3, first 2 shown]
	v_add3_u32 v70, v170, v169, v192
	ds_write_b64 v69, v[37:38] offset:512
	v_lshlrev_b32_e32 v37, 3, v175
	v_lshlrev_b32_e32 v38, 3, v216
	;; [unrolled: 1-line block ×8, first 2 shown]
	ds_write_b64 v70, v[39:40] offset:512
	v_add3_u32 v39, v173, v3, v172
	v_add3_u32 v40, v176, v37, v38
	v_lshlrev_b32_e32 v3, 3, v185
	v_lshlrev_b32_e32 v37, 3, v184
	;; [unrolled: 1-line block ×3, first 2 shown]
	v_add3_u32 v71, v169, v170, v72
	v_add3_u32 v72, v175, v178, v179
	ds_write_b64 v39, v[41:42] offset:512
	ds_write_b64 v40, v[49:50] offset:512
	;; [unrolled: 1-line block ×4, first 2 shown]
	v_add3_u32 v41, v3, v37, v38
	v_lshlrev_b32_e32 v3, 3, v188
	v_lshlrev_b32_e32 v37, 3, v187
	;; [unrolled: 1-line block ×12, first 2 shown]
	v_add3_u32 v42, v3, v37, v38
	v_lshlrev_b32_e32 v3, 3, v199
	v_lshlrev_b32_e32 v37, 3, v198
	;; [unrolled: 1-line block ×3, first 2 shown]
	v_add3_u32 v49, v49, v50, v53
	v_add3_u32 v50, v54, v57, v58
	;; [unrolled: 1-line block ×3, first 2 shown]
	ds_write_b64 v41, v[61:62] offset:512
	ds_write_b64 v42, v[65:66] offset:512
	;; [unrolled: 1-line block ×5, first 2 shown]
	v_add3_u32 v54, v3, v37, v38
	v_lshlrev_b32_e32 v3, 3, v202
	v_lshlrev_b32_e32 v37, 3, v201
	;; [unrolled: 1-line block ×12, first 2 shown]
	v_add3_u32 v57, v3, v37, v38
	v_add3_u32 v58, v58, v59, v60
	;; [unrolled: 1-line block ×3, first 2 shown]
	ds_write_b64 v54, v[55:56] offset:512
	v_add3_u32 v55, v64, v65, v66
	v_cmp_lt_u32_e32 vcc_lo, v0, v167
	ds_write_b64 v57, v[51:52] offset:512
	ds_write_b64 v58, v[47:48] offset:512
	;; [unrolled: 1-line block ×4, first 2 shown]
	s_waitcnt lgkmcnt(0)
	s_barrier
	buffer_gl0_inv
	s_and_saveexec_b32 s23, vcc_lo
	s_cbranch_execnz .LBB1119_245
; %bb.177:                              ;   in Loop: Header=BB1119_96 Depth=2
	s_or_b32 exec_lo, exec_lo, s23
	v_cmp_lt_u32_e64 s22, v74, v167
	s_and_saveexec_b32 s24, s22
	s_cbranch_execnz .LBB1119_246
.LBB1119_178:                           ;   in Loop: Header=BB1119_96 Depth=2
	s_or_b32 exec_lo, exec_lo, s24
	v_cmp_lt_u32_e64 s23, v77, v167
	s_and_saveexec_b32 s25, s23
	s_cbranch_execnz .LBB1119_247
.LBB1119_179:                           ;   in Loop: Header=BB1119_96 Depth=2
	s_or_b32 exec_lo, exec_lo, s25
	v_cmp_lt_u32_e64 s24, v78, v167
	s_and_saveexec_b32 s26, s24
	s_cbranch_execnz .LBB1119_248
.LBB1119_180:                           ;   in Loop: Header=BB1119_96 Depth=2
	s_or_b32 exec_lo, exec_lo, s26
	v_cmp_lt_u32_e64 s25, v79, v167
	s_and_saveexec_b32 s27, s25
	s_cbranch_execnz .LBB1119_249
.LBB1119_181:                           ;   in Loop: Header=BB1119_96 Depth=2
	s_or_b32 exec_lo, exec_lo, s27
	v_cmp_lt_u32_e64 s26, v80, v167
	s_and_saveexec_b32 s28, s26
	s_cbranch_execnz .LBB1119_250
.LBB1119_182:                           ;   in Loop: Header=BB1119_96 Depth=2
	s_or_b32 exec_lo, exec_lo, s28
	v_cmp_lt_u32_e64 s27, v81, v167
	s_and_saveexec_b32 s30, s27
	s_cbranch_execnz .LBB1119_251
.LBB1119_183:                           ;   in Loop: Header=BB1119_96 Depth=2
	s_or_b32 exec_lo, exec_lo, s30
	v_cmp_lt_u32_e64 s28, v82, v167
	s_and_saveexec_b32 s31, s28
	s_cbranch_execnz .LBB1119_252
.LBB1119_184:                           ;   in Loop: Header=BB1119_96 Depth=2
	s_or_b32 exec_lo, exec_lo, s31
	v_cmp_lt_u32_e64 s30, v83, v167
	s_and_saveexec_b32 s33, s30
	s_cbranch_execnz .LBB1119_253
.LBB1119_185:                           ;   in Loop: Header=BB1119_96 Depth=2
	s_or_b32 exec_lo, exec_lo, s33
	v_cmp_lt_u32_e64 s31, v84, v167
	s_and_saveexec_b32 s34, s31
	s_cbranch_execnz .LBB1119_254
.LBB1119_186:                           ;   in Loop: Header=BB1119_96 Depth=2
	s_or_b32 exec_lo, exec_lo, s34
	v_cmp_lt_u32_e64 s33, v85, v167
	s_and_saveexec_b32 s35, s33
	s_cbranch_execnz .LBB1119_255
.LBB1119_187:                           ;   in Loop: Header=BB1119_96 Depth=2
	s_or_b32 exec_lo, exec_lo, s35
	v_cmp_lt_u32_e64 s34, v86, v167
	s_and_saveexec_b32 s36, s34
	s_cbranch_execnz .LBB1119_256
.LBB1119_188:                           ;   in Loop: Header=BB1119_96 Depth=2
	s_or_b32 exec_lo, exec_lo, s36
	v_cmp_lt_u32_e64 s35, v87, v167
	s_and_saveexec_b32 s37, s35
	s_cbranch_execnz .LBB1119_257
.LBB1119_189:                           ;   in Loop: Header=BB1119_96 Depth=2
	s_or_b32 exec_lo, exec_lo, s37
	v_cmp_lt_u32_e64 s36, v88, v167
	s_and_saveexec_b32 s38, s36
	s_cbranch_execnz .LBB1119_258
.LBB1119_190:                           ;   in Loop: Header=BB1119_96 Depth=2
	s_or_b32 exec_lo, exec_lo, s38
	v_cmp_lt_u32_e64 s37, v89, v167
	s_and_saveexec_b32 s39, s37
	s_cbranch_execnz .LBB1119_259
.LBB1119_191:                           ;   in Loop: Header=BB1119_96 Depth=2
	s_or_b32 exec_lo, exec_lo, s39
	v_cmp_lt_u32_e64 s38, v90, v167
	s_and_saveexec_b32 s47, s38
	s_cbranch_execz .LBB1119_193
.LBB1119_192:                           ;   in Loop: Header=BB1119_96 Depth=2
	ds_read_b64 v[37:38], v106 offset:31232
	s_waitcnt lgkmcnt(0)
	v_cmp_ne_u64_e64 s39, s[56:57], v[37:38]
	v_cndmask_b32_e64 v44, 0x7fffffff, v38, s39
	v_cndmask_b32_e64 v43, -1, v37, s39
	v_cmp_gt_i64_e64 s39, 0, v[37:38]
	v_lshrrev_b64 v[43:44], s63, v[43:44]
	v_cndmask_b32_e64 v45, 0x7fffffff, 0, s39
	v_and_b32_e32 v3, s65, v43
	v_ashrrev_i32_e32 v43, 31, v38
	v_xor_b32_e32 v38, v45, v38
	v_lshlrev_b32_e32 v3, 2, v3
	v_not_b32_e32 v46, v43
	ds_read_b32 v3, v3
	v_xor_b32_e32 v37, v46, v37
	s_waitcnt lgkmcnt(0)
	v_add_nc_u32_e32 v3, v3, v90
	v_lshlrev_b64 v[43:44], 3, v[3:4]
	v_add_co_u32 v43, s39, s42, v43
	v_add_co_ci_u32_e64 v44, null, s43, v44, s39
	global_store_dwordx2 v[43:44], v[37:38], off
.LBB1119_193:                           ;   in Loop: Header=BB1119_96 Depth=2
	s_or_b32 exec_lo, exec_lo, s47
	s_mov_b32 s47, s56
	s_lshl_b64 s[46:47], s[46:47], 3
	v_add_co_u32 v37, s39, v129, s46
	v_add_co_ci_u32_e64 v38, null, s47, v130, s39
	v_cmp_lt_u32_e64 s39, v128, v167
	s_and_saveexec_b32 s46, s39
	s_xor_b32 s39, exec_lo, s46
	s_cbranch_execnz .LBB1119_260
; %bb.194:                              ;   in Loop: Header=BB1119_96 Depth=2
	s_or_b32 exec_lo, exec_lo, s39
	s_mov_b32 s46, exec_lo
	v_cmpx_lt_u32_e64 v131, v167
	s_cbranch_execnz .LBB1119_261
.LBB1119_195:                           ;   in Loop: Header=BB1119_96 Depth=2
	s_or_b32 exec_lo, exec_lo, s46
	s_mov_b32 s46, exec_lo
	v_cmpx_lt_u32_e64 v132, v167
	s_cbranch_execnz .LBB1119_262
.LBB1119_196:                           ;   in Loop: Header=BB1119_96 Depth=2
	s_or_b32 exec_lo, exec_lo, s46
	s_mov_b32 s46, exec_lo
	v_cmpx_lt_u32_e64 v133, v167
	s_cbranch_execnz .LBB1119_263
.LBB1119_197:                           ;   in Loop: Header=BB1119_96 Depth=2
	s_or_b32 exec_lo, exec_lo, s46
	s_mov_b32 s46, exec_lo
	v_cmpx_lt_u32_e64 v134, v167
	s_cbranch_execnz .LBB1119_264
.LBB1119_198:                           ;   in Loop: Header=BB1119_96 Depth=2
	s_or_b32 exec_lo, exec_lo, s46
	s_mov_b32 s46, exec_lo
	v_cmpx_lt_u32_e64 v135, v167
	s_cbranch_execnz .LBB1119_265
.LBB1119_199:                           ;   in Loop: Header=BB1119_96 Depth=2
	s_or_b32 exec_lo, exec_lo, s46
	s_mov_b32 s46, exec_lo
	v_cmpx_lt_u32_e64 v136, v167
	s_cbranch_execnz .LBB1119_266
.LBB1119_200:                           ;   in Loop: Header=BB1119_96 Depth=2
	s_or_b32 exec_lo, exec_lo, s46
	s_mov_b32 s46, exec_lo
	v_cmpx_lt_u32_e64 v137, v167
	s_cbranch_execnz .LBB1119_267
.LBB1119_201:                           ;   in Loop: Header=BB1119_96 Depth=2
	s_or_b32 exec_lo, exec_lo, s46
	s_mov_b32 s46, exec_lo
	v_cmpx_lt_u32_e64 v138, v167
	s_cbranch_execnz .LBB1119_268
.LBB1119_202:                           ;   in Loop: Header=BB1119_96 Depth=2
	s_or_b32 exec_lo, exec_lo, s46
	s_mov_b32 s46, exec_lo
	v_cmpx_lt_u32_e64 v139, v167
	s_cbranch_execnz .LBB1119_269
.LBB1119_203:                           ;   in Loop: Header=BB1119_96 Depth=2
	s_or_b32 exec_lo, exec_lo, s46
	s_mov_b32 s46, exec_lo
	v_cmpx_lt_u32_e64 v140, v167
	s_cbranch_execnz .LBB1119_270
.LBB1119_204:                           ;   in Loop: Header=BB1119_96 Depth=2
	s_or_b32 exec_lo, exec_lo, s46
	s_mov_b32 s46, exec_lo
	v_cmpx_lt_u32_e64 v141, v167
	s_cbranch_execnz .LBB1119_271
.LBB1119_205:                           ;   in Loop: Header=BB1119_96 Depth=2
	s_or_b32 exec_lo, exec_lo, s46
	s_mov_b32 s46, exec_lo
	v_cmpx_lt_u32_e64 v142, v167
	s_cbranch_execnz .LBB1119_272
.LBB1119_206:                           ;   in Loop: Header=BB1119_96 Depth=2
	s_or_b32 exec_lo, exec_lo, s46
	s_mov_b32 s46, exec_lo
	v_cmpx_lt_u32_e64 v143, v167
	s_cbranch_execnz .LBB1119_273
.LBB1119_207:                           ;   in Loop: Header=BB1119_96 Depth=2
	s_or_b32 exec_lo, exec_lo, s46
	s_mov_b32 s46, exec_lo
	v_cmpx_lt_u32_e64 v144, v167
	s_cbranch_execnz .LBB1119_274
.LBB1119_208:                           ;   in Loop: Header=BB1119_96 Depth=2
	s_or_b32 exec_lo, exec_lo, s46
	s_mov_b32 s46, exec_lo
	v_cmpx_lt_u32_e64 v145, v167
	s_cbranch_execnz .LBB1119_275
.LBB1119_209:                           ;   in Loop: Header=BB1119_96 Depth=2
	s_or_b32 exec_lo, exec_lo, s46
	s_and_saveexec_b32 s46, vcc_lo
	s_cbranch_execnz .LBB1119_276
.LBB1119_210:                           ;   in Loop: Header=BB1119_96 Depth=2
	s_or_b32 exec_lo, exec_lo, s46
	s_and_saveexec_b32 s46, s22
	s_cbranch_execnz .LBB1119_277
.LBB1119_211:                           ;   in Loop: Header=BB1119_96 Depth=2
	s_or_b32 exec_lo, exec_lo, s46
	s_and_saveexec_b32 s46, s23
	s_cbranch_execnz .LBB1119_278
.LBB1119_212:                           ;   in Loop: Header=BB1119_96 Depth=2
	s_or_b32 exec_lo, exec_lo, s46
	s_and_saveexec_b32 s46, s24
	s_cbranch_execnz .LBB1119_279
.LBB1119_213:                           ;   in Loop: Header=BB1119_96 Depth=2
	s_or_b32 exec_lo, exec_lo, s46
	s_and_saveexec_b32 s46, s25
	s_cbranch_execnz .LBB1119_280
.LBB1119_214:                           ;   in Loop: Header=BB1119_96 Depth=2
	s_or_b32 exec_lo, exec_lo, s46
	s_and_saveexec_b32 s46, s26
	s_cbranch_execnz .LBB1119_281
.LBB1119_215:                           ;   in Loop: Header=BB1119_96 Depth=2
	s_or_b32 exec_lo, exec_lo, s46
	s_and_saveexec_b32 s46, s27
	s_cbranch_execnz .LBB1119_282
.LBB1119_216:                           ;   in Loop: Header=BB1119_96 Depth=2
	s_or_b32 exec_lo, exec_lo, s46
	s_and_saveexec_b32 s46, s28
	s_cbranch_execnz .LBB1119_283
.LBB1119_217:                           ;   in Loop: Header=BB1119_96 Depth=2
	s_or_b32 exec_lo, exec_lo, s46
	s_and_saveexec_b32 s46, s30
	s_cbranch_execnz .LBB1119_284
.LBB1119_218:                           ;   in Loop: Header=BB1119_96 Depth=2
	s_or_b32 exec_lo, exec_lo, s46
	s_and_saveexec_b32 s46, s31
	s_cbranch_execnz .LBB1119_285
.LBB1119_219:                           ;   in Loop: Header=BB1119_96 Depth=2
	s_or_b32 exec_lo, exec_lo, s46
	s_and_saveexec_b32 s46, s33
	s_cbranch_execnz .LBB1119_286
.LBB1119_220:                           ;   in Loop: Header=BB1119_96 Depth=2
	s_or_b32 exec_lo, exec_lo, s46
	s_and_saveexec_b32 s46, s34
	s_cbranch_execnz .LBB1119_287
.LBB1119_221:                           ;   in Loop: Header=BB1119_96 Depth=2
	s_or_b32 exec_lo, exec_lo, s46
	s_and_saveexec_b32 s46, s35
	s_cbranch_execnz .LBB1119_288
.LBB1119_222:                           ;   in Loop: Header=BB1119_96 Depth=2
	s_or_b32 exec_lo, exec_lo, s46
	s_and_saveexec_b32 s46, s36
	s_cbranch_execnz .LBB1119_289
.LBB1119_223:                           ;   in Loop: Header=BB1119_96 Depth=2
	s_or_b32 exec_lo, exec_lo, s46
	s_and_saveexec_b32 s46, s37
	s_cbranch_execnz .LBB1119_290
.LBB1119_224:                           ;   in Loop: Header=BB1119_96 Depth=2
	s_or_b32 exec_lo, exec_lo, s46
	s_and_saveexec_b32 s46, s38
	s_cbranch_execz .LBB1119_226
.LBB1119_225:                           ;   in Loop: Header=BB1119_96 Depth=2
	ds_read_b64 v[37:38], v106 offset:31232
	s_waitcnt lgkmcnt(0)
	v_cmp_ne_u64_e64 s39, s[56:57], v[37:38]
	v_cndmask_b32_e64 v38, 0x7fffffff, v38, s39
	v_cndmask_b32_e64 v37, -1, v37, s39
	v_lshrrev_b64 v[37:38], s63, v[37:38]
	v_and_b32_e32 v149, s65, v37
.LBB1119_226:                           ;   in Loop: Header=BB1119_96 Depth=2
	s_or_b32 exec_lo, exec_lo, s46
	s_waitcnt vmcnt(0)
	s_waitcnt_vscnt null, 0x0
	s_barrier
	buffer_gl0_inv
	ds_write_b64 v69, v[35:36] offset:512
	ds_write_b64 v70, v[33:34] offset:512
	;; [unrolled: 1-line block ×16, first 2 shown]
	s_waitcnt lgkmcnt(0)
	s_barrier
	buffer_gl0_inv
	s_and_saveexec_b32 s39, vcc_lo
	s_cbranch_execnz .LBB1119_291
; %bb.227:                              ;   in Loop: Header=BB1119_96 Depth=2
	s_or_b32 exec_lo, exec_lo, s39
	s_and_saveexec_b32 s39, s22
	s_cbranch_execnz .LBB1119_292
.LBB1119_228:                           ;   in Loop: Header=BB1119_96 Depth=2
	s_or_b32 exec_lo, exec_lo, s39
	s_and_saveexec_b32 s22, s23
	s_cbranch_execnz .LBB1119_293
.LBB1119_229:                           ;   in Loop: Header=BB1119_96 Depth=2
	s_or_b32 exec_lo, exec_lo, s22
	s_and_saveexec_b32 s22, s24
	s_cbranch_execnz .LBB1119_294
.LBB1119_230:                           ;   in Loop: Header=BB1119_96 Depth=2
	s_or_b32 exec_lo, exec_lo, s22
	s_and_saveexec_b32 s22, s25
	s_cbranch_execnz .LBB1119_295
.LBB1119_231:                           ;   in Loop: Header=BB1119_96 Depth=2
	s_or_b32 exec_lo, exec_lo, s22
	s_and_saveexec_b32 s22, s26
	s_cbranch_execnz .LBB1119_296
.LBB1119_232:                           ;   in Loop: Header=BB1119_96 Depth=2
	s_or_b32 exec_lo, exec_lo, s22
	s_and_saveexec_b32 s22, s27
	s_cbranch_execnz .LBB1119_297
.LBB1119_233:                           ;   in Loop: Header=BB1119_96 Depth=2
	s_or_b32 exec_lo, exec_lo, s22
	s_and_saveexec_b32 s22, s28
	s_cbranch_execnz .LBB1119_298
.LBB1119_234:                           ;   in Loop: Header=BB1119_96 Depth=2
	s_or_b32 exec_lo, exec_lo, s22
	s_and_saveexec_b32 s22, s30
	s_cbranch_execnz .LBB1119_299
.LBB1119_235:                           ;   in Loop: Header=BB1119_96 Depth=2
	s_or_b32 exec_lo, exec_lo, s22
	s_and_saveexec_b32 s22, s31
	s_cbranch_execnz .LBB1119_300
.LBB1119_236:                           ;   in Loop: Header=BB1119_96 Depth=2
	s_or_b32 exec_lo, exec_lo, s22
	s_and_saveexec_b32 s22, s33
	s_cbranch_execnz .LBB1119_301
.LBB1119_237:                           ;   in Loop: Header=BB1119_96 Depth=2
	s_or_b32 exec_lo, exec_lo, s22
	s_and_saveexec_b32 s22, s34
	s_cbranch_execnz .LBB1119_302
.LBB1119_238:                           ;   in Loop: Header=BB1119_96 Depth=2
	s_or_b32 exec_lo, exec_lo, s22
	s_and_saveexec_b32 s22, s35
	s_cbranch_execnz .LBB1119_303
.LBB1119_239:                           ;   in Loop: Header=BB1119_96 Depth=2
	s_or_b32 exec_lo, exec_lo, s22
	s_and_saveexec_b32 s22, s36
	s_cbranch_execnz .LBB1119_304
.LBB1119_240:                           ;   in Loop: Header=BB1119_96 Depth=2
	s_or_b32 exec_lo, exec_lo, s22
	s_and_saveexec_b32 s22, s37
	s_cbranch_execnz .LBB1119_305
.LBB1119_241:                           ;   in Loop: Header=BB1119_96 Depth=2
	s_or_b32 exec_lo, exec_lo, s22
	s_and_saveexec_b32 s22, s38
	s_cbranch_execz .LBB1119_243
.LBB1119_242:                           ;   in Loop: Header=BB1119_96 Depth=2
	v_lshlrev_b32_e32 v3, 2, v149
	ds_read_b32 v3, v3
	ds_read_b64 v[37:38], v106 offset:31232
	s_waitcnt lgkmcnt(1)
	v_add_nc_u32_e32 v3, v3, v90
	v_lshlrev_b64 v[39:40], 3, v[3:4]
	v_add_co_u32 v39, vcc_lo, s48, v39
	v_add_co_ci_u32_e64 v40, null, s49, v40, vcc_lo
	s_waitcnt lgkmcnt(0)
	global_store_dwordx2 v[39:40], v[37:38], off
.LBB1119_243:                           ;   in Loop: Header=BB1119_96 Depth=2
	s_or_b32 exec_lo, exec_lo, s22
	s_waitcnt_vscnt null, 0x0
	s_barrier
	buffer_gl0_inv
	s_and_saveexec_b32 s22, s7
	s_cbranch_execz .LBB1119_95
; %bb.244:                              ;   in Loop: Header=BB1119_96 Depth=2
	ds_read_b32 v3, v73
	s_waitcnt lgkmcnt(0)
	v_add3_u32 v3, v156, v166, v3
	ds_write_b32 v73, v3
	s_branch .LBB1119_95
.LBB1119_245:                           ;   in Loop: Header=BB1119_96 Depth=2
	ds_read_b64 v[37:38], v106 offset:512
	s_waitcnt lgkmcnt(0)
	v_cmp_ne_u64_e64 s22, s[56:57], v[37:38]
	v_cndmask_b32_e64 v44, 0x7fffffff, v38, s22
	v_cndmask_b32_e64 v43, -1, v37, s22
	v_cmp_gt_i64_e64 s22, 0, v[37:38]
	v_lshrrev_b64 v[43:44], s63, v[43:44]
	v_cndmask_b32_e64 v45, 0x7fffffff, 0, s22
	v_and_b32_e32 v3, s65, v43
	v_ashrrev_i32_e32 v43, 31, v38
	v_xor_b32_e32 v38, v45, v38
	v_lshlrev_b32_e32 v3, 2, v3
	v_not_b32_e32 v46, v43
	ds_read_b32 v3, v3
	v_xor_b32_e32 v37, v46, v37
	s_waitcnt lgkmcnt(0)
	v_add_nc_u32_e32 v3, v3, v0
	v_lshlrev_b64 v[43:44], 3, v[3:4]
	v_add_co_u32 v43, s22, s42, v43
	v_add_co_ci_u32_e64 v44, null, s43, v44, s22
	global_store_dwordx2 v[43:44], v[37:38], off
	s_or_b32 exec_lo, exec_lo, s23
	v_cmp_lt_u32_e64 s22, v74, v167
	s_and_saveexec_b32 s24, s22
	s_cbranch_execz .LBB1119_178
.LBB1119_246:                           ;   in Loop: Header=BB1119_96 Depth=2
	ds_read_b64 v[37:38], v106 offset:2560
	s_waitcnt lgkmcnt(0)
	v_cmp_ne_u64_e64 s23, s[56:57], v[37:38]
	v_cndmask_b32_e64 v44, 0x7fffffff, v38, s23
	v_cndmask_b32_e64 v43, -1, v37, s23
	v_cmp_gt_i64_e64 s23, 0, v[37:38]
	v_lshrrev_b64 v[43:44], s63, v[43:44]
	v_cndmask_b32_e64 v45, 0x7fffffff, 0, s23
	v_and_b32_e32 v3, s65, v43
	v_ashrrev_i32_e32 v43, 31, v38
	v_xor_b32_e32 v38, v45, v38
	v_lshlrev_b32_e32 v3, 2, v3
	v_not_b32_e32 v46, v43
	ds_read_b32 v3, v3
	v_xor_b32_e32 v37, v46, v37
	s_waitcnt lgkmcnt(0)
	v_add_nc_u32_e32 v3, v3, v74
	v_lshlrev_b64 v[43:44], 3, v[3:4]
	v_add_co_u32 v43, s23, s42, v43
	v_add_co_ci_u32_e64 v44, null, s43, v44, s23
	global_store_dwordx2 v[43:44], v[37:38], off
	s_or_b32 exec_lo, exec_lo, s24
	v_cmp_lt_u32_e64 s23, v77, v167
	s_and_saveexec_b32 s25, s23
	s_cbranch_execz .LBB1119_179
.LBB1119_247:                           ;   in Loop: Header=BB1119_96 Depth=2
	ds_read_b64 v[37:38], v106 offset:4608
	s_waitcnt lgkmcnt(0)
	v_cmp_ne_u64_e64 s24, s[56:57], v[37:38]
	v_cndmask_b32_e64 v44, 0x7fffffff, v38, s24
	v_cndmask_b32_e64 v43, -1, v37, s24
	v_cmp_gt_i64_e64 s24, 0, v[37:38]
	v_lshrrev_b64 v[43:44], s63, v[43:44]
	v_cndmask_b32_e64 v45, 0x7fffffff, 0, s24
	v_and_b32_e32 v3, s65, v43
	v_ashrrev_i32_e32 v43, 31, v38
	v_xor_b32_e32 v38, v45, v38
	v_lshlrev_b32_e32 v3, 2, v3
	v_not_b32_e32 v46, v43
	ds_read_b32 v3, v3
	v_xor_b32_e32 v37, v46, v37
	s_waitcnt lgkmcnt(0)
	v_add_nc_u32_e32 v3, v3, v77
	v_lshlrev_b64 v[43:44], 3, v[3:4]
	v_add_co_u32 v43, s24, s42, v43
	v_add_co_ci_u32_e64 v44, null, s43, v44, s24
	global_store_dwordx2 v[43:44], v[37:38], off
	s_or_b32 exec_lo, exec_lo, s25
	v_cmp_lt_u32_e64 s24, v78, v167
	s_and_saveexec_b32 s26, s24
	s_cbranch_execz .LBB1119_180
.LBB1119_248:                           ;   in Loop: Header=BB1119_96 Depth=2
	ds_read_b64 v[37:38], v106 offset:6656
	s_waitcnt lgkmcnt(0)
	v_cmp_ne_u64_e64 s25, s[56:57], v[37:38]
	v_cndmask_b32_e64 v44, 0x7fffffff, v38, s25
	v_cndmask_b32_e64 v43, -1, v37, s25
	v_cmp_gt_i64_e64 s25, 0, v[37:38]
	v_lshrrev_b64 v[43:44], s63, v[43:44]
	v_cndmask_b32_e64 v45, 0x7fffffff, 0, s25
	v_and_b32_e32 v3, s65, v43
	v_ashrrev_i32_e32 v43, 31, v38
	v_xor_b32_e32 v38, v45, v38
	v_lshlrev_b32_e32 v3, 2, v3
	v_not_b32_e32 v46, v43
	ds_read_b32 v3, v3
	v_xor_b32_e32 v37, v46, v37
	s_waitcnt lgkmcnt(0)
	v_add_nc_u32_e32 v3, v3, v78
	v_lshlrev_b64 v[43:44], 3, v[3:4]
	v_add_co_u32 v43, s25, s42, v43
	v_add_co_ci_u32_e64 v44, null, s43, v44, s25
	global_store_dwordx2 v[43:44], v[37:38], off
	s_or_b32 exec_lo, exec_lo, s26
	v_cmp_lt_u32_e64 s25, v79, v167
	s_and_saveexec_b32 s27, s25
	s_cbranch_execz .LBB1119_181
.LBB1119_249:                           ;   in Loop: Header=BB1119_96 Depth=2
	ds_read_b64 v[37:38], v106 offset:8704
	s_waitcnt lgkmcnt(0)
	v_cmp_ne_u64_e64 s26, s[56:57], v[37:38]
	v_cndmask_b32_e64 v44, 0x7fffffff, v38, s26
	v_cndmask_b32_e64 v43, -1, v37, s26
	v_cmp_gt_i64_e64 s26, 0, v[37:38]
	v_lshrrev_b64 v[43:44], s63, v[43:44]
	v_cndmask_b32_e64 v45, 0x7fffffff, 0, s26
	v_and_b32_e32 v3, s65, v43
	v_ashrrev_i32_e32 v43, 31, v38
	v_xor_b32_e32 v38, v45, v38
	v_lshlrev_b32_e32 v3, 2, v3
	v_not_b32_e32 v46, v43
	ds_read_b32 v3, v3
	v_xor_b32_e32 v37, v46, v37
	s_waitcnt lgkmcnt(0)
	v_add_nc_u32_e32 v3, v3, v79
	v_lshlrev_b64 v[43:44], 3, v[3:4]
	v_add_co_u32 v43, s26, s42, v43
	v_add_co_ci_u32_e64 v44, null, s43, v44, s26
	global_store_dwordx2 v[43:44], v[37:38], off
	s_or_b32 exec_lo, exec_lo, s27
	v_cmp_lt_u32_e64 s26, v80, v167
	s_and_saveexec_b32 s28, s26
	s_cbranch_execz .LBB1119_182
.LBB1119_250:                           ;   in Loop: Header=BB1119_96 Depth=2
	ds_read_b64 v[37:38], v106 offset:10752
	s_waitcnt lgkmcnt(0)
	v_cmp_ne_u64_e64 s27, s[56:57], v[37:38]
	v_cndmask_b32_e64 v44, 0x7fffffff, v38, s27
	v_cndmask_b32_e64 v43, -1, v37, s27
	v_cmp_gt_i64_e64 s27, 0, v[37:38]
	v_lshrrev_b64 v[43:44], s63, v[43:44]
	v_cndmask_b32_e64 v45, 0x7fffffff, 0, s27
	v_and_b32_e32 v3, s65, v43
	v_ashrrev_i32_e32 v43, 31, v38
	v_xor_b32_e32 v38, v45, v38
	v_lshlrev_b32_e32 v3, 2, v3
	v_not_b32_e32 v46, v43
	ds_read_b32 v3, v3
	v_xor_b32_e32 v37, v46, v37
	s_waitcnt lgkmcnt(0)
	v_add_nc_u32_e32 v3, v3, v80
	v_lshlrev_b64 v[43:44], 3, v[3:4]
	v_add_co_u32 v43, s27, s42, v43
	v_add_co_ci_u32_e64 v44, null, s43, v44, s27
	global_store_dwordx2 v[43:44], v[37:38], off
	s_or_b32 exec_lo, exec_lo, s28
	v_cmp_lt_u32_e64 s27, v81, v167
	s_and_saveexec_b32 s30, s27
	s_cbranch_execz .LBB1119_183
.LBB1119_251:                           ;   in Loop: Header=BB1119_96 Depth=2
	ds_read_b64 v[37:38], v106 offset:12800
	s_waitcnt lgkmcnt(0)
	v_cmp_ne_u64_e64 s28, s[56:57], v[37:38]
	v_cndmask_b32_e64 v44, 0x7fffffff, v38, s28
	v_cndmask_b32_e64 v43, -1, v37, s28
	v_cmp_gt_i64_e64 s28, 0, v[37:38]
	v_lshrrev_b64 v[43:44], s63, v[43:44]
	v_cndmask_b32_e64 v45, 0x7fffffff, 0, s28
	v_and_b32_e32 v3, s65, v43
	v_ashrrev_i32_e32 v43, 31, v38
	v_xor_b32_e32 v38, v45, v38
	v_lshlrev_b32_e32 v3, 2, v3
	v_not_b32_e32 v46, v43
	ds_read_b32 v3, v3
	v_xor_b32_e32 v37, v46, v37
	s_waitcnt lgkmcnt(0)
	v_add_nc_u32_e32 v3, v3, v81
	v_lshlrev_b64 v[43:44], 3, v[3:4]
	v_add_co_u32 v43, s28, s42, v43
	v_add_co_ci_u32_e64 v44, null, s43, v44, s28
	global_store_dwordx2 v[43:44], v[37:38], off
	s_or_b32 exec_lo, exec_lo, s30
	v_cmp_lt_u32_e64 s28, v82, v167
	s_and_saveexec_b32 s31, s28
	s_cbranch_execz .LBB1119_184
.LBB1119_252:                           ;   in Loop: Header=BB1119_96 Depth=2
	ds_read_b64 v[37:38], v106 offset:14848
	s_waitcnt lgkmcnt(0)
	v_cmp_ne_u64_e64 s30, s[56:57], v[37:38]
	v_cndmask_b32_e64 v44, 0x7fffffff, v38, s30
	v_cndmask_b32_e64 v43, -1, v37, s30
	v_cmp_gt_i64_e64 s30, 0, v[37:38]
	v_lshrrev_b64 v[43:44], s63, v[43:44]
	v_cndmask_b32_e64 v45, 0x7fffffff, 0, s30
	v_and_b32_e32 v3, s65, v43
	v_ashrrev_i32_e32 v43, 31, v38
	v_xor_b32_e32 v38, v45, v38
	v_lshlrev_b32_e32 v3, 2, v3
	v_not_b32_e32 v46, v43
	ds_read_b32 v3, v3
	v_xor_b32_e32 v37, v46, v37
	s_waitcnt lgkmcnt(0)
	v_add_nc_u32_e32 v3, v3, v82
	v_lshlrev_b64 v[43:44], 3, v[3:4]
	v_add_co_u32 v43, s30, s42, v43
	v_add_co_ci_u32_e64 v44, null, s43, v44, s30
	global_store_dwordx2 v[43:44], v[37:38], off
	s_or_b32 exec_lo, exec_lo, s31
	v_cmp_lt_u32_e64 s30, v83, v167
	s_and_saveexec_b32 s33, s30
	s_cbranch_execz .LBB1119_185
.LBB1119_253:                           ;   in Loop: Header=BB1119_96 Depth=2
	ds_read_b64 v[37:38], v106 offset:16896
	s_waitcnt lgkmcnt(0)
	v_cmp_ne_u64_e64 s31, s[56:57], v[37:38]
	v_cndmask_b32_e64 v44, 0x7fffffff, v38, s31
	v_cndmask_b32_e64 v43, -1, v37, s31
	v_cmp_gt_i64_e64 s31, 0, v[37:38]
	v_lshrrev_b64 v[43:44], s63, v[43:44]
	v_cndmask_b32_e64 v45, 0x7fffffff, 0, s31
	v_and_b32_e32 v3, s65, v43
	v_ashrrev_i32_e32 v43, 31, v38
	v_xor_b32_e32 v38, v45, v38
	v_lshlrev_b32_e32 v3, 2, v3
	v_not_b32_e32 v46, v43
	ds_read_b32 v3, v3
	v_xor_b32_e32 v37, v46, v37
	s_waitcnt lgkmcnt(0)
	v_add_nc_u32_e32 v3, v3, v83
	v_lshlrev_b64 v[43:44], 3, v[3:4]
	v_add_co_u32 v43, s31, s42, v43
	v_add_co_ci_u32_e64 v44, null, s43, v44, s31
	global_store_dwordx2 v[43:44], v[37:38], off
	s_or_b32 exec_lo, exec_lo, s33
	v_cmp_lt_u32_e64 s31, v84, v167
	s_and_saveexec_b32 s34, s31
	s_cbranch_execz .LBB1119_186
.LBB1119_254:                           ;   in Loop: Header=BB1119_96 Depth=2
	ds_read_b64 v[37:38], v106 offset:18944
	s_waitcnt lgkmcnt(0)
	v_cmp_ne_u64_e64 s33, s[56:57], v[37:38]
	v_cndmask_b32_e64 v44, 0x7fffffff, v38, s33
	v_cndmask_b32_e64 v43, -1, v37, s33
	v_cmp_gt_i64_e64 s33, 0, v[37:38]
	v_lshrrev_b64 v[43:44], s63, v[43:44]
	v_cndmask_b32_e64 v45, 0x7fffffff, 0, s33
	v_and_b32_e32 v3, s65, v43
	v_ashrrev_i32_e32 v43, 31, v38
	v_xor_b32_e32 v38, v45, v38
	v_lshlrev_b32_e32 v3, 2, v3
	v_not_b32_e32 v46, v43
	ds_read_b32 v3, v3
	v_xor_b32_e32 v37, v46, v37
	s_waitcnt lgkmcnt(0)
	v_add_nc_u32_e32 v3, v3, v84
	v_lshlrev_b64 v[43:44], 3, v[3:4]
	v_add_co_u32 v43, s33, s42, v43
	v_add_co_ci_u32_e64 v44, null, s43, v44, s33
	global_store_dwordx2 v[43:44], v[37:38], off
	s_or_b32 exec_lo, exec_lo, s34
	v_cmp_lt_u32_e64 s33, v85, v167
	s_and_saveexec_b32 s35, s33
	s_cbranch_execz .LBB1119_187
.LBB1119_255:                           ;   in Loop: Header=BB1119_96 Depth=2
	ds_read_b64 v[37:38], v106 offset:20992
	s_waitcnt lgkmcnt(0)
	v_cmp_ne_u64_e64 s34, s[56:57], v[37:38]
	v_cndmask_b32_e64 v44, 0x7fffffff, v38, s34
	v_cndmask_b32_e64 v43, -1, v37, s34
	v_cmp_gt_i64_e64 s34, 0, v[37:38]
	v_lshrrev_b64 v[43:44], s63, v[43:44]
	v_cndmask_b32_e64 v45, 0x7fffffff, 0, s34
	v_and_b32_e32 v3, s65, v43
	v_ashrrev_i32_e32 v43, 31, v38
	v_xor_b32_e32 v38, v45, v38
	v_lshlrev_b32_e32 v3, 2, v3
	v_not_b32_e32 v46, v43
	ds_read_b32 v3, v3
	v_xor_b32_e32 v37, v46, v37
	s_waitcnt lgkmcnt(0)
	v_add_nc_u32_e32 v3, v3, v85
	v_lshlrev_b64 v[43:44], 3, v[3:4]
	v_add_co_u32 v43, s34, s42, v43
	v_add_co_ci_u32_e64 v44, null, s43, v44, s34
	global_store_dwordx2 v[43:44], v[37:38], off
	s_or_b32 exec_lo, exec_lo, s35
	v_cmp_lt_u32_e64 s34, v86, v167
	s_and_saveexec_b32 s36, s34
	s_cbranch_execz .LBB1119_188
.LBB1119_256:                           ;   in Loop: Header=BB1119_96 Depth=2
	ds_read_b64 v[37:38], v106 offset:23040
	s_waitcnt lgkmcnt(0)
	v_cmp_ne_u64_e64 s35, s[56:57], v[37:38]
	v_cndmask_b32_e64 v44, 0x7fffffff, v38, s35
	v_cndmask_b32_e64 v43, -1, v37, s35
	v_cmp_gt_i64_e64 s35, 0, v[37:38]
	v_lshrrev_b64 v[43:44], s63, v[43:44]
	v_cndmask_b32_e64 v45, 0x7fffffff, 0, s35
	v_and_b32_e32 v3, s65, v43
	v_ashrrev_i32_e32 v43, 31, v38
	v_xor_b32_e32 v38, v45, v38
	v_lshlrev_b32_e32 v3, 2, v3
	v_not_b32_e32 v46, v43
	ds_read_b32 v3, v3
	v_xor_b32_e32 v37, v46, v37
	s_waitcnt lgkmcnt(0)
	v_add_nc_u32_e32 v3, v3, v86
	v_lshlrev_b64 v[43:44], 3, v[3:4]
	v_add_co_u32 v43, s35, s42, v43
	v_add_co_ci_u32_e64 v44, null, s43, v44, s35
	global_store_dwordx2 v[43:44], v[37:38], off
	s_or_b32 exec_lo, exec_lo, s36
	v_cmp_lt_u32_e64 s35, v87, v167
	s_and_saveexec_b32 s37, s35
	s_cbranch_execz .LBB1119_189
.LBB1119_257:                           ;   in Loop: Header=BB1119_96 Depth=2
	ds_read_b64 v[37:38], v106 offset:25088
	s_waitcnt lgkmcnt(0)
	v_cmp_ne_u64_e64 s36, s[56:57], v[37:38]
	v_cndmask_b32_e64 v44, 0x7fffffff, v38, s36
	v_cndmask_b32_e64 v43, -1, v37, s36
	v_cmp_gt_i64_e64 s36, 0, v[37:38]
	v_lshrrev_b64 v[43:44], s63, v[43:44]
	v_cndmask_b32_e64 v45, 0x7fffffff, 0, s36
	v_and_b32_e32 v3, s65, v43
	v_ashrrev_i32_e32 v43, 31, v38
	v_xor_b32_e32 v38, v45, v38
	v_lshlrev_b32_e32 v3, 2, v3
	v_not_b32_e32 v46, v43
	ds_read_b32 v3, v3
	v_xor_b32_e32 v37, v46, v37
	s_waitcnt lgkmcnt(0)
	v_add_nc_u32_e32 v3, v3, v87
	v_lshlrev_b64 v[43:44], 3, v[3:4]
	v_add_co_u32 v43, s36, s42, v43
	v_add_co_ci_u32_e64 v44, null, s43, v44, s36
	global_store_dwordx2 v[43:44], v[37:38], off
	s_or_b32 exec_lo, exec_lo, s37
	v_cmp_lt_u32_e64 s36, v88, v167
	s_and_saveexec_b32 s38, s36
	s_cbranch_execz .LBB1119_190
.LBB1119_258:                           ;   in Loop: Header=BB1119_96 Depth=2
	ds_read_b64 v[37:38], v106 offset:27136
	s_waitcnt lgkmcnt(0)
	v_cmp_ne_u64_e64 s37, s[56:57], v[37:38]
	v_cndmask_b32_e64 v44, 0x7fffffff, v38, s37
	v_cndmask_b32_e64 v43, -1, v37, s37
	v_cmp_gt_i64_e64 s37, 0, v[37:38]
	v_lshrrev_b64 v[43:44], s63, v[43:44]
	v_cndmask_b32_e64 v45, 0x7fffffff, 0, s37
	v_and_b32_e32 v3, s65, v43
	v_ashrrev_i32_e32 v43, 31, v38
	v_xor_b32_e32 v38, v45, v38
	v_lshlrev_b32_e32 v3, 2, v3
	v_not_b32_e32 v46, v43
	ds_read_b32 v3, v3
	v_xor_b32_e32 v37, v46, v37
	s_waitcnt lgkmcnt(0)
	v_add_nc_u32_e32 v3, v3, v88
	v_lshlrev_b64 v[43:44], 3, v[3:4]
	v_add_co_u32 v43, s37, s42, v43
	v_add_co_ci_u32_e64 v44, null, s43, v44, s37
	global_store_dwordx2 v[43:44], v[37:38], off
	s_or_b32 exec_lo, exec_lo, s38
	v_cmp_lt_u32_e64 s37, v89, v167
	s_and_saveexec_b32 s39, s37
	s_cbranch_execz .LBB1119_191
.LBB1119_259:                           ;   in Loop: Header=BB1119_96 Depth=2
	ds_read_b64 v[37:38], v106 offset:29184
	s_waitcnt lgkmcnt(0)
	v_cmp_ne_u64_e64 s38, s[56:57], v[37:38]
	v_cndmask_b32_e64 v44, 0x7fffffff, v38, s38
	v_cndmask_b32_e64 v43, -1, v37, s38
	v_cmp_gt_i64_e64 s38, 0, v[37:38]
	v_lshrrev_b64 v[43:44], s63, v[43:44]
	v_cndmask_b32_e64 v45, 0x7fffffff, 0, s38
	v_and_b32_e32 v3, s65, v43
	v_ashrrev_i32_e32 v43, 31, v38
	v_xor_b32_e32 v38, v45, v38
	v_lshlrev_b32_e32 v3, 2, v3
	v_not_b32_e32 v46, v43
	ds_read_b32 v3, v3
	v_xor_b32_e32 v37, v46, v37
	s_waitcnt lgkmcnt(0)
	v_add_nc_u32_e32 v3, v3, v89
	v_lshlrev_b64 v[43:44], 3, v[3:4]
	v_add_co_u32 v43, s38, s42, v43
	v_add_co_ci_u32_e64 v44, null, s43, v44, s38
	global_store_dwordx2 v[43:44], v[37:38], off
	s_or_b32 exec_lo, exec_lo, s39
	v_cmp_lt_u32_e64 s38, v90, v167
	s_and_saveexec_b32 s47, s38
	s_cbranch_execnz .LBB1119_192
	s_branch .LBB1119_193
.LBB1119_260:                           ;   in Loop: Header=BB1119_96 Depth=2
	global_load_dwordx2 v[35:36], v[37:38], off
	s_or_b32 exec_lo, exec_lo, s39
	s_mov_b32 s46, exec_lo
	v_cmpx_lt_u32_e64 v131, v167
	s_cbranch_execz .LBB1119_195
.LBB1119_261:                           ;   in Loop: Header=BB1119_96 Depth=2
	global_load_dwordx2 v[33:34], v[37:38], off offset:256
	s_or_b32 exec_lo, exec_lo, s46
	s_mov_b32 s46, exec_lo
	v_cmpx_lt_u32_e64 v132, v167
	s_cbranch_execz .LBB1119_196
.LBB1119_262:                           ;   in Loop: Header=BB1119_96 Depth=2
	global_load_dwordx2 v[31:32], v[37:38], off offset:512
	s_or_b32 exec_lo, exec_lo, s46
	s_mov_b32 s46, exec_lo
	v_cmpx_lt_u32_e64 v133, v167
	s_cbranch_execz .LBB1119_197
.LBB1119_263:                           ;   in Loop: Header=BB1119_96 Depth=2
	global_load_dwordx2 v[29:30], v[37:38], off offset:768
	s_or_b32 exec_lo, exec_lo, s46
	s_mov_b32 s46, exec_lo
	v_cmpx_lt_u32_e64 v134, v167
	s_cbranch_execz .LBB1119_198
.LBB1119_264:                           ;   in Loop: Header=BB1119_96 Depth=2
	global_load_dwordx2 v[27:28], v[37:38], off offset:1024
	s_or_b32 exec_lo, exec_lo, s46
	s_mov_b32 s46, exec_lo
	v_cmpx_lt_u32_e64 v135, v167
	s_cbranch_execz .LBB1119_199
.LBB1119_265:                           ;   in Loop: Header=BB1119_96 Depth=2
	global_load_dwordx2 v[23:24], v[37:38], off offset:1280
	s_or_b32 exec_lo, exec_lo, s46
	s_mov_b32 s46, exec_lo
	v_cmpx_lt_u32_e64 v136, v167
	s_cbranch_execz .LBB1119_200
.LBB1119_266:                           ;   in Loop: Header=BB1119_96 Depth=2
	global_load_dwordx2 v[19:20], v[37:38], off offset:1536
	s_or_b32 exec_lo, exec_lo, s46
	s_mov_b32 s46, exec_lo
	v_cmpx_lt_u32_e64 v137, v167
	s_cbranch_execz .LBB1119_201
.LBB1119_267:                           ;   in Loop: Header=BB1119_96 Depth=2
	global_load_dwordx2 v[15:16], v[37:38], off offset:1792
	s_or_b32 exec_lo, exec_lo, s46
	s_mov_b32 s46, exec_lo
	v_cmpx_lt_u32_e64 v138, v167
	s_cbranch_execz .LBB1119_202
.LBB1119_268:                           ;   in Loop: Header=BB1119_96 Depth=2
	v_add_co_u32 v25, s39, 0x800, v37
	v_add_co_ci_u32_e64 v26, null, 0, v38, s39
	global_load_dwordx2 v[25:26], v[25:26], off
	s_or_b32 exec_lo, exec_lo, s46
	s_mov_b32 s46, exec_lo
	v_cmpx_lt_u32_e64 v139, v167
	s_cbranch_execz .LBB1119_203
.LBB1119_269:                           ;   in Loop: Header=BB1119_96 Depth=2
	v_add_co_u32 v21, s39, 0x800, v37
	v_add_co_ci_u32_e64 v22, null, 0, v38, s39
	global_load_dwordx2 v[21:22], v[21:22], off offset:256
	s_or_b32 exec_lo, exec_lo, s46
	s_mov_b32 s46, exec_lo
	v_cmpx_lt_u32_e64 v140, v167
	s_cbranch_execz .LBB1119_204
.LBB1119_270:                           ;   in Loop: Header=BB1119_96 Depth=2
	v_add_co_u32 v17, s39, 0x800, v37
	v_add_co_ci_u32_e64 v18, null, 0, v38, s39
	global_load_dwordx2 v[17:18], v[17:18], off offset:512
	s_or_b32 exec_lo, exec_lo, s46
	s_mov_b32 s46, exec_lo
	v_cmpx_lt_u32_e64 v141, v167
	s_cbranch_execz .LBB1119_205
.LBB1119_271:                           ;   in Loop: Header=BB1119_96 Depth=2
	v_add_co_u32 v13, s39, 0x800, v37
	v_add_co_ci_u32_e64 v14, null, 0, v38, s39
	global_load_dwordx2 v[13:14], v[13:14], off offset:768
	s_or_b32 exec_lo, exec_lo, s46
	s_mov_b32 s46, exec_lo
	v_cmpx_lt_u32_e64 v142, v167
	s_cbranch_execz .LBB1119_206
.LBB1119_272:                           ;   in Loop: Header=BB1119_96 Depth=2
	v_add_co_u32 v11, s39, 0x800, v37
	v_add_co_ci_u32_e64 v12, null, 0, v38, s39
	global_load_dwordx2 v[11:12], v[11:12], off offset:1024
	s_or_b32 exec_lo, exec_lo, s46
	s_mov_b32 s46, exec_lo
	v_cmpx_lt_u32_e64 v143, v167
	s_cbranch_execz .LBB1119_207
.LBB1119_273:                           ;   in Loop: Header=BB1119_96 Depth=2
	v_add_co_u32 v9, s39, 0x800, v37
	v_add_co_ci_u32_e64 v10, null, 0, v38, s39
	global_load_dwordx2 v[9:10], v[9:10], off offset:1280
	s_or_b32 exec_lo, exec_lo, s46
	s_mov_b32 s46, exec_lo
	v_cmpx_lt_u32_e64 v144, v167
	s_cbranch_execz .LBB1119_208
.LBB1119_274:                           ;   in Loop: Header=BB1119_96 Depth=2
	v_add_co_u32 v7, s39, 0x800, v37
	v_add_co_ci_u32_e64 v8, null, 0, v38, s39
	global_load_dwordx2 v[7:8], v[7:8], off offset:1536
	s_or_b32 exec_lo, exec_lo, s46
	s_mov_b32 s46, exec_lo
	v_cmpx_lt_u32_e64 v145, v167
	s_cbranch_execz .LBB1119_209
.LBB1119_275:                           ;   in Loop: Header=BB1119_96 Depth=2
	v_add_co_u32 v5, s39, 0x800, v37
	v_add_co_ci_u32_e64 v6, null, 0, v38, s39
	global_load_dwordx2 v[5:6], v[5:6], off offset:1792
	s_or_b32 exec_lo, exec_lo, s46
	s_and_saveexec_b32 s46, vcc_lo
	s_cbranch_execz .LBB1119_210
.LBB1119_276:                           ;   in Loop: Header=BB1119_96 Depth=2
	ds_read_b64 v[37:38], v106 offset:512
	s_waitcnt lgkmcnt(0)
	v_cmp_ne_u64_e64 s39, s[56:57], v[37:38]
	v_cndmask_b32_e64 v38, 0x7fffffff, v38, s39
	v_cndmask_b32_e64 v37, -1, v37, s39
	v_lshrrev_b64 v[37:38], s63, v[37:38]
	v_and_b32_e32 v165, s65, v37
	s_or_b32 exec_lo, exec_lo, s46
	s_and_saveexec_b32 s46, s22
	s_cbranch_execz .LBB1119_211
.LBB1119_277:                           ;   in Loop: Header=BB1119_96 Depth=2
	ds_read_b64 v[37:38], v106 offset:2560
	s_waitcnt lgkmcnt(0)
	v_cmp_ne_u64_e64 s39, s[56:57], v[37:38]
	v_cndmask_b32_e64 v38, 0x7fffffff, v38, s39
	v_cndmask_b32_e64 v37, -1, v37, s39
	v_lshrrev_b64 v[37:38], s63, v[37:38]
	v_and_b32_e32 v164, s65, v37
	s_or_b32 exec_lo, exec_lo, s46
	s_and_saveexec_b32 s46, s23
	s_cbranch_execz .LBB1119_212
.LBB1119_278:                           ;   in Loop: Header=BB1119_96 Depth=2
	ds_read_b64 v[37:38], v106 offset:4608
	s_waitcnt lgkmcnt(0)
	v_cmp_ne_u64_e64 s39, s[56:57], v[37:38]
	v_cndmask_b32_e64 v38, 0x7fffffff, v38, s39
	v_cndmask_b32_e64 v37, -1, v37, s39
	v_lshrrev_b64 v[37:38], s63, v[37:38]
	v_and_b32_e32 v163, s65, v37
	s_or_b32 exec_lo, exec_lo, s46
	s_and_saveexec_b32 s46, s24
	s_cbranch_execz .LBB1119_213
.LBB1119_279:                           ;   in Loop: Header=BB1119_96 Depth=2
	ds_read_b64 v[37:38], v106 offset:6656
	s_waitcnt lgkmcnt(0)
	v_cmp_ne_u64_e64 s39, s[56:57], v[37:38]
	v_cndmask_b32_e64 v38, 0x7fffffff, v38, s39
	v_cndmask_b32_e64 v37, -1, v37, s39
	v_lshrrev_b64 v[37:38], s63, v[37:38]
	v_and_b32_e32 v162, s65, v37
	s_or_b32 exec_lo, exec_lo, s46
	s_and_saveexec_b32 s46, s25
	s_cbranch_execz .LBB1119_214
.LBB1119_280:                           ;   in Loop: Header=BB1119_96 Depth=2
	ds_read_b64 v[37:38], v106 offset:8704
	s_waitcnt lgkmcnt(0)
	v_cmp_ne_u64_e64 s39, s[56:57], v[37:38]
	v_cndmask_b32_e64 v38, 0x7fffffff, v38, s39
	v_cndmask_b32_e64 v37, -1, v37, s39
	v_lshrrev_b64 v[37:38], s63, v[37:38]
	v_and_b32_e32 v161, s65, v37
	s_or_b32 exec_lo, exec_lo, s46
	s_and_saveexec_b32 s46, s26
	s_cbranch_execz .LBB1119_215
.LBB1119_281:                           ;   in Loop: Header=BB1119_96 Depth=2
	ds_read_b64 v[37:38], v106 offset:10752
	s_waitcnt lgkmcnt(0)
	v_cmp_ne_u64_e64 s39, s[56:57], v[37:38]
	v_cndmask_b32_e64 v38, 0x7fffffff, v38, s39
	v_cndmask_b32_e64 v37, -1, v37, s39
	v_lshrrev_b64 v[37:38], s63, v[37:38]
	v_and_b32_e32 v160, s65, v37
	s_or_b32 exec_lo, exec_lo, s46
	s_and_saveexec_b32 s46, s27
	s_cbranch_execz .LBB1119_216
.LBB1119_282:                           ;   in Loop: Header=BB1119_96 Depth=2
	ds_read_b64 v[37:38], v106 offset:12800
	s_waitcnt lgkmcnt(0)
	v_cmp_ne_u64_e64 s39, s[56:57], v[37:38]
	v_cndmask_b32_e64 v38, 0x7fffffff, v38, s39
	v_cndmask_b32_e64 v37, -1, v37, s39
	v_lshrrev_b64 v[37:38], s63, v[37:38]
	v_and_b32_e32 v159, s65, v37
	s_or_b32 exec_lo, exec_lo, s46
	s_and_saveexec_b32 s46, s28
	s_cbranch_execz .LBB1119_217
.LBB1119_283:                           ;   in Loop: Header=BB1119_96 Depth=2
	ds_read_b64 v[37:38], v106 offset:14848
	s_waitcnt lgkmcnt(0)
	v_cmp_ne_u64_e64 s39, s[56:57], v[37:38]
	v_cndmask_b32_e64 v38, 0x7fffffff, v38, s39
	v_cndmask_b32_e64 v37, -1, v37, s39
	v_lshrrev_b64 v[37:38], s63, v[37:38]
	v_and_b32_e32 v158, s65, v37
	s_or_b32 exec_lo, exec_lo, s46
	s_and_saveexec_b32 s46, s30
	s_cbranch_execz .LBB1119_218
.LBB1119_284:                           ;   in Loop: Header=BB1119_96 Depth=2
	ds_read_b64 v[37:38], v106 offset:16896
	s_waitcnt lgkmcnt(0)
	v_cmp_ne_u64_e64 s39, s[56:57], v[37:38]
	v_cndmask_b32_e64 v38, 0x7fffffff, v38, s39
	v_cndmask_b32_e64 v37, -1, v37, s39
	v_lshrrev_b64 v[37:38], s63, v[37:38]
	v_and_b32_e32 v157, s65, v37
	s_or_b32 exec_lo, exec_lo, s46
	s_and_saveexec_b32 s46, s31
	s_cbranch_execz .LBB1119_219
.LBB1119_285:                           ;   in Loop: Header=BB1119_96 Depth=2
	ds_read_b64 v[37:38], v106 offset:18944
	s_waitcnt lgkmcnt(0)
	v_cmp_ne_u64_e64 s39, s[56:57], v[37:38]
	v_cndmask_b32_e64 v38, 0x7fffffff, v38, s39
	v_cndmask_b32_e64 v37, -1, v37, s39
	v_lshrrev_b64 v[37:38], s63, v[37:38]
	v_and_b32_e32 v155, s65, v37
	s_or_b32 exec_lo, exec_lo, s46
	s_and_saveexec_b32 s46, s33
	s_cbranch_execz .LBB1119_220
.LBB1119_286:                           ;   in Loop: Header=BB1119_96 Depth=2
	ds_read_b64 v[37:38], v106 offset:20992
	s_waitcnt lgkmcnt(0)
	v_cmp_ne_u64_e64 s39, s[56:57], v[37:38]
	v_cndmask_b32_e64 v38, 0x7fffffff, v38, s39
	v_cndmask_b32_e64 v37, -1, v37, s39
	v_lshrrev_b64 v[37:38], s63, v[37:38]
	v_and_b32_e32 v154, s65, v37
	s_or_b32 exec_lo, exec_lo, s46
	s_and_saveexec_b32 s46, s34
	s_cbranch_execz .LBB1119_221
.LBB1119_287:                           ;   in Loop: Header=BB1119_96 Depth=2
	ds_read_b64 v[37:38], v106 offset:23040
	s_waitcnt lgkmcnt(0)
	v_cmp_ne_u64_e64 s39, s[56:57], v[37:38]
	v_cndmask_b32_e64 v38, 0x7fffffff, v38, s39
	v_cndmask_b32_e64 v37, -1, v37, s39
	v_lshrrev_b64 v[37:38], s63, v[37:38]
	v_and_b32_e32 v153, s65, v37
	s_or_b32 exec_lo, exec_lo, s46
	s_and_saveexec_b32 s46, s35
	s_cbranch_execz .LBB1119_222
.LBB1119_288:                           ;   in Loop: Header=BB1119_96 Depth=2
	ds_read_b64 v[37:38], v106 offset:25088
	s_waitcnt lgkmcnt(0)
	v_cmp_ne_u64_e64 s39, s[56:57], v[37:38]
	v_cndmask_b32_e64 v38, 0x7fffffff, v38, s39
	v_cndmask_b32_e64 v37, -1, v37, s39
	v_lshrrev_b64 v[37:38], s63, v[37:38]
	v_and_b32_e32 v152, s65, v37
	s_or_b32 exec_lo, exec_lo, s46
	s_and_saveexec_b32 s46, s36
	s_cbranch_execz .LBB1119_223
.LBB1119_289:                           ;   in Loop: Header=BB1119_96 Depth=2
	ds_read_b64 v[37:38], v106 offset:27136
	s_waitcnt lgkmcnt(0)
	v_cmp_ne_u64_e64 s39, s[56:57], v[37:38]
	v_cndmask_b32_e64 v38, 0x7fffffff, v38, s39
	v_cndmask_b32_e64 v37, -1, v37, s39
	v_lshrrev_b64 v[37:38], s63, v[37:38]
	v_and_b32_e32 v151, s65, v37
	s_or_b32 exec_lo, exec_lo, s46
	s_and_saveexec_b32 s46, s37
	s_cbranch_execz .LBB1119_224
.LBB1119_290:                           ;   in Loop: Header=BB1119_96 Depth=2
	ds_read_b64 v[37:38], v106 offset:29184
	s_waitcnt lgkmcnt(0)
	v_cmp_ne_u64_e64 s39, s[56:57], v[37:38]
	v_cndmask_b32_e64 v38, 0x7fffffff, v38, s39
	v_cndmask_b32_e64 v37, -1, v37, s39
	v_lshrrev_b64 v[37:38], s63, v[37:38]
	v_and_b32_e32 v150, s65, v37
	s_or_b32 exec_lo, exec_lo, s46
	s_and_saveexec_b32 s46, s38
	s_cbranch_execnz .LBB1119_225
	s_branch .LBB1119_226
.LBB1119_291:                           ;   in Loop: Header=BB1119_96 Depth=2
	v_lshlrev_b32_e32 v3, 2, v165
	ds_read_b32 v3, v3
	ds_read_b64 v[37:38], v106 offset:512
	s_waitcnt lgkmcnt(1)
	v_add_nc_u32_e32 v3, v3, v0
	v_lshlrev_b64 v[39:40], 3, v[3:4]
	v_add_co_u32 v39, vcc_lo, s48, v39
	v_add_co_ci_u32_e64 v40, null, s49, v40, vcc_lo
	s_waitcnt lgkmcnt(0)
	global_store_dwordx2 v[39:40], v[37:38], off
	s_or_b32 exec_lo, exec_lo, s39
	s_and_saveexec_b32 s39, s22
	s_cbranch_execz .LBB1119_228
.LBB1119_292:                           ;   in Loop: Header=BB1119_96 Depth=2
	v_lshlrev_b32_e32 v3, 2, v164
	ds_read_b32 v3, v3
	ds_read_b64 v[37:38], v106 offset:2560
	s_waitcnt lgkmcnt(1)
	v_add_nc_u32_e32 v3, v3, v74
	v_lshlrev_b64 v[39:40], 3, v[3:4]
	v_add_co_u32 v39, vcc_lo, s48, v39
	v_add_co_ci_u32_e64 v40, null, s49, v40, vcc_lo
	s_waitcnt lgkmcnt(0)
	global_store_dwordx2 v[39:40], v[37:38], off
	s_or_b32 exec_lo, exec_lo, s39
	s_and_saveexec_b32 s22, s23
	s_cbranch_execz .LBB1119_229
.LBB1119_293:                           ;   in Loop: Header=BB1119_96 Depth=2
	v_lshlrev_b32_e32 v3, 2, v163
	ds_read_b32 v3, v3
	ds_read_b64 v[37:38], v106 offset:4608
	s_waitcnt lgkmcnt(1)
	v_add_nc_u32_e32 v3, v3, v77
	v_lshlrev_b64 v[39:40], 3, v[3:4]
	v_add_co_u32 v39, vcc_lo, s48, v39
	v_add_co_ci_u32_e64 v40, null, s49, v40, vcc_lo
	s_waitcnt lgkmcnt(0)
	global_store_dwordx2 v[39:40], v[37:38], off
	s_or_b32 exec_lo, exec_lo, s22
	s_and_saveexec_b32 s22, s24
	s_cbranch_execz .LBB1119_230
.LBB1119_294:                           ;   in Loop: Header=BB1119_96 Depth=2
	v_lshlrev_b32_e32 v3, 2, v162
	ds_read_b32 v3, v3
	ds_read_b64 v[37:38], v106 offset:6656
	s_waitcnt lgkmcnt(1)
	v_add_nc_u32_e32 v3, v3, v78
	v_lshlrev_b64 v[39:40], 3, v[3:4]
	v_add_co_u32 v39, vcc_lo, s48, v39
	v_add_co_ci_u32_e64 v40, null, s49, v40, vcc_lo
	s_waitcnt lgkmcnt(0)
	global_store_dwordx2 v[39:40], v[37:38], off
	s_or_b32 exec_lo, exec_lo, s22
	s_and_saveexec_b32 s22, s25
	s_cbranch_execz .LBB1119_231
.LBB1119_295:                           ;   in Loop: Header=BB1119_96 Depth=2
	v_lshlrev_b32_e32 v3, 2, v161
	ds_read_b32 v3, v3
	ds_read_b64 v[37:38], v106 offset:8704
	s_waitcnt lgkmcnt(1)
	v_add_nc_u32_e32 v3, v3, v79
	v_lshlrev_b64 v[39:40], 3, v[3:4]
	v_add_co_u32 v39, vcc_lo, s48, v39
	v_add_co_ci_u32_e64 v40, null, s49, v40, vcc_lo
	s_waitcnt lgkmcnt(0)
	global_store_dwordx2 v[39:40], v[37:38], off
	s_or_b32 exec_lo, exec_lo, s22
	s_and_saveexec_b32 s22, s26
	s_cbranch_execz .LBB1119_232
.LBB1119_296:                           ;   in Loop: Header=BB1119_96 Depth=2
	v_lshlrev_b32_e32 v3, 2, v160
	ds_read_b32 v3, v3
	ds_read_b64 v[37:38], v106 offset:10752
	s_waitcnt lgkmcnt(1)
	v_add_nc_u32_e32 v3, v3, v80
	v_lshlrev_b64 v[39:40], 3, v[3:4]
	v_add_co_u32 v39, vcc_lo, s48, v39
	v_add_co_ci_u32_e64 v40, null, s49, v40, vcc_lo
	s_waitcnt lgkmcnt(0)
	global_store_dwordx2 v[39:40], v[37:38], off
	s_or_b32 exec_lo, exec_lo, s22
	s_and_saveexec_b32 s22, s27
	s_cbranch_execz .LBB1119_233
.LBB1119_297:                           ;   in Loop: Header=BB1119_96 Depth=2
	v_lshlrev_b32_e32 v3, 2, v159
	ds_read_b32 v3, v3
	ds_read_b64 v[37:38], v106 offset:12800
	s_waitcnt lgkmcnt(1)
	v_add_nc_u32_e32 v3, v3, v81
	v_lshlrev_b64 v[39:40], 3, v[3:4]
	v_add_co_u32 v39, vcc_lo, s48, v39
	v_add_co_ci_u32_e64 v40, null, s49, v40, vcc_lo
	s_waitcnt lgkmcnt(0)
	global_store_dwordx2 v[39:40], v[37:38], off
	s_or_b32 exec_lo, exec_lo, s22
	s_and_saveexec_b32 s22, s28
	s_cbranch_execz .LBB1119_234
.LBB1119_298:                           ;   in Loop: Header=BB1119_96 Depth=2
	v_lshlrev_b32_e32 v3, 2, v158
	ds_read_b32 v3, v3
	ds_read_b64 v[37:38], v106 offset:14848
	s_waitcnt lgkmcnt(1)
	v_add_nc_u32_e32 v3, v3, v82
	v_lshlrev_b64 v[39:40], 3, v[3:4]
	v_add_co_u32 v39, vcc_lo, s48, v39
	v_add_co_ci_u32_e64 v40, null, s49, v40, vcc_lo
	s_waitcnt lgkmcnt(0)
	global_store_dwordx2 v[39:40], v[37:38], off
	s_or_b32 exec_lo, exec_lo, s22
	s_and_saveexec_b32 s22, s30
	s_cbranch_execz .LBB1119_235
.LBB1119_299:                           ;   in Loop: Header=BB1119_96 Depth=2
	v_lshlrev_b32_e32 v3, 2, v157
	ds_read_b32 v3, v3
	ds_read_b64 v[37:38], v106 offset:16896
	s_waitcnt lgkmcnt(1)
	v_add_nc_u32_e32 v3, v3, v83
	v_lshlrev_b64 v[39:40], 3, v[3:4]
	v_add_co_u32 v39, vcc_lo, s48, v39
	v_add_co_ci_u32_e64 v40, null, s49, v40, vcc_lo
	s_waitcnt lgkmcnt(0)
	global_store_dwordx2 v[39:40], v[37:38], off
	s_or_b32 exec_lo, exec_lo, s22
	s_and_saveexec_b32 s22, s31
	s_cbranch_execz .LBB1119_236
.LBB1119_300:                           ;   in Loop: Header=BB1119_96 Depth=2
	v_lshlrev_b32_e32 v3, 2, v155
	ds_read_b32 v3, v3
	ds_read_b64 v[37:38], v106 offset:18944
	s_waitcnt lgkmcnt(1)
	v_add_nc_u32_e32 v3, v3, v84
	v_lshlrev_b64 v[39:40], 3, v[3:4]
	v_add_co_u32 v39, vcc_lo, s48, v39
	v_add_co_ci_u32_e64 v40, null, s49, v40, vcc_lo
	s_waitcnt lgkmcnt(0)
	global_store_dwordx2 v[39:40], v[37:38], off
	s_or_b32 exec_lo, exec_lo, s22
	s_and_saveexec_b32 s22, s33
	s_cbranch_execz .LBB1119_237
.LBB1119_301:                           ;   in Loop: Header=BB1119_96 Depth=2
	v_lshlrev_b32_e32 v3, 2, v154
	ds_read_b32 v3, v3
	ds_read_b64 v[37:38], v106 offset:20992
	s_waitcnt lgkmcnt(1)
	v_add_nc_u32_e32 v3, v3, v85
	v_lshlrev_b64 v[39:40], 3, v[3:4]
	v_add_co_u32 v39, vcc_lo, s48, v39
	v_add_co_ci_u32_e64 v40, null, s49, v40, vcc_lo
	s_waitcnt lgkmcnt(0)
	global_store_dwordx2 v[39:40], v[37:38], off
	s_or_b32 exec_lo, exec_lo, s22
	s_and_saveexec_b32 s22, s34
	s_cbranch_execz .LBB1119_238
.LBB1119_302:                           ;   in Loop: Header=BB1119_96 Depth=2
	v_lshlrev_b32_e32 v3, 2, v153
	ds_read_b32 v3, v3
	ds_read_b64 v[37:38], v106 offset:23040
	s_waitcnt lgkmcnt(1)
	v_add_nc_u32_e32 v3, v3, v86
	v_lshlrev_b64 v[39:40], 3, v[3:4]
	v_add_co_u32 v39, vcc_lo, s48, v39
	v_add_co_ci_u32_e64 v40, null, s49, v40, vcc_lo
	s_waitcnt lgkmcnt(0)
	global_store_dwordx2 v[39:40], v[37:38], off
	s_or_b32 exec_lo, exec_lo, s22
	s_and_saveexec_b32 s22, s35
	s_cbranch_execz .LBB1119_239
.LBB1119_303:                           ;   in Loop: Header=BB1119_96 Depth=2
	v_lshlrev_b32_e32 v3, 2, v152
	ds_read_b32 v3, v3
	ds_read_b64 v[37:38], v106 offset:25088
	s_waitcnt lgkmcnt(1)
	v_add_nc_u32_e32 v3, v3, v87
	v_lshlrev_b64 v[39:40], 3, v[3:4]
	v_add_co_u32 v39, vcc_lo, s48, v39
	v_add_co_ci_u32_e64 v40, null, s49, v40, vcc_lo
	s_waitcnt lgkmcnt(0)
	global_store_dwordx2 v[39:40], v[37:38], off
	s_or_b32 exec_lo, exec_lo, s22
	s_and_saveexec_b32 s22, s36
	s_cbranch_execz .LBB1119_240
.LBB1119_304:                           ;   in Loop: Header=BB1119_96 Depth=2
	v_lshlrev_b32_e32 v3, 2, v151
	ds_read_b32 v3, v3
	ds_read_b64 v[37:38], v106 offset:27136
	s_waitcnt lgkmcnt(1)
	v_add_nc_u32_e32 v3, v3, v88
	v_lshlrev_b64 v[39:40], 3, v[3:4]
	v_add_co_u32 v39, vcc_lo, s48, v39
	v_add_co_ci_u32_e64 v40, null, s49, v40, vcc_lo
	s_waitcnt lgkmcnt(0)
	global_store_dwordx2 v[39:40], v[37:38], off
	s_or_b32 exec_lo, exec_lo, s22
	s_and_saveexec_b32 s22, s37
	s_cbranch_execz .LBB1119_241
.LBB1119_305:                           ;   in Loop: Header=BB1119_96 Depth=2
	v_lshlrev_b32_e32 v3, 2, v150
	ds_read_b32 v3, v3
	ds_read_b64 v[37:38], v106 offset:29184
	s_waitcnt lgkmcnt(1)
	v_add_nc_u32_e32 v3, v3, v89
	v_lshlrev_b64 v[39:40], 3, v[3:4]
	v_add_co_u32 v39, vcc_lo, s48, v39
	v_add_co_ci_u32_e64 v40, null, s49, v40, vcc_lo
	s_waitcnt lgkmcnt(0)
	global_store_dwordx2 v[39:40], v[37:38], off
	s_or_b32 exec_lo, exec_lo, s22
	s_and_saveexec_b32 s22, s38
	s_cbranch_execnz .LBB1119_242
	s_branch .LBB1119_243
.LBB1119_306:                           ;   in Loop: Header=BB1119_12 Depth=1
	s_waitcnt lgkmcnt(0)
	s_mov_b32 s13, 0
	s_barrier
.LBB1119_307:                           ;   in Loop: Header=BB1119_12 Depth=1
	s_and_b32 vcc_lo, exec_lo, s13
	s_cbranch_vccz .LBB1119_601
; %bb.308:                              ;   in Loop: Header=BB1119_12 Depth=1
	s_mov_b32 s13, s62
	s_mov_b32 s14, s60
	s_barrier
	buffer_gl0_inv
                                        ; implicit-def: $vgpr5_vgpr6
                                        ; implicit-def: $vgpr7_vgpr8
                                        ; implicit-def: $vgpr9_vgpr10
                                        ; implicit-def: $vgpr11_vgpr12
                                        ; implicit-def: $vgpr13_vgpr14
                                        ; implicit-def: $vgpr15_vgpr16
                                        ; implicit-def: $vgpr17_vgpr18
                                        ; implicit-def: $vgpr19_vgpr20
                                        ; implicit-def: $vgpr21_vgpr22
                                        ; implicit-def: $vgpr23_vgpr24
                                        ; implicit-def: $vgpr25_vgpr26
                                        ; implicit-def: $vgpr27_vgpr28
                                        ; implicit-def: $vgpr29_vgpr30
                                        ; implicit-def: $vgpr31_vgpr32
                                        ; implicit-def: $vgpr33_vgpr34
                                        ; implicit-def: $vgpr35_vgpr36
	s_branch .LBB1119_310
.LBB1119_309:                           ;   in Loop: Header=BB1119_310 Depth=2
	s_or_b32 exec_lo, exec_lo, s14
	s_addk_i32 s13, 0xf000
	s_cmp_ge_u32 s16, s61
	s_mov_b32 s14, s16
	s_cbranch_scc1 .LBB1119_378
.LBB1119_310:                           ;   Parent Loop BB1119_12 Depth=1
                                        ; =>  This Inner Loop Header: Depth=2
	s_add_i32 s16, s14, 0x1000
	s_mov_b32 s15, -1
	s_cmp_gt_u32 s16, s61
                                        ; implicit-def: $vgpr47_vgpr48
                                        ; implicit-def: $vgpr51_vgpr52
                                        ; implicit-def: $vgpr55_vgpr56
                                        ; implicit-def: $vgpr37_vgpr38
                                        ; implicit-def: $vgpr39_vgpr40
                                        ; implicit-def: $vgpr41_vgpr42
                                        ; implicit-def: $vgpr43_vgpr44
                                        ; implicit-def: $vgpr45_vgpr46
                                        ; implicit-def: $vgpr49_vgpr50
                                        ; implicit-def: $vgpr53_vgpr54
                                        ; implicit-def: $vgpr57_vgpr58
                                        ; implicit-def: $vgpr59_vgpr60
                                        ; implicit-def: $vgpr61_vgpr62
                                        ; implicit-def: $vgpr63_vgpr64
                                        ; implicit-def: $vgpr65_vgpr66
                                        ; implicit-def: $vgpr67_vgpr68
	s_cbranch_scc1 .LBB1119_312
; %bb.311:                              ;   in Loop: Header=BB1119_310 Depth=2
	s_mov_b32 s15, s56
	s_lshl_b64 s[18:19], s[14:15], 3
	s_mov_b32 s15, 0
	v_add_co_u32 v47, vcc_lo, v107, s18
	v_add_co_ci_u32_e64 v48, null, s19, v108, vcc_lo
	v_add_co_u32 v55, vcc_lo, v47, 0x1000
	v_add_co_ci_u32_e64 v56, null, 0, v48, vcc_lo
	;; [unrolled: 2-line block ×6, first 2 shown]
	s_clause 0x7
	global_load_dwordx2 v[37:38], v[39:40], off offset:-2048
	global_load_dwordx2 v[39:40], v[39:40], off
	global_load_dwordx2 v[41:42], v[43:44], off offset:-2048
	global_load_dwordx2 v[43:44], v[43:44], off
	;; [unrolled: 2-line block ×4, first 2 shown]
	v_add_co_u32 v51, vcc_lo, v47, 0x6000
	v_add_co_ci_u32_e64 v52, null, 0, v48, vcc_lo
	v_add_co_u32 v65, vcc_lo, v47, 0x7000
	v_add_co_ci_u32_e64 v66, null, 0, v48, vcc_lo
	;; [unrolled: 2-line block ×3, first 2 shown]
	s_clause 0x7
	global_load_dwordx2 v[59:60], v[51:52], off offset:-2048
	global_load_dwordx2 v[61:62], v[51:52], off
	global_load_dwordx2 v[63:64], v[65:66], off offset:-2048
	global_load_dwordx2 v[65:66], v[65:66], off
	global_load_dwordx2 v[47:48], v[47:48], off
	global_load_dwordx2 v[51:52], v[55:56], off offset:-2048
	global_load_dwordx2 v[55:56], v[55:56], off
	global_load_dwordx2 v[67:68], v[67:68], off
.LBB1119_312:                           ;   in Loop: Header=BB1119_310 Depth=2
	s_andn2_b32 vcc_lo, exec_lo, s15
	s_movk_i32 s15, 0x1000
	s_cbranch_vccnz .LBB1119_331
; %bb.313:                              ;   in Loop: Header=BB1119_310 Depth=2
	s_mov_b32 s15, s56
	s_mov_b32 s17, exec_lo
	s_lshl_b64 s[14:15], s[14:15], 3
	s_add_u32 s14, s42, s14
	s_addc_u32 s15, s43, s15
	v_cmpx_gt_u32_e64 s13, v0
	s_cbranch_execnz .LBB1119_363
; %bb.314:                              ;   in Loop: Header=BB1119_310 Depth=2
	s_or_b32 exec_lo, exec_lo, s17
	s_mov_b32 s17, exec_lo
	v_cmpx_gt_u32_e64 s13, v74
	s_cbranch_execnz .LBB1119_364
.LBB1119_315:                           ;   in Loop: Header=BB1119_310 Depth=2
	s_or_b32 exec_lo, exec_lo, s17
	s_mov_b32 s17, exec_lo
	v_cmpx_gt_u32_e64 s13, v77
	s_cbranch_execnz .LBB1119_365
.LBB1119_316:                           ;   in Loop: Header=BB1119_310 Depth=2
	s_or_b32 exec_lo, exec_lo, s17
	s_mov_b32 s17, exec_lo
	v_cmpx_gt_u32_e64 s13, v78
	s_cbranch_execnz .LBB1119_366
.LBB1119_317:                           ;   in Loop: Header=BB1119_310 Depth=2
	s_or_b32 exec_lo, exec_lo, s17
	s_mov_b32 s17, exec_lo
	v_cmpx_gt_u32_e64 s13, v79
	s_cbranch_execnz .LBB1119_367
.LBB1119_318:                           ;   in Loop: Header=BB1119_310 Depth=2
	s_or_b32 exec_lo, exec_lo, s17
	s_mov_b32 s17, exec_lo
	v_cmpx_gt_u32_e64 s13, v80
	s_cbranch_execnz .LBB1119_368
.LBB1119_319:                           ;   in Loop: Header=BB1119_310 Depth=2
	s_or_b32 exec_lo, exec_lo, s17
	s_mov_b32 s17, exec_lo
	v_cmpx_gt_u32_e64 s13, v81
	s_cbranch_execnz .LBB1119_369
.LBB1119_320:                           ;   in Loop: Header=BB1119_310 Depth=2
	s_or_b32 exec_lo, exec_lo, s17
	s_mov_b32 s17, exec_lo
	v_cmpx_gt_u32_e64 s13, v82
	s_cbranch_execnz .LBB1119_370
.LBB1119_321:                           ;   in Loop: Header=BB1119_310 Depth=2
	s_or_b32 exec_lo, exec_lo, s17
	s_mov_b32 s17, exec_lo
	v_cmpx_gt_u32_e64 s13, v83
	s_cbranch_execnz .LBB1119_371
.LBB1119_322:                           ;   in Loop: Header=BB1119_310 Depth=2
	s_or_b32 exec_lo, exec_lo, s17
	s_mov_b32 s17, exec_lo
	v_cmpx_gt_u32_e64 s13, v84
	s_cbranch_execnz .LBB1119_372
.LBB1119_323:                           ;   in Loop: Header=BB1119_310 Depth=2
	s_or_b32 exec_lo, exec_lo, s17
	s_mov_b32 s17, exec_lo
	v_cmpx_gt_u32_e64 s13, v85
	s_cbranch_execnz .LBB1119_373
.LBB1119_324:                           ;   in Loop: Header=BB1119_310 Depth=2
	s_or_b32 exec_lo, exec_lo, s17
	s_mov_b32 s17, exec_lo
	v_cmpx_gt_u32_e64 s13, v86
	s_cbranch_execnz .LBB1119_374
.LBB1119_325:                           ;   in Loop: Header=BB1119_310 Depth=2
	s_or_b32 exec_lo, exec_lo, s17
	s_mov_b32 s17, exec_lo
	v_cmpx_gt_u32_e64 s13, v87
	s_cbranch_execnz .LBB1119_375
.LBB1119_326:                           ;   in Loop: Header=BB1119_310 Depth=2
	s_or_b32 exec_lo, exec_lo, s17
	s_mov_b32 s17, exec_lo
	v_cmpx_gt_u32_e64 s13, v88
	s_cbranch_execnz .LBB1119_376
.LBB1119_327:                           ;   in Loop: Header=BB1119_310 Depth=2
	s_or_b32 exec_lo, exec_lo, s17
	s_mov_b32 s17, exec_lo
	v_cmpx_gt_u32_e64 s13, v89
	s_cbranch_execnz .LBB1119_377
.LBB1119_328:                           ;   in Loop: Header=BB1119_310 Depth=2
	s_or_b32 exec_lo, exec_lo, s17
	s_mov_b32 s17, exec_lo
	v_cmpx_gt_u32_e64 s13, v90
	s_cbranch_execz .LBB1119_330
.LBB1119_329:                           ;   in Loop: Header=BB1119_310 Depth=2
	v_lshlrev_b32_e32 v3, 3, v90
	global_load_dwordx2 v[5:6], v3, s[14:15]
.LBB1119_330:                           ;   in Loop: Header=BB1119_310 Depth=2
	s_or_b32 exec_lo, exec_lo, s17
	s_waitcnt vmcnt(0)
	v_mov_b32_e32 v48, v36
	v_mov_b32_e32 v52, v34
	;; [unrolled: 1-line block ×32, first 2 shown]
	s_mov_b32 s15, s13
.LBB1119_331:                           ;   in Loop: Header=BB1119_310 Depth=2
	s_waitcnt vmcnt(0)
	v_mov_b32_e32 v5, v67
	v_mov_b32_e32 v7, v65
	;; [unrolled: 1-line block ×32, first 2 shown]
	s_mov_b32 s14, exec_lo
	v_cmpx_gt_u32_e64 s15, v0
	s_cbranch_execnz .LBB1119_347
; %bb.332:                              ;   in Loop: Header=BB1119_310 Depth=2
	s_or_b32 exec_lo, exec_lo, s14
	s_mov_b32 s14, exec_lo
	v_cmpx_gt_u32_e64 s15, v74
	s_cbranch_execnz .LBB1119_348
.LBB1119_333:                           ;   in Loop: Header=BB1119_310 Depth=2
	s_or_b32 exec_lo, exec_lo, s14
	s_mov_b32 s14, exec_lo
	v_cmpx_gt_u32_e64 s15, v77
	s_cbranch_execnz .LBB1119_349
.LBB1119_334:                           ;   in Loop: Header=BB1119_310 Depth=2
	s_or_b32 exec_lo, exec_lo, s14
	s_mov_b32 s14, exec_lo
	v_cmpx_gt_u32_e64 s15, v78
	s_cbranch_execnz .LBB1119_350
.LBB1119_335:                           ;   in Loop: Header=BB1119_310 Depth=2
	s_or_b32 exec_lo, exec_lo, s14
	s_mov_b32 s14, exec_lo
	v_cmpx_gt_u32_e64 s15, v79
	s_cbranch_execnz .LBB1119_351
.LBB1119_336:                           ;   in Loop: Header=BB1119_310 Depth=2
	s_or_b32 exec_lo, exec_lo, s14
	s_mov_b32 s14, exec_lo
	v_cmpx_gt_u32_e64 s15, v80
	s_cbranch_execnz .LBB1119_352
.LBB1119_337:                           ;   in Loop: Header=BB1119_310 Depth=2
	s_or_b32 exec_lo, exec_lo, s14
	s_mov_b32 s14, exec_lo
	v_cmpx_gt_u32_e64 s15, v81
	s_cbranch_execnz .LBB1119_353
.LBB1119_338:                           ;   in Loop: Header=BB1119_310 Depth=2
	s_or_b32 exec_lo, exec_lo, s14
	s_mov_b32 s14, exec_lo
	v_cmpx_gt_u32_e64 s15, v82
	s_cbranch_execnz .LBB1119_354
.LBB1119_339:                           ;   in Loop: Header=BB1119_310 Depth=2
	s_or_b32 exec_lo, exec_lo, s14
	s_mov_b32 s14, exec_lo
	v_cmpx_gt_u32_e64 s15, v83
	s_cbranch_execnz .LBB1119_355
.LBB1119_340:                           ;   in Loop: Header=BB1119_310 Depth=2
	s_or_b32 exec_lo, exec_lo, s14
	s_mov_b32 s14, exec_lo
	v_cmpx_gt_u32_e64 s15, v84
	s_cbranch_execnz .LBB1119_356
.LBB1119_341:                           ;   in Loop: Header=BB1119_310 Depth=2
	s_or_b32 exec_lo, exec_lo, s14
	s_mov_b32 s14, exec_lo
	v_cmpx_gt_u32_e64 s15, v85
	s_cbranch_execnz .LBB1119_357
.LBB1119_342:                           ;   in Loop: Header=BB1119_310 Depth=2
	s_or_b32 exec_lo, exec_lo, s14
	s_mov_b32 s14, exec_lo
	v_cmpx_gt_u32_e64 s15, v86
	s_cbranch_execnz .LBB1119_358
.LBB1119_343:                           ;   in Loop: Header=BB1119_310 Depth=2
	s_or_b32 exec_lo, exec_lo, s14
	s_mov_b32 s14, exec_lo
	v_cmpx_gt_u32_e64 s15, v87
	s_cbranch_execnz .LBB1119_359
.LBB1119_344:                           ;   in Loop: Header=BB1119_310 Depth=2
	s_or_b32 exec_lo, exec_lo, s14
	s_mov_b32 s14, exec_lo
	v_cmpx_gt_u32_e64 s15, v88
	s_cbranch_execnz .LBB1119_360
.LBB1119_345:                           ;   in Loop: Header=BB1119_310 Depth=2
	s_or_b32 exec_lo, exec_lo, s14
	s_mov_b32 s14, exec_lo
	v_cmpx_gt_u32_e64 s15, v89
	s_cbranch_execnz .LBB1119_361
.LBB1119_346:                           ;   in Loop: Header=BB1119_310 Depth=2
	s_or_b32 exec_lo, exec_lo, s14
	s_mov_b32 s14, exec_lo
	v_cmpx_gt_u32_e64 s15, v90
	s_cbranch_execz .LBB1119_309
	s_branch .LBB1119_362
.LBB1119_347:                           ;   in Loop: Header=BB1119_310 Depth=2
	v_cmp_gt_i64_e32 vcc_lo, 0, v[35:36]
	v_ashrrev_i32_e32 v3, 31, v36
	v_not_b32_e32 v3, v3
	v_cndmask_b32_e64 v37, 0x7fffffff, 0, vcc_lo
	v_xor_b32_e32 v38, v37, v36
	v_xor_b32_e32 v37, v3, v35
	v_cmp_ne_u64_e32 vcc_lo, s[56:57], v[37:38]
	v_cndmask_b32_e32 v38, 0x7fffffff, v38, vcc_lo
	v_cndmask_b32_e32 v37, -1, v37, vcc_lo
	v_lshrrev_b64 v[37:38], s63, v[37:38]
	v_and_b32_e32 v3, s65, v37
	v_lshl_or_b32 v3, v3, 4, v91
	ds_add_u32 v3, v119
	s_or_b32 exec_lo, exec_lo, s14
	s_mov_b32 s14, exec_lo
	v_cmpx_gt_u32_e64 s15, v74
	s_cbranch_execz .LBB1119_333
.LBB1119_348:                           ;   in Loop: Header=BB1119_310 Depth=2
	v_cmp_gt_i64_e32 vcc_lo, 0, v[33:34]
	v_ashrrev_i32_e32 v3, 31, v34
	v_not_b32_e32 v3, v3
	v_cndmask_b32_e64 v37, 0x7fffffff, 0, vcc_lo
	v_xor_b32_e32 v38, v37, v34
	v_xor_b32_e32 v37, v3, v33
	v_cmp_ne_u64_e32 vcc_lo, s[56:57], v[37:38]
	v_cndmask_b32_e32 v38, 0x7fffffff, v38, vcc_lo
	v_cndmask_b32_e32 v37, -1, v37, vcc_lo
	v_lshrrev_b64 v[37:38], s63, v[37:38]
	v_and_b32_e32 v3, s65, v37
	v_lshl_or_b32 v3, v3, 4, v91
	ds_add_u32 v3, v119
	s_or_b32 exec_lo, exec_lo, s14
	s_mov_b32 s14, exec_lo
	v_cmpx_gt_u32_e64 s15, v77
	s_cbranch_execz .LBB1119_334
.LBB1119_349:                           ;   in Loop: Header=BB1119_310 Depth=2
	v_cmp_gt_i64_e32 vcc_lo, 0, v[31:32]
	v_ashrrev_i32_e32 v3, 31, v32
	v_not_b32_e32 v3, v3
	v_cndmask_b32_e64 v37, 0x7fffffff, 0, vcc_lo
	v_xor_b32_e32 v38, v37, v32
	v_xor_b32_e32 v37, v3, v31
	v_cmp_ne_u64_e32 vcc_lo, s[56:57], v[37:38]
	v_cndmask_b32_e32 v38, 0x7fffffff, v38, vcc_lo
	v_cndmask_b32_e32 v37, -1, v37, vcc_lo
	v_lshrrev_b64 v[37:38], s63, v[37:38]
	v_and_b32_e32 v3, s65, v37
	v_lshl_or_b32 v3, v3, 4, v91
	ds_add_u32 v3, v119
	s_or_b32 exec_lo, exec_lo, s14
	s_mov_b32 s14, exec_lo
	v_cmpx_gt_u32_e64 s15, v78
	s_cbranch_execz .LBB1119_335
.LBB1119_350:                           ;   in Loop: Header=BB1119_310 Depth=2
	v_cmp_gt_i64_e32 vcc_lo, 0, v[29:30]
	v_ashrrev_i32_e32 v3, 31, v30
	v_not_b32_e32 v3, v3
	v_cndmask_b32_e64 v37, 0x7fffffff, 0, vcc_lo
	v_xor_b32_e32 v38, v37, v30
	v_xor_b32_e32 v37, v3, v29
	v_cmp_ne_u64_e32 vcc_lo, s[56:57], v[37:38]
	v_cndmask_b32_e32 v38, 0x7fffffff, v38, vcc_lo
	v_cndmask_b32_e32 v37, -1, v37, vcc_lo
	v_lshrrev_b64 v[37:38], s63, v[37:38]
	v_and_b32_e32 v3, s65, v37
	v_lshl_or_b32 v3, v3, 4, v91
	ds_add_u32 v3, v119
	s_or_b32 exec_lo, exec_lo, s14
	s_mov_b32 s14, exec_lo
	v_cmpx_gt_u32_e64 s15, v79
	s_cbranch_execz .LBB1119_336
.LBB1119_351:                           ;   in Loop: Header=BB1119_310 Depth=2
	v_cmp_gt_i64_e32 vcc_lo, 0, v[27:28]
	v_ashrrev_i32_e32 v3, 31, v28
	v_not_b32_e32 v3, v3
	v_cndmask_b32_e64 v37, 0x7fffffff, 0, vcc_lo
	v_xor_b32_e32 v38, v37, v28
	v_xor_b32_e32 v37, v3, v27
	v_cmp_ne_u64_e32 vcc_lo, s[56:57], v[37:38]
	v_cndmask_b32_e32 v38, 0x7fffffff, v38, vcc_lo
	v_cndmask_b32_e32 v37, -1, v37, vcc_lo
	v_lshrrev_b64 v[37:38], s63, v[37:38]
	v_and_b32_e32 v3, s65, v37
	v_lshl_or_b32 v3, v3, 4, v91
	ds_add_u32 v3, v119
	s_or_b32 exec_lo, exec_lo, s14
	s_mov_b32 s14, exec_lo
	v_cmpx_gt_u32_e64 s15, v80
	s_cbranch_execz .LBB1119_337
.LBB1119_352:                           ;   in Loop: Header=BB1119_310 Depth=2
	v_cmp_gt_i64_e32 vcc_lo, 0, v[25:26]
	v_ashrrev_i32_e32 v3, 31, v26
	v_not_b32_e32 v3, v3
	v_cndmask_b32_e64 v37, 0x7fffffff, 0, vcc_lo
	v_xor_b32_e32 v38, v37, v26
	v_xor_b32_e32 v37, v3, v25
	v_cmp_ne_u64_e32 vcc_lo, s[56:57], v[37:38]
	v_cndmask_b32_e32 v38, 0x7fffffff, v38, vcc_lo
	v_cndmask_b32_e32 v37, -1, v37, vcc_lo
	v_lshrrev_b64 v[37:38], s63, v[37:38]
	v_and_b32_e32 v3, s65, v37
	v_lshl_or_b32 v3, v3, 4, v91
	ds_add_u32 v3, v119
	s_or_b32 exec_lo, exec_lo, s14
	s_mov_b32 s14, exec_lo
	v_cmpx_gt_u32_e64 s15, v81
	s_cbranch_execz .LBB1119_338
.LBB1119_353:                           ;   in Loop: Header=BB1119_310 Depth=2
	v_cmp_gt_i64_e32 vcc_lo, 0, v[23:24]
	v_ashrrev_i32_e32 v3, 31, v24
	v_not_b32_e32 v3, v3
	v_cndmask_b32_e64 v37, 0x7fffffff, 0, vcc_lo
	v_xor_b32_e32 v38, v37, v24
	v_xor_b32_e32 v37, v3, v23
	v_cmp_ne_u64_e32 vcc_lo, s[56:57], v[37:38]
	v_cndmask_b32_e32 v38, 0x7fffffff, v38, vcc_lo
	v_cndmask_b32_e32 v37, -1, v37, vcc_lo
	v_lshrrev_b64 v[37:38], s63, v[37:38]
	v_and_b32_e32 v3, s65, v37
	v_lshl_or_b32 v3, v3, 4, v91
	ds_add_u32 v3, v119
	s_or_b32 exec_lo, exec_lo, s14
	s_mov_b32 s14, exec_lo
	v_cmpx_gt_u32_e64 s15, v82
	s_cbranch_execz .LBB1119_339
.LBB1119_354:                           ;   in Loop: Header=BB1119_310 Depth=2
	v_cmp_gt_i64_e32 vcc_lo, 0, v[21:22]
	v_ashrrev_i32_e32 v3, 31, v22
	v_not_b32_e32 v3, v3
	v_cndmask_b32_e64 v37, 0x7fffffff, 0, vcc_lo
	v_xor_b32_e32 v38, v37, v22
	v_xor_b32_e32 v37, v3, v21
	v_cmp_ne_u64_e32 vcc_lo, s[56:57], v[37:38]
	v_cndmask_b32_e32 v38, 0x7fffffff, v38, vcc_lo
	v_cndmask_b32_e32 v37, -1, v37, vcc_lo
	v_lshrrev_b64 v[37:38], s63, v[37:38]
	v_and_b32_e32 v3, s65, v37
	v_lshl_or_b32 v3, v3, 4, v91
	ds_add_u32 v3, v119
	s_or_b32 exec_lo, exec_lo, s14
	s_mov_b32 s14, exec_lo
	v_cmpx_gt_u32_e64 s15, v83
	s_cbranch_execz .LBB1119_340
.LBB1119_355:                           ;   in Loop: Header=BB1119_310 Depth=2
	v_cmp_gt_i64_e32 vcc_lo, 0, v[19:20]
	v_ashrrev_i32_e32 v3, 31, v20
	v_not_b32_e32 v3, v3
	v_cndmask_b32_e64 v37, 0x7fffffff, 0, vcc_lo
	v_xor_b32_e32 v38, v37, v20
	v_xor_b32_e32 v37, v3, v19
	v_cmp_ne_u64_e32 vcc_lo, s[56:57], v[37:38]
	v_cndmask_b32_e32 v38, 0x7fffffff, v38, vcc_lo
	v_cndmask_b32_e32 v37, -1, v37, vcc_lo
	v_lshrrev_b64 v[37:38], s63, v[37:38]
	v_and_b32_e32 v3, s65, v37
	v_lshl_or_b32 v3, v3, 4, v91
	ds_add_u32 v3, v119
	s_or_b32 exec_lo, exec_lo, s14
	s_mov_b32 s14, exec_lo
	v_cmpx_gt_u32_e64 s15, v84
	s_cbranch_execz .LBB1119_341
.LBB1119_356:                           ;   in Loop: Header=BB1119_310 Depth=2
	v_cmp_gt_i64_e32 vcc_lo, 0, v[17:18]
	v_ashrrev_i32_e32 v3, 31, v18
	v_not_b32_e32 v3, v3
	v_cndmask_b32_e64 v37, 0x7fffffff, 0, vcc_lo
	v_xor_b32_e32 v38, v37, v18
	v_xor_b32_e32 v37, v3, v17
	v_cmp_ne_u64_e32 vcc_lo, s[56:57], v[37:38]
	v_cndmask_b32_e32 v38, 0x7fffffff, v38, vcc_lo
	v_cndmask_b32_e32 v37, -1, v37, vcc_lo
	v_lshrrev_b64 v[37:38], s63, v[37:38]
	v_and_b32_e32 v3, s65, v37
	v_lshl_or_b32 v3, v3, 4, v91
	ds_add_u32 v3, v119
	s_or_b32 exec_lo, exec_lo, s14
	s_mov_b32 s14, exec_lo
	v_cmpx_gt_u32_e64 s15, v85
	s_cbranch_execz .LBB1119_342
.LBB1119_357:                           ;   in Loop: Header=BB1119_310 Depth=2
	v_cmp_gt_i64_e32 vcc_lo, 0, v[15:16]
	v_ashrrev_i32_e32 v3, 31, v16
	v_not_b32_e32 v3, v3
	v_cndmask_b32_e64 v37, 0x7fffffff, 0, vcc_lo
	v_xor_b32_e32 v38, v37, v16
	v_xor_b32_e32 v37, v3, v15
	v_cmp_ne_u64_e32 vcc_lo, s[56:57], v[37:38]
	v_cndmask_b32_e32 v38, 0x7fffffff, v38, vcc_lo
	v_cndmask_b32_e32 v37, -1, v37, vcc_lo
	v_lshrrev_b64 v[37:38], s63, v[37:38]
	v_and_b32_e32 v3, s65, v37
	v_lshl_or_b32 v3, v3, 4, v91
	ds_add_u32 v3, v119
	s_or_b32 exec_lo, exec_lo, s14
	s_mov_b32 s14, exec_lo
	v_cmpx_gt_u32_e64 s15, v86
	s_cbranch_execz .LBB1119_343
.LBB1119_358:                           ;   in Loop: Header=BB1119_310 Depth=2
	v_cmp_gt_i64_e32 vcc_lo, 0, v[13:14]
	v_ashrrev_i32_e32 v3, 31, v14
	v_not_b32_e32 v3, v3
	v_cndmask_b32_e64 v37, 0x7fffffff, 0, vcc_lo
	v_xor_b32_e32 v38, v37, v14
	v_xor_b32_e32 v37, v3, v13
	v_cmp_ne_u64_e32 vcc_lo, s[56:57], v[37:38]
	v_cndmask_b32_e32 v38, 0x7fffffff, v38, vcc_lo
	v_cndmask_b32_e32 v37, -1, v37, vcc_lo
	v_lshrrev_b64 v[37:38], s63, v[37:38]
	v_and_b32_e32 v3, s65, v37
	v_lshl_or_b32 v3, v3, 4, v91
	ds_add_u32 v3, v119
	s_or_b32 exec_lo, exec_lo, s14
	s_mov_b32 s14, exec_lo
	v_cmpx_gt_u32_e64 s15, v87
	s_cbranch_execz .LBB1119_344
.LBB1119_359:                           ;   in Loop: Header=BB1119_310 Depth=2
	v_cmp_gt_i64_e32 vcc_lo, 0, v[11:12]
	v_ashrrev_i32_e32 v3, 31, v12
	v_not_b32_e32 v3, v3
	v_cndmask_b32_e64 v37, 0x7fffffff, 0, vcc_lo
	v_xor_b32_e32 v38, v37, v12
	v_xor_b32_e32 v37, v3, v11
	v_cmp_ne_u64_e32 vcc_lo, s[56:57], v[37:38]
	v_cndmask_b32_e32 v38, 0x7fffffff, v38, vcc_lo
	v_cndmask_b32_e32 v37, -1, v37, vcc_lo
	v_lshrrev_b64 v[37:38], s63, v[37:38]
	v_and_b32_e32 v3, s65, v37
	v_lshl_or_b32 v3, v3, 4, v91
	ds_add_u32 v3, v119
	s_or_b32 exec_lo, exec_lo, s14
	s_mov_b32 s14, exec_lo
	v_cmpx_gt_u32_e64 s15, v88
	s_cbranch_execz .LBB1119_345
.LBB1119_360:                           ;   in Loop: Header=BB1119_310 Depth=2
	v_cmp_gt_i64_e32 vcc_lo, 0, v[9:10]
	v_ashrrev_i32_e32 v3, 31, v10
	v_not_b32_e32 v3, v3
	v_cndmask_b32_e64 v37, 0x7fffffff, 0, vcc_lo
	v_xor_b32_e32 v38, v37, v10
	v_xor_b32_e32 v37, v3, v9
	v_cmp_ne_u64_e32 vcc_lo, s[56:57], v[37:38]
	v_cndmask_b32_e32 v38, 0x7fffffff, v38, vcc_lo
	v_cndmask_b32_e32 v37, -1, v37, vcc_lo
	v_lshrrev_b64 v[37:38], s63, v[37:38]
	v_and_b32_e32 v3, s65, v37
	v_lshl_or_b32 v3, v3, 4, v91
	ds_add_u32 v3, v119
	s_or_b32 exec_lo, exec_lo, s14
	s_mov_b32 s14, exec_lo
	v_cmpx_gt_u32_e64 s15, v89
	s_cbranch_execz .LBB1119_346
.LBB1119_361:                           ;   in Loop: Header=BB1119_310 Depth=2
	v_cmp_gt_i64_e32 vcc_lo, 0, v[7:8]
	v_ashrrev_i32_e32 v3, 31, v8
	v_not_b32_e32 v3, v3
	v_cndmask_b32_e64 v37, 0x7fffffff, 0, vcc_lo
	v_xor_b32_e32 v38, v37, v8
	v_xor_b32_e32 v37, v3, v7
	v_cmp_ne_u64_e32 vcc_lo, s[56:57], v[37:38]
	v_cndmask_b32_e32 v38, 0x7fffffff, v38, vcc_lo
	v_cndmask_b32_e32 v37, -1, v37, vcc_lo
	v_lshrrev_b64 v[37:38], s63, v[37:38]
	v_and_b32_e32 v3, s65, v37
	v_lshl_or_b32 v3, v3, 4, v91
	ds_add_u32 v3, v119
	s_or_b32 exec_lo, exec_lo, s14
	s_mov_b32 s14, exec_lo
	v_cmpx_gt_u32_e64 s15, v90
	s_cbranch_execz .LBB1119_309
.LBB1119_362:                           ;   in Loop: Header=BB1119_310 Depth=2
	v_cmp_gt_i64_e32 vcc_lo, 0, v[5:6]
	v_ashrrev_i32_e32 v3, 31, v6
	v_not_b32_e32 v3, v3
	v_cndmask_b32_e64 v37, 0x7fffffff, 0, vcc_lo
	v_xor_b32_e32 v38, v37, v6
	v_xor_b32_e32 v37, v3, v5
	v_cmp_ne_u64_e32 vcc_lo, s[56:57], v[37:38]
	v_cndmask_b32_e32 v38, 0x7fffffff, v38, vcc_lo
	v_cndmask_b32_e32 v37, -1, v37, vcc_lo
	v_lshrrev_b64 v[37:38], s63, v[37:38]
	v_and_b32_e32 v3, s65, v37
	v_lshl_or_b32 v3, v3, 4, v91
	ds_add_u32 v3, v119
	s_branch .LBB1119_309
.LBB1119_363:                           ;   in Loop: Header=BB1119_310 Depth=2
	global_load_dwordx2 v[35:36], v120, s[14:15]
	s_or_b32 exec_lo, exec_lo, s17
	s_mov_b32 s17, exec_lo
	v_cmpx_gt_u32_e64 s13, v74
	s_cbranch_execz .LBB1119_315
.LBB1119_364:                           ;   in Loop: Header=BB1119_310 Depth=2
	global_load_dwordx2 v[33:34], v121, s[14:15]
	s_or_b32 exec_lo, exec_lo, s17
	s_mov_b32 s17, exec_lo
	v_cmpx_gt_u32_e64 s13, v77
	s_cbranch_execz .LBB1119_316
.LBB1119_365:                           ;   in Loop: Header=BB1119_310 Depth=2
	global_load_dwordx2 v[31:32], v122, s[14:15]
	s_or_b32 exec_lo, exec_lo, s17
	s_mov_b32 s17, exec_lo
	v_cmpx_gt_u32_e64 s13, v78
	s_cbranch_execz .LBB1119_317
.LBB1119_366:                           ;   in Loop: Header=BB1119_310 Depth=2
	global_load_dwordx2 v[29:30], v123, s[14:15]
	s_or_b32 exec_lo, exec_lo, s17
	s_mov_b32 s17, exec_lo
	v_cmpx_gt_u32_e64 s13, v79
	s_cbranch_execz .LBB1119_318
.LBB1119_367:                           ;   in Loop: Header=BB1119_310 Depth=2
	global_load_dwordx2 v[27:28], v124, s[14:15]
	s_or_b32 exec_lo, exec_lo, s17
	s_mov_b32 s17, exec_lo
	v_cmpx_gt_u32_e64 s13, v80
	s_cbranch_execz .LBB1119_319
.LBB1119_368:                           ;   in Loop: Header=BB1119_310 Depth=2
	global_load_dwordx2 v[25:26], v125, s[14:15]
	s_or_b32 exec_lo, exec_lo, s17
	s_mov_b32 s17, exec_lo
	v_cmpx_gt_u32_e64 s13, v81
	s_cbranch_execz .LBB1119_320
.LBB1119_369:                           ;   in Loop: Header=BB1119_310 Depth=2
	v_lshlrev_b32_e32 v3, 3, v81
	global_load_dwordx2 v[23:24], v3, s[14:15]
	s_or_b32 exec_lo, exec_lo, s17
	s_mov_b32 s17, exec_lo
	v_cmpx_gt_u32_e64 s13, v82
	s_cbranch_execz .LBB1119_321
.LBB1119_370:                           ;   in Loop: Header=BB1119_310 Depth=2
	v_lshlrev_b32_e32 v3, 3, v82
	global_load_dwordx2 v[21:22], v3, s[14:15]
	s_or_b32 exec_lo, exec_lo, s17
	s_mov_b32 s17, exec_lo
	v_cmpx_gt_u32_e64 s13, v83
	s_cbranch_execz .LBB1119_322
.LBB1119_371:                           ;   in Loop: Header=BB1119_310 Depth=2
	v_lshlrev_b32_e32 v3, 3, v83
	global_load_dwordx2 v[19:20], v3, s[14:15]
	s_or_b32 exec_lo, exec_lo, s17
	s_mov_b32 s17, exec_lo
	v_cmpx_gt_u32_e64 s13, v84
	s_cbranch_execz .LBB1119_323
.LBB1119_372:                           ;   in Loop: Header=BB1119_310 Depth=2
	v_lshlrev_b32_e32 v3, 3, v84
	global_load_dwordx2 v[17:18], v3, s[14:15]
	s_or_b32 exec_lo, exec_lo, s17
	s_mov_b32 s17, exec_lo
	v_cmpx_gt_u32_e64 s13, v85
	s_cbranch_execz .LBB1119_324
.LBB1119_373:                           ;   in Loop: Header=BB1119_310 Depth=2
	v_lshlrev_b32_e32 v3, 3, v85
	global_load_dwordx2 v[15:16], v3, s[14:15]
	s_or_b32 exec_lo, exec_lo, s17
	s_mov_b32 s17, exec_lo
	v_cmpx_gt_u32_e64 s13, v86
	s_cbranch_execz .LBB1119_325
.LBB1119_374:                           ;   in Loop: Header=BB1119_310 Depth=2
	v_lshlrev_b32_e32 v3, 3, v86
	global_load_dwordx2 v[13:14], v3, s[14:15]
	s_or_b32 exec_lo, exec_lo, s17
	s_mov_b32 s17, exec_lo
	v_cmpx_gt_u32_e64 s13, v87
	s_cbranch_execz .LBB1119_326
.LBB1119_375:                           ;   in Loop: Header=BB1119_310 Depth=2
	v_lshlrev_b32_e32 v3, 3, v87
	global_load_dwordx2 v[11:12], v3, s[14:15]
	s_or_b32 exec_lo, exec_lo, s17
	s_mov_b32 s17, exec_lo
	v_cmpx_gt_u32_e64 s13, v88
	s_cbranch_execz .LBB1119_327
.LBB1119_376:                           ;   in Loop: Header=BB1119_310 Depth=2
	v_lshlrev_b32_e32 v3, 3, v88
	global_load_dwordx2 v[9:10], v3, s[14:15]
	s_or_b32 exec_lo, exec_lo, s17
	s_mov_b32 s17, exec_lo
	v_cmpx_gt_u32_e64 s13, v89
	s_cbranch_execz .LBB1119_328
.LBB1119_377:                           ;   in Loop: Header=BB1119_310 Depth=2
	v_lshlrev_b32_e32 v3, 3, v89
	global_load_dwordx2 v[7:8], v3, s[14:15]
	s_or_b32 exec_lo, exec_lo, s17
	s_mov_b32 s17, exec_lo
	v_cmpx_gt_u32_e64 s13, v90
	s_cbranch_execnz .LBB1119_329
	s_branch .LBB1119_330
.LBB1119_378:                           ;   in Loop: Header=BB1119_12 Depth=1
	v_mov_b32_e32 v3, 0
	s_waitcnt lgkmcnt(0)
	s_barrier
	buffer_gl0_inv
	s_and_saveexec_b32 s13, s7
	s_cbranch_execz .LBB1119_380
; %bb.379:                              ;   in Loop: Header=BB1119_12 Depth=1
	ds_read2_b64 v[5:8], v93 offset1:1
	s_waitcnt lgkmcnt(0)
	v_add_nc_u32_e32 v3, v6, v5
	v_add3_u32 v3, v3, v7, v8
.LBB1119_380:                           ;   in Loop: Header=BB1119_12 Depth=1
	s_or_b32 exec_lo, exec_lo, s13
	v_and_b32_e32 v5, 15, v126
	v_mov_b32_dpp v6, v3 row_shr:1 row_mask:0xf bank_mask:0xf
	v_and_b32_e32 v7, 16, v126
	v_cmp_eq_u32_e64 s13, 0, v5
	v_cmp_lt_u32_e64 s14, 1, v5
	v_cmp_lt_u32_e64 s15, 3, v5
	;; [unrolled: 1-line block ×3, first 2 shown]
	v_cmp_eq_u32_e64 s17, 0, v7
	v_cndmask_b32_e64 v6, v6, 0, s13
	v_add_nc_u32_e32 v3, v6, v3
	v_mov_b32_dpp v6, v3 row_shr:2 row_mask:0xf bank_mask:0xf
	v_cndmask_b32_e64 v6, 0, v6, s14
	v_add_nc_u32_e32 v3, v3, v6
	v_mov_b32_dpp v6, v3 row_shr:4 row_mask:0xf bank_mask:0xf
	v_cndmask_b32_e64 v6, 0, v6, s15
	v_add_nc_u32_e32 v3, v3, v6
	v_mov_b32_dpp v6, v3 row_shr:8 row_mask:0xf bank_mask:0xf
	v_cndmask_b32_e64 v5, 0, v6, s16
	v_bfe_i32 v6, v126, 4, 1
	v_add_nc_u32_e32 v3, v3, v5
	ds_swizzle_b32 v5, v3 offset:swizzle(BROADCAST,32,15)
	s_waitcnt lgkmcnt(0)
	v_and_b32_e32 v5, v6, v5
	v_add_nc_u32_e32 v3, v3, v5
	s_and_saveexec_b32 s18, s8
; %bb.381:                              ;   in Loop: Header=BB1119_12 Depth=1
	ds_write_b32 v94, v3
; %bb.382:                              ;   in Loop: Header=BB1119_12 Depth=1
	s_or_b32 exec_lo, exec_lo, s18
	s_waitcnt lgkmcnt(0)
	s_barrier
	buffer_gl0_inv
	s_and_saveexec_b32 s18, s9
	s_cbranch_execz .LBB1119_384
; %bb.383:                              ;   in Loop: Header=BB1119_12 Depth=1
	ds_read_b32 v5, v95
	v_and_b32_e32 v6, 3, v126
	v_cmp_ne_u32_e32 vcc_lo, 0, v6
	s_waitcnt lgkmcnt(0)
	v_mov_b32_dpp v7, v5 row_shr:1 row_mask:0xf bank_mask:0xf
	v_cndmask_b32_e32 v7, 0, v7, vcc_lo
	v_cmp_lt_u32_e32 vcc_lo, 1, v6
	v_add_nc_u32_e32 v5, v7, v5
	v_mov_b32_dpp v7, v5 row_shr:2 row_mask:0xf bank_mask:0xf
	v_cndmask_b32_e32 v6, 0, v7, vcc_lo
	v_add_nc_u32_e32 v5, v5, v6
	ds_write_b32 v95, v5
.LBB1119_384:                           ;   in Loop: Header=BB1119_12 Depth=1
	s_or_b32 exec_lo, exec_lo, s18
	v_mov_b32_e32 v5, 0
	s_waitcnt lgkmcnt(0)
	s_barrier
	buffer_gl0_inv
	s_and_saveexec_b32 s18, s10
; %bb.385:                              ;   in Loop: Header=BB1119_12 Depth=1
	ds_read_b32 v5, v96
; %bb.386:                              ;   in Loop: Header=BB1119_12 Depth=1
	s_or_b32 exec_lo, exec_lo, s18
	v_sub_co_u32 v6, s18, v126, 1
	s_waitcnt lgkmcnt(0)
	v_add_nc_u32_e32 v3, v5, v3
	s_barrier
	v_cmp_gt_i32_e32 vcc_lo, 0, v6
	buffer_gl0_inv
	v_cndmask_b32_e32 v6, v6, v126, vcc_lo
	v_lshlrev_b32_e32 v127, 2, v6
	ds_bpermute_b32 v3, v127, v3
	s_and_saveexec_b32 s19, s7
	s_cbranch_execz .LBB1119_388
; %bb.387:                              ;   in Loop: Header=BB1119_12 Depth=1
	s_waitcnt lgkmcnt(0)
	v_cndmask_b32_e64 v3, v3, v5, s18
	v_add_nc_u32_e32 v3, s60, v3
	ds_write_b32 v73, v3
.LBB1119_388:                           ;   in Loop: Header=BB1119_12 Depth=1
	s_or_b32 exec_lo, exec_lo, s19
	s_load_dwordx2 s[20:21], s[58:59], 0x0
	v_and_b32_e32 v6, 7, v126
	v_lshlrev_b32_e32 v7, 3, v126
	v_or_b32_e32 v128, v126, v97
	s_mov_b32 s66, s62
	s_mov_b32 s46, s60
                                        ; implicit-def: $vgpr9_vgpr10
                                        ; implicit-def: $vgpr11_vgpr12
                                        ; implicit-def: $vgpr13_vgpr14
                                        ; implicit-def: $vgpr17_vgpr18
                                        ; implicit-def: $vgpr21_vgpr22
                                        ; implicit-def: $vgpr25_vgpr26
                                        ; implicit-def: $vgpr15_vgpr16
                                        ; implicit-def: $vgpr19_vgpr20
                                        ; implicit-def: $vgpr23_vgpr24
                                        ; implicit-def: $vgpr27_vgpr28
                                        ; implicit-def: $vgpr29_vgpr30
                                        ; implicit-def: $vgpr31_vgpr32
                                        ; implicit-def: $vgpr33_vgpr34
                                        ; implicit-def: $vgpr35_vgpr36
                                        ; implicit-def: $vgpr149
                                        ; implicit-def: $vgpr150
                                        ; implicit-def: $vgpr151
                                        ; implicit-def: $vgpr152
                                        ; implicit-def: $vgpr153
                                        ; implicit-def: $vgpr154
                                        ; implicit-def: $vgpr155
                                        ; implicit-def: $vgpr157
                                        ; implicit-def: $vgpr158
                                        ; implicit-def: $vgpr159
                                        ; implicit-def: $vgpr160
                                        ; implicit-def: $vgpr161
                                        ; implicit-def: $vgpr162
                                        ; implicit-def: $vgpr163
                                        ; implicit-def: $vgpr164
                                        ; implicit-def: $vgpr165
                                        ; implicit-def: $vgpr156
                                        ; implicit-def: $vgpr166
	v_add_co_u32 v129, vcc_lo, v109, v7
	v_add_co_ci_u32_e64 v130, null, 0, v110, vcc_lo
	v_add_co_u32 v146, vcc_lo, v111, v7
	v_or_b32_e32 v131, 32, v128
	v_or_b32_e32 v132, 64, v128
	;; [unrolled: 1-line block ×7, first 2 shown]
	s_waitcnt lgkmcnt(0)
	s_cmp_lt_u32 s29, s21
	v_or_b32_e32 v138, 0x100, v128
	s_cselect_b32 s19, 14, 20
	v_or_b32_e32 v139, 0x120, v128
	s_add_u32 s22, s58, s19
	s_addc_u32 s23, s59, 0
	s_cmp_lt_u32 s6, s20
	global_load_ushort v3, v4, s[22:23]
	s_cselect_b32 s19, 12, 18
	v_or_b32_e32 v140, 0x140, v128
	s_add_u32 s20, s58, s19
	s_addc_u32 s21, s59, 0
	v_cmp_eq_u32_e64 s19, 0, v6
	global_load_ushort v5, v4, s[20:21]
	v_cmp_lt_u32_e64 s20, 1, v6
	v_cmp_lt_u32_e64 s21, 3, v6
	v_or_b32_e32 v141, 0x160, v128
	v_or_b32_e32 v142, 0x180, v128
	v_or_b32_e32 v143, 0x1a0, v128
	v_or_b32_e32 v144, 0x1c0, v128
	v_or_b32_e32 v145, 0x1e0, v128
	v_add_co_ci_u32_e64 v147, null, 0, v112, vcc_lo
                                        ; implicit-def: $vgpr7_vgpr8
	s_waitcnt vmcnt(1)
	v_mad_u32_u24 v3, v2, v3, v1
	s_waitcnt vmcnt(0)
	v_mad_u64_u32 v[5:6], null, v3, v5, v[0:1]
	v_lshrrev_b32_e32 v3, 3, v5
                                        ; implicit-def: $vgpr5_vgpr6
	v_and_b32_e32 v148, 0x1ffffffc, v3
	s_branch .LBB1119_390
.LBB1119_389:                           ;   in Loop: Header=BB1119_390 Depth=2
	s_or_b32 exec_lo, exec_lo, s22
	s_addk_i32 s66, 0xf000
	s_cmp_lt_u32 s67, s61
	s_mov_b32 s46, s67
	s_cbranch_scc0 .LBB1119_600
.LBB1119_390:                           ;   Parent Loop BB1119_12 Depth=1
                                        ; =>  This Inner Loop Header: Depth=2
	s_add_i32 s67, s46, 0x1000
	s_cmp_gt_u32 s67, s61
	s_cbranch_scc1 .LBB1119_392
; %bb.391:                              ;   in Loop: Header=BB1119_390 Depth=2
	s_mov_b32 s47, s56
	s_lshl_b64 s[22:23], s[46:47], 3
	v_add_co_u32 v43, vcc_lo, v146, s22
	v_add_co_ci_u32_e64 v44, null, s23, v147, vcc_lo
	v_add_co_u32 v45, vcc_lo, 0x800, v43
	v_add_co_ci_u32_e64 v46, null, 0, v44, vcc_lo
	s_clause 0xe
	global_load_dwordx2 v[37:38], v[43:44], off
	global_load_dwordx2 v[39:40], v[43:44], off offset:256
	global_load_dwordx2 v[41:42], v[43:44], off offset:512
	;; [unrolled: 1-line block ×7, first 2 shown]
	global_load_dwordx2 v[67:68], v[45:46], off
	global_load_dwordx2 v[63:64], v[45:46], off offset:256
	global_load_dwordx2 v[59:60], v[45:46], off offset:512
	;; [unrolled: 1-line block ×6, first 2 shown]
	s_mov_b32 s22, -1
	s_movk_i32 s23, 0x1000
	s_cbranch_execz .LBB1119_393
	s_branch .LBB1119_424
.LBB1119_392:                           ;   in Loop: Header=BB1119_390 Depth=2
	s_mov_b32 s22, 0
                                        ; implicit-def: $vgpr37_vgpr38
                                        ; implicit-def: $vgpr39_vgpr40
                                        ; implicit-def: $vgpr41_vgpr42
                                        ; implicit-def: $vgpr49_vgpr50
                                        ; implicit-def: $vgpr53_vgpr54
                                        ; implicit-def: $vgpr57_vgpr58
                                        ; implicit-def: $vgpr61_vgpr62
                                        ; implicit-def: $vgpr65_vgpr66
                                        ; implicit-def: $vgpr67_vgpr68
                                        ; implicit-def: $vgpr63_vgpr64
                                        ; implicit-def: $vgpr59_vgpr60
                                        ; implicit-def: $vgpr55_vgpr56
                                        ; implicit-def: $vgpr51_vgpr52
                                        ; implicit-def: $vgpr47_vgpr48
                                        ; implicit-def: $vgpr43_vgpr44
	s_movk_i32 s23, 0x1000
.LBB1119_393:                           ;   in Loop: Header=BB1119_390 Depth=2
	s_mov_b32 s47, s56
	s_waitcnt vmcnt(13)
	v_mov_b32_e32 v39, -1
	s_lshl_b64 s[22:23], s[46:47], 3
	v_mov_b32_e32 v37, -1
	v_add_co_u32 v45, vcc_lo, v146, s22
	v_add_co_ci_u32_e64 v46, null, s23, v147, vcc_lo
	v_mov_b32_e32 v40, -1
	v_mov_b32_e32 v38, -1
	s_mov_b32 s22, exec_lo
	v_cmpx_gt_u32_e64 s66, v128
	s_cbranch_execz .LBB1119_395
; %bb.394:                              ;   in Loop: Header=BB1119_390 Depth=2
	global_load_dwordx2 v[37:38], v[45:46], off
.LBB1119_395:                           ;   in Loop: Header=BB1119_390 Depth=2
	s_or_b32 exec_lo, exec_lo, s22
	s_mov_b32 s22, exec_lo
	v_cmpx_gt_u32_e64 s66, v131
	s_cbranch_execz .LBB1119_397
; %bb.396:                              ;   in Loop: Header=BB1119_390 Depth=2
	global_load_dwordx2 v[39:40], v[45:46], off offset:256
.LBB1119_397:                           ;   in Loop: Header=BB1119_390 Depth=2
	s_or_b32 exec_lo, exec_lo, s22
	s_waitcnt vmcnt(11)
	v_mov_b32_e32 v49, -1
	v_mov_b32_e32 v41, -1
	v_mov_b32_e32 v50, -1
	v_mov_b32_e32 v42, -1
	s_mov_b32 s22, exec_lo
	v_cmpx_gt_u32_e64 s66, v132
	s_cbranch_execz .LBB1119_399
; %bb.398:                              ;   in Loop: Header=BB1119_390 Depth=2
	global_load_dwordx2 v[41:42], v[45:46], off offset:512
.LBB1119_399:                           ;   in Loop: Header=BB1119_390 Depth=2
	s_or_b32 exec_lo, exec_lo, s22
	s_mov_b32 s22, exec_lo
	v_cmpx_gt_u32_e64 s66, v133
	s_cbranch_execz .LBB1119_401
; %bb.400:                              ;   in Loop: Header=BB1119_390 Depth=2
	global_load_dwordx2 v[49:50], v[45:46], off offset:768
.LBB1119_401:                           ;   in Loop: Header=BB1119_390 Depth=2
	s_or_b32 exec_lo, exec_lo, s22
	s_waitcnt vmcnt(9)
	v_mov_b32_e32 v57, -1
	v_mov_b32_e32 v53, -1
	v_mov_b32_e32 v58, -1
	v_mov_b32_e32 v54, -1
	s_mov_b32 s22, exec_lo
	v_cmpx_gt_u32_e64 s66, v134
	s_cbranch_execz .LBB1119_403
; %bb.402:                              ;   in Loop: Header=BB1119_390 Depth=2
	global_load_dwordx2 v[53:54], v[45:46], off offset:1024
.LBB1119_403:                           ;   in Loop: Header=BB1119_390 Depth=2
	;; [unrolled: 19-line block ×3, first 2 shown]
	s_or_b32 exec_lo, exec_lo, s22
	s_mov_b32 s22, exec_lo
	v_cmpx_gt_u32_e64 s66, v137
	s_cbranch_execz .LBB1119_409
; %bb.408:                              ;   in Loop: Header=BB1119_390 Depth=2
	global_load_dwordx2 v[65:66], v[45:46], off offset:1792
.LBB1119_409:                           ;   in Loop: Header=BB1119_390 Depth=2
	s_or_b32 exec_lo, exec_lo, s22
	s_waitcnt vmcnt(5)
	v_mov_b32_e32 v63, -1
	v_mov_b32_e32 v67, -1
	;; [unrolled: 1-line block ×4, first 2 shown]
	s_mov_b32 s22, exec_lo
	v_cmpx_gt_u32_e64 s66, v138
	s_cbranch_execz .LBB1119_411
; %bb.410:                              ;   in Loop: Header=BB1119_390 Depth=2
	s_waitcnt vmcnt(0)
	v_add_co_u32 v43, vcc_lo, 0x800, v45
	v_add_co_ci_u32_e64 v44, null, 0, v46, vcc_lo
	global_load_dwordx2 v[67:68], v[43:44], off
.LBB1119_411:                           ;   in Loop: Header=BB1119_390 Depth=2
	s_or_b32 exec_lo, exec_lo, s22
	s_mov_b32 s22, exec_lo
	v_cmpx_gt_u32_e64 s66, v139
	s_cbranch_execz .LBB1119_413
; %bb.412:                              ;   in Loop: Header=BB1119_390 Depth=2
	s_waitcnt vmcnt(0)
	v_add_co_u32 v43, vcc_lo, 0x800, v45
	v_add_co_ci_u32_e64 v44, null, 0, v46, vcc_lo
	global_load_dwordx2 v[63:64], v[43:44], off offset:256
.LBB1119_413:                           ;   in Loop: Header=BB1119_390 Depth=2
	s_or_b32 exec_lo, exec_lo, s22
	s_waitcnt vmcnt(3)
	v_mov_b32_e32 v55, -1
	v_mov_b32_e32 v59, -1
	;; [unrolled: 1-line block ×4, first 2 shown]
	s_mov_b32 s22, exec_lo
	v_cmpx_gt_u32_e64 s66, v140
	s_cbranch_execz .LBB1119_415
; %bb.414:                              ;   in Loop: Header=BB1119_390 Depth=2
	s_waitcnt vmcnt(0)
	v_add_co_u32 v43, vcc_lo, 0x800, v45
	v_add_co_ci_u32_e64 v44, null, 0, v46, vcc_lo
	global_load_dwordx2 v[59:60], v[43:44], off offset:512
.LBB1119_415:                           ;   in Loop: Header=BB1119_390 Depth=2
	s_or_b32 exec_lo, exec_lo, s22
	s_mov_b32 s22, exec_lo
	v_cmpx_gt_u32_e64 s66, v141
	s_cbranch_execz .LBB1119_417
; %bb.416:                              ;   in Loop: Header=BB1119_390 Depth=2
	s_waitcnt vmcnt(0)
	v_add_co_u32 v43, vcc_lo, 0x800, v45
	v_add_co_ci_u32_e64 v44, null, 0, v46, vcc_lo
	global_load_dwordx2 v[55:56], v[43:44], off offset:768
.LBB1119_417:                           ;   in Loop: Header=BB1119_390 Depth=2
	s_or_b32 exec_lo, exec_lo, s22
	s_waitcnt vmcnt(1)
	v_mov_b32_e32 v47, -1
	v_mov_b32_e32 v51, -1
	v_mov_b32_e32 v48, -1
	v_mov_b32_e32 v52, -1
	s_mov_b32 s22, exec_lo
	v_cmpx_gt_u32_e64 s66, v142
	s_cbranch_execz .LBB1119_419
; %bb.418:                              ;   in Loop: Header=BB1119_390 Depth=2
	s_waitcnt vmcnt(0)
	v_add_co_u32 v43, vcc_lo, 0x800, v45
	v_add_co_ci_u32_e64 v44, null, 0, v46, vcc_lo
	global_load_dwordx2 v[51:52], v[43:44], off offset:1024
.LBB1119_419:                           ;   in Loop: Header=BB1119_390 Depth=2
	s_or_b32 exec_lo, exec_lo, s22
	s_mov_b32 s22, exec_lo
	v_cmpx_gt_u32_e64 s66, v143
	s_cbranch_execz .LBB1119_421
; %bb.420:                              ;   in Loop: Header=BB1119_390 Depth=2
	s_waitcnt vmcnt(0)
	v_add_co_u32 v43, vcc_lo, 0x800, v45
	v_add_co_ci_u32_e64 v44, null, 0, v46, vcc_lo
	global_load_dwordx2 v[47:48], v[43:44], off offset:1280
.LBB1119_421:                           ;   in Loop: Header=BB1119_390 Depth=2
	s_or_b32 exec_lo, exec_lo, s22
	s_waitcnt vmcnt(0)
	v_mov_b32_e32 v43, -1
	v_mov_b32_e32 v44, -1
	s_mov_b32 s22, exec_lo
	v_cmpx_gt_u32_e64 s66, v144
	s_cbranch_execz .LBB1119_423
; %bb.422:                              ;   in Loop: Header=BB1119_390 Depth=2
	v_add_co_u32 v43, vcc_lo, 0x800, v45
	v_add_co_ci_u32_e64 v44, null, 0, v46, vcc_lo
	global_load_dwordx2 v[43:44], v[43:44], off offset:1536
.LBB1119_423:                           ;   in Loop: Header=BB1119_390 Depth=2
	s_or_b32 exec_lo, exec_lo, s22
	v_cmp_gt_u32_e64 s22, s66, v145
	s_sub_i32 s23, s61, s46
.LBB1119_424:                           ;   in Loop: Header=BB1119_390 Depth=2
	v_mov_b32_e32 v45, -1
	v_mov_b32_e32 v46, -1
	v_mov_b32_e32 v167, s66
	s_and_saveexec_b32 s24, s22
	s_cbranch_execz .LBB1119_426
; %bb.425:                              ;   in Loop: Header=BB1119_390 Depth=2
	s_lshl_b64 s[26:27], s[46:47], 3
	v_mov_b32_e32 v167, s23
	v_add_co_u32 v3, vcc_lo, v146, s26
	v_add_co_ci_u32_e64 v46, null, s27, v147, vcc_lo
	v_add_co_u32 v45, vcc_lo, 0x800, v3
	v_add_co_ci_u32_e64 v46, null, 0, v46, vcc_lo
	global_load_dwordx2 v[45:46], v[45:46], off offset:1792
.LBB1119_426:                           ;   in Loop: Header=BB1119_390 Depth=2
	s_or_b32 exec_lo, exec_lo, s24
	s_waitcnt vmcnt(14)
	v_cmp_gt_i64_e32 vcc_lo, 0, v[37:38]
	v_ashrrev_i32_e32 v3, 31, v38
	ds_write2_b32 v98, v4, v4 offset0:136 offset1:137
	ds_write2_b32 v98, v4, v4 offset0:138 offset1:139
	ds_write_b32 v98, v4 offset:560
	s_waitcnt vmcnt(0) lgkmcnt(0)
	s_barrier
	v_cndmask_b32_e64 v69, 0x7fffffff, 0, vcc_lo
	v_not_b32_e32 v3, v3
	buffer_gl0_inv
	; wave barrier
	v_xor_b32_e32 v38, v69, v38
	v_xor_b32_e32 v37, v3, v37
	v_cmp_ne_u64_e32 vcc_lo, s[56:57], v[37:38]
	v_cndmask_b32_e32 v70, 0x7fffffff, v38, vcc_lo
	v_cndmask_b32_e32 v69, -1, v37, vcc_lo
	v_lshrrev_b64 v[69:70], s63, v[69:70]
	v_and_b32_e32 v70, s65, v69
	v_and_b32_e32 v3, 1, v70
	v_lshlrev_b32_e32 v69, 30, v70
	v_lshlrev_b32_e32 v71, 29, v70
	v_lshlrev_b32_e32 v168, 28, v70
	v_lshlrev_b32_e32 v169, 27, v70
	v_add_co_u32 v3, s22, v3, -1
	v_cndmask_b32_e64 v72, 0, 1, s22
	v_not_b32_e32 v171, v69
	v_cmp_gt_i32_e64 s22, 0, v69
	v_not_b32_e32 v69, v71
	v_lshlrev_b32_e32 v170, 26, v70
	v_cmp_ne_u32_e32 vcc_lo, 0, v72
	v_ashrrev_i32_e32 v171, 31, v171
	v_lshlrev_b32_e32 v72, 25, v70
	v_ashrrev_i32_e32 v69, 31, v69
	v_mul_u32_u24_e32 v70, 36, v70
	v_xor_b32_e32 v3, vcc_lo, v3
	v_cmp_gt_i32_e32 vcc_lo, 0, v71
	v_not_b32_e32 v71, v168
	v_xor_b32_e32 v171, s22, v171
	v_cmp_gt_i32_e64 s22, 0, v168
	v_and_b32_e32 v3, exec_lo, v3
	v_not_b32_e32 v168, v169
	v_ashrrev_i32_e32 v71, 31, v71
	v_xor_b32_e32 v69, vcc_lo, v69
	v_cmp_gt_i32_e32 vcc_lo, 0, v169
	v_and_b32_e32 v3, v3, v171
	v_not_b32_e32 v169, v170
	v_ashrrev_i32_e32 v168, 31, v168
	v_xor_b32_e32 v71, s22, v71
	v_cmp_gt_i32_e64 s22, 0, v170
	v_and_b32_e32 v3, v3, v69
	v_not_b32_e32 v69, v72
	v_ashrrev_i32_e32 v169, 31, v169
	v_xor_b32_e32 v168, vcc_lo, v168
	v_cmp_gt_i32_e32 vcc_lo, 0, v72
	v_and_b32_e32 v3, v3, v71
	v_ashrrev_i32_e32 v69, 31, v69
	v_xor_b32_e32 v71, s22, v169
	v_and_b32_e32 v3, v3, v168
	v_xor_b32_e32 v69, vcc_lo, v69
	v_add_nc_u32_e32 v168, v148, v70
	v_and_b32_e32 v3, v3, v71
	v_and_b32_e32 v69, v3, v69
	v_mbcnt_lo_u32_b32 v3, v69, 0
	v_cmp_ne_u32_e64 s22, 0, v69
	v_cmp_eq_u32_e32 vcc_lo, 0, v3
	s_and_b32 s23, s22, vcc_lo
	s_and_saveexec_b32 s22, s23
; %bb.427:                              ;   in Loop: Header=BB1119_390 Depth=2
	v_bcnt_u32_b32 v69, v69, 0
	ds_write_b32 v168, v69 offset:544
; %bb.428:                              ;   in Loop: Header=BB1119_390 Depth=2
	s_or_b32 exec_lo, exec_lo, s22
	v_cmp_gt_i64_e32 vcc_lo, 0, v[39:40]
	v_ashrrev_i32_e32 v69, 31, v40
	; wave barrier
	v_not_b32_e32 v69, v69
	v_cndmask_b32_e64 v70, 0x7fffffff, 0, vcc_lo
	v_xor_b32_e32 v39, v69, v39
	v_xor_b32_e32 v40, v70, v40
	v_cmp_ne_u64_e32 vcc_lo, s[56:57], v[39:40]
	v_cndmask_b32_e32 v70, 0x7fffffff, v40, vcc_lo
	v_cndmask_b32_e32 v69, -1, v39, vcc_lo
	v_lshrrev_b64 v[69:70], s63, v[69:70]
	v_and_b32_e32 v70, s65, v69
	v_and_b32_e32 v69, 1, v70
	v_lshlrev_b32_e32 v71, 30, v70
	v_lshlrev_b32_e32 v72, 29, v70
	v_lshlrev_b32_e32 v170, 28, v70
	v_lshlrev_b32_e32 v171, 27, v70
	v_add_co_u32 v69, s22, v69, -1
	v_cndmask_b32_e64 v169, 0, 1, s22
	v_not_b32_e32 v173, v71
	v_cmp_gt_i32_e64 s22, 0, v71
	v_not_b32_e32 v71, v72
	v_lshlrev_b32_e32 v172, 26, v70
	v_cmp_ne_u32_e32 vcc_lo, 0, v169
	v_ashrrev_i32_e32 v173, 31, v173
	v_lshlrev_b32_e32 v169, 25, v70
	v_ashrrev_i32_e32 v71, 31, v71
	v_xor_b32_e32 v69, vcc_lo, v69
	v_cmp_gt_i32_e32 vcc_lo, 0, v72
	v_not_b32_e32 v72, v170
	v_xor_b32_e32 v173, s22, v173
	v_cmp_gt_i32_e64 s22, 0, v170
	v_and_b32_e32 v69, exec_lo, v69
	v_not_b32_e32 v170, v171
	v_ashrrev_i32_e32 v72, 31, v72
	v_xor_b32_e32 v71, vcc_lo, v71
	v_cmp_gt_i32_e32 vcc_lo, 0, v171
	v_and_b32_e32 v69, v69, v173
	v_not_b32_e32 v171, v172
	v_ashrrev_i32_e32 v170, 31, v170
	v_xor_b32_e32 v72, s22, v72
	v_cmp_gt_i32_e64 s22, 0, v172
	v_and_b32_e32 v69, v69, v71
	v_not_b32_e32 v71, v169
	v_ashrrev_i32_e32 v171, 31, v171
	v_xor_b32_e32 v170, vcc_lo, v170
	v_cmp_gt_i32_e32 vcc_lo, 0, v169
	v_and_b32_e32 v69, v69, v72
	v_ashrrev_i32_e32 v71, 31, v71
	v_xor_b32_e32 v72, s22, v171
	v_mad_u32_u24 v169, v70, 36, v148
	v_mul_u32_u24_e32 v70, 36, v70
	v_and_b32_e32 v69, v69, v170
	v_xor_b32_e32 v71, vcc_lo, v71
	ds_read_b32 v169, v169 offset:544
	v_add_nc_u32_e32 v171, v148, v70
	v_and_b32_e32 v69, v69, v72
	; wave barrier
	v_and_b32_e32 v69, v69, v71
	v_mbcnt_lo_u32_b32 v170, v69, 0
	v_cmp_ne_u32_e64 s22, 0, v69
	v_cmp_eq_u32_e32 vcc_lo, 0, v170
	s_and_b32 s23, s22, vcc_lo
	s_and_saveexec_b32 s22, s23
	s_cbranch_execz .LBB1119_430
; %bb.429:                              ;   in Loop: Header=BB1119_390 Depth=2
	s_waitcnt lgkmcnt(0)
	v_bcnt_u32_b32 v69, v69, v169
	ds_write_b32 v171, v69 offset:544
.LBB1119_430:                           ;   in Loop: Header=BB1119_390 Depth=2
	s_or_b32 exec_lo, exec_lo, s22
	v_cmp_gt_i64_e32 vcc_lo, 0, v[41:42]
	v_ashrrev_i32_e32 v69, 31, v42
	; wave barrier
	v_not_b32_e32 v69, v69
	v_cndmask_b32_e64 v70, 0x7fffffff, 0, vcc_lo
	v_xor_b32_e32 v41, v69, v41
	v_xor_b32_e32 v42, v70, v42
	v_cmp_ne_u64_e32 vcc_lo, s[56:57], v[41:42]
	v_cndmask_b32_e32 v70, 0x7fffffff, v42, vcc_lo
	v_cndmask_b32_e32 v69, -1, v41, vcc_lo
	v_lshrrev_b64 v[69:70], s63, v[69:70]
	v_and_b32_e32 v70, s65, v69
	v_and_b32_e32 v69, 1, v70
	v_lshlrev_b32_e32 v71, 30, v70
	v_lshlrev_b32_e32 v72, 29, v70
	;; [unrolled: 1-line block ×4, first 2 shown]
	v_add_co_u32 v69, s22, v69, -1
	v_cndmask_b32_e64 v172, 0, 1, s22
	v_not_b32_e32 v176, v71
	v_cmp_gt_i32_e64 s22, 0, v71
	v_not_b32_e32 v71, v72
	v_lshlrev_b32_e32 v175, 26, v70
	v_cmp_ne_u32_e32 vcc_lo, 0, v172
	v_ashrrev_i32_e32 v176, 31, v176
	v_lshlrev_b32_e32 v172, 25, v70
	v_ashrrev_i32_e32 v71, 31, v71
	v_xor_b32_e32 v69, vcc_lo, v69
	v_cmp_gt_i32_e32 vcc_lo, 0, v72
	v_not_b32_e32 v72, v173
	v_xor_b32_e32 v176, s22, v176
	v_cmp_gt_i32_e64 s22, 0, v173
	v_and_b32_e32 v69, exec_lo, v69
	v_not_b32_e32 v173, v174
	v_ashrrev_i32_e32 v72, 31, v72
	v_xor_b32_e32 v71, vcc_lo, v71
	v_cmp_gt_i32_e32 vcc_lo, 0, v174
	v_and_b32_e32 v69, v69, v176
	v_not_b32_e32 v174, v175
	v_ashrrev_i32_e32 v173, 31, v173
	v_xor_b32_e32 v72, s22, v72
	v_cmp_gt_i32_e64 s22, 0, v175
	v_and_b32_e32 v69, v69, v71
	v_not_b32_e32 v71, v172
	v_ashrrev_i32_e32 v174, 31, v174
	v_xor_b32_e32 v173, vcc_lo, v173
	v_cmp_gt_i32_e32 vcc_lo, 0, v172
	v_and_b32_e32 v69, v69, v72
	v_ashrrev_i32_e32 v71, 31, v71
	v_xor_b32_e32 v72, s22, v174
	v_mad_u32_u24 v172, v70, 36, v148
	v_mul_u32_u24_e32 v70, 36, v70
	v_and_b32_e32 v69, v69, v173
	v_xor_b32_e32 v71, vcc_lo, v71
	ds_read_b32 v172, v172 offset:544
	v_add_nc_u32_e32 v174, v148, v70
	v_and_b32_e32 v69, v69, v72
	; wave barrier
	v_and_b32_e32 v69, v69, v71
	v_mbcnt_lo_u32_b32 v173, v69, 0
	v_cmp_ne_u32_e64 s22, 0, v69
	v_cmp_eq_u32_e32 vcc_lo, 0, v173
	s_and_b32 s23, s22, vcc_lo
	s_and_saveexec_b32 s22, s23
	s_cbranch_execz .LBB1119_432
; %bb.431:                              ;   in Loop: Header=BB1119_390 Depth=2
	s_waitcnt lgkmcnt(0)
	v_bcnt_u32_b32 v69, v69, v172
	ds_write_b32 v174, v69 offset:544
.LBB1119_432:                           ;   in Loop: Header=BB1119_390 Depth=2
	s_or_b32 exec_lo, exec_lo, s22
	v_cmp_gt_i64_e32 vcc_lo, 0, v[49:50]
	v_ashrrev_i32_e32 v69, 31, v50
	; wave barrier
	v_not_b32_e32 v69, v69
	v_cndmask_b32_e64 v70, 0x7fffffff, 0, vcc_lo
	v_xor_b32_e32 v49, v69, v49
	v_xor_b32_e32 v50, v70, v50
	v_cmp_ne_u64_e32 vcc_lo, s[56:57], v[49:50]
	v_cndmask_b32_e32 v70, 0x7fffffff, v50, vcc_lo
	v_cndmask_b32_e32 v69, -1, v49, vcc_lo
	v_lshrrev_b64 v[69:70], s63, v[69:70]
	v_and_b32_e32 v70, s65, v69
	v_and_b32_e32 v69, 1, v70
	v_lshlrev_b32_e32 v71, 30, v70
	v_lshlrev_b32_e32 v72, 29, v70
	;; [unrolled: 1-line block ×4, first 2 shown]
	v_add_co_u32 v69, s22, v69, -1
	v_cndmask_b32_e64 v175, 0, 1, s22
	v_not_b32_e32 v179, v71
	v_cmp_gt_i32_e64 s22, 0, v71
	v_not_b32_e32 v71, v72
	v_lshlrev_b32_e32 v178, 26, v70
	v_cmp_ne_u32_e32 vcc_lo, 0, v175
	v_ashrrev_i32_e32 v179, 31, v179
	v_lshlrev_b32_e32 v175, 25, v70
	v_ashrrev_i32_e32 v71, 31, v71
	v_xor_b32_e32 v69, vcc_lo, v69
	v_cmp_gt_i32_e32 vcc_lo, 0, v72
	v_not_b32_e32 v72, v176
	v_xor_b32_e32 v179, s22, v179
	v_cmp_gt_i32_e64 s22, 0, v176
	v_and_b32_e32 v69, exec_lo, v69
	v_not_b32_e32 v176, v177
	v_ashrrev_i32_e32 v72, 31, v72
	v_xor_b32_e32 v71, vcc_lo, v71
	v_cmp_gt_i32_e32 vcc_lo, 0, v177
	v_and_b32_e32 v69, v69, v179
	v_not_b32_e32 v177, v178
	v_ashrrev_i32_e32 v176, 31, v176
	v_xor_b32_e32 v72, s22, v72
	v_cmp_gt_i32_e64 s22, 0, v178
	v_and_b32_e32 v69, v69, v71
	v_not_b32_e32 v71, v175
	v_ashrrev_i32_e32 v177, 31, v177
	v_xor_b32_e32 v176, vcc_lo, v176
	v_cmp_gt_i32_e32 vcc_lo, 0, v175
	v_and_b32_e32 v69, v69, v72
	v_ashrrev_i32_e32 v71, 31, v71
	v_xor_b32_e32 v72, s22, v177
	v_mad_u32_u24 v175, v70, 36, v148
	v_mul_u32_u24_e32 v70, 36, v70
	v_and_b32_e32 v69, v69, v176
	v_xor_b32_e32 v71, vcc_lo, v71
	ds_read_b32 v175, v175 offset:544
	v_add_nc_u32_e32 v177, v148, v70
	v_and_b32_e32 v69, v69, v72
	; wave barrier
	v_and_b32_e32 v69, v69, v71
	v_mbcnt_lo_u32_b32 v176, v69, 0
	v_cmp_ne_u32_e64 s22, 0, v69
	v_cmp_eq_u32_e32 vcc_lo, 0, v176
	s_and_b32 s23, s22, vcc_lo
	s_and_saveexec_b32 s22, s23
	s_cbranch_execz .LBB1119_434
; %bb.433:                              ;   in Loop: Header=BB1119_390 Depth=2
	s_waitcnt lgkmcnt(0)
	v_bcnt_u32_b32 v69, v69, v175
	ds_write_b32 v177, v69 offset:544
.LBB1119_434:                           ;   in Loop: Header=BB1119_390 Depth=2
	s_or_b32 exec_lo, exec_lo, s22
	v_cmp_gt_i64_e32 vcc_lo, 0, v[53:54]
	v_ashrrev_i32_e32 v69, 31, v54
	; wave barrier
	v_not_b32_e32 v69, v69
	v_cndmask_b32_e64 v70, 0x7fffffff, 0, vcc_lo
	v_xor_b32_e32 v53, v69, v53
	v_xor_b32_e32 v54, v70, v54
	v_cmp_ne_u64_e32 vcc_lo, s[56:57], v[53:54]
	v_cndmask_b32_e32 v70, 0x7fffffff, v54, vcc_lo
	v_cndmask_b32_e32 v69, -1, v53, vcc_lo
	v_lshrrev_b64 v[69:70], s63, v[69:70]
	v_and_b32_e32 v70, s65, v69
	v_and_b32_e32 v69, 1, v70
	v_lshlrev_b32_e32 v71, 30, v70
	v_lshlrev_b32_e32 v72, 29, v70
	v_lshlrev_b32_e32 v179, 28, v70
	v_lshlrev_b32_e32 v180, 27, v70
	v_add_co_u32 v69, s22, v69, -1
	v_cndmask_b32_e64 v178, 0, 1, s22
	v_not_b32_e32 v182, v71
	v_cmp_gt_i32_e64 s22, 0, v71
	v_not_b32_e32 v71, v72
	v_lshlrev_b32_e32 v181, 26, v70
	v_cmp_ne_u32_e32 vcc_lo, 0, v178
	v_ashrrev_i32_e32 v182, 31, v182
	v_lshlrev_b32_e32 v178, 25, v70
	v_ashrrev_i32_e32 v71, 31, v71
	v_xor_b32_e32 v69, vcc_lo, v69
	v_cmp_gt_i32_e32 vcc_lo, 0, v72
	v_not_b32_e32 v72, v179
	v_xor_b32_e32 v182, s22, v182
	v_cmp_gt_i32_e64 s22, 0, v179
	v_and_b32_e32 v69, exec_lo, v69
	v_not_b32_e32 v179, v180
	v_ashrrev_i32_e32 v72, 31, v72
	v_xor_b32_e32 v71, vcc_lo, v71
	v_cmp_gt_i32_e32 vcc_lo, 0, v180
	v_and_b32_e32 v69, v69, v182
	v_not_b32_e32 v180, v181
	v_ashrrev_i32_e32 v179, 31, v179
	v_xor_b32_e32 v72, s22, v72
	v_cmp_gt_i32_e64 s22, 0, v181
	v_and_b32_e32 v69, v69, v71
	v_not_b32_e32 v71, v178
	v_ashrrev_i32_e32 v180, 31, v180
	v_xor_b32_e32 v179, vcc_lo, v179
	v_cmp_gt_i32_e32 vcc_lo, 0, v178
	v_and_b32_e32 v69, v69, v72
	v_ashrrev_i32_e32 v71, 31, v71
	v_xor_b32_e32 v72, s22, v180
	v_mad_u32_u24 v178, v70, 36, v148
	v_mul_u32_u24_e32 v70, 36, v70
	v_and_b32_e32 v69, v69, v179
	v_xor_b32_e32 v71, vcc_lo, v71
	ds_read_b32 v178, v178 offset:544
	v_add_nc_u32_e32 v180, v148, v70
	v_and_b32_e32 v69, v69, v72
	; wave barrier
	v_and_b32_e32 v69, v69, v71
	v_mbcnt_lo_u32_b32 v179, v69, 0
	v_cmp_ne_u32_e64 s22, 0, v69
	v_cmp_eq_u32_e32 vcc_lo, 0, v179
	s_and_b32 s23, s22, vcc_lo
	s_and_saveexec_b32 s22, s23
	s_cbranch_execz .LBB1119_436
; %bb.435:                              ;   in Loop: Header=BB1119_390 Depth=2
	s_waitcnt lgkmcnt(0)
	v_bcnt_u32_b32 v69, v69, v178
	ds_write_b32 v180, v69 offset:544
.LBB1119_436:                           ;   in Loop: Header=BB1119_390 Depth=2
	s_or_b32 exec_lo, exec_lo, s22
	v_cmp_gt_i64_e32 vcc_lo, 0, v[57:58]
	v_ashrrev_i32_e32 v69, 31, v58
	; wave barrier
	v_not_b32_e32 v69, v69
	v_cndmask_b32_e64 v70, 0x7fffffff, 0, vcc_lo
	v_xor_b32_e32 v57, v69, v57
	v_xor_b32_e32 v58, v70, v58
	v_cmp_ne_u64_e32 vcc_lo, s[56:57], v[57:58]
	v_cndmask_b32_e32 v70, 0x7fffffff, v58, vcc_lo
	v_cndmask_b32_e32 v69, -1, v57, vcc_lo
	v_lshrrev_b64 v[69:70], s63, v[69:70]
	v_and_b32_e32 v70, s65, v69
	v_and_b32_e32 v69, 1, v70
	v_lshlrev_b32_e32 v71, 30, v70
	v_lshlrev_b32_e32 v72, 29, v70
	;; [unrolled: 1-line block ×4, first 2 shown]
	v_add_co_u32 v69, s22, v69, -1
	v_cndmask_b32_e64 v181, 0, 1, s22
	v_not_b32_e32 v185, v71
	v_cmp_gt_i32_e64 s22, 0, v71
	v_not_b32_e32 v71, v72
	v_lshlrev_b32_e32 v184, 26, v70
	v_cmp_ne_u32_e32 vcc_lo, 0, v181
	v_ashrrev_i32_e32 v185, 31, v185
	v_lshlrev_b32_e32 v181, 25, v70
	v_ashrrev_i32_e32 v71, 31, v71
	v_xor_b32_e32 v69, vcc_lo, v69
	v_cmp_gt_i32_e32 vcc_lo, 0, v72
	v_not_b32_e32 v72, v182
	v_xor_b32_e32 v185, s22, v185
	v_cmp_gt_i32_e64 s22, 0, v182
	v_and_b32_e32 v69, exec_lo, v69
	v_not_b32_e32 v182, v183
	v_ashrrev_i32_e32 v72, 31, v72
	v_xor_b32_e32 v71, vcc_lo, v71
	v_cmp_gt_i32_e32 vcc_lo, 0, v183
	v_and_b32_e32 v69, v69, v185
	v_not_b32_e32 v183, v184
	v_ashrrev_i32_e32 v182, 31, v182
	v_xor_b32_e32 v72, s22, v72
	v_cmp_gt_i32_e64 s22, 0, v184
	v_and_b32_e32 v69, v69, v71
	v_not_b32_e32 v71, v181
	v_ashrrev_i32_e32 v183, 31, v183
	v_xor_b32_e32 v182, vcc_lo, v182
	v_cmp_gt_i32_e32 vcc_lo, 0, v181
	v_and_b32_e32 v69, v69, v72
	v_ashrrev_i32_e32 v71, 31, v71
	v_xor_b32_e32 v72, s22, v183
	v_mad_u32_u24 v181, v70, 36, v148
	v_mul_u32_u24_e32 v70, 36, v70
	v_and_b32_e32 v69, v69, v182
	v_xor_b32_e32 v71, vcc_lo, v71
	ds_read_b32 v181, v181 offset:544
	v_add_nc_u32_e32 v183, v148, v70
	v_and_b32_e32 v69, v69, v72
	; wave barrier
	v_and_b32_e32 v69, v69, v71
	v_mbcnt_lo_u32_b32 v182, v69, 0
	v_cmp_ne_u32_e64 s22, 0, v69
	v_cmp_eq_u32_e32 vcc_lo, 0, v182
	s_and_b32 s23, s22, vcc_lo
	s_and_saveexec_b32 s22, s23
	s_cbranch_execz .LBB1119_438
; %bb.437:                              ;   in Loop: Header=BB1119_390 Depth=2
	s_waitcnt lgkmcnt(0)
	v_bcnt_u32_b32 v69, v69, v181
	ds_write_b32 v183, v69 offset:544
.LBB1119_438:                           ;   in Loop: Header=BB1119_390 Depth=2
	s_or_b32 exec_lo, exec_lo, s22
	v_cmp_gt_i64_e32 vcc_lo, 0, v[61:62]
	v_ashrrev_i32_e32 v69, 31, v62
	; wave barrier
	v_not_b32_e32 v69, v69
	v_cndmask_b32_e64 v70, 0x7fffffff, 0, vcc_lo
	v_xor_b32_e32 v61, v69, v61
	v_xor_b32_e32 v62, v70, v62
	v_cmp_ne_u64_e32 vcc_lo, s[56:57], v[61:62]
	v_cndmask_b32_e32 v70, 0x7fffffff, v62, vcc_lo
	v_cndmask_b32_e32 v69, -1, v61, vcc_lo
	v_lshrrev_b64 v[69:70], s63, v[69:70]
	v_and_b32_e32 v70, s65, v69
	v_and_b32_e32 v69, 1, v70
	v_lshlrev_b32_e32 v71, 30, v70
	v_lshlrev_b32_e32 v72, 29, v70
	;; [unrolled: 1-line block ×4, first 2 shown]
	v_add_co_u32 v69, s22, v69, -1
	v_cndmask_b32_e64 v184, 0, 1, s22
	v_not_b32_e32 v188, v71
	v_cmp_gt_i32_e64 s22, 0, v71
	v_not_b32_e32 v71, v72
	v_lshlrev_b32_e32 v187, 26, v70
	v_cmp_ne_u32_e32 vcc_lo, 0, v184
	v_ashrrev_i32_e32 v188, 31, v188
	v_lshlrev_b32_e32 v184, 25, v70
	v_ashrrev_i32_e32 v71, 31, v71
	v_xor_b32_e32 v69, vcc_lo, v69
	v_cmp_gt_i32_e32 vcc_lo, 0, v72
	v_not_b32_e32 v72, v185
	v_xor_b32_e32 v188, s22, v188
	v_cmp_gt_i32_e64 s22, 0, v185
	v_and_b32_e32 v69, exec_lo, v69
	v_not_b32_e32 v185, v186
	v_ashrrev_i32_e32 v72, 31, v72
	v_xor_b32_e32 v71, vcc_lo, v71
	v_cmp_gt_i32_e32 vcc_lo, 0, v186
	v_and_b32_e32 v69, v69, v188
	v_not_b32_e32 v186, v187
	v_ashrrev_i32_e32 v185, 31, v185
	v_xor_b32_e32 v72, s22, v72
	v_cmp_gt_i32_e64 s22, 0, v187
	v_and_b32_e32 v69, v69, v71
	v_not_b32_e32 v71, v184
	v_ashrrev_i32_e32 v186, 31, v186
	v_xor_b32_e32 v185, vcc_lo, v185
	v_cmp_gt_i32_e32 vcc_lo, 0, v184
	v_and_b32_e32 v69, v69, v72
	v_ashrrev_i32_e32 v71, 31, v71
	v_xor_b32_e32 v72, s22, v186
	v_mad_u32_u24 v184, v70, 36, v148
	v_mul_u32_u24_e32 v70, 36, v70
	v_and_b32_e32 v69, v69, v185
	v_xor_b32_e32 v71, vcc_lo, v71
	ds_read_b32 v184, v184 offset:544
	v_add_nc_u32_e32 v186, v148, v70
	v_and_b32_e32 v69, v69, v72
	; wave barrier
	v_and_b32_e32 v69, v69, v71
	v_mbcnt_lo_u32_b32 v185, v69, 0
	v_cmp_ne_u32_e64 s22, 0, v69
	v_cmp_eq_u32_e32 vcc_lo, 0, v185
	s_and_b32 s23, s22, vcc_lo
	s_and_saveexec_b32 s22, s23
	s_cbranch_execz .LBB1119_440
; %bb.439:                              ;   in Loop: Header=BB1119_390 Depth=2
	s_waitcnt lgkmcnt(0)
	v_bcnt_u32_b32 v69, v69, v184
	ds_write_b32 v186, v69 offset:544
.LBB1119_440:                           ;   in Loop: Header=BB1119_390 Depth=2
	s_or_b32 exec_lo, exec_lo, s22
	v_cmp_gt_i64_e32 vcc_lo, 0, v[65:66]
	v_ashrrev_i32_e32 v69, 31, v66
	; wave barrier
	v_not_b32_e32 v69, v69
	v_cndmask_b32_e64 v70, 0x7fffffff, 0, vcc_lo
	v_xor_b32_e32 v65, v69, v65
	v_xor_b32_e32 v66, v70, v66
	v_cmp_ne_u64_e32 vcc_lo, s[56:57], v[65:66]
	v_cndmask_b32_e32 v70, 0x7fffffff, v66, vcc_lo
	v_cndmask_b32_e32 v69, -1, v65, vcc_lo
	v_lshrrev_b64 v[69:70], s63, v[69:70]
	v_and_b32_e32 v70, s65, v69
	v_and_b32_e32 v69, 1, v70
	v_lshlrev_b32_e32 v71, 30, v70
	v_lshlrev_b32_e32 v72, 29, v70
	;; [unrolled: 1-line block ×4, first 2 shown]
	v_add_co_u32 v69, s22, v69, -1
	v_cndmask_b32_e64 v187, 0, 1, s22
	v_not_b32_e32 v191, v71
	v_cmp_gt_i32_e64 s22, 0, v71
	v_not_b32_e32 v71, v72
	v_lshlrev_b32_e32 v190, 26, v70
	v_cmp_ne_u32_e32 vcc_lo, 0, v187
	v_ashrrev_i32_e32 v191, 31, v191
	v_lshlrev_b32_e32 v187, 25, v70
	v_ashrrev_i32_e32 v71, 31, v71
	v_xor_b32_e32 v69, vcc_lo, v69
	v_cmp_gt_i32_e32 vcc_lo, 0, v72
	v_not_b32_e32 v72, v188
	v_xor_b32_e32 v191, s22, v191
	v_cmp_gt_i32_e64 s22, 0, v188
	v_and_b32_e32 v69, exec_lo, v69
	v_not_b32_e32 v188, v189
	v_ashrrev_i32_e32 v72, 31, v72
	v_xor_b32_e32 v71, vcc_lo, v71
	v_cmp_gt_i32_e32 vcc_lo, 0, v189
	v_and_b32_e32 v69, v69, v191
	v_not_b32_e32 v189, v190
	v_ashrrev_i32_e32 v188, 31, v188
	v_xor_b32_e32 v72, s22, v72
	v_cmp_gt_i32_e64 s22, 0, v190
	v_and_b32_e32 v69, v69, v71
	v_not_b32_e32 v71, v187
	v_ashrrev_i32_e32 v189, 31, v189
	v_xor_b32_e32 v188, vcc_lo, v188
	v_cmp_gt_i32_e32 vcc_lo, 0, v187
	v_and_b32_e32 v69, v69, v72
	v_ashrrev_i32_e32 v71, 31, v71
	v_xor_b32_e32 v72, s22, v189
	v_mad_u32_u24 v187, v70, 36, v148
	v_mul_u32_u24_e32 v70, 36, v70
	v_and_b32_e32 v69, v69, v188
	v_xor_b32_e32 v71, vcc_lo, v71
	ds_read_b32 v187, v187 offset:544
	v_add_nc_u32_e32 v189, v148, v70
	v_and_b32_e32 v69, v69, v72
	; wave barrier
	v_and_b32_e32 v69, v69, v71
	v_mbcnt_lo_u32_b32 v188, v69, 0
	v_cmp_ne_u32_e64 s22, 0, v69
	v_cmp_eq_u32_e32 vcc_lo, 0, v188
	s_and_b32 s23, s22, vcc_lo
	s_and_saveexec_b32 s22, s23
	s_cbranch_execz .LBB1119_442
; %bb.441:                              ;   in Loop: Header=BB1119_390 Depth=2
	s_waitcnt lgkmcnt(0)
	v_bcnt_u32_b32 v69, v69, v187
	ds_write_b32 v189, v69 offset:544
.LBB1119_442:                           ;   in Loop: Header=BB1119_390 Depth=2
	s_or_b32 exec_lo, exec_lo, s22
	v_cmp_gt_i64_e32 vcc_lo, 0, v[67:68]
	v_ashrrev_i32_e32 v69, 31, v68
	; wave barrier
	v_not_b32_e32 v69, v69
	v_cndmask_b32_e64 v70, 0x7fffffff, 0, vcc_lo
	v_xor_b32_e32 v67, v69, v67
	v_xor_b32_e32 v68, v70, v68
	v_cmp_ne_u64_e32 vcc_lo, s[56:57], v[67:68]
	v_cndmask_b32_e32 v70, 0x7fffffff, v68, vcc_lo
	v_cndmask_b32_e32 v69, -1, v67, vcc_lo
	v_lshrrev_b64 v[69:70], s63, v[69:70]
	v_and_b32_e32 v70, s65, v69
	v_and_b32_e32 v69, 1, v70
	v_lshlrev_b32_e32 v71, 30, v70
	v_lshlrev_b32_e32 v72, 29, v70
	;; [unrolled: 1-line block ×4, first 2 shown]
	v_add_co_u32 v69, s22, v69, -1
	v_cndmask_b32_e64 v190, 0, 1, s22
	v_not_b32_e32 v194, v71
	v_cmp_gt_i32_e64 s22, 0, v71
	v_not_b32_e32 v71, v72
	v_lshlrev_b32_e32 v193, 26, v70
	v_cmp_ne_u32_e32 vcc_lo, 0, v190
	v_ashrrev_i32_e32 v194, 31, v194
	v_lshlrev_b32_e32 v190, 25, v70
	v_ashrrev_i32_e32 v71, 31, v71
	v_xor_b32_e32 v69, vcc_lo, v69
	v_cmp_gt_i32_e32 vcc_lo, 0, v72
	v_not_b32_e32 v72, v191
	v_xor_b32_e32 v194, s22, v194
	v_cmp_gt_i32_e64 s22, 0, v191
	v_and_b32_e32 v69, exec_lo, v69
	v_not_b32_e32 v191, v192
	v_ashrrev_i32_e32 v72, 31, v72
	v_xor_b32_e32 v71, vcc_lo, v71
	v_cmp_gt_i32_e32 vcc_lo, 0, v192
	v_and_b32_e32 v69, v69, v194
	v_not_b32_e32 v192, v193
	v_ashrrev_i32_e32 v191, 31, v191
	v_xor_b32_e32 v72, s22, v72
	v_cmp_gt_i32_e64 s22, 0, v193
	v_and_b32_e32 v69, v69, v71
	v_not_b32_e32 v71, v190
	v_ashrrev_i32_e32 v192, 31, v192
	v_xor_b32_e32 v191, vcc_lo, v191
	v_cmp_gt_i32_e32 vcc_lo, 0, v190
	v_and_b32_e32 v69, v69, v72
	v_ashrrev_i32_e32 v71, 31, v71
	v_xor_b32_e32 v72, s22, v192
	v_mad_u32_u24 v190, v70, 36, v148
	v_mul_u32_u24_e32 v70, 36, v70
	v_and_b32_e32 v69, v69, v191
	v_xor_b32_e32 v71, vcc_lo, v71
	ds_read_b32 v190, v190 offset:544
	v_add_nc_u32_e32 v192, v148, v70
	v_and_b32_e32 v69, v69, v72
	; wave barrier
	v_and_b32_e32 v69, v69, v71
	v_mbcnt_lo_u32_b32 v191, v69, 0
	v_cmp_ne_u32_e64 s22, 0, v69
	v_cmp_eq_u32_e32 vcc_lo, 0, v191
	s_and_b32 s23, s22, vcc_lo
	s_and_saveexec_b32 s22, s23
	s_cbranch_execz .LBB1119_444
; %bb.443:                              ;   in Loop: Header=BB1119_390 Depth=2
	s_waitcnt lgkmcnt(0)
	v_bcnt_u32_b32 v69, v69, v190
	ds_write_b32 v192, v69 offset:544
.LBB1119_444:                           ;   in Loop: Header=BB1119_390 Depth=2
	s_or_b32 exec_lo, exec_lo, s22
	v_cmp_gt_i64_e32 vcc_lo, 0, v[63:64]
	v_ashrrev_i32_e32 v69, 31, v64
	; wave barrier
	v_not_b32_e32 v69, v69
	v_cndmask_b32_e64 v70, 0x7fffffff, 0, vcc_lo
	v_xor_b32_e32 v63, v69, v63
	v_xor_b32_e32 v64, v70, v64
	v_cmp_ne_u64_e32 vcc_lo, s[56:57], v[63:64]
	v_cndmask_b32_e32 v70, 0x7fffffff, v64, vcc_lo
	v_cndmask_b32_e32 v69, -1, v63, vcc_lo
	v_lshrrev_b64 v[69:70], s63, v[69:70]
	v_and_b32_e32 v70, s65, v69
	v_and_b32_e32 v69, 1, v70
	v_lshlrev_b32_e32 v71, 30, v70
	v_lshlrev_b32_e32 v72, 29, v70
	;; [unrolled: 1-line block ×4, first 2 shown]
	v_add_co_u32 v69, s22, v69, -1
	v_cndmask_b32_e64 v193, 0, 1, s22
	v_not_b32_e32 v197, v71
	v_cmp_gt_i32_e64 s22, 0, v71
	v_not_b32_e32 v71, v72
	v_lshlrev_b32_e32 v196, 26, v70
	v_cmp_ne_u32_e32 vcc_lo, 0, v193
	v_ashrrev_i32_e32 v197, 31, v197
	v_lshlrev_b32_e32 v193, 25, v70
	v_ashrrev_i32_e32 v71, 31, v71
	v_xor_b32_e32 v69, vcc_lo, v69
	v_cmp_gt_i32_e32 vcc_lo, 0, v72
	v_not_b32_e32 v72, v194
	v_xor_b32_e32 v197, s22, v197
	v_cmp_gt_i32_e64 s22, 0, v194
	v_and_b32_e32 v69, exec_lo, v69
	v_not_b32_e32 v194, v195
	v_ashrrev_i32_e32 v72, 31, v72
	v_xor_b32_e32 v71, vcc_lo, v71
	v_cmp_gt_i32_e32 vcc_lo, 0, v195
	v_and_b32_e32 v69, v69, v197
	v_not_b32_e32 v195, v196
	v_ashrrev_i32_e32 v194, 31, v194
	v_xor_b32_e32 v72, s22, v72
	v_cmp_gt_i32_e64 s22, 0, v196
	v_and_b32_e32 v69, v69, v71
	v_not_b32_e32 v71, v193
	v_ashrrev_i32_e32 v195, 31, v195
	v_xor_b32_e32 v194, vcc_lo, v194
	v_cmp_gt_i32_e32 vcc_lo, 0, v193
	v_and_b32_e32 v69, v69, v72
	v_ashrrev_i32_e32 v71, 31, v71
	v_xor_b32_e32 v72, s22, v195
	v_mad_u32_u24 v193, v70, 36, v148
	v_mul_u32_u24_e32 v70, 36, v70
	v_and_b32_e32 v69, v69, v194
	v_xor_b32_e32 v71, vcc_lo, v71
	ds_read_b32 v193, v193 offset:544
	v_add_nc_u32_e32 v195, v148, v70
	v_and_b32_e32 v69, v69, v72
	; wave barrier
	v_and_b32_e32 v69, v69, v71
	v_mbcnt_lo_u32_b32 v194, v69, 0
	v_cmp_ne_u32_e64 s22, 0, v69
	v_cmp_eq_u32_e32 vcc_lo, 0, v194
	s_and_b32 s23, s22, vcc_lo
	s_and_saveexec_b32 s22, s23
	s_cbranch_execz .LBB1119_446
; %bb.445:                              ;   in Loop: Header=BB1119_390 Depth=2
	s_waitcnt lgkmcnt(0)
	v_bcnt_u32_b32 v69, v69, v193
	ds_write_b32 v195, v69 offset:544
.LBB1119_446:                           ;   in Loop: Header=BB1119_390 Depth=2
	s_or_b32 exec_lo, exec_lo, s22
	v_cmp_gt_i64_e32 vcc_lo, 0, v[59:60]
	v_ashrrev_i32_e32 v69, 31, v60
	; wave barrier
	v_not_b32_e32 v69, v69
	v_cndmask_b32_e64 v70, 0x7fffffff, 0, vcc_lo
	v_xor_b32_e32 v59, v69, v59
	v_xor_b32_e32 v60, v70, v60
	v_cmp_ne_u64_e32 vcc_lo, s[56:57], v[59:60]
	v_cndmask_b32_e32 v70, 0x7fffffff, v60, vcc_lo
	v_cndmask_b32_e32 v69, -1, v59, vcc_lo
	v_lshrrev_b64 v[69:70], s63, v[69:70]
	v_and_b32_e32 v70, s65, v69
	v_and_b32_e32 v69, 1, v70
	v_lshlrev_b32_e32 v71, 30, v70
	v_lshlrev_b32_e32 v72, 29, v70
	;; [unrolled: 1-line block ×4, first 2 shown]
	v_add_co_u32 v69, s22, v69, -1
	v_cndmask_b32_e64 v196, 0, 1, s22
	v_not_b32_e32 v200, v71
	v_cmp_gt_i32_e64 s22, 0, v71
	v_not_b32_e32 v71, v72
	v_lshlrev_b32_e32 v199, 26, v70
	v_cmp_ne_u32_e32 vcc_lo, 0, v196
	v_ashrrev_i32_e32 v200, 31, v200
	v_lshlrev_b32_e32 v196, 25, v70
	v_ashrrev_i32_e32 v71, 31, v71
	v_xor_b32_e32 v69, vcc_lo, v69
	v_cmp_gt_i32_e32 vcc_lo, 0, v72
	v_not_b32_e32 v72, v197
	v_xor_b32_e32 v200, s22, v200
	v_cmp_gt_i32_e64 s22, 0, v197
	v_and_b32_e32 v69, exec_lo, v69
	v_not_b32_e32 v197, v198
	v_ashrrev_i32_e32 v72, 31, v72
	v_xor_b32_e32 v71, vcc_lo, v71
	v_cmp_gt_i32_e32 vcc_lo, 0, v198
	v_and_b32_e32 v69, v69, v200
	v_not_b32_e32 v198, v199
	v_ashrrev_i32_e32 v197, 31, v197
	v_xor_b32_e32 v72, s22, v72
	v_cmp_gt_i32_e64 s22, 0, v199
	v_and_b32_e32 v69, v69, v71
	v_not_b32_e32 v71, v196
	v_ashrrev_i32_e32 v198, 31, v198
	v_xor_b32_e32 v197, vcc_lo, v197
	v_cmp_gt_i32_e32 vcc_lo, 0, v196
	v_and_b32_e32 v69, v69, v72
	v_ashrrev_i32_e32 v71, 31, v71
	v_xor_b32_e32 v72, s22, v198
	v_mad_u32_u24 v196, v70, 36, v148
	v_mul_u32_u24_e32 v70, 36, v70
	v_and_b32_e32 v69, v69, v197
	v_xor_b32_e32 v71, vcc_lo, v71
	ds_read_b32 v196, v196 offset:544
	v_add_nc_u32_e32 v200, v148, v70
	v_and_b32_e32 v69, v69, v72
	; wave barrier
	v_and_b32_e32 v69, v69, v71
	v_mbcnt_lo_u32_b32 v197, v69, 0
	v_cmp_ne_u32_e64 s22, 0, v69
	v_cmp_eq_u32_e32 vcc_lo, 0, v197
	s_and_b32 s23, s22, vcc_lo
	s_and_saveexec_b32 s22, s23
	s_cbranch_execz .LBB1119_448
; %bb.447:                              ;   in Loop: Header=BB1119_390 Depth=2
	s_waitcnt lgkmcnt(0)
	v_bcnt_u32_b32 v69, v69, v196
	ds_write_b32 v200, v69 offset:544
.LBB1119_448:                           ;   in Loop: Header=BB1119_390 Depth=2
	s_or_b32 exec_lo, exec_lo, s22
	v_cmp_gt_i64_e32 vcc_lo, 0, v[55:56]
	v_ashrrev_i32_e32 v69, 31, v56
	; wave barrier
	v_not_b32_e32 v69, v69
	v_cndmask_b32_e64 v70, 0x7fffffff, 0, vcc_lo
	v_xor_b32_e32 v55, v69, v55
	v_xor_b32_e32 v56, v70, v56
	v_cmp_ne_u64_e32 vcc_lo, s[56:57], v[55:56]
	v_cndmask_b32_e32 v70, 0x7fffffff, v56, vcc_lo
	v_cndmask_b32_e32 v69, -1, v55, vcc_lo
	v_lshrrev_b64 v[69:70], s63, v[69:70]
	v_and_b32_e32 v70, s65, v69
	v_and_b32_e32 v69, 1, v70
	v_lshlrev_b32_e32 v71, 30, v70
	v_lshlrev_b32_e32 v72, 29, v70
	;; [unrolled: 1-line block ×4, first 2 shown]
	v_add_co_u32 v69, s22, v69, -1
	v_cndmask_b32_e64 v198, 0, 1, s22
	v_not_b32_e32 v203, v71
	v_cmp_gt_i32_e64 s22, 0, v71
	v_not_b32_e32 v71, v72
	v_lshlrev_b32_e32 v202, 26, v70
	v_cmp_ne_u32_e32 vcc_lo, 0, v198
	v_ashrrev_i32_e32 v203, 31, v203
	v_lshlrev_b32_e32 v198, 25, v70
	v_ashrrev_i32_e32 v71, 31, v71
	v_xor_b32_e32 v69, vcc_lo, v69
	v_cmp_gt_i32_e32 vcc_lo, 0, v72
	v_not_b32_e32 v72, v199
	v_xor_b32_e32 v203, s22, v203
	v_cmp_gt_i32_e64 s22, 0, v199
	v_and_b32_e32 v69, exec_lo, v69
	v_not_b32_e32 v199, v201
	v_ashrrev_i32_e32 v72, 31, v72
	v_xor_b32_e32 v71, vcc_lo, v71
	v_cmp_gt_i32_e32 vcc_lo, 0, v201
	v_and_b32_e32 v69, v69, v203
	v_not_b32_e32 v201, v202
	v_ashrrev_i32_e32 v199, 31, v199
	v_xor_b32_e32 v72, s22, v72
	v_cmp_gt_i32_e64 s22, 0, v202
	v_and_b32_e32 v69, v69, v71
	v_not_b32_e32 v71, v198
	v_ashrrev_i32_e32 v201, 31, v201
	v_xor_b32_e32 v199, vcc_lo, v199
	v_cmp_gt_i32_e32 vcc_lo, 0, v198
	v_and_b32_e32 v69, v69, v72
	v_ashrrev_i32_e32 v71, 31, v71
	v_xor_b32_e32 v72, s22, v201
	v_mad_u32_u24 v198, v70, 36, v148
	v_mul_u32_u24_e32 v70, 36, v70
	v_and_b32_e32 v69, v69, v199
	v_xor_b32_e32 v71, vcc_lo, v71
	ds_read_b32 v198, v198 offset:544
	v_add_nc_u32_e32 v203, v148, v70
	v_and_b32_e32 v69, v69, v72
	; wave barrier
	v_and_b32_e32 v69, v69, v71
	v_mbcnt_lo_u32_b32 v199, v69, 0
	v_cmp_ne_u32_e64 s22, 0, v69
	v_cmp_eq_u32_e32 vcc_lo, 0, v199
	s_and_b32 s23, s22, vcc_lo
	s_and_saveexec_b32 s22, s23
	s_cbranch_execz .LBB1119_450
; %bb.449:                              ;   in Loop: Header=BB1119_390 Depth=2
	s_waitcnt lgkmcnt(0)
	v_bcnt_u32_b32 v69, v69, v198
	ds_write_b32 v203, v69 offset:544
.LBB1119_450:                           ;   in Loop: Header=BB1119_390 Depth=2
	s_or_b32 exec_lo, exec_lo, s22
	v_cmp_gt_i64_e32 vcc_lo, 0, v[51:52]
	v_ashrrev_i32_e32 v69, 31, v52
	; wave barrier
	v_not_b32_e32 v69, v69
	v_cndmask_b32_e64 v70, 0x7fffffff, 0, vcc_lo
	v_xor_b32_e32 v51, v69, v51
	v_xor_b32_e32 v52, v70, v52
	v_cmp_ne_u64_e32 vcc_lo, s[56:57], v[51:52]
	v_cndmask_b32_e32 v70, 0x7fffffff, v52, vcc_lo
	v_cndmask_b32_e32 v69, -1, v51, vcc_lo
	v_lshrrev_b64 v[69:70], s63, v[69:70]
	v_and_b32_e32 v70, s65, v69
	v_and_b32_e32 v69, 1, v70
	v_lshlrev_b32_e32 v71, 30, v70
	v_lshlrev_b32_e32 v72, 29, v70
	v_lshlrev_b32_e32 v202, 28, v70
	v_lshlrev_b32_e32 v204, 27, v70
	v_add_co_u32 v69, s22, v69, -1
	v_cndmask_b32_e64 v201, 0, 1, s22
	v_not_b32_e32 v206, v71
	v_cmp_gt_i32_e64 s22, 0, v71
	v_not_b32_e32 v71, v72
	v_lshlrev_b32_e32 v205, 26, v70
	v_cmp_ne_u32_e32 vcc_lo, 0, v201
	v_ashrrev_i32_e32 v206, 31, v206
	v_lshlrev_b32_e32 v201, 25, v70
	v_ashrrev_i32_e32 v71, 31, v71
	v_xor_b32_e32 v69, vcc_lo, v69
	v_cmp_gt_i32_e32 vcc_lo, 0, v72
	v_not_b32_e32 v72, v202
	v_xor_b32_e32 v206, s22, v206
	v_cmp_gt_i32_e64 s22, 0, v202
	v_and_b32_e32 v69, exec_lo, v69
	v_not_b32_e32 v202, v204
	v_ashrrev_i32_e32 v72, 31, v72
	v_xor_b32_e32 v71, vcc_lo, v71
	v_cmp_gt_i32_e32 vcc_lo, 0, v204
	v_and_b32_e32 v69, v69, v206
	v_not_b32_e32 v204, v205
	v_ashrrev_i32_e32 v202, 31, v202
	v_xor_b32_e32 v72, s22, v72
	v_cmp_gt_i32_e64 s22, 0, v205
	v_and_b32_e32 v69, v69, v71
	v_not_b32_e32 v71, v201
	v_ashrrev_i32_e32 v204, 31, v204
	v_xor_b32_e32 v202, vcc_lo, v202
	v_cmp_gt_i32_e32 vcc_lo, 0, v201
	v_and_b32_e32 v69, v69, v72
	v_ashrrev_i32_e32 v71, 31, v71
	v_xor_b32_e32 v72, s22, v204
	v_mad_u32_u24 v201, v70, 36, v148
	v_mul_u32_u24_e32 v70, 36, v70
	v_and_b32_e32 v69, v69, v202
	v_xor_b32_e32 v71, vcc_lo, v71
	ds_read_b32 v201, v201 offset:544
	v_add_nc_u32_e32 v206, v148, v70
	v_and_b32_e32 v69, v69, v72
	; wave barrier
	v_and_b32_e32 v69, v69, v71
	v_mbcnt_lo_u32_b32 v202, v69, 0
	v_cmp_ne_u32_e64 s22, 0, v69
	v_cmp_eq_u32_e32 vcc_lo, 0, v202
	s_and_b32 s23, s22, vcc_lo
	s_and_saveexec_b32 s22, s23
	s_cbranch_execz .LBB1119_452
; %bb.451:                              ;   in Loop: Header=BB1119_390 Depth=2
	s_waitcnt lgkmcnt(0)
	v_bcnt_u32_b32 v69, v69, v201
	ds_write_b32 v206, v69 offset:544
.LBB1119_452:                           ;   in Loop: Header=BB1119_390 Depth=2
	s_or_b32 exec_lo, exec_lo, s22
	v_cmp_gt_i64_e32 vcc_lo, 0, v[47:48]
	v_ashrrev_i32_e32 v69, 31, v48
	; wave barrier
	v_not_b32_e32 v69, v69
	v_cndmask_b32_e64 v70, 0x7fffffff, 0, vcc_lo
	v_xor_b32_e32 v47, v69, v47
	v_xor_b32_e32 v48, v70, v48
	v_cmp_ne_u64_e32 vcc_lo, s[56:57], v[47:48]
	v_cndmask_b32_e32 v70, 0x7fffffff, v48, vcc_lo
	v_cndmask_b32_e32 v69, -1, v47, vcc_lo
	v_lshrrev_b64 v[69:70], s63, v[69:70]
	v_and_b32_e32 v70, s65, v69
	v_and_b32_e32 v69, 1, v70
	v_lshlrev_b32_e32 v71, 30, v70
	v_lshlrev_b32_e32 v72, 29, v70
	;; [unrolled: 1-line block ×4, first 2 shown]
	v_add_co_u32 v69, s22, v69, -1
	v_cndmask_b32_e64 v204, 0, 1, s22
	v_not_b32_e32 v209, v71
	v_cmp_gt_i32_e64 s22, 0, v71
	v_not_b32_e32 v71, v72
	v_lshlrev_b32_e32 v208, 26, v70
	v_cmp_ne_u32_e32 vcc_lo, 0, v204
	v_ashrrev_i32_e32 v209, 31, v209
	v_lshlrev_b32_e32 v204, 25, v70
	v_ashrrev_i32_e32 v71, 31, v71
	v_xor_b32_e32 v69, vcc_lo, v69
	v_cmp_gt_i32_e32 vcc_lo, 0, v72
	v_not_b32_e32 v72, v205
	v_xor_b32_e32 v209, s22, v209
	v_cmp_gt_i32_e64 s22, 0, v205
	v_and_b32_e32 v69, exec_lo, v69
	v_not_b32_e32 v205, v207
	v_ashrrev_i32_e32 v72, 31, v72
	v_xor_b32_e32 v71, vcc_lo, v71
	v_cmp_gt_i32_e32 vcc_lo, 0, v207
	v_and_b32_e32 v69, v69, v209
	v_not_b32_e32 v207, v208
	v_ashrrev_i32_e32 v205, 31, v205
	v_xor_b32_e32 v72, s22, v72
	v_cmp_gt_i32_e64 s22, 0, v208
	v_and_b32_e32 v69, v69, v71
	v_not_b32_e32 v71, v204
	v_ashrrev_i32_e32 v207, 31, v207
	v_xor_b32_e32 v205, vcc_lo, v205
	v_cmp_gt_i32_e32 vcc_lo, 0, v204
	v_and_b32_e32 v69, v69, v72
	v_ashrrev_i32_e32 v71, 31, v71
	v_xor_b32_e32 v72, s22, v207
	v_mad_u32_u24 v204, v70, 36, v148
	v_mul_u32_u24_e32 v70, 36, v70
	v_and_b32_e32 v69, v69, v205
	v_xor_b32_e32 v71, vcc_lo, v71
	ds_read_b32 v204, v204 offset:544
	v_add_nc_u32_e32 v209, v148, v70
	v_and_b32_e32 v69, v69, v72
	; wave barrier
	v_and_b32_e32 v69, v69, v71
	v_mbcnt_lo_u32_b32 v205, v69, 0
	v_cmp_ne_u32_e64 s22, 0, v69
	v_cmp_eq_u32_e32 vcc_lo, 0, v205
	s_and_b32 s23, s22, vcc_lo
	s_and_saveexec_b32 s22, s23
	s_cbranch_execz .LBB1119_454
; %bb.453:                              ;   in Loop: Header=BB1119_390 Depth=2
	s_waitcnt lgkmcnt(0)
	v_bcnt_u32_b32 v69, v69, v204
	ds_write_b32 v209, v69 offset:544
.LBB1119_454:                           ;   in Loop: Header=BB1119_390 Depth=2
	s_or_b32 exec_lo, exec_lo, s22
	v_cmp_gt_i64_e32 vcc_lo, 0, v[43:44]
	v_ashrrev_i32_e32 v69, 31, v44
	; wave barrier
	v_not_b32_e32 v69, v69
	v_cndmask_b32_e64 v70, 0x7fffffff, 0, vcc_lo
	v_xor_b32_e32 v43, v69, v43
	v_xor_b32_e32 v44, v70, v44
	v_cmp_ne_u64_e32 vcc_lo, s[56:57], v[43:44]
	v_cndmask_b32_e32 v70, 0x7fffffff, v44, vcc_lo
	v_cndmask_b32_e32 v69, -1, v43, vcc_lo
	v_lshrrev_b64 v[69:70], s63, v[69:70]
	v_and_b32_e32 v70, s65, v69
	v_and_b32_e32 v69, 1, v70
	v_lshlrev_b32_e32 v71, 30, v70
	v_lshlrev_b32_e32 v72, 29, v70
	;; [unrolled: 1-line block ×4, first 2 shown]
	v_add_co_u32 v69, s22, v69, -1
	v_cndmask_b32_e64 v207, 0, 1, s22
	v_not_b32_e32 v212, v71
	v_cmp_gt_i32_e64 s22, 0, v71
	v_not_b32_e32 v71, v72
	v_lshlrev_b32_e32 v211, 26, v70
	v_cmp_ne_u32_e32 vcc_lo, 0, v207
	v_ashrrev_i32_e32 v212, 31, v212
	v_lshlrev_b32_e32 v207, 25, v70
	v_ashrrev_i32_e32 v71, 31, v71
	v_xor_b32_e32 v69, vcc_lo, v69
	v_cmp_gt_i32_e32 vcc_lo, 0, v72
	v_not_b32_e32 v72, v208
	v_xor_b32_e32 v212, s22, v212
	v_cmp_gt_i32_e64 s22, 0, v208
	v_and_b32_e32 v69, exec_lo, v69
	v_not_b32_e32 v208, v210
	v_ashrrev_i32_e32 v72, 31, v72
	v_xor_b32_e32 v71, vcc_lo, v71
	v_cmp_gt_i32_e32 vcc_lo, 0, v210
	v_and_b32_e32 v69, v69, v212
	v_not_b32_e32 v210, v211
	v_ashrrev_i32_e32 v208, 31, v208
	v_xor_b32_e32 v72, s22, v72
	v_cmp_gt_i32_e64 s22, 0, v211
	v_and_b32_e32 v69, v69, v71
	v_not_b32_e32 v71, v207
	v_ashrrev_i32_e32 v210, 31, v210
	v_xor_b32_e32 v208, vcc_lo, v208
	v_cmp_gt_i32_e32 vcc_lo, 0, v207
	v_and_b32_e32 v69, v69, v72
	v_ashrrev_i32_e32 v71, 31, v71
	v_xor_b32_e32 v72, s22, v210
	v_mad_u32_u24 v207, v70, 36, v148
	v_mul_u32_u24_e32 v70, 36, v70
	v_and_b32_e32 v69, v69, v208
	v_xor_b32_e32 v71, vcc_lo, v71
	ds_read_b32 v207, v207 offset:544
	v_add_nc_u32_e32 v212, v148, v70
	v_and_b32_e32 v69, v69, v72
	; wave barrier
	v_and_b32_e32 v69, v69, v71
	v_mbcnt_lo_u32_b32 v208, v69, 0
	v_cmp_ne_u32_e64 s22, 0, v69
	v_cmp_eq_u32_e32 vcc_lo, 0, v208
	s_and_b32 s23, s22, vcc_lo
	s_and_saveexec_b32 s22, s23
	s_cbranch_execz .LBB1119_456
; %bb.455:                              ;   in Loop: Header=BB1119_390 Depth=2
	s_waitcnt lgkmcnt(0)
	v_bcnt_u32_b32 v69, v69, v207
	ds_write_b32 v212, v69 offset:544
.LBB1119_456:                           ;   in Loop: Header=BB1119_390 Depth=2
	s_or_b32 exec_lo, exec_lo, s22
	v_cmp_gt_i64_e32 vcc_lo, 0, v[45:46]
	v_ashrrev_i32_e32 v69, 31, v46
	; wave barrier
	v_not_b32_e32 v69, v69
	v_cndmask_b32_e64 v70, 0x7fffffff, 0, vcc_lo
	v_xor_b32_e32 v45, v69, v45
	v_xor_b32_e32 v46, v70, v46
	v_cmp_ne_u64_e32 vcc_lo, s[56:57], v[45:46]
	v_cndmask_b32_e32 v70, 0x7fffffff, v46, vcc_lo
	v_cndmask_b32_e32 v69, -1, v45, vcc_lo
	v_lshrrev_b64 v[69:70], s63, v[69:70]
	v_and_b32_e32 v70, s65, v69
	v_and_b32_e32 v69, 1, v70
	v_lshlrev_b32_e32 v71, 30, v70
	v_lshlrev_b32_e32 v72, 29, v70
	;; [unrolled: 1-line block ×4, first 2 shown]
	v_add_co_u32 v69, s22, v69, -1
	v_cndmask_b32_e64 v210, 0, 1, s22
	v_not_b32_e32 v215, v71
	v_cmp_gt_i32_e64 s22, 0, v71
	v_not_b32_e32 v71, v72
	v_lshlrev_b32_e32 v214, 26, v70
	v_cmp_ne_u32_e32 vcc_lo, 0, v210
	v_ashrrev_i32_e32 v215, 31, v215
	v_lshlrev_b32_e32 v210, 25, v70
	v_ashrrev_i32_e32 v71, 31, v71
	v_xor_b32_e32 v69, vcc_lo, v69
	v_cmp_gt_i32_e32 vcc_lo, 0, v72
	v_not_b32_e32 v72, v211
	v_xor_b32_e32 v215, s22, v215
	v_cmp_gt_i32_e64 s22, 0, v211
	v_and_b32_e32 v69, exec_lo, v69
	v_not_b32_e32 v211, v213
	v_ashrrev_i32_e32 v72, 31, v72
	v_xor_b32_e32 v71, vcc_lo, v71
	v_cmp_gt_i32_e32 vcc_lo, 0, v213
	v_and_b32_e32 v69, v69, v215
	v_not_b32_e32 v213, v214
	v_ashrrev_i32_e32 v211, 31, v211
	v_xor_b32_e32 v72, s22, v72
	v_cmp_gt_i32_e64 s22, 0, v214
	v_and_b32_e32 v69, v69, v71
	v_not_b32_e32 v71, v210
	v_ashrrev_i32_e32 v213, 31, v213
	v_xor_b32_e32 v211, vcc_lo, v211
	v_cmp_gt_i32_e32 vcc_lo, 0, v210
	v_and_b32_e32 v69, v69, v72
	v_ashrrev_i32_e32 v71, 31, v71
	v_xor_b32_e32 v72, s22, v213
	v_mad_u32_u24 v210, v70, 36, v148
	v_mul_u32_u24_e32 v70, 36, v70
	v_and_b32_e32 v69, v69, v211
	v_xor_b32_e32 v71, vcc_lo, v71
	ds_read_b32 v210, v210 offset:544
	v_add_nc_u32_e32 v213, v148, v70
	v_and_b32_e32 v69, v69, v72
	; wave barrier
	v_and_b32_e32 v69, v69, v71
	v_mbcnt_lo_u32_b32 v211, v69, 0
	v_cmp_ne_u32_e64 s22, 0, v69
	v_cmp_eq_u32_e32 vcc_lo, 0, v211
	s_and_b32 s23, s22, vcc_lo
	s_and_saveexec_b32 s22, s23
	s_cbranch_execz .LBB1119_458
; %bb.457:                              ;   in Loop: Header=BB1119_390 Depth=2
	s_waitcnt lgkmcnt(0)
	v_bcnt_u32_b32 v69, v69, v210
	ds_write_b32 v213, v69 offset:544
.LBB1119_458:                           ;   in Loop: Header=BB1119_390 Depth=2
	s_or_b32 exec_lo, exec_lo, s22
	; wave barrier
	s_waitcnt lgkmcnt(0)
	s_barrier
	buffer_gl0_inv
	ds_read2_b32 v[71:72], v98 offset0:136 offset1:137
	ds_read2_b32 v[69:70], v98 offset0:138 offset1:139
	ds_read_b32 v214, v98 offset:560
	s_waitcnt lgkmcnt(1)
	v_add3_u32 v215, v72, v71, v69
	s_waitcnt lgkmcnt(0)
	v_add3_u32 v214, v215, v70, v214
	v_mov_b32_dpp v215, v214 row_shr:1 row_mask:0xf bank_mask:0xf
	v_cndmask_b32_e64 v215, v215, 0, s13
	v_add_nc_u32_e32 v214, v215, v214
	v_mov_b32_dpp v215, v214 row_shr:2 row_mask:0xf bank_mask:0xf
	v_cndmask_b32_e64 v215, 0, v215, s14
	v_add_nc_u32_e32 v214, v214, v215
	;; [unrolled: 3-line block ×4, first 2 shown]
	ds_swizzle_b32 v215, v214 offset:swizzle(BROADCAST,32,15)
	s_waitcnt lgkmcnt(0)
	v_cndmask_b32_e64 v215, v215, 0, s17
	v_add_nc_u32_e32 v214, v214, v215
	s_and_saveexec_b32 s22, s4
; %bb.459:                              ;   in Loop: Header=BB1119_390 Depth=2
	ds_write_b32 v92, v214 offset:512
; %bb.460:                              ;   in Loop: Header=BB1119_390 Depth=2
	s_or_b32 exec_lo, exec_lo, s22
	s_waitcnt lgkmcnt(0)
	s_barrier
	buffer_gl0_inv
	s_and_saveexec_b32 s22, s5
	s_cbranch_execz .LBB1119_462
; %bb.461:                              ;   in Loop: Header=BB1119_390 Depth=2
	ds_read_b32 v215, v99 offset:512
	s_waitcnt lgkmcnt(0)
	v_mov_b32_dpp v216, v215 row_shr:1 row_mask:0xf bank_mask:0xf
	v_cndmask_b32_e64 v216, v216, 0, s19
	v_add_nc_u32_e32 v215, v216, v215
	v_mov_b32_dpp v216, v215 row_shr:2 row_mask:0xf bank_mask:0xf
	v_cndmask_b32_e64 v216, 0, v216, s20
	v_add_nc_u32_e32 v215, v215, v216
	;; [unrolled: 3-line block ×3, first 2 shown]
	ds_write_b32 v99, v215 offset:512
.LBB1119_462:                           ;   in Loop: Header=BB1119_390 Depth=2
	s_or_b32 exec_lo, exec_lo, s22
	v_mov_b32_e32 v215, 0
	s_waitcnt lgkmcnt(0)
	s_barrier
	buffer_gl0_inv
	s_and_saveexec_b32 s22, s10
; %bb.463:                              ;   in Loop: Header=BB1119_390 Depth=2
	ds_read_b32 v215, v92 offset:508
; %bb.464:                              ;   in Loop: Header=BB1119_390 Depth=2
	s_or_b32 exec_lo, exec_lo, s22
	s_waitcnt lgkmcnt(0)
	v_add_nc_u32_e32 v214, v215, v214
	ds_bpermute_b32 v214, v127, v214
	s_waitcnt lgkmcnt(0)
	v_cndmask_b32_e64 v214, v214, v215, s18
	v_cndmask_b32_e64 v214, v214, 0, s11
	v_add_nc_u32_e32 v71, v214, v71
	v_add_nc_u32_e32 v72, v71, v72
	;; [unrolled: 1-line block ×4, first 2 shown]
	ds_write2_b32 v98, v214, v71 offset0:136 offset1:137
	ds_write2_b32 v98, v72, v69 offset0:138 offset1:139
	ds_write_b32 v98, v70 offset:560
	s_waitcnt lgkmcnt(0)
	s_barrier
	buffer_gl0_inv
	ds_read_b32 v69, v168 offset:544
	ds_read_b32 v217, v171 offset:544
	;; [unrolled: 1-line block ×16, first 2 shown]
	s_and_saveexec_b32 s22, s7
	s_cbranch_execz .LBB1119_468
; %bb.465:                              ;   in Loop: Header=BB1119_390 Depth=2
	ds_read_b32 v156, v101 offset:544
	v_mov_b32_e32 v166, 0x1000
	s_and_saveexec_b32 s23, s12
; %bb.466:                              ;   in Loop: Header=BB1119_390 Depth=2
	ds_read_b32 v166, v100 offset:544
; %bb.467:                              ;   in Loop: Header=BB1119_390 Depth=2
	s_or_b32 exec_lo, exec_lo, s23
	s_waitcnt lgkmcnt(0)
	v_sub_nc_u32_e32 v166, v166, v156
.LBB1119_468:                           ;   in Loop: Header=BB1119_390 Depth=2
	s_or_b32 exec_lo, exec_lo, s22
	s_waitcnt lgkmcnt(0)
	s_barrier
	buffer_gl0_inv
	s_and_saveexec_b32 s22, s7
	s_cbranch_execz .LBB1119_470
; %bb.469:                              ;   in Loop: Header=BB1119_390 Depth=2
	ds_read_b32 v192, v73
	s_waitcnt lgkmcnt(0)
	v_sub_nc_u32_e32 v192, v192, v156
	ds_write_b32 v73, v192
.LBB1119_470:                           ;   in Loop: Header=BB1119_390 Depth=2
	s_or_b32 exec_lo, exec_lo, s22
	v_lshlrev_b32_e32 v3, 3, v3
	v_lshlrev_b32_e32 v170, 3, v170
	;; [unrolled: 1-line block ×5, first 2 shown]
	v_lshl_add_u32 v69, v69, 3, v3
	v_lshlrev_b32_e32 v3, 3, v172
	v_lshlrev_b32_e32 v172, 3, v70
	;; [unrolled: 1-line block ×3, first 2 shown]
	v_add3_u32 v70, v170, v169, v192
	ds_write_b64 v69, v[37:38] offset:512
	v_lshlrev_b32_e32 v37, 3, v175
	v_lshlrev_b32_e32 v38, 3, v216
	;; [unrolled: 1-line block ×8, first 2 shown]
	ds_write_b64 v70, v[39:40] offset:512
	v_add3_u32 v39, v173, v3, v172
	v_add3_u32 v40, v176, v37, v38
	v_lshlrev_b32_e32 v3, 3, v185
	v_lshlrev_b32_e32 v37, 3, v184
	;; [unrolled: 1-line block ×3, first 2 shown]
	v_add3_u32 v71, v169, v170, v72
	v_add3_u32 v72, v175, v178, v179
	ds_write_b64 v39, v[41:42] offset:512
	ds_write_b64 v40, v[49:50] offset:512
	;; [unrolled: 1-line block ×4, first 2 shown]
	v_add3_u32 v41, v3, v37, v38
	v_lshlrev_b32_e32 v3, 3, v188
	v_lshlrev_b32_e32 v37, 3, v187
	;; [unrolled: 1-line block ×12, first 2 shown]
	v_add3_u32 v42, v3, v37, v38
	v_lshlrev_b32_e32 v3, 3, v199
	v_lshlrev_b32_e32 v37, 3, v198
	;; [unrolled: 1-line block ×3, first 2 shown]
	v_add3_u32 v49, v49, v50, v53
	v_add3_u32 v50, v54, v57, v58
	;; [unrolled: 1-line block ×3, first 2 shown]
	ds_write_b64 v41, v[61:62] offset:512
	ds_write_b64 v42, v[65:66] offset:512
	;; [unrolled: 1-line block ×5, first 2 shown]
	v_add3_u32 v54, v3, v37, v38
	v_lshlrev_b32_e32 v3, 3, v202
	v_lshlrev_b32_e32 v37, 3, v201
	;; [unrolled: 1-line block ×12, first 2 shown]
	v_add3_u32 v57, v3, v37, v38
	v_add3_u32 v58, v58, v59, v60
	;; [unrolled: 1-line block ×3, first 2 shown]
	ds_write_b64 v54, v[55:56] offset:512
	v_add3_u32 v55, v64, v65, v66
	v_cmp_lt_u32_e32 vcc_lo, v0, v167
	ds_write_b64 v57, v[51:52] offset:512
	ds_write_b64 v58, v[47:48] offset:512
	;; [unrolled: 1-line block ×4, first 2 shown]
	s_waitcnt lgkmcnt(0)
	s_barrier
	buffer_gl0_inv
	s_and_saveexec_b32 s23, vcc_lo
	s_cbranch_execnz .LBB1119_539
; %bb.471:                              ;   in Loop: Header=BB1119_390 Depth=2
	s_or_b32 exec_lo, exec_lo, s23
	v_cmp_lt_u32_e64 s22, v74, v167
	s_and_saveexec_b32 s24, s22
	s_cbranch_execnz .LBB1119_540
.LBB1119_472:                           ;   in Loop: Header=BB1119_390 Depth=2
	s_or_b32 exec_lo, exec_lo, s24
	v_cmp_lt_u32_e64 s23, v77, v167
	s_and_saveexec_b32 s25, s23
	s_cbranch_execnz .LBB1119_541
.LBB1119_473:                           ;   in Loop: Header=BB1119_390 Depth=2
	s_or_b32 exec_lo, exec_lo, s25
	v_cmp_lt_u32_e64 s24, v78, v167
	s_and_saveexec_b32 s26, s24
	s_cbranch_execnz .LBB1119_542
.LBB1119_474:                           ;   in Loop: Header=BB1119_390 Depth=2
	s_or_b32 exec_lo, exec_lo, s26
	v_cmp_lt_u32_e64 s25, v79, v167
	s_and_saveexec_b32 s27, s25
	s_cbranch_execnz .LBB1119_543
.LBB1119_475:                           ;   in Loop: Header=BB1119_390 Depth=2
	s_or_b32 exec_lo, exec_lo, s27
	v_cmp_lt_u32_e64 s26, v80, v167
	s_and_saveexec_b32 s28, s26
	s_cbranch_execnz .LBB1119_544
.LBB1119_476:                           ;   in Loop: Header=BB1119_390 Depth=2
	s_or_b32 exec_lo, exec_lo, s28
	v_cmp_lt_u32_e64 s27, v81, v167
	s_and_saveexec_b32 s30, s27
	s_cbranch_execnz .LBB1119_545
.LBB1119_477:                           ;   in Loop: Header=BB1119_390 Depth=2
	s_or_b32 exec_lo, exec_lo, s30
	v_cmp_lt_u32_e64 s28, v82, v167
	s_and_saveexec_b32 s31, s28
	s_cbranch_execnz .LBB1119_546
.LBB1119_478:                           ;   in Loop: Header=BB1119_390 Depth=2
	s_or_b32 exec_lo, exec_lo, s31
	v_cmp_lt_u32_e64 s30, v83, v167
	s_and_saveexec_b32 s33, s30
	s_cbranch_execnz .LBB1119_547
.LBB1119_479:                           ;   in Loop: Header=BB1119_390 Depth=2
	s_or_b32 exec_lo, exec_lo, s33
	v_cmp_lt_u32_e64 s31, v84, v167
	s_and_saveexec_b32 s34, s31
	s_cbranch_execnz .LBB1119_548
.LBB1119_480:                           ;   in Loop: Header=BB1119_390 Depth=2
	s_or_b32 exec_lo, exec_lo, s34
	v_cmp_lt_u32_e64 s33, v85, v167
	s_and_saveexec_b32 s35, s33
	s_cbranch_execnz .LBB1119_549
.LBB1119_481:                           ;   in Loop: Header=BB1119_390 Depth=2
	s_or_b32 exec_lo, exec_lo, s35
	v_cmp_lt_u32_e64 s34, v86, v167
	s_and_saveexec_b32 s36, s34
	s_cbranch_execnz .LBB1119_550
.LBB1119_482:                           ;   in Loop: Header=BB1119_390 Depth=2
	s_or_b32 exec_lo, exec_lo, s36
	v_cmp_lt_u32_e64 s35, v87, v167
	s_and_saveexec_b32 s37, s35
	s_cbranch_execnz .LBB1119_551
.LBB1119_483:                           ;   in Loop: Header=BB1119_390 Depth=2
	s_or_b32 exec_lo, exec_lo, s37
	v_cmp_lt_u32_e64 s36, v88, v167
	s_and_saveexec_b32 s38, s36
	s_cbranch_execnz .LBB1119_552
.LBB1119_484:                           ;   in Loop: Header=BB1119_390 Depth=2
	s_or_b32 exec_lo, exec_lo, s38
	v_cmp_lt_u32_e64 s37, v89, v167
	s_and_saveexec_b32 s39, s37
	s_cbranch_execnz .LBB1119_553
.LBB1119_485:                           ;   in Loop: Header=BB1119_390 Depth=2
	s_or_b32 exec_lo, exec_lo, s39
	v_cmp_lt_u32_e64 s38, v90, v167
	s_and_saveexec_b32 s47, s38
	s_cbranch_execz .LBB1119_487
.LBB1119_486:                           ;   in Loop: Header=BB1119_390 Depth=2
	ds_read_b64 v[37:38], v106 offset:31232
	s_waitcnt lgkmcnt(0)
	v_cmp_ne_u64_e64 s39, s[56:57], v[37:38]
	v_cndmask_b32_e64 v44, 0x7fffffff, v38, s39
	v_cndmask_b32_e64 v43, -1, v37, s39
	v_cmp_gt_i64_e64 s39, 0, v[37:38]
	v_lshrrev_b64 v[43:44], s63, v[43:44]
	v_cndmask_b32_e64 v45, 0x7fffffff, 0, s39
	v_and_b32_e32 v3, s65, v43
	v_ashrrev_i32_e32 v43, 31, v38
	v_xor_b32_e32 v38, v45, v38
	v_lshlrev_b32_e32 v3, 2, v3
	v_not_b32_e32 v46, v43
	ds_read_b32 v3, v3
	v_xor_b32_e32 v37, v46, v37
	s_waitcnt lgkmcnt(0)
	v_add_nc_u32_e32 v3, v3, v90
	v_lshlrev_b64 v[43:44], 3, v[3:4]
	v_add_co_u32 v43, s39, s44, v43
	v_add_co_ci_u32_e64 v44, null, s45, v44, s39
	global_store_dwordx2 v[43:44], v[37:38], off
.LBB1119_487:                           ;   in Loop: Header=BB1119_390 Depth=2
	s_or_b32 exec_lo, exec_lo, s47
	s_mov_b32 s47, s56
	s_lshl_b64 s[46:47], s[46:47], 3
	v_add_co_u32 v37, s39, v129, s46
	v_add_co_ci_u32_e64 v38, null, s47, v130, s39
	v_cmp_lt_u32_e64 s39, v128, v167
	s_and_saveexec_b32 s46, s39
	s_xor_b32 s39, exec_lo, s46
	s_cbranch_execnz .LBB1119_554
; %bb.488:                              ;   in Loop: Header=BB1119_390 Depth=2
	s_or_b32 exec_lo, exec_lo, s39
	s_mov_b32 s46, exec_lo
	v_cmpx_lt_u32_e64 v131, v167
	s_cbranch_execnz .LBB1119_555
.LBB1119_489:                           ;   in Loop: Header=BB1119_390 Depth=2
	s_or_b32 exec_lo, exec_lo, s46
	s_mov_b32 s46, exec_lo
	v_cmpx_lt_u32_e64 v132, v167
	s_cbranch_execnz .LBB1119_556
.LBB1119_490:                           ;   in Loop: Header=BB1119_390 Depth=2
	s_or_b32 exec_lo, exec_lo, s46
	s_mov_b32 s46, exec_lo
	v_cmpx_lt_u32_e64 v133, v167
	s_cbranch_execnz .LBB1119_557
.LBB1119_491:                           ;   in Loop: Header=BB1119_390 Depth=2
	s_or_b32 exec_lo, exec_lo, s46
	s_mov_b32 s46, exec_lo
	v_cmpx_lt_u32_e64 v134, v167
	s_cbranch_execnz .LBB1119_558
.LBB1119_492:                           ;   in Loop: Header=BB1119_390 Depth=2
	s_or_b32 exec_lo, exec_lo, s46
	s_mov_b32 s46, exec_lo
	v_cmpx_lt_u32_e64 v135, v167
	s_cbranch_execnz .LBB1119_559
.LBB1119_493:                           ;   in Loop: Header=BB1119_390 Depth=2
	s_or_b32 exec_lo, exec_lo, s46
	s_mov_b32 s46, exec_lo
	v_cmpx_lt_u32_e64 v136, v167
	s_cbranch_execnz .LBB1119_560
.LBB1119_494:                           ;   in Loop: Header=BB1119_390 Depth=2
	s_or_b32 exec_lo, exec_lo, s46
	s_mov_b32 s46, exec_lo
	v_cmpx_lt_u32_e64 v137, v167
	s_cbranch_execnz .LBB1119_561
.LBB1119_495:                           ;   in Loop: Header=BB1119_390 Depth=2
	s_or_b32 exec_lo, exec_lo, s46
	s_mov_b32 s46, exec_lo
	v_cmpx_lt_u32_e64 v138, v167
	s_cbranch_execnz .LBB1119_562
.LBB1119_496:                           ;   in Loop: Header=BB1119_390 Depth=2
	s_or_b32 exec_lo, exec_lo, s46
	s_mov_b32 s46, exec_lo
	v_cmpx_lt_u32_e64 v139, v167
	s_cbranch_execnz .LBB1119_563
.LBB1119_497:                           ;   in Loop: Header=BB1119_390 Depth=2
	s_or_b32 exec_lo, exec_lo, s46
	s_mov_b32 s46, exec_lo
	v_cmpx_lt_u32_e64 v140, v167
	s_cbranch_execnz .LBB1119_564
.LBB1119_498:                           ;   in Loop: Header=BB1119_390 Depth=2
	s_or_b32 exec_lo, exec_lo, s46
	s_mov_b32 s46, exec_lo
	v_cmpx_lt_u32_e64 v141, v167
	s_cbranch_execnz .LBB1119_565
.LBB1119_499:                           ;   in Loop: Header=BB1119_390 Depth=2
	s_or_b32 exec_lo, exec_lo, s46
	s_mov_b32 s46, exec_lo
	v_cmpx_lt_u32_e64 v142, v167
	s_cbranch_execnz .LBB1119_566
.LBB1119_500:                           ;   in Loop: Header=BB1119_390 Depth=2
	s_or_b32 exec_lo, exec_lo, s46
	s_mov_b32 s46, exec_lo
	v_cmpx_lt_u32_e64 v143, v167
	s_cbranch_execnz .LBB1119_567
.LBB1119_501:                           ;   in Loop: Header=BB1119_390 Depth=2
	s_or_b32 exec_lo, exec_lo, s46
	s_mov_b32 s46, exec_lo
	v_cmpx_lt_u32_e64 v144, v167
	s_cbranch_execnz .LBB1119_568
.LBB1119_502:                           ;   in Loop: Header=BB1119_390 Depth=2
	s_or_b32 exec_lo, exec_lo, s46
	s_mov_b32 s46, exec_lo
	v_cmpx_lt_u32_e64 v145, v167
	s_cbranch_execnz .LBB1119_569
.LBB1119_503:                           ;   in Loop: Header=BB1119_390 Depth=2
	s_or_b32 exec_lo, exec_lo, s46
	s_and_saveexec_b32 s46, vcc_lo
	s_cbranch_execnz .LBB1119_570
.LBB1119_504:                           ;   in Loop: Header=BB1119_390 Depth=2
	s_or_b32 exec_lo, exec_lo, s46
	s_and_saveexec_b32 s46, s22
	s_cbranch_execnz .LBB1119_571
.LBB1119_505:                           ;   in Loop: Header=BB1119_390 Depth=2
	s_or_b32 exec_lo, exec_lo, s46
	s_and_saveexec_b32 s46, s23
	s_cbranch_execnz .LBB1119_572
.LBB1119_506:                           ;   in Loop: Header=BB1119_390 Depth=2
	s_or_b32 exec_lo, exec_lo, s46
	s_and_saveexec_b32 s46, s24
	s_cbranch_execnz .LBB1119_573
.LBB1119_507:                           ;   in Loop: Header=BB1119_390 Depth=2
	s_or_b32 exec_lo, exec_lo, s46
	s_and_saveexec_b32 s46, s25
	s_cbranch_execnz .LBB1119_574
.LBB1119_508:                           ;   in Loop: Header=BB1119_390 Depth=2
	s_or_b32 exec_lo, exec_lo, s46
	s_and_saveexec_b32 s46, s26
	s_cbranch_execnz .LBB1119_575
.LBB1119_509:                           ;   in Loop: Header=BB1119_390 Depth=2
	s_or_b32 exec_lo, exec_lo, s46
	s_and_saveexec_b32 s46, s27
	s_cbranch_execnz .LBB1119_576
.LBB1119_510:                           ;   in Loop: Header=BB1119_390 Depth=2
	s_or_b32 exec_lo, exec_lo, s46
	s_and_saveexec_b32 s46, s28
	s_cbranch_execnz .LBB1119_577
.LBB1119_511:                           ;   in Loop: Header=BB1119_390 Depth=2
	s_or_b32 exec_lo, exec_lo, s46
	s_and_saveexec_b32 s46, s30
	s_cbranch_execnz .LBB1119_578
.LBB1119_512:                           ;   in Loop: Header=BB1119_390 Depth=2
	s_or_b32 exec_lo, exec_lo, s46
	s_and_saveexec_b32 s46, s31
	s_cbranch_execnz .LBB1119_579
.LBB1119_513:                           ;   in Loop: Header=BB1119_390 Depth=2
	s_or_b32 exec_lo, exec_lo, s46
	s_and_saveexec_b32 s46, s33
	s_cbranch_execnz .LBB1119_580
.LBB1119_514:                           ;   in Loop: Header=BB1119_390 Depth=2
	s_or_b32 exec_lo, exec_lo, s46
	s_and_saveexec_b32 s46, s34
	s_cbranch_execnz .LBB1119_581
.LBB1119_515:                           ;   in Loop: Header=BB1119_390 Depth=2
	s_or_b32 exec_lo, exec_lo, s46
	s_and_saveexec_b32 s46, s35
	s_cbranch_execnz .LBB1119_582
.LBB1119_516:                           ;   in Loop: Header=BB1119_390 Depth=2
	s_or_b32 exec_lo, exec_lo, s46
	s_and_saveexec_b32 s46, s36
	s_cbranch_execnz .LBB1119_583
.LBB1119_517:                           ;   in Loop: Header=BB1119_390 Depth=2
	s_or_b32 exec_lo, exec_lo, s46
	s_and_saveexec_b32 s46, s37
	s_cbranch_execnz .LBB1119_584
.LBB1119_518:                           ;   in Loop: Header=BB1119_390 Depth=2
	s_or_b32 exec_lo, exec_lo, s46
	s_and_saveexec_b32 s46, s38
	s_cbranch_execz .LBB1119_520
.LBB1119_519:                           ;   in Loop: Header=BB1119_390 Depth=2
	ds_read_b64 v[37:38], v106 offset:31232
	s_waitcnt lgkmcnt(0)
	v_cmp_ne_u64_e64 s39, s[56:57], v[37:38]
	v_cndmask_b32_e64 v38, 0x7fffffff, v38, s39
	v_cndmask_b32_e64 v37, -1, v37, s39
	v_lshrrev_b64 v[37:38], s63, v[37:38]
	v_and_b32_e32 v149, s65, v37
.LBB1119_520:                           ;   in Loop: Header=BB1119_390 Depth=2
	s_or_b32 exec_lo, exec_lo, s46
	s_waitcnt vmcnt(0)
	s_waitcnt_vscnt null, 0x0
	s_barrier
	buffer_gl0_inv
	ds_write_b64 v69, v[35:36] offset:512
	ds_write_b64 v70, v[33:34] offset:512
	ds_write_b64 v39, v[31:32] offset:512
	ds_write_b64 v40, v[29:30] offset:512
	ds_write_b64 v71, v[27:28] offset:512
	ds_write_b64 v72, v[23:24] offset:512
	ds_write_b64 v41, v[19:20] offset:512
	ds_write_b64 v42, v[15:16] offset:512
	ds_write_b64 v49, v[25:26] offset:512
	ds_write_b64 v50, v[21:22] offset:512
	ds_write_b64 v53, v[17:18] offset:512
	ds_write_b64 v54, v[13:14] offset:512
	ds_write_b64 v57, v[11:12] offset:512
	ds_write_b64 v58, v[9:10] offset:512
	ds_write_b64 v59, v[7:8] offset:512
	ds_write_b64 v55, v[5:6] offset:512
	s_waitcnt lgkmcnt(0)
	s_barrier
	buffer_gl0_inv
	s_and_saveexec_b32 s39, vcc_lo
	s_cbranch_execnz .LBB1119_585
; %bb.521:                              ;   in Loop: Header=BB1119_390 Depth=2
	s_or_b32 exec_lo, exec_lo, s39
	s_and_saveexec_b32 s39, s22
	s_cbranch_execnz .LBB1119_586
.LBB1119_522:                           ;   in Loop: Header=BB1119_390 Depth=2
	s_or_b32 exec_lo, exec_lo, s39
	s_and_saveexec_b32 s22, s23
	s_cbranch_execnz .LBB1119_587
.LBB1119_523:                           ;   in Loop: Header=BB1119_390 Depth=2
	s_or_b32 exec_lo, exec_lo, s22
	s_and_saveexec_b32 s22, s24
	s_cbranch_execnz .LBB1119_588
.LBB1119_524:                           ;   in Loop: Header=BB1119_390 Depth=2
	s_or_b32 exec_lo, exec_lo, s22
	s_and_saveexec_b32 s22, s25
	s_cbranch_execnz .LBB1119_589
.LBB1119_525:                           ;   in Loop: Header=BB1119_390 Depth=2
	s_or_b32 exec_lo, exec_lo, s22
	s_and_saveexec_b32 s22, s26
	s_cbranch_execnz .LBB1119_590
.LBB1119_526:                           ;   in Loop: Header=BB1119_390 Depth=2
	s_or_b32 exec_lo, exec_lo, s22
	s_and_saveexec_b32 s22, s27
	s_cbranch_execnz .LBB1119_591
.LBB1119_527:                           ;   in Loop: Header=BB1119_390 Depth=2
	s_or_b32 exec_lo, exec_lo, s22
	s_and_saveexec_b32 s22, s28
	s_cbranch_execnz .LBB1119_592
.LBB1119_528:                           ;   in Loop: Header=BB1119_390 Depth=2
	s_or_b32 exec_lo, exec_lo, s22
	s_and_saveexec_b32 s22, s30
	s_cbranch_execnz .LBB1119_593
.LBB1119_529:                           ;   in Loop: Header=BB1119_390 Depth=2
	s_or_b32 exec_lo, exec_lo, s22
	s_and_saveexec_b32 s22, s31
	s_cbranch_execnz .LBB1119_594
.LBB1119_530:                           ;   in Loop: Header=BB1119_390 Depth=2
	s_or_b32 exec_lo, exec_lo, s22
	s_and_saveexec_b32 s22, s33
	s_cbranch_execnz .LBB1119_595
.LBB1119_531:                           ;   in Loop: Header=BB1119_390 Depth=2
	s_or_b32 exec_lo, exec_lo, s22
	s_and_saveexec_b32 s22, s34
	s_cbranch_execnz .LBB1119_596
.LBB1119_532:                           ;   in Loop: Header=BB1119_390 Depth=2
	s_or_b32 exec_lo, exec_lo, s22
	s_and_saveexec_b32 s22, s35
	s_cbranch_execnz .LBB1119_597
.LBB1119_533:                           ;   in Loop: Header=BB1119_390 Depth=2
	s_or_b32 exec_lo, exec_lo, s22
	s_and_saveexec_b32 s22, s36
	s_cbranch_execnz .LBB1119_598
.LBB1119_534:                           ;   in Loop: Header=BB1119_390 Depth=2
	s_or_b32 exec_lo, exec_lo, s22
	s_and_saveexec_b32 s22, s37
	s_cbranch_execnz .LBB1119_599
.LBB1119_535:                           ;   in Loop: Header=BB1119_390 Depth=2
	s_or_b32 exec_lo, exec_lo, s22
	s_and_saveexec_b32 s22, s38
	s_cbranch_execz .LBB1119_537
.LBB1119_536:                           ;   in Loop: Header=BB1119_390 Depth=2
	v_lshlrev_b32_e32 v3, 2, v149
	ds_read_b32 v3, v3
	ds_read_b64 v[37:38], v106 offset:31232
	s_waitcnt lgkmcnt(1)
	v_add_nc_u32_e32 v3, v3, v90
	v_lshlrev_b64 v[39:40], 3, v[3:4]
	v_add_co_u32 v39, vcc_lo, s50, v39
	v_add_co_ci_u32_e64 v40, null, s51, v40, vcc_lo
	s_waitcnt lgkmcnt(0)
	global_store_dwordx2 v[39:40], v[37:38], off
.LBB1119_537:                           ;   in Loop: Header=BB1119_390 Depth=2
	s_or_b32 exec_lo, exec_lo, s22
	s_waitcnt_vscnt null, 0x0
	s_barrier
	buffer_gl0_inv
	s_and_saveexec_b32 s22, s7
	s_cbranch_execz .LBB1119_389
; %bb.538:                              ;   in Loop: Header=BB1119_390 Depth=2
	ds_read_b32 v3, v73
	s_waitcnt lgkmcnt(0)
	v_add3_u32 v3, v156, v166, v3
	ds_write_b32 v73, v3
	s_branch .LBB1119_389
.LBB1119_539:                           ;   in Loop: Header=BB1119_390 Depth=2
	ds_read_b64 v[37:38], v106 offset:512
	s_waitcnt lgkmcnt(0)
	v_cmp_ne_u64_e64 s22, s[56:57], v[37:38]
	v_cndmask_b32_e64 v44, 0x7fffffff, v38, s22
	v_cndmask_b32_e64 v43, -1, v37, s22
	v_cmp_gt_i64_e64 s22, 0, v[37:38]
	v_lshrrev_b64 v[43:44], s63, v[43:44]
	v_cndmask_b32_e64 v45, 0x7fffffff, 0, s22
	v_and_b32_e32 v3, s65, v43
	v_ashrrev_i32_e32 v43, 31, v38
	v_xor_b32_e32 v38, v45, v38
	v_lshlrev_b32_e32 v3, 2, v3
	v_not_b32_e32 v46, v43
	ds_read_b32 v3, v3
	v_xor_b32_e32 v37, v46, v37
	s_waitcnt lgkmcnt(0)
	v_add_nc_u32_e32 v3, v3, v0
	v_lshlrev_b64 v[43:44], 3, v[3:4]
	v_add_co_u32 v43, s22, s44, v43
	v_add_co_ci_u32_e64 v44, null, s45, v44, s22
	global_store_dwordx2 v[43:44], v[37:38], off
	s_or_b32 exec_lo, exec_lo, s23
	v_cmp_lt_u32_e64 s22, v74, v167
	s_and_saveexec_b32 s24, s22
	s_cbranch_execz .LBB1119_472
.LBB1119_540:                           ;   in Loop: Header=BB1119_390 Depth=2
	ds_read_b64 v[37:38], v106 offset:2560
	s_waitcnt lgkmcnt(0)
	v_cmp_ne_u64_e64 s23, s[56:57], v[37:38]
	v_cndmask_b32_e64 v44, 0x7fffffff, v38, s23
	v_cndmask_b32_e64 v43, -1, v37, s23
	v_cmp_gt_i64_e64 s23, 0, v[37:38]
	v_lshrrev_b64 v[43:44], s63, v[43:44]
	v_cndmask_b32_e64 v45, 0x7fffffff, 0, s23
	v_and_b32_e32 v3, s65, v43
	v_ashrrev_i32_e32 v43, 31, v38
	v_xor_b32_e32 v38, v45, v38
	v_lshlrev_b32_e32 v3, 2, v3
	v_not_b32_e32 v46, v43
	ds_read_b32 v3, v3
	v_xor_b32_e32 v37, v46, v37
	s_waitcnt lgkmcnt(0)
	v_add_nc_u32_e32 v3, v3, v74
	v_lshlrev_b64 v[43:44], 3, v[3:4]
	v_add_co_u32 v43, s23, s44, v43
	v_add_co_ci_u32_e64 v44, null, s45, v44, s23
	global_store_dwordx2 v[43:44], v[37:38], off
	s_or_b32 exec_lo, exec_lo, s24
	v_cmp_lt_u32_e64 s23, v77, v167
	s_and_saveexec_b32 s25, s23
	s_cbranch_execz .LBB1119_473
.LBB1119_541:                           ;   in Loop: Header=BB1119_390 Depth=2
	ds_read_b64 v[37:38], v106 offset:4608
	s_waitcnt lgkmcnt(0)
	v_cmp_ne_u64_e64 s24, s[56:57], v[37:38]
	v_cndmask_b32_e64 v44, 0x7fffffff, v38, s24
	v_cndmask_b32_e64 v43, -1, v37, s24
	v_cmp_gt_i64_e64 s24, 0, v[37:38]
	v_lshrrev_b64 v[43:44], s63, v[43:44]
	v_cndmask_b32_e64 v45, 0x7fffffff, 0, s24
	v_and_b32_e32 v3, s65, v43
	v_ashrrev_i32_e32 v43, 31, v38
	v_xor_b32_e32 v38, v45, v38
	v_lshlrev_b32_e32 v3, 2, v3
	v_not_b32_e32 v46, v43
	ds_read_b32 v3, v3
	v_xor_b32_e32 v37, v46, v37
	s_waitcnt lgkmcnt(0)
	v_add_nc_u32_e32 v3, v3, v77
	v_lshlrev_b64 v[43:44], 3, v[3:4]
	v_add_co_u32 v43, s24, s44, v43
	v_add_co_ci_u32_e64 v44, null, s45, v44, s24
	global_store_dwordx2 v[43:44], v[37:38], off
	s_or_b32 exec_lo, exec_lo, s25
	v_cmp_lt_u32_e64 s24, v78, v167
	s_and_saveexec_b32 s26, s24
	s_cbranch_execz .LBB1119_474
.LBB1119_542:                           ;   in Loop: Header=BB1119_390 Depth=2
	ds_read_b64 v[37:38], v106 offset:6656
	s_waitcnt lgkmcnt(0)
	v_cmp_ne_u64_e64 s25, s[56:57], v[37:38]
	v_cndmask_b32_e64 v44, 0x7fffffff, v38, s25
	v_cndmask_b32_e64 v43, -1, v37, s25
	v_cmp_gt_i64_e64 s25, 0, v[37:38]
	v_lshrrev_b64 v[43:44], s63, v[43:44]
	v_cndmask_b32_e64 v45, 0x7fffffff, 0, s25
	v_and_b32_e32 v3, s65, v43
	v_ashrrev_i32_e32 v43, 31, v38
	v_xor_b32_e32 v38, v45, v38
	v_lshlrev_b32_e32 v3, 2, v3
	v_not_b32_e32 v46, v43
	ds_read_b32 v3, v3
	v_xor_b32_e32 v37, v46, v37
	s_waitcnt lgkmcnt(0)
	v_add_nc_u32_e32 v3, v3, v78
	v_lshlrev_b64 v[43:44], 3, v[3:4]
	v_add_co_u32 v43, s25, s44, v43
	v_add_co_ci_u32_e64 v44, null, s45, v44, s25
	global_store_dwordx2 v[43:44], v[37:38], off
	s_or_b32 exec_lo, exec_lo, s26
	v_cmp_lt_u32_e64 s25, v79, v167
	s_and_saveexec_b32 s27, s25
	s_cbranch_execz .LBB1119_475
.LBB1119_543:                           ;   in Loop: Header=BB1119_390 Depth=2
	ds_read_b64 v[37:38], v106 offset:8704
	s_waitcnt lgkmcnt(0)
	v_cmp_ne_u64_e64 s26, s[56:57], v[37:38]
	v_cndmask_b32_e64 v44, 0x7fffffff, v38, s26
	v_cndmask_b32_e64 v43, -1, v37, s26
	v_cmp_gt_i64_e64 s26, 0, v[37:38]
	v_lshrrev_b64 v[43:44], s63, v[43:44]
	v_cndmask_b32_e64 v45, 0x7fffffff, 0, s26
	v_and_b32_e32 v3, s65, v43
	v_ashrrev_i32_e32 v43, 31, v38
	v_xor_b32_e32 v38, v45, v38
	v_lshlrev_b32_e32 v3, 2, v3
	v_not_b32_e32 v46, v43
	ds_read_b32 v3, v3
	v_xor_b32_e32 v37, v46, v37
	s_waitcnt lgkmcnt(0)
	v_add_nc_u32_e32 v3, v3, v79
	v_lshlrev_b64 v[43:44], 3, v[3:4]
	v_add_co_u32 v43, s26, s44, v43
	v_add_co_ci_u32_e64 v44, null, s45, v44, s26
	global_store_dwordx2 v[43:44], v[37:38], off
	s_or_b32 exec_lo, exec_lo, s27
	v_cmp_lt_u32_e64 s26, v80, v167
	s_and_saveexec_b32 s28, s26
	s_cbranch_execz .LBB1119_476
.LBB1119_544:                           ;   in Loop: Header=BB1119_390 Depth=2
	ds_read_b64 v[37:38], v106 offset:10752
	s_waitcnt lgkmcnt(0)
	v_cmp_ne_u64_e64 s27, s[56:57], v[37:38]
	v_cndmask_b32_e64 v44, 0x7fffffff, v38, s27
	v_cndmask_b32_e64 v43, -1, v37, s27
	v_cmp_gt_i64_e64 s27, 0, v[37:38]
	v_lshrrev_b64 v[43:44], s63, v[43:44]
	v_cndmask_b32_e64 v45, 0x7fffffff, 0, s27
	v_and_b32_e32 v3, s65, v43
	v_ashrrev_i32_e32 v43, 31, v38
	v_xor_b32_e32 v38, v45, v38
	v_lshlrev_b32_e32 v3, 2, v3
	v_not_b32_e32 v46, v43
	ds_read_b32 v3, v3
	v_xor_b32_e32 v37, v46, v37
	s_waitcnt lgkmcnt(0)
	v_add_nc_u32_e32 v3, v3, v80
	v_lshlrev_b64 v[43:44], 3, v[3:4]
	v_add_co_u32 v43, s27, s44, v43
	v_add_co_ci_u32_e64 v44, null, s45, v44, s27
	global_store_dwordx2 v[43:44], v[37:38], off
	s_or_b32 exec_lo, exec_lo, s28
	v_cmp_lt_u32_e64 s27, v81, v167
	s_and_saveexec_b32 s30, s27
	s_cbranch_execz .LBB1119_477
.LBB1119_545:                           ;   in Loop: Header=BB1119_390 Depth=2
	ds_read_b64 v[37:38], v106 offset:12800
	s_waitcnt lgkmcnt(0)
	v_cmp_ne_u64_e64 s28, s[56:57], v[37:38]
	v_cndmask_b32_e64 v44, 0x7fffffff, v38, s28
	v_cndmask_b32_e64 v43, -1, v37, s28
	v_cmp_gt_i64_e64 s28, 0, v[37:38]
	v_lshrrev_b64 v[43:44], s63, v[43:44]
	v_cndmask_b32_e64 v45, 0x7fffffff, 0, s28
	v_and_b32_e32 v3, s65, v43
	v_ashrrev_i32_e32 v43, 31, v38
	v_xor_b32_e32 v38, v45, v38
	v_lshlrev_b32_e32 v3, 2, v3
	v_not_b32_e32 v46, v43
	ds_read_b32 v3, v3
	v_xor_b32_e32 v37, v46, v37
	s_waitcnt lgkmcnt(0)
	v_add_nc_u32_e32 v3, v3, v81
	v_lshlrev_b64 v[43:44], 3, v[3:4]
	v_add_co_u32 v43, s28, s44, v43
	v_add_co_ci_u32_e64 v44, null, s45, v44, s28
	global_store_dwordx2 v[43:44], v[37:38], off
	s_or_b32 exec_lo, exec_lo, s30
	v_cmp_lt_u32_e64 s28, v82, v167
	s_and_saveexec_b32 s31, s28
	s_cbranch_execz .LBB1119_478
.LBB1119_546:                           ;   in Loop: Header=BB1119_390 Depth=2
	ds_read_b64 v[37:38], v106 offset:14848
	s_waitcnt lgkmcnt(0)
	v_cmp_ne_u64_e64 s30, s[56:57], v[37:38]
	v_cndmask_b32_e64 v44, 0x7fffffff, v38, s30
	v_cndmask_b32_e64 v43, -1, v37, s30
	v_cmp_gt_i64_e64 s30, 0, v[37:38]
	v_lshrrev_b64 v[43:44], s63, v[43:44]
	v_cndmask_b32_e64 v45, 0x7fffffff, 0, s30
	v_and_b32_e32 v3, s65, v43
	v_ashrrev_i32_e32 v43, 31, v38
	v_xor_b32_e32 v38, v45, v38
	v_lshlrev_b32_e32 v3, 2, v3
	v_not_b32_e32 v46, v43
	ds_read_b32 v3, v3
	v_xor_b32_e32 v37, v46, v37
	s_waitcnt lgkmcnt(0)
	v_add_nc_u32_e32 v3, v3, v82
	v_lshlrev_b64 v[43:44], 3, v[3:4]
	v_add_co_u32 v43, s30, s44, v43
	v_add_co_ci_u32_e64 v44, null, s45, v44, s30
	global_store_dwordx2 v[43:44], v[37:38], off
	s_or_b32 exec_lo, exec_lo, s31
	v_cmp_lt_u32_e64 s30, v83, v167
	s_and_saveexec_b32 s33, s30
	s_cbranch_execz .LBB1119_479
.LBB1119_547:                           ;   in Loop: Header=BB1119_390 Depth=2
	ds_read_b64 v[37:38], v106 offset:16896
	s_waitcnt lgkmcnt(0)
	v_cmp_ne_u64_e64 s31, s[56:57], v[37:38]
	v_cndmask_b32_e64 v44, 0x7fffffff, v38, s31
	v_cndmask_b32_e64 v43, -1, v37, s31
	v_cmp_gt_i64_e64 s31, 0, v[37:38]
	v_lshrrev_b64 v[43:44], s63, v[43:44]
	v_cndmask_b32_e64 v45, 0x7fffffff, 0, s31
	v_and_b32_e32 v3, s65, v43
	v_ashrrev_i32_e32 v43, 31, v38
	v_xor_b32_e32 v38, v45, v38
	v_lshlrev_b32_e32 v3, 2, v3
	v_not_b32_e32 v46, v43
	ds_read_b32 v3, v3
	v_xor_b32_e32 v37, v46, v37
	s_waitcnt lgkmcnt(0)
	v_add_nc_u32_e32 v3, v3, v83
	v_lshlrev_b64 v[43:44], 3, v[3:4]
	v_add_co_u32 v43, s31, s44, v43
	v_add_co_ci_u32_e64 v44, null, s45, v44, s31
	global_store_dwordx2 v[43:44], v[37:38], off
	s_or_b32 exec_lo, exec_lo, s33
	v_cmp_lt_u32_e64 s31, v84, v167
	s_and_saveexec_b32 s34, s31
	s_cbranch_execz .LBB1119_480
.LBB1119_548:                           ;   in Loop: Header=BB1119_390 Depth=2
	ds_read_b64 v[37:38], v106 offset:18944
	s_waitcnt lgkmcnt(0)
	v_cmp_ne_u64_e64 s33, s[56:57], v[37:38]
	v_cndmask_b32_e64 v44, 0x7fffffff, v38, s33
	v_cndmask_b32_e64 v43, -1, v37, s33
	v_cmp_gt_i64_e64 s33, 0, v[37:38]
	v_lshrrev_b64 v[43:44], s63, v[43:44]
	v_cndmask_b32_e64 v45, 0x7fffffff, 0, s33
	v_and_b32_e32 v3, s65, v43
	v_ashrrev_i32_e32 v43, 31, v38
	v_xor_b32_e32 v38, v45, v38
	v_lshlrev_b32_e32 v3, 2, v3
	v_not_b32_e32 v46, v43
	ds_read_b32 v3, v3
	v_xor_b32_e32 v37, v46, v37
	s_waitcnt lgkmcnt(0)
	v_add_nc_u32_e32 v3, v3, v84
	v_lshlrev_b64 v[43:44], 3, v[3:4]
	v_add_co_u32 v43, s33, s44, v43
	v_add_co_ci_u32_e64 v44, null, s45, v44, s33
	global_store_dwordx2 v[43:44], v[37:38], off
	s_or_b32 exec_lo, exec_lo, s34
	v_cmp_lt_u32_e64 s33, v85, v167
	s_and_saveexec_b32 s35, s33
	s_cbranch_execz .LBB1119_481
.LBB1119_549:                           ;   in Loop: Header=BB1119_390 Depth=2
	ds_read_b64 v[37:38], v106 offset:20992
	s_waitcnt lgkmcnt(0)
	v_cmp_ne_u64_e64 s34, s[56:57], v[37:38]
	v_cndmask_b32_e64 v44, 0x7fffffff, v38, s34
	v_cndmask_b32_e64 v43, -1, v37, s34
	v_cmp_gt_i64_e64 s34, 0, v[37:38]
	v_lshrrev_b64 v[43:44], s63, v[43:44]
	v_cndmask_b32_e64 v45, 0x7fffffff, 0, s34
	v_and_b32_e32 v3, s65, v43
	v_ashrrev_i32_e32 v43, 31, v38
	v_xor_b32_e32 v38, v45, v38
	v_lshlrev_b32_e32 v3, 2, v3
	v_not_b32_e32 v46, v43
	ds_read_b32 v3, v3
	v_xor_b32_e32 v37, v46, v37
	s_waitcnt lgkmcnt(0)
	v_add_nc_u32_e32 v3, v3, v85
	v_lshlrev_b64 v[43:44], 3, v[3:4]
	v_add_co_u32 v43, s34, s44, v43
	v_add_co_ci_u32_e64 v44, null, s45, v44, s34
	global_store_dwordx2 v[43:44], v[37:38], off
	s_or_b32 exec_lo, exec_lo, s35
	v_cmp_lt_u32_e64 s34, v86, v167
	s_and_saveexec_b32 s36, s34
	s_cbranch_execz .LBB1119_482
.LBB1119_550:                           ;   in Loop: Header=BB1119_390 Depth=2
	ds_read_b64 v[37:38], v106 offset:23040
	s_waitcnt lgkmcnt(0)
	v_cmp_ne_u64_e64 s35, s[56:57], v[37:38]
	v_cndmask_b32_e64 v44, 0x7fffffff, v38, s35
	v_cndmask_b32_e64 v43, -1, v37, s35
	v_cmp_gt_i64_e64 s35, 0, v[37:38]
	v_lshrrev_b64 v[43:44], s63, v[43:44]
	v_cndmask_b32_e64 v45, 0x7fffffff, 0, s35
	v_and_b32_e32 v3, s65, v43
	v_ashrrev_i32_e32 v43, 31, v38
	v_xor_b32_e32 v38, v45, v38
	v_lshlrev_b32_e32 v3, 2, v3
	v_not_b32_e32 v46, v43
	ds_read_b32 v3, v3
	v_xor_b32_e32 v37, v46, v37
	s_waitcnt lgkmcnt(0)
	v_add_nc_u32_e32 v3, v3, v86
	v_lshlrev_b64 v[43:44], 3, v[3:4]
	v_add_co_u32 v43, s35, s44, v43
	v_add_co_ci_u32_e64 v44, null, s45, v44, s35
	global_store_dwordx2 v[43:44], v[37:38], off
	s_or_b32 exec_lo, exec_lo, s36
	v_cmp_lt_u32_e64 s35, v87, v167
	s_and_saveexec_b32 s37, s35
	s_cbranch_execz .LBB1119_483
.LBB1119_551:                           ;   in Loop: Header=BB1119_390 Depth=2
	ds_read_b64 v[37:38], v106 offset:25088
	s_waitcnt lgkmcnt(0)
	v_cmp_ne_u64_e64 s36, s[56:57], v[37:38]
	v_cndmask_b32_e64 v44, 0x7fffffff, v38, s36
	v_cndmask_b32_e64 v43, -1, v37, s36
	v_cmp_gt_i64_e64 s36, 0, v[37:38]
	v_lshrrev_b64 v[43:44], s63, v[43:44]
	v_cndmask_b32_e64 v45, 0x7fffffff, 0, s36
	v_and_b32_e32 v3, s65, v43
	v_ashrrev_i32_e32 v43, 31, v38
	v_xor_b32_e32 v38, v45, v38
	v_lshlrev_b32_e32 v3, 2, v3
	v_not_b32_e32 v46, v43
	ds_read_b32 v3, v3
	v_xor_b32_e32 v37, v46, v37
	s_waitcnt lgkmcnt(0)
	v_add_nc_u32_e32 v3, v3, v87
	v_lshlrev_b64 v[43:44], 3, v[3:4]
	v_add_co_u32 v43, s36, s44, v43
	v_add_co_ci_u32_e64 v44, null, s45, v44, s36
	global_store_dwordx2 v[43:44], v[37:38], off
	s_or_b32 exec_lo, exec_lo, s37
	v_cmp_lt_u32_e64 s36, v88, v167
	s_and_saveexec_b32 s38, s36
	s_cbranch_execz .LBB1119_484
.LBB1119_552:                           ;   in Loop: Header=BB1119_390 Depth=2
	ds_read_b64 v[37:38], v106 offset:27136
	s_waitcnt lgkmcnt(0)
	v_cmp_ne_u64_e64 s37, s[56:57], v[37:38]
	v_cndmask_b32_e64 v44, 0x7fffffff, v38, s37
	v_cndmask_b32_e64 v43, -1, v37, s37
	v_cmp_gt_i64_e64 s37, 0, v[37:38]
	v_lshrrev_b64 v[43:44], s63, v[43:44]
	v_cndmask_b32_e64 v45, 0x7fffffff, 0, s37
	v_and_b32_e32 v3, s65, v43
	v_ashrrev_i32_e32 v43, 31, v38
	v_xor_b32_e32 v38, v45, v38
	v_lshlrev_b32_e32 v3, 2, v3
	v_not_b32_e32 v46, v43
	ds_read_b32 v3, v3
	v_xor_b32_e32 v37, v46, v37
	s_waitcnt lgkmcnt(0)
	v_add_nc_u32_e32 v3, v3, v88
	v_lshlrev_b64 v[43:44], 3, v[3:4]
	v_add_co_u32 v43, s37, s44, v43
	v_add_co_ci_u32_e64 v44, null, s45, v44, s37
	global_store_dwordx2 v[43:44], v[37:38], off
	s_or_b32 exec_lo, exec_lo, s38
	v_cmp_lt_u32_e64 s37, v89, v167
	s_and_saveexec_b32 s39, s37
	s_cbranch_execz .LBB1119_485
.LBB1119_553:                           ;   in Loop: Header=BB1119_390 Depth=2
	ds_read_b64 v[37:38], v106 offset:29184
	s_waitcnt lgkmcnt(0)
	v_cmp_ne_u64_e64 s38, s[56:57], v[37:38]
	v_cndmask_b32_e64 v44, 0x7fffffff, v38, s38
	v_cndmask_b32_e64 v43, -1, v37, s38
	v_cmp_gt_i64_e64 s38, 0, v[37:38]
	v_lshrrev_b64 v[43:44], s63, v[43:44]
	v_cndmask_b32_e64 v45, 0x7fffffff, 0, s38
	v_and_b32_e32 v3, s65, v43
	v_ashrrev_i32_e32 v43, 31, v38
	v_xor_b32_e32 v38, v45, v38
	v_lshlrev_b32_e32 v3, 2, v3
	v_not_b32_e32 v46, v43
	ds_read_b32 v3, v3
	v_xor_b32_e32 v37, v46, v37
	s_waitcnt lgkmcnt(0)
	v_add_nc_u32_e32 v3, v3, v89
	v_lshlrev_b64 v[43:44], 3, v[3:4]
	v_add_co_u32 v43, s38, s44, v43
	v_add_co_ci_u32_e64 v44, null, s45, v44, s38
	global_store_dwordx2 v[43:44], v[37:38], off
	s_or_b32 exec_lo, exec_lo, s39
	v_cmp_lt_u32_e64 s38, v90, v167
	s_and_saveexec_b32 s47, s38
	s_cbranch_execnz .LBB1119_486
	s_branch .LBB1119_487
.LBB1119_554:                           ;   in Loop: Header=BB1119_390 Depth=2
	global_load_dwordx2 v[35:36], v[37:38], off
	s_or_b32 exec_lo, exec_lo, s39
	s_mov_b32 s46, exec_lo
	v_cmpx_lt_u32_e64 v131, v167
	s_cbranch_execz .LBB1119_489
.LBB1119_555:                           ;   in Loop: Header=BB1119_390 Depth=2
	global_load_dwordx2 v[33:34], v[37:38], off offset:256
	s_or_b32 exec_lo, exec_lo, s46
	s_mov_b32 s46, exec_lo
	v_cmpx_lt_u32_e64 v132, v167
	s_cbranch_execz .LBB1119_490
.LBB1119_556:                           ;   in Loop: Header=BB1119_390 Depth=2
	global_load_dwordx2 v[31:32], v[37:38], off offset:512
	s_or_b32 exec_lo, exec_lo, s46
	s_mov_b32 s46, exec_lo
	v_cmpx_lt_u32_e64 v133, v167
	s_cbranch_execz .LBB1119_491
.LBB1119_557:                           ;   in Loop: Header=BB1119_390 Depth=2
	global_load_dwordx2 v[29:30], v[37:38], off offset:768
	s_or_b32 exec_lo, exec_lo, s46
	s_mov_b32 s46, exec_lo
	v_cmpx_lt_u32_e64 v134, v167
	s_cbranch_execz .LBB1119_492
.LBB1119_558:                           ;   in Loop: Header=BB1119_390 Depth=2
	global_load_dwordx2 v[27:28], v[37:38], off offset:1024
	s_or_b32 exec_lo, exec_lo, s46
	s_mov_b32 s46, exec_lo
	v_cmpx_lt_u32_e64 v135, v167
	s_cbranch_execz .LBB1119_493
.LBB1119_559:                           ;   in Loop: Header=BB1119_390 Depth=2
	global_load_dwordx2 v[23:24], v[37:38], off offset:1280
	s_or_b32 exec_lo, exec_lo, s46
	s_mov_b32 s46, exec_lo
	v_cmpx_lt_u32_e64 v136, v167
	s_cbranch_execz .LBB1119_494
.LBB1119_560:                           ;   in Loop: Header=BB1119_390 Depth=2
	global_load_dwordx2 v[19:20], v[37:38], off offset:1536
	s_or_b32 exec_lo, exec_lo, s46
	s_mov_b32 s46, exec_lo
	v_cmpx_lt_u32_e64 v137, v167
	s_cbranch_execz .LBB1119_495
.LBB1119_561:                           ;   in Loop: Header=BB1119_390 Depth=2
	global_load_dwordx2 v[15:16], v[37:38], off offset:1792
	s_or_b32 exec_lo, exec_lo, s46
	s_mov_b32 s46, exec_lo
	v_cmpx_lt_u32_e64 v138, v167
	s_cbranch_execz .LBB1119_496
.LBB1119_562:                           ;   in Loop: Header=BB1119_390 Depth=2
	v_add_co_u32 v25, s39, 0x800, v37
	v_add_co_ci_u32_e64 v26, null, 0, v38, s39
	global_load_dwordx2 v[25:26], v[25:26], off
	s_or_b32 exec_lo, exec_lo, s46
	s_mov_b32 s46, exec_lo
	v_cmpx_lt_u32_e64 v139, v167
	s_cbranch_execz .LBB1119_497
.LBB1119_563:                           ;   in Loop: Header=BB1119_390 Depth=2
	v_add_co_u32 v21, s39, 0x800, v37
	v_add_co_ci_u32_e64 v22, null, 0, v38, s39
	global_load_dwordx2 v[21:22], v[21:22], off offset:256
	s_or_b32 exec_lo, exec_lo, s46
	s_mov_b32 s46, exec_lo
	v_cmpx_lt_u32_e64 v140, v167
	s_cbranch_execz .LBB1119_498
.LBB1119_564:                           ;   in Loop: Header=BB1119_390 Depth=2
	v_add_co_u32 v17, s39, 0x800, v37
	v_add_co_ci_u32_e64 v18, null, 0, v38, s39
	global_load_dwordx2 v[17:18], v[17:18], off offset:512
	s_or_b32 exec_lo, exec_lo, s46
	s_mov_b32 s46, exec_lo
	v_cmpx_lt_u32_e64 v141, v167
	s_cbranch_execz .LBB1119_499
.LBB1119_565:                           ;   in Loop: Header=BB1119_390 Depth=2
	v_add_co_u32 v13, s39, 0x800, v37
	v_add_co_ci_u32_e64 v14, null, 0, v38, s39
	global_load_dwordx2 v[13:14], v[13:14], off offset:768
	s_or_b32 exec_lo, exec_lo, s46
	s_mov_b32 s46, exec_lo
	v_cmpx_lt_u32_e64 v142, v167
	s_cbranch_execz .LBB1119_500
.LBB1119_566:                           ;   in Loop: Header=BB1119_390 Depth=2
	v_add_co_u32 v11, s39, 0x800, v37
	v_add_co_ci_u32_e64 v12, null, 0, v38, s39
	global_load_dwordx2 v[11:12], v[11:12], off offset:1024
	s_or_b32 exec_lo, exec_lo, s46
	s_mov_b32 s46, exec_lo
	v_cmpx_lt_u32_e64 v143, v167
	s_cbranch_execz .LBB1119_501
.LBB1119_567:                           ;   in Loop: Header=BB1119_390 Depth=2
	v_add_co_u32 v9, s39, 0x800, v37
	v_add_co_ci_u32_e64 v10, null, 0, v38, s39
	global_load_dwordx2 v[9:10], v[9:10], off offset:1280
	s_or_b32 exec_lo, exec_lo, s46
	s_mov_b32 s46, exec_lo
	v_cmpx_lt_u32_e64 v144, v167
	s_cbranch_execz .LBB1119_502
.LBB1119_568:                           ;   in Loop: Header=BB1119_390 Depth=2
	v_add_co_u32 v7, s39, 0x800, v37
	v_add_co_ci_u32_e64 v8, null, 0, v38, s39
	global_load_dwordx2 v[7:8], v[7:8], off offset:1536
	s_or_b32 exec_lo, exec_lo, s46
	s_mov_b32 s46, exec_lo
	v_cmpx_lt_u32_e64 v145, v167
	s_cbranch_execz .LBB1119_503
.LBB1119_569:                           ;   in Loop: Header=BB1119_390 Depth=2
	v_add_co_u32 v5, s39, 0x800, v37
	v_add_co_ci_u32_e64 v6, null, 0, v38, s39
	global_load_dwordx2 v[5:6], v[5:6], off offset:1792
	s_or_b32 exec_lo, exec_lo, s46
	s_and_saveexec_b32 s46, vcc_lo
	s_cbranch_execz .LBB1119_504
.LBB1119_570:                           ;   in Loop: Header=BB1119_390 Depth=2
	ds_read_b64 v[37:38], v106 offset:512
	s_waitcnt lgkmcnt(0)
	v_cmp_ne_u64_e64 s39, s[56:57], v[37:38]
	v_cndmask_b32_e64 v38, 0x7fffffff, v38, s39
	v_cndmask_b32_e64 v37, -1, v37, s39
	v_lshrrev_b64 v[37:38], s63, v[37:38]
	v_and_b32_e32 v165, s65, v37
	s_or_b32 exec_lo, exec_lo, s46
	s_and_saveexec_b32 s46, s22
	s_cbranch_execz .LBB1119_505
.LBB1119_571:                           ;   in Loop: Header=BB1119_390 Depth=2
	ds_read_b64 v[37:38], v106 offset:2560
	s_waitcnt lgkmcnt(0)
	v_cmp_ne_u64_e64 s39, s[56:57], v[37:38]
	v_cndmask_b32_e64 v38, 0x7fffffff, v38, s39
	v_cndmask_b32_e64 v37, -1, v37, s39
	v_lshrrev_b64 v[37:38], s63, v[37:38]
	v_and_b32_e32 v164, s65, v37
	s_or_b32 exec_lo, exec_lo, s46
	s_and_saveexec_b32 s46, s23
	s_cbranch_execz .LBB1119_506
.LBB1119_572:                           ;   in Loop: Header=BB1119_390 Depth=2
	ds_read_b64 v[37:38], v106 offset:4608
	s_waitcnt lgkmcnt(0)
	v_cmp_ne_u64_e64 s39, s[56:57], v[37:38]
	v_cndmask_b32_e64 v38, 0x7fffffff, v38, s39
	v_cndmask_b32_e64 v37, -1, v37, s39
	v_lshrrev_b64 v[37:38], s63, v[37:38]
	v_and_b32_e32 v163, s65, v37
	s_or_b32 exec_lo, exec_lo, s46
	s_and_saveexec_b32 s46, s24
	s_cbranch_execz .LBB1119_507
.LBB1119_573:                           ;   in Loop: Header=BB1119_390 Depth=2
	ds_read_b64 v[37:38], v106 offset:6656
	s_waitcnt lgkmcnt(0)
	v_cmp_ne_u64_e64 s39, s[56:57], v[37:38]
	v_cndmask_b32_e64 v38, 0x7fffffff, v38, s39
	v_cndmask_b32_e64 v37, -1, v37, s39
	v_lshrrev_b64 v[37:38], s63, v[37:38]
	v_and_b32_e32 v162, s65, v37
	s_or_b32 exec_lo, exec_lo, s46
	s_and_saveexec_b32 s46, s25
	s_cbranch_execz .LBB1119_508
.LBB1119_574:                           ;   in Loop: Header=BB1119_390 Depth=2
	ds_read_b64 v[37:38], v106 offset:8704
	s_waitcnt lgkmcnt(0)
	v_cmp_ne_u64_e64 s39, s[56:57], v[37:38]
	v_cndmask_b32_e64 v38, 0x7fffffff, v38, s39
	v_cndmask_b32_e64 v37, -1, v37, s39
	v_lshrrev_b64 v[37:38], s63, v[37:38]
	v_and_b32_e32 v161, s65, v37
	s_or_b32 exec_lo, exec_lo, s46
	s_and_saveexec_b32 s46, s26
	s_cbranch_execz .LBB1119_509
.LBB1119_575:                           ;   in Loop: Header=BB1119_390 Depth=2
	ds_read_b64 v[37:38], v106 offset:10752
	s_waitcnt lgkmcnt(0)
	v_cmp_ne_u64_e64 s39, s[56:57], v[37:38]
	v_cndmask_b32_e64 v38, 0x7fffffff, v38, s39
	v_cndmask_b32_e64 v37, -1, v37, s39
	v_lshrrev_b64 v[37:38], s63, v[37:38]
	v_and_b32_e32 v160, s65, v37
	s_or_b32 exec_lo, exec_lo, s46
	s_and_saveexec_b32 s46, s27
	s_cbranch_execz .LBB1119_510
.LBB1119_576:                           ;   in Loop: Header=BB1119_390 Depth=2
	ds_read_b64 v[37:38], v106 offset:12800
	s_waitcnt lgkmcnt(0)
	v_cmp_ne_u64_e64 s39, s[56:57], v[37:38]
	v_cndmask_b32_e64 v38, 0x7fffffff, v38, s39
	v_cndmask_b32_e64 v37, -1, v37, s39
	v_lshrrev_b64 v[37:38], s63, v[37:38]
	v_and_b32_e32 v159, s65, v37
	s_or_b32 exec_lo, exec_lo, s46
	s_and_saveexec_b32 s46, s28
	s_cbranch_execz .LBB1119_511
.LBB1119_577:                           ;   in Loop: Header=BB1119_390 Depth=2
	ds_read_b64 v[37:38], v106 offset:14848
	s_waitcnt lgkmcnt(0)
	v_cmp_ne_u64_e64 s39, s[56:57], v[37:38]
	v_cndmask_b32_e64 v38, 0x7fffffff, v38, s39
	v_cndmask_b32_e64 v37, -1, v37, s39
	v_lshrrev_b64 v[37:38], s63, v[37:38]
	v_and_b32_e32 v158, s65, v37
	s_or_b32 exec_lo, exec_lo, s46
	s_and_saveexec_b32 s46, s30
	s_cbranch_execz .LBB1119_512
.LBB1119_578:                           ;   in Loop: Header=BB1119_390 Depth=2
	ds_read_b64 v[37:38], v106 offset:16896
	s_waitcnt lgkmcnt(0)
	v_cmp_ne_u64_e64 s39, s[56:57], v[37:38]
	v_cndmask_b32_e64 v38, 0x7fffffff, v38, s39
	v_cndmask_b32_e64 v37, -1, v37, s39
	v_lshrrev_b64 v[37:38], s63, v[37:38]
	v_and_b32_e32 v157, s65, v37
	s_or_b32 exec_lo, exec_lo, s46
	s_and_saveexec_b32 s46, s31
	s_cbranch_execz .LBB1119_513
.LBB1119_579:                           ;   in Loop: Header=BB1119_390 Depth=2
	ds_read_b64 v[37:38], v106 offset:18944
	s_waitcnt lgkmcnt(0)
	v_cmp_ne_u64_e64 s39, s[56:57], v[37:38]
	v_cndmask_b32_e64 v38, 0x7fffffff, v38, s39
	v_cndmask_b32_e64 v37, -1, v37, s39
	v_lshrrev_b64 v[37:38], s63, v[37:38]
	v_and_b32_e32 v155, s65, v37
	s_or_b32 exec_lo, exec_lo, s46
	s_and_saveexec_b32 s46, s33
	s_cbranch_execz .LBB1119_514
.LBB1119_580:                           ;   in Loop: Header=BB1119_390 Depth=2
	ds_read_b64 v[37:38], v106 offset:20992
	s_waitcnt lgkmcnt(0)
	v_cmp_ne_u64_e64 s39, s[56:57], v[37:38]
	v_cndmask_b32_e64 v38, 0x7fffffff, v38, s39
	v_cndmask_b32_e64 v37, -1, v37, s39
	v_lshrrev_b64 v[37:38], s63, v[37:38]
	v_and_b32_e32 v154, s65, v37
	s_or_b32 exec_lo, exec_lo, s46
	s_and_saveexec_b32 s46, s34
	s_cbranch_execz .LBB1119_515
.LBB1119_581:                           ;   in Loop: Header=BB1119_390 Depth=2
	ds_read_b64 v[37:38], v106 offset:23040
	s_waitcnt lgkmcnt(0)
	v_cmp_ne_u64_e64 s39, s[56:57], v[37:38]
	v_cndmask_b32_e64 v38, 0x7fffffff, v38, s39
	v_cndmask_b32_e64 v37, -1, v37, s39
	v_lshrrev_b64 v[37:38], s63, v[37:38]
	v_and_b32_e32 v153, s65, v37
	s_or_b32 exec_lo, exec_lo, s46
	s_and_saveexec_b32 s46, s35
	s_cbranch_execz .LBB1119_516
.LBB1119_582:                           ;   in Loop: Header=BB1119_390 Depth=2
	ds_read_b64 v[37:38], v106 offset:25088
	s_waitcnt lgkmcnt(0)
	v_cmp_ne_u64_e64 s39, s[56:57], v[37:38]
	v_cndmask_b32_e64 v38, 0x7fffffff, v38, s39
	v_cndmask_b32_e64 v37, -1, v37, s39
	v_lshrrev_b64 v[37:38], s63, v[37:38]
	v_and_b32_e32 v152, s65, v37
	s_or_b32 exec_lo, exec_lo, s46
	s_and_saveexec_b32 s46, s36
	s_cbranch_execz .LBB1119_517
.LBB1119_583:                           ;   in Loop: Header=BB1119_390 Depth=2
	ds_read_b64 v[37:38], v106 offset:27136
	s_waitcnt lgkmcnt(0)
	v_cmp_ne_u64_e64 s39, s[56:57], v[37:38]
	v_cndmask_b32_e64 v38, 0x7fffffff, v38, s39
	v_cndmask_b32_e64 v37, -1, v37, s39
	v_lshrrev_b64 v[37:38], s63, v[37:38]
	v_and_b32_e32 v151, s65, v37
	s_or_b32 exec_lo, exec_lo, s46
	s_and_saveexec_b32 s46, s37
	s_cbranch_execz .LBB1119_518
.LBB1119_584:                           ;   in Loop: Header=BB1119_390 Depth=2
	ds_read_b64 v[37:38], v106 offset:29184
	s_waitcnt lgkmcnt(0)
	v_cmp_ne_u64_e64 s39, s[56:57], v[37:38]
	v_cndmask_b32_e64 v38, 0x7fffffff, v38, s39
	v_cndmask_b32_e64 v37, -1, v37, s39
	v_lshrrev_b64 v[37:38], s63, v[37:38]
	v_and_b32_e32 v150, s65, v37
	s_or_b32 exec_lo, exec_lo, s46
	s_and_saveexec_b32 s46, s38
	s_cbranch_execnz .LBB1119_519
	s_branch .LBB1119_520
.LBB1119_585:                           ;   in Loop: Header=BB1119_390 Depth=2
	v_lshlrev_b32_e32 v3, 2, v165
	ds_read_b32 v3, v3
	ds_read_b64 v[37:38], v106 offset:512
	s_waitcnt lgkmcnt(1)
	v_add_nc_u32_e32 v3, v3, v0
	v_lshlrev_b64 v[39:40], 3, v[3:4]
	v_add_co_u32 v39, vcc_lo, s50, v39
	v_add_co_ci_u32_e64 v40, null, s51, v40, vcc_lo
	s_waitcnt lgkmcnt(0)
	global_store_dwordx2 v[39:40], v[37:38], off
	s_or_b32 exec_lo, exec_lo, s39
	s_and_saveexec_b32 s39, s22
	s_cbranch_execz .LBB1119_522
.LBB1119_586:                           ;   in Loop: Header=BB1119_390 Depth=2
	v_lshlrev_b32_e32 v3, 2, v164
	ds_read_b32 v3, v3
	ds_read_b64 v[37:38], v106 offset:2560
	s_waitcnt lgkmcnt(1)
	v_add_nc_u32_e32 v3, v3, v74
	v_lshlrev_b64 v[39:40], 3, v[3:4]
	v_add_co_u32 v39, vcc_lo, s50, v39
	v_add_co_ci_u32_e64 v40, null, s51, v40, vcc_lo
	s_waitcnt lgkmcnt(0)
	global_store_dwordx2 v[39:40], v[37:38], off
	s_or_b32 exec_lo, exec_lo, s39
	s_and_saveexec_b32 s22, s23
	s_cbranch_execz .LBB1119_523
.LBB1119_587:                           ;   in Loop: Header=BB1119_390 Depth=2
	v_lshlrev_b32_e32 v3, 2, v163
	ds_read_b32 v3, v3
	ds_read_b64 v[37:38], v106 offset:4608
	s_waitcnt lgkmcnt(1)
	v_add_nc_u32_e32 v3, v3, v77
	v_lshlrev_b64 v[39:40], 3, v[3:4]
	v_add_co_u32 v39, vcc_lo, s50, v39
	v_add_co_ci_u32_e64 v40, null, s51, v40, vcc_lo
	s_waitcnt lgkmcnt(0)
	global_store_dwordx2 v[39:40], v[37:38], off
	s_or_b32 exec_lo, exec_lo, s22
	s_and_saveexec_b32 s22, s24
	s_cbranch_execz .LBB1119_524
.LBB1119_588:                           ;   in Loop: Header=BB1119_390 Depth=2
	v_lshlrev_b32_e32 v3, 2, v162
	ds_read_b32 v3, v3
	ds_read_b64 v[37:38], v106 offset:6656
	s_waitcnt lgkmcnt(1)
	v_add_nc_u32_e32 v3, v3, v78
	v_lshlrev_b64 v[39:40], 3, v[3:4]
	v_add_co_u32 v39, vcc_lo, s50, v39
	v_add_co_ci_u32_e64 v40, null, s51, v40, vcc_lo
	s_waitcnt lgkmcnt(0)
	global_store_dwordx2 v[39:40], v[37:38], off
	s_or_b32 exec_lo, exec_lo, s22
	s_and_saveexec_b32 s22, s25
	s_cbranch_execz .LBB1119_525
.LBB1119_589:                           ;   in Loop: Header=BB1119_390 Depth=2
	v_lshlrev_b32_e32 v3, 2, v161
	ds_read_b32 v3, v3
	ds_read_b64 v[37:38], v106 offset:8704
	s_waitcnt lgkmcnt(1)
	v_add_nc_u32_e32 v3, v3, v79
	v_lshlrev_b64 v[39:40], 3, v[3:4]
	v_add_co_u32 v39, vcc_lo, s50, v39
	v_add_co_ci_u32_e64 v40, null, s51, v40, vcc_lo
	s_waitcnt lgkmcnt(0)
	global_store_dwordx2 v[39:40], v[37:38], off
	s_or_b32 exec_lo, exec_lo, s22
	s_and_saveexec_b32 s22, s26
	s_cbranch_execz .LBB1119_526
.LBB1119_590:                           ;   in Loop: Header=BB1119_390 Depth=2
	v_lshlrev_b32_e32 v3, 2, v160
	ds_read_b32 v3, v3
	ds_read_b64 v[37:38], v106 offset:10752
	s_waitcnt lgkmcnt(1)
	v_add_nc_u32_e32 v3, v3, v80
	v_lshlrev_b64 v[39:40], 3, v[3:4]
	v_add_co_u32 v39, vcc_lo, s50, v39
	v_add_co_ci_u32_e64 v40, null, s51, v40, vcc_lo
	s_waitcnt lgkmcnt(0)
	global_store_dwordx2 v[39:40], v[37:38], off
	s_or_b32 exec_lo, exec_lo, s22
	s_and_saveexec_b32 s22, s27
	s_cbranch_execz .LBB1119_527
.LBB1119_591:                           ;   in Loop: Header=BB1119_390 Depth=2
	v_lshlrev_b32_e32 v3, 2, v159
	ds_read_b32 v3, v3
	ds_read_b64 v[37:38], v106 offset:12800
	s_waitcnt lgkmcnt(1)
	v_add_nc_u32_e32 v3, v3, v81
	v_lshlrev_b64 v[39:40], 3, v[3:4]
	v_add_co_u32 v39, vcc_lo, s50, v39
	v_add_co_ci_u32_e64 v40, null, s51, v40, vcc_lo
	s_waitcnt lgkmcnt(0)
	global_store_dwordx2 v[39:40], v[37:38], off
	s_or_b32 exec_lo, exec_lo, s22
	s_and_saveexec_b32 s22, s28
	s_cbranch_execz .LBB1119_528
.LBB1119_592:                           ;   in Loop: Header=BB1119_390 Depth=2
	v_lshlrev_b32_e32 v3, 2, v158
	ds_read_b32 v3, v3
	ds_read_b64 v[37:38], v106 offset:14848
	s_waitcnt lgkmcnt(1)
	v_add_nc_u32_e32 v3, v3, v82
	v_lshlrev_b64 v[39:40], 3, v[3:4]
	v_add_co_u32 v39, vcc_lo, s50, v39
	v_add_co_ci_u32_e64 v40, null, s51, v40, vcc_lo
	s_waitcnt lgkmcnt(0)
	global_store_dwordx2 v[39:40], v[37:38], off
	s_or_b32 exec_lo, exec_lo, s22
	s_and_saveexec_b32 s22, s30
	s_cbranch_execz .LBB1119_529
.LBB1119_593:                           ;   in Loop: Header=BB1119_390 Depth=2
	v_lshlrev_b32_e32 v3, 2, v157
	ds_read_b32 v3, v3
	ds_read_b64 v[37:38], v106 offset:16896
	s_waitcnt lgkmcnt(1)
	v_add_nc_u32_e32 v3, v3, v83
	v_lshlrev_b64 v[39:40], 3, v[3:4]
	v_add_co_u32 v39, vcc_lo, s50, v39
	v_add_co_ci_u32_e64 v40, null, s51, v40, vcc_lo
	s_waitcnt lgkmcnt(0)
	global_store_dwordx2 v[39:40], v[37:38], off
	s_or_b32 exec_lo, exec_lo, s22
	s_and_saveexec_b32 s22, s31
	s_cbranch_execz .LBB1119_530
.LBB1119_594:                           ;   in Loop: Header=BB1119_390 Depth=2
	v_lshlrev_b32_e32 v3, 2, v155
	ds_read_b32 v3, v3
	ds_read_b64 v[37:38], v106 offset:18944
	s_waitcnt lgkmcnt(1)
	v_add_nc_u32_e32 v3, v3, v84
	v_lshlrev_b64 v[39:40], 3, v[3:4]
	v_add_co_u32 v39, vcc_lo, s50, v39
	v_add_co_ci_u32_e64 v40, null, s51, v40, vcc_lo
	s_waitcnt lgkmcnt(0)
	global_store_dwordx2 v[39:40], v[37:38], off
	s_or_b32 exec_lo, exec_lo, s22
	s_and_saveexec_b32 s22, s33
	s_cbranch_execz .LBB1119_531
.LBB1119_595:                           ;   in Loop: Header=BB1119_390 Depth=2
	v_lshlrev_b32_e32 v3, 2, v154
	ds_read_b32 v3, v3
	ds_read_b64 v[37:38], v106 offset:20992
	s_waitcnt lgkmcnt(1)
	v_add_nc_u32_e32 v3, v3, v85
	v_lshlrev_b64 v[39:40], 3, v[3:4]
	v_add_co_u32 v39, vcc_lo, s50, v39
	v_add_co_ci_u32_e64 v40, null, s51, v40, vcc_lo
	s_waitcnt lgkmcnt(0)
	global_store_dwordx2 v[39:40], v[37:38], off
	s_or_b32 exec_lo, exec_lo, s22
	s_and_saveexec_b32 s22, s34
	s_cbranch_execz .LBB1119_532
.LBB1119_596:                           ;   in Loop: Header=BB1119_390 Depth=2
	v_lshlrev_b32_e32 v3, 2, v153
	ds_read_b32 v3, v3
	ds_read_b64 v[37:38], v106 offset:23040
	s_waitcnt lgkmcnt(1)
	v_add_nc_u32_e32 v3, v3, v86
	v_lshlrev_b64 v[39:40], 3, v[3:4]
	v_add_co_u32 v39, vcc_lo, s50, v39
	v_add_co_ci_u32_e64 v40, null, s51, v40, vcc_lo
	s_waitcnt lgkmcnt(0)
	global_store_dwordx2 v[39:40], v[37:38], off
	s_or_b32 exec_lo, exec_lo, s22
	s_and_saveexec_b32 s22, s35
	s_cbranch_execz .LBB1119_533
.LBB1119_597:                           ;   in Loop: Header=BB1119_390 Depth=2
	v_lshlrev_b32_e32 v3, 2, v152
	ds_read_b32 v3, v3
	ds_read_b64 v[37:38], v106 offset:25088
	s_waitcnt lgkmcnt(1)
	v_add_nc_u32_e32 v3, v3, v87
	v_lshlrev_b64 v[39:40], 3, v[3:4]
	v_add_co_u32 v39, vcc_lo, s50, v39
	v_add_co_ci_u32_e64 v40, null, s51, v40, vcc_lo
	s_waitcnt lgkmcnt(0)
	global_store_dwordx2 v[39:40], v[37:38], off
	s_or_b32 exec_lo, exec_lo, s22
	s_and_saveexec_b32 s22, s36
	s_cbranch_execz .LBB1119_534
.LBB1119_598:                           ;   in Loop: Header=BB1119_390 Depth=2
	v_lshlrev_b32_e32 v3, 2, v151
	ds_read_b32 v3, v3
	ds_read_b64 v[37:38], v106 offset:27136
	s_waitcnt lgkmcnt(1)
	v_add_nc_u32_e32 v3, v3, v88
	v_lshlrev_b64 v[39:40], 3, v[3:4]
	v_add_co_u32 v39, vcc_lo, s50, v39
	v_add_co_ci_u32_e64 v40, null, s51, v40, vcc_lo
	s_waitcnt lgkmcnt(0)
	global_store_dwordx2 v[39:40], v[37:38], off
	s_or_b32 exec_lo, exec_lo, s22
	s_and_saveexec_b32 s22, s37
	s_cbranch_execz .LBB1119_535
.LBB1119_599:                           ;   in Loop: Header=BB1119_390 Depth=2
	v_lshlrev_b32_e32 v3, 2, v150
	ds_read_b32 v3, v3
	ds_read_b64 v[37:38], v106 offset:29184
	s_waitcnt lgkmcnt(1)
	v_add_nc_u32_e32 v3, v3, v89
	v_lshlrev_b64 v[39:40], 3, v[3:4]
	v_add_co_u32 v39, vcc_lo, s50, v39
	v_add_co_ci_u32_e64 v40, null, s51, v40, vcc_lo
	s_waitcnt lgkmcnt(0)
	global_store_dwordx2 v[39:40], v[37:38], off
	s_or_b32 exec_lo, exec_lo, s22
	s_and_saveexec_b32 s22, s38
	s_cbranch_execnz .LBB1119_536
	s_branch .LBB1119_537
.LBB1119_600:                           ;   in Loop: Header=BB1119_12 Depth=1
	s_waitcnt lgkmcnt(0)
	s_barrier
.LBB1119_601:                           ;   in Loop: Header=BB1119_12 Depth=1
	s_mov_b32 s13, 0
.LBB1119_602:                           ;   in Loop: Header=BB1119_12 Depth=1
	s_andn2_b32 vcc_lo, exec_lo, s13
	s_cbranch_vccnz .LBB1119_11
; %bb.603:                              ;   in Loop: Header=BB1119_12 Depth=1
	s_lshl_b32 s13, -1, s64
	s_and_b32 vcc_lo, exec_lo, s55
	s_not_b32 s64, s13
	s_mov_b32 s13, -1
	s_cbranch_vccz .LBB1119_897
; %bb.604:                              ;   in Loop: Header=BB1119_12 Depth=1
	s_mov_b32 s13, s62
	s_mov_b32 s14, s60
	s_barrier
	buffer_gl0_inv
                                        ; implicit-def: $vgpr5_vgpr6
                                        ; implicit-def: $vgpr7_vgpr8
                                        ; implicit-def: $vgpr9_vgpr10
                                        ; implicit-def: $vgpr11_vgpr12
                                        ; implicit-def: $vgpr13_vgpr14
                                        ; implicit-def: $vgpr15_vgpr16
                                        ; implicit-def: $vgpr17_vgpr18
                                        ; implicit-def: $vgpr19_vgpr20
                                        ; implicit-def: $vgpr21_vgpr22
                                        ; implicit-def: $vgpr23_vgpr24
                                        ; implicit-def: $vgpr25_vgpr26
                                        ; implicit-def: $vgpr27_vgpr28
                                        ; implicit-def: $vgpr29_vgpr30
                                        ; implicit-def: $vgpr31_vgpr32
                                        ; implicit-def: $vgpr33_vgpr34
                                        ; implicit-def: $vgpr35_vgpr36
	s_branch .LBB1119_606
.LBB1119_605:                           ;   in Loop: Header=BB1119_606 Depth=2
	s_or_b32 exec_lo, exec_lo, s14
	s_addk_i32 s13, 0xf000
	s_cmp_ge_u32 s16, s61
	s_mov_b32 s14, s16
	s_cbranch_scc1 .LBB1119_674
.LBB1119_606:                           ;   Parent Loop BB1119_12 Depth=1
                                        ; =>  This Inner Loop Header: Depth=2
	s_add_i32 s16, s14, 0x1000
	s_mov_b32 s15, -1
	s_cmp_gt_u32 s16, s61
                                        ; implicit-def: $vgpr47_vgpr48
                                        ; implicit-def: $vgpr51_vgpr52
                                        ; implicit-def: $vgpr55_vgpr56
                                        ; implicit-def: $vgpr37_vgpr38
                                        ; implicit-def: $vgpr39_vgpr40
                                        ; implicit-def: $vgpr41_vgpr42
                                        ; implicit-def: $vgpr43_vgpr44
                                        ; implicit-def: $vgpr45_vgpr46
                                        ; implicit-def: $vgpr49_vgpr50
                                        ; implicit-def: $vgpr53_vgpr54
                                        ; implicit-def: $vgpr57_vgpr58
                                        ; implicit-def: $vgpr59_vgpr60
                                        ; implicit-def: $vgpr61_vgpr62
                                        ; implicit-def: $vgpr63_vgpr64
                                        ; implicit-def: $vgpr65_vgpr66
                                        ; implicit-def: $vgpr67_vgpr68
	s_cbranch_scc1 .LBB1119_608
; %bb.607:                              ;   in Loop: Header=BB1119_606 Depth=2
	s_mov_b32 s15, s56
	s_lshl_b64 s[18:19], s[14:15], 3
	s_mov_b32 s15, 0
	v_add_co_u32 v47, vcc_lo, v113, s18
	v_add_co_ci_u32_e64 v48, null, s19, v114, vcc_lo
	v_add_co_u32 v55, vcc_lo, v47, 0x1000
	v_add_co_ci_u32_e64 v56, null, 0, v48, vcc_lo
	v_add_co_u32 v39, vcc_lo, v47, 0x2000
	v_add_co_ci_u32_e64 v40, null, 0, v48, vcc_lo
	v_add_co_u32 v43, vcc_lo, v47, 0x3000
	v_add_co_ci_u32_e64 v44, null, 0, v48, vcc_lo
	v_add_co_u32 v49, vcc_lo, v47, 0x4000
	v_add_co_ci_u32_e64 v50, null, 0, v48, vcc_lo
	v_add_co_u32 v51, vcc_lo, v47, 0x5000
	v_add_co_ci_u32_e64 v52, null, 0, v48, vcc_lo
	s_clause 0x7
	global_load_dwordx2 v[37:38], v[39:40], off offset:-2048
	global_load_dwordx2 v[39:40], v[39:40], off
	global_load_dwordx2 v[41:42], v[43:44], off offset:-2048
	global_load_dwordx2 v[43:44], v[43:44], off
	;; [unrolled: 2-line block ×4, first 2 shown]
	v_add_co_u32 v51, vcc_lo, v47, 0x6000
	v_add_co_ci_u32_e64 v52, null, 0, v48, vcc_lo
	v_add_co_u32 v65, vcc_lo, v47, 0x7000
	v_add_co_ci_u32_e64 v66, null, 0, v48, vcc_lo
	;; [unrolled: 2-line block ×3, first 2 shown]
	s_clause 0x7
	global_load_dwordx2 v[59:60], v[51:52], off offset:-2048
	global_load_dwordx2 v[61:62], v[51:52], off
	global_load_dwordx2 v[63:64], v[65:66], off offset:-2048
	global_load_dwordx2 v[65:66], v[65:66], off
	global_load_dwordx2 v[47:48], v[47:48], off
	global_load_dwordx2 v[51:52], v[55:56], off offset:-2048
	global_load_dwordx2 v[55:56], v[55:56], off
	global_load_dwordx2 v[67:68], v[67:68], off
.LBB1119_608:                           ;   in Loop: Header=BB1119_606 Depth=2
	s_andn2_b32 vcc_lo, exec_lo, s15
	s_movk_i32 s15, 0x1000
	s_cbranch_vccnz .LBB1119_627
; %bb.609:                              ;   in Loop: Header=BB1119_606 Depth=2
	s_mov_b32 s15, s56
	s_mov_b32 s17, exec_lo
	s_lshl_b64 s[14:15], s[14:15], 3
	s_add_u32 s14, s40, s14
	s_addc_u32 s15, s41, s15
	v_cmpx_gt_u32_e64 s13, v0
	s_cbranch_execnz .LBB1119_659
; %bb.610:                              ;   in Loop: Header=BB1119_606 Depth=2
	s_or_b32 exec_lo, exec_lo, s17
	s_mov_b32 s17, exec_lo
	v_cmpx_gt_u32_e64 s13, v74
	s_cbranch_execnz .LBB1119_660
.LBB1119_611:                           ;   in Loop: Header=BB1119_606 Depth=2
	s_or_b32 exec_lo, exec_lo, s17
	s_mov_b32 s17, exec_lo
	v_cmpx_gt_u32_e64 s13, v77
	s_cbranch_execnz .LBB1119_661
.LBB1119_612:                           ;   in Loop: Header=BB1119_606 Depth=2
	s_or_b32 exec_lo, exec_lo, s17
	s_mov_b32 s17, exec_lo
	v_cmpx_gt_u32_e64 s13, v78
	s_cbranch_execnz .LBB1119_662
.LBB1119_613:                           ;   in Loop: Header=BB1119_606 Depth=2
	s_or_b32 exec_lo, exec_lo, s17
	s_mov_b32 s17, exec_lo
	v_cmpx_gt_u32_e64 s13, v79
	s_cbranch_execnz .LBB1119_663
.LBB1119_614:                           ;   in Loop: Header=BB1119_606 Depth=2
	s_or_b32 exec_lo, exec_lo, s17
	s_mov_b32 s17, exec_lo
	v_cmpx_gt_u32_e64 s13, v80
	s_cbranch_execnz .LBB1119_664
.LBB1119_615:                           ;   in Loop: Header=BB1119_606 Depth=2
	s_or_b32 exec_lo, exec_lo, s17
	s_mov_b32 s17, exec_lo
	v_cmpx_gt_u32_e64 s13, v81
	s_cbranch_execnz .LBB1119_665
.LBB1119_616:                           ;   in Loop: Header=BB1119_606 Depth=2
	s_or_b32 exec_lo, exec_lo, s17
	s_mov_b32 s17, exec_lo
	v_cmpx_gt_u32_e64 s13, v82
	s_cbranch_execnz .LBB1119_666
.LBB1119_617:                           ;   in Loop: Header=BB1119_606 Depth=2
	s_or_b32 exec_lo, exec_lo, s17
	s_mov_b32 s17, exec_lo
	v_cmpx_gt_u32_e64 s13, v83
	s_cbranch_execnz .LBB1119_667
.LBB1119_618:                           ;   in Loop: Header=BB1119_606 Depth=2
	s_or_b32 exec_lo, exec_lo, s17
	s_mov_b32 s17, exec_lo
	v_cmpx_gt_u32_e64 s13, v84
	s_cbranch_execnz .LBB1119_668
.LBB1119_619:                           ;   in Loop: Header=BB1119_606 Depth=2
	s_or_b32 exec_lo, exec_lo, s17
	s_mov_b32 s17, exec_lo
	v_cmpx_gt_u32_e64 s13, v85
	s_cbranch_execnz .LBB1119_669
.LBB1119_620:                           ;   in Loop: Header=BB1119_606 Depth=2
	s_or_b32 exec_lo, exec_lo, s17
	s_mov_b32 s17, exec_lo
	v_cmpx_gt_u32_e64 s13, v86
	s_cbranch_execnz .LBB1119_670
.LBB1119_621:                           ;   in Loop: Header=BB1119_606 Depth=2
	s_or_b32 exec_lo, exec_lo, s17
	s_mov_b32 s17, exec_lo
	v_cmpx_gt_u32_e64 s13, v87
	s_cbranch_execnz .LBB1119_671
.LBB1119_622:                           ;   in Loop: Header=BB1119_606 Depth=2
	s_or_b32 exec_lo, exec_lo, s17
	s_mov_b32 s17, exec_lo
	v_cmpx_gt_u32_e64 s13, v88
	s_cbranch_execnz .LBB1119_672
.LBB1119_623:                           ;   in Loop: Header=BB1119_606 Depth=2
	s_or_b32 exec_lo, exec_lo, s17
	s_mov_b32 s17, exec_lo
	v_cmpx_gt_u32_e64 s13, v89
	s_cbranch_execnz .LBB1119_673
.LBB1119_624:                           ;   in Loop: Header=BB1119_606 Depth=2
	s_or_b32 exec_lo, exec_lo, s17
	s_mov_b32 s17, exec_lo
	v_cmpx_gt_u32_e64 s13, v90
	s_cbranch_execz .LBB1119_626
.LBB1119_625:                           ;   in Loop: Header=BB1119_606 Depth=2
	v_lshlrev_b32_e32 v3, 3, v90
	global_load_dwordx2 v[5:6], v3, s[14:15]
.LBB1119_626:                           ;   in Loop: Header=BB1119_606 Depth=2
	s_or_b32 exec_lo, exec_lo, s17
	s_waitcnt vmcnt(0)
	v_mov_b32_e32 v48, v36
	v_mov_b32_e32 v52, v34
	;; [unrolled: 1-line block ×32, first 2 shown]
	s_mov_b32 s15, s13
.LBB1119_627:                           ;   in Loop: Header=BB1119_606 Depth=2
	s_waitcnt vmcnt(0)
	v_mov_b32_e32 v5, v67
	v_mov_b32_e32 v7, v65
	;; [unrolled: 1-line block ×32, first 2 shown]
	s_mov_b32 s14, exec_lo
	v_cmpx_gt_u32_e64 s15, v0
	s_cbranch_execnz .LBB1119_643
; %bb.628:                              ;   in Loop: Header=BB1119_606 Depth=2
	s_or_b32 exec_lo, exec_lo, s14
	s_mov_b32 s14, exec_lo
	v_cmpx_gt_u32_e64 s15, v74
	s_cbranch_execnz .LBB1119_644
.LBB1119_629:                           ;   in Loop: Header=BB1119_606 Depth=2
	s_or_b32 exec_lo, exec_lo, s14
	s_mov_b32 s14, exec_lo
	v_cmpx_gt_u32_e64 s15, v77
	s_cbranch_execnz .LBB1119_645
.LBB1119_630:                           ;   in Loop: Header=BB1119_606 Depth=2
	s_or_b32 exec_lo, exec_lo, s14
	s_mov_b32 s14, exec_lo
	v_cmpx_gt_u32_e64 s15, v78
	s_cbranch_execnz .LBB1119_646
.LBB1119_631:                           ;   in Loop: Header=BB1119_606 Depth=2
	s_or_b32 exec_lo, exec_lo, s14
	s_mov_b32 s14, exec_lo
	v_cmpx_gt_u32_e64 s15, v79
	s_cbranch_execnz .LBB1119_647
.LBB1119_632:                           ;   in Loop: Header=BB1119_606 Depth=2
	s_or_b32 exec_lo, exec_lo, s14
	s_mov_b32 s14, exec_lo
	v_cmpx_gt_u32_e64 s15, v80
	s_cbranch_execnz .LBB1119_648
.LBB1119_633:                           ;   in Loop: Header=BB1119_606 Depth=2
	s_or_b32 exec_lo, exec_lo, s14
	s_mov_b32 s14, exec_lo
	v_cmpx_gt_u32_e64 s15, v81
	s_cbranch_execnz .LBB1119_649
.LBB1119_634:                           ;   in Loop: Header=BB1119_606 Depth=2
	s_or_b32 exec_lo, exec_lo, s14
	s_mov_b32 s14, exec_lo
	v_cmpx_gt_u32_e64 s15, v82
	s_cbranch_execnz .LBB1119_650
.LBB1119_635:                           ;   in Loop: Header=BB1119_606 Depth=2
	s_or_b32 exec_lo, exec_lo, s14
	s_mov_b32 s14, exec_lo
	v_cmpx_gt_u32_e64 s15, v83
	s_cbranch_execnz .LBB1119_651
.LBB1119_636:                           ;   in Loop: Header=BB1119_606 Depth=2
	s_or_b32 exec_lo, exec_lo, s14
	s_mov_b32 s14, exec_lo
	v_cmpx_gt_u32_e64 s15, v84
	s_cbranch_execnz .LBB1119_652
.LBB1119_637:                           ;   in Loop: Header=BB1119_606 Depth=2
	s_or_b32 exec_lo, exec_lo, s14
	s_mov_b32 s14, exec_lo
	v_cmpx_gt_u32_e64 s15, v85
	s_cbranch_execnz .LBB1119_653
.LBB1119_638:                           ;   in Loop: Header=BB1119_606 Depth=2
	s_or_b32 exec_lo, exec_lo, s14
	s_mov_b32 s14, exec_lo
	v_cmpx_gt_u32_e64 s15, v86
	s_cbranch_execnz .LBB1119_654
.LBB1119_639:                           ;   in Loop: Header=BB1119_606 Depth=2
	s_or_b32 exec_lo, exec_lo, s14
	s_mov_b32 s14, exec_lo
	v_cmpx_gt_u32_e64 s15, v87
	s_cbranch_execnz .LBB1119_655
.LBB1119_640:                           ;   in Loop: Header=BB1119_606 Depth=2
	s_or_b32 exec_lo, exec_lo, s14
	s_mov_b32 s14, exec_lo
	v_cmpx_gt_u32_e64 s15, v88
	s_cbranch_execnz .LBB1119_656
.LBB1119_641:                           ;   in Loop: Header=BB1119_606 Depth=2
	s_or_b32 exec_lo, exec_lo, s14
	s_mov_b32 s14, exec_lo
	v_cmpx_gt_u32_e64 s15, v89
	s_cbranch_execnz .LBB1119_657
.LBB1119_642:                           ;   in Loop: Header=BB1119_606 Depth=2
	s_or_b32 exec_lo, exec_lo, s14
	s_mov_b32 s14, exec_lo
	v_cmpx_gt_u32_e64 s15, v90
	s_cbranch_execz .LBB1119_605
	s_branch .LBB1119_658
.LBB1119_643:                           ;   in Loop: Header=BB1119_606 Depth=2
	v_cmp_gt_i64_e32 vcc_lo, 0, v[35:36]
	v_ashrrev_i32_e32 v3, 31, v36
	v_not_b32_e32 v3, v3
	v_cndmask_b32_e64 v37, 0x7fffffff, 0, vcc_lo
	v_xor_b32_e32 v38, v37, v36
	v_xor_b32_e32 v37, v3, v35
	v_cmp_ne_u64_e32 vcc_lo, s[56:57], v[37:38]
	v_cndmask_b32_e32 v38, 0x7fffffff, v38, vcc_lo
	v_cndmask_b32_e32 v37, -1, v37, vcc_lo
	v_lshrrev_b64 v[37:38], s52, v[37:38]
	v_and_b32_e32 v3, s64, v37
	v_lshl_or_b32 v3, v3, 4, v91
	ds_add_u32 v3, v119
	s_or_b32 exec_lo, exec_lo, s14
	s_mov_b32 s14, exec_lo
	v_cmpx_gt_u32_e64 s15, v74
	s_cbranch_execz .LBB1119_629
.LBB1119_644:                           ;   in Loop: Header=BB1119_606 Depth=2
	v_cmp_gt_i64_e32 vcc_lo, 0, v[33:34]
	v_ashrrev_i32_e32 v3, 31, v34
	v_not_b32_e32 v3, v3
	v_cndmask_b32_e64 v37, 0x7fffffff, 0, vcc_lo
	v_xor_b32_e32 v38, v37, v34
	v_xor_b32_e32 v37, v3, v33
	v_cmp_ne_u64_e32 vcc_lo, s[56:57], v[37:38]
	v_cndmask_b32_e32 v38, 0x7fffffff, v38, vcc_lo
	v_cndmask_b32_e32 v37, -1, v37, vcc_lo
	v_lshrrev_b64 v[37:38], s52, v[37:38]
	v_and_b32_e32 v3, s64, v37
	v_lshl_or_b32 v3, v3, 4, v91
	ds_add_u32 v3, v119
	s_or_b32 exec_lo, exec_lo, s14
	s_mov_b32 s14, exec_lo
	v_cmpx_gt_u32_e64 s15, v77
	s_cbranch_execz .LBB1119_630
.LBB1119_645:                           ;   in Loop: Header=BB1119_606 Depth=2
	v_cmp_gt_i64_e32 vcc_lo, 0, v[31:32]
	v_ashrrev_i32_e32 v3, 31, v32
	v_not_b32_e32 v3, v3
	v_cndmask_b32_e64 v37, 0x7fffffff, 0, vcc_lo
	v_xor_b32_e32 v38, v37, v32
	v_xor_b32_e32 v37, v3, v31
	v_cmp_ne_u64_e32 vcc_lo, s[56:57], v[37:38]
	v_cndmask_b32_e32 v38, 0x7fffffff, v38, vcc_lo
	v_cndmask_b32_e32 v37, -1, v37, vcc_lo
	v_lshrrev_b64 v[37:38], s52, v[37:38]
	v_and_b32_e32 v3, s64, v37
	v_lshl_or_b32 v3, v3, 4, v91
	ds_add_u32 v3, v119
	s_or_b32 exec_lo, exec_lo, s14
	s_mov_b32 s14, exec_lo
	v_cmpx_gt_u32_e64 s15, v78
	s_cbranch_execz .LBB1119_631
.LBB1119_646:                           ;   in Loop: Header=BB1119_606 Depth=2
	v_cmp_gt_i64_e32 vcc_lo, 0, v[29:30]
	v_ashrrev_i32_e32 v3, 31, v30
	v_not_b32_e32 v3, v3
	v_cndmask_b32_e64 v37, 0x7fffffff, 0, vcc_lo
	v_xor_b32_e32 v38, v37, v30
	v_xor_b32_e32 v37, v3, v29
	v_cmp_ne_u64_e32 vcc_lo, s[56:57], v[37:38]
	v_cndmask_b32_e32 v38, 0x7fffffff, v38, vcc_lo
	v_cndmask_b32_e32 v37, -1, v37, vcc_lo
	v_lshrrev_b64 v[37:38], s52, v[37:38]
	v_and_b32_e32 v3, s64, v37
	v_lshl_or_b32 v3, v3, 4, v91
	ds_add_u32 v3, v119
	s_or_b32 exec_lo, exec_lo, s14
	s_mov_b32 s14, exec_lo
	v_cmpx_gt_u32_e64 s15, v79
	s_cbranch_execz .LBB1119_632
.LBB1119_647:                           ;   in Loop: Header=BB1119_606 Depth=2
	v_cmp_gt_i64_e32 vcc_lo, 0, v[27:28]
	v_ashrrev_i32_e32 v3, 31, v28
	v_not_b32_e32 v3, v3
	v_cndmask_b32_e64 v37, 0x7fffffff, 0, vcc_lo
	v_xor_b32_e32 v38, v37, v28
	v_xor_b32_e32 v37, v3, v27
	v_cmp_ne_u64_e32 vcc_lo, s[56:57], v[37:38]
	v_cndmask_b32_e32 v38, 0x7fffffff, v38, vcc_lo
	v_cndmask_b32_e32 v37, -1, v37, vcc_lo
	v_lshrrev_b64 v[37:38], s52, v[37:38]
	v_and_b32_e32 v3, s64, v37
	v_lshl_or_b32 v3, v3, 4, v91
	ds_add_u32 v3, v119
	s_or_b32 exec_lo, exec_lo, s14
	s_mov_b32 s14, exec_lo
	v_cmpx_gt_u32_e64 s15, v80
	s_cbranch_execz .LBB1119_633
.LBB1119_648:                           ;   in Loop: Header=BB1119_606 Depth=2
	v_cmp_gt_i64_e32 vcc_lo, 0, v[25:26]
	v_ashrrev_i32_e32 v3, 31, v26
	v_not_b32_e32 v3, v3
	v_cndmask_b32_e64 v37, 0x7fffffff, 0, vcc_lo
	v_xor_b32_e32 v38, v37, v26
	v_xor_b32_e32 v37, v3, v25
	v_cmp_ne_u64_e32 vcc_lo, s[56:57], v[37:38]
	v_cndmask_b32_e32 v38, 0x7fffffff, v38, vcc_lo
	v_cndmask_b32_e32 v37, -1, v37, vcc_lo
	v_lshrrev_b64 v[37:38], s52, v[37:38]
	v_and_b32_e32 v3, s64, v37
	v_lshl_or_b32 v3, v3, 4, v91
	ds_add_u32 v3, v119
	s_or_b32 exec_lo, exec_lo, s14
	s_mov_b32 s14, exec_lo
	v_cmpx_gt_u32_e64 s15, v81
	s_cbranch_execz .LBB1119_634
.LBB1119_649:                           ;   in Loop: Header=BB1119_606 Depth=2
	v_cmp_gt_i64_e32 vcc_lo, 0, v[23:24]
	v_ashrrev_i32_e32 v3, 31, v24
	v_not_b32_e32 v3, v3
	v_cndmask_b32_e64 v37, 0x7fffffff, 0, vcc_lo
	v_xor_b32_e32 v38, v37, v24
	v_xor_b32_e32 v37, v3, v23
	v_cmp_ne_u64_e32 vcc_lo, s[56:57], v[37:38]
	v_cndmask_b32_e32 v38, 0x7fffffff, v38, vcc_lo
	v_cndmask_b32_e32 v37, -1, v37, vcc_lo
	v_lshrrev_b64 v[37:38], s52, v[37:38]
	v_and_b32_e32 v3, s64, v37
	v_lshl_or_b32 v3, v3, 4, v91
	ds_add_u32 v3, v119
	s_or_b32 exec_lo, exec_lo, s14
	s_mov_b32 s14, exec_lo
	v_cmpx_gt_u32_e64 s15, v82
	s_cbranch_execz .LBB1119_635
.LBB1119_650:                           ;   in Loop: Header=BB1119_606 Depth=2
	v_cmp_gt_i64_e32 vcc_lo, 0, v[21:22]
	v_ashrrev_i32_e32 v3, 31, v22
	v_not_b32_e32 v3, v3
	v_cndmask_b32_e64 v37, 0x7fffffff, 0, vcc_lo
	v_xor_b32_e32 v38, v37, v22
	v_xor_b32_e32 v37, v3, v21
	v_cmp_ne_u64_e32 vcc_lo, s[56:57], v[37:38]
	v_cndmask_b32_e32 v38, 0x7fffffff, v38, vcc_lo
	v_cndmask_b32_e32 v37, -1, v37, vcc_lo
	v_lshrrev_b64 v[37:38], s52, v[37:38]
	v_and_b32_e32 v3, s64, v37
	v_lshl_or_b32 v3, v3, 4, v91
	ds_add_u32 v3, v119
	s_or_b32 exec_lo, exec_lo, s14
	s_mov_b32 s14, exec_lo
	v_cmpx_gt_u32_e64 s15, v83
	s_cbranch_execz .LBB1119_636
.LBB1119_651:                           ;   in Loop: Header=BB1119_606 Depth=2
	v_cmp_gt_i64_e32 vcc_lo, 0, v[19:20]
	v_ashrrev_i32_e32 v3, 31, v20
	v_not_b32_e32 v3, v3
	v_cndmask_b32_e64 v37, 0x7fffffff, 0, vcc_lo
	v_xor_b32_e32 v38, v37, v20
	v_xor_b32_e32 v37, v3, v19
	v_cmp_ne_u64_e32 vcc_lo, s[56:57], v[37:38]
	v_cndmask_b32_e32 v38, 0x7fffffff, v38, vcc_lo
	v_cndmask_b32_e32 v37, -1, v37, vcc_lo
	v_lshrrev_b64 v[37:38], s52, v[37:38]
	v_and_b32_e32 v3, s64, v37
	v_lshl_or_b32 v3, v3, 4, v91
	ds_add_u32 v3, v119
	s_or_b32 exec_lo, exec_lo, s14
	s_mov_b32 s14, exec_lo
	v_cmpx_gt_u32_e64 s15, v84
	s_cbranch_execz .LBB1119_637
.LBB1119_652:                           ;   in Loop: Header=BB1119_606 Depth=2
	v_cmp_gt_i64_e32 vcc_lo, 0, v[17:18]
	v_ashrrev_i32_e32 v3, 31, v18
	v_not_b32_e32 v3, v3
	v_cndmask_b32_e64 v37, 0x7fffffff, 0, vcc_lo
	v_xor_b32_e32 v38, v37, v18
	v_xor_b32_e32 v37, v3, v17
	v_cmp_ne_u64_e32 vcc_lo, s[56:57], v[37:38]
	v_cndmask_b32_e32 v38, 0x7fffffff, v38, vcc_lo
	v_cndmask_b32_e32 v37, -1, v37, vcc_lo
	v_lshrrev_b64 v[37:38], s52, v[37:38]
	v_and_b32_e32 v3, s64, v37
	v_lshl_or_b32 v3, v3, 4, v91
	ds_add_u32 v3, v119
	s_or_b32 exec_lo, exec_lo, s14
	s_mov_b32 s14, exec_lo
	v_cmpx_gt_u32_e64 s15, v85
	s_cbranch_execz .LBB1119_638
.LBB1119_653:                           ;   in Loop: Header=BB1119_606 Depth=2
	v_cmp_gt_i64_e32 vcc_lo, 0, v[15:16]
	v_ashrrev_i32_e32 v3, 31, v16
	v_not_b32_e32 v3, v3
	v_cndmask_b32_e64 v37, 0x7fffffff, 0, vcc_lo
	v_xor_b32_e32 v38, v37, v16
	v_xor_b32_e32 v37, v3, v15
	v_cmp_ne_u64_e32 vcc_lo, s[56:57], v[37:38]
	v_cndmask_b32_e32 v38, 0x7fffffff, v38, vcc_lo
	v_cndmask_b32_e32 v37, -1, v37, vcc_lo
	v_lshrrev_b64 v[37:38], s52, v[37:38]
	v_and_b32_e32 v3, s64, v37
	v_lshl_or_b32 v3, v3, 4, v91
	ds_add_u32 v3, v119
	s_or_b32 exec_lo, exec_lo, s14
	s_mov_b32 s14, exec_lo
	v_cmpx_gt_u32_e64 s15, v86
	s_cbranch_execz .LBB1119_639
.LBB1119_654:                           ;   in Loop: Header=BB1119_606 Depth=2
	v_cmp_gt_i64_e32 vcc_lo, 0, v[13:14]
	v_ashrrev_i32_e32 v3, 31, v14
	v_not_b32_e32 v3, v3
	v_cndmask_b32_e64 v37, 0x7fffffff, 0, vcc_lo
	v_xor_b32_e32 v38, v37, v14
	v_xor_b32_e32 v37, v3, v13
	v_cmp_ne_u64_e32 vcc_lo, s[56:57], v[37:38]
	v_cndmask_b32_e32 v38, 0x7fffffff, v38, vcc_lo
	v_cndmask_b32_e32 v37, -1, v37, vcc_lo
	v_lshrrev_b64 v[37:38], s52, v[37:38]
	v_and_b32_e32 v3, s64, v37
	v_lshl_or_b32 v3, v3, 4, v91
	ds_add_u32 v3, v119
	s_or_b32 exec_lo, exec_lo, s14
	s_mov_b32 s14, exec_lo
	v_cmpx_gt_u32_e64 s15, v87
	s_cbranch_execz .LBB1119_640
.LBB1119_655:                           ;   in Loop: Header=BB1119_606 Depth=2
	v_cmp_gt_i64_e32 vcc_lo, 0, v[11:12]
	v_ashrrev_i32_e32 v3, 31, v12
	v_not_b32_e32 v3, v3
	v_cndmask_b32_e64 v37, 0x7fffffff, 0, vcc_lo
	v_xor_b32_e32 v38, v37, v12
	v_xor_b32_e32 v37, v3, v11
	v_cmp_ne_u64_e32 vcc_lo, s[56:57], v[37:38]
	v_cndmask_b32_e32 v38, 0x7fffffff, v38, vcc_lo
	v_cndmask_b32_e32 v37, -1, v37, vcc_lo
	v_lshrrev_b64 v[37:38], s52, v[37:38]
	v_and_b32_e32 v3, s64, v37
	v_lshl_or_b32 v3, v3, 4, v91
	ds_add_u32 v3, v119
	s_or_b32 exec_lo, exec_lo, s14
	s_mov_b32 s14, exec_lo
	v_cmpx_gt_u32_e64 s15, v88
	s_cbranch_execz .LBB1119_641
.LBB1119_656:                           ;   in Loop: Header=BB1119_606 Depth=2
	v_cmp_gt_i64_e32 vcc_lo, 0, v[9:10]
	v_ashrrev_i32_e32 v3, 31, v10
	v_not_b32_e32 v3, v3
	v_cndmask_b32_e64 v37, 0x7fffffff, 0, vcc_lo
	v_xor_b32_e32 v38, v37, v10
	v_xor_b32_e32 v37, v3, v9
	v_cmp_ne_u64_e32 vcc_lo, s[56:57], v[37:38]
	v_cndmask_b32_e32 v38, 0x7fffffff, v38, vcc_lo
	v_cndmask_b32_e32 v37, -1, v37, vcc_lo
	v_lshrrev_b64 v[37:38], s52, v[37:38]
	v_and_b32_e32 v3, s64, v37
	v_lshl_or_b32 v3, v3, 4, v91
	ds_add_u32 v3, v119
	s_or_b32 exec_lo, exec_lo, s14
	s_mov_b32 s14, exec_lo
	v_cmpx_gt_u32_e64 s15, v89
	s_cbranch_execz .LBB1119_642
.LBB1119_657:                           ;   in Loop: Header=BB1119_606 Depth=2
	v_cmp_gt_i64_e32 vcc_lo, 0, v[7:8]
	v_ashrrev_i32_e32 v3, 31, v8
	v_not_b32_e32 v3, v3
	v_cndmask_b32_e64 v37, 0x7fffffff, 0, vcc_lo
	v_xor_b32_e32 v38, v37, v8
	v_xor_b32_e32 v37, v3, v7
	v_cmp_ne_u64_e32 vcc_lo, s[56:57], v[37:38]
	v_cndmask_b32_e32 v38, 0x7fffffff, v38, vcc_lo
	v_cndmask_b32_e32 v37, -1, v37, vcc_lo
	v_lshrrev_b64 v[37:38], s52, v[37:38]
	v_and_b32_e32 v3, s64, v37
	v_lshl_or_b32 v3, v3, 4, v91
	ds_add_u32 v3, v119
	s_or_b32 exec_lo, exec_lo, s14
	s_mov_b32 s14, exec_lo
	v_cmpx_gt_u32_e64 s15, v90
	s_cbranch_execz .LBB1119_605
.LBB1119_658:                           ;   in Loop: Header=BB1119_606 Depth=2
	v_cmp_gt_i64_e32 vcc_lo, 0, v[5:6]
	v_ashrrev_i32_e32 v3, 31, v6
	v_not_b32_e32 v3, v3
	v_cndmask_b32_e64 v37, 0x7fffffff, 0, vcc_lo
	v_xor_b32_e32 v38, v37, v6
	v_xor_b32_e32 v37, v3, v5
	v_cmp_ne_u64_e32 vcc_lo, s[56:57], v[37:38]
	v_cndmask_b32_e32 v38, 0x7fffffff, v38, vcc_lo
	v_cndmask_b32_e32 v37, -1, v37, vcc_lo
	v_lshrrev_b64 v[37:38], s52, v[37:38]
	v_and_b32_e32 v3, s64, v37
	v_lshl_or_b32 v3, v3, 4, v91
	ds_add_u32 v3, v119
	s_branch .LBB1119_605
.LBB1119_659:                           ;   in Loop: Header=BB1119_606 Depth=2
	global_load_dwordx2 v[35:36], v120, s[14:15]
	s_or_b32 exec_lo, exec_lo, s17
	s_mov_b32 s17, exec_lo
	v_cmpx_gt_u32_e64 s13, v74
	s_cbranch_execz .LBB1119_611
.LBB1119_660:                           ;   in Loop: Header=BB1119_606 Depth=2
	global_load_dwordx2 v[33:34], v121, s[14:15]
	s_or_b32 exec_lo, exec_lo, s17
	s_mov_b32 s17, exec_lo
	v_cmpx_gt_u32_e64 s13, v77
	s_cbranch_execz .LBB1119_612
.LBB1119_661:                           ;   in Loop: Header=BB1119_606 Depth=2
	global_load_dwordx2 v[31:32], v122, s[14:15]
	s_or_b32 exec_lo, exec_lo, s17
	s_mov_b32 s17, exec_lo
	v_cmpx_gt_u32_e64 s13, v78
	s_cbranch_execz .LBB1119_613
.LBB1119_662:                           ;   in Loop: Header=BB1119_606 Depth=2
	global_load_dwordx2 v[29:30], v123, s[14:15]
	s_or_b32 exec_lo, exec_lo, s17
	s_mov_b32 s17, exec_lo
	v_cmpx_gt_u32_e64 s13, v79
	s_cbranch_execz .LBB1119_614
.LBB1119_663:                           ;   in Loop: Header=BB1119_606 Depth=2
	global_load_dwordx2 v[27:28], v124, s[14:15]
	s_or_b32 exec_lo, exec_lo, s17
	s_mov_b32 s17, exec_lo
	v_cmpx_gt_u32_e64 s13, v80
	s_cbranch_execz .LBB1119_615
.LBB1119_664:                           ;   in Loop: Header=BB1119_606 Depth=2
	global_load_dwordx2 v[25:26], v125, s[14:15]
	s_or_b32 exec_lo, exec_lo, s17
	s_mov_b32 s17, exec_lo
	v_cmpx_gt_u32_e64 s13, v81
	s_cbranch_execz .LBB1119_616
.LBB1119_665:                           ;   in Loop: Header=BB1119_606 Depth=2
	v_lshlrev_b32_e32 v3, 3, v81
	global_load_dwordx2 v[23:24], v3, s[14:15]
	s_or_b32 exec_lo, exec_lo, s17
	s_mov_b32 s17, exec_lo
	v_cmpx_gt_u32_e64 s13, v82
	s_cbranch_execz .LBB1119_617
.LBB1119_666:                           ;   in Loop: Header=BB1119_606 Depth=2
	v_lshlrev_b32_e32 v3, 3, v82
	global_load_dwordx2 v[21:22], v3, s[14:15]
	s_or_b32 exec_lo, exec_lo, s17
	s_mov_b32 s17, exec_lo
	v_cmpx_gt_u32_e64 s13, v83
	s_cbranch_execz .LBB1119_618
.LBB1119_667:                           ;   in Loop: Header=BB1119_606 Depth=2
	v_lshlrev_b32_e32 v3, 3, v83
	global_load_dwordx2 v[19:20], v3, s[14:15]
	s_or_b32 exec_lo, exec_lo, s17
	s_mov_b32 s17, exec_lo
	v_cmpx_gt_u32_e64 s13, v84
	s_cbranch_execz .LBB1119_619
.LBB1119_668:                           ;   in Loop: Header=BB1119_606 Depth=2
	v_lshlrev_b32_e32 v3, 3, v84
	global_load_dwordx2 v[17:18], v3, s[14:15]
	s_or_b32 exec_lo, exec_lo, s17
	s_mov_b32 s17, exec_lo
	v_cmpx_gt_u32_e64 s13, v85
	s_cbranch_execz .LBB1119_620
.LBB1119_669:                           ;   in Loop: Header=BB1119_606 Depth=2
	v_lshlrev_b32_e32 v3, 3, v85
	global_load_dwordx2 v[15:16], v3, s[14:15]
	s_or_b32 exec_lo, exec_lo, s17
	s_mov_b32 s17, exec_lo
	v_cmpx_gt_u32_e64 s13, v86
	s_cbranch_execz .LBB1119_621
.LBB1119_670:                           ;   in Loop: Header=BB1119_606 Depth=2
	v_lshlrev_b32_e32 v3, 3, v86
	global_load_dwordx2 v[13:14], v3, s[14:15]
	s_or_b32 exec_lo, exec_lo, s17
	s_mov_b32 s17, exec_lo
	v_cmpx_gt_u32_e64 s13, v87
	s_cbranch_execz .LBB1119_622
.LBB1119_671:                           ;   in Loop: Header=BB1119_606 Depth=2
	v_lshlrev_b32_e32 v3, 3, v87
	global_load_dwordx2 v[11:12], v3, s[14:15]
	s_or_b32 exec_lo, exec_lo, s17
	s_mov_b32 s17, exec_lo
	v_cmpx_gt_u32_e64 s13, v88
	s_cbranch_execz .LBB1119_623
.LBB1119_672:                           ;   in Loop: Header=BB1119_606 Depth=2
	v_lshlrev_b32_e32 v3, 3, v88
	global_load_dwordx2 v[9:10], v3, s[14:15]
	s_or_b32 exec_lo, exec_lo, s17
	s_mov_b32 s17, exec_lo
	v_cmpx_gt_u32_e64 s13, v89
	s_cbranch_execz .LBB1119_624
.LBB1119_673:                           ;   in Loop: Header=BB1119_606 Depth=2
	v_lshlrev_b32_e32 v3, 3, v89
	global_load_dwordx2 v[7:8], v3, s[14:15]
	s_or_b32 exec_lo, exec_lo, s17
	s_mov_b32 s17, exec_lo
	v_cmpx_gt_u32_e64 s13, v90
	s_cbranch_execnz .LBB1119_625
	s_branch .LBB1119_626
.LBB1119_674:                           ;   in Loop: Header=BB1119_12 Depth=1
	v_mov_b32_e32 v3, 0
	s_waitcnt lgkmcnt(0)
	s_barrier
	buffer_gl0_inv
	s_and_saveexec_b32 s13, s7
	s_cbranch_execz .LBB1119_676
; %bb.675:                              ;   in Loop: Header=BB1119_12 Depth=1
	ds_read2_b64 v[5:8], v93 offset1:1
	s_waitcnt lgkmcnt(0)
	v_add_nc_u32_e32 v3, v6, v5
	v_add3_u32 v3, v3, v7, v8
.LBB1119_676:                           ;   in Loop: Header=BB1119_12 Depth=1
	s_or_b32 exec_lo, exec_lo, s13
	v_and_b32_e32 v5, 15, v126
	v_mov_b32_dpp v6, v3 row_shr:1 row_mask:0xf bank_mask:0xf
	v_and_b32_e32 v7, 16, v126
	v_cmp_eq_u32_e64 s13, 0, v5
	v_cmp_lt_u32_e64 s14, 1, v5
	v_cmp_lt_u32_e64 s15, 3, v5
	;; [unrolled: 1-line block ×3, first 2 shown]
	v_cmp_eq_u32_e64 s17, 0, v7
	v_cndmask_b32_e64 v6, v6, 0, s13
	v_add_nc_u32_e32 v3, v6, v3
	v_mov_b32_dpp v6, v3 row_shr:2 row_mask:0xf bank_mask:0xf
	v_cndmask_b32_e64 v6, 0, v6, s14
	v_add_nc_u32_e32 v3, v3, v6
	v_mov_b32_dpp v6, v3 row_shr:4 row_mask:0xf bank_mask:0xf
	;; [unrolled: 3-line block ×3, first 2 shown]
	v_cndmask_b32_e64 v5, 0, v6, s16
	v_bfe_i32 v6, v126, 4, 1
	v_add_nc_u32_e32 v3, v3, v5
	ds_swizzle_b32 v5, v3 offset:swizzle(BROADCAST,32,15)
	s_waitcnt lgkmcnt(0)
	v_and_b32_e32 v5, v6, v5
	v_add_nc_u32_e32 v3, v3, v5
	s_and_saveexec_b32 s18, s8
; %bb.677:                              ;   in Loop: Header=BB1119_12 Depth=1
	ds_write_b32 v94, v3
; %bb.678:                              ;   in Loop: Header=BB1119_12 Depth=1
	s_or_b32 exec_lo, exec_lo, s18
	s_waitcnt lgkmcnt(0)
	s_barrier
	buffer_gl0_inv
	s_and_saveexec_b32 s18, s9
	s_cbranch_execz .LBB1119_680
; %bb.679:                              ;   in Loop: Header=BB1119_12 Depth=1
	ds_read_b32 v5, v95
	v_and_b32_e32 v6, 3, v126
	v_cmp_ne_u32_e32 vcc_lo, 0, v6
	s_waitcnt lgkmcnt(0)
	v_mov_b32_dpp v7, v5 row_shr:1 row_mask:0xf bank_mask:0xf
	v_cndmask_b32_e32 v7, 0, v7, vcc_lo
	v_cmp_lt_u32_e32 vcc_lo, 1, v6
	v_add_nc_u32_e32 v5, v7, v5
	v_mov_b32_dpp v7, v5 row_shr:2 row_mask:0xf bank_mask:0xf
	v_cndmask_b32_e32 v6, 0, v7, vcc_lo
	v_add_nc_u32_e32 v5, v5, v6
	ds_write_b32 v95, v5
.LBB1119_680:                           ;   in Loop: Header=BB1119_12 Depth=1
	s_or_b32 exec_lo, exec_lo, s18
	v_mov_b32_e32 v5, 0
	s_waitcnt lgkmcnt(0)
	s_barrier
	buffer_gl0_inv
	s_and_saveexec_b32 s18, s10
; %bb.681:                              ;   in Loop: Header=BB1119_12 Depth=1
	ds_read_b32 v5, v96
; %bb.682:                              ;   in Loop: Header=BB1119_12 Depth=1
	s_or_b32 exec_lo, exec_lo, s18
	v_sub_co_u32 v6, s18, v126, 1
	s_waitcnt lgkmcnt(0)
	v_add_nc_u32_e32 v3, v5, v3
	s_barrier
	v_cmp_gt_i32_e32 vcc_lo, 0, v6
	buffer_gl0_inv
	v_cndmask_b32_e32 v6, v6, v126, vcc_lo
	v_lshlrev_b32_e32 v127, 2, v6
	ds_bpermute_b32 v3, v127, v3
	s_and_saveexec_b32 s19, s7
	s_cbranch_execz .LBB1119_684
; %bb.683:                              ;   in Loop: Header=BB1119_12 Depth=1
	s_waitcnt lgkmcnt(0)
	v_cndmask_b32_e64 v3, v3, v5, s18
	v_add_nc_u32_e32 v3, s60, v3
	ds_write_b32 v73, v3
.LBB1119_684:                           ;   in Loop: Header=BB1119_12 Depth=1
	s_or_b32 exec_lo, exec_lo, s19
	s_load_dwordx2 s[20:21], s[58:59], 0x0
	v_and_b32_e32 v6, 7, v126
	v_lshlrev_b32_e32 v7, 3, v126
	v_or_b32_e32 v128, v126, v97
	s_mov_b32 s65, s62
	s_mov_b32 s46, s60
                                        ; implicit-def: $vgpr9_vgpr10
                                        ; implicit-def: $vgpr11_vgpr12
                                        ; implicit-def: $vgpr13_vgpr14
                                        ; implicit-def: $vgpr17_vgpr18
                                        ; implicit-def: $vgpr21_vgpr22
                                        ; implicit-def: $vgpr25_vgpr26
                                        ; implicit-def: $vgpr15_vgpr16
                                        ; implicit-def: $vgpr19_vgpr20
                                        ; implicit-def: $vgpr23_vgpr24
                                        ; implicit-def: $vgpr27_vgpr28
                                        ; implicit-def: $vgpr29_vgpr30
                                        ; implicit-def: $vgpr31_vgpr32
                                        ; implicit-def: $vgpr33_vgpr34
                                        ; implicit-def: $vgpr35_vgpr36
                                        ; implicit-def: $vgpr149
                                        ; implicit-def: $vgpr150
                                        ; implicit-def: $vgpr151
                                        ; implicit-def: $vgpr152
                                        ; implicit-def: $vgpr153
                                        ; implicit-def: $vgpr154
                                        ; implicit-def: $vgpr155
                                        ; implicit-def: $vgpr157
                                        ; implicit-def: $vgpr158
                                        ; implicit-def: $vgpr159
                                        ; implicit-def: $vgpr160
                                        ; implicit-def: $vgpr161
                                        ; implicit-def: $vgpr162
                                        ; implicit-def: $vgpr163
                                        ; implicit-def: $vgpr164
                                        ; implicit-def: $vgpr165
                                        ; implicit-def: $vgpr156
                                        ; implicit-def: $vgpr166
	v_add_co_u32 v129, vcc_lo, v115, v7
	v_add_co_ci_u32_e64 v130, null, 0, v116, vcc_lo
	v_add_co_u32 v146, vcc_lo, v117, v7
	v_or_b32_e32 v131, 32, v128
	v_or_b32_e32 v132, 64, v128
	;; [unrolled: 1-line block ×7, first 2 shown]
	s_waitcnt lgkmcnt(0)
	s_cmp_lt_u32 s29, s21
	v_or_b32_e32 v138, 0x100, v128
	s_cselect_b32 s19, 14, 20
	v_or_b32_e32 v139, 0x120, v128
	s_add_u32 s22, s58, s19
	s_addc_u32 s23, s59, 0
	s_cmp_lt_u32 s6, s20
	global_load_ushort v3, v4, s[22:23]
	s_cselect_b32 s19, 12, 18
	v_or_b32_e32 v140, 0x140, v128
	s_add_u32 s20, s58, s19
	s_addc_u32 s21, s59, 0
	v_cmp_eq_u32_e64 s19, 0, v6
	global_load_ushort v5, v4, s[20:21]
	v_cmp_lt_u32_e64 s20, 1, v6
	v_cmp_lt_u32_e64 s21, 3, v6
	v_or_b32_e32 v141, 0x160, v128
	v_or_b32_e32 v142, 0x180, v128
	;; [unrolled: 1-line block ×5, first 2 shown]
	v_add_co_ci_u32_e64 v147, null, 0, v118, vcc_lo
                                        ; implicit-def: $vgpr7_vgpr8
	s_waitcnt vmcnt(1)
	v_mad_u32_u24 v3, v2, v3, v1
	s_waitcnt vmcnt(0)
	v_mad_u64_u32 v[5:6], null, v3, v5, v[0:1]
	v_lshrrev_b32_e32 v3, 3, v5
                                        ; implicit-def: $vgpr5_vgpr6
	v_and_b32_e32 v148, 0x1ffffffc, v3
	s_branch .LBB1119_686
.LBB1119_685:                           ;   in Loop: Header=BB1119_686 Depth=2
	s_or_b32 exec_lo, exec_lo, s22
	s_addk_i32 s65, 0xf000
	s_cmp_lt_u32 s66, s61
	s_mov_b32 s46, s66
	s_cbranch_scc0 .LBB1119_896
.LBB1119_686:                           ;   Parent Loop BB1119_12 Depth=1
                                        ; =>  This Inner Loop Header: Depth=2
	s_add_i32 s66, s46, 0x1000
	s_cmp_gt_u32 s66, s61
	s_cbranch_scc1 .LBB1119_688
; %bb.687:                              ;   in Loop: Header=BB1119_686 Depth=2
	s_mov_b32 s47, s56
	s_lshl_b64 s[22:23], s[46:47], 3
	v_add_co_u32 v43, vcc_lo, v146, s22
	v_add_co_ci_u32_e64 v44, null, s23, v147, vcc_lo
	v_add_co_u32 v45, vcc_lo, 0x800, v43
	v_add_co_ci_u32_e64 v46, null, 0, v44, vcc_lo
	s_clause 0xe
	global_load_dwordx2 v[37:38], v[43:44], off
	global_load_dwordx2 v[39:40], v[43:44], off offset:256
	global_load_dwordx2 v[41:42], v[43:44], off offset:512
	;; [unrolled: 1-line block ×7, first 2 shown]
	global_load_dwordx2 v[67:68], v[45:46], off
	global_load_dwordx2 v[63:64], v[45:46], off offset:256
	global_load_dwordx2 v[59:60], v[45:46], off offset:512
	;; [unrolled: 1-line block ×6, first 2 shown]
	s_mov_b32 s22, -1
	s_movk_i32 s23, 0x1000
	s_cbranch_execz .LBB1119_689
	s_branch .LBB1119_720
.LBB1119_688:                           ;   in Loop: Header=BB1119_686 Depth=2
	s_mov_b32 s22, 0
                                        ; implicit-def: $vgpr37_vgpr38
                                        ; implicit-def: $vgpr39_vgpr40
                                        ; implicit-def: $vgpr41_vgpr42
                                        ; implicit-def: $vgpr49_vgpr50
                                        ; implicit-def: $vgpr53_vgpr54
                                        ; implicit-def: $vgpr57_vgpr58
                                        ; implicit-def: $vgpr61_vgpr62
                                        ; implicit-def: $vgpr65_vgpr66
                                        ; implicit-def: $vgpr67_vgpr68
                                        ; implicit-def: $vgpr63_vgpr64
                                        ; implicit-def: $vgpr59_vgpr60
                                        ; implicit-def: $vgpr55_vgpr56
                                        ; implicit-def: $vgpr51_vgpr52
                                        ; implicit-def: $vgpr47_vgpr48
                                        ; implicit-def: $vgpr43_vgpr44
	s_movk_i32 s23, 0x1000
.LBB1119_689:                           ;   in Loop: Header=BB1119_686 Depth=2
	s_mov_b32 s47, s56
	s_waitcnt vmcnt(13)
	v_mov_b32_e32 v39, -1
	s_lshl_b64 s[22:23], s[46:47], 3
	v_mov_b32_e32 v37, -1
	v_add_co_u32 v45, vcc_lo, v146, s22
	v_add_co_ci_u32_e64 v46, null, s23, v147, vcc_lo
	v_mov_b32_e32 v40, -1
	v_mov_b32_e32 v38, -1
	s_mov_b32 s22, exec_lo
	v_cmpx_gt_u32_e64 s65, v128
	s_cbranch_execz .LBB1119_691
; %bb.690:                              ;   in Loop: Header=BB1119_686 Depth=2
	global_load_dwordx2 v[37:38], v[45:46], off
.LBB1119_691:                           ;   in Loop: Header=BB1119_686 Depth=2
	s_or_b32 exec_lo, exec_lo, s22
	s_mov_b32 s22, exec_lo
	v_cmpx_gt_u32_e64 s65, v131
	s_cbranch_execz .LBB1119_693
; %bb.692:                              ;   in Loop: Header=BB1119_686 Depth=2
	global_load_dwordx2 v[39:40], v[45:46], off offset:256
.LBB1119_693:                           ;   in Loop: Header=BB1119_686 Depth=2
	s_or_b32 exec_lo, exec_lo, s22
	s_waitcnt vmcnt(11)
	v_mov_b32_e32 v49, -1
	v_mov_b32_e32 v41, -1
	v_mov_b32_e32 v50, -1
	v_mov_b32_e32 v42, -1
	s_mov_b32 s22, exec_lo
	v_cmpx_gt_u32_e64 s65, v132
	s_cbranch_execz .LBB1119_695
; %bb.694:                              ;   in Loop: Header=BB1119_686 Depth=2
	global_load_dwordx2 v[41:42], v[45:46], off offset:512
.LBB1119_695:                           ;   in Loop: Header=BB1119_686 Depth=2
	s_or_b32 exec_lo, exec_lo, s22
	s_mov_b32 s22, exec_lo
	v_cmpx_gt_u32_e64 s65, v133
	s_cbranch_execz .LBB1119_697
; %bb.696:                              ;   in Loop: Header=BB1119_686 Depth=2
	global_load_dwordx2 v[49:50], v[45:46], off offset:768
.LBB1119_697:                           ;   in Loop: Header=BB1119_686 Depth=2
	s_or_b32 exec_lo, exec_lo, s22
	s_waitcnt vmcnt(9)
	v_mov_b32_e32 v57, -1
	v_mov_b32_e32 v53, -1
	v_mov_b32_e32 v58, -1
	v_mov_b32_e32 v54, -1
	s_mov_b32 s22, exec_lo
	v_cmpx_gt_u32_e64 s65, v134
	s_cbranch_execz .LBB1119_699
; %bb.698:                              ;   in Loop: Header=BB1119_686 Depth=2
	global_load_dwordx2 v[53:54], v[45:46], off offset:1024
.LBB1119_699:                           ;   in Loop: Header=BB1119_686 Depth=2
	s_or_b32 exec_lo, exec_lo, s22
	s_mov_b32 s22, exec_lo
	v_cmpx_gt_u32_e64 s65, v135
	s_cbranch_execz .LBB1119_701
; %bb.700:                              ;   in Loop: Header=BB1119_686 Depth=2
	global_load_dwordx2 v[57:58], v[45:46], off offset:1280
.LBB1119_701:                           ;   in Loop: Header=BB1119_686 Depth=2
	s_or_b32 exec_lo, exec_lo, s22
	s_waitcnt vmcnt(7)
	v_mov_b32_e32 v65, -1
	v_mov_b32_e32 v61, -1
	v_mov_b32_e32 v66, -1
	v_mov_b32_e32 v62, -1
	s_mov_b32 s22, exec_lo
	v_cmpx_gt_u32_e64 s65, v136
	s_cbranch_execz .LBB1119_703
; %bb.702:                              ;   in Loop: Header=BB1119_686 Depth=2
	global_load_dwordx2 v[61:62], v[45:46], off offset:1536
.LBB1119_703:                           ;   in Loop: Header=BB1119_686 Depth=2
	s_or_b32 exec_lo, exec_lo, s22
	s_mov_b32 s22, exec_lo
	v_cmpx_gt_u32_e64 s65, v137
	s_cbranch_execz .LBB1119_705
; %bb.704:                              ;   in Loop: Header=BB1119_686 Depth=2
	global_load_dwordx2 v[65:66], v[45:46], off offset:1792
.LBB1119_705:                           ;   in Loop: Header=BB1119_686 Depth=2
	s_or_b32 exec_lo, exec_lo, s22
	s_waitcnt vmcnt(5)
	v_mov_b32_e32 v63, -1
	v_mov_b32_e32 v67, -1
	;; [unrolled: 1-line block ×4, first 2 shown]
	s_mov_b32 s22, exec_lo
	v_cmpx_gt_u32_e64 s65, v138
	s_cbranch_execz .LBB1119_707
; %bb.706:                              ;   in Loop: Header=BB1119_686 Depth=2
	s_waitcnt vmcnt(0)
	v_add_co_u32 v43, vcc_lo, 0x800, v45
	v_add_co_ci_u32_e64 v44, null, 0, v46, vcc_lo
	global_load_dwordx2 v[67:68], v[43:44], off
.LBB1119_707:                           ;   in Loop: Header=BB1119_686 Depth=2
	s_or_b32 exec_lo, exec_lo, s22
	s_mov_b32 s22, exec_lo
	v_cmpx_gt_u32_e64 s65, v139
	s_cbranch_execz .LBB1119_709
; %bb.708:                              ;   in Loop: Header=BB1119_686 Depth=2
	s_waitcnt vmcnt(0)
	v_add_co_u32 v43, vcc_lo, 0x800, v45
	v_add_co_ci_u32_e64 v44, null, 0, v46, vcc_lo
	global_load_dwordx2 v[63:64], v[43:44], off offset:256
.LBB1119_709:                           ;   in Loop: Header=BB1119_686 Depth=2
	s_or_b32 exec_lo, exec_lo, s22
	s_waitcnt vmcnt(3)
	v_mov_b32_e32 v55, -1
	v_mov_b32_e32 v59, -1
	;; [unrolled: 1-line block ×4, first 2 shown]
	s_mov_b32 s22, exec_lo
	v_cmpx_gt_u32_e64 s65, v140
	s_cbranch_execz .LBB1119_711
; %bb.710:                              ;   in Loop: Header=BB1119_686 Depth=2
	s_waitcnt vmcnt(0)
	v_add_co_u32 v43, vcc_lo, 0x800, v45
	v_add_co_ci_u32_e64 v44, null, 0, v46, vcc_lo
	global_load_dwordx2 v[59:60], v[43:44], off offset:512
.LBB1119_711:                           ;   in Loop: Header=BB1119_686 Depth=2
	s_or_b32 exec_lo, exec_lo, s22
	s_mov_b32 s22, exec_lo
	v_cmpx_gt_u32_e64 s65, v141
	s_cbranch_execz .LBB1119_713
; %bb.712:                              ;   in Loop: Header=BB1119_686 Depth=2
	s_waitcnt vmcnt(0)
	v_add_co_u32 v43, vcc_lo, 0x800, v45
	v_add_co_ci_u32_e64 v44, null, 0, v46, vcc_lo
	global_load_dwordx2 v[55:56], v[43:44], off offset:768
.LBB1119_713:                           ;   in Loop: Header=BB1119_686 Depth=2
	s_or_b32 exec_lo, exec_lo, s22
	s_waitcnt vmcnt(1)
	v_mov_b32_e32 v47, -1
	v_mov_b32_e32 v51, -1
	;; [unrolled: 1-line block ×4, first 2 shown]
	s_mov_b32 s22, exec_lo
	v_cmpx_gt_u32_e64 s65, v142
	s_cbranch_execz .LBB1119_715
; %bb.714:                              ;   in Loop: Header=BB1119_686 Depth=2
	s_waitcnt vmcnt(0)
	v_add_co_u32 v43, vcc_lo, 0x800, v45
	v_add_co_ci_u32_e64 v44, null, 0, v46, vcc_lo
	global_load_dwordx2 v[51:52], v[43:44], off offset:1024
.LBB1119_715:                           ;   in Loop: Header=BB1119_686 Depth=2
	s_or_b32 exec_lo, exec_lo, s22
	s_mov_b32 s22, exec_lo
	v_cmpx_gt_u32_e64 s65, v143
	s_cbranch_execz .LBB1119_717
; %bb.716:                              ;   in Loop: Header=BB1119_686 Depth=2
	s_waitcnt vmcnt(0)
	v_add_co_u32 v43, vcc_lo, 0x800, v45
	v_add_co_ci_u32_e64 v44, null, 0, v46, vcc_lo
	global_load_dwordx2 v[47:48], v[43:44], off offset:1280
.LBB1119_717:                           ;   in Loop: Header=BB1119_686 Depth=2
	s_or_b32 exec_lo, exec_lo, s22
	s_waitcnt vmcnt(0)
	v_mov_b32_e32 v43, -1
	v_mov_b32_e32 v44, -1
	s_mov_b32 s22, exec_lo
	v_cmpx_gt_u32_e64 s65, v144
	s_cbranch_execz .LBB1119_719
; %bb.718:                              ;   in Loop: Header=BB1119_686 Depth=2
	v_add_co_u32 v43, vcc_lo, 0x800, v45
	v_add_co_ci_u32_e64 v44, null, 0, v46, vcc_lo
	global_load_dwordx2 v[43:44], v[43:44], off offset:1536
.LBB1119_719:                           ;   in Loop: Header=BB1119_686 Depth=2
	s_or_b32 exec_lo, exec_lo, s22
	v_cmp_gt_u32_e64 s22, s65, v145
	s_sub_i32 s23, s61, s46
.LBB1119_720:                           ;   in Loop: Header=BB1119_686 Depth=2
	v_mov_b32_e32 v45, -1
	v_mov_b32_e32 v46, -1
	v_mov_b32_e32 v167, s65
	s_and_saveexec_b32 s24, s22
	s_cbranch_execz .LBB1119_722
; %bb.721:                              ;   in Loop: Header=BB1119_686 Depth=2
	s_lshl_b64 s[26:27], s[46:47], 3
	v_mov_b32_e32 v167, s23
	v_add_co_u32 v3, vcc_lo, v146, s26
	v_add_co_ci_u32_e64 v46, null, s27, v147, vcc_lo
	v_add_co_u32 v45, vcc_lo, 0x800, v3
	v_add_co_ci_u32_e64 v46, null, 0, v46, vcc_lo
	global_load_dwordx2 v[45:46], v[45:46], off offset:1792
.LBB1119_722:                           ;   in Loop: Header=BB1119_686 Depth=2
	s_or_b32 exec_lo, exec_lo, s24
	s_waitcnt vmcnt(14)
	v_cmp_gt_i64_e32 vcc_lo, 0, v[37:38]
	v_ashrrev_i32_e32 v3, 31, v38
	ds_write2_b32 v98, v4, v4 offset0:136 offset1:137
	ds_write2_b32 v98, v4, v4 offset0:138 offset1:139
	ds_write_b32 v98, v4 offset:560
	s_waitcnt vmcnt(0) lgkmcnt(0)
	s_barrier
	v_cndmask_b32_e64 v69, 0x7fffffff, 0, vcc_lo
	v_not_b32_e32 v3, v3
	buffer_gl0_inv
	; wave barrier
	v_xor_b32_e32 v38, v69, v38
	v_xor_b32_e32 v37, v3, v37
	v_cmp_ne_u64_e32 vcc_lo, s[56:57], v[37:38]
	v_cndmask_b32_e32 v70, 0x7fffffff, v38, vcc_lo
	v_cndmask_b32_e32 v69, -1, v37, vcc_lo
	v_lshrrev_b64 v[69:70], s52, v[69:70]
	v_and_b32_e32 v70, s64, v69
	v_and_b32_e32 v3, 1, v70
	v_lshlrev_b32_e32 v69, 30, v70
	v_lshlrev_b32_e32 v71, 29, v70
	;; [unrolled: 1-line block ×4, first 2 shown]
	v_add_co_u32 v3, s22, v3, -1
	v_cndmask_b32_e64 v72, 0, 1, s22
	v_not_b32_e32 v171, v69
	v_cmp_gt_i32_e64 s22, 0, v69
	v_not_b32_e32 v69, v71
	v_lshlrev_b32_e32 v170, 26, v70
	v_cmp_ne_u32_e32 vcc_lo, 0, v72
	v_ashrrev_i32_e32 v171, 31, v171
	v_lshlrev_b32_e32 v72, 25, v70
	v_ashrrev_i32_e32 v69, 31, v69
	v_mul_u32_u24_e32 v70, 36, v70
	v_xor_b32_e32 v3, vcc_lo, v3
	v_cmp_gt_i32_e32 vcc_lo, 0, v71
	v_not_b32_e32 v71, v168
	v_xor_b32_e32 v171, s22, v171
	v_cmp_gt_i32_e64 s22, 0, v168
	v_and_b32_e32 v3, exec_lo, v3
	v_not_b32_e32 v168, v169
	v_ashrrev_i32_e32 v71, 31, v71
	v_xor_b32_e32 v69, vcc_lo, v69
	v_cmp_gt_i32_e32 vcc_lo, 0, v169
	v_and_b32_e32 v3, v3, v171
	v_not_b32_e32 v169, v170
	v_ashrrev_i32_e32 v168, 31, v168
	v_xor_b32_e32 v71, s22, v71
	v_cmp_gt_i32_e64 s22, 0, v170
	v_and_b32_e32 v3, v3, v69
	v_not_b32_e32 v69, v72
	v_ashrrev_i32_e32 v169, 31, v169
	v_xor_b32_e32 v168, vcc_lo, v168
	v_cmp_gt_i32_e32 vcc_lo, 0, v72
	v_and_b32_e32 v3, v3, v71
	v_ashrrev_i32_e32 v69, 31, v69
	v_xor_b32_e32 v71, s22, v169
	v_and_b32_e32 v3, v3, v168
	v_xor_b32_e32 v69, vcc_lo, v69
	v_add_nc_u32_e32 v168, v148, v70
	v_and_b32_e32 v3, v3, v71
	v_and_b32_e32 v69, v3, v69
	v_mbcnt_lo_u32_b32 v3, v69, 0
	v_cmp_ne_u32_e64 s22, 0, v69
	v_cmp_eq_u32_e32 vcc_lo, 0, v3
	s_and_b32 s23, s22, vcc_lo
	s_and_saveexec_b32 s22, s23
; %bb.723:                              ;   in Loop: Header=BB1119_686 Depth=2
	v_bcnt_u32_b32 v69, v69, 0
	ds_write_b32 v168, v69 offset:544
; %bb.724:                              ;   in Loop: Header=BB1119_686 Depth=2
	s_or_b32 exec_lo, exec_lo, s22
	v_cmp_gt_i64_e32 vcc_lo, 0, v[39:40]
	v_ashrrev_i32_e32 v69, 31, v40
	; wave barrier
	v_not_b32_e32 v69, v69
	v_cndmask_b32_e64 v70, 0x7fffffff, 0, vcc_lo
	v_xor_b32_e32 v39, v69, v39
	v_xor_b32_e32 v40, v70, v40
	v_cmp_ne_u64_e32 vcc_lo, s[56:57], v[39:40]
	v_cndmask_b32_e32 v70, 0x7fffffff, v40, vcc_lo
	v_cndmask_b32_e32 v69, -1, v39, vcc_lo
	v_lshrrev_b64 v[69:70], s52, v[69:70]
	v_and_b32_e32 v70, s64, v69
	v_and_b32_e32 v69, 1, v70
	v_lshlrev_b32_e32 v71, 30, v70
	v_lshlrev_b32_e32 v72, 29, v70
	;; [unrolled: 1-line block ×4, first 2 shown]
	v_add_co_u32 v69, s22, v69, -1
	v_cndmask_b32_e64 v169, 0, 1, s22
	v_not_b32_e32 v173, v71
	v_cmp_gt_i32_e64 s22, 0, v71
	v_not_b32_e32 v71, v72
	v_lshlrev_b32_e32 v172, 26, v70
	v_cmp_ne_u32_e32 vcc_lo, 0, v169
	v_ashrrev_i32_e32 v173, 31, v173
	v_lshlrev_b32_e32 v169, 25, v70
	v_ashrrev_i32_e32 v71, 31, v71
	v_xor_b32_e32 v69, vcc_lo, v69
	v_cmp_gt_i32_e32 vcc_lo, 0, v72
	v_not_b32_e32 v72, v170
	v_xor_b32_e32 v173, s22, v173
	v_cmp_gt_i32_e64 s22, 0, v170
	v_and_b32_e32 v69, exec_lo, v69
	v_not_b32_e32 v170, v171
	v_ashrrev_i32_e32 v72, 31, v72
	v_xor_b32_e32 v71, vcc_lo, v71
	v_cmp_gt_i32_e32 vcc_lo, 0, v171
	v_and_b32_e32 v69, v69, v173
	v_not_b32_e32 v171, v172
	v_ashrrev_i32_e32 v170, 31, v170
	v_xor_b32_e32 v72, s22, v72
	v_cmp_gt_i32_e64 s22, 0, v172
	v_and_b32_e32 v69, v69, v71
	v_not_b32_e32 v71, v169
	v_ashrrev_i32_e32 v171, 31, v171
	v_xor_b32_e32 v170, vcc_lo, v170
	v_cmp_gt_i32_e32 vcc_lo, 0, v169
	v_and_b32_e32 v69, v69, v72
	v_ashrrev_i32_e32 v71, 31, v71
	v_xor_b32_e32 v72, s22, v171
	v_mad_u32_u24 v169, v70, 36, v148
	v_mul_u32_u24_e32 v70, 36, v70
	v_and_b32_e32 v69, v69, v170
	v_xor_b32_e32 v71, vcc_lo, v71
	ds_read_b32 v169, v169 offset:544
	v_add_nc_u32_e32 v171, v148, v70
	v_and_b32_e32 v69, v69, v72
	; wave barrier
	v_and_b32_e32 v69, v69, v71
	v_mbcnt_lo_u32_b32 v170, v69, 0
	v_cmp_ne_u32_e64 s22, 0, v69
	v_cmp_eq_u32_e32 vcc_lo, 0, v170
	s_and_b32 s23, s22, vcc_lo
	s_and_saveexec_b32 s22, s23
	s_cbranch_execz .LBB1119_726
; %bb.725:                              ;   in Loop: Header=BB1119_686 Depth=2
	s_waitcnt lgkmcnt(0)
	v_bcnt_u32_b32 v69, v69, v169
	ds_write_b32 v171, v69 offset:544
.LBB1119_726:                           ;   in Loop: Header=BB1119_686 Depth=2
	s_or_b32 exec_lo, exec_lo, s22
	v_cmp_gt_i64_e32 vcc_lo, 0, v[41:42]
	v_ashrrev_i32_e32 v69, 31, v42
	; wave barrier
	v_not_b32_e32 v69, v69
	v_cndmask_b32_e64 v70, 0x7fffffff, 0, vcc_lo
	v_xor_b32_e32 v41, v69, v41
	v_xor_b32_e32 v42, v70, v42
	v_cmp_ne_u64_e32 vcc_lo, s[56:57], v[41:42]
	v_cndmask_b32_e32 v70, 0x7fffffff, v42, vcc_lo
	v_cndmask_b32_e32 v69, -1, v41, vcc_lo
	v_lshrrev_b64 v[69:70], s52, v[69:70]
	v_and_b32_e32 v70, s64, v69
	v_and_b32_e32 v69, 1, v70
	v_lshlrev_b32_e32 v71, 30, v70
	v_lshlrev_b32_e32 v72, 29, v70
	;; [unrolled: 1-line block ×4, first 2 shown]
	v_add_co_u32 v69, s22, v69, -1
	v_cndmask_b32_e64 v172, 0, 1, s22
	v_not_b32_e32 v176, v71
	v_cmp_gt_i32_e64 s22, 0, v71
	v_not_b32_e32 v71, v72
	v_lshlrev_b32_e32 v175, 26, v70
	v_cmp_ne_u32_e32 vcc_lo, 0, v172
	v_ashrrev_i32_e32 v176, 31, v176
	v_lshlrev_b32_e32 v172, 25, v70
	v_ashrrev_i32_e32 v71, 31, v71
	v_xor_b32_e32 v69, vcc_lo, v69
	v_cmp_gt_i32_e32 vcc_lo, 0, v72
	v_not_b32_e32 v72, v173
	v_xor_b32_e32 v176, s22, v176
	v_cmp_gt_i32_e64 s22, 0, v173
	v_and_b32_e32 v69, exec_lo, v69
	v_not_b32_e32 v173, v174
	v_ashrrev_i32_e32 v72, 31, v72
	v_xor_b32_e32 v71, vcc_lo, v71
	v_cmp_gt_i32_e32 vcc_lo, 0, v174
	v_and_b32_e32 v69, v69, v176
	v_not_b32_e32 v174, v175
	v_ashrrev_i32_e32 v173, 31, v173
	v_xor_b32_e32 v72, s22, v72
	v_cmp_gt_i32_e64 s22, 0, v175
	v_and_b32_e32 v69, v69, v71
	v_not_b32_e32 v71, v172
	v_ashrrev_i32_e32 v174, 31, v174
	v_xor_b32_e32 v173, vcc_lo, v173
	v_cmp_gt_i32_e32 vcc_lo, 0, v172
	v_and_b32_e32 v69, v69, v72
	v_ashrrev_i32_e32 v71, 31, v71
	v_xor_b32_e32 v72, s22, v174
	v_mad_u32_u24 v172, v70, 36, v148
	v_mul_u32_u24_e32 v70, 36, v70
	v_and_b32_e32 v69, v69, v173
	v_xor_b32_e32 v71, vcc_lo, v71
	ds_read_b32 v172, v172 offset:544
	v_add_nc_u32_e32 v174, v148, v70
	v_and_b32_e32 v69, v69, v72
	; wave barrier
	v_and_b32_e32 v69, v69, v71
	v_mbcnt_lo_u32_b32 v173, v69, 0
	v_cmp_ne_u32_e64 s22, 0, v69
	v_cmp_eq_u32_e32 vcc_lo, 0, v173
	s_and_b32 s23, s22, vcc_lo
	s_and_saveexec_b32 s22, s23
	s_cbranch_execz .LBB1119_728
; %bb.727:                              ;   in Loop: Header=BB1119_686 Depth=2
	s_waitcnt lgkmcnt(0)
	v_bcnt_u32_b32 v69, v69, v172
	ds_write_b32 v174, v69 offset:544
.LBB1119_728:                           ;   in Loop: Header=BB1119_686 Depth=2
	s_or_b32 exec_lo, exec_lo, s22
	v_cmp_gt_i64_e32 vcc_lo, 0, v[49:50]
	v_ashrrev_i32_e32 v69, 31, v50
	; wave barrier
	v_not_b32_e32 v69, v69
	v_cndmask_b32_e64 v70, 0x7fffffff, 0, vcc_lo
	v_xor_b32_e32 v49, v69, v49
	v_xor_b32_e32 v50, v70, v50
	v_cmp_ne_u64_e32 vcc_lo, s[56:57], v[49:50]
	v_cndmask_b32_e32 v70, 0x7fffffff, v50, vcc_lo
	v_cndmask_b32_e32 v69, -1, v49, vcc_lo
	v_lshrrev_b64 v[69:70], s52, v[69:70]
	v_and_b32_e32 v70, s64, v69
	v_and_b32_e32 v69, 1, v70
	v_lshlrev_b32_e32 v71, 30, v70
	v_lshlrev_b32_e32 v72, 29, v70
	;; [unrolled: 1-line block ×4, first 2 shown]
	v_add_co_u32 v69, s22, v69, -1
	v_cndmask_b32_e64 v175, 0, 1, s22
	v_not_b32_e32 v179, v71
	v_cmp_gt_i32_e64 s22, 0, v71
	v_not_b32_e32 v71, v72
	v_lshlrev_b32_e32 v178, 26, v70
	v_cmp_ne_u32_e32 vcc_lo, 0, v175
	v_ashrrev_i32_e32 v179, 31, v179
	v_lshlrev_b32_e32 v175, 25, v70
	v_ashrrev_i32_e32 v71, 31, v71
	v_xor_b32_e32 v69, vcc_lo, v69
	v_cmp_gt_i32_e32 vcc_lo, 0, v72
	v_not_b32_e32 v72, v176
	v_xor_b32_e32 v179, s22, v179
	v_cmp_gt_i32_e64 s22, 0, v176
	v_and_b32_e32 v69, exec_lo, v69
	v_not_b32_e32 v176, v177
	v_ashrrev_i32_e32 v72, 31, v72
	v_xor_b32_e32 v71, vcc_lo, v71
	v_cmp_gt_i32_e32 vcc_lo, 0, v177
	v_and_b32_e32 v69, v69, v179
	v_not_b32_e32 v177, v178
	v_ashrrev_i32_e32 v176, 31, v176
	v_xor_b32_e32 v72, s22, v72
	v_cmp_gt_i32_e64 s22, 0, v178
	v_and_b32_e32 v69, v69, v71
	v_not_b32_e32 v71, v175
	v_ashrrev_i32_e32 v177, 31, v177
	v_xor_b32_e32 v176, vcc_lo, v176
	v_cmp_gt_i32_e32 vcc_lo, 0, v175
	v_and_b32_e32 v69, v69, v72
	v_ashrrev_i32_e32 v71, 31, v71
	v_xor_b32_e32 v72, s22, v177
	v_mad_u32_u24 v175, v70, 36, v148
	v_mul_u32_u24_e32 v70, 36, v70
	v_and_b32_e32 v69, v69, v176
	v_xor_b32_e32 v71, vcc_lo, v71
	ds_read_b32 v175, v175 offset:544
	v_add_nc_u32_e32 v177, v148, v70
	v_and_b32_e32 v69, v69, v72
	; wave barrier
	v_and_b32_e32 v69, v69, v71
	v_mbcnt_lo_u32_b32 v176, v69, 0
	v_cmp_ne_u32_e64 s22, 0, v69
	v_cmp_eq_u32_e32 vcc_lo, 0, v176
	s_and_b32 s23, s22, vcc_lo
	s_and_saveexec_b32 s22, s23
	s_cbranch_execz .LBB1119_730
; %bb.729:                              ;   in Loop: Header=BB1119_686 Depth=2
	s_waitcnt lgkmcnt(0)
	v_bcnt_u32_b32 v69, v69, v175
	ds_write_b32 v177, v69 offset:544
.LBB1119_730:                           ;   in Loop: Header=BB1119_686 Depth=2
	s_or_b32 exec_lo, exec_lo, s22
	v_cmp_gt_i64_e32 vcc_lo, 0, v[53:54]
	v_ashrrev_i32_e32 v69, 31, v54
	; wave barrier
	v_not_b32_e32 v69, v69
	v_cndmask_b32_e64 v70, 0x7fffffff, 0, vcc_lo
	v_xor_b32_e32 v53, v69, v53
	v_xor_b32_e32 v54, v70, v54
	v_cmp_ne_u64_e32 vcc_lo, s[56:57], v[53:54]
	v_cndmask_b32_e32 v70, 0x7fffffff, v54, vcc_lo
	v_cndmask_b32_e32 v69, -1, v53, vcc_lo
	v_lshrrev_b64 v[69:70], s52, v[69:70]
	v_and_b32_e32 v70, s64, v69
	v_and_b32_e32 v69, 1, v70
	v_lshlrev_b32_e32 v71, 30, v70
	v_lshlrev_b32_e32 v72, 29, v70
	;; [unrolled: 1-line block ×4, first 2 shown]
	v_add_co_u32 v69, s22, v69, -1
	v_cndmask_b32_e64 v178, 0, 1, s22
	v_not_b32_e32 v182, v71
	v_cmp_gt_i32_e64 s22, 0, v71
	v_not_b32_e32 v71, v72
	v_lshlrev_b32_e32 v181, 26, v70
	v_cmp_ne_u32_e32 vcc_lo, 0, v178
	v_ashrrev_i32_e32 v182, 31, v182
	v_lshlrev_b32_e32 v178, 25, v70
	v_ashrrev_i32_e32 v71, 31, v71
	v_xor_b32_e32 v69, vcc_lo, v69
	v_cmp_gt_i32_e32 vcc_lo, 0, v72
	v_not_b32_e32 v72, v179
	v_xor_b32_e32 v182, s22, v182
	v_cmp_gt_i32_e64 s22, 0, v179
	v_and_b32_e32 v69, exec_lo, v69
	v_not_b32_e32 v179, v180
	v_ashrrev_i32_e32 v72, 31, v72
	v_xor_b32_e32 v71, vcc_lo, v71
	v_cmp_gt_i32_e32 vcc_lo, 0, v180
	v_and_b32_e32 v69, v69, v182
	v_not_b32_e32 v180, v181
	v_ashrrev_i32_e32 v179, 31, v179
	v_xor_b32_e32 v72, s22, v72
	v_cmp_gt_i32_e64 s22, 0, v181
	v_and_b32_e32 v69, v69, v71
	v_not_b32_e32 v71, v178
	v_ashrrev_i32_e32 v180, 31, v180
	v_xor_b32_e32 v179, vcc_lo, v179
	v_cmp_gt_i32_e32 vcc_lo, 0, v178
	v_and_b32_e32 v69, v69, v72
	v_ashrrev_i32_e32 v71, 31, v71
	v_xor_b32_e32 v72, s22, v180
	v_mad_u32_u24 v178, v70, 36, v148
	v_mul_u32_u24_e32 v70, 36, v70
	v_and_b32_e32 v69, v69, v179
	v_xor_b32_e32 v71, vcc_lo, v71
	ds_read_b32 v178, v178 offset:544
	v_add_nc_u32_e32 v180, v148, v70
	v_and_b32_e32 v69, v69, v72
	; wave barrier
	v_and_b32_e32 v69, v69, v71
	v_mbcnt_lo_u32_b32 v179, v69, 0
	v_cmp_ne_u32_e64 s22, 0, v69
	v_cmp_eq_u32_e32 vcc_lo, 0, v179
	s_and_b32 s23, s22, vcc_lo
	s_and_saveexec_b32 s22, s23
	s_cbranch_execz .LBB1119_732
; %bb.731:                              ;   in Loop: Header=BB1119_686 Depth=2
	s_waitcnt lgkmcnt(0)
	v_bcnt_u32_b32 v69, v69, v178
	ds_write_b32 v180, v69 offset:544
.LBB1119_732:                           ;   in Loop: Header=BB1119_686 Depth=2
	s_or_b32 exec_lo, exec_lo, s22
	v_cmp_gt_i64_e32 vcc_lo, 0, v[57:58]
	v_ashrrev_i32_e32 v69, 31, v58
	; wave barrier
	v_not_b32_e32 v69, v69
	v_cndmask_b32_e64 v70, 0x7fffffff, 0, vcc_lo
	v_xor_b32_e32 v57, v69, v57
	v_xor_b32_e32 v58, v70, v58
	v_cmp_ne_u64_e32 vcc_lo, s[56:57], v[57:58]
	v_cndmask_b32_e32 v70, 0x7fffffff, v58, vcc_lo
	v_cndmask_b32_e32 v69, -1, v57, vcc_lo
	v_lshrrev_b64 v[69:70], s52, v[69:70]
	v_and_b32_e32 v70, s64, v69
	v_and_b32_e32 v69, 1, v70
	v_lshlrev_b32_e32 v71, 30, v70
	v_lshlrev_b32_e32 v72, 29, v70
	v_lshlrev_b32_e32 v182, 28, v70
	v_lshlrev_b32_e32 v183, 27, v70
	v_add_co_u32 v69, s22, v69, -1
	v_cndmask_b32_e64 v181, 0, 1, s22
	v_not_b32_e32 v185, v71
	v_cmp_gt_i32_e64 s22, 0, v71
	v_not_b32_e32 v71, v72
	v_lshlrev_b32_e32 v184, 26, v70
	v_cmp_ne_u32_e32 vcc_lo, 0, v181
	v_ashrrev_i32_e32 v185, 31, v185
	v_lshlrev_b32_e32 v181, 25, v70
	v_ashrrev_i32_e32 v71, 31, v71
	v_xor_b32_e32 v69, vcc_lo, v69
	v_cmp_gt_i32_e32 vcc_lo, 0, v72
	v_not_b32_e32 v72, v182
	v_xor_b32_e32 v185, s22, v185
	v_cmp_gt_i32_e64 s22, 0, v182
	v_and_b32_e32 v69, exec_lo, v69
	v_not_b32_e32 v182, v183
	v_ashrrev_i32_e32 v72, 31, v72
	v_xor_b32_e32 v71, vcc_lo, v71
	v_cmp_gt_i32_e32 vcc_lo, 0, v183
	v_and_b32_e32 v69, v69, v185
	v_not_b32_e32 v183, v184
	v_ashrrev_i32_e32 v182, 31, v182
	v_xor_b32_e32 v72, s22, v72
	v_cmp_gt_i32_e64 s22, 0, v184
	v_and_b32_e32 v69, v69, v71
	v_not_b32_e32 v71, v181
	v_ashrrev_i32_e32 v183, 31, v183
	v_xor_b32_e32 v182, vcc_lo, v182
	v_cmp_gt_i32_e32 vcc_lo, 0, v181
	v_and_b32_e32 v69, v69, v72
	v_ashrrev_i32_e32 v71, 31, v71
	v_xor_b32_e32 v72, s22, v183
	v_mad_u32_u24 v181, v70, 36, v148
	v_mul_u32_u24_e32 v70, 36, v70
	v_and_b32_e32 v69, v69, v182
	v_xor_b32_e32 v71, vcc_lo, v71
	ds_read_b32 v181, v181 offset:544
	v_add_nc_u32_e32 v183, v148, v70
	v_and_b32_e32 v69, v69, v72
	; wave barrier
	v_and_b32_e32 v69, v69, v71
	v_mbcnt_lo_u32_b32 v182, v69, 0
	v_cmp_ne_u32_e64 s22, 0, v69
	v_cmp_eq_u32_e32 vcc_lo, 0, v182
	s_and_b32 s23, s22, vcc_lo
	s_and_saveexec_b32 s22, s23
	s_cbranch_execz .LBB1119_734
; %bb.733:                              ;   in Loop: Header=BB1119_686 Depth=2
	s_waitcnt lgkmcnt(0)
	v_bcnt_u32_b32 v69, v69, v181
	ds_write_b32 v183, v69 offset:544
.LBB1119_734:                           ;   in Loop: Header=BB1119_686 Depth=2
	s_or_b32 exec_lo, exec_lo, s22
	v_cmp_gt_i64_e32 vcc_lo, 0, v[61:62]
	v_ashrrev_i32_e32 v69, 31, v62
	; wave barrier
	v_not_b32_e32 v69, v69
	v_cndmask_b32_e64 v70, 0x7fffffff, 0, vcc_lo
	v_xor_b32_e32 v61, v69, v61
	v_xor_b32_e32 v62, v70, v62
	v_cmp_ne_u64_e32 vcc_lo, s[56:57], v[61:62]
	v_cndmask_b32_e32 v70, 0x7fffffff, v62, vcc_lo
	v_cndmask_b32_e32 v69, -1, v61, vcc_lo
	v_lshrrev_b64 v[69:70], s52, v[69:70]
	v_and_b32_e32 v70, s64, v69
	v_and_b32_e32 v69, 1, v70
	v_lshlrev_b32_e32 v71, 30, v70
	v_lshlrev_b32_e32 v72, 29, v70
	;; [unrolled: 1-line block ×4, first 2 shown]
	v_add_co_u32 v69, s22, v69, -1
	v_cndmask_b32_e64 v184, 0, 1, s22
	v_not_b32_e32 v188, v71
	v_cmp_gt_i32_e64 s22, 0, v71
	v_not_b32_e32 v71, v72
	v_lshlrev_b32_e32 v187, 26, v70
	v_cmp_ne_u32_e32 vcc_lo, 0, v184
	v_ashrrev_i32_e32 v188, 31, v188
	v_lshlrev_b32_e32 v184, 25, v70
	v_ashrrev_i32_e32 v71, 31, v71
	v_xor_b32_e32 v69, vcc_lo, v69
	v_cmp_gt_i32_e32 vcc_lo, 0, v72
	v_not_b32_e32 v72, v185
	v_xor_b32_e32 v188, s22, v188
	v_cmp_gt_i32_e64 s22, 0, v185
	v_and_b32_e32 v69, exec_lo, v69
	v_not_b32_e32 v185, v186
	v_ashrrev_i32_e32 v72, 31, v72
	v_xor_b32_e32 v71, vcc_lo, v71
	v_cmp_gt_i32_e32 vcc_lo, 0, v186
	v_and_b32_e32 v69, v69, v188
	v_not_b32_e32 v186, v187
	v_ashrrev_i32_e32 v185, 31, v185
	v_xor_b32_e32 v72, s22, v72
	v_cmp_gt_i32_e64 s22, 0, v187
	v_and_b32_e32 v69, v69, v71
	v_not_b32_e32 v71, v184
	v_ashrrev_i32_e32 v186, 31, v186
	v_xor_b32_e32 v185, vcc_lo, v185
	v_cmp_gt_i32_e32 vcc_lo, 0, v184
	v_and_b32_e32 v69, v69, v72
	v_ashrrev_i32_e32 v71, 31, v71
	v_xor_b32_e32 v72, s22, v186
	v_mad_u32_u24 v184, v70, 36, v148
	v_mul_u32_u24_e32 v70, 36, v70
	v_and_b32_e32 v69, v69, v185
	v_xor_b32_e32 v71, vcc_lo, v71
	ds_read_b32 v184, v184 offset:544
	v_add_nc_u32_e32 v186, v148, v70
	v_and_b32_e32 v69, v69, v72
	; wave barrier
	v_and_b32_e32 v69, v69, v71
	v_mbcnt_lo_u32_b32 v185, v69, 0
	v_cmp_ne_u32_e64 s22, 0, v69
	v_cmp_eq_u32_e32 vcc_lo, 0, v185
	s_and_b32 s23, s22, vcc_lo
	s_and_saveexec_b32 s22, s23
	s_cbranch_execz .LBB1119_736
; %bb.735:                              ;   in Loop: Header=BB1119_686 Depth=2
	s_waitcnt lgkmcnt(0)
	v_bcnt_u32_b32 v69, v69, v184
	ds_write_b32 v186, v69 offset:544
.LBB1119_736:                           ;   in Loop: Header=BB1119_686 Depth=2
	s_or_b32 exec_lo, exec_lo, s22
	v_cmp_gt_i64_e32 vcc_lo, 0, v[65:66]
	v_ashrrev_i32_e32 v69, 31, v66
	; wave barrier
	v_not_b32_e32 v69, v69
	v_cndmask_b32_e64 v70, 0x7fffffff, 0, vcc_lo
	v_xor_b32_e32 v65, v69, v65
	v_xor_b32_e32 v66, v70, v66
	v_cmp_ne_u64_e32 vcc_lo, s[56:57], v[65:66]
	v_cndmask_b32_e32 v70, 0x7fffffff, v66, vcc_lo
	v_cndmask_b32_e32 v69, -1, v65, vcc_lo
	v_lshrrev_b64 v[69:70], s52, v[69:70]
	v_and_b32_e32 v70, s64, v69
	v_and_b32_e32 v69, 1, v70
	v_lshlrev_b32_e32 v71, 30, v70
	v_lshlrev_b32_e32 v72, 29, v70
	;; [unrolled: 1-line block ×4, first 2 shown]
	v_add_co_u32 v69, s22, v69, -1
	v_cndmask_b32_e64 v187, 0, 1, s22
	v_not_b32_e32 v191, v71
	v_cmp_gt_i32_e64 s22, 0, v71
	v_not_b32_e32 v71, v72
	v_lshlrev_b32_e32 v190, 26, v70
	v_cmp_ne_u32_e32 vcc_lo, 0, v187
	v_ashrrev_i32_e32 v191, 31, v191
	v_lshlrev_b32_e32 v187, 25, v70
	v_ashrrev_i32_e32 v71, 31, v71
	v_xor_b32_e32 v69, vcc_lo, v69
	v_cmp_gt_i32_e32 vcc_lo, 0, v72
	v_not_b32_e32 v72, v188
	v_xor_b32_e32 v191, s22, v191
	v_cmp_gt_i32_e64 s22, 0, v188
	v_and_b32_e32 v69, exec_lo, v69
	v_not_b32_e32 v188, v189
	v_ashrrev_i32_e32 v72, 31, v72
	v_xor_b32_e32 v71, vcc_lo, v71
	v_cmp_gt_i32_e32 vcc_lo, 0, v189
	v_and_b32_e32 v69, v69, v191
	v_not_b32_e32 v189, v190
	v_ashrrev_i32_e32 v188, 31, v188
	v_xor_b32_e32 v72, s22, v72
	v_cmp_gt_i32_e64 s22, 0, v190
	v_and_b32_e32 v69, v69, v71
	v_not_b32_e32 v71, v187
	v_ashrrev_i32_e32 v189, 31, v189
	v_xor_b32_e32 v188, vcc_lo, v188
	v_cmp_gt_i32_e32 vcc_lo, 0, v187
	v_and_b32_e32 v69, v69, v72
	v_ashrrev_i32_e32 v71, 31, v71
	v_xor_b32_e32 v72, s22, v189
	v_mad_u32_u24 v187, v70, 36, v148
	v_mul_u32_u24_e32 v70, 36, v70
	v_and_b32_e32 v69, v69, v188
	v_xor_b32_e32 v71, vcc_lo, v71
	ds_read_b32 v187, v187 offset:544
	v_add_nc_u32_e32 v189, v148, v70
	v_and_b32_e32 v69, v69, v72
	; wave barrier
	v_and_b32_e32 v69, v69, v71
	v_mbcnt_lo_u32_b32 v188, v69, 0
	v_cmp_ne_u32_e64 s22, 0, v69
	v_cmp_eq_u32_e32 vcc_lo, 0, v188
	s_and_b32 s23, s22, vcc_lo
	s_and_saveexec_b32 s22, s23
	s_cbranch_execz .LBB1119_738
; %bb.737:                              ;   in Loop: Header=BB1119_686 Depth=2
	s_waitcnt lgkmcnt(0)
	v_bcnt_u32_b32 v69, v69, v187
	ds_write_b32 v189, v69 offset:544
.LBB1119_738:                           ;   in Loop: Header=BB1119_686 Depth=2
	s_or_b32 exec_lo, exec_lo, s22
	v_cmp_gt_i64_e32 vcc_lo, 0, v[67:68]
	v_ashrrev_i32_e32 v69, 31, v68
	; wave barrier
	v_not_b32_e32 v69, v69
	v_cndmask_b32_e64 v70, 0x7fffffff, 0, vcc_lo
	v_xor_b32_e32 v67, v69, v67
	v_xor_b32_e32 v68, v70, v68
	v_cmp_ne_u64_e32 vcc_lo, s[56:57], v[67:68]
	v_cndmask_b32_e32 v70, 0x7fffffff, v68, vcc_lo
	v_cndmask_b32_e32 v69, -1, v67, vcc_lo
	v_lshrrev_b64 v[69:70], s52, v[69:70]
	v_and_b32_e32 v70, s64, v69
	v_and_b32_e32 v69, 1, v70
	v_lshlrev_b32_e32 v71, 30, v70
	v_lshlrev_b32_e32 v72, 29, v70
	;; [unrolled: 1-line block ×4, first 2 shown]
	v_add_co_u32 v69, s22, v69, -1
	v_cndmask_b32_e64 v190, 0, 1, s22
	v_not_b32_e32 v194, v71
	v_cmp_gt_i32_e64 s22, 0, v71
	v_not_b32_e32 v71, v72
	v_lshlrev_b32_e32 v193, 26, v70
	v_cmp_ne_u32_e32 vcc_lo, 0, v190
	v_ashrrev_i32_e32 v194, 31, v194
	v_lshlrev_b32_e32 v190, 25, v70
	v_ashrrev_i32_e32 v71, 31, v71
	v_xor_b32_e32 v69, vcc_lo, v69
	v_cmp_gt_i32_e32 vcc_lo, 0, v72
	v_not_b32_e32 v72, v191
	v_xor_b32_e32 v194, s22, v194
	v_cmp_gt_i32_e64 s22, 0, v191
	v_and_b32_e32 v69, exec_lo, v69
	v_not_b32_e32 v191, v192
	v_ashrrev_i32_e32 v72, 31, v72
	v_xor_b32_e32 v71, vcc_lo, v71
	v_cmp_gt_i32_e32 vcc_lo, 0, v192
	v_and_b32_e32 v69, v69, v194
	v_not_b32_e32 v192, v193
	v_ashrrev_i32_e32 v191, 31, v191
	v_xor_b32_e32 v72, s22, v72
	v_cmp_gt_i32_e64 s22, 0, v193
	v_and_b32_e32 v69, v69, v71
	v_not_b32_e32 v71, v190
	v_ashrrev_i32_e32 v192, 31, v192
	v_xor_b32_e32 v191, vcc_lo, v191
	v_cmp_gt_i32_e32 vcc_lo, 0, v190
	v_and_b32_e32 v69, v69, v72
	v_ashrrev_i32_e32 v71, 31, v71
	v_xor_b32_e32 v72, s22, v192
	v_mad_u32_u24 v190, v70, 36, v148
	v_mul_u32_u24_e32 v70, 36, v70
	v_and_b32_e32 v69, v69, v191
	v_xor_b32_e32 v71, vcc_lo, v71
	ds_read_b32 v190, v190 offset:544
	v_add_nc_u32_e32 v192, v148, v70
	v_and_b32_e32 v69, v69, v72
	; wave barrier
	v_and_b32_e32 v69, v69, v71
	v_mbcnt_lo_u32_b32 v191, v69, 0
	v_cmp_ne_u32_e64 s22, 0, v69
	v_cmp_eq_u32_e32 vcc_lo, 0, v191
	s_and_b32 s23, s22, vcc_lo
	s_and_saveexec_b32 s22, s23
	s_cbranch_execz .LBB1119_740
; %bb.739:                              ;   in Loop: Header=BB1119_686 Depth=2
	s_waitcnt lgkmcnt(0)
	v_bcnt_u32_b32 v69, v69, v190
	ds_write_b32 v192, v69 offset:544
.LBB1119_740:                           ;   in Loop: Header=BB1119_686 Depth=2
	s_or_b32 exec_lo, exec_lo, s22
	v_cmp_gt_i64_e32 vcc_lo, 0, v[63:64]
	v_ashrrev_i32_e32 v69, 31, v64
	; wave barrier
	v_not_b32_e32 v69, v69
	v_cndmask_b32_e64 v70, 0x7fffffff, 0, vcc_lo
	v_xor_b32_e32 v63, v69, v63
	v_xor_b32_e32 v64, v70, v64
	v_cmp_ne_u64_e32 vcc_lo, s[56:57], v[63:64]
	v_cndmask_b32_e32 v70, 0x7fffffff, v64, vcc_lo
	v_cndmask_b32_e32 v69, -1, v63, vcc_lo
	v_lshrrev_b64 v[69:70], s52, v[69:70]
	v_and_b32_e32 v70, s64, v69
	v_and_b32_e32 v69, 1, v70
	v_lshlrev_b32_e32 v71, 30, v70
	v_lshlrev_b32_e32 v72, 29, v70
	;; [unrolled: 1-line block ×4, first 2 shown]
	v_add_co_u32 v69, s22, v69, -1
	v_cndmask_b32_e64 v193, 0, 1, s22
	v_not_b32_e32 v197, v71
	v_cmp_gt_i32_e64 s22, 0, v71
	v_not_b32_e32 v71, v72
	v_lshlrev_b32_e32 v196, 26, v70
	v_cmp_ne_u32_e32 vcc_lo, 0, v193
	v_ashrrev_i32_e32 v197, 31, v197
	v_lshlrev_b32_e32 v193, 25, v70
	v_ashrrev_i32_e32 v71, 31, v71
	v_xor_b32_e32 v69, vcc_lo, v69
	v_cmp_gt_i32_e32 vcc_lo, 0, v72
	v_not_b32_e32 v72, v194
	v_xor_b32_e32 v197, s22, v197
	v_cmp_gt_i32_e64 s22, 0, v194
	v_and_b32_e32 v69, exec_lo, v69
	v_not_b32_e32 v194, v195
	v_ashrrev_i32_e32 v72, 31, v72
	v_xor_b32_e32 v71, vcc_lo, v71
	v_cmp_gt_i32_e32 vcc_lo, 0, v195
	v_and_b32_e32 v69, v69, v197
	v_not_b32_e32 v195, v196
	v_ashrrev_i32_e32 v194, 31, v194
	v_xor_b32_e32 v72, s22, v72
	v_cmp_gt_i32_e64 s22, 0, v196
	v_and_b32_e32 v69, v69, v71
	v_not_b32_e32 v71, v193
	v_ashrrev_i32_e32 v195, 31, v195
	v_xor_b32_e32 v194, vcc_lo, v194
	v_cmp_gt_i32_e32 vcc_lo, 0, v193
	v_and_b32_e32 v69, v69, v72
	v_ashrrev_i32_e32 v71, 31, v71
	v_xor_b32_e32 v72, s22, v195
	v_mad_u32_u24 v193, v70, 36, v148
	v_mul_u32_u24_e32 v70, 36, v70
	v_and_b32_e32 v69, v69, v194
	v_xor_b32_e32 v71, vcc_lo, v71
	ds_read_b32 v193, v193 offset:544
	v_add_nc_u32_e32 v195, v148, v70
	v_and_b32_e32 v69, v69, v72
	; wave barrier
	v_and_b32_e32 v69, v69, v71
	v_mbcnt_lo_u32_b32 v194, v69, 0
	v_cmp_ne_u32_e64 s22, 0, v69
	v_cmp_eq_u32_e32 vcc_lo, 0, v194
	s_and_b32 s23, s22, vcc_lo
	s_and_saveexec_b32 s22, s23
	s_cbranch_execz .LBB1119_742
; %bb.741:                              ;   in Loop: Header=BB1119_686 Depth=2
	s_waitcnt lgkmcnt(0)
	v_bcnt_u32_b32 v69, v69, v193
	ds_write_b32 v195, v69 offset:544
.LBB1119_742:                           ;   in Loop: Header=BB1119_686 Depth=2
	s_or_b32 exec_lo, exec_lo, s22
	v_cmp_gt_i64_e32 vcc_lo, 0, v[59:60]
	v_ashrrev_i32_e32 v69, 31, v60
	; wave barrier
	v_not_b32_e32 v69, v69
	v_cndmask_b32_e64 v70, 0x7fffffff, 0, vcc_lo
	v_xor_b32_e32 v59, v69, v59
	v_xor_b32_e32 v60, v70, v60
	v_cmp_ne_u64_e32 vcc_lo, s[56:57], v[59:60]
	v_cndmask_b32_e32 v70, 0x7fffffff, v60, vcc_lo
	v_cndmask_b32_e32 v69, -1, v59, vcc_lo
	v_lshrrev_b64 v[69:70], s52, v[69:70]
	v_and_b32_e32 v70, s64, v69
	v_and_b32_e32 v69, 1, v70
	v_lshlrev_b32_e32 v71, 30, v70
	v_lshlrev_b32_e32 v72, 29, v70
	;; [unrolled: 1-line block ×4, first 2 shown]
	v_add_co_u32 v69, s22, v69, -1
	v_cndmask_b32_e64 v196, 0, 1, s22
	v_not_b32_e32 v200, v71
	v_cmp_gt_i32_e64 s22, 0, v71
	v_not_b32_e32 v71, v72
	v_lshlrev_b32_e32 v199, 26, v70
	v_cmp_ne_u32_e32 vcc_lo, 0, v196
	v_ashrrev_i32_e32 v200, 31, v200
	v_lshlrev_b32_e32 v196, 25, v70
	v_ashrrev_i32_e32 v71, 31, v71
	v_xor_b32_e32 v69, vcc_lo, v69
	v_cmp_gt_i32_e32 vcc_lo, 0, v72
	v_not_b32_e32 v72, v197
	v_xor_b32_e32 v200, s22, v200
	v_cmp_gt_i32_e64 s22, 0, v197
	v_and_b32_e32 v69, exec_lo, v69
	v_not_b32_e32 v197, v198
	v_ashrrev_i32_e32 v72, 31, v72
	v_xor_b32_e32 v71, vcc_lo, v71
	v_cmp_gt_i32_e32 vcc_lo, 0, v198
	v_and_b32_e32 v69, v69, v200
	v_not_b32_e32 v198, v199
	v_ashrrev_i32_e32 v197, 31, v197
	v_xor_b32_e32 v72, s22, v72
	v_cmp_gt_i32_e64 s22, 0, v199
	v_and_b32_e32 v69, v69, v71
	v_not_b32_e32 v71, v196
	v_ashrrev_i32_e32 v198, 31, v198
	v_xor_b32_e32 v197, vcc_lo, v197
	v_cmp_gt_i32_e32 vcc_lo, 0, v196
	v_and_b32_e32 v69, v69, v72
	v_ashrrev_i32_e32 v71, 31, v71
	v_xor_b32_e32 v72, s22, v198
	v_mad_u32_u24 v196, v70, 36, v148
	v_mul_u32_u24_e32 v70, 36, v70
	v_and_b32_e32 v69, v69, v197
	v_xor_b32_e32 v71, vcc_lo, v71
	ds_read_b32 v196, v196 offset:544
	v_add_nc_u32_e32 v200, v148, v70
	v_and_b32_e32 v69, v69, v72
	; wave barrier
	v_and_b32_e32 v69, v69, v71
	v_mbcnt_lo_u32_b32 v197, v69, 0
	v_cmp_ne_u32_e64 s22, 0, v69
	v_cmp_eq_u32_e32 vcc_lo, 0, v197
	s_and_b32 s23, s22, vcc_lo
	s_and_saveexec_b32 s22, s23
	s_cbranch_execz .LBB1119_744
; %bb.743:                              ;   in Loop: Header=BB1119_686 Depth=2
	s_waitcnt lgkmcnt(0)
	v_bcnt_u32_b32 v69, v69, v196
	ds_write_b32 v200, v69 offset:544
.LBB1119_744:                           ;   in Loop: Header=BB1119_686 Depth=2
	s_or_b32 exec_lo, exec_lo, s22
	v_cmp_gt_i64_e32 vcc_lo, 0, v[55:56]
	v_ashrrev_i32_e32 v69, 31, v56
	; wave barrier
	v_not_b32_e32 v69, v69
	v_cndmask_b32_e64 v70, 0x7fffffff, 0, vcc_lo
	v_xor_b32_e32 v55, v69, v55
	v_xor_b32_e32 v56, v70, v56
	v_cmp_ne_u64_e32 vcc_lo, s[56:57], v[55:56]
	v_cndmask_b32_e32 v70, 0x7fffffff, v56, vcc_lo
	v_cndmask_b32_e32 v69, -1, v55, vcc_lo
	v_lshrrev_b64 v[69:70], s52, v[69:70]
	v_and_b32_e32 v70, s64, v69
	v_and_b32_e32 v69, 1, v70
	v_lshlrev_b32_e32 v71, 30, v70
	v_lshlrev_b32_e32 v72, 29, v70
	v_lshlrev_b32_e32 v199, 28, v70
	v_lshlrev_b32_e32 v201, 27, v70
	v_add_co_u32 v69, s22, v69, -1
	v_cndmask_b32_e64 v198, 0, 1, s22
	v_not_b32_e32 v203, v71
	v_cmp_gt_i32_e64 s22, 0, v71
	v_not_b32_e32 v71, v72
	v_lshlrev_b32_e32 v202, 26, v70
	v_cmp_ne_u32_e32 vcc_lo, 0, v198
	v_ashrrev_i32_e32 v203, 31, v203
	v_lshlrev_b32_e32 v198, 25, v70
	v_ashrrev_i32_e32 v71, 31, v71
	v_xor_b32_e32 v69, vcc_lo, v69
	v_cmp_gt_i32_e32 vcc_lo, 0, v72
	v_not_b32_e32 v72, v199
	v_xor_b32_e32 v203, s22, v203
	v_cmp_gt_i32_e64 s22, 0, v199
	v_and_b32_e32 v69, exec_lo, v69
	v_not_b32_e32 v199, v201
	v_ashrrev_i32_e32 v72, 31, v72
	v_xor_b32_e32 v71, vcc_lo, v71
	v_cmp_gt_i32_e32 vcc_lo, 0, v201
	v_and_b32_e32 v69, v69, v203
	v_not_b32_e32 v201, v202
	v_ashrrev_i32_e32 v199, 31, v199
	v_xor_b32_e32 v72, s22, v72
	v_cmp_gt_i32_e64 s22, 0, v202
	v_and_b32_e32 v69, v69, v71
	v_not_b32_e32 v71, v198
	v_ashrrev_i32_e32 v201, 31, v201
	v_xor_b32_e32 v199, vcc_lo, v199
	v_cmp_gt_i32_e32 vcc_lo, 0, v198
	v_and_b32_e32 v69, v69, v72
	v_ashrrev_i32_e32 v71, 31, v71
	v_xor_b32_e32 v72, s22, v201
	v_mad_u32_u24 v198, v70, 36, v148
	v_mul_u32_u24_e32 v70, 36, v70
	v_and_b32_e32 v69, v69, v199
	v_xor_b32_e32 v71, vcc_lo, v71
	ds_read_b32 v198, v198 offset:544
	v_add_nc_u32_e32 v203, v148, v70
	v_and_b32_e32 v69, v69, v72
	; wave barrier
	v_and_b32_e32 v69, v69, v71
	v_mbcnt_lo_u32_b32 v199, v69, 0
	v_cmp_ne_u32_e64 s22, 0, v69
	v_cmp_eq_u32_e32 vcc_lo, 0, v199
	s_and_b32 s23, s22, vcc_lo
	s_and_saveexec_b32 s22, s23
	s_cbranch_execz .LBB1119_746
; %bb.745:                              ;   in Loop: Header=BB1119_686 Depth=2
	s_waitcnt lgkmcnt(0)
	v_bcnt_u32_b32 v69, v69, v198
	ds_write_b32 v203, v69 offset:544
.LBB1119_746:                           ;   in Loop: Header=BB1119_686 Depth=2
	s_or_b32 exec_lo, exec_lo, s22
	v_cmp_gt_i64_e32 vcc_lo, 0, v[51:52]
	v_ashrrev_i32_e32 v69, 31, v52
	; wave barrier
	v_not_b32_e32 v69, v69
	v_cndmask_b32_e64 v70, 0x7fffffff, 0, vcc_lo
	v_xor_b32_e32 v51, v69, v51
	v_xor_b32_e32 v52, v70, v52
	v_cmp_ne_u64_e32 vcc_lo, s[56:57], v[51:52]
	v_cndmask_b32_e32 v70, 0x7fffffff, v52, vcc_lo
	v_cndmask_b32_e32 v69, -1, v51, vcc_lo
	v_lshrrev_b64 v[69:70], s52, v[69:70]
	v_and_b32_e32 v70, s64, v69
	v_and_b32_e32 v69, 1, v70
	v_lshlrev_b32_e32 v71, 30, v70
	v_lshlrev_b32_e32 v72, 29, v70
	;; [unrolled: 1-line block ×4, first 2 shown]
	v_add_co_u32 v69, s22, v69, -1
	v_cndmask_b32_e64 v201, 0, 1, s22
	v_not_b32_e32 v206, v71
	v_cmp_gt_i32_e64 s22, 0, v71
	v_not_b32_e32 v71, v72
	v_lshlrev_b32_e32 v205, 26, v70
	v_cmp_ne_u32_e32 vcc_lo, 0, v201
	v_ashrrev_i32_e32 v206, 31, v206
	v_lshlrev_b32_e32 v201, 25, v70
	v_ashrrev_i32_e32 v71, 31, v71
	v_xor_b32_e32 v69, vcc_lo, v69
	v_cmp_gt_i32_e32 vcc_lo, 0, v72
	v_not_b32_e32 v72, v202
	v_xor_b32_e32 v206, s22, v206
	v_cmp_gt_i32_e64 s22, 0, v202
	v_and_b32_e32 v69, exec_lo, v69
	v_not_b32_e32 v202, v204
	v_ashrrev_i32_e32 v72, 31, v72
	v_xor_b32_e32 v71, vcc_lo, v71
	v_cmp_gt_i32_e32 vcc_lo, 0, v204
	v_and_b32_e32 v69, v69, v206
	v_not_b32_e32 v204, v205
	v_ashrrev_i32_e32 v202, 31, v202
	v_xor_b32_e32 v72, s22, v72
	v_cmp_gt_i32_e64 s22, 0, v205
	v_and_b32_e32 v69, v69, v71
	v_not_b32_e32 v71, v201
	v_ashrrev_i32_e32 v204, 31, v204
	v_xor_b32_e32 v202, vcc_lo, v202
	v_cmp_gt_i32_e32 vcc_lo, 0, v201
	v_and_b32_e32 v69, v69, v72
	v_ashrrev_i32_e32 v71, 31, v71
	v_xor_b32_e32 v72, s22, v204
	v_mad_u32_u24 v201, v70, 36, v148
	v_mul_u32_u24_e32 v70, 36, v70
	v_and_b32_e32 v69, v69, v202
	v_xor_b32_e32 v71, vcc_lo, v71
	ds_read_b32 v201, v201 offset:544
	v_add_nc_u32_e32 v206, v148, v70
	v_and_b32_e32 v69, v69, v72
	; wave barrier
	v_and_b32_e32 v69, v69, v71
	v_mbcnt_lo_u32_b32 v202, v69, 0
	v_cmp_ne_u32_e64 s22, 0, v69
	v_cmp_eq_u32_e32 vcc_lo, 0, v202
	s_and_b32 s23, s22, vcc_lo
	s_and_saveexec_b32 s22, s23
	s_cbranch_execz .LBB1119_748
; %bb.747:                              ;   in Loop: Header=BB1119_686 Depth=2
	s_waitcnt lgkmcnt(0)
	v_bcnt_u32_b32 v69, v69, v201
	ds_write_b32 v206, v69 offset:544
.LBB1119_748:                           ;   in Loop: Header=BB1119_686 Depth=2
	s_or_b32 exec_lo, exec_lo, s22
	v_cmp_gt_i64_e32 vcc_lo, 0, v[47:48]
	v_ashrrev_i32_e32 v69, 31, v48
	; wave barrier
	v_not_b32_e32 v69, v69
	v_cndmask_b32_e64 v70, 0x7fffffff, 0, vcc_lo
	v_xor_b32_e32 v47, v69, v47
	v_xor_b32_e32 v48, v70, v48
	v_cmp_ne_u64_e32 vcc_lo, s[56:57], v[47:48]
	v_cndmask_b32_e32 v70, 0x7fffffff, v48, vcc_lo
	v_cndmask_b32_e32 v69, -1, v47, vcc_lo
	v_lshrrev_b64 v[69:70], s52, v[69:70]
	v_and_b32_e32 v70, s64, v69
	v_and_b32_e32 v69, 1, v70
	v_lshlrev_b32_e32 v71, 30, v70
	v_lshlrev_b32_e32 v72, 29, v70
	;; [unrolled: 1-line block ×4, first 2 shown]
	v_add_co_u32 v69, s22, v69, -1
	v_cndmask_b32_e64 v204, 0, 1, s22
	v_not_b32_e32 v209, v71
	v_cmp_gt_i32_e64 s22, 0, v71
	v_not_b32_e32 v71, v72
	v_lshlrev_b32_e32 v208, 26, v70
	v_cmp_ne_u32_e32 vcc_lo, 0, v204
	v_ashrrev_i32_e32 v209, 31, v209
	v_lshlrev_b32_e32 v204, 25, v70
	v_ashrrev_i32_e32 v71, 31, v71
	v_xor_b32_e32 v69, vcc_lo, v69
	v_cmp_gt_i32_e32 vcc_lo, 0, v72
	v_not_b32_e32 v72, v205
	v_xor_b32_e32 v209, s22, v209
	v_cmp_gt_i32_e64 s22, 0, v205
	v_and_b32_e32 v69, exec_lo, v69
	v_not_b32_e32 v205, v207
	v_ashrrev_i32_e32 v72, 31, v72
	v_xor_b32_e32 v71, vcc_lo, v71
	v_cmp_gt_i32_e32 vcc_lo, 0, v207
	v_and_b32_e32 v69, v69, v209
	v_not_b32_e32 v207, v208
	v_ashrrev_i32_e32 v205, 31, v205
	v_xor_b32_e32 v72, s22, v72
	v_cmp_gt_i32_e64 s22, 0, v208
	v_and_b32_e32 v69, v69, v71
	v_not_b32_e32 v71, v204
	v_ashrrev_i32_e32 v207, 31, v207
	v_xor_b32_e32 v205, vcc_lo, v205
	v_cmp_gt_i32_e32 vcc_lo, 0, v204
	v_and_b32_e32 v69, v69, v72
	v_ashrrev_i32_e32 v71, 31, v71
	v_xor_b32_e32 v72, s22, v207
	v_mad_u32_u24 v204, v70, 36, v148
	v_mul_u32_u24_e32 v70, 36, v70
	v_and_b32_e32 v69, v69, v205
	v_xor_b32_e32 v71, vcc_lo, v71
	ds_read_b32 v204, v204 offset:544
	v_add_nc_u32_e32 v209, v148, v70
	v_and_b32_e32 v69, v69, v72
	; wave barrier
	v_and_b32_e32 v69, v69, v71
	v_mbcnt_lo_u32_b32 v205, v69, 0
	v_cmp_ne_u32_e64 s22, 0, v69
	v_cmp_eq_u32_e32 vcc_lo, 0, v205
	s_and_b32 s23, s22, vcc_lo
	s_and_saveexec_b32 s22, s23
	s_cbranch_execz .LBB1119_750
; %bb.749:                              ;   in Loop: Header=BB1119_686 Depth=2
	s_waitcnt lgkmcnt(0)
	v_bcnt_u32_b32 v69, v69, v204
	ds_write_b32 v209, v69 offset:544
.LBB1119_750:                           ;   in Loop: Header=BB1119_686 Depth=2
	s_or_b32 exec_lo, exec_lo, s22
	v_cmp_gt_i64_e32 vcc_lo, 0, v[43:44]
	v_ashrrev_i32_e32 v69, 31, v44
	; wave barrier
	v_not_b32_e32 v69, v69
	v_cndmask_b32_e64 v70, 0x7fffffff, 0, vcc_lo
	v_xor_b32_e32 v43, v69, v43
	v_xor_b32_e32 v44, v70, v44
	v_cmp_ne_u64_e32 vcc_lo, s[56:57], v[43:44]
	v_cndmask_b32_e32 v70, 0x7fffffff, v44, vcc_lo
	v_cndmask_b32_e32 v69, -1, v43, vcc_lo
	v_lshrrev_b64 v[69:70], s52, v[69:70]
	v_and_b32_e32 v70, s64, v69
	v_and_b32_e32 v69, 1, v70
	v_lshlrev_b32_e32 v71, 30, v70
	v_lshlrev_b32_e32 v72, 29, v70
	;; [unrolled: 1-line block ×4, first 2 shown]
	v_add_co_u32 v69, s22, v69, -1
	v_cndmask_b32_e64 v207, 0, 1, s22
	v_not_b32_e32 v212, v71
	v_cmp_gt_i32_e64 s22, 0, v71
	v_not_b32_e32 v71, v72
	v_lshlrev_b32_e32 v211, 26, v70
	v_cmp_ne_u32_e32 vcc_lo, 0, v207
	v_ashrrev_i32_e32 v212, 31, v212
	v_lshlrev_b32_e32 v207, 25, v70
	v_ashrrev_i32_e32 v71, 31, v71
	v_xor_b32_e32 v69, vcc_lo, v69
	v_cmp_gt_i32_e32 vcc_lo, 0, v72
	v_not_b32_e32 v72, v208
	v_xor_b32_e32 v212, s22, v212
	v_cmp_gt_i32_e64 s22, 0, v208
	v_and_b32_e32 v69, exec_lo, v69
	v_not_b32_e32 v208, v210
	v_ashrrev_i32_e32 v72, 31, v72
	v_xor_b32_e32 v71, vcc_lo, v71
	v_cmp_gt_i32_e32 vcc_lo, 0, v210
	v_and_b32_e32 v69, v69, v212
	v_not_b32_e32 v210, v211
	v_ashrrev_i32_e32 v208, 31, v208
	v_xor_b32_e32 v72, s22, v72
	v_cmp_gt_i32_e64 s22, 0, v211
	v_and_b32_e32 v69, v69, v71
	v_not_b32_e32 v71, v207
	v_ashrrev_i32_e32 v210, 31, v210
	v_xor_b32_e32 v208, vcc_lo, v208
	v_cmp_gt_i32_e32 vcc_lo, 0, v207
	v_and_b32_e32 v69, v69, v72
	v_ashrrev_i32_e32 v71, 31, v71
	v_xor_b32_e32 v72, s22, v210
	v_mad_u32_u24 v207, v70, 36, v148
	v_mul_u32_u24_e32 v70, 36, v70
	v_and_b32_e32 v69, v69, v208
	v_xor_b32_e32 v71, vcc_lo, v71
	ds_read_b32 v207, v207 offset:544
	v_add_nc_u32_e32 v212, v148, v70
	v_and_b32_e32 v69, v69, v72
	; wave barrier
	v_and_b32_e32 v69, v69, v71
	v_mbcnt_lo_u32_b32 v208, v69, 0
	v_cmp_ne_u32_e64 s22, 0, v69
	v_cmp_eq_u32_e32 vcc_lo, 0, v208
	s_and_b32 s23, s22, vcc_lo
	s_and_saveexec_b32 s22, s23
	s_cbranch_execz .LBB1119_752
; %bb.751:                              ;   in Loop: Header=BB1119_686 Depth=2
	s_waitcnt lgkmcnt(0)
	v_bcnt_u32_b32 v69, v69, v207
	ds_write_b32 v212, v69 offset:544
.LBB1119_752:                           ;   in Loop: Header=BB1119_686 Depth=2
	s_or_b32 exec_lo, exec_lo, s22
	v_cmp_gt_i64_e32 vcc_lo, 0, v[45:46]
	v_ashrrev_i32_e32 v69, 31, v46
	; wave barrier
	v_not_b32_e32 v69, v69
	v_cndmask_b32_e64 v70, 0x7fffffff, 0, vcc_lo
	v_xor_b32_e32 v45, v69, v45
	v_xor_b32_e32 v46, v70, v46
	v_cmp_ne_u64_e32 vcc_lo, s[56:57], v[45:46]
	v_cndmask_b32_e32 v70, 0x7fffffff, v46, vcc_lo
	v_cndmask_b32_e32 v69, -1, v45, vcc_lo
	v_lshrrev_b64 v[69:70], s52, v[69:70]
	v_and_b32_e32 v70, s64, v69
	v_and_b32_e32 v69, 1, v70
	v_lshlrev_b32_e32 v71, 30, v70
	v_lshlrev_b32_e32 v72, 29, v70
	;; [unrolled: 1-line block ×4, first 2 shown]
	v_add_co_u32 v69, s22, v69, -1
	v_cndmask_b32_e64 v210, 0, 1, s22
	v_not_b32_e32 v215, v71
	v_cmp_gt_i32_e64 s22, 0, v71
	v_not_b32_e32 v71, v72
	v_lshlrev_b32_e32 v214, 26, v70
	v_cmp_ne_u32_e32 vcc_lo, 0, v210
	v_ashrrev_i32_e32 v215, 31, v215
	v_lshlrev_b32_e32 v210, 25, v70
	v_ashrrev_i32_e32 v71, 31, v71
	v_xor_b32_e32 v69, vcc_lo, v69
	v_cmp_gt_i32_e32 vcc_lo, 0, v72
	v_not_b32_e32 v72, v211
	v_xor_b32_e32 v215, s22, v215
	v_cmp_gt_i32_e64 s22, 0, v211
	v_and_b32_e32 v69, exec_lo, v69
	v_not_b32_e32 v211, v213
	v_ashrrev_i32_e32 v72, 31, v72
	v_xor_b32_e32 v71, vcc_lo, v71
	v_cmp_gt_i32_e32 vcc_lo, 0, v213
	v_and_b32_e32 v69, v69, v215
	v_not_b32_e32 v213, v214
	v_ashrrev_i32_e32 v211, 31, v211
	v_xor_b32_e32 v72, s22, v72
	v_cmp_gt_i32_e64 s22, 0, v214
	v_and_b32_e32 v69, v69, v71
	v_not_b32_e32 v71, v210
	v_ashrrev_i32_e32 v213, 31, v213
	v_xor_b32_e32 v211, vcc_lo, v211
	v_cmp_gt_i32_e32 vcc_lo, 0, v210
	v_and_b32_e32 v69, v69, v72
	v_ashrrev_i32_e32 v71, 31, v71
	v_xor_b32_e32 v72, s22, v213
	v_mad_u32_u24 v210, v70, 36, v148
	v_mul_u32_u24_e32 v70, 36, v70
	v_and_b32_e32 v69, v69, v211
	v_xor_b32_e32 v71, vcc_lo, v71
	ds_read_b32 v210, v210 offset:544
	v_add_nc_u32_e32 v213, v148, v70
	v_and_b32_e32 v69, v69, v72
	; wave barrier
	v_and_b32_e32 v69, v69, v71
	v_mbcnt_lo_u32_b32 v211, v69, 0
	v_cmp_ne_u32_e64 s22, 0, v69
	v_cmp_eq_u32_e32 vcc_lo, 0, v211
	s_and_b32 s23, s22, vcc_lo
	s_and_saveexec_b32 s22, s23
	s_cbranch_execz .LBB1119_754
; %bb.753:                              ;   in Loop: Header=BB1119_686 Depth=2
	s_waitcnt lgkmcnt(0)
	v_bcnt_u32_b32 v69, v69, v210
	ds_write_b32 v213, v69 offset:544
.LBB1119_754:                           ;   in Loop: Header=BB1119_686 Depth=2
	s_or_b32 exec_lo, exec_lo, s22
	; wave barrier
	s_waitcnt lgkmcnt(0)
	s_barrier
	buffer_gl0_inv
	ds_read2_b32 v[71:72], v98 offset0:136 offset1:137
	ds_read2_b32 v[69:70], v98 offset0:138 offset1:139
	ds_read_b32 v214, v98 offset:560
	s_waitcnt lgkmcnt(1)
	v_add3_u32 v215, v72, v71, v69
	s_waitcnt lgkmcnt(0)
	v_add3_u32 v214, v215, v70, v214
	v_mov_b32_dpp v215, v214 row_shr:1 row_mask:0xf bank_mask:0xf
	v_cndmask_b32_e64 v215, v215, 0, s13
	v_add_nc_u32_e32 v214, v215, v214
	v_mov_b32_dpp v215, v214 row_shr:2 row_mask:0xf bank_mask:0xf
	v_cndmask_b32_e64 v215, 0, v215, s14
	v_add_nc_u32_e32 v214, v214, v215
	;; [unrolled: 3-line block ×4, first 2 shown]
	ds_swizzle_b32 v215, v214 offset:swizzle(BROADCAST,32,15)
	s_waitcnt lgkmcnt(0)
	v_cndmask_b32_e64 v215, v215, 0, s17
	v_add_nc_u32_e32 v214, v214, v215
	s_and_saveexec_b32 s22, s4
; %bb.755:                              ;   in Loop: Header=BB1119_686 Depth=2
	ds_write_b32 v92, v214 offset:512
; %bb.756:                              ;   in Loop: Header=BB1119_686 Depth=2
	s_or_b32 exec_lo, exec_lo, s22
	s_waitcnt lgkmcnt(0)
	s_barrier
	buffer_gl0_inv
	s_and_saveexec_b32 s22, s5
	s_cbranch_execz .LBB1119_758
; %bb.757:                              ;   in Loop: Header=BB1119_686 Depth=2
	ds_read_b32 v215, v99 offset:512
	s_waitcnt lgkmcnt(0)
	v_mov_b32_dpp v216, v215 row_shr:1 row_mask:0xf bank_mask:0xf
	v_cndmask_b32_e64 v216, v216, 0, s19
	v_add_nc_u32_e32 v215, v216, v215
	v_mov_b32_dpp v216, v215 row_shr:2 row_mask:0xf bank_mask:0xf
	v_cndmask_b32_e64 v216, 0, v216, s20
	v_add_nc_u32_e32 v215, v215, v216
	;; [unrolled: 3-line block ×3, first 2 shown]
	ds_write_b32 v99, v215 offset:512
.LBB1119_758:                           ;   in Loop: Header=BB1119_686 Depth=2
	s_or_b32 exec_lo, exec_lo, s22
	v_mov_b32_e32 v215, 0
	s_waitcnt lgkmcnt(0)
	s_barrier
	buffer_gl0_inv
	s_and_saveexec_b32 s22, s10
; %bb.759:                              ;   in Loop: Header=BB1119_686 Depth=2
	ds_read_b32 v215, v92 offset:508
; %bb.760:                              ;   in Loop: Header=BB1119_686 Depth=2
	s_or_b32 exec_lo, exec_lo, s22
	s_waitcnt lgkmcnt(0)
	v_add_nc_u32_e32 v214, v215, v214
	ds_bpermute_b32 v214, v127, v214
	s_waitcnt lgkmcnt(0)
	v_cndmask_b32_e64 v214, v214, v215, s18
	v_cndmask_b32_e64 v214, v214, 0, s11
	v_add_nc_u32_e32 v71, v214, v71
	v_add_nc_u32_e32 v72, v71, v72
	;; [unrolled: 1-line block ×4, first 2 shown]
	ds_write2_b32 v98, v214, v71 offset0:136 offset1:137
	ds_write2_b32 v98, v72, v69 offset0:138 offset1:139
	ds_write_b32 v98, v70 offset:560
	s_waitcnt lgkmcnt(0)
	s_barrier
	buffer_gl0_inv
	ds_read_b32 v69, v168 offset:544
	ds_read_b32 v217, v171 offset:544
	;; [unrolled: 1-line block ×16, first 2 shown]
	s_and_saveexec_b32 s22, s7
	s_cbranch_execz .LBB1119_764
; %bb.761:                              ;   in Loop: Header=BB1119_686 Depth=2
	ds_read_b32 v156, v101 offset:544
	v_mov_b32_e32 v166, 0x1000
	s_and_saveexec_b32 s23, s12
; %bb.762:                              ;   in Loop: Header=BB1119_686 Depth=2
	ds_read_b32 v166, v100 offset:544
; %bb.763:                              ;   in Loop: Header=BB1119_686 Depth=2
	s_or_b32 exec_lo, exec_lo, s23
	s_waitcnt lgkmcnt(0)
	v_sub_nc_u32_e32 v166, v166, v156
.LBB1119_764:                           ;   in Loop: Header=BB1119_686 Depth=2
	s_or_b32 exec_lo, exec_lo, s22
	s_waitcnt lgkmcnt(0)
	s_barrier
	buffer_gl0_inv
	s_and_saveexec_b32 s22, s7
	s_cbranch_execz .LBB1119_766
; %bb.765:                              ;   in Loop: Header=BB1119_686 Depth=2
	ds_read_b32 v192, v73
	s_waitcnt lgkmcnt(0)
	v_sub_nc_u32_e32 v192, v192, v156
	ds_write_b32 v73, v192
.LBB1119_766:                           ;   in Loop: Header=BB1119_686 Depth=2
	s_or_b32 exec_lo, exec_lo, s22
	v_lshlrev_b32_e32 v3, 3, v3
	v_lshlrev_b32_e32 v170, 3, v170
	;; [unrolled: 1-line block ×5, first 2 shown]
	v_lshl_add_u32 v69, v69, 3, v3
	v_lshlrev_b32_e32 v3, 3, v172
	v_lshlrev_b32_e32 v172, 3, v70
	;; [unrolled: 1-line block ×3, first 2 shown]
	v_add3_u32 v70, v170, v169, v192
	ds_write_b64 v69, v[37:38] offset:512
	v_lshlrev_b32_e32 v37, 3, v175
	v_lshlrev_b32_e32 v38, 3, v216
	;; [unrolled: 1-line block ×8, first 2 shown]
	ds_write_b64 v70, v[39:40] offset:512
	v_add3_u32 v39, v173, v3, v172
	v_add3_u32 v40, v176, v37, v38
	v_lshlrev_b32_e32 v3, 3, v185
	v_lshlrev_b32_e32 v37, 3, v184
	;; [unrolled: 1-line block ×3, first 2 shown]
	v_add3_u32 v71, v169, v170, v72
	v_add3_u32 v72, v175, v178, v179
	ds_write_b64 v39, v[41:42] offset:512
	ds_write_b64 v40, v[49:50] offset:512
	;; [unrolled: 1-line block ×4, first 2 shown]
	v_add3_u32 v41, v3, v37, v38
	v_lshlrev_b32_e32 v3, 3, v188
	v_lshlrev_b32_e32 v37, 3, v187
	;; [unrolled: 1-line block ×12, first 2 shown]
	v_add3_u32 v42, v3, v37, v38
	v_lshlrev_b32_e32 v3, 3, v199
	v_lshlrev_b32_e32 v37, 3, v198
	;; [unrolled: 1-line block ×3, first 2 shown]
	v_add3_u32 v49, v49, v50, v53
	v_add3_u32 v50, v54, v57, v58
	;; [unrolled: 1-line block ×3, first 2 shown]
	ds_write_b64 v41, v[61:62] offset:512
	ds_write_b64 v42, v[65:66] offset:512
	;; [unrolled: 1-line block ×5, first 2 shown]
	v_add3_u32 v54, v3, v37, v38
	v_lshlrev_b32_e32 v3, 3, v202
	v_lshlrev_b32_e32 v37, 3, v201
	;; [unrolled: 1-line block ×12, first 2 shown]
	v_add3_u32 v57, v3, v37, v38
	v_add3_u32 v58, v58, v59, v60
	;; [unrolled: 1-line block ×3, first 2 shown]
	ds_write_b64 v54, v[55:56] offset:512
	v_add3_u32 v55, v64, v65, v66
	v_cmp_lt_u32_e32 vcc_lo, v0, v167
	ds_write_b64 v57, v[51:52] offset:512
	ds_write_b64 v58, v[47:48] offset:512
	;; [unrolled: 1-line block ×4, first 2 shown]
	s_waitcnt lgkmcnt(0)
	s_barrier
	buffer_gl0_inv
	s_and_saveexec_b32 s23, vcc_lo
	s_cbranch_execnz .LBB1119_835
; %bb.767:                              ;   in Loop: Header=BB1119_686 Depth=2
	s_or_b32 exec_lo, exec_lo, s23
	v_cmp_lt_u32_e64 s22, v74, v167
	s_and_saveexec_b32 s24, s22
	s_cbranch_execnz .LBB1119_836
.LBB1119_768:                           ;   in Loop: Header=BB1119_686 Depth=2
	s_or_b32 exec_lo, exec_lo, s24
	v_cmp_lt_u32_e64 s23, v77, v167
	s_and_saveexec_b32 s25, s23
	s_cbranch_execnz .LBB1119_837
.LBB1119_769:                           ;   in Loop: Header=BB1119_686 Depth=2
	s_or_b32 exec_lo, exec_lo, s25
	v_cmp_lt_u32_e64 s24, v78, v167
	s_and_saveexec_b32 s26, s24
	s_cbranch_execnz .LBB1119_838
.LBB1119_770:                           ;   in Loop: Header=BB1119_686 Depth=2
	s_or_b32 exec_lo, exec_lo, s26
	v_cmp_lt_u32_e64 s25, v79, v167
	s_and_saveexec_b32 s27, s25
	s_cbranch_execnz .LBB1119_839
.LBB1119_771:                           ;   in Loop: Header=BB1119_686 Depth=2
	s_or_b32 exec_lo, exec_lo, s27
	v_cmp_lt_u32_e64 s26, v80, v167
	s_and_saveexec_b32 s28, s26
	s_cbranch_execnz .LBB1119_840
.LBB1119_772:                           ;   in Loop: Header=BB1119_686 Depth=2
	s_or_b32 exec_lo, exec_lo, s28
	v_cmp_lt_u32_e64 s27, v81, v167
	s_and_saveexec_b32 s30, s27
	s_cbranch_execnz .LBB1119_841
.LBB1119_773:                           ;   in Loop: Header=BB1119_686 Depth=2
	s_or_b32 exec_lo, exec_lo, s30
	v_cmp_lt_u32_e64 s28, v82, v167
	s_and_saveexec_b32 s31, s28
	s_cbranch_execnz .LBB1119_842
.LBB1119_774:                           ;   in Loop: Header=BB1119_686 Depth=2
	s_or_b32 exec_lo, exec_lo, s31
	v_cmp_lt_u32_e64 s30, v83, v167
	s_and_saveexec_b32 s33, s30
	s_cbranch_execnz .LBB1119_843
.LBB1119_775:                           ;   in Loop: Header=BB1119_686 Depth=2
	s_or_b32 exec_lo, exec_lo, s33
	v_cmp_lt_u32_e64 s31, v84, v167
	s_and_saveexec_b32 s34, s31
	s_cbranch_execnz .LBB1119_844
.LBB1119_776:                           ;   in Loop: Header=BB1119_686 Depth=2
	s_or_b32 exec_lo, exec_lo, s34
	v_cmp_lt_u32_e64 s33, v85, v167
	s_and_saveexec_b32 s35, s33
	s_cbranch_execnz .LBB1119_845
.LBB1119_777:                           ;   in Loop: Header=BB1119_686 Depth=2
	s_or_b32 exec_lo, exec_lo, s35
	v_cmp_lt_u32_e64 s34, v86, v167
	s_and_saveexec_b32 s36, s34
	s_cbranch_execnz .LBB1119_846
.LBB1119_778:                           ;   in Loop: Header=BB1119_686 Depth=2
	s_or_b32 exec_lo, exec_lo, s36
	v_cmp_lt_u32_e64 s35, v87, v167
	s_and_saveexec_b32 s37, s35
	s_cbranch_execnz .LBB1119_847
.LBB1119_779:                           ;   in Loop: Header=BB1119_686 Depth=2
	s_or_b32 exec_lo, exec_lo, s37
	v_cmp_lt_u32_e64 s36, v88, v167
	s_and_saveexec_b32 s38, s36
	s_cbranch_execnz .LBB1119_848
.LBB1119_780:                           ;   in Loop: Header=BB1119_686 Depth=2
	s_or_b32 exec_lo, exec_lo, s38
	v_cmp_lt_u32_e64 s37, v89, v167
	s_and_saveexec_b32 s39, s37
	s_cbranch_execnz .LBB1119_849
.LBB1119_781:                           ;   in Loop: Header=BB1119_686 Depth=2
	s_or_b32 exec_lo, exec_lo, s39
	v_cmp_lt_u32_e64 s38, v90, v167
	s_and_saveexec_b32 s47, s38
	s_cbranch_execz .LBB1119_783
.LBB1119_782:                           ;   in Loop: Header=BB1119_686 Depth=2
	ds_read_b64 v[37:38], v106 offset:31232
	s_waitcnt lgkmcnt(0)
	v_cmp_ne_u64_e64 s39, s[56:57], v[37:38]
	v_cndmask_b32_e64 v44, 0x7fffffff, v38, s39
	v_cndmask_b32_e64 v43, -1, v37, s39
	v_cmp_gt_i64_e64 s39, 0, v[37:38]
	v_lshrrev_b64 v[43:44], s52, v[43:44]
	v_cndmask_b32_e64 v45, 0x7fffffff, 0, s39
	v_and_b32_e32 v3, s64, v43
	v_ashrrev_i32_e32 v43, 31, v38
	v_xor_b32_e32 v38, v45, v38
	v_lshlrev_b32_e32 v3, 2, v3
	v_not_b32_e32 v46, v43
	ds_read_b32 v3, v3
	v_xor_b32_e32 v37, v46, v37
	s_waitcnt lgkmcnt(0)
	v_add_nc_u32_e32 v3, v3, v90
	v_lshlrev_b64 v[43:44], 3, v[3:4]
	v_add_co_u32 v43, s39, s42, v43
	v_add_co_ci_u32_e64 v44, null, s43, v44, s39
	global_store_dwordx2 v[43:44], v[37:38], off
.LBB1119_783:                           ;   in Loop: Header=BB1119_686 Depth=2
	s_or_b32 exec_lo, exec_lo, s47
	s_mov_b32 s47, s56
	s_lshl_b64 s[46:47], s[46:47], 3
	v_add_co_u32 v37, s39, v129, s46
	v_add_co_ci_u32_e64 v38, null, s47, v130, s39
	v_cmp_lt_u32_e64 s39, v128, v167
	s_and_saveexec_b32 s46, s39
	s_xor_b32 s39, exec_lo, s46
	s_cbranch_execnz .LBB1119_850
; %bb.784:                              ;   in Loop: Header=BB1119_686 Depth=2
	s_or_b32 exec_lo, exec_lo, s39
	s_mov_b32 s46, exec_lo
	v_cmpx_lt_u32_e64 v131, v167
	s_cbranch_execnz .LBB1119_851
.LBB1119_785:                           ;   in Loop: Header=BB1119_686 Depth=2
	s_or_b32 exec_lo, exec_lo, s46
	s_mov_b32 s46, exec_lo
	v_cmpx_lt_u32_e64 v132, v167
	s_cbranch_execnz .LBB1119_852
.LBB1119_786:                           ;   in Loop: Header=BB1119_686 Depth=2
	s_or_b32 exec_lo, exec_lo, s46
	s_mov_b32 s46, exec_lo
	v_cmpx_lt_u32_e64 v133, v167
	s_cbranch_execnz .LBB1119_853
.LBB1119_787:                           ;   in Loop: Header=BB1119_686 Depth=2
	s_or_b32 exec_lo, exec_lo, s46
	s_mov_b32 s46, exec_lo
	v_cmpx_lt_u32_e64 v134, v167
	s_cbranch_execnz .LBB1119_854
.LBB1119_788:                           ;   in Loop: Header=BB1119_686 Depth=2
	s_or_b32 exec_lo, exec_lo, s46
	s_mov_b32 s46, exec_lo
	v_cmpx_lt_u32_e64 v135, v167
	s_cbranch_execnz .LBB1119_855
.LBB1119_789:                           ;   in Loop: Header=BB1119_686 Depth=2
	s_or_b32 exec_lo, exec_lo, s46
	s_mov_b32 s46, exec_lo
	v_cmpx_lt_u32_e64 v136, v167
	s_cbranch_execnz .LBB1119_856
.LBB1119_790:                           ;   in Loop: Header=BB1119_686 Depth=2
	s_or_b32 exec_lo, exec_lo, s46
	s_mov_b32 s46, exec_lo
	v_cmpx_lt_u32_e64 v137, v167
	s_cbranch_execnz .LBB1119_857
.LBB1119_791:                           ;   in Loop: Header=BB1119_686 Depth=2
	s_or_b32 exec_lo, exec_lo, s46
	s_mov_b32 s46, exec_lo
	v_cmpx_lt_u32_e64 v138, v167
	s_cbranch_execnz .LBB1119_858
.LBB1119_792:                           ;   in Loop: Header=BB1119_686 Depth=2
	s_or_b32 exec_lo, exec_lo, s46
	s_mov_b32 s46, exec_lo
	v_cmpx_lt_u32_e64 v139, v167
	s_cbranch_execnz .LBB1119_859
.LBB1119_793:                           ;   in Loop: Header=BB1119_686 Depth=2
	s_or_b32 exec_lo, exec_lo, s46
	s_mov_b32 s46, exec_lo
	v_cmpx_lt_u32_e64 v140, v167
	s_cbranch_execnz .LBB1119_860
.LBB1119_794:                           ;   in Loop: Header=BB1119_686 Depth=2
	s_or_b32 exec_lo, exec_lo, s46
	s_mov_b32 s46, exec_lo
	v_cmpx_lt_u32_e64 v141, v167
	s_cbranch_execnz .LBB1119_861
.LBB1119_795:                           ;   in Loop: Header=BB1119_686 Depth=2
	s_or_b32 exec_lo, exec_lo, s46
	s_mov_b32 s46, exec_lo
	v_cmpx_lt_u32_e64 v142, v167
	s_cbranch_execnz .LBB1119_862
.LBB1119_796:                           ;   in Loop: Header=BB1119_686 Depth=2
	s_or_b32 exec_lo, exec_lo, s46
	s_mov_b32 s46, exec_lo
	v_cmpx_lt_u32_e64 v143, v167
	s_cbranch_execnz .LBB1119_863
.LBB1119_797:                           ;   in Loop: Header=BB1119_686 Depth=2
	s_or_b32 exec_lo, exec_lo, s46
	s_mov_b32 s46, exec_lo
	v_cmpx_lt_u32_e64 v144, v167
	s_cbranch_execnz .LBB1119_864
.LBB1119_798:                           ;   in Loop: Header=BB1119_686 Depth=2
	s_or_b32 exec_lo, exec_lo, s46
	s_mov_b32 s46, exec_lo
	v_cmpx_lt_u32_e64 v145, v167
	s_cbranch_execnz .LBB1119_865
.LBB1119_799:                           ;   in Loop: Header=BB1119_686 Depth=2
	s_or_b32 exec_lo, exec_lo, s46
	s_and_saveexec_b32 s46, vcc_lo
	s_cbranch_execnz .LBB1119_866
.LBB1119_800:                           ;   in Loop: Header=BB1119_686 Depth=2
	s_or_b32 exec_lo, exec_lo, s46
	s_and_saveexec_b32 s46, s22
	s_cbranch_execnz .LBB1119_867
.LBB1119_801:                           ;   in Loop: Header=BB1119_686 Depth=2
	s_or_b32 exec_lo, exec_lo, s46
	s_and_saveexec_b32 s46, s23
	s_cbranch_execnz .LBB1119_868
.LBB1119_802:                           ;   in Loop: Header=BB1119_686 Depth=2
	s_or_b32 exec_lo, exec_lo, s46
	s_and_saveexec_b32 s46, s24
	s_cbranch_execnz .LBB1119_869
.LBB1119_803:                           ;   in Loop: Header=BB1119_686 Depth=2
	s_or_b32 exec_lo, exec_lo, s46
	s_and_saveexec_b32 s46, s25
	s_cbranch_execnz .LBB1119_870
.LBB1119_804:                           ;   in Loop: Header=BB1119_686 Depth=2
	s_or_b32 exec_lo, exec_lo, s46
	s_and_saveexec_b32 s46, s26
	s_cbranch_execnz .LBB1119_871
.LBB1119_805:                           ;   in Loop: Header=BB1119_686 Depth=2
	s_or_b32 exec_lo, exec_lo, s46
	s_and_saveexec_b32 s46, s27
	s_cbranch_execnz .LBB1119_872
.LBB1119_806:                           ;   in Loop: Header=BB1119_686 Depth=2
	s_or_b32 exec_lo, exec_lo, s46
	s_and_saveexec_b32 s46, s28
	s_cbranch_execnz .LBB1119_873
.LBB1119_807:                           ;   in Loop: Header=BB1119_686 Depth=2
	s_or_b32 exec_lo, exec_lo, s46
	s_and_saveexec_b32 s46, s30
	s_cbranch_execnz .LBB1119_874
.LBB1119_808:                           ;   in Loop: Header=BB1119_686 Depth=2
	s_or_b32 exec_lo, exec_lo, s46
	s_and_saveexec_b32 s46, s31
	s_cbranch_execnz .LBB1119_875
.LBB1119_809:                           ;   in Loop: Header=BB1119_686 Depth=2
	s_or_b32 exec_lo, exec_lo, s46
	s_and_saveexec_b32 s46, s33
	s_cbranch_execnz .LBB1119_876
.LBB1119_810:                           ;   in Loop: Header=BB1119_686 Depth=2
	s_or_b32 exec_lo, exec_lo, s46
	s_and_saveexec_b32 s46, s34
	s_cbranch_execnz .LBB1119_877
.LBB1119_811:                           ;   in Loop: Header=BB1119_686 Depth=2
	s_or_b32 exec_lo, exec_lo, s46
	s_and_saveexec_b32 s46, s35
	s_cbranch_execnz .LBB1119_878
.LBB1119_812:                           ;   in Loop: Header=BB1119_686 Depth=2
	s_or_b32 exec_lo, exec_lo, s46
	s_and_saveexec_b32 s46, s36
	s_cbranch_execnz .LBB1119_879
.LBB1119_813:                           ;   in Loop: Header=BB1119_686 Depth=2
	s_or_b32 exec_lo, exec_lo, s46
	s_and_saveexec_b32 s46, s37
	s_cbranch_execnz .LBB1119_880
.LBB1119_814:                           ;   in Loop: Header=BB1119_686 Depth=2
	s_or_b32 exec_lo, exec_lo, s46
	s_and_saveexec_b32 s46, s38
	s_cbranch_execz .LBB1119_816
.LBB1119_815:                           ;   in Loop: Header=BB1119_686 Depth=2
	ds_read_b64 v[37:38], v106 offset:31232
	s_waitcnt lgkmcnt(0)
	v_cmp_ne_u64_e64 s39, s[56:57], v[37:38]
	v_cndmask_b32_e64 v38, 0x7fffffff, v38, s39
	v_cndmask_b32_e64 v37, -1, v37, s39
	v_lshrrev_b64 v[37:38], s52, v[37:38]
	v_and_b32_e32 v149, s64, v37
.LBB1119_816:                           ;   in Loop: Header=BB1119_686 Depth=2
	s_or_b32 exec_lo, exec_lo, s46
	s_waitcnt vmcnt(0)
	s_waitcnt_vscnt null, 0x0
	s_barrier
	buffer_gl0_inv
	ds_write_b64 v69, v[35:36] offset:512
	ds_write_b64 v70, v[33:34] offset:512
	;; [unrolled: 1-line block ×16, first 2 shown]
	s_waitcnt lgkmcnt(0)
	s_barrier
	buffer_gl0_inv
	s_and_saveexec_b32 s39, vcc_lo
	s_cbranch_execnz .LBB1119_881
; %bb.817:                              ;   in Loop: Header=BB1119_686 Depth=2
	s_or_b32 exec_lo, exec_lo, s39
	s_and_saveexec_b32 s39, s22
	s_cbranch_execnz .LBB1119_882
.LBB1119_818:                           ;   in Loop: Header=BB1119_686 Depth=2
	s_or_b32 exec_lo, exec_lo, s39
	s_and_saveexec_b32 s22, s23
	s_cbranch_execnz .LBB1119_883
.LBB1119_819:                           ;   in Loop: Header=BB1119_686 Depth=2
	s_or_b32 exec_lo, exec_lo, s22
	s_and_saveexec_b32 s22, s24
	s_cbranch_execnz .LBB1119_884
.LBB1119_820:                           ;   in Loop: Header=BB1119_686 Depth=2
	s_or_b32 exec_lo, exec_lo, s22
	s_and_saveexec_b32 s22, s25
	s_cbranch_execnz .LBB1119_885
.LBB1119_821:                           ;   in Loop: Header=BB1119_686 Depth=2
	s_or_b32 exec_lo, exec_lo, s22
	s_and_saveexec_b32 s22, s26
	s_cbranch_execnz .LBB1119_886
.LBB1119_822:                           ;   in Loop: Header=BB1119_686 Depth=2
	s_or_b32 exec_lo, exec_lo, s22
	s_and_saveexec_b32 s22, s27
	s_cbranch_execnz .LBB1119_887
.LBB1119_823:                           ;   in Loop: Header=BB1119_686 Depth=2
	s_or_b32 exec_lo, exec_lo, s22
	s_and_saveexec_b32 s22, s28
	s_cbranch_execnz .LBB1119_888
.LBB1119_824:                           ;   in Loop: Header=BB1119_686 Depth=2
	s_or_b32 exec_lo, exec_lo, s22
	s_and_saveexec_b32 s22, s30
	s_cbranch_execnz .LBB1119_889
.LBB1119_825:                           ;   in Loop: Header=BB1119_686 Depth=2
	s_or_b32 exec_lo, exec_lo, s22
	s_and_saveexec_b32 s22, s31
	s_cbranch_execnz .LBB1119_890
.LBB1119_826:                           ;   in Loop: Header=BB1119_686 Depth=2
	s_or_b32 exec_lo, exec_lo, s22
	s_and_saveexec_b32 s22, s33
	s_cbranch_execnz .LBB1119_891
.LBB1119_827:                           ;   in Loop: Header=BB1119_686 Depth=2
	s_or_b32 exec_lo, exec_lo, s22
	s_and_saveexec_b32 s22, s34
	s_cbranch_execnz .LBB1119_892
.LBB1119_828:                           ;   in Loop: Header=BB1119_686 Depth=2
	s_or_b32 exec_lo, exec_lo, s22
	s_and_saveexec_b32 s22, s35
	s_cbranch_execnz .LBB1119_893
.LBB1119_829:                           ;   in Loop: Header=BB1119_686 Depth=2
	s_or_b32 exec_lo, exec_lo, s22
	s_and_saveexec_b32 s22, s36
	s_cbranch_execnz .LBB1119_894
.LBB1119_830:                           ;   in Loop: Header=BB1119_686 Depth=2
	s_or_b32 exec_lo, exec_lo, s22
	s_and_saveexec_b32 s22, s37
	s_cbranch_execnz .LBB1119_895
.LBB1119_831:                           ;   in Loop: Header=BB1119_686 Depth=2
	s_or_b32 exec_lo, exec_lo, s22
	s_and_saveexec_b32 s22, s38
	s_cbranch_execz .LBB1119_833
.LBB1119_832:                           ;   in Loop: Header=BB1119_686 Depth=2
	v_lshlrev_b32_e32 v3, 2, v149
	ds_read_b32 v3, v3
	ds_read_b64 v[37:38], v106 offset:31232
	s_waitcnt lgkmcnt(1)
	v_add_nc_u32_e32 v3, v3, v90
	v_lshlrev_b64 v[39:40], 3, v[3:4]
	v_add_co_u32 v39, vcc_lo, s48, v39
	v_add_co_ci_u32_e64 v40, null, s49, v40, vcc_lo
	s_waitcnt lgkmcnt(0)
	global_store_dwordx2 v[39:40], v[37:38], off
.LBB1119_833:                           ;   in Loop: Header=BB1119_686 Depth=2
	s_or_b32 exec_lo, exec_lo, s22
	s_waitcnt_vscnt null, 0x0
	s_barrier
	buffer_gl0_inv
	s_and_saveexec_b32 s22, s7
	s_cbranch_execz .LBB1119_685
; %bb.834:                              ;   in Loop: Header=BB1119_686 Depth=2
	ds_read_b32 v3, v73
	s_waitcnt lgkmcnt(0)
	v_add3_u32 v3, v156, v166, v3
	ds_write_b32 v73, v3
	s_branch .LBB1119_685
.LBB1119_835:                           ;   in Loop: Header=BB1119_686 Depth=2
	ds_read_b64 v[37:38], v106 offset:512
	s_waitcnt lgkmcnt(0)
	v_cmp_ne_u64_e64 s22, s[56:57], v[37:38]
	v_cndmask_b32_e64 v44, 0x7fffffff, v38, s22
	v_cndmask_b32_e64 v43, -1, v37, s22
	v_cmp_gt_i64_e64 s22, 0, v[37:38]
	v_lshrrev_b64 v[43:44], s52, v[43:44]
	v_cndmask_b32_e64 v45, 0x7fffffff, 0, s22
	v_and_b32_e32 v3, s64, v43
	v_ashrrev_i32_e32 v43, 31, v38
	v_xor_b32_e32 v38, v45, v38
	v_lshlrev_b32_e32 v3, 2, v3
	v_not_b32_e32 v46, v43
	ds_read_b32 v3, v3
	v_xor_b32_e32 v37, v46, v37
	s_waitcnt lgkmcnt(0)
	v_add_nc_u32_e32 v3, v3, v0
	v_lshlrev_b64 v[43:44], 3, v[3:4]
	v_add_co_u32 v43, s22, s42, v43
	v_add_co_ci_u32_e64 v44, null, s43, v44, s22
	global_store_dwordx2 v[43:44], v[37:38], off
	s_or_b32 exec_lo, exec_lo, s23
	v_cmp_lt_u32_e64 s22, v74, v167
	s_and_saveexec_b32 s24, s22
	s_cbranch_execz .LBB1119_768
.LBB1119_836:                           ;   in Loop: Header=BB1119_686 Depth=2
	ds_read_b64 v[37:38], v106 offset:2560
	s_waitcnt lgkmcnt(0)
	v_cmp_ne_u64_e64 s23, s[56:57], v[37:38]
	v_cndmask_b32_e64 v44, 0x7fffffff, v38, s23
	v_cndmask_b32_e64 v43, -1, v37, s23
	v_cmp_gt_i64_e64 s23, 0, v[37:38]
	v_lshrrev_b64 v[43:44], s52, v[43:44]
	v_cndmask_b32_e64 v45, 0x7fffffff, 0, s23
	v_and_b32_e32 v3, s64, v43
	v_ashrrev_i32_e32 v43, 31, v38
	v_xor_b32_e32 v38, v45, v38
	v_lshlrev_b32_e32 v3, 2, v3
	v_not_b32_e32 v46, v43
	ds_read_b32 v3, v3
	v_xor_b32_e32 v37, v46, v37
	s_waitcnt lgkmcnt(0)
	v_add_nc_u32_e32 v3, v3, v74
	v_lshlrev_b64 v[43:44], 3, v[3:4]
	v_add_co_u32 v43, s23, s42, v43
	v_add_co_ci_u32_e64 v44, null, s43, v44, s23
	global_store_dwordx2 v[43:44], v[37:38], off
	s_or_b32 exec_lo, exec_lo, s24
	v_cmp_lt_u32_e64 s23, v77, v167
	s_and_saveexec_b32 s25, s23
	s_cbranch_execz .LBB1119_769
.LBB1119_837:                           ;   in Loop: Header=BB1119_686 Depth=2
	ds_read_b64 v[37:38], v106 offset:4608
	s_waitcnt lgkmcnt(0)
	v_cmp_ne_u64_e64 s24, s[56:57], v[37:38]
	v_cndmask_b32_e64 v44, 0x7fffffff, v38, s24
	v_cndmask_b32_e64 v43, -1, v37, s24
	v_cmp_gt_i64_e64 s24, 0, v[37:38]
	v_lshrrev_b64 v[43:44], s52, v[43:44]
	v_cndmask_b32_e64 v45, 0x7fffffff, 0, s24
	v_and_b32_e32 v3, s64, v43
	v_ashrrev_i32_e32 v43, 31, v38
	v_xor_b32_e32 v38, v45, v38
	v_lshlrev_b32_e32 v3, 2, v3
	v_not_b32_e32 v46, v43
	ds_read_b32 v3, v3
	v_xor_b32_e32 v37, v46, v37
	s_waitcnt lgkmcnt(0)
	v_add_nc_u32_e32 v3, v3, v77
	v_lshlrev_b64 v[43:44], 3, v[3:4]
	v_add_co_u32 v43, s24, s42, v43
	v_add_co_ci_u32_e64 v44, null, s43, v44, s24
	global_store_dwordx2 v[43:44], v[37:38], off
	s_or_b32 exec_lo, exec_lo, s25
	v_cmp_lt_u32_e64 s24, v78, v167
	s_and_saveexec_b32 s26, s24
	s_cbranch_execz .LBB1119_770
.LBB1119_838:                           ;   in Loop: Header=BB1119_686 Depth=2
	ds_read_b64 v[37:38], v106 offset:6656
	s_waitcnt lgkmcnt(0)
	v_cmp_ne_u64_e64 s25, s[56:57], v[37:38]
	v_cndmask_b32_e64 v44, 0x7fffffff, v38, s25
	v_cndmask_b32_e64 v43, -1, v37, s25
	v_cmp_gt_i64_e64 s25, 0, v[37:38]
	v_lshrrev_b64 v[43:44], s52, v[43:44]
	v_cndmask_b32_e64 v45, 0x7fffffff, 0, s25
	v_and_b32_e32 v3, s64, v43
	v_ashrrev_i32_e32 v43, 31, v38
	v_xor_b32_e32 v38, v45, v38
	v_lshlrev_b32_e32 v3, 2, v3
	v_not_b32_e32 v46, v43
	ds_read_b32 v3, v3
	v_xor_b32_e32 v37, v46, v37
	s_waitcnt lgkmcnt(0)
	v_add_nc_u32_e32 v3, v3, v78
	v_lshlrev_b64 v[43:44], 3, v[3:4]
	v_add_co_u32 v43, s25, s42, v43
	v_add_co_ci_u32_e64 v44, null, s43, v44, s25
	global_store_dwordx2 v[43:44], v[37:38], off
	s_or_b32 exec_lo, exec_lo, s26
	v_cmp_lt_u32_e64 s25, v79, v167
	s_and_saveexec_b32 s27, s25
	s_cbranch_execz .LBB1119_771
.LBB1119_839:                           ;   in Loop: Header=BB1119_686 Depth=2
	ds_read_b64 v[37:38], v106 offset:8704
	s_waitcnt lgkmcnt(0)
	v_cmp_ne_u64_e64 s26, s[56:57], v[37:38]
	v_cndmask_b32_e64 v44, 0x7fffffff, v38, s26
	v_cndmask_b32_e64 v43, -1, v37, s26
	v_cmp_gt_i64_e64 s26, 0, v[37:38]
	v_lshrrev_b64 v[43:44], s52, v[43:44]
	v_cndmask_b32_e64 v45, 0x7fffffff, 0, s26
	v_and_b32_e32 v3, s64, v43
	v_ashrrev_i32_e32 v43, 31, v38
	v_xor_b32_e32 v38, v45, v38
	v_lshlrev_b32_e32 v3, 2, v3
	v_not_b32_e32 v46, v43
	ds_read_b32 v3, v3
	v_xor_b32_e32 v37, v46, v37
	s_waitcnt lgkmcnt(0)
	v_add_nc_u32_e32 v3, v3, v79
	v_lshlrev_b64 v[43:44], 3, v[3:4]
	v_add_co_u32 v43, s26, s42, v43
	v_add_co_ci_u32_e64 v44, null, s43, v44, s26
	global_store_dwordx2 v[43:44], v[37:38], off
	s_or_b32 exec_lo, exec_lo, s27
	v_cmp_lt_u32_e64 s26, v80, v167
	s_and_saveexec_b32 s28, s26
	s_cbranch_execz .LBB1119_772
.LBB1119_840:                           ;   in Loop: Header=BB1119_686 Depth=2
	ds_read_b64 v[37:38], v106 offset:10752
	s_waitcnt lgkmcnt(0)
	v_cmp_ne_u64_e64 s27, s[56:57], v[37:38]
	v_cndmask_b32_e64 v44, 0x7fffffff, v38, s27
	v_cndmask_b32_e64 v43, -1, v37, s27
	v_cmp_gt_i64_e64 s27, 0, v[37:38]
	v_lshrrev_b64 v[43:44], s52, v[43:44]
	v_cndmask_b32_e64 v45, 0x7fffffff, 0, s27
	v_and_b32_e32 v3, s64, v43
	v_ashrrev_i32_e32 v43, 31, v38
	v_xor_b32_e32 v38, v45, v38
	v_lshlrev_b32_e32 v3, 2, v3
	v_not_b32_e32 v46, v43
	ds_read_b32 v3, v3
	v_xor_b32_e32 v37, v46, v37
	s_waitcnt lgkmcnt(0)
	v_add_nc_u32_e32 v3, v3, v80
	v_lshlrev_b64 v[43:44], 3, v[3:4]
	v_add_co_u32 v43, s27, s42, v43
	v_add_co_ci_u32_e64 v44, null, s43, v44, s27
	global_store_dwordx2 v[43:44], v[37:38], off
	s_or_b32 exec_lo, exec_lo, s28
	v_cmp_lt_u32_e64 s27, v81, v167
	s_and_saveexec_b32 s30, s27
	s_cbranch_execz .LBB1119_773
.LBB1119_841:                           ;   in Loop: Header=BB1119_686 Depth=2
	ds_read_b64 v[37:38], v106 offset:12800
	s_waitcnt lgkmcnt(0)
	v_cmp_ne_u64_e64 s28, s[56:57], v[37:38]
	v_cndmask_b32_e64 v44, 0x7fffffff, v38, s28
	v_cndmask_b32_e64 v43, -1, v37, s28
	v_cmp_gt_i64_e64 s28, 0, v[37:38]
	v_lshrrev_b64 v[43:44], s52, v[43:44]
	v_cndmask_b32_e64 v45, 0x7fffffff, 0, s28
	v_and_b32_e32 v3, s64, v43
	v_ashrrev_i32_e32 v43, 31, v38
	v_xor_b32_e32 v38, v45, v38
	v_lshlrev_b32_e32 v3, 2, v3
	v_not_b32_e32 v46, v43
	ds_read_b32 v3, v3
	v_xor_b32_e32 v37, v46, v37
	s_waitcnt lgkmcnt(0)
	v_add_nc_u32_e32 v3, v3, v81
	v_lshlrev_b64 v[43:44], 3, v[3:4]
	v_add_co_u32 v43, s28, s42, v43
	v_add_co_ci_u32_e64 v44, null, s43, v44, s28
	global_store_dwordx2 v[43:44], v[37:38], off
	s_or_b32 exec_lo, exec_lo, s30
	v_cmp_lt_u32_e64 s28, v82, v167
	s_and_saveexec_b32 s31, s28
	s_cbranch_execz .LBB1119_774
.LBB1119_842:                           ;   in Loop: Header=BB1119_686 Depth=2
	ds_read_b64 v[37:38], v106 offset:14848
	s_waitcnt lgkmcnt(0)
	v_cmp_ne_u64_e64 s30, s[56:57], v[37:38]
	v_cndmask_b32_e64 v44, 0x7fffffff, v38, s30
	v_cndmask_b32_e64 v43, -1, v37, s30
	v_cmp_gt_i64_e64 s30, 0, v[37:38]
	v_lshrrev_b64 v[43:44], s52, v[43:44]
	v_cndmask_b32_e64 v45, 0x7fffffff, 0, s30
	v_and_b32_e32 v3, s64, v43
	v_ashrrev_i32_e32 v43, 31, v38
	v_xor_b32_e32 v38, v45, v38
	v_lshlrev_b32_e32 v3, 2, v3
	v_not_b32_e32 v46, v43
	ds_read_b32 v3, v3
	v_xor_b32_e32 v37, v46, v37
	s_waitcnt lgkmcnt(0)
	v_add_nc_u32_e32 v3, v3, v82
	v_lshlrev_b64 v[43:44], 3, v[3:4]
	v_add_co_u32 v43, s30, s42, v43
	v_add_co_ci_u32_e64 v44, null, s43, v44, s30
	global_store_dwordx2 v[43:44], v[37:38], off
	s_or_b32 exec_lo, exec_lo, s31
	v_cmp_lt_u32_e64 s30, v83, v167
	s_and_saveexec_b32 s33, s30
	s_cbranch_execz .LBB1119_775
.LBB1119_843:                           ;   in Loop: Header=BB1119_686 Depth=2
	ds_read_b64 v[37:38], v106 offset:16896
	s_waitcnt lgkmcnt(0)
	v_cmp_ne_u64_e64 s31, s[56:57], v[37:38]
	v_cndmask_b32_e64 v44, 0x7fffffff, v38, s31
	v_cndmask_b32_e64 v43, -1, v37, s31
	v_cmp_gt_i64_e64 s31, 0, v[37:38]
	v_lshrrev_b64 v[43:44], s52, v[43:44]
	v_cndmask_b32_e64 v45, 0x7fffffff, 0, s31
	v_and_b32_e32 v3, s64, v43
	v_ashrrev_i32_e32 v43, 31, v38
	v_xor_b32_e32 v38, v45, v38
	v_lshlrev_b32_e32 v3, 2, v3
	v_not_b32_e32 v46, v43
	ds_read_b32 v3, v3
	v_xor_b32_e32 v37, v46, v37
	s_waitcnt lgkmcnt(0)
	v_add_nc_u32_e32 v3, v3, v83
	v_lshlrev_b64 v[43:44], 3, v[3:4]
	v_add_co_u32 v43, s31, s42, v43
	v_add_co_ci_u32_e64 v44, null, s43, v44, s31
	global_store_dwordx2 v[43:44], v[37:38], off
	s_or_b32 exec_lo, exec_lo, s33
	v_cmp_lt_u32_e64 s31, v84, v167
	s_and_saveexec_b32 s34, s31
	s_cbranch_execz .LBB1119_776
.LBB1119_844:                           ;   in Loop: Header=BB1119_686 Depth=2
	ds_read_b64 v[37:38], v106 offset:18944
	s_waitcnt lgkmcnt(0)
	v_cmp_ne_u64_e64 s33, s[56:57], v[37:38]
	v_cndmask_b32_e64 v44, 0x7fffffff, v38, s33
	v_cndmask_b32_e64 v43, -1, v37, s33
	v_cmp_gt_i64_e64 s33, 0, v[37:38]
	v_lshrrev_b64 v[43:44], s52, v[43:44]
	v_cndmask_b32_e64 v45, 0x7fffffff, 0, s33
	v_and_b32_e32 v3, s64, v43
	v_ashrrev_i32_e32 v43, 31, v38
	v_xor_b32_e32 v38, v45, v38
	v_lshlrev_b32_e32 v3, 2, v3
	v_not_b32_e32 v46, v43
	ds_read_b32 v3, v3
	v_xor_b32_e32 v37, v46, v37
	s_waitcnt lgkmcnt(0)
	v_add_nc_u32_e32 v3, v3, v84
	v_lshlrev_b64 v[43:44], 3, v[3:4]
	v_add_co_u32 v43, s33, s42, v43
	v_add_co_ci_u32_e64 v44, null, s43, v44, s33
	global_store_dwordx2 v[43:44], v[37:38], off
	s_or_b32 exec_lo, exec_lo, s34
	v_cmp_lt_u32_e64 s33, v85, v167
	s_and_saveexec_b32 s35, s33
	s_cbranch_execz .LBB1119_777
.LBB1119_845:                           ;   in Loop: Header=BB1119_686 Depth=2
	ds_read_b64 v[37:38], v106 offset:20992
	s_waitcnt lgkmcnt(0)
	v_cmp_ne_u64_e64 s34, s[56:57], v[37:38]
	v_cndmask_b32_e64 v44, 0x7fffffff, v38, s34
	v_cndmask_b32_e64 v43, -1, v37, s34
	v_cmp_gt_i64_e64 s34, 0, v[37:38]
	v_lshrrev_b64 v[43:44], s52, v[43:44]
	v_cndmask_b32_e64 v45, 0x7fffffff, 0, s34
	v_and_b32_e32 v3, s64, v43
	v_ashrrev_i32_e32 v43, 31, v38
	v_xor_b32_e32 v38, v45, v38
	v_lshlrev_b32_e32 v3, 2, v3
	v_not_b32_e32 v46, v43
	ds_read_b32 v3, v3
	v_xor_b32_e32 v37, v46, v37
	s_waitcnt lgkmcnt(0)
	v_add_nc_u32_e32 v3, v3, v85
	v_lshlrev_b64 v[43:44], 3, v[3:4]
	v_add_co_u32 v43, s34, s42, v43
	v_add_co_ci_u32_e64 v44, null, s43, v44, s34
	global_store_dwordx2 v[43:44], v[37:38], off
	s_or_b32 exec_lo, exec_lo, s35
	v_cmp_lt_u32_e64 s34, v86, v167
	s_and_saveexec_b32 s36, s34
	s_cbranch_execz .LBB1119_778
.LBB1119_846:                           ;   in Loop: Header=BB1119_686 Depth=2
	ds_read_b64 v[37:38], v106 offset:23040
	s_waitcnt lgkmcnt(0)
	v_cmp_ne_u64_e64 s35, s[56:57], v[37:38]
	v_cndmask_b32_e64 v44, 0x7fffffff, v38, s35
	v_cndmask_b32_e64 v43, -1, v37, s35
	v_cmp_gt_i64_e64 s35, 0, v[37:38]
	v_lshrrev_b64 v[43:44], s52, v[43:44]
	v_cndmask_b32_e64 v45, 0x7fffffff, 0, s35
	v_and_b32_e32 v3, s64, v43
	v_ashrrev_i32_e32 v43, 31, v38
	v_xor_b32_e32 v38, v45, v38
	v_lshlrev_b32_e32 v3, 2, v3
	v_not_b32_e32 v46, v43
	ds_read_b32 v3, v3
	v_xor_b32_e32 v37, v46, v37
	s_waitcnt lgkmcnt(0)
	v_add_nc_u32_e32 v3, v3, v86
	v_lshlrev_b64 v[43:44], 3, v[3:4]
	v_add_co_u32 v43, s35, s42, v43
	v_add_co_ci_u32_e64 v44, null, s43, v44, s35
	global_store_dwordx2 v[43:44], v[37:38], off
	s_or_b32 exec_lo, exec_lo, s36
	v_cmp_lt_u32_e64 s35, v87, v167
	s_and_saveexec_b32 s37, s35
	s_cbranch_execz .LBB1119_779
.LBB1119_847:                           ;   in Loop: Header=BB1119_686 Depth=2
	ds_read_b64 v[37:38], v106 offset:25088
	s_waitcnt lgkmcnt(0)
	v_cmp_ne_u64_e64 s36, s[56:57], v[37:38]
	v_cndmask_b32_e64 v44, 0x7fffffff, v38, s36
	v_cndmask_b32_e64 v43, -1, v37, s36
	v_cmp_gt_i64_e64 s36, 0, v[37:38]
	v_lshrrev_b64 v[43:44], s52, v[43:44]
	v_cndmask_b32_e64 v45, 0x7fffffff, 0, s36
	v_and_b32_e32 v3, s64, v43
	v_ashrrev_i32_e32 v43, 31, v38
	v_xor_b32_e32 v38, v45, v38
	v_lshlrev_b32_e32 v3, 2, v3
	v_not_b32_e32 v46, v43
	ds_read_b32 v3, v3
	v_xor_b32_e32 v37, v46, v37
	s_waitcnt lgkmcnt(0)
	v_add_nc_u32_e32 v3, v3, v87
	v_lshlrev_b64 v[43:44], 3, v[3:4]
	v_add_co_u32 v43, s36, s42, v43
	v_add_co_ci_u32_e64 v44, null, s43, v44, s36
	global_store_dwordx2 v[43:44], v[37:38], off
	s_or_b32 exec_lo, exec_lo, s37
	v_cmp_lt_u32_e64 s36, v88, v167
	s_and_saveexec_b32 s38, s36
	s_cbranch_execz .LBB1119_780
.LBB1119_848:                           ;   in Loop: Header=BB1119_686 Depth=2
	ds_read_b64 v[37:38], v106 offset:27136
	s_waitcnt lgkmcnt(0)
	v_cmp_ne_u64_e64 s37, s[56:57], v[37:38]
	v_cndmask_b32_e64 v44, 0x7fffffff, v38, s37
	v_cndmask_b32_e64 v43, -1, v37, s37
	v_cmp_gt_i64_e64 s37, 0, v[37:38]
	v_lshrrev_b64 v[43:44], s52, v[43:44]
	v_cndmask_b32_e64 v45, 0x7fffffff, 0, s37
	v_and_b32_e32 v3, s64, v43
	v_ashrrev_i32_e32 v43, 31, v38
	v_xor_b32_e32 v38, v45, v38
	v_lshlrev_b32_e32 v3, 2, v3
	v_not_b32_e32 v46, v43
	ds_read_b32 v3, v3
	v_xor_b32_e32 v37, v46, v37
	s_waitcnt lgkmcnt(0)
	v_add_nc_u32_e32 v3, v3, v88
	v_lshlrev_b64 v[43:44], 3, v[3:4]
	v_add_co_u32 v43, s37, s42, v43
	v_add_co_ci_u32_e64 v44, null, s43, v44, s37
	global_store_dwordx2 v[43:44], v[37:38], off
	s_or_b32 exec_lo, exec_lo, s38
	v_cmp_lt_u32_e64 s37, v89, v167
	s_and_saveexec_b32 s39, s37
	s_cbranch_execz .LBB1119_781
.LBB1119_849:                           ;   in Loop: Header=BB1119_686 Depth=2
	ds_read_b64 v[37:38], v106 offset:29184
	s_waitcnt lgkmcnt(0)
	v_cmp_ne_u64_e64 s38, s[56:57], v[37:38]
	v_cndmask_b32_e64 v44, 0x7fffffff, v38, s38
	v_cndmask_b32_e64 v43, -1, v37, s38
	v_cmp_gt_i64_e64 s38, 0, v[37:38]
	v_lshrrev_b64 v[43:44], s52, v[43:44]
	v_cndmask_b32_e64 v45, 0x7fffffff, 0, s38
	v_and_b32_e32 v3, s64, v43
	v_ashrrev_i32_e32 v43, 31, v38
	v_xor_b32_e32 v38, v45, v38
	v_lshlrev_b32_e32 v3, 2, v3
	v_not_b32_e32 v46, v43
	ds_read_b32 v3, v3
	v_xor_b32_e32 v37, v46, v37
	s_waitcnt lgkmcnt(0)
	v_add_nc_u32_e32 v3, v3, v89
	v_lshlrev_b64 v[43:44], 3, v[3:4]
	v_add_co_u32 v43, s38, s42, v43
	v_add_co_ci_u32_e64 v44, null, s43, v44, s38
	global_store_dwordx2 v[43:44], v[37:38], off
	s_or_b32 exec_lo, exec_lo, s39
	v_cmp_lt_u32_e64 s38, v90, v167
	s_and_saveexec_b32 s47, s38
	s_cbranch_execnz .LBB1119_782
	s_branch .LBB1119_783
.LBB1119_850:                           ;   in Loop: Header=BB1119_686 Depth=2
	global_load_dwordx2 v[35:36], v[37:38], off
	s_or_b32 exec_lo, exec_lo, s39
	s_mov_b32 s46, exec_lo
	v_cmpx_lt_u32_e64 v131, v167
	s_cbranch_execz .LBB1119_785
.LBB1119_851:                           ;   in Loop: Header=BB1119_686 Depth=2
	global_load_dwordx2 v[33:34], v[37:38], off offset:256
	s_or_b32 exec_lo, exec_lo, s46
	s_mov_b32 s46, exec_lo
	v_cmpx_lt_u32_e64 v132, v167
	s_cbranch_execz .LBB1119_786
.LBB1119_852:                           ;   in Loop: Header=BB1119_686 Depth=2
	global_load_dwordx2 v[31:32], v[37:38], off offset:512
	s_or_b32 exec_lo, exec_lo, s46
	s_mov_b32 s46, exec_lo
	v_cmpx_lt_u32_e64 v133, v167
	s_cbranch_execz .LBB1119_787
.LBB1119_853:                           ;   in Loop: Header=BB1119_686 Depth=2
	global_load_dwordx2 v[29:30], v[37:38], off offset:768
	s_or_b32 exec_lo, exec_lo, s46
	s_mov_b32 s46, exec_lo
	v_cmpx_lt_u32_e64 v134, v167
	s_cbranch_execz .LBB1119_788
.LBB1119_854:                           ;   in Loop: Header=BB1119_686 Depth=2
	global_load_dwordx2 v[27:28], v[37:38], off offset:1024
	s_or_b32 exec_lo, exec_lo, s46
	s_mov_b32 s46, exec_lo
	v_cmpx_lt_u32_e64 v135, v167
	s_cbranch_execz .LBB1119_789
.LBB1119_855:                           ;   in Loop: Header=BB1119_686 Depth=2
	global_load_dwordx2 v[23:24], v[37:38], off offset:1280
	s_or_b32 exec_lo, exec_lo, s46
	s_mov_b32 s46, exec_lo
	v_cmpx_lt_u32_e64 v136, v167
	s_cbranch_execz .LBB1119_790
.LBB1119_856:                           ;   in Loop: Header=BB1119_686 Depth=2
	global_load_dwordx2 v[19:20], v[37:38], off offset:1536
	s_or_b32 exec_lo, exec_lo, s46
	s_mov_b32 s46, exec_lo
	v_cmpx_lt_u32_e64 v137, v167
	s_cbranch_execz .LBB1119_791
.LBB1119_857:                           ;   in Loop: Header=BB1119_686 Depth=2
	global_load_dwordx2 v[15:16], v[37:38], off offset:1792
	s_or_b32 exec_lo, exec_lo, s46
	s_mov_b32 s46, exec_lo
	v_cmpx_lt_u32_e64 v138, v167
	s_cbranch_execz .LBB1119_792
.LBB1119_858:                           ;   in Loop: Header=BB1119_686 Depth=2
	v_add_co_u32 v25, s39, 0x800, v37
	v_add_co_ci_u32_e64 v26, null, 0, v38, s39
	global_load_dwordx2 v[25:26], v[25:26], off
	s_or_b32 exec_lo, exec_lo, s46
	s_mov_b32 s46, exec_lo
	v_cmpx_lt_u32_e64 v139, v167
	s_cbranch_execz .LBB1119_793
.LBB1119_859:                           ;   in Loop: Header=BB1119_686 Depth=2
	v_add_co_u32 v21, s39, 0x800, v37
	v_add_co_ci_u32_e64 v22, null, 0, v38, s39
	global_load_dwordx2 v[21:22], v[21:22], off offset:256
	s_or_b32 exec_lo, exec_lo, s46
	s_mov_b32 s46, exec_lo
	v_cmpx_lt_u32_e64 v140, v167
	s_cbranch_execz .LBB1119_794
.LBB1119_860:                           ;   in Loop: Header=BB1119_686 Depth=2
	v_add_co_u32 v17, s39, 0x800, v37
	v_add_co_ci_u32_e64 v18, null, 0, v38, s39
	global_load_dwordx2 v[17:18], v[17:18], off offset:512
	s_or_b32 exec_lo, exec_lo, s46
	s_mov_b32 s46, exec_lo
	v_cmpx_lt_u32_e64 v141, v167
	s_cbranch_execz .LBB1119_795
.LBB1119_861:                           ;   in Loop: Header=BB1119_686 Depth=2
	v_add_co_u32 v13, s39, 0x800, v37
	v_add_co_ci_u32_e64 v14, null, 0, v38, s39
	global_load_dwordx2 v[13:14], v[13:14], off offset:768
	s_or_b32 exec_lo, exec_lo, s46
	s_mov_b32 s46, exec_lo
	v_cmpx_lt_u32_e64 v142, v167
	s_cbranch_execz .LBB1119_796
.LBB1119_862:                           ;   in Loop: Header=BB1119_686 Depth=2
	v_add_co_u32 v11, s39, 0x800, v37
	v_add_co_ci_u32_e64 v12, null, 0, v38, s39
	global_load_dwordx2 v[11:12], v[11:12], off offset:1024
	s_or_b32 exec_lo, exec_lo, s46
	s_mov_b32 s46, exec_lo
	v_cmpx_lt_u32_e64 v143, v167
	s_cbranch_execz .LBB1119_797
.LBB1119_863:                           ;   in Loop: Header=BB1119_686 Depth=2
	v_add_co_u32 v9, s39, 0x800, v37
	v_add_co_ci_u32_e64 v10, null, 0, v38, s39
	global_load_dwordx2 v[9:10], v[9:10], off offset:1280
	s_or_b32 exec_lo, exec_lo, s46
	s_mov_b32 s46, exec_lo
	v_cmpx_lt_u32_e64 v144, v167
	s_cbranch_execz .LBB1119_798
.LBB1119_864:                           ;   in Loop: Header=BB1119_686 Depth=2
	v_add_co_u32 v7, s39, 0x800, v37
	v_add_co_ci_u32_e64 v8, null, 0, v38, s39
	global_load_dwordx2 v[7:8], v[7:8], off offset:1536
	s_or_b32 exec_lo, exec_lo, s46
	s_mov_b32 s46, exec_lo
	v_cmpx_lt_u32_e64 v145, v167
	s_cbranch_execz .LBB1119_799
.LBB1119_865:                           ;   in Loop: Header=BB1119_686 Depth=2
	v_add_co_u32 v5, s39, 0x800, v37
	v_add_co_ci_u32_e64 v6, null, 0, v38, s39
	global_load_dwordx2 v[5:6], v[5:6], off offset:1792
	s_or_b32 exec_lo, exec_lo, s46
	s_and_saveexec_b32 s46, vcc_lo
	s_cbranch_execz .LBB1119_800
.LBB1119_866:                           ;   in Loop: Header=BB1119_686 Depth=2
	ds_read_b64 v[37:38], v106 offset:512
	s_waitcnt lgkmcnt(0)
	v_cmp_ne_u64_e64 s39, s[56:57], v[37:38]
	v_cndmask_b32_e64 v38, 0x7fffffff, v38, s39
	v_cndmask_b32_e64 v37, -1, v37, s39
	v_lshrrev_b64 v[37:38], s52, v[37:38]
	v_and_b32_e32 v165, s64, v37
	s_or_b32 exec_lo, exec_lo, s46
	s_and_saveexec_b32 s46, s22
	s_cbranch_execz .LBB1119_801
.LBB1119_867:                           ;   in Loop: Header=BB1119_686 Depth=2
	ds_read_b64 v[37:38], v106 offset:2560
	s_waitcnt lgkmcnt(0)
	v_cmp_ne_u64_e64 s39, s[56:57], v[37:38]
	v_cndmask_b32_e64 v38, 0x7fffffff, v38, s39
	v_cndmask_b32_e64 v37, -1, v37, s39
	v_lshrrev_b64 v[37:38], s52, v[37:38]
	v_and_b32_e32 v164, s64, v37
	s_or_b32 exec_lo, exec_lo, s46
	s_and_saveexec_b32 s46, s23
	s_cbranch_execz .LBB1119_802
.LBB1119_868:                           ;   in Loop: Header=BB1119_686 Depth=2
	ds_read_b64 v[37:38], v106 offset:4608
	s_waitcnt lgkmcnt(0)
	v_cmp_ne_u64_e64 s39, s[56:57], v[37:38]
	v_cndmask_b32_e64 v38, 0x7fffffff, v38, s39
	v_cndmask_b32_e64 v37, -1, v37, s39
	v_lshrrev_b64 v[37:38], s52, v[37:38]
	v_and_b32_e32 v163, s64, v37
	s_or_b32 exec_lo, exec_lo, s46
	s_and_saveexec_b32 s46, s24
	s_cbranch_execz .LBB1119_803
.LBB1119_869:                           ;   in Loop: Header=BB1119_686 Depth=2
	ds_read_b64 v[37:38], v106 offset:6656
	s_waitcnt lgkmcnt(0)
	v_cmp_ne_u64_e64 s39, s[56:57], v[37:38]
	v_cndmask_b32_e64 v38, 0x7fffffff, v38, s39
	v_cndmask_b32_e64 v37, -1, v37, s39
	v_lshrrev_b64 v[37:38], s52, v[37:38]
	v_and_b32_e32 v162, s64, v37
	s_or_b32 exec_lo, exec_lo, s46
	s_and_saveexec_b32 s46, s25
	s_cbranch_execz .LBB1119_804
.LBB1119_870:                           ;   in Loop: Header=BB1119_686 Depth=2
	ds_read_b64 v[37:38], v106 offset:8704
	s_waitcnt lgkmcnt(0)
	v_cmp_ne_u64_e64 s39, s[56:57], v[37:38]
	v_cndmask_b32_e64 v38, 0x7fffffff, v38, s39
	v_cndmask_b32_e64 v37, -1, v37, s39
	v_lshrrev_b64 v[37:38], s52, v[37:38]
	v_and_b32_e32 v161, s64, v37
	s_or_b32 exec_lo, exec_lo, s46
	s_and_saveexec_b32 s46, s26
	s_cbranch_execz .LBB1119_805
.LBB1119_871:                           ;   in Loop: Header=BB1119_686 Depth=2
	ds_read_b64 v[37:38], v106 offset:10752
	s_waitcnt lgkmcnt(0)
	v_cmp_ne_u64_e64 s39, s[56:57], v[37:38]
	v_cndmask_b32_e64 v38, 0x7fffffff, v38, s39
	v_cndmask_b32_e64 v37, -1, v37, s39
	v_lshrrev_b64 v[37:38], s52, v[37:38]
	v_and_b32_e32 v160, s64, v37
	s_or_b32 exec_lo, exec_lo, s46
	s_and_saveexec_b32 s46, s27
	s_cbranch_execz .LBB1119_806
.LBB1119_872:                           ;   in Loop: Header=BB1119_686 Depth=2
	ds_read_b64 v[37:38], v106 offset:12800
	s_waitcnt lgkmcnt(0)
	v_cmp_ne_u64_e64 s39, s[56:57], v[37:38]
	v_cndmask_b32_e64 v38, 0x7fffffff, v38, s39
	v_cndmask_b32_e64 v37, -1, v37, s39
	v_lshrrev_b64 v[37:38], s52, v[37:38]
	v_and_b32_e32 v159, s64, v37
	s_or_b32 exec_lo, exec_lo, s46
	s_and_saveexec_b32 s46, s28
	s_cbranch_execz .LBB1119_807
.LBB1119_873:                           ;   in Loop: Header=BB1119_686 Depth=2
	ds_read_b64 v[37:38], v106 offset:14848
	s_waitcnt lgkmcnt(0)
	v_cmp_ne_u64_e64 s39, s[56:57], v[37:38]
	v_cndmask_b32_e64 v38, 0x7fffffff, v38, s39
	v_cndmask_b32_e64 v37, -1, v37, s39
	v_lshrrev_b64 v[37:38], s52, v[37:38]
	v_and_b32_e32 v158, s64, v37
	s_or_b32 exec_lo, exec_lo, s46
	s_and_saveexec_b32 s46, s30
	s_cbranch_execz .LBB1119_808
.LBB1119_874:                           ;   in Loop: Header=BB1119_686 Depth=2
	ds_read_b64 v[37:38], v106 offset:16896
	s_waitcnt lgkmcnt(0)
	v_cmp_ne_u64_e64 s39, s[56:57], v[37:38]
	v_cndmask_b32_e64 v38, 0x7fffffff, v38, s39
	v_cndmask_b32_e64 v37, -1, v37, s39
	v_lshrrev_b64 v[37:38], s52, v[37:38]
	v_and_b32_e32 v157, s64, v37
	s_or_b32 exec_lo, exec_lo, s46
	s_and_saveexec_b32 s46, s31
	s_cbranch_execz .LBB1119_809
.LBB1119_875:                           ;   in Loop: Header=BB1119_686 Depth=2
	ds_read_b64 v[37:38], v106 offset:18944
	s_waitcnt lgkmcnt(0)
	v_cmp_ne_u64_e64 s39, s[56:57], v[37:38]
	v_cndmask_b32_e64 v38, 0x7fffffff, v38, s39
	v_cndmask_b32_e64 v37, -1, v37, s39
	v_lshrrev_b64 v[37:38], s52, v[37:38]
	v_and_b32_e32 v155, s64, v37
	s_or_b32 exec_lo, exec_lo, s46
	s_and_saveexec_b32 s46, s33
	s_cbranch_execz .LBB1119_810
.LBB1119_876:                           ;   in Loop: Header=BB1119_686 Depth=2
	ds_read_b64 v[37:38], v106 offset:20992
	s_waitcnt lgkmcnt(0)
	v_cmp_ne_u64_e64 s39, s[56:57], v[37:38]
	v_cndmask_b32_e64 v38, 0x7fffffff, v38, s39
	v_cndmask_b32_e64 v37, -1, v37, s39
	v_lshrrev_b64 v[37:38], s52, v[37:38]
	v_and_b32_e32 v154, s64, v37
	s_or_b32 exec_lo, exec_lo, s46
	s_and_saveexec_b32 s46, s34
	s_cbranch_execz .LBB1119_811
.LBB1119_877:                           ;   in Loop: Header=BB1119_686 Depth=2
	ds_read_b64 v[37:38], v106 offset:23040
	s_waitcnt lgkmcnt(0)
	v_cmp_ne_u64_e64 s39, s[56:57], v[37:38]
	v_cndmask_b32_e64 v38, 0x7fffffff, v38, s39
	v_cndmask_b32_e64 v37, -1, v37, s39
	v_lshrrev_b64 v[37:38], s52, v[37:38]
	v_and_b32_e32 v153, s64, v37
	s_or_b32 exec_lo, exec_lo, s46
	s_and_saveexec_b32 s46, s35
	s_cbranch_execz .LBB1119_812
.LBB1119_878:                           ;   in Loop: Header=BB1119_686 Depth=2
	ds_read_b64 v[37:38], v106 offset:25088
	s_waitcnt lgkmcnt(0)
	v_cmp_ne_u64_e64 s39, s[56:57], v[37:38]
	v_cndmask_b32_e64 v38, 0x7fffffff, v38, s39
	v_cndmask_b32_e64 v37, -1, v37, s39
	v_lshrrev_b64 v[37:38], s52, v[37:38]
	v_and_b32_e32 v152, s64, v37
	s_or_b32 exec_lo, exec_lo, s46
	s_and_saveexec_b32 s46, s36
	s_cbranch_execz .LBB1119_813
.LBB1119_879:                           ;   in Loop: Header=BB1119_686 Depth=2
	ds_read_b64 v[37:38], v106 offset:27136
	s_waitcnt lgkmcnt(0)
	v_cmp_ne_u64_e64 s39, s[56:57], v[37:38]
	v_cndmask_b32_e64 v38, 0x7fffffff, v38, s39
	v_cndmask_b32_e64 v37, -1, v37, s39
	v_lshrrev_b64 v[37:38], s52, v[37:38]
	v_and_b32_e32 v151, s64, v37
	s_or_b32 exec_lo, exec_lo, s46
	s_and_saveexec_b32 s46, s37
	s_cbranch_execz .LBB1119_814
.LBB1119_880:                           ;   in Loop: Header=BB1119_686 Depth=2
	ds_read_b64 v[37:38], v106 offset:29184
	s_waitcnt lgkmcnt(0)
	v_cmp_ne_u64_e64 s39, s[56:57], v[37:38]
	v_cndmask_b32_e64 v38, 0x7fffffff, v38, s39
	v_cndmask_b32_e64 v37, -1, v37, s39
	v_lshrrev_b64 v[37:38], s52, v[37:38]
	v_and_b32_e32 v150, s64, v37
	s_or_b32 exec_lo, exec_lo, s46
	s_and_saveexec_b32 s46, s38
	s_cbranch_execnz .LBB1119_815
	s_branch .LBB1119_816
.LBB1119_881:                           ;   in Loop: Header=BB1119_686 Depth=2
	v_lshlrev_b32_e32 v3, 2, v165
	ds_read_b32 v3, v3
	ds_read_b64 v[37:38], v106 offset:512
	s_waitcnt lgkmcnt(1)
	v_add_nc_u32_e32 v3, v3, v0
	v_lshlrev_b64 v[39:40], 3, v[3:4]
	v_add_co_u32 v39, vcc_lo, s48, v39
	v_add_co_ci_u32_e64 v40, null, s49, v40, vcc_lo
	s_waitcnt lgkmcnt(0)
	global_store_dwordx2 v[39:40], v[37:38], off
	s_or_b32 exec_lo, exec_lo, s39
	s_and_saveexec_b32 s39, s22
	s_cbranch_execz .LBB1119_818
.LBB1119_882:                           ;   in Loop: Header=BB1119_686 Depth=2
	v_lshlrev_b32_e32 v3, 2, v164
	ds_read_b32 v3, v3
	ds_read_b64 v[37:38], v106 offset:2560
	s_waitcnt lgkmcnt(1)
	v_add_nc_u32_e32 v3, v3, v74
	v_lshlrev_b64 v[39:40], 3, v[3:4]
	v_add_co_u32 v39, vcc_lo, s48, v39
	v_add_co_ci_u32_e64 v40, null, s49, v40, vcc_lo
	s_waitcnt lgkmcnt(0)
	global_store_dwordx2 v[39:40], v[37:38], off
	s_or_b32 exec_lo, exec_lo, s39
	s_and_saveexec_b32 s22, s23
	s_cbranch_execz .LBB1119_819
.LBB1119_883:                           ;   in Loop: Header=BB1119_686 Depth=2
	v_lshlrev_b32_e32 v3, 2, v163
	ds_read_b32 v3, v3
	ds_read_b64 v[37:38], v106 offset:4608
	s_waitcnt lgkmcnt(1)
	v_add_nc_u32_e32 v3, v3, v77
	v_lshlrev_b64 v[39:40], 3, v[3:4]
	v_add_co_u32 v39, vcc_lo, s48, v39
	v_add_co_ci_u32_e64 v40, null, s49, v40, vcc_lo
	s_waitcnt lgkmcnt(0)
	global_store_dwordx2 v[39:40], v[37:38], off
	s_or_b32 exec_lo, exec_lo, s22
	s_and_saveexec_b32 s22, s24
	s_cbranch_execz .LBB1119_820
.LBB1119_884:                           ;   in Loop: Header=BB1119_686 Depth=2
	v_lshlrev_b32_e32 v3, 2, v162
	ds_read_b32 v3, v3
	ds_read_b64 v[37:38], v106 offset:6656
	s_waitcnt lgkmcnt(1)
	v_add_nc_u32_e32 v3, v3, v78
	v_lshlrev_b64 v[39:40], 3, v[3:4]
	v_add_co_u32 v39, vcc_lo, s48, v39
	v_add_co_ci_u32_e64 v40, null, s49, v40, vcc_lo
	s_waitcnt lgkmcnt(0)
	global_store_dwordx2 v[39:40], v[37:38], off
	s_or_b32 exec_lo, exec_lo, s22
	s_and_saveexec_b32 s22, s25
	s_cbranch_execz .LBB1119_821
.LBB1119_885:                           ;   in Loop: Header=BB1119_686 Depth=2
	v_lshlrev_b32_e32 v3, 2, v161
	ds_read_b32 v3, v3
	ds_read_b64 v[37:38], v106 offset:8704
	s_waitcnt lgkmcnt(1)
	v_add_nc_u32_e32 v3, v3, v79
	v_lshlrev_b64 v[39:40], 3, v[3:4]
	v_add_co_u32 v39, vcc_lo, s48, v39
	v_add_co_ci_u32_e64 v40, null, s49, v40, vcc_lo
	s_waitcnt lgkmcnt(0)
	global_store_dwordx2 v[39:40], v[37:38], off
	s_or_b32 exec_lo, exec_lo, s22
	s_and_saveexec_b32 s22, s26
	s_cbranch_execz .LBB1119_822
.LBB1119_886:                           ;   in Loop: Header=BB1119_686 Depth=2
	v_lshlrev_b32_e32 v3, 2, v160
	ds_read_b32 v3, v3
	ds_read_b64 v[37:38], v106 offset:10752
	s_waitcnt lgkmcnt(1)
	v_add_nc_u32_e32 v3, v3, v80
	v_lshlrev_b64 v[39:40], 3, v[3:4]
	v_add_co_u32 v39, vcc_lo, s48, v39
	v_add_co_ci_u32_e64 v40, null, s49, v40, vcc_lo
	s_waitcnt lgkmcnt(0)
	global_store_dwordx2 v[39:40], v[37:38], off
	s_or_b32 exec_lo, exec_lo, s22
	s_and_saveexec_b32 s22, s27
	s_cbranch_execz .LBB1119_823
.LBB1119_887:                           ;   in Loop: Header=BB1119_686 Depth=2
	v_lshlrev_b32_e32 v3, 2, v159
	ds_read_b32 v3, v3
	ds_read_b64 v[37:38], v106 offset:12800
	s_waitcnt lgkmcnt(1)
	v_add_nc_u32_e32 v3, v3, v81
	v_lshlrev_b64 v[39:40], 3, v[3:4]
	v_add_co_u32 v39, vcc_lo, s48, v39
	v_add_co_ci_u32_e64 v40, null, s49, v40, vcc_lo
	s_waitcnt lgkmcnt(0)
	global_store_dwordx2 v[39:40], v[37:38], off
	s_or_b32 exec_lo, exec_lo, s22
	s_and_saveexec_b32 s22, s28
	s_cbranch_execz .LBB1119_824
.LBB1119_888:                           ;   in Loop: Header=BB1119_686 Depth=2
	v_lshlrev_b32_e32 v3, 2, v158
	ds_read_b32 v3, v3
	ds_read_b64 v[37:38], v106 offset:14848
	s_waitcnt lgkmcnt(1)
	v_add_nc_u32_e32 v3, v3, v82
	v_lshlrev_b64 v[39:40], 3, v[3:4]
	v_add_co_u32 v39, vcc_lo, s48, v39
	v_add_co_ci_u32_e64 v40, null, s49, v40, vcc_lo
	s_waitcnt lgkmcnt(0)
	global_store_dwordx2 v[39:40], v[37:38], off
	s_or_b32 exec_lo, exec_lo, s22
	s_and_saveexec_b32 s22, s30
	s_cbranch_execz .LBB1119_825
.LBB1119_889:                           ;   in Loop: Header=BB1119_686 Depth=2
	v_lshlrev_b32_e32 v3, 2, v157
	ds_read_b32 v3, v3
	ds_read_b64 v[37:38], v106 offset:16896
	s_waitcnt lgkmcnt(1)
	v_add_nc_u32_e32 v3, v3, v83
	v_lshlrev_b64 v[39:40], 3, v[3:4]
	v_add_co_u32 v39, vcc_lo, s48, v39
	v_add_co_ci_u32_e64 v40, null, s49, v40, vcc_lo
	s_waitcnt lgkmcnt(0)
	global_store_dwordx2 v[39:40], v[37:38], off
	s_or_b32 exec_lo, exec_lo, s22
	s_and_saveexec_b32 s22, s31
	s_cbranch_execz .LBB1119_826
.LBB1119_890:                           ;   in Loop: Header=BB1119_686 Depth=2
	v_lshlrev_b32_e32 v3, 2, v155
	ds_read_b32 v3, v3
	ds_read_b64 v[37:38], v106 offset:18944
	s_waitcnt lgkmcnt(1)
	v_add_nc_u32_e32 v3, v3, v84
	v_lshlrev_b64 v[39:40], 3, v[3:4]
	v_add_co_u32 v39, vcc_lo, s48, v39
	v_add_co_ci_u32_e64 v40, null, s49, v40, vcc_lo
	s_waitcnt lgkmcnt(0)
	global_store_dwordx2 v[39:40], v[37:38], off
	s_or_b32 exec_lo, exec_lo, s22
	s_and_saveexec_b32 s22, s33
	s_cbranch_execz .LBB1119_827
.LBB1119_891:                           ;   in Loop: Header=BB1119_686 Depth=2
	v_lshlrev_b32_e32 v3, 2, v154
	ds_read_b32 v3, v3
	ds_read_b64 v[37:38], v106 offset:20992
	s_waitcnt lgkmcnt(1)
	v_add_nc_u32_e32 v3, v3, v85
	v_lshlrev_b64 v[39:40], 3, v[3:4]
	v_add_co_u32 v39, vcc_lo, s48, v39
	v_add_co_ci_u32_e64 v40, null, s49, v40, vcc_lo
	s_waitcnt lgkmcnt(0)
	global_store_dwordx2 v[39:40], v[37:38], off
	s_or_b32 exec_lo, exec_lo, s22
	s_and_saveexec_b32 s22, s34
	s_cbranch_execz .LBB1119_828
.LBB1119_892:                           ;   in Loop: Header=BB1119_686 Depth=2
	v_lshlrev_b32_e32 v3, 2, v153
	ds_read_b32 v3, v3
	ds_read_b64 v[37:38], v106 offset:23040
	s_waitcnt lgkmcnt(1)
	v_add_nc_u32_e32 v3, v3, v86
	v_lshlrev_b64 v[39:40], 3, v[3:4]
	v_add_co_u32 v39, vcc_lo, s48, v39
	v_add_co_ci_u32_e64 v40, null, s49, v40, vcc_lo
	s_waitcnt lgkmcnt(0)
	global_store_dwordx2 v[39:40], v[37:38], off
	s_or_b32 exec_lo, exec_lo, s22
	s_and_saveexec_b32 s22, s35
	s_cbranch_execz .LBB1119_829
.LBB1119_893:                           ;   in Loop: Header=BB1119_686 Depth=2
	v_lshlrev_b32_e32 v3, 2, v152
	ds_read_b32 v3, v3
	ds_read_b64 v[37:38], v106 offset:25088
	s_waitcnt lgkmcnt(1)
	v_add_nc_u32_e32 v3, v3, v87
	v_lshlrev_b64 v[39:40], 3, v[3:4]
	v_add_co_u32 v39, vcc_lo, s48, v39
	v_add_co_ci_u32_e64 v40, null, s49, v40, vcc_lo
	s_waitcnt lgkmcnt(0)
	global_store_dwordx2 v[39:40], v[37:38], off
	s_or_b32 exec_lo, exec_lo, s22
	s_and_saveexec_b32 s22, s36
	s_cbranch_execz .LBB1119_830
.LBB1119_894:                           ;   in Loop: Header=BB1119_686 Depth=2
	v_lshlrev_b32_e32 v3, 2, v151
	ds_read_b32 v3, v3
	ds_read_b64 v[37:38], v106 offset:27136
	s_waitcnt lgkmcnt(1)
	v_add_nc_u32_e32 v3, v3, v88
	v_lshlrev_b64 v[39:40], 3, v[3:4]
	v_add_co_u32 v39, vcc_lo, s48, v39
	v_add_co_ci_u32_e64 v40, null, s49, v40, vcc_lo
	s_waitcnt lgkmcnt(0)
	global_store_dwordx2 v[39:40], v[37:38], off
	s_or_b32 exec_lo, exec_lo, s22
	s_and_saveexec_b32 s22, s37
	s_cbranch_execz .LBB1119_831
.LBB1119_895:                           ;   in Loop: Header=BB1119_686 Depth=2
	v_lshlrev_b32_e32 v3, 2, v150
	ds_read_b32 v3, v3
	ds_read_b64 v[37:38], v106 offset:29184
	s_waitcnt lgkmcnt(1)
	v_add_nc_u32_e32 v3, v3, v89
	v_lshlrev_b64 v[39:40], 3, v[3:4]
	v_add_co_u32 v39, vcc_lo, s48, v39
	v_add_co_ci_u32_e64 v40, null, s49, v40, vcc_lo
	s_waitcnt lgkmcnt(0)
	global_store_dwordx2 v[39:40], v[37:38], off
	s_or_b32 exec_lo, exec_lo, s22
	s_and_saveexec_b32 s22, s38
	s_cbranch_execnz .LBB1119_832
	s_branch .LBB1119_833
.LBB1119_896:                           ;   in Loop: Header=BB1119_12 Depth=1
	s_waitcnt lgkmcnt(0)
	s_mov_b32 s13, 0
	s_barrier
.LBB1119_897:                           ;   in Loop: Header=BB1119_12 Depth=1
	s_and_b32 vcc_lo, exec_lo, s13
	s_cbranch_vccz .LBB1119_11
; %bb.898:                              ;   in Loop: Header=BB1119_12 Depth=1
	s_mov_b32 s13, s62
	s_mov_b32 s14, s60
	s_barrier
	buffer_gl0_inv
                                        ; implicit-def: $vgpr5_vgpr6
                                        ; implicit-def: $vgpr7_vgpr8
                                        ; implicit-def: $vgpr9_vgpr10
                                        ; implicit-def: $vgpr11_vgpr12
                                        ; implicit-def: $vgpr13_vgpr14
                                        ; implicit-def: $vgpr15_vgpr16
                                        ; implicit-def: $vgpr17_vgpr18
                                        ; implicit-def: $vgpr19_vgpr20
                                        ; implicit-def: $vgpr21_vgpr22
                                        ; implicit-def: $vgpr23_vgpr24
                                        ; implicit-def: $vgpr25_vgpr26
                                        ; implicit-def: $vgpr27_vgpr28
                                        ; implicit-def: $vgpr29_vgpr30
                                        ; implicit-def: $vgpr31_vgpr32
                                        ; implicit-def: $vgpr33_vgpr34
                                        ; implicit-def: $vgpr35_vgpr36
	s_branch .LBB1119_900
.LBB1119_899:                           ;   in Loop: Header=BB1119_900 Depth=2
	s_or_b32 exec_lo, exec_lo, s14
	s_addk_i32 s13, 0xf000
	s_cmp_ge_u32 s16, s61
	s_mov_b32 s14, s16
	s_cbranch_scc1 .LBB1119_968
.LBB1119_900:                           ;   Parent Loop BB1119_12 Depth=1
                                        ; =>  This Inner Loop Header: Depth=2
	s_add_i32 s16, s14, 0x1000
	s_mov_b32 s15, -1
	s_cmp_gt_u32 s16, s61
                                        ; implicit-def: $vgpr47_vgpr48
                                        ; implicit-def: $vgpr51_vgpr52
                                        ; implicit-def: $vgpr55_vgpr56
                                        ; implicit-def: $vgpr37_vgpr38
                                        ; implicit-def: $vgpr39_vgpr40
                                        ; implicit-def: $vgpr41_vgpr42
                                        ; implicit-def: $vgpr43_vgpr44
                                        ; implicit-def: $vgpr45_vgpr46
                                        ; implicit-def: $vgpr49_vgpr50
                                        ; implicit-def: $vgpr53_vgpr54
                                        ; implicit-def: $vgpr57_vgpr58
                                        ; implicit-def: $vgpr59_vgpr60
                                        ; implicit-def: $vgpr61_vgpr62
                                        ; implicit-def: $vgpr63_vgpr64
                                        ; implicit-def: $vgpr65_vgpr66
                                        ; implicit-def: $vgpr67_vgpr68
	s_cbranch_scc1 .LBB1119_902
; %bb.901:                              ;   in Loop: Header=BB1119_900 Depth=2
	s_mov_b32 s15, s56
	s_lshl_b64 s[18:19], s[14:15], 3
	s_mov_b32 s15, 0
	v_add_co_u32 v47, vcc_lo, v113, s18
	v_add_co_ci_u32_e64 v48, null, s19, v114, vcc_lo
	v_add_co_u32 v55, vcc_lo, v47, 0x1000
	v_add_co_ci_u32_e64 v56, null, 0, v48, vcc_lo
	;; [unrolled: 2-line block ×6, first 2 shown]
	s_clause 0x7
	global_load_dwordx2 v[37:38], v[39:40], off offset:-2048
	global_load_dwordx2 v[39:40], v[39:40], off
	global_load_dwordx2 v[41:42], v[43:44], off offset:-2048
	global_load_dwordx2 v[43:44], v[43:44], off
	;; [unrolled: 2-line block ×4, first 2 shown]
	v_add_co_u32 v51, vcc_lo, v47, 0x6000
	v_add_co_ci_u32_e64 v52, null, 0, v48, vcc_lo
	v_add_co_u32 v65, vcc_lo, v47, 0x7000
	v_add_co_ci_u32_e64 v66, null, 0, v48, vcc_lo
	;; [unrolled: 2-line block ×3, first 2 shown]
	s_clause 0x7
	global_load_dwordx2 v[59:60], v[51:52], off offset:-2048
	global_load_dwordx2 v[61:62], v[51:52], off
	global_load_dwordx2 v[63:64], v[65:66], off offset:-2048
	global_load_dwordx2 v[65:66], v[65:66], off
	global_load_dwordx2 v[47:48], v[47:48], off
	global_load_dwordx2 v[51:52], v[55:56], off offset:-2048
	global_load_dwordx2 v[55:56], v[55:56], off
	global_load_dwordx2 v[67:68], v[67:68], off
.LBB1119_902:                           ;   in Loop: Header=BB1119_900 Depth=2
	s_andn2_b32 vcc_lo, exec_lo, s15
	s_movk_i32 s15, 0x1000
	s_cbranch_vccnz .LBB1119_921
; %bb.903:                              ;   in Loop: Header=BB1119_900 Depth=2
	s_mov_b32 s15, s56
	s_mov_b32 s17, exec_lo
	s_lshl_b64 s[14:15], s[14:15], 3
	s_add_u32 s14, s40, s14
	s_addc_u32 s15, s41, s15
	v_cmpx_gt_u32_e64 s13, v0
	s_cbranch_execnz .LBB1119_953
; %bb.904:                              ;   in Loop: Header=BB1119_900 Depth=2
	s_or_b32 exec_lo, exec_lo, s17
	s_mov_b32 s17, exec_lo
	v_cmpx_gt_u32_e64 s13, v74
	s_cbranch_execnz .LBB1119_954
.LBB1119_905:                           ;   in Loop: Header=BB1119_900 Depth=2
	s_or_b32 exec_lo, exec_lo, s17
	s_mov_b32 s17, exec_lo
	v_cmpx_gt_u32_e64 s13, v77
	s_cbranch_execnz .LBB1119_955
.LBB1119_906:                           ;   in Loop: Header=BB1119_900 Depth=2
	s_or_b32 exec_lo, exec_lo, s17
	s_mov_b32 s17, exec_lo
	v_cmpx_gt_u32_e64 s13, v78
	s_cbranch_execnz .LBB1119_956
.LBB1119_907:                           ;   in Loop: Header=BB1119_900 Depth=2
	s_or_b32 exec_lo, exec_lo, s17
	s_mov_b32 s17, exec_lo
	v_cmpx_gt_u32_e64 s13, v79
	s_cbranch_execnz .LBB1119_957
.LBB1119_908:                           ;   in Loop: Header=BB1119_900 Depth=2
	s_or_b32 exec_lo, exec_lo, s17
	s_mov_b32 s17, exec_lo
	v_cmpx_gt_u32_e64 s13, v80
	s_cbranch_execnz .LBB1119_958
.LBB1119_909:                           ;   in Loop: Header=BB1119_900 Depth=2
	s_or_b32 exec_lo, exec_lo, s17
	s_mov_b32 s17, exec_lo
	v_cmpx_gt_u32_e64 s13, v81
	s_cbranch_execnz .LBB1119_959
.LBB1119_910:                           ;   in Loop: Header=BB1119_900 Depth=2
	s_or_b32 exec_lo, exec_lo, s17
	s_mov_b32 s17, exec_lo
	v_cmpx_gt_u32_e64 s13, v82
	s_cbranch_execnz .LBB1119_960
.LBB1119_911:                           ;   in Loop: Header=BB1119_900 Depth=2
	s_or_b32 exec_lo, exec_lo, s17
	s_mov_b32 s17, exec_lo
	v_cmpx_gt_u32_e64 s13, v83
	s_cbranch_execnz .LBB1119_961
.LBB1119_912:                           ;   in Loop: Header=BB1119_900 Depth=2
	s_or_b32 exec_lo, exec_lo, s17
	s_mov_b32 s17, exec_lo
	v_cmpx_gt_u32_e64 s13, v84
	s_cbranch_execnz .LBB1119_962
.LBB1119_913:                           ;   in Loop: Header=BB1119_900 Depth=2
	s_or_b32 exec_lo, exec_lo, s17
	s_mov_b32 s17, exec_lo
	v_cmpx_gt_u32_e64 s13, v85
	s_cbranch_execnz .LBB1119_963
.LBB1119_914:                           ;   in Loop: Header=BB1119_900 Depth=2
	s_or_b32 exec_lo, exec_lo, s17
	s_mov_b32 s17, exec_lo
	v_cmpx_gt_u32_e64 s13, v86
	s_cbranch_execnz .LBB1119_964
.LBB1119_915:                           ;   in Loop: Header=BB1119_900 Depth=2
	s_or_b32 exec_lo, exec_lo, s17
	s_mov_b32 s17, exec_lo
	v_cmpx_gt_u32_e64 s13, v87
	s_cbranch_execnz .LBB1119_965
.LBB1119_916:                           ;   in Loop: Header=BB1119_900 Depth=2
	s_or_b32 exec_lo, exec_lo, s17
	s_mov_b32 s17, exec_lo
	v_cmpx_gt_u32_e64 s13, v88
	s_cbranch_execnz .LBB1119_966
.LBB1119_917:                           ;   in Loop: Header=BB1119_900 Depth=2
	s_or_b32 exec_lo, exec_lo, s17
	s_mov_b32 s17, exec_lo
	v_cmpx_gt_u32_e64 s13, v89
	s_cbranch_execnz .LBB1119_967
.LBB1119_918:                           ;   in Loop: Header=BB1119_900 Depth=2
	s_or_b32 exec_lo, exec_lo, s17
	s_mov_b32 s17, exec_lo
	v_cmpx_gt_u32_e64 s13, v90
	s_cbranch_execz .LBB1119_920
.LBB1119_919:                           ;   in Loop: Header=BB1119_900 Depth=2
	v_lshlrev_b32_e32 v3, 3, v90
	global_load_dwordx2 v[5:6], v3, s[14:15]
.LBB1119_920:                           ;   in Loop: Header=BB1119_900 Depth=2
	s_or_b32 exec_lo, exec_lo, s17
	s_waitcnt vmcnt(0)
	v_mov_b32_e32 v48, v36
	v_mov_b32_e32 v52, v34
	;; [unrolled: 1-line block ×32, first 2 shown]
	s_mov_b32 s15, s13
.LBB1119_921:                           ;   in Loop: Header=BB1119_900 Depth=2
	s_waitcnt vmcnt(0)
	v_mov_b32_e32 v5, v67
	v_mov_b32_e32 v7, v65
	;; [unrolled: 1-line block ×32, first 2 shown]
	s_mov_b32 s14, exec_lo
	v_cmpx_gt_u32_e64 s15, v0
	s_cbranch_execnz .LBB1119_937
; %bb.922:                              ;   in Loop: Header=BB1119_900 Depth=2
	s_or_b32 exec_lo, exec_lo, s14
	s_mov_b32 s14, exec_lo
	v_cmpx_gt_u32_e64 s15, v74
	s_cbranch_execnz .LBB1119_938
.LBB1119_923:                           ;   in Loop: Header=BB1119_900 Depth=2
	s_or_b32 exec_lo, exec_lo, s14
	s_mov_b32 s14, exec_lo
	v_cmpx_gt_u32_e64 s15, v77
	s_cbranch_execnz .LBB1119_939
.LBB1119_924:                           ;   in Loop: Header=BB1119_900 Depth=2
	s_or_b32 exec_lo, exec_lo, s14
	s_mov_b32 s14, exec_lo
	v_cmpx_gt_u32_e64 s15, v78
	s_cbranch_execnz .LBB1119_940
.LBB1119_925:                           ;   in Loop: Header=BB1119_900 Depth=2
	s_or_b32 exec_lo, exec_lo, s14
	s_mov_b32 s14, exec_lo
	v_cmpx_gt_u32_e64 s15, v79
	s_cbranch_execnz .LBB1119_941
.LBB1119_926:                           ;   in Loop: Header=BB1119_900 Depth=2
	s_or_b32 exec_lo, exec_lo, s14
	s_mov_b32 s14, exec_lo
	v_cmpx_gt_u32_e64 s15, v80
	s_cbranch_execnz .LBB1119_942
.LBB1119_927:                           ;   in Loop: Header=BB1119_900 Depth=2
	s_or_b32 exec_lo, exec_lo, s14
	s_mov_b32 s14, exec_lo
	v_cmpx_gt_u32_e64 s15, v81
	s_cbranch_execnz .LBB1119_943
.LBB1119_928:                           ;   in Loop: Header=BB1119_900 Depth=2
	s_or_b32 exec_lo, exec_lo, s14
	s_mov_b32 s14, exec_lo
	v_cmpx_gt_u32_e64 s15, v82
	s_cbranch_execnz .LBB1119_944
.LBB1119_929:                           ;   in Loop: Header=BB1119_900 Depth=2
	s_or_b32 exec_lo, exec_lo, s14
	s_mov_b32 s14, exec_lo
	v_cmpx_gt_u32_e64 s15, v83
	s_cbranch_execnz .LBB1119_945
.LBB1119_930:                           ;   in Loop: Header=BB1119_900 Depth=2
	s_or_b32 exec_lo, exec_lo, s14
	s_mov_b32 s14, exec_lo
	v_cmpx_gt_u32_e64 s15, v84
	s_cbranch_execnz .LBB1119_946
.LBB1119_931:                           ;   in Loop: Header=BB1119_900 Depth=2
	s_or_b32 exec_lo, exec_lo, s14
	s_mov_b32 s14, exec_lo
	v_cmpx_gt_u32_e64 s15, v85
	s_cbranch_execnz .LBB1119_947
.LBB1119_932:                           ;   in Loop: Header=BB1119_900 Depth=2
	s_or_b32 exec_lo, exec_lo, s14
	s_mov_b32 s14, exec_lo
	v_cmpx_gt_u32_e64 s15, v86
	s_cbranch_execnz .LBB1119_948
.LBB1119_933:                           ;   in Loop: Header=BB1119_900 Depth=2
	s_or_b32 exec_lo, exec_lo, s14
	s_mov_b32 s14, exec_lo
	v_cmpx_gt_u32_e64 s15, v87
	s_cbranch_execnz .LBB1119_949
.LBB1119_934:                           ;   in Loop: Header=BB1119_900 Depth=2
	s_or_b32 exec_lo, exec_lo, s14
	s_mov_b32 s14, exec_lo
	v_cmpx_gt_u32_e64 s15, v88
	s_cbranch_execnz .LBB1119_950
.LBB1119_935:                           ;   in Loop: Header=BB1119_900 Depth=2
	s_or_b32 exec_lo, exec_lo, s14
	s_mov_b32 s14, exec_lo
	v_cmpx_gt_u32_e64 s15, v89
	s_cbranch_execnz .LBB1119_951
.LBB1119_936:                           ;   in Loop: Header=BB1119_900 Depth=2
	s_or_b32 exec_lo, exec_lo, s14
	s_mov_b32 s14, exec_lo
	v_cmpx_gt_u32_e64 s15, v90
	s_cbranch_execz .LBB1119_899
	s_branch .LBB1119_952
.LBB1119_937:                           ;   in Loop: Header=BB1119_900 Depth=2
	v_cmp_gt_i64_e32 vcc_lo, 0, v[35:36]
	v_ashrrev_i32_e32 v3, 31, v36
	v_not_b32_e32 v3, v3
	v_cndmask_b32_e64 v37, 0x7fffffff, 0, vcc_lo
	v_xor_b32_e32 v38, v37, v36
	v_xor_b32_e32 v37, v3, v35
	v_cmp_ne_u64_e32 vcc_lo, s[56:57], v[37:38]
	v_cndmask_b32_e32 v38, 0x7fffffff, v38, vcc_lo
	v_cndmask_b32_e32 v37, -1, v37, vcc_lo
	v_lshrrev_b64 v[37:38], s52, v[37:38]
	v_and_b32_e32 v3, s64, v37
	v_lshl_or_b32 v3, v3, 4, v91
	ds_add_u32 v3, v119
	s_or_b32 exec_lo, exec_lo, s14
	s_mov_b32 s14, exec_lo
	v_cmpx_gt_u32_e64 s15, v74
	s_cbranch_execz .LBB1119_923
.LBB1119_938:                           ;   in Loop: Header=BB1119_900 Depth=2
	v_cmp_gt_i64_e32 vcc_lo, 0, v[33:34]
	v_ashrrev_i32_e32 v3, 31, v34
	v_not_b32_e32 v3, v3
	v_cndmask_b32_e64 v37, 0x7fffffff, 0, vcc_lo
	v_xor_b32_e32 v38, v37, v34
	v_xor_b32_e32 v37, v3, v33
	v_cmp_ne_u64_e32 vcc_lo, s[56:57], v[37:38]
	v_cndmask_b32_e32 v38, 0x7fffffff, v38, vcc_lo
	v_cndmask_b32_e32 v37, -1, v37, vcc_lo
	v_lshrrev_b64 v[37:38], s52, v[37:38]
	v_and_b32_e32 v3, s64, v37
	v_lshl_or_b32 v3, v3, 4, v91
	ds_add_u32 v3, v119
	s_or_b32 exec_lo, exec_lo, s14
	s_mov_b32 s14, exec_lo
	v_cmpx_gt_u32_e64 s15, v77
	s_cbranch_execz .LBB1119_924
.LBB1119_939:                           ;   in Loop: Header=BB1119_900 Depth=2
	v_cmp_gt_i64_e32 vcc_lo, 0, v[31:32]
	v_ashrrev_i32_e32 v3, 31, v32
	v_not_b32_e32 v3, v3
	v_cndmask_b32_e64 v37, 0x7fffffff, 0, vcc_lo
	v_xor_b32_e32 v38, v37, v32
	v_xor_b32_e32 v37, v3, v31
	v_cmp_ne_u64_e32 vcc_lo, s[56:57], v[37:38]
	v_cndmask_b32_e32 v38, 0x7fffffff, v38, vcc_lo
	v_cndmask_b32_e32 v37, -1, v37, vcc_lo
	v_lshrrev_b64 v[37:38], s52, v[37:38]
	v_and_b32_e32 v3, s64, v37
	v_lshl_or_b32 v3, v3, 4, v91
	ds_add_u32 v3, v119
	s_or_b32 exec_lo, exec_lo, s14
	s_mov_b32 s14, exec_lo
	v_cmpx_gt_u32_e64 s15, v78
	s_cbranch_execz .LBB1119_925
.LBB1119_940:                           ;   in Loop: Header=BB1119_900 Depth=2
	v_cmp_gt_i64_e32 vcc_lo, 0, v[29:30]
	v_ashrrev_i32_e32 v3, 31, v30
	v_not_b32_e32 v3, v3
	v_cndmask_b32_e64 v37, 0x7fffffff, 0, vcc_lo
	v_xor_b32_e32 v38, v37, v30
	v_xor_b32_e32 v37, v3, v29
	v_cmp_ne_u64_e32 vcc_lo, s[56:57], v[37:38]
	v_cndmask_b32_e32 v38, 0x7fffffff, v38, vcc_lo
	v_cndmask_b32_e32 v37, -1, v37, vcc_lo
	v_lshrrev_b64 v[37:38], s52, v[37:38]
	v_and_b32_e32 v3, s64, v37
	v_lshl_or_b32 v3, v3, 4, v91
	ds_add_u32 v3, v119
	s_or_b32 exec_lo, exec_lo, s14
	s_mov_b32 s14, exec_lo
	v_cmpx_gt_u32_e64 s15, v79
	s_cbranch_execz .LBB1119_926
.LBB1119_941:                           ;   in Loop: Header=BB1119_900 Depth=2
	v_cmp_gt_i64_e32 vcc_lo, 0, v[27:28]
	v_ashrrev_i32_e32 v3, 31, v28
	v_not_b32_e32 v3, v3
	v_cndmask_b32_e64 v37, 0x7fffffff, 0, vcc_lo
	v_xor_b32_e32 v38, v37, v28
	v_xor_b32_e32 v37, v3, v27
	v_cmp_ne_u64_e32 vcc_lo, s[56:57], v[37:38]
	v_cndmask_b32_e32 v38, 0x7fffffff, v38, vcc_lo
	v_cndmask_b32_e32 v37, -1, v37, vcc_lo
	v_lshrrev_b64 v[37:38], s52, v[37:38]
	v_and_b32_e32 v3, s64, v37
	v_lshl_or_b32 v3, v3, 4, v91
	ds_add_u32 v3, v119
	s_or_b32 exec_lo, exec_lo, s14
	s_mov_b32 s14, exec_lo
	v_cmpx_gt_u32_e64 s15, v80
	s_cbranch_execz .LBB1119_927
.LBB1119_942:                           ;   in Loop: Header=BB1119_900 Depth=2
	v_cmp_gt_i64_e32 vcc_lo, 0, v[25:26]
	v_ashrrev_i32_e32 v3, 31, v26
	v_not_b32_e32 v3, v3
	v_cndmask_b32_e64 v37, 0x7fffffff, 0, vcc_lo
	v_xor_b32_e32 v38, v37, v26
	v_xor_b32_e32 v37, v3, v25
	v_cmp_ne_u64_e32 vcc_lo, s[56:57], v[37:38]
	v_cndmask_b32_e32 v38, 0x7fffffff, v38, vcc_lo
	v_cndmask_b32_e32 v37, -1, v37, vcc_lo
	v_lshrrev_b64 v[37:38], s52, v[37:38]
	v_and_b32_e32 v3, s64, v37
	v_lshl_or_b32 v3, v3, 4, v91
	ds_add_u32 v3, v119
	s_or_b32 exec_lo, exec_lo, s14
	s_mov_b32 s14, exec_lo
	v_cmpx_gt_u32_e64 s15, v81
	s_cbranch_execz .LBB1119_928
.LBB1119_943:                           ;   in Loop: Header=BB1119_900 Depth=2
	v_cmp_gt_i64_e32 vcc_lo, 0, v[23:24]
	v_ashrrev_i32_e32 v3, 31, v24
	v_not_b32_e32 v3, v3
	v_cndmask_b32_e64 v37, 0x7fffffff, 0, vcc_lo
	v_xor_b32_e32 v38, v37, v24
	v_xor_b32_e32 v37, v3, v23
	v_cmp_ne_u64_e32 vcc_lo, s[56:57], v[37:38]
	v_cndmask_b32_e32 v38, 0x7fffffff, v38, vcc_lo
	v_cndmask_b32_e32 v37, -1, v37, vcc_lo
	v_lshrrev_b64 v[37:38], s52, v[37:38]
	v_and_b32_e32 v3, s64, v37
	v_lshl_or_b32 v3, v3, 4, v91
	ds_add_u32 v3, v119
	s_or_b32 exec_lo, exec_lo, s14
	s_mov_b32 s14, exec_lo
	v_cmpx_gt_u32_e64 s15, v82
	s_cbranch_execz .LBB1119_929
.LBB1119_944:                           ;   in Loop: Header=BB1119_900 Depth=2
	v_cmp_gt_i64_e32 vcc_lo, 0, v[21:22]
	v_ashrrev_i32_e32 v3, 31, v22
	v_not_b32_e32 v3, v3
	v_cndmask_b32_e64 v37, 0x7fffffff, 0, vcc_lo
	v_xor_b32_e32 v38, v37, v22
	v_xor_b32_e32 v37, v3, v21
	v_cmp_ne_u64_e32 vcc_lo, s[56:57], v[37:38]
	v_cndmask_b32_e32 v38, 0x7fffffff, v38, vcc_lo
	v_cndmask_b32_e32 v37, -1, v37, vcc_lo
	v_lshrrev_b64 v[37:38], s52, v[37:38]
	v_and_b32_e32 v3, s64, v37
	v_lshl_or_b32 v3, v3, 4, v91
	ds_add_u32 v3, v119
	s_or_b32 exec_lo, exec_lo, s14
	s_mov_b32 s14, exec_lo
	v_cmpx_gt_u32_e64 s15, v83
	s_cbranch_execz .LBB1119_930
.LBB1119_945:                           ;   in Loop: Header=BB1119_900 Depth=2
	v_cmp_gt_i64_e32 vcc_lo, 0, v[19:20]
	v_ashrrev_i32_e32 v3, 31, v20
	v_not_b32_e32 v3, v3
	v_cndmask_b32_e64 v37, 0x7fffffff, 0, vcc_lo
	v_xor_b32_e32 v38, v37, v20
	v_xor_b32_e32 v37, v3, v19
	v_cmp_ne_u64_e32 vcc_lo, s[56:57], v[37:38]
	v_cndmask_b32_e32 v38, 0x7fffffff, v38, vcc_lo
	v_cndmask_b32_e32 v37, -1, v37, vcc_lo
	v_lshrrev_b64 v[37:38], s52, v[37:38]
	v_and_b32_e32 v3, s64, v37
	v_lshl_or_b32 v3, v3, 4, v91
	ds_add_u32 v3, v119
	s_or_b32 exec_lo, exec_lo, s14
	s_mov_b32 s14, exec_lo
	v_cmpx_gt_u32_e64 s15, v84
	s_cbranch_execz .LBB1119_931
.LBB1119_946:                           ;   in Loop: Header=BB1119_900 Depth=2
	v_cmp_gt_i64_e32 vcc_lo, 0, v[17:18]
	v_ashrrev_i32_e32 v3, 31, v18
	v_not_b32_e32 v3, v3
	v_cndmask_b32_e64 v37, 0x7fffffff, 0, vcc_lo
	v_xor_b32_e32 v38, v37, v18
	v_xor_b32_e32 v37, v3, v17
	v_cmp_ne_u64_e32 vcc_lo, s[56:57], v[37:38]
	v_cndmask_b32_e32 v38, 0x7fffffff, v38, vcc_lo
	v_cndmask_b32_e32 v37, -1, v37, vcc_lo
	v_lshrrev_b64 v[37:38], s52, v[37:38]
	v_and_b32_e32 v3, s64, v37
	v_lshl_or_b32 v3, v3, 4, v91
	ds_add_u32 v3, v119
	s_or_b32 exec_lo, exec_lo, s14
	s_mov_b32 s14, exec_lo
	v_cmpx_gt_u32_e64 s15, v85
	s_cbranch_execz .LBB1119_932
.LBB1119_947:                           ;   in Loop: Header=BB1119_900 Depth=2
	v_cmp_gt_i64_e32 vcc_lo, 0, v[15:16]
	v_ashrrev_i32_e32 v3, 31, v16
	v_not_b32_e32 v3, v3
	v_cndmask_b32_e64 v37, 0x7fffffff, 0, vcc_lo
	v_xor_b32_e32 v38, v37, v16
	v_xor_b32_e32 v37, v3, v15
	v_cmp_ne_u64_e32 vcc_lo, s[56:57], v[37:38]
	v_cndmask_b32_e32 v38, 0x7fffffff, v38, vcc_lo
	v_cndmask_b32_e32 v37, -1, v37, vcc_lo
	v_lshrrev_b64 v[37:38], s52, v[37:38]
	v_and_b32_e32 v3, s64, v37
	v_lshl_or_b32 v3, v3, 4, v91
	ds_add_u32 v3, v119
	s_or_b32 exec_lo, exec_lo, s14
	s_mov_b32 s14, exec_lo
	v_cmpx_gt_u32_e64 s15, v86
	s_cbranch_execz .LBB1119_933
.LBB1119_948:                           ;   in Loop: Header=BB1119_900 Depth=2
	v_cmp_gt_i64_e32 vcc_lo, 0, v[13:14]
	v_ashrrev_i32_e32 v3, 31, v14
	v_not_b32_e32 v3, v3
	v_cndmask_b32_e64 v37, 0x7fffffff, 0, vcc_lo
	v_xor_b32_e32 v38, v37, v14
	v_xor_b32_e32 v37, v3, v13
	v_cmp_ne_u64_e32 vcc_lo, s[56:57], v[37:38]
	v_cndmask_b32_e32 v38, 0x7fffffff, v38, vcc_lo
	v_cndmask_b32_e32 v37, -1, v37, vcc_lo
	v_lshrrev_b64 v[37:38], s52, v[37:38]
	v_and_b32_e32 v3, s64, v37
	v_lshl_or_b32 v3, v3, 4, v91
	ds_add_u32 v3, v119
	s_or_b32 exec_lo, exec_lo, s14
	s_mov_b32 s14, exec_lo
	v_cmpx_gt_u32_e64 s15, v87
	s_cbranch_execz .LBB1119_934
.LBB1119_949:                           ;   in Loop: Header=BB1119_900 Depth=2
	v_cmp_gt_i64_e32 vcc_lo, 0, v[11:12]
	v_ashrrev_i32_e32 v3, 31, v12
	v_not_b32_e32 v3, v3
	v_cndmask_b32_e64 v37, 0x7fffffff, 0, vcc_lo
	v_xor_b32_e32 v38, v37, v12
	v_xor_b32_e32 v37, v3, v11
	v_cmp_ne_u64_e32 vcc_lo, s[56:57], v[37:38]
	v_cndmask_b32_e32 v38, 0x7fffffff, v38, vcc_lo
	v_cndmask_b32_e32 v37, -1, v37, vcc_lo
	v_lshrrev_b64 v[37:38], s52, v[37:38]
	v_and_b32_e32 v3, s64, v37
	v_lshl_or_b32 v3, v3, 4, v91
	ds_add_u32 v3, v119
	s_or_b32 exec_lo, exec_lo, s14
	s_mov_b32 s14, exec_lo
	v_cmpx_gt_u32_e64 s15, v88
	s_cbranch_execz .LBB1119_935
.LBB1119_950:                           ;   in Loop: Header=BB1119_900 Depth=2
	v_cmp_gt_i64_e32 vcc_lo, 0, v[9:10]
	v_ashrrev_i32_e32 v3, 31, v10
	v_not_b32_e32 v3, v3
	v_cndmask_b32_e64 v37, 0x7fffffff, 0, vcc_lo
	v_xor_b32_e32 v38, v37, v10
	v_xor_b32_e32 v37, v3, v9
	v_cmp_ne_u64_e32 vcc_lo, s[56:57], v[37:38]
	v_cndmask_b32_e32 v38, 0x7fffffff, v38, vcc_lo
	v_cndmask_b32_e32 v37, -1, v37, vcc_lo
	v_lshrrev_b64 v[37:38], s52, v[37:38]
	v_and_b32_e32 v3, s64, v37
	v_lshl_or_b32 v3, v3, 4, v91
	ds_add_u32 v3, v119
	s_or_b32 exec_lo, exec_lo, s14
	s_mov_b32 s14, exec_lo
	v_cmpx_gt_u32_e64 s15, v89
	s_cbranch_execz .LBB1119_936
.LBB1119_951:                           ;   in Loop: Header=BB1119_900 Depth=2
	v_cmp_gt_i64_e32 vcc_lo, 0, v[7:8]
	v_ashrrev_i32_e32 v3, 31, v8
	v_not_b32_e32 v3, v3
	v_cndmask_b32_e64 v37, 0x7fffffff, 0, vcc_lo
	v_xor_b32_e32 v38, v37, v8
	v_xor_b32_e32 v37, v3, v7
	v_cmp_ne_u64_e32 vcc_lo, s[56:57], v[37:38]
	v_cndmask_b32_e32 v38, 0x7fffffff, v38, vcc_lo
	v_cndmask_b32_e32 v37, -1, v37, vcc_lo
	v_lshrrev_b64 v[37:38], s52, v[37:38]
	v_and_b32_e32 v3, s64, v37
	v_lshl_or_b32 v3, v3, 4, v91
	ds_add_u32 v3, v119
	s_or_b32 exec_lo, exec_lo, s14
	s_mov_b32 s14, exec_lo
	v_cmpx_gt_u32_e64 s15, v90
	s_cbranch_execz .LBB1119_899
.LBB1119_952:                           ;   in Loop: Header=BB1119_900 Depth=2
	v_cmp_gt_i64_e32 vcc_lo, 0, v[5:6]
	v_ashrrev_i32_e32 v3, 31, v6
	v_not_b32_e32 v3, v3
	v_cndmask_b32_e64 v37, 0x7fffffff, 0, vcc_lo
	v_xor_b32_e32 v38, v37, v6
	v_xor_b32_e32 v37, v3, v5
	v_cmp_ne_u64_e32 vcc_lo, s[56:57], v[37:38]
	v_cndmask_b32_e32 v38, 0x7fffffff, v38, vcc_lo
	v_cndmask_b32_e32 v37, -1, v37, vcc_lo
	v_lshrrev_b64 v[37:38], s52, v[37:38]
	v_and_b32_e32 v3, s64, v37
	v_lshl_or_b32 v3, v3, 4, v91
	ds_add_u32 v3, v119
	s_branch .LBB1119_899
.LBB1119_953:                           ;   in Loop: Header=BB1119_900 Depth=2
	global_load_dwordx2 v[35:36], v120, s[14:15]
	s_or_b32 exec_lo, exec_lo, s17
	s_mov_b32 s17, exec_lo
	v_cmpx_gt_u32_e64 s13, v74
	s_cbranch_execz .LBB1119_905
.LBB1119_954:                           ;   in Loop: Header=BB1119_900 Depth=2
	global_load_dwordx2 v[33:34], v121, s[14:15]
	s_or_b32 exec_lo, exec_lo, s17
	s_mov_b32 s17, exec_lo
	v_cmpx_gt_u32_e64 s13, v77
	s_cbranch_execz .LBB1119_906
.LBB1119_955:                           ;   in Loop: Header=BB1119_900 Depth=2
	global_load_dwordx2 v[31:32], v122, s[14:15]
	s_or_b32 exec_lo, exec_lo, s17
	s_mov_b32 s17, exec_lo
	v_cmpx_gt_u32_e64 s13, v78
	s_cbranch_execz .LBB1119_907
.LBB1119_956:                           ;   in Loop: Header=BB1119_900 Depth=2
	global_load_dwordx2 v[29:30], v123, s[14:15]
	s_or_b32 exec_lo, exec_lo, s17
	s_mov_b32 s17, exec_lo
	v_cmpx_gt_u32_e64 s13, v79
	s_cbranch_execz .LBB1119_908
.LBB1119_957:                           ;   in Loop: Header=BB1119_900 Depth=2
	global_load_dwordx2 v[27:28], v124, s[14:15]
	s_or_b32 exec_lo, exec_lo, s17
	s_mov_b32 s17, exec_lo
	v_cmpx_gt_u32_e64 s13, v80
	s_cbranch_execz .LBB1119_909
.LBB1119_958:                           ;   in Loop: Header=BB1119_900 Depth=2
	global_load_dwordx2 v[25:26], v125, s[14:15]
	s_or_b32 exec_lo, exec_lo, s17
	s_mov_b32 s17, exec_lo
	v_cmpx_gt_u32_e64 s13, v81
	s_cbranch_execz .LBB1119_910
.LBB1119_959:                           ;   in Loop: Header=BB1119_900 Depth=2
	v_lshlrev_b32_e32 v3, 3, v81
	global_load_dwordx2 v[23:24], v3, s[14:15]
	s_or_b32 exec_lo, exec_lo, s17
	s_mov_b32 s17, exec_lo
	v_cmpx_gt_u32_e64 s13, v82
	s_cbranch_execz .LBB1119_911
.LBB1119_960:                           ;   in Loop: Header=BB1119_900 Depth=2
	v_lshlrev_b32_e32 v3, 3, v82
	global_load_dwordx2 v[21:22], v3, s[14:15]
	s_or_b32 exec_lo, exec_lo, s17
	s_mov_b32 s17, exec_lo
	v_cmpx_gt_u32_e64 s13, v83
	s_cbranch_execz .LBB1119_912
.LBB1119_961:                           ;   in Loop: Header=BB1119_900 Depth=2
	v_lshlrev_b32_e32 v3, 3, v83
	global_load_dwordx2 v[19:20], v3, s[14:15]
	s_or_b32 exec_lo, exec_lo, s17
	s_mov_b32 s17, exec_lo
	v_cmpx_gt_u32_e64 s13, v84
	s_cbranch_execz .LBB1119_913
.LBB1119_962:                           ;   in Loop: Header=BB1119_900 Depth=2
	v_lshlrev_b32_e32 v3, 3, v84
	global_load_dwordx2 v[17:18], v3, s[14:15]
	s_or_b32 exec_lo, exec_lo, s17
	s_mov_b32 s17, exec_lo
	v_cmpx_gt_u32_e64 s13, v85
	s_cbranch_execz .LBB1119_914
.LBB1119_963:                           ;   in Loop: Header=BB1119_900 Depth=2
	v_lshlrev_b32_e32 v3, 3, v85
	global_load_dwordx2 v[15:16], v3, s[14:15]
	s_or_b32 exec_lo, exec_lo, s17
	s_mov_b32 s17, exec_lo
	v_cmpx_gt_u32_e64 s13, v86
	s_cbranch_execz .LBB1119_915
.LBB1119_964:                           ;   in Loop: Header=BB1119_900 Depth=2
	v_lshlrev_b32_e32 v3, 3, v86
	global_load_dwordx2 v[13:14], v3, s[14:15]
	s_or_b32 exec_lo, exec_lo, s17
	s_mov_b32 s17, exec_lo
	v_cmpx_gt_u32_e64 s13, v87
	s_cbranch_execz .LBB1119_916
.LBB1119_965:                           ;   in Loop: Header=BB1119_900 Depth=2
	v_lshlrev_b32_e32 v3, 3, v87
	global_load_dwordx2 v[11:12], v3, s[14:15]
	s_or_b32 exec_lo, exec_lo, s17
	s_mov_b32 s17, exec_lo
	v_cmpx_gt_u32_e64 s13, v88
	s_cbranch_execz .LBB1119_917
.LBB1119_966:                           ;   in Loop: Header=BB1119_900 Depth=2
	v_lshlrev_b32_e32 v3, 3, v88
	global_load_dwordx2 v[9:10], v3, s[14:15]
	s_or_b32 exec_lo, exec_lo, s17
	s_mov_b32 s17, exec_lo
	v_cmpx_gt_u32_e64 s13, v89
	s_cbranch_execz .LBB1119_918
.LBB1119_967:                           ;   in Loop: Header=BB1119_900 Depth=2
	v_lshlrev_b32_e32 v3, 3, v89
	global_load_dwordx2 v[7:8], v3, s[14:15]
	s_or_b32 exec_lo, exec_lo, s17
	s_mov_b32 s17, exec_lo
	v_cmpx_gt_u32_e64 s13, v90
	s_cbranch_execnz .LBB1119_919
	s_branch .LBB1119_920
.LBB1119_968:                           ;   in Loop: Header=BB1119_12 Depth=1
	v_mov_b32_e32 v3, 0
	s_waitcnt lgkmcnt(0)
	s_barrier
	buffer_gl0_inv
	s_and_saveexec_b32 s13, s7
	s_cbranch_execz .LBB1119_970
; %bb.969:                              ;   in Loop: Header=BB1119_12 Depth=1
	ds_read2_b64 v[5:8], v93 offset1:1
	s_waitcnt lgkmcnt(0)
	v_add_nc_u32_e32 v3, v6, v5
	v_add3_u32 v3, v3, v7, v8
.LBB1119_970:                           ;   in Loop: Header=BB1119_12 Depth=1
	s_or_b32 exec_lo, exec_lo, s13
	v_and_b32_e32 v5, 15, v126
	v_mov_b32_dpp v6, v3 row_shr:1 row_mask:0xf bank_mask:0xf
	v_and_b32_e32 v7, 16, v126
	v_cmp_eq_u32_e64 s13, 0, v5
	v_cmp_lt_u32_e64 s14, 1, v5
	v_cmp_lt_u32_e64 s15, 3, v5
	;; [unrolled: 1-line block ×3, first 2 shown]
	v_cmp_eq_u32_e64 s17, 0, v7
	v_cndmask_b32_e64 v6, v6, 0, s13
	v_add_nc_u32_e32 v3, v6, v3
	v_mov_b32_dpp v6, v3 row_shr:2 row_mask:0xf bank_mask:0xf
	v_cndmask_b32_e64 v6, 0, v6, s14
	v_add_nc_u32_e32 v3, v3, v6
	v_mov_b32_dpp v6, v3 row_shr:4 row_mask:0xf bank_mask:0xf
	;; [unrolled: 3-line block ×3, first 2 shown]
	v_cndmask_b32_e64 v5, 0, v6, s16
	v_bfe_i32 v6, v126, 4, 1
	v_add_nc_u32_e32 v3, v3, v5
	ds_swizzle_b32 v5, v3 offset:swizzle(BROADCAST,32,15)
	s_waitcnt lgkmcnt(0)
	v_and_b32_e32 v5, v6, v5
	v_add_nc_u32_e32 v3, v3, v5
	s_and_saveexec_b32 s18, s8
; %bb.971:                              ;   in Loop: Header=BB1119_12 Depth=1
	ds_write_b32 v94, v3
; %bb.972:                              ;   in Loop: Header=BB1119_12 Depth=1
	s_or_b32 exec_lo, exec_lo, s18
	s_waitcnt lgkmcnt(0)
	s_barrier
	buffer_gl0_inv
	s_and_saveexec_b32 s18, s9
	s_cbranch_execz .LBB1119_974
; %bb.973:                              ;   in Loop: Header=BB1119_12 Depth=1
	ds_read_b32 v5, v95
	v_and_b32_e32 v6, 3, v126
	v_cmp_ne_u32_e32 vcc_lo, 0, v6
	s_waitcnt lgkmcnt(0)
	v_mov_b32_dpp v7, v5 row_shr:1 row_mask:0xf bank_mask:0xf
	v_cndmask_b32_e32 v7, 0, v7, vcc_lo
	v_cmp_lt_u32_e32 vcc_lo, 1, v6
	v_add_nc_u32_e32 v5, v7, v5
	v_mov_b32_dpp v7, v5 row_shr:2 row_mask:0xf bank_mask:0xf
	v_cndmask_b32_e32 v6, 0, v7, vcc_lo
	v_add_nc_u32_e32 v5, v5, v6
	ds_write_b32 v95, v5
.LBB1119_974:                           ;   in Loop: Header=BB1119_12 Depth=1
	s_or_b32 exec_lo, exec_lo, s18
	v_mov_b32_e32 v5, 0
	s_waitcnt lgkmcnt(0)
	s_barrier
	buffer_gl0_inv
	s_and_saveexec_b32 s18, s10
; %bb.975:                              ;   in Loop: Header=BB1119_12 Depth=1
	ds_read_b32 v5, v96
; %bb.976:                              ;   in Loop: Header=BB1119_12 Depth=1
	s_or_b32 exec_lo, exec_lo, s18
	v_sub_co_u32 v6, s18, v126, 1
	s_waitcnt lgkmcnt(0)
	v_add_nc_u32_e32 v3, v5, v3
	s_barrier
	v_cmp_gt_i32_e32 vcc_lo, 0, v6
	buffer_gl0_inv
	v_cndmask_b32_e32 v6, v6, v126, vcc_lo
	v_lshlrev_b32_e32 v127, 2, v6
	ds_bpermute_b32 v3, v127, v3
	s_and_saveexec_b32 s19, s7
	s_cbranch_execz .LBB1119_978
; %bb.977:                              ;   in Loop: Header=BB1119_12 Depth=1
	s_waitcnt lgkmcnt(0)
	v_cndmask_b32_e64 v3, v3, v5, s18
	v_add_nc_u32_e32 v3, s60, v3
	ds_write_b32 v73, v3
.LBB1119_978:                           ;   in Loop: Header=BB1119_12 Depth=1
	s_or_b32 exec_lo, exec_lo, s19
	s_load_dwordx2 s[20:21], s[58:59], 0x0
	v_and_b32_e32 v6, 7, v126
	v_lshlrev_b32_e32 v7, 3, v126
	v_or_b32_e32 v128, v126, v97
	s_mov_b32 s65, s62
	s_mov_b32 s46, s60
                                        ; implicit-def: $vgpr9_vgpr10
                                        ; implicit-def: $vgpr11_vgpr12
                                        ; implicit-def: $vgpr13_vgpr14
                                        ; implicit-def: $vgpr17_vgpr18
                                        ; implicit-def: $vgpr21_vgpr22
                                        ; implicit-def: $vgpr25_vgpr26
                                        ; implicit-def: $vgpr15_vgpr16
                                        ; implicit-def: $vgpr19_vgpr20
                                        ; implicit-def: $vgpr23_vgpr24
                                        ; implicit-def: $vgpr27_vgpr28
                                        ; implicit-def: $vgpr29_vgpr30
                                        ; implicit-def: $vgpr31_vgpr32
                                        ; implicit-def: $vgpr33_vgpr34
                                        ; implicit-def: $vgpr35_vgpr36
                                        ; implicit-def: $vgpr149
                                        ; implicit-def: $vgpr150
                                        ; implicit-def: $vgpr151
                                        ; implicit-def: $vgpr152
                                        ; implicit-def: $vgpr153
                                        ; implicit-def: $vgpr154
                                        ; implicit-def: $vgpr155
                                        ; implicit-def: $vgpr157
                                        ; implicit-def: $vgpr158
                                        ; implicit-def: $vgpr159
                                        ; implicit-def: $vgpr160
                                        ; implicit-def: $vgpr161
                                        ; implicit-def: $vgpr162
                                        ; implicit-def: $vgpr163
                                        ; implicit-def: $vgpr164
                                        ; implicit-def: $vgpr165
                                        ; implicit-def: $vgpr156
                                        ; implicit-def: $vgpr166
	v_add_co_u32 v129, vcc_lo, v115, v7
	v_add_co_ci_u32_e64 v130, null, 0, v116, vcc_lo
	v_add_co_u32 v146, vcc_lo, v117, v7
	v_or_b32_e32 v131, 32, v128
	v_or_b32_e32 v132, 64, v128
	;; [unrolled: 1-line block ×7, first 2 shown]
	s_waitcnt lgkmcnt(0)
	s_cmp_lt_u32 s29, s21
	v_or_b32_e32 v138, 0x100, v128
	s_cselect_b32 s19, 14, 20
	v_or_b32_e32 v139, 0x120, v128
	s_add_u32 s22, s58, s19
	s_addc_u32 s23, s59, 0
	s_cmp_lt_u32 s6, s20
	global_load_ushort v3, v4, s[22:23]
	s_cselect_b32 s19, 12, 18
	v_or_b32_e32 v140, 0x140, v128
	s_add_u32 s20, s58, s19
	s_addc_u32 s21, s59, 0
	v_cmp_eq_u32_e64 s19, 0, v6
	global_load_ushort v5, v4, s[20:21]
	v_cmp_lt_u32_e64 s20, 1, v6
	v_cmp_lt_u32_e64 s21, 3, v6
	v_or_b32_e32 v141, 0x160, v128
	v_or_b32_e32 v142, 0x180, v128
	;; [unrolled: 1-line block ×5, first 2 shown]
	v_add_co_ci_u32_e64 v147, null, 0, v118, vcc_lo
                                        ; implicit-def: $vgpr7_vgpr8
	s_waitcnt vmcnt(1)
	v_mad_u32_u24 v3, v2, v3, v1
	s_waitcnt vmcnt(0)
	v_mad_u64_u32 v[5:6], null, v3, v5, v[0:1]
	v_lshrrev_b32_e32 v3, 3, v5
                                        ; implicit-def: $vgpr5_vgpr6
	v_and_b32_e32 v148, 0x1ffffffc, v3
	s_branch .LBB1119_980
.LBB1119_979:                           ;   in Loop: Header=BB1119_980 Depth=2
	s_or_b32 exec_lo, exec_lo, s22
	s_addk_i32 s65, 0xf000
	s_cmp_lt_u32 s66, s61
	s_mov_b32 s46, s66
	s_cbranch_scc0 .LBB1119_10
.LBB1119_980:                           ;   Parent Loop BB1119_12 Depth=1
                                        ; =>  This Inner Loop Header: Depth=2
	s_add_i32 s66, s46, 0x1000
	s_cmp_gt_u32 s66, s61
	s_cbranch_scc1 .LBB1119_982
; %bb.981:                              ;   in Loop: Header=BB1119_980 Depth=2
	s_mov_b32 s47, s56
	s_lshl_b64 s[22:23], s[46:47], 3
	v_add_co_u32 v43, vcc_lo, v146, s22
	v_add_co_ci_u32_e64 v44, null, s23, v147, vcc_lo
	v_add_co_u32 v45, vcc_lo, 0x800, v43
	v_add_co_ci_u32_e64 v46, null, 0, v44, vcc_lo
	s_clause 0xe
	global_load_dwordx2 v[37:38], v[43:44], off
	global_load_dwordx2 v[39:40], v[43:44], off offset:256
	global_load_dwordx2 v[41:42], v[43:44], off offset:512
	;; [unrolled: 1-line block ×7, first 2 shown]
	global_load_dwordx2 v[67:68], v[45:46], off
	global_load_dwordx2 v[63:64], v[45:46], off offset:256
	global_load_dwordx2 v[59:60], v[45:46], off offset:512
	;; [unrolled: 1-line block ×6, first 2 shown]
	s_mov_b32 s22, -1
	s_movk_i32 s23, 0x1000
	s_cbranch_execz .LBB1119_983
	s_branch .LBB1119_1014
.LBB1119_982:                           ;   in Loop: Header=BB1119_980 Depth=2
	s_mov_b32 s22, 0
                                        ; implicit-def: $vgpr37_vgpr38
                                        ; implicit-def: $vgpr39_vgpr40
                                        ; implicit-def: $vgpr41_vgpr42
                                        ; implicit-def: $vgpr49_vgpr50
                                        ; implicit-def: $vgpr53_vgpr54
                                        ; implicit-def: $vgpr57_vgpr58
                                        ; implicit-def: $vgpr61_vgpr62
                                        ; implicit-def: $vgpr65_vgpr66
                                        ; implicit-def: $vgpr67_vgpr68
                                        ; implicit-def: $vgpr63_vgpr64
                                        ; implicit-def: $vgpr59_vgpr60
                                        ; implicit-def: $vgpr55_vgpr56
                                        ; implicit-def: $vgpr51_vgpr52
                                        ; implicit-def: $vgpr47_vgpr48
                                        ; implicit-def: $vgpr43_vgpr44
	s_movk_i32 s23, 0x1000
.LBB1119_983:                           ;   in Loop: Header=BB1119_980 Depth=2
	s_mov_b32 s47, s56
	s_waitcnt vmcnt(13)
	v_mov_b32_e32 v39, -1
	s_lshl_b64 s[22:23], s[46:47], 3
	v_mov_b32_e32 v37, -1
	v_add_co_u32 v45, vcc_lo, v146, s22
	v_add_co_ci_u32_e64 v46, null, s23, v147, vcc_lo
	v_mov_b32_e32 v40, -1
	v_mov_b32_e32 v38, -1
	s_mov_b32 s22, exec_lo
	v_cmpx_gt_u32_e64 s65, v128
	s_cbranch_execz .LBB1119_985
; %bb.984:                              ;   in Loop: Header=BB1119_980 Depth=2
	global_load_dwordx2 v[37:38], v[45:46], off
.LBB1119_985:                           ;   in Loop: Header=BB1119_980 Depth=2
	s_or_b32 exec_lo, exec_lo, s22
	s_mov_b32 s22, exec_lo
	v_cmpx_gt_u32_e64 s65, v131
	s_cbranch_execz .LBB1119_987
; %bb.986:                              ;   in Loop: Header=BB1119_980 Depth=2
	global_load_dwordx2 v[39:40], v[45:46], off offset:256
.LBB1119_987:                           ;   in Loop: Header=BB1119_980 Depth=2
	s_or_b32 exec_lo, exec_lo, s22
	s_waitcnt vmcnt(11)
	v_mov_b32_e32 v49, -1
	v_mov_b32_e32 v41, -1
	v_mov_b32_e32 v50, -1
	v_mov_b32_e32 v42, -1
	s_mov_b32 s22, exec_lo
	v_cmpx_gt_u32_e64 s65, v132
	s_cbranch_execz .LBB1119_989
; %bb.988:                              ;   in Loop: Header=BB1119_980 Depth=2
	global_load_dwordx2 v[41:42], v[45:46], off offset:512
.LBB1119_989:                           ;   in Loop: Header=BB1119_980 Depth=2
	s_or_b32 exec_lo, exec_lo, s22
	s_mov_b32 s22, exec_lo
	v_cmpx_gt_u32_e64 s65, v133
	s_cbranch_execz .LBB1119_991
; %bb.990:                              ;   in Loop: Header=BB1119_980 Depth=2
	global_load_dwordx2 v[49:50], v[45:46], off offset:768
.LBB1119_991:                           ;   in Loop: Header=BB1119_980 Depth=2
	s_or_b32 exec_lo, exec_lo, s22
	s_waitcnt vmcnt(9)
	v_mov_b32_e32 v57, -1
	v_mov_b32_e32 v53, -1
	v_mov_b32_e32 v58, -1
	v_mov_b32_e32 v54, -1
	s_mov_b32 s22, exec_lo
	v_cmpx_gt_u32_e64 s65, v134
	s_cbranch_execz .LBB1119_993
; %bb.992:                              ;   in Loop: Header=BB1119_980 Depth=2
	global_load_dwordx2 v[53:54], v[45:46], off offset:1024
.LBB1119_993:                           ;   in Loop: Header=BB1119_980 Depth=2
	;; [unrolled: 19-line block ×3, first 2 shown]
	s_or_b32 exec_lo, exec_lo, s22
	s_mov_b32 s22, exec_lo
	v_cmpx_gt_u32_e64 s65, v137
	s_cbranch_execz .LBB1119_999
; %bb.998:                              ;   in Loop: Header=BB1119_980 Depth=2
	global_load_dwordx2 v[65:66], v[45:46], off offset:1792
.LBB1119_999:                           ;   in Loop: Header=BB1119_980 Depth=2
	s_or_b32 exec_lo, exec_lo, s22
	s_waitcnt vmcnt(5)
	v_mov_b32_e32 v63, -1
	v_mov_b32_e32 v67, -1
	;; [unrolled: 1-line block ×4, first 2 shown]
	s_mov_b32 s22, exec_lo
	v_cmpx_gt_u32_e64 s65, v138
	s_cbranch_execz .LBB1119_1001
; %bb.1000:                             ;   in Loop: Header=BB1119_980 Depth=2
	s_waitcnt vmcnt(0)
	v_add_co_u32 v43, vcc_lo, 0x800, v45
	v_add_co_ci_u32_e64 v44, null, 0, v46, vcc_lo
	global_load_dwordx2 v[67:68], v[43:44], off
.LBB1119_1001:                          ;   in Loop: Header=BB1119_980 Depth=2
	s_or_b32 exec_lo, exec_lo, s22
	s_mov_b32 s22, exec_lo
	v_cmpx_gt_u32_e64 s65, v139
	s_cbranch_execz .LBB1119_1003
; %bb.1002:                             ;   in Loop: Header=BB1119_980 Depth=2
	s_waitcnt vmcnt(0)
	v_add_co_u32 v43, vcc_lo, 0x800, v45
	v_add_co_ci_u32_e64 v44, null, 0, v46, vcc_lo
	global_load_dwordx2 v[63:64], v[43:44], off offset:256
.LBB1119_1003:                          ;   in Loop: Header=BB1119_980 Depth=2
	s_or_b32 exec_lo, exec_lo, s22
	s_waitcnt vmcnt(3)
	v_mov_b32_e32 v55, -1
	v_mov_b32_e32 v59, -1
	;; [unrolled: 1-line block ×4, first 2 shown]
	s_mov_b32 s22, exec_lo
	v_cmpx_gt_u32_e64 s65, v140
	s_cbranch_execz .LBB1119_1005
; %bb.1004:                             ;   in Loop: Header=BB1119_980 Depth=2
	s_waitcnt vmcnt(0)
	v_add_co_u32 v43, vcc_lo, 0x800, v45
	v_add_co_ci_u32_e64 v44, null, 0, v46, vcc_lo
	global_load_dwordx2 v[59:60], v[43:44], off offset:512
.LBB1119_1005:                          ;   in Loop: Header=BB1119_980 Depth=2
	s_or_b32 exec_lo, exec_lo, s22
	s_mov_b32 s22, exec_lo
	v_cmpx_gt_u32_e64 s65, v141
	s_cbranch_execz .LBB1119_1007
; %bb.1006:                             ;   in Loop: Header=BB1119_980 Depth=2
	s_waitcnt vmcnt(0)
	v_add_co_u32 v43, vcc_lo, 0x800, v45
	v_add_co_ci_u32_e64 v44, null, 0, v46, vcc_lo
	global_load_dwordx2 v[55:56], v[43:44], off offset:768
.LBB1119_1007:                          ;   in Loop: Header=BB1119_980 Depth=2
	s_or_b32 exec_lo, exec_lo, s22
	s_waitcnt vmcnt(1)
	v_mov_b32_e32 v47, -1
	v_mov_b32_e32 v51, -1
	;; [unrolled: 1-line block ×4, first 2 shown]
	s_mov_b32 s22, exec_lo
	v_cmpx_gt_u32_e64 s65, v142
	s_cbranch_execz .LBB1119_1009
; %bb.1008:                             ;   in Loop: Header=BB1119_980 Depth=2
	s_waitcnt vmcnt(0)
	v_add_co_u32 v43, vcc_lo, 0x800, v45
	v_add_co_ci_u32_e64 v44, null, 0, v46, vcc_lo
	global_load_dwordx2 v[51:52], v[43:44], off offset:1024
.LBB1119_1009:                          ;   in Loop: Header=BB1119_980 Depth=2
	s_or_b32 exec_lo, exec_lo, s22
	s_mov_b32 s22, exec_lo
	v_cmpx_gt_u32_e64 s65, v143
	s_cbranch_execz .LBB1119_1011
; %bb.1010:                             ;   in Loop: Header=BB1119_980 Depth=2
	s_waitcnt vmcnt(0)
	v_add_co_u32 v43, vcc_lo, 0x800, v45
	v_add_co_ci_u32_e64 v44, null, 0, v46, vcc_lo
	global_load_dwordx2 v[47:48], v[43:44], off offset:1280
.LBB1119_1011:                          ;   in Loop: Header=BB1119_980 Depth=2
	s_or_b32 exec_lo, exec_lo, s22
	s_waitcnt vmcnt(0)
	v_mov_b32_e32 v43, -1
	v_mov_b32_e32 v44, -1
	s_mov_b32 s22, exec_lo
	v_cmpx_gt_u32_e64 s65, v144
	s_cbranch_execz .LBB1119_1013
; %bb.1012:                             ;   in Loop: Header=BB1119_980 Depth=2
	v_add_co_u32 v43, vcc_lo, 0x800, v45
	v_add_co_ci_u32_e64 v44, null, 0, v46, vcc_lo
	global_load_dwordx2 v[43:44], v[43:44], off offset:1536
.LBB1119_1013:                          ;   in Loop: Header=BB1119_980 Depth=2
	s_or_b32 exec_lo, exec_lo, s22
	v_cmp_gt_u32_e64 s22, s65, v145
	s_sub_i32 s23, s61, s46
.LBB1119_1014:                          ;   in Loop: Header=BB1119_980 Depth=2
	v_mov_b32_e32 v45, -1
	v_mov_b32_e32 v46, -1
	v_mov_b32_e32 v167, s65
	s_and_saveexec_b32 s24, s22
	s_cbranch_execz .LBB1119_1016
; %bb.1015:                             ;   in Loop: Header=BB1119_980 Depth=2
	s_lshl_b64 s[26:27], s[46:47], 3
	v_mov_b32_e32 v167, s23
	v_add_co_u32 v3, vcc_lo, v146, s26
	v_add_co_ci_u32_e64 v46, null, s27, v147, vcc_lo
	v_add_co_u32 v45, vcc_lo, 0x800, v3
	v_add_co_ci_u32_e64 v46, null, 0, v46, vcc_lo
	global_load_dwordx2 v[45:46], v[45:46], off offset:1792
.LBB1119_1016:                          ;   in Loop: Header=BB1119_980 Depth=2
	s_or_b32 exec_lo, exec_lo, s24
	s_waitcnt vmcnt(14)
	v_cmp_gt_i64_e32 vcc_lo, 0, v[37:38]
	v_ashrrev_i32_e32 v3, 31, v38
	ds_write2_b32 v98, v4, v4 offset0:136 offset1:137
	ds_write2_b32 v98, v4, v4 offset0:138 offset1:139
	ds_write_b32 v98, v4 offset:560
	s_waitcnt vmcnt(0) lgkmcnt(0)
	s_barrier
	v_cndmask_b32_e64 v69, 0x7fffffff, 0, vcc_lo
	v_not_b32_e32 v3, v3
	buffer_gl0_inv
	; wave barrier
	v_xor_b32_e32 v38, v69, v38
	v_xor_b32_e32 v37, v3, v37
	v_cmp_ne_u64_e32 vcc_lo, s[56:57], v[37:38]
	v_cndmask_b32_e32 v70, 0x7fffffff, v38, vcc_lo
	v_cndmask_b32_e32 v69, -1, v37, vcc_lo
	v_lshrrev_b64 v[69:70], s52, v[69:70]
	v_and_b32_e32 v70, s64, v69
	v_and_b32_e32 v3, 1, v70
	v_lshlrev_b32_e32 v69, 30, v70
	v_lshlrev_b32_e32 v71, 29, v70
	;; [unrolled: 1-line block ×4, first 2 shown]
	v_add_co_u32 v3, s22, v3, -1
	v_cndmask_b32_e64 v72, 0, 1, s22
	v_not_b32_e32 v171, v69
	v_cmp_gt_i32_e64 s22, 0, v69
	v_not_b32_e32 v69, v71
	v_lshlrev_b32_e32 v170, 26, v70
	v_cmp_ne_u32_e32 vcc_lo, 0, v72
	v_ashrrev_i32_e32 v171, 31, v171
	v_lshlrev_b32_e32 v72, 25, v70
	v_ashrrev_i32_e32 v69, 31, v69
	v_mul_u32_u24_e32 v70, 36, v70
	v_xor_b32_e32 v3, vcc_lo, v3
	v_cmp_gt_i32_e32 vcc_lo, 0, v71
	v_not_b32_e32 v71, v168
	v_xor_b32_e32 v171, s22, v171
	v_cmp_gt_i32_e64 s22, 0, v168
	v_and_b32_e32 v3, exec_lo, v3
	v_not_b32_e32 v168, v169
	v_ashrrev_i32_e32 v71, 31, v71
	v_xor_b32_e32 v69, vcc_lo, v69
	v_cmp_gt_i32_e32 vcc_lo, 0, v169
	v_and_b32_e32 v3, v3, v171
	v_not_b32_e32 v169, v170
	v_ashrrev_i32_e32 v168, 31, v168
	v_xor_b32_e32 v71, s22, v71
	v_cmp_gt_i32_e64 s22, 0, v170
	v_and_b32_e32 v3, v3, v69
	v_not_b32_e32 v69, v72
	v_ashrrev_i32_e32 v169, 31, v169
	v_xor_b32_e32 v168, vcc_lo, v168
	v_cmp_gt_i32_e32 vcc_lo, 0, v72
	v_and_b32_e32 v3, v3, v71
	v_ashrrev_i32_e32 v69, 31, v69
	v_xor_b32_e32 v71, s22, v169
	v_and_b32_e32 v3, v3, v168
	v_xor_b32_e32 v69, vcc_lo, v69
	v_add_nc_u32_e32 v168, v148, v70
	v_and_b32_e32 v3, v3, v71
	v_and_b32_e32 v69, v3, v69
	v_mbcnt_lo_u32_b32 v3, v69, 0
	v_cmp_ne_u32_e64 s22, 0, v69
	v_cmp_eq_u32_e32 vcc_lo, 0, v3
	s_and_b32 s23, s22, vcc_lo
	s_and_saveexec_b32 s22, s23
; %bb.1017:                             ;   in Loop: Header=BB1119_980 Depth=2
	v_bcnt_u32_b32 v69, v69, 0
	ds_write_b32 v168, v69 offset:544
; %bb.1018:                             ;   in Loop: Header=BB1119_980 Depth=2
	s_or_b32 exec_lo, exec_lo, s22
	v_cmp_gt_i64_e32 vcc_lo, 0, v[39:40]
	v_ashrrev_i32_e32 v69, 31, v40
	; wave barrier
	v_not_b32_e32 v69, v69
	v_cndmask_b32_e64 v70, 0x7fffffff, 0, vcc_lo
	v_xor_b32_e32 v39, v69, v39
	v_xor_b32_e32 v40, v70, v40
	v_cmp_ne_u64_e32 vcc_lo, s[56:57], v[39:40]
	v_cndmask_b32_e32 v70, 0x7fffffff, v40, vcc_lo
	v_cndmask_b32_e32 v69, -1, v39, vcc_lo
	v_lshrrev_b64 v[69:70], s52, v[69:70]
	v_and_b32_e32 v70, s64, v69
	v_and_b32_e32 v69, 1, v70
	v_lshlrev_b32_e32 v71, 30, v70
	v_lshlrev_b32_e32 v72, 29, v70
	;; [unrolled: 1-line block ×4, first 2 shown]
	v_add_co_u32 v69, s22, v69, -1
	v_cndmask_b32_e64 v169, 0, 1, s22
	v_not_b32_e32 v173, v71
	v_cmp_gt_i32_e64 s22, 0, v71
	v_not_b32_e32 v71, v72
	v_lshlrev_b32_e32 v172, 26, v70
	v_cmp_ne_u32_e32 vcc_lo, 0, v169
	v_ashrrev_i32_e32 v173, 31, v173
	v_lshlrev_b32_e32 v169, 25, v70
	v_ashrrev_i32_e32 v71, 31, v71
	v_xor_b32_e32 v69, vcc_lo, v69
	v_cmp_gt_i32_e32 vcc_lo, 0, v72
	v_not_b32_e32 v72, v170
	v_xor_b32_e32 v173, s22, v173
	v_cmp_gt_i32_e64 s22, 0, v170
	v_and_b32_e32 v69, exec_lo, v69
	v_not_b32_e32 v170, v171
	v_ashrrev_i32_e32 v72, 31, v72
	v_xor_b32_e32 v71, vcc_lo, v71
	v_cmp_gt_i32_e32 vcc_lo, 0, v171
	v_and_b32_e32 v69, v69, v173
	v_not_b32_e32 v171, v172
	v_ashrrev_i32_e32 v170, 31, v170
	v_xor_b32_e32 v72, s22, v72
	v_cmp_gt_i32_e64 s22, 0, v172
	v_and_b32_e32 v69, v69, v71
	v_not_b32_e32 v71, v169
	v_ashrrev_i32_e32 v171, 31, v171
	v_xor_b32_e32 v170, vcc_lo, v170
	v_cmp_gt_i32_e32 vcc_lo, 0, v169
	v_and_b32_e32 v69, v69, v72
	v_ashrrev_i32_e32 v71, 31, v71
	v_xor_b32_e32 v72, s22, v171
	v_mad_u32_u24 v169, v70, 36, v148
	v_mul_u32_u24_e32 v70, 36, v70
	v_and_b32_e32 v69, v69, v170
	v_xor_b32_e32 v71, vcc_lo, v71
	ds_read_b32 v169, v169 offset:544
	v_add_nc_u32_e32 v171, v148, v70
	v_and_b32_e32 v69, v69, v72
	; wave barrier
	v_and_b32_e32 v69, v69, v71
	v_mbcnt_lo_u32_b32 v170, v69, 0
	v_cmp_ne_u32_e64 s22, 0, v69
	v_cmp_eq_u32_e32 vcc_lo, 0, v170
	s_and_b32 s23, s22, vcc_lo
	s_and_saveexec_b32 s22, s23
	s_cbranch_execz .LBB1119_1020
; %bb.1019:                             ;   in Loop: Header=BB1119_980 Depth=2
	s_waitcnt lgkmcnt(0)
	v_bcnt_u32_b32 v69, v69, v169
	ds_write_b32 v171, v69 offset:544
.LBB1119_1020:                          ;   in Loop: Header=BB1119_980 Depth=2
	s_or_b32 exec_lo, exec_lo, s22
	v_cmp_gt_i64_e32 vcc_lo, 0, v[41:42]
	v_ashrrev_i32_e32 v69, 31, v42
	; wave barrier
	v_not_b32_e32 v69, v69
	v_cndmask_b32_e64 v70, 0x7fffffff, 0, vcc_lo
	v_xor_b32_e32 v41, v69, v41
	v_xor_b32_e32 v42, v70, v42
	v_cmp_ne_u64_e32 vcc_lo, s[56:57], v[41:42]
	v_cndmask_b32_e32 v70, 0x7fffffff, v42, vcc_lo
	v_cndmask_b32_e32 v69, -1, v41, vcc_lo
	v_lshrrev_b64 v[69:70], s52, v[69:70]
	v_and_b32_e32 v70, s64, v69
	v_and_b32_e32 v69, 1, v70
	v_lshlrev_b32_e32 v71, 30, v70
	v_lshlrev_b32_e32 v72, 29, v70
	;; [unrolled: 1-line block ×4, first 2 shown]
	v_add_co_u32 v69, s22, v69, -1
	v_cndmask_b32_e64 v172, 0, 1, s22
	v_not_b32_e32 v176, v71
	v_cmp_gt_i32_e64 s22, 0, v71
	v_not_b32_e32 v71, v72
	v_lshlrev_b32_e32 v175, 26, v70
	v_cmp_ne_u32_e32 vcc_lo, 0, v172
	v_ashrrev_i32_e32 v176, 31, v176
	v_lshlrev_b32_e32 v172, 25, v70
	v_ashrrev_i32_e32 v71, 31, v71
	v_xor_b32_e32 v69, vcc_lo, v69
	v_cmp_gt_i32_e32 vcc_lo, 0, v72
	v_not_b32_e32 v72, v173
	v_xor_b32_e32 v176, s22, v176
	v_cmp_gt_i32_e64 s22, 0, v173
	v_and_b32_e32 v69, exec_lo, v69
	v_not_b32_e32 v173, v174
	v_ashrrev_i32_e32 v72, 31, v72
	v_xor_b32_e32 v71, vcc_lo, v71
	v_cmp_gt_i32_e32 vcc_lo, 0, v174
	v_and_b32_e32 v69, v69, v176
	v_not_b32_e32 v174, v175
	v_ashrrev_i32_e32 v173, 31, v173
	v_xor_b32_e32 v72, s22, v72
	v_cmp_gt_i32_e64 s22, 0, v175
	v_and_b32_e32 v69, v69, v71
	v_not_b32_e32 v71, v172
	v_ashrrev_i32_e32 v174, 31, v174
	v_xor_b32_e32 v173, vcc_lo, v173
	v_cmp_gt_i32_e32 vcc_lo, 0, v172
	v_and_b32_e32 v69, v69, v72
	v_ashrrev_i32_e32 v71, 31, v71
	v_xor_b32_e32 v72, s22, v174
	v_mad_u32_u24 v172, v70, 36, v148
	v_mul_u32_u24_e32 v70, 36, v70
	v_and_b32_e32 v69, v69, v173
	v_xor_b32_e32 v71, vcc_lo, v71
	ds_read_b32 v172, v172 offset:544
	v_add_nc_u32_e32 v174, v148, v70
	v_and_b32_e32 v69, v69, v72
	; wave barrier
	v_and_b32_e32 v69, v69, v71
	v_mbcnt_lo_u32_b32 v173, v69, 0
	v_cmp_ne_u32_e64 s22, 0, v69
	v_cmp_eq_u32_e32 vcc_lo, 0, v173
	s_and_b32 s23, s22, vcc_lo
	s_and_saveexec_b32 s22, s23
	s_cbranch_execz .LBB1119_1022
; %bb.1021:                             ;   in Loop: Header=BB1119_980 Depth=2
	s_waitcnt lgkmcnt(0)
	v_bcnt_u32_b32 v69, v69, v172
	ds_write_b32 v174, v69 offset:544
.LBB1119_1022:                          ;   in Loop: Header=BB1119_980 Depth=2
	s_or_b32 exec_lo, exec_lo, s22
	v_cmp_gt_i64_e32 vcc_lo, 0, v[49:50]
	v_ashrrev_i32_e32 v69, 31, v50
	; wave barrier
	v_not_b32_e32 v69, v69
	v_cndmask_b32_e64 v70, 0x7fffffff, 0, vcc_lo
	v_xor_b32_e32 v49, v69, v49
	v_xor_b32_e32 v50, v70, v50
	v_cmp_ne_u64_e32 vcc_lo, s[56:57], v[49:50]
	v_cndmask_b32_e32 v70, 0x7fffffff, v50, vcc_lo
	v_cndmask_b32_e32 v69, -1, v49, vcc_lo
	v_lshrrev_b64 v[69:70], s52, v[69:70]
	v_and_b32_e32 v70, s64, v69
	v_and_b32_e32 v69, 1, v70
	v_lshlrev_b32_e32 v71, 30, v70
	v_lshlrev_b32_e32 v72, 29, v70
	;; [unrolled: 1-line block ×4, first 2 shown]
	v_add_co_u32 v69, s22, v69, -1
	v_cndmask_b32_e64 v175, 0, 1, s22
	v_not_b32_e32 v179, v71
	v_cmp_gt_i32_e64 s22, 0, v71
	v_not_b32_e32 v71, v72
	v_lshlrev_b32_e32 v178, 26, v70
	v_cmp_ne_u32_e32 vcc_lo, 0, v175
	v_ashrrev_i32_e32 v179, 31, v179
	v_lshlrev_b32_e32 v175, 25, v70
	v_ashrrev_i32_e32 v71, 31, v71
	v_xor_b32_e32 v69, vcc_lo, v69
	v_cmp_gt_i32_e32 vcc_lo, 0, v72
	v_not_b32_e32 v72, v176
	v_xor_b32_e32 v179, s22, v179
	v_cmp_gt_i32_e64 s22, 0, v176
	v_and_b32_e32 v69, exec_lo, v69
	v_not_b32_e32 v176, v177
	v_ashrrev_i32_e32 v72, 31, v72
	v_xor_b32_e32 v71, vcc_lo, v71
	v_cmp_gt_i32_e32 vcc_lo, 0, v177
	v_and_b32_e32 v69, v69, v179
	v_not_b32_e32 v177, v178
	v_ashrrev_i32_e32 v176, 31, v176
	v_xor_b32_e32 v72, s22, v72
	v_cmp_gt_i32_e64 s22, 0, v178
	v_and_b32_e32 v69, v69, v71
	v_not_b32_e32 v71, v175
	v_ashrrev_i32_e32 v177, 31, v177
	v_xor_b32_e32 v176, vcc_lo, v176
	v_cmp_gt_i32_e32 vcc_lo, 0, v175
	v_and_b32_e32 v69, v69, v72
	v_ashrrev_i32_e32 v71, 31, v71
	v_xor_b32_e32 v72, s22, v177
	v_mad_u32_u24 v175, v70, 36, v148
	v_mul_u32_u24_e32 v70, 36, v70
	v_and_b32_e32 v69, v69, v176
	v_xor_b32_e32 v71, vcc_lo, v71
	ds_read_b32 v175, v175 offset:544
	v_add_nc_u32_e32 v177, v148, v70
	v_and_b32_e32 v69, v69, v72
	; wave barrier
	v_and_b32_e32 v69, v69, v71
	v_mbcnt_lo_u32_b32 v176, v69, 0
	v_cmp_ne_u32_e64 s22, 0, v69
	v_cmp_eq_u32_e32 vcc_lo, 0, v176
	s_and_b32 s23, s22, vcc_lo
	s_and_saveexec_b32 s22, s23
	s_cbranch_execz .LBB1119_1024
; %bb.1023:                             ;   in Loop: Header=BB1119_980 Depth=2
	s_waitcnt lgkmcnt(0)
	v_bcnt_u32_b32 v69, v69, v175
	ds_write_b32 v177, v69 offset:544
.LBB1119_1024:                          ;   in Loop: Header=BB1119_980 Depth=2
	s_or_b32 exec_lo, exec_lo, s22
	v_cmp_gt_i64_e32 vcc_lo, 0, v[53:54]
	v_ashrrev_i32_e32 v69, 31, v54
	; wave barrier
	v_not_b32_e32 v69, v69
	v_cndmask_b32_e64 v70, 0x7fffffff, 0, vcc_lo
	v_xor_b32_e32 v53, v69, v53
	v_xor_b32_e32 v54, v70, v54
	v_cmp_ne_u64_e32 vcc_lo, s[56:57], v[53:54]
	v_cndmask_b32_e32 v70, 0x7fffffff, v54, vcc_lo
	v_cndmask_b32_e32 v69, -1, v53, vcc_lo
	v_lshrrev_b64 v[69:70], s52, v[69:70]
	v_and_b32_e32 v70, s64, v69
	v_and_b32_e32 v69, 1, v70
	v_lshlrev_b32_e32 v71, 30, v70
	v_lshlrev_b32_e32 v72, 29, v70
	;; [unrolled: 1-line block ×4, first 2 shown]
	v_add_co_u32 v69, s22, v69, -1
	v_cndmask_b32_e64 v178, 0, 1, s22
	v_not_b32_e32 v182, v71
	v_cmp_gt_i32_e64 s22, 0, v71
	v_not_b32_e32 v71, v72
	v_lshlrev_b32_e32 v181, 26, v70
	v_cmp_ne_u32_e32 vcc_lo, 0, v178
	v_ashrrev_i32_e32 v182, 31, v182
	v_lshlrev_b32_e32 v178, 25, v70
	v_ashrrev_i32_e32 v71, 31, v71
	v_xor_b32_e32 v69, vcc_lo, v69
	v_cmp_gt_i32_e32 vcc_lo, 0, v72
	v_not_b32_e32 v72, v179
	v_xor_b32_e32 v182, s22, v182
	v_cmp_gt_i32_e64 s22, 0, v179
	v_and_b32_e32 v69, exec_lo, v69
	v_not_b32_e32 v179, v180
	v_ashrrev_i32_e32 v72, 31, v72
	v_xor_b32_e32 v71, vcc_lo, v71
	v_cmp_gt_i32_e32 vcc_lo, 0, v180
	v_and_b32_e32 v69, v69, v182
	v_not_b32_e32 v180, v181
	v_ashrrev_i32_e32 v179, 31, v179
	v_xor_b32_e32 v72, s22, v72
	v_cmp_gt_i32_e64 s22, 0, v181
	v_and_b32_e32 v69, v69, v71
	v_not_b32_e32 v71, v178
	v_ashrrev_i32_e32 v180, 31, v180
	v_xor_b32_e32 v179, vcc_lo, v179
	v_cmp_gt_i32_e32 vcc_lo, 0, v178
	v_and_b32_e32 v69, v69, v72
	v_ashrrev_i32_e32 v71, 31, v71
	v_xor_b32_e32 v72, s22, v180
	v_mad_u32_u24 v178, v70, 36, v148
	v_mul_u32_u24_e32 v70, 36, v70
	v_and_b32_e32 v69, v69, v179
	v_xor_b32_e32 v71, vcc_lo, v71
	ds_read_b32 v178, v178 offset:544
	v_add_nc_u32_e32 v180, v148, v70
	v_and_b32_e32 v69, v69, v72
	; wave barrier
	v_and_b32_e32 v69, v69, v71
	v_mbcnt_lo_u32_b32 v179, v69, 0
	v_cmp_ne_u32_e64 s22, 0, v69
	v_cmp_eq_u32_e32 vcc_lo, 0, v179
	s_and_b32 s23, s22, vcc_lo
	s_and_saveexec_b32 s22, s23
	s_cbranch_execz .LBB1119_1026
; %bb.1025:                             ;   in Loop: Header=BB1119_980 Depth=2
	s_waitcnt lgkmcnt(0)
	v_bcnt_u32_b32 v69, v69, v178
	ds_write_b32 v180, v69 offset:544
.LBB1119_1026:                          ;   in Loop: Header=BB1119_980 Depth=2
	s_or_b32 exec_lo, exec_lo, s22
	v_cmp_gt_i64_e32 vcc_lo, 0, v[57:58]
	v_ashrrev_i32_e32 v69, 31, v58
	; wave barrier
	v_not_b32_e32 v69, v69
	v_cndmask_b32_e64 v70, 0x7fffffff, 0, vcc_lo
	v_xor_b32_e32 v57, v69, v57
	v_xor_b32_e32 v58, v70, v58
	v_cmp_ne_u64_e32 vcc_lo, s[56:57], v[57:58]
	v_cndmask_b32_e32 v70, 0x7fffffff, v58, vcc_lo
	v_cndmask_b32_e32 v69, -1, v57, vcc_lo
	v_lshrrev_b64 v[69:70], s52, v[69:70]
	v_and_b32_e32 v70, s64, v69
	v_and_b32_e32 v69, 1, v70
	v_lshlrev_b32_e32 v71, 30, v70
	v_lshlrev_b32_e32 v72, 29, v70
	;; [unrolled: 1-line block ×4, first 2 shown]
	v_add_co_u32 v69, s22, v69, -1
	v_cndmask_b32_e64 v181, 0, 1, s22
	v_not_b32_e32 v185, v71
	v_cmp_gt_i32_e64 s22, 0, v71
	v_not_b32_e32 v71, v72
	v_lshlrev_b32_e32 v184, 26, v70
	v_cmp_ne_u32_e32 vcc_lo, 0, v181
	v_ashrrev_i32_e32 v185, 31, v185
	v_lshlrev_b32_e32 v181, 25, v70
	v_ashrrev_i32_e32 v71, 31, v71
	v_xor_b32_e32 v69, vcc_lo, v69
	v_cmp_gt_i32_e32 vcc_lo, 0, v72
	v_not_b32_e32 v72, v182
	v_xor_b32_e32 v185, s22, v185
	v_cmp_gt_i32_e64 s22, 0, v182
	v_and_b32_e32 v69, exec_lo, v69
	v_not_b32_e32 v182, v183
	v_ashrrev_i32_e32 v72, 31, v72
	v_xor_b32_e32 v71, vcc_lo, v71
	v_cmp_gt_i32_e32 vcc_lo, 0, v183
	v_and_b32_e32 v69, v69, v185
	v_not_b32_e32 v183, v184
	v_ashrrev_i32_e32 v182, 31, v182
	v_xor_b32_e32 v72, s22, v72
	v_cmp_gt_i32_e64 s22, 0, v184
	v_and_b32_e32 v69, v69, v71
	v_not_b32_e32 v71, v181
	v_ashrrev_i32_e32 v183, 31, v183
	v_xor_b32_e32 v182, vcc_lo, v182
	v_cmp_gt_i32_e32 vcc_lo, 0, v181
	v_and_b32_e32 v69, v69, v72
	v_ashrrev_i32_e32 v71, 31, v71
	v_xor_b32_e32 v72, s22, v183
	v_mad_u32_u24 v181, v70, 36, v148
	v_mul_u32_u24_e32 v70, 36, v70
	v_and_b32_e32 v69, v69, v182
	v_xor_b32_e32 v71, vcc_lo, v71
	ds_read_b32 v181, v181 offset:544
	v_add_nc_u32_e32 v183, v148, v70
	v_and_b32_e32 v69, v69, v72
	; wave barrier
	v_and_b32_e32 v69, v69, v71
	v_mbcnt_lo_u32_b32 v182, v69, 0
	v_cmp_ne_u32_e64 s22, 0, v69
	v_cmp_eq_u32_e32 vcc_lo, 0, v182
	s_and_b32 s23, s22, vcc_lo
	s_and_saveexec_b32 s22, s23
	s_cbranch_execz .LBB1119_1028
; %bb.1027:                             ;   in Loop: Header=BB1119_980 Depth=2
	s_waitcnt lgkmcnt(0)
	v_bcnt_u32_b32 v69, v69, v181
	ds_write_b32 v183, v69 offset:544
.LBB1119_1028:                          ;   in Loop: Header=BB1119_980 Depth=2
	s_or_b32 exec_lo, exec_lo, s22
	v_cmp_gt_i64_e32 vcc_lo, 0, v[61:62]
	v_ashrrev_i32_e32 v69, 31, v62
	; wave barrier
	v_not_b32_e32 v69, v69
	v_cndmask_b32_e64 v70, 0x7fffffff, 0, vcc_lo
	v_xor_b32_e32 v61, v69, v61
	v_xor_b32_e32 v62, v70, v62
	v_cmp_ne_u64_e32 vcc_lo, s[56:57], v[61:62]
	v_cndmask_b32_e32 v70, 0x7fffffff, v62, vcc_lo
	v_cndmask_b32_e32 v69, -1, v61, vcc_lo
	v_lshrrev_b64 v[69:70], s52, v[69:70]
	v_and_b32_e32 v70, s64, v69
	v_and_b32_e32 v69, 1, v70
	v_lshlrev_b32_e32 v71, 30, v70
	v_lshlrev_b32_e32 v72, 29, v70
	;; [unrolled: 1-line block ×4, first 2 shown]
	v_add_co_u32 v69, s22, v69, -1
	v_cndmask_b32_e64 v184, 0, 1, s22
	v_not_b32_e32 v188, v71
	v_cmp_gt_i32_e64 s22, 0, v71
	v_not_b32_e32 v71, v72
	v_lshlrev_b32_e32 v187, 26, v70
	v_cmp_ne_u32_e32 vcc_lo, 0, v184
	v_ashrrev_i32_e32 v188, 31, v188
	v_lshlrev_b32_e32 v184, 25, v70
	v_ashrrev_i32_e32 v71, 31, v71
	v_xor_b32_e32 v69, vcc_lo, v69
	v_cmp_gt_i32_e32 vcc_lo, 0, v72
	v_not_b32_e32 v72, v185
	v_xor_b32_e32 v188, s22, v188
	v_cmp_gt_i32_e64 s22, 0, v185
	v_and_b32_e32 v69, exec_lo, v69
	v_not_b32_e32 v185, v186
	v_ashrrev_i32_e32 v72, 31, v72
	v_xor_b32_e32 v71, vcc_lo, v71
	v_cmp_gt_i32_e32 vcc_lo, 0, v186
	v_and_b32_e32 v69, v69, v188
	v_not_b32_e32 v186, v187
	v_ashrrev_i32_e32 v185, 31, v185
	v_xor_b32_e32 v72, s22, v72
	v_cmp_gt_i32_e64 s22, 0, v187
	v_and_b32_e32 v69, v69, v71
	v_not_b32_e32 v71, v184
	v_ashrrev_i32_e32 v186, 31, v186
	v_xor_b32_e32 v185, vcc_lo, v185
	v_cmp_gt_i32_e32 vcc_lo, 0, v184
	v_and_b32_e32 v69, v69, v72
	v_ashrrev_i32_e32 v71, 31, v71
	v_xor_b32_e32 v72, s22, v186
	v_mad_u32_u24 v184, v70, 36, v148
	v_mul_u32_u24_e32 v70, 36, v70
	v_and_b32_e32 v69, v69, v185
	v_xor_b32_e32 v71, vcc_lo, v71
	ds_read_b32 v184, v184 offset:544
	v_add_nc_u32_e32 v186, v148, v70
	v_and_b32_e32 v69, v69, v72
	; wave barrier
	v_and_b32_e32 v69, v69, v71
	v_mbcnt_lo_u32_b32 v185, v69, 0
	v_cmp_ne_u32_e64 s22, 0, v69
	v_cmp_eq_u32_e32 vcc_lo, 0, v185
	s_and_b32 s23, s22, vcc_lo
	s_and_saveexec_b32 s22, s23
	s_cbranch_execz .LBB1119_1030
; %bb.1029:                             ;   in Loop: Header=BB1119_980 Depth=2
	s_waitcnt lgkmcnt(0)
	v_bcnt_u32_b32 v69, v69, v184
	ds_write_b32 v186, v69 offset:544
.LBB1119_1030:                          ;   in Loop: Header=BB1119_980 Depth=2
	s_or_b32 exec_lo, exec_lo, s22
	v_cmp_gt_i64_e32 vcc_lo, 0, v[65:66]
	v_ashrrev_i32_e32 v69, 31, v66
	; wave barrier
	v_not_b32_e32 v69, v69
	v_cndmask_b32_e64 v70, 0x7fffffff, 0, vcc_lo
	v_xor_b32_e32 v65, v69, v65
	v_xor_b32_e32 v66, v70, v66
	v_cmp_ne_u64_e32 vcc_lo, s[56:57], v[65:66]
	v_cndmask_b32_e32 v70, 0x7fffffff, v66, vcc_lo
	v_cndmask_b32_e32 v69, -1, v65, vcc_lo
	v_lshrrev_b64 v[69:70], s52, v[69:70]
	v_and_b32_e32 v70, s64, v69
	v_and_b32_e32 v69, 1, v70
	v_lshlrev_b32_e32 v71, 30, v70
	v_lshlrev_b32_e32 v72, 29, v70
	;; [unrolled: 1-line block ×4, first 2 shown]
	v_add_co_u32 v69, s22, v69, -1
	v_cndmask_b32_e64 v187, 0, 1, s22
	v_not_b32_e32 v191, v71
	v_cmp_gt_i32_e64 s22, 0, v71
	v_not_b32_e32 v71, v72
	v_lshlrev_b32_e32 v190, 26, v70
	v_cmp_ne_u32_e32 vcc_lo, 0, v187
	v_ashrrev_i32_e32 v191, 31, v191
	v_lshlrev_b32_e32 v187, 25, v70
	v_ashrrev_i32_e32 v71, 31, v71
	v_xor_b32_e32 v69, vcc_lo, v69
	v_cmp_gt_i32_e32 vcc_lo, 0, v72
	v_not_b32_e32 v72, v188
	v_xor_b32_e32 v191, s22, v191
	v_cmp_gt_i32_e64 s22, 0, v188
	v_and_b32_e32 v69, exec_lo, v69
	v_not_b32_e32 v188, v189
	v_ashrrev_i32_e32 v72, 31, v72
	v_xor_b32_e32 v71, vcc_lo, v71
	v_cmp_gt_i32_e32 vcc_lo, 0, v189
	v_and_b32_e32 v69, v69, v191
	v_not_b32_e32 v189, v190
	v_ashrrev_i32_e32 v188, 31, v188
	v_xor_b32_e32 v72, s22, v72
	v_cmp_gt_i32_e64 s22, 0, v190
	v_and_b32_e32 v69, v69, v71
	v_not_b32_e32 v71, v187
	v_ashrrev_i32_e32 v189, 31, v189
	v_xor_b32_e32 v188, vcc_lo, v188
	v_cmp_gt_i32_e32 vcc_lo, 0, v187
	v_and_b32_e32 v69, v69, v72
	v_ashrrev_i32_e32 v71, 31, v71
	v_xor_b32_e32 v72, s22, v189
	v_mad_u32_u24 v187, v70, 36, v148
	v_mul_u32_u24_e32 v70, 36, v70
	v_and_b32_e32 v69, v69, v188
	v_xor_b32_e32 v71, vcc_lo, v71
	ds_read_b32 v187, v187 offset:544
	v_add_nc_u32_e32 v189, v148, v70
	v_and_b32_e32 v69, v69, v72
	; wave barrier
	v_and_b32_e32 v69, v69, v71
	v_mbcnt_lo_u32_b32 v188, v69, 0
	v_cmp_ne_u32_e64 s22, 0, v69
	v_cmp_eq_u32_e32 vcc_lo, 0, v188
	s_and_b32 s23, s22, vcc_lo
	s_and_saveexec_b32 s22, s23
	s_cbranch_execz .LBB1119_1032
; %bb.1031:                             ;   in Loop: Header=BB1119_980 Depth=2
	s_waitcnt lgkmcnt(0)
	v_bcnt_u32_b32 v69, v69, v187
	ds_write_b32 v189, v69 offset:544
.LBB1119_1032:                          ;   in Loop: Header=BB1119_980 Depth=2
	s_or_b32 exec_lo, exec_lo, s22
	v_cmp_gt_i64_e32 vcc_lo, 0, v[67:68]
	v_ashrrev_i32_e32 v69, 31, v68
	; wave barrier
	v_not_b32_e32 v69, v69
	v_cndmask_b32_e64 v70, 0x7fffffff, 0, vcc_lo
	v_xor_b32_e32 v67, v69, v67
	v_xor_b32_e32 v68, v70, v68
	v_cmp_ne_u64_e32 vcc_lo, s[56:57], v[67:68]
	v_cndmask_b32_e32 v70, 0x7fffffff, v68, vcc_lo
	v_cndmask_b32_e32 v69, -1, v67, vcc_lo
	v_lshrrev_b64 v[69:70], s52, v[69:70]
	v_and_b32_e32 v70, s64, v69
	v_and_b32_e32 v69, 1, v70
	v_lshlrev_b32_e32 v71, 30, v70
	v_lshlrev_b32_e32 v72, 29, v70
	;; [unrolled: 1-line block ×4, first 2 shown]
	v_add_co_u32 v69, s22, v69, -1
	v_cndmask_b32_e64 v190, 0, 1, s22
	v_not_b32_e32 v194, v71
	v_cmp_gt_i32_e64 s22, 0, v71
	v_not_b32_e32 v71, v72
	v_lshlrev_b32_e32 v193, 26, v70
	v_cmp_ne_u32_e32 vcc_lo, 0, v190
	v_ashrrev_i32_e32 v194, 31, v194
	v_lshlrev_b32_e32 v190, 25, v70
	v_ashrrev_i32_e32 v71, 31, v71
	v_xor_b32_e32 v69, vcc_lo, v69
	v_cmp_gt_i32_e32 vcc_lo, 0, v72
	v_not_b32_e32 v72, v191
	v_xor_b32_e32 v194, s22, v194
	v_cmp_gt_i32_e64 s22, 0, v191
	v_and_b32_e32 v69, exec_lo, v69
	v_not_b32_e32 v191, v192
	v_ashrrev_i32_e32 v72, 31, v72
	v_xor_b32_e32 v71, vcc_lo, v71
	v_cmp_gt_i32_e32 vcc_lo, 0, v192
	v_and_b32_e32 v69, v69, v194
	v_not_b32_e32 v192, v193
	v_ashrrev_i32_e32 v191, 31, v191
	v_xor_b32_e32 v72, s22, v72
	v_cmp_gt_i32_e64 s22, 0, v193
	v_and_b32_e32 v69, v69, v71
	v_not_b32_e32 v71, v190
	v_ashrrev_i32_e32 v192, 31, v192
	v_xor_b32_e32 v191, vcc_lo, v191
	v_cmp_gt_i32_e32 vcc_lo, 0, v190
	v_and_b32_e32 v69, v69, v72
	v_ashrrev_i32_e32 v71, 31, v71
	v_xor_b32_e32 v72, s22, v192
	v_mad_u32_u24 v190, v70, 36, v148
	v_mul_u32_u24_e32 v70, 36, v70
	v_and_b32_e32 v69, v69, v191
	v_xor_b32_e32 v71, vcc_lo, v71
	ds_read_b32 v190, v190 offset:544
	v_add_nc_u32_e32 v192, v148, v70
	v_and_b32_e32 v69, v69, v72
	; wave barrier
	v_and_b32_e32 v69, v69, v71
	v_mbcnt_lo_u32_b32 v191, v69, 0
	v_cmp_ne_u32_e64 s22, 0, v69
	v_cmp_eq_u32_e32 vcc_lo, 0, v191
	s_and_b32 s23, s22, vcc_lo
	s_and_saveexec_b32 s22, s23
	s_cbranch_execz .LBB1119_1034
; %bb.1033:                             ;   in Loop: Header=BB1119_980 Depth=2
	s_waitcnt lgkmcnt(0)
	v_bcnt_u32_b32 v69, v69, v190
	ds_write_b32 v192, v69 offset:544
.LBB1119_1034:                          ;   in Loop: Header=BB1119_980 Depth=2
	s_or_b32 exec_lo, exec_lo, s22
	v_cmp_gt_i64_e32 vcc_lo, 0, v[63:64]
	v_ashrrev_i32_e32 v69, 31, v64
	; wave barrier
	v_not_b32_e32 v69, v69
	v_cndmask_b32_e64 v70, 0x7fffffff, 0, vcc_lo
	v_xor_b32_e32 v63, v69, v63
	v_xor_b32_e32 v64, v70, v64
	v_cmp_ne_u64_e32 vcc_lo, s[56:57], v[63:64]
	v_cndmask_b32_e32 v70, 0x7fffffff, v64, vcc_lo
	v_cndmask_b32_e32 v69, -1, v63, vcc_lo
	v_lshrrev_b64 v[69:70], s52, v[69:70]
	v_and_b32_e32 v70, s64, v69
	v_and_b32_e32 v69, 1, v70
	v_lshlrev_b32_e32 v71, 30, v70
	v_lshlrev_b32_e32 v72, 29, v70
	;; [unrolled: 1-line block ×4, first 2 shown]
	v_add_co_u32 v69, s22, v69, -1
	v_cndmask_b32_e64 v193, 0, 1, s22
	v_not_b32_e32 v197, v71
	v_cmp_gt_i32_e64 s22, 0, v71
	v_not_b32_e32 v71, v72
	v_lshlrev_b32_e32 v196, 26, v70
	v_cmp_ne_u32_e32 vcc_lo, 0, v193
	v_ashrrev_i32_e32 v197, 31, v197
	v_lshlrev_b32_e32 v193, 25, v70
	v_ashrrev_i32_e32 v71, 31, v71
	v_xor_b32_e32 v69, vcc_lo, v69
	v_cmp_gt_i32_e32 vcc_lo, 0, v72
	v_not_b32_e32 v72, v194
	v_xor_b32_e32 v197, s22, v197
	v_cmp_gt_i32_e64 s22, 0, v194
	v_and_b32_e32 v69, exec_lo, v69
	v_not_b32_e32 v194, v195
	v_ashrrev_i32_e32 v72, 31, v72
	v_xor_b32_e32 v71, vcc_lo, v71
	v_cmp_gt_i32_e32 vcc_lo, 0, v195
	v_and_b32_e32 v69, v69, v197
	v_not_b32_e32 v195, v196
	v_ashrrev_i32_e32 v194, 31, v194
	v_xor_b32_e32 v72, s22, v72
	v_cmp_gt_i32_e64 s22, 0, v196
	v_and_b32_e32 v69, v69, v71
	v_not_b32_e32 v71, v193
	v_ashrrev_i32_e32 v195, 31, v195
	v_xor_b32_e32 v194, vcc_lo, v194
	v_cmp_gt_i32_e32 vcc_lo, 0, v193
	v_and_b32_e32 v69, v69, v72
	v_ashrrev_i32_e32 v71, 31, v71
	v_xor_b32_e32 v72, s22, v195
	v_mad_u32_u24 v193, v70, 36, v148
	v_mul_u32_u24_e32 v70, 36, v70
	v_and_b32_e32 v69, v69, v194
	v_xor_b32_e32 v71, vcc_lo, v71
	ds_read_b32 v193, v193 offset:544
	v_add_nc_u32_e32 v195, v148, v70
	v_and_b32_e32 v69, v69, v72
	; wave barrier
	v_and_b32_e32 v69, v69, v71
	v_mbcnt_lo_u32_b32 v194, v69, 0
	v_cmp_ne_u32_e64 s22, 0, v69
	v_cmp_eq_u32_e32 vcc_lo, 0, v194
	s_and_b32 s23, s22, vcc_lo
	s_and_saveexec_b32 s22, s23
	s_cbranch_execz .LBB1119_1036
; %bb.1035:                             ;   in Loop: Header=BB1119_980 Depth=2
	s_waitcnt lgkmcnt(0)
	v_bcnt_u32_b32 v69, v69, v193
	ds_write_b32 v195, v69 offset:544
.LBB1119_1036:                          ;   in Loop: Header=BB1119_980 Depth=2
	s_or_b32 exec_lo, exec_lo, s22
	v_cmp_gt_i64_e32 vcc_lo, 0, v[59:60]
	v_ashrrev_i32_e32 v69, 31, v60
	; wave barrier
	v_not_b32_e32 v69, v69
	v_cndmask_b32_e64 v70, 0x7fffffff, 0, vcc_lo
	v_xor_b32_e32 v59, v69, v59
	v_xor_b32_e32 v60, v70, v60
	v_cmp_ne_u64_e32 vcc_lo, s[56:57], v[59:60]
	v_cndmask_b32_e32 v70, 0x7fffffff, v60, vcc_lo
	v_cndmask_b32_e32 v69, -1, v59, vcc_lo
	v_lshrrev_b64 v[69:70], s52, v[69:70]
	v_and_b32_e32 v70, s64, v69
	v_and_b32_e32 v69, 1, v70
	v_lshlrev_b32_e32 v71, 30, v70
	v_lshlrev_b32_e32 v72, 29, v70
	;; [unrolled: 1-line block ×4, first 2 shown]
	v_add_co_u32 v69, s22, v69, -1
	v_cndmask_b32_e64 v196, 0, 1, s22
	v_not_b32_e32 v200, v71
	v_cmp_gt_i32_e64 s22, 0, v71
	v_not_b32_e32 v71, v72
	v_lshlrev_b32_e32 v199, 26, v70
	v_cmp_ne_u32_e32 vcc_lo, 0, v196
	v_ashrrev_i32_e32 v200, 31, v200
	v_lshlrev_b32_e32 v196, 25, v70
	v_ashrrev_i32_e32 v71, 31, v71
	v_xor_b32_e32 v69, vcc_lo, v69
	v_cmp_gt_i32_e32 vcc_lo, 0, v72
	v_not_b32_e32 v72, v197
	v_xor_b32_e32 v200, s22, v200
	v_cmp_gt_i32_e64 s22, 0, v197
	v_and_b32_e32 v69, exec_lo, v69
	v_not_b32_e32 v197, v198
	v_ashrrev_i32_e32 v72, 31, v72
	v_xor_b32_e32 v71, vcc_lo, v71
	v_cmp_gt_i32_e32 vcc_lo, 0, v198
	v_and_b32_e32 v69, v69, v200
	v_not_b32_e32 v198, v199
	v_ashrrev_i32_e32 v197, 31, v197
	v_xor_b32_e32 v72, s22, v72
	v_cmp_gt_i32_e64 s22, 0, v199
	v_and_b32_e32 v69, v69, v71
	v_not_b32_e32 v71, v196
	v_ashrrev_i32_e32 v198, 31, v198
	v_xor_b32_e32 v197, vcc_lo, v197
	v_cmp_gt_i32_e32 vcc_lo, 0, v196
	v_and_b32_e32 v69, v69, v72
	v_ashrrev_i32_e32 v71, 31, v71
	v_xor_b32_e32 v72, s22, v198
	v_mad_u32_u24 v196, v70, 36, v148
	v_mul_u32_u24_e32 v70, 36, v70
	v_and_b32_e32 v69, v69, v197
	v_xor_b32_e32 v71, vcc_lo, v71
	ds_read_b32 v196, v196 offset:544
	v_add_nc_u32_e32 v200, v148, v70
	v_and_b32_e32 v69, v69, v72
	; wave barrier
	v_and_b32_e32 v69, v69, v71
	v_mbcnt_lo_u32_b32 v197, v69, 0
	v_cmp_ne_u32_e64 s22, 0, v69
	v_cmp_eq_u32_e32 vcc_lo, 0, v197
	s_and_b32 s23, s22, vcc_lo
	s_and_saveexec_b32 s22, s23
	s_cbranch_execz .LBB1119_1038
; %bb.1037:                             ;   in Loop: Header=BB1119_980 Depth=2
	s_waitcnt lgkmcnt(0)
	v_bcnt_u32_b32 v69, v69, v196
	ds_write_b32 v200, v69 offset:544
.LBB1119_1038:                          ;   in Loop: Header=BB1119_980 Depth=2
	s_or_b32 exec_lo, exec_lo, s22
	v_cmp_gt_i64_e32 vcc_lo, 0, v[55:56]
	v_ashrrev_i32_e32 v69, 31, v56
	; wave barrier
	v_not_b32_e32 v69, v69
	v_cndmask_b32_e64 v70, 0x7fffffff, 0, vcc_lo
	v_xor_b32_e32 v55, v69, v55
	v_xor_b32_e32 v56, v70, v56
	v_cmp_ne_u64_e32 vcc_lo, s[56:57], v[55:56]
	v_cndmask_b32_e32 v70, 0x7fffffff, v56, vcc_lo
	v_cndmask_b32_e32 v69, -1, v55, vcc_lo
	v_lshrrev_b64 v[69:70], s52, v[69:70]
	v_and_b32_e32 v70, s64, v69
	v_and_b32_e32 v69, 1, v70
	v_lshlrev_b32_e32 v71, 30, v70
	v_lshlrev_b32_e32 v72, 29, v70
	;; [unrolled: 1-line block ×4, first 2 shown]
	v_add_co_u32 v69, s22, v69, -1
	v_cndmask_b32_e64 v198, 0, 1, s22
	v_not_b32_e32 v203, v71
	v_cmp_gt_i32_e64 s22, 0, v71
	v_not_b32_e32 v71, v72
	v_lshlrev_b32_e32 v202, 26, v70
	v_cmp_ne_u32_e32 vcc_lo, 0, v198
	v_ashrrev_i32_e32 v203, 31, v203
	v_lshlrev_b32_e32 v198, 25, v70
	v_ashrrev_i32_e32 v71, 31, v71
	v_xor_b32_e32 v69, vcc_lo, v69
	v_cmp_gt_i32_e32 vcc_lo, 0, v72
	v_not_b32_e32 v72, v199
	v_xor_b32_e32 v203, s22, v203
	v_cmp_gt_i32_e64 s22, 0, v199
	v_and_b32_e32 v69, exec_lo, v69
	v_not_b32_e32 v199, v201
	v_ashrrev_i32_e32 v72, 31, v72
	v_xor_b32_e32 v71, vcc_lo, v71
	v_cmp_gt_i32_e32 vcc_lo, 0, v201
	v_and_b32_e32 v69, v69, v203
	v_not_b32_e32 v201, v202
	v_ashrrev_i32_e32 v199, 31, v199
	v_xor_b32_e32 v72, s22, v72
	v_cmp_gt_i32_e64 s22, 0, v202
	v_and_b32_e32 v69, v69, v71
	v_not_b32_e32 v71, v198
	v_ashrrev_i32_e32 v201, 31, v201
	v_xor_b32_e32 v199, vcc_lo, v199
	v_cmp_gt_i32_e32 vcc_lo, 0, v198
	v_and_b32_e32 v69, v69, v72
	v_ashrrev_i32_e32 v71, 31, v71
	v_xor_b32_e32 v72, s22, v201
	v_mad_u32_u24 v198, v70, 36, v148
	v_mul_u32_u24_e32 v70, 36, v70
	v_and_b32_e32 v69, v69, v199
	v_xor_b32_e32 v71, vcc_lo, v71
	ds_read_b32 v198, v198 offset:544
	v_add_nc_u32_e32 v203, v148, v70
	v_and_b32_e32 v69, v69, v72
	; wave barrier
	v_and_b32_e32 v69, v69, v71
	v_mbcnt_lo_u32_b32 v199, v69, 0
	v_cmp_ne_u32_e64 s22, 0, v69
	v_cmp_eq_u32_e32 vcc_lo, 0, v199
	s_and_b32 s23, s22, vcc_lo
	s_and_saveexec_b32 s22, s23
	s_cbranch_execz .LBB1119_1040
; %bb.1039:                             ;   in Loop: Header=BB1119_980 Depth=2
	s_waitcnt lgkmcnt(0)
	v_bcnt_u32_b32 v69, v69, v198
	ds_write_b32 v203, v69 offset:544
.LBB1119_1040:                          ;   in Loop: Header=BB1119_980 Depth=2
	s_or_b32 exec_lo, exec_lo, s22
	v_cmp_gt_i64_e32 vcc_lo, 0, v[51:52]
	v_ashrrev_i32_e32 v69, 31, v52
	; wave barrier
	v_not_b32_e32 v69, v69
	v_cndmask_b32_e64 v70, 0x7fffffff, 0, vcc_lo
	v_xor_b32_e32 v51, v69, v51
	v_xor_b32_e32 v52, v70, v52
	v_cmp_ne_u64_e32 vcc_lo, s[56:57], v[51:52]
	v_cndmask_b32_e32 v70, 0x7fffffff, v52, vcc_lo
	v_cndmask_b32_e32 v69, -1, v51, vcc_lo
	v_lshrrev_b64 v[69:70], s52, v[69:70]
	v_and_b32_e32 v70, s64, v69
	v_and_b32_e32 v69, 1, v70
	v_lshlrev_b32_e32 v71, 30, v70
	v_lshlrev_b32_e32 v72, 29, v70
	v_lshlrev_b32_e32 v202, 28, v70
	v_lshlrev_b32_e32 v204, 27, v70
	v_add_co_u32 v69, s22, v69, -1
	v_cndmask_b32_e64 v201, 0, 1, s22
	v_not_b32_e32 v206, v71
	v_cmp_gt_i32_e64 s22, 0, v71
	v_not_b32_e32 v71, v72
	v_lshlrev_b32_e32 v205, 26, v70
	v_cmp_ne_u32_e32 vcc_lo, 0, v201
	v_ashrrev_i32_e32 v206, 31, v206
	v_lshlrev_b32_e32 v201, 25, v70
	v_ashrrev_i32_e32 v71, 31, v71
	v_xor_b32_e32 v69, vcc_lo, v69
	v_cmp_gt_i32_e32 vcc_lo, 0, v72
	v_not_b32_e32 v72, v202
	v_xor_b32_e32 v206, s22, v206
	v_cmp_gt_i32_e64 s22, 0, v202
	v_and_b32_e32 v69, exec_lo, v69
	v_not_b32_e32 v202, v204
	v_ashrrev_i32_e32 v72, 31, v72
	v_xor_b32_e32 v71, vcc_lo, v71
	v_cmp_gt_i32_e32 vcc_lo, 0, v204
	v_and_b32_e32 v69, v69, v206
	v_not_b32_e32 v204, v205
	v_ashrrev_i32_e32 v202, 31, v202
	v_xor_b32_e32 v72, s22, v72
	v_cmp_gt_i32_e64 s22, 0, v205
	v_and_b32_e32 v69, v69, v71
	v_not_b32_e32 v71, v201
	v_ashrrev_i32_e32 v204, 31, v204
	v_xor_b32_e32 v202, vcc_lo, v202
	v_cmp_gt_i32_e32 vcc_lo, 0, v201
	v_and_b32_e32 v69, v69, v72
	v_ashrrev_i32_e32 v71, 31, v71
	v_xor_b32_e32 v72, s22, v204
	v_mad_u32_u24 v201, v70, 36, v148
	v_mul_u32_u24_e32 v70, 36, v70
	v_and_b32_e32 v69, v69, v202
	v_xor_b32_e32 v71, vcc_lo, v71
	ds_read_b32 v201, v201 offset:544
	v_add_nc_u32_e32 v206, v148, v70
	v_and_b32_e32 v69, v69, v72
	; wave barrier
	v_and_b32_e32 v69, v69, v71
	v_mbcnt_lo_u32_b32 v202, v69, 0
	v_cmp_ne_u32_e64 s22, 0, v69
	v_cmp_eq_u32_e32 vcc_lo, 0, v202
	s_and_b32 s23, s22, vcc_lo
	s_and_saveexec_b32 s22, s23
	s_cbranch_execz .LBB1119_1042
; %bb.1041:                             ;   in Loop: Header=BB1119_980 Depth=2
	s_waitcnt lgkmcnt(0)
	v_bcnt_u32_b32 v69, v69, v201
	ds_write_b32 v206, v69 offset:544
.LBB1119_1042:                          ;   in Loop: Header=BB1119_980 Depth=2
	s_or_b32 exec_lo, exec_lo, s22
	v_cmp_gt_i64_e32 vcc_lo, 0, v[47:48]
	v_ashrrev_i32_e32 v69, 31, v48
	; wave barrier
	v_not_b32_e32 v69, v69
	v_cndmask_b32_e64 v70, 0x7fffffff, 0, vcc_lo
	v_xor_b32_e32 v47, v69, v47
	v_xor_b32_e32 v48, v70, v48
	v_cmp_ne_u64_e32 vcc_lo, s[56:57], v[47:48]
	v_cndmask_b32_e32 v70, 0x7fffffff, v48, vcc_lo
	v_cndmask_b32_e32 v69, -1, v47, vcc_lo
	v_lshrrev_b64 v[69:70], s52, v[69:70]
	v_and_b32_e32 v70, s64, v69
	v_and_b32_e32 v69, 1, v70
	v_lshlrev_b32_e32 v71, 30, v70
	v_lshlrev_b32_e32 v72, 29, v70
	;; [unrolled: 1-line block ×4, first 2 shown]
	v_add_co_u32 v69, s22, v69, -1
	v_cndmask_b32_e64 v204, 0, 1, s22
	v_not_b32_e32 v209, v71
	v_cmp_gt_i32_e64 s22, 0, v71
	v_not_b32_e32 v71, v72
	v_lshlrev_b32_e32 v208, 26, v70
	v_cmp_ne_u32_e32 vcc_lo, 0, v204
	v_ashrrev_i32_e32 v209, 31, v209
	v_lshlrev_b32_e32 v204, 25, v70
	v_ashrrev_i32_e32 v71, 31, v71
	v_xor_b32_e32 v69, vcc_lo, v69
	v_cmp_gt_i32_e32 vcc_lo, 0, v72
	v_not_b32_e32 v72, v205
	v_xor_b32_e32 v209, s22, v209
	v_cmp_gt_i32_e64 s22, 0, v205
	v_and_b32_e32 v69, exec_lo, v69
	v_not_b32_e32 v205, v207
	v_ashrrev_i32_e32 v72, 31, v72
	v_xor_b32_e32 v71, vcc_lo, v71
	v_cmp_gt_i32_e32 vcc_lo, 0, v207
	v_and_b32_e32 v69, v69, v209
	v_not_b32_e32 v207, v208
	v_ashrrev_i32_e32 v205, 31, v205
	v_xor_b32_e32 v72, s22, v72
	v_cmp_gt_i32_e64 s22, 0, v208
	v_and_b32_e32 v69, v69, v71
	v_not_b32_e32 v71, v204
	v_ashrrev_i32_e32 v207, 31, v207
	v_xor_b32_e32 v205, vcc_lo, v205
	v_cmp_gt_i32_e32 vcc_lo, 0, v204
	v_and_b32_e32 v69, v69, v72
	v_ashrrev_i32_e32 v71, 31, v71
	v_xor_b32_e32 v72, s22, v207
	v_mad_u32_u24 v204, v70, 36, v148
	v_mul_u32_u24_e32 v70, 36, v70
	v_and_b32_e32 v69, v69, v205
	v_xor_b32_e32 v71, vcc_lo, v71
	ds_read_b32 v204, v204 offset:544
	v_add_nc_u32_e32 v209, v148, v70
	v_and_b32_e32 v69, v69, v72
	; wave barrier
	v_and_b32_e32 v69, v69, v71
	v_mbcnt_lo_u32_b32 v205, v69, 0
	v_cmp_ne_u32_e64 s22, 0, v69
	v_cmp_eq_u32_e32 vcc_lo, 0, v205
	s_and_b32 s23, s22, vcc_lo
	s_and_saveexec_b32 s22, s23
	s_cbranch_execz .LBB1119_1044
; %bb.1043:                             ;   in Loop: Header=BB1119_980 Depth=2
	s_waitcnt lgkmcnt(0)
	v_bcnt_u32_b32 v69, v69, v204
	ds_write_b32 v209, v69 offset:544
.LBB1119_1044:                          ;   in Loop: Header=BB1119_980 Depth=2
	s_or_b32 exec_lo, exec_lo, s22
	v_cmp_gt_i64_e32 vcc_lo, 0, v[43:44]
	v_ashrrev_i32_e32 v69, 31, v44
	; wave barrier
	v_not_b32_e32 v69, v69
	v_cndmask_b32_e64 v70, 0x7fffffff, 0, vcc_lo
	v_xor_b32_e32 v43, v69, v43
	v_xor_b32_e32 v44, v70, v44
	v_cmp_ne_u64_e32 vcc_lo, s[56:57], v[43:44]
	v_cndmask_b32_e32 v70, 0x7fffffff, v44, vcc_lo
	v_cndmask_b32_e32 v69, -1, v43, vcc_lo
	v_lshrrev_b64 v[69:70], s52, v[69:70]
	v_and_b32_e32 v70, s64, v69
	v_and_b32_e32 v69, 1, v70
	v_lshlrev_b32_e32 v71, 30, v70
	v_lshlrev_b32_e32 v72, 29, v70
	;; [unrolled: 1-line block ×4, first 2 shown]
	v_add_co_u32 v69, s22, v69, -1
	v_cndmask_b32_e64 v207, 0, 1, s22
	v_not_b32_e32 v212, v71
	v_cmp_gt_i32_e64 s22, 0, v71
	v_not_b32_e32 v71, v72
	v_lshlrev_b32_e32 v211, 26, v70
	v_cmp_ne_u32_e32 vcc_lo, 0, v207
	v_ashrrev_i32_e32 v212, 31, v212
	v_lshlrev_b32_e32 v207, 25, v70
	v_ashrrev_i32_e32 v71, 31, v71
	v_xor_b32_e32 v69, vcc_lo, v69
	v_cmp_gt_i32_e32 vcc_lo, 0, v72
	v_not_b32_e32 v72, v208
	v_xor_b32_e32 v212, s22, v212
	v_cmp_gt_i32_e64 s22, 0, v208
	v_and_b32_e32 v69, exec_lo, v69
	v_not_b32_e32 v208, v210
	v_ashrrev_i32_e32 v72, 31, v72
	v_xor_b32_e32 v71, vcc_lo, v71
	v_cmp_gt_i32_e32 vcc_lo, 0, v210
	v_and_b32_e32 v69, v69, v212
	v_not_b32_e32 v210, v211
	v_ashrrev_i32_e32 v208, 31, v208
	v_xor_b32_e32 v72, s22, v72
	v_cmp_gt_i32_e64 s22, 0, v211
	v_and_b32_e32 v69, v69, v71
	v_not_b32_e32 v71, v207
	v_ashrrev_i32_e32 v210, 31, v210
	v_xor_b32_e32 v208, vcc_lo, v208
	v_cmp_gt_i32_e32 vcc_lo, 0, v207
	v_and_b32_e32 v69, v69, v72
	v_ashrrev_i32_e32 v71, 31, v71
	v_xor_b32_e32 v72, s22, v210
	v_mad_u32_u24 v207, v70, 36, v148
	v_mul_u32_u24_e32 v70, 36, v70
	v_and_b32_e32 v69, v69, v208
	v_xor_b32_e32 v71, vcc_lo, v71
	ds_read_b32 v207, v207 offset:544
	v_add_nc_u32_e32 v212, v148, v70
	v_and_b32_e32 v69, v69, v72
	; wave barrier
	v_and_b32_e32 v69, v69, v71
	v_mbcnt_lo_u32_b32 v208, v69, 0
	v_cmp_ne_u32_e64 s22, 0, v69
	v_cmp_eq_u32_e32 vcc_lo, 0, v208
	s_and_b32 s23, s22, vcc_lo
	s_and_saveexec_b32 s22, s23
	s_cbranch_execz .LBB1119_1046
; %bb.1045:                             ;   in Loop: Header=BB1119_980 Depth=2
	s_waitcnt lgkmcnt(0)
	v_bcnt_u32_b32 v69, v69, v207
	ds_write_b32 v212, v69 offset:544
.LBB1119_1046:                          ;   in Loop: Header=BB1119_980 Depth=2
	s_or_b32 exec_lo, exec_lo, s22
	v_cmp_gt_i64_e32 vcc_lo, 0, v[45:46]
	v_ashrrev_i32_e32 v69, 31, v46
	; wave barrier
	v_not_b32_e32 v69, v69
	v_cndmask_b32_e64 v70, 0x7fffffff, 0, vcc_lo
	v_xor_b32_e32 v45, v69, v45
	v_xor_b32_e32 v46, v70, v46
	v_cmp_ne_u64_e32 vcc_lo, s[56:57], v[45:46]
	v_cndmask_b32_e32 v70, 0x7fffffff, v46, vcc_lo
	v_cndmask_b32_e32 v69, -1, v45, vcc_lo
	v_lshrrev_b64 v[69:70], s52, v[69:70]
	v_and_b32_e32 v70, s64, v69
	v_and_b32_e32 v69, 1, v70
	v_lshlrev_b32_e32 v71, 30, v70
	v_lshlrev_b32_e32 v72, 29, v70
	;; [unrolled: 1-line block ×4, first 2 shown]
	v_add_co_u32 v69, s22, v69, -1
	v_cndmask_b32_e64 v210, 0, 1, s22
	v_not_b32_e32 v215, v71
	v_cmp_gt_i32_e64 s22, 0, v71
	v_not_b32_e32 v71, v72
	v_lshlrev_b32_e32 v214, 26, v70
	v_cmp_ne_u32_e32 vcc_lo, 0, v210
	v_ashrrev_i32_e32 v215, 31, v215
	v_lshlrev_b32_e32 v210, 25, v70
	v_ashrrev_i32_e32 v71, 31, v71
	v_xor_b32_e32 v69, vcc_lo, v69
	v_cmp_gt_i32_e32 vcc_lo, 0, v72
	v_not_b32_e32 v72, v211
	v_xor_b32_e32 v215, s22, v215
	v_cmp_gt_i32_e64 s22, 0, v211
	v_and_b32_e32 v69, exec_lo, v69
	v_not_b32_e32 v211, v213
	v_ashrrev_i32_e32 v72, 31, v72
	v_xor_b32_e32 v71, vcc_lo, v71
	v_cmp_gt_i32_e32 vcc_lo, 0, v213
	v_and_b32_e32 v69, v69, v215
	v_not_b32_e32 v213, v214
	v_ashrrev_i32_e32 v211, 31, v211
	v_xor_b32_e32 v72, s22, v72
	v_cmp_gt_i32_e64 s22, 0, v214
	v_and_b32_e32 v69, v69, v71
	v_not_b32_e32 v71, v210
	v_ashrrev_i32_e32 v213, 31, v213
	v_xor_b32_e32 v211, vcc_lo, v211
	v_cmp_gt_i32_e32 vcc_lo, 0, v210
	v_and_b32_e32 v69, v69, v72
	v_ashrrev_i32_e32 v71, 31, v71
	v_xor_b32_e32 v72, s22, v213
	v_mad_u32_u24 v210, v70, 36, v148
	v_mul_u32_u24_e32 v70, 36, v70
	v_and_b32_e32 v69, v69, v211
	v_xor_b32_e32 v71, vcc_lo, v71
	ds_read_b32 v210, v210 offset:544
	v_add_nc_u32_e32 v213, v148, v70
	v_and_b32_e32 v69, v69, v72
	; wave barrier
	v_and_b32_e32 v69, v69, v71
	v_mbcnt_lo_u32_b32 v211, v69, 0
	v_cmp_ne_u32_e64 s22, 0, v69
	v_cmp_eq_u32_e32 vcc_lo, 0, v211
	s_and_b32 s23, s22, vcc_lo
	s_and_saveexec_b32 s22, s23
	s_cbranch_execz .LBB1119_1048
; %bb.1047:                             ;   in Loop: Header=BB1119_980 Depth=2
	s_waitcnt lgkmcnt(0)
	v_bcnt_u32_b32 v69, v69, v210
	ds_write_b32 v213, v69 offset:544
.LBB1119_1048:                          ;   in Loop: Header=BB1119_980 Depth=2
	s_or_b32 exec_lo, exec_lo, s22
	; wave barrier
	s_waitcnt lgkmcnt(0)
	s_barrier
	buffer_gl0_inv
	ds_read2_b32 v[71:72], v98 offset0:136 offset1:137
	ds_read2_b32 v[69:70], v98 offset0:138 offset1:139
	ds_read_b32 v214, v98 offset:560
	s_waitcnt lgkmcnt(1)
	v_add3_u32 v215, v72, v71, v69
	s_waitcnt lgkmcnt(0)
	v_add3_u32 v214, v215, v70, v214
	v_mov_b32_dpp v215, v214 row_shr:1 row_mask:0xf bank_mask:0xf
	v_cndmask_b32_e64 v215, v215, 0, s13
	v_add_nc_u32_e32 v214, v215, v214
	v_mov_b32_dpp v215, v214 row_shr:2 row_mask:0xf bank_mask:0xf
	v_cndmask_b32_e64 v215, 0, v215, s14
	v_add_nc_u32_e32 v214, v214, v215
	;; [unrolled: 3-line block ×4, first 2 shown]
	ds_swizzle_b32 v215, v214 offset:swizzle(BROADCAST,32,15)
	s_waitcnt lgkmcnt(0)
	v_cndmask_b32_e64 v215, v215, 0, s17
	v_add_nc_u32_e32 v214, v214, v215
	s_and_saveexec_b32 s22, s4
; %bb.1049:                             ;   in Loop: Header=BB1119_980 Depth=2
	ds_write_b32 v92, v214 offset:512
; %bb.1050:                             ;   in Loop: Header=BB1119_980 Depth=2
	s_or_b32 exec_lo, exec_lo, s22
	s_waitcnt lgkmcnt(0)
	s_barrier
	buffer_gl0_inv
	s_and_saveexec_b32 s22, s5
	s_cbranch_execz .LBB1119_1052
; %bb.1051:                             ;   in Loop: Header=BB1119_980 Depth=2
	ds_read_b32 v215, v99 offset:512
	s_waitcnt lgkmcnt(0)
	v_mov_b32_dpp v216, v215 row_shr:1 row_mask:0xf bank_mask:0xf
	v_cndmask_b32_e64 v216, v216, 0, s19
	v_add_nc_u32_e32 v215, v216, v215
	v_mov_b32_dpp v216, v215 row_shr:2 row_mask:0xf bank_mask:0xf
	v_cndmask_b32_e64 v216, 0, v216, s20
	v_add_nc_u32_e32 v215, v215, v216
	;; [unrolled: 3-line block ×3, first 2 shown]
	ds_write_b32 v99, v215 offset:512
.LBB1119_1052:                          ;   in Loop: Header=BB1119_980 Depth=2
	s_or_b32 exec_lo, exec_lo, s22
	v_mov_b32_e32 v215, 0
	s_waitcnt lgkmcnt(0)
	s_barrier
	buffer_gl0_inv
	s_and_saveexec_b32 s22, s10
; %bb.1053:                             ;   in Loop: Header=BB1119_980 Depth=2
	ds_read_b32 v215, v92 offset:508
; %bb.1054:                             ;   in Loop: Header=BB1119_980 Depth=2
	s_or_b32 exec_lo, exec_lo, s22
	s_waitcnt lgkmcnt(0)
	v_add_nc_u32_e32 v214, v215, v214
	ds_bpermute_b32 v214, v127, v214
	s_waitcnt lgkmcnt(0)
	v_cndmask_b32_e64 v214, v214, v215, s18
	v_cndmask_b32_e64 v214, v214, 0, s11
	v_add_nc_u32_e32 v71, v214, v71
	v_add_nc_u32_e32 v72, v71, v72
	;; [unrolled: 1-line block ×4, first 2 shown]
	ds_write2_b32 v98, v214, v71 offset0:136 offset1:137
	ds_write2_b32 v98, v72, v69 offset0:138 offset1:139
	ds_write_b32 v98, v70 offset:560
	s_waitcnt lgkmcnt(0)
	s_barrier
	buffer_gl0_inv
	ds_read_b32 v69, v168 offset:544
	ds_read_b32 v217, v171 offset:544
	;; [unrolled: 1-line block ×16, first 2 shown]
	s_and_saveexec_b32 s22, s7
	s_cbranch_execz .LBB1119_1058
; %bb.1055:                             ;   in Loop: Header=BB1119_980 Depth=2
	ds_read_b32 v156, v101 offset:544
	v_mov_b32_e32 v166, 0x1000
	s_and_saveexec_b32 s23, s12
; %bb.1056:                             ;   in Loop: Header=BB1119_980 Depth=2
	ds_read_b32 v166, v100 offset:544
; %bb.1057:                             ;   in Loop: Header=BB1119_980 Depth=2
	s_or_b32 exec_lo, exec_lo, s23
	s_waitcnt lgkmcnt(0)
	v_sub_nc_u32_e32 v166, v166, v156
.LBB1119_1058:                          ;   in Loop: Header=BB1119_980 Depth=2
	s_or_b32 exec_lo, exec_lo, s22
	s_waitcnt lgkmcnt(0)
	s_barrier
	buffer_gl0_inv
	s_and_saveexec_b32 s22, s7
	s_cbranch_execz .LBB1119_1060
; %bb.1059:                             ;   in Loop: Header=BB1119_980 Depth=2
	ds_read_b32 v192, v73
	s_waitcnt lgkmcnt(0)
	v_sub_nc_u32_e32 v192, v192, v156
	ds_write_b32 v73, v192
.LBB1119_1060:                          ;   in Loop: Header=BB1119_980 Depth=2
	s_or_b32 exec_lo, exec_lo, s22
	v_lshlrev_b32_e32 v3, 3, v3
	v_lshlrev_b32_e32 v170, 3, v170
	;; [unrolled: 1-line block ×5, first 2 shown]
	v_lshl_add_u32 v69, v69, 3, v3
	v_lshlrev_b32_e32 v3, 3, v172
	v_lshlrev_b32_e32 v172, 3, v70
	;; [unrolled: 1-line block ×3, first 2 shown]
	v_add3_u32 v70, v170, v169, v192
	ds_write_b64 v69, v[37:38] offset:512
	v_lshlrev_b32_e32 v37, 3, v175
	v_lshlrev_b32_e32 v38, 3, v216
	;; [unrolled: 1-line block ×8, first 2 shown]
	ds_write_b64 v70, v[39:40] offset:512
	v_add3_u32 v39, v173, v3, v172
	v_add3_u32 v40, v176, v37, v38
	v_lshlrev_b32_e32 v3, 3, v185
	v_lshlrev_b32_e32 v37, 3, v184
	;; [unrolled: 1-line block ×3, first 2 shown]
	v_add3_u32 v71, v169, v170, v72
	v_add3_u32 v72, v175, v178, v179
	ds_write_b64 v39, v[41:42] offset:512
	ds_write_b64 v40, v[49:50] offset:512
	;; [unrolled: 1-line block ×4, first 2 shown]
	v_add3_u32 v41, v3, v37, v38
	v_lshlrev_b32_e32 v3, 3, v188
	v_lshlrev_b32_e32 v37, 3, v187
	;; [unrolled: 1-line block ×12, first 2 shown]
	v_add3_u32 v42, v3, v37, v38
	v_lshlrev_b32_e32 v3, 3, v199
	v_lshlrev_b32_e32 v37, 3, v198
	;; [unrolled: 1-line block ×3, first 2 shown]
	v_add3_u32 v49, v49, v50, v53
	v_add3_u32 v50, v54, v57, v58
	;; [unrolled: 1-line block ×3, first 2 shown]
	ds_write_b64 v41, v[61:62] offset:512
	ds_write_b64 v42, v[65:66] offset:512
	;; [unrolled: 1-line block ×5, first 2 shown]
	v_add3_u32 v54, v3, v37, v38
	v_lshlrev_b32_e32 v3, 3, v202
	v_lshlrev_b32_e32 v37, 3, v201
	;; [unrolled: 1-line block ×12, first 2 shown]
	v_add3_u32 v57, v3, v37, v38
	v_add3_u32 v58, v58, v59, v60
	;; [unrolled: 1-line block ×3, first 2 shown]
	ds_write_b64 v54, v[55:56] offset:512
	v_add3_u32 v55, v64, v65, v66
	v_cmp_lt_u32_e32 vcc_lo, v0, v167
	ds_write_b64 v57, v[51:52] offset:512
	ds_write_b64 v58, v[47:48] offset:512
	;; [unrolled: 1-line block ×4, first 2 shown]
	s_waitcnt lgkmcnt(0)
	s_barrier
	buffer_gl0_inv
	s_and_saveexec_b32 s23, vcc_lo
	s_cbranch_execnz .LBB1119_1129
; %bb.1061:                             ;   in Loop: Header=BB1119_980 Depth=2
	s_or_b32 exec_lo, exec_lo, s23
	v_cmp_lt_u32_e64 s22, v74, v167
	s_and_saveexec_b32 s24, s22
	s_cbranch_execnz .LBB1119_1130
.LBB1119_1062:                          ;   in Loop: Header=BB1119_980 Depth=2
	s_or_b32 exec_lo, exec_lo, s24
	v_cmp_lt_u32_e64 s23, v77, v167
	s_and_saveexec_b32 s25, s23
	s_cbranch_execnz .LBB1119_1131
.LBB1119_1063:                          ;   in Loop: Header=BB1119_980 Depth=2
	s_or_b32 exec_lo, exec_lo, s25
	v_cmp_lt_u32_e64 s24, v78, v167
	s_and_saveexec_b32 s26, s24
	s_cbranch_execnz .LBB1119_1132
.LBB1119_1064:                          ;   in Loop: Header=BB1119_980 Depth=2
	s_or_b32 exec_lo, exec_lo, s26
	v_cmp_lt_u32_e64 s25, v79, v167
	s_and_saveexec_b32 s27, s25
	s_cbranch_execnz .LBB1119_1133
.LBB1119_1065:                          ;   in Loop: Header=BB1119_980 Depth=2
	s_or_b32 exec_lo, exec_lo, s27
	v_cmp_lt_u32_e64 s26, v80, v167
	s_and_saveexec_b32 s28, s26
	s_cbranch_execnz .LBB1119_1134
.LBB1119_1066:                          ;   in Loop: Header=BB1119_980 Depth=2
	s_or_b32 exec_lo, exec_lo, s28
	v_cmp_lt_u32_e64 s27, v81, v167
	s_and_saveexec_b32 s30, s27
	s_cbranch_execnz .LBB1119_1135
.LBB1119_1067:                          ;   in Loop: Header=BB1119_980 Depth=2
	s_or_b32 exec_lo, exec_lo, s30
	v_cmp_lt_u32_e64 s28, v82, v167
	s_and_saveexec_b32 s31, s28
	s_cbranch_execnz .LBB1119_1136
.LBB1119_1068:                          ;   in Loop: Header=BB1119_980 Depth=2
	s_or_b32 exec_lo, exec_lo, s31
	v_cmp_lt_u32_e64 s30, v83, v167
	s_and_saveexec_b32 s33, s30
	s_cbranch_execnz .LBB1119_1137
.LBB1119_1069:                          ;   in Loop: Header=BB1119_980 Depth=2
	s_or_b32 exec_lo, exec_lo, s33
	v_cmp_lt_u32_e64 s31, v84, v167
	s_and_saveexec_b32 s34, s31
	s_cbranch_execnz .LBB1119_1138
.LBB1119_1070:                          ;   in Loop: Header=BB1119_980 Depth=2
	s_or_b32 exec_lo, exec_lo, s34
	v_cmp_lt_u32_e64 s33, v85, v167
	s_and_saveexec_b32 s35, s33
	s_cbranch_execnz .LBB1119_1139
.LBB1119_1071:                          ;   in Loop: Header=BB1119_980 Depth=2
	s_or_b32 exec_lo, exec_lo, s35
	v_cmp_lt_u32_e64 s34, v86, v167
	s_and_saveexec_b32 s36, s34
	s_cbranch_execnz .LBB1119_1140
.LBB1119_1072:                          ;   in Loop: Header=BB1119_980 Depth=2
	s_or_b32 exec_lo, exec_lo, s36
	v_cmp_lt_u32_e64 s35, v87, v167
	s_and_saveexec_b32 s37, s35
	s_cbranch_execnz .LBB1119_1141
.LBB1119_1073:                          ;   in Loop: Header=BB1119_980 Depth=2
	s_or_b32 exec_lo, exec_lo, s37
	v_cmp_lt_u32_e64 s36, v88, v167
	s_and_saveexec_b32 s38, s36
	s_cbranch_execnz .LBB1119_1142
.LBB1119_1074:                          ;   in Loop: Header=BB1119_980 Depth=2
	s_or_b32 exec_lo, exec_lo, s38
	v_cmp_lt_u32_e64 s37, v89, v167
	s_and_saveexec_b32 s39, s37
	s_cbranch_execnz .LBB1119_1143
.LBB1119_1075:                          ;   in Loop: Header=BB1119_980 Depth=2
	s_or_b32 exec_lo, exec_lo, s39
	v_cmp_lt_u32_e64 s38, v90, v167
	s_and_saveexec_b32 s47, s38
	s_cbranch_execz .LBB1119_1077
.LBB1119_1076:                          ;   in Loop: Header=BB1119_980 Depth=2
	ds_read_b64 v[37:38], v106 offset:31232
	s_waitcnt lgkmcnt(0)
	v_cmp_ne_u64_e64 s39, s[56:57], v[37:38]
	v_cndmask_b32_e64 v44, 0x7fffffff, v38, s39
	v_cndmask_b32_e64 v43, -1, v37, s39
	v_cmp_gt_i64_e64 s39, 0, v[37:38]
	v_lshrrev_b64 v[43:44], s52, v[43:44]
	v_cndmask_b32_e64 v45, 0x7fffffff, 0, s39
	v_and_b32_e32 v3, s64, v43
	v_ashrrev_i32_e32 v43, 31, v38
	v_xor_b32_e32 v38, v45, v38
	v_lshlrev_b32_e32 v3, 2, v3
	v_not_b32_e32 v46, v43
	ds_read_b32 v3, v3
	v_xor_b32_e32 v37, v46, v37
	s_waitcnt lgkmcnt(0)
	v_add_nc_u32_e32 v3, v3, v90
	v_lshlrev_b64 v[43:44], 3, v[3:4]
	v_add_co_u32 v43, s39, s44, v43
	v_add_co_ci_u32_e64 v44, null, s45, v44, s39
	global_store_dwordx2 v[43:44], v[37:38], off
.LBB1119_1077:                          ;   in Loop: Header=BB1119_980 Depth=2
	s_or_b32 exec_lo, exec_lo, s47
	s_mov_b32 s47, s56
	s_lshl_b64 s[46:47], s[46:47], 3
	v_add_co_u32 v37, s39, v129, s46
	v_add_co_ci_u32_e64 v38, null, s47, v130, s39
	v_cmp_lt_u32_e64 s39, v128, v167
	s_and_saveexec_b32 s46, s39
	s_xor_b32 s39, exec_lo, s46
	s_cbranch_execnz .LBB1119_1144
; %bb.1078:                             ;   in Loop: Header=BB1119_980 Depth=2
	s_or_b32 exec_lo, exec_lo, s39
	s_mov_b32 s46, exec_lo
	v_cmpx_lt_u32_e64 v131, v167
	s_cbranch_execnz .LBB1119_1145
.LBB1119_1079:                          ;   in Loop: Header=BB1119_980 Depth=2
	s_or_b32 exec_lo, exec_lo, s46
	s_mov_b32 s46, exec_lo
	v_cmpx_lt_u32_e64 v132, v167
	s_cbranch_execnz .LBB1119_1146
.LBB1119_1080:                          ;   in Loop: Header=BB1119_980 Depth=2
	s_or_b32 exec_lo, exec_lo, s46
	s_mov_b32 s46, exec_lo
	v_cmpx_lt_u32_e64 v133, v167
	s_cbranch_execnz .LBB1119_1147
.LBB1119_1081:                          ;   in Loop: Header=BB1119_980 Depth=2
	s_or_b32 exec_lo, exec_lo, s46
	s_mov_b32 s46, exec_lo
	v_cmpx_lt_u32_e64 v134, v167
	s_cbranch_execnz .LBB1119_1148
.LBB1119_1082:                          ;   in Loop: Header=BB1119_980 Depth=2
	s_or_b32 exec_lo, exec_lo, s46
	s_mov_b32 s46, exec_lo
	v_cmpx_lt_u32_e64 v135, v167
	s_cbranch_execnz .LBB1119_1149
.LBB1119_1083:                          ;   in Loop: Header=BB1119_980 Depth=2
	s_or_b32 exec_lo, exec_lo, s46
	s_mov_b32 s46, exec_lo
	v_cmpx_lt_u32_e64 v136, v167
	s_cbranch_execnz .LBB1119_1150
.LBB1119_1084:                          ;   in Loop: Header=BB1119_980 Depth=2
	s_or_b32 exec_lo, exec_lo, s46
	s_mov_b32 s46, exec_lo
	v_cmpx_lt_u32_e64 v137, v167
	s_cbranch_execnz .LBB1119_1151
.LBB1119_1085:                          ;   in Loop: Header=BB1119_980 Depth=2
	s_or_b32 exec_lo, exec_lo, s46
	s_mov_b32 s46, exec_lo
	v_cmpx_lt_u32_e64 v138, v167
	s_cbranch_execnz .LBB1119_1152
.LBB1119_1086:                          ;   in Loop: Header=BB1119_980 Depth=2
	s_or_b32 exec_lo, exec_lo, s46
	s_mov_b32 s46, exec_lo
	v_cmpx_lt_u32_e64 v139, v167
	s_cbranch_execnz .LBB1119_1153
.LBB1119_1087:                          ;   in Loop: Header=BB1119_980 Depth=2
	s_or_b32 exec_lo, exec_lo, s46
	s_mov_b32 s46, exec_lo
	v_cmpx_lt_u32_e64 v140, v167
	s_cbranch_execnz .LBB1119_1154
.LBB1119_1088:                          ;   in Loop: Header=BB1119_980 Depth=2
	s_or_b32 exec_lo, exec_lo, s46
	s_mov_b32 s46, exec_lo
	v_cmpx_lt_u32_e64 v141, v167
	s_cbranch_execnz .LBB1119_1155
.LBB1119_1089:                          ;   in Loop: Header=BB1119_980 Depth=2
	s_or_b32 exec_lo, exec_lo, s46
	s_mov_b32 s46, exec_lo
	v_cmpx_lt_u32_e64 v142, v167
	s_cbranch_execnz .LBB1119_1156
.LBB1119_1090:                          ;   in Loop: Header=BB1119_980 Depth=2
	s_or_b32 exec_lo, exec_lo, s46
	s_mov_b32 s46, exec_lo
	v_cmpx_lt_u32_e64 v143, v167
	s_cbranch_execnz .LBB1119_1157
.LBB1119_1091:                          ;   in Loop: Header=BB1119_980 Depth=2
	s_or_b32 exec_lo, exec_lo, s46
	s_mov_b32 s46, exec_lo
	v_cmpx_lt_u32_e64 v144, v167
	s_cbranch_execnz .LBB1119_1158
.LBB1119_1092:                          ;   in Loop: Header=BB1119_980 Depth=2
	s_or_b32 exec_lo, exec_lo, s46
	s_mov_b32 s46, exec_lo
	v_cmpx_lt_u32_e64 v145, v167
	s_cbranch_execnz .LBB1119_1159
.LBB1119_1093:                          ;   in Loop: Header=BB1119_980 Depth=2
	s_or_b32 exec_lo, exec_lo, s46
	s_and_saveexec_b32 s46, vcc_lo
	s_cbranch_execnz .LBB1119_1160
.LBB1119_1094:                          ;   in Loop: Header=BB1119_980 Depth=2
	s_or_b32 exec_lo, exec_lo, s46
	s_and_saveexec_b32 s46, s22
	s_cbranch_execnz .LBB1119_1161
.LBB1119_1095:                          ;   in Loop: Header=BB1119_980 Depth=2
	s_or_b32 exec_lo, exec_lo, s46
	s_and_saveexec_b32 s46, s23
	s_cbranch_execnz .LBB1119_1162
.LBB1119_1096:                          ;   in Loop: Header=BB1119_980 Depth=2
	s_or_b32 exec_lo, exec_lo, s46
	s_and_saveexec_b32 s46, s24
	s_cbranch_execnz .LBB1119_1163
.LBB1119_1097:                          ;   in Loop: Header=BB1119_980 Depth=2
	s_or_b32 exec_lo, exec_lo, s46
	s_and_saveexec_b32 s46, s25
	s_cbranch_execnz .LBB1119_1164
.LBB1119_1098:                          ;   in Loop: Header=BB1119_980 Depth=2
	s_or_b32 exec_lo, exec_lo, s46
	s_and_saveexec_b32 s46, s26
	s_cbranch_execnz .LBB1119_1165
.LBB1119_1099:                          ;   in Loop: Header=BB1119_980 Depth=2
	s_or_b32 exec_lo, exec_lo, s46
	s_and_saveexec_b32 s46, s27
	s_cbranch_execnz .LBB1119_1166
.LBB1119_1100:                          ;   in Loop: Header=BB1119_980 Depth=2
	s_or_b32 exec_lo, exec_lo, s46
	s_and_saveexec_b32 s46, s28
	s_cbranch_execnz .LBB1119_1167
.LBB1119_1101:                          ;   in Loop: Header=BB1119_980 Depth=2
	s_or_b32 exec_lo, exec_lo, s46
	s_and_saveexec_b32 s46, s30
	s_cbranch_execnz .LBB1119_1168
.LBB1119_1102:                          ;   in Loop: Header=BB1119_980 Depth=2
	s_or_b32 exec_lo, exec_lo, s46
	s_and_saveexec_b32 s46, s31
	s_cbranch_execnz .LBB1119_1169
.LBB1119_1103:                          ;   in Loop: Header=BB1119_980 Depth=2
	s_or_b32 exec_lo, exec_lo, s46
	s_and_saveexec_b32 s46, s33
	s_cbranch_execnz .LBB1119_1170
.LBB1119_1104:                          ;   in Loop: Header=BB1119_980 Depth=2
	s_or_b32 exec_lo, exec_lo, s46
	s_and_saveexec_b32 s46, s34
	s_cbranch_execnz .LBB1119_1171
.LBB1119_1105:                          ;   in Loop: Header=BB1119_980 Depth=2
	s_or_b32 exec_lo, exec_lo, s46
	s_and_saveexec_b32 s46, s35
	s_cbranch_execnz .LBB1119_1172
.LBB1119_1106:                          ;   in Loop: Header=BB1119_980 Depth=2
	s_or_b32 exec_lo, exec_lo, s46
	s_and_saveexec_b32 s46, s36
	s_cbranch_execnz .LBB1119_1173
.LBB1119_1107:                          ;   in Loop: Header=BB1119_980 Depth=2
	s_or_b32 exec_lo, exec_lo, s46
	s_and_saveexec_b32 s46, s37
	s_cbranch_execnz .LBB1119_1174
.LBB1119_1108:                          ;   in Loop: Header=BB1119_980 Depth=2
	s_or_b32 exec_lo, exec_lo, s46
	s_and_saveexec_b32 s46, s38
	s_cbranch_execz .LBB1119_1110
.LBB1119_1109:                          ;   in Loop: Header=BB1119_980 Depth=2
	ds_read_b64 v[37:38], v106 offset:31232
	s_waitcnt lgkmcnt(0)
	v_cmp_ne_u64_e64 s39, s[56:57], v[37:38]
	v_cndmask_b32_e64 v38, 0x7fffffff, v38, s39
	v_cndmask_b32_e64 v37, -1, v37, s39
	v_lshrrev_b64 v[37:38], s52, v[37:38]
	v_and_b32_e32 v149, s64, v37
.LBB1119_1110:                          ;   in Loop: Header=BB1119_980 Depth=2
	s_or_b32 exec_lo, exec_lo, s46
	s_waitcnt vmcnt(0)
	s_waitcnt_vscnt null, 0x0
	s_barrier
	buffer_gl0_inv
	ds_write_b64 v69, v[35:36] offset:512
	ds_write_b64 v70, v[33:34] offset:512
	;; [unrolled: 1-line block ×16, first 2 shown]
	s_waitcnt lgkmcnt(0)
	s_barrier
	buffer_gl0_inv
	s_and_saveexec_b32 s39, vcc_lo
	s_cbranch_execnz .LBB1119_1175
; %bb.1111:                             ;   in Loop: Header=BB1119_980 Depth=2
	s_or_b32 exec_lo, exec_lo, s39
	s_and_saveexec_b32 s39, s22
	s_cbranch_execnz .LBB1119_1176
.LBB1119_1112:                          ;   in Loop: Header=BB1119_980 Depth=2
	s_or_b32 exec_lo, exec_lo, s39
	s_and_saveexec_b32 s22, s23
	s_cbranch_execnz .LBB1119_1177
.LBB1119_1113:                          ;   in Loop: Header=BB1119_980 Depth=2
	s_or_b32 exec_lo, exec_lo, s22
	s_and_saveexec_b32 s22, s24
	s_cbranch_execnz .LBB1119_1178
.LBB1119_1114:                          ;   in Loop: Header=BB1119_980 Depth=2
	s_or_b32 exec_lo, exec_lo, s22
	s_and_saveexec_b32 s22, s25
	s_cbranch_execnz .LBB1119_1179
.LBB1119_1115:                          ;   in Loop: Header=BB1119_980 Depth=2
	s_or_b32 exec_lo, exec_lo, s22
	s_and_saveexec_b32 s22, s26
	s_cbranch_execnz .LBB1119_1180
.LBB1119_1116:                          ;   in Loop: Header=BB1119_980 Depth=2
	s_or_b32 exec_lo, exec_lo, s22
	s_and_saveexec_b32 s22, s27
	s_cbranch_execnz .LBB1119_1181
.LBB1119_1117:                          ;   in Loop: Header=BB1119_980 Depth=2
	s_or_b32 exec_lo, exec_lo, s22
	s_and_saveexec_b32 s22, s28
	s_cbranch_execnz .LBB1119_1182
.LBB1119_1118:                          ;   in Loop: Header=BB1119_980 Depth=2
	s_or_b32 exec_lo, exec_lo, s22
	s_and_saveexec_b32 s22, s30
	s_cbranch_execnz .LBB1119_1183
.LBB1119_1119:                          ;   in Loop: Header=BB1119_980 Depth=2
	s_or_b32 exec_lo, exec_lo, s22
	s_and_saveexec_b32 s22, s31
	s_cbranch_execnz .LBB1119_1184
.LBB1119_1120:                          ;   in Loop: Header=BB1119_980 Depth=2
	s_or_b32 exec_lo, exec_lo, s22
	s_and_saveexec_b32 s22, s33
	s_cbranch_execnz .LBB1119_1185
.LBB1119_1121:                          ;   in Loop: Header=BB1119_980 Depth=2
	s_or_b32 exec_lo, exec_lo, s22
	s_and_saveexec_b32 s22, s34
	s_cbranch_execnz .LBB1119_1186
.LBB1119_1122:                          ;   in Loop: Header=BB1119_980 Depth=2
	s_or_b32 exec_lo, exec_lo, s22
	s_and_saveexec_b32 s22, s35
	s_cbranch_execnz .LBB1119_1187
.LBB1119_1123:                          ;   in Loop: Header=BB1119_980 Depth=2
	s_or_b32 exec_lo, exec_lo, s22
	s_and_saveexec_b32 s22, s36
	s_cbranch_execnz .LBB1119_1188
.LBB1119_1124:                          ;   in Loop: Header=BB1119_980 Depth=2
	s_or_b32 exec_lo, exec_lo, s22
	s_and_saveexec_b32 s22, s37
	s_cbranch_execnz .LBB1119_1189
.LBB1119_1125:                          ;   in Loop: Header=BB1119_980 Depth=2
	s_or_b32 exec_lo, exec_lo, s22
	s_and_saveexec_b32 s22, s38
	s_cbranch_execz .LBB1119_1127
.LBB1119_1126:                          ;   in Loop: Header=BB1119_980 Depth=2
	v_lshlrev_b32_e32 v3, 2, v149
	ds_read_b32 v3, v3
	ds_read_b64 v[37:38], v106 offset:31232
	s_waitcnt lgkmcnt(1)
	v_add_nc_u32_e32 v3, v3, v90
	v_lshlrev_b64 v[39:40], 3, v[3:4]
	v_add_co_u32 v39, vcc_lo, s50, v39
	v_add_co_ci_u32_e64 v40, null, s51, v40, vcc_lo
	s_waitcnt lgkmcnt(0)
	global_store_dwordx2 v[39:40], v[37:38], off
.LBB1119_1127:                          ;   in Loop: Header=BB1119_980 Depth=2
	s_or_b32 exec_lo, exec_lo, s22
	s_waitcnt_vscnt null, 0x0
	s_barrier
	buffer_gl0_inv
	s_and_saveexec_b32 s22, s7
	s_cbranch_execz .LBB1119_979
; %bb.1128:                             ;   in Loop: Header=BB1119_980 Depth=2
	ds_read_b32 v3, v73
	s_waitcnt lgkmcnt(0)
	v_add3_u32 v3, v156, v166, v3
	ds_write_b32 v73, v3
	s_branch .LBB1119_979
.LBB1119_1129:                          ;   in Loop: Header=BB1119_980 Depth=2
	ds_read_b64 v[37:38], v106 offset:512
	s_waitcnt lgkmcnt(0)
	v_cmp_ne_u64_e64 s22, s[56:57], v[37:38]
	v_cndmask_b32_e64 v44, 0x7fffffff, v38, s22
	v_cndmask_b32_e64 v43, -1, v37, s22
	v_cmp_gt_i64_e64 s22, 0, v[37:38]
	v_lshrrev_b64 v[43:44], s52, v[43:44]
	v_cndmask_b32_e64 v45, 0x7fffffff, 0, s22
	v_and_b32_e32 v3, s64, v43
	v_ashrrev_i32_e32 v43, 31, v38
	v_xor_b32_e32 v38, v45, v38
	v_lshlrev_b32_e32 v3, 2, v3
	v_not_b32_e32 v46, v43
	ds_read_b32 v3, v3
	v_xor_b32_e32 v37, v46, v37
	s_waitcnt lgkmcnt(0)
	v_add_nc_u32_e32 v3, v3, v0
	v_lshlrev_b64 v[43:44], 3, v[3:4]
	v_add_co_u32 v43, s22, s44, v43
	v_add_co_ci_u32_e64 v44, null, s45, v44, s22
	global_store_dwordx2 v[43:44], v[37:38], off
	s_or_b32 exec_lo, exec_lo, s23
	v_cmp_lt_u32_e64 s22, v74, v167
	s_and_saveexec_b32 s24, s22
	s_cbranch_execz .LBB1119_1062
.LBB1119_1130:                          ;   in Loop: Header=BB1119_980 Depth=2
	ds_read_b64 v[37:38], v106 offset:2560
	s_waitcnt lgkmcnt(0)
	v_cmp_ne_u64_e64 s23, s[56:57], v[37:38]
	v_cndmask_b32_e64 v44, 0x7fffffff, v38, s23
	v_cndmask_b32_e64 v43, -1, v37, s23
	v_cmp_gt_i64_e64 s23, 0, v[37:38]
	v_lshrrev_b64 v[43:44], s52, v[43:44]
	v_cndmask_b32_e64 v45, 0x7fffffff, 0, s23
	v_and_b32_e32 v3, s64, v43
	v_ashrrev_i32_e32 v43, 31, v38
	v_xor_b32_e32 v38, v45, v38
	v_lshlrev_b32_e32 v3, 2, v3
	v_not_b32_e32 v46, v43
	ds_read_b32 v3, v3
	v_xor_b32_e32 v37, v46, v37
	s_waitcnt lgkmcnt(0)
	v_add_nc_u32_e32 v3, v3, v74
	v_lshlrev_b64 v[43:44], 3, v[3:4]
	v_add_co_u32 v43, s23, s44, v43
	v_add_co_ci_u32_e64 v44, null, s45, v44, s23
	global_store_dwordx2 v[43:44], v[37:38], off
	s_or_b32 exec_lo, exec_lo, s24
	v_cmp_lt_u32_e64 s23, v77, v167
	s_and_saveexec_b32 s25, s23
	s_cbranch_execz .LBB1119_1063
.LBB1119_1131:                          ;   in Loop: Header=BB1119_980 Depth=2
	ds_read_b64 v[37:38], v106 offset:4608
	s_waitcnt lgkmcnt(0)
	v_cmp_ne_u64_e64 s24, s[56:57], v[37:38]
	v_cndmask_b32_e64 v44, 0x7fffffff, v38, s24
	v_cndmask_b32_e64 v43, -1, v37, s24
	v_cmp_gt_i64_e64 s24, 0, v[37:38]
	v_lshrrev_b64 v[43:44], s52, v[43:44]
	v_cndmask_b32_e64 v45, 0x7fffffff, 0, s24
	v_and_b32_e32 v3, s64, v43
	v_ashrrev_i32_e32 v43, 31, v38
	v_xor_b32_e32 v38, v45, v38
	v_lshlrev_b32_e32 v3, 2, v3
	v_not_b32_e32 v46, v43
	ds_read_b32 v3, v3
	v_xor_b32_e32 v37, v46, v37
	s_waitcnt lgkmcnt(0)
	v_add_nc_u32_e32 v3, v3, v77
	v_lshlrev_b64 v[43:44], 3, v[3:4]
	v_add_co_u32 v43, s24, s44, v43
	v_add_co_ci_u32_e64 v44, null, s45, v44, s24
	global_store_dwordx2 v[43:44], v[37:38], off
	s_or_b32 exec_lo, exec_lo, s25
	v_cmp_lt_u32_e64 s24, v78, v167
	s_and_saveexec_b32 s26, s24
	s_cbranch_execz .LBB1119_1064
.LBB1119_1132:                          ;   in Loop: Header=BB1119_980 Depth=2
	ds_read_b64 v[37:38], v106 offset:6656
	s_waitcnt lgkmcnt(0)
	v_cmp_ne_u64_e64 s25, s[56:57], v[37:38]
	v_cndmask_b32_e64 v44, 0x7fffffff, v38, s25
	v_cndmask_b32_e64 v43, -1, v37, s25
	v_cmp_gt_i64_e64 s25, 0, v[37:38]
	v_lshrrev_b64 v[43:44], s52, v[43:44]
	v_cndmask_b32_e64 v45, 0x7fffffff, 0, s25
	v_and_b32_e32 v3, s64, v43
	v_ashrrev_i32_e32 v43, 31, v38
	v_xor_b32_e32 v38, v45, v38
	v_lshlrev_b32_e32 v3, 2, v3
	v_not_b32_e32 v46, v43
	ds_read_b32 v3, v3
	v_xor_b32_e32 v37, v46, v37
	s_waitcnt lgkmcnt(0)
	v_add_nc_u32_e32 v3, v3, v78
	v_lshlrev_b64 v[43:44], 3, v[3:4]
	v_add_co_u32 v43, s25, s44, v43
	v_add_co_ci_u32_e64 v44, null, s45, v44, s25
	global_store_dwordx2 v[43:44], v[37:38], off
	s_or_b32 exec_lo, exec_lo, s26
	v_cmp_lt_u32_e64 s25, v79, v167
	s_and_saveexec_b32 s27, s25
	s_cbranch_execz .LBB1119_1065
.LBB1119_1133:                          ;   in Loop: Header=BB1119_980 Depth=2
	ds_read_b64 v[37:38], v106 offset:8704
	s_waitcnt lgkmcnt(0)
	v_cmp_ne_u64_e64 s26, s[56:57], v[37:38]
	v_cndmask_b32_e64 v44, 0x7fffffff, v38, s26
	v_cndmask_b32_e64 v43, -1, v37, s26
	v_cmp_gt_i64_e64 s26, 0, v[37:38]
	v_lshrrev_b64 v[43:44], s52, v[43:44]
	v_cndmask_b32_e64 v45, 0x7fffffff, 0, s26
	v_and_b32_e32 v3, s64, v43
	v_ashrrev_i32_e32 v43, 31, v38
	v_xor_b32_e32 v38, v45, v38
	v_lshlrev_b32_e32 v3, 2, v3
	v_not_b32_e32 v46, v43
	ds_read_b32 v3, v3
	v_xor_b32_e32 v37, v46, v37
	s_waitcnt lgkmcnt(0)
	v_add_nc_u32_e32 v3, v3, v79
	v_lshlrev_b64 v[43:44], 3, v[3:4]
	v_add_co_u32 v43, s26, s44, v43
	v_add_co_ci_u32_e64 v44, null, s45, v44, s26
	global_store_dwordx2 v[43:44], v[37:38], off
	s_or_b32 exec_lo, exec_lo, s27
	v_cmp_lt_u32_e64 s26, v80, v167
	s_and_saveexec_b32 s28, s26
	s_cbranch_execz .LBB1119_1066
.LBB1119_1134:                          ;   in Loop: Header=BB1119_980 Depth=2
	ds_read_b64 v[37:38], v106 offset:10752
	s_waitcnt lgkmcnt(0)
	v_cmp_ne_u64_e64 s27, s[56:57], v[37:38]
	v_cndmask_b32_e64 v44, 0x7fffffff, v38, s27
	v_cndmask_b32_e64 v43, -1, v37, s27
	v_cmp_gt_i64_e64 s27, 0, v[37:38]
	v_lshrrev_b64 v[43:44], s52, v[43:44]
	v_cndmask_b32_e64 v45, 0x7fffffff, 0, s27
	v_and_b32_e32 v3, s64, v43
	v_ashrrev_i32_e32 v43, 31, v38
	v_xor_b32_e32 v38, v45, v38
	v_lshlrev_b32_e32 v3, 2, v3
	v_not_b32_e32 v46, v43
	ds_read_b32 v3, v3
	v_xor_b32_e32 v37, v46, v37
	s_waitcnt lgkmcnt(0)
	v_add_nc_u32_e32 v3, v3, v80
	v_lshlrev_b64 v[43:44], 3, v[3:4]
	v_add_co_u32 v43, s27, s44, v43
	v_add_co_ci_u32_e64 v44, null, s45, v44, s27
	global_store_dwordx2 v[43:44], v[37:38], off
	s_or_b32 exec_lo, exec_lo, s28
	v_cmp_lt_u32_e64 s27, v81, v167
	s_and_saveexec_b32 s30, s27
	s_cbranch_execz .LBB1119_1067
.LBB1119_1135:                          ;   in Loop: Header=BB1119_980 Depth=2
	ds_read_b64 v[37:38], v106 offset:12800
	s_waitcnt lgkmcnt(0)
	v_cmp_ne_u64_e64 s28, s[56:57], v[37:38]
	v_cndmask_b32_e64 v44, 0x7fffffff, v38, s28
	v_cndmask_b32_e64 v43, -1, v37, s28
	v_cmp_gt_i64_e64 s28, 0, v[37:38]
	v_lshrrev_b64 v[43:44], s52, v[43:44]
	v_cndmask_b32_e64 v45, 0x7fffffff, 0, s28
	v_and_b32_e32 v3, s64, v43
	v_ashrrev_i32_e32 v43, 31, v38
	v_xor_b32_e32 v38, v45, v38
	v_lshlrev_b32_e32 v3, 2, v3
	v_not_b32_e32 v46, v43
	ds_read_b32 v3, v3
	v_xor_b32_e32 v37, v46, v37
	s_waitcnt lgkmcnt(0)
	v_add_nc_u32_e32 v3, v3, v81
	v_lshlrev_b64 v[43:44], 3, v[3:4]
	v_add_co_u32 v43, s28, s44, v43
	v_add_co_ci_u32_e64 v44, null, s45, v44, s28
	global_store_dwordx2 v[43:44], v[37:38], off
	s_or_b32 exec_lo, exec_lo, s30
	v_cmp_lt_u32_e64 s28, v82, v167
	s_and_saveexec_b32 s31, s28
	s_cbranch_execz .LBB1119_1068
.LBB1119_1136:                          ;   in Loop: Header=BB1119_980 Depth=2
	ds_read_b64 v[37:38], v106 offset:14848
	s_waitcnt lgkmcnt(0)
	v_cmp_ne_u64_e64 s30, s[56:57], v[37:38]
	v_cndmask_b32_e64 v44, 0x7fffffff, v38, s30
	v_cndmask_b32_e64 v43, -1, v37, s30
	v_cmp_gt_i64_e64 s30, 0, v[37:38]
	v_lshrrev_b64 v[43:44], s52, v[43:44]
	v_cndmask_b32_e64 v45, 0x7fffffff, 0, s30
	v_and_b32_e32 v3, s64, v43
	v_ashrrev_i32_e32 v43, 31, v38
	v_xor_b32_e32 v38, v45, v38
	v_lshlrev_b32_e32 v3, 2, v3
	v_not_b32_e32 v46, v43
	ds_read_b32 v3, v3
	v_xor_b32_e32 v37, v46, v37
	s_waitcnt lgkmcnt(0)
	v_add_nc_u32_e32 v3, v3, v82
	v_lshlrev_b64 v[43:44], 3, v[3:4]
	v_add_co_u32 v43, s30, s44, v43
	v_add_co_ci_u32_e64 v44, null, s45, v44, s30
	global_store_dwordx2 v[43:44], v[37:38], off
	s_or_b32 exec_lo, exec_lo, s31
	v_cmp_lt_u32_e64 s30, v83, v167
	s_and_saveexec_b32 s33, s30
	s_cbranch_execz .LBB1119_1069
.LBB1119_1137:                          ;   in Loop: Header=BB1119_980 Depth=2
	ds_read_b64 v[37:38], v106 offset:16896
	s_waitcnt lgkmcnt(0)
	v_cmp_ne_u64_e64 s31, s[56:57], v[37:38]
	v_cndmask_b32_e64 v44, 0x7fffffff, v38, s31
	v_cndmask_b32_e64 v43, -1, v37, s31
	v_cmp_gt_i64_e64 s31, 0, v[37:38]
	v_lshrrev_b64 v[43:44], s52, v[43:44]
	v_cndmask_b32_e64 v45, 0x7fffffff, 0, s31
	v_and_b32_e32 v3, s64, v43
	v_ashrrev_i32_e32 v43, 31, v38
	v_xor_b32_e32 v38, v45, v38
	v_lshlrev_b32_e32 v3, 2, v3
	v_not_b32_e32 v46, v43
	ds_read_b32 v3, v3
	v_xor_b32_e32 v37, v46, v37
	s_waitcnt lgkmcnt(0)
	v_add_nc_u32_e32 v3, v3, v83
	v_lshlrev_b64 v[43:44], 3, v[3:4]
	v_add_co_u32 v43, s31, s44, v43
	v_add_co_ci_u32_e64 v44, null, s45, v44, s31
	global_store_dwordx2 v[43:44], v[37:38], off
	s_or_b32 exec_lo, exec_lo, s33
	v_cmp_lt_u32_e64 s31, v84, v167
	s_and_saveexec_b32 s34, s31
	s_cbranch_execz .LBB1119_1070
.LBB1119_1138:                          ;   in Loop: Header=BB1119_980 Depth=2
	ds_read_b64 v[37:38], v106 offset:18944
	s_waitcnt lgkmcnt(0)
	v_cmp_ne_u64_e64 s33, s[56:57], v[37:38]
	v_cndmask_b32_e64 v44, 0x7fffffff, v38, s33
	v_cndmask_b32_e64 v43, -1, v37, s33
	v_cmp_gt_i64_e64 s33, 0, v[37:38]
	v_lshrrev_b64 v[43:44], s52, v[43:44]
	v_cndmask_b32_e64 v45, 0x7fffffff, 0, s33
	v_and_b32_e32 v3, s64, v43
	v_ashrrev_i32_e32 v43, 31, v38
	v_xor_b32_e32 v38, v45, v38
	v_lshlrev_b32_e32 v3, 2, v3
	v_not_b32_e32 v46, v43
	ds_read_b32 v3, v3
	v_xor_b32_e32 v37, v46, v37
	s_waitcnt lgkmcnt(0)
	v_add_nc_u32_e32 v3, v3, v84
	v_lshlrev_b64 v[43:44], 3, v[3:4]
	v_add_co_u32 v43, s33, s44, v43
	v_add_co_ci_u32_e64 v44, null, s45, v44, s33
	global_store_dwordx2 v[43:44], v[37:38], off
	s_or_b32 exec_lo, exec_lo, s34
	v_cmp_lt_u32_e64 s33, v85, v167
	s_and_saveexec_b32 s35, s33
	s_cbranch_execz .LBB1119_1071
.LBB1119_1139:                          ;   in Loop: Header=BB1119_980 Depth=2
	ds_read_b64 v[37:38], v106 offset:20992
	s_waitcnt lgkmcnt(0)
	v_cmp_ne_u64_e64 s34, s[56:57], v[37:38]
	v_cndmask_b32_e64 v44, 0x7fffffff, v38, s34
	v_cndmask_b32_e64 v43, -1, v37, s34
	v_cmp_gt_i64_e64 s34, 0, v[37:38]
	v_lshrrev_b64 v[43:44], s52, v[43:44]
	v_cndmask_b32_e64 v45, 0x7fffffff, 0, s34
	v_and_b32_e32 v3, s64, v43
	v_ashrrev_i32_e32 v43, 31, v38
	v_xor_b32_e32 v38, v45, v38
	v_lshlrev_b32_e32 v3, 2, v3
	v_not_b32_e32 v46, v43
	ds_read_b32 v3, v3
	v_xor_b32_e32 v37, v46, v37
	s_waitcnt lgkmcnt(0)
	v_add_nc_u32_e32 v3, v3, v85
	v_lshlrev_b64 v[43:44], 3, v[3:4]
	v_add_co_u32 v43, s34, s44, v43
	v_add_co_ci_u32_e64 v44, null, s45, v44, s34
	global_store_dwordx2 v[43:44], v[37:38], off
	s_or_b32 exec_lo, exec_lo, s35
	v_cmp_lt_u32_e64 s34, v86, v167
	s_and_saveexec_b32 s36, s34
	s_cbranch_execz .LBB1119_1072
.LBB1119_1140:                          ;   in Loop: Header=BB1119_980 Depth=2
	ds_read_b64 v[37:38], v106 offset:23040
	s_waitcnt lgkmcnt(0)
	v_cmp_ne_u64_e64 s35, s[56:57], v[37:38]
	v_cndmask_b32_e64 v44, 0x7fffffff, v38, s35
	v_cndmask_b32_e64 v43, -1, v37, s35
	v_cmp_gt_i64_e64 s35, 0, v[37:38]
	v_lshrrev_b64 v[43:44], s52, v[43:44]
	v_cndmask_b32_e64 v45, 0x7fffffff, 0, s35
	v_and_b32_e32 v3, s64, v43
	v_ashrrev_i32_e32 v43, 31, v38
	v_xor_b32_e32 v38, v45, v38
	v_lshlrev_b32_e32 v3, 2, v3
	v_not_b32_e32 v46, v43
	ds_read_b32 v3, v3
	v_xor_b32_e32 v37, v46, v37
	s_waitcnt lgkmcnt(0)
	v_add_nc_u32_e32 v3, v3, v86
	v_lshlrev_b64 v[43:44], 3, v[3:4]
	v_add_co_u32 v43, s35, s44, v43
	v_add_co_ci_u32_e64 v44, null, s45, v44, s35
	global_store_dwordx2 v[43:44], v[37:38], off
	s_or_b32 exec_lo, exec_lo, s36
	v_cmp_lt_u32_e64 s35, v87, v167
	s_and_saveexec_b32 s37, s35
	s_cbranch_execz .LBB1119_1073
.LBB1119_1141:                          ;   in Loop: Header=BB1119_980 Depth=2
	ds_read_b64 v[37:38], v106 offset:25088
	s_waitcnt lgkmcnt(0)
	v_cmp_ne_u64_e64 s36, s[56:57], v[37:38]
	v_cndmask_b32_e64 v44, 0x7fffffff, v38, s36
	v_cndmask_b32_e64 v43, -1, v37, s36
	v_cmp_gt_i64_e64 s36, 0, v[37:38]
	v_lshrrev_b64 v[43:44], s52, v[43:44]
	v_cndmask_b32_e64 v45, 0x7fffffff, 0, s36
	v_and_b32_e32 v3, s64, v43
	v_ashrrev_i32_e32 v43, 31, v38
	v_xor_b32_e32 v38, v45, v38
	v_lshlrev_b32_e32 v3, 2, v3
	v_not_b32_e32 v46, v43
	ds_read_b32 v3, v3
	v_xor_b32_e32 v37, v46, v37
	s_waitcnt lgkmcnt(0)
	v_add_nc_u32_e32 v3, v3, v87
	v_lshlrev_b64 v[43:44], 3, v[3:4]
	v_add_co_u32 v43, s36, s44, v43
	v_add_co_ci_u32_e64 v44, null, s45, v44, s36
	global_store_dwordx2 v[43:44], v[37:38], off
	s_or_b32 exec_lo, exec_lo, s37
	v_cmp_lt_u32_e64 s36, v88, v167
	s_and_saveexec_b32 s38, s36
	s_cbranch_execz .LBB1119_1074
.LBB1119_1142:                          ;   in Loop: Header=BB1119_980 Depth=2
	ds_read_b64 v[37:38], v106 offset:27136
	s_waitcnt lgkmcnt(0)
	v_cmp_ne_u64_e64 s37, s[56:57], v[37:38]
	v_cndmask_b32_e64 v44, 0x7fffffff, v38, s37
	v_cndmask_b32_e64 v43, -1, v37, s37
	v_cmp_gt_i64_e64 s37, 0, v[37:38]
	v_lshrrev_b64 v[43:44], s52, v[43:44]
	v_cndmask_b32_e64 v45, 0x7fffffff, 0, s37
	v_and_b32_e32 v3, s64, v43
	v_ashrrev_i32_e32 v43, 31, v38
	v_xor_b32_e32 v38, v45, v38
	v_lshlrev_b32_e32 v3, 2, v3
	v_not_b32_e32 v46, v43
	ds_read_b32 v3, v3
	v_xor_b32_e32 v37, v46, v37
	s_waitcnt lgkmcnt(0)
	v_add_nc_u32_e32 v3, v3, v88
	v_lshlrev_b64 v[43:44], 3, v[3:4]
	v_add_co_u32 v43, s37, s44, v43
	v_add_co_ci_u32_e64 v44, null, s45, v44, s37
	global_store_dwordx2 v[43:44], v[37:38], off
	s_or_b32 exec_lo, exec_lo, s38
	v_cmp_lt_u32_e64 s37, v89, v167
	s_and_saveexec_b32 s39, s37
	s_cbranch_execz .LBB1119_1075
.LBB1119_1143:                          ;   in Loop: Header=BB1119_980 Depth=2
	ds_read_b64 v[37:38], v106 offset:29184
	s_waitcnt lgkmcnt(0)
	v_cmp_ne_u64_e64 s38, s[56:57], v[37:38]
	v_cndmask_b32_e64 v44, 0x7fffffff, v38, s38
	v_cndmask_b32_e64 v43, -1, v37, s38
	v_cmp_gt_i64_e64 s38, 0, v[37:38]
	v_lshrrev_b64 v[43:44], s52, v[43:44]
	v_cndmask_b32_e64 v45, 0x7fffffff, 0, s38
	v_and_b32_e32 v3, s64, v43
	v_ashrrev_i32_e32 v43, 31, v38
	v_xor_b32_e32 v38, v45, v38
	v_lshlrev_b32_e32 v3, 2, v3
	v_not_b32_e32 v46, v43
	ds_read_b32 v3, v3
	v_xor_b32_e32 v37, v46, v37
	s_waitcnt lgkmcnt(0)
	v_add_nc_u32_e32 v3, v3, v89
	v_lshlrev_b64 v[43:44], 3, v[3:4]
	v_add_co_u32 v43, s38, s44, v43
	v_add_co_ci_u32_e64 v44, null, s45, v44, s38
	global_store_dwordx2 v[43:44], v[37:38], off
	s_or_b32 exec_lo, exec_lo, s39
	v_cmp_lt_u32_e64 s38, v90, v167
	s_and_saveexec_b32 s47, s38
	s_cbranch_execnz .LBB1119_1076
	s_branch .LBB1119_1077
.LBB1119_1144:                          ;   in Loop: Header=BB1119_980 Depth=2
	global_load_dwordx2 v[35:36], v[37:38], off
	s_or_b32 exec_lo, exec_lo, s39
	s_mov_b32 s46, exec_lo
	v_cmpx_lt_u32_e64 v131, v167
	s_cbranch_execz .LBB1119_1079
.LBB1119_1145:                          ;   in Loop: Header=BB1119_980 Depth=2
	global_load_dwordx2 v[33:34], v[37:38], off offset:256
	s_or_b32 exec_lo, exec_lo, s46
	s_mov_b32 s46, exec_lo
	v_cmpx_lt_u32_e64 v132, v167
	s_cbranch_execz .LBB1119_1080
.LBB1119_1146:                          ;   in Loop: Header=BB1119_980 Depth=2
	global_load_dwordx2 v[31:32], v[37:38], off offset:512
	s_or_b32 exec_lo, exec_lo, s46
	s_mov_b32 s46, exec_lo
	v_cmpx_lt_u32_e64 v133, v167
	s_cbranch_execz .LBB1119_1081
.LBB1119_1147:                          ;   in Loop: Header=BB1119_980 Depth=2
	global_load_dwordx2 v[29:30], v[37:38], off offset:768
	s_or_b32 exec_lo, exec_lo, s46
	s_mov_b32 s46, exec_lo
	v_cmpx_lt_u32_e64 v134, v167
	s_cbranch_execz .LBB1119_1082
.LBB1119_1148:                          ;   in Loop: Header=BB1119_980 Depth=2
	global_load_dwordx2 v[27:28], v[37:38], off offset:1024
	s_or_b32 exec_lo, exec_lo, s46
	s_mov_b32 s46, exec_lo
	v_cmpx_lt_u32_e64 v135, v167
	s_cbranch_execz .LBB1119_1083
.LBB1119_1149:                          ;   in Loop: Header=BB1119_980 Depth=2
	global_load_dwordx2 v[23:24], v[37:38], off offset:1280
	s_or_b32 exec_lo, exec_lo, s46
	s_mov_b32 s46, exec_lo
	v_cmpx_lt_u32_e64 v136, v167
	s_cbranch_execz .LBB1119_1084
.LBB1119_1150:                          ;   in Loop: Header=BB1119_980 Depth=2
	global_load_dwordx2 v[19:20], v[37:38], off offset:1536
	s_or_b32 exec_lo, exec_lo, s46
	s_mov_b32 s46, exec_lo
	v_cmpx_lt_u32_e64 v137, v167
	s_cbranch_execz .LBB1119_1085
.LBB1119_1151:                          ;   in Loop: Header=BB1119_980 Depth=2
	global_load_dwordx2 v[15:16], v[37:38], off offset:1792
	s_or_b32 exec_lo, exec_lo, s46
	s_mov_b32 s46, exec_lo
	v_cmpx_lt_u32_e64 v138, v167
	s_cbranch_execz .LBB1119_1086
.LBB1119_1152:                          ;   in Loop: Header=BB1119_980 Depth=2
	v_add_co_u32 v25, s39, 0x800, v37
	v_add_co_ci_u32_e64 v26, null, 0, v38, s39
	global_load_dwordx2 v[25:26], v[25:26], off
	s_or_b32 exec_lo, exec_lo, s46
	s_mov_b32 s46, exec_lo
	v_cmpx_lt_u32_e64 v139, v167
	s_cbranch_execz .LBB1119_1087
.LBB1119_1153:                          ;   in Loop: Header=BB1119_980 Depth=2
	v_add_co_u32 v21, s39, 0x800, v37
	v_add_co_ci_u32_e64 v22, null, 0, v38, s39
	global_load_dwordx2 v[21:22], v[21:22], off offset:256
	s_or_b32 exec_lo, exec_lo, s46
	s_mov_b32 s46, exec_lo
	v_cmpx_lt_u32_e64 v140, v167
	s_cbranch_execz .LBB1119_1088
.LBB1119_1154:                          ;   in Loop: Header=BB1119_980 Depth=2
	v_add_co_u32 v17, s39, 0x800, v37
	v_add_co_ci_u32_e64 v18, null, 0, v38, s39
	global_load_dwordx2 v[17:18], v[17:18], off offset:512
	s_or_b32 exec_lo, exec_lo, s46
	s_mov_b32 s46, exec_lo
	v_cmpx_lt_u32_e64 v141, v167
	s_cbranch_execz .LBB1119_1089
.LBB1119_1155:                          ;   in Loop: Header=BB1119_980 Depth=2
	v_add_co_u32 v13, s39, 0x800, v37
	v_add_co_ci_u32_e64 v14, null, 0, v38, s39
	global_load_dwordx2 v[13:14], v[13:14], off offset:768
	s_or_b32 exec_lo, exec_lo, s46
	s_mov_b32 s46, exec_lo
	v_cmpx_lt_u32_e64 v142, v167
	s_cbranch_execz .LBB1119_1090
.LBB1119_1156:                          ;   in Loop: Header=BB1119_980 Depth=2
	v_add_co_u32 v11, s39, 0x800, v37
	v_add_co_ci_u32_e64 v12, null, 0, v38, s39
	global_load_dwordx2 v[11:12], v[11:12], off offset:1024
	s_or_b32 exec_lo, exec_lo, s46
	s_mov_b32 s46, exec_lo
	v_cmpx_lt_u32_e64 v143, v167
	s_cbranch_execz .LBB1119_1091
.LBB1119_1157:                          ;   in Loop: Header=BB1119_980 Depth=2
	v_add_co_u32 v9, s39, 0x800, v37
	v_add_co_ci_u32_e64 v10, null, 0, v38, s39
	global_load_dwordx2 v[9:10], v[9:10], off offset:1280
	s_or_b32 exec_lo, exec_lo, s46
	s_mov_b32 s46, exec_lo
	v_cmpx_lt_u32_e64 v144, v167
	s_cbranch_execz .LBB1119_1092
.LBB1119_1158:                          ;   in Loop: Header=BB1119_980 Depth=2
	v_add_co_u32 v7, s39, 0x800, v37
	v_add_co_ci_u32_e64 v8, null, 0, v38, s39
	global_load_dwordx2 v[7:8], v[7:8], off offset:1536
	s_or_b32 exec_lo, exec_lo, s46
	s_mov_b32 s46, exec_lo
	v_cmpx_lt_u32_e64 v145, v167
	s_cbranch_execz .LBB1119_1093
.LBB1119_1159:                          ;   in Loop: Header=BB1119_980 Depth=2
	v_add_co_u32 v5, s39, 0x800, v37
	v_add_co_ci_u32_e64 v6, null, 0, v38, s39
	global_load_dwordx2 v[5:6], v[5:6], off offset:1792
	s_or_b32 exec_lo, exec_lo, s46
	s_and_saveexec_b32 s46, vcc_lo
	s_cbranch_execz .LBB1119_1094
.LBB1119_1160:                          ;   in Loop: Header=BB1119_980 Depth=2
	ds_read_b64 v[37:38], v106 offset:512
	s_waitcnt lgkmcnt(0)
	v_cmp_ne_u64_e64 s39, s[56:57], v[37:38]
	v_cndmask_b32_e64 v38, 0x7fffffff, v38, s39
	v_cndmask_b32_e64 v37, -1, v37, s39
	v_lshrrev_b64 v[37:38], s52, v[37:38]
	v_and_b32_e32 v165, s64, v37
	s_or_b32 exec_lo, exec_lo, s46
	s_and_saveexec_b32 s46, s22
	s_cbranch_execz .LBB1119_1095
.LBB1119_1161:                          ;   in Loop: Header=BB1119_980 Depth=2
	ds_read_b64 v[37:38], v106 offset:2560
	s_waitcnt lgkmcnt(0)
	v_cmp_ne_u64_e64 s39, s[56:57], v[37:38]
	v_cndmask_b32_e64 v38, 0x7fffffff, v38, s39
	v_cndmask_b32_e64 v37, -1, v37, s39
	v_lshrrev_b64 v[37:38], s52, v[37:38]
	v_and_b32_e32 v164, s64, v37
	s_or_b32 exec_lo, exec_lo, s46
	s_and_saveexec_b32 s46, s23
	s_cbranch_execz .LBB1119_1096
.LBB1119_1162:                          ;   in Loop: Header=BB1119_980 Depth=2
	ds_read_b64 v[37:38], v106 offset:4608
	s_waitcnt lgkmcnt(0)
	v_cmp_ne_u64_e64 s39, s[56:57], v[37:38]
	v_cndmask_b32_e64 v38, 0x7fffffff, v38, s39
	v_cndmask_b32_e64 v37, -1, v37, s39
	v_lshrrev_b64 v[37:38], s52, v[37:38]
	v_and_b32_e32 v163, s64, v37
	s_or_b32 exec_lo, exec_lo, s46
	s_and_saveexec_b32 s46, s24
	s_cbranch_execz .LBB1119_1097
.LBB1119_1163:                          ;   in Loop: Header=BB1119_980 Depth=2
	ds_read_b64 v[37:38], v106 offset:6656
	s_waitcnt lgkmcnt(0)
	v_cmp_ne_u64_e64 s39, s[56:57], v[37:38]
	v_cndmask_b32_e64 v38, 0x7fffffff, v38, s39
	v_cndmask_b32_e64 v37, -1, v37, s39
	v_lshrrev_b64 v[37:38], s52, v[37:38]
	v_and_b32_e32 v162, s64, v37
	s_or_b32 exec_lo, exec_lo, s46
	s_and_saveexec_b32 s46, s25
	s_cbranch_execz .LBB1119_1098
.LBB1119_1164:                          ;   in Loop: Header=BB1119_980 Depth=2
	ds_read_b64 v[37:38], v106 offset:8704
	s_waitcnt lgkmcnt(0)
	v_cmp_ne_u64_e64 s39, s[56:57], v[37:38]
	v_cndmask_b32_e64 v38, 0x7fffffff, v38, s39
	v_cndmask_b32_e64 v37, -1, v37, s39
	v_lshrrev_b64 v[37:38], s52, v[37:38]
	v_and_b32_e32 v161, s64, v37
	s_or_b32 exec_lo, exec_lo, s46
	s_and_saveexec_b32 s46, s26
	s_cbranch_execz .LBB1119_1099
.LBB1119_1165:                          ;   in Loop: Header=BB1119_980 Depth=2
	ds_read_b64 v[37:38], v106 offset:10752
	s_waitcnt lgkmcnt(0)
	v_cmp_ne_u64_e64 s39, s[56:57], v[37:38]
	v_cndmask_b32_e64 v38, 0x7fffffff, v38, s39
	v_cndmask_b32_e64 v37, -1, v37, s39
	v_lshrrev_b64 v[37:38], s52, v[37:38]
	v_and_b32_e32 v160, s64, v37
	s_or_b32 exec_lo, exec_lo, s46
	s_and_saveexec_b32 s46, s27
	s_cbranch_execz .LBB1119_1100
.LBB1119_1166:                          ;   in Loop: Header=BB1119_980 Depth=2
	ds_read_b64 v[37:38], v106 offset:12800
	s_waitcnt lgkmcnt(0)
	v_cmp_ne_u64_e64 s39, s[56:57], v[37:38]
	v_cndmask_b32_e64 v38, 0x7fffffff, v38, s39
	v_cndmask_b32_e64 v37, -1, v37, s39
	v_lshrrev_b64 v[37:38], s52, v[37:38]
	v_and_b32_e32 v159, s64, v37
	s_or_b32 exec_lo, exec_lo, s46
	s_and_saveexec_b32 s46, s28
	s_cbranch_execz .LBB1119_1101
.LBB1119_1167:                          ;   in Loop: Header=BB1119_980 Depth=2
	ds_read_b64 v[37:38], v106 offset:14848
	s_waitcnt lgkmcnt(0)
	v_cmp_ne_u64_e64 s39, s[56:57], v[37:38]
	v_cndmask_b32_e64 v38, 0x7fffffff, v38, s39
	v_cndmask_b32_e64 v37, -1, v37, s39
	v_lshrrev_b64 v[37:38], s52, v[37:38]
	v_and_b32_e32 v158, s64, v37
	s_or_b32 exec_lo, exec_lo, s46
	s_and_saveexec_b32 s46, s30
	s_cbranch_execz .LBB1119_1102
.LBB1119_1168:                          ;   in Loop: Header=BB1119_980 Depth=2
	ds_read_b64 v[37:38], v106 offset:16896
	s_waitcnt lgkmcnt(0)
	v_cmp_ne_u64_e64 s39, s[56:57], v[37:38]
	v_cndmask_b32_e64 v38, 0x7fffffff, v38, s39
	v_cndmask_b32_e64 v37, -1, v37, s39
	v_lshrrev_b64 v[37:38], s52, v[37:38]
	v_and_b32_e32 v157, s64, v37
	s_or_b32 exec_lo, exec_lo, s46
	s_and_saveexec_b32 s46, s31
	s_cbranch_execz .LBB1119_1103
.LBB1119_1169:                          ;   in Loop: Header=BB1119_980 Depth=2
	ds_read_b64 v[37:38], v106 offset:18944
	s_waitcnt lgkmcnt(0)
	v_cmp_ne_u64_e64 s39, s[56:57], v[37:38]
	v_cndmask_b32_e64 v38, 0x7fffffff, v38, s39
	v_cndmask_b32_e64 v37, -1, v37, s39
	v_lshrrev_b64 v[37:38], s52, v[37:38]
	v_and_b32_e32 v155, s64, v37
	s_or_b32 exec_lo, exec_lo, s46
	s_and_saveexec_b32 s46, s33
	s_cbranch_execz .LBB1119_1104
.LBB1119_1170:                          ;   in Loop: Header=BB1119_980 Depth=2
	ds_read_b64 v[37:38], v106 offset:20992
	s_waitcnt lgkmcnt(0)
	v_cmp_ne_u64_e64 s39, s[56:57], v[37:38]
	v_cndmask_b32_e64 v38, 0x7fffffff, v38, s39
	v_cndmask_b32_e64 v37, -1, v37, s39
	v_lshrrev_b64 v[37:38], s52, v[37:38]
	v_and_b32_e32 v154, s64, v37
	s_or_b32 exec_lo, exec_lo, s46
	s_and_saveexec_b32 s46, s34
	s_cbranch_execz .LBB1119_1105
.LBB1119_1171:                          ;   in Loop: Header=BB1119_980 Depth=2
	ds_read_b64 v[37:38], v106 offset:23040
	s_waitcnt lgkmcnt(0)
	v_cmp_ne_u64_e64 s39, s[56:57], v[37:38]
	v_cndmask_b32_e64 v38, 0x7fffffff, v38, s39
	v_cndmask_b32_e64 v37, -1, v37, s39
	v_lshrrev_b64 v[37:38], s52, v[37:38]
	v_and_b32_e32 v153, s64, v37
	s_or_b32 exec_lo, exec_lo, s46
	s_and_saveexec_b32 s46, s35
	s_cbranch_execz .LBB1119_1106
.LBB1119_1172:                          ;   in Loop: Header=BB1119_980 Depth=2
	ds_read_b64 v[37:38], v106 offset:25088
	s_waitcnt lgkmcnt(0)
	v_cmp_ne_u64_e64 s39, s[56:57], v[37:38]
	v_cndmask_b32_e64 v38, 0x7fffffff, v38, s39
	v_cndmask_b32_e64 v37, -1, v37, s39
	v_lshrrev_b64 v[37:38], s52, v[37:38]
	v_and_b32_e32 v152, s64, v37
	s_or_b32 exec_lo, exec_lo, s46
	s_and_saveexec_b32 s46, s36
	s_cbranch_execz .LBB1119_1107
.LBB1119_1173:                          ;   in Loop: Header=BB1119_980 Depth=2
	ds_read_b64 v[37:38], v106 offset:27136
	s_waitcnt lgkmcnt(0)
	v_cmp_ne_u64_e64 s39, s[56:57], v[37:38]
	v_cndmask_b32_e64 v38, 0x7fffffff, v38, s39
	v_cndmask_b32_e64 v37, -1, v37, s39
	v_lshrrev_b64 v[37:38], s52, v[37:38]
	v_and_b32_e32 v151, s64, v37
	s_or_b32 exec_lo, exec_lo, s46
	s_and_saveexec_b32 s46, s37
	s_cbranch_execz .LBB1119_1108
.LBB1119_1174:                          ;   in Loop: Header=BB1119_980 Depth=2
	ds_read_b64 v[37:38], v106 offset:29184
	s_waitcnt lgkmcnt(0)
	v_cmp_ne_u64_e64 s39, s[56:57], v[37:38]
	v_cndmask_b32_e64 v38, 0x7fffffff, v38, s39
	v_cndmask_b32_e64 v37, -1, v37, s39
	v_lshrrev_b64 v[37:38], s52, v[37:38]
	v_and_b32_e32 v150, s64, v37
	s_or_b32 exec_lo, exec_lo, s46
	s_and_saveexec_b32 s46, s38
	s_cbranch_execnz .LBB1119_1109
	s_branch .LBB1119_1110
.LBB1119_1175:                          ;   in Loop: Header=BB1119_980 Depth=2
	v_lshlrev_b32_e32 v3, 2, v165
	ds_read_b32 v3, v3
	ds_read_b64 v[37:38], v106 offset:512
	s_waitcnt lgkmcnt(1)
	v_add_nc_u32_e32 v3, v3, v0
	v_lshlrev_b64 v[39:40], 3, v[3:4]
	v_add_co_u32 v39, vcc_lo, s50, v39
	v_add_co_ci_u32_e64 v40, null, s51, v40, vcc_lo
	s_waitcnt lgkmcnt(0)
	global_store_dwordx2 v[39:40], v[37:38], off
	s_or_b32 exec_lo, exec_lo, s39
	s_and_saveexec_b32 s39, s22
	s_cbranch_execz .LBB1119_1112
.LBB1119_1176:                          ;   in Loop: Header=BB1119_980 Depth=2
	v_lshlrev_b32_e32 v3, 2, v164
	ds_read_b32 v3, v3
	ds_read_b64 v[37:38], v106 offset:2560
	s_waitcnt lgkmcnt(1)
	v_add_nc_u32_e32 v3, v3, v74
	v_lshlrev_b64 v[39:40], 3, v[3:4]
	v_add_co_u32 v39, vcc_lo, s50, v39
	v_add_co_ci_u32_e64 v40, null, s51, v40, vcc_lo
	s_waitcnt lgkmcnt(0)
	global_store_dwordx2 v[39:40], v[37:38], off
	s_or_b32 exec_lo, exec_lo, s39
	s_and_saveexec_b32 s22, s23
	s_cbranch_execz .LBB1119_1113
.LBB1119_1177:                          ;   in Loop: Header=BB1119_980 Depth=2
	v_lshlrev_b32_e32 v3, 2, v163
	ds_read_b32 v3, v3
	ds_read_b64 v[37:38], v106 offset:4608
	s_waitcnt lgkmcnt(1)
	v_add_nc_u32_e32 v3, v3, v77
	v_lshlrev_b64 v[39:40], 3, v[3:4]
	v_add_co_u32 v39, vcc_lo, s50, v39
	v_add_co_ci_u32_e64 v40, null, s51, v40, vcc_lo
	s_waitcnt lgkmcnt(0)
	global_store_dwordx2 v[39:40], v[37:38], off
	s_or_b32 exec_lo, exec_lo, s22
	s_and_saveexec_b32 s22, s24
	s_cbranch_execz .LBB1119_1114
.LBB1119_1178:                          ;   in Loop: Header=BB1119_980 Depth=2
	v_lshlrev_b32_e32 v3, 2, v162
	ds_read_b32 v3, v3
	ds_read_b64 v[37:38], v106 offset:6656
	s_waitcnt lgkmcnt(1)
	v_add_nc_u32_e32 v3, v3, v78
	v_lshlrev_b64 v[39:40], 3, v[3:4]
	v_add_co_u32 v39, vcc_lo, s50, v39
	v_add_co_ci_u32_e64 v40, null, s51, v40, vcc_lo
	s_waitcnt lgkmcnt(0)
	global_store_dwordx2 v[39:40], v[37:38], off
	s_or_b32 exec_lo, exec_lo, s22
	s_and_saveexec_b32 s22, s25
	s_cbranch_execz .LBB1119_1115
.LBB1119_1179:                          ;   in Loop: Header=BB1119_980 Depth=2
	v_lshlrev_b32_e32 v3, 2, v161
	ds_read_b32 v3, v3
	ds_read_b64 v[37:38], v106 offset:8704
	s_waitcnt lgkmcnt(1)
	v_add_nc_u32_e32 v3, v3, v79
	v_lshlrev_b64 v[39:40], 3, v[3:4]
	v_add_co_u32 v39, vcc_lo, s50, v39
	v_add_co_ci_u32_e64 v40, null, s51, v40, vcc_lo
	s_waitcnt lgkmcnt(0)
	global_store_dwordx2 v[39:40], v[37:38], off
	s_or_b32 exec_lo, exec_lo, s22
	s_and_saveexec_b32 s22, s26
	s_cbranch_execz .LBB1119_1116
.LBB1119_1180:                          ;   in Loop: Header=BB1119_980 Depth=2
	v_lshlrev_b32_e32 v3, 2, v160
	ds_read_b32 v3, v3
	ds_read_b64 v[37:38], v106 offset:10752
	s_waitcnt lgkmcnt(1)
	v_add_nc_u32_e32 v3, v3, v80
	v_lshlrev_b64 v[39:40], 3, v[3:4]
	v_add_co_u32 v39, vcc_lo, s50, v39
	v_add_co_ci_u32_e64 v40, null, s51, v40, vcc_lo
	s_waitcnt lgkmcnt(0)
	global_store_dwordx2 v[39:40], v[37:38], off
	s_or_b32 exec_lo, exec_lo, s22
	s_and_saveexec_b32 s22, s27
	s_cbranch_execz .LBB1119_1117
.LBB1119_1181:                          ;   in Loop: Header=BB1119_980 Depth=2
	v_lshlrev_b32_e32 v3, 2, v159
	ds_read_b32 v3, v3
	ds_read_b64 v[37:38], v106 offset:12800
	s_waitcnt lgkmcnt(1)
	v_add_nc_u32_e32 v3, v3, v81
	v_lshlrev_b64 v[39:40], 3, v[3:4]
	v_add_co_u32 v39, vcc_lo, s50, v39
	v_add_co_ci_u32_e64 v40, null, s51, v40, vcc_lo
	s_waitcnt lgkmcnt(0)
	global_store_dwordx2 v[39:40], v[37:38], off
	s_or_b32 exec_lo, exec_lo, s22
	s_and_saveexec_b32 s22, s28
	s_cbranch_execz .LBB1119_1118
.LBB1119_1182:                          ;   in Loop: Header=BB1119_980 Depth=2
	v_lshlrev_b32_e32 v3, 2, v158
	ds_read_b32 v3, v3
	ds_read_b64 v[37:38], v106 offset:14848
	s_waitcnt lgkmcnt(1)
	v_add_nc_u32_e32 v3, v3, v82
	v_lshlrev_b64 v[39:40], 3, v[3:4]
	v_add_co_u32 v39, vcc_lo, s50, v39
	v_add_co_ci_u32_e64 v40, null, s51, v40, vcc_lo
	s_waitcnt lgkmcnt(0)
	global_store_dwordx2 v[39:40], v[37:38], off
	s_or_b32 exec_lo, exec_lo, s22
	s_and_saveexec_b32 s22, s30
	s_cbranch_execz .LBB1119_1119
.LBB1119_1183:                          ;   in Loop: Header=BB1119_980 Depth=2
	v_lshlrev_b32_e32 v3, 2, v157
	ds_read_b32 v3, v3
	ds_read_b64 v[37:38], v106 offset:16896
	s_waitcnt lgkmcnt(1)
	v_add_nc_u32_e32 v3, v3, v83
	v_lshlrev_b64 v[39:40], 3, v[3:4]
	v_add_co_u32 v39, vcc_lo, s50, v39
	v_add_co_ci_u32_e64 v40, null, s51, v40, vcc_lo
	s_waitcnt lgkmcnt(0)
	global_store_dwordx2 v[39:40], v[37:38], off
	s_or_b32 exec_lo, exec_lo, s22
	s_and_saveexec_b32 s22, s31
	s_cbranch_execz .LBB1119_1120
.LBB1119_1184:                          ;   in Loop: Header=BB1119_980 Depth=2
	v_lshlrev_b32_e32 v3, 2, v155
	ds_read_b32 v3, v3
	ds_read_b64 v[37:38], v106 offset:18944
	s_waitcnt lgkmcnt(1)
	v_add_nc_u32_e32 v3, v3, v84
	v_lshlrev_b64 v[39:40], 3, v[3:4]
	v_add_co_u32 v39, vcc_lo, s50, v39
	v_add_co_ci_u32_e64 v40, null, s51, v40, vcc_lo
	s_waitcnt lgkmcnt(0)
	global_store_dwordx2 v[39:40], v[37:38], off
	s_or_b32 exec_lo, exec_lo, s22
	s_and_saveexec_b32 s22, s33
	s_cbranch_execz .LBB1119_1121
.LBB1119_1185:                          ;   in Loop: Header=BB1119_980 Depth=2
	v_lshlrev_b32_e32 v3, 2, v154
	ds_read_b32 v3, v3
	ds_read_b64 v[37:38], v106 offset:20992
	s_waitcnt lgkmcnt(1)
	v_add_nc_u32_e32 v3, v3, v85
	v_lshlrev_b64 v[39:40], 3, v[3:4]
	v_add_co_u32 v39, vcc_lo, s50, v39
	v_add_co_ci_u32_e64 v40, null, s51, v40, vcc_lo
	s_waitcnt lgkmcnt(0)
	global_store_dwordx2 v[39:40], v[37:38], off
	s_or_b32 exec_lo, exec_lo, s22
	s_and_saveexec_b32 s22, s34
	s_cbranch_execz .LBB1119_1122
.LBB1119_1186:                          ;   in Loop: Header=BB1119_980 Depth=2
	v_lshlrev_b32_e32 v3, 2, v153
	ds_read_b32 v3, v3
	ds_read_b64 v[37:38], v106 offset:23040
	s_waitcnt lgkmcnt(1)
	v_add_nc_u32_e32 v3, v3, v86
	v_lshlrev_b64 v[39:40], 3, v[3:4]
	v_add_co_u32 v39, vcc_lo, s50, v39
	v_add_co_ci_u32_e64 v40, null, s51, v40, vcc_lo
	s_waitcnt lgkmcnt(0)
	global_store_dwordx2 v[39:40], v[37:38], off
	s_or_b32 exec_lo, exec_lo, s22
	s_and_saveexec_b32 s22, s35
	s_cbranch_execz .LBB1119_1123
.LBB1119_1187:                          ;   in Loop: Header=BB1119_980 Depth=2
	v_lshlrev_b32_e32 v3, 2, v152
	ds_read_b32 v3, v3
	ds_read_b64 v[37:38], v106 offset:25088
	s_waitcnt lgkmcnt(1)
	v_add_nc_u32_e32 v3, v3, v87
	v_lshlrev_b64 v[39:40], 3, v[3:4]
	v_add_co_u32 v39, vcc_lo, s50, v39
	v_add_co_ci_u32_e64 v40, null, s51, v40, vcc_lo
	s_waitcnt lgkmcnt(0)
	global_store_dwordx2 v[39:40], v[37:38], off
	s_or_b32 exec_lo, exec_lo, s22
	s_and_saveexec_b32 s22, s36
	s_cbranch_execz .LBB1119_1124
.LBB1119_1188:                          ;   in Loop: Header=BB1119_980 Depth=2
	v_lshlrev_b32_e32 v3, 2, v151
	ds_read_b32 v3, v3
	ds_read_b64 v[37:38], v106 offset:27136
	s_waitcnt lgkmcnt(1)
	v_add_nc_u32_e32 v3, v3, v88
	v_lshlrev_b64 v[39:40], 3, v[3:4]
	v_add_co_u32 v39, vcc_lo, s50, v39
	v_add_co_ci_u32_e64 v40, null, s51, v40, vcc_lo
	s_waitcnt lgkmcnt(0)
	global_store_dwordx2 v[39:40], v[37:38], off
	s_or_b32 exec_lo, exec_lo, s22
	s_and_saveexec_b32 s22, s37
	s_cbranch_execz .LBB1119_1125
.LBB1119_1189:                          ;   in Loop: Header=BB1119_980 Depth=2
	v_lshlrev_b32_e32 v3, 2, v150
	ds_read_b32 v3, v3
	ds_read_b64 v[37:38], v106 offset:29184
	s_waitcnt lgkmcnt(1)
	v_add_nc_u32_e32 v3, v3, v89
	v_lshlrev_b64 v[39:40], 3, v[3:4]
	v_add_co_u32 v39, vcc_lo, s50, v39
	v_add_co_ci_u32_e64 v40, null, s51, v40, vcc_lo
	s_waitcnt lgkmcnt(0)
	global_store_dwordx2 v[39:40], v[37:38], off
	s_or_b32 exec_lo, exec_lo, s22
	s_and_saveexec_b32 s22, s38
	s_cbranch_execnz .LBB1119_1126
	s_branch .LBB1119_1127
.LBB1119_1190:
	s_endpgm
	.section	.rodata,"a",@progbits
	.p2align	6, 0x0
	.amdhsa_kernel _ZN7rocprim17ROCPRIM_400000_NS6detail17trampoline_kernelINS0_14default_configENS1_36segmented_radix_sort_config_selectorIdlEEZNS1_25segmented_radix_sort_implIS3_Lb1EPKdPdPKlPlN2at6native12_GLOBAL__N_18offset_tEEE10hipError_tPvRmT1_PNSt15iterator_traitsISK_E10value_typeET2_T3_PNSL_ISQ_E10value_typeET4_jRbjT5_SW_jjP12ihipStream_tbEUlT_E_NS1_11comp_targetILNS1_3genE8ELNS1_11target_archE1030ELNS1_3gpuE2ELNS1_3repE0EEENS1_30default_config_static_selectorELNS0_4arch9wavefront6targetE0EEEvSK_
		.amdhsa_group_segment_fixed_size 33296
		.amdhsa_private_segment_fixed_size 176
		.amdhsa_kernarg_size 352
		.amdhsa_user_sgpr_count 6
		.amdhsa_user_sgpr_private_segment_buffer 1
		.amdhsa_user_sgpr_dispatch_ptr 0
		.amdhsa_user_sgpr_queue_ptr 0
		.amdhsa_user_sgpr_kernarg_segment_ptr 1
		.amdhsa_user_sgpr_dispatch_id 0
		.amdhsa_user_sgpr_flat_scratch_init 0
		.amdhsa_user_sgpr_private_segment_size 0
		.amdhsa_wavefront_size32 1
		.amdhsa_uses_dynamic_stack 0
		.amdhsa_system_sgpr_private_segment_wavefront_offset 1
		.amdhsa_system_sgpr_workgroup_id_x 1
		.amdhsa_system_sgpr_workgroup_id_y 1
		.amdhsa_system_sgpr_workgroup_id_z 0
		.amdhsa_system_sgpr_workgroup_info 0
		.amdhsa_system_vgpr_workitem_id 2
		.amdhsa_next_free_vgpr 248
		.amdhsa_next_free_sgpr 68
		.amdhsa_reserve_vcc 1
		.amdhsa_reserve_flat_scratch 0
		.amdhsa_float_round_mode_32 0
		.amdhsa_float_round_mode_16_64 0
		.amdhsa_float_denorm_mode_32 3
		.amdhsa_float_denorm_mode_16_64 3
		.amdhsa_dx10_clamp 1
		.amdhsa_ieee_mode 1
		.amdhsa_fp16_overflow 0
		.amdhsa_workgroup_processor_mode 1
		.amdhsa_memory_ordered 1
		.amdhsa_forward_progress 1
		.amdhsa_shared_vgpr_count 0
		.amdhsa_exception_fp_ieee_invalid_op 0
		.amdhsa_exception_fp_denorm_src 0
		.amdhsa_exception_fp_ieee_div_zero 0
		.amdhsa_exception_fp_ieee_overflow 0
		.amdhsa_exception_fp_ieee_underflow 0
		.amdhsa_exception_fp_ieee_inexact 0
		.amdhsa_exception_int_div_zero 0
	.end_amdhsa_kernel
	.section	.text._ZN7rocprim17ROCPRIM_400000_NS6detail17trampoline_kernelINS0_14default_configENS1_36segmented_radix_sort_config_selectorIdlEEZNS1_25segmented_radix_sort_implIS3_Lb1EPKdPdPKlPlN2at6native12_GLOBAL__N_18offset_tEEE10hipError_tPvRmT1_PNSt15iterator_traitsISK_E10value_typeET2_T3_PNSL_ISQ_E10value_typeET4_jRbjT5_SW_jjP12ihipStream_tbEUlT_E_NS1_11comp_targetILNS1_3genE8ELNS1_11target_archE1030ELNS1_3gpuE2ELNS1_3repE0EEENS1_30default_config_static_selectorELNS0_4arch9wavefront6targetE0EEEvSK_,"axG",@progbits,_ZN7rocprim17ROCPRIM_400000_NS6detail17trampoline_kernelINS0_14default_configENS1_36segmented_radix_sort_config_selectorIdlEEZNS1_25segmented_radix_sort_implIS3_Lb1EPKdPdPKlPlN2at6native12_GLOBAL__N_18offset_tEEE10hipError_tPvRmT1_PNSt15iterator_traitsISK_E10value_typeET2_T3_PNSL_ISQ_E10value_typeET4_jRbjT5_SW_jjP12ihipStream_tbEUlT_E_NS1_11comp_targetILNS1_3genE8ELNS1_11target_archE1030ELNS1_3gpuE2ELNS1_3repE0EEENS1_30default_config_static_selectorELNS0_4arch9wavefront6targetE0EEEvSK_,comdat
.Lfunc_end1119:
	.size	_ZN7rocprim17ROCPRIM_400000_NS6detail17trampoline_kernelINS0_14default_configENS1_36segmented_radix_sort_config_selectorIdlEEZNS1_25segmented_radix_sort_implIS3_Lb1EPKdPdPKlPlN2at6native12_GLOBAL__N_18offset_tEEE10hipError_tPvRmT1_PNSt15iterator_traitsISK_E10value_typeET2_T3_PNSL_ISQ_E10value_typeET4_jRbjT5_SW_jjP12ihipStream_tbEUlT_E_NS1_11comp_targetILNS1_3genE8ELNS1_11target_archE1030ELNS1_3gpuE2ELNS1_3repE0EEENS1_30default_config_static_selectorELNS0_4arch9wavefront6targetE0EEEvSK_, .Lfunc_end1119-_ZN7rocprim17ROCPRIM_400000_NS6detail17trampoline_kernelINS0_14default_configENS1_36segmented_radix_sort_config_selectorIdlEEZNS1_25segmented_radix_sort_implIS3_Lb1EPKdPdPKlPlN2at6native12_GLOBAL__N_18offset_tEEE10hipError_tPvRmT1_PNSt15iterator_traitsISK_E10value_typeET2_T3_PNSL_ISQ_E10value_typeET4_jRbjT5_SW_jjP12ihipStream_tbEUlT_E_NS1_11comp_targetILNS1_3genE8ELNS1_11target_archE1030ELNS1_3gpuE2ELNS1_3repE0EEENS1_30default_config_static_selectorELNS0_4arch9wavefront6targetE0EEEvSK_
                                        ; -- End function
	.set _ZN7rocprim17ROCPRIM_400000_NS6detail17trampoline_kernelINS0_14default_configENS1_36segmented_radix_sort_config_selectorIdlEEZNS1_25segmented_radix_sort_implIS3_Lb1EPKdPdPKlPlN2at6native12_GLOBAL__N_18offset_tEEE10hipError_tPvRmT1_PNSt15iterator_traitsISK_E10value_typeET2_T3_PNSL_ISQ_E10value_typeET4_jRbjT5_SW_jjP12ihipStream_tbEUlT_E_NS1_11comp_targetILNS1_3genE8ELNS1_11target_archE1030ELNS1_3gpuE2ELNS1_3repE0EEENS1_30default_config_static_selectorELNS0_4arch9wavefront6targetE0EEEvSK_.num_vgpr, max(218, .L_ZN7rocprim17ROCPRIM_400000_NS6detail40segmented_radix_sort_single_block_helperIdlLj256ELj16ELb1EE4sortIPKdPdPKlPlEEbT_T0_T1_T2_jjjjRNS3_12storage_typeE.num_vgpr)
	.set _ZN7rocprim17ROCPRIM_400000_NS6detail17trampoline_kernelINS0_14default_configENS1_36segmented_radix_sort_config_selectorIdlEEZNS1_25segmented_radix_sort_implIS3_Lb1EPKdPdPKlPlN2at6native12_GLOBAL__N_18offset_tEEE10hipError_tPvRmT1_PNSt15iterator_traitsISK_E10value_typeET2_T3_PNSL_ISQ_E10value_typeET4_jRbjT5_SW_jjP12ihipStream_tbEUlT_E_NS1_11comp_targetILNS1_3genE8ELNS1_11target_archE1030ELNS1_3gpuE2ELNS1_3repE0EEENS1_30default_config_static_selectorELNS0_4arch9wavefront6targetE0EEEvSK_.num_agpr, max(0, .L_ZN7rocprim17ROCPRIM_400000_NS6detail40segmented_radix_sort_single_block_helperIdlLj256ELj16ELb1EE4sortIPKdPdPKlPlEEbT_T0_T1_T2_jjjjRNS3_12storage_typeE.num_agpr)
	.set _ZN7rocprim17ROCPRIM_400000_NS6detail17trampoline_kernelINS0_14default_configENS1_36segmented_radix_sort_config_selectorIdlEEZNS1_25segmented_radix_sort_implIS3_Lb1EPKdPdPKlPlN2at6native12_GLOBAL__N_18offset_tEEE10hipError_tPvRmT1_PNSt15iterator_traitsISK_E10value_typeET2_T3_PNSL_ISQ_E10value_typeET4_jRbjT5_SW_jjP12ihipStream_tbEUlT_E_NS1_11comp_targetILNS1_3genE8ELNS1_11target_archE1030ELNS1_3gpuE2ELNS1_3repE0EEENS1_30default_config_static_selectorELNS0_4arch9wavefront6targetE0EEEvSK_.numbered_sgpr, max(68, .L_ZN7rocprim17ROCPRIM_400000_NS6detail40segmented_radix_sort_single_block_helperIdlLj256ELj16ELb1EE4sortIPKdPdPKlPlEEbT_T0_T1_T2_jjjjRNS3_12storage_typeE.numbered_sgpr)
	.set _ZN7rocprim17ROCPRIM_400000_NS6detail17trampoline_kernelINS0_14default_configENS1_36segmented_radix_sort_config_selectorIdlEEZNS1_25segmented_radix_sort_implIS3_Lb1EPKdPdPKlPlN2at6native12_GLOBAL__N_18offset_tEEE10hipError_tPvRmT1_PNSt15iterator_traitsISK_E10value_typeET2_T3_PNSL_ISQ_E10value_typeET4_jRbjT5_SW_jjP12ihipStream_tbEUlT_E_NS1_11comp_targetILNS1_3genE8ELNS1_11target_archE1030ELNS1_3gpuE2ELNS1_3repE0EEENS1_30default_config_static_selectorELNS0_4arch9wavefront6targetE0EEEvSK_.num_named_barrier, max(0, .L_ZN7rocprim17ROCPRIM_400000_NS6detail40segmented_radix_sort_single_block_helperIdlLj256ELj16ELb1EE4sortIPKdPdPKlPlEEbT_T0_T1_T2_jjjjRNS3_12storage_typeE.num_named_barrier)
	.set _ZN7rocprim17ROCPRIM_400000_NS6detail17trampoline_kernelINS0_14default_configENS1_36segmented_radix_sort_config_selectorIdlEEZNS1_25segmented_radix_sort_implIS3_Lb1EPKdPdPKlPlN2at6native12_GLOBAL__N_18offset_tEEE10hipError_tPvRmT1_PNSt15iterator_traitsISK_E10value_typeET2_T3_PNSL_ISQ_E10value_typeET4_jRbjT5_SW_jjP12ihipStream_tbEUlT_E_NS1_11comp_targetILNS1_3genE8ELNS1_11target_archE1030ELNS1_3gpuE2ELNS1_3repE0EEENS1_30default_config_static_selectorELNS0_4arch9wavefront6targetE0EEEvSK_.private_seg_size, 0+max(.L_ZN7rocprim17ROCPRIM_400000_NS6detail40segmented_radix_sort_single_block_helperIdlLj256ELj16ELb1EE4sortIPKdPdPKlPlEEbT_T0_T1_T2_jjjjRNS3_12storage_typeE.private_seg_size)
	.set _ZN7rocprim17ROCPRIM_400000_NS6detail17trampoline_kernelINS0_14default_configENS1_36segmented_radix_sort_config_selectorIdlEEZNS1_25segmented_radix_sort_implIS3_Lb1EPKdPdPKlPlN2at6native12_GLOBAL__N_18offset_tEEE10hipError_tPvRmT1_PNSt15iterator_traitsISK_E10value_typeET2_T3_PNSL_ISQ_E10value_typeET4_jRbjT5_SW_jjP12ihipStream_tbEUlT_E_NS1_11comp_targetILNS1_3genE8ELNS1_11target_archE1030ELNS1_3gpuE2ELNS1_3repE0EEENS1_30default_config_static_selectorELNS0_4arch9wavefront6targetE0EEEvSK_.uses_vcc, or(1, .L_ZN7rocprim17ROCPRIM_400000_NS6detail40segmented_radix_sort_single_block_helperIdlLj256ELj16ELb1EE4sortIPKdPdPKlPlEEbT_T0_T1_T2_jjjjRNS3_12storage_typeE.uses_vcc)
	.set _ZN7rocprim17ROCPRIM_400000_NS6detail17trampoline_kernelINS0_14default_configENS1_36segmented_radix_sort_config_selectorIdlEEZNS1_25segmented_radix_sort_implIS3_Lb1EPKdPdPKlPlN2at6native12_GLOBAL__N_18offset_tEEE10hipError_tPvRmT1_PNSt15iterator_traitsISK_E10value_typeET2_T3_PNSL_ISQ_E10value_typeET4_jRbjT5_SW_jjP12ihipStream_tbEUlT_E_NS1_11comp_targetILNS1_3genE8ELNS1_11target_archE1030ELNS1_3gpuE2ELNS1_3repE0EEENS1_30default_config_static_selectorELNS0_4arch9wavefront6targetE0EEEvSK_.uses_flat_scratch, or(0, .L_ZN7rocprim17ROCPRIM_400000_NS6detail40segmented_radix_sort_single_block_helperIdlLj256ELj16ELb1EE4sortIPKdPdPKlPlEEbT_T0_T1_T2_jjjjRNS3_12storage_typeE.uses_flat_scratch)
	.set _ZN7rocprim17ROCPRIM_400000_NS6detail17trampoline_kernelINS0_14default_configENS1_36segmented_radix_sort_config_selectorIdlEEZNS1_25segmented_radix_sort_implIS3_Lb1EPKdPdPKlPlN2at6native12_GLOBAL__N_18offset_tEEE10hipError_tPvRmT1_PNSt15iterator_traitsISK_E10value_typeET2_T3_PNSL_ISQ_E10value_typeET4_jRbjT5_SW_jjP12ihipStream_tbEUlT_E_NS1_11comp_targetILNS1_3genE8ELNS1_11target_archE1030ELNS1_3gpuE2ELNS1_3repE0EEENS1_30default_config_static_selectorELNS0_4arch9wavefront6targetE0EEEvSK_.has_dyn_sized_stack, or(0, .L_ZN7rocprim17ROCPRIM_400000_NS6detail40segmented_radix_sort_single_block_helperIdlLj256ELj16ELb1EE4sortIPKdPdPKlPlEEbT_T0_T1_T2_jjjjRNS3_12storage_typeE.has_dyn_sized_stack)
	.set _ZN7rocprim17ROCPRIM_400000_NS6detail17trampoline_kernelINS0_14default_configENS1_36segmented_radix_sort_config_selectorIdlEEZNS1_25segmented_radix_sort_implIS3_Lb1EPKdPdPKlPlN2at6native12_GLOBAL__N_18offset_tEEE10hipError_tPvRmT1_PNSt15iterator_traitsISK_E10value_typeET2_T3_PNSL_ISQ_E10value_typeET4_jRbjT5_SW_jjP12ihipStream_tbEUlT_E_NS1_11comp_targetILNS1_3genE8ELNS1_11target_archE1030ELNS1_3gpuE2ELNS1_3repE0EEENS1_30default_config_static_selectorELNS0_4arch9wavefront6targetE0EEEvSK_.has_recursion, or(0, .L_ZN7rocprim17ROCPRIM_400000_NS6detail40segmented_radix_sort_single_block_helperIdlLj256ELj16ELb1EE4sortIPKdPdPKlPlEEbT_T0_T1_T2_jjjjRNS3_12storage_typeE.has_recursion)
	.set _ZN7rocprim17ROCPRIM_400000_NS6detail17trampoline_kernelINS0_14default_configENS1_36segmented_radix_sort_config_selectorIdlEEZNS1_25segmented_radix_sort_implIS3_Lb1EPKdPdPKlPlN2at6native12_GLOBAL__N_18offset_tEEE10hipError_tPvRmT1_PNSt15iterator_traitsISK_E10value_typeET2_T3_PNSL_ISQ_E10value_typeET4_jRbjT5_SW_jjP12ihipStream_tbEUlT_E_NS1_11comp_targetILNS1_3genE8ELNS1_11target_archE1030ELNS1_3gpuE2ELNS1_3repE0EEENS1_30default_config_static_selectorELNS0_4arch9wavefront6targetE0EEEvSK_.has_indirect_call, or(0, .L_ZN7rocprim17ROCPRIM_400000_NS6detail40segmented_radix_sort_single_block_helperIdlLj256ELj16ELb1EE4sortIPKdPdPKlPlEEbT_T0_T1_T2_jjjjRNS3_12storage_typeE.has_indirect_call)
	.section	.AMDGPU.csdata,"",@progbits
; Kernel info:
; codeLenInByte = 73752
; TotalNumSgprs: 70
; NumVgprs: 248
; ScratchSize: 176
; MemoryBound: 0
; FloatMode: 240
; IeeeMode: 1
; LDSByteSize: 33296 bytes/workgroup (compile time only)
; SGPRBlocks: 0
; VGPRBlocks: 30
; NumSGPRsForWavesPerEU: 70
; NumVGPRsForWavesPerEU: 248
; Occupancy: 4
; WaveLimiterHint : 1
; COMPUTE_PGM_RSRC2:SCRATCH_EN: 1
; COMPUTE_PGM_RSRC2:USER_SGPR: 6
; COMPUTE_PGM_RSRC2:TRAP_HANDLER: 0
; COMPUTE_PGM_RSRC2:TGID_X_EN: 1
; COMPUTE_PGM_RSRC2:TGID_Y_EN: 1
; COMPUTE_PGM_RSRC2:TGID_Z_EN: 0
; COMPUTE_PGM_RSRC2:TIDIG_COMP_CNT: 2
	.section	.text._ZN7rocprim17ROCPRIM_400000_NS6detail17trampoline_kernelINS0_14default_configENS1_36segmented_radix_sort_config_selectorIdlEEZNS1_25segmented_radix_sort_implIS3_Lb1EPKdPdPKlPlN2at6native12_GLOBAL__N_18offset_tEEE10hipError_tPvRmT1_PNSt15iterator_traitsISK_E10value_typeET2_T3_PNSL_ISQ_E10value_typeET4_jRbjT5_SW_jjP12ihipStream_tbEUlT_E0_NS1_11comp_targetILNS1_3genE0ELNS1_11target_archE4294967295ELNS1_3gpuE0ELNS1_3repE0EEENS1_60segmented_radix_sort_warp_sort_medium_config_static_selectorELNS0_4arch9wavefront6targetE0EEEvSK_,"axG",@progbits,_ZN7rocprim17ROCPRIM_400000_NS6detail17trampoline_kernelINS0_14default_configENS1_36segmented_radix_sort_config_selectorIdlEEZNS1_25segmented_radix_sort_implIS3_Lb1EPKdPdPKlPlN2at6native12_GLOBAL__N_18offset_tEEE10hipError_tPvRmT1_PNSt15iterator_traitsISK_E10value_typeET2_T3_PNSL_ISQ_E10value_typeET4_jRbjT5_SW_jjP12ihipStream_tbEUlT_E0_NS1_11comp_targetILNS1_3genE0ELNS1_11target_archE4294967295ELNS1_3gpuE0ELNS1_3repE0EEENS1_60segmented_radix_sort_warp_sort_medium_config_static_selectorELNS0_4arch9wavefront6targetE0EEEvSK_,comdat
	.globl	_ZN7rocprim17ROCPRIM_400000_NS6detail17trampoline_kernelINS0_14default_configENS1_36segmented_radix_sort_config_selectorIdlEEZNS1_25segmented_radix_sort_implIS3_Lb1EPKdPdPKlPlN2at6native12_GLOBAL__N_18offset_tEEE10hipError_tPvRmT1_PNSt15iterator_traitsISK_E10value_typeET2_T3_PNSL_ISQ_E10value_typeET4_jRbjT5_SW_jjP12ihipStream_tbEUlT_E0_NS1_11comp_targetILNS1_3genE0ELNS1_11target_archE4294967295ELNS1_3gpuE0ELNS1_3repE0EEENS1_60segmented_radix_sort_warp_sort_medium_config_static_selectorELNS0_4arch9wavefront6targetE0EEEvSK_ ; -- Begin function _ZN7rocprim17ROCPRIM_400000_NS6detail17trampoline_kernelINS0_14default_configENS1_36segmented_radix_sort_config_selectorIdlEEZNS1_25segmented_radix_sort_implIS3_Lb1EPKdPdPKlPlN2at6native12_GLOBAL__N_18offset_tEEE10hipError_tPvRmT1_PNSt15iterator_traitsISK_E10value_typeET2_T3_PNSL_ISQ_E10value_typeET4_jRbjT5_SW_jjP12ihipStream_tbEUlT_E0_NS1_11comp_targetILNS1_3genE0ELNS1_11target_archE4294967295ELNS1_3gpuE0ELNS1_3repE0EEENS1_60segmented_radix_sort_warp_sort_medium_config_static_selectorELNS0_4arch9wavefront6targetE0EEEvSK_
	.p2align	8
	.type	_ZN7rocprim17ROCPRIM_400000_NS6detail17trampoline_kernelINS0_14default_configENS1_36segmented_radix_sort_config_selectorIdlEEZNS1_25segmented_radix_sort_implIS3_Lb1EPKdPdPKlPlN2at6native12_GLOBAL__N_18offset_tEEE10hipError_tPvRmT1_PNSt15iterator_traitsISK_E10value_typeET2_T3_PNSL_ISQ_E10value_typeET4_jRbjT5_SW_jjP12ihipStream_tbEUlT_E0_NS1_11comp_targetILNS1_3genE0ELNS1_11target_archE4294967295ELNS1_3gpuE0ELNS1_3repE0EEENS1_60segmented_radix_sort_warp_sort_medium_config_static_selectorELNS0_4arch9wavefront6targetE0EEEvSK_,@function
_ZN7rocprim17ROCPRIM_400000_NS6detail17trampoline_kernelINS0_14default_configENS1_36segmented_radix_sort_config_selectorIdlEEZNS1_25segmented_radix_sort_implIS3_Lb1EPKdPdPKlPlN2at6native12_GLOBAL__N_18offset_tEEE10hipError_tPvRmT1_PNSt15iterator_traitsISK_E10value_typeET2_T3_PNSL_ISQ_E10value_typeET4_jRbjT5_SW_jjP12ihipStream_tbEUlT_E0_NS1_11comp_targetILNS1_3genE0ELNS1_11target_archE4294967295ELNS1_3gpuE0ELNS1_3repE0EEENS1_60segmented_radix_sort_warp_sort_medium_config_static_selectorELNS0_4arch9wavefront6targetE0EEEvSK_: ; @_ZN7rocprim17ROCPRIM_400000_NS6detail17trampoline_kernelINS0_14default_configENS1_36segmented_radix_sort_config_selectorIdlEEZNS1_25segmented_radix_sort_implIS3_Lb1EPKdPdPKlPlN2at6native12_GLOBAL__N_18offset_tEEE10hipError_tPvRmT1_PNSt15iterator_traitsISK_E10value_typeET2_T3_PNSL_ISQ_E10value_typeET4_jRbjT5_SW_jjP12ihipStream_tbEUlT_E0_NS1_11comp_targetILNS1_3genE0ELNS1_11target_archE4294967295ELNS1_3gpuE0ELNS1_3repE0EEENS1_60segmented_radix_sort_warp_sort_medium_config_static_selectorELNS0_4arch9wavefront6targetE0EEEvSK_
; %bb.0:
	.section	.rodata,"a",@progbits
	.p2align	6, 0x0
	.amdhsa_kernel _ZN7rocprim17ROCPRIM_400000_NS6detail17trampoline_kernelINS0_14default_configENS1_36segmented_radix_sort_config_selectorIdlEEZNS1_25segmented_radix_sort_implIS3_Lb1EPKdPdPKlPlN2at6native12_GLOBAL__N_18offset_tEEE10hipError_tPvRmT1_PNSt15iterator_traitsISK_E10value_typeET2_T3_PNSL_ISQ_E10value_typeET4_jRbjT5_SW_jjP12ihipStream_tbEUlT_E0_NS1_11comp_targetILNS1_3genE0ELNS1_11target_archE4294967295ELNS1_3gpuE0ELNS1_3repE0EEENS1_60segmented_radix_sort_warp_sort_medium_config_static_selectorELNS0_4arch9wavefront6targetE0EEEvSK_
		.amdhsa_group_segment_fixed_size 0
		.amdhsa_private_segment_fixed_size 0
		.amdhsa_kernarg_size 88
		.amdhsa_user_sgpr_count 6
		.amdhsa_user_sgpr_private_segment_buffer 1
		.amdhsa_user_sgpr_dispatch_ptr 0
		.amdhsa_user_sgpr_queue_ptr 0
		.amdhsa_user_sgpr_kernarg_segment_ptr 1
		.amdhsa_user_sgpr_dispatch_id 0
		.amdhsa_user_sgpr_flat_scratch_init 0
		.amdhsa_user_sgpr_private_segment_size 0
		.amdhsa_wavefront_size32 1
		.amdhsa_uses_dynamic_stack 0
		.amdhsa_system_sgpr_private_segment_wavefront_offset 0
		.amdhsa_system_sgpr_workgroup_id_x 1
		.amdhsa_system_sgpr_workgroup_id_y 0
		.amdhsa_system_sgpr_workgroup_id_z 0
		.amdhsa_system_sgpr_workgroup_info 0
		.amdhsa_system_vgpr_workitem_id 0
		.amdhsa_next_free_vgpr 1
		.amdhsa_next_free_sgpr 1
		.amdhsa_reserve_vcc 0
		.amdhsa_reserve_flat_scratch 0
		.amdhsa_float_round_mode_32 0
		.amdhsa_float_round_mode_16_64 0
		.amdhsa_float_denorm_mode_32 3
		.amdhsa_float_denorm_mode_16_64 3
		.amdhsa_dx10_clamp 1
		.amdhsa_ieee_mode 1
		.amdhsa_fp16_overflow 0
		.amdhsa_workgroup_processor_mode 1
		.amdhsa_memory_ordered 1
		.amdhsa_forward_progress 1
		.amdhsa_shared_vgpr_count 0
		.amdhsa_exception_fp_ieee_invalid_op 0
		.amdhsa_exception_fp_denorm_src 0
		.amdhsa_exception_fp_ieee_div_zero 0
		.amdhsa_exception_fp_ieee_overflow 0
		.amdhsa_exception_fp_ieee_underflow 0
		.amdhsa_exception_fp_ieee_inexact 0
		.amdhsa_exception_int_div_zero 0
	.end_amdhsa_kernel
	.section	.text._ZN7rocprim17ROCPRIM_400000_NS6detail17trampoline_kernelINS0_14default_configENS1_36segmented_radix_sort_config_selectorIdlEEZNS1_25segmented_radix_sort_implIS3_Lb1EPKdPdPKlPlN2at6native12_GLOBAL__N_18offset_tEEE10hipError_tPvRmT1_PNSt15iterator_traitsISK_E10value_typeET2_T3_PNSL_ISQ_E10value_typeET4_jRbjT5_SW_jjP12ihipStream_tbEUlT_E0_NS1_11comp_targetILNS1_3genE0ELNS1_11target_archE4294967295ELNS1_3gpuE0ELNS1_3repE0EEENS1_60segmented_radix_sort_warp_sort_medium_config_static_selectorELNS0_4arch9wavefront6targetE0EEEvSK_,"axG",@progbits,_ZN7rocprim17ROCPRIM_400000_NS6detail17trampoline_kernelINS0_14default_configENS1_36segmented_radix_sort_config_selectorIdlEEZNS1_25segmented_radix_sort_implIS3_Lb1EPKdPdPKlPlN2at6native12_GLOBAL__N_18offset_tEEE10hipError_tPvRmT1_PNSt15iterator_traitsISK_E10value_typeET2_T3_PNSL_ISQ_E10value_typeET4_jRbjT5_SW_jjP12ihipStream_tbEUlT_E0_NS1_11comp_targetILNS1_3genE0ELNS1_11target_archE4294967295ELNS1_3gpuE0ELNS1_3repE0EEENS1_60segmented_radix_sort_warp_sort_medium_config_static_selectorELNS0_4arch9wavefront6targetE0EEEvSK_,comdat
.Lfunc_end1120:
	.size	_ZN7rocprim17ROCPRIM_400000_NS6detail17trampoline_kernelINS0_14default_configENS1_36segmented_radix_sort_config_selectorIdlEEZNS1_25segmented_radix_sort_implIS3_Lb1EPKdPdPKlPlN2at6native12_GLOBAL__N_18offset_tEEE10hipError_tPvRmT1_PNSt15iterator_traitsISK_E10value_typeET2_T3_PNSL_ISQ_E10value_typeET4_jRbjT5_SW_jjP12ihipStream_tbEUlT_E0_NS1_11comp_targetILNS1_3genE0ELNS1_11target_archE4294967295ELNS1_3gpuE0ELNS1_3repE0EEENS1_60segmented_radix_sort_warp_sort_medium_config_static_selectorELNS0_4arch9wavefront6targetE0EEEvSK_, .Lfunc_end1120-_ZN7rocprim17ROCPRIM_400000_NS6detail17trampoline_kernelINS0_14default_configENS1_36segmented_radix_sort_config_selectorIdlEEZNS1_25segmented_radix_sort_implIS3_Lb1EPKdPdPKlPlN2at6native12_GLOBAL__N_18offset_tEEE10hipError_tPvRmT1_PNSt15iterator_traitsISK_E10value_typeET2_T3_PNSL_ISQ_E10value_typeET4_jRbjT5_SW_jjP12ihipStream_tbEUlT_E0_NS1_11comp_targetILNS1_3genE0ELNS1_11target_archE4294967295ELNS1_3gpuE0ELNS1_3repE0EEENS1_60segmented_radix_sort_warp_sort_medium_config_static_selectorELNS0_4arch9wavefront6targetE0EEEvSK_
                                        ; -- End function
	.set _ZN7rocprim17ROCPRIM_400000_NS6detail17trampoline_kernelINS0_14default_configENS1_36segmented_radix_sort_config_selectorIdlEEZNS1_25segmented_radix_sort_implIS3_Lb1EPKdPdPKlPlN2at6native12_GLOBAL__N_18offset_tEEE10hipError_tPvRmT1_PNSt15iterator_traitsISK_E10value_typeET2_T3_PNSL_ISQ_E10value_typeET4_jRbjT5_SW_jjP12ihipStream_tbEUlT_E0_NS1_11comp_targetILNS1_3genE0ELNS1_11target_archE4294967295ELNS1_3gpuE0ELNS1_3repE0EEENS1_60segmented_radix_sort_warp_sort_medium_config_static_selectorELNS0_4arch9wavefront6targetE0EEEvSK_.num_vgpr, 0
	.set _ZN7rocprim17ROCPRIM_400000_NS6detail17trampoline_kernelINS0_14default_configENS1_36segmented_radix_sort_config_selectorIdlEEZNS1_25segmented_radix_sort_implIS3_Lb1EPKdPdPKlPlN2at6native12_GLOBAL__N_18offset_tEEE10hipError_tPvRmT1_PNSt15iterator_traitsISK_E10value_typeET2_T3_PNSL_ISQ_E10value_typeET4_jRbjT5_SW_jjP12ihipStream_tbEUlT_E0_NS1_11comp_targetILNS1_3genE0ELNS1_11target_archE4294967295ELNS1_3gpuE0ELNS1_3repE0EEENS1_60segmented_radix_sort_warp_sort_medium_config_static_selectorELNS0_4arch9wavefront6targetE0EEEvSK_.num_agpr, 0
	.set _ZN7rocprim17ROCPRIM_400000_NS6detail17trampoline_kernelINS0_14default_configENS1_36segmented_radix_sort_config_selectorIdlEEZNS1_25segmented_radix_sort_implIS3_Lb1EPKdPdPKlPlN2at6native12_GLOBAL__N_18offset_tEEE10hipError_tPvRmT1_PNSt15iterator_traitsISK_E10value_typeET2_T3_PNSL_ISQ_E10value_typeET4_jRbjT5_SW_jjP12ihipStream_tbEUlT_E0_NS1_11comp_targetILNS1_3genE0ELNS1_11target_archE4294967295ELNS1_3gpuE0ELNS1_3repE0EEENS1_60segmented_radix_sort_warp_sort_medium_config_static_selectorELNS0_4arch9wavefront6targetE0EEEvSK_.numbered_sgpr, 0
	.set _ZN7rocprim17ROCPRIM_400000_NS6detail17trampoline_kernelINS0_14default_configENS1_36segmented_radix_sort_config_selectorIdlEEZNS1_25segmented_radix_sort_implIS3_Lb1EPKdPdPKlPlN2at6native12_GLOBAL__N_18offset_tEEE10hipError_tPvRmT1_PNSt15iterator_traitsISK_E10value_typeET2_T3_PNSL_ISQ_E10value_typeET4_jRbjT5_SW_jjP12ihipStream_tbEUlT_E0_NS1_11comp_targetILNS1_3genE0ELNS1_11target_archE4294967295ELNS1_3gpuE0ELNS1_3repE0EEENS1_60segmented_radix_sort_warp_sort_medium_config_static_selectorELNS0_4arch9wavefront6targetE0EEEvSK_.num_named_barrier, 0
	.set _ZN7rocprim17ROCPRIM_400000_NS6detail17trampoline_kernelINS0_14default_configENS1_36segmented_radix_sort_config_selectorIdlEEZNS1_25segmented_radix_sort_implIS3_Lb1EPKdPdPKlPlN2at6native12_GLOBAL__N_18offset_tEEE10hipError_tPvRmT1_PNSt15iterator_traitsISK_E10value_typeET2_T3_PNSL_ISQ_E10value_typeET4_jRbjT5_SW_jjP12ihipStream_tbEUlT_E0_NS1_11comp_targetILNS1_3genE0ELNS1_11target_archE4294967295ELNS1_3gpuE0ELNS1_3repE0EEENS1_60segmented_radix_sort_warp_sort_medium_config_static_selectorELNS0_4arch9wavefront6targetE0EEEvSK_.private_seg_size, 0
	.set _ZN7rocprim17ROCPRIM_400000_NS6detail17trampoline_kernelINS0_14default_configENS1_36segmented_radix_sort_config_selectorIdlEEZNS1_25segmented_radix_sort_implIS3_Lb1EPKdPdPKlPlN2at6native12_GLOBAL__N_18offset_tEEE10hipError_tPvRmT1_PNSt15iterator_traitsISK_E10value_typeET2_T3_PNSL_ISQ_E10value_typeET4_jRbjT5_SW_jjP12ihipStream_tbEUlT_E0_NS1_11comp_targetILNS1_3genE0ELNS1_11target_archE4294967295ELNS1_3gpuE0ELNS1_3repE0EEENS1_60segmented_radix_sort_warp_sort_medium_config_static_selectorELNS0_4arch9wavefront6targetE0EEEvSK_.uses_vcc, 0
	.set _ZN7rocprim17ROCPRIM_400000_NS6detail17trampoline_kernelINS0_14default_configENS1_36segmented_radix_sort_config_selectorIdlEEZNS1_25segmented_radix_sort_implIS3_Lb1EPKdPdPKlPlN2at6native12_GLOBAL__N_18offset_tEEE10hipError_tPvRmT1_PNSt15iterator_traitsISK_E10value_typeET2_T3_PNSL_ISQ_E10value_typeET4_jRbjT5_SW_jjP12ihipStream_tbEUlT_E0_NS1_11comp_targetILNS1_3genE0ELNS1_11target_archE4294967295ELNS1_3gpuE0ELNS1_3repE0EEENS1_60segmented_radix_sort_warp_sort_medium_config_static_selectorELNS0_4arch9wavefront6targetE0EEEvSK_.uses_flat_scratch, 0
	.set _ZN7rocprim17ROCPRIM_400000_NS6detail17trampoline_kernelINS0_14default_configENS1_36segmented_radix_sort_config_selectorIdlEEZNS1_25segmented_radix_sort_implIS3_Lb1EPKdPdPKlPlN2at6native12_GLOBAL__N_18offset_tEEE10hipError_tPvRmT1_PNSt15iterator_traitsISK_E10value_typeET2_T3_PNSL_ISQ_E10value_typeET4_jRbjT5_SW_jjP12ihipStream_tbEUlT_E0_NS1_11comp_targetILNS1_3genE0ELNS1_11target_archE4294967295ELNS1_3gpuE0ELNS1_3repE0EEENS1_60segmented_radix_sort_warp_sort_medium_config_static_selectorELNS0_4arch9wavefront6targetE0EEEvSK_.has_dyn_sized_stack, 0
	.set _ZN7rocprim17ROCPRIM_400000_NS6detail17trampoline_kernelINS0_14default_configENS1_36segmented_radix_sort_config_selectorIdlEEZNS1_25segmented_radix_sort_implIS3_Lb1EPKdPdPKlPlN2at6native12_GLOBAL__N_18offset_tEEE10hipError_tPvRmT1_PNSt15iterator_traitsISK_E10value_typeET2_T3_PNSL_ISQ_E10value_typeET4_jRbjT5_SW_jjP12ihipStream_tbEUlT_E0_NS1_11comp_targetILNS1_3genE0ELNS1_11target_archE4294967295ELNS1_3gpuE0ELNS1_3repE0EEENS1_60segmented_radix_sort_warp_sort_medium_config_static_selectorELNS0_4arch9wavefront6targetE0EEEvSK_.has_recursion, 0
	.set _ZN7rocprim17ROCPRIM_400000_NS6detail17trampoline_kernelINS0_14default_configENS1_36segmented_radix_sort_config_selectorIdlEEZNS1_25segmented_radix_sort_implIS3_Lb1EPKdPdPKlPlN2at6native12_GLOBAL__N_18offset_tEEE10hipError_tPvRmT1_PNSt15iterator_traitsISK_E10value_typeET2_T3_PNSL_ISQ_E10value_typeET4_jRbjT5_SW_jjP12ihipStream_tbEUlT_E0_NS1_11comp_targetILNS1_3genE0ELNS1_11target_archE4294967295ELNS1_3gpuE0ELNS1_3repE0EEENS1_60segmented_radix_sort_warp_sort_medium_config_static_selectorELNS0_4arch9wavefront6targetE0EEEvSK_.has_indirect_call, 0
	.section	.AMDGPU.csdata,"",@progbits
; Kernel info:
; codeLenInByte = 0
; TotalNumSgprs: 0
; NumVgprs: 0
; ScratchSize: 0
; MemoryBound: 0
; FloatMode: 240
; IeeeMode: 1
; LDSByteSize: 0 bytes/workgroup (compile time only)
; SGPRBlocks: 0
; VGPRBlocks: 0
; NumSGPRsForWavesPerEU: 1
; NumVGPRsForWavesPerEU: 1
; Occupancy: 16
; WaveLimiterHint : 0
; COMPUTE_PGM_RSRC2:SCRATCH_EN: 0
; COMPUTE_PGM_RSRC2:USER_SGPR: 6
; COMPUTE_PGM_RSRC2:TRAP_HANDLER: 0
; COMPUTE_PGM_RSRC2:TGID_X_EN: 1
; COMPUTE_PGM_RSRC2:TGID_Y_EN: 0
; COMPUTE_PGM_RSRC2:TGID_Z_EN: 0
; COMPUTE_PGM_RSRC2:TIDIG_COMP_CNT: 0
	.section	.text._ZN7rocprim17ROCPRIM_400000_NS6detail17trampoline_kernelINS0_14default_configENS1_36segmented_radix_sort_config_selectorIdlEEZNS1_25segmented_radix_sort_implIS3_Lb1EPKdPdPKlPlN2at6native12_GLOBAL__N_18offset_tEEE10hipError_tPvRmT1_PNSt15iterator_traitsISK_E10value_typeET2_T3_PNSL_ISQ_E10value_typeET4_jRbjT5_SW_jjP12ihipStream_tbEUlT_E0_NS1_11comp_targetILNS1_3genE5ELNS1_11target_archE942ELNS1_3gpuE9ELNS1_3repE0EEENS1_60segmented_radix_sort_warp_sort_medium_config_static_selectorELNS0_4arch9wavefront6targetE0EEEvSK_,"axG",@progbits,_ZN7rocprim17ROCPRIM_400000_NS6detail17trampoline_kernelINS0_14default_configENS1_36segmented_radix_sort_config_selectorIdlEEZNS1_25segmented_radix_sort_implIS3_Lb1EPKdPdPKlPlN2at6native12_GLOBAL__N_18offset_tEEE10hipError_tPvRmT1_PNSt15iterator_traitsISK_E10value_typeET2_T3_PNSL_ISQ_E10value_typeET4_jRbjT5_SW_jjP12ihipStream_tbEUlT_E0_NS1_11comp_targetILNS1_3genE5ELNS1_11target_archE942ELNS1_3gpuE9ELNS1_3repE0EEENS1_60segmented_radix_sort_warp_sort_medium_config_static_selectorELNS0_4arch9wavefront6targetE0EEEvSK_,comdat
	.globl	_ZN7rocprim17ROCPRIM_400000_NS6detail17trampoline_kernelINS0_14default_configENS1_36segmented_radix_sort_config_selectorIdlEEZNS1_25segmented_radix_sort_implIS3_Lb1EPKdPdPKlPlN2at6native12_GLOBAL__N_18offset_tEEE10hipError_tPvRmT1_PNSt15iterator_traitsISK_E10value_typeET2_T3_PNSL_ISQ_E10value_typeET4_jRbjT5_SW_jjP12ihipStream_tbEUlT_E0_NS1_11comp_targetILNS1_3genE5ELNS1_11target_archE942ELNS1_3gpuE9ELNS1_3repE0EEENS1_60segmented_radix_sort_warp_sort_medium_config_static_selectorELNS0_4arch9wavefront6targetE0EEEvSK_ ; -- Begin function _ZN7rocprim17ROCPRIM_400000_NS6detail17trampoline_kernelINS0_14default_configENS1_36segmented_radix_sort_config_selectorIdlEEZNS1_25segmented_radix_sort_implIS3_Lb1EPKdPdPKlPlN2at6native12_GLOBAL__N_18offset_tEEE10hipError_tPvRmT1_PNSt15iterator_traitsISK_E10value_typeET2_T3_PNSL_ISQ_E10value_typeET4_jRbjT5_SW_jjP12ihipStream_tbEUlT_E0_NS1_11comp_targetILNS1_3genE5ELNS1_11target_archE942ELNS1_3gpuE9ELNS1_3repE0EEENS1_60segmented_radix_sort_warp_sort_medium_config_static_selectorELNS0_4arch9wavefront6targetE0EEEvSK_
	.p2align	8
	.type	_ZN7rocprim17ROCPRIM_400000_NS6detail17trampoline_kernelINS0_14default_configENS1_36segmented_radix_sort_config_selectorIdlEEZNS1_25segmented_radix_sort_implIS3_Lb1EPKdPdPKlPlN2at6native12_GLOBAL__N_18offset_tEEE10hipError_tPvRmT1_PNSt15iterator_traitsISK_E10value_typeET2_T3_PNSL_ISQ_E10value_typeET4_jRbjT5_SW_jjP12ihipStream_tbEUlT_E0_NS1_11comp_targetILNS1_3genE5ELNS1_11target_archE942ELNS1_3gpuE9ELNS1_3repE0EEENS1_60segmented_radix_sort_warp_sort_medium_config_static_selectorELNS0_4arch9wavefront6targetE0EEEvSK_,@function
_ZN7rocprim17ROCPRIM_400000_NS6detail17trampoline_kernelINS0_14default_configENS1_36segmented_radix_sort_config_selectorIdlEEZNS1_25segmented_radix_sort_implIS3_Lb1EPKdPdPKlPlN2at6native12_GLOBAL__N_18offset_tEEE10hipError_tPvRmT1_PNSt15iterator_traitsISK_E10value_typeET2_T3_PNSL_ISQ_E10value_typeET4_jRbjT5_SW_jjP12ihipStream_tbEUlT_E0_NS1_11comp_targetILNS1_3genE5ELNS1_11target_archE942ELNS1_3gpuE9ELNS1_3repE0EEENS1_60segmented_radix_sort_warp_sort_medium_config_static_selectorELNS0_4arch9wavefront6targetE0EEEvSK_: ; @_ZN7rocprim17ROCPRIM_400000_NS6detail17trampoline_kernelINS0_14default_configENS1_36segmented_radix_sort_config_selectorIdlEEZNS1_25segmented_radix_sort_implIS3_Lb1EPKdPdPKlPlN2at6native12_GLOBAL__N_18offset_tEEE10hipError_tPvRmT1_PNSt15iterator_traitsISK_E10value_typeET2_T3_PNSL_ISQ_E10value_typeET4_jRbjT5_SW_jjP12ihipStream_tbEUlT_E0_NS1_11comp_targetILNS1_3genE5ELNS1_11target_archE942ELNS1_3gpuE9ELNS1_3repE0EEENS1_60segmented_radix_sort_warp_sort_medium_config_static_selectorELNS0_4arch9wavefront6targetE0EEEvSK_
; %bb.0:
	.section	.rodata,"a",@progbits
	.p2align	6, 0x0
	.amdhsa_kernel _ZN7rocprim17ROCPRIM_400000_NS6detail17trampoline_kernelINS0_14default_configENS1_36segmented_radix_sort_config_selectorIdlEEZNS1_25segmented_radix_sort_implIS3_Lb1EPKdPdPKlPlN2at6native12_GLOBAL__N_18offset_tEEE10hipError_tPvRmT1_PNSt15iterator_traitsISK_E10value_typeET2_T3_PNSL_ISQ_E10value_typeET4_jRbjT5_SW_jjP12ihipStream_tbEUlT_E0_NS1_11comp_targetILNS1_3genE5ELNS1_11target_archE942ELNS1_3gpuE9ELNS1_3repE0EEENS1_60segmented_radix_sort_warp_sort_medium_config_static_selectorELNS0_4arch9wavefront6targetE0EEEvSK_
		.amdhsa_group_segment_fixed_size 0
		.amdhsa_private_segment_fixed_size 0
		.amdhsa_kernarg_size 88
		.amdhsa_user_sgpr_count 6
		.amdhsa_user_sgpr_private_segment_buffer 1
		.amdhsa_user_sgpr_dispatch_ptr 0
		.amdhsa_user_sgpr_queue_ptr 0
		.amdhsa_user_sgpr_kernarg_segment_ptr 1
		.amdhsa_user_sgpr_dispatch_id 0
		.amdhsa_user_sgpr_flat_scratch_init 0
		.amdhsa_user_sgpr_private_segment_size 0
		.amdhsa_wavefront_size32 1
		.amdhsa_uses_dynamic_stack 0
		.amdhsa_system_sgpr_private_segment_wavefront_offset 0
		.amdhsa_system_sgpr_workgroup_id_x 1
		.amdhsa_system_sgpr_workgroup_id_y 0
		.amdhsa_system_sgpr_workgroup_id_z 0
		.amdhsa_system_sgpr_workgroup_info 0
		.amdhsa_system_vgpr_workitem_id 0
		.amdhsa_next_free_vgpr 1
		.amdhsa_next_free_sgpr 1
		.amdhsa_reserve_vcc 0
		.amdhsa_reserve_flat_scratch 0
		.amdhsa_float_round_mode_32 0
		.amdhsa_float_round_mode_16_64 0
		.amdhsa_float_denorm_mode_32 3
		.amdhsa_float_denorm_mode_16_64 3
		.amdhsa_dx10_clamp 1
		.amdhsa_ieee_mode 1
		.amdhsa_fp16_overflow 0
		.amdhsa_workgroup_processor_mode 1
		.amdhsa_memory_ordered 1
		.amdhsa_forward_progress 1
		.amdhsa_shared_vgpr_count 0
		.amdhsa_exception_fp_ieee_invalid_op 0
		.amdhsa_exception_fp_denorm_src 0
		.amdhsa_exception_fp_ieee_div_zero 0
		.amdhsa_exception_fp_ieee_overflow 0
		.amdhsa_exception_fp_ieee_underflow 0
		.amdhsa_exception_fp_ieee_inexact 0
		.amdhsa_exception_int_div_zero 0
	.end_amdhsa_kernel
	.section	.text._ZN7rocprim17ROCPRIM_400000_NS6detail17trampoline_kernelINS0_14default_configENS1_36segmented_radix_sort_config_selectorIdlEEZNS1_25segmented_radix_sort_implIS3_Lb1EPKdPdPKlPlN2at6native12_GLOBAL__N_18offset_tEEE10hipError_tPvRmT1_PNSt15iterator_traitsISK_E10value_typeET2_T3_PNSL_ISQ_E10value_typeET4_jRbjT5_SW_jjP12ihipStream_tbEUlT_E0_NS1_11comp_targetILNS1_3genE5ELNS1_11target_archE942ELNS1_3gpuE9ELNS1_3repE0EEENS1_60segmented_radix_sort_warp_sort_medium_config_static_selectorELNS0_4arch9wavefront6targetE0EEEvSK_,"axG",@progbits,_ZN7rocprim17ROCPRIM_400000_NS6detail17trampoline_kernelINS0_14default_configENS1_36segmented_radix_sort_config_selectorIdlEEZNS1_25segmented_radix_sort_implIS3_Lb1EPKdPdPKlPlN2at6native12_GLOBAL__N_18offset_tEEE10hipError_tPvRmT1_PNSt15iterator_traitsISK_E10value_typeET2_T3_PNSL_ISQ_E10value_typeET4_jRbjT5_SW_jjP12ihipStream_tbEUlT_E0_NS1_11comp_targetILNS1_3genE5ELNS1_11target_archE942ELNS1_3gpuE9ELNS1_3repE0EEENS1_60segmented_radix_sort_warp_sort_medium_config_static_selectorELNS0_4arch9wavefront6targetE0EEEvSK_,comdat
.Lfunc_end1121:
	.size	_ZN7rocprim17ROCPRIM_400000_NS6detail17trampoline_kernelINS0_14default_configENS1_36segmented_radix_sort_config_selectorIdlEEZNS1_25segmented_radix_sort_implIS3_Lb1EPKdPdPKlPlN2at6native12_GLOBAL__N_18offset_tEEE10hipError_tPvRmT1_PNSt15iterator_traitsISK_E10value_typeET2_T3_PNSL_ISQ_E10value_typeET4_jRbjT5_SW_jjP12ihipStream_tbEUlT_E0_NS1_11comp_targetILNS1_3genE5ELNS1_11target_archE942ELNS1_3gpuE9ELNS1_3repE0EEENS1_60segmented_radix_sort_warp_sort_medium_config_static_selectorELNS0_4arch9wavefront6targetE0EEEvSK_, .Lfunc_end1121-_ZN7rocprim17ROCPRIM_400000_NS6detail17trampoline_kernelINS0_14default_configENS1_36segmented_radix_sort_config_selectorIdlEEZNS1_25segmented_radix_sort_implIS3_Lb1EPKdPdPKlPlN2at6native12_GLOBAL__N_18offset_tEEE10hipError_tPvRmT1_PNSt15iterator_traitsISK_E10value_typeET2_T3_PNSL_ISQ_E10value_typeET4_jRbjT5_SW_jjP12ihipStream_tbEUlT_E0_NS1_11comp_targetILNS1_3genE5ELNS1_11target_archE942ELNS1_3gpuE9ELNS1_3repE0EEENS1_60segmented_radix_sort_warp_sort_medium_config_static_selectorELNS0_4arch9wavefront6targetE0EEEvSK_
                                        ; -- End function
	.set _ZN7rocprim17ROCPRIM_400000_NS6detail17trampoline_kernelINS0_14default_configENS1_36segmented_radix_sort_config_selectorIdlEEZNS1_25segmented_radix_sort_implIS3_Lb1EPKdPdPKlPlN2at6native12_GLOBAL__N_18offset_tEEE10hipError_tPvRmT1_PNSt15iterator_traitsISK_E10value_typeET2_T3_PNSL_ISQ_E10value_typeET4_jRbjT5_SW_jjP12ihipStream_tbEUlT_E0_NS1_11comp_targetILNS1_3genE5ELNS1_11target_archE942ELNS1_3gpuE9ELNS1_3repE0EEENS1_60segmented_radix_sort_warp_sort_medium_config_static_selectorELNS0_4arch9wavefront6targetE0EEEvSK_.num_vgpr, 0
	.set _ZN7rocprim17ROCPRIM_400000_NS6detail17trampoline_kernelINS0_14default_configENS1_36segmented_radix_sort_config_selectorIdlEEZNS1_25segmented_radix_sort_implIS3_Lb1EPKdPdPKlPlN2at6native12_GLOBAL__N_18offset_tEEE10hipError_tPvRmT1_PNSt15iterator_traitsISK_E10value_typeET2_T3_PNSL_ISQ_E10value_typeET4_jRbjT5_SW_jjP12ihipStream_tbEUlT_E0_NS1_11comp_targetILNS1_3genE5ELNS1_11target_archE942ELNS1_3gpuE9ELNS1_3repE0EEENS1_60segmented_radix_sort_warp_sort_medium_config_static_selectorELNS0_4arch9wavefront6targetE0EEEvSK_.num_agpr, 0
	.set _ZN7rocprim17ROCPRIM_400000_NS6detail17trampoline_kernelINS0_14default_configENS1_36segmented_radix_sort_config_selectorIdlEEZNS1_25segmented_radix_sort_implIS3_Lb1EPKdPdPKlPlN2at6native12_GLOBAL__N_18offset_tEEE10hipError_tPvRmT1_PNSt15iterator_traitsISK_E10value_typeET2_T3_PNSL_ISQ_E10value_typeET4_jRbjT5_SW_jjP12ihipStream_tbEUlT_E0_NS1_11comp_targetILNS1_3genE5ELNS1_11target_archE942ELNS1_3gpuE9ELNS1_3repE0EEENS1_60segmented_radix_sort_warp_sort_medium_config_static_selectorELNS0_4arch9wavefront6targetE0EEEvSK_.numbered_sgpr, 0
	.set _ZN7rocprim17ROCPRIM_400000_NS6detail17trampoline_kernelINS0_14default_configENS1_36segmented_radix_sort_config_selectorIdlEEZNS1_25segmented_radix_sort_implIS3_Lb1EPKdPdPKlPlN2at6native12_GLOBAL__N_18offset_tEEE10hipError_tPvRmT1_PNSt15iterator_traitsISK_E10value_typeET2_T3_PNSL_ISQ_E10value_typeET4_jRbjT5_SW_jjP12ihipStream_tbEUlT_E0_NS1_11comp_targetILNS1_3genE5ELNS1_11target_archE942ELNS1_3gpuE9ELNS1_3repE0EEENS1_60segmented_radix_sort_warp_sort_medium_config_static_selectorELNS0_4arch9wavefront6targetE0EEEvSK_.num_named_barrier, 0
	.set _ZN7rocprim17ROCPRIM_400000_NS6detail17trampoline_kernelINS0_14default_configENS1_36segmented_radix_sort_config_selectorIdlEEZNS1_25segmented_radix_sort_implIS3_Lb1EPKdPdPKlPlN2at6native12_GLOBAL__N_18offset_tEEE10hipError_tPvRmT1_PNSt15iterator_traitsISK_E10value_typeET2_T3_PNSL_ISQ_E10value_typeET4_jRbjT5_SW_jjP12ihipStream_tbEUlT_E0_NS1_11comp_targetILNS1_3genE5ELNS1_11target_archE942ELNS1_3gpuE9ELNS1_3repE0EEENS1_60segmented_radix_sort_warp_sort_medium_config_static_selectorELNS0_4arch9wavefront6targetE0EEEvSK_.private_seg_size, 0
	.set _ZN7rocprim17ROCPRIM_400000_NS6detail17trampoline_kernelINS0_14default_configENS1_36segmented_radix_sort_config_selectorIdlEEZNS1_25segmented_radix_sort_implIS3_Lb1EPKdPdPKlPlN2at6native12_GLOBAL__N_18offset_tEEE10hipError_tPvRmT1_PNSt15iterator_traitsISK_E10value_typeET2_T3_PNSL_ISQ_E10value_typeET4_jRbjT5_SW_jjP12ihipStream_tbEUlT_E0_NS1_11comp_targetILNS1_3genE5ELNS1_11target_archE942ELNS1_3gpuE9ELNS1_3repE0EEENS1_60segmented_radix_sort_warp_sort_medium_config_static_selectorELNS0_4arch9wavefront6targetE0EEEvSK_.uses_vcc, 0
	.set _ZN7rocprim17ROCPRIM_400000_NS6detail17trampoline_kernelINS0_14default_configENS1_36segmented_radix_sort_config_selectorIdlEEZNS1_25segmented_radix_sort_implIS3_Lb1EPKdPdPKlPlN2at6native12_GLOBAL__N_18offset_tEEE10hipError_tPvRmT1_PNSt15iterator_traitsISK_E10value_typeET2_T3_PNSL_ISQ_E10value_typeET4_jRbjT5_SW_jjP12ihipStream_tbEUlT_E0_NS1_11comp_targetILNS1_3genE5ELNS1_11target_archE942ELNS1_3gpuE9ELNS1_3repE0EEENS1_60segmented_radix_sort_warp_sort_medium_config_static_selectorELNS0_4arch9wavefront6targetE0EEEvSK_.uses_flat_scratch, 0
	.set _ZN7rocprim17ROCPRIM_400000_NS6detail17trampoline_kernelINS0_14default_configENS1_36segmented_radix_sort_config_selectorIdlEEZNS1_25segmented_radix_sort_implIS3_Lb1EPKdPdPKlPlN2at6native12_GLOBAL__N_18offset_tEEE10hipError_tPvRmT1_PNSt15iterator_traitsISK_E10value_typeET2_T3_PNSL_ISQ_E10value_typeET4_jRbjT5_SW_jjP12ihipStream_tbEUlT_E0_NS1_11comp_targetILNS1_3genE5ELNS1_11target_archE942ELNS1_3gpuE9ELNS1_3repE0EEENS1_60segmented_radix_sort_warp_sort_medium_config_static_selectorELNS0_4arch9wavefront6targetE0EEEvSK_.has_dyn_sized_stack, 0
	.set _ZN7rocprim17ROCPRIM_400000_NS6detail17trampoline_kernelINS0_14default_configENS1_36segmented_radix_sort_config_selectorIdlEEZNS1_25segmented_radix_sort_implIS3_Lb1EPKdPdPKlPlN2at6native12_GLOBAL__N_18offset_tEEE10hipError_tPvRmT1_PNSt15iterator_traitsISK_E10value_typeET2_T3_PNSL_ISQ_E10value_typeET4_jRbjT5_SW_jjP12ihipStream_tbEUlT_E0_NS1_11comp_targetILNS1_3genE5ELNS1_11target_archE942ELNS1_3gpuE9ELNS1_3repE0EEENS1_60segmented_radix_sort_warp_sort_medium_config_static_selectorELNS0_4arch9wavefront6targetE0EEEvSK_.has_recursion, 0
	.set _ZN7rocprim17ROCPRIM_400000_NS6detail17trampoline_kernelINS0_14default_configENS1_36segmented_radix_sort_config_selectorIdlEEZNS1_25segmented_radix_sort_implIS3_Lb1EPKdPdPKlPlN2at6native12_GLOBAL__N_18offset_tEEE10hipError_tPvRmT1_PNSt15iterator_traitsISK_E10value_typeET2_T3_PNSL_ISQ_E10value_typeET4_jRbjT5_SW_jjP12ihipStream_tbEUlT_E0_NS1_11comp_targetILNS1_3genE5ELNS1_11target_archE942ELNS1_3gpuE9ELNS1_3repE0EEENS1_60segmented_radix_sort_warp_sort_medium_config_static_selectorELNS0_4arch9wavefront6targetE0EEEvSK_.has_indirect_call, 0
	.section	.AMDGPU.csdata,"",@progbits
; Kernel info:
; codeLenInByte = 0
; TotalNumSgprs: 0
; NumVgprs: 0
; ScratchSize: 0
; MemoryBound: 0
; FloatMode: 240
; IeeeMode: 1
; LDSByteSize: 0 bytes/workgroup (compile time only)
; SGPRBlocks: 0
; VGPRBlocks: 0
; NumSGPRsForWavesPerEU: 1
; NumVGPRsForWavesPerEU: 1
; Occupancy: 16
; WaveLimiterHint : 0
; COMPUTE_PGM_RSRC2:SCRATCH_EN: 0
; COMPUTE_PGM_RSRC2:USER_SGPR: 6
; COMPUTE_PGM_RSRC2:TRAP_HANDLER: 0
; COMPUTE_PGM_RSRC2:TGID_X_EN: 1
; COMPUTE_PGM_RSRC2:TGID_Y_EN: 0
; COMPUTE_PGM_RSRC2:TGID_Z_EN: 0
; COMPUTE_PGM_RSRC2:TIDIG_COMP_CNT: 0
	.section	.text._ZN7rocprim17ROCPRIM_400000_NS6detail17trampoline_kernelINS0_14default_configENS1_36segmented_radix_sort_config_selectorIdlEEZNS1_25segmented_radix_sort_implIS3_Lb1EPKdPdPKlPlN2at6native12_GLOBAL__N_18offset_tEEE10hipError_tPvRmT1_PNSt15iterator_traitsISK_E10value_typeET2_T3_PNSL_ISQ_E10value_typeET4_jRbjT5_SW_jjP12ihipStream_tbEUlT_E0_NS1_11comp_targetILNS1_3genE4ELNS1_11target_archE910ELNS1_3gpuE8ELNS1_3repE0EEENS1_60segmented_radix_sort_warp_sort_medium_config_static_selectorELNS0_4arch9wavefront6targetE0EEEvSK_,"axG",@progbits,_ZN7rocprim17ROCPRIM_400000_NS6detail17trampoline_kernelINS0_14default_configENS1_36segmented_radix_sort_config_selectorIdlEEZNS1_25segmented_radix_sort_implIS3_Lb1EPKdPdPKlPlN2at6native12_GLOBAL__N_18offset_tEEE10hipError_tPvRmT1_PNSt15iterator_traitsISK_E10value_typeET2_T3_PNSL_ISQ_E10value_typeET4_jRbjT5_SW_jjP12ihipStream_tbEUlT_E0_NS1_11comp_targetILNS1_3genE4ELNS1_11target_archE910ELNS1_3gpuE8ELNS1_3repE0EEENS1_60segmented_radix_sort_warp_sort_medium_config_static_selectorELNS0_4arch9wavefront6targetE0EEEvSK_,comdat
	.globl	_ZN7rocprim17ROCPRIM_400000_NS6detail17trampoline_kernelINS0_14default_configENS1_36segmented_radix_sort_config_selectorIdlEEZNS1_25segmented_radix_sort_implIS3_Lb1EPKdPdPKlPlN2at6native12_GLOBAL__N_18offset_tEEE10hipError_tPvRmT1_PNSt15iterator_traitsISK_E10value_typeET2_T3_PNSL_ISQ_E10value_typeET4_jRbjT5_SW_jjP12ihipStream_tbEUlT_E0_NS1_11comp_targetILNS1_3genE4ELNS1_11target_archE910ELNS1_3gpuE8ELNS1_3repE0EEENS1_60segmented_radix_sort_warp_sort_medium_config_static_selectorELNS0_4arch9wavefront6targetE0EEEvSK_ ; -- Begin function _ZN7rocprim17ROCPRIM_400000_NS6detail17trampoline_kernelINS0_14default_configENS1_36segmented_radix_sort_config_selectorIdlEEZNS1_25segmented_radix_sort_implIS3_Lb1EPKdPdPKlPlN2at6native12_GLOBAL__N_18offset_tEEE10hipError_tPvRmT1_PNSt15iterator_traitsISK_E10value_typeET2_T3_PNSL_ISQ_E10value_typeET4_jRbjT5_SW_jjP12ihipStream_tbEUlT_E0_NS1_11comp_targetILNS1_3genE4ELNS1_11target_archE910ELNS1_3gpuE8ELNS1_3repE0EEENS1_60segmented_radix_sort_warp_sort_medium_config_static_selectorELNS0_4arch9wavefront6targetE0EEEvSK_
	.p2align	8
	.type	_ZN7rocprim17ROCPRIM_400000_NS6detail17trampoline_kernelINS0_14default_configENS1_36segmented_radix_sort_config_selectorIdlEEZNS1_25segmented_radix_sort_implIS3_Lb1EPKdPdPKlPlN2at6native12_GLOBAL__N_18offset_tEEE10hipError_tPvRmT1_PNSt15iterator_traitsISK_E10value_typeET2_T3_PNSL_ISQ_E10value_typeET4_jRbjT5_SW_jjP12ihipStream_tbEUlT_E0_NS1_11comp_targetILNS1_3genE4ELNS1_11target_archE910ELNS1_3gpuE8ELNS1_3repE0EEENS1_60segmented_radix_sort_warp_sort_medium_config_static_selectorELNS0_4arch9wavefront6targetE0EEEvSK_,@function
_ZN7rocprim17ROCPRIM_400000_NS6detail17trampoline_kernelINS0_14default_configENS1_36segmented_radix_sort_config_selectorIdlEEZNS1_25segmented_radix_sort_implIS3_Lb1EPKdPdPKlPlN2at6native12_GLOBAL__N_18offset_tEEE10hipError_tPvRmT1_PNSt15iterator_traitsISK_E10value_typeET2_T3_PNSL_ISQ_E10value_typeET4_jRbjT5_SW_jjP12ihipStream_tbEUlT_E0_NS1_11comp_targetILNS1_3genE4ELNS1_11target_archE910ELNS1_3gpuE8ELNS1_3repE0EEENS1_60segmented_radix_sort_warp_sort_medium_config_static_selectorELNS0_4arch9wavefront6targetE0EEEvSK_: ; @_ZN7rocprim17ROCPRIM_400000_NS6detail17trampoline_kernelINS0_14default_configENS1_36segmented_radix_sort_config_selectorIdlEEZNS1_25segmented_radix_sort_implIS3_Lb1EPKdPdPKlPlN2at6native12_GLOBAL__N_18offset_tEEE10hipError_tPvRmT1_PNSt15iterator_traitsISK_E10value_typeET2_T3_PNSL_ISQ_E10value_typeET4_jRbjT5_SW_jjP12ihipStream_tbEUlT_E0_NS1_11comp_targetILNS1_3genE4ELNS1_11target_archE910ELNS1_3gpuE8ELNS1_3repE0EEENS1_60segmented_radix_sort_warp_sort_medium_config_static_selectorELNS0_4arch9wavefront6targetE0EEEvSK_
; %bb.0:
	.section	.rodata,"a",@progbits
	.p2align	6, 0x0
	.amdhsa_kernel _ZN7rocprim17ROCPRIM_400000_NS6detail17trampoline_kernelINS0_14default_configENS1_36segmented_radix_sort_config_selectorIdlEEZNS1_25segmented_radix_sort_implIS3_Lb1EPKdPdPKlPlN2at6native12_GLOBAL__N_18offset_tEEE10hipError_tPvRmT1_PNSt15iterator_traitsISK_E10value_typeET2_T3_PNSL_ISQ_E10value_typeET4_jRbjT5_SW_jjP12ihipStream_tbEUlT_E0_NS1_11comp_targetILNS1_3genE4ELNS1_11target_archE910ELNS1_3gpuE8ELNS1_3repE0EEENS1_60segmented_radix_sort_warp_sort_medium_config_static_selectorELNS0_4arch9wavefront6targetE0EEEvSK_
		.amdhsa_group_segment_fixed_size 0
		.amdhsa_private_segment_fixed_size 0
		.amdhsa_kernarg_size 88
		.amdhsa_user_sgpr_count 6
		.amdhsa_user_sgpr_private_segment_buffer 1
		.amdhsa_user_sgpr_dispatch_ptr 0
		.amdhsa_user_sgpr_queue_ptr 0
		.amdhsa_user_sgpr_kernarg_segment_ptr 1
		.amdhsa_user_sgpr_dispatch_id 0
		.amdhsa_user_sgpr_flat_scratch_init 0
		.amdhsa_user_sgpr_private_segment_size 0
		.amdhsa_wavefront_size32 1
		.amdhsa_uses_dynamic_stack 0
		.amdhsa_system_sgpr_private_segment_wavefront_offset 0
		.amdhsa_system_sgpr_workgroup_id_x 1
		.amdhsa_system_sgpr_workgroup_id_y 0
		.amdhsa_system_sgpr_workgroup_id_z 0
		.amdhsa_system_sgpr_workgroup_info 0
		.amdhsa_system_vgpr_workitem_id 0
		.amdhsa_next_free_vgpr 1
		.amdhsa_next_free_sgpr 1
		.amdhsa_reserve_vcc 0
		.amdhsa_reserve_flat_scratch 0
		.amdhsa_float_round_mode_32 0
		.amdhsa_float_round_mode_16_64 0
		.amdhsa_float_denorm_mode_32 3
		.amdhsa_float_denorm_mode_16_64 3
		.amdhsa_dx10_clamp 1
		.amdhsa_ieee_mode 1
		.amdhsa_fp16_overflow 0
		.amdhsa_workgroup_processor_mode 1
		.amdhsa_memory_ordered 1
		.amdhsa_forward_progress 1
		.amdhsa_shared_vgpr_count 0
		.amdhsa_exception_fp_ieee_invalid_op 0
		.amdhsa_exception_fp_denorm_src 0
		.amdhsa_exception_fp_ieee_div_zero 0
		.amdhsa_exception_fp_ieee_overflow 0
		.amdhsa_exception_fp_ieee_underflow 0
		.amdhsa_exception_fp_ieee_inexact 0
		.amdhsa_exception_int_div_zero 0
	.end_amdhsa_kernel
	.section	.text._ZN7rocprim17ROCPRIM_400000_NS6detail17trampoline_kernelINS0_14default_configENS1_36segmented_radix_sort_config_selectorIdlEEZNS1_25segmented_radix_sort_implIS3_Lb1EPKdPdPKlPlN2at6native12_GLOBAL__N_18offset_tEEE10hipError_tPvRmT1_PNSt15iterator_traitsISK_E10value_typeET2_T3_PNSL_ISQ_E10value_typeET4_jRbjT5_SW_jjP12ihipStream_tbEUlT_E0_NS1_11comp_targetILNS1_3genE4ELNS1_11target_archE910ELNS1_3gpuE8ELNS1_3repE0EEENS1_60segmented_radix_sort_warp_sort_medium_config_static_selectorELNS0_4arch9wavefront6targetE0EEEvSK_,"axG",@progbits,_ZN7rocprim17ROCPRIM_400000_NS6detail17trampoline_kernelINS0_14default_configENS1_36segmented_radix_sort_config_selectorIdlEEZNS1_25segmented_radix_sort_implIS3_Lb1EPKdPdPKlPlN2at6native12_GLOBAL__N_18offset_tEEE10hipError_tPvRmT1_PNSt15iterator_traitsISK_E10value_typeET2_T3_PNSL_ISQ_E10value_typeET4_jRbjT5_SW_jjP12ihipStream_tbEUlT_E0_NS1_11comp_targetILNS1_3genE4ELNS1_11target_archE910ELNS1_3gpuE8ELNS1_3repE0EEENS1_60segmented_radix_sort_warp_sort_medium_config_static_selectorELNS0_4arch9wavefront6targetE0EEEvSK_,comdat
.Lfunc_end1122:
	.size	_ZN7rocprim17ROCPRIM_400000_NS6detail17trampoline_kernelINS0_14default_configENS1_36segmented_radix_sort_config_selectorIdlEEZNS1_25segmented_radix_sort_implIS3_Lb1EPKdPdPKlPlN2at6native12_GLOBAL__N_18offset_tEEE10hipError_tPvRmT1_PNSt15iterator_traitsISK_E10value_typeET2_T3_PNSL_ISQ_E10value_typeET4_jRbjT5_SW_jjP12ihipStream_tbEUlT_E0_NS1_11comp_targetILNS1_3genE4ELNS1_11target_archE910ELNS1_3gpuE8ELNS1_3repE0EEENS1_60segmented_radix_sort_warp_sort_medium_config_static_selectorELNS0_4arch9wavefront6targetE0EEEvSK_, .Lfunc_end1122-_ZN7rocprim17ROCPRIM_400000_NS6detail17trampoline_kernelINS0_14default_configENS1_36segmented_radix_sort_config_selectorIdlEEZNS1_25segmented_radix_sort_implIS3_Lb1EPKdPdPKlPlN2at6native12_GLOBAL__N_18offset_tEEE10hipError_tPvRmT1_PNSt15iterator_traitsISK_E10value_typeET2_T3_PNSL_ISQ_E10value_typeET4_jRbjT5_SW_jjP12ihipStream_tbEUlT_E0_NS1_11comp_targetILNS1_3genE4ELNS1_11target_archE910ELNS1_3gpuE8ELNS1_3repE0EEENS1_60segmented_radix_sort_warp_sort_medium_config_static_selectorELNS0_4arch9wavefront6targetE0EEEvSK_
                                        ; -- End function
	.set _ZN7rocprim17ROCPRIM_400000_NS6detail17trampoline_kernelINS0_14default_configENS1_36segmented_radix_sort_config_selectorIdlEEZNS1_25segmented_radix_sort_implIS3_Lb1EPKdPdPKlPlN2at6native12_GLOBAL__N_18offset_tEEE10hipError_tPvRmT1_PNSt15iterator_traitsISK_E10value_typeET2_T3_PNSL_ISQ_E10value_typeET4_jRbjT5_SW_jjP12ihipStream_tbEUlT_E0_NS1_11comp_targetILNS1_3genE4ELNS1_11target_archE910ELNS1_3gpuE8ELNS1_3repE0EEENS1_60segmented_radix_sort_warp_sort_medium_config_static_selectorELNS0_4arch9wavefront6targetE0EEEvSK_.num_vgpr, 0
	.set _ZN7rocprim17ROCPRIM_400000_NS6detail17trampoline_kernelINS0_14default_configENS1_36segmented_radix_sort_config_selectorIdlEEZNS1_25segmented_radix_sort_implIS3_Lb1EPKdPdPKlPlN2at6native12_GLOBAL__N_18offset_tEEE10hipError_tPvRmT1_PNSt15iterator_traitsISK_E10value_typeET2_T3_PNSL_ISQ_E10value_typeET4_jRbjT5_SW_jjP12ihipStream_tbEUlT_E0_NS1_11comp_targetILNS1_3genE4ELNS1_11target_archE910ELNS1_3gpuE8ELNS1_3repE0EEENS1_60segmented_radix_sort_warp_sort_medium_config_static_selectorELNS0_4arch9wavefront6targetE0EEEvSK_.num_agpr, 0
	.set _ZN7rocprim17ROCPRIM_400000_NS6detail17trampoline_kernelINS0_14default_configENS1_36segmented_radix_sort_config_selectorIdlEEZNS1_25segmented_radix_sort_implIS3_Lb1EPKdPdPKlPlN2at6native12_GLOBAL__N_18offset_tEEE10hipError_tPvRmT1_PNSt15iterator_traitsISK_E10value_typeET2_T3_PNSL_ISQ_E10value_typeET4_jRbjT5_SW_jjP12ihipStream_tbEUlT_E0_NS1_11comp_targetILNS1_3genE4ELNS1_11target_archE910ELNS1_3gpuE8ELNS1_3repE0EEENS1_60segmented_radix_sort_warp_sort_medium_config_static_selectorELNS0_4arch9wavefront6targetE0EEEvSK_.numbered_sgpr, 0
	.set _ZN7rocprim17ROCPRIM_400000_NS6detail17trampoline_kernelINS0_14default_configENS1_36segmented_radix_sort_config_selectorIdlEEZNS1_25segmented_radix_sort_implIS3_Lb1EPKdPdPKlPlN2at6native12_GLOBAL__N_18offset_tEEE10hipError_tPvRmT1_PNSt15iterator_traitsISK_E10value_typeET2_T3_PNSL_ISQ_E10value_typeET4_jRbjT5_SW_jjP12ihipStream_tbEUlT_E0_NS1_11comp_targetILNS1_3genE4ELNS1_11target_archE910ELNS1_3gpuE8ELNS1_3repE0EEENS1_60segmented_radix_sort_warp_sort_medium_config_static_selectorELNS0_4arch9wavefront6targetE0EEEvSK_.num_named_barrier, 0
	.set _ZN7rocprim17ROCPRIM_400000_NS6detail17trampoline_kernelINS0_14default_configENS1_36segmented_radix_sort_config_selectorIdlEEZNS1_25segmented_radix_sort_implIS3_Lb1EPKdPdPKlPlN2at6native12_GLOBAL__N_18offset_tEEE10hipError_tPvRmT1_PNSt15iterator_traitsISK_E10value_typeET2_T3_PNSL_ISQ_E10value_typeET4_jRbjT5_SW_jjP12ihipStream_tbEUlT_E0_NS1_11comp_targetILNS1_3genE4ELNS1_11target_archE910ELNS1_3gpuE8ELNS1_3repE0EEENS1_60segmented_radix_sort_warp_sort_medium_config_static_selectorELNS0_4arch9wavefront6targetE0EEEvSK_.private_seg_size, 0
	.set _ZN7rocprim17ROCPRIM_400000_NS6detail17trampoline_kernelINS0_14default_configENS1_36segmented_radix_sort_config_selectorIdlEEZNS1_25segmented_radix_sort_implIS3_Lb1EPKdPdPKlPlN2at6native12_GLOBAL__N_18offset_tEEE10hipError_tPvRmT1_PNSt15iterator_traitsISK_E10value_typeET2_T3_PNSL_ISQ_E10value_typeET4_jRbjT5_SW_jjP12ihipStream_tbEUlT_E0_NS1_11comp_targetILNS1_3genE4ELNS1_11target_archE910ELNS1_3gpuE8ELNS1_3repE0EEENS1_60segmented_radix_sort_warp_sort_medium_config_static_selectorELNS0_4arch9wavefront6targetE0EEEvSK_.uses_vcc, 0
	.set _ZN7rocprim17ROCPRIM_400000_NS6detail17trampoline_kernelINS0_14default_configENS1_36segmented_radix_sort_config_selectorIdlEEZNS1_25segmented_radix_sort_implIS3_Lb1EPKdPdPKlPlN2at6native12_GLOBAL__N_18offset_tEEE10hipError_tPvRmT1_PNSt15iterator_traitsISK_E10value_typeET2_T3_PNSL_ISQ_E10value_typeET4_jRbjT5_SW_jjP12ihipStream_tbEUlT_E0_NS1_11comp_targetILNS1_3genE4ELNS1_11target_archE910ELNS1_3gpuE8ELNS1_3repE0EEENS1_60segmented_radix_sort_warp_sort_medium_config_static_selectorELNS0_4arch9wavefront6targetE0EEEvSK_.uses_flat_scratch, 0
	.set _ZN7rocprim17ROCPRIM_400000_NS6detail17trampoline_kernelINS0_14default_configENS1_36segmented_radix_sort_config_selectorIdlEEZNS1_25segmented_radix_sort_implIS3_Lb1EPKdPdPKlPlN2at6native12_GLOBAL__N_18offset_tEEE10hipError_tPvRmT1_PNSt15iterator_traitsISK_E10value_typeET2_T3_PNSL_ISQ_E10value_typeET4_jRbjT5_SW_jjP12ihipStream_tbEUlT_E0_NS1_11comp_targetILNS1_3genE4ELNS1_11target_archE910ELNS1_3gpuE8ELNS1_3repE0EEENS1_60segmented_radix_sort_warp_sort_medium_config_static_selectorELNS0_4arch9wavefront6targetE0EEEvSK_.has_dyn_sized_stack, 0
	.set _ZN7rocprim17ROCPRIM_400000_NS6detail17trampoline_kernelINS0_14default_configENS1_36segmented_radix_sort_config_selectorIdlEEZNS1_25segmented_radix_sort_implIS3_Lb1EPKdPdPKlPlN2at6native12_GLOBAL__N_18offset_tEEE10hipError_tPvRmT1_PNSt15iterator_traitsISK_E10value_typeET2_T3_PNSL_ISQ_E10value_typeET4_jRbjT5_SW_jjP12ihipStream_tbEUlT_E0_NS1_11comp_targetILNS1_3genE4ELNS1_11target_archE910ELNS1_3gpuE8ELNS1_3repE0EEENS1_60segmented_radix_sort_warp_sort_medium_config_static_selectorELNS0_4arch9wavefront6targetE0EEEvSK_.has_recursion, 0
	.set _ZN7rocprim17ROCPRIM_400000_NS6detail17trampoline_kernelINS0_14default_configENS1_36segmented_radix_sort_config_selectorIdlEEZNS1_25segmented_radix_sort_implIS3_Lb1EPKdPdPKlPlN2at6native12_GLOBAL__N_18offset_tEEE10hipError_tPvRmT1_PNSt15iterator_traitsISK_E10value_typeET2_T3_PNSL_ISQ_E10value_typeET4_jRbjT5_SW_jjP12ihipStream_tbEUlT_E0_NS1_11comp_targetILNS1_3genE4ELNS1_11target_archE910ELNS1_3gpuE8ELNS1_3repE0EEENS1_60segmented_radix_sort_warp_sort_medium_config_static_selectorELNS0_4arch9wavefront6targetE0EEEvSK_.has_indirect_call, 0
	.section	.AMDGPU.csdata,"",@progbits
; Kernel info:
; codeLenInByte = 0
; TotalNumSgprs: 0
; NumVgprs: 0
; ScratchSize: 0
; MemoryBound: 0
; FloatMode: 240
; IeeeMode: 1
; LDSByteSize: 0 bytes/workgroup (compile time only)
; SGPRBlocks: 0
; VGPRBlocks: 0
; NumSGPRsForWavesPerEU: 1
; NumVGPRsForWavesPerEU: 1
; Occupancy: 16
; WaveLimiterHint : 0
; COMPUTE_PGM_RSRC2:SCRATCH_EN: 0
; COMPUTE_PGM_RSRC2:USER_SGPR: 6
; COMPUTE_PGM_RSRC2:TRAP_HANDLER: 0
; COMPUTE_PGM_RSRC2:TGID_X_EN: 1
; COMPUTE_PGM_RSRC2:TGID_Y_EN: 0
; COMPUTE_PGM_RSRC2:TGID_Z_EN: 0
; COMPUTE_PGM_RSRC2:TIDIG_COMP_CNT: 0
	.section	.text._ZN7rocprim17ROCPRIM_400000_NS6detail17trampoline_kernelINS0_14default_configENS1_36segmented_radix_sort_config_selectorIdlEEZNS1_25segmented_radix_sort_implIS3_Lb1EPKdPdPKlPlN2at6native12_GLOBAL__N_18offset_tEEE10hipError_tPvRmT1_PNSt15iterator_traitsISK_E10value_typeET2_T3_PNSL_ISQ_E10value_typeET4_jRbjT5_SW_jjP12ihipStream_tbEUlT_E0_NS1_11comp_targetILNS1_3genE3ELNS1_11target_archE908ELNS1_3gpuE7ELNS1_3repE0EEENS1_60segmented_radix_sort_warp_sort_medium_config_static_selectorELNS0_4arch9wavefront6targetE0EEEvSK_,"axG",@progbits,_ZN7rocprim17ROCPRIM_400000_NS6detail17trampoline_kernelINS0_14default_configENS1_36segmented_radix_sort_config_selectorIdlEEZNS1_25segmented_radix_sort_implIS3_Lb1EPKdPdPKlPlN2at6native12_GLOBAL__N_18offset_tEEE10hipError_tPvRmT1_PNSt15iterator_traitsISK_E10value_typeET2_T3_PNSL_ISQ_E10value_typeET4_jRbjT5_SW_jjP12ihipStream_tbEUlT_E0_NS1_11comp_targetILNS1_3genE3ELNS1_11target_archE908ELNS1_3gpuE7ELNS1_3repE0EEENS1_60segmented_radix_sort_warp_sort_medium_config_static_selectorELNS0_4arch9wavefront6targetE0EEEvSK_,comdat
	.globl	_ZN7rocprim17ROCPRIM_400000_NS6detail17trampoline_kernelINS0_14default_configENS1_36segmented_radix_sort_config_selectorIdlEEZNS1_25segmented_radix_sort_implIS3_Lb1EPKdPdPKlPlN2at6native12_GLOBAL__N_18offset_tEEE10hipError_tPvRmT1_PNSt15iterator_traitsISK_E10value_typeET2_T3_PNSL_ISQ_E10value_typeET4_jRbjT5_SW_jjP12ihipStream_tbEUlT_E0_NS1_11comp_targetILNS1_3genE3ELNS1_11target_archE908ELNS1_3gpuE7ELNS1_3repE0EEENS1_60segmented_radix_sort_warp_sort_medium_config_static_selectorELNS0_4arch9wavefront6targetE0EEEvSK_ ; -- Begin function _ZN7rocprim17ROCPRIM_400000_NS6detail17trampoline_kernelINS0_14default_configENS1_36segmented_radix_sort_config_selectorIdlEEZNS1_25segmented_radix_sort_implIS3_Lb1EPKdPdPKlPlN2at6native12_GLOBAL__N_18offset_tEEE10hipError_tPvRmT1_PNSt15iterator_traitsISK_E10value_typeET2_T3_PNSL_ISQ_E10value_typeET4_jRbjT5_SW_jjP12ihipStream_tbEUlT_E0_NS1_11comp_targetILNS1_3genE3ELNS1_11target_archE908ELNS1_3gpuE7ELNS1_3repE0EEENS1_60segmented_radix_sort_warp_sort_medium_config_static_selectorELNS0_4arch9wavefront6targetE0EEEvSK_
	.p2align	8
	.type	_ZN7rocprim17ROCPRIM_400000_NS6detail17trampoline_kernelINS0_14default_configENS1_36segmented_radix_sort_config_selectorIdlEEZNS1_25segmented_radix_sort_implIS3_Lb1EPKdPdPKlPlN2at6native12_GLOBAL__N_18offset_tEEE10hipError_tPvRmT1_PNSt15iterator_traitsISK_E10value_typeET2_T3_PNSL_ISQ_E10value_typeET4_jRbjT5_SW_jjP12ihipStream_tbEUlT_E0_NS1_11comp_targetILNS1_3genE3ELNS1_11target_archE908ELNS1_3gpuE7ELNS1_3repE0EEENS1_60segmented_radix_sort_warp_sort_medium_config_static_selectorELNS0_4arch9wavefront6targetE0EEEvSK_,@function
_ZN7rocprim17ROCPRIM_400000_NS6detail17trampoline_kernelINS0_14default_configENS1_36segmented_radix_sort_config_selectorIdlEEZNS1_25segmented_radix_sort_implIS3_Lb1EPKdPdPKlPlN2at6native12_GLOBAL__N_18offset_tEEE10hipError_tPvRmT1_PNSt15iterator_traitsISK_E10value_typeET2_T3_PNSL_ISQ_E10value_typeET4_jRbjT5_SW_jjP12ihipStream_tbEUlT_E0_NS1_11comp_targetILNS1_3genE3ELNS1_11target_archE908ELNS1_3gpuE7ELNS1_3repE0EEENS1_60segmented_radix_sort_warp_sort_medium_config_static_selectorELNS0_4arch9wavefront6targetE0EEEvSK_: ; @_ZN7rocprim17ROCPRIM_400000_NS6detail17trampoline_kernelINS0_14default_configENS1_36segmented_radix_sort_config_selectorIdlEEZNS1_25segmented_radix_sort_implIS3_Lb1EPKdPdPKlPlN2at6native12_GLOBAL__N_18offset_tEEE10hipError_tPvRmT1_PNSt15iterator_traitsISK_E10value_typeET2_T3_PNSL_ISQ_E10value_typeET4_jRbjT5_SW_jjP12ihipStream_tbEUlT_E0_NS1_11comp_targetILNS1_3genE3ELNS1_11target_archE908ELNS1_3gpuE7ELNS1_3repE0EEENS1_60segmented_radix_sort_warp_sort_medium_config_static_selectorELNS0_4arch9wavefront6targetE0EEEvSK_
; %bb.0:
	.section	.rodata,"a",@progbits
	.p2align	6, 0x0
	.amdhsa_kernel _ZN7rocprim17ROCPRIM_400000_NS6detail17trampoline_kernelINS0_14default_configENS1_36segmented_radix_sort_config_selectorIdlEEZNS1_25segmented_radix_sort_implIS3_Lb1EPKdPdPKlPlN2at6native12_GLOBAL__N_18offset_tEEE10hipError_tPvRmT1_PNSt15iterator_traitsISK_E10value_typeET2_T3_PNSL_ISQ_E10value_typeET4_jRbjT5_SW_jjP12ihipStream_tbEUlT_E0_NS1_11comp_targetILNS1_3genE3ELNS1_11target_archE908ELNS1_3gpuE7ELNS1_3repE0EEENS1_60segmented_radix_sort_warp_sort_medium_config_static_selectorELNS0_4arch9wavefront6targetE0EEEvSK_
		.amdhsa_group_segment_fixed_size 0
		.amdhsa_private_segment_fixed_size 0
		.amdhsa_kernarg_size 88
		.amdhsa_user_sgpr_count 6
		.amdhsa_user_sgpr_private_segment_buffer 1
		.amdhsa_user_sgpr_dispatch_ptr 0
		.amdhsa_user_sgpr_queue_ptr 0
		.amdhsa_user_sgpr_kernarg_segment_ptr 1
		.amdhsa_user_sgpr_dispatch_id 0
		.amdhsa_user_sgpr_flat_scratch_init 0
		.amdhsa_user_sgpr_private_segment_size 0
		.amdhsa_wavefront_size32 1
		.amdhsa_uses_dynamic_stack 0
		.amdhsa_system_sgpr_private_segment_wavefront_offset 0
		.amdhsa_system_sgpr_workgroup_id_x 1
		.amdhsa_system_sgpr_workgroup_id_y 0
		.amdhsa_system_sgpr_workgroup_id_z 0
		.amdhsa_system_sgpr_workgroup_info 0
		.amdhsa_system_vgpr_workitem_id 0
		.amdhsa_next_free_vgpr 1
		.amdhsa_next_free_sgpr 1
		.amdhsa_reserve_vcc 0
		.amdhsa_reserve_flat_scratch 0
		.amdhsa_float_round_mode_32 0
		.amdhsa_float_round_mode_16_64 0
		.amdhsa_float_denorm_mode_32 3
		.amdhsa_float_denorm_mode_16_64 3
		.amdhsa_dx10_clamp 1
		.amdhsa_ieee_mode 1
		.amdhsa_fp16_overflow 0
		.amdhsa_workgroup_processor_mode 1
		.amdhsa_memory_ordered 1
		.amdhsa_forward_progress 1
		.amdhsa_shared_vgpr_count 0
		.amdhsa_exception_fp_ieee_invalid_op 0
		.amdhsa_exception_fp_denorm_src 0
		.amdhsa_exception_fp_ieee_div_zero 0
		.amdhsa_exception_fp_ieee_overflow 0
		.amdhsa_exception_fp_ieee_underflow 0
		.amdhsa_exception_fp_ieee_inexact 0
		.amdhsa_exception_int_div_zero 0
	.end_amdhsa_kernel
	.section	.text._ZN7rocprim17ROCPRIM_400000_NS6detail17trampoline_kernelINS0_14default_configENS1_36segmented_radix_sort_config_selectorIdlEEZNS1_25segmented_radix_sort_implIS3_Lb1EPKdPdPKlPlN2at6native12_GLOBAL__N_18offset_tEEE10hipError_tPvRmT1_PNSt15iterator_traitsISK_E10value_typeET2_T3_PNSL_ISQ_E10value_typeET4_jRbjT5_SW_jjP12ihipStream_tbEUlT_E0_NS1_11comp_targetILNS1_3genE3ELNS1_11target_archE908ELNS1_3gpuE7ELNS1_3repE0EEENS1_60segmented_radix_sort_warp_sort_medium_config_static_selectorELNS0_4arch9wavefront6targetE0EEEvSK_,"axG",@progbits,_ZN7rocprim17ROCPRIM_400000_NS6detail17trampoline_kernelINS0_14default_configENS1_36segmented_radix_sort_config_selectorIdlEEZNS1_25segmented_radix_sort_implIS3_Lb1EPKdPdPKlPlN2at6native12_GLOBAL__N_18offset_tEEE10hipError_tPvRmT1_PNSt15iterator_traitsISK_E10value_typeET2_T3_PNSL_ISQ_E10value_typeET4_jRbjT5_SW_jjP12ihipStream_tbEUlT_E0_NS1_11comp_targetILNS1_3genE3ELNS1_11target_archE908ELNS1_3gpuE7ELNS1_3repE0EEENS1_60segmented_radix_sort_warp_sort_medium_config_static_selectorELNS0_4arch9wavefront6targetE0EEEvSK_,comdat
.Lfunc_end1123:
	.size	_ZN7rocprim17ROCPRIM_400000_NS6detail17trampoline_kernelINS0_14default_configENS1_36segmented_radix_sort_config_selectorIdlEEZNS1_25segmented_radix_sort_implIS3_Lb1EPKdPdPKlPlN2at6native12_GLOBAL__N_18offset_tEEE10hipError_tPvRmT1_PNSt15iterator_traitsISK_E10value_typeET2_T3_PNSL_ISQ_E10value_typeET4_jRbjT5_SW_jjP12ihipStream_tbEUlT_E0_NS1_11comp_targetILNS1_3genE3ELNS1_11target_archE908ELNS1_3gpuE7ELNS1_3repE0EEENS1_60segmented_radix_sort_warp_sort_medium_config_static_selectorELNS0_4arch9wavefront6targetE0EEEvSK_, .Lfunc_end1123-_ZN7rocprim17ROCPRIM_400000_NS6detail17trampoline_kernelINS0_14default_configENS1_36segmented_radix_sort_config_selectorIdlEEZNS1_25segmented_radix_sort_implIS3_Lb1EPKdPdPKlPlN2at6native12_GLOBAL__N_18offset_tEEE10hipError_tPvRmT1_PNSt15iterator_traitsISK_E10value_typeET2_T3_PNSL_ISQ_E10value_typeET4_jRbjT5_SW_jjP12ihipStream_tbEUlT_E0_NS1_11comp_targetILNS1_3genE3ELNS1_11target_archE908ELNS1_3gpuE7ELNS1_3repE0EEENS1_60segmented_radix_sort_warp_sort_medium_config_static_selectorELNS0_4arch9wavefront6targetE0EEEvSK_
                                        ; -- End function
	.set _ZN7rocprim17ROCPRIM_400000_NS6detail17trampoline_kernelINS0_14default_configENS1_36segmented_radix_sort_config_selectorIdlEEZNS1_25segmented_radix_sort_implIS3_Lb1EPKdPdPKlPlN2at6native12_GLOBAL__N_18offset_tEEE10hipError_tPvRmT1_PNSt15iterator_traitsISK_E10value_typeET2_T3_PNSL_ISQ_E10value_typeET4_jRbjT5_SW_jjP12ihipStream_tbEUlT_E0_NS1_11comp_targetILNS1_3genE3ELNS1_11target_archE908ELNS1_3gpuE7ELNS1_3repE0EEENS1_60segmented_radix_sort_warp_sort_medium_config_static_selectorELNS0_4arch9wavefront6targetE0EEEvSK_.num_vgpr, 0
	.set _ZN7rocprim17ROCPRIM_400000_NS6detail17trampoline_kernelINS0_14default_configENS1_36segmented_radix_sort_config_selectorIdlEEZNS1_25segmented_radix_sort_implIS3_Lb1EPKdPdPKlPlN2at6native12_GLOBAL__N_18offset_tEEE10hipError_tPvRmT1_PNSt15iterator_traitsISK_E10value_typeET2_T3_PNSL_ISQ_E10value_typeET4_jRbjT5_SW_jjP12ihipStream_tbEUlT_E0_NS1_11comp_targetILNS1_3genE3ELNS1_11target_archE908ELNS1_3gpuE7ELNS1_3repE0EEENS1_60segmented_radix_sort_warp_sort_medium_config_static_selectorELNS0_4arch9wavefront6targetE0EEEvSK_.num_agpr, 0
	.set _ZN7rocprim17ROCPRIM_400000_NS6detail17trampoline_kernelINS0_14default_configENS1_36segmented_radix_sort_config_selectorIdlEEZNS1_25segmented_radix_sort_implIS3_Lb1EPKdPdPKlPlN2at6native12_GLOBAL__N_18offset_tEEE10hipError_tPvRmT1_PNSt15iterator_traitsISK_E10value_typeET2_T3_PNSL_ISQ_E10value_typeET4_jRbjT5_SW_jjP12ihipStream_tbEUlT_E0_NS1_11comp_targetILNS1_3genE3ELNS1_11target_archE908ELNS1_3gpuE7ELNS1_3repE0EEENS1_60segmented_radix_sort_warp_sort_medium_config_static_selectorELNS0_4arch9wavefront6targetE0EEEvSK_.numbered_sgpr, 0
	.set _ZN7rocprim17ROCPRIM_400000_NS6detail17trampoline_kernelINS0_14default_configENS1_36segmented_radix_sort_config_selectorIdlEEZNS1_25segmented_radix_sort_implIS3_Lb1EPKdPdPKlPlN2at6native12_GLOBAL__N_18offset_tEEE10hipError_tPvRmT1_PNSt15iterator_traitsISK_E10value_typeET2_T3_PNSL_ISQ_E10value_typeET4_jRbjT5_SW_jjP12ihipStream_tbEUlT_E0_NS1_11comp_targetILNS1_3genE3ELNS1_11target_archE908ELNS1_3gpuE7ELNS1_3repE0EEENS1_60segmented_radix_sort_warp_sort_medium_config_static_selectorELNS0_4arch9wavefront6targetE0EEEvSK_.num_named_barrier, 0
	.set _ZN7rocprim17ROCPRIM_400000_NS6detail17trampoline_kernelINS0_14default_configENS1_36segmented_radix_sort_config_selectorIdlEEZNS1_25segmented_radix_sort_implIS3_Lb1EPKdPdPKlPlN2at6native12_GLOBAL__N_18offset_tEEE10hipError_tPvRmT1_PNSt15iterator_traitsISK_E10value_typeET2_T3_PNSL_ISQ_E10value_typeET4_jRbjT5_SW_jjP12ihipStream_tbEUlT_E0_NS1_11comp_targetILNS1_3genE3ELNS1_11target_archE908ELNS1_3gpuE7ELNS1_3repE0EEENS1_60segmented_radix_sort_warp_sort_medium_config_static_selectorELNS0_4arch9wavefront6targetE0EEEvSK_.private_seg_size, 0
	.set _ZN7rocprim17ROCPRIM_400000_NS6detail17trampoline_kernelINS0_14default_configENS1_36segmented_radix_sort_config_selectorIdlEEZNS1_25segmented_radix_sort_implIS3_Lb1EPKdPdPKlPlN2at6native12_GLOBAL__N_18offset_tEEE10hipError_tPvRmT1_PNSt15iterator_traitsISK_E10value_typeET2_T3_PNSL_ISQ_E10value_typeET4_jRbjT5_SW_jjP12ihipStream_tbEUlT_E0_NS1_11comp_targetILNS1_3genE3ELNS1_11target_archE908ELNS1_3gpuE7ELNS1_3repE0EEENS1_60segmented_radix_sort_warp_sort_medium_config_static_selectorELNS0_4arch9wavefront6targetE0EEEvSK_.uses_vcc, 0
	.set _ZN7rocprim17ROCPRIM_400000_NS6detail17trampoline_kernelINS0_14default_configENS1_36segmented_radix_sort_config_selectorIdlEEZNS1_25segmented_radix_sort_implIS3_Lb1EPKdPdPKlPlN2at6native12_GLOBAL__N_18offset_tEEE10hipError_tPvRmT1_PNSt15iterator_traitsISK_E10value_typeET2_T3_PNSL_ISQ_E10value_typeET4_jRbjT5_SW_jjP12ihipStream_tbEUlT_E0_NS1_11comp_targetILNS1_3genE3ELNS1_11target_archE908ELNS1_3gpuE7ELNS1_3repE0EEENS1_60segmented_radix_sort_warp_sort_medium_config_static_selectorELNS0_4arch9wavefront6targetE0EEEvSK_.uses_flat_scratch, 0
	.set _ZN7rocprim17ROCPRIM_400000_NS6detail17trampoline_kernelINS0_14default_configENS1_36segmented_radix_sort_config_selectorIdlEEZNS1_25segmented_radix_sort_implIS3_Lb1EPKdPdPKlPlN2at6native12_GLOBAL__N_18offset_tEEE10hipError_tPvRmT1_PNSt15iterator_traitsISK_E10value_typeET2_T3_PNSL_ISQ_E10value_typeET4_jRbjT5_SW_jjP12ihipStream_tbEUlT_E0_NS1_11comp_targetILNS1_3genE3ELNS1_11target_archE908ELNS1_3gpuE7ELNS1_3repE0EEENS1_60segmented_radix_sort_warp_sort_medium_config_static_selectorELNS0_4arch9wavefront6targetE0EEEvSK_.has_dyn_sized_stack, 0
	.set _ZN7rocprim17ROCPRIM_400000_NS6detail17trampoline_kernelINS0_14default_configENS1_36segmented_radix_sort_config_selectorIdlEEZNS1_25segmented_radix_sort_implIS3_Lb1EPKdPdPKlPlN2at6native12_GLOBAL__N_18offset_tEEE10hipError_tPvRmT1_PNSt15iterator_traitsISK_E10value_typeET2_T3_PNSL_ISQ_E10value_typeET4_jRbjT5_SW_jjP12ihipStream_tbEUlT_E0_NS1_11comp_targetILNS1_3genE3ELNS1_11target_archE908ELNS1_3gpuE7ELNS1_3repE0EEENS1_60segmented_radix_sort_warp_sort_medium_config_static_selectorELNS0_4arch9wavefront6targetE0EEEvSK_.has_recursion, 0
	.set _ZN7rocprim17ROCPRIM_400000_NS6detail17trampoline_kernelINS0_14default_configENS1_36segmented_radix_sort_config_selectorIdlEEZNS1_25segmented_radix_sort_implIS3_Lb1EPKdPdPKlPlN2at6native12_GLOBAL__N_18offset_tEEE10hipError_tPvRmT1_PNSt15iterator_traitsISK_E10value_typeET2_T3_PNSL_ISQ_E10value_typeET4_jRbjT5_SW_jjP12ihipStream_tbEUlT_E0_NS1_11comp_targetILNS1_3genE3ELNS1_11target_archE908ELNS1_3gpuE7ELNS1_3repE0EEENS1_60segmented_radix_sort_warp_sort_medium_config_static_selectorELNS0_4arch9wavefront6targetE0EEEvSK_.has_indirect_call, 0
	.section	.AMDGPU.csdata,"",@progbits
; Kernel info:
; codeLenInByte = 0
; TotalNumSgprs: 0
; NumVgprs: 0
; ScratchSize: 0
; MemoryBound: 0
; FloatMode: 240
; IeeeMode: 1
; LDSByteSize: 0 bytes/workgroup (compile time only)
; SGPRBlocks: 0
; VGPRBlocks: 0
; NumSGPRsForWavesPerEU: 1
; NumVGPRsForWavesPerEU: 1
; Occupancy: 16
; WaveLimiterHint : 0
; COMPUTE_PGM_RSRC2:SCRATCH_EN: 0
; COMPUTE_PGM_RSRC2:USER_SGPR: 6
; COMPUTE_PGM_RSRC2:TRAP_HANDLER: 0
; COMPUTE_PGM_RSRC2:TGID_X_EN: 1
; COMPUTE_PGM_RSRC2:TGID_Y_EN: 0
; COMPUTE_PGM_RSRC2:TGID_Z_EN: 0
; COMPUTE_PGM_RSRC2:TIDIG_COMP_CNT: 0
	.section	.text._ZN7rocprim17ROCPRIM_400000_NS6detail17trampoline_kernelINS0_14default_configENS1_36segmented_radix_sort_config_selectorIdlEEZNS1_25segmented_radix_sort_implIS3_Lb1EPKdPdPKlPlN2at6native12_GLOBAL__N_18offset_tEEE10hipError_tPvRmT1_PNSt15iterator_traitsISK_E10value_typeET2_T3_PNSL_ISQ_E10value_typeET4_jRbjT5_SW_jjP12ihipStream_tbEUlT_E0_NS1_11comp_targetILNS1_3genE2ELNS1_11target_archE906ELNS1_3gpuE6ELNS1_3repE0EEENS1_60segmented_radix_sort_warp_sort_medium_config_static_selectorELNS0_4arch9wavefront6targetE0EEEvSK_,"axG",@progbits,_ZN7rocprim17ROCPRIM_400000_NS6detail17trampoline_kernelINS0_14default_configENS1_36segmented_radix_sort_config_selectorIdlEEZNS1_25segmented_radix_sort_implIS3_Lb1EPKdPdPKlPlN2at6native12_GLOBAL__N_18offset_tEEE10hipError_tPvRmT1_PNSt15iterator_traitsISK_E10value_typeET2_T3_PNSL_ISQ_E10value_typeET4_jRbjT5_SW_jjP12ihipStream_tbEUlT_E0_NS1_11comp_targetILNS1_3genE2ELNS1_11target_archE906ELNS1_3gpuE6ELNS1_3repE0EEENS1_60segmented_radix_sort_warp_sort_medium_config_static_selectorELNS0_4arch9wavefront6targetE0EEEvSK_,comdat
	.globl	_ZN7rocprim17ROCPRIM_400000_NS6detail17trampoline_kernelINS0_14default_configENS1_36segmented_radix_sort_config_selectorIdlEEZNS1_25segmented_radix_sort_implIS3_Lb1EPKdPdPKlPlN2at6native12_GLOBAL__N_18offset_tEEE10hipError_tPvRmT1_PNSt15iterator_traitsISK_E10value_typeET2_T3_PNSL_ISQ_E10value_typeET4_jRbjT5_SW_jjP12ihipStream_tbEUlT_E0_NS1_11comp_targetILNS1_3genE2ELNS1_11target_archE906ELNS1_3gpuE6ELNS1_3repE0EEENS1_60segmented_radix_sort_warp_sort_medium_config_static_selectorELNS0_4arch9wavefront6targetE0EEEvSK_ ; -- Begin function _ZN7rocprim17ROCPRIM_400000_NS6detail17trampoline_kernelINS0_14default_configENS1_36segmented_radix_sort_config_selectorIdlEEZNS1_25segmented_radix_sort_implIS3_Lb1EPKdPdPKlPlN2at6native12_GLOBAL__N_18offset_tEEE10hipError_tPvRmT1_PNSt15iterator_traitsISK_E10value_typeET2_T3_PNSL_ISQ_E10value_typeET4_jRbjT5_SW_jjP12ihipStream_tbEUlT_E0_NS1_11comp_targetILNS1_3genE2ELNS1_11target_archE906ELNS1_3gpuE6ELNS1_3repE0EEENS1_60segmented_radix_sort_warp_sort_medium_config_static_selectorELNS0_4arch9wavefront6targetE0EEEvSK_
	.p2align	8
	.type	_ZN7rocprim17ROCPRIM_400000_NS6detail17trampoline_kernelINS0_14default_configENS1_36segmented_radix_sort_config_selectorIdlEEZNS1_25segmented_radix_sort_implIS3_Lb1EPKdPdPKlPlN2at6native12_GLOBAL__N_18offset_tEEE10hipError_tPvRmT1_PNSt15iterator_traitsISK_E10value_typeET2_T3_PNSL_ISQ_E10value_typeET4_jRbjT5_SW_jjP12ihipStream_tbEUlT_E0_NS1_11comp_targetILNS1_3genE2ELNS1_11target_archE906ELNS1_3gpuE6ELNS1_3repE0EEENS1_60segmented_radix_sort_warp_sort_medium_config_static_selectorELNS0_4arch9wavefront6targetE0EEEvSK_,@function
_ZN7rocprim17ROCPRIM_400000_NS6detail17trampoline_kernelINS0_14default_configENS1_36segmented_radix_sort_config_selectorIdlEEZNS1_25segmented_radix_sort_implIS3_Lb1EPKdPdPKlPlN2at6native12_GLOBAL__N_18offset_tEEE10hipError_tPvRmT1_PNSt15iterator_traitsISK_E10value_typeET2_T3_PNSL_ISQ_E10value_typeET4_jRbjT5_SW_jjP12ihipStream_tbEUlT_E0_NS1_11comp_targetILNS1_3genE2ELNS1_11target_archE906ELNS1_3gpuE6ELNS1_3repE0EEENS1_60segmented_radix_sort_warp_sort_medium_config_static_selectorELNS0_4arch9wavefront6targetE0EEEvSK_: ; @_ZN7rocprim17ROCPRIM_400000_NS6detail17trampoline_kernelINS0_14default_configENS1_36segmented_radix_sort_config_selectorIdlEEZNS1_25segmented_radix_sort_implIS3_Lb1EPKdPdPKlPlN2at6native12_GLOBAL__N_18offset_tEEE10hipError_tPvRmT1_PNSt15iterator_traitsISK_E10value_typeET2_T3_PNSL_ISQ_E10value_typeET4_jRbjT5_SW_jjP12ihipStream_tbEUlT_E0_NS1_11comp_targetILNS1_3genE2ELNS1_11target_archE906ELNS1_3gpuE6ELNS1_3repE0EEENS1_60segmented_radix_sort_warp_sort_medium_config_static_selectorELNS0_4arch9wavefront6targetE0EEEvSK_
; %bb.0:
	.section	.rodata,"a",@progbits
	.p2align	6, 0x0
	.amdhsa_kernel _ZN7rocprim17ROCPRIM_400000_NS6detail17trampoline_kernelINS0_14default_configENS1_36segmented_radix_sort_config_selectorIdlEEZNS1_25segmented_radix_sort_implIS3_Lb1EPKdPdPKlPlN2at6native12_GLOBAL__N_18offset_tEEE10hipError_tPvRmT1_PNSt15iterator_traitsISK_E10value_typeET2_T3_PNSL_ISQ_E10value_typeET4_jRbjT5_SW_jjP12ihipStream_tbEUlT_E0_NS1_11comp_targetILNS1_3genE2ELNS1_11target_archE906ELNS1_3gpuE6ELNS1_3repE0EEENS1_60segmented_radix_sort_warp_sort_medium_config_static_selectorELNS0_4arch9wavefront6targetE0EEEvSK_
		.amdhsa_group_segment_fixed_size 0
		.amdhsa_private_segment_fixed_size 0
		.amdhsa_kernarg_size 88
		.amdhsa_user_sgpr_count 6
		.amdhsa_user_sgpr_private_segment_buffer 1
		.amdhsa_user_sgpr_dispatch_ptr 0
		.amdhsa_user_sgpr_queue_ptr 0
		.amdhsa_user_sgpr_kernarg_segment_ptr 1
		.amdhsa_user_sgpr_dispatch_id 0
		.amdhsa_user_sgpr_flat_scratch_init 0
		.amdhsa_user_sgpr_private_segment_size 0
		.amdhsa_wavefront_size32 1
		.amdhsa_uses_dynamic_stack 0
		.amdhsa_system_sgpr_private_segment_wavefront_offset 0
		.amdhsa_system_sgpr_workgroup_id_x 1
		.amdhsa_system_sgpr_workgroup_id_y 0
		.amdhsa_system_sgpr_workgroup_id_z 0
		.amdhsa_system_sgpr_workgroup_info 0
		.amdhsa_system_vgpr_workitem_id 0
		.amdhsa_next_free_vgpr 1
		.amdhsa_next_free_sgpr 1
		.amdhsa_reserve_vcc 0
		.amdhsa_reserve_flat_scratch 0
		.amdhsa_float_round_mode_32 0
		.amdhsa_float_round_mode_16_64 0
		.amdhsa_float_denorm_mode_32 3
		.amdhsa_float_denorm_mode_16_64 3
		.amdhsa_dx10_clamp 1
		.amdhsa_ieee_mode 1
		.amdhsa_fp16_overflow 0
		.amdhsa_workgroup_processor_mode 1
		.amdhsa_memory_ordered 1
		.amdhsa_forward_progress 1
		.amdhsa_shared_vgpr_count 0
		.amdhsa_exception_fp_ieee_invalid_op 0
		.amdhsa_exception_fp_denorm_src 0
		.amdhsa_exception_fp_ieee_div_zero 0
		.amdhsa_exception_fp_ieee_overflow 0
		.amdhsa_exception_fp_ieee_underflow 0
		.amdhsa_exception_fp_ieee_inexact 0
		.amdhsa_exception_int_div_zero 0
	.end_amdhsa_kernel
	.section	.text._ZN7rocprim17ROCPRIM_400000_NS6detail17trampoline_kernelINS0_14default_configENS1_36segmented_radix_sort_config_selectorIdlEEZNS1_25segmented_radix_sort_implIS3_Lb1EPKdPdPKlPlN2at6native12_GLOBAL__N_18offset_tEEE10hipError_tPvRmT1_PNSt15iterator_traitsISK_E10value_typeET2_T3_PNSL_ISQ_E10value_typeET4_jRbjT5_SW_jjP12ihipStream_tbEUlT_E0_NS1_11comp_targetILNS1_3genE2ELNS1_11target_archE906ELNS1_3gpuE6ELNS1_3repE0EEENS1_60segmented_radix_sort_warp_sort_medium_config_static_selectorELNS0_4arch9wavefront6targetE0EEEvSK_,"axG",@progbits,_ZN7rocprim17ROCPRIM_400000_NS6detail17trampoline_kernelINS0_14default_configENS1_36segmented_radix_sort_config_selectorIdlEEZNS1_25segmented_radix_sort_implIS3_Lb1EPKdPdPKlPlN2at6native12_GLOBAL__N_18offset_tEEE10hipError_tPvRmT1_PNSt15iterator_traitsISK_E10value_typeET2_T3_PNSL_ISQ_E10value_typeET4_jRbjT5_SW_jjP12ihipStream_tbEUlT_E0_NS1_11comp_targetILNS1_3genE2ELNS1_11target_archE906ELNS1_3gpuE6ELNS1_3repE0EEENS1_60segmented_radix_sort_warp_sort_medium_config_static_selectorELNS0_4arch9wavefront6targetE0EEEvSK_,comdat
.Lfunc_end1124:
	.size	_ZN7rocprim17ROCPRIM_400000_NS6detail17trampoline_kernelINS0_14default_configENS1_36segmented_radix_sort_config_selectorIdlEEZNS1_25segmented_radix_sort_implIS3_Lb1EPKdPdPKlPlN2at6native12_GLOBAL__N_18offset_tEEE10hipError_tPvRmT1_PNSt15iterator_traitsISK_E10value_typeET2_T3_PNSL_ISQ_E10value_typeET4_jRbjT5_SW_jjP12ihipStream_tbEUlT_E0_NS1_11comp_targetILNS1_3genE2ELNS1_11target_archE906ELNS1_3gpuE6ELNS1_3repE0EEENS1_60segmented_radix_sort_warp_sort_medium_config_static_selectorELNS0_4arch9wavefront6targetE0EEEvSK_, .Lfunc_end1124-_ZN7rocprim17ROCPRIM_400000_NS6detail17trampoline_kernelINS0_14default_configENS1_36segmented_radix_sort_config_selectorIdlEEZNS1_25segmented_radix_sort_implIS3_Lb1EPKdPdPKlPlN2at6native12_GLOBAL__N_18offset_tEEE10hipError_tPvRmT1_PNSt15iterator_traitsISK_E10value_typeET2_T3_PNSL_ISQ_E10value_typeET4_jRbjT5_SW_jjP12ihipStream_tbEUlT_E0_NS1_11comp_targetILNS1_3genE2ELNS1_11target_archE906ELNS1_3gpuE6ELNS1_3repE0EEENS1_60segmented_radix_sort_warp_sort_medium_config_static_selectorELNS0_4arch9wavefront6targetE0EEEvSK_
                                        ; -- End function
	.set _ZN7rocprim17ROCPRIM_400000_NS6detail17trampoline_kernelINS0_14default_configENS1_36segmented_radix_sort_config_selectorIdlEEZNS1_25segmented_radix_sort_implIS3_Lb1EPKdPdPKlPlN2at6native12_GLOBAL__N_18offset_tEEE10hipError_tPvRmT1_PNSt15iterator_traitsISK_E10value_typeET2_T3_PNSL_ISQ_E10value_typeET4_jRbjT5_SW_jjP12ihipStream_tbEUlT_E0_NS1_11comp_targetILNS1_3genE2ELNS1_11target_archE906ELNS1_3gpuE6ELNS1_3repE0EEENS1_60segmented_radix_sort_warp_sort_medium_config_static_selectorELNS0_4arch9wavefront6targetE0EEEvSK_.num_vgpr, 0
	.set _ZN7rocprim17ROCPRIM_400000_NS6detail17trampoline_kernelINS0_14default_configENS1_36segmented_radix_sort_config_selectorIdlEEZNS1_25segmented_radix_sort_implIS3_Lb1EPKdPdPKlPlN2at6native12_GLOBAL__N_18offset_tEEE10hipError_tPvRmT1_PNSt15iterator_traitsISK_E10value_typeET2_T3_PNSL_ISQ_E10value_typeET4_jRbjT5_SW_jjP12ihipStream_tbEUlT_E0_NS1_11comp_targetILNS1_3genE2ELNS1_11target_archE906ELNS1_3gpuE6ELNS1_3repE0EEENS1_60segmented_radix_sort_warp_sort_medium_config_static_selectorELNS0_4arch9wavefront6targetE0EEEvSK_.num_agpr, 0
	.set _ZN7rocprim17ROCPRIM_400000_NS6detail17trampoline_kernelINS0_14default_configENS1_36segmented_radix_sort_config_selectorIdlEEZNS1_25segmented_radix_sort_implIS3_Lb1EPKdPdPKlPlN2at6native12_GLOBAL__N_18offset_tEEE10hipError_tPvRmT1_PNSt15iterator_traitsISK_E10value_typeET2_T3_PNSL_ISQ_E10value_typeET4_jRbjT5_SW_jjP12ihipStream_tbEUlT_E0_NS1_11comp_targetILNS1_3genE2ELNS1_11target_archE906ELNS1_3gpuE6ELNS1_3repE0EEENS1_60segmented_radix_sort_warp_sort_medium_config_static_selectorELNS0_4arch9wavefront6targetE0EEEvSK_.numbered_sgpr, 0
	.set _ZN7rocprim17ROCPRIM_400000_NS6detail17trampoline_kernelINS0_14default_configENS1_36segmented_radix_sort_config_selectorIdlEEZNS1_25segmented_radix_sort_implIS3_Lb1EPKdPdPKlPlN2at6native12_GLOBAL__N_18offset_tEEE10hipError_tPvRmT1_PNSt15iterator_traitsISK_E10value_typeET2_T3_PNSL_ISQ_E10value_typeET4_jRbjT5_SW_jjP12ihipStream_tbEUlT_E0_NS1_11comp_targetILNS1_3genE2ELNS1_11target_archE906ELNS1_3gpuE6ELNS1_3repE0EEENS1_60segmented_radix_sort_warp_sort_medium_config_static_selectorELNS0_4arch9wavefront6targetE0EEEvSK_.num_named_barrier, 0
	.set _ZN7rocprim17ROCPRIM_400000_NS6detail17trampoline_kernelINS0_14default_configENS1_36segmented_radix_sort_config_selectorIdlEEZNS1_25segmented_radix_sort_implIS3_Lb1EPKdPdPKlPlN2at6native12_GLOBAL__N_18offset_tEEE10hipError_tPvRmT1_PNSt15iterator_traitsISK_E10value_typeET2_T3_PNSL_ISQ_E10value_typeET4_jRbjT5_SW_jjP12ihipStream_tbEUlT_E0_NS1_11comp_targetILNS1_3genE2ELNS1_11target_archE906ELNS1_3gpuE6ELNS1_3repE0EEENS1_60segmented_radix_sort_warp_sort_medium_config_static_selectorELNS0_4arch9wavefront6targetE0EEEvSK_.private_seg_size, 0
	.set _ZN7rocprim17ROCPRIM_400000_NS6detail17trampoline_kernelINS0_14default_configENS1_36segmented_radix_sort_config_selectorIdlEEZNS1_25segmented_radix_sort_implIS3_Lb1EPKdPdPKlPlN2at6native12_GLOBAL__N_18offset_tEEE10hipError_tPvRmT1_PNSt15iterator_traitsISK_E10value_typeET2_T3_PNSL_ISQ_E10value_typeET4_jRbjT5_SW_jjP12ihipStream_tbEUlT_E0_NS1_11comp_targetILNS1_3genE2ELNS1_11target_archE906ELNS1_3gpuE6ELNS1_3repE0EEENS1_60segmented_radix_sort_warp_sort_medium_config_static_selectorELNS0_4arch9wavefront6targetE0EEEvSK_.uses_vcc, 0
	.set _ZN7rocprim17ROCPRIM_400000_NS6detail17trampoline_kernelINS0_14default_configENS1_36segmented_radix_sort_config_selectorIdlEEZNS1_25segmented_radix_sort_implIS3_Lb1EPKdPdPKlPlN2at6native12_GLOBAL__N_18offset_tEEE10hipError_tPvRmT1_PNSt15iterator_traitsISK_E10value_typeET2_T3_PNSL_ISQ_E10value_typeET4_jRbjT5_SW_jjP12ihipStream_tbEUlT_E0_NS1_11comp_targetILNS1_3genE2ELNS1_11target_archE906ELNS1_3gpuE6ELNS1_3repE0EEENS1_60segmented_radix_sort_warp_sort_medium_config_static_selectorELNS0_4arch9wavefront6targetE0EEEvSK_.uses_flat_scratch, 0
	.set _ZN7rocprim17ROCPRIM_400000_NS6detail17trampoline_kernelINS0_14default_configENS1_36segmented_radix_sort_config_selectorIdlEEZNS1_25segmented_radix_sort_implIS3_Lb1EPKdPdPKlPlN2at6native12_GLOBAL__N_18offset_tEEE10hipError_tPvRmT1_PNSt15iterator_traitsISK_E10value_typeET2_T3_PNSL_ISQ_E10value_typeET4_jRbjT5_SW_jjP12ihipStream_tbEUlT_E0_NS1_11comp_targetILNS1_3genE2ELNS1_11target_archE906ELNS1_3gpuE6ELNS1_3repE0EEENS1_60segmented_radix_sort_warp_sort_medium_config_static_selectorELNS0_4arch9wavefront6targetE0EEEvSK_.has_dyn_sized_stack, 0
	.set _ZN7rocprim17ROCPRIM_400000_NS6detail17trampoline_kernelINS0_14default_configENS1_36segmented_radix_sort_config_selectorIdlEEZNS1_25segmented_radix_sort_implIS3_Lb1EPKdPdPKlPlN2at6native12_GLOBAL__N_18offset_tEEE10hipError_tPvRmT1_PNSt15iterator_traitsISK_E10value_typeET2_T3_PNSL_ISQ_E10value_typeET4_jRbjT5_SW_jjP12ihipStream_tbEUlT_E0_NS1_11comp_targetILNS1_3genE2ELNS1_11target_archE906ELNS1_3gpuE6ELNS1_3repE0EEENS1_60segmented_radix_sort_warp_sort_medium_config_static_selectorELNS0_4arch9wavefront6targetE0EEEvSK_.has_recursion, 0
	.set _ZN7rocprim17ROCPRIM_400000_NS6detail17trampoline_kernelINS0_14default_configENS1_36segmented_radix_sort_config_selectorIdlEEZNS1_25segmented_radix_sort_implIS3_Lb1EPKdPdPKlPlN2at6native12_GLOBAL__N_18offset_tEEE10hipError_tPvRmT1_PNSt15iterator_traitsISK_E10value_typeET2_T3_PNSL_ISQ_E10value_typeET4_jRbjT5_SW_jjP12ihipStream_tbEUlT_E0_NS1_11comp_targetILNS1_3genE2ELNS1_11target_archE906ELNS1_3gpuE6ELNS1_3repE0EEENS1_60segmented_radix_sort_warp_sort_medium_config_static_selectorELNS0_4arch9wavefront6targetE0EEEvSK_.has_indirect_call, 0
	.section	.AMDGPU.csdata,"",@progbits
; Kernel info:
; codeLenInByte = 0
; TotalNumSgprs: 0
; NumVgprs: 0
; ScratchSize: 0
; MemoryBound: 0
; FloatMode: 240
; IeeeMode: 1
; LDSByteSize: 0 bytes/workgroup (compile time only)
; SGPRBlocks: 0
; VGPRBlocks: 0
; NumSGPRsForWavesPerEU: 1
; NumVGPRsForWavesPerEU: 1
; Occupancy: 16
; WaveLimiterHint : 0
; COMPUTE_PGM_RSRC2:SCRATCH_EN: 0
; COMPUTE_PGM_RSRC2:USER_SGPR: 6
; COMPUTE_PGM_RSRC2:TRAP_HANDLER: 0
; COMPUTE_PGM_RSRC2:TGID_X_EN: 1
; COMPUTE_PGM_RSRC2:TGID_Y_EN: 0
; COMPUTE_PGM_RSRC2:TGID_Z_EN: 0
; COMPUTE_PGM_RSRC2:TIDIG_COMP_CNT: 0
	.section	.text._ZN7rocprim17ROCPRIM_400000_NS6detail17trampoline_kernelINS0_14default_configENS1_36segmented_radix_sort_config_selectorIdlEEZNS1_25segmented_radix_sort_implIS3_Lb1EPKdPdPKlPlN2at6native12_GLOBAL__N_18offset_tEEE10hipError_tPvRmT1_PNSt15iterator_traitsISK_E10value_typeET2_T3_PNSL_ISQ_E10value_typeET4_jRbjT5_SW_jjP12ihipStream_tbEUlT_E0_NS1_11comp_targetILNS1_3genE10ELNS1_11target_archE1201ELNS1_3gpuE5ELNS1_3repE0EEENS1_60segmented_radix_sort_warp_sort_medium_config_static_selectorELNS0_4arch9wavefront6targetE0EEEvSK_,"axG",@progbits,_ZN7rocprim17ROCPRIM_400000_NS6detail17trampoline_kernelINS0_14default_configENS1_36segmented_radix_sort_config_selectorIdlEEZNS1_25segmented_radix_sort_implIS3_Lb1EPKdPdPKlPlN2at6native12_GLOBAL__N_18offset_tEEE10hipError_tPvRmT1_PNSt15iterator_traitsISK_E10value_typeET2_T3_PNSL_ISQ_E10value_typeET4_jRbjT5_SW_jjP12ihipStream_tbEUlT_E0_NS1_11comp_targetILNS1_3genE10ELNS1_11target_archE1201ELNS1_3gpuE5ELNS1_3repE0EEENS1_60segmented_radix_sort_warp_sort_medium_config_static_selectorELNS0_4arch9wavefront6targetE0EEEvSK_,comdat
	.globl	_ZN7rocprim17ROCPRIM_400000_NS6detail17trampoline_kernelINS0_14default_configENS1_36segmented_radix_sort_config_selectorIdlEEZNS1_25segmented_radix_sort_implIS3_Lb1EPKdPdPKlPlN2at6native12_GLOBAL__N_18offset_tEEE10hipError_tPvRmT1_PNSt15iterator_traitsISK_E10value_typeET2_T3_PNSL_ISQ_E10value_typeET4_jRbjT5_SW_jjP12ihipStream_tbEUlT_E0_NS1_11comp_targetILNS1_3genE10ELNS1_11target_archE1201ELNS1_3gpuE5ELNS1_3repE0EEENS1_60segmented_radix_sort_warp_sort_medium_config_static_selectorELNS0_4arch9wavefront6targetE0EEEvSK_ ; -- Begin function _ZN7rocprim17ROCPRIM_400000_NS6detail17trampoline_kernelINS0_14default_configENS1_36segmented_radix_sort_config_selectorIdlEEZNS1_25segmented_radix_sort_implIS3_Lb1EPKdPdPKlPlN2at6native12_GLOBAL__N_18offset_tEEE10hipError_tPvRmT1_PNSt15iterator_traitsISK_E10value_typeET2_T3_PNSL_ISQ_E10value_typeET4_jRbjT5_SW_jjP12ihipStream_tbEUlT_E0_NS1_11comp_targetILNS1_3genE10ELNS1_11target_archE1201ELNS1_3gpuE5ELNS1_3repE0EEENS1_60segmented_radix_sort_warp_sort_medium_config_static_selectorELNS0_4arch9wavefront6targetE0EEEvSK_
	.p2align	8
	.type	_ZN7rocprim17ROCPRIM_400000_NS6detail17trampoline_kernelINS0_14default_configENS1_36segmented_radix_sort_config_selectorIdlEEZNS1_25segmented_radix_sort_implIS3_Lb1EPKdPdPKlPlN2at6native12_GLOBAL__N_18offset_tEEE10hipError_tPvRmT1_PNSt15iterator_traitsISK_E10value_typeET2_T3_PNSL_ISQ_E10value_typeET4_jRbjT5_SW_jjP12ihipStream_tbEUlT_E0_NS1_11comp_targetILNS1_3genE10ELNS1_11target_archE1201ELNS1_3gpuE5ELNS1_3repE0EEENS1_60segmented_radix_sort_warp_sort_medium_config_static_selectorELNS0_4arch9wavefront6targetE0EEEvSK_,@function
_ZN7rocprim17ROCPRIM_400000_NS6detail17trampoline_kernelINS0_14default_configENS1_36segmented_radix_sort_config_selectorIdlEEZNS1_25segmented_radix_sort_implIS3_Lb1EPKdPdPKlPlN2at6native12_GLOBAL__N_18offset_tEEE10hipError_tPvRmT1_PNSt15iterator_traitsISK_E10value_typeET2_T3_PNSL_ISQ_E10value_typeET4_jRbjT5_SW_jjP12ihipStream_tbEUlT_E0_NS1_11comp_targetILNS1_3genE10ELNS1_11target_archE1201ELNS1_3gpuE5ELNS1_3repE0EEENS1_60segmented_radix_sort_warp_sort_medium_config_static_selectorELNS0_4arch9wavefront6targetE0EEEvSK_: ; @_ZN7rocprim17ROCPRIM_400000_NS6detail17trampoline_kernelINS0_14default_configENS1_36segmented_radix_sort_config_selectorIdlEEZNS1_25segmented_radix_sort_implIS3_Lb1EPKdPdPKlPlN2at6native12_GLOBAL__N_18offset_tEEE10hipError_tPvRmT1_PNSt15iterator_traitsISK_E10value_typeET2_T3_PNSL_ISQ_E10value_typeET4_jRbjT5_SW_jjP12ihipStream_tbEUlT_E0_NS1_11comp_targetILNS1_3genE10ELNS1_11target_archE1201ELNS1_3gpuE5ELNS1_3repE0EEENS1_60segmented_radix_sort_warp_sort_medium_config_static_selectorELNS0_4arch9wavefront6targetE0EEEvSK_
; %bb.0:
	.section	.rodata,"a",@progbits
	.p2align	6, 0x0
	.amdhsa_kernel _ZN7rocprim17ROCPRIM_400000_NS6detail17trampoline_kernelINS0_14default_configENS1_36segmented_radix_sort_config_selectorIdlEEZNS1_25segmented_radix_sort_implIS3_Lb1EPKdPdPKlPlN2at6native12_GLOBAL__N_18offset_tEEE10hipError_tPvRmT1_PNSt15iterator_traitsISK_E10value_typeET2_T3_PNSL_ISQ_E10value_typeET4_jRbjT5_SW_jjP12ihipStream_tbEUlT_E0_NS1_11comp_targetILNS1_3genE10ELNS1_11target_archE1201ELNS1_3gpuE5ELNS1_3repE0EEENS1_60segmented_radix_sort_warp_sort_medium_config_static_selectorELNS0_4arch9wavefront6targetE0EEEvSK_
		.amdhsa_group_segment_fixed_size 0
		.amdhsa_private_segment_fixed_size 0
		.amdhsa_kernarg_size 88
		.amdhsa_user_sgpr_count 6
		.amdhsa_user_sgpr_private_segment_buffer 1
		.amdhsa_user_sgpr_dispatch_ptr 0
		.amdhsa_user_sgpr_queue_ptr 0
		.amdhsa_user_sgpr_kernarg_segment_ptr 1
		.amdhsa_user_sgpr_dispatch_id 0
		.amdhsa_user_sgpr_flat_scratch_init 0
		.amdhsa_user_sgpr_private_segment_size 0
		.amdhsa_wavefront_size32 1
		.amdhsa_uses_dynamic_stack 0
		.amdhsa_system_sgpr_private_segment_wavefront_offset 0
		.amdhsa_system_sgpr_workgroup_id_x 1
		.amdhsa_system_sgpr_workgroup_id_y 0
		.amdhsa_system_sgpr_workgroup_id_z 0
		.amdhsa_system_sgpr_workgroup_info 0
		.amdhsa_system_vgpr_workitem_id 0
		.amdhsa_next_free_vgpr 1
		.amdhsa_next_free_sgpr 1
		.amdhsa_reserve_vcc 0
		.amdhsa_reserve_flat_scratch 0
		.amdhsa_float_round_mode_32 0
		.amdhsa_float_round_mode_16_64 0
		.amdhsa_float_denorm_mode_32 3
		.amdhsa_float_denorm_mode_16_64 3
		.amdhsa_dx10_clamp 1
		.amdhsa_ieee_mode 1
		.amdhsa_fp16_overflow 0
		.amdhsa_workgroup_processor_mode 1
		.amdhsa_memory_ordered 1
		.amdhsa_forward_progress 1
		.amdhsa_shared_vgpr_count 0
		.amdhsa_exception_fp_ieee_invalid_op 0
		.amdhsa_exception_fp_denorm_src 0
		.amdhsa_exception_fp_ieee_div_zero 0
		.amdhsa_exception_fp_ieee_overflow 0
		.amdhsa_exception_fp_ieee_underflow 0
		.amdhsa_exception_fp_ieee_inexact 0
		.amdhsa_exception_int_div_zero 0
	.end_amdhsa_kernel
	.section	.text._ZN7rocprim17ROCPRIM_400000_NS6detail17trampoline_kernelINS0_14default_configENS1_36segmented_radix_sort_config_selectorIdlEEZNS1_25segmented_radix_sort_implIS3_Lb1EPKdPdPKlPlN2at6native12_GLOBAL__N_18offset_tEEE10hipError_tPvRmT1_PNSt15iterator_traitsISK_E10value_typeET2_T3_PNSL_ISQ_E10value_typeET4_jRbjT5_SW_jjP12ihipStream_tbEUlT_E0_NS1_11comp_targetILNS1_3genE10ELNS1_11target_archE1201ELNS1_3gpuE5ELNS1_3repE0EEENS1_60segmented_radix_sort_warp_sort_medium_config_static_selectorELNS0_4arch9wavefront6targetE0EEEvSK_,"axG",@progbits,_ZN7rocprim17ROCPRIM_400000_NS6detail17trampoline_kernelINS0_14default_configENS1_36segmented_radix_sort_config_selectorIdlEEZNS1_25segmented_radix_sort_implIS3_Lb1EPKdPdPKlPlN2at6native12_GLOBAL__N_18offset_tEEE10hipError_tPvRmT1_PNSt15iterator_traitsISK_E10value_typeET2_T3_PNSL_ISQ_E10value_typeET4_jRbjT5_SW_jjP12ihipStream_tbEUlT_E0_NS1_11comp_targetILNS1_3genE10ELNS1_11target_archE1201ELNS1_3gpuE5ELNS1_3repE0EEENS1_60segmented_radix_sort_warp_sort_medium_config_static_selectorELNS0_4arch9wavefront6targetE0EEEvSK_,comdat
.Lfunc_end1125:
	.size	_ZN7rocprim17ROCPRIM_400000_NS6detail17trampoline_kernelINS0_14default_configENS1_36segmented_radix_sort_config_selectorIdlEEZNS1_25segmented_radix_sort_implIS3_Lb1EPKdPdPKlPlN2at6native12_GLOBAL__N_18offset_tEEE10hipError_tPvRmT1_PNSt15iterator_traitsISK_E10value_typeET2_T3_PNSL_ISQ_E10value_typeET4_jRbjT5_SW_jjP12ihipStream_tbEUlT_E0_NS1_11comp_targetILNS1_3genE10ELNS1_11target_archE1201ELNS1_3gpuE5ELNS1_3repE0EEENS1_60segmented_radix_sort_warp_sort_medium_config_static_selectorELNS0_4arch9wavefront6targetE0EEEvSK_, .Lfunc_end1125-_ZN7rocprim17ROCPRIM_400000_NS6detail17trampoline_kernelINS0_14default_configENS1_36segmented_radix_sort_config_selectorIdlEEZNS1_25segmented_radix_sort_implIS3_Lb1EPKdPdPKlPlN2at6native12_GLOBAL__N_18offset_tEEE10hipError_tPvRmT1_PNSt15iterator_traitsISK_E10value_typeET2_T3_PNSL_ISQ_E10value_typeET4_jRbjT5_SW_jjP12ihipStream_tbEUlT_E0_NS1_11comp_targetILNS1_3genE10ELNS1_11target_archE1201ELNS1_3gpuE5ELNS1_3repE0EEENS1_60segmented_radix_sort_warp_sort_medium_config_static_selectorELNS0_4arch9wavefront6targetE0EEEvSK_
                                        ; -- End function
	.set _ZN7rocprim17ROCPRIM_400000_NS6detail17trampoline_kernelINS0_14default_configENS1_36segmented_radix_sort_config_selectorIdlEEZNS1_25segmented_radix_sort_implIS3_Lb1EPKdPdPKlPlN2at6native12_GLOBAL__N_18offset_tEEE10hipError_tPvRmT1_PNSt15iterator_traitsISK_E10value_typeET2_T3_PNSL_ISQ_E10value_typeET4_jRbjT5_SW_jjP12ihipStream_tbEUlT_E0_NS1_11comp_targetILNS1_3genE10ELNS1_11target_archE1201ELNS1_3gpuE5ELNS1_3repE0EEENS1_60segmented_radix_sort_warp_sort_medium_config_static_selectorELNS0_4arch9wavefront6targetE0EEEvSK_.num_vgpr, 0
	.set _ZN7rocprim17ROCPRIM_400000_NS6detail17trampoline_kernelINS0_14default_configENS1_36segmented_radix_sort_config_selectorIdlEEZNS1_25segmented_radix_sort_implIS3_Lb1EPKdPdPKlPlN2at6native12_GLOBAL__N_18offset_tEEE10hipError_tPvRmT1_PNSt15iterator_traitsISK_E10value_typeET2_T3_PNSL_ISQ_E10value_typeET4_jRbjT5_SW_jjP12ihipStream_tbEUlT_E0_NS1_11comp_targetILNS1_3genE10ELNS1_11target_archE1201ELNS1_3gpuE5ELNS1_3repE0EEENS1_60segmented_radix_sort_warp_sort_medium_config_static_selectorELNS0_4arch9wavefront6targetE0EEEvSK_.num_agpr, 0
	.set _ZN7rocprim17ROCPRIM_400000_NS6detail17trampoline_kernelINS0_14default_configENS1_36segmented_radix_sort_config_selectorIdlEEZNS1_25segmented_radix_sort_implIS3_Lb1EPKdPdPKlPlN2at6native12_GLOBAL__N_18offset_tEEE10hipError_tPvRmT1_PNSt15iterator_traitsISK_E10value_typeET2_T3_PNSL_ISQ_E10value_typeET4_jRbjT5_SW_jjP12ihipStream_tbEUlT_E0_NS1_11comp_targetILNS1_3genE10ELNS1_11target_archE1201ELNS1_3gpuE5ELNS1_3repE0EEENS1_60segmented_radix_sort_warp_sort_medium_config_static_selectorELNS0_4arch9wavefront6targetE0EEEvSK_.numbered_sgpr, 0
	.set _ZN7rocprim17ROCPRIM_400000_NS6detail17trampoline_kernelINS0_14default_configENS1_36segmented_radix_sort_config_selectorIdlEEZNS1_25segmented_radix_sort_implIS3_Lb1EPKdPdPKlPlN2at6native12_GLOBAL__N_18offset_tEEE10hipError_tPvRmT1_PNSt15iterator_traitsISK_E10value_typeET2_T3_PNSL_ISQ_E10value_typeET4_jRbjT5_SW_jjP12ihipStream_tbEUlT_E0_NS1_11comp_targetILNS1_3genE10ELNS1_11target_archE1201ELNS1_3gpuE5ELNS1_3repE0EEENS1_60segmented_radix_sort_warp_sort_medium_config_static_selectorELNS0_4arch9wavefront6targetE0EEEvSK_.num_named_barrier, 0
	.set _ZN7rocprim17ROCPRIM_400000_NS6detail17trampoline_kernelINS0_14default_configENS1_36segmented_radix_sort_config_selectorIdlEEZNS1_25segmented_radix_sort_implIS3_Lb1EPKdPdPKlPlN2at6native12_GLOBAL__N_18offset_tEEE10hipError_tPvRmT1_PNSt15iterator_traitsISK_E10value_typeET2_T3_PNSL_ISQ_E10value_typeET4_jRbjT5_SW_jjP12ihipStream_tbEUlT_E0_NS1_11comp_targetILNS1_3genE10ELNS1_11target_archE1201ELNS1_3gpuE5ELNS1_3repE0EEENS1_60segmented_radix_sort_warp_sort_medium_config_static_selectorELNS0_4arch9wavefront6targetE0EEEvSK_.private_seg_size, 0
	.set _ZN7rocprim17ROCPRIM_400000_NS6detail17trampoline_kernelINS0_14default_configENS1_36segmented_radix_sort_config_selectorIdlEEZNS1_25segmented_radix_sort_implIS3_Lb1EPKdPdPKlPlN2at6native12_GLOBAL__N_18offset_tEEE10hipError_tPvRmT1_PNSt15iterator_traitsISK_E10value_typeET2_T3_PNSL_ISQ_E10value_typeET4_jRbjT5_SW_jjP12ihipStream_tbEUlT_E0_NS1_11comp_targetILNS1_3genE10ELNS1_11target_archE1201ELNS1_3gpuE5ELNS1_3repE0EEENS1_60segmented_radix_sort_warp_sort_medium_config_static_selectorELNS0_4arch9wavefront6targetE0EEEvSK_.uses_vcc, 0
	.set _ZN7rocprim17ROCPRIM_400000_NS6detail17trampoline_kernelINS0_14default_configENS1_36segmented_radix_sort_config_selectorIdlEEZNS1_25segmented_radix_sort_implIS3_Lb1EPKdPdPKlPlN2at6native12_GLOBAL__N_18offset_tEEE10hipError_tPvRmT1_PNSt15iterator_traitsISK_E10value_typeET2_T3_PNSL_ISQ_E10value_typeET4_jRbjT5_SW_jjP12ihipStream_tbEUlT_E0_NS1_11comp_targetILNS1_3genE10ELNS1_11target_archE1201ELNS1_3gpuE5ELNS1_3repE0EEENS1_60segmented_radix_sort_warp_sort_medium_config_static_selectorELNS0_4arch9wavefront6targetE0EEEvSK_.uses_flat_scratch, 0
	.set _ZN7rocprim17ROCPRIM_400000_NS6detail17trampoline_kernelINS0_14default_configENS1_36segmented_radix_sort_config_selectorIdlEEZNS1_25segmented_radix_sort_implIS3_Lb1EPKdPdPKlPlN2at6native12_GLOBAL__N_18offset_tEEE10hipError_tPvRmT1_PNSt15iterator_traitsISK_E10value_typeET2_T3_PNSL_ISQ_E10value_typeET4_jRbjT5_SW_jjP12ihipStream_tbEUlT_E0_NS1_11comp_targetILNS1_3genE10ELNS1_11target_archE1201ELNS1_3gpuE5ELNS1_3repE0EEENS1_60segmented_radix_sort_warp_sort_medium_config_static_selectorELNS0_4arch9wavefront6targetE0EEEvSK_.has_dyn_sized_stack, 0
	.set _ZN7rocprim17ROCPRIM_400000_NS6detail17trampoline_kernelINS0_14default_configENS1_36segmented_radix_sort_config_selectorIdlEEZNS1_25segmented_radix_sort_implIS3_Lb1EPKdPdPKlPlN2at6native12_GLOBAL__N_18offset_tEEE10hipError_tPvRmT1_PNSt15iterator_traitsISK_E10value_typeET2_T3_PNSL_ISQ_E10value_typeET4_jRbjT5_SW_jjP12ihipStream_tbEUlT_E0_NS1_11comp_targetILNS1_3genE10ELNS1_11target_archE1201ELNS1_3gpuE5ELNS1_3repE0EEENS1_60segmented_radix_sort_warp_sort_medium_config_static_selectorELNS0_4arch9wavefront6targetE0EEEvSK_.has_recursion, 0
	.set _ZN7rocprim17ROCPRIM_400000_NS6detail17trampoline_kernelINS0_14default_configENS1_36segmented_radix_sort_config_selectorIdlEEZNS1_25segmented_radix_sort_implIS3_Lb1EPKdPdPKlPlN2at6native12_GLOBAL__N_18offset_tEEE10hipError_tPvRmT1_PNSt15iterator_traitsISK_E10value_typeET2_T3_PNSL_ISQ_E10value_typeET4_jRbjT5_SW_jjP12ihipStream_tbEUlT_E0_NS1_11comp_targetILNS1_3genE10ELNS1_11target_archE1201ELNS1_3gpuE5ELNS1_3repE0EEENS1_60segmented_radix_sort_warp_sort_medium_config_static_selectorELNS0_4arch9wavefront6targetE0EEEvSK_.has_indirect_call, 0
	.section	.AMDGPU.csdata,"",@progbits
; Kernel info:
; codeLenInByte = 0
; TotalNumSgprs: 0
; NumVgprs: 0
; ScratchSize: 0
; MemoryBound: 0
; FloatMode: 240
; IeeeMode: 1
; LDSByteSize: 0 bytes/workgroup (compile time only)
; SGPRBlocks: 0
; VGPRBlocks: 0
; NumSGPRsForWavesPerEU: 1
; NumVGPRsForWavesPerEU: 1
; Occupancy: 16
; WaveLimiterHint : 0
; COMPUTE_PGM_RSRC2:SCRATCH_EN: 0
; COMPUTE_PGM_RSRC2:USER_SGPR: 6
; COMPUTE_PGM_RSRC2:TRAP_HANDLER: 0
; COMPUTE_PGM_RSRC2:TGID_X_EN: 1
; COMPUTE_PGM_RSRC2:TGID_Y_EN: 0
; COMPUTE_PGM_RSRC2:TGID_Z_EN: 0
; COMPUTE_PGM_RSRC2:TIDIG_COMP_CNT: 0
	.section	.text._ZN7rocprim17ROCPRIM_400000_NS6detail17trampoline_kernelINS0_14default_configENS1_36segmented_radix_sort_config_selectorIdlEEZNS1_25segmented_radix_sort_implIS3_Lb1EPKdPdPKlPlN2at6native12_GLOBAL__N_18offset_tEEE10hipError_tPvRmT1_PNSt15iterator_traitsISK_E10value_typeET2_T3_PNSL_ISQ_E10value_typeET4_jRbjT5_SW_jjP12ihipStream_tbEUlT_E0_NS1_11comp_targetILNS1_3genE10ELNS1_11target_archE1200ELNS1_3gpuE4ELNS1_3repE0EEENS1_60segmented_radix_sort_warp_sort_medium_config_static_selectorELNS0_4arch9wavefront6targetE0EEEvSK_,"axG",@progbits,_ZN7rocprim17ROCPRIM_400000_NS6detail17trampoline_kernelINS0_14default_configENS1_36segmented_radix_sort_config_selectorIdlEEZNS1_25segmented_radix_sort_implIS3_Lb1EPKdPdPKlPlN2at6native12_GLOBAL__N_18offset_tEEE10hipError_tPvRmT1_PNSt15iterator_traitsISK_E10value_typeET2_T3_PNSL_ISQ_E10value_typeET4_jRbjT5_SW_jjP12ihipStream_tbEUlT_E0_NS1_11comp_targetILNS1_3genE10ELNS1_11target_archE1200ELNS1_3gpuE4ELNS1_3repE0EEENS1_60segmented_radix_sort_warp_sort_medium_config_static_selectorELNS0_4arch9wavefront6targetE0EEEvSK_,comdat
	.globl	_ZN7rocprim17ROCPRIM_400000_NS6detail17trampoline_kernelINS0_14default_configENS1_36segmented_radix_sort_config_selectorIdlEEZNS1_25segmented_radix_sort_implIS3_Lb1EPKdPdPKlPlN2at6native12_GLOBAL__N_18offset_tEEE10hipError_tPvRmT1_PNSt15iterator_traitsISK_E10value_typeET2_T3_PNSL_ISQ_E10value_typeET4_jRbjT5_SW_jjP12ihipStream_tbEUlT_E0_NS1_11comp_targetILNS1_3genE10ELNS1_11target_archE1200ELNS1_3gpuE4ELNS1_3repE0EEENS1_60segmented_radix_sort_warp_sort_medium_config_static_selectorELNS0_4arch9wavefront6targetE0EEEvSK_ ; -- Begin function _ZN7rocprim17ROCPRIM_400000_NS6detail17trampoline_kernelINS0_14default_configENS1_36segmented_radix_sort_config_selectorIdlEEZNS1_25segmented_radix_sort_implIS3_Lb1EPKdPdPKlPlN2at6native12_GLOBAL__N_18offset_tEEE10hipError_tPvRmT1_PNSt15iterator_traitsISK_E10value_typeET2_T3_PNSL_ISQ_E10value_typeET4_jRbjT5_SW_jjP12ihipStream_tbEUlT_E0_NS1_11comp_targetILNS1_3genE10ELNS1_11target_archE1200ELNS1_3gpuE4ELNS1_3repE0EEENS1_60segmented_radix_sort_warp_sort_medium_config_static_selectorELNS0_4arch9wavefront6targetE0EEEvSK_
	.p2align	8
	.type	_ZN7rocprim17ROCPRIM_400000_NS6detail17trampoline_kernelINS0_14default_configENS1_36segmented_radix_sort_config_selectorIdlEEZNS1_25segmented_radix_sort_implIS3_Lb1EPKdPdPKlPlN2at6native12_GLOBAL__N_18offset_tEEE10hipError_tPvRmT1_PNSt15iterator_traitsISK_E10value_typeET2_T3_PNSL_ISQ_E10value_typeET4_jRbjT5_SW_jjP12ihipStream_tbEUlT_E0_NS1_11comp_targetILNS1_3genE10ELNS1_11target_archE1200ELNS1_3gpuE4ELNS1_3repE0EEENS1_60segmented_radix_sort_warp_sort_medium_config_static_selectorELNS0_4arch9wavefront6targetE0EEEvSK_,@function
_ZN7rocprim17ROCPRIM_400000_NS6detail17trampoline_kernelINS0_14default_configENS1_36segmented_radix_sort_config_selectorIdlEEZNS1_25segmented_radix_sort_implIS3_Lb1EPKdPdPKlPlN2at6native12_GLOBAL__N_18offset_tEEE10hipError_tPvRmT1_PNSt15iterator_traitsISK_E10value_typeET2_T3_PNSL_ISQ_E10value_typeET4_jRbjT5_SW_jjP12ihipStream_tbEUlT_E0_NS1_11comp_targetILNS1_3genE10ELNS1_11target_archE1200ELNS1_3gpuE4ELNS1_3repE0EEENS1_60segmented_radix_sort_warp_sort_medium_config_static_selectorELNS0_4arch9wavefront6targetE0EEEvSK_: ; @_ZN7rocprim17ROCPRIM_400000_NS6detail17trampoline_kernelINS0_14default_configENS1_36segmented_radix_sort_config_selectorIdlEEZNS1_25segmented_radix_sort_implIS3_Lb1EPKdPdPKlPlN2at6native12_GLOBAL__N_18offset_tEEE10hipError_tPvRmT1_PNSt15iterator_traitsISK_E10value_typeET2_T3_PNSL_ISQ_E10value_typeET4_jRbjT5_SW_jjP12ihipStream_tbEUlT_E0_NS1_11comp_targetILNS1_3genE10ELNS1_11target_archE1200ELNS1_3gpuE4ELNS1_3repE0EEENS1_60segmented_radix_sort_warp_sort_medium_config_static_selectorELNS0_4arch9wavefront6targetE0EEEvSK_
; %bb.0:
	.section	.rodata,"a",@progbits
	.p2align	6, 0x0
	.amdhsa_kernel _ZN7rocprim17ROCPRIM_400000_NS6detail17trampoline_kernelINS0_14default_configENS1_36segmented_radix_sort_config_selectorIdlEEZNS1_25segmented_radix_sort_implIS3_Lb1EPKdPdPKlPlN2at6native12_GLOBAL__N_18offset_tEEE10hipError_tPvRmT1_PNSt15iterator_traitsISK_E10value_typeET2_T3_PNSL_ISQ_E10value_typeET4_jRbjT5_SW_jjP12ihipStream_tbEUlT_E0_NS1_11comp_targetILNS1_3genE10ELNS1_11target_archE1200ELNS1_3gpuE4ELNS1_3repE0EEENS1_60segmented_radix_sort_warp_sort_medium_config_static_selectorELNS0_4arch9wavefront6targetE0EEEvSK_
		.amdhsa_group_segment_fixed_size 0
		.amdhsa_private_segment_fixed_size 0
		.amdhsa_kernarg_size 88
		.amdhsa_user_sgpr_count 6
		.amdhsa_user_sgpr_private_segment_buffer 1
		.amdhsa_user_sgpr_dispatch_ptr 0
		.amdhsa_user_sgpr_queue_ptr 0
		.amdhsa_user_sgpr_kernarg_segment_ptr 1
		.amdhsa_user_sgpr_dispatch_id 0
		.amdhsa_user_sgpr_flat_scratch_init 0
		.amdhsa_user_sgpr_private_segment_size 0
		.amdhsa_wavefront_size32 1
		.amdhsa_uses_dynamic_stack 0
		.amdhsa_system_sgpr_private_segment_wavefront_offset 0
		.amdhsa_system_sgpr_workgroup_id_x 1
		.amdhsa_system_sgpr_workgroup_id_y 0
		.amdhsa_system_sgpr_workgroup_id_z 0
		.amdhsa_system_sgpr_workgroup_info 0
		.amdhsa_system_vgpr_workitem_id 0
		.amdhsa_next_free_vgpr 1
		.amdhsa_next_free_sgpr 1
		.amdhsa_reserve_vcc 0
		.amdhsa_reserve_flat_scratch 0
		.amdhsa_float_round_mode_32 0
		.amdhsa_float_round_mode_16_64 0
		.amdhsa_float_denorm_mode_32 3
		.amdhsa_float_denorm_mode_16_64 3
		.amdhsa_dx10_clamp 1
		.amdhsa_ieee_mode 1
		.amdhsa_fp16_overflow 0
		.amdhsa_workgroup_processor_mode 1
		.amdhsa_memory_ordered 1
		.amdhsa_forward_progress 1
		.amdhsa_shared_vgpr_count 0
		.amdhsa_exception_fp_ieee_invalid_op 0
		.amdhsa_exception_fp_denorm_src 0
		.amdhsa_exception_fp_ieee_div_zero 0
		.amdhsa_exception_fp_ieee_overflow 0
		.amdhsa_exception_fp_ieee_underflow 0
		.amdhsa_exception_fp_ieee_inexact 0
		.amdhsa_exception_int_div_zero 0
	.end_amdhsa_kernel
	.section	.text._ZN7rocprim17ROCPRIM_400000_NS6detail17trampoline_kernelINS0_14default_configENS1_36segmented_radix_sort_config_selectorIdlEEZNS1_25segmented_radix_sort_implIS3_Lb1EPKdPdPKlPlN2at6native12_GLOBAL__N_18offset_tEEE10hipError_tPvRmT1_PNSt15iterator_traitsISK_E10value_typeET2_T3_PNSL_ISQ_E10value_typeET4_jRbjT5_SW_jjP12ihipStream_tbEUlT_E0_NS1_11comp_targetILNS1_3genE10ELNS1_11target_archE1200ELNS1_3gpuE4ELNS1_3repE0EEENS1_60segmented_radix_sort_warp_sort_medium_config_static_selectorELNS0_4arch9wavefront6targetE0EEEvSK_,"axG",@progbits,_ZN7rocprim17ROCPRIM_400000_NS6detail17trampoline_kernelINS0_14default_configENS1_36segmented_radix_sort_config_selectorIdlEEZNS1_25segmented_radix_sort_implIS3_Lb1EPKdPdPKlPlN2at6native12_GLOBAL__N_18offset_tEEE10hipError_tPvRmT1_PNSt15iterator_traitsISK_E10value_typeET2_T3_PNSL_ISQ_E10value_typeET4_jRbjT5_SW_jjP12ihipStream_tbEUlT_E0_NS1_11comp_targetILNS1_3genE10ELNS1_11target_archE1200ELNS1_3gpuE4ELNS1_3repE0EEENS1_60segmented_radix_sort_warp_sort_medium_config_static_selectorELNS0_4arch9wavefront6targetE0EEEvSK_,comdat
.Lfunc_end1126:
	.size	_ZN7rocprim17ROCPRIM_400000_NS6detail17trampoline_kernelINS0_14default_configENS1_36segmented_radix_sort_config_selectorIdlEEZNS1_25segmented_radix_sort_implIS3_Lb1EPKdPdPKlPlN2at6native12_GLOBAL__N_18offset_tEEE10hipError_tPvRmT1_PNSt15iterator_traitsISK_E10value_typeET2_T3_PNSL_ISQ_E10value_typeET4_jRbjT5_SW_jjP12ihipStream_tbEUlT_E0_NS1_11comp_targetILNS1_3genE10ELNS1_11target_archE1200ELNS1_3gpuE4ELNS1_3repE0EEENS1_60segmented_radix_sort_warp_sort_medium_config_static_selectorELNS0_4arch9wavefront6targetE0EEEvSK_, .Lfunc_end1126-_ZN7rocprim17ROCPRIM_400000_NS6detail17trampoline_kernelINS0_14default_configENS1_36segmented_radix_sort_config_selectorIdlEEZNS1_25segmented_radix_sort_implIS3_Lb1EPKdPdPKlPlN2at6native12_GLOBAL__N_18offset_tEEE10hipError_tPvRmT1_PNSt15iterator_traitsISK_E10value_typeET2_T3_PNSL_ISQ_E10value_typeET4_jRbjT5_SW_jjP12ihipStream_tbEUlT_E0_NS1_11comp_targetILNS1_3genE10ELNS1_11target_archE1200ELNS1_3gpuE4ELNS1_3repE0EEENS1_60segmented_radix_sort_warp_sort_medium_config_static_selectorELNS0_4arch9wavefront6targetE0EEEvSK_
                                        ; -- End function
	.set _ZN7rocprim17ROCPRIM_400000_NS6detail17trampoline_kernelINS0_14default_configENS1_36segmented_radix_sort_config_selectorIdlEEZNS1_25segmented_radix_sort_implIS3_Lb1EPKdPdPKlPlN2at6native12_GLOBAL__N_18offset_tEEE10hipError_tPvRmT1_PNSt15iterator_traitsISK_E10value_typeET2_T3_PNSL_ISQ_E10value_typeET4_jRbjT5_SW_jjP12ihipStream_tbEUlT_E0_NS1_11comp_targetILNS1_3genE10ELNS1_11target_archE1200ELNS1_3gpuE4ELNS1_3repE0EEENS1_60segmented_radix_sort_warp_sort_medium_config_static_selectorELNS0_4arch9wavefront6targetE0EEEvSK_.num_vgpr, 0
	.set _ZN7rocprim17ROCPRIM_400000_NS6detail17trampoline_kernelINS0_14default_configENS1_36segmented_radix_sort_config_selectorIdlEEZNS1_25segmented_radix_sort_implIS3_Lb1EPKdPdPKlPlN2at6native12_GLOBAL__N_18offset_tEEE10hipError_tPvRmT1_PNSt15iterator_traitsISK_E10value_typeET2_T3_PNSL_ISQ_E10value_typeET4_jRbjT5_SW_jjP12ihipStream_tbEUlT_E0_NS1_11comp_targetILNS1_3genE10ELNS1_11target_archE1200ELNS1_3gpuE4ELNS1_3repE0EEENS1_60segmented_radix_sort_warp_sort_medium_config_static_selectorELNS0_4arch9wavefront6targetE0EEEvSK_.num_agpr, 0
	.set _ZN7rocprim17ROCPRIM_400000_NS6detail17trampoline_kernelINS0_14default_configENS1_36segmented_radix_sort_config_selectorIdlEEZNS1_25segmented_radix_sort_implIS3_Lb1EPKdPdPKlPlN2at6native12_GLOBAL__N_18offset_tEEE10hipError_tPvRmT1_PNSt15iterator_traitsISK_E10value_typeET2_T3_PNSL_ISQ_E10value_typeET4_jRbjT5_SW_jjP12ihipStream_tbEUlT_E0_NS1_11comp_targetILNS1_3genE10ELNS1_11target_archE1200ELNS1_3gpuE4ELNS1_3repE0EEENS1_60segmented_radix_sort_warp_sort_medium_config_static_selectorELNS0_4arch9wavefront6targetE0EEEvSK_.numbered_sgpr, 0
	.set _ZN7rocprim17ROCPRIM_400000_NS6detail17trampoline_kernelINS0_14default_configENS1_36segmented_radix_sort_config_selectorIdlEEZNS1_25segmented_radix_sort_implIS3_Lb1EPKdPdPKlPlN2at6native12_GLOBAL__N_18offset_tEEE10hipError_tPvRmT1_PNSt15iterator_traitsISK_E10value_typeET2_T3_PNSL_ISQ_E10value_typeET4_jRbjT5_SW_jjP12ihipStream_tbEUlT_E0_NS1_11comp_targetILNS1_3genE10ELNS1_11target_archE1200ELNS1_3gpuE4ELNS1_3repE0EEENS1_60segmented_radix_sort_warp_sort_medium_config_static_selectorELNS0_4arch9wavefront6targetE0EEEvSK_.num_named_barrier, 0
	.set _ZN7rocprim17ROCPRIM_400000_NS6detail17trampoline_kernelINS0_14default_configENS1_36segmented_radix_sort_config_selectorIdlEEZNS1_25segmented_radix_sort_implIS3_Lb1EPKdPdPKlPlN2at6native12_GLOBAL__N_18offset_tEEE10hipError_tPvRmT1_PNSt15iterator_traitsISK_E10value_typeET2_T3_PNSL_ISQ_E10value_typeET4_jRbjT5_SW_jjP12ihipStream_tbEUlT_E0_NS1_11comp_targetILNS1_3genE10ELNS1_11target_archE1200ELNS1_3gpuE4ELNS1_3repE0EEENS1_60segmented_radix_sort_warp_sort_medium_config_static_selectorELNS0_4arch9wavefront6targetE0EEEvSK_.private_seg_size, 0
	.set _ZN7rocprim17ROCPRIM_400000_NS6detail17trampoline_kernelINS0_14default_configENS1_36segmented_radix_sort_config_selectorIdlEEZNS1_25segmented_radix_sort_implIS3_Lb1EPKdPdPKlPlN2at6native12_GLOBAL__N_18offset_tEEE10hipError_tPvRmT1_PNSt15iterator_traitsISK_E10value_typeET2_T3_PNSL_ISQ_E10value_typeET4_jRbjT5_SW_jjP12ihipStream_tbEUlT_E0_NS1_11comp_targetILNS1_3genE10ELNS1_11target_archE1200ELNS1_3gpuE4ELNS1_3repE0EEENS1_60segmented_radix_sort_warp_sort_medium_config_static_selectorELNS0_4arch9wavefront6targetE0EEEvSK_.uses_vcc, 0
	.set _ZN7rocprim17ROCPRIM_400000_NS6detail17trampoline_kernelINS0_14default_configENS1_36segmented_radix_sort_config_selectorIdlEEZNS1_25segmented_radix_sort_implIS3_Lb1EPKdPdPKlPlN2at6native12_GLOBAL__N_18offset_tEEE10hipError_tPvRmT1_PNSt15iterator_traitsISK_E10value_typeET2_T3_PNSL_ISQ_E10value_typeET4_jRbjT5_SW_jjP12ihipStream_tbEUlT_E0_NS1_11comp_targetILNS1_3genE10ELNS1_11target_archE1200ELNS1_3gpuE4ELNS1_3repE0EEENS1_60segmented_radix_sort_warp_sort_medium_config_static_selectorELNS0_4arch9wavefront6targetE0EEEvSK_.uses_flat_scratch, 0
	.set _ZN7rocprim17ROCPRIM_400000_NS6detail17trampoline_kernelINS0_14default_configENS1_36segmented_radix_sort_config_selectorIdlEEZNS1_25segmented_radix_sort_implIS3_Lb1EPKdPdPKlPlN2at6native12_GLOBAL__N_18offset_tEEE10hipError_tPvRmT1_PNSt15iterator_traitsISK_E10value_typeET2_T3_PNSL_ISQ_E10value_typeET4_jRbjT5_SW_jjP12ihipStream_tbEUlT_E0_NS1_11comp_targetILNS1_3genE10ELNS1_11target_archE1200ELNS1_3gpuE4ELNS1_3repE0EEENS1_60segmented_radix_sort_warp_sort_medium_config_static_selectorELNS0_4arch9wavefront6targetE0EEEvSK_.has_dyn_sized_stack, 0
	.set _ZN7rocprim17ROCPRIM_400000_NS6detail17trampoline_kernelINS0_14default_configENS1_36segmented_radix_sort_config_selectorIdlEEZNS1_25segmented_radix_sort_implIS3_Lb1EPKdPdPKlPlN2at6native12_GLOBAL__N_18offset_tEEE10hipError_tPvRmT1_PNSt15iterator_traitsISK_E10value_typeET2_T3_PNSL_ISQ_E10value_typeET4_jRbjT5_SW_jjP12ihipStream_tbEUlT_E0_NS1_11comp_targetILNS1_3genE10ELNS1_11target_archE1200ELNS1_3gpuE4ELNS1_3repE0EEENS1_60segmented_radix_sort_warp_sort_medium_config_static_selectorELNS0_4arch9wavefront6targetE0EEEvSK_.has_recursion, 0
	.set _ZN7rocprim17ROCPRIM_400000_NS6detail17trampoline_kernelINS0_14default_configENS1_36segmented_radix_sort_config_selectorIdlEEZNS1_25segmented_radix_sort_implIS3_Lb1EPKdPdPKlPlN2at6native12_GLOBAL__N_18offset_tEEE10hipError_tPvRmT1_PNSt15iterator_traitsISK_E10value_typeET2_T3_PNSL_ISQ_E10value_typeET4_jRbjT5_SW_jjP12ihipStream_tbEUlT_E0_NS1_11comp_targetILNS1_3genE10ELNS1_11target_archE1200ELNS1_3gpuE4ELNS1_3repE0EEENS1_60segmented_radix_sort_warp_sort_medium_config_static_selectorELNS0_4arch9wavefront6targetE0EEEvSK_.has_indirect_call, 0
	.section	.AMDGPU.csdata,"",@progbits
; Kernel info:
; codeLenInByte = 0
; TotalNumSgprs: 0
; NumVgprs: 0
; ScratchSize: 0
; MemoryBound: 0
; FloatMode: 240
; IeeeMode: 1
; LDSByteSize: 0 bytes/workgroup (compile time only)
; SGPRBlocks: 0
; VGPRBlocks: 0
; NumSGPRsForWavesPerEU: 1
; NumVGPRsForWavesPerEU: 1
; Occupancy: 16
; WaveLimiterHint : 0
; COMPUTE_PGM_RSRC2:SCRATCH_EN: 0
; COMPUTE_PGM_RSRC2:USER_SGPR: 6
; COMPUTE_PGM_RSRC2:TRAP_HANDLER: 0
; COMPUTE_PGM_RSRC2:TGID_X_EN: 1
; COMPUTE_PGM_RSRC2:TGID_Y_EN: 0
; COMPUTE_PGM_RSRC2:TGID_Z_EN: 0
; COMPUTE_PGM_RSRC2:TIDIG_COMP_CNT: 0
	.section	.text._ZN7rocprim17ROCPRIM_400000_NS6detail17trampoline_kernelINS0_14default_configENS1_36segmented_radix_sort_config_selectorIdlEEZNS1_25segmented_radix_sort_implIS3_Lb1EPKdPdPKlPlN2at6native12_GLOBAL__N_18offset_tEEE10hipError_tPvRmT1_PNSt15iterator_traitsISK_E10value_typeET2_T3_PNSL_ISQ_E10value_typeET4_jRbjT5_SW_jjP12ihipStream_tbEUlT_E0_NS1_11comp_targetILNS1_3genE9ELNS1_11target_archE1100ELNS1_3gpuE3ELNS1_3repE0EEENS1_60segmented_radix_sort_warp_sort_medium_config_static_selectorELNS0_4arch9wavefront6targetE0EEEvSK_,"axG",@progbits,_ZN7rocprim17ROCPRIM_400000_NS6detail17trampoline_kernelINS0_14default_configENS1_36segmented_radix_sort_config_selectorIdlEEZNS1_25segmented_radix_sort_implIS3_Lb1EPKdPdPKlPlN2at6native12_GLOBAL__N_18offset_tEEE10hipError_tPvRmT1_PNSt15iterator_traitsISK_E10value_typeET2_T3_PNSL_ISQ_E10value_typeET4_jRbjT5_SW_jjP12ihipStream_tbEUlT_E0_NS1_11comp_targetILNS1_3genE9ELNS1_11target_archE1100ELNS1_3gpuE3ELNS1_3repE0EEENS1_60segmented_radix_sort_warp_sort_medium_config_static_selectorELNS0_4arch9wavefront6targetE0EEEvSK_,comdat
	.globl	_ZN7rocprim17ROCPRIM_400000_NS6detail17trampoline_kernelINS0_14default_configENS1_36segmented_radix_sort_config_selectorIdlEEZNS1_25segmented_radix_sort_implIS3_Lb1EPKdPdPKlPlN2at6native12_GLOBAL__N_18offset_tEEE10hipError_tPvRmT1_PNSt15iterator_traitsISK_E10value_typeET2_T3_PNSL_ISQ_E10value_typeET4_jRbjT5_SW_jjP12ihipStream_tbEUlT_E0_NS1_11comp_targetILNS1_3genE9ELNS1_11target_archE1100ELNS1_3gpuE3ELNS1_3repE0EEENS1_60segmented_radix_sort_warp_sort_medium_config_static_selectorELNS0_4arch9wavefront6targetE0EEEvSK_ ; -- Begin function _ZN7rocprim17ROCPRIM_400000_NS6detail17trampoline_kernelINS0_14default_configENS1_36segmented_radix_sort_config_selectorIdlEEZNS1_25segmented_radix_sort_implIS3_Lb1EPKdPdPKlPlN2at6native12_GLOBAL__N_18offset_tEEE10hipError_tPvRmT1_PNSt15iterator_traitsISK_E10value_typeET2_T3_PNSL_ISQ_E10value_typeET4_jRbjT5_SW_jjP12ihipStream_tbEUlT_E0_NS1_11comp_targetILNS1_3genE9ELNS1_11target_archE1100ELNS1_3gpuE3ELNS1_3repE0EEENS1_60segmented_radix_sort_warp_sort_medium_config_static_selectorELNS0_4arch9wavefront6targetE0EEEvSK_
	.p2align	8
	.type	_ZN7rocprim17ROCPRIM_400000_NS6detail17trampoline_kernelINS0_14default_configENS1_36segmented_radix_sort_config_selectorIdlEEZNS1_25segmented_radix_sort_implIS3_Lb1EPKdPdPKlPlN2at6native12_GLOBAL__N_18offset_tEEE10hipError_tPvRmT1_PNSt15iterator_traitsISK_E10value_typeET2_T3_PNSL_ISQ_E10value_typeET4_jRbjT5_SW_jjP12ihipStream_tbEUlT_E0_NS1_11comp_targetILNS1_3genE9ELNS1_11target_archE1100ELNS1_3gpuE3ELNS1_3repE0EEENS1_60segmented_radix_sort_warp_sort_medium_config_static_selectorELNS0_4arch9wavefront6targetE0EEEvSK_,@function
_ZN7rocprim17ROCPRIM_400000_NS6detail17trampoline_kernelINS0_14default_configENS1_36segmented_radix_sort_config_selectorIdlEEZNS1_25segmented_radix_sort_implIS3_Lb1EPKdPdPKlPlN2at6native12_GLOBAL__N_18offset_tEEE10hipError_tPvRmT1_PNSt15iterator_traitsISK_E10value_typeET2_T3_PNSL_ISQ_E10value_typeET4_jRbjT5_SW_jjP12ihipStream_tbEUlT_E0_NS1_11comp_targetILNS1_3genE9ELNS1_11target_archE1100ELNS1_3gpuE3ELNS1_3repE0EEENS1_60segmented_radix_sort_warp_sort_medium_config_static_selectorELNS0_4arch9wavefront6targetE0EEEvSK_: ; @_ZN7rocprim17ROCPRIM_400000_NS6detail17trampoline_kernelINS0_14default_configENS1_36segmented_radix_sort_config_selectorIdlEEZNS1_25segmented_radix_sort_implIS3_Lb1EPKdPdPKlPlN2at6native12_GLOBAL__N_18offset_tEEE10hipError_tPvRmT1_PNSt15iterator_traitsISK_E10value_typeET2_T3_PNSL_ISQ_E10value_typeET4_jRbjT5_SW_jjP12ihipStream_tbEUlT_E0_NS1_11comp_targetILNS1_3genE9ELNS1_11target_archE1100ELNS1_3gpuE3ELNS1_3repE0EEENS1_60segmented_radix_sort_warp_sort_medium_config_static_selectorELNS0_4arch9wavefront6targetE0EEEvSK_
; %bb.0:
	.section	.rodata,"a",@progbits
	.p2align	6, 0x0
	.amdhsa_kernel _ZN7rocprim17ROCPRIM_400000_NS6detail17trampoline_kernelINS0_14default_configENS1_36segmented_radix_sort_config_selectorIdlEEZNS1_25segmented_radix_sort_implIS3_Lb1EPKdPdPKlPlN2at6native12_GLOBAL__N_18offset_tEEE10hipError_tPvRmT1_PNSt15iterator_traitsISK_E10value_typeET2_T3_PNSL_ISQ_E10value_typeET4_jRbjT5_SW_jjP12ihipStream_tbEUlT_E0_NS1_11comp_targetILNS1_3genE9ELNS1_11target_archE1100ELNS1_3gpuE3ELNS1_3repE0EEENS1_60segmented_radix_sort_warp_sort_medium_config_static_selectorELNS0_4arch9wavefront6targetE0EEEvSK_
		.amdhsa_group_segment_fixed_size 0
		.amdhsa_private_segment_fixed_size 0
		.amdhsa_kernarg_size 88
		.amdhsa_user_sgpr_count 6
		.amdhsa_user_sgpr_private_segment_buffer 1
		.amdhsa_user_sgpr_dispatch_ptr 0
		.amdhsa_user_sgpr_queue_ptr 0
		.amdhsa_user_sgpr_kernarg_segment_ptr 1
		.amdhsa_user_sgpr_dispatch_id 0
		.amdhsa_user_sgpr_flat_scratch_init 0
		.amdhsa_user_sgpr_private_segment_size 0
		.amdhsa_wavefront_size32 1
		.amdhsa_uses_dynamic_stack 0
		.amdhsa_system_sgpr_private_segment_wavefront_offset 0
		.amdhsa_system_sgpr_workgroup_id_x 1
		.amdhsa_system_sgpr_workgroup_id_y 0
		.amdhsa_system_sgpr_workgroup_id_z 0
		.amdhsa_system_sgpr_workgroup_info 0
		.amdhsa_system_vgpr_workitem_id 0
		.amdhsa_next_free_vgpr 1
		.amdhsa_next_free_sgpr 1
		.amdhsa_reserve_vcc 0
		.amdhsa_reserve_flat_scratch 0
		.amdhsa_float_round_mode_32 0
		.amdhsa_float_round_mode_16_64 0
		.amdhsa_float_denorm_mode_32 3
		.amdhsa_float_denorm_mode_16_64 3
		.amdhsa_dx10_clamp 1
		.amdhsa_ieee_mode 1
		.amdhsa_fp16_overflow 0
		.amdhsa_workgroup_processor_mode 1
		.amdhsa_memory_ordered 1
		.amdhsa_forward_progress 1
		.amdhsa_shared_vgpr_count 0
		.amdhsa_exception_fp_ieee_invalid_op 0
		.amdhsa_exception_fp_denorm_src 0
		.amdhsa_exception_fp_ieee_div_zero 0
		.amdhsa_exception_fp_ieee_overflow 0
		.amdhsa_exception_fp_ieee_underflow 0
		.amdhsa_exception_fp_ieee_inexact 0
		.amdhsa_exception_int_div_zero 0
	.end_amdhsa_kernel
	.section	.text._ZN7rocprim17ROCPRIM_400000_NS6detail17trampoline_kernelINS0_14default_configENS1_36segmented_radix_sort_config_selectorIdlEEZNS1_25segmented_radix_sort_implIS3_Lb1EPKdPdPKlPlN2at6native12_GLOBAL__N_18offset_tEEE10hipError_tPvRmT1_PNSt15iterator_traitsISK_E10value_typeET2_T3_PNSL_ISQ_E10value_typeET4_jRbjT5_SW_jjP12ihipStream_tbEUlT_E0_NS1_11comp_targetILNS1_3genE9ELNS1_11target_archE1100ELNS1_3gpuE3ELNS1_3repE0EEENS1_60segmented_radix_sort_warp_sort_medium_config_static_selectorELNS0_4arch9wavefront6targetE0EEEvSK_,"axG",@progbits,_ZN7rocprim17ROCPRIM_400000_NS6detail17trampoline_kernelINS0_14default_configENS1_36segmented_radix_sort_config_selectorIdlEEZNS1_25segmented_radix_sort_implIS3_Lb1EPKdPdPKlPlN2at6native12_GLOBAL__N_18offset_tEEE10hipError_tPvRmT1_PNSt15iterator_traitsISK_E10value_typeET2_T3_PNSL_ISQ_E10value_typeET4_jRbjT5_SW_jjP12ihipStream_tbEUlT_E0_NS1_11comp_targetILNS1_3genE9ELNS1_11target_archE1100ELNS1_3gpuE3ELNS1_3repE0EEENS1_60segmented_radix_sort_warp_sort_medium_config_static_selectorELNS0_4arch9wavefront6targetE0EEEvSK_,comdat
.Lfunc_end1127:
	.size	_ZN7rocprim17ROCPRIM_400000_NS6detail17trampoline_kernelINS0_14default_configENS1_36segmented_radix_sort_config_selectorIdlEEZNS1_25segmented_radix_sort_implIS3_Lb1EPKdPdPKlPlN2at6native12_GLOBAL__N_18offset_tEEE10hipError_tPvRmT1_PNSt15iterator_traitsISK_E10value_typeET2_T3_PNSL_ISQ_E10value_typeET4_jRbjT5_SW_jjP12ihipStream_tbEUlT_E0_NS1_11comp_targetILNS1_3genE9ELNS1_11target_archE1100ELNS1_3gpuE3ELNS1_3repE0EEENS1_60segmented_radix_sort_warp_sort_medium_config_static_selectorELNS0_4arch9wavefront6targetE0EEEvSK_, .Lfunc_end1127-_ZN7rocprim17ROCPRIM_400000_NS6detail17trampoline_kernelINS0_14default_configENS1_36segmented_radix_sort_config_selectorIdlEEZNS1_25segmented_radix_sort_implIS3_Lb1EPKdPdPKlPlN2at6native12_GLOBAL__N_18offset_tEEE10hipError_tPvRmT1_PNSt15iterator_traitsISK_E10value_typeET2_T3_PNSL_ISQ_E10value_typeET4_jRbjT5_SW_jjP12ihipStream_tbEUlT_E0_NS1_11comp_targetILNS1_3genE9ELNS1_11target_archE1100ELNS1_3gpuE3ELNS1_3repE0EEENS1_60segmented_radix_sort_warp_sort_medium_config_static_selectorELNS0_4arch9wavefront6targetE0EEEvSK_
                                        ; -- End function
	.set _ZN7rocprim17ROCPRIM_400000_NS6detail17trampoline_kernelINS0_14default_configENS1_36segmented_radix_sort_config_selectorIdlEEZNS1_25segmented_radix_sort_implIS3_Lb1EPKdPdPKlPlN2at6native12_GLOBAL__N_18offset_tEEE10hipError_tPvRmT1_PNSt15iterator_traitsISK_E10value_typeET2_T3_PNSL_ISQ_E10value_typeET4_jRbjT5_SW_jjP12ihipStream_tbEUlT_E0_NS1_11comp_targetILNS1_3genE9ELNS1_11target_archE1100ELNS1_3gpuE3ELNS1_3repE0EEENS1_60segmented_radix_sort_warp_sort_medium_config_static_selectorELNS0_4arch9wavefront6targetE0EEEvSK_.num_vgpr, 0
	.set _ZN7rocprim17ROCPRIM_400000_NS6detail17trampoline_kernelINS0_14default_configENS1_36segmented_radix_sort_config_selectorIdlEEZNS1_25segmented_radix_sort_implIS3_Lb1EPKdPdPKlPlN2at6native12_GLOBAL__N_18offset_tEEE10hipError_tPvRmT1_PNSt15iterator_traitsISK_E10value_typeET2_T3_PNSL_ISQ_E10value_typeET4_jRbjT5_SW_jjP12ihipStream_tbEUlT_E0_NS1_11comp_targetILNS1_3genE9ELNS1_11target_archE1100ELNS1_3gpuE3ELNS1_3repE0EEENS1_60segmented_radix_sort_warp_sort_medium_config_static_selectorELNS0_4arch9wavefront6targetE0EEEvSK_.num_agpr, 0
	.set _ZN7rocprim17ROCPRIM_400000_NS6detail17trampoline_kernelINS0_14default_configENS1_36segmented_radix_sort_config_selectorIdlEEZNS1_25segmented_radix_sort_implIS3_Lb1EPKdPdPKlPlN2at6native12_GLOBAL__N_18offset_tEEE10hipError_tPvRmT1_PNSt15iterator_traitsISK_E10value_typeET2_T3_PNSL_ISQ_E10value_typeET4_jRbjT5_SW_jjP12ihipStream_tbEUlT_E0_NS1_11comp_targetILNS1_3genE9ELNS1_11target_archE1100ELNS1_3gpuE3ELNS1_3repE0EEENS1_60segmented_radix_sort_warp_sort_medium_config_static_selectorELNS0_4arch9wavefront6targetE0EEEvSK_.numbered_sgpr, 0
	.set _ZN7rocprim17ROCPRIM_400000_NS6detail17trampoline_kernelINS0_14default_configENS1_36segmented_radix_sort_config_selectorIdlEEZNS1_25segmented_radix_sort_implIS3_Lb1EPKdPdPKlPlN2at6native12_GLOBAL__N_18offset_tEEE10hipError_tPvRmT1_PNSt15iterator_traitsISK_E10value_typeET2_T3_PNSL_ISQ_E10value_typeET4_jRbjT5_SW_jjP12ihipStream_tbEUlT_E0_NS1_11comp_targetILNS1_3genE9ELNS1_11target_archE1100ELNS1_3gpuE3ELNS1_3repE0EEENS1_60segmented_radix_sort_warp_sort_medium_config_static_selectorELNS0_4arch9wavefront6targetE0EEEvSK_.num_named_barrier, 0
	.set _ZN7rocprim17ROCPRIM_400000_NS6detail17trampoline_kernelINS0_14default_configENS1_36segmented_radix_sort_config_selectorIdlEEZNS1_25segmented_radix_sort_implIS3_Lb1EPKdPdPKlPlN2at6native12_GLOBAL__N_18offset_tEEE10hipError_tPvRmT1_PNSt15iterator_traitsISK_E10value_typeET2_T3_PNSL_ISQ_E10value_typeET4_jRbjT5_SW_jjP12ihipStream_tbEUlT_E0_NS1_11comp_targetILNS1_3genE9ELNS1_11target_archE1100ELNS1_3gpuE3ELNS1_3repE0EEENS1_60segmented_radix_sort_warp_sort_medium_config_static_selectorELNS0_4arch9wavefront6targetE0EEEvSK_.private_seg_size, 0
	.set _ZN7rocprim17ROCPRIM_400000_NS6detail17trampoline_kernelINS0_14default_configENS1_36segmented_radix_sort_config_selectorIdlEEZNS1_25segmented_radix_sort_implIS3_Lb1EPKdPdPKlPlN2at6native12_GLOBAL__N_18offset_tEEE10hipError_tPvRmT1_PNSt15iterator_traitsISK_E10value_typeET2_T3_PNSL_ISQ_E10value_typeET4_jRbjT5_SW_jjP12ihipStream_tbEUlT_E0_NS1_11comp_targetILNS1_3genE9ELNS1_11target_archE1100ELNS1_3gpuE3ELNS1_3repE0EEENS1_60segmented_radix_sort_warp_sort_medium_config_static_selectorELNS0_4arch9wavefront6targetE0EEEvSK_.uses_vcc, 0
	.set _ZN7rocprim17ROCPRIM_400000_NS6detail17trampoline_kernelINS0_14default_configENS1_36segmented_radix_sort_config_selectorIdlEEZNS1_25segmented_radix_sort_implIS3_Lb1EPKdPdPKlPlN2at6native12_GLOBAL__N_18offset_tEEE10hipError_tPvRmT1_PNSt15iterator_traitsISK_E10value_typeET2_T3_PNSL_ISQ_E10value_typeET4_jRbjT5_SW_jjP12ihipStream_tbEUlT_E0_NS1_11comp_targetILNS1_3genE9ELNS1_11target_archE1100ELNS1_3gpuE3ELNS1_3repE0EEENS1_60segmented_radix_sort_warp_sort_medium_config_static_selectorELNS0_4arch9wavefront6targetE0EEEvSK_.uses_flat_scratch, 0
	.set _ZN7rocprim17ROCPRIM_400000_NS6detail17trampoline_kernelINS0_14default_configENS1_36segmented_radix_sort_config_selectorIdlEEZNS1_25segmented_radix_sort_implIS3_Lb1EPKdPdPKlPlN2at6native12_GLOBAL__N_18offset_tEEE10hipError_tPvRmT1_PNSt15iterator_traitsISK_E10value_typeET2_T3_PNSL_ISQ_E10value_typeET4_jRbjT5_SW_jjP12ihipStream_tbEUlT_E0_NS1_11comp_targetILNS1_3genE9ELNS1_11target_archE1100ELNS1_3gpuE3ELNS1_3repE0EEENS1_60segmented_radix_sort_warp_sort_medium_config_static_selectorELNS0_4arch9wavefront6targetE0EEEvSK_.has_dyn_sized_stack, 0
	.set _ZN7rocprim17ROCPRIM_400000_NS6detail17trampoline_kernelINS0_14default_configENS1_36segmented_radix_sort_config_selectorIdlEEZNS1_25segmented_radix_sort_implIS3_Lb1EPKdPdPKlPlN2at6native12_GLOBAL__N_18offset_tEEE10hipError_tPvRmT1_PNSt15iterator_traitsISK_E10value_typeET2_T3_PNSL_ISQ_E10value_typeET4_jRbjT5_SW_jjP12ihipStream_tbEUlT_E0_NS1_11comp_targetILNS1_3genE9ELNS1_11target_archE1100ELNS1_3gpuE3ELNS1_3repE0EEENS1_60segmented_radix_sort_warp_sort_medium_config_static_selectorELNS0_4arch9wavefront6targetE0EEEvSK_.has_recursion, 0
	.set _ZN7rocprim17ROCPRIM_400000_NS6detail17trampoline_kernelINS0_14default_configENS1_36segmented_radix_sort_config_selectorIdlEEZNS1_25segmented_radix_sort_implIS3_Lb1EPKdPdPKlPlN2at6native12_GLOBAL__N_18offset_tEEE10hipError_tPvRmT1_PNSt15iterator_traitsISK_E10value_typeET2_T3_PNSL_ISQ_E10value_typeET4_jRbjT5_SW_jjP12ihipStream_tbEUlT_E0_NS1_11comp_targetILNS1_3genE9ELNS1_11target_archE1100ELNS1_3gpuE3ELNS1_3repE0EEENS1_60segmented_radix_sort_warp_sort_medium_config_static_selectorELNS0_4arch9wavefront6targetE0EEEvSK_.has_indirect_call, 0
	.section	.AMDGPU.csdata,"",@progbits
; Kernel info:
; codeLenInByte = 0
; TotalNumSgprs: 0
; NumVgprs: 0
; ScratchSize: 0
; MemoryBound: 0
; FloatMode: 240
; IeeeMode: 1
; LDSByteSize: 0 bytes/workgroup (compile time only)
; SGPRBlocks: 0
; VGPRBlocks: 0
; NumSGPRsForWavesPerEU: 1
; NumVGPRsForWavesPerEU: 1
; Occupancy: 16
; WaveLimiterHint : 0
; COMPUTE_PGM_RSRC2:SCRATCH_EN: 0
; COMPUTE_PGM_RSRC2:USER_SGPR: 6
; COMPUTE_PGM_RSRC2:TRAP_HANDLER: 0
; COMPUTE_PGM_RSRC2:TGID_X_EN: 1
; COMPUTE_PGM_RSRC2:TGID_Y_EN: 0
; COMPUTE_PGM_RSRC2:TGID_Z_EN: 0
; COMPUTE_PGM_RSRC2:TIDIG_COMP_CNT: 0
	.text
	.p2align	2                               ; -- Begin function _ZN7rocprim17ROCPRIM_400000_NS6detail26segmented_warp_sort_helperINS1_20WarpSortHelperConfigILj16ELj16ELj256EEEdlLi256ELb1EvE4sortIPKdPdPKlPlEEvT_T0_T1_T2_jjjjRNS5_12storage_typeE
	.type	_ZN7rocprim17ROCPRIM_400000_NS6detail26segmented_warp_sort_helperINS1_20WarpSortHelperConfigILj16ELj16ELj256EEEdlLi256ELb1EvE4sortIPKdPdPKlPlEEvT_T0_T1_T2_jjjjRNS5_12storage_typeE,@function
_ZN7rocprim17ROCPRIM_400000_NS6detail26segmented_warp_sort_helperINS1_20WarpSortHelperConfigILj16ELj16ELj256EEEdlLi256ELb1EvE4sortIPKdPdPKlPlEEvT_T0_T1_T2_jjjjRNS5_12storage_typeE: ; @_ZN7rocprim17ROCPRIM_400000_NS6detail26segmented_warp_sort_helperINS1_20WarpSortHelperConfigILj16ELj16ELj256EEEdlLi256ELb1EvE4sortIPKdPdPKlPlEEvT_T0_T1_T2_jjjjRNS5_12storage_typeE
; %bb.0:
	s_waitcnt vmcnt(0) expcnt(0) lgkmcnt(0)
	v_mov_b32_e32 v10, v9
	v_mbcnt_lo_u32_b32 v9, -1, 0
	v_mov_b32_e32 v86, -1
	v_mov_b32_e32 v87, -1
	v_sub_nc_u32_e32 v10, v10, v8
	v_lshlrev_b32_e32 v176, 4, v9
	v_mov_b32_e32 v9, 0
	v_and_b32_e32 v167, 0xf0, v176
	v_lshlrev_b64 v[11:12], 3, v[8:9]
	v_mov_b32_e32 v8, -1
	v_mov_b32_e32 v9, -1
	v_lshlrev_b32_e32 v166, 3, v167
	v_add_co_u32 v0, vcc_lo, v0, v11
	v_add_co_ci_u32_e64 v1, null, v1, v12, vcc_lo
	v_add_co_u32 v0, vcc_lo, v0, v166
	v_add_co_ci_u32_e64 v1, null, 0, v1, vcc_lo
	v_cmp_lt_u32_e32 vcc_lo, v167, v10
	s_and_saveexec_b32 s4, vcc_lo
	s_cbranch_execz .LBB1128_2
; %bb.1:
	flat_load_dwordx2 v[8:9], v[0:1]
.LBB1128_2:
	s_or_b32 exec_lo, exec_lo, s4
	v_or_b32_e32 v13, 1, v167
	v_cmp_lt_u32_e64 s4, v13, v10
	s_and_saveexec_b32 s5, s4
	s_cbranch_execz .LBB1128_4
; %bb.3:
	flat_load_dwordx2 v[86:87], v[0:1] offset:8
.LBB1128_4:
	s_or_b32 exec_lo, exec_lo, s5
	v_or_b32_e32 v13, 2, v167
	v_mov_b32_e32 v82, -1
	v_mov_b32_e32 v98, -1
	v_mov_b32_e32 v83, -1
	v_mov_b32_e32 v99, -1
	v_cmp_lt_u32_e64 s5, v13, v10
	s_and_saveexec_b32 s6, s5
	s_cbranch_execz .LBB1128_6
; %bb.5:
	flat_load_dwordx2 v[98:99], v[0:1] offset:16
.LBB1128_6:
	s_or_b32 exec_lo, exec_lo, s6
	v_or_b32_e32 v13, 3, v167
	v_cmp_lt_u32_e64 s6, v13, v10
	s_and_saveexec_b32 s7, s6
	s_cbranch_execz .LBB1128_8
; %bb.7:
	flat_load_dwordx2 v[82:83], v[0:1] offset:24
.LBB1128_8:
	s_or_b32 exec_lo, exec_lo, s7
	v_or_b32_e32 v13, 4, v167
	v_mov_b32_e32 v80, -1
	v_mov_b32_e32 v96, -1
	v_mov_b32_e32 v81, -1
	v_mov_b32_e32 v97, -1
	v_cmp_lt_u32_e64 s7, v13, v10
	s_and_saveexec_b32 s10, s7
	s_cbranch_execz .LBB1128_10
; %bb.9:
	flat_load_dwordx2 v[96:97], v[0:1] offset:32
.LBB1128_10:
	;; [unrolled: 20-line block ×7, first 2 shown]
	s_or_b32 exec_lo, exec_lo, s20
	v_or_b32_e32 v13, 15, v167
	v_cmp_lt_u32_e64 s20, v13, v10
	s_and_saveexec_b32 s23, s20
	s_cbranch_execz .LBB1128_32
; %bb.31:
	flat_load_dwordx2 v[15:16], v[0:1] offset:120
.LBB1128_32:
	s_or_b32 exec_lo, exec_lo, s23
	v_add_co_u32 v0, s23, v4, v11
	v_add_co_ci_u32_e64 v1, null, v5, v12, s23
	v_add_co_u32 v112, s23, v0, v166
	v_add_co_ci_u32_e64 v113, null, 0, v1, s23
	; wave barrier
                                        ; implicit-def: $vgpr0_vgpr1
	s_and_saveexec_b32 s23, vcc_lo
	s_cbranch_execnz .LBB1128_613
; %bb.33:
	s_or_b32 exec_lo, exec_lo, s23
	s_and_saveexec_b32 s23, s4
                                        ; implicit-def: $vgpr4_vgpr5
	s_cbranch_execnz .LBB1128_614
.LBB1128_34:
	s_or_b32 exec_lo, exec_lo, s23
                                        ; implicit-def: $vgpr13_vgpr14
	s_and_saveexec_b32 s23, s5
	s_cbranch_execnz .LBB1128_615
.LBB1128_35:
	s_or_b32 exec_lo, exec_lo, s23
	s_and_saveexec_b32 s23, s6
                                        ; implicit-def: $vgpr17_vgpr18
	s_cbranch_execnz .LBB1128_616
.LBB1128_36:
	s_or_b32 exec_lo, exec_lo, s23
                                        ; implicit-def: $vgpr19_vgpr20
	s_and_saveexec_b32 s23, s7
	s_cbranch_execnz .LBB1128_617
.LBB1128_37:
	s_or_b32 exec_lo, exec_lo, s23
	s_and_saveexec_b32 s23, s10
                                        ; implicit-def: $vgpr21_vgpr22
	s_cbranch_execnz .LBB1128_618
.LBB1128_38:
	s_or_b32 exec_lo, exec_lo, s23
                                        ; implicit-def: $vgpr23_vgpr24
	s_and_saveexec_b32 s23, s11
	s_cbranch_execnz .LBB1128_619
.LBB1128_39:
	s_or_b32 exec_lo, exec_lo, s23
	s_and_saveexec_b32 s23, s21
                                        ; implicit-def: $vgpr25_vgpr26
	s_cbranch_execnz .LBB1128_620
.LBB1128_40:
	s_or_b32 exec_lo, exec_lo, s23
                                        ; implicit-def: $vgpr27_vgpr28
	s_and_saveexec_b32 s23, s22
	s_cbranch_execnz .LBB1128_621
.LBB1128_41:
	s_or_b32 exec_lo, exec_lo, s23
	s_and_saveexec_b32 s23, s14
                                        ; implicit-def: $vgpr29_vgpr30
	s_cbranch_execnz .LBB1128_622
.LBB1128_42:
	s_or_b32 exec_lo, exec_lo, s23
                                        ; implicit-def: $vgpr32_vgpr33
	s_and_saveexec_b32 s23, s15
	s_cbranch_execnz .LBB1128_623
.LBB1128_43:
	s_or_b32 exec_lo, exec_lo, s23
	s_and_saveexec_b32 s23, s16
                                        ; implicit-def: $vgpr34_vgpr35
	s_cbranch_execnz .LBB1128_624
.LBB1128_44:
	s_or_b32 exec_lo, exec_lo, s23
                                        ; implicit-def: $vgpr38_vgpr39
	s_and_saveexec_b32 s23, s17
	s_cbranch_execnz .LBB1128_625
.LBB1128_45:
	s_or_b32 exec_lo, exec_lo, s23
	s_and_saveexec_b32 s23, s18
                                        ; implicit-def: $vgpr50_vgpr51
	s_cbranch_execnz .LBB1128_626
.LBB1128_46:
	s_or_b32 exec_lo, exec_lo, s23
                                        ; implicit-def: $vgpr36_vgpr37
	s_and_saveexec_b32 s23, s19
	s_cbranch_execnz .LBB1128_627
.LBB1128_47:
	s_or_b32 exec_lo, exec_lo, s23
	s_and_saveexec_b32 s23, s20
                                        ; implicit-def: $vgpr102_vgpr103
	s_cbranch_execz .LBB1128_49
.LBB1128_48:
	flat_load_dwordx2 v[102:103], v[112:113] offset:120
.LBB1128_49:
	s_or_b32 exec_lo, exec_lo, s23
	; wave barrier
	s_load_dwordx2 s[24:25], s[8:9], 0x0
	v_mov_b32_e32 v10, 0
	v_bfe_u32 v113, v31, 10, 10
	v_bfe_u32 v114, v31, 20, 10
	v_and_b32_e32 v31, 0x3ff, v31
	s_waitcnt lgkmcnt(0)
	s_cmp_lt_u32 s13, s25
	s_cselect_b32 s13, 14, 20
	s_add_u32 s26, s8, s13
	s_addc_u32 s27, s9, 0
	s_cmp_lt_u32 s12, s24
	global_load_ushort v112, v10, s[26:27]
	s_cselect_b32 s12, 12, 18
	s_add_u32 s8, s8, s12
	s_addc_u32 s9, s9, 0
	global_load_ushort v10, v10, s[8:9]
	s_mov_b32 s9, exec_lo
	s_waitcnt vmcnt(1)
	v_mad_u32_u24 v112, v114, v112, v113
	s_waitcnt vmcnt(0)
	v_mul_lo_u32 v10, v112, v10
	v_add_lshl_u32 v10, v10, v31, 4
	v_cmpx_gt_u32_e32 0x1000, v10
	s_cbranch_execz .LBB1128_291
; %bb.50:
	v_add_f64 v[112:113], v[86:87], 0
	v_add_f64 v[114:115], v[8:9], 0
	v_ashrrev_i32_e32 v31, 31, v113
	v_ashrrev_i32_e32 v116, 31, v115
	v_or_b32_e32 v117, 0x80000000, v31
	v_or_b32_e32 v118, 0x80000000, v116
	v_xor_b32_e32 v112, v31, v112
	v_xor_b32_e32 v114, v116, v114
	;; [unrolled: 1-line block ×4, first 2 shown]
	v_cmp_gt_u64_e64 s8, v[112:113], v[114:115]
	v_mov_b32_e32 v113, v87
	v_mov_b32_e32 v115, v5
	;; [unrolled: 1-line block ×4, first 2 shown]
	s_and_saveexec_b32 s12, s8
	s_cbranch_execz .LBB1128_52
; %bb.51:
	v_mov_b32_e32 v113, v9
	v_mov_b32_e32 v115, v1
	v_mov_b32_e32 v112, v8
	v_mov_b32_e32 v8, v86
	v_mov_b32_e32 v114, v0
	v_mov_b32_e32 v0, v4
	v_mov_b32_e32 v9, v87
	v_mov_b32_e32 v1, v5
.LBB1128_52:
	s_or_b32 exec_lo, exec_lo, s12
	v_add_f64 v[4:5], v[82:83], 0
	v_add_f64 v[86:87], v[98:99], 0
	v_ashrrev_i32_e32 v31, 31, v5
	v_ashrrev_i32_e32 v116, 31, v87
	v_or_b32_e32 v117, 0x80000000, v31
	v_or_b32_e32 v118, 0x80000000, v116
	v_xor_b32_e32 v4, v31, v4
	v_xor_b32_e32 v86, v116, v86
	v_xor_b32_e32 v5, v117, v5
	v_xor_b32_e32 v87, v118, v87
	v_mov_b32_e32 v117, v18
	v_mov_b32_e32 v116, v17
	v_cmp_gt_u64_e64 s8, v[4:5], v[86:87]
	v_mov_b32_e32 v87, v83
	v_mov_b32_e32 v86, v82
	s_and_saveexec_b32 s12, s8
	s_cbranch_execz .LBB1128_54
; %bb.53:
	v_mov_b32_e32 v86, v98
	v_mov_b32_e32 v117, v14
	v_mov_b32_e32 v87, v99
	v_mov_b32_e32 v99, v83
	v_mov_b32_e32 v116, v13
	v_mov_b32_e32 v13, v17
	v_mov_b32_e32 v98, v82
	v_mov_b32_e32 v14, v18
.LBB1128_54:
	s_or_b32 exec_lo, exec_lo, s12
	v_add_f64 v[4:5], v[80:81], 0
	v_add_f64 v[17:18], v[96:97], 0
	v_ashrrev_i32_e32 v31, 31, v5
	v_ashrrev_i32_e32 v82, 31, v18
	v_or_b32_e32 v83, 0x80000000, v31
	v_or_b32_e32 v118, 0x80000000, v82
	v_xor_b32_e32 v4, v31, v4
	v_xor_b32_e32 v17, v82, v17
	v_xor_b32_e32 v5, v83, v5
	v_xor_b32_e32 v18, v118, v18
	v_mov_b32_e32 v83, v22
	v_mov_b32_e32 v82, v21
	v_cmp_gt_u64_e64 s8, v[4:5], v[17:18]
	v_mov_b32_e32 v17, v80
	v_mov_b32_e32 v18, v81
	;; [unrolled: 28-line block ×4, first 2 shown]
	s_and_saveexec_b32 s12, s8
	s_cbranch_execz .LBB1128_60
; %bb.59:
	v_mov_b32_e32 v25, v68
	v_mov_b32_e32 v71, v28
	;; [unrolled: 1-line block ×8, first 2 shown]
.LBB1128_60:
	s_or_b32 exec_lo, exec_lo, s12
	v_add_f64 v[4:5], v[100:101], 0
	v_add_f64 v[29:30], v[54:55], 0
	v_mov_b32_e32 v129, v101
	v_mov_b32_e32 v128, v100
	s_mov_b32 s12, exec_lo
	v_ashrrev_i32_e32 v31, 31, v5
	v_ashrrev_i32_e32 v64, 31, v30
	v_or_b32_e32 v65, 0x80000000, v31
	v_or_b32_e32 v118, 0x80000000, v64
	v_xor_b32_e32 v29, v64, v29
	v_xor_b32_e32 v4, v31, v4
	;; [unrolled: 1-line block ×3, first 2 shown]
	v_mov_b32_e32 v65, v35
	v_xor_b32_e32 v30, v118, v30
	v_mov_b32_e32 v64, v34
	v_cmpx_gt_u64_e64 v[4:5], v[29:30]
	s_cbranch_execz .LBB1128_62
; %bb.61:
	v_mov_b32_e32 v129, v55
	v_mov_b32_e32 v65, v33
	;; [unrolled: 1-line block ×8, first 2 shown]
.LBB1128_62:
	s_or_b32 exec_lo, exec_lo, s12
	v_add_f64 v[4:5], v[48:49], 0
	v_add_f64 v[29:30], v[52:53], 0
	v_mov_b32_e32 v119, v53
	v_mov_b32_e32 v118, v52
	v_ashrrev_i32_e32 v31, 31, v5
	v_ashrrev_i32_e32 v34, 31, v30
	v_or_b32_e32 v35, 0x80000000, v31
	v_or_b32_e32 v100, 0x80000000, v34
	v_xor_b32_e32 v4, v31, v4
	v_xor_b32_e32 v29, v34, v29
	;; [unrolled: 1-line block ×4, first 2 shown]
	v_cmp_gt_u64_e64 s8, v[4:5], v[29:30]
	v_mov_b32_e32 v29, v50
	v_mov_b32_e32 v30, v51
	s_and_saveexec_b32 s12, s8
	s_cbranch_execz .LBB1128_64
; %bb.63:
	v_mov_b32_e32 v29, v38
	v_mov_b32_e32 v119, v49
	;; [unrolled: 1-line block ×8, first 2 shown]
.LBB1128_64:
	s_or_b32 exec_lo, exec_lo, s12
	v_add_f64 v[4:5], v[15:16], 0
	v_add_f64 v[34:35], v[66:67], 0
	v_ashrrev_i32_e32 v31, 31, v5
	v_ashrrev_i32_e32 v50, 31, v35
	v_or_b32_e32 v51, 0x80000000, v31
	v_or_b32_e32 v52, 0x80000000, v50
	v_xor_b32_e32 v4, v31, v4
	v_xor_b32_e32 v34, v50, v34
	;; [unrolled: 1-line block ×4, first 2 shown]
	v_mov_b32_e32 v52, v66
	v_mov_b32_e32 v53, v67
	v_cmp_gt_u64_e64 s8, v[4:5], v[34:35]
	v_mov_b32_e32 v4, v102
	v_mov_b32_e32 v5, v103
	s_and_saveexec_b32 s12, s8
	s_cbranch_execz .LBB1128_66
; %bb.65:
	v_mov_b32_e32 v4, v36
	v_mov_b32_e32 v53, v16
	;; [unrolled: 1-line block ×8, first 2 shown]
.LBB1128_66:
	s_or_b32 exec_lo, exec_lo, s12
	v_add_f64 v[34:35], v[98:99], 0
	v_add_f64 v[50:51], v[112:113], 0
	v_ashrrev_i32_e32 v31, 31, v35
	v_ashrrev_i32_e32 v66, 31, v51
	v_or_b32_e32 v67, 0x80000000, v31
	v_or_b32_e32 v100, 0x80000000, v66
	v_xor_b32_e32 v34, v31, v34
	v_xor_b32_e32 v50, v66, v50
	;; [unrolled: 1-line block ×4, first 2 shown]
	v_mov_b32_e32 v67, v14
	v_mov_b32_e32 v66, v13
	v_cmp_gt_u64_e64 s8, v[34:35], v[50:51]
	v_mov_b32_e32 v34, v98
	v_mov_b32_e32 v35, v99
	s_and_saveexec_b32 s12, s8
	s_xor_b32 s8, exec_lo, s12
	s_cbranch_execz .LBB1128_68
; %bb.67:
	v_mov_b32_e32 v34, v112
	v_mov_b32_e32 v66, v114
	v_mov_b32_e32 v35, v113
	v_mov_b32_e32 v113, v99
	v_mov_b32_e32 v67, v115
	v_mov_b32_e32 v115, v14
	v_mov_b32_e32 v112, v98
	v_mov_b32_e32 v114, v13
.LBB1128_68:
	s_or_b32 exec_lo, exec_lo, s8
	v_add_f64 v[13:14], v[96:97], 0
	v_add_f64 v[50:51], v[86:87], 0
	v_ashrrev_i32_e32 v31, 31, v14
	v_ashrrev_i32_e32 v98, 31, v51
	v_or_b32_e32 v99, 0x80000000, v31
	v_or_b32_e32 v100, 0x80000000, v98
	v_xor_b32_e32 v13, v31, v13
	v_xor_b32_e32 v50, v98, v50
	v_xor_b32_e32 v14, v99, v14
	v_xor_b32_e32 v51, v100, v51
	v_mov_b32_e32 v99, v20
	v_mov_b32_e32 v98, v19
	v_cmp_gt_u64_e64 s8, v[13:14], v[50:51]
	v_mov_b32_e32 v50, v96
	v_mov_b32_e32 v51, v97
	s_and_saveexec_b32 s12, s8
	s_cbranch_execz .LBB1128_70
; %bb.69:
	v_mov_b32_e32 v50, v86
	v_mov_b32_e32 v98, v116
	v_mov_b32_e32 v51, v87
	v_mov_b32_e32 v86, v96
	v_mov_b32_e32 v99, v117
	v_mov_b32_e32 v117, v20
	v_mov_b32_e32 v87, v97
	v_mov_b32_e32 v116, v19
.LBB1128_70:
	s_or_b32 exec_lo, exec_lo, s12
	v_add_f64 v[13:14], v[84:85], 0
	v_add_f64 v[19:20], v[17:18], 0
	v_ashrrev_i32_e32 v31, 31, v14
	v_ashrrev_i32_e32 v96, 31, v20
	v_or_b32_e32 v97, 0x80000000, v31
	v_or_b32_e32 v100, 0x80000000, v96
	v_xor_b32_e32 v13, v31, v13
	v_xor_b32_e32 v19, v96, v19
	v_xor_b32_e32 v14, v97, v14
	v_xor_b32_e32 v20, v100, v20
	v_mov_b32_e32 v97, v24
	v_mov_b32_e32 v96, v23
	v_cmp_gt_u64_e64 s8, v[13:14], v[19:20]
	v_mov_b32_e32 v19, v84
	v_mov_b32_e32 v20, v85
	s_and_saveexec_b32 s12, s8
	;; [unrolled: 28-line block ×8, first 2 shown]
	s_cbranch_execz .LBB1128_84
; %bb.83:
	v_mov_b32_e32 v39, v35
	v_mov_b32_e32 v113, v67
	v_mov_b32_e32 v38, v34
	v_mov_b32_e32 v34, v86
	v_mov_b32_e32 v112, v66
	v_mov_b32_e32 v66, v116
	v_mov_b32_e32 v35, v87
	v_mov_b32_e32 v67, v117
.LBB1128_84:
	s_or_b32 exec_lo, exec_lo, s12
	v_add_f64 v[48:49], v[17:18], 0
	v_add_f64 v[86:87], v[50:51], 0
	v_ashrrev_i32_e32 v33, 31, v49
	v_ashrrev_i32_e32 v114, 31, v87
	v_or_b32_e32 v115, 0x80000000, v33
	v_or_b32_e32 v116, 0x80000000, v114
	v_xor_b32_e32 v48, v33, v48
	v_xor_b32_e32 v86, v114, v86
	v_xor_b32_e32 v49, v115, v49
	v_xor_b32_e32 v87, v116, v87
	v_cmp_gt_u64_e64 s8, v[48:49], v[86:87]
	v_mov_b32_e32 v49, v18
	v_mov_b32_e32 v87, v83
	v_mov_b32_e32 v48, v17
	v_mov_b32_e32 v86, v82
	s_and_saveexec_b32 s12, s8
	s_cbranch_execz .LBB1128_86
; %bb.85:
	v_mov_b32_e32 v48, v50
	v_mov_b32_e32 v86, v98
	v_mov_b32_e32 v49, v51
	v_mov_b32_e32 v51, v18
	v_mov_b32_e32 v87, v99
	v_mov_b32_e32 v99, v83
	v_mov_b32_e32 v50, v17
	v_mov_b32_e32 v98, v82
.LBB1128_86:
	s_or_b32 exec_lo, exec_lo, s12
	v_add_f64 v[17:18], v[21:22], 0
	v_add_f64 v[82:83], v[19:20], 0
	v_ashrrev_i32_e32 v33, 31, v18
	v_ashrrev_i32_e32 v114, 31, v83
	v_or_b32_e32 v115, 0x80000000, v33
	v_or_b32_e32 v116, 0x80000000, v114
	v_xor_b32_e32 v17, v33, v17
	v_xor_b32_e32 v82, v114, v82
	v_xor_b32_e32 v18, v115, v18
	v_xor_b32_e32 v83, v116, v83
	v_cmp_gt_u64_e64 s8, v[17:18], v[82:83]
	v_mov_b32_e32 v17, v21
	v_mov_b32_e32 v83, v81
	v_mov_b32_e32 v18, v22
	v_mov_b32_e32 v82, v80
	s_and_saveexec_b32 s12, s8
	;; [unrolled: 28-line block ×3, first 2 shown]
	s_cbranch_execz .LBB1128_90
; %bb.89:
	v_mov_b32_e32 v21, v23
	v_mov_b32_e32 v80, v84
	;; [unrolled: 1-line block ×8, first 2 shown]
.LBB1128_90:
	s_or_b32 exec_lo, exec_lo, s12
	v_add_f64 v[25:26], v[13:14], 0
	v_add_f64 v[70:71], v[27:28], 0
	v_mov_b32_e32 v129, v14
	v_mov_b32_e32 v128, v13
	v_ashrrev_i32_e32 v33, 31, v26
	v_ashrrev_i32_e32 v114, 31, v71
	v_or_b32_e32 v115, 0x80000000, v33
	v_or_b32_e32 v116, 0x80000000, v114
	v_xor_b32_e32 v25, v33, v25
	v_xor_b32_e32 v70, v114, v70
	;; [unrolled: 1-line block ×4, first 2 shown]
	v_cmp_gt_u64_e64 s8, v[25:26], v[70:71]
	v_mov_b32_e32 v71, v65
	v_mov_b32_e32 v70, v64
	s_and_saveexec_b32 s12, s8
	s_cbranch_execz .LBB1128_92
; %bb.91:
	v_mov_b32_e32 v129, v28
	v_mov_b32_e32 v71, v69
	;; [unrolled: 1-line block ×8, first 2 shown]
.LBB1128_92:
	s_or_b32 exec_lo, exec_lo, s12
	v_add_f64 v[13:14], v[100:101], 0
	v_add_f64 v[25:26], v[118:119], 0
	v_mov_b32_e32 v116, v118
	v_mov_b32_e32 v117, v119
	v_ashrrev_i32_e32 v33, 31, v14
	v_ashrrev_i32_e32 v64, 31, v26
	v_or_b32_e32 v65, 0x80000000, v33
	v_or_b32_e32 v114, 0x80000000, v64
	v_xor_b32_e32 v13, v33, v13
	v_xor_b32_e32 v25, v64, v25
	;; [unrolled: 1-line block ×4, first 2 shown]
	v_cmp_gt_u64_e64 s8, v[13:14], v[25:26]
	v_mov_b32_e32 v25, v29
	v_mov_b32_e32 v26, v30
	s_and_saveexec_b32 s12, s8
	s_cbranch_execz .LBB1128_94
; %bb.93:
	v_mov_b32_e32 v25, v54
	v_mov_b32_e32 v117, v101
	v_mov_b32_e32 v26, v55
	v_mov_b32_e32 v55, v30
	v_mov_b32_e32 v116, v100
	v_mov_b32_e32 v100, v118
	v_mov_b32_e32 v54, v29
	v_mov_b32_e32 v101, v119
.LBB1128_94:
	s_or_b32 exec_lo, exec_lo, s12
	v_add_f64 v[13:14], v[15:16], 0
	v_add_f64 v[29:30], v[52:53], 0
	v_ashrrev_i32_e32 v33, 31, v14
	v_ashrrev_i32_e32 v64, 31, v30
	v_or_b32_e32 v65, 0x80000000, v33
	v_or_b32_e32 v114, 0x80000000, v64
	v_xor_b32_e32 v13, v33, v13
	v_xor_b32_e32 v29, v64, v29
	v_xor_b32_e32 v14, v65, v14
	v_xor_b32_e32 v30, v114, v30
	v_mov_b32_e32 v65, v53
	v_mov_b32_e32 v64, v52
	v_cmp_gt_u64_e64 s8, v[13:14], v[29:30]
	v_mov_b32_e32 v14, v5
	v_mov_b32_e32 v13, v4
	s_and_saveexec_b32 s12, s8
	s_cbranch_execz .LBB1128_96
; %bb.95:
	v_mov_b32_e32 v13, v31
	v_mov_b32_e32 v65, v16
	v_mov_b32_e32 v14, v32
	v_mov_b32_e32 v32, v5
	v_mov_b32_e32 v64, v15
	v_mov_b32_e32 v15, v52
	v_mov_b32_e32 v31, v4
	v_mov_b32_e32 v16, v53
.LBB1128_96:
	s_or_b32 exec_lo, exec_lo, s12
	v_add_f64 v[4:5], v[34:35], 0
	v_add_f64 v[29:30], v[36:37], 0
	v_ashrrev_i32_e32 v33, 31, v5
	v_ashrrev_i32_e32 v52, 31, v30
	v_or_b32_e32 v53, 0x80000000, v33
	v_or_b32_e32 v114, 0x80000000, v52
	v_xor_b32_e32 v4, v33, v4
	v_xor_b32_e32 v29, v52, v29
	v_xor_b32_e32 v5, v53, v5
	v_xor_b32_e32 v30, v114, v30
	v_mov_b32_e32 v115, v67
	v_mov_b32_e32 v114, v66
	;; [unrolled: 28-line block ×13, first 2 shown]
	v_cmp_gt_u64_e64 s8, v[17:18], v[54:55]
	v_mov_b32_e32 v17, v21
	v_mov_b32_e32 v18, v22
	s_and_saveexec_b32 s12, s8
	s_cbranch_execz .LBB1128_120
; %bb.119:
	v_mov_b32_e32 v17, v19
	v_mov_b32_e32 v82, v96
	;; [unrolled: 1-line block ×8, first 2 shown]
.LBB1128_120:
	s_or_b32 exec_lo, exec_lo, s12
	v_add_f64 v[21:22], v[4:5], 0
	v_add_f64 v[54:55], v[23:24], 0
	v_mov_b32_e32 v129, v5
	v_mov_b32_e32 v128, v4
	s_mov_b32 s12, exec_lo
	v_ashrrev_i32_e32 v39, 31, v22
	v_ashrrev_i32_e32 v80, 31, v55
	v_or_b32_e32 v81, 0x80000000, v39
	v_or_b32_e32 v118, 0x80000000, v80
	v_xor_b32_e32 v54, v80, v54
	v_xor_b32_e32 v21, v39, v21
	;; [unrolled: 1-line block ×3, first 2 shown]
	v_mov_b32_e32 v81, v71
	v_xor_b32_e32 v55, v118, v55
	v_mov_b32_e32 v80, v70
	v_cmpx_gt_u64_e64 v[21:22], v[54:55]
	s_cbranch_execz .LBB1128_122
; %bb.121:
	v_mov_b32_e32 v129, v24
	v_mov_b32_e32 v80, v84
	;; [unrolled: 1-line block ×8, first 2 shown]
.LBB1128_122:
	s_or_b32 exec_lo, exec_lo, s12
	v_add_f64 v[4:5], v[68:69], 0
	v_add_f64 v[21:22], v[116:117], 0
	v_mov_b32_e32 v119, v117
	v_mov_b32_e32 v118, v116
	v_ashrrev_i32_e32 v39, 31, v5
	v_ashrrev_i32_e32 v54, 31, v22
	v_or_b32_e32 v55, 0x80000000, v39
	v_or_b32_e32 v70, 0x80000000, v54
	v_xor_b32_e32 v4, v39, v4
	v_xor_b32_e32 v21, v54, v21
	;; [unrolled: 1-line block ×4, first 2 shown]
	v_cmp_gt_u64_e64 s8, v[4:5], v[21:22]
	v_mov_b32_e32 v21, v25
	v_mov_b32_e32 v22, v26
	s_and_saveexec_b32 s12, s8
	s_cbranch_execz .LBB1128_124
; %bb.123:
	v_mov_b32_e32 v21, v52
	v_mov_b32_e32 v119, v69
	v_mov_b32_e32 v22, v53
	v_mov_b32_e32 v53, v26
	v_mov_b32_e32 v118, v68
	v_mov_b32_e32 v68, v116
	v_mov_b32_e32 v52, v25
	v_mov_b32_e32 v69, v117
.LBB1128_124:
	s_or_b32 exec_lo, exec_lo, s12
	v_add_f64 v[4:5], v[15:16], 0
	v_add_f64 v[25:26], v[64:65], 0
	v_ashrrev_i32_e32 v39, 31, v5
	v_ashrrev_i32_e32 v54, 31, v26
	v_or_b32_e32 v55, 0x80000000, v39
	v_or_b32_e32 v70, 0x80000000, v54
	v_xor_b32_e32 v4, v39, v4
	v_xor_b32_e32 v25, v54, v25
	v_xor_b32_e32 v5, v55, v5
	v_xor_b32_e32 v26, v70, v26
	v_mov_b32_e32 v71, v65
	v_mov_b32_e32 v70, v64
	v_cmp_gt_u64_e64 s8, v[4:5], v[25:26]
	v_mov_b32_e32 v4, v13
	v_mov_b32_e32 v5, v14
	s_and_saveexec_b32 s12, s8
	s_cbranch_execz .LBB1128_126
; %bb.125:
	v_mov_b32_e32 v4, v27
	v_mov_b32_e32 v71, v16
	v_mov_b32_e32 v5, v28
	v_mov_b32_e32 v28, v14
	v_mov_b32_e32 v70, v15
	v_mov_b32_e32 v15, v64
	v_mov_b32_e32 v27, v13
	v_mov_b32_e32 v16, v65
.LBB1128_126:
	s_or_b32 exec_lo, exec_lo, s12
	v_add_f64 v[13:14], v[29:30], 0
	v_add_f64 v[25:26], v[31:32], 0
	v_ashrrev_i32_e32 v39, 31, v14
	v_ashrrev_i32_e32 v54, 31, v26
	v_or_b32_e32 v55, 0x80000000, v39
	v_or_b32_e32 v64, 0x80000000, v54
	v_xor_b32_e32 v13, v39, v13
	v_xor_b32_e32 v25, v54, v25
	v_xor_b32_e32 v14, v55, v14
	v_xor_b32_e32 v26, v64, v26
	v_mov_b32_e32 v64, v114
	v_mov_b32_e32 v65, v115
	;; [unrolled: 28-line block ×13, first 2 shown]
	v_cmp_gt_u64_e64 s8, v[48:49], v[52:53]
	v_mov_b32_e32 v49, v18
	v_mov_b32_e32 v48, v17
	s_and_saveexec_b32 s12, s8
	s_cbranch_execz .LBB1128_150
; %bb.149:
	v_mov_b32_e32 v48, v50
	v_mov_b32_e32 v86, v98
	;; [unrolled: 1-line block ×8, first 2 shown]
.LBB1128_150:
	s_or_b32 exec_lo, exec_lo, s12
	v_add_f64 v[17:18], v[13:14], 0
	v_add_f64 v[52:53], v[19:20], 0
	v_mov_b32_e32 v129, v14
	v_mov_b32_e32 v128, v13
	s_mov_b32 s12, exec_lo
	v_ashrrev_i32_e32 v39, 31, v18
	v_ashrrev_i32_e32 v82, 31, v53
	v_or_b32_e32 v83, 0x80000000, v39
	v_or_b32_e32 v116, 0x80000000, v82
	v_xor_b32_e32 v52, v82, v52
	v_xor_b32_e32 v17, v39, v17
	;; [unrolled: 1-line block ×3, first 2 shown]
	v_mov_b32_e32 v83, v81
	v_xor_b32_e32 v53, v116, v53
	v_mov_b32_e32 v82, v80
	v_cmpx_gt_u64_e64 v[17:18], v[52:53]
	s_cbranch_execz .LBB1128_152
; %bb.151:
	v_mov_b32_e32 v129, v20
	v_mov_b32_e32 v82, v96
	;; [unrolled: 1-line block ×8, first 2 shown]
.LBB1128_152:
	s_or_b32 exec_lo, exec_lo, s12
	v_add_f64 v[13:14], v[84:85], 0
	v_add_f64 v[17:18], v[118:119], 0
	v_mov_b32_e32 v116, v118
	v_mov_b32_e32 v117, v119
	v_ashrrev_i32_e32 v39, 31, v14
	v_ashrrev_i32_e32 v52, 31, v18
	v_or_b32_e32 v53, 0x80000000, v39
	v_or_b32_e32 v80, 0x80000000, v52
	v_xor_b32_e32 v13, v39, v13
	v_xor_b32_e32 v17, v52, v17
	;; [unrolled: 1-line block ×4, first 2 shown]
	v_cmp_gt_u64_e64 s8, v[13:14], v[17:18]
	v_mov_b32_e32 v17, v21
	v_mov_b32_e32 v18, v22
	s_and_saveexec_b32 s12, s8
	s_cbranch_execz .LBB1128_154
; %bb.153:
	v_mov_b32_e32 v17, v54
	v_mov_b32_e32 v117, v85
	v_mov_b32_e32 v18, v55
	v_mov_b32_e32 v55, v22
	v_mov_b32_e32 v116, v84
	v_mov_b32_e32 v84, v118
	v_mov_b32_e32 v54, v21
	v_mov_b32_e32 v85, v119
.LBB1128_154:
	s_or_b32 exec_lo, exec_lo, s12
	v_add_f64 v[13:14], v[15:16], 0
	v_add_f64 v[21:22], v[70:71], 0
	v_ashrrev_i32_e32 v39, 31, v14
	v_ashrrev_i32_e32 v52, 31, v22
	v_or_b32_e32 v53, 0x80000000, v39
	v_or_b32_e32 v80, 0x80000000, v52
	v_xor_b32_e32 v13, v39, v13
	v_xor_b32_e32 v21, v52, v21
	v_xor_b32_e32 v14, v53, v14
	v_xor_b32_e32 v22, v80, v22
	v_mov_b32_e32 v81, v71
	v_mov_b32_e32 v80, v70
	v_cmp_gt_u64_e64 s8, v[13:14], v[21:22]
	v_mov_b32_e32 v14, v5
	v_mov_b32_e32 v13, v4
	s_and_saveexec_b32 s12, s8
	s_cbranch_execz .LBB1128_156
; %bb.155:
	v_mov_b32_e32 v13, v23
	v_mov_b32_e32 v81, v16
	v_mov_b32_e32 v14, v24
	v_mov_b32_e32 v24, v5
	v_mov_b32_e32 v80, v15
	v_mov_b32_e32 v15, v70
	v_mov_b32_e32 v23, v4
	v_mov_b32_e32 v16, v71
.LBB1128_156:
	s_or_b32 exec_lo, exec_lo, s12
	v_add_f64 v[4:5], v[25:26], 0
	v_add_f64 v[21:22], v[27:28], 0
	v_ashrrev_i32_e32 v39, 31, v5
	v_ashrrev_i32_e32 v52, 31, v22
	v_or_b32_e32 v53, 0x80000000, v39
	v_or_b32_e32 v70, 0x80000000, v52
	v_xor_b32_e32 v4, v39, v4
	v_xor_b32_e32 v21, v52, v21
	v_xor_b32_e32 v5, v53, v5
	v_xor_b32_e32 v22, v70, v22
	v_mov_b32_e32 v71, v65
	v_mov_b32_e32 v70, v64
	;; [unrolled: 28-line block ×13, first 2 shown]
	v_cmp_gt_u64_e64 s8, v[37:38], v[54:55]
	v_mov_b32_e32 v37, v48
	v_mov_b32_e32 v38, v49
	s_and_saveexec_b32 s12, s8
	s_cbranch_execz .LBB1128_180
; %bb.179:
	v_mov_b32_e32 v38, v34
	v_mov_b32_e32 v113, v67
	v_mov_b32_e32 v37, v33
	v_mov_b32_e32 v33, v48
	v_mov_b32_e32 v112, v66
	v_mov_b32_e32 v66, v86
	v_mov_b32_e32 v34, v49
	v_mov_b32_e32 v67, v87
.LBB1128_180:
	s_or_b32 exec_lo, exec_lo, s12
	v_add_f64 v[48:49], v[4:5], 0
	v_add_f64 v[54:55], v[50:51], 0
	v_mov_b32_e32 v129, v5
	v_mov_b32_e32 v128, v4
	s_mov_b32 s12, exec_lo
	v_ashrrev_i32_e32 v39, 31, v49
	v_ashrrev_i32_e32 v86, 31, v55
	v_or_b32_e32 v87, 0x80000000, v39
	v_or_b32_e32 v118, 0x80000000, v86
	v_xor_b32_e32 v54, v86, v54
	v_xor_b32_e32 v48, v39, v48
	;; [unrolled: 1-line block ×3, first 2 shown]
	v_mov_b32_e32 v87, v83
	v_xor_b32_e32 v55, v118, v55
	v_mov_b32_e32 v86, v82
	v_cmpx_gt_u64_e64 v[48:49], v[54:55]
	s_cbranch_execz .LBB1128_182
; %bb.181:
	v_mov_b32_e32 v129, v51
	v_mov_b32_e32 v86, v98
	;; [unrolled: 1-line block ×8, first 2 shown]
.LBB1128_182:
	s_or_b32 exec_lo, exec_lo, s12
	v_add_f64 v[4:5], v[96:97], 0
	v_add_f64 v[48:49], v[116:117], 0
	v_mov_b32_e32 v119, v117
	v_mov_b32_e32 v118, v116
	v_ashrrev_i32_e32 v39, 31, v5
	v_ashrrev_i32_e32 v54, 31, v49
	v_or_b32_e32 v55, 0x80000000, v39
	v_or_b32_e32 v82, 0x80000000, v54
	v_xor_b32_e32 v4, v39, v4
	v_xor_b32_e32 v48, v54, v48
	;; [unrolled: 1-line block ×4, first 2 shown]
	v_cmp_gt_u64_e64 s8, v[4:5], v[48:49]
	v_mov_b32_e32 v49, v18
	v_mov_b32_e32 v48, v17
	s_and_saveexec_b32 s12, s8
	s_cbranch_execz .LBB1128_184
; %bb.183:
	v_mov_b32_e32 v48, v52
	v_mov_b32_e32 v119, v97
	v_mov_b32_e32 v49, v53
	v_mov_b32_e32 v53, v18
	v_mov_b32_e32 v118, v96
	v_mov_b32_e32 v96, v116
	v_mov_b32_e32 v52, v17
	v_mov_b32_e32 v97, v117
.LBB1128_184:
	s_or_b32 exec_lo, exec_lo, s12
	v_add_f64 v[4:5], v[15:16], 0
	v_add_f64 v[17:18], v[80:81], 0
	v_ashrrev_i32_e32 v39, 31, v5
	v_ashrrev_i32_e32 v54, 31, v18
	v_or_b32_e32 v55, 0x80000000, v39
	v_or_b32_e32 v82, 0x80000000, v54
	v_xor_b32_e32 v4, v39, v4
	v_xor_b32_e32 v17, v54, v17
	v_xor_b32_e32 v5, v55, v5
	v_xor_b32_e32 v18, v82, v18
	v_mov_b32_e32 v83, v81
	v_mov_b32_e32 v82, v80
	v_cmp_gt_u64_e64 s8, v[4:5], v[17:18]
	v_mov_b32_e32 v4, v13
	v_mov_b32_e32 v5, v14
	s_and_saveexec_b32 s12, s8
	s_cbranch_execz .LBB1128_186
; %bb.185:
	v_mov_b32_e32 v4, v19
	v_mov_b32_e32 v83, v16
	v_mov_b32_e32 v5, v20
	v_mov_b32_e32 v20, v14
	v_mov_b32_e32 v82, v15
	v_mov_b32_e32 v15, v80
	v_mov_b32_e32 v19, v13
	v_mov_b32_e32 v16, v81
.LBB1128_186:
	s_or_b32 exec_lo, exec_lo, s12
	v_add_f64 v[13:14], v[21:22], 0
	v_add_f64 v[17:18], v[23:24], 0
	v_ashrrev_i32_e32 v39, 31, v14
	v_ashrrev_i32_e32 v54, 31, v18
	v_or_b32_e32 v55, 0x80000000, v39
	v_or_b32_e32 v80, 0x80000000, v54
	v_xor_b32_e32 v13, v39, v13
	v_xor_b32_e32 v17, v54, v17
	v_xor_b32_e32 v14, v55, v14
	v_xor_b32_e32 v18, v80, v18
	v_mov_b32_e32 v81, v71
	v_mov_b32_e32 v80, v70
	;; [unrolled: 28-line block ×7, first 2 shown]
	v_cmp_gt_u64_e64 s8, v[13:14], v[50:51]
	v_mov_b32_e32 v13, v128
	v_mov_b32_e32 v14, v129
	s_and_saveexec_b32 s12, s8
	s_cbranch_execz .LBB1128_198
; %bb.197:
	v_mov_b32_e32 v13, v118
	v_mov_b32_e32 v54, v86
	v_mov_b32_e32 v14, v119
	v_mov_b32_e32 v55, v87
	v_mov_b32_e32 v87, v53
	v_mov_b32_e32 v118, v128
	v_mov_b32_e32 v86, v52
	v_mov_b32_e32 v119, v129
.LBB1128_198:
	s_or_b32 exec_lo, exec_lo, s12
	v_add_f64 v[50:51], v[82:83], 0
	v_add_f64 v[52:53], v[96:97], 0
	v_ashrrev_i32_e32 v39, 31, v51
	v_ashrrev_i32_e32 v98, 31, v53
	v_or_b32_e32 v99, 0x80000000, v39
	v_or_b32_e32 v116, 0x80000000, v98
	v_xor_b32_e32 v50, v39, v50
	v_xor_b32_e32 v52, v98, v52
	v_xor_b32_e32 v51, v99, v51
	v_xor_b32_e32 v53, v116, v53
	v_cmp_gt_u64_e64 s8, v[50:51], v[52:53]
	v_mov_b32_e32 v51, v20
	v_mov_b32_e32 v52, v96
	v_mov_b32_e32 v50, v19
	v_mov_b32_e32 v53, v97
	s_and_saveexec_b32 s12, s8
	s_cbranch_execz .LBB1128_200
; %bb.199:
	v_mov_b32_e32 v51, v49
	v_mov_b32_e32 v52, v82
	v_mov_b32_e32 v50, v48
	v_mov_b32_e32 v49, v20
	v_mov_b32_e32 v53, v83
	v_mov_b32_e32 v82, v96
	v_mov_b32_e32 v48, v19
	v_mov_b32_e32 v83, v97
.LBB1128_200:
	s_or_b32 exec_lo, exec_lo, s12
	v_add_f64 v[19:20], v[23:24], 0
	v_add_f64 v[96:97], v[8:9], 0
	v_ashrrev_i32_e32 v39, 31, v20
	v_ashrrev_i32_e32 v98, 31, v97
	v_or_b32_e32 v99, 0x80000000, v39
	v_or_b32_e32 v116, 0x80000000, v98
	v_xor_b32_e32 v19, v39, v19
	v_xor_b32_e32 v96, v98, v96
	v_xor_b32_e32 v20, v99, v20
	v_xor_b32_e32 v97, v116, v97
	v_cmp_gt_u64_e64 s8, v[19:20], v[96:97]
	v_mov_b32_e32 v19, v23
	v_mov_b32_e32 v97, v85
	;; [unrolled: 28-line block ×6, first 2 shown]
	v_mov_b32_e32 v36, v38
	v_mov_b32_e32 v101, v113
	s_and_saveexec_b32 s12, s8
	s_cbranch_execz .LBB1128_210
; %bb.209:
	v_mov_b32_e32 v36, v30
	v_mov_b32_e32 v100, v114
	v_mov_b32_e32 v35, v29
	v_mov_b32_e32 v29, v37
	v_mov_b32_e32 v101, v115
	v_mov_b32_e32 v115, v113
	v_mov_b32_e32 v30, v38
	v_mov_b32_e32 v114, v112
.LBB1128_210:
	s_or_b32 exec_lo, exec_lo, s12
	v_add_f64 v[37:38], v[13:14], 0
	v_add_f64 v[102:103], v[33:34], 0
	v_ashrrev_i32_e32 v39, 31, v38
	v_ashrrev_i32_e32 v112, 31, v103
	v_or_b32_e32 v113, 0x80000000, v39
	v_or_b32_e32 v116, 0x80000000, v112
	v_xor_b32_e32 v37, v39, v37
	v_xor_b32_e32 v102, v112, v102
	v_xor_b32_e32 v38, v113, v38
	v_xor_b32_e32 v103, v116, v103
	v_mov_b32_e32 v117, v14
	v_mov_b32_e32 v116, v13
	v_cmp_gt_u64_e64 s8, v[37:38], v[102:103]
	v_mov_b32_e32 v103, v87
	v_mov_b32_e32 v102, v86
	s_and_saveexec_b32 s12, s8
	s_cbranch_execz .LBB1128_212
; %bb.211:
	v_mov_b32_e32 v117, v34
	v_mov_b32_e32 v103, v67
	v_mov_b32_e32 v116, v33
	v_mov_b32_e32 v34, v14
	v_mov_b32_e32 v102, v66
	v_mov_b32_e32 v66, v86
	v_mov_b32_e32 v33, v13
	v_mov_b32_e32 v67, v87
.LBB1128_212:
	s_or_b32 exec_lo, exec_lo, s12
	v_add_f64 v[13:14], v[52:53], 0
	v_add_f64 v[37:38], v[118:119], 0
	v_ashrrev_i32_e32 v39, 31, v14
	v_ashrrev_i32_e32 v86, 31, v38
	v_or_b32_e32 v87, 0x80000000, v39
	v_or_b32_e32 v112, 0x80000000, v86
	v_xor_b32_e32 v13, v39, v13
	v_xor_b32_e32 v37, v86, v37
	v_xor_b32_e32 v14, v87, v14
	v_xor_b32_e32 v38, v112, v38
	v_mov_b32_e32 v112, v118
	v_mov_b32_e32 v113, v119
	v_cmp_gt_u64_e64 s8, v[13:14], v[37:38]
	;; [unrolled: 28-line block ×13, first 2 shown]
	v_mov_b32_e32 v23, v27
	v_mov_b32_e32 v24, v28
	s_and_saveexec_b32 s12, s8
	s_cbranch_execz .LBB1128_236
; %bb.235:
	v_mov_b32_e32 v24, v18
	v_mov_b32_e32 v85, v81
	v_mov_b32_e32 v23, v17
	v_mov_b32_e32 v17, v27
	v_mov_b32_e32 v84, v80
	v_mov_b32_e32 v81, v69
	v_mov_b32_e32 v18, v28
	v_mov_b32_e32 v80, v68
.LBB1128_236:
	s_or_b32 exec_lo, exec_lo, s12
	v_add_f64 v[19:20], v[31:32], 0
	v_add_f64 v[27:28], v[21:22], 0
	v_mov_b32_e32 v129, v99
	v_mov_b32_e32 v128, v98
	v_ashrrev_i32_e32 v39, 31, v20
	v_ashrrev_i32_e32 v54, 31, v28
	v_or_b32_e32 v55, 0x80000000, v39
	v_or_b32_e32 v68, 0x80000000, v54
	v_xor_b32_e32 v19, v39, v19
	v_xor_b32_e32 v27, v54, v27
	v_xor_b32_e32 v20, v55, v20
	v_xor_b32_e32 v28, v68, v28
	v_cmp_gt_u64_e64 s8, v[19:20], v[27:28]
	v_mov_b32_e32 v27, v31
	v_mov_b32_e32 v28, v32
	s_and_saveexec_b32 s12, s8
	s_cbranch_execz .LBB1128_238
; %bb.237:
	v_mov_b32_e32 v28, v22
	v_mov_b32_e32 v129, v71
	v_mov_b32_e32 v27, v21
	v_mov_b32_e32 v21, v31
	v_mov_b32_e32 v128, v70
	v_mov_b32_e32 v70, v98
	v_mov_b32_e32 v22, v32
	v_mov_b32_e32 v71, v99
.LBB1128_238:
	s_or_b32 exec_lo, exec_lo, s12
	v_add_f64 v[19:20], v[35:36], 0
	v_add_f64 v[31:32], v[25:26], 0
	v_mov_b32_e32 v98, v100
	v_mov_b32_e32 v99, v101
	v_ashrrev_i32_e32 v39, 31, v20
	v_ashrrev_i32_e32 v54, 31, v32
	v_or_b32_e32 v55, 0x80000000, v39
	v_or_b32_e32 v68, 0x80000000, v54
	v_xor_b32_e32 v19, v39, v19
	v_xor_b32_e32 v31, v54, v31
	v_xor_b32_e32 v20, v55, v20
	v_xor_b32_e32 v32, v68, v32
	v_cmp_gt_u64_e64 s8, v[19:20], v[31:32]
	v_mov_b32_e32 v31, v35
	v_mov_b32_e32 v32, v36
	s_and_saveexec_b32 s12, s8
	s_cbranch_execz .LBB1128_240
; %bb.239:
	v_mov_b32_e32 v32, v26
	v_mov_b32_e32 v99, v65
	v_mov_b32_e32 v31, v25
	v_mov_b32_e32 v25, v35
	v_mov_b32_e32 v98, v64
	v_mov_b32_e32 v64, v100
	v_mov_b32_e32 v26, v36
	v_mov_b32_e32 v65, v101
.LBB1128_240:
	s_or_b32 exec_lo, exec_lo, s12
	v_add_f64 v[19:20], v[66:67], 0
	v_add_f64 v[35:36], v[29:30], 0
	v_mov_b32_e32 v131, v103
	v_mov_b32_e32 v130, v102
	v_ashrrev_i32_e32 v39, 31, v20
	v_ashrrev_i32_e32 v54, 31, v36
	v_or_b32_e32 v55, 0x80000000, v39
	v_or_b32_e32 v68, 0x80000000, v54
	v_xor_b32_e32 v19, v39, v19
	v_xor_b32_e32 v35, v54, v35
	v_xor_b32_e32 v20, v55, v20
	v_xor_b32_e32 v36, v68, v36
	v_cmp_gt_u64_e64 s8, v[19:20], v[35:36]
	v_mov_b32_e32 v35, v66
	v_mov_b32_e32 v36, v67
	s_and_saveexec_b32 s12, s8
	s_cbranch_execz .LBB1128_242
; %bb.241:
	v_mov_b32_e32 v36, v30
	v_mov_b32_e32 v131, v115
	v_mov_b32_e32 v35, v29
	v_mov_b32_e32 v29, v66
	v_mov_b32_e32 v130, v114
	v_mov_b32_e32 v115, v103
	v_mov_b32_e32 v30, v67
	v_mov_b32_e32 v114, v102
.LBB1128_242:
	s_or_b32 exec_lo, exec_lo, s12
	v_add_f64 v[19:20], v[116:117], 0
	v_add_f64 v[54:55], v[112:113], 0
	v_mov_b32_e32 v102, v112
	v_mov_b32_e32 v103, v113
	v_ashrrev_i32_e32 v39, 31, v20
	v_ashrrev_i32_e32 v66, 31, v55
	v_or_b32_e32 v67, 0x80000000, v39
	v_or_b32_e32 v68, 0x80000000, v66
	v_xor_b32_e32 v19, v39, v19
	v_xor_b32_e32 v54, v66, v54
	v_xor_b32_e32 v20, v67, v20
	v_xor_b32_e32 v55, v68, v55
	v_cmp_gt_u64_e64 s8, v[19:20], v[54:55]
	v_mov_b32_e32 v55, v38
	v_mov_b32_e32 v54, v37
	s_and_saveexec_b32 s12, s8
	s_cbranch_execz .LBB1128_244
; %bb.243:
	v_mov_b32_e32 v55, v49
	v_mov_b32_e32 v102, v116
	v_mov_b32_e32 v54, v48
	v_mov_b32_e32 v49, v38
	v_mov_b32_e32 v103, v117
	v_mov_b32_e32 v117, v113
	v_mov_b32_e32 v48, v37
	v_mov_b32_e32 v116, v112
.LBB1128_244:
	s_or_b32 exec_lo, exec_lo, s12
	v_add_f64 v[19:20], v[15:16], 0
	v_add_f64 v[37:38], v[86:87], 0
	v_mov_b32_e32 v133, v87
	v_mov_b32_e32 v132, v86
	v_ashrrev_i32_e32 v39, 31, v20
	v_ashrrev_i32_e32 v66, 31, v38
	v_or_b32_e32 v67, 0x80000000, v39
	v_or_b32_e32 v68, 0x80000000, v66
	v_xor_b32_e32 v19, v39, v19
	v_xor_b32_e32 v37, v66, v37
	v_xor_b32_e32 v20, v67, v20
	v_xor_b32_e32 v38, v68, v38
	v_cmp_gt_u64_e64 s8, v[19:20], v[37:38]
	v_mov_b32_e32 v20, v14
	v_mov_b32_e32 v19, v13
	s_and_saveexec_b32 s12, s8
	s_cbranch_execz .LBB1128_246
; %bb.245:
	v_mov_b32_e32 v19, v33
	v_mov_b32_e32 v133, v16
	v_mov_b32_e32 v20, v34
	v_mov_b32_e32 v34, v14
	v_mov_b32_e32 v132, v15
	v_mov_b32_e32 v15, v86
	v_mov_b32_e32 v33, v13
	v_mov_b32_e32 v16, v87
.LBB1128_246:
	s_or_b32 exec_lo, exec_lo, s12
	v_add_f64 v[13:14], v[4:5], 0
	v_add_f64 v[37:38], v[50:51], 0
	v_mov_b32_e32 v135, v83
	v_mov_b32_e32 v134, v82
	v_ashrrev_i32_e32 v39, 31, v14
	v_ashrrev_i32_e32 v66, 31, v38
	v_or_b32_e32 v67, 0x80000000, v39
	v_or_b32_e32 v68, 0x80000000, v66
	v_xor_b32_e32 v13, v39, v13
	v_xor_b32_e32 v37, v66, v37
	v_xor_b32_e32 v14, v67, v14
	v_xor_b32_e32 v38, v68, v38
	v_cmp_gt_u64_e64 s8, v[13:14], v[37:38]
	v_mov_b32_e32 v39, v5
	v_mov_b32_e32 v38, v4
	s_and_saveexec_b32 s12, s8
	s_cbranch_execz .LBB1128_248
; %bb.247:
	v_mov_b32_e32 v38, v50
	v_mov_b32_e32 v135, v119
	;; [unrolled: 1-line block ×8, first 2 shown]
.LBB1128_248:
	s_or_b32 exec_lo, exec_lo, s12
	v_add_f64 v[4:5], v[17:18], 0
	v_add_f64 v[13:14], v[52:53], 0
	v_mov_b32_e32 v145, v81
	v_mov_b32_e32 v144, v80
	s_mov_b32 s12, exec_lo
	v_ashrrev_i32_e32 v37, 31, v5
	v_ashrrev_i32_e32 v66, 31, v14
	v_or_b32_e32 v67, 0x80000000, v37
	v_or_b32_e32 v68, 0x80000000, v66
	v_xor_b32_e32 v13, v66, v13
	v_xor_b32_e32 v4, v37, v4
	;; [unrolled: 1-line block ×3, first 2 shown]
	v_mov_b32_e32 v67, v18
	v_xor_b32_e32 v14, v68, v14
	v_mov_b32_e32 v66, v17
	v_cmpx_gt_u64_e64 v[4:5], v[13:14]
	s_cbranch_execz .LBB1128_250
; %bb.249:
	v_mov_b32_e32 v67, v53
	v_mov_b32_e32 v145, v97
	;; [unrolled: 1-line block ×8, first 2 shown]
.LBB1128_250:
	s_or_b32 exec_lo, exec_lo, s12
	v_add_f64 v[13:14], v[23:24], 0
	v_add_f64 v[4:5], v[21:22], 0
	v_mov_b32_e32 v147, v71
	v_mov_b32_e32 v146, v70
	s_mov_b32 s12, exec_lo
	v_ashrrev_i32_e32 v18, 31, v14
	v_ashrrev_i32_e32 v17, 31, v5
	v_or_b32_e32 v68, 0x80000000, v18
	v_or_b32_e32 v37, 0x80000000, v17
	v_xor_b32_e32 v4, v17, v4
	v_xor_b32_e32 v13, v18, v13
	;; [unrolled: 1-line block ×3, first 2 shown]
	v_mov_b32_e32 v69, v22
	v_xor_b32_e32 v5, v37, v5
	v_mov_b32_e32 v68, v21
	v_cmpx_gt_u64_e64 v[4:5], v[13:14]
	s_cbranch_execz .LBB1128_252
; %bb.251:
	v_mov_b32_e32 v69, v24
	v_mov_b32_e32 v147, v85
	;; [unrolled: 1-line block ×8, first 2 shown]
.LBB1128_252:
	s_or_b32 exec_lo, exec_lo, s12
	v_add_f64 v[4:5], v[25:26], 0
	v_add_f64 v[13:14], v[27:28], 0
	v_mov_b32_e32 v101, v26
	v_mov_b32_e32 v149, v65
	;; [unrolled: 1-line block ×4, first 2 shown]
	s_mov_b32 s12, exec_lo
	v_ashrrev_i32_e32 v17, 31, v5
	v_ashrrev_i32_e32 v18, 31, v14
	v_or_b32_e32 v21, 0x80000000, v17
	v_or_b32_e32 v22, 0x80000000, v18
	v_xor_b32_e32 v4, v17, v4
	v_xor_b32_e32 v13, v18, v13
	v_xor_b32_e32 v5, v21, v5
	v_xor_b32_e32 v14, v22, v14
	v_cmpx_gt_u64_e64 v[4:5], v[13:14]
	s_cbranch_execz .LBB1128_254
; %bb.253:
	v_mov_b32_e32 v101, v28
	v_mov_b32_e32 v149, v129
	;; [unrolled: 1-line block ×8, first 2 shown]
.LBB1128_254:
	s_or_b32 exec_lo, exec_lo, s12
	v_add_f64 v[4:5], v[29:30], 0
	v_add_f64 v[13:14], v[31:32], 0
	v_mov_b32_e32 v113, v30
	v_mov_b32_e32 v151, v115
	;; [unrolled: 1-line block ×4, first 2 shown]
	s_mov_b32 s12, exec_lo
	v_ashrrev_i32_e32 v17, 31, v5
	v_ashrrev_i32_e32 v18, 31, v14
	v_or_b32_e32 v21, 0x80000000, v17
	v_or_b32_e32 v22, 0x80000000, v18
	v_xor_b32_e32 v4, v17, v4
	v_xor_b32_e32 v13, v18, v13
	;; [unrolled: 1-line block ×4, first 2 shown]
	v_cmpx_gt_u64_e64 v[4:5], v[13:14]
	s_cbranch_execz .LBB1128_256
; %bb.255:
	v_mov_b32_e32 v113, v32
	v_mov_b32_e32 v151, v99
	;; [unrolled: 1-line block ×8, first 2 shown]
.LBB1128_256:
	s_or_b32 exec_lo, exec_lo, s12
	v_add_f64 v[4:5], v[102:103], 0
	v_add_f64 v[13:14], v[35:36], 0
	v_mov_b32_e32 v115, v49
	v_mov_b32_e32 v114, v48
	v_ashrrev_i32_e32 v17, 31, v5
	v_ashrrev_i32_e32 v18, 31, v14
	v_or_b32_e32 v21, 0x80000000, v17
	v_or_b32_e32 v22, 0x80000000, v18
	v_xor_b32_e32 v4, v17, v4
	v_xor_b32_e32 v13, v18, v13
	;; [unrolled: 1-line block ×4, first 2 shown]
	v_cmp_gt_u64_e64 s8, v[4:5], v[13:14]
	v_mov_b32_e32 v13, v35
	v_mov_b32_e32 v14, v36
	s_and_saveexec_b32 s12, s8
	s_cbranch_execz .LBB1128_258
; %bb.257:
	v_mov_b32_e32 v13, v102
	v_mov_b32_e32 v114, v130
	;; [unrolled: 1-line block ×8, first 2 shown]
.LBB1128_258:
	s_or_b32 exec_lo, exec_lo, s12
	v_add_f64 v[4:5], v[132:133], 0
	v_add_f64 v[17:18], v[116:117], 0
	v_mov_b32_e32 v37, v34
	v_mov_b32_e32 v48, v116
	;; [unrolled: 1-line block ×4, first 2 shown]
	s_mov_b32 s12, exec_lo
	v_ashrrev_i32_e32 v21, 31, v5
	v_ashrrev_i32_e32 v22, 31, v18
	v_or_b32_e32 v25, 0x80000000, v21
	v_or_b32_e32 v26, 0x80000000, v22
	v_xor_b32_e32 v4, v21, v4
	v_xor_b32_e32 v17, v22, v17
	;; [unrolled: 1-line block ×4, first 2 shown]
	v_cmpx_gt_u64_e64 v[4:5], v[17:18]
	s_cbranch_execz .LBB1128_260
; %bb.259:
	v_mov_b32_e32 v36, v54
	v_mov_b32_e32 v48, v132
	v_mov_b32_e32 v37, v55
	v_mov_b32_e32 v55, v34
	v_mov_b32_e32 v49, v133
	v_mov_b32_e32 v133, v117
	v_mov_b32_e32 v54, v33
	v_mov_b32_e32 v132, v116
.LBB1128_260:
	s_or_b32 exec_lo, exec_lo, s12
	v_add_f64 v[4:5], v[50:51], 0
	v_add_f64 v[17:18], v[8:9], 0
	v_mov_b32_e32 v87, v51
	v_mov_b32_e32 v86, v50
	v_ashrrev_i32_e32 v21, 31, v5
	v_ashrrev_i32_e32 v22, 31, v18
	v_or_b32_e32 v25, 0x80000000, v21
	v_or_b32_e32 v26, 0x80000000, v22
	v_xor_b32_e32 v4, v21, v4
	v_xor_b32_e32 v17, v22, v17
	v_xor_b32_e32 v5, v25, v5
	v_xor_b32_e32 v18, v26, v18
	v_cmp_gt_u64_e64 s8, v[4:5], v[17:18]
	v_mov_b32_e32 v4, v118
	v_mov_b32_e32 v5, v119
	s_and_saveexec_b32 s12, s8
	s_cbranch_execz .LBB1128_262
; %bb.261:
	v_mov_b32_e32 v87, v9
	v_mov_b32_e32 v5, v1
	v_mov_b32_e32 v86, v8
	v_mov_b32_e32 v8, v50
	v_mov_b32_e32 v4, v0
	v_mov_b32_e32 v0, v118
	v_mov_b32_e32 v9, v51
	v_mov_b32_e32 v1, v119
.LBB1128_262:
	s_or_b32 exec_lo, exec_lo, s12
	v_add_f64 v[17:18], v[52:53], 0
	v_add_f64 v[21:22], v[38:39], 0
	v_mov_b32_e32 v83, v53
	v_mov_b32_e32 v82, v52
	v_ashrrev_i32_e32 v25, 31, v18
	v_ashrrev_i32_e32 v26, 31, v22
	v_or_b32_e32 v29, 0x80000000, v25
	v_or_b32_e32 v30, 0x80000000, v26
	v_xor_b32_e32 v17, v25, v17
	v_xor_b32_e32 v21, v26, v21
	v_xor_b32_e32 v18, v29, v18
	v_xor_b32_e32 v22, v30, v22
	v_cmp_gt_u64_e64 s8, v[17:18], v[21:22]
	v_mov_b32_e32 v17, v96
	v_mov_b32_e32 v18, v97
	s_and_saveexec_b32 s12, s8
	;; [unrolled: 28-line block ×4, first 2 shown]
	s_cbranch_execz .LBB1128_268
; %bb.267:
	v_mov_b32_e32 v71, v69
	v_mov_b32_e32 v25, v146
	;; [unrolled: 1-line block ×8, first 2 shown]
.LBB1128_268:
	s_or_b32 exec_lo, exec_lo, s12
	v_add_f64 v[23:24], v[31:32], 0
	v_add_f64 v[27:28], v[100:101], 0
	v_mov_b32_e32 v65, v32
	v_mov_b32_e32 v64, v31
	s_mov_b32 s12, exec_lo
	v_ashrrev_i32_e32 v29, 31, v24
	v_ashrrev_i32_e32 v30, 31, v28
	v_or_b32_e32 v33, 0x80000000, v29
	v_or_b32_e32 v34, 0x80000000, v30
	v_xor_b32_e32 v23, v29, v23
	v_xor_b32_e32 v27, v30, v27
	v_mov_b32_e32 v29, v98
	v_xor_b32_e32 v24, v33, v24
	v_xor_b32_e32 v28, v34, v28
	v_mov_b32_e32 v30, v99
	v_cmpx_gt_u64_e64 v[23:24], v[27:28]
	s_cbranch_execz .LBB1128_270
; %bb.269:
	v_mov_b32_e32 v64, v100
	v_mov_b32_e32 v29, v148
	;; [unrolled: 1-line block ×8, first 2 shown]
.LBB1128_270:
	s_or_b32 exec_lo, exec_lo, s12
	v_add_f64 v[27:28], v[112:113], 0
	v_add_f64 v[23:24], v[13:14], 0
	v_mov_b32_e32 v51, v14
	v_mov_b32_e32 v50, v13
	s_mov_b32 s12, exec_lo
	v_ashrrev_i32_e32 v32, 31, v28
	v_ashrrev_i32_e32 v31, 31, v24
	v_or_b32_e32 v34, 0x80000000, v32
	v_or_b32_e32 v33, 0x80000000, v31
	v_xor_b32_e32 v23, v31, v23
	v_xor_b32_e32 v27, v32, v27
	v_xor_b32_e32 v28, v34, v28
	v_mov_b32_e32 v34, v130
	v_xor_b32_e32 v24, v33, v24
	v_mov_b32_e32 v35, v131
	v_cmpx_gt_u64_e64 v[23:24], v[27:28]
	s_cbranch_execz .LBB1128_272
; %bb.271:
	v_mov_b32_e32 v50, v112
	v_mov_b32_e32 v34, v150
	;; [unrolled: 1-line block ×8, first 2 shown]
.LBB1128_272:
	s_or_b32 exec_lo, exec_lo, s12
	v_add_f64 v[13:14], v[48:49], 0
	v_add_f64 v[23:24], v[102:103], 0
	v_mov_b32_e32 v117, v55
	v_mov_b32_e32 v52, v102
	;; [unrolled: 1-line block ×4, first 2 shown]
	s_mov_b32 s12, exec_lo
	v_ashrrev_i32_e32 v27, 31, v14
	v_ashrrev_i32_e32 v28, 31, v24
	v_or_b32_e32 v31, 0x80000000, v27
	v_or_b32_e32 v32, 0x80000000, v28
	v_xor_b32_e32 v13, v27, v13
	v_xor_b32_e32 v23, v28, v23
	;; [unrolled: 1-line block ×4, first 2 shown]
	v_cmpx_gt_u64_e64 v[13:14], v[23:24]
	s_cbranch_execz .LBB1128_274
; %bb.273:
	v_mov_b32_e32 v117, v115
	v_mov_b32_e32 v53, v49
	;; [unrolled: 1-line block ×8, first 2 shown]
.LBB1128_274:
	s_or_b32 exec_lo, exec_lo, s12
	v_add_f64 v[13:14], v[15:16], 0
	v_add_f64 v[23:24], v[132:133], 0
	v_mov_b32_e32 v103, v20
	v_mov_b32_e32 v118, v132
	;; [unrolled: 1-line block ×4, first 2 shown]
	s_mov_b32 s12, exec_lo
	v_ashrrev_i32_e32 v27, 31, v14
	v_ashrrev_i32_e32 v28, 31, v24
	v_or_b32_e32 v31, 0x80000000, v27
	v_or_b32_e32 v32, 0x80000000, v28
	v_xor_b32_e32 v13, v27, v13
	v_xor_b32_e32 v23, v28, v23
	;; [unrolled: 1-line block ×4, first 2 shown]
	v_cmpx_gt_u64_e64 v[13:14], v[23:24]
	s_cbranch_execz .LBB1128_276
; %bb.275:
	v_mov_b32_e32 v103, v37
	v_mov_b32_e32 v119, v16
	v_mov_b32_e32 v102, v36
	v_mov_b32_e32 v37, v20
	v_mov_b32_e32 v118, v15
	v_mov_b32_e32 v15, v132
	v_mov_b32_e32 v36, v19
	v_mov_b32_e32 v16, v133
.LBB1128_276:
	s_or_b32 exec_lo, exec_lo, s12
	v_add_f64 v[13:14], v[38:39], 0
	v_add_f64 v[19:20], v[86:87], 0
	v_mov_b32_e32 v99, v39
	v_mov_b32_e32 v98, v38
	v_ashrrev_i32_e32 v23, 31, v14
	v_ashrrev_i32_e32 v24, 31, v20
	v_or_b32_e32 v27, 0x80000000, v23
	v_or_b32_e32 v28, 0x80000000, v24
	v_xor_b32_e32 v13, v23, v13
	v_xor_b32_e32 v19, v24, v19
	v_xor_b32_e32 v14, v27, v14
	v_xor_b32_e32 v20, v28, v20
	v_cmp_gt_u64_e64 s8, v[13:14], v[19:20]
	v_mov_b32_e32 v13, v134
	v_mov_b32_e32 v14, v135
	s_and_saveexec_b32 s12, s8
	s_cbranch_execz .LBB1128_278
; %bb.277:
	v_mov_b32_e32 v99, v87
	v_mov_b32_e32 v14, v5
	v_mov_b32_e32 v98, v86
	v_mov_b32_e32 v87, v39
	v_mov_b32_e32 v13, v4
	v_mov_b32_e32 v4, v134
	v_mov_b32_e32 v86, v38
	v_mov_b32_e32 v5, v135
.LBB1128_278:
	s_or_b32 exec_lo, exec_lo, s12
	v_add_f64 v[19:20], v[66:67], 0
	v_add_f64 v[23:24], v[82:83], 0
	v_mov_b32_e32 v97, v67
	v_mov_b32_e32 v96, v66
	v_ashrrev_i32_e32 v27, 31, v20
	v_ashrrev_i32_e32 v28, 31, v24
	v_or_b32_e32 v31, 0x80000000, v27
	v_or_b32_e32 v32, 0x80000000, v28
	v_xor_b32_e32 v19, v27, v19
	v_xor_b32_e32 v23, v28, v23
	v_xor_b32_e32 v20, v31, v20
	v_xor_b32_e32 v24, v32, v24
	v_cmp_gt_u64_e64 s8, v[19:20], v[23:24]
	v_mov_b32_e32 v19, v144
	v_mov_b32_e32 v20, v145
	s_and_saveexec_b32 s12, s8
	;; [unrolled: 28-line block ×4, first 2 shown]
	s_cbranch_execz .LBB1128_284
; %bb.283:
	v_mov_b32_e32 v68, v70
	v_mov_b32_e32 v28, v26
	v_mov_b32_e32 v69, v71
	v_mov_b32_e32 v70, v100
	v_mov_b32_e32 v27, v25
	v_mov_b32_e32 v25, v148
	v_mov_b32_e32 v71, v101
	v_mov_b32_e32 v26, v149
.LBB1128_284:
	s_or_b32 exec_lo, exec_lo, s12
	v_add_f64 v[31:32], v[112:113], 0
	v_add_f64 v[38:39], v[64:65], 0
	v_ashrrev_i32_e32 v33, 31, v32
	v_ashrrev_i32_e32 v54, 31, v39
	v_or_b32_e32 v55, 0x80000000, v33
	v_or_b32_e32 v66, 0x80000000, v54
	v_xor_b32_e32 v31, v33, v31
	v_xor_b32_e32 v38, v54, v38
	;; [unrolled: 1-line block ×4, first 2 shown]
	v_mov_b32_e32 v54, v112
	v_mov_b32_e32 v55, v113
	v_cmp_gt_u64_e64 s8, v[31:32], v[38:39]
	v_mov_b32_e32 v32, v150
	v_mov_b32_e32 v33, v151
	s_and_saveexec_b32 s12, s8
	s_cbranch_execz .LBB1128_286
; %bb.285:
	v_mov_b32_e32 v54, v64
	v_mov_b32_e32 v33, v30
	;; [unrolled: 1-line block ×8, first 2 shown]
.LBB1128_286:
	s_or_b32 exec_lo, exec_lo, s12
	v_add_f64 v[38:39], v[52:53], 0
	v_add_f64 v[66:67], v[50:51], 0
	v_ashrrev_i32_e32 v31, 31, v39
	v_ashrrev_i32_e32 v100, 31, v67
	v_or_b32_e32 v101, 0x80000000, v31
	v_or_b32_e32 v112, 0x80000000, v100
	v_xor_b32_e32 v38, v31, v38
	v_xor_b32_e32 v66, v100, v66
	;; [unrolled: 1-line block ×4, first 2 shown]
	v_mov_b32_e32 v101, v51
	v_mov_b32_e32 v100, v50
	v_cmp_gt_u64_e64 s8, v[38:39], v[66:67]
	v_mov_b32_e32 v38, v114
	v_mov_b32_e32 v39, v115
	s_and_saveexec_b32 s12, s8
	s_cbranch_execz .LBB1128_288
; %bb.287:
	v_mov_b32_e32 v101, v53
	v_mov_b32_e32 v39, v35
	;; [unrolled: 1-line block ×8, first 2 shown]
.LBB1128_288:
	s_or_b32 exec_lo, exec_lo, s12
	v_add_f64 v[50:51], v[118:119], 0
	v_add_f64 v[66:67], v[48:49], 0
	v_ashrrev_i32_e32 v31, 31, v51
	v_ashrrev_i32_e32 v112, 31, v67
	v_or_b32_e32 v113, 0x80000000, v31
	v_or_b32_e32 v114, 0x80000000, v112
	v_xor_b32_e32 v50, v31, v50
	v_xor_b32_e32 v66, v112, v66
	;; [unrolled: 1-line block ×4, first 2 shown]
	v_cmp_gt_u64_e64 s8, v[50:51], v[66:67]
	v_mov_b32_e32 v66, v118
	v_mov_b32_e32 v50, v116
	;; [unrolled: 1-line block ×4, first 2 shown]
	s_and_saveexec_b32 s12, s8
	s_cbranch_execz .LBB1128_290
; %bb.289:
	v_mov_b32_e32 v67, v49
	v_mov_b32_e32 v51, v37
	;; [unrolled: 1-line block ×8, first 2 shown]
.LBB1128_290:
	s_or_b32 exec_lo, exec_lo, s12
.LBB1128_291:
	s_or_b32 exec_lo, exec_lo, s9
	v_and_b32_e32 v31, 0xfffffe00, v10
	v_or_b32_e32 v112, 16, v176
	v_and_b32_e32 v113, 16, v176
	v_and_b32_e32 v114, 0x1e0, v176
	s_mov_b32 s9, exec_lo
	v_sub_nc_u32_e64 v177, 0x1000, v31 clamp
	v_lshlrev_b32_e32 v10, 3, v31
	v_min_u32_e32 v194, v177, v112
	v_lshl_or_b32 v31, v176, 3, v10
	v_min_u32_e32 v115, v177, v113
	v_add_nc_u32_e32 v112, 16, v194
	v_sub_nc_u32_e32 v113, v194, v114
	v_add_nc_u32_e32 v181, 0x8000, v31
	v_add_nc_u32_e32 v182, 0x8010, v31
	;; [unrolled: 1-line block ×3, first 2 shown]
	v_min_u32_e32 v195, v177, v112
	v_add_nc_u32_e32 v180, 0x8030, v31
	v_add_nc_u32_e32 v178, 0x8040, v31
	;; [unrolled: 1-line block ×4, first 2 shown]
	v_sub_nc_u32_e32 v112, v195, v194
	v_min_u32_e32 v116, v115, v113
	v_add_nc_u32_e32 v193, 0x8070, v31
	v_lshl_or_b32 v113, v114, 3, v10
	ds_write2_b64 v31, v[8:9], v[86:87] offset1:1
	v_sub_nc_u32_e64 v112, v115, v112 clamp
	ds_write2_b64 v31, v[98:99], v[82:83] offset0:2 offset1:3
	ds_write2_b64 v31, v[96:97], v[80:81] offset0:4 offset1:5
	;; [unrolled: 1-line block ×4, first 2 shown]
	ds_write2_b64 v181, v[0:1], v[4:5] offset1:1
	ds_write2_b64 v182, v[13:14], v[17:18] offset1:1
	;; [unrolled: 1-line block ×5, first 2 shown]
	ds_write2_b64 v31, v[54:55], v[100:101] offset0:10 offset1:11
	ds_write2_b64 v183, v[32:33], v[34:35] offset1:1
	ds_write2_b64 v31, v[52:53], v[48:49] offset0:12 offset1:13
	ds_write2_b64 v192, v[38:39], v[50:51] offset1:1
	;; [unrolled: 2-line block ×3, first 2 shown]
	; wave barrier
	v_cmpx_lt_u32_e64 v112, v116
	s_cbranch_execz .LBB1128_295
; %bb.292:
	v_lshlrev_b32_e32 v117, 3, v194
	v_lshlrev_b32_e32 v118, 3, v115
	s_mov_b32 s12, 0
	v_add3_u32 v117, v10, v117, v118
	s_inst_prefetch 0x1
	.p2align	6
.LBB1128_293:                           ; =>This Inner Loop Header: Depth=1
	v_add_nc_u32_e32 v118, v116, v112
	v_lshrrev_b32_e32 v130, 1, v118
	v_not_b32_e32 v118, v130
	v_lshl_add_u32 v119, v130, 3, v113
	v_lshl_add_u32 v128, v118, 3, v117
	ds_read_b64 v[118:119], v119
	ds_read_b64 v[128:129], v128
	s_waitcnt lgkmcnt(1)
	v_add_f64 v[118:119], v[118:119], 0
	s_waitcnt lgkmcnt(0)
	v_add_f64 v[128:129], v[128:129], 0
	v_ashrrev_i32_e32 v131, 31, v119
	v_ashrrev_i32_e32 v132, 31, v129
	v_or_b32_e32 v133, 0x80000000, v131
	v_or_b32_e32 v134, 0x80000000, v132
	v_xor_b32_e32 v118, v131, v118
	v_xor_b32_e32 v128, v132, v128
	;; [unrolled: 1-line block ×4, first 2 shown]
	v_cmp_gt_u64_e64 s8, v[128:129], v[118:119]
	v_add_nc_u32_e32 v118, 1, v130
	v_cndmask_b32_e64 v116, v116, v130, s8
	v_cndmask_b32_e64 v112, v118, v112, s8
	v_cmp_ge_u32_e64 s8, v112, v116
	s_or_b32 s12, s8, s12
	s_andn2_b32 exec_lo, exec_lo, s12
	s_cbranch_execnz .LBB1128_293
; %bb.294:
	s_inst_prefetch 0x2
	s_or_b32 exec_lo, exec_lo, s12
.LBB1128_295:
	s_or_b32 exec_lo, exec_lo, s9
	v_add_nc_u32_e32 v115, v194, v115
	v_add_nc_u32_e32 v114, v112, v114
	v_sub_nc_u32_e32 v115, v115, v112
	v_cmp_le_u32_e64 s8, v114, v194
	v_cmp_le_u32_e64 s9, v115, v195
	s_or_b32 s8, s8, s9
	s_and_saveexec_b32 s12, s8
	s_cbranch_execz .LBB1128_363
; %bb.296:
	v_cmp_ge_u32_e64 s8, v114, v194
	s_mov_b32 s13, exec_lo
                                        ; implicit-def: $vgpr8_vgpr9
	v_cmpx_lt_u32_e64 v114, v194
; %bb.297:
	v_lshl_add_u32 v0, v112, 3, v113
	ds_read_b64 v[8:9], v0
; %bb.298:
	s_or_b32 exec_lo, exec_lo, s13
	v_cmp_ge_u32_e64 s13, v115, v195
	s_mov_b32 s23, exec_lo
                                        ; implicit-def: $vgpr15_vgpr16
	v_cmpx_lt_u32_e64 v115, v195
; %bb.299:
	v_lshl_add_u32 v0, v115, 3, v10
	ds_read_b64 v[15:16], v0
; %bb.300:
	s_or_b32 exec_lo, exec_lo, s23
	s_nor_b32 s8, s8, s13
	s_and_saveexec_b32 s9, s8
	s_cbranch_execz .LBB1128_302
; %bb.301:
	s_waitcnt lgkmcnt(0)
	v_add_f64 v[0:1], v[15:16], 0
	v_add_f64 v[4:5], v[8:9], 0
	s_andn2_b32 s13, s13, exec_lo
	v_ashrrev_i32_e32 v13, 31, v1
	v_ashrrev_i32_e32 v14, 31, v5
	v_or_b32_e32 v17, 0x80000000, v13
	v_or_b32_e32 v18, 0x80000000, v14
	v_xor_b32_e32 v0, v13, v0
	v_xor_b32_e32 v4, v14, v4
	;; [unrolled: 1-line block ×4, first 2 shown]
	v_cmp_le_u64_e64 s8, v[0:1], v[4:5]
	s_and_b32 s8, s8, exec_lo
	s_or_b32 s13, s13, s8
.LBB1128_302:
	s_or_b32 exec_lo, exec_lo, s9
	v_cndmask_b32_e64 v0, v115, v114, s13
	v_cndmask_b32_e64 v1, v195, v194, s13
	s_mov_b32 s23, -1
	s_mov_b32 s9, -1
	s_mov_b32 s24, exec_lo
	v_add_nc_u32_e32 v14, 1, v0
	v_add_nc_u32_e32 v1, -1, v1
	v_lshl_add_u32 v0, v0, 3, v10
	v_cndmask_b32_e64 v13, v14, v115, s13
	v_min_u32_e32 v1, v14, v1
	v_cndmask_b32_e64 v14, v114, v14, s13
	v_lshl_add_u32 v1, v1, 3, v10
	ds_read_b64 v[4:5], v1
	ds_read_b64 v[0:1], v0 offset:32768
	s_waitcnt lgkmcnt(1)
	v_cndmask_b32_e64 v87, v5, v16, s13
	v_cndmask_b32_e64 v86, v4, v15, s13
	;; [unrolled: 1-line block ×4, first 2 shown]
	v_cmpx_lt_u32_e64 v13, v195
	s_cbranch_execz .LBB1128_306
; %bb.303:
	s_mov_b32 s25, 0
	s_mov_b32 s9, exec_lo
	v_cmpx_lt_u32_e64 v14, v194
	s_cbranch_execz .LBB1128_305
; %bb.304:
	v_add_f64 v[4:5], v[86:87], 0
	v_add_f64 v[17:18], v[112:113], 0
	v_ashrrev_i32_e32 v19, 31, v5
	v_ashrrev_i32_e32 v20, 31, v18
	v_or_b32_e32 v21, 0x80000000, v19
	v_or_b32_e32 v22, 0x80000000, v20
	v_xor_b32_e32 v4, v19, v4
	v_xor_b32_e32 v17, v20, v17
	;; [unrolled: 1-line block ×4, first 2 shown]
	v_cmp_le_u64_e64 s8, v[4:5], v[17:18]
	s_and_b32 s25, s8, exec_lo
.LBB1128_305:
	s_or_b32 exec_lo, exec_lo, s9
	s_orn2_b32 s9, s25, exec_lo
.LBB1128_306:
	s_or_b32 exec_lo, exec_lo, s24
	v_cndmask_b32_e64 v4, v13, v14, s9
	v_cndmask_b32_e64 v5, v195, v194, s9
	s_mov_b32 s24, exec_lo
	v_add_nc_u32_e32 v18, 1, v4
	v_add_nc_u32_e32 v5, -1, v5
	v_lshl_add_u32 v4, v4, 3, v10
	v_cndmask_b32_e64 v17, v18, v13, s9
	v_min_u32_e32 v5, v18, v5
	v_cndmask_b32_e64 v18, v14, v18, s9
	v_lshl_add_u32 v5, v5, 3, v10
	ds_read_b64 v[19:20], v5
	ds_read_b64 v[4:5], v4 offset:32768
	s_waitcnt lgkmcnt(1)
	v_cndmask_b32_e64 v99, v20, v87, s9
	v_cndmask_b32_e64 v98, v19, v86, s9
	;; [unrolled: 1-line block ×4, first 2 shown]
	v_cmpx_lt_u32_e64 v17, v195
	s_cbranch_execz .LBB1128_310
; %bb.307:
	s_mov_b32 s25, 0
	s_mov_b32 s23, exec_lo
	v_cmpx_lt_u32_e64 v18, v194
	s_cbranch_execz .LBB1128_309
; %bb.308:
	v_add_f64 v[13:14], v[98:99], 0
	v_add_f64 v[19:20], v[114:115], 0
	v_ashrrev_i32_e32 v21, 31, v14
	v_ashrrev_i32_e32 v22, 31, v20
	v_or_b32_e32 v23, 0x80000000, v21
	v_or_b32_e32 v24, 0x80000000, v22
	v_xor_b32_e32 v13, v21, v13
	v_xor_b32_e32 v19, v22, v19
	;; [unrolled: 1-line block ×4, first 2 shown]
	v_cmp_le_u64_e64 s8, v[13:14], v[19:20]
	s_and_b32 s25, s8, exec_lo
.LBB1128_309:
	s_or_b32 exec_lo, exec_lo, s23
	s_orn2_b32 s23, s25, exec_lo
.LBB1128_310:
	s_or_b32 exec_lo, exec_lo, s24
	v_cndmask_b32_e64 v13, v17, v18, s23
	v_cndmask_b32_e64 v14, v195, v194, s23
	s_mov_b32 s25, -1
	s_mov_b32 s24, -1
	s_mov_b32 s26, exec_lo
	v_add_nc_u32_e32 v20, 1, v13
	v_add_nc_u32_e32 v14, -1, v14
	v_lshl_add_u32 v13, v13, 3, v10
	v_cndmask_b32_e64 v19, v20, v17, s23
	v_min_u32_e32 v14, v20, v14
	v_cndmask_b32_e64 v20, v18, v20, s23
	v_lshl_add_u32 v14, v14, 3, v10
	ds_read_b64 v[21:22], v14
	ds_read_b64 v[13:14], v13 offset:32768
	s_waitcnt lgkmcnt(1)
	v_cndmask_b32_e64 v83, v22, v99, s23
	v_cndmask_b32_e64 v82, v21, v98, s23
	v_cndmask_b32_e64 v117, v115, v22, s23
	v_cndmask_b32_e64 v116, v114, v21, s23
	v_cmpx_lt_u32_e64 v19, v195
	s_cbranch_execz .LBB1128_314
; %bb.311:
	s_mov_b32 s27, 0
	s_mov_b32 s24, exec_lo
	v_cmpx_lt_u32_e64 v20, v194
	s_cbranch_execz .LBB1128_313
; %bb.312:
	v_add_f64 v[17:18], v[82:83], 0
	v_add_f64 v[21:22], v[116:117], 0
	v_ashrrev_i32_e32 v23, 31, v18
	v_ashrrev_i32_e32 v24, 31, v22
	v_or_b32_e32 v25, 0x80000000, v23
	v_or_b32_e32 v26, 0x80000000, v24
	v_xor_b32_e32 v17, v23, v17
	v_xor_b32_e32 v21, v24, v21
	;; [unrolled: 1-line block ×4, first 2 shown]
	v_cmp_le_u64_e64 s8, v[17:18], v[21:22]
	s_and_b32 s27, s8, exec_lo
.LBB1128_313:
	s_or_b32 exec_lo, exec_lo, s24
	s_orn2_b32 s24, s27, exec_lo
.LBB1128_314:
	s_or_b32 exec_lo, exec_lo, s26
	v_cndmask_b32_e64 v17, v19, v20, s24
	v_cndmask_b32_e64 v18, v195, v194, s24
	s_mov_b32 s26, exec_lo
	v_add_nc_u32_e32 v22, 1, v17
	v_add_nc_u32_e32 v18, -1, v18
	v_lshl_add_u32 v17, v17, 3, v10
	v_cndmask_b32_e64 v21, v22, v19, s24
	v_min_u32_e32 v18, v22, v18
	v_cndmask_b32_e64 v22, v20, v22, s24
	v_lshl_add_u32 v18, v18, 3, v10
	ds_read_b64 v[23:24], v18
	ds_read_b64 v[17:18], v17 offset:32768
	s_waitcnt lgkmcnt(1)
	v_cndmask_b32_e64 v97, v24, v83, s24
	v_cndmask_b32_e64 v96, v23, v82, s24
	;; [unrolled: 1-line block ×4, first 2 shown]
	v_cmpx_lt_u32_e64 v21, v195
	s_cbranch_execz .LBB1128_318
; %bb.315:
	s_mov_b32 s27, 0
	s_mov_b32 s25, exec_lo
	v_cmpx_lt_u32_e64 v22, v194
	s_cbranch_execz .LBB1128_317
; %bb.316:
	v_add_f64 v[19:20], v[96:97], 0
	v_add_f64 v[23:24], v[118:119], 0
	v_ashrrev_i32_e32 v25, 31, v20
	v_ashrrev_i32_e32 v26, 31, v24
	v_or_b32_e32 v27, 0x80000000, v25
	v_or_b32_e32 v28, 0x80000000, v26
	v_xor_b32_e32 v19, v25, v19
	v_xor_b32_e32 v23, v26, v23
	;; [unrolled: 1-line block ×4, first 2 shown]
	v_cmp_le_u64_e64 s8, v[19:20], v[23:24]
	s_and_b32 s27, s8, exec_lo
.LBB1128_317:
	s_or_b32 exec_lo, exec_lo, s25
	s_orn2_b32 s25, s27, exec_lo
.LBB1128_318:
	s_or_b32 exec_lo, exec_lo, s26
	v_cndmask_b32_e64 v19, v21, v22, s25
	v_cndmask_b32_e64 v20, v195, v194, s25
	s_mov_b32 s27, -1
	s_mov_b32 s26, -1
	s_mov_b32 s28, exec_lo
	v_add_nc_u32_e32 v24, 1, v19
	v_add_nc_u32_e32 v20, -1, v20
	v_lshl_add_u32 v19, v19, 3, v10
	v_cndmask_b32_e64 v23, v24, v21, s25
	v_min_u32_e32 v20, v24, v20
	v_cndmask_b32_e64 v24, v22, v24, s25
	v_lshl_add_u32 v20, v20, 3, v10
	ds_read_b64 v[25:26], v20
	ds_read_b64 v[19:20], v19 offset:32768
	s_waitcnt lgkmcnt(1)
	v_cndmask_b32_e64 v81, v26, v97, s25
	v_cndmask_b32_e64 v80, v25, v96, s25
	;; [unrolled: 1-line block ×4, first 2 shown]
	v_cmpx_lt_u32_e64 v23, v195
	s_cbranch_execz .LBB1128_322
; %bb.319:
	s_mov_b32 s29, 0
	s_mov_b32 s26, exec_lo
	v_cmpx_lt_u32_e64 v24, v194
	s_cbranch_execz .LBB1128_321
; %bb.320:
	v_add_f64 v[21:22], v[80:81], 0
	v_add_f64 v[25:26], v[128:129], 0
	v_ashrrev_i32_e32 v27, 31, v22
	v_ashrrev_i32_e32 v28, 31, v26
	v_or_b32_e32 v29, 0x80000000, v27
	v_or_b32_e32 v30, 0x80000000, v28
	v_xor_b32_e32 v21, v27, v21
	v_xor_b32_e32 v25, v28, v25
	;; [unrolled: 1-line block ×4, first 2 shown]
	v_cmp_le_u64_e64 s8, v[21:22], v[25:26]
	s_and_b32 s29, s8, exec_lo
.LBB1128_321:
	s_or_b32 exec_lo, exec_lo, s26
	s_orn2_b32 s26, s29, exec_lo
.LBB1128_322:
	s_or_b32 exec_lo, exec_lo, s28
	v_cndmask_b32_e64 v21, v23, v24, s26
	v_cndmask_b32_e64 v22, v195, v194, s26
	s_mov_b32 s28, exec_lo
	v_add_nc_u32_e32 v26, 1, v21
	v_add_nc_u32_e32 v22, -1, v22
	v_lshl_add_u32 v21, v21, 3, v10
	v_cndmask_b32_e64 v25, v26, v23, s26
	v_min_u32_e32 v22, v26, v22
	v_cndmask_b32_e64 v26, v24, v26, s26
	v_lshl_add_u32 v22, v22, 3, v10
	ds_read_b64 v[27:28], v22
	ds_read_b64 v[21:22], v21 offset:32768
	s_waitcnt lgkmcnt(1)
	v_cndmask_b32_e64 v85, v28, v81, s26
	v_cndmask_b32_e64 v84, v27, v80, s26
	;; [unrolled: 1-line block ×4, first 2 shown]
	v_cmpx_lt_u32_e64 v25, v195
	s_cbranch_execz .LBB1128_326
; %bb.323:
	s_mov_b32 s29, 0
	s_mov_b32 s27, exec_lo
	v_cmpx_lt_u32_e64 v26, v194
	s_cbranch_execz .LBB1128_325
; %bb.324:
	v_add_f64 v[23:24], v[84:85], 0
	v_add_f64 v[27:28], v[130:131], 0
	v_ashrrev_i32_e32 v29, 31, v24
	v_ashrrev_i32_e32 v30, 31, v28
	v_or_b32_e32 v32, 0x80000000, v29
	v_or_b32_e32 v33, 0x80000000, v30
	v_xor_b32_e32 v23, v29, v23
	v_xor_b32_e32 v27, v30, v27
	;; [unrolled: 1-line block ×4, first 2 shown]
	v_cmp_le_u64_e64 s8, v[23:24], v[27:28]
	s_and_b32 s29, s8, exec_lo
.LBB1128_325:
	s_or_b32 exec_lo, exec_lo, s27
	s_orn2_b32 s27, s29, exec_lo
.LBB1128_326:
	s_or_b32 exec_lo, exec_lo, s28
	v_cndmask_b32_e64 v23, v25, v26, s27
	v_cndmask_b32_e64 v24, v195, v194, s27
	s_mov_b32 s29, -1
	s_mov_b32 s28, -1
	s_mov_b32 s40, exec_lo
	v_add_nc_u32_e32 v28, 1, v23
	v_add_nc_u32_e32 v24, -1, v24
	v_lshl_add_u32 v23, v23, 3, v10
	v_cndmask_b32_e64 v27, v28, v25, s27
	v_min_u32_e32 v24, v28, v24
	v_cndmask_b32_e64 v28, v26, v28, s27
	v_lshl_add_u32 v24, v24, 3, v10
	ds_read_b64 v[29:30], v24
	ds_read_b64 v[23:24], v23 offset:32768
	s_waitcnt lgkmcnt(1)
	v_cndmask_b32_e64 v71, v30, v85, s27
	v_cndmask_b32_e64 v70, v29, v84, s27
	;; [unrolled: 1-line block ×4, first 2 shown]
	v_cmpx_lt_u32_e64 v27, v195
	s_cbranch_execz .LBB1128_330
; %bb.327:
	s_mov_b32 s41, 0
	s_mov_b32 s28, exec_lo
	v_cmpx_lt_u32_e64 v28, v194
	s_cbranch_execz .LBB1128_329
; %bb.328:
	v_add_f64 v[25:26], v[70:71], 0
	v_add_f64 v[29:30], v[102:103], 0
	v_ashrrev_i32_e32 v32, 31, v26
	v_ashrrev_i32_e32 v33, 31, v30
	v_or_b32_e32 v34, 0x80000000, v32
	v_or_b32_e32 v35, 0x80000000, v33
	v_xor_b32_e32 v25, v32, v25
	v_xor_b32_e32 v29, v33, v29
	;; [unrolled: 1-line block ×4, first 2 shown]
	v_cmp_le_u64_e64 s8, v[25:26], v[29:30]
	s_and_b32 s41, s8, exec_lo
.LBB1128_329:
	s_or_b32 exec_lo, exec_lo, s28
	s_orn2_b32 s28, s41, exec_lo
.LBB1128_330:
	s_or_b32 exec_lo, exec_lo, s40
	v_cndmask_b32_e64 v25, v27, v28, s28
	v_cndmask_b32_e64 v26, v195, v194, s28
	s_mov_b32 s40, exec_lo
	v_add_nc_u32_e32 v30, 1, v25
	v_add_nc_u32_e32 v26, -1, v26
	v_lshl_add_u32 v25, v25, 3, v10
	v_cndmask_b32_e64 v29, v30, v27, s28
	v_min_u32_e32 v26, v30, v26
	v_cndmask_b32_e64 v30, v28, v30, s28
	v_lshl_add_u32 v26, v26, 3, v10
	ds_read_b64 v[32:33], v26
	ds_read_b64 v[25:26], v25 offset:32768
	s_waitcnt lgkmcnt(1)
	v_cndmask_b32_e64 v69, v33, v71, s28
	v_cndmask_b32_e64 v68, v32, v70, s28
	;; [unrolled: 1-line block ×4, first 2 shown]
	v_cmpx_lt_u32_e64 v29, v195
	s_cbranch_execz .LBB1128_334
; %bb.331:
	s_mov_b32 s41, 0
	s_mov_b32 s29, exec_lo
	v_cmpx_lt_u32_e64 v30, v194
	s_cbranch_execz .LBB1128_333
; %bb.332:
	v_add_f64 v[27:28], v[68:69], 0
	v_add_f64 v[32:33], v[132:133], 0
	v_ashrrev_i32_e32 v34, 31, v28
	v_ashrrev_i32_e32 v35, 31, v33
	v_or_b32_e32 v36, 0x80000000, v34
	v_or_b32_e32 v37, 0x80000000, v35
	v_xor_b32_e32 v27, v34, v27
	v_xor_b32_e32 v32, v35, v32
	;; [unrolled: 1-line block ×4, first 2 shown]
	v_cmp_le_u64_e64 s8, v[27:28], v[32:33]
	s_and_b32 s41, s8, exec_lo
.LBB1128_333:
	s_or_b32 exec_lo, exec_lo, s29
	s_orn2_b32 s29, s41, exec_lo
.LBB1128_334:
	s_or_b32 exec_lo, exec_lo, s40
	v_cndmask_b32_e64 v27, v29, v30, s29
	v_cndmask_b32_e64 v28, v195, v194, s29
	s_mov_b32 s41, -1
	s_mov_b32 s40, -1
	s_mov_b32 s42, exec_lo
	v_add_nc_u32_e32 v33, 1, v27
	v_add_nc_u32_e32 v28, -1, v28
	v_lshl_add_u32 v27, v27, 3, v10
	v_cndmask_b32_e64 v32, v33, v29, s29
	v_min_u32_e32 v28, v33, v28
	v_cndmask_b32_e64 v33, v30, v33, s29
	v_lshl_add_u32 v28, v28, 3, v10
	ds_read_b64 v[34:35], v28
	ds_read_b64 v[27:28], v27 offset:32768
	s_waitcnt lgkmcnt(1)
	v_cndmask_b32_e64 v65, v35, v69, s29
	v_cndmask_b32_e64 v64, v34, v68, s29
	v_cndmask_b32_e64 v135, v133, v35, s29
	v_cndmask_b32_e64 v134, v132, v34, s29
	v_cmpx_lt_u32_e64 v32, v195
	s_cbranch_execz .LBB1128_338
; %bb.335:
	s_mov_b32 s43, 0
	s_mov_b32 s40, exec_lo
	v_cmpx_lt_u32_e64 v33, v194
	s_cbranch_execz .LBB1128_337
; %bb.336:
	v_add_f64 v[29:30], v[64:65], 0
	v_add_f64 v[34:35], v[134:135], 0
	v_ashrrev_i32_e32 v36, 31, v30
	v_ashrrev_i32_e32 v37, 31, v35
	v_or_b32_e32 v38, 0x80000000, v36
	v_or_b32_e32 v39, 0x80000000, v37
	v_xor_b32_e32 v29, v36, v29
	v_xor_b32_e32 v34, v37, v34
	;; [unrolled: 1-line block ×4, first 2 shown]
	v_cmp_le_u64_e64 s8, v[29:30], v[34:35]
	s_and_b32 s43, s8, exec_lo
.LBB1128_337:
	s_or_b32 exec_lo, exec_lo, s40
	s_orn2_b32 s40, s43, exec_lo
.LBB1128_338:
	s_or_b32 exec_lo, exec_lo, s42
	v_cndmask_b32_e64 v29, v32, v33, s40
	v_cndmask_b32_e64 v30, v195, v194, s40
	s_mov_b32 s42, exec_lo
	v_add_nc_u32_e32 v35, 1, v29
	v_add_nc_u32_e32 v30, -1, v30
	v_lshl_add_u32 v29, v29, 3, v10
	v_cndmask_b32_e64 v34, v35, v32, s40
	v_min_u32_e32 v30, v35, v30
	v_cndmask_b32_e64 v35, v33, v35, s40
	v_lshl_add_u32 v30, v30, 3, v10
	ds_read_b64 v[36:37], v30
	ds_read_b64 v[29:30], v29 offset:32768
	s_waitcnt lgkmcnt(1)
	v_cndmask_b32_e64 v55, v37, v65, s40
	v_cndmask_b32_e64 v54, v36, v64, s40
	;; [unrolled: 1-line block ×4, first 2 shown]
	v_cmpx_lt_u32_e64 v34, v195
	s_cbranch_execz .LBB1128_342
; %bb.339:
	s_mov_b32 s43, 0
	s_mov_b32 s41, exec_lo
	v_cmpx_lt_u32_e64 v35, v194
	s_cbranch_execz .LBB1128_341
; %bb.340:
	v_add_f64 v[32:33], v[54:55], 0
	v_add_f64 v[36:37], v[144:145], 0
	v_ashrrev_i32_e32 v38, 31, v33
	v_ashrrev_i32_e32 v39, 31, v37
	v_or_b32_e32 v48, 0x80000000, v38
	v_or_b32_e32 v49, 0x80000000, v39
	v_xor_b32_e32 v32, v38, v32
	v_xor_b32_e32 v36, v39, v36
	;; [unrolled: 1-line block ×4, first 2 shown]
	v_cmp_le_u64_e64 s8, v[32:33], v[36:37]
	s_and_b32 s43, s8, exec_lo
.LBB1128_341:
	s_or_b32 exec_lo, exec_lo, s41
	s_orn2_b32 s41, s43, exec_lo
.LBB1128_342:
	s_or_b32 exec_lo, exec_lo, s42
	v_cndmask_b32_e64 v32, v34, v35, s41
	v_cndmask_b32_e64 v33, v195, v194, s41
	s_mov_b32 s43, -1
	s_mov_b32 s42, -1
	s_mov_b32 s44, exec_lo
	v_add_nc_u32_e32 v37, 1, v32
	v_add_nc_u32_e32 v33, -1, v33
	v_lshl_add_u32 v32, v32, 3, v10
	v_cndmask_b32_e64 v36, v37, v34, s41
	v_min_u32_e32 v33, v37, v33
	v_cndmask_b32_e64 v37, v35, v37, s41
	v_lshl_add_u32 v33, v33, 3, v10
	ds_read_b64 v[38:39], v33
	ds_read_b64 v[32:33], v32 offset:32768
	s_waitcnt lgkmcnt(1)
	v_cndmask_b32_e64 v101, v39, v55, s41
	v_cndmask_b32_e64 v100, v38, v54, s41
	;; [unrolled: 1-line block ×4, first 2 shown]
	v_cmpx_lt_u32_e64 v36, v195
	s_cbranch_execz .LBB1128_346
; %bb.343:
	s_mov_b32 s45, 0
	s_mov_b32 s42, exec_lo
	v_cmpx_lt_u32_e64 v37, v194
	s_cbranch_execz .LBB1128_345
; %bb.344:
	v_add_f64 v[34:35], v[100:101], 0
	v_add_f64 v[38:39], v[146:147], 0
	v_ashrrev_i32_e32 v48, 31, v35
	v_ashrrev_i32_e32 v49, 31, v39
	v_or_b32_e32 v50, 0x80000000, v48
	v_or_b32_e32 v51, 0x80000000, v49
	v_xor_b32_e32 v34, v48, v34
	v_xor_b32_e32 v38, v49, v38
	;; [unrolled: 1-line block ×4, first 2 shown]
	v_cmp_le_u64_e64 s8, v[34:35], v[38:39]
	s_and_b32 s45, s8, exec_lo
.LBB1128_345:
	s_or_b32 exec_lo, exec_lo, s42
	s_orn2_b32 s42, s45, exec_lo
.LBB1128_346:
	s_or_b32 exec_lo, exec_lo, s44
	v_cndmask_b32_e64 v34, v36, v37, s42
	v_cndmask_b32_e64 v35, v195, v194, s42
	s_mov_b32 s44, exec_lo
	v_add_nc_u32_e32 v48, 1, v34
	v_add_nc_u32_e32 v35, -1, v35
	v_lshl_add_u32 v34, v34, 3, v10
	v_cndmask_b32_e64 v36, v48, v36, s42
	v_min_u32_e32 v35, v48, v35
	v_cndmask_b32_e64 v37, v37, v48, s42
	v_lshl_add_u32 v35, v35, 3, v10
	ds_read_b64 v[38:39], v35
	ds_read_b64 v[34:35], v34 offset:32768
	s_waitcnt lgkmcnt(1)
	v_cndmask_b32_e64 v53, v39, v101, s42
	v_cndmask_b32_e64 v52, v38, v100, s42
	;; [unrolled: 1-line block ×4, first 2 shown]
	v_cmpx_lt_u32_e64 v36, v195
	s_cbranch_execz .LBB1128_350
; %bb.347:
	s_mov_b32 s45, 0
	s_mov_b32 s43, exec_lo
	v_cmpx_lt_u32_e64 v37, v194
	s_cbranch_execz .LBB1128_349
; %bb.348:
	v_add_f64 v[38:39], v[52:53], 0
	v_add_f64 v[48:49], v[148:149], 0
	v_ashrrev_i32_e32 v50, 31, v39
	v_ashrrev_i32_e32 v51, 31, v49
	v_or_b32_e32 v66, 0x80000000, v50
	v_or_b32_e32 v67, 0x80000000, v51
	v_xor_b32_e32 v38, v50, v38
	v_xor_b32_e32 v48, v51, v48
	;; [unrolled: 1-line block ×4, first 2 shown]
	v_cmp_le_u64_e64 s8, v[38:39], v[48:49]
	s_and_b32 s45, s8, exec_lo
.LBB1128_349:
	s_or_b32 exec_lo, exec_lo, s43
	s_orn2_b32 s43, s45, exec_lo
.LBB1128_350:
	s_or_b32 exec_lo, exec_lo, s44
	v_cndmask_b32_e64 v38, v36, v37, s43
	v_cndmask_b32_e64 v39, v195, v194, s43
	s_mov_b32 s45, -1
	s_mov_b32 s44, -1
	s_mov_b32 s46, exec_lo
	v_add_nc_u32_e32 v48, 1, v38
	v_add_nc_u32_e32 v39, -1, v39
	v_lshl_add_u32 v38, v38, 3, v10
	v_cndmask_b32_e64 v36, v48, v36, s43
	v_min_u32_e32 v39, v48, v39
	v_cndmask_b32_e64 v37, v37, v48, s43
	v_lshl_add_u32 v39, v39, 3, v10
	ds_read_b64 v[50:51], v39
	ds_read_b64 v[38:39], v38 offset:32768
	s_waitcnt lgkmcnt(1)
	v_cndmask_b32_e64 v49, v51, v53, s43
	v_cndmask_b32_e64 v48, v50, v52, s43
	;; [unrolled: 1-line block ×4, first 2 shown]
	v_cmpx_lt_u32_e64 v36, v195
	s_cbranch_execz .LBB1128_354
; %bb.351:
	s_mov_b32 s47, 0
	s_mov_b32 s44, exec_lo
	v_cmpx_lt_u32_e64 v37, v194
	s_cbranch_execz .LBB1128_353
; %bb.352:
	v_add_f64 v[50:51], v[48:49], 0
	v_add_f64 v[66:67], v[150:151], 0
	v_ashrrev_i32_e32 v160, 31, v51
	v_ashrrev_i32_e32 v161, 31, v67
	v_or_b32_e32 v162, 0x80000000, v160
	v_or_b32_e32 v163, 0x80000000, v161
	v_xor_b32_e32 v50, v160, v50
	v_xor_b32_e32 v66, v161, v66
	;; [unrolled: 1-line block ×4, first 2 shown]
	v_cmp_le_u64_e64 s8, v[50:51], v[66:67]
	s_and_b32 s47, s8, exec_lo
.LBB1128_353:
	s_or_b32 exec_lo, exec_lo, s44
	s_orn2_b32 s44, s47, exec_lo
.LBB1128_354:
	s_or_b32 exec_lo, exec_lo, s46
	v_cndmask_b32_e64 v50, v36, v37, s44
	v_cndmask_b32_e64 v51, v195, v194, s44
	s_mov_b32 s46, exec_lo
	v_add_nc_u32_e32 v66, 1, v50
	v_add_nc_u32_e32 v51, -1, v51
	v_lshl_add_u32 v50, v50, 3, v10
	v_cndmask_b32_e64 v160, v66, v36, s44
	v_min_u32_e32 v51, v66, v51
	v_cndmask_b32_e64 v161, v37, v66, s44
	v_lshl_add_u32 v51, v51, 3, v10
	ds_read_b64 v[162:163], v51
	ds_read_b64 v[50:51], v50 offset:32768
	s_waitcnt lgkmcnt(1)
	v_cndmask_b32_e64 v67, v163, v49, s44
	v_cndmask_b32_e64 v66, v162, v48, s44
	;; [unrolled: 1-line block ×4, first 2 shown]
	v_cmpx_lt_u32_e64 v160, v195
	s_cbranch_execz .LBB1128_358
; %bb.355:
	s_mov_b32 s47, 0
	s_mov_b32 s45, exec_lo
	v_cmpx_lt_u32_e64 v161, v194
	s_cbranch_execz .LBB1128_357
; %bb.356:
	v_add_f64 v[36:37], v[66:67], 0
	v_add_f64 v[162:163], v[164:165], 0
	v_ashrrev_i32_e32 v196, 31, v37
	v_ashrrev_i32_e32 v197, 31, v163
	v_or_b32_e32 v198, 0x80000000, v196
	v_or_b32_e32 v199, 0x80000000, v197
	v_xor_b32_e32 v36, v196, v36
	v_xor_b32_e32 v162, v197, v162
	;; [unrolled: 1-line block ×4, first 2 shown]
	v_cmp_le_u64_e64 s8, v[36:37], v[162:163]
	s_and_b32 s47, s8, exec_lo
.LBB1128_357:
	s_or_b32 exec_lo, exec_lo, s45
	s_orn2_b32 s45, s47, exec_lo
.LBB1128_358:
	s_or_b32 exec_lo, exec_lo, s46
	v_cndmask_b32_e64 v36, v160, v161, s45
	v_cndmask_b32_e64 v37, v195, v194, s45
	s_mov_b32 s46, -1
	s_mov_b32 s47, exec_lo
	v_add_nc_u32_e32 v197, 1, v36
	v_add_nc_u32_e32 v37, -1, v37
	v_lshl_add_u32 v36, v36, 3, v10
	v_cndmask_b32_e64 v196, v197, v160, s45
	v_min_u32_e32 v37, v197, v37
	v_cndmask_b32_e64 v197, v161, v197, s45
	v_lshl_add_u32 v37, v37, 3, v10
	ds_read_b64 v[162:163], v37
	ds_read_b64 v[36:37], v36 offset:32768
	s_waitcnt lgkmcnt(1)
	v_cndmask_b32_e64 v161, v163, v67, s45
	v_cndmask_b32_e64 v160, v162, v66, s45
	;; [unrolled: 1-line block ×4, first 2 shown]
	v_cmpx_lt_u32_e64 v196, v195
	s_cbranch_execz .LBB1128_362
; %bb.359:
	s_mov_b32 s56, 0
	s_mov_b32 s46, exec_lo
	v_cmpx_lt_u32_e64 v197, v194
	s_cbranch_execz .LBB1128_361
; %bb.360:
	v_add_f64 v[194:195], v[160:161], 0
	v_add_f64 v[198:199], v[162:163], 0
	v_ashrrev_i32_e32 v208, 31, v195
	v_ashrrev_i32_e32 v209, 31, v199
	v_or_b32_e32 v210, 0x80000000, v208
	v_or_b32_e32 v211, 0x80000000, v209
	v_xor_b32_e32 v194, v208, v194
	v_xor_b32_e32 v198, v209, v198
	;; [unrolled: 1-line block ×4, first 2 shown]
	v_cmp_le_u64_e64 s8, v[194:195], v[198:199]
	s_and_b32 s56, s8, exec_lo
.LBB1128_361:
	s_or_b32 exec_lo, exec_lo, s46
	s_orn2_b32 s46, s56, exec_lo
.LBB1128_362:
	s_or_b32 exec_lo, exec_lo, s47
	v_cndmask_b32_e64 v55, v55, v145, s41
	v_cndmask_b32_e64 v145, v196, v197, s46
	;; [unrolled: 1-line block ×6, first 2 shown]
	v_lshl_add_u32 v133, v145, 3, v10
	v_cndmask_b32_e64 v66, v66, v164, s45
	v_cndmask_b32_e64 v49, v49, v151, s44
	;; [unrolled: 1-line block ×4, first 2 shown]
	ds_read_b64 v[102:103], v133 offset:32768
	v_cndmask_b32_e64 v52, v52, v148, s43
	v_cndmask_b32_e64 v101, v101, v147, s42
	;; [unrolled: 1-line block ×23, first 2 shown]
.LBB1128_363:
	s_or_b32 exec_lo, exec_lo, s12
	v_and_b32_e32 v114, 0x1c0, v176
	v_and_b32_e32 v113, 48, v176
	s_mov_b32 s9, exec_lo
	; wave barrier
	v_or_b32_e32 v112, 32, v114
	v_min_u32_e32 v115, v177, v113
	ds_write2_b64 v31, v[8:9], v[86:87] offset1:1
	ds_write2_b64 v181, v[0:1], v[4:5] offset1:1
	ds_write2_b64 v31, v[98:99], v[82:83] offset0:2 offset1:3
	ds_write2_b64 v182, v[13:14], v[17:18] offset1:1
	ds_write2_b64 v31, v[96:97], v[80:81] offset0:4 offset1:5
	;; [unrolled: 2-line block ×3, first 2 shown]
	ds_write2_b64 v180, v[23:24], v[25:26] offset1:1
	v_min_u32_e32 v194, v177, v112
	ds_write2_b64 v31, v[68:69], v[64:65] offset0:8 offset1:9
	ds_write2_b64 v178, v[27:28], v[29:30] offset1:1
	ds_write2_b64 v31, v[54:55], v[100:101] offset0:10 offset1:11
	ds_write2_b64 v183, v[32:33], v[34:35] offset1:1
	;; [unrolled: 2-line block ×3, first 2 shown]
	ds_write2_b64 v31, v[66:67], v[15:16] offset0:14 offset1:15
	s_waitcnt lgkmcnt(15)
	ds_write2_b64 v193, v[36:37], v[102:103] offset1:1
	v_add_nc_u32_e32 v112, 32, v194
	v_sub_nc_u32_e32 v113, v194, v114
	; wave barrier
	v_min_u32_e32 v195, v177, v112
	v_min_u32_e32 v116, v115, v113
	v_lshl_add_u32 v113, v114, 3, v10
	v_sub_nc_u32_e32 v112, v195, v194
	v_sub_nc_u32_e64 v112, v115, v112 clamp
	v_cmpx_lt_u32_e64 v112, v116
	s_cbranch_execz .LBB1128_367
; %bb.364:
	v_lshlrev_b32_e32 v117, 3, v194
	v_lshlrev_b32_e32 v118, 3, v115
	s_mov_b32 s12, 0
	v_add3_u32 v117, v10, v117, v118
	s_inst_prefetch 0x1
	.p2align	6
.LBB1128_365:                           ; =>This Inner Loop Header: Depth=1
	v_add_nc_u32_e32 v118, v116, v112
	v_lshrrev_b32_e32 v130, 1, v118
	v_not_b32_e32 v118, v130
	v_lshl_add_u32 v119, v130, 3, v113
	v_lshl_add_u32 v128, v118, 3, v117
	ds_read_b64 v[118:119], v119
	ds_read_b64 v[128:129], v128
	s_waitcnt lgkmcnt(1)
	v_add_f64 v[118:119], v[118:119], 0
	s_waitcnt lgkmcnt(0)
	v_add_f64 v[128:129], v[128:129], 0
	v_ashrrev_i32_e32 v131, 31, v119
	v_ashrrev_i32_e32 v132, 31, v129
	v_or_b32_e32 v133, 0x80000000, v131
	v_or_b32_e32 v134, 0x80000000, v132
	v_xor_b32_e32 v118, v131, v118
	v_xor_b32_e32 v128, v132, v128
	v_xor_b32_e32 v119, v133, v119
	v_xor_b32_e32 v129, v134, v129
	v_cmp_gt_u64_e64 s8, v[128:129], v[118:119]
	v_add_nc_u32_e32 v118, 1, v130
	v_cndmask_b32_e64 v116, v116, v130, s8
	v_cndmask_b32_e64 v112, v118, v112, s8
	v_cmp_ge_u32_e64 s8, v112, v116
	s_or_b32 s12, s8, s12
	s_andn2_b32 exec_lo, exec_lo, s12
	s_cbranch_execnz .LBB1128_365
; %bb.366:
	s_inst_prefetch 0x2
	s_or_b32 exec_lo, exec_lo, s12
.LBB1128_367:
	s_or_b32 exec_lo, exec_lo, s9
	v_add_nc_u32_e32 v115, v194, v115
	v_add_nc_u32_e32 v114, v112, v114
	v_sub_nc_u32_e32 v115, v115, v112
	v_cmp_le_u32_e64 s8, v114, v194
	v_cmp_le_u32_e64 s9, v115, v195
	s_or_b32 s8, s8, s9
	s_and_saveexec_b32 s12, s8
	s_cbranch_execz .LBB1128_435
; %bb.368:
	v_cmp_ge_u32_e64 s8, v114, v194
	s_mov_b32 s13, exec_lo
                                        ; implicit-def: $vgpr8_vgpr9
	v_cmpx_lt_u32_e64 v114, v194
; %bb.369:
	v_lshl_add_u32 v0, v112, 3, v113
	ds_read_b64 v[8:9], v0
; %bb.370:
	s_or_b32 exec_lo, exec_lo, s13
	v_cmp_ge_u32_e64 s13, v115, v195
	s_mov_b32 s23, exec_lo
                                        ; implicit-def: $vgpr15_vgpr16
	v_cmpx_lt_u32_e64 v115, v195
; %bb.371:
	v_lshl_add_u32 v0, v115, 3, v10
	ds_read_b64 v[15:16], v0
; %bb.372:
	s_or_b32 exec_lo, exec_lo, s23
	s_nor_b32 s8, s8, s13
	s_and_saveexec_b32 s9, s8
	s_cbranch_execz .LBB1128_374
; %bb.373:
	s_waitcnt lgkmcnt(0)
	v_add_f64 v[0:1], v[15:16], 0
	v_add_f64 v[4:5], v[8:9], 0
	s_andn2_b32 s13, s13, exec_lo
	v_ashrrev_i32_e32 v13, 31, v1
	v_ashrrev_i32_e32 v14, 31, v5
	v_or_b32_e32 v17, 0x80000000, v13
	v_or_b32_e32 v18, 0x80000000, v14
	v_xor_b32_e32 v0, v13, v0
	v_xor_b32_e32 v4, v14, v4
	;; [unrolled: 1-line block ×4, first 2 shown]
	v_cmp_le_u64_e64 s8, v[0:1], v[4:5]
	s_and_b32 s8, s8, exec_lo
	s_or_b32 s13, s13, s8
.LBB1128_374:
	s_or_b32 exec_lo, exec_lo, s9
	v_cndmask_b32_e64 v0, v115, v114, s13
	v_cndmask_b32_e64 v1, v195, v194, s13
	s_mov_b32 s23, -1
	s_mov_b32 s9, -1
	s_mov_b32 s24, exec_lo
	v_add_nc_u32_e32 v14, 1, v0
	v_add_nc_u32_e32 v1, -1, v1
	v_lshl_add_u32 v0, v0, 3, v10
	v_cndmask_b32_e64 v13, v14, v115, s13
	v_min_u32_e32 v1, v14, v1
	v_cndmask_b32_e64 v14, v114, v14, s13
	v_lshl_add_u32 v1, v1, 3, v10
	ds_read_b64 v[4:5], v1
	ds_read_b64 v[0:1], v0 offset:32768
	s_waitcnt lgkmcnt(1)
	v_cndmask_b32_e64 v87, v5, v16, s13
	v_cndmask_b32_e64 v86, v4, v15, s13
	;; [unrolled: 1-line block ×4, first 2 shown]
	v_cmpx_lt_u32_e64 v13, v195
	s_cbranch_execz .LBB1128_378
; %bb.375:
	s_mov_b32 s25, 0
	s_mov_b32 s9, exec_lo
	v_cmpx_lt_u32_e64 v14, v194
	s_cbranch_execz .LBB1128_377
; %bb.376:
	v_add_f64 v[4:5], v[86:87], 0
	v_add_f64 v[17:18], v[112:113], 0
	v_ashrrev_i32_e32 v19, 31, v5
	v_ashrrev_i32_e32 v20, 31, v18
	v_or_b32_e32 v21, 0x80000000, v19
	v_or_b32_e32 v22, 0x80000000, v20
	v_xor_b32_e32 v4, v19, v4
	v_xor_b32_e32 v17, v20, v17
	;; [unrolled: 1-line block ×4, first 2 shown]
	v_cmp_le_u64_e64 s8, v[4:5], v[17:18]
	s_and_b32 s25, s8, exec_lo
.LBB1128_377:
	s_or_b32 exec_lo, exec_lo, s9
	s_orn2_b32 s9, s25, exec_lo
.LBB1128_378:
	s_or_b32 exec_lo, exec_lo, s24
	v_cndmask_b32_e64 v4, v13, v14, s9
	v_cndmask_b32_e64 v5, v195, v194, s9
	s_mov_b32 s24, exec_lo
	v_add_nc_u32_e32 v18, 1, v4
	v_add_nc_u32_e32 v5, -1, v5
	v_lshl_add_u32 v4, v4, 3, v10
	v_cndmask_b32_e64 v17, v18, v13, s9
	v_min_u32_e32 v5, v18, v5
	v_cndmask_b32_e64 v18, v14, v18, s9
	v_lshl_add_u32 v5, v5, 3, v10
	ds_read_b64 v[19:20], v5
	ds_read_b64 v[4:5], v4 offset:32768
	s_waitcnt lgkmcnt(1)
	v_cndmask_b32_e64 v99, v20, v87, s9
	v_cndmask_b32_e64 v98, v19, v86, s9
	;; [unrolled: 1-line block ×4, first 2 shown]
	v_cmpx_lt_u32_e64 v17, v195
	s_cbranch_execz .LBB1128_382
; %bb.379:
	s_mov_b32 s25, 0
	s_mov_b32 s23, exec_lo
	v_cmpx_lt_u32_e64 v18, v194
	s_cbranch_execz .LBB1128_381
; %bb.380:
	v_add_f64 v[13:14], v[98:99], 0
	v_add_f64 v[19:20], v[114:115], 0
	v_ashrrev_i32_e32 v21, 31, v14
	v_ashrrev_i32_e32 v22, 31, v20
	v_or_b32_e32 v23, 0x80000000, v21
	v_or_b32_e32 v24, 0x80000000, v22
	v_xor_b32_e32 v13, v21, v13
	v_xor_b32_e32 v19, v22, v19
	;; [unrolled: 1-line block ×4, first 2 shown]
	v_cmp_le_u64_e64 s8, v[13:14], v[19:20]
	s_and_b32 s25, s8, exec_lo
.LBB1128_381:
	s_or_b32 exec_lo, exec_lo, s23
	s_orn2_b32 s23, s25, exec_lo
.LBB1128_382:
	s_or_b32 exec_lo, exec_lo, s24
	v_cndmask_b32_e64 v13, v17, v18, s23
	v_cndmask_b32_e64 v14, v195, v194, s23
	s_mov_b32 s25, -1
	s_mov_b32 s24, -1
	s_mov_b32 s26, exec_lo
	v_add_nc_u32_e32 v20, 1, v13
	v_add_nc_u32_e32 v14, -1, v14
	v_lshl_add_u32 v13, v13, 3, v10
	v_cndmask_b32_e64 v19, v20, v17, s23
	v_min_u32_e32 v14, v20, v14
	v_cndmask_b32_e64 v20, v18, v20, s23
	v_lshl_add_u32 v14, v14, 3, v10
	ds_read_b64 v[21:22], v14
	ds_read_b64 v[13:14], v13 offset:32768
	s_waitcnt lgkmcnt(1)
	v_cndmask_b32_e64 v83, v22, v99, s23
	v_cndmask_b32_e64 v82, v21, v98, s23
	;; [unrolled: 1-line block ×4, first 2 shown]
	v_cmpx_lt_u32_e64 v19, v195
	s_cbranch_execz .LBB1128_386
; %bb.383:
	s_mov_b32 s27, 0
	s_mov_b32 s24, exec_lo
	v_cmpx_lt_u32_e64 v20, v194
	s_cbranch_execz .LBB1128_385
; %bb.384:
	v_add_f64 v[17:18], v[82:83], 0
	v_add_f64 v[21:22], v[116:117], 0
	v_ashrrev_i32_e32 v23, 31, v18
	v_ashrrev_i32_e32 v24, 31, v22
	v_or_b32_e32 v25, 0x80000000, v23
	v_or_b32_e32 v26, 0x80000000, v24
	v_xor_b32_e32 v17, v23, v17
	v_xor_b32_e32 v21, v24, v21
	;; [unrolled: 1-line block ×4, first 2 shown]
	v_cmp_le_u64_e64 s8, v[17:18], v[21:22]
	s_and_b32 s27, s8, exec_lo
.LBB1128_385:
	s_or_b32 exec_lo, exec_lo, s24
	s_orn2_b32 s24, s27, exec_lo
.LBB1128_386:
	s_or_b32 exec_lo, exec_lo, s26
	v_cndmask_b32_e64 v17, v19, v20, s24
	v_cndmask_b32_e64 v18, v195, v194, s24
	s_mov_b32 s26, exec_lo
	v_add_nc_u32_e32 v22, 1, v17
	v_add_nc_u32_e32 v18, -1, v18
	v_lshl_add_u32 v17, v17, 3, v10
	v_cndmask_b32_e64 v21, v22, v19, s24
	v_min_u32_e32 v18, v22, v18
	v_cndmask_b32_e64 v22, v20, v22, s24
	v_lshl_add_u32 v18, v18, 3, v10
	ds_read_b64 v[23:24], v18
	ds_read_b64 v[17:18], v17 offset:32768
	s_waitcnt lgkmcnt(1)
	v_cndmask_b32_e64 v97, v24, v83, s24
	v_cndmask_b32_e64 v96, v23, v82, s24
	;; [unrolled: 1-line block ×4, first 2 shown]
	v_cmpx_lt_u32_e64 v21, v195
	s_cbranch_execz .LBB1128_390
; %bb.387:
	s_mov_b32 s27, 0
	s_mov_b32 s25, exec_lo
	v_cmpx_lt_u32_e64 v22, v194
	s_cbranch_execz .LBB1128_389
; %bb.388:
	v_add_f64 v[19:20], v[96:97], 0
	v_add_f64 v[23:24], v[118:119], 0
	v_ashrrev_i32_e32 v25, 31, v20
	v_ashrrev_i32_e32 v26, 31, v24
	v_or_b32_e32 v27, 0x80000000, v25
	v_or_b32_e32 v28, 0x80000000, v26
	v_xor_b32_e32 v19, v25, v19
	v_xor_b32_e32 v23, v26, v23
	;; [unrolled: 1-line block ×4, first 2 shown]
	v_cmp_le_u64_e64 s8, v[19:20], v[23:24]
	s_and_b32 s27, s8, exec_lo
.LBB1128_389:
	s_or_b32 exec_lo, exec_lo, s25
	s_orn2_b32 s25, s27, exec_lo
.LBB1128_390:
	s_or_b32 exec_lo, exec_lo, s26
	v_cndmask_b32_e64 v19, v21, v22, s25
	v_cndmask_b32_e64 v20, v195, v194, s25
	s_mov_b32 s27, -1
	s_mov_b32 s26, -1
	s_mov_b32 s28, exec_lo
	v_add_nc_u32_e32 v24, 1, v19
	v_add_nc_u32_e32 v20, -1, v20
	v_lshl_add_u32 v19, v19, 3, v10
	v_cndmask_b32_e64 v23, v24, v21, s25
	v_min_u32_e32 v20, v24, v20
	v_cndmask_b32_e64 v24, v22, v24, s25
	v_lshl_add_u32 v20, v20, 3, v10
	ds_read_b64 v[25:26], v20
	ds_read_b64 v[19:20], v19 offset:32768
	s_waitcnt lgkmcnt(1)
	v_cndmask_b32_e64 v81, v26, v97, s25
	v_cndmask_b32_e64 v80, v25, v96, s25
	v_cndmask_b32_e64 v129, v119, v26, s25
	v_cndmask_b32_e64 v128, v118, v25, s25
	v_cmpx_lt_u32_e64 v23, v195
	s_cbranch_execz .LBB1128_394
; %bb.391:
	s_mov_b32 s29, 0
	s_mov_b32 s26, exec_lo
	v_cmpx_lt_u32_e64 v24, v194
	s_cbranch_execz .LBB1128_393
; %bb.392:
	v_add_f64 v[21:22], v[80:81], 0
	v_add_f64 v[25:26], v[128:129], 0
	v_ashrrev_i32_e32 v27, 31, v22
	v_ashrrev_i32_e32 v28, 31, v26
	v_or_b32_e32 v29, 0x80000000, v27
	v_or_b32_e32 v30, 0x80000000, v28
	v_xor_b32_e32 v21, v27, v21
	v_xor_b32_e32 v25, v28, v25
	;; [unrolled: 1-line block ×4, first 2 shown]
	v_cmp_le_u64_e64 s8, v[21:22], v[25:26]
	s_and_b32 s29, s8, exec_lo
.LBB1128_393:
	s_or_b32 exec_lo, exec_lo, s26
	s_orn2_b32 s26, s29, exec_lo
.LBB1128_394:
	s_or_b32 exec_lo, exec_lo, s28
	v_cndmask_b32_e64 v21, v23, v24, s26
	v_cndmask_b32_e64 v22, v195, v194, s26
	s_mov_b32 s28, exec_lo
	v_add_nc_u32_e32 v26, 1, v21
	v_add_nc_u32_e32 v22, -1, v22
	v_lshl_add_u32 v21, v21, 3, v10
	v_cndmask_b32_e64 v25, v26, v23, s26
	v_min_u32_e32 v22, v26, v22
	v_cndmask_b32_e64 v26, v24, v26, s26
	v_lshl_add_u32 v22, v22, 3, v10
	ds_read_b64 v[27:28], v22
	ds_read_b64 v[21:22], v21 offset:32768
	s_waitcnt lgkmcnt(1)
	v_cndmask_b32_e64 v85, v28, v81, s26
	v_cndmask_b32_e64 v84, v27, v80, s26
	;; [unrolled: 1-line block ×4, first 2 shown]
	v_cmpx_lt_u32_e64 v25, v195
	s_cbranch_execz .LBB1128_398
; %bb.395:
	s_mov_b32 s29, 0
	s_mov_b32 s27, exec_lo
	v_cmpx_lt_u32_e64 v26, v194
	s_cbranch_execz .LBB1128_397
; %bb.396:
	v_add_f64 v[23:24], v[84:85], 0
	v_add_f64 v[27:28], v[130:131], 0
	v_ashrrev_i32_e32 v29, 31, v24
	v_ashrrev_i32_e32 v30, 31, v28
	v_or_b32_e32 v32, 0x80000000, v29
	v_or_b32_e32 v33, 0x80000000, v30
	v_xor_b32_e32 v23, v29, v23
	v_xor_b32_e32 v27, v30, v27
	;; [unrolled: 1-line block ×4, first 2 shown]
	v_cmp_le_u64_e64 s8, v[23:24], v[27:28]
	s_and_b32 s29, s8, exec_lo
.LBB1128_397:
	s_or_b32 exec_lo, exec_lo, s27
	s_orn2_b32 s27, s29, exec_lo
.LBB1128_398:
	s_or_b32 exec_lo, exec_lo, s28
	v_cndmask_b32_e64 v23, v25, v26, s27
	v_cndmask_b32_e64 v24, v195, v194, s27
	s_mov_b32 s29, -1
	s_mov_b32 s28, -1
	s_mov_b32 s40, exec_lo
	v_add_nc_u32_e32 v28, 1, v23
	v_add_nc_u32_e32 v24, -1, v24
	v_lshl_add_u32 v23, v23, 3, v10
	v_cndmask_b32_e64 v27, v28, v25, s27
	v_min_u32_e32 v24, v28, v24
	v_cndmask_b32_e64 v28, v26, v28, s27
	v_lshl_add_u32 v24, v24, 3, v10
	ds_read_b64 v[29:30], v24
	ds_read_b64 v[23:24], v23 offset:32768
	s_waitcnt lgkmcnt(1)
	v_cndmask_b32_e64 v71, v30, v85, s27
	v_cndmask_b32_e64 v70, v29, v84, s27
	;; [unrolled: 1-line block ×4, first 2 shown]
	v_cmpx_lt_u32_e64 v27, v195
	s_cbranch_execz .LBB1128_402
; %bb.399:
	s_mov_b32 s41, 0
	s_mov_b32 s28, exec_lo
	v_cmpx_lt_u32_e64 v28, v194
	s_cbranch_execz .LBB1128_401
; %bb.400:
	v_add_f64 v[25:26], v[70:71], 0
	v_add_f64 v[29:30], v[102:103], 0
	v_ashrrev_i32_e32 v32, 31, v26
	v_ashrrev_i32_e32 v33, 31, v30
	v_or_b32_e32 v34, 0x80000000, v32
	v_or_b32_e32 v35, 0x80000000, v33
	v_xor_b32_e32 v25, v32, v25
	v_xor_b32_e32 v29, v33, v29
	v_xor_b32_e32 v26, v34, v26
	v_xor_b32_e32 v30, v35, v30
	v_cmp_le_u64_e64 s8, v[25:26], v[29:30]
	s_and_b32 s41, s8, exec_lo
.LBB1128_401:
	s_or_b32 exec_lo, exec_lo, s28
	s_orn2_b32 s28, s41, exec_lo
.LBB1128_402:
	s_or_b32 exec_lo, exec_lo, s40
	v_cndmask_b32_e64 v25, v27, v28, s28
	v_cndmask_b32_e64 v26, v195, v194, s28
	s_mov_b32 s40, exec_lo
	v_add_nc_u32_e32 v30, 1, v25
	v_add_nc_u32_e32 v26, -1, v26
	v_lshl_add_u32 v25, v25, 3, v10
	v_cndmask_b32_e64 v29, v30, v27, s28
	v_min_u32_e32 v26, v30, v26
	v_cndmask_b32_e64 v30, v28, v30, s28
	v_lshl_add_u32 v26, v26, 3, v10
	ds_read_b64 v[32:33], v26
	ds_read_b64 v[25:26], v25 offset:32768
	s_waitcnt lgkmcnt(1)
	v_cndmask_b32_e64 v69, v33, v71, s28
	v_cndmask_b32_e64 v68, v32, v70, s28
	;; [unrolled: 1-line block ×4, first 2 shown]
	v_cmpx_lt_u32_e64 v29, v195
	s_cbranch_execz .LBB1128_406
; %bb.403:
	s_mov_b32 s41, 0
	s_mov_b32 s29, exec_lo
	v_cmpx_lt_u32_e64 v30, v194
	s_cbranch_execz .LBB1128_405
; %bb.404:
	v_add_f64 v[27:28], v[68:69], 0
	v_add_f64 v[32:33], v[132:133], 0
	v_ashrrev_i32_e32 v34, 31, v28
	v_ashrrev_i32_e32 v35, 31, v33
	v_or_b32_e32 v36, 0x80000000, v34
	v_or_b32_e32 v37, 0x80000000, v35
	v_xor_b32_e32 v27, v34, v27
	v_xor_b32_e32 v32, v35, v32
	;; [unrolled: 1-line block ×4, first 2 shown]
	v_cmp_le_u64_e64 s8, v[27:28], v[32:33]
	s_and_b32 s41, s8, exec_lo
.LBB1128_405:
	s_or_b32 exec_lo, exec_lo, s29
	s_orn2_b32 s29, s41, exec_lo
.LBB1128_406:
	s_or_b32 exec_lo, exec_lo, s40
	v_cndmask_b32_e64 v27, v29, v30, s29
	v_cndmask_b32_e64 v28, v195, v194, s29
	s_mov_b32 s41, -1
	s_mov_b32 s40, -1
	s_mov_b32 s42, exec_lo
	v_add_nc_u32_e32 v33, 1, v27
	v_add_nc_u32_e32 v28, -1, v28
	v_lshl_add_u32 v27, v27, 3, v10
	v_cndmask_b32_e64 v32, v33, v29, s29
	v_min_u32_e32 v28, v33, v28
	v_cndmask_b32_e64 v33, v30, v33, s29
	v_lshl_add_u32 v28, v28, 3, v10
	ds_read_b64 v[34:35], v28
	ds_read_b64 v[27:28], v27 offset:32768
	s_waitcnt lgkmcnt(1)
	v_cndmask_b32_e64 v65, v35, v69, s29
	v_cndmask_b32_e64 v64, v34, v68, s29
	;; [unrolled: 1-line block ×4, first 2 shown]
	v_cmpx_lt_u32_e64 v32, v195
	s_cbranch_execz .LBB1128_410
; %bb.407:
	s_mov_b32 s43, 0
	s_mov_b32 s40, exec_lo
	v_cmpx_lt_u32_e64 v33, v194
	s_cbranch_execz .LBB1128_409
; %bb.408:
	v_add_f64 v[29:30], v[64:65], 0
	v_add_f64 v[34:35], v[134:135], 0
	v_ashrrev_i32_e32 v36, 31, v30
	v_ashrrev_i32_e32 v37, 31, v35
	v_or_b32_e32 v38, 0x80000000, v36
	v_or_b32_e32 v39, 0x80000000, v37
	v_xor_b32_e32 v29, v36, v29
	v_xor_b32_e32 v34, v37, v34
	;; [unrolled: 1-line block ×4, first 2 shown]
	v_cmp_le_u64_e64 s8, v[29:30], v[34:35]
	s_and_b32 s43, s8, exec_lo
.LBB1128_409:
	s_or_b32 exec_lo, exec_lo, s40
	s_orn2_b32 s40, s43, exec_lo
.LBB1128_410:
	s_or_b32 exec_lo, exec_lo, s42
	v_cndmask_b32_e64 v29, v32, v33, s40
	v_cndmask_b32_e64 v30, v195, v194, s40
	s_mov_b32 s42, exec_lo
	v_add_nc_u32_e32 v35, 1, v29
	v_add_nc_u32_e32 v30, -1, v30
	v_lshl_add_u32 v29, v29, 3, v10
	v_cndmask_b32_e64 v34, v35, v32, s40
	v_min_u32_e32 v30, v35, v30
	v_cndmask_b32_e64 v35, v33, v35, s40
	v_lshl_add_u32 v30, v30, 3, v10
	ds_read_b64 v[36:37], v30
	ds_read_b64 v[29:30], v29 offset:32768
	s_waitcnt lgkmcnt(1)
	v_cndmask_b32_e64 v55, v37, v65, s40
	v_cndmask_b32_e64 v54, v36, v64, s40
	;; [unrolled: 1-line block ×4, first 2 shown]
	v_cmpx_lt_u32_e64 v34, v195
	s_cbranch_execz .LBB1128_414
; %bb.411:
	s_mov_b32 s43, 0
	s_mov_b32 s41, exec_lo
	v_cmpx_lt_u32_e64 v35, v194
	s_cbranch_execz .LBB1128_413
; %bb.412:
	v_add_f64 v[32:33], v[54:55], 0
	v_add_f64 v[36:37], v[144:145], 0
	v_ashrrev_i32_e32 v38, 31, v33
	v_ashrrev_i32_e32 v39, 31, v37
	v_or_b32_e32 v48, 0x80000000, v38
	v_or_b32_e32 v49, 0x80000000, v39
	v_xor_b32_e32 v32, v38, v32
	v_xor_b32_e32 v36, v39, v36
	;; [unrolled: 1-line block ×4, first 2 shown]
	v_cmp_le_u64_e64 s8, v[32:33], v[36:37]
	s_and_b32 s43, s8, exec_lo
.LBB1128_413:
	s_or_b32 exec_lo, exec_lo, s41
	s_orn2_b32 s41, s43, exec_lo
.LBB1128_414:
	s_or_b32 exec_lo, exec_lo, s42
	v_cndmask_b32_e64 v32, v34, v35, s41
	v_cndmask_b32_e64 v33, v195, v194, s41
	s_mov_b32 s43, -1
	s_mov_b32 s42, -1
	s_mov_b32 s44, exec_lo
	v_add_nc_u32_e32 v37, 1, v32
	v_add_nc_u32_e32 v33, -1, v33
	v_lshl_add_u32 v32, v32, 3, v10
	v_cndmask_b32_e64 v36, v37, v34, s41
	v_min_u32_e32 v33, v37, v33
	v_cndmask_b32_e64 v37, v35, v37, s41
	v_lshl_add_u32 v33, v33, 3, v10
	ds_read_b64 v[38:39], v33
	ds_read_b64 v[32:33], v32 offset:32768
	s_waitcnt lgkmcnt(1)
	v_cndmask_b32_e64 v101, v39, v55, s41
	v_cndmask_b32_e64 v100, v38, v54, s41
	;; [unrolled: 1-line block ×4, first 2 shown]
	v_cmpx_lt_u32_e64 v36, v195
	s_cbranch_execz .LBB1128_418
; %bb.415:
	s_mov_b32 s45, 0
	s_mov_b32 s42, exec_lo
	v_cmpx_lt_u32_e64 v37, v194
	s_cbranch_execz .LBB1128_417
; %bb.416:
	v_add_f64 v[34:35], v[100:101], 0
	v_add_f64 v[38:39], v[146:147], 0
	v_ashrrev_i32_e32 v48, 31, v35
	v_ashrrev_i32_e32 v49, 31, v39
	v_or_b32_e32 v50, 0x80000000, v48
	v_or_b32_e32 v51, 0x80000000, v49
	v_xor_b32_e32 v34, v48, v34
	v_xor_b32_e32 v38, v49, v38
	;; [unrolled: 1-line block ×4, first 2 shown]
	v_cmp_le_u64_e64 s8, v[34:35], v[38:39]
	s_and_b32 s45, s8, exec_lo
.LBB1128_417:
	s_or_b32 exec_lo, exec_lo, s42
	s_orn2_b32 s42, s45, exec_lo
.LBB1128_418:
	s_or_b32 exec_lo, exec_lo, s44
	v_cndmask_b32_e64 v34, v36, v37, s42
	v_cndmask_b32_e64 v35, v195, v194, s42
	s_mov_b32 s44, exec_lo
	v_add_nc_u32_e32 v48, 1, v34
	v_add_nc_u32_e32 v35, -1, v35
	v_lshl_add_u32 v34, v34, 3, v10
	v_cndmask_b32_e64 v36, v48, v36, s42
	v_min_u32_e32 v35, v48, v35
	v_cndmask_b32_e64 v37, v37, v48, s42
	v_lshl_add_u32 v35, v35, 3, v10
	ds_read_b64 v[38:39], v35
	ds_read_b64 v[34:35], v34 offset:32768
	s_waitcnt lgkmcnt(1)
	v_cndmask_b32_e64 v53, v39, v101, s42
	v_cndmask_b32_e64 v52, v38, v100, s42
	;; [unrolled: 1-line block ×4, first 2 shown]
	v_cmpx_lt_u32_e64 v36, v195
	s_cbranch_execz .LBB1128_422
; %bb.419:
	s_mov_b32 s45, 0
	s_mov_b32 s43, exec_lo
	v_cmpx_lt_u32_e64 v37, v194
	s_cbranch_execz .LBB1128_421
; %bb.420:
	v_add_f64 v[38:39], v[52:53], 0
	v_add_f64 v[48:49], v[148:149], 0
	v_ashrrev_i32_e32 v50, 31, v39
	v_ashrrev_i32_e32 v51, 31, v49
	v_or_b32_e32 v66, 0x80000000, v50
	v_or_b32_e32 v67, 0x80000000, v51
	v_xor_b32_e32 v38, v50, v38
	v_xor_b32_e32 v48, v51, v48
	;; [unrolled: 1-line block ×4, first 2 shown]
	v_cmp_le_u64_e64 s8, v[38:39], v[48:49]
	s_and_b32 s45, s8, exec_lo
.LBB1128_421:
	s_or_b32 exec_lo, exec_lo, s43
	s_orn2_b32 s43, s45, exec_lo
.LBB1128_422:
	s_or_b32 exec_lo, exec_lo, s44
	v_cndmask_b32_e64 v38, v36, v37, s43
	v_cndmask_b32_e64 v39, v195, v194, s43
	s_mov_b32 s45, -1
	s_mov_b32 s44, -1
	s_mov_b32 s46, exec_lo
	v_add_nc_u32_e32 v48, 1, v38
	v_add_nc_u32_e32 v39, -1, v39
	v_lshl_add_u32 v38, v38, 3, v10
	v_cndmask_b32_e64 v36, v48, v36, s43
	v_min_u32_e32 v39, v48, v39
	v_cndmask_b32_e64 v37, v37, v48, s43
	v_lshl_add_u32 v39, v39, 3, v10
	ds_read_b64 v[50:51], v39
	ds_read_b64 v[38:39], v38 offset:32768
	s_waitcnt lgkmcnt(1)
	v_cndmask_b32_e64 v49, v51, v53, s43
	v_cndmask_b32_e64 v48, v50, v52, s43
	;; [unrolled: 1-line block ×4, first 2 shown]
	v_cmpx_lt_u32_e64 v36, v195
	s_cbranch_execz .LBB1128_426
; %bb.423:
	s_mov_b32 s47, 0
	s_mov_b32 s44, exec_lo
	v_cmpx_lt_u32_e64 v37, v194
	s_cbranch_execz .LBB1128_425
; %bb.424:
	v_add_f64 v[50:51], v[48:49], 0
	v_add_f64 v[66:67], v[150:151], 0
	v_ashrrev_i32_e32 v160, 31, v51
	v_ashrrev_i32_e32 v161, 31, v67
	v_or_b32_e32 v162, 0x80000000, v160
	v_or_b32_e32 v163, 0x80000000, v161
	v_xor_b32_e32 v50, v160, v50
	v_xor_b32_e32 v66, v161, v66
	v_xor_b32_e32 v51, v162, v51
	v_xor_b32_e32 v67, v163, v67
	v_cmp_le_u64_e64 s8, v[50:51], v[66:67]
	s_and_b32 s47, s8, exec_lo
.LBB1128_425:
	s_or_b32 exec_lo, exec_lo, s44
	s_orn2_b32 s44, s47, exec_lo
.LBB1128_426:
	s_or_b32 exec_lo, exec_lo, s46
	v_cndmask_b32_e64 v50, v36, v37, s44
	v_cndmask_b32_e64 v51, v195, v194, s44
	s_mov_b32 s46, exec_lo
	v_add_nc_u32_e32 v66, 1, v50
	v_add_nc_u32_e32 v51, -1, v51
	v_lshl_add_u32 v50, v50, 3, v10
	v_cndmask_b32_e64 v160, v66, v36, s44
	v_min_u32_e32 v51, v66, v51
	v_cndmask_b32_e64 v161, v37, v66, s44
	v_lshl_add_u32 v51, v51, 3, v10
	ds_read_b64 v[162:163], v51
	ds_read_b64 v[50:51], v50 offset:32768
	s_waitcnt lgkmcnt(1)
	v_cndmask_b32_e64 v67, v163, v49, s44
	v_cndmask_b32_e64 v66, v162, v48, s44
	;; [unrolled: 1-line block ×4, first 2 shown]
	v_cmpx_lt_u32_e64 v160, v195
	s_cbranch_execz .LBB1128_430
; %bb.427:
	s_mov_b32 s47, 0
	s_mov_b32 s45, exec_lo
	v_cmpx_lt_u32_e64 v161, v194
	s_cbranch_execz .LBB1128_429
; %bb.428:
	v_add_f64 v[36:37], v[66:67], 0
	v_add_f64 v[162:163], v[164:165], 0
	v_ashrrev_i32_e32 v196, 31, v37
	v_ashrrev_i32_e32 v197, 31, v163
	v_or_b32_e32 v198, 0x80000000, v196
	v_or_b32_e32 v199, 0x80000000, v197
	v_xor_b32_e32 v36, v196, v36
	v_xor_b32_e32 v162, v197, v162
	;; [unrolled: 1-line block ×4, first 2 shown]
	v_cmp_le_u64_e64 s8, v[36:37], v[162:163]
	s_and_b32 s47, s8, exec_lo
.LBB1128_429:
	s_or_b32 exec_lo, exec_lo, s45
	s_orn2_b32 s45, s47, exec_lo
.LBB1128_430:
	s_or_b32 exec_lo, exec_lo, s46
	v_cndmask_b32_e64 v36, v160, v161, s45
	v_cndmask_b32_e64 v37, v195, v194, s45
	s_mov_b32 s46, -1
	s_mov_b32 s47, exec_lo
	v_add_nc_u32_e32 v197, 1, v36
	v_add_nc_u32_e32 v37, -1, v37
	v_lshl_add_u32 v36, v36, 3, v10
	v_cndmask_b32_e64 v196, v197, v160, s45
	v_min_u32_e32 v37, v197, v37
	v_cndmask_b32_e64 v197, v161, v197, s45
	v_lshl_add_u32 v37, v37, 3, v10
	ds_read_b64 v[162:163], v37
	ds_read_b64 v[36:37], v36 offset:32768
	s_waitcnt lgkmcnt(1)
	v_cndmask_b32_e64 v161, v163, v67, s45
	v_cndmask_b32_e64 v160, v162, v66, s45
	;; [unrolled: 1-line block ×4, first 2 shown]
	v_cmpx_lt_u32_e64 v196, v195
	s_cbranch_execz .LBB1128_434
; %bb.431:
	s_mov_b32 s56, 0
	s_mov_b32 s46, exec_lo
	v_cmpx_lt_u32_e64 v197, v194
	s_cbranch_execz .LBB1128_433
; %bb.432:
	v_add_f64 v[194:195], v[160:161], 0
	v_add_f64 v[198:199], v[162:163], 0
	v_ashrrev_i32_e32 v208, 31, v195
	v_ashrrev_i32_e32 v209, 31, v199
	v_or_b32_e32 v210, 0x80000000, v208
	v_or_b32_e32 v211, 0x80000000, v209
	v_xor_b32_e32 v194, v208, v194
	v_xor_b32_e32 v198, v209, v198
	;; [unrolled: 1-line block ×4, first 2 shown]
	v_cmp_le_u64_e64 s8, v[194:195], v[198:199]
	s_and_b32 s56, s8, exec_lo
.LBB1128_433:
	s_or_b32 exec_lo, exec_lo, s46
	s_orn2_b32 s46, s56, exec_lo
.LBB1128_434:
	s_or_b32 exec_lo, exec_lo, s47
	v_cndmask_b32_e64 v55, v55, v145, s41
	v_cndmask_b32_e64 v145, v196, v197, s46
	;; [unrolled: 1-line block ×6, first 2 shown]
	v_lshl_add_u32 v133, v145, 3, v10
	v_cndmask_b32_e64 v66, v66, v164, s45
	v_cndmask_b32_e64 v49, v49, v151, s44
	;; [unrolled: 1-line block ×4, first 2 shown]
	ds_read_b64 v[102:103], v133 offset:32768
	v_cndmask_b32_e64 v52, v52, v148, s43
	v_cndmask_b32_e64 v101, v101, v147, s42
	v_cndmask_b32_e64 v100, v100, v146, s42
	v_cndmask_b32_e64 v54, v54, v144, s41
	v_cndmask_b32_e64 v65, v65, v135, s40
	v_cndmask_b32_e64 v64, v64, v134, s40
	v_cndmask_b32_e64 v68, v68, v132, s29
	v_cndmask_b32_e64 v85, v85, v131, s27
	v_cndmask_b32_e64 v84, v84, v130, s27
	v_cndmask_b32_e64 v81, v81, v129, s26
	v_cndmask_b32_e64 v80, v80, v128, s26
	v_cndmask_b32_e64 v97, v97, v119, s25
	v_cndmask_b32_e64 v96, v96, v118, s25
	v_cndmask_b32_e64 v83, v83, v117, s24
	v_cndmask_b32_e64 v82, v82, v116, s24
	v_cndmask_b32_e64 v99, v99, v115, s23
	v_cndmask_b32_e64 v98, v98, v114, s23
	v_cndmask_b32_e64 v87, v87, v113, s9
	v_cndmask_b32_e64 v86, v86, v112, s9
	v_cndmask_b32_e64 v9, v16, v9, s13
	v_cndmask_b32_e64 v8, v15, v8, s13
	v_cndmask_b32_e64 v16, v161, v163, s46
	v_cndmask_b32_e64 v15, v160, v162, s46
.LBB1128_435:
	s_or_b32 exec_lo, exec_lo, s12
	v_and_b32_e32 v114, 0x180, v176
	v_and_b32_e32 v113, 0x70, v176
	s_mov_b32 s9, exec_lo
	; wave barrier
	v_or_b32_e32 v112, 64, v114
	v_min_u32_e32 v115, v177, v113
	ds_write2_b64 v31, v[8:9], v[86:87] offset1:1
	ds_write2_b64 v181, v[0:1], v[4:5] offset1:1
	ds_write2_b64 v31, v[98:99], v[82:83] offset0:2 offset1:3
	ds_write2_b64 v182, v[13:14], v[17:18] offset1:1
	ds_write2_b64 v31, v[96:97], v[80:81] offset0:4 offset1:5
	;; [unrolled: 2-line block ×3, first 2 shown]
	ds_write2_b64 v180, v[23:24], v[25:26] offset1:1
	v_min_u32_e32 v194, v177, v112
	ds_write2_b64 v31, v[68:69], v[64:65] offset0:8 offset1:9
	ds_write2_b64 v178, v[27:28], v[29:30] offset1:1
	ds_write2_b64 v31, v[54:55], v[100:101] offset0:10 offset1:11
	ds_write2_b64 v183, v[32:33], v[34:35] offset1:1
	;; [unrolled: 2-line block ×3, first 2 shown]
	ds_write2_b64 v31, v[66:67], v[15:16] offset0:14 offset1:15
	s_waitcnt lgkmcnt(15)
	ds_write2_b64 v193, v[36:37], v[102:103] offset1:1
	v_add_nc_u32_e32 v112, 64, v194
	v_sub_nc_u32_e32 v113, v194, v114
	; wave barrier
	v_min_u32_e32 v195, v177, v112
	v_min_u32_e32 v116, v115, v113
	v_lshl_add_u32 v113, v114, 3, v10
	v_sub_nc_u32_e32 v112, v195, v194
	v_sub_nc_u32_e64 v112, v115, v112 clamp
	v_cmpx_lt_u32_e64 v112, v116
	s_cbranch_execz .LBB1128_439
; %bb.436:
	v_lshlrev_b32_e32 v117, 3, v194
	v_lshlrev_b32_e32 v118, 3, v115
	s_mov_b32 s12, 0
	v_add3_u32 v117, v10, v117, v118
	s_inst_prefetch 0x1
	.p2align	6
.LBB1128_437:                           ; =>This Inner Loop Header: Depth=1
	v_add_nc_u32_e32 v118, v116, v112
	v_lshrrev_b32_e32 v130, 1, v118
	v_not_b32_e32 v118, v130
	v_lshl_add_u32 v119, v130, 3, v113
	v_lshl_add_u32 v128, v118, 3, v117
	ds_read_b64 v[118:119], v119
	ds_read_b64 v[128:129], v128
	s_waitcnt lgkmcnt(1)
	v_add_f64 v[118:119], v[118:119], 0
	s_waitcnt lgkmcnt(0)
	v_add_f64 v[128:129], v[128:129], 0
	v_ashrrev_i32_e32 v131, 31, v119
	v_ashrrev_i32_e32 v132, 31, v129
	v_or_b32_e32 v133, 0x80000000, v131
	v_or_b32_e32 v134, 0x80000000, v132
	v_xor_b32_e32 v118, v131, v118
	v_xor_b32_e32 v128, v132, v128
	;; [unrolled: 1-line block ×4, first 2 shown]
	v_cmp_gt_u64_e64 s8, v[128:129], v[118:119]
	v_add_nc_u32_e32 v118, 1, v130
	v_cndmask_b32_e64 v116, v116, v130, s8
	v_cndmask_b32_e64 v112, v118, v112, s8
	v_cmp_ge_u32_e64 s8, v112, v116
	s_or_b32 s12, s8, s12
	s_andn2_b32 exec_lo, exec_lo, s12
	s_cbranch_execnz .LBB1128_437
; %bb.438:
	s_inst_prefetch 0x2
	s_or_b32 exec_lo, exec_lo, s12
.LBB1128_439:
	s_or_b32 exec_lo, exec_lo, s9
	v_add_nc_u32_e32 v115, v194, v115
	v_add_nc_u32_e32 v114, v112, v114
	v_sub_nc_u32_e32 v115, v115, v112
	v_cmp_le_u32_e64 s8, v114, v194
	v_cmp_le_u32_e64 s9, v115, v195
	s_or_b32 s8, s8, s9
	s_and_saveexec_b32 s12, s8
	s_cbranch_execz .LBB1128_507
; %bb.440:
	v_cmp_ge_u32_e64 s8, v114, v194
	s_mov_b32 s13, exec_lo
                                        ; implicit-def: $vgpr8_vgpr9
	v_cmpx_lt_u32_e64 v114, v194
; %bb.441:
	v_lshl_add_u32 v0, v112, 3, v113
	ds_read_b64 v[8:9], v0
; %bb.442:
	s_or_b32 exec_lo, exec_lo, s13
	v_cmp_ge_u32_e64 s13, v115, v195
	s_mov_b32 s23, exec_lo
                                        ; implicit-def: $vgpr15_vgpr16
	v_cmpx_lt_u32_e64 v115, v195
; %bb.443:
	v_lshl_add_u32 v0, v115, 3, v10
	ds_read_b64 v[15:16], v0
; %bb.444:
	s_or_b32 exec_lo, exec_lo, s23
	s_nor_b32 s8, s8, s13
	s_and_saveexec_b32 s9, s8
	s_cbranch_execz .LBB1128_446
; %bb.445:
	s_waitcnt lgkmcnt(0)
	v_add_f64 v[0:1], v[15:16], 0
	v_add_f64 v[4:5], v[8:9], 0
	s_andn2_b32 s13, s13, exec_lo
	v_ashrrev_i32_e32 v13, 31, v1
	v_ashrrev_i32_e32 v14, 31, v5
	v_or_b32_e32 v17, 0x80000000, v13
	v_or_b32_e32 v18, 0x80000000, v14
	v_xor_b32_e32 v0, v13, v0
	v_xor_b32_e32 v4, v14, v4
	;; [unrolled: 1-line block ×4, first 2 shown]
	v_cmp_le_u64_e64 s8, v[0:1], v[4:5]
	s_and_b32 s8, s8, exec_lo
	s_or_b32 s13, s13, s8
.LBB1128_446:
	s_or_b32 exec_lo, exec_lo, s9
	v_cndmask_b32_e64 v0, v115, v114, s13
	v_cndmask_b32_e64 v1, v195, v194, s13
	s_mov_b32 s23, -1
	s_mov_b32 s9, -1
	s_mov_b32 s24, exec_lo
	v_add_nc_u32_e32 v14, 1, v0
	v_add_nc_u32_e32 v1, -1, v1
	v_lshl_add_u32 v0, v0, 3, v10
	v_cndmask_b32_e64 v13, v14, v115, s13
	v_min_u32_e32 v1, v14, v1
	v_cndmask_b32_e64 v14, v114, v14, s13
	v_lshl_add_u32 v1, v1, 3, v10
	ds_read_b64 v[4:5], v1
	ds_read_b64 v[0:1], v0 offset:32768
	s_waitcnt lgkmcnt(1)
	v_cndmask_b32_e64 v87, v5, v16, s13
	v_cndmask_b32_e64 v86, v4, v15, s13
	;; [unrolled: 1-line block ×4, first 2 shown]
	v_cmpx_lt_u32_e64 v13, v195
	s_cbranch_execz .LBB1128_450
; %bb.447:
	s_mov_b32 s25, 0
	s_mov_b32 s9, exec_lo
	v_cmpx_lt_u32_e64 v14, v194
	s_cbranch_execz .LBB1128_449
; %bb.448:
	v_add_f64 v[4:5], v[86:87], 0
	v_add_f64 v[17:18], v[112:113], 0
	v_ashrrev_i32_e32 v19, 31, v5
	v_ashrrev_i32_e32 v20, 31, v18
	v_or_b32_e32 v21, 0x80000000, v19
	v_or_b32_e32 v22, 0x80000000, v20
	v_xor_b32_e32 v4, v19, v4
	v_xor_b32_e32 v17, v20, v17
	;; [unrolled: 1-line block ×4, first 2 shown]
	v_cmp_le_u64_e64 s8, v[4:5], v[17:18]
	s_and_b32 s25, s8, exec_lo
.LBB1128_449:
	s_or_b32 exec_lo, exec_lo, s9
	s_orn2_b32 s9, s25, exec_lo
.LBB1128_450:
	s_or_b32 exec_lo, exec_lo, s24
	v_cndmask_b32_e64 v4, v13, v14, s9
	v_cndmask_b32_e64 v5, v195, v194, s9
	s_mov_b32 s24, exec_lo
	v_add_nc_u32_e32 v18, 1, v4
	v_add_nc_u32_e32 v5, -1, v5
	v_lshl_add_u32 v4, v4, 3, v10
	v_cndmask_b32_e64 v17, v18, v13, s9
	v_min_u32_e32 v5, v18, v5
	v_cndmask_b32_e64 v18, v14, v18, s9
	v_lshl_add_u32 v5, v5, 3, v10
	ds_read_b64 v[19:20], v5
	ds_read_b64 v[4:5], v4 offset:32768
	s_waitcnt lgkmcnt(1)
	v_cndmask_b32_e64 v99, v20, v87, s9
	v_cndmask_b32_e64 v98, v19, v86, s9
	v_cndmask_b32_e64 v115, v113, v20, s9
	v_cndmask_b32_e64 v114, v112, v19, s9
	v_cmpx_lt_u32_e64 v17, v195
	s_cbranch_execz .LBB1128_454
; %bb.451:
	s_mov_b32 s25, 0
	s_mov_b32 s23, exec_lo
	v_cmpx_lt_u32_e64 v18, v194
	s_cbranch_execz .LBB1128_453
; %bb.452:
	v_add_f64 v[13:14], v[98:99], 0
	v_add_f64 v[19:20], v[114:115], 0
	v_ashrrev_i32_e32 v21, 31, v14
	v_ashrrev_i32_e32 v22, 31, v20
	v_or_b32_e32 v23, 0x80000000, v21
	v_or_b32_e32 v24, 0x80000000, v22
	v_xor_b32_e32 v13, v21, v13
	v_xor_b32_e32 v19, v22, v19
	;; [unrolled: 1-line block ×4, first 2 shown]
	v_cmp_le_u64_e64 s8, v[13:14], v[19:20]
	s_and_b32 s25, s8, exec_lo
.LBB1128_453:
	s_or_b32 exec_lo, exec_lo, s23
	s_orn2_b32 s23, s25, exec_lo
.LBB1128_454:
	s_or_b32 exec_lo, exec_lo, s24
	v_cndmask_b32_e64 v13, v17, v18, s23
	v_cndmask_b32_e64 v14, v195, v194, s23
	s_mov_b32 s25, -1
	s_mov_b32 s24, -1
	s_mov_b32 s26, exec_lo
	v_add_nc_u32_e32 v20, 1, v13
	v_add_nc_u32_e32 v14, -1, v14
	v_lshl_add_u32 v13, v13, 3, v10
	v_cndmask_b32_e64 v19, v20, v17, s23
	v_min_u32_e32 v14, v20, v14
	v_cndmask_b32_e64 v20, v18, v20, s23
	v_lshl_add_u32 v14, v14, 3, v10
	ds_read_b64 v[21:22], v14
	ds_read_b64 v[13:14], v13 offset:32768
	s_waitcnt lgkmcnt(1)
	v_cndmask_b32_e64 v83, v22, v99, s23
	v_cndmask_b32_e64 v82, v21, v98, s23
	;; [unrolled: 1-line block ×4, first 2 shown]
	v_cmpx_lt_u32_e64 v19, v195
	s_cbranch_execz .LBB1128_458
; %bb.455:
	s_mov_b32 s27, 0
	s_mov_b32 s24, exec_lo
	v_cmpx_lt_u32_e64 v20, v194
	s_cbranch_execz .LBB1128_457
; %bb.456:
	v_add_f64 v[17:18], v[82:83], 0
	v_add_f64 v[21:22], v[116:117], 0
	v_ashrrev_i32_e32 v23, 31, v18
	v_ashrrev_i32_e32 v24, 31, v22
	v_or_b32_e32 v25, 0x80000000, v23
	v_or_b32_e32 v26, 0x80000000, v24
	v_xor_b32_e32 v17, v23, v17
	v_xor_b32_e32 v21, v24, v21
	;; [unrolled: 1-line block ×4, first 2 shown]
	v_cmp_le_u64_e64 s8, v[17:18], v[21:22]
	s_and_b32 s27, s8, exec_lo
.LBB1128_457:
	s_or_b32 exec_lo, exec_lo, s24
	s_orn2_b32 s24, s27, exec_lo
.LBB1128_458:
	s_or_b32 exec_lo, exec_lo, s26
	v_cndmask_b32_e64 v17, v19, v20, s24
	v_cndmask_b32_e64 v18, v195, v194, s24
	s_mov_b32 s26, exec_lo
	v_add_nc_u32_e32 v22, 1, v17
	v_add_nc_u32_e32 v18, -1, v18
	v_lshl_add_u32 v17, v17, 3, v10
	v_cndmask_b32_e64 v21, v22, v19, s24
	v_min_u32_e32 v18, v22, v18
	v_cndmask_b32_e64 v22, v20, v22, s24
	v_lshl_add_u32 v18, v18, 3, v10
	ds_read_b64 v[23:24], v18
	ds_read_b64 v[17:18], v17 offset:32768
	s_waitcnt lgkmcnt(1)
	v_cndmask_b32_e64 v97, v24, v83, s24
	v_cndmask_b32_e64 v96, v23, v82, s24
	;; [unrolled: 1-line block ×4, first 2 shown]
	v_cmpx_lt_u32_e64 v21, v195
	s_cbranch_execz .LBB1128_462
; %bb.459:
	s_mov_b32 s27, 0
	s_mov_b32 s25, exec_lo
	v_cmpx_lt_u32_e64 v22, v194
	s_cbranch_execz .LBB1128_461
; %bb.460:
	v_add_f64 v[19:20], v[96:97], 0
	v_add_f64 v[23:24], v[118:119], 0
	v_ashrrev_i32_e32 v25, 31, v20
	v_ashrrev_i32_e32 v26, 31, v24
	v_or_b32_e32 v27, 0x80000000, v25
	v_or_b32_e32 v28, 0x80000000, v26
	v_xor_b32_e32 v19, v25, v19
	v_xor_b32_e32 v23, v26, v23
	;; [unrolled: 1-line block ×4, first 2 shown]
	v_cmp_le_u64_e64 s8, v[19:20], v[23:24]
	s_and_b32 s27, s8, exec_lo
.LBB1128_461:
	s_or_b32 exec_lo, exec_lo, s25
	s_orn2_b32 s25, s27, exec_lo
.LBB1128_462:
	s_or_b32 exec_lo, exec_lo, s26
	v_cndmask_b32_e64 v19, v21, v22, s25
	v_cndmask_b32_e64 v20, v195, v194, s25
	s_mov_b32 s27, -1
	s_mov_b32 s26, -1
	s_mov_b32 s28, exec_lo
	v_add_nc_u32_e32 v24, 1, v19
	v_add_nc_u32_e32 v20, -1, v20
	v_lshl_add_u32 v19, v19, 3, v10
	v_cndmask_b32_e64 v23, v24, v21, s25
	v_min_u32_e32 v20, v24, v20
	v_cndmask_b32_e64 v24, v22, v24, s25
	v_lshl_add_u32 v20, v20, 3, v10
	ds_read_b64 v[25:26], v20
	ds_read_b64 v[19:20], v19 offset:32768
	s_waitcnt lgkmcnt(1)
	v_cndmask_b32_e64 v81, v26, v97, s25
	v_cndmask_b32_e64 v80, v25, v96, s25
	;; [unrolled: 1-line block ×4, first 2 shown]
	v_cmpx_lt_u32_e64 v23, v195
	s_cbranch_execz .LBB1128_466
; %bb.463:
	s_mov_b32 s29, 0
	s_mov_b32 s26, exec_lo
	v_cmpx_lt_u32_e64 v24, v194
	s_cbranch_execz .LBB1128_465
; %bb.464:
	v_add_f64 v[21:22], v[80:81], 0
	v_add_f64 v[25:26], v[128:129], 0
	v_ashrrev_i32_e32 v27, 31, v22
	v_ashrrev_i32_e32 v28, 31, v26
	v_or_b32_e32 v29, 0x80000000, v27
	v_or_b32_e32 v30, 0x80000000, v28
	v_xor_b32_e32 v21, v27, v21
	v_xor_b32_e32 v25, v28, v25
	;; [unrolled: 1-line block ×4, first 2 shown]
	v_cmp_le_u64_e64 s8, v[21:22], v[25:26]
	s_and_b32 s29, s8, exec_lo
.LBB1128_465:
	s_or_b32 exec_lo, exec_lo, s26
	s_orn2_b32 s26, s29, exec_lo
.LBB1128_466:
	s_or_b32 exec_lo, exec_lo, s28
	v_cndmask_b32_e64 v21, v23, v24, s26
	v_cndmask_b32_e64 v22, v195, v194, s26
	s_mov_b32 s28, exec_lo
	v_add_nc_u32_e32 v26, 1, v21
	v_add_nc_u32_e32 v22, -1, v22
	v_lshl_add_u32 v21, v21, 3, v10
	v_cndmask_b32_e64 v25, v26, v23, s26
	v_min_u32_e32 v22, v26, v22
	v_cndmask_b32_e64 v26, v24, v26, s26
	v_lshl_add_u32 v22, v22, 3, v10
	ds_read_b64 v[27:28], v22
	ds_read_b64 v[21:22], v21 offset:32768
	s_waitcnt lgkmcnt(1)
	v_cndmask_b32_e64 v85, v28, v81, s26
	v_cndmask_b32_e64 v84, v27, v80, s26
	;; [unrolled: 1-line block ×4, first 2 shown]
	v_cmpx_lt_u32_e64 v25, v195
	s_cbranch_execz .LBB1128_470
; %bb.467:
	s_mov_b32 s29, 0
	s_mov_b32 s27, exec_lo
	v_cmpx_lt_u32_e64 v26, v194
	s_cbranch_execz .LBB1128_469
; %bb.468:
	v_add_f64 v[23:24], v[84:85], 0
	v_add_f64 v[27:28], v[130:131], 0
	v_ashrrev_i32_e32 v29, 31, v24
	v_ashrrev_i32_e32 v30, 31, v28
	v_or_b32_e32 v32, 0x80000000, v29
	v_or_b32_e32 v33, 0x80000000, v30
	v_xor_b32_e32 v23, v29, v23
	v_xor_b32_e32 v27, v30, v27
	;; [unrolled: 1-line block ×4, first 2 shown]
	v_cmp_le_u64_e64 s8, v[23:24], v[27:28]
	s_and_b32 s29, s8, exec_lo
.LBB1128_469:
	s_or_b32 exec_lo, exec_lo, s27
	s_orn2_b32 s27, s29, exec_lo
.LBB1128_470:
	s_or_b32 exec_lo, exec_lo, s28
	v_cndmask_b32_e64 v23, v25, v26, s27
	v_cndmask_b32_e64 v24, v195, v194, s27
	s_mov_b32 s29, -1
	s_mov_b32 s28, -1
	s_mov_b32 s40, exec_lo
	v_add_nc_u32_e32 v28, 1, v23
	v_add_nc_u32_e32 v24, -1, v24
	v_lshl_add_u32 v23, v23, 3, v10
	v_cndmask_b32_e64 v27, v28, v25, s27
	v_min_u32_e32 v24, v28, v24
	v_cndmask_b32_e64 v28, v26, v28, s27
	v_lshl_add_u32 v24, v24, 3, v10
	ds_read_b64 v[29:30], v24
	ds_read_b64 v[23:24], v23 offset:32768
	s_waitcnt lgkmcnt(1)
	v_cndmask_b32_e64 v71, v30, v85, s27
	v_cndmask_b32_e64 v70, v29, v84, s27
	;; [unrolled: 1-line block ×4, first 2 shown]
	v_cmpx_lt_u32_e64 v27, v195
	s_cbranch_execz .LBB1128_474
; %bb.471:
	s_mov_b32 s41, 0
	s_mov_b32 s28, exec_lo
	v_cmpx_lt_u32_e64 v28, v194
	s_cbranch_execz .LBB1128_473
; %bb.472:
	v_add_f64 v[25:26], v[70:71], 0
	v_add_f64 v[29:30], v[102:103], 0
	v_ashrrev_i32_e32 v32, 31, v26
	v_ashrrev_i32_e32 v33, 31, v30
	v_or_b32_e32 v34, 0x80000000, v32
	v_or_b32_e32 v35, 0x80000000, v33
	v_xor_b32_e32 v25, v32, v25
	v_xor_b32_e32 v29, v33, v29
	;; [unrolled: 1-line block ×4, first 2 shown]
	v_cmp_le_u64_e64 s8, v[25:26], v[29:30]
	s_and_b32 s41, s8, exec_lo
.LBB1128_473:
	s_or_b32 exec_lo, exec_lo, s28
	s_orn2_b32 s28, s41, exec_lo
.LBB1128_474:
	s_or_b32 exec_lo, exec_lo, s40
	v_cndmask_b32_e64 v25, v27, v28, s28
	v_cndmask_b32_e64 v26, v195, v194, s28
	s_mov_b32 s40, exec_lo
	v_add_nc_u32_e32 v30, 1, v25
	v_add_nc_u32_e32 v26, -1, v26
	v_lshl_add_u32 v25, v25, 3, v10
	v_cndmask_b32_e64 v29, v30, v27, s28
	v_min_u32_e32 v26, v30, v26
	v_cndmask_b32_e64 v30, v28, v30, s28
	v_lshl_add_u32 v26, v26, 3, v10
	ds_read_b64 v[32:33], v26
	ds_read_b64 v[25:26], v25 offset:32768
	s_waitcnt lgkmcnt(1)
	v_cndmask_b32_e64 v69, v33, v71, s28
	v_cndmask_b32_e64 v68, v32, v70, s28
	;; [unrolled: 1-line block ×4, first 2 shown]
	v_cmpx_lt_u32_e64 v29, v195
	s_cbranch_execz .LBB1128_478
; %bb.475:
	s_mov_b32 s41, 0
	s_mov_b32 s29, exec_lo
	v_cmpx_lt_u32_e64 v30, v194
	s_cbranch_execz .LBB1128_477
; %bb.476:
	v_add_f64 v[27:28], v[68:69], 0
	v_add_f64 v[32:33], v[132:133], 0
	v_ashrrev_i32_e32 v34, 31, v28
	v_ashrrev_i32_e32 v35, 31, v33
	v_or_b32_e32 v36, 0x80000000, v34
	v_or_b32_e32 v37, 0x80000000, v35
	v_xor_b32_e32 v27, v34, v27
	v_xor_b32_e32 v32, v35, v32
	;; [unrolled: 1-line block ×4, first 2 shown]
	v_cmp_le_u64_e64 s8, v[27:28], v[32:33]
	s_and_b32 s41, s8, exec_lo
.LBB1128_477:
	s_or_b32 exec_lo, exec_lo, s29
	s_orn2_b32 s29, s41, exec_lo
.LBB1128_478:
	s_or_b32 exec_lo, exec_lo, s40
	v_cndmask_b32_e64 v27, v29, v30, s29
	v_cndmask_b32_e64 v28, v195, v194, s29
	s_mov_b32 s41, -1
	s_mov_b32 s40, -1
	s_mov_b32 s42, exec_lo
	v_add_nc_u32_e32 v33, 1, v27
	v_add_nc_u32_e32 v28, -1, v28
	v_lshl_add_u32 v27, v27, 3, v10
	v_cndmask_b32_e64 v32, v33, v29, s29
	v_min_u32_e32 v28, v33, v28
	v_cndmask_b32_e64 v33, v30, v33, s29
	v_lshl_add_u32 v28, v28, 3, v10
	ds_read_b64 v[34:35], v28
	ds_read_b64 v[27:28], v27 offset:32768
	s_waitcnt lgkmcnt(1)
	v_cndmask_b32_e64 v65, v35, v69, s29
	v_cndmask_b32_e64 v64, v34, v68, s29
	;; [unrolled: 1-line block ×4, first 2 shown]
	v_cmpx_lt_u32_e64 v32, v195
	s_cbranch_execz .LBB1128_482
; %bb.479:
	s_mov_b32 s43, 0
	s_mov_b32 s40, exec_lo
	v_cmpx_lt_u32_e64 v33, v194
	s_cbranch_execz .LBB1128_481
; %bb.480:
	v_add_f64 v[29:30], v[64:65], 0
	v_add_f64 v[34:35], v[134:135], 0
	v_ashrrev_i32_e32 v36, 31, v30
	v_ashrrev_i32_e32 v37, 31, v35
	v_or_b32_e32 v38, 0x80000000, v36
	v_or_b32_e32 v39, 0x80000000, v37
	v_xor_b32_e32 v29, v36, v29
	v_xor_b32_e32 v34, v37, v34
	;; [unrolled: 1-line block ×4, first 2 shown]
	v_cmp_le_u64_e64 s8, v[29:30], v[34:35]
	s_and_b32 s43, s8, exec_lo
.LBB1128_481:
	s_or_b32 exec_lo, exec_lo, s40
	s_orn2_b32 s40, s43, exec_lo
.LBB1128_482:
	s_or_b32 exec_lo, exec_lo, s42
	v_cndmask_b32_e64 v29, v32, v33, s40
	v_cndmask_b32_e64 v30, v195, v194, s40
	s_mov_b32 s42, exec_lo
	v_add_nc_u32_e32 v35, 1, v29
	v_add_nc_u32_e32 v30, -1, v30
	v_lshl_add_u32 v29, v29, 3, v10
	v_cndmask_b32_e64 v34, v35, v32, s40
	v_min_u32_e32 v30, v35, v30
	v_cndmask_b32_e64 v35, v33, v35, s40
	v_lshl_add_u32 v30, v30, 3, v10
	ds_read_b64 v[36:37], v30
	ds_read_b64 v[29:30], v29 offset:32768
	s_waitcnt lgkmcnt(1)
	v_cndmask_b32_e64 v55, v37, v65, s40
	v_cndmask_b32_e64 v54, v36, v64, s40
	;; [unrolled: 1-line block ×4, first 2 shown]
	v_cmpx_lt_u32_e64 v34, v195
	s_cbranch_execz .LBB1128_486
; %bb.483:
	s_mov_b32 s43, 0
	s_mov_b32 s41, exec_lo
	v_cmpx_lt_u32_e64 v35, v194
	s_cbranch_execz .LBB1128_485
; %bb.484:
	v_add_f64 v[32:33], v[54:55], 0
	v_add_f64 v[36:37], v[144:145], 0
	v_ashrrev_i32_e32 v38, 31, v33
	v_ashrrev_i32_e32 v39, 31, v37
	v_or_b32_e32 v48, 0x80000000, v38
	v_or_b32_e32 v49, 0x80000000, v39
	v_xor_b32_e32 v32, v38, v32
	v_xor_b32_e32 v36, v39, v36
	;; [unrolled: 1-line block ×4, first 2 shown]
	v_cmp_le_u64_e64 s8, v[32:33], v[36:37]
	s_and_b32 s43, s8, exec_lo
.LBB1128_485:
	s_or_b32 exec_lo, exec_lo, s41
	s_orn2_b32 s41, s43, exec_lo
.LBB1128_486:
	s_or_b32 exec_lo, exec_lo, s42
	v_cndmask_b32_e64 v32, v34, v35, s41
	v_cndmask_b32_e64 v33, v195, v194, s41
	s_mov_b32 s43, -1
	s_mov_b32 s42, -1
	s_mov_b32 s44, exec_lo
	v_add_nc_u32_e32 v37, 1, v32
	v_add_nc_u32_e32 v33, -1, v33
	v_lshl_add_u32 v32, v32, 3, v10
	v_cndmask_b32_e64 v36, v37, v34, s41
	v_min_u32_e32 v33, v37, v33
	v_cndmask_b32_e64 v37, v35, v37, s41
	v_lshl_add_u32 v33, v33, 3, v10
	ds_read_b64 v[38:39], v33
	ds_read_b64 v[32:33], v32 offset:32768
	s_waitcnt lgkmcnt(1)
	v_cndmask_b32_e64 v101, v39, v55, s41
	v_cndmask_b32_e64 v100, v38, v54, s41
	;; [unrolled: 1-line block ×4, first 2 shown]
	v_cmpx_lt_u32_e64 v36, v195
	s_cbranch_execz .LBB1128_490
; %bb.487:
	s_mov_b32 s45, 0
	s_mov_b32 s42, exec_lo
	v_cmpx_lt_u32_e64 v37, v194
	s_cbranch_execz .LBB1128_489
; %bb.488:
	v_add_f64 v[34:35], v[100:101], 0
	v_add_f64 v[38:39], v[146:147], 0
	v_ashrrev_i32_e32 v48, 31, v35
	v_ashrrev_i32_e32 v49, 31, v39
	v_or_b32_e32 v50, 0x80000000, v48
	v_or_b32_e32 v51, 0x80000000, v49
	v_xor_b32_e32 v34, v48, v34
	v_xor_b32_e32 v38, v49, v38
	;; [unrolled: 1-line block ×4, first 2 shown]
	v_cmp_le_u64_e64 s8, v[34:35], v[38:39]
	s_and_b32 s45, s8, exec_lo
.LBB1128_489:
	s_or_b32 exec_lo, exec_lo, s42
	s_orn2_b32 s42, s45, exec_lo
.LBB1128_490:
	s_or_b32 exec_lo, exec_lo, s44
	v_cndmask_b32_e64 v34, v36, v37, s42
	v_cndmask_b32_e64 v35, v195, v194, s42
	s_mov_b32 s44, exec_lo
	v_add_nc_u32_e32 v48, 1, v34
	v_add_nc_u32_e32 v35, -1, v35
	v_lshl_add_u32 v34, v34, 3, v10
	v_cndmask_b32_e64 v36, v48, v36, s42
	v_min_u32_e32 v35, v48, v35
	v_cndmask_b32_e64 v37, v37, v48, s42
	v_lshl_add_u32 v35, v35, 3, v10
	ds_read_b64 v[38:39], v35
	ds_read_b64 v[34:35], v34 offset:32768
	s_waitcnt lgkmcnt(1)
	v_cndmask_b32_e64 v53, v39, v101, s42
	v_cndmask_b32_e64 v52, v38, v100, s42
	;; [unrolled: 1-line block ×4, first 2 shown]
	v_cmpx_lt_u32_e64 v36, v195
	s_cbranch_execz .LBB1128_494
; %bb.491:
	s_mov_b32 s45, 0
	s_mov_b32 s43, exec_lo
	v_cmpx_lt_u32_e64 v37, v194
	s_cbranch_execz .LBB1128_493
; %bb.492:
	v_add_f64 v[38:39], v[52:53], 0
	v_add_f64 v[48:49], v[148:149], 0
	v_ashrrev_i32_e32 v50, 31, v39
	v_ashrrev_i32_e32 v51, 31, v49
	v_or_b32_e32 v66, 0x80000000, v50
	v_or_b32_e32 v67, 0x80000000, v51
	v_xor_b32_e32 v38, v50, v38
	v_xor_b32_e32 v48, v51, v48
	v_xor_b32_e32 v39, v66, v39
	v_xor_b32_e32 v49, v67, v49
	v_cmp_le_u64_e64 s8, v[38:39], v[48:49]
	s_and_b32 s45, s8, exec_lo
.LBB1128_493:
	s_or_b32 exec_lo, exec_lo, s43
	s_orn2_b32 s43, s45, exec_lo
.LBB1128_494:
	s_or_b32 exec_lo, exec_lo, s44
	v_cndmask_b32_e64 v38, v36, v37, s43
	v_cndmask_b32_e64 v39, v195, v194, s43
	s_mov_b32 s45, -1
	s_mov_b32 s44, -1
	s_mov_b32 s46, exec_lo
	v_add_nc_u32_e32 v48, 1, v38
	v_add_nc_u32_e32 v39, -1, v39
	v_lshl_add_u32 v38, v38, 3, v10
	v_cndmask_b32_e64 v36, v48, v36, s43
	v_min_u32_e32 v39, v48, v39
	v_cndmask_b32_e64 v37, v37, v48, s43
	v_lshl_add_u32 v39, v39, 3, v10
	ds_read_b64 v[50:51], v39
	ds_read_b64 v[38:39], v38 offset:32768
	s_waitcnt lgkmcnt(1)
	v_cndmask_b32_e64 v49, v51, v53, s43
	v_cndmask_b32_e64 v48, v50, v52, s43
	;; [unrolled: 1-line block ×4, first 2 shown]
	v_cmpx_lt_u32_e64 v36, v195
	s_cbranch_execz .LBB1128_498
; %bb.495:
	s_mov_b32 s47, 0
	s_mov_b32 s44, exec_lo
	v_cmpx_lt_u32_e64 v37, v194
	s_cbranch_execz .LBB1128_497
; %bb.496:
	v_add_f64 v[50:51], v[48:49], 0
	v_add_f64 v[66:67], v[150:151], 0
	v_ashrrev_i32_e32 v160, 31, v51
	v_ashrrev_i32_e32 v161, 31, v67
	v_or_b32_e32 v162, 0x80000000, v160
	v_or_b32_e32 v163, 0x80000000, v161
	v_xor_b32_e32 v50, v160, v50
	v_xor_b32_e32 v66, v161, v66
	;; [unrolled: 1-line block ×4, first 2 shown]
	v_cmp_le_u64_e64 s8, v[50:51], v[66:67]
	s_and_b32 s47, s8, exec_lo
.LBB1128_497:
	s_or_b32 exec_lo, exec_lo, s44
	s_orn2_b32 s44, s47, exec_lo
.LBB1128_498:
	s_or_b32 exec_lo, exec_lo, s46
	v_cndmask_b32_e64 v50, v36, v37, s44
	v_cndmask_b32_e64 v51, v195, v194, s44
	s_mov_b32 s46, exec_lo
	v_add_nc_u32_e32 v66, 1, v50
	v_add_nc_u32_e32 v51, -1, v51
	v_lshl_add_u32 v50, v50, 3, v10
	v_cndmask_b32_e64 v160, v66, v36, s44
	v_min_u32_e32 v51, v66, v51
	v_cndmask_b32_e64 v161, v37, v66, s44
	v_lshl_add_u32 v51, v51, 3, v10
	ds_read_b64 v[162:163], v51
	ds_read_b64 v[50:51], v50 offset:32768
	s_waitcnt lgkmcnt(1)
	v_cndmask_b32_e64 v67, v163, v49, s44
	v_cndmask_b32_e64 v66, v162, v48, s44
	;; [unrolled: 1-line block ×4, first 2 shown]
	v_cmpx_lt_u32_e64 v160, v195
	s_cbranch_execz .LBB1128_502
; %bb.499:
	s_mov_b32 s47, 0
	s_mov_b32 s45, exec_lo
	v_cmpx_lt_u32_e64 v161, v194
	s_cbranch_execz .LBB1128_501
; %bb.500:
	v_add_f64 v[36:37], v[66:67], 0
	v_add_f64 v[162:163], v[164:165], 0
	v_ashrrev_i32_e32 v196, 31, v37
	v_ashrrev_i32_e32 v197, 31, v163
	v_or_b32_e32 v198, 0x80000000, v196
	v_or_b32_e32 v199, 0x80000000, v197
	v_xor_b32_e32 v36, v196, v36
	v_xor_b32_e32 v162, v197, v162
	;; [unrolled: 1-line block ×4, first 2 shown]
	v_cmp_le_u64_e64 s8, v[36:37], v[162:163]
	s_and_b32 s47, s8, exec_lo
.LBB1128_501:
	s_or_b32 exec_lo, exec_lo, s45
	s_orn2_b32 s45, s47, exec_lo
.LBB1128_502:
	s_or_b32 exec_lo, exec_lo, s46
	v_cndmask_b32_e64 v36, v160, v161, s45
	v_cndmask_b32_e64 v37, v195, v194, s45
	s_mov_b32 s46, -1
	s_mov_b32 s47, exec_lo
	v_add_nc_u32_e32 v197, 1, v36
	v_add_nc_u32_e32 v37, -1, v37
	v_lshl_add_u32 v36, v36, 3, v10
	v_cndmask_b32_e64 v196, v197, v160, s45
	v_min_u32_e32 v37, v197, v37
	v_cndmask_b32_e64 v197, v161, v197, s45
	v_lshl_add_u32 v37, v37, 3, v10
	ds_read_b64 v[162:163], v37
	ds_read_b64 v[36:37], v36 offset:32768
	s_waitcnt lgkmcnt(1)
	v_cndmask_b32_e64 v161, v163, v67, s45
	v_cndmask_b32_e64 v160, v162, v66, s45
	v_cndmask_b32_e64 v163, v165, v163, s45
	v_cndmask_b32_e64 v162, v164, v162, s45
	v_cmpx_lt_u32_e64 v196, v195
	s_cbranch_execz .LBB1128_506
; %bb.503:
	s_mov_b32 s56, 0
	s_mov_b32 s46, exec_lo
	v_cmpx_lt_u32_e64 v197, v194
	s_cbranch_execz .LBB1128_505
; %bb.504:
	v_add_f64 v[194:195], v[160:161], 0
	v_add_f64 v[198:199], v[162:163], 0
	v_ashrrev_i32_e32 v208, 31, v195
	v_ashrrev_i32_e32 v209, 31, v199
	v_or_b32_e32 v210, 0x80000000, v208
	v_or_b32_e32 v211, 0x80000000, v209
	v_xor_b32_e32 v194, v208, v194
	v_xor_b32_e32 v198, v209, v198
	;; [unrolled: 1-line block ×4, first 2 shown]
	v_cmp_le_u64_e64 s8, v[194:195], v[198:199]
	s_and_b32 s56, s8, exec_lo
.LBB1128_505:
	s_or_b32 exec_lo, exec_lo, s46
	s_orn2_b32 s46, s56, exec_lo
.LBB1128_506:
	s_or_b32 exec_lo, exec_lo, s47
	v_cndmask_b32_e64 v55, v55, v145, s41
	v_cndmask_b32_e64 v145, v196, v197, s46
	;; [unrolled: 1-line block ×6, first 2 shown]
	v_lshl_add_u32 v133, v145, 3, v10
	v_cndmask_b32_e64 v66, v66, v164, s45
	v_cndmask_b32_e64 v49, v49, v151, s44
	;; [unrolled: 1-line block ×4, first 2 shown]
	ds_read_b64 v[102:103], v133 offset:32768
	v_cndmask_b32_e64 v52, v52, v148, s43
	v_cndmask_b32_e64 v101, v101, v147, s42
	;; [unrolled: 1-line block ×23, first 2 shown]
.LBB1128_507:
	s_or_b32 exec_lo, exec_lo, s12
	v_and_b32_e32 v114, 0x100, v176
	; wave barrier
	ds_write2_b64 v31, v[8:9], v[86:87] offset1:1
	ds_write2_b64 v181, v[0:1], v[4:5] offset1:1
	ds_write2_b64 v31, v[98:99], v[82:83] offset0:2 offset1:3
	ds_write2_b64 v182, v[13:14], v[17:18] offset1:1
	ds_write2_b64 v31, v[96:97], v[80:81] offset0:4 offset1:5
	v_or_b32_e32 v112, 0x80, v114
	v_min_u32_e32 v115, v177, v167
	s_mov_b32 s9, exec_lo
	ds_write2_b64 v179, v[19:20], v[21:22] offset1:1
	ds_write2_b64 v31, v[84:85], v[70:71] offset0:6 offset1:7
	ds_write2_b64 v180, v[23:24], v[25:26] offset1:1
	ds_write2_b64 v31, v[68:69], v[64:65] offset0:8 offset1:9
	;; [unrolled: 2-line block ×3, first 2 shown]
	v_min_u32_e32 v176, v177, v112
	ds_write2_b64 v183, v[32:33], v[34:35] offset1:1
	ds_write2_b64 v31, v[52:53], v[48:49] offset0:12 offset1:13
	ds_write2_b64 v192, v[38:39], v[50:51] offset1:1
	ds_write2_b64 v31, v[66:67], v[15:16] offset0:14 offset1:15
	s_waitcnt lgkmcnt(15)
	ds_write2_b64 v193, v[36:37], v[102:103] offset1:1
	; wave barrier
	v_add_nc_u32_e32 v112, 0x80, v176
	v_sub_nc_u32_e32 v113, v176, v114
	v_min_u32_e32 v181, v177, v112
	v_min_u32_e32 v116, v115, v113
	v_lshl_add_u32 v113, v114, 3, v10
	v_sub_nc_u32_e32 v112, v181, v176
	v_sub_nc_u32_e64 v112, v115, v112 clamp
	v_cmpx_lt_u32_e64 v112, v116
	s_cbranch_execz .LBB1128_511
; %bb.508:
	v_lshlrev_b32_e32 v31, 3, v176
	v_lshlrev_b32_e32 v117, 3, v115
	s_mov_b32 s12, 0
	v_add3_u32 v31, v10, v31, v117
	s_inst_prefetch 0x1
	.p2align	6
.LBB1128_509:                           ; =>This Inner Loop Header: Depth=1
	v_add_nc_u32_e32 v117, v116, v112
	v_lshrrev_b32_e32 v119, 1, v117
	v_not_b32_e32 v117, v119
	v_lshl_add_u32 v118, v119, 3, v113
	v_lshl_add_u32 v128, v117, 3, v31
	ds_read_b64 v[117:118], v118
	ds_read_b64 v[128:129], v128
	s_waitcnt lgkmcnt(1)
	v_add_f64 v[117:118], v[117:118], 0
	s_waitcnt lgkmcnt(0)
	v_add_f64 v[128:129], v[128:129], 0
	v_ashrrev_i32_e32 v130, 31, v118
	v_ashrrev_i32_e32 v131, 31, v129
	v_or_b32_e32 v132, 0x80000000, v130
	v_or_b32_e32 v133, 0x80000000, v131
	v_xor_b32_e32 v117, v130, v117
	v_xor_b32_e32 v128, v131, v128
	;; [unrolled: 1-line block ×4, first 2 shown]
	v_cmp_gt_u64_e64 s8, v[128:129], v[117:118]
	v_add_nc_u32_e32 v117, 1, v119
	v_cndmask_b32_e64 v116, v116, v119, s8
	v_cndmask_b32_e64 v112, v117, v112, s8
	v_cmp_ge_u32_e64 s8, v112, v116
	s_or_b32 s12, s8, s12
	s_andn2_b32 exec_lo, exec_lo, s12
	s_cbranch_execnz .LBB1128_509
; %bb.510:
	s_inst_prefetch 0x2
	s_or_b32 exec_lo, exec_lo, s12
.LBB1128_511:
	s_or_b32 exec_lo, exec_lo, s9
	v_add_nc_u32_e32 v115, v176, v115
	v_add_nc_u32_e32 v31, v112, v114
	v_sub_nc_u32_e32 v114, v115, v112
	v_cmp_le_u32_e64 s8, v31, v176
	v_cmp_le_u32_e64 s9, v114, v181
	s_or_b32 s8, s8, s9
	s_and_saveexec_b32 s12, s8
	s_cbranch_execz .LBB1128_579
; %bb.512:
	v_cmp_ge_u32_e64 s8, v31, v176
	s_mov_b32 s13, exec_lo
                                        ; implicit-def: $vgpr8_vgpr9
	v_cmpx_lt_u32_e64 v31, v176
; %bb.513:
	v_lshl_add_u32 v0, v112, 3, v113
	ds_read_b64 v[8:9], v0
; %bb.514:
	s_or_b32 exec_lo, exec_lo, s13
	v_cmp_ge_u32_e64 s13, v114, v181
	s_mov_b32 s23, exec_lo
                                        ; implicit-def: $vgpr15_vgpr16
	v_cmpx_lt_u32_e64 v114, v181
; %bb.515:
	v_lshl_add_u32 v0, v114, 3, v10
	ds_read_b64 v[15:16], v0
; %bb.516:
	s_or_b32 exec_lo, exec_lo, s23
	s_nor_b32 s8, s8, s13
	s_and_saveexec_b32 s9, s8
	s_cbranch_execz .LBB1128_518
; %bb.517:
	s_waitcnt lgkmcnt(0)
	v_add_f64 v[0:1], v[15:16], 0
	v_add_f64 v[4:5], v[8:9], 0
	s_andn2_b32 s13, s13, exec_lo
	v_ashrrev_i32_e32 v13, 31, v1
	v_ashrrev_i32_e32 v14, 31, v5
	v_or_b32_e32 v17, 0x80000000, v13
	v_or_b32_e32 v18, 0x80000000, v14
	v_xor_b32_e32 v0, v13, v0
	v_xor_b32_e32 v4, v14, v4
	;; [unrolled: 1-line block ×4, first 2 shown]
	v_cmp_le_u64_e64 s8, v[0:1], v[4:5]
	s_and_b32 s8, s8, exec_lo
	s_or_b32 s13, s13, s8
.LBB1128_518:
	s_or_b32 exec_lo, exec_lo, s9
	v_cndmask_b32_e64 v0, v114, v31, s13
	v_cndmask_b32_e64 v1, v181, v176, s13
	s_mov_b32 s23, -1
	s_mov_b32 s9, -1
	s_mov_b32 s24, exec_lo
	v_add_nc_u32_e32 v14, 1, v0
	v_add_nc_u32_e32 v1, -1, v1
	v_lshl_add_u32 v0, v0, 3, v10
	v_cndmask_b32_e64 v13, v14, v114, s13
	v_min_u32_e32 v1, v14, v1
	v_cndmask_b32_e64 v14, v31, v14, s13
	v_lshl_add_u32 v1, v1, 3, v10
	ds_read_b64 v[4:5], v1
	ds_read_b64 v[0:1], v0 offset:32768
	s_waitcnt lgkmcnt(1)
	v_cndmask_b32_e64 v87, v5, v16, s13
	v_cndmask_b32_e64 v86, v4, v15, s13
	v_cndmask_b32_e64 v113, v9, v5, s13
	v_cndmask_b32_e64 v112, v8, v4, s13
	v_cmpx_lt_u32_e64 v13, v181
	s_cbranch_execz .LBB1128_522
; %bb.519:
	s_mov_b32 s25, 0
	s_mov_b32 s9, exec_lo
	v_cmpx_lt_u32_e64 v14, v176
	s_cbranch_execz .LBB1128_521
; %bb.520:
	v_add_f64 v[4:5], v[86:87], 0
	v_add_f64 v[17:18], v[112:113], 0
	v_ashrrev_i32_e32 v19, 31, v5
	v_ashrrev_i32_e32 v20, 31, v18
	v_or_b32_e32 v21, 0x80000000, v19
	v_or_b32_e32 v22, 0x80000000, v20
	v_xor_b32_e32 v4, v19, v4
	v_xor_b32_e32 v17, v20, v17
	;; [unrolled: 1-line block ×4, first 2 shown]
	v_cmp_le_u64_e64 s8, v[4:5], v[17:18]
	s_and_b32 s25, s8, exec_lo
.LBB1128_521:
	s_or_b32 exec_lo, exec_lo, s9
	s_orn2_b32 s9, s25, exec_lo
.LBB1128_522:
	s_or_b32 exec_lo, exec_lo, s24
	v_cndmask_b32_e64 v4, v13, v14, s9
	v_cndmask_b32_e64 v5, v181, v176, s9
	s_mov_b32 s24, exec_lo
	v_add_nc_u32_e32 v18, 1, v4
	v_add_nc_u32_e32 v5, -1, v5
	v_lshl_add_u32 v4, v4, 3, v10
	v_cndmask_b32_e64 v17, v18, v13, s9
	v_min_u32_e32 v5, v18, v5
	v_cndmask_b32_e64 v18, v14, v18, s9
	v_lshl_add_u32 v5, v5, 3, v10
	ds_read_b64 v[19:20], v5
	ds_read_b64 v[4:5], v4 offset:32768
	s_waitcnt lgkmcnt(1)
	v_cndmask_b32_e64 v99, v20, v87, s9
	v_cndmask_b32_e64 v98, v19, v86, s9
	;; [unrolled: 1-line block ×4, first 2 shown]
	v_cmpx_lt_u32_e64 v17, v181
	s_cbranch_execz .LBB1128_526
; %bb.523:
	s_mov_b32 s25, 0
	s_mov_b32 s23, exec_lo
	v_cmpx_lt_u32_e64 v18, v176
	s_cbranch_execz .LBB1128_525
; %bb.524:
	v_add_f64 v[13:14], v[98:99], 0
	v_add_f64 v[19:20], v[114:115], 0
	v_ashrrev_i32_e32 v21, 31, v14
	v_ashrrev_i32_e32 v22, 31, v20
	v_or_b32_e32 v23, 0x80000000, v21
	v_or_b32_e32 v24, 0x80000000, v22
	v_xor_b32_e32 v13, v21, v13
	v_xor_b32_e32 v19, v22, v19
	;; [unrolled: 1-line block ×4, first 2 shown]
	v_cmp_le_u64_e64 s8, v[13:14], v[19:20]
	s_and_b32 s25, s8, exec_lo
.LBB1128_525:
	s_or_b32 exec_lo, exec_lo, s23
	s_orn2_b32 s23, s25, exec_lo
.LBB1128_526:
	s_or_b32 exec_lo, exec_lo, s24
	v_cndmask_b32_e64 v13, v17, v18, s23
	v_cndmask_b32_e64 v14, v181, v176, s23
	s_mov_b32 s25, -1
	s_mov_b32 s24, -1
	s_mov_b32 s26, exec_lo
	v_add_nc_u32_e32 v20, 1, v13
	v_add_nc_u32_e32 v14, -1, v14
	v_lshl_add_u32 v13, v13, 3, v10
	v_cndmask_b32_e64 v19, v20, v17, s23
	v_min_u32_e32 v14, v20, v14
	v_cndmask_b32_e64 v20, v18, v20, s23
	v_lshl_add_u32 v14, v14, 3, v10
	ds_read_b64 v[21:22], v14
	ds_read_b64 v[13:14], v13 offset:32768
	s_waitcnt lgkmcnt(1)
	v_cndmask_b32_e64 v83, v22, v99, s23
	v_cndmask_b32_e64 v82, v21, v98, s23
	;; [unrolled: 1-line block ×4, first 2 shown]
	v_cmpx_lt_u32_e64 v19, v181
	s_cbranch_execz .LBB1128_530
; %bb.527:
	s_mov_b32 s27, 0
	s_mov_b32 s24, exec_lo
	v_cmpx_lt_u32_e64 v20, v176
	s_cbranch_execz .LBB1128_529
; %bb.528:
	v_add_f64 v[17:18], v[82:83], 0
	v_add_f64 v[21:22], v[116:117], 0
	v_ashrrev_i32_e32 v23, 31, v18
	v_ashrrev_i32_e32 v24, 31, v22
	v_or_b32_e32 v25, 0x80000000, v23
	v_or_b32_e32 v26, 0x80000000, v24
	v_xor_b32_e32 v17, v23, v17
	v_xor_b32_e32 v21, v24, v21
	;; [unrolled: 1-line block ×4, first 2 shown]
	v_cmp_le_u64_e64 s8, v[17:18], v[21:22]
	s_and_b32 s27, s8, exec_lo
.LBB1128_529:
	s_or_b32 exec_lo, exec_lo, s24
	s_orn2_b32 s24, s27, exec_lo
.LBB1128_530:
	s_or_b32 exec_lo, exec_lo, s26
	v_cndmask_b32_e64 v17, v19, v20, s24
	v_cndmask_b32_e64 v18, v181, v176, s24
	s_mov_b32 s26, exec_lo
	v_add_nc_u32_e32 v22, 1, v17
	v_add_nc_u32_e32 v18, -1, v18
	v_lshl_add_u32 v17, v17, 3, v10
	v_cndmask_b32_e64 v21, v22, v19, s24
	v_min_u32_e32 v18, v22, v18
	v_cndmask_b32_e64 v22, v20, v22, s24
	v_lshl_add_u32 v18, v18, 3, v10
	ds_read_b64 v[23:24], v18
	ds_read_b64 v[17:18], v17 offset:32768
	s_waitcnt lgkmcnt(1)
	v_cndmask_b32_e64 v97, v24, v83, s24
	v_cndmask_b32_e64 v96, v23, v82, s24
	;; [unrolled: 1-line block ×4, first 2 shown]
	v_cmpx_lt_u32_e64 v21, v181
	s_cbranch_execz .LBB1128_534
; %bb.531:
	s_mov_b32 s27, 0
	s_mov_b32 s25, exec_lo
	v_cmpx_lt_u32_e64 v22, v176
	s_cbranch_execz .LBB1128_533
; %bb.532:
	v_add_f64 v[19:20], v[96:97], 0
	v_add_f64 v[23:24], v[118:119], 0
	v_ashrrev_i32_e32 v25, 31, v20
	v_ashrrev_i32_e32 v26, 31, v24
	v_or_b32_e32 v27, 0x80000000, v25
	v_or_b32_e32 v28, 0x80000000, v26
	v_xor_b32_e32 v19, v25, v19
	v_xor_b32_e32 v23, v26, v23
	;; [unrolled: 1-line block ×4, first 2 shown]
	v_cmp_le_u64_e64 s8, v[19:20], v[23:24]
	s_and_b32 s27, s8, exec_lo
.LBB1128_533:
	s_or_b32 exec_lo, exec_lo, s25
	s_orn2_b32 s25, s27, exec_lo
.LBB1128_534:
	s_or_b32 exec_lo, exec_lo, s26
	v_cndmask_b32_e64 v19, v21, v22, s25
	v_cndmask_b32_e64 v20, v181, v176, s25
	s_mov_b32 s27, -1
	s_mov_b32 s26, -1
	s_mov_b32 s28, exec_lo
	v_add_nc_u32_e32 v24, 1, v19
	v_add_nc_u32_e32 v20, -1, v20
	v_lshl_add_u32 v19, v19, 3, v10
	v_cndmask_b32_e64 v23, v24, v21, s25
	v_min_u32_e32 v20, v24, v20
	v_cndmask_b32_e64 v24, v22, v24, s25
	v_lshl_add_u32 v20, v20, 3, v10
	ds_read_b64 v[25:26], v20
	ds_read_b64 v[19:20], v19 offset:32768
	s_waitcnt lgkmcnt(1)
	v_cndmask_b32_e64 v81, v26, v97, s25
	v_cndmask_b32_e64 v80, v25, v96, s25
	;; [unrolled: 1-line block ×4, first 2 shown]
	v_cmpx_lt_u32_e64 v23, v181
	s_cbranch_execz .LBB1128_538
; %bb.535:
	s_mov_b32 s29, 0
	s_mov_b32 s26, exec_lo
	v_cmpx_lt_u32_e64 v24, v176
	s_cbranch_execz .LBB1128_537
; %bb.536:
	v_add_f64 v[21:22], v[80:81], 0
	v_add_f64 v[25:26], v[128:129], 0
	v_ashrrev_i32_e32 v27, 31, v22
	v_ashrrev_i32_e32 v28, 31, v26
	v_or_b32_e32 v29, 0x80000000, v27
	v_or_b32_e32 v30, 0x80000000, v28
	v_xor_b32_e32 v21, v27, v21
	v_xor_b32_e32 v25, v28, v25
	;; [unrolled: 1-line block ×4, first 2 shown]
	v_cmp_le_u64_e64 s8, v[21:22], v[25:26]
	s_and_b32 s29, s8, exec_lo
.LBB1128_537:
	s_or_b32 exec_lo, exec_lo, s26
	s_orn2_b32 s26, s29, exec_lo
.LBB1128_538:
	s_or_b32 exec_lo, exec_lo, s28
	v_cndmask_b32_e64 v21, v23, v24, s26
	v_cndmask_b32_e64 v22, v181, v176, s26
	s_mov_b32 s28, exec_lo
	v_add_nc_u32_e32 v26, 1, v21
	v_add_nc_u32_e32 v22, -1, v22
	v_lshl_add_u32 v21, v21, 3, v10
	v_cndmask_b32_e64 v25, v26, v23, s26
	v_min_u32_e32 v22, v26, v22
	v_cndmask_b32_e64 v26, v24, v26, s26
	v_lshl_add_u32 v22, v22, 3, v10
	ds_read_b64 v[27:28], v22
	ds_read_b64 v[21:22], v21 offset:32768
	s_waitcnt lgkmcnt(1)
	v_cndmask_b32_e64 v85, v28, v81, s26
	v_cndmask_b32_e64 v84, v27, v80, s26
	;; [unrolled: 1-line block ×4, first 2 shown]
	v_cmpx_lt_u32_e64 v25, v181
	s_cbranch_execz .LBB1128_542
; %bb.539:
	s_mov_b32 s29, 0
	s_mov_b32 s27, exec_lo
	v_cmpx_lt_u32_e64 v26, v176
	s_cbranch_execz .LBB1128_541
; %bb.540:
	v_add_f64 v[23:24], v[84:85], 0
	v_add_f64 v[27:28], v[130:131], 0
	v_ashrrev_i32_e32 v29, 31, v24
	v_ashrrev_i32_e32 v30, 31, v28
	v_or_b32_e32 v31, 0x80000000, v29
	v_or_b32_e32 v32, 0x80000000, v30
	v_xor_b32_e32 v23, v29, v23
	v_xor_b32_e32 v27, v30, v27
	;; [unrolled: 1-line block ×4, first 2 shown]
	v_cmp_le_u64_e64 s8, v[23:24], v[27:28]
	s_and_b32 s29, s8, exec_lo
.LBB1128_541:
	s_or_b32 exec_lo, exec_lo, s27
	s_orn2_b32 s27, s29, exec_lo
.LBB1128_542:
	s_or_b32 exec_lo, exec_lo, s28
	v_cndmask_b32_e64 v23, v25, v26, s27
	v_cndmask_b32_e64 v24, v181, v176, s27
	s_mov_b32 s29, -1
	s_mov_b32 s28, -1
	s_mov_b32 s40, exec_lo
	v_add_nc_u32_e32 v28, 1, v23
	v_add_nc_u32_e32 v24, -1, v24
	v_lshl_add_u32 v23, v23, 3, v10
	v_cndmask_b32_e64 v27, v28, v25, s27
	v_min_u32_e32 v24, v28, v24
	v_cndmask_b32_e64 v28, v26, v28, s27
	v_lshl_add_u32 v24, v24, 3, v10
	ds_read_b64 v[29:30], v24
	ds_read_b64 v[23:24], v23 offset:32768
	s_waitcnt lgkmcnt(1)
	v_cndmask_b32_e64 v71, v30, v85, s27
	v_cndmask_b32_e64 v70, v29, v84, s27
	;; [unrolled: 1-line block ×4, first 2 shown]
	v_cmpx_lt_u32_e64 v27, v181
	s_cbranch_execz .LBB1128_546
; %bb.543:
	s_mov_b32 s41, 0
	s_mov_b32 s28, exec_lo
	v_cmpx_lt_u32_e64 v28, v176
	s_cbranch_execz .LBB1128_545
; %bb.544:
	v_add_f64 v[25:26], v[70:71], 0
	v_add_f64 v[29:30], v[102:103], 0
	v_ashrrev_i32_e32 v31, 31, v26
	v_ashrrev_i32_e32 v32, 31, v30
	v_or_b32_e32 v33, 0x80000000, v31
	v_or_b32_e32 v34, 0x80000000, v32
	v_xor_b32_e32 v25, v31, v25
	v_xor_b32_e32 v29, v32, v29
	;; [unrolled: 1-line block ×4, first 2 shown]
	v_cmp_le_u64_e64 s8, v[25:26], v[29:30]
	s_and_b32 s41, s8, exec_lo
.LBB1128_545:
	s_or_b32 exec_lo, exec_lo, s28
	s_orn2_b32 s28, s41, exec_lo
.LBB1128_546:
	s_or_b32 exec_lo, exec_lo, s40
	v_cndmask_b32_e64 v25, v27, v28, s28
	v_cndmask_b32_e64 v26, v181, v176, s28
	s_mov_b32 s40, exec_lo
	v_add_nc_u32_e32 v30, 1, v25
	v_add_nc_u32_e32 v26, -1, v26
	v_lshl_add_u32 v25, v25, 3, v10
	v_cndmask_b32_e64 v29, v30, v27, s28
	v_min_u32_e32 v26, v30, v26
	v_cndmask_b32_e64 v30, v28, v30, s28
	v_lshl_add_u32 v26, v26, 3, v10
	ds_read_b64 v[31:32], v26
	ds_read_b64 v[25:26], v25 offset:32768
	s_waitcnt lgkmcnt(1)
	v_cndmask_b32_e64 v69, v32, v71, s28
	v_cndmask_b32_e64 v68, v31, v70, s28
	;; [unrolled: 1-line block ×4, first 2 shown]
	v_cmpx_lt_u32_e64 v29, v181
	s_cbranch_execz .LBB1128_550
; %bb.547:
	s_mov_b32 s41, 0
	s_mov_b32 s29, exec_lo
	v_cmpx_lt_u32_e64 v30, v176
	s_cbranch_execz .LBB1128_549
; %bb.548:
	v_add_f64 v[27:28], v[68:69], 0
	v_add_f64 v[31:32], v[132:133], 0
	v_ashrrev_i32_e32 v33, 31, v28
	v_ashrrev_i32_e32 v34, 31, v32
	v_or_b32_e32 v35, 0x80000000, v33
	v_or_b32_e32 v36, 0x80000000, v34
	v_xor_b32_e32 v27, v33, v27
	v_xor_b32_e32 v31, v34, v31
	;; [unrolled: 1-line block ×4, first 2 shown]
	v_cmp_le_u64_e64 s8, v[27:28], v[31:32]
	s_and_b32 s41, s8, exec_lo
.LBB1128_549:
	s_or_b32 exec_lo, exec_lo, s29
	s_orn2_b32 s29, s41, exec_lo
.LBB1128_550:
	s_or_b32 exec_lo, exec_lo, s40
	v_cndmask_b32_e64 v27, v29, v30, s29
	v_cndmask_b32_e64 v28, v181, v176, s29
	s_mov_b32 s41, -1
	s_mov_b32 s40, -1
	s_mov_b32 s42, exec_lo
	v_add_nc_u32_e32 v32, 1, v27
	v_add_nc_u32_e32 v28, -1, v28
	v_lshl_add_u32 v27, v27, 3, v10
	v_cndmask_b32_e64 v31, v32, v29, s29
	v_min_u32_e32 v28, v32, v28
	v_cndmask_b32_e64 v32, v30, v32, s29
	v_lshl_add_u32 v28, v28, 3, v10
	ds_read_b64 v[33:34], v28
	ds_read_b64 v[27:28], v27 offset:32768
	s_waitcnt lgkmcnt(1)
	v_cndmask_b32_e64 v65, v34, v69, s29
	v_cndmask_b32_e64 v64, v33, v68, s29
	;; [unrolled: 1-line block ×4, first 2 shown]
	v_cmpx_lt_u32_e64 v31, v181
	s_cbranch_execz .LBB1128_554
; %bb.551:
	s_mov_b32 s43, 0
	s_mov_b32 s40, exec_lo
	v_cmpx_lt_u32_e64 v32, v176
	s_cbranch_execz .LBB1128_553
; %bb.552:
	v_add_f64 v[29:30], v[64:65], 0
	v_add_f64 v[33:34], v[134:135], 0
	v_ashrrev_i32_e32 v35, 31, v30
	v_ashrrev_i32_e32 v36, 31, v34
	v_or_b32_e32 v37, 0x80000000, v35
	v_or_b32_e32 v38, 0x80000000, v36
	v_xor_b32_e32 v29, v35, v29
	v_xor_b32_e32 v33, v36, v33
	;; [unrolled: 1-line block ×4, first 2 shown]
	v_cmp_le_u64_e64 s8, v[29:30], v[33:34]
	s_and_b32 s43, s8, exec_lo
.LBB1128_553:
	s_or_b32 exec_lo, exec_lo, s40
	s_orn2_b32 s40, s43, exec_lo
.LBB1128_554:
	s_or_b32 exec_lo, exec_lo, s42
	v_cndmask_b32_e64 v29, v31, v32, s40
	v_cndmask_b32_e64 v30, v181, v176, s40
	s_mov_b32 s42, exec_lo
	v_add_nc_u32_e32 v33, 1, v29
	v_add_nc_u32_e32 v30, -1, v30
	v_lshl_add_u32 v29, v29, 3, v10
	v_cndmask_b32_e64 v31, v33, v31, s40
	v_min_u32_e32 v30, v33, v30
	v_cndmask_b32_e64 v34, v32, v33, s40
	v_lshl_add_u32 v30, v30, 3, v10
	ds_read_b64 v[35:36], v30
	ds_read_b64 v[29:30], v29 offset:32768
	s_waitcnt lgkmcnt(1)
	v_cndmask_b32_e64 v55, v36, v65, s40
	v_cndmask_b32_e64 v54, v35, v64, s40
	;; [unrolled: 1-line block ×4, first 2 shown]
	v_cmpx_lt_u32_e64 v31, v181
	s_cbranch_execz .LBB1128_558
; %bb.555:
	s_mov_b32 s43, 0
	s_mov_b32 s41, exec_lo
	v_cmpx_lt_u32_e64 v34, v176
	s_cbranch_execz .LBB1128_557
; %bb.556:
	v_add_f64 v[32:33], v[54:55], 0
	v_add_f64 v[35:36], v[144:145], 0
	v_ashrrev_i32_e32 v37, 31, v33
	v_ashrrev_i32_e32 v38, 31, v36
	v_or_b32_e32 v39, 0x80000000, v37
	v_or_b32_e32 v48, 0x80000000, v38
	v_xor_b32_e32 v32, v37, v32
	v_xor_b32_e32 v35, v38, v35
	;; [unrolled: 1-line block ×4, first 2 shown]
	v_cmp_le_u64_e64 s8, v[32:33], v[35:36]
	s_and_b32 s43, s8, exec_lo
.LBB1128_557:
	s_or_b32 exec_lo, exec_lo, s41
	s_orn2_b32 s41, s43, exec_lo
.LBB1128_558:
	s_or_b32 exec_lo, exec_lo, s42
	v_cndmask_b32_e64 v32, v31, v34, s41
	v_cndmask_b32_e64 v33, v181, v176, s41
	s_mov_b32 s43, -1
	s_mov_b32 s42, -1
	s_mov_b32 s44, exec_lo
	v_add_nc_u32_e32 v35, 1, v32
	v_add_nc_u32_e32 v33, -1, v33
	v_lshl_add_u32 v32, v32, 3, v10
	v_cndmask_b32_e64 v31, v35, v31, s41
	v_min_u32_e32 v33, v35, v33
	v_cndmask_b32_e64 v36, v34, v35, s41
	v_lshl_add_u32 v33, v33, 3, v10
	ds_read_b64 v[37:38], v33
	ds_read_b64 v[32:33], v32 offset:32768
	s_waitcnt lgkmcnt(1)
	v_cndmask_b32_e64 v101, v38, v55, s41
	v_cndmask_b32_e64 v100, v37, v54, s41
	;; [unrolled: 1-line block ×4, first 2 shown]
	v_cmpx_lt_u32_e64 v31, v181
	s_cbranch_execz .LBB1128_562
; %bb.559:
	s_mov_b32 s45, 0
	s_mov_b32 s42, exec_lo
	v_cmpx_lt_u32_e64 v36, v176
	s_cbranch_execz .LBB1128_561
; %bb.560:
	v_add_f64 v[34:35], v[100:101], 0
	v_add_f64 v[37:38], v[146:147], 0
	v_ashrrev_i32_e32 v39, 31, v35
	v_ashrrev_i32_e32 v48, 31, v38
	v_or_b32_e32 v49, 0x80000000, v39
	v_or_b32_e32 v50, 0x80000000, v48
	v_xor_b32_e32 v34, v39, v34
	v_xor_b32_e32 v37, v48, v37
	;; [unrolled: 1-line block ×4, first 2 shown]
	v_cmp_le_u64_e64 s8, v[34:35], v[37:38]
	s_and_b32 s45, s8, exec_lo
.LBB1128_561:
	s_or_b32 exec_lo, exec_lo, s42
	s_orn2_b32 s42, s45, exec_lo
.LBB1128_562:
	s_or_b32 exec_lo, exec_lo, s44
	v_cndmask_b32_e64 v34, v31, v36, s42
	v_cndmask_b32_e64 v35, v181, v176, s42
	s_mov_b32 s44, exec_lo
	v_add_nc_u32_e32 v39, 1, v34
	v_add_nc_u32_e32 v35, -1, v35
	v_lshl_add_u32 v34, v34, 3, v10
	v_cndmask_b32_e64 v31, v39, v31, s42
	v_min_u32_e32 v35, v39, v35
	v_cndmask_b32_e64 v36, v36, v39, s42
	v_lshl_add_u32 v35, v35, 3, v10
	ds_read_b64 v[37:38], v35
	ds_read_b64 v[34:35], v34 offset:32768
	s_waitcnt lgkmcnt(1)
	v_cndmask_b32_e64 v53, v38, v101, s42
	v_cndmask_b32_e64 v52, v37, v100, s42
	;; [unrolled: 1-line block ×4, first 2 shown]
	v_cmpx_lt_u32_e64 v31, v181
	s_cbranch_execz .LBB1128_566
; %bb.563:
	s_mov_b32 s45, 0
	s_mov_b32 s43, exec_lo
	v_cmpx_lt_u32_e64 v36, v176
	s_cbranch_execz .LBB1128_565
; %bb.564:
	v_add_f64 v[37:38], v[52:53], 0
	v_add_f64 v[48:49], v[148:149], 0
	v_ashrrev_i32_e32 v39, 31, v38
	v_ashrrev_i32_e32 v50, 31, v49
	v_or_b32_e32 v51, 0x80000000, v39
	v_or_b32_e32 v66, 0x80000000, v50
	v_xor_b32_e32 v37, v39, v37
	v_xor_b32_e32 v48, v50, v48
	;; [unrolled: 1-line block ×4, first 2 shown]
	v_cmp_le_u64_e64 s8, v[37:38], v[48:49]
	s_and_b32 s45, s8, exec_lo
.LBB1128_565:
	s_or_b32 exec_lo, exec_lo, s43
	s_orn2_b32 s43, s45, exec_lo
.LBB1128_566:
	s_or_b32 exec_lo, exec_lo, s44
	v_cndmask_b32_e64 v37, v31, v36, s43
	v_cndmask_b32_e64 v38, v181, v176, s43
	s_mov_b32 s45, -1
	s_mov_b32 s44, -1
	s_mov_b32 s46, exec_lo
	v_add_nc_u32_e32 v48, 1, v37
	v_add_nc_u32_e32 v38, -1, v38
	v_lshl_add_u32 v37, v37, 3, v10
	v_cndmask_b32_e64 v31, v48, v31, s43
	v_min_u32_e32 v38, v48, v38
	v_cndmask_b32_e64 v36, v36, v48, s43
	v_lshl_add_u32 v38, v38, 3, v10
	ds_read_b64 v[50:51], v38
	ds_read_b64 v[38:39], v37 offset:32768
	s_waitcnt lgkmcnt(1)
	v_cndmask_b32_e64 v49, v51, v53, s43
	v_cndmask_b32_e64 v48, v50, v52, s43
	v_cndmask_b32_e64 v151, v149, v51, s43
	v_cndmask_b32_e64 v150, v148, v50, s43
	v_cmpx_lt_u32_e64 v31, v181
	s_cbranch_execz .LBB1128_570
; %bb.567:
	s_mov_b32 s47, 0
	s_mov_b32 s44, exec_lo
	v_cmpx_lt_u32_e64 v36, v176
	s_cbranch_execz .LBB1128_569
; %bb.568:
	v_add_f64 v[50:51], v[48:49], 0
	v_add_f64 v[66:67], v[150:151], 0
	v_ashrrev_i32_e32 v37, 31, v51
	v_ashrrev_i32_e32 v160, 31, v67
	v_or_b32_e32 v161, 0x80000000, v37
	v_or_b32_e32 v162, 0x80000000, v160
	v_xor_b32_e32 v50, v37, v50
	v_xor_b32_e32 v66, v160, v66
	;; [unrolled: 1-line block ×4, first 2 shown]
	v_cmp_le_u64_e64 s8, v[50:51], v[66:67]
	s_and_b32 s47, s8, exec_lo
.LBB1128_569:
	s_or_b32 exec_lo, exec_lo, s44
	s_orn2_b32 s44, s47, exec_lo
.LBB1128_570:
	s_or_b32 exec_lo, exec_lo, s46
	v_cndmask_b32_e64 v37, v31, v36, s44
	v_cndmask_b32_e64 v50, v181, v176, s44
	s_mov_b32 s46, exec_lo
	v_add_nc_u32_e32 v66, 1, v37
	v_add_nc_u32_e32 v50, -1, v50
	v_lshl_add_u32 v37, v37, 3, v10
	v_cndmask_b32_e64 v31, v66, v31, s44
	v_min_u32_e32 v50, v66, v50
	v_cndmask_b32_e64 v160, v36, v66, s44
	v_lshl_add_u32 v50, v50, 3, v10
	ds_read_b64 v[161:162], v50
	ds_read_b64 v[50:51], v37 offset:32768
	s_waitcnt lgkmcnt(1)
	v_cndmask_b32_e64 v67, v162, v49, s44
	v_cndmask_b32_e64 v66, v161, v48, s44
	;; [unrolled: 1-line block ×4, first 2 shown]
	v_cmpx_lt_u32_e64 v31, v181
	s_cbranch_execz .LBB1128_574
; %bb.571:
	s_mov_b32 s47, 0
	s_mov_b32 s45, exec_lo
	v_cmpx_lt_u32_e64 v160, v176
	s_cbranch_execz .LBB1128_573
; %bb.572:
	v_add_f64 v[36:37], v[66:67], 0
	v_add_f64 v[161:162], v[164:165], 0
	v_ashrrev_i32_e32 v163, 31, v37
	v_ashrrev_i32_e32 v167, 31, v162
	v_or_b32_e32 v177, 0x80000000, v163
	v_or_b32_e32 v178, 0x80000000, v167
	v_xor_b32_e32 v36, v163, v36
	v_xor_b32_e32 v161, v167, v161
	;; [unrolled: 1-line block ×4, first 2 shown]
	v_cmp_le_u64_e64 s8, v[36:37], v[161:162]
	s_and_b32 s47, s8, exec_lo
.LBB1128_573:
	s_or_b32 exec_lo, exec_lo, s45
	s_orn2_b32 s45, s47, exec_lo
.LBB1128_574:
	s_or_b32 exec_lo, exec_lo, s46
	v_cndmask_b32_e64 v36, v31, v160, s45
	v_cndmask_b32_e64 v37, v181, v176, s45
	s_mov_b32 s46, -1
	s_mov_b32 s47, exec_lo
	v_add_nc_u32_e32 v161, 1, v36
	v_add_nc_u32_e32 v37, -1, v37
	v_lshl_add_u32 v36, v36, 3, v10
	v_cndmask_b32_e64 v31, v161, v31, s45
	v_min_u32_e32 v37, v161, v37
	v_cndmask_b32_e64 v167, v160, v161, s45
	v_lshl_add_u32 v37, v37, 3, v10
	ds_read_b64 v[162:163], v37
	ds_read_b64 v[36:37], v36 offset:32768
	s_waitcnt lgkmcnt(1)
	v_cndmask_b32_e64 v161, v163, v67, s45
	v_cndmask_b32_e64 v160, v162, v66, s45
	;; [unrolled: 1-line block ×4, first 2 shown]
	v_cmpx_lt_u32_e64 v31, v181
	s_cbranch_execz .LBB1128_578
; %bb.575:
	s_mov_b32 s56, 0
	s_mov_b32 s46, exec_lo
	v_cmpx_lt_u32_e64 v167, v176
	s_cbranch_execz .LBB1128_577
; %bb.576:
	v_add_f64 v[176:177], v[160:161], 0
	v_add_f64 v[178:179], v[162:163], 0
	v_ashrrev_i32_e32 v180, 31, v177
	v_ashrrev_i32_e32 v181, 31, v179
	v_or_b32_e32 v182, 0x80000000, v180
	v_or_b32_e32 v183, 0x80000000, v181
	v_xor_b32_e32 v176, v180, v176
	v_xor_b32_e32 v178, v181, v178
	;; [unrolled: 1-line block ×4, first 2 shown]
	v_cmp_le_u64_e64 s8, v[176:177], v[178:179]
	s_and_b32 s56, s8, exec_lo
.LBB1128_577:
	s_or_b32 exec_lo, exec_lo, s46
	s_orn2_b32 s46, s56, exec_lo
.LBB1128_578:
	s_or_b32 exec_lo, exec_lo, s47
	v_cndmask_b32_e64 v31, v31, v167, s46
	v_cndmask_b32_e64 v71, v71, v103, s28
	;; [unrolled: 1-line block ×5, first 2 shown]
	v_lshl_add_u32 v10, v31, 3, v10
	v_cndmask_b32_e64 v49, v49, v151, s44
	v_cndmask_b32_e64 v48, v48, v150, s44
	;; [unrolled: 1-line block ×4, first 2 shown]
	ds_read_b64 v[102:103], v10 offset:32768
	v_cndmask_b32_e64 v101, v101, v147, s42
	v_cndmask_b32_e64 v100, v100, v146, s42
	;; [unrolled: 1-line block ×24, first 2 shown]
.LBB1128_579:
	s_or_b32 exec_lo, exec_lo, s12
	v_add_co_u32 v2, s8, v2, v11
	v_add_co_ci_u32_e64 v3, null, v3, v12, s8
	v_add_co_u32 v2, s8, v2, v166
	v_add_co_ci_u32_e64 v3, null, 0, v3, s8
	; wave barrier
	s_waitcnt lgkmcnt(0)
	s_waitcnt_vscnt null, 0x0
	s_barrier
	buffer_gl0_inv
	; wave barrier
	s_and_saveexec_b32 s8, vcc_lo
	s_cbranch_execnz .LBB1128_628
; %bb.580:
	s_or_b32 exec_lo, exec_lo, s8
	s_and_saveexec_b32 s8, s4
	s_cbranch_execnz .LBB1128_629
.LBB1128_581:
	s_or_b32 exec_lo, exec_lo, s8
	s_and_saveexec_b32 s8, s5
	s_cbranch_execnz .LBB1128_630
.LBB1128_582:
	s_or_b32 exec_lo, exec_lo, s8
	s_and_saveexec_b32 s8, s6
	s_cbranch_execnz .LBB1128_631
.LBB1128_583:
	s_or_b32 exec_lo, exec_lo, s8
	s_and_saveexec_b32 s8, s7
	s_cbranch_execnz .LBB1128_632
.LBB1128_584:
	s_or_b32 exec_lo, exec_lo, s8
	s_and_saveexec_b32 s8, s10
	s_cbranch_execnz .LBB1128_633
.LBB1128_585:
	s_or_b32 exec_lo, exec_lo, s8
	s_and_saveexec_b32 s8, s11
	s_cbranch_execnz .LBB1128_634
.LBB1128_586:
	s_or_b32 exec_lo, exec_lo, s8
	s_and_saveexec_b32 s8, s21
	s_cbranch_execnz .LBB1128_635
.LBB1128_587:
	s_or_b32 exec_lo, exec_lo, s8
	s_and_saveexec_b32 s8, s22
	s_cbranch_execnz .LBB1128_636
.LBB1128_588:
	s_or_b32 exec_lo, exec_lo, s8
	s_and_saveexec_b32 s8, s14
	s_cbranch_execnz .LBB1128_637
.LBB1128_589:
	s_or_b32 exec_lo, exec_lo, s8
	s_and_saveexec_b32 s8, s15
	s_cbranch_execnz .LBB1128_638
.LBB1128_590:
	s_or_b32 exec_lo, exec_lo, s8
	s_and_saveexec_b32 s8, s16
	s_cbranch_execnz .LBB1128_639
.LBB1128_591:
	s_or_b32 exec_lo, exec_lo, s8
	s_and_saveexec_b32 s8, s17
	s_cbranch_execnz .LBB1128_640
.LBB1128_592:
	s_or_b32 exec_lo, exec_lo, s8
	s_and_saveexec_b32 s8, s18
	s_cbranch_execnz .LBB1128_641
.LBB1128_593:
	s_or_b32 exec_lo, exec_lo, s8
	s_and_saveexec_b32 s8, s19
	s_cbranch_execnz .LBB1128_642
.LBB1128_594:
	s_or_b32 exec_lo, exec_lo, s8
	s_and_saveexec_b32 s8, s20
	s_cbranch_execz .LBB1128_596
.LBB1128_595:
	flat_store_dwordx2 v[2:3], v[15:16] offset:120
.LBB1128_596:
	s_or_b32 exec_lo, exec_lo, s8
	v_add_co_u32 v2, s8, v6, v11
	v_add_co_ci_u32_e64 v3, null, v7, v12, s8
	v_add_co_u32 v2, s8, v2, v166
	v_add_co_ci_u32_e64 v3, null, 0, v3, s8
	; wave barrier
	s_and_saveexec_b32 s8, vcc_lo
	s_cbranch_execnz .LBB1128_643
; %bb.597:
	s_or_b32 exec_lo, exec_lo, s8
	s_and_saveexec_b32 s8, s4
	s_cbranch_execnz .LBB1128_644
.LBB1128_598:
	s_or_b32 exec_lo, exec_lo, s8
	s_and_saveexec_b32 s4, s5
	s_cbranch_execnz .LBB1128_645
.LBB1128_599:
	s_or_b32 exec_lo, exec_lo, s4
	s_and_saveexec_b32 s4, s6
	s_cbranch_execnz .LBB1128_646
.LBB1128_600:
	s_or_b32 exec_lo, exec_lo, s4
	s_and_saveexec_b32 s4, s7
	s_cbranch_execnz .LBB1128_647
.LBB1128_601:
	s_or_b32 exec_lo, exec_lo, s4
	s_and_saveexec_b32 s4, s10
	s_cbranch_execnz .LBB1128_648
.LBB1128_602:
	s_or_b32 exec_lo, exec_lo, s4
	s_and_saveexec_b32 s4, s11
	s_cbranch_execnz .LBB1128_649
.LBB1128_603:
	s_or_b32 exec_lo, exec_lo, s4
	s_and_saveexec_b32 s4, s21
	s_cbranch_execnz .LBB1128_650
.LBB1128_604:
	s_or_b32 exec_lo, exec_lo, s4
	s_and_saveexec_b32 s4, s22
	s_cbranch_execnz .LBB1128_651
.LBB1128_605:
	s_or_b32 exec_lo, exec_lo, s4
	s_and_saveexec_b32 s4, s14
	s_cbranch_execnz .LBB1128_652
.LBB1128_606:
	s_or_b32 exec_lo, exec_lo, s4
	s_and_saveexec_b32 s4, s15
	s_cbranch_execnz .LBB1128_653
.LBB1128_607:
	s_or_b32 exec_lo, exec_lo, s4
	s_and_saveexec_b32 s4, s16
	s_cbranch_execnz .LBB1128_654
.LBB1128_608:
	s_or_b32 exec_lo, exec_lo, s4
	s_and_saveexec_b32 s4, s17
	s_cbranch_execnz .LBB1128_655
.LBB1128_609:
	s_or_b32 exec_lo, exec_lo, s4
	s_and_saveexec_b32 s4, s18
	s_cbranch_execnz .LBB1128_656
.LBB1128_610:
	s_or_b32 exec_lo, exec_lo, s4
	s_and_saveexec_b32 s4, s19
	s_cbranch_execnz .LBB1128_657
.LBB1128_611:
	s_or_b32 exec_lo, exec_lo, s4
	s_and_saveexec_b32 s4, s20
	s_cbranch_execnz .LBB1128_658
.LBB1128_612:
	s_or_b32 exec_lo, exec_lo, s4
	s_waitcnt lgkmcnt(0)
	s_setpc_b64 s[30:31]
.LBB1128_613:
	flat_load_dwordx2 v[0:1], v[112:113]
	s_or_b32 exec_lo, exec_lo, s23
	s_and_saveexec_b32 s23, s4
                                        ; implicit-def: $vgpr4_vgpr5
	s_cbranch_execz .LBB1128_34
.LBB1128_614:
	flat_load_dwordx2 v[4:5], v[112:113] offset:8
	s_or_b32 exec_lo, exec_lo, s23
                                        ; implicit-def: $vgpr13_vgpr14
	s_and_saveexec_b32 s23, s5
	s_cbranch_execz .LBB1128_35
.LBB1128_615:
	flat_load_dwordx2 v[13:14], v[112:113] offset:16
	s_or_b32 exec_lo, exec_lo, s23
	s_and_saveexec_b32 s23, s6
                                        ; implicit-def: $vgpr17_vgpr18
	s_cbranch_execz .LBB1128_36
.LBB1128_616:
	flat_load_dwordx2 v[17:18], v[112:113] offset:24
	s_or_b32 exec_lo, exec_lo, s23
                                        ; implicit-def: $vgpr19_vgpr20
	s_and_saveexec_b32 s23, s7
	s_cbranch_execz .LBB1128_37
.LBB1128_617:
	flat_load_dwordx2 v[19:20], v[112:113] offset:32
	s_or_b32 exec_lo, exec_lo, s23
	s_and_saveexec_b32 s23, s10
                                        ; implicit-def: $vgpr21_vgpr22
	s_cbranch_execz .LBB1128_38
.LBB1128_618:
	flat_load_dwordx2 v[21:22], v[112:113] offset:40
	s_or_b32 exec_lo, exec_lo, s23
                                        ; implicit-def: $vgpr23_vgpr24
	s_and_saveexec_b32 s23, s11
	s_cbranch_execz .LBB1128_39
.LBB1128_619:
	flat_load_dwordx2 v[23:24], v[112:113] offset:48
	s_or_b32 exec_lo, exec_lo, s23
	s_and_saveexec_b32 s23, s21
                                        ; implicit-def: $vgpr25_vgpr26
	s_cbranch_execz .LBB1128_40
.LBB1128_620:
	flat_load_dwordx2 v[25:26], v[112:113] offset:56
	s_or_b32 exec_lo, exec_lo, s23
                                        ; implicit-def: $vgpr27_vgpr28
	s_and_saveexec_b32 s23, s22
	s_cbranch_execz .LBB1128_41
.LBB1128_621:
	flat_load_dwordx2 v[27:28], v[112:113] offset:64
	s_or_b32 exec_lo, exec_lo, s23
	s_and_saveexec_b32 s23, s14
                                        ; implicit-def: $vgpr29_vgpr30
	s_cbranch_execz .LBB1128_42
.LBB1128_622:
	flat_load_dwordx2 v[29:30], v[112:113] offset:72
	s_or_b32 exec_lo, exec_lo, s23
                                        ; implicit-def: $vgpr32_vgpr33
	s_and_saveexec_b32 s23, s15
	s_cbranch_execz .LBB1128_43
.LBB1128_623:
	flat_load_dwordx2 v[32:33], v[112:113] offset:80
	s_or_b32 exec_lo, exec_lo, s23
	s_and_saveexec_b32 s23, s16
                                        ; implicit-def: $vgpr34_vgpr35
	s_cbranch_execz .LBB1128_44
.LBB1128_624:
	flat_load_dwordx2 v[34:35], v[112:113] offset:88
	s_or_b32 exec_lo, exec_lo, s23
                                        ; implicit-def: $vgpr38_vgpr39
	s_and_saveexec_b32 s23, s17
	s_cbranch_execz .LBB1128_45
.LBB1128_625:
	flat_load_dwordx2 v[38:39], v[112:113] offset:96
	s_or_b32 exec_lo, exec_lo, s23
	s_and_saveexec_b32 s23, s18
                                        ; implicit-def: $vgpr50_vgpr51
	s_cbranch_execz .LBB1128_46
.LBB1128_626:
	flat_load_dwordx2 v[50:51], v[112:113] offset:104
	s_or_b32 exec_lo, exec_lo, s23
                                        ; implicit-def: $vgpr36_vgpr37
	s_and_saveexec_b32 s23, s19
	s_cbranch_execz .LBB1128_47
.LBB1128_627:
	flat_load_dwordx2 v[36:37], v[112:113] offset:112
	s_or_b32 exec_lo, exec_lo, s23
	s_and_saveexec_b32 s23, s20
                                        ; implicit-def: $vgpr102_vgpr103
	s_cbranch_execnz .LBB1128_48
	s_branch .LBB1128_49
.LBB1128_628:
	flat_store_dwordx2 v[2:3], v[8:9]
	s_or_b32 exec_lo, exec_lo, s8
	s_and_saveexec_b32 s8, s4
	s_cbranch_execz .LBB1128_581
.LBB1128_629:
	flat_store_dwordx2 v[2:3], v[86:87] offset:8
	s_or_b32 exec_lo, exec_lo, s8
	s_and_saveexec_b32 s8, s5
	s_cbranch_execz .LBB1128_582
.LBB1128_630:
	flat_store_dwordx2 v[2:3], v[98:99] offset:16
	s_or_b32 exec_lo, exec_lo, s8
	s_and_saveexec_b32 s8, s6
	s_cbranch_execz .LBB1128_583
.LBB1128_631:
	flat_store_dwordx2 v[2:3], v[82:83] offset:24
	s_or_b32 exec_lo, exec_lo, s8
	s_and_saveexec_b32 s8, s7
	s_cbranch_execz .LBB1128_584
.LBB1128_632:
	flat_store_dwordx2 v[2:3], v[96:97] offset:32
	s_or_b32 exec_lo, exec_lo, s8
	s_and_saveexec_b32 s8, s10
	s_cbranch_execz .LBB1128_585
.LBB1128_633:
	flat_store_dwordx2 v[2:3], v[80:81] offset:40
	s_or_b32 exec_lo, exec_lo, s8
	s_and_saveexec_b32 s8, s11
	s_cbranch_execz .LBB1128_586
.LBB1128_634:
	flat_store_dwordx2 v[2:3], v[84:85] offset:48
	s_or_b32 exec_lo, exec_lo, s8
	s_and_saveexec_b32 s8, s21
	s_cbranch_execz .LBB1128_587
.LBB1128_635:
	flat_store_dwordx2 v[2:3], v[70:71] offset:56
	s_or_b32 exec_lo, exec_lo, s8
	s_and_saveexec_b32 s8, s22
	s_cbranch_execz .LBB1128_588
.LBB1128_636:
	flat_store_dwordx2 v[2:3], v[68:69] offset:64
	s_or_b32 exec_lo, exec_lo, s8
	s_and_saveexec_b32 s8, s14
	s_cbranch_execz .LBB1128_589
.LBB1128_637:
	flat_store_dwordx2 v[2:3], v[64:65] offset:72
	s_or_b32 exec_lo, exec_lo, s8
	s_and_saveexec_b32 s8, s15
	s_cbranch_execz .LBB1128_590
.LBB1128_638:
	flat_store_dwordx2 v[2:3], v[54:55] offset:80
	s_or_b32 exec_lo, exec_lo, s8
	s_and_saveexec_b32 s8, s16
	s_cbranch_execz .LBB1128_591
.LBB1128_639:
	flat_store_dwordx2 v[2:3], v[100:101] offset:88
	s_or_b32 exec_lo, exec_lo, s8
	s_and_saveexec_b32 s8, s17
	s_cbranch_execz .LBB1128_592
.LBB1128_640:
	flat_store_dwordx2 v[2:3], v[52:53] offset:96
	s_or_b32 exec_lo, exec_lo, s8
	s_and_saveexec_b32 s8, s18
	s_cbranch_execz .LBB1128_593
.LBB1128_641:
	flat_store_dwordx2 v[2:3], v[48:49] offset:104
	s_or_b32 exec_lo, exec_lo, s8
	s_and_saveexec_b32 s8, s19
	s_cbranch_execz .LBB1128_594
.LBB1128_642:
	flat_store_dwordx2 v[2:3], v[66:67] offset:112
	s_or_b32 exec_lo, exec_lo, s8
	s_and_saveexec_b32 s8, s20
	s_cbranch_execnz .LBB1128_595
	s_branch .LBB1128_596
.LBB1128_643:
	flat_store_dwordx2 v[2:3], v[0:1]
	s_or_b32 exec_lo, exec_lo, s8
	s_and_saveexec_b32 s8, s4
	s_cbranch_execz .LBB1128_598
.LBB1128_644:
	flat_store_dwordx2 v[2:3], v[4:5] offset:8
	s_or_b32 exec_lo, exec_lo, s8
	s_and_saveexec_b32 s4, s5
	s_cbranch_execz .LBB1128_599
.LBB1128_645:
	flat_store_dwordx2 v[2:3], v[13:14] offset:16
	s_or_b32 exec_lo, exec_lo, s4
	s_and_saveexec_b32 s4, s6
	s_cbranch_execz .LBB1128_600
.LBB1128_646:
	flat_store_dwordx2 v[2:3], v[17:18] offset:24
	s_or_b32 exec_lo, exec_lo, s4
	s_and_saveexec_b32 s4, s7
	s_cbranch_execz .LBB1128_601
.LBB1128_647:
	flat_store_dwordx2 v[2:3], v[19:20] offset:32
	s_or_b32 exec_lo, exec_lo, s4
	s_and_saveexec_b32 s4, s10
	s_cbranch_execz .LBB1128_602
.LBB1128_648:
	flat_store_dwordx2 v[2:3], v[21:22] offset:40
	s_or_b32 exec_lo, exec_lo, s4
	s_and_saveexec_b32 s4, s11
	s_cbranch_execz .LBB1128_603
.LBB1128_649:
	flat_store_dwordx2 v[2:3], v[23:24] offset:48
	s_or_b32 exec_lo, exec_lo, s4
	s_and_saveexec_b32 s4, s21
	s_cbranch_execz .LBB1128_604
.LBB1128_650:
	flat_store_dwordx2 v[2:3], v[25:26] offset:56
	s_or_b32 exec_lo, exec_lo, s4
	s_and_saveexec_b32 s4, s22
	s_cbranch_execz .LBB1128_605
.LBB1128_651:
	flat_store_dwordx2 v[2:3], v[27:28] offset:64
	s_or_b32 exec_lo, exec_lo, s4
	s_and_saveexec_b32 s4, s14
	s_cbranch_execz .LBB1128_606
.LBB1128_652:
	flat_store_dwordx2 v[2:3], v[29:30] offset:72
	s_or_b32 exec_lo, exec_lo, s4
	s_and_saveexec_b32 s4, s15
	s_cbranch_execz .LBB1128_607
.LBB1128_653:
	flat_store_dwordx2 v[2:3], v[32:33] offset:80
	s_or_b32 exec_lo, exec_lo, s4
	s_and_saveexec_b32 s4, s16
	s_cbranch_execz .LBB1128_608
.LBB1128_654:
	flat_store_dwordx2 v[2:3], v[34:35] offset:88
	s_or_b32 exec_lo, exec_lo, s4
	s_and_saveexec_b32 s4, s17
	s_cbranch_execz .LBB1128_609
.LBB1128_655:
	flat_store_dwordx2 v[2:3], v[38:39] offset:96
	s_or_b32 exec_lo, exec_lo, s4
	s_and_saveexec_b32 s4, s18
	s_cbranch_execz .LBB1128_610
.LBB1128_656:
	flat_store_dwordx2 v[2:3], v[50:51] offset:104
	s_or_b32 exec_lo, exec_lo, s4
	s_and_saveexec_b32 s4, s19
	s_cbranch_execz .LBB1128_611
.LBB1128_657:
	flat_store_dwordx2 v[2:3], v[36:37] offset:112
	s_or_b32 exec_lo, exec_lo, s4
	s_and_saveexec_b32 s4, s20
	s_cbranch_execz .LBB1128_612
.LBB1128_658:
	flat_store_dwordx2 v[2:3], v[102:103] offset:120
	s_or_b32 exec_lo, exec_lo, s4
	s_waitcnt lgkmcnt(0)
	s_setpc_b64 s[30:31]
.Lfunc_end1128:
	.size	_ZN7rocprim17ROCPRIM_400000_NS6detail26segmented_warp_sort_helperINS1_20WarpSortHelperConfigILj16ELj16ELj256EEEdlLi256ELb1EvE4sortIPKdPdPKlPlEEvT_T0_T1_T2_jjjjRNS5_12storage_typeE, .Lfunc_end1128-_ZN7rocprim17ROCPRIM_400000_NS6detail26segmented_warp_sort_helperINS1_20WarpSortHelperConfigILj16ELj16ELj256EEEdlLi256ELb1EvE4sortIPKdPdPKlPlEEvT_T0_T1_T2_jjjjRNS5_12storage_typeE
                                        ; -- End function
	.set .L_ZN7rocprim17ROCPRIM_400000_NS6detail26segmented_warp_sort_helperINS1_20WarpSortHelperConfigILj16ELj16ELj256EEEdlLi256ELb1EvE4sortIPKdPdPKlPlEEvT_T0_T1_T2_jjjjRNS5_12storage_typeE.num_vgpr, 212
	.set .L_ZN7rocprim17ROCPRIM_400000_NS6detail26segmented_warp_sort_helperINS1_20WarpSortHelperConfigILj16ELj16ELj256EEEdlLi256ELb1EvE4sortIPKdPdPKlPlEEvT_T0_T1_T2_jjjjRNS5_12storage_typeE.num_agpr, 0
	.set .L_ZN7rocprim17ROCPRIM_400000_NS6detail26segmented_warp_sort_helperINS1_20WarpSortHelperConfigILj16ELj16ELj256EEEdlLi256ELb1EvE4sortIPKdPdPKlPlEEvT_T0_T1_T2_jjjjRNS5_12storage_typeE.numbered_sgpr, 57
	.set .L_ZN7rocprim17ROCPRIM_400000_NS6detail26segmented_warp_sort_helperINS1_20WarpSortHelperConfigILj16ELj16ELj256EEEdlLi256ELb1EvE4sortIPKdPdPKlPlEEvT_T0_T1_T2_jjjjRNS5_12storage_typeE.num_named_barrier, 0
	.set .L_ZN7rocprim17ROCPRIM_400000_NS6detail26segmented_warp_sort_helperINS1_20WarpSortHelperConfigILj16ELj16ELj256EEEdlLi256ELb1EvE4sortIPKdPdPKlPlEEvT_T0_T1_T2_jjjjRNS5_12storage_typeE.private_seg_size, 0
	.set .L_ZN7rocprim17ROCPRIM_400000_NS6detail26segmented_warp_sort_helperINS1_20WarpSortHelperConfigILj16ELj16ELj256EEEdlLi256ELb1EvE4sortIPKdPdPKlPlEEvT_T0_T1_T2_jjjjRNS5_12storage_typeE.uses_vcc, 1
	.set .L_ZN7rocprim17ROCPRIM_400000_NS6detail26segmented_warp_sort_helperINS1_20WarpSortHelperConfigILj16ELj16ELj256EEEdlLi256ELb1EvE4sortIPKdPdPKlPlEEvT_T0_T1_T2_jjjjRNS5_12storage_typeE.uses_flat_scratch, 0
	.set .L_ZN7rocprim17ROCPRIM_400000_NS6detail26segmented_warp_sort_helperINS1_20WarpSortHelperConfigILj16ELj16ELj256EEEdlLi256ELb1EvE4sortIPKdPdPKlPlEEvT_T0_T1_T2_jjjjRNS5_12storage_typeE.has_dyn_sized_stack, 0
	.set .L_ZN7rocprim17ROCPRIM_400000_NS6detail26segmented_warp_sort_helperINS1_20WarpSortHelperConfigILj16ELj16ELj256EEEdlLi256ELb1EvE4sortIPKdPdPKlPlEEvT_T0_T1_T2_jjjjRNS5_12storage_typeE.has_recursion, 0
	.set .L_ZN7rocprim17ROCPRIM_400000_NS6detail26segmented_warp_sort_helperINS1_20WarpSortHelperConfigILj16ELj16ELj256EEEdlLi256ELb1EvE4sortIPKdPdPKlPlEEvT_T0_T1_T2_jjjjRNS5_12storage_typeE.has_indirect_call, 0
	.section	.AMDGPU.csdata,"",@progbits
; Function info:
; codeLenInByte = 35128
; TotalNumSgprs: 59
; NumVgprs: 212
; ScratchSize: 0
; MemoryBound: 0
	.section	.text._ZN7rocprim17ROCPRIM_400000_NS6detail17trampoline_kernelINS0_14default_configENS1_36segmented_radix_sort_config_selectorIdlEEZNS1_25segmented_radix_sort_implIS3_Lb1EPKdPdPKlPlN2at6native12_GLOBAL__N_18offset_tEEE10hipError_tPvRmT1_PNSt15iterator_traitsISK_E10value_typeET2_T3_PNSL_ISQ_E10value_typeET4_jRbjT5_SW_jjP12ihipStream_tbEUlT_E0_NS1_11comp_targetILNS1_3genE8ELNS1_11target_archE1030ELNS1_3gpuE2ELNS1_3repE0EEENS1_60segmented_radix_sort_warp_sort_medium_config_static_selectorELNS0_4arch9wavefront6targetE0EEEvSK_,"axG",@progbits,_ZN7rocprim17ROCPRIM_400000_NS6detail17trampoline_kernelINS0_14default_configENS1_36segmented_radix_sort_config_selectorIdlEEZNS1_25segmented_radix_sort_implIS3_Lb1EPKdPdPKlPlN2at6native12_GLOBAL__N_18offset_tEEE10hipError_tPvRmT1_PNSt15iterator_traitsISK_E10value_typeET2_T3_PNSL_ISQ_E10value_typeET4_jRbjT5_SW_jjP12ihipStream_tbEUlT_E0_NS1_11comp_targetILNS1_3genE8ELNS1_11target_archE1030ELNS1_3gpuE2ELNS1_3repE0EEENS1_60segmented_radix_sort_warp_sort_medium_config_static_selectorELNS0_4arch9wavefront6targetE0EEEvSK_,comdat
	.globl	_ZN7rocprim17ROCPRIM_400000_NS6detail17trampoline_kernelINS0_14default_configENS1_36segmented_radix_sort_config_selectorIdlEEZNS1_25segmented_radix_sort_implIS3_Lb1EPKdPdPKlPlN2at6native12_GLOBAL__N_18offset_tEEE10hipError_tPvRmT1_PNSt15iterator_traitsISK_E10value_typeET2_T3_PNSL_ISQ_E10value_typeET4_jRbjT5_SW_jjP12ihipStream_tbEUlT_E0_NS1_11comp_targetILNS1_3genE8ELNS1_11target_archE1030ELNS1_3gpuE2ELNS1_3repE0EEENS1_60segmented_radix_sort_warp_sort_medium_config_static_selectorELNS0_4arch9wavefront6targetE0EEEvSK_ ; -- Begin function _ZN7rocprim17ROCPRIM_400000_NS6detail17trampoline_kernelINS0_14default_configENS1_36segmented_radix_sort_config_selectorIdlEEZNS1_25segmented_radix_sort_implIS3_Lb1EPKdPdPKlPlN2at6native12_GLOBAL__N_18offset_tEEE10hipError_tPvRmT1_PNSt15iterator_traitsISK_E10value_typeET2_T3_PNSL_ISQ_E10value_typeET4_jRbjT5_SW_jjP12ihipStream_tbEUlT_E0_NS1_11comp_targetILNS1_3genE8ELNS1_11target_archE1030ELNS1_3gpuE2ELNS1_3repE0EEENS1_60segmented_radix_sort_warp_sort_medium_config_static_selectorELNS0_4arch9wavefront6targetE0EEEvSK_
	.p2align	8
	.type	_ZN7rocprim17ROCPRIM_400000_NS6detail17trampoline_kernelINS0_14default_configENS1_36segmented_radix_sort_config_selectorIdlEEZNS1_25segmented_radix_sort_implIS3_Lb1EPKdPdPKlPlN2at6native12_GLOBAL__N_18offset_tEEE10hipError_tPvRmT1_PNSt15iterator_traitsISK_E10value_typeET2_T3_PNSL_ISQ_E10value_typeET4_jRbjT5_SW_jjP12ihipStream_tbEUlT_E0_NS1_11comp_targetILNS1_3genE8ELNS1_11target_archE1030ELNS1_3gpuE2ELNS1_3repE0EEENS1_60segmented_radix_sort_warp_sort_medium_config_static_selectorELNS0_4arch9wavefront6targetE0EEEvSK_,@function
_ZN7rocprim17ROCPRIM_400000_NS6detail17trampoline_kernelINS0_14default_configENS1_36segmented_radix_sort_config_selectorIdlEEZNS1_25segmented_radix_sort_implIS3_Lb1EPKdPdPKlPlN2at6native12_GLOBAL__N_18offset_tEEE10hipError_tPvRmT1_PNSt15iterator_traitsISK_E10value_typeET2_T3_PNSL_ISQ_E10value_typeET4_jRbjT5_SW_jjP12ihipStream_tbEUlT_E0_NS1_11comp_targetILNS1_3genE8ELNS1_11target_archE1030ELNS1_3gpuE2ELNS1_3repE0EEENS1_60segmented_radix_sort_warp_sort_medium_config_static_selectorELNS0_4arch9wavefront6targetE0EEEvSK_: ; @_ZN7rocprim17ROCPRIM_400000_NS6detail17trampoline_kernelINS0_14default_configENS1_36segmented_radix_sort_config_selectorIdlEEZNS1_25segmented_radix_sort_implIS3_Lb1EPKdPdPKlPlN2at6native12_GLOBAL__N_18offset_tEEE10hipError_tPvRmT1_PNSt15iterator_traitsISK_E10value_typeET2_T3_PNSL_ISQ_E10value_typeET4_jRbjT5_SW_jjP12ihipStream_tbEUlT_E0_NS1_11comp_targetILNS1_3genE8ELNS1_11target_archE1030ELNS1_3gpuE2ELNS1_3repE0EEENS1_60segmented_radix_sort_warp_sort_medium_config_static_selectorELNS0_4arch9wavefront6targetE0EEEvSK_
; %bb.0:
	s_add_u32 s0, s0, s8
	s_load_dword s8, s[4:5], 0x64
	s_addc_u32 s1, s1, 0
	s_mov_b32 s32, 0
	s_waitcnt lgkmcnt(0)
	s_lshr_b32 s9, s8, 16
	s_and_b32 s8, s8, 0xffff
	v_mad_u32_u24 v3, v2, s9, v1
	s_load_dword s9, s[4:5], 0x34
	v_mad_u64_u32 v[3:4], null, v3, s8, v[0:1]
	s_mov_b32 s8, exec_lo
	v_lshrrev_b32_e32 v3, 4, v3
	v_lshl_add_u32 v3, s6, 4, v3
	s_waitcnt lgkmcnt(0)
	v_cmpx_gt_u32_e64 s9, v3
	s_cbranch_execz .LBB1129_6
; %bb.1:
	s_clause 0x1
	s_load_dwordx2 s[12:13], s[4:5], 0x38
	s_load_dwordx4 s[8:11], s[4:5], 0x40
	v_mov_b32_e32 v4, 0
	v_lshlrev_b64 v[3:4], 2, v[3:4]
	s_waitcnt lgkmcnt(0)
	v_add_co_u32 v3, vcc_lo, s12, v3
	v_add_co_ci_u32_e64 v4, null, s13, v4, vcc_lo
	global_load_dword v3, v[3:4], off
	s_waitcnt vmcnt(0)
	v_add_nc_u32_e32 v4, s9, v3
	v_add_nc_u32_e32 v3, s11, v3
	v_mul_lo_u32 v40, v4, s8
	v_mul_lo_u32 v41, v3, s10
	v_cmp_gt_u32_e32 vcc_lo, v41, v40
	s_and_b32 exec_lo, exec_lo, vcc_lo
	s_cbranch_execz .LBB1129_6
; %bb.2:
	s_clause 0x2
	s_load_dword s8, s[4:5], 0x30
	s_load_dwordx4 s[36:39], s[4:5], 0x20
	s_load_dwordx8 s[48:55], s[4:5], 0x0
	v_lshlrev_b32_e32 v43, 20, v2
	v_lshlrev_b32_e32 v44, 10, v1
	s_waitcnt lgkmcnt(0)
	s_bitcmp0_b32 s8, 0
	s_mov_b32 s8, -1
	s_cbranch_scc0 .LBB1129_4
; %bb.3:
	v_or3_b32 v31, v0, v44, v43
	v_mov_b32_e32 v42, v0
	v_mov_b32_e32 v0, s48
	;; [unrolled: 1-line block ×11, first 2 shown]
	s_add_u32 s8, s4, 0x58
	s_addc_u32 s9, s5, 0
	s_getpc_b64 s[10:11]
	s_add_u32 s10, s10, _ZN7rocprim17ROCPRIM_400000_NS6detail26segmented_warp_sort_helperINS1_20WarpSortHelperConfigILj16ELj16ELj256EEEdlLi256ELb1EvE4sortIPKdPdPKlPlEEvT_T0_T1_T2_jjjjRNS5_12storage_typeE@rel32@lo+4
	s_addc_u32 s11, s11, _ZN7rocprim17ROCPRIM_400000_NS6detail26segmented_warp_sort_helperINS1_20WarpSortHelperConfigILj16ELj16ELj256EEEdlLi256ELb1EvE4sortIPKdPdPKlPlEEvT_T0_T1_T2_jjjjRNS5_12storage_typeE@rel32@hi+12
	s_mov_b32 s12, s6
	s_mov_b32 s13, s7
	s_mov_b64 s[34:35], s[4:5]
	s_mov_b32 s33, s7
	s_mov_b32 s36, s6
	s_swappc_b64 s[30:31], s[10:11]
	v_mov_b32_e32 v0, v42
	s_mov_b32 s6, s36
	s_mov_b32 s7, s33
	s_mov_b64 s[4:5], s[34:35]
	s_mov_b32 s8, 0
.LBB1129_4:
	s_andn2_b32 vcc_lo, exec_lo, s8
	s_cbranch_vccnz .LBB1129_6
; %bb.5:
	v_or3_b32 v31, v0, v44, v43
	v_mov_b32_e32 v0, s48
	v_mov_b32_e32 v1, s49
	v_mov_b32_e32 v2, s52
	v_mov_b32_e32 v3, s53
	v_mov_b32_e32 v4, s54
	v_mov_b32_e32 v5, s55
	v_mov_b32_e32 v6, s38
	v_mov_b32_e32 v7, s39
	v_mov_b32_e32 v8, v40
	v_mov_b32_e32 v9, v41
	s_add_u32 s8, s4, 0x58
	s_addc_u32 s9, s5, 0
	s_getpc_b64 s[4:5]
	s_add_u32 s4, s4, _ZN7rocprim17ROCPRIM_400000_NS6detail26segmented_warp_sort_helperINS1_20WarpSortHelperConfigILj16ELj16ELj256EEEdlLi256ELb1EvE4sortIPKdPdPKlPlEEvT_T0_T1_T2_jjjjRNS5_12storage_typeE@rel32@lo+4
	s_addc_u32 s5, s5, _ZN7rocprim17ROCPRIM_400000_NS6detail26segmented_warp_sort_helperINS1_20WarpSortHelperConfigILj16ELj16ELj256EEEdlLi256ELb1EvE4sortIPKdPdPKlPlEEvT_T0_T1_T2_jjjjRNS5_12storage_typeE@rel32@hi+12
	s_mov_b32 s12, s6
	s_mov_b32 s13, s7
	s_swappc_b64 s[30:31], s[4:5]
.LBB1129_6:
	s_endpgm
	.section	.rodata,"a",@progbits
	.p2align	6, 0x0
	.amdhsa_kernel _ZN7rocprim17ROCPRIM_400000_NS6detail17trampoline_kernelINS0_14default_configENS1_36segmented_radix_sort_config_selectorIdlEEZNS1_25segmented_radix_sort_implIS3_Lb1EPKdPdPKlPlN2at6native12_GLOBAL__N_18offset_tEEE10hipError_tPvRmT1_PNSt15iterator_traitsISK_E10value_typeET2_T3_PNSL_ISQ_E10value_typeET4_jRbjT5_SW_jjP12ihipStream_tbEUlT_E0_NS1_11comp_targetILNS1_3genE8ELNS1_11target_archE1030ELNS1_3gpuE2ELNS1_3repE0EEENS1_60segmented_radix_sort_warp_sort_medium_config_static_selectorELNS0_4arch9wavefront6targetE0EEEvSK_
		.amdhsa_group_segment_fixed_size 65536
		.amdhsa_private_segment_fixed_size 0
		.amdhsa_kernarg_size 344
		.amdhsa_user_sgpr_count 6
		.amdhsa_user_sgpr_private_segment_buffer 1
		.amdhsa_user_sgpr_dispatch_ptr 0
		.amdhsa_user_sgpr_queue_ptr 0
		.amdhsa_user_sgpr_kernarg_segment_ptr 1
		.amdhsa_user_sgpr_dispatch_id 0
		.amdhsa_user_sgpr_flat_scratch_init 0
		.amdhsa_user_sgpr_private_segment_size 0
		.amdhsa_wavefront_size32 1
		.amdhsa_uses_dynamic_stack 0
		.amdhsa_system_sgpr_private_segment_wavefront_offset 0
		.amdhsa_system_sgpr_workgroup_id_x 1
		.amdhsa_system_sgpr_workgroup_id_y 1
		.amdhsa_system_sgpr_workgroup_id_z 0
		.amdhsa_system_sgpr_workgroup_info 0
		.amdhsa_system_vgpr_workitem_id 2
		.amdhsa_next_free_vgpr 212
		.amdhsa_next_free_sgpr 57
		.amdhsa_reserve_vcc 1
		.amdhsa_reserve_flat_scratch 0
		.amdhsa_float_round_mode_32 0
		.amdhsa_float_round_mode_16_64 0
		.amdhsa_float_denorm_mode_32 3
		.amdhsa_float_denorm_mode_16_64 3
		.amdhsa_dx10_clamp 1
		.amdhsa_ieee_mode 1
		.amdhsa_fp16_overflow 0
		.amdhsa_workgroup_processor_mode 1
		.amdhsa_memory_ordered 1
		.amdhsa_forward_progress 1
		.amdhsa_shared_vgpr_count 0
		.amdhsa_exception_fp_ieee_invalid_op 0
		.amdhsa_exception_fp_denorm_src 0
		.amdhsa_exception_fp_ieee_div_zero 0
		.amdhsa_exception_fp_ieee_overflow 0
		.amdhsa_exception_fp_ieee_underflow 0
		.amdhsa_exception_fp_ieee_inexact 0
		.amdhsa_exception_int_div_zero 0
	.end_amdhsa_kernel
	.section	.text._ZN7rocprim17ROCPRIM_400000_NS6detail17trampoline_kernelINS0_14default_configENS1_36segmented_radix_sort_config_selectorIdlEEZNS1_25segmented_radix_sort_implIS3_Lb1EPKdPdPKlPlN2at6native12_GLOBAL__N_18offset_tEEE10hipError_tPvRmT1_PNSt15iterator_traitsISK_E10value_typeET2_T3_PNSL_ISQ_E10value_typeET4_jRbjT5_SW_jjP12ihipStream_tbEUlT_E0_NS1_11comp_targetILNS1_3genE8ELNS1_11target_archE1030ELNS1_3gpuE2ELNS1_3repE0EEENS1_60segmented_radix_sort_warp_sort_medium_config_static_selectorELNS0_4arch9wavefront6targetE0EEEvSK_,"axG",@progbits,_ZN7rocprim17ROCPRIM_400000_NS6detail17trampoline_kernelINS0_14default_configENS1_36segmented_radix_sort_config_selectorIdlEEZNS1_25segmented_radix_sort_implIS3_Lb1EPKdPdPKlPlN2at6native12_GLOBAL__N_18offset_tEEE10hipError_tPvRmT1_PNSt15iterator_traitsISK_E10value_typeET2_T3_PNSL_ISQ_E10value_typeET4_jRbjT5_SW_jjP12ihipStream_tbEUlT_E0_NS1_11comp_targetILNS1_3genE8ELNS1_11target_archE1030ELNS1_3gpuE2ELNS1_3repE0EEENS1_60segmented_radix_sort_warp_sort_medium_config_static_selectorELNS0_4arch9wavefront6targetE0EEEvSK_,comdat
.Lfunc_end1129:
	.size	_ZN7rocprim17ROCPRIM_400000_NS6detail17trampoline_kernelINS0_14default_configENS1_36segmented_radix_sort_config_selectorIdlEEZNS1_25segmented_radix_sort_implIS3_Lb1EPKdPdPKlPlN2at6native12_GLOBAL__N_18offset_tEEE10hipError_tPvRmT1_PNSt15iterator_traitsISK_E10value_typeET2_T3_PNSL_ISQ_E10value_typeET4_jRbjT5_SW_jjP12ihipStream_tbEUlT_E0_NS1_11comp_targetILNS1_3genE8ELNS1_11target_archE1030ELNS1_3gpuE2ELNS1_3repE0EEENS1_60segmented_radix_sort_warp_sort_medium_config_static_selectorELNS0_4arch9wavefront6targetE0EEEvSK_, .Lfunc_end1129-_ZN7rocprim17ROCPRIM_400000_NS6detail17trampoline_kernelINS0_14default_configENS1_36segmented_radix_sort_config_selectorIdlEEZNS1_25segmented_radix_sort_implIS3_Lb1EPKdPdPKlPlN2at6native12_GLOBAL__N_18offset_tEEE10hipError_tPvRmT1_PNSt15iterator_traitsISK_E10value_typeET2_T3_PNSL_ISQ_E10value_typeET4_jRbjT5_SW_jjP12ihipStream_tbEUlT_E0_NS1_11comp_targetILNS1_3genE8ELNS1_11target_archE1030ELNS1_3gpuE2ELNS1_3repE0EEENS1_60segmented_radix_sort_warp_sort_medium_config_static_selectorELNS0_4arch9wavefront6targetE0EEEvSK_
                                        ; -- End function
	.set _ZN7rocprim17ROCPRIM_400000_NS6detail17trampoline_kernelINS0_14default_configENS1_36segmented_radix_sort_config_selectorIdlEEZNS1_25segmented_radix_sort_implIS3_Lb1EPKdPdPKlPlN2at6native12_GLOBAL__N_18offset_tEEE10hipError_tPvRmT1_PNSt15iterator_traitsISK_E10value_typeET2_T3_PNSL_ISQ_E10value_typeET4_jRbjT5_SW_jjP12ihipStream_tbEUlT_E0_NS1_11comp_targetILNS1_3genE8ELNS1_11target_archE1030ELNS1_3gpuE2ELNS1_3repE0EEENS1_60segmented_radix_sort_warp_sort_medium_config_static_selectorELNS0_4arch9wavefront6targetE0EEEvSK_.num_vgpr, max(45, .L_ZN7rocprim17ROCPRIM_400000_NS6detail26segmented_warp_sort_helperINS1_20WarpSortHelperConfigILj16ELj16ELj256EEEdlLi256ELb1EvE4sortIPKdPdPKlPlEEvT_T0_T1_T2_jjjjRNS5_12storage_typeE.num_vgpr)
	.set _ZN7rocprim17ROCPRIM_400000_NS6detail17trampoline_kernelINS0_14default_configENS1_36segmented_radix_sort_config_selectorIdlEEZNS1_25segmented_radix_sort_implIS3_Lb1EPKdPdPKlPlN2at6native12_GLOBAL__N_18offset_tEEE10hipError_tPvRmT1_PNSt15iterator_traitsISK_E10value_typeET2_T3_PNSL_ISQ_E10value_typeET4_jRbjT5_SW_jjP12ihipStream_tbEUlT_E0_NS1_11comp_targetILNS1_3genE8ELNS1_11target_archE1030ELNS1_3gpuE2ELNS1_3repE0EEENS1_60segmented_radix_sort_warp_sort_medium_config_static_selectorELNS0_4arch9wavefront6targetE0EEEvSK_.num_agpr, max(0, .L_ZN7rocprim17ROCPRIM_400000_NS6detail26segmented_warp_sort_helperINS1_20WarpSortHelperConfigILj16ELj16ELj256EEEdlLi256ELb1EvE4sortIPKdPdPKlPlEEvT_T0_T1_T2_jjjjRNS5_12storage_typeE.num_agpr)
	.set _ZN7rocprim17ROCPRIM_400000_NS6detail17trampoline_kernelINS0_14default_configENS1_36segmented_radix_sort_config_selectorIdlEEZNS1_25segmented_radix_sort_implIS3_Lb1EPKdPdPKlPlN2at6native12_GLOBAL__N_18offset_tEEE10hipError_tPvRmT1_PNSt15iterator_traitsISK_E10value_typeET2_T3_PNSL_ISQ_E10value_typeET4_jRbjT5_SW_jjP12ihipStream_tbEUlT_E0_NS1_11comp_targetILNS1_3genE8ELNS1_11target_archE1030ELNS1_3gpuE2ELNS1_3repE0EEENS1_60segmented_radix_sort_warp_sort_medium_config_static_selectorELNS0_4arch9wavefront6targetE0EEEvSK_.numbered_sgpr, max(56, .L_ZN7rocprim17ROCPRIM_400000_NS6detail26segmented_warp_sort_helperINS1_20WarpSortHelperConfigILj16ELj16ELj256EEEdlLi256ELb1EvE4sortIPKdPdPKlPlEEvT_T0_T1_T2_jjjjRNS5_12storage_typeE.numbered_sgpr)
	.set _ZN7rocprim17ROCPRIM_400000_NS6detail17trampoline_kernelINS0_14default_configENS1_36segmented_radix_sort_config_selectorIdlEEZNS1_25segmented_radix_sort_implIS3_Lb1EPKdPdPKlPlN2at6native12_GLOBAL__N_18offset_tEEE10hipError_tPvRmT1_PNSt15iterator_traitsISK_E10value_typeET2_T3_PNSL_ISQ_E10value_typeET4_jRbjT5_SW_jjP12ihipStream_tbEUlT_E0_NS1_11comp_targetILNS1_3genE8ELNS1_11target_archE1030ELNS1_3gpuE2ELNS1_3repE0EEENS1_60segmented_radix_sort_warp_sort_medium_config_static_selectorELNS0_4arch9wavefront6targetE0EEEvSK_.num_named_barrier, max(0, .L_ZN7rocprim17ROCPRIM_400000_NS6detail26segmented_warp_sort_helperINS1_20WarpSortHelperConfigILj16ELj16ELj256EEEdlLi256ELb1EvE4sortIPKdPdPKlPlEEvT_T0_T1_T2_jjjjRNS5_12storage_typeE.num_named_barrier)
	.set _ZN7rocprim17ROCPRIM_400000_NS6detail17trampoline_kernelINS0_14default_configENS1_36segmented_radix_sort_config_selectorIdlEEZNS1_25segmented_radix_sort_implIS3_Lb1EPKdPdPKlPlN2at6native12_GLOBAL__N_18offset_tEEE10hipError_tPvRmT1_PNSt15iterator_traitsISK_E10value_typeET2_T3_PNSL_ISQ_E10value_typeET4_jRbjT5_SW_jjP12ihipStream_tbEUlT_E0_NS1_11comp_targetILNS1_3genE8ELNS1_11target_archE1030ELNS1_3gpuE2ELNS1_3repE0EEENS1_60segmented_radix_sort_warp_sort_medium_config_static_selectorELNS0_4arch9wavefront6targetE0EEEvSK_.private_seg_size, 0+max(.L_ZN7rocprim17ROCPRIM_400000_NS6detail26segmented_warp_sort_helperINS1_20WarpSortHelperConfigILj16ELj16ELj256EEEdlLi256ELb1EvE4sortIPKdPdPKlPlEEvT_T0_T1_T2_jjjjRNS5_12storage_typeE.private_seg_size)
	.set _ZN7rocprim17ROCPRIM_400000_NS6detail17trampoline_kernelINS0_14default_configENS1_36segmented_radix_sort_config_selectorIdlEEZNS1_25segmented_radix_sort_implIS3_Lb1EPKdPdPKlPlN2at6native12_GLOBAL__N_18offset_tEEE10hipError_tPvRmT1_PNSt15iterator_traitsISK_E10value_typeET2_T3_PNSL_ISQ_E10value_typeET4_jRbjT5_SW_jjP12ihipStream_tbEUlT_E0_NS1_11comp_targetILNS1_3genE8ELNS1_11target_archE1030ELNS1_3gpuE2ELNS1_3repE0EEENS1_60segmented_radix_sort_warp_sort_medium_config_static_selectorELNS0_4arch9wavefront6targetE0EEEvSK_.uses_vcc, or(1, .L_ZN7rocprim17ROCPRIM_400000_NS6detail26segmented_warp_sort_helperINS1_20WarpSortHelperConfigILj16ELj16ELj256EEEdlLi256ELb1EvE4sortIPKdPdPKlPlEEvT_T0_T1_T2_jjjjRNS5_12storage_typeE.uses_vcc)
	.set _ZN7rocprim17ROCPRIM_400000_NS6detail17trampoline_kernelINS0_14default_configENS1_36segmented_radix_sort_config_selectorIdlEEZNS1_25segmented_radix_sort_implIS3_Lb1EPKdPdPKlPlN2at6native12_GLOBAL__N_18offset_tEEE10hipError_tPvRmT1_PNSt15iterator_traitsISK_E10value_typeET2_T3_PNSL_ISQ_E10value_typeET4_jRbjT5_SW_jjP12ihipStream_tbEUlT_E0_NS1_11comp_targetILNS1_3genE8ELNS1_11target_archE1030ELNS1_3gpuE2ELNS1_3repE0EEENS1_60segmented_radix_sort_warp_sort_medium_config_static_selectorELNS0_4arch9wavefront6targetE0EEEvSK_.uses_flat_scratch, or(0, .L_ZN7rocprim17ROCPRIM_400000_NS6detail26segmented_warp_sort_helperINS1_20WarpSortHelperConfigILj16ELj16ELj256EEEdlLi256ELb1EvE4sortIPKdPdPKlPlEEvT_T0_T1_T2_jjjjRNS5_12storage_typeE.uses_flat_scratch)
	.set _ZN7rocprim17ROCPRIM_400000_NS6detail17trampoline_kernelINS0_14default_configENS1_36segmented_radix_sort_config_selectorIdlEEZNS1_25segmented_radix_sort_implIS3_Lb1EPKdPdPKlPlN2at6native12_GLOBAL__N_18offset_tEEE10hipError_tPvRmT1_PNSt15iterator_traitsISK_E10value_typeET2_T3_PNSL_ISQ_E10value_typeET4_jRbjT5_SW_jjP12ihipStream_tbEUlT_E0_NS1_11comp_targetILNS1_3genE8ELNS1_11target_archE1030ELNS1_3gpuE2ELNS1_3repE0EEENS1_60segmented_radix_sort_warp_sort_medium_config_static_selectorELNS0_4arch9wavefront6targetE0EEEvSK_.has_dyn_sized_stack, or(0, .L_ZN7rocprim17ROCPRIM_400000_NS6detail26segmented_warp_sort_helperINS1_20WarpSortHelperConfigILj16ELj16ELj256EEEdlLi256ELb1EvE4sortIPKdPdPKlPlEEvT_T0_T1_T2_jjjjRNS5_12storage_typeE.has_dyn_sized_stack)
	.set _ZN7rocprim17ROCPRIM_400000_NS6detail17trampoline_kernelINS0_14default_configENS1_36segmented_radix_sort_config_selectorIdlEEZNS1_25segmented_radix_sort_implIS3_Lb1EPKdPdPKlPlN2at6native12_GLOBAL__N_18offset_tEEE10hipError_tPvRmT1_PNSt15iterator_traitsISK_E10value_typeET2_T3_PNSL_ISQ_E10value_typeET4_jRbjT5_SW_jjP12ihipStream_tbEUlT_E0_NS1_11comp_targetILNS1_3genE8ELNS1_11target_archE1030ELNS1_3gpuE2ELNS1_3repE0EEENS1_60segmented_radix_sort_warp_sort_medium_config_static_selectorELNS0_4arch9wavefront6targetE0EEEvSK_.has_recursion, or(0, .L_ZN7rocprim17ROCPRIM_400000_NS6detail26segmented_warp_sort_helperINS1_20WarpSortHelperConfigILj16ELj16ELj256EEEdlLi256ELb1EvE4sortIPKdPdPKlPlEEvT_T0_T1_T2_jjjjRNS5_12storage_typeE.has_recursion)
	.set _ZN7rocprim17ROCPRIM_400000_NS6detail17trampoline_kernelINS0_14default_configENS1_36segmented_radix_sort_config_selectorIdlEEZNS1_25segmented_radix_sort_implIS3_Lb1EPKdPdPKlPlN2at6native12_GLOBAL__N_18offset_tEEE10hipError_tPvRmT1_PNSt15iterator_traitsISK_E10value_typeET2_T3_PNSL_ISQ_E10value_typeET4_jRbjT5_SW_jjP12ihipStream_tbEUlT_E0_NS1_11comp_targetILNS1_3genE8ELNS1_11target_archE1030ELNS1_3gpuE2ELNS1_3repE0EEENS1_60segmented_radix_sort_warp_sort_medium_config_static_selectorELNS0_4arch9wavefront6targetE0EEEvSK_.has_indirect_call, or(0, .L_ZN7rocprim17ROCPRIM_400000_NS6detail26segmented_warp_sort_helperINS1_20WarpSortHelperConfigILj16ELj16ELj256EEEdlLi256ELb1EvE4sortIPKdPdPKlPlEEvT_T0_T1_T2_jjjjRNS5_12storage_typeE.has_indirect_call)
	.section	.AMDGPU.csdata,"",@progbits
; Kernel info:
; codeLenInByte = 476
; TotalNumSgprs: 59
; NumVgprs: 212
; ScratchSize: 0
; MemoryBound: 0
; FloatMode: 240
; IeeeMode: 1
; LDSByteSize: 65536 bytes/workgroup (compile time only)
; SGPRBlocks: 0
; VGPRBlocks: 26
; NumSGPRsForWavesPerEU: 59
; NumVGPRsForWavesPerEU: 212
; Occupancy: 4
; WaveLimiterHint : 0
; COMPUTE_PGM_RSRC2:SCRATCH_EN: 0
; COMPUTE_PGM_RSRC2:USER_SGPR: 6
; COMPUTE_PGM_RSRC2:TRAP_HANDLER: 0
; COMPUTE_PGM_RSRC2:TGID_X_EN: 1
; COMPUTE_PGM_RSRC2:TGID_Y_EN: 1
; COMPUTE_PGM_RSRC2:TGID_Z_EN: 0
; COMPUTE_PGM_RSRC2:TIDIG_COMP_CNT: 2
	.section	.text._ZN7rocprim17ROCPRIM_400000_NS6detail17trampoline_kernelINS0_14default_configENS1_36segmented_radix_sort_config_selectorIdlEEZNS1_25segmented_radix_sort_implIS3_Lb1EPKdPdPKlPlN2at6native12_GLOBAL__N_18offset_tEEE10hipError_tPvRmT1_PNSt15iterator_traitsISK_E10value_typeET2_T3_PNSL_ISQ_E10value_typeET4_jRbjT5_SW_jjP12ihipStream_tbEUlT_E1_NS1_11comp_targetILNS1_3genE0ELNS1_11target_archE4294967295ELNS1_3gpuE0ELNS1_3repE0EEENS1_59segmented_radix_sort_warp_sort_small_config_static_selectorELNS0_4arch9wavefront6targetE0EEEvSK_,"axG",@progbits,_ZN7rocprim17ROCPRIM_400000_NS6detail17trampoline_kernelINS0_14default_configENS1_36segmented_radix_sort_config_selectorIdlEEZNS1_25segmented_radix_sort_implIS3_Lb1EPKdPdPKlPlN2at6native12_GLOBAL__N_18offset_tEEE10hipError_tPvRmT1_PNSt15iterator_traitsISK_E10value_typeET2_T3_PNSL_ISQ_E10value_typeET4_jRbjT5_SW_jjP12ihipStream_tbEUlT_E1_NS1_11comp_targetILNS1_3genE0ELNS1_11target_archE4294967295ELNS1_3gpuE0ELNS1_3repE0EEENS1_59segmented_radix_sort_warp_sort_small_config_static_selectorELNS0_4arch9wavefront6targetE0EEEvSK_,comdat
	.globl	_ZN7rocprim17ROCPRIM_400000_NS6detail17trampoline_kernelINS0_14default_configENS1_36segmented_radix_sort_config_selectorIdlEEZNS1_25segmented_radix_sort_implIS3_Lb1EPKdPdPKlPlN2at6native12_GLOBAL__N_18offset_tEEE10hipError_tPvRmT1_PNSt15iterator_traitsISK_E10value_typeET2_T3_PNSL_ISQ_E10value_typeET4_jRbjT5_SW_jjP12ihipStream_tbEUlT_E1_NS1_11comp_targetILNS1_3genE0ELNS1_11target_archE4294967295ELNS1_3gpuE0ELNS1_3repE0EEENS1_59segmented_radix_sort_warp_sort_small_config_static_selectorELNS0_4arch9wavefront6targetE0EEEvSK_ ; -- Begin function _ZN7rocprim17ROCPRIM_400000_NS6detail17trampoline_kernelINS0_14default_configENS1_36segmented_radix_sort_config_selectorIdlEEZNS1_25segmented_radix_sort_implIS3_Lb1EPKdPdPKlPlN2at6native12_GLOBAL__N_18offset_tEEE10hipError_tPvRmT1_PNSt15iterator_traitsISK_E10value_typeET2_T3_PNSL_ISQ_E10value_typeET4_jRbjT5_SW_jjP12ihipStream_tbEUlT_E1_NS1_11comp_targetILNS1_3genE0ELNS1_11target_archE4294967295ELNS1_3gpuE0ELNS1_3repE0EEENS1_59segmented_radix_sort_warp_sort_small_config_static_selectorELNS0_4arch9wavefront6targetE0EEEvSK_
	.p2align	8
	.type	_ZN7rocprim17ROCPRIM_400000_NS6detail17trampoline_kernelINS0_14default_configENS1_36segmented_radix_sort_config_selectorIdlEEZNS1_25segmented_radix_sort_implIS3_Lb1EPKdPdPKlPlN2at6native12_GLOBAL__N_18offset_tEEE10hipError_tPvRmT1_PNSt15iterator_traitsISK_E10value_typeET2_T3_PNSL_ISQ_E10value_typeET4_jRbjT5_SW_jjP12ihipStream_tbEUlT_E1_NS1_11comp_targetILNS1_3genE0ELNS1_11target_archE4294967295ELNS1_3gpuE0ELNS1_3repE0EEENS1_59segmented_radix_sort_warp_sort_small_config_static_selectorELNS0_4arch9wavefront6targetE0EEEvSK_,@function
_ZN7rocprim17ROCPRIM_400000_NS6detail17trampoline_kernelINS0_14default_configENS1_36segmented_radix_sort_config_selectorIdlEEZNS1_25segmented_radix_sort_implIS3_Lb1EPKdPdPKlPlN2at6native12_GLOBAL__N_18offset_tEEE10hipError_tPvRmT1_PNSt15iterator_traitsISK_E10value_typeET2_T3_PNSL_ISQ_E10value_typeET4_jRbjT5_SW_jjP12ihipStream_tbEUlT_E1_NS1_11comp_targetILNS1_3genE0ELNS1_11target_archE4294967295ELNS1_3gpuE0ELNS1_3repE0EEENS1_59segmented_radix_sort_warp_sort_small_config_static_selectorELNS0_4arch9wavefront6targetE0EEEvSK_: ; @_ZN7rocprim17ROCPRIM_400000_NS6detail17trampoline_kernelINS0_14default_configENS1_36segmented_radix_sort_config_selectorIdlEEZNS1_25segmented_radix_sort_implIS3_Lb1EPKdPdPKlPlN2at6native12_GLOBAL__N_18offset_tEEE10hipError_tPvRmT1_PNSt15iterator_traitsISK_E10value_typeET2_T3_PNSL_ISQ_E10value_typeET4_jRbjT5_SW_jjP12ihipStream_tbEUlT_E1_NS1_11comp_targetILNS1_3genE0ELNS1_11target_archE4294967295ELNS1_3gpuE0ELNS1_3repE0EEENS1_59segmented_radix_sort_warp_sort_small_config_static_selectorELNS0_4arch9wavefront6targetE0EEEvSK_
; %bb.0:
	.section	.rodata,"a",@progbits
	.p2align	6, 0x0
	.amdhsa_kernel _ZN7rocprim17ROCPRIM_400000_NS6detail17trampoline_kernelINS0_14default_configENS1_36segmented_radix_sort_config_selectorIdlEEZNS1_25segmented_radix_sort_implIS3_Lb1EPKdPdPKlPlN2at6native12_GLOBAL__N_18offset_tEEE10hipError_tPvRmT1_PNSt15iterator_traitsISK_E10value_typeET2_T3_PNSL_ISQ_E10value_typeET4_jRbjT5_SW_jjP12ihipStream_tbEUlT_E1_NS1_11comp_targetILNS1_3genE0ELNS1_11target_archE4294967295ELNS1_3gpuE0ELNS1_3repE0EEENS1_59segmented_radix_sort_warp_sort_small_config_static_selectorELNS0_4arch9wavefront6targetE0EEEvSK_
		.amdhsa_group_segment_fixed_size 0
		.amdhsa_private_segment_fixed_size 0
		.amdhsa_kernarg_size 88
		.amdhsa_user_sgpr_count 6
		.amdhsa_user_sgpr_private_segment_buffer 1
		.amdhsa_user_sgpr_dispatch_ptr 0
		.amdhsa_user_sgpr_queue_ptr 0
		.amdhsa_user_sgpr_kernarg_segment_ptr 1
		.amdhsa_user_sgpr_dispatch_id 0
		.amdhsa_user_sgpr_flat_scratch_init 0
		.amdhsa_user_sgpr_private_segment_size 0
		.amdhsa_wavefront_size32 1
		.amdhsa_uses_dynamic_stack 0
		.amdhsa_system_sgpr_private_segment_wavefront_offset 0
		.amdhsa_system_sgpr_workgroup_id_x 1
		.amdhsa_system_sgpr_workgroup_id_y 0
		.amdhsa_system_sgpr_workgroup_id_z 0
		.amdhsa_system_sgpr_workgroup_info 0
		.amdhsa_system_vgpr_workitem_id 0
		.amdhsa_next_free_vgpr 1
		.amdhsa_next_free_sgpr 1
		.amdhsa_reserve_vcc 0
		.amdhsa_reserve_flat_scratch 0
		.amdhsa_float_round_mode_32 0
		.amdhsa_float_round_mode_16_64 0
		.amdhsa_float_denorm_mode_32 3
		.amdhsa_float_denorm_mode_16_64 3
		.amdhsa_dx10_clamp 1
		.amdhsa_ieee_mode 1
		.amdhsa_fp16_overflow 0
		.amdhsa_workgroup_processor_mode 1
		.amdhsa_memory_ordered 1
		.amdhsa_forward_progress 1
		.amdhsa_shared_vgpr_count 0
		.amdhsa_exception_fp_ieee_invalid_op 0
		.amdhsa_exception_fp_denorm_src 0
		.amdhsa_exception_fp_ieee_div_zero 0
		.amdhsa_exception_fp_ieee_overflow 0
		.amdhsa_exception_fp_ieee_underflow 0
		.amdhsa_exception_fp_ieee_inexact 0
		.amdhsa_exception_int_div_zero 0
	.end_amdhsa_kernel
	.section	.text._ZN7rocprim17ROCPRIM_400000_NS6detail17trampoline_kernelINS0_14default_configENS1_36segmented_radix_sort_config_selectorIdlEEZNS1_25segmented_radix_sort_implIS3_Lb1EPKdPdPKlPlN2at6native12_GLOBAL__N_18offset_tEEE10hipError_tPvRmT1_PNSt15iterator_traitsISK_E10value_typeET2_T3_PNSL_ISQ_E10value_typeET4_jRbjT5_SW_jjP12ihipStream_tbEUlT_E1_NS1_11comp_targetILNS1_3genE0ELNS1_11target_archE4294967295ELNS1_3gpuE0ELNS1_3repE0EEENS1_59segmented_radix_sort_warp_sort_small_config_static_selectorELNS0_4arch9wavefront6targetE0EEEvSK_,"axG",@progbits,_ZN7rocprim17ROCPRIM_400000_NS6detail17trampoline_kernelINS0_14default_configENS1_36segmented_radix_sort_config_selectorIdlEEZNS1_25segmented_radix_sort_implIS3_Lb1EPKdPdPKlPlN2at6native12_GLOBAL__N_18offset_tEEE10hipError_tPvRmT1_PNSt15iterator_traitsISK_E10value_typeET2_T3_PNSL_ISQ_E10value_typeET4_jRbjT5_SW_jjP12ihipStream_tbEUlT_E1_NS1_11comp_targetILNS1_3genE0ELNS1_11target_archE4294967295ELNS1_3gpuE0ELNS1_3repE0EEENS1_59segmented_radix_sort_warp_sort_small_config_static_selectorELNS0_4arch9wavefront6targetE0EEEvSK_,comdat
.Lfunc_end1130:
	.size	_ZN7rocprim17ROCPRIM_400000_NS6detail17trampoline_kernelINS0_14default_configENS1_36segmented_radix_sort_config_selectorIdlEEZNS1_25segmented_radix_sort_implIS3_Lb1EPKdPdPKlPlN2at6native12_GLOBAL__N_18offset_tEEE10hipError_tPvRmT1_PNSt15iterator_traitsISK_E10value_typeET2_T3_PNSL_ISQ_E10value_typeET4_jRbjT5_SW_jjP12ihipStream_tbEUlT_E1_NS1_11comp_targetILNS1_3genE0ELNS1_11target_archE4294967295ELNS1_3gpuE0ELNS1_3repE0EEENS1_59segmented_radix_sort_warp_sort_small_config_static_selectorELNS0_4arch9wavefront6targetE0EEEvSK_, .Lfunc_end1130-_ZN7rocprim17ROCPRIM_400000_NS6detail17trampoline_kernelINS0_14default_configENS1_36segmented_radix_sort_config_selectorIdlEEZNS1_25segmented_radix_sort_implIS3_Lb1EPKdPdPKlPlN2at6native12_GLOBAL__N_18offset_tEEE10hipError_tPvRmT1_PNSt15iterator_traitsISK_E10value_typeET2_T3_PNSL_ISQ_E10value_typeET4_jRbjT5_SW_jjP12ihipStream_tbEUlT_E1_NS1_11comp_targetILNS1_3genE0ELNS1_11target_archE4294967295ELNS1_3gpuE0ELNS1_3repE0EEENS1_59segmented_radix_sort_warp_sort_small_config_static_selectorELNS0_4arch9wavefront6targetE0EEEvSK_
                                        ; -- End function
	.set _ZN7rocprim17ROCPRIM_400000_NS6detail17trampoline_kernelINS0_14default_configENS1_36segmented_radix_sort_config_selectorIdlEEZNS1_25segmented_radix_sort_implIS3_Lb1EPKdPdPKlPlN2at6native12_GLOBAL__N_18offset_tEEE10hipError_tPvRmT1_PNSt15iterator_traitsISK_E10value_typeET2_T3_PNSL_ISQ_E10value_typeET4_jRbjT5_SW_jjP12ihipStream_tbEUlT_E1_NS1_11comp_targetILNS1_3genE0ELNS1_11target_archE4294967295ELNS1_3gpuE0ELNS1_3repE0EEENS1_59segmented_radix_sort_warp_sort_small_config_static_selectorELNS0_4arch9wavefront6targetE0EEEvSK_.num_vgpr, 0
	.set _ZN7rocprim17ROCPRIM_400000_NS6detail17trampoline_kernelINS0_14default_configENS1_36segmented_radix_sort_config_selectorIdlEEZNS1_25segmented_radix_sort_implIS3_Lb1EPKdPdPKlPlN2at6native12_GLOBAL__N_18offset_tEEE10hipError_tPvRmT1_PNSt15iterator_traitsISK_E10value_typeET2_T3_PNSL_ISQ_E10value_typeET4_jRbjT5_SW_jjP12ihipStream_tbEUlT_E1_NS1_11comp_targetILNS1_3genE0ELNS1_11target_archE4294967295ELNS1_3gpuE0ELNS1_3repE0EEENS1_59segmented_radix_sort_warp_sort_small_config_static_selectorELNS0_4arch9wavefront6targetE0EEEvSK_.num_agpr, 0
	.set _ZN7rocprim17ROCPRIM_400000_NS6detail17trampoline_kernelINS0_14default_configENS1_36segmented_radix_sort_config_selectorIdlEEZNS1_25segmented_radix_sort_implIS3_Lb1EPKdPdPKlPlN2at6native12_GLOBAL__N_18offset_tEEE10hipError_tPvRmT1_PNSt15iterator_traitsISK_E10value_typeET2_T3_PNSL_ISQ_E10value_typeET4_jRbjT5_SW_jjP12ihipStream_tbEUlT_E1_NS1_11comp_targetILNS1_3genE0ELNS1_11target_archE4294967295ELNS1_3gpuE0ELNS1_3repE0EEENS1_59segmented_radix_sort_warp_sort_small_config_static_selectorELNS0_4arch9wavefront6targetE0EEEvSK_.numbered_sgpr, 0
	.set _ZN7rocprim17ROCPRIM_400000_NS6detail17trampoline_kernelINS0_14default_configENS1_36segmented_radix_sort_config_selectorIdlEEZNS1_25segmented_radix_sort_implIS3_Lb1EPKdPdPKlPlN2at6native12_GLOBAL__N_18offset_tEEE10hipError_tPvRmT1_PNSt15iterator_traitsISK_E10value_typeET2_T3_PNSL_ISQ_E10value_typeET4_jRbjT5_SW_jjP12ihipStream_tbEUlT_E1_NS1_11comp_targetILNS1_3genE0ELNS1_11target_archE4294967295ELNS1_3gpuE0ELNS1_3repE0EEENS1_59segmented_radix_sort_warp_sort_small_config_static_selectorELNS0_4arch9wavefront6targetE0EEEvSK_.num_named_barrier, 0
	.set _ZN7rocprim17ROCPRIM_400000_NS6detail17trampoline_kernelINS0_14default_configENS1_36segmented_radix_sort_config_selectorIdlEEZNS1_25segmented_radix_sort_implIS3_Lb1EPKdPdPKlPlN2at6native12_GLOBAL__N_18offset_tEEE10hipError_tPvRmT1_PNSt15iterator_traitsISK_E10value_typeET2_T3_PNSL_ISQ_E10value_typeET4_jRbjT5_SW_jjP12ihipStream_tbEUlT_E1_NS1_11comp_targetILNS1_3genE0ELNS1_11target_archE4294967295ELNS1_3gpuE0ELNS1_3repE0EEENS1_59segmented_radix_sort_warp_sort_small_config_static_selectorELNS0_4arch9wavefront6targetE0EEEvSK_.private_seg_size, 0
	.set _ZN7rocprim17ROCPRIM_400000_NS6detail17trampoline_kernelINS0_14default_configENS1_36segmented_radix_sort_config_selectorIdlEEZNS1_25segmented_radix_sort_implIS3_Lb1EPKdPdPKlPlN2at6native12_GLOBAL__N_18offset_tEEE10hipError_tPvRmT1_PNSt15iterator_traitsISK_E10value_typeET2_T3_PNSL_ISQ_E10value_typeET4_jRbjT5_SW_jjP12ihipStream_tbEUlT_E1_NS1_11comp_targetILNS1_3genE0ELNS1_11target_archE4294967295ELNS1_3gpuE0ELNS1_3repE0EEENS1_59segmented_radix_sort_warp_sort_small_config_static_selectorELNS0_4arch9wavefront6targetE0EEEvSK_.uses_vcc, 0
	.set _ZN7rocprim17ROCPRIM_400000_NS6detail17trampoline_kernelINS0_14default_configENS1_36segmented_radix_sort_config_selectorIdlEEZNS1_25segmented_radix_sort_implIS3_Lb1EPKdPdPKlPlN2at6native12_GLOBAL__N_18offset_tEEE10hipError_tPvRmT1_PNSt15iterator_traitsISK_E10value_typeET2_T3_PNSL_ISQ_E10value_typeET4_jRbjT5_SW_jjP12ihipStream_tbEUlT_E1_NS1_11comp_targetILNS1_3genE0ELNS1_11target_archE4294967295ELNS1_3gpuE0ELNS1_3repE0EEENS1_59segmented_radix_sort_warp_sort_small_config_static_selectorELNS0_4arch9wavefront6targetE0EEEvSK_.uses_flat_scratch, 0
	.set _ZN7rocprim17ROCPRIM_400000_NS6detail17trampoline_kernelINS0_14default_configENS1_36segmented_radix_sort_config_selectorIdlEEZNS1_25segmented_radix_sort_implIS3_Lb1EPKdPdPKlPlN2at6native12_GLOBAL__N_18offset_tEEE10hipError_tPvRmT1_PNSt15iterator_traitsISK_E10value_typeET2_T3_PNSL_ISQ_E10value_typeET4_jRbjT5_SW_jjP12ihipStream_tbEUlT_E1_NS1_11comp_targetILNS1_3genE0ELNS1_11target_archE4294967295ELNS1_3gpuE0ELNS1_3repE0EEENS1_59segmented_radix_sort_warp_sort_small_config_static_selectorELNS0_4arch9wavefront6targetE0EEEvSK_.has_dyn_sized_stack, 0
	.set _ZN7rocprim17ROCPRIM_400000_NS6detail17trampoline_kernelINS0_14default_configENS1_36segmented_radix_sort_config_selectorIdlEEZNS1_25segmented_radix_sort_implIS3_Lb1EPKdPdPKlPlN2at6native12_GLOBAL__N_18offset_tEEE10hipError_tPvRmT1_PNSt15iterator_traitsISK_E10value_typeET2_T3_PNSL_ISQ_E10value_typeET4_jRbjT5_SW_jjP12ihipStream_tbEUlT_E1_NS1_11comp_targetILNS1_3genE0ELNS1_11target_archE4294967295ELNS1_3gpuE0ELNS1_3repE0EEENS1_59segmented_radix_sort_warp_sort_small_config_static_selectorELNS0_4arch9wavefront6targetE0EEEvSK_.has_recursion, 0
	.set _ZN7rocprim17ROCPRIM_400000_NS6detail17trampoline_kernelINS0_14default_configENS1_36segmented_radix_sort_config_selectorIdlEEZNS1_25segmented_radix_sort_implIS3_Lb1EPKdPdPKlPlN2at6native12_GLOBAL__N_18offset_tEEE10hipError_tPvRmT1_PNSt15iterator_traitsISK_E10value_typeET2_T3_PNSL_ISQ_E10value_typeET4_jRbjT5_SW_jjP12ihipStream_tbEUlT_E1_NS1_11comp_targetILNS1_3genE0ELNS1_11target_archE4294967295ELNS1_3gpuE0ELNS1_3repE0EEENS1_59segmented_radix_sort_warp_sort_small_config_static_selectorELNS0_4arch9wavefront6targetE0EEEvSK_.has_indirect_call, 0
	.section	.AMDGPU.csdata,"",@progbits
; Kernel info:
; codeLenInByte = 0
; TotalNumSgprs: 0
; NumVgprs: 0
; ScratchSize: 0
; MemoryBound: 0
; FloatMode: 240
; IeeeMode: 1
; LDSByteSize: 0 bytes/workgroup (compile time only)
; SGPRBlocks: 0
; VGPRBlocks: 0
; NumSGPRsForWavesPerEU: 1
; NumVGPRsForWavesPerEU: 1
; Occupancy: 16
; WaveLimiterHint : 0
; COMPUTE_PGM_RSRC2:SCRATCH_EN: 0
; COMPUTE_PGM_RSRC2:USER_SGPR: 6
; COMPUTE_PGM_RSRC2:TRAP_HANDLER: 0
; COMPUTE_PGM_RSRC2:TGID_X_EN: 1
; COMPUTE_PGM_RSRC2:TGID_Y_EN: 0
; COMPUTE_PGM_RSRC2:TGID_Z_EN: 0
; COMPUTE_PGM_RSRC2:TIDIG_COMP_CNT: 0
	.section	.text._ZN7rocprim17ROCPRIM_400000_NS6detail17trampoline_kernelINS0_14default_configENS1_36segmented_radix_sort_config_selectorIdlEEZNS1_25segmented_radix_sort_implIS3_Lb1EPKdPdPKlPlN2at6native12_GLOBAL__N_18offset_tEEE10hipError_tPvRmT1_PNSt15iterator_traitsISK_E10value_typeET2_T3_PNSL_ISQ_E10value_typeET4_jRbjT5_SW_jjP12ihipStream_tbEUlT_E1_NS1_11comp_targetILNS1_3genE5ELNS1_11target_archE942ELNS1_3gpuE9ELNS1_3repE0EEENS1_59segmented_radix_sort_warp_sort_small_config_static_selectorELNS0_4arch9wavefront6targetE0EEEvSK_,"axG",@progbits,_ZN7rocprim17ROCPRIM_400000_NS6detail17trampoline_kernelINS0_14default_configENS1_36segmented_radix_sort_config_selectorIdlEEZNS1_25segmented_radix_sort_implIS3_Lb1EPKdPdPKlPlN2at6native12_GLOBAL__N_18offset_tEEE10hipError_tPvRmT1_PNSt15iterator_traitsISK_E10value_typeET2_T3_PNSL_ISQ_E10value_typeET4_jRbjT5_SW_jjP12ihipStream_tbEUlT_E1_NS1_11comp_targetILNS1_3genE5ELNS1_11target_archE942ELNS1_3gpuE9ELNS1_3repE0EEENS1_59segmented_radix_sort_warp_sort_small_config_static_selectorELNS0_4arch9wavefront6targetE0EEEvSK_,comdat
	.globl	_ZN7rocprim17ROCPRIM_400000_NS6detail17trampoline_kernelINS0_14default_configENS1_36segmented_radix_sort_config_selectorIdlEEZNS1_25segmented_radix_sort_implIS3_Lb1EPKdPdPKlPlN2at6native12_GLOBAL__N_18offset_tEEE10hipError_tPvRmT1_PNSt15iterator_traitsISK_E10value_typeET2_T3_PNSL_ISQ_E10value_typeET4_jRbjT5_SW_jjP12ihipStream_tbEUlT_E1_NS1_11comp_targetILNS1_3genE5ELNS1_11target_archE942ELNS1_3gpuE9ELNS1_3repE0EEENS1_59segmented_radix_sort_warp_sort_small_config_static_selectorELNS0_4arch9wavefront6targetE0EEEvSK_ ; -- Begin function _ZN7rocprim17ROCPRIM_400000_NS6detail17trampoline_kernelINS0_14default_configENS1_36segmented_radix_sort_config_selectorIdlEEZNS1_25segmented_radix_sort_implIS3_Lb1EPKdPdPKlPlN2at6native12_GLOBAL__N_18offset_tEEE10hipError_tPvRmT1_PNSt15iterator_traitsISK_E10value_typeET2_T3_PNSL_ISQ_E10value_typeET4_jRbjT5_SW_jjP12ihipStream_tbEUlT_E1_NS1_11comp_targetILNS1_3genE5ELNS1_11target_archE942ELNS1_3gpuE9ELNS1_3repE0EEENS1_59segmented_radix_sort_warp_sort_small_config_static_selectorELNS0_4arch9wavefront6targetE0EEEvSK_
	.p2align	8
	.type	_ZN7rocprim17ROCPRIM_400000_NS6detail17trampoline_kernelINS0_14default_configENS1_36segmented_radix_sort_config_selectorIdlEEZNS1_25segmented_radix_sort_implIS3_Lb1EPKdPdPKlPlN2at6native12_GLOBAL__N_18offset_tEEE10hipError_tPvRmT1_PNSt15iterator_traitsISK_E10value_typeET2_T3_PNSL_ISQ_E10value_typeET4_jRbjT5_SW_jjP12ihipStream_tbEUlT_E1_NS1_11comp_targetILNS1_3genE5ELNS1_11target_archE942ELNS1_3gpuE9ELNS1_3repE0EEENS1_59segmented_radix_sort_warp_sort_small_config_static_selectorELNS0_4arch9wavefront6targetE0EEEvSK_,@function
_ZN7rocprim17ROCPRIM_400000_NS6detail17trampoline_kernelINS0_14default_configENS1_36segmented_radix_sort_config_selectorIdlEEZNS1_25segmented_radix_sort_implIS3_Lb1EPKdPdPKlPlN2at6native12_GLOBAL__N_18offset_tEEE10hipError_tPvRmT1_PNSt15iterator_traitsISK_E10value_typeET2_T3_PNSL_ISQ_E10value_typeET4_jRbjT5_SW_jjP12ihipStream_tbEUlT_E1_NS1_11comp_targetILNS1_3genE5ELNS1_11target_archE942ELNS1_3gpuE9ELNS1_3repE0EEENS1_59segmented_radix_sort_warp_sort_small_config_static_selectorELNS0_4arch9wavefront6targetE0EEEvSK_: ; @_ZN7rocprim17ROCPRIM_400000_NS6detail17trampoline_kernelINS0_14default_configENS1_36segmented_radix_sort_config_selectorIdlEEZNS1_25segmented_radix_sort_implIS3_Lb1EPKdPdPKlPlN2at6native12_GLOBAL__N_18offset_tEEE10hipError_tPvRmT1_PNSt15iterator_traitsISK_E10value_typeET2_T3_PNSL_ISQ_E10value_typeET4_jRbjT5_SW_jjP12ihipStream_tbEUlT_E1_NS1_11comp_targetILNS1_3genE5ELNS1_11target_archE942ELNS1_3gpuE9ELNS1_3repE0EEENS1_59segmented_radix_sort_warp_sort_small_config_static_selectorELNS0_4arch9wavefront6targetE0EEEvSK_
; %bb.0:
	.section	.rodata,"a",@progbits
	.p2align	6, 0x0
	.amdhsa_kernel _ZN7rocprim17ROCPRIM_400000_NS6detail17trampoline_kernelINS0_14default_configENS1_36segmented_radix_sort_config_selectorIdlEEZNS1_25segmented_radix_sort_implIS3_Lb1EPKdPdPKlPlN2at6native12_GLOBAL__N_18offset_tEEE10hipError_tPvRmT1_PNSt15iterator_traitsISK_E10value_typeET2_T3_PNSL_ISQ_E10value_typeET4_jRbjT5_SW_jjP12ihipStream_tbEUlT_E1_NS1_11comp_targetILNS1_3genE5ELNS1_11target_archE942ELNS1_3gpuE9ELNS1_3repE0EEENS1_59segmented_radix_sort_warp_sort_small_config_static_selectorELNS0_4arch9wavefront6targetE0EEEvSK_
		.amdhsa_group_segment_fixed_size 0
		.amdhsa_private_segment_fixed_size 0
		.amdhsa_kernarg_size 88
		.amdhsa_user_sgpr_count 6
		.amdhsa_user_sgpr_private_segment_buffer 1
		.amdhsa_user_sgpr_dispatch_ptr 0
		.amdhsa_user_sgpr_queue_ptr 0
		.amdhsa_user_sgpr_kernarg_segment_ptr 1
		.amdhsa_user_sgpr_dispatch_id 0
		.amdhsa_user_sgpr_flat_scratch_init 0
		.amdhsa_user_sgpr_private_segment_size 0
		.amdhsa_wavefront_size32 1
		.amdhsa_uses_dynamic_stack 0
		.amdhsa_system_sgpr_private_segment_wavefront_offset 0
		.amdhsa_system_sgpr_workgroup_id_x 1
		.amdhsa_system_sgpr_workgroup_id_y 0
		.amdhsa_system_sgpr_workgroup_id_z 0
		.amdhsa_system_sgpr_workgroup_info 0
		.amdhsa_system_vgpr_workitem_id 0
		.amdhsa_next_free_vgpr 1
		.amdhsa_next_free_sgpr 1
		.amdhsa_reserve_vcc 0
		.amdhsa_reserve_flat_scratch 0
		.amdhsa_float_round_mode_32 0
		.amdhsa_float_round_mode_16_64 0
		.amdhsa_float_denorm_mode_32 3
		.amdhsa_float_denorm_mode_16_64 3
		.amdhsa_dx10_clamp 1
		.amdhsa_ieee_mode 1
		.amdhsa_fp16_overflow 0
		.amdhsa_workgroup_processor_mode 1
		.amdhsa_memory_ordered 1
		.amdhsa_forward_progress 1
		.amdhsa_shared_vgpr_count 0
		.amdhsa_exception_fp_ieee_invalid_op 0
		.amdhsa_exception_fp_denorm_src 0
		.amdhsa_exception_fp_ieee_div_zero 0
		.amdhsa_exception_fp_ieee_overflow 0
		.amdhsa_exception_fp_ieee_underflow 0
		.amdhsa_exception_fp_ieee_inexact 0
		.amdhsa_exception_int_div_zero 0
	.end_amdhsa_kernel
	.section	.text._ZN7rocprim17ROCPRIM_400000_NS6detail17trampoline_kernelINS0_14default_configENS1_36segmented_radix_sort_config_selectorIdlEEZNS1_25segmented_radix_sort_implIS3_Lb1EPKdPdPKlPlN2at6native12_GLOBAL__N_18offset_tEEE10hipError_tPvRmT1_PNSt15iterator_traitsISK_E10value_typeET2_T3_PNSL_ISQ_E10value_typeET4_jRbjT5_SW_jjP12ihipStream_tbEUlT_E1_NS1_11comp_targetILNS1_3genE5ELNS1_11target_archE942ELNS1_3gpuE9ELNS1_3repE0EEENS1_59segmented_radix_sort_warp_sort_small_config_static_selectorELNS0_4arch9wavefront6targetE0EEEvSK_,"axG",@progbits,_ZN7rocprim17ROCPRIM_400000_NS6detail17trampoline_kernelINS0_14default_configENS1_36segmented_radix_sort_config_selectorIdlEEZNS1_25segmented_radix_sort_implIS3_Lb1EPKdPdPKlPlN2at6native12_GLOBAL__N_18offset_tEEE10hipError_tPvRmT1_PNSt15iterator_traitsISK_E10value_typeET2_T3_PNSL_ISQ_E10value_typeET4_jRbjT5_SW_jjP12ihipStream_tbEUlT_E1_NS1_11comp_targetILNS1_3genE5ELNS1_11target_archE942ELNS1_3gpuE9ELNS1_3repE0EEENS1_59segmented_radix_sort_warp_sort_small_config_static_selectorELNS0_4arch9wavefront6targetE0EEEvSK_,comdat
.Lfunc_end1131:
	.size	_ZN7rocprim17ROCPRIM_400000_NS6detail17trampoline_kernelINS0_14default_configENS1_36segmented_radix_sort_config_selectorIdlEEZNS1_25segmented_radix_sort_implIS3_Lb1EPKdPdPKlPlN2at6native12_GLOBAL__N_18offset_tEEE10hipError_tPvRmT1_PNSt15iterator_traitsISK_E10value_typeET2_T3_PNSL_ISQ_E10value_typeET4_jRbjT5_SW_jjP12ihipStream_tbEUlT_E1_NS1_11comp_targetILNS1_3genE5ELNS1_11target_archE942ELNS1_3gpuE9ELNS1_3repE0EEENS1_59segmented_radix_sort_warp_sort_small_config_static_selectorELNS0_4arch9wavefront6targetE0EEEvSK_, .Lfunc_end1131-_ZN7rocprim17ROCPRIM_400000_NS6detail17trampoline_kernelINS0_14default_configENS1_36segmented_radix_sort_config_selectorIdlEEZNS1_25segmented_radix_sort_implIS3_Lb1EPKdPdPKlPlN2at6native12_GLOBAL__N_18offset_tEEE10hipError_tPvRmT1_PNSt15iterator_traitsISK_E10value_typeET2_T3_PNSL_ISQ_E10value_typeET4_jRbjT5_SW_jjP12ihipStream_tbEUlT_E1_NS1_11comp_targetILNS1_3genE5ELNS1_11target_archE942ELNS1_3gpuE9ELNS1_3repE0EEENS1_59segmented_radix_sort_warp_sort_small_config_static_selectorELNS0_4arch9wavefront6targetE0EEEvSK_
                                        ; -- End function
	.set _ZN7rocprim17ROCPRIM_400000_NS6detail17trampoline_kernelINS0_14default_configENS1_36segmented_radix_sort_config_selectorIdlEEZNS1_25segmented_radix_sort_implIS3_Lb1EPKdPdPKlPlN2at6native12_GLOBAL__N_18offset_tEEE10hipError_tPvRmT1_PNSt15iterator_traitsISK_E10value_typeET2_T3_PNSL_ISQ_E10value_typeET4_jRbjT5_SW_jjP12ihipStream_tbEUlT_E1_NS1_11comp_targetILNS1_3genE5ELNS1_11target_archE942ELNS1_3gpuE9ELNS1_3repE0EEENS1_59segmented_radix_sort_warp_sort_small_config_static_selectorELNS0_4arch9wavefront6targetE0EEEvSK_.num_vgpr, 0
	.set _ZN7rocprim17ROCPRIM_400000_NS6detail17trampoline_kernelINS0_14default_configENS1_36segmented_radix_sort_config_selectorIdlEEZNS1_25segmented_radix_sort_implIS3_Lb1EPKdPdPKlPlN2at6native12_GLOBAL__N_18offset_tEEE10hipError_tPvRmT1_PNSt15iterator_traitsISK_E10value_typeET2_T3_PNSL_ISQ_E10value_typeET4_jRbjT5_SW_jjP12ihipStream_tbEUlT_E1_NS1_11comp_targetILNS1_3genE5ELNS1_11target_archE942ELNS1_3gpuE9ELNS1_3repE0EEENS1_59segmented_radix_sort_warp_sort_small_config_static_selectorELNS0_4arch9wavefront6targetE0EEEvSK_.num_agpr, 0
	.set _ZN7rocprim17ROCPRIM_400000_NS6detail17trampoline_kernelINS0_14default_configENS1_36segmented_radix_sort_config_selectorIdlEEZNS1_25segmented_radix_sort_implIS3_Lb1EPKdPdPKlPlN2at6native12_GLOBAL__N_18offset_tEEE10hipError_tPvRmT1_PNSt15iterator_traitsISK_E10value_typeET2_T3_PNSL_ISQ_E10value_typeET4_jRbjT5_SW_jjP12ihipStream_tbEUlT_E1_NS1_11comp_targetILNS1_3genE5ELNS1_11target_archE942ELNS1_3gpuE9ELNS1_3repE0EEENS1_59segmented_radix_sort_warp_sort_small_config_static_selectorELNS0_4arch9wavefront6targetE0EEEvSK_.numbered_sgpr, 0
	.set _ZN7rocprim17ROCPRIM_400000_NS6detail17trampoline_kernelINS0_14default_configENS1_36segmented_radix_sort_config_selectorIdlEEZNS1_25segmented_radix_sort_implIS3_Lb1EPKdPdPKlPlN2at6native12_GLOBAL__N_18offset_tEEE10hipError_tPvRmT1_PNSt15iterator_traitsISK_E10value_typeET2_T3_PNSL_ISQ_E10value_typeET4_jRbjT5_SW_jjP12ihipStream_tbEUlT_E1_NS1_11comp_targetILNS1_3genE5ELNS1_11target_archE942ELNS1_3gpuE9ELNS1_3repE0EEENS1_59segmented_radix_sort_warp_sort_small_config_static_selectorELNS0_4arch9wavefront6targetE0EEEvSK_.num_named_barrier, 0
	.set _ZN7rocprim17ROCPRIM_400000_NS6detail17trampoline_kernelINS0_14default_configENS1_36segmented_radix_sort_config_selectorIdlEEZNS1_25segmented_radix_sort_implIS3_Lb1EPKdPdPKlPlN2at6native12_GLOBAL__N_18offset_tEEE10hipError_tPvRmT1_PNSt15iterator_traitsISK_E10value_typeET2_T3_PNSL_ISQ_E10value_typeET4_jRbjT5_SW_jjP12ihipStream_tbEUlT_E1_NS1_11comp_targetILNS1_3genE5ELNS1_11target_archE942ELNS1_3gpuE9ELNS1_3repE0EEENS1_59segmented_radix_sort_warp_sort_small_config_static_selectorELNS0_4arch9wavefront6targetE0EEEvSK_.private_seg_size, 0
	.set _ZN7rocprim17ROCPRIM_400000_NS6detail17trampoline_kernelINS0_14default_configENS1_36segmented_radix_sort_config_selectorIdlEEZNS1_25segmented_radix_sort_implIS3_Lb1EPKdPdPKlPlN2at6native12_GLOBAL__N_18offset_tEEE10hipError_tPvRmT1_PNSt15iterator_traitsISK_E10value_typeET2_T3_PNSL_ISQ_E10value_typeET4_jRbjT5_SW_jjP12ihipStream_tbEUlT_E1_NS1_11comp_targetILNS1_3genE5ELNS1_11target_archE942ELNS1_3gpuE9ELNS1_3repE0EEENS1_59segmented_radix_sort_warp_sort_small_config_static_selectorELNS0_4arch9wavefront6targetE0EEEvSK_.uses_vcc, 0
	.set _ZN7rocprim17ROCPRIM_400000_NS6detail17trampoline_kernelINS0_14default_configENS1_36segmented_radix_sort_config_selectorIdlEEZNS1_25segmented_radix_sort_implIS3_Lb1EPKdPdPKlPlN2at6native12_GLOBAL__N_18offset_tEEE10hipError_tPvRmT1_PNSt15iterator_traitsISK_E10value_typeET2_T3_PNSL_ISQ_E10value_typeET4_jRbjT5_SW_jjP12ihipStream_tbEUlT_E1_NS1_11comp_targetILNS1_3genE5ELNS1_11target_archE942ELNS1_3gpuE9ELNS1_3repE0EEENS1_59segmented_radix_sort_warp_sort_small_config_static_selectorELNS0_4arch9wavefront6targetE0EEEvSK_.uses_flat_scratch, 0
	.set _ZN7rocprim17ROCPRIM_400000_NS6detail17trampoline_kernelINS0_14default_configENS1_36segmented_radix_sort_config_selectorIdlEEZNS1_25segmented_radix_sort_implIS3_Lb1EPKdPdPKlPlN2at6native12_GLOBAL__N_18offset_tEEE10hipError_tPvRmT1_PNSt15iterator_traitsISK_E10value_typeET2_T3_PNSL_ISQ_E10value_typeET4_jRbjT5_SW_jjP12ihipStream_tbEUlT_E1_NS1_11comp_targetILNS1_3genE5ELNS1_11target_archE942ELNS1_3gpuE9ELNS1_3repE0EEENS1_59segmented_radix_sort_warp_sort_small_config_static_selectorELNS0_4arch9wavefront6targetE0EEEvSK_.has_dyn_sized_stack, 0
	.set _ZN7rocprim17ROCPRIM_400000_NS6detail17trampoline_kernelINS0_14default_configENS1_36segmented_radix_sort_config_selectorIdlEEZNS1_25segmented_radix_sort_implIS3_Lb1EPKdPdPKlPlN2at6native12_GLOBAL__N_18offset_tEEE10hipError_tPvRmT1_PNSt15iterator_traitsISK_E10value_typeET2_T3_PNSL_ISQ_E10value_typeET4_jRbjT5_SW_jjP12ihipStream_tbEUlT_E1_NS1_11comp_targetILNS1_3genE5ELNS1_11target_archE942ELNS1_3gpuE9ELNS1_3repE0EEENS1_59segmented_radix_sort_warp_sort_small_config_static_selectorELNS0_4arch9wavefront6targetE0EEEvSK_.has_recursion, 0
	.set _ZN7rocprim17ROCPRIM_400000_NS6detail17trampoline_kernelINS0_14default_configENS1_36segmented_radix_sort_config_selectorIdlEEZNS1_25segmented_radix_sort_implIS3_Lb1EPKdPdPKlPlN2at6native12_GLOBAL__N_18offset_tEEE10hipError_tPvRmT1_PNSt15iterator_traitsISK_E10value_typeET2_T3_PNSL_ISQ_E10value_typeET4_jRbjT5_SW_jjP12ihipStream_tbEUlT_E1_NS1_11comp_targetILNS1_3genE5ELNS1_11target_archE942ELNS1_3gpuE9ELNS1_3repE0EEENS1_59segmented_radix_sort_warp_sort_small_config_static_selectorELNS0_4arch9wavefront6targetE0EEEvSK_.has_indirect_call, 0
	.section	.AMDGPU.csdata,"",@progbits
; Kernel info:
; codeLenInByte = 0
; TotalNumSgprs: 0
; NumVgprs: 0
; ScratchSize: 0
; MemoryBound: 0
; FloatMode: 240
; IeeeMode: 1
; LDSByteSize: 0 bytes/workgroup (compile time only)
; SGPRBlocks: 0
; VGPRBlocks: 0
; NumSGPRsForWavesPerEU: 1
; NumVGPRsForWavesPerEU: 1
; Occupancy: 16
; WaveLimiterHint : 0
; COMPUTE_PGM_RSRC2:SCRATCH_EN: 0
; COMPUTE_PGM_RSRC2:USER_SGPR: 6
; COMPUTE_PGM_RSRC2:TRAP_HANDLER: 0
; COMPUTE_PGM_RSRC2:TGID_X_EN: 1
; COMPUTE_PGM_RSRC2:TGID_Y_EN: 0
; COMPUTE_PGM_RSRC2:TGID_Z_EN: 0
; COMPUTE_PGM_RSRC2:TIDIG_COMP_CNT: 0
	.section	.text._ZN7rocprim17ROCPRIM_400000_NS6detail17trampoline_kernelINS0_14default_configENS1_36segmented_radix_sort_config_selectorIdlEEZNS1_25segmented_radix_sort_implIS3_Lb1EPKdPdPKlPlN2at6native12_GLOBAL__N_18offset_tEEE10hipError_tPvRmT1_PNSt15iterator_traitsISK_E10value_typeET2_T3_PNSL_ISQ_E10value_typeET4_jRbjT5_SW_jjP12ihipStream_tbEUlT_E1_NS1_11comp_targetILNS1_3genE4ELNS1_11target_archE910ELNS1_3gpuE8ELNS1_3repE0EEENS1_59segmented_radix_sort_warp_sort_small_config_static_selectorELNS0_4arch9wavefront6targetE0EEEvSK_,"axG",@progbits,_ZN7rocprim17ROCPRIM_400000_NS6detail17trampoline_kernelINS0_14default_configENS1_36segmented_radix_sort_config_selectorIdlEEZNS1_25segmented_radix_sort_implIS3_Lb1EPKdPdPKlPlN2at6native12_GLOBAL__N_18offset_tEEE10hipError_tPvRmT1_PNSt15iterator_traitsISK_E10value_typeET2_T3_PNSL_ISQ_E10value_typeET4_jRbjT5_SW_jjP12ihipStream_tbEUlT_E1_NS1_11comp_targetILNS1_3genE4ELNS1_11target_archE910ELNS1_3gpuE8ELNS1_3repE0EEENS1_59segmented_radix_sort_warp_sort_small_config_static_selectorELNS0_4arch9wavefront6targetE0EEEvSK_,comdat
	.globl	_ZN7rocprim17ROCPRIM_400000_NS6detail17trampoline_kernelINS0_14default_configENS1_36segmented_radix_sort_config_selectorIdlEEZNS1_25segmented_radix_sort_implIS3_Lb1EPKdPdPKlPlN2at6native12_GLOBAL__N_18offset_tEEE10hipError_tPvRmT1_PNSt15iterator_traitsISK_E10value_typeET2_T3_PNSL_ISQ_E10value_typeET4_jRbjT5_SW_jjP12ihipStream_tbEUlT_E1_NS1_11comp_targetILNS1_3genE4ELNS1_11target_archE910ELNS1_3gpuE8ELNS1_3repE0EEENS1_59segmented_radix_sort_warp_sort_small_config_static_selectorELNS0_4arch9wavefront6targetE0EEEvSK_ ; -- Begin function _ZN7rocprim17ROCPRIM_400000_NS6detail17trampoline_kernelINS0_14default_configENS1_36segmented_radix_sort_config_selectorIdlEEZNS1_25segmented_radix_sort_implIS3_Lb1EPKdPdPKlPlN2at6native12_GLOBAL__N_18offset_tEEE10hipError_tPvRmT1_PNSt15iterator_traitsISK_E10value_typeET2_T3_PNSL_ISQ_E10value_typeET4_jRbjT5_SW_jjP12ihipStream_tbEUlT_E1_NS1_11comp_targetILNS1_3genE4ELNS1_11target_archE910ELNS1_3gpuE8ELNS1_3repE0EEENS1_59segmented_radix_sort_warp_sort_small_config_static_selectorELNS0_4arch9wavefront6targetE0EEEvSK_
	.p2align	8
	.type	_ZN7rocprim17ROCPRIM_400000_NS6detail17trampoline_kernelINS0_14default_configENS1_36segmented_radix_sort_config_selectorIdlEEZNS1_25segmented_radix_sort_implIS3_Lb1EPKdPdPKlPlN2at6native12_GLOBAL__N_18offset_tEEE10hipError_tPvRmT1_PNSt15iterator_traitsISK_E10value_typeET2_T3_PNSL_ISQ_E10value_typeET4_jRbjT5_SW_jjP12ihipStream_tbEUlT_E1_NS1_11comp_targetILNS1_3genE4ELNS1_11target_archE910ELNS1_3gpuE8ELNS1_3repE0EEENS1_59segmented_radix_sort_warp_sort_small_config_static_selectorELNS0_4arch9wavefront6targetE0EEEvSK_,@function
_ZN7rocprim17ROCPRIM_400000_NS6detail17trampoline_kernelINS0_14default_configENS1_36segmented_radix_sort_config_selectorIdlEEZNS1_25segmented_radix_sort_implIS3_Lb1EPKdPdPKlPlN2at6native12_GLOBAL__N_18offset_tEEE10hipError_tPvRmT1_PNSt15iterator_traitsISK_E10value_typeET2_T3_PNSL_ISQ_E10value_typeET4_jRbjT5_SW_jjP12ihipStream_tbEUlT_E1_NS1_11comp_targetILNS1_3genE4ELNS1_11target_archE910ELNS1_3gpuE8ELNS1_3repE0EEENS1_59segmented_radix_sort_warp_sort_small_config_static_selectorELNS0_4arch9wavefront6targetE0EEEvSK_: ; @_ZN7rocprim17ROCPRIM_400000_NS6detail17trampoline_kernelINS0_14default_configENS1_36segmented_radix_sort_config_selectorIdlEEZNS1_25segmented_radix_sort_implIS3_Lb1EPKdPdPKlPlN2at6native12_GLOBAL__N_18offset_tEEE10hipError_tPvRmT1_PNSt15iterator_traitsISK_E10value_typeET2_T3_PNSL_ISQ_E10value_typeET4_jRbjT5_SW_jjP12ihipStream_tbEUlT_E1_NS1_11comp_targetILNS1_3genE4ELNS1_11target_archE910ELNS1_3gpuE8ELNS1_3repE0EEENS1_59segmented_radix_sort_warp_sort_small_config_static_selectorELNS0_4arch9wavefront6targetE0EEEvSK_
; %bb.0:
	.section	.rodata,"a",@progbits
	.p2align	6, 0x0
	.amdhsa_kernel _ZN7rocprim17ROCPRIM_400000_NS6detail17trampoline_kernelINS0_14default_configENS1_36segmented_radix_sort_config_selectorIdlEEZNS1_25segmented_radix_sort_implIS3_Lb1EPKdPdPKlPlN2at6native12_GLOBAL__N_18offset_tEEE10hipError_tPvRmT1_PNSt15iterator_traitsISK_E10value_typeET2_T3_PNSL_ISQ_E10value_typeET4_jRbjT5_SW_jjP12ihipStream_tbEUlT_E1_NS1_11comp_targetILNS1_3genE4ELNS1_11target_archE910ELNS1_3gpuE8ELNS1_3repE0EEENS1_59segmented_radix_sort_warp_sort_small_config_static_selectorELNS0_4arch9wavefront6targetE0EEEvSK_
		.amdhsa_group_segment_fixed_size 0
		.amdhsa_private_segment_fixed_size 0
		.amdhsa_kernarg_size 88
		.amdhsa_user_sgpr_count 6
		.amdhsa_user_sgpr_private_segment_buffer 1
		.amdhsa_user_sgpr_dispatch_ptr 0
		.amdhsa_user_sgpr_queue_ptr 0
		.amdhsa_user_sgpr_kernarg_segment_ptr 1
		.amdhsa_user_sgpr_dispatch_id 0
		.amdhsa_user_sgpr_flat_scratch_init 0
		.amdhsa_user_sgpr_private_segment_size 0
		.amdhsa_wavefront_size32 1
		.amdhsa_uses_dynamic_stack 0
		.amdhsa_system_sgpr_private_segment_wavefront_offset 0
		.amdhsa_system_sgpr_workgroup_id_x 1
		.amdhsa_system_sgpr_workgroup_id_y 0
		.amdhsa_system_sgpr_workgroup_id_z 0
		.amdhsa_system_sgpr_workgroup_info 0
		.amdhsa_system_vgpr_workitem_id 0
		.amdhsa_next_free_vgpr 1
		.amdhsa_next_free_sgpr 1
		.amdhsa_reserve_vcc 0
		.amdhsa_reserve_flat_scratch 0
		.amdhsa_float_round_mode_32 0
		.amdhsa_float_round_mode_16_64 0
		.amdhsa_float_denorm_mode_32 3
		.amdhsa_float_denorm_mode_16_64 3
		.amdhsa_dx10_clamp 1
		.amdhsa_ieee_mode 1
		.amdhsa_fp16_overflow 0
		.amdhsa_workgroup_processor_mode 1
		.amdhsa_memory_ordered 1
		.amdhsa_forward_progress 1
		.amdhsa_shared_vgpr_count 0
		.amdhsa_exception_fp_ieee_invalid_op 0
		.amdhsa_exception_fp_denorm_src 0
		.amdhsa_exception_fp_ieee_div_zero 0
		.amdhsa_exception_fp_ieee_overflow 0
		.amdhsa_exception_fp_ieee_underflow 0
		.amdhsa_exception_fp_ieee_inexact 0
		.amdhsa_exception_int_div_zero 0
	.end_amdhsa_kernel
	.section	.text._ZN7rocprim17ROCPRIM_400000_NS6detail17trampoline_kernelINS0_14default_configENS1_36segmented_radix_sort_config_selectorIdlEEZNS1_25segmented_radix_sort_implIS3_Lb1EPKdPdPKlPlN2at6native12_GLOBAL__N_18offset_tEEE10hipError_tPvRmT1_PNSt15iterator_traitsISK_E10value_typeET2_T3_PNSL_ISQ_E10value_typeET4_jRbjT5_SW_jjP12ihipStream_tbEUlT_E1_NS1_11comp_targetILNS1_3genE4ELNS1_11target_archE910ELNS1_3gpuE8ELNS1_3repE0EEENS1_59segmented_radix_sort_warp_sort_small_config_static_selectorELNS0_4arch9wavefront6targetE0EEEvSK_,"axG",@progbits,_ZN7rocprim17ROCPRIM_400000_NS6detail17trampoline_kernelINS0_14default_configENS1_36segmented_radix_sort_config_selectorIdlEEZNS1_25segmented_radix_sort_implIS3_Lb1EPKdPdPKlPlN2at6native12_GLOBAL__N_18offset_tEEE10hipError_tPvRmT1_PNSt15iterator_traitsISK_E10value_typeET2_T3_PNSL_ISQ_E10value_typeET4_jRbjT5_SW_jjP12ihipStream_tbEUlT_E1_NS1_11comp_targetILNS1_3genE4ELNS1_11target_archE910ELNS1_3gpuE8ELNS1_3repE0EEENS1_59segmented_radix_sort_warp_sort_small_config_static_selectorELNS0_4arch9wavefront6targetE0EEEvSK_,comdat
.Lfunc_end1132:
	.size	_ZN7rocprim17ROCPRIM_400000_NS6detail17trampoline_kernelINS0_14default_configENS1_36segmented_radix_sort_config_selectorIdlEEZNS1_25segmented_radix_sort_implIS3_Lb1EPKdPdPKlPlN2at6native12_GLOBAL__N_18offset_tEEE10hipError_tPvRmT1_PNSt15iterator_traitsISK_E10value_typeET2_T3_PNSL_ISQ_E10value_typeET4_jRbjT5_SW_jjP12ihipStream_tbEUlT_E1_NS1_11comp_targetILNS1_3genE4ELNS1_11target_archE910ELNS1_3gpuE8ELNS1_3repE0EEENS1_59segmented_radix_sort_warp_sort_small_config_static_selectorELNS0_4arch9wavefront6targetE0EEEvSK_, .Lfunc_end1132-_ZN7rocprim17ROCPRIM_400000_NS6detail17trampoline_kernelINS0_14default_configENS1_36segmented_radix_sort_config_selectorIdlEEZNS1_25segmented_radix_sort_implIS3_Lb1EPKdPdPKlPlN2at6native12_GLOBAL__N_18offset_tEEE10hipError_tPvRmT1_PNSt15iterator_traitsISK_E10value_typeET2_T3_PNSL_ISQ_E10value_typeET4_jRbjT5_SW_jjP12ihipStream_tbEUlT_E1_NS1_11comp_targetILNS1_3genE4ELNS1_11target_archE910ELNS1_3gpuE8ELNS1_3repE0EEENS1_59segmented_radix_sort_warp_sort_small_config_static_selectorELNS0_4arch9wavefront6targetE0EEEvSK_
                                        ; -- End function
	.set _ZN7rocprim17ROCPRIM_400000_NS6detail17trampoline_kernelINS0_14default_configENS1_36segmented_radix_sort_config_selectorIdlEEZNS1_25segmented_radix_sort_implIS3_Lb1EPKdPdPKlPlN2at6native12_GLOBAL__N_18offset_tEEE10hipError_tPvRmT1_PNSt15iterator_traitsISK_E10value_typeET2_T3_PNSL_ISQ_E10value_typeET4_jRbjT5_SW_jjP12ihipStream_tbEUlT_E1_NS1_11comp_targetILNS1_3genE4ELNS1_11target_archE910ELNS1_3gpuE8ELNS1_3repE0EEENS1_59segmented_radix_sort_warp_sort_small_config_static_selectorELNS0_4arch9wavefront6targetE0EEEvSK_.num_vgpr, 0
	.set _ZN7rocprim17ROCPRIM_400000_NS6detail17trampoline_kernelINS0_14default_configENS1_36segmented_radix_sort_config_selectorIdlEEZNS1_25segmented_radix_sort_implIS3_Lb1EPKdPdPKlPlN2at6native12_GLOBAL__N_18offset_tEEE10hipError_tPvRmT1_PNSt15iterator_traitsISK_E10value_typeET2_T3_PNSL_ISQ_E10value_typeET4_jRbjT5_SW_jjP12ihipStream_tbEUlT_E1_NS1_11comp_targetILNS1_3genE4ELNS1_11target_archE910ELNS1_3gpuE8ELNS1_3repE0EEENS1_59segmented_radix_sort_warp_sort_small_config_static_selectorELNS0_4arch9wavefront6targetE0EEEvSK_.num_agpr, 0
	.set _ZN7rocprim17ROCPRIM_400000_NS6detail17trampoline_kernelINS0_14default_configENS1_36segmented_radix_sort_config_selectorIdlEEZNS1_25segmented_radix_sort_implIS3_Lb1EPKdPdPKlPlN2at6native12_GLOBAL__N_18offset_tEEE10hipError_tPvRmT1_PNSt15iterator_traitsISK_E10value_typeET2_T3_PNSL_ISQ_E10value_typeET4_jRbjT5_SW_jjP12ihipStream_tbEUlT_E1_NS1_11comp_targetILNS1_3genE4ELNS1_11target_archE910ELNS1_3gpuE8ELNS1_3repE0EEENS1_59segmented_radix_sort_warp_sort_small_config_static_selectorELNS0_4arch9wavefront6targetE0EEEvSK_.numbered_sgpr, 0
	.set _ZN7rocprim17ROCPRIM_400000_NS6detail17trampoline_kernelINS0_14default_configENS1_36segmented_radix_sort_config_selectorIdlEEZNS1_25segmented_radix_sort_implIS3_Lb1EPKdPdPKlPlN2at6native12_GLOBAL__N_18offset_tEEE10hipError_tPvRmT1_PNSt15iterator_traitsISK_E10value_typeET2_T3_PNSL_ISQ_E10value_typeET4_jRbjT5_SW_jjP12ihipStream_tbEUlT_E1_NS1_11comp_targetILNS1_3genE4ELNS1_11target_archE910ELNS1_3gpuE8ELNS1_3repE0EEENS1_59segmented_radix_sort_warp_sort_small_config_static_selectorELNS0_4arch9wavefront6targetE0EEEvSK_.num_named_barrier, 0
	.set _ZN7rocprim17ROCPRIM_400000_NS6detail17trampoline_kernelINS0_14default_configENS1_36segmented_radix_sort_config_selectorIdlEEZNS1_25segmented_radix_sort_implIS3_Lb1EPKdPdPKlPlN2at6native12_GLOBAL__N_18offset_tEEE10hipError_tPvRmT1_PNSt15iterator_traitsISK_E10value_typeET2_T3_PNSL_ISQ_E10value_typeET4_jRbjT5_SW_jjP12ihipStream_tbEUlT_E1_NS1_11comp_targetILNS1_3genE4ELNS1_11target_archE910ELNS1_3gpuE8ELNS1_3repE0EEENS1_59segmented_radix_sort_warp_sort_small_config_static_selectorELNS0_4arch9wavefront6targetE0EEEvSK_.private_seg_size, 0
	.set _ZN7rocprim17ROCPRIM_400000_NS6detail17trampoline_kernelINS0_14default_configENS1_36segmented_radix_sort_config_selectorIdlEEZNS1_25segmented_radix_sort_implIS3_Lb1EPKdPdPKlPlN2at6native12_GLOBAL__N_18offset_tEEE10hipError_tPvRmT1_PNSt15iterator_traitsISK_E10value_typeET2_T3_PNSL_ISQ_E10value_typeET4_jRbjT5_SW_jjP12ihipStream_tbEUlT_E1_NS1_11comp_targetILNS1_3genE4ELNS1_11target_archE910ELNS1_3gpuE8ELNS1_3repE0EEENS1_59segmented_radix_sort_warp_sort_small_config_static_selectorELNS0_4arch9wavefront6targetE0EEEvSK_.uses_vcc, 0
	.set _ZN7rocprim17ROCPRIM_400000_NS6detail17trampoline_kernelINS0_14default_configENS1_36segmented_radix_sort_config_selectorIdlEEZNS1_25segmented_radix_sort_implIS3_Lb1EPKdPdPKlPlN2at6native12_GLOBAL__N_18offset_tEEE10hipError_tPvRmT1_PNSt15iterator_traitsISK_E10value_typeET2_T3_PNSL_ISQ_E10value_typeET4_jRbjT5_SW_jjP12ihipStream_tbEUlT_E1_NS1_11comp_targetILNS1_3genE4ELNS1_11target_archE910ELNS1_3gpuE8ELNS1_3repE0EEENS1_59segmented_radix_sort_warp_sort_small_config_static_selectorELNS0_4arch9wavefront6targetE0EEEvSK_.uses_flat_scratch, 0
	.set _ZN7rocprim17ROCPRIM_400000_NS6detail17trampoline_kernelINS0_14default_configENS1_36segmented_radix_sort_config_selectorIdlEEZNS1_25segmented_radix_sort_implIS3_Lb1EPKdPdPKlPlN2at6native12_GLOBAL__N_18offset_tEEE10hipError_tPvRmT1_PNSt15iterator_traitsISK_E10value_typeET2_T3_PNSL_ISQ_E10value_typeET4_jRbjT5_SW_jjP12ihipStream_tbEUlT_E1_NS1_11comp_targetILNS1_3genE4ELNS1_11target_archE910ELNS1_3gpuE8ELNS1_3repE0EEENS1_59segmented_radix_sort_warp_sort_small_config_static_selectorELNS0_4arch9wavefront6targetE0EEEvSK_.has_dyn_sized_stack, 0
	.set _ZN7rocprim17ROCPRIM_400000_NS6detail17trampoline_kernelINS0_14default_configENS1_36segmented_radix_sort_config_selectorIdlEEZNS1_25segmented_radix_sort_implIS3_Lb1EPKdPdPKlPlN2at6native12_GLOBAL__N_18offset_tEEE10hipError_tPvRmT1_PNSt15iterator_traitsISK_E10value_typeET2_T3_PNSL_ISQ_E10value_typeET4_jRbjT5_SW_jjP12ihipStream_tbEUlT_E1_NS1_11comp_targetILNS1_3genE4ELNS1_11target_archE910ELNS1_3gpuE8ELNS1_3repE0EEENS1_59segmented_radix_sort_warp_sort_small_config_static_selectorELNS0_4arch9wavefront6targetE0EEEvSK_.has_recursion, 0
	.set _ZN7rocprim17ROCPRIM_400000_NS6detail17trampoline_kernelINS0_14default_configENS1_36segmented_radix_sort_config_selectorIdlEEZNS1_25segmented_radix_sort_implIS3_Lb1EPKdPdPKlPlN2at6native12_GLOBAL__N_18offset_tEEE10hipError_tPvRmT1_PNSt15iterator_traitsISK_E10value_typeET2_T3_PNSL_ISQ_E10value_typeET4_jRbjT5_SW_jjP12ihipStream_tbEUlT_E1_NS1_11comp_targetILNS1_3genE4ELNS1_11target_archE910ELNS1_3gpuE8ELNS1_3repE0EEENS1_59segmented_radix_sort_warp_sort_small_config_static_selectorELNS0_4arch9wavefront6targetE0EEEvSK_.has_indirect_call, 0
	.section	.AMDGPU.csdata,"",@progbits
; Kernel info:
; codeLenInByte = 0
; TotalNumSgprs: 0
; NumVgprs: 0
; ScratchSize: 0
; MemoryBound: 0
; FloatMode: 240
; IeeeMode: 1
; LDSByteSize: 0 bytes/workgroup (compile time only)
; SGPRBlocks: 0
; VGPRBlocks: 0
; NumSGPRsForWavesPerEU: 1
; NumVGPRsForWavesPerEU: 1
; Occupancy: 16
; WaveLimiterHint : 0
; COMPUTE_PGM_RSRC2:SCRATCH_EN: 0
; COMPUTE_PGM_RSRC2:USER_SGPR: 6
; COMPUTE_PGM_RSRC2:TRAP_HANDLER: 0
; COMPUTE_PGM_RSRC2:TGID_X_EN: 1
; COMPUTE_PGM_RSRC2:TGID_Y_EN: 0
; COMPUTE_PGM_RSRC2:TGID_Z_EN: 0
; COMPUTE_PGM_RSRC2:TIDIG_COMP_CNT: 0
	.section	.text._ZN7rocprim17ROCPRIM_400000_NS6detail17trampoline_kernelINS0_14default_configENS1_36segmented_radix_sort_config_selectorIdlEEZNS1_25segmented_radix_sort_implIS3_Lb1EPKdPdPKlPlN2at6native12_GLOBAL__N_18offset_tEEE10hipError_tPvRmT1_PNSt15iterator_traitsISK_E10value_typeET2_T3_PNSL_ISQ_E10value_typeET4_jRbjT5_SW_jjP12ihipStream_tbEUlT_E1_NS1_11comp_targetILNS1_3genE3ELNS1_11target_archE908ELNS1_3gpuE7ELNS1_3repE0EEENS1_59segmented_radix_sort_warp_sort_small_config_static_selectorELNS0_4arch9wavefront6targetE0EEEvSK_,"axG",@progbits,_ZN7rocprim17ROCPRIM_400000_NS6detail17trampoline_kernelINS0_14default_configENS1_36segmented_radix_sort_config_selectorIdlEEZNS1_25segmented_radix_sort_implIS3_Lb1EPKdPdPKlPlN2at6native12_GLOBAL__N_18offset_tEEE10hipError_tPvRmT1_PNSt15iterator_traitsISK_E10value_typeET2_T3_PNSL_ISQ_E10value_typeET4_jRbjT5_SW_jjP12ihipStream_tbEUlT_E1_NS1_11comp_targetILNS1_3genE3ELNS1_11target_archE908ELNS1_3gpuE7ELNS1_3repE0EEENS1_59segmented_radix_sort_warp_sort_small_config_static_selectorELNS0_4arch9wavefront6targetE0EEEvSK_,comdat
	.globl	_ZN7rocprim17ROCPRIM_400000_NS6detail17trampoline_kernelINS0_14default_configENS1_36segmented_radix_sort_config_selectorIdlEEZNS1_25segmented_radix_sort_implIS3_Lb1EPKdPdPKlPlN2at6native12_GLOBAL__N_18offset_tEEE10hipError_tPvRmT1_PNSt15iterator_traitsISK_E10value_typeET2_T3_PNSL_ISQ_E10value_typeET4_jRbjT5_SW_jjP12ihipStream_tbEUlT_E1_NS1_11comp_targetILNS1_3genE3ELNS1_11target_archE908ELNS1_3gpuE7ELNS1_3repE0EEENS1_59segmented_radix_sort_warp_sort_small_config_static_selectorELNS0_4arch9wavefront6targetE0EEEvSK_ ; -- Begin function _ZN7rocprim17ROCPRIM_400000_NS6detail17trampoline_kernelINS0_14default_configENS1_36segmented_radix_sort_config_selectorIdlEEZNS1_25segmented_radix_sort_implIS3_Lb1EPKdPdPKlPlN2at6native12_GLOBAL__N_18offset_tEEE10hipError_tPvRmT1_PNSt15iterator_traitsISK_E10value_typeET2_T3_PNSL_ISQ_E10value_typeET4_jRbjT5_SW_jjP12ihipStream_tbEUlT_E1_NS1_11comp_targetILNS1_3genE3ELNS1_11target_archE908ELNS1_3gpuE7ELNS1_3repE0EEENS1_59segmented_radix_sort_warp_sort_small_config_static_selectorELNS0_4arch9wavefront6targetE0EEEvSK_
	.p2align	8
	.type	_ZN7rocprim17ROCPRIM_400000_NS6detail17trampoline_kernelINS0_14default_configENS1_36segmented_radix_sort_config_selectorIdlEEZNS1_25segmented_radix_sort_implIS3_Lb1EPKdPdPKlPlN2at6native12_GLOBAL__N_18offset_tEEE10hipError_tPvRmT1_PNSt15iterator_traitsISK_E10value_typeET2_T3_PNSL_ISQ_E10value_typeET4_jRbjT5_SW_jjP12ihipStream_tbEUlT_E1_NS1_11comp_targetILNS1_3genE3ELNS1_11target_archE908ELNS1_3gpuE7ELNS1_3repE0EEENS1_59segmented_radix_sort_warp_sort_small_config_static_selectorELNS0_4arch9wavefront6targetE0EEEvSK_,@function
_ZN7rocprim17ROCPRIM_400000_NS6detail17trampoline_kernelINS0_14default_configENS1_36segmented_radix_sort_config_selectorIdlEEZNS1_25segmented_radix_sort_implIS3_Lb1EPKdPdPKlPlN2at6native12_GLOBAL__N_18offset_tEEE10hipError_tPvRmT1_PNSt15iterator_traitsISK_E10value_typeET2_T3_PNSL_ISQ_E10value_typeET4_jRbjT5_SW_jjP12ihipStream_tbEUlT_E1_NS1_11comp_targetILNS1_3genE3ELNS1_11target_archE908ELNS1_3gpuE7ELNS1_3repE0EEENS1_59segmented_radix_sort_warp_sort_small_config_static_selectorELNS0_4arch9wavefront6targetE0EEEvSK_: ; @_ZN7rocprim17ROCPRIM_400000_NS6detail17trampoline_kernelINS0_14default_configENS1_36segmented_radix_sort_config_selectorIdlEEZNS1_25segmented_radix_sort_implIS3_Lb1EPKdPdPKlPlN2at6native12_GLOBAL__N_18offset_tEEE10hipError_tPvRmT1_PNSt15iterator_traitsISK_E10value_typeET2_T3_PNSL_ISQ_E10value_typeET4_jRbjT5_SW_jjP12ihipStream_tbEUlT_E1_NS1_11comp_targetILNS1_3genE3ELNS1_11target_archE908ELNS1_3gpuE7ELNS1_3repE0EEENS1_59segmented_radix_sort_warp_sort_small_config_static_selectorELNS0_4arch9wavefront6targetE0EEEvSK_
; %bb.0:
	.section	.rodata,"a",@progbits
	.p2align	6, 0x0
	.amdhsa_kernel _ZN7rocprim17ROCPRIM_400000_NS6detail17trampoline_kernelINS0_14default_configENS1_36segmented_radix_sort_config_selectorIdlEEZNS1_25segmented_radix_sort_implIS3_Lb1EPKdPdPKlPlN2at6native12_GLOBAL__N_18offset_tEEE10hipError_tPvRmT1_PNSt15iterator_traitsISK_E10value_typeET2_T3_PNSL_ISQ_E10value_typeET4_jRbjT5_SW_jjP12ihipStream_tbEUlT_E1_NS1_11comp_targetILNS1_3genE3ELNS1_11target_archE908ELNS1_3gpuE7ELNS1_3repE0EEENS1_59segmented_radix_sort_warp_sort_small_config_static_selectorELNS0_4arch9wavefront6targetE0EEEvSK_
		.amdhsa_group_segment_fixed_size 0
		.amdhsa_private_segment_fixed_size 0
		.amdhsa_kernarg_size 88
		.amdhsa_user_sgpr_count 6
		.amdhsa_user_sgpr_private_segment_buffer 1
		.amdhsa_user_sgpr_dispatch_ptr 0
		.amdhsa_user_sgpr_queue_ptr 0
		.amdhsa_user_sgpr_kernarg_segment_ptr 1
		.amdhsa_user_sgpr_dispatch_id 0
		.amdhsa_user_sgpr_flat_scratch_init 0
		.amdhsa_user_sgpr_private_segment_size 0
		.amdhsa_wavefront_size32 1
		.amdhsa_uses_dynamic_stack 0
		.amdhsa_system_sgpr_private_segment_wavefront_offset 0
		.amdhsa_system_sgpr_workgroup_id_x 1
		.amdhsa_system_sgpr_workgroup_id_y 0
		.amdhsa_system_sgpr_workgroup_id_z 0
		.amdhsa_system_sgpr_workgroup_info 0
		.amdhsa_system_vgpr_workitem_id 0
		.amdhsa_next_free_vgpr 1
		.amdhsa_next_free_sgpr 1
		.amdhsa_reserve_vcc 0
		.amdhsa_reserve_flat_scratch 0
		.amdhsa_float_round_mode_32 0
		.amdhsa_float_round_mode_16_64 0
		.amdhsa_float_denorm_mode_32 3
		.amdhsa_float_denorm_mode_16_64 3
		.amdhsa_dx10_clamp 1
		.amdhsa_ieee_mode 1
		.amdhsa_fp16_overflow 0
		.amdhsa_workgroup_processor_mode 1
		.amdhsa_memory_ordered 1
		.amdhsa_forward_progress 1
		.amdhsa_shared_vgpr_count 0
		.amdhsa_exception_fp_ieee_invalid_op 0
		.amdhsa_exception_fp_denorm_src 0
		.amdhsa_exception_fp_ieee_div_zero 0
		.amdhsa_exception_fp_ieee_overflow 0
		.amdhsa_exception_fp_ieee_underflow 0
		.amdhsa_exception_fp_ieee_inexact 0
		.amdhsa_exception_int_div_zero 0
	.end_amdhsa_kernel
	.section	.text._ZN7rocprim17ROCPRIM_400000_NS6detail17trampoline_kernelINS0_14default_configENS1_36segmented_radix_sort_config_selectorIdlEEZNS1_25segmented_radix_sort_implIS3_Lb1EPKdPdPKlPlN2at6native12_GLOBAL__N_18offset_tEEE10hipError_tPvRmT1_PNSt15iterator_traitsISK_E10value_typeET2_T3_PNSL_ISQ_E10value_typeET4_jRbjT5_SW_jjP12ihipStream_tbEUlT_E1_NS1_11comp_targetILNS1_3genE3ELNS1_11target_archE908ELNS1_3gpuE7ELNS1_3repE0EEENS1_59segmented_radix_sort_warp_sort_small_config_static_selectorELNS0_4arch9wavefront6targetE0EEEvSK_,"axG",@progbits,_ZN7rocprim17ROCPRIM_400000_NS6detail17trampoline_kernelINS0_14default_configENS1_36segmented_radix_sort_config_selectorIdlEEZNS1_25segmented_radix_sort_implIS3_Lb1EPKdPdPKlPlN2at6native12_GLOBAL__N_18offset_tEEE10hipError_tPvRmT1_PNSt15iterator_traitsISK_E10value_typeET2_T3_PNSL_ISQ_E10value_typeET4_jRbjT5_SW_jjP12ihipStream_tbEUlT_E1_NS1_11comp_targetILNS1_3genE3ELNS1_11target_archE908ELNS1_3gpuE7ELNS1_3repE0EEENS1_59segmented_radix_sort_warp_sort_small_config_static_selectorELNS0_4arch9wavefront6targetE0EEEvSK_,comdat
.Lfunc_end1133:
	.size	_ZN7rocprim17ROCPRIM_400000_NS6detail17trampoline_kernelINS0_14default_configENS1_36segmented_radix_sort_config_selectorIdlEEZNS1_25segmented_radix_sort_implIS3_Lb1EPKdPdPKlPlN2at6native12_GLOBAL__N_18offset_tEEE10hipError_tPvRmT1_PNSt15iterator_traitsISK_E10value_typeET2_T3_PNSL_ISQ_E10value_typeET4_jRbjT5_SW_jjP12ihipStream_tbEUlT_E1_NS1_11comp_targetILNS1_3genE3ELNS1_11target_archE908ELNS1_3gpuE7ELNS1_3repE0EEENS1_59segmented_radix_sort_warp_sort_small_config_static_selectorELNS0_4arch9wavefront6targetE0EEEvSK_, .Lfunc_end1133-_ZN7rocprim17ROCPRIM_400000_NS6detail17trampoline_kernelINS0_14default_configENS1_36segmented_radix_sort_config_selectorIdlEEZNS1_25segmented_radix_sort_implIS3_Lb1EPKdPdPKlPlN2at6native12_GLOBAL__N_18offset_tEEE10hipError_tPvRmT1_PNSt15iterator_traitsISK_E10value_typeET2_T3_PNSL_ISQ_E10value_typeET4_jRbjT5_SW_jjP12ihipStream_tbEUlT_E1_NS1_11comp_targetILNS1_3genE3ELNS1_11target_archE908ELNS1_3gpuE7ELNS1_3repE0EEENS1_59segmented_radix_sort_warp_sort_small_config_static_selectorELNS0_4arch9wavefront6targetE0EEEvSK_
                                        ; -- End function
	.set _ZN7rocprim17ROCPRIM_400000_NS6detail17trampoline_kernelINS0_14default_configENS1_36segmented_radix_sort_config_selectorIdlEEZNS1_25segmented_radix_sort_implIS3_Lb1EPKdPdPKlPlN2at6native12_GLOBAL__N_18offset_tEEE10hipError_tPvRmT1_PNSt15iterator_traitsISK_E10value_typeET2_T3_PNSL_ISQ_E10value_typeET4_jRbjT5_SW_jjP12ihipStream_tbEUlT_E1_NS1_11comp_targetILNS1_3genE3ELNS1_11target_archE908ELNS1_3gpuE7ELNS1_3repE0EEENS1_59segmented_radix_sort_warp_sort_small_config_static_selectorELNS0_4arch9wavefront6targetE0EEEvSK_.num_vgpr, 0
	.set _ZN7rocprim17ROCPRIM_400000_NS6detail17trampoline_kernelINS0_14default_configENS1_36segmented_radix_sort_config_selectorIdlEEZNS1_25segmented_radix_sort_implIS3_Lb1EPKdPdPKlPlN2at6native12_GLOBAL__N_18offset_tEEE10hipError_tPvRmT1_PNSt15iterator_traitsISK_E10value_typeET2_T3_PNSL_ISQ_E10value_typeET4_jRbjT5_SW_jjP12ihipStream_tbEUlT_E1_NS1_11comp_targetILNS1_3genE3ELNS1_11target_archE908ELNS1_3gpuE7ELNS1_3repE0EEENS1_59segmented_radix_sort_warp_sort_small_config_static_selectorELNS0_4arch9wavefront6targetE0EEEvSK_.num_agpr, 0
	.set _ZN7rocprim17ROCPRIM_400000_NS6detail17trampoline_kernelINS0_14default_configENS1_36segmented_radix_sort_config_selectorIdlEEZNS1_25segmented_radix_sort_implIS3_Lb1EPKdPdPKlPlN2at6native12_GLOBAL__N_18offset_tEEE10hipError_tPvRmT1_PNSt15iterator_traitsISK_E10value_typeET2_T3_PNSL_ISQ_E10value_typeET4_jRbjT5_SW_jjP12ihipStream_tbEUlT_E1_NS1_11comp_targetILNS1_3genE3ELNS1_11target_archE908ELNS1_3gpuE7ELNS1_3repE0EEENS1_59segmented_radix_sort_warp_sort_small_config_static_selectorELNS0_4arch9wavefront6targetE0EEEvSK_.numbered_sgpr, 0
	.set _ZN7rocprim17ROCPRIM_400000_NS6detail17trampoline_kernelINS0_14default_configENS1_36segmented_radix_sort_config_selectorIdlEEZNS1_25segmented_radix_sort_implIS3_Lb1EPKdPdPKlPlN2at6native12_GLOBAL__N_18offset_tEEE10hipError_tPvRmT1_PNSt15iterator_traitsISK_E10value_typeET2_T3_PNSL_ISQ_E10value_typeET4_jRbjT5_SW_jjP12ihipStream_tbEUlT_E1_NS1_11comp_targetILNS1_3genE3ELNS1_11target_archE908ELNS1_3gpuE7ELNS1_3repE0EEENS1_59segmented_radix_sort_warp_sort_small_config_static_selectorELNS0_4arch9wavefront6targetE0EEEvSK_.num_named_barrier, 0
	.set _ZN7rocprim17ROCPRIM_400000_NS6detail17trampoline_kernelINS0_14default_configENS1_36segmented_radix_sort_config_selectorIdlEEZNS1_25segmented_radix_sort_implIS3_Lb1EPKdPdPKlPlN2at6native12_GLOBAL__N_18offset_tEEE10hipError_tPvRmT1_PNSt15iterator_traitsISK_E10value_typeET2_T3_PNSL_ISQ_E10value_typeET4_jRbjT5_SW_jjP12ihipStream_tbEUlT_E1_NS1_11comp_targetILNS1_3genE3ELNS1_11target_archE908ELNS1_3gpuE7ELNS1_3repE0EEENS1_59segmented_radix_sort_warp_sort_small_config_static_selectorELNS0_4arch9wavefront6targetE0EEEvSK_.private_seg_size, 0
	.set _ZN7rocprim17ROCPRIM_400000_NS6detail17trampoline_kernelINS0_14default_configENS1_36segmented_radix_sort_config_selectorIdlEEZNS1_25segmented_radix_sort_implIS3_Lb1EPKdPdPKlPlN2at6native12_GLOBAL__N_18offset_tEEE10hipError_tPvRmT1_PNSt15iterator_traitsISK_E10value_typeET2_T3_PNSL_ISQ_E10value_typeET4_jRbjT5_SW_jjP12ihipStream_tbEUlT_E1_NS1_11comp_targetILNS1_3genE3ELNS1_11target_archE908ELNS1_3gpuE7ELNS1_3repE0EEENS1_59segmented_radix_sort_warp_sort_small_config_static_selectorELNS0_4arch9wavefront6targetE0EEEvSK_.uses_vcc, 0
	.set _ZN7rocprim17ROCPRIM_400000_NS6detail17trampoline_kernelINS0_14default_configENS1_36segmented_radix_sort_config_selectorIdlEEZNS1_25segmented_radix_sort_implIS3_Lb1EPKdPdPKlPlN2at6native12_GLOBAL__N_18offset_tEEE10hipError_tPvRmT1_PNSt15iterator_traitsISK_E10value_typeET2_T3_PNSL_ISQ_E10value_typeET4_jRbjT5_SW_jjP12ihipStream_tbEUlT_E1_NS1_11comp_targetILNS1_3genE3ELNS1_11target_archE908ELNS1_3gpuE7ELNS1_3repE0EEENS1_59segmented_radix_sort_warp_sort_small_config_static_selectorELNS0_4arch9wavefront6targetE0EEEvSK_.uses_flat_scratch, 0
	.set _ZN7rocprim17ROCPRIM_400000_NS6detail17trampoline_kernelINS0_14default_configENS1_36segmented_radix_sort_config_selectorIdlEEZNS1_25segmented_radix_sort_implIS3_Lb1EPKdPdPKlPlN2at6native12_GLOBAL__N_18offset_tEEE10hipError_tPvRmT1_PNSt15iterator_traitsISK_E10value_typeET2_T3_PNSL_ISQ_E10value_typeET4_jRbjT5_SW_jjP12ihipStream_tbEUlT_E1_NS1_11comp_targetILNS1_3genE3ELNS1_11target_archE908ELNS1_3gpuE7ELNS1_3repE0EEENS1_59segmented_radix_sort_warp_sort_small_config_static_selectorELNS0_4arch9wavefront6targetE0EEEvSK_.has_dyn_sized_stack, 0
	.set _ZN7rocprim17ROCPRIM_400000_NS6detail17trampoline_kernelINS0_14default_configENS1_36segmented_radix_sort_config_selectorIdlEEZNS1_25segmented_radix_sort_implIS3_Lb1EPKdPdPKlPlN2at6native12_GLOBAL__N_18offset_tEEE10hipError_tPvRmT1_PNSt15iterator_traitsISK_E10value_typeET2_T3_PNSL_ISQ_E10value_typeET4_jRbjT5_SW_jjP12ihipStream_tbEUlT_E1_NS1_11comp_targetILNS1_3genE3ELNS1_11target_archE908ELNS1_3gpuE7ELNS1_3repE0EEENS1_59segmented_radix_sort_warp_sort_small_config_static_selectorELNS0_4arch9wavefront6targetE0EEEvSK_.has_recursion, 0
	.set _ZN7rocprim17ROCPRIM_400000_NS6detail17trampoline_kernelINS0_14default_configENS1_36segmented_radix_sort_config_selectorIdlEEZNS1_25segmented_radix_sort_implIS3_Lb1EPKdPdPKlPlN2at6native12_GLOBAL__N_18offset_tEEE10hipError_tPvRmT1_PNSt15iterator_traitsISK_E10value_typeET2_T3_PNSL_ISQ_E10value_typeET4_jRbjT5_SW_jjP12ihipStream_tbEUlT_E1_NS1_11comp_targetILNS1_3genE3ELNS1_11target_archE908ELNS1_3gpuE7ELNS1_3repE0EEENS1_59segmented_radix_sort_warp_sort_small_config_static_selectorELNS0_4arch9wavefront6targetE0EEEvSK_.has_indirect_call, 0
	.section	.AMDGPU.csdata,"",@progbits
; Kernel info:
; codeLenInByte = 0
; TotalNumSgprs: 0
; NumVgprs: 0
; ScratchSize: 0
; MemoryBound: 0
; FloatMode: 240
; IeeeMode: 1
; LDSByteSize: 0 bytes/workgroup (compile time only)
; SGPRBlocks: 0
; VGPRBlocks: 0
; NumSGPRsForWavesPerEU: 1
; NumVGPRsForWavesPerEU: 1
; Occupancy: 16
; WaveLimiterHint : 0
; COMPUTE_PGM_RSRC2:SCRATCH_EN: 0
; COMPUTE_PGM_RSRC2:USER_SGPR: 6
; COMPUTE_PGM_RSRC2:TRAP_HANDLER: 0
; COMPUTE_PGM_RSRC2:TGID_X_EN: 1
; COMPUTE_PGM_RSRC2:TGID_Y_EN: 0
; COMPUTE_PGM_RSRC2:TGID_Z_EN: 0
; COMPUTE_PGM_RSRC2:TIDIG_COMP_CNT: 0
	.section	.text._ZN7rocprim17ROCPRIM_400000_NS6detail17trampoline_kernelINS0_14default_configENS1_36segmented_radix_sort_config_selectorIdlEEZNS1_25segmented_radix_sort_implIS3_Lb1EPKdPdPKlPlN2at6native12_GLOBAL__N_18offset_tEEE10hipError_tPvRmT1_PNSt15iterator_traitsISK_E10value_typeET2_T3_PNSL_ISQ_E10value_typeET4_jRbjT5_SW_jjP12ihipStream_tbEUlT_E1_NS1_11comp_targetILNS1_3genE2ELNS1_11target_archE906ELNS1_3gpuE6ELNS1_3repE0EEENS1_59segmented_radix_sort_warp_sort_small_config_static_selectorELNS0_4arch9wavefront6targetE0EEEvSK_,"axG",@progbits,_ZN7rocprim17ROCPRIM_400000_NS6detail17trampoline_kernelINS0_14default_configENS1_36segmented_radix_sort_config_selectorIdlEEZNS1_25segmented_radix_sort_implIS3_Lb1EPKdPdPKlPlN2at6native12_GLOBAL__N_18offset_tEEE10hipError_tPvRmT1_PNSt15iterator_traitsISK_E10value_typeET2_T3_PNSL_ISQ_E10value_typeET4_jRbjT5_SW_jjP12ihipStream_tbEUlT_E1_NS1_11comp_targetILNS1_3genE2ELNS1_11target_archE906ELNS1_3gpuE6ELNS1_3repE0EEENS1_59segmented_radix_sort_warp_sort_small_config_static_selectorELNS0_4arch9wavefront6targetE0EEEvSK_,comdat
	.globl	_ZN7rocprim17ROCPRIM_400000_NS6detail17trampoline_kernelINS0_14default_configENS1_36segmented_radix_sort_config_selectorIdlEEZNS1_25segmented_radix_sort_implIS3_Lb1EPKdPdPKlPlN2at6native12_GLOBAL__N_18offset_tEEE10hipError_tPvRmT1_PNSt15iterator_traitsISK_E10value_typeET2_T3_PNSL_ISQ_E10value_typeET4_jRbjT5_SW_jjP12ihipStream_tbEUlT_E1_NS1_11comp_targetILNS1_3genE2ELNS1_11target_archE906ELNS1_3gpuE6ELNS1_3repE0EEENS1_59segmented_radix_sort_warp_sort_small_config_static_selectorELNS0_4arch9wavefront6targetE0EEEvSK_ ; -- Begin function _ZN7rocprim17ROCPRIM_400000_NS6detail17trampoline_kernelINS0_14default_configENS1_36segmented_radix_sort_config_selectorIdlEEZNS1_25segmented_radix_sort_implIS3_Lb1EPKdPdPKlPlN2at6native12_GLOBAL__N_18offset_tEEE10hipError_tPvRmT1_PNSt15iterator_traitsISK_E10value_typeET2_T3_PNSL_ISQ_E10value_typeET4_jRbjT5_SW_jjP12ihipStream_tbEUlT_E1_NS1_11comp_targetILNS1_3genE2ELNS1_11target_archE906ELNS1_3gpuE6ELNS1_3repE0EEENS1_59segmented_radix_sort_warp_sort_small_config_static_selectorELNS0_4arch9wavefront6targetE0EEEvSK_
	.p2align	8
	.type	_ZN7rocprim17ROCPRIM_400000_NS6detail17trampoline_kernelINS0_14default_configENS1_36segmented_radix_sort_config_selectorIdlEEZNS1_25segmented_radix_sort_implIS3_Lb1EPKdPdPKlPlN2at6native12_GLOBAL__N_18offset_tEEE10hipError_tPvRmT1_PNSt15iterator_traitsISK_E10value_typeET2_T3_PNSL_ISQ_E10value_typeET4_jRbjT5_SW_jjP12ihipStream_tbEUlT_E1_NS1_11comp_targetILNS1_3genE2ELNS1_11target_archE906ELNS1_3gpuE6ELNS1_3repE0EEENS1_59segmented_radix_sort_warp_sort_small_config_static_selectorELNS0_4arch9wavefront6targetE0EEEvSK_,@function
_ZN7rocprim17ROCPRIM_400000_NS6detail17trampoline_kernelINS0_14default_configENS1_36segmented_radix_sort_config_selectorIdlEEZNS1_25segmented_radix_sort_implIS3_Lb1EPKdPdPKlPlN2at6native12_GLOBAL__N_18offset_tEEE10hipError_tPvRmT1_PNSt15iterator_traitsISK_E10value_typeET2_T3_PNSL_ISQ_E10value_typeET4_jRbjT5_SW_jjP12ihipStream_tbEUlT_E1_NS1_11comp_targetILNS1_3genE2ELNS1_11target_archE906ELNS1_3gpuE6ELNS1_3repE0EEENS1_59segmented_radix_sort_warp_sort_small_config_static_selectorELNS0_4arch9wavefront6targetE0EEEvSK_: ; @_ZN7rocprim17ROCPRIM_400000_NS6detail17trampoline_kernelINS0_14default_configENS1_36segmented_radix_sort_config_selectorIdlEEZNS1_25segmented_radix_sort_implIS3_Lb1EPKdPdPKlPlN2at6native12_GLOBAL__N_18offset_tEEE10hipError_tPvRmT1_PNSt15iterator_traitsISK_E10value_typeET2_T3_PNSL_ISQ_E10value_typeET4_jRbjT5_SW_jjP12ihipStream_tbEUlT_E1_NS1_11comp_targetILNS1_3genE2ELNS1_11target_archE906ELNS1_3gpuE6ELNS1_3repE0EEENS1_59segmented_radix_sort_warp_sort_small_config_static_selectorELNS0_4arch9wavefront6targetE0EEEvSK_
; %bb.0:
	.section	.rodata,"a",@progbits
	.p2align	6, 0x0
	.amdhsa_kernel _ZN7rocprim17ROCPRIM_400000_NS6detail17trampoline_kernelINS0_14default_configENS1_36segmented_radix_sort_config_selectorIdlEEZNS1_25segmented_radix_sort_implIS3_Lb1EPKdPdPKlPlN2at6native12_GLOBAL__N_18offset_tEEE10hipError_tPvRmT1_PNSt15iterator_traitsISK_E10value_typeET2_T3_PNSL_ISQ_E10value_typeET4_jRbjT5_SW_jjP12ihipStream_tbEUlT_E1_NS1_11comp_targetILNS1_3genE2ELNS1_11target_archE906ELNS1_3gpuE6ELNS1_3repE0EEENS1_59segmented_radix_sort_warp_sort_small_config_static_selectorELNS0_4arch9wavefront6targetE0EEEvSK_
		.amdhsa_group_segment_fixed_size 0
		.amdhsa_private_segment_fixed_size 0
		.amdhsa_kernarg_size 88
		.amdhsa_user_sgpr_count 6
		.amdhsa_user_sgpr_private_segment_buffer 1
		.amdhsa_user_sgpr_dispatch_ptr 0
		.amdhsa_user_sgpr_queue_ptr 0
		.amdhsa_user_sgpr_kernarg_segment_ptr 1
		.amdhsa_user_sgpr_dispatch_id 0
		.amdhsa_user_sgpr_flat_scratch_init 0
		.amdhsa_user_sgpr_private_segment_size 0
		.amdhsa_wavefront_size32 1
		.amdhsa_uses_dynamic_stack 0
		.amdhsa_system_sgpr_private_segment_wavefront_offset 0
		.amdhsa_system_sgpr_workgroup_id_x 1
		.amdhsa_system_sgpr_workgroup_id_y 0
		.amdhsa_system_sgpr_workgroup_id_z 0
		.amdhsa_system_sgpr_workgroup_info 0
		.amdhsa_system_vgpr_workitem_id 0
		.amdhsa_next_free_vgpr 1
		.amdhsa_next_free_sgpr 1
		.amdhsa_reserve_vcc 0
		.amdhsa_reserve_flat_scratch 0
		.amdhsa_float_round_mode_32 0
		.amdhsa_float_round_mode_16_64 0
		.amdhsa_float_denorm_mode_32 3
		.amdhsa_float_denorm_mode_16_64 3
		.amdhsa_dx10_clamp 1
		.amdhsa_ieee_mode 1
		.amdhsa_fp16_overflow 0
		.amdhsa_workgroup_processor_mode 1
		.amdhsa_memory_ordered 1
		.amdhsa_forward_progress 1
		.amdhsa_shared_vgpr_count 0
		.amdhsa_exception_fp_ieee_invalid_op 0
		.amdhsa_exception_fp_denorm_src 0
		.amdhsa_exception_fp_ieee_div_zero 0
		.amdhsa_exception_fp_ieee_overflow 0
		.amdhsa_exception_fp_ieee_underflow 0
		.amdhsa_exception_fp_ieee_inexact 0
		.amdhsa_exception_int_div_zero 0
	.end_amdhsa_kernel
	.section	.text._ZN7rocprim17ROCPRIM_400000_NS6detail17trampoline_kernelINS0_14default_configENS1_36segmented_radix_sort_config_selectorIdlEEZNS1_25segmented_radix_sort_implIS3_Lb1EPKdPdPKlPlN2at6native12_GLOBAL__N_18offset_tEEE10hipError_tPvRmT1_PNSt15iterator_traitsISK_E10value_typeET2_T3_PNSL_ISQ_E10value_typeET4_jRbjT5_SW_jjP12ihipStream_tbEUlT_E1_NS1_11comp_targetILNS1_3genE2ELNS1_11target_archE906ELNS1_3gpuE6ELNS1_3repE0EEENS1_59segmented_radix_sort_warp_sort_small_config_static_selectorELNS0_4arch9wavefront6targetE0EEEvSK_,"axG",@progbits,_ZN7rocprim17ROCPRIM_400000_NS6detail17trampoline_kernelINS0_14default_configENS1_36segmented_radix_sort_config_selectorIdlEEZNS1_25segmented_radix_sort_implIS3_Lb1EPKdPdPKlPlN2at6native12_GLOBAL__N_18offset_tEEE10hipError_tPvRmT1_PNSt15iterator_traitsISK_E10value_typeET2_T3_PNSL_ISQ_E10value_typeET4_jRbjT5_SW_jjP12ihipStream_tbEUlT_E1_NS1_11comp_targetILNS1_3genE2ELNS1_11target_archE906ELNS1_3gpuE6ELNS1_3repE0EEENS1_59segmented_radix_sort_warp_sort_small_config_static_selectorELNS0_4arch9wavefront6targetE0EEEvSK_,comdat
.Lfunc_end1134:
	.size	_ZN7rocprim17ROCPRIM_400000_NS6detail17trampoline_kernelINS0_14default_configENS1_36segmented_radix_sort_config_selectorIdlEEZNS1_25segmented_radix_sort_implIS3_Lb1EPKdPdPKlPlN2at6native12_GLOBAL__N_18offset_tEEE10hipError_tPvRmT1_PNSt15iterator_traitsISK_E10value_typeET2_T3_PNSL_ISQ_E10value_typeET4_jRbjT5_SW_jjP12ihipStream_tbEUlT_E1_NS1_11comp_targetILNS1_3genE2ELNS1_11target_archE906ELNS1_3gpuE6ELNS1_3repE0EEENS1_59segmented_radix_sort_warp_sort_small_config_static_selectorELNS0_4arch9wavefront6targetE0EEEvSK_, .Lfunc_end1134-_ZN7rocprim17ROCPRIM_400000_NS6detail17trampoline_kernelINS0_14default_configENS1_36segmented_radix_sort_config_selectorIdlEEZNS1_25segmented_radix_sort_implIS3_Lb1EPKdPdPKlPlN2at6native12_GLOBAL__N_18offset_tEEE10hipError_tPvRmT1_PNSt15iterator_traitsISK_E10value_typeET2_T3_PNSL_ISQ_E10value_typeET4_jRbjT5_SW_jjP12ihipStream_tbEUlT_E1_NS1_11comp_targetILNS1_3genE2ELNS1_11target_archE906ELNS1_3gpuE6ELNS1_3repE0EEENS1_59segmented_radix_sort_warp_sort_small_config_static_selectorELNS0_4arch9wavefront6targetE0EEEvSK_
                                        ; -- End function
	.set _ZN7rocprim17ROCPRIM_400000_NS6detail17trampoline_kernelINS0_14default_configENS1_36segmented_radix_sort_config_selectorIdlEEZNS1_25segmented_radix_sort_implIS3_Lb1EPKdPdPKlPlN2at6native12_GLOBAL__N_18offset_tEEE10hipError_tPvRmT1_PNSt15iterator_traitsISK_E10value_typeET2_T3_PNSL_ISQ_E10value_typeET4_jRbjT5_SW_jjP12ihipStream_tbEUlT_E1_NS1_11comp_targetILNS1_3genE2ELNS1_11target_archE906ELNS1_3gpuE6ELNS1_3repE0EEENS1_59segmented_radix_sort_warp_sort_small_config_static_selectorELNS0_4arch9wavefront6targetE0EEEvSK_.num_vgpr, 0
	.set _ZN7rocprim17ROCPRIM_400000_NS6detail17trampoline_kernelINS0_14default_configENS1_36segmented_radix_sort_config_selectorIdlEEZNS1_25segmented_radix_sort_implIS3_Lb1EPKdPdPKlPlN2at6native12_GLOBAL__N_18offset_tEEE10hipError_tPvRmT1_PNSt15iterator_traitsISK_E10value_typeET2_T3_PNSL_ISQ_E10value_typeET4_jRbjT5_SW_jjP12ihipStream_tbEUlT_E1_NS1_11comp_targetILNS1_3genE2ELNS1_11target_archE906ELNS1_3gpuE6ELNS1_3repE0EEENS1_59segmented_radix_sort_warp_sort_small_config_static_selectorELNS0_4arch9wavefront6targetE0EEEvSK_.num_agpr, 0
	.set _ZN7rocprim17ROCPRIM_400000_NS6detail17trampoline_kernelINS0_14default_configENS1_36segmented_radix_sort_config_selectorIdlEEZNS1_25segmented_radix_sort_implIS3_Lb1EPKdPdPKlPlN2at6native12_GLOBAL__N_18offset_tEEE10hipError_tPvRmT1_PNSt15iterator_traitsISK_E10value_typeET2_T3_PNSL_ISQ_E10value_typeET4_jRbjT5_SW_jjP12ihipStream_tbEUlT_E1_NS1_11comp_targetILNS1_3genE2ELNS1_11target_archE906ELNS1_3gpuE6ELNS1_3repE0EEENS1_59segmented_radix_sort_warp_sort_small_config_static_selectorELNS0_4arch9wavefront6targetE0EEEvSK_.numbered_sgpr, 0
	.set _ZN7rocprim17ROCPRIM_400000_NS6detail17trampoline_kernelINS0_14default_configENS1_36segmented_radix_sort_config_selectorIdlEEZNS1_25segmented_radix_sort_implIS3_Lb1EPKdPdPKlPlN2at6native12_GLOBAL__N_18offset_tEEE10hipError_tPvRmT1_PNSt15iterator_traitsISK_E10value_typeET2_T3_PNSL_ISQ_E10value_typeET4_jRbjT5_SW_jjP12ihipStream_tbEUlT_E1_NS1_11comp_targetILNS1_3genE2ELNS1_11target_archE906ELNS1_3gpuE6ELNS1_3repE0EEENS1_59segmented_radix_sort_warp_sort_small_config_static_selectorELNS0_4arch9wavefront6targetE0EEEvSK_.num_named_barrier, 0
	.set _ZN7rocprim17ROCPRIM_400000_NS6detail17trampoline_kernelINS0_14default_configENS1_36segmented_radix_sort_config_selectorIdlEEZNS1_25segmented_radix_sort_implIS3_Lb1EPKdPdPKlPlN2at6native12_GLOBAL__N_18offset_tEEE10hipError_tPvRmT1_PNSt15iterator_traitsISK_E10value_typeET2_T3_PNSL_ISQ_E10value_typeET4_jRbjT5_SW_jjP12ihipStream_tbEUlT_E1_NS1_11comp_targetILNS1_3genE2ELNS1_11target_archE906ELNS1_3gpuE6ELNS1_3repE0EEENS1_59segmented_radix_sort_warp_sort_small_config_static_selectorELNS0_4arch9wavefront6targetE0EEEvSK_.private_seg_size, 0
	.set _ZN7rocprim17ROCPRIM_400000_NS6detail17trampoline_kernelINS0_14default_configENS1_36segmented_radix_sort_config_selectorIdlEEZNS1_25segmented_radix_sort_implIS3_Lb1EPKdPdPKlPlN2at6native12_GLOBAL__N_18offset_tEEE10hipError_tPvRmT1_PNSt15iterator_traitsISK_E10value_typeET2_T3_PNSL_ISQ_E10value_typeET4_jRbjT5_SW_jjP12ihipStream_tbEUlT_E1_NS1_11comp_targetILNS1_3genE2ELNS1_11target_archE906ELNS1_3gpuE6ELNS1_3repE0EEENS1_59segmented_radix_sort_warp_sort_small_config_static_selectorELNS0_4arch9wavefront6targetE0EEEvSK_.uses_vcc, 0
	.set _ZN7rocprim17ROCPRIM_400000_NS6detail17trampoline_kernelINS0_14default_configENS1_36segmented_radix_sort_config_selectorIdlEEZNS1_25segmented_radix_sort_implIS3_Lb1EPKdPdPKlPlN2at6native12_GLOBAL__N_18offset_tEEE10hipError_tPvRmT1_PNSt15iterator_traitsISK_E10value_typeET2_T3_PNSL_ISQ_E10value_typeET4_jRbjT5_SW_jjP12ihipStream_tbEUlT_E1_NS1_11comp_targetILNS1_3genE2ELNS1_11target_archE906ELNS1_3gpuE6ELNS1_3repE0EEENS1_59segmented_radix_sort_warp_sort_small_config_static_selectorELNS0_4arch9wavefront6targetE0EEEvSK_.uses_flat_scratch, 0
	.set _ZN7rocprim17ROCPRIM_400000_NS6detail17trampoline_kernelINS0_14default_configENS1_36segmented_radix_sort_config_selectorIdlEEZNS1_25segmented_radix_sort_implIS3_Lb1EPKdPdPKlPlN2at6native12_GLOBAL__N_18offset_tEEE10hipError_tPvRmT1_PNSt15iterator_traitsISK_E10value_typeET2_T3_PNSL_ISQ_E10value_typeET4_jRbjT5_SW_jjP12ihipStream_tbEUlT_E1_NS1_11comp_targetILNS1_3genE2ELNS1_11target_archE906ELNS1_3gpuE6ELNS1_3repE0EEENS1_59segmented_radix_sort_warp_sort_small_config_static_selectorELNS0_4arch9wavefront6targetE0EEEvSK_.has_dyn_sized_stack, 0
	.set _ZN7rocprim17ROCPRIM_400000_NS6detail17trampoline_kernelINS0_14default_configENS1_36segmented_radix_sort_config_selectorIdlEEZNS1_25segmented_radix_sort_implIS3_Lb1EPKdPdPKlPlN2at6native12_GLOBAL__N_18offset_tEEE10hipError_tPvRmT1_PNSt15iterator_traitsISK_E10value_typeET2_T3_PNSL_ISQ_E10value_typeET4_jRbjT5_SW_jjP12ihipStream_tbEUlT_E1_NS1_11comp_targetILNS1_3genE2ELNS1_11target_archE906ELNS1_3gpuE6ELNS1_3repE0EEENS1_59segmented_radix_sort_warp_sort_small_config_static_selectorELNS0_4arch9wavefront6targetE0EEEvSK_.has_recursion, 0
	.set _ZN7rocprim17ROCPRIM_400000_NS6detail17trampoline_kernelINS0_14default_configENS1_36segmented_radix_sort_config_selectorIdlEEZNS1_25segmented_radix_sort_implIS3_Lb1EPKdPdPKlPlN2at6native12_GLOBAL__N_18offset_tEEE10hipError_tPvRmT1_PNSt15iterator_traitsISK_E10value_typeET2_T3_PNSL_ISQ_E10value_typeET4_jRbjT5_SW_jjP12ihipStream_tbEUlT_E1_NS1_11comp_targetILNS1_3genE2ELNS1_11target_archE906ELNS1_3gpuE6ELNS1_3repE0EEENS1_59segmented_radix_sort_warp_sort_small_config_static_selectorELNS0_4arch9wavefront6targetE0EEEvSK_.has_indirect_call, 0
	.section	.AMDGPU.csdata,"",@progbits
; Kernel info:
; codeLenInByte = 0
; TotalNumSgprs: 0
; NumVgprs: 0
; ScratchSize: 0
; MemoryBound: 0
; FloatMode: 240
; IeeeMode: 1
; LDSByteSize: 0 bytes/workgroup (compile time only)
; SGPRBlocks: 0
; VGPRBlocks: 0
; NumSGPRsForWavesPerEU: 1
; NumVGPRsForWavesPerEU: 1
; Occupancy: 16
; WaveLimiterHint : 0
; COMPUTE_PGM_RSRC2:SCRATCH_EN: 0
; COMPUTE_PGM_RSRC2:USER_SGPR: 6
; COMPUTE_PGM_RSRC2:TRAP_HANDLER: 0
; COMPUTE_PGM_RSRC2:TGID_X_EN: 1
; COMPUTE_PGM_RSRC2:TGID_Y_EN: 0
; COMPUTE_PGM_RSRC2:TGID_Z_EN: 0
; COMPUTE_PGM_RSRC2:TIDIG_COMP_CNT: 0
	.section	.text._ZN7rocprim17ROCPRIM_400000_NS6detail17trampoline_kernelINS0_14default_configENS1_36segmented_radix_sort_config_selectorIdlEEZNS1_25segmented_radix_sort_implIS3_Lb1EPKdPdPKlPlN2at6native12_GLOBAL__N_18offset_tEEE10hipError_tPvRmT1_PNSt15iterator_traitsISK_E10value_typeET2_T3_PNSL_ISQ_E10value_typeET4_jRbjT5_SW_jjP12ihipStream_tbEUlT_E1_NS1_11comp_targetILNS1_3genE10ELNS1_11target_archE1201ELNS1_3gpuE5ELNS1_3repE0EEENS1_59segmented_radix_sort_warp_sort_small_config_static_selectorELNS0_4arch9wavefront6targetE0EEEvSK_,"axG",@progbits,_ZN7rocprim17ROCPRIM_400000_NS6detail17trampoline_kernelINS0_14default_configENS1_36segmented_radix_sort_config_selectorIdlEEZNS1_25segmented_radix_sort_implIS3_Lb1EPKdPdPKlPlN2at6native12_GLOBAL__N_18offset_tEEE10hipError_tPvRmT1_PNSt15iterator_traitsISK_E10value_typeET2_T3_PNSL_ISQ_E10value_typeET4_jRbjT5_SW_jjP12ihipStream_tbEUlT_E1_NS1_11comp_targetILNS1_3genE10ELNS1_11target_archE1201ELNS1_3gpuE5ELNS1_3repE0EEENS1_59segmented_radix_sort_warp_sort_small_config_static_selectorELNS0_4arch9wavefront6targetE0EEEvSK_,comdat
	.globl	_ZN7rocprim17ROCPRIM_400000_NS6detail17trampoline_kernelINS0_14default_configENS1_36segmented_radix_sort_config_selectorIdlEEZNS1_25segmented_radix_sort_implIS3_Lb1EPKdPdPKlPlN2at6native12_GLOBAL__N_18offset_tEEE10hipError_tPvRmT1_PNSt15iterator_traitsISK_E10value_typeET2_T3_PNSL_ISQ_E10value_typeET4_jRbjT5_SW_jjP12ihipStream_tbEUlT_E1_NS1_11comp_targetILNS1_3genE10ELNS1_11target_archE1201ELNS1_3gpuE5ELNS1_3repE0EEENS1_59segmented_radix_sort_warp_sort_small_config_static_selectorELNS0_4arch9wavefront6targetE0EEEvSK_ ; -- Begin function _ZN7rocprim17ROCPRIM_400000_NS6detail17trampoline_kernelINS0_14default_configENS1_36segmented_radix_sort_config_selectorIdlEEZNS1_25segmented_radix_sort_implIS3_Lb1EPKdPdPKlPlN2at6native12_GLOBAL__N_18offset_tEEE10hipError_tPvRmT1_PNSt15iterator_traitsISK_E10value_typeET2_T3_PNSL_ISQ_E10value_typeET4_jRbjT5_SW_jjP12ihipStream_tbEUlT_E1_NS1_11comp_targetILNS1_3genE10ELNS1_11target_archE1201ELNS1_3gpuE5ELNS1_3repE0EEENS1_59segmented_radix_sort_warp_sort_small_config_static_selectorELNS0_4arch9wavefront6targetE0EEEvSK_
	.p2align	8
	.type	_ZN7rocprim17ROCPRIM_400000_NS6detail17trampoline_kernelINS0_14default_configENS1_36segmented_radix_sort_config_selectorIdlEEZNS1_25segmented_radix_sort_implIS3_Lb1EPKdPdPKlPlN2at6native12_GLOBAL__N_18offset_tEEE10hipError_tPvRmT1_PNSt15iterator_traitsISK_E10value_typeET2_T3_PNSL_ISQ_E10value_typeET4_jRbjT5_SW_jjP12ihipStream_tbEUlT_E1_NS1_11comp_targetILNS1_3genE10ELNS1_11target_archE1201ELNS1_3gpuE5ELNS1_3repE0EEENS1_59segmented_radix_sort_warp_sort_small_config_static_selectorELNS0_4arch9wavefront6targetE0EEEvSK_,@function
_ZN7rocprim17ROCPRIM_400000_NS6detail17trampoline_kernelINS0_14default_configENS1_36segmented_radix_sort_config_selectorIdlEEZNS1_25segmented_radix_sort_implIS3_Lb1EPKdPdPKlPlN2at6native12_GLOBAL__N_18offset_tEEE10hipError_tPvRmT1_PNSt15iterator_traitsISK_E10value_typeET2_T3_PNSL_ISQ_E10value_typeET4_jRbjT5_SW_jjP12ihipStream_tbEUlT_E1_NS1_11comp_targetILNS1_3genE10ELNS1_11target_archE1201ELNS1_3gpuE5ELNS1_3repE0EEENS1_59segmented_radix_sort_warp_sort_small_config_static_selectorELNS0_4arch9wavefront6targetE0EEEvSK_: ; @_ZN7rocprim17ROCPRIM_400000_NS6detail17trampoline_kernelINS0_14default_configENS1_36segmented_radix_sort_config_selectorIdlEEZNS1_25segmented_radix_sort_implIS3_Lb1EPKdPdPKlPlN2at6native12_GLOBAL__N_18offset_tEEE10hipError_tPvRmT1_PNSt15iterator_traitsISK_E10value_typeET2_T3_PNSL_ISQ_E10value_typeET4_jRbjT5_SW_jjP12ihipStream_tbEUlT_E1_NS1_11comp_targetILNS1_3genE10ELNS1_11target_archE1201ELNS1_3gpuE5ELNS1_3repE0EEENS1_59segmented_radix_sort_warp_sort_small_config_static_selectorELNS0_4arch9wavefront6targetE0EEEvSK_
; %bb.0:
	.section	.rodata,"a",@progbits
	.p2align	6, 0x0
	.amdhsa_kernel _ZN7rocprim17ROCPRIM_400000_NS6detail17trampoline_kernelINS0_14default_configENS1_36segmented_radix_sort_config_selectorIdlEEZNS1_25segmented_radix_sort_implIS3_Lb1EPKdPdPKlPlN2at6native12_GLOBAL__N_18offset_tEEE10hipError_tPvRmT1_PNSt15iterator_traitsISK_E10value_typeET2_T3_PNSL_ISQ_E10value_typeET4_jRbjT5_SW_jjP12ihipStream_tbEUlT_E1_NS1_11comp_targetILNS1_3genE10ELNS1_11target_archE1201ELNS1_3gpuE5ELNS1_3repE0EEENS1_59segmented_radix_sort_warp_sort_small_config_static_selectorELNS0_4arch9wavefront6targetE0EEEvSK_
		.amdhsa_group_segment_fixed_size 0
		.amdhsa_private_segment_fixed_size 0
		.amdhsa_kernarg_size 88
		.amdhsa_user_sgpr_count 6
		.amdhsa_user_sgpr_private_segment_buffer 1
		.amdhsa_user_sgpr_dispatch_ptr 0
		.amdhsa_user_sgpr_queue_ptr 0
		.amdhsa_user_sgpr_kernarg_segment_ptr 1
		.amdhsa_user_sgpr_dispatch_id 0
		.amdhsa_user_sgpr_flat_scratch_init 0
		.amdhsa_user_sgpr_private_segment_size 0
		.amdhsa_wavefront_size32 1
		.amdhsa_uses_dynamic_stack 0
		.amdhsa_system_sgpr_private_segment_wavefront_offset 0
		.amdhsa_system_sgpr_workgroup_id_x 1
		.amdhsa_system_sgpr_workgroup_id_y 0
		.amdhsa_system_sgpr_workgroup_id_z 0
		.amdhsa_system_sgpr_workgroup_info 0
		.amdhsa_system_vgpr_workitem_id 0
		.amdhsa_next_free_vgpr 1
		.amdhsa_next_free_sgpr 1
		.amdhsa_reserve_vcc 0
		.amdhsa_reserve_flat_scratch 0
		.amdhsa_float_round_mode_32 0
		.amdhsa_float_round_mode_16_64 0
		.amdhsa_float_denorm_mode_32 3
		.amdhsa_float_denorm_mode_16_64 3
		.amdhsa_dx10_clamp 1
		.amdhsa_ieee_mode 1
		.amdhsa_fp16_overflow 0
		.amdhsa_workgroup_processor_mode 1
		.amdhsa_memory_ordered 1
		.amdhsa_forward_progress 1
		.amdhsa_shared_vgpr_count 0
		.amdhsa_exception_fp_ieee_invalid_op 0
		.amdhsa_exception_fp_denorm_src 0
		.amdhsa_exception_fp_ieee_div_zero 0
		.amdhsa_exception_fp_ieee_overflow 0
		.amdhsa_exception_fp_ieee_underflow 0
		.amdhsa_exception_fp_ieee_inexact 0
		.amdhsa_exception_int_div_zero 0
	.end_amdhsa_kernel
	.section	.text._ZN7rocprim17ROCPRIM_400000_NS6detail17trampoline_kernelINS0_14default_configENS1_36segmented_radix_sort_config_selectorIdlEEZNS1_25segmented_radix_sort_implIS3_Lb1EPKdPdPKlPlN2at6native12_GLOBAL__N_18offset_tEEE10hipError_tPvRmT1_PNSt15iterator_traitsISK_E10value_typeET2_T3_PNSL_ISQ_E10value_typeET4_jRbjT5_SW_jjP12ihipStream_tbEUlT_E1_NS1_11comp_targetILNS1_3genE10ELNS1_11target_archE1201ELNS1_3gpuE5ELNS1_3repE0EEENS1_59segmented_radix_sort_warp_sort_small_config_static_selectorELNS0_4arch9wavefront6targetE0EEEvSK_,"axG",@progbits,_ZN7rocprim17ROCPRIM_400000_NS6detail17trampoline_kernelINS0_14default_configENS1_36segmented_radix_sort_config_selectorIdlEEZNS1_25segmented_radix_sort_implIS3_Lb1EPKdPdPKlPlN2at6native12_GLOBAL__N_18offset_tEEE10hipError_tPvRmT1_PNSt15iterator_traitsISK_E10value_typeET2_T3_PNSL_ISQ_E10value_typeET4_jRbjT5_SW_jjP12ihipStream_tbEUlT_E1_NS1_11comp_targetILNS1_3genE10ELNS1_11target_archE1201ELNS1_3gpuE5ELNS1_3repE0EEENS1_59segmented_radix_sort_warp_sort_small_config_static_selectorELNS0_4arch9wavefront6targetE0EEEvSK_,comdat
.Lfunc_end1135:
	.size	_ZN7rocprim17ROCPRIM_400000_NS6detail17trampoline_kernelINS0_14default_configENS1_36segmented_radix_sort_config_selectorIdlEEZNS1_25segmented_radix_sort_implIS3_Lb1EPKdPdPKlPlN2at6native12_GLOBAL__N_18offset_tEEE10hipError_tPvRmT1_PNSt15iterator_traitsISK_E10value_typeET2_T3_PNSL_ISQ_E10value_typeET4_jRbjT5_SW_jjP12ihipStream_tbEUlT_E1_NS1_11comp_targetILNS1_3genE10ELNS1_11target_archE1201ELNS1_3gpuE5ELNS1_3repE0EEENS1_59segmented_radix_sort_warp_sort_small_config_static_selectorELNS0_4arch9wavefront6targetE0EEEvSK_, .Lfunc_end1135-_ZN7rocprim17ROCPRIM_400000_NS6detail17trampoline_kernelINS0_14default_configENS1_36segmented_radix_sort_config_selectorIdlEEZNS1_25segmented_radix_sort_implIS3_Lb1EPKdPdPKlPlN2at6native12_GLOBAL__N_18offset_tEEE10hipError_tPvRmT1_PNSt15iterator_traitsISK_E10value_typeET2_T3_PNSL_ISQ_E10value_typeET4_jRbjT5_SW_jjP12ihipStream_tbEUlT_E1_NS1_11comp_targetILNS1_3genE10ELNS1_11target_archE1201ELNS1_3gpuE5ELNS1_3repE0EEENS1_59segmented_radix_sort_warp_sort_small_config_static_selectorELNS0_4arch9wavefront6targetE0EEEvSK_
                                        ; -- End function
	.set _ZN7rocprim17ROCPRIM_400000_NS6detail17trampoline_kernelINS0_14default_configENS1_36segmented_radix_sort_config_selectorIdlEEZNS1_25segmented_radix_sort_implIS3_Lb1EPKdPdPKlPlN2at6native12_GLOBAL__N_18offset_tEEE10hipError_tPvRmT1_PNSt15iterator_traitsISK_E10value_typeET2_T3_PNSL_ISQ_E10value_typeET4_jRbjT5_SW_jjP12ihipStream_tbEUlT_E1_NS1_11comp_targetILNS1_3genE10ELNS1_11target_archE1201ELNS1_3gpuE5ELNS1_3repE0EEENS1_59segmented_radix_sort_warp_sort_small_config_static_selectorELNS0_4arch9wavefront6targetE0EEEvSK_.num_vgpr, 0
	.set _ZN7rocprim17ROCPRIM_400000_NS6detail17trampoline_kernelINS0_14default_configENS1_36segmented_radix_sort_config_selectorIdlEEZNS1_25segmented_radix_sort_implIS3_Lb1EPKdPdPKlPlN2at6native12_GLOBAL__N_18offset_tEEE10hipError_tPvRmT1_PNSt15iterator_traitsISK_E10value_typeET2_T3_PNSL_ISQ_E10value_typeET4_jRbjT5_SW_jjP12ihipStream_tbEUlT_E1_NS1_11comp_targetILNS1_3genE10ELNS1_11target_archE1201ELNS1_3gpuE5ELNS1_3repE0EEENS1_59segmented_radix_sort_warp_sort_small_config_static_selectorELNS0_4arch9wavefront6targetE0EEEvSK_.num_agpr, 0
	.set _ZN7rocprim17ROCPRIM_400000_NS6detail17trampoline_kernelINS0_14default_configENS1_36segmented_radix_sort_config_selectorIdlEEZNS1_25segmented_radix_sort_implIS3_Lb1EPKdPdPKlPlN2at6native12_GLOBAL__N_18offset_tEEE10hipError_tPvRmT1_PNSt15iterator_traitsISK_E10value_typeET2_T3_PNSL_ISQ_E10value_typeET4_jRbjT5_SW_jjP12ihipStream_tbEUlT_E1_NS1_11comp_targetILNS1_3genE10ELNS1_11target_archE1201ELNS1_3gpuE5ELNS1_3repE0EEENS1_59segmented_radix_sort_warp_sort_small_config_static_selectorELNS0_4arch9wavefront6targetE0EEEvSK_.numbered_sgpr, 0
	.set _ZN7rocprim17ROCPRIM_400000_NS6detail17trampoline_kernelINS0_14default_configENS1_36segmented_radix_sort_config_selectorIdlEEZNS1_25segmented_radix_sort_implIS3_Lb1EPKdPdPKlPlN2at6native12_GLOBAL__N_18offset_tEEE10hipError_tPvRmT1_PNSt15iterator_traitsISK_E10value_typeET2_T3_PNSL_ISQ_E10value_typeET4_jRbjT5_SW_jjP12ihipStream_tbEUlT_E1_NS1_11comp_targetILNS1_3genE10ELNS1_11target_archE1201ELNS1_3gpuE5ELNS1_3repE0EEENS1_59segmented_radix_sort_warp_sort_small_config_static_selectorELNS0_4arch9wavefront6targetE0EEEvSK_.num_named_barrier, 0
	.set _ZN7rocprim17ROCPRIM_400000_NS6detail17trampoline_kernelINS0_14default_configENS1_36segmented_radix_sort_config_selectorIdlEEZNS1_25segmented_radix_sort_implIS3_Lb1EPKdPdPKlPlN2at6native12_GLOBAL__N_18offset_tEEE10hipError_tPvRmT1_PNSt15iterator_traitsISK_E10value_typeET2_T3_PNSL_ISQ_E10value_typeET4_jRbjT5_SW_jjP12ihipStream_tbEUlT_E1_NS1_11comp_targetILNS1_3genE10ELNS1_11target_archE1201ELNS1_3gpuE5ELNS1_3repE0EEENS1_59segmented_radix_sort_warp_sort_small_config_static_selectorELNS0_4arch9wavefront6targetE0EEEvSK_.private_seg_size, 0
	.set _ZN7rocprim17ROCPRIM_400000_NS6detail17trampoline_kernelINS0_14default_configENS1_36segmented_radix_sort_config_selectorIdlEEZNS1_25segmented_radix_sort_implIS3_Lb1EPKdPdPKlPlN2at6native12_GLOBAL__N_18offset_tEEE10hipError_tPvRmT1_PNSt15iterator_traitsISK_E10value_typeET2_T3_PNSL_ISQ_E10value_typeET4_jRbjT5_SW_jjP12ihipStream_tbEUlT_E1_NS1_11comp_targetILNS1_3genE10ELNS1_11target_archE1201ELNS1_3gpuE5ELNS1_3repE0EEENS1_59segmented_radix_sort_warp_sort_small_config_static_selectorELNS0_4arch9wavefront6targetE0EEEvSK_.uses_vcc, 0
	.set _ZN7rocprim17ROCPRIM_400000_NS6detail17trampoline_kernelINS0_14default_configENS1_36segmented_radix_sort_config_selectorIdlEEZNS1_25segmented_radix_sort_implIS3_Lb1EPKdPdPKlPlN2at6native12_GLOBAL__N_18offset_tEEE10hipError_tPvRmT1_PNSt15iterator_traitsISK_E10value_typeET2_T3_PNSL_ISQ_E10value_typeET4_jRbjT5_SW_jjP12ihipStream_tbEUlT_E1_NS1_11comp_targetILNS1_3genE10ELNS1_11target_archE1201ELNS1_3gpuE5ELNS1_3repE0EEENS1_59segmented_radix_sort_warp_sort_small_config_static_selectorELNS0_4arch9wavefront6targetE0EEEvSK_.uses_flat_scratch, 0
	.set _ZN7rocprim17ROCPRIM_400000_NS6detail17trampoline_kernelINS0_14default_configENS1_36segmented_radix_sort_config_selectorIdlEEZNS1_25segmented_radix_sort_implIS3_Lb1EPKdPdPKlPlN2at6native12_GLOBAL__N_18offset_tEEE10hipError_tPvRmT1_PNSt15iterator_traitsISK_E10value_typeET2_T3_PNSL_ISQ_E10value_typeET4_jRbjT5_SW_jjP12ihipStream_tbEUlT_E1_NS1_11comp_targetILNS1_3genE10ELNS1_11target_archE1201ELNS1_3gpuE5ELNS1_3repE0EEENS1_59segmented_radix_sort_warp_sort_small_config_static_selectorELNS0_4arch9wavefront6targetE0EEEvSK_.has_dyn_sized_stack, 0
	.set _ZN7rocprim17ROCPRIM_400000_NS6detail17trampoline_kernelINS0_14default_configENS1_36segmented_radix_sort_config_selectorIdlEEZNS1_25segmented_radix_sort_implIS3_Lb1EPKdPdPKlPlN2at6native12_GLOBAL__N_18offset_tEEE10hipError_tPvRmT1_PNSt15iterator_traitsISK_E10value_typeET2_T3_PNSL_ISQ_E10value_typeET4_jRbjT5_SW_jjP12ihipStream_tbEUlT_E1_NS1_11comp_targetILNS1_3genE10ELNS1_11target_archE1201ELNS1_3gpuE5ELNS1_3repE0EEENS1_59segmented_radix_sort_warp_sort_small_config_static_selectorELNS0_4arch9wavefront6targetE0EEEvSK_.has_recursion, 0
	.set _ZN7rocprim17ROCPRIM_400000_NS6detail17trampoline_kernelINS0_14default_configENS1_36segmented_radix_sort_config_selectorIdlEEZNS1_25segmented_radix_sort_implIS3_Lb1EPKdPdPKlPlN2at6native12_GLOBAL__N_18offset_tEEE10hipError_tPvRmT1_PNSt15iterator_traitsISK_E10value_typeET2_T3_PNSL_ISQ_E10value_typeET4_jRbjT5_SW_jjP12ihipStream_tbEUlT_E1_NS1_11comp_targetILNS1_3genE10ELNS1_11target_archE1201ELNS1_3gpuE5ELNS1_3repE0EEENS1_59segmented_radix_sort_warp_sort_small_config_static_selectorELNS0_4arch9wavefront6targetE0EEEvSK_.has_indirect_call, 0
	.section	.AMDGPU.csdata,"",@progbits
; Kernel info:
; codeLenInByte = 0
; TotalNumSgprs: 0
; NumVgprs: 0
; ScratchSize: 0
; MemoryBound: 0
; FloatMode: 240
; IeeeMode: 1
; LDSByteSize: 0 bytes/workgroup (compile time only)
; SGPRBlocks: 0
; VGPRBlocks: 0
; NumSGPRsForWavesPerEU: 1
; NumVGPRsForWavesPerEU: 1
; Occupancy: 16
; WaveLimiterHint : 0
; COMPUTE_PGM_RSRC2:SCRATCH_EN: 0
; COMPUTE_PGM_RSRC2:USER_SGPR: 6
; COMPUTE_PGM_RSRC2:TRAP_HANDLER: 0
; COMPUTE_PGM_RSRC2:TGID_X_EN: 1
; COMPUTE_PGM_RSRC2:TGID_Y_EN: 0
; COMPUTE_PGM_RSRC2:TGID_Z_EN: 0
; COMPUTE_PGM_RSRC2:TIDIG_COMP_CNT: 0
	.section	.text._ZN7rocprim17ROCPRIM_400000_NS6detail17trampoline_kernelINS0_14default_configENS1_36segmented_radix_sort_config_selectorIdlEEZNS1_25segmented_radix_sort_implIS3_Lb1EPKdPdPKlPlN2at6native12_GLOBAL__N_18offset_tEEE10hipError_tPvRmT1_PNSt15iterator_traitsISK_E10value_typeET2_T3_PNSL_ISQ_E10value_typeET4_jRbjT5_SW_jjP12ihipStream_tbEUlT_E1_NS1_11comp_targetILNS1_3genE10ELNS1_11target_archE1200ELNS1_3gpuE4ELNS1_3repE0EEENS1_59segmented_radix_sort_warp_sort_small_config_static_selectorELNS0_4arch9wavefront6targetE0EEEvSK_,"axG",@progbits,_ZN7rocprim17ROCPRIM_400000_NS6detail17trampoline_kernelINS0_14default_configENS1_36segmented_radix_sort_config_selectorIdlEEZNS1_25segmented_radix_sort_implIS3_Lb1EPKdPdPKlPlN2at6native12_GLOBAL__N_18offset_tEEE10hipError_tPvRmT1_PNSt15iterator_traitsISK_E10value_typeET2_T3_PNSL_ISQ_E10value_typeET4_jRbjT5_SW_jjP12ihipStream_tbEUlT_E1_NS1_11comp_targetILNS1_3genE10ELNS1_11target_archE1200ELNS1_3gpuE4ELNS1_3repE0EEENS1_59segmented_radix_sort_warp_sort_small_config_static_selectorELNS0_4arch9wavefront6targetE0EEEvSK_,comdat
	.globl	_ZN7rocprim17ROCPRIM_400000_NS6detail17trampoline_kernelINS0_14default_configENS1_36segmented_radix_sort_config_selectorIdlEEZNS1_25segmented_radix_sort_implIS3_Lb1EPKdPdPKlPlN2at6native12_GLOBAL__N_18offset_tEEE10hipError_tPvRmT1_PNSt15iterator_traitsISK_E10value_typeET2_T3_PNSL_ISQ_E10value_typeET4_jRbjT5_SW_jjP12ihipStream_tbEUlT_E1_NS1_11comp_targetILNS1_3genE10ELNS1_11target_archE1200ELNS1_3gpuE4ELNS1_3repE0EEENS1_59segmented_radix_sort_warp_sort_small_config_static_selectorELNS0_4arch9wavefront6targetE0EEEvSK_ ; -- Begin function _ZN7rocprim17ROCPRIM_400000_NS6detail17trampoline_kernelINS0_14default_configENS1_36segmented_radix_sort_config_selectorIdlEEZNS1_25segmented_radix_sort_implIS3_Lb1EPKdPdPKlPlN2at6native12_GLOBAL__N_18offset_tEEE10hipError_tPvRmT1_PNSt15iterator_traitsISK_E10value_typeET2_T3_PNSL_ISQ_E10value_typeET4_jRbjT5_SW_jjP12ihipStream_tbEUlT_E1_NS1_11comp_targetILNS1_3genE10ELNS1_11target_archE1200ELNS1_3gpuE4ELNS1_3repE0EEENS1_59segmented_radix_sort_warp_sort_small_config_static_selectorELNS0_4arch9wavefront6targetE0EEEvSK_
	.p2align	8
	.type	_ZN7rocprim17ROCPRIM_400000_NS6detail17trampoline_kernelINS0_14default_configENS1_36segmented_radix_sort_config_selectorIdlEEZNS1_25segmented_radix_sort_implIS3_Lb1EPKdPdPKlPlN2at6native12_GLOBAL__N_18offset_tEEE10hipError_tPvRmT1_PNSt15iterator_traitsISK_E10value_typeET2_T3_PNSL_ISQ_E10value_typeET4_jRbjT5_SW_jjP12ihipStream_tbEUlT_E1_NS1_11comp_targetILNS1_3genE10ELNS1_11target_archE1200ELNS1_3gpuE4ELNS1_3repE0EEENS1_59segmented_radix_sort_warp_sort_small_config_static_selectorELNS0_4arch9wavefront6targetE0EEEvSK_,@function
_ZN7rocprim17ROCPRIM_400000_NS6detail17trampoline_kernelINS0_14default_configENS1_36segmented_radix_sort_config_selectorIdlEEZNS1_25segmented_radix_sort_implIS3_Lb1EPKdPdPKlPlN2at6native12_GLOBAL__N_18offset_tEEE10hipError_tPvRmT1_PNSt15iterator_traitsISK_E10value_typeET2_T3_PNSL_ISQ_E10value_typeET4_jRbjT5_SW_jjP12ihipStream_tbEUlT_E1_NS1_11comp_targetILNS1_3genE10ELNS1_11target_archE1200ELNS1_3gpuE4ELNS1_3repE0EEENS1_59segmented_radix_sort_warp_sort_small_config_static_selectorELNS0_4arch9wavefront6targetE0EEEvSK_: ; @_ZN7rocprim17ROCPRIM_400000_NS6detail17trampoline_kernelINS0_14default_configENS1_36segmented_radix_sort_config_selectorIdlEEZNS1_25segmented_radix_sort_implIS3_Lb1EPKdPdPKlPlN2at6native12_GLOBAL__N_18offset_tEEE10hipError_tPvRmT1_PNSt15iterator_traitsISK_E10value_typeET2_T3_PNSL_ISQ_E10value_typeET4_jRbjT5_SW_jjP12ihipStream_tbEUlT_E1_NS1_11comp_targetILNS1_3genE10ELNS1_11target_archE1200ELNS1_3gpuE4ELNS1_3repE0EEENS1_59segmented_radix_sort_warp_sort_small_config_static_selectorELNS0_4arch9wavefront6targetE0EEEvSK_
; %bb.0:
	.section	.rodata,"a",@progbits
	.p2align	6, 0x0
	.amdhsa_kernel _ZN7rocprim17ROCPRIM_400000_NS6detail17trampoline_kernelINS0_14default_configENS1_36segmented_radix_sort_config_selectorIdlEEZNS1_25segmented_radix_sort_implIS3_Lb1EPKdPdPKlPlN2at6native12_GLOBAL__N_18offset_tEEE10hipError_tPvRmT1_PNSt15iterator_traitsISK_E10value_typeET2_T3_PNSL_ISQ_E10value_typeET4_jRbjT5_SW_jjP12ihipStream_tbEUlT_E1_NS1_11comp_targetILNS1_3genE10ELNS1_11target_archE1200ELNS1_3gpuE4ELNS1_3repE0EEENS1_59segmented_radix_sort_warp_sort_small_config_static_selectorELNS0_4arch9wavefront6targetE0EEEvSK_
		.amdhsa_group_segment_fixed_size 0
		.amdhsa_private_segment_fixed_size 0
		.amdhsa_kernarg_size 88
		.amdhsa_user_sgpr_count 6
		.amdhsa_user_sgpr_private_segment_buffer 1
		.amdhsa_user_sgpr_dispatch_ptr 0
		.amdhsa_user_sgpr_queue_ptr 0
		.amdhsa_user_sgpr_kernarg_segment_ptr 1
		.amdhsa_user_sgpr_dispatch_id 0
		.amdhsa_user_sgpr_flat_scratch_init 0
		.amdhsa_user_sgpr_private_segment_size 0
		.amdhsa_wavefront_size32 1
		.amdhsa_uses_dynamic_stack 0
		.amdhsa_system_sgpr_private_segment_wavefront_offset 0
		.amdhsa_system_sgpr_workgroup_id_x 1
		.amdhsa_system_sgpr_workgroup_id_y 0
		.amdhsa_system_sgpr_workgroup_id_z 0
		.amdhsa_system_sgpr_workgroup_info 0
		.amdhsa_system_vgpr_workitem_id 0
		.amdhsa_next_free_vgpr 1
		.amdhsa_next_free_sgpr 1
		.amdhsa_reserve_vcc 0
		.amdhsa_reserve_flat_scratch 0
		.amdhsa_float_round_mode_32 0
		.amdhsa_float_round_mode_16_64 0
		.amdhsa_float_denorm_mode_32 3
		.amdhsa_float_denorm_mode_16_64 3
		.amdhsa_dx10_clamp 1
		.amdhsa_ieee_mode 1
		.amdhsa_fp16_overflow 0
		.amdhsa_workgroup_processor_mode 1
		.amdhsa_memory_ordered 1
		.amdhsa_forward_progress 1
		.amdhsa_shared_vgpr_count 0
		.amdhsa_exception_fp_ieee_invalid_op 0
		.amdhsa_exception_fp_denorm_src 0
		.amdhsa_exception_fp_ieee_div_zero 0
		.amdhsa_exception_fp_ieee_overflow 0
		.amdhsa_exception_fp_ieee_underflow 0
		.amdhsa_exception_fp_ieee_inexact 0
		.amdhsa_exception_int_div_zero 0
	.end_amdhsa_kernel
	.section	.text._ZN7rocprim17ROCPRIM_400000_NS6detail17trampoline_kernelINS0_14default_configENS1_36segmented_radix_sort_config_selectorIdlEEZNS1_25segmented_radix_sort_implIS3_Lb1EPKdPdPKlPlN2at6native12_GLOBAL__N_18offset_tEEE10hipError_tPvRmT1_PNSt15iterator_traitsISK_E10value_typeET2_T3_PNSL_ISQ_E10value_typeET4_jRbjT5_SW_jjP12ihipStream_tbEUlT_E1_NS1_11comp_targetILNS1_3genE10ELNS1_11target_archE1200ELNS1_3gpuE4ELNS1_3repE0EEENS1_59segmented_radix_sort_warp_sort_small_config_static_selectorELNS0_4arch9wavefront6targetE0EEEvSK_,"axG",@progbits,_ZN7rocprim17ROCPRIM_400000_NS6detail17trampoline_kernelINS0_14default_configENS1_36segmented_radix_sort_config_selectorIdlEEZNS1_25segmented_radix_sort_implIS3_Lb1EPKdPdPKlPlN2at6native12_GLOBAL__N_18offset_tEEE10hipError_tPvRmT1_PNSt15iterator_traitsISK_E10value_typeET2_T3_PNSL_ISQ_E10value_typeET4_jRbjT5_SW_jjP12ihipStream_tbEUlT_E1_NS1_11comp_targetILNS1_3genE10ELNS1_11target_archE1200ELNS1_3gpuE4ELNS1_3repE0EEENS1_59segmented_radix_sort_warp_sort_small_config_static_selectorELNS0_4arch9wavefront6targetE0EEEvSK_,comdat
.Lfunc_end1136:
	.size	_ZN7rocprim17ROCPRIM_400000_NS6detail17trampoline_kernelINS0_14default_configENS1_36segmented_radix_sort_config_selectorIdlEEZNS1_25segmented_radix_sort_implIS3_Lb1EPKdPdPKlPlN2at6native12_GLOBAL__N_18offset_tEEE10hipError_tPvRmT1_PNSt15iterator_traitsISK_E10value_typeET2_T3_PNSL_ISQ_E10value_typeET4_jRbjT5_SW_jjP12ihipStream_tbEUlT_E1_NS1_11comp_targetILNS1_3genE10ELNS1_11target_archE1200ELNS1_3gpuE4ELNS1_3repE0EEENS1_59segmented_radix_sort_warp_sort_small_config_static_selectorELNS0_4arch9wavefront6targetE0EEEvSK_, .Lfunc_end1136-_ZN7rocprim17ROCPRIM_400000_NS6detail17trampoline_kernelINS0_14default_configENS1_36segmented_radix_sort_config_selectorIdlEEZNS1_25segmented_radix_sort_implIS3_Lb1EPKdPdPKlPlN2at6native12_GLOBAL__N_18offset_tEEE10hipError_tPvRmT1_PNSt15iterator_traitsISK_E10value_typeET2_T3_PNSL_ISQ_E10value_typeET4_jRbjT5_SW_jjP12ihipStream_tbEUlT_E1_NS1_11comp_targetILNS1_3genE10ELNS1_11target_archE1200ELNS1_3gpuE4ELNS1_3repE0EEENS1_59segmented_radix_sort_warp_sort_small_config_static_selectorELNS0_4arch9wavefront6targetE0EEEvSK_
                                        ; -- End function
	.set _ZN7rocprim17ROCPRIM_400000_NS6detail17trampoline_kernelINS0_14default_configENS1_36segmented_radix_sort_config_selectorIdlEEZNS1_25segmented_radix_sort_implIS3_Lb1EPKdPdPKlPlN2at6native12_GLOBAL__N_18offset_tEEE10hipError_tPvRmT1_PNSt15iterator_traitsISK_E10value_typeET2_T3_PNSL_ISQ_E10value_typeET4_jRbjT5_SW_jjP12ihipStream_tbEUlT_E1_NS1_11comp_targetILNS1_3genE10ELNS1_11target_archE1200ELNS1_3gpuE4ELNS1_3repE0EEENS1_59segmented_radix_sort_warp_sort_small_config_static_selectorELNS0_4arch9wavefront6targetE0EEEvSK_.num_vgpr, 0
	.set _ZN7rocprim17ROCPRIM_400000_NS6detail17trampoline_kernelINS0_14default_configENS1_36segmented_radix_sort_config_selectorIdlEEZNS1_25segmented_radix_sort_implIS3_Lb1EPKdPdPKlPlN2at6native12_GLOBAL__N_18offset_tEEE10hipError_tPvRmT1_PNSt15iterator_traitsISK_E10value_typeET2_T3_PNSL_ISQ_E10value_typeET4_jRbjT5_SW_jjP12ihipStream_tbEUlT_E1_NS1_11comp_targetILNS1_3genE10ELNS1_11target_archE1200ELNS1_3gpuE4ELNS1_3repE0EEENS1_59segmented_radix_sort_warp_sort_small_config_static_selectorELNS0_4arch9wavefront6targetE0EEEvSK_.num_agpr, 0
	.set _ZN7rocprim17ROCPRIM_400000_NS6detail17trampoline_kernelINS0_14default_configENS1_36segmented_radix_sort_config_selectorIdlEEZNS1_25segmented_radix_sort_implIS3_Lb1EPKdPdPKlPlN2at6native12_GLOBAL__N_18offset_tEEE10hipError_tPvRmT1_PNSt15iterator_traitsISK_E10value_typeET2_T3_PNSL_ISQ_E10value_typeET4_jRbjT5_SW_jjP12ihipStream_tbEUlT_E1_NS1_11comp_targetILNS1_3genE10ELNS1_11target_archE1200ELNS1_3gpuE4ELNS1_3repE0EEENS1_59segmented_radix_sort_warp_sort_small_config_static_selectorELNS0_4arch9wavefront6targetE0EEEvSK_.numbered_sgpr, 0
	.set _ZN7rocprim17ROCPRIM_400000_NS6detail17trampoline_kernelINS0_14default_configENS1_36segmented_radix_sort_config_selectorIdlEEZNS1_25segmented_radix_sort_implIS3_Lb1EPKdPdPKlPlN2at6native12_GLOBAL__N_18offset_tEEE10hipError_tPvRmT1_PNSt15iterator_traitsISK_E10value_typeET2_T3_PNSL_ISQ_E10value_typeET4_jRbjT5_SW_jjP12ihipStream_tbEUlT_E1_NS1_11comp_targetILNS1_3genE10ELNS1_11target_archE1200ELNS1_3gpuE4ELNS1_3repE0EEENS1_59segmented_radix_sort_warp_sort_small_config_static_selectorELNS0_4arch9wavefront6targetE0EEEvSK_.num_named_barrier, 0
	.set _ZN7rocprim17ROCPRIM_400000_NS6detail17trampoline_kernelINS0_14default_configENS1_36segmented_radix_sort_config_selectorIdlEEZNS1_25segmented_radix_sort_implIS3_Lb1EPKdPdPKlPlN2at6native12_GLOBAL__N_18offset_tEEE10hipError_tPvRmT1_PNSt15iterator_traitsISK_E10value_typeET2_T3_PNSL_ISQ_E10value_typeET4_jRbjT5_SW_jjP12ihipStream_tbEUlT_E1_NS1_11comp_targetILNS1_3genE10ELNS1_11target_archE1200ELNS1_3gpuE4ELNS1_3repE0EEENS1_59segmented_radix_sort_warp_sort_small_config_static_selectorELNS0_4arch9wavefront6targetE0EEEvSK_.private_seg_size, 0
	.set _ZN7rocprim17ROCPRIM_400000_NS6detail17trampoline_kernelINS0_14default_configENS1_36segmented_radix_sort_config_selectorIdlEEZNS1_25segmented_radix_sort_implIS3_Lb1EPKdPdPKlPlN2at6native12_GLOBAL__N_18offset_tEEE10hipError_tPvRmT1_PNSt15iterator_traitsISK_E10value_typeET2_T3_PNSL_ISQ_E10value_typeET4_jRbjT5_SW_jjP12ihipStream_tbEUlT_E1_NS1_11comp_targetILNS1_3genE10ELNS1_11target_archE1200ELNS1_3gpuE4ELNS1_3repE0EEENS1_59segmented_radix_sort_warp_sort_small_config_static_selectorELNS0_4arch9wavefront6targetE0EEEvSK_.uses_vcc, 0
	.set _ZN7rocprim17ROCPRIM_400000_NS6detail17trampoline_kernelINS0_14default_configENS1_36segmented_radix_sort_config_selectorIdlEEZNS1_25segmented_radix_sort_implIS3_Lb1EPKdPdPKlPlN2at6native12_GLOBAL__N_18offset_tEEE10hipError_tPvRmT1_PNSt15iterator_traitsISK_E10value_typeET2_T3_PNSL_ISQ_E10value_typeET4_jRbjT5_SW_jjP12ihipStream_tbEUlT_E1_NS1_11comp_targetILNS1_3genE10ELNS1_11target_archE1200ELNS1_3gpuE4ELNS1_3repE0EEENS1_59segmented_radix_sort_warp_sort_small_config_static_selectorELNS0_4arch9wavefront6targetE0EEEvSK_.uses_flat_scratch, 0
	.set _ZN7rocprim17ROCPRIM_400000_NS6detail17trampoline_kernelINS0_14default_configENS1_36segmented_radix_sort_config_selectorIdlEEZNS1_25segmented_radix_sort_implIS3_Lb1EPKdPdPKlPlN2at6native12_GLOBAL__N_18offset_tEEE10hipError_tPvRmT1_PNSt15iterator_traitsISK_E10value_typeET2_T3_PNSL_ISQ_E10value_typeET4_jRbjT5_SW_jjP12ihipStream_tbEUlT_E1_NS1_11comp_targetILNS1_3genE10ELNS1_11target_archE1200ELNS1_3gpuE4ELNS1_3repE0EEENS1_59segmented_radix_sort_warp_sort_small_config_static_selectorELNS0_4arch9wavefront6targetE0EEEvSK_.has_dyn_sized_stack, 0
	.set _ZN7rocprim17ROCPRIM_400000_NS6detail17trampoline_kernelINS0_14default_configENS1_36segmented_radix_sort_config_selectorIdlEEZNS1_25segmented_radix_sort_implIS3_Lb1EPKdPdPKlPlN2at6native12_GLOBAL__N_18offset_tEEE10hipError_tPvRmT1_PNSt15iterator_traitsISK_E10value_typeET2_T3_PNSL_ISQ_E10value_typeET4_jRbjT5_SW_jjP12ihipStream_tbEUlT_E1_NS1_11comp_targetILNS1_3genE10ELNS1_11target_archE1200ELNS1_3gpuE4ELNS1_3repE0EEENS1_59segmented_radix_sort_warp_sort_small_config_static_selectorELNS0_4arch9wavefront6targetE0EEEvSK_.has_recursion, 0
	.set _ZN7rocprim17ROCPRIM_400000_NS6detail17trampoline_kernelINS0_14default_configENS1_36segmented_radix_sort_config_selectorIdlEEZNS1_25segmented_radix_sort_implIS3_Lb1EPKdPdPKlPlN2at6native12_GLOBAL__N_18offset_tEEE10hipError_tPvRmT1_PNSt15iterator_traitsISK_E10value_typeET2_T3_PNSL_ISQ_E10value_typeET4_jRbjT5_SW_jjP12ihipStream_tbEUlT_E1_NS1_11comp_targetILNS1_3genE10ELNS1_11target_archE1200ELNS1_3gpuE4ELNS1_3repE0EEENS1_59segmented_radix_sort_warp_sort_small_config_static_selectorELNS0_4arch9wavefront6targetE0EEEvSK_.has_indirect_call, 0
	.section	.AMDGPU.csdata,"",@progbits
; Kernel info:
; codeLenInByte = 0
; TotalNumSgprs: 0
; NumVgprs: 0
; ScratchSize: 0
; MemoryBound: 0
; FloatMode: 240
; IeeeMode: 1
; LDSByteSize: 0 bytes/workgroup (compile time only)
; SGPRBlocks: 0
; VGPRBlocks: 0
; NumSGPRsForWavesPerEU: 1
; NumVGPRsForWavesPerEU: 1
; Occupancy: 16
; WaveLimiterHint : 0
; COMPUTE_PGM_RSRC2:SCRATCH_EN: 0
; COMPUTE_PGM_RSRC2:USER_SGPR: 6
; COMPUTE_PGM_RSRC2:TRAP_HANDLER: 0
; COMPUTE_PGM_RSRC2:TGID_X_EN: 1
; COMPUTE_PGM_RSRC2:TGID_Y_EN: 0
; COMPUTE_PGM_RSRC2:TGID_Z_EN: 0
; COMPUTE_PGM_RSRC2:TIDIG_COMP_CNT: 0
	.section	.text._ZN7rocprim17ROCPRIM_400000_NS6detail17trampoline_kernelINS0_14default_configENS1_36segmented_radix_sort_config_selectorIdlEEZNS1_25segmented_radix_sort_implIS3_Lb1EPKdPdPKlPlN2at6native12_GLOBAL__N_18offset_tEEE10hipError_tPvRmT1_PNSt15iterator_traitsISK_E10value_typeET2_T3_PNSL_ISQ_E10value_typeET4_jRbjT5_SW_jjP12ihipStream_tbEUlT_E1_NS1_11comp_targetILNS1_3genE9ELNS1_11target_archE1100ELNS1_3gpuE3ELNS1_3repE0EEENS1_59segmented_radix_sort_warp_sort_small_config_static_selectorELNS0_4arch9wavefront6targetE0EEEvSK_,"axG",@progbits,_ZN7rocprim17ROCPRIM_400000_NS6detail17trampoline_kernelINS0_14default_configENS1_36segmented_radix_sort_config_selectorIdlEEZNS1_25segmented_radix_sort_implIS3_Lb1EPKdPdPKlPlN2at6native12_GLOBAL__N_18offset_tEEE10hipError_tPvRmT1_PNSt15iterator_traitsISK_E10value_typeET2_T3_PNSL_ISQ_E10value_typeET4_jRbjT5_SW_jjP12ihipStream_tbEUlT_E1_NS1_11comp_targetILNS1_3genE9ELNS1_11target_archE1100ELNS1_3gpuE3ELNS1_3repE0EEENS1_59segmented_radix_sort_warp_sort_small_config_static_selectorELNS0_4arch9wavefront6targetE0EEEvSK_,comdat
	.globl	_ZN7rocprim17ROCPRIM_400000_NS6detail17trampoline_kernelINS0_14default_configENS1_36segmented_radix_sort_config_selectorIdlEEZNS1_25segmented_radix_sort_implIS3_Lb1EPKdPdPKlPlN2at6native12_GLOBAL__N_18offset_tEEE10hipError_tPvRmT1_PNSt15iterator_traitsISK_E10value_typeET2_T3_PNSL_ISQ_E10value_typeET4_jRbjT5_SW_jjP12ihipStream_tbEUlT_E1_NS1_11comp_targetILNS1_3genE9ELNS1_11target_archE1100ELNS1_3gpuE3ELNS1_3repE0EEENS1_59segmented_radix_sort_warp_sort_small_config_static_selectorELNS0_4arch9wavefront6targetE0EEEvSK_ ; -- Begin function _ZN7rocprim17ROCPRIM_400000_NS6detail17trampoline_kernelINS0_14default_configENS1_36segmented_radix_sort_config_selectorIdlEEZNS1_25segmented_radix_sort_implIS3_Lb1EPKdPdPKlPlN2at6native12_GLOBAL__N_18offset_tEEE10hipError_tPvRmT1_PNSt15iterator_traitsISK_E10value_typeET2_T3_PNSL_ISQ_E10value_typeET4_jRbjT5_SW_jjP12ihipStream_tbEUlT_E1_NS1_11comp_targetILNS1_3genE9ELNS1_11target_archE1100ELNS1_3gpuE3ELNS1_3repE0EEENS1_59segmented_radix_sort_warp_sort_small_config_static_selectorELNS0_4arch9wavefront6targetE0EEEvSK_
	.p2align	8
	.type	_ZN7rocprim17ROCPRIM_400000_NS6detail17trampoline_kernelINS0_14default_configENS1_36segmented_radix_sort_config_selectorIdlEEZNS1_25segmented_radix_sort_implIS3_Lb1EPKdPdPKlPlN2at6native12_GLOBAL__N_18offset_tEEE10hipError_tPvRmT1_PNSt15iterator_traitsISK_E10value_typeET2_T3_PNSL_ISQ_E10value_typeET4_jRbjT5_SW_jjP12ihipStream_tbEUlT_E1_NS1_11comp_targetILNS1_3genE9ELNS1_11target_archE1100ELNS1_3gpuE3ELNS1_3repE0EEENS1_59segmented_radix_sort_warp_sort_small_config_static_selectorELNS0_4arch9wavefront6targetE0EEEvSK_,@function
_ZN7rocprim17ROCPRIM_400000_NS6detail17trampoline_kernelINS0_14default_configENS1_36segmented_radix_sort_config_selectorIdlEEZNS1_25segmented_radix_sort_implIS3_Lb1EPKdPdPKlPlN2at6native12_GLOBAL__N_18offset_tEEE10hipError_tPvRmT1_PNSt15iterator_traitsISK_E10value_typeET2_T3_PNSL_ISQ_E10value_typeET4_jRbjT5_SW_jjP12ihipStream_tbEUlT_E1_NS1_11comp_targetILNS1_3genE9ELNS1_11target_archE1100ELNS1_3gpuE3ELNS1_3repE0EEENS1_59segmented_radix_sort_warp_sort_small_config_static_selectorELNS0_4arch9wavefront6targetE0EEEvSK_: ; @_ZN7rocprim17ROCPRIM_400000_NS6detail17trampoline_kernelINS0_14default_configENS1_36segmented_radix_sort_config_selectorIdlEEZNS1_25segmented_radix_sort_implIS3_Lb1EPKdPdPKlPlN2at6native12_GLOBAL__N_18offset_tEEE10hipError_tPvRmT1_PNSt15iterator_traitsISK_E10value_typeET2_T3_PNSL_ISQ_E10value_typeET4_jRbjT5_SW_jjP12ihipStream_tbEUlT_E1_NS1_11comp_targetILNS1_3genE9ELNS1_11target_archE1100ELNS1_3gpuE3ELNS1_3repE0EEENS1_59segmented_radix_sort_warp_sort_small_config_static_selectorELNS0_4arch9wavefront6targetE0EEEvSK_
; %bb.0:
	.section	.rodata,"a",@progbits
	.p2align	6, 0x0
	.amdhsa_kernel _ZN7rocprim17ROCPRIM_400000_NS6detail17trampoline_kernelINS0_14default_configENS1_36segmented_radix_sort_config_selectorIdlEEZNS1_25segmented_radix_sort_implIS3_Lb1EPKdPdPKlPlN2at6native12_GLOBAL__N_18offset_tEEE10hipError_tPvRmT1_PNSt15iterator_traitsISK_E10value_typeET2_T3_PNSL_ISQ_E10value_typeET4_jRbjT5_SW_jjP12ihipStream_tbEUlT_E1_NS1_11comp_targetILNS1_3genE9ELNS1_11target_archE1100ELNS1_3gpuE3ELNS1_3repE0EEENS1_59segmented_radix_sort_warp_sort_small_config_static_selectorELNS0_4arch9wavefront6targetE0EEEvSK_
		.amdhsa_group_segment_fixed_size 0
		.amdhsa_private_segment_fixed_size 0
		.amdhsa_kernarg_size 88
		.amdhsa_user_sgpr_count 6
		.amdhsa_user_sgpr_private_segment_buffer 1
		.amdhsa_user_sgpr_dispatch_ptr 0
		.amdhsa_user_sgpr_queue_ptr 0
		.amdhsa_user_sgpr_kernarg_segment_ptr 1
		.amdhsa_user_sgpr_dispatch_id 0
		.amdhsa_user_sgpr_flat_scratch_init 0
		.amdhsa_user_sgpr_private_segment_size 0
		.amdhsa_wavefront_size32 1
		.amdhsa_uses_dynamic_stack 0
		.amdhsa_system_sgpr_private_segment_wavefront_offset 0
		.amdhsa_system_sgpr_workgroup_id_x 1
		.amdhsa_system_sgpr_workgroup_id_y 0
		.amdhsa_system_sgpr_workgroup_id_z 0
		.amdhsa_system_sgpr_workgroup_info 0
		.amdhsa_system_vgpr_workitem_id 0
		.amdhsa_next_free_vgpr 1
		.amdhsa_next_free_sgpr 1
		.amdhsa_reserve_vcc 0
		.amdhsa_reserve_flat_scratch 0
		.amdhsa_float_round_mode_32 0
		.amdhsa_float_round_mode_16_64 0
		.amdhsa_float_denorm_mode_32 3
		.amdhsa_float_denorm_mode_16_64 3
		.amdhsa_dx10_clamp 1
		.amdhsa_ieee_mode 1
		.amdhsa_fp16_overflow 0
		.amdhsa_workgroup_processor_mode 1
		.amdhsa_memory_ordered 1
		.amdhsa_forward_progress 1
		.amdhsa_shared_vgpr_count 0
		.amdhsa_exception_fp_ieee_invalid_op 0
		.amdhsa_exception_fp_denorm_src 0
		.amdhsa_exception_fp_ieee_div_zero 0
		.amdhsa_exception_fp_ieee_overflow 0
		.amdhsa_exception_fp_ieee_underflow 0
		.amdhsa_exception_fp_ieee_inexact 0
		.amdhsa_exception_int_div_zero 0
	.end_amdhsa_kernel
	.section	.text._ZN7rocprim17ROCPRIM_400000_NS6detail17trampoline_kernelINS0_14default_configENS1_36segmented_radix_sort_config_selectorIdlEEZNS1_25segmented_radix_sort_implIS3_Lb1EPKdPdPKlPlN2at6native12_GLOBAL__N_18offset_tEEE10hipError_tPvRmT1_PNSt15iterator_traitsISK_E10value_typeET2_T3_PNSL_ISQ_E10value_typeET4_jRbjT5_SW_jjP12ihipStream_tbEUlT_E1_NS1_11comp_targetILNS1_3genE9ELNS1_11target_archE1100ELNS1_3gpuE3ELNS1_3repE0EEENS1_59segmented_radix_sort_warp_sort_small_config_static_selectorELNS0_4arch9wavefront6targetE0EEEvSK_,"axG",@progbits,_ZN7rocprim17ROCPRIM_400000_NS6detail17trampoline_kernelINS0_14default_configENS1_36segmented_radix_sort_config_selectorIdlEEZNS1_25segmented_radix_sort_implIS3_Lb1EPKdPdPKlPlN2at6native12_GLOBAL__N_18offset_tEEE10hipError_tPvRmT1_PNSt15iterator_traitsISK_E10value_typeET2_T3_PNSL_ISQ_E10value_typeET4_jRbjT5_SW_jjP12ihipStream_tbEUlT_E1_NS1_11comp_targetILNS1_3genE9ELNS1_11target_archE1100ELNS1_3gpuE3ELNS1_3repE0EEENS1_59segmented_radix_sort_warp_sort_small_config_static_selectorELNS0_4arch9wavefront6targetE0EEEvSK_,comdat
.Lfunc_end1137:
	.size	_ZN7rocprim17ROCPRIM_400000_NS6detail17trampoline_kernelINS0_14default_configENS1_36segmented_radix_sort_config_selectorIdlEEZNS1_25segmented_radix_sort_implIS3_Lb1EPKdPdPKlPlN2at6native12_GLOBAL__N_18offset_tEEE10hipError_tPvRmT1_PNSt15iterator_traitsISK_E10value_typeET2_T3_PNSL_ISQ_E10value_typeET4_jRbjT5_SW_jjP12ihipStream_tbEUlT_E1_NS1_11comp_targetILNS1_3genE9ELNS1_11target_archE1100ELNS1_3gpuE3ELNS1_3repE0EEENS1_59segmented_radix_sort_warp_sort_small_config_static_selectorELNS0_4arch9wavefront6targetE0EEEvSK_, .Lfunc_end1137-_ZN7rocprim17ROCPRIM_400000_NS6detail17trampoline_kernelINS0_14default_configENS1_36segmented_radix_sort_config_selectorIdlEEZNS1_25segmented_radix_sort_implIS3_Lb1EPKdPdPKlPlN2at6native12_GLOBAL__N_18offset_tEEE10hipError_tPvRmT1_PNSt15iterator_traitsISK_E10value_typeET2_T3_PNSL_ISQ_E10value_typeET4_jRbjT5_SW_jjP12ihipStream_tbEUlT_E1_NS1_11comp_targetILNS1_3genE9ELNS1_11target_archE1100ELNS1_3gpuE3ELNS1_3repE0EEENS1_59segmented_radix_sort_warp_sort_small_config_static_selectorELNS0_4arch9wavefront6targetE0EEEvSK_
                                        ; -- End function
	.set _ZN7rocprim17ROCPRIM_400000_NS6detail17trampoline_kernelINS0_14default_configENS1_36segmented_radix_sort_config_selectorIdlEEZNS1_25segmented_radix_sort_implIS3_Lb1EPKdPdPKlPlN2at6native12_GLOBAL__N_18offset_tEEE10hipError_tPvRmT1_PNSt15iterator_traitsISK_E10value_typeET2_T3_PNSL_ISQ_E10value_typeET4_jRbjT5_SW_jjP12ihipStream_tbEUlT_E1_NS1_11comp_targetILNS1_3genE9ELNS1_11target_archE1100ELNS1_3gpuE3ELNS1_3repE0EEENS1_59segmented_radix_sort_warp_sort_small_config_static_selectorELNS0_4arch9wavefront6targetE0EEEvSK_.num_vgpr, 0
	.set _ZN7rocprim17ROCPRIM_400000_NS6detail17trampoline_kernelINS0_14default_configENS1_36segmented_radix_sort_config_selectorIdlEEZNS1_25segmented_radix_sort_implIS3_Lb1EPKdPdPKlPlN2at6native12_GLOBAL__N_18offset_tEEE10hipError_tPvRmT1_PNSt15iterator_traitsISK_E10value_typeET2_T3_PNSL_ISQ_E10value_typeET4_jRbjT5_SW_jjP12ihipStream_tbEUlT_E1_NS1_11comp_targetILNS1_3genE9ELNS1_11target_archE1100ELNS1_3gpuE3ELNS1_3repE0EEENS1_59segmented_radix_sort_warp_sort_small_config_static_selectorELNS0_4arch9wavefront6targetE0EEEvSK_.num_agpr, 0
	.set _ZN7rocprim17ROCPRIM_400000_NS6detail17trampoline_kernelINS0_14default_configENS1_36segmented_radix_sort_config_selectorIdlEEZNS1_25segmented_radix_sort_implIS3_Lb1EPKdPdPKlPlN2at6native12_GLOBAL__N_18offset_tEEE10hipError_tPvRmT1_PNSt15iterator_traitsISK_E10value_typeET2_T3_PNSL_ISQ_E10value_typeET4_jRbjT5_SW_jjP12ihipStream_tbEUlT_E1_NS1_11comp_targetILNS1_3genE9ELNS1_11target_archE1100ELNS1_3gpuE3ELNS1_3repE0EEENS1_59segmented_radix_sort_warp_sort_small_config_static_selectorELNS0_4arch9wavefront6targetE0EEEvSK_.numbered_sgpr, 0
	.set _ZN7rocprim17ROCPRIM_400000_NS6detail17trampoline_kernelINS0_14default_configENS1_36segmented_radix_sort_config_selectorIdlEEZNS1_25segmented_radix_sort_implIS3_Lb1EPKdPdPKlPlN2at6native12_GLOBAL__N_18offset_tEEE10hipError_tPvRmT1_PNSt15iterator_traitsISK_E10value_typeET2_T3_PNSL_ISQ_E10value_typeET4_jRbjT5_SW_jjP12ihipStream_tbEUlT_E1_NS1_11comp_targetILNS1_3genE9ELNS1_11target_archE1100ELNS1_3gpuE3ELNS1_3repE0EEENS1_59segmented_radix_sort_warp_sort_small_config_static_selectorELNS0_4arch9wavefront6targetE0EEEvSK_.num_named_barrier, 0
	.set _ZN7rocprim17ROCPRIM_400000_NS6detail17trampoline_kernelINS0_14default_configENS1_36segmented_radix_sort_config_selectorIdlEEZNS1_25segmented_radix_sort_implIS3_Lb1EPKdPdPKlPlN2at6native12_GLOBAL__N_18offset_tEEE10hipError_tPvRmT1_PNSt15iterator_traitsISK_E10value_typeET2_T3_PNSL_ISQ_E10value_typeET4_jRbjT5_SW_jjP12ihipStream_tbEUlT_E1_NS1_11comp_targetILNS1_3genE9ELNS1_11target_archE1100ELNS1_3gpuE3ELNS1_3repE0EEENS1_59segmented_radix_sort_warp_sort_small_config_static_selectorELNS0_4arch9wavefront6targetE0EEEvSK_.private_seg_size, 0
	.set _ZN7rocprim17ROCPRIM_400000_NS6detail17trampoline_kernelINS0_14default_configENS1_36segmented_radix_sort_config_selectorIdlEEZNS1_25segmented_radix_sort_implIS3_Lb1EPKdPdPKlPlN2at6native12_GLOBAL__N_18offset_tEEE10hipError_tPvRmT1_PNSt15iterator_traitsISK_E10value_typeET2_T3_PNSL_ISQ_E10value_typeET4_jRbjT5_SW_jjP12ihipStream_tbEUlT_E1_NS1_11comp_targetILNS1_3genE9ELNS1_11target_archE1100ELNS1_3gpuE3ELNS1_3repE0EEENS1_59segmented_radix_sort_warp_sort_small_config_static_selectorELNS0_4arch9wavefront6targetE0EEEvSK_.uses_vcc, 0
	.set _ZN7rocprim17ROCPRIM_400000_NS6detail17trampoline_kernelINS0_14default_configENS1_36segmented_radix_sort_config_selectorIdlEEZNS1_25segmented_radix_sort_implIS3_Lb1EPKdPdPKlPlN2at6native12_GLOBAL__N_18offset_tEEE10hipError_tPvRmT1_PNSt15iterator_traitsISK_E10value_typeET2_T3_PNSL_ISQ_E10value_typeET4_jRbjT5_SW_jjP12ihipStream_tbEUlT_E1_NS1_11comp_targetILNS1_3genE9ELNS1_11target_archE1100ELNS1_3gpuE3ELNS1_3repE0EEENS1_59segmented_radix_sort_warp_sort_small_config_static_selectorELNS0_4arch9wavefront6targetE0EEEvSK_.uses_flat_scratch, 0
	.set _ZN7rocprim17ROCPRIM_400000_NS6detail17trampoline_kernelINS0_14default_configENS1_36segmented_radix_sort_config_selectorIdlEEZNS1_25segmented_radix_sort_implIS3_Lb1EPKdPdPKlPlN2at6native12_GLOBAL__N_18offset_tEEE10hipError_tPvRmT1_PNSt15iterator_traitsISK_E10value_typeET2_T3_PNSL_ISQ_E10value_typeET4_jRbjT5_SW_jjP12ihipStream_tbEUlT_E1_NS1_11comp_targetILNS1_3genE9ELNS1_11target_archE1100ELNS1_3gpuE3ELNS1_3repE0EEENS1_59segmented_radix_sort_warp_sort_small_config_static_selectorELNS0_4arch9wavefront6targetE0EEEvSK_.has_dyn_sized_stack, 0
	.set _ZN7rocprim17ROCPRIM_400000_NS6detail17trampoline_kernelINS0_14default_configENS1_36segmented_radix_sort_config_selectorIdlEEZNS1_25segmented_radix_sort_implIS3_Lb1EPKdPdPKlPlN2at6native12_GLOBAL__N_18offset_tEEE10hipError_tPvRmT1_PNSt15iterator_traitsISK_E10value_typeET2_T3_PNSL_ISQ_E10value_typeET4_jRbjT5_SW_jjP12ihipStream_tbEUlT_E1_NS1_11comp_targetILNS1_3genE9ELNS1_11target_archE1100ELNS1_3gpuE3ELNS1_3repE0EEENS1_59segmented_radix_sort_warp_sort_small_config_static_selectorELNS0_4arch9wavefront6targetE0EEEvSK_.has_recursion, 0
	.set _ZN7rocprim17ROCPRIM_400000_NS6detail17trampoline_kernelINS0_14default_configENS1_36segmented_radix_sort_config_selectorIdlEEZNS1_25segmented_radix_sort_implIS3_Lb1EPKdPdPKlPlN2at6native12_GLOBAL__N_18offset_tEEE10hipError_tPvRmT1_PNSt15iterator_traitsISK_E10value_typeET2_T3_PNSL_ISQ_E10value_typeET4_jRbjT5_SW_jjP12ihipStream_tbEUlT_E1_NS1_11comp_targetILNS1_3genE9ELNS1_11target_archE1100ELNS1_3gpuE3ELNS1_3repE0EEENS1_59segmented_radix_sort_warp_sort_small_config_static_selectorELNS0_4arch9wavefront6targetE0EEEvSK_.has_indirect_call, 0
	.section	.AMDGPU.csdata,"",@progbits
; Kernel info:
; codeLenInByte = 0
; TotalNumSgprs: 0
; NumVgprs: 0
; ScratchSize: 0
; MemoryBound: 0
; FloatMode: 240
; IeeeMode: 1
; LDSByteSize: 0 bytes/workgroup (compile time only)
; SGPRBlocks: 0
; VGPRBlocks: 0
; NumSGPRsForWavesPerEU: 1
; NumVGPRsForWavesPerEU: 1
; Occupancy: 16
; WaveLimiterHint : 0
; COMPUTE_PGM_RSRC2:SCRATCH_EN: 0
; COMPUTE_PGM_RSRC2:USER_SGPR: 6
; COMPUTE_PGM_RSRC2:TRAP_HANDLER: 0
; COMPUTE_PGM_RSRC2:TGID_X_EN: 1
; COMPUTE_PGM_RSRC2:TGID_Y_EN: 0
; COMPUTE_PGM_RSRC2:TGID_Z_EN: 0
; COMPUTE_PGM_RSRC2:TIDIG_COMP_CNT: 0
	.text
	.p2align	2                               ; -- Begin function _ZN7rocprim17ROCPRIM_400000_NS6detail26segmented_warp_sort_helperINS1_20WarpSortHelperConfigILj8ELj8ELj256EEEdlLi256ELb1EvE4sortIPKdPdPKlPlEEvT_T0_T1_T2_jjjjRNS5_12storage_typeE
	.type	_ZN7rocprim17ROCPRIM_400000_NS6detail26segmented_warp_sort_helperINS1_20WarpSortHelperConfigILj8ELj8ELj256EEEdlLi256ELb1EvE4sortIPKdPdPKlPlEEvT_T0_T1_T2_jjjjRNS5_12storage_typeE,@function
_ZN7rocprim17ROCPRIM_400000_NS6detail26segmented_warp_sort_helperINS1_20WarpSortHelperConfigILj8ELj8ELj256EEEdlLi256ELb1EvE4sortIPKdPdPKlPlEEvT_T0_T1_T2_jjjjRNS5_12storage_typeE: ; @_ZN7rocprim17ROCPRIM_400000_NS6detail26segmented_warp_sort_helperINS1_20WarpSortHelperConfigILj8ELj8ELj256EEEdlLi256ELb1EvE4sortIPKdPdPKlPlEEvT_T0_T1_T2_jjjjRNS5_12storage_typeE
; %bb.0:
	s_waitcnt vmcnt(0) expcnt(0) lgkmcnt(0)
	v_mov_b32_e32 v11, v9
	v_mbcnt_lo_u32_b32 v9, -1, 0
	v_mov_b32_e32 v28, -1
	v_mov_b32_e32 v16, -1
	;; [unrolled: 1-line block ×4, first 2 shown]
	v_lshlrev_b32_e32 v80, 3, v9
	v_mov_b32_e32 v9, 0
	v_and_b32_e32 v71, 56, v80
	v_lshlrev_b64 v[12:13], 3, v[8:9]
	v_sub_nc_u32_e32 v8, v11, v8
	v_lshlrev_b32_e32 v70, 3, v71
	v_add_co_u32 v0, vcc_lo, v0, v12
	v_add_co_ci_u32_e64 v1, null, v1, v13, vcc_lo
	v_add_co_u32 v0, vcc_lo, v0, v70
	v_add_co_ci_u32_e64 v1, null, 0, v1, vcc_lo
	v_cmp_lt_u32_e32 vcc_lo, v71, v8
	s_and_saveexec_b32 s4, vcc_lo
	s_cbranch_execz .LBB1138_2
; %bb.1:
	flat_load_dwordx2 v[16:17], v[0:1]
.LBB1138_2:
	s_or_b32 exec_lo, exec_lo, s4
	v_or_b32_e32 v9, 1, v71
	v_cmp_lt_u32_e64 s4, v9, v8
	s_and_saveexec_b32 s5, s4
	s_cbranch_execz .LBB1138_4
; %bb.3:
	flat_load_dwordx2 v[28:29], v[0:1] offset:8
.LBB1138_4:
	s_or_b32 exec_lo, exec_lo, s5
	v_or_b32_e32 v9, 2, v71
	v_mov_b32_e32 v48, -1
	v_mov_b32_e32 v32, -1
	v_mov_b32_e32 v49, -1
	v_mov_b32_e32 v33, -1
	v_cmp_lt_u32_e64 s5, v9, v8
	s_and_saveexec_b32 s6, s5
	s_cbranch_execz .LBB1138_6
; %bb.5:
	flat_load_dwordx2 v[32:33], v[0:1] offset:16
.LBB1138_6:
	s_or_b32 exec_lo, exec_lo, s6
	v_or_b32_e32 v9, 3, v71
	v_cmp_lt_u32_e64 s6, v9, v8
	s_and_saveexec_b32 s7, s6
	s_cbranch_execz .LBB1138_8
; %bb.7:
	flat_load_dwordx2 v[48:49], v[0:1] offset:24
.LBB1138_8:
	s_or_b32 exec_lo, exec_lo, s7
	v_or_b32_e32 v9, 4, v71
	v_mov_b32_e32 v26, -1
	v_mov_b32_e32 v34, -1
	v_mov_b32_e32 v27, -1
	v_mov_b32_e32 v35, -1
	v_cmp_lt_u32_e64 s7, v9, v8
	s_and_saveexec_b32 s10, s7
	s_cbranch_execz .LBB1138_10
; %bb.9:
	flat_load_dwordx2 v[34:35], v[0:1] offset:32
.LBB1138_10:
	;; [unrolled: 20-line block ×3, first 2 shown]
	s_or_b32 exec_lo, exec_lo, s14
	v_or_b32_e32 v9, 7, v71
	v_cmp_lt_u32_e64 s14, v9, v8
	s_and_saveexec_b32 s15, s14
	s_cbranch_execz .LBB1138_16
; %bb.15:
	flat_load_dwordx2 v[18:19], v[0:1] offset:56
.LBB1138_16:
	s_or_b32 exec_lo, exec_lo, s15
	v_add_co_u32 v0, s15, v4, v12
	v_add_co_ci_u32_e64 v1, null, v5, v13, s15
	v_add_co_u32 v50, s15, v0, v70
	v_add_co_ci_u32_e64 v51, null, 0, v1, s15
	; wave barrier
                                        ; implicit-def: $vgpr0_vgpr1
	s_and_saveexec_b32 s15, vcc_lo
	s_cbranch_execnz .LBB1138_221
; %bb.17:
	s_or_b32 exec_lo, exec_lo, s15
                                        ; implicit-def: $vgpr4_vgpr5
	s_and_saveexec_b32 s15, s4
	s_cbranch_execnz .LBB1138_222
.LBB1138_18:
	s_or_b32 exec_lo, exec_lo, s15
                                        ; implicit-def: $vgpr8_vgpr9
	s_and_saveexec_b32 s15, s5
	s_cbranch_execnz .LBB1138_223
.LBB1138_19:
	s_or_b32 exec_lo, exec_lo, s15
                                        ; implicit-def: $vgpr14_vgpr15
	s_and_saveexec_b32 s15, s6
	s_cbranch_execnz .LBB1138_224
.LBB1138_20:
	s_or_b32 exec_lo, exec_lo, s15
                                        ; implicit-def: $vgpr20_vgpr21
	s_and_saveexec_b32 s15, s7
	s_cbranch_execnz .LBB1138_225
.LBB1138_21:
	s_or_b32 exec_lo, exec_lo, s15
                                        ; implicit-def: $vgpr24_vgpr25
	s_and_saveexec_b32 s15, s10
	s_cbranch_execnz .LBB1138_226
.LBB1138_22:
	s_or_b32 exec_lo, exec_lo, s15
                                        ; implicit-def: $vgpr22_vgpr23
	s_and_saveexec_b32 s15, s11
	s_cbranch_execnz .LBB1138_227
.LBB1138_23:
	s_or_b32 exec_lo, exec_lo, s15
                                        ; implicit-def: $vgpr36_vgpr37
	s_and_saveexec_b32 s15, s14
	s_cbranch_execz .LBB1138_25
.LBB1138_24:
	flat_load_dwordx2 v[36:37], v[50:51] offset:56
.LBB1138_25:
	s_or_b32 exec_lo, exec_lo, s15
	; wave barrier
	s_load_dwordx2 s[16:17], s[8:9], 0x0
	v_mov_b32_e32 v11, 0
	v_bfe_u32 v50, v31, 10, 10
	v_bfe_u32 v51, v31, 20, 10
	s_waitcnt lgkmcnt(0)
	s_cmp_lt_u32 s13, s17
	s_cselect_b32 s13, 14, 20
	s_add_u32 s18, s8, s13
	s_addc_u32 s19, s9, 0
	s_cmp_lt_u32 s12, s16
	global_load_ushort v30, v11, s[18:19]
	s_cselect_b32 s12, 12, 18
	s_add_u32 s8, s8, s12
	s_addc_u32 s9, s9, 0
	global_load_ushort v11, v11, s[8:9]
	s_mov_b32 s9, exec_lo
	s_waitcnt vmcnt(1)
	v_mad_u32_u24 v30, v51, v30, v50
	s_waitcnt vmcnt(0)
	v_mul_lo_u32 v11, v30, v11
	v_and_b32_e32 v30, 0x3ff, v31
	v_add_lshl_u32 v11, v11, v30, 3
	v_cmpx_gt_u32_e32 0x800, v11
	s_cbranch_execz .LBB1138_83
; %bb.26:
	v_add_f64 v[30:31], v[28:29], 0
	v_add_f64 v[50:51], v[16:17], 0
	v_ashrrev_i32_e32 v52, 31, v31
	v_ashrrev_i32_e32 v53, 31, v51
	v_or_b32_e32 v54, 0x80000000, v52
	v_or_b32_e32 v55, 0x80000000, v53
	v_xor_b32_e32 v30, v52, v30
	v_xor_b32_e32 v50, v53, v50
	;; [unrolled: 1-line block ×4, first 2 shown]
	v_cmp_gt_u64_e64 s8, v[30:31], v[50:51]
	v_mov_b32_e32 v31, v29
	v_mov_b32_e32 v51, v5
	;; [unrolled: 1-line block ×4, first 2 shown]
	s_and_saveexec_b32 s12, s8
	s_cbranch_execz .LBB1138_28
; %bb.27:
	v_mov_b32_e32 v31, v17
	v_mov_b32_e32 v51, v1
	;; [unrolled: 1-line block ×8, first 2 shown]
.LBB1138_28:
	s_or_b32 exec_lo, exec_lo, s12
	v_add_f64 v[4:5], v[48:49], 0
	v_add_f64 v[28:29], v[32:33], 0
	v_ashrrev_i32_e32 v52, 31, v5
	v_ashrrev_i32_e32 v53, 31, v29
	v_or_b32_e32 v54, 0x80000000, v52
	v_or_b32_e32 v55, 0x80000000, v53
	v_xor_b32_e32 v4, v52, v4
	v_xor_b32_e32 v28, v53, v28
	;; [unrolled: 1-line block ×4, first 2 shown]
	v_mov_b32_e32 v55, v49
	v_mov_b32_e32 v54, v48
	v_cmp_gt_u64_e64 s8, v[4:5], v[28:29]
	v_mov_b32_e32 v29, v15
	v_mov_b32_e32 v28, v14
	s_and_saveexec_b32 s12, s8
	s_cbranch_execz .LBB1138_30
; %bb.29:
	v_mov_b32_e32 v55, v33
	v_mov_b32_e32 v29, v9
	v_mov_b32_e32 v54, v32
	v_mov_b32_e32 v32, v48
	v_mov_b32_e32 v28, v8
	v_mov_b32_e32 v8, v14
	v_mov_b32_e32 v33, v49
	v_mov_b32_e32 v9, v15
.LBB1138_30:
	s_or_b32 exec_lo, exec_lo, s12
	v_add_f64 v[4:5], v[26:27], 0
	v_add_f64 v[14:15], v[34:35], 0
	v_ashrrev_i32_e32 v48, 31, v5
	v_ashrrev_i32_e32 v49, 31, v15
	v_or_b32_e32 v52, 0x80000000, v48
	v_or_b32_e32 v53, 0x80000000, v49
	v_xor_b32_e32 v4, v48, v4
	v_xor_b32_e32 v14, v49, v14
	;; [unrolled: 1-line block ×4, first 2 shown]
	v_mov_b32_e32 v53, v35
	v_mov_b32_e32 v52, v34
	v_cmp_gt_u64_e64 s8, v[4:5], v[14:15]
	v_mov_b32_e32 v14, v24
	v_mov_b32_e32 v15, v25
	s_and_saveexec_b32 s12, s8
	s_cbranch_execz .LBB1138_32
; %bb.31:
	v_mov_b32_e32 v14, v20
	v_mov_b32_e32 v53, v27
	;; [unrolled: 1-line block ×8, first 2 shown]
.LBB1138_32:
	s_or_b32 exec_lo, exec_lo, s12
	v_add_f64 v[4:5], v[18:19], 0
	v_add_f64 v[24:25], v[38:39], 0
	v_ashrrev_i32_e32 v34, 31, v5
	v_ashrrev_i32_e32 v35, 31, v25
	v_or_b32_e32 v48, 0x80000000, v34
	v_or_b32_e32 v49, 0x80000000, v35
	v_xor_b32_e32 v4, v34, v4
	v_xor_b32_e32 v24, v35, v24
	v_mov_b32_e32 v34, v38
	v_xor_b32_e32 v5, v48, v5
	v_xor_b32_e32 v25, v49, v25
	v_mov_b32_e32 v35, v39
	v_cmp_gt_u64_e64 s8, v[4:5], v[24:25]
	v_mov_b32_e32 v4, v36
	v_mov_b32_e32 v5, v37
	s_and_saveexec_b32 s12, s8
	s_cbranch_execz .LBB1138_34
; %bb.33:
	v_mov_b32_e32 v4, v22
	v_mov_b32_e32 v35, v19
	;; [unrolled: 1-line block ×8, first 2 shown]
.LBB1138_34:
	s_or_b32 exec_lo, exec_lo, s12
	v_add_f64 v[24:25], v[32:33], 0
	v_add_f64 v[36:37], v[30:31], 0
	v_ashrrev_i32_e32 v38, 31, v25
	v_ashrrev_i32_e32 v39, 31, v37
	v_or_b32_e32 v48, 0x80000000, v38
	v_or_b32_e32 v49, 0x80000000, v39
	v_xor_b32_e32 v24, v38, v24
	v_xor_b32_e32 v36, v39, v36
	;; [unrolled: 1-line block ×4, first 2 shown]
	v_cmp_gt_u64_e64 s8, v[24:25], v[36:37]
	v_mov_b32_e32 v24, v32
	v_mov_b32_e32 v37, v9
	;; [unrolled: 1-line block ×4, first 2 shown]
	s_and_saveexec_b32 s12, s8
	s_xor_b32 s8, exec_lo, s12
	s_cbranch_execz .LBB1138_36
; %bb.35:
	v_mov_b32_e32 v24, v30
	v_mov_b32_e32 v36, v50
	;; [unrolled: 1-line block ×8, first 2 shown]
.LBB1138_36:
	s_or_b32 exec_lo, exec_lo, s8
	v_add_f64 v[8:9], v[52:53], 0
	v_add_f64 v[32:33], v[54:55], 0
	v_ashrrev_i32_e32 v38, 31, v9
	v_ashrrev_i32_e32 v39, 31, v33
	v_or_b32_e32 v48, 0x80000000, v38
	v_or_b32_e32 v49, 0x80000000, v39
	v_xor_b32_e32 v8, v38, v8
	v_xor_b32_e32 v32, v39, v32
	;; [unrolled: 1-line block ×4, first 2 shown]
	v_cmp_gt_u64_e64 s8, v[8:9], v[32:33]
	v_mov_b32_e32 v8, v54
	v_mov_b32_e32 v33, v21
	;; [unrolled: 1-line block ×4, first 2 shown]
	s_and_saveexec_b32 s12, s8
	s_cbranch_execz .LBB1138_38
; %bb.37:
	v_mov_b32_e32 v8, v52
	v_mov_b32_e32 v33, v29
	;; [unrolled: 1-line block ×8, first 2 shown]
.LBB1138_38:
	s_or_b32 exec_lo, exec_lo, s12
	v_add_f64 v[20:21], v[34:35], 0
	v_add_f64 v[38:39], v[26:27], 0
	v_ashrrev_i32_e32 v48, 31, v21
	v_ashrrev_i32_e32 v49, 31, v39
	v_or_b32_e32 v54, 0x80000000, v48
	v_or_b32_e32 v55, 0x80000000, v49
	v_xor_b32_e32 v20, v48, v20
	v_xor_b32_e32 v38, v49, v38
	;; [unrolled: 1-line block ×4, first 2 shown]
	v_cmp_gt_u64_e64 s8, v[20:21], v[38:39]
	v_mov_b32_e32 v20, v22
	v_mov_b32_e32 v39, v27
	v_mov_b32_e32 v21, v23
	v_mov_b32_e32 v38, v26
	s_and_saveexec_b32 s12, s8
	s_cbranch_execz .LBB1138_40
; %bb.39:
	v_mov_b32_e32 v21, v15
	v_mov_b32_e32 v39, v35
	;; [unrolled: 1-line block ×8, first 2 shown]
.LBB1138_40:
	s_or_b32 exec_lo, exec_lo, s12
	v_add_f64 v[22:23], v[30:31], 0
	v_add_f64 v[26:27], v[16:17], 0
	v_ashrrev_i32_e32 v48, 31, v23
	v_ashrrev_i32_e32 v49, 31, v27
	v_or_b32_e32 v54, 0x80000000, v48
	v_or_b32_e32 v55, 0x80000000, v49
	v_xor_b32_e32 v22, v48, v22
	v_xor_b32_e32 v26, v49, v26
	v_mov_b32_e32 v48, v50
	v_xor_b32_e32 v23, v54, v23
	v_xor_b32_e32 v27, v55, v27
	v_mov_b32_e32 v49, v51
	v_cmp_gt_u64_e64 s8, v[22:23], v[26:27]
	v_mov_b32_e32 v22, v30
	v_mov_b32_e32 v23, v31
	s_and_saveexec_b32 s12, s8
	s_cbranch_execz .LBB1138_42
; %bb.41:
	v_mov_b32_e32 v23, v17
	v_mov_b32_e32 v49, v1
	;; [unrolled: 1-line block ×8, first 2 shown]
.LBB1138_42:
	s_or_b32 exec_lo, exec_lo, s12
	v_add_f64 v[26:27], v[8:9], 0
	v_add_f64 v[30:31], v[24:25], 0
	v_mov_b32_e32 v65, v9
	v_mov_b32_e32 v64, v8
	v_ashrrev_i32_e32 v50, 31, v27
	v_ashrrev_i32_e32 v51, 31, v31
	v_or_b32_e32 v54, 0x80000000, v50
	v_or_b32_e32 v55, 0x80000000, v51
	v_xor_b32_e32 v26, v50, v26
	v_xor_b32_e32 v30, v51, v30
	;; [unrolled: 1-line block ×4, first 2 shown]
	v_cmp_gt_u64_e64 s8, v[26:27], v[30:31]
	v_mov_b32_e32 v31, v29
	v_mov_b32_e32 v30, v28
	s_and_saveexec_b32 s12, s8
	s_cbranch_execz .LBB1138_44
; %bb.43:
	v_mov_b32_e32 v65, v25
	v_mov_b32_e32 v30, v36
	;; [unrolled: 1-line block ×8, first 2 shown]
.LBB1138_44:
	s_or_b32 exec_lo, exec_lo, s12
	v_add_f64 v[8:9], v[38:39], 0
	v_add_f64 v[26:27], v[52:53], 0
	v_mov_b32_e32 v55, v53
	v_mov_b32_e32 v54, v52
	v_ashrrev_i32_e32 v28, 31, v9
	v_ashrrev_i32_e32 v29, 31, v27
	v_or_b32_e32 v50, 0x80000000, v28
	v_or_b32_e32 v51, 0x80000000, v29
	v_xor_b32_e32 v8, v28, v8
	v_xor_b32_e32 v26, v29, v26
	;; [unrolled: 1-line block ×4, first 2 shown]
	v_cmp_gt_u64_e64 s8, v[8:9], v[26:27]
	v_mov_b32_e32 v27, v15
	v_mov_b32_e32 v26, v14
	s_and_saveexec_b32 s12, s8
	s_cbranch_execz .LBB1138_46
; %bb.45:
	v_mov_b32_e32 v26, v32
	v_mov_b32_e32 v55, v39
	;; [unrolled: 1-line block ×8, first 2 shown]
.LBB1138_46:
	s_or_b32 exec_lo, exec_lo, s12
	v_add_f64 v[8:9], v[18:19], 0
	v_add_f64 v[14:15], v[34:35], 0
	v_ashrrev_i32_e32 v28, 31, v9
	v_ashrrev_i32_e32 v29, 31, v15
	v_or_b32_e32 v50, 0x80000000, v28
	v_or_b32_e32 v51, 0x80000000, v29
	v_xor_b32_e32 v8, v28, v8
	v_xor_b32_e32 v14, v29, v14
	;; [unrolled: 1-line block ×4, first 2 shown]
	v_mov_b32_e32 v51, v35
	v_mov_b32_e32 v50, v34
	v_cmp_gt_u64_e64 s8, v[8:9], v[14:15]
	v_mov_b32_e32 v9, v5
	v_mov_b32_e32 v8, v4
	s_and_saveexec_b32 s12, s8
	s_cbranch_execz .LBB1138_48
; %bb.47:
	v_mov_b32_e32 v8, v20
	v_mov_b32_e32 v51, v19
	;; [unrolled: 1-line block ×8, first 2 shown]
.LBB1138_48:
	s_or_b32 exec_lo, exec_lo, s12
	v_add_f64 v[4:5], v[24:25], 0
	v_add_f64 v[14:15], v[22:23], 0
	v_ashrrev_i32_e32 v28, 31, v5
	v_ashrrev_i32_e32 v29, 31, v15
	v_or_b32_e32 v34, 0x80000000, v28
	v_or_b32_e32 v35, 0x80000000, v29
	v_xor_b32_e32 v4, v28, v4
	v_xor_b32_e32 v14, v29, v14
	;; [unrolled: 1-line block ×4, first 2 shown]
	v_mov_b32_e32 v34, v36
	v_mov_b32_e32 v35, v37
	v_cmp_gt_u64_e64 s8, v[4:5], v[14:15]
	v_mov_b32_e32 v4, v24
	v_mov_b32_e32 v5, v25
	s_and_saveexec_b32 s12, s8
	s_cbranch_execz .LBB1138_50
; %bb.49:
	v_mov_b32_e32 v4, v22
	v_mov_b32_e32 v34, v48
	;; [unrolled: 1-line block ×8, first 2 shown]
.LBB1138_50:
	s_or_b32 exec_lo, exec_lo, s12
	v_add_f64 v[14:15], v[54:55], 0
	v_add_f64 v[24:25], v[64:65], 0
	v_mov_b32_e32 v52, v64
	v_mov_b32_e32 v53, v65
	s_mov_b32 s12, exec_lo
	v_ashrrev_i32_e32 v28, 31, v15
	v_ashrrev_i32_e32 v29, 31, v25
	v_or_b32_e32 v36, 0x80000000, v28
	v_or_b32_e32 v37, 0x80000000, v29
	v_xor_b32_e32 v14, v28, v14
	v_xor_b32_e32 v24, v29, v24
	v_mov_b32_e32 v28, v32
	v_xor_b32_e32 v15, v36, v15
	v_xor_b32_e32 v25, v37, v25
	v_mov_b32_e32 v29, v33
	v_cmpx_gt_u64_e64 v[14:15], v[24:25]
	s_cbranch_execz .LBB1138_52
; %bb.51:
	v_mov_b32_e32 v52, v54
	v_mov_b32_e32 v28, v30
	;; [unrolled: 1-line block ×8, first 2 shown]
.LBB1138_52:
	s_or_b32 exec_lo, exec_lo, s12
	v_add_f64 v[14:15], v[50:51], 0
	v_add_f64 v[24:25], v[38:39], 0
	v_ashrrev_i32_e32 v32, 31, v15
	v_ashrrev_i32_e32 v33, 31, v25
	v_or_b32_e32 v36, 0x80000000, v32
	v_or_b32_e32 v37, 0x80000000, v33
	v_xor_b32_e32 v14, v32, v14
	v_xor_b32_e32 v24, v33, v24
	v_mov_b32_e32 v32, v38
	v_xor_b32_e32 v15, v36, v15
	v_xor_b32_e32 v25, v37, v25
	v_mov_b32_e32 v33, v39
	v_cmp_gt_u64_e64 s8, v[14:15], v[24:25]
	v_mov_b32_e32 v14, v20
	v_mov_b32_e32 v15, v21
	s_and_saveexec_b32 s12, s8
	s_cbranch_execz .LBB1138_54
; %bb.53:
	v_mov_b32_e32 v14, v26
	v_mov_b32_e32 v32, v50
	;; [unrolled: 1-line block ×8, first 2 shown]
.LBB1138_54:
	s_or_b32 exec_lo, exec_lo, s12
	v_add_f64 v[20:21], v[22:23], 0
	v_add_f64 v[24:25], v[16:17], 0
	v_ashrrev_i32_e32 v36, 31, v21
	v_ashrrev_i32_e32 v37, 31, v25
	v_or_b32_e32 v38, 0x80000000, v36
	v_or_b32_e32 v39, 0x80000000, v37
	v_xor_b32_e32 v20, v36, v20
	v_xor_b32_e32 v24, v37, v24
	v_mov_b32_e32 v36, v48
	v_xor_b32_e32 v21, v38, v21
	v_xor_b32_e32 v25, v39, v25
	v_mov_b32_e32 v37, v49
	v_cmp_gt_u64_e64 s8, v[20:21], v[24:25]
	v_mov_b32_e32 v25, v23
	v_mov_b32_e32 v24, v22
	s_and_saveexec_b32 s12, s8
	s_cbranch_execz .LBB1138_56
; %bb.55:
	v_mov_b32_e32 v25, v17
	v_mov_b32_e32 v37, v1
	;; [unrolled: 1-line block ×8, first 2 shown]
.LBB1138_56:
	s_or_b32 exec_lo, exec_lo, s12
	v_add_f64 v[20:21], v[52:53], 0
	v_add_f64 v[22:23], v[4:5], 0
	v_ashrrev_i32_e32 v38, 31, v21
	v_ashrrev_i32_e32 v39, 31, v23
	v_or_b32_e32 v48, 0x80000000, v38
	v_or_b32_e32 v49, 0x80000000, v39
	v_xor_b32_e32 v20, v38, v20
	v_xor_b32_e32 v22, v39, v22
	;; [unrolled: 1-line block ×4, first 2 shown]
	v_mov_b32_e32 v49, v31
	v_mov_b32_e32 v48, v30
	v_cmp_gt_u64_e64 s8, v[20:21], v[22:23]
	v_mov_b32_e32 v22, v52
	v_mov_b32_e32 v23, v53
	s_and_saveexec_b32 s12, s8
	s_cbranch_execz .LBB1138_58
; %bb.57:
	v_mov_b32_e32 v23, v5
	v_mov_b32_e32 v49, v35
	;; [unrolled: 1-line block ×8, first 2 shown]
.LBB1138_58:
	s_or_b32 exec_lo, exec_lo, s12
	v_add_f64 v[20:21], v[32:33], 0
	v_add_f64 v[30:31], v[54:55], 0
	v_mov_b32_e32 v65, v55
	v_mov_b32_e32 v64, v54
	v_ashrrev_i32_e32 v38, 31, v21
	v_ashrrev_i32_e32 v39, 31, v31
	v_or_b32_e32 v52, 0x80000000, v38
	v_or_b32_e32 v53, 0x80000000, v39
	v_xor_b32_e32 v20, v38, v20
	v_xor_b32_e32 v30, v39, v30
	;; [unrolled: 1-line block ×4, first 2 shown]
	v_cmp_gt_u64_e64 s8, v[20:21], v[30:31]
	v_mov_b32_e32 v31, v27
	v_mov_b32_e32 v30, v26
	s_and_saveexec_b32 s12, s8
	s_cbranch_execz .LBB1138_60
; %bb.59:
	v_mov_b32_e32 v31, v29
	v_mov_b32_e32 v65, v33
	v_mov_b32_e32 v30, v28
	v_mov_b32_e32 v29, v27
	v_mov_b32_e32 v64, v32
	v_mov_b32_e32 v32, v54
	v_mov_b32_e32 v28, v26
	v_mov_b32_e32 v33, v55
.LBB1138_60:
	s_or_b32 exec_lo, exec_lo, s12
	v_add_f64 v[20:21], v[18:19], 0
	v_add_f64 v[26:27], v[50:51], 0
	v_ashrrev_i32_e32 v38, 31, v21
	v_ashrrev_i32_e32 v39, 31, v27
	v_or_b32_e32 v52, 0x80000000, v38
	v_or_b32_e32 v53, 0x80000000, v39
	v_xor_b32_e32 v20, v38, v20
	v_xor_b32_e32 v26, v39, v26
	;; [unrolled: 1-line block ×4, first 2 shown]
	v_mov_b32_e32 v53, v51
	v_mov_b32_e32 v52, v50
	v_cmp_gt_u64_e64 s8, v[20:21], v[26:27]
	v_mov_b32_e32 v21, v9
	v_mov_b32_e32 v20, v8
	s_and_saveexec_b32 s12, s8
	s_cbranch_execz .LBB1138_62
; %bb.61:
	v_mov_b32_e32 v21, v15
	v_mov_b32_e32 v53, v19
	;; [unrolled: 1-line block ×8, first 2 shown]
.LBB1138_62:
	s_or_b32 exec_lo, exec_lo, s12
	v_add_f64 v[8:9], v[4:5], 0
	v_add_f64 v[26:27], v[24:25], 0
	v_mov_b32_e32 v55, v35
	v_mov_b32_e32 v54, v34
	s_mov_b32 s12, exec_lo
	v_ashrrev_i32_e32 v38, 31, v9
	v_ashrrev_i32_e32 v39, 31, v27
	v_or_b32_e32 v50, 0x80000000, v38
	v_or_b32_e32 v51, 0x80000000, v39
	v_xor_b32_e32 v8, v38, v8
	v_xor_b32_e32 v26, v39, v26
	v_mov_b32_e32 v39, v5
	v_xor_b32_e32 v9, v50, v9
	v_xor_b32_e32 v27, v51, v27
	v_mov_b32_e32 v38, v4
	v_cmpx_gt_u64_e64 v[8:9], v[26:27]
	s_cbranch_execz .LBB1138_64
; %bb.63:
	v_mov_b32_e32 v39, v25
	v_mov_b32_e32 v55, v37
	;; [unrolled: 1-line block ×8, first 2 shown]
.LBB1138_64:
	s_or_b32 exec_lo, exec_lo, s12
	v_add_f64 v[4:5], v[64:65], 0
	v_add_f64 v[8:9], v[22:23], 0
	v_mov_b32_e32 v51, v29
	v_mov_b32_e32 v50, v28
	v_ashrrev_i32_e32 v26, 31, v5
	v_ashrrev_i32_e32 v27, 31, v9
	v_or_b32_e32 v34, 0x80000000, v26
	v_or_b32_e32 v35, 0x80000000, v27
	v_xor_b32_e32 v4, v26, v4
	v_xor_b32_e32 v8, v27, v8
	;; [unrolled: 1-line block ×4, first 2 shown]
	v_cmp_gt_u64_e64 s8, v[4:5], v[8:9]
	v_mov_b32_e32 v8, v22
	v_mov_b32_e32 v9, v23
	s_and_saveexec_b32 s12, s8
	s_cbranch_execz .LBB1138_66
; %bb.65:
	v_mov_b32_e32 v8, v64
	v_mov_b32_e32 v51, v49
	;; [unrolled: 1-line block ×8, first 2 shown]
.LBB1138_66:
	s_or_b32 exec_lo, exec_lo, s12
	v_add_f64 v[4:5], v[52:53], 0
	v_add_f64 v[22:23], v[32:33], 0
	v_ashrrev_i32_e32 v26, 31, v5
	v_ashrrev_i32_e32 v27, 31, v23
	v_or_b32_e32 v28, 0x80000000, v26
	v_or_b32_e32 v29, 0x80000000, v27
	v_xor_b32_e32 v4, v26, v4
	v_xor_b32_e32 v22, v27, v22
	v_mov_b32_e32 v26, v32
	v_xor_b32_e32 v5, v28, v5
	v_xor_b32_e32 v23, v29, v23
	v_mov_b32_e32 v27, v33
	v_cmp_gt_u64_e64 s8, v[4:5], v[22:23]
	v_mov_b32_e32 v23, v15
	v_mov_b32_e32 v22, v14
	s_and_saveexec_b32 s12, s8
	s_cbranch_execz .LBB1138_68
; %bb.67:
	v_mov_b32_e32 v22, v30
	v_mov_b32_e32 v26, v52
	;; [unrolled: 1-line block ×8, first 2 shown]
.LBB1138_68:
	s_or_b32 exec_lo, exec_lo, s12
	v_add_f64 v[4:5], v[24:25], 0
	v_add_f64 v[14:15], v[16:17], 0
	v_ashrrev_i32_e32 v28, 31, v5
	v_ashrrev_i32_e32 v29, 31, v15
	v_or_b32_e32 v32, 0x80000000, v28
	v_or_b32_e32 v33, 0x80000000, v29
	v_xor_b32_e32 v4, v28, v4
	v_xor_b32_e32 v14, v29, v14
	v_mov_b32_e32 v29, v25
	v_xor_b32_e32 v5, v32, v5
	v_xor_b32_e32 v15, v33, v15
	v_mov_b32_e32 v28, v24
	v_cmp_gt_u64_e64 s8, v[4:5], v[14:15]
	v_mov_b32_e32 v4, v36
	v_mov_b32_e32 v5, v37
	s_and_saveexec_b32 s12, s8
	s_cbranch_execz .LBB1138_70
; %bb.69:
	v_mov_b32_e32 v29, v17
	v_mov_b32_e32 v5, v1
	;; [unrolled: 1-line block ×8, first 2 shown]
.LBB1138_70:
	s_or_b32 exec_lo, exec_lo, s12
	v_add_f64 v[14:15], v[8:9], 0
	v_add_f64 v[24:25], v[38:39], 0
	v_ashrrev_i32_e32 v32, 31, v15
	v_ashrrev_i32_e32 v33, 31, v25
	v_or_b32_e32 v34, 0x80000000, v32
	v_or_b32_e32 v35, 0x80000000, v33
	v_xor_b32_e32 v14, v32, v14
	v_xor_b32_e32 v24, v33, v24
	v_xor_b32_e32 v15, v34, v15
	v_xor_b32_e32 v25, v35, v25
	v_cmp_gt_u64_e64 s8, v[14:15], v[24:25]
	v_mov_b32_e32 v25, v9
	v_mov_b32_e32 v14, v48
	;; [unrolled: 1-line block ×4, first 2 shown]
	s_and_saveexec_b32 s12, s8
	s_cbranch_execz .LBB1138_72
; %bb.71:
	v_mov_b32_e32 v24, v38
	v_mov_b32_e32 v14, v54
	v_mov_b32_e32 v25, v39
	v_mov_b32_e32 v39, v9
	v_mov_b32_e32 v15, v55
	v_mov_b32_e32 v55, v49
	v_mov_b32_e32 v38, v8
	v_mov_b32_e32 v54, v48
.LBB1138_72:
	s_or_b32 exec_lo, exec_lo, s12
	v_add_f64 v[8:9], v[26:27], 0
	v_add_f64 v[32:33], v[64:65], 0
	v_mov_b32_e32 v67, v31
	v_mov_b32_e32 v66, v30
	s_mov_b32 s12, exec_lo
	v_ashrrev_i32_e32 v34, 31, v9
	v_ashrrev_i32_e32 v35, 31, v33
	v_or_b32_e32 v36, 0x80000000, v34
	v_or_b32_e32 v37, 0x80000000, v35
	v_xor_b32_e32 v8, v34, v8
	v_xor_b32_e32 v32, v35, v32
	v_mov_b32_e32 v34, v64
	v_xor_b32_e32 v9, v36, v9
	v_xor_b32_e32 v33, v37, v33
	v_mov_b32_e32 v35, v65
	v_cmpx_gt_u64_e64 v[8:9], v[32:33]
	s_cbranch_execz .LBB1138_74
; %bb.73:
	v_mov_b32_e32 v67, v51
	v_mov_b32_e32 v35, v27
	;; [unrolled: 1-line block ×8, first 2 shown]
.LBB1138_74:
	s_or_b32 exec_lo, exec_lo, s12
	v_add_f64 v[8:9], v[18:19], 0
	v_add_f64 v[30:31], v[52:53], 0
	v_ashrrev_i32_e32 v32, 31, v9
	v_ashrrev_i32_e32 v33, 31, v31
	v_or_b32_e32 v36, 0x80000000, v32
	v_or_b32_e32 v37, 0x80000000, v33
	v_xor_b32_e32 v8, v32, v8
	v_xor_b32_e32 v30, v33, v30
	v_xor_b32_e32 v9, v36, v9
	v_xor_b32_e32 v31, v37, v31
	v_mov_b32_e32 v37, v21
	v_mov_b32_e32 v36, v20
	v_cmp_gt_u64_e64 s8, v[8:9], v[30:31]
	v_mov_b32_e32 v30, v52
	v_mov_b32_e32 v31, v53
	s_and_saveexec_b32 s12, s8
	s_cbranch_execz .LBB1138_76
; %bb.75:
	v_mov_b32_e32 v37, v23
	v_mov_b32_e32 v31, v19
	;; [unrolled: 1-line block ×8, first 2 shown]
.LBB1138_76:
	s_or_b32 exec_lo, exec_lo, s12
	v_add_f64 v[8:9], v[38:39], 0
	v_add_f64 v[20:21], v[28:29], 0
	v_ashrrev_i32_e32 v32, 31, v9
	v_ashrrev_i32_e32 v33, 31, v21
	v_or_b32_e32 v48, 0x80000000, v32
	v_or_b32_e32 v49, 0x80000000, v33
	v_xor_b32_e32 v8, v32, v8
	v_xor_b32_e32 v20, v33, v20
	v_mov_b32_e32 v32, v38
	v_xor_b32_e32 v9, v48, v9
	v_xor_b32_e32 v21, v49, v21
	v_mov_b32_e32 v33, v39
	v_cmp_gt_u64_e64 s8, v[8:9], v[20:21]
	v_mov_b32_e32 v8, v54
	v_mov_b32_e32 v9, v55
	s_and_saveexec_b32 s12, s8
	s_cbranch_execz .LBB1138_78
; %bb.77:
	v_mov_b32_e32 v33, v29
	v_mov_b32_e32 v9, v5
	;; [unrolled: 1-line block ×8, first 2 shown]
.LBB1138_78:
	s_or_b32 exec_lo, exec_lo, s12
	v_add_f64 v[20:21], v[34:35], 0
	v_add_f64 v[38:39], v[24:25], 0
	v_ashrrev_i32_e32 v48, 31, v21
	v_ashrrev_i32_e32 v49, 31, v39
	v_or_b32_e32 v52, 0x80000000, v48
	v_or_b32_e32 v53, 0x80000000, v49
	v_xor_b32_e32 v20, v48, v20
	v_xor_b32_e32 v38, v49, v38
	v_mov_b32_e32 v49, v25
	v_xor_b32_e32 v21, v52, v21
	v_xor_b32_e32 v39, v53, v39
	v_mov_b32_e32 v48, v24
	v_cmp_gt_u64_e64 s8, v[20:21], v[38:39]
	v_mov_b32_e32 v20, v50
	v_mov_b32_e32 v21, v51
	s_and_saveexec_b32 s12, s8
	s_cbranch_execz .LBB1138_80
; %bb.79:
	v_mov_b32_e32 v49, v35
	v_mov_b32_e32 v21, v15
	;; [unrolled: 1-line block ×8, first 2 shown]
.LBB1138_80:
	s_or_b32 exec_lo, exec_lo, s12
	v_add_f64 v[24:25], v[30:31], 0
	v_add_f64 v[38:39], v[26:27], 0
	v_ashrrev_i32_e32 v50, 31, v25
	v_ashrrev_i32_e32 v51, 31, v39
	v_or_b32_e32 v52, 0x80000000, v50
	v_or_b32_e32 v53, 0x80000000, v51
	v_xor_b32_e32 v24, v50, v24
	v_xor_b32_e32 v38, v51, v38
	;; [unrolled: 1-line block ×4, first 2 shown]
	v_cmp_gt_u64_e64 s8, v[24:25], v[38:39]
	v_mov_b32_e32 v39, v31
	v_mov_b32_e32 v24, v66
	v_mov_b32_e32 v38, v30
	v_mov_b32_e32 v25, v67
	s_and_saveexec_b32 s12, s8
	s_cbranch_execz .LBB1138_82
; %bb.81:
	v_mov_b32_e32 v39, v27
	v_mov_b32_e32 v25, v23
	;; [unrolled: 1-line block ×8, first 2 shown]
.LBB1138_82:
	s_or_b32 exec_lo, exec_lo, s12
.LBB1138_83:
	s_or_b32 exec_lo, exec_lo, s9
	v_and_b32_e32 v30, 0xffffff00, v11
	v_mov_b32_e32 v31, 0
	v_or_b32_e32 v11, 8, v80
	s_mov_b32 s9, exec_lo
	v_sub_nc_u32_e64 v83, 0x800, v30 clamp
	v_lshlrev_b64 v[30:31], 3, v[30:31]
	v_min_u32_e32 v116, v83, v11
	v_and_b32_e32 v11, 8, v80
	v_add_co_u32 v82, null, v10, v30
	v_lshlrev_b32_e32 v30, 3, v80
	v_add_nc_u32_e32 v10, 8, v116
	v_min_u32_e32 v11, v83, v11
	v_add_co_u32 v81, null, 0x4000, v82
	v_add_nc_u32_e32 v84, v82, v30
	v_min_u32_e32 v117, v83, v10
	v_and_b32_e32 v10, 0xf0, v80
	v_add_nc_u32_e32 v85, v81, v30
	ds_write2_b64 v84, v[16:17], v[28:29] offset1:1
	ds_write2_b64 v85, v[0:1], v[4:5] offset1:1
	v_sub_nc_u32_e32 v30, v117, v116
	v_sub_nc_u32_e32 v50, v116, v10
	ds_write2_b64 v84, v[32:33], v[48:49] offset0:2 offset1:3
	ds_write2_b64 v85, v[8:9], v[14:15] offset0:2 offset1:3
	;; [unrolled: 1-line block ×6, first 2 shown]
	; wave barrier
	v_sub_nc_u32_e64 v31, v11, v30 clamp
	v_min_u32_e32 v30, v11, v50
	v_cmpx_lt_u32_e64 v31, v30
	s_cbranch_execz .LBB1138_87
; %bb.84:
	v_lshlrev_b32_e32 v50, 3, v10
	v_lshlrev_b32_e32 v51, 3, v116
	s_mov_b32 s12, 0
	v_add_co_u32 v50, null, v82, v50
	v_add_co_u32 v51, null, v82, v51
	s_inst_prefetch 0x1
	.p2align	6
.LBB1138_85:                            ; =>This Inner Loop Header: Depth=1
	v_add_nc_u32_e32 v52, v30, v31
	v_lshrrev_b32_e32 v64, 1, v52
	v_xad_u32 v52, v64, -1, v11
	v_lshl_add_u32 v53, v64, 3, v50
	v_lshl_add_u32 v54, v52, 3, v51
	ds_read_b64 v[52:53], v53
	ds_read_b64 v[54:55], v54
	s_waitcnt lgkmcnt(1)
	v_add_f64 v[52:53], v[52:53], 0
	s_waitcnt lgkmcnt(0)
	v_add_f64 v[54:55], v[54:55], 0
	v_ashrrev_i32_e32 v65, 31, v53
	v_ashrrev_i32_e32 v66, 31, v55
	v_or_b32_e32 v67, 0x80000000, v65
	v_or_b32_e32 v68, 0x80000000, v66
	v_xor_b32_e32 v52, v65, v52
	v_xor_b32_e32 v54, v66, v54
	;; [unrolled: 1-line block ×4, first 2 shown]
	v_cmp_gt_u64_e64 s8, v[54:55], v[52:53]
	v_add_nc_u32_e32 v52, 1, v64
	v_cndmask_b32_e64 v30, v30, v64, s8
	v_cndmask_b32_e64 v31, v52, v31, s8
	v_cmp_ge_u32_e64 s8, v31, v30
	s_or_b32 s12, s8, s12
	s_andn2_b32 exec_lo, exec_lo, s12
	s_cbranch_execnz .LBB1138_85
; %bb.86:
	s_inst_prefetch 0x2
	s_or_b32 exec_lo, exec_lo, s12
.LBB1138_87:
	s_or_b32 exec_lo, exec_lo, s9
	v_add_nc_u32_e32 v11, v116, v11
	v_add_nc_u32_e32 v30, v31, v10
	;; [unrolled: 1-line block ×5, first 2 shown]
	v_sub_nc_u32_e32 v31, v11, v31
	v_cmp_le_u32_e64 s8, v30, v116
	v_add_nc_u32_e32 v112, 16, v85
	v_add_nc_u32_e32 v113, 24, v84
	;; [unrolled: 1-line block ×3, first 2 shown]
	v_cmp_le_u32_e64 s9, v31, v117
	v_add_nc_u32_e32 v101, 32, v84
	v_add_nc_u32_e32 v102, 32, v85
	;; [unrolled: 1-line block ×8, first 2 shown]
	s_or_b32 s8, s8, s9
	s_and_saveexec_b32 s12, s8
	s_cbranch_execz .LBB1138_123
; %bb.88:
	v_cmp_ge_u32_e64 s8, v30, v116
	s_mov_b32 s13, exec_lo
                                        ; implicit-def: $vgpr10_vgpr11
	v_cmpx_lt_u32_e64 v30, v116
; %bb.89:
	v_lshl_add_u32 v0, v30, 3, v82
	ds_read_b64 v[10:11], v0
; %bb.90:
	s_or_b32 exec_lo, exec_lo, s13
	v_cmp_ge_u32_e64 s13, v31, v117
	s_mov_b32 s15, exec_lo
                                        ; implicit-def: $vgpr16_vgpr17
	v_cmpx_lt_u32_e64 v31, v117
; %bb.91:
	v_lshl_add_u32 v0, v31, 3, v82
	ds_read_b64 v[16:17], v0
; %bb.92:
	s_or_b32 exec_lo, exec_lo, s15
	s_nor_b32 s8, s8, s13
	s_and_saveexec_b32 s9, s8
	s_cbranch_execz .LBB1138_94
; %bb.93:
	s_waitcnt lgkmcnt(0)
	v_add_f64 v[0:1], v[16:17], 0
	v_add_f64 v[4:5], v[10:11], 0
	s_andn2_b32 s13, s13, exec_lo
	v_ashrrev_i32_e32 v8, 31, v1
	v_ashrrev_i32_e32 v9, 31, v5
	v_or_b32_e32 v14, 0x80000000, v8
	v_or_b32_e32 v15, 0x80000000, v9
	v_xor_b32_e32 v0, v8, v0
	v_xor_b32_e32 v4, v9, v4
	;; [unrolled: 1-line block ×4, first 2 shown]
	v_cmp_le_u64_e64 s8, v[0:1], v[4:5]
	s_and_b32 s8, s8, exec_lo
	s_or_b32 s13, s13, s8
.LBB1138_94:
	s_or_b32 exec_lo, exec_lo, s9
	v_cndmask_b32_e64 v0, v31, v30, s13
	v_cndmask_b32_e64 v1, v117, v116, s13
	s_mov_b32 s15, -1
	s_mov_b32 s9, -1
	s_mov_b32 s16, exec_lo
	v_add_nc_u32_e32 v9, 1, v0
	v_add_nc_u32_e32 v1, -1, v1
	v_lshl_add_u32 v0, v0, 3, v81
	v_cndmask_b32_e64 v8, v9, v31, s13
	v_min_u32_e32 v1, v9, v1
	v_cndmask_b32_e64 v9, v30, v9, s13
	v_lshl_add_u32 v1, v1, 3, v82
	ds_read_b64 v[4:5], v1
	ds_read_b64 v[0:1], v0
	s_waitcnt lgkmcnt(1)
	v_cndmask_b32_e64 v19, v5, v17, s13
	v_cndmask_b32_e64 v18, v4, v16, s13
	;; [unrolled: 1-line block ×4, first 2 shown]
	v_cmpx_lt_u32_e64 v8, v117
	s_cbranch_execz .LBB1138_98
; %bb.95:
	s_mov_b32 s17, 0
	s_mov_b32 s9, exec_lo
	v_cmpx_lt_u32_e64 v9, v116
	s_cbranch_execz .LBB1138_97
; %bb.96:
	v_add_f64 v[4:5], v[18:19], 0
	v_add_f64 v[14:15], v[28:29], 0
	v_ashrrev_i32_e32 v20, 31, v5
	v_ashrrev_i32_e32 v21, 31, v15
	v_or_b32_e32 v22, 0x80000000, v20
	v_or_b32_e32 v23, 0x80000000, v21
	v_xor_b32_e32 v4, v20, v4
	v_xor_b32_e32 v14, v21, v14
	;; [unrolled: 1-line block ×4, first 2 shown]
	v_cmp_le_u64_e64 s8, v[4:5], v[14:15]
	s_and_b32 s17, s8, exec_lo
.LBB1138_97:
	s_or_b32 exec_lo, exec_lo, s9
	s_orn2_b32 s9, s17, exec_lo
.LBB1138_98:
	s_or_b32 exec_lo, exec_lo, s16
	v_cndmask_b32_e64 v4, v8, v9, s9
	v_cndmask_b32_e64 v5, v117, v116, s9
	s_mov_b32 s16, exec_lo
	v_add_nc_u32_e32 v15, 1, v4
	v_add_nc_u32_e32 v5, -1, v5
	v_lshl_add_u32 v4, v4, 3, v81
	v_cndmask_b32_e64 v14, v15, v8, s9
	v_min_u32_e32 v5, v15, v5
	v_cndmask_b32_e64 v15, v9, v15, s9
	v_lshl_add_u32 v5, v5, 3, v82
	ds_read_b64 v[20:21], v5
	ds_read_b64 v[4:5], v4
	s_waitcnt lgkmcnt(1)
	v_cndmask_b32_e64 v31, v21, v19, s9
	v_cndmask_b32_e64 v30, v20, v18, s9
	;; [unrolled: 1-line block ×4, first 2 shown]
	v_cmpx_lt_u32_e64 v14, v117
	s_cbranch_execz .LBB1138_102
; %bb.99:
	s_mov_b32 s17, 0
	s_mov_b32 s15, exec_lo
	v_cmpx_lt_u32_e64 v15, v116
	s_cbranch_execz .LBB1138_101
; %bb.100:
	v_add_f64 v[8:9], v[30:31], 0
	v_add_f64 v[20:21], v[32:33], 0
	v_ashrrev_i32_e32 v22, 31, v9
	v_ashrrev_i32_e32 v23, 31, v21
	v_or_b32_e32 v24, 0x80000000, v22
	v_or_b32_e32 v25, 0x80000000, v23
	v_xor_b32_e32 v8, v22, v8
	v_xor_b32_e32 v20, v23, v20
	;; [unrolled: 1-line block ×4, first 2 shown]
	v_cmp_le_u64_e64 s8, v[8:9], v[20:21]
	s_and_b32 s17, s8, exec_lo
.LBB1138_101:
	s_or_b32 exec_lo, exec_lo, s15
	s_orn2_b32 s15, s17, exec_lo
.LBB1138_102:
	s_or_b32 exec_lo, exec_lo, s16
	v_cndmask_b32_e64 v8, v14, v15, s15
	v_cndmask_b32_e64 v9, v117, v116, s15
	s_mov_b32 s17, -1
	s_mov_b32 s16, -1
	s_mov_b32 s18, exec_lo
	v_add_nc_u32_e32 v21, 1, v8
	v_add_nc_u32_e32 v9, -1, v9
	v_lshl_add_u32 v8, v8, 3, v81
	v_cndmask_b32_e64 v20, v21, v14, s15
	v_min_u32_e32 v9, v21, v9
	v_cndmask_b32_e64 v21, v15, v21, s15
	v_lshl_add_u32 v9, v9, 3, v82
	ds_read_b64 v[22:23], v9
	ds_read_b64 v[8:9], v8
	s_waitcnt lgkmcnt(1)
	v_cndmask_b32_e64 v49, v23, v31, s15
	v_cndmask_b32_e64 v48, v22, v30, s15
	;; [unrolled: 1-line block ×4, first 2 shown]
	v_cmpx_lt_u32_e64 v20, v117
	s_cbranch_execz .LBB1138_106
; %bb.103:
	s_mov_b32 s19, 0
	s_mov_b32 s16, exec_lo
	v_cmpx_lt_u32_e64 v21, v116
	s_cbranch_execz .LBB1138_105
; %bb.104:
	v_add_f64 v[14:15], v[48:49], 0
	v_add_f64 v[22:23], v[50:51], 0
	v_ashrrev_i32_e32 v24, 31, v15
	v_ashrrev_i32_e32 v25, 31, v23
	v_or_b32_e32 v26, 0x80000000, v24
	v_or_b32_e32 v27, 0x80000000, v25
	v_xor_b32_e32 v14, v24, v14
	v_xor_b32_e32 v22, v25, v22
	;; [unrolled: 1-line block ×4, first 2 shown]
	v_cmp_le_u64_e64 s8, v[14:15], v[22:23]
	s_and_b32 s19, s8, exec_lo
.LBB1138_105:
	s_or_b32 exec_lo, exec_lo, s16
	s_orn2_b32 s16, s19, exec_lo
.LBB1138_106:
	s_or_b32 exec_lo, exec_lo, s18
	v_cndmask_b32_e64 v14, v20, v21, s16
	v_cndmask_b32_e64 v15, v117, v116, s16
	s_mov_b32 s18, exec_lo
	v_add_nc_u32_e32 v23, 1, v14
	v_add_nc_u32_e32 v15, -1, v15
	v_lshl_add_u32 v14, v14, 3, v81
	v_cndmask_b32_e64 v22, v23, v20, s16
	v_min_u32_e32 v15, v23, v15
	v_cndmask_b32_e64 v23, v21, v23, s16
	v_lshl_add_u32 v15, v15, 3, v82
	ds_read_b64 v[24:25], v15
	ds_read_b64 v[14:15], v14
	s_waitcnt lgkmcnt(1)
	v_cndmask_b32_e64 v35, v25, v49, s16
	v_cndmask_b32_e64 v34, v24, v48, s16
	;; [unrolled: 1-line block ×4, first 2 shown]
	v_cmpx_lt_u32_e64 v22, v117
	s_cbranch_execz .LBB1138_110
; %bb.107:
	s_mov_b32 s19, 0
	s_mov_b32 s17, exec_lo
	v_cmpx_lt_u32_e64 v23, v116
	s_cbranch_execz .LBB1138_109
; %bb.108:
	v_add_f64 v[20:21], v[34:35], 0
	v_add_f64 v[24:25], v[52:53], 0
	v_ashrrev_i32_e32 v26, 31, v21
	v_ashrrev_i32_e32 v27, 31, v25
	v_or_b32_e32 v36, 0x80000000, v26
	v_or_b32_e32 v37, 0x80000000, v27
	v_xor_b32_e32 v20, v26, v20
	v_xor_b32_e32 v24, v27, v24
	;; [unrolled: 1-line block ×4, first 2 shown]
	v_cmp_le_u64_e64 s8, v[20:21], v[24:25]
	s_and_b32 s19, s8, exec_lo
.LBB1138_109:
	s_or_b32 exec_lo, exec_lo, s17
	s_orn2_b32 s17, s19, exec_lo
.LBB1138_110:
	s_or_b32 exec_lo, exec_lo, s18
	v_cndmask_b32_e64 v20, v22, v23, s17
	v_cndmask_b32_e64 v21, v117, v116, s17
	s_mov_b32 s19, -1
	s_mov_b32 s18, -1
	s_mov_b32 s20, exec_lo
	v_add_nc_u32_e32 v26, 1, v20
	v_add_nc_u32_e32 v21, -1, v21
	v_lshl_add_u32 v20, v20, 3, v81
	v_cndmask_b32_e64 v22, v26, v22, s17
	v_min_u32_e32 v21, v26, v21
	v_cndmask_b32_e64 v23, v23, v26, s17
	v_lshl_add_u32 v21, v21, 3, v82
	ds_read_b64 v[24:25], v21
	ds_read_b64 v[20:21], v20
	s_waitcnt lgkmcnt(1)
	v_cndmask_b32_e64 v27, v25, v35, s17
	v_cndmask_b32_e64 v26, v24, v34, s17
	;; [unrolled: 1-line block ×4, first 2 shown]
	v_cmpx_lt_u32_e64 v22, v117
	s_cbranch_execz .LBB1138_114
; %bb.111:
	s_mov_b32 s21, 0
	s_mov_b32 s18, exec_lo
	v_cmpx_lt_u32_e64 v23, v116
	s_cbranch_execz .LBB1138_113
; %bb.112:
	v_add_f64 v[24:25], v[26:27], 0
	v_add_f64 v[36:37], v[54:55], 0
	v_ashrrev_i32_e32 v38, 31, v25
	v_ashrrev_i32_e32 v39, 31, v37
	v_or_b32_e32 v64, 0x80000000, v38
	v_or_b32_e32 v65, 0x80000000, v39
	v_xor_b32_e32 v24, v38, v24
	v_xor_b32_e32 v36, v39, v36
	;; [unrolled: 1-line block ×4, first 2 shown]
	v_cmp_le_u64_e64 s8, v[24:25], v[36:37]
	s_and_b32 s21, s8, exec_lo
.LBB1138_113:
	s_or_b32 exec_lo, exec_lo, s18
	s_orn2_b32 s18, s21, exec_lo
.LBB1138_114:
	s_or_b32 exec_lo, exec_lo, s20
	v_cndmask_b32_e64 v24, v22, v23, s18
	v_cndmask_b32_e64 v25, v117, v116, s18
	s_mov_b32 s20, exec_lo
	v_add_nc_u32_e32 v37, 1, v24
	v_add_nc_u32_e32 v25, -1, v25
	v_lshl_add_u32 v24, v24, 3, v81
	v_cndmask_b32_e64 v36, v37, v22, s18
	v_min_u32_e32 v25, v37, v25
	v_cndmask_b32_e64 v37, v23, v37, s18
	v_lshl_add_u32 v25, v25, 3, v82
	ds_read_b64 v[64:65], v25
	ds_read_b64 v[24:25], v24
	s_waitcnt lgkmcnt(1)
	v_cndmask_b32_e64 v39, v65, v27, s18
	v_cndmask_b32_e64 v38, v64, v26, s18
	;; [unrolled: 1-line block ×4, first 2 shown]
	v_cmpx_lt_u32_e64 v36, v117
	s_cbranch_execz .LBB1138_118
; %bb.115:
	s_mov_b32 s21, 0
	s_mov_b32 s19, exec_lo
	v_cmpx_lt_u32_e64 v37, v116
	s_cbranch_execz .LBB1138_117
; %bb.116:
	v_add_f64 v[22:23], v[38:39], 0
	v_add_f64 v[66:67], v[64:65], 0
	v_ashrrev_i32_e32 v68, 31, v23
	v_or_b32_e32 v69, 0x80000000, v68
	v_xor_b32_e32 v22, v68, v22
	v_ashrrev_i32_e32 v68, 31, v67
	v_xor_b32_e32 v23, v69, v23
	v_or_b32_e32 v69, 0x80000000, v68
	v_xor_b32_e32 v66, v68, v66
	v_xor_b32_e32 v67, v69, v67
	v_cmp_le_u64_e64 s8, v[22:23], v[66:67]
	s_and_b32 s21, s8, exec_lo
.LBB1138_117:
	s_or_b32 exec_lo, exec_lo, s19
	s_orn2_b32 s19, s21, exec_lo
.LBB1138_118:
	s_or_b32 exec_lo, exec_lo, s20
	v_cndmask_b32_e64 v22, v36, v37, s19
	v_cndmask_b32_e64 v23, v117, v116, s19
	s_mov_b32 s20, -1
	s_mov_b32 s21, exec_lo
	v_add_nc_u32_e32 v66, 1, v22
	v_add_nc_u32_e32 v23, -1, v23
	v_lshl_add_u32 v22, v22, 3, v81
	v_cndmask_b32_e64 v36, v66, v36, s19
	v_min_u32_e32 v23, v66, v23
	v_cndmask_b32_e64 v37, v37, v66, s19
	v_lshl_add_u32 v23, v23, 3, v82
	ds_read_b64 v[68:69], v23
	ds_read_b64 v[22:23], v22
	s_waitcnt lgkmcnt(1)
	v_cndmask_b32_e64 v67, v69, v39, s19
	v_cndmask_b32_e64 v66, v68, v38, s19
	;; [unrolled: 1-line block ×4, first 2 shown]
	v_cmpx_lt_u32_e64 v36, v117
	s_cbranch_execz .LBB1138_122
; %bb.119:
	s_mov_b32 s22, 0
	s_mov_b32 s20, exec_lo
	v_cmpx_lt_u32_e64 v37, v116
	s_cbranch_execz .LBB1138_121
; %bb.120:
	v_add_f64 v[116:117], v[66:67], 0
	v_add_f64 v[118:119], v[68:69], 0
	v_ashrrev_i32_e32 v128, 31, v117
	v_ashrrev_i32_e32 v129, 31, v119
	v_or_b32_e32 v130, 0x80000000, v128
	v_or_b32_e32 v131, 0x80000000, v129
	v_xor_b32_e32 v116, v128, v116
	v_xor_b32_e32 v118, v129, v118
	v_xor_b32_e32 v117, v130, v117
	v_xor_b32_e32 v119, v131, v119
	v_cmp_le_u64_e64 s8, v[116:117], v[118:119]
	s_and_b32 s22, s8, exec_lo
.LBB1138_121:
	s_or_b32 exec_lo, exec_lo, s20
	s_orn2_b32 s20, s22, exec_lo
.LBB1138_122:
	s_or_b32 exec_lo, exec_lo, s21
	v_cndmask_b32_e64 v36, v36, v37, s20
	v_cndmask_b32_e64 v39, v39, v65, s19
	;; [unrolled: 1-line block ×5, first 2 shown]
	v_lshl_add_u32 v36, v36, 3, v81
	v_cndmask_b32_e64 v35, v35, v53, s17
	v_cndmask_b32_e64 v34, v34, v52, s17
	v_cndmask_b32_e64 v49, v49, v51, s16
	v_cndmask_b32_e64 v48, v48, v50, s16
	ds_read_b64 v[36:37], v36
	v_cndmask_b32_e64 v33, v31, v33, s15
	v_cndmask_b32_e64 v32, v30, v32, s15
	;; [unrolled: 1-line block ×8, first 2 shown]
.LBB1138_123:
	s_or_b32 exec_lo, exec_lo, s12
	v_and_b32_e32 v10, 0xe0, v80
	v_and_b32_e32 v30, 24, v80
	s_mov_b32 s9, exec_lo
	; wave barrier
	v_or_b32_e32 v11, 16, v10
	ds_write_b64 v84, v[16:17]
	ds_write_b64 v85, v[0:1]
	;; [unrolled: 1-line block ×10, first 2 shown]
	v_min_u32_e32 v116, v83, v11
	ds_write_b64 v96, v[26:27]
	ds_write_b64 v97, v[24:25]
	;; [unrolled: 1-line block ×3, first 2 shown]
	s_waitcnt lgkmcnt(14)
	ds_write_b64 v99, v[22:23]
	ds_write_b64 v86, v[18:19]
	s_waitcnt lgkmcnt(15)
	ds_write_b64 v87, v[36:37]
	; wave barrier
	v_add_nc_u32_e32 v11, 16, v116
	v_sub_nc_u32_e32 v50, v116, v10
	v_min_u32_e32 v117, v83, v11
	v_min_u32_e32 v11, v83, v30
	v_sub_nc_u32_e32 v30, v117, v116
	v_sub_nc_u32_e64 v31, v11, v30 clamp
	v_min_u32_e32 v30, v11, v50
	v_cmpx_lt_u32_e64 v31, v30
	s_cbranch_execz .LBB1138_127
; %bb.124:
	v_lshlrev_b32_e32 v50, 3, v10
	v_lshlrev_b32_e32 v51, 3, v116
	s_mov_b32 s12, 0
	v_add_co_u32 v50, null, v82, v50
	v_add_co_u32 v51, null, v82, v51
	s_inst_prefetch 0x1
	.p2align	6
.LBB1138_125:                           ; =>This Inner Loop Header: Depth=1
	v_add_nc_u32_e32 v52, v30, v31
	v_lshrrev_b32_e32 v64, 1, v52
	v_xad_u32 v52, v64, -1, v11
	v_lshl_add_u32 v53, v64, 3, v50
	v_lshl_add_u32 v54, v52, 3, v51
	ds_read_b64 v[52:53], v53
	ds_read_b64 v[54:55], v54
	s_waitcnt lgkmcnt(1)
	v_add_f64 v[52:53], v[52:53], 0
	s_waitcnt lgkmcnt(0)
	v_add_f64 v[54:55], v[54:55], 0
	v_ashrrev_i32_e32 v65, 31, v53
	v_ashrrev_i32_e32 v66, 31, v55
	v_or_b32_e32 v67, 0x80000000, v65
	v_or_b32_e32 v68, 0x80000000, v66
	v_xor_b32_e32 v52, v65, v52
	v_xor_b32_e32 v54, v66, v54
	;; [unrolled: 1-line block ×4, first 2 shown]
	v_cmp_gt_u64_e64 s8, v[54:55], v[52:53]
	v_add_nc_u32_e32 v52, 1, v64
	v_cndmask_b32_e64 v30, v30, v64, s8
	v_cndmask_b32_e64 v31, v52, v31, s8
	v_cmp_ge_u32_e64 s8, v31, v30
	s_or_b32 s12, s8, s12
	s_andn2_b32 exec_lo, exec_lo, s12
	s_cbranch_execnz .LBB1138_125
; %bb.126:
	s_inst_prefetch 0x2
	s_or_b32 exec_lo, exec_lo, s12
.LBB1138_127:
	s_or_b32 exec_lo, exec_lo, s9
	v_add_nc_u32_e32 v11, v116, v11
	v_add_nc_u32_e32 v30, v31, v10
	v_sub_nc_u32_e32 v31, v11, v31
	v_cmp_le_u32_e64 s8, v30, v116
	v_cmp_le_u32_e64 s9, v31, v117
	s_or_b32 s8, s8, s9
	s_and_saveexec_b32 s12, s8
	s_cbranch_execz .LBB1138_163
; %bb.128:
	v_cmp_ge_u32_e64 s8, v30, v116
	s_mov_b32 s13, exec_lo
                                        ; implicit-def: $vgpr10_vgpr11
	v_cmpx_lt_u32_e64 v30, v116
; %bb.129:
	v_lshl_add_u32 v0, v30, 3, v82
	ds_read_b64 v[10:11], v0
; %bb.130:
	s_or_b32 exec_lo, exec_lo, s13
	v_cmp_ge_u32_e64 s13, v31, v117
	s_mov_b32 s15, exec_lo
                                        ; implicit-def: $vgpr16_vgpr17
	v_cmpx_lt_u32_e64 v31, v117
; %bb.131:
	v_lshl_add_u32 v0, v31, 3, v82
	ds_read_b64 v[16:17], v0
; %bb.132:
	s_or_b32 exec_lo, exec_lo, s15
	s_nor_b32 s8, s8, s13
	s_and_saveexec_b32 s9, s8
	s_cbranch_execz .LBB1138_134
; %bb.133:
	s_waitcnt lgkmcnt(0)
	v_add_f64 v[0:1], v[16:17], 0
	v_add_f64 v[4:5], v[10:11], 0
	s_andn2_b32 s13, s13, exec_lo
	v_ashrrev_i32_e32 v8, 31, v1
	v_ashrrev_i32_e32 v9, 31, v5
	v_or_b32_e32 v14, 0x80000000, v8
	v_or_b32_e32 v15, 0x80000000, v9
	v_xor_b32_e32 v0, v8, v0
	v_xor_b32_e32 v4, v9, v4
	;; [unrolled: 1-line block ×4, first 2 shown]
	v_cmp_le_u64_e64 s8, v[0:1], v[4:5]
	s_and_b32 s8, s8, exec_lo
	s_or_b32 s13, s13, s8
.LBB1138_134:
	s_or_b32 exec_lo, exec_lo, s9
	v_cndmask_b32_e64 v0, v31, v30, s13
	v_cndmask_b32_e64 v1, v117, v116, s13
	s_mov_b32 s15, -1
	s_mov_b32 s9, -1
	s_mov_b32 s16, exec_lo
	v_add_nc_u32_e32 v9, 1, v0
	v_add_nc_u32_e32 v1, -1, v1
	v_lshl_add_u32 v0, v0, 3, v81
	v_cndmask_b32_e64 v8, v9, v31, s13
	v_min_u32_e32 v1, v9, v1
	v_cndmask_b32_e64 v9, v30, v9, s13
	v_lshl_add_u32 v1, v1, 3, v82
	ds_read_b64 v[4:5], v1
	ds_read_b64 v[0:1], v0
	s_waitcnt lgkmcnt(1)
	v_cndmask_b32_e64 v19, v5, v17, s13
	v_cndmask_b32_e64 v18, v4, v16, s13
	;; [unrolled: 1-line block ×4, first 2 shown]
	v_cmpx_lt_u32_e64 v8, v117
	s_cbranch_execz .LBB1138_138
; %bb.135:
	s_mov_b32 s17, 0
	s_mov_b32 s9, exec_lo
	v_cmpx_lt_u32_e64 v9, v116
	s_cbranch_execz .LBB1138_137
; %bb.136:
	v_add_f64 v[4:5], v[18:19], 0
	v_add_f64 v[14:15], v[28:29], 0
	v_ashrrev_i32_e32 v20, 31, v5
	v_ashrrev_i32_e32 v21, 31, v15
	v_or_b32_e32 v22, 0x80000000, v20
	v_or_b32_e32 v23, 0x80000000, v21
	v_xor_b32_e32 v4, v20, v4
	v_xor_b32_e32 v14, v21, v14
	;; [unrolled: 1-line block ×4, first 2 shown]
	v_cmp_le_u64_e64 s8, v[4:5], v[14:15]
	s_and_b32 s17, s8, exec_lo
.LBB1138_137:
	s_or_b32 exec_lo, exec_lo, s9
	s_orn2_b32 s9, s17, exec_lo
.LBB1138_138:
	s_or_b32 exec_lo, exec_lo, s16
	v_cndmask_b32_e64 v4, v8, v9, s9
	v_cndmask_b32_e64 v5, v117, v116, s9
	s_mov_b32 s16, exec_lo
	v_add_nc_u32_e32 v15, 1, v4
	v_add_nc_u32_e32 v5, -1, v5
	v_lshl_add_u32 v4, v4, 3, v81
	v_cndmask_b32_e64 v14, v15, v8, s9
	v_min_u32_e32 v5, v15, v5
	v_cndmask_b32_e64 v15, v9, v15, s9
	v_lshl_add_u32 v5, v5, 3, v82
	ds_read_b64 v[20:21], v5
	ds_read_b64 v[4:5], v4
	s_waitcnt lgkmcnt(1)
	v_cndmask_b32_e64 v31, v21, v19, s9
	v_cndmask_b32_e64 v30, v20, v18, s9
	;; [unrolled: 1-line block ×4, first 2 shown]
	v_cmpx_lt_u32_e64 v14, v117
	s_cbranch_execz .LBB1138_142
; %bb.139:
	s_mov_b32 s17, 0
	s_mov_b32 s15, exec_lo
	v_cmpx_lt_u32_e64 v15, v116
	s_cbranch_execz .LBB1138_141
; %bb.140:
	v_add_f64 v[8:9], v[30:31], 0
	v_add_f64 v[20:21], v[32:33], 0
	v_ashrrev_i32_e32 v22, 31, v9
	v_ashrrev_i32_e32 v23, 31, v21
	v_or_b32_e32 v24, 0x80000000, v22
	v_or_b32_e32 v25, 0x80000000, v23
	v_xor_b32_e32 v8, v22, v8
	v_xor_b32_e32 v20, v23, v20
	v_xor_b32_e32 v9, v24, v9
	v_xor_b32_e32 v21, v25, v21
	v_cmp_le_u64_e64 s8, v[8:9], v[20:21]
	s_and_b32 s17, s8, exec_lo
.LBB1138_141:
	s_or_b32 exec_lo, exec_lo, s15
	s_orn2_b32 s15, s17, exec_lo
.LBB1138_142:
	s_or_b32 exec_lo, exec_lo, s16
	v_cndmask_b32_e64 v8, v14, v15, s15
	v_cndmask_b32_e64 v9, v117, v116, s15
	s_mov_b32 s17, -1
	s_mov_b32 s16, -1
	s_mov_b32 s18, exec_lo
	v_add_nc_u32_e32 v21, 1, v8
	v_add_nc_u32_e32 v9, -1, v9
	v_lshl_add_u32 v8, v8, 3, v81
	v_cndmask_b32_e64 v20, v21, v14, s15
	v_min_u32_e32 v9, v21, v9
	v_cndmask_b32_e64 v21, v15, v21, s15
	v_lshl_add_u32 v9, v9, 3, v82
	ds_read_b64 v[22:23], v9
	ds_read_b64 v[8:9], v8
	s_waitcnt lgkmcnt(1)
	v_cndmask_b32_e64 v49, v23, v31, s15
	v_cndmask_b32_e64 v48, v22, v30, s15
	;; [unrolled: 1-line block ×4, first 2 shown]
	v_cmpx_lt_u32_e64 v20, v117
	s_cbranch_execz .LBB1138_146
; %bb.143:
	s_mov_b32 s19, 0
	s_mov_b32 s16, exec_lo
	v_cmpx_lt_u32_e64 v21, v116
	s_cbranch_execz .LBB1138_145
; %bb.144:
	v_add_f64 v[14:15], v[48:49], 0
	v_add_f64 v[22:23], v[50:51], 0
	v_ashrrev_i32_e32 v24, 31, v15
	v_ashrrev_i32_e32 v25, 31, v23
	v_or_b32_e32 v26, 0x80000000, v24
	v_or_b32_e32 v27, 0x80000000, v25
	v_xor_b32_e32 v14, v24, v14
	v_xor_b32_e32 v22, v25, v22
	;; [unrolled: 1-line block ×4, first 2 shown]
	v_cmp_le_u64_e64 s8, v[14:15], v[22:23]
	s_and_b32 s19, s8, exec_lo
.LBB1138_145:
	s_or_b32 exec_lo, exec_lo, s16
	s_orn2_b32 s16, s19, exec_lo
.LBB1138_146:
	s_or_b32 exec_lo, exec_lo, s18
	v_cndmask_b32_e64 v14, v20, v21, s16
	v_cndmask_b32_e64 v15, v117, v116, s16
	s_mov_b32 s18, exec_lo
	v_add_nc_u32_e32 v23, 1, v14
	v_add_nc_u32_e32 v15, -1, v15
	v_lshl_add_u32 v14, v14, 3, v81
	v_cndmask_b32_e64 v22, v23, v20, s16
	v_min_u32_e32 v15, v23, v15
	v_cndmask_b32_e64 v23, v21, v23, s16
	v_lshl_add_u32 v15, v15, 3, v82
	ds_read_b64 v[24:25], v15
	ds_read_b64 v[14:15], v14
	s_waitcnt lgkmcnt(1)
	v_cndmask_b32_e64 v35, v25, v49, s16
	v_cndmask_b32_e64 v34, v24, v48, s16
	;; [unrolled: 1-line block ×4, first 2 shown]
	v_cmpx_lt_u32_e64 v22, v117
	s_cbranch_execz .LBB1138_150
; %bb.147:
	s_mov_b32 s19, 0
	s_mov_b32 s17, exec_lo
	v_cmpx_lt_u32_e64 v23, v116
	s_cbranch_execz .LBB1138_149
; %bb.148:
	v_add_f64 v[20:21], v[34:35], 0
	v_add_f64 v[24:25], v[52:53], 0
	v_ashrrev_i32_e32 v26, 31, v21
	v_ashrrev_i32_e32 v27, 31, v25
	v_or_b32_e32 v36, 0x80000000, v26
	v_or_b32_e32 v37, 0x80000000, v27
	v_xor_b32_e32 v20, v26, v20
	v_xor_b32_e32 v24, v27, v24
	;; [unrolled: 1-line block ×4, first 2 shown]
	v_cmp_le_u64_e64 s8, v[20:21], v[24:25]
	s_and_b32 s19, s8, exec_lo
.LBB1138_149:
	s_or_b32 exec_lo, exec_lo, s17
	s_orn2_b32 s17, s19, exec_lo
.LBB1138_150:
	s_or_b32 exec_lo, exec_lo, s18
	v_cndmask_b32_e64 v20, v22, v23, s17
	v_cndmask_b32_e64 v21, v117, v116, s17
	s_mov_b32 s19, -1
	s_mov_b32 s18, -1
	s_mov_b32 s20, exec_lo
	v_add_nc_u32_e32 v26, 1, v20
	v_add_nc_u32_e32 v21, -1, v21
	v_lshl_add_u32 v20, v20, 3, v81
	v_cndmask_b32_e64 v22, v26, v22, s17
	v_min_u32_e32 v21, v26, v21
	v_cndmask_b32_e64 v23, v23, v26, s17
	v_lshl_add_u32 v21, v21, 3, v82
	ds_read_b64 v[24:25], v21
	ds_read_b64 v[20:21], v20
	s_waitcnt lgkmcnt(1)
	v_cndmask_b32_e64 v27, v25, v35, s17
	v_cndmask_b32_e64 v26, v24, v34, s17
	;; [unrolled: 1-line block ×4, first 2 shown]
	v_cmpx_lt_u32_e64 v22, v117
	s_cbranch_execz .LBB1138_154
; %bb.151:
	s_mov_b32 s21, 0
	s_mov_b32 s18, exec_lo
	v_cmpx_lt_u32_e64 v23, v116
	s_cbranch_execz .LBB1138_153
; %bb.152:
	v_add_f64 v[24:25], v[26:27], 0
	v_add_f64 v[36:37], v[54:55], 0
	v_ashrrev_i32_e32 v38, 31, v25
	v_ashrrev_i32_e32 v39, 31, v37
	v_or_b32_e32 v64, 0x80000000, v38
	v_or_b32_e32 v65, 0x80000000, v39
	v_xor_b32_e32 v24, v38, v24
	v_xor_b32_e32 v36, v39, v36
	v_xor_b32_e32 v25, v64, v25
	v_xor_b32_e32 v37, v65, v37
	v_cmp_le_u64_e64 s8, v[24:25], v[36:37]
	s_and_b32 s21, s8, exec_lo
.LBB1138_153:
	s_or_b32 exec_lo, exec_lo, s18
	s_orn2_b32 s18, s21, exec_lo
.LBB1138_154:
	s_or_b32 exec_lo, exec_lo, s20
	v_cndmask_b32_e64 v24, v22, v23, s18
	v_cndmask_b32_e64 v25, v117, v116, s18
	s_mov_b32 s20, exec_lo
	v_add_nc_u32_e32 v37, 1, v24
	v_add_nc_u32_e32 v25, -1, v25
	v_lshl_add_u32 v24, v24, 3, v81
	v_cndmask_b32_e64 v36, v37, v22, s18
	v_min_u32_e32 v25, v37, v25
	v_cndmask_b32_e64 v37, v23, v37, s18
	v_lshl_add_u32 v25, v25, 3, v82
	ds_read_b64 v[64:65], v25
	ds_read_b64 v[24:25], v24
	s_waitcnt lgkmcnt(1)
	v_cndmask_b32_e64 v39, v65, v27, s18
	v_cndmask_b32_e64 v38, v64, v26, s18
	;; [unrolled: 1-line block ×4, first 2 shown]
	v_cmpx_lt_u32_e64 v36, v117
	s_cbranch_execz .LBB1138_158
; %bb.155:
	s_mov_b32 s21, 0
	s_mov_b32 s19, exec_lo
	v_cmpx_lt_u32_e64 v37, v116
	s_cbranch_execz .LBB1138_157
; %bb.156:
	v_add_f64 v[22:23], v[38:39], 0
	v_add_f64 v[66:67], v[64:65], 0
	v_ashrrev_i32_e32 v68, 31, v23
	v_ashrrev_i32_e32 v69, 31, v67
	v_or_b32_e32 v118, 0x80000000, v68
	v_or_b32_e32 v119, 0x80000000, v69
	v_xor_b32_e32 v22, v68, v22
	v_xor_b32_e32 v66, v69, v66
	;; [unrolled: 1-line block ×4, first 2 shown]
	v_cmp_le_u64_e64 s8, v[22:23], v[66:67]
	s_and_b32 s21, s8, exec_lo
.LBB1138_157:
	s_or_b32 exec_lo, exec_lo, s19
	s_orn2_b32 s19, s21, exec_lo
.LBB1138_158:
	s_or_b32 exec_lo, exec_lo, s20
	v_cndmask_b32_e64 v22, v36, v37, s19
	v_cndmask_b32_e64 v23, v117, v116, s19
	s_mov_b32 s20, -1
	s_mov_b32 s21, exec_lo
	v_add_nc_u32_e32 v66, 1, v22
	v_add_nc_u32_e32 v23, -1, v23
	v_lshl_add_u32 v22, v22, 3, v81
	v_cndmask_b32_e64 v36, v66, v36, s19
	v_min_u32_e32 v23, v66, v23
	v_cndmask_b32_e64 v37, v37, v66, s19
	v_lshl_add_u32 v23, v23, 3, v82
	ds_read_b64 v[68:69], v23
	ds_read_b64 v[22:23], v22
	s_waitcnt lgkmcnt(1)
	v_cndmask_b32_e64 v67, v69, v39, s19
	v_cndmask_b32_e64 v66, v68, v38, s19
	;; [unrolled: 1-line block ×4, first 2 shown]
	v_cmpx_lt_u32_e64 v36, v117
	s_cbranch_execz .LBB1138_162
; %bb.159:
	s_mov_b32 s22, 0
	s_mov_b32 s20, exec_lo
	v_cmpx_lt_u32_e64 v37, v116
	s_cbranch_execz .LBB1138_161
; %bb.160:
	v_add_f64 v[116:117], v[66:67], 0
	v_add_f64 v[118:119], v[68:69], 0
	v_ashrrev_i32_e32 v128, 31, v117
	v_ashrrev_i32_e32 v129, 31, v119
	v_or_b32_e32 v130, 0x80000000, v128
	v_or_b32_e32 v131, 0x80000000, v129
	v_xor_b32_e32 v116, v128, v116
	v_xor_b32_e32 v118, v129, v118
	;; [unrolled: 1-line block ×4, first 2 shown]
	v_cmp_le_u64_e64 s8, v[116:117], v[118:119]
	s_and_b32 s22, s8, exec_lo
.LBB1138_161:
	s_or_b32 exec_lo, exec_lo, s20
	s_orn2_b32 s20, s22, exec_lo
.LBB1138_162:
	s_or_b32 exec_lo, exec_lo, s21
	v_cndmask_b32_e64 v36, v36, v37, s20
	v_cndmask_b32_e64 v39, v39, v65, s19
	;; [unrolled: 1-line block ×5, first 2 shown]
	v_lshl_add_u32 v36, v36, 3, v81
	v_cndmask_b32_e64 v35, v35, v53, s17
	v_cndmask_b32_e64 v34, v34, v52, s17
	;; [unrolled: 1-line block ×4, first 2 shown]
	ds_read_b64 v[36:37], v36
	v_cndmask_b32_e64 v33, v31, v33, s15
	v_cndmask_b32_e64 v32, v30, v32, s15
	;; [unrolled: 1-line block ×8, first 2 shown]
.LBB1138_163:
	s_or_b32 exec_lo, exec_lo, s12
	v_and_b32_e32 v10, 0xc0, v80
	; wave barrier
	ds_write_b64 v84, v[16:17]
	ds_write_b64 v85, v[0:1]
	;; [unrolled: 1-line block ×4, first 2 shown]
	s_mov_b32 s9, exec_lo
	v_or_b32_e32 v11, 32, v10
	ds_write_b64 v103, v[32:33]
	ds_write_b64 v112, v[8:9]
	;; [unrolled: 1-line block ×9, first 2 shown]
	s_waitcnt lgkmcnt(14)
	ds_write_b64 v99, v[22:23]
	ds_write_b64 v86, v[18:19]
	s_waitcnt lgkmcnt(15)
	ds_write_b64 v87, v[36:37]
	v_min_u32_e32 v80, v83, v11
	; wave barrier
	v_add_nc_u32_e32 v11, 32, v80
	v_sub_nc_u32_e32 v50, v80, v10
	v_min_u32_e32 v84, v83, v11
	v_min_u32_e32 v11, v83, v71
	v_sub_nc_u32_e32 v30, v84, v80
	v_sub_nc_u32_e64 v31, v11, v30 clamp
	v_min_u32_e32 v30, v11, v50
	v_cmpx_lt_u32_e64 v31, v30
	s_cbranch_execz .LBB1138_167
; %bb.164:
	v_lshlrev_b32_e32 v50, 3, v10
	v_lshlrev_b32_e32 v51, 3, v80
	s_mov_b32 s12, 0
	v_add_co_u32 v50, null, v82, v50
	v_add_co_u32 v51, null, v82, v51
	s_inst_prefetch 0x1
	.p2align	6
.LBB1138_165:                           ; =>This Inner Loop Header: Depth=1
	v_add_nc_u32_e32 v52, v30, v31
	v_lshrrev_b32_e32 v64, 1, v52
	v_xad_u32 v52, v64, -1, v11
	v_lshl_add_u32 v53, v64, 3, v50
	v_lshl_add_u32 v54, v52, 3, v51
	ds_read_b64 v[52:53], v53
	ds_read_b64 v[54:55], v54
	s_waitcnt lgkmcnt(1)
	v_add_f64 v[52:53], v[52:53], 0
	s_waitcnt lgkmcnt(0)
	v_add_f64 v[54:55], v[54:55], 0
	v_ashrrev_i32_e32 v65, 31, v53
	v_ashrrev_i32_e32 v66, 31, v55
	v_or_b32_e32 v67, 0x80000000, v65
	v_or_b32_e32 v68, 0x80000000, v66
	v_xor_b32_e32 v52, v65, v52
	v_xor_b32_e32 v54, v66, v54
	;; [unrolled: 1-line block ×4, first 2 shown]
	v_cmp_gt_u64_e64 s8, v[54:55], v[52:53]
	v_add_nc_u32_e32 v52, 1, v64
	v_cndmask_b32_e64 v30, v30, v64, s8
	v_cndmask_b32_e64 v31, v52, v31, s8
	v_cmp_ge_u32_e64 s8, v31, v30
	s_or_b32 s12, s8, s12
	s_andn2_b32 exec_lo, exec_lo, s12
	s_cbranch_execnz .LBB1138_165
; %bb.166:
	s_inst_prefetch 0x2
	s_or_b32 exec_lo, exec_lo, s12
.LBB1138_167:
	s_or_b32 exec_lo, exec_lo, s9
	v_add_nc_u32_e32 v11, v80, v11
	v_add_nc_u32_e32 v30, v31, v10
	v_sub_nc_u32_e32 v31, v11, v31
	v_cmp_le_u32_e64 s8, v30, v80
	v_cmp_le_u32_e64 s9, v31, v84
	s_or_b32 s8, s8, s9
	s_and_saveexec_b32 s12, s8
	s_cbranch_execz .LBB1138_203
; %bb.168:
	v_cmp_ge_u32_e64 s8, v30, v80
	s_mov_b32 s13, exec_lo
                                        ; implicit-def: $vgpr10_vgpr11
	v_cmpx_lt_u32_e64 v30, v80
; %bb.169:
	v_lshl_add_u32 v0, v30, 3, v82
	ds_read_b64 v[10:11], v0
; %bb.170:
	s_or_b32 exec_lo, exec_lo, s13
	v_cmp_ge_u32_e64 s13, v31, v84
	s_mov_b32 s15, exec_lo
                                        ; implicit-def: $vgpr16_vgpr17
	v_cmpx_lt_u32_e64 v31, v84
; %bb.171:
	v_lshl_add_u32 v0, v31, 3, v82
	ds_read_b64 v[16:17], v0
; %bb.172:
	s_or_b32 exec_lo, exec_lo, s15
	s_nor_b32 s8, s8, s13
	s_and_saveexec_b32 s9, s8
	s_cbranch_execz .LBB1138_174
; %bb.173:
	s_waitcnt lgkmcnt(0)
	v_add_f64 v[0:1], v[16:17], 0
	v_add_f64 v[4:5], v[10:11], 0
	s_andn2_b32 s13, s13, exec_lo
	v_ashrrev_i32_e32 v8, 31, v1
	v_ashrrev_i32_e32 v9, 31, v5
	v_or_b32_e32 v14, 0x80000000, v8
	v_or_b32_e32 v15, 0x80000000, v9
	v_xor_b32_e32 v0, v8, v0
	v_xor_b32_e32 v4, v9, v4
	;; [unrolled: 1-line block ×4, first 2 shown]
	v_cmp_le_u64_e64 s8, v[0:1], v[4:5]
	s_and_b32 s8, s8, exec_lo
	s_or_b32 s13, s13, s8
.LBB1138_174:
	s_or_b32 exec_lo, exec_lo, s9
	v_cndmask_b32_e64 v0, v31, v30, s13
	v_cndmask_b32_e64 v1, v84, v80, s13
	s_mov_b32 s15, -1
	s_mov_b32 s9, -1
	s_mov_b32 s16, exec_lo
	v_add_nc_u32_e32 v9, 1, v0
	v_add_nc_u32_e32 v1, -1, v1
	v_lshl_add_u32 v0, v0, 3, v81
	v_cndmask_b32_e64 v8, v9, v31, s13
	v_min_u32_e32 v1, v9, v1
	v_cndmask_b32_e64 v9, v30, v9, s13
	v_lshl_add_u32 v1, v1, 3, v82
	ds_read_b64 v[4:5], v1
	ds_read_b64 v[0:1], v0
	s_waitcnt lgkmcnt(1)
	v_cndmask_b32_e64 v19, v5, v17, s13
	v_cndmask_b32_e64 v18, v4, v16, s13
	;; [unrolled: 1-line block ×4, first 2 shown]
	v_cmpx_lt_u32_e64 v8, v84
	s_cbranch_execz .LBB1138_178
; %bb.175:
	s_mov_b32 s17, 0
	s_mov_b32 s9, exec_lo
	v_cmpx_lt_u32_e64 v9, v80
	s_cbranch_execz .LBB1138_177
; %bb.176:
	v_add_f64 v[4:5], v[18:19], 0
	v_add_f64 v[14:15], v[28:29], 0
	v_ashrrev_i32_e32 v20, 31, v5
	v_ashrrev_i32_e32 v21, 31, v15
	v_or_b32_e32 v22, 0x80000000, v20
	v_or_b32_e32 v23, 0x80000000, v21
	v_xor_b32_e32 v4, v20, v4
	v_xor_b32_e32 v14, v21, v14
	v_xor_b32_e32 v5, v22, v5
	v_xor_b32_e32 v15, v23, v15
	v_cmp_le_u64_e64 s8, v[4:5], v[14:15]
	s_and_b32 s17, s8, exec_lo
.LBB1138_177:
	s_or_b32 exec_lo, exec_lo, s9
	s_orn2_b32 s9, s17, exec_lo
.LBB1138_178:
	s_or_b32 exec_lo, exec_lo, s16
	v_cndmask_b32_e64 v4, v8, v9, s9
	v_cndmask_b32_e64 v5, v84, v80, s9
	s_mov_b32 s16, exec_lo
	v_add_nc_u32_e32 v15, 1, v4
	v_add_nc_u32_e32 v5, -1, v5
	v_lshl_add_u32 v4, v4, 3, v81
	v_cndmask_b32_e64 v14, v15, v8, s9
	v_min_u32_e32 v5, v15, v5
	v_cndmask_b32_e64 v15, v9, v15, s9
	v_lshl_add_u32 v5, v5, 3, v82
	ds_read_b64 v[20:21], v5
	ds_read_b64 v[4:5], v4
	s_waitcnt lgkmcnt(1)
	v_cndmask_b32_e64 v31, v21, v19, s9
	v_cndmask_b32_e64 v30, v20, v18, s9
	;; [unrolled: 1-line block ×4, first 2 shown]
	v_cmpx_lt_u32_e64 v14, v84
	s_cbranch_execz .LBB1138_182
; %bb.179:
	s_mov_b32 s17, 0
	s_mov_b32 s15, exec_lo
	v_cmpx_lt_u32_e64 v15, v80
	s_cbranch_execz .LBB1138_181
; %bb.180:
	v_add_f64 v[8:9], v[30:31], 0
	v_add_f64 v[20:21], v[32:33], 0
	v_ashrrev_i32_e32 v22, 31, v9
	v_ashrrev_i32_e32 v23, 31, v21
	v_or_b32_e32 v24, 0x80000000, v22
	v_or_b32_e32 v25, 0x80000000, v23
	v_xor_b32_e32 v8, v22, v8
	v_xor_b32_e32 v20, v23, v20
	v_xor_b32_e32 v9, v24, v9
	v_xor_b32_e32 v21, v25, v21
	v_cmp_le_u64_e64 s8, v[8:9], v[20:21]
	s_and_b32 s17, s8, exec_lo
.LBB1138_181:
	s_or_b32 exec_lo, exec_lo, s15
	s_orn2_b32 s15, s17, exec_lo
.LBB1138_182:
	s_or_b32 exec_lo, exec_lo, s16
	v_cndmask_b32_e64 v8, v14, v15, s15
	v_cndmask_b32_e64 v9, v84, v80, s15
	s_mov_b32 s17, -1
	s_mov_b32 s16, -1
	s_mov_b32 s18, exec_lo
	v_add_nc_u32_e32 v21, 1, v8
	v_add_nc_u32_e32 v9, -1, v9
	v_lshl_add_u32 v8, v8, 3, v81
	v_cndmask_b32_e64 v20, v21, v14, s15
	v_min_u32_e32 v9, v21, v9
	v_cndmask_b32_e64 v21, v15, v21, s15
	v_lshl_add_u32 v9, v9, 3, v82
	ds_read_b64 v[22:23], v9
	ds_read_b64 v[8:9], v8
	s_waitcnt lgkmcnt(1)
	v_cndmask_b32_e64 v49, v23, v31, s15
	v_cndmask_b32_e64 v48, v22, v30, s15
	;; [unrolled: 1-line block ×4, first 2 shown]
	v_cmpx_lt_u32_e64 v20, v84
	s_cbranch_execz .LBB1138_186
; %bb.183:
	s_mov_b32 s19, 0
	s_mov_b32 s16, exec_lo
	v_cmpx_lt_u32_e64 v21, v80
	s_cbranch_execz .LBB1138_185
; %bb.184:
	v_add_f64 v[14:15], v[48:49], 0
	v_add_f64 v[22:23], v[50:51], 0
	v_ashrrev_i32_e32 v24, 31, v15
	v_ashrrev_i32_e32 v25, 31, v23
	v_or_b32_e32 v26, 0x80000000, v24
	v_or_b32_e32 v27, 0x80000000, v25
	v_xor_b32_e32 v14, v24, v14
	v_xor_b32_e32 v22, v25, v22
	;; [unrolled: 1-line block ×4, first 2 shown]
	v_cmp_le_u64_e64 s8, v[14:15], v[22:23]
	s_and_b32 s19, s8, exec_lo
.LBB1138_185:
	s_or_b32 exec_lo, exec_lo, s16
	s_orn2_b32 s16, s19, exec_lo
.LBB1138_186:
	s_or_b32 exec_lo, exec_lo, s18
	v_cndmask_b32_e64 v14, v20, v21, s16
	v_cndmask_b32_e64 v15, v84, v80, s16
	s_mov_b32 s18, exec_lo
	v_add_nc_u32_e32 v23, 1, v14
	v_add_nc_u32_e32 v15, -1, v15
	v_lshl_add_u32 v14, v14, 3, v81
	v_cndmask_b32_e64 v22, v23, v20, s16
	v_min_u32_e32 v15, v23, v15
	v_cndmask_b32_e64 v23, v21, v23, s16
	v_lshl_add_u32 v15, v15, 3, v82
	ds_read_b64 v[24:25], v15
	ds_read_b64 v[14:15], v14
	s_waitcnt lgkmcnt(1)
	v_cndmask_b32_e64 v35, v25, v49, s16
	v_cndmask_b32_e64 v34, v24, v48, s16
	v_cndmask_b32_e64 v53, v51, v25, s16
	v_cndmask_b32_e64 v52, v50, v24, s16
	v_cmpx_lt_u32_e64 v22, v84
	s_cbranch_execz .LBB1138_190
; %bb.187:
	s_mov_b32 s19, 0
	s_mov_b32 s17, exec_lo
	v_cmpx_lt_u32_e64 v23, v80
	s_cbranch_execz .LBB1138_189
; %bb.188:
	v_add_f64 v[20:21], v[34:35], 0
	v_add_f64 v[24:25], v[52:53], 0
	v_ashrrev_i32_e32 v26, 31, v21
	v_ashrrev_i32_e32 v27, 31, v25
	v_or_b32_e32 v36, 0x80000000, v26
	v_or_b32_e32 v37, 0x80000000, v27
	v_xor_b32_e32 v20, v26, v20
	v_xor_b32_e32 v24, v27, v24
	;; [unrolled: 1-line block ×4, first 2 shown]
	v_cmp_le_u64_e64 s8, v[20:21], v[24:25]
	s_and_b32 s19, s8, exec_lo
.LBB1138_189:
	s_or_b32 exec_lo, exec_lo, s17
	s_orn2_b32 s17, s19, exec_lo
.LBB1138_190:
	s_or_b32 exec_lo, exec_lo, s18
	v_cndmask_b32_e64 v20, v22, v23, s17
	v_cndmask_b32_e64 v21, v84, v80, s17
	s_mov_b32 s19, -1
	s_mov_b32 s18, -1
	s_mov_b32 s20, exec_lo
	v_add_nc_u32_e32 v26, 1, v20
	v_add_nc_u32_e32 v21, -1, v21
	v_lshl_add_u32 v20, v20, 3, v81
	v_cndmask_b32_e64 v22, v26, v22, s17
	v_min_u32_e32 v21, v26, v21
	v_cndmask_b32_e64 v23, v23, v26, s17
	v_lshl_add_u32 v21, v21, 3, v82
	ds_read_b64 v[24:25], v21
	ds_read_b64 v[20:21], v20
	s_waitcnt lgkmcnt(1)
	v_cndmask_b32_e64 v27, v25, v35, s17
	v_cndmask_b32_e64 v26, v24, v34, s17
	;; [unrolled: 1-line block ×4, first 2 shown]
	v_cmpx_lt_u32_e64 v22, v84
	s_cbranch_execz .LBB1138_194
; %bb.191:
	s_mov_b32 s21, 0
	s_mov_b32 s18, exec_lo
	v_cmpx_lt_u32_e64 v23, v80
	s_cbranch_execz .LBB1138_193
; %bb.192:
	v_add_f64 v[24:25], v[26:27], 0
	v_add_f64 v[36:37], v[54:55], 0
	v_ashrrev_i32_e32 v38, 31, v25
	v_ashrrev_i32_e32 v39, 31, v37
	v_or_b32_e32 v64, 0x80000000, v38
	v_or_b32_e32 v65, 0x80000000, v39
	v_xor_b32_e32 v24, v38, v24
	v_xor_b32_e32 v36, v39, v36
	;; [unrolled: 1-line block ×4, first 2 shown]
	v_cmp_le_u64_e64 s8, v[24:25], v[36:37]
	s_and_b32 s21, s8, exec_lo
.LBB1138_193:
	s_or_b32 exec_lo, exec_lo, s18
	s_orn2_b32 s18, s21, exec_lo
.LBB1138_194:
	s_or_b32 exec_lo, exec_lo, s20
	v_cndmask_b32_e64 v24, v22, v23, s18
	v_cndmask_b32_e64 v25, v84, v80, s18
	s_mov_b32 s20, exec_lo
	v_add_nc_u32_e32 v37, 1, v24
	v_add_nc_u32_e32 v25, -1, v25
	v_lshl_add_u32 v24, v24, 3, v81
	v_cndmask_b32_e64 v36, v37, v22, s18
	v_min_u32_e32 v25, v37, v25
	v_cndmask_b32_e64 v37, v23, v37, s18
	v_lshl_add_u32 v25, v25, 3, v82
	ds_read_b64 v[64:65], v25
	ds_read_b64 v[24:25], v24
	s_waitcnt lgkmcnt(1)
	v_cndmask_b32_e64 v39, v65, v27, s18
	v_cndmask_b32_e64 v38, v64, v26, s18
	;; [unrolled: 1-line block ×4, first 2 shown]
	v_cmpx_lt_u32_e64 v36, v84
	s_cbranch_execz .LBB1138_198
; %bb.195:
	s_mov_b32 s21, 0
	s_mov_b32 s19, exec_lo
	v_cmpx_lt_u32_e64 v37, v80
	s_cbranch_execz .LBB1138_197
; %bb.196:
	v_add_f64 v[22:23], v[38:39], 0
	v_add_f64 v[66:67], v[64:65], 0
	v_ashrrev_i32_e32 v68, 31, v23
	v_ashrrev_i32_e32 v69, 31, v67
	v_or_b32_e32 v71, 0x80000000, v68
	v_or_b32_e32 v83, 0x80000000, v69
	v_xor_b32_e32 v22, v68, v22
	v_xor_b32_e32 v66, v69, v66
	;; [unrolled: 1-line block ×4, first 2 shown]
	v_cmp_le_u64_e64 s8, v[22:23], v[66:67]
	s_and_b32 s21, s8, exec_lo
.LBB1138_197:
	s_or_b32 exec_lo, exec_lo, s19
	s_orn2_b32 s19, s21, exec_lo
.LBB1138_198:
	s_or_b32 exec_lo, exec_lo, s20
	v_cndmask_b32_e64 v22, v36, v37, s19
	v_cndmask_b32_e64 v23, v84, v80, s19
	s_mov_b32 s20, -1
	s_mov_b32 s21, exec_lo
	v_add_nc_u32_e32 v66, 1, v22
	v_add_nc_u32_e32 v23, -1, v23
	v_lshl_add_u32 v22, v22, 3, v81
	v_cndmask_b32_e64 v36, v66, v36, s19
	v_min_u32_e32 v23, v66, v23
	v_cndmask_b32_e64 v37, v37, v66, s19
	v_lshl_add_u32 v23, v23, 3, v82
	ds_read_b64 v[68:69], v23
	ds_read_b64 v[22:23], v22
	s_waitcnt lgkmcnt(1)
	v_cndmask_b32_e64 v67, v69, v39, s19
	v_cndmask_b32_e64 v66, v68, v38, s19
	;; [unrolled: 1-line block ×4, first 2 shown]
	v_cmpx_lt_u32_e64 v36, v84
	s_cbranch_execz .LBB1138_202
; %bb.199:
	s_mov_b32 s22, 0
	s_mov_b32 s20, exec_lo
	v_cmpx_lt_u32_e64 v37, v80
	s_cbranch_execz .LBB1138_201
; %bb.200:
	v_add_f64 v[82:83], v[66:67], 0
	v_add_f64 v[84:85], v[68:69], 0
	v_ashrrev_i32_e32 v71, 31, v83
	v_ashrrev_i32_e32 v80, 31, v85
	v_or_b32_e32 v86, 0x80000000, v71
	v_or_b32_e32 v87, 0x80000000, v80
	v_xor_b32_e32 v82, v71, v82
	v_xor_b32_e32 v84, v80, v84
	;; [unrolled: 1-line block ×4, first 2 shown]
	v_cmp_le_u64_e64 s8, v[82:83], v[84:85]
	s_and_b32 s22, s8, exec_lo
.LBB1138_201:
	s_or_b32 exec_lo, exec_lo, s20
	s_orn2_b32 s20, s22, exec_lo
.LBB1138_202:
	s_or_b32 exec_lo, exec_lo, s21
	v_cndmask_b32_e64 v36, v36, v37, s20
	v_cndmask_b32_e64 v39, v39, v65, s19
	;; [unrolled: 1-line block ×5, first 2 shown]
	v_lshl_add_u32 v36, v36, 3, v81
	v_cndmask_b32_e64 v35, v35, v53, s17
	v_cndmask_b32_e64 v34, v34, v52, s17
	;; [unrolled: 1-line block ×4, first 2 shown]
	ds_read_b64 v[36:37], v36
	v_cndmask_b32_e64 v33, v31, v33, s15
	v_cndmask_b32_e64 v32, v30, v32, s15
	v_cndmask_b32_e64 v29, v19, v29, s9
	v_cndmask_b32_e64 v28, v18, v28, s9
	v_cndmask_b32_e64 v17, v17, v11, s13
	v_cndmask_b32_e64 v16, v16, v10, s13
	v_cndmask_b32_e64 v19, v67, v69, s20
	v_cndmask_b32_e64 v18, v66, v68, s20
.LBB1138_203:
	s_or_b32 exec_lo, exec_lo, s12
	v_add_co_u32 v2, s8, v2, v12
	v_add_co_ci_u32_e64 v3, null, v3, v13, s8
	v_add_co_u32 v2, s8, v2, v70
	v_add_co_ci_u32_e64 v3, null, 0, v3, s8
	; wave barrier
	s_waitcnt lgkmcnt(0)
	s_waitcnt_vscnt null, 0x0
	s_barrier
	buffer_gl0_inv
	; wave barrier
	s_and_saveexec_b32 s8, vcc_lo
	s_cbranch_execnz .LBB1138_228
; %bb.204:
	s_or_b32 exec_lo, exec_lo, s8
	s_and_saveexec_b32 s8, s4
	s_cbranch_execnz .LBB1138_229
.LBB1138_205:
	s_or_b32 exec_lo, exec_lo, s8
	s_and_saveexec_b32 s8, s5
	s_cbranch_execnz .LBB1138_230
.LBB1138_206:
	s_or_b32 exec_lo, exec_lo, s8
	s_and_saveexec_b32 s8, s6
	s_cbranch_execnz .LBB1138_231
.LBB1138_207:
	s_or_b32 exec_lo, exec_lo, s8
	s_and_saveexec_b32 s8, s7
	s_cbranch_execnz .LBB1138_232
.LBB1138_208:
	s_or_b32 exec_lo, exec_lo, s8
	s_and_saveexec_b32 s8, s10
	s_cbranch_execnz .LBB1138_233
.LBB1138_209:
	s_or_b32 exec_lo, exec_lo, s8
	s_and_saveexec_b32 s8, s11
	s_cbranch_execnz .LBB1138_234
.LBB1138_210:
	s_or_b32 exec_lo, exec_lo, s8
	s_and_saveexec_b32 s8, s14
	s_cbranch_execz .LBB1138_212
.LBB1138_211:
	flat_store_dwordx2 v[2:3], v[18:19] offset:56
.LBB1138_212:
	s_or_b32 exec_lo, exec_lo, s8
	v_add_co_u32 v2, s8, v6, v12
	v_add_co_ci_u32_e64 v3, null, v7, v13, s8
	v_add_co_u32 v2, s8, v2, v70
	v_add_co_ci_u32_e64 v3, null, 0, v3, s8
	; wave barrier
	s_and_saveexec_b32 s8, vcc_lo
	s_cbranch_execnz .LBB1138_235
; %bb.213:
	s_or_b32 exec_lo, exec_lo, s8
	s_and_saveexec_b32 s8, s4
	s_cbranch_execnz .LBB1138_236
.LBB1138_214:
	s_or_b32 exec_lo, exec_lo, s8
	s_and_saveexec_b32 s4, s5
	s_cbranch_execnz .LBB1138_237
.LBB1138_215:
	s_or_b32 exec_lo, exec_lo, s4
	s_and_saveexec_b32 s4, s6
	s_cbranch_execnz .LBB1138_238
.LBB1138_216:
	s_or_b32 exec_lo, exec_lo, s4
	s_and_saveexec_b32 s4, s7
	s_cbranch_execnz .LBB1138_239
.LBB1138_217:
	s_or_b32 exec_lo, exec_lo, s4
	s_and_saveexec_b32 s4, s10
	s_cbranch_execnz .LBB1138_240
.LBB1138_218:
	s_or_b32 exec_lo, exec_lo, s4
	s_and_saveexec_b32 s4, s11
	s_cbranch_execnz .LBB1138_241
.LBB1138_219:
	s_or_b32 exec_lo, exec_lo, s4
	s_and_saveexec_b32 s4, s14
	s_cbranch_execnz .LBB1138_242
.LBB1138_220:
	s_or_b32 exec_lo, exec_lo, s4
	s_waitcnt lgkmcnt(0)
	s_setpc_b64 s[30:31]
.LBB1138_221:
	flat_load_dwordx2 v[0:1], v[50:51]
	s_or_b32 exec_lo, exec_lo, s15
                                        ; implicit-def: $vgpr4_vgpr5
	s_and_saveexec_b32 s15, s4
	s_cbranch_execz .LBB1138_18
.LBB1138_222:
	flat_load_dwordx2 v[4:5], v[50:51] offset:8
	s_or_b32 exec_lo, exec_lo, s15
                                        ; implicit-def: $vgpr8_vgpr9
	s_and_saveexec_b32 s15, s5
	s_cbranch_execz .LBB1138_19
.LBB1138_223:
	flat_load_dwordx2 v[8:9], v[50:51] offset:16
	s_or_b32 exec_lo, exec_lo, s15
                                        ; implicit-def: $vgpr14_vgpr15
	s_and_saveexec_b32 s15, s6
	s_cbranch_execz .LBB1138_20
.LBB1138_224:
	flat_load_dwordx2 v[14:15], v[50:51] offset:24
	s_or_b32 exec_lo, exec_lo, s15
                                        ; implicit-def: $vgpr20_vgpr21
	s_and_saveexec_b32 s15, s7
	s_cbranch_execz .LBB1138_21
.LBB1138_225:
	flat_load_dwordx2 v[20:21], v[50:51] offset:32
	s_or_b32 exec_lo, exec_lo, s15
                                        ; implicit-def: $vgpr24_vgpr25
	s_and_saveexec_b32 s15, s10
	s_cbranch_execz .LBB1138_22
.LBB1138_226:
	flat_load_dwordx2 v[24:25], v[50:51] offset:40
	s_or_b32 exec_lo, exec_lo, s15
                                        ; implicit-def: $vgpr22_vgpr23
	s_and_saveexec_b32 s15, s11
	s_cbranch_execz .LBB1138_23
.LBB1138_227:
	flat_load_dwordx2 v[22:23], v[50:51] offset:48
	s_or_b32 exec_lo, exec_lo, s15
                                        ; implicit-def: $vgpr36_vgpr37
	s_and_saveexec_b32 s15, s14
	s_cbranch_execnz .LBB1138_24
	s_branch .LBB1138_25
.LBB1138_228:
	flat_store_dwordx2 v[2:3], v[16:17]
	s_or_b32 exec_lo, exec_lo, s8
	s_and_saveexec_b32 s8, s4
	s_cbranch_execz .LBB1138_205
.LBB1138_229:
	flat_store_dwordx2 v[2:3], v[28:29] offset:8
	s_or_b32 exec_lo, exec_lo, s8
	s_and_saveexec_b32 s8, s5
	s_cbranch_execz .LBB1138_206
.LBB1138_230:
	flat_store_dwordx2 v[2:3], v[32:33] offset:16
	s_or_b32 exec_lo, exec_lo, s8
	s_and_saveexec_b32 s8, s6
	s_cbranch_execz .LBB1138_207
.LBB1138_231:
	flat_store_dwordx2 v[2:3], v[48:49] offset:24
	s_or_b32 exec_lo, exec_lo, s8
	s_and_saveexec_b32 s8, s7
	s_cbranch_execz .LBB1138_208
.LBB1138_232:
	flat_store_dwordx2 v[2:3], v[34:35] offset:32
	s_or_b32 exec_lo, exec_lo, s8
	s_and_saveexec_b32 s8, s10
	s_cbranch_execz .LBB1138_209
.LBB1138_233:
	flat_store_dwordx2 v[2:3], v[26:27] offset:40
	s_or_b32 exec_lo, exec_lo, s8
	s_and_saveexec_b32 s8, s11
	s_cbranch_execz .LBB1138_210
.LBB1138_234:
	flat_store_dwordx2 v[2:3], v[38:39] offset:48
	s_or_b32 exec_lo, exec_lo, s8
	s_and_saveexec_b32 s8, s14
	s_cbranch_execnz .LBB1138_211
	s_branch .LBB1138_212
.LBB1138_235:
	flat_store_dwordx2 v[2:3], v[0:1]
	s_or_b32 exec_lo, exec_lo, s8
	s_and_saveexec_b32 s8, s4
	s_cbranch_execz .LBB1138_214
.LBB1138_236:
	flat_store_dwordx2 v[2:3], v[4:5] offset:8
	s_or_b32 exec_lo, exec_lo, s8
	s_and_saveexec_b32 s4, s5
	s_cbranch_execz .LBB1138_215
.LBB1138_237:
	flat_store_dwordx2 v[2:3], v[8:9] offset:16
	s_or_b32 exec_lo, exec_lo, s4
	s_and_saveexec_b32 s4, s6
	s_cbranch_execz .LBB1138_216
.LBB1138_238:
	flat_store_dwordx2 v[2:3], v[14:15] offset:24
	s_or_b32 exec_lo, exec_lo, s4
	s_and_saveexec_b32 s4, s7
	s_cbranch_execz .LBB1138_217
.LBB1138_239:
	flat_store_dwordx2 v[2:3], v[20:21] offset:32
	s_or_b32 exec_lo, exec_lo, s4
	s_and_saveexec_b32 s4, s10
	s_cbranch_execz .LBB1138_218
.LBB1138_240:
	flat_store_dwordx2 v[2:3], v[24:25] offset:40
	s_or_b32 exec_lo, exec_lo, s4
	s_and_saveexec_b32 s4, s11
	s_cbranch_execz .LBB1138_219
.LBB1138_241:
	flat_store_dwordx2 v[2:3], v[22:23] offset:48
	s_or_b32 exec_lo, exec_lo, s4
	s_and_saveexec_b32 s4, s14
	s_cbranch_execz .LBB1138_220
.LBB1138_242:
	flat_store_dwordx2 v[2:3], v[36:37] offset:56
	s_or_b32 exec_lo, exec_lo, s4
	s_waitcnt lgkmcnt(0)
	s_setpc_b64 s[30:31]
.Lfunc_end1138:
	.size	_ZN7rocprim17ROCPRIM_400000_NS6detail26segmented_warp_sort_helperINS1_20WarpSortHelperConfigILj8ELj8ELj256EEEdlLi256ELb1EvE4sortIPKdPdPKlPlEEvT_T0_T1_T2_jjjjRNS5_12storage_typeE, .Lfunc_end1138-_ZN7rocprim17ROCPRIM_400000_NS6detail26segmented_warp_sort_helperINS1_20WarpSortHelperConfigILj8ELj8ELj256EEEdlLi256ELb1EvE4sortIPKdPdPKlPlEEvT_T0_T1_T2_jjjjRNS5_12storage_typeE
                                        ; -- End function
	.set .L_ZN7rocprim17ROCPRIM_400000_NS6detail26segmented_warp_sort_helperINS1_20WarpSortHelperConfigILj8ELj8ELj256EEEdlLi256ELb1EvE4sortIPKdPdPKlPlEEvT_T0_T1_T2_jjjjRNS5_12storage_typeE.num_vgpr, 132
	.set .L_ZN7rocprim17ROCPRIM_400000_NS6detail26segmented_warp_sort_helperINS1_20WarpSortHelperConfigILj8ELj8ELj256EEEdlLi256ELb1EvE4sortIPKdPdPKlPlEEvT_T0_T1_T2_jjjjRNS5_12storage_typeE.num_agpr, 0
	.set .L_ZN7rocprim17ROCPRIM_400000_NS6detail26segmented_warp_sort_helperINS1_20WarpSortHelperConfigILj8ELj8ELj256EEEdlLi256ELb1EvE4sortIPKdPdPKlPlEEvT_T0_T1_T2_jjjjRNS5_12storage_typeE.numbered_sgpr, 32
	.set .L_ZN7rocprim17ROCPRIM_400000_NS6detail26segmented_warp_sort_helperINS1_20WarpSortHelperConfigILj8ELj8ELj256EEEdlLi256ELb1EvE4sortIPKdPdPKlPlEEvT_T0_T1_T2_jjjjRNS5_12storage_typeE.num_named_barrier, 0
	.set .L_ZN7rocprim17ROCPRIM_400000_NS6detail26segmented_warp_sort_helperINS1_20WarpSortHelperConfigILj8ELj8ELj256EEEdlLi256ELb1EvE4sortIPKdPdPKlPlEEvT_T0_T1_T2_jjjjRNS5_12storage_typeE.private_seg_size, 0
	.set .L_ZN7rocprim17ROCPRIM_400000_NS6detail26segmented_warp_sort_helperINS1_20WarpSortHelperConfigILj8ELj8ELj256EEEdlLi256ELb1EvE4sortIPKdPdPKlPlEEvT_T0_T1_T2_jjjjRNS5_12storage_typeE.uses_vcc, 1
	.set .L_ZN7rocprim17ROCPRIM_400000_NS6detail26segmented_warp_sort_helperINS1_20WarpSortHelperConfigILj8ELj8ELj256EEEdlLi256ELb1EvE4sortIPKdPdPKlPlEEvT_T0_T1_T2_jjjjRNS5_12storage_typeE.uses_flat_scratch, 0
	.set .L_ZN7rocprim17ROCPRIM_400000_NS6detail26segmented_warp_sort_helperINS1_20WarpSortHelperConfigILj8ELj8ELj256EEEdlLi256ELb1EvE4sortIPKdPdPKlPlEEvT_T0_T1_T2_jjjjRNS5_12storage_typeE.has_dyn_sized_stack, 0
	.set .L_ZN7rocprim17ROCPRIM_400000_NS6detail26segmented_warp_sort_helperINS1_20WarpSortHelperConfigILj8ELj8ELj256EEEdlLi256ELb1EvE4sortIPKdPdPKlPlEEvT_T0_T1_T2_jjjjRNS5_12storage_typeE.has_recursion, 0
	.set .L_ZN7rocprim17ROCPRIM_400000_NS6detail26segmented_warp_sort_helperINS1_20WarpSortHelperConfigILj8ELj8ELj256EEEdlLi256ELb1EvE4sortIPKdPdPKlPlEEvT_T0_T1_T2_jjjjRNS5_12storage_typeE.has_indirect_call, 0
	.section	.AMDGPU.csdata,"",@progbits
; Function info:
; codeLenInByte = 12252
; TotalNumSgprs: 34
; NumVgprs: 132
; ScratchSize: 0
; MemoryBound: 0
	.section	.text._ZN7rocprim17ROCPRIM_400000_NS6detail17trampoline_kernelINS0_14default_configENS1_36segmented_radix_sort_config_selectorIdlEEZNS1_25segmented_radix_sort_implIS3_Lb1EPKdPdPKlPlN2at6native12_GLOBAL__N_18offset_tEEE10hipError_tPvRmT1_PNSt15iterator_traitsISK_E10value_typeET2_T3_PNSL_ISQ_E10value_typeET4_jRbjT5_SW_jjP12ihipStream_tbEUlT_E1_NS1_11comp_targetILNS1_3genE8ELNS1_11target_archE1030ELNS1_3gpuE2ELNS1_3repE0EEENS1_59segmented_radix_sort_warp_sort_small_config_static_selectorELNS0_4arch9wavefront6targetE0EEEvSK_,"axG",@progbits,_ZN7rocprim17ROCPRIM_400000_NS6detail17trampoline_kernelINS0_14default_configENS1_36segmented_radix_sort_config_selectorIdlEEZNS1_25segmented_radix_sort_implIS3_Lb1EPKdPdPKlPlN2at6native12_GLOBAL__N_18offset_tEEE10hipError_tPvRmT1_PNSt15iterator_traitsISK_E10value_typeET2_T3_PNSL_ISQ_E10value_typeET4_jRbjT5_SW_jjP12ihipStream_tbEUlT_E1_NS1_11comp_targetILNS1_3genE8ELNS1_11target_archE1030ELNS1_3gpuE2ELNS1_3repE0EEENS1_59segmented_radix_sort_warp_sort_small_config_static_selectorELNS0_4arch9wavefront6targetE0EEEvSK_,comdat
	.globl	_ZN7rocprim17ROCPRIM_400000_NS6detail17trampoline_kernelINS0_14default_configENS1_36segmented_radix_sort_config_selectorIdlEEZNS1_25segmented_radix_sort_implIS3_Lb1EPKdPdPKlPlN2at6native12_GLOBAL__N_18offset_tEEE10hipError_tPvRmT1_PNSt15iterator_traitsISK_E10value_typeET2_T3_PNSL_ISQ_E10value_typeET4_jRbjT5_SW_jjP12ihipStream_tbEUlT_E1_NS1_11comp_targetILNS1_3genE8ELNS1_11target_archE1030ELNS1_3gpuE2ELNS1_3repE0EEENS1_59segmented_radix_sort_warp_sort_small_config_static_selectorELNS0_4arch9wavefront6targetE0EEEvSK_ ; -- Begin function _ZN7rocprim17ROCPRIM_400000_NS6detail17trampoline_kernelINS0_14default_configENS1_36segmented_radix_sort_config_selectorIdlEEZNS1_25segmented_radix_sort_implIS3_Lb1EPKdPdPKlPlN2at6native12_GLOBAL__N_18offset_tEEE10hipError_tPvRmT1_PNSt15iterator_traitsISK_E10value_typeET2_T3_PNSL_ISQ_E10value_typeET4_jRbjT5_SW_jjP12ihipStream_tbEUlT_E1_NS1_11comp_targetILNS1_3genE8ELNS1_11target_archE1030ELNS1_3gpuE2ELNS1_3repE0EEENS1_59segmented_radix_sort_warp_sort_small_config_static_selectorELNS0_4arch9wavefront6targetE0EEEvSK_
	.p2align	8
	.type	_ZN7rocprim17ROCPRIM_400000_NS6detail17trampoline_kernelINS0_14default_configENS1_36segmented_radix_sort_config_selectorIdlEEZNS1_25segmented_radix_sort_implIS3_Lb1EPKdPdPKlPlN2at6native12_GLOBAL__N_18offset_tEEE10hipError_tPvRmT1_PNSt15iterator_traitsISK_E10value_typeET2_T3_PNSL_ISQ_E10value_typeET4_jRbjT5_SW_jjP12ihipStream_tbEUlT_E1_NS1_11comp_targetILNS1_3genE8ELNS1_11target_archE1030ELNS1_3gpuE2ELNS1_3repE0EEENS1_59segmented_radix_sort_warp_sort_small_config_static_selectorELNS0_4arch9wavefront6targetE0EEEvSK_,@function
_ZN7rocprim17ROCPRIM_400000_NS6detail17trampoline_kernelINS0_14default_configENS1_36segmented_radix_sort_config_selectorIdlEEZNS1_25segmented_radix_sort_implIS3_Lb1EPKdPdPKlPlN2at6native12_GLOBAL__N_18offset_tEEE10hipError_tPvRmT1_PNSt15iterator_traitsISK_E10value_typeET2_T3_PNSL_ISQ_E10value_typeET4_jRbjT5_SW_jjP12ihipStream_tbEUlT_E1_NS1_11comp_targetILNS1_3genE8ELNS1_11target_archE1030ELNS1_3gpuE2ELNS1_3repE0EEENS1_59segmented_radix_sort_warp_sort_small_config_static_selectorELNS0_4arch9wavefront6targetE0EEEvSK_: ; @_ZN7rocprim17ROCPRIM_400000_NS6detail17trampoline_kernelINS0_14default_configENS1_36segmented_radix_sort_config_selectorIdlEEZNS1_25segmented_radix_sort_implIS3_Lb1EPKdPdPKlPlN2at6native12_GLOBAL__N_18offset_tEEE10hipError_tPvRmT1_PNSt15iterator_traitsISK_E10value_typeET2_T3_PNSL_ISQ_E10value_typeET4_jRbjT5_SW_jjP12ihipStream_tbEUlT_E1_NS1_11comp_targetILNS1_3genE8ELNS1_11target_archE1030ELNS1_3gpuE2ELNS1_3repE0EEENS1_59segmented_radix_sort_warp_sort_small_config_static_selectorELNS0_4arch9wavefront6targetE0EEEvSK_
; %bb.0:
	s_add_u32 s0, s0, s8
	s_load_dword s8, s[4:5], 0x64
	s_addc_u32 s1, s1, 0
	s_mov_b32 s32, 0
	s_waitcnt lgkmcnt(0)
	s_lshr_b32 s9, s8, 16
	s_and_b32 s8, s8, 0xffff
	v_mad_u32_u24 v3, v2, s9, v1
	s_load_dword s9, s[4:5], 0x34
	v_mad_u64_u32 v[3:4], null, v3, s8, v[0:1]
	s_mov_b32 s8, exec_lo
	v_lshrrev_b32_e32 v3, 3, v3
	v_lshl_add_u32 v3, s6, 5, v3
	s_waitcnt lgkmcnt(0)
	v_cmpx_gt_u32_e64 s9, v3
	s_cbranch_execz .LBB1139_6
; %bb.1:
	s_clause 0x1
	s_load_dwordx2 s[12:13], s[4:5], 0x38
	s_load_dwordx4 s[8:11], s[4:5], 0x40
	v_mov_b32_e32 v4, 0
	v_lshlrev_b64 v[3:4], 2, v[3:4]
	s_waitcnt lgkmcnt(0)
	v_sub_co_u32 v3, vcc_lo, s12, v3
	v_sub_co_ci_u32_e64 v4, null, s13, v4, vcc_lo
	global_load_dword v3, v[3:4], off offset:-4
	s_waitcnt vmcnt(0)
	v_add_nc_u32_e32 v4, s9, v3
	v_add_nc_u32_e32 v3, s11, v3
	v_mul_lo_u32 v40, v4, s8
	v_mul_lo_u32 v41, v3, s10
	v_cmp_gt_u32_e32 vcc_lo, v41, v40
	s_and_b32 exec_lo, exec_lo, vcc_lo
	s_cbranch_execz .LBB1139_6
; %bb.2:
	s_clause 0x2
	s_load_dword s8, s[4:5], 0x30
	s_load_dwordx4 s[24:27], s[4:5], 0x20
	s_load_dwordx8 s[36:43], s[4:5], 0x0
	v_lshlrev_b32_e32 v43, 20, v2
	v_lshlrev_b32_e32 v44, 10, v1
	s_waitcnt lgkmcnt(0)
	s_bitcmp0_b32 s8, 0
	s_mov_b32 s8, -1
	s_cbranch_scc0 .LBB1139_4
; %bb.3:
	s_mov_b64 s[10:11], src_shared_base
	v_or3_b32 v31, v0, v44, v43
	v_mov_b32_e32 v42, v0
	v_mov_b32_e32 v0, s36
	;; [unrolled: 1-line block ×13, first 2 shown]
	s_add_u32 s8, s4, 0x58
	s_addc_u32 s9, s5, 0
	s_getpc_b64 s[14:15]
	s_add_u32 s14, s14, _ZN7rocprim17ROCPRIM_400000_NS6detail26segmented_warp_sort_helperINS1_20WarpSortHelperConfigILj8ELj8ELj256EEEdlLi256ELb1EvE4sortIPKdPdPKlPlEEvT_T0_T1_T2_jjjjRNS5_12storage_typeE@rel32@lo+4
	s_addc_u32 s15, s15, _ZN7rocprim17ROCPRIM_400000_NS6detail26segmented_warp_sort_helperINS1_20WarpSortHelperConfigILj8ELj8ELj256EEEdlLi256ELb1EvE4sortIPKdPdPKlPlEEvT_T0_T1_T2_jjjjRNS5_12storage_typeE@rel32@hi+12
	s_mov_b32 s12, s6
	s_mov_b32 s13, s7
	s_mov_b64 s[24:25], s[4:5]
	s_mov_b32 s23, s7
	s_mov_b32 s28, s6
	s_swappc_b64 s[30:31], s[14:15]
	v_mov_b32_e32 v0, v42
	s_mov_b32 s6, s28
	s_mov_b32 s7, s23
	s_mov_b64 s[4:5], s[24:25]
	s_mov_b32 s8, 0
.LBB1139_4:
	s_andn2_b32 vcc_lo, exec_lo, s8
	s_cbranch_vccnz .LBB1139_6
; %bb.5:
	s_mov_b64 s[10:11], src_shared_base
	v_or3_b32 v31, v0, v44, v43
	v_mov_b32_e32 v0, s36
	v_mov_b32_e32 v1, s37
	;; [unrolled: 1-line block ×12, first 2 shown]
	s_add_u32 s8, s4, 0x58
	s_addc_u32 s9, s5, 0
	s_getpc_b64 s[4:5]
	s_add_u32 s4, s4, _ZN7rocprim17ROCPRIM_400000_NS6detail26segmented_warp_sort_helperINS1_20WarpSortHelperConfigILj8ELj8ELj256EEEdlLi256ELb1EvE4sortIPKdPdPKlPlEEvT_T0_T1_T2_jjjjRNS5_12storage_typeE@rel32@lo+4
	s_addc_u32 s5, s5, _ZN7rocprim17ROCPRIM_400000_NS6detail26segmented_warp_sort_helperINS1_20WarpSortHelperConfigILj8ELj8ELj256EEEdlLi256ELb1EvE4sortIPKdPdPKlPlEEvT_T0_T1_T2_jjjjRNS5_12storage_typeE@rel32@hi+12
	s_mov_b32 s12, s6
	s_mov_b32 s13, s7
	s_swappc_b64 s[30:31], s[4:5]
.LBB1139_6:
	s_endpgm
	.section	.rodata,"a",@progbits
	.p2align	6, 0x0
	.amdhsa_kernel _ZN7rocprim17ROCPRIM_400000_NS6detail17trampoline_kernelINS0_14default_configENS1_36segmented_radix_sort_config_selectorIdlEEZNS1_25segmented_radix_sort_implIS3_Lb1EPKdPdPKlPlN2at6native12_GLOBAL__N_18offset_tEEE10hipError_tPvRmT1_PNSt15iterator_traitsISK_E10value_typeET2_T3_PNSL_ISQ_E10value_typeET4_jRbjT5_SW_jjP12ihipStream_tbEUlT_E1_NS1_11comp_targetILNS1_3genE8ELNS1_11target_archE1030ELNS1_3gpuE2ELNS1_3repE0EEENS1_59segmented_radix_sort_warp_sort_small_config_static_selectorELNS0_4arch9wavefront6targetE0EEEvSK_
		.amdhsa_group_segment_fixed_size 32768
		.amdhsa_private_segment_fixed_size 0
		.amdhsa_kernarg_size 344
		.amdhsa_user_sgpr_count 6
		.amdhsa_user_sgpr_private_segment_buffer 1
		.amdhsa_user_sgpr_dispatch_ptr 0
		.amdhsa_user_sgpr_queue_ptr 0
		.amdhsa_user_sgpr_kernarg_segment_ptr 1
		.amdhsa_user_sgpr_dispatch_id 0
		.amdhsa_user_sgpr_flat_scratch_init 0
		.amdhsa_user_sgpr_private_segment_size 0
		.amdhsa_wavefront_size32 1
		.amdhsa_uses_dynamic_stack 0
		.amdhsa_system_sgpr_private_segment_wavefront_offset 0
		.amdhsa_system_sgpr_workgroup_id_x 1
		.amdhsa_system_sgpr_workgroup_id_y 1
		.amdhsa_system_sgpr_workgroup_id_z 0
		.amdhsa_system_sgpr_workgroup_info 0
		.amdhsa_system_vgpr_workitem_id 2
		.amdhsa_next_free_vgpr 132
		.amdhsa_next_free_sgpr 44
		.amdhsa_reserve_vcc 1
		.amdhsa_reserve_flat_scratch 0
		.amdhsa_float_round_mode_32 0
		.amdhsa_float_round_mode_16_64 0
		.amdhsa_float_denorm_mode_32 3
		.amdhsa_float_denorm_mode_16_64 3
		.amdhsa_dx10_clamp 1
		.amdhsa_ieee_mode 1
		.amdhsa_fp16_overflow 0
		.amdhsa_workgroup_processor_mode 1
		.amdhsa_memory_ordered 1
		.amdhsa_forward_progress 1
		.amdhsa_shared_vgpr_count 0
		.amdhsa_exception_fp_ieee_invalid_op 0
		.amdhsa_exception_fp_denorm_src 0
		.amdhsa_exception_fp_ieee_div_zero 0
		.amdhsa_exception_fp_ieee_overflow 0
		.amdhsa_exception_fp_ieee_underflow 0
		.amdhsa_exception_fp_ieee_inexact 0
		.amdhsa_exception_int_div_zero 0
	.end_amdhsa_kernel
	.section	.text._ZN7rocprim17ROCPRIM_400000_NS6detail17trampoline_kernelINS0_14default_configENS1_36segmented_radix_sort_config_selectorIdlEEZNS1_25segmented_radix_sort_implIS3_Lb1EPKdPdPKlPlN2at6native12_GLOBAL__N_18offset_tEEE10hipError_tPvRmT1_PNSt15iterator_traitsISK_E10value_typeET2_T3_PNSL_ISQ_E10value_typeET4_jRbjT5_SW_jjP12ihipStream_tbEUlT_E1_NS1_11comp_targetILNS1_3genE8ELNS1_11target_archE1030ELNS1_3gpuE2ELNS1_3repE0EEENS1_59segmented_radix_sort_warp_sort_small_config_static_selectorELNS0_4arch9wavefront6targetE0EEEvSK_,"axG",@progbits,_ZN7rocprim17ROCPRIM_400000_NS6detail17trampoline_kernelINS0_14default_configENS1_36segmented_radix_sort_config_selectorIdlEEZNS1_25segmented_radix_sort_implIS3_Lb1EPKdPdPKlPlN2at6native12_GLOBAL__N_18offset_tEEE10hipError_tPvRmT1_PNSt15iterator_traitsISK_E10value_typeET2_T3_PNSL_ISQ_E10value_typeET4_jRbjT5_SW_jjP12ihipStream_tbEUlT_E1_NS1_11comp_targetILNS1_3genE8ELNS1_11target_archE1030ELNS1_3gpuE2ELNS1_3repE0EEENS1_59segmented_radix_sort_warp_sort_small_config_static_selectorELNS0_4arch9wavefront6targetE0EEEvSK_,comdat
.Lfunc_end1139:
	.size	_ZN7rocprim17ROCPRIM_400000_NS6detail17trampoline_kernelINS0_14default_configENS1_36segmented_radix_sort_config_selectorIdlEEZNS1_25segmented_radix_sort_implIS3_Lb1EPKdPdPKlPlN2at6native12_GLOBAL__N_18offset_tEEE10hipError_tPvRmT1_PNSt15iterator_traitsISK_E10value_typeET2_T3_PNSL_ISQ_E10value_typeET4_jRbjT5_SW_jjP12ihipStream_tbEUlT_E1_NS1_11comp_targetILNS1_3genE8ELNS1_11target_archE1030ELNS1_3gpuE2ELNS1_3repE0EEENS1_59segmented_radix_sort_warp_sort_small_config_static_selectorELNS0_4arch9wavefront6targetE0EEEvSK_, .Lfunc_end1139-_ZN7rocprim17ROCPRIM_400000_NS6detail17trampoline_kernelINS0_14default_configENS1_36segmented_radix_sort_config_selectorIdlEEZNS1_25segmented_radix_sort_implIS3_Lb1EPKdPdPKlPlN2at6native12_GLOBAL__N_18offset_tEEE10hipError_tPvRmT1_PNSt15iterator_traitsISK_E10value_typeET2_T3_PNSL_ISQ_E10value_typeET4_jRbjT5_SW_jjP12ihipStream_tbEUlT_E1_NS1_11comp_targetILNS1_3genE8ELNS1_11target_archE1030ELNS1_3gpuE2ELNS1_3repE0EEENS1_59segmented_radix_sort_warp_sort_small_config_static_selectorELNS0_4arch9wavefront6targetE0EEEvSK_
                                        ; -- End function
	.set _ZN7rocprim17ROCPRIM_400000_NS6detail17trampoline_kernelINS0_14default_configENS1_36segmented_radix_sort_config_selectorIdlEEZNS1_25segmented_radix_sort_implIS3_Lb1EPKdPdPKlPlN2at6native12_GLOBAL__N_18offset_tEEE10hipError_tPvRmT1_PNSt15iterator_traitsISK_E10value_typeET2_T3_PNSL_ISQ_E10value_typeET4_jRbjT5_SW_jjP12ihipStream_tbEUlT_E1_NS1_11comp_targetILNS1_3genE8ELNS1_11target_archE1030ELNS1_3gpuE2ELNS1_3repE0EEENS1_59segmented_radix_sort_warp_sort_small_config_static_selectorELNS0_4arch9wavefront6targetE0EEEvSK_.num_vgpr, max(45, .L_ZN7rocprim17ROCPRIM_400000_NS6detail26segmented_warp_sort_helperINS1_20WarpSortHelperConfigILj8ELj8ELj256EEEdlLi256ELb1EvE4sortIPKdPdPKlPlEEvT_T0_T1_T2_jjjjRNS5_12storage_typeE.num_vgpr)
	.set _ZN7rocprim17ROCPRIM_400000_NS6detail17trampoline_kernelINS0_14default_configENS1_36segmented_radix_sort_config_selectorIdlEEZNS1_25segmented_radix_sort_implIS3_Lb1EPKdPdPKlPlN2at6native12_GLOBAL__N_18offset_tEEE10hipError_tPvRmT1_PNSt15iterator_traitsISK_E10value_typeET2_T3_PNSL_ISQ_E10value_typeET4_jRbjT5_SW_jjP12ihipStream_tbEUlT_E1_NS1_11comp_targetILNS1_3genE8ELNS1_11target_archE1030ELNS1_3gpuE2ELNS1_3repE0EEENS1_59segmented_radix_sort_warp_sort_small_config_static_selectorELNS0_4arch9wavefront6targetE0EEEvSK_.num_agpr, max(0, .L_ZN7rocprim17ROCPRIM_400000_NS6detail26segmented_warp_sort_helperINS1_20WarpSortHelperConfigILj8ELj8ELj256EEEdlLi256ELb1EvE4sortIPKdPdPKlPlEEvT_T0_T1_T2_jjjjRNS5_12storage_typeE.num_agpr)
	.set _ZN7rocprim17ROCPRIM_400000_NS6detail17trampoline_kernelINS0_14default_configENS1_36segmented_radix_sort_config_selectorIdlEEZNS1_25segmented_radix_sort_implIS3_Lb1EPKdPdPKlPlN2at6native12_GLOBAL__N_18offset_tEEE10hipError_tPvRmT1_PNSt15iterator_traitsISK_E10value_typeET2_T3_PNSL_ISQ_E10value_typeET4_jRbjT5_SW_jjP12ihipStream_tbEUlT_E1_NS1_11comp_targetILNS1_3genE8ELNS1_11target_archE1030ELNS1_3gpuE2ELNS1_3repE0EEENS1_59segmented_radix_sort_warp_sort_small_config_static_selectorELNS0_4arch9wavefront6targetE0EEEvSK_.numbered_sgpr, max(44, .L_ZN7rocprim17ROCPRIM_400000_NS6detail26segmented_warp_sort_helperINS1_20WarpSortHelperConfigILj8ELj8ELj256EEEdlLi256ELb1EvE4sortIPKdPdPKlPlEEvT_T0_T1_T2_jjjjRNS5_12storage_typeE.numbered_sgpr)
	.set _ZN7rocprim17ROCPRIM_400000_NS6detail17trampoline_kernelINS0_14default_configENS1_36segmented_radix_sort_config_selectorIdlEEZNS1_25segmented_radix_sort_implIS3_Lb1EPKdPdPKlPlN2at6native12_GLOBAL__N_18offset_tEEE10hipError_tPvRmT1_PNSt15iterator_traitsISK_E10value_typeET2_T3_PNSL_ISQ_E10value_typeET4_jRbjT5_SW_jjP12ihipStream_tbEUlT_E1_NS1_11comp_targetILNS1_3genE8ELNS1_11target_archE1030ELNS1_3gpuE2ELNS1_3repE0EEENS1_59segmented_radix_sort_warp_sort_small_config_static_selectorELNS0_4arch9wavefront6targetE0EEEvSK_.num_named_barrier, max(0, .L_ZN7rocprim17ROCPRIM_400000_NS6detail26segmented_warp_sort_helperINS1_20WarpSortHelperConfigILj8ELj8ELj256EEEdlLi256ELb1EvE4sortIPKdPdPKlPlEEvT_T0_T1_T2_jjjjRNS5_12storage_typeE.num_named_barrier)
	.set _ZN7rocprim17ROCPRIM_400000_NS6detail17trampoline_kernelINS0_14default_configENS1_36segmented_radix_sort_config_selectorIdlEEZNS1_25segmented_radix_sort_implIS3_Lb1EPKdPdPKlPlN2at6native12_GLOBAL__N_18offset_tEEE10hipError_tPvRmT1_PNSt15iterator_traitsISK_E10value_typeET2_T3_PNSL_ISQ_E10value_typeET4_jRbjT5_SW_jjP12ihipStream_tbEUlT_E1_NS1_11comp_targetILNS1_3genE8ELNS1_11target_archE1030ELNS1_3gpuE2ELNS1_3repE0EEENS1_59segmented_radix_sort_warp_sort_small_config_static_selectorELNS0_4arch9wavefront6targetE0EEEvSK_.private_seg_size, 0+max(.L_ZN7rocprim17ROCPRIM_400000_NS6detail26segmented_warp_sort_helperINS1_20WarpSortHelperConfigILj8ELj8ELj256EEEdlLi256ELb1EvE4sortIPKdPdPKlPlEEvT_T0_T1_T2_jjjjRNS5_12storage_typeE.private_seg_size)
	.set _ZN7rocprim17ROCPRIM_400000_NS6detail17trampoline_kernelINS0_14default_configENS1_36segmented_radix_sort_config_selectorIdlEEZNS1_25segmented_radix_sort_implIS3_Lb1EPKdPdPKlPlN2at6native12_GLOBAL__N_18offset_tEEE10hipError_tPvRmT1_PNSt15iterator_traitsISK_E10value_typeET2_T3_PNSL_ISQ_E10value_typeET4_jRbjT5_SW_jjP12ihipStream_tbEUlT_E1_NS1_11comp_targetILNS1_3genE8ELNS1_11target_archE1030ELNS1_3gpuE2ELNS1_3repE0EEENS1_59segmented_radix_sort_warp_sort_small_config_static_selectorELNS0_4arch9wavefront6targetE0EEEvSK_.uses_vcc, or(1, .L_ZN7rocprim17ROCPRIM_400000_NS6detail26segmented_warp_sort_helperINS1_20WarpSortHelperConfigILj8ELj8ELj256EEEdlLi256ELb1EvE4sortIPKdPdPKlPlEEvT_T0_T1_T2_jjjjRNS5_12storage_typeE.uses_vcc)
	.set _ZN7rocprim17ROCPRIM_400000_NS6detail17trampoline_kernelINS0_14default_configENS1_36segmented_radix_sort_config_selectorIdlEEZNS1_25segmented_radix_sort_implIS3_Lb1EPKdPdPKlPlN2at6native12_GLOBAL__N_18offset_tEEE10hipError_tPvRmT1_PNSt15iterator_traitsISK_E10value_typeET2_T3_PNSL_ISQ_E10value_typeET4_jRbjT5_SW_jjP12ihipStream_tbEUlT_E1_NS1_11comp_targetILNS1_3genE8ELNS1_11target_archE1030ELNS1_3gpuE2ELNS1_3repE0EEENS1_59segmented_radix_sort_warp_sort_small_config_static_selectorELNS0_4arch9wavefront6targetE0EEEvSK_.uses_flat_scratch, or(0, .L_ZN7rocprim17ROCPRIM_400000_NS6detail26segmented_warp_sort_helperINS1_20WarpSortHelperConfigILj8ELj8ELj256EEEdlLi256ELb1EvE4sortIPKdPdPKlPlEEvT_T0_T1_T2_jjjjRNS5_12storage_typeE.uses_flat_scratch)
	.set _ZN7rocprim17ROCPRIM_400000_NS6detail17trampoline_kernelINS0_14default_configENS1_36segmented_radix_sort_config_selectorIdlEEZNS1_25segmented_radix_sort_implIS3_Lb1EPKdPdPKlPlN2at6native12_GLOBAL__N_18offset_tEEE10hipError_tPvRmT1_PNSt15iterator_traitsISK_E10value_typeET2_T3_PNSL_ISQ_E10value_typeET4_jRbjT5_SW_jjP12ihipStream_tbEUlT_E1_NS1_11comp_targetILNS1_3genE8ELNS1_11target_archE1030ELNS1_3gpuE2ELNS1_3repE0EEENS1_59segmented_radix_sort_warp_sort_small_config_static_selectorELNS0_4arch9wavefront6targetE0EEEvSK_.has_dyn_sized_stack, or(0, .L_ZN7rocprim17ROCPRIM_400000_NS6detail26segmented_warp_sort_helperINS1_20WarpSortHelperConfigILj8ELj8ELj256EEEdlLi256ELb1EvE4sortIPKdPdPKlPlEEvT_T0_T1_T2_jjjjRNS5_12storage_typeE.has_dyn_sized_stack)
	.set _ZN7rocprim17ROCPRIM_400000_NS6detail17trampoline_kernelINS0_14default_configENS1_36segmented_radix_sort_config_selectorIdlEEZNS1_25segmented_radix_sort_implIS3_Lb1EPKdPdPKlPlN2at6native12_GLOBAL__N_18offset_tEEE10hipError_tPvRmT1_PNSt15iterator_traitsISK_E10value_typeET2_T3_PNSL_ISQ_E10value_typeET4_jRbjT5_SW_jjP12ihipStream_tbEUlT_E1_NS1_11comp_targetILNS1_3genE8ELNS1_11target_archE1030ELNS1_3gpuE2ELNS1_3repE0EEENS1_59segmented_radix_sort_warp_sort_small_config_static_selectorELNS0_4arch9wavefront6targetE0EEEvSK_.has_recursion, or(0, .L_ZN7rocprim17ROCPRIM_400000_NS6detail26segmented_warp_sort_helperINS1_20WarpSortHelperConfigILj8ELj8ELj256EEEdlLi256ELb1EvE4sortIPKdPdPKlPlEEvT_T0_T1_T2_jjjjRNS5_12storage_typeE.has_recursion)
	.set _ZN7rocprim17ROCPRIM_400000_NS6detail17trampoline_kernelINS0_14default_configENS1_36segmented_radix_sort_config_selectorIdlEEZNS1_25segmented_radix_sort_implIS3_Lb1EPKdPdPKlPlN2at6native12_GLOBAL__N_18offset_tEEE10hipError_tPvRmT1_PNSt15iterator_traitsISK_E10value_typeET2_T3_PNSL_ISQ_E10value_typeET4_jRbjT5_SW_jjP12ihipStream_tbEUlT_E1_NS1_11comp_targetILNS1_3genE8ELNS1_11target_archE1030ELNS1_3gpuE2ELNS1_3repE0EEENS1_59segmented_radix_sort_warp_sort_small_config_static_selectorELNS0_4arch9wavefront6targetE0EEEvSK_.has_indirect_call, or(0, .L_ZN7rocprim17ROCPRIM_400000_NS6detail26segmented_warp_sort_helperINS1_20WarpSortHelperConfigILj8ELj8ELj256EEEdlLi256ELb1EvE4sortIPKdPdPKlPlEEvT_T0_T1_T2_jjjjRNS5_12storage_typeE.has_indirect_call)
	.section	.AMDGPU.csdata,"",@progbits
; Kernel info:
; codeLenInByte = 500
; TotalNumSgprs: 46
; NumVgprs: 132
; ScratchSize: 0
; MemoryBound: 0
; FloatMode: 240
; IeeeMode: 1
; LDSByteSize: 32768 bytes/workgroup (compile time only)
; SGPRBlocks: 0
; VGPRBlocks: 16
; NumSGPRsForWavesPerEU: 46
; NumVGPRsForWavesPerEU: 132
; Occupancy: 7
; WaveLimiterHint : 0
; COMPUTE_PGM_RSRC2:SCRATCH_EN: 0
; COMPUTE_PGM_RSRC2:USER_SGPR: 6
; COMPUTE_PGM_RSRC2:TRAP_HANDLER: 0
; COMPUTE_PGM_RSRC2:TGID_X_EN: 1
; COMPUTE_PGM_RSRC2:TGID_Y_EN: 1
; COMPUTE_PGM_RSRC2:TGID_Z_EN: 0
; COMPUTE_PGM_RSRC2:TIDIG_COMP_CNT: 2
	.section	.text._ZN7rocprim17ROCPRIM_400000_NS6detail17trampoline_kernelINS0_14default_configENS1_36segmented_radix_sort_config_selectorIdlEEZNS1_25segmented_radix_sort_implIS3_Lb1EPKdPdPKlPlN2at6native12_GLOBAL__N_18offset_tEEE10hipError_tPvRmT1_PNSt15iterator_traitsISK_E10value_typeET2_T3_PNSL_ISQ_E10value_typeET4_jRbjT5_SW_jjP12ihipStream_tbEUlT_E2_NS1_11comp_targetILNS1_3genE0ELNS1_11target_archE4294967295ELNS1_3gpuE0ELNS1_3repE0EEENS1_30default_config_static_selectorELNS0_4arch9wavefront6targetE0EEEvSK_,"axG",@progbits,_ZN7rocprim17ROCPRIM_400000_NS6detail17trampoline_kernelINS0_14default_configENS1_36segmented_radix_sort_config_selectorIdlEEZNS1_25segmented_radix_sort_implIS3_Lb1EPKdPdPKlPlN2at6native12_GLOBAL__N_18offset_tEEE10hipError_tPvRmT1_PNSt15iterator_traitsISK_E10value_typeET2_T3_PNSL_ISQ_E10value_typeET4_jRbjT5_SW_jjP12ihipStream_tbEUlT_E2_NS1_11comp_targetILNS1_3genE0ELNS1_11target_archE4294967295ELNS1_3gpuE0ELNS1_3repE0EEENS1_30default_config_static_selectorELNS0_4arch9wavefront6targetE0EEEvSK_,comdat
	.globl	_ZN7rocprim17ROCPRIM_400000_NS6detail17trampoline_kernelINS0_14default_configENS1_36segmented_radix_sort_config_selectorIdlEEZNS1_25segmented_radix_sort_implIS3_Lb1EPKdPdPKlPlN2at6native12_GLOBAL__N_18offset_tEEE10hipError_tPvRmT1_PNSt15iterator_traitsISK_E10value_typeET2_T3_PNSL_ISQ_E10value_typeET4_jRbjT5_SW_jjP12ihipStream_tbEUlT_E2_NS1_11comp_targetILNS1_3genE0ELNS1_11target_archE4294967295ELNS1_3gpuE0ELNS1_3repE0EEENS1_30default_config_static_selectorELNS0_4arch9wavefront6targetE0EEEvSK_ ; -- Begin function _ZN7rocprim17ROCPRIM_400000_NS6detail17trampoline_kernelINS0_14default_configENS1_36segmented_radix_sort_config_selectorIdlEEZNS1_25segmented_radix_sort_implIS3_Lb1EPKdPdPKlPlN2at6native12_GLOBAL__N_18offset_tEEE10hipError_tPvRmT1_PNSt15iterator_traitsISK_E10value_typeET2_T3_PNSL_ISQ_E10value_typeET4_jRbjT5_SW_jjP12ihipStream_tbEUlT_E2_NS1_11comp_targetILNS1_3genE0ELNS1_11target_archE4294967295ELNS1_3gpuE0ELNS1_3repE0EEENS1_30default_config_static_selectorELNS0_4arch9wavefront6targetE0EEEvSK_
	.p2align	8
	.type	_ZN7rocprim17ROCPRIM_400000_NS6detail17trampoline_kernelINS0_14default_configENS1_36segmented_radix_sort_config_selectorIdlEEZNS1_25segmented_radix_sort_implIS3_Lb1EPKdPdPKlPlN2at6native12_GLOBAL__N_18offset_tEEE10hipError_tPvRmT1_PNSt15iterator_traitsISK_E10value_typeET2_T3_PNSL_ISQ_E10value_typeET4_jRbjT5_SW_jjP12ihipStream_tbEUlT_E2_NS1_11comp_targetILNS1_3genE0ELNS1_11target_archE4294967295ELNS1_3gpuE0ELNS1_3repE0EEENS1_30default_config_static_selectorELNS0_4arch9wavefront6targetE0EEEvSK_,@function
_ZN7rocprim17ROCPRIM_400000_NS6detail17trampoline_kernelINS0_14default_configENS1_36segmented_radix_sort_config_selectorIdlEEZNS1_25segmented_radix_sort_implIS3_Lb1EPKdPdPKlPlN2at6native12_GLOBAL__N_18offset_tEEE10hipError_tPvRmT1_PNSt15iterator_traitsISK_E10value_typeET2_T3_PNSL_ISQ_E10value_typeET4_jRbjT5_SW_jjP12ihipStream_tbEUlT_E2_NS1_11comp_targetILNS1_3genE0ELNS1_11target_archE4294967295ELNS1_3gpuE0ELNS1_3repE0EEENS1_30default_config_static_selectorELNS0_4arch9wavefront6targetE0EEEvSK_: ; @_ZN7rocprim17ROCPRIM_400000_NS6detail17trampoline_kernelINS0_14default_configENS1_36segmented_radix_sort_config_selectorIdlEEZNS1_25segmented_radix_sort_implIS3_Lb1EPKdPdPKlPlN2at6native12_GLOBAL__N_18offset_tEEE10hipError_tPvRmT1_PNSt15iterator_traitsISK_E10value_typeET2_T3_PNSL_ISQ_E10value_typeET4_jRbjT5_SW_jjP12ihipStream_tbEUlT_E2_NS1_11comp_targetILNS1_3genE0ELNS1_11target_archE4294967295ELNS1_3gpuE0ELNS1_3repE0EEENS1_30default_config_static_selectorELNS0_4arch9wavefront6targetE0EEEvSK_
; %bb.0:
	.section	.rodata,"a",@progbits
	.p2align	6, 0x0
	.amdhsa_kernel _ZN7rocprim17ROCPRIM_400000_NS6detail17trampoline_kernelINS0_14default_configENS1_36segmented_radix_sort_config_selectorIdlEEZNS1_25segmented_radix_sort_implIS3_Lb1EPKdPdPKlPlN2at6native12_GLOBAL__N_18offset_tEEE10hipError_tPvRmT1_PNSt15iterator_traitsISK_E10value_typeET2_T3_PNSL_ISQ_E10value_typeET4_jRbjT5_SW_jjP12ihipStream_tbEUlT_E2_NS1_11comp_targetILNS1_3genE0ELNS1_11target_archE4294967295ELNS1_3gpuE0ELNS1_3repE0EEENS1_30default_config_static_selectorELNS0_4arch9wavefront6targetE0EEEvSK_
		.amdhsa_group_segment_fixed_size 0
		.amdhsa_private_segment_fixed_size 0
		.amdhsa_kernarg_size 80
		.amdhsa_user_sgpr_count 6
		.amdhsa_user_sgpr_private_segment_buffer 1
		.amdhsa_user_sgpr_dispatch_ptr 0
		.amdhsa_user_sgpr_queue_ptr 0
		.amdhsa_user_sgpr_kernarg_segment_ptr 1
		.amdhsa_user_sgpr_dispatch_id 0
		.amdhsa_user_sgpr_flat_scratch_init 0
		.amdhsa_user_sgpr_private_segment_size 0
		.amdhsa_wavefront_size32 1
		.amdhsa_uses_dynamic_stack 0
		.amdhsa_system_sgpr_private_segment_wavefront_offset 0
		.amdhsa_system_sgpr_workgroup_id_x 1
		.amdhsa_system_sgpr_workgroup_id_y 0
		.amdhsa_system_sgpr_workgroup_id_z 0
		.amdhsa_system_sgpr_workgroup_info 0
		.amdhsa_system_vgpr_workitem_id 0
		.amdhsa_next_free_vgpr 1
		.amdhsa_next_free_sgpr 1
		.amdhsa_reserve_vcc 0
		.amdhsa_reserve_flat_scratch 0
		.amdhsa_float_round_mode_32 0
		.amdhsa_float_round_mode_16_64 0
		.amdhsa_float_denorm_mode_32 3
		.amdhsa_float_denorm_mode_16_64 3
		.amdhsa_dx10_clamp 1
		.amdhsa_ieee_mode 1
		.amdhsa_fp16_overflow 0
		.amdhsa_workgroup_processor_mode 1
		.amdhsa_memory_ordered 1
		.amdhsa_forward_progress 1
		.amdhsa_shared_vgpr_count 0
		.amdhsa_exception_fp_ieee_invalid_op 0
		.amdhsa_exception_fp_denorm_src 0
		.amdhsa_exception_fp_ieee_div_zero 0
		.amdhsa_exception_fp_ieee_overflow 0
		.amdhsa_exception_fp_ieee_underflow 0
		.amdhsa_exception_fp_ieee_inexact 0
		.amdhsa_exception_int_div_zero 0
	.end_amdhsa_kernel
	.section	.text._ZN7rocprim17ROCPRIM_400000_NS6detail17trampoline_kernelINS0_14default_configENS1_36segmented_radix_sort_config_selectorIdlEEZNS1_25segmented_radix_sort_implIS3_Lb1EPKdPdPKlPlN2at6native12_GLOBAL__N_18offset_tEEE10hipError_tPvRmT1_PNSt15iterator_traitsISK_E10value_typeET2_T3_PNSL_ISQ_E10value_typeET4_jRbjT5_SW_jjP12ihipStream_tbEUlT_E2_NS1_11comp_targetILNS1_3genE0ELNS1_11target_archE4294967295ELNS1_3gpuE0ELNS1_3repE0EEENS1_30default_config_static_selectorELNS0_4arch9wavefront6targetE0EEEvSK_,"axG",@progbits,_ZN7rocprim17ROCPRIM_400000_NS6detail17trampoline_kernelINS0_14default_configENS1_36segmented_radix_sort_config_selectorIdlEEZNS1_25segmented_radix_sort_implIS3_Lb1EPKdPdPKlPlN2at6native12_GLOBAL__N_18offset_tEEE10hipError_tPvRmT1_PNSt15iterator_traitsISK_E10value_typeET2_T3_PNSL_ISQ_E10value_typeET4_jRbjT5_SW_jjP12ihipStream_tbEUlT_E2_NS1_11comp_targetILNS1_3genE0ELNS1_11target_archE4294967295ELNS1_3gpuE0ELNS1_3repE0EEENS1_30default_config_static_selectorELNS0_4arch9wavefront6targetE0EEEvSK_,comdat
.Lfunc_end1140:
	.size	_ZN7rocprim17ROCPRIM_400000_NS6detail17trampoline_kernelINS0_14default_configENS1_36segmented_radix_sort_config_selectorIdlEEZNS1_25segmented_radix_sort_implIS3_Lb1EPKdPdPKlPlN2at6native12_GLOBAL__N_18offset_tEEE10hipError_tPvRmT1_PNSt15iterator_traitsISK_E10value_typeET2_T3_PNSL_ISQ_E10value_typeET4_jRbjT5_SW_jjP12ihipStream_tbEUlT_E2_NS1_11comp_targetILNS1_3genE0ELNS1_11target_archE4294967295ELNS1_3gpuE0ELNS1_3repE0EEENS1_30default_config_static_selectorELNS0_4arch9wavefront6targetE0EEEvSK_, .Lfunc_end1140-_ZN7rocprim17ROCPRIM_400000_NS6detail17trampoline_kernelINS0_14default_configENS1_36segmented_radix_sort_config_selectorIdlEEZNS1_25segmented_radix_sort_implIS3_Lb1EPKdPdPKlPlN2at6native12_GLOBAL__N_18offset_tEEE10hipError_tPvRmT1_PNSt15iterator_traitsISK_E10value_typeET2_T3_PNSL_ISQ_E10value_typeET4_jRbjT5_SW_jjP12ihipStream_tbEUlT_E2_NS1_11comp_targetILNS1_3genE0ELNS1_11target_archE4294967295ELNS1_3gpuE0ELNS1_3repE0EEENS1_30default_config_static_selectorELNS0_4arch9wavefront6targetE0EEEvSK_
                                        ; -- End function
	.set _ZN7rocprim17ROCPRIM_400000_NS6detail17trampoline_kernelINS0_14default_configENS1_36segmented_radix_sort_config_selectorIdlEEZNS1_25segmented_radix_sort_implIS3_Lb1EPKdPdPKlPlN2at6native12_GLOBAL__N_18offset_tEEE10hipError_tPvRmT1_PNSt15iterator_traitsISK_E10value_typeET2_T3_PNSL_ISQ_E10value_typeET4_jRbjT5_SW_jjP12ihipStream_tbEUlT_E2_NS1_11comp_targetILNS1_3genE0ELNS1_11target_archE4294967295ELNS1_3gpuE0ELNS1_3repE0EEENS1_30default_config_static_selectorELNS0_4arch9wavefront6targetE0EEEvSK_.num_vgpr, 0
	.set _ZN7rocprim17ROCPRIM_400000_NS6detail17trampoline_kernelINS0_14default_configENS1_36segmented_radix_sort_config_selectorIdlEEZNS1_25segmented_radix_sort_implIS3_Lb1EPKdPdPKlPlN2at6native12_GLOBAL__N_18offset_tEEE10hipError_tPvRmT1_PNSt15iterator_traitsISK_E10value_typeET2_T3_PNSL_ISQ_E10value_typeET4_jRbjT5_SW_jjP12ihipStream_tbEUlT_E2_NS1_11comp_targetILNS1_3genE0ELNS1_11target_archE4294967295ELNS1_3gpuE0ELNS1_3repE0EEENS1_30default_config_static_selectorELNS0_4arch9wavefront6targetE0EEEvSK_.num_agpr, 0
	.set _ZN7rocprim17ROCPRIM_400000_NS6detail17trampoline_kernelINS0_14default_configENS1_36segmented_radix_sort_config_selectorIdlEEZNS1_25segmented_radix_sort_implIS3_Lb1EPKdPdPKlPlN2at6native12_GLOBAL__N_18offset_tEEE10hipError_tPvRmT1_PNSt15iterator_traitsISK_E10value_typeET2_T3_PNSL_ISQ_E10value_typeET4_jRbjT5_SW_jjP12ihipStream_tbEUlT_E2_NS1_11comp_targetILNS1_3genE0ELNS1_11target_archE4294967295ELNS1_3gpuE0ELNS1_3repE0EEENS1_30default_config_static_selectorELNS0_4arch9wavefront6targetE0EEEvSK_.numbered_sgpr, 0
	.set _ZN7rocprim17ROCPRIM_400000_NS6detail17trampoline_kernelINS0_14default_configENS1_36segmented_radix_sort_config_selectorIdlEEZNS1_25segmented_radix_sort_implIS3_Lb1EPKdPdPKlPlN2at6native12_GLOBAL__N_18offset_tEEE10hipError_tPvRmT1_PNSt15iterator_traitsISK_E10value_typeET2_T3_PNSL_ISQ_E10value_typeET4_jRbjT5_SW_jjP12ihipStream_tbEUlT_E2_NS1_11comp_targetILNS1_3genE0ELNS1_11target_archE4294967295ELNS1_3gpuE0ELNS1_3repE0EEENS1_30default_config_static_selectorELNS0_4arch9wavefront6targetE0EEEvSK_.num_named_barrier, 0
	.set _ZN7rocprim17ROCPRIM_400000_NS6detail17trampoline_kernelINS0_14default_configENS1_36segmented_radix_sort_config_selectorIdlEEZNS1_25segmented_radix_sort_implIS3_Lb1EPKdPdPKlPlN2at6native12_GLOBAL__N_18offset_tEEE10hipError_tPvRmT1_PNSt15iterator_traitsISK_E10value_typeET2_T3_PNSL_ISQ_E10value_typeET4_jRbjT5_SW_jjP12ihipStream_tbEUlT_E2_NS1_11comp_targetILNS1_3genE0ELNS1_11target_archE4294967295ELNS1_3gpuE0ELNS1_3repE0EEENS1_30default_config_static_selectorELNS0_4arch9wavefront6targetE0EEEvSK_.private_seg_size, 0
	.set _ZN7rocprim17ROCPRIM_400000_NS6detail17trampoline_kernelINS0_14default_configENS1_36segmented_radix_sort_config_selectorIdlEEZNS1_25segmented_radix_sort_implIS3_Lb1EPKdPdPKlPlN2at6native12_GLOBAL__N_18offset_tEEE10hipError_tPvRmT1_PNSt15iterator_traitsISK_E10value_typeET2_T3_PNSL_ISQ_E10value_typeET4_jRbjT5_SW_jjP12ihipStream_tbEUlT_E2_NS1_11comp_targetILNS1_3genE0ELNS1_11target_archE4294967295ELNS1_3gpuE0ELNS1_3repE0EEENS1_30default_config_static_selectorELNS0_4arch9wavefront6targetE0EEEvSK_.uses_vcc, 0
	.set _ZN7rocprim17ROCPRIM_400000_NS6detail17trampoline_kernelINS0_14default_configENS1_36segmented_radix_sort_config_selectorIdlEEZNS1_25segmented_radix_sort_implIS3_Lb1EPKdPdPKlPlN2at6native12_GLOBAL__N_18offset_tEEE10hipError_tPvRmT1_PNSt15iterator_traitsISK_E10value_typeET2_T3_PNSL_ISQ_E10value_typeET4_jRbjT5_SW_jjP12ihipStream_tbEUlT_E2_NS1_11comp_targetILNS1_3genE0ELNS1_11target_archE4294967295ELNS1_3gpuE0ELNS1_3repE0EEENS1_30default_config_static_selectorELNS0_4arch9wavefront6targetE0EEEvSK_.uses_flat_scratch, 0
	.set _ZN7rocprim17ROCPRIM_400000_NS6detail17trampoline_kernelINS0_14default_configENS1_36segmented_radix_sort_config_selectorIdlEEZNS1_25segmented_radix_sort_implIS3_Lb1EPKdPdPKlPlN2at6native12_GLOBAL__N_18offset_tEEE10hipError_tPvRmT1_PNSt15iterator_traitsISK_E10value_typeET2_T3_PNSL_ISQ_E10value_typeET4_jRbjT5_SW_jjP12ihipStream_tbEUlT_E2_NS1_11comp_targetILNS1_3genE0ELNS1_11target_archE4294967295ELNS1_3gpuE0ELNS1_3repE0EEENS1_30default_config_static_selectorELNS0_4arch9wavefront6targetE0EEEvSK_.has_dyn_sized_stack, 0
	.set _ZN7rocprim17ROCPRIM_400000_NS6detail17trampoline_kernelINS0_14default_configENS1_36segmented_radix_sort_config_selectorIdlEEZNS1_25segmented_radix_sort_implIS3_Lb1EPKdPdPKlPlN2at6native12_GLOBAL__N_18offset_tEEE10hipError_tPvRmT1_PNSt15iterator_traitsISK_E10value_typeET2_T3_PNSL_ISQ_E10value_typeET4_jRbjT5_SW_jjP12ihipStream_tbEUlT_E2_NS1_11comp_targetILNS1_3genE0ELNS1_11target_archE4294967295ELNS1_3gpuE0ELNS1_3repE0EEENS1_30default_config_static_selectorELNS0_4arch9wavefront6targetE0EEEvSK_.has_recursion, 0
	.set _ZN7rocprim17ROCPRIM_400000_NS6detail17trampoline_kernelINS0_14default_configENS1_36segmented_radix_sort_config_selectorIdlEEZNS1_25segmented_radix_sort_implIS3_Lb1EPKdPdPKlPlN2at6native12_GLOBAL__N_18offset_tEEE10hipError_tPvRmT1_PNSt15iterator_traitsISK_E10value_typeET2_T3_PNSL_ISQ_E10value_typeET4_jRbjT5_SW_jjP12ihipStream_tbEUlT_E2_NS1_11comp_targetILNS1_3genE0ELNS1_11target_archE4294967295ELNS1_3gpuE0ELNS1_3repE0EEENS1_30default_config_static_selectorELNS0_4arch9wavefront6targetE0EEEvSK_.has_indirect_call, 0
	.section	.AMDGPU.csdata,"",@progbits
; Kernel info:
; codeLenInByte = 0
; TotalNumSgprs: 0
; NumVgprs: 0
; ScratchSize: 0
; MemoryBound: 0
; FloatMode: 240
; IeeeMode: 1
; LDSByteSize: 0 bytes/workgroup (compile time only)
; SGPRBlocks: 0
; VGPRBlocks: 0
; NumSGPRsForWavesPerEU: 1
; NumVGPRsForWavesPerEU: 1
; Occupancy: 16
; WaveLimiterHint : 0
; COMPUTE_PGM_RSRC2:SCRATCH_EN: 0
; COMPUTE_PGM_RSRC2:USER_SGPR: 6
; COMPUTE_PGM_RSRC2:TRAP_HANDLER: 0
; COMPUTE_PGM_RSRC2:TGID_X_EN: 1
; COMPUTE_PGM_RSRC2:TGID_Y_EN: 0
; COMPUTE_PGM_RSRC2:TGID_Z_EN: 0
; COMPUTE_PGM_RSRC2:TIDIG_COMP_CNT: 0
	.section	.text._ZN7rocprim17ROCPRIM_400000_NS6detail17trampoline_kernelINS0_14default_configENS1_36segmented_radix_sort_config_selectorIdlEEZNS1_25segmented_radix_sort_implIS3_Lb1EPKdPdPKlPlN2at6native12_GLOBAL__N_18offset_tEEE10hipError_tPvRmT1_PNSt15iterator_traitsISK_E10value_typeET2_T3_PNSL_ISQ_E10value_typeET4_jRbjT5_SW_jjP12ihipStream_tbEUlT_E2_NS1_11comp_targetILNS1_3genE5ELNS1_11target_archE942ELNS1_3gpuE9ELNS1_3repE0EEENS1_30default_config_static_selectorELNS0_4arch9wavefront6targetE0EEEvSK_,"axG",@progbits,_ZN7rocprim17ROCPRIM_400000_NS6detail17trampoline_kernelINS0_14default_configENS1_36segmented_radix_sort_config_selectorIdlEEZNS1_25segmented_radix_sort_implIS3_Lb1EPKdPdPKlPlN2at6native12_GLOBAL__N_18offset_tEEE10hipError_tPvRmT1_PNSt15iterator_traitsISK_E10value_typeET2_T3_PNSL_ISQ_E10value_typeET4_jRbjT5_SW_jjP12ihipStream_tbEUlT_E2_NS1_11comp_targetILNS1_3genE5ELNS1_11target_archE942ELNS1_3gpuE9ELNS1_3repE0EEENS1_30default_config_static_selectorELNS0_4arch9wavefront6targetE0EEEvSK_,comdat
	.globl	_ZN7rocprim17ROCPRIM_400000_NS6detail17trampoline_kernelINS0_14default_configENS1_36segmented_radix_sort_config_selectorIdlEEZNS1_25segmented_radix_sort_implIS3_Lb1EPKdPdPKlPlN2at6native12_GLOBAL__N_18offset_tEEE10hipError_tPvRmT1_PNSt15iterator_traitsISK_E10value_typeET2_T3_PNSL_ISQ_E10value_typeET4_jRbjT5_SW_jjP12ihipStream_tbEUlT_E2_NS1_11comp_targetILNS1_3genE5ELNS1_11target_archE942ELNS1_3gpuE9ELNS1_3repE0EEENS1_30default_config_static_selectorELNS0_4arch9wavefront6targetE0EEEvSK_ ; -- Begin function _ZN7rocprim17ROCPRIM_400000_NS6detail17trampoline_kernelINS0_14default_configENS1_36segmented_radix_sort_config_selectorIdlEEZNS1_25segmented_radix_sort_implIS3_Lb1EPKdPdPKlPlN2at6native12_GLOBAL__N_18offset_tEEE10hipError_tPvRmT1_PNSt15iterator_traitsISK_E10value_typeET2_T3_PNSL_ISQ_E10value_typeET4_jRbjT5_SW_jjP12ihipStream_tbEUlT_E2_NS1_11comp_targetILNS1_3genE5ELNS1_11target_archE942ELNS1_3gpuE9ELNS1_3repE0EEENS1_30default_config_static_selectorELNS0_4arch9wavefront6targetE0EEEvSK_
	.p2align	8
	.type	_ZN7rocprim17ROCPRIM_400000_NS6detail17trampoline_kernelINS0_14default_configENS1_36segmented_radix_sort_config_selectorIdlEEZNS1_25segmented_radix_sort_implIS3_Lb1EPKdPdPKlPlN2at6native12_GLOBAL__N_18offset_tEEE10hipError_tPvRmT1_PNSt15iterator_traitsISK_E10value_typeET2_T3_PNSL_ISQ_E10value_typeET4_jRbjT5_SW_jjP12ihipStream_tbEUlT_E2_NS1_11comp_targetILNS1_3genE5ELNS1_11target_archE942ELNS1_3gpuE9ELNS1_3repE0EEENS1_30default_config_static_selectorELNS0_4arch9wavefront6targetE0EEEvSK_,@function
_ZN7rocprim17ROCPRIM_400000_NS6detail17trampoline_kernelINS0_14default_configENS1_36segmented_radix_sort_config_selectorIdlEEZNS1_25segmented_radix_sort_implIS3_Lb1EPKdPdPKlPlN2at6native12_GLOBAL__N_18offset_tEEE10hipError_tPvRmT1_PNSt15iterator_traitsISK_E10value_typeET2_T3_PNSL_ISQ_E10value_typeET4_jRbjT5_SW_jjP12ihipStream_tbEUlT_E2_NS1_11comp_targetILNS1_3genE5ELNS1_11target_archE942ELNS1_3gpuE9ELNS1_3repE0EEENS1_30default_config_static_selectorELNS0_4arch9wavefront6targetE0EEEvSK_: ; @_ZN7rocprim17ROCPRIM_400000_NS6detail17trampoline_kernelINS0_14default_configENS1_36segmented_radix_sort_config_selectorIdlEEZNS1_25segmented_radix_sort_implIS3_Lb1EPKdPdPKlPlN2at6native12_GLOBAL__N_18offset_tEEE10hipError_tPvRmT1_PNSt15iterator_traitsISK_E10value_typeET2_T3_PNSL_ISQ_E10value_typeET4_jRbjT5_SW_jjP12ihipStream_tbEUlT_E2_NS1_11comp_targetILNS1_3genE5ELNS1_11target_archE942ELNS1_3gpuE9ELNS1_3repE0EEENS1_30default_config_static_selectorELNS0_4arch9wavefront6targetE0EEEvSK_
; %bb.0:
	.section	.rodata,"a",@progbits
	.p2align	6, 0x0
	.amdhsa_kernel _ZN7rocprim17ROCPRIM_400000_NS6detail17trampoline_kernelINS0_14default_configENS1_36segmented_radix_sort_config_selectorIdlEEZNS1_25segmented_radix_sort_implIS3_Lb1EPKdPdPKlPlN2at6native12_GLOBAL__N_18offset_tEEE10hipError_tPvRmT1_PNSt15iterator_traitsISK_E10value_typeET2_T3_PNSL_ISQ_E10value_typeET4_jRbjT5_SW_jjP12ihipStream_tbEUlT_E2_NS1_11comp_targetILNS1_3genE5ELNS1_11target_archE942ELNS1_3gpuE9ELNS1_3repE0EEENS1_30default_config_static_selectorELNS0_4arch9wavefront6targetE0EEEvSK_
		.amdhsa_group_segment_fixed_size 0
		.amdhsa_private_segment_fixed_size 0
		.amdhsa_kernarg_size 80
		.amdhsa_user_sgpr_count 6
		.amdhsa_user_sgpr_private_segment_buffer 1
		.amdhsa_user_sgpr_dispatch_ptr 0
		.amdhsa_user_sgpr_queue_ptr 0
		.amdhsa_user_sgpr_kernarg_segment_ptr 1
		.amdhsa_user_sgpr_dispatch_id 0
		.amdhsa_user_sgpr_flat_scratch_init 0
		.amdhsa_user_sgpr_private_segment_size 0
		.amdhsa_wavefront_size32 1
		.amdhsa_uses_dynamic_stack 0
		.amdhsa_system_sgpr_private_segment_wavefront_offset 0
		.amdhsa_system_sgpr_workgroup_id_x 1
		.amdhsa_system_sgpr_workgroup_id_y 0
		.amdhsa_system_sgpr_workgroup_id_z 0
		.amdhsa_system_sgpr_workgroup_info 0
		.amdhsa_system_vgpr_workitem_id 0
		.amdhsa_next_free_vgpr 1
		.amdhsa_next_free_sgpr 1
		.amdhsa_reserve_vcc 0
		.amdhsa_reserve_flat_scratch 0
		.amdhsa_float_round_mode_32 0
		.amdhsa_float_round_mode_16_64 0
		.amdhsa_float_denorm_mode_32 3
		.amdhsa_float_denorm_mode_16_64 3
		.amdhsa_dx10_clamp 1
		.amdhsa_ieee_mode 1
		.amdhsa_fp16_overflow 0
		.amdhsa_workgroup_processor_mode 1
		.amdhsa_memory_ordered 1
		.amdhsa_forward_progress 1
		.amdhsa_shared_vgpr_count 0
		.amdhsa_exception_fp_ieee_invalid_op 0
		.amdhsa_exception_fp_denorm_src 0
		.amdhsa_exception_fp_ieee_div_zero 0
		.amdhsa_exception_fp_ieee_overflow 0
		.amdhsa_exception_fp_ieee_underflow 0
		.amdhsa_exception_fp_ieee_inexact 0
		.amdhsa_exception_int_div_zero 0
	.end_amdhsa_kernel
	.section	.text._ZN7rocprim17ROCPRIM_400000_NS6detail17trampoline_kernelINS0_14default_configENS1_36segmented_radix_sort_config_selectorIdlEEZNS1_25segmented_radix_sort_implIS3_Lb1EPKdPdPKlPlN2at6native12_GLOBAL__N_18offset_tEEE10hipError_tPvRmT1_PNSt15iterator_traitsISK_E10value_typeET2_T3_PNSL_ISQ_E10value_typeET4_jRbjT5_SW_jjP12ihipStream_tbEUlT_E2_NS1_11comp_targetILNS1_3genE5ELNS1_11target_archE942ELNS1_3gpuE9ELNS1_3repE0EEENS1_30default_config_static_selectorELNS0_4arch9wavefront6targetE0EEEvSK_,"axG",@progbits,_ZN7rocprim17ROCPRIM_400000_NS6detail17trampoline_kernelINS0_14default_configENS1_36segmented_radix_sort_config_selectorIdlEEZNS1_25segmented_radix_sort_implIS3_Lb1EPKdPdPKlPlN2at6native12_GLOBAL__N_18offset_tEEE10hipError_tPvRmT1_PNSt15iterator_traitsISK_E10value_typeET2_T3_PNSL_ISQ_E10value_typeET4_jRbjT5_SW_jjP12ihipStream_tbEUlT_E2_NS1_11comp_targetILNS1_3genE5ELNS1_11target_archE942ELNS1_3gpuE9ELNS1_3repE0EEENS1_30default_config_static_selectorELNS0_4arch9wavefront6targetE0EEEvSK_,comdat
.Lfunc_end1141:
	.size	_ZN7rocprim17ROCPRIM_400000_NS6detail17trampoline_kernelINS0_14default_configENS1_36segmented_radix_sort_config_selectorIdlEEZNS1_25segmented_radix_sort_implIS3_Lb1EPKdPdPKlPlN2at6native12_GLOBAL__N_18offset_tEEE10hipError_tPvRmT1_PNSt15iterator_traitsISK_E10value_typeET2_T3_PNSL_ISQ_E10value_typeET4_jRbjT5_SW_jjP12ihipStream_tbEUlT_E2_NS1_11comp_targetILNS1_3genE5ELNS1_11target_archE942ELNS1_3gpuE9ELNS1_3repE0EEENS1_30default_config_static_selectorELNS0_4arch9wavefront6targetE0EEEvSK_, .Lfunc_end1141-_ZN7rocprim17ROCPRIM_400000_NS6detail17trampoline_kernelINS0_14default_configENS1_36segmented_radix_sort_config_selectorIdlEEZNS1_25segmented_radix_sort_implIS3_Lb1EPKdPdPKlPlN2at6native12_GLOBAL__N_18offset_tEEE10hipError_tPvRmT1_PNSt15iterator_traitsISK_E10value_typeET2_T3_PNSL_ISQ_E10value_typeET4_jRbjT5_SW_jjP12ihipStream_tbEUlT_E2_NS1_11comp_targetILNS1_3genE5ELNS1_11target_archE942ELNS1_3gpuE9ELNS1_3repE0EEENS1_30default_config_static_selectorELNS0_4arch9wavefront6targetE0EEEvSK_
                                        ; -- End function
	.set _ZN7rocprim17ROCPRIM_400000_NS6detail17trampoline_kernelINS0_14default_configENS1_36segmented_radix_sort_config_selectorIdlEEZNS1_25segmented_radix_sort_implIS3_Lb1EPKdPdPKlPlN2at6native12_GLOBAL__N_18offset_tEEE10hipError_tPvRmT1_PNSt15iterator_traitsISK_E10value_typeET2_T3_PNSL_ISQ_E10value_typeET4_jRbjT5_SW_jjP12ihipStream_tbEUlT_E2_NS1_11comp_targetILNS1_3genE5ELNS1_11target_archE942ELNS1_3gpuE9ELNS1_3repE0EEENS1_30default_config_static_selectorELNS0_4arch9wavefront6targetE0EEEvSK_.num_vgpr, 0
	.set _ZN7rocprim17ROCPRIM_400000_NS6detail17trampoline_kernelINS0_14default_configENS1_36segmented_radix_sort_config_selectorIdlEEZNS1_25segmented_radix_sort_implIS3_Lb1EPKdPdPKlPlN2at6native12_GLOBAL__N_18offset_tEEE10hipError_tPvRmT1_PNSt15iterator_traitsISK_E10value_typeET2_T3_PNSL_ISQ_E10value_typeET4_jRbjT5_SW_jjP12ihipStream_tbEUlT_E2_NS1_11comp_targetILNS1_3genE5ELNS1_11target_archE942ELNS1_3gpuE9ELNS1_3repE0EEENS1_30default_config_static_selectorELNS0_4arch9wavefront6targetE0EEEvSK_.num_agpr, 0
	.set _ZN7rocprim17ROCPRIM_400000_NS6detail17trampoline_kernelINS0_14default_configENS1_36segmented_radix_sort_config_selectorIdlEEZNS1_25segmented_radix_sort_implIS3_Lb1EPKdPdPKlPlN2at6native12_GLOBAL__N_18offset_tEEE10hipError_tPvRmT1_PNSt15iterator_traitsISK_E10value_typeET2_T3_PNSL_ISQ_E10value_typeET4_jRbjT5_SW_jjP12ihipStream_tbEUlT_E2_NS1_11comp_targetILNS1_3genE5ELNS1_11target_archE942ELNS1_3gpuE9ELNS1_3repE0EEENS1_30default_config_static_selectorELNS0_4arch9wavefront6targetE0EEEvSK_.numbered_sgpr, 0
	.set _ZN7rocprim17ROCPRIM_400000_NS6detail17trampoline_kernelINS0_14default_configENS1_36segmented_radix_sort_config_selectorIdlEEZNS1_25segmented_radix_sort_implIS3_Lb1EPKdPdPKlPlN2at6native12_GLOBAL__N_18offset_tEEE10hipError_tPvRmT1_PNSt15iterator_traitsISK_E10value_typeET2_T3_PNSL_ISQ_E10value_typeET4_jRbjT5_SW_jjP12ihipStream_tbEUlT_E2_NS1_11comp_targetILNS1_3genE5ELNS1_11target_archE942ELNS1_3gpuE9ELNS1_3repE0EEENS1_30default_config_static_selectorELNS0_4arch9wavefront6targetE0EEEvSK_.num_named_barrier, 0
	.set _ZN7rocprim17ROCPRIM_400000_NS6detail17trampoline_kernelINS0_14default_configENS1_36segmented_radix_sort_config_selectorIdlEEZNS1_25segmented_radix_sort_implIS3_Lb1EPKdPdPKlPlN2at6native12_GLOBAL__N_18offset_tEEE10hipError_tPvRmT1_PNSt15iterator_traitsISK_E10value_typeET2_T3_PNSL_ISQ_E10value_typeET4_jRbjT5_SW_jjP12ihipStream_tbEUlT_E2_NS1_11comp_targetILNS1_3genE5ELNS1_11target_archE942ELNS1_3gpuE9ELNS1_3repE0EEENS1_30default_config_static_selectorELNS0_4arch9wavefront6targetE0EEEvSK_.private_seg_size, 0
	.set _ZN7rocprim17ROCPRIM_400000_NS6detail17trampoline_kernelINS0_14default_configENS1_36segmented_radix_sort_config_selectorIdlEEZNS1_25segmented_radix_sort_implIS3_Lb1EPKdPdPKlPlN2at6native12_GLOBAL__N_18offset_tEEE10hipError_tPvRmT1_PNSt15iterator_traitsISK_E10value_typeET2_T3_PNSL_ISQ_E10value_typeET4_jRbjT5_SW_jjP12ihipStream_tbEUlT_E2_NS1_11comp_targetILNS1_3genE5ELNS1_11target_archE942ELNS1_3gpuE9ELNS1_3repE0EEENS1_30default_config_static_selectorELNS0_4arch9wavefront6targetE0EEEvSK_.uses_vcc, 0
	.set _ZN7rocprim17ROCPRIM_400000_NS6detail17trampoline_kernelINS0_14default_configENS1_36segmented_radix_sort_config_selectorIdlEEZNS1_25segmented_radix_sort_implIS3_Lb1EPKdPdPKlPlN2at6native12_GLOBAL__N_18offset_tEEE10hipError_tPvRmT1_PNSt15iterator_traitsISK_E10value_typeET2_T3_PNSL_ISQ_E10value_typeET4_jRbjT5_SW_jjP12ihipStream_tbEUlT_E2_NS1_11comp_targetILNS1_3genE5ELNS1_11target_archE942ELNS1_3gpuE9ELNS1_3repE0EEENS1_30default_config_static_selectorELNS0_4arch9wavefront6targetE0EEEvSK_.uses_flat_scratch, 0
	.set _ZN7rocprim17ROCPRIM_400000_NS6detail17trampoline_kernelINS0_14default_configENS1_36segmented_radix_sort_config_selectorIdlEEZNS1_25segmented_radix_sort_implIS3_Lb1EPKdPdPKlPlN2at6native12_GLOBAL__N_18offset_tEEE10hipError_tPvRmT1_PNSt15iterator_traitsISK_E10value_typeET2_T3_PNSL_ISQ_E10value_typeET4_jRbjT5_SW_jjP12ihipStream_tbEUlT_E2_NS1_11comp_targetILNS1_3genE5ELNS1_11target_archE942ELNS1_3gpuE9ELNS1_3repE0EEENS1_30default_config_static_selectorELNS0_4arch9wavefront6targetE0EEEvSK_.has_dyn_sized_stack, 0
	.set _ZN7rocprim17ROCPRIM_400000_NS6detail17trampoline_kernelINS0_14default_configENS1_36segmented_radix_sort_config_selectorIdlEEZNS1_25segmented_radix_sort_implIS3_Lb1EPKdPdPKlPlN2at6native12_GLOBAL__N_18offset_tEEE10hipError_tPvRmT1_PNSt15iterator_traitsISK_E10value_typeET2_T3_PNSL_ISQ_E10value_typeET4_jRbjT5_SW_jjP12ihipStream_tbEUlT_E2_NS1_11comp_targetILNS1_3genE5ELNS1_11target_archE942ELNS1_3gpuE9ELNS1_3repE0EEENS1_30default_config_static_selectorELNS0_4arch9wavefront6targetE0EEEvSK_.has_recursion, 0
	.set _ZN7rocprim17ROCPRIM_400000_NS6detail17trampoline_kernelINS0_14default_configENS1_36segmented_radix_sort_config_selectorIdlEEZNS1_25segmented_radix_sort_implIS3_Lb1EPKdPdPKlPlN2at6native12_GLOBAL__N_18offset_tEEE10hipError_tPvRmT1_PNSt15iterator_traitsISK_E10value_typeET2_T3_PNSL_ISQ_E10value_typeET4_jRbjT5_SW_jjP12ihipStream_tbEUlT_E2_NS1_11comp_targetILNS1_3genE5ELNS1_11target_archE942ELNS1_3gpuE9ELNS1_3repE0EEENS1_30default_config_static_selectorELNS0_4arch9wavefront6targetE0EEEvSK_.has_indirect_call, 0
	.section	.AMDGPU.csdata,"",@progbits
; Kernel info:
; codeLenInByte = 0
; TotalNumSgprs: 0
; NumVgprs: 0
; ScratchSize: 0
; MemoryBound: 0
; FloatMode: 240
; IeeeMode: 1
; LDSByteSize: 0 bytes/workgroup (compile time only)
; SGPRBlocks: 0
; VGPRBlocks: 0
; NumSGPRsForWavesPerEU: 1
; NumVGPRsForWavesPerEU: 1
; Occupancy: 16
; WaveLimiterHint : 0
; COMPUTE_PGM_RSRC2:SCRATCH_EN: 0
; COMPUTE_PGM_RSRC2:USER_SGPR: 6
; COMPUTE_PGM_RSRC2:TRAP_HANDLER: 0
; COMPUTE_PGM_RSRC2:TGID_X_EN: 1
; COMPUTE_PGM_RSRC2:TGID_Y_EN: 0
; COMPUTE_PGM_RSRC2:TGID_Z_EN: 0
; COMPUTE_PGM_RSRC2:TIDIG_COMP_CNT: 0
	.section	.text._ZN7rocprim17ROCPRIM_400000_NS6detail17trampoline_kernelINS0_14default_configENS1_36segmented_radix_sort_config_selectorIdlEEZNS1_25segmented_radix_sort_implIS3_Lb1EPKdPdPKlPlN2at6native12_GLOBAL__N_18offset_tEEE10hipError_tPvRmT1_PNSt15iterator_traitsISK_E10value_typeET2_T3_PNSL_ISQ_E10value_typeET4_jRbjT5_SW_jjP12ihipStream_tbEUlT_E2_NS1_11comp_targetILNS1_3genE4ELNS1_11target_archE910ELNS1_3gpuE8ELNS1_3repE0EEENS1_30default_config_static_selectorELNS0_4arch9wavefront6targetE0EEEvSK_,"axG",@progbits,_ZN7rocprim17ROCPRIM_400000_NS6detail17trampoline_kernelINS0_14default_configENS1_36segmented_radix_sort_config_selectorIdlEEZNS1_25segmented_radix_sort_implIS3_Lb1EPKdPdPKlPlN2at6native12_GLOBAL__N_18offset_tEEE10hipError_tPvRmT1_PNSt15iterator_traitsISK_E10value_typeET2_T3_PNSL_ISQ_E10value_typeET4_jRbjT5_SW_jjP12ihipStream_tbEUlT_E2_NS1_11comp_targetILNS1_3genE4ELNS1_11target_archE910ELNS1_3gpuE8ELNS1_3repE0EEENS1_30default_config_static_selectorELNS0_4arch9wavefront6targetE0EEEvSK_,comdat
	.globl	_ZN7rocprim17ROCPRIM_400000_NS6detail17trampoline_kernelINS0_14default_configENS1_36segmented_radix_sort_config_selectorIdlEEZNS1_25segmented_radix_sort_implIS3_Lb1EPKdPdPKlPlN2at6native12_GLOBAL__N_18offset_tEEE10hipError_tPvRmT1_PNSt15iterator_traitsISK_E10value_typeET2_T3_PNSL_ISQ_E10value_typeET4_jRbjT5_SW_jjP12ihipStream_tbEUlT_E2_NS1_11comp_targetILNS1_3genE4ELNS1_11target_archE910ELNS1_3gpuE8ELNS1_3repE0EEENS1_30default_config_static_selectorELNS0_4arch9wavefront6targetE0EEEvSK_ ; -- Begin function _ZN7rocprim17ROCPRIM_400000_NS6detail17trampoline_kernelINS0_14default_configENS1_36segmented_radix_sort_config_selectorIdlEEZNS1_25segmented_radix_sort_implIS3_Lb1EPKdPdPKlPlN2at6native12_GLOBAL__N_18offset_tEEE10hipError_tPvRmT1_PNSt15iterator_traitsISK_E10value_typeET2_T3_PNSL_ISQ_E10value_typeET4_jRbjT5_SW_jjP12ihipStream_tbEUlT_E2_NS1_11comp_targetILNS1_3genE4ELNS1_11target_archE910ELNS1_3gpuE8ELNS1_3repE0EEENS1_30default_config_static_selectorELNS0_4arch9wavefront6targetE0EEEvSK_
	.p2align	8
	.type	_ZN7rocprim17ROCPRIM_400000_NS6detail17trampoline_kernelINS0_14default_configENS1_36segmented_radix_sort_config_selectorIdlEEZNS1_25segmented_radix_sort_implIS3_Lb1EPKdPdPKlPlN2at6native12_GLOBAL__N_18offset_tEEE10hipError_tPvRmT1_PNSt15iterator_traitsISK_E10value_typeET2_T3_PNSL_ISQ_E10value_typeET4_jRbjT5_SW_jjP12ihipStream_tbEUlT_E2_NS1_11comp_targetILNS1_3genE4ELNS1_11target_archE910ELNS1_3gpuE8ELNS1_3repE0EEENS1_30default_config_static_selectorELNS0_4arch9wavefront6targetE0EEEvSK_,@function
_ZN7rocprim17ROCPRIM_400000_NS6detail17trampoline_kernelINS0_14default_configENS1_36segmented_radix_sort_config_selectorIdlEEZNS1_25segmented_radix_sort_implIS3_Lb1EPKdPdPKlPlN2at6native12_GLOBAL__N_18offset_tEEE10hipError_tPvRmT1_PNSt15iterator_traitsISK_E10value_typeET2_T3_PNSL_ISQ_E10value_typeET4_jRbjT5_SW_jjP12ihipStream_tbEUlT_E2_NS1_11comp_targetILNS1_3genE4ELNS1_11target_archE910ELNS1_3gpuE8ELNS1_3repE0EEENS1_30default_config_static_selectorELNS0_4arch9wavefront6targetE0EEEvSK_: ; @_ZN7rocprim17ROCPRIM_400000_NS6detail17trampoline_kernelINS0_14default_configENS1_36segmented_radix_sort_config_selectorIdlEEZNS1_25segmented_radix_sort_implIS3_Lb1EPKdPdPKlPlN2at6native12_GLOBAL__N_18offset_tEEE10hipError_tPvRmT1_PNSt15iterator_traitsISK_E10value_typeET2_T3_PNSL_ISQ_E10value_typeET4_jRbjT5_SW_jjP12ihipStream_tbEUlT_E2_NS1_11comp_targetILNS1_3genE4ELNS1_11target_archE910ELNS1_3gpuE8ELNS1_3repE0EEENS1_30default_config_static_selectorELNS0_4arch9wavefront6targetE0EEEvSK_
; %bb.0:
	.section	.rodata,"a",@progbits
	.p2align	6, 0x0
	.amdhsa_kernel _ZN7rocprim17ROCPRIM_400000_NS6detail17trampoline_kernelINS0_14default_configENS1_36segmented_radix_sort_config_selectorIdlEEZNS1_25segmented_radix_sort_implIS3_Lb1EPKdPdPKlPlN2at6native12_GLOBAL__N_18offset_tEEE10hipError_tPvRmT1_PNSt15iterator_traitsISK_E10value_typeET2_T3_PNSL_ISQ_E10value_typeET4_jRbjT5_SW_jjP12ihipStream_tbEUlT_E2_NS1_11comp_targetILNS1_3genE4ELNS1_11target_archE910ELNS1_3gpuE8ELNS1_3repE0EEENS1_30default_config_static_selectorELNS0_4arch9wavefront6targetE0EEEvSK_
		.amdhsa_group_segment_fixed_size 0
		.amdhsa_private_segment_fixed_size 0
		.amdhsa_kernarg_size 80
		.amdhsa_user_sgpr_count 6
		.amdhsa_user_sgpr_private_segment_buffer 1
		.amdhsa_user_sgpr_dispatch_ptr 0
		.amdhsa_user_sgpr_queue_ptr 0
		.amdhsa_user_sgpr_kernarg_segment_ptr 1
		.amdhsa_user_sgpr_dispatch_id 0
		.amdhsa_user_sgpr_flat_scratch_init 0
		.amdhsa_user_sgpr_private_segment_size 0
		.amdhsa_wavefront_size32 1
		.amdhsa_uses_dynamic_stack 0
		.amdhsa_system_sgpr_private_segment_wavefront_offset 0
		.amdhsa_system_sgpr_workgroup_id_x 1
		.amdhsa_system_sgpr_workgroup_id_y 0
		.amdhsa_system_sgpr_workgroup_id_z 0
		.amdhsa_system_sgpr_workgroup_info 0
		.amdhsa_system_vgpr_workitem_id 0
		.amdhsa_next_free_vgpr 1
		.amdhsa_next_free_sgpr 1
		.amdhsa_reserve_vcc 0
		.amdhsa_reserve_flat_scratch 0
		.amdhsa_float_round_mode_32 0
		.amdhsa_float_round_mode_16_64 0
		.amdhsa_float_denorm_mode_32 3
		.amdhsa_float_denorm_mode_16_64 3
		.amdhsa_dx10_clamp 1
		.amdhsa_ieee_mode 1
		.amdhsa_fp16_overflow 0
		.amdhsa_workgroup_processor_mode 1
		.amdhsa_memory_ordered 1
		.amdhsa_forward_progress 1
		.amdhsa_shared_vgpr_count 0
		.amdhsa_exception_fp_ieee_invalid_op 0
		.amdhsa_exception_fp_denorm_src 0
		.amdhsa_exception_fp_ieee_div_zero 0
		.amdhsa_exception_fp_ieee_overflow 0
		.amdhsa_exception_fp_ieee_underflow 0
		.amdhsa_exception_fp_ieee_inexact 0
		.amdhsa_exception_int_div_zero 0
	.end_amdhsa_kernel
	.section	.text._ZN7rocprim17ROCPRIM_400000_NS6detail17trampoline_kernelINS0_14default_configENS1_36segmented_radix_sort_config_selectorIdlEEZNS1_25segmented_radix_sort_implIS3_Lb1EPKdPdPKlPlN2at6native12_GLOBAL__N_18offset_tEEE10hipError_tPvRmT1_PNSt15iterator_traitsISK_E10value_typeET2_T3_PNSL_ISQ_E10value_typeET4_jRbjT5_SW_jjP12ihipStream_tbEUlT_E2_NS1_11comp_targetILNS1_3genE4ELNS1_11target_archE910ELNS1_3gpuE8ELNS1_3repE0EEENS1_30default_config_static_selectorELNS0_4arch9wavefront6targetE0EEEvSK_,"axG",@progbits,_ZN7rocprim17ROCPRIM_400000_NS6detail17trampoline_kernelINS0_14default_configENS1_36segmented_radix_sort_config_selectorIdlEEZNS1_25segmented_radix_sort_implIS3_Lb1EPKdPdPKlPlN2at6native12_GLOBAL__N_18offset_tEEE10hipError_tPvRmT1_PNSt15iterator_traitsISK_E10value_typeET2_T3_PNSL_ISQ_E10value_typeET4_jRbjT5_SW_jjP12ihipStream_tbEUlT_E2_NS1_11comp_targetILNS1_3genE4ELNS1_11target_archE910ELNS1_3gpuE8ELNS1_3repE0EEENS1_30default_config_static_selectorELNS0_4arch9wavefront6targetE0EEEvSK_,comdat
.Lfunc_end1142:
	.size	_ZN7rocprim17ROCPRIM_400000_NS6detail17trampoline_kernelINS0_14default_configENS1_36segmented_radix_sort_config_selectorIdlEEZNS1_25segmented_radix_sort_implIS3_Lb1EPKdPdPKlPlN2at6native12_GLOBAL__N_18offset_tEEE10hipError_tPvRmT1_PNSt15iterator_traitsISK_E10value_typeET2_T3_PNSL_ISQ_E10value_typeET4_jRbjT5_SW_jjP12ihipStream_tbEUlT_E2_NS1_11comp_targetILNS1_3genE4ELNS1_11target_archE910ELNS1_3gpuE8ELNS1_3repE0EEENS1_30default_config_static_selectorELNS0_4arch9wavefront6targetE0EEEvSK_, .Lfunc_end1142-_ZN7rocprim17ROCPRIM_400000_NS6detail17trampoline_kernelINS0_14default_configENS1_36segmented_radix_sort_config_selectorIdlEEZNS1_25segmented_radix_sort_implIS3_Lb1EPKdPdPKlPlN2at6native12_GLOBAL__N_18offset_tEEE10hipError_tPvRmT1_PNSt15iterator_traitsISK_E10value_typeET2_T3_PNSL_ISQ_E10value_typeET4_jRbjT5_SW_jjP12ihipStream_tbEUlT_E2_NS1_11comp_targetILNS1_3genE4ELNS1_11target_archE910ELNS1_3gpuE8ELNS1_3repE0EEENS1_30default_config_static_selectorELNS0_4arch9wavefront6targetE0EEEvSK_
                                        ; -- End function
	.set _ZN7rocprim17ROCPRIM_400000_NS6detail17trampoline_kernelINS0_14default_configENS1_36segmented_radix_sort_config_selectorIdlEEZNS1_25segmented_radix_sort_implIS3_Lb1EPKdPdPKlPlN2at6native12_GLOBAL__N_18offset_tEEE10hipError_tPvRmT1_PNSt15iterator_traitsISK_E10value_typeET2_T3_PNSL_ISQ_E10value_typeET4_jRbjT5_SW_jjP12ihipStream_tbEUlT_E2_NS1_11comp_targetILNS1_3genE4ELNS1_11target_archE910ELNS1_3gpuE8ELNS1_3repE0EEENS1_30default_config_static_selectorELNS0_4arch9wavefront6targetE0EEEvSK_.num_vgpr, 0
	.set _ZN7rocprim17ROCPRIM_400000_NS6detail17trampoline_kernelINS0_14default_configENS1_36segmented_radix_sort_config_selectorIdlEEZNS1_25segmented_radix_sort_implIS3_Lb1EPKdPdPKlPlN2at6native12_GLOBAL__N_18offset_tEEE10hipError_tPvRmT1_PNSt15iterator_traitsISK_E10value_typeET2_T3_PNSL_ISQ_E10value_typeET4_jRbjT5_SW_jjP12ihipStream_tbEUlT_E2_NS1_11comp_targetILNS1_3genE4ELNS1_11target_archE910ELNS1_3gpuE8ELNS1_3repE0EEENS1_30default_config_static_selectorELNS0_4arch9wavefront6targetE0EEEvSK_.num_agpr, 0
	.set _ZN7rocprim17ROCPRIM_400000_NS6detail17trampoline_kernelINS0_14default_configENS1_36segmented_radix_sort_config_selectorIdlEEZNS1_25segmented_radix_sort_implIS3_Lb1EPKdPdPKlPlN2at6native12_GLOBAL__N_18offset_tEEE10hipError_tPvRmT1_PNSt15iterator_traitsISK_E10value_typeET2_T3_PNSL_ISQ_E10value_typeET4_jRbjT5_SW_jjP12ihipStream_tbEUlT_E2_NS1_11comp_targetILNS1_3genE4ELNS1_11target_archE910ELNS1_3gpuE8ELNS1_3repE0EEENS1_30default_config_static_selectorELNS0_4arch9wavefront6targetE0EEEvSK_.numbered_sgpr, 0
	.set _ZN7rocprim17ROCPRIM_400000_NS6detail17trampoline_kernelINS0_14default_configENS1_36segmented_radix_sort_config_selectorIdlEEZNS1_25segmented_radix_sort_implIS3_Lb1EPKdPdPKlPlN2at6native12_GLOBAL__N_18offset_tEEE10hipError_tPvRmT1_PNSt15iterator_traitsISK_E10value_typeET2_T3_PNSL_ISQ_E10value_typeET4_jRbjT5_SW_jjP12ihipStream_tbEUlT_E2_NS1_11comp_targetILNS1_3genE4ELNS1_11target_archE910ELNS1_3gpuE8ELNS1_3repE0EEENS1_30default_config_static_selectorELNS0_4arch9wavefront6targetE0EEEvSK_.num_named_barrier, 0
	.set _ZN7rocprim17ROCPRIM_400000_NS6detail17trampoline_kernelINS0_14default_configENS1_36segmented_radix_sort_config_selectorIdlEEZNS1_25segmented_radix_sort_implIS3_Lb1EPKdPdPKlPlN2at6native12_GLOBAL__N_18offset_tEEE10hipError_tPvRmT1_PNSt15iterator_traitsISK_E10value_typeET2_T3_PNSL_ISQ_E10value_typeET4_jRbjT5_SW_jjP12ihipStream_tbEUlT_E2_NS1_11comp_targetILNS1_3genE4ELNS1_11target_archE910ELNS1_3gpuE8ELNS1_3repE0EEENS1_30default_config_static_selectorELNS0_4arch9wavefront6targetE0EEEvSK_.private_seg_size, 0
	.set _ZN7rocprim17ROCPRIM_400000_NS6detail17trampoline_kernelINS0_14default_configENS1_36segmented_radix_sort_config_selectorIdlEEZNS1_25segmented_radix_sort_implIS3_Lb1EPKdPdPKlPlN2at6native12_GLOBAL__N_18offset_tEEE10hipError_tPvRmT1_PNSt15iterator_traitsISK_E10value_typeET2_T3_PNSL_ISQ_E10value_typeET4_jRbjT5_SW_jjP12ihipStream_tbEUlT_E2_NS1_11comp_targetILNS1_3genE4ELNS1_11target_archE910ELNS1_3gpuE8ELNS1_3repE0EEENS1_30default_config_static_selectorELNS0_4arch9wavefront6targetE0EEEvSK_.uses_vcc, 0
	.set _ZN7rocprim17ROCPRIM_400000_NS6detail17trampoline_kernelINS0_14default_configENS1_36segmented_radix_sort_config_selectorIdlEEZNS1_25segmented_radix_sort_implIS3_Lb1EPKdPdPKlPlN2at6native12_GLOBAL__N_18offset_tEEE10hipError_tPvRmT1_PNSt15iterator_traitsISK_E10value_typeET2_T3_PNSL_ISQ_E10value_typeET4_jRbjT5_SW_jjP12ihipStream_tbEUlT_E2_NS1_11comp_targetILNS1_3genE4ELNS1_11target_archE910ELNS1_3gpuE8ELNS1_3repE0EEENS1_30default_config_static_selectorELNS0_4arch9wavefront6targetE0EEEvSK_.uses_flat_scratch, 0
	.set _ZN7rocprim17ROCPRIM_400000_NS6detail17trampoline_kernelINS0_14default_configENS1_36segmented_radix_sort_config_selectorIdlEEZNS1_25segmented_radix_sort_implIS3_Lb1EPKdPdPKlPlN2at6native12_GLOBAL__N_18offset_tEEE10hipError_tPvRmT1_PNSt15iterator_traitsISK_E10value_typeET2_T3_PNSL_ISQ_E10value_typeET4_jRbjT5_SW_jjP12ihipStream_tbEUlT_E2_NS1_11comp_targetILNS1_3genE4ELNS1_11target_archE910ELNS1_3gpuE8ELNS1_3repE0EEENS1_30default_config_static_selectorELNS0_4arch9wavefront6targetE0EEEvSK_.has_dyn_sized_stack, 0
	.set _ZN7rocprim17ROCPRIM_400000_NS6detail17trampoline_kernelINS0_14default_configENS1_36segmented_radix_sort_config_selectorIdlEEZNS1_25segmented_radix_sort_implIS3_Lb1EPKdPdPKlPlN2at6native12_GLOBAL__N_18offset_tEEE10hipError_tPvRmT1_PNSt15iterator_traitsISK_E10value_typeET2_T3_PNSL_ISQ_E10value_typeET4_jRbjT5_SW_jjP12ihipStream_tbEUlT_E2_NS1_11comp_targetILNS1_3genE4ELNS1_11target_archE910ELNS1_3gpuE8ELNS1_3repE0EEENS1_30default_config_static_selectorELNS0_4arch9wavefront6targetE0EEEvSK_.has_recursion, 0
	.set _ZN7rocprim17ROCPRIM_400000_NS6detail17trampoline_kernelINS0_14default_configENS1_36segmented_radix_sort_config_selectorIdlEEZNS1_25segmented_radix_sort_implIS3_Lb1EPKdPdPKlPlN2at6native12_GLOBAL__N_18offset_tEEE10hipError_tPvRmT1_PNSt15iterator_traitsISK_E10value_typeET2_T3_PNSL_ISQ_E10value_typeET4_jRbjT5_SW_jjP12ihipStream_tbEUlT_E2_NS1_11comp_targetILNS1_3genE4ELNS1_11target_archE910ELNS1_3gpuE8ELNS1_3repE0EEENS1_30default_config_static_selectorELNS0_4arch9wavefront6targetE0EEEvSK_.has_indirect_call, 0
	.section	.AMDGPU.csdata,"",@progbits
; Kernel info:
; codeLenInByte = 0
; TotalNumSgprs: 0
; NumVgprs: 0
; ScratchSize: 0
; MemoryBound: 0
; FloatMode: 240
; IeeeMode: 1
; LDSByteSize: 0 bytes/workgroup (compile time only)
; SGPRBlocks: 0
; VGPRBlocks: 0
; NumSGPRsForWavesPerEU: 1
; NumVGPRsForWavesPerEU: 1
; Occupancy: 16
; WaveLimiterHint : 0
; COMPUTE_PGM_RSRC2:SCRATCH_EN: 0
; COMPUTE_PGM_RSRC2:USER_SGPR: 6
; COMPUTE_PGM_RSRC2:TRAP_HANDLER: 0
; COMPUTE_PGM_RSRC2:TGID_X_EN: 1
; COMPUTE_PGM_RSRC2:TGID_Y_EN: 0
; COMPUTE_PGM_RSRC2:TGID_Z_EN: 0
; COMPUTE_PGM_RSRC2:TIDIG_COMP_CNT: 0
	.section	.text._ZN7rocprim17ROCPRIM_400000_NS6detail17trampoline_kernelINS0_14default_configENS1_36segmented_radix_sort_config_selectorIdlEEZNS1_25segmented_radix_sort_implIS3_Lb1EPKdPdPKlPlN2at6native12_GLOBAL__N_18offset_tEEE10hipError_tPvRmT1_PNSt15iterator_traitsISK_E10value_typeET2_T3_PNSL_ISQ_E10value_typeET4_jRbjT5_SW_jjP12ihipStream_tbEUlT_E2_NS1_11comp_targetILNS1_3genE3ELNS1_11target_archE908ELNS1_3gpuE7ELNS1_3repE0EEENS1_30default_config_static_selectorELNS0_4arch9wavefront6targetE0EEEvSK_,"axG",@progbits,_ZN7rocprim17ROCPRIM_400000_NS6detail17trampoline_kernelINS0_14default_configENS1_36segmented_radix_sort_config_selectorIdlEEZNS1_25segmented_radix_sort_implIS3_Lb1EPKdPdPKlPlN2at6native12_GLOBAL__N_18offset_tEEE10hipError_tPvRmT1_PNSt15iterator_traitsISK_E10value_typeET2_T3_PNSL_ISQ_E10value_typeET4_jRbjT5_SW_jjP12ihipStream_tbEUlT_E2_NS1_11comp_targetILNS1_3genE3ELNS1_11target_archE908ELNS1_3gpuE7ELNS1_3repE0EEENS1_30default_config_static_selectorELNS0_4arch9wavefront6targetE0EEEvSK_,comdat
	.globl	_ZN7rocprim17ROCPRIM_400000_NS6detail17trampoline_kernelINS0_14default_configENS1_36segmented_radix_sort_config_selectorIdlEEZNS1_25segmented_radix_sort_implIS3_Lb1EPKdPdPKlPlN2at6native12_GLOBAL__N_18offset_tEEE10hipError_tPvRmT1_PNSt15iterator_traitsISK_E10value_typeET2_T3_PNSL_ISQ_E10value_typeET4_jRbjT5_SW_jjP12ihipStream_tbEUlT_E2_NS1_11comp_targetILNS1_3genE3ELNS1_11target_archE908ELNS1_3gpuE7ELNS1_3repE0EEENS1_30default_config_static_selectorELNS0_4arch9wavefront6targetE0EEEvSK_ ; -- Begin function _ZN7rocprim17ROCPRIM_400000_NS6detail17trampoline_kernelINS0_14default_configENS1_36segmented_radix_sort_config_selectorIdlEEZNS1_25segmented_radix_sort_implIS3_Lb1EPKdPdPKlPlN2at6native12_GLOBAL__N_18offset_tEEE10hipError_tPvRmT1_PNSt15iterator_traitsISK_E10value_typeET2_T3_PNSL_ISQ_E10value_typeET4_jRbjT5_SW_jjP12ihipStream_tbEUlT_E2_NS1_11comp_targetILNS1_3genE3ELNS1_11target_archE908ELNS1_3gpuE7ELNS1_3repE0EEENS1_30default_config_static_selectorELNS0_4arch9wavefront6targetE0EEEvSK_
	.p2align	8
	.type	_ZN7rocprim17ROCPRIM_400000_NS6detail17trampoline_kernelINS0_14default_configENS1_36segmented_radix_sort_config_selectorIdlEEZNS1_25segmented_radix_sort_implIS3_Lb1EPKdPdPKlPlN2at6native12_GLOBAL__N_18offset_tEEE10hipError_tPvRmT1_PNSt15iterator_traitsISK_E10value_typeET2_T3_PNSL_ISQ_E10value_typeET4_jRbjT5_SW_jjP12ihipStream_tbEUlT_E2_NS1_11comp_targetILNS1_3genE3ELNS1_11target_archE908ELNS1_3gpuE7ELNS1_3repE0EEENS1_30default_config_static_selectorELNS0_4arch9wavefront6targetE0EEEvSK_,@function
_ZN7rocprim17ROCPRIM_400000_NS6detail17trampoline_kernelINS0_14default_configENS1_36segmented_radix_sort_config_selectorIdlEEZNS1_25segmented_radix_sort_implIS3_Lb1EPKdPdPKlPlN2at6native12_GLOBAL__N_18offset_tEEE10hipError_tPvRmT1_PNSt15iterator_traitsISK_E10value_typeET2_T3_PNSL_ISQ_E10value_typeET4_jRbjT5_SW_jjP12ihipStream_tbEUlT_E2_NS1_11comp_targetILNS1_3genE3ELNS1_11target_archE908ELNS1_3gpuE7ELNS1_3repE0EEENS1_30default_config_static_selectorELNS0_4arch9wavefront6targetE0EEEvSK_: ; @_ZN7rocprim17ROCPRIM_400000_NS6detail17trampoline_kernelINS0_14default_configENS1_36segmented_radix_sort_config_selectorIdlEEZNS1_25segmented_radix_sort_implIS3_Lb1EPKdPdPKlPlN2at6native12_GLOBAL__N_18offset_tEEE10hipError_tPvRmT1_PNSt15iterator_traitsISK_E10value_typeET2_T3_PNSL_ISQ_E10value_typeET4_jRbjT5_SW_jjP12ihipStream_tbEUlT_E2_NS1_11comp_targetILNS1_3genE3ELNS1_11target_archE908ELNS1_3gpuE7ELNS1_3repE0EEENS1_30default_config_static_selectorELNS0_4arch9wavefront6targetE0EEEvSK_
; %bb.0:
	.section	.rodata,"a",@progbits
	.p2align	6, 0x0
	.amdhsa_kernel _ZN7rocprim17ROCPRIM_400000_NS6detail17trampoline_kernelINS0_14default_configENS1_36segmented_radix_sort_config_selectorIdlEEZNS1_25segmented_radix_sort_implIS3_Lb1EPKdPdPKlPlN2at6native12_GLOBAL__N_18offset_tEEE10hipError_tPvRmT1_PNSt15iterator_traitsISK_E10value_typeET2_T3_PNSL_ISQ_E10value_typeET4_jRbjT5_SW_jjP12ihipStream_tbEUlT_E2_NS1_11comp_targetILNS1_3genE3ELNS1_11target_archE908ELNS1_3gpuE7ELNS1_3repE0EEENS1_30default_config_static_selectorELNS0_4arch9wavefront6targetE0EEEvSK_
		.amdhsa_group_segment_fixed_size 0
		.amdhsa_private_segment_fixed_size 0
		.amdhsa_kernarg_size 80
		.amdhsa_user_sgpr_count 6
		.amdhsa_user_sgpr_private_segment_buffer 1
		.amdhsa_user_sgpr_dispatch_ptr 0
		.amdhsa_user_sgpr_queue_ptr 0
		.amdhsa_user_sgpr_kernarg_segment_ptr 1
		.amdhsa_user_sgpr_dispatch_id 0
		.amdhsa_user_sgpr_flat_scratch_init 0
		.amdhsa_user_sgpr_private_segment_size 0
		.amdhsa_wavefront_size32 1
		.amdhsa_uses_dynamic_stack 0
		.amdhsa_system_sgpr_private_segment_wavefront_offset 0
		.amdhsa_system_sgpr_workgroup_id_x 1
		.amdhsa_system_sgpr_workgroup_id_y 0
		.amdhsa_system_sgpr_workgroup_id_z 0
		.amdhsa_system_sgpr_workgroup_info 0
		.amdhsa_system_vgpr_workitem_id 0
		.amdhsa_next_free_vgpr 1
		.amdhsa_next_free_sgpr 1
		.amdhsa_reserve_vcc 0
		.amdhsa_reserve_flat_scratch 0
		.amdhsa_float_round_mode_32 0
		.amdhsa_float_round_mode_16_64 0
		.amdhsa_float_denorm_mode_32 3
		.amdhsa_float_denorm_mode_16_64 3
		.amdhsa_dx10_clamp 1
		.amdhsa_ieee_mode 1
		.amdhsa_fp16_overflow 0
		.amdhsa_workgroup_processor_mode 1
		.amdhsa_memory_ordered 1
		.amdhsa_forward_progress 1
		.amdhsa_shared_vgpr_count 0
		.amdhsa_exception_fp_ieee_invalid_op 0
		.amdhsa_exception_fp_denorm_src 0
		.amdhsa_exception_fp_ieee_div_zero 0
		.amdhsa_exception_fp_ieee_overflow 0
		.amdhsa_exception_fp_ieee_underflow 0
		.amdhsa_exception_fp_ieee_inexact 0
		.amdhsa_exception_int_div_zero 0
	.end_amdhsa_kernel
	.section	.text._ZN7rocprim17ROCPRIM_400000_NS6detail17trampoline_kernelINS0_14default_configENS1_36segmented_radix_sort_config_selectorIdlEEZNS1_25segmented_radix_sort_implIS3_Lb1EPKdPdPKlPlN2at6native12_GLOBAL__N_18offset_tEEE10hipError_tPvRmT1_PNSt15iterator_traitsISK_E10value_typeET2_T3_PNSL_ISQ_E10value_typeET4_jRbjT5_SW_jjP12ihipStream_tbEUlT_E2_NS1_11comp_targetILNS1_3genE3ELNS1_11target_archE908ELNS1_3gpuE7ELNS1_3repE0EEENS1_30default_config_static_selectorELNS0_4arch9wavefront6targetE0EEEvSK_,"axG",@progbits,_ZN7rocprim17ROCPRIM_400000_NS6detail17trampoline_kernelINS0_14default_configENS1_36segmented_radix_sort_config_selectorIdlEEZNS1_25segmented_radix_sort_implIS3_Lb1EPKdPdPKlPlN2at6native12_GLOBAL__N_18offset_tEEE10hipError_tPvRmT1_PNSt15iterator_traitsISK_E10value_typeET2_T3_PNSL_ISQ_E10value_typeET4_jRbjT5_SW_jjP12ihipStream_tbEUlT_E2_NS1_11comp_targetILNS1_3genE3ELNS1_11target_archE908ELNS1_3gpuE7ELNS1_3repE0EEENS1_30default_config_static_selectorELNS0_4arch9wavefront6targetE0EEEvSK_,comdat
.Lfunc_end1143:
	.size	_ZN7rocprim17ROCPRIM_400000_NS6detail17trampoline_kernelINS0_14default_configENS1_36segmented_radix_sort_config_selectorIdlEEZNS1_25segmented_radix_sort_implIS3_Lb1EPKdPdPKlPlN2at6native12_GLOBAL__N_18offset_tEEE10hipError_tPvRmT1_PNSt15iterator_traitsISK_E10value_typeET2_T3_PNSL_ISQ_E10value_typeET4_jRbjT5_SW_jjP12ihipStream_tbEUlT_E2_NS1_11comp_targetILNS1_3genE3ELNS1_11target_archE908ELNS1_3gpuE7ELNS1_3repE0EEENS1_30default_config_static_selectorELNS0_4arch9wavefront6targetE0EEEvSK_, .Lfunc_end1143-_ZN7rocprim17ROCPRIM_400000_NS6detail17trampoline_kernelINS0_14default_configENS1_36segmented_radix_sort_config_selectorIdlEEZNS1_25segmented_radix_sort_implIS3_Lb1EPKdPdPKlPlN2at6native12_GLOBAL__N_18offset_tEEE10hipError_tPvRmT1_PNSt15iterator_traitsISK_E10value_typeET2_T3_PNSL_ISQ_E10value_typeET4_jRbjT5_SW_jjP12ihipStream_tbEUlT_E2_NS1_11comp_targetILNS1_3genE3ELNS1_11target_archE908ELNS1_3gpuE7ELNS1_3repE0EEENS1_30default_config_static_selectorELNS0_4arch9wavefront6targetE0EEEvSK_
                                        ; -- End function
	.set _ZN7rocprim17ROCPRIM_400000_NS6detail17trampoline_kernelINS0_14default_configENS1_36segmented_radix_sort_config_selectorIdlEEZNS1_25segmented_radix_sort_implIS3_Lb1EPKdPdPKlPlN2at6native12_GLOBAL__N_18offset_tEEE10hipError_tPvRmT1_PNSt15iterator_traitsISK_E10value_typeET2_T3_PNSL_ISQ_E10value_typeET4_jRbjT5_SW_jjP12ihipStream_tbEUlT_E2_NS1_11comp_targetILNS1_3genE3ELNS1_11target_archE908ELNS1_3gpuE7ELNS1_3repE0EEENS1_30default_config_static_selectorELNS0_4arch9wavefront6targetE0EEEvSK_.num_vgpr, 0
	.set _ZN7rocprim17ROCPRIM_400000_NS6detail17trampoline_kernelINS0_14default_configENS1_36segmented_radix_sort_config_selectorIdlEEZNS1_25segmented_radix_sort_implIS3_Lb1EPKdPdPKlPlN2at6native12_GLOBAL__N_18offset_tEEE10hipError_tPvRmT1_PNSt15iterator_traitsISK_E10value_typeET2_T3_PNSL_ISQ_E10value_typeET4_jRbjT5_SW_jjP12ihipStream_tbEUlT_E2_NS1_11comp_targetILNS1_3genE3ELNS1_11target_archE908ELNS1_3gpuE7ELNS1_3repE0EEENS1_30default_config_static_selectorELNS0_4arch9wavefront6targetE0EEEvSK_.num_agpr, 0
	.set _ZN7rocprim17ROCPRIM_400000_NS6detail17trampoline_kernelINS0_14default_configENS1_36segmented_radix_sort_config_selectorIdlEEZNS1_25segmented_radix_sort_implIS3_Lb1EPKdPdPKlPlN2at6native12_GLOBAL__N_18offset_tEEE10hipError_tPvRmT1_PNSt15iterator_traitsISK_E10value_typeET2_T3_PNSL_ISQ_E10value_typeET4_jRbjT5_SW_jjP12ihipStream_tbEUlT_E2_NS1_11comp_targetILNS1_3genE3ELNS1_11target_archE908ELNS1_3gpuE7ELNS1_3repE0EEENS1_30default_config_static_selectorELNS0_4arch9wavefront6targetE0EEEvSK_.numbered_sgpr, 0
	.set _ZN7rocprim17ROCPRIM_400000_NS6detail17trampoline_kernelINS0_14default_configENS1_36segmented_radix_sort_config_selectorIdlEEZNS1_25segmented_radix_sort_implIS3_Lb1EPKdPdPKlPlN2at6native12_GLOBAL__N_18offset_tEEE10hipError_tPvRmT1_PNSt15iterator_traitsISK_E10value_typeET2_T3_PNSL_ISQ_E10value_typeET4_jRbjT5_SW_jjP12ihipStream_tbEUlT_E2_NS1_11comp_targetILNS1_3genE3ELNS1_11target_archE908ELNS1_3gpuE7ELNS1_3repE0EEENS1_30default_config_static_selectorELNS0_4arch9wavefront6targetE0EEEvSK_.num_named_barrier, 0
	.set _ZN7rocprim17ROCPRIM_400000_NS6detail17trampoline_kernelINS0_14default_configENS1_36segmented_radix_sort_config_selectorIdlEEZNS1_25segmented_radix_sort_implIS3_Lb1EPKdPdPKlPlN2at6native12_GLOBAL__N_18offset_tEEE10hipError_tPvRmT1_PNSt15iterator_traitsISK_E10value_typeET2_T3_PNSL_ISQ_E10value_typeET4_jRbjT5_SW_jjP12ihipStream_tbEUlT_E2_NS1_11comp_targetILNS1_3genE3ELNS1_11target_archE908ELNS1_3gpuE7ELNS1_3repE0EEENS1_30default_config_static_selectorELNS0_4arch9wavefront6targetE0EEEvSK_.private_seg_size, 0
	.set _ZN7rocprim17ROCPRIM_400000_NS6detail17trampoline_kernelINS0_14default_configENS1_36segmented_radix_sort_config_selectorIdlEEZNS1_25segmented_radix_sort_implIS3_Lb1EPKdPdPKlPlN2at6native12_GLOBAL__N_18offset_tEEE10hipError_tPvRmT1_PNSt15iterator_traitsISK_E10value_typeET2_T3_PNSL_ISQ_E10value_typeET4_jRbjT5_SW_jjP12ihipStream_tbEUlT_E2_NS1_11comp_targetILNS1_3genE3ELNS1_11target_archE908ELNS1_3gpuE7ELNS1_3repE0EEENS1_30default_config_static_selectorELNS0_4arch9wavefront6targetE0EEEvSK_.uses_vcc, 0
	.set _ZN7rocprim17ROCPRIM_400000_NS6detail17trampoline_kernelINS0_14default_configENS1_36segmented_radix_sort_config_selectorIdlEEZNS1_25segmented_radix_sort_implIS3_Lb1EPKdPdPKlPlN2at6native12_GLOBAL__N_18offset_tEEE10hipError_tPvRmT1_PNSt15iterator_traitsISK_E10value_typeET2_T3_PNSL_ISQ_E10value_typeET4_jRbjT5_SW_jjP12ihipStream_tbEUlT_E2_NS1_11comp_targetILNS1_3genE3ELNS1_11target_archE908ELNS1_3gpuE7ELNS1_3repE0EEENS1_30default_config_static_selectorELNS0_4arch9wavefront6targetE0EEEvSK_.uses_flat_scratch, 0
	.set _ZN7rocprim17ROCPRIM_400000_NS6detail17trampoline_kernelINS0_14default_configENS1_36segmented_radix_sort_config_selectorIdlEEZNS1_25segmented_radix_sort_implIS3_Lb1EPKdPdPKlPlN2at6native12_GLOBAL__N_18offset_tEEE10hipError_tPvRmT1_PNSt15iterator_traitsISK_E10value_typeET2_T3_PNSL_ISQ_E10value_typeET4_jRbjT5_SW_jjP12ihipStream_tbEUlT_E2_NS1_11comp_targetILNS1_3genE3ELNS1_11target_archE908ELNS1_3gpuE7ELNS1_3repE0EEENS1_30default_config_static_selectorELNS0_4arch9wavefront6targetE0EEEvSK_.has_dyn_sized_stack, 0
	.set _ZN7rocprim17ROCPRIM_400000_NS6detail17trampoline_kernelINS0_14default_configENS1_36segmented_radix_sort_config_selectorIdlEEZNS1_25segmented_radix_sort_implIS3_Lb1EPKdPdPKlPlN2at6native12_GLOBAL__N_18offset_tEEE10hipError_tPvRmT1_PNSt15iterator_traitsISK_E10value_typeET2_T3_PNSL_ISQ_E10value_typeET4_jRbjT5_SW_jjP12ihipStream_tbEUlT_E2_NS1_11comp_targetILNS1_3genE3ELNS1_11target_archE908ELNS1_3gpuE7ELNS1_3repE0EEENS1_30default_config_static_selectorELNS0_4arch9wavefront6targetE0EEEvSK_.has_recursion, 0
	.set _ZN7rocprim17ROCPRIM_400000_NS6detail17trampoline_kernelINS0_14default_configENS1_36segmented_radix_sort_config_selectorIdlEEZNS1_25segmented_radix_sort_implIS3_Lb1EPKdPdPKlPlN2at6native12_GLOBAL__N_18offset_tEEE10hipError_tPvRmT1_PNSt15iterator_traitsISK_E10value_typeET2_T3_PNSL_ISQ_E10value_typeET4_jRbjT5_SW_jjP12ihipStream_tbEUlT_E2_NS1_11comp_targetILNS1_3genE3ELNS1_11target_archE908ELNS1_3gpuE7ELNS1_3repE0EEENS1_30default_config_static_selectorELNS0_4arch9wavefront6targetE0EEEvSK_.has_indirect_call, 0
	.section	.AMDGPU.csdata,"",@progbits
; Kernel info:
; codeLenInByte = 0
; TotalNumSgprs: 0
; NumVgprs: 0
; ScratchSize: 0
; MemoryBound: 0
; FloatMode: 240
; IeeeMode: 1
; LDSByteSize: 0 bytes/workgroup (compile time only)
; SGPRBlocks: 0
; VGPRBlocks: 0
; NumSGPRsForWavesPerEU: 1
; NumVGPRsForWavesPerEU: 1
; Occupancy: 16
; WaveLimiterHint : 0
; COMPUTE_PGM_RSRC2:SCRATCH_EN: 0
; COMPUTE_PGM_RSRC2:USER_SGPR: 6
; COMPUTE_PGM_RSRC2:TRAP_HANDLER: 0
; COMPUTE_PGM_RSRC2:TGID_X_EN: 1
; COMPUTE_PGM_RSRC2:TGID_Y_EN: 0
; COMPUTE_PGM_RSRC2:TGID_Z_EN: 0
; COMPUTE_PGM_RSRC2:TIDIG_COMP_CNT: 0
	.section	.text._ZN7rocprim17ROCPRIM_400000_NS6detail17trampoline_kernelINS0_14default_configENS1_36segmented_radix_sort_config_selectorIdlEEZNS1_25segmented_radix_sort_implIS3_Lb1EPKdPdPKlPlN2at6native12_GLOBAL__N_18offset_tEEE10hipError_tPvRmT1_PNSt15iterator_traitsISK_E10value_typeET2_T3_PNSL_ISQ_E10value_typeET4_jRbjT5_SW_jjP12ihipStream_tbEUlT_E2_NS1_11comp_targetILNS1_3genE2ELNS1_11target_archE906ELNS1_3gpuE6ELNS1_3repE0EEENS1_30default_config_static_selectorELNS0_4arch9wavefront6targetE0EEEvSK_,"axG",@progbits,_ZN7rocprim17ROCPRIM_400000_NS6detail17trampoline_kernelINS0_14default_configENS1_36segmented_radix_sort_config_selectorIdlEEZNS1_25segmented_radix_sort_implIS3_Lb1EPKdPdPKlPlN2at6native12_GLOBAL__N_18offset_tEEE10hipError_tPvRmT1_PNSt15iterator_traitsISK_E10value_typeET2_T3_PNSL_ISQ_E10value_typeET4_jRbjT5_SW_jjP12ihipStream_tbEUlT_E2_NS1_11comp_targetILNS1_3genE2ELNS1_11target_archE906ELNS1_3gpuE6ELNS1_3repE0EEENS1_30default_config_static_selectorELNS0_4arch9wavefront6targetE0EEEvSK_,comdat
	.globl	_ZN7rocprim17ROCPRIM_400000_NS6detail17trampoline_kernelINS0_14default_configENS1_36segmented_radix_sort_config_selectorIdlEEZNS1_25segmented_radix_sort_implIS3_Lb1EPKdPdPKlPlN2at6native12_GLOBAL__N_18offset_tEEE10hipError_tPvRmT1_PNSt15iterator_traitsISK_E10value_typeET2_T3_PNSL_ISQ_E10value_typeET4_jRbjT5_SW_jjP12ihipStream_tbEUlT_E2_NS1_11comp_targetILNS1_3genE2ELNS1_11target_archE906ELNS1_3gpuE6ELNS1_3repE0EEENS1_30default_config_static_selectorELNS0_4arch9wavefront6targetE0EEEvSK_ ; -- Begin function _ZN7rocprim17ROCPRIM_400000_NS6detail17trampoline_kernelINS0_14default_configENS1_36segmented_radix_sort_config_selectorIdlEEZNS1_25segmented_radix_sort_implIS3_Lb1EPKdPdPKlPlN2at6native12_GLOBAL__N_18offset_tEEE10hipError_tPvRmT1_PNSt15iterator_traitsISK_E10value_typeET2_T3_PNSL_ISQ_E10value_typeET4_jRbjT5_SW_jjP12ihipStream_tbEUlT_E2_NS1_11comp_targetILNS1_3genE2ELNS1_11target_archE906ELNS1_3gpuE6ELNS1_3repE0EEENS1_30default_config_static_selectorELNS0_4arch9wavefront6targetE0EEEvSK_
	.p2align	8
	.type	_ZN7rocprim17ROCPRIM_400000_NS6detail17trampoline_kernelINS0_14default_configENS1_36segmented_radix_sort_config_selectorIdlEEZNS1_25segmented_radix_sort_implIS3_Lb1EPKdPdPKlPlN2at6native12_GLOBAL__N_18offset_tEEE10hipError_tPvRmT1_PNSt15iterator_traitsISK_E10value_typeET2_T3_PNSL_ISQ_E10value_typeET4_jRbjT5_SW_jjP12ihipStream_tbEUlT_E2_NS1_11comp_targetILNS1_3genE2ELNS1_11target_archE906ELNS1_3gpuE6ELNS1_3repE0EEENS1_30default_config_static_selectorELNS0_4arch9wavefront6targetE0EEEvSK_,@function
_ZN7rocprim17ROCPRIM_400000_NS6detail17trampoline_kernelINS0_14default_configENS1_36segmented_radix_sort_config_selectorIdlEEZNS1_25segmented_radix_sort_implIS3_Lb1EPKdPdPKlPlN2at6native12_GLOBAL__N_18offset_tEEE10hipError_tPvRmT1_PNSt15iterator_traitsISK_E10value_typeET2_T3_PNSL_ISQ_E10value_typeET4_jRbjT5_SW_jjP12ihipStream_tbEUlT_E2_NS1_11comp_targetILNS1_3genE2ELNS1_11target_archE906ELNS1_3gpuE6ELNS1_3repE0EEENS1_30default_config_static_selectorELNS0_4arch9wavefront6targetE0EEEvSK_: ; @_ZN7rocprim17ROCPRIM_400000_NS6detail17trampoline_kernelINS0_14default_configENS1_36segmented_radix_sort_config_selectorIdlEEZNS1_25segmented_radix_sort_implIS3_Lb1EPKdPdPKlPlN2at6native12_GLOBAL__N_18offset_tEEE10hipError_tPvRmT1_PNSt15iterator_traitsISK_E10value_typeET2_T3_PNSL_ISQ_E10value_typeET4_jRbjT5_SW_jjP12ihipStream_tbEUlT_E2_NS1_11comp_targetILNS1_3genE2ELNS1_11target_archE906ELNS1_3gpuE6ELNS1_3repE0EEENS1_30default_config_static_selectorELNS0_4arch9wavefront6targetE0EEEvSK_
; %bb.0:
	.section	.rodata,"a",@progbits
	.p2align	6, 0x0
	.amdhsa_kernel _ZN7rocprim17ROCPRIM_400000_NS6detail17trampoline_kernelINS0_14default_configENS1_36segmented_radix_sort_config_selectorIdlEEZNS1_25segmented_radix_sort_implIS3_Lb1EPKdPdPKlPlN2at6native12_GLOBAL__N_18offset_tEEE10hipError_tPvRmT1_PNSt15iterator_traitsISK_E10value_typeET2_T3_PNSL_ISQ_E10value_typeET4_jRbjT5_SW_jjP12ihipStream_tbEUlT_E2_NS1_11comp_targetILNS1_3genE2ELNS1_11target_archE906ELNS1_3gpuE6ELNS1_3repE0EEENS1_30default_config_static_selectorELNS0_4arch9wavefront6targetE0EEEvSK_
		.amdhsa_group_segment_fixed_size 0
		.amdhsa_private_segment_fixed_size 0
		.amdhsa_kernarg_size 80
		.amdhsa_user_sgpr_count 6
		.amdhsa_user_sgpr_private_segment_buffer 1
		.amdhsa_user_sgpr_dispatch_ptr 0
		.amdhsa_user_sgpr_queue_ptr 0
		.amdhsa_user_sgpr_kernarg_segment_ptr 1
		.amdhsa_user_sgpr_dispatch_id 0
		.amdhsa_user_sgpr_flat_scratch_init 0
		.amdhsa_user_sgpr_private_segment_size 0
		.amdhsa_wavefront_size32 1
		.amdhsa_uses_dynamic_stack 0
		.amdhsa_system_sgpr_private_segment_wavefront_offset 0
		.amdhsa_system_sgpr_workgroup_id_x 1
		.amdhsa_system_sgpr_workgroup_id_y 0
		.amdhsa_system_sgpr_workgroup_id_z 0
		.amdhsa_system_sgpr_workgroup_info 0
		.amdhsa_system_vgpr_workitem_id 0
		.amdhsa_next_free_vgpr 1
		.amdhsa_next_free_sgpr 1
		.amdhsa_reserve_vcc 0
		.amdhsa_reserve_flat_scratch 0
		.amdhsa_float_round_mode_32 0
		.amdhsa_float_round_mode_16_64 0
		.amdhsa_float_denorm_mode_32 3
		.amdhsa_float_denorm_mode_16_64 3
		.amdhsa_dx10_clamp 1
		.amdhsa_ieee_mode 1
		.amdhsa_fp16_overflow 0
		.amdhsa_workgroup_processor_mode 1
		.amdhsa_memory_ordered 1
		.amdhsa_forward_progress 1
		.amdhsa_shared_vgpr_count 0
		.amdhsa_exception_fp_ieee_invalid_op 0
		.amdhsa_exception_fp_denorm_src 0
		.amdhsa_exception_fp_ieee_div_zero 0
		.amdhsa_exception_fp_ieee_overflow 0
		.amdhsa_exception_fp_ieee_underflow 0
		.amdhsa_exception_fp_ieee_inexact 0
		.amdhsa_exception_int_div_zero 0
	.end_amdhsa_kernel
	.section	.text._ZN7rocprim17ROCPRIM_400000_NS6detail17trampoline_kernelINS0_14default_configENS1_36segmented_radix_sort_config_selectorIdlEEZNS1_25segmented_radix_sort_implIS3_Lb1EPKdPdPKlPlN2at6native12_GLOBAL__N_18offset_tEEE10hipError_tPvRmT1_PNSt15iterator_traitsISK_E10value_typeET2_T3_PNSL_ISQ_E10value_typeET4_jRbjT5_SW_jjP12ihipStream_tbEUlT_E2_NS1_11comp_targetILNS1_3genE2ELNS1_11target_archE906ELNS1_3gpuE6ELNS1_3repE0EEENS1_30default_config_static_selectorELNS0_4arch9wavefront6targetE0EEEvSK_,"axG",@progbits,_ZN7rocprim17ROCPRIM_400000_NS6detail17trampoline_kernelINS0_14default_configENS1_36segmented_radix_sort_config_selectorIdlEEZNS1_25segmented_radix_sort_implIS3_Lb1EPKdPdPKlPlN2at6native12_GLOBAL__N_18offset_tEEE10hipError_tPvRmT1_PNSt15iterator_traitsISK_E10value_typeET2_T3_PNSL_ISQ_E10value_typeET4_jRbjT5_SW_jjP12ihipStream_tbEUlT_E2_NS1_11comp_targetILNS1_3genE2ELNS1_11target_archE906ELNS1_3gpuE6ELNS1_3repE0EEENS1_30default_config_static_selectorELNS0_4arch9wavefront6targetE0EEEvSK_,comdat
.Lfunc_end1144:
	.size	_ZN7rocprim17ROCPRIM_400000_NS6detail17trampoline_kernelINS0_14default_configENS1_36segmented_radix_sort_config_selectorIdlEEZNS1_25segmented_radix_sort_implIS3_Lb1EPKdPdPKlPlN2at6native12_GLOBAL__N_18offset_tEEE10hipError_tPvRmT1_PNSt15iterator_traitsISK_E10value_typeET2_T3_PNSL_ISQ_E10value_typeET4_jRbjT5_SW_jjP12ihipStream_tbEUlT_E2_NS1_11comp_targetILNS1_3genE2ELNS1_11target_archE906ELNS1_3gpuE6ELNS1_3repE0EEENS1_30default_config_static_selectorELNS0_4arch9wavefront6targetE0EEEvSK_, .Lfunc_end1144-_ZN7rocprim17ROCPRIM_400000_NS6detail17trampoline_kernelINS0_14default_configENS1_36segmented_radix_sort_config_selectorIdlEEZNS1_25segmented_radix_sort_implIS3_Lb1EPKdPdPKlPlN2at6native12_GLOBAL__N_18offset_tEEE10hipError_tPvRmT1_PNSt15iterator_traitsISK_E10value_typeET2_T3_PNSL_ISQ_E10value_typeET4_jRbjT5_SW_jjP12ihipStream_tbEUlT_E2_NS1_11comp_targetILNS1_3genE2ELNS1_11target_archE906ELNS1_3gpuE6ELNS1_3repE0EEENS1_30default_config_static_selectorELNS0_4arch9wavefront6targetE0EEEvSK_
                                        ; -- End function
	.set _ZN7rocprim17ROCPRIM_400000_NS6detail17trampoline_kernelINS0_14default_configENS1_36segmented_radix_sort_config_selectorIdlEEZNS1_25segmented_radix_sort_implIS3_Lb1EPKdPdPKlPlN2at6native12_GLOBAL__N_18offset_tEEE10hipError_tPvRmT1_PNSt15iterator_traitsISK_E10value_typeET2_T3_PNSL_ISQ_E10value_typeET4_jRbjT5_SW_jjP12ihipStream_tbEUlT_E2_NS1_11comp_targetILNS1_3genE2ELNS1_11target_archE906ELNS1_3gpuE6ELNS1_3repE0EEENS1_30default_config_static_selectorELNS0_4arch9wavefront6targetE0EEEvSK_.num_vgpr, 0
	.set _ZN7rocprim17ROCPRIM_400000_NS6detail17trampoline_kernelINS0_14default_configENS1_36segmented_radix_sort_config_selectorIdlEEZNS1_25segmented_radix_sort_implIS3_Lb1EPKdPdPKlPlN2at6native12_GLOBAL__N_18offset_tEEE10hipError_tPvRmT1_PNSt15iterator_traitsISK_E10value_typeET2_T3_PNSL_ISQ_E10value_typeET4_jRbjT5_SW_jjP12ihipStream_tbEUlT_E2_NS1_11comp_targetILNS1_3genE2ELNS1_11target_archE906ELNS1_3gpuE6ELNS1_3repE0EEENS1_30default_config_static_selectorELNS0_4arch9wavefront6targetE0EEEvSK_.num_agpr, 0
	.set _ZN7rocprim17ROCPRIM_400000_NS6detail17trampoline_kernelINS0_14default_configENS1_36segmented_radix_sort_config_selectorIdlEEZNS1_25segmented_radix_sort_implIS3_Lb1EPKdPdPKlPlN2at6native12_GLOBAL__N_18offset_tEEE10hipError_tPvRmT1_PNSt15iterator_traitsISK_E10value_typeET2_T3_PNSL_ISQ_E10value_typeET4_jRbjT5_SW_jjP12ihipStream_tbEUlT_E2_NS1_11comp_targetILNS1_3genE2ELNS1_11target_archE906ELNS1_3gpuE6ELNS1_3repE0EEENS1_30default_config_static_selectorELNS0_4arch9wavefront6targetE0EEEvSK_.numbered_sgpr, 0
	.set _ZN7rocprim17ROCPRIM_400000_NS6detail17trampoline_kernelINS0_14default_configENS1_36segmented_radix_sort_config_selectorIdlEEZNS1_25segmented_radix_sort_implIS3_Lb1EPKdPdPKlPlN2at6native12_GLOBAL__N_18offset_tEEE10hipError_tPvRmT1_PNSt15iterator_traitsISK_E10value_typeET2_T3_PNSL_ISQ_E10value_typeET4_jRbjT5_SW_jjP12ihipStream_tbEUlT_E2_NS1_11comp_targetILNS1_3genE2ELNS1_11target_archE906ELNS1_3gpuE6ELNS1_3repE0EEENS1_30default_config_static_selectorELNS0_4arch9wavefront6targetE0EEEvSK_.num_named_barrier, 0
	.set _ZN7rocprim17ROCPRIM_400000_NS6detail17trampoline_kernelINS0_14default_configENS1_36segmented_radix_sort_config_selectorIdlEEZNS1_25segmented_radix_sort_implIS3_Lb1EPKdPdPKlPlN2at6native12_GLOBAL__N_18offset_tEEE10hipError_tPvRmT1_PNSt15iterator_traitsISK_E10value_typeET2_T3_PNSL_ISQ_E10value_typeET4_jRbjT5_SW_jjP12ihipStream_tbEUlT_E2_NS1_11comp_targetILNS1_3genE2ELNS1_11target_archE906ELNS1_3gpuE6ELNS1_3repE0EEENS1_30default_config_static_selectorELNS0_4arch9wavefront6targetE0EEEvSK_.private_seg_size, 0
	.set _ZN7rocprim17ROCPRIM_400000_NS6detail17trampoline_kernelINS0_14default_configENS1_36segmented_radix_sort_config_selectorIdlEEZNS1_25segmented_radix_sort_implIS3_Lb1EPKdPdPKlPlN2at6native12_GLOBAL__N_18offset_tEEE10hipError_tPvRmT1_PNSt15iterator_traitsISK_E10value_typeET2_T3_PNSL_ISQ_E10value_typeET4_jRbjT5_SW_jjP12ihipStream_tbEUlT_E2_NS1_11comp_targetILNS1_3genE2ELNS1_11target_archE906ELNS1_3gpuE6ELNS1_3repE0EEENS1_30default_config_static_selectorELNS0_4arch9wavefront6targetE0EEEvSK_.uses_vcc, 0
	.set _ZN7rocprim17ROCPRIM_400000_NS6detail17trampoline_kernelINS0_14default_configENS1_36segmented_radix_sort_config_selectorIdlEEZNS1_25segmented_radix_sort_implIS3_Lb1EPKdPdPKlPlN2at6native12_GLOBAL__N_18offset_tEEE10hipError_tPvRmT1_PNSt15iterator_traitsISK_E10value_typeET2_T3_PNSL_ISQ_E10value_typeET4_jRbjT5_SW_jjP12ihipStream_tbEUlT_E2_NS1_11comp_targetILNS1_3genE2ELNS1_11target_archE906ELNS1_3gpuE6ELNS1_3repE0EEENS1_30default_config_static_selectorELNS0_4arch9wavefront6targetE0EEEvSK_.uses_flat_scratch, 0
	.set _ZN7rocprim17ROCPRIM_400000_NS6detail17trampoline_kernelINS0_14default_configENS1_36segmented_radix_sort_config_selectorIdlEEZNS1_25segmented_radix_sort_implIS3_Lb1EPKdPdPKlPlN2at6native12_GLOBAL__N_18offset_tEEE10hipError_tPvRmT1_PNSt15iterator_traitsISK_E10value_typeET2_T3_PNSL_ISQ_E10value_typeET4_jRbjT5_SW_jjP12ihipStream_tbEUlT_E2_NS1_11comp_targetILNS1_3genE2ELNS1_11target_archE906ELNS1_3gpuE6ELNS1_3repE0EEENS1_30default_config_static_selectorELNS0_4arch9wavefront6targetE0EEEvSK_.has_dyn_sized_stack, 0
	.set _ZN7rocprim17ROCPRIM_400000_NS6detail17trampoline_kernelINS0_14default_configENS1_36segmented_radix_sort_config_selectorIdlEEZNS1_25segmented_radix_sort_implIS3_Lb1EPKdPdPKlPlN2at6native12_GLOBAL__N_18offset_tEEE10hipError_tPvRmT1_PNSt15iterator_traitsISK_E10value_typeET2_T3_PNSL_ISQ_E10value_typeET4_jRbjT5_SW_jjP12ihipStream_tbEUlT_E2_NS1_11comp_targetILNS1_3genE2ELNS1_11target_archE906ELNS1_3gpuE6ELNS1_3repE0EEENS1_30default_config_static_selectorELNS0_4arch9wavefront6targetE0EEEvSK_.has_recursion, 0
	.set _ZN7rocprim17ROCPRIM_400000_NS6detail17trampoline_kernelINS0_14default_configENS1_36segmented_radix_sort_config_selectorIdlEEZNS1_25segmented_radix_sort_implIS3_Lb1EPKdPdPKlPlN2at6native12_GLOBAL__N_18offset_tEEE10hipError_tPvRmT1_PNSt15iterator_traitsISK_E10value_typeET2_T3_PNSL_ISQ_E10value_typeET4_jRbjT5_SW_jjP12ihipStream_tbEUlT_E2_NS1_11comp_targetILNS1_3genE2ELNS1_11target_archE906ELNS1_3gpuE6ELNS1_3repE0EEENS1_30default_config_static_selectorELNS0_4arch9wavefront6targetE0EEEvSK_.has_indirect_call, 0
	.section	.AMDGPU.csdata,"",@progbits
; Kernel info:
; codeLenInByte = 0
; TotalNumSgprs: 0
; NumVgprs: 0
; ScratchSize: 0
; MemoryBound: 0
; FloatMode: 240
; IeeeMode: 1
; LDSByteSize: 0 bytes/workgroup (compile time only)
; SGPRBlocks: 0
; VGPRBlocks: 0
; NumSGPRsForWavesPerEU: 1
; NumVGPRsForWavesPerEU: 1
; Occupancy: 16
; WaveLimiterHint : 0
; COMPUTE_PGM_RSRC2:SCRATCH_EN: 0
; COMPUTE_PGM_RSRC2:USER_SGPR: 6
; COMPUTE_PGM_RSRC2:TRAP_HANDLER: 0
; COMPUTE_PGM_RSRC2:TGID_X_EN: 1
; COMPUTE_PGM_RSRC2:TGID_Y_EN: 0
; COMPUTE_PGM_RSRC2:TGID_Z_EN: 0
; COMPUTE_PGM_RSRC2:TIDIG_COMP_CNT: 0
	.section	.text._ZN7rocprim17ROCPRIM_400000_NS6detail17trampoline_kernelINS0_14default_configENS1_36segmented_radix_sort_config_selectorIdlEEZNS1_25segmented_radix_sort_implIS3_Lb1EPKdPdPKlPlN2at6native12_GLOBAL__N_18offset_tEEE10hipError_tPvRmT1_PNSt15iterator_traitsISK_E10value_typeET2_T3_PNSL_ISQ_E10value_typeET4_jRbjT5_SW_jjP12ihipStream_tbEUlT_E2_NS1_11comp_targetILNS1_3genE10ELNS1_11target_archE1201ELNS1_3gpuE5ELNS1_3repE0EEENS1_30default_config_static_selectorELNS0_4arch9wavefront6targetE0EEEvSK_,"axG",@progbits,_ZN7rocprim17ROCPRIM_400000_NS6detail17trampoline_kernelINS0_14default_configENS1_36segmented_radix_sort_config_selectorIdlEEZNS1_25segmented_radix_sort_implIS3_Lb1EPKdPdPKlPlN2at6native12_GLOBAL__N_18offset_tEEE10hipError_tPvRmT1_PNSt15iterator_traitsISK_E10value_typeET2_T3_PNSL_ISQ_E10value_typeET4_jRbjT5_SW_jjP12ihipStream_tbEUlT_E2_NS1_11comp_targetILNS1_3genE10ELNS1_11target_archE1201ELNS1_3gpuE5ELNS1_3repE0EEENS1_30default_config_static_selectorELNS0_4arch9wavefront6targetE0EEEvSK_,comdat
	.globl	_ZN7rocprim17ROCPRIM_400000_NS6detail17trampoline_kernelINS0_14default_configENS1_36segmented_radix_sort_config_selectorIdlEEZNS1_25segmented_radix_sort_implIS3_Lb1EPKdPdPKlPlN2at6native12_GLOBAL__N_18offset_tEEE10hipError_tPvRmT1_PNSt15iterator_traitsISK_E10value_typeET2_T3_PNSL_ISQ_E10value_typeET4_jRbjT5_SW_jjP12ihipStream_tbEUlT_E2_NS1_11comp_targetILNS1_3genE10ELNS1_11target_archE1201ELNS1_3gpuE5ELNS1_3repE0EEENS1_30default_config_static_selectorELNS0_4arch9wavefront6targetE0EEEvSK_ ; -- Begin function _ZN7rocprim17ROCPRIM_400000_NS6detail17trampoline_kernelINS0_14default_configENS1_36segmented_radix_sort_config_selectorIdlEEZNS1_25segmented_radix_sort_implIS3_Lb1EPKdPdPKlPlN2at6native12_GLOBAL__N_18offset_tEEE10hipError_tPvRmT1_PNSt15iterator_traitsISK_E10value_typeET2_T3_PNSL_ISQ_E10value_typeET4_jRbjT5_SW_jjP12ihipStream_tbEUlT_E2_NS1_11comp_targetILNS1_3genE10ELNS1_11target_archE1201ELNS1_3gpuE5ELNS1_3repE0EEENS1_30default_config_static_selectorELNS0_4arch9wavefront6targetE0EEEvSK_
	.p2align	8
	.type	_ZN7rocprim17ROCPRIM_400000_NS6detail17trampoline_kernelINS0_14default_configENS1_36segmented_radix_sort_config_selectorIdlEEZNS1_25segmented_radix_sort_implIS3_Lb1EPKdPdPKlPlN2at6native12_GLOBAL__N_18offset_tEEE10hipError_tPvRmT1_PNSt15iterator_traitsISK_E10value_typeET2_T3_PNSL_ISQ_E10value_typeET4_jRbjT5_SW_jjP12ihipStream_tbEUlT_E2_NS1_11comp_targetILNS1_3genE10ELNS1_11target_archE1201ELNS1_3gpuE5ELNS1_3repE0EEENS1_30default_config_static_selectorELNS0_4arch9wavefront6targetE0EEEvSK_,@function
_ZN7rocprim17ROCPRIM_400000_NS6detail17trampoline_kernelINS0_14default_configENS1_36segmented_radix_sort_config_selectorIdlEEZNS1_25segmented_radix_sort_implIS3_Lb1EPKdPdPKlPlN2at6native12_GLOBAL__N_18offset_tEEE10hipError_tPvRmT1_PNSt15iterator_traitsISK_E10value_typeET2_T3_PNSL_ISQ_E10value_typeET4_jRbjT5_SW_jjP12ihipStream_tbEUlT_E2_NS1_11comp_targetILNS1_3genE10ELNS1_11target_archE1201ELNS1_3gpuE5ELNS1_3repE0EEENS1_30default_config_static_selectorELNS0_4arch9wavefront6targetE0EEEvSK_: ; @_ZN7rocprim17ROCPRIM_400000_NS6detail17trampoline_kernelINS0_14default_configENS1_36segmented_radix_sort_config_selectorIdlEEZNS1_25segmented_radix_sort_implIS3_Lb1EPKdPdPKlPlN2at6native12_GLOBAL__N_18offset_tEEE10hipError_tPvRmT1_PNSt15iterator_traitsISK_E10value_typeET2_T3_PNSL_ISQ_E10value_typeET4_jRbjT5_SW_jjP12ihipStream_tbEUlT_E2_NS1_11comp_targetILNS1_3genE10ELNS1_11target_archE1201ELNS1_3gpuE5ELNS1_3repE0EEENS1_30default_config_static_selectorELNS0_4arch9wavefront6targetE0EEEvSK_
; %bb.0:
	.section	.rodata,"a",@progbits
	.p2align	6, 0x0
	.amdhsa_kernel _ZN7rocprim17ROCPRIM_400000_NS6detail17trampoline_kernelINS0_14default_configENS1_36segmented_radix_sort_config_selectorIdlEEZNS1_25segmented_radix_sort_implIS3_Lb1EPKdPdPKlPlN2at6native12_GLOBAL__N_18offset_tEEE10hipError_tPvRmT1_PNSt15iterator_traitsISK_E10value_typeET2_T3_PNSL_ISQ_E10value_typeET4_jRbjT5_SW_jjP12ihipStream_tbEUlT_E2_NS1_11comp_targetILNS1_3genE10ELNS1_11target_archE1201ELNS1_3gpuE5ELNS1_3repE0EEENS1_30default_config_static_selectorELNS0_4arch9wavefront6targetE0EEEvSK_
		.amdhsa_group_segment_fixed_size 0
		.amdhsa_private_segment_fixed_size 0
		.amdhsa_kernarg_size 80
		.amdhsa_user_sgpr_count 6
		.amdhsa_user_sgpr_private_segment_buffer 1
		.amdhsa_user_sgpr_dispatch_ptr 0
		.amdhsa_user_sgpr_queue_ptr 0
		.amdhsa_user_sgpr_kernarg_segment_ptr 1
		.amdhsa_user_sgpr_dispatch_id 0
		.amdhsa_user_sgpr_flat_scratch_init 0
		.amdhsa_user_sgpr_private_segment_size 0
		.amdhsa_wavefront_size32 1
		.amdhsa_uses_dynamic_stack 0
		.amdhsa_system_sgpr_private_segment_wavefront_offset 0
		.amdhsa_system_sgpr_workgroup_id_x 1
		.amdhsa_system_sgpr_workgroup_id_y 0
		.amdhsa_system_sgpr_workgroup_id_z 0
		.amdhsa_system_sgpr_workgroup_info 0
		.amdhsa_system_vgpr_workitem_id 0
		.amdhsa_next_free_vgpr 1
		.amdhsa_next_free_sgpr 1
		.amdhsa_reserve_vcc 0
		.amdhsa_reserve_flat_scratch 0
		.amdhsa_float_round_mode_32 0
		.amdhsa_float_round_mode_16_64 0
		.amdhsa_float_denorm_mode_32 3
		.amdhsa_float_denorm_mode_16_64 3
		.amdhsa_dx10_clamp 1
		.amdhsa_ieee_mode 1
		.amdhsa_fp16_overflow 0
		.amdhsa_workgroup_processor_mode 1
		.amdhsa_memory_ordered 1
		.amdhsa_forward_progress 1
		.amdhsa_shared_vgpr_count 0
		.amdhsa_exception_fp_ieee_invalid_op 0
		.amdhsa_exception_fp_denorm_src 0
		.amdhsa_exception_fp_ieee_div_zero 0
		.amdhsa_exception_fp_ieee_overflow 0
		.amdhsa_exception_fp_ieee_underflow 0
		.amdhsa_exception_fp_ieee_inexact 0
		.amdhsa_exception_int_div_zero 0
	.end_amdhsa_kernel
	.section	.text._ZN7rocprim17ROCPRIM_400000_NS6detail17trampoline_kernelINS0_14default_configENS1_36segmented_radix_sort_config_selectorIdlEEZNS1_25segmented_radix_sort_implIS3_Lb1EPKdPdPKlPlN2at6native12_GLOBAL__N_18offset_tEEE10hipError_tPvRmT1_PNSt15iterator_traitsISK_E10value_typeET2_T3_PNSL_ISQ_E10value_typeET4_jRbjT5_SW_jjP12ihipStream_tbEUlT_E2_NS1_11comp_targetILNS1_3genE10ELNS1_11target_archE1201ELNS1_3gpuE5ELNS1_3repE0EEENS1_30default_config_static_selectorELNS0_4arch9wavefront6targetE0EEEvSK_,"axG",@progbits,_ZN7rocprim17ROCPRIM_400000_NS6detail17trampoline_kernelINS0_14default_configENS1_36segmented_radix_sort_config_selectorIdlEEZNS1_25segmented_radix_sort_implIS3_Lb1EPKdPdPKlPlN2at6native12_GLOBAL__N_18offset_tEEE10hipError_tPvRmT1_PNSt15iterator_traitsISK_E10value_typeET2_T3_PNSL_ISQ_E10value_typeET4_jRbjT5_SW_jjP12ihipStream_tbEUlT_E2_NS1_11comp_targetILNS1_3genE10ELNS1_11target_archE1201ELNS1_3gpuE5ELNS1_3repE0EEENS1_30default_config_static_selectorELNS0_4arch9wavefront6targetE0EEEvSK_,comdat
.Lfunc_end1145:
	.size	_ZN7rocprim17ROCPRIM_400000_NS6detail17trampoline_kernelINS0_14default_configENS1_36segmented_radix_sort_config_selectorIdlEEZNS1_25segmented_radix_sort_implIS3_Lb1EPKdPdPKlPlN2at6native12_GLOBAL__N_18offset_tEEE10hipError_tPvRmT1_PNSt15iterator_traitsISK_E10value_typeET2_T3_PNSL_ISQ_E10value_typeET4_jRbjT5_SW_jjP12ihipStream_tbEUlT_E2_NS1_11comp_targetILNS1_3genE10ELNS1_11target_archE1201ELNS1_3gpuE5ELNS1_3repE0EEENS1_30default_config_static_selectorELNS0_4arch9wavefront6targetE0EEEvSK_, .Lfunc_end1145-_ZN7rocprim17ROCPRIM_400000_NS6detail17trampoline_kernelINS0_14default_configENS1_36segmented_radix_sort_config_selectorIdlEEZNS1_25segmented_radix_sort_implIS3_Lb1EPKdPdPKlPlN2at6native12_GLOBAL__N_18offset_tEEE10hipError_tPvRmT1_PNSt15iterator_traitsISK_E10value_typeET2_T3_PNSL_ISQ_E10value_typeET4_jRbjT5_SW_jjP12ihipStream_tbEUlT_E2_NS1_11comp_targetILNS1_3genE10ELNS1_11target_archE1201ELNS1_3gpuE5ELNS1_3repE0EEENS1_30default_config_static_selectorELNS0_4arch9wavefront6targetE0EEEvSK_
                                        ; -- End function
	.set _ZN7rocprim17ROCPRIM_400000_NS6detail17trampoline_kernelINS0_14default_configENS1_36segmented_radix_sort_config_selectorIdlEEZNS1_25segmented_radix_sort_implIS3_Lb1EPKdPdPKlPlN2at6native12_GLOBAL__N_18offset_tEEE10hipError_tPvRmT1_PNSt15iterator_traitsISK_E10value_typeET2_T3_PNSL_ISQ_E10value_typeET4_jRbjT5_SW_jjP12ihipStream_tbEUlT_E2_NS1_11comp_targetILNS1_3genE10ELNS1_11target_archE1201ELNS1_3gpuE5ELNS1_3repE0EEENS1_30default_config_static_selectorELNS0_4arch9wavefront6targetE0EEEvSK_.num_vgpr, 0
	.set _ZN7rocprim17ROCPRIM_400000_NS6detail17trampoline_kernelINS0_14default_configENS1_36segmented_radix_sort_config_selectorIdlEEZNS1_25segmented_radix_sort_implIS3_Lb1EPKdPdPKlPlN2at6native12_GLOBAL__N_18offset_tEEE10hipError_tPvRmT1_PNSt15iterator_traitsISK_E10value_typeET2_T3_PNSL_ISQ_E10value_typeET4_jRbjT5_SW_jjP12ihipStream_tbEUlT_E2_NS1_11comp_targetILNS1_3genE10ELNS1_11target_archE1201ELNS1_3gpuE5ELNS1_3repE0EEENS1_30default_config_static_selectorELNS0_4arch9wavefront6targetE0EEEvSK_.num_agpr, 0
	.set _ZN7rocprim17ROCPRIM_400000_NS6detail17trampoline_kernelINS0_14default_configENS1_36segmented_radix_sort_config_selectorIdlEEZNS1_25segmented_radix_sort_implIS3_Lb1EPKdPdPKlPlN2at6native12_GLOBAL__N_18offset_tEEE10hipError_tPvRmT1_PNSt15iterator_traitsISK_E10value_typeET2_T3_PNSL_ISQ_E10value_typeET4_jRbjT5_SW_jjP12ihipStream_tbEUlT_E2_NS1_11comp_targetILNS1_3genE10ELNS1_11target_archE1201ELNS1_3gpuE5ELNS1_3repE0EEENS1_30default_config_static_selectorELNS0_4arch9wavefront6targetE0EEEvSK_.numbered_sgpr, 0
	.set _ZN7rocprim17ROCPRIM_400000_NS6detail17trampoline_kernelINS0_14default_configENS1_36segmented_radix_sort_config_selectorIdlEEZNS1_25segmented_radix_sort_implIS3_Lb1EPKdPdPKlPlN2at6native12_GLOBAL__N_18offset_tEEE10hipError_tPvRmT1_PNSt15iterator_traitsISK_E10value_typeET2_T3_PNSL_ISQ_E10value_typeET4_jRbjT5_SW_jjP12ihipStream_tbEUlT_E2_NS1_11comp_targetILNS1_3genE10ELNS1_11target_archE1201ELNS1_3gpuE5ELNS1_3repE0EEENS1_30default_config_static_selectorELNS0_4arch9wavefront6targetE0EEEvSK_.num_named_barrier, 0
	.set _ZN7rocprim17ROCPRIM_400000_NS6detail17trampoline_kernelINS0_14default_configENS1_36segmented_radix_sort_config_selectorIdlEEZNS1_25segmented_radix_sort_implIS3_Lb1EPKdPdPKlPlN2at6native12_GLOBAL__N_18offset_tEEE10hipError_tPvRmT1_PNSt15iterator_traitsISK_E10value_typeET2_T3_PNSL_ISQ_E10value_typeET4_jRbjT5_SW_jjP12ihipStream_tbEUlT_E2_NS1_11comp_targetILNS1_3genE10ELNS1_11target_archE1201ELNS1_3gpuE5ELNS1_3repE0EEENS1_30default_config_static_selectorELNS0_4arch9wavefront6targetE0EEEvSK_.private_seg_size, 0
	.set _ZN7rocprim17ROCPRIM_400000_NS6detail17trampoline_kernelINS0_14default_configENS1_36segmented_radix_sort_config_selectorIdlEEZNS1_25segmented_radix_sort_implIS3_Lb1EPKdPdPKlPlN2at6native12_GLOBAL__N_18offset_tEEE10hipError_tPvRmT1_PNSt15iterator_traitsISK_E10value_typeET2_T3_PNSL_ISQ_E10value_typeET4_jRbjT5_SW_jjP12ihipStream_tbEUlT_E2_NS1_11comp_targetILNS1_3genE10ELNS1_11target_archE1201ELNS1_3gpuE5ELNS1_3repE0EEENS1_30default_config_static_selectorELNS0_4arch9wavefront6targetE0EEEvSK_.uses_vcc, 0
	.set _ZN7rocprim17ROCPRIM_400000_NS6detail17trampoline_kernelINS0_14default_configENS1_36segmented_radix_sort_config_selectorIdlEEZNS1_25segmented_radix_sort_implIS3_Lb1EPKdPdPKlPlN2at6native12_GLOBAL__N_18offset_tEEE10hipError_tPvRmT1_PNSt15iterator_traitsISK_E10value_typeET2_T3_PNSL_ISQ_E10value_typeET4_jRbjT5_SW_jjP12ihipStream_tbEUlT_E2_NS1_11comp_targetILNS1_3genE10ELNS1_11target_archE1201ELNS1_3gpuE5ELNS1_3repE0EEENS1_30default_config_static_selectorELNS0_4arch9wavefront6targetE0EEEvSK_.uses_flat_scratch, 0
	.set _ZN7rocprim17ROCPRIM_400000_NS6detail17trampoline_kernelINS0_14default_configENS1_36segmented_radix_sort_config_selectorIdlEEZNS1_25segmented_radix_sort_implIS3_Lb1EPKdPdPKlPlN2at6native12_GLOBAL__N_18offset_tEEE10hipError_tPvRmT1_PNSt15iterator_traitsISK_E10value_typeET2_T3_PNSL_ISQ_E10value_typeET4_jRbjT5_SW_jjP12ihipStream_tbEUlT_E2_NS1_11comp_targetILNS1_3genE10ELNS1_11target_archE1201ELNS1_3gpuE5ELNS1_3repE0EEENS1_30default_config_static_selectorELNS0_4arch9wavefront6targetE0EEEvSK_.has_dyn_sized_stack, 0
	.set _ZN7rocprim17ROCPRIM_400000_NS6detail17trampoline_kernelINS0_14default_configENS1_36segmented_radix_sort_config_selectorIdlEEZNS1_25segmented_radix_sort_implIS3_Lb1EPKdPdPKlPlN2at6native12_GLOBAL__N_18offset_tEEE10hipError_tPvRmT1_PNSt15iterator_traitsISK_E10value_typeET2_T3_PNSL_ISQ_E10value_typeET4_jRbjT5_SW_jjP12ihipStream_tbEUlT_E2_NS1_11comp_targetILNS1_3genE10ELNS1_11target_archE1201ELNS1_3gpuE5ELNS1_3repE0EEENS1_30default_config_static_selectorELNS0_4arch9wavefront6targetE0EEEvSK_.has_recursion, 0
	.set _ZN7rocprim17ROCPRIM_400000_NS6detail17trampoline_kernelINS0_14default_configENS1_36segmented_radix_sort_config_selectorIdlEEZNS1_25segmented_radix_sort_implIS3_Lb1EPKdPdPKlPlN2at6native12_GLOBAL__N_18offset_tEEE10hipError_tPvRmT1_PNSt15iterator_traitsISK_E10value_typeET2_T3_PNSL_ISQ_E10value_typeET4_jRbjT5_SW_jjP12ihipStream_tbEUlT_E2_NS1_11comp_targetILNS1_3genE10ELNS1_11target_archE1201ELNS1_3gpuE5ELNS1_3repE0EEENS1_30default_config_static_selectorELNS0_4arch9wavefront6targetE0EEEvSK_.has_indirect_call, 0
	.section	.AMDGPU.csdata,"",@progbits
; Kernel info:
; codeLenInByte = 0
; TotalNumSgprs: 0
; NumVgprs: 0
; ScratchSize: 0
; MemoryBound: 0
; FloatMode: 240
; IeeeMode: 1
; LDSByteSize: 0 bytes/workgroup (compile time only)
; SGPRBlocks: 0
; VGPRBlocks: 0
; NumSGPRsForWavesPerEU: 1
; NumVGPRsForWavesPerEU: 1
; Occupancy: 16
; WaveLimiterHint : 0
; COMPUTE_PGM_RSRC2:SCRATCH_EN: 0
; COMPUTE_PGM_RSRC2:USER_SGPR: 6
; COMPUTE_PGM_RSRC2:TRAP_HANDLER: 0
; COMPUTE_PGM_RSRC2:TGID_X_EN: 1
; COMPUTE_PGM_RSRC2:TGID_Y_EN: 0
; COMPUTE_PGM_RSRC2:TGID_Z_EN: 0
; COMPUTE_PGM_RSRC2:TIDIG_COMP_CNT: 0
	.section	.text._ZN7rocprim17ROCPRIM_400000_NS6detail17trampoline_kernelINS0_14default_configENS1_36segmented_radix_sort_config_selectorIdlEEZNS1_25segmented_radix_sort_implIS3_Lb1EPKdPdPKlPlN2at6native12_GLOBAL__N_18offset_tEEE10hipError_tPvRmT1_PNSt15iterator_traitsISK_E10value_typeET2_T3_PNSL_ISQ_E10value_typeET4_jRbjT5_SW_jjP12ihipStream_tbEUlT_E2_NS1_11comp_targetILNS1_3genE10ELNS1_11target_archE1200ELNS1_3gpuE4ELNS1_3repE0EEENS1_30default_config_static_selectorELNS0_4arch9wavefront6targetE0EEEvSK_,"axG",@progbits,_ZN7rocprim17ROCPRIM_400000_NS6detail17trampoline_kernelINS0_14default_configENS1_36segmented_radix_sort_config_selectorIdlEEZNS1_25segmented_radix_sort_implIS3_Lb1EPKdPdPKlPlN2at6native12_GLOBAL__N_18offset_tEEE10hipError_tPvRmT1_PNSt15iterator_traitsISK_E10value_typeET2_T3_PNSL_ISQ_E10value_typeET4_jRbjT5_SW_jjP12ihipStream_tbEUlT_E2_NS1_11comp_targetILNS1_3genE10ELNS1_11target_archE1200ELNS1_3gpuE4ELNS1_3repE0EEENS1_30default_config_static_selectorELNS0_4arch9wavefront6targetE0EEEvSK_,comdat
	.globl	_ZN7rocprim17ROCPRIM_400000_NS6detail17trampoline_kernelINS0_14default_configENS1_36segmented_radix_sort_config_selectorIdlEEZNS1_25segmented_radix_sort_implIS3_Lb1EPKdPdPKlPlN2at6native12_GLOBAL__N_18offset_tEEE10hipError_tPvRmT1_PNSt15iterator_traitsISK_E10value_typeET2_T3_PNSL_ISQ_E10value_typeET4_jRbjT5_SW_jjP12ihipStream_tbEUlT_E2_NS1_11comp_targetILNS1_3genE10ELNS1_11target_archE1200ELNS1_3gpuE4ELNS1_3repE0EEENS1_30default_config_static_selectorELNS0_4arch9wavefront6targetE0EEEvSK_ ; -- Begin function _ZN7rocprim17ROCPRIM_400000_NS6detail17trampoline_kernelINS0_14default_configENS1_36segmented_radix_sort_config_selectorIdlEEZNS1_25segmented_radix_sort_implIS3_Lb1EPKdPdPKlPlN2at6native12_GLOBAL__N_18offset_tEEE10hipError_tPvRmT1_PNSt15iterator_traitsISK_E10value_typeET2_T3_PNSL_ISQ_E10value_typeET4_jRbjT5_SW_jjP12ihipStream_tbEUlT_E2_NS1_11comp_targetILNS1_3genE10ELNS1_11target_archE1200ELNS1_3gpuE4ELNS1_3repE0EEENS1_30default_config_static_selectorELNS0_4arch9wavefront6targetE0EEEvSK_
	.p2align	8
	.type	_ZN7rocprim17ROCPRIM_400000_NS6detail17trampoline_kernelINS0_14default_configENS1_36segmented_radix_sort_config_selectorIdlEEZNS1_25segmented_radix_sort_implIS3_Lb1EPKdPdPKlPlN2at6native12_GLOBAL__N_18offset_tEEE10hipError_tPvRmT1_PNSt15iterator_traitsISK_E10value_typeET2_T3_PNSL_ISQ_E10value_typeET4_jRbjT5_SW_jjP12ihipStream_tbEUlT_E2_NS1_11comp_targetILNS1_3genE10ELNS1_11target_archE1200ELNS1_3gpuE4ELNS1_3repE0EEENS1_30default_config_static_selectorELNS0_4arch9wavefront6targetE0EEEvSK_,@function
_ZN7rocprim17ROCPRIM_400000_NS6detail17trampoline_kernelINS0_14default_configENS1_36segmented_radix_sort_config_selectorIdlEEZNS1_25segmented_radix_sort_implIS3_Lb1EPKdPdPKlPlN2at6native12_GLOBAL__N_18offset_tEEE10hipError_tPvRmT1_PNSt15iterator_traitsISK_E10value_typeET2_T3_PNSL_ISQ_E10value_typeET4_jRbjT5_SW_jjP12ihipStream_tbEUlT_E2_NS1_11comp_targetILNS1_3genE10ELNS1_11target_archE1200ELNS1_3gpuE4ELNS1_3repE0EEENS1_30default_config_static_selectorELNS0_4arch9wavefront6targetE0EEEvSK_: ; @_ZN7rocprim17ROCPRIM_400000_NS6detail17trampoline_kernelINS0_14default_configENS1_36segmented_radix_sort_config_selectorIdlEEZNS1_25segmented_radix_sort_implIS3_Lb1EPKdPdPKlPlN2at6native12_GLOBAL__N_18offset_tEEE10hipError_tPvRmT1_PNSt15iterator_traitsISK_E10value_typeET2_T3_PNSL_ISQ_E10value_typeET4_jRbjT5_SW_jjP12ihipStream_tbEUlT_E2_NS1_11comp_targetILNS1_3genE10ELNS1_11target_archE1200ELNS1_3gpuE4ELNS1_3repE0EEENS1_30default_config_static_selectorELNS0_4arch9wavefront6targetE0EEEvSK_
; %bb.0:
	.section	.rodata,"a",@progbits
	.p2align	6, 0x0
	.amdhsa_kernel _ZN7rocprim17ROCPRIM_400000_NS6detail17trampoline_kernelINS0_14default_configENS1_36segmented_radix_sort_config_selectorIdlEEZNS1_25segmented_radix_sort_implIS3_Lb1EPKdPdPKlPlN2at6native12_GLOBAL__N_18offset_tEEE10hipError_tPvRmT1_PNSt15iterator_traitsISK_E10value_typeET2_T3_PNSL_ISQ_E10value_typeET4_jRbjT5_SW_jjP12ihipStream_tbEUlT_E2_NS1_11comp_targetILNS1_3genE10ELNS1_11target_archE1200ELNS1_3gpuE4ELNS1_3repE0EEENS1_30default_config_static_selectorELNS0_4arch9wavefront6targetE0EEEvSK_
		.amdhsa_group_segment_fixed_size 0
		.amdhsa_private_segment_fixed_size 0
		.amdhsa_kernarg_size 80
		.amdhsa_user_sgpr_count 6
		.amdhsa_user_sgpr_private_segment_buffer 1
		.amdhsa_user_sgpr_dispatch_ptr 0
		.amdhsa_user_sgpr_queue_ptr 0
		.amdhsa_user_sgpr_kernarg_segment_ptr 1
		.amdhsa_user_sgpr_dispatch_id 0
		.amdhsa_user_sgpr_flat_scratch_init 0
		.amdhsa_user_sgpr_private_segment_size 0
		.amdhsa_wavefront_size32 1
		.amdhsa_uses_dynamic_stack 0
		.amdhsa_system_sgpr_private_segment_wavefront_offset 0
		.amdhsa_system_sgpr_workgroup_id_x 1
		.amdhsa_system_sgpr_workgroup_id_y 0
		.amdhsa_system_sgpr_workgroup_id_z 0
		.amdhsa_system_sgpr_workgroup_info 0
		.amdhsa_system_vgpr_workitem_id 0
		.amdhsa_next_free_vgpr 1
		.amdhsa_next_free_sgpr 1
		.amdhsa_reserve_vcc 0
		.amdhsa_reserve_flat_scratch 0
		.amdhsa_float_round_mode_32 0
		.amdhsa_float_round_mode_16_64 0
		.amdhsa_float_denorm_mode_32 3
		.amdhsa_float_denorm_mode_16_64 3
		.amdhsa_dx10_clamp 1
		.amdhsa_ieee_mode 1
		.amdhsa_fp16_overflow 0
		.amdhsa_workgroup_processor_mode 1
		.amdhsa_memory_ordered 1
		.amdhsa_forward_progress 1
		.amdhsa_shared_vgpr_count 0
		.amdhsa_exception_fp_ieee_invalid_op 0
		.amdhsa_exception_fp_denorm_src 0
		.amdhsa_exception_fp_ieee_div_zero 0
		.amdhsa_exception_fp_ieee_overflow 0
		.amdhsa_exception_fp_ieee_underflow 0
		.amdhsa_exception_fp_ieee_inexact 0
		.amdhsa_exception_int_div_zero 0
	.end_amdhsa_kernel
	.section	.text._ZN7rocprim17ROCPRIM_400000_NS6detail17trampoline_kernelINS0_14default_configENS1_36segmented_radix_sort_config_selectorIdlEEZNS1_25segmented_radix_sort_implIS3_Lb1EPKdPdPKlPlN2at6native12_GLOBAL__N_18offset_tEEE10hipError_tPvRmT1_PNSt15iterator_traitsISK_E10value_typeET2_T3_PNSL_ISQ_E10value_typeET4_jRbjT5_SW_jjP12ihipStream_tbEUlT_E2_NS1_11comp_targetILNS1_3genE10ELNS1_11target_archE1200ELNS1_3gpuE4ELNS1_3repE0EEENS1_30default_config_static_selectorELNS0_4arch9wavefront6targetE0EEEvSK_,"axG",@progbits,_ZN7rocprim17ROCPRIM_400000_NS6detail17trampoline_kernelINS0_14default_configENS1_36segmented_radix_sort_config_selectorIdlEEZNS1_25segmented_radix_sort_implIS3_Lb1EPKdPdPKlPlN2at6native12_GLOBAL__N_18offset_tEEE10hipError_tPvRmT1_PNSt15iterator_traitsISK_E10value_typeET2_T3_PNSL_ISQ_E10value_typeET4_jRbjT5_SW_jjP12ihipStream_tbEUlT_E2_NS1_11comp_targetILNS1_3genE10ELNS1_11target_archE1200ELNS1_3gpuE4ELNS1_3repE0EEENS1_30default_config_static_selectorELNS0_4arch9wavefront6targetE0EEEvSK_,comdat
.Lfunc_end1146:
	.size	_ZN7rocprim17ROCPRIM_400000_NS6detail17trampoline_kernelINS0_14default_configENS1_36segmented_radix_sort_config_selectorIdlEEZNS1_25segmented_radix_sort_implIS3_Lb1EPKdPdPKlPlN2at6native12_GLOBAL__N_18offset_tEEE10hipError_tPvRmT1_PNSt15iterator_traitsISK_E10value_typeET2_T3_PNSL_ISQ_E10value_typeET4_jRbjT5_SW_jjP12ihipStream_tbEUlT_E2_NS1_11comp_targetILNS1_3genE10ELNS1_11target_archE1200ELNS1_3gpuE4ELNS1_3repE0EEENS1_30default_config_static_selectorELNS0_4arch9wavefront6targetE0EEEvSK_, .Lfunc_end1146-_ZN7rocprim17ROCPRIM_400000_NS6detail17trampoline_kernelINS0_14default_configENS1_36segmented_radix_sort_config_selectorIdlEEZNS1_25segmented_radix_sort_implIS3_Lb1EPKdPdPKlPlN2at6native12_GLOBAL__N_18offset_tEEE10hipError_tPvRmT1_PNSt15iterator_traitsISK_E10value_typeET2_T3_PNSL_ISQ_E10value_typeET4_jRbjT5_SW_jjP12ihipStream_tbEUlT_E2_NS1_11comp_targetILNS1_3genE10ELNS1_11target_archE1200ELNS1_3gpuE4ELNS1_3repE0EEENS1_30default_config_static_selectorELNS0_4arch9wavefront6targetE0EEEvSK_
                                        ; -- End function
	.set _ZN7rocprim17ROCPRIM_400000_NS6detail17trampoline_kernelINS0_14default_configENS1_36segmented_radix_sort_config_selectorIdlEEZNS1_25segmented_radix_sort_implIS3_Lb1EPKdPdPKlPlN2at6native12_GLOBAL__N_18offset_tEEE10hipError_tPvRmT1_PNSt15iterator_traitsISK_E10value_typeET2_T3_PNSL_ISQ_E10value_typeET4_jRbjT5_SW_jjP12ihipStream_tbEUlT_E2_NS1_11comp_targetILNS1_3genE10ELNS1_11target_archE1200ELNS1_3gpuE4ELNS1_3repE0EEENS1_30default_config_static_selectorELNS0_4arch9wavefront6targetE0EEEvSK_.num_vgpr, 0
	.set _ZN7rocprim17ROCPRIM_400000_NS6detail17trampoline_kernelINS0_14default_configENS1_36segmented_radix_sort_config_selectorIdlEEZNS1_25segmented_radix_sort_implIS3_Lb1EPKdPdPKlPlN2at6native12_GLOBAL__N_18offset_tEEE10hipError_tPvRmT1_PNSt15iterator_traitsISK_E10value_typeET2_T3_PNSL_ISQ_E10value_typeET4_jRbjT5_SW_jjP12ihipStream_tbEUlT_E2_NS1_11comp_targetILNS1_3genE10ELNS1_11target_archE1200ELNS1_3gpuE4ELNS1_3repE0EEENS1_30default_config_static_selectorELNS0_4arch9wavefront6targetE0EEEvSK_.num_agpr, 0
	.set _ZN7rocprim17ROCPRIM_400000_NS6detail17trampoline_kernelINS0_14default_configENS1_36segmented_radix_sort_config_selectorIdlEEZNS1_25segmented_radix_sort_implIS3_Lb1EPKdPdPKlPlN2at6native12_GLOBAL__N_18offset_tEEE10hipError_tPvRmT1_PNSt15iterator_traitsISK_E10value_typeET2_T3_PNSL_ISQ_E10value_typeET4_jRbjT5_SW_jjP12ihipStream_tbEUlT_E2_NS1_11comp_targetILNS1_3genE10ELNS1_11target_archE1200ELNS1_3gpuE4ELNS1_3repE0EEENS1_30default_config_static_selectorELNS0_4arch9wavefront6targetE0EEEvSK_.numbered_sgpr, 0
	.set _ZN7rocprim17ROCPRIM_400000_NS6detail17trampoline_kernelINS0_14default_configENS1_36segmented_radix_sort_config_selectorIdlEEZNS1_25segmented_radix_sort_implIS3_Lb1EPKdPdPKlPlN2at6native12_GLOBAL__N_18offset_tEEE10hipError_tPvRmT1_PNSt15iterator_traitsISK_E10value_typeET2_T3_PNSL_ISQ_E10value_typeET4_jRbjT5_SW_jjP12ihipStream_tbEUlT_E2_NS1_11comp_targetILNS1_3genE10ELNS1_11target_archE1200ELNS1_3gpuE4ELNS1_3repE0EEENS1_30default_config_static_selectorELNS0_4arch9wavefront6targetE0EEEvSK_.num_named_barrier, 0
	.set _ZN7rocprim17ROCPRIM_400000_NS6detail17trampoline_kernelINS0_14default_configENS1_36segmented_radix_sort_config_selectorIdlEEZNS1_25segmented_radix_sort_implIS3_Lb1EPKdPdPKlPlN2at6native12_GLOBAL__N_18offset_tEEE10hipError_tPvRmT1_PNSt15iterator_traitsISK_E10value_typeET2_T3_PNSL_ISQ_E10value_typeET4_jRbjT5_SW_jjP12ihipStream_tbEUlT_E2_NS1_11comp_targetILNS1_3genE10ELNS1_11target_archE1200ELNS1_3gpuE4ELNS1_3repE0EEENS1_30default_config_static_selectorELNS0_4arch9wavefront6targetE0EEEvSK_.private_seg_size, 0
	.set _ZN7rocprim17ROCPRIM_400000_NS6detail17trampoline_kernelINS0_14default_configENS1_36segmented_radix_sort_config_selectorIdlEEZNS1_25segmented_radix_sort_implIS3_Lb1EPKdPdPKlPlN2at6native12_GLOBAL__N_18offset_tEEE10hipError_tPvRmT1_PNSt15iterator_traitsISK_E10value_typeET2_T3_PNSL_ISQ_E10value_typeET4_jRbjT5_SW_jjP12ihipStream_tbEUlT_E2_NS1_11comp_targetILNS1_3genE10ELNS1_11target_archE1200ELNS1_3gpuE4ELNS1_3repE0EEENS1_30default_config_static_selectorELNS0_4arch9wavefront6targetE0EEEvSK_.uses_vcc, 0
	.set _ZN7rocprim17ROCPRIM_400000_NS6detail17trampoline_kernelINS0_14default_configENS1_36segmented_radix_sort_config_selectorIdlEEZNS1_25segmented_radix_sort_implIS3_Lb1EPKdPdPKlPlN2at6native12_GLOBAL__N_18offset_tEEE10hipError_tPvRmT1_PNSt15iterator_traitsISK_E10value_typeET2_T3_PNSL_ISQ_E10value_typeET4_jRbjT5_SW_jjP12ihipStream_tbEUlT_E2_NS1_11comp_targetILNS1_3genE10ELNS1_11target_archE1200ELNS1_3gpuE4ELNS1_3repE0EEENS1_30default_config_static_selectorELNS0_4arch9wavefront6targetE0EEEvSK_.uses_flat_scratch, 0
	.set _ZN7rocprim17ROCPRIM_400000_NS6detail17trampoline_kernelINS0_14default_configENS1_36segmented_radix_sort_config_selectorIdlEEZNS1_25segmented_radix_sort_implIS3_Lb1EPKdPdPKlPlN2at6native12_GLOBAL__N_18offset_tEEE10hipError_tPvRmT1_PNSt15iterator_traitsISK_E10value_typeET2_T3_PNSL_ISQ_E10value_typeET4_jRbjT5_SW_jjP12ihipStream_tbEUlT_E2_NS1_11comp_targetILNS1_3genE10ELNS1_11target_archE1200ELNS1_3gpuE4ELNS1_3repE0EEENS1_30default_config_static_selectorELNS0_4arch9wavefront6targetE0EEEvSK_.has_dyn_sized_stack, 0
	.set _ZN7rocprim17ROCPRIM_400000_NS6detail17trampoline_kernelINS0_14default_configENS1_36segmented_radix_sort_config_selectorIdlEEZNS1_25segmented_radix_sort_implIS3_Lb1EPKdPdPKlPlN2at6native12_GLOBAL__N_18offset_tEEE10hipError_tPvRmT1_PNSt15iterator_traitsISK_E10value_typeET2_T3_PNSL_ISQ_E10value_typeET4_jRbjT5_SW_jjP12ihipStream_tbEUlT_E2_NS1_11comp_targetILNS1_3genE10ELNS1_11target_archE1200ELNS1_3gpuE4ELNS1_3repE0EEENS1_30default_config_static_selectorELNS0_4arch9wavefront6targetE0EEEvSK_.has_recursion, 0
	.set _ZN7rocprim17ROCPRIM_400000_NS6detail17trampoline_kernelINS0_14default_configENS1_36segmented_radix_sort_config_selectorIdlEEZNS1_25segmented_radix_sort_implIS3_Lb1EPKdPdPKlPlN2at6native12_GLOBAL__N_18offset_tEEE10hipError_tPvRmT1_PNSt15iterator_traitsISK_E10value_typeET2_T3_PNSL_ISQ_E10value_typeET4_jRbjT5_SW_jjP12ihipStream_tbEUlT_E2_NS1_11comp_targetILNS1_3genE10ELNS1_11target_archE1200ELNS1_3gpuE4ELNS1_3repE0EEENS1_30default_config_static_selectorELNS0_4arch9wavefront6targetE0EEEvSK_.has_indirect_call, 0
	.section	.AMDGPU.csdata,"",@progbits
; Kernel info:
; codeLenInByte = 0
; TotalNumSgprs: 0
; NumVgprs: 0
; ScratchSize: 0
; MemoryBound: 0
; FloatMode: 240
; IeeeMode: 1
; LDSByteSize: 0 bytes/workgroup (compile time only)
; SGPRBlocks: 0
; VGPRBlocks: 0
; NumSGPRsForWavesPerEU: 1
; NumVGPRsForWavesPerEU: 1
; Occupancy: 16
; WaveLimiterHint : 0
; COMPUTE_PGM_RSRC2:SCRATCH_EN: 0
; COMPUTE_PGM_RSRC2:USER_SGPR: 6
; COMPUTE_PGM_RSRC2:TRAP_HANDLER: 0
; COMPUTE_PGM_RSRC2:TGID_X_EN: 1
; COMPUTE_PGM_RSRC2:TGID_Y_EN: 0
; COMPUTE_PGM_RSRC2:TGID_Z_EN: 0
; COMPUTE_PGM_RSRC2:TIDIG_COMP_CNT: 0
	.section	.text._ZN7rocprim17ROCPRIM_400000_NS6detail17trampoline_kernelINS0_14default_configENS1_36segmented_radix_sort_config_selectorIdlEEZNS1_25segmented_radix_sort_implIS3_Lb1EPKdPdPKlPlN2at6native12_GLOBAL__N_18offset_tEEE10hipError_tPvRmT1_PNSt15iterator_traitsISK_E10value_typeET2_T3_PNSL_ISQ_E10value_typeET4_jRbjT5_SW_jjP12ihipStream_tbEUlT_E2_NS1_11comp_targetILNS1_3genE9ELNS1_11target_archE1100ELNS1_3gpuE3ELNS1_3repE0EEENS1_30default_config_static_selectorELNS0_4arch9wavefront6targetE0EEEvSK_,"axG",@progbits,_ZN7rocprim17ROCPRIM_400000_NS6detail17trampoline_kernelINS0_14default_configENS1_36segmented_radix_sort_config_selectorIdlEEZNS1_25segmented_radix_sort_implIS3_Lb1EPKdPdPKlPlN2at6native12_GLOBAL__N_18offset_tEEE10hipError_tPvRmT1_PNSt15iterator_traitsISK_E10value_typeET2_T3_PNSL_ISQ_E10value_typeET4_jRbjT5_SW_jjP12ihipStream_tbEUlT_E2_NS1_11comp_targetILNS1_3genE9ELNS1_11target_archE1100ELNS1_3gpuE3ELNS1_3repE0EEENS1_30default_config_static_selectorELNS0_4arch9wavefront6targetE0EEEvSK_,comdat
	.globl	_ZN7rocprim17ROCPRIM_400000_NS6detail17trampoline_kernelINS0_14default_configENS1_36segmented_radix_sort_config_selectorIdlEEZNS1_25segmented_radix_sort_implIS3_Lb1EPKdPdPKlPlN2at6native12_GLOBAL__N_18offset_tEEE10hipError_tPvRmT1_PNSt15iterator_traitsISK_E10value_typeET2_T3_PNSL_ISQ_E10value_typeET4_jRbjT5_SW_jjP12ihipStream_tbEUlT_E2_NS1_11comp_targetILNS1_3genE9ELNS1_11target_archE1100ELNS1_3gpuE3ELNS1_3repE0EEENS1_30default_config_static_selectorELNS0_4arch9wavefront6targetE0EEEvSK_ ; -- Begin function _ZN7rocprim17ROCPRIM_400000_NS6detail17trampoline_kernelINS0_14default_configENS1_36segmented_radix_sort_config_selectorIdlEEZNS1_25segmented_radix_sort_implIS3_Lb1EPKdPdPKlPlN2at6native12_GLOBAL__N_18offset_tEEE10hipError_tPvRmT1_PNSt15iterator_traitsISK_E10value_typeET2_T3_PNSL_ISQ_E10value_typeET4_jRbjT5_SW_jjP12ihipStream_tbEUlT_E2_NS1_11comp_targetILNS1_3genE9ELNS1_11target_archE1100ELNS1_3gpuE3ELNS1_3repE0EEENS1_30default_config_static_selectorELNS0_4arch9wavefront6targetE0EEEvSK_
	.p2align	8
	.type	_ZN7rocprim17ROCPRIM_400000_NS6detail17trampoline_kernelINS0_14default_configENS1_36segmented_radix_sort_config_selectorIdlEEZNS1_25segmented_radix_sort_implIS3_Lb1EPKdPdPKlPlN2at6native12_GLOBAL__N_18offset_tEEE10hipError_tPvRmT1_PNSt15iterator_traitsISK_E10value_typeET2_T3_PNSL_ISQ_E10value_typeET4_jRbjT5_SW_jjP12ihipStream_tbEUlT_E2_NS1_11comp_targetILNS1_3genE9ELNS1_11target_archE1100ELNS1_3gpuE3ELNS1_3repE0EEENS1_30default_config_static_selectorELNS0_4arch9wavefront6targetE0EEEvSK_,@function
_ZN7rocprim17ROCPRIM_400000_NS6detail17trampoline_kernelINS0_14default_configENS1_36segmented_radix_sort_config_selectorIdlEEZNS1_25segmented_radix_sort_implIS3_Lb1EPKdPdPKlPlN2at6native12_GLOBAL__N_18offset_tEEE10hipError_tPvRmT1_PNSt15iterator_traitsISK_E10value_typeET2_T3_PNSL_ISQ_E10value_typeET4_jRbjT5_SW_jjP12ihipStream_tbEUlT_E2_NS1_11comp_targetILNS1_3genE9ELNS1_11target_archE1100ELNS1_3gpuE3ELNS1_3repE0EEENS1_30default_config_static_selectorELNS0_4arch9wavefront6targetE0EEEvSK_: ; @_ZN7rocprim17ROCPRIM_400000_NS6detail17trampoline_kernelINS0_14default_configENS1_36segmented_radix_sort_config_selectorIdlEEZNS1_25segmented_radix_sort_implIS3_Lb1EPKdPdPKlPlN2at6native12_GLOBAL__N_18offset_tEEE10hipError_tPvRmT1_PNSt15iterator_traitsISK_E10value_typeET2_T3_PNSL_ISQ_E10value_typeET4_jRbjT5_SW_jjP12ihipStream_tbEUlT_E2_NS1_11comp_targetILNS1_3genE9ELNS1_11target_archE1100ELNS1_3gpuE3ELNS1_3repE0EEENS1_30default_config_static_selectorELNS0_4arch9wavefront6targetE0EEEvSK_
; %bb.0:
	.section	.rodata,"a",@progbits
	.p2align	6, 0x0
	.amdhsa_kernel _ZN7rocprim17ROCPRIM_400000_NS6detail17trampoline_kernelINS0_14default_configENS1_36segmented_radix_sort_config_selectorIdlEEZNS1_25segmented_radix_sort_implIS3_Lb1EPKdPdPKlPlN2at6native12_GLOBAL__N_18offset_tEEE10hipError_tPvRmT1_PNSt15iterator_traitsISK_E10value_typeET2_T3_PNSL_ISQ_E10value_typeET4_jRbjT5_SW_jjP12ihipStream_tbEUlT_E2_NS1_11comp_targetILNS1_3genE9ELNS1_11target_archE1100ELNS1_3gpuE3ELNS1_3repE0EEENS1_30default_config_static_selectorELNS0_4arch9wavefront6targetE0EEEvSK_
		.amdhsa_group_segment_fixed_size 0
		.amdhsa_private_segment_fixed_size 0
		.amdhsa_kernarg_size 80
		.amdhsa_user_sgpr_count 6
		.amdhsa_user_sgpr_private_segment_buffer 1
		.amdhsa_user_sgpr_dispatch_ptr 0
		.amdhsa_user_sgpr_queue_ptr 0
		.amdhsa_user_sgpr_kernarg_segment_ptr 1
		.amdhsa_user_sgpr_dispatch_id 0
		.amdhsa_user_sgpr_flat_scratch_init 0
		.amdhsa_user_sgpr_private_segment_size 0
		.amdhsa_wavefront_size32 1
		.amdhsa_uses_dynamic_stack 0
		.amdhsa_system_sgpr_private_segment_wavefront_offset 0
		.amdhsa_system_sgpr_workgroup_id_x 1
		.amdhsa_system_sgpr_workgroup_id_y 0
		.amdhsa_system_sgpr_workgroup_id_z 0
		.amdhsa_system_sgpr_workgroup_info 0
		.amdhsa_system_vgpr_workitem_id 0
		.amdhsa_next_free_vgpr 1
		.amdhsa_next_free_sgpr 1
		.amdhsa_reserve_vcc 0
		.amdhsa_reserve_flat_scratch 0
		.amdhsa_float_round_mode_32 0
		.amdhsa_float_round_mode_16_64 0
		.amdhsa_float_denorm_mode_32 3
		.amdhsa_float_denorm_mode_16_64 3
		.amdhsa_dx10_clamp 1
		.amdhsa_ieee_mode 1
		.amdhsa_fp16_overflow 0
		.amdhsa_workgroup_processor_mode 1
		.amdhsa_memory_ordered 1
		.amdhsa_forward_progress 1
		.amdhsa_shared_vgpr_count 0
		.amdhsa_exception_fp_ieee_invalid_op 0
		.amdhsa_exception_fp_denorm_src 0
		.amdhsa_exception_fp_ieee_div_zero 0
		.amdhsa_exception_fp_ieee_overflow 0
		.amdhsa_exception_fp_ieee_underflow 0
		.amdhsa_exception_fp_ieee_inexact 0
		.amdhsa_exception_int_div_zero 0
	.end_amdhsa_kernel
	.section	.text._ZN7rocprim17ROCPRIM_400000_NS6detail17trampoline_kernelINS0_14default_configENS1_36segmented_radix_sort_config_selectorIdlEEZNS1_25segmented_radix_sort_implIS3_Lb1EPKdPdPKlPlN2at6native12_GLOBAL__N_18offset_tEEE10hipError_tPvRmT1_PNSt15iterator_traitsISK_E10value_typeET2_T3_PNSL_ISQ_E10value_typeET4_jRbjT5_SW_jjP12ihipStream_tbEUlT_E2_NS1_11comp_targetILNS1_3genE9ELNS1_11target_archE1100ELNS1_3gpuE3ELNS1_3repE0EEENS1_30default_config_static_selectorELNS0_4arch9wavefront6targetE0EEEvSK_,"axG",@progbits,_ZN7rocprim17ROCPRIM_400000_NS6detail17trampoline_kernelINS0_14default_configENS1_36segmented_radix_sort_config_selectorIdlEEZNS1_25segmented_radix_sort_implIS3_Lb1EPKdPdPKlPlN2at6native12_GLOBAL__N_18offset_tEEE10hipError_tPvRmT1_PNSt15iterator_traitsISK_E10value_typeET2_T3_PNSL_ISQ_E10value_typeET4_jRbjT5_SW_jjP12ihipStream_tbEUlT_E2_NS1_11comp_targetILNS1_3genE9ELNS1_11target_archE1100ELNS1_3gpuE3ELNS1_3repE0EEENS1_30default_config_static_selectorELNS0_4arch9wavefront6targetE0EEEvSK_,comdat
.Lfunc_end1147:
	.size	_ZN7rocprim17ROCPRIM_400000_NS6detail17trampoline_kernelINS0_14default_configENS1_36segmented_radix_sort_config_selectorIdlEEZNS1_25segmented_radix_sort_implIS3_Lb1EPKdPdPKlPlN2at6native12_GLOBAL__N_18offset_tEEE10hipError_tPvRmT1_PNSt15iterator_traitsISK_E10value_typeET2_T3_PNSL_ISQ_E10value_typeET4_jRbjT5_SW_jjP12ihipStream_tbEUlT_E2_NS1_11comp_targetILNS1_3genE9ELNS1_11target_archE1100ELNS1_3gpuE3ELNS1_3repE0EEENS1_30default_config_static_selectorELNS0_4arch9wavefront6targetE0EEEvSK_, .Lfunc_end1147-_ZN7rocprim17ROCPRIM_400000_NS6detail17trampoline_kernelINS0_14default_configENS1_36segmented_radix_sort_config_selectorIdlEEZNS1_25segmented_radix_sort_implIS3_Lb1EPKdPdPKlPlN2at6native12_GLOBAL__N_18offset_tEEE10hipError_tPvRmT1_PNSt15iterator_traitsISK_E10value_typeET2_T3_PNSL_ISQ_E10value_typeET4_jRbjT5_SW_jjP12ihipStream_tbEUlT_E2_NS1_11comp_targetILNS1_3genE9ELNS1_11target_archE1100ELNS1_3gpuE3ELNS1_3repE0EEENS1_30default_config_static_selectorELNS0_4arch9wavefront6targetE0EEEvSK_
                                        ; -- End function
	.set _ZN7rocprim17ROCPRIM_400000_NS6detail17trampoline_kernelINS0_14default_configENS1_36segmented_radix_sort_config_selectorIdlEEZNS1_25segmented_radix_sort_implIS3_Lb1EPKdPdPKlPlN2at6native12_GLOBAL__N_18offset_tEEE10hipError_tPvRmT1_PNSt15iterator_traitsISK_E10value_typeET2_T3_PNSL_ISQ_E10value_typeET4_jRbjT5_SW_jjP12ihipStream_tbEUlT_E2_NS1_11comp_targetILNS1_3genE9ELNS1_11target_archE1100ELNS1_3gpuE3ELNS1_3repE0EEENS1_30default_config_static_selectorELNS0_4arch9wavefront6targetE0EEEvSK_.num_vgpr, 0
	.set _ZN7rocprim17ROCPRIM_400000_NS6detail17trampoline_kernelINS0_14default_configENS1_36segmented_radix_sort_config_selectorIdlEEZNS1_25segmented_radix_sort_implIS3_Lb1EPKdPdPKlPlN2at6native12_GLOBAL__N_18offset_tEEE10hipError_tPvRmT1_PNSt15iterator_traitsISK_E10value_typeET2_T3_PNSL_ISQ_E10value_typeET4_jRbjT5_SW_jjP12ihipStream_tbEUlT_E2_NS1_11comp_targetILNS1_3genE9ELNS1_11target_archE1100ELNS1_3gpuE3ELNS1_3repE0EEENS1_30default_config_static_selectorELNS0_4arch9wavefront6targetE0EEEvSK_.num_agpr, 0
	.set _ZN7rocprim17ROCPRIM_400000_NS6detail17trampoline_kernelINS0_14default_configENS1_36segmented_radix_sort_config_selectorIdlEEZNS1_25segmented_radix_sort_implIS3_Lb1EPKdPdPKlPlN2at6native12_GLOBAL__N_18offset_tEEE10hipError_tPvRmT1_PNSt15iterator_traitsISK_E10value_typeET2_T3_PNSL_ISQ_E10value_typeET4_jRbjT5_SW_jjP12ihipStream_tbEUlT_E2_NS1_11comp_targetILNS1_3genE9ELNS1_11target_archE1100ELNS1_3gpuE3ELNS1_3repE0EEENS1_30default_config_static_selectorELNS0_4arch9wavefront6targetE0EEEvSK_.numbered_sgpr, 0
	.set _ZN7rocprim17ROCPRIM_400000_NS6detail17trampoline_kernelINS0_14default_configENS1_36segmented_radix_sort_config_selectorIdlEEZNS1_25segmented_radix_sort_implIS3_Lb1EPKdPdPKlPlN2at6native12_GLOBAL__N_18offset_tEEE10hipError_tPvRmT1_PNSt15iterator_traitsISK_E10value_typeET2_T3_PNSL_ISQ_E10value_typeET4_jRbjT5_SW_jjP12ihipStream_tbEUlT_E2_NS1_11comp_targetILNS1_3genE9ELNS1_11target_archE1100ELNS1_3gpuE3ELNS1_3repE0EEENS1_30default_config_static_selectorELNS0_4arch9wavefront6targetE0EEEvSK_.num_named_barrier, 0
	.set _ZN7rocprim17ROCPRIM_400000_NS6detail17trampoline_kernelINS0_14default_configENS1_36segmented_radix_sort_config_selectorIdlEEZNS1_25segmented_radix_sort_implIS3_Lb1EPKdPdPKlPlN2at6native12_GLOBAL__N_18offset_tEEE10hipError_tPvRmT1_PNSt15iterator_traitsISK_E10value_typeET2_T3_PNSL_ISQ_E10value_typeET4_jRbjT5_SW_jjP12ihipStream_tbEUlT_E2_NS1_11comp_targetILNS1_3genE9ELNS1_11target_archE1100ELNS1_3gpuE3ELNS1_3repE0EEENS1_30default_config_static_selectorELNS0_4arch9wavefront6targetE0EEEvSK_.private_seg_size, 0
	.set _ZN7rocprim17ROCPRIM_400000_NS6detail17trampoline_kernelINS0_14default_configENS1_36segmented_radix_sort_config_selectorIdlEEZNS1_25segmented_radix_sort_implIS3_Lb1EPKdPdPKlPlN2at6native12_GLOBAL__N_18offset_tEEE10hipError_tPvRmT1_PNSt15iterator_traitsISK_E10value_typeET2_T3_PNSL_ISQ_E10value_typeET4_jRbjT5_SW_jjP12ihipStream_tbEUlT_E2_NS1_11comp_targetILNS1_3genE9ELNS1_11target_archE1100ELNS1_3gpuE3ELNS1_3repE0EEENS1_30default_config_static_selectorELNS0_4arch9wavefront6targetE0EEEvSK_.uses_vcc, 0
	.set _ZN7rocprim17ROCPRIM_400000_NS6detail17trampoline_kernelINS0_14default_configENS1_36segmented_radix_sort_config_selectorIdlEEZNS1_25segmented_radix_sort_implIS3_Lb1EPKdPdPKlPlN2at6native12_GLOBAL__N_18offset_tEEE10hipError_tPvRmT1_PNSt15iterator_traitsISK_E10value_typeET2_T3_PNSL_ISQ_E10value_typeET4_jRbjT5_SW_jjP12ihipStream_tbEUlT_E2_NS1_11comp_targetILNS1_3genE9ELNS1_11target_archE1100ELNS1_3gpuE3ELNS1_3repE0EEENS1_30default_config_static_selectorELNS0_4arch9wavefront6targetE0EEEvSK_.uses_flat_scratch, 0
	.set _ZN7rocprim17ROCPRIM_400000_NS6detail17trampoline_kernelINS0_14default_configENS1_36segmented_radix_sort_config_selectorIdlEEZNS1_25segmented_radix_sort_implIS3_Lb1EPKdPdPKlPlN2at6native12_GLOBAL__N_18offset_tEEE10hipError_tPvRmT1_PNSt15iterator_traitsISK_E10value_typeET2_T3_PNSL_ISQ_E10value_typeET4_jRbjT5_SW_jjP12ihipStream_tbEUlT_E2_NS1_11comp_targetILNS1_3genE9ELNS1_11target_archE1100ELNS1_3gpuE3ELNS1_3repE0EEENS1_30default_config_static_selectorELNS0_4arch9wavefront6targetE0EEEvSK_.has_dyn_sized_stack, 0
	.set _ZN7rocprim17ROCPRIM_400000_NS6detail17trampoline_kernelINS0_14default_configENS1_36segmented_radix_sort_config_selectorIdlEEZNS1_25segmented_radix_sort_implIS3_Lb1EPKdPdPKlPlN2at6native12_GLOBAL__N_18offset_tEEE10hipError_tPvRmT1_PNSt15iterator_traitsISK_E10value_typeET2_T3_PNSL_ISQ_E10value_typeET4_jRbjT5_SW_jjP12ihipStream_tbEUlT_E2_NS1_11comp_targetILNS1_3genE9ELNS1_11target_archE1100ELNS1_3gpuE3ELNS1_3repE0EEENS1_30default_config_static_selectorELNS0_4arch9wavefront6targetE0EEEvSK_.has_recursion, 0
	.set _ZN7rocprim17ROCPRIM_400000_NS6detail17trampoline_kernelINS0_14default_configENS1_36segmented_radix_sort_config_selectorIdlEEZNS1_25segmented_radix_sort_implIS3_Lb1EPKdPdPKlPlN2at6native12_GLOBAL__N_18offset_tEEE10hipError_tPvRmT1_PNSt15iterator_traitsISK_E10value_typeET2_T3_PNSL_ISQ_E10value_typeET4_jRbjT5_SW_jjP12ihipStream_tbEUlT_E2_NS1_11comp_targetILNS1_3genE9ELNS1_11target_archE1100ELNS1_3gpuE3ELNS1_3repE0EEENS1_30default_config_static_selectorELNS0_4arch9wavefront6targetE0EEEvSK_.has_indirect_call, 0
	.section	.AMDGPU.csdata,"",@progbits
; Kernel info:
; codeLenInByte = 0
; TotalNumSgprs: 0
; NumVgprs: 0
; ScratchSize: 0
; MemoryBound: 0
; FloatMode: 240
; IeeeMode: 1
; LDSByteSize: 0 bytes/workgroup (compile time only)
; SGPRBlocks: 0
; VGPRBlocks: 0
; NumSGPRsForWavesPerEU: 1
; NumVGPRsForWavesPerEU: 1
; Occupancy: 16
; WaveLimiterHint : 0
; COMPUTE_PGM_RSRC2:SCRATCH_EN: 0
; COMPUTE_PGM_RSRC2:USER_SGPR: 6
; COMPUTE_PGM_RSRC2:TRAP_HANDLER: 0
; COMPUTE_PGM_RSRC2:TGID_X_EN: 1
; COMPUTE_PGM_RSRC2:TGID_Y_EN: 0
; COMPUTE_PGM_RSRC2:TGID_Z_EN: 0
; COMPUTE_PGM_RSRC2:TIDIG_COMP_CNT: 0
	.section	.text._ZN7rocprim17ROCPRIM_400000_NS6detail17trampoline_kernelINS0_14default_configENS1_36segmented_radix_sort_config_selectorIdlEEZNS1_25segmented_radix_sort_implIS3_Lb1EPKdPdPKlPlN2at6native12_GLOBAL__N_18offset_tEEE10hipError_tPvRmT1_PNSt15iterator_traitsISK_E10value_typeET2_T3_PNSL_ISQ_E10value_typeET4_jRbjT5_SW_jjP12ihipStream_tbEUlT_E2_NS1_11comp_targetILNS1_3genE8ELNS1_11target_archE1030ELNS1_3gpuE2ELNS1_3repE0EEENS1_30default_config_static_selectorELNS0_4arch9wavefront6targetE0EEEvSK_,"axG",@progbits,_ZN7rocprim17ROCPRIM_400000_NS6detail17trampoline_kernelINS0_14default_configENS1_36segmented_radix_sort_config_selectorIdlEEZNS1_25segmented_radix_sort_implIS3_Lb1EPKdPdPKlPlN2at6native12_GLOBAL__N_18offset_tEEE10hipError_tPvRmT1_PNSt15iterator_traitsISK_E10value_typeET2_T3_PNSL_ISQ_E10value_typeET4_jRbjT5_SW_jjP12ihipStream_tbEUlT_E2_NS1_11comp_targetILNS1_3genE8ELNS1_11target_archE1030ELNS1_3gpuE2ELNS1_3repE0EEENS1_30default_config_static_selectorELNS0_4arch9wavefront6targetE0EEEvSK_,comdat
	.globl	_ZN7rocprim17ROCPRIM_400000_NS6detail17trampoline_kernelINS0_14default_configENS1_36segmented_radix_sort_config_selectorIdlEEZNS1_25segmented_radix_sort_implIS3_Lb1EPKdPdPKlPlN2at6native12_GLOBAL__N_18offset_tEEE10hipError_tPvRmT1_PNSt15iterator_traitsISK_E10value_typeET2_T3_PNSL_ISQ_E10value_typeET4_jRbjT5_SW_jjP12ihipStream_tbEUlT_E2_NS1_11comp_targetILNS1_3genE8ELNS1_11target_archE1030ELNS1_3gpuE2ELNS1_3repE0EEENS1_30default_config_static_selectorELNS0_4arch9wavefront6targetE0EEEvSK_ ; -- Begin function _ZN7rocprim17ROCPRIM_400000_NS6detail17trampoline_kernelINS0_14default_configENS1_36segmented_radix_sort_config_selectorIdlEEZNS1_25segmented_radix_sort_implIS3_Lb1EPKdPdPKlPlN2at6native12_GLOBAL__N_18offset_tEEE10hipError_tPvRmT1_PNSt15iterator_traitsISK_E10value_typeET2_T3_PNSL_ISQ_E10value_typeET4_jRbjT5_SW_jjP12ihipStream_tbEUlT_E2_NS1_11comp_targetILNS1_3genE8ELNS1_11target_archE1030ELNS1_3gpuE2ELNS1_3repE0EEENS1_30default_config_static_selectorELNS0_4arch9wavefront6targetE0EEEvSK_
	.p2align	8
	.type	_ZN7rocprim17ROCPRIM_400000_NS6detail17trampoline_kernelINS0_14default_configENS1_36segmented_radix_sort_config_selectorIdlEEZNS1_25segmented_radix_sort_implIS3_Lb1EPKdPdPKlPlN2at6native12_GLOBAL__N_18offset_tEEE10hipError_tPvRmT1_PNSt15iterator_traitsISK_E10value_typeET2_T3_PNSL_ISQ_E10value_typeET4_jRbjT5_SW_jjP12ihipStream_tbEUlT_E2_NS1_11comp_targetILNS1_3genE8ELNS1_11target_archE1030ELNS1_3gpuE2ELNS1_3repE0EEENS1_30default_config_static_selectorELNS0_4arch9wavefront6targetE0EEEvSK_,@function
_ZN7rocprim17ROCPRIM_400000_NS6detail17trampoline_kernelINS0_14default_configENS1_36segmented_radix_sort_config_selectorIdlEEZNS1_25segmented_radix_sort_implIS3_Lb1EPKdPdPKlPlN2at6native12_GLOBAL__N_18offset_tEEE10hipError_tPvRmT1_PNSt15iterator_traitsISK_E10value_typeET2_T3_PNSL_ISQ_E10value_typeET4_jRbjT5_SW_jjP12ihipStream_tbEUlT_E2_NS1_11comp_targetILNS1_3genE8ELNS1_11target_archE1030ELNS1_3gpuE2ELNS1_3repE0EEENS1_30default_config_static_selectorELNS0_4arch9wavefront6targetE0EEEvSK_: ; @_ZN7rocprim17ROCPRIM_400000_NS6detail17trampoline_kernelINS0_14default_configENS1_36segmented_radix_sort_config_selectorIdlEEZNS1_25segmented_radix_sort_implIS3_Lb1EPKdPdPKlPlN2at6native12_GLOBAL__N_18offset_tEEE10hipError_tPvRmT1_PNSt15iterator_traitsISK_E10value_typeET2_T3_PNSL_ISQ_E10value_typeET4_jRbjT5_SW_jjP12ihipStream_tbEUlT_E2_NS1_11comp_targetILNS1_3genE8ELNS1_11target_archE1030ELNS1_3gpuE2ELNS1_3repE0EEENS1_30default_config_static_selectorELNS0_4arch9wavefront6targetE0EEEvSK_
; %bb.0:
	s_add_u32 s0, s0, s8
	s_load_dwordx4 s[8:11], s[4:5], 0x34
	s_addc_u32 s1, s1, 0
	s_mov_b32 s32, 0
	s_waitcnt lgkmcnt(0)
	s_add_i32 s60, s9, s6
	s_add_i32 s61, s11, s6
	s_mul_i32 s60, s60, s8
	s_mul_i32 s61, s61, s10
	s_cmp_le_u32 s61, s60
	s_cbranch_scc1 .LBB1148_1198
; %bb.1:
	s_clause 0x3
	s_load_dword s8, s[4:5], 0x30
	s_load_dwordx4 s[48:51], s[4:5], 0x20
	s_load_dwordx4 s[52:55], s[4:5], 0x44
	s_load_dwordx8 s[40:47], s[4:5], 0x0
	s_waitcnt lgkmcnt(0)
	s_bitcmp1_b32 s8, 0
	s_mov_b32 s8, -1
	s_cselect_b32 s55, -1, 0
	s_sub_i32 s62, s61, s60
	s_cmpk_lt_u32 s62, 0x1001
	s_cbranch_scc0 .LBB1148_15
; %bb.2:
	s_cmpk_lt_u32 s62, 0x41
	s_cbranch_scc0 .LBB1148_9
; %bb.3:
	s_load_dword s8, s[4:5], 0x5c
	s_mov_b32 s23, exec_lo
	s_waitcnt lgkmcnt(0)
	s_lshr_b32 s9, s8, 16
	s_and_b32 s8, s8, 0xffff
	v_mad_u32_u24 v3, v2, s9, v1
	v_mad_u64_u32 v[3:4], null, v3, s8, v[0:1]
	v_cmpx_gt_u32_e32 8, v3
	s_cbranch_execz .LBB1148_8
; %bb.4:
	v_cndmask_b32_e64 v3, 0, 1, s55
	s_and_b32 s8, s52, 1
	v_cmp_ne_u32_e32 vcc_lo, s8, v3
	s_mov_b32 s8, -1
	s_cbranch_vccnz .LBB1148_6
; %bb.5:
	v_lshlrev_b32_e32 v3, 20, v2
	v_lshlrev_b32_e32 v4, 10, v1
	s_mov_b64 s[10:11], src_shared_base
	v_mov_b32_e32 v40, v0
	v_mov_b32_e32 v41, v1
	;; [unrolled: 1-line block ×3, first 2 shown]
	v_or3_b32 v31, v0, v4, v3
	v_mov_b32_e32 v0, s40
	v_mov_b32_e32 v42, v2
	;; [unrolled: 1-line block ×12, first 2 shown]
	s_add_u32 s8, s4, 0x50
	s_addc_u32 s9, s5, 0
	s_getpc_b64 s[14:15]
	s_add_u32 s14, s14, _ZN7rocprim17ROCPRIM_400000_NS6detail26segmented_warp_sort_helperINS1_20WarpSortHelperConfigILj8ELj8ELj256EEEdlLi256ELb1EvE4sortIPKdPdPKlPlEEvT_T0_T1_T2_jjjjRNS5_12storage_typeE@rel32@lo+4
	s_addc_u32 s15, s15, _ZN7rocprim17ROCPRIM_400000_NS6detail26segmented_warp_sort_helperINS1_20WarpSortHelperConfigILj8ELj8ELj256EEEdlLi256ELb1EvE4sortIPKdPdPKlPlEEvT_T0_T1_T2_jjjjRNS5_12storage_typeE@rel32@hi+12
	s_mov_b32 s12, s6
	s_mov_b32 s13, s7
	s_mov_b64 s[24:25], s[4:5]
	s_mov_b32 s26, s7
	s_mov_b32 s27, s6
	s_swappc_b64 s[30:31], s[14:15]
	v_mov_b32_e32 v1, v41
	v_mov_b32_e32 v2, v42
	v_mov_b32_e32 v0, v40
	s_mov_b32 s6, s27
	s_mov_b32 s7, s26
	s_mov_b64 s[4:5], s[24:25]
	s_mov_b32 s8, 0
.LBB1148_6:
	s_andn2_b32 vcc_lo, exec_lo, s8
	s_cbranch_vccnz .LBB1148_8
; %bb.7:
	v_lshlrev_b32_e32 v3, 20, v2
	v_lshlrev_b32_e32 v4, 10, v1
	s_mov_b64 s[10:11], src_shared_base
	v_mov_b32_e32 v40, v0
	v_mov_b32_e32 v41, v1
	;; [unrolled: 1-line block ×3, first 2 shown]
	v_or3_b32 v31, v0, v4, v3
	v_mov_b32_e32 v0, s40
	v_mov_b32_e32 v42, v2
	;; [unrolled: 1-line block ×12, first 2 shown]
	s_add_u32 s8, s4, 0x50
	s_addc_u32 s9, s5, 0
	s_getpc_b64 s[14:15]
	s_add_u32 s14, s14, _ZN7rocprim17ROCPRIM_400000_NS6detail26segmented_warp_sort_helperINS1_20WarpSortHelperConfigILj8ELj8ELj256EEEdlLi256ELb1EvE4sortIPKdPdPKlPlEEvT_T0_T1_T2_jjjjRNS5_12storage_typeE@rel32@lo+4
	s_addc_u32 s15, s15, _ZN7rocprim17ROCPRIM_400000_NS6detail26segmented_warp_sort_helperINS1_20WarpSortHelperConfigILj8ELj8ELj256EEEdlLi256ELb1EvE4sortIPKdPdPKlPlEEvT_T0_T1_T2_jjjjRNS5_12storage_typeE@rel32@hi+12
	s_mov_b32 s12, s6
	s_mov_b32 s13, s7
	s_mov_b64 s[24:25], s[4:5]
	s_mov_b32 s27, s7
	s_mov_b32 s26, s6
	s_swappc_b64 s[30:31], s[14:15]
	v_mov_b32_e32 v1, v41
	v_mov_b32_e32 v2, v42
	;; [unrolled: 1-line block ×3, first 2 shown]
	s_mov_b32 s6, s26
	s_mov_b32 s7, s27
	s_mov_b64 s[4:5], s[24:25]
.LBB1148_8:
	s_or_b32 exec_lo, exec_lo, s23
	s_mov_b32 s8, 0
.LBB1148_9:
	s_andn2_b32 vcc_lo, exec_lo, s8
	s_cbranch_vccnz .LBB1148_14
; %bb.10:
	v_cndmask_b32_e64 v3, 0, 1, s55
	s_and_b32 s8, s52, 1
	v_lshlrev_b32_e32 v41, 20, v2
	v_lshlrev_b32_e32 v42, 10, v1
	v_cmp_ne_u32_e32 vcc_lo, s8, v3
	s_mov_b32 s8, -1
	s_cbranch_vccnz .LBB1148_12
; %bb.11:
	s_mov_b64 s[10:11], src_shared_base
	v_or3_b32 v31, v0, v42, v41
	v_mov_b32_e32 v40, v0
	v_mov_b32_e32 v0, s40
	;; [unrolled: 1-line block ×17, first 2 shown]
	s_add_u32 s8, s4, 0x50
	s_addc_u32 s9, s5, 0
	s_getpc_b64 s[14:15]
	s_add_u32 s14, s14, _ZN7rocprim17ROCPRIM_400000_NS6detail40segmented_radix_sort_single_block_helperIdlLj256ELj16ELb1EE4sortIPKdPdPKlPlEEbT_T0_T1_T2_jjjjRNS3_12storage_typeE@rel32@lo+4
	s_addc_u32 s15, s15, _ZN7rocprim17ROCPRIM_400000_NS6detail40segmented_radix_sort_single_block_helperIdlLj256ELj16ELb1EE4sortIPKdPdPKlPlEEbT_T0_T1_T2_jjjjRNS3_12storage_typeE@rel32@hi+12
	s_mov_b32 s12, s6
	s_mov_b32 s13, s7
	s_mov_b64 s[34:35], s[4:5]
	s_mov_b32 s29, s7
	s_mov_b32 s33, s6
	s_swappc_b64 s[30:31], s[14:15]
	v_mov_b32_e32 v1, v43
	v_mov_b32_e32 v2, v44
	;; [unrolled: 1-line block ×3, first 2 shown]
	s_mov_b32 s6, s33
	s_mov_b32 s7, s29
	s_mov_b64 s[4:5], s[34:35]
	s_mov_b32 s8, 0
.LBB1148_12:
	s_andn2_b32 vcc_lo, exec_lo, s8
	s_cbranch_vccnz .LBB1148_14
; %bb.13:
	s_mov_b64 s[10:11], src_shared_base
	v_or3_b32 v31, v0, v42, v41
	v_mov_b32_e32 v40, v0
	v_mov_b32_e32 v0, s40
	;; [unrolled: 1-line block ×17, first 2 shown]
	s_add_u32 s8, s4, 0x50
	s_addc_u32 s9, s5, 0
	s_getpc_b64 s[14:15]
	s_add_u32 s14, s14, _ZN7rocprim17ROCPRIM_400000_NS6detail40segmented_radix_sort_single_block_helperIdlLj256ELj16ELb1EE4sortIPKdPdPKlPlEEbT_T0_T1_T2_jjjjRNS3_12storage_typeE@rel32@lo+4
	s_addc_u32 s15, s15, _ZN7rocprim17ROCPRIM_400000_NS6detail40segmented_radix_sort_single_block_helperIdlLj256ELj16ELb1EE4sortIPKdPdPKlPlEEbT_T0_T1_T2_jjjjRNS3_12storage_typeE@rel32@hi+12
	s_mov_b32 s12, s6
	s_mov_b32 s13, s7
	s_mov_b64 s[34:35], s[4:5]
	s_mov_b32 s33, s7
	s_mov_b32 s29, s6
	s_swappc_b64 s[30:31], s[14:15]
	v_mov_b32_e32 v1, v41
	v_mov_b32_e32 v2, v42
	;; [unrolled: 1-line block ×3, first 2 shown]
	s_mov_b32 s6, s29
	s_mov_b32 s7, s33
	s_mov_b64 s[4:5], s[34:35]
.LBB1148_14:
	s_mov_b32 s8, 0
.LBB1148_15:
	s_andn2_b32 vcc_lo, exec_lo, s8
	s_cbranch_vccnz .LBB1148_1198
; %bb.16:
	s_cmp_ge_u32 s53, s54
	s_cbranch_scc1 .LBB1148_1198
; %bb.17:
	v_and_b32_e32 v6, 0xe0, v0
	v_and_b32_e32 v5, 3, v0
	v_lshlrev_b32_e32 v73, 2, v0
	v_lshlrev_b32_e32 v3, 3, v0
	v_lshrrev_b32_e32 v8, 3, v0
	v_min_u32_e32 v7, 0x60, v6
	v_lshlrev_b32_e32 v91, 2, v5
	v_mad_u32_u24 v93, v0, 12, v73
	v_or_b32_e32 v74, 0x100, v0
	v_or_b32_e32 v77, 0x200, v0
	;; [unrolled: 1-line block ×3, first 2 shown]
	v_lshlrev_b32_e32 v7, 4, v0
	v_add_nc_u32_e32 v98, v93, v73
	v_or_b32_e32 v78, 0x300, v0
	v_or_b32_e32 v79, 0x400, v0
	v_cmp_eq_u32_e64 s9, v0, v5
	v_and_b32_e32 v97, 0xe00, v7
	v_or_b32_e32 v5, 31, v6
	v_sub_nc_u32_e32 v99, v98, v7
	v_or_b32_e32 v80, 0x500, v0
	v_and_b32_e32 v92, 28, v8
	v_lshlrev_b32_e32 v6, 3, v97
	s_add_u32 s58, s4, 0x50
	v_cmp_eq_u32_e64 s4, v0, v5
	v_add_nc_u32_e32 v5, 1, v0
	v_lshl_add_u32 v101, v0, 5, v99
	v_add_co_u32 v102, s14, s50, v6
	v_add_co_ci_u32_e64 v103, null, s51, 0, s14
	v_add_co_u32 v104, s14, s44, v6
	v_add_co_ci_u32_e64 v105, null, s45, 0, s14
	;; [unrolled: 2-line block ×6, first 2 shown]
	v_add_co_u32 v115, s14, s46, v6
	v_add_co_u32 v75, s8, s44, v3
	v_add_co_ci_u32_e64 v116, null, s47, 0, s14
	v_add_co_u32 v117, s14, s40, v6
	v_mov_b32_e32 v4, 0
	v_add_co_ci_u32_e64 v76, null, s45, 0, s8
	v_or_b32_e32 v81, 0x600, v0
	v_or_b32_e32 v82, 0x700, v0
	;; [unrolled: 1-line block ×10, first 2 shown]
	v_cmp_gt_u32_e64 s8, 0x80, v0
	v_or_b32_e32 v94, 0x8200, v92
	v_cmp_gt_u32_e64 s10, 4, v0
	v_add_nc_u32_e32 v95, 0x8200, v73
	v_cmp_lt_u32_e64 s11, 31, v0
	v_add_nc_u32_e32 v96, 0x81fc, v92
	s_addc_u32 s59, s5, 0
	v_cmp_gt_u32_e64 s5, 8, v0
	v_cmp_eq_u32_e64 s12, 0, v0
	v_mul_u32_u24_e32 v100, 36, v5
	v_cmp_ne_u32_e64 s13, 0x80, v5
	v_mad_i32_i24 v106, 0xffffffe4, v0, v101
	v_add_co_ci_u32_e64 v118, null, s41, 0, s14
	v_mov_b32_e32 v119, 1
	v_lshlrev_b32_e32 v120, 3, v0
	v_lshlrev_b32_e32 v121, 3, v74
	;; [unrolled: 1-line block ×6, first 2 shown]
	v_mbcnt_lo_u32_b32 v126, -1, 0
	s_mov_b32 s56, 0
	s_brev_b32 s57, 1
	s_mov_b32 s52, s53
	s_mov_b32 s63, s53
	s_branch .LBB1148_20
.LBB1148_18:                            ;   in Loop: Header=BB1148_20 Depth=1
	s_waitcnt lgkmcnt(0)
	s_barrier
.LBB1148_19:                            ;   in Loop: Header=BB1148_20 Depth=1
	s_add_i32 s63, s63, 7
	buffer_gl0_inv
	s_cmp_ge_u32 s63, s54
	s_cbranch_scc1 .LBB1148_1198
.LBB1148_20:                            ; =>This Loop Header: Depth=1
                                        ;     Child Loop BB1148_24 Depth 2
                                        ;     Child Loop BB1148_104 Depth 2
                                        ;     Child Loop BB1148_318 Depth 2
                                        ;     Child Loop BB1148_398 Depth 2
                                        ;     Child Loop BB1148_614 Depth 2
                                        ;     Child Loop BB1148_694 Depth 2
                                        ;     Child Loop BB1148_908 Depth 2
                                        ;     Child Loop BB1148_988 Depth 2
	s_sub_i32 s14, s54, s63
	s_xor_b32 s55, s55, -1
	s_min_u32 s64, s14, 7
	s_cmp_lg_u32 s63, s53
	s_mov_b32 s14, -1
	ds_write2st64_b32 v73, v4, v4 offset1:4
	s_waitcnt lgkmcnt(0)
	s_waitcnt_vscnt null, 0x0
	s_cbranch_scc0 .LBB1148_610
; %bb.21:                               ;   in Loop: Header=BB1148_20 Depth=1
	s_lshl_b32 s14, -1, s64
	s_and_b32 vcc_lo, exec_lo, s55
	s_not_b32 s65, s14
	s_mov_b32 s14, -1
	s_cbranch_vccz .LBB1148_315
; %bb.22:                               ;   in Loop: Header=BB1148_20 Depth=1
	s_mov_b32 s16, s62
	s_mov_b32 s14, s60
	s_barrier
	buffer_gl0_inv
                                        ; implicit-def: $vgpr5_vgpr6
                                        ; implicit-def: $vgpr7_vgpr8
                                        ; implicit-def: $vgpr9_vgpr10
                                        ; implicit-def: $vgpr11_vgpr12
                                        ; implicit-def: $vgpr13_vgpr14
                                        ; implicit-def: $vgpr15_vgpr16
                                        ; implicit-def: $vgpr17_vgpr18
                                        ; implicit-def: $vgpr19_vgpr20
                                        ; implicit-def: $vgpr21_vgpr22
                                        ; implicit-def: $vgpr23_vgpr24
                                        ; implicit-def: $vgpr25_vgpr26
                                        ; implicit-def: $vgpr27_vgpr28
                                        ; implicit-def: $vgpr29_vgpr30
                                        ; implicit-def: $vgpr31_vgpr32
                                        ; implicit-def: $vgpr33_vgpr34
                                        ; implicit-def: $vgpr35_vgpr36
	s_branch .LBB1148_24
.LBB1148_23:                            ;   in Loop: Header=BB1148_24 Depth=2
	s_or_b32 exec_lo, exec_lo, s14
	s_addk_i32 s16, 0xf000
	s_cmp_ge_u32 s17, s61
	s_mov_b32 s14, s17
	s_cbranch_scc1 .LBB1148_92
.LBB1148_24:                            ;   Parent Loop BB1148_20 Depth=1
                                        ; =>  This Inner Loop Header: Depth=2
	s_add_i32 s17, s14, 0x1000
	s_mov_b32 s15, -1
	s_cmp_gt_u32 s17, s61
                                        ; implicit-def: $vgpr47_vgpr48
                                        ; implicit-def: $vgpr51_vgpr52
                                        ; implicit-def: $vgpr55_vgpr56
                                        ; implicit-def: $vgpr37_vgpr38
                                        ; implicit-def: $vgpr39_vgpr40
                                        ; implicit-def: $vgpr41_vgpr42
                                        ; implicit-def: $vgpr43_vgpr44
                                        ; implicit-def: $vgpr45_vgpr46
                                        ; implicit-def: $vgpr49_vgpr50
                                        ; implicit-def: $vgpr53_vgpr54
                                        ; implicit-def: $vgpr57_vgpr58
                                        ; implicit-def: $vgpr59_vgpr60
                                        ; implicit-def: $vgpr61_vgpr62
                                        ; implicit-def: $vgpr63_vgpr64
                                        ; implicit-def: $vgpr65_vgpr66
                                        ; implicit-def: $vgpr67_vgpr68
	s_cbranch_scc1 .LBB1148_26
; %bb.25:                               ;   in Loop: Header=BB1148_24 Depth=2
	s_mov_b32 s15, s56
	s_lshl_b64 s[18:19], s[14:15], 3
	s_mov_b32 s15, 0
	v_add_co_u32 v47, vcc_lo, v75, s18
	v_add_co_ci_u32_e64 v48, null, s19, v76, vcc_lo
	v_add_co_u32 v55, vcc_lo, v47, 0x1000
	v_add_co_ci_u32_e64 v56, null, 0, v48, vcc_lo
	;; [unrolled: 2-line block ×6, first 2 shown]
	s_clause 0x7
	global_load_dwordx2 v[37:38], v[39:40], off offset:-2048
	global_load_dwordx2 v[39:40], v[39:40], off
	global_load_dwordx2 v[41:42], v[43:44], off offset:-2048
	global_load_dwordx2 v[43:44], v[43:44], off
	;; [unrolled: 2-line block ×4, first 2 shown]
	v_add_co_u32 v51, vcc_lo, v47, 0x6000
	v_add_co_ci_u32_e64 v52, null, 0, v48, vcc_lo
	v_add_co_u32 v65, vcc_lo, v47, 0x7000
	v_add_co_ci_u32_e64 v66, null, 0, v48, vcc_lo
	v_add_co_u32 v67, vcc_lo, 0x7800, v47
	v_add_co_ci_u32_e64 v68, null, 0, v48, vcc_lo
	s_clause 0x7
	global_load_dwordx2 v[59:60], v[51:52], off offset:-2048
	global_load_dwordx2 v[61:62], v[51:52], off
	global_load_dwordx2 v[63:64], v[65:66], off offset:-2048
	global_load_dwordx2 v[65:66], v[65:66], off
	global_load_dwordx2 v[47:48], v[47:48], off
	global_load_dwordx2 v[51:52], v[55:56], off offset:-2048
	global_load_dwordx2 v[55:56], v[55:56], off
	global_load_dwordx2 v[67:68], v[67:68], off
.LBB1148_26:                            ;   in Loop: Header=BB1148_24 Depth=2
	s_andn2_b32 vcc_lo, exec_lo, s15
	s_movk_i32 s15, 0x1000
	s_cbranch_vccnz .LBB1148_45
; %bb.27:                               ;   in Loop: Header=BB1148_24 Depth=2
	s_mov_b32 s15, s56
	s_mov_b32 s18, exec_lo
	s_lshl_b64 s[14:15], s[14:15], 3
	s_add_u32 s14, s44, s14
	s_addc_u32 s15, s45, s15
	v_cmpx_gt_u32_e64 s16, v0
	s_cbranch_execnz .LBB1148_77
; %bb.28:                               ;   in Loop: Header=BB1148_24 Depth=2
	s_or_b32 exec_lo, exec_lo, s18
	s_mov_b32 s18, exec_lo
	v_cmpx_gt_u32_e64 s16, v74
	s_cbranch_execnz .LBB1148_78
.LBB1148_29:                            ;   in Loop: Header=BB1148_24 Depth=2
	s_or_b32 exec_lo, exec_lo, s18
	s_mov_b32 s18, exec_lo
	v_cmpx_gt_u32_e64 s16, v77
	s_cbranch_execnz .LBB1148_79
.LBB1148_30:                            ;   in Loop: Header=BB1148_24 Depth=2
	s_or_b32 exec_lo, exec_lo, s18
	s_mov_b32 s18, exec_lo
	v_cmpx_gt_u32_e64 s16, v78
	s_cbranch_execnz .LBB1148_80
.LBB1148_31:                            ;   in Loop: Header=BB1148_24 Depth=2
	s_or_b32 exec_lo, exec_lo, s18
	s_mov_b32 s18, exec_lo
	v_cmpx_gt_u32_e64 s16, v79
	s_cbranch_execnz .LBB1148_81
.LBB1148_32:                            ;   in Loop: Header=BB1148_24 Depth=2
	s_or_b32 exec_lo, exec_lo, s18
	s_mov_b32 s18, exec_lo
	v_cmpx_gt_u32_e64 s16, v80
	s_cbranch_execnz .LBB1148_82
.LBB1148_33:                            ;   in Loop: Header=BB1148_24 Depth=2
	s_or_b32 exec_lo, exec_lo, s18
	s_mov_b32 s18, exec_lo
	v_cmpx_gt_u32_e64 s16, v81
	s_cbranch_execnz .LBB1148_83
.LBB1148_34:                            ;   in Loop: Header=BB1148_24 Depth=2
	s_or_b32 exec_lo, exec_lo, s18
	s_mov_b32 s18, exec_lo
	v_cmpx_gt_u32_e64 s16, v82
	s_cbranch_execnz .LBB1148_84
.LBB1148_35:                            ;   in Loop: Header=BB1148_24 Depth=2
	s_or_b32 exec_lo, exec_lo, s18
	s_mov_b32 s18, exec_lo
	v_cmpx_gt_u32_e64 s16, v83
	s_cbranch_execnz .LBB1148_85
.LBB1148_36:                            ;   in Loop: Header=BB1148_24 Depth=2
	s_or_b32 exec_lo, exec_lo, s18
	s_mov_b32 s18, exec_lo
	v_cmpx_gt_u32_e64 s16, v84
	s_cbranch_execnz .LBB1148_86
.LBB1148_37:                            ;   in Loop: Header=BB1148_24 Depth=2
	s_or_b32 exec_lo, exec_lo, s18
	s_mov_b32 s18, exec_lo
	v_cmpx_gt_u32_e64 s16, v85
	s_cbranch_execnz .LBB1148_87
.LBB1148_38:                            ;   in Loop: Header=BB1148_24 Depth=2
	s_or_b32 exec_lo, exec_lo, s18
	s_mov_b32 s18, exec_lo
	v_cmpx_gt_u32_e64 s16, v86
	s_cbranch_execnz .LBB1148_88
.LBB1148_39:                            ;   in Loop: Header=BB1148_24 Depth=2
	s_or_b32 exec_lo, exec_lo, s18
	s_mov_b32 s18, exec_lo
	v_cmpx_gt_u32_e64 s16, v87
	s_cbranch_execnz .LBB1148_89
.LBB1148_40:                            ;   in Loop: Header=BB1148_24 Depth=2
	s_or_b32 exec_lo, exec_lo, s18
	s_mov_b32 s18, exec_lo
	v_cmpx_gt_u32_e64 s16, v88
	s_cbranch_execnz .LBB1148_90
.LBB1148_41:                            ;   in Loop: Header=BB1148_24 Depth=2
	s_or_b32 exec_lo, exec_lo, s18
	s_mov_b32 s18, exec_lo
	v_cmpx_gt_u32_e64 s16, v89
	s_cbranch_execnz .LBB1148_91
.LBB1148_42:                            ;   in Loop: Header=BB1148_24 Depth=2
	s_or_b32 exec_lo, exec_lo, s18
	s_mov_b32 s18, exec_lo
	v_cmpx_gt_u32_e64 s16, v90
	s_cbranch_execz .LBB1148_44
.LBB1148_43:                            ;   in Loop: Header=BB1148_24 Depth=2
	v_lshlrev_b32_e32 v3, 3, v90
	global_load_dwordx2 v[5:6], v3, s[14:15]
.LBB1148_44:                            ;   in Loop: Header=BB1148_24 Depth=2
	s_or_b32 exec_lo, exec_lo, s18
	s_waitcnt vmcnt(0)
	v_mov_b32_e32 v48, v36
	v_mov_b32_e32 v52, v34
	;; [unrolled: 1-line block ×32, first 2 shown]
	s_mov_b32 s15, s16
.LBB1148_45:                            ;   in Loop: Header=BB1148_24 Depth=2
	s_waitcnt vmcnt(0)
	v_mov_b32_e32 v5, v67
	v_mov_b32_e32 v7, v65
	;; [unrolled: 1-line block ×32, first 2 shown]
	s_mov_b32 s14, exec_lo
	v_cmpx_gt_u32_e64 s15, v0
	s_cbranch_execnz .LBB1148_61
; %bb.46:                               ;   in Loop: Header=BB1148_24 Depth=2
	s_or_b32 exec_lo, exec_lo, s14
	s_mov_b32 s14, exec_lo
	v_cmpx_gt_u32_e64 s15, v74
	s_cbranch_execnz .LBB1148_62
.LBB1148_47:                            ;   in Loop: Header=BB1148_24 Depth=2
	s_or_b32 exec_lo, exec_lo, s14
	s_mov_b32 s14, exec_lo
	v_cmpx_gt_u32_e64 s15, v77
	s_cbranch_execnz .LBB1148_63
.LBB1148_48:                            ;   in Loop: Header=BB1148_24 Depth=2
	s_or_b32 exec_lo, exec_lo, s14
	s_mov_b32 s14, exec_lo
	v_cmpx_gt_u32_e64 s15, v78
	s_cbranch_execnz .LBB1148_64
.LBB1148_49:                            ;   in Loop: Header=BB1148_24 Depth=2
	s_or_b32 exec_lo, exec_lo, s14
	s_mov_b32 s14, exec_lo
	v_cmpx_gt_u32_e64 s15, v79
	s_cbranch_execnz .LBB1148_65
.LBB1148_50:                            ;   in Loop: Header=BB1148_24 Depth=2
	s_or_b32 exec_lo, exec_lo, s14
	s_mov_b32 s14, exec_lo
	v_cmpx_gt_u32_e64 s15, v80
	s_cbranch_execnz .LBB1148_66
.LBB1148_51:                            ;   in Loop: Header=BB1148_24 Depth=2
	s_or_b32 exec_lo, exec_lo, s14
	s_mov_b32 s14, exec_lo
	v_cmpx_gt_u32_e64 s15, v81
	s_cbranch_execnz .LBB1148_67
.LBB1148_52:                            ;   in Loop: Header=BB1148_24 Depth=2
	s_or_b32 exec_lo, exec_lo, s14
	s_mov_b32 s14, exec_lo
	v_cmpx_gt_u32_e64 s15, v82
	s_cbranch_execnz .LBB1148_68
.LBB1148_53:                            ;   in Loop: Header=BB1148_24 Depth=2
	s_or_b32 exec_lo, exec_lo, s14
	s_mov_b32 s14, exec_lo
	v_cmpx_gt_u32_e64 s15, v83
	s_cbranch_execnz .LBB1148_69
.LBB1148_54:                            ;   in Loop: Header=BB1148_24 Depth=2
	s_or_b32 exec_lo, exec_lo, s14
	s_mov_b32 s14, exec_lo
	v_cmpx_gt_u32_e64 s15, v84
	s_cbranch_execnz .LBB1148_70
.LBB1148_55:                            ;   in Loop: Header=BB1148_24 Depth=2
	s_or_b32 exec_lo, exec_lo, s14
	s_mov_b32 s14, exec_lo
	v_cmpx_gt_u32_e64 s15, v85
	s_cbranch_execnz .LBB1148_71
.LBB1148_56:                            ;   in Loop: Header=BB1148_24 Depth=2
	s_or_b32 exec_lo, exec_lo, s14
	s_mov_b32 s14, exec_lo
	v_cmpx_gt_u32_e64 s15, v86
	s_cbranch_execnz .LBB1148_72
.LBB1148_57:                            ;   in Loop: Header=BB1148_24 Depth=2
	s_or_b32 exec_lo, exec_lo, s14
	s_mov_b32 s14, exec_lo
	v_cmpx_gt_u32_e64 s15, v87
	s_cbranch_execnz .LBB1148_73
.LBB1148_58:                            ;   in Loop: Header=BB1148_24 Depth=2
	s_or_b32 exec_lo, exec_lo, s14
	s_mov_b32 s14, exec_lo
	v_cmpx_gt_u32_e64 s15, v88
	s_cbranch_execnz .LBB1148_74
.LBB1148_59:                            ;   in Loop: Header=BB1148_24 Depth=2
	s_or_b32 exec_lo, exec_lo, s14
	s_mov_b32 s14, exec_lo
	v_cmpx_gt_u32_e64 s15, v89
	s_cbranch_execnz .LBB1148_75
.LBB1148_60:                            ;   in Loop: Header=BB1148_24 Depth=2
	s_or_b32 exec_lo, exec_lo, s14
	s_mov_b32 s14, exec_lo
	v_cmpx_gt_u32_e64 s15, v90
	s_cbranch_execz .LBB1148_23
	s_branch .LBB1148_76
.LBB1148_61:                            ;   in Loop: Header=BB1148_24 Depth=2
	v_cmp_gt_i64_e32 vcc_lo, 0, v[35:36]
	v_ashrrev_i32_e32 v3, 31, v36
	v_not_b32_e32 v3, v3
	v_cndmask_b32_e64 v37, 0x7fffffff, 0, vcc_lo
	v_xor_b32_e32 v38, v37, v36
	v_xor_b32_e32 v37, v3, v35
	v_cmp_ne_u64_e32 vcc_lo, s[56:57], v[37:38]
	v_cndmask_b32_e32 v38, 0x7fffffff, v38, vcc_lo
	v_cndmask_b32_e32 v37, -1, v37, vcc_lo
	v_lshrrev_b64 v[37:38], s63, v[37:38]
	v_and_b32_e32 v3, s65, v37
	v_lshl_or_b32 v3, v3, 4, v91
	ds_add_u32 v3, v119
	s_or_b32 exec_lo, exec_lo, s14
	s_mov_b32 s14, exec_lo
	v_cmpx_gt_u32_e64 s15, v74
	s_cbranch_execz .LBB1148_47
.LBB1148_62:                            ;   in Loop: Header=BB1148_24 Depth=2
	v_cmp_gt_i64_e32 vcc_lo, 0, v[33:34]
	v_ashrrev_i32_e32 v3, 31, v34
	v_not_b32_e32 v3, v3
	v_cndmask_b32_e64 v37, 0x7fffffff, 0, vcc_lo
	v_xor_b32_e32 v38, v37, v34
	v_xor_b32_e32 v37, v3, v33
	v_cmp_ne_u64_e32 vcc_lo, s[56:57], v[37:38]
	v_cndmask_b32_e32 v38, 0x7fffffff, v38, vcc_lo
	v_cndmask_b32_e32 v37, -1, v37, vcc_lo
	v_lshrrev_b64 v[37:38], s63, v[37:38]
	v_and_b32_e32 v3, s65, v37
	v_lshl_or_b32 v3, v3, 4, v91
	ds_add_u32 v3, v119
	s_or_b32 exec_lo, exec_lo, s14
	s_mov_b32 s14, exec_lo
	v_cmpx_gt_u32_e64 s15, v77
	s_cbranch_execz .LBB1148_48
.LBB1148_63:                            ;   in Loop: Header=BB1148_24 Depth=2
	v_cmp_gt_i64_e32 vcc_lo, 0, v[31:32]
	v_ashrrev_i32_e32 v3, 31, v32
	v_not_b32_e32 v3, v3
	v_cndmask_b32_e64 v37, 0x7fffffff, 0, vcc_lo
	v_xor_b32_e32 v38, v37, v32
	v_xor_b32_e32 v37, v3, v31
	v_cmp_ne_u64_e32 vcc_lo, s[56:57], v[37:38]
	v_cndmask_b32_e32 v38, 0x7fffffff, v38, vcc_lo
	v_cndmask_b32_e32 v37, -1, v37, vcc_lo
	v_lshrrev_b64 v[37:38], s63, v[37:38]
	v_and_b32_e32 v3, s65, v37
	v_lshl_or_b32 v3, v3, 4, v91
	ds_add_u32 v3, v119
	s_or_b32 exec_lo, exec_lo, s14
	s_mov_b32 s14, exec_lo
	v_cmpx_gt_u32_e64 s15, v78
	s_cbranch_execz .LBB1148_49
.LBB1148_64:                            ;   in Loop: Header=BB1148_24 Depth=2
	v_cmp_gt_i64_e32 vcc_lo, 0, v[29:30]
	v_ashrrev_i32_e32 v3, 31, v30
	v_not_b32_e32 v3, v3
	v_cndmask_b32_e64 v37, 0x7fffffff, 0, vcc_lo
	v_xor_b32_e32 v38, v37, v30
	v_xor_b32_e32 v37, v3, v29
	v_cmp_ne_u64_e32 vcc_lo, s[56:57], v[37:38]
	v_cndmask_b32_e32 v38, 0x7fffffff, v38, vcc_lo
	v_cndmask_b32_e32 v37, -1, v37, vcc_lo
	v_lshrrev_b64 v[37:38], s63, v[37:38]
	v_and_b32_e32 v3, s65, v37
	v_lshl_or_b32 v3, v3, 4, v91
	ds_add_u32 v3, v119
	s_or_b32 exec_lo, exec_lo, s14
	s_mov_b32 s14, exec_lo
	v_cmpx_gt_u32_e64 s15, v79
	s_cbranch_execz .LBB1148_50
.LBB1148_65:                            ;   in Loop: Header=BB1148_24 Depth=2
	v_cmp_gt_i64_e32 vcc_lo, 0, v[27:28]
	v_ashrrev_i32_e32 v3, 31, v28
	v_not_b32_e32 v3, v3
	v_cndmask_b32_e64 v37, 0x7fffffff, 0, vcc_lo
	v_xor_b32_e32 v38, v37, v28
	v_xor_b32_e32 v37, v3, v27
	v_cmp_ne_u64_e32 vcc_lo, s[56:57], v[37:38]
	v_cndmask_b32_e32 v38, 0x7fffffff, v38, vcc_lo
	v_cndmask_b32_e32 v37, -1, v37, vcc_lo
	v_lshrrev_b64 v[37:38], s63, v[37:38]
	v_and_b32_e32 v3, s65, v37
	v_lshl_or_b32 v3, v3, 4, v91
	ds_add_u32 v3, v119
	s_or_b32 exec_lo, exec_lo, s14
	s_mov_b32 s14, exec_lo
	v_cmpx_gt_u32_e64 s15, v80
	s_cbranch_execz .LBB1148_51
.LBB1148_66:                            ;   in Loop: Header=BB1148_24 Depth=2
	v_cmp_gt_i64_e32 vcc_lo, 0, v[25:26]
	v_ashrrev_i32_e32 v3, 31, v26
	v_not_b32_e32 v3, v3
	v_cndmask_b32_e64 v37, 0x7fffffff, 0, vcc_lo
	v_xor_b32_e32 v38, v37, v26
	v_xor_b32_e32 v37, v3, v25
	v_cmp_ne_u64_e32 vcc_lo, s[56:57], v[37:38]
	v_cndmask_b32_e32 v38, 0x7fffffff, v38, vcc_lo
	v_cndmask_b32_e32 v37, -1, v37, vcc_lo
	v_lshrrev_b64 v[37:38], s63, v[37:38]
	v_and_b32_e32 v3, s65, v37
	v_lshl_or_b32 v3, v3, 4, v91
	ds_add_u32 v3, v119
	s_or_b32 exec_lo, exec_lo, s14
	s_mov_b32 s14, exec_lo
	v_cmpx_gt_u32_e64 s15, v81
	s_cbranch_execz .LBB1148_52
.LBB1148_67:                            ;   in Loop: Header=BB1148_24 Depth=2
	v_cmp_gt_i64_e32 vcc_lo, 0, v[23:24]
	v_ashrrev_i32_e32 v3, 31, v24
	v_not_b32_e32 v3, v3
	v_cndmask_b32_e64 v37, 0x7fffffff, 0, vcc_lo
	v_xor_b32_e32 v38, v37, v24
	v_xor_b32_e32 v37, v3, v23
	v_cmp_ne_u64_e32 vcc_lo, s[56:57], v[37:38]
	v_cndmask_b32_e32 v38, 0x7fffffff, v38, vcc_lo
	v_cndmask_b32_e32 v37, -1, v37, vcc_lo
	v_lshrrev_b64 v[37:38], s63, v[37:38]
	v_and_b32_e32 v3, s65, v37
	v_lshl_or_b32 v3, v3, 4, v91
	ds_add_u32 v3, v119
	s_or_b32 exec_lo, exec_lo, s14
	s_mov_b32 s14, exec_lo
	v_cmpx_gt_u32_e64 s15, v82
	s_cbranch_execz .LBB1148_53
.LBB1148_68:                            ;   in Loop: Header=BB1148_24 Depth=2
	v_cmp_gt_i64_e32 vcc_lo, 0, v[21:22]
	v_ashrrev_i32_e32 v3, 31, v22
	v_not_b32_e32 v3, v3
	v_cndmask_b32_e64 v37, 0x7fffffff, 0, vcc_lo
	v_xor_b32_e32 v38, v37, v22
	v_xor_b32_e32 v37, v3, v21
	v_cmp_ne_u64_e32 vcc_lo, s[56:57], v[37:38]
	v_cndmask_b32_e32 v38, 0x7fffffff, v38, vcc_lo
	v_cndmask_b32_e32 v37, -1, v37, vcc_lo
	v_lshrrev_b64 v[37:38], s63, v[37:38]
	v_and_b32_e32 v3, s65, v37
	v_lshl_or_b32 v3, v3, 4, v91
	ds_add_u32 v3, v119
	s_or_b32 exec_lo, exec_lo, s14
	s_mov_b32 s14, exec_lo
	v_cmpx_gt_u32_e64 s15, v83
	s_cbranch_execz .LBB1148_54
.LBB1148_69:                            ;   in Loop: Header=BB1148_24 Depth=2
	v_cmp_gt_i64_e32 vcc_lo, 0, v[19:20]
	v_ashrrev_i32_e32 v3, 31, v20
	v_not_b32_e32 v3, v3
	v_cndmask_b32_e64 v37, 0x7fffffff, 0, vcc_lo
	v_xor_b32_e32 v38, v37, v20
	v_xor_b32_e32 v37, v3, v19
	v_cmp_ne_u64_e32 vcc_lo, s[56:57], v[37:38]
	v_cndmask_b32_e32 v38, 0x7fffffff, v38, vcc_lo
	v_cndmask_b32_e32 v37, -1, v37, vcc_lo
	v_lshrrev_b64 v[37:38], s63, v[37:38]
	v_and_b32_e32 v3, s65, v37
	v_lshl_or_b32 v3, v3, 4, v91
	ds_add_u32 v3, v119
	s_or_b32 exec_lo, exec_lo, s14
	s_mov_b32 s14, exec_lo
	v_cmpx_gt_u32_e64 s15, v84
	s_cbranch_execz .LBB1148_55
.LBB1148_70:                            ;   in Loop: Header=BB1148_24 Depth=2
	v_cmp_gt_i64_e32 vcc_lo, 0, v[17:18]
	v_ashrrev_i32_e32 v3, 31, v18
	v_not_b32_e32 v3, v3
	v_cndmask_b32_e64 v37, 0x7fffffff, 0, vcc_lo
	v_xor_b32_e32 v38, v37, v18
	v_xor_b32_e32 v37, v3, v17
	v_cmp_ne_u64_e32 vcc_lo, s[56:57], v[37:38]
	v_cndmask_b32_e32 v38, 0x7fffffff, v38, vcc_lo
	v_cndmask_b32_e32 v37, -1, v37, vcc_lo
	v_lshrrev_b64 v[37:38], s63, v[37:38]
	v_and_b32_e32 v3, s65, v37
	v_lshl_or_b32 v3, v3, 4, v91
	ds_add_u32 v3, v119
	s_or_b32 exec_lo, exec_lo, s14
	s_mov_b32 s14, exec_lo
	v_cmpx_gt_u32_e64 s15, v85
	s_cbranch_execz .LBB1148_56
.LBB1148_71:                            ;   in Loop: Header=BB1148_24 Depth=2
	v_cmp_gt_i64_e32 vcc_lo, 0, v[15:16]
	v_ashrrev_i32_e32 v3, 31, v16
	v_not_b32_e32 v3, v3
	v_cndmask_b32_e64 v37, 0x7fffffff, 0, vcc_lo
	v_xor_b32_e32 v38, v37, v16
	v_xor_b32_e32 v37, v3, v15
	v_cmp_ne_u64_e32 vcc_lo, s[56:57], v[37:38]
	v_cndmask_b32_e32 v38, 0x7fffffff, v38, vcc_lo
	v_cndmask_b32_e32 v37, -1, v37, vcc_lo
	v_lshrrev_b64 v[37:38], s63, v[37:38]
	v_and_b32_e32 v3, s65, v37
	v_lshl_or_b32 v3, v3, 4, v91
	ds_add_u32 v3, v119
	s_or_b32 exec_lo, exec_lo, s14
	s_mov_b32 s14, exec_lo
	v_cmpx_gt_u32_e64 s15, v86
	s_cbranch_execz .LBB1148_57
.LBB1148_72:                            ;   in Loop: Header=BB1148_24 Depth=2
	v_cmp_gt_i64_e32 vcc_lo, 0, v[13:14]
	v_ashrrev_i32_e32 v3, 31, v14
	v_not_b32_e32 v3, v3
	v_cndmask_b32_e64 v37, 0x7fffffff, 0, vcc_lo
	v_xor_b32_e32 v38, v37, v14
	v_xor_b32_e32 v37, v3, v13
	v_cmp_ne_u64_e32 vcc_lo, s[56:57], v[37:38]
	v_cndmask_b32_e32 v38, 0x7fffffff, v38, vcc_lo
	v_cndmask_b32_e32 v37, -1, v37, vcc_lo
	v_lshrrev_b64 v[37:38], s63, v[37:38]
	v_and_b32_e32 v3, s65, v37
	v_lshl_or_b32 v3, v3, 4, v91
	ds_add_u32 v3, v119
	s_or_b32 exec_lo, exec_lo, s14
	s_mov_b32 s14, exec_lo
	v_cmpx_gt_u32_e64 s15, v87
	s_cbranch_execz .LBB1148_58
.LBB1148_73:                            ;   in Loop: Header=BB1148_24 Depth=2
	v_cmp_gt_i64_e32 vcc_lo, 0, v[11:12]
	v_ashrrev_i32_e32 v3, 31, v12
	v_not_b32_e32 v3, v3
	v_cndmask_b32_e64 v37, 0x7fffffff, 0, vcc_lo
	v_xor_b32_e32 v38, v37, v12
	v_xor_b32_e32 v37, v3, v11
	v_cmp_ne_u64_e32 vcc_lo, s[56:57], v[37:38]
	v_cndmask_b32_e32 v38, 0x7fffffff, v38, vcc_lo
	v_cndmask_b32_e32 v37, -1, v37, vcc_lo
	v_lshrrev_b64 v[37:38], s63, v[37:38]
	v_and_b32_e32 v3, s65, v37
	v_lshl_or_b32 v3, v3, 4, v91
	ds_add_u32 v3, v119
	s_or_b32 exec_lo, exec_lo, s14
	s_mov_b32 s14, exec_lo
	v_cmpx_gt_u32_e64 s15, v88
	s_cbranch_execz .LBB1148_59
.LBB1148_74:                            ;   in Loop: Header=BB1148_24 Depth=2
	v_cmp_gt_i64_e32 vcc_lo, 0, v[9:10]
	v_ashrrev_i32_e32 v3, 31, v10
	v_not_b32_e32 v3, v3
	v_cndmask_b32_e64 v37, 0x7fffffff, 0, vcc_lo
	v_xor_b32_e32 v38, v37, v10
	v_xor_b32_e32 v37, v3, v9
	v_cmp_ne_u64_e32 vcc_lo, s[56:57], v[37:38]
	v_cndmask_b32_e32 v38, 0x7fffffff, v38, vcc_lo
	v_cndmask_b32_e32 v37, -1, v37, vcc_lo
	v_lshrrev_b64 v[37:38], s63, v[37:38]
	v_and_b32_e32 v3, s65, v37
	v_lshl_or_b32 v3, v3, 4, v91
	ds_add_u32 v3, v119
	s_or_b32 exec_lo, exec_lo, s14
	s_mov_b32 s14, exec_lo
	v_cmpx_gt_u32_e64 s15, v89
	s_cbranch_execz .LBB1148_60
.LBB1148_75:                            ;   in Loop: Header=BB1148_24 Depth=2
	v_cmp_gt_i64_e32 vcc_lo, 0, v[7:8]
	v_ashrrev_i32_e32 v3, 31, v8
	v_not_b32_e32 v3, v3
	v_cndmask_b32_e64 v37, 0x7fffffff, 0, vcc_lo
	v_xor_b32_e32 v38, v37, v8
	v_xor_b32_e32 v37, v3, v7
	v_cmp_ne_u64_e32 vcc_lo, s[56:57], v[37:38]
	v_cndmask_b32_e32 v38, 0x7fffffff, v38, vcc_lo
	v_cndmask_b32_e32 v37, -1, v37, vcc_lo
	v_lshrrev_b64 v[37:38], s63, v[37:38]
	v_and_b32_e32 v3, s65, v37
	v_lshl_or_b32 v3, v3, 4, v91
	ds_add_u32 v3, v119
	s_or_b32 exec_lo, exec_lo, s14
	s_mov_b32 s14, exec_lo
	v_cmpx_gt_u32_e64 s15, v90
	s_cbranch_execz .LBB1148_23
.LBB1148_76:                            ;   in Loop: Header=BB1148_24 Depth=2
	v_cmp_gt_i64_e32 vcc_lo, 0, v[5:6]
	v_ashrrev_i32_e32 v3, 31, v6
	v_not_b32_e32 v3, v3
	v_cndmask_b32_e64 v37, 0x7fffffff, 0, vcc_lo
	v_xor_b32_e32 v38, v37, v6
	v_xor_b32_e32 v37, v3, v5
	v_cmp_ne_u64_e32 vcc_lo, s[56:57], v[37:38]
	v_cndmask_b32_e32 v38, 0x7fffffff, v38, vcc_lo
	v_cndmask_b32_e32 v37, -1, v37, vcc_lo
	v_lshrrev_b64 v[37:38], s63, v[37:38]
	v_and_b32_e32 v3, s65, v37
	v_lshl_or_b32 v3, v3, 4, v91
	ds_add_u32 v3, v119
	s_branch .LBB1148_23
.LBB1148_77:                            ;   in Loop: Header=BB1148_24 Depth=2
	global_load_dwordx2 v[35:36], v120, s[14:15]
	s_or_b32 exec_lo, exec_lo, s18
	s_mov_b32 s18, exec_lo
	v_cmpx_gt_u32_e64 s16, v74
	s_cbranch_execz .LBB1148_29
.LBB1148_78:                            ;   in Loop: Header=BB1148_24 Depth=2
	global_load_dwordx2 v[33:34], v121, s[14:15]
	s_or_b32 exec_lo, exec_lo, s18
	s_mov_b32 s18, exec_lo
	v_cmpx_gt_u32_e64 s16, v77
	s_cbranch_execz .LBB1148_30
.LBB1148_79:                            ;   in Loop: Header=BB1148_24 Depth=2
	global_load_dwordx2 v[31:32], v122, s[14:15]
	s_or_b32 exec_lo, exec_lo, s18
	s_mov_b32 s18, exec_lo
	v_cmpx_gt_u32_e64 s16, v78
	s_cbranch_execz .LBB1148_31
.LBB1148_80:                            ;   in Loop: Header=BB1148_24 Depth=2
	global_load_dwordx2 v[29:30], v123, s[14:15]
	s_or_b32 exec_lo, exec_lo, s18
	s_mov_b32 s18, exec_lo
	v_cmpx_gt_u32_e64 s16, v79
	s_cbranch_execz .LBB1148_32
.LBB1148_81:                            ;   in Loop: Header=BB1148_24 Depth=2
	global_load_dwordx2 v[27:28], v124, s[14:15]
	s_or_b32 exec_lo, exec_lo, s18
	s_mov_b32 s18, exec_lo
	v_cmpx_gt_u32_e64 s16, v80
	s_cbranch_execz .LBB1148_33
.LBB1148_82:                            ;   in Loop: Header=BB1148_24 Depth=2
	global_load_dwordx2 v[25:26], v125, s[14:15]
	s_or_b32 exec_lo, exec_lo, s18
	s_mov_b32 s18, exec_lo
	v_cmpx_gt_u32_e64 s16, v81
	s_cbranch_execz .LBB1148_34
.LBB1148_83:                            ;   in Loop: Header=BB1148_24 Depth=2
	v_lshlrev_b32_e32 v3, 3, v81
	global_load_dwordx2 v[23:24], v3, s[14:15]
	s_or_b32 exec_lo, exec_lo, s18
	s_mov_b32 s18, exec_lo
	v_cmpx_gt_u32_e64 s16, v82
	s_cbranch_execz .LBB1148_35
.LBB1148_84:                            ;   in Loop: Header=BB1148_24 Depth=2
	v_lshlrev_b32_e32 v3, 3, v82
	global_load_dwordx2 v[21:22], v3, s[14:15]
	s_or_b32 exec_lo, exec_lo, s18
	s_mov_b32 s18, exec_lo
	v_cmpx_gt_u32_e64 s16, v83
	s_cbranch_execz .LBB1148_36
.LBB1148_85:                            ;   in Loop: Header=BB1148_24 Depth=2
	v_lshlrev_b32_e32 v3, 3, v83
	global_load_dwordx2 v[19:20], v3, s[14:15]
	s_or_b32 exec_lo, exec_lo, s18
	s_mov_b32 s18, exec_lo
	v_cmpx_gt_u32_e64 s16, v84
	s_cbranch_execz .LBB1148_37
.LBB1148_86:                            ;   in Loop: Header=BB1148_24 Depth=2
	v_lshlrev_b32_e32 v3, 3, v84
	global_load_dwordx2 v[17:18], v3, s[14:15]
	s_or_b32 exec_lo, exec_lo, s18
	s_mov_b32 s18, exec_lo
	v_cmpx_gt_u32_e64 s16, v85
	s_cbranch_execz .LBB1148_38
.LBB1148_87:                            ;   in Loop: Header=BB1148_24 Depth=2
	v_lshlrev_b32_e32 v3, 3, v85
	global_load_dwordx2 v[15:16], v3, s[14:15]
	s_or_b32 exec_lo, exec_lo, s18
	s_mov_b32 s18, exec_lo
	v_cmpx_gt_u32_e64 s16, v86
	s_cbranch_execz .LBB1148_39
.LBB1148_88:                            ;   in Loop: Header=BB1148_24 Depth=2
	v_lshlrev_b32_e32 v3, 3, v86
	global_load_dwordx2 v[13:14], v3, s[14:15]
	s_or_b32 exec_lo, exec_lo, s18
	s_mov_b32 s18, exec_lo
	v_cmpx_gt_u32_e64 s16, v87
	s_cbranch_execz .LBB1148_40
.LBB1148_89:                            ;   in Loop: Header=BB1148_24 Depth=2
	v_lshlrev_b32_e32 v3, 3, v87
	global_load_dwordx2 v[11:12], v3, s[14:15]
	s_or_b32 exec_lo, exec_lo, s18
	s_mov_b32 s18, exec_lo
	v_cmpx_gt_u32_e64 s16, v88
	s_cbranch_execz .LBB1148_41
.LBB1148_90:                            ;   in Loop: Header=BB1148_24 Depth=2
	v_lshlrev_b32_e32 v3, 3, v88
	global_load_dwordx2 v[9:10], v3, s[14:15]
	s_or_b32 exec_lo, exec_lo, s18
	s_mov_b32 s18, exec_lo
	v_cmpx_gt_u32_e64 s16, v89
	s_cbranch_execz .LBB1148_42
.LBB1148_91:                            ;   in Loop: Header=BB1148_24 Depth=2
	v_lshlrev_b32_e32 v3, 3, v89
	global_load_dwordx2 v[7:8], v3, s[14:15]
	s_or_b32 exec_lo, exec_lo, s18
	s_mov_b32 s18, exec_lo
	v_cmpx_gt_u32_e64 s16, v90
	s_cbranch_execnz .LBB1148_43
	s_branch .LBB1148_44
.LBB1148_92:                            ;   in Loop: Header=BB1148_20 Depth=1
	v_mov_b32_e32 v3, 0
	s_waitcnt lgkmcnt(0)
	s_barrier
	buffer_gl0_inv
	s_and_saveexec_b32 s14, s8
	s_cbranch_execz .LBB1148_94
; %bb.93:                               ;   in Loop: Header=BB1148_20 Depth=1
	ds_read2_b64 v[5:8], v93 offset1:1
	s_waitcnt lgkmcnt(0)
	v_add_nc_u32_e32 v3, v6, v5
	v_add3_u32 v3, v3, v7, v8
.LBB1148_94:                            ;   in Loop: Header=BB1148_20 Depth=1
	s_or_b32 exec_lo, exec_lo, s14
	v_and_b32_e32 v5, 15, v126
	v_mov_b32_dpp v6, v3 row_shr:1 row_mask:0xf bank_mask:0xf
	v_and_b32_e32 v7, 16, v126
	v_cmp_eq_u32_e64 s14, 0, v5
	v_cmp_lt_u32_e64 s15, 1, v5
	v_cmp_lt_u32_e64 s16, 3, v5
	;; [unrolled: 1-line block ×3, first 2 shown]
	v_cmp_eq_u32_e64 s18, 0, v7
	v_cndmask_b32_e64 v6, v6, 0, s14
	v_add_nc_u32_e32 v3, v6, v3
	v_mov_b32_dpp v6, v3 row_shr:2 row_mask:0xf bank_mask:0xf
	v_cndmask_b32_e64 v6, 0, v6, s15
	v_add_nc_u32_e32 v3, v3, v6
	v_mov_b32_dpp v6, v3 row_shr:4 row_mask:0xf bank_mask:0xf
	;; [unrolled: 3-line block ×3, first 2 shown]
	v_cndmask_b32_e64 v5, 0, v6, s17
	v_bfe_i32 v6, v126, 4, 1
	v_add_nc_u32_e32 v3, v3, v5
	ds_swizzle_b32 v5, v3 offset:swizzle(BROADCAST,32,15)
	s_waitcnt lgkmcnt(0)
	v_and_b32_e32 v5, v6, v5
	v_add_nc_u32_e32 v3, v3, v5
	s_and_saveexec_b32 s19, s9
; %bb.95:                               ;   in Loop: Header=BB1148_20 Depth=1
	ds_write_b32 v94, v3
; %bb.96:                               ;   in Loop: Header=BB1148_20 Depth=1
	s_or_b32 exec_lo, exec_lo, s19
	s_waitcnt lgkmcnt(0)
	s_barrier
	buffer_gl0_inv
	s_and_saveexec_b32 s19, s10
	s_cbranch_execz .LBB1148_98
; %bb.97:                               ;   in Loop: Header=BB1148_20 Depth=1
	ds_read_b32 v5, v95
	v_and_b32_e32 v6, 3, v126
	v_cmp_ne_u32_e32 vcc_lo, 0, v6
	s_waitcnt lgkmcnt(0)
	v_mov_b32_dpp v7, v5 row_shr:1 row_mask:0xf bank_mask:0xf
	v_cndmask_b32_e32 v7, 0, v7, vcc_lo
	v_cmp_lt_u32_e32 vcc_lo, 1, v6
	v_add_nc_u32_e32 v5, v7, v5
	v_mov_b32_dpp v7, v5 row_shr:2 row_mask:0xf bank_mask:0xf
	v_cndmask_b32_e32 v6, 0, v7, vcc_lo
	v_add_nc_u32_e32 v5, v5, v6
	ds_write_b32 v95, v5
.LBB1148_98:                            ;   in Loop: Header=BB1148_20 Depth=1
	s_or_b32 exec_lo, exec_lo, s19
	v_mov_b32_e32 v5, 0
	s_waitcnt lgkmcnt(0)
	s_barrier
	buffer_gl0_inv
	s_and_saveexec_b32 s19, s11
; %bb.99:                               ;   in Loop: Header=BB1148_20 Depth=1
	ds_read_b32 v5, v96
; %bb.100:                              ;   in Loop: Header=BB1148_20 Depth=1
	s_or_b32 exec_lo, exec_lo, s19
	v_sub_co_u32 v6, s19, v126, 1
	s_waitcnt lgkmcnt(0)
	v_add_nc_u32_e32 v3, v5, v3
	s_barrier
	v_cmp_gt_i32_e32 vcc_lo, 0, v6
	buffer_gl0_inv
	v_cndmask_b32_e32 v6, v6, v126, vcc_lo
	v_lshlrev_b32_e32 v127, 2, v6
	ds_bpermute_b32 v3, v127, v3
	s_and_saveexec_b32 s20, s8
	s_cbranch_execz .LBB1148_102
; %bb.101:                              ;   in Loop: Header=BB1148_20 Depth=1
	s_waitcnt lgkmcnt(0)
	v_cndmask_b32_e64 v3, v3, v5, s19
	v_add_nc_u32_e32 v3, s60, v3
	ds_write_b32 v73, v3
.LBB1148_102:                           ;   in Loop: Header=BB1148_20 Depth=1
	s_or_b32 exec_lo, exec_lo, s20
	s_clause 0x1
	s_load_dword s20, s[58:59], 0x4
	s_load_dword s23, s[58:59], 0xc
	v_and_b32_e32 v5, 7, v126
	v_lshlrev_b32_e32 v7, 3, v126
	v_or_b32_e32 v128, v126, v97
	s_mov_b32 s66, s62
	s_mov_b32 s46, s60
	v_cmp_lt_u32_e64 s22, 3, v5
	v_add_co_u32 v129, vcc_lo, v102, v7
	v_add_co_ci_u32_e64 v130, null, 0, v103, vcc_lo
	v_add_co_u32 v146, vcc_lo, v104, v7
	v_or_b32_e32 v131, 32, v128
	v_or_b32_e32 v132, 64, v128
	v_or_b32_e32 v133, 0x60, v128
	v_or_b32_e32 v134, 0x80, v128
	v_or_b32_e32 v135, 0xa0, v128
	v_or_b32_e32 v136, 0xc0, v128
	s_waitcnt lgkmcnt(0)
	s_cmp_lt_u32 s7, s20
	v_or_b32_e32 v137, 0xe0, v128
	s_cselect_b32 s20, 14, 20
	v_or_b32_e32 v138, 0x100, v128
	s_add_u32 s20, s58, s20
	s_addc_u32 s21, s59, 0
	s_and_b32 s23, s23, 0xffff
	global_load_ushort v3, v4, s[20:21]
	v_cmp_eq_u32_e64 s20, 0, v5
	v_cmp_lt_u32_e64 s21, 1, v5
	v_or_b32_e32 v139, 0x120, v128
	v_or_b32_e32 v140, 0x140, v128
	;; [unrolled: 1-line block ×7, first 2 shown]
	v_add_co_ci_u32_e64 v147, null, 0, v105, vcc_lo
                                        ; implicit-def: $vgpr7_vgpr8
                                        ; implicit-def: $vgpr9_vgpr10
                                        ; implicit-def: $vgpr11_vgpr12
                                        ; implicit-def: $vgpr13_vgpr14
                                        ; implicit-def: $vgpr17_vgpr18
                                        ; implicit-def: $vgpr21_vgpr22
                                        ; implicit-def: $vgpr25_vgpr26
                                        ; implicit-def: $vgpr15_vgpr16
                                        ; implicit-def: $vgpr19_vgpr20
                                        ; implicit-def: $vgpr23_vgpr24
                                        ; implicit-def: $vgpr27_vgpr28
                                        ; implicit-def: $vgpr29_vgpr30
                                        ; implicit-def: $vgpr31_vgpr32
                                        ; implicit-def: $vgpr33_vgpr34
                                        ; implicit-def: $vgpr35_vgpr36
                                        ; implicit-def: $vgpr149
                                        ; implicit-def: $vgpr150
                                        ; implicit-def: $vgpr151
                                        ; implicit-def: $vgpr152
                                        ; implicit-def: $vgpr153
                                        ; implicit-def: $vgpr154
                                        ; implicit-def: $vgpr155
                                        ; implicit-def: $vgpr157
                                        ; implicit-def: $vgpr158
                                        ; implicit-def: $vgpr159
                                        ; implicit-def: $vgpr160
                                        ; implicit-def: $vgpr161
                                        ; implicit-def: $vgpr162
                                        ; implicit-def: $vgpr163
                                        ; implicit-def: $vgpr164
                                        ; implicit-def: $vgpr165
                                        ; implicit-def: $vgpr156
                                        ; implicit-def: $vgpr166
	s_waitcnt vmcnt(0)
	v_mad_u32_u24 v3, v2, v3, v1
	v_mad_u64_u32 v[5:6], null, v3, s23, v[0:1]
	v_lshrrev_b32_e32 v3, 3, v5
                                        ; implicit-def: $vgpr5_vgpr6
	v_and_b32_e32 v148, 0x1ffffffc, v3
	s_branch .LBB1148_104
.LBB1148_103:                           ;   in Loop: Header=BB1148_104 Depth=2
	s_or_b32 exec_lo, exec_lo, s23
	s_addk_i32 s66, 0xf000
	s_cmp_lt_u32 s67, s61
	s_mov_b32 s46, s67
	s_cbranch_scc0 .LBB1148_314
.LBB1148_104:                           ;   Parent Loop BB1148_20 Depth=1
                                        ; =>  This Inner Loop Header: Depth=2
	s_add_i32 s67, s46, 0x1000
	s_cmp_gt_u32 s67, s61
	s_cbranch_scc1 .LBB1148_106
; %bb.105:                              ;   in Loop: Header=BB1148_104 Depth=2
	s_mov_b32 s47, s56
	s_mov_b32 s23, -1
	s_lshl_b64 s[24:25], s[46:47], 3
	v_add_co_u32 v43, vcc_lo, v146, s24
	v_add_co_ci_u32_e64 v44, null, s25, v147, vcc_lo
	v_add_co_u32 v45, vcc_lo, 0x800, v43
	v_add_co_ci_u32_e64 v46, null, 0, v44, vcc_lo
	s_clause 0xe
	global_load_dwordx2 v[37:38], v[43:44], off
	global_load_dwordx2 v[39:40], v[43:44], off offset:256
	global_load_dwordx2 v[41:42], v[43:44], off offset:512
	global_load_dwordx2 v[49:50], v[43:44], off offset:768
	global_load_dwordx2 v[53:54], v[43:44], off offset:1024
	global_load_dwordx2 v[57:58], v[43:44], off offset:1280
	global_load_dwordx2 v[61:62], v[43:44], off offset:1536
	global_load_dwordx2 v[65:66], v[43:44], off offset:1792
	global_load_dwordx2 v[67:68], v[45:46], off
	global_load_dwordx2 v[63:64], v[45:46], off offset:256
	global_load_dwordx2 v[59:60], v[45:46], off offset:512
	;; [unrolled: 1-line block ×6, first 2 shown]
	s_movk_i32 s24, 0x1000
	s_cbranch_execz .LBB1148_107
	s_branch .LBB1148_138
.LBB1148_106:                           ;   in Loop: Header=BB1148_104 Depth=2
	s_mov_b32 s23, 0
                                        ; implicit-def: $vgpr37_vgpr38
                                        ; implicit-def: $vgpr39_vgpr40
                                        ; implicit-def: $vgpr41_vgpr42
                                        ; implicit-def: $vgpr49_vgpr50
                                        ; implicit-def: $vgpr53_vgpr54
                                        ; implicit-def: $vgpr57_vgpr58
                                        ; implicit-def: $vgpr61_vgpr62
                                        ; implicit-def: $vgpr65_vgpr66
                                        ; implicit-def: $vgpr67_vgpr68
                                        ; implicit-def: $vgpr63_vgpr64
                                        ; implicit-def: $vgpr59_vgpr60
                                        ; implicit-def: $vgpr55_vgpr56
                                        ; implicit-def: $vgpr51_vgpr52
                                        ; implicit-def: $vgpr47_vgpr48
                                        ; implicit-def: $vgpr43_vgpr44
	s_movk_i32 s24, 0x1000
.LBB1148_107:                           ;   in Loop: Header=BB1148_104 Depth=2
	s_mov_b32 s47, s56
	s_waitcnt vmcnt(13)
	v_mov_b32_e32 v39, -1
	s_lshl_b64 s[24:25], s[46:47], 3
	v_mov_b32_e32 v37, -1
	v_add_co_u32 v45, vcc_lo, v146, s24
	v_add_co_ci_u32_e64 v46, null, s25, v147, vcc_lo
	v_mov_b32_e32 v40, -1
	v_mov_b32_e32 v38, -1
	s_mov_b32 s23, exec_lo
	v_cmpx_gt_u32_e64 s66, v128
	s_cbranch_execz .LBB1148_109
; %bb.108:                              ;   in Loop: Header=BB1148_104 Depth=2
	global_load_dwordx2 v[37:38], v[45:46], off
.LBB1148_109:                           ;   in Loop: Header=BB1148_104 Depth=2
	s_or_b32 exec_lo, exec_lo, s23
	s_mov_b32 s23, exec_lo
	v_cmpx_gt_u32_e64 s66, v131
	s_cbranch_execz .LBB1148_111
; %bb.110:                              ;   in Loop: Header=BB1148_104 Depth=2
	global_load_dwordx2 v[39:40], v[45:46], off offset:256
.LBB1148_111:                           ;   in Loop: Header=BB1148_104 Depth=2
	s_or_b32 exec_lo, exec_lo, s23
	s_waitcnt vmcnt(11)
	v_mov_b32_e32 v49, -1
	v_mov_b32_e32 v41, -1
	v_mov_b32_e32 v50, -1
	v_mov_b32_e32 v42, -1
	s_mov_b32 s23, exec_lo
	v_cmpx_gt_u32_e64 s66, v132
	s_cbranch_execz .LBB1148_113
; %bb.112:                              ;   in Loop: Header=BB1148_104 Depth=2
	global_load_dwordx2 v[41:42], v[45:46], off offset:512
.LBB1148_113:                           ;   in Loop: Header=BB1148_104 Depth=2
	s_or_b32 exec_lo, exec_lo, s23
	s_mov_b32 s23, exec_lo
	v_cmpx_gt_u32_e64 s66, v133
	s_cbranch_execz .LBB1148_115
; %bb.114:                              ;   in Loop: Header=BB1148_104 Depth=2
	global_load_dwordx2 v[49:50], v[45:46], off offset:768
.LBB1148_115:                           ;   in Loop: Header=BB1148_104 Depth=2
	s_or_b32 exec_lo, exec_lo, s23
	s_waitcnt vmcnt(9)
	v_mov_b32_e32 v57, -1
	v_mov_b32_e32 v53, -1
	v_mov_b32_e32 v58, -1
	v_mov_b32_e32 v54, -1
	s_mov_b32 s23, exec_lo
	v_cmpx_gt_u32_e64 s66, v134
	s_cbranch_execz .LBB1148_117
; %bb.116:                              ;   in Loop: Header=BB1148_104 Depth=2
	global_load_dwordx2 v[53:54], v[45:46], off offset:1024
.LBB1148_117:                           ;   in Loop: Header=BB1148_104 Depth=2
	;; [unrolled: 19-line block ×3, first 2 shown]
	s_or_b32 exec_lo, exec_lo, s23
	s_mov_b32 s23, exec_lo
	v_cmpx_gt_u32_e64 s66, v137
	s_cbranch_execz .LBB1148_123
; %bb.122:                              ;   in Loop: Header=BB1148_104 Depth=2
	global_load_dwordx2 v[65:66], v[45:46], off offset:1792
.LBB1148_123:                           ;   in Loop: Header=BB1148_104 Depth=2
	s_or_b32 exec_lo, exec_lo, s23
	s_waitcnt vmcnt(5)
	v_mov_b32_e32 v63, -1
	v_mov_b32_e32 v67, -1
	;; [unrolled: 1-line block ×4, first 2 shown]
	s_mov_b32 s23, exec_lo
	v_cmpx_gt_u32_e64 s66, v138
	s_cbranch_execz .LBB1148_125
; %bb.124:                              ;   in Loop: Header=BB1148_104 Depth=2
	s_waitcnt vmcnt(0)
	v_add_co_u32 v43, vcc_lo, 0x800, v45
	v_add_co_ci_u32_e64 v44, null, 0, v46, vcc_lo
	global_load_dwordx2 v[67:68], v[43:44], off
.LBB1148_125:                           ;   in Loop: Header=BB1148_104 Depth=2
	s_or_b32 exec_lo, exec_lo, s23
	s_mov_b32 s23, exec_lo
	v_cmpx_gt_u32_e64 s66, v139
	s_cbranch_execz .LBB1148_127
; %bb.126:                              ;   in Loop: Header=BB1148_104 Depth=2
	s_waitcnt vmcnt(0)
	v_add_co_u32 v43, vcc_lo, 0x800, v45
	v_add_co_ci_u32_e64 v44, null, 0, v46, vcc_lo
	global_load_dwordx2 v[63:64], v[43:44], off offset:256
.LBB1148_127:                           ;   in Loop: Header=BB1148_104 Depth=2
	s_or_b32 exec_lo, exec_lo, s23
	s_waitcnt vmcnt(3)
	v_mov_b32_e32 v55, -1
	v_mov_b32_e32 v59, -1
	;; [unrolled: 1-line block ×4, first 2 shown]
	s_mov_b32 s23, exec_lo
	v_cmpx_gt_u32_e64 s66, v140
	s_cbranch_execz .LBB1148_129
; %bb.128:                              ;   in Loop: Header=BB1148_104 Depth=2
	s_waitcnt vmcnt(0)
	v_add_co_u32 v43, vcc_lo, 0x800, v45
	v_add_co_ci_u32_e64 v44, null, 0, v46, vcc_lo
	global_load_dwordx2 v[59:60], v[43:44], off offset:512
.LBB1148_129:                           ;   in Loop: Header=BB1148_104 Depth=2
	s_or_b32 exec_lo, exec_lo, s23
	s_mov_b32 s23, exec_lo
	v_cmpx_gt_u32_e64 s66, v141
	s_cbranch_execz .LBB1148_131
; %bb.130:                              ;   in Loop: Header=BB1148_104 Depth=2
	s_waitcnt vmcnt(0)
	v_add_co_u32 v43, vcc_lo, 0x800, v45
	v_add_co_ci_u32_e64 v44, null, 0, v46, vcc_lo
	global_load_dwordx2 v[55:56], v[43:44], off offset:768
.LBB1148_131:                           ;   in Loop: Header=BB1148_104 Depth=2
	s_or_b32 exec_lo, exec_lo, s23
	s_waitcnt vmcnt(1)
	v_mov_b32_e32 v47, -1
	v_mov_b32_e32 v51, -1
	;; [unrolled: 1-line block ×4, first 2 shown]
	s_mov_b32 s23, exec_lo
	v_cmpx_gt_u32_e64 s66, v142
	s_cbranch_execz .LBB1148_133
; %bb.132:                              ;   in Loop: Header=BB1148_104 Depth=2
	s_waitcnt vmcnt(0)
	v_add_co_u32 v43, vcc_lo, 0x800, v45
	v_add_co_ci_u32_e64 v44, null, 0, v46, vcc_lo
	global_load_dwordx2 v[51:52], v[43:44], off offset:1024
.LBB1148_133:                           ;   in Loop: Header=BB1148_104 Depth=2
	s_or_b32 exec_lo, exec_lo, s23
	s_mov_b32 s23, exec_lo
	v_cmpx_gt_u32_e64 s66, v143
	s_cbranch_execz .LBB1148_135
; %bb.134:                              ;   in Loop: Header=BB1148_104 Depth=2
	s_waitcnt vmcnt(0)
	v_add_co_u32 v43, vcc_lo, 0x800, v45
	v_add_co_ci_u32_e64 v44, null, 0, v46, vcc_lo
	global_load_dwordx2 v[47:48], v[43:44], off offset:1280
.LBB1148_135:                           ;   in Loop: Header=BB1148_104 Depth=2
	s_or_b32 exec_lo, exec_lo, s23
	s_waitcnt vmcnt(0)
	v_mov_b32_e32 v43, -1
	v_mov_b32_e32 v44, -1
	s_mov_b32 s23, exec_lo
	v_cmpx_gt_u32_e64 s66, v144
	s_cbranch_execz .LBB1148_137
; %bb.136:                              ;   in Loop: Header=BB1148_104 Depth=2
	v_add_co_u32 v43, vcc_lo, 0x800, v45
	v_add_co_ci_u32_e64 v44, null, 0, v46, vcc_lo
	global_load_dwordx2 v[43:44], v[43:44], off offset:1536
.LBB1148_137:                           ;   in Loop: Header=BB1148_104 Depth=2
	s_or_b32 exec_lo, exec_lo, s23
	v_cmp_gt_u32_e64 s23, s66, v145
	s_sub_i32 s24, s61, s46
.LBB1148_138:                           ;   in Loop: Header=BB1148_104 Depth=2
	v_mov_b32_e32 v45, -1
	v_mov_b32_e32 v46, -1
	v_mov_b32_e32 v167, s66
	s_and_saveexec_b32 s25, s23
	s_cbranch_execz .LBB1148_140
; %bb.139:                              ;   in Loop: Header=BB1148_104 Depth=2
	s_lshl_b64 s[26:27], s[46:47], 3
	v_mov_b32_e32 v167, s24
	v_add_co_u32 v3, vcc_lo, v146, s26
	v_add_co_ci_u32_e64 v46, null, s27, v147, vcc_lo
	v_add_co_u32 v45, vcc_lo, 0x800, v3
	v_add_co_ci_u32_e64 v46, null, 0, v46, vcc_lo
	global_load_dwordx2 v[45:46], v[45:46], off offset:1792
.LBB1148_140:                           ;   in Loop: Header=BB1148_104 Depth=2
	s_or_b32 exec_lo, exec_lo, s25
	s_waitcnt vmcnt(14)
	v_cmp_gt_i64_e32 vcc_lo, 0, v[37:38]
	v_ashrrev_i32_e32 v3, 31, v38
	ds_write2_b32 v98, v4, v4 offset0:136 offset1:137
	ds_write2_b32 v98, v4, v4 offset0:138 offset1:139
	ds_write_b32 v98, v4 offset:560
	s_waitcnt vmcnt(0) lgkmcnt(0)
	s_barrier
	v_cndmask_b32_e64 v69, 0x7fffffff, 0, vcc_lo
	v_not_b32_e32 v3, v3
	buffer_gl0_inv
	; wave barrier
	v_xor_b32_e32 v38, v69, v38
	v_xor_b32_e32 v37, v3, v37
	v_cmp_ne_u64_e32 vcc_lo, s[56:57], v[37:38]
	v_cndmask_b32_e32 v70, 0x7fffffff, v38, vcc_lo
	v_cndmask_b32_e32 v69, -1, v37, vcc_lo
	v_lshrrev_b64 v[69:70], s63, v[69:70]
	v_and_b32_e32 v70, s65, v69
	v_and_b32_e32 v3, 1, v70
	v_lshlrev_b32_e32 v69, 30, v70
	v_lshlrev_b32_e32 v71, 29, v70
	;; [unrolled: 1-line block ×4, first 2 shown]
	v_add_co_u32 v3, s23, v3, -1
	v_cndmask_b32_e64 v72, 0, 1, s23
	v_not_b32_e32 v171, v69
	v_cmp_gt_i32_e64 s23, 0, v69
	v_not_b32_e32 v69, v71
	v_lshlrev_b32_e32 v170, 26, v70
	v_cmp_ne_u32_e32 vcc_lo, 0, v72
	v_ashrrev_i32_e32 v171, 31, v171
	v_lshlrev_b32_e32 v72, 25, v70
	v_ashrrev_i32_e32 v69, 31, v69
	v_mul_u32_u24_e32 v70, 36, v70
	v_xor_b32_e32 v3, vcc_lo, v3
	v_cmp_gt_i32_e32 vcc_lo, 0, v71
	v_not_b32_e32 v71, v168
	v_xor_b32_e32 v171, s23, v171
	v_cmp_gt_i32_e64 s23, 0, v168
	v_and_b32_e32 v3, exec_lo, v3
	v_not_b32_e32 v168, v169
	v_ashrrev_i32_e32 v71, 31, v71
	v_xor_b32_e32 v69, vcc_lo, v69
	v_cmp_gt_i32_e32 vcc_lo, 0, v169
	v_and_b32_e32 v3, v3, v171
	v_not_b32_e32 v169, v170
	v_ashrrev_i32_e32 v168, 31, v168
	v_xor_b32_e32 v71, s23, v71
	v_cmp_gt_i32_e64 s23, 0, v170
	v_and_b32_e32 v3, v3, v69
	v_not_b32_e32 v69, v72
	v_ashrrev_i32_e32 v169, 31, v169
	v_xor_b32_e32 v168, vcc_lo, v168
	v_cmp_gt_i32_e32 vcc_lo, 0, v72
	v_and_b32_e32 v3, v3, v71
	v_ashrrev_i32_e32 v69, 31, v69
	v_xor_b32_e32 v71, s23, v169
	v_and_b32_e32 v3, v3, v168
	v_xor_b32_e32 v69, vcc_lo, v69
	v_add_nc_u32_e32 v168, v148, v70
	v_and_b32_e32 v3, v3, v71
	v_and_b32_e32 v69, v3, v69
	v_mbcnt_lo_u32_b32 v3, v69, 0
	v_cmp_ne_u32_e64 s23, 0, v69
	v_cmp_eq_u32_e32 vcc_lo, 0, v3
	s_and_b32 s24, s23, vcc_lo
	s_and_saveexec_b32 s23, s24
; %bb.141:                              ;   in Loop: Header=BB1148_104 Depth=2
	v_bcnt_u32_b32 v69, v69, 0
	ds_write_b32 v168, v69 offset:544
; %bb.142:                              ;   in Loop: Header=BB1148_104 Depth=2
	s_or_b32 exec_lo, exec_lo, s23
	v_cmp_gt_i64_e32 vcc_lo, 0, v[39:40]
	v_ashrrev_i32_e32 v69, 31, v40
	; wave barrier
	v_not_b32_e32 v69, v69
	v_cndmask_b32_e64 v70, 0x7fffffff, 0, vcc_lo
	v_xor_b32_e32 v39, v69, v39
	v_xor_b32_e32 v40, v70, v40
	v_cmp_ne_u64_e32 vcc_lo, s[56:57], v[39:40]
	v_cndmask_b32_e32 v70, 0x7fffffff, v40, vcc_lo
	v_cndmask_b32_e32 v69, -1, v39, vcc_lo
	v_lshrrev_b64 v[69:70], s63, v[69:70]
	v_and_b32_e32 v70, s65, v69
	v_and_b32_e32 v69, 1, v70
	v_lshlrev_b32_e32 v71, 30, v70
	v_lshlrev_b32_e32 v72, 29, v70
	;; [unrolled: 1-line block ×4, first 2 shown]
	v_add_co_u32 v69, s23, v69, -1
	v_cndmask_b32_e64 v169, 0, 1, s23
	v_not_b32_e32 v173, v71
	v_cmp_gt_i32_e64 s23, 0, v71
	v_not_b32_e32 v71, v72
	v_lshlrev_b32_e32 v172, 26, v70
	v_cmp_ne_u32_e32 vcc_lo, 0, v169
	v_ashrrev_i32_e32 v173, 31, v173
	v_lshlrev_b32_e32 v169, 25, v70
	v_ashrrev_i32_e32 v71, 31, v71
	v_xor_b32_e32 v69, vcc_lo, v69
	v_cmp_gt_i32_e32 vcc_lo, 0, v72
	v_not_b32_e32 v72, v170
	v_xor_b32_e32 v173, s23, v173
	v_cmp_gt_i32_e64 s23, 0, v170
	v_and_b32_e32 v69, exec_lo, v69
	v_not_b32_e32 v170, v171
	v_ashrrev_i32_e32 v72, 31, v72
	v_xor_b32_e32 v71, vcc_lo, v71
	v_cmp_gt_i32_e32 vcc_lo, 0, v171
	v_and_b32_e32 v69, v69, v173
	v_not_b32_e32 v171, v172
	v_ashrrev_i32_e32 v170, 31, v170
	v_xor_b32_e32 v72, s23, v72
	v_cmp_gt_i32_e64 s23, 0, v172
	v_and_b32_e32 v69, v69, v71
	v_not_b32_e32 v71, v169
	v_ashrrev_i32_e32 v171, 31, v171
	v_xor_b32_e32 v170, vcc_lo, v170
	v_cmp_gt_i32_e32 vcc_lo, 0, v169
	v_and_b32_e32 v69, v69, v72
	v_ashrrev_i32_e32 v71, 31, v71
	v_xor_b32_e32 v72, s23, v171
	v_mad_u32_u24 v169, v70, 36, v148
	v_mul_u32_u24_e32 v70, 36, v70
	v_and_b32_e32 v69, v69, v170
	v_xor_b32_e32 v71, vcc_lo, v71
	ds_read_b32 v169, v169 offset:544
	v_add_nc_u32_e32 v171, v148, v70
	v_and_b32_e32 v69, v69, v72
	; wave barrier
	v_and_b32_e32 v69, v69, v71
	v_mbcnt_lo_u32_b32 v170, v69, 0
	v_cmp_ne_u32_e64 s23, 0, v69
	v_cmp_eq_u32_e32 vcc_lo, 0, v170
	s_and_b32 s24, s23, vcc_lo
	s_and_saveexec_b32 s23, s24
	s_cbranch_execz .LBB1148_144
; %bb.143:                              ;   in Loop: Header=BB1148_104 Depth=2
	s_waitcnt lgkmcnt(0)
	v_bcnt_u32_b32 v69, v69, v169
	ds_write_b32 v171, v69 offset:544
.LBB1148_144:                           ;   in Loop: Header=BB1148_104 Depth=2
	s_or_b32 exec_lo, exec_lo, s23
	v_cmp_gt_i64_e32 vcc_lo, 0, v[41:42]
	v_ashrrev_i32_e32 v69, 31, v42
	; wave barrier
	v_not_b32_e32 v69, v69
	v_cndmask_b32_e64 v70, 0x7fffffff, 0, vcc_lo
	v_xor_b32_e32 v41, v69, v41
	v_xor_b32_e32 v42, v70, v42
	v_cmp_ne_u64_e32 vcc_lo, s[56:57], v[41:42]
	v_cndmask_b32_e32 v70, 0x7fffffff, v42, vcc_lo
	v_cndmask_b32_e32 v69, -1, v41, vcc_lo
	v_lshrrev_b64 v[69:70], s63, v[69:70]
	v_and_b32_e32 v70, s65, v69
	v_and_b32_e32 v69, 1, v70
	v_lshlrev_b32_e32 v71, 30, v70
	v_lshlrev_b32_e32 v72, 29, v70
	;; [unrolled: 1-line block ×4, first 2 shown]
	v_add_co_u32 v69, s23, v69, -1
	v_cndmask_b32_e64 v172, 0, 1, s23
	v_not_b32_e32 v176, v71
	v_cmp_gt_i32_e64 s23, 0, v71
	v_not_b32_e32 v71, v72
	v_lshlrev_b32_e32 v175, 26, v70
	v_cmp_ne_u32_e32 vcc_lo, 0, v172
	v_ashrrev_i32_e32 v176, 31, v176
	v_lshlrev_b32_e32 v172, 25, v70
	v_ashrrev_i32_e32 v71, 31, v71
	v_xor_b32_e32 v69, vcc_lo, v69
	v_cmp_gt_i32_e32 vcc_lo, 0, v72
	v_not_b32_e32 v72, v173
	v_xor_b32_e32 v176, s23, v176
	v_cmp_gt_i32_e64 s23, 0, v173
	v_and_b32_e32 v69, exec_lo, v69
	v_not_b32_e32 v173, v174
	v_ashrrev_i32_e32 v72, 31, v72
	v_xor_b32_e32 v71, vcc_lo, v71
	v_cmp_gt_i32_e32 vcc_lo, 0, v174
	v_and_b32_e32 v69, v69, v176
	v_not_b32_e32 v174, v175
	v_ashrrev_i32_e32 v173, 31, v173
	v_xor_b32_e32 v72, s23, v72
	v_cmp_gt_i32_e64 s23, 0, v175
	v_and_b32_e32 v69, v69, v71
	v_not_b32_e32 v71, v172
	v_ashrrev_i32_e32 v174, 31, v174
	v_xor_b32_e32 v173, vcc_lo, v173
	v_cmp_gt_i32_e32 vcc_lo, 0, v172
	v_and_b32_e32 v69, v69, v72
	v_ashrrev_i32_e32 v71, 31, v71
	v_xor_b32_e32 v72, s23, v174
	v_mad_u32_u24 v172, v70, 36, v148
	v_mul_u32_u24_e32 v70, 36, v70
	v_and_b32_e32 v69, v69, v173
	v_xor_b32_e32 v71, vcc_lo, v71
	ds_read_b32 v172, v172 offset:544
	v_add_nc_u32_e32 v174, v148, v70
	v_and_b32_e32 v69, v69, v72
	; wave barrier
	v_and_b32_e32 v69, v69, v71
	v_mbcnt_lo_u32_b32 v173, v69, 0
	v_cmp_ne_u32_e64 s23, 0, v69
	v_cmp_eq_u32_e32 vcc_lo, 0, v173
	s_and_b32 s24, s23, vcc_lo
	s_and_saveexec_b32 s23, s24
	s_cbranch_execz .LBB1148_146
; %bb.145:                              ;   in Loop: Header=BB1148_104 Depth=2
	s_waitcnt lgkmcnt(0)
	v_bcnt_u32_b32 v69, v69, v172
	ds_write_b32 v174, v69 offset:544
.LBB1148_146:                           ;   in Loop: Header=BB1148_104 Depth=2
	s_or_b32 exec_lo, exec_lo, s23
	v_cmp_gt_i64_e32 vcc_lo, 0, v[49:50]
	v_ashrrev_i32_e32 v69, 31, v50
	; wave barrier
	v_not_b32_e32 v69, v69
	v_cndmask_b32_e64 v70, 0x7fffffff, 0, vcc_lo
	v_xor_b32_e32 v49, v69, v49
	v_xor_b32_e32 v50, v70, v50
	v_cmp_ne_u64_e32 vcc_lo, s[56:57], v[49:50]
	v_cndmask_b32_e32 v70, 0x7fffffff, v50, vcc_lo
	v_cndmask_b32_e32 v69, -1, v49, vcc_lo
	v_lshrrev_b64 v[69:70], s63, v[69:70]
	v_and_b32_e32 v70, s65, v69
	v_and_b32_e32 v69, 1, v70
	v_lshlrev_b32_e32 v71, 30, v70
	v_lshlrev_b32_e32 v72, 29, v70
	;; [unrolled: 1-line block ×4, first 2 shown]
	v_add_co_u32 v69, s23, v69, -1
	v_cndmask_b32_e64 v175, 0, 1, s23
	v_not_b32_e32 v179, v71
	v_cmp_gt_i32_e64 s23, 0, v71
	v_not_b32_e32 v71, v72
	v_lshlrev_b32_e32 v178, 26, v70
	v_cmp_ne_u32_e32 vcc_lo, 0, v175
	v_ashrrev_i32_e32 v179, 31, v179
	v_lshlrev_b32_e32 v175, 25, v70
	v_ashrrev_i32_e32 v71, 31, v71
	v_xor_b32_e32 v69, vcc_lo, v69
	v_cmp_gt_i32_e32 vcc_lo, 0, v72
	v_not_b32_e32 v72, v176
	v_xor_b32_e32 v179, s23, v179
	v_cmp_gt_i32_e64 s23, 0, v176
	v_and_b32_e32 v69, exec_lo, v69
	v_not_b32_e32 v176, v177
	v_ashrrev_i32_e32 v72, 31, v72
	v_xor_b32_e32 v71, vcc_lo, v71
	v_cmp_gt_i32_e32 vcc_lo, 0, v177
	v_and_b32_e32 v69, v69, v179
	v_not_b32_e32 v177, v178
	v_ashrrev_i32_e32 v176, 31, v176
	v_xor_b32_e32 v72, s23, v72
	v_cmp_gt_i32_e64 s23, 0, v178
	v_and_b32_e32 v69, v69, v71
	v_not_b32_e32 v71, v175
	v_ashrrev_i32_e32 v177, 31, v177
	v_xor_b32_e32 v176, vcc_lo, v176
	v_cmp_gt_i32_e32 vcc_lo, 0, v175
	v_and_b32_e32 v69, v69, v72
	v_ashrrev_i32_e32 v71, 31, v71
	v_xor_b32_e32 v72, s23, v177
	v_mad_u32_u24 v175, v70, 36, v148
	v_mul_u32_u24_e32 v70, 36, v70
	v_and_b32_e32 v69, v69, v176
	v_xor_b32_e32 v71, vcc_lo, v71
	ds_read_b32 v175, v175 offset:544
	v_add_nc_u32_e32 v177, v148, v70
	v_and_b32_e32 v69, v69, v72
	; wave barrier
	v_and_b32_e32 v69, v69, v71
	v_mbcnt_lo_u32_b32 v176, v69, 0
	v_cmp_ne_u32_e64 s23, 0, v69
	v_cmp_eq_u32_e32 vcc_lo, 0, v176
	s_and_b32 s24, s23, vcc_lo
	s_and_saveexec_b32 s23, s24
	s_cbranch_execz .LBB1148_148
; %bb.147:                              ;   in Loop: Header=BB1148_104 Depth=2
	s_waitcnt lgkmcnt(0)
	v_bcnt_u32_b32 v69, v69, v175
	ds_write_b32 v177, v69 offset:544
.LBB1148_148:                           ;   in Loop: Header=BB1148_104 Depth=2
	s_or_b32 exec_lo, exec_lo, s23
	v_cmp_gt_i64_e32 vcc_lo, 0, v[53:54]
	v_ashrrev_i32_e32 v69, 31, v54
	; wave barrier
	v_not_b32_e32 v69, v69
	v_cndmask_b32_e64 v70, 0x7fffffff, 0, vcc_lo
	v_xor_b32_e32 v53, v69, v53
	v_xor_b32_e32 v54, v70, v54
	v_cmp_ne_u64_e32 vcc_lo, s[56:57], v[53:54]
	v_cndmask_b32_e32 v70, 0x7fffffff, v54, vcc_lo
	v_cndmask_b32_e32 v69, -1, v53, vcc_lo
	v_lshrrev_b64 v[69:70], s63, v[69:70]
	v_and_b32_e32 v70, s65, v69
	v_and_b32_e32 v69, 1, v70
	v_lshlrev_b32_e32 v71, 30, v70
	v_lshlrev_b32_e32 v72, 29, v70
	;; [unrolled: 1-line block ×4, first 2 shown]
	v_add_co_u32 v69, s23, v69, -1
	v_cndmask_b32_e64 v178, 0, 1, s23
	v_not_b32_e32 v182, v71
	v_cmp_gt_i32_e64 s23, 0, v71
	v_not_b32_e32 v71, v72
	v_lshlrev_b32_e32 v181, 26, v70
	v_cmp_ne_u32_e32 vcc_lo, 0, v178
	v_ashrrev_i32_e32 v182, 31, v182
	v_lshlrev_b32_e32 v178, 25, v70
	v_ashrrev_i32_e32 v71, 31, v71
	v_xor_b32_e32 v69, vcc_lo, v69
	v_cmp_gt_i32_e32 vcc_lo, 0, v72
	v_not_b32_e32 v72, v179
	v_xor_b32_e32 v182, s23, v182
	v_cmp_gt_i32_e64 s23, 0, v179
	v_and_b32_e32 v69, exec_lo, v69
	v_not_b32_e32 v179, v180
	v_ashrrev_i32_e32 v72, 31, v72
	v_xor_b32_e32 v71, vcc_lo, v71
	v_cmp_gt_i32_e32 vcc_lo, 0, v180
	v_and_b32_e32 v69, v69, v182
	v_not_b32_e32 v180, v181
	v_ashrrev_i32_e32 v179, 31, v179
	v_xor_b32_e32 v72, s23, v72
	v_cmp_gt_i32_e64 s23, 0, v181
	v_and_b32_e32 v69, v69, v71
	v_not_b32_e32 v71, v178
	v_ashrrev_i32_e32 v180, 31, v180
	v_xor_b32_e32 v179, vcc_lo, v179
	v_cmp_gt_i32_e32 vcc_lo, 0, v178
	v_and_b32_e32 v69, v69, v72
	v_ashrrev_i32_e32 v71, 31, v71
	v_xor_b32_e32 v72, s23, v180
	v_mad_u32_u24 v178, v70, 36, v148
	v_mul_u32_u24_e32 v70, 36, v70
	v_and_b32_e32 v69, v69, v179
	v_xor_b32_e32 v71, vcc_lo, v71
	ds_read_b32 v178, v178 offset:544
	v_add_nc_u32_e32 v180, v148, v70
	v_and_b32_e32 v69, v69, v72
	; wave barrier
	v_and_b32_e32 v69, v69, v71
	v_mbcnt_lo_u32_b32 v179, v69, 0
	v_cmp_ne_u32_e64 s23, 0, v69
	v_cmp_eq_u32_e32 vcc_lo, 0, v179
	s_and_b32 s24, s23, vcc_lo
	s_and_saveexec_b32 s23, s24
	s_cbranch_execz .LBB1148_150
; %bb.149:                              ;   in Loop: Header=BB1148_104 Depth=2
	s_waitcnt lgkmcnt(0)
	v_bcnt_u32_b32 v69, v69, v178
	ds_write_b32 v180, v69 offset:544
.LBB1148_150:                           ;   in Loop: Header=BB1148_104 Depth=2
	s_or_b32 exec_lo, exec_lo, s23
	v_cmp_gt_i64_e32 vcc_lo, 0, v[57:58]
	v_ashrrev_i32_e32 v69, 31, v58
	; wave barrier
	v_not_b32_e32 v69, v69
	v_cndmask_b32_e64 v70, 0x7fffffff, 0, vcc_lo
	v_xor_b32_e32 v57, v69, v57
	v_xor_b32_e32 v58, v70, v58
	v_cmp_ne_u64_e32 vcc_lo, s[56:57], v[57:58]
	v_cndmask_b32_e32 v70, 0x7fffffff, v58, vcc_lo
	v_cndmask_b32_e32 v69, -1, v57, vcc_lo
	v_lshrrev_b64 v[69:70], s63, v[69:70]
	v_and_b32_e32 v70, s65, v69
	v_and_b32_e32 v69, 1, v70
	v_lshlrev_b32_e32 v71, 30, v70
	v_lshlrev_b32_e32 v72, 29, v70
	;; [unrolled: 1-line block ×4, first 2 shown]
	v_add_co_u32 v69, s23, v69, -1
	v_cndmask_b32_e64 v181, 0, 1, s23
	v_not_b32_e32 v185, v71
	v_cmp_gt_i32_e64 s23, 0, v71
	v_not_b32_e32 v71, v72
	v_lshlrev_b32_e32 v184, 26, v70
	v_cmp_ne_u32_e32 vcc_lo, 0, v181
	v_ashrrev_i32_e32 v185, 31, v185
	v_lshlrev_b32_e32 v181, 25, v70
	v_ashrrev_i32_e32 v71, 31, v71
	v_xor_b32_e32 v69, vcc_lo, v69
	v_cmp_gt_i32_e32 vcc_lo, 0, v72
	v_not_b32_e32 v72, v182
	v_xor_b32_e32 v185, s23, v185
	v_cmp_gt_i32_e64 s23, 0, v182
	v_and_b32_e32 v69, exec_lo, v69
	v_not_b32_e32 v182, v183
	v_ashrrev_i32_e32 v72, 31, v72
	v_xor_b32_e32 v71, vcc_lo, v71
	v_cmp_gt_i32_e32 vcc_lo, 0, v183
	v_and_b32_e32 v69, v69, v185
	v_not_b32_e32 v183, v184
	v_ashrrev_i32_e32 v182, 31, v182
	v_xor_b32_e32 v72, s23, v72
	v_cmp_gt_i32_e64 s23, 0, v184
	v_and_b32_e32 v69, v69, v71
	v_not_b32_e32 v71, v181
	v_ashrrev_i32_e32 v183, 31, v183
	v_xor_b32_e32 v182, vcc_lo, v182
	v_cmp_gt_i32_e32 vcc_lo, 0, v181
	v_and_b32_e32 v69, v69, v72
	v_ashrrev_i32_e32 v71, 31, v71
	v_xor_b32_e32 v72, s23, v183
	v_mad_u32_u24 v181, v70, 36, v148
	v_mul_u32_u24_e32 v70, 36, v70
	v_and_b32_e32 v69, v69, v182
	v_xor_b32_e32 v71, vcc_lo, v71
	ds_read_b32 v181, v181 offset:544
	v_add_nc_u32_e32 v183, v148, v70
	v_and_b32_e32 v69, v69, v72
	; wave barrier
	v_and_b32_e32 v69, v69, v71
	v_mbcnt_lo_u32_b32 v182, v69, 0
	v_cmp_ne_u32_e64 s23, 0, v69
	v_cmp_eq_u32_e32 vcc_lo, 0, v182
	s_and_b32 s24, s23, vcc_lo
	s_and_saveexec_b32 s23, s24
	s_cbranch_execz .LBB1148_152
; %bb.151:                              ;   in Loop: Header=BB1148_104 Depth=2
	s_waitcnt lgkmcnt(0)
	v_bcnt_u32_b32 v69, v69, v181
	ds_write_b32 v183, v69 offset:544
.LBB1148_152:                           ;   in Loop: Header=BB1148_104 Depth=2
	s_or_b32 exec_lo, exec_lo, s23
	v_cmp_gt_i64_e32 vcc_lo, 0, v[61:62]
	v_ashrrev_i32_e32 v69, 31, v62
	; wave barrier
	v_not_b32_e32 v69, v69
	v_cndmask_b32_e64 v70, 0x7fffffff, 0, vcc_lo
	v_xor_b32_e32 v61, v69, v61
	v_xor_b32_e32 v62, v70, v62
	v_cmp_ne_u64_e32 vcc_lo, s[56:57], v[61:62]
	v_cndmask_b32_e32 v70, 0x7fffffff, v62, vcc_lo
	v_cndmask_b32_e32 v69, -1, v61, vcc_lo
	v_lshrrev_b64 v[69:70], s63, v[69:70]
	v_and_b32_e32 v70, s65, v69
	v_and_b32_e32 v69, 1, v70
	v_lshlrev_b32_e32 v71, 30, v70
	v_lshlrev_b32_e32 v72, 29, v70
	;; [unrolled: 1-line block ×4, first 2 shown]
	v_add_co_u32 v69, s23, v69, -1
	v_cndmask_b32_e64 v184, 0, 1, s23
	v_not_b32_e32 v188, v71
	v_cmp_gt_i32_e64 s23, 0, v71
	v_not_b32_e32 v71, v72
	v_lshlrev_b32_e32 v187, 26, v70
	v_cmp_ne_u32_e32 vcc_lo, 0, v184
	v_ashrrev_i32_e32 v188, 31, v188
	v_lshlrev_b32_e32 v184, 25, v70
	v_ashrrev_i32_e32 v71, 31, v71
	v_xor_b32_e32 v69, vcc_lo, v69
	v_cmp_gt_i32_e32 vcc_lo, 0, v72
	v_not_b32_e32 v72, v185
	v_xor_b32_e32 v188, s23, v188
	v_cmp_gt_i32_e64 s23, 0, v185
	v_and_b32_e32 v69, exec_lo, v69
	v_not_b32_e32 v185, v186
	v_ashrrev_i32_e32 v72, 31, v72
	v_xor_b32_e32 v71, vcc_lo, v71
	v_cmp_gt_i32_e32 vcc_lo, 0, v186
	v_and_b32_e32 v69, v69, v188
	v_not_b32_e32 v186, v187
	v_ashrrev_i32_e32 v185, 31, v185
	v_xor_b32_e32 v72, s23, v72
	v_cmp_gt_i32_e64 s23, 0, v187
	v_and_b32_e32 v69, v69, v71
	v_not_b32_e32 v71, v184
	v_ashrrev_i32_e32 v186, 31, v186
	v_xor_b32_e32 v185, vcc_lo, v185
	v_cmp_gt_i32_e32 vcc_lo, 0, v184
	v_and_b32_e32 v69, v69, v72
	v_ashrrev_i32_e32 v71, 31, v71
	v_xor_b32_e32 v72, s23, v186
	v_mad_u32_u24 v184, v70, 36, v148
	v_mul_u32_u24_e32 v70, 36, v70
	v_and_b32_e32 v69, v69, v185
	v_xor_b32_e32 v71, vcc_lo, v71
	ds_read_b32 v184, v184 offset:544
	v_add_nc_u32_e32 v186, v148, v70
	v_and_b32_e32 v69, v69, v72
	; wave barrier
	v_and_b32_e32 v69, v69, v71
	v_mbcnt_lo_u32_b32 v185, v69, 0
	v_cmp_ne_u32_e64 s23, 0, v69
	v_cmp_eq_u32_e32 vcc_lo, 0, v185
	s_and_b32 s24, s23, vcc_lo
	s_and_saveexec_b32 s23, s24
	s_cbranch_execz .LBB1148_154
; %bb.153:                              ;   in Loop: Header=BB1148_104 Depth=2
	s_waitcnt lgkmcnt(0)
	v_bcnt_u32_b32 v69, v69, v184
	ds_write_b32 v186, v69 offset:544
.LBB1148_154:                           ;   in Loop: Header=BB1148_104 Depth=2
	s_or_b32 exec_lo, exec_lo, s23
	v_cmp_gt_i64_e32 vcc_lo, 0, v[65:66]
	v_ashrrev_i32_e32 v69, 31, v66
	; wave barrier
	v_not_b32_e32 v69, v69
	v_cndmask_b32_e64 v70, 0x7fffffff, 0, vcc_lo
	v_xor_b32_e32 v65, v69, v65
	v_xor_b32_e32 v66, v70, v66
	v_cmp_ne_u64_e32 vcc_lo, s[56:57], v[65:66]
	v_cndmask_b32_e32 v70, 0x7fffffff, v66, vcc_lo
	v_cndmask_b32_e32 v69, -1, v65, vcc_lo
	v_lshrrev_b64 v[69:70], s63, v[69:70]
	v_and_b32_e32 v70, s65, v69
	v_and_b32_e32 v69, 1, v70
	v_lshlrev_b32_e32 v71, 30, v70
	v_lshlrev_b32_e32 v72, 29, v70
	v_lshlrev_b32_e32 v188, 28, v70
	v_lshlrev_b32_e32 v189, 27, v70
	v_add_co_u32 v69, s23, v69, -1
	v_cndmask_b32_e64 v187, 0, 1, s23
	v_not_b32_e32 v191, v71
	v_cmp_gt_i32_e64 s23, 0, v71
	v_not_b32_e32 v71, v72
	v_lshlrev_b32_e32 v190, 26, v70
	v_cmp_ne_u32_e32 vcc_lo, 0, v187
	v_ashrrev_i32_e32 v191, 31, v191
	v_lshlrev_b32_e32 v187, 25, v70
	v_ashrrev_i32_e32 v71, 31, v71
	v_xor_b32_e32 v69, vcc_lo, v69
	v_cmp_gt_i32_e32 vcc_lo, 0, v72
	v_not_b32_e32 v72, v188
	v_xor_b32_e32 v191, s23, v191
	v_cmp_gt_i32_e64 s23, 0, v188
	v_and_b32_e32 v69, exec_lo, v69
	v_not_b32_e32 v188, v189
	v_ashrrev_i32_e32 v72, 31, v72
	v_xor_b32_e32 v71, vcc_lo, v71
	v_cmp_gt_i32_e32 vcc_lo, 0, v189
	v_and_b32_e32 v69, v69, v191
	v_not_b32_e32 v189, v190
	v_ashrrev_i32_e32 v188, 31, v188
	v_xor_b32_e32 v72, s23, v72
	v_cmp_gt_i32_e64 s23, 0, v190
	v_and_b32_e32 v69, v69, v71
	v_not_b32_e32 v71, v187
	v_ashrrev_i32_e32 v189, 31, v189
	v_xor_b32_e32 v188, vcc_lo, v188
	v_cmp_gt_i32_e32 vcc_lo, 0, v187
	v_and_b32_e32 v69, v69, v72
	v_ashrrev_i32_e32 v71, 31, v71
	v_xor_b32_e32 v72, s23, v189
	v_mad_u32_u24 v187, v70, 36, v148
	v_mul_u32_u24_e32 v70, 36, v70
	v_and_b32_e32 v69, v69, v188
	v_xor_b32_e32 v71, vcc_lo, v71
	ds_read_b32 v187, v187 offset:544
	v_add_nc_u32_e32 v189, v148, v70
	v_and_b32_e32 v69, v69, v72
	; wave barrier
	v_and_b32_e32 v69, v69, v71
	v_mbcnt_lo_u32_b32 v188, v69, 0
	v_cmp_ne_u32_e64 s23, 0, v69
	v_cmp_eq_u32_e32 vcc_lo, 0, v188
	s_and_b32 s24, s23, vcc_lo
	s_and_saveexec_b32 s23, s24
	s_cbranch_execz .LBB1148_156
; %bb.155:                              ;   in Loop: Header=BB1148_104 Depth=2
	s_waitcnt lgkmcnt(0)
	v_bcnt_u32_b32 v69, v69, v187
	ds_write_b32 v189, v69 offset:544
.LBB1148_156:                           ;   in Loop: Header=BB1148_104 Depth=2
	s_or_b32 exec_lo, exec_lo, s23
	v_cmp_gt_i64_e32 vcc_lo, 0, v[67:68]
	v_ashrrev_i32_e32 v69, 31, v68
	; wave barrier
	v_not_b32_e32 v69, v69
	v_cndmask_b32_e64 v70, 0x7fffffff, 0, vcc_lo
	v_xor_b32_e32 v67, v69, v67
	v_xor_b32_e32 v68, v70, v68
	v_cmp_ne_u64_e32 vcc_lo, s[56:57], v[67:68]
	v_cndmask_b32_e32 v70, 0x7fffffff, v68, vcc_lo
	v_cndmask_b32_e32 v69, -1, v67, vcc_lo
	v_lshrrev_b64 v[69:70], s63, v[69:70]
	v_and_b32_e32 v70, s65, v69
	v_and_b32_e32 v69, 1, v70
	v_lshlrev_b32_e32 v71, 30, v70
	v_lshlrev_b32_e32 v72, 29, v70
	;; [unrolled: 1-line block ×4, first 2 shown]
	v_add_co_u32 v69, s23, v69, -1
	v_cndmask_b32_e64 v190, 0, 1, s23
	v_not_b32_e32 v194, v71
	v_cmp_gt_i32_e64 s23, 0, v71
	v_not_b32_e32 v71, v72
	v_lshlrev_b32_e32 v193, 26, v70
	v_cmp_ne_u32_e32 vcc_lo, 0, v190
	v_ashrrev_i32_e32 v194, 31, v194
	v_lshlrev_b32_e32 v190, 25, v70
	v_ashrrev_i32_e32 v71, 31, v71
	v_xor_b32_e32 v69, vcc_lo, v69
	v_cmp_gt_i32_e32 vcc_lo, 0, v72
	v_not_b32_e32 v72, v191
	v_xor_b32_e32 v194, s23, v194
	v_cmp_gt_i32_e64 s23, 0, v191
	v_and_b32_e32 v69, exec_lo, v69
	v_not_b32_e32 v191, v192
	v_ashrrev_i32_e32 v72, 31, v72
	v_xor_b32_e32 v71, vcc_lo, v71
	v_cmp_gt_i32_e32 vcc_lo, 0, v192
	v_and_b32_e32 v69, v69, v194
	v_not_b32_e32 v192, v193
	v_ashrrev_i32_e32 v191, 31, v191
	v_xor_b32_e32 v72, s23, v72
	v_cmp_gt_i32_e64 s23, 0, v193
	v_and_b32_e32 v69, v69, v71
	v_not_b32_e32 v71, v190
	v_ashrrev_i32_e32 v192, 31, v192
	v_xor_b32_e32 v191, vcc_lo, v191
	v_cmp_gt_i32_e32 vcc_lo, 0, v190
	v_and_b32_e32 v69, v69, v72
	v_ashrrev_i32_e32 v71, 31, v71
	v_xor_b32_e32 v72, s23, v192
	v_mad_u32_u24 v190, v70, 36, v148
	v_mul_u32_u24_e32 v70, 36, v70
	v_and_b32_e32 v69, v69, v191
	v_xor_b32_e32 v71, vcc_lo, v71
	ds_read_b32 v190, v190 offset:544
	v_add_nc_u32_e32 v192, v148, v70
	v_and_b32_e32 v69, v69, v72
	; wave barrier
	v_and_b32_e32 v69, v69, v71
	v_mbcnt_lo_u32_b32 v191, v69, 0
	v_cmp_ne_u32_e64 s23, 0, v69
	v_cmp_eq_u32_e32 vcc_lo, 0, v191
	s_and_b32 s24, s23, vcc_lo
	s_and_saveexec_b32 s23, s24
	s_cbranch_execz .LBB1148_158
; %bb.157:                              ;   in Loop: Header=BB1148_104 Depth=2
	s_waitcnt lgkmcnt(0)
	v_bcnt_u32_b32 v69, v69, v190
	ds_write_b32 v192, v69 offset:544
.LBB1148_158:                           ;   in Loop: Header=BB1148_104 Depth=2
	s_or_b32 exec_lo, exec_lo, s23
	v_cmp_gt_i64_e32 vcc_lo, 0, v[63:64]
	v_ashrrev_i32_e32 v69, 31, v64
	; wave barrier
	v_not_b32_e32 v69, v69
	v_cndmask_b32_e64 v70, 0x7fffffff, 0, vcc_lo
	v_xor_b32_e32 v63, v69, v63
	v_xor_b32_e32 v64, v70, v64
	v_cmp_ne_u64_e32 vcc_lo, s[56:57], v[63:64]
	v_cndmask_b32_e32 v70, 0x7fffffff, v64, vcc_lo
	v_cndmask_b32_e32 v69, -1, v63, vcc_lo
	v_lshrrev_b64 v[69:70], s63, v[69:70]
	v_and_b32_e32 v70, s65, v69
	v_and_b32_e32 v69, 1, v70
	v_lshlrev_b32_e32 v71, 30, v70
	v_lshlrev_b32_e32 v72, 29, v70
	;; [unrolled: 1-line block ×4, first 2 shown]
	v_add_co_u32 v69, s23, v69, -1
	v_cndmask_b32_e64 v193, 0, 1, s23
	v_not_b32_e32 v197, v71
	v_cmp_gt_i32_e64 s23, 0, v71
	v_not_b32_e32 v71, v72
	v_lshlrev_b32_e32 v196, 26, v70
	v_cmp_ne_u32_e32 vcc_lo, 0, v193
	v_ashrrev_i32_e32 v197, 31, v197
	v_lshlrev_b32_e32 v193, 25, v70
	v_ashrrev_i32_e32 v71, 31, v71
	v_xor_b32_e32 v69, vcc_lo, v69
	v_cmp_gt_i32_e32 vcc_lo, 0, v72
	v_not_b32_e32 v72, v194
	v_xor_b32_e32 v197, s23, v197
	v_cmp_gt_i32_e64 s23, 0, v194
	v_and_b32_e32 v69, exec_lo, v69
	v_not_b32_e32 v194, v195
	v_ashrrev_i32_e32 v72, 31, v72
	v_xor_b32_e32 v71, vcc_lo, v71
	v_cmp_gt_i32_e32 vcc_lo, 0, v195
	v_and_b32_e32 v69, v69, v197
	v_not_b32_e32 v195, v196
	v_ashrrev_i32_e32 v194, 31, v194
	v_xor_b32_e32 v72, s23, v72
	v_cmp_gt_i32_e64 s23, 0, v196
	v_and_b32_e32 v69, v69, v71
	v_not_b32_e32 v71, v193
	v_ashrrev_i32_e32 v195, 31, v195
	v_xor_b32_e32 v194, vcc_lo, v194
	v_cmp_gt_i32_e32 vcc_lo, 0, v193
	v_and_b32_e32 v69, v69, v72
	v_ashrrev_i32_e32 v71, 31, v71
	v_xor_b32_e32 v72, s23, v195
	v_mad_u32_u24 v193, v70, 36, v148
	v_mul_u32_u24_e32 v70, 36, v70
	v_and_b32_e32 v69, v69, v194
	v_xor_b32_e32 v71, vcc_lo, v71
	ds_read_b32 v193, v193 offset:544
	v_add_nc_u32_e32 v195, v148, v70
	v_and_b32_e32 v69, v69, v72
	; wave barrier
	v_and_b32_e32 v69, v69, v71
	v_mbcnt_lo_u32_b32 v194, v69, 0
	v_cmp_ne_u32_e64 s23, 0, v69
	v_cmp_eq_u32_e32 vcc_lo, 0, v194
	s_and_b32 s24, s23, vcc_lo
	s_and_saveexec_b32 s23, s24
	s_cbranch_execz .LBB1148_160
; %bb.159:                              ;   in Loop: Header=BB1148_104 Depth=2
	s_waitcnt lgkmcnt(0)
	v_bcnt_u32_b32 v69, v69, v193
	ds_write_b32 v195, v69 offset:544
.LBB1148_160:                           ;   in Loop: Header=BB1148_104 Depth=2
	s_or_b32 exec_lo, exec_lo, s23
	v_cmp_gt_i64_e32 vcc_lo, 0, v[59:60]
	v_ashrrev_i32_e32 v69, 31, v60
	; wave barrier
	v_not_b32_e32 v69, v69
	v_cndmask_b32_e64 v70, 0x7fffffff, 0, vcc_lo
	v_xor_b32_e32 v59, v69, v59
	v_xor_b32_e32 v60, v70, v60
	v_cmp_ne_u64_e32 vcc_lo, s[56:57], v[59:60]
	v_cndmask_b32_e32 v70, 0x7fffffff, v60, vcc_lo
	v_cndmask_b32_e32 v69, -1, v59, vcc_lo
	v_lshrrev_b64 v[69:70], s63, v[69:70]
	v_and_b32_e32 v70, s65, v69
	v_and_b32_e32 v69, 1, v70
	v_lshlrev_b32_e32 v71, 30, v70
	v_lshlrev_b32_e32 v72, 29, v70
	;; [unrolled: 1-line block ×4, first 2 shown]
	v_add_co_u32 v69, s23, v69, -1
	v_cndmask_b32_e64 v196, 0, 1, s23
	v_not_b32_e32 v200, v71
	v_cmp_gt_i32_e64 s23, 0, v71
	v_not_b32_e32 v71, v72
	v_lshlrev_b32_e32 v199, 26, v70
	v_cmp_ne_u32_e32 vcc_lo, 0, v196
	v_ashrrev_i32_e32 v200, 31, v200
	v_lshlrev_b32_e32 v196, 25, v70
	v_ashrrev_i32_e32 v71, 31, v71
	v_xor_b32_e32 v69, vcc_lo, v69
	v_cmp_gt_i32_e32 vcc_lo, 0, v72
	v_not_b32_e32 v72, v197
	v_xor_b32_e32 v200, s23, v200
	v_cmp_gt_i32_e64 s23, 0, v197
	v_and_b32_e32 v69, exec_lo, v69
	v_not_b32_e32 v197, v198
	v_ashrrev_i32_e32 v72, 31, v72
	v_xor_b32_e32 v71, vcc_lo, v71
	v_cmp_gt_i32_e32 vcc_lo, 0, v198
	v_and_b32_e32 v69, v69, v200
	v_not_b32_e32 v198, v199
	v_ashrrev_i32_e32 v197, 31, v197
	v_xor_b32_e32 v72, s23, v72
	v_cmp_gt_i32_e64 s23, 0, v199
	v_and_b32_e32 v69, v69, v71
	v_not_b32_e32 v71, v196
	v_ashrrev_i32_e32 v198, 31, v198
	v_xor_b32_e32 v197, vcc_lo, v197
	v_cmp_gt_i32_e32 vcc_lo, 0, v196
	v_and_b32_e32 v69, v69, v72
	v_ashrrev_i32_e32 v71, 31, v71
	v_xor_b32_e32 v72, s23, v198
	v_mad_u32_u24 v196, v70, 36, v148
	v_mul_u32_u24_e32 v70, 36, v70
	v_and_b32_e32 v69, v69, v197
	v_xor_b32_e32 v71, vcc_lo, v71
	ds_read_b32 v196, v196 offset:544
	v_add_nc_u32_e32 v200, v148, v70
	v_and_b32_e32 v69, v69, v72
	; wave barrier
	v_and_b32_e32 v69, v69, v71
	v_mbcnt_lo_u32_b32 v197, v69, 0
	v_cmp_ne_u32_e64 s23, 0, v69
	v_cmp_eq_u32_e32 vcc_lo, 0, v197
	s_and_b32 s24, s23, vcc_lo
	s_and_saveexec_b32 s23, s24
	s_cbranch_execz .LBB1148_162
; %bb.161:                              ;   in Loop: Header=BB1148_104 Depth=2
	s_waitcnt lgkmcnt(0)
	v_bcnt_u32_b32 v69, v69, v196
	ds_write_b32 v200, v69 offset:544
.LBB1148_162:                           ;   in Loop: Header=BB1148_104 Depth=2
	s_or_b32 exec_lo, exec_lo, s23
	v_cmp_gt_i64_e32 vcc_lo, 0, v[55:56]
	v_ashrrev_i32_e32 v69, 31, v56
	; wave barrier
	v_not_b32_e32 v69, v69
	v_cndmask_b32_e64 v70, 0x7fffffff, 0, vcc_lo
	v_xor_b32_e32 v55, v69, v55
	v_xor_b32_e32 v56, v70, v56
	v_cmp_ne_u64_e32 vcc_lo, s[56:57], v[55:56]
	v_cndmask_b32_e32 v70, 0x7fffffff, v56, vcc_lo
	v_cndmask_b32_e32 v69, -1, v55, vcc_lo
	v_lshrrev_b64 v[69:70], s63, v[69:70]
	v_and_b32_e32 v70, s65, v69
	v_and_b32_e32 v69, 1, v70
	v_lshlrev_b32_e32 v71, 30, v70
	v_lshlrev_b32_e32 v72, 29, v70
	;; [unrolled: 1-line block ×4, first 2 shown]
	v_add_co_u32 v69, s23, v69, -1
	v_cndmask_b32_e64 v198, 0, 1, s23
	v_not_b32_e32 v203, v71
	v_cmp_gt_i32_e64 s23, 0, v71
	v_not_b32_e32 v71, v72
	v_lshlrev_b32_e32 v202, 26, v70
	v_cmp_ne_u32_e32 vcc_lo, 0, v198
	v_ashrrev_i32_e32 v203, 31, v203
	v_lshlrev_b32_e32 v198, 25, v70
	v_ashrrev_i32_e32 v71, 31, v71
	v_xor_b32_e32 v69, vcc_lo, v69
	v_cmp_gt_i32_e32 vcc_lo, 0, v72
	v_not_b32_e32 v72, v199
	v_xor_b32_e32 v203, s23, v203
	v_cmp_gt_i32_e64 s23, 0, v199
	v_and_b32_e32 v69, exec_lo, v69
	v_not_b32_e32 v199, v201
	v_ashrrev_i32_e32 v72, 31, v72
	v_xor_b32_e32 v71, vcc_lo, v71
	v_cmp_gt_i32_e32 vcc_lo, 0, v201
	v_and_b32_e32 v69, v69, v203
	v_not_b32_e32 v201, v202
	v_ashrrev_i32_e32 v199, 31, v199
	v_xor_b32_e32 v72, s23, v72
	v_cmp_gt_i32_e64 s23, 0, v202
	v_and_b32_e32 v69, v69, v71
	v_not_b32_e32 v71, v198
	v_ashrrev_i32_e32 v201, 31, v201
	v_xor_b32_e32 v199, vcc_lo, v199
	v_cmp_gt_i32_e32 vcc_lo, 0, v198
	v_and_b32_e32 v69, v69, v72
	v_ashrrev_i32_e32 v71, 31, v71
	v_xor_b32_e32 v72, s23, v201
	v_mad_u32_u24 v198, v70, 36, v148
	v_mul_u32_u24_e32 v70, 36, v70
	v_and_b32_e32 v69, v69, v199
	v_xor_b32_e32 v71, vcc_lo, v71
	ds_read_b32 v198, v198 offset:544
	v_add_nc_u32_e32 v203, v148, v70
	v_and_b32_e32 v69, v69, v72
	; wave barrier
	v_and_b32_e32 v69, v69, v71
	v_mbcnt_lo_u32_b32 v199, v69, 0
	v_cmp_ne_u32_e64 s23, 0, v69
	v_cmp_eq_u32_e32 vcc_lo, 0, v199
	s_and_b32 s24, s23, vcc_lo
	s_and_saveexec_b32 s23, s24
	s_cbranch_execz .LBB1148_164
; %bb.163:                              ;   in Loop: Header=BB1148_104 Depth=2
	s_waitcnt lgkmcnt(0)
	v_bcnt_u32_b32 v69, v69, v198
	ds_write_b32 v203, v69 offset:544
.LBB1148_164:                           ;   in Loop: Header=BB1148_104 Depth=2
	s_or_b32 exec_lo, exec_lo, s23
	v_cmp_gt_i64_e32 vcc_lo, 0, v[51:52]
	v_ashrrev_i32_e32 v69, 31, v52
	; wave barrier
	v_not_b32_e32 v69, v69
	v_cndmask_b32_e64 v70, 0x7fffffff, 0, vcc_lo
	v_xor_b32_e32 v51, v69, v51
	v_xor_b32_e32 v52, v70, v52
	v_cmp_ne_u64_e32 vcc_lo, s[56:57], v[51:52]
	v_cndmask_b32_e32 v70, 0x7fffffff, v52, vcc_lo
	v_cndmask_b32_e32 v69, -1, v51, vcc_lo
	v_lshrrev_b64 v[69:70], s63, v[69:70]
	v_and_b32_e32 v70, s65, v69
	v_and_b32_e32 v69, 1, v70
	v_lshlrev_b32_e32 v71, 30, v70
	v_lshlrev_b32_e32 v72, 29, v70
	v_lshlrev_b32_e32 v202, 28, v70
	v_lshlrev_b32_e32 v204, 27, v70
	v_add_co_u32 v69, s23, v69, -1
	v_cndmask_b32_e64 v201, 0, 1, s23
	v_not_b32_e32 v206, v71
	v_cmp_gt_i32_e64 s23, 0, v71
	v_not_b32_e32 v71, v72
	v_lshlrev_b32_e32 v205, 26, v70
	v_cmp_ne_u32_e32 vcc_lo, 0, v201
	v_ashrrev_i32_e32 v206, 31, v206
	v_lshlrev_b32_e32 v201, 25, v70
	v_ashrrev_i32_e32 v71, 31, v71
	v_xor_b32_e32 v69, vcc_lo, v69
	v_cmp_gt_i32_e32 vcc_lo, 0, v72
	v_not_b32_e32 v72, v202
	v_xor_b32_e32 v206, s23, v206
	v_cmp_gt_i32_e64 s23, 0, v202
	v_and_b32_e32 v69, exec_lo, v69
	v_not_b32_e32 v202, v204
	v_ashrrev_i32_e32 v72, 31, v72
	v_xor_b32_e32 v71, vcc_lo, v71
	v_cmp_gt_i32_e32 vcc_lo, 0, v204
	v_and_b32_e32 v69, v69, v206
	v_not_b32_e32 v204, v205
	v_ashrrev_i32_e32 v202, 31, v202
	v_xor_b32_e32 v72, s23, v72
	v_cmp_gt_i32_e64 s23, 0, v205
	v_and_b32_e32 v69, v69, v71
	v_not_b32_e32 v71, v201
	v_ashrrev_i32_e32 v204, 31, v204
	v_xor_b32_e32 v202, vcc_lo, v202
	v_cmp_gt_i32_e32 vcc_lo, 0, v201
	v_and_b32_e32 v69, v69, v72
	v_ashrrev_i32_e32 v71, 31, v71
	v_xor_b32_e32 v72, s23, v204
	v_mad_u32_u24 v201, v70, 36, v148
	v_mul_u32_u24_e32 v70, 36, v70
	v_and_b32_e32 v69, v69, v202
	v_xor_b32_e32 v71, vcc_lo, v71
	ds_read_b32 v201, v201 offset:544
	v_add_nc_u32_e32 v206, v148, v70
	v_and_b32_e32 v69, v69, v72
	; wave barrier
	v_and_b32_e32 v69, v69, v71
	v_mbcnt_lo_u32_b32 v202, v69, 0
	v_cmp_ne_u32_e64 s23, 0, v69
	v_cmp_eq_u32_e32 vcc_lo, 0, v202
	s_and_b32 s24, s23, vcc_lo
	s_and_saveexec_b32 s23, s24
	s_cbranch_execz .LBB1148_166
; %bb.165:                              ;   in Loop: Header=BB1148_104 Depth=2
	s_waitcnt lgkmcnt(0)
	v_bcnt_u32_b32 v69, v69, v201
	ds_write_b32 v206, v69 offset:544
.LBB1148_166:                           ;   in Loop: Header=BB1148_104 Depth=2
	s_or_b32 exec_lo, exec_lo, s23
	v_cmp_gt_i64_e32 vcc_lo, 0, v[47:48]
	v_ashrrev_i32_e32 v69, 31, v48
	; wave barrier
	v_not_b32_e32 v69, v69
	v_cndmask_b32_e64 v70, 0x7fffffff, 0, vcc_lo
	v_xor_b32_e32 v47, v69, v47
	v_xor_b32_e32 v48, v70, v48
	v_cmp_ne_u64_e32 vcc_lo, s[56:57], v[47:48]
	v_cndmask_b32_e32 v70, 0x7fffffff, v48, vcc_lo
	v_cndmask_b32_e32 v69, -1, v47, vcc_lo
	v_lshrrev_b64 v[69:70], s63, v[69:70]
	v_and_b32_e32 v70, s65, v69
	v_and_b32_e32 v69, 1, v70
	v_lshlrev_b32_e32 v71, 30, v70
	v_lshlrev_b32_e32 v72, 29, v70
	;; [unrolled: 1-line block ×4, first 2 shown]
	v_add_co_u32 v69, s23, v69, -1
	v_cndmask_b32_e64 v204, 0, 1, s23
	v_not_b32_e32 v209, v71
	v_cmp_gt_i32_e64 s23, 0, v71
	v_not_b32_e32 v71, v72
	v_lshlrev_b32_e32 v208, 26, v70
	v_cmp_ne_u32_e32 vcc_lo, 0, v204
	v_ashrrev_i32_e32 v209, 31, v209
	v_lshlrev_b32_e32 v204, 25, v70
	v_ashrrev_i32_e32 v71, 31, v71
	v_xor_b32_e32 v69, vcc_lo, v69
	v_cmp_gt_i32_e32 vcc_lo, 0, v72
	v_not_b32_e32 v72, v205
	v_xor_b32_e32 v209, s23, v209
	v_cmp_gt_i32_e64 s23, 0, v205
	v_and_b32_e32 v69, exec_lo, v69
	v_not_b32_e32 v205, v207
	v_ashrrev_i32_e32 v72, 31, v72
	v_xor_b32_e32 v71, vcc_lo, v71
	v_cmp_gt_i32_e32 vcc_lo, 0, v207
	v_and_b32_e32 v69, v69, v209
	v_not_b32_e32 v207, v208
	v_ashrrev_i32_e32 v205, 31, v205
	v_xor_b32_e32 v72, s23, v72
	v_cmp_gt_i32_e64 s23, 0, v208
	v_and_b32_e32 v69, v69, v71
	v_not_b32_e32 v71, v204
	v_ashrrev_i32_e32 v207, 31, v207
	v_xor_b32_e32 v205, vcc_lo, v205
	v_cmp_gt_i32_e32 vcc_lo, 0, v204
	v_and_b32_e32 v69, v69, v72
	v_ashrrev_i32_e32 v71, 31, v71
	v_xor_b32_e32 v72, s23, v207
	v_mad_u32_u24 v204, v70, 36, v148
	v_mul_u32_u24_e32 v70, 36, v70
	v_and_b32_e32 v69, v69, v205
	v_xor_b32_e32 v71, vcc_lo, v71
	ds_read_b32 v204, v204 offset:544
	v_add_nc_u32_e32 v209, v148, v70
	v_and_b32_e32 v69, v69, v72
	; wave barrier
	v_and_b32_e32 v69, v69, v71
	v_mbcnt_lo_u32_b32 v205, v69, 0
	v_cmp_ne_u32_e64 s23, 0, v69
	v_cmp_eq_u32_e32 vcc_lo, 0, v205
	s_and_b32 s24, s23, vcc_lo
	s_and_saveexec_b32 s23, s24
	s_cbranch_execz .LBB1148_168
; %bb.167:                              ;   in Loop: Header=BB1148_104 Depth=2
	s_waitcnt lgkmcnt(0)
	v_bcnt_u32_b32 v69, v69, v204
	ds_write_b32 v209, v69 offset:544
.LBB1148_168:                           ;   in Loop: Header=BB1148_104 Depth=2
	s_or_b32 exec_lo, exec_lo, s23
	v_cmp_gt_i64_e32 vcc_lo, 0, v[43:44]
	v_ashrrev_i32_e32 v69, 31, v44
	; wave barrier
	v_not_b32_e32 v69, v69
	v_cndmask_b32_e64 v70, 0x7fffffff, 0, vcc_lo
	v_xor_b32_e32 v43, v69, v43
	v_xor_b32_e32 v44, v70, v44
	v_cmp_ne_u64_e32 vcc_lo, s[56:57], v[43:44]
	v_cndmask_b32_e32 v70, 0x7fffffff, v44, vcc_lo
	v_cndmask_b32_e32 v69, -1, v43, vcc_lo
	v_lshrrev_b64 v[69:70], s63, v[69:70]
	v_and_b32_e32 v70, s65, v69
	v_and_b32_e32 v69, 1, v70
	v_lshlrev_b32_e32 v71, 30, v70
	v_lshlrev_b32_e32 v72, 29, v70
	;; [unrolled: 1-line block ×4, first 2 shown]
	v_add_co_u32 v69, s23, v69, -1
	v_cndmask_b32_e64 v207, 0, 1, s23
	v_not_b32_e32 v212, v71
	v_cmp_gt_i32_e64 s23, 0, v71
	v_not_b32_e32 v71, v72
	v_lshlrev_b32_e32 v211, 26, v70
	v_cmp_ne_u32_e32 vcc_lo, 0, v207
	v_ashrrev_i32_e32 v212, 31, v212
	v_lshlrev_b32_e32 v207, 25, v70
	v_ashrrev_i32_e32 v71, 31, v71
	v_xor_b32_e32 v69, vcc_lo, v69
	v_cmp_gt_i32_e32 vcc_lo, 0, v72
	v_not_b32_e32 v72, v208
	v_xor_b32_e32 v212, s23, v212
	v_cmp_gt_i32_e64 s23, 0, v208
	v_and_b32_e32 v69, exec_lo, v69
	v_not_b32_e32 v208, v210
	v_ashrrev_i32_e32 v72, 31, v72
	v_xor_b32_e32 v71, vcc_lo, v71
	v_cmp_gt_i32_e32 vcc_lo, 0, v210
	v_and_b32_e32 v69, v69, v212
	v_not_b32_e32 v210, v211
	v_ashrrev_i32_e32 v208, 31, v208
	v_xor_b32_e32 v72, s23, v72
	v_cmp_gt_i32_e64 s23, 0, v211
	v_and_b32_e32 v69, v69, v71
	v_not_b32_e32 v71, v207
	v_ashrrev_i32_e32 v210, 31, v210
	v_xor_b32_e32 v208, vcc_lo, v208
	v_cmp_gt_i32_e32 vcc_lo, 0, v207
	v_and_b32_e32 v69, v69, v72
	v_ashrrev_i32_e32 v71, 31, v71
	v_xor_b32_e32 v72, s23, v210
	v_mad_u32_u24 v207, v70, 36, v148
	v_mul_u32_u24_e32 v70, 36, v70
	v_and_b32_e32 v69, v69, v208
	v_xor_b32_e32 v71, vcc_lo, v71
	ds_read_b32 v207, v207 offset:544
	v_add_nc_u32_e32 v212, v148, v70
	v_and_b32_e32 v69, v69, v72
	; wave barrier
	v_and_b32_e32 v69, v69, v71
	v_mbcnt_lo_u32_b32 v208, v69, 0
	v_cmp_ne_u32_e64 s23, 0, v69
	v_cmp_eq_u32_e32 vcc_lo, 0, v208
	s_and_b32 s24, s23, vcc_lo
	s_and_saveexec_b32 s23, s24
	s_cbranch_execz .LBB1148_170
; %bb.169:                              ;   in Loop: Header=BB1148_104 Depth=2
	s_waitcnt lgkmcnt(0)
	v_bcnt_u32_b32 v69, v69, v207
	ds_write_b32 v212, v69 offset:544
.LBB1148_170:                           ;   in Loop: Header=BB1148_104 Depth=2
	s_or_b32 exec_lo, exec_lo, s23
	v_cmp_gt_i64_e32 vcc_lo, 0, v[45:46]
	v_ashrrev_i32_e32 v69, 31, v46
	; wave barrier
	v_not_b32_e32 v69, v69
	v_cndmask_b32_e64 v70, 0x7fffffff, 0, vcc_lo
	v_xor_b32_e32 v45, v69, v45
	v_xor_b32_e32 v46, v70, v46
	v_cmp_ne_u64_e32 vcc_lo, s[56:57], v[45:46]
	v_cndmask_b32_e32 v70, 0x7fffffff, v46, vcc_lo
	v_cndmask_b32_e32 v69, -1, v45, vcc_lo
	v_lshrrev_b64 v[69:70], s63, v[69:70]
	v_and_b32_e32 v70, s65, v69
	v_and_b32_e32 v69, 1, v70
	v_lshlrev_b32_e32 v71, 30, v70
	v_lshlrev_b32_e32 v72, 29, v70
	;; [unrolled: 1-line block ×4, first 2 shown]
	v_add_co_u32 v69, s23, v69, -1
	v_cndmask_b32_e64 v210, 0, 1, s23
	v_not_b32_e32 v215, v71
	v_cmp_gt_i32_e64 s23, 0, v71
	v_not_b32_e32 v71, v72
	v_lshlrev_b32_e32 v214, 26, v70
	v_cmp_ne_u32_e32 vcc_lo, 0, v210
	v_ashrrev_i32_e32 v215, 31, v215
	v_lshlrev_b32_e32 v210, 25, v70
	v_ashrrev_i32_e32 v71, 31, v71
	v_xor_b32_e32 v69, vcc_lo, v69
	v_cmp_gt_i32_e32 vcc_lo, 0, v72
	v_not_b32_e32 v72, v211
	v_xor_b32_e32 v215, s23, v215
	v_cmp_gt_i32_e64 s23, 0, v211
	v_and_b32_e32 v69, exec_lo, v69
	v_not_b32_e32 v211, v213
	v_ashrrev_i32_e32 v72, 31, v72
	v_xor_b32_e32 v71, vcc_lo, v71
	v_cmp_gt_i32_e32 vcc_lo, 0, v213
	v_and_b32_e32 v69, v69, v215
	v_not_b32_e32 v213, v214
	v_ashrrev_i32_e32 v211, 31, v211
	v_xor_b32_e32 v72, s23, v72
	v_cmp_gt_i32_e64 s23, 0, v214
	v_and_b32_e32 v69, v69, v71
	v_not_b32_e32 v71, v210
	v_ashrrev_i32_e32 v213, 31, v213
	v_xor_b32_e32 v211, vcc_lo, v211
	v_cmp_gt_i32_e32 vcc_lo, 0, v210
	v_and_b32_e32 v69, v69, v72
	v_ashrrev_i32_e32 v71, 31, v71
	v_xor_b32_e32 v72, s23, v213
	v_mad_u32_u24 v210, v70, 36, v148
	v_mul_u32_u24_e32 v70, 36, v70
	v_and_b32_e32 v69, v69, v211
	v_xor_b32_e32 v71, vcc_lo, v71
	ds_read_b32 v210, v210 offset:544
	v_add_nc_u32_e32 v213, v148, v70
	v_and_b32_e32 v69, v69, v72
	; wave barrier
	v_and_b32_e32 v69, v69, v71
	v_mbcnt_lo_u32_b32 v211, v69, 0
	v_cmp_ne_u32_e64 s23, 0, v69
	v_cmp_eq_u32_e32 vcc_lo, 0, v211
	s_and_b32 s24, s23, vcc_lo
	s_and_saveexec_b32 s23, s24
	s_cbranch_execz .LBB1148_172
; %bb.171:                              ;   in Loop: Header=BB1148_104 Depth=2
	s_waitcnt lgkmcnt(0)
	v_bcnt_u32_b32 v69, v69, v210
	ds_write_b32 v213, v69 offset:544
.LBB1148_172:                           ;   in Loop: Header=BB1148_104 Depth=2
	s_or_b32 exec_lo, exec_lo, s23
	; wave barrier
	s_waitcnt lgkmcnt(0)
	s_barrier
	buffer_gl0_inv
	ds_read2_b32 v[71:72], v98 offset0:136 offset1:137
	ds_read2_b32 v[69:70], v98 offset0:138 offset1:139
	ds_read_b32 v214, v98 offset:560
	s_waitcnt lgkmcnt(1)
	v_add3_u32 v215, v72, v71, v69
	s_waitcnt lgkmcnt(0)
	v_add3_u32 v214, v215, v70, v214
	v_mov_b32_dpp v215, v214 row_shr:1 row_mask:0xf bank_mask:0xf
	v_cndmask_b32_e64 v215, v215, 0, s14
	v_add_nc_u32_e32 v214, v215, v214
	v_mov_b32_dpp v215, v214 row_shr:2 row_mask:0xf bank_mask:0xf
	v_cndmask_b32_e64 v215, 0, v215, s15
	v_add_nc_u32_e32 v214, v214, v215
	;; [unrolled: 3-line block ×4, first 2 shown]
	ds_swizzle_b32 v215, v214 offset:swizzle(BROADCAST,32,15)
	s_waitcnt lgkmcnt(0)
	v_cndmask_b32_e64 v215, v215, 0, s18
	v_add_nc_u32_e32 v214, v214, v215
	s_and_saveexec_b32 s23, s4
; %bb.173:                              ;   in Loop: Header=BB1148_104 Depth=2
	ds_write_b32 v92, v214 offset:512
; %bb.174:                              ;   in Loop: Header=BB1148_104 Depth=2
	s_or_b32 exec_lo, exec_lo, s23
	s_waitcnt lgkmcnt(0)
	s_barrier
	buffer_gl0_inv
	s_and_saveexec_b32 s23, s5
	s_cbranch_execz .LBB1148_176
; %bb.175:                              ;   in Loop: Header=BB1148_104 Depth=2
	ds_read_b32 v215, v99 offset:512
	s_waitcnt lgkmcnt(0)
	v_mov_b32_dpp v216, v215 row_shr:1 row_mask:0xf bank_mask:0xf
	v_cndmask_b32_e64 v216, v216, 0, s20
	v_add_nc_u32_e32 v215, v216, v215
	v_mov_b32_dpp v216, v215 row_shr:2 row_mask:0xf bank_mask:0xf
	v_cndmask_b32_e64 v216, 0, v216, s21
	v_add_nc_u32_e32 v215, v215, v216
	;; [unrolled: 3-line block ×3, first 2 shown]
	ds_write_b32 v99, v215 offset:512
.LBB1148_176:                           ;   in Loop: Header=BB1148_104 Depth=2
	s_or_b32 exec_lo, exec_lo, s23
	v_mov_b32_e32 v215, 0
	s_waitcnt lgkmcnt(0)
	s_barrier
	buffer_gl0_inv
	s_and_saveexec_b32 s23, s11
; %bb.177:                              ;   in Loop: Header=BB1148_104 Depth=2
	ds_read_b32 v215, v92 offset:508
; %bb.178:                              ;   in Loop: Header=BB1148_104 Depth=2
	s_or_b32 exec_lo, exec_lo, s23
	s_waitcnt lgkmcnt(0)
	v_add_nc_u32_e32 v214, v215, v214
	ds_bpermute_b32 v214, v127, v214
	s_waitcnt lgkmcnt(0)
	v_cndmask_b32_e64 v214, v214, v215, s19
	v_cndmask_b32_e64 v214, v214, 0, s12
	v_add_nc_u32_e32 v71, v214, v71
	v_add_nc_u32_e32 v72, v71, v72
	;; [unrolled: 1-line block ×4, first 2 shown]
	ds_write2_b32 v98, v214, v71 offset0:136 offset1:137
	ds_write2_b32 v98, v72, v69 offset0:138 offset1:139
	ds_write_b32 v98, v70 offset:560
	s_waitcnt lgkmcnt(0)
	s_barrier
	buffer_gl0_inv
	ds_read_b32 v69, v168 offset:544
	ds_read_b32 v217, v171 offset:544
	;; [unrolled: 1-line block ×16, first 2 shown]
	s_and_saveexec_b32 s23, s8
	s_cbranch_execz .LBB1148_182
; %bb.179:                              ;   in Loop: Header=BB1148_104 Depth=2
	ds_read_b32 v156, v101 offset:544
	v_mov_b32_e32 v166, 0x1000
	s_and_saveexec_b32 s24, s13
; %bb.180:                              ;   in Loop: Header=BB1148_104 Depth=2
	ds_read_b32 v166, v100 offset:544
; %bb.181:                              ;   in Loop: Header=BB1148_104 Depth=2
	s_or_b32 exec_lo, exec_lo, s24
	s_waitcnt lgkmcnt(0)
	v_sub_nc_u32_e32 v166, v166, v156
.LBB1148_182:                           ;   in Loop: Header=BB1148_104 Depth=2
	s_or_b32 exec_lo, exec_lo, s23
	s_waitcnt lgkmcnt(0)
	s_barrier
	buffer_gl0_inv
	s_and_saveexec_b32 s23, s8
	s_cbranch_execz .LBB1148_184
; %bb.183:                              ;   in Loop: Header=BB1148_104 Depth=2
	ds_read_b32 v192, v73
	s_waitcnt lgkmcnt(0)
	v_sub_nc_u32_e32 v192, v192, v156
	ds_write_b32 v73, v192
.LBB1148_184:                           ;   in Loop: Header=BB1148_104 Depth=2
	s_or_b32 exec_lo, exec_lo, s23
	v_lshlrev_b32_e32 v3, 3, v3
	v_lshlrev_b32_e32 v170, 3, v170
	;; [unrolled: 1-line block ×5, first 2 shown]
	v_lshl_add_u32 v69, v69, 3, v3
	v_lshlrev_b32_e32 v3, 3, v172
	v_lshlrev_b32_e32 v172, 3, v70
	;; [unrolled: 1-line block ×3, first 2 shown]
	v_add3_u32 v70, v170, v169, v192
	ds_write_b64 v69, v[37:38] offset:512
	v_lshlrev_b32_e32 v37, 3, v175
	v_lshlrev_b32_e32 v38, 3, v216
	;; [unrolled: 1-line block ×8, first 2 shown]
	ds_write_b64 v70, v[39:40] offset:512
	v_add3_u32 v39, v173, v3, v172
	v_add3_u32 v40, v176, v37, v38
	v_lshlrev_b32_e32 v3, 3, v185
	v_lshlrev_b32_e32 v37, 3, v184
	;; [unrolled: 1-line block ×3, first 2 shown]
	v_add3_u32 v71, v169, v170, v72
	v_add3_u32 v72, v175, v178, v179
	ds_write_b64 v39, v[41:42] offset:512
	ds_write_b64 v40, v[49:50] offset:512
	;; [unrolled: 1-line block ×4, first 2 shown]
	v_add3_u32 v41, v3, v37, v38
	v_lshlrev_b32_e32 v3, 3, v188
	v_lshlrev_b32_e32 v37, 3, v187
	;; [unrolled: 1-line block ×12, first 2 shown]
	v_add3_u32 v42, v3, v37, v38
	v_lshlrev_b32_e32 v3, 3, v199
	v_lshlrev_b32_e32 v37, 3, v198
	;; [unrolled: 1-line block ×3, first 2 shown]
	v_add3_u32 v49, v49, v50, v53
	v_add3_u32 v50, v54, v57, v58
	;; [unrolled: 1-line block ×3, first 2 shown]
	ds_write_b64 v41, v[61:62] offset:512
	ds_write_b64 v42, v[65:66] offset:512
	;; [unrolled: 1-line block ×5, first 2 shown]
	v_add3_u32 v54, v3, v37, v38
	v_lshlrev_b32_e32 v3, 3, v202
	v_lshlrev_b32_e32 v37, 3, v201
	;; [unrolled: 1-line block ×12, first 2 shown]
	v_add3_u32 v57, v3, v37, v38
	v_add3_u32 v58, v58, v59, v60
	;; [unrolled: 1-line block ×3, first 2 shown]
	ds_write_b64 v54, v[55:56] offset:512
	v_add3_u32 v55, v64, v65, v66
	v_cmp_lt_u32_e32 vcc_lo, v0, v167
	ds_write_b64 v57, v[51:52] offset:512
	ds_write_b64 v58, v[47:48] offset:512
	ds_write_b64 v59, v[43:44] offset:512
	ds_write_b64 v55, v[45:46] offset:512
	s_waitcnt lgkmcnt(0)
	s_barrier
	buffer_gl0_inv
	s_and_saveexec_b32 s24, vcc_lo
	s_cbranch_execnz .LBB1148_253
; %bb.185:                              ;   in Loop: Header=BB1148_104 Depth=2
	s_or_b32 exec_lo, exec_lo, s24
	v_cmp_lt_u32_e64 s23, v74, v167
	s_and_saveexec_b32 s25, s23
	s_cbranch_execnz .LBB1148_254
.LBB1148_186:                           ;   in Loop: Header=BB1148_104 Depth=2
	s_or_b32 exec_lo, exec_lo, s25
	v_cmp_lt_u32_e64 s24, v77, v167
	s_and_saveexec_b32 s26, s24
	s_cbranch_execnz .LBB1148_255
.LBB1148_187:                           ;   in Loop: Header=BB1148_104 Depth=2
	s_or_b32 exec_lo, exec_lo, s26
	v_cmp_lt_u32_e64 s25, v78, v167
	s_and_saveexec_b32 s27, s25
	s_cbranch_execnz .LBB1148_256
.LBB1148_188:                           ;   in Loop: Header=BB1148_104 Depth=2
	s_or_b32 exec_lo, exec_lo, s27
	v_cmp_lt_u32_e64 s26, v79, v167
	s_and_saveexec_b32 s28, s26
	s_cbranch_execnz .LBB1148_257
.LBB1148_189:                           ;   in Loop: Header=BB1148_104 Depth=2
	s_or_b32 exec_lo, exec_lo, s28
	v_cmp_lt_u32_e64 s27, v80, v167
	s_and_saveexec_b32 s29, s27
	s_cbranch_execnz .LBB1148_258
.LBB1148_190:                           ;   in Loop: Header=BB1148_104 Depth=2
	s_or_b32 exec_lo, exec_lo, s29
	v_cmp_lt_u32_e64 s28, v81, v167
	s_and_saveexec_b32 s30, s28
	s_cbranch_execnz .LBB1148_259
.LBB1148_191:                           ;   in Loop: Header=BB1148_104 Depth=2
	s_or_b32 exec_lo, exec_lo, s30
	v_cmp_lt_u32_e64 s29, v82, v167
	s_and_saveexec_b32 s31, s29
	s_cbranch_execnz .LBB1148_260
.LBB1148_192:                           ;   in Loop: Header=BB1148_104 Depth=2
	s_or_b32 exec_lo, exec_lo, s31
	v_cmp_lt_u32_e64 s30, v83, v167
	s_and_saveexec_b32 s33, s30
	s_cbranch_execnz .LBB1148_261
.LBB1148_193:                           ;   in Loop: Header=BB1148_104 Depth=2
	s_or_b32 exec_lo, exec_lo, s33
	v_cmp_lt_u32_e64 s31, v84, v167
	s_and_saveexec_b32 s34, s31
	s_cbranch_execnz .LBB1148_262
.LBB1148_194:                           ;   in Loop: Header=BB1148_104 Depth=2
	s_or_b32 exec_lo, exec_lo, s34
	v_cmp_lt_u32_e64 s33, v85, v167
	s_and_saveexec_b32 s35, s33
	s_cbranch_execnz .LBB1148_263
.LBB1148_195:                           ;   in Loop: Header=BB1148_104 Depth=2
	s_or_b32 exec_lo, exec_lo, s35
	v_cmp_lt_u32_e64 s34, v86, v167
	s_and_saveexec_b32 s36, s34
	s_cbranch_execnz .LBB1148_264
.LBB1148_196:                           ;   in Loop: Header=BB1148_104 Depth=2
	s_or_b32 exec_lo, exec_lo, s36
	v_cmp_lt_u32_e64 s35, v87, v167
	s_and_saveexec_b32 s37, s35
	s_cbranch_execnz .LBB1148_265
.LBB1148_197:                           ;   in Loop: Header=BB1148_104 Depth=2
	s_or_b32 exec_lo, exec_lo, s37
	v_cmp_lt_u32_e64 s36, v88, v167
	s_and_saveexec_b32 s38, s36
	s_cbranch_execnz .LBB1148_266
.LBB1148_198:                           ;   in Loop: Header=BB1148_104 Depth=2
	s_or_b32 exec_lo, exec_lo, s38
	v_cmp_lt_u32_e64 s37, v89, v167
	s_and_saveexec_b32 s39, s37
	s_cbranch_execnz .LBB1148_267
.LBB1148_199:                           ;   in Loop: Header=BB1148_104 Depth=2
	s_or_b32 exec_lo, exec_lo, s39
	v_cmp_lt_u32_e64 s38, v90, v167
	s_and_saveexec_b32 s47, s38
	s_cbranch_execz .LBB1148_201
.LBB1148_200:                           ;   in Loop: Header=BB1148_104 Depth=2
	ds_read_b64 v[37:38], v106 offset:31232
	s_waitcnt lgkmcnt(0)
	v_cmp_ne_u64_e64 s39, s[56:57], v[37:38]
	v_cndmask_b32_e64 v44, 0x7fffffff, v38, s39
	v_cndmask_b32_e64 v43, -1, v37, s39
	v_cmp_gt_i64_e64 s39, 0, v[37:38]
	v_lshrrev_b64 v[43:44], s63, v[43:44]
	v_cndmask_b32_e64 v45, 0x7fffffff, 0, s39
	v_and_b32_e32 v3, s65, v43
	v_ashrrev_i32_e32 v43, 31, v38
	v_xor_b32_e32 v38, v45, v38
	v_lshlrev_b32_e32 v3, 2, v3
	v_not_b32_e32 v46, v43
	ds_read_b32 v3, v3
	v_xor_b32_e32 v37, v46, v37
	s_waitcnt lgkmcnt(0)
	v_add_nc_u32_e32 v3, v3, v90
	v_lshlrev_b64 v[43:44], 3, v[3:4]
	v_add_co_u32 v43, s39, s42, v43
	v_add_co_ci_u32_e64 v44, null, s43, v44, s39
	global_store_dwordx2 v[43:44], v[37:38], off
.LBB1148_201:                           ;   in Loop: Header=BB1148_104 Depth=2
	s_or_b32 exec_lo, exec_lo, s47
	s_mov_b32 s47, s56
	s_lshl_b64 s[46:47], s[46:47], 3
	v_add_co_u32 v37, s39, v129, s46
	v_add_co_ci_u32_e64 v38, null, s47, v130, s39
	v_cmp_lt_u32_e64 s39, v128, v167
	s_and_saveexec_b32 s46, s39
	s_xor_b32 s39, exec_lo, s46
	s_cbranch_execnz .LBB1148_268
; %bb.202:                              ;   in Loop: Header=BB1148_104 Depth=2
	s_or_b32 exec_lo, exec_lo, s39
	s_mov_b32 s46, exec_lo
	v_cmpx_lt_u32_e64 v131, v167
	s_cbranch_execnz .LBB1148_269
.LBB1148_203:                           ;   in Loop: Header=BB1148_104 Depth=2
	s_or_b32 exec_lo, exec_lo, s46
	s_mov_b32 s46, exec_lo
	v_cmpx_lt_u32_e64 v132, v167
	s_cbranch_execnz .LBB1148_270
.LBB1148_204:                           ;   in Loop: Header=BB1148_104 Depth=2
	s_or_b32 exec_lo, exec_lo, s46
	s_mov_b32 s46, exec_lo
	v_cmpx_lt_u32_e64 v133, v167
	s_cbranch_execnz .LBB1148_271
.LBB1148_205:                           ;   in Loop: Header=BB1148_104 Depth=2
	s_or_b32 exec_lo, exec_lo, s46
	s_mov_b32 s46, exec_lo
	v_cmpx_lt_u32_e64 v134, v167
	s_cbranch_execnz .LBB1148_272
.LBB1148_206:                           ;   in Loop: Header=BB1148_104 Depth=2
	s_or_b32 exec_lo, exec_lo, s46
	s_mov_b32 s46, exec_lo
	v_cmpx_lt_u32_e64 v135, v167
	s_cbranch_execnz .LBB1148_273
.LBB1148_207:                           ;   in Loop: Header=BB1148_104 Depth=2
	s_or_b32 exec_lo, exec_lo, s46
	s_mov_b32 s46, exec_lo
	v_cmpx_lt_u32_e64 v136, v167
	s_cbranch_execnz .LBB1148_274
.LBB1148_208:                           ;   in Loop: Header=BB1148_104 Depth=2
	s_or_b32 exec_lo, exec_lo, s46
	s_mov_b32 s46, exec_lo
	v_cmpx_lt_u32_e64 v137, v167
	s_cbranch_execnz .LBB1148_275
.LBB1148_209:                           ;   in Loop: Header=BB1148_104 Depth=2
	s_or_b32 exec_lo, exec_lo, s46
	s_mov_b32 s46, exec_lo
	v_cmpx_lt_u32_e64 v138, v167
	s_cbranch_execnz .LBB1148_276
.LBB1148_210:                           ;   in Loop: Header=BB1148_104 Depth=2
	s_or_b32 exec_lo, exec_lo, s46
	s_mov_b32 s46, exec_lo
	v_cmpx_lt_u32_e64 v139, v167
	s_cbranch_execnz .LBB1148_277
.LBB1148_211:                           ;   in Loop: Header=BB1148_104 Depth=2
	s_or_b32 exec_lo, exec_lo, s46
	s_mov_b32 s46, exec_lo
	v_cmpx_lt_u32_e64 v140, v167
	s_cbranch_execnz .LBB1148_278
.LBB1148_212:                           ;   in Loop: Header=BB1148_104 Depth=2
	s_or_b32 exec_lo, exec_lo, s46
	s_mov_b32 s46, exec_lo
	v_cmpx_lt_u32_e64 v141, v167
	s_cbranch_execnz .LBB1148_279
.LBB1148_213:                           ;   in Loop: Header=BB1148_104 Depth=2
	s_or_b32 exec_lo, exec_lo, s46
	s_mov_b32 s46, exec_lo
	v_cmpx_lt_u32_e64 v142, v167
	s_cbranch_execnz .LBB1148_280
.LBB1148_214:                           ;   in Loop: Header=BB1148_104 Depth=2
	s_or_b32 exec_lo, exec_lo, s46
	s_mov_b32 s46, exec_lo
	v_cmpx_lt_u32_e64 v143, v167
	s_cbranch_execnz .LBB1148_281
.LBB1148_215:                           ;   in Loop: Header=BB1148_104 Depth=2
	s_or_b32 exec_lo, exec_lo, s46
	s_mov_b32 s46, exec_lo
	v_cmpx_lt_u32_e64 v144, v167
	s_cbranch_execnz .LBB1148_282
.LBB1148_216:                           ;   in Loop: Header=BB1148_104 Depth=2
	s_or_b32 exec_lo, exec_lo, s46
	s_mov_b32 s46, exec_lo
	v_cmpx_lt_u32_e64 v145, v167
	s_cbranch_execnz .LBB1148_283
.LBB1148_217:                           ;   in Loop: Header=BB1148_104 Depth=2
	s_or_b32 exec_lo, exec_lo, s46
	s_and_saveexec_b32 s46, vcc_lo
	s_cbranch_execnz .LBB1148_284
.LBB1148_218:                           ;   in Loop: Header=BB1148_104 Depth=2
	s_or_b32 exec_lo, exec_lo, s46
	s_and_saveexec_b32 s46, s23
	s_cbranch_execnz .LBB1148_285
.LBB1148_219:                           ;   in Loop: Header=BB1148_104 Depth=2
	s_or_b32 exec_lo, exec_lo, s46
	s_and_saveexec_b32 s46, s24
	s_cbranch_execnz .LBB1148_286
.LBB1148_220:                           ;   in Loop: Header=BB1148_104 Depth=2
	s_or_b32 exec_lo, exec_lo, s46
	s_and_saveexec_b32 s46, s25
	s_cbranch_execnz .LBB1148_287
.LBB1148_221:                           ;   in Loop: Header=BB1148_104 Depth=2
	s_or_b32 exec_lo, exec_lo, s46
	s_and_saveexec_b32 s46, s26
	s_cbranch_execnz .LBB1148_288
.LBB1148_222:                           ;   in Loop: Header=BB1148_104 Depth=2
	s_or_b32 exec_lo, exec_lo, s46
	s_and_saveexec_b32 s46, s27
	s_cbranch_execnz .LBB1148_289
.LBB1148_223:                           ;   in Loop: Header=BB1148_104 Depth=2
	s_or_b32 exec_lo, exec_lo, s46
	s_and_saveexec_b32 s46, s28
	s_cbranch_execnz .LBB1148_290
.LBB1148_224:                           ;   in Loop: Header=BB1148_104 Depth=2
	s_or_b32 exec_lo, exec_lo, s46
	s_and_saveexec_b32 s46, s29
	s_cbranch_execnz .LBB1148_291
.LBB1148_225:                           ;   in Loop: Header=BB1148_104 Depth=2
	s_or_b32 exec_lo, exec_lo, s46
	s_and_saveexec_b32 s46, s30
	s_cbranch_execnz .LBB1148_292
.LBB1148_226:                           ;   in Loop: Header=BB1148_104 Depth=2
	s_or_b32 exec_lo, exec_lo, s46
	s_and_saveexec_b32 s46, s31
	s_cbranch_execnz .LBB1148_293
.LBB1148_227:                           ;   in Loop: Header=BB1148_104 Depth=2
	s_or_b32 exec_lo, exec_lo, s46
	s_and_saveexec_b32 s46, s33
	s_cbranch_execnz .LBB1148_294
.LBB1148_228:                           ;   in Loop: Header=BB1148_104 Depth=2
	s_or_b32 exec_lo, exec_lo, s46
	s_and_saveexec_b32 s46, s34
	s_cbranch_execnz .LBB1148_295
.LBB1148_229:                           ;   in Loop: Header=BB1148_104 Depth=2
	s_or_b32 exec_lo, exec_lo, s46
	s_and_saveexec_b32 s46, s35
	s_cbranch_execnz .LBB1148_296
.LBB1148_230:                           ;   in Loop: Header=BB1148_104 Depth=2
	s_or_b32 exec_lo, exec_lo, s46
	s_and_saveexec_b32 s46, s36
	s_cbranch_execnz .LBB1148_297
.LBB1148_231:                           ;   in Loop: Header=BB1148_104 Depth=2
	s_or_b32 exec_lo, exec_lo, s46
	s_and_saveexec_b32 s46, s37
	s_cbranch_execnz .LBB1148_298
.LBB1148_232:                           ;   in Loop: Header=BB1148_104 Depth=2
	s_or_b32 exec_lo, exec_lo, s46
	s_and_saveexec_b32 s46, s38
	s_cbranch_execz .LBB1148_234
.LBB1148_233:                           ;   in Loop: Header=BB1148_104 Depth=2
	ds_read_b64 v[37:38], v106 offset:31232
	s_waitcnt lgkmcnt(0)
	v_cmp_ne_u64_e64 s39, s[56:57], v[37:38]
	v_cndmask_b32_e64 v38, 0x7fffffff, v38, s39
	v_cndmask_b32_e64 v37, -1, v37, s39
	v_lshrrev_b64 v[37:38], s63, v[37:38]
	v_and_b32_e32 v149, s65, v37
.LBB1148_234:                           ;   in Loop: Header=BB1148_104 Depth=2
	s_or_b32 exec_lo, exec_lo, s46
	s_waitcnt vmcnt(0)
	s_waitcnt_vscnt null, 0x0
	s_barrier
	buffer_gl0_inv
	ds_write_b64 v69, v[35:36] offset:512
	ds_write_b64 v70, v[33:34] offset:512
	;; [unrolled: 1-line block ×16, first 2 shown]
	s_waitcnt lgkmcnt(0)
	s_barrier
	buffer_gl0_inv
	s_and_saveexec_b32 s39, vcc_lo
	s_cbranch_execnz .LBB1148_299
; %bb.235:                              ;   in Loop: Header=BB1148_104 Depth=2
	s_or_b32 exec_lo, exec_lo, s39
	s_and_saveexec_b32 s39, s23
	s_cbranch_execnz .LBB1148_300
.LBB1148_236:                           ;   in Loop: Header=BB1148_104 Depth=2
	s_or_b32 exec_lo, exec_lo, s39
	s_and_saveexec_b32 s23, s24
	s_cbranch_execnz .LBB1148_301
.LBB1148_237:                           ;   in Loop: Header=BB1148_104 Depth=2
	s_or_b32 exec_lo, exec_lo, s23
	s_and_saveexec_b32 s23, s25
	s_cbranch_execnz .LBB1148_302
.LBB1148_238:                           ;   in Loop: Header=BB1148_104 Depth=2
	s_or_b32 exec_lo, exec_lo, s23
	s_and_saveexec_b32 s23, s26
	s_cbranch_execnz .LBB1148_303
.LBB1148_239:                           ;   in Loop: Header=BB1148_104 Depth=2
	s_or_b32 exec_lo, exec_lo, s23
	s_and_saveexec_b32 s23, s27
	s_cbranch_execnz .LBB1148_304
.LBB1148_240:                           ;   in Loop: Header=BB1148_104 Depth=2
	s_or_b32 exec_lo, exec_lo, s23
	s_and_saveexec_b32 s23, s28
	s_cbranch_execnz .LBB1148_305
.LBB1148_241:                           ;   in Loop: Header=BB1148_104 Depth=2
	s_or_b32 exec_lo, exec_lo, s23
	s_and_saveexec_b32 s23, s29
	s_cbranch_execnz .LBB1148_306
.LBB1148_242:                           ;   in Loop: Header=BB1148_104 Depth=2
	s_or_b32 exec_lo, exec_lo, s23
	s_and_saveexec_b32 s23, s30
	s_cbranch_execnz .LBB1148_307
.LBB1148_243:                           ;   in Loop: Header=BB1148_104 Depth=2
	s_or_b32 exec_lo, exec_lo, s23
	s_and_saveexec_b32 s23, s31
	s_cbranch_execnz .LBB1148_308
.LBB1148_244:                           ;   in Loop: Header=BB1148_104 Depth=2
	s_or_b32 exec_lo, exec_lo, s23
	s_and_saveexec_b32 s23, s33
	s_cbranch_execnz .LBB1148_309
.LBB1148_245:                           ;   in Loop: Header=BB1148_104 Depth=2
	s_or_b32 exec_lo, exec_lo, s23
	s_and_saveexec_b32 s23, s34
	s_cbranch_execnz .LBB1148_310
.LBB1148_246:                           ;   in Loop: Header=BB1148_104 Depth=2
	s_or_b32 exec_lo, exec_lo, s23
	s_and_saveexec_b32 s23, s35
	s_cbranch_execnz .LBB1148_311
.LBB1148_247:                           ;   in Loop: Header=BB1148_104 Depth=2
	s_or_b32 exec_lo, exec_lo, s23
	s_and_saveexec_b32 s23, s36
	s_cbranch_execnz .LBB1148_312
.LBB1148_248:                           ;   in Loop: Header=BB1148_104 Depth=2
	s_or_b32 exec_lo, exec_lo, s23
	s_and_saveexec_b32 s23, s37
	s_cbranch_execnz .LBB1148_313
.LBB1148_249:                           ;   in Loop: Header=BB1148_104 Depth=2
	s_or_b32 exec_lo, exec_lo, s23
	s_and_saveexec_b32 s23, s38
	s_cbranch_execz .LBB1148_251
.LBB1148_250:                           ;   in Loop: Header=BB1148_104 Depth=2
	v_lshlrev_b32_e32 v3, 2, v149
	ds_read_b32 v3, v3
	ds_read_b64 v[37:38], v106 offset:31232
	s_waitcnt lgkmcnt(1)
	v_add_nc_u32_e32 v3, v3, v90
	v_lshlrev_b64 v[39:40], 3, v[3:4]
	v_add_co_u32 v39, vcc_lo, s48, v39
	v_add_co_ci_u32_e64 v40, null, s49, v40, vcc_lo
	s_waitcnt lgkmcnt(0)
	global_store_dwordx2 v[39:40], v[37:38], off
.LBB1148_251:                           ;   in Loop: Header=BB1148_104 Depth=2
	s_or_b32 exec_lo, exec_lo, s23
	s_waitcnt_vscnt null, 0x0
	s_barrier
	buffer_gl0_inv
	s_and_saveexec_b32 s23, s8
	s_cbranch_execz .LBB1148_103
; %bb.252:                              ;   in Loop: Header=BB1148_104 Depth=2
	ds_read_b32 v3, v73
	s_waitcnt lgkmcnt(0)
	v_add3_u32 v3, v156, v166, v3
	ds_write_b32 v73, v3
	s_branch .LBB1148_103
.LBB1148_253:                           ;   in Loop: Header=BB1148_104 Depth=2
	ds_read_b64 v[37:38], v106 offset:512
	s_waitcnt lgkmcnt(0)
	v_cmp_ne_u64_e64 s23, s[56:57], v[37:38]
	v_cndmask_b32_e64 v44, 0x7fffffff, v38, s23
	v_cndmask_b32_e64 v43, -1, v37, s23
	v_cmp_gt_i64_e64 s23, 0, v[37:38]
	v_lshrrev_b64 v[43:44], s63, v[43:44]
	v_cndmask_b32_e64 v45, 0x7fffffff, 0, s23
	v_and_b32_e32 v3, s65, v43
	v_ashrrev_i32_e32 v43, 31, v38
	v_xor_b32_e32 v38, v45, v38
	v_lshlrev_b32_e32 v3, 2, v3
	v_not_b32_e32 v46, v43
	ds_read_b32 v3, v3
	v_xor_b32_e32 v37, v46, v37
	s_waitcnt lgkmcnt(0)
	v_add_nc_u32_e32 v3, v3, v0
	v_lshlrev_b64 v[43:44], 3, v[3:4]
	v_add_co_u32 v43, s23, s42, v43
	v_add_co_ci_u32_e64 v44, null, s43, v44, s23
	global_store_dwordx2 v[43:44], v[37:38], off
	s_or_b32 exec_lo, exec_lo, s24
	v_cmp_lt_u32_e64 s23, v74, v167
	s_and_saveexec_b32 s25, s23
	s_cbranch_execz .LBB1148_186
.LBB1148_254:                           ;   in Loop: Header=BB1148_104 Depth=2
	ds_read_b64 v[37:38], v106 offset:2560
	s_waitcnt lgkmcnt(0)
	v_cmp_ne_u64_e64 s24, s[56:57], v[37:38]
	v_cndmask_b32_e64 v44, 0x7fffffff, v38, s24
	v_cndmask_b32_e64 v43, -1, v37, s24
	v_cmp_gt_i64_e64 s24, 0, v[37:38]
	v_lshrrev_b64 v[43:44], s63, v[43:44]
	v_cndmask_b32_e64 v45, 0x7fffffff, 0, s24
	v_and_b32_e32 v3, s65, v43
	v_ashrrev_i32_e32 v43, 31, v38
	v_xor_b32_e32 v38, v45, v38
	v_lshlrev_b32_e32 v3, 2, v3
	v_not_b32_e32 v46, v43
	ds_read_b32 v3, v3
	v_xor_b32_e32 v37, v46, v37
	s_waitcnt lgkmcnt(0)
	v_add_nc_u32_e32 v3, v3, v74
	v_lshlrev_b64 v[43:44], 3, v[3:4]
	v_add_co_u32 v43, s24, s42, v43
	v_add_co_ci_u32_e64 v44, null, s43, v44, s24
	global_store_dwordx2 v[43:44], v[37:38], off
	s_or_b32 exec_lo, exec_lo, s25
	v_cmp_lt_u32_e64 s24, v77, v167
	s_and_saveexec_b32 s26, s24
	s_cbranch_execz .LBB1148_187
.LBB1148_255:                           ;   in Loop: Header=BB1148_104 Depth=2
	ds_read_b64 v[37:38], v106 offset:4608
	s_waitcnt lgkmcnt(0)
	v_cmp_ne_u64_e64 s25, s[56:57], v[37:38]
	v_cndmask_b32_e64 v44, 0x7fffffff, v38, s25
	v_cndmask_b32_e64 v43, -1, v37, s25
	v_cmp_gt_i64_e64 s25, 0, v[37:38]
	v_lshrrev_b64 v[43:44], s63, v[43:44]
	v_cndmask_b32_e64 v45, 0x7fffffff, 0, s25
	v_and_b32_e32 v3, s65, v43
	v_ashrrev_i32_e32 v43, 31, v38
	v_xor_b32_e32 v38, v45, v38
	v_lshlrev_b32_e32 v3, 2, v3
	v_not_b32_e32 v46, v43
	ds_read_b32 v3, v3
	v_xor_b32_e32 v37, v46, v37
	s_waitcnt lgkmcnt(0)
	v_add_nc_u32_e32 v3, v3, v77
	v_lshlrev_b64 v[43:44], 3, v[3:4]
	v_add_co_u32 v43, s25, s42, v43
	v_add_co_ci_u32_e64 v44, null, s43, v44, s25
	global_store_dwordx2 v[43:44], v[37:38], off
	s_or_b32 exec_lo, exec_lo, s26
	v_cmp_lt_u32_e64 s25, v78, v167
	s_and_saveexec_b32 s27, s25
	s_cbranch_execz .LBB1148_188
.LBB1148_256:                           ;   in Loop: Header=BB1148_104 Depth=2
	ds_read_b64 v[37:38], v106 offset:6656
	s_waitcnt lgkmcnt(0)
	v_cmp_ne_u64_e64 s26, s[56:57], v[37:38]
	v_cndmask_b32_e64 v44, 0x7fffffff, v38, s26
	v_cndmask_b32_e64 v43, -1, v37, s26
	v_cmp_gt_i64_e64 s26, 0, v[37:38]
	v_lshrrev_b64 v[43:44], s63, v[43:44]
	v_cndmask_b32_e64 v45, 0x7fffffff, 0, s26
	v_and_b32_e32 v3, s65, v43
	v_ashrrev_i32_e32 v43, 31, v38
	v_xor_b32_e32 v38, v45, v38
	v_lshlrev_b32_e32 v3, 2, v3
	v_not_b32_e32 v46, v43
	ds_read_b32 v3, v3
	v_xor_b32_e32 v37, v46, v37
	s_waitcnt lgkmcnt(0)
	v_add_nc_u32_e32 v3, v3, v78
	v_lshlrev_b64 v[43:44], 3, v[3:4]
	v_add_co_u32 v43, s26, s42, v43
	v_add_co_ci_u32_e64 v44, null, s43, v44, s26
	global_store_dwordx2 v[43:44], v[37:38], off
	s_or_b32 exec_lo, exec_lo, s27
	v_cmp_lt_u32_e64 s26, v79, v167
	s_and_saveexec_b32 s28, s26
	s_cbranch_execz .LBB1148_189
.LBB1148_257:                           ;   in Loop: Header=BB1148_104 Depth=2
	ds_read_b64 v[37:38], v106 offset:8704
	s_waitcnt lgkmcnt(0)
	v_cmp_ne_u64_e64 s27, s[56:57], v[37:38]
	v_cndmask_b32_e64 v44, 0x7fffffff, v38, s27
	v_cndmask_b32_e64 v43, -1, v37, s27
	v_cmp_gt_i64_e64 s27, 0, v[37:38]
	v_lshrrev_b64 v[43:44], s63, v[43:44]
	v_cndmask_b32_e64 v45, 0x7fffffff, 0, s27
	v_and_b32_e32 v3, s65, v43
	v_ashrrev_i32_e32 v43, 31, v38
	v_xor_b32_e32 v38, v45, v38
	v_lshlrev_b32_e32 v3, 2, v3
	v_not_b32_e32 v46, v43
	ds_read_b32 v3, v3
	v_xor_b32_e32 v37, v46, v37
	s_waitcnt lgkmcnt(0)
	v_add_nc_u32_e32 v3, v3, v79
	v_lshlrev_b64 v[43:44], 3, v[3:4]
	v_add_co_u32 v43, s27, s42, v43
	v_add_co_ci_u32_e64 v44, null, s43, v44, s27
	global_store_dwordx2 v[43:44], v[37:38], off
	s_or_b32 exec_lo, exec_lo, s28
	v_cmp_lt_u32_e64 s27, v80, v167
	s_and_saveexec_b32 s29, s27
	s_cbranch_execz .LBB1148_190
.LBB1148_258:                           ;   in Loop: Header=BB1148_104 Depth=2
	ds_read_b64 v[37:38], v106 offset:10752
	s_waitcnt lgkmcnt(0)
	v_cmp_ne_u64_e64 s28, s[56:57], v[37:38]
	v_cndmask_b32_e64 v44, 0x7fffffff, v38, s28
	v_cndmask_b32_e64 v43, -1, v37, s28
	v_cmp_gt_i64_e64 s28, 0, v[37:38]
	v_lshrrev_b64 v[43:44], s63, v[43:44]
	v_cndmask_b32_e64 v45, 0x7fffffff, 0, s28
	v_and_b32_e32 v3, s65, v43
	v_ashrrev_i32_e32 v43, 31, v38
	v_xor_b32_e32 v38, v45, v38
	v_lshlrev_b32_e32 v3, 2, v3
	v_not_b32_e32 v46, v43
	ds_read_b32 v3, v3
	v_xor_b32_e32 v37, v46, v37
	s_waitcnt lgkmcnt(0)
	v_add_nc_u32_e32 v3, v3, v80
	v_lshlrev_b64 v[43:44], 3, v[3:4]
	v_add_co_u32 v43, s28, s42, v43
	v_add_co_ci_u32_e64 v44, null, s43, v44, s28
	global_store_dwordx2 v[43:44], v[37:38], off
	s_or_b32 exec_lo, exec_lo, s29
	v_cmp_lt_u32_e64 s28, v81, v167
	s_and_saveexec_b32 s30, s28
	s_cbranch_execz .LBB1148_191
.LBB1148_259:                           ;   in Loop: Header=BB1148_104 Depth=2
	ds_read_b64 v[37:38], v106 offset:12800
	s_waitcnt lgkmcnt(0)
	v_cmp_ne_u64_e64 s29, s[56:57], v[37:38]
	v_cndmask_b32_e64 v44, 0x7fffffff, v38, s29
	v_cndmask_b32_e64 v43, -1, v37, s29
	v_cmp_gt_i64_e64 s29, 0, v[37:38]
	v_lshrrev_b64 v[43:44], s63, v[43:44]
	v_cndmask_b32_e64 v45, 0x7fffffff, 0, s29
	v_and_b32_e32 v3, s65, v43
	v_ashrrev_i32_e32 v43, 31, v38
	v_xor_b32_e32 v38, v45, v38
	v_lshlrev_b32_e32 v3, 2, v3
	v_not_b32_e32 v46, v43
	ds_read_b32 v3, v3
	v_xor_b32_e32 v37, v46, v37
	s_waitcnt lgkmcnt(0)
	v_add_nc_u32_e32 v3, v3, v81
	v_lshlrev_b64 v[43:44], 3, v[3:4]
	v_add_co_u32 v43, s29, s42, v43
	v_add_co_ci_u32_e64 v44, null, s43, v44, s29
	global_store_dwordx2 v[43:44], v[37:38], off
	s_or_b32 exec_lo, exec_lo, s30
	v_cmp_lt_u32_e64 s29, v82, v167
	s_and_saveexec_b32 s31, s29
	s_cbranch_execz .LBB1148_192
.LBB1148_260:                           ;   in Loop: Header=BB1148_104 Depth=2
	ds_read_b64 v[37:38], v106 offset:14848
	s_waitcnt lgkmcnt(0)
	v_cmp_ne_u64_e64 s30, s[56:57], v[37:38]
	v_cndmask_b32_e64 v44, 0x7fffffff, v38, s30
	v_cndmask_b32_e64 v43, -1, v37, s30
	v_cmp_gt_i64_e64 s30, 0, v[37:38]
	v_lshrrev_b64 v[43:44], s63, v[43:44]
	v_cndmask_b32_e64 v45, 0x7fffffff, 0, s30
	v_and_b32_e32 v3, s65, v43
	v_ashrrev_i32_e32 v43, 31, v38
	v_xor_b32_e32 v38, v45, v38
	v_lshlrev_b32_e32 v3, 2, v3
	v_not_b32_e32 v46, v43
	ds_read_b32 v3, v3
	v_xor_b32_e32 v37, v46, v37
	s_waitcnt lgkmcnt(0)
	v_add_nc_u32_e32 v3, v3, v82
	v_lshlrev_b64 v[43:44], 3, v[3:4]
	v_add_co_u32 v43, s30, s42, v43
	v_add_co_ci_u32_e64 v44, null, s43, v44, s30
	global_store_dwordx2 v[43:44], v[37:38], off
	s_or_b32 exec_lo, exec_lo, s31
	v_cmp_lt_u32_e64 s30, v83, v167
	s_and_saveexec_b32 s33, s30
	s_cbranch_execz .LBB1148_193
.LBB1148_261:                           ;   in Loop: Header=BB1148_104 Depth=2
	ds_read_b64 v[37:38], v106 offset:16896
	s_waitcnt lgkmcnt(0)
	v_cmp_ne_u64_e64 s31, s[56:57], v[37:38]
	v_cndmask_b32_e64 v44, 0x7fffffff, v38, s31
	v_cndmask_b32_e64 v43, -1, v37, s31
	v_cmp_gt_i64_e64 s31, 0, v[37:38]
	v_lshrrev_b64 v[43:44], s63, v[43:44]
	v_cndmask_b32_e64 v45, 0x7fffffff, 0, s31
	v_and_b32_e32 v3, s65, v43
	v_ashrrev_i32_e32 v43, 31, v38
	v_xor_b32_e32 v38, v45, v38
	v_lshlrev_b32_e32 v3, 2, v3
	v_not_b32_e32 v46, v43
	ds_read_b32 v3, v3
	v_xor_b32_e32 v37, v46, v37
	s_waitcnt lgkmcnt(0)
	v_add_nc_u32_e32 v3, v3, v83
	v_lshlrev_b64 v[43:44], 3, v[3:4]
	v_add_co_u32 v43, s31, s42, v43
	v_add_co_ci_u32_e64 v44, null, s43, v44, s31
	global_store_dwordx2 v[43:44], v[37:38], off
	s_or_b32 exec_lo, exec_lo, s33
	v_cmp_lt_u32_e64 s31, v84, v167
	s_and_saveexec_b32 s34, s31
	s_cbranch_execz .LBB1148_194
.LBB1148_262:                           ;   in Loop: Header=BB1148_104 Depth=2
	ds_read_b64 v[37:38], v106 offset:18944
	s_waitcnt lgkmcnt(0)
	v_cmp_ne_u64_e64 s33, s[56:57], v[37:38]
	v_cndmask_b32_e64 v44, 0x7fffffff, v38, s33
	v_cndmask_b32_e64 v43, -1, v37, s33
	v_cmp_gt_i64_e64 s33, 0, v[37:38]
	v_lshrrev_b64 v[43:44], s63, v[43:44]
	v_cndmask_b32_e64 v45, 0x7fffffff, 0, s33
	v_and_b32_e32 v3, s65, v43
	v_ashrrev_i32_e32 v43, 31, v38
	v_xor_b32_e32 v38, v45, v38
	v_lshlrev_b32_e32 v3, 2, v3
	v_not_b32_e32 v46, v43
	ds_read_b32 v3, v3
	v_xor_b32_e32 v37, v46, v37
	s_waitcnt lgkmcnt(0)
	v_add_nc_u32_e32 v3, v3, v84
	v_lshlrev_b64 v[43:44], 3, v[3:4]
	v_add_co_u32 v43, s33, s42, v43
	v_add_co_ci_u32_e64 v44, null, s43, v44, s33
	global_store_dwordx2 v[43:44], v[37:38], off
	s_or_b32 exec_lo, exec_lo, s34
	v_cmp_lt_u32_e64 s33, v85, v167
	s_and_saveexec_b32 s35, s33
	s_cbranch_execz .LBB1148_195
.LBB1148_263:                           ;   in Loop: Header=BB1148_104 Depth=2
	ds_read_b64 v[37:38], v106 offset:20992
	s_waitcnt lgkmcnt(0)
	v_cmp_ne_u64_e64 s34, s[56:57], v[37:38]
	v_cndmask_b32_e64 v44, 0x7fffffff, v38, s34
	v_cndmask_b32_e64 v43, -1, v37, s34
	v_cmp_gt_i64_e64 s34, 0, v[37:38]
	v_lshrrev_b64 v[43:44], s63, v[43:44]
	v_cndmask_b32_e64 v45, 0x7fffffff, 0, s34
	v_and_b32_e32 v3, s65, v43
	v_ashrrev_i32_e32 v43, 31, v38
	v_xor_b32_e32 v38, v45, v38
	v_lshlrev_b32_e32 v3, 2, v3
	v_not_b32_e32 v46, v43
	ds_read_b32 v3, v3
	v_xor_b32_e32 v37, v46, v37
	s_waitcnt lgkmcnt(0)
	v_add_nc_u32_e32 v3, v3, v85
	v_lshlrev_b64 v[43:44], 3, v[3:4]
	v_add_co_u32 v43, s34, s42, v43
	v_add_co_ci_u32_e64 v44, null, s43, v44, s34
	global_store_dwordx2 v[43:44], v[37:38], off
	s_or_b32 exec_lo, exec_lo, s35
	v_cmp_lt_u32_e64 s34, v86, v167
	s_and_saveexec_b32 s36, s34
	s_cbranch_execz .LBB1148_196
.LBB1148_264:                           ;   in Loop: Header=BB1148_104 Depth=2
	ds_read_b64 v[37:38], v106 offset:23040
	s_waitcnt lgkmcnt(0)
	v_cmp_ne_u64_e64 s35, s[56:57], v[37:38]
	v_cndmask_b32_e64 v44, 0x7fffffff, v38, s35
	v_cndmask_b32_e64 v43, -1, v37, s35
	v_cmp_gt_i64_e64 s35, 0, v[37:38]
	v_lshrrev_b64 v[43:44], s63, v[43:44]
	v_cndmask_b32_e64 v45, 0x7fffffff, 0, s35
	v_and_b32_e32 v3, s65, v43
	v_ashrrev_i32_e32 v43, 31, v38
	v_xor_b32_e32 v38, v45, v38
	v_lshlrev_b32_e32 v3, 2, v3
	v_not_b32_e32 v46, v43
	ds_read_b32 v3, v3
	v_xor_b32_e32 v37, v46, v37
	s_waitcnt lgkmcnt(0)
	v_add_nc_u32_e32 v3, v3, v86
	v_lshlrev_b64 v[43:44], 3, v[3:4]
	v_add_co_u32 v43, s35, s42, v43
	v_add_co_ci_u32_e64 v44, null, s43, v44, s35
	global_store_dwordx2 v[43:44], v[37:38], off
	s_or_b32 exec_lo, exec_lo, s36
	v_cmp_lt_u32_e64 s35, v87, v167
	s_and_saveexec_b32 s37, s35
	s_cbranch_execz .LBB1148_197
.LBB1148_265:                           ;   in Loop: Header=BB1148_104 Depth=2
	ds_read_b64 v[37:38], v106 offset:25088
	s_waitcnt lgkmcnt(0)
	v_cmp_ne_u64_e64 s36, s[56:57], v[37:38]
	v_cndmask_b32_e64 v44, 0x7fffffff, v38, s36
	v_cndmask_b32_e64 v43, -1, v37, s36
	v_cmp_gt_i64_e64 s36, 0, v[37:38]
	v_lshrrev_b64 v[43:44], s63, v[43:44]
	v_cndmask_b32_e64 v45, 0x7fffffff, 0, s36
	v_and_b32_e32 v3, s65, v43
	v_ashrrev_i32_e32 v43, 31, v38
	v_xor_b32_e32 v38, v45, v38
	v_lshlrev_b32_e32 v3, 2, v3
	v_not_b32_e32 v46, v43
	ds_read_b32 v3, v3
	v_xor_b32_e32 v37, v46, v37
	s_waitcnt lgkmcnt(0)
	v_add_nc_u32_e32 v3, v3, v87
	v_lshlrev_b64 v[43:44], 3, v[3:4]
	v_add_co_u32 v43, s36, s42, v43
	v_add_co_ci_u32_e64 v44, null, s43, v44, s36
	global_store_dwordx2 v[43:44], v[37:38], off
	s_or_b32 exec_lo, exec_lo, s37
	v_cmp_lt_u32_e64 s36, v88, v167
	s_and_saveexec_b32 s38, s36
	s_cbranch_execz .LBB1148_198
.LBB1148_266:                           ;   in Loop: Header=BB1148_104 Depth=2
	ds_read_b64 v[37:38], v106 offset:27136
	s_waitcnt lgkmcnt(0)
	v_cmp_ne_u64_e64 s37, s[56:57], v[37:38]
	v_cndmask_b32_e64 v44, 0x7fffffff, v38, s37
	v_cndmask_b32_e64 v43, -1, v37, s37
	v_cmp_gt_i64_e64 s37, 0, v[37:38]
	v_lshrrev_b64 v[43:44], s63, v[43:44]
	v_cndmask_b32_e64 v45, 0x7fffffff, 0, s37
	v_and_b32_e32 v3, s65, v43
	v_ashrrev_i32_e32 v43, 31, v38
	v_xor_b32_e32 v38, v45, v38
	v_lshlrev_b32_e32 v3, 2, v3
	v_not_b32_e32 v46, v43
	ds_read_b32 v3, v3
	v_xor_b32_e32 v37, v46, v37
	s_waitcnt lgkmcnt(0)
	v_add_nc_u32_e32 v3, v3, v88
	v_lshlrev_b64 v[43:44], 3, v[3:4]
	v_add_co_u32 v43, s37, s42, v43
	v_add_co_ci_u32_e64 v44, null, s43, v44, s37
	global_store_dwordx2 v[43:44], v[37:38], off
	s_or_b32 exec_lo, exec_lo, s38
	v_cmp_lt_u32_e64 s37, v89, v167
	s_and_saveexec_b32 s39, s37
	s_cbranch_execz .LBB1148_199
.LBB1148_267:                           ;   in Loop: Header=BB1148_104 Depth=2
	ds_read_b64 v[37:38], v106 offset:29184
	s_waitcnt lgkmcnt(0)
	v_cmp_ne_u64_e64 s38, s[56:57], v[37:38]
	v_cndmask_b32_e64 v44, 0x7fffffff, v38, s38
	v_cndmask_b32_e64 v43, -1, v37, s38
	v_cmp_gt_i64_e64 s38, 0, v[37:38]
	v_lshrrev_b64 v[43:44], s63, v[43:44]
	v_cndmask_b32_e64 v45, 0x7fffffff, 0, s38
	v_and_b32_e32 v3, s65, v43
	v_ashrrev_i32_e32 v43, 31, v38
	v_xor_b32_e32 v38, v45, v38
	v_lshlrev_b32_e32 v3, 2, v3
	v_not_b32_e32 v46, v43
	ds_read_b32 v3, v3
	v_xor_b32_e32 v37, v46, v37
	s_waitcnt lgkmcnt(0)
	v_add_nc_u32_e32 v3, v3, v89
	v_lshlrev_b64 v[43:44], 3, v[3:4]
	v_add_co_u32 v43, s38, s42, v43
	v_add_co_ci_u32_e64 v44, null, s43, v44, s38
	global_store_dwordx2 v[43:44], v[37:38], off
	s_or_b32 exec_lo, exec_lo, s39
	v_cmp_lt_u32_e64 s38, v90, v167
	s_and_saveexec_b32 s47, s38
	s_cbranch_execnz .LBB1148_200
	s_branch .LBB1148_201
.LBB1148_268:                           ;   in Loop: Header=BB1148_104 Depth=2
	global_load_dwordx2 v[35:36], v[37:38], off
	s_or_b32 exec_lo, exec_lo, s39
	s_mov_b32 s46, exec_lo
	v_cmpx_lt_u32_e64 v131, v167
	s_cbranch_execz .LBB1148_203
.LBB1148_269:                           ;   in Loop: Header=BB1148_104 Depth=2
	global_load_dwordx2 v[33:34], v[37:38], off offset:256
	s_or_b32 exec_lo, exec_lo, s46
	s_mov_b32 s46, exec_lo
	v_cmpx_lt_u32_e64 v132, v167
	s_cbranch_execz .LBB1148_204
.LBB1148_270:                           ;   in Loop: Header=BB1148_104 Depth=2
	global_load_dwordx2 v[31:32], v[37:38], off offset:512
	s_or_b32 exec_lo, exec_lo, s46
	s_mov_b32 s46, exec_lo
	v_cmpx_lt_u32_e64 v133, v167
	s_cbranch_execz .LBB1148_205
.LBB1148_271:                           ;   in Loop: Header=BB1148_104 Depth=2
	global_load_dwordx2 v[29:30], v[37:38], off offset:768
	s_or_b32 exec_lo, exec_lo, s46
	s_mov_b32 s46, exec_lo
	v_cmpx_lt_u32_e64 v134, v167
	s_cbranch_execz .LBB1148_206
.LBB1148_272:                           ;   in Loop: Header=BB1148_104 Depth=2
	global_load_dwordx2 v[27:28], v[37:38], off offset:1024
	s_or_b32 exec_lo, exec_lo, s46
	s_mov_b32 s46, exec_lo
	v_cmpx_lt_u32_e64 v135, v167
	s_cbranch_execz .LBB1148_207
.LBB1148_273:                           ;   in Loop: Header=BB1148_104 Depth=2
	global_load_dwordx2 v[23:24], v[37:38], off offset:1280
	s_or_b32 exec_lo, exec_lo, s46
	s_mov_b32 s46, exec_lo
	v_cmpx_lt_u32_e64 v136, v167
	s_cbranch_execz .LBB1148_208
.LBB1148_274:                           ;   in Loop: Header=BB1148_104 Depth=2
	global_load_dwordx2 v[19:20], v[37:38], off offset:1536
	s_or_b32 exec_lo, exec_lo, s46
	s_mov_b32 s46, exec_lo
	v_cmpx_lt_u32_e64 v137, v167
	s_cbranch_execz .LBB1148_209
.LBB1148_275:                           ;   in Loop: Header=BB1148_104 Depth=2
	global_load_dwordx2 v[15:16], v[37:38], off offset:1792
	s_or_b32 exec_lo, exec_lo, s46
	s_mov_b32 s46, exec_lo
	v_cmpx_lt_u32_e64 v138, v167
	s_cbranch_execz .LBB1148_210
.LBB1148_276:                           ;   in Loop: Header=BB1148_104 Depth=2
	v_add_co_u32 v25, s39, 0x800, v37
	v_add_co_ci_u32_e64 v26, null, 0, v38, s39
	global_load_dwordx2 v[25:26], v[25:26], off
	s_or_b32 exec_lo, exec_lo, s46
	s_mov_b32 s46, exec_lo
	v_cmpx_lt_u32_e64 v139, v167
	s_cbranch_execz .LBB1148_211
.LBB1148_277:                           ;   in Loop: Header=BB1148_104 Depth=2
	v_add_co_u32 v21, s39, 0x800, v37
	v_add_co_ci_u32_e64 v22, null, 0, v38, s39
	global_load_dwordx2 v[21:22], v[21:22], off offset:256
	s_or_b32 exec_lo, exec_lo, s46
	s_mov_b32 s46, exec_lo
	v_cmpx_lt_u32_e64 v140, v167
	s_cbranch_execz .LBB1148_212
.LBB1148_278:                           ;   in Loop: Header=BB1148_104 Depth=2
	v_add_co_u32 v17, s39, 0x800, v37
	v_add_co_ci_u32_e64 v18, null, 0, v38, s39
	global_load_dwordx2 v[17:18], v[17:18], off offset:512
	s_or_b32 exec_lo, exec_lo, s46
	s_mov_b32 s46, exec_lo
	v_cmpx_lt_u32_e64 v141, v167
	s_cbranch_execz .LBB1148_213
.LBB1148_279:                           ;   in Loop: Header=BB1148_104 Depth=2
	v_add_co_u32 v13, s39, 0x800, v37
	v_add_co_ci_u32_e64 v14, null, 0, v38, s39
	global_load_dwordx2 v[13:14], v[13:14], off offset:768
	s_or_b32 exec_lo, exec_lo, s46
	s_mov_b32 s46, exec_lo
	v_cmpx_lt_u32_e64 v142, v167
	s_cbranch_execz .LBB1148_214
.LBB1148_280:                           ;   in Loop: Header=BB1148_104 Depth=2
	v_add_co_u32 v11, s39, 0x800, v37
	v_add_co_ci_u32_e64 v12, null, 0, v38, s39
	global_load_dwordx2 v[11:12], v[11:12], off offset:1024
	s_or_b32 exec_lo, exec_lo, s46
	s_mov_b32 s46, exec_lo
	v_cmpx_lt_u32_e64 v143, v167
	s_cbranch_execz .LBB1148_215
.LBB1148_281:                           ;   in Loop: Header=BB1148_104 Depth=2
	v_add_co_u32 v9, s39, 0x800, v37
	v_add_co_ci_u32_e64 v10, null, 0, v38, s39
	global_load_dwordx2 v[9:10], v[9:10], off offset:1280
	s_or_b32 exec_lo, exec_lo, s46
	s_mov_b32 s46, exec_lo
	v_cmpx_lt_u32_e64 v144, v167
	s_cbranch_execz .LBB1148_216
.LBB1148_282:                           ;   in Loop: Header=BB1148_104 Depth=2
	v_add_co_u32 v7, s39, 0x800, v37
	v_add_co_ci_u32_e64 v8, null, 0, v38, s39
	global_load_dwordx2 v[7:8], v[7:8], off offset:1536
	s_or_b32 exec_lo, exec_lo, s46
	s_mov_b32 s46, exec_lo
	v_cmpx_lt_u32_e64 v145, v167
	s_cbranch_execz .LBB1148_217
.LBB1148_283:                           ;   in Loop: Header=BB1148_104 Depth=2
	v_add_co_u32 v5, s39, 0x800, v37
	v_add_co_ci_u32_e64 v6, null, 0, v38, s39
	global_load_dwordx2 v[5:6], v[5:6], off offset:1792
	s_or_b32 exec_lo, exec_lo, s46
	s_and_saveexec_b32 s46, vcc_lo
	s_cbranch_execz .LBB1148_218
.LBB1148_284:                           ;   in Loop: Header=BB1148_104 Depth=2
	ds_read_b64 v[37:38], v106 offset:512
	s_waitcnt lgkmcnt(0)
	v_cmp_ne_u64_e64 s39, s[56:57], v[37:38]
	v_cndmask_b32_e64 v38, 0x7fffffff, v38, s39
	v_cndmask_b32_e64 v37, -1, v37, s39
	v_lshrrev_b64 v[37:38], s63, v[37:38]
	v_and_b32_e32 v165, s65, v37
	s_or_b32 exec_lo, exec_lo, s46
	s_and_saveexec_b32 s46, s23
	s_cbranch_execz .LBB1148_219
.LBB1148_285:                           ;   in Loop: Header=BB1148_104 Depth=2
	ds_read_b64 v[37:38], v106 offset:2560
	s_waitcnt lgkmcnt(0)
	v_cmp_ne_u64_e64 s39, s[56:57], v[37:38]
	v_cndmask_b32_e64 v38, 0x7fffffff, v38, s39
	v_cndmask_b32_e64 v37, -1, v37, s39
	v_lshrrev_b64 v[37:38], s63, v[37:38]
	v_and_b32_e32 v164, s65, v37
	s_or_b32 exec_lo, exec_lo, s46
	s_and_saveexec_b32 s46, s24
	s_cbranch_execz .LBB1148_220
.LBB1148_286:                           ;   in Loop: Header=BB1148_104 Depth=2
	ds_read_b64 v[37:38], v106 offset:4608
	s_waitcnt lgkmcnt(0)
	v_cmp_ne_u64_e64 s39, s[56:57], v[37:38]
	v_cndmask_b32_e64 v38, 0x7fffffff, v38, s39
	v_cndmask_b32_e64 v37, -1, v37, s39
	v_lshrrev_b64 v[37:38], s63, v[37:38]
	v_and_b32_e32 v163, s65, v37
	s_or_b32 exec_lo, exec_lo, s46
	s_and_saveexec_b32 s46, s25
	s_cbranch_execz .LBB1148_221
.LBB1148_287:                           ;   in Loop: Header=BB1148_104 Depth=2
	ds_read_b64 v[37:38], v106 offset:6656
	s_waitcnt lgkmcnt(0)
	v_cmp_ne_u64_e64 s39, s[56:57], v[37:38]
	v_cndmask_b32_e64 v38, 0x7fffffff, v38, s39
	v_cndmask_b32_e64 v37, -1, v37, s39
	v_lshrrev_b64 v[37:38], s63, v[37:38]
	v_and_b32_e32 v162, s65, v37
	s_or_b32 exec_lo, exec_lo, s46
	s_and_saveexec_b32 s46, s26
	s_cbranch_execz .LBB1148_222
.LBB1148_288:                           ;   in Loop: Header=BB1148_104 Depth=2
	ds_read_b64 v[37:38], v106 offset:8704
	s_waitcnt lgkmcnt(0)
	v_cmp_ne_u64_e64 s39, s[56:57], v[37:38]
	v_cndmask_b32_e64 v38, 0x7fffffff, v38, s39
	v_cndmask_b32_e64 v37, -1, v37, s39
	v_lshrrev_b64 v[37:38], s63, v[37:38]
	v_and_b32_e32 v161, s65, v37
	s_or_b32 exec_lo, exec_lo, s46
	s_and_saveexec_b32 s46, s27
	s_cbranch_execz .LBB1148_223
.LBB1148_289:                           ;   in Loop: Header=BB1148_104 Depth=2
	ds_read_b64 v[37:38], v106 offset:10752
	s_waitcnt lgkmcnt(0)
	v_cmp_ne_u64_e64 s39, s[56:57], v[37:38]
	v_cndmask_b32_e64 v38, 0x7fffffff, v38, s39
	v_cndmask_b32_e64 v37, -1, v37, s39
	v_lshrrev_b64 v[37:38], s63, v[37:38]
	v_and_b32_e32 v160, s65, v37
	s_or_b32 exec_lo, exec_lo, s46
	s_and_saveexec_b32 s46, s28
	s_cbranch_execz .LBB1148_224
.LBB1148_290:                           ;   in Loop: Header=BB1148_104 Depth=2
	ds_read_b64 v[37:38], v106 offset:12800
	s_waitcnt lgkmcnt(0)
	v_cmp_ne_u64_e64 s39, s[56:57], v[37:38]
	v_cndmask_b32_e64 v38, 0x7fffffff, v38, s39
	v_cndmask_b32_e64 v37, -1, v37, s39
	v_lshrrev_b64 v[37:38], s63, v[37:38]
	v_and_b32_e32 v159, s65, v37
	s_or_b32 exec_lo, exec_lo, s46
	s_and_saveexec_b32 s46, s29
	s_cbranch_execz .LBB1148_225
.LBB1148_291:                           ;   in Loop: Header=BB1148_104 Depth=2
	ds_read_b64 v[37:38], v106 offset:14848
	s_waitcnt lgkmcnt(0)
	v_cmp_ne_u64_e64 s39, s[56:57], v[37:38]
	v_cndmask_b32_e64 v38, 0x7fffffff, v38, s39
	v_cndmask_b32_e64 v37, -1, v37, s39
	v_lshrrev_b64 v[37:38], s63, v[37:38]
	v_and_b32_e32 v158, s65, v37
	s_or_b32 exec_lo, exec_lo, s46
	s_and_saveexec_b32 s46, s30
	s_cbranch_execz .LBB1148_226
.LBB1148_292:                           ;   in Loop: Header=BB1148_104 Depth=2
	ds_read_b64 v[37:38], v106 offset:16896
	s_waitcnt lgkmcnt(0)
	v_cmp_ne_u64_e64 s39, s[56:57], v[37:38]
	v_cndmask_b32_e64 v38, 0x7fffffff, v38, s39
	v_cndmask_b32_e64 v37, -1, v37, s39
	v_lshrrev_b64 v[37:38], s63, v[37:38]
	v_and_b32_e32 v157, s65, v37
	s_or_b32 exec_lo, exec_lo, s46
	s_and_saveexec_b32 s46, s31
	s_cbranch_execz .LBB1148_227
.LBB1148_293:                           ;   in Loop: Header=BB1148_104 Depth=2
	ds_read_b64 v[37:38], v106 offset:18944
	s_waitcnt lgkmcnt(0)
	v_cmp_ne_u64_e64 s39, s[56:57], v[37:38]
	v_cndmask_b32_e64 v38, 0x7fffffff, v38, s39
	v_cndmask_b32_e64 v37, -1, v37, s39
	v_lshrrev_b64 v[37:38], s63, v[37:38]
	v_and_b32_e32 v155, s65, v37
	s_or_b32 exec_lo, exec_lo, s46
	s_and_saveexec_b32 s46, s33
	s_cbranch_execz .LBB1148_228
.LBB1148_294:                           ;   in Loop: Header=BB1148_104 Depth=2
	ds_read_b64 v[37:38], v106 offset:20992
	s_waitcnt lgkmcnt(0)
	v_cmp_ne_u64_e64 s39, s[56:57], v[37:38]
	v_cndmask_b32_e64 v38, 0x7fffffff, v38, s39
	v_cndmask_b32_e64 v37, -1, v37, s39
	v_lshrrev_b64 v[37:38], s63, v[37:38]
	v_and_b32_e32 v154, s65, v37
	s_or_b32 exec_lo, exec_lo, s46
	s_and_saveexec_b32 s46, s34
	s_cbranch_execz .LBB1148_229
.LBB1148_295:                           ;   in Loop: Header=BB1148_104 Depth=2
	ds_read_b64 v[37:38], v106 offset:23040
	s_waitcnt lgkmcnt(0)
	v_cmp_ne_u64_e64 s39, s[56:57], v[37:38]
	v_cndmask_b32_e64 v38, 0x7fffffff, v38, s39
	v_cndmask_b32_e64 v37, -1, v37, s39
	v_lshrrev_b64 v[37:38], s63, v[37:38]
	v_and_b32_e32 v153, s65, v37
	s_or_b32 exec_lo, exec_lo, s46
	s_and_saveexec_b32 s46, s35
	s_cbranch_execz .LBB1148_230
.LBB1148_296:                           ;   in Loop: Header=BB1148_104 Depth=2
	ds_read_b64 v[37:38], v106 offset:25088
	s_waitcnt lgkmcnt(0)
	v_cmp_ne_u64_e64 s39, s[56:57], v[37:38]
	v_cndmask_b32_e64 v38, 0x7fffffff, v38, s39
	v_cndmask_b32_e64 v37, -1, v37, s39
	v_lshrrev_b64 v[37:38], s63, v[37:38]
	v_and_b32_e32 v152, s65, v37
	s_or_b32 exec_lo, exec_lo, s46
	s_and_saveexec_b32 s46, s36
	s_cbranch_execz .LBB1148_231
.LBB1148_297:                           ;   in Loop: Header=BB1148_104 Depth=2
	ds_read_b64 v[37:38], v106 offset:27136
	s_waitcnt lgkmcnt(0)
	v_cmp_ne_u64_e64 s39, s[56:57], v[37:38]
	v_cndmask_b32_e64 v38, 0x7fffffff, v38, s39
	v_cndmask_b32_e64 v37, -1, v37, s39
	v_lshrrev_b64 v[37:38], s63, v[37:38]
	v_and_b32_e32 v151, s65, v37
	s_or_b32 exec_lo, exec_lo, s46
	s_and_saveexec_b32 s46, s37
	s_cbranch_execz .LBB1148_232
.LBB1148_298:                           ;   in Loop: Header=BB1148_104 Depth=2
	ds_read_b64 v[37:38], v106 offset:29184
	s_waitcnt lgkmcnt(0)
	v_cmp_ne_u64_e64 s39, s[56:57], v[37:38]
	v_cndmask_b32_e64 v38, 0x7fffffff, v38, s39
	v_cndmask_b32_e64 v37, -1, v37, s39
	v_lshrrev_b64 v[37:38], s63, v[37:38]
	v_and_b32_e32 v150, s65, v37
	s_or_b32 exec_lo, exec_lo, s46
	s_and_saveexec_b32 s46, s38
	s_cbranch_execnz .LBB1148_233
	s_branch .LBB1148_234
.LBB1148_299:                           ;   in Loop: Header=BB1148_104 Depth=2
	v_lshlrev_b32_e32 v3, 2, v165
	ds_read_b32 v3, v3
	ds_read_b64 v[37:38], v106 offset:512
	s_waitcnt lgkmcnt(1)
	v_add_nc_u32_e32 v3, v3, v0
	v_lshlrev_b64 v[39:40], 3, v[3:4]
	v_add_co_u32 v39, vcc_lo, s48, v39
	v_add_co_ci_u32_e64 v40, null, s49, v40, vcc_lo
	s_waitcnt lgkmcnt(0)
	global_store_dwordx2 v[39:40], v[37:38], off
	s_or_b32 exec_lo, exec_lo, s39
	s_and_saveexec_b32 s39, s23
	s_cbranch_execz .LBB1148_236
.LBB1148_300:                           ;   in Loop: Header=BB1148_104 Depth=2
	v_lshlrev_b32_e32 v3, 2, v164
	ds_read_b32 v3, v3
	ds_read_b64 v[37:38], v106 offset:2560
	s_waitcnt lgkmcnt(1)
	v_add_nc_u32_e32 v3, v3, v74
	v_lshlrev_b64 v[39:40], 3, v[3:4]
	v_add_co_u32 v39, vcc_lo, s48, v39
	v_add_co_ci_u32_e64 v40, null, s49, v40, vcc_lo
	s_waitcnt lgkmcnt(0)
	global_store_dwordx2 v[39:40], v[37:38], off
	s_or_b32 exec_lo, exec_lo, s39
	s_and_saveexec_b32 s23, s24
	s_cbranch_execz .LBB1148_237
.LBB1148_301:                           ;   in Loop: Header=BB1148_104 Depth=2
	v_lshlrev_b32_e32 v3, 2, v163
	ds_read_b32 v3, v3
	ds_read_b64 v[37:38], v106 offset:4608
	s_waitcnt lgkmcnt(1)
	v_add_nc_u32_e32 v3, v3, v77
	v_lshlrev_b64 v[39:40], 3, v[3:4]
	v_add_co_u32 v39, vcc_lo, s48, v39
	v_add_co_ci_u32_e64 v40, null, s49, v40, vcc_lo
	s_waitcnt lgkmcnt(0)
	global_store_dwordx2 v[39:40], v[37:38], off
	s_or_b32 exec_lo, exec_lo, s23
	s_and_saveexec_b32 s23, s25
	s_cbranch_execz .LBB1148_238
.LBB1148_302:                           ;   in Loop: Header=BB1148_104 Depth=2
	v_lshlrev_b32_e32 v3, 2, v162
	ds_read_b32 v3, v3
	ds_read_b64 v[37:38], v106 offset:6656
	s_waitcnt lgkmcnt(1)
	v_add_nc_u32_e32 v3, v3, v78
	v_lshlrev_b64 v[39:40], 3, v[3:4]
	v_add_co_u32 v39, vcc_lo, s48, v39
	v_add_co_ci_u32_e64 v40, null, s49, v40, vcc_lo
	s_waitcnt lgkmcnt(0)
	global_store_dwordx2 v[39:40], v[37:38], off
	s_or_b32 exec_lo, exec_lo, s23
	s_and_saveexec_b32 s23, s26
	s_cbranch_execz .LBB1148_239
.LBB1148_303:                           ;   in Loop: Header=BB1148_104 Depth=2
	v_lshlrev_b32_e32 v3, 2, v161
	ds_read_b32 v3, v3
	ds_read_b64 v[37:38], v106 offset:8704
	s_waitcnt lgkmcnt(1)
	v_add_nc_u32_e32 v3, v3, v79
	v_lshlrev_b64 v[39:40], 3, v[3:4]
	v_add_co_u32 v39, vcc_lo, s48, v39
	v_add_co_ci_u32_e64 v40, null, s49, v40, vcc_lo
	s_waitcnt lgkmcnt(0)
	global_store_dwordx2 v[39:40], v[37:38], off
	s_or_b32 exec_lo, exec_lo, s23
	s_and_saveexec_b32 s23, s27
	s_cbranch_execz .LBB1148_240
.LBB1148_304:                           ;   in Loop: Header=BB1148_104 Depth=2
	v_lshlrev_b32_e32 v3, 2, v160
	ds_read_b32 v3, v3
	ds_read_b64 v[37:38], v106 offset:10752
	s_waitcnt lgkmcnt(1)
	v_add_nc_u32_e32 v3, v3, v80
	v_lshlrev_b64 v[39:40], 3, v[3:4]
	v_add_co_u32 v39, vcc_lo, s48, v39
	v_add_co_ci_u32_e64 v40, null, s49, v40, vcc_lo
	s_waitcnt lgkmcnt(0)
	global_store_dwordx2 v[39:40], v[37:38], off
	s_or_b32 exec_lo, exec_lo, s23
	s_and_saveexec_b32 s23, s28
	s_cbranch_execz .LBB1148_241
.LBB1148_305:                           ;   in Loop: Header=BB1148_104 Depth=2
	v_lshlrev_b32_e32 v3, 2, v159
	ds_read_b32 v3, v3
	ds_read_b64 v[37:38], v106 offset:12800
	s_waitcnt lgkmcnt(1)
	v_add_nc_u32_e32 v3, v3, v81
	v_lshlrev_b64 v[39:40], 3, v[3:4]
	v_add_co_u32 v39, vcc_lo, s48, v39
	v_add_co_ci_u32_e64 v40, null, s49, v40, vcc_lo
	s_waitcnt lgkmcnt(0)
	global_store_dwordx2 v[39:40], v[37:38], off
	s_or_b32 exec_lo, exec_lo, s23
	s_and_saveexec_b32 s23, s29
	s_cbranch_execz .LBB1148_242
.LBB1148_306:                           ;   in Loop: Header=BB1148_104 Depth=2
	v_lshlrev_b32_e32 v3, 2, v158
	ds_read_b32 v3, v3
	ds_read_b64 v[37:38], v106 offset:14848
	s_waitcnt lgkmcnt(1)
	v_add_nc_u32_e32 v3, v3, v82
	v_lshlrev_b64 v[39:40], 3, v[3:4]
	v_add_co_u32 v39, vcc_lo, s48, v39
	v_add_co_ci_u32_e64 v40, null, s49, v40, vcc_lo
	s_waitcnt lgkmcnt(0)
	global_store_dwordx2 v[39:40], v[37:38], off
	s_or_b32 exec_lo, exec_lo, s23
	s_and_saveexec_b32 s23, s30
	s_cbranch_execz .LBB1148_243
.LBB1148_307:                           ;   in Loop: Header=BB1148_104 Depth=2
	v_lshlrev_b32_e32 v3, 2, v157
	ds_read_b32 v3, v3
	ds_read_b64 v[37:38], v106 offset:16896
	s_waitcnt lgkmcnt(1)
	v_add_nc_u32_e32 v3, v3, v83
	v_lshlrev_b64 v[39:40], 3, v[3:4]
	v_add_co_u32 v39, vcc_lo, s48, v39
	v_add_co_ci_u32_e64 v40, null, s49, v40, vcc_lo
	s_waitcnt lgkmcnt(0)
	global_store_dwordx2 v[39:40], v[37:38], off
	s_or_b32 exec_lo, exec_lo, s23
	s_and_saveexec_b32 s23, s31
	s_cbranch_execz .LBB1148_244
.LBB1148_308:                           ;   in Loop: Header=BB1148_104 Depth=2
	v_lshlrev_b32_e32 v3, 2, v155
	ds_read_b32 v3, v3
	ds_read_b64 v[37:38], v106 offset:18944
	s_waitcnt lgkmcnt(1)
	v_add_nc_u32_e32 v3, v3, v84
	v_lshlrev_b64 v[39:40], 3, v[3:4]
	v_add_co_u32 v39, vcc_lo, s48, v39
	v_add_co_ci_u32_e64 v40, null, s49, v40, vcc_lo
	s_waitcnt lgkmcnt(0)
	global_store_dwordx2 v[39:40], v[37:38], off
	s_or_b32 exec_lo, exec_lo, s23
	s_and_saveexec_b32 s23, s33
	s_cbranch_execz .LBB1148_245
.LBB1148_309:                           ;   in Loop: Header=BB1148_104 Depth=2
	v_lshlrev_b32_e32 v3, 2, v154
	ds_read_b32 v3, v3
	ds_read_b64 v[37:38], v106 offset:20992
	s_waitcnt lgkmcnt(1)
	v_add_nc_u32_e32 v3, v3, v85
	v_lshlrev_b64 v[39:40], 3, v[3:4]
	v_add_co_u32 v39, vcc_lo, s48, v39
	v_add_co_ci_u32_e64 v40, null, s49, v40, vcc_lo
	s_waitcnt lgkmcnt(0)
	global_store_dwordx2 v[39:40], v[37:38], off
	s_or_b32 exec_lo, exec_lo, s23
	s_and_saveexec_b32 s23, s34
	s_cbranch_execz .LBB1148_246
.LBB1148_310:                           ;   in Loop: Header=BB1148_104 Depth=2
	v_lshlrev_b32_e32 v3, 2, v153
	ds_read_b32 v3, v3
	ds_read_b64 v[37:38], v106 offset:23040
	s_waitcnt lgkmcnt(1)
	v_add_nc_u32_e32 v3, v3, v86
	v_lshlrev_b64 v[39:40], 3, v[3:4]
	v_add_co_u32 v39, vcc_lo, s48, v39
	v_add_co_ci_u32_e64 v40, null, s49, v40, vcc_lo
	s_waitcnt lgkmcnt(0)
	global_store_dwordx2 v[39:40], v[37:38], off
	s_or_b32 exec_lo, exec_lo, s23
	s_and_saveexec_b32 s23, s35
	s_cbranch_execz .LBB1148_247
.LBB1148_311:                           ;   in Loop: Header=BB1148_104 Depth=2
	v_lshlrev_b32_e32 v3, 2, v152
	ds_read_b32 v3, v3
	ds_read_b64 v[37:38], v106 offset:25088
	s_waitcnt lgkmcnt(1)
	v_add_nc_u32_e32 v3, v3, v87
	v_lshlrev_b64 v[39:40], 3, v[3:4]
	v_add_co_u32 v39, vcc_lo, s48, v39
	v_add_co_ci_u32_e64 v40, null, s49, v40, vcc_lo
	s_waitcnt lgkmcnt(0)
	global_store_dwordx2 v[39:40], v[37:38], off
	s_or_b32 exec_lo, exec_lo, s23
	s_and_saveexec_b32 s23, s36
	s_cbranch_execz .LBB1148_248
.LBB1148_312:                           ;   in Loop: Header=BB1148_104 Depth=2
	v_lshlrev_b32_e32 v3, 2, v151
	ds_read_b32 v3, v3
	ds_read_b64 v[37:38], v106 offset:27136
	s_waitcnt lgkmcnt(1)
	v_add_nc_u32_e32 v3, v3, v88
	v_lshlrev_b64 v[39:40], 3, v[3:4]
	v_add_co_u32 v39, vcc_lo, s48, v39
	v_add_co_ci_u32_e64 v40, null, s49, v40, vcc_lo
	s_waitcnt lgkmcnt(0)
	global_store_dwordx2 v[39:40], v[37:38], off
	s_or_b32 exec_lo, exec_lo, s23
	s_and_saveexec_b32 s23, s37
	s_cbranch_execz .LBB1148_249
.LBB1148_313:                           ;   in Loop: Header=BB1148_104 Depth=2
	v_lshlrev_b32_e32 v3, 2, v150
	ds_read_b32 v3, v3
	ds_read_b64 v[37:38], v106 offset:29184
	s_waitcnt lgkmcnt(1)
	v_add_nc_u32_e32 v3, v3, v89
	v_lshlrev_b64 v[39:40], 3, v[3:4]
	v_add_co_u32 v39, vcc_lo, s48, v39
	v_add_co_ci_u32_e64 v40, null, s49, v40, vcc_lo
	s_waitcnt lgkmcnt(0)
	global_store_dwordx2 v[39:40], v[37:38], off
	s_or_b32 exec_lo, exec_lo, s23
	s_and_saveexec_b32 s23, s38
	s_cbranch_execnz .LBB1148_250
	s_branch .LBB1148_251
.LBB1148_314:                           ;   in Loop: Header=BB1148_20 Depth=1
	s_waitcnt lgkmcnt(0)
	s_mov_b32 s14, 0
	s_barrier
.LBB1148_315:                           ;   in Loop: Header=BB1148_20 Depth=1
	s_and_b32 vcc_lo, exec_lo, s14
	s_cbranch_vccz .LBB1148_609
; %bb.316:                              ;   in Loop: Header=BB1148_20 Depth=1
	s_mov_b32 s16, s62
	s_mov_b32 s14, s60
	s_barrier
	buffer_gl0_inv
                                        ; implicit-def: $vgpr5_vgpr6
                                        ; implicit-def: $vgpr7_vgpr8
                                        ; implicit-def: $vgpr9_vgpr10
                                        ; implicit-def: $vgpr11_vgpr12
                                        ; implicit-def: $vgpr13_vgpr14
                                        ; implicit-def: $vgpr15_vgpr16
                                        ; implicit-def: $vgpr17_vgpr18
                                        ; implicit-def: $vgpr19_vgpr20
                                        ; implicit-def: $vgpr21_vgpr22
                                        ; implicit-def: $vgpr23_vgpr24
                                        ; implicit-def: $vgpr25_vgpr26
                                        ; implicit-def: $vgpr27_vgpr28
                                        ; implicit-def: $vgpr29_vgpr30
                                        ; implicit-def: $vgpr31_vgpr32
                                        ; implicit-def: $vgpr33_vgpr34
                                        ; implicit-def: $vgpr35_vgpr36
	s_branch .LBB1148_318
.LBB1148_317:                           ;   in Loop: Header=BB1148_318 Depth=2
	s_or_b32 exec_lo, exec_lo, s14
	s_addk_i32 s16, 0xf000
	s_cmp_ge_u32 s17, s61
	s_mov_b32 s14, s17
	s_cbranch_scc1 .LBB1148_386
.LBB1148_318:                           ;   Parent Loop BB1148_20 Depth=1
                                        ; =>  This Inner Loop Header: Depth=2
	s_add_i32 s17, s14, 0x1000
	s_mov_b32 s15, -1
	s_cmp_gt_u32 s17, s61
                                        ; implicit-def: $vgpr47_vgpr48
                                        ; implicit-def: $vgpr51_vgpr52
                                        ; implicit-def: $vgpr55_vgpr56
                                        ; implicit-def: $vgpr37_vgpr38
                                        ; implicit-def: $vgpr39_vgpr40
                                        ; implicit-def: $vgpr41_vgpr42
                                        ; implicit-def: $vgpr43_vgpr44
                                        ; implicit-def: $vgpr45_vgpr46
                                        ; implicit-def: $vgpr49_vgpr50
                                        ; implicit-def: $vgpr53_vgpr54
                                        ; implicit-def: $vgpr57_vgpr58
                                        ; implicit-def: $vgpr59_vgpr60
                                        ; implicit-def: $vgpr61_vgpr62
                                        ; implicit-def: $vgpr63_vgpr64
                                        ; implicit-def: $vgpr65_vgpr66
                                        ; implicit-def: $vgpr67_vgpr68
	s_cbranch_scc1 .LBB1148_320
; %bb.319:                              ;   in Loop: Header=BB1148_318 Depth=2
	s_mov_b32 s15, s56
	s_lshl_b64 s[18:19], s[14:15], 3
	s_mov_b32 s15, 0
	v_add_co_u32 v47, vcc_lo, v107, s18
	v_add_co_ci_u32_e64 v48, null, s19, v108, vcc_lo
	v_add_co_u32 v55, vcc_lo, v47, 0x1000
	v_add_co_ci_u32_e64 v56, null, 0, v48, vcc_lo
	;; [unrolled: 2-line block ×6, first 2 shown]
	s_clause 0x7
	global_load_dwordx2 v[37:38], v[39:40], off offset:-2048
	global_load_dwordx2 v[39:40], v[39:40], off
	global_load_dwordx2 v[41:42], v[43:44], off offset:-2048
	global_load_dwordx2 v[43:44], v[43:44], off
	;; [unrolled: 2-line block ×4, first 2 shown]
	v_add_co_u32 v51, vcc_lo, v47, 0x6000
	v_add_co_ci_u32_e64 v52, null, 0, v48, vcc_lo
	v_add_co_u32 v65, vcc_lo, v47, 0x7000
	v_add_co_ci_u32_e64 v66, null, 0, v48, vcc_lo
	v_add_co_u32 v67, vcc_lo, 0x7800, v47
	v_add_co_ci_u32_e64 v68, null, 0, v48, vcc_lo
	s_clause 0x7
	global_load_dwordx2 v[59:60], v[51:52], off offset:-2048
	global_load_dwordx2 v[61:62], v[51:52], off
	global_load_dwordx2 v[63:64], v[65:66], off offset:-2048
	global_load_dwordx2 v[65:66], v[65:66], off
	global_load_dwordx2 v[47:48], v[47:48], off
	global_load_dwordx2 v[51:52], v[55:56], off offset:-2048
	global_load_dwordx2 v[55:56], v[55:56], off
	global_load_dwordx2 v[67:68], v[67:68], off
.LBB1148_320:                           ;   in Loop: Header=BB1148_318 Depth=2
	s_andn2_b32 vcc_lo, exec_lo, s15
	s_movk_i32 s15, 0x1000
	s_cbranch_vccnz .LBB1148_339
; %bb.321:                              ;   in Loop: Header=BB1148_318 Depth=2
	s_mov_b32 s15, s56
	s_mov_b32 s18, exec_lo
	s_lshl_b64 s[14:15], s[14:15], 3
	s_add_u32 s14, s42, s14
	s_addc_u32 s15, s43, s15
	v_cmpx_gt_u32_e64 s16, v0
	s_cbranch_execnz .LBB1148_371
; %bb.322:                              ;   in Loop: Header=BB1148_318 Depth=2
	s_or_b32 exec_lo, exec_lo, s18
	s_mov_b32 s18, exec_lo
	v_cmpx_gt_u32_e64 s16, v74
	s_cbranch_execnz .LBB1148_372
.LBB1148_323:                           ;   in Loop: Header=BB1148_318 Depth=2
	s_or_b32 exec_lo, exec_lo, s18
	s_mov_b32 s18, exec_lo
	v_cmpx_gt_u32_e64 s16, v77
	s_cbranch_execnz .LBB1148_373
.LBB1148_324:                           ;   in Loop: Header=BB1148_318 Depth=2
	s_or_b32 exec_lo, exec_lo, s18
	s_mov_b32 s18, exec_lo
	v_cmpx_gt_u32_e64 s16, v78
	s_cbranch_execnz .LBB1148_374
.LBB1148_325:                           ;   in Loop: Header=BB1148_318 Depth=2
	s_or_b32 exec_lo, exec_lo, s18
	s_mov_b32 s18, exec_lo
	v_cmpx_gt_u32_e64 s16, v79
	s_cbranch_execnz .LBB1148_375
.LBB1148_326:                           ;   in Loop: Header=BB1148_318 Depth=2
	s_or_b32 exec_lo, exec_lo, s18
	s_mov_b32 s18, exec_lo
	v_cmpx_gt_u32_e64 s16, v80
	s_cbranch_execnz .LBB1148_376
.LBB1148_327:                           ;   in Loop: Header=BB1148_318 Depth=2
	s_or_b32 exec_lo, exec_lo, s18
	s_mov_b32 s18, exec_lo
	v_cmpx_gt_u32_e64 s16, v81
	s_cbranch_execnz .LBB1148_377
.LBB1148_328:                           ;   in Loop: Header=BB1148_318 Depth=2
	s_or_b32 exec_lo, exec_lo, s18
	s_mov_b32 s18, exec_lo
	v_cmpx_gt_u32_e64 s16, v82
	s_cbranch_execnz .LBB1148_378
.LBB1148_329:                           ;   in Loop: Header=BB1148_318 Depth=2
	s_or_b32 exec_lo, exec_lo, s18
	s_mov_b32 s18, exec_lo
	v_cmpx_gt_u32_e64 s16, v83
	s_cbranch_execnz .LBB1148_379
.LBB1148_330:                           ;   in Loop: Header=BB1148_318 Depth=2
	s_or_b32 exec_lo, exec_lo, s18
	s_mov_b32 s18, exec_lo
	v_cmpx_gt_u32_e64 s16, v84
	s_cbranch_execnz .LBB1148_380
.LBB1148_331:                           ;   in Loop: Header=BB1148_318 Depth=2
	s_or_b32 exec_lo, exec_lo, s18
	s_mov_b32 s18, exec_lo
	v_cmpx_gt_u32_e64 s16, v85
	s_cbranch_execnz .LBB1148_381
.LBB1148_332:                           ;   in Loop: Header=BB1148_318 Depth=2
	s_or_b32 exec_lo, exec_lo, s18
	s_mov_b32 s18, exec_lo
	v_cmpx_gt_u32_e64 s16, v86
	s_cbranch_execnz .LBB1148_382
.LBB1148_333:                           ;   in Loop: Header=BB1148_318 Depth=2
	s_or_b32 exec_lo, exec_lo, s18
	s_mov_b32 s18, exec_lo
	v_cmpx_gt_u32_e64 s16, v87
	s_cbranch_execnz .LBB1148_383
.LBB1148_334:                           ;   in Loop: Header=BB1148_318 Depth=2
	s_or_b32 exec_lo, exec_lo, s18
	s_mov_b32 s18, exec_lo
	v_cmpx_gt_u32_e64 s16, v88
	s_cbranch_execnz .LBB1148_384
.LBB1148_335:                           ;   in Loop: Header=BB1148_318 Depth=2
	s_or_b32 exec_lo, exec_lo, s18
	s_mov_b32 s18, exec_lo
	v_cmpx_gt_u32_e64 s16, v89
	s_cbranch_execnz .LBB1148_385
.LBB1148_336:                           ;   in Loop: Header=BB1148_318 Depth=2
	s_or_b32 exec_lo, exec_lo, s18
	s_mov_b32 s18, exec_lo
	v_cmpx_gt_u32_e64 s16, v90
	s_cbranch_execz .LBB1148_338
.LBB1148_337:                           ;   in Loop: Header=BB1148_318 Depth=2
	v_lshlrev_b32_e32 v3, 3, v90
	global_load_dwordx2 v[5:6], v3, s[14:15]
.LBB1148_338:                           ;   in Loop: Header=BB1148_318 Depth=2
	s_or_b32 exec_lo, exec_lo, s18
	s_waitcnt vmcnt(0)
	v_mov_b32_e32 v48, v36
	v_mov_b32_e32 v52, v34
	;; [unrolled: 1-line block ×32, first 2 shown]
	s_mov_b32 s15, s16
.LBB1148_339:                           ;   in Loop: Header=BB1148_318 Depth=2
	s_waitcnt vmcnt(0)
	v_mov_b32_e32 v5, v67
	v_mov_b32_e32 v7, v65
	v_mov_b32_e32 v9, v63
	v_mov_b32_e32 v11, v61
	v_mov_b32_e32 v13, v59
	v_mov_b32_e32 v15, v57
	v_mov_b32_e32 v17, v53
	v_mov_b32_e32 v19, v49
	v_mov_b32_e32 v21, v45
	v_mov_b32_e32 v23, v43
	v_mov_b32_e32 v25, v41
	v_mov_b32_e32 v27, v39
	v_mov_b32_e32 v29, v37
	v_mov_b32_e32 v31, v55
	v_mov_b32_e32 v33, v51
	v_mov_b32_e32 v35, v47
	v_mov_b32_e32 v6, v68
	v_mov_b32_e32 v8, v66
	v_mov_b32_e32 v10, v64
	v_mov_b32_e32 v12, v62
	v_mov_b32_e32 v14, v60
	v_mov_b32_e32 v16, v58
	v_mov_b32_e32 v18, v54
	v_mov_b32_e32 v20, v50
	v_mov_b32_e32 v22, v46
	v_mov_b32_e32 v24, v44
	v_mov_b32_e32 v26, v42
	v_mov_b32_e32 v28, v40
	v_mov_b32_e32 v30, v38
	v_mov_b32_e32 v32, v56
	v_mov_b32_e32 v34, v52
	v_mov_b32_e32 v36, v48
	s_mov_b32 s14, exec_lo
	v_cmpx_gt_u32_e64 s15, v0
	s_cbranch_execnz .LBB1148_355
; %bb.340:                              ;   in Loop: Header=BB1148_318 Depth=2
	s_or_b32 exec_lo, exec_lo, s14
	s_mov_b32 s14, exec_lo
	v_cmpx_gt_u32_e64 s15, v74
	s_cbranch_execnz .LBB1148_356
.LBB1148_341:                           ;   in Loop: Header=BB1148_318 Depth=2
	s_or_b32 exec_lo, exec_lo, s14
	s_mov_b32 s14, exec_lo
	v_cmpx_gt_u32_e64 s15, v77
	s_cbranch_execnz .LBB1148_357
.LBB1148_342:                           ;   in Loop: Header=BB1148_318 Depth=2
	s_or_b32 exec_lo, exec_lo, s14
	s_mov_b32 s14, exec_lo
	v_cmpx_gt_u32_e64 s15, v78
	s_cbranch_execnz .LBB1148_358
.LBB1148_343:                           ;   in Loop: Header=BB1148_318 Depth=2
	s_or_b32 exec_lo, exec_lo, s14
	s_mov_b32 s14, exec_lo
	v_cmpx_gt_u32_e64 s15, v79
	s_cbranch_execnz .LBB1148_359
.LBB1148_344:                           ;   in Loop: Header=BB1148_318 Depth=2
	s_or_b32 exec_lo, exec_lo, s14
	s_mov_b32 s14, exec_lo
	v_cmpx_gt_u32_e64 s15, v80
	s_cbranch_execnz .LBB1148_360
.LBB1148_345:                           ;   in Loop: Header=BB1148_318 Depth=2
	s_or_b32 exec_lo, exec_lo, s14
	s_mov_b32 s14, exec_lo
	v_cmpx_gt_u32_e64 s15, v81
	s_cbranch_execnz .LBB1148_361
.LBB1148_346:                           ;   in Loop: Header=BB1148_318 Depth=2
	s_or_b32 exec_lo, exec_lo, s14
	s_mov_b32 s14, exec_lo
	v_cmpx_gt_u32_e64 s15, v82
	s_cbranch_execnz .LBB1148_362
.LBB1148_347:                           ;   in Loop: Header=BB1148_318 Depth=2
	s_or_b32 exec_lo, exec_lo, s14
	s_mov_b32 s14, exec_lo
	v_cmpx_gt_u32_e64 s15, v83
	s_cbranch_execnz .LBB1148_363
.LBB1148_348:                           ;   in Loop: Header=BB1148_318 Depth=2
	s_or_b32 exec_lo, exec_lo, s14
	s_mov_b32 s14, exec_lo
	v_cmpx_gt_u32_e64 s15, v84
	s_cbranch_execnz .LBB1148_364
.LBB1148_349:                           ;   in Loop: Header=BB1148_318 Depth=2
	s_or_b32 exec_lo, exec_lo, s14
	s_mov_b32 s14, exec_lo
	v_cmpx_gt_u32_e64 s15, v85
	s_cbranch_execnz .LBB1148_365
.LBB1148_350:                           ;   in Loop: Header=BB1148_318 Depth=2
	s_or_b32 exec_lo, exec_lo, s14
	s_mov_b32 s14, exec_lo
	v_cmpx_gt_u32_e64 s15, v86
	s_cbranch_execnz .LBB1148_366
.LBB1148_351:                           ;   in Loop: Header=BB1148_318 Depth=2
	s_or_b32 exec_lo, exec_lo, s14
	s_mov_b32 s14, exec_lo
	v_cmpx_gt_u32_e64 s15, v87
	s_cbranch_execnz .LBB1148_367
.LBB1148_352:                           ;   in Loop: Header=BB1148_318 Depth=2
	s_or_b32 exec_lo, exec_lo, s14
	s_mov_b32 s14, exec_lo
	v_cmpx_gt_u32_e64 s15, v88
	s_cbranch_execnz .LBB1148_368
.LBB1148_353:                           ;   in Loop: Header=BB1148_318 Depth=2
	s_or_b32 exec_lo, exec_lo, s14
	s_mov_b32 s14, exec_lo
	v_cmpx_gt_u32_e64 s15, v89
	s_cbranch_execnz .LBB1148_369
.LBB1148_354:                           ;   in Loop: Header=BB1148_318 Depth=2
	s_or_b32 exec_lo, exec_lo, s14
	s_mov_b32 s14, exec_lo
	v_cmpx_gt_u32_e64 s15, v90
	s_cbranch_execz .LBB1148_317
	s_branch .LBB1148_370
.LBB1148_355:                           ;   in Loop: Header=BB1148_318 Depth=2
	v_cmp_gt_i64_e32 vcc_lo, 0, v[35:36]
	v_ashrrev_i32_e32 v3, 31, v36
	v_not_b32_e32 v3, v3
	v_cndmask_b32_e64 v37, 0x7fffffff, 0, vcc_lo
	v_xor_b32_e32 v38, v37, v36
	v_xor_b32_e32 v37, v3, v35
	v_cmp_ne_u64_e32 vcc_lo, s[56:57], v[37:38]
	v_cndmask_b32_e32 v38, 0x7fffffff, v38, vcc_lo
	v_cndmask_b32_e32 v37, -1, v37, vcc_lo
	v_lshrrev_b64 v[37:38], s63, v[37:38]
	v_and_b32_e32 v3, s65, v37
	v_lshl_or_b32 v3, v3, 4, v91
	ds_add_u32 v3, v119
	s_or_b32 exec_lo, exec_lo, s14
	s_mov_b32 s14, exec_lo
	v_cmpx_gt_u32_e64 s15, v74
	s_cbranch_execz .LBB1148_341
.LBB1148_356:                           ;   in Loop: Header=BB1148_318 Depth=2
	v_cmp_gt_i64_e32 vcc_lo, 0, v[33:34]
	v_ashrrev_i32_e32 v3, 31, v34
	v_not_b32_e32 v3, v3
	v_cndmask_b32_e64 v37, 0x7fffffff, 0, vcc_lo
	v_xor_b32_e32 v38, v37, v34
	v_xor_b32_e32 v37, v3, v33
	v_cmp_ne_u64_e32 vcc_lo, s[56:57], v[37:38]
	v_cndmask_b32_e32 v38, 0x7fffffff, v38, vcc_lo
	v_cndmask_b32_e32 v37, -1, v37, vcc_lo
	v_lshrrev_b64 v[37:38], s63, v[37:38]
	v_and_b32_e32 v3, s65, v37
	v_lshl_or_b32 v3, v3, 4, v91
	ds_add_u32 v3, v119
	s_or_b32 exec_lo, exec_lo, s14
	s_mov_b32 s14, exec_lo
	v_cmpx_gt_u32_e64 s15, v77
	s_cbranch_execz .LBB1148_342
.LBB1148_357:                           ;   in Loop: Header=BB1148_318 Depth=2
	v_cmp_gt_i64_e32 vcc_lo, 0, v[31:32]
	v_ashrrev_i32_e32 v3, 31, v32
	v_not_b32_e32 v3, v3
	v_cndmask_b32_e64 v37, 0x7fffffff, 0, vcc_lo
	v_xor_b32_e32 v38, v37, v32
	v_xor_b32_e32 v37, v3, v31
	v_cmp_ne_u64_e32 vcc_lo, s[56:57], v[37:38]
	v_cndmask_b32_e32 v38, 0x7fffffff, v38, vcc_lo
	v_cndmask_b32_e32 v37, -1, v37, vcc_lo
	v_lshrrev_b64 v[37:38], s63, v[37:38]
	v_and_b32_e32 v3, s65, v37
	v_lshl_or_b32 v3, v3, 4, v91
	ds_add_u32 v3, v119
	s_or_b32 exec_lo, exec_lo, s14
	s_mov_b32 s14, exec_lo
	v_cmpx_gt_u32_e64 s15, v78
	s_cbranch_execz .LBB1148_343
.LBB1148_358:                           ;   in Loop: Header=BB1148_318 Depth=2
	v_cmp_gt_i64_e32 vcc_lo, 0, v[29:30]
	v_ashrrev_i32_e32 v3, 31, v30
	v_not_b32_e32 v3, v3
	v_cndmask_b32_e64 v37, 0x7fffffff, 0, vcc_lo
	v_xor_b32_e32 v38, v37, v30
	v_xor_b32_e32 v37, v3, v29
	v_cmp_ne_u64_e32 vcc_lo, s[56:57], v[37:38]
	v_cndmask_b32_e32 v38, 0x7fffffff, v38, vcc_lo
	v_cndmask_b32_e32 v37, -1, v37, vcc_lo
	v_lshrrev_b64 v[37:38], s63, v[37:38]
	v_and_b32_e32 v3, s65, v37
	v_lshl_or_b32 v3, v3, 4, v91
	ds_add_u32 v3, v119
	s_or_b32 exec_lo, exec_lo, s14
	s_mov_b32 s14, exec_lo
	v_cmpx_gt_u32_e64 s15, v79
	s_cbranch_execz .LBB1148_344
.LBB1148_359:                           ;   in Loop: Header=BB1148_318 Depth=2
	v_cmp_gt_i64_e32 vcc_lo, 0, v[27:28]
	v_ashrrev_i32_e32 v3, 31, v28
	v_not_b32_e32 v3, v3
	v_cndmask_b32_e64 v37, 0x7fffffff, 0, vcc_lo
	v_xor_b32_e32 v38, v37, v28
	v_xor_b32_e32 v37, v3, v27
	v_cmp_ne_u64_e32 vcc_lo, s[56:57], v[37:38]
	v_cndmask_b32_e32 v38, 0x7fffffff, v38, vcc_lo
	v_cndmask_b32_e32 v37, -1, v37, vcc_lo
	v_lshrrev_b64 v[37:38], s63, v[37:38]
	v_and_b32_e32 v3, s65, v37
	v_lshl_or_b32 v3, v3, 4, v91
	ds_add_u32 v3, v119
	s_or_b32 exec_lo, exec_lo, s14
	s_mov_b32 s14, exec_lo
	v_cmpx_gt_u32_e64 s15, v80
	s_cbranch_execz .LBB1148_345
.LBB1148_360:                           ;   in Loop: Header=BB1148_318 Depth=2
	v_cmp_gt_i64_e32 vcc_lo, 0, v[25:26]
	v_ashrrev_i32_e32 v3, 31, v26
	v_not_b32_e32 v3, v3
	v_cndmask_b32_e64 v37, 0x7fffffff, 0, vcc_lo
	v_xor_b32_e32 v38, v37, v26
	v_xor_b32_e32 v37, v3, v25
	v_cmp_ne_u64_e32 vcc_lo, s[56:57], v[37:38]
	v_cndmask_b32_e32 v38, 0x7fffffff, v38, vcc_lo
	v_cndmask_b32_e32 v37, -1, v37, vcc_lo
	v_lshrrev_b64 v[37:38], s63, v[37:38]
	v_and_b32_e32 v3, s65, v37
	v_lshl_or_b32 v3, v3, 4, v91
	ds_add_u32 v3, v119
	s_or_b32 exec_lo, exec_lo, s14
	s_mov_b32 s14, exec_lo
	v_cmpx_gt_u32_e64 s15, v81
	s_cbranch_execz .LBB1148_346
.LBB1148_361:                           ;   in Loop: Header=BB1148_318 Depth=2
	v_cmp_gt_i64_e32 vcc_lo, 0, v[23:24]
	v_ashrrev_i32_e32 v3, 31, v24
	v_not_b32_e32 v3, v3
	v_cndmask_b32_e64 v37, 0x7fffffff, 0, vcc_lo
	v_xor_b32_e32 v38, v37, v24
	v_xor_b32_e32 v37, v3, v23
	v_cmp_ne_u64_e32 vcc_lo, s[56:57], v[37:38]
	v_cndmask_b32_e32 v38, 0x7fffffff, v38, vcc_lo
	v_cndmask_b32_e32 v37, -1, v37, vcc_lo
	v_lshrrev_b64 v[37:38], s63, v[37:38]
	v_and_b32_e32 v3, s65, v37
	v_lshl_or_b32 v3, v3, 4, v91
	ds_add_u32 v3, v119
	s_or_b32 exec_lo, exec_lo, s14
	s_mov_b32 s14, exec_lo
	v_cmpx_gt_u32_e64 s15, v82
	s_cbranch_execz .LBB1148_347
.LBB1148_362:                           ;   in Loop: Header=BB1148_318 Depth=2
	v_cmp_gt_i64_e32 vcc_lo, 0, v[21:22]
	v_ashrrev_i32_e32 v3, 31, v22
	v_not_b32_e32 v3, v3
	v_cndmask_b32_e64 v37, 0x7fffffff, 0, vcc_lo
	v_xor_b32_e32 v38, v37, v22
	v_xor_b32_e32 v37, v3, v21
	v_cmp_ne_u64_e32 vcc_lo, s[56:57], v[37:38]
	v_cndmask_b32_e32 v38, 0x7fffffff, v38, vcc_lo
	v_cndmask_b32_e32 v37, -1, v37, vcc_lo
	v_lshrrev_b64 v[37:38], s63, v[37:38]
	v_and_b32_e32 v3, s65, v37
	v_lshl_or_b32 v3, v3, 4, v91
	ds_add_u32 v3, v119
	s_or_b32 exec_lo, exec_lo, s14
	s_mov_b32 s14, exec_lo
	v_cmpx_gt_u32_e64 s15, v83
	s_cbranch_execz .LBB1148_348
.LBB1148_363:                           ;   in Loop: Header=BB1148_318 Depth=2
	v_cmp_gt_i64_e32 vcc_lo, 0, v[19:20]
	v_ashrrev_i32_e32 v3, 31, v20
	v_not_b32_e32 v3, v3
	v_cndmask_b32_e64 v37, 0x7fffffff, 0, vcc_lo
	v_xor_b32_e32 v38, v37, v20
	v_xor_b32_e32 v37, v3, v19
	v_cmp_ne_u64_e32 vcc_lo, s[56:57], v[37:38]
	v_cndmask_b32_e32 v38, 0x7fffffff, v38, vcc_lo
	v_cndmask_b32_e32 v37, -1, v37, vcc_lo
	v_lshrrev_b64 v[37:38], s63, v[37:38]
	v_and_b32_e32 v3, s65, v37
	v_lshl_or_b32 v3, v3, 4, v91
	ds_add_u32 v3, v119
	s_or_b32 exec_lo, exec_lo, s14
	s_mov_b32 s14, exec_lo
	v_cmpx_gt_u32_e64 s15, v84
	s_cbranch_execz .LBB1148_349
.LBB1148_364:                           ;   in Loop: Header=BB1148_318 Depth=2
	v_cmp_gt_i64_e32 vcc_lo, 0, v[17:18]
	v_ashrrev_i32_e32 v3, 31, v18
	v_not_b32_e32 v3, v3
	v_cndmask_b32_e64 v37, 0x7fffffff, 0, vcc_lo
	v_xor_b32_e32 v38, v37, v18
	v_xor_b32_e32 v37, v3, v17
	v_cmp_ne_u64_e32 vcc_lo, s[56:57], v[37:38]
	v_cndmask_b32_e32 v38, 0x7fffffff, v38, vcc_lo
	v_cndmask_b32_e32 v37, -1, v37, vcc_lo
	v_lshrrev_b64 v[37:38], s63, v[37:38]
	v_and_b32_e32 v3, s65, v37
	v_lshl_or_b32 v3, v3, 4, v91
	ds_add_u32 v3, v119
	s_or_b32 exec_lo, exec_lo, s14
	s_mov_b32 s14, exec_lo
	v_cmpx_gt_u32_e64 s15, v85
	s_cbranch_execz .LBB1148_350
.LBB1148_365:                           ;   in Loop: Header=BB1148_318 Depth=2
	v_cmp_gt_i64_e32 vcc_lo, 0, v[15:16]
	v_ashrrev_i32_e32 v3, 31, v16
	v_not_b32_e32 v3, v3
	v_cndmask_b32_e64 v37, 0x7fffffff, 0, vcc_lo
	v_xor_b32_e32 v38, v37, v16
	v_xor_b32_e32 v37, v3, v15
	v_cmp_ne_u64_e32 vcc_lo, s[56:57], v[37:38]
	v_cndmask_b32_e32 v38, 0x7fffffff, v38, vcc_lo
	v_cndmask_b32_e32 v37, -1, v37, vcc_lo
	v_lshrrev_b64 v[37:38], s63, v[37:38]
	v_and_b32_e32 v3, s65, v37
	v_lshl_or_b32 v3, v3, 4, v91
	ds_add_u32 v3, v119
	s_or_b32 exec_lo, exec_lo, s14
	s_mov_b32 s14, exec_lo
	v_cmpx_gt_u32_e64 s15, v86
	s_cbranch_execz .LBB1148_351
.LBB1148_366:                           ;   in Loop: Header=BB1148_318 Depth=2
	v_cmp_gt_i64_e32 vcc_lo, 0, v[13:14]
	v_ashrrev_i32_e32 v3, 31, v14
	v_not_b32_e32 v3, v3
	v_cndmask_b32_e64 v37, 0x7fffffff, 0, vcc_lo
	v_xor_b32_e32 v38, v37, v14
	v_xor_b32_e32 v37, v3, v13
	v_cmp_ne_u64_e32 vcc_lo, s[56:57], v[37:38]
	v_cndmask_b32_e32 v38, 0x7fffffff, v38, vcc_lo
	v_cndmask_b32_e32 v37, -1, v37, vcc_lo
	v_lshrrev_b64 v[37:38], s63, v[37:38]
	v_and_b32_e32 v3, s65, v37
	v_lshl_or_b32 v3, v3, 4, v91
	ds_add_u32 v3, v119
	s_or_b32 exec_lo, exec_lo, s14
	s_mov_b32 s14, exec_lo
	v_cmpx_gt_u32_e64 s15, v87
	s_cbranch_execz .LBB1148_352
.LBB1148_367:                           ;   in Loop: Header=BB1148_318 Depth=2
	v_cmp_gt_i64_e32 vcc_lo, 0, v[11:12]
	v_ashrrev_i32_e32 v3, 31, v12
	v_not_b32_e32 v3, v3
	v_cndmask_b32_e64 v37, 0x7fffffff, 0, vcc_lo
	v_xor_b32_e32 v38, v37, v12
	v_xor_b32_e32 v37, v3, v11
	v_cmp_ne_u64_e32 vcc_lo, s[56:57], v[37:38]
	v_cndmask_b32_e32 v38, 0x7fffffff, v38, vcc_lo
	v_cndmask_b32_e32 v37, -1, v37, vcc_lo
	v_lshrrev_b64 v[37:38], s63, v[37:38]
	v_and_b32_e32 v3, s65, v37
	v_lshl_or_b32 v3, v3, 4, v91
	ds_add_u32 v3, v119
	s_or_b32 exec_lo, exec_lo, s14
	s_mov_b32 s14, exec_lo
	v_cmpx_gt_u32_e64 s15, v88
	s_cbranch_execz .LBB1148_353
.LBB1148_368:                           ;   in Loop: Header=BB1148_318 Depth=2
	v_cmp_gt_i64_e32 vcc_lo, 0, v[9:10]
	v_ashrrev_i32_e32 v3, 31, v10
	v_not_b32_e32 v3, v3
	v_cndmask_b32_e64 v37, 0x7fffffff, 0, vcc_lo
	v_xor_b32_e32 v38, v37, v10
	v_xor_b32_e32 v37, v3, v9
	v_cmp_ne_u64_e32 vcc_lo, s[56:57], v[37:38]
	v_cndmask_b32_e32 v38, 0x7fffffff, v38, vcc_lo
	v_cndmask_b32_e32 v37, -1, v37, vcc_lo
	v_lshrrev_b64 v[37:38], s63, v[37:38]
	v_and_b32_e32 v3, s65, v37
	v_lshl_or_b32 v3, v3, 4, v91
	ds_add_u32 v3, v119
	s_or_b32 exec_lo, exec_lo, s14
	s_mov_b32 s14, exec_lo
	v_cmpx_gt_u32_e64 s15, v89
	s_cbranch_execz .LBB1148_354
.LBB1148_369:                           ;   in Loop: Header=BB1148_318 Depth=2
	v_cmp_gt_i64_e32 vcc_lo, 0, v[7:8]
	v_ashrrev_i32_e32 v3, 31, v8
	v_not_b32_e32 v3, v3
	v_cndmask_b32_e64 v37, 0x7fffffff, 0, vcc_lo
	v_xor_b32_e32 v38, v37, v8
	v_xor_b32_e32 v37, v3, v7
	v_cmp_ne_u64_e32 vcc_lo, s[56:57], v[37:38]
	v_cndmask_b32_e32 v38, 0x7fffffff, v38, vcc_lo
	v_cndmask_b32_e32 v37, -1, v37, vcc_lo
	v_lshrrev_b64 v[37:38], s63, v[37:38]
	v_and_b32_e32 v3, s65, v37
	v_lshl_or_b32 v3, v3, 4, v91
	ds_add_u32 v3, v119
	s_or_b32 exec_lo, exec_lo, s14
	s_mov_b32 s14, exec_lo
	v_cmpx_gt_u32_e64 s15, v90
	s_cbranch_execz .LBB1148_317
.LBB1148_370:                           ;   in Loop: Header=BB1148_318 Depth=2
	v_cmp_gt_i64_e32 vcc_lo, 0, v[5:6]
	v_ashrrev_i32_e32 v3, 31, v6
	v_not_b32_e32 v3, v3
	v_cndmask_b32_e64 v37, 0x7fffffff, 0, vcc_lo
	v_xor_b32_e32 v38, v37, v6
	v_xor_b32_e32 v37, v3, v5
	v_cmp_ne_u64_e32 vcc_lo, s[56:57], v[37:38]
	v_cndmask_b32_e32 v38, 0x7fffffff, v38, vcc_lo
	v_cndmask_b32_e32 v37, -1, v37, vcc_lo
	v_lshrrev_b64 v[37:38], s63, v[37:38]
	v_and_b32_e32 v3, s65, v37
	v_lshl_or_b32 v3, v3, 4, v91
	ds_add_u32 v3, v119
	s_branch .LBB1148_317
.LBB1148_371:                           ;   in Loop: Header=BB1148_318 Depth=2
	global_load_dwordx2 v[35:36], v120, s[14:15]
	s_or_b32 exec_lo, exec_lo, s18
	s_mov_b32 s18, exec_lo
	v_cmpx_gt_u32_e64 s16, v74
	s_cbranch_execz .LBB1148_323
.LBB1148_372:                           ;   in Loop: Header=BB1148_318 Depth=2
	global_load_dwordx2 v[33:34], v121, s[14:15]
	s_or_b32 exec_lo, exec_lo, s18
	s_mov_b32 s18, exec_lo
	v_cmpx_gt_u32_e64 s16, v77
	s_cbranch_execz .LBB1148_324
.LBB1148_373:                           ;   in Loop: Header=BB1148_318 Depth=2
	global_load_dwordx2 v[31:32], v122, s[14:15]
	s_or_b32 exec_lo, exec_lo, s18
	s_mov_b32 s18, exec_lo
	v_cmpx_gt_u32_e64 s16, v78
	s_cbranch_execz .LBB1148_325
.LBB1148_374:                           ;   in Loop: Header=BB1148_318 Depth=2
	global_load_dwordx2 v[29:30], v123, s[14:15]
	s_or_b32 exec_lo, exec_lo, s18
	s_mov_b32 s18, exec_lo
	v_cmpx_gt_u32_e64 s16, v79
	s_cbranch_execz .LBB1148_326
.LBB1148_375:                           ;   in Loop: Header=BB1148_318 Depth=2
	global_load_dwordx2 v[27:28], v124, s[14:15]
	s_or_b32 exec_lo, exec_lo, s18
	s_mov_b32 s18, exec_lo
	v_cmpx_gt_u32_e64 s16, v80
	s_cbranch_execz .LBB1148_327
.LBB1148_376:                           ;   in Loop: Header=BB1148_318 Depth=2
	global_load_dwordx2 v[25:26], v125, s[14:15]
	s_or_b32 exec_lo, exec_lo, s18
	s_mov_b32 s18, exec_lo
	v_cmpx_gt_u32_e64 s16, v81
	s_cbranch_execz .LBB1148_328
.LBB1148_377:                           ;   in Loop: Header=BB1148_318 Depth=2
	v_lshlrev_b32_e32 v3, 3, v81
	global_load_dwordx2 v[23:24], v3, s[14:15]
	s_or_b32 exec_lo, exec_lo, s18
	s_mov_b32 s18, exec_lo
	v_cmpx_gt_u32_e64 s16, v82
	s_cbranch_execz .LBB1148_329
.LBB1148_378:                           ;   in Loop: Header=BB1148_318 Depth=2
	v_lshlrev_b32_e32 v3, 3, v82
	global_load_dwordx2 v[21:22], v3, s[14:15]
	s_or_b32 exec_lo, exec_lo, s18
	s_mov_b32 s18, exec_lo
	v_cmpx_gt_u32_e64 s16, v83
	s_cbranch_execz .LBB1148_330
.LBB1148_379:                           ;   in Loop: Header=BB1148_318 Depth=2
	v_lshlrev_b32_e32 v3, 3, v83
	global_load_dwordx2 v[19:20], v3, s[14:15]
	s_or_b32 exec_lo, exec_lo, s18
	s_mov_b32 s18, exec_lo
	v_cmpx_gt_u32_e64 s16, v84
	s_cbranch_execz .LBB1148_331
.LBB1148_380:                           ;   in Loop: Header=BB1148_318 Depth=2
	v_lshlrev_b32_e32 v3, 3, v84
	global_load_dwordx2 v[17:18], v3, s[14:15]
	s_or_b32 exec_lo, exec_lo, s18
	s_mov_b32 s18, exec_lo
	v_cmpx_gt_u32_e64 s16, v85
	s_cbranch_execz .LBB1148_332
.LBB1148_381:                           ;   in Loop: Header=BB1148_318 Depth=2
	v_lshlrev_b32_e32 v3, 3, v85
	global_load_dwordx2 v[15:16], v3, s[14:15]
	s_or_b32 exec_lo, exec_lo, s18
	s_mov_b32 s18, exec_lo
	v_cmpx_gt_u32_e64 s16, v86
	s_cbranch_execz .LBB1148_333
.LBB1148_382:                           ;   in Loop: Header=BB1148_318 Depth=2
	v_lshlrev_b32_e32 v3, 3, v86
	global_load_dwordx2 v[13:14], v3, s[14:15]
	s_or_b32 exec_lo, exec_lo, s18
	s_mov_b32 s18, exec_lo
	v_cmpx_gt_u32_e64 s16, v87
	s_cbranch_execz .LBB1148_334
.LBB1148_383:                           ;   in Loop: Header=BB1148_318 Depth=2
	v_lshlrev_b32_e32 v3, 3, v87
	global_load_dwordx2 v[11:12], v3, s[14:15]
	s_or_b32 exec_lo, exec_lo, s18
	s_mov_b32 s18, exec_lo
	v_cmpx_gt_u32_e64 s16, v88
	s_cbranch_execz .LBB1148_335
.LBB1148_384:                           ;   in Loop: Header=BB1148_318 Depth=2
	v_lshlrev_b32_e32 v3, 3, v88
	global_load_dwordx2 v[9:10], v3, s[14:15]
	s_or_b32 exec_lo, exec_lo, s18
	s_mov_b32 s18, exec_lo
	v_cmpx_gt_u32_e64 s16, v89
	s_cbranch_execz .LBB1148_336
.LBB1148_385:                           ;   in Loop: Header=BB1148_318 Depth=2
	v_lshlrev_b32_e32 v3, 3, v89
	global_load_dwordx2 v[7:8], v3, s[14:15]
	s_or_b32 exec_lo, exec_lo, s18
	s_mov_b32 s18, exec_lo
	v_cmpx_gt_u32_e64 s16, v90
	s_cbranch_execnz .LBB1148_337
	s_branch .LBB1148_338
.LBB1148_386:                           ;   in Loop: Header=BB1148_20 Depth=1
	v_mov_b32_e32 v3, 0
	s_waitcnt lgkmcnt(0)
	s_barrier
	buffer_gl0_inv
	s_and_saveexec_b32 s14, s8
	s_cbranch_execz .LBB1148_388
; %bb.387:                              ;   in Loop: Header=BB1148_20 Depth=1
	ds_read2_b64 v[5:8], v93 offset1:1
	s_waitcnt lgkmcnt(0)
	v_add_nc_u32_e32 v3, v6, v5
	v_add3_u32 v3, v3, v7, v8
.LBB1148_388:                           ;   in Loop: Header=BB1148_20 Depth=1
	s_or_b32 exec_lo, exec_lo, s14
	v_and_b32_e32 v5, 15, v126
	v_mov_b32_dpp v6, v3 row_shr:1 row_mask:0xf bank_mask:0xf
	v_and_b32_e32 v7, 16, v126
	v_cmp_eq_u32_e64 s14, 0, v5
	v_cmp_lt_u32_e64 s15, 1, v5
	v_cmp_lt_u32_e64 s16, 3, v5
	;; [unrolled: 1-line block ×3, first 2 shown]
	v_cmp_eq_u32_e64 s18, 0, v7
	v_cndmask_b32_e64 v6, v6, 0, s14
	v_add_nc_u32_e32 v3, v6, v3
	v_mov_b32_dpp v6, v3 row_shr:2 row_mask:0xf bank_mask:0xf
	v_cndmask_b32_e64 v6, 0, v6, s15
	v_add_nc_u32_e32 v3, v3, v6
	v_mov_b32_dpp v6, v3 row_shr:4 row_mask:0xf bank_mask:0xf
	;; [unrolled: 3-line block ×3, first 2 shown]
	v_cndmask_b32_e64 v5, 0, v6, s17
	v_bfe_i32 v6, v126, 4, 1
	v_add_nc_u32_e32 v3, v3, v5
	ds_swizzle_b32 v5, v3 offset:swizzle(BROADCAST,32,15)
	s_waitcnt lgkmcnt(0)
	v_and_b32_e32 v5, v6, v5
	v_add_nc_u32_e32 v3, v3, v5
	s_and_saveexec_b32 s19, s9
; %bb.389:                              ;   in Loop: Header=BB1148_20 Depth=1
	ds_write_b32 v94, v3
; %bb.390:                              ;   in Loop: Header=BB1148_20 Depth=1
	s_or_b32 exec_lo, exec_lo, s19
	s_waitcnt lgkmcnt(0)
	s_barrier
	buffer_gl0_inv
	s_and_saveexec_b32 s19, s10
	s_cbranch_execz .LBB1148_392
; %bb.391:                              ;   in Loop: Header=BB1148_20 Depth=1
	ds_read_b32 v5, v95
	v_and_b32_e32 v6, 3, v126
	v_cmp_ne_u32_e32 vcc_lo, 0, v6
	s_waitcnt lgkmcnt(0)
	v_mov_b32_dpp v7, v5 row_shr:1 row_mask:0xf bank_mask:0xf
	v_cndmask_b32_e32 v7, 0, v7, vcc_lo
	v_cmp_lt_u32_e32 vcc_lo, 1, v6
	v_add_nc_u32_e32 v5, v7, v5
	v_mov_b32_dpp v7, v5 row_shr:2 row_mask:0xf bank_mask:0xf
	v_cndmask_b32_e32 v6, 0, v7, vcc_lo
	v_add_nc_u32_e32 v5, v5, v6
	ds_write_b32 v95, v5
.LBB1148_392:                           ;   in Loop: Header=BB1148_20 Depth=1
	s_or_b32 exec_lo, exec_lo, s19
	v_mov_b32_e32 v5, 0
	s_waitcnt lgkmcnt(0)
	s_barrier
	buffer_gl0_inv
	s_and_saveexec_b32 s19, s11
; %bb.393:                              ;   in Loop: Header=BB1148_20 Depth=1
	ds_read_b32 v5, v96
; %bb.394:                              ;   in Loop: Header=BB1148_20 Depth=1
	s_or_b32 exec_lo, exec_lo, s19
	v_sub_co_u32 v6, s19, v126, 1
	s_waitcnt lgkmcnt(0)
	v_add_nc_u32_e32 v3, v5, v3
	s_barrier
	v_cmp_gt_i32_e32 vcc_lo, 0, v6
	buffer_gl0_inv
	v_cndmask_b32_e32 v6, v6, v126, vcc_lo
	v_lshlrev_b32_e32 v127, 2, v6
	ds_bpermute_b32 v3, v127, v3
	s_and_saveexec_b32 s20, s8
	s_cbranch_execz .LBB1148_396
; %bb.395:                              ;   in Loop: Header=BB1148_20 Depth=1
	s_waitcnt lgkmcnt(0)
	v_cndmask_b32_e64 v3, v3, v5, s19
	v_add_nc_u32_e32 v3, s60, v3
	ds_write_b32 v73, v3
.LBB1148_396:                           ;   in Loop: Header=BB1148_20 Depth=1
	s_or_b32 exec_lo, exec_lo, s20
	s_load_dwordx2 s[20:21], s[58:59], 0x0
	v_and_b32_e32 v6, 7, v126
	v_lshlrev_b32_e32 v7, 3, v126
	v_or_b32_e32 v128, v126, v97
	s_mov_b32 s66, s62
	s_mov_b32 s46, s60
                                        ; implicit-def: $vgpr9_vgpr10
                                        ; implicit-def: $vgpr11_vgpr12
                                        ; implicit-def: $vgpr13_vgpr14
                                        ; implicit-def: $vgpr17_vgpr18
                                        ; implicit-def: $vgpr21_vgpr22
                                        ; implicit-def: $vgpr25_vgpr26
                                        ; implicit-def: $vgpr15_vgpr16
                                        ; implicit-def: $vgpr19_vgpr20
                                        ; implicit-def: $vgpr23_vgpr24
                                        ; implicit-def: $vgpr27_vgpr28
                                        ; implicit-def: $vgpr29_vgpr30
                                        ; implicit-def: $vgpr31_vgpr32
                                        ; implicit-def: $vgpr33_vgpr34
                                        ; implicit-def: $vgpr35_vgpr36
                                        ; implicit-def: $vgpr149
                                        ; implicit-def: $vgpr150
                                        ; implicit-def: $vgpr151
                                        ; implicit-def: $vgpr152
                                        ; implicit-def: $vgpr153
                                        ; implicit-def: $vgpr154
                                        ; implicit-def: $vgpr155
                                        ; implicit-def: $vgpr157
                                        ; implicit-def: $vgpr158
                                        ; implicit-def: $vgpr159
                                        ; implicit-def: $vgpr160
                                        ; implicit-def: $vgpr161
                                        ; implicit-def: $vgpr162
                                        ; implicit-def: $vgpr163
                                        ; implicit-def: $vgpr164
                                        ; implicit-def: $vgpr165
                                        ; implicit-def: $vgpr156
                                        ; implicit-def: $vgpr166
	v_add_co_u32 v129, vcc_lo, v109, v7
	v_add_co_ci_u32_e64 v130, null, 0, v110, vcc_lo
	v_add_co_u32 v146, vcc_lo, v111, v7
	v_or_b32_e32 v131, 32, v128
	v_or_b32_e32 v132, 64, v128
	;; [unrolled: 1-line block ×7, first 2 shown]
	s_waitcnt lgkmcnt(0)
	s_cmp_lt_u32 s7, s21
	v_or_b32_e32 v138, 0x100, v128
	s_cselect_b32 s21, 14, 20
	v_or_b32_e32 v139, 0x120, v128
	s_add_u32 s22, s58, s21
	s_addc_u32 s23, s59, 0
	s_cmp_lt_u32 s6, s20
	global_load_ushort v3, v4, s[22:23]
	s_cselect_b32 s20, 12, 18
	v_or_b32_e32 v140, 0x140, v128
	s_add_u32 s20, s58, s20
	s_addc_u32 s21, s59, 0
	v_or_b32_e32 v141, 0x160, v128
	global_load_ushort v5, v4, s[20:21]
	v_cmp_eq_u32_e64 s20, 0, v6
	v_cmp_lt_u32_e64 s21, 1, v6
	v_cmp_lt_u32_e64 s22, 3, v6
	v_or_b32_e32 v142, 0x180, v128
	v_or_b32_e32 v143, 0x1a0, v128
	v_or_b32_e32 v144, 0x1c0, v128
	v_or_b32_e32 v145, 0x1e0, v128
	v_add_co_ci_u32_e64 v147, null, 0, v112, vcc_lo
                                        ; implicit-def: $vgpr7_vgpr8
	s_waitcnt vmcnt(1)
	v_mad_u32_u24 v3, v2, v3, v1
	s_waitcnt vmcnt(0)
	v_mad_u64_u32 v[5:6], null, v3, v5, v[0:1]
	v_lshrrev_b32_e32 v3, 3, v5
                                        ; implicit-def: $vgpr5_vgpr6
	v_and_b32_e32 v148, 0x1ffffffc, v3
	s_branch .LBB1148_398
.LBB1148_397:                           ;   in Loop: Header=BB1148_398 Depth=2
	s_or_b32 exec_lo, exec_lo, s23
	s_addk_i32 s66, 0xf000
	s_cmp_lt_u32 s67, s61
	s_mov_b32 s46, s67
	s_cbranch_scc0 .LBB1148_608
.LBB1148_398:                           ;   Parent Loop BB1148_20 Depth=1
                                        ; =>  This Inner Loop Header: Depth=2
	s_add_i32 s67, s46, 0x1000
	s_cmp_gt_u32 s67, s61
	s_cbranch_scc1 .LBB1148_400
; %bb.399:                              ;   in Loop: Header=BB1148_398 Depth=2
	s_mov_b32 s47, s56
	s_mov_b32 s23, -1
	s_lshl_b64 s[24:25], s[46:47], 3
	v_add_co_u32 v43, vcc_lo, v146, s24
	v_add_co_ci_u32_e64 v44, null, s25, v147, vcc_lo
	v_add_co_u32 v45, vcc_lo, 0x800, v43
	v_add_co_ci_u32_e64 v46, null, 0, v44, vcc_lo
	s_clause 0xe
	global_load_dwordx2 v[37:38], v[43:44], off
	global_load_dwordx2 v[39:40], v[43:44], off offset:256
	global_load_dwordx2 v[41:42], v[43:44], off offset:512
	;; [unrolled: 1-line block ×7, first 2 shown]
	global_load_dwordx2 v[67:68], v[45:46], off
	global_load_dwordx2 v[63:64], v[45:46], off offset:256
	global_load_dwordx2 v[59:60], v[45:46], off offset:512
	;; [unrolled: 1-line block ×6, first 2 shown]
	s_movk_i32 s24, 0x1000
	s_cbranch_execz .LBB1148_401
	s_branch .LBB1148_432
.LBB1148_400:                           ;   in Loop: Header=BB1148_398 Depth=2
	s_mov_b32 s23, 0
                                        ; implicit-def: $vgpr37_vgpr38
                                        ; implicit-def: $vgpr39_vgpr40
                                        ; implicit-def: $vgpr41_vgpr42
                                        ; implicit-def: $vgpr49_vgpr50
                                        ; implicit-def: $vgpr53_vgpr54
                                        ; implicit-def: $vgpr57_vgpr58
                                        ; implicit-def: $vgpr61_vgpr62
                                        ; implicit-def: $vgpr65_vgpr66
                                        ; implicit-def: $vgpr67_vgpr68
                                        ; implicit-def: $vgpr63_vgpr64
                                        ; implicit-def: $vgpr59_vgpr60
                                        ; implicit-def: $vgpr55_vgpr56
                                        ; implicit-def: $vgpr51_vgpr52
                                        ; implicit-def: $vgpr47_vgpr48
                                        ; implicit-def: $vgpr43_vgpr44
	s_movk_i32 s24, 0x1000
.LBB1148_401:                           ;   in Loop: Header=BB1148_398 Depth=2
	s_mov_b32 s47, s56
	s_waitcnt vmcnt(13)
	v_mov_b32_e32 v39, -1
	s_lshl_b64 s[24:25], s[46:47], 3
	v_mov_b32_e32 v37, -1
	v_add_co_u32 v45, vcc_lo, v146, s24
	v_add_co_ci_u32_e64 v46, null, s25, v147, vcc_lo
	v_mov_b32_e32 v40, -1
	v_mov_b32_e32 v38, -1
	s_mov_b32 s23, exec_lo
	v_cmpx_gt_u32_e64 s66, v128
	s_cbranch_execz .LBB1148_403
; %bb.402:                              ;   in Loop: Header=BB1148_398 Depth=2
	global_load_dwordx2 v[37:38], v[45:46], off
.LBB1148_403:                           ;   in Loop: Header=BB1148_398 Depth=2
	s_or_b32 exec_lo, exec_lo, s23
	s_mov_b32 s23, exec_lo
	v_cmpx_gt_u32_e64 s66, v131
	s_cbranch_execz .LBB1148_405
; %bb.404:                              ;   in Loop: Header=BB1148_398 Depth=2
	global_load_dwordx2 v[39:40], v[45:46], off offset:256
.LBB1148_405:                           ;   in Loop: Header=BB1148_398 Depth=2
	s_or_b32 exec_lo, exec_lo, s23
	s_waitcnt vmcnt(11)
	v_mov_b32_e32 v49, -1
	v_mov_b32_e32 v41, -1
	v_mov_b32_e32 v50, -1
	v_mov_b32_e32 v42, -1
	s_mov_b32 s23, exec_lo
	v_cmpx_gt_u32_e64 s66, v132
	s_cbranch_execz .LBB1148_407
; %bb.406:                              ;   in Loop: Header=BB1148_398 Depth=2
	global_load_dwordx2 v[41:42], v[45:46], off offset:512
.LBB1148_407:                           ;   in Loop: Header=BB1148_398 Depth=2
	s_or_b32 exec_lo, exec_lo, s23
	s_mov_b32 s23, exec_lo
	v_cmpx_gt_u32_e64 s66, v133
	s_cbranch_execz .LBB1148_409
; %bb.408:                              ;   in Loop: Header=BB1148_398 Depth=2
	global_load_dwordx2 v[49:50], v[45:46], off offset:768
.LBB1148_409:                           ;   in Loop: Header=BB1148_398 Depth=2
	s_or_b32 exec_lo, exec_lo, s23
	s_waitcnt vmcnt(9)
	v_mov_b32_e32 v57, -1
	v_mov_b32_e32 v53, -1
	v_mov_b32_e32 v58, -1
	v_mov_b32_e32 v54, -1
	s_mov_b32 s23, exec_lo
	v_cmpx_gt_u32_e64 s66, v134
	s_cbranch_execz .LBB1148_411
; %bb.410:                              ;   in Loop: Header=BB1148_398 Depth=2
	global_load_dwordx2 v[53:54], v[45:46], off offset:1024
.LBB1148_411:                           ;   in Loop: Header=BB1148_398 Depth=2
	;; [unrolled: 19-line block ×3, first 2 shown]
	s_or_b32 exec_lo, exec_lo, s23
	s_mov_b32 s23, exec_lo
	v_cmpx_gt_u32_e64 s66, v137
	s_cbranch_execz .LBB1148_417
; %bb.416:                              ;   in Loop: Header=BB1148_398 Depth=2
	global_load_dwordx2 v[65:66], v[45:46], off offset:1792
.LBB1148_417:                           ;   in Loop: Header=BB1148_398 Depth=2
	s_or_b32 exec_lo, exec_lo, s23
	s_waitcnt vmcnt(5)
	v_mov_b32_e32 v63, -1
	v_mov_b32_e32 v67, -1
	;; [unrolled: 1-line block ×4, first 2 shown]
	s_mov_b32 s23, exec_lo
	v_cmpx_gt_u32_e64 s66, v138
	s_cbranch_execz .LBB1148_419
; %bb.418:                              ;   in Loop: Header=BB1148_398 Depth=2
	s_waitcnt vmcnt(0)
	v_add_co_u32 v43, vcc_lo, 0x800, v45
	v_add_co_ci_u32_e64 v44, null, 0, v46, vcc_lo
	global_load_dwordx2 v[67:68], v[43:44], off
.LBB1148_419:                           ;   in Loop: Header=BB1148_398 Depth=2
	s_or_b32 exec_lo, exec_lo, s23
	s_mov_b32 s23, exec_lo
	v_cmpx_gt_u32_e64 s66, v139
	s_cbranch_execz .LBB1148_421
; %bb.420:                              ;   in Loop: Header=BB1148_398 Depth=2
	s_waitcnt vmcnt(0)
	v_add_co_u32 v43, vcc_lo, 0x800, v45
	v_add_co_ci_u32_e64 v44, null, 0, v46, vcc_lo
	global_load_dwordx2 v[63:64], v[43:44], off offset:256
.LBB1148_421:                           ;   in Loop: Header=BB1148_398 Depth=2
	s_or_b32 exec_lo, exec_lo, s23
	s_waitcnt vmcnt(3)
	v_mov_b32_e32 v55, -1
	v_mov_b32_e32 v59, -1
	;; [unrolled: 1-line block ×4, first 2 shown]
	s_mov_b32 s23, exec_lo
	v_cmpx_gt_u32_e64 s66, v140
	s_cbranch_execz .LBB1148_423
; %bb.422:                              ;   in Loop: Header=BB1148_398 Depth=2
	s_waitcnt vmcnt(0)
	v_add_co_u32 v43, vcc_lo, 0x800, v45
	v_add_co_ci_u32_e64 v44, null, 0, v46, vcc_lo
	global_load_dwordx2 v[59:60], v[43:44], off offset:512
.LBB1148_423:                           ;   in Loop: Header=BB1148_398 Depth=2
	s_or_b32 exec_lo, exec_lo, s23
	s_mov_b32 s23, exec_lo
	v_cmpx_gt_u32_e64 s66, v141
	s_cbranch_execz .LBB1148_425
; %bb.424:                              ;   in Loop: Header=BB1148_398 Depth=2
	s_waitcnt vmcnt(0)
	v_add_co_u32 v43, vcc_lo, 0x800, v45
	v_add_co_ci_u32_e64 v44, null, 0, v46, vcc_lo
	global_load_dwordx2 v[55:56], v[43:44], off offset:768
.LBB1148_425:                           ;   in Loop: Header=BB1148_398 Depth=2
	s_or_b32 exec_lo, exec_lo, s23
	s_waitcnt vmcnt(1)
	v_mov_b32_e32 v47, -1
	v_mov_b32_e32 v51, -1
	;; [unrolled: 1-line block ×4, first 2 shown]
	s_mov_b32 s23, exec_lo
	v_cmpx_gt_u32_e64 s66, v142
	s_cbranch_execz .LBB1148_427
; %bb.426:                              ;   in Loop: Header=BB1148_398 Depth=2
	s_waitcnt vmcnt(0)
	v_add_co_u32 v43, vcc_lo, 0x800, v45
	v_add_co_ci_u32_e64 v44, null, 0, v46, vcc_lo
	global_load_dwordx2 v[51:52], v[43:44], off offset:1024
.LBB1148_427:                           ;   in Loop: Header=BB1148_398 Depth=2
	s_or_b32 exec_lo, exec_lo, s23
	s_mov_b32 s23, exec_lo
	v_cmpx_gt_u32_e64 s66, v143
	s_cbranch_execz .LBB1148_429
; %bb.428:                              ;   in Loop: Header=BB1148_398 Depth=2
	s_waitcnt vmcnt(0)
	v_add_co_u32 v43, vcc_lo, 0x800, v45
	v_add_co_ci_u32_e64 v44, null, 0, v46, vcc_lo
	global_load_dwordx2 v[47:48], v[43:44], off offset:1280
.LBB1148_429:                           ;   in Loop: Header=BB1148_398 Depth=2
	s_or_b32 exec_lo, exec_lo, s23
	s_waitcnt vmcnt(0)
	v_mov_b32_e32 v43, -1
	v_mov_b32_e32 v44, -1
	s_mov_b32 s23, exec_lo
	v_cmpx_gt_u32_e64 s66, v144
	s_cbranch_execz .LBB1148_431
; %bb.430:                              ;   in Loop: Header=BB1148_398 Depth=2
	v_add_co_u32 v43, vcc_lo, 0x800, v45
	v_add_co_ci_u32_e64 v44, null, 0, v46, vcc_lo
	global_load_dwordx2 v[43:44], v[43:44], off offset:1536
.LBB1148_431:                           ;   in Loop: Header=BB1148_398 Depth=2
	s_or_b32 exec_lo, exec_lo, s23
	v_cmp_gt_u32_e64 s23, s66, v145
	s_sub_i32 s24, s61, s46
.LBB1148_432:                           ;   in Loop: Header=BB1148_398 Depth=2
	v_mov_b32_e32 v45, -1
	v_mov_b32_e32 v46, -1
	v_mov_b32_e32 v167, s66
	s_and_saveexec_b32 s25, s23
	s_cbranch_execz .LBB1148_434
; %bb.433:                              ;   in Loop: Header=BB1148_398 Depth=2
	s_lshl_b64 s[26:27], s[46:47], 3
	v_mov_b32_e32 v167, s24
	v_add_co_u32 v3, vcc_lo, v146, s26
	v_add_co_ci_u32_e64 v46, null, s27, v147, vcc_lo
	v_add_co_u32 v45, vcc_lo, 0x800, v3
	v_add_co_ci_u32_e64 v46, null, 0, v46, vcc_lo
	global_load_dwordx2 v[45:46], v[45:46], off offset:1792
.LBB1148_434:                           ;   in Loop: Header=BB1148_398 Depth=2
	s_or_b32 exec_lo, exec_lo, s25
	s_waitcnt vmcnt(14)
	v_cmp_gt_i64_e32 vcc_lo, 0, v[37:38]
	v_ashrrev_i32_e32 v3, 31, v38
	ds_write2_b32 v98, v4, v4 offset0:136 offset1:137
	ds_write2_b32 v98, v4, v4 offset0:138 offset1:139
	ds_write_b32 v98, v4 offset:560
	s_waitcnt vmcnt(0) lgkmcnt(0)
	s_barrier
	v_cndmask_b32_e64 v69, 0x7fffffff, 0, vcc_lo
	v_not_b32_e32 v3, v3
	buffer_gl0_inv
	; wave barrier
	v_xor_b32_e32 v38, v69, v38
	v_xor_b32_e32 v37, v3, v37
	v_cmp_ne_u64_e32 vcc_lo, s[56:57], v[37:38]
	v_cndmask_b32_e32 v70, 0x7fffffff, v38, vcc_lo
	v_cndmask_b32_e32 v69, -1, v37, vcc_lo
	v_lshrrev_b64 v[69:70], s63, v[69:70]
	v_and_b32_e32 v70, s65, v69
	v_and_b32_e32 v3, 1, v70
	v_lshlrev_b32_e32 v69, 30, v70
	v_lshlrev_b32_e32 v71, 29, v70
	;; [unrolled: 1-line block ×4, first 2 shown]
	v_add_co_u32 v3, s23, v3, -1
	v_cndmask_b32_e64 v72, 0, 1, s23
	v_not_b32_e32 v171, v69
	v_cmp_gt_i32_e64 s23, 0, v69
	v_not_b32_e32 v69, v71
	v_lshlrev_b32_e32 v170, 26, v70
	v_cmp_ne_u32_e32 vcc_lo, 0, v72
	v_ashrrev_i32_e32 v171, 31, v171
	v_lshlrev_b32_e32 v72, 25, v70
	v_ashrrev_i32_e32 v69, 31, v69
	v_mul_u32_u24_e32 v70, 36, v70
	v_xor_b32_e32 v3, vcc_lo, v3
	v_cmp_gt_i32_e32 vcc_lo, 0, v71
	v_not_b32_e32 v71, v168
	v_xor_b32_e32 v171, s23, v171
	v_cmp_gt_i32_e64 s23, 0, v168
	v_and_b32_e32 v3, exec_lo, v3
	v_not_b32_e32 v168, v169
	v_ashrrev_i32_e32 v71, 31, v71
	v_xor_b32_e32 v69, vcc_lo, v69
	v_cmp_gt_i32_e32 vcc_lo, 0, v169
	v_and_b32_e32 v3, v3, v171
	v_not_b32_e32 v169, v170
	v_ashrrev_i32_e32 v168, 31, v168
	v_xor_b32_e32 v71, s23, v71
	v_cmp_gt_i32_e64 s23, 0, v170
	v_and_b32_e32 v3, v3, v69
	v_not_b32_e32 v69, v72
	v_ashrrev_i32_e32 v169, 31, v169
	v_xor_b32_e32 v168, vcc_lo, v168
	v_cmp_gt_i32_e32 vcc_lo, 0, v72
	v_and_b32_e32 v3, v3, v71
	v_ashrrev_i32_e32 v69, 31, v69
	v_xor_b32_e32 v71, s23, v169
	v_and_b32_e32 v3, v3, v168
	v_xor_b32_e32 v69, vcc_lo, v69
	v_add_nc_u32_e32 v168, v148, v70
	v_and_b32_e32 v3, v3, v71
	v_and_b32_e32 v69, v3, v69
	v_mbcnt_lo_u32_b32 v3, v69, 0
	v_cmp_ne_u32_e64 s23, 0, v69
	v_cmp_eq_u32_e32 vcc_lo, 0, v3
	s_and_b32 s24, s23, vcc_lo
	s_and_saveexec_b32 s23, s24
; %bb.435:                              ;   in Loop: Header=BB1148_398 Depth=2
	v_bcnt_u32_b32 v69, v69, 0
	ds_write_b32 v168, v69 offset:544
; %bb.436:                              ;   in Loop: Header=BB1148_398 Depth=2
	s_or_b32 exec_lo, exec_lo, s23
	v_cmp_gt_i64_e32 vcc_lo, 0, v[39:40]
	v_ashrrev_i32_e32 v69, 31, v40
	; wave barrier
	v_not_b32_e32 v69, v69
	v_cndmask_b32_e64 v70, 0x7fffffff, 0, vcc_lo
	v_xor_b32_e32 v39, v69, v39
	v_xor_b32_e32 v40, v70, v40
	v_cmp_ne_u64_e32 vcc_lo, s[56:57], v[39:40]
	v_cndmask_b32_e32 v70, 0x7fffffff, v40, vcc_lo
	v_cndmask_b32_e32 v69, -1, v39, vcc_lo
	v_lshrrev_b64 v[69:70], s63, v[69:70]
	v_and_b32_e32 v70, s65, v69
	v_and_b32_e32 v69, 1, v70
	v_lshlrev_b32_e32 v71, 30, v70
	v_lshlrev_b32_e32 v72, 29, v70
	v_lshlrev_b32_e32 v170, 28, v70
	v_lshlrev_b32_e32 v171, 27, v70
	v_add_co_u32 v69, s23, v69, -1
	v_cndmask_b32_e64 v169, 0, 1, s23
	v_not_b32_e32 v173, v71
	v_cmp_gt_i32_e64 s23, 0, v71
	v_not_b32_e32 v71, v72
	v_lshlrev_b32_e32 v172, 26, v70
	v_cmp_ne_u32_e32 vcc_lo, 0, v169
	v_ashrrev_i32_e32 v173, 31, v173
	v_lshlrev_b32_e32 v169, 25, v70
	v_ashrrev_i32_e32 v71, 31, v71
	v_xor_b32_e32 v69, vcc_lo, v69
	v_cmp_gt_i32_e32 vcc_lo, 0, v72
	v_not_b32_e32 v72, v170
	v_xor_b32_e32 v173, s23, v173
	v_cmp_gt_i32_e64 s23, 0, v170
	v_and_b32_e32 v69, exec_lo, v69
	v_not_b32_e32 v170, v171
	v_ashrrev_i32_e32 v72, 31, v72
	v_xor_b32_e32 v71, vcc_lo, v71
	v_cmp_gt_i32_e32 vcc_lo, 0, v171
	v_and_b32_e32 v69, v69, v173
	v_not_b32_e32 v171, v172
	v_ashrrev_i32_e32 v170, 31, v170
	v_xor_b32_e32 v72, s23, v72
	v_cmp_gt_i32_e64 s23, 0, v172
	v_and_b32_e32 v69, v69, v71
	v_not_b32_e32 v71, v169
	v_ashrrev_i32_e32 v171, 31, v171
	v_xor_b32_e32 v170, vcc_lo, v170
	v_cmp_gt_i32_e32 vcc_lo, 0, v169
	v_and_b32_e32 v69, v69, v72
	v_ashrrev_i32_e32 v71, 31, v71
	v_xor_b32_e32 v72, s23, v171
	v_mad_u32_u24 v169, v70, 36, v148
	v_mul_u32_u24_e32 v70, 36, v70
	v_and_b32_e32 v69, v69, v170
	v_xor_b32_e32 v71, vcc_lo, v71
	ds_read_b32 v169, v169 offset:544
	v_add_nc_u32_e32 v171, v148, v70
	v_and_b32_e32 v69, v69, v72
	; wave barrier
	v_and_b32_e32 v69, v69, v71
	v_mbcnt_lo_u32_b32 v170, v69, 0
	v_cmp_ne_u32_e64 s23, 0, v69
	v_cmp_eq_u32_e32 vcc_lo, 0, v170
	s_and_b32 s24, s23, vcc_lo
	s_and_saveexec_b32 s23, s24
	s_cbranch_execz .LBB1148_438
; %bb.437:                              ;   in Loop: Header=BB1148_398 Depth=2
	s_waitcnt lgkmcnt(0)
	v_bcnt_u32_b32 v69, v69, v169
	ds_write_b32 v171, v69 offset:544
.LBB1148_438:                           ;   in Loop: Header=BB1148_398 Depth=2
	s_or_b32 exec_lo, exec_lo, s23
	v_cmp_gt_i64_e32 vcc_lo, 0, v[41:42]
	v_ashrrev_i32_e32 v69, 31, v42
	; wave barrier
	v_not_b32_e32 v69, v69
	v_cndmask_b32_e64 v70, 0x7fffffff, 0, vcc_lo
	v_xor_b32_e32 v41, v69, v41
	v_xor_b32_e32 v42, v70, v42
	v_cmp_ne_u64_e32 vcc_lo, s[56:57], v[41:42]
	v_cndmask_b32_e32 v70, 0x7fffffff, v42, vcc_lo
	v_cndmask_b32_e32 v69, -1, v41, vcc_lo
	v_lshrrev_b64 v[69:70], s63, v[69:70]
	v_and_b32_e32 v70, s65, v69
	v_and_b32_e32 v69, 1, v70
	v_lshlrev_b32_e32 v71, 30, v70
	v_lshlrev_b32_e32 v72, 29, v70
	;; [unrolled: 1-line block ×4, first 2 shown]
	v_add_co_u32 v69, s23, v69, -1
	v_cndmask_b32_e64 v172, 0, 1, s23
	v_not_b32_e32 v176, v71
	v_cmp_gt_i32_e64 s23, 0, v71
	v_not_b32_e32 v71, v72
	v_lshlrev_b32_e32 v175, 26, v70
	v_cmp_ne_u32_e32 vcc_lo, 0, v172
	v_ashrrev_i32_e32 v176, 31, v176
	v_lshlrev_b32_e32 v172, 25, v70
	v_ashrrev_i32_e32 v71, 31, v71
	v_xor_b32_e32 v69, vcc_lo, v69
	v_cmp_gt_i32_e32 vcc_lo, 0, v72
	v_not_b32_e32 v72, v173
	v_xor_b32_e32 v176, s23, v176
	v_cmp_gt_i32_e64 s23, 0, v173
	v_and_b32_e32 v69, exec_lo, v69
	v_not_b32_e32 v173, v174
	v_ashrrev_i32_e32 v72, 31, v72
	v_xor_b32_e32 v71, vcc_lo, v71
	v_cmp_gt_i32_e32 vcc_lo, 0, v174
	v_and_b32_e32 v69, v69, v176
	v_not_b32_e32 v174, v175
	v_ashrrev_i32_e32 v173, 31, v173
	v_xor_b32_e32 v72, s23, v72
	v_cmp_gt_i32_e64 s23, 0, v175
	v_and_b32_e32 v69, v69, v71
	v_not_b32_e32 v71, v172
	v_ashrrev_i32_e32 v174, 31, v174
	v_xor_b32_e32 v173, vcc_lo, v173
	v_cmp_gt_i32_e32 vcc_lo, 0, v172
	v_and_b32_e32 v69, v69, v72
	v_ashrrev_i32_e32 v71, 31, v71
	v_xor_b32_e32 v72, s23, v174
	v_mad_u32_u24 v172, v70, 36, v148
	v_mul_u32_u24_e32 v70, 36, v70
	v_and_b32_e32 v69, v69, v173
	v_xor_b32_e32 v71, vcc_lo, v71
	ds_read_b32 v172, v172 offset:544
	v_add_nc_u32_e32 v174, v148, v70
	v_and_b32_e32 v69, v69, v72
	; wave barrier
	v_and_b32_e32 v69, v69, v71
	v_mbcnt_lo_u32_b32 v173, v69, 0
	v_cmp_ne_u32_e64 s23, 0, v69
	v_cmp_eq_u32_e32 vcc_lo, 0, v173
	s_and_b32 s24, s23, vcc_lo
	s_and_saveexec_b32 s23, s24
	s_cbranch_execz .LBB1148_440
; %bb.439:                              ;   in Loop: Header=BB1148_398 Depth=2
	s_waitcnt lgkmcnt(0)
	v_bcnt_u32_b32 v69, v69, v172
	ds_write_b32 v174, v69 offset:544
.LBB1148_440:                           ;   in Loop: Header=BB1148_398 Depth=2
	s_or_b32 exec_lo, exec_lo, s23
	v_cmp_gt_i64_e32 vcc_lo, 0, v[49:50]
	v_ashrrev_i32_e32 v69, 31, v50
	; wave barrier
	v_not_b32_e32 v69, v69
	v_cndmask_b32_e64 v70, 0x7fffffff, 0, vcc_lo
	v_xor_b32_e32 v49, v69, v49
	v_xor_b32_e32 v50, v70, v50
	v_cmp_ne_u64_e32 vcc_lo, s[56:57], v[49:50]
	v_cndmask_b32_e32 v70, 0x7fffffff, v50, vcc_lo
	v_cndmask_b32_e32 v69, -1, v49, vcc_lo
	v_lshrrev_b64 v[69:70], s63, v[69:70]
	v_and_b32_e32 v70, s65, v69
	v_and_b32_e32 v69, 1, v70
	v_lshlrev_b32_e32 v71, 30, v70
	v_lshlrev_b32_e32 v72, 29, v70
	;; [unrolled: 1-line block ×4, first 2 shown]
	v_add_co_u32 v69, s23, v69, -1
	v_cndmask_b32_e64 v175, 0, 1, s23
	v_not_b32_e32 v179, v71
	v_cmp_gt_i32_e64 s23, 0, v71
	v_not_b32_e32 v71, v72
	v_lshlrev_b32_e32 v178, 26, v70
	v_cmp_ne_u32_e32 vcc_lo, 0, v175
	v_ashrrev_i32_e32 v179, 31, v179
	v_lshlrev_b32_e32 v175, 25, v70
	v_ashrrev_i32_e32 v71, 31, v71
	v_xor_b32_e32 v69, vcc_lo, v69
	v_cmp_gt_i32_e32 vcc_lo, 0, v72
	v_not_b32_e32 v72, v176
	v_xor_b32_e32 v179, s23, v179
	v_cmp_gt_i32_e64 s23, 0, v176
	v_and_b32_e32 v69, exec_lo, v69
	v_not_b32_e32 v176, v177
	v_ashrrev_i32_e32 v72, 31, v72
	v_xor_b32_e32 v71, vcc_lo, v71
	v_cmp_gt_i32_e32 vcc_lo, 0, v177
	v_and_b32_e32 v69, v69, v179
	v_not_b32_e32 v177, v178
	v_ashrrev_i32_e32 v176, 31, v176
	v_xor_b32_e32 v72, s23, v72
	v_cmp_gt_i32_e64 s23, 0, v178
	v_and_b32_e32 v69, v69, v71
	v_not_b32_e32 v71, v175
	v_ashrrev_i32_e32 v177, 31, v177
	v_xor_b32_e32 v176, vcc_lo, v176
	v_cmp_gt_i32_e32 vcc_lo, 0, v175
	v_and_b32_e32 v69, v69, v72
	v_ashrrev_i32_e32 v71, 31, v71
	v_xor_b32_e32 v72, s23, v177
	v_mad_u32_u24 v175, v70, 36, v148
	v_mul_u32_u24_e32 v70, 36, v70
	v_and_b32_e32 v69, v69, v176
	v_xor_b32_e32 v71, vcc_lo, v71
	ds_read_b32 v175, v175 offset:544
	v_add_nc_u32_e32 v177, v148, v70
	v_and_b32_e32 v69, v69, v72
	; wave barrier
	v_and_b32_e32 v69, v69, v71
	v_mbcnt_lo_u32_b32 v176, v69, 0
	v_cmp_ne_u32_e64 s23, 0, v69
	v_cmp_eq_u32_e32 vcc_lo, 0, v176
	s_and_b32 s24, s23, vcc_lo
	s_and_saveexec_b32 s23, s24
	s_cbranch_execz .LBB1148_442
; %bb.441:                              ;   in Loop: Header=BB1148_398 Depth=2
	s_waitcnt lgkmcnt(0)
	v_bcnt_u32_b32 v69, v69, v175
	ds_write_b32 v177, v69 offset:544
.LBB1148_442:                           ;   in Loop: Header=BB1148_398 Depth=2
	s_or_b32 exec_lo, exec_lo, s23
	v_cmp_gt_i64_e32 vcc_lo, 0, v[53:54]
	v_ashrrev_i32_e32 v69, 31, v54
	; wave barrier
	v_not_b32_e32 v69, v69
	v_cndmask_b32_e64 v70, 0x7fffffff, 0, vcc_lo
	v_xor_b32_e32 v53, v69, v53
	v_xor_b32_e32 v54, v70, v54
	v_cmp_ne_u64_e32 vcc_lo, s[56:57], v[53:54]
	v_cndmask_b32_e32 v70, 0x7fffffff, v54, vcc_lo
	v_cndmask_b32_e32 v69, -1, v53, vcc_lo
	v_lshrrev_b64 v[69:70], s63, v[69:70]
	v_and_b32_e32 v70, s65, v69
	v_and_b32_e32 v69, 1, v70
	v_lshlrev_b32_e32 v71, 30, v70
	v_lshlrev_b32_e32 v72, 29, v70
	;; [unrolled: 1-line block ×4, first 2 shown]
	v_add_co_u32 v69, s23, v69, -1
	v_cndmask_b32_e64 v178, 0, 1, s23
	v_not_b32_e32 v182, v71
	v_cmp_gt_i32_e64 s23, 0, v71
	v_not_b32_e32 v71, v72
	v_lshlrev_b32_e32 v181, 26, v70
	v_cmp_ne_u32_e32 vcc_lo, 0, v178
	v_ashrrev_i32_e32 v182, 31, v182
	v_lshlrev_b32_e32 v178, 25, v70
	v_ashrrev_i32_e32 v71, 31, v71
	v_xor_b32_e32 v69, vcc_lo, v69
	v_cmp_gt_i32_e32 vcc_lo, 0, v72
	v_not_b32_e32 v72, v179
	v_xor_b32_e32 v182, s23, v182
	v_cmp_gt_i32_e64 s23, 0, v179
	v_and_b32_e32 v69, exec_lo, v69
	v_not_b32_e32 v179, v180
	v_ashrrev_i32_e32 v72, 31, v72
	v_xor_b32_e32 v71, vcc_lo, v71
	v_cmp_gt_i32_e32 vcc_lo, 0, v180
	v_and_b32_e32 v69, v69, v182
	v_not_b32_e32 v180, v181
	v_ashrrev_i32_e32 v179, 31, v179
	v_xor_b32_e32 v72, s23, v72
	v_cmp_gt_i32_e64 s23, 0, v181
	v_and_b32_e32 v69, v69, v71
	v_not_b32_e32 v71, v178
	v_ashrrev_i32_e32 v180, 31, v180
	v_xor_b32_e32 v179, vcc_lo, v179
	v_cmp_gt_i32_e32 vcc_lo, 0, v178
	v_and_b32_e32 v69, v69, v72
	v_ashrrev_i32_e32 v71, 31, v71
	v_xor_b32_e32 v72, s23, v180
	v_mad_u32_u24 v178, v70, 36, v148
	v_mul_u32_u24_e32 v70, 36, v70
	v_and_b32_e32 v69, v69, v179
	v_xor_b32_e32 v71, vcc_lo, v71
	ds_read_b32 v178, v178 offset:544
	v_add_nc_u32_e32 v180, v148, v70
	v_and_b32_e32 v69, v69, v72
	; wave barrier
	v_and_b32_e32 v69, v69, v71
	v_mbcnt_lo_u32_b32 v179, v69, 0
	v_cmp_ne_u32_e64 s23, 0, v69
	v_cmp_eq_u32_e32 vcc_lo, 0, v179
	s_and_b32 s24, s23, vcc_lo
	s_and_saveexec_b32 s23, s24
	s_cbranch_execz .LBB1148_444
; %bb.443:                              ;   in Loop: Header=BB1148_398 Depth=2
	s_waitcnt lgkmcnt(0)
	v_bcnt_u32_b32 v69, v69, v178
	ds_write_b32 v180, v69 offset:544
.LBB1148_444:                           ;   in Loop: Header=BB1148_398 Depth=2
	s_or_b32 exec_lo, exec_lo, s23
	v_cmp_gt_i64_e32 vcc_lo, 0, v[57:58]
	v_ashrrev_i32_e32 v69, 31, v58
	; wave barrier
	v_not_b32_e32 v69, v69
	v_cndmask_b32_e64 v70, 0x7fffffff, 0, vcc_lo
	v_xor_b32_e32 v57, v69, v57
	v_xor_b32_e32 v58, v70, v58
	v_cmp_ne_u64_e32 vcc_lo, s[56:57], v[57:58]
	v_cndmask_b32_e32 v70, 0x7fffffff, v58, vcc_lo
	v_cndmask_b32_e32 v69, -1, v57, vcc_lo
	v_lshrrev_b64 v[69:70], s63, v[69:70]
	v_and_b32_e32 v70, s65, v69
	v_and_b32_e32 v69, 1, v70
	v_lshlrev_b32_e32 v71, 30, v70
	v_lshlrev_b32_e32 v72, 29, v70
	;; [unrolled: 1-line block ×4, first 2 shown]
	v_add_co_u32 v69, s23, v69, -1
	v_cndmask_b32_e64 v181, 0, 1, s23
	v_not_b32_e32 v185, v71
	v_cmp_gt_i32_e64 s23, 0, v71
	v_not_b32_e32 v71, v72
	v_lshlrev_b32_e32 v184, 26, v70
	v_cmp_ne_u32_e32 vcc_lo, 0, v181
	v_ashrrev_i32_e32 v185, 31, v185
	v_lshlrev_b32_e32 v181, 25, v70
	v_ashrrev_i32_e32 v71, 31, v71
	v_xor_b32_e32 v69, vcc_lo, v69
	v_cmp_gt_i32_e32 vcc_lo, 0, v72
	v_not_b32_e32 v72, v182
	v_xor_b32_e32 v185, s23, v185
	v_cmp_gt_i32_e64 s23, 0, v182
	v_and_b32_e32 v69, exec_lo, v69
	v_not_b32_e32 v182, v183
	v_ashrrev_i32_e32 v72, 31, v72
	v_xor_b32_e32 v71, vcc_lo, v71
	v_cmp_gt_i32_e32 vcc_lo, 0, v183
	v_and_b32_e32 v69, v69, v185
	v_not_b32_e32 v183, v184
	v_ashrrev_i32_e32 v182, 31, v182
	v_xor_b32_e32 v72, s23, v72
	v_cmp_gt_i32_e64 s23, 0, v184
	v_and_b32_e32 v69, v69, v71
	v_not_b32_e32 v71, v181
	v_ashrrev_i32_e32 v183, 31, v183
	v_xor_b32_e32 v182, vcc_lo, v182
	v_cmp_gt_i32_e32 vcc_lo, 0, v181
	v_and_b32_e32 v69, v69, v72
	v_ashrrev_i32_e32 v71, 31, v71
	v_xor_b32_e32 v72, s23, v183
	v_mad_u32_u24 v181, v70, 36, v148
	v_mul_u32_u24_e32 v70, 36, v70
	v_and_b32_e32 v69, v69, v182
	v_xor_b32_e32 v71, vcc_lo, v71
	ds_read_b32 v181, v181 offset:544
	v_add_nc_u32_e32 v183, v148, v70
	v_and_b32_e32 v69, v69, v72
	; wave barrier
	v_and_b32_e32 v69, v69, v71
	v_mbcnt_lo_u32_b32 v182, v69, 0
	v_cmp_ne_u32_e64 s23, 0, v69
	v_cmp_eq_u32_e32 vcc_lo, 0, v182
	s_and_b32 s24, s23, vcc_lo
	s_and_saveexec_b32 s23, s24
	s_cbranch_execz .LBB1148_446
; %bb.445:                              ;   in Loop: Header=BB1148_398 Depth=2
	s_waitcnt lgkmcnt(0)
	v_bcnt_u32_b32 v69, v69, v181
	ds_write_b32 v183, v69 offset:544
.LBB1148_446:                           ;   in Loop: Header=BB1148_398 Depth=2
	s_or_b32 exec_lo, exec_lo, s23
	v_cmp_gt_i64_e32 vcc_lo, 0, v[61:62]
	v_ashrrev_i32_e32 v69, 31, v62
	; wave barrier
	v_not_b32_e32 v69, v69
	v_cndmask_b32_e64 v70, 0x7fffffff, 0, vcc_lo
	v_xor_b32_e32 v61, v69, v61
	v_xor_b32_e32 v62, v70, v62
	v_cmp_ne_u64_e32 vcc_lo, s[56:57], v[61:62]
	v_cndmask_b32_e32 v70, 0x7fffffff, v62, vcc_lo
	v_cndmask_b32_e32 v69, -1, v61, vcc_lo
	v_lshrrev_b64 v[69:70], s63, v[69:70]
	v_and_b32_e32 v70, s65, v69
	v_and_b32_e32 v69, 1, v70
	v_lshlrev_b32_e32 v71, 30, v70
	v_lshlrev_b32_e32 v72, 29, v70
	;; [unrolled: 1-line block ×4, first 2 shown]
	v_add_co_u32 v69, s23, v69, -1
	v_cndmask_b32_e64 v184, 0, 1, s23
	v_not_b32_e32 v188, v71
	v_cmp_gt_i32_e64 s23, 0, v71
	v_not_b32_e32 v71, v72
	v_lshlrev_b32_e32 v187, 26, v70
	v_cmp_ne_u32_e32 vcc_lo, 0, v184
	v_ashrrev_i32_e32 v188, 31, v188
	v_lshlrev_b32_e32 v184, 25, v70
	v_ashrrev_i32_e32 v71, 31, v71
	v_xor_b32_e32 v69, vcc_lo, v69
	v_cmp_gt_i32_e32 vcc_lo, 0, v72
	v_not_b32_e32 v72, v185
	v_xor_b32_e32 v188, s23, v188
	v_cmp_gt_i32_e64 s23, 0, v185
	v_and_b32_e32 v69, exec_lo, v69
	v_not_b32_e32 v185, v186
	v_ashrrev_i32_e32 v72, 31, v72
	v_xor_b32_e32 v71, vcc_lo, v71
	v_cmp_gt_i32_e32 vcc_lo, 0, v186
	v_and_b32_e32 v69, v69, v188
	v_not_b32_e32 v186, v187
	v_ashrrev_i32_e32 v185, 31, v185
	v_xor_b32_e32 v72, s23, v72
	v_cmp_gt_i32_e64 s23, 0, v187
	v_and_b32_e32 v69, v69, v71
	v_not_b32_e32 v71, v184
	v_ashrrev_i32_e32 v186, 31, v186
	v_xor_b32_e32 v185, vcc_lo, v185
	v_cmp_gt_i32_e32 vcc_lo, 0, v184
	v_and_b32_e32 v69, v69, v72
	v_ashrrev_i32_e32 v71, 31, v71
	v_xor_b32_e32 v72, s23, v186
	v_mad_u32_u24 v184, v70, 36, v148
	v_mul_u32_u24_e32 v70, 36, v70
	v_and_b32_e32 v69, v69, v185
	v_xor_b32_e32 v71, vcc_lo, v71
	ds_read_b32 v184, v184 offset:544
	v_add_nc_u32_e32 v186, v148, v70
	v_and_b32_e32 v69, v69, v72
	; wave barrier
	v_and_b32_e32 v69, v69, v71
	v_mbcnt_lo_u32_b32 v185, v69, 0
	v_cmp_ne_u32_e64 s23, 0, v69
	v_cmp_eq_u32_e32 vcc_lo, 0, v185
	s_and_b32 s24, s23, vcc_lo
	s_and_saveexec_b32 s23, s24
	s_cbranch_execz .LBB1148_448
; %bb.447:                              ;   in Loop: Header=BB1148_398 Depth=2
	s_waitcnt lgkmcnt(0)
	v_bcnt_u32_b32 v69, v69, v184
	ds_write_b32 v186, v69 offset:544
.LBB1148_448:                           ;   in Loop: Header=BB1148_398 Depth=2
	s_or_b32 exec_lo, exec_lo, s23
	v_cmp_gt_i64_e32 vcc_lo, 0, v[65:66]
	v_ashrrev_i32_e32 v69, 31, v66
	; wave barrier
	v_not_b32_e32 v69, v69
	v_cndmask_b32_e64 v70, 0x7fffffff, 0, vcc_lo
	v_xor_b32_e32 v65, v69, v65
	v_xor_b32_e32 v66, v70, v66
	v_cmp_ne_u64_e32 vcc_lo, s[56:57], v[65:66]
	v_cndmask_b32_e32 v70, 0x7fffffff, v66, vcc_lo
	v_cndmask_b32_e32 v69, -1, v65, vcc_lo
	v_lshrrev_b64 v[69:70], s63, v[69:70]
	v_and_b32_e32 v70, s65, v69
	v_and_b32_e32 v69, 1, v70
	v_lshlrev_b32_e32 v71, 30, v70
	v_lshlrev_b32_e32 v72, 29, v70
	;; [unrolled: 1-line block ×4, first 2 shown]
	v_add_co_u32 v69, s23, v69, -1
	v_cndmask_b32_e64 v187, 0, 1, s23
	v_not_b32_e32 v191, v71
	v_cmp_gt_i32_e64 s23, 0, v71
	v_not_b32_e32 v71, v72
	v_lshlrev_b32_e32 v190, 26, v70
	v_cmp_ne_u32_e32 vcc_lo, 0, v187
	v_ashrrev_i32_e32 v191, 31, v191
	v_lshlrev_b32_e32 v187, 25, v70
	v_ashrrev_i32_e32 v71, 31, v71
	v_xor_b32_e32 v69, vcc_lo, v69
	v_cmp_gt_i32_e32 vcc_lo, 0, v72
	v_not_b32_e32 v72, v188
	v_xor_b32_e32 v191, s23, v191
	v_cmp_gt_i32_e64 s23, 0, v188
	v_and_b32_e32 v69, exec_lo, v69
	v_not_b32_e32 v188, v189
	v_ashrrev_i32_e32 v72, 31, v72
	v_xor_b32_e32 v71, vcc_lo, v71
	v_cmp_gt_i32_e32 vcc_lo, 0, v189
	v_and_b32_e32 v69, v69, v191
	v_not_b32_e32 v189, v190
	v_ashrrev_i32_e32 v188, 31, v188
	v_xor_b32_e32 v72, s23, v72
	v_cmp_gt_i32_e64 s23, 0, v190
	v_and_b32_e32 v69, v69, v71
	v_not_b32_e32 v71, v187
	v_ashrrev_i32_e32 v189, 31, v189
	v_xor_b32_e32 v188, vcc_lo, v188
	v_cmp_gt_i32_e32 vcc_lo, 0, v187
	v_and_b32_e32 v69, v69, v72
	v_ashrrev_i32_e32 v71, 31, v71
	v_xor_b32_e32 v72, s23, v189
	v_mad_u32_u24 v187, v70, 36, v148
	v_mul_u32_u24_e32 v70, 36, v70
	v_and_b32_e32 v69, v69, v188
	v_xor_b32_e32 v71, vcc_lo, v71
	ds_read_b32 v187, v187 offset:544
	v_add_nc_u32_e32 v189, v148, v70
	v_and_b32_e32 v69, v69, v72
	; wave barrier
	v_and_b32_e32 v69, v69, v71
	v_mbcnt_lo_u32_b32 v188, v69, 0
	v_cmp_ne_u32_e64 s23, 0, v69
	v_cmp_eq_u32_e32 vcc_lo, 0, v188
	s_and_b32 s24, s23, vcc_lo
	s_and_saveexec_b32 s23, s24
	s_cbranch_execz .LBB1148_450
; %bb.449:                              ;   in Loop: Header=BB1148_398 Depth=2
	s_waitcnt lgkmcnt(0)
	v_bcnt_u32_b32 v69, v69, v187
	ds_write_b32 v189, v69 offset:544
.LBB1148_450:                           ;   in Loop: Header=BB1148_398 Depth=2
	s_or_b32 exec_lo, exec_lo, s23
	v_cmp_gt_i64_e32 vcc_lo, 0, v[67:68]
	v_ashrrev_i32_e32 v69, 31, v68
	; wave barrier
	v_not_b32_e32 v69, v69
	v_cndmask_b32_e64 v70, 0x7fffffff, 0, vcc_lo
	v_xor_b32_e32 v67, v69, v67
	v_xor_b32_e32 v68, v70, v68
	v_cmp_ne_u64_e32 vcc_lo, s[56:57], v[67:68]
	v_cndmask_b32_e32 v70, 0x7fffffff, v68, vcc_lo
	v_cndmask_b32_e32 v69, -1, v67, vcc_lo
	v_lshrrev_b64 v[69:70], s63, v[69:70]
	v_and_b32_e32 v70, s65, v69
	v_and_b32_e32 v69, 1, v70
	v_lshlrev_b32_e32 v71, 30, v70
	v_lshlrev_b32_e32 v72, 29, v70
	;; [unrolled: 1-line block ×4, first 2 shown]
	v_add_co_u32 v69, s23, v69, -1
	v_cndmask_b32_e64 v190, 0, 1, s23
	v_not_b32_e32 v194, v71
	v_cmp_gt_i32_e64 s23, 0, v71
	v_not_b32_e32 v71, v72
	v_lshlrev_b32_e32 v193, 26, v70
	v_cmp_ne_u32_e32 vcc_lo, 0, v190
	v_ashrrev_i32_e32 v194, 31, v194
	v_lshlrev_b32_e32 v190, 25, v70
	v_ashrrev_i32_e32 v71, 31, v71
	v_xor_b32_e32 v69, vcc_lo, v69
	v_cmp_gt_i32_e32 vcc_lo, 0, v72
	v_not_b32_e32 v72, v191
	v_xor_b32_e32 v194, s23, v194
	v_cmp_gt_i32_e64 s23, 0, v191
	v_and_b32_e32 v69, exec_lo, v69
	v_not_b32_e32 v191, v192
	v_ashrrev_i32_e32 v72, 31, v72
	v_xor_b32_e32 v71, vcc_lo, v71
	v_cmp_gt_i32_e32 vcc_lo, 0, v192
	v_and_b32_e32 v69, v69, v194
	v_not_b32_e32 v192, v193
	v_ashrrev_i32_e32 v191, 31, v191
	v_xor_b32_e32 v72, s23, v72
	v_cmp_gt_i32_e64 s23, 0, v193
	v_and_b32_e32 v69, v69, v71
	v_not_b32_e32 v71, v190
	v_ashrrev_i32_e32 v192, 31, v192
	v_xor_b32_e32 v191, vcc_lo, v191
	v_cmp_gt_i32_e32 vcc_lo, 0, v190
	v_and_b32_e32 v69, v69, v72
	v_ashrrev_i32_e32 v71, 31, v71
	v_xor_b32_e32 v72, s23, v192
	v_mad_u32_u24 v190, v70, 36, v148
	v_mul_u32_u24_e32 v70, 36, v70
	v_and_b32_e32 v69, v69, v191
	v_xor_b32_e32 v71, vcc_lo, v71
	ds_read_b32 v190, v190 offset:544
	v_add_nc_u32_e32 v192, v148, v70
	v_and_b32_e32 v69, v69, v72
	; wave barrier
	v_and_b32_e32 v69, v69, v71
	v_mbcnt_lo_u32_b32 v191, v69, 0
	v_cmp_ne_u32_e64 s23, 0, v69
	v_cmp_eq_u32_e32 vcc_lo, 0, v191
	s_and_b32 s24, s23, vcc_lo
	s_and_saveexec_b32 s23, s24
	s_cbranch_execz .LBB1148_452
; %bb.451:                              ;   in Loop: Header=BB1148_398 Depth=2
	s_waitcnt lgkmcnt(0)
	v_bcnt_u32_b32 v69, v69, v190
	ds_write_b32 v192, v69 offset:544
.LBB1148_452:                           ;   in Loop: Header=BB1148_398 Depth=2
	s_or_b32 exec_lo, exec_lo, s23
	v_cmp_gt_i64_e32 vcc_lo, 0, v[63:64]
	v_ashrrev_i32_e32 v69, 31, v64
	; wave barrier
	v_not_b32_e32 v69, v69
	v_cndmask_b32_e64 v70, 0x7fffffff, 0, vcc_lo
	v_xor_b32_e32 v63, v69, v63
	v_xor_b32_e32 v64, v70, v64
	v_cmp_ne_u64_e32 vcc_lo, s[56:57], v[63:64]
	v_cndmask_b32_e32 v70, 0x7fffffff, v64, vcc_lo
	v_cndmask_b32_e32 v69, -1, v63, vcc_lo
	v_lshrrev_b64 v[69:70], s63, v[69:70]
	v_and_b32_e32 v70, s65, v69
	v_and_b32_e32 v69, 1, v70
	v_lshlrev_b32_e32 v71, 30, v70
	v_lshlrev_b32_e32 v72, 29, v70
	;; [unrolled: 1-line block ×4, first 2 shown]
	v_add_co_u32 v69, s23, v69, -1
	v_cndmask_b32_e64 v193, 0, 1, s23
	v_not_b32_e32 v197, v71
	v_cmp_gt_i32_e64 s23, 0, v71
	v_not_b32_e32 v71, v72
	v_lshlrev_b32_e32 v196, 26, v70
	v_cmp_ne_u32_e32 vcc_lo, 0, v193
	v_ashrrev_i32_e32 v197, 31, v197
	v_lshlrev_b32_e32 v193, 25, v70
	v_ashrrev_i32_e32 v71, 31, v71
	v_xor_b32_e32 v69, vcc_lo, v69
	v_cmp_gt_i32_e32 vcc_lo, 0, v72
	v_not_b32_e32 v72, v194
	v_xor_b32_e32 v197, s23, v197
	v_cmp_gt_i32_e64 s23, 0, v194
	v_and_b32_e32 v69, exec_lo, v69
	v_not_b32_e32 v194, v195
	v_ashrrev_i32_e32 v72, 31, v72
	v_xor_b32_e32 v71, vcc_lo, v71
	v_cmp_gt_i32_e32 vcc_lo, 0, v195
	v_and_b32_e32 v69, v69, v197
	v_not_b32_e32 v195, v196
	v_ashrrev_i32_e32 v194, 31, v194
	v_xor_b32_e32 v72, s23, v72
	v_cmp_gt_i32_e64 s23, 0, v196
	v_and_b32_e32 v69, v69, v71
	v_not_b32_e32 v71, v193
	v_ashrrev_i32_e32 v195, 31, v195
	v_xor_b32_e32 v194, vcc_lo, v194
	v_cmp_gt_i32_e32 vcc_lo, 0, v193
	v_and_b32_e32 v69, v69, v72
	v_ashrrev_i32_e32 v71, 31, v71
	v_xor_b32_e32 v72, s23, v195
	v_mad_u32_u24 v193, v70, 36, v148
	v_mul_u32_u24_e32 v70, 36, v70
	v_and_b32_e32 v69, v69, v194
	v_xor_b32_e32 v71, vcc_lo, v71
	ds_read_b32 v193, v193 offset:544
	v_add_nc_u32_e32 v195, v148, v70
	v_and_b32_e32 v69, v69, v72
	; wave barrier
	v_and_b32_e32 v69, v69, v71
	v_mbcnt_lo_u32_b32 v194, v69, 0
	v_cmp_ne_u32_e64 s23, 0, v69
	v_cmp_eq_u32_e32 vcc_lo, 0, v194
	s_and_b32 s24, s23, vcc_lo
	s_and_saveexec_b32 s23, s24
	s_cbranch_execz .LBB1148_454
; %bb.453:                              ;   in Loop: Header=BB1148_398 Depth=2
	s_waitcnt lgkmcnt(0)
	v_bcnt_u32_b32 v69, v69, v193
	ds_write_b32 v195, v69 offset:544
.LBB1148_454:                           ;   in Loop: Header=BB1148_398 Depth=2
	s_or_b32 exec_lo, exec_lo, s23
	v_cmp_gt_i64_e32 vcc_lo, 0, v[59:60]
	v_ashrrev_i32_e32 v69, 31, v60
	; wave barrier
	v_not_b32_e32 v69, v69
	v_cndmask_b32_e64 v70, 0x7fffffff, 0, vcc_lo
	v_xor_b32_e32 v59, v69, v59
	v_xor_b32_e32 v60, v70, v60
	v_cmp_ne_u64_e32 vcc_lo, s[56:57], v[59:60]
	v_cndmask_b32_e32 v70, 0x7fffffff, v60, vcc_lo
	v_cndmask_b32_e32 v69, -1, v59, vcc_lo
	v_lshrrev_b64 v[69:70], s63, v[69:70]
	v_and_b32_e32 v70, s65, v69
	v_and_b32_e32 v69, 1, v70
	v_lshlrev_b32_e32 v71, 30, v70
	v_lshlrev_b32_e32 v72, 29, v70
	v_lshlrev_b32_e32 v197, 28, v70
	v_lshlrev_b32_e32 v198, 27, v70
	v_add_co_u32 v69, s23, v69, -1
	v_cndmask_b32_e64 v196, 0, 1, s23
	v_not_b32_e32 v200, v71
	v_cmp_gt_i32_e64 s23, 0, v71
	v_not_b32_e32 v71, v72
	v_lshlrev_b32_e32 v199, 26, v70
	v_cmp_ne_u32_e32 vcc_lo, 0, v196
	v_ashrrev_i32_e32 v200, 31, v200
	v_lshlrev_b32_e32 v196, 25, v70
	v_ashrrev_i32_e32 v71, 31, v71
	v_xor_b32_e32 v69, vcc_lo, v69
	v_cmp_gt_i32_e32 vcc_lo, 0, v72
	v_not_b32_e32 v72, v197
	v_xor_b32_e32 v200, s23, v200
	v_cmp_gt_i32_e64 s23, 0, v197
	v_and_b32_e32 v69, exec_lo, v69
	v_not_b32_e32 v197, v198
	v_ashrrev_i32_e32 v72, 31, v72
	v_xor_b32_e32 v71, vcc_lo, v71
	v_cmp_gt_i32_e32 vcc_lo, 0, v198
	v_and_b32_e32 v69, v69, v200
	v_not_b32_e32 v198, v199
	v_ashrrev_i32_e32 v197, 31, v197
	v_xor_b32_e32 v72, s23, v72
	v_cmp_gt_i32_e64 s23, 0, v199
	v_and_b32_e32 v69, v69, v71
	v_not_b32_e32 v71, v196
	v_ashrrev_i32_e32 v198, 31, v198
	v_xor_b32_e32 v197, vcc_lo, v197
	v_cmp_gt_i32_e32 vcc_lo, 0, v196
	v_and_b32_e32 v69, v69, v72
	v_ashrrev_i32_e32 v71, 31, v71
	v_xor_b32_e32 v72, s23, v198
	v_mad_u32_u24 v196, v70, 36, v148
	v_mul_u32_u24_e32 v70, 36, v70
	v_and_b32_e32 v69, v69, v197
	v_xor_b32_e32 v71, vcc_lo, v71
	ds_read_b32 v196, v196 offset:544
	v_add_nc_u32_e32 v200, v148, v70
	v_and_b32_e32 v69, v69, v72
	; wave barrier
	v_and_b32_e32 v69, v69, v71
	v_mbcnt_lo_u32_b32 v197, v69, 0
	v_cmp_ne_u32_e64 s23, 0, v69
	v_cmp_eq_u32_e32 vcc_lo, 0, v197
	s_and_b32 s24, s23, vcc_lo
	s_and_saveexec_b32 s23, s24
	s_cbranch_execz .LBB1148_456
; %bb.455:                              ;   in Loop: Header=BB1148_398 Depth=2
	s_waitcnt lgkmcnt(0)
	v_bcnt_u32_b32 v69, v69, v196
	ds_write_b32 v200, v69 offset:544
.LBB1148_456:                           ;   in Loop: Header=BB1148_398 Depth=2
	s_or_b32 exec_lo, exec_lo, s23
	v_cmp_gt_i64_e32 vcc_lo, 0, v[55:56]
	v_ashrrev_i32_e32 v69, 31, v56
	; wave barrier
	v_not_b32_e32 v69, v69
	v_cndmask_b32_e64 v70, 0x7fffffff, 0, vcc_lo
	v_xor_b32_e32 v55, v69, v55
	v_xor_b32_e32 v56, v70, v56
	v_cmp_ne_u64_e32 vcc_lo, s[56:57], v[55:56]
	v_cndmask_b32_e32 v70, 0x7fffffff, v56, vcc_lo
	v_cndmask_b32_e32 v69, -1, v55, vcc_lo
	v_lshrrev_b64 v[69:70], s63, v[69:70]
	v_and_b32_e32 v70, s65, v69
	v_and_b32_e32 v69, 1, v70
	v_lshlrev_b32_e32 v71, 30, v70
	v_lshlrev_b32_e32 v72, 29, v70
	;; [unrolled: 1-line block ×4, first 2 shown]
	v_add_co_u32 v69, s23, v69, -1
	v_cndmask_b32_e64 v198, 0, 1, s23
	v_not_b32_e32 v203, v71
	v_cmp_gt_i32_e64 s23, 0, v71
	v_not_b32_e32 v71, v72
	v_lshlrev_b32_e32 v202, 26, v70
	v_cmp_ne_u32_e32 vcc_lo, 0, v198
	v_ashrrev_i32_e32 v203, 31, v203
	v_lshlrev_b32_e32 v198, 25, v70
	v_ashrrev_i32_e32 v71, 31, v71
	v_xor_b32_e32 v69, vcc_lo, v69
	v_cmp_gt_i32_e32 vcc_lo, 0, v72
	v_not_b32_e32 v72, v199
	v_xor_b32_e32 v203, s23, v203
	v_cmp_gt_i32_e64 s23, 0, v199
	v_and_b32_e32 v69, exec_lo, v69
	v_not_b32_e32 v199, v201
	v_ashrrev_i32_e32 v72, 31, v72
	v_xor_b32_e32 v71, vcc_lo, v71
	v_cmp_gt_i32_e32 vcc_lo, 0, v201
	v_and_b32_e32 v69, v69, v203
	v_not_b32_e32 v201, v202
	v_ashrrev_i32_e32 v199, 31, v199
	v_xor_b32_e32 v72, s23, v72
	v_cmp_gt_i32_e64 s23, 0, v202
	v_and_b32_e32 v69, v69, v71
	v_not_b32_e32 v71, v198
	v_ashrrev_i32_e32 v201, 31, v201
	v_xor_b32_e32 v199, vcc_lo, v199
	v_cmp_gt_i32_e32 vcc_lo, 0, v198
	v_and_b32_e32 v69, v69, v72
	v_ashrrev_i32_e32 v71, 31, v71
	v_xor_b32_e32 v72, s23, v201
	v_mad_u32_u24 v198, v70, 36, v148
	v_mul_u32_u24_e32 v70, 36, v70
	v_and_b32_e32 v69, v69, v199
	v_xor_b32_e32 v71, vcc_lo, v71
	ds_read_b32 v198, v198 offset:544
	v_add_nc_u32_e32 v203, v148, v70
	v_and_b32_e32 v69, v69, v72
	; wave barrier
	v_and_b32_e32 v69, v69, v71
	v_mbcnt_lo_u32_b32 v199, v69, 0
	v_cmp_ne_u32_e64 s23, 0, v69
	v_cmp_eq_u32_e32 vcc_lo, 0, v199
	s_and_b32 s24, s23, vcc_lo
	s_and_saveexec_b32 s23, s24
	s_cbranch_execz .LBB1148_458
; %bb.457:                              ;   in Loop: Header=BB1148_398 Depth=2
	s_waitcnt lgkmcnt(0)
	v_bcnt_u32_b32 v69, v69, v198
	ds_write_b32 v203, v69 offset:544
.LBB1148_458:                           ;   in Loop: Header=BB1148_398 Depth=2
	s_or_b32 exec_lo, exec_lo, s23
	v_cmp_gt_i64_e32 vcc_lo, 0, v[51:52]
	v_ashrrev_i32_e32 v69, 31, v52
	; wave barrier
	v_not_b32_e32 v69, v69
	v_cndmask_b32_e64 v70, 0x7fffffff, 0, vcc_lo
	v_xor_b32_e32 v51, v69, v51
	v_xor_b32_e32 v52, v70, v52
	v_cmp_ne_u64_e32 vcc_lo, s[56:57], v[51:52]
	v_cndmask_b32_e32 v70, 0x7fffffff, v52, vcc_lo
	v_cndmask_b32_e32 v69, -1, v51, vcc_lo
	v_lshrrev_b64 v[69:70], s63, v[69:70]
	v_and_b32_e32 v70, s65, v69
	v_and_b32_e32 v69, 1, v70
	v_lshlrev_b32_e32 v71, 30, v70
	v_lshlrev_b32_e32 v72, 29, v70
	;; [unrolled: 1-line block ×4, first 2 shown]
	v_add_co_u32 v69, s23, v69, -1
	v_cndmask_b32_e64 v201, 0, 1, s23
	v_not_b32_e32 v206, v71
	v_cmp_gt_i32_e64 s23, 0, v71
	v_not_b32_e32 v71, v72
	v_lshlrev_b32_e32 v205, 26, v70
	v_cmp_ne_u32_e32 vcc_lo, 0, v201
	v_ashrrev_i32_e32 v206, 31, v206
	v_lshlrev_b32_e32 v201, 25, v70
	v_ashrrev_i32_e32 v71, 31, v71
	v_xor_b32_e32 v69, vcc_lo, v69
	v_cmp_gt_i32_e32 vcc_lo, 0, v72
	v_not_b32_e32 v72, v202
	v_xor_b32_e32 v206, s23, v206
	v_cmp_gt_i32_e64 s23, 0, v202
	v_and_b32_e32 v69, exec_lo, v69
	v_not_b32_e32 v202, v204
	v_ashrrev_i32_e32 v72, 31, v72
	v_xor_b32_e32 v71, vcc_lo, v71
	v_cmp_gt_i32_e32 vcc_lo, 0, v204
	v_and_b32_e32 v69, v69, v206
	v_not_b32_e32 v204, v205
	v_ashrrev_i32_e32 v202, 31, v202
	v_xor_b32_e32 v72, s23, v72
	v_cmp_gt_i32_e64 s23, 0, v205
	v_and_b32_e32 v69, v69, v71
	v_not_b32_e32 v71, v201
	v_ashrrev_i32_e32 v204, 31, v204
	v_xor_b32_e32 v202, vcc_lo, v202
	v_cmp_gt_i32_e32 vcc_lo, 0, v201
	v_and_b32_e32 v69, v69, v72
	v_ashrrev_i32_e32 v71, 31, v71
	v_xor_b32_e32 v72, s23, v204
	v_mad_u32_u24 v201, v70, 36, v148
	v_mul_u32_u24_e32 v70, 36, v70
	v_and_b32_e32 v69, v69, v202
	v_xor_b32_e32 v71, vcc_lo, v71
	ds_read_b32 v201, v201 offset:544
	v_add_nc_u32_e32 v206, v148, v70
	v_and_b32_e32 v69, v69, v72
	; wave barrier
	v_and_b32_e32 v69, v69, v71
	v_mbcnt_lo_u32_b32 v202, v69, 0
	v_cmp_ne_u32_e64 s23, 0, v69
	v_cmp_eq_u32_e32 vcc_lo, 0, v202
	s_and_b32 s24, s23, vcc_lo
	s_and_saveexec_b32 s23, s24
	s_cbranch_execz .LBB1148_460
; %bb.459:                              ;   in Loop: Header=BB1148_398 Depth=2
	s_waitcnt lgkmcnt(0)
	v_bcnt_u32_b32 v69, v69, v201
	ds_write_b32 v206, v69 offset:544
.LBB1148_460:                           ;   in Loop: Header=BB1148_398 Depth=2
	s_or_b32 exec_lo, exec_lo, s23
	v_cmp_gt_i64_e32 vcc_lo, 0, v[47:48]
	v_ashrrev_i32_e32 v69, 31, v48
	; wave barrier
	v_not_b32_e32 v69, v69
	v_cndmask_b32_e64 v70, 0x7fffffff, 0, vcc_lo
	v_xor_b32_e32 v47, v69, v47
	v_xor_b32_e32 v48, v70, v48
	v_cmp_ne_u64_e32 vcc_lo, s[56:57], v[47:48]
	v_cndmask_b32_e32 v70, 0x7fffffff, v48, vcc_lo
	v_cndmask_b32_e32 v69, -1, v47, vcc_lo
	v_lshrrev_b64 v[69:70], s63, v[69:70]
	v_and_b32_e32 v70, s65, v69
	v_and_b32_e32 v69, 1, v70
	v_lshlrev_b32_e32 v71, 30, v70
	v_lshlrev_b32_e32 v72, 29, v70
	;; [unrolled: 1-line block ×4, first 2 shown]
	v_add_co_u32 v69, s23, v69, -1
	v_cndmask_b32_e64 v204, 0, 1, s23
	v_not_b32_e32 v209, v71
	v_cmp_gt_i32_e64 s23, 0, v71
	v_not_b32_e32 v71, v72
	v_lshlrev_b32_e32 v208, 26, v70
	v_cmp_ne_u32_e32 vcc_lo, 0, v204
	v_ashrrev_i32_e32 v209, 31, v209
	v_lshlrev_b32_e32 v204, 25, v70
	v_ashrrev_i32_e32 v71, 31, v71
	v_xor_b32_e32 v69, vcc_lo, v69
	v_cmp_gt_i32_e32 vcc_lo, 0, v72
	v_not_b32_e32 v72, v205
	v_xor_b32_e32 v209, s23, v209
	v_cmp_gt_i32_e64 s23, 0, v205
	v_and_b32_e32 v69, exec_lo, v69
	v_not_b32_e32 v205, v207
	v_ashrrev_i32_e32 v72, 31, v72
	v_xor_b32_e32 v71, vcc_lo, v71
	v_cmp_gt_i32_e32 vcc_lo, 0, v207
	v_and_b32_e32 v69, v69, v209
	v_not_b32_e32 v207, v208
	v_ashrrev_i32_e32 v205, 31, v205
	v_xor_b32_e32 v72, s23, v72
	v_cmp_gt_i32_e64 s23, 0, v208
	v_and_b32_e32 v69, v69, v71
	v_not_b32_e32 v71, v204
	v_ashrrev_i32_e32 v207, 31, v207
	v_xor_b32_e32 v205, vcc_lo, v205
	v_cmp_gt_i32_e32 vcc_lo, 0, v204
	v_and_b32_e32 v69, v69, v72
	v_ashrrev_i32_e32 v71, 31, v71
	v_xor_b32_e32 v72, s23, v207
	v_mad_u32_u24 v204, v70, 36, v148
	v_mul_u32_u24_e32 v70, 36, v70
	v_and_b32_e32 v69, v69, v205
	v_xor_b32_e32 v71, vcc_lo, v71
	ds_read_b32 v204, v204 offset:544
	v_add_nc_u32_e32 v209, v148, v70
	v_and_b32_e32 v69, v69, v72
	; wave barrier
	v_and_b32_e32 v69, v69, v71
	v_mbcnt_lo_u32_b32 v205, v69, 0
	v_cmp_ne_u32_e64 s23, 0, v69
	v_cmp_eq_u32_e32 vcc_lo, 0, v205
	s_and_b32 s24, s23, vcc_lo
	s_and_saveexec_b32 s23, s24
	s_cbranch_execz .LBB1148_462
; %bb.461:                              ;   in Loop: Header=BB1148_398 Depth=2
	s_waitcnt lgkmcnt(0)
	v_bcnt_u32_b32 v69, v69, v204
	ds_write_b32 v209, v69 offset:544
.LBB1148_462:                           ;   in Loop: Header=BB1148_398 Depth=2
	s_or_b32 exec_lo, exec_lo, s23
	v_cmp_gt_i64_e32 vcc_lo, 0, v[43:44]
	v_ashrrev_i32_e32 v69, 31, v44
	; wave barrier
	v_not_b32_e32 v69, v69
	v_cndmask_b32_e64 v70, 0x7fffffff, 0, vcc_lo
	v_xor_b32_e32 v43, v69, v43
	v_xor_b32_e32 v44, v70, v44
	v_cmp_ne_u64_e32 vcc_lo, s[56:57], v[43:44]
	v_cndmask_b32_e32 v70, 0x7fffffff, v44, vcc_lo
	v_cndmask_b32_e32 v69, -1, v43, vcc_lo
	v_lshrrev_b64 v[69:70], s63, v[69:70]
	v_and_b32_e32 v70, s65, v69
	v_and_b32_e32 v69, 1, v70
	v_lshlrev_b32_e32 v71, 30, v70
	v_lshlrev_b32_e32 v72, 29, v70
	;; [unrolled: 1-line block ×4, first 2 shown]
	v_add_co_u32 v69, s23, v69, -1
	v_cndmask_b32_e64 v207, 0, 1, s23
	v_not_b32_e32 v212, v71
	v_cmp_gt_i32_e64 s23, 0, v71
	v_not_b32_e32 v71, v72
	v_lshlrev_b32_e32 v211, 26, v70
	v_cmp_ne_u32_e32 vcc_lo, 0, v207
	v_ashrrev_i32_e32 v212, 31, v212
	v_lshlrev_b32_e32 v207, 25, v70
	v_ashrrev_i32_e32 v71, 31, v71
	v_xor_b32_e32 v69, vcc_lo, v69
	v_cmp_gt_i32_e32 vcc_lo, 0, v72
	v_not_b32_e32 v72, v208
	v_xor_b32_e32 v212, s23, v212
	v_cmp_gt_i32_e64 s23, 0, v208
	v_and_b32_e32 v69, exec_lo, v69
	v_not_b32_e32 v208, v210
	v_ashrrev_i32_e32 v72, 31, v72
	v_xor_b32_e32 v71, vcc_lo, v71
	v_cmp_gt_i32_e32 vcc_lo, 0, v210
	v_and_b32_e32 v69, v69, v212
	v_not_b32_e32 v210, v211
	v_ashrrev_i32_e32 v208, 31, v208
	v_xor_b32_e32 v72, s23, v72
	v_cmp_gt_i32_e64 s23, 0, v211
	v_and_b32_e32 v69, v69, v71
	v_not_b32_e32 v71, v207
	v_ashrrev_i32_e32 v210, 31, v210
	v_xor_b32_e32 v208, vcc_lo, v208
	v_cmp_gt_i32_e32 vcc_lo, 0, v207
	v_and_b32_e32 v69, v69, v72
	v_ashrrev_i32_e32 v71, 31, v71
	v_xor_b32_e32 v72, s23, v210
	v_mad_u32_u24 v207, v70, 36, v148
	v_mul_u32_u24_e32 v70, 36, v70
	v_and_b32_e32 v69, v69, v208
	v_xor_b32_e32 v71, vcc_lo, v71
	ds_read_b32 v207, v207 offset:544
	v_add_nc_u32_e32 v212, v148, v70
	v_and_b32_e32 v69, v69, v72
	; wave barrier
	v_and_b32_e32 v69, v69, v71
	v_mbcnt_lo_u32_b32 v208, v69, 0
	v_cmp_ne_u32_e64 s23, 0, v69
	v_cmp_eq_u32_e32 vcc_lo, 0, v208
	s_and_b32 s24, s23, vcc_lo
	s_and_saveexec_b32 s23, s24
	s_cbranch_execz .LBB1148_464
; %bb.463:                              ;   in Loop: Header=BB1148_398 Depth=2
	s_waitcnt lgkmcnt(0)
	v_bcnt_u32_b32 v69, v69, v207
	ds_write_b32 v212, v69 offset:544
.LBB1148_464:                           ;   in Loop: Header=BB1148_398 Depth=2
	s_or_b32 exec_lo, exec_lo, s23
	v_cmp_gt_i64_e32 vcc_lo, 0, v[45:46]
	v_ashrrev_i32_e32 v69, 31, v46
	; wave barrier
	v_not_b32_e32 v69, v69
	v_cndmask_b32_e64 v70, 0x7fffffff, 0, vcc_lo
	v_xor_b32_e32 v45, v69, v45
	v_xor_b32_e32 v46, v70, v46
	v_cmp_ne_u64_e32 vcc_lo, s[56:57], v[45:46]
	v_cndmask_b32_e32 v70, 0x7fffffff, v46, vcc_lo
	v_cndmask_b32_e32 v69, -1, v45, vcc_lo
	v_lshrrev_b64 v[69:70], s63, v[69:70]
	v_and_b32_e32 v70, s65, v69
	v_and_b32_e32 v69, 1, v70
	v_lshlrev_b32_e32 v71, 30, v70
	v_lshlrev_b32_e32 v72, 29, v70
	;; [unrolled: 1-line block ×4, first 2 shown]
	v_add_co_u32 v69, s23, v69, -1
	v_cndmask_b32_e64 v210, 0, 1, s23
	v_not_b32_e32 v215, v71
	v_cmp_gt_i32_e64 s23, 0, v71
	v_not_b32_e32 v71, v72
	v_lshlrev_b32_e32 v214, 26, v70
	v_cmp_ne_u32_e32 vcc_lo, 0, v210
	v_ashrrev_i32_e32 v215, 31, v215
	v_lshlrev_b32_e32 v210, 25, v70
	v_ashrrev_i32_e32 v71, 31, v71
	v_xor_b32_e32 v69, vcc_lo, v69
	v_cmp_gt_i32_e32 vcc_lo, 0, v72
	v_not_b32_e32 v72, v211
	v_xor_b32_e32 v215, s23, v215
	v_cmp_gt_i32_e64 s23, 0, v211
	v_and_b32_e32 v69, exec_lo, v69
	v_not_b32_e32 v211, v213
	v_ashrrev_i32_e32 v72, 31, v72
	v_xor_b32_e32 v71, vcc_lo, v71
	v_cmp_gt_i32_e32 vcc_lo, 0, v213
	v_and_b32_e32 v69, v69, v215
	v_not_b32_e32 v213, v214
	v_ashrrev_i32_e32 v211, 31, v211
	v_xor_b32_e32 v72, s23, v72
	v_cmp_gt_i32_e64 s23, 0, v214
	v_and_b32_e32 v69, v69, v71
	v_not_b32_e32 v71, v210
	v_ashrrev_i32_e32 v213, 31, v213
	v_xor_b32_e32 v211, vcc_lo, v211
	v_cmp_gt_i32_e32 vcc_lo, 0, v210
	v_and_b32_e32 v69, v69, v72
	v_ashrrev_i32_e32 v71, 31, v71
	v_xor_b32_e32 v72, s23, v213
	v_mad_u32_u24 v210, v70, 36, v148
	v_mul_u32_u24_e32 v70, 36, v70
	v_and_b32_e32 v69, v69, v211
	v_xor_b32_e32 v71, vcc_lo, v71
	ds_read_b32 v210, v210 offset:544
	v_add_nc_u32_e32 v213, v148, v70
	v_and_b32_e32 v69, v69, v72
	; wave barrier
	v_and_b32_e32 v69, v69, v71
	v_mbcnt_lo_u32_b32 v211, v69, 0
	v_cmp_ne_u32_e64 s23, 0, v69
	v_cmp_eq_u32_e32 vcc_lo, 0, v211
	s_and_b32 s24, s23, vcc_lo
	s_and_saveexec_b32 s23, s24
	s_cbranch_execz .LBB1148_466
; %bb.465:                              ;   in Loop: Header=BB1148_398 Depth=2
	s_waitcnt lgkmcnt(0)
	v_bcnt_u32_b32 v69, v69, v210
	ds_write_b32 v213, v69 offset:544
.LBB1148_466:                           ;   in Loop: Header=BB1148_398 Depth=2
	s_or_b32 exec_lo, exec_lo, s23
	; wave barrier
	s_waitcnt lgkmcnt(0)
	s_barrier
	buffer_gl0_inv
	ds_read2_b32 v[71:72], v98 offset0:136 offset1:137
	ds_read2_b32 v[69:70], v98 offset0:138 offset1:139
	ds_read_b32 v214, v98 offset:560
	s_waitcnt lgkmcnt(1)
	v_add3_u32 v215, v72, v71, v69
	s_waitcnt lgkmcnt(0)
	v_add3_u32 v214, v215, v70, v214
	v_mov_b32_dpp v215, v214 row_shr:1 row_mask:0xf bank_mask:0xf
	v_cndmask_b32_e64 v215, v215, 0, s14
	v_add_nc_u32_e32 v214, v215, v214
	v_mov_b32_dpp v215, v214 row_shr:2 row_mask:0xf bank_mask:0xf
	v_cndmask_b32_e64 v215, 0, v215, s15
	v_add_nc_u32_e32 v214, v214, v215
	;; [unrolled: 3-line block ×4, first 2 shown]
	ds_swizzle_b32 v215, v214 offset:swizzle(BROADCAST,32,15)
	s_waitcnt lgkmcnt(0)
	v_cndmask_b32_e64 v215, v215, 0, s18
	v_add_nc_u32_e32 v214, v214, v215
	s_and_saveexec_b32 s23, s4
; %bb.467:                              ;   in Loop: Header=BB1148_398 Depth=2
	ds_write_b32 v92, v214 offset:512
; %bb.468:                              ;   in Loop: Header=BB1148_398 Depth=2
	s_or_b32 exec_lo, exec_lo, s23
	s_waitcnt lgkmcnt(0)
	s_barrier
	buffer_gl0_inv
	s_and_saveexec_b32 s23, s5
	s_cbranch_execz .LBB1148_470
; %bb.469:                              ;   in Loop: Header=BB1148_398 Depth=2
	ds_read_b32 v215, v99 offset:512
	s_waitcnt lgkmcnt(0)
	v_mov_b32_dpp v216, v215 row_shr:1 row_mask:0xf bank_mask:0xf
	v_cndmask_b32_e64 v216, v216, 0, s20
	v_add_nc_u32_e32 v215, v216, v215
	v_mov_b32_dpp v216, v215 row_shr:2 row_mask:0xf bank_mask:0xf
	v_cndmask_b32_e64 v216, 0, v216, s21
	v_add_nc_u32_e32 v215, v215, v216
	;; [unrolled: 3-line block ×3, first 2 shown]
	ds_write_b32 v99, v215 offset:512
.LBB1148_470:                           ;   in Loop: Header=BB1148_398 Depth=2
	s_or_b32 exec_lo, exec_lo, s23
	v_mov_b32_e32 v215, 0
	s_waitcnt lgkmcnt(0)
	s_barrier
	buffer_gl0_inv
	s_and_saveexec_b32 s23, s11
; %bb.471:                              ;   in Loop: Header=BB1148_398 Depth=2
	ds_read_b32 v215, v92 offset:508
; %bb.472:                              ;   in Loop: Header=BB1148_398 Depth=2
	s_or_b32 exec_lo, exec_lo, s23
	s_waitcnt lgkmcnt(0)
	v_add_nc_u32_e32 v214, v215, v214
	ds_bpermute_b32 v214, v127, v214
	s_waitcnt lgkmcnt(0)
	v_cndmask_b32_e64 v214, v214, v215, s19
	v_cndmask_b32_e64 v214, v214, 0, s12
	v_add_nc_u32_e32 v71, v214, v71
	v_add_nc_u32_e32 v72, v71, v72
	;; [unrolled: 1-line block ×4, first 2 shown]
	ds_write2_b32 v98, v214, v71 offset0:136 offset1:137
	ds_write2_b32 v98, v72, v69 offset0:138 offset1:139
	ds_write_b32 v98, v70 offset:560
	s_waitcnt lgkmcnt(0)
	s_barrier
	buffer_gl0_inv
	ds_read_b32 v69, v168 offset:544
	ds_read_b32 v217, v171 offset:544
	;; [unrolled: 1-line block ×16, first 2 shown]
	s_and_saveexec_b32 s23, s8
	s_cbranch_execz .LBB1148_476
; %bb.473:                              ;   in Loop: Header=BB1148_398 Depth=2
	ds_read_b32 v156, v101 offset:544
	v_mov_b32_e32 v166, 0x1000
	s_and_saveexec_b32 s24, s13
; %bb.474:                              ;   in Loop: Header=BB1148_398 Depth=2
	ds_read_b32 v166, v100 offset:544
; %bb.475:                              ;   in Loop: Header=BB1148_398 Depth=2
	s_or_b32 exec_lo, exec_lo, s24
	s_waitcnt lgkmcnt(0)
	v_sub_nc_u32_e32 v166, v166, v156
.LBB1148_476:                           ;   in Loop: Header=BB1148_398 Depth=2
	s_or_b32 exec_lo, exec_lo, s23
	s_waitcnt lgkmcnt(0)
	s_barrier
	buffer_gl0_inv
	s_and_saveexec_b32 s23, s8
	s_cbranch_execz .LBB1148_478
; %bb.477:                              ;   in Loop: Header=BB1148_398 Depth=2
	ds_read_b32 v192, v73
	s_waitcnt lgkmcnt(0)
	v_sub_nc_u32_e32 v192, v192, v156
	ds_write_b32 v73, v192
.LBB1148_478:                           ;   in Loop: Header=BB1148_398 Depth=2
	s_or_b32 exec_lo, exec_lo, s23
	v_lshlrev_b32_e32 v3, 3, v3
	v_lshlrev_b32_e32 v170, 3, v170
	;; [unrolled: 1-line block ×5, first 2 shown]
	v_lshl_add_u32 v69, v69, 3, v3
	v_lshlrev_b32_e32 v3, 3, v172
	v_lshlrev_b32_e32 v172, 3, v70
	;; [unrolled: 1-line block ×3, first 2 shown]
	v_add3_u32 v70, v170, v169, v192
	ds_write_b64 v69, v[37:38] offset:512
	v_lshlrev_b32_e32 v37, 3, v175
	v_lshlrev_b32_e32 v38, 3, v216
	;; [unrolled: 1-line block ×8, first 2 shown]
	ds_write_b64 v70, v[39:40] offset:512
	v_add3_u32 v39, v173, v3, v172
	v_add3_u32 v40, v176, v37, v38
	v_lshlrev_b32_e32 v3, 3, v185
	v_lshlrev_b32_e32 v37, 3, v184
	;; [unrolled: 1-line block ×3, first 2 shown]
	v_add3_u32 v71, v169, v170, v72
	v_add3_u32 v72, v175, v178, v179
	ds_write_b64 v39, v[41:42] offset:512
	ds_write_b64 v40, v[49:50] offset:512
	;; [unrolled: 1-line block ×4, first 2 shown]
	v_add3_u32 v41, v3, v37, v38
	v_lshlrev_b32_e32 v3, 3, v188
	v_lshlrev_b32_e32 v37, 3, v187
	;; [unrolled: 1-line block ×12, first 2 shown]
	v_add3_u32 v42, v3, v37, v38
	v_lshlrev_b32_e32 v3, 3, v199
	v_lshlrev_b32_e32 v37, 3, v198
	v_lshlrev_b32_e32 v38, 3, v180
	v_add3_u32 v49, v49, v50, v53
	v_add3_u32 v50, v54, v57, v58
	;; [unrolled: 1-line block ×3, first 2 shown]
	ds_write_b64 v41, v[61:62] offset:512
	ds_write_b64 v42, v[65:66] offset:512
	;; [unrolled: 1-line block ×5, first 2 shown]
	v_add3_u32 v54, v3, v37, v38
	v_lshlrev_b32_e32 v3, 3, v202
	v_lshlrev_b32_e32 v37, 3, v201
	;; [unrolled: 1-line block ×12, first 2 shown]
	v_add3_u32 v57, v3, v37, v38
	v_add3_u32 v58, v58, v59, v60
	v_add3_u32 v59, v61, v62, v63
	ds_write_b64 v54, v[55:56] offset:512
	v_add3_u32 v55, v64, v65, v66
	v_cmp_lt_u32_e32 vcc_lo, v0, v167
	ds_write_b64 v57, v[51:52] offset:512
	ds_write_b64 v58, v[47:48] offset:512
	ds_write_b64 v59, v[43:44] offset:512
	ds_write_b64 v55, v[45:46] offset:512
	s_waitcnt lgkmcnt(0)
	s_barrier
	buffer_gl0_inv
	s_and_saveexec_b32 s24, vcc_lo
	s_cbranch_execnz .LBB1148_547
; %bb.479:                              ;   in Loop: Header=BB1148_398 Depth=2
	s_or_b32 exec_lo, exec_lo, s24
	v_cmp_lt_u32_e64 s23, v74, v167
	s_and_saveexec_b32 s25, s23
	s_cbranch_execnz .LBB1148_548
.LBB1148_480:                           ;   in Loop: Header=BB1148_398 Depth=2
	s_or_b32 exec_lo, exec_lo, s25
	v_cmp_lt_u32_e64 s24, v77, v167
	s_and_saveexec_b32 s26, s24
	s_cbranch_execnz .LBB1148_549
.LBB1148_481:                           ;   in Loop: Header=BB1148_398 Depth=2
	s_or_b32 exec_lo, exec_lo, s26
	v_cmp_lt_u32_e64 s25, v78, v167
	s_and_saveexec_b32 s27, s25
	s_cbranch_execnz .LBB1148_550
.LBB1148_482:                           ;   in Loop: Header=BB1148_398 Depth=2
	s_or_b32 exec_lo, exec_lo, s27
	v_cmp_lt_u32_e64 s26, v79, v167
	s_and_saveexec_b32 s28, s26
	s_cbranch_execnz .LBB1148_551
.LBB1148_483:                           ;   in Loop: Header=BB1148_398 Depth=2
	s_or_b32 exec_lo, exec_lo, s28
	v_cmp_lt_u32_e64 s27, v80, v167
	s_and_saveexec_b32 s29, s27
	s_cbranch_execnz .LBB1148_552
.LBB1148_484:                           ;   in Loop: Header=BB1148_398 Depth=2
	s_or_b32 exec_lo, exec_lo, s29
	v_cmp_lt_u32_e64 s28, v81, v167
	s_and_saveexec_b32 s30, s28
	s_cbranch_execnz .LBB1148_553
.LBB1148_485:                           ;   in Loop: Header=BB1148_398 Depth=2
	s_or_b32 exec_lo, exec_lo, s30
	v_cmp_lt_u32_e64 s29, v82, v167
	s_and_saveexec_b32 s31, s29
	s_cbranch_execnz .LBB1148_554
.LBB1148_486:                           ;   in Loop: Header=BB1148_398 Depth=2
	s_or_b32 exec_lo, exec_lo, s31
	v_cmp_lt_u32_e64 s30, v83, v167
	s_and_saveexec_b32 s33, s30
	s_cbranch_execnz .LBB1148_555
.LBB1148_487:                           ;   in Loop: Header=BB1148_398 Depth=2
	s_or_b32 exec_lo, exec_lo, s33
	v_cmp_lt_u32_e64 s31, v84, v167
	s_and_saveexec_b32 s34, s31
	s_cbranch_execnz .LBB1148_556
.LBB1148_488:                           ;   in Loop: Header=BB1148_398 Depth=2
	s_or_b32 exec_lo, exec_lo, s34
	v_cmp_lt_u32_e64 s33, v85, v167
	s_and_saveexec_b32 s35, s33
	s_cbranch_execnz .LBB1148_557
.LBB1148_489:                           ;   in Loop: Header=BB1148_398 Depth=2
	s_or_b32 exec_lo, exec_lo, s35
	v_cmp_lt_u32_e64 s34, v86, v167
	s_and_saveexec_b32 s36, s34
	s_cbranch_execnz .LBB1148_558
.LBB1148_490:                           ;   in Loop: Header=BB1148_398 Depth=2
	s_or_b32 exec_lo, exec_lo, s36
	v_cmp_lt_u32_e64 s35, v87, v167
	s_and_saveexec_b32 s37, s35
	s_cbranch_execnz .LBB1148_559
.LBB1148_491:                           ;   in Loop: Header=BB1148_398 Depth=2
	s_or_b32 exec_lo, exec_lo, s37
	v_cmp_lt_u32_e64 s36, v88, v167
	s_and_saveexec_b32 s38, s36
	s_cbranch_execnz .LBB1148_560
.LBB1148_492:                           ;   in Loop: Header=BB1148_398 Depth=2
	s_or_b32 exec_lo, exec_lo, s38
	v_cmp_lt_u32_e64 s37, v89, v167
	s_and_saveexec_b32 s39, s37
	s_cbranch_execnz .LBB1148_561
.LBB1148_493:                           ;   in Loop: Header=BB1148_398 Depth=2
	s_or_b32 exec_lo, exec_lo, s39
	v_cmp_lt_u32_e64 s38, v90, v167
	s_and_saveexec_b32 s47, s38
	s_cbranch_execz .LBB1148_495
.LBB1148_494:                           ;   in Loop: Header=BB1148_398 Depth=2
	ds_read_b64 v[37:38], v106 offset:31232
	s_waitcnt lgkmcnt(0)
	v_cmp_ne_u64_e64 s39, s[56:57], v[37:38]
	v_cndmask_b32_e64 v44, 0x7fffffff, v38, s39
	v_cndmask_b32_e64 v43, -1, v37, s39
	v_cmp_gt_i64_e64 s39, 0, v[37:38]
	v_lshrrev_b64 v[43:44], s63, v[43:44]
	v_cndmask_b32_e64 v45, 0x7fffffff, 0, s39
	v_and_b32_e32 v3, s65, v43
	v_ashrrev_i32_e32 v43, 31, v38
	v_xor_b32_e32 v38, v45, v38
	v_lshlrev_b32_e32 v3, 2, v3
	v_not_b32_e32 v46, v43
	ds_read_b32 v3, v3
	v_xor_b32_e32 v37, v46, v37
	s_waitcnt lgkmcnt(0)
	v_add_nc_u32_e32 v3, v3, v90
	v_lshlrev_b64 v[43:44], 3, v[3:4]
	v_add_co_u32 v43, s39, s44, v43
	v_add_co_ci_u32_e64 v44, null, s45, v44, s39
	global_store_dwordx2 v[43:44], v[37:38], off
.LBB1148_495:                           ;   in Loop: Header=BB1148_398 Depth=2
	s_or_b32 exec_lo, exec_lo, s47
	s_mov_b32 s47, s56
	s_lshl_b64 s[46:47], s[46:47], 3
	v_add_co_u32 v37, s39, v129, s46
	v_add_co_ci_u32_e64 v38, null, s47, v130, s39
	v_cmp_lt_u32_e64 s39, v128, v167
	s_and_saveexec_b32 s46, s39
	s_xor_b32 s39, exec_lo, s46
	s_cbranch_execnz .LBB1148_562
; %bb.496:                              ;   in Loop: Header=BB1148_398 Depth=2
	s_or_b32 exec_lo, exec_lo, s39
	s_mov_b32 s46, exec_lo
	v_cmpx_lt_u32_e64 v131, v167
	s_cbranch_execnz .LBB1148_563
.LBB1148_497:                           ;   in Loop: Header=BB1148_398 Depth=2
	s_or_b32 exec_lo, exec_lo, s46
	s_mov_b32 s46, exec_lo
	v_cmpx_lt_u32_e64 v132, v167
	s_cbranch_execnz .LBB1148_564
.LBB1148_498:                           ;   in Loop: Header=BB1148_398 Depth=2
	s_or_b32 exec_lo, exec_lo, s46
	s_mov_b32 s46, exec_lo
	v_cmpx_lt_u32_e64 v133, v167
	s_cbranch_execnz .LBB1148_565
.LBB1148_499:                           ;   in Loop: Header=BB1148_398 Depth=2
	s_or_b32 exec_lo, exec_lo, s46
	s_mov_b32 s46, exec_lo
	v_cmpx_lt_u32_e64 v134, v167
	s_cbranch_execnz .LBB1148_566
.LBB1148_500:                           ;   in Loop: Header=BB1148_398 Depth=2
	s_or_b32 exec_lo, exec_lo, s46
	s_mov_b32 s46, exec_lo
	v_cmpx_lt_u32_e64 v135, v167
	s_cbranch_execnz .LBB1148_567
.LBB1148_501:                           ;   in Loop: Header=BB1148_398 Depth=2
	s_or_b32 exec_lo, exec_lo, s46
	s_mov_b32 s46, exec_lo
	v_cmpx_lt_u32_e64 v136, v167
	s_cbranch_execnz .LBB1148_568
.LBB1148_502:                           ;   in Loop: Header=BB1148_398 Depth=2
	s_or_b32 exec_lo, exec_lo, s46
	s_mov_b32 s46, exec_lo
	v_cmpx_lt_u32_e64 v137, v167
	s_cbranch_execnz .LBB1148_569
.LBB1148_503:                           ;   in Loop: Header=BB1148_398 Depth=2
	s_or_b32 exec_lo, exec_lo, s46
	s_mov_b32 s46, exec_lo
	v_cmpx_lt_u32_e64 v138, v167
	s_cbranch_execnz .LBB1148_570
.LBB1148_504:                           ;   in Loop: Header=BB1148_398 Depth=2
	s_or_b32 exec_lo, exec_lo, s46
	s_mov_b32 s46, exec_lo
	v_cmpx_lt_u32_e64 v139, v167
	s_cbranch_execnz .LBB1148_571
.LBB1148_505:                           ;   in Loop: Header=BB1148_398 Depth=2
	s_or_b32 exec_lo, exec_lo, s46
	s_mov_b32 s46, exec_lo
	v_cmpx_lt_u32_e64 v140, v167
	s_cbranch_execnz .LBB1148_572
.LBB1148_506:                           ;   in Loop: Header=BB1148_398 Depth=2
	s_or_b32 exec_lo, exec_lo, s46
	s_mov_b32 s46, exec_lo
	v_cmpx_lt_u32_e64 v141, v167
	s_cbranch_execnz .LBB1148_573
.LBB1148_507:                           ;   in Loop: Header=BB1148_398 Depth=2
	s_or_b32 exec_lo, exec_lo, s46
	s_mov_b32 s46, exec_lo
	v_cmpx_lt_u32_e64 v142, v167
	s_cbranch_execnz .LBB1148_574
.LBB1148_508:                           ;   in Loop: Header=BB1148_398 Depth=2
	s_or_b32 exec_lo, exec_lo, s46
	s_mov_b32 s46, exec_lo
	v_cmpx_lt_u32_e64 v143, v167
	s_cbranch_execnz .LBB1148_575
.LBB1148_509:                           ;   in Loop: Header=BB1148_398 Depth=2
	s_or_b32 exec_lo, exec_lo, s46
	s_mov_b32 s46, exec_lo
	v_cmpx_lt_u32_e64 v144, v167
	s_cbranch_execnz .LBB1148_576
.LBB1148_510:                           ;   in Loop: Header=BB1148_398 Depth=2
	s_or_b32 exec_lo, exec_lo, s46
	s_mov_b32 s46, exec_lo
	v_cmpx_lt_u32_e64 v145, v167
	s_cbranch_execnz .LBB1148_577
.LBB1148_511:                           ;   in Loop: Header=BB1148_398 Depth=2
	s_or_b32 exec_lo, exec_lo, s46
	s_and_saveexec_b32 s46, vcc_lo
	s_cbranch_execnz .LBB1148_578
.LBB1148_512:                           ;   in Loop: Header=BB1148_398 Depth=2
	s_or_b32 exec_lo, exec_lo, s46
	s_and_saveexec_b32 s46, s23
	s_cbranch_execnz .LBB1148_579
.LBB1148_513:                           ;   in Loop: Header=BB1148_398 Depth=2
	s_or_b32 exec_lo, exec_lo, s46
	s_and_saveexec_b32 s46, s24
	s_cbranch_execnz .LBB1148_580
.LBB1148_514:                           ;   in Loop: Header=BB1148_398 Depth=2
	s_or_b32 exec_lo, exec_lo, s46
	s_and_saveexec_b32 s46, s25
	s_cbranch_execnz .LBB1148_581
.LBB1148_515:                           ;   in Loop: Header=BB1148_398 Depth=2
	s_or_b32 exec_lo, exec_lo, s46
	s_and_saveexec_b32 s46, s26
	s_cbranch_execnz .LBB1148_582
.LBB1148_516:                           ;   in Loop: Header=BB1148_398 Depth=2
	s_or_b32 exec_lo, exec_lo, s46
	s_and_saveexec_b32 s46, s27
	s_cbranch_execnz .LBB1148_583
.LBB1148_517:                           ;   in Loop: Header=BB1148_398 Depth=2
	s_or_b32 exec_lo, exec_lo, s46
	s_and_saveexec_b32 s46, s28
	s_cbranch_execnz .LBB1148_584
.LBB1148_518:                           ;   in Loop: Header=BB1148_398 Depth=2
	s_or_b32 exec_lo, exec_lo, s46
	s_and_saveexec_b32 s46, s29
	s_cbranch_execnz .LBB1148_585
.LBB1148_519:                           ;   in Loop: Header=BB1148_398 Depth=2
	s_or_b32 exec_lo, exec_lo, s46
	s_and_saveexec_b32 s46, s30
	s_cbranch_execnz .LBB1148_586
.LBB1148_520:                           ;   in Loop: Header=BB1148_398 Depth=2
	s_or_b32 exec_lo, exec_lo, s46
	s_and_saveexec_b32 s46, s31
	s_cbranch_execnz .LBB1148_587
.LBB1148_521:                           ;   in Loop: Header=BB1148_398 Depth=2
	s_or_b32 exec_lo, exec_lo, s46
	s_and_saveexec_b32 s46, s33
	s_cbranch_execnz .LBB1148_588
.LBB1148_522:                           ;   in Loop: Header=BB1148_398 Depth=2
	s_or_b32 exec_lo, exec_lo, s46
	s_and_saveexec_b32 s46, s34
	s_cbranch_execnz .LBB1148_589
.LBB1148_523:                           ;   in Loop: Header=BB1148_398 Depth=2
	s_or_b32 exec_lo, exec_lo, s46
	s_and_saveexec_b32 s46, s35
	s_cbranch_execnz .LBB1148_590
.LBB1148_524:                           ;   in Loop: Header=BB1148_398 Depth=2
	s_or_b32 exec_lo, exec_lo, s46
	s_and_saveexec_b32 s46, s36
	s_cbranch_execnz .LBB1148_591
.LBB1148_525:                           ;   in Loop: Header=BB1148_398 Depth=2
	s_or_b32 exec_lo, exec_lo, s46
	s_and_saveexec_b32 s46, s37
	s_cbranch_execnz .LBB1148_592
.LBB1148_526:                           ;   in Loop: Header=BB1148_398 Depth=2
	s_or_b32 exec_lo, exec_lo, s46
	s_and_saveexec_b32 s46, s38
	s_cbranch_execz .LBB1148_528
.LBB1148_527:                           ;   in Loop: Header=BB1148_398 Depth=2
	ds_read_b64 v[37:38], v106 offset:31232
	s_waitcnt lgkmcnt(0)
	v_cmp_ne_u64_e64 s39, s[56:57], v[37:38]
	v_cndmask_b32_e64 v38, 0x7fffffff, v38, s39
	v_cndmask_b32_e64 v37, -1, v37, s39
	v_lshrrev_b64 v[37:38], s63, v[37:38]
	v_and_b32_e32 v149, s65, v37
.LBB1148_528:                           ;   in Loop: Header=BB1148_398 Depth=2
	s_or_b32 exec_lo, exec_lo, s46
	s_waitcnt vmcnt(0)
	s_waitcnt_vscnt null, 0x0
	s_barrier
	buffer_gl0_inv
	ds_write_b64 v69, v[35:36] offset:512
	ds_write_b64 v70, v[33:34] offset:512
	;; [unrolled: 1-line block ×16, first 2 shown]
	s_waitcnt lgkmcnt(0)
	s_barrier
	buffer_gl0_inv
	s_and_saveexec_b32 s39, vcc_lo
	s_cbranch_execnz .LBB1148_593
; %bb.529:                              ;   in Loop: Header=BB1148_398 Depth=2
	s_or_b32 exec_lo, exec_lo, s39
	s_and_saveexec_b32 s39, s23
	s_cbranch_execnz .LBB1148_594
.LBB1148_530:                           ;   in Loop: Header=BB1148_398 Depth=2
	s_or_b32 exec_lo, exec_lo, s39
	s_and_saveexec_b32 s23, s24
	s_cbranch_execnz .LBB1148_595
.LBB1148_531:                           ;   in Loop: Header=BB1148_398 Depth=2
	s_or_b32 exec_lo, exec_lo, s23
	s_and_saveexec_b32 s23, s25
	s_cbranch_execnz .LBB1148_596
.LBB1148_532:                           ;   in Loop: Header=BB1148_398 Depth=2
	s_or_b32 exec_lo, exec_lo, s23
	s_and_saveexec_b32 s23, s26
	s_cbranch_execnz .LBB1148_597
.LBB1148_533:                           ;   in Loop: Header=BB1148_398 Depth=2
	s_or_b32 exec_lo, exec_lo, s23
	s_and_saveexec_b32 s23, s27
	s_cbranch_execnz .LBB1148_598
.LBB1148_534:                           ;   in Loop: Header=BB1148_398 Depth=2
	s_or_b32 exec_lo, exec_lo, s23
	s_and_saveexec_b32 s23, s28
	s_cbranch_execnz .LBB1148_599
.LBB1148_535:                           ;   in Loop: Header=BB1148_398 Depth=2
	s_or_b32 exec_lo, exec_lo, s23
	s_and_saveexec_b32 s23, s29
	s_cbranch_execnz .LBB1148_600
.LBB1148_536:                           ;   in Loop: Header=BB1148_398 Depth=2
	s_or_b32 exec_lo, exec_lo, s23
	s_and_saveexec_b32 s23, s30
	s_cbranch_execnz .LBB1148_601
.LBB1148_537:                           ;   in Loop: Header=BB1148_398 Depth=2
	s_or_b32 exec_lo, exec_lo, s23
	s_and_saveexec_b32 s23, s31
	s_cbranch_execnz .LBB1148_602
.LBB1148_538:                           ;   in Loop: Header=BB1148_398 Depth=2
	s_or_b32 exec_lo, exec_lo, s23
	s_and_saveexec_b32 s23, s33
	s_cbranch_execnz .LBB1148_603
.LBB1148_539:                           ;   in Loop: Header=BB1148_398 Depth=2
	s_or_b32 exec_lo, exec_lo, s23
	s_and_saveexec_b32 s23, s34
	s_cbranch_execnz .LBB1148_604
.LBB1148_540:                           ;   in Loop: Header=BB1148_398 Depth=2
	s_or_b32 exec_lo, exec_lo, s23
	s_and_saveexec_b32 s23, s35
	s_cbranch_execnz .LBB1148_605
.LBB1148_541:                           ;   in Loop: Header=BB1148_398 Depth=2
	s_or_b32 exec_lo, exec_lo, s23
	s_and_saveexec_b32 s23, s36
	s_cbranch_execnz .LBB1148_606
.LBB1148_542:                           ;   in Loop: Header=BB1148_398 Depth=2
	s_or_b32 exec_lo, exec_lo, s23
	s_and_saveexec_b32 s23, s37
	s_cbranch_execnz .LBB1148_607
.LBB1148_543:                           ;   in Loop: Header=BB1148_398 Depth=2
	s_or_b32 exec_lo, exec_lo, s23
	s_and_saveexec_b32 s23, s38
	s_cbranch_execz .LBB1148_545
.LBB1148_544:                           ;   in Loop: Header=BB1148_398 Depth=2
	v_lshlrev_b32_e32 v3, 2, v149
	ds_read_b32 v3, v3
	ds_read_b64 v[37:38], v106 offset:31232
	s_waitcnt lgkmcnt(1)
	v_add_nc_u32_e32 v3, v3, v90
	v_lshlrev_b64 v[39:40], 3, v[3:4]
	v_add_co_u32 v39, vcc_lo, s50, v39
	v_add_co_ci_u32_e64 v40, null, s51, v40, vcc_lo
	s_waitcnt lgkmcnt(0)
	global_store_dwordx2 v[39:40], v[37:38], off
.LBB1148_545:                           ;   in Loop: Header=BB1148_398 Depth=2
	s_or_b32 exec_lo, exec_lo, s23
	s_waitcnt_vscnt null, 0x0
	s_barrier
	buffer_gl0_inv
	s_and_saveexec_b32 s23, s8
	s_cbranch_execz .LBB1148_397
; %bb.546:                              ;   in Loop: Header=BB1148_398 Depth=2
	ds_read_b32 v3, v73
	s_waitcnt lgkmcnt(0)
	v_add3_u32 v3, v156, v166, v3
	ds_write_b32 v73, v3
	s_branch .LBB1148_397
.LBB1148_547:                           ;   in Loop: Header=BB1148_398 Depth=2
	ds_read_b64 v[37:38], v106 offset:512
	s_waitcnt lgkmcnt(0)
	v_cmp_ne_u64_e64 s23, s[56:57], v[37:38]
	v_cndmask_b32_e64 v44, 0x7fffffff, v38, s23
	v_cndmask_b32_e64 v43, -1, v37, s23
	v_cmp_gt_i64_e64 s23, 0, v[37:38]
	v_lshrrev_b64 v[43:44], s63, v[43:44]
	v_cndmask_b32_e64 v45, 0x7fffffff, 0, s23
	v_and_b32_e32 v3, s65, v43
	v_ashrrev_i32_e32 v43, 31, v38
	v_xor_b32_e32 v38, v45, v38
	v_lshlrev_b32_e32 v3, 2, v3
	v_not_b32_e32 v46, v43
	ds_read_b32 v3, v3
	v_xor_b32_e32 v37, v46, v37
	s_waitcnt lgkmcnt(0)
	v_add_nc_u32_e32 v3, v3, v0
	v_lshlrev_b64 v[43:44], 3, v[3:4]
	v_add_co_u32 v43, s23, s44, v43
	v_add_co_ci_u32_e64 v44, null, s45, v44, s23
	global_store_dwordx2 v[43:44], v[37:38], off
	s_or_b32 exec_lo, exec_lo, s24
	v_cmp_lt_u32_e64 s23, v74, v167
	s_and_saveexec_b32 s25, s23
	s_cbranch_execz .LBB1148_480
.LBB1148_548:                           ;   in Loop: Header=BB1148_398 Depth=2
	ds_read_b64 v[37:38], v106 offset:2560
	s_waitcnt lgkmcnt(0)
	v_cmp_ne_u64_e64 s24, s[56:57], v[37:38]
	v_cndmask_b32_e64 v44, 0x7fffffff, v38, s24
	v_cndmask_b32_e64 v43, -1, v37, s24
	v_cmp_gt_i64_e64 s24, 0, v[37:38]
	v_lshrrev_b64 v[43:44], s63, v[43:44]
	v_cndmask_b32_e64 v45, 0x7fffffff, 0, s24
	v_and_b32_e32 v3, s65, v43
	v_ashrrev_i32_e32 v43, 31, v38
	v_xor_b32_e32 v38, v45, v38
	v_lshlrev_b32_e32 v3, 2, v3
	v_not_b32_e32 v46, v43
	ds_read_b32 v3, v3
	v_xor_b32_e32 v37, v46, v37
	s_waitcnt lgkmcnt(0)
	v_add_nc_u32_e32 v3, v3, v74
	v_lshlrev_b64 v[43:44], 3, v[3:4]
	v_add_co_u32 v43, s24, s44, v43
	v_add_co_ci_u32_e64 v44, null, s45, v44, s24
	global_store_dwordx2 v[43:44], v[37:38], off
	s_or_b32 exec_lo, exec_lo, s25
	v_cmp_lt_u32_e64 s24, v77, v167
	s_and_saveexec_b32 s26, s24
	s_cbranch_execz .LBB1148_481
.LBB1148_549:                           ;   in Loop: Header=BB1148_398 Depth=2
	ds_read_b64 v[37:38], v106 offset:4608
	s_waitcnt lgkmcnt(0)
	v_cmp_ne_u64_e64 s25, s[56:57], v[37:38]
	v_cndmask_b32_e64 v44, 0x7fffffff, v38, s25
	v_cndmask_b32_e64 v43, -1, v37, s25
	v_cmp_gt_i64_e64 s25, 0, v[37:38]
	v_lshrrev_b64 v[43:44], s63, v[43:44]
	v_cndmask_b32_e64 v45, 0x7fffffff, 0, s25
	v_and_b32_e32 v3, s65, v43
	v_ashrrev_i32_e32 v43, 31, v38
	v_xor_b32_e32 v38, v45, v38
	v_lshlrev_b32_e32 v3, 2, v3
	v_not_b32_e32 v46, v43
	ds_read_b32 v3, v3
	v_xor_b32_e32 v37, v46, v37
	s_waitcnt lgkmcnt(0)
	v_add_nc_u32_e32 v3, v3, v77
	v_lshlrev_b64 v[43:44], 3, v[3:4]
	v_add_co_u32 v43, s25, s44, v43
	v_add_co_ci_u32_e64 v44, null, s45, v44, s25
	global_store_dwordx2 v[43:44], v[37:38], off
	s_or_b32 exec_lo, exec_lo, s26
	v_cmp_lt_u32_e64 s25, v78, v167
	s_and_saveexec_b32 s27, s25
	s_cbranch_execz .LBB1148_482
.LBB1148_550:                           ;   in Loop: Header=BB1148_398 Depth=2
	ds_read_b64 v[37:38], v106 offset:6656
	s_waitcnt lgkmcnt(0)
	v_cmp_ne_u64_e64 s26, s[56:57], v[37:38]
	v_cndmask_b32_e64 v44, 0x7fffffff, v38, s26
	v_cndmask_b32_e64 v43, -1, v37, s26
	v_cmp_gt_i64_e64 s26, 0, v[37:38]
	v_lshrrev_b64 v[43:44], s63, v[43:44]
	v_cndmask_b32_e64 v45, 0x7fffffff, 0, s26
	v_and_b32_e32 v3, s65, v43
	v_ashrrev_i32_e32 v43, 31, v38
	v_xor_b32_e32 v38, v45, v38
	v_lshlrev_b32_e32 v3, 2, v3
	v_not_b32_e32 v46, v43
	ds_read_b32 v3, v3
	v_xor_b32_e32 v37, v46, v37
	s_waitcnt lgkmcnt(0)
	v_add_nc_u32_e32 v3, v3, v78
	v_lshlrev_b64 v[43:44], 3, v[3:4]
	v_add_co_u32 v43, s26, s44, v43
	v_add_co_ci_u32_e64 v44, null, s45, v44, s26
	global_store_dwordx2 v[43:44], v[37:38], off
	s_or_b32 exec_lo, exec_lo, s27
	v_cmp_lt_u32_e64 s26, v79, v167
	s_and_saveexec_b32 s28, s26
	s_cbranch_execz .LBB1148_483
.LBB1148_551:                           ;   in Loop: Header=BB1148_398 Depth=2
	ds_read_b64 v[37:38], v106 offset:8704
	s_waitcnt lgkmcnt(0)
	v_cmp_ne_u64_e64 s27, s[56:57], v[37:38]
	v_cndmask_b32_e64 v44, 0x7fffffff, v38, s27
	v_cndmask_b32_e64 v43, -1, v37, s27
	v_cmp_gt_i64_e64 s27, 0, v[37:38]
	v_lshrrev_b64 v[43:44], s63, v[43:44]
	v_cndmask_b32_e64 v45, 0x7fffffff, 0, s27
	v_and_b32_e32 v3, s65, v43
	v_ashrrev_i32_e32 v43, 31, v38
	v_xor_b32_e32 v38, v45, v38
	v_lshlrev_b32_e32 v3, 2, v3
	v_not_b32_e32 v46, v43
	ds_read_b32 v3, v3
	v_xor_b32_e32 v37, v46, v37
	s_waitcnt lgkmcnt(0)
	v_add_nc_u32_e32 v3, v3, v79
	v_lshlrev_b64 v[43:44], 3, v[3:4]
	v_add_co_u32 v43, s27, s44, v43
	v_add_co_ci_u32_e64 v44, null, s45, v44, s27
	global_store_dwordx2 v[43:44], v[37:38], off
	s_or_b32 exec_lo, exec_lo, s28
	v_cmp_lt_u32_e64 s27, v80, v167
	s_and_saveexec_b32 s29, s27
	s_cbranch_execz .LBB1148_484
.LBB1148_552:                           ;   in Loop: Header=BB1148_398 Depth=2
	ds_read_b64 v[37:38], v106 offset:10752
	s_waitcnt lgkmcnt(0)
	v_cmp_ne_u64_e64 s28, s[56:57], v[37:38]
	v_cndmask_b32_e64 v44, 0x7fffffff, v38, s28
	v_cndmask_b32_e64 v43, -1, v37, s28
	v_cmp_gt_i64_e64 s28, 0, v[37:38]
	v_lshrrev_b64 v[43:44], s63, v[43:44]
	v_cndmask_b32_e64 v45, 0x7fffffff, 0, s28
	v_and_b32_e32 v3, s65, v43
	v_ashrrev_i32_e32 v43, 31, v38
	v_xor_b32_e32 v38, v45, v38
	v_lshlrev_b32_e32 v3, 2, v3
	v_not_b32_e32 v46, v43
	ds_read_b32 v3, v3
	v_xor_b32_e32 v37, v46, v37
	s_waitcnt lgkmcnt(0)
	v_add_nc_u32_e32 v3, v3, v80
	v_lshlrev_b64 v[43:44], 3, v[3:4]
	v_add_co_u32 v43, s28, s44, v43
	v_add_co_ci_u32_e64 v44, null, s45, v44, s28
	global_store_dwordx2 v[43:44], v[37:38], off
	s_or_b32 exec_lo, exec_lo, s29
	v_cmp_lt_u32_e64 s28, v81, v167
	s_and_saveexec_b32 s30, s28
	s_cbranch_execz .LBB1148_485
.LBB1148_553:                           ;   in Loop: Header=BB1148_398 Depth=2
	ds_read_b64 v[37:38], v106 offset:12800
	s_waitcnt lgkmcnt(0)
	v_cmp_ne_u64_e64 s29, s[56:57], v[37:38]
	v_cndmask_b32_e64 v44, 0x7fffffff, v38, s29
	v_cndmask_b32_e64 v43, -1, v37, s29
	v_cmp_gt_i64_e64 s29, 0, v[37:38]
	v_lshrrev_b64 v[43:44], s63, v[43:44]
	v_cndmask_b32_e64 v45, 0x7fffffff, 0, s29
	v_and_b32_e32 v3, s65, v43
	v_ashrrev_i32_e32 v43, 31, v38
	v_xor_b32_e32 v38, v45, v38
	v_lshlrev_b32_e32 v3, 2, v3
	v_not_b32_e32 v46, v43
	ds_read_b32 v3, v3
	v_xor_b32_e32 v37, v46, v37
	s_waitcnt lgkmcnt(0)
	v_add_nc_u32_e32 v3, v3, v81
	v_lshlrev_b64 v[43:44], 3, v[3:4]
	v_add_co_u32 v43, s29, s44, v43
	v_add_co_ci_u32_e64 v44, null, s45, v44, s29
	global_store_dwordx2 v[43:44], v[37:38], off
	s_or_b32 exec_lo, exec_lo, s30
	v_cmp_lt_u32_e64 s29, v82, v167
	s_and_saveexec_b32 s31, s29
	s_cbranch_execz .LBB1148_486
.LBB1148_554:                           ;   in Loop: Header=BB1148_398 Depth=2
	ds_read_b64 v[37:38], v106 offset:14848
	s_waitcnt lgkmcnt(0)
	v_cmp_ne_u64_e64 s30, s[56:57], v[37:38]
	v_cndmask_b32_e64 v44, 0x7fffffff, v38, s30
	v_cndmask_b32_e64 v43, -1, v37, s30
	v_cmp_gt_i64_e64 s30, 0, v[37:38]
	v_lshrrev_b64 v[43:44], s63, v[43:44]
	v_cndmask_b32_e64 v45, 0x7fffffff, 0, s30
	v_and_b32_e32 v3, s65, v43
	v_ashrrev_i32_e32 v43, 31, v38
	v_xor_b32_e32 v38, v45, v38
	v_lshlrev_b32_e32 v3, 2, v3
	v_not_b32_e32 v46, v43
	ds_read_b32 v3, v3
	v_xor_b32_e32 v37, v46, v37
	s_waitcnt lgkmcnt(0)
	v_add_nc_u32_e32 v3, v3, v82
	v_lshlrev_b64 v[43:44], 3, v[3:4]
	v_add_co_u32 v43, s30, s44, v43
	v_add_co_ci_u32_e64 v44, null, s45, v44, s30
	global_store_dwordx2 v[43:44], v[37:38], off
	s_or_b32 exec_lo, exec_lo, s31
	v_cmp_lt_u32_e64 s30, v83, v167
	s_and_saveexec_b32 s33, s30
	s_cbranch_execz .LBB1148_487
.LBB1148_555:                           ;   in Loop: Header=BB1148_398 Depth=2
	ds_read_b64 v[37:38], v106 offset:16896
	s_waitcnt lgkmcnt(0)
	v_cmp_ne_u64_e64 s31, s[56:57], v[37:38]
	v_cndmask_b32_e64 v44, 0x7fffffff, v38, s31
	v_cndmask_b32_e64 v43, -1, v37, s31
	v_cmp_gt_i64_e64 s31, 0, v[37:38]
	v_lshrrev_b64 v[43:44], s63, v[43:44]
	v_cndmask_b32_e64 v45, 0x7fffffff, 0, s31
	v_and_b32_e32 v3, s65, v43
	v_ashrrev_i32_e32 v43, 31, v38
	v_xor_b32_e32 v38, v45, v38
	v_lshlrev_b32_e32 v3, 2, v3
	v_not_b32_e32 v46, v43
	ds_read_b32 v3, v3
	v_xor_b32_e32 v37, v46, v37
	s_waitcnt lgkmcnt(0)
	v_add_nc_u32_e32 v3, v3, v83
	v_lshlrev_b64 v[43:44], 3, v[3:4]
	v_add_co_u32 v43, s31, s44, v43
	v_add_co_ci_u32_e64 v44, null, s45, v44, s31
	global_store_dwordx2 v[43:44], v[37:38], off
	s_or_b32 exec_lo, exec_lo, s33
	v_cmp_lt_u32_e64 s31, v84, v167
	s_and_saveexec_b32 s34, s31
	s_cbranch_execz .LBB1148_488
.LBB1148_556:                           ;   in Loop: Header=BB1148_398 Depth=2
	ds_read_b64 v[37:38], v106 offset:18944
	s_waitcnt lgkmcnt(0)
	v_cmp_ne_u64_e64 s33, s[56:57], v[37:38]
	v_cndmask_b32_e64 v44, 0x7fffffff, v38, s33
	v_cndmask_b32_e64 v43, -1, v37, s33
	v_cmp_gt_i64_e64 s33, 0, v[37:38]
	v_lshrrev_b64 v[43:44], s63, v[43:44]
	v_cndmask_b32_e64 v45, 0x7fffffff, 0, s33
	v_and_b32_e32 v3, s65, v43
	v_ashrrev_i32_e32 v43, 31, v38
	v_xor_b32_e32 v38, v45, v38
	v_lshlrev_b32_e32 v3, 2, v3
	v_not_b32_e32 v46, v43
	ds_read_b32 v3, v3
	v_xor_b32_e32 v37, v46, v37
	s_waitcnt lgkmcnt(0)
	v_add_nc_u32_e32 v3, v3, v84
	v_lshlrev_b64 v[43:44], 3, v[3:4]
	v_add_co_u32 v43, s33, s44, v43
	v_add_co_ci_u32_e64 v44, null, s45, v44, s33
	global_store_dwordx2 v[43:44], v[37:38], off
	s_or_b32 exec_lo, exec_lo, s34
	v_cmp_lt_u32_e64 s33, v85, v167
	s_and_saveexec_b32 s35, s33
	s_cbranch_execz .LBB1148_489
.LBB1148_557:                           ;   in Loop: Header=BB1148_398 Depth=2
	ds_read_b64 v[37:38], v106 offset:20992
	s_waitcnt lgkmcnt(0)
	v_cmp_ne_u64_e64 s34, s[56:57], v[37:38]
	v_cndmask_b32_e64 v44, 0x7fffffff, v38, s34
	v_cndmask_b32_e64 v43, -1, v37, s34
	v_cmp_gt_i64_e64 s34, 0, v[37:38]
	v_lshrrev_b64 v[43:44], s63, v[43:44]
	v_cndmask_b32_e64 v45, 0x7fffffff, 0, s34
	v_and_b32_e32 v3, s65, v43
	v_ashrrev_i32_e32 v43, 31, v38
	v_xor_b32_e32 v38, v45, v38
	v_lshlrev_b32_e32 v3, 2, v3
	v_not_b32_e32 v46, v43
	ds_read_b32 v3, v3
	v_xor_b32_e32 v37, v46, v37
	s_waitcnt lgkmcnt(0)
	v_add_nc_u32_e32 v3, v3, v85
	v_lshlrev_b64 v[43:44], 3, v[3:4]
	v_add_co_u32 v43, s34, s44, v43
	v_add_co_ci_u32_e64 v44, null, s45, v44, s34
	global_store_dwordx2 v[43:44], v[37:38], off
	s_or_b32 exec_lo, exec_lo, s35
	v_cmp_lt_u32_e64 s34, v86, v167
	s_and_saveexec_b32 s36, s34
	s_cbranch_execz .LBB1148_490
.LBB1148_558:                           ;   in Loop: Header=BB1148_398 Depth=2
	ds_read_b64 v[37:38], v106 offset:23040
	s_waitcnt lgkmcnt(0)
	v_cmp_ne_u64_e64 s35, s[56:57], v[37:38]
	v_cndmask_b32_e64 v44, 0x7fffffff, v38, s35
	v_cndmask_b32_e64 v43, -1, v37, s35
	v_cmp_gt_i64_e64 s35, 0, v[37:38]
	v_lshrrev_b64 v[43:44], s63, v[43:44]
	v_cndmask_b32_e64 v45, 0x7fffffff, 0, s35
	v_and_b32_e32 v3, s65, v43
	v_ashrrev_i32_e32 v43, 31, v38
	v_xor_b32_e32 v38, v45, v38
	v_lshlrev_b32_e32 v3, 2, v3
	v_not_b32_e32 v46, v43
	ds_read_b32 v3, v3
	v_xor_b32_e32 v37, v46, v37
	s_waitcnt lgkmcnt(0)
	v_add_nc_u32_e32 v3, v3, v86
	v_lshlrev_b64 v[43:44], 3, v[3:4]
	v_add_co_u32 v43, s35, s44, v43
	v_add_co_ci_u32_e64 v44, null, s45, v44, s35
	global_store_dwordx2 v[43:44], v[37:38], off
	s_or_b32 exec_lo, exec_lo, s36
	v_cmp_lt_u32_e64 s35, v87, v167
	s_and_saveexec_b32 s37, s35
	s_cbranch_execz .LBB1148_491
.LBB1148_559:                           ;   in Loop: Header=BB1148_398 Depth=2
	ds_read_b64 v[37:38], v106 offset:25088
	s_waitcnt lgkmcnt(0)
	v_cmp_ne_u64_e64 s36, s[56:57], v[37:38]
	v_cndmask_b32_e64 v44, 0x7fffffff, v38, s36
	v_cndmask_b32_e64 v43, -1, v37, s36
	v_cmp_gt_i64_e64 s36, 0, v[37:38]
	v_lshrrev_b64 v[43:44], s63, v[43:44]
	v_cndmask_b32_e64 v45, 0x7fffffff, 0, s36
	v_and_b32_e32 v3, s65, v43
	v_ashrrev_i32_e32 v43, 31, v38
	v_xor_b32_e32 v38, v45, v38
	v_lshlrev_b32_e32 v3, 2, v3
	v_not_b32_e32 v46, v43
	ds_read_b32 v3, v3
	v_xor_b32_e32 v37, v46, v37
	s_waitcnt lgkmcnt(0)
	v_add_nc_u32_e32 v3, v3, v87
	v_lshlrev_b64 v[43:44], 3, v[3:4]
	v_add_co_u32 v43, s36, s44, v43
	v_add_co_ci_u32_e64 v44, null, s45, v44, s36
	global_store_dwordx2 v[43:44], v[37:38], off
	s_or_b32 exec_lo, exec_lo, s37
	v_cmp_lt_u32_e64 s36, v88, v167
	s_and_saveexec_b32 s38, s36
	s_cbranch_execz .LBB1148_492
.LBB1148_560:                           ;   in Loop: Header=BB1148_398 Depth=2
	ds_read_b64 v[37:38], v106 offset:27136
	s_waitcnt lgkmcnt(0)
	v_cmp_ne_u64_e64 s37, s[56:57], v[37:38]
	v_cndmask_b32_e64 v44, 0x7fffffff, v38, s37
	v_cndmask_b32_e64 v43, -1, v37, s37
	v_cmp_gt_i64_e64 s37, 0, v[37:38]
	v_lshrrev_b64 v[43:44], s63, v[43:44]
	v_cndmask_b32_e64 v45, 0x7fffffff, 0, s37
	v_and_b32_e32 v3, s65, v43
	v_ashrrev_i32_e32 v43, 31, v38
	v_xor_b32_e32 v38, v45, v38
	v_lshlrev_b32_e32 v3, 2, v3
	v_not_b32_e32 v46, v43
	ds_read_b32 v3, v3
	v_xor_b32_e32 v37, v46, v37
	s_waitcnt lgkmcnt(0)
	v_add_nc_u32_e32 v3, v3, v88
	v_lshlrev_b64 v[43:44], 3, v[3:4]
	v_add_co_u32 v43, s37, s44, v43
	v_add_co_ci_u32_e64 v44, null, s45, v44, s37
	global_store_dwordx2 v[43:44], v[37:38], off
	s_or_b32 exec_lo, exec_lo, s38
	v_cmp_lt_u32_e64 s37, v89, v167
	s_and_saveexec_b32 s39, s37
	s_cbranch_execz .LBB1148_493
.LBB1148_561:                           ;   in Loop: Header=BB1148_398 Depth=2
	ds_read_b64 v[37:38], v106 offset:29184
	s_waitcnt lgkmcnt(0)
	v_cmp_ne_u64_e64 s38, s[56:57], v[37:38]
	v_cndmask_b32_e64 v44, 0x7fffffff, v38, s38
	v_cndmask_b32_e64 v43, -1, v37, s38
	v_cmp_gt_i64_e64 s38, 0, v[37:38]
	v_lshrrev_b64 v[43:44], s63, v[43:44]
	v_cndmask_b32_e64 v45, 0x7fffffff, 0, s38
	v_and_b32_e32 v3, s65, v43
	v_ashrrev_i32_e32 v43, 31, v38
	v_xor_b32_e32 v38, v45, v38
	v_lshlrev_b32_e32 v3, 2, v3
	v_not_b32_e32 v46, v43
	ds_read_b32 v3, v3
	v_xor_b32_e32 v37, v46, v37
	s_waitcnt lgkmcnt(0)
	v_add_nc_u32_e32 v3, v3, v89
	v_lshlrev_b64 v[43:44], 3, v[3:4]
	v_add_co_u32 v43, s38, s44, v43
	v_add_co_ci_u32_e64 v44, null, s45, v44, s38
	global_store_dwordx2 v[43:44], v[37:38], off
	s_or_b32 exec_lo, exec_lo, s39
	v_cmp_lt_u32_e64 s38, v90, v167
	s_and_saveexec_b32 s47, s38
	s_cbranch_execnz .LBB1148_494
	s_branch .LBB1148_495
.LBB1148_562:                           ;   in Loop: Header=BB1148_398 Depth=2
	global_load_dwordx2 v[35:36], v[37:38], off
	s_or_b32 exec_lo, exec_lo, s39
	s_mov_b32 s46, exec_lo
	v_cmpx_lt_u32_e64 v131, v167
	s_cbranch_execz .LBB1148_497
.LBB1148_563:                           ;   in Loop: Header=BB1148_398 Depth=2
	global_load_dwordx2 v[33:34], v[37:38], off offset:256
	s_or_b32 exec_lo, exec_lo, s46
	s_mov_b32 s46, exec_lo
	v_cmpx_lt_u32_e64 v132, v167
	s_cbranch_execz .LBB1148_498
.LBB1148_564:                           ;   in Loop: Header=BB1148_398 Depth=2
	global_load_dwordx2 v[31:32], v[37:38], off offset:512
	s_or_b32 exec_lo, exec_lo, s46
	s_mov_b32 s46, exec_lo
	v_cmpx_lt_u32_e64 v133, v167
	s_cbranch_execz .LBB1148_499
.LBB1148_565:                           ;   in Loop: Header=BB1148_398 Depth=2
	global_load_dwordx2 v[29:30], v[37:38], off offset:768
	s_or_b32 exec_lo, exec_lo, s46
	s_mov_b32 s46, exec_lo
	v_cmpx_lt_u32_e64 v134, v167
	s_cbranch_execz .LBB1148_500
.LBB1148_566:                           ;   in Loop: Header=BB1148_398 Depth=2
	global_load_dwordx2 v[27:28], v[37:38], off offset:1024
	s_or_b32 exec_lo, exec_lo, s46
	s_mov_b32 s46, exec_lo
	v_cmpx_lt_u32_e64 v135, v167
	s_cbranch_execz .LBB1148_501
.LBB1148_567:                           ;   in Loop: Header=BB1148_398 Depth=2
	global_load_dwordx2 v[23:24], v[37:38], off offset:1280
	s_or_b32 exec_lo, exec_lo, s46
	s_mov_b32 s46, exec_lo
	v_cmpx_lt_u32_e64 v136, v167
	s_cbranch_execz .LBB1148_502
.LBB1148_568:                           ;   in Loop: Header=BB1148_398 Depth=2
	global_load_dwordx2 v[19:20], v[37:38], off offset:1536
	s_or_b32 exec_lo, exec_lo, s46
	s_mov_b32 s46, exec_lo
	v_cmpx_lt_u32_e64 v137, v167
	s_cbranch_execz .LBB1148_503
.LBB1148_569:                           ;   in Loop: Header=BB1148_398 Depth=2
	global_load_dwordx2 v[15:16], v[37:38], off offset:1792
	s_or_b32 exec_lo, exec_lo, s46
	s_mov_b32 s46, exec_lo
	v_cmpx_lt_u32_e64 v138, v167
	s_cbranch_execz .LBB1148_504
.LBB1148_570:                           ;   in Loop: Header=BB1148_398 Depth=2
	v_add_co_u32 v25, s39, 0x800, v37
	v_add_co_ci_u32_e64 v26, null, 0, v38, s39
	global_load_dwordx2 v[25:26], v[25:26], off
	s_or_b32 exec_lo, exec_lo, s46
	s_mov_b32 s46, exec_lo
	v_cmpx_lt_u32_e64 v139, v167
	s_cbranch_execz .LBB1148_505
.LBB1148_571:                           ;   in Loop: Header=BB1148_398 Depth=2
	v_add_co_u32 v21, s39, 0x800, v37
	v_add_co_ci_u32_e64 v22, null, 0, v38, s39
	global_load_dwordx2 v[21:22], v[21:22], off offset:256
	s_or_b32 exec_lo, exec_lo, s46
	s_mov_b32 s46, exec_lo
	v_cmpx_lt_u32_e64 v140, v167
	s_cbranch_execz .LBB1148_506
.LBB1148_572:                           ;   in Loop: Header=BB1148_398 Depth=2
	v_add_co_u32 v17, s39, 0x800, v37
	v_add_co_ci_u32_e64 v18, null, 0, v38, s39
	global_load_dwordx2 v[17:18], v[17:18], off offset:512
	s_or_b32 exec_lo, exec_lo, s46
	s_mov_b32 s46, exec_lo
	v_cmpx_lt_u32_e64 v141, v167
	s_cbranch_execz .LBB1148_507
.LBB1148_573:                           ;   in Loop: Header=BB1148_398 Depth=2
	v_add_co_u32 v13, s39, 0x800, v37
	v_add_co_ci_u32_e64 v14, null, 0, v38, s39
	global_load_dwordx2 v[13:14], v[13:14], off offset:768
	s_or_b32 exec_lo, exec_lo, s46
	s_mov_b32 s46, exec_lo
	v_cmpx_lt_u32_e64 v142, v167
	s_cbranch_execz .LBB1148_508
.LBB1148_574:                           ;   in Loop: Header=BB1148_398 Depth=2
	v_add_co_u32 v11, s39, 0x800, v37
	v_add_co_ci_u32_e64 v12, null, 0, v38, s39
	global_load_dwordx2 v[11:12], v[11:12], off offset:1024
	s_or_b32 exec_lo, exec_lo, s46
	s_mov_b32 s46, exec_lo
	v_cmpx_lt_u32_e64 v143, v167
	s_cbranch_execz .LBB1148_509
.LBB1148_575:                           ;   in Loop: Header=BB1148_398 Depth=2
	v_add_co_u32 v9, s39, 0x800, v37
	v_add_co_ci_u32_e64 v10, null, 0, v38, s39
	global_load_dwordx2 v[9:10], v[9:10], off offset:1280
	s_or_b32 exec_lo, exec_lo, s46
	s_mov_b32 s46, exec_lo
	v_cmpx_lt_u32_e64 v144, v167
	s_cbranch_execz .LBB1148_510
.LBB1148_576:                           ;   in Loop: Header=BB1148_398 Depth=2
	v_add_co_u32 v7, s39, 0x800, v37
	v_add_co_ci_u32_e64 v8, null, 0, v38, s39
	global_load_dwordx2 v[7:8], v[7:8], off offset:1536
	s_or_b32 exec_lo, exec_lo, s46
	s_mov_b32 s46, exec_lo
	v_cmpx_lt_u32_e64 v145, v167
	s_cbranch_execz .LBB1148_511
.LBB1148_577:                           ;   in Loop: Header=BB1148_398 Depth=2
	v_add_co_u32 v5, s39, 0x800, v37
	v_add_co_ci_u32_e64 v6, null, 0, v38, s39
	global_load_dwordx2 v[5:6], v[5:6], off offset:1792
	s_or_b32 exec_lo, exec_lo, s46
	s_and_saveexec_b32 s46, vcc_lo
	s_cbranch_execz .LBB1148_512
.LBB1148_578:                           ;   in Loop: Header=BB1148_398 Depth=2
	ds_read_b64 v[37:38], v106 offset:512
	s_waitcnt lgkmcnt(0)
	v_cmp_ne_u64_e64 s39, s[56:57], v[37:38]
	v_cndmask_b32_e64 v38, 0x7fffffff, v38, s39
	v_cndmask_b32_e64 v37, -1, v37, s39
	v_lshrrev_b64 v[37:38], s63, v[37:38]
	v_and_b32_e32 v165, s65, v37
	s_or_b32 exec_lo, exec_lo, s46
	s_and_saveexec_b32 s46, s23
	s_cbranch_execz .LBB1148_513
.LBB1148_579:                           ;   in Loop: Header=BB1148_398 Depth=2
	ds_read_b64 v[37:38], v106 offset:2560
	s_waitcnt lgkmcnt(0)
	v_cmp_ne_u64_e64 s39, s[56:57], v[37:38]
	v_cndmask_b32_e64 v38, 0x7fffffff, v38, s39
	v_cndmask_b32_e64 v37, -1, v37, s39
	v_lshrrev_b64 v[37:38], s63, v[37:38]
	v_and_b32_e32 v164, s65, v37
	s_or_b32 exec_lo, exec_lo, s46
	s_and_saveexec_b32 s46, s24
	s_cbranch_execz .LBB1148_514
.LBB1148_580:                           ;   in Loop: Header=BB1148_398 Depth=2
	ds_read_b64 v[37:38], v106 offset:4608
	s_waitcnt lgkmcnt(0)
	v_cmp_ne_u64_e64 s39, s[56:57], v[37:38]
	v_cndmask_b32_e64 v38, 0x7fffffff, v38, s39
	v_cndmask_b32_e64 v37, -1, v37, s39
	v_lshrrev_b64 v[37:38], s63, v[37:38]
	v_and_b32_e32 v163, s65, v37
	s_or_b32 exec_lo, exec_lo, s46
	s_and_saveexec_b32 s46, s25
	s_cbranch_execz .LBB1148_515
.LBB1148_581:                           ;   in Loop: Header=BB1148_398 Depth=2
	ds_read_b64 v[37:38], v106 offset:6656
	s_waitcnt lgkmcnt(0)
	v_cmp_ne_u64_e64 s39, s[56:57], v[37:38]
	v_cndmask_b32_e64 v38, 0x7fffffff, v38, s39
	v_cndmask_b32_e64 v37, -1, v37, s39
	v_lshrrev_b64 v[37:38], s63, v[37:38]
	v_and_b32_e32 v162, s65, v37
	s_or_b32 exec_lo, exec_lo, s46
	s_and_saveexec_b32 s46, s26
	s_cbranch_execz .LBB1148_516
.LBB1148_582:                           ;   in Loop: Header=BB1148_398 Depth=2
	ds_read_b64 v[37:38], v106 offset:8704
	s_waitcnt lgkmcnt(0)
	v_cmp_ne_u64_e64 s39, s[56:57], v[37:38]
	v_cndmask_b32_e64 v38, 0x7fffffff, v38, s39
	v_cndmask_b32_e64 v37, -1, v37, s39
	v_lshrrev_b64 v[37:38], s63, v[37:38]
	v_and_b32_e32 v161, s65, v37
	s_or_b32 exec_lo, exec_lo, s46
	s_and_saveexec_b32 s46, s27
	s_cbranch_execz .LBB1148_517
.LBB1148_583:                           ;   in Loop: Header=BB1148_398 Depth=2
	ds_read_b64 v[37:38], v106 offset:10752
	s_waitcnt lgkmcnt(0)
	v_cmp_ne_u64_e64 s39, s[56:57], v[37:38]
	v_cndmask_b32_e64 v38, 0x7fffffff, v38, s39
	v_cndmask_b32_e64 v37, -1, v37, s39
	v_lshrrev_b64 v[37:38], s63, v[37:38]
	v_and_b32_e32 v160, s65, v37
	s_or_b32 exec_lo, exec_lo, s46
	s_and_saveexec_b32 s46, s28
	s_cbranch_execz .LBB1148_518
.LBB1148_584:                           ;   in Loop: Header=BB1148_398 Depth=2
	ds_read_b64 v[37:38], v106 offset:12800
	s_waitcnt lgkmcnt(0)
	v_cmp_ne_u64_e64 s39, s[56:57], v[37:38]
	v_cndmask_b32_e64 v38, 0x7fffffff, v38, s39
	v_cndmask_b32_e64 v37, -1, v37, s39
	v_lshrrev_b64 v[37:38], s63, v[37:38]
	v_and_b32_e32 v159, s65, v37
	s_or_b32 exec_lo, exec_lo, s46
	s_and_saveexec_b32 s46, s29
	s_cbranch_execz .LBB1148_519
.LBB1148_585:                           ;   in Loop: Header=BB1148_398 Depth=2
	ds_read_b64 v[37:38], v106 offset:14848
	s_waitcnt lgkmcnt(0)
	v_cmp_ne_u64_e64 s39, s[56:57], v[37:38]
	v_cndmask_b32_e64 v38, 0x7fffffff, v38, s39
	v_cndmask_b32_e64 v37, -1, v37, s39
	v_lshrrev_b64 v[37:38], s63, v[37:38]
	v_and_b32_e32 v158, s65, v37
	s_or_b32 exec_lo, exec_lo, s46
	s_and_saveexec_b32 s46, s30
	s_cbranch_execz .LBB1148_520
.LBB1148_586:                           ;   in Loop: Header=BB1148_398 Depth=2
	ds_read_b64 v[37:38], v106 offset:16896
	s_waitcnt lgkmcnt(0)
	v_cmp_ne_u64_e64 s39, s[56:57], v[37:38]
	v_cndmask_b32_e64 v38, 0x7fffffff, v38, s39
	v_cndmask_b32_e64 v37, -1, v37, s39
	v_lshrrev_b64 v[37:38], s63, v[37:38]
	v_and_b32_e32 v157, s65, v37
	s_or_b32 exec_lo, exec_lo, s46
	s_and_saveexec_b32 s46, s31
	s_cbranch_execz .LBB1148_521
.LBB1148_587:                           ;   in Loop: Header=BB1148_398 Depth=2
	ds_read_b64 v[37:38], v106 offset:18944
	s_waitcnt lgkmcnt(0)
	v_cmp_ne_u64_e64 s39, s[56:57], v[37:38]
	v_cndmask_b32_e64 v38, 0x7fffffff, v38, s39
	v_cndmask_b32_e64 v37, -1, v37, s39
	v_lshrrev_b64 v[37:38], s63, v[37:38]
	v_and_b32_e32 v155, s65, v37
	s_or_b32 exec_lo, exec_lo, s46
	s_and_saveexec_b32 s46, s33
	s_cbranch_execz .LBB1148_522
.LBB1148_588:                           ;   in Loop: Header=BB1148_398 Depth=2
	ds_read_b64 v[37:38], v106 offset:20992
	s_waitcnt lgkmcnt(0)
	v_cmp_ne_u64_e64 s39, s[56:57], v[37:38]
	v_cndmask_b32_e64 v38, 0x7fffffff, v38, s39
	v_cndmask_b32_e64 v37, -1, v37, s39
	v_lshrrev_b64 v[37:38], s63, v[37:38]
	v_and_b32_e32 v154, s65, v37
	s_or_b32 exec_lo, exec_lo, s46
	s_and_saveexec_b32 s46, s34
	s_cbranch_execz .LBB1148_523
.LBB1148_589:                           ;   in Loop: Header=BB1148_398 Depth=2
	ds_read_b64 v[37:38], v106 offset:23040
	s_waitcnt lgkmcnt(0)
	v_cmp_ne_u64_e64 s39, s[56:57], v[37:38]
	v_cndmask_b32_e64 v38, 0x7fffffff, v38, s39
	v_cndmask_b32_e64 v37, -1, v37, s39
	v_lshrrev_b64 v[37:38], s63, v[37:38]
	v_and_b32_e32 v153, s65, v37
	s_or_b32 exec_lo, exec_lo, s46
	s_and_saveexec_b32 s46, s35
	s_cbranch_execz .LBB1148_524
.LBB1148_590:                           ;   in Loop: Header=BB1148_398 Depth=2
	ds_read_b64 v[37:38], v106 offset:25088
	s_waitcnt lgkmcnt(0)
	v_cmp_ne_u64_e64 s39, s[56:57], v[37:38]
	v_cndmask_b32_e64 v38, 0x7fffffff, v38, s39
	v_cndmask_b32_e64 v37, -1, v37, s39
	v_lshrrev_b64 v[37:38], s63, v[37:38]
	v_and_b32_e32 v152, s65, v37
	s_or_b32 exec_lo, exec_lo, s46
	s_and_saveexec_b32 s46, s36
	s_cbranch_execz .LBB1148_525
.LBB1148_591:                           ;   in Loop: Header=BB1148_398 Depth=2
	ds_read_b64 v[37:38], v106 offset:27136
	s_waitcnt lgkmcnt(0)
	v_cmp_ne_u64_e64 s39, s[56:57], v[37:38]
	v_cndmask_b32_e64 v38, 0x7fffffff, v38, s39
	v_cndmask_b32_e64 v37, -1, v37, s39
	v_lshrrev_b64 v[37:38], s63, v[37:38]
	v_and_b32_e32 v151, s65, v37
	s_or_b32 exec_lo, exec_lo, s46
	s_and_saveexec_b32 s46, s37
	s_cbranch_execz .LBB1148_526
.LBB1148_592:                           ;   in Loop: Header=BB1148_398 Depth=2
	ds_read_b64 v[37:38], v106 offset:29184
	s_waitcnt lgkmcnt(0)
	v_cmp_ne_u64_e64 s39, s[56:57], v[37:38]
	v_cndmask_b32_e64 v38, 0x7fffffff, v38, s39
	v_cndmask_b32_e64 v37, -1, v37, s39
	v_lshrrev_b64 v[37:38], s63, v[37:38]
	v_and_b32_e32 v150, s65, v37
	s_or_b32 exec_lo, exec_lo, s46
	s_and_saveexec_b32 s46, s38
	s_cbranch_execnz .LBB1148_527
	s_branch .LBB1148_528
.LBB1148_593:                           ;   in Loop: Header=BB1148_398 Depth=2
	v_lshlrev_b32_e32 v3, 2, v165
	ds_read_b32 v3, v3
	ds_read_b64 v[37:38], v106 offset:512
	s_waitcnt lgkmcnt(1)
	v_add_nc_u32_e32 v3, v3, v0
	v_lshlrev_b64 v[39:40], 3, v[3:4]
	v_add_co_u32 v39, vcc_lo, s50, v39
	v_add_co_ci_u32_e64 v40, null, s51, v40, vcc_lo
	s_waitcnt lgkmcnt(0)
	global_store_dwordx2 v[39:40], v[37:38], off
	s_or_b32 exec_lo, exec_lo, s39
	s_and_saveexec_b32 s39, s23
	s_cbranch_execz .LBB1148_530
.LBB1148_594:                           ;   in Loop: Header=BB1148_398 Depth=2
	v_lshlrev_b32_e32 v3, 2, v164
	ds_read_b32 v3, v3
	ds_read_b64 v[37:38], v106 offset:2560
	s_waitcnt lgkmcnt(1)
	v_add_nc_u32_e32 v3, v3, v74
	v_lshlrev_b64 v[39:40], 3, v[3:4]
	v_add_co_u32 v39, vcc_lo, s50, v39
	v_add_co_ci_u32_e64 v40, null, s51, v40, vcc_lo
	s_waitcnt lgkmcnt(0)
	global_store_dwordx2 v[39:40], v[37:38], off
	s_or_b32 exec_lo, exec_lo, s39
	s_and_saveexec_b32 s23, s24
	s_cbranch_execz .LBB1148_531
.LBB1148_595:                           ;   in Loop: Header=BB1148_398 Depth=2
	v_lshlrev_b32_e32 v3, 2, v163
	ds_read_b32 v3, v3
	ds_read_b64 v[37:38], v106 offset:4608
	s_waitcnt lgkmcnt(1)
	v_add_nc_u32_e32 v3, v3, v77
	v_lshlrev_b64 v[39:40], 3, v[3:4]
	v_add_co_u32 v39, vcc_lo, s50, v39
	v_add_co_ci_u32_e64 v40, null, s51, v40, vcc_lo
	s_waitcnt lgkmcnt(0)
	global_store_dwordx2 v[39:40], v[37:38], off
	s_or_b32 exec_lo, exec_lo, s23
	s_and_saveexec_b32 s23, s25
	s_cbranch_execz .LBB1148_532
.LBB1148_596:                           ;   in Loop: Header=BB1148_398 Depth=2
	v_lshlrev_b32_e32 v3, 2, v162
	ds_read_b32 v3, v3
	ds_read_b64 v[37:38], v106 offset:6656
	s_waitcnt lgkmcnt(1)
	v_add_nc_u32_e32 v3, v3, v78
	v_lshlrev_b64 v[39:40], 3, v[3:4]
	v_add_co_u32 v39, vcc_lo, s50, v39
	v_add_co_ci_u32_e64 v40, null, s51, v40, vcc_lo
	s_waitcnt lgkmcnt(0)
	global_store_dwordx2 v[39:40], v[37:38], off
	s_or_b32 exec_lo, exec_lo, s23
	s_and_saveexec_b32 s23, s26
	s_cbranch_execz .LBB1148_533
.LBB1148_597:                           ;   in Loop: Header=BB1148_398 Depth=2
	v_lshlrev_b32_e32 v3, 2, v161
	ds_read_b32 v3, v3
	ds_read_b64 v[37:38], v106 offset:8704
	s_waitcnt lgkmcnt(1)
	v_add_nc_u32_e32 v3, v3, v79
	v_lshlrev_b64 v[39:40], 3, v[3:4]
	v_add_co_u32 v39, vcc_lo, s50, v39
	v_add_co_ci_u32_e64 v40, null, s51, v40, vcc_lo
	s_waitcnt lgkmcnt(0)
	global_store_dwordx2 v[39:40], v[37:38], off
	s_or_b32 exec_lo, exec_lo, s23
	s_and_saveexec_b32 s23, s27
	s_cbranch_execz .LBB1148_534
.LBB1148_598:                           ;   in Loop: Header=BB1148_398 Depth=2
	v_lshlrev_b32_e32 v3, 2, v160
	ds_read_b32 v3, v3
	ds_read_b64 v[37:38], v106 offset:10752
	s_waitcnt lgkmcnt(1)
	v_add_nc_u32_e32 v3, v3, v80
	v_lshlrev_b64 v[39:40], 3, v[3:4]
	v_add_co_u32 v39, vcc_lo, s50, v39
	v_add_co_ci_u32_e64 v40, null, s51, v40, vcc_lo
	s_waitcnt lgkmcnt(0)
	global_store_dwordx2 v[39:40], v[37:38], off
	s_or_b32 exec_lo, exec_lo, s23
	s_and_saveexec_b32 s23, s28
	s_cbranch_execz .LBB1148_535
.LBB1148_599:                           ;   in Loop: Header=BB1148_398 Depth=2
	v_lshlrev_b32_e32 v3, 2, v159
	ds_read_b32 v3, v3
	ds_read_b64 v[37:38], v106 offset:12800
	s_waitcnt lgkmcnt(1)
	v_add_nc_u32_e32 v3, v3, v81
	v_lshlrev_b64 v[39:40], 3, v[3:4]
	v_add_co_u32 v39, vcc_lo, s50, v39
	v_add_co_ci_u32_e64 v40, null, s51, v40, vcc_lo
	s_waitcnt lgkmcnt(0)
	global_store_dwordx2 v[39:40], v[37:38], off
	s_or_b32 exec_lo, exec_lo, s23
	s_and_saveexec_b32 s23, s29
	s_cbranch_execz .LBB1148_536
.LBB1148_600:                           ;   in Loop: Header=BB1148_398 Depth=2
	v_lshlrev_b32_e32 v3, 2, v158
	ds_read_b32 v3, v3
	ds_read_b64 v[37:38], v106 offset:14848
	s_waitcnt lgkmcnt(1)
	v_add_nc_u32_e32 v3, v3, v82
	v_lshlrev_b64 v[39:40], 3, v[3:4]
	v_add_co_u32 v39, vcc_lo, s50, v39
	v_add_co_ci_u32_e64 v40, null, s51, v40, vcc_lo
	s_waitcnt lgkmcnt(0)
	global_store_dwordx2 v[39:40], v[37:38], off
	s_or_b32 exec_lo, exec_lo, s23
	s_and_saveexec_b32 s23, s30
	s_cbranch_execz .LBB1148_537
.LBB1148_601:                           ;   in Loop: Header=BB1148_398 Depth=2
	v_lshlrev_b32_e32 v3, 2, v157
	ds_read_b32 v3, v3
	ds_read_b64 v[37:38], v106 offset:16896
	s_waitcnt lgkmcnt(1)
	v_add_nc_u32_e32 v3, v3, v83
	v_lshlrev_b64 v[39:40], 3, v[3:4]
	v_add_co_u32 v39, vcc_lo, s50, v39
	v_add_co_ci_u32_e64 v40, null, s51, v40, vcc_lo
	s_waitcnt lgkmcnt(0)
	global_store_dwordx2 v[39:40], v[37:38], off
	s_or_b32 exec_lo, exec_lo, s23
	s_and_saveexec_b32 s23, s31
	s_cbranch_execz .LBB1148_538
.LBB1148_602:                           ;   in Loop: Header=BB1148_398 Depth=2
	v_lshlrev_b32_e32 v3, 2, v155
	ds_read_b32 v3, v3
	ds_read_b64 v[37:38], v106 offset:18944
	s_waitcnt lgkmcnt(1)
	v_add_nc_u32_e32 v3, v3, v84
	v_lshlrev_b64 v[39:40], 3, v[3:4]
	v_add_co_u32 v39, vcc_lo, s50, v39
	v_add_co_ci_u32_e64 v40, null, s51, v40, vcc_lo
	s_waitcnt lgkmcnt(0)
	global_store_dwordx2 v[39:40], v[37:38], off
	s_or_b32 exec_lo, exec_lo, s23
	s_and_saveexec_b32 s23, s33
	s_cbranch_execz .LBB1148_539
.LBB1148_603:                           ;   in Loop: Header=BB1148_398 Depth=2
	v_lshlrev_b32_e32 v3, 2, v154
	ds_read_b32 v3, v3
	ds_read_b64 v[37:38], v106 offset:20992
	s_waitcnt lgkmcnt(1)
	v_add_nc_u32_e32 v3, v3, v85
	v_lshlrev_b64 v[39:40], 3, v[3:4]
	v_add_co_u32 v39, vcc_lo, s50, v39
	v_add_co_ci_u32_e64 v40, null, s51, v40, vcc_lo
	s_waitcnt lgkmcnt(0)
	global_store_dwordx2 v[39:40], v[37:38], off
	s_or_b32 exec_lo, exec_lo, s23
	s_and_saveexec_b32 s23, s34
	s_cbranch_execz .LBB1148_540
.LBB1148_604:                           ;   in Loop: Header=BB1148_398 Depth=2
	v_lshlrev_b32_e32 v3, 2, v153
	ds_read_b32 v3, v3
	ds_read_b64 v[37:38], v106 offset:23040
	s_waitcnt lgkmcnt(1)
	v_add_nc_u32_e32 v3, v3, v86
	v_lshlrev_b64 v[39:40], 3, v[3:4]
	v_add_co_u32 v39, vcc_lo, s50, v39
	v_add_co_ci_u32_e64 v40, null, s51, v40, vcc_lo
	s_waitcnt lgkmcnt(0)
	global_store_dwordx2 v[39:40], v[37:38], off
	s_or_b32 exec_lo, exec_lo, s23
	s_and_saveexec_b32 s23, s35
	s_cbranch_execz .LBB1148_541
.LBB1148_605:                           ;   in Loop: Header=BB1148_398 Depth=2
	v_lshlrev_b32_e32 v3, 2, v152
	ds_read_b32 v3, v3
	ds_read_b64 v[37:38], v106 offset:25088
	s_waitcnt lgkmcnt(1)
	v_add_nc_u32_e32 v3, v3, v87
	v_lshlrev_b64 v[39:40], 3, v[3:4]
	v_add_co_u32 v39, vcc_lo, s50, v39
	v_add_co_ci_u32_e64 v40, null, s51, v40, vcc_lo
	s_waitcnt lgkmcnt(0)
	global_store_dwordx2 v[39:40], v[37:38], off
	s_or_b32 exec_lo, exec_lo, s23
	s_and_saveexec_b32 s23, s36
	s_cbranch_execz .LBB1148_542
.LBB1148_606:                           ;   in Loop: Header=BB1148_398 Depth=2
	v_lshlrev_b32_e32 v3, 2, v151
	ds_read_b32 v3, v3
	ds_read_b64 v[37:38], v106 offset:27136
	s_waitcnt lgkmcnt(1)
	v_add_nc_u32_e32 v3, v3, v88
	v_lshlrev_b64 v[39:40], 3, v[3:4]
	v_add_co_u32 v39, vcc_lo, s50, v39
	v_add_co_ci_u32_e64 v40, null, s51, v40, vcc_lo
	s_waitcnt lgkmcnt(0)
	global_store_dwordx2 v[39:40], v[37:38], off
	s_or_b32 exec_lo, exec_lo, s23
	s_and_saveexec_b32 s23, s37
	s_cbranch_execz .LBB1148_543
.LBB1148_607:                           ;   in Loop: Header=BB1148_398 Depth=2
	v_lshlrev_b32_e32 v3, 2, v150
	ds_read_b32 v3, v3
	ds_read_b64 v[37:38], v106 offset:29184
	s_waitcnt lgkmcnt(1)
	v_add_nc_u32_e32 v3, v3, v89
	v_lshlrev_b64 v[39:40], 3, v[3:4]
	v_add_co_u32 v39, vcc_lo, s50, v39
	v_add_co_ci_u32_e64 v40, null, s51, v40, vcc_lo
	s_waitcnt lgkmcnt(0)
	global_store_dwordx2 v[39:40], v[37:38], off
	s_or_b32 exec_lo, exec_lo, s23
	s_and_saveexec_b32 s23, s38
	s_cbranch_execnz .LBB1148_544
	s_branch .LBB1148_545
.LBB1148_608:                           ;   in Loop: Header=BB1148_20 Depth=1
	s_waitcnt lgkmcnt(0)
	s_barrier
.LBB1148_609:                           ;   in Loop: Header=BB1148_20 Depth=1
	s_mov_b32 s14, 0
.LBB1148_610:                           ;   in Loop: Header=BB1148_20 Depth=1
	s_andn2_b32 vcc_lo, exec_lo, s14
	s_cbranch_vccnz .LBB1148_19
; %bb.611:                              ;   in Loop: Header=BB1148_20 Depth=1
	s_lshl_b32 s14, -1, s64
	s_and_b32 vcc_lo, exec_lo, s55
	s_not_b32 s64, s14
	s_mov_b32 s14, -1
	s_cbranch_vccz .LBB1148_905
; %bb.612:                              ;   in Loop: Header=BB1148_20 Depth=1
	s_mov_b32 s16, s62
	s_mov_b32 s14, s60
	s_barrier
	buffer_gl0_inv
                                        ; implicit-def: $vgpr5_vgpr6
                                        ; implicit-def: $vgpr7_vgpr8
                                        ; implicit-def: $vgpr9_vgpr10
                                        ; implicit-def: $vgpr11_vgpr12
                                        ; implicit-def: $vgpr13_vgpr14
                                        ; implicit-def: $vgpr15_vgpr16
                                        ; implicit-def: $vgpr17_vgpr18
                                        ; implicit-def: $vgpr19_vgpr20
                                        ; implicit-def: $vgpr21_vgpr22
                                        ; implicit-def: $vgpr23_vgpr24
                                        ; implicit-def: $vgpr25_vgpr26
                                        ; implicit-def: $vgpr27_vgpr28
                                        ; implicit-def: $vgpr29_vgpr30
                                        ; implicit-def: $vgpr31_vgpr32
                                        ; implicit-def: $vgpr33_vgpr34
                                        ; implicit-def: $vgpr35_vgpr36
	s_branch .LBB1148_614
.LBB1148_613:                           ;   in Loop: Header=BB1148_614 Depth=2
	s_or_b32 exec_lo, exec_lo, s14
	s_addk_i32 s16, 0xf000
	s_cmp_ge_u32 s17, s61
	s_mov_b32 s14, s17
	s_cbranch_scc1 .LBB1148_682
.LBB1148_614:                           ;   Parent Loop BB1148_20 Depth=1
                                        ; =>  This Inner Loop Header: Depth=2
	s_add_i32 s17, s14, 0x1000
	s_mov_b32 s15, -1
	s_cmp_gt_u32 s17, s61
                                        ; implicit-def: $vgpr47_vgpr48
                                        ; implicit-def: $vgpr51_vgpr52
                                        ; implicit-def: $vgpr55_vgpr56
                                        ; implicit-def: $vgpr37_vgpr38
                                        ; implicit-def: $vgpr39_vgpr40
                                        ; implicit-def: $vgpr41_vgpr42
                                        ; implicit-def: $vgpr43_vgpr44
                                        ; implicit-def: $vgpr45_vgpr46
                                        ; implicit-def: $vgpr49_vgpr50
                                        ; implicit-def: $vgpr53_vgpr54
                                        ; implicit-def: $vgpr57_vgpr58
                                        ; implicit-def: $vgpr59_vgpr60
                                        ; implicit-def: $vgpr61_vgpr62
                                        ; implicit-def: $vgpr63_vgpr64
                                        ; implicit-def: $vgpr65_vgpr66
                                        ; implicit-def: $vgpr67_vgpr68
	s_cbranch_scc1 .LBB1148_616
; %bb.615:                              ;   in Loop: Header=BB1148_614 Depth=2
	s_mov_b32 s15, s56
	s_lshl_b64 s[18:19], s[14:15], 3
	s_mov_b32 s15, 0
	v_add_co_u32 v47, vcc_lo, v113, s18
	v_add_co_ci_u32_e64 v48, null, s19, v114, vcc_lo
	v_add_co_u32 v55, vcc_lo, v47, 0x1000
	v_add_co_ci_u32_e64 v56, null, 0, v48, vcc_lo
	v_add_co_u32 v39, vcc_lo, v47, 0x2000
	v_add_co_ci_u32_e64 v40, null, 0, v48, vcc_lo
	v_add_co_u32 v43, vcc_lo, v47, 0x3000
	v_add_co_ci_u32_e64 v44, null, 0, v48, vcc_lo
	v_add_co_u32 v49, vcc_lo, v47, 0x4000
	v_add_co_ci_u32_e64 v50, null, 0, v48, vcc_lo
	v_add_co_u32 v51, vcc_lo, v47, 0x5000
	v_add_co_ci_u32_e64 v52, null, 0, v48, vcc_lo
	s_clause 0x7
	global_load_dwordx2 v[37:38], v[39:40], off offset:-2048
	global_load_dwordx2 v[39:40], v[39:40], off
	global_load_dwordx2 v[41:42], v[43:44], off offset:-2048
	global_load_dwordx2 v[43:44], v[43:44], off
	;; [unrolled: 2-line block ×4, first 2 shown]
	v_add_co_u32 v51, vcc_lo, v47, 0x6000
	v_add_co_ci_u32_e64 v52, null, 0, v48, vcc_lo
	v_add_co_u32 v65, vcc_lo, v47, 0x7000
	v_add_co_ci_u32_e64 v66, null, 0, v48, vcc_lo
	;; [unrolled: 2-line block ×3, first 2 shown]
	s_clause 0x7
	global_load_dwordx2 v[59:60], v[51:52], off offset:-2048
	global_load_dwordx2 v[61:62], v[51:52], off
	global_load_dwordx2 v[63:64], v[65:66], off offset:-2048
	global_load_dwordx2 v[65:66], v[65:66], off
	global_load_dwordx2 v[47:48], v[47:48], off
	global_load_dwordx2 v[51:52], v[55:56], off offset:-2048
	global_load_dwordx2 v[55:56], v[55:56], off
	global_load_dwordx2 v[67:68], v[67:68], off
.LBB1148_616:                           ;   in Loop: Header=BB1148_614 Depth=2
	s_andn2_b32 vcc_lo, exec_lo, s15
	s_movk_i32 s15, 0x1000
	s_cbranch_vccnz .LBB1148_635
; %bb.617:                              ;   in Loop: Header=BB1148_614 Depth=2
	s_mov_b32 s15, s56
	s_mov_b32 s18, exec_lo
	s_lshl_b64 s[14:15], s[14:15], 3
	s_add_u32 s14, s40, s14
	s_addc_u32 s15, s41, s15
	v_cmpx_gt_u32_e64 s16, v0
	s_cbranch_execnz .LBB1148_667
; %bb.618:                              ;   in Loop: Header=BB1148_614 Depth=2
	s_or_b32 exec_lo, exec_lo, s18
	s_mov_b32 s18, exec_lo
	v_cmpx_gt_u32_e64 s16, v74
	s_cbranch_execnz .LBB1148_668
.LBB1148_619:                           ;   in Loop: Header=BB1148_614 Depth=2
	s_or_b32 exec_lo, exec_lo, s18
	s_mov_b32 s18, exec_lo
	v_cmpx_gt_u32_e64 s16, v77
	s_cbranch_execnz .LBB1148_669
.LBB1148_620:                           ;   in Loop: Header=BB1148_614 Depth=2
	s_or_b32 exec_lo, exec_lo, s18
	s_mov_b32 s18, exec_lo
	v_cmpx_gt_u32_e64 s16, v78
	s_cbranch_execnz .LBB1148_670
.LBB1148_621:                           ;   in Loop: Header=BB1148_614 Depth=2
	s_or_b32 exec_lo, exec_lo, s18
	s_mov_b32 s18, exec_lo
	v_cmpx_gt_u32_e64 s16, v79
	s_cbranch_execnz .LBB1148_671
.LBB1148_622:                           ;   in Loop: Header=BB1148_614 Depth=2
	s_or_b32 exec_lo, exec_lo, s18
	s_mov_b32 s18, exec_lo
	v_cmpx_gt_u32_e64 s16, v80
	s_cbranch_execnz .LBB1148_672
.LBB1148_623:                           ;   in Loop: Header=BB1148_614 Depth=2
	s_or_b32 exec_lo, exec_lo, s18
	s_mov_b32 s18, exec_lo
	v_cmpx_gt_u32_e64 s16, v81
	s_cbranch_execnz .LBB1148_673
.LBB1148_624:                           ;   in Loop: Header=BB1148_614 Depth=2
	s_or_b32 exec_lo, exec_lo, s18
	s_mov_b32 s18, exec_lo
	v_cmpx_gt_u32_e64 s16, v82
	s_cbranch_execnz .LBB1148_674
.LBB1148_625:                           ;   in Loop: Header=BB1148_614 Depth=2
	s_or_b32 exec_lo, exec_lo, s18
	s_mov_b32 s18, exec_lo
	v_cmpx_gt_u32_e64 s16, v83
	s_cbranch_execnz .LBB1148_675
.LBB1148_626:                           ;   in Loop: Header=BB1148_614 Depth=2
	s_or_b32 exec_lo, exec_lo, s18
	s_mov_b32 s18, exec_lo
	v_cmpx_gt_u32_e64 s16, v84
	s_cbranch_execnz .LBB1148_676
.LBB1148_627:                           ;   in Loop: Header=BB1148_614 Depth=2
	s_or_b32 exec_lo, exec_lo, s18
	s_mov_b32 s18, exec_lo
	v_cmpx_gt_u32_e64 s16, v85
	s_cbranch_execnz .LBB1148_677
.LBB1148_628:                           ;   in Loop: Header=BB1148_614 Depth=2
	s_or_b32 exec_lo, exec_lo, s18
	s_mov_b32 s18, exec_lo
	v_cmpx_gt_u32_e64 s16, v86
	s_cbranch_execnz .LBB1148_678
.LBB1148_629:                           ;   in Loop: Header=BB1148_614 Depth=2
	s_or_b32 exec_lo, exec_lo, s18
	s_mov_b32 s18, exec_lo
	v_cmpx_gt_u32_e64 s16, v87
	s_cbranch_execnz .LBB1148_679
.LBB1148_630:                           ;   in Loop: Header=BB1148_614 Depth=2
	s_or_b32 exec_lo, exec_lo, s18
	s_mov_b32 s18, exec_lo
	v_cmpx_gt_u32_e64 s16, v88
	s_cbranch_execnz .LBB1148_680
.LBB1148_631:                           ;   in Loop: Header=BB1148_614 Depth=2
	s_or_b32 exec_lo, exec_lo, s18
	s_mov_b32 s18, exec_lo
	v_cmpx_gt_u32_e64 s16, v89
	s_cbranch_execnz .LBB1148_681
.LBB1148_632:                           ;   in Loop: Header=BB1148_614 Depth=2
	s_or_b32 exec_lo, exec_lo, s18
	s_mov_b32 s18, exec_lo
	v_cmpx_gt_u32_e64 s16, v90
	s_cbranch_execz .LBB1148_634
.LBB1148_633:                           ;   in Loop: Header=BB1148_614 Depth=2
	v_lshlrev_b32_e32 v3, 3, v90
	global_load_dwordx2 v[5:6], v3, s[14:15]
.LBB1148_634:                           ;   in Loop: Header=BB1148_614 Depth=2
	s_or_b32 exec_lo, exec_lo, s18
	s_waitcnt vmcnt(0)
	v_mov_b32_e32 v48, v36
	v_mov_b32_e32 v52, v34
	;; [unrolled: 1-line block ×32, first 2 shown]
	s_mov_b32 s15, s16
.LBB1148_635:                           ;   in Loop: Header=BB1148_614 Depth=2
	s_waitcnt vmcnt(0)
	v_mov_b32_e32 v5, v67
	v_mov_b32_e32 v7, v65
	v_mov_b32_e32 v9, v63
	v_mov_b32_e32 v11, v61
	v_mov_b32_e32 v13, v59
	v_mov_b32_e32 v15, v57
	v_mov_b32_e32 v17, v53
	v_mov_b32_e32 v19, v49
	v_mov_b32_e32 v21, v45
	v_mov_b32_e32 v23, v43
	v_mov_b32_e32 v25, v41
	v_mov_b32_e32 v27, v39
	v_mov_b32_e32 v29, v37
	v_mov_b32_e32 v31, v55
	v_mov_b32_e32 v33, v51
	v_mov_b32_e32 v35, v47
	v_mov_b32_e32 v6, v68
	v_mov_b32_e32 v8, v66
	v_mov_b32_e32 v10, v64
	v_mov_b32_e32 v12, v62
	v_mov_b32_e32 v14, v60
	v_mov_b32_e32 v16, v58
	v_mov_b32_e32 v18, v54
	v_mov_b32_e32 v20, v50
	v_mov_b32_e32 v22, v46
	v_mov_b32_e32 v24, v44
	v_mov_b32_e32 v26, v42
	v_mov_b32_e32 v28, v40
	v_mov_b32_e32 v30, v38
	v_mov_b32_e32 v32, v56
	v_mov_b32_e32 v34, v52
	v_mov_b32_e32 v36, v48
	s_mov_b32 s14, exec_lo
	v_cmpx_gt_u32_e64 s15, v0
	s_cbranch_execnz .LBB1148_651
; %bb.636:                              ;   in Loop: Header=BB1148_614 Depth=2
	s_or_b32 exec_lo, exec_lo, s14
	s_mov_b32 s14, exec_lo
	v_cmpx_gt_u32_e64 s15, v74
	s_cbranch_execnz .LBB1148_652
.LBB1148_637:                           ;   in Loop: Header=BB1148_614 Depth=2
	s_or_b32 exec_lo, exec_lo, s14
	s_mov_b32 s14, exec_lo
	v_cmpx_gt_u32_e64 s15, v77
	s_cbranch_execnz .LBB1148_653
.LBB1148_638:                           ;   in Loop: Header=BB1148_614 Depth=2
	s_or_b32 exec_lo, exec_lo, s14
	s_mov_b32 s14, exec_lo
	v_cmpx_gt_u32_e64 s15, v78
	s_cbranch_execnz .LBB1148_654
.LBB1148_639:                           ;   in Loop: Header=BB1148_614 Depth=2
	s_or_b32 exec_lo, exec_lo, s14
	s_mov_b32 s14, exec_lo
	v_cmpx_gt_u32_e64 s15, v79
	s_cbranch_execnz .LBB1148_655
.LBB1148_640:                           ;   in Loop: Header=BB1148_614 Depth=2
	s_or_b32 exec_lo, exec_lo, s14
	s_mov_b32 s14, exec_lo
	v_cmpx_gt_u32_e64 s15, v80
	s_cbranch_execnz .LBB1148_656
.LBB1148_641:                           ;   in Loop: Header=BB1148_614 Depth=2
	s_or_b32 exec_lo, exec_lo, s14
	s_mov_b32 s14, exec_lo
	v_cmpx_gt_u32_e64 s15, v81
	s_cbranch_execnz .LBB1148_657
.LBB1148_642:                           ;   in Loop: Header=BB1148_614 Depth=2
	s_or_b32 exec_lo, exec_lo, s14
	s_mov_b32 s14, exec_lo
	v_cmpx_gt_u32_e64 s15, v82
	s_cbranch_execnz .LBB1148_658
.LBB1148_643:                           ;   in Loop: Header=BB1148_614 Depth=2
	s_or_b32 exec_lo, exec_lo, s14
	s_mov_b32 s14, exec_lo
	v_cmpx_gt_u32_e64 s15, v83
	s_cbranch_execnz .LBB1148_659
.LBB1148_644:                           ;   in Loop: Header=BB1148_614 Depth=2
	s_or_b32 exec_lo, exec_lo, s14
	s_mov_b32 s14, exec_lo
	v_cmpx_gt_u32_e64 s15, v84
	s_cbranch_execnz .LBB1148_660
.LBB1148_645:                           ;   in Loop: Header=BB1148_614 Depth=2
	s_or_b32 exec_lo, exec_lo, s14
	s_mov_b32 s14, exec_lo
	v_cmpx_gt_u32_e64 s15, v85
	s_cbranch_execnz .LBB1148_661
.LBB1148_646:                           ;   in Loop: Header=BB1148_614 Depth=2
	s_or_b32 exec_lo, exec_lo, s14
	s_mov_b32 s14, exec_lo
	v_cmpx_gt_u32_e64 s15, v86
	s_cbranch_execnz .LBB1148_662
.LBB1148_647:                           ;   in Loop: Header=BB1148_614 Depth=2
	s_or_b32 exec_lo, exec_lo, s14
	s_mov_b32 s14, exec_lo
	v_cmpx_gt_u32_e64 s15, v87
	s_cbranch_execnz .LBB1148_663
.LBB1148_648:                           ;   in Loop: Header=BB1148_614 Depth=2
	s_or_b32 exec_lo, exec_lo, s14
	s_mov_b32 s14, exec_lo
	v_cmpx_gt_u32_e64 s15, v88
	s_cbranch_execnz .LBB1148_664
.LBB1148_649:                           ;   in Loop: Header=BB1148_614 Depth=2
	s_or_b32 exec_lo, exec_lo, s14
	s_mov_b32 s14, exec_lo
	v_cmpx_gt_u32_e64 s15, v89
	s_cbranch_execnz .LBB1148_665
.LBB1148_650:                           ;   in Loop: Header=BB1148_614 Depth=2
	s_or_b32 exec_lo, exec_lo, s14
	s_mov_b32 s14, exec_lo
	v_cmpx_gt_u32_e64 s15, v90
	s_cbranch_execz .LBB1148_613
	s_branch .LBB1148_666
.LBB1148_651:                           ;   in Loop: Header=BB1148_614 Depth=2
	v_cmp_gt_i64_e32 vcc_lo, 0, v[35:36]
	v_ashrrev_i32_e32 v3, 31, v36
	v_not_b32_e32 v3, v3
	v_cndmask_b32_e64 v37, 0x7fffffff, 0, vcc_lo
	v_xor_b32_e32 v38, v37, v36
	v_xor_b32_e32 v37, v3, v35
	v_cmp_ne_u64_e32 vcc_lo, s[56:57], v[37:38]
	v_cndmask_b32_e32 v38, 0x7fffffff, v38, vcc_lo
	v_cndmask_b32_e32 v37, -1, v37, vcc_lo
	v_lshrrev_b64 v[37:38], s52, v[37:38]
	v_and_b32_e32 v3, s64, v37
	v_lshl_or_b32 v3, v3, 4, v91
	ds_add_u32 v3, v119
	s_or_b32 exec_lo, exec_lo, s14
	s_mov_b32 s14, exec_lo
	v_cmpx_gt_u32_e64 s15, v74
	s_cbranch_execz .LBB1148_637
.LBB1148_652:                           ;   in Loop: Header=BB1148_614 Depth=2
	v_cmp_gt_i64_e32 vcc_lo, 0, v[33:34]
	v_ashrrev_i32_e32 v3, 31, v34
	v_not_b32_e32 v3, v3
	v_cndmask_b32_e64 v37, 0x7fffffff, 0, vcc_lo
	v_xor_b32_e32 v38, v37, v34
	v_xor_b32_e32 v37, v3, v33
	v_cmp_ne_u64_e32 vcc_lo, s[56:57], v[37:38]
	v_cndmask_b32_e32 v38, 0x7fffffff, v38, vcc_lo
	v_cndmask_b32_e32 v37, -1, v37, vcc_lo
	v_lshrrev_b64 v[37:38], s52, v[37:38]
	v_and_b32_e32 v3, s64, v37
	v_lshl_or_b32 v3, v3, 4, v91
	ds_add_u32 v3, v119
	s_or_b32 exec_lo, exec_lo, s14
	s_mov_b32 s14, exec_lo
	v_cmpx_gt_u32_e64 s15, v77
	s_cbranch_execz .LBB1148_638
.LBB1148_653:                           ;   in Loop: Header=BB1148_614 Depth=2
	v_cmp_gt_i64_e32 vcc_lo, 0, v[31:32]
	v_ashrrev_i32_e32 v3, 31, v32
	v_not_b32_e32 v3, v3
	v_cndmask_b32_e64 v37, 0x7fffffff, 0, vcc_lo
	v_xor_b32_e32 v38, v37, v32
	v_xor_b32_e32 v37, v3, v31
	v_cmp_ne_u64_e32 vcc_lo, s[56:57], v[37:38]
	v_cndmask_b32_e32 v38, 0x7fffffff, v38, vcc_lo
	v_cndmask_b32_e32 v37, -1, v37, vcc_lo
	v_lshrrev_b64 v[37:38], s52, v[37:38]
	v_and_b32_e32 v3, s64, v37
	v_lshl_or_b32 v3, v3, 4, v91
	ds_add_u32 v3, v119
	s_or_b32 exec_lo, exec_lo, s14
	s_mov_b32 s14, exec_lo
	v_cmpx_gt_u32_e64 s15, v78
	s_cbranch_execz .LBB1148_639
.LBB1148_654:                           ;   in Loop: Header=BB1148_614 Depth=2
	v_cmp_gt_i64_e32 vcc_lo, 0, v[29:30]
	v_ashrrev_i32_e32 v3, 31, v30
	v_not_b32_e32 v3, v3
	v_cndmask_b32_e64 v37, 0x7fffffff, 0, vcc_lo
	v_xor_b32_e32 v38, v37, v30
	v_xor_b32_e32 v37, v3, v29
	v_cmp_ne_u64_e32 vcc_lo, s[56:57], v[37:38]
	v_cndmask_b32_e32 v38, 0x7fffffff, v38, vcc_lo
	v_cndmask_b32_e32 v37, -1, v37, vcc_lo
	v_lshrrev_b64 v[37:38], s52, v[37:38]
	v_and_b32_e32 v3, s64, v37
	v_lshl_or_b32 v3, v3, 4, v91
	ds_add_u32 v3, v119
	s_or_b32 exec_lo, exec_lo, s14
	s_mov_b32 s14, exec_lo
	v_cmpx_gt_u32_e64 s15, v79
	s_cbranch_execz .LBB1148_640
.LBB1148_655:                           ;   in Loop: Header=BB1148_614 Depth=2
	v_cmp_gt_i64_e32 vcc_lo, 0, v[27:28]
	v_ashrrev_i32_e32 v3, 31, v28
	v_not_b32_e32 v3, v3
	v_cndmask_b32_e64 v37, 0x7fffffff, 0, vcc_lo
	v_xor_b32_e32 v38, v37, v28
	v_xor_b32_e32 v37, v3, v27
	v_cmp_ne_u64_e32 vcc_lo, s[56:57], v[37:38]
	v_cndmask_b32_e32 v38, 0x7fffffff, v38, vcc_lo
	v_cndmask_b32_e32 v37, -1, v37, vcc_lo
	v_lshrrev_b64 v[37:38], s52, v[37:38]
	v_and_b32_e32 v3, s64, v37
	v_lshl_or_b32 v3, v3, 4, v91
	ds_add_u32 v3, v119
	s_or_b32 exec_lo, exec_lo, s14
	s_mov_b32 s14, exec_lo
	v_cmpx_gt_u32_e64 s15, v80
	s_cbranch_execz .LBB1148_641
.LBB1148_656:                           ;   in Loop: Header=BB1148_614 Depth=2
	v_cmp_gt_i64_e32 vcc_lo, 0, v[25:26]
	v_ashrrev_i32_e32 v3, 31, v26
	v_not_b32_e32 v3, v3
	v_cndmask_b32_e64 v37, 0x7fffffff, 0, vcc_lo
	v_xor_b32_e32 v38, v37, v26
	v_xor_b32_e32 v37, v3, v25
	v_cmp_ne_u64_e32 vcc_lo, s[56:57], v[37:38]
	v_cndmask_b32_e32 v38, 0x7fffffff, v38, vcc_lo
	v_cndmask_b32_e32 v37, -1, v37, vcc_lo
	v_lshrrev_b64 v[37:38], s52, v[37:38]
	v_and_b32_e32 v3, s64, v37
	v_lshl_or_b32 v3, v3, 4, v91
	ds_add_u32 v3, v119
	s_or_b32 exec_lo, exec_lo, s14
	s_mov_b32 s14, exec_lo
	v_cmpx_gt_u32_e64 s15, v81
	s_cbranch_execz .LBB1148_642
.LBB1148_657:                           ;   in Loop: Header=BB1148_614 Depth=2
	v_cmp_gt_i64_e32 vcc_lo, 0, v[23:24]
	v_ashrrev_i32_e32 v3, 31, v24
	v_not_b32_e32 v3, v3
	v_cndmask_b32_e64 v37, 0x7fffffff, 0, vcc_lo
	v_xor_b32_e32 v38, v37, v24
	v_xor_b32_e32 v37, v3, v23
	v_cmp_ne_u64_e32 vcc_lo, s[56:57], v[37:38]
	v_cndmask_b32_e32 v38, 0x7fffffff, v38, vcc_lo
	v_cndmask_b32_e32 v37, -1, v37, vcc_lo
	v_lshrrev_b64 v[37:38], s52, v[37:38]
	v_and_b32_e32 v3, s64, v37
	v_lshl_or_b32 v3, v3, 4, v91
	ds_add_u32 v3, v119
	s_or_b32 exec_lo, exec_lo, s14
	s_mov_b32 s14, exec_lo
	v_cmpx_gt_u32_e64 s15, v82
	s_cbranch_execz .LBB1148_643
.LBB1148_658:                           ;   in Loop: Header=BB1148_614 Depth=2
	v_cmp_gt_i64_e32 vcc_lo, 0, v[21:22]
	v_ashrrev_i32_e32 v3, 31, v22
	v_not_b32_e32 v3, v3
	v_cndmask_b32_e64 v37, 0x7fffffff, 0, vcc_lo
	v_xor_b32_e32 v38, v37, v22
	v_xor_b32_e32 v37, v3, v21
	v_cmp_ne_u64_e32 vcc_lo, s[56:57], v[37:38]
	v_cndmask_b32_e32 v38, 0x7fffffff, v38, vcc_lo
	v_cndmask_b32_e32 v37, -1, v37, vcc_lo
	v_lshrrev_b64 v[37:38], s52, v[37:38]
	v_and_b32_e32 v3, s64, v37
	v_lshl_or_b32 v3, v3, 4, v91
	ds_add_u32 v3, v119
	s_or_b32 exec_lo, exec_lo, s14
	s_mov_b32 s14, exec_lo
	v_cmpx_gt_u32_e64 s15, v83
	s_cbranch_execz .LBB1148_644
.LBB1148_659:                           ;   in Loop: Header=BB1148_614 Depth=2
	v_cmp_gt_i64_e32 vcc_lo, 0, v[19:20]
	v_ashrrev_i32_e32 v3, 31, v20
	v_not_b32_e32 v3, v3
	v_cndmask_b32_e64 v37, 0x7fffffff, 0, vcc_lo
	v_xor_b32_e32 v38, v37, v20
	v_xor_b32_e32 v37, v3, v19
	v_cmp_ne_u64_e32 vcc_lo, s[56:57], v[37:38]
	v_cndmask_b32_e32 v38, 0x7fffffff, v38, vcc_lo
	v_cndmask_b32_e32 v37, -1, v37, vcc_lo
	v_lshrrev_b64 v[37:38], s52, v[37:38]
	v_and_b32_e32 v3, s64, v37
	v_lshl_or_b32 v3, v3, 4, v91
	ds_add_u32 v3, v119
	s_or_b32 exec_lo, exec_lo, s14
	s_mov_b32 s14, exec_lo
	v_cmpx_gt_u32_e64 s15, v84
	s_cbranch_execz .LBB1148_645
.LBB1148_660:                           ;   in Loop: Header=BB1148_614 Depth=2
	v_cmp_gt_i64_e32 vcc_lo, 0, v[17:18]
	v_ashrrev_i32_e32 v3, 31, v18
	v_not_b32_e32 v3, v3
	v_cndmask_b32_e64 v37, 0x7fffffff, 0, vcc_lo
	v_xor_b32_e32 v38, v37, v18
	v_xor_b32_e32 v37, v3, v17
	v_cmp_ne_u64_e32 vcc_lo, s[56:57], v[37:38]
	v_cndmask_b32_e32 v38, 0x7fffffff, v38, vcc_lo
	v_cndmask_b32_e32 v37, -1, v37, vcc_lo
	v_lshrrev_b64 v[37:38], s52, v[37:38]
	v_and_b32_e32 v3, s64, v37
	v_lshl_or_b32 v3, v3, 4, v91
	ds_add_u32 v3, v119
	s_or_b32 exec_lo, exec_lo, s14
	s_mov_b32 s14, exec_lo
	v_cmpx_gt_u32_e64 s15, v85
	s_cbranch_execz .LBB1148_646
.LBB1148_661:                           ;   in Loop: Header=BB1148_614 Depth=2
	v_cmp_gt_i64_e32 vcc_lo, 0, v[15:16]
	v_ashrrev_i32_e32 v3, 31, v16
	v_not_b32_e32 v3, v3
	v_cndmask_b32_e64 v37, 0x7fffffff, 0, vcc_lo
	v_xor_b32_e32 v38, v37, v16
	v_xor_b32_e32 v37, v3, v15
	v_cmp_ne_u64_e32 vcc_lo, s[56:57], v[37:38]
	v_cndmask_b32_e32 v38, 0x7fffffff, v38, vcc_lo
	v_cndmask_b32_e32 v37, -1, v37, vcc_lo
	v_lshrrev_b64 v[37:38], s52, v[37:38]
	v_and_b32_e32 v3, s64, v37
	v_lshl_or_b32 v3, v3, 4, v91
	ds_add_u32 v3, v119
	s_or_b32 exec_lo, exec_lo, s14
	s_mov_b32 s14, exec_lo
	v_cmpx_gt_u32_e64 s15, v86
	s_cbranch_execz .LBB1148_647
.LBB1148_662:                           ;   in Loop: Header=BB1148_614 Depth=2
	v_cmp_gt_i64_e32 vcc_lo, 0, v[13:14]
	v_ashrrev_i32_e32 v3, 31, v14
	v_not_b32_e32 v3, v3
	v_cndmask_b32_e64 v37, 0x7fffffff, 0, vcc_lo
	v_xor_b32_e32 v38, v37, v14
	v_xor_b32_e32 v37, v3, v13
	v_cmp_ne_u64_e32 vcc_lo, s[56:57], v[37:38]
	v_cndmask_b32_e32 v38, 0x7fffffff, v38, vcc_lo
	v_cndmask_b32_e32 v37, -1, v37, vcc_lo
	v_lshrrev_b64 v[37:38], s52, v[37:38]
	v_and_b32_e32 v3, s64, v37
	v_lshl_or_b32 v3, v3, 4, v91
	ds_add_u32 v3, v119
	s_or_b32 exec_lo, exec_lo, s14
	s_mov_b32 s14, exec_lo
	v_cmpx_gt_u32_e64 s15, v87
	s_cbranch_execz .LBB1148_648
.LBB1148_663:                           ;   in Loop: Header=BB1148_614 Depth=2
	v_cmp_gt_i64_e32 vcc_lo, 0, v[11:12]
	v_ashrrev_i32_e32 v3, 31, v12
	v_not_b32_e32 v3, v3
	v_cndmask_b32_e64 v37, 0x7fffffff, 0, vcc_lo
	v_xor_b32_e32 v38, v37, v12
	v_xor_b32_e32 v37, v3, v11
	v_cmp_ne_u64_e32 vcc_lo, s[56:57], v[37:38]
	v_cndmask_b32_e32 v38, 0x7fffffff, v38, vcc_lo
	v_cndmask_b32_e32 v37, -1, v37, vcc_lo
	v_lshrrev_b64 v[37:38], s52, v[37:38]
	v_and_b32_e32 v3, s64, v37
	v_lshl_or_b32 v3, v3, 4, v91
	ds_add_u32 v3, v119
	s_or_b32 exec_lo, exec_lo, s14
	s_mov_b32 s14, exec_lo
	v_cmpx_gt_u32_e64 s15, v88
	s_cbranch_execz .LBB1148_649
.LBB1148_664:                           ;   in Loop: Header=BB1148_614 Depth=2
	v_cmp_gt_i64_e32 vcc_lo, 0, v[9:10]
	v_ashrrev_i32_e32 v3, 31, v10
	v_not_b32_e32 v3, v3
	v_cndmask_b32_e64 v37, 0x7fffffff, 0, vcc_lo
	v_xor_b32_e32 v38, v37, v10
	v_xor_b32_e32 v37, v3, v9
	v_cmp_ne_u64_e32 vcc_lo, s[56:57], v[37:38]
	v_cndmask_b32_e32 v38, 0x7fffffff, v38, vcc_lo
	v_cndmask_b32_e32 v37, -1, v37, vcc_lo
	v_lshrrev_b64 v[37:38], s52, v[37:38]
	v_and_b32_e32 v3, s64, v37
	v_lshl_or_b32 v3, v3, 4, v91
	ds_add_u32 v3, v119
	s_or_b32 exec_lo, exec_lo, s14
	s_mov_b32 s14, exec_lo
	v_cmpx_gt_u32_e64 s15, v89
	s_cbranch_execz .LBB1148_650
.LBB1148_665:                           ;   in Loop: Header=BB1148_614 Depth=2
	v_cmp_gt_i64_e32 vcc_lo, 0, v[7:8]
	v_ashrrev_i32_e32 v3, 31, v8
	v_not_b32_e32 v3, v3
	v_cndmask_b32_e64 v37, 0x7fffffff, 0, vcc_lo
	v_xor_b32_e32 v38, v37, v8
	v_xor_b32_e32 v37, v3, v7
	v_cmp_ne_u64_e32 vcc_lo, s[56:57], v[37:38]
	v_cndmask_b32_e32 v38, 0x7fffffff, v38, vcc_lo
	v_cndmask_b32_e32 v37, -1, v37, vcc_lo
	v_lshrrev_b64 v[37:38], s52, v[37:38]
	v_and_b32_e32 v3, s64, v37
	v_lshl_or_b32 v3, v3, 4, v91
	ds_add_u32 v3, v119
	s_or_b32 exec_lo, exec_lo, s14
	s_mov_b32 s14, exec_lo
	v_cmpx_gt_u32_e64 s15, v90
	s_cbranch_execz .LBB1148_613
.LBB1148_666:                           ;   in Loop: Header=BB1148_614 Depth=2
	v_cmp_gt_i64_e32 vcc_lo, 0, v[5:6]
	v_ashrrev_i32_e32 v3, 31, v6
	v_not_b32_e32 v3, v3
	v_cndmask_b32_e64 v37, 0x7fffffff, 0, vcc_lo
	v_xor_b32_e32 v38, v37, v6
	v_xor_b32_e32 v37, v3, v5
	v_cmp_ne_u64_e32 vcc_lo, s[56:57], v[37:38]
	v_cndmask_b32_e32 v38, 0x7fffffff, v38, vcc_lo
	v_cndmask_b32_e32 v37, -1, v37, vcc_lo
	v_lshrrev_b64 v[37:38], s52, v[37:38]
	v_and_b32_e32 v3, s64, v37
	v_lshl_or_b32 v3, v3, 4, v91
	ds_add_u32 v3, v119
	s_branch .LBB1148_613
.LBB1148_667:                           ;   in Loop: Header=BB1148_614 Depth=2
	global_load_dwordx2 v[35:36], v120, s[14:15]
	s_or_b32 exec_lo, exec_lo, s18
	s_mov_b32 s18, exec_lo
	v_cmpx_gt_u32_e64 s16, v74
	s_cbranch_execz .LBB1148_619
.LBB1148_668:                           ;   in Loop: Header=BB1148_614 Depth=2
	global_load_dwordx2 v[33:34], v121, s[14:15]
	s_or_b32 exec_lo, exec_lo, s18
	s_mov_b32 s18, exec_lo
	v_cmpx_gt_u32_e64 s16, v77
	s_cbranch_execz .LBB1148_620
.LBB1148_669:                           ;   in Loop: Header=BB1148_614 Depth=2
	global_load_dwordx2 v[31:32], v122, s[14:15]
	s_or_b32 exec_lo, exec_lo, s18
	s_mov_b32 s18, exec_lo
	v_cmpx_gt_u32_e64 s16, v78
	s_cbranch_execz .LBB1148_621
.LBB1148_670:                           ;   in Loop: Header=BB1148_614 Depth=2
	global_load_dwordx2 v[29:30], v123, s[14:15]
	s_or_b32 exec_lo, exec_lo, s18
	s_mov_b32 s18, exec_lo
	v_cmpx_gt_u32_e64 s16, v79
	s_cbranch_execz .LBB1148_622
.LBB1148_671:                           ;   in Loop: Header=BB1148_614 Depth=2
	global_load_dwordx2 v[27:28], v124, s[14:15]
	s_or_b32 exec_lo, exec_lo, s18
	s_mov_b32 s18, exec_lo
	v_cmpx_gt_u32_e64 s16, v80
	s_cbranch_execz .LBB1148_623
.LBB1148_672:                           ;   in Loop: Header=BB1148_614 Depth=2
	global_load_dwordx2 v[25:26], v125, s[14:15]
	s_or_b32 exec_lo, exec_lo, s18
	s_mov_b32 s18, exec_lo
	v_cmpx_gt_u32_e64 s16, v81
	s_cbranch_execz .LBB1148_624
.LBB1148_673:                           ;   in Loop: Header=BB1148_614 Depth=2
	v_lshlrev_b32_e32 v3, 3, v81
	global_load_dwordx2 v[23:24], v3, s[14:15]
	s_or_b32 exec_lo, exec_lo, s18
	s_mov_b32 s18, exec_lo
	v_cmpx_gt_u32_e64 s16, v82
	s_cbranch_execz .LBB1148_625
.LBB1148_674:                           ;   in Loop: Header=BB1148_614 Depth=2
	v_lshlrev_b32_e32 v3, 3, v82
	global_load_dwordx2 v[21:22], v3, s[14:15]
	s_or_b32 exec_lo, exec_lo, s18
	s_mov_b32 s18, exec_lo
	v_cmpx_gt_u32_e64 s16, v83
	s_cbranch_execz .LBB1148_626
.LBB1148_675:                           ;   in Loop: Header=BB1148_614 Depth=2
	v_lshlrev_b32_e32 v3, 3, v83
	global_load_dwordx2 v[19:20], v3, s[14:15]
	s_or_b32 exec_lo, exec_lo, s18
	s_mov_b32 s18, exec_lo
	v_cmpx_gt_u32_e64 s16, v84
	s_cbranch_execz .LBB1148_627
.LBB1148_676:                           ;   in Loop: Header=BB1148_614 Depth=2
	v_lshlrev_b32_e32 v3, 3, v84
	global_load_dwordx2 v[17:18], v3, s[14:15]
	s_or_b32 exec_lo, exec_lo, s18
	s_mov_b32 s18, exec_lo
	v_cmpx_gt_u32_e64 s16, v85
	s_cbranch_execz .LBB1148_628
.LBB1148_677:                           ;   in Loop: Header=BB1148_614 Depth=2
	v_lshlrev_b32_e32 v3, 3, v85
	global_load_dwordx2 v[15:16], v3, s[14:15]
	s_or_b32 exec_lo, exec_lo, s18
	s_mov_b32 s18, exec_lo
	v_cmpx_gt_u32_e64 s16, v86
	s_cbranch_execz .LBB1148_629
.LBB1148_678:                           ;   in Loop: Header=BB1148_614 Depth=2
	v_lshlrev_b32_e32 v3, 3, v86
	global_load_dwordx2 v[13:14], v3, s[14:15]
	s_or_b32 exec_lo, exec_lo, s18
	s_mov_b32 s18, exec_lo
	v_cmpx_gt_u32_e64 s16, v87
	s_cbranch_execz .LBB1148_630
.LBB1148_679:                           ;   in Loop: Header=BB1148_614 Depth=2
	v_lshlrev_b32_e32 v3, 3, v87
	global_load_dwordx2 v[11:12], v3, s[14:15]
	s_or_b32 exec_lo, exec_lo, s18
	s_mov_b32 s18, exec_lo
	v_cmpx_gt_u32_e64 s16, v88
	s_cbranch_execz .LBB1148_631
.LBB1148_680:                           ;   in Loop: Header=BB1148_614 Depth=2
	v_lshlrev_b32_e32 v3, 3, v88
	global_load_dwordx2 v[9:10], v3, s[14:15]
	s_or_b32 exec_lo, exec_lo, s18
	s_mov_b32 s18, exec_lo
	v_cmpx_gt_u32_e64 s16, v89
	s_cbranch_execz .LBB1148_632
.LBB1148_681:                           ;   in Loop: Header=BB1148_614 Depth=2
	v_lshlrev_b32_e32 v3, 3, v89
	global_load_dwordx2 v[7:8], v3, s[14:15]
	s_or_b32 exec_lo, exec_lo, s18
	s_mov_b32 s18, exec_lo
	v_cmpx_gt_u32_e64 s16, v90
	s_cbranch_execnz .LBB1148_633
	s_branch .LBB1148_634
.LBB1148_682:                           ;   in Loop: Header=BB1148_20 Depth=1
	v_mov_b32_e32 v3, 0
	s_waitcnt lgkmcnt(0)
	s_barrier
	buffer_gl0_inv
	s_and_saveexec_b32 s14, s8
	s_cbranch_execz .LBB1148_684
; %bb.683:                              ;   in Loop: Header=BB1148_20 Depth=1
	ds_read2_b64 v[5:8], v93 offset1:1
	s_waitcnt lgkmcnt(0)
	v_add_nc_u32_e32 v3, v6, v5
	v_add3_u32 v3, v3, v7, v8
.LBB1148_684:                           ;   in Loop: Header=BB1148_20 Depth=1
	s_or_b32 exec_lo, exec_lo, s14
	v_and_b32_e32 v5, 15, v126
	v_mov_b32_dpp v6, v3 row_shr:1 row_mask:0xf bank_mask:0xf
	v_and_b32_e32 v7, 16, v126
	v_cmp_eq_u32_e64 s14, 0, v5
	v_cmp_lt_u32_e64 s15, 1, v5
	v_cmp_lt_u32_e64 s16, 3, v5
	;; [unrolled: 1-line block ×3, first 2 shown]
	v_cmp_eq_u32_e64 s18, 0, v7
	v_cndmask_b32_e64 v6, v6, 0, s14
	v_add_nc_u32_e32 v3, v6, v3
	v_mov_b32_dpp v6, v3 row_shr:2 row_mask:0xf bank_mask:0xf
	v_cndmask_b32_e64 v6, 0, v6, s15
	v_add_nc_u32_e32 v3, v3, v6
	v_mov_b32_dpp v6, v3 row_shr:4 row_mask:0xf bank_mask:0xf
	;; [unrolled: 3-line block ×3, first 2 shown]
	v_cndmask_b32_e64 v5, 0, v6, s17
	v_bfe_i32 v6, v126, 4, 1
	v_add_nc_u32_e32 v3, v3, v5
	ds_swizzle_b32 v5, v3 offset:swizzle(BROADCAST,32,15)
	s_waitcnt lgkmcnt(0)
	v_and_b32_e32 v5, v6, v5
	v_add_nc_u32_e32 v3, v3, v5
	s_and_saveexec_b32 s19, s9
; %bb.685:                              ;   in Loop: Header=BB1148_20 Depth=1
	ds_write_b32 v94, v3
; %bb.686:                              ;   in Loop: Header=BB1148_20 Depth=1
	s_or_b32 exec_lo, exec_lo, s19
	s_waitcnt lgkmcnt(0)
	s_barrier
	buffer_gl0_inv
	s_and_saveexec_b32 s19, s10
	s_cbranch_execz .LBB1148_688
; %bb.687:                              ;   in Loop: Header=BB1148_20 Depth=1
	ds_read_b32 v5, v95
	v_and_b32_e32 v6, 3, v126
	v_cmp_ne_u32_e32 vcc_lo, 0, v6
	s_waitcnt lgkmcnt(0)
	v_mov_b32_dpp v7, v5 row_shr:1 row_mask:0xf bank_mask:0xf
	v_cndmask_b32_e32 v7, 0, v7, vcc_lo
	v_cmp_lt_u32_e32 vcc_lo, 1, v6
	v_add_nc_u32_e32 v5, v7, v5
	v_mov_b32_dpp v7, v5 row_shr:2 row_mask:0xf bank_mask:0xf
	v_cndmask_b32_e32 v6, 0, v7, vcc_lo
	v_add_nc_u32_e32 v5, v5, v6
	ds_write_b32 v95, v5
.LBB1148_688:                           ;   in Loop: Header=BB1148_20 Depth=1
	s_or_b32 exec_lo, exec_lo, s19
	v_mov_b32_e32 v5, 0
	s_waitcnt lgkmcnt(0)
	s_barrier
	buffer_gl0_inv
	s_and_saveexec_b32 s19, s11
; %bb.689:                              ;   in Loop: Header=BB1148_20 Depth=1
	ds_read_b32 v5, v96
; %bb.690:                              ;   in Loop: Header=BB1148_20 Depth=1
	s_or_b32 exec_lo, exec_lo, s19
	v_sub_co_u32 v6, s19, v126, 1
	s_waitcnt lgkmcnt(0)
	v_add_nc_u32_e32 v3, v5, v3
	s_barrier
	v_cmp_gt_i32_e32 vcc_lo, 0, v6
	buffer_gl0_inv
	v_cndmask_b32_e32 v6, v6, v126, vcc_lo
	v_lshlrev_b32_e32 v127, 2, v6
	ds_bpermute_b32 v3, v127, v3
	s_and_saveexec_b32 s20, s8
	s_cbranch_execz .LBB1148_692
; %bb.691:                              ;   in Loop: Header=BB1148_20 Depth=1
	s_waitcnt lgkmcnt(0)
	v_cndmask_b32_e64 v3, v3, v5, s19
	v_add_nc_u32_e32 v3, s60, v3
	ds_write_b32 v73, v3
.LBB1148_692:                           ;   in Loop: Header=BB1148_20 Depth=1
	s_or_b32 exec_lo, exec_lo, s20
	s_load_dwordx2 s[20:21], s[58:59], 0x0
	v_and_b32_e32 v6, 7, v126
	v_lshlrev_b32_e32 v7, 3, v126
	v_or_b32_e32 v128, v126, v97
	s_mov_b32 s65, s62
	s_mov_b32 s46, s60
                                        ; implicit-def: $vgpr9_vgpr10
                                        ; implicit-def: $vgpr11_vgpr12
                                        ; implicit-def: $vgpr13_vgpr14
                                        ; implicit-def: $vgpr17_vgpr18
                                        ; implicit-def: $vgpr21_vgpr22
                                        ; implicit-def: $vgpr25_vgpr26
                                        ; implicit-def: $vgpr15_vgpr16
                                        ; implicit-def: $vgpr19_vgpr20
                                        ; implicit-def: $vgpr23_vgpr24
                                        ; implicit-def: $vgpr27_vgpr28
                                        ; implicit-def: $vgpr29_vgpr30
                                        ; implicit-def: $vgpr31_vgpr32
                                        ; implicit-def: $vgpr33_vgpr34
                                        ; implicit-def: $vgpr35_vgpr36
                                        ; implicit-def: $vgpr149
                                        ; implicit-def: $vgpr150
                                        ; implicit-def: $vgpr151
                                        ; implicit-def: $vgpr152
                                        ; implicit-def: $vgpr153
                                        ; implicit-def: $vgpr154
                                        ; implicit-def: $vgpr155
                                        ; implicit-def: $vgpr157
                                        ; implicit-def: $vgpr158
                                        ; implicit-def: $vgpr159
                                        ; implicit-def: $vgpr160
                                        ; implicit-def: $vgpr161
                                        ; implicit-def: $vgpr162
                                        ; implicit-def: $vgpr163
                                        ; implicit-def: $vgpr164
                                        ; implicit-def: $vgpr165
                                        ; implicit-def: $vgpr156
                                        ; implicit-def: $vgpr166
	v_add_co_u32 v129, vcc_lo, v115, v7
	v_add_co_ci_u32_e64 v130, null, 0, v116, vcc_lo
	v_add_co_u32 v146, vcc_lo, v117, v7
	v_or_b32_e32 v131, 32, v128
	v_or_b32_e32 v132, 64, v128
	;; [unrolled: 1-line block ×7, first 2 shown]
	s_waitcnt lgkmcnt(0)
	s_cmp_lt_u32 s7, s21
	v_or_b32_e32 v138, 0x100, v128
	s_cselect_b32 s21, 14, 20
	v_or_b32_e32 v139, 0x120, v128
	s_add_u32 s22, s58, s21
	s_addc_u32 s23, s59, 0
	s_cmp_lt_u32 s6, s20
	global_load_ushort v3, v4, s[22:23]
	s_cselect_b32 s20, 12, 18
	v_or_b32_e32 v140, 0x140, v128
	s_add_u32 s20, s58, s20
	s_addc_u32 s21, s59, 0
	v_or_b32_e32 v141, 0x160, v128
	global_load_ushort v5, v4, s[20:21]
	v_cmp_eq_u32_e64 s20, 0, v6
	v_cmp_lt_u32_e64 s21, 1, v6
	v_cmp_lt_u32_e64 s22, 3, v6
	v_or_b32_e32 v142, 0x180, v128
	v_or_b32_e32 v143, 0x1a0, v128
	;; [unrolled: 1-line block ×4, first 2 shown]
	v_add_co_ci_u32_e64 v147, null, 0, v118, vcc_lo
                                        ; implicit-def: $vgpr7_vgpr8
	s_waitcnt vmcnt(1)
	v_mad_u32_u24 v3, v2, v3, v1
	s_waitcnt vmcnt(0)
	v_mad_u64_u32 v[5:6], null, v3, v5, v[0:1]
	v_lshrrev_b32_e32 v3, 3, v5
                                        ; implicit-def: $vgpr5_vgpr6
	v_and_b32_e32 v148, 0x1ffffffc, v3
	s_branch .LBB1148_694
.LBB1148_693:                           ;   in Loop: Header=BB1148_694 Depth=2
	s_or_b32 exec_lo, exec_lo, s23
	s_addk_i32 s65, 0xf000
	s_cmp_lt_u32 s66, s61
	s_mov_b32 s46, s66
	s_cbranch_scc0 .LBB1148_904
.LBB1148_694:                           ;   Parent Loop BB1148_20 Depth=1
                                        ; =>  This Inner Loop Header: Depth=2
	s_add_i32 s66, s46, 0x1000
	s_cmp_gt_u32 s66, s61
	s_cbranch_scc1 .LBB1148_696
; %bb.695:                              ;   in Loop: Header=BB1148_694 Depth=2
	s_mov_b32 s47, s56
	s_mov_b32 s23, -1
	s_lshl_b64 s[24:25], s[46:47], 3
	v_add_co_u32 v43, vcc_lo, v146, s24
	v_add_co_ci_u32_e64 v44, null, s25, v147, vcc_lo
	v_add_co_u32 v45, vcc_lo, 0x800, v43
	v_add_co_ci_u32_e64 v46, null, 0, v44, vcc_lo
	s_clause 0xe
	global_load_dwordx2 v[37:38], v[43:44], off
	global_load_dwordx2 v[39:40], v[43:44], off offset:256
	global_load_dwordx2 v[41:42], v[43:44], off offset:512
	;; [unrolled: 1-line block ×7, first 2 shown]
	global_load_dwordx2 v[67:68], v[45:46], off
	global_load_dwordx2 v[63:64], v[45:46], off offset:256
	global_load_dwordx2 v[59:60], v[45:46], off offset:512
	;; [unrolled: 1-line block ×6, first 2 shown]
	s_movk_i32 s24, 0x1000
	s_cbranch_execz .LBB1148_697
	s_branch .LBB1148_728
.LBB1148_696:                           ;   in Loop: Header=BB1148_694 Depth=2
	s_mov_b32 s23, 0
                                        ; implicit-def: $vgpr37_vgpr38
                                        ; implicit-def: $vgpr39_vgpr40
                                        ; implicit-def: $vgpr41_vgpr42
                                        ; implicit-def: $vgpr49_vgpr50
                                        ; implicit-def: $vgpr53_vgpr54
                                        ; implicit-def: $vgpr57_vgpr58
                                        ; implicit-def: $vgpr61_vgpr62
                                        ; implicit-def: $vgpr65_vgpr66
                                        ; implicit-def: $vgpr67_vgpr68
                                        ; implicit-def: $vgpr63_vgpr64
                                        ; implicit-def: $vgpr59_vgpr60
                                        ; implicit-def: $vgpr55_vgpr56
                                        ; implicit-def: $vgpr51_vgpr52
                                        ; implicit-def: $vgpr47_vgpr48
                                        ; implicit-def: $vgpr43_vgpr44
	s_movk_i32 s24, 0x1000
.LBB1148_697:                           ;   in Loop: Header=BB1148_694 Depth=2
	s_mov_b32 s47, s56
	s_waitcnt vmcnt(13)
	v_mov_b32_e32 v39, -1
	s_lshl_b64 s[24:25], s[46:47], 3
	v_mov_b32_e32 v37, -1
	v_add_co_u32 v45, vcc_lo, v146, s24
	v_add_co_ci_u32_e64 v46, null, s25, v147, vcc_lo
	v_mov_b32_e32 v40, -1
	v_mov_b32_e32 v38, -1
	s_mov_b32 s23, exec_lo
	v_cmpx_gt_u32_e64 s65, v128
	s_cbranch_execz .LBB1148_699
; %bb.698:                              ;   in Loop: Header=BB1148_694 Depth=2
	global_load_dwordx2 v[37:38], v[45:46], off
.LBB1148_699:                           ;   in Loop: Header=BB1148_694 Depth=2
	s_or_b32 exec_lo, exec_lo, s23
	s_mov_b32 s23, exec_lo
	v_cmpx_gt_u32_e64 s65, v131
	s_cbranch_execz .LBB1148_701
; %bb.700:                              ;   in Loop: Header=BB1148_694 Depth=2
	global_load_dwordx2 v[39:40], v[45:46], off offset:256
.LBB1148_701:                           ;   in Loop: Header=BB1148_694 Depth=2
	s_or_b32 exec_lo, exec_lo, s23
	s_waitcnt vmcnt(11)
	v_mov_b32_e32 v49, -1
	v_mov_b32_e32 v41, -1
	v_mov_b32_e32 v50, -1
	v_mov_b32_e32 v42, -1
	s_mov_b32 s23, exec_lo
	v_cmpx_gt_u32_e64 s65, v132
	s_cbranch_execz .LBB1148_703
; %bb.702:                              ;   in Loop: Header=BB1148_694 Depth=2
	global_load_dwordx2 v[41:42], v[45:46], off offset:512
.LBB1148_703:                           ;   in Loop: Header=BB1148_694 Depth=2
	s_or_b32 exec_lo, exec_lo, s23
	s_mov_b32 s23, exec_lo
	v_cmpx_gt_u32_e64 s65, v133
	s_cbranch_execz .LBB1148_705
; %bb.704:                              ;   in Loop: Header=BB1148_694 Depth=2
	global_load_dwordx2 v[49:50], v[45:46], off offset:768
.LBB1148_705:                           ;   in Loop: Header=BB1148_694 Depth=2
	s_or_b32 exec_lo, exec_lo, s23
	s_waitcnt vmcnt(9)
	v_mov_b32_e32 v57, -1
	v_mov_b32_e32 v53, -1
	v_mov_b32_e32 v58, -1
	v_mov_b32_e32 v54, -1
	s_mov_b32 s23, exec_lo
	v_cmpx_gt_u32_e64 s65, v134
	s_cbranch_execz .LBB1148_707
; %bb.706:                              ;   in Loop: Header=BB1148_694 Depth=2
	global_load_dwordx2 v[53:54], v[45:46], off offset:1024
.LBB1148_707:                           ;   in Loop: Header=BB1148_694 Depth=2
	;; [unrolled: 19-line block ×3, first 2 shown]
	s_or_b32 exec_lo, exec_lo, s23
	s_mov_b32 s23, exec_lo
	v_cmpx_gt_u32_e64 s65, v137
	s_cbranch_execz .LBB1148_713
; %bb.712:                              ;   in Loop: Header=BB1148_694 Depth=2
	global_load_dwordx2 v[65:66], v[45:46], off offset:1792
.LBB1148_713:                           ;   in Loop: Header=BB1148_694 Depth=2
	s_or_b32 exec_lo, exec_lo, s23
	s_waitcnt vmcnt(5)
	v_mov_b32_e32 v63, -1
	v_mov_b32_e32 v67, -1
	v_mov_b32_e32 v64, -1
	v_mov_b32_e32 v68, -1
	s_mov_b32 s23, exec_lo
	v_cmpx_gt_u32_e64 s65, v138
	s_cbranch_execz .LBB1148_715
; %bb.714:                              ;   in Loop: Header=BB1148_694 Depth=2
	s_waitcnt vmcnt(0)
	v_add_co_u32 v43, vcc_lo, 0x800, v45
	v_add_co_ci_u32_e64 v44, null, 0, v46, vcc_lo
	global_load_dwordx2 v[67:68], v[43:44], off
.LBB1148_715:                           ;   in Loop: Header=BB1148_694 Depth=2
	s_or_b32 exec_lo, exec_lo, s23
	s_mov_b32 s23, exec_lo
	v_cmpx_gt_u32_e64 s65, v139
	s_cbranch_execz .LBB1148_717
; %bb.716:                              ;   in Loop: Header=BB1148_694 Depth=2
	s_waitcnt vmcnt(0)
	v_add_co_u32 v43, vcc_lo, 0x800, v45
	v_add_co_ci_u32_e64 v44, null, 0, v46, vcc_lo
	global_load_dwordx2 v[63:64], v[43:44], off offset:256
.LBB1148_717:                           ;   in Loop: Header=BB1148_694 Depth=2
	s_or_b32 exec_lo, exec_lo, s23
	s_waitcnt vmcnt(3)
	v_mov_b32_e32 v55, -1
	v_mov_b32_e32 v59, -1
	;; [unrolled: 1-line block ×4, first 2 shown]
	s_mov_b32 s23, exec_lo
	v_cmpx_gt_u32_e64 s65, v140
	s_cbranch_execz .LBB1148_719
; %bb.718:                              ;   in Loop: Header=BB1148_694 Depth=2
	s_waitcnt vmcnt(0)
	v_add_co_u32 v43, vcc_lo, 0x800, v45
	v_add_co_ci_u32_e64 v44, null, 0, v46, vcc_lo
	global_load_dwordx2 v[59:60], v[43:44], off offset:512
.LBB1148_719:                           ;   in Loop: Header=BB1148_694 Depth=2
	s_or_b32 exec_lo, exec_lo, s23
	s_mov_b32 s23, exec_lo
	v_cmpx_gt_u32_e64 s65, v141
	s_cbranch_execz .LBB1148_721
; %bb.720:                              ;   in Loop: Header=BB1148_694 Depth=2
	s_waitcnt vmcnt(0)
	v_add_co_u32 v43, vcc_lo, 0x800, v45
	v_add_co_ci_u32_e64 v44, null, 0, v46, vcc_lo
	global_load_dwordx2 v[55:56], v[43:44], off offset:768
.LBB1148_721:                           ;   in Loop: Header=BB1148_694 Depth=2
	s_or_b32 exec_lo, exec_lo, s23
	s_waitcnt vmcnt(1)
	v_mov_b32_e32 v47, -1
	v_mov_b32_e32 v51, -1
	;; [unrolled: 1-line block ×4, first 2 shown]
	s_mov_b32 s23, exec_lo
	v_cmpx_gt_u32_e64 s65, v142
	s_cbranch_execz .LBB1148_723
; %bb.722:                              ;   in Loop: Header=BB1148_694 Depth=2
	s_waitcnt vmcnt(0)
	v_add_co_u32 v43, vcc_lo, 0x800, v45
	v_add_co_ci_u32_e64 v44, null, 0, v46, vcc_lo
	global_load_dwordx2 v[51:52], v[43:44], off offset:1024
.LBB1148_723:                           ;   in Loop: Header=BB1148_694 Depth=2
	s_or_b32 exec_lo, exec_lo, s23
	s_mov_b32 s23, exec_lo
	v_cmpx_gt_u32_e64 s65, v143
	s_cbranch_execz .LBB1148_725
; %bb.724:                              ;   in Loop: Header=BB1148_694 Depth=2
	s_waitcnt vmcnt(0)
	v_add_co_u32 v43, vcc_lo, 0x800, v45
	v_add_co_ci_u32_e64 v44, null, 0, v46, vcc_lo
	global_load_dwordx2 v[47:48], v[43:44], off offset:1280
.LBB1148_725:                           ;   in Loop: Header=BB1148_694 Depth=2
	s_or_b32 exec_lo, exec_lo, s23
	s_waitcnt vmcnt(0)
	v_mov_b32_e32 v43, -1
	v_mov_b32_e32 v44, -1
	s_mov_b32 s23, exec_lo
	v_cmpx_gt_u32_e64 s65, v144
	s_cbranch_execz .LBB1148_727
; %bb.726:                              ;   in Loop: Header=BB1148_694 Depth=2
	v_add_co_u32 v43, vcc_lo, 0x800, v45
	v_add_co_ci_u32_e64 v44, null, 0, v46, vcc_lo
	global_load_dwordx2 v[43:44], v[43:44], off offset:1536
.LBB1148_727:                           ;   in Loop: Header=BB1148_694 Depth=2
	s_or_b32 exec_lo, exec_lo, s23
	v_cmp_gt_u32_e64 s23, s65, v145
	s_sub_i32 s24, s61, s46
.LBB1148_728:                           ;   in Loop: Header=BB1148_694 Depth=2
	v_mov_b32_e32 v45, -1
	v_mov_b32_e32 v46, -1
	v_mov_b32_e32 v167, s65
	s_and_saveexec_b32 s25, s23
	s_cbranch_execz .LBB1148_730
; %bb.729:                              ;   in Loop: Header=BB1148_694 Depth=2
	s_lshl_b64 s[26:27], s[46:47], 3
	v_mov_b32_e32 v167, s24
	v_add_co_u32 v3, vcc_lo, v146, s26
	v_add_co_ci_u32_e64 v46, null, s27, v147, vcc_lo
	v_add_co_u32 v45, vcc_lo, 0x800, v3
	v_add_co_ci_u32_e64 v46, null, 0, v46, vcc_lo
	global_load_dwordx2 v[45:46], v[45:46], off offset:1792
.LBB1148_730:                           ;   in Loop: Header=BB1148_694 Depth=2
	s_or_b32 exec_lo, exec_lo, s25
	s_waitcnt vmcnt(14)
	v_cmp_gt_i64_e32 vcc_lo, 0, v[37:38]
	v_ashrrev_i32_e32 v3, 31, v38
	ds_write2_b32 v98, v4, v4 offset0:136 offset1:137
	ds_write2_b32 v98, v4, v4 offset0:138 offset1:139
	ds_write_b32 v98, v4 offset:560
	s_waitcnt vmcnt(0) lgkmcnt(0)
	s_barrier
	v_cndmask_b32_e64 v69, 0x7fffffff, 0, vcc_lo
	v_not_b32_e32 v3, v3
	buffer_gl0_inv
	; wave barrier
	v_xor_b32_e32 v38, v69, v38
	v_xor_b32_e32 v37, v3, v37
	v_cmp_ne_u64_e32 vcc_lo, s[56:57], v[37:38]
	v_cndmask_b32_e32 v70, 0x7fffffff, v38, vcc_lo
	v_cndmask_b32_e32 v69, -1, v37, vcc_lo
	v_lshrrev_b64 v[69:70], s52, v[69:70]
	v_and_b32_e32 v70, s64, v69
	v_and_b32_e32 v3, 1, v70
	v_lshlrev_b32_e32 v69, 30, v70
	v_lshlrev_b32_e32 v71, 29, v70
	;; [unrolled: 1-line block ×4, first 2 shown]
	v_add_co_u32 v3, s23, v3, -1
	v_cndmask_b32_e64 v72, 0, 1, s23
	v_not_b32_e32 v171, v69
	v_cmp_gt_i32_e64 s23, 0, v69
	v_not_b32_e32 v69, v71
	v_lshlrev_b32_e32 v170, 26, v70
	v_cmp_ne_u32_e32 vcc_lo, 0, v72
	v_ashrrev_i32_e32 v171, 31, v171
	v_lshlrev_b32_e32 v72, 25, v70
	v_ashrrev_i32_e32 v69, 31, v69
	v_mul_u32_u24_e32 v70, 36, v70
	v_xor_b32_e32 v3, vcc_lo, v3
	v_cmp_gt_i32_e32 vcc_lo, 0, v71
	v_not_b32_e32 v71, v168
	v_xor_b32_e32 v171, s23, v171
	v_cmp_gt_i32_e64 s23, 0, v168
	v_and_b32_e32 v3, exec_lo, v3
	v_not_b32_e32 v168, v169
	v_ashrrev_i32_e32 v71, 31, v71
	v_xor_b32_e32 v69, vcc_lo, v69
	v_cmp_gt_i32_e32 vcc_lo, 0, v169
	v_and_b32_e32 v3, v3, v171
	v_not_b32_e32 v169, v170
	v_ashrrev_i32_e32 v168, 31, v168
	v_xor_b32_e32 v71, s23, v71
	v_cmp_gt_i32_e64 s23, 0, v170
	v_and_b32_e32 v3, v3, v69
	v_not_b32_e32 v69, v72
	v_ashrrev_i32_e32 v169, 31, v169
	v_xor_b32_e32 v168, vcc_lo, v168
	v_cmp_gt_i32_e32 vcc_lo, 0, v72
	v_and_b32_e32 v3, v3, v71
	v_ashrrev_i32_e32 v69, 31, v69
	v_xor_b32_e32 v71, s23, v169
	v_and_b32_e32 v3, v3, v168
	v_xor_b32_e32 v69, vcc_lo, v69
	v_add_nc_u32_e32 v168, v148, v70
	v_and_b32_e32 v3, v3, v71
	v_and_b32_e32 v69, v3, v69
	v_mbcnt_lo_u32_b32 v3, v69, 0
	v_cmp_ne_u32_e64 s23, 0, v69
	v_cmp_eq_u32_e32 vcc_lo, 0, v3
	s_and_b32 s24, s23, vcc_lo
	s_and_saveexec_b32 s23, s24
; %bb.731:                              ;   in Loop: Header=BB1148_694 Depth=2
	v_bcnt_u32_b32 v69, v69, 0
	ds_write_b32 v168, v69 offset:544
; %bb.732:                              ;   in Loop: Header=BB1148_694 Depth=2
	s_or_b32 exec_lo, exec_lo, s23
	v_cmp_gt_i64_e32 vcc_lo, 0, v[39:40]
	v_ashrrev_i32_e32 v69, 31, v40
	; wave barrier
	v_not_b32_e32 v69, v69
	v_cndmask_b32_e64 v70, 0x7fffffff, 0, vcc_lo
	v_xor_b32_e32 v39, v69, v39
	v_xor_b32_e32 v40, v70, v40
	v_cmp_ne_u64_e32 vcc_lo, s[56:57], v[39:40]
	v_cndmask_b32_e32 v70, 0x7fffffff, v40, vcc_lo
	v_cndmask_b32_e32 v69, -1, v39, vcc_lo
	v_lshrrev_b64 v[69:70], s52, v[69:70]
	v_and_b32_e32 v70, s64, v69
	v_and_b32_e32 v69, 1, v70
	v_lshlrev_b32_e32 v71, 30, v70
	v_lshlrev_b32_e32 v72, 29, v70
	;; [unrolled: 1-line block ×4, first 2 shown]
	v_add_co_u32 v69, s23, v69, -1
	v_cndmask_b32_e64 v169, 0, 1, s23
	v_not_b32_e32 v173, v71
	v_cmp_gt_i32_e64 s23, 0, v71
	v_not_b32_e32 v71, v72
	v_lshlrev_b32_e32 v172, 26, v70
	v_cmp_ne_u32_e32 vcc_lo, 0, v169
	v_ashrrev_i32_e32 v173, 31, v173
	v_lshlrev_b32_e32 v169, 25, v70
	v_ashrrev_i32_e32 v71, 31, v71
	v_xor_b32_e32 v69, vcc_lo, v69
	v_cmp_gt_i32_e32 vcc_lo, 0, v72
	v_not_b32_e32 v72, v170
	v_xor_b32_e32 v173, s23, v173
	v_cmp_gt_i32_e64 s23, 0, v170
	v_and_b32_e32 v69, exec_lo, v69
	v_not_b32_e32 v170, v171
	v_ashrrev_i32_e32 v72, 31, v72
	v_xor_b32_e32 v71, vcc_lo, v71
	v_cmp_gt_i32_e32 vcc_lo, 0, v171
	v_and_b32_e32 v69, v69, v173
	v_not_b32_e32 v171, v172
	v_ashrrev_i32_e32 v170, 31, v170
	v_xor_b32_e32 v72, s23, v72
	v_cmp_gt_i32_e64 s23, 0, v172
	v_and_b32_e32 v69, v69, v71
	v_not_b32_e32 v71, v169
	v_ashrrev_i32_e32 v171, 31, v171
	v_xor_b32_e32 v170, vcc_lo, v170
	v_cmp_gt_i32_e32 vcc_lo, 0, v169
	v_and_b32_e32 v69, v69, v72
	v_ashrrev_i32_e32 v71, 31, v71
	v_xor_b32_e32 v72, s23, v171
	v_mad_u32_u24 v169, v70, 36, v148
	v_mul_u32_u24_e32 v70, 36, v70
	v_and_b32_e32 v69, v69, v170
	v_xor_b32_e32 v71, vcc_lo, v71
	ds_read_b32 v169, v169 offset:544
	v_add_nc_u32_e32 v171, v148, v70
	v_and_b32_e32 v69, v69, v72
	; wave barrier
	v_and_b32_e32 v69, v69, v71
	v_mbcnt_lo_u32_b32 v170, v69, 0
	v_cmp_ne_u32_e64 s23, 0, v69
	v_cmp_eq_u32_e32 vcc_lo, 0, v170
	s_and_b32 s24, s23, vcc_lo
	s_and_saveexec_b32 s23, s24
	s_cbranch_execz .LBB1148_734
; %bb.733:                              ;   in Loop: Header=BB1148_694 Depth=2
	s_waitcnt lgkmcnt(0)
	v_bcnt_u32_b32 v69, v69, v169
	ds_write_b32 v171, v69 offset:544
.LBB1148_734:                           ;   in Loop: Header=BB1148_694 Depth=2
	s_or_b32 exec_lo, exec_lo, s23
	v_cmp_gt_i64_e32 vcc_lo, 0, v[41:42]
	v_ashrrev_i32_e32 v69, 31, v42
	; wave barrier
	v_not_b32_e32 v69, v69
	v_cndmask_b32_e64 v70, 0x7fffffff, 0, vcc_lo
	v_xor_b32_e32 v41, v69, v41
	v_xor_b32_e32 v42, v70, v42
	v_cmp_ne_u64_e32 vcc_lo, s[56:57], v[41:42]
	v_cndmask_b32_e32 v70, 0x7fffffff, v42, vcc_lo
	v_cndmask_b32_e32 v69, -1, v41, vcc_lo
	v_lshrrev_b64 v[69:70], s52, v[69:70]
	v_and_b32_e32 v70, s64, v69
	v_and_b32_e32 v69, 1, v70
	v_lshlrev_b32_e32 v71, 30, v70
	v_lshlrev_b32_e32 v72, 29, v70
	;; [unrolled: 1-line block ×4, first 2 shown]
	v_add_co_u32 v69, s23, v69, -1
	v_cndmask_b32_e64 v172, 0, 1, s23
	v_not_b32_e32 v176, v71
	v_cmp_gt_i32_e64 s23, 0, v71
	v_not_b32_e32 v71, v72
	v_lshlrev_b32_e32 v175, 26, v70
	v_cmp_ne_u32_e32 vcc_lo, 0, v172
	v_ashrrev_i32_e32 v176, 31, v176
	v_lshlrev_b32_e32 v172, 25, v70
	v_ashrrev_i32_e32 v71, 31, v71
	v_xor_b32_e32 v69, vcc_lo, v69
	v_cmp_gt_i32_e32 vcc_lo, 0, v72
	v_not_b32_e32 v72, v173
	v_xor_b32_e32 v176, s23, v176
	v_cmp_gt_i32_e64 s23, 0, v173
	v_and_b32_e32 v69, exec_lo, v69
	v_not_b32_e32 v173, v174
	v_ashrrev_i32_e32 v72, 31, v72
	v_xor_b32_e32 v71, vcc_lo, v71
	v_cmp_gt_i32_e32 vcc_lo, 0, v174
	v_and_b32_e32 v69, v69, v176
	v_not_b32_e32 v174, v175
	v_ashrrev_i32_e32 v173, 31, v173
	v_xor_b32_e32 v72, s23, v72
	v_cmp_gt_i32_e64 s23, 0, v175
	v_and_b32_e32 v69, v69, v71
	v_not_b32_e32 v71, v172
	v_ashrrev_i32_e32 v174, 31, v174
	v_xor_b32_e32 v173, vcc_lo, v173
	v_cmp_gt_i32_e32 vcc_lo, 0, v172
	v_and_b32_e32 v69, v69, v72
	v_ashrrev_i32_e32 v71, 31, v71
	v_xor_b32_e32 v72, s23, v174
	v_mad_u32_u24 v172, v70, 36, v148
	v_mul_u32_u24_e32 v70, 36, v70
	v_and_b32_e32 v69, v69, v173
	v_xor_b32_e32 v71, vcc_lo, v71
	ds_read_b32 v172, v172 offset:544
	v_add_nc_u32_e32 v174, v148, v70
	v_and_b32_e32 v69, v69, v72
	; wave barrier
	v_and_b32_e32 v69, v69, v71
	v_mbcnt_lo_u32_b32 v173, v69, 0
	v_cmp_ne_u32_e64 s23, 0, v69
	v_cmp_eq_u32_e32 vcc_lo, 0, v173
	s_and_b32 s24, s23, vcc_lo
	s_and_saveexec_b32 s23, s24
	s_cbranch_execz .LBB1148_736
; %bb.735:                              ;   in Loop: Header=BB1148_694 Depth=2
	s_waitcnt lgkmcnt(0)
	v_bcnt_u32_b32 v69, v69, v172
	ds_write_b32 v174, v69 offset:544
.LBB1148_736:                           ;   in Loop: Header=BB1148_694 Depth=2
	s_or_b32 exec_lo, exec_lo, s23
	v_cmp_gt_i64_e32 vcc_lo, 0, v[49:50]
	v_ashrrev_i32_e32 v69, 31, v50
	; wave barrier
	v_not_b32_e32 v69, v69
	v_cndmask_b32_e64 v70, 0x7fffffff, 0, vcc_lo
	v_xor_b32_e32 v49, v69, v49
	v_xor_b32_e32 v50, v70, v50
	v_cmp_ne_u64_e32 vcc_lo, s[56:57], v[49:50]
	v_cndmask_b32_e32 v70, 0x7fffffff, v50, vcc_lo
	v_cndmask_b32_e32 v69, -1, v49, vcc_lo
	v_lshrrev_b64 v[69:70], s52, v[69:70]
	v_and_b32_e32 v70, s64, v69
	v_and_b32_e32 v69, 1, v70
	v_lshlrev_b32_e32 v71, 30, v70
	v_lshlrev_b32_e32 v72, 29, v70
	;; [unrolled: 1-line block ×4, first 2 shown]
	v_add_co_u32 v69, s23, v69, -1
	v_cndmask_b32_e64 v175, 0, 1, s23
	v_not_b32_e32 v179, v71
	v_cmp_gt_i32_e64 s23, 0, v71
	v_not_b32_e32 v71, v72
	v_lshlrev_b32_e32 v178, 26, v70
	v_cmp_ne_u32_e32 vcc_lo, 0, v175
	v_ashrrev_i32_e32 v179, 31, v179
	v_lshlrev_b32_e32 v175, 25, v70
	v_ashrrev_i32_e32 v71, 31, v71
	v_xor_b32_e32 v69, vcc_lo, v69
	v_cmp_gt_i32_e32 vcc_lo, 0, v72
	v_not_b32_e32 v72, v176
	v_xor_b32_e32 v179, s23, v179
	v_cmp_gt_i32_e64 s23, 0, v176
	v_and_b32_e32 v69, exec_lo, v69
	v_not_b32_e32 v176, v177
	v_ashrrev_i32_e32 v72, 31, v72
	v_xor_b32_e32 v71, vcc_lo, v71
	v_cmp_gt_i32_e32 vcc_lo, 0, v177
	v_and_b32_e32 v69, v69, v179
	v_not_b32_e32 v177, v178
	v_ashrrev_i32_e32 v176, 31, v176
	v_xor_b32_e32 v72, s23, v72
	v_cmp_gt_i32_e64 s23, 0, v178
	v_and_b32_e32 v69, v69, v71
	v_not_b32_e32 v71, v175
	v_ashrrev_i32_e32 v177, 31, v177
	v_xor_b32_e32 v176, vcc_lo, v176
	v_cmp_gt_i32_e32 vcc_lo, 0, v175
	v_and_b32_e32 v69, v69, v72
	v_ashrrev_i32_e32 v71, 31, v71
	v_xor_b32_e32 v72, s23, v177
	v_mad_u32_u24 v175, v70, 36, v148
	v_mul_u32_u24_e32 v70, 36, v70
	v_and_b32_e32 v69, v69, v176
	v_xor_b32_e32 v71, vcc_lo, v71
	ds_read_b32 v175, v175 offset:544
	v_add_nc_u32_e32 v177, v148, v70
	v_and_b32_e32 v69, v69, v72
	; wave barrier
	v_and_b32_e32 v69, v69, v71
	v_mbcnt_lo_u32_b32 v176, v69, 0
	v_cmp_ne_u32_e64 s23, 0, v69
	v_cmp_eq_u32_e32 vcc_lo, 0, v176
	s_and_b32 s24, s23, vcc_lo
	s_and_saveexec_b32 s23, s24
	s_cbranch_execz .LBB1148_738
; %bb.737:                              ;   in Loop: Header=BB1148_694 Depth=2
	s_waitcnt lgkmcnt(0)
	v_bcnt_u32_b32 v69, v69, v175
	ds_write_b32 v177, v69 offset:544
.LBB1148_738:                           ;   in Loop: Header=BB1148_694 Depth=2
	s_or_b32 exec_lo, exec_lo, s23
	v_cmp_gt_i64_e32 vcc_lo, 0, v[53:54]
	v_ashrrev_i32_e32 v69, 31, v54
	; wave barrier
	v_not_b32_e32 v69, v69
	v_cndmask_b32_e64 v70, 0x7fffffff, 0, vcc_lo
	v_xor_b32_e32 v53, v69, v53
	v_xor_b32_e32 v54, v70, v54
	v_cmp_ne_u64_e32 vcc_lo, s[56:57], v[53:54]
	v_cndmask_b32_e32 v70, 0x7fffffff, v54, vcc_lo
	v_cndmask_b32_e32 v69, -1, v53, vcc_lo
	v_lshrrev_b64 v[69:70], s52, v[69:70]
	v_and_b32_e32 v70, s64, v69
	v_and_b32_e32 v69, 1, v70
	v_lshlrev_b32_e32 v71, 30, v70
	v_lshlrev_b32_e32 v72, 29, v70
	;; [unrolled: 1-line block ×4, first 2 shown]
	v_add_co_u32 v69, s23, v69, -1
	v_cndmask_b32_e64 v178, 0, 1, s23
	v_not_b32_e32 v182, v71
	v_cmp_gt_i32_e64 s23, 0, v71
	v_not_b32_e32 v71, v72
	v_lshlrev_b32_e32 v181, 26, v70
	v_cmp_ne_u32_e32 vcc_lo, 0, v178
	v_ashrrev_i32_e32 v182, 31, v182
	v_lshlrev_b32_e32 v178, 25, v70
	v_ashrrev_i32_e32 v71, 31, v71
	v_xor_b32_e32 v69, vcc_lo, v69
	v_cmp_gt_i32_e32 vcc_lo, 0, v72
	v_not_b32_e32 v72, v179
	v_xor_b32_e32 v182, s23, v182
	v_cmp_gt_i32_e64 s23, 0, v179
	v_and_b32_e32 v69, exec_lo, v69
	v_not_b32_e32 v179, v180
	v_ashrrev_i32_e32 v72, 31, v72
	v_xor_b32_e32 v71, vcc_lo, v71
	v_cmp_gt_i32_e32 vcc_lo, 0, v180
	v_and_b32_e32 v69, v69, v182
	v_not_b32_e32 v180, v181
	v_ashrrev_i32_e32 v179, 31, v179
	v_xor_b32_e32 v72, s23, v72
	v_cmp_gt_i32_e64 s23, 0, v181
	v_and_b32_e32 v69, v69, v71
	v_not_b32_e32 v71, v178
	v_ashrrev_i32_e32 v180, 31, v180
	v_xor_b32_e32 v179, vcc_lo, v179
	v_cmp_gt_i32_e32 vcc_lo, 0, v178
	v_and_b32_e32 v69, v69, v72
	v_ashrrev_i32_e32 v71, 31, v71
	v_xor_b32_e32 v72, s23, v180
	v_mad_u32_u24 v178, v70, 36, v148
	v_mul_u32_u24_e32 v70, 36, v70
	v_and_b32_e32 v69, v69, v179
	v_xor_b32_e32 v71, vcc_lo, v71
	ds_read_b32 v178, v178 offset:544
	v_add_nc_u32_e32 v180, v148, v70
	v_and_b32_e32 v69, v69, v72
	; wave barrier
	v_and_b32_e32 v69, v69, v71
	v_mbcnt_lo_u32_b32 v179, v69, 0
	v_cmp_ne_u32_e64 s23, 0, v69
	v_cmp_eq_u32_e32 vcc_lo, 0, v179
	s_and_b32 s24, s23, vcc_lo
	s_and_saveexec_b32 s23, s24
	s_cbranch_execz .LBB1148_740
; %bb.739:                              ;   in Loop: Header=BB1148_694 Depth=2
	s_waitcnt lgkmcnt(0)
	v_bcnt_u32_b32 v69, v69, v178
	ds_write_b32 v180, v69 offset:544
.LBB1148_740:                           ;   in Loop: Header=BB1148_694 Depth=2
	s_or_b32 exec_lo, exec_lo, s23
	v_cmp_gt_i64_e32 vcc_lo, 0, v[57:58]
	v_ashrrev_i32_e32 v69, 31, v58
	; wave barrier
	v_not_b32_e32 v69, v69
	v_cndmask_b32_e64 v70, 0x7fffffff, 0, vcc_lo
	v_xor_b32_e32 v57, v69, v57
	v_xor_b32_e32 v58, v70, v58
	v_cmp_ne_u64_e32 vcc_lo, s[56:57], v[57:58]
	v_cndmask_b32_e32 v70, 0x7fffffff, v58, vcc_lo
	v_cndmask_b32_e32 v69, -1, v57, vcc_lo
	v_lshrrev_b64 v[69:70], s52, v[69:70]
	v_and_b32_e32 v70, s64, v69
	v_and_b32_e32 v69, 1, v70
	v_lshlrev_b32_e32 v71, 30, v70
	v_lshlrev_b32_e32 v72, 29, v70
	;; [unrolled: 1-line block ×4, first 2 shown]
	v_add_co_u32 v69, s23, v69, -1
	v_cndmask_b32_e64 v181, 0, 1, s23
	v_not_b32_e32 v185, v71
	v_cmp_gt_i32_e64 s23, 0, v71
	v_not_b32_e32 v71, v72
	v_lshlrev_b32_e32 v184, 26, v70
	v_cmp_ne_u32_e32 vcc_lo, 0, v181
	v_ashrrev_i32_e32 v185, 31, v185
	v_lshlrev_b32_e32 v181, 25, v70
	v_ashrrev_i32_e32 v71, 31, v71
	v_xor_b32_e32 v69, vcc_lo, v69
	v_cmp_gt_i32_e32 vcc_lo, 0, v72
	v_not_b32_e32 v72, v182
	v_xor_b32_e32 v185, s23, v185
	v_cmp_gt_i32_e64 s23, 0, v182
	v_and_b32_e32 v69, exec_lo, v69
	v_not_b32_e32 v182, v183
	v_ashrrev_i32_e32 v72, 31, v72
	v_xor_b32_e32 v71, vcc_lo, v71
	v_cmp_gt_i32_e32 vcc_lo, 0, v183
	v_and_b32_e32 v69, v69, v185
	v_not_b32_e32 v183, v184
	v_ashrrev_i32_e32 v182, 31, v182
	v_xor_b32_e32 v72, s23, v72
	v_cmp_gt_i32_e64 s23, 0, v184
	v_and_b32_e32 v69, v69, v71
	v_not_b32_e32 v71, v181
	v_ashrrev_i32_e32 v183, 31, v183
	v_xor_b32_e32 v182, vcc_lo, v182
	v_cmp_gt_i32_e32 vcc_lo, 0, v181
	v_and_b32_e32 v69, v69, v72
	v_ashrrev_i32_e32 v71, 31, v71
	v_xor_b32_e32 v72, s23, v183
	v_mad_u32_u24 v181, v70, 36, v148
	v_mul_u32_u24_e32 v70, 36, v70
	v_and_b32_e32 v69, v69, v182
	v_xor_b32_e32 v71, vcc_lo, v71
	ds_read_b32 v181, v181 offset:544
	v_add_nc_u32_e32 v183, v148, v70
	v_and_b32_e32 v69, v69, v72
	; wave barrier
	v_and_b32_e32 v69, v69, v71
	v_mbcnt_lo_u32_b32 v182, v69, 0
	v_cmp_ne_u32_e64 s23, 0, v69
	v_cmp_eq_u32_e32 vcc_lo, 0, v182
	s_and_b32 s24, s23, vcc_lo
	s_and_saveexec_b32 s23, s24
	s_cbranch_execz .LBB1148_742
; %bb.741:                              ;   in Loop: Header=BB1148_694 Depth=2
	s_waitcnt lgkmcnt(0)
	v_bcnt_u32_b32 v69, v69, v181
	ds_write_b32 v183, v69 offset:544
.LBB1148_742:                           ;   in Loop: Header=BB1148_694 Depth=2
	s_or_b32 exec_lo, exec_lo, s23
	v_cmp_gt_i64_e32 vcc_lo, 0, v[61:62]
	v_ashrrev_i32_e32 v69, 31, v62
	; wave barrier
	v_not_b32_e32 v69, v69
	v_cndmask_b32_e64 v70, 0x7fffffff, 0, vcc_lo
	v_xor_b32_e32 v61, v69, v61
	v_xor_b32_e32 v62, v70, v62
	v_cmp_ne_u64_e32 vcc_lo, s[56:57], v[61:62]
	v_cndmask_b32_e32 v70, 0x7fffffff, v62, vcc_lo
	v_cndmask_b32_e32 v69, -1, v61, vcc_lo
	v_lshrrev_b64 v[69:70], s52, v[69:70]
	v_and_b32_e32 v70, s64, v69
	v_and_b32_e32 v69, 1, v70
	v_lshlrev_b32_e32 v71, 30, v70
	v_lshlrev_b32_e32 v72, 29, v70
	;; [unrolled: 1-line block ×4, first 2 shown]
	v_add_co_u32 v69, s23, v69, -1
	v_cndmask_b32_e64 v184, 0, 1, s23
	v_not_b32_e32 v188, v71
	v_cmp_gt_i32_e64 s23, 0, v71
	v_not_b32_e32 v71, v72
	v_lshlrev_b32_e32 v187, 26, v70
	v_cmp_ne_u32_e32 vcc_lo, 0, v184
	v_ashrrev_i32_e32 v188, 31, v188
	v_lshlrev_b32_e32 v184, 25, v70
	v_ashrrev_i32_e32 v71, 31, v71
	v_xor_b32_e32 v69, vcc_lo, v69
	v_cmp_gt_i32_e32 vcc_lo, 0, v72
	v_not_b32_e32 v72, v185
	v_xor_b32_e32 v188, s23, v188
	v_cmp_gt_i32_e64 s23, 0, v185
	v_and_b32_e32 v69, exec_lo, v69
	v_not_b32_e32 v185, v186
	v_ashrrev_i32_e32 v72, 31, v72
	v_xor_b32_e32 v71, vcc_lo, v71
	v_cmp_gt_i32_e32 vcc_lo, 0, v186
	v_and_b32_e32 v69, v69, v188
	v_not_b32_e32 v186, v187
	v_ashrrev_i32_e32 v185, 31, v185
	v_xor_b32_e32 v72, s23, v72
	v_cmp_gt_i32_e64 s23, 0, v187
	v_and_b32_e32 v69, v69, v71
	v_not_b32_e32 v71, v184
	v_ashrrev_i32_e32 v186, 31, v186
	v_xor_b32_e32 v185, vcc_lo, v185
	v_cmp_gt_i32_e32 vcc_lo, 0, v184
	v_and_b32_e32 v69, v69, v72
	v_ashrrev_i32_e32 v71, 31, v71
	v_xor_b32_e32 v72, s23, v186
	v_mad_u32_u24 v184, v70, 36, v148
	v_mul_u32_u24_e32 v70, 36, v70
	v_and_b32_e32 v69, v69, v185
	v_xor_b32_e32 v71, vcc_lo, v71
	ds_read_b32 v184, v184 offset:544
	v_add_nc_u32_e32 v186, v148, v70
	v_and_b32_e32 v69, v69, v72
	; wave barrier
	v_and_b32_e32 v69, v69, v71
	v_mbcnt_lo_u32_b32 v185, v69, 0
	v_cmp_ne_u32_e64 s23, 0, v69
	v_cmp_eq_u32_e32 vcc_lo, 0, v185
	s_and_b32 s24, s23, vcc_lo
	s_and_saveexec_b32 s23, s24
	s_cbranch_execz .LBB1148_744
; %bb.743:                              ;   in Loop: Header=BB1148_694 Depth=2
	s_waitcnt lgkmcnt(0)
	v_bcnt_u32_b32 v69, v69, v184
	ds_write_b32 v186, v69 offset:544
.LBB1148_744:                           ;   in Loop: Header=BB1148_694 Depth=2
	s_or_b32 exec_lo, exec_lo, s23
	v_cmp_gt_i64_e32 vcc_lo, 0, v[65:66]
	v_ashrrev_i32_e32 v69, 31, v66
	; wave barrier
	v_not_b32_e32 v69, v69
	v_cndmask_b32_e64 v70, 0x7fffffff, 0, vcc_lo
	v_xor_b32_e32 v65, v69, v65
	v_xor_b32_e32 v66, v70, v66
	v_cmp_ne_u64_e32 vcc_lo, s[56:57], v[65:66]
	v_cndmask_b32_e32 v70, 0x7fffffff, v66, vcc_lo
	v_cndmask_b32_e32 v69, -1, v65, vcc_lo
	v_lshrrev_b64 v[69:70], s52, v[69:70]
	v_and_b32_e32 v70, s64, v69
	v_and_b32_e32 v69, 1, v70
	v_lshlrev_b32_e32 v71, 30, v70
	v_lshlrev_b32_e32 v72, 29, v70
	;; [unrolled: 1-line block ×4, first 2 shown]
	v_add_co_u32 v69, s23, v69, -1
	v_cndmask_b32_e64 v187, 0, 1, s23
	v_not_b32_e32 v191, v71
	v_cmp_gt_i32_e64 s23, 0, v71
	v_not_b32_e32 v71, v72
	v_lshlrev_b32_e32 v190, 26, v70
	v_cmp_ne_u32_e32 vcc_lo, 0, v187
	v_ashrrev_i32_e32 v191, 31, v191
	v_lshlrev_b32_e32 v187, 25, v70
	v_ashrrev_i32_e32 v71, 31, v71
	v_xor_b32_e32 v69, vcc_lo, v69
	v_cmp_gt_i32_e32 vcc_lo, 0, v72
	v_not_b32_e32 v72, v188
	v_xor_b32_e32 v191, s23, v191
	v_cmp_gt_i32_e64 s23, 0, v188
	v_and_b32_e32 v69, exec_lo, v69
	v_not_b32_e32 v188, v189
	v_ashrrev_i32_e32 v72, 31, v72
	v_xor_b32_e32 v71, vcc_lo, v71
	v_cmp_gt_i32_e32 vcc_lo, 0, v189
	v_and_b32_e32 v69, v69, v191
	v_not_b32_e32 v189, v190
	v_ashrrev_i32_e32 v188, 31, v188
	v_xor_b32_e32 v72, s23, v72
	v_cmp_gt_i32_e64 s23, 0, v190
	v_and_b32_e32 v69, v69, v71
	v_not_b32_e32 v71, v187
	v_ashrrev_i32_e32 v189, 31, v189
	v_xor_b32_e32 v188, vcc_lo, v188
	v_cmp_gt_i32_e32 vcc_lo, 0, v187
	v_and_b32_e32 v69, v69, v72
	v_ashrrev_i32_e32 v71, 31, v71
	v_xor_b32_e32 v72, s23, v189
	v_mad_u32_u24 v187, v70, 36, v148
	v_mul_u32_u24_e32 v70, 36, v70
	v_and_b32_e32 v69, v69, v188
	v_xor_b32_e32 v71, vcc_lo, v71
	ds_read_b32 v187, v187 offset:544
	v_add_nc_u32_e32 v189, v148, v70
	v_and_b32_e32 v69, v69, v72
	; wave barrier
	v_and_b32_e32 v69, v69, v71
	v_mbcnt_lo_u32_b32 v188, v69, 0
	v_cmp_ne_u32_e64 s23, 0, v69
	v_cmp_eq_u32_e32 vcc_lo, 0, v188
	s_and_b32 s24, s23, vcc_lo
	s_and_saveexec_b32 s23, s24
	s_cbranch_execz .LBB1148_746
; %bb.745:                              ;   in Loop: Header=BB1148_694 Depth=2
	s_waitcnt lgkmcnt(0)
	v_bcnt_u32_b32 v69, v69, v187
	ds_write_b32 v189, v69 offset:544
.LBB1148_746:                           ;   in Loop: Header=BB1148_694 Depth=2
	s_or_b32 exec_lo, exec_lo, s23
	v_cmp_gt_i64_e32 vcc_lo, 0, v[67:68]
	v_ashrrev_i32_e32 v69, 31, v68
	; wave barrier
	v_not_b32_e32 v69, v69
	v_cndmask_b32_e64 v70, 0x7fffffff, 0, vcc_lo
	v_xor_b32_e32 v67, v69, v67
	v_xor_b32_e32 v68, v70, v68
	v_cmp_ne_u64_e32 vcc_lo, s[56:57], v[67:68]
	v_cndmask_b32_e32 v70, 0x7fffffff, v68, vcc_lo
	v_cndmask_b32_e32 v69, -1, v67, vcc_lo
	v_lshrrev_b64 v[69:70], s52, v[69:70]
	v_and_b32_e32 v70, s64, v69
	v_and_b32_e32 v69, 1, v70
	v_lshlrev_b32_e32 v71, 30, v70
	v_lshlrev_b32_e32 v72, 29, v70
	;; [unrolled: 1-line block ×4, first 2 shown]
	v_add_co_u32 v69, s23, v69, -1
	v_cndmask_b32_e64 v190, 0, 1, s23
	v_not_b32_e32 v194, v71
	v_cmp_gt_i32_e64 s23, 0, v71
	v_not_b32_e32 v71, v72
	v_lshlrev_b32_e32 v193, 26, v70
	v_cmp_ne_u32_e32 vcc_lo, 0, v190
	v_ashrrev_i32_e32 v194, 31, v194
	v_lshlrev_b32_e32 v190, 25, v70
	v_ashrrev_i32_e32 v71, 31, v71
	v_xor_b32_e32 v69, vcc_lo, v69
	v_cmp_gt_i32_e32 vcc_lo, 0, v72
	v_not_b32_e32 v72, v191
	v_xor_b32_e32 v194, s23, v194
	v_cmp_gt_i32_e64 s23, 0, v191
	v_and_b32_e32 v69, exec_lo, v69
	v_not_b32_e32 v191, v192
	v_ashrrev_i32_e32 v72, 31, v72
	v_xor_b32_e32 v71, vcc_lo, v71
	v_cmp_gt_i32_e32 vcc_lo, 0, v192
	v_and_b32_e32 v69, v69, v194
	v_not_b32_e32 v192, v193
	v_ashrrev_i32_e32 v191, 31, v191
	v_xor_b32_e32 v72, s23, v72
	v_cmp_gt_i32_e64 s23, 0, v193
	v_and_b32_e32 v69, v69, v71
	v_not_b32_e32 v71, v190
	v_ashrrev_i32_e32 v192, 31, v192
	v_xor_b32_e32 v191, vcc_lo, v191
	v_cmp_gt_i32_e32 vcc_lo, 0, v190
	v_and_b32_e32 v69, v69, v72
	v_ashrrev_i32_e32 v71, 31, v71
	v_xor_b32_e32 v72, s23, v192
	v_mad_u32_u24 v190, v70, 36, v148
	v_mul_u32_u24_e32 v70, 36, v70
	v_and_b32_e32 v69, v69, v191
	v_xor_b32_e32 v71, vcc_lo, v71
	ds_read_b32 v190, v190 offset:544
	v_add_nc_u32_e32 v192, v148, v70
	v_and_b32_e32 v69, v69, v72
	; wave barrier
	v_and_b32_e32 v69, v69, v71
	v_mbcnt_lo_u32_b32 v191, v69, 0
	v_cmp_ne_u32_e64 s23, 0, v69
	v_cmp_eq_u32_e32 vcc_lo, 0, v191
	s_and_b32 s24, s23, vcc_lo
	s_and_saveexec_b32 s23, s24
	s_cbranch_execz .LBB1148_748
; %bb.747:                              ;   in Loop: Header=BB1148_694 Depth=2
	s_waitcnt lgkmcnt(0)
	v_bcnt_u32_b32 v69, v69, v190
	ds_write_b32 v192, v69 offset:544
.LBB1148_748:                           ;   in Loop: Header=BB1148_694 Depth=2
	s_or_b32 exec_lo, exec_lo, s23
	v_cmp_gt_i64_e32 vcc_lo, 0, v[63:64]
	v_ashrrev_i32_e32 v69, 31, v64
	; wave barrier
	v_not_b32_e32 v69, v69
	v_cndmask_b32_e64 v70, 0x7fffffff, 0, vcc_lo
	v_xor_b32_e32 v63, v69, v63
	v_xor_b32_e32 v64, v70, v64
	v_cmp_ne_u64_e32 vcc_lo, s[56:57], v[63:64]
	v_cndmask_b32_e32 v70, 0x7fffffff, v64, vcc_lo
	v_cndmask_b32_e32 v69, -1, v63, vcc_lo
	v_lshrrev_b64 v[69:70], s52, v[69:70]
	v_and_b32_e32 v70, s64, v69
	v_and_b32_e32 v69, 1, v70
	v_lshlrev_b32_e32 v71, 30, v70
	v_lshlrev_b32_e32 v72, 29, v70
	;; [unrolled: 1-line block ×4, first 2 shown]
	v_add_co_u32 v69, s23, v69, -1
	v_cndmask_b32_e64 v193, 0, 1, s23
	v_not_b32_e32 v197, v71
	v_cmp_gt_i32_e64 s23, 0, v71
	v_not_b32_e32 v71, v72
	v_lshlrev_b32_e32 v196, 26, v70
	v_cmp_ne_u32_e32 vcc_lo, 0, v193
	v_ashrrev_i32_e32 v197, 31, v197
	v_lshlrev_b32_e32 v193, 25, v70
	v_ashrrev_i32_e32 v71, 31, v71
	v_xor_b32_e32 v69, vcc_lo, v69
	v_cmp_gt_i32_e32 vcc_lo, 0, v72
	v_not_b32_e32 v72, v194
	v_xor_b32_e32 v197, s23, v197
	v_cmp_gt_i32_e64 s23, 0, v194
	v_and_b32_e32 v69, exec_lo, v69
	v_not_b32_e32 v194, v195
	v_ashrrev_i32_e32 v72, 31, v72
	v_xor_b32_e32 v71, vcc_lo, v71
	v_cmp_gt_i32_e32 vcc_lo, 0, v195
	v_and_b32_e32 v69, v69, v197
	v_not_b32_e32 v195, v196
	v_ashrrev_i32_e32 v194, 31, v194
	v_xor_b32_e32 v72, s23, v72
	v_cmp_gt_i32_e64 s23, 0, v196
	v_and_b32_e32 v69, v69, v71
	v_not_b32_e32 v71, v193
	v_ashrrev_i32_e32 v195, 31, v195
	v_xor_b32_e32 v194, vcc_lo, v194
	v_cmp_gt_i32_e32 vcc_lo, 0, v193
	v_and_b32_e32 v69, v69, v72
	v_ashrrev_i32_e32 v71, 31, v71
	v_xor_b32_e32 v72, s23, v195
	v_mad_u32_u24 v193, v70, 36, v148
	v_mul_u32_u24_e32 v70, 36, v70
	v_and_b32_e32 v69, v69, v194
	v_xor_b32_e32 v71, vcc_lo, v71
	ds_read_b32 v193, v193 offset:544
	v_add_nc_u32_e32 v195, v148, v70
	v_and_b32_e32 v69, v69, v72
	; wave barrier
	v_and_b32_e32 v69, v69, v71
	v_mbcnt_lo_u32_b32 v194, v69, 0
	v_cmp_ne_u32_e64 s23, 0, v69
	v_cmp_eq_u32_e32 vcc_lo, 0, v194
	s_and_b32 s24, s23, vcc_lo
	s_and_saveexec_b32 s23, s24
	s_cbranch_execz .LBB1148_750
; %bb.749:                              ;   in Loop: Header=BB1148_694 Depth=2
	s_waitcnt lgkmcnt(0)
	v_bcnt_u32_b32 v69, v69, v193
	ds_write_b32 v195, v69 offset:544
.LBB1148_750:                           ;   in Loop: Header=BB1148_694 Depth=2
	s_or_b32 exec_lo, exec_lo, s23
	v_cmp_gt_i64_e32 vcc_lo, 0, v[59:60]
	v_ashrrev_i32_e32 v69, 31, v60
	; wave barrier
	v_not_b32_e32 v69, v69
	v_cndmask_b32_e64 v70, 0x7fffffff, 0, vcc_lo
	v_xor_b32_e32 v59, v69, v59
	v_xor_b32_e32 v60, v70, v60
	v_cmp_ne_u64_e32 vcc_lo, s[56:57], v[59:60]
	v_cndmask_b32_e32 v70, 0x7fffffff, v60, vcc_lo
	v_cndmask_b32_e32 v69, -1, v59, vcc_lo
	v_lshrrev_b64 v[69:70], s52, v[69:70]
	v_and_b32_e32 v70, s64, v69
	v_and_b32_e32 v69, 1, v70
	v_lshlrev_b32_e32 v71, 30, v70
	v_lshlrev_b32_e32 v72, 29, v70
	;; [unrolled: 1-line block ×4, first 2 shown]
	v_add_co_u32 v69, s23, v69, -1
	v_cndmask_b32_e64 v196, 0, 1, s23
	v_not_b32_e32 v200, v71
	v_cmp_gt_i32_e64 s23, 0, v71
	v_not_b32_e32 v71, v72
	v_lshlrev_b32_e32 v199, 26, v70
	v_cmp_ne_u32_e32 vcc_lo, 0, v196
	v_ashrrev_i32_e32 v200, 31, v200
	v_lshlrev_b32_e32 v196, 25, v70
	v_ashrrev_i32_e32 v71, 31, v71
	v_xor_b32_e32 v69, vcc_lo, v69
	v_cmp_gt_i32_e32 vcc_lo, 0, v72
	v_not_b32_e32 v72, v197
	v_xor_b32_e32 v200, s23, v200
	v_cmp_gt_i32_e64 s23, 0, v197
	v_and_b32_e32 v69, exec_lo, v69
	v_not_b32_e32 v197, v198
	v_ashrrev_i32_e32 v72, 31, v72
	v_xor_b32_e32 v71, vcc_lo, v71
	v_cmp_gt_i32_e32 vcc_lo, 0, v198
	v_and_b32_e32 v69, v69, v200
	v_not_b32_e32 v198, v199
	v_ashrrev_i32_e32 v197, 31, v197
	v_xor_b32_e32 v72, s23, v72
	v_cmp_gt_i32_e64 s23, 0, v199
	v_and_b32_e32 v69, v69, v71
	v_not_b32_e32 v71, v196
	v_ashrrev_i32_e32 v198, 31, v198
	v_xor_b32_e32 v197, vcc_lo, v197
	v_cmp_gt_i32_e32 vcc_lo, 0, v196
	v_and_b32_e32 v69, v69, v72
	v_ashrrev_i32_e32 v71, 31, v71
	v_xor_b32_e32 v72, s23, v198
	v_mad_u32_u24 v196, v70, 36, v148
	v_mul_u32_u24_e32 v70, 36, v70
	v_and_b32_e32 v69, v69, v197
	v_xor_b32_e32 v71, vcc_lo, v71
	ds_read_b32 v196, v196 offset:544
	v_add_nc_u32_e32 v200, v148, v70
	v_and_b32_e32 v69, v69, v72
	; wave barrier
	v_and_b32_e32 v69, v69, v71
	v_mbcnt_lo_u32_b32 v197, v69, 0
	v_cmp_ne_u32_e64 s23, 0, v69
	v_cmp_eq_u32_e32 vcc_lo, 0, v197
	s_and_b32 s24, s23, vcc_lo
	s_and_saveexec_b32 s23, s24
	s_cbranch_execz .LBB1148_752
; %bb.751:                              ;   in Loop: Header=BB1148_694 Depth=2
	s_waitcnt lgkmcnt(0)
	v_bcnt_u32_b32 v69, v69, v196
	ds_write_b32 v200, v69 offset:544
.LBB1148_752:                           ;   in Loop: Header=BB1148_694 Depth=2
	s_or_b32 exec_lo, exec_lo, s23
	v_cmp_gt_i64_e32 vcc_lo, 0, v[55:56]
	v_ashrrev_i32_e32 v69, 31, v56
	; wave barrier
	v_not_b32_e32 v69, v69
	v_cndmask_b32_e64 v70, 0x7fffffff, 0, vcc_lo
	v_xor_b32_e32 v55, v69, v55
	v_xor_b32_e32 v56, v70, v56
	v_cmp_ne_u64_e32 vcc_lo, s[56:57], v[55:56]
	v_cndmask_b32_e32 v70, 0x7fffffff, v56, vcc_lo
	v_cndmask_b32_e32 v69, -1, v55, vcc_lo
	v_lshrrev_b64 v[69:70], s52, v[69:70]
	v_and_b32_e32 v70, s64, v69
	v_and_b32_e32 v69, 1, v70
	v_lshlrev_b32_e32 v71, 30, v70
	v_lshlrev_b32_e32 v72, 29, v70
	v_lshlrev_b32_e32 v199, 28, v70
	v_lshlrev_b32_e32 v201, 27, v70
	v_add_co_u32 v69, s23, v69, -1
	v_cndmask_b32_e64 v198, 0, 1, s23
	v_not_b32_e32 v203, v71
	v_cmp_gt_i32_e64 s23, 0, v71
	v_not_b32_e32 v71, v72
	v_lshlrev_b32_e32 v202, 26, v70
	v_cmp_ne_u32_e32 vcc_lo, 0, v198
	v_ashrrev_i32_e32 v203, 31, v203
	v_lshlrev_b32_e32 v198, 25, v70
	v_ashrrev_i32_e32 v71, 31, v71
	v_xor_b32_e32 v69, vcc_lo, v69
	v_cmp_gt_i32_e32 vcc_lo, 0, v72
	v_not_b32_e32 v72, v199
	v_xor_b32_e32 v203, s23, v203
	v_cmp_gt_i32_e64 s23, 0, v199
	v_and_b32_e32 v69, exec_lo, v69
	v_not_b32_e32 v199, v201
	v_ashrrev_i32_e32 v72, 31, v72
	v_xor_b32_e32 v71, vcc_lo, v71
	v_cmp_gt_i32_e32 vcc_lo, 0, v201
	v_and_b32_e32 v69, v69, v203
	v_not_b32_e32 v201, v202
	v_ashrrev_i32_e32 v199, 31, v199
	v_xor_b32_e32 v72, s23, v72
	v_cmp_gt_i32_e64 s23, 0, v202
	v_and_b32_e32 v69, v69, v71
	v_not_b32_e32 v71, v198
	v_ashrrev_i32_e32 v201, 31, v201
	v_xor_b32_e32 v199, vcc_lo, v199
	v_cmp_gt_i32_e32 vcc_lo, 0, v198
	v_and_b32_e32 v69, v69, v72
	v_ashrrev_i32_e32 v71, 31, v71
	v_xor_b32_e32 v72, s23, v201
	v_mad_u32_u24 v198, v70, 36, v148
	v_mul_u32_u24_e32 v70, 36, v70
	v_and_b32_e32 v69, v69, v199
	v_xor_b32_e32 v71, vcc_lo, v71
	ds_read_b32 v198, v198 offset:544
	v_add_nc_u32_e32 v203, v148, v70
	v_and_b32_e32 v69, v69, v72
	; wave barrier
	v_and_b32_e32 v69, v69, v71
	v_mbcnt_lo_u32_b32 v199, v69, 0
	v_cmp_ne_u32_e64 s23, 0, v69
	v_cmp_eq_u32_e32 vcc_lo, 0, v199
	s_and_b32 s24, s23, vcc_lo
	s_and_saveexec_b32 s23, s24
	s_cbranch_execz .LBB1148_754
; %bb.753:                              ;   in Loop: Header=BB1148_694 Depth=2
	s_waitcnt lgkmcnt(0)
	v_bcnt_u32_b32 v69, v69, v198
	ds_write_b32 v203, v69 offset:544
.LBB1148_754:                           ;   in Loop: Header=BB1148_694 Depth=2
	s_or_b32 exec_lo, exec_lo, s23
	v_cmp_gt_i64_e32 vcc_lo, 0, v[51:52]
	v_ashrrev_i32_e32 v69, 31, v52
	; wave barrier
	v_not_b32_e32 v69, v69
	v_cndmask_b32_e64 v70, 0x7fffffff, 0, vcc_lo
	v_xor_b32_e32 v51, v69, v51
	v_xor_b32_e32 v52, v70, v52
	v_cmp_ne_u64_e32 vcc_lo, s[56:57], v[51:52]
	v_cndmask_b32_e32 v70, 0x7fffffff, v52, vcc_lo
	v_cndmask_b32_e32 v69, -1, v51, vcc_lo
	v_lshrrev_b64 v[69:70], s52, v[69:70]
	v_and_b32_e32 v70, s64, v69
	v_and_b32_e32 v69, 1, v70
	v_lshlrev_b32_e32 v71, 30, v70
	v_lshlrev_b32_e32 v72, 29, v70
	;; [unrolled: 1-line block ×4, first 2 shown]
	v_add_co_u32 v69, s23, v69, -1
	v_cndmask_b32_e64 v201, 0, 1, s23
	v_not_b32_e32 v206, v71
	v_cmp_gt_i32_e64 s23, 0, v71
	v_not_b32_e32 v71, v72
	v_lshlrev_b32_e32 v205, 26, v70
	v_cmp_ne_u32_e32 vcc_lo, 0, v201
	v_ashrrev_i32_e32 v206, 31, v206
	v_lshlrev_b32_e32 v201, 25, v70
	v_ashrrev_i32_e32 v71, 31, v71
	v_xor_b32_e32 v69, vcc_lo, v69
	v_cmp_gt_i32_e32 vcc_lo, 0, v72
	v_not_b32_e32 v72, v202
	v_xor_b32_e32 v206, s23, v206
	v_cmp_gt_i32_e64 s23, 0, v202
	v_and_b32_e32 v69, exec_lo, v69
	v_not_b32_e32 v202, v204
	v_ashrrev_i32_e32 v72, 31, v72
	v_xor_b32_e32 v71, vcc_lo, v71
	v_cmp_gt_i32_e32 vcc_lo, 0, v204
	v_and_b32_e32 v69, v69, v206
	v_not_b32_e32 v204, v205
	v_ashrrev_i32_e32 v202, 31, v202
	v_xor_b32_e32 v72, s23, v72
	v_cmp_gt_i32_e64 s23, 0, v205
	v_and_b32_e32 v69, v69, v71
	v_not_b32_e32 v71, v201
	v_ashrrev_i32_e32 v204, 31, v204
	v_xor_b32_e32 v202, vcc_lo, v202
	v_cmp_gt_i32_e32 vcc_lo, 0, v201
	v_and_b32_e32 v69, v69, v72
	v_ashrrev_i32_e32 v71, 31, v71
	v_xor_b32_e32 v72, s23, v204
	v_mad_u32_u24 v201, v70, 36, v148
	v_mul_u32_u24_e32 v70, 36, v70
	v_and_b32_e32 v69, v69, v202
	v_xor_b32_e32 v71, vcc_lo, v71
	ds_read_b32 v201, v201 offset:544
	v_add_nc_u32_e32 v206, v148, v70
	v_and_b32_e32 v69, v69, v72
	; wave barrier
	v_and_b32_e32 v69, v69, v71
	v_mbcnt_lo_u32_b32 v202, v69, 0
	v_cmp_ne_u32_e64 s23, 0, v69
	v_cmp_eq_u32_e32 vcc_lo, 0, v202
	s_and_b32 s24, s23, vcc_lo
	s_and_saveexec_b32 s23, s24
	s_cbranch_execz .LBB1148_756
; %bb.755:                              ;   in Loop: Header=BB1148_694 Depth=2
	s_waitcnt lgkmcnt(0)
	v_bcnt_u32_b32 v69, v69, v201
	ds_write_b32 v206, v69 offset:544
.LBB1148_756:                           ;   in Loop: Header=BB1148_694 Depth=2
	s_or_b32 exec_lo, exec_lo, s23
	v_cmp_gt_i64_e32 vcc_lo, 0, v[47:48]
	v_ashrrev_i32_e32 v69, 31, v48
	; wave barrier
	v_not_b32_e32 v69, v69
	v_cndmask_b32_e64 v70, 0x7fffffff, 0, vcc_lo
	v_xor_b32_e32 v47, v69, v47
	v_xor_b32_e32 v48, v70, v48
	v_cmp_ne_u64_e32 vcc_lo, s[56:57], v[47:48]
	v_cndmask_b32_e32 v70, 0x7fffffff, v48, vcc_lo
	v_cndmask_b32_e32 v69, -1, v47, vcc_lo
	v_lshrrev_b64 v[69:70], s52, v[69:70]
	v_and_b32_e32 v70, s64, v69
	v_and_b32_e32 v69, 1, v70
	v_lshlrev_b32_e32 v71, 30, v70
	v_lshlrev_b32_e32 v72, 29, v70
	;; [unrolled: 1-line block ×4, first 2 shown]
	v_add_co_u32 v69, s23, v69, -1
	v_cndmask_b32_e64 v204, 0, 1, s23
	v_not_b32_e32 v209, v71
	v_cmp_gt_i32_e64 s23, 0, v71
	v_not_b32_e32 v71, v72
	v_lshlrev_b32_e32 v208, 26, v70
	v_cmp_ne_u32_e32 vcc_lo, 0, v204
	v_ashrrev_i32_e32 v209, 31, v209
	v_lshlrev_b32_e32 v204, 25, v70
	v_ashrrev_i32_e32 v71, 31, v71
	v_xor_b32_e32 v69, vcc_lo, v69
	v_cmp_gt_i32_e32 vcc_lo, 0, v72
	v_not_b32_e32 v72, v205
	v_xor_b32_e32 v209, s23, v209
	v_cmp_gt_i32_e64 s23, 0, v205
	v_and_b32_e32 v69, exec_lo, v69
	v_not_b32_e32 v205, v207
	v_ashrrev_i32_e32 v72, 31, v72
	v_xor_b32_e32 v71, vcc_lo, v71
	v_cmp_gt_i32_e32 vcc_lo, 0, v207
	v_and_b32_e32 v69, v69, v209
	v_not_b32_e32 v207, v208
	v_ashrrev_i32_e32 v205, 31, v205
	v_xor_b32_e32 v72, s23, v72
	v_cmp_gt_i32_e64 s23, 0, v208
	v_and_b32_e32 v69, v69, v71
	v_not_b32_e32 v71, v204
	v_ashrrev_i32_e32 v207, 31, v207
	v_xor_b32_e32 v205, vcc_lo, v205
	v_cmp_gt_i32_e32 vcc_lo, 0, v204
	v_and_b32_e32 v69, v69, v72
	v_ashrrev_i32_e32 v71, 31, v71
	v_xor_b32_e32 v72, s23, v207
	v_mad_u32_u24 v204, v70, 36, v148
	v_mul_u32_u24_e32 v70, 36, v70
	v_and_b32_e32 v69, v69, v205
	v_xor_b32_e32 v71, vcc_lo, v71
	ds_read_b32 v204, v204 offset:544
	v_add_nc_u32_e32 v209, v148, v70
	v_and_b32_e32 v69, v69, v72
	; wave barrier
	v_and_b32_e32 v69, v69, v71
	v_mbcnt_lo_u32_b32 v205, v69, 0
	v_cmp_ne_u32_e64 s23, 0, v69
	v_cmp_eq_u32_e32 vcc_lo, 0, v205
	s_and_b32 s24, s23, vcc_lo
	s_and_saveexec_b32 s23, s24
	s_cbranch_execz .LBB1148_758
; %bb.757:                              ;   in Loop: Header=BB1148_694 Depth=2
	s_waitcnt lgkmcnt(0)
	v_bcnt_u32_b32 v69, v69, v204
	ds_write_b32 v209, v69 offset:544
.LBB1148_758:                           ;   in Loop: Header=BB1148_694 Depth=2
	s_or_b32 exec_lo, exec_lo, s23
	v_cmp_gt_i64_e32 vcc_lo, 0, v[43:44]
	v_ashrrev_i32_e32 v69, 31, v44
	; wave barrier
	v_not_b32_e32 v69, v69
	v_cndmask_b32_e64 v70, 0x7fffffff, 0, vcc_lo
	v_xor_b32_e32 v43, v69, v43
	v_xor_b32_e32 v44, v70, v44
	v_cmp_ne_u64_e32 vcc_lo, s[56:57], v[43:44]
	v_cndmask_b32_e32 v70, 0x7fffffff, v44, vcc_lo
	v_cndmask_b32_e32 v69, -1, v43, vcc_lo
	v_lshrrev_b64 v[69:70], s52, v[69:70]
	v_and_b32_e32 v70, s64, v69
	v_and_b32_e32 v69, 1, v70
	v_lshlrev_b32_e32 v71, 30, v70
	v_lshlrev_b32_e32 v72, 29, v70
	;; [unrolled: 1-line block ×4, first 2 shown]
	v_add_co_u32 v69, s23, v69, -1
	v_cndmask_b32_e64 v207, 0, 1, s23
	v_not_b32_e32 v212, v71
	v_cmp_gt_i32_e64 s23, 0, v71
	v_not_b32_e32 v71, v72
	v_lshlrev_b32_e32 v211, 26, v70
	v_cmp_ne_u32_e32 vcc_lo, 0, v207
	v_ashrrev_i32_e32 v212, 31, v212
	v_lshlrev_b32_e32 v207, 25, v70
	v_ashrrev_i32_e32 v71, 31, v71
	v_xor_b32_e32 v69, vcc_lo, v69
	v_cmp_gt_i32_e32 vcc_lo, 0, v72
	v_not_b32_e32 v72, v208
	v_xor_b32_e32 v212, s23, v212
	v_cmp_gt_i32_e64 s23, 0, v208
	v_and_b32_e32 v69, exec_lo, v69
	v_not_b32_e32 v208, v210
	v_ashrrev_i32_e32 v72, 31, v72
	v_xor_b32_e32 v71, vcc_lo, v71
	v_cmp_gt_i32_e32 vcc_lo, 0, v210
	v_and_b32_e32 v69, v69, v212
	v_not_b32_e32 v210, v211
	v_ashrrev_i32_e32 v208, 31, v208
	v_xor_b32_e32 v72, s23, v72
	v_cmp_gt_i32_e64 s23, 0, v211
	v_and_b32_e32 v69, v69, v71
	v_not_b32_e32 v71, v207
	v_ashrrev_i32_e32 v210, 31, v210
	v_xor_b32_e32 v208, vcc_lo, v208
	v_cmp_gt_i32_e32 vcc_lo, 0, v207
	v_and_b32_e32 v69, v69, v72
	v_ashrrev_i32_e32 v71, 31, v71
	v_xor_b32_e32 v72, s23, v210
	v_mad_u32_u24 v207, v70, 36, v148
	v_mul_u32_u24_e32 v70, 36, v70
	v_and_b32_e32 v69, v69, v208
	v_xor_b32_e32 v71, vcc_lo, v71
	ds_read_b32 v207, v207 offset:544
	v_add_nc_u32_e32 v212, v148, v70
	v_and_b32_e32 v69, v69, v72
	; wave barrier
	v_and_b32_e32 v69, v69, v71
	v_mbcnt_lo_u32_b32 v208, v69, 0
	v_cmp_ne_u32_e64 s23, 0, v69
	v_cmp_eq_u32_e32 vcc_lo, 0, v208
	s_and_b32 s24, s23, vcc_lo
	s_and_saveexec_b32 s23, s24
	s_cbranch_execz .LBB1148_760
; %bb.759:                              ;   in Loop: Header=BB1148_694 Depth=2
	s_waitcnt lgkmcnt(0)
	v_bcnt_u32_b32 v69, v69, v207
	ds_write_b32 v212, v69 offset:544
.LBB1148_760:                           ;   in Loop: Header=BB1148_694 Depth=2
	s_or_b32 exec_lo, exec_lo, s23
	v_cmp_gt_i64_e32 vcc_lo, 0, v[45:46]
	v_ashrrev_i32_e32 v69, 31, v46
	; wave barrier
	v_not_b32_e32 v69, v69
	v_cndmask_b32_e64 v70, 0x7fffffff, 0, vcc_lo
	v_xor_b32_e32 v45, v69, v45
	v_xor_b32_e32 v46, v70, v46
	v_cmp_ne_u64_e32 vcc_lo, s[56:57], v[45:46]
	v_cndmask_b32_e32 v70, 0x7fffffff, v46, vcc_lo
	v_cndmask_b32_e32 v69, -1, v45, vcc_lo
	v_lshrrev_b64 v[69:70], s52, v[69:70]
	v_and_b32_e32 v70, s64, v69
	v_and_b32_e32 v69, 1, v70
	v_lshlrev_b32_e32 v71, 30, v70
	v_lshlrev_b32_e32 v72, 29, v70
	v_lshlrev_b32_e32 v211, 28, v70
	v_lshlrev_b32_e32 v213, 27, v70
	v_add_co_u32 v69, s23, v69, -1
	v_cndmask_b32_e64 v210, 0, 1, s23
	v_not_b32_e32 v215, v71
	v_cmp_gt_i32_e64 s23, 0, v71
	v_not_b32_e32 v71, v72
	v_lshlrev_b32_e32 v214, 26, v70
	v_cmp_ne_u32_e32 vcc_lo, 0, v210
	v_ashrrev_i32_e32 v215, 31, v215
	v_lshlrev_b32_e32 v210, 25, v70
	v_ashrrev_i32_e32 v71, 31, v71
	v_xor_b32_e32 v69, vcc_lo, v69
	v_cmp_gt_i32_e32 vcc_lo, 0, v72
	v_not_b32_e32 v72, v211
	v_xor_b32_e32 v215, s23, v215
	v_cmp_gt_i32_e64 s23, 0, v211
	v_and_b32_e32 v69, exec_lo, v69
	v_not_b32_e32 v211, v213
	v_ashrrev_i32_e32 v72, 31, v72
	v_xor_b32_e32 v71, vcc_lo, v71
	v_cmp_gt_i32_e32 vcc_lo, 0, v213
	v_and_b32_e32 v69, v69, v215
	v_not_b32_e32 v213, v214
	v_ashrrev_i32_e32 v211, 31, v211
	v_xor_b32_e32 v72, s23, v72
	v_cmp_gt_i32_e64 s23, 0, v214
	v_and_b32_e32 v69, v69, v71
	v_not_b32_e32 v71, v210
	v_ashrrev_i32_e32 v213, 31, v213
	v_xor_b32_e32 v211, vcc_lo, v211
	v_cmp_gt_i32_e32 vcc_lo, 0, v210
	v_and_b32_e32 v69, v69, v72
	v_ashrrev_i32_e32 v71, 31, v71
	v_xor_b32_e32 v72, s23, v213
	v_mad_u32_u24 v210, v70, 36, v148
	v_mul_u32_u24_e32 v70, 36, v70
	v_and_b32_e32 v69, v69, v211
	v_xor_b32_e32 v71, vcc_lo, v71
	ds_read_b32 v210, v210 offset:544
	v_add_nc_u32_e32 v213, v148, v70
	v_and_b32_e32 v69, v69, v72
	; wave barrier
	v_and_b32_e32 v69, v69, v71
	v_mbcnt_lo_u32_b32 v211, v69, 0
	v_cmp_ne_u32_e64 s23, 0, v69
	v_cmp_eq_u32_e32 vcc_lo, 0, v211
	s_and_b32 s24, s23, vcc_lo
	s_and_saveexec_b32 s23, s24
	s_cbranch_execz .LBB1148_762
; %bb.761:                              ;   in Loop: Header=BB1148_694 Depth=2
	s_waitcnt lgkmcnt(0)
	v_bcnt_u32_b32 v69, v69, v210
	ds_write_b32 v213, v69 offset:544
.LBB1148_762:                           ;   in Loop: Header=BB1148_694 Depth=2
	s_or_b32 exec_lo, exec_lo, s23
	; wave barrier
	s_waitcnt lgkmcnt(0)
	s_barrier
	buffer_gl0_inv
	ds_read2_b32 v[71:72], v98 offset0:136 offset1:137
	ds_read2_b32 v[69:70], v98 offset0:138 offset1:139
	ds_read_b32 v214, v98 offset:560
	s_waitcnt lgkmcnt(1)
	v_add3_u32 v215, v72, v71, v69
	s_waitcnt lgkmcnt(0)
	v_add3_u32 v214, v215, v70, v214
	v_mov_b32_dpp v215, v214 row_shr:1 row_mask:0xf bank_mask:0xf
	v_cndmask_b32_e64 v215, v215, 0, s14
	v_add_nc_u32_e32 v214, v215, v214
	v_mov_b32_dpp v215, v214 row_shr:2 row_mask:0xf bank_mask:0xf
	v_cndmask_b32_e64 v215, 0, v215, s15
	v_add_nc_u32_e32 v214, v214, v215
	;; [unrolled: 3-line block ×4, first 2 shown]
	ds_swizzle_b32 v215, v214 offset:swizzle(BROADCAST,32,15)
	s_waitcnt lgkmcnt(0)
	v_cndmask_b32_e64 v215, v215, 0, s18
	v_add_nc_u32_e32 v214, v214, v215
	s_and_saveexec_b32 s23, s4
; %bb.763:                              ;   in Loop: Header=BB1148_694 Depth=2
	ds_write_b32 v92, v214 offset:512
; %bb.764:                              ;   in Loop: Header=BB1148_694 Depth=2
	s_or_b32 exec_lo, exec_lo, s23
	s_waitcnt lgkmcnt(0)
	s_barrier
	buffer_gl0_inv
	s_and_saveexec_b32 s23, s5
	s_cbranch_execz .LBB1148_766
; %bb.765:                              ;   in Loop: Header=BB1148_694 Depth=2
	ds_read_b32 v215, v99 offset:512
	s_waitcnt lgkmcnt(0)
	v_mov_b32_dpp v216, v215 row_shr:1 row_mask:0xf bank_mask:0xf
	v_cndmask_b32_e64 v216, v216, 0, s20
	v_add_nc_u32_e32 v215, v216, v215
	v_mov_b32_dpp v216, v215 row_shr:2 row_mask:0xf bank_mask:0xf
	v_cndmask_b32_e64 v216, 0, v216, s21
	v_add_nc_u32_e32 v215, v215, v216
	;; [unrolled: 3-line block ×3, first 2 shown]
	ds_write_b32 v99, v215 offset:512
.LBB1148_766:                           ;   in Loop: Header=BB1148_694 Depth=2
	s_or_b32 exec_lo, exec_lo, s23
	v_mov_b32_e32 v215, 0
	s_waitcnt lgkmcnt(0)
	s_barrier
	buffer_gl0_inv
	s_and_saveexec_b32 s23, s11
; %bb.767:                              ;   in Loop: Header=BB1148_694 Depth=2
	ds_read_b32 v215, v92 offset:508
; %bb.768:                              ;   in Loop: Header=BB1148_694 Depth=2
	s_or_b32 exec_lo, exec_lo, s23
	s_waitcnt lgkmcnt(0)
	v_add_nc_u32_e32 v214, v215, v214
	ds_bpermute_b32 v214, v127, v214
	s_waitcnt lgkmcnt(0)
	v_cndmask_b32_e64 v214, v214, v215, s19
	v_cndmask_b32_e64 v214, v214, 0, s12
	v_add_nc_u32_e32 v71, v214, v71
	v_add_nc_u32_e32 v72, v71, v72
	;; [unrolled: 1-line block ×4, first 2 shown]
	ds_write2_b32 v98, v214, v71 offset0:136 offset1:137
	ds_write2_b32 v98, v72, v69 offset0:138 offset1:139
	ds_write_b32 v98, v70 offset:560
	s_waitcnt lgkmcnt(0)
	s_barrier
	buffer_gl0_inv
	ds_read_b32 v69, v168 offset:544
	ds_read_b32 v217, v171 offset:544
	;; [unrolled: 1-line block ×16, first 2 shown]
	s_and_saveexec_b32 s23, s8
	s_cbranch_execz .LBB1148_772
; %bb.769:                              ;   in Loop: Header=BB1148_694 Depth=2
	ds_read_b32 v156, v101 offset:544
	v_mov_b32_e32 v166, 0x1000
	s_and_saveexec_b32 s24, s13
; %bb.770:                              ;   in Loop: Header=BB1148_694 Depth=2
	ds_read_b32 v166, v100 offset:544
; %bb.771:                              ;   in Loop: Header=BB1148_694 Depth=2
	s_or_b32 exec_lo, exec_lo, s24
	s_waitcnt lgkmcnt(0)
	v_sub_nc_u32_e32 v166, v166, v156
.LBB1148_772:                           ;   in Loop: Header=BB1148_694 Depth=2
	s_or_b32 exec_lo, exec_lo, s23
	s_waitcnt lgkmcnt(0)
	s_barrier
	buffer_gl0_inv
	s_and_saveexec_b32 s23, s8
	s_cbranch_execz .LBB1148_774
; %bb.773:                              ;   in Loop: Header=BB1148_694 Depth=2
	ds_read_b32 v192, v73
	s_waitcnt lgkmcnt(0)
	v_sub_nc_u32_e32 v192, v192, v156
	ds_write_b32 v73, v192
.LBB1148_774:                           ;   in Loop: Header=BB1148_694 Depth=2
	s_or_b32 exec_lo, exec_lo, s23
	v_lshlrev_b32_e32 v3, 3, v3
	v_lshlrev_b32_e32 v170, 3, v170
	;; [unrolled: 1-line block ×5, first 2 shown]
	v_lshl_add_u32 v69, v69, 3, v3
	v_lshlrev_b32_e32 v3, 3, v172
	v_lshlrev_b32_e32 v172, 3, v70
	;; [unrolled: 1-line block ×3, first 2 shown]
	v_add3_u32 v70, v170, v169, v192
	ds_write_b64 v69, v[37:38] offset:512
	v_lshlrev_b32_e32 v37, 3, v175
	v_lshlrev_b32_e32 v38, 3, v216
	;; [unrolled: 1-line block ×8, first 2 shown]
	ds_write_b64 v70, v[39:40] offset:512
	v_add3_u32 v39, v173, v3, v172
	v_add3_u32 v40, v176, v37, v38
	v_lshlrev_b32_e32 v3, 3, v185
	v_lshlrev_b32_e32 v37, 3, v184
	;; [unrolled: 1-line block ×3, first 2 shown]
	v_add3_u32 v71, v169, v170, v72
	v_add3_u32 v72, v175, v178, v179
	ds_write_b64 v39, v[41:42] offset:512
	ds_write_b64 v40, v[49:50] offset:512
	;; [unrolled: 1-line block ×4, first 2 shown]
	v_add3_u32 v41, v3, v37, v38
	v_lshlrev_b32_e32 v3, 3, v188
	v_lshlrev_b32_e32 v37, 3, v187
	;; [unrolled: 1-line block ×12, first 2 shown]
	v_add3_u32 v42, v3, v37, v38
	v_lshlrev_b32_e32 v3, 3, v199
	v_lshlrev_b32_e32 v37, 3, v198
	;; [unrolled: 1-line block ×3, first 2 shown]
	v_add3_u32 v49, v49, v50, v53
	v_add3_u32 v50, v54, v57, v58
	;; [unrolled: 1-line block ×3, first 2 shown]
	ds_write_b64 v41, v[61:62] offset:512
	ds_write_b64 v42, v[65:66] offset:512
	;; [unrolled: 1-line block ×5, first 2 shown]
	v_add3_u32 v54, v3, v37, v38
	v_lshlrev_b32_e32 v3, 3, v202
	v_lshlrev_b32_e32 v37, 3, v201
	;; [unrolled: 1-line block ×12, first 2 shown]
	v_add3_u32 v57, v3, v37, v38
	v_add3_u32 v58, v58, v59, v60
	;; [unrolled: 1-line block ×3, first 2 shown]
	ds_write_b64 v54, v[55:56] offset:512
	v_add3_u32 v55, v64, v65, v66
	v_cmp_lt_u32_e32 vcc_lo, v0, v167
	ds_write_b64 v57, v[51:52] offset:512
	ds_write_b64 v58, v[47:48] offset:512
	;; [unrolled: 1-line block ×4, first 2 shown]
	s_waitcnt lgkmcnt(0)
	s_barrier
	buffer_gl0_inv
	s_and_saveexec_b32 s24, vcc_lo
	s_cbranch_execnz .LBB1148_843
; %bb.775:                              ;   in Loop: Header=BB1148_694 Depth=2
	s_or_b32 exec_lo, exec_lo, s24
	v_cmp_lt_u32_e64 s23, v74, v167
	s_and_saveexec_b32 s25, s23
	s_cbranch_execnz .LBB1148_844
.LBB1148_776:                           ;   in Loop: Header=BB1148_694 Depth=2
	s_or_b32 exec_lo, exec_lo, s25
	v_cmp_lt_u32_e64 s24, v77, v167
	s_and_saveexec_b32 s26, s24
	s_cbranch_execnz .LBB1148_845
.LBB1148_777:                           ;   in Loop: Header=BB1148_694 Depth=2
	s_or_b32 exec_lo, exec_lo, s26
	v_cmp_lt_u32_e64 s25, v78, v167
	s_and_saveexec_b32 s27, s25
	s_cbranch_execnz .LBB1148_846
.LBB1148_778:                           ;   in Loop: Header=BB1148_694 Depth=2
	s_or_b32 exec_lo, exec_lo, s27
	v_cmp_lt_u32_e64 s26, v79, v167
	s_and_saveexec_b32 s28, s26
	s_cbranch_execnz .LBB1148_847
.LBB1148_779:                           ;   in Loop: Header=BB1148_694 Depth=2
	s_or_b32 exec_lo, exec_lo, s28
	v_cmp_lt_u32_e64 s27, v80, v167
	s_and_saveexec_b32 s29, s27
	s_cbranch_execnz .LBB1148_848
.LBB1148_780:                           ;   in Loop: Header=BB1148_694 Depth=2
	s_or_b32 exec_lo, exec_lo, s29
	v_cmp_lt_u32_e64 s28, v81, v167
	s_and_saveexec_b32 s30, s28
	s_cbranch_execnz .LBB1148_849
.LBB1148_781:                           ;   in Loop: Header=BB1148_694 Depth=2
	s_or_b32 exec_lo, exec_lo, s30
	v_cmp_lt_u32_e64 s29, v82, v167
	s_and_saveexec_b32 s31, s29
	s_cbranch_execnz .LBB1148_850
.LBB1148_782:                           ;   in Loop: Header=BB1148_694 Depth=2
	s_or_b32 exec_lo, exec_lo, s31
	v_cmp_lt_u32_e64 s30, v83, v167
	s_and_saveexec_b32 s33, s30
	s_cbranch_execnz .LBB1148_851
.LBB1148_783:                           ;   in Loop: Header=BB1148_694 Depth=2
	s_or_b32 exec_lo, exec_lo, s33
	v_cmp_lt_u32_e64 s31, v84, v167
	s_and_saveexec_b32 s34, s31
	s_cbranch_execnz .LBB1148_852
.LBB1148_784:                           ;   in Loop: Header=BB1148_694 Depth=2
	s_or_b32 exec_lo, exec_lo, s34
	v_cmp_lt_u32_e64 s33, v85, v167
	s_and_saveexec_b32 s35, s33
	s_cbranch_execnz .LBB1148_853
.LBB1148_785:                           ;   in Loop: Header=BB1148_694 Depth=2
	s_or_b32 exec_lo, exec_lo, s35
	v_cmp_lt_u32_e64 s34, v86, v167
	s_and_saveexec_b32 s36, s34
	s_cbranch_execnz .LBB1148_854
.LBB1148_786:                           ;   in Loop: Header=BB1148_694 Depth=2
	s_or_b32 exec_lo, exec_lo, s36
	v_cmp_lt_u32_e64 s35, v87, v167
	s_and_saveexec_b32 s37, s35
	s_cbranch_execnz .LBB1148_855
.LBB1148_787:                           ;   in Loop: Header=BB1148_694 Depth=2
	s_or_b32 exec_lo, exec_lo, s37
	v_cmp_lt_u32_e64 s36, v88, v167
	s_and_saveexec_b32 s38, s36
	s_cbranch_execnz .LBB1148_856
.LBB1148_788:                           ;   in Loop: Header=BB1148_694 Depth=2
	s_or_b32 exec_lo, exec_lo, s38
	v_cmp_lt_u32_e64 s37, v89, v167
	s_and_saveexec_b32 s39, s37
	s_cbranch_execnz .LBB1148_857
.LBB1148_789:                           ;   in Loop: Header=BB1148_694 Depth=2
	s_or_b32 exec_lo, exec_lo, s39
	v_cmp_lt_u32_e64 s38, v90, v167
	s_and_saveexec_b32 s47, s38
	s_cbranch_execz .LBB1148_791
.LBB1148_790:                           ;   in Loop: Header=BB1148_694 Depth=2
	ds_read_b64 v[37:38], v106 offset:31232
	s_waitcnt lgkmcnt(0)
	v_cmp_ne_u64_e64 s39, s[56:57], v[37:38]
	v_cndmask_b32_e64 v44, 0x7fffffff, v38, s39
	v_cndmask_b32_e64 v43, -1, v37, s39
	v_cmp_gt_i64_e64 s39, 0, v[37:38]
	v_lshrrev_b64 v[43:44], s52, v[43:44]
	v_cndmask_b32_e64 v45, 0x7fffffff, 0, s39
	v_and_b32_e32 v3, s64, v43
	v_ashrrev_i32_e32 v43, 31, v38
	v_xor_b32_e32 v38, v45, v38
	v_lshlrev_b32_e32 v3, 2, v3
	v_not_b32_e32 v46, v43
	ds_read_b32 v3, v3
	v_xor_b32_e32 v37, v46, v37
	s_waitcnt lgkmcnt(0)
	v_add_nc_u32_e32 v3, v3, v90
	v_lshlrev_b64 v[43:44], 3, v[3:4]
	v_add_co_u32 v43, s39, s42, v43
	v_add_co_ci_u32_e64 v44, null, s43, v44, s39
	global_store_dwordx2 v[43:44], v[37:38], off
.LBB1148_791:                           ;   in Loop: Header=BB1148_694 Depth=2
	s_or_b32 exec_lo, exec_lo, s47
	s_mov_b32 s47, s56
	s_lshl_b64 s[46:47], s[46:47], 3
	v_add_co_u32 v37, s39, v129, s46
	v_add_co_ci_u32_e64 v38, null, s47, v130, s39
	v_cmp_lt_u32_e64 s39, v128, v167
	s_and_saveexec_b32 s46, s39
	s_xor_b32 s39, exec_lo, s46
	s_cbranch_execnz .LBB1148_858
; %bb.792:                              ;   in Loop: Header=BB1148_694 Depth=2
	s_or_b32 exec_lo, exec_lo, s39
	s_mov_b32 s46, exec_lo
	v_cmpx_lt_u32_e64 v131, v167
	s_cbranch_execnz .LBB1148_859
.LBB1148_793:                           ;   in Loop: Header=BB1148_694 Depth=2
	s_or_b32 exec_lo, exec_lo, s46
	s_mov_b32 s46, exec_lo
	v_cmpx_lt_u32_e64 v132, v167
	s_cbranch_execnz .LBB1148_860
.LBB1148_794:                           ;   in Loop: Header=BB1148_694 Depth=2
	s_or_b32 exec_lo, exec_lo, s46
	s_mov_b32 s46, exec_lo
	v_cmpx_lt_u32_e64 v133, v167
	s_cbranch_execnz .LBB1148_861
.LBB1148_795:                           ;   in Loop: Header=BB1148_694 Depth=2
	s_or_b32 exec_lo, exec_lo, s46
	s_mov_b32 s46, exec_lo
	v_cmpx_lt_u32_e64 v134, v167
	s_cbranch_execnz .LBB1148_862
.LBB1148_796:                           ;   in Loop: Header=BB1148_694 Depth=2
	s_or_b32 exec_lo, exec_lo, s46
	s_mov_b32 s46, exec_lo
	v_cmpx_lt_u32_e64 v135, v167
	s_cbranch_execnz .LBB1148_863
.LBB1148_797:                           ;   in Loop: Header=BB1148_694 Depth=2
	s_or_b32 exec_lo, exec_lo, s46
	s_mov_b32 s46, exec_lo
	v_cmpx_lt_u32_e64 v136, v167
	s_cbranch_execnz .LBB1148_864
.LBB1148_798:                           ;   in Loop: Header=BB1148_694 Depth=2
	s_or_b32 exec_lo, exec_lo, s46
	s_mov_b32 s46, exec_lo
	v_cmpx_lt_u32_e64 v137, v167
	s_cbranch_execnz .LBB1148_865
.LBB1148_799:                           ;   in Loop: Header=BB1148_694 Depth=2
	s_or_b32 exec_lo, exec_lo, s46
	s_mov_b32 s46, exec_lo
	v_cmpx_lt_u32_e64 v138, v167
	s_cbranch_execnz .LBB1148_866
.LBB1148_800:                           ;   in Loop: Header=BB1148_694 Depth=2
	s_or_b32 exec_lo, exec_lo, s46
	s_mov_b32 s46, exec_lo
	v_cmpx_lt_u32_e64 v139, v167
	s_cbranch_execnz .LBB1148_867
.LBB1148_801:                           ;   in Loop: Header=BB1148_694 Depth=2
	s_or_b32 exec_lo, exec_lo, s46
	s_mov_b32 s46, exec_lo
	v_cmpx_lt_u32_e64 v140, v167
	s_cbranch_execnz .LBB1148_868
.LBB1148_802:                           ;   in Loop: Header=BB1148_694 Depth=2
	s_or_b32 exec_lo, exec_lo, s46
	s_mov_b32 s46, exec_lo
	v_cmpx_lt_u32_e64 v141, v167
	s_cbranch_execnz .LBB1148_869
.LBB1148_803:                           ;   in Loop: Header=BB1148_694 Depth=2
	s_or_b32 exec_lo, exec_lo, s46
	s_mov_b32 s46, exec_lo
	v_cmpx_lt_u32_e64 v142, v167
	s_cbranch_execnz .LBB1148_870
.LBB1148_804:                           ;   in Loop: Header=BB1148_694 Depth=2
	s_or_b32 exec_lo, exec_lo, s46
	s_mov_b32 s46, exec_lo
	v_cmpx_lt_u32_e64 v143, v167
	s_cbranch_execnz .LBB1148_871
.LBB1148_805:                           ;   in Loop: Header=BB1148_694 Depth=2
	s_or_b32 exec_lo, exec_lo, s46
	s_mov_b32 s46, exec_lo
	v_cmpx_lt_u32_e64 v144, v167
	s_cbranch_execnz .LBB1148_872
.LBB1148_806:                           ;   in Loop: Header=BB1148_694 Depth=2
	s_or_b32 exec_lo, exec_lo, s46
	s_mov_b32 s46, exec_lo
	v_cmpx_lt_u32_e64 v145, v167
	s_cbranch_execnz .LBB1148_873
.LBB1148_807:                           ;   in Loop: Header=BB1148_694 Depth=2
	s_or_b32 exec_lo, exec_lo, s46
	s_and_saveexec_b32 s46, vcc_lo
	s_cbranch_execnz .LBB1148_874
.LBB1148_808:                           ;   in Loop: Header=BB1148_694 Depth=2
	s_or_b32 exec_lo, exec_lo, s46
	s_and_saveexec_b32 s46, s23
	s_cbranch_execnz .LBB1148_875
.LBB1148_809:                           ;   in Loop: Header=BB1148_694 Depth=2
	s_or_b32 exec_lo, exec_lo, s46
	s_and_saveexec_b32 s46, s24
	s_cbranch_execnz .LBB1148_876
.LBB1148_810:                           ;   in Loop: Header=BB1148_694 Depth=2
	s_or_b32 exec_lo, exec_lo, s46
	s_and_saveexec_b32 s46, s25
	s_cbranch_execnz .LBB1148_877
.LBB1148_811:                           ;   in Loop: Header=BB1148_694 Depth=2
	s_or_b32 exec_lo, exec_lo, s46
	s_and_saveexec_b32 s46, s26
	s_cbranch_execnz .LBB1148_878
.LBB1148_812:                           ;   in Loop: Header=BB1148_694 Depth=2
	s_or_b32 exec_lo, exec_lo, s46
	s_and_saveexec_b32 s46, s27
	s_cbranch_execnz .LBB1148_879
.LBB1148_813:                           ;   in Loop: Header=BB1148_694 Depth=2
	s_or_b32 exec_lo, exec_lo, s46
	s_and_saveexec_b32 s46, s28
	s_cbranch_execnz .LBB1148_880
.LBB1148_814:                           ;   in Loop: Header=BB1148_694 Depth=2
	s_or_b32 exec_lo, exec_lo, s46
	s_and_saveexec_b32 s46, s29
	s_cbranch_execnz .LBB1148_881
.LBB1148_815:                           ;   in Loop: Header=BB1148_694 Depth=2
	s_or_b32 exec_lo, exec_lo, s46
	s_and_saveexec_b32 s46, s30
	s_cbranch_execnz .LBB1148_882
.LBB1148_816:                           ;   in Loop: Header=BB1148_694 Depth=2
	s_or_b32 exec_lo, exec_lo, s46
	s_and_saveexec_b32 s46, s31
	s_cbranch_execnz .LBB1148_883
.LBB1148_817:                           ;   in Loop: Header=BB1148_694 Depth=2
	s_or_b32 exec_lo, exec_lo, s46
	s_and_saveexec_b32 s46, s33
	s_cbranch_execnz .LBB1148_884
.LBB1148_818:                           ;   in Loop: Header=BB1148_694 Depth=2
	s_or_b32 exec_lo, exec_lo, s46
	s_and_saveexec_b32 s46, s34
	s_cbranch_execnz .LBB1148_885
.LBB1148_819:                           ;   in Loop: Header=BB1148_694 Depth=2
	s_or_b32 exec_lo, exec_lo, s46
	s_and_saveexec_b32 s46, s35
	s_cbranch_execnz .LBB1148_886
.LBB1148_820:                           ;   in Loop: Header=BB1148_694 Depth=2
	s_or_b32 exec_lo, exec_lo, s46
	s_and_saveexec_b32 s46, s36
	s_cbranch_execnz .LBB1148_887
.LBB1148_821:                           ;   in Loop: Header=BB1148_694 Depth=2
	s_or_b32 exec_lo, exec_lo, s46
	s_and_saveexec_b32 s46, s37
	s_cbranch_execnz .LBB1148_888
.LBB1148_822:                           ;   in Loop: Header=BB1148_694 Depth=2
	s_or_b32 exec_lo, exec_lo, s46
	s_and_saveexec_b32 s46, s38
	s_cbranch_execz .LBB1148_824
.LBB1148_823:                           ;   in Loop: Header=BB1148_694 Depth=2
	ds_read_b64 v[37:38], v106 offset:31232
	s_waitcnt lgkmcnt(0)
	v_cmp_ne_u64_e64 s39, s[56:57], v[37:38]
	v_cndmask_b32_e64 v38, 0x7fffffff, v38, s39
	v_cndmask_b32_e64 v37, -1, v37, s39
	v_lshrrev_b64 v[37:38], s52, v[37:38]
	v_and_b32_e32 v149, s64, v37
.LBB1148_824:                           ;   in Loop: Header=BB1148_694 Depth=2
	s_or_b32 exec_lo, exec_lo, s46
	s_waitcnt vmcnt(0)
	s_waitcnt_vscnt null, 0x0
	s_barrier
	buffer_gl0_inv
	ds_write_b64 v69, v[35:36] offset:512
	ds_write_b64 v70, v[33:34] offset:512
	;; [unrolled: 1-line block ×16, first 2 shown]
	s_waitcnt lgkmcnt(0)
	s_barrier
	buffer_gl0_inv
	s_and_saveexec_b32 s39, vcc_lo
	s_cbranch_execnz .LBB1148_889
; %bb.825:                              ;   in Loop: Header=BB1148_694 Depth=2
	s_or_b32 exec_lo, exec_lo, s39
	s_and_saveexec_b32 s39, s23
	s_cbranch_execnz .LBB1148_890
.LBB1148_826:                           ;   in Loop: Header=BB1148_694 Depth=2
	s_or_b32 exec_lo, exec_lo, s39
	s_and_saveexec_b32 s23, s24
	s_cbranch_execnz .LBB1148_891
.LBB1148_827:                           ;   in Loop: Header=BB1148_694 Depth=2
	s_or_b32 exec_lo, exec_lo, s23
	s_and_saveexec_b32 s23, s25
	s_cbranch_execnz .LBB1148_892
.LBB1148_828:                           ;   in Loop: Header=BB1148_694 Depth=2
	s_or_b32 exec_lo, exec_lo, s23
	s_and_saveexec_b32 s23, s26
	s_cbranch_execnz .LBB1148_893
.LBB1148_829:                           ;   in Loop: Header=BB1148_694 Depth=2
	s_or_b32 exec_lo, exec_lo, s23
	s_and_saveexec_b32 s23, s27
	s_cbranch_execnz .LBB1148_894
.LBB1148_830:                           ;   in Loop: Header=BB1148_694 Depth=2
	s_or_b32 exec_lo, exec_lo, s23
	s_and_saveexec_b32 s23, s28
	s_cbranch_execnz .LBB1148_895
.LBB1148_831:                           ;   in Loop: Header=BB1148_694 Depth=2
	s_or_b32 exec_lo, exec_lo, s23
	s_and_saveexec_b32 s23, s29
	s_cbranch_execnz .LBB1148_896
.LBB1148_832:                           ;   in Loop: Header=BB1148_694 Depth=2
	s_or_b32 exec_lo, exec_lo, s23
	s_and_saveexec_b32 s23, s30
	s_cbranch_execnz .LBB1148_897
.LBB1148_833:                           ;   in Loop: Header=BB1148_694 Depth=2
	s_or_b32 exec_lo, exec_lo, s23
	s_and_saveexec_b32 s23, s31
	s_cbranch_execnz .LBB1148_898
.LBB1148_834:                           ;   in Loop: Header=BB1148_694 Depth=2
	s_or_b32 exec_lo, exec_lo, s23
	s_and_saveexec_b32 s23, s33
	s_cbranch_execnz .LBB1148_899
.LBB1148_835:                           ;   in Loop: Header=BB1148_694 Depth=2
	s_or_b32 exec_lo, exec_lo, s23
	s_and_saveexec_b32 s23, s34
	s_cbranch_execnz .LBB1148_900
.LBB1148_836:                           ;   in Loop: Header=BB1148_694 Depth=2
	s_or_b32 exec_lo, exec_lo, s23
	s_and_saveexec_b32 s23, s35
	s_cbranch_execnz .LBB1148_901
.LBB1148_837:                           ;   in Loop: Header=BB1148_694 Depth=2
	s_or_b32 exec_lo, exec_lo, s23
	s_and_saveexec_b32 s23, s36
	s_cbranch_execnz .LBB1148_902
.LBB1148_838:                           ;   in Loop: Header=BB1148_694 Depth=2
	s_or_b32 exec_lo, exec_lo, s23
	s_and_saveexec_b32 s23, s37
	s_cbranch_execnz .LBB1148_903
.LBB1148_839:                           ;   in Loop: Header=BB1148_694 Depth=2
	s_or_b32 exec_lo, exec_lo, s23
	s_and_saveexec_b32 s23, s38
	s_cbranch_execz .LBB1148_841
.LBB1148_840:                           ;   in Loop: Header=BB1148_694 Depth=2
	v_lshlrev_b32_e32 v3, 2, v149
	ds_read_b32 v3, v3
	ds_read_b64 v[37:38], v106 offset:31232
	s_waitcnt lgkmcnt(1)
	v_add_nc_u32_e32 v3, v3, v90
	v_lshlrev_b64 v[39:40], 3, v[3:4]
	v_add_co_u32 v39, vcc_lo, s48, v39
	v_add_co_ci_u32_e64 v40, null, s49, v40, vcc_lo
	s_waitcnt lgkmcnt(0)
	global_store_dwordx2 v[39:40], v[37:38], off
.LBB1148_841:                           ;   in Loop: Header=BB1148_694 Depth=2
	s_or_b32 exec_lo, exec_lo, s23
	s_waitcnt_vscnt null, 0x0
	s_barrier
	buffer_gl0_inv
	s_and_saveexec_b32 s23, s8
	s_cbranch_execz .LBB1148_693
; %bb.842:                              ;   in Loop: Header=BB1148_694 Depth=2
	ds_read_b32 v3, v73
	s_waitcnt lgkmcnt(0)
	v_add3_u32 v3, v156, v166, v3
	ds_write_b32 v73, v3
	s_branch .LBB1148_693
.LBB1148_843:                           ;   in Loop: Header=BB1148_694 Depth=2
	ds_read_b64 v[37:38], v106 offset:512
	s_waitcnt lgkmcnt(0)
	v_cmp_ne_u64_e64 s23, s[56:57], v[37:38]
	v_cndmask_b32_e64 v44, 0x7fffffff, v38, s23
	v_cndmask_b32_e64 v43, -1, v37, s23
	v_cmp_gt_i64_e64 s23, 0, v[37:38]
	v_lshrrev_b64 v[43:44], s52, v[43:44]
	v_cndmask_b32_e64 v45, 0x7fffffff, 0, s23
	v_and_b32_e32 v3, s64, v43
	v_ashrrev_i32_e32 v43, 31, v38
	v_xor_b32_e32 v38, v45, v38
	v_lshlrev_b32_e32 v3, 2, v3
	v_not_b32_e32 v46, v43
	ds_read_b32 v3, v3
	v_xor_b32_e32 v37, v46, v37
	s_waitcnt lgkmcnt(0)
	v_add_nc_u32_e32 v3, v3, v0
	v_lshlrev_b64 v[43:44], 3, v[3:4]
	v_add_co_u32 v43, s23, s42, v43
	v_add_co_ci_u32_e64 v44, null, s43, v44, s23
	global_store_dwordx2 v[43:44], v[37:38], off
	s_or_b32 exec_lo, exec_lo, s24
	v_cmp_lt_u32_e64 s23, v74, v167
	s_and_saveexec_b32 s25, s23
	s_cbranch_execz .LBB1148_776
.LBB1148_844:                           ;   in Loop: Header=BB1148_694 Depth=2
	ds_read_b64 v[37:38], v106 offset:2560
	s_waitcnt lgkmcnt(0)
	v_cmp_ne_u64_e64 s24, s[56:57], v[37:38]
	v_cndmask_b32_e64 v44, 0x7fffffff, v38, s24
	v_cndmask_b32_e64 v43, -1, v37, s24
	v_cmp_gt_i64_e64 s24, 0, v[37:38]
	v_lshrrev_b64 v[43:44], s52, v[43:44]
	v_cndmask_b32_e64 v45, 0x7fffffff, 0, s24
	v_and_b32_e32 v3, s64, v43
	v_ashrrev_i32_e32 v43, 31, v38
	v_xor_b32_e32 v38, v45, v38
	v_lshlrev_b32_e32 v3, 2, v3
	v_not_b32_e32 v46, v43
	ds_read_b32 v3, v3
	v_xor_b32_e32 v37, v46, v37
	s_waitcnt lgkmcnt(0)
	v_add_nc_u32_e32 v3, v3, v74
	v_lshlrev_b64 v[43:44], 3, v[3:4]
	v_add_co_u32 v43, s24, s42, v43
	v_add_co_ci_u32_e64 v44, null, s43, v44, s24
	global_store_dwordx2 v[43:44], v[37:38], off
	s_or_b32 exec_lo, exec_lo, s25
	v_cmp_lt_u32_e64 s24, v77, v167
	s_and_saveexec_b32 s26, s24
	s_cbranch_execz .LBB1148_777
.LBB1148_845:                           ;   in Loop: Header=BB1148_694 Depth=2
	ds_read_b64 v[37:38], v106 offset:4608
	s_waitcnt lgkmcnt(0)
	v_cmp_ne_u64_e64 s25, s[56:57], v[37:38]
	v_cndmask_b32_e64 v44, 0x7fffffff, v38, s25
	v_cndmask_b32_e64 v43, -1, v37, s25
	v_cmp_gt_i64_e64 s25, 0, v[37:38]
	v_lshrrev_b64 v[43:44], s52, v[43:44]
	v_cndmask_b32_e64 v45, 0x7fffffff, 0, s25
	v_and_b32_e32 v3, s64, v43
	v_ashrrev_i32_e32 v43, 31, v38
	v_xor_b32_e32 v38, v45, v38
	v_lshlrev_b32_e32 v3, 2, v3
	v_not_b32_e32 v46, v43
	ds_read_b32 v3, v3
	v_xor_b32_e32 v37, v46, v37
	s_waitcnt lgkmcnt(0)
	v_add_nc_u32_e32 v3, v3, v77
	v_lshlrev_b64 v[43:44], 3, v[3:4]
	v_add_co_u32 v43, s25, s42, v43
	v_add_co_ci_u32_e64 v44, null, s43, v44, s25
	global_store_dwordx2 v[43:44], v[37:38], off
	s_or_b32 exec_lo, exec_lo, s26
	v_cmp_lt_u32_e64 s25, v78, v167
	s_and_saveexec_b32 s27, s25
	s_cbranch_execz .LBB1148_778
.LBB1148_846:                           ;   in Loop: Header=BB1148_694 Depth=2
	ds_read_b64 v[37:38], v106 offset:6656
	s_waitcnt lgkmcnt(0)
	v_cmp_ne_u64_e64 s26, s[56:57], v[37:38]
	v_cndmask_b32_e64 v44, 0x7fffffff, v38, s26
	v_cndmask_b32_e64 v43, -1, v37, s26
	v_cmp_gt_i64_e64 s26, 0, v[37:38]
	v_lshrrev_b64 v[43:44], s52, v[43:44]
	v_cndmask_b32_e64 v45, 0x7fffffff, 0, s26
	v_and_b32_e32 v3, s64, v43
	v_ashrrev_i32_e32 v43, 31, v38
	v_xor_b32_e32 v38, v45, v38
	v_lshlrev_b32_e32 v3, 2, v3
	v_not_b32_e32 v46, v43
	ds_read_b32 v3, v3
	v_xor_b32_e32 v37, v46, v37
	s_waitcnt lgkmcnt(0)
	v_add_nc_u32_e32 v3, v3, v78
	v_lshlrev_b64 v[43:44], 3, v[3:4]
	v_add_co_u32 v43, s26, s42, v43
	v_add_co_ci_u32_e64 v44, null, s43, v44, s26
	global_store_dwordx2 v[43:44], v[37:38], off
	s_or_b32 exec_lo, exec_lo, s27
	v_cmp_lt_u32_e64 s26, v79, v167
	s_and_saveexec_b32 s28, s26
	s_cbranch_execz .LBB1148_779
.LBB1148_847:                           ;   in Loop: Header=BB1148_694 Depth=2
	ds_read_b64 v[37:38], v106 offset:8704
	s_waitcnt lgkmcnt(0)
	v_cmp_ne_u64_e64 s27, s[56:57], v[37:38]
	v_cndmask_b32_e64 v44, 0x7fffffff, v38, s27
	v_cndmask_b32_e64 v43, -1, v37, s27
	v_cmp_gt_i64_e64 s27, 0, v[37:38]
	v_lshrrev_b64 v[43:44], s52, v[43:44]
	v_cndmask_b32_e64 v45, 0x7fffffff, 0, s27
	v_and_b32_e32 v3, s64, v43
	v_ashrrev_i32_e32 v43, 31, v38
	v_xor_b32_e32 v38, v45, v38
	v_lshlrev_b32_e32 v3, 2, v3
	v_not_b32_e32 v46, v43
	ds_read_b32 v3, v3
	v_xor_b32_e32 v37, v46, v37
	s_waitcnt lgkmcnt(0)
	v_add_nc_u32_e32 v3, v3, v79
	v_lshlrev_b64 v[43:44], 3, v[3:4]
	v_add_co_u32 v43, s27, s42, v43
	v_add_co_ci_u32_e64 v44, null, s43, v44, s27
	global_store_dwordx2 v[43:44], v[37:38], off
	s_or_b32 exec_lo, exec_lo, s28
	v_cmp_lt_u32_e64 s27, v80, v167
	s_and_saveexec_b32 s29, s27
	s_cbranch_execz .LBB1148_780
.LBB1148_848:                           ;   in Loop: Header=BB1148_694 Depth=2
	ds_read_b64 v[37:38], v106 offset:10752
	s_waitcnt lgkmcnt(0)
	v_cmp_ne_u64_e64 s28, s[56:57], v[37:38]
	v_cndmask_b32_e64 v44, 0x7fffffff, v38, s28
	v_cndmask_b32_e64 v43, -1, v37, s28
	v_cmp_gt_i64_e64 s28, 0, v[37:38]
	v_lshrrev_b64 v[43:44], s52, v[43:44]
	v_cndmask_b32_e64 v45, 0x7fffffff, 0, s28
	v_and_b32_e32 v3, s64, v43
	v_ashrrev_i32_e32 v43, 31, v38
	v_xor_b32_e32 v38, v45, v38
	v_lshlrev_b32_e32 v3, 2, v3
	v_not_b32_e32 v46, v43
	ds_read_b32 v3, v3
	v_xor_b32_e32 v37, v46, v37
	s_waitcnt lgkmcnt(0)
	v_add_nc_u32_e32 v3, v3, v80
	v_lshlrev_b64 v[43:44], 3, v[3:4]
	v_add_co_u32 v43, s28, s42, v43
	v_add_co_ci_u32_e64 v44, null, s43, v44, s28
	global_store_dwordx2 v[43:44], v[37:38], off
	s_or_b32 exec_lo, exec_lo, s29
	v_cmp_lt_u32_e64 s28, v81, v167
	s_and_saveexec_b32 s30, s28
	s_cbranch_execz .LBB1148_781
.LBB1148_849:                           ;   in Loop: Header=BB1148_694 Depth=2
	ds_read_b64 v[37:38], v106 offset:12800
	s_waitcnt lgkmcnt(0)
	v_cmp_ne_u64_e64 s29, s[56:57], v[37:38]
	v_cndmask_b32_e64 v44, 0x7fffffff, v38, s29
	v_cndmask_b32_e64 v43, -1, v37, s29
	v_cmp_gt_i64_e64 s29, 0, v[37:38]
	v_lshrrev_b64 v[43:44], s52, v[43:44]
	v_cndmask_b32_e64 v45, 0x7fffffff, 0, s29
	v_and_b32_e32 v3, s64, v43
	v_ashrrev_i32_e32 v43, 31, v38
	v_xor_b32_e32 v38, v45, v38
	v_lshlrev_b32_e32 v3, 2, v3
	v_not_b32_e32 v46, v43
	ds_read_b32 v3, v3
	v_xor_b32_e32 v37, v46, v37
	s_waitcnt lgkmcnt(0)
	v_add_nc_u32_e32 v3, v3, v81
	v_lshlrev_b64 v[43:44], 3, v[3:4]
	v_add_co_u32 v43, s29, s42, v43
	v_add_co_ci_u32_e64 v44, null, s43, v44, s29
	global_store_dwordx2 v[43:44], v[37:38], off
	s_or_b32 exec_lo, exec_lo, s30
	v_cmp_lt_u32_e64 s29, v82, v167
	s_and_saveexec_b32 s31, s29
	s_cbranch_execz .LBB1148_782
.LBB1148_850:                           ;   in Loop: Header=BB1148_694 Depth=2
	ds_read_b64 v[37:38], v106 offset:14848
	s_waitcnt lgkmcnt(0)
	v_cmp_ne_u64_e64 s30, s[56:57], v[37:38]
	v_cndmask_b32_e64 v44, 0x7fffffff, v38, s30
	v_cndmask_b32_e64 v43, -1, v37, s30
	v_cmp_gt_i64_e64 s30, 0, v[37:38]
	v_lshrrev_b64 v[43:44], s52, v[43:44]
	v_cndmask_b32_e64 v45, 0x7fffffff, 0, s30
	v_and_b32_e32 v3, s64, v43
	v_ashrrev_i32_e32 v43, 31, v38
	v_xor_b32_e32 v38, v45, v38
	v_lshlrev_b32_e32 v3, 2, v3
	v_not_b32_e32 v46, v43
	ds_read_b32 v3, v3
	v_xor_b32_e32 v37, v46, v37
	s_waitcnt lgkmcnt(0)
	v_add_nc_u32_e32 v3, v3, v82
	v_lshlrev_b64 v[43:44], 3, v[3:4]
	v_add_co_u32 v43, s30, s42, v43
	v_add_co_ci_u32_e64 v44, null, s43, v44, s30
	global_store_dwordx2 v[43:44], v[37:38], off
	s_or_b32 exec_lo, exec_lo, s31
	v_cmp_lt_u32_e64 s30, v83, v167
	s_and_saveexec_b32 s33, s30
	s_cbranch_execz .LBB1148_783
.LBB1148_851:                           ;   in Loop: Header=BB1148_694 Depth=2
	ds_read_b64 v[37:38], v106 offset:16896
	s_waitcnt lgkmcnt(0)
	v_cmp_ne_u64_e64 s31, s[56:57], v[37:38]
	v_cndmask_b32_e64 v44, 0x7fffffff, v38, s31
	v_cndmask_b32_e64 v43, -1, v37, s31
	v_cmp_gt_i64_e64 s31, 0, v[37:38]
	v_lshrrev_b64 v[43:44], s52, v[43:44]
	v_cndmask_b32_e64 v45, 0x7fffffff, 0, s31
	v_and_b32_e32 v3, s64, v43
	v_ashrrev_i32_e32 v43, 31, v38
	v_xor_b32_e32 v38, v45, v38
	v_lshlrev_b32_e32 v3, 2, v3
	v_not_b32_e32 v46, v43
	ds_read_b32 v3, v3
	v_xor_b32_e32 v37, v46, v37
	s_waitcnt lgkmcnt(0)
	v_add_nc_u32_e32 v3, v3, v83
	v_lshlrev_b64 v[43:44], 3, v[3:4]
	v_add_co_u32 v43, s31, s42, v43
	v_add_co_ci_u32_e64 v44, null, s43, v44, s31
	global_store_dwordx2 v[43:44], v[37:38], off
	s_or_b32 exec_lo, exec_lo, s33
	v_cmp_lt_u32_e64 s31, v84, v167
	s_and_saveexec_b32 s34, s31
	s_cbranch_execz .LBB1148_784
.LBB1148_852:                           ;   in Loop: Header=BB1148_694 Depth=2
	ds_read_b64 v[37:38], v106 offset:18944
	s_waitcnt lgkmcnt(0)
	v_cmp_ne_u64_e64 s33, s[56:57], v[37:38]
	v_cndmask_b32_e64 v44, 0x7fffffff, v38, s33
	v_cndmask_b32_e64 v43, -1, v37, s33
	v_cmp_gt_i64_e64 s33, 0, v[37:38]
	v_lshrrev_b64 v[43:44], s52, v[43:44]
	v_cndmask_b32_e64 v45, 0x7fffffff, 0, s33
	v_and_b32_e32 v3, s64, v43
	v_ashrrev_i32_e32 v43, 31, v38
	v_xor_b32_e32 v38, v45, v38
	v_lshlrev_b32_e32 v3, 2, v3
	v_not_b32_e32 v46, v43
	ds_read_b32 v3, v3
	v_xor_b32_e32 v37, v46, v37
	s_waitcnt lgkmcnt(0)
	v_add_nc_u32_e32 v3, v3, v84
	v_lshlrev_b64 v[43:44], 3, v[3:4]
	v_add_co_u32 v43, s33, s42, v43
	v_add_co_ci_u32_e64 v44, null, s43, v44, s33
	global_store_dwordx2 v[43:44], v[37:38], off
	s_or_b32 exec_lo, exec_lo, s34
	v_cmp_lt_u32_e64 s33, v85, v167
	s_and_saveexec_b32 s35, s33
	s_cbranch_execz .LBB1148_785
.LBB1148_853:                           ;   in Loop: Header=BB1148_694 Depth=2
	ds_read_b64 v[37:38], v106 offset:20992
	s_waitcnt lgkmcnt(0)
	v_cmp_ne_u64_e64 s34, s[56:57], v[37:38]
	v_cndmask_b32_e64 v44, 0x7fffffff, v38, s34
	v_cndmask_b32_e64 v43, -1, v37, s34
	v_cmp_gt_i64_e64 s34, 0, v[37:38]
	v_lshrrev_b64 v[43:44], s52, v[43:44]
	v_cndmask_b32_e64 v45, 0x7fffffff, 0, s34
	v_and_b32_e32 v3, s64, v43
	v_ashrrev_i32_e32 v43, 31, v38
	v_xor_b32_e32 v38, v45, v38
	v_lshlrev_b32_e32 v3, 2, v3
	v_not_b32_e32 v46, v43
	ds_read_b32 v3, v3
	v_xor_b32_e32 v37, v46, v37
	s_waitcnt lgkmcnt(0)
	v_add_nc_u32_e32 v3, v3, v85
	v_lshlrev_b64 v[43:44], 3, v[3:4]
	v_add_co_u32 v43, s34, s42, v43
	v_add_co_ci_u32_e64 v44, null, s43, v44, s34
	global_store_dwordx2 v[43:44], v[37:38], off
	s_or_b32 exec_lo, exec_lo, s35
	v_cmp_lt_u32_e64 s34, v86, v167
	s_and_saveexec_b32 s36, s34
	s_cbranch_execz .LBB1148_786
.LBB1148_854:                           ;   in Loop: Header=BB1148_694 Depth=2
	ds_read_b64 v[37:38], v106 offset:23040
	s_waitcnt lgkmcnt(0)
	v_cmp_ne_u64_e64 s35, s[56:57], v[37:38]
	v_cndmask_b32_e64 v44, 0x7fffffff, v38, s35
	v_cndmask_b32_e64 v43, -1, v37, s35
	v_cmp_gt_i64_e64 s35, 0, v[37:38]
	v_lshrrev_b64 v[43:44], s52, v[43:44]
	v_cndmask_b32_e64 v45, 0x7fffffff, 0, s35
	v_and_b32_e32 v3, s64, v43
	v_ashrrev_i32_e32 v43, 31, v38
	v_xor_b32_e32 v38, v45, v38
	v_lshlrev_b32_e32 v3, 2, v3
	v_not_b32_e32 v46, v43
	ds_read_b32 v3, v3
	v_xor_b32_e32 v37, v46, v37
	s_waitcnt lgkmcnt(0)
	v_add_nc_u32_e32 v3, v3, v86
	v_lshlrev_b64 v[43:44], 3, v[3:4]
	v_add_co_u32 v43, s35, s42, v43
	v_add_co_ci_u32_e64 v44, null, s43, v44, s35
	global_store_dwordx2 v[43:44], v[37:38], off
	s_or_b32 exec_lo, exec_lo, s36
	v_cmp_lt_u32_e64 s35, v87, v167
	s_and_saveexec_b32 s37, s35
	s_cbranch_execz .LBB1148_787
.LBB1148_855:                           ;   in Loop: Header=BB1148_694 Depth=2
	ds_read_b64 v[37:38], v106 offset:25088
	s_waitcnt lgkmcnt(0)
	v_cmp_ne_u64_e64 s36, s[56:57], v[37:38]
	v_cndmask_b32_e64 v44, 0x7fffffff, v38, s36
	v_cndmask_b32_e64 v43, -1, v37, s36
	v_cmp_gt_i64_e64 s36, 0, v[37:38]
	v_lshrrev_b64 v[43:44], s52, v[43:44]
	v_cndmask_b32_e64 v45, 0x7fffffff, 0, s36
	v_and_b32_e32 v3, s64, v43
	v_ashrrev_i32_e32 v43, 31, v38
	v_xor_b32_e32 v38, v45, v38
	v_lshlrev_b32_e32 v3, 2, v3
	v_not_b32_e32 v46, v43
	ds_read_b32 v3, v3
	v_xor_b32_e32 v37, v46, v37
	s_waitcnt lgkmcnt(0)
	v_add_nc_u32_e32 v3, v3, v87
	v_lshlrev_b64 v[43:44], 3, v[3:4]
	v_add_co_u32 v43, s36, s42, v43
	v_add_co_ci_u32_e64 v44, null, s43, v44, s36
	global_store_dwordx2 v[43:44], v[37:38], off
	s_or_b32 exec_lo, exec_lo, s37
	v_cmp_lt_u32_e64 s36, v88, v167
	s_and_saveexec_b32 s38, s36
	s_cbranch_execz .LBB1148_788
.LBB1148_856:                           ;   in Loop: Header=BB1148_694 Depth=2
	ds_read_b64 v[37:38], v106 offset:27136
	s_waitcnt lgkmcnt(0)
	v_cmp_ne_u64_e64 s37, s[56:57], v[37:38]
	v_cndmask_b32_e64 v44, 0x7fffffff, v38, s37
	v_cndmask_b32_e64 v43, -1, v37, s37
	v_cmp_gt_i64_e64 s37, 0, v[37:38]
	v_lshrrev_b64 v[43:44], s52, v[43:44]
	v_cndmask_b32_e64 v45, 0x7fffffff, 0, s37
	v_and_b32_e32 v3, s64, v43
	v_ashrrev_i32_e32 v43, 31, v38
	v_xor_b32_e32 v38, v45, v38
	v_lshlrev_b32_e32 v3, 2, v3
	v_not_b32_e32 v46, v43
	ds_read_b32 v3, v3
	v_xor_b32_e32 v37, v46, v37
	s_waitcnt lgkmcnt(0)
	v_add_nc_u32_e32 v3, v3, v88
	v_lshlrev_b64 v[43:44], 3, v[3:4]
	v_add_co_u32 v43, s37, s42, v43
	v_add_co_ci_u32_e64 v44, null, s43, v44, s37
	global_store_dwordx2 v[43:44], v[37:38], off
	s_or_b32 exec_lo, exec_lo, s38
	v_cmp_lt_u32_e64 s37, v89, v167
	s_and_saveexec_b32 s39, s37
	s_cbranch_execz .LBB1148_789
.LBB1148_857:                           ;   in Loop: Header=BB1148_694 Depth=2
	ds_read_b64 v[37:38], v106 offset:29184
	s_waitcnt lgkmcnt(0)
	v_cmp_ne_u64_e64 s38, s[56:57], v[37:38]
	v_cndmask_b32_e64 v44, 0x7fffffff, v38, s38
	v_cndmask_b32_e64 v43, -1, v37, s38
	v_cmp_gt_i64_e64 s38, 0, v[37:38]
	v_lshrrev_b64 v[43:44], s52, v[43:44]
	v_cndmask_b32_e64 v45, 0x7fffffff, 0, s38
	v_and_b32_e32 v3, s64, v43
	v_ashrrev_i32_e32 v43, 31, v38
	v_xor_b32_e32 v38, v45, v38
	v_lshlrev_b32_e32 v3, 2, v3
	v_not_b32_e32 v46, v43
	ds_read_b32 v3, v3
	v_xor_b32_e32 v37, v46, v37
	s_waitcnt lgkmcnt(0)
	v_add_nc_u32_e32 v3, v3, v89
	v_lshlrev_b64 v[43:44], 3, v[3:4]
	v_add_co_u32 v43, s38, s42, v43
	v_add_co_ci_u32_e64 v44, null, s43, v44, s38
	global_store_dwordx2 v[43:44], v[37:38], off
	s_or_b32 exec_lo, exec_lo, s39
	v_cmp_lt_u32_e64 s38, v90, v167
	s_and_saveexec_b32 s47, s38
	s_cbranch_execnz .LBB1148_790
	s_branch .LBB1148_791
.LBB1148_858:                           ;   in Loop: Header=BB1148_694 Depth=2
	global_load_dwordx2 v[35:36], v[37:38], off
	s_or_b32 exec_lo, exec_lo, s39
	s_mov_b32 s46, exec_lo
	v_cmpx_lt_u32_e64 v131, v167
	s_cbranch_execz .LBB1148_793
.LBB1148_859:                           ;   in Loop: Header=BB1148_694 Depth=2
	global_load_dwordx2 v[33:34], v[37:38], off offset:256
	s_or_b32 exec_lo, exec_lo, s46
	s_mov_b32 s46, exec_lo
	v_cmpx_lt_u32_e64 v132, v167
	s_cbranch_execz .LBB1148_794
.LBB1148_860:                           ;   in Loop: Header=BB1148_694 Depth=2
	global_load_dwordx2 v[31:32], v[37:38], off offset:512
	s_or_b32 exec_lo, exec_lo, s46
	s_mov_b32 s46, exec_lo
	v_cmpx_lt_u32_e64 v133, v167
	s_cbranch_execz .LBB1148_795
.LBB1148_861:                           ;   in Loop: Header=BB1148_694 Depth=2
	global_load_dwordx2 v[29:30], v[37:38], off offset:768
	s_or_b32 exec_lo, exec_lo, s46
	s_mov_b32 s46, exec_lo
	v_cmpx_lt_u32_e64 v134, v167
	s_cbranch_execz .LBB1148_796
.LBB1148_862:                           ;   in Loop: Header=BB1148_694 Depth=2
	global_load_dwordx2 v[27:28], v[37:38], off offset:1024
	s_or_b32 exec_lo, exec_lo, s46
	s_mov_b32 s46, exec_lo
	v_cmpx_lt_u32_e64 v135, v167
	s_cbranch_execz .LBB1148_797
.LBB1148_863:                           ;   in Loop: Header=BB1148_694 Depth=2
	global_load_dwordx2 v[23:24], v[37:38], off offset:1280
	s_or_b32 exec_lo, exec_lo, s46
	s_mov_b32 s46, exec_lo
	v_cmpx_lt_u32_e64 v136, v167
	s_cbranch_execz .LBB1148_798
.LBB1148_864:                           ;   in Loop: Header=BB1148_694 Depth=2
	global_load_dwordx2 v[19:20], v[37:38], off offset:1536
	s_or_b32 exec_lo, exec_lo, s46
	s_mov_b32 s46, exec_lo
	v_cmpx_lt_u32_e64 v137, v167
	s_cbranch_execz .LBB1148_799
.LBB1148_865:                           ;   in Loop: Header=BB1148_694 Depth=2
	global_load_dwordx2 v[15:16], v[37:38], off offset:1792
	s_or_b32 exec_lo, exec_lo, s46
	s_mov_b32 s46, exec_lo
	v_cmpx_lt_u32_e64 v138, v167
	s_cbranch_execz .LBB1148_800
.LBB1148_866:                           ;   in Loop: Header=BB1148_694 Depth=2
	v_add_co_u32 v25, s39, 0x800, v37
	v_add_co_ci_u32_e64 v26, null, 0, v38, s39
	global_load_dwordx2 v[25:26], v[25:26], off
	s_or_b32 exec_lo, exec_lo, s46
	s_mov_b32 s46, exec_lo
	v_cmpx_lt_u32_e64 v139, v167
	s_cbranch_execz .LBB1148_801
.LBB1148_867:                           ;   in Loop: Header=BB1148_694 Depth=2
	v_add_co_u32 v21, s39, 0x800, v37
	v_add_co_ci_u32_e64 v22, null, 0, v38, s39
	global_load_dwordx2 v[21:22], v[21:22], off offset:256
	s_or_b32 exec_lo, exec_lo, s46
	s_mov_b32 s46, exec_lo
	v_cmpx_lt_u32_e64 v140, v167
	s_cbranch_execz .LBB1148_802
.LBB1148_868:                           ;   in Loop: Header=BB1148_694 Depth=2
	v_add_co_u32 v17, s39, 0x800, v37
	v_add_co_ci_u32_e64 v18, null, 0, v38, s39
	global_load_dwordx2 v[17:18], v[17:18], off offset:512
	s_or_b32 exec_lo, exec_lo, s46
	s_mov_b32 s46, exec_lo
	v_cmpx_lt_u32_e64 v141, v167
	s_cbranch_execz .LBB1148_803
.LBB1148_869:                           ;   in Loop: Header=BB1148_694 Depth=2
	v_add_co_u32 v13, s39, 0x800, v37
	v_add_co_ci_u32_e64 v14, null, 0, v38, s39
	global_load_dwordx2 v[13:14], v[13:14], off offset:768
	s_or_b32 exec_lo, exec_lo, s46
	s_mov_b32 s46, exec_lo
	v_cmpx_lt_u32_e64 v142, v167
	s_cbranch_execz .LBB1148_804
.LBB1148_870:                           ;   in Loop: Header=BB1148_694 Depth=2
	v_add_co_u32 v11, s39, 0x800, v37
	v_add_co_ci_u32_e64 v12, null, 0, v38, s39
	global_load_dwordx2 v[11:12], v[11:12], off offset:1024
	s_or_b32 exec_lo, exec_lo, s46
	s_mov_b32 s46, exec_lo
	v_cmpx_lt_u32_e64 v143, v167
	s_cbranch_execz .LBB1148_805
.LBB1148_871:                           ;   in Loop: Header=BB1148_694 Depth=2
	v_add_co_u32 v9, s39, 0x800, v37
	v_add_co_ci_u32_e64 v10, null, 0, v38, s39
	global_load_dwordx2 v[9:10], v[9:10], off offset:1280
	s_or_b32 exec_lo, exec_lo, s46
	s_mov_b32 s46, exec_lo
	v_cmpx_lt_u32_e64 v144, v167
	s_cbranch_execz .LBB1148_806
.LBB1148_872:                           ;   in Loop: Header=BB1148_694 Depth=2
	v_add_co_u32 v7, s39, 0x800, v37
	v_add_co_ci_u32_e64 v8, null, 0, v38, s39
	global_load_dwordx2 v[7:8], v[7:8], off offset:1536
	s_or_b32 exec_lo, exec_lo, s46
	s_mov_b32 s46, exec_lo
	v_cmpx_lt_u32_e64 v145, v167
	s_cbranch_execz .LBB1148_807
.LBB1148_873:                           ;   in Loop: Header=BB1148_694 Depth=2
	v_add_co_u32 v5, s39, 0x800, v37
	v_add_co_ci_u32_e64 v6, null, 0, v38, s39
	global_load_dwordx2 v[5:6], v[5:6], off offset:1792
	s_or_b32 exec_lo, exec_lo, s46
	s_and_saveexec_b32 s46, vcc_lo
	s_cbranch_execz .LBB1148_808
.LBB1148_874:                           ;   in Loop: Header=BB1148_694 Depth=2
	ds_read_b64 v[37:38], v106 offset:512
	s_waitcnt lgkmcnt(0)
	v_cmp_ne_u64_e64 s39, s[56:57], v[37:38]
	v_cndmask_b32_e64 v38, 0x7fffffff, v38, s39
	v_cndmask_b32_e64 v37, -1, v37, s39
	v_lshrrev_b64 v[37:38], s52, v[37:38]
	v_and_b32_e32 v165, s64, v37
	s_or_b32 exec_lo, exec_lo, s46
	s_and_saveexec_b32 s46, s23
	s_cbranch_execz .LBB1148_809
.LBB1148_875:                           ;   in Loop: Header=BB1148_694 Depth=2
	ds_read_b64 v[37:38], v106 offset:2560
	s_waitcnt lgkmcnt(0)
	v_cmp_ne_u64_e64 s39, s[56:57], v[37:38]
	v_cndmask_b32_e64 v38, 0x7fffffff, v38, s39
	v_cndmask_b32_e64 v37, -1, v37, s39
	v_lshrrev_b64 v[37:38], s52, v[37:38]
	v_and_b32_e32 v164, s64, v37
	s_or_b32 exec_lo, exec_lo, s46
	s_and_saveexec_b32 s46, s24
	s_cbranch_execz .LBB1148_810
.LBB1148_876:                           ;   in Loop: Header=BB1148_694 Depth=2
	ds_read_b64 v[37:38], v106 offset:4608
	s_waitcnt lgkmcnt(0)
	v_cmp_ne_u64_e64 s39, s[56:57], v[37:38]
	v_cndmask_b32_e64 v38, 0x7fffffff, v38, s39
	v_cndmask_b32_e64 v37, -1, v37, s39
	v_lshrrev_b64 v[37:38], s52, v[37:38]
	v_and_b32_e32 v163, s64, v37
	s_or_b32 exec_lo, exec_lo, s46
	s_and_saveexec_b32 s46, s25
	s_cbranch_execz .LBB1148_811
.LBB1148_877:                           ;   in Loop: Header=BB1148_694 Depth=2
	ds_read_b64 v[37:38], v106 offset:6656
	s_waitcnt lgkmcnt(0)
	v_cmp_ne_u64_e64 s39, s[56:57], v[37:38]
	v_cndmask_b32_e64 v38, 0x7fffffff, v38, s39
	v_cndmask_b32_e64 v37, -1, v37, s39
	v_lshrrev_b64 v[37:38], s52, v[37:38]
	v_and_b32_e32 v162, s64, v37
	s_or_b32 exec_lo, exec_lo, s46
	s_and_saveexec_b32 s46, s26
	s_cbranch_execz .LBB1148_812
.LBB1148_878:                           ;   in Loop: Header=BB1148_694 Depth=2
	ds_read_b64 v[37:38], v106 offset:8704
	s_waitcnt lgkmcnt(0)
	v_cmp_ne_u64_e64 s39, s[56:57], v[37:38]
	v_cndmask_b32_e64 v38, 0x7fffffff, v38, s39
	v_cndmask_b32_e64 v37, -1, v37, s39
	v_lshrrev_b64 v[37:38], s52, v[37:38]
	v_and_b32_e32 v161, s64, v37
	s_or_b32 exec_lo, exec_lo, s46
	s_and_saveexec_b32 s46, s27
	s_cbranch_execz .LBB1148_813
.LBB1148_879:                           ;   in Loop: Header=BB1148_694 Depth=2
	ds_read_b64 v[37:38], v106 offset:10752
	s_waitcnt lgkmcnt(0)
	v_cmp_ne_u64_e64 s39, s[56:57], v[37:38]
	v_cndmask_b32_e64 v38, 0x7fffffff, v38, s39
	v_cndmask_b32_e64 v37, -1, v37, s39
	v_lshrrev_b64 v[37:38], s52, v[37:38]
	v_and_b32_e32 v160, s64, v37
	s_or_b32 exec_lo, exec_lo, s46
	s_and_saveexec_b32 s46, s28
	s_cbranch_execz .LBB1148_814
.LBB1148_880:                           ;   in Loop: Header=BB1148_694 Depth=2
	ds_read_b64 v[37:38], v106 offset:12800
	s_waitcnt lgkmcnt(0)
	v_cmp_ne_u64_e64 s39, s[56:57], v[37:38]
	v_cndmask_b32_e64 v38, 0x7fffffff, v38, s39
	v_cndmask_b32_e64 v37, -1, v37, s39
	v_lshrrev_b64 v[37:38], s52, v[37:38]
	v_and_b32_e32 v159, s64, v37
	s_or_b32 exec_lo, exec_lo, s46
	s_and_saveexec_b32 s46, s29
	s_cbranch_execz .LBB1148_815
.LBB1148_881:                           ;   in Loop: Header=BB1148_694 Depth=2
	ds_read_b64 v[37:38], v106 offset:14848
	s_waitcnt lgkmcnt(0)
	v_cmp_ne_u64_e64 s39, s[56:57], v[37:38]
	v_cndmask_b32_e64 v38, 0x7fffffff, v38, s39
	v_cndmask_b32_e64 v37, -1, v37, s39
	v_lshrrev_b64 v[37:38], s52, v[37:38]
	v_and_b32_e32 v158, s64, v37
	s_or_b32 exec_lo, exec_lo, s46
	s_and_saveexec_b32 s46, s30
	s_cbranch_execz .LBB1148_816
.LBB1148_882:                           ;   in Loop: Header=BB1148_694 Depth=2
	ds_read_b64 v[37:38], v106 offset:16896
	s_waitcnt lgkmcnt(0)
	v_cmp_ne_u64_e64 s39, s[56:57], v[37:38]
	v_cndmask_b32_e64 v38, 0x7fffffff, v38, s39
	v_cndmask_b32_e64 v37, -1, v37, s39
	v_lshrrev_b64 v[37:38], s52, v[37:38]
	v_and_b32_e32 v157, s64, v37
	s_or_b32 exec_lo, exec_lo, s46
	s_and_saveexec_b32 s46, s31
	s_cbranch_execz .LBB1148_817
.LBB1148_883:                           ;   in Loop: Header=BB1148_694 Depth=2
	ds_read_b64 v[37:38], v106 offset:18944
	s_waitcnt lgkmcnt(0)
	v_cmp_ne_u64_e64 s39, s[56:57], v[37:38]
	v_cndmask_b32_e64 v38, 0x7fffffff, v38, s39
	v_cndmask_b32_e64 v37, -1, v37, s39
	v_lshrrev_b64 v[37:38], s52, v[37:38]
	v_and_b32_e32 v155, s64, v37
	s_or_b32 exec_lo, exec_lo, s46
	s_and_saveexec_b32 s46, s33
	s_cbranch_execz .LBB1148_818
.LBB1148_884:                           ;   in Loop: Header=BB1148_694 Depth=2
	ds_read_b64 v[37:38], v106 offset:20992
	s_waitcnt lgkmcnt(0)
	v_cmp_ne_u64_e64 s39, s[56:57], v[37:38]
	v_cndmask_b32_e64 v38, 0x7fffffff, v38, s39
	v_cndmask_b32_e64 v37, -1, v37, s39
	v_lshrrev_b64 v[37:38], s52, v[37:38]
	v_and_b32_e32 v154, s64, v37
	s_or_b32 exec_lo, exec_lo, s46
	s_and_saveexec_b32 s46, s34
	s_cbranch_execz .LBB1148_819
.LBB1148_885:                           ;   in Loop: Header=BB1148_694 Depth=2
	ds_read_b64 v[37:38], v106 offset:23040
	s_waitcnt lgkmcnt(0)
	v_cmp_ne_u64_e64 s39, s[56:57], v[37:38]
	v_cndmask_b32_e64 v38, 0x7fffffff, v38, s39
	v_cndmask_b32_e64 v37, -1, v37, s39
	v_lshrrev_b64 v[37:38], s52, v[37:38]
	v_and_b32_e32 v153, s64, v37
	s_or_b32 exec_lo, exec_lo, s46
	s_and_saveexec_b32 s46, s35
	s_cbranch_execz .LBB1148_820
.LBB1148_886:                           ;   in Loop: Header=BB1148_694 Depth=2
	ds_read_b64 v[37:38], v106 offset:25088
	s_waitcnt lgkmcnt(0)
	v_cmp_ne_u64_e64 s39, s[56:57], v[37:38]
	v_cndmask_b32_e64 v38, 0x7fffffff, v38, s39
	v_cndmask_b32_e64 v37, -1, v37, s39
	v_lshrrev_b64 v[37:38], s52, v[37:38]
	v_and_b32_e32 v152, s64, v37
	s_or_b32 exec_lo, exec_lo, s46
	s_and_saveexec_b32 s46, s36
	s_cbranch_execz .LBB1148_821
.LBB1148_887:                           ;   in Loop: Header=BB1148_694 Depth=2
	ds_read_b64 v[37:38], v106 offset:27136
	s_waitcnt lgkmcnt(0)
	v_cmp_ne_u64_e64 s39, s[56:57], v[37:38]
	v_cndmask_b32_e64 v38, 0x7fffffff, v38, s39
	v_cndmask_b32_e64 v37, -1, v37, s39
	v_lshrrev_b64 v[37:38], s52, v[37:38]
	v_and_b32_e32 v151, s64, v37
	s_or_b32 exec_lo, exec_lo, s46
	s_and_saveexec_b32 s46, s37
	s_cbranch_execz .LBB1148_822
.LBB1148_888:                           ;   in Loop: Header=BB1148_694 Depth=2
	ds_read_b64 v[37:38], v106 offset:29184
	s_waitcnt lgkmcnt(0)
	v_cmp_ne_u64_e64 s39, s[56:57], v[37:38]
	v_cndmask_b32_e64 v38, 0x7fffffff, v38, s39
	v_cndmask_b32_e64 v37, -1, v37, s39
	v_lshrrev_b64 v[37:38], s52, v[37:38]
	v_and_b32_e32 v150, s64, v37
	s_or_b32 exec_lo, exec_lo, s46
	s_and_saveexec_b32 s46, s38
	s_cbranch_execnz .LBB1148_823
	s_branch .LBB1148_824
.LBB1148_889:                           ;   in Loop: Header=BB1148_694 Depth=2
	v_lshlrev_b32_e32 v3, 2, v165
	ds_read_b32 v3, v3
	ds_read_b64 v[37:38], v106 offset:512
	s_waitcnt lgkmcnt(1)
	v_add_nc_u32_e32 v3, v3, v0
	v_lshlrev_b64 v[39:40], 3, v[3:4]
	v_add_co_u32 v39, vcc_lo, s48, v39
	v_add_co_ci_u32_e64 v40, null, s49, v40, vcc_lo
	s_waitcnt lgkmcnt(0)
	global_store_dwordx2 v[39:40], v[37:38], off
	s_or_b32 exec_lo, exec_lo, s39
	s_and_saveexec_b32 s39, s23
	s_cbranch_execz .LBB1148_826
.LBB1148_890:                           ;   in Loop: Header=BB1148_694 Depth=2
	v_lshlrev_b32_e32 v3, 2, v164
	ds_read_b32 v3, v3
	ds_read_b64 v[37:38], v106 offset:2560
	s_waitcnt lgkmcnt(1)
	v_add_nc_u32_e32 v3, v3, v74
	v_lshlrev_b64 v[39:40], 3, v[3:4]
	v_add_co_u32 v39, vcc_lo, s48, v39
	v_add_co_ci_u32_e64 v40, null, s49, v40, vcc_lo
	s_waitcnt lgkmcnt(0)
	global_store_dwordx2 v[39:40], v[37:38], off
	s_or_b32 exec_lo, exec_lo, s39
	s_and_saveexec_b32 s23, s24
	s_cbranch_execz .LBB1148_827
.LBB1148_891:                           ;   in Loop: Header=BB1148_694 Depth=2
	v_lshlrev_b32_e32 v3, 2, v163
	ds_read_b32 v3, v3
	ds_read_b64 v[37:38], v106 offset:4608
	s_waitcnt lgkmcnt(1)
	v_add_nc_u32_e32 v3, v3, v77
	v_lshlrev_b64 v[39:40], 3, v[3:4]
	v_add_co_u32 v39, vcc_lo, s48, v39
	v_add_co_ci_u32_e64 v40, null, s49, v40, vcc_lo
	s_waitcnt lgkmcnt(0)
	global_store_dwordx2 v[39:40], v[37:38], off
	s_or_b32 exec_lo, exec_lo, s23
	s_and_saveexec_b32 s23, s25
	s_cbranch_execz .LBB1148_828
.LBB1148_892:                           ;   in Loop: Header=BB1148_694 Depth=2
	v_lshlrev_b32_e32 v3, 2, v162
	ds_read_b32 v3, v3
	ds_read_b64 v[37:38], v106 offset:6656
	s_waitcnt lgkmcnt(1)
	v_add_nc_u32_e32 v3, v3, v78
	v_lshlrev_b64 v[39:40], 3, v[3:4]
	v_add_co_u32 v39, vcc_lo, s48, v39
	v_add_co_ci_u32_e64 v40, null, s49, v40, vcc_lo
	s_waitcnt lgkmcnt(0)
	global_store_dwordx2 v[39:40], v[37:38], off
	s_or_b32 exec_lo, exec_lo, s23
	s_and_saveexec_b32 s23, s26
	s_cbranch_execz .LBB1148_829
.LBB1148_893:                           ;   in Loop: Header=BB1148_694 Depth=2
	v_lshlrev_b32_e32 v3, 2, v161
	ds_read_b32 v3, v3
	ds_read_b64 v[37:38], v106 offset:8704
	s_waitcnt lgkmcnt(1)
	v_add_nc_u32_e32 v3, v3, v79
	v_lshlrev_b64 v[39:40], 3, v[3:4]
	v_add_co_u32 v39, vcc_lo, s48, v39
	v_add_co_ci_u32_e64 v40, null, s49, v40, vcc_lo
	s_waitcnt lgkmcnt(0)
	global_store_dwordx2 v[39:40], v[37:38], off
	s_or_b32 exec_lo, exec_lo, s23
	s_and_saveexec_b32 s23, s27
	s_cbranch_execz .LBB1148_830
.LBB1148_894:                           ;   in Loop: Header=BB1148_694 Depth=2
	v_lshlrev_b32_e32 v3, 2, v160
	ds_read_b32 v3, v3
	ds_read_b64 v[37:38], v106 offset:10752
	s_waitcnt lgkmcnt(1)
	v_add_nc_u32_e32 v3, v3, v80
	v_lshlrev_b64 v[39:40], 3, v[3:4]
	v_add_co_u32 v39, vcc_lo, s48, v39
	v_add_co_ci_u32_e64 v40, null, s49, v40, vcc_lo
	s_waitcnt lgkmcnt(0)
	global_store_dwordx2 v[39:40], v[37:38], off
	s_or_b32 exec_lo, exec_lo, s23
	s_and_saveexec_b32 s23, s28
	s_cbranch_execz .LBB1148_831
.LBB1148_895:                           ;   in Loop: Header=BB1148_694 Depth=2
	v_lshlrev_b32_e32 v3, 2, v159
	ds_read_b32 v3, v3
	ds_read_b64 v[37:38], v106 offset:12800
	s_waitcnt lgkmcnt(1)
	v_add_nc_u32_e32 v3, v3, v81
	v_lshlrev_b64 v[39:40], 3, v[3:4]
	v_add_co_u32 v39, vcc_lo, s48, v39
	v_add_co_ci_u32_e64 v40, null, s49, v40, vcc_lo
	s_waitcnt lgkmcnt(0)
	global_store_dwordx2 v[39:40], v[37:38], off
	s_or_b32 exec_lo, exec_lo, s23
	s_and_saveexec_b32 s23, s29
	s_cbranch_execz .LBB1148_832
.LBB1148_896:                           ;   in Loop: Header=BB1148_694 Depth=2
	v_lshlrev_b32_e32 v3, 2, v158
	ds_read_b32 v3, v3
	ds_read_b64 v[37:38], v106 offset:14848
	s_waitcnt lgkmcnt(1)
	v_add_nc_u32_e32 v3, v3, v82
	v_lshlrev_b64 v[39:40], 3, v[3:4]
	v_add_co_u32 v39, vcc_lo, s48, v39
	v_add_co_ci_u32_e64 v40, null, s49, v40, vcc_lo
	s_waitcnt lgkmcnt(0)
	global_store_dwordx2 v[39:40], v[37:38], off
	s_or_b32 exec_lo, exec_lo, s23
	s_and_saveexec_b32 s23, s30
	s_cbranch_execz .LBB1148_833
.LBB1148_897:                           ;   in Loop: Header=BB1148_694 Depth=2
	v_lshlrev_b32_e32 v3, 2, v157
	ds_read_b32 v3, v3
	ds_read_b64 v[37:38], v106 offset:16896
	s_waitcnt lgkmcnt(1)
	v_add_nc_u32_e32 v3, v3, v83
	v_lshlrev_b64 v[39:40], 3, v[3:4]
	v_add_co_u32 v39, vcc_lo, s48, v39
	v_add_co_ci_u32_e64 v40, null, s49, v40, vcc_lo
	s_waitcnt lgkmcnt(0)
	global_store_dwordx2 v[39:40], v[37:38], off
	s_or_b32 exec_lo, exec_lo, s23
	s_and_saveexec_b32 s23, s31
	s_cbranch_execz .LBB1148_834
.LBB1148_898:                           ;   in Loop: Header=BB1148_694 Depth=2
	v_lshlrev_b32_e32 v3, 2, v155
	ds_read_b32 v3, v3
	ds_read_b64 v[37:38], v106 offset:18944
	s_waitcnt lgkmcnt(1)
	v_add_nc_u32_e32 v3, v3, v84
	v_lshlrev_b64 v[39:40], 3, v[3:4]
	v_add_co_u32 v39, vcc_lo, s48, v39
	v_add_co_ci_u32_e64 v40, null, s49, v40, vcc_lo
	s_waitcnt lgkmcnt(0)
	global_store_dwordx2 v[39:40], v[37:38], off
	s_or_b32 exec_lo, exec_lo, s23
	s_and_saveexec_b32 s23, s33
	s_cbranch_execz .LBB1148_835
.LBB1148_899:                           ;   in Loop: Header=BB1148_694 Depth=2
	v_lshlrev_b32_e32 v3, 2, v154
	ds_read_b32 v3, v3
	ds_read_b64 v[37:38], v106 offset:20992
	s_waitcnt lgkmcnt(1)
	v_add_nc_u32_e32 v3, v3, v85
	v_lshlrev_b64 v[39:40], 3, v[3:4]
	v_add_co_u32 v39, vcc_lo, s48, v39
	v_add_co_ci_u32_e64 v40, null, s49, v40, vcc_lo
	s_waitcnt lgkmcnt(0)
	global_store_dwordx2 v[39:40], v[37:38], off
	s_or_b32 exec_lo, exec_lo, s23
	s_and_saveexec_b32 s23, s34
	s_cbranch_execz .LBB1148_836
.LBB1148_900:                           ;   in Loop: Header=BB1148_694 Depth=2
	v_lshlrev_b32_e32 v3, 2, v153
	ds_read_b32 v3, v3
	ds_read_b64 v[37:38], v106 offset:23040
	s_waitcnt lgkmcnt(1)
	v_add_nc_u32_e32 v3, v3, v86
	v_lshlrev_b64 v[39:40], 3, v[3:4]
	v_add_co_u32 v39, vcc_lo, s48, v39
	v_add_co_ci_u32_e64 v40, null, s49, v40, vcc_lo
	s_waitcnt lgkmcnt(0)
	global_store_dwordx2 v[39:40], v[37:38], off
	s_or_b32 exec_lo, exec_lo, s23
	s_and_saveexec_b32 s23, s35
	s_cbranch_execz .LBB1148_837
.LBB1148_901:                           ;   in Loop: Header=BB1148_694 Depth=2
	v_lshlrev_b32_e32 v3, 2, v152
	ds_read_b32 v3, v3
	ds_read_b64 v[37:38], v106 offset:25088
	s_waitcnt lgkmcnt(1)
	v_add_nc_u32_e32 v3, v3, v87
	v_lshlrev_b64 v[39:40], 3, v[3:4]
	v_add_co_u32 v39, vcc_lo, s48, v39
	v_add_co_ci_u32_e64 v40, null, s49, v40, vcc_lo
	s_waitcnt lgkmcnt(0)
	global_store_dwordx2 v[39:40], v[37:38], off
	s_or_b32 exec_lo, exec_lo, s23
	s_and_saveexec_b32 s23, s36
	s_cbranch_execz .LBB1148_838
.LBB1148_902:                           ;   in Loop: Header=BB1148_694 Depth=2
	v_lshlrev_b32_e32 v3, 2, v151
	ds_read_b32 v3, v3
	ds_read_b64 v[37:38], v106 offset:27136
	s_waitcnt lgkmcnt(1)
	v_add_nc_u32_e32 v3, v3, v88
	v_lshlrev_b64 v[39:40], 3, v[3:4]
	v_add_co_u32 v39, vcc_lo, s48, v39
	v_add_co_ci_u32_e64 v40, null, s49, v40, vcc_lo
	s_waitcnt lgkmcnt(0)
	global_store_dwordx2 v[39:40], v[37:38], off
	s_or_b32 exec_lo, exec_lo, s23
	s_and_saveexec_b32 s23, s37
	s_cbranch_execz .LBB1148_839
.LBB1148_903:                           ;   in Loop: Header=BB1148_694 Depth=2
	v_lshlrev_b32_e32 v3, 2, v150
	ds_read_b32 v3, v3
	ds_read_b64 v[37:38], v106 offset:29184
	s_waitcnt lgkmcnt(1)
	v_add_nc_u32_e32 v3, v3, v89
	v_lshlrev_b64 v[39:40], 3, v[3:4]
	v_add_co_u32 v39, vcc_lo, s48, v39
	v_add_co_ci_u32_e64 v40, null, s49, v40, vcc_lo
	s_waitcnt lgkmcnt(0)
	global_store_dwordx2 v[39:40], v[37:38], off
	s_or_b32 exec_lo, exec_lo, s23
	s_and_saveexec_b32 s23, s38
	s_cbranch_execnz .LBB1148_840
	s_branch .LBB1148_841
.LBB1148_904:                           ;   in Loop: Header=BB1148_20 Depth=1
	s_waitcnt lgkmcnt(0)
	s_mov_b32 s14, 0
	s_barrier
.LBB1148_905:                           ;   in Loop: Header=BB1148_20 Depth=1
	s_and_b32 vcc_lo, exec_lo, s14
	s_cbranch_vccz .LBB1148_19
; %bb.906:                              ;   in Loop: Header=BB1148_20 Depth=1
	s_mov_b32 s16, s62
	s_mov_b32 s14, s60
	s_barrier
	buffer_gl0_inv
                                        ; implicit-def: $vgpr5_vgpr6
                                        ; implicit-def: $vgpr7_vgpr8
                                        ; implicit-def: $vgpr9_vgpr10
                                        ; implicit-def: $vgpr11_vgpr12
                                        ; implicit-def: $vgpr13_vgpr14
                                        ; implicit-def: $vgpr15_vgpr16
                                        ; implicit-def: $vgpr17_vgpr18
                                        ; implicit-def: $vgpr19_vgpr20
                                        ; implicit-def: $vgpr21_vgpr22
                                        ; implicit-def: $vgpr23_vgpr24
                                        ; implicit-def: $vgpr25_vgpr26
                                        ; implicit-def: $vgpr27_vgpr28
                                        ; implicit-def: $vgpr29_vgpr30
                                        ; implicit-def: $vgpr31_vgpr32
                                        ; implicit-def: $vgpr33_vgpr34
                                        ; implicit-def: $vgpr35_vgpr36
	s_branch .LBB1148_908
.LBB1148_907:                           ;   in Loop: Header=BB1148_908 Depth=2
	s_or_b32 exec_lo, exec_lo, s14
	s_addk_i32 s16, 0xf000
	s_cmp_ge_u32 s17, s61
	s_mov_b32 s14, s17
	s_cbranch_scc1 .LBB1148_976
.LBB1148_908:                           ;   Parent Loop BB1148_20 Depth=1
                                        ; =>  This Inner Loop Header: Depth=2
	s_add_i32 s17, s14, 0x1000
	s_mov_b32 s15, -1
	s_cmp_gt_u32 s17, s61
                                        ; implicit-def: $vgpr47_vgpr48
                                        ; implicit-def: $vgpr51_vgpr52
                                        ; implicit-def: $vgpr55_vgpr56
                                        ; implicit-def: $vgpr37_vgpr38
                                        ; implicit-def: $vgpr39_vgpr40
                                        ; implicit-def: $vgpr41_vgpr42
                                        ; implicit-def: $vgpr43_vgpr44
                                        ; implicit-def: $vgpr45_vgpr46
                                        ; implicit-def: $vgpr49_vgpr50
                                        ; implicit-def: $vgpr53_vgpr54
                                        ; implicit-def: $vgpr57_vgpr58
                                        ; implicit-def: $vgpr59_vgpr60
                                        ; implicit-def: $vgpr61_vgpr62
                                        ; implicit-def: $vgpr63_vgpr64
                                        ; implicit-def: $vgpr65_vgpr66
                                        ; implicit-def: $vgpr67_vgpr68
	s_cbranch_scc1 .LBB1148_910
; %bb.909:                              ;   in Loop: Header=BB1148_908 Depth=2
	s_mov_b32 s15, s56
	s_lshl_b64 s[18:19], s[14:15], 3
	s_mov_b32 s15, 0
	v_add_co_u32 v47, vcc_lo, v113, s18
	v_add_co_ci_u32_e64 v48, null, s19, v114, vcc_lo
	v_add_co_u32 v55, vcc_lo, v47, 0x1000
	v_add_co_ci_u32_e64 v56, null, 0, v48, vcc_lo
	;; [unrolled: 2-line block ×6, first 2 shown]
	s_clause 0x7
	global_load_dwordx2 v[37:38], v[39:40], off offset:-2048
	global_load_dwordx2 v[39:40], v[39:40], off
	global_load_dwordx2 v[41:42], v[43:44], off offset:-2048
	global_load_dwordx2 v[43:44], v[43:44], off
	;; [unrolled: 2-line block ×4, first 2 shown]
	v_add_co_u32 v51, vcc_lo, v47, 0x6000
	v_add_co_ci_u32_e64 v52, null, 0, v48, vcc_lo
	v_add_co_u32 v65, vcc_lo, v47, 0x7000
	v_add_co_ci_u32_e64 v66, null, 0, v48, vcc_lo
	;; [unrolled: 2-line block ×3, first 2 shown]
	s_clause 0x7
	global_load_dwordx2 v[59:60], v[51:52], off offset:-2048
	global_load_dwordx2 v[61:62], v[51:52], off
	global_load_dwordx2 v[63:64], v[65:66], off offset:-2048
	global_load_dwordx2 v[65:66], v[65:66], off
	global_load_dwordx2 v[47:48], v[47:48], off
	global_load_dwordx2 v[51:52], v[55:56], off offset:-2048
	global_load_dwordx2 v[55:56], v[55:56], off
	global_load_dwordx2 v[67:68], v[67:68], off
.LBB1148_910:                           ;   in Loop: Header=BB1148_908 Depth=2
	s_andn2_b32 vcc_lo, exec_lo, s15
	s_movk_i32 s15, 0x1000
	s_cbranch_vccnz .LBB1148_929
; %bb.911:                              ;   in Loop: Header=BB1148_908 Depth=2
	s_mov_b32 s15, s56
	s_mov_b32 s18, exec_lo
	s_lshl_b64 s[14:15], s[14:15], 3
	s_add_u32 s14, s40, s14
	s_addc_u32 s15, s41, s15
	v_cmpx_gt_u32_e64 s16, v0
	s_cbranch_execnz .LBB1148_961
; %bb.912:                              ;   in Loop: Header=BB1148_908 Depth=2
	s_or_b32 exec_lo, exec_lo, s18
	s_mov_b32 s18, exec_lo
	v_cmpx_gt_u32_e64 s16, v74
	s_cbranch_execnz .LBB1148_962
.LBB1148_913:                           ;   in Loop: Header=BB1148_908 Depth=2
	s_or_b32 exec_lo, exec_lo, s18
	s_mov_b32 s18, exec_lo
	v_cmpx_gt_u32_e64 s16, v77
	s_cbranch_execnz .LBB1148_963
.LBB1148_914:                           ;   in Loop: Header=BB1148_908 Depth=2
	s_or_b32 exec_lo, exec_lo, s18
	s_mov_b32 s18, exec_lo
	v_cmpx_gt_u32_e64 s16, v78
	s_cbranch_execnz .LBB1148_964
.LBB1148_915:                           ;   in Loop: Header=BB1148_908 Depth=2
	s_or_b32 exec_lo, exec_lo, s18
	s_mov_b32 s18, exec_lo
	v_cmpx_gt_u32_e64 s16, v79
	s_cbranch_execnz .LBB1148_965
.LBB1148_916:                           ;   in Loop: Header=BB1148_908 Depth=2
	s_or_b32 exec_lo, exec_lo, s18
	s_mov_b32 s18, exec_lo
	v_cmpx_gt_u32_e64 s16, v80
	s_cbranch_execnz .LBB1148_966
.LBB1148_917:                           ;   in Loop: Header=BB1148_908 Depth=2
	s_or_b32 exec_lo, exec_lo, s18
	s_mov_b32 s18, exec_lo
	v_cmpx_gt_u32_e64 s16, v81
	s_cbranch_execnz .LBB1148_967
.LBB1148_918:                           ;   in Loop: Header=BB1148_908 Depth=2
	s_or_b32 exec_lo, exec_lo, s18
	s_mov_b32 s18, exec_lo
	v_cmpx_gt_u32_e64 s16, v82
	s_cbranch_execnz .LBB1148_968
.LBB1148_919:                           ;   in Loop: Header=BB1148_908 Depth=2
	s_or_b32 exec_lo, exec_lo, s18
	s_mov_b32 s18, exec_lo
	v_cmpx_gt_u32_e64 s16, v83
	s_cbranch_execnz .LBB1148_969
.LBB1148_920:                           ;   in Loop: Header=BB1148_908 Depth=2
	s_or_b32 exec_lo, exec_lo, s18
	s_mov_b32 s18, exec_lo
	v_cmpx_gt_u32_e64 s16, v84
	s_cbranch_execnz .LBB1148_970
.LBB1148_921:                           ;   in Loop: Header=BB1148_908 Depth=2
	s_or_b32 exec_lo, exec_lo, s18
	s_mov_b32 s18, exec_lo
	v_cmpx_gt_u32_e64 s16, v85
	s_cbranch_execnz .LBB1148_971
.LBB1148_922:                           ;   in Loop: Header=BB1148_908 Depth=2
	s_or_b32 exec_lo, exec_lo, s18
	s_mov_b32 s18, exec_lo
	v_cmpx_gt_u32_e64 s16, v86
	s_cbranch_execnz .LBB1148_972
.LBB1148_923:                           ;   in Loop: Header=BB1148_908 Depth=2
	s_or_b32 exec_lo, exec_lo, s18
	s_mov_b32 s18, exec_lo
	v_cmpx_gt_u32_e64 s16, v87
	s_cbranch_execnz .LBB1148_973
.LBB1148_924:                           ;   in Loop: Header=BB1148_908 Depth=2
	s_or_b32 exec_lo, exec_lo, s18
	s_mov_b32 s18, exec_lo
	v_cmpx_gt_u32_e64 s16, v88
	s_cbranch_execnz .LBB1148_974
.LBB1148_925:                           ;   in Loop: Header=BB1148_908 Depth=2
	s_or_b32 exec_lo, exec_lo, s18
	s_mov_b32 s18, exec_lo
	v_cmpx_gt_u32_e64 s16, v89
	s_cbranch_execnz .LBB1148_975
.LBB1148_926:                           ;   in Loop: Header=BB1148_908 Depth=2
	s_or_b32 exec_lo, exec_lo, s18
	s_mov_b32 s18, exec_lo
	v_cmpx_gt_u32_e64 s16, v90
	s_cbranch_execz .LBB1148_928
.LBB1148_927:                           ;   in Loop: Header=BB1148_908 Depth=2
	v_lshlrev_b32_e32 v3, 3, v90
	global_load_dwordx2 v[5:6], v3, s[14:15]
.LBB1148_928:                           ;   in Loop: Header=BB1148_908 Depth=2
	s_or_b32 exec_lo, exec_lo, s18
	s_waitcnt vmcnt(0)
	v_mov_b32_e32 v48, v36
	v_mov_b32_e32 v52, v34
	;; [unrolled: 1-line block ×32, first 2 shown]
	s_mov_b32 s15, s16
.LBB1148_929:                           ;   in Loop: Header=BB1148_908 Depth=2
	s_waitcnt vmcnt(0)
	v_mov_b32_e32 v5, v67
	v_mov_b32_e32 v7, v65
	;; [unrolled: 1-line block ×32, first 2 shown]
	s_mov_b32 s14, exec_lo
	v_cmpx_gt_u32_e64 s15, v0
	s_cbranch_execnz .LBB1148_945
; %bb.930:                              ;   in Loop: Header=BB1148_908 Depth=2
	s_or_b32 exec_lo, exec_lo, s14
	s_mov_b32 s14, exec_lo
	v_cmpx_gt_u32_e64 s15, v74
	s_cbranch_execnz .LBB1148_946
.LBB1148_931:                           ;   in Loop: Header=BB1148_908 Depth=2
	s_or_b32 exec_lo, exec_lo, s14
	s_mov_b32 s14, exec_lo
	v_cmpx_gt_u32_e64 s15, v77
	s_cbranch_execnz .LBB1148_947
.LBB1148_932:                           ;   in Loop: Header=BB1148_908 Depth=2
	s_or_b32 exec_lo, exec_lo, s14
	s_mov_b32 s14, exec_lo
	v_cmpx_gt_u32_e64 s15, v78
	s_cbranch_execnz .LBB1148_948
.LBB1148_933:                           ;   in Loop: Header=BB1148_908 Depth=2
	s_or_b32 exec_lo, exec_lo, s14
	s_mov_b32 s14, exec_lo
	v_cmpx_gt_u32_e64 s15, v79
	s_cbranch_execnz .LBB1148_949
.LBB1148_934:                           ;   in Loop: Header=BB1148_908 Depth=2
	s_or_b32 exec_lo, exec_lo, s14
	s_mov_b32 s14, exec_lo
	v_cmpx_gt_u32_e64 s15, v80
	s_cbranch_execnz .LBB1148_950
.LBB1148_935:                           ;   in Loop: Header=BB1148_908 Depth=2
	s_or_b32 exec_lo, exec_lo, s14
	s_mov_b32 s14, exec_lo
	v_cmpx_gt_u32_e64 s15, v81
	s_cbranch_execnz .LBB1148_951
.LBB1148_936:                           ;   in Loop: Header=BB1148_908 Depth=2
	s_or_b32 exec_lo, exec_lo, s14
	s_mov_b32 s14, exec_lo
	v_cmpx_gt_u32_e64 s15, v82
	s_cbranch_execnz .LBB1148_952
.LBB1148_937:                           ;   in Loop: Header=BB1148_908 Depth=2
	s_or_b32 exec_lo, exec_lo, s14
	s_mov_b32 s14, exec_lo
	v_cmpx_gt_u32_e64 s15, v83
	s_cbranch_execnz .LBB1148_953
.LBB1148_938:                           ;   in Loop: Header=BB1148_908 Depth=2
	s_or_b32 exec_lo, exec_lo, s14
	s_mov_b32 s14, exec_lo
	v_cmpx_gt_u32_e64 s15, v84
	s_cbranch_execnz .LBB1148_954
.LBB1148_939:                           ;   in Loop: Header=BB1148_908 Depth=2
	s_or_b32 exec_lo, exec_lo, s14
	s_mov_b32 s14, exec_lo
	v_cmpx_gt_u32_e64 s15, v85
	s_cbranch_execnz .LBB1148_955
.LBB1148_940:                           ;   in Loop: Header=BB1148_908 Depth=2
	s_or_b32 exec_lo, exec_lo, s14
	s_mov_b32 s14, exec_lo
	v_cmpx_gt_u32_e64 s15, v86
	s_cbranch_execnz .LBB1148_956
.LBB1148_941:                           ;   in Loop: Header=BB1148_908 Depth=2
	s_or_b32 exec_lo, exec_lo, s14
	s_mov_b32 s14, exec_lo
	v_cmpx_gt_u32_e64 s15, v87
	s_cbranch_execnz .LBB1148_957
.LBB1148_942:                           ;   in Loop: Header=BB1148_908 Depth=2
	s_or_b32 exec_lo, exec_lo, s14
	s_mov_b32 s14, exec_lo
	v_cmpx_gt_u32_e64 s15, v88
	s_cbranch_execnz .LBB1148_958
.LBB1148_943:                           ;   in Loop: Header=BB1148_908 Depth=2
	s_or_b32 exec_lo, exec_lo, s14
	s_mov_b32 s14, exec_lo
	v_cmpx_gt_u32_e64 s15, v89
	s_cbranch_execnz .LBB1148_959
.LBB1148_944:                           ;   in Loop: Header=BB1148_908 Depth=2
	s_or_b32 exec_lo, exec_lo, s14
	s_mov_b32 s14, exec_lo
	v_cmpx_gt_u32_e64 s15, v90
	s_cbranch_execz .LBB1148_907
	s_branch .LBB1148_960
.LBB1148_945:                           ;   in Loop: Header=BB1148_908 Depth=2
	v_cmp_gt_i64_e32 vcc_lo, 0, v[35:36]
	v_ashrrev_i32_e32 v3, 31, v36
	v_not_b32_e32 v3, v3
	v_cndmask_b32_e64 v37, 0x7fffffff, 0, vcc_lo
	v_xor_b32_e32 v38, v37, v36
	v_xor_b32_e32 v37, v3, v35
	v_cmp_ne_u64_e32 vcc_lo, s[56:57], v[37:38]
	v_cndmask_b32_e32 v38, 0x7fffffff, v38, vcc_lo
	v_cndmask_b32_e32 v37, -1, v37, vcc_lo
	v_lshrrev_b64 v[37:38], s52, v[37:38]
	v_and_b32_e32 v3, s64, v37
	v_lshl_or_b32 v3, v3, 4, v91
	ds_add_u32 v3, v119
	s_or_b32 exec_lo, exec_lo, s14
	s_mov_b32 s14, exec_lo
	v_cmpx_gt_u32_e64 s15, v74
	s_cbranch_execz .LBB1148_931
.LBB1148_946:                           ;   in Loop: Header=BB1148_908 Depth=2
	v_cmp_gt_i64_e32 vcc_lo, 0, v[33:34]
	v_ashrrev_i32_e32 v3, 31, v34
	v_not_b32_e32 v3, v3
	v_cndmask_b32_e64 v37, 0x7fffffff, 0, vcc_lo
	v_xor_b32_e32 v38, v37, v34
	v_xor_b32_e32 v37, v3, v33
	v_cmp_ne_u64_e32 vcc_lo, s[56:57], v[37:38]
	v_cndmask_b32_e32 v38, 0x7fffffff, v38, vcc_lo
	v_cndmask_b32_e32 v37, -1, v37, vcc_lo
	v_lshrrev_b64 v[37:38], s52, v[37:38]
	v_and_b32_e32 v3, s64, v37
	v_lshl_or_b32 v3, v3, 4, v91
	ds_add_u32 v3, v119
	s_or_b32 exec_lo, exec_lo, s14
	s_mov_b32 s14, exec_lo
	v_cmpx_gt_u32_e64 s15, v77
	s_cbranch_execz .LBB1148_932
.LBB1148_947:                           ;   in Loop: Header=BB1148_908 Depth=2
	v_cmp_gt_i64_e32 vcc_lo, 0, v[31:32]
	v_ashrrev_i32_e32 v3, 31, v32
	v_not_b32_e32 v3, v3
	v_cndmask_b32_e64 v37, 0x7fffffff, 0, vcc_lo
	v_xor_b32_e32 v38, v37, v32
	v_xor_b32_e32 v37, v3, v31
	v_cmp_ne_u64_e32 vcc_lo, s[56:57], v[37:38]
	v_cndmask_b32_e32 v38, 0x7fffffff, v38, vcc_lo
	v_cndmask_b32_e32 v37, -1, v37, vcc_lo
	v_lshrrev_b64 v[37:38], s52, v[37:38]
	v_and_b32_e32 v3, s64, v37
	v_lshl_or_b32 v3, v3, 4, v91
	ds_add_u32 v3, v119
	s_or_b32 exec_lo, exec_lo, s14
	s_mov_b32 s14, exec_lo
	v_cmpx_gt_u32_e64 s15, v78
	s_cbranch_execz .LBB1148_933
.LBB1148_948:                           ;   in Loop: Header=BB1148_908 Depth=2
	v_cmp_gt_i64_e32 vcc_lo, 0, v[29:30]
	v_ashrrev_i32_e32 v3, 31, v30
	v_not_b32_e32 v3, v3
	v_cndmask_b32_e64 v37, 0x7fffffff, 0, vcc_lo
	v_xor_b32_e32 v38, v37, v30
	v_xor_b32_e32 v37, v3, v29
	v_cmp_ne_u64_e32 vcc_lo, s[56:57], v[37:38]
	v_cndmask_b32_e32 v38, 0x7fffffff, v38, vcc_lo
	v_cndmask_b32_e32 v37, -1, v37, vcc_lo
	v_lshrrev_b64 v[37:38], s52, v[37:38]
	v_and_b32_e32 v3, s64, v37
	v_lshl_or_b32 v3, v3, 4, v91
	ds_add_u32 v3, v119
	s_or_b32 exec_lo, exec_lo, s14
	s_mov_b32 s14, exec_lo
	v_cmpx_gt_u32_e64 s15, v79
	s_cbranch_execz .LBB1148_934
.LBB1148_949:                           ;   in Loop: Header=BB1148_908 Depth=2
	v_cmp_gt_i64_e32 vcc_lo, 0, v[27:28]
	v_ashrrev_i32_e32 v3, 31, v28
	v_not_b32_e32 v3, v3
	v_cndmask_b32_e64 v37, 0x7fffffff, 0, vcc_lo
	v_xor_b32_e32 v38, v37, v28
	v_xor_b32_e32 v37, v3, v27
	v_cmp_ne_u64_e32 vcc_lo, s[56:57], v[37:38]
	v_cndmask_b32_e32 v38, 0x7fffffff, v38, vcc_lo
	v_cndmask_b32_e32 v37, -1, v37, vcc_lo
	v_lshrrev_b64 v[37:38], s52, v[37:38]
	v_and_b32_e32 v3, s64, v37
	v_lshl_or_b32 v3, v3, 4, v91
	ds_add_u32 v3, v119
	s_or_b32 exec_lo, exec_lo, s14
	s_mov_b32 s14, exec_lo
	v_cmpx_gt_u32_e64 s15, v80
	s_cbranch_execz .LBB1148_935
.LBB1148_950:                           ;   in Loop: Header=BB1148_908 Depth=2
	v_cmp_gt_i64_e32 vcc_lo, 0, v[25:26]
	v_ashrrev_i32_e32 v3, 31, v26
	v_not_b32_e32 v3, v3
	v_cndmask_b32_e64 v37, 0x7fffffff, 0, vcc_lo
	v_xor_b32_e32 v38, v37, v26
	v_xor_b32_e32 v37, v3, v25
	v_cmp_ne_u64_e32 vcc_lo, s[56:57], v[37:38]
	v_cndmask_b32_e32 v38, 0x7fffffff, v38, vcc_lo
	v_cndmask_b32_e32 v37, -1, v37, vcc_lo
	v_lshrrev_b64 v[37:38], s52, v[37:38]
	v_and_b32_e32 v3, s64, v37
	v_lshl_or_b32 v3, v3, 4, v91
	ds_add_u32 v3, v119
	s_or_b32 exec_lo, exec_lo, s14
	s_mov_b32 s14, exec_lo
	v_cmpx_gt_u32_e64 s15, v81
	s_cbranch_execz .LBB1148_936
.LBB1148_951:                           ;   in Loop: Header=BB1148_908 Depth=2
	v_cmp_gt_i64_e32 vcc_lo, 0, v[23:24]
	v_ashrrev_i32_e32 v3, 31, v24
	v_not_b32_e32 v3, v3
	v_cndmask_b32_e64 v37, 0x7fffffff, 0, vcc_lo
	v_xor_b32_e32 v38, v37, v24
	v_xor_b32_e32 v37, v3, v23
	v_cmp_ne_u64_e32 vcc_lo, s[56:57], v[37:38]
	v_cndmask_b32_e32 v38, 0x7fffffff, v38, vcc_lo
	v_cndmask_b32_e32 v37, -1, v37, vcc_lo
	v_lshrrev_b64 v[37:38], s52, v[37:38]
	v_and_b32_e32 v3, s64, v37
	v_lshl_or_b32 v3, v3, 4, v91
	ds_add_u32 v3, v119
	s_or_b32 exec_lo, exec_lo, s14
	s_mov_b32 s14, exec_lo
	v_cmpx_gt_u32_e64 s15, v82
	s_cbranch_execz .LBB1148_937
.LBB1148_952:                           ;   in Loop: Header=BB1148_908 Depth=2
	v_cmp_gt_i64_e32 vcc_lo, 0, v[21:22]
	v_ashrrev_i32_e32 v3, 31, v22
	v_not_b32_e32 v3, v3
	v_cndmask_b32_e64 v37, 0x7fffffff, 0, vcc_lo
	v_xor_b32_e32 v38, v37, v22
	v_xor_b32_e32 v37, v3, v21
	v_cmp_ne_u64_e32 vcc_lo, s[56:57], v[37:38]
	v_cndmask_b32_e32 v38, 0x7fffffff, v38, vcc_lo
	v_cndmask_b32_e32 v37, -1, v37, vcc_lo
	v_lshrrev_b64 v[37:38], s52, v[37:38]
	v_and_b32_e32 v3, s64, v37
	v_lshl_or_b32 v3, v3, 4, v91
	ds_add_u32 v3, v119
	s_or_b32 exec_lo, exec_lo, s14
	s_mov_b32 s14, exec_lo
	v_cmpx_gt_u32_e64 s15, v83
	s_cbranch_execz .LBB1148_938
.LBB1148_953:                           ;   in Loop: Header=BB1148_908 Depth=2
	v_cmp_gt_i64_e32 vcc_lo, 0, v[19:20]
	v_ashrrev_i32_e32 v3, 31, v20
	v_not_b32_e32 v3, v3
	v_cndmask_b32_e64 v37, 0x7fffffff, 0, vcc_lo
	v_xor_b32_e32 v38, v37, v20
	v_xor_b32_e32 v37, v3, v19
	v_cmp_ne_u64_e32 vcc_lo, s[56:57], v[37:38]
	v_cndmask_b32_e32 v38, 0x7fffffff, v38, vcc_lo
	v_cndmask_b32_e32 v37, -1, v37, vcc_lo
	v_lshrrev_b64 v[37:38], s52, v[37:38]
	v_and_b32_e32 v3, s64, v37
	v_lshl_or_b32 v3, v3, 4, v91
	ds_add_u32 v3, v119
	s_or_b32 exec_lo, exec_lo, s14
	s_mov_b32 s14, exec_lo
	v_cmpx_gt_u32_e64 s15, v84
	s_cbranch_execz .LBB1148_939
.LBB1148_954:                           ;   in Loop: Header=BB1148_908 Depth=2
	v_cmp_gt_i64_e32 vcc_lo, 0, v[17:18]
	v_ashrrev_i32_e32 v3, 31, v18
	v_not_b32_e32 v3, v3
	v_cndmask_b32_e64 v37, 0x7fffffff, 0, vcc_lo
	v_xor_b32_e32 v38, v37, v18
	v_xor_b32_e32 v37, v3, v17
	v_cmp_ne_u64_e32 vcc_lo, s[56:57], v[37:38]
	v_cndmask_b32_e32 v38, 0x7fffffff, v38, vcc_lo
	v_cndmask_b32_e32 v37, -1, v37, vcc_lo
	v_lshrrev_b64 v[37:38], s52, v[37:38]
	v_and_b32_e32 v3, s64, v37
	v_lshl_or_b32 v3, v3, 4, v91
	ds_add_u32 v3, v119
	s_or_b32 exec_lo, exec_lo, s14
	s_mov_b32 s14, exec_lo
	v_cmpx_gt_u32_e64 s15, v85
	s_cbranch_execz .LBB1148_940
.LBB1148_955:                           ;   in Loop: Header=BB1148_908 Depth=2
	v_cmp_gt_i64_e32 vcc_lo, 0, v[15:16]
	v_ashrrev_i32_e32 v3, 31, v16
	v_not_b32_e32 v3, v3
	v_cndmask_b32_e64 v37, 0x7fffffff, 0, vcc_lo
	v_xor_b32_e32 v38, v37, v16
	v_xor_b32_e32 v37, v3, v15
	v_cmp_ne_u64_e32 vcc_lo, s[56:57], v[37:38]
	v_cndmask_b32_e32 v38, 0x7fffffff, v38, vcc_lo
	v_cndmask_b32_e32 v37, -1, v37, vcc_lo
	v_lshrrev_b64 v[37:38], s52, v[37:38]
	v_and_b32_e32 v3, s64, v37
	v_lshl_or_b32 v3, v3, 4, v91
	ds_add_u32 v3, v119
	s_or_b32 exec_lo, exec_lo, s14
	s_mov_b32 s14, exec_lo
	v_cmpx_gt_u32_e64 s15, v86
	s_cbranch_execz .LBB1148_941
.LBB1148_956:                           ;   in Loop: Header=BB1148_908 Depth=2
	v_cmp_gt_i64_e32 vcc_lo, 0, v[13:14]
	v_ashrrev_i32_e32 v3, 31, v14
	v_not_b32_e32 v3, v3
	v_cndmask_b32_e64 v37, 0x7fffffff, 0, vcc_lo
	v_xor_b32_e32 v38, v37, v14
	v_xor_b32_e32 v37, v3, v13
	v_cmp_ne_u64_e32 vcc_lo, s[56:57], v[37:38]
	v_cndmask_b32_e32 v38, 0x7fffffff, v38, vcc_lo
	v_cndmask_b32_e32 v37, -1, v37, vcc_lo
	v_lshrrev_b64 v[37:38], s52, v[37:38]
	v_and_b32_e32 v3, s64, v37
	v_lshl_or_b32 v3, v3, 4, v91
	ds_add_u32 v3, v119
	s_or_b32 exec_lo, exec_lo, s14
	s_mov_b32 s14, exec_lo
	v_cmpx_gt_u32_e64 s15, v87
	s_cbranch_execz .LBB1148_942
.LBB1148_957:                           ;   in Loop: Header=BB1148_908 Depth=2
	v_cmp_gt_i64_e32 vcc_lo, 0, v[11:12]
	v_ashrrev_i32_e32 v3, 31, v12
	v_not_b32_e32 v3, v3
	v_cndmask_b32_e64 v37, 0x7fffffff, 0, vcc_lo
	v_xor_b32_e32 v38, v37, v12
	v_xor_b32_e32 v37, v3, v11
	v_cmp_ne_u64_e32 vcc_lo, s[56:57], v[37:38]
	v_cndmask_b32_e32 v38, 0x7fffffff, v38, vcc_lo
	v_cndmask_b32_e32 v37, -1, v37, vcc_lo
	v_lshrrev_b64 v[37:38], s52, v[37:38]
	v_and_b32_e32 v3, s64, v37
	v_lshl_or_b32 v3, v3, 4, v91
	ds_add_u32 v3, v119
	s_or_b32 exec_lo, exec_lo, s14
	s_mov_b32 s14, exec_lo
	v_cmpx_gt_u32_e64 s15, v88
	s_cbranch_execz .LBB1148_943
.LBB1148_958:                           ;   in Loop: Header=BB1148_908 Depth=2
	v_cmp_gt_i64_e32 vcc_lo, 0, v[9:10]
	v_ashrrev_i32_e32 v3, 31, v10
	v_not_b32_e32 v3, v3
	v_cndmask_b32_e64 v37, 0x7fffffff, 0, vcc_lo
	v_xor_b32_e32 v38, v37, v10
	v_xor_b32_e32 v37, v3, v9
	v_cmp_ne_u64_e32 vcc_lo, s[56:57], v[37:38]
	v_cndmask_b32_e32 v38, 0x7fffffff, v38, vcc_lo
	v_cndmask_b32_e32 v37, -1, v37, vcc_lo
	v_lshrrev_b64 v[37:38], s52, v[37:38]
	v_and_b32_e32 v3, s64, v37
	v_lshl_or_b32 v3, v3, 4, v91
	ds_add_u32 v3, v119
	s_or_b32 exec_lo, exec_lo, s14
	s_mov_b32 s14, exec_lo
	v_cmpx_gt_u32_e64 s15, v89
	s_cbranch_execz .LBB1148_944
.LBB1148_959:                           ;   in Loop: Header=BB1148_908 Depth=2
	v_cmp_gt_i64_e32 vcc_lo, 0, v[7:8]
	v_ashrrev_i32_e32 v3, 31, v8
	v_not_b32_e32 v3, v3
	v_cndmask_b32_e64 v37, 0x7fffffff, 0, vcc_lo
	v_xor_b32_e32 v38, v37, v8
	v_xor_b32_e32 v37, v3, v7
	v_cmp_ne_u64_e32 vcc_lo, s[56:57], v[37:38]
	v_cndmask_b32_e32 v38, 0x7fffffff, v38, vcc_lo
	v_cndmask_b32_e32 v37, -1, v37, vcc_lo
	v_lshrrev_b64 v[37:38], s52, v[37:38]
	v_and_b32_e32 v3, s64, v37
	v_lshl_or_b32 v3, v3, 4, v91
	ds_add_u32 v3, v119
	s_or_b32 exec_lo, exec_lo, s14
	s_mov_b32 s14, exec_lo
	v_cmpx_gt_u32_e64 s15, v90
	s_cbranch_execz .LBB1148_907
.LBB1148_960:                           ;   in Loop: Header=BB1148_908 Depth=2
	v_cmp_gt_i64_e32 vcc_lo, 0, v[5:6]
	v_ashrrev_i32_e32 v3, 31, v6
	v_not_b32_e32 v3, v3
	v_cndmask_b32_e64 v37, 0x7fffffff, 0, vcc_lo
	v_xor_b32_e32 v38, v37, v6
	v_xor_b32_e32 v37, v3, v5
	v_cmp_ne_u64_e32 vcc_lo, s[56:57], v[37:38]
	v_cndmask_b32_e32 v38, 0x7fffffff, v38, vcc_lo
	v_cndmask_b32_e32 v37, -1, v37, vcc_lo
	v_lshrrev_b64 v[37:38], s52, v[37:38]
	v_and_b32_e32 v3, s64, v37
	v_lshl_or_b32 v3, v3, 4, v91
	ds_add_u32 v3, v119
	s_branch .LBB1148_907
.LBB1148_961:                           ;   in Loop: Header=BB1148_908 Depth=2
	global_load_dwordx2 v[35:36], v120, s[14:15]
	s_or_b32 exec_lo, exec_lo, s18
	s_mov_b32 s18, exec_lo
	v_cmpx_gt_u32_e64 s16, v74
	s_cbranch_execz .LBB1148_913
.LBB1148_962:                           ;   in Loop: Header=BB1148_908 Depth=2
	global_load_dwordx2 v[33:34], v121, s[14:15]
	s_or_b32 exec_lo, exec_lo, s18
	s_mov_b32 s18, exec_lo
	v_cmpx_gt_u32_e64 s16, v77
	s_cbranch_execz .LBB1148_914
.LBB1148_963:                           ;   in Loop: Header=BB1148_908 Depth=2
	global_load_dwordx2 v[31:32], v122, s[14:15]
	s_or_b32 exec_lo, exec_lo, s18
	s_mov_b32 s18, exec_lo
	v_cmpx_gt_u32_e64 s16, v78
	s_cbranch_execz .LBB1148_915
.LBB1148_964:                           ;   in Loop: Header=BB1148_908 Depth=2
	global_load_dwordx2 v[29:30], v123, s[14:15]
	s_or_b32 exec_lo, exec_lo, s18
	s_mov_b32 s18, exec_lo
	v_cmpx_gt_u32_e64 s16, v79
	s_cbranch_execz .LBB1148_916
.LBB1148_965:                           ;   in Loop: Header=BB1148_908 Depth=2
	global_load_dwordx2 v[27:28], v124, s[14:15]
	s_or_b32 exec_lo, exec_lo, s18
	s_mov_b32 s18, exec_lo
	v_cmpx_gt_u32_e64 s16, v80
	s_cbranch_execz .LBB1148_917
.LBB1148_966:                           ;   in Loop: Header=BB1148_908 Depth=2
	global_load_dwordx2 v[25:26], v125, s[14:15]
	s_or_b32 exec_lo, exec_lo, s18
	s_mov_b32 s18, exec_lo
	v_cmpx_gt_u32_e64 s16, v81
	s_cbranch_execz .LBB1148_918
.LBB1148_967:                           ;   in Loop: Header=BB1148_908 Depth=2
	v_lshlrev_b32_e32 v3, 3, v81
	global_load_dwordx2 v[23:24], v3, s[14:15]
	s_or_b32 exec_lo, exec_lo, s18
	s_mov_b32 s18, exec_lo
	v_cmpx_gt_u32_e64 s16, v82
	s_cbranch_execz .LBB1148_919
.LBB1148_968:                           ;   in Loop: Header=BB1148_908 Depth=2
	v_lshlrev_b32_e32 v3, 3, v82
	global_load_dwordx2 v[21:22], v3, s[14:15]
	s_or_b32 exec_lo, exec_lo, s18
	s_mov_b32 s18, exec_lo
	v_cmpx_gt_u32_e64 s16, v83
	s_cbranch_execz .LBB1148_920
.LBB1148_969:                           ;   in Loop: Header=BB1148_908 Depth=2
	v_lshlrev_b32_e32 v3, 3, v83
	global_load_dwordx2 v[19:20], v3, s[14:15]
	s_or_b32 exec_lo, exec_lo, s18
	s_mov_b32 s18, exec_lo
	v_cmpx_gt_u32_e64 s16, v84
	s_cbranch_execz .LBB1148_921
.LBB1148_970:                           ;   in Loop: Header=BB1148_908 Depth=2
	v_lshlrev_b32_e32 v3, 3, v84
	global_load_dwordx2 v[17:18], v3, s[14:15]
	s_or_b32 exec_lo, exec_lo, s18
	s_mov_b32 s18, exec_lo
	v_cmpx_gt_u32_e64 s16, v85
	s_cbranch_execz .LBB1148_922
.LBB1148_971:                           ;   in Loop: Header=BB1148_908 Depth=2
	v_lshlrev_b32_e32 v3, 3, v85
	global_load_dwordx2 v[15:16], v3, s[14:15]
	s_or_b32 exec_lo, exec_lo, s18
	s_mov_b32 s18, exec_lo
	v_cmpx_gt_u32_e64 s16, v86
	s_cbranch_execz .LBB1148_923
.LBB1148_972:                           ;   in Loop: Header=BB1148_908 Depth=2
	v_lshlrev_b32_e32 v3, 3, v86
	global_load_dwordx2 v[13:14], v3, s[14:15]
	s_or_b32 exec_lo, exec_lo, s18
	s_mov_b32 s18, exec_lo
	v_cmpx_gt_u32_e64 s16, v87
	s_cbranch_execz .LBB1148_924
.LBB1148_973:                           ;   in Loop: Header=BB1148_908 Depth=2
	v_lshlrev_b32_e32 v3, 3, v87
	global_load_dwordx2 v[11:12], v3, s[14:15]
	s_or_b32 exec_lo, exec_lo, s18
	s_mov_b32 s18, exec_lo
	v_cmpx_gt_u32_e64 s16, v88
	s_cbranch_execz .LBB1148_925
.LBB1148_974:                           ;   in Loop: Header=BB1148_908 Depth=2
	v_lshlrev_b32_e32 v3, 3, v88
	global_load_dwordx2 v[9:10], v3, s[14:15]
	s_or_b32 exec_lo, exec_lo, s18
	s_mov_b32 s18, exec_lo
	v_cmpx_gt_u32_e64 s16, v89
	s_cbranch_execz .LBB1148_926
.LBB1148_975:                           ;   in Loop: Header=BB1148_908 Depth=2
	v_lshlrev_b32_e32 v3, 3, v89
	global_load_dwordx2 v[7:8], v3, s[14:15]
	s_or_b32 exec_lo, exec_lo, s18
	s_mov_b32 s18, exec_lo
	v_cmpx_gt_u32_e64 s16, v90
	s_cbranch_execnz .LBB1148_927
	s_branch .LBB1148_928
.LBB1148_976:                           ;   in Loop: Header=BB1148_20 Depth=1
	v_mov_b32_e32 v3, 0
	s_waitcnt lgkmcnt(0)
	s_barrier
	buffer_gl0_inv
	s_and_saveexec_b32 s14, s8
	s_cbranch_execz .LBB1148_978
; %bb.977:                              ;   in Loop: Header=BB1148_20 Depth=1
	ds_read2_b64 v[5:8], v93 offset1:1
	s_waitcnt lgkmcnt(0)
	v_add_nc_u32_e32 v3, v6, v5
	v_add3_u32 v3, v3, v7, v8
.LBB1148_978:                           ;   in Loop: Header=BB1148_20 Depth=1
	s_or_b32 exec_lo, exec_lo, s14
	v_and_b32_e32 v5, 15, v126
	v_mov_b32_dpp v6, v3 row_shr:1 row_mask:0xf bank_mask:0xf
	v_and_b32_e32 v7, 16, v126
	v_cmp_eq_u32_e64 s14, 0, v5
	v_cmp_lt_u32_e64 s15, 1, v5
	v_cmp_lt_u32_e64 s16, 3, v5
	;; [unrolled: 1-line block ×3, first 2 shown]
	v_cmp_eq_u32_e64 s18, 0, v7
	v_cndmask_b32_e64 v6, v6, 0, s14
	v_add_nc_u32_e32 v3, v6, v3
	v_mov_b32_dpp v6, v3 row_shr:2 row_mask:0xf bank_mask:0xf
	v_cndmask_b32_e64 v6, 0, v6, s15
	v_add_nc_u32_e32 v3, v3, v6
	v_mov_b32_dpp v6, v3 row_shr:4 row_mask:0xf bank_mask:0xf
	v_cndmask_b32_e64 v6, 0, v6, s16
	v_add_nc_u32_e32 v3, v3, v6
	v_mov_b32_dpp v6, v3 row_shr:8 row_mask:0xf bank_mask:0xf
	v_cndmask_b32_e64 v5, 0, v6, s17
	v_bfe_i32 v6, v126, 4, 1
	v_add_nc_u32_e32 v3, v3, v5
	ds_swizzle_b32 v5, v3 offset:swizzle(BROADCAST,32,15)
	s_waitcnt lgkmcnt(0)
	v_and_b32_e32 v5, v6, v5
	v_add_nc_u32_e32 v3, v3, v5
	s_and_saveexec_b32 s19, s9
; %bb.979:                              ;   in Loop: Header=BB1148_20 Depth=1
	ds_write_b32 v94, v3
; %bb.980:                              ;   in Loop: Header=BB1148_20 Depth=1
	s_or_b32 exec_lo, exec_lo, s19
	s_waitcnt lgkmcnt(0)
	s_barrier
	buffer_gl0_inv
	s_and_saveexec_b32 s19, s10
	s_cbranch_execz .LBB1148_982
; %bb.981:                              ;   in Loop: Header=BB1148_20 Depth=1
	ds_read_b32 v5, v95
	v_and_b32_e32 v6, 3, v126
	v_cmp_ne_u32_e32 vcc_lo, 0, v6
	s_waitcnt lgkmcnt(0)
	v_mov_b32_dpp v7, v5 row_shr:1 row_mask:0xf bank_mask:0xf
	v_cndmask_b32_e32 v7, 0, v7, vcc_lo
	v_cmp_lt_u32_e32 vcc_lo, 1, v6
	v_add_nc_u32_e32 v5, v7, v5
	v_mov_b32_dpp v7, v5 row_shr:2 row_mask:0xf bank_mask:0xf
	v_cndmask_b32_e32 v6, 0, v7, vcc_lo
	v_add_nc_u32_e32 v5, v5, v6
	ds_write_b32 v95, v5
.LBB1148_982:                           ;   in Loop: Header=BB1148_20 Depth=1
	s_or_b32 exec_lo, exec_lo, s19
	v_mov_b32_e32 v5, 0
	s_waitcnt lgkmcnt(0)
	s_barrier
	buffer_gl0_inv
	s_and_saveexec_b32 s19, s11
; %bb.983:                              ;   in Loop: Header=BB1148_20 Depth=1
	ds_read_b32 v5, v96
; %bb.984:                              ;   in Loop: Header=BB1148_20 Depth=1
	s_or_b32 exec_lo, exec_lo, s19
	v_sub_co_u32 v6, s19, v126, 1
	s_waitcnt lgkmcnt(0)
	v_add_nc_u32_e32 v3, v5, v3
	s_barrier
	v_cmp_gt_i32_e32 vcc_lo, 0, v6
	buffer_gl0_inv
	v_cndmask_b32_e32 v6, v6, v126, vcc_lo
	v_lshlrev_b32_e32 v127, 2, v6
	ds_bpermute_b32 v3, v127, v3
	s_and_saveexec_b32 s20, s8
	s_cbranch_execz .LBB1148_986
; %bb.985:                              ;   in Loop: Header=BB1148_20 Depth=1
	s_waitcnt lgkmcnt(0)
	v_cndmask_b32_e64 v3, v3, v5, s19
	v_add_nc_u32_e32 v3, s60, v3
	ds_write_b32 v73, v3
.LBB1148_986:                           ;   in Loop: Header=BB1148_20 Depth=1
	s_or_b32 exec_lo, exec_lo, s20
	s_load_dwordx2 s[20:21], s[58:59], 0x0
	v_and_b32_e32 v6, 7, v126
	v_lshlrev_b32_e32 v7, 3, v126
	v_or_b32_e32 v128, v126, v97
	s_mov_b32 s65, s62
	s_mov_b32 s46, s60
                                        ; implicit-def: $vgpr9_vgpr10
                                        ; implicit-def: $vgpr11_vgpr12
                                        ; implicit-def: $vgpr13_vgpr14
                                        ; implicit-def: $vgpr17_vgpr18
                                        ; implicit-def: $vgpr21_vgpr22
                                        ; implicit-def: $vgpr25_vgpr26
                                        ; implicit-def: $vgpr15_vgpr16
                                        ; implicit-def: $vgpr19_vgpr20
                                        ; implicit-def: $vgpr23_vgpr24
                                        ; implicit-def: $vgpr27_vgpr28
                                        ; implicit-def: $vgpr29_vgpr30
                                        ; implicit-def: $vgpr31_vgpr32
                                        ; implicit-def: $vgpr33_vgpr34
                                        ; implicit-def: $vgpr35_vgpr36
                                        ; implicit-def: $vgpr149
                                        ; implicit-def: $vgpr150
                                        ; implicit-def: $vgpr151
                                        ; implicit-def: $vgpr152
                                        ; implicit-def: $vgpr153
                                        ; implicit-def: $vgpr154
                                        ; implicit-def: $vgpr155
                                        ; implicit-def: $vgpr157
                                        ; implicit-def: $vgpr158
                                        ; implicit-def: $vgpr159
                                        ; implicit-def: $vgpr160
                                        ; implicit-def: $vgpr161
                                        ; implicit-def: $vgpr162
                                        ; implicit-def: $vgpr163
                                        ; implicit-def: $vgpr164
                                        ; implicit-def: $vgpr165
                                        ; implicit-def: $vgpr156
                                        ; implicit-def: $vgpr166
	v_add_co_u32 v129, vcc_lo, v115, v7
	v_add_co_ci_u32_e64 v130, null, 0, v116, vcc_lo
	v_add_co_u32 v146, vcc_lo, v117, v7
	v_or_b32_e32 v131, 32, v128
	v_or_b32_e32 v132, 64, v128
	;; [unrolled: 1-line block ×7, first 2 shown]
	s_waitcnt lgkmcnt(0)
	s_cmp_lt_u32 s7, s21
	v_or_b32_e32 v138, 0x100, v128
	s_cselect_b32 s21, 14, 20
	v_or_b32_e32 v139, 0x120, v128
	s_add_u32 s22, s58, s21
	s_addc_u32 s23, s59, 0
	s_cmp_lt_u32 s6, s20
	global_load_ushort v3, v4, s[22:23]
	s_cselect_b32 s20, 12, 18
	v_or_b32_e32 v140, 0x140, v128
	s_add_u32 s20, s58, s20
	s_addc_u32 s21, s59, 0
	v_or_b32_e32 v141, 0x160, v128
	global_load_ushort v5, v4, s[20:21]
	v_cmp_eq_u32_e64 s20, 0, v6
	v_cmp_lt_u32_e64 s21, 1, v6
	v_cmp_lt_u32_e64 s22, 3, v6
	v_or_b32_e32 v142, 0x180, v128
	v_or_b32_e32 v143, 0x1a0, v128
	;; [unrolled: 1-line block ×4, first 2 shown]
	v_add_co_ci_u32_e64 v147, null, 0, v118, vcc_lo
                                        ; implicit-def: $vgpr7_vgpr8
	s_waitcnt vmcnt(1)
	v_mad_u32_u24 v3, v2, v3, v1
	s_waitcnt vmcnt(0)
	v_mad_u64_u32 v[5:6], null, v3, v5, v[0:1]
	v_lshrrev_b32_e32 v3, 3, v5
                                        ; implicit-def: $vgpr5_vgpr6
	v_and_b32_e32 v148, 0x1ffffffc, v3
	s_branch .LBB1148_988
.LBB1148_987:                           ;   in Loop: Header=BB1148_988 Depth=2
	s_or_b32 exec_lo, exec_lo, s23
	s_addk_i32 s65, 0xf000
	s_cmp_lt_u32 s66, s61
	s_mov_b32 s46, s66
	s_cbranch_scc0 .LBB1148_18
.LBB1148_988:                           ;   Parent Loop BB1148_20 Depth=1
                                        ; =>  This Inner Loop Header: Depth=2
	s_add_i32 s66, s46, 0x1000
	s_cmp_gt_u32 s66, s61
	s_cbranch_scc1 .LBB1148_990
; %bb.989:                              ;   in Loop: Header=BB1148_988 Depth=2
	s_mov_b32 s47, s56
	s_mov_b32 s23, -1
	s_lshl_b64 s[24:25], s[46:47], 3
	v_add_co_u32 v43, vcc_lo, v146, s24
	v_add_co_ci_u32_e64 v44, null, s25, v147, vcc_lo
	v_add_co_u32 v45, vcc_lo, 0x800, v43
	v_add_co_ci_u32_e64 v46, null, 0, v44, vcc_lo
	s_clause 0xe
	global_load_dwordx2 v[37:38], v[43:44], off
	global_load_dwordx2 v[39:40], v[43:44], off offset:256
	global_load_dwordx2 v[41:42], v[43:44], off offset:512
	;; [unrolled: 1-line block ×7, first 2 shown]
	global_load_dwordx2 v[67:68], v[45:46], off
	global_load_dwordx2 v[63:64], v[45:46], off offset:256
	global_load_dwordx2 v[59:60], v[45:46], off offset:512
	;; [unrolled: 1-line block ×6, first 2 shown]
	s_movk_i32 s24, 0x1000
	s_cbranch_execz .LBB1148_991
	s_branch .LBB1148_1022
.LBB1148_990:                           ;   in Loop: Header=BB1148_988 Depth=2
	s_mov_b32 s23, 0
                                        ; implicit-def: $vgpr37_vgpr38
                                        ; implicit-def: $vgpr39_vgpr40
                                        ; implicit-def: $vgpr41_vgpr42
                                        ; implicit-def: $vgpr49_vgpr50
                                        ; implicit-def: $vgpr53_vgpr54
                                        ; implicit-def: $vgpr57_vgpr58
                                        ; implicit-def: $vgpr61_vgpr62
                                        ; implicit-def: $vgpr65_vgpr66
                                        ; implicit-def: $vgpr67_vgpr68
                                        ; implicit-def: $vgpr63_vgpr64
                                        ; implicit-def: $vgpr59_vgpr60
                                        ; implicit-def: $vgpr55_vgpr56
                                        ; implicit-def: $vgpr51_vgpr52
                                        ; implicit-def: $vgpr47_vgpr48
                                        ; implicit-def: $vgpr43_vgpr44
	s_movk_i32 s24, 0x1000
.LBB1148_991:                           ;   in Loop: Header=BB1148_988 Depth=2
	s_mov_b32 s47, s56
	s_waitcnt vmcnt(13)
	v_mov_b32_e32 v39, -1
	s_lshl_b64 s[24:25], s[46:47], 3
	v_mov_b32_e32 v37, -1
	v_add_co_u32 v45, vcc_lo, v146, s24
	v_add_co_ci_u32_e64 v46, null, s25, v147, vcc_lo
	v_mov_b32_e32 v40, -1
	v_mov_b32_e32 v38, -1
	s_mov_b32 s23, exec_lo
	v_cmpx_gt_u32_e64 s65, v128
	s_cbranch_execz .LBB1148_993
; %bb.992:                              ;   in Loop: Header=BB1148_988 Depth=2
	global_load_dwordx2 v[37:38], v[45:46], off
.LBB1148_993:                           ;   in Loop: Header=BB1148_988 Depth=2
	s_or_b32 exec_lo, exec_lo, s23
	s_mov_b32 s23, exec_lo
	v_cmpx_gt_u32_e64 s65, v131
	s_cbranch_execz .LBB1148_995
; %bb.994:                              ;   in Loop: Header=BB1148_988 Depth=2
	global_load_dwordx2 v[39:40], v[45:46], off offset:256
.LBB1148_995:                           ;   in Loop: Header=BB1148_988 Depth=2
	s_or_b32 exec_lo, exec_lo, s23
	s_waitcnt vmcnt(11)
	v_mov_b32_e32 v49, -1
	v_mov_b32_e32 v41, -1
	;; [unrolled: 1-line block ×4, first 2 shown]
	s_mov_b32 s23, exec_lo
	v_cmpx_gt_u32_e64 s65, v132
	s_cbranch_execz .LBB1148_997
; %bb.996:                              ;   in Loop: Header=BB1148_988 Depth=2
	global_load_dwordx2 v[41:42], v[45:46], off offset:512
.LBB1148_997:                           ;   in Loop: Header=BB1148_988 Depth=2
	s_or_b32 exec_lo, exec_lo, s23
	s_mov_b32 s23, exec_lo
	v_cmpx_gt_u32_e64 s65, v133
	s_cbranch_execz .LBB1148_999
; %bb.998:                              ;   in Loop: Header=BB1148_988 Depth=2
	global_load_dwordx2 v[49:50], v[45:46], off offset:768
.LBB1148_999:                           ;   in Loop: Header=BB1148_988 Depth=2
	s_or_b32 exec_lo, exec_lo, s23
	s_waitcnt vmcnt(9)
	v_mov_b32_e32 v57, -1
	v_mov_b32_e32 v53, -1
	;; [unrolled: 1-line block ×4, first 2 shown]
	s_mov_b32 s23, exec_lo
	v_cmpx_gt_u32_e64 s65, v134
	s_cbranch_execz .LBB1148_1001
; %bb.1000:                             ;   in Loop: Header=BB1148_988 Depth=2
	global_load_dwordx2 v[53:54], v[45:46], off offset:1024
.LBB1148_1001:                          ;   in Loop: Header=BB1148_988 Depth=2
	s_or_b32 exec_lo, exec_lo, s23
	s_mov_b32 s23, exec_lo
	v_cmpx_gt_u32_e64 s65, v135
	s_cbranch_execz .LBB1148_1003
; %bb.1002:                             ;   in Loop: Header=BB1148_988 Depth=2
	global_load_dwordx2 v[57:58], v[45:46], off offset:1280
.LBB1148_1003:                          ;   in Loop: Header=BB1148_988 Depth=2
	s_or_b32 exec_lo, exec_lo, s23
	s_waitcnt vmcnt(7)
	v_mov_b32_e32 v65, -1
	v_mov_b32_e32 v61, -1
	;; [unrolled: 1-line block ×4, first 2 shown]
	s_mov_b32 s23, exec_lo
	v_cmpx_gt_u32_e64 s65, v136
	s_cbranch_execz .LBB1148_1005
; %bb.1004:                             ;   in Loop: Header=BB1148_988 Depth=2
	global_load_dwordx2 v[61:62], v[45:46], off offset:1536
.LBB1148_1005:                          ;   in Loop: Header=BB1148_988 Depth=2
	s_or_b32 exec_lo, exec_lo, s23
	s_mov_b32 s23, exec_lo
	v_cmpx_gt_u32_e64 s65, v137
	s_cbranch_execz .LBB1148_1007
; %bb.1006:                             ;   in Loop: Header=BB1148_988 Depth=2
	global_load_dwordx2 v[65:66], v[45:46], off offset:1792
.LBB1148_1007:                          ;   in Loop: Header=BB1148_988 Depth=2
	s_or_b32 exec_lo, exec_lo, s23
	s_waitcnt vmcnt(5)
	v_mov_b32_e32 v63, -1
	v_mov_b32_e32 v67, -1
	;; [unrolled: 1-line block ×4, first 2 shown]
	s_mov_b32 s23, exec_lo
	v_cmpx_gt_u32_e64 s65, v138
	s_cbranch_execz .LBB1148_1009
; %bb.1008:                             ;   in Loop: Header=BB1148_988 Depth=2
	s_waitcnt vmcnt(0)
	v_add_co_u32 v43, vcc_lo, 0x800, v45
	v_add_co_ci_u32_e64 v44, null, 0, v46, vcc_lo
	global_load_dwordx2 v[67:68], v[43:44], off
.LBB1148_1009:                          ;   in Loop: Header=BB1148_988 Depth=2
	s_or_b32 exec_lo, exec_lo, s23
	s_mov_b32 s23, exec_lo
	v_cmpx_gt_u32_e64 s65, v139
	s_cbranch_execz .LBB1148_1011
; %bb.1010:                             ;   in Loop: Header=BB1148_988 Depth=2
	s_waitcnt vmcnt(0)
	v_add_co_u32 v43, vcc_lo, 0x800, v45
	v_add_co_ci_u32_e64 v44, null, 0, v46, vcc_lo
	global_load_dwordx2 v[63:64], v[43:44], off offset:256
.LBB1148_1011:                          ;   in Loop: Header=BB1148_988 Depth=2
	s_or_b32 exec_lo, exec_lo, s23
	s_waitcnt vmcnt(3)
	v_mov_b32_e32 v55, -1
	v_mov_b32_e32 v59, -1
	;; [unrolled: 1-line block ×4, first 2 shown]
	s_mov_b32 s23, exec_lo
	v_cmpx_gt_u32_e64 s65, v140
	s_cbranch_execz .LBB1148_1013
; %bb.1012:                             ;   in Loop: Header=BB1148_988 Depth=2
	s_waitcnt vmcnt(0)
	v_add_co_u32 v43, vcc_lo, 0x800, v45
	v_add_co_ci_u32_e64 v44, null, 0, v46, vcc_lo
	global_load_dwordx2 v[59:60], v[43:44], off offset:512
.LBB1148_1013:                          ;   in Loop: Header=BB1148_988 Depth=2
	s_or_b32 exec_lo, exec_lo, s23
	s_mov_b32 s23, exec_lo
	v_cmpx_gt_u32_e64 s65, v141
	s_cbranch_execz .LBB1148_1015
; %bb.1014:                             ;   in Loop: Header=BB1148_988 Depth=2
	s_waitcnt vmcnt(0)
	v_add_co_u32 v43, vcc_lo, 0x800, v45
	v_add_co_ci_u32_e64 v44, null, 0, v46, vcc_lo
	global_load_dwordx2 v[55:56], v[43:44], off offset:768
.LBB1148_1015:                          ;   in Loop: Header=BB1148_988 Depth=2
	s_or_b32 exec_lo, exec_lo, s23
	s_waitcnt vmcnt(1)
	v_mov_b32_e32 v47, -1
	v_mov_b32_e32 v51, -1
	;; [unrolled: 1-line block ×4, first 2 shown]
	s_mov_b32 s23, exec_lo
	v_cmpx_gt_u32_e64 s65, v142
	s_cbranch_execz .LBB1148_1017
; %bb.1016:                             ;   in Loop: Header=BB1148_988 Depth=2
	s_waitcnt vmcnt(0)
	v_add_co_u32 v43, vcc_lo, 0x800, v45
	v_add_co_ci_u32_e64 v44, null, 0, v46, vcc_lo
	global_load_dwordx2 v[51:52], v[43:44], off offset:1024
.LBB1148_1017:                          ;   in Loop: Header=BB1148_988 Depth=2
	s_or_b32 exec_lo, exec_lo, s23
	s_mov_b32 s23, exec_lo
	v_cmpx_gt_u32_e64 s65, v143
	s_cbranch_execz .LBB1148_1019
; %bb.1018:                             ;   in Loop: Header=BB1148_988 Depth=2
	s_waitcnt vmcnt(0)
	v_add_co_u32 v43, vcc_lo, 0x800, v45
	v_add_co_ci_u32_e64 v44, null, 0, v46, vcc_lo
	global_load_dwordx2 v[47:48], v[43:44], off offset:1280
.LBB1148_1019:                          ;   in Loop: Header=BB1148_988 Depth=2
	s_or_b32 exec_lo, exec_lo, s23
	s_waitcnt vmcnt(0)
	v_mov_b32_e32 v43, -1
	v_mov_b32_e32 v44, -1
	s_mov_b32 s23, exec_lo
	v_cmpx_gt_u32_e64 s65, v144
	s_cbranch_execz .LBB1148_1021
; %bb.1020:                             ;   in Loop: Header=BB1148_988 Depth=2
	v_add_co_u32 v43, vcc_lo, 0x800, v45
	v_add_co_ci_u32_e64 v44, null, 0, v46, vcc_lo
	global_load_dwordx2 v[43:44], v[43:44], off offset:1536
.LBB1148_1021:                          ;   in Loop: Header=BB1148_988 Depth=2
	s_or_b32 exec_lo, exec_lo, s23
	v_cmp_gt_u32_e64 s23, s65, v145
	s_sub_i32 s24, s61, s46
.LBB1148_1022:                          ;   in Loop: Header=BB1148_988 Depth=2
	v_mov_b32_e32 v45, -1
	v_mov_b32_e32 v46, -1
	v_mov_b32_e32 v167, s65
	s_and_saveexec_b32 s25, s23
	s_cbranch_execz .LBB1148_1024
; %bb.1023:                             ;   in Loop: Header=BB1148_988 Depth=2
	s_lshl_b64 s[26:27], s[46:47], 3
	v_mov_b32_e32 v167, s24
	v_add_co_u32 v3, vcc_lo, v146, s26
	v_add_co_ci_u32_e64 v46, null, s27, v147, vcc_lo
	v_add_co_u32 v45, vcc_lo, 0x800, v3
	v_add_co_ci_u32_e64 v46, null, 0, v46, vcc_lo
	global_load_dwordx2 v[45:46], v[45:46], off offset:1792
.LBB1148_1024:                          ;   in Loop: Header=BB1148_988 Depth=2
	s_or_b32 exec_lo, exec_lo, s25
	s_waitcnt vmcnt(14)
	v_cmp_gt_i64_e32 vcc_lo, 0, v[37:38]
	v_ashrrev_i32_e32 v3, 31, v38
	ds_write2_b32 v98, v4, v4 offset0:136 offset1:137
	ds_write2_b32 v98, v4, v4 offset0:138 offset1:139
	ds_write_b32 v98, v4 offset:560
	s_waitcnt vmcnt(0) lgkmcnt(0)
	s_barrier
	v_cndmask_b32_e64 v69, 0x7fffffff, 0, vcc_lo
	v_not_b32_e32 v3, v3
	buffer_gl0_inv
	; wave barrier
	v_xor_b32_e32 v38, v69, v38
	v_xor_b32_e32 v37, v3, v37
	v_cmp_ne_u64_e32 vcc_lo, s[56:57], v[37:38]
	v_cndmask_b32_e32 v70, 0x7fffffff, v38, vcc_lo
	v_cndmask_b32_e32 v69, -1, v37, vcc_lo
	v_lshrrev_b64 v[69:70], s52, v[69:70]
	v_and_b32_e32 v70, s64, v69
	v_and_b32_e32 v3, 1, v70
	v_lshlrev_b32_e32 v69, 30, v70
	v_lshlrev_b32_e32 v71, 29, v70
	;; [unrolled: 1-line block ×4, first 2 shown]
	v_add_co_u32 v3, s23, v3, -1
	v_cndmask_b32_e64 v72, 0, 1, s23
	v_not_b32_e32 v171, v69
	v_cmp_gt_i32_e64 s23, 0, v69
	v_not_b32_e32 v69, v71
	v_lshlrev_b32_e32 v170, 26, v70
	v_cmp_ne_u32_e32 vcc_lo, 0, v72
	v_ashrrev_i32_e32 v171, 31, v171
	v_lshlrev_b32_e32 v72, 25, v70
	v_ashrrev_i32_e32 v69, 31, v69
	v_mul_u32_u24_e32 v70, 36, v70
	v_xor_b32_e32 v3, vcc_lo, v3
	v_cmp_gt_i32_e32 vcc_lo, 0, v71
	v_not_b32_e32 v71, v168
	v_xor_b32_e32 v171, s23, v171
	v_cmp_gt_i32_e64 s23, 0, v168
	v_and_b32_e32 v3, exec_lo, v3
	v_not_b32_e32 v168, v169
	v_ashrrev_i32_e32 v71, 31, v71
	v_xor_b32_e32 v69, vcc_lo, v69
	v_cmp_gt_i32_e32 vcc_lo, 0, v169
	v_and_b32_e32 v3, v3, v171
	v_not_b32_e32 v169, v170
	v_ashrrev_i32_e32 v168, 31, v168
	v_xor_b32_e32 v71, s23, v71
	v_cmp_gt_i32_e64 s23, 0, v170
	v_and_b32_e32 v3, v3, v69
	v_not_b32_e32 v69, v72
	v_ashrrev_i32_e32 v169, 31, v169
	v_xor_b32_e32 v168, vcc_lo, v168
	v_cmp_gt_i32_e32 vcc_lo, 0, v72
	v_and_b32_e32 v3, v3, v71
	v_ashrrev_i32_e32 v69, 31, v69
	v_xor_b32_e32 v71, s23, v169
	v_and_b32_e32 v3, v3, v168
	v_xor_b32_e32 v69, vcc_lo, v69
	v_add_nc_u32_e32 v168, v148, v70
	v_and_b32_e32 v3, v3, v71
	v_and_b32_e32 v69, v3, v69
	v_mbcnt_lo_u32_b32 v3, v69, 0
	v_cmp_ne_u32_e64 s23, 0, v69
	v_cmp_eq_u32_e32 vcc_lo, 0, v3
	s_and_b32 s24, s23, vcc_lo
	s_and_saveexec_b32 s23, s24
; %bb.1025:                             ;   in Loop: Header=BB1148_988 Depth=2
	v_bcnt_u32_b32 v69, v69, 0
	ds_write_b32 v168, v69 offset:544
; %bb.1026:                             ;   in Loop: Header=BB1148_988 Depth=2
	s_or_b32 exec_lo, exec_lo, s23
	v_cmp_gt_i64_e32 vcc_lo, 0, v[39:40]
	v_ashrrev_i32_e32 v69, 31, v40
	; wave barrier
	v_not_b32_e32 v69, v69
	v_cndmask_b32_e64 v70, 0x7fffffff, 0, vcc_lo
	v_xor_b32_e32 v39, v69, v39
	v_xor_b32_e32 v40, v70, v40
	v_cmp_ne_u64_e32 vcc_lo, s[56:57], v[39:40]
	v_cndmask_b32_e32 v70, 0x7fffffff, v40, vcc_lo
	v_cndmask_b32_e32 v69, -1, v39, vcc_lo
	v_lshrrev_b64 v[69:70], s52, v[69:70]
	v_and_b32_e32 v70, s64, v69
	v_and_b32_e32 v69, 1, v70
	v_lshlrev_b32_e32 v71, 30, v70
	v_lshlrev_b32_e32 v72, 29, v70
	v_lshlrev_b32_e32 v170, 28, v70
	v_lshlrev_b32_e32 v171, 27, v70
	v_add_co_u32 v69, s23, v69, -1
	v_cndmask_b32_e64 v169, 0, 1, s23
	v_not_b32_e32 v173, v71
	v_cmp_gt_i32_e64 s23, 0, v71
	v_not_b32_e32 v71, v72
	v_lshlrev_b32_e32 v172, 26, v70
	v_cmp_ne_u32_e32 vcc_lo, 0, v169
	v_ashrrev_i32_e32 v173, 31, v173
	v_lshlrev_b32_e32 v169, 25, v70
	v_ashrrev_i32_e32 v71, 31, v71
	v_xor_b32_e32 v69, vcc_lo, v69
	v_cmp_gt_i32_e32 vcc_lo, 0, v72
	v_not_b32_e32 v72, v170
	v_xor_b32_e32 v173, s23, v173
	v_cmp_gt_i32_e64 s23, 0, v170
	v_and_b32_e32 v69, exec_lo, v69
	v_not_b32_e32 v170, v171
	v_ashrrev_i32_e32 v72, 31, v72
	v_xor_b32_e32 v71, vcc_lo, v71
	v_cmp_gt_i32_e32 vcc_lo, 0, v171
	v_and_b32_e32 v69, v69, v173
	v_not_b32_e32 v171, v172
	v_ashrrev_i32_e32 v170, 31, v170
	v_xor_b32_e32 v72, s23, v72
	v_cmp_gt_i32_e64 s23, 0, v172
	v_and_b32_e32 v69, v69, v71
	v_not_b32_e32 v71, v169
	v_ashrrev_i32_e32 v171, 31, v171
	v_xor_b32_e32 v170, vcc_lo, v170
	v_cmp_gt_i32_e32 vcc_lo, 0, v169
	v_and_b32_e32 v69, v69, v72
	v_ashrrev_i32_e32 v71, 31, v71
	v_xor_b32_e32 v72, s23, v171
	v_mad_u32_u24 v169, v70, 36, v148
	v_mul_u32_u24_e32 v70, 36, v70
	v_and_b32_e32 v69, v69, v170
	v_xor_b32_e32 v71, vcc_lo, v71
	ds_read_b32 v169, v169 offset:544
	v_add_nc_u32_e32 v171, v148, v70
	v_and_b32_e32 v69, v69, v72
	; wave barrier
	v_and_b32_e32 v69, v69, v71
	v_mbcnt_lo_u32_b32 v170, v69, 0
	v_cmp_ne_u32_e64 s23, 0, v69
	v_cmp_eq_u32_e32 vcc_lo, 0, v170
	s_and_b32 s24, s23, vcc_lo
	s_and_saveexec_b32 s23, s24
	s_cbranch_execz .LBB1148_1028
; %bb.1027:                             ;   in Loop: Header=BB1148_988 Depth=2
	s_waitcnt lgkmcnt(0)
	v_bcnt_u32_b32 v69, v69, v169
	ds_write_b32 v171, v69 offset:544
.LBB1148_1028:                          ;   in Loop: Header=BB1148_988 Depth=2
	s_or_b32 exec_lo, exec_lo, s23
	v_cmp_gt_i64_e32 vcc_lo, 0, v[41:42]
	v_ashrrev_i32_e32 v69, 31, v42
	; wave barrier
	v_not_b32_e32 v69, v69
	v_cndmask_b32_e64 v70, 0x7fffffff, 0, vcc_lo
	v_xor_b32_e32 v41, v69, v41
	v_xor_b32_e32 v42, v70, v42
	v_cmp_ne_u64_e32 vcc_lo, s[56:57], v[41:42]
	v_cndmask_b32_e32 v70, 0x7fffffff, v42, vcc_lo
	v_cndmask_b32_e32 v69, -1, v41, vcc_lo
	v_lshrrev_b64 v[69:70], s52, v[69:70]
	v_and_b32_e32 v70, s64, v69
	v_and_b32_e32 v69, 1, v70
	v_lshlrev_b32_e32 v71, 30, v70
	v_lshlrev_b32_e32 v72, 29, v70
	;; [unrolled: 1-line block ×4, first 2 shown]
	v_add_co_u32 v69, s23, v69, -1
	v_cndmask_b32_e64 v172, 0, 1, s23
	v_not_b32_e32 v176, v71
	v_cmp_gt_i32_e64 s23, 0, v71
	v_not_b32_e32 v71, v72
	v_lshlrev_b32_e32 v175, 26, v70
	v_cmp_ne_u32_e32 vcc_lo, 0, v172
	v_ashrrev_i32_e32 v176, 31, v176
	v_lshlrev_b32_e32 v172, 25, v70
	v_ashrrev_i32_e32 v71, 31, v71
	v_xor_b32_e32 v69, vcc_lo, v69
	v_cmp_gt_i32_e32 vcc_lo, 0, v72
	v_not_b32_e32 v72, v173
	v_xor_b32_e32 v176, s23, v176
	v_cmp_gt_i32_e64 s23, 0, v173
	v_and_b32_e32 v69, exec_lo, v69
	v_not_b32_e32 v173, v174
	v_ashrrev_i32_e32 v72, 31, v72
	v_xor_b32_e32 v71, vcc_lo, v71
	v_cmp_gt_i32_e32 vcc_lo, 0, v174
	v_and_b32_e32 v69, v69, v176
	v_not_b32_e32 v174, v175
	v_ashrrev_i32_e32 v173, 31, v173
	v_xor_b32_e32 v72, s23, v72
	v_cmp_gt_i32_e64 s23, 0, v175
	v_and_b32_e32 v69, v69, v71
	v_not_b32_e32 v71, v172
	v_ashrrev_i32_e32 v174, 31, v174
	v_xor_b32_e32 v173, vcc_lo, v173
	v_cmp_gt_i32_e32 vcc_lo, 0, v172
	v_and_b32_e32 v69, v69, v72
	v_ashrrev_i32_e32 v71, 31, v71
	v_xor_b32_e32 v72, s23, v174
	v_mad_u32_u24 v172, v70, 36, v148
	v_mul_u32_u24_e32 v70, 36, v70
	v_and_b32_e32 v69, v69, v173
	v_xor_b32_e32 v71, vcc_lo, v71
	ds_read_b32 v172, v172 offset:544
	v_add_nc_u32_e32 v174, v148, v70
	v_and_b32_e32 v69, v69, v72
	; wave barrier
	v_and_b32_e32 v69, v69, v71
	v_mbcnt_lo_u32_b32 v173, v69, 0
	v_cmp_ne_u32_e64 s23, 0, v69
	v_cmp_eq_u32_e32 vcc_lo, 0, v173
	s_and_b32 s24, s23, vcc_lo
	s_and_saveexec_b32 s23, s24
	s_cbranch_execz .LBB1148_1030
; %bb.1029:                             ;   in Loop: Header=BB1148_988 Depth=2
	s_waitcnt lgkmcnt(0)
	v_bcnt_u32_b32 v69, v69, v172
	ds_write_b32 v174, v69 offset:544
.LBB1148_1030:                          ;   in Loop: Header=BB1148_988 Depth=2
	s_or_b32 exec_lo, exec_lo, s23
	v_cmp_gt_i64_e32 vcc_lo, 0, v[49:50]
	v_ashrrev_i32_e32 v69, 31, v50
	; wave barrier
	v_not_b32_e32 v69, v69
	v_cndmask_b32_e64 v70, 0x7fffffff, 0, vcc_lo
	v_xor_b32_e32 v49, v69, v49
	v_xor_b32_e32 v50, v70, v50
	v_cmp_ne_u64_e32 vcc_lo, s[56:57], v[49:50]
	v_cndmask_b32_e32 v70, 0x7fffffff, v50, vcc_lo
	v_cndmask_b32_e32 v69, -1, v49, vcc_lo
	v_lshrrev_b64 v[69:70], s52, v[69:70]
	v_and_b32_e32 v70, s64, v69
	v_and_b32_e32 v69, 1, v70
	v_lshlrev_b32_e32 v71, 30, v70
	v_lshlrev_b32_e32 v72, 29, v70
	v_lshlrev_b32_e32 v176, 28, v70
	v_lshlrev_b32_e32 v177, 27, v70
	v_add_co_u32 v69, s23, v69, -1
	v_cndmask_b32_e64 v175, 0, 1, s23
	v_not_b32_e32 v179, v71
	v_cmp_gt_i32_e64 s23, 0, v71
	v_not_b32_e32 v71, v72
	v_lshlrev_b32_e32 v178, 26, v70
	v_cmp_ne_u32_e32 vcc_lo, 0, v175
	v_ashrrev_i32_e32 v179, 31, v179
	v_lshlrev_b32_e32 v175, 25, v70
	v_ashrrev_i32_e32 v71, 31, v71
	v_xor_b32_e32 v69, vcc_lo, v69
	v_cmp_gt_i32_e32 vcc_lo, 0, v72
	v_not_b32_e32 v72, v176
	v_xor_b32_e32 v179, s23, v179
	v_cmp_gt_i32_e64 s23, 0, v176
	v_and_b32_e32 v69, exec_lo, v69
	v_not_b32_e32 v176, v177
	v_ashrrev_i32_e32 v72, 31, v72
	v_xor_b32_e32 v71, vcc_lo, v71
	v_cmp_gt_i32_e32 vcc_lo, 0, v177
	v_and_b32_e32 v69, v69, v179
	v_not_b32_e32 v177, v178
	v_ashrrev_i32_e32 v176, 31, v176
	v_xor_b32_e32 v72, s23, v72
	v_cmp_gt_i32_e64 s23, 0, v178
	v_and_b32_e32 v69, v69, v71
	v_not_b32_e32 v71, v175
	v_ashrrev_i32_e32 v177, 31, v177
	v_xor_b32_e32 v176, vcc_lo, v176
	v_cmp_gt_i32_e32 vcc_lo, 0, v175
	v_and_b32_e32 v69, v69, v72
	v_ashrrev_i32_e32 v71, 31, v71
	v_xor_b32_e32 v72, s23, v177
	v_mad_u32_u24 v175, v70, 36, v148
	v_mul_u32_u24_e32 v70, 36, v70
	v_and_b32_e32 v69, v69, v176
	v_xor_b32_e32 v71, vcc_lo, v71
	ds_read_b32 v175, v175 offset:544
	v_add_nc_u32_e32 v177, v148, v70
	v_and_b32_e32 v69, v69, v72
	; wave barrier
	v_and_b32_e32 v69, v69, v71
	v_mbcnt_lo_u32_b32 v176, v69, 0
	v_cmp_ne_u32_e64 s23, 0, v69
	v_cmp_eq_u32_e32 vcc_lo, 0, v176
	s_and_b32 s24, s23, vcc_lo
	s_and_saveexec_b32 s23, s24
	s_cbranch_execz .LBB1148_1032
; %bb.1031:                             ;   in Loop: Header=BB1148_988 Depth=2
	s_waitcnt lgkmcnt(0)
	v_bcnt_u32_b32 v69, v69, v175
	ds_write_b32 v177, v69 offset:544
.LBB1148_1032:                          ;   in Loop: Header=BB1148_988 Depth=2
	s_or_b32 exec_lo, exec_lo, s23
	v_cmp_gt_i64_e32 vcc_lo, 0, v[53:54]
	v_ashrrev_i32_e32 v69, 31, v54
	; wave barrier
	v_not_b32_e32 v69, v69
	v_cndmask_b32_e64 v70, 0x7fffffff, 0, vcc_lo
	v_xor_b32_e32 v53, v69, v53
	v_xor_b32_e32 v54, v70, v54
	v_cmp_ne_u64_e32 vcc_lo, s[56:57], v[53:54]
	v_cndmask_b32_e32 v70, 0x7fffffff, v54, vcc_lo
	v_cndmask_b32_e32 v69, -1, v53, vcc_lo
	v_lshrrev_b64 v[69:70], s52, v[69:70]
	v_and_b32_e32 v70, s64, v69
	v_and_b32_e32 v69, 1, v70
	v_lshlrev_b32_e32 v71, 30, v70
	v_lshlrev_b32_e32 v72, 29, v70
	;; [unrolled: 1-line block ×4, first 2 shown]
	v_add_co_u32 v69, s23, v69, -1
	v_cndmask_b32_e64 v178, 0, 1, s23
	v_not_b32_e32 v182, v71
	v_cmp_gt_i32_e64 s23, 0, v71
	v_not_b32_e32 v71, v72
	v_lshlrev_b32_e32 v181, 26, v70
	v_cmp_ne_u32_e32 vcc_lo, 0, v178
	v_ashrrev_i32_e32 v182, 31, v182
	v_lshlrev_b32_e32 v178, 25, v70
	v_ashrrev_i32_e32 v71, 31, v71
	v_xor_b32_e32 v69, vcc_lo, v69
	v_cmp_gt_i32_e32 vcc_lo, 0, v72
	v_not_b32_e32 v72, v179
	v_xor_b32_e32 v182, s23, v182
	v_cmp_gt_i32_e64 s23, 0, v179
	v_and_b32_e32 v69, exec_lo, v69
	v_not_b32_e32 v179, v180
	v_ashrrev_i32_e32 v72, 31, v72
	v_xor_b32_e32 v71, vcc_lo, v71
	v_cmp_gt_i32_e32 vcc_lo, 0, v180
	v_and_b32_e32 v69, v69, v182
	v_not_b32_e32 v180, v181
	v_ashrrev_i32_e32 v179, 31, v179
	v_xor_b32_e32 v72, s23, v72
	v_cmp_gt_i32_e64 s23, 0, v181
	v_and_b32_e32 v69, v69, v71
	v_not_b32_e32 v71, v178
	v_ashrrev_i32_e32 v180, 31, v180
	v_xor_b32_e32 v179, vcc_lo, v179
	v_cmp_gt_i32_e32 vcc_lo, 0, v178
	v_and_b32_e32 v69, v69, v72
	v_ashrrev_i32_e32 v71, 31, v71
	v_xor_b32_e32 v72, s23, v180
	v_mad_u32_u24 v178, v70, 36, v148
	v_mul_u32_u24_e32 v70, 36, v70
	v_and_b32_e32 v69, v69, v179
	v_xor_b32_e32 v71, vcc_lo, v71
	ds_read_b32 v178, v178 offset:544
	v_add_nc_u32_e32 v180, v148, v70
	v_and_b32_e32 v69, v69, v72
	; wave barrier
	v_and_b32_e32 v69, v69, v71
	v_mbcnt_lo_u32_b32 v179, v69, 0
	v_cmp_ne_u32_e64 s23, 0, v69
	v_cmp_eq_u32_e32 vcc_lo, 0, v179
	s_and_b32 s24, s23, vcc_lo
	s_and_saveexec_b32 s23, s24
	s_cbranch_execz .LBB1148_1034
; %bb.1033:                             ;   in Loop: Header=BB1148_988 Depth=2
	s_waitcnt lgkmcnt(0)
	v_bcnt_u32_b32 v69, v69, v178
	ds_write_b32 v180, v69 offset:544
.LBB1148_1034:                          ;   in Loop: Header=BB1148_988 Depth=2
	s_or_b32 exec_lo, exec_lo, s23
	v_cmp_gt_i64_e32 vcc_lo, 0, v[57:58]
	v_ashrrev_i32_e32 v69, 31, v58
	; wave barrier
	v_not_b32_e32 v69, v69
	v_cndmask_b32_e64 v70, 0x7fffffff, 0, vcc_lo
	v_xor_b32_e32 v57, v69, v57
	v_xor_b32_e32 v58, v70, v58
	v_cmp_ne_u64_e32 vcc_lo, s[56:57], v[57:58]
	v_cndmask_b32_e32 v70, 0x7fffffff, v58, vcc_lo
	v_cndmask_b32_e32 v69, -1, v57, vcc_lo
	v_lshrrev_b64 v[69:70], s52, v[69:70]
	v_and_b32_e32 v70, s64, v69
	v_and_b32_e32 v69, 1, v70
	v_lshlrev_b32_e32 v71, 30, v70
	v_lshlrev_b32_e32 v72, 29, v70
	;; [unrolled: 1-line block ×4, first 2 shown]
	v_add_co_u32 v69, s23, v69, -1
	v_cndmask_b32_e64 v181, 0, 1, s23
	v_not_b32_e32 v185, v71
	v_cmp_gt_i32_e64 s23, 0, v71
	v_not_b32_e32 v71, v72
	v_lshlrev_b32_e32 v184, 26, v70
	v_cmp_ne_u32_e32 vcc_lo, 0, v181
	v_ashrrev_i32_e32 v185, 31, v185
	v_lshlrev_b32_e32 v181, 25, v70
	v_ashrrev_i32_e32 v71, 31, v71
	v_xor_b32_e32 v69, vcc_lo, v69
	v_cmp_gt_i32_e32 vcc_lo, 0, v72
	v_not_b32_e32 v72, v182
	v_xor_b32_e32 v185, s23, v185
	v_cmp_gt_i32_e64 s23, 0, v182
	v_and_b32_e32 v69, exec_lo, v69
	v_not_b32_e32 v182, v183
	v_ashrrev_i32_e32 v72, 31, v72
	v_xor_b32_e32 v71, vcc_lo, v71
	v_cmp_gt_i32_e32 vcc_lo, 0, v183
	v_and_b32_e32 v69, v69, v185
	v_not_b32_e32 v183, v184
	v_ashrrev_i32_e32 v182, 31, v182
	v_xor_b32_e32 v72, s23, v72
	v_cmp_gt_i32_e64 s23, 0, v184
	v_and_b32_e32 v69, v69, v71
	v_not_b32_e32 v71, v181
	v_ashrrev_i32_e32 v183, 31, v183
	v_xor_b32_e32 v182, vcc_lo, v182
	v_cmp_gt_i32_e32 vcc_lo, 0, v181
	v_and_b32_e32 v69, v69, v72
	v_ashrrev_i32_e32 v71, 31, v71
	v_xor_b32_e32 v72, s23, v183
	v_mad_u32_u24 v181, v70, 36, v148
	v_mul_u32_u24_e32 v70, 36, v70
	v_and_b32_e32 v69, v69, v182
	v_xor_b32_e32 v71, vcc_lo, v71
	ds_read_b32 v181, v181 offset:544
	v_add_nc_u32_e32 v183, v148, v70
	v_and_b32_e32 v69, v69, v72
	; wave barrier
	v_and_b32_e32 v69, v69, v71
	v_mbcnt_lo_u32_b32 v182, v69, 0
	v_cmp_ne_u32_e64 s23, 0, v69
	v_cmp_eq_u32_e32 vcc_lo, 0, v182
	s_and_b32 s24, s23, vcc_lo
	s_and_saveexec_b32 s23, s24
	s_cbranch_execz .LBB1148_1036
; %bb.1035:                             ;   in Loop: Header=BB1148_988 Depth=2
	s_waitcnt lgkmcnt(0)
	v_bcnt_u32_b32 v69, v69, v181
	ds_write_b32 v183, v69 offset:544
.LBB1148_1036:                          ;   in Loop: Header=BB1148_988 Depth=2
	s_or_b32 exec_lo, exec_lo, s23
	v_cmp_gt_i64_e32 vcc_lo, 0, v[61:62]
	v_ashrrev_i32_e32 v69, 31, v62
	; wave barrier
	v_not_b32_e32 v69, v69
	v_cndmask_b32_e64 v70, 0x7fffffff, 0, vcc_lo
	v_xor_b32_e32 v61, v69, v61
	v_xor_b32_e32 v62, v70, v62
	v_cmp_ne_u64_e32 vcc_lo, s[56:57], v[61:62]
	v_cndmask_b32_e32 v70, 0x7fffffff, v62, vcc_lo
	v_cndmask_b32_e32 v69, -1, v61, vcc_lo
	v_lshrrev_b64 v[69:70], s52, v[69:70]
	v_and_b32_e32 v70, s64, v69
	v_and_b32_e32 v69, 1, v70
	v_lshlrev_b32_e32 v71, 30, v70
	v_lshlrev_b32_e32 v72, 29, v70
	;; [unrolled: 1-line block ×4, first 2 shown]
	v_add_co_u32 v69, s23, v69, -1
	v_cndmask_b32_e64 v184, 0, 1, s23
	v_not_b32_e32 v188, v71
	v_cmp_gt_i32_e64 s23, 0, v71
	v_not_b32_e32 v71, v72
	v_lshlrev_b32_e32 v187, 26, v70
	v_cmp_ne_u32_e32 vcc_lo, 0, v184
	v_ashrrev_i32_e32 v188, 31, v188
	v_lshlrev_b32_e32 v184, 25, v70
	v_ashrrev_i32_e32 v71, 31, v71
	v_xor_b32_e32 v69, vcc_lo, v69
	v_cmp_gt_i32_e32 vcc_lo, 0, v72
	v_not_b32_e32 v72, v185
	v_xor_b32_e32 v188, s23, v188
	v_cmp_gt_i32_e64 s23, 0, v185
	v_and_b32_e32 v69, exec_lo, v69
	v_not_b32_e32 v185, v186
	v_ashrrev_i32_e32 v72, 31, v72
	v_xor_b32_e32 v71, vcc_lo, v71
	v_cmp_gt_i32_e32 vcc_lo, 0, v186
	v_and_b32_e32 v69, v69, v188
	v_not_b32_e32 v186, v187
	v_ashrrev_i32_e32 v185, 31, v185
	v_xor_b32_e32 v72, s23, v72
	v_cmp_gt_i32_e64 s23, 0, v187
	v_and_b32_e32 v69, v69, v71
	v_not_b32_e32 v71, v184
	v_ashrrev_i32_e32 v186, 31, v186
	v_xor_b32_e32 v185, vcc_lo, v185
	v_cmp_gt_i32_e32 vcc_lo, 0, v184
	v_and_b32_e32 v69, v69, v72
	v_ashrrev_i32_e32 v71, 31, v71
	v_xor_b32_e32 v72, s23, v186
	v_mad_u32_u24 v184, v70, 36, v148
	v_mul_u32_u24_e32 v70, 36, v70
	v_and_b32_e32 v69, v69, v185
	v_xor_b32_e32 v71, vcc_lo, v71
	ds_read_b32 v184, v184 offset:544
	v_add_nc_u32_e32 v186, v148, v70
	v_and_b32_e32 v69, v69, v72
	; wave barrier
	v_and_b32_e32 v69, v69, v71
	v_mbcnt_lo_u32_b32 v185, v69, 0
	v_cmp_ne_u32_e64 s23, 0, v69
	v_cmp_eq_u32_e32 vcc_lo, 0, v185
	s_and_b32 s24, s23, vcc_lo
	s_and_saveexec_b32 s23, s24
	s_cbranch_execz .LBB1148_1038
; %bb.1037:                             ;   in Loop: Header=BB1148_988 Depth=2
	s_waitcnt lgkmcnt(0)
	v_bcnt_u32_b32 v69, v69, v184
	ds_write_b32 v186, v69 offset:544
.LBB1148_1038:                          ;   in Loop: Header=BB1148_988 Depth=2
	s_or_b32 exec_lo, exec_lo, s23
	v_cmp_gt_i64_e32 vcc_lo, 0, v[65:66]
	v_ashrrev_i32_e32 v69, 31, v66
	; wave barrier
	v_not_b32_e32 v69, v69
	v_cndmask_b32_e64 v70, 0x7fffffff, 0, vcc_lo
	v_xor_b32_e32 v65, v69, v65
	v_xor_b32_e32 v66, v70, v66
	v_cmp_ne_u64_e32 vcc_lo, s[56:57], v[65:66]
	v_cndmask_b32_e32 v70, 0x7fffffff, v66, vcc_lo
	v_cndmask_b32_e32 v69, -1, v65, vcc_lo
	v_lshrrev_b64 v[69:70], s52, v[69:70]
	v_and_b32_e32 v70, s64, v69
	v_and_b32_e32 v69, 1, v70
	v_lshlrev_b32_e32 v71, 30, v70
	v_lshlrev_b32_e32 v72, 29, v70
	;; [unrolled: 1-line block ×4, first 2 shown]
	v_add_co_u32 v69, s23, v69, -1
	v_cndmask_b32_e64 v187, 0, 1, s23
	v_not_b32_e32 v191, v71
	v_cmp_gt_i32_e64 s23, 0, v71
	v_not_b32_e32 v71, v72
	v_lshlrev_b32_e32 v190, 26, v70
	v_cmp_ne_u32_e32 vcc_lo, 0, v187
	v_ashrrev_i32_e32 v191, 31, v191
	v_lshlrev_b32_e32 v187, 25, v70
	v_ashrrev_i32_e32 v71, 31, v71
	v_xor_b32_e32 v69, vcc_lo, v69
	v_cmp_gt_i32_e32 vcc_lo, 0, v72
	v_not_b32_e32 v72, v188
	v_xor_b32_e32 v191, s23, v191
	v_cmp_gt_i32_e64 s23, 0, v188
	v_and_b32_e32 v69, exec_lo, v69
	v_not_b32_e32 v188, v189
	v_ashrrev_i32_e32 v72, 31, v72
	v_xor_b32_e32 v71, vcc_lo, v71
	v_cmp_gt_i32_e32 vcc_lo, 0, v189
	v_and_b32_e32 v69, v69, v191
	v_not_b32_e32 v189, v190
	v_ashrrev_i32_e32 v188, 31, v188
	v_xor_b32_e32 v72, s23, v72
	v_cmp_gt_i32_e64 s23, 0, v190
	v_and_b32_e32 v69, v69, v71
	v_not_b32_e32 v71, v187
	v_ashrrev_i32_e32 v189, 31, v189
	v_xor_b32_e32 v188, vcc_lo, v188
	v_cmp_gt_i32_e32 vcc_lo, 0, v187
	v_and_b32_e32 v69, v69, v72
	v_ashrrev_i32_e32 v71, 31, v71
	v_xor_b32_e32 v72, s23, v189
	v_mad_u32_u24 v187, v70, 36, v148
	v_mul_u32_u24_e32 v70, 36, v70
	v_and_b32_e32 v69, v69, v188
	v_xor_b32_e32 v71, vcc_lo, v71
	ds_read_b32 v187, v187 offset:544
	v_add_nc_u32_e32 v189, v148, v70
	v_and_b32_e32 v69, v69, v72
	; wave barrier
	v_and_b32_e32 v69, v69, v71
	v_mbcnt_lo_u32_b32 v188, v69, 0
	v_cmp_ne_u32_e64 s23, 0, v69
	v_cmp_eq_u32_e32 vcc_lo, 0, v188
	s_and_b32 s24, s23, vcc_lo
	s_and_saveexec_b32 s23, s24
	s_cbranch_execz .LBB1148_1040
; %bb.1039:                             ;   in Loop: Header=BB1148_988 Depth=2
	s_waitcnt lgkmcnt(0)
	v_bcnt_u32_b32 v69, v69, v187
	ds_write_b32 v189, v69 offset:544
.LBB1148_1040:                          ;   in Loop: Header=BB1148_988 Depth=2
	s_or_b32 exec_lo, exec_lo, s23
	v_cmp_gt_i64_e32 vcc_lo, 0, v[67:68]
	v_ashrrev_i32_e32 v69, 31, v68
	; wave barrier
	v_not_b32_e32 v69, v69
	v_cndmask_b32_e64 v70, 0x7fffffff, 0, vcc_lo
	v_xor_b32_e32 v67, v69, v67
	v_xor_b32_e32 v68, v70, v68
	v_cmp_ne_u64_e32 vcc_lo, s[56:57], v[67:68]
	v_cndmask_b32_e32 v70, 0x7fffffff, v68, vcc_lo
	v_cndmask_b32_e32 v69, -1, v67, vcc_lo
	v_lshrrev_b64 v[69:70], s52, v[69:70]
	v_and_b32_e32 v70, s64, v69
	v_and_b32_e32 v69, 1, v70
	v_lshlrev_b32_e32 v71, 30, v70
	v_lshlrev_b32_e32 v72, 29, v70
	;; [unrolled: 1-line block ×4, first 2 shown]
	v_add_co_u32 v69, s23, v69, -1
	v_cndmask_b32_e64 v190, 0, 1, s23
	v_not_b32_e32 v194, v71
	v_cmp_gt_i32_e64 s23, 0, v71
	v_not_b32_e32 v71, v72
	v_lshlrev_b32_e32 v193, 26, v70
	v_cmp_ne_u32_e32 vcc_lo, 0, v190
	v_ashrrev_i32_e32 v194, 31, v194
	v_lshlrev_b32_e32 v190, 25, v70
	v_ashrrev_i32_e32 v71, 31, v71
	v_xor_b32_e32 v69, vcc_lo, v69
	v_cmp_gt_i32_e32 vcc_lo, 0, v72
	v_not_b32_e32 v72, v191
	v_xor_b32_e32 v194, s23, v194
	v_cmp_gt_i32_e64 s23, 0, v191
	v_and_b32_e32 v69, exec_lo, v69
	v_not_b32_e32 v191, v192
	v_ashrrev_i32_e32 v72, 31, v72
	v_xor_b32_e32 v71, vcc_lo, v71
	v_cmp_gt_i32_e32 vcc_lo, 0, v192
	v_and_b32_e32 v69, v69, v194
	v_not_b32_e32 v192, v193
	v_ashrrev_i32_e32 v191, 31, v191
	v_xor_b32_e32 v72, s23, v72
	v_cmp_gt_i32_e64 s23, 0, v193
	v_and_b32_e32 v69, v69, v71
	v_not_b32_e32 v71, v190
	v_ashrrev_i32_e32 v192, 31, v192
	v_xor_b32_e32 v191, vcc_lo, v191
	v_cmp_gt_i32_e32 vcc_lo, 0, v190
	v_and_b32_e32 v69, v69, v72
	v_ashrrev_i32_e32 v71, 31, v71
	v_xor_b32_e32 v72, s23, v192
	v_mad_u32_u24 v190, v70, 36, v148
	v_mul_u32_u24_e32 v70, 36, v70
	v_and_b32_e32 v69, v69, v191
	v_xor_b32_e32 v71, vcc_lo, v71
	ds_read_b32 v190, v190 offset:544
	v_add_nc_u32_e32 v192, v148, v70
	v_and_b32_e32 v69, v69, v72
	; wave barrier
	v_and_b32_e32 v69, v69, v71
	v_mbcnt_lo_u32_b32 v191, v69, 0
	v_cmp_ne_u32_e64 s23, 0, v69
	v_cmp_eq_u32_e32 vcc_lo, 0, v191
	s_and_b32 s24, s23, vcc_lo
	s_and_saveexec_b32 s23, s24
	s_cbranch_execz .LBB1148_1042
; %bb.1041:                             ;   in Loop: Header=BB1148_988 Depth=2
	s_waitcnt lgkmcnt(0)
	v_bcnt_u32_b32 v69, v69, v190
	ds_write_b32 v192, v69 offset:544
.LBB1148_1042:                          ;   in Loop: Header=BB1148_988 Depth=2
	s_or_b32 exec_lo, exec_lo, s23
	v_cmp_gt_i64_e32 vcc_lo, 0, v[63:64]
	v_ashrrev_i32_e32 v69, 31, v64
	; wave barrier
	v_not_b32_e32 v69, v69
	v_cndmask_b32_e64 v70, 0x7fffffff, 0, vcc_lo
	v_xor_b32_e32 v63, v69, v63
	v_xor_b32_e32 v64, v70, v64
	v_cmp_ne_u64_e32 vcc_lo, s[56:57], v[63:64]
	v_cndmask_b32_e32 v70, 0x7fffffff, v64, vcc_lo
	v_cndmask_b32_e32 v69, -1, v63, vcc_lo
	v_lshrrev_b64 v[69:70], s52, v[69:70]
	v_and_b32_e32 v70, s64, v69
	v_and_b32_e32 v69, 1, v70
	v_lshlrev_b32_e32 v71, 30, v70
	v_lshlrev_b32_e32 v72, 29, v70
	;; [unrolled: 1-line block ×4, first 2 shown]
	v_add_co_u32 v69, s23, v69, -1
	v_cndmask_b32_e64 v193, 0, 1, s23
	v_not_b32_e32 v197, v71
	v_cmp_gt_i32_e64 s23, 0, v71
	v_not_b32_e32 v71, v72
	v_lshlrev_b32_e32 v196, 26, v70
	v_cmp_ne_u32_e32 vcc_lo, 0, v193
	v_ashrrev_i32_e32 v197, 31, v197
	v_lshlrev_b32_e32 v193, 25, v70
	v_ashrrev_i32_e32 v71, 31, v71
	v_xor_b32_e32 v69, vcc_lo, v69
	v_cmp_gt_i32_e32 vcc_lo, 0, v72
	v_not_b32_e32 v72, v194
	v_xor_b32_e32 v197, s23, v197
	v_cmp_gt_i32_e64 s23, 0, v194
	v_and_b32_e32 v69, exec_lo, v69
	v_not_b32_e32 v194, v195
	v_ashrrev_i32_e32 v72, 31, v72
	v_xor_b32_e32 v71, vcc_lo, v71
	v_cmp_gt_i32_e32 vcc_lo, 0, v195
	v_and_b32_e32 v69, v69, v197
	v_not_b32_e32 v195, v196
	v_ashrrev_i32_e32 v194, 31, v194
	v_xor_b32_e32 v72, s23, v72
	v_cmp_gt_i32_e64 s23, 0, v196
	v_and_b32_e32 v69, v69, v71
	v_not_b32_e32 v71, v193
	v_ashrrev_i32_e32 v195, 31, v195
	v_xor_b32_e32 v194, vcc_lo, v194
	v_cmp_gt_i32_e32 vcc_lo, 0, v193
	v_and_b32_e32 v69, v69, v72
	v_ashrrev_i32_e32 v71, 31, v71
	v_xor_b32_e32 v72, s23, v195
	v_mad_u32_u24 v193, v70, 36, v148
	v_mul_u32_u24_e32 v70, 36, v70
	v_and_b32_e32 v69, v69, v194
	v_xor_b32_e32 v71, vcc_lo, v71
	ds_read_b32 v193, v193 offset:544
	v_add_nc_u32_e32 v195, v148, v70
	v_and_b32_e32 v69, v69, v72
	; wave barrier
	v_and_b32_e32 v69, v69, v71
	v_mbcnt_lo_u32_b32 v194, v69, 0
	v_cmp_ne_u32_e64 s23, 0, v69
	v_cmp_eq_u32_e32 vcc_lo, 0, v194
	s_and_b32 s24, s23, vcc_lo
	s_and_saveexec_b32 s23, s24
	s_cbranch_execz .LBB1148_1044
; %bb.1043:                             ;   in Loop: Header=BB1148_988 Depth=2
	s_waitcnt lgkmcnt(0)
	v_bcnt_u32_b32 v69, v69, v193
	ds_write_b32 v195, v69 offset:544
.LBB1148_1044:                          ;   in Loop: Header=BB1148_988 Depth=2
	s_or_b32 exec_lo, exec_lo, s23
	v_cmp_gt_i64_e32 vcc_lo, 0, v[59:60]
	v_ashrrev_i32_e32 v69, 31, v60
	; wave barrier
	v_not_b32_e32 v69, v69
	v_cndmask_b32_e64 v70, 0x7fffffff, 0, vcc_lo
	v_xor_b32_e32 v59, v69, v59
	v_xor_b32_e32 v60, v70, v60
	v_cmp_ne_u64_e32 vcc_lo, s[56:57], v[59:60]
	v_cndmask_b32_e32 v70, 0x7fffffff, v60, vcc_lo
	v_cndmask_b32_e32 v69, -1, v59, vcc_lo
	v_lshrrev_b64 v[69:70], s52, v[69:70]
	v_and_b32_e32 v70, s64, v69
	v_and_b32_e32 v69, 1, v70
	v_lshlrev_b32_e32 v71, 30, v70
	v_lshlrev_b32_e32 v72, 29, v70
	;; [unrolled: 1-line block ×4, first 2 shown]
	v_add_co_u32 v69, s23, v69, -1
	v_cndmask_b32_e64 v196, 0, 1, s23
	v_not_b32_e32 v200, v71
	v_cmp_gt_i32_e64 s23, 0, v71
	v_not_b32_e32 v71, v72
	v_lshlrev_b32_e32 v199, 26, v70
	v_cmp_ne_u32_e32 vcc_lo, 0, v196
	v_ashrrev_i32_e32 v200, 31, v200
	v_lshlrev_b32_e32 v196, 25, v70
	v_ashrrev_i32_e32 v71, 31, v71
	v_xor_b32_e32 v69, vcc_lo, v69
	v_cmp_gt_i32_e32 vcc_lo, 0, v72
	v_not_b32_e32 v72, v197
	v_xor_b32_e32 v200, s23, v200
	v_cmp_gt_i32_e64 s23, 0, v197
	v_and_b32_e32 v69, exec_lo, v69
	v_not_b32_e32 v197, v198
	v_ashrrev_i32_e32 v72, 31, v72
	v_xor_b32_e32 v71, vcc_lo, v71
	v_cmp_gt_i32_e32 vcc_lo, 0, v198
	v_and_b32_e32 v69, v69, v200
	v_not_b32_e32 v198, v199
	v_ashrrev_i32_e32 v197, 31, v197
	v_xor_b32_e32 v72, s23, v72
	v_cmp_gt_i32_e64 s23, 0, v199
	v_and_b32_e32 v69, v69, v71
	v_not_b32_e32 v71, v196
	v_ashrrev_i32_e32 v198, 31, v198
	v_xor_b32_e32 v197, vcc_lo, v197
	v_cmp_gt_i32_e32 vcc_lo, 0, v196
	v_and_b32_e32 v69, v69, v72
	v_ashrrev_i32_e32 v71, 31, v71
	v_xor_b32_e32 v72, s23, v198
	v_mad_u32_u24 v196, v70, 36, v148
	v_mul_u32_u24_e32 v70, 36, v70
	v_and_b32_e32 v69, v69, v197
	v_xor_b32_e32 v71, vcc_lo, v71
	ds_read_b32 v196, v196 offset:544
	v_add_nc_u32_e32 v200, v148, v70
	v_and_b32_e32 v69, v69, v72
	; wave barrier
	v_and_b32_e32 v69, v69, v71
	v_mbcnt_lo_u32_b32 v197, v69, 0
	v_cmp_ne_u32_e64 s23, 0, v69
	v_cmp_eq_u32_e32 vcc_lo, 0, v197
	s_and_b32 s24, s23, vcc_lo
	s_and_saveexec_b32 s23, s24
	s_cbranch_execz .LBB1148_1046
; %bb.1045:                             ;   in Loop: Header=BB1148_988 Depth=2
	s_waitcnt lgkmcnt(0)
	v_bcnt_u32_b32 v69, v69, v196
	ds_write_b32 v200, v69 offset:544
.LBB1148_1046:                          ;   in Loop: Header=BB1148_988 Depth=2
	s_or_b32 exec_lo, exec_lo, s23
	v_cmp_gt_i64_e32 vcc_lo, 0, v[55:56]
	v_ashrrev_i32_e32 v69, 31, v56
	; wave barrier
	v_not_b32_e32 v69, v69
	v_cndmask_b32_e64 v70, 0x7fffffff, 0, vcc_lo
	v_xor_b32_e32 v55, v69, v55
	v_xor_b32_e32 v56, v70, v56
	v_cmp_ne_u64_e32 vcc_lo, s[56:57], v[55:56]
	v_cndmask_b32_e32 v70, 0x7fffffff, v56, vcc_lo
	v_cndmask_b32_e32 v69, -1, v55, vcc_lo
	v_lshrrev_b64 v[69:70], s52, v[69:70]
	v_and_b32_e32 v70, s64, v69
	v_and_b32_e32 v69, 1, v70
	v_lshlrev_b32_e32 v71, 30, v70
	v_lshlrev_b32_e32 v72, 29, v70
	v_lshlrev_b32_e32 v199, 28, v70
	v_lshlrev_b32_e32 v201, 27, v70
	v_add_co_u32 v69, s23, v69, -1
	v_cndmask_b32_e64 v198, 0, 1, s23
	v_not_b32_e32 v203, v71
	v_cmp_gt_i32_e64 s23, 0, v71
	v_not_b32_e32 v71, v72
	v_lshlrev_b32_e32 v202, 26, v70
	v_cmp_ne_u32_e32 vcc_lo, 0, v198
	v_ashrrev_i32_e32 v203, 31, v203
	v_lshlrev_b32_e32 v198, 25, v70
	v_ashrrev_i32_e32 v71, 31, v71
	v_xor_b32_e32 v69, vcc_lo, v69
	v_cmp_gt_i32_e32 vcc_lo, 0, v72
	v_not_b32_e32 v72, v199
	v_xor_b32_e32 v203, s23, v203
	v_cmp_gt_i32_e64 s23, 0, v199
	v_and_b32_e32 v69, exec_lo, v69
	v_not_b32_e32 v199, v201
	v_ashrrev_i32_e32 v72, 31, v72
	v_xor_b32_e32 v71, vcc_lo, v71
	v_cmp_gt_i32_e32 vcc_lo, 0, v201
	v_and_b32_e32 v69, v69, v203
	v_not_b32_e32 v201, v202
	v_ashrrev_i32_e32 v199, 31, v199
	v_xor_b32_e32 v72, s23, v72
	v_cmp_gt_i32_e64 s23, 0, v202
	v_and_b32_e32 v69, v69, v71
	v_not_b32_e32 v71, v198
	v_ashrrev_i32_e32 v201, 31, v201
	v_xor_b32_e32 v199, vcc_lo, v199
	v_cmp_gt_i32_e32 vcc_lo, 0, v198
	v_and_b32_e32 v69, v69, v72
	v_ashrrev_i32_e32 v71, 31, v71
	v_xor_b32_e32 v72, s23, v201
	v_mad_u32_u24 v198, v70, 36, v148
	v_mul_u32_u24_e32 v70, 36, v70
	v_and_b32_e32 v69, v69, v199
	v_xor_b32_e32 v71, vcc_lo, v71
	ds_read_b32 v198, v198 offset:544
	v_add_nc_u32_e32 v203, v148, v70
	v_and_b32_e32 v69, v69, v72
	; wave barrier
	v_and_b32_e32 v69, v69, v71
	v_mbcnt_lo_u32_b32 v199, v69, 0
	v_cmp_ne_u32_e64 s23, 0, v69
	v_cmp_eq_u32_e32 vcc_lo, 0, v199
	s_and_b32 s24, s23, vcc_lo
	s_and_saveexec_b32 s23, s24
	s_cbranch_execz .LBB1148_1048
; %bb.1047:                             ;   in Loop: Header=BB1148_988 Depth=2
	s_waitcnt lgkmcnt(0)
	v_bcnt_u32_b32 v69, v69, v198
	ds_write_b32 v203, v69 offset:544
.LBB1148_1048:                          ;   in Loop: Header=BB1148_988 Depth=2
	s_or_b32 exec_lo, exec_lo, s23
	v_cmp_gt_i64_e32 vcc_lo, 0, v[51:52]
	v_ashrrev_i32_e32 v69, 31, v52
	; wave barrier
	v_not_b32_e32 v69, v69
	v_cndmask_b32_e64 v70, 0x7fffffff, 0, vcc_lo
	v_xor_b32_e32 v51, v69, v51
	v_xor_b32_e32 v52, v70, v52
	v_cmp_ne_u64_e32 vcc_lo, s[56:57], v[51:52]
	v_cndmask_b32_e32 v70, 0x7fffffff, v52, vcc_lo
	v_cndmask_b32_e32 v69, -1, v51, vcc_lo
	v_lshrrev_b64 v[69:70], s52, v[69:70]
	v_and_b32_e32 v70, s64, v69
	v_and_b32_e32 v69, 1, v70
	v_lshlrev_b32_e32 v71, 30, v70
	v_lshlrev_b32_e32 v72, 29, v70
	;; [unrolled: 1-line block ×4, first 2 shown]
	v_add_co_u32 v69, s23, v69, -1
	v_cndmask_b32_e64 v201, 0, 1, s23
	v_not_b32_e32 v206, v71
	v_cmp_gt_i32_e64 s23, 0, v71
	v_not_b32_e32 v71, v72
	v_lshlrev_b32_e32 v205, 26, v70
	v_cmp_ne_u32_e32 vcc_lo, 0, v201
	v_ashrrev_i32_e32 v206, 31, v206
	v_lshlrev_b32_e32 v201, 25, v70
	v_ashrrev_i32_e32 v71, 31, v71
	v_xor_b32_e32 v69, vcc_lo, v69
	v_cmp_gt_i32_e32 vcc_lo, 0, v72
	v_not_b32_e32 v72, v202
	v_xor_b32_e32 v206, s23, v206
	v_cmp_gt_i32_e64 s23, 0, v202
	v_and_b32_e32 v69, exec_lo, v69
	v_not_b32_e32 v202, v204
	v_ashrrev_i32_e32 v72, 31, v72
	v_xor_b32_e32 v71, vcc_lo, v71
	v_cmp_gt_i32_e32 vcc_lo, 0, v204
	v_and_b32_e32 v69, v69, v206
	v_not_b32_e32 v204, v205
	v_ashrrev_i32_e32 v202, 31, v202
	v_xor_b32_e32 v72, s23, v72
	v_cmp_gt_i32_e64 s23, 0, v205
	v_and_b32_e32 v69, v69, v71
	v_not_b32_e32 v71, v201
	v_ashrrev_i32_e32 v204, 31, v204
	v_xor_b32_e32 v202, vcc_lo, v202
	v_cmp_gt_i32_e32 vcc_lo, 0, v201
	v_and_b32_e32 v69, v69, v72
	v_ashrrev_i32_e32 v71, 31, v71
	v_xor_b32_e32 v72, s23, v204
	v_mad_u32_u24 v201, v70, 36, v148
	v_mul_u32_u24_e32 v70, 36, v70
	v_and_b32_e32 v69, v69, v202
	v_xor_b32_e32 v71, vcc_lo, v71
	ds_read_b32 v201, v201 offset:544
	v_add_nc_u32_e32 v206, v148, v70
	v_and_b32_e32 v69, v69, v72
	; wave barrier
	v_and_b32_e32 v69, v69, v71
	v_mbcnt_lo_u32_b32 v202, v69, 0
	v_cmp_ne_u32_e64 s23, 0, v69
	v_cmp_eq_u32_e32 vcc_lo, 0, v202
	s_and_b32 s24, s23, vcc_lo
	s_and_saveexec_b32 s23, s24
	s_cbranch_execz .LBB1148_1050
; %bb.1049:                             ;   in Loop: Header=BB1148_988 Depth=2
	s_waitcnt lgkmcnt(0)
	v_bcnt_u32_b32 v69, v69, v201
	ds_write_b32 v206, v69 offset:544
.LBB1148_1050:                          ;   in Loop: Header=BB1148_988 Depth=2
	s_or_b32 exec_lo, exec_lo, s23
	v_cmp_gt_i64_e32 vcc_lo, 0, v[47:48]
	v_ashrrev_i32_e32 v69, 31, v48
	; wave barrier
	v_not_b32_e32 v69, v69
	v_cndmask_b32_e64 v70, 0x7fffffff, 0, vcc_lo
	v_xor_b32_e32 v47, v69, v47
	v_xor_b32_e32 v48, v70, v48
	v_cmp_ne_u64_e32 vcc_lo, s[56:57], v[47:48]
	v_cndmask_b32_e32 v70, 0x7fffffff, v48, vcc_lo
	v_cndmask_b32_e32 v69, -1, v47, vcc_lo
	v_lshrrev_b64 v[69:70], s52, v[69:70]
	v_and_b32_e32 v70, s64, v69
	v_and_b32_e32 v69, 1, v70
	v_lshlrev_b32_e32 v71, 30, v70
	v_lshlrev_b32_e32 v72, 29, v70
	;; [unrolled: 1-line block ×4, first 2 shown]
	v_add_co_u32 v69, s23, v69, -1
	v_cndmask_b32_e64 v204, 0, 1, s23
	v_not_b32_e32 v209, v71
	v_cmp_gt_i32_e64 s23, 0, v71
	v_not_b32_e32 v71, v72
	v_lshlrev_b32_e32 v208, 26, v70
	v_cmp_ne_u32_e32 vcc_lo, 0, v204
	v_ashrrev_i32_e32 v209, 31, v209
	v_lshlrev_b32_e32 v204, 25, v70
	v_ashrrev_i32_e32 v71, 31, v71
	v_xor_b32_e32 v69, vcc_lo, v69
	v_cmp_gt_i32_e32 vcc_lo, 0, v72
	v_not_b32_e32 v72, v205
	v_xor_b32_e32 v209, s23, v209
	v_cmp_gt_i32_e64 s23, 0, v205
	v_and_b32_e32 v69, exec_lo, v69
	v_not_b32_e32 v205, v207
	v_ashrrev_i32_e32 v72, 31, v72
	v_xor_b32_e32 v71, vcc_lo, v71
	v_cmp_gt_i32_e32 vcc_lo, 0, v207
	v_and_b32_e32 v69, v69, v209
	v_not_b32_e32 v207, v208
	v_ashrrev_i32_e32 v205, 31, v205
	v_xor_b32_e32 v72, s23, v72
	v_cmp_gt_i32_e64 s23, 0, v208
	v_and_b32_e32 v69, v69, v71
	v_not_b32_e32 v71, v204
	v_ashrrev_i32_e32 v207, 31, v207
	v_xor_b32_e32 v205, vcc_lo, v205
	v_cmp_gt_i32_e32 vcc_lo, 0, v204
	v_and_b32_e32 v69, v69, v72
	v_ashrrev_i32_e32 v71, 31, v71
	v_xor_b32_e32 v72, s23, v207
	v_mad_u32_u24 v204, v70, 36, v148
	v_mul_u32_u24_e32 v70, 36, v70
	v_and_b32_e32 v69, v69, v205
	v_xor_b32_e32 v71, vcc_lo, v71
	ds_read_b32 v204, v204 offset:544
	v_add_nc_u32_e32 v209, v148, v70
	v_and_b32_e32 v69, v69, v72
	; wave barrier
	v_and_b32_e32 v69, v69, v71
	v_mbcnt_lo_u32_b32 v205, v69, 0
	v_cmp_ne_u32_e64 s23, 0, v69
	v_cmp_eq_u32_e32 vcc_lo, 0, v205
	s_and_b32 s24, s23, vcc_lo
	s_and_saveexec_b32 s23, s24
	s_cbranch_execz .LBB1148_1052
; %bb.1051:                             ;   in Loop: Header=BB1148_988 Depth=2
	s_waitcnt lgkmcnt(0)
	v_bcnt_u32_b32 v69, v69, v204
	ds_write_b32 v209, v69 offset:544
.LBB1148_1052:                          ;   in Loop: Header=BB1148_988 Depth=2
	s_or_b32 exec_lo, exec_lo, s23
	v_cmp_gt_i64_e32 vcc_lo, 0, v[43:44]
	v_ashrrev_i32_e32 v69, 31, v44
	; wave barrier
	v_not_b32_e32 v69, v69
	v_cndmask_b32_e64 v70, 0x7fffffff, 0, vcc_lo
	v_xor_b32_e32 v43, v69, v43
	v_xor_b32_e32 v44, v70, v44
	v_cmp_ne_u64_e32 vcc_lo, s[56:57], v[43:44]
	v_cndmask_b32_e32 v70, 0x7fffffff, v44, vcc_lo
	v_cndmask_b32_e32 v69, -1, v43, vcc_lo
	v_lshrrev_b64 v[69:70], s52, v[69:70]
	v_and_b32_e32 v70, s64, v69
	v_and_b32_e32 v69, 1, v70
	v_lshlrev_b32_e32 v71, 30, v70
	v_lshlrev_b32_e32 v72, 29, v70
	;; [unrolled: 1-line block ×4, first 2 shown]
	v_add_co_u32 v69, s23, v69, -1
	v_cndmask_b32_e64 v207, 0, 1, s23
	v_not_b32_e32 v212, v71
	v_cmp_gt_i32_e64 s23, 0, v71
	v_not_b32_e32 v71, v72
	v_lshlrev_b32_e32 v211, 26, v70
	v_cmp_ne_u32_e32 vcc_lo, 0, v207
	v_ashrrev_i32_e32 v212, 31, v212
	v_lshlrev_b32_e32 v207, 25, v70
	v_ashrrev_i32_e32 v71, 31, v71
	v_xor_b32_e32 v69, vcc_lo, v69
	v_cmp_gt_i32_e32 vcc_lo, 0, v72
	v_not_b32_e32 v72, v208
	v_xor_b32_e32 v212, s23, v212
	v_cmp_gt_i32_e64 s23, 0, v208
	v_and_b32_e32 v69, exec_lo, v69
	v_not_b32_e32 v208, v210
	v_ashrrev_i32_e32 v72, 31, v72
	v_xor_b32_e32 v71, vcc_lo, v71
	v_cmp_gt_i32_e32 vcc_lo, 0, v210
	v_and_b32_e32 v69, v69, v212
	v_not_b32_e32 v210, v211
	v_ashrrev_i32_e32 v208, 31, v208
	v_xor_b32_e32 v72, s23, v72
	v_cmp_gt_i32_e64 s23, 0, v211
	v_and_b32_e32 v69, v69, v71
	v_not_b32_e32 v71, v207
	v_ashrrev_i32_e32 v210, 31, v210
	v_xor_b32_e32 v208, vcc_lo, v208
	v_cmp_gt_i32_e32 vcc_lo, 0, v207
	v_and_b32_e32 v69, v69, v72
	v_ashrrev_i32_e32 v71, 31, v71
	v_xor_b32_e32 v72, s23, v210
	v_mad_u32_u24 v207, v70, 36, v148
	v_mul_u32_u24_e32 v70, 36, v70
	v_and_b32_e32 v69, v69, v208
	v_xor_b32_e32 v71, vcc_lo, v71
	ds_read_b32 v207, v207 offset:544
	v_add_nc_u32_e32 v212, v148, v70
	v_and_b32_e32 v69, v69, v72
	; wave barrier
	v_and_b32_e32 v69, v69, v71
	v_mbcnt_lo_u32_b32 v208, v69, 0
	v_cmp_ne_u32_e64 s23, 0, v69
	v_cmp_eq_u32_e32 vcc_lo, 0, v208
	s_and_b32 s24, s23, vcc_lo
	s_and_saveexec_b32 s23, s24
	s_cbranch_execz .LBB1148_1054
; %bb.1053:                             ;   in Loop: Header=BB1148_988 Depth=2
	s_waitcnt lgkmcnt(0)
	v_bcnt_u32_b32 v69, v69, v207
	ds_write_b32 v212, v69 offset:544
.LBB1148_1054:                          ;   in Loop: Header=BB1148_988 Depth=2
	s_or_b32 exec_lo, exec_lo, s23
	v_cmp_gt_i64_e32 vcc_lo, 0, v[45:46]
	v_ashrrev_i32_e32 v69, 31, v46
	; wave barrier
	v_not_b32_e32 v69, v69
	v_cndmask_b32_e64 v70, 0x7fffffff, 0, vcc_lo
	v_xor_b32_e32 v45, v69, v45
	v_xor_b32_e32 v46, v70, v46
	v_cmp_ne_u64_e32 vcc_lo, s[56:57], v[45:46]
	v_cndmask_b32_e32 v70, 0x7fffffff, v46, vcc_lo
	v_cndmask_b32_e32 v69, -1, v45, vcc_lo
	v_lshrrev_b64 v[69:70], s52, v[69:70]
	v_and_b32_e32 v70, s64, v69
	v_and_b32_e32 v69, 1, v70
	v_lshlrev_b32_e32 v71, 30, v70
	v_lshlrev_b32_e32 v72, 29, v70
	;; [unrolled: 1-line block ×4, first 2 shown]
	v_add_co_u32 v69, s23, v69, -1
	v_cndmask_b32_e64 v210, 0, 1, s23
	v_not_b32_e32 v215, v71
	v_cmp_gt_i32_e64 s23, 0, v71
	v_not_b32_e32 v71, v72
	v_lshlrev_b32_e32 v214, 26, v70
	v_cmp_ne_u32_e32 vcc_lo, 0, v210
	v_ashrrev_i32_e32 v215, 31, v215
	v_lshlrev_b32_e32 v210, 25, v70
	v_ashrrev_i32_e32 v71, 31, v71
	v_xor_b32_e32 v69, vcc_lo, v69
	v_cmp_gt_i32_e32 vcc_lo, 0, v72
	v_not_b32_e32 v72, v211
	v_xor_b32_e32 v215, s23, v215
	v_cmp_gt_i32_e64 s23, 0, v211
	v_and_b32_e32 v69, exec_lo, v69
	v_not_b32_e32 v211, v213
	v_ashrrev_i32_e32 v72, 31, v72
	v_xor_b32_e32 v71, vcc_lo, v71
	v_cmp_gt_i32_e32 vcc_lo, 0, v213
	v_and_b32_e32 v69, v69, v215
	v_not_b32_e32 v213, v214
	v_ashrrev_i32_e32 v211, 31, v211
	v_xor_b32_e32 v72, s23, v72
	v_cmp_gt_i32_e64 s23, 0, v214
	v_and_b32_e32 v69, v69, v71
	v_not_b32_e32 v71, v210
	v_ashrrev_i32_e32 v213, 31, v213
	v_xor_b32_e32 v211, vcc_lo, v211
	v_cmp_gt_i32_e32 vcc_lo, 0, v210
	v_and_b32_e32 v69, v69, v72
	v_ashrrev_i32_e32 v71, 31, v71
	v_xor_b32_e32 v72, s23, v213
	v_mad_u32_u24 v210, v70, 36, v148
	v_mul_u32_u24_e32 v70, 36, v70
	v_and_b32_e32 v69, v69, v211
	v_xor_b32_e32 v71, vcc_lo, v71
	ds_read_b32 v210, v210 offset:544
	v_add_nc_u32_e32 v213, v148, v70
	v_and_b32_e32 v69, v69, v72
	; wave barrier
	v_and_b32_e32 v69, v69, v71
	v_mbcnt_lo_u32_b32 v211, v69, 0
	v_cmp_ne_u32_e64 s23, 0, v69
	v_cmp_eq_u32_e32 vcc_lo, 0, v211
	s_and_b32 s24, s23, vcc_lo
	s_and_saveexec_b32 s23, s24
	s_cbranch_execz .LBB1148_1056
; %bb.1055:                             ;   in Loop: Header=BB1148_988 Depth=2
	s_waitcnt lgkmcnt(0)
	v_bcnt_u32_b32 v69, v69, v210
	ds_write_b32 v213, v69 offset:544
.LBB1148_1056:                          ;   in Loop: Header=BB1148_988 Depth=2
	s_or_b32 exec_lo, exec_lo, s23
	; wave barrier
	s_waitcnt lgkmcnt(0)
	s_barrier
	buffer_gl0_inv
	ds_read2_b32 v[71:72], v98 offset0:136 offset1:137
	ds_read2_b32 v[69:70], v98 offset0:138 offset1:139
	ds_read_b32 v214, v98 offset:560
	s_waitcnt lgkmcnt(1)
	v_add3_u32 v215, v72, v71, v69
	s_waitcnt lgkmcnt(0)
	v_add3_u32 v214, v215, v70, v214
	v_mov_b32_dpp v215, v214 row_shr:1 row_mask:0xf bank_mask:0xf
	v_cndmask_b32_e64 v215, v215, 0, s14
	v_add_nc_u32_e32 v214, v215, v214
	v_mov_b32_dpp v215, v214 row_shr:2 row_mask:0xf bank_mask:0xf
	v_cndmask_b32_e64 v215, 0, v215, s15
	v_add_nc_u32_e32 v214, v214, v215
	;; [unrolled: 3-line block ×4, first 2 shown]
	ds_swizzle_b32 v215, v214 offset:swizzle(BROADCAST,32,15)
	s_waitcnt lgkmcnt(0)
	v_cndmask_b32_e64 v215, v215, 0, s18
	v_add_nc_u32_e32 v214, v214, v215
	s_and_saveexec_b32 s23, s4
; %bb.1057:                             ;   in Loop: Header=BB1148_988 Depth=2
	ds_write_b32 v92, v214 offset:512
; %bb.1058:                             ;   in Loop: Header=BB1148_988 Depth=2
	s_or_b32 exec_lo, exec_lo, s23
	s_waitcnt lgkmcnt(0)
	s_barrier
	buffer_gl0_inv
	s_and_saveexec_b32 s23, s5
	s_cbranch_execz .LBB1148_1060
; %bb.1059:                             ;   in Loop: Header=BB1148_988 Depth=2
	ds_read_b32 v215, v99 offset:512
	s_waitcnt lgkmcnt(0)
	v_mov_b32_dpp v216, v215 row_shr:1 row_mask:0xf bank_mask:0xf
	v_cndmask_b32_e64 v216, v216, 0, s20
	v_add_nc_u32_e32 v215, v216, v215
	v_mov_b32_dpp v216, v215 row_shr:2 row_mask:0xf bank_mask:0xf
	v_cndmask_b32_e64 v216, 0, v216, s21
	v_add_nc_u32_e32 v215, v215, v216
	;; [unrolled: 3-line block ×3, first 2 shown]
	ds_write_b32 v99, v215 offset:512
.LBB1148_1060:                          ;   in Loop: Header=BB1148_988 Depth=2
	s_or_b32 exec_lo, exec_lo, s23
	v_mov_b32_e32 v215, 0
	s_waitcnt lgkmcnt(0)
	s_barrier
	buffer_gl0_inv
	s_and_saveexec_b32 s23, s11
; %bb.1061:                             ;   in Loop: Header=BB1148_988 Depth=2
	ds_read_b32 v215, v92 offset:508
; %bb.1062:                             ;   in Loop: Header=BB1148_988 Depth=2
	s_or_b32 exec_lo, exec_lo, s23
	s_waitcnt lgkmcnt(0)
	v_add_nc_u32_e32 v214, v215, v214
	ds_bpermute_b32 v214, v127, v214
	s_waitcnt lgkmcnt(0)
	v_cndmask_b32_e64 v214, v214, v215, s19
	v_cndmask_b32_e64 v214, v214, 0, s12
	v_add_nc_u32_e32 v71, v214, v71
	v_add_nc_u32_e32 v72, v71, v72
	;; [unrolled: 1-line block ×4, first 2 shown]
	ds_write2_b32 v98, v214, v71 offset0:136 offset1:137
	ds_write2_b32 v98, v72, v69 offset0:138 offset1:139
	ds_write_b32 v98, v70 offset:560
	s_waitcnt lgkmcnt(0)
	s_barrier
	buffer_gl0_inv
	ds_read_b32 v69, v168 offset:544
	ds_read_b32 v217, v171 offset:544
	;; [unrolled: 1-line block ×16, first 2 shown]
	s_and_saveexec_b32 s23, s8
	s_cbranch_execz .LBB1148_1066
; %bb.1063:                             ;   in Loop: Header=BB1148_988 Depth=2
	ds_read_b32 v156, v101 offset:544
	v_mov_b32_e32 v166, 0x1000
	s_and_saveexec_b32 s24, s13
; %bb.1064:                             ;   in Loop: Header=BB1148_988 Depth=2
	ds_read_b32 v166, v100 offset:544
; %bb.1065:                             ;   in Loop: Header=BB1148_988 Depth=2
	s_or_b32 exec_lo, exec_lo, s24
	s_waitcnt lgkmcnt(0)
	v_sub_nc_u32_e32 v166, v166, v156
.LBB1148_1066:                          ;   in Loop: Header=BB1148_988 Depth=2
	s_or_b32 exec_lo, exec_lo, s23
	s_waitcnt lgkmcnt(0)
	s_barrier
	buffer_gl0_inv
	s_and_saveexec_b32 s23, s8
	s_cbranch_execz .LBB1148_1068
; %bb.1067:                             ;   in Loop: Header=BB1148_988 Depth=2
	ds_read_b32 v192, v73
	s_waitcnt lgkmcnt(0)
	v_sub_nc_u32_e32 v192, v192, v156
	ds_write_b32 v73, v192
.LBB1148_1068:                          ;   in Loop: Header=BB1148_988 Depth=2
	s_or_b32 exec_lo, exec_lo, s23
	v_lshlrev_b32_e32 v3, 3, v3
	v_lshlrev_b32_e32 v170, 3, v170
	;; [unrolled: 1-line block ×5, first 2 shown]
	v_lshl_add_u32 v69, v69, 3, v3
	v_lshlrev_b32_e32 v3, 3, v172
	v_lshlrev_b32_e32 v172, 3, v70
	;; [unrolled: 1-line block ×3, first 2 shown]
	v_add3_u32 v70, v170, v169, v192
	ds_write_b64 v69, v[37:38] offset:512
	v_lshlrev_b32_e32 v37, 3, v175
	v_lshlrev_b32_e32 v38, 3, v216
	;; [unrolled: 1-line block ×8, first 2 shown]
	ds_write_b64 v70, v[39:40] offset:512
	v_add3_u32 v39, v173, v3, v172
	v_add3_u32 v40, v176, v37, v38
	v_lshlrev_b32_e32 v3, 3, v185
	v_lshlrev_b32_e32 v37, 3, v184
	;; [unrolled: 1-line block ×3, first 2 shown]
	v_add3_u32 v71, v169, v170, v72
	v_add3_u32 v72, v175, v178, v179
	ds_write_b64 v39, v[41:42] offset:512
	ds_write_b64 v40, v[49:50] offset:512
	ds_write_b64 v71, v[53:54] offset:512
	ds_write_b64 v72, v[57:58] offset:512
	v_add3_u32 v41, v3, v37, v38
	v_lshlrev_b32_e32 v3, 3, v188
	v_lshlrev_b32_e32 v37, 3, v187
	;; [unrolled: 1-line block ×12, first 2 shown]
	v_add3_u32 v42, v3, v37, v38
	v_lshlrev_b32_e32 v3, 3, v199
	v_lshlrev_b32_e32 v37, 3, v198
	;; [unrolled: 1-line block ×3, first 2 shown]
	v_add3_u32 v49, v49, v50, v53
	v_add3_u32 v50, v54, v57, v58
	;; [unrolled: 1-line block ×3, first 2 shown]
	ds_write_b64 v41, v[61:62] offset:512
	ds_write_b64 v42, v[65:66] offset:512
	;; [unrolled: 1-line block ×5, first 2 shown]
	v_add3_u32 v54, v3, v37, v38
	v_lshlrev_b32_e32 v3, 3, v202
	v_lshlrev_b32_e32 v37, 3, v201
	;; [unrolled: 1-line block ×12, first 2 shown]
	v_add3_u32 v57, v3, v37, v38
	v_add3_u32 v58, v58, v59, v60
	v_add3_u32 v59, v61, v62, v63
	ds_write_b64 v54, v[55:56] offset:512
	v_add3_u32 v55, v64, v65, v66
	v_cmp_lt_u32_e32 vcc_lo, v0, v167
	ds_write_b64 v57, v[51:52] offset:512
	ds_write_b64 v58, v[47:48] offset:512
	;; [unrolled: 1-line block ×4, first 2 shown]
	s_waitcnt lgkmcnt(0)
	s_barrier
	buffer_gl0_inv
	s_and_saveexec_b32 s24, vcc_lo
	s_cbranch_execnz .LBB1148_1137
; %bb.1069:                             ;   in Loop: Header=BB1148_988 Depth=2
	s_or_b32 exec_lo, exec_lo, s24
	v_cmp_lt_u32_e64 s23, v74, v167
	s_and_saveexec_b32 s25, s23
	s_cbranch_execnz .LBB1148_1138
.LBB1148_1070:                          ;   in Loop: Header=BB1148_988 Depth=2
	s_or_b32 exec_lo, exec_lo, s25
	v_cmp_lt_u32_e64 s24, v77, v167
	s_and_saveexec_b32 s26, s24
	s_cbranch_execnz .LBB1148_1139
.LBB1148_1071:                          ;   in Loop: Header=BB1148_988 Depth=2
	s_or_b32 exec_lo, exec_lo, s26
	v_cmp_lt_u32_e64 s25, v78, v167
	s_and_saveexec_b32 s27, s25
	s_cbranch_execnz .LBB1148_1140
.LBB1148_1072:                          ;   in Loop: Header=BB1148_988 Depth=2
	s_or_b32 exec_lo, exec_lo, s27
	v_cmp_lt_u32_e64 s26, v79, v167
	s_and_saveexec_b32 s28, s26
	s_cbranch_execnz .LBB1148_1141
.LBB1148_1073:                          ;   in Loop: Header=BB1148_988 Depth=2
	s_or_b32 exec_lo, exec_lo, s28
	v_cmp_lt_u32_e64 s27, v80, v167
	s_and_saveexec_b32 s29, s27
	s_cbranch_execnz .LBB1148_1142
.LBB1148_1074:                          ;   in Loop: Header=BB1148_988 Depth=2
	s_or_b32 exec_lo, exec_lo, s29
	v_cmp_lt_u32_e64 s28, v81, v167
	s_and_saveexec_b32 s30, s28
	s_cbranch_execnz .LBB1148_1143
.LBB1148_1075:                          ;   in Loop: Header=BB1148_988 Depth=2
	s_or_b32 exec_lo, exec_lo, s30
	v_cmp_lt_u32_e64 s29, v82, v167
	s_and_saveexec_b32 s31, s29
	s_cbranch_execnz .LBB1148_1144
.LBB1148_1076:                          ;   in Loop: Header=BB1148_988 Depth=2
	s_or_b32 exec_lo, exec_lo, s31
	v_cmp_lt_u32_e64 s30, v83, v167
	s_and_saveexec_b32 s33, s30
	s_cbranch_execnz .LBB1148_1145
.LBB1148_1077:                          ;   in Loop: Header=BB1148_988 Depth=2
	s_or_b32 exec_lo, exec_lo, s33
	v_cmp_lt_u32_e64 s31, v84, v167
	s_and_saveexec_b32 s34, s31
	s_cbranch_execnz .LBB1148_1146
.LBB1148_1078:                          ;   in Loop: Header=BB1148_988 Depth=2
	s_or_b32 exec_lo, exec_lo, s34
	v_cmp_lt_u32_e64 s33, v85, v167
	s_and_saveexec_b32 s35, s33
	s_cbranch_execnz .LBB1148_1147
.LBB1148_1079:                          ;   in Loop: Header=BB1148_988 Depth=2
	s_or_b32 exec_lo, exec_lo, s35
	v_cmp_lt_u32_e64 s34, v86, v167
	s_and_saveexec_b32 s36, s34
	s_cbranch_execnz .LBB1148_1148
.LBB1148_1080:                          ;   in Loop: Header=BB1148_988 Depth=2
	s_or_b32 exec_lo, exec_lo, s36
	v_cmp_lt_u32_e64 s35, v87, v167
	s_and_saveexec_b32 s37, s35
	s_cbranch_execnz .LBB1148_1149
.LBB1148_1081:                          ;   in Loop: Header=BB1148_988 Depth=2
	s_or_b32 exec_lo, exec_lo, s37
	v_cmp_lt_u32_e64 s36, v88, v167
	s_and_saveexec_b32 s38, s36
	s_cbranch_execnz .LBB1148_1150
.LBB1148_1082:                          ;   in Loop: Header=BB1148_988 Depth=2
	s_or_b32 exec_lo, exec_lo, s38
	v_cmp_lt_u32_e64 s37, v89, v167
	s_and_saveexec_b32 s39, s37
	s_cbranch_execnz .LBB1148_1151
.LBB1148_1083:                          ;   in Loop: Header=BB1148_988 Depth=2
	s_or_b32 exec_lo, exec_lo, s39
	v_cmp_lt_u32_e64 s38, v90, v167
	s_and_saveexec_b32 s47, s38
	s_cbranch_execz .LBB1148_1085
.LBB1148_1084:                          ;   in Loop: Header=BB1148_988 Depth=2
	ds_read_b64 v[37:38], v106 offset:31232
	s_waitcnt lgkmcnt(0)
	v_cmp_ne_u64_e64 s39, s[56:57], v[37:38]
	v_cndmask_b32_e64 v44, 0x7fffffff, v38, s39
	v_cndmask_b32_e64 v43, -1, v37, s39
	v_cmp_gt_i64_e64 s39, 0, v[37:38]
	v_lshrrev_b64 v[43:44], s52, v[43:44]
	v_cndmask_b32_e64 v45, 0x7fffffff, 0, s39
	v_and_b32_e32 v3, s64, v43
	v_ashrrev_i32_e32 v43, 31, v38
	v_xor_b32_e32 v38, v45, v38
	v_lshlrev_b32_e32 v3, 2, v3
	v_not_b32_e32 v46, v43
	ds_read_b32 v3, v3
	v_xor_b32_e32 v37, v46, v37
	s_waitcnt lgkmcnt(0)
	v_add_nc_u32_e32 v3, v3, v90
	v_lshlrev_b64 v[43:44], 3, v[3:4]
	v_add_co_u32 v43, s39, s44, v43
	v_add_co_ci_u32_e64 v44, null, s45, v44, s39
	global_store_dwordx2 v[43:44], v[37:38], off
.LBB1148_1085:                          ;   in Loop: Header=BB1148_988 Depth=2
	s_or_b32 exec_lo, exec_lo, s47
	s_mov_b32 s47, s56
	s_lshl_b64 s[46:47], s[46:47], 3
	v_add_co_u32 v37, s39, v129, s46
	v_add_co_ci_u32_e64 v38, null, s47, v130, s39
	v_cmp_lt_u32_e64 s39, v128, v167
	s_and_saveexec_b32 s46, s39
	s_xor_b32 s39, exec_lo, s46
	s_cbranch_execnz .LBB1148_1152
; %bb.1086:                             ;   in Loop: Header=BB1148_988 Depth=2
	s_or_b32 exec_lo, exec_lo, s39
	s_mov_b32 s46, exec_lo
	v_cmpx_lt_u32_e64 v131, v167
	s_cbranch_execnz .LBB1148_1153
.LBB1148_1087:                          ;   in Loop: Header=BB1148_988 Depth=2
	s_or_b32 exec_lo, exec_lo, s46
	s_mov_b32 s46, exec_lo
	v_cmpx_lt_u32_e64 v132, v167
	s_cbranch_execnz .LBB1148_1154
.LBB1148_1088:                          ;   in Loop: Header=BB1148_988 Depth=2
	s_or_b32 exec_lo, exec_lo, s46
	s_mov_b32 s46, exec_lo
	v_cmpx_lt_u32_e64 v133, v167
	s_cbranch_execnz .LBB1148_1155
.LBB1148_1089:                          ;   in Loop: Header=BB1148_988 Depth=2
	s_or_b32 exec_lo, exec_lo, s46
	s_mov_b32 s46, exec_lo
	v_cmpx_lt_u32_e64 v134, v167
	s_cbranch_execnz .LBB1148_1156
.LBB1148_1090:                          ;   in Loop: Header=BB1148_988 Depth=2
	s_or_b32 exec_lo, exec_lo, s46
	s_mov_b32 s46, exec_lo
	v_cmpx_lt_u32_e64 v135, v167
	s_cbranch_execnz .LBB1148_1157
.LBB1148_1091:                          ;   in Loop: Header=BB1148_988 Depth=2
	s_or_b32 exec_lo, exec_lo, s46
	s_mov_b32 s46, exec_lo
	v_cmpx_lt_u32_e64 v136, v167
	s_cbranch_execnz .LBB1148_1158
.LBB1148_1092:                          ;   in Loop: Header=BB1148_988 Depth=2
	s_or_b32 exec_lo, exec_lo, s46
	s_mov_b32 s46, exec_lo
	v_cmpx_lt_u32_e64 v137, v167
	s_cbranch_execnz .LBB1148_1159
.LBB1148_1093:                          ;   in Loop: Header=BB1148_988 Depth=2
	s_or_b32 exec_lo, exec_lo, s46
	s_mov_b32 s46, exec_lo
	v_cmpx_lt_u32_e64 v138, v167
	s_cbranch_execnz .LBB1148_1160
.LBB1148_1094:                          ;   in Loop: Header=BB1148_988 Depth=2
	s_or_b32 exec_lo, exec_lo, s46
	s_mov_b32 s46, exec_lo
	v_cmpx_lt_u32_e64 v139, v167
	s_cbranch_execnz .LBB1148_1161
.LBB1148_1095:                          ;   in Loop: Header=BB1148_988 Depth=2
	s_or_b32 exec_lo, exec_lo, s46
	s_mov_b32 s46, exec_lo
	v_cmpx_lt_u32_e64 v140, v167
	s_cbranch_execnz .LBB1148_1162
.LBB1148_1096:                          ;   in Loop: Header=BB1148_988 Depth=2
	s_or_b32 exec_lo, exec_lo, s46
	s_mov_b32 s46, exec_lo
	v_cmpx_lt_u32_e64 v141, v167
	s_cbranch_execnz .LBB1148_1163
.LBB1148_1097:                          ;   in Loop: Header=BB1148_988 Depth=2
	s_or_b32 exec_lo, exec_lo, s46
	s_mov_b32 s46, exec_lo
	v_cmpx_lt_u32_e64 v142, v167
	s_cbranch_execnz .LBB1148_1164
.LBB1148_1098:                          ;   in Loop: Header=BB1148_988 Depth=2
	s_or_b32 exec_lo, exec_lo, s46
	s_mov_b32 s46, exec_lo
	v_cmpx_lt_u32_e64 v143, v167
	s_cbranch_execnz .LBB1148_1165
.LBB1148_1099:                          ;   in Loop: Header=BB1148_988 Depth=2
	s_or_b32 exec_lo, exec_lo, s46
	s_mov_b32 s46, exec_lo
	v_cmpx_lt_u32_e64 v144, v167
	s_cbranch_execnz .LBB1148_1166
.LBB1148_1100:                          ;   in Loop: Header=BB1148_988 Depth=2
	s_or_b32 exec_lo, exec_lo, s46
	s_mov_b32 s46, exec_lo
	v_cmpx_lt_u32_e64 v145, v167
	s_cbranch_execnz .LBB1148_1167
.LBB1148_1101:                          ;   in Loop: Header=BB1148_988 Depth=2
	s_or_b32 exec_lo, exec_lo, s46
	s_and_saveexec_b32 s46, vcc_lo
	s_cbranch_execnz .LBB1148_1168
.LBB1148_1102:                          ;   in Loop: Header=BB1148_988 Depth=2
	s_or_b32 exec_lo, exec_lo, s46
	s_and_saveexec_b32 s46, s23
	s_cbranch_execnz .LBB1148_1169
.LBB1148_1103:                          ;   in Loop: Header=BB1148_988 Depth=2
	s_or_b32 exec_lo, exec_lo, s46
	s_and_saveexec_b32 s46, s24
	s_cbranch_execnz .LBB1148_1170
.LBB1148_1104:                          ;   in Loop: Header=BB1148_988 Depth=2
	s_or_b32 exec_lo, exec_lo, s46
	s_and_saveexec_b32 s46, s25
	s_cbranch_execnz .LBB1148_1171
.LBB1148_1105:                          ;   in Loop: Header=BB1148_988 Depth=2
	s_or_b32 exec_lo, exec_lo, s46
	s_and_saveexec_b32 s46, s26
	s_cbranch_execnz .LBB1148_1172
.LBB1148_1106:                          ;   in Loop: Header=BB1148_988 Depth=2
	s_or_b32 exec_lo, exec_lo, s46
	s_and_saveexec_b32 s46, s27
	s_cbranch_execnz .LBB1148_1173
.LBB1148_1107:                          ;   in Loop: Header=BB1148_988 Depth=2
	s_or_b32 exec_lo, exec_lo, s46
	s_and_saveexec_b32 s46, s28
	s_cbranch_execnz .LBB1148_1174
.LBB1148_1108:                          ;   in Loop: Header=BB1148_988 Depth=2
	s_or_b32 exec_lo, exec_lo, s46
	s_and_saveexec_b32 s46, s29
	s_cbranch_execnz .LBB1148_1175
.LBB1148_1109:                          ;   in Loop: Header=BB1148_988 Depth=2
	s_or_b32 exec_lo, exec_lo, s46
	s_and_saveexec_b32 s46, s30
	s_cbranch_execnz .LBB1148_1176
.LBB1148_1110:                          ;   in Loop: Header=BB1148_988 Depth=2
	s_or_b32 exec_lo, exec_lo, s46
	s_and_saveexec_b32 s46, s31
	s_cbranch_execnz .LBB1148_1177
.LBB1148_1111:                          ;   in Loop: Header=BB1148_988 Depth=2
	s_or_b32 exec_lo, exec_lo, s46
	s_and_saveexec_b32 s46, s33
	s_cbranch_execnz .LBB1148_1178
.LBB1148_1112:                          ;   in Loop: Header=BB1148_988 Depth=2
	s_or_b32 exec_lo, exec_lo, s46
	s_and_saveexec_b32 s46, s34
	s_cbranch_execnz .LBB1148_1179
.LBB1148_1113:                          ;   in Loop: Header=BB1148_988 Depth=2
	s_or_b32 exec_lo, exec_lo, s46
	s_and_saveexec_b32 s46, s35
	s_cbranch_execnz .LBB1148_1180
.LBB1148_1114:                          ;   in Loop: Header=BB1148_988 Depth=2
	s_or_b32 exec_lo, exec_lo, s46
	s_and_saveexec_b32 s46, s36
	s_cbranch_execnz .LBB1148_1181
.LBB1148_1115:                          ;   in Loop: Header=BB1148_988 Depth=2
	s_or_b32 exec_lo, exec_lo, s46
	s_and_saveexec_b32 s46, s37
	s_cbranch_execnz .LBB1148_1182
.LBB1148_1116:                          ;   in Loop: Header=BB1148_988 Depth=2
	s_or_b32 exec_lo, exec_lo, s46
	s_and_saveexec_b32 s46, s38
	s_cbranch_execz .LBB1148_1118
.LBB1148_1117:                          ;   in Loop: Header=BB1148_988 Depth=2
	ds_read_b64 v[37:38], v106 offset:31232
	s_waitcnt lgkmcnt(0)
	v_cmp_ne_u64_e64 s39, s[56:57], v[37:38]
	v_cndmask_b32_e64 v38, 0x7fffffff, v38, s39
	v_cndmask_b32_e64 v37, -1, v37, s39
	v_lshrrev_b64 v[37:38], s52, v[37:38]
	v_and_b32_e32 v149, s64, v37
.LBB1148_1118:                          ;   in Loop: Header=BB1148_988 Depth=2
	s_or_b32 exec_lo, exec_lo, s46
	s_waitcnt vmcnt(0)
	s_waitcnt_vscnt null, 0x0
	s_barrier
	buffer_gl0_inv
	ds_write_b64 v69, v[35:36] offset:512
	ds_write_b64 v70, v[33:34] offset:512
	;; [unrolled: 1-line block ×16, first 2 shown]
	s_waitcnt lgkmcnt(0)
	s_barrier
	buffer_gl0_inv
	s_and_saveexec_b32 s39, vcc_lo
	s_cbranch_execnz .LBB1148_1183
; %bb.1119:                             ;   in Loop: Header=BB1148_988 Depth=2
	s_or_b32 exec_lo, exec_lo, s39
	s_and_saveexec_b32 s39, s23
	s_cbranch_execnz .LBB1148_1184
.LBB1148_1120:                          ;   in Loop: Header=BB1148_988 Depth=2
	s_or_b32 exec_lo, exec_lo, s39
	s_and_saveexec_b32 s23, s24
	s_cbranch_execnz .LBB1148_1185
.LBB1148_1121:                          ;   in Loop: Header=BB1148_988 Depth=2
	s_or_b32 exec_lo, exec_lo, s23
	s_and_saveexec_b32 s23, s25
	s_cbranch_execnz .LBB1148_1186
.LBB1148_1122:                          ;   in Loop: Header=BB1148_988 Depth=2
	s_or_b32 exec_lo, exec_lo, s23
	s_and_saveexec_b32 s23, s26
	s_cbranch_execnz .LBB1148_1187
.LBB1148_1123:                          ;   in Loop: Header=BB1148_988 Depth=2
	s_or_b32 exec_lo, exec_lo, s23
	s_and_saveexec_b32 s23, s27
	s_cbranch_execnz .LBB1148_1188
.LBB1148_1124:                          ;   in Loop: Header=BB1148_988 Depth=2
	s_or_b32 exec_lo, exec_lo, s23
	s_and_saveexec_b32 s23, s28
	s_cbranch_execnz .LBB1148_1189
.LBB1148_1125:                          ;   in Loop: Header=BB1148_988 Depth=2
	s_or_b32 exec_lo, exec_lo, s23
	s_and_saveexec_b32 s23, s29
	s_cbranch_execnz .LBB1148_1190
.LBB1148_1126:                          ;   in Loop: Header=BB1148_988 Depth=2
	s_or_b32 exec_lo, exec_lo, s23
	s_and_saveexec_b32 s23, s30
	s_cbranch_execnz .LBB1148_1191
.LBB1148_1127:                          ;   in Loop: Header=BB1148_988 Depth=2
	s_or_b32 exec_lo, exec_lo, s23
	s_and_saveexec_b32 s23, s31
	s_cbranch_execnz .LBB1148_1192
.LBB1148_1128:                          ;   in Loop: Header=BB1148_988 Depth=2
	s_or_b32 exec_lo, exec_lo, s23
	s_and_saveexec_b32 s23, s33
	s_cbranch_execnz .LBB1148_1193
.LBB1148_1129:                          ;   in Loop: Header=BB1148_988 Depth=2
	s_or_b32 exec_lo, exec_lo, s23
	s_and_saveexec_b32 s23, s34
	s_cbranch_execnz .LBB1148_1194
.LBB1148_1130:                          ;   in Loop: Header=BB1148_988 Depth=2
	s_or_b32 exec_lo, exec_lo, s23
	s_and_saveexec_b32 s23, s35
	s_cbranch_execnz .LBB1148_1195
.LBB1148_1131:                          ;   in Loop: Header=BB1148_988 Depth=2
	s_or_b32 exec_lo, exec_lo, s23
	s_and_saveexec_b32 s23, s36
	s_cbranch_execnz .LBB1148_1196
.LBB1148_1132:                          ;   in Loop: Header=BB1148_988 Depth=2
	s_or_b32 exec_lo, exec_lo, s23
	s_and_saveexec_b32 s23, s37
	s_cbranch_execnz .LBB1148_1197
.LBB1148_1133:                          ;   in Loop: Header=BB1148_988 Depth=2
	s_or_b32 exec_lo, exec_lo, s23
	s_and_saveexec_b32 s23, s38
	s_cbranch_execz .LBB1148_1135
.LBB1148_1134:                          ;   in Loop: Header=BB1148_988 Depth=2
	v_lshlrev_b32_e32 v3, 2, v149
	ds_read_b32 v3, v3
	ds_read_b64 v[37:38], v106 offset:31232
	s_waitcnt lgkmcnt(1)
	v_add_nc_u32_e32 v3, v3, v90
	v_lshlrev_b64 v[39:40], 3, v[3:4]
	v_add_co_u32 v39, vcc_lo, s50, v39
	v_add_co_ci_u32_e64 v40, null, s51, v40, vcc_lo
	s_waitcnt lgkmcnt(0)
	global_store_dwordx2 v[39:40], v[37:38], off
.LBB1148_1135:                          ;   in Loop: Header=BB1148_988 Depth=2
	s_or_b32 exec_lo, exec_lo, s23
	s_waitcnt_vscnt null, 0x0
	s_barrier
	buffer_gl0_inv
	s_and_saveexec_b32 s23, s8
	s_cbranch_execz .LBB1148_987
; %bb.1136:                             ;   in Loop: Header=BB1148_988 Depth=2
	ds_read_b32 v3, v73
	s_waitcnt lgkmcnt(0)
	v_add3_u32 v3, v156, v166, v3
	ds_write_b32 v73, v3
	s_branch .LBB1148_987
.LBB1148_1137:                          ;   in Loop: Header=BB1148_988 Depth=2
	ds_read_b64 v[37:38], v106 offset:512
	s_waitcnt lgkmcnt(0)
	v_cmp_ne_u64_e64 s23, s[56:57], v[37:38]
	v_cndmask_b32_e64 v44, 0x7fffffff, v38, s23
	v_cndmask_b32_e64 v43, -1, v37, s23
	v_cmp_gt_i64_e64 s23, 0, v[37:38]
	v_lshrrev_b64 v[43:44], s52, v[43:44]
	v_cndmask_b32_e64 v45, 0x7fffffff, 0, s23
	v_and_b32_e32 v3, s64, v43
	v_ashrrev_i32_e32 v43, 31, v38
	v_xor_b32_e32 v38, v45, v38
	v_lshlrev_b32_e32 v3, 2, v3
	v_not_b32_e32 v46, v43
	ds_read_b32 v3, v3
	v_xor_b32_e32 v37, v46, v37
	s_waitcnt lgkmcnt(0)
	v_add_nc_u32_e32 v3, v3, v0
	v_lshlrev_b64 v[43:44], 3, v[3:4]
	v_add_co_u32 v43, s23, s44, v43
	v_add_co_ci_u32_e64 v44, null, s45, v44, s23
	global_store_dwordx2 v[43:44], v[37:38], off
	s_or_b32 exec_lo, exec_lo, s24
	v_cmp_lt_u32_e64 s23, v74, v167
	s_and_saveexec_b32 s25, s23
	s_cbranch_execz .LBB1148_1070
.LBB1148_1138:                          ;   in Loop: Header=BB1148_988 Depth=2
	ds_read_b64 v[37:38], v106 offset:2560
	s_waitcnt lgkmcnt(0)
	v_cmp_ne_u64_e64 s24, s[56:57], v[37:38]
	v_cndmask_b32_e64 v44, 0x7fffffff, v38, s24
	v_cndmask_b32_e64 v43, -1, v37, s24
	v_cmp_gt_i64_e64 s24, 0, v[37:38]
	v_lshrrev_b64 v[43:44], s52, v[43:44]
	v_cndmask_b32_e64 v45, 0x7fffffff, 0, s24
	v_and_b32_e32 v3, s64, v43
	v_ashrrev_i32_e32 v43, 31, v38
	v_xor_b32_e32 v38, v45, v38
	v_lshlrev_b32_e32 v3, 2, v3
	v_not_b32_e32 v46, v43
	ds_read_b32 v3, v3
	v_xor_b32_e32 v37, v46, v37
	s_waitcnt lgkmcnt(0)
	v_add_nc_u32_e32 v3, v3, v74
	v_lshlrev_b64 v[43:44], 3, v[3:4]
	v_add_co_u32 v43, s24, s44, v43
	v_add_co_ci_u32_e64 v44, null, s45, v44, s24
	global_store_dwordx2 v[43:44], v[37:38], off
	s_or_b32 exec_lo, exec_lo, s25
	v_cmp_lt_u32_e64 s24, v77, v167
	s_and_saveexec_b32 s26, s24
	s_cbranch_execz .LBB1148_1071
.LBB1148_1139:                          ;   in Loop: Header=BB1148_988 Depth=2
	ds_read_b64 v[37:38], v106 offset:4608
	s_waitcnt lgkmcnt(0)
	v_cmp_ne_u64_e64 s25, s[56:57], v[37:38]
	v_cndmask_b32_e64 v44, 0x7fffffff, v38, s25
	v_cndmask_b32_e64 v43, -1, v37, s25
	v_cmp_gt_i64_e64 s25, 0, v[37:38]
	v_lshrrev_b64 v[43:44], s52, v[43:44]
	v_cndmask_b32_e64 v45, 0x7fffffff, 0, s25
	v_and_b32_e32 v3, s64, v43
	v_ashrrev_i32_e32 v43, 31, v38
	v_xor_b32_e32 v38, v45, v38
	v_lshlrev_b32_e32 v3, 2, v3
	v_not_b32_e32 v46, v43
	ds_read_b32 v3, v3
	v_xor_b32_e32 v37, v46, v37
	s_waitcnt lgkmcnt(0)
	v_add_nc_u32_e32 v3, v3, v77
	v_lshlrev_b64 v[43:44], 3, v[3:4]
	v_add_co_u32 v43, s25, s44, v43
	v_add_co_ci_u32_e64 v44, null, s45, v44, s25
	global_store_dwordx2 v[43:44], v[37:38], off
	s_or_b32 exec_lo, exec_lo, s26
	v_cmp_lt_u32_e64 s25, v78, v167
	s_and_saveexec_b32 s27, s25
	s_cbranch_execz .LBB1148_1072
.LBB1148_1140:                          ;   in Loop: Header=BB1148_988 Depth=2
	ds_read_b64 v[37:38], v106 offset:6656
	s_waitcnt lgkmcnt(0)
	v_cmp_ne_u64_e64 s26, s[56:57], v[37:38]
	v_cndmask_b32_e64 v44, 0x7fffffff, v38, s26
	v_cndmask_b32_e64 v43, -1, v37, s26
	v_cmp_gt_i64_e64 s26, 0, v[37:38]
	v_lshrrev_b64 v[43:44], s52, v[43:44]
	v_cndmask_b32_e64 v45, 0x7fffffff, 0, s26
	v_and_b32_e32 v3, s64, v43
	v_ashrrev_i32_e32 v43, 31, v38
	v_xor_b32_e32 v38, v45, v38
	v_lshlrev_b32_e32 v3, 2, v3
	v_not_b32_e32 v46, v43
	ds_read_b32 v3, v3
	v_xor_b32_e32 v37, v46, v37
	s_waitcnt lgkmcnt(0)
	v_add_nc_u32_e32 v3, v3, v78
	v_lshlrev_b64 v[43:44], 3, v[3:4]
	v_add_co_u32 v43, s26, s44, v43
	v_add_co_ci_u32_e64 v44, null, s45, v44, s26
	global_store_dwordx2 v[43:44], v[37:38], off
	s_or_b32 exec_lo, exec_lo, s27
	v_cmp_lt_u32_e64 s26, v79, v167
	s_and_saveexec_b32 s28, s26
	s_cbranch_execz .LBB1148_1073
.LBB1148_1141:                          ;   in Loop: Header=BB1148_988 Depth=2
	ds_read_b64 v[37:38], v106 offset:8704
	s_waitcnt lgkmcnt(0)
	v_cmp_ne_u64_e64 s27, s[56:57], v[37:38]
	v_cndmask_b32_e64 v44, 0x7fffffff, v38, s27
	v_cndmask_b32_e64 v43, -1, v37, s27
	v_cmp_gt_i64_e64 s27, 0, v[37:38]
	v_lshrrev_b64 v[43:44], s52, v[43:44]
	v_cndmask_b32_e64 v45, 0x7fffffff, 0, s27
	v_and_b32_e32 v3, s64, v43
	v_ashrrev_i32_e32 v43, 31, v38
	v_xor_b32_e32 v38, v45, v38
	v_lshlrev_b32_e32 v3, 2, v3
	v_not_b32_e32 v46, v43
	ds_read_b32 v3, v3
	v_xor_b32_e32 v37, v46, v37
	s_waitcnt lgkmcnt(0)
	v_add_nc_u32_e32 v3, v3, v79
	v_lshlrev_b64 v[43:44], 3, v[3:4]
	v_add_co_u32 v43, s27, s44, v43
	v_add_co_ci_u32_e64 v44, null, s45, v44, s27
	global_store_dwordx2 v[43:44], v[37:38], off
	s_or_b32 exec_lo, exec_lo, s28
	v_cmp_lt_u32_e64 s27, v80, v167
	s_and_saveexec_b32 s29, s27
	s_cbranch_execz .LBB1148_1074
.LBB1148_1142:                          ;   in Loop: Header=BB1148_988 Depth=2
	ds_read_b64 v[37:38], v106 offset:10752
	s_waitcnt lgkmcnt(0)
	v_cmp_ne_u64_e64 s28, s[56:57], v[37:38]
	v_cndmask_b32_e64 v44, 0x7fffffff, v38, s28
	v_cndmask_b32_e64 v43, -1, v37, s28
	v_cmp_gt_i64_e64 s28, 0, v[37:38]
	v_lshrrev_b64 v[43:44], s52, v[43:44]
	v_cndmask_b32_e64 v45, 0x7fffffff, 0, s28
	v_and_b32_e32 v3, s64, v43
	v_ashrrev_i32_e32 v43, 31, v38
	v_xor_b32_e32 v38, v45, v38
	v_lshlrev_b32_e32 v3, 2, v3
	v_not_b32_e32 v46, v43
	ds_read_b32 v3, v3
	v_xor_b32_e32 v37, v46, v37
	s_waitcnt lgkmcnt(0)
	v_add_nc_u32_e32 v3, v3, v80
	v_lshlrev_b64 v[43:44], 3, v[3:4]
	v_add_co_u32 v43, s28, s44, v43
	v_add_co_ci_u32_e64 v44, null, s45, v44, s28
	global_store_dwordx2 v[43:44], v[37:38], off
	s_or_b32 exec_lo, exec_lo, s29
	v_cmp_lt_u32_e64 s28, v81, v167
	s_and_saveexec_b32 s30, s28
	s_cbranch_execz .LBB1148_1075
.LBB1148_1143:                          ;   in Loop: Header=BB1148_988 Depth=2
	ds_read_b64 v[37:38], v106 offset:12800
	s_waitcnt lgkmcnt(0)
	v_cmp_ne_u64_e64 s29, s[56:57], v[37:38]
	v_cndmask_b32_e64 v44, 0x7fffffff, v38, s29
	v_cndmask_b32_e64 v43, -1, v37, s29
	v_cmp_gt_i64_e64 s29, 0, v[37:38]
	v_lshrrev_b64 v[43:44], s52, v[43:44]
	v_cndmask_b32_e64 v45, 0x7fffffff, 0, s29
	v_and_b32_e32 v3, s64, v43
	v_ashrrev_i32_e32 v43, 31, v38
	v_xor_b32_e32 v38, v45, v38
	v_lshlrev_b32_e32 v3, 2, v3
	v_not_b32_e32 v46, v43
	ds_read_b32 v3, v3
	v_xor_b32_e32 v37, v46, v37
	s_waitcnt lgkmcnt(0)
	v_add_nc_u32_e32 v3, v3, v81
	v_lshlrev_b64 v[43:44], 3, v[3:4]
	v_add_co_u32 v43, s29, s44, v43
	v_add_co_ci_u32_e64 v44, null, s45, v44, s29
	global_store_dwordx2 v[43:44], v[37:38], off
	s_or_b32 exec_lo, exec_lo, s30
	v_cmp_lt_u32_e64 s29, v82, v167
	s_and_saveexec_b32 s31, s29
	s_cbranch_execz .LBB1148_1076
.LBB1148_1144:                          ;   in Loop: Header=BB1148_988 Depth=2
	ds_read_b64 v[37:38], v106 offset:14848
	s_waitcnt lgkmcnt(0)
	v_cmp_ne_u64_e64 s30, s[56:57], v[37:38]
	v_cndmask_b32_e64 v44, 0x7fffffff, v38, s30
	v_cndmask_b32_e64 v43, -1, v37, s30
	v_cmp_gt_i64_e64 s30, 0, v[37:38]
	v_lshrrev_b64 v[43:44], s52, v[43:44]
	v_cndmask_b32_e64 v45, 0x7fffffff, 0, s30
	v_and_b32_e32 v3, s64, v43
	v_ashrrev_i32_e32 v43, 31, v38
	v_xor_b32_e32 v38, v45, v38
	v_lshlrev_b32_e32 v3, 2, v3
	v_not_b32_e32 v46, v43
	ds_read_b32 v3, v3
	v_xor_b32_e32 v37, v46, v37
	s_waitcnt lgkmcnt(0)
	v_add_nc_u32_e32 v3, v3, v82
	v_lshlrev_b64 v[43:44], 3, v[3:4]
	v_add_co_u32 v43, s30, s44, v43
	v_add_co_ci_u32_e64 v44, null, s45, v44, s30
	global_store_dwordx2 v[43:44], v[37:38], off
	s_or_b32 exec_lo, exec_lo, s31
	v_cmp_lt_u32_e64 s30, v83, v167
	s_and_saveexec_b32 s33, s30
	s_cbranch_execz .LBB1148_1077
.LBB1148_1145:                          ;   in Loop: Header=BB1148_988 Depth=2
	ds_read_b64 v[37:38], v106 offset:16896
	s_waitcnt lgkmcnt(0)
	v_cmp_ne_u64_e64 s31, s[56:57], v[37:38]
	v_cndmask_b32_e64 v44, 0x7fffffff, v38, s31
	v_cndmask_b32_e64 v43, -1, v37, s31
	v_cmp_gt_i64_e64 s31, 0, v[37:38]
	v_lshrrev_b64 v[43:44], s52, v[43:44]
	v_cndmask_b32_e64 v45, 0x7fffffff, 0, s31
	v_and_b32_e32 v3, s64, v43
	v_ashrrev_i32_e32 v43, 31, v38
	v_xor_b32_e32 v38, v45, v38
	v_lshlrev_b32_e32 v3, 2, v3
	v_not_b32_e32 v46, v43
	ds_read_b32 v3, v3
	v_xor_b32_e32 v37, v46, v37
	s_waitcnt lgkmcnt(0)
	v_add_nc_u32_e32 v3, v3, v83
	v_lshlrev_b64 v[43:44], 3, v[3:4]
	v_add_co_u32 v43, s31, s44, v43
	v_add_co_ci_u32_e64 v44, null, s45, v44, s31
	global_store_dwordx2 v[43:44], v[37:38], off
	s_or_b32 exec_lo, exec_lo, s33
	v_cmp_lt_u32_e64 s31, v84, v167
	s_and_saveexec_b32 s34, s31
	s_cbranch_execz .LBB1148_1078
.LBB1148_1146:                          ;   in Loop: Header=BB1148_988 Depth=2
	ds_read_b64 v[37:38], v106 offset:18944
	s_waitcnt lgkmcnt(0)
	v_cmp_ne_u64_e64 s33, s[56:57], v[37:38]
	v_cndmask_b32_e64 v44, 0x7fffffff, v38, s33
	v_cndmask_b32_e64 v43, -1, v37, s33
	v_cmp_gt_i64_e64 s33, 0, v[37:38]
	v_lshrrev_b64 v[43:44], s52, v[43:44]
	v_cndmask_b32_e64 v45, 0x7fffffff, 0, s33
	v_and_b32_e32 v3, s64, v43
	v_ashrrev_i32_e32 v43, 31, v38
	v_xor_b32_e32 v38, v45, v38
	v_lshlrev_b32_e32 v3, 2, v3
	v_not_b32_e32 v46, v43
	ds_read_b32 v3, v3
	v_xor_b32_e32 v37, v46, v37
	s_waitcnt lgkmcnt(0)
	v_add_nc_u32_e32 v3, v3, v84
	v_lshlrev_b64 v[43:44], 3, v[3:4]
	v_add_co_u32 v43, s33, s44, v43
	v_add_co_ci_u32_e64 v44, null, s45, v44, s33
	global_store_dwordx2 v[43:44], v[37:38], off
	s_or_b32 exec_lo, exec_lo, s34
	v_cmp_lt_u32_e64 s33, v85, v167
	s_and_saveexec_b32 s35, s33
	s_cbranch_execz .LBB1148_1079
.LBB1148_1147:                          ;   in Loop: Header=BB1148_988 Depth=2
	ds_read_b64 v[37:38], v106 offset:20992
	s_waitcnt lgkmcnt(0)
	v_cmp_ne_u64_e64 s34, s[56:57], v[37:38]
	v_cndmask_b32_e64 v44, 0x7fffffff, v38, s34
	v_cndmask_b32_e64 v43, -1, v37, s34
	v_cmp_gt_i64_e64 s34, 0, v[37:38]
	v_lshrrev_b64 v[43:44], s52, v[43:44]
	v_cndmask_b32_e64 v45, 0x7fffffff, 0, s34
	v_and_b32_e32 v3, s64, v43
	v_ashrrev_i32_e32 v43, 31, v38
	v_xor_b32_e32 v38, v45, v38
	v_lshlrev_b32_e32 v3, 2, v3
	v_not_b32_e32 v46, v43
	ds_read_b32 v3, v3
	v_xor_b32_e32 v37, v46, v37
	s_waitcnt lgkmcnt(0)
	v_add_nc_u32_e32 v3, v3, v85
	v_lshlrev_b64 v[43:44], 3, v[3:4]
	v_add_co_u32 v43, s34, s44, v43
	v_add_co_ci_u32_e64 v44, null, s45, v44, s34
	global_store_dwordx2 v[43:44], v[37:38], off
	s_or_b32 exec_lo, exec_lo, s35
	v_cmp_lt_u32_e64 s34, v86, v167
	s_and_saveexec_b32 s36, s34
	s_cbranch_execz .LBB1148_1080
.LBB1148_1148:                          ;   in Loop: Header=BB1148_988 Depth=2
	ds_read_b64 v[37:38], v106 offset:23040
	s_waitcnt lgkmcnt(0)
	v_cmp_ne_u64_e64 s35, s[56:57], v[37:38]
	v_cndmask_b32_e64 v44, 0x7fffffff, v38, s35
	v_cndmask_b32_e64 v43, -1, v37, s35
	v_cmp_gt_i64_e64 s35, 0, v[37:38]
	v_lshrrev_b64 v[43:44], s52, v[43:44]
	v_cndmask_b32_e64 v45, 0x7fffffff, 0, s35
	v_and_b32_e32 v3, s64, v43
	v_ashrrev_i32_e32 v43, 31, v38
	v_xor_b32_e32 v38, v45, v38
	v_lshlrev_b32_e32 v3, 2, v3
	v_not_b32_e32 v46, v43
	ds_read_b32 v3, v3
	v_xor_b32_e32 v37, v46, v37
	s_waitcnt lgkmcnt(0)
	v_add_nc_u32_e32 v3, v3, v86
	v_lshlrev_b64 v[43:44], 3, v[3:4]
	v_add_co_u32 v43, s35, s44, v43
	v_add_co_ci_u32_e64 v44, null, s45, v44, s35
	global_store_dwordx2 v[43:44], v[37:38], off
	s_or_b32 exec_lo, exec_lo, s36
	v_cmp_lt_u32_e64 s35, v87, v167
	s_and_saveexec_b32 s37, s35
	s_cbranch_execz .LBB1148_1081
.LBB1148_1149:                          ;   in Loop: Header=BB1148_988 Depth=2
	ds_read_b64 v[37:38], v106 offset:25088
	s_waitcnt lgkmcnt(0)
	v_cmp_ne_u64_e64 s36, s[56:57], v[37:38]
	v_cndmask_b32_e64 v44, 0x7fffffff, v38, s36
	v_cndmask_b32_e64 v43, -1, v37, s36
	v_cmp_gt_i64_e64 s36, 0, v[37:38]
	v_lshrrev_b64 v[43:44], s52, v[43:44]
	v_cndmask_b32_e64 v45, 0x7fffffff, 0, s36
	v_and_b32_e32 v3, s64, v43
	v_ashrrev_i32_e32 v43, 31, v38
	v_xor_b32_e32 v38, v45, v38
	v_lshlrev_b32_e32 v3, 2, v3
	v_not_b32_e32 v46, v43
	ds_read_b32 v3, v3
	v_xor_b32_e32 v37, v46, v37
	s_waitcnt lgkmcnt(0)
	v_add_nc_u32_e32 v3, v3, v87
	v_lshlrev_b64 v[43:44], 3, v[3:4]
	v_add_co_u32 v43, s36, s44, v43
	v_add_co_ci_u32_e64 v44, null, s45, v44, s36
	global_store_dwordx2 v[43:44], v[37:38], off
	s_or_b32 exec_lo, exec_lo, s37
	v_cmp_lt_u32_e64 s36, v88, v167
	s_and_saveexec_b32 s38, s36
	s_cbranch_execz .LBB1148_1082
.LBB1148_1150:                          ;   in Loop: Header=BB1148_988 Depth=2
	ds_read_b64 v[37:38], v106 offset:27136
	s_waitcnt lgkmcnt(0)
	v_cmp_ne_u64_e64 s37, s[56:57], v[37:38]
	v_cndmask_b32_e64 v44, 0x7fffffff, v38, s37
	v_cndmask_b32_e64 v43, -1, v37, s37
	v_cmp_gt_i64_e64 s37, 0, v[37:38]
	v_lshrrev_b64 v[43:44], s52, v[43:44]
	v_cndmask_b32_e64 v45, 0x7fffffff, 0, s37
	v_and_b32_e32 v3, s64, v43
	v_ashrrev_i32_e32 v43, 31, v38
	v_xor_b32_e32 v38, v45, v38
	v_lshlrev_b32_e32 v3, 2, v3
	v_not_b32_e32 v46, v43
	ds_read_b32 v3, v3
	v_xor_b32_e32 v37, v46, v37
	s_waitcnt lgkmcnt(0)
	v_add_nc_u32_e32 v3, v3, v88
	v_lshlrev_b64 v[43:44], 3, v[3:4]
	v_add_co_u32 v43, s37, s44, v43
	v_add_co_ci_u32_e64 v44, null, s45, v44, s37
	global_store_dwordx2 v[43:44], v[37:38], off
	s_or_b32 exec_lo, exec_lo, s38
	v_cmp_lt_u32_e64 s37, v89, v167
	s_and_saveexec_b32 s39, s37
	s_cbranch_execz .LBB1148_1083
.LBB1148_1151:                          ;   in Loop: Header=BB1148_988 Depth=2
	ds_read_b64 v[37:38], v106 offset:29184
	s_waitcnt lgkmcnt(0)
	v_cmp_ne_u64_e64 s38, s[56:57], v[37:38]
	v_cndmask_b32_e64 v44, 0x7fffffff, v38, s38
	v_cndmask_b32_e64 v43, -1, v37, s38
	v_cmp_gt_i64_e64 s38, 0, v[37:38]
	v_lshrrev_b64 v[43:44], s52, v[43:44]
	v_cndmask_b32_e64 v45, 0x7fffffff, 0, s38
	v_and_b32_e32 v3, s64, v43
	v_ashrrev_i32_e32 v43, 31, v38
	v_xor_b32_e32 v38, v45, v38
	v_lshlrev_b32_e32 v3, 2, v3
	v_not_b32_e32 v46, v43
	ds_read_b32 v3, v3
	v_xor_b32_e32 v37, v46, v37
	s_waitcnt lgkmcnt(0)
	v_add_nc_u32_e32 v3, v3, v89
	v_lshlrev_b64 v[43:44], 3, v[3:4]
	v_add_co_u32 v43, s38, s44, v43
	v_add_co_ci_u32_e64 v44, null, s45, v44, s38
	global_store_dwordx2 v[43:44], v[37:38], off
	s_or_b32 exec_lo, exec_lo, s39
	v_cmp_lt_u32_e64 s38, v90, v167
	s_and_saveexec_b32 s47, s38
	s_cbranch_execnz .LBB1148_1084
	s_branch .LBB1148_1085
.LBB1148_1152:                          ;   in Loop: Header=BB1148_988 Depth=2
	global_load_dwordx2 v[35:36], v[37:38], off
	s_or_b32 exec_lo, exec_lo, s39
	s_mov_b32 s46, exec_lo
	v_cmpx_lt_u32_e64 v131, v167
	s_cbranch_execz .LBB1148_1087
.LBB1148_1153:                          ;   in Loop: Header=BB1148_988 Depth=2
	global_load_dwordx2 v[33:34], v[37:38], off offset:256
	s_or_b32 exec_lo, exec_lo, s46
	s_mov_b32 s46, exec_lo
	v_cmpx_lt_u32_e64 v132, v167
	s_cbranch_execz .LBB1148_1088
.LBB1148_1154:                          ;   in Loop: Header=BB1148_988 Depth=2
	global_load_dwordx2 v[31:32], v[37:38], off offset:512
	s_or_b32 exec_lo, exec_lo, s46
	s_mov_b32 s46, exec_lo
	v_cmpx_lt_u32_e64 v133, v167
	s_cbranch_execz .LBB1148_1089
.LBB1148_1155:                          ;   in Loop: Header=BB1148_988 Depth=2
	global_load_dwordx2 v[29:30], v[37:38], off offset:768
	s_or_b32 exec_lo, exec_lo, s46
	s_mov_b32 s46, exec_lo
	v_cmpx_lt_u32_e64 v134, v167
	s_cbranch_execz .LBB1148_1090
.LBB1148_1156:                          ;   in Loop: Header=BB1148_988 Depth=2
	global_load_dwordx2 v[27:28], v[37:38], off offset:1024
	s_or_b32 exec_lo, exec_lo, s46
	s_mov_b32 s46, exec_lo
	v_cmpx_lt_u32_e64 v135, v167
	s_cbranch_execz .LBB1148_1091
.LBB1148_1157:                          ;   in Loop: Header=BB1148_988 Depth=2
	global_load_dwordx2 v[23:24], v[37:38], off offset:1280
	s_or_b32 exec_lo, exec_lo, s46
	s_mov_b32 s46, exec_lo
	v_cmpx_lt_u32_e64 v136, v167
	s_cbranch_execz .LBB1148_1092
.LBB1148_1158:                          ;   in Loop: Header=BB1148_988 Depth=2
	global_load_dwordx2 v[19:20], v[37:38], off offset:1536
	s_or_b32 exec_lo, exec_lo, s46
	s_mov_b32 s46, exec_lo
	v_cmpx_lt_u32_e64 v137, v167
	s_cbranch_execz .LBB1148_1093
.LBB1148_1159:                          ;   in Loop: Header=BB1148_988 Depth=2
	global_load_dwordx2 v[15:16], v[37:38], off offset:1792
	s_or_b32 exec_lo, exec_lo, s46
	s_mov_b32 s46, exec_lo
	v_cmpx_lt_u32_e64 v138, v167
	s_cbranch_execz .LBB1148_1094
.LBB1148_1160:                          ;   in Loop: Header=BB1148_988 Depth=2
	v_add_co_u32 v25, s39, 0x800, v37
	v_add_co_ci_u32_e64 v26, null, 0, v38, s39
	global_load_dwordx2 v[25:26], v[25:26], off
	s_or_b32 exec_lo, exec_lo, s46
	s_mov_b32 s46, exec_lo
	v_cmpx_lt_u32_e64 v139, v167
	s_cbranch_execz .LBB1148_1095
.LBB1148_1161:                          ;   in Loop: Header=BB1148_988 Depth=2
	v_add_co_u32 v21, s39, 0x800, v37
	v_add_co_ci_u32_e64 v22, null, 0, v38, s39
	global_load_dwordx2 v[21:22], v[21:22], off offset:256
	s_or_b32 exec_lo, exec_lo, s46
	s_mov_b32 s46, exec_lo
	v_cmpx_lt_u32_e64 v140, v167
	s_cbranch_execz .LBB1148_1096
.LBB1148_1162:                          ;   in Loop: Header=BB1148_988 Depth=2
	v_add_co_u32 v17, s39, 0x800, v37
	v_add_co_ci_u32_e64 v18, null, 0, v38, s39
	global_load_dwordx2 v[17:18], v[17:18], off offset:512
	s_or_b32 exec_lo, exec_lo, s46
	s_mov_b32 s46, exec_lo
	v_cmpx_lt_u32_e64 v141, v167
	s_cbranch_execz .LBB1148_1097
.LBB1148_1163:                          ;   in Loop: Header=BB1148_988 Depth=2
	v_add_co_u32 v13, s39, 0x800, v37
	v_add_co_ci_u32_e64 v14, null, 0, v38, s39
	global_load_dwordx2 v[13:14], v[13:14], off offset:768
	s_or_b32 exec_lo, exec_lo, s46
	s_mov_b32 s46, exec_lo
	v_cmpx_lt_u32_e64 v142, v167
	s_cbranch_execz .LBB1148_1098
.LBB1148_1164:                          ;   in Loop: Header=BB1148_988 Depth=2
	v_add_co_u32 v11, s39, 0x800, v37
	v_add_co_ci_u32_e64 v12, null, 0, v38, s39
	global_load_dwordx2 v[11:12], v[11:12], off offset:1024
	s_or_b32 exec_lo, exec_lo, s46
	s_mov_b32 s46, exec_lo
	v_cmpx_lt_u32_e64 v143, v167
	s_cbranch_execz .LBB1148_1099
.LBB1148_1165:                          ;   in Loop: Header=BB1148_988 Depth=2
	v_add_co_u32 v9, s39, 0x800, v37
	v_add_co_ci_u32_e64 v10, null, 0, v38, s39
	global_load_dwordx2 v[9:10], v[9:10], off offset:1280
	s_or_b32 exec_lo, exec_lo, s46
	s_mov_b32 s46, exec_lo
	v_cmpx_lt_u32_e64 v144, v167
	s_cbranch_execz .LBB1148_1100
.LBB1148_1166:                          ;   in Loop: Header=BB1148_988 Depth=2
	v_add_co_u32 v7, s39, 0x800, v37
	v_add_co_ci_u32_e64 v8, null, 0, v38, s39
	global_load_dwordx2 v[7:8], v[7:8], off offset:1536
	s_or_b32 exec_lo, exec_lo, s46
	s_mov_b32 s46, exec_lo
	v_cmpx_lt_u32_e64 v145, v167
	s_cbranch_execz .LBB1148_1101
.LBB1148_1167:                          ;   in Loop: Header=BB1148_988 Depth=2
	v_add_co_u32 v5, s39, 0x800, v37
	v_add_co_ci_u32_e64 v6, null, 0, v38, s39
	global_load_dwordx2 v[5:6], v[5:6], off offset:1792
	s_or_b32 exec_lo, exec_lo, s46
	s_and_saveexec_b32 s46, vcc_lo
	s_cbranch_execz .LBB1148_1102
.LBB1148_1168:                          ;   in Loop: Header=BB1148_988 Depth=2
	ds_read_b64 v[37:38], v106 offset:512
	s_waitcnt lgkmcnt(0)
	v_cmp_ne_u64_e64 s39, s[56:57], v[37:38]
	v_cndmask_b32_e64 v38, 0x7fffffff, v38, s39
	v_cndmask_b32_e64 v37, -1, v37, s39
	v_lshrrev_b64 v[37:38], s52, v[37:38]
	v_and_b32_e32 v165, s64, v37
	s_or_b32 exec_lo, exec_lo, s46
	s_and_saveexec_b32 s46, s23
	s_cbranch_execz .LBB1148_1103
.LBB1148_1169:                          ;   in Loop: Header=BB1148_988 Depth=2
	ds_read_b64 v[37:38], v106 offset:2560
	s_waitcnt lgkmcnt(0)
	v_cmp_ne_u64_e64 s39, s[56:57], v[37:38]
	v_cndmask_b32_e64 v38, 0x7fffffff, v38, s39
	v_cndmask_b32_e64 v37, -1, v37, s39
	v_lshrrev_b64 v[37:38], s52, v[37:38]
	v_and_b32_e32 v164, s64, v37
	s_or_b32 exec_lo, exec_lo, s46
	s_and_saveexec_b32 s46, s24
	s_cbranch_execz .LBB1148_1104
.LBB1148_1170:                          ;   in Loop: Header=BB1148_988 Depth=2
	ds_read_b64 v[37:38], v106 offset:4608
	s_waitcnt lgkmcnt(0)
	v_cmp_ne_u64_e64 s39, s[56:57], v[37:38]
	v_cndmask_b32_e64 v38, 0x7fffffff, v38, s39
	v_cndmask_b32_e64 v37, -1, v37, s39
	v_lshrrev_b64 v[37:38], s52, v[37:38]
	v_and_b32_e32 v163, s64, v37
	s_or_b32 exec_lo, exec_lo, s46
	s_and_saveexec_b32 s46, s25
	s_cbranch_execz .LBB1148_1105
.LBB1148_1171:                          ;   in Loop: Header=BB1148_988 Depth=2
	ds_read_b64 v[37:38], v106 offset:6656
	s_waitcnt lgkmcnt(0)
	v_cmp_ne_u64_e64 s39, s[56:57], v[37:38]
	v_cndmask_b32_e64 v38, 0x7fffffff, v38, s39
	v_cndmask_b32_e64 v37, -1, v37, s39
	v_lshrrev_b64 v[37:38], s52, v[37:38]
	v_and_b32_e32 v162, s64, v37
	s_or_b32 exec_lo, exec_lo, s46
	s_and_saveexec_b32 s46, s26
	s_cbranch_execz .LBB1148_1106
.LBB1148_1172:                          ;   in Loop: Header=BB1148_988 Depth=2
	ds_read_b64 v[37:38], v106 offset:8704
	s_waitcnt lgkmcnt(0)
	v_cmp_ne_u64_e64 s39, s[56:57], v[37:38]
	v_cndmask_b32_e64 v38, 0x7fffffff, v38, s39
	v_cndmask_b32_e64 v37, -1, v37, s39
	v_lshrrev_b64 v[37:38], s52, v[37:38]
	v_and_b32_e32 v161, s64, v37
	s_or_b32 exec_lo, exec_lo, s46
	s_and_saveexec_b32 s46, s27
	s_cbranch_execz .LBB1148_1107
.LBB1148_1173:                          ;   in Loop: Header=BB1148_988 Depth=2
	ds_read_b64 v[37:38], v106 offset:10752
	s_waitcnt lgkmcnt(0)
	v_cmp_ne_u64_e64 s39, s[56:57], v[37:38]
	v_cndmask_b32_e64 v38, 0x7fffffff, v38, s39
	v_cndmask_b32_e64 v37, -1, v37, s39
	v_lshrrev_b64 v[37:38], s52, v[37:38]
	v_and_b32_e32 v160, s64, v37
	s_or_b32 exec_lo, exec_lo, s46
	s_and_saveexec_b32 s46, s28
	s_cbranch_execz .LBB1148_1108
.LBB1148_1174:                          ;   in Loop: Header=BB1148_988 Depth=2
	ds_read_b64 v[37:38], v106 offset:12800
	s_waitcnt lgkmcnt(0)
	v_cmp_ne_u64_e64 s39, s[56:57], v[37:38]
	v_cndmask_b32_e64 v38, 0x7fffffff, v38, s39
	v_cndmask_b32_e64 v37, -1, v37, s39
	v_lshrrev_b64 v[37:38], s52, v[37:38]
	v_and_b32_e32 v159, s64, v37
	s_or_b32 exec_lo, exec_lo, s46
	s_and_saveexec_b32 s46, s29
	s_cbranch_execz .LBB1148_1109
.LBB1148_1175:                          ;   in Loop: Header=BB1148_988 Depth=2
	ds_read_b64 v[37:38], v106 offset:14848
	s_waitcnt lgkmcnt(0)
	v_cmp_ne_u64_e64 s39, s[56:57], v[37:38]
	v_cndmask_b32_e64 v38, 0x7fffffff, v38, s39
	v_cndmask_b32_e64 v37, -1, v37, s39
	v_lshrrev_b64 v[37:38], s52, v[37:38]
	v_and_b32_e32 v158, s64, v37
	s_or_b32 exec_lo, exec_lo, s46
	s_and_saveexec_b32 s46, s30
	s_cbranch_execz .LBB1148_1110
.LBB1148_1176:                          ;   in Loop: Header=BB1148_988 Depth=2
	ds_read_b64 v[37:38], v106 offset:16896
	s_waitcnt lgkmcnt(0)
	v_cmp_ne_u64_e64 s39, s[56:57], v[37:38]
	v_cndmask_b32_e64 v38, 0x7fffffff, v38, s39
	v_cndmask_b32_e64 v37, -1, v37, s39
	v_lshrrev_b64 v[37:38], s52, v[37:38]
	v_and_b32_e32 v157, s64, v37
	s_or_b32 exec_lo, exec_lo, s46
	s_and_saveexec_b32 s46, s31
	s_cbranch_execz .LBB1148_1111
.LBB1148_1177:                          ;   in Loop: Header=BB1148_988 Depth=2
	ds_read_b64 v[37:38], v106 offset:18944
	s_waitcnt lgkmcnt(0)
	v_cmp_ne_u64_e64 s39, s[56:57], v[37:38]
	v_cndmask_b32_e64 v38, 0x7fffffff, v38, s39
	v_cndmask_b32_e64 v37, -1, v37, s39
	v_lshrrev_b64 v[37:38], s52, v[37:38]
	v_and_b32_e32 v155, s64, v37
	s_or_b32 exec_lo, exec_lo, s46
	s_and_saveexec_b32 s46, s33
	s_cbranch_execz .LBB1148_1112
.LBB1148_1178:                          ;   in Loop: Header=BB1148_988 Depth=2
	ds_read_b64 v[37:38], v106 offset:20992
	s_waitcnt lgkmcnt(0)
	v_cmp_ne_u64_e64 s39, s[56:57], v[37:38]
	v_cndmask_b32_e64 v38, 0x7fffffff, v38, s39
	v_cndmask_b32_e64 v37, -1, v37, s39
	v_lshrrev_b64 v[37:38], s52, v[37:38]
	v_and_b32_e32 v154, s64, v37
	s_or_b32 exec_lo, exec_lo, s46
	s_and_saveexec_b32 s46, s34
	s_cbranch_execz .LBB1148_1113
.LBB1148_1179:                          ;   in Loop: Header=BB1148_988 Depth=2
	ds_read_b64 v[37:38], v106 offset:23040
	s_waitcnt lgkmcnt(0)
	v_cmp_ne_u64_e64 s39, s[56:57], v[37:38]
	v_cndmask_b32_e64 v38, 0x7fffffff, v38, s39
	v_cndmask_b32_e64 v37, -1, v37, s39
	v_lshrrev_b64 v[37:38], s52, v[37:38]
	v_and_b32_e32 v153, s64, v37
	s_or_b32 exec_lo, exec_lo, s46
	s_and_saveexec_b32 s46, s35
	s_cbranch_execz .LBB1148_1114
.LBB1148_1180:                          ;   in Loop: Header=BB1148_988 Depth=2
	ds_read_b64 v[37:38], v106 offset:25088
	s_waitcnt lgkmcnt(0)
	v_cmp_ne_u64_e64 s39, s[56:57], v[37:38]
	v_cndmask_b32_e64 v38, 0x7fffffff, v38, s39
	v_cndmask_b32_e64 v37, -1, v37, s39
	v_lshrrev_b64 v[37:38], s52, v[37:38]
	v_and_b32_e32 v152, s64, v37
	s_or_b32 exec_lo, exec_lo, s46
	s_and_saveexec_b32 s46, s36
	s_cbranch_execz .LBB1148_1115
.LBB1148_1181:                          ;   in Loop: Header=BB1148_988 Depth=2
	ds_read_b64 v[37:38], v106 offset:27136
	s_waitcnt lgkmcnt(0)
	v_cmp_ne_u64_e64 s39, s[56:57], v[37:38]
	v_cndmask_b32_e64 v38, 0x7fffffff, v38, s39
	v_cndmask_b32_e64 v37, -1, v37, s39
	v_lshrrev_b64 v[37:38], s52, v[37:38]
	v_and_b32_e32 v151, s64, v37
	s_or_b32 exec_lo, exec_lo, s46
	s_and_saveexec_b32 s46, s37
	s_cbranch_execz .LBB1148_1116
.LBB1148_1182:                          ;   in Loop: Header=BB1148_988 Depth=2
	ds_read_b64 v[37:38], v106 offset:29184
	s_waitcnt lgkmcnt(0)
	v_cmp_ne_u64_e64 s39, s[56:57], v[37:38]
	v_cndmask_b32_e64 v38, 0x7fffffff, v38, s39
	v_cndmask_b32_e64 v37, -1, v37, s39
	v_lshrrev_b64 v[37:38], s52, v[37:38]
	v_and_b32_e32 v150, s64, v37
	s_or_b32 exec_lo, exec_lo, s46
	s_and_saveexec_b32 s46, s38
	s_cbranch_execnz .LBB1148_1117
	s_branch .LBB1148_1118
.LBB1148_1183:                          ;   in Loop: Header=BB1148_988 Depth=2
	v_lshlrev_b32_e32 v3, 2, v165
	ds_read_b32 v3, v3
	ds_read_b64 v[37:38], v106 offset:512
	s_waitcnt lgkmcnt(1)
	v_add_nc_u32_e32 v3, v3, v0
	v_lshlrev_b64 v[39:40], 3, v[3:4]
	v_add_co_u32 v39, vcc_lo, s50, v39
	v_add_co_ci_u32_e64 v40, null, s51, v40, vcc_lo
	s_waitcnt lgkmcnt(0)
	global_store_dwordx2 v[39:40], v[37:38], off
	s_or_b32 exec_lo, exec_lo, s39
	s_and_saveexec_b32 s39, s23
	s_cbranch_execz .LBB1148_1120
.LBB1148_1184:                          ;   in Loop: Header=BB1148_988 Depth=2
	v_lshlrev_b32_e32 v3, 2, v164
	ds_read_b32 v3, v3
	ds_read_b64 v[37:38], v106 offset:2560
	s_waitcnt lgkmcnt(1)
	v_add_nc_u32_e32 v3, v3, v74
	v_lshlrev_b64 v[39:40], 3, v[3:4]
	v_add_co_u32 v39, vcc_lo, s50, v39
	v_add_co_ci_u32_e64 v40, null, s51, v40, vcc_lo
	s_waitcnt lgkmcnt(0)
	global_store_dwordx2 v[39:40], v[37:38], off
	s_or_b32 exec_lo, exec_lo, s39
	s_and_saveexec_b32 s23, s24
	s_cbranch_execz .LBB1148_1121
.LBB1148_1185:                          ;   in Loop: Header=BB1148_988 Depth=2
	v_lshlrev_b32_e32 v3, 2, v163
	ds_read_b32 v3, v3
	ds_read_b64 v[37:38], v106 offset:4608
	s_waitcnt lgkmcnt(1)
	v_add_nc_u32_e32 v3, v3, v77
	v_lshlrev_b64 v[39:40], 3, v[3:4]
	v_add_co_u32 v39, vcc_lo, s50, v39
	v_add_co_ci_u32_e64 v40, null, s51, v40, vcc_lo
	s_waitcnt lgkmcnt(0)
	global_store_dwordx2 v[39:40], v[37:38], off
	s_or_b32 exec_lo, exec_lo, s23
	s_and_saveexec_b32 s23, s25
	s_cbranch_execz .LBB1148_1122
.LBB1148_1186:                          ;   in Loop: Header=BB1148_988 Depth=2
	v_lshlrev_b32_e32 v3, 2, v162
	ds_read_b32 v3, v3
	ds_read_b64 v[37:38], v106 offset:6656
	s_waitcnt lgkmcnt(1)
	v_add_nc_u32_e32 v3, v3, v78
	v_lshlrev_b64 v[39:40], 3, v[3:4]
	v_add_co_u32 v39, vcc_lo, s50, v39
	v_add_co_ci_u32_e64 v40, null, s51, v40, vcc_lo
	s_waitcnt lgkmcnt(0)
	global_store_dwordx2 v[39:40], v[37:38], off
	s_or_b32 exec_lo, exec_lo, s23
	s_and_saveexec_b32 s23, s26
	s_cbranch_execz .LBB1148_1123
.LBB1148_1187:                          ;   in Loop: Header=BB1148_988 Depth=2
	v_lshlrev_b32_e32 v3, 2, v161
	ds_read_b32 v3, v3
	ds_read_b64 v[37:38], v106 offset:8704
	s_waitcnt lgkmcnt(1)
	v_add_nc_u32_e32 v3, v3, v79
	v_lshlrev_b64 v[39:40], 3, v[3:4]
	v_add_co_u32 v39, vcc_lo, s50, v39
	v_add_co_ci_u32_e64 v40, null, s51, v40, vcc_lo
	s_waitcnt lgkmcnt(0)
	global_store_dwordx2 v[39:40], v[37:38], off
	s_or_b32 exec_lo, exec_lo, s23
	s_and_saveexec_b32 s23, s27
	s_cbranch_execz .LBB1148_1124
.LBB1148_1188:                          ;   in Loop: Header=BB1148_988 Depth=2
	v_lshlrev_b32_e32 v3, 2, v160
	ds_read_b32 v3, v3
	ds_read_b64 v[37:38], v106 offset:10752
	s_waitcnt lgkmcnt(1)
	v_add_nc_u32_e32 v3, v3, v80
	v_lshlrev_b64 v[39:40], 3, v[3:4]
	v_add_co_u32 v39, vcc_lo, s50, v39
	v_add_co_ci_u32_e64 v40, null, s51, v40, vcc_lo
	s_waitcnt lgkmcnt(0)
	global_store_dwordx2 v[39:40], v[37:38], off
	s_or_b32 exec_lo, exec_lo, s23
	s_and_saveexec_b32 s23, s28
	s_cbranch_execz .LBB1148_1125
.LBB1148_1189:                          ;   in Loop: Header=BB1148_988 Depth=2
	v_lshlrev_b32_e32 v3, 2, v159
	ds_read_b32 v3, v3
	ds_read_b64 v[37:38], v106 offset:12800
	s_waitcnt lgkmcnt(1)
	v_add_nc_u32_e32 v3, v3, v81
	v_lshlrev_b64 v[39:40], 3, v[3:4]
	v_add_co_u32 v39, vcc_lo, s50, v39
	v_add_co_ci_u32_e64 v40, null, s51, v40, vcc_lo
	s_waitcnt lgkmcnt(0)
	global_store_dwordx2 v[39:40], v[37:38], off
	s_or_b32 exec_lo, exec_lo, s23
	s_and_saveexec_b32 s23, s29
	s_cbranch_execz .LBB1148_1126
.LBB1148_1190:                          ;   in Loop: Header=BB1148_988 Depth=2
	v_lshlrev_b32_e32 v3, 2, v158
	ds_read_b32 v3, v3
	ds_read_b64 v[37:38], v106 offset:14848
	s_waitcnt lgkmcnt(1)
	v_add_nc_u32_e32 v3, v3, v82
	v_lshlrev_b64 v[39:40], 3, v[3:4]
	v_add_co_u32 v39, vcc_lo, s50, v39
	v_add_co_ci_u32_e64 v40, null, s51, v40, vcc_lo
	s_waitcnt lgkmcnt(0)
	global_store_dwordx2 v[39:40], v[37:38], off
	s_or_b32 exec_lo, exec_lo, s23
	s_and_saveexec_b32 s23, s30
	s_cbranch_execz .LBB1148_1127
.LBB1148_1191:                          ;   in Loop: Header=BB1148_988 Depth=2
	v_lshlrev_b32_e32 v3, 2, v157
	ds_read_b32 v3, v3
	ds_read_b64 v[37:38], v106 offset:16896
	s_waitcnt lgkmcnt(1)
	v_add_nc_u32_e32 v3, v3, v83
	v_lshlrev_b64 v[39:40], 3, v[3:4]
	v_add_co_u32 v39, vcc_lo, s50, v39
	v_add_co_ci_u32_e64 v40, null, s51, v40, vcc_lo
	s_waitcnt lgkmcnt(0)
	global_store_dwordx2 v[39:40], v[37:38], off
	s_or_b32 exec_lo, exec_lo, s23
	s_and_saveexec_b32 s23, s31
	s_cbranch_execz .LBB1148_1128
.LBB1148_1192:                          ;   in Loop: Header=BB1148_988 Depth=2
	v_lshlrev_b32_e32 v3, 2, v155
	ds_read_b32 v3, v3
	ds_read_b64 v[37:38], v106 offset:18944
	s_waitcnt lgkmcnt(1)
	v_add_nc_u32_e32 v3, v3, v84
	v_lshlrev_b64 v[39:40], 3, v[3:4]
	v_add_co_u32 v39, vcc_lo, s50, v39
	v_add_co_ci_u32_e64 v40, null, s51, v40, vcc_lo
	s_waitcnt lgkmcnt(0)
	global_store_dwordx2 v[39:40], v[37:38], off
	s_or_b32 exec_lo, exec_lo, s23
	s_and_saveexec_b32 s23, s33
	s_cbranch_execz .LBB1148_1129
.LBB1148_1193:                          ;   in Loop: Header=BB1148_988 Depth=2
	v_lshlrev_b32_e32 v3, 2, v154
	ds_read_b32 v3, v3
	ds_read_b64 v[37:38], v106 offset:20992
	s_waitcnt lgkmcnt(1)
	v_add_nc_u32_e32 v3, v3, v85
	v_lshlrev_b64 v[39:40], 3, v[3:4]
	v_add_co_u32 v39, vcc_lo, s50, v39
	v_add_co_ci_u32_e64 v40, null, s51, v40, vcc_lo
	s_waitcnt lgkmcnt(0)
	global_store_dwordx2 v[39:40], v[37:38], off
	s_or_b32 exec_lo, exec_lo, s23
	s_and_saveexec_b32 s23, s34
	s_cbranch_execz .LBB1148_1130
.LBB1148_1194:                          ;   in Loop: Header=BB1148_988 Depth=2
	v_lshlrev_b32_e32 v3, 2, v153
	ds_read_b32 v3, v3
	ds_read_b64 v[37:38], v106 offset:23040
	s_waitcnt lgkmcnt(1)
	v_add_nc_u32_e32 v3, v3, v86
	v_lshlrev_b64 v[39:40], 3, v[3:4]
	v_add_co_u32 v39, vcc_lo, s50, v39
	v_add_co_ci_u32_e64 v40, null, s51, v40, vcc_lo
	s_waitcnt lgkmcnt(0)
	global_store_dwordx2 v[39:40], v[37:38], off
	s_or_b32 exec_lo, exec_lo, s23
	s_and_saveexec_b32 s23, s35
	s_cbranch_execz .LBB1148_1131
.LBB1148_1195:                          ;   in Loop: Header=BB1148_988 Depth=2
	v_lshlrev_b32_e32 v3, 2, v152
	ds_read_b32 v3, v3
	ds_read_b64 v[37:38], v106 offset:25088
	s_waitcnt lgkmcnt(1)
	v_add_nc_u32_e32 v3, v3, v87
	v_lshlrev_b64 v[39:40], 3, v[3:4]
	v_add_co_u32 v39, vcc_lo, s50, v39
	v_add_co_ci_u32_e64 v40, null, s51, v40, vcc_lo
	s_waitcnt lgkmcnt(0)
	global_store_dwordx2 v[39:40], v[37:38], off
	s_or_b32 exec_lo, exec_lo, s23
	s_and_saveexec_b32 s23, s36
	s_cbranch_execz .LBB1148_1132
.LBB1148_1196:                          ;   in Loop: Header=BB1148_988 Depth=2
	v_lshlrev_b32_e32 v3, 2, v151
	ds_read_b32 v3, v3
	ds_read_b64 v[37:38], v106 offset:27136
	s_waitcnt lgkmcnt(1)
	v_add_nc_u32_e32 v3, v3, v88
	v_lshlrev_b64 v[39:40], 3, v[3:4]
	v_add_co_u32 v39, vcc_lo, s50, v39
	v_add_co_ci_u32_e64 v40, null, s51, v40, vcc_lo
	s_waitcnt lgkmcnt(0)
	global_store_dwordx2 v[39:40], v[37:38], off
	s_or_b32 exec_lo, exec_lo, s23
	s_and_saveexec_b32 s23, s37
	s_cbranch_execz .LBB1148_1133
.LBB1148_1197:                          ;   in Loop: Header=BB1148_988 Depth=2
	v_lshlrev_b32_e32 v3, 2, v150
	ds_read_b32 v3, v3
	ds_read_b64 v[37:38], v106 offset:29184
	s_waitcnt lgkmcnt(1)
	v_add_nc_u32_e32 v3, v3, v89
	v_lshlrev_b64 v[39:40], 3, v[3:4]
	v_add_co_u32 v39, vcc_lo, s50, v39
	v_add_co_ci_u32_e64 v40, null, s51, v40, vcc_lo
	s_waitcnt lgkmcnt(0)
	global_store_dwordx2 v[39:40], v[37:38], off
	s_or_b32 exec_lo, exec_lo, s23
	s_and_saveexec_b32 s23, s38
	s_cbranch_execnz .LBB1148_1134
	s_branch .LBB1148_1135
.LBB1148_1198:
	s_endpgm
	.section	.rodata,"a",@progbits
	.p2align	6, 0x0
	.amdhsa_kernel _ZN7rocprim17ROCPRIM_400000_NS6detail17trampoline_kernelINS0_14default_configENS1_36segmented_radix_sort_config_selectorIdlEEZNS1_25segmented_radix_sort_implIS3_Lb1EPKdPdPKlPlN2at6native12_GLOBAL__N_18offset_tEEE10hipError_tPvRmT1_PNSt15iterator_traitsISK_E10value_typeET2_T3_PNSL_ISQ_E10value_typeET4_jRbjT5_SW_jjP12ihipStream_tbEUlT_E2_NS1_11comp_targetILNS1_3genE8ELNS1_11target_archE1030ELNS1_3gpuE2ELNS1_3repE0EEENS1_30default_config_static_selectorELNS0_4arch9wavefront6targetE0EEEvSK_
		.amdhsa_group_segment_fixed_size 33296
		.amdhsa_private_segment_fixed_size 176
		.amdhsa_kernarg_size 336
		.amdhsa_user_sgpr_count 6
		.amdhsa_user_sgpr_private_segment_buffer 1
		.amdhsa_user_sgpr_dispatch_ptr 0
		.amdhsa_user_sgpr_queue_ptr 0
		.amdhsa_user_sgpr_kernarg_segment_ptr 1
		.amdhsa_user_sgpr_dispatch_id 0
		.amdhsa_user_sgpr_flat_scratch_init 0
		.amdhsa_user_sgpr_private_segment_size 0
		.amdhsa_wavefront_size32 1
		.amdhsa_uses_dynamic_stack 0
		.amdhsa_system_sgpr_private_segment_wavefront_offset 1
		.amdhsa_system_sgpr_workgroup_id_x 1
		.amdhsa_system_sgpr_workgroup_id_y 1
		.amdhsa_system_sgpr_workgroup_id_z 0
		.amdhsa_system_sgpr_workgroup_info 0
		.amdhsa_system_vgpr_workitem_id 2
		.amdhsa_next_free_vgpr 248
		.amdhsa_next_free_sgpr 68
		.amdhsa_reserve_vcc 1
		.amdhsa_reserve_flat_scratch 0
		.amdhsa_float_round_mode_32 0
		.amdhsa_float_round_mode_16_64 0
		.amdhsa_float_denorm_mode_32 3
		.amdhsa_float_denorm_mode_16_64 3
		.amdhsa_dx10_clamp 1
		.amdhsa_ieee_mode 1
		.amdhsa_fp16_overflow 0
		.amdhsa_workgroup_processor_mode 1
		.amdhsa_memory_ordered 1
		.amdhsa_forward_progress 1
		.amdhsa_shared_vgpr_count 0
		.amdhsa_exception_fp_ieee_invalid_op 0
		.amdhsa_exception_fp_denorm_src 0
		.amdhsa_exception_fp_ieee_div_zero 0
		.amdhsa_exception_fp_ieee_overflow 0
		.amdhsa_exception_fp_ieee_underflow 0
		.amdhsa_exception_fp_ieee_inexact 0
		.amdhsa_exception_int_div_zero 0
	.end_amdhsa_kernel
	.section	.text._ZN7rocprim17ROCPRIM_400000_NS6detail17trampoline_kernelINS0_14default_configENS1_36segmented_radix_sort_config_selectorIdlEEZNS1_25segmented_radix_sort_implIS3_Lb1EPKdPdPKlPlN2at6native12_GLOBAL__N_18offset_tEEE10hipError_tPvRmT1_PNSt15iterator_traitsISK_E10value_typeET2_T3_PNSL_ISQ_E10value_typeET4_jRbjT5_SW_jjP12ihipStream_tbEUlT_E2_NS1_11comp_targetILNS1_3genE8ELNS1_11target_archE1030ELNS1_3gpuE2ELNS1_3repE0EEENS1_30default_config_static_selectorELNS0_4arch9wavefront6targetE0EEEvSK_,"axG",@progbits,_ZN7rocprim17ROCPRIM_400000_NS6detail17trampoline_kernelINS0_14default_configENS1_36segmented_radix_sort_config_selectorIdlEEZNS1_25segmented_radix_sort_implIS3_Lb1EPKdPdPKlPlN2at6native12_GLOBAL__N_18offset_tEEE10hipError_tPvRmT1_PNSt15iterator_traitsISK_E10value_typeET2_T3_PNSL_ISQ_E10value_typeET4_jRbjT5_SW_jjP12ihipStream_tbEUlT_E2_NS1_11comp_targetILNS1_3genE8ELNS1_11target_archE1030ELNS1_3gpuE2ELNS1_3repE0EEENS1_30default_config_static_selectorELNS0_4arch9wavefront6targetE0EEEvSK_,comdat
.Lfunc_end1148:
	.size	_ZN7rocprim17ROCPRIM_400000_NS6detail17trampoline_kernelINS0_14default_configENS1_36segmented_radix_sort_config_selectorIdlEEZNS1_25segmented_radix_sort_implIS3_Lb1EPKdPdPKlPlN2at6native12_GLOBAL__N_18offset_tEEE10hipError_tPvRmT1_PNSt15iterator_traitsISK_E10value_typeET2_T3_PNSL_ISQ_E10value_typeET4_jRbjT5_SW_jjP12ihipStream_tbEUlT_E2_NS1_11comp_targetILNS1_3genE8ELNS1_11target_archE1030ELNS1_3gpuE2ELNS1_3repE0EEENS1_30default_config_static_selectorELNS0_4arch9wavefront6targetE0EEEvSK_, .Lfunc_end1148-_ZN7rocprim17ROCPRIM_400000_NS6detail17trampoline_kernelINS0_14default_configENS1_36segmented_radix_sort_config_selectorIdlEEZNS1_25segmented_radix_sort_implIS3_Lb1EPKdPdPKlPlN2at6native12_GLOBAL__N_18offset_tEEE10hipError_tPvRmT1_PNSt15iterator_traitsISK_E10value_typeET2_T3_PNSL_ISQ_E10value_typeET4_jRbjT5_SW_jjP12ihipStream_tbEUlT_E2_NS1_11comp_targetILNS1_3genE8ELNS1_11target_archE1030ELNS1_3gpuE2ELNS1_3repE0EEENS1_30default_config_static_selectorELNS0_4arch9wavefront6targetE0EEEvSK_
                                        ; -- End function
	.set _ZN7rocprim17ROCPRIM_400000_NS6detail17trampoline_kernelINS0_14default_configENS1_36segmented_radix_sort_config_selectorIdlEEZNS1_25segmented_radix_sort_implIS3_Lb1EPKdPdPKlPlN2at6native12_GLOBAL__N_18offset_tEEE10hipError_tPvRmT1_PNSt15iterator_traitsISK_E10value_typeET2_T3_PNSL_ISQ_E10value_typeET4_jRbjT5_SW_jjP12ihipStream_tbEUlT_E2_NS1_11comp_targetILNS1_3genE8ELNS1_11target_archE1030ELNS1_3gpuE2ELNS1_3repE0EEENS1_30default_config_static_selectorELNS0_4arch9wavefront6targetE0EEEvSK_.num_vgpr, max(218, .L_ZN7rocprim17ROCPRIM_400000_NS6detail26segmented_warp_sort_helperINS1_20WarpSortHelperConfigILj8ELj8ELj256EEEdlLi256ELb1EvE4sortIPKdPdPKlPlEEvT_T0_T1_T2_jjjjRNS5_12storage_typeE.num_vgpr, .L_ZN7rocprim17ROCPRIM_400000_NS6detail40segmented_radix_sort_single_block_helperIdlLj256ELj16ELb1EE4sortIPKdPdPKlPlEEbT_T0_T1_T2_jjjjRNS3_12storage_typeE.num_vgpr)
	.set _ZN7rocprim17ROCPRIM_400000_NS6detail17trampoline_kernelINS0_14default_configENS1_36segmented_radix_sort_config_selectorIdlEEZNS1_25segmented_radix_sort_implIS3_Lb1EPKdPdPKlPlN2at6native12_GLOBAL__N_18offset_tEEE10hipError_tPvRmT1_PNSt15iterator_traitsISK_E10value_typeET2_T3_PNSL_ISQ_E10value_typeET4_jRbjT5_SW_jjP12ihipStream_tbEUlT_E2_NS1_11comp_targetILNS1_3genE8ELNS1_11target_archE1030ELNS1_3gpuE2ELNS1_3repE0EEENS1_30default_config_static_selectorELNS0_4arch9wavefront6targetE0EEEvSK_.num_agpr, max(0, .L_ZN7rocprim17ROCPRIM_400000_NS6detail26segmented_warp_sort_helperINS1_20WarpSortHelperConfigILj8ELj8ELj256EEEdlLi256ELb1EvE4sortIPKdPdPKlPlEEvT_T0_T1_T2_jjjjRNS5_12storage_typeE.num_agpr, .L_ZN7rocprim17ROCPRIM_400000_NS6detail40segmented_radix_sort_single_block_helperIdlLj256ELj16ELb1EE4sortIPKdPdPKlPlEEbT_T0_T1_T2_jjjjRNS3_12storage_typeE.num_agpr)
	.set _ZN7rocprim17ROCPRIM_400000_NS6detail17trampoline_kernelINS0_14default_configENS1_36segmented_radix_sort_config_selectorIdlEEZNS1_25segmented_radix_sort_implIS3_Lb1EPKdPdPKlPlN2at6native12_GLOBAL__N_18offset_tEEE10hipError_tPvRmT1_PNSt15iterator_traitsISK_E10value_typeET2_T3_PNSL_ISQ_E10value_typeET4_jRbjT5_SW_jjP12ihipStream_tbEUlT_E2_NS1_11comp_targetILNS1_3genE8ELNS1_11target_archE1030ELNS1_3gpuE2ELNS1_3repE0EEENS1_30default_config_static_selectorELNS0_4arch9wavefront6targetE0EEEvSK_.numbered_sgpr, max(68, .L_ZN7rocprim17ROCPRIM_400000_NS6detail26segmented_warp_sort_helperINS1_20WarpSortHelperConfigILj8ELj8ELj256EEEdlLi256ELb1EvE4sortIPKdPdPKlPlEEvT_T0_T1_T2_jjjjRNS5_12storage_typeE.numbered_sgpr, .L_ZN7rocprim17ROCPRIM_400000_NS6detail40segmented_radix_sort_single_block_helperIdlLj256ELj16ELb1EE4sortIPKdPdPKlPlEEbT_T0_T1_T2_jjjjRNS3_12storage_typeE.numbered_sgpr)
	.set _ZN7rocprim17ROCPRIM_400000_NS6detail17trampoline_kernelINS0_14default_configENS1_36segmented_radix_sort_config_selectorIdlEEZNS1_25segmented_radix_sort_implIS3_Lb1EPKdPdPKlPlN2at6native12_GLOBAL__N_18offset_tEEE10hipError_tPvRmT1_PNSt15iterator_traitsISK_E10value_typeET2_T3_PNSL_ISQ_E10value_typeET4_jRbjT5_SW_jjP12ihipStream_tbEUlT_E2_NS1_11comp_targetILNS1_3genE8ELNS1_11target_archE1030ELNS1_3gpuE2ELNS1_3repE0EEENS1_30default_config_static_selectorELNS0_4arch9wavefront6targetE0EEEvSK_.num_named_barrier, max(0, .L_ZN7rocprim17ROCPRIM_400000_NS6detail26segmented_warp_sort_helperINS1_20WarpSortHelperConfigILj8ELj8ELj256EEEdlLi256ELb1EvE4sortIPKdPdPKlPlEEvT_T0_T1_T2_jjjjRNS5_12storage_typeE.num_named_barrier, .L_ZN7rocprim17ROCPRIM_400000_NS6detail40segmented_radix_sort_single_block_helperIdlLj256ELj16ELb1EE4sortIPKdPdPKlPlEEbT_T0_T1_T2_jjjjRNS3_12storage_typeE.num_named_barrier)
	.set _ZN7rocprim17ROCPRIM_400000_NS6detail17trampoline_kernelINS0_14default_configENS1_36segmented_radix_sort_config_selectorIdlEEZNS1_25segmented_radix_sort_implIS3_Lb1EPKdPdPKlPlN2at6native12_GLOBAL__N_18offset_tEEE10hipError_tPvRmT1_PNSt15iterator_traitsISK_E10value_typeET2_T3_PNSL_ISQ_E10value_typeET4_jRbjT5_SW_jjP12ihipStream_tbEUlT_E2_NS1_11comp_targetILNS1_3genE8ELNS1_11target_archE1030ELNS1_3gpuE2ELNS1_3repE0EEENS1_30default_config_static_selectorELNS0_4arch9wavefront6targetE0EEEvSK_.private_seg_size, 0+max(.L_ZN7rocprim17ROCPRIM_400000_NS6detail26segmented_warp_sort_helperINS1_20WarpSortHelperConfigILj8ELj8ELj256EEEdlLi256ELb1EvE4sortIPKdPdPKlPlEEvT_T0_T1_T2_jjjjRNS5_12storage_typeE.private_seg_size, .L_ZN7rocprim17ROCPRIM_400000_NS6detail40segmented_radix_sort_single_block_helperIdlLj256ELj16ELb1EE4sortIPKdPdPKlPlEEbT_T0_T1_T2_jjjjRNS3_12storage_typeE.private_seg_size)
	.set _ZN7rocprim17ROCPRIM_400000_NS6detail17trampoline_kernelINS0_14default_configENS1_36segmented_radix_sort_config_selectorIdlEEZNS1_25segmented_radix_sort_implIS3_Lb1EPKdPdPKlPlN2at6native12_GLOBAL__N_18offset_tEEE10hipError_tPvRmT1_PNSt15iterator_traitsISK_E10value_typeET2_T3_PNSL_ISQ_E10value_typeET4_jRbjT5_SW_jjP12ihipStream_tbEUlT_E2_NS1_11comp_targetILNS1_3genE8ELNS1_11target_archE1030ELNS1_3gpuE2ELNS1_3repE0EEENS1_30default_config_static_selectorELNS0_4arch9wavefront6targetE0EEEvSK_.uses_vcc, or(1, .L_ZN7rocprim17ROCPRIM_400000_NS6detail26segmented_warp_sort_helperINS1_20WarpSortHelperConfigILj8ELj8ELj256EEEdlLi256ELb1EvE4sortIPKdPdPKlPlEEvT_T0_T1_T2_jjjjRNS5_12storage_typeE.uses_vcc, .L_ZN7rocprim17ROCPRIM_400000_NS6detail40segmented_radix_sort_single_block_helperIdlLj256ELj16ELb1EE4sortIPKdPdPKlPlEEbT_T0_T1_T2_jjjjRNS3_12storage_typeE.uses_vcc)
	.set _ZN7rocprim17ROCPRIM_400000_NS6detail17trampoline_kernelINS0_14default_configENS1_36segmented_radix_sort_config_selectorIdlEEZNS1_25segmented_radix_sort_implIS3_Lb1EPKdPdPKlPlN2at6native12_GLOBAL__N_18offset_tEEE10hipError_tPvRmT1_PNSt15iterator_traitsISK_E10value_typeET2_T3_PNSL_ISQ_E10value_typeET4_jRbjT5_SW_jjP12ihipStream_tbEUlT_E2_NS1_11comp_targetILNS1_3genE8ELNS1_11target_archE1030ELNS1_3gpuE2ELNS1_3repE0EEENS1_30default_config_static_selectorELNS0_4arch9wavefront6targetE0EEEvSK_.uses_flat_scratch, or(0, .L_ZN7rocprim17ROCPRIM_400000_NS6detail26segmented_warp_sort_helperINS1_20WarpSortHelperConfigILj8ELj8ELj256EEEdlLi256ELb1EvE4sortIPKdPdPKlPlEEvT_T0_T1_T2_jjjjRNS5_12storage_typeE.uses_flat_scratch, .L_ZN7rocprim17ROCPRIM_400000_NS6detail40segmented_radix_sort_single_block_helperIdlLj256ELj16ELb1EE4sortIPKdPdPKlPlEEbT_T0_T1_T2_jjjjRNS3_12storage_typeE.uses_flat_scratch)
	.set _ZN7rocprim17ROCPRIM_400000_NS6detail17trampoline_kernelINS0_14default_configENS1_36segmented_radix_sort_config_selectorIdlEEZNS1_25segmented_radix_sort_implIS3_Lb1EPKdPdPKlPlN2at6native12_GLOBAL__N_18offset_tEEE10hipError_tPvRmT1_PNSt15iterator_traitsISK_E10value_typeET2_T3_PNSL_ISQ_E10value_typeET4_jRbjT5_SW_jjP12ihipStream_tbEUlT_E2_NS1_11comp_targetILNS1_3genE8ELNS1_11target_archE1030ELNS1_3gpuE2ELNS1_3repE0EEENS1_30default_config_static_selectorELNS0_4arch9wavefront6targetE0EEEvSK_.has_dyn_sized_stack, or(0, .L_ZN7rocprim17ROCPRIM_400000_NS6detail26segmented_warp_sort_helperINS1_20WarpSortHelperConfigILj8ELj8ELj256EEEdlLi256ELb1EvE4sortIPKdPdPKlPlEEvT_T0_T1_T2_jjjjRNS5_12storage_typeE.has_dyn_sized_stack, .L_ZN7rocprim17ROCPRIM_400000_NS6detail40segmented_radix_sort_single_block_helperIdlLj256ELj16ELb1EE4sortIPKdPdPKlPlEEbT_T0_T1_T2_jjjjRNS3_12storage_typeE.has_dyn_sized_stack)
	.set _ZN7rocprim17ROCPRIM_400000_NS6detail17trampoline_kernelINS0_14default_configENS1_36segmented_radix_sort_config_selectorIdlEEZNS1_25segmented_radix_sort_implIS3_Lb1EPKdPdPKlPlN2at6native12_GLOBAL__N_18offset_tEEE10hipError_tPvRmT1_PNSt15iterator_traitsISK_E10value_typeET2_T3_PNSL_ISQ_E10value_typeET4_jRbjT5_SW_jjP12ihipStream_tbEUlT_E2_NS1_11comp_targetILNS1_3genE8ELNS1_11target_archE1030ELNS1_3gpuE2ELNS1_3repE0EEENS1_30default_config_static_selectorELNS0_4arch9wavefront6targetE0EEEvSK_.has_recursion, or(0, .L_ZN7rocprim17ROCPRIM_400000_NS6detail26segmented_warp_sort_helperINS1_20WarpSortHelperConfigILj8ELj8ELj256EEEdlLi256ELb1EvE4sortIPKdPdPKlPlEEvT_T0_T1_T2_jjjjRNS5_12storage_typeE.has_recursion, .L_ZN7rocprim17ROCPRIM_400000_NS6detail40segmented_radix_sort_single_block_helperIdlLj256ELj16ELb1EE4sortIPKdPdPKlPlEEbT_T0_T1_T2_jjjjRNS3_12storage_typeE.has_recursion)
	.set _ZN7rocprim17ROCPRIM_400000_NS6detail17trampoline_kernelINS0_14default_configENS1_36segmented_radix_sort_config_selectorIdlEEZNS1_25segmented_radix_sort_implIS3_Lb1EPKdPdPKlPlN2at6native12_GLOBAL__N_18offset_tEEE10hipError_tPvRmT1_PNSt15iterator_traitsISK_E10value_typeET2_T3_PNSL_ISQ_E10value_typeET4_jRbjT5_SW_jjP12ihipStream_tbEUlT_E2_NS1_11comp_targetILNS1_3genE8ELNS1_11target_archE1030ELNS1_3gpuE2ELNS1_3repE0EEENS1_30default_config_static_selectorELNS0_4arch9wavefront6targetE0EEEvSK_.has_indirect_call, or(0, .L_ZN7rocprim17ROCPRIM_400000_NS6detail26segmented_warp_sort_helperINS1_20WarpSortHelperConfigILj8ELj8ELj256EEEdlLi256ELb1EvE4sortIPKdPdPKlPlEEvT_T0_T1_T2_jjjjRNS5_12storage_typeE.has_indirect_call, .L_ZN7rocprim17ROCPRIM_400000_NS6detail40segmented_radix_sort_single_block_helperIdlLj256ELj16ELb1EE4sortIPKdPdPKlPlEEbT_T0_T1_T2_jjjjRNS3_12storage_typeE.has_indirect_call)
	.section	.AMDGPU.csdata,"",@progbits
; Kernel info:
; codeLenInByte = 74160
; TotalNumSgprs: 70
; NumVgprs: 248
; ScratchSize: 176
; MemoryBound: 0
; FloatMode: 240
; IeeeMode: 1
; LDSByteSize: 33296 bytes/workgroup (compile time only)
; SGPRBlocks: 0
; VGPRBlocks: 30
; NumSGPRsForWavesPerEU: 70
; NumVGPRsForWavesPerEU: 248
; Occupancy: 4
; WaveLimiterHint : 1
; COMPUTE_PGM_RSRC2:SCRATCH_EN: 1
; COMPUTE_PGM_RSRC2:USER_SGPR: 6
; COMPUTE_PGM_RSRC2:TRAP_HANDLER: 0
; COMPUTE_PGM_RSRC2:TGID_X_EN: 1
; COMPUTE_PGM_RSRC2:TGID_Y_EN: 1
; COMPUTE_PGM_RSRC2:TGID_Z_EN: 0
; COMPUTE_PGM_RSRC2:TIDIG_COMP_CNT: 2
	.section	.text._ZN7rocprim17ROCPRIM_400000_NS6detail17trampoline_kernelINS0_13select_configILj256ELj13ELNS0_17block_load_methodE3ELS4_3ELS4_3ELNS0_20block_scan_algorithmE0ELj4294967295EEENS1_25partition_config_selectorILNS1_17partition_subalgoE4EjNS0_10empty_typeEbEEZZNS1_14partition_implILS8_4ELb0ES6_15HIP_vector_typeIjLj2EENS0_17counting_iteratorIjlEEPS9_SG_NS0_5tupleIJPjSI_NS0_16reverse_iteratorISI_EEEEENSH_IJSG_SG_SG_EEES9_SI_JZNS1_25segmented_radix_sort_implINS0_14default_configELb0EPKdPdPKlPlN2at6native12_GLOBAL__N_18offset_tEEE10hipError_tPvRmT1_PNSt15iterator_traitsIS12_E10value_typeET2_T3_PNS13_IS18_E10value_typeET4_jRbjT5_S1E_jjP12ihipStream_tbEUljE_ZNSN_ISO_Lb0ESQ_SR_ST_SU_SY_EESZ_S10_S11_S12_S16_S17_S18_S1B_S1C_jS1D_jS1E_S1E_jjS1G_bEUljE0_EEESZ_S10_S11_S18_S1C_S1E_T6_T7_T9_mT8_S1G_bDpT10_ENKUlT_T0_E_clISt17integral_constantIbLb0EES1U_EEDaS1P_S1Q_EUlS1P_E_NS1_11comp_targetILNS1_3genE0ELNS1_11target_archE4294967295ELNS1_3gpuE0ELNS1_3repE0EEENS1_30default_config_static_selectorELNS0_4arch9wavefront6targetE0EEEvS12_,"axG",@progbits,_ZN7rocprim17ROCPRIM_400000_NS6detail17trampoline_kernelINS0_13select_configILj256ELj13ELNS0_17block_load_methodE3ELS4_3ELS4_3ELNS0_20block_scan_algorithmE0ELj4294967295EEENS1_25partition_config_selectorILNS1_17partition_subalgoE4EjNS0_10empty_typeEbEEZZNS1_14partition_implILS8_4ELb0ES6_15HIP_vector_typeIjLj2EENS0_17counting_iteratorIjlEEPS9_SG_NS0_5tupleIJPjSI_NS0_16reverse_iteratorISI_EEEEENSH_IJSG_SG_SG_EEES9_SI_JZNS1_25segmented_radix_sort_implINS0_14default_configELb0EPKdPdPKlPlN2at6native12_GLOBAL__N_18offset_tEEE10hipError_tPvRmT1_PNSt15iterator_traitsIS12_E10value_typeET2_T3_PNS13_IS18_E10value_typeET4_jRbjT5_S1E_jjP12ihipStream_tbEUljE_ZNSN_ISO_Lb0ESQ_SR_ST_SU_SY_EESZ_S10_S11_S12_S16_S17_S18_S1B_S1C_jS1D_jS1E_S1E_jjS1G_bEUljE0_EEESZ_S10_S11_S18_S1C_S1E_T6_T7_T9_mT8_S1G_bDpT10_ENKUlT_T0_E_clISt17integral_constantIbLb0EES1U_EEDaS1P_S1Q_EUlS1P_E_NS1_11comp_targetILNS1_3genE0ELNS1_11target_archE4294967295ELNS1_3gpuE0ELNS1_3repE0EEENS1_30default_config_static_selectorELNS0_4arch9wavefront6targetE0EEEvS12_,comdat
	.globl	_ZN7rocprim17ROCPRIM_400000_NS6detail17trampoline_kernelINS0_13select_configILj256ELj13ELNS0_17block_load_methodE3ELS4_3ELS4_3ELNS0_20block_scan_algorithmE0ELj4294967295EEENS1_25partition_config_selectorILNS1_17partition_subalgoE4EjNS0_10empty_typeEbEEZZNS1_14partition_implILS8_4ELb0ES6_15HIP_vector_typeIjLj2EENS0_17counting_iteratorIjlEEPS9_SG_NS0_5tupleIJPjSI_NS0_16reverse_iteratorISI_EEEEENSH_IJSG_SG_SG_EEES9_SI_JZNS1_25segmented_radix_sort_implINS0_14default_configELb0EPKdPdPKlPlN2at6native12_GLOBAL__N_18offset_tEEE10hipError_tPvRmT1_PNSt15iterator_traitsIS12_E10value_typeET2_T3_PNS13_IS18_E10value_typeET4_jRbjT5_S1E_jjP12ihipStream_tbEUljE_ZNSN_ISO_Lb0ESQ_SR_ST_SU_SY_EESZ_S10_S11_S12_S16_S17_S18_S1B_S1C_jS1D_jS1E_S1E_jjS1G_bEUljE0_EEESZ_S10_S11_S18_S1C_S1E_T6_T7_T9_mT8_S1G_bDpT10_ENKUlT_T0_E_clISt17integral_constantIbLb0EES1U_EEDaS1P_S1Q_EUlS1P_E_NS1_11comp_targetILNS1_3genE0ELNS1_11target_archE4294967295ELNS1_3gpuE0ELNS1_3repE0EEENS1_30default_config_static_selectorELNS0_4arch9wavefront6targetE0EEEvS12_ ; -- Begin function _ZN7rocprim17ROCPRIM_400000_NS6detail17trampoline_kernelINS0_13select_configILj256ELj13ELNS0_17block_load_methodE3ELS4_3ELS4_3ELNS0_20block_scan_algorithmE0ELj4294967295EEENS1_25partition_config_selectorILNS1_17partition_subalgoE4EjNS0_10empty_typeEbEEZZNS1_14partition_implILS8_4ELb0ES6_15HIP_vector_typeIjLj2EENS0_17counting_iteratorIjlEEPS9_SG_NS0_5tupleIJPjSI_NS0_16reverse_iteratorISI_EEEEENSH_IJSG_SG_SG_EEES9_SI_JZNS1_25segmented_radix_sort_implINS0_14default_configELb0EPKdPdPKlPlN2at6native12_GLOBAL__N_18offset_tEEE10hipError_tPvRmT1_PNSt15iterator_traitsIS12_E10value_typeET2_T3_PNS13_IS18_E10value_typeET4_jRbjT5_S1E_jjP12ihipStream_tbEUljE_ZNSN_ISO_Lb0ESQ_SR_ST_SU_SY_EESZ_S10_S11_S12_S16_S17_S18_S1B_S1C_jS1D_jS1E_S1E_jjS1G_bEUljE0_EEESZ_S10_S11_S18_S1C_S1E_T6_T7_T9_mT8_S1G_bDpT10_ENKUlT_T0_E_clISt17integral_constantIbLb0EES1U_EEDaS1P_S1Q_EUlS1P_E_NS1_11comp_targetILNS1_3genE0ELNS1_11target_archE4294967295ELNS1_3gpuE0ELNS1_3repE0EEENS1_30default_config_static_selectorELNS0_4arch9wavefront6targetE0EEEvS12_
	.p2align	8
	.type	_ZN7rocprim17ROCPRIM_400000_NS6detail17trampoline_kernelINS0_13select_configILj256ELj13ELNS0_17block_load_methodE3ELS4_3ELS4_3ELNS0_20block_scan_algorithmE0ELj4294967295EEENS1_25partition_config_selectorILNS1_17partition_subalgoE4EjNS0_10empty_typeEbEEZZNS1_14partition_implILS8_4ELb0ES6_15HIP_vector_typeIjLj2EENS0_17counting_iteratorIjlEEPS9_SG_NS0_5tupleIJPjSI_NS0_16reverse_iteratorISI_EEEEENSH_IJSG_SG_SG_EEES9_SI_JZNS1_25segmented_radix_sort_implINS0_14default_configELb0EPKdPdPKlPlN2at6native12_GLOBAL__N_18offset_tEEE10hipError_tPvRmT1_PNSt15iterator_traitsIS12_E10value_typeET2_T3_PNS13_IS18_E10value_typeET4_jRbjT5_S1E_jjP12ihipStream_tbEUljE_ZNSN_ISO_Lb0ESQ_SR_ST_SU_SY_EESZ_S10_S11_S12_S16_S17_S18_S1B_S1C_jS1D_jS1E_S1E_jjS1G_bEUljE0_EEESZ_S10_S11_S18_S1C_S1E_T6_T7_T9_mT8_S1G_bDpT10_ENKUlT_T0_E_clISt17integral_constantIbLb0EES1U_EEDaS1P_S1Q_EUlS1P_E_NS1_11comp_targetILNS1_3genE0ELNS1_11target_archE4294967295ELNS1_3gpuE0ELNS1_3repE0EEENS1_30default_config_static_selectorELNS0_4arch9wavefront6targetE0EEEvS12_,@function
_ZN7rocprim17ROCPRIM_400000_NS6detail17trampoline_kernelINS0_13select_configILj256ELj13ELNS0_17block_load_methodE3ELS4_3ELS4_3ELNS0_20block_scan_algorithmE0ELj4294967295EEENS1_25partition_config_selectorILNS1_17partition_subalgoE4EjNS0_10empty_typeEbEEZZNS1_14partition_implILS8_4ELb0ES6_15HIP_vector_typeIjLj2EENS0_17counting_iteratorIjlEEPS9_SG_NS0_5tupleIJPjSI_NS0_16reverse_iteratorISI_EEEEENSH_IJSG_SG_SG_EEES9_SI_JZNS1_25segmented_radix_sort_implINS0_14default_configELb0EPKdPdPKlPlN2at6native12_GLOBAL__N_18offset_tEEE10hipError_tPvRmT1_PNSt15iterator_traitsIS12_E10value_typeET2_T3_PNS13_IS18_E10value_typeET4_jRbjT5_S1E_jjP12ihipStream_tbEUljE_ZNSN_ISO_Lb0ESQ_SR_ST_SU_SY_EESZ_S10_S11_S12_S16_S17_S18_S1B_S1C_jS1D_jS1E_S1E_jjS1G_bEUljE0_EEESZ_S10_S11_S18_S1C_S1E_T6_T7_T9_mT8_S1G_bDpT10_ENKUlT_T0_E_clISt17integral_constantIbLb0EES1U_EEDaS1P_S1Q_EUlS1P_E_NS1_11comp_targetILNS1_3genE0ELNS1_11target_archE4294967295ELNS1_3gpuE0ELNS1_3repE0EEENS1_30default_config_static_selectorELNS0_4arch9wavefront6targetE0EEEvS12_: ; @_ZN7rocprim17ROCPRIM_400000_NS6detail17trampoline_kernelINS0_13select_configILj256ELj13ELNS0_17block_load_methodE3ELS4_3ELS4_3ELNS0_20block_scan_algorithmE0ELj4294967295EEENS1_25partition_config_selectorILNS1_17partition_subalgoE4EjNS0_10empty_typeEbEEZZNS1_14partition_implILS8_4ELb0ES6_15HIP_vector_typeIjLj2EENS0_17counting_iteratorIjlEEPS9_SG_NS0_5tupleIJPjSI_NS0_16reverse_iteratorISI_EEEEENSH_IJSG_SG_SG_EEES9_SI_JZNS1_25segmented_radix_sort_implINS0_14default_configELb0EPKdPdPKlPlN2at6native12_GLOBAL__N_18offset_tEEE10hipError_tPvRmT1_PNSt15iterator_traitsIS12_E10value_typeET2_T3_PNS13_IS18_E10value_typeET4_jRbjT5_S1E_jjP12ihipStream_tbEUljE_ZNSN_ISO_Lb0ESQ_SR_ST_SU_SY_EESZ_S10_S11_S12_S16_S17_S18_S1B_S1C_jS1D_jS1E_S1E_jjS1G_bEUljE0_EEESZ_S10_S11_S18_S1C_S1E_T6_T7_T9_mT8_S1G_bDpT10_ENKUlT_T0_E_clISt17integral_constantIbLb0EES1U_EEDaS1P_S1Q_EUlS1P_E_NS1_11comp_targetILNS1_3genE0ELNS1_11target_archE4294967295ELNS1_3gpuE0ELNS1_3repE0EEENS1_30default_config_static_selectorELNS0_4arch9wavefront6targetE0EEEvS12_
; %bb.0:
	.section	.rodata,"a",@progbits
	.p2align	6, 0x0
	.amdhsa_kernel _ZN7rocprim17ROCPRIM_400000_NS6detail17trampoline_kernelINS0_13select_configILj256ELj13ELNS0_17block_load_methodE3ELS4_3ELS4_3ELNS0_20block_scan_algorithmE0ELj4294967295EEENS1_25partition_config_selectorILNS1_17partition_subalgoE4EjNS0_10empty_typeEbEEZZNS1_14partition_implILS8_4ELb0ES6_15HIP_vector_typeIjLj2EENS0_17counting_iteratorIjlEEPS9_SG_NS0_5tupleIJPjSI_NS0_16reverse_iteratorISI_EEEEENSH_IJSG_SG_SG_EEES9_SI_JZNS1_25segmented_radix_sort_implINS0_14default_configELb0EPKdPdPKlPlN2at6native12_GLOBAL__N_18offset_tEEE10hipError_tPvRmT1_PNSt15iterator_traitsIS12_E10value_typeET2_T3_PNS13_IS18_E10value_typeET4_jRbjT5_S1E_jjP12ihipStream_tbEUljE_ZNSN_ISO_Lb0ESQ_SR_ST_SU_SY_EESZ_S10_S11_S12_S16_S17_S18_S1B_S1C_jS1D_jS1E_S1E_jjS1G_bEUljE0_EEESZ_S10_S11_S18_S1C_S1E_T6_T7_T9_mT8_S1G_bDpT10_ENKUlT_T0_E_clISt17integral_constantIbLb0EES1U_EEDaS1P_S1Q_EUlS1P_E_NS1_11comp_targetILNS1_3genE0ELNS1_11target_archE4294967295ELNS1_3gpuE0ELNS1_3repE0EEENS1_30default_config_static_selectorELNS0_4arch9wavefront6targetE0EEEvS12_
		.amdhsa_group_segment_fixed_size 0
		.amdhsa_private_segment_fixed_size 0
		.amdhsa_kernarg_size 176
		.amdhsa_user_sgpr_count 6
		.amdhsa_user_sgpr_private_segment_buffer 1
		.amdhsa_user_sgpr_dispatch_ptr 0
		.amdhsa_user_sgpr_queue_ptr 0
		.amdhsa_user_sgpr_kernarg_segment_ptr 1
		.amdhsa_user_sgpr_dispatch_id 0
		.amdhsa_user_sgpr_flat_scratch_init 0
		.amdhsa_user_sgpr_private_segment_size 0
		.amdhsa_wavefront_size32 1
		.amdhsa_uses_dynamic_stack 0
		.amdhsa_system_sgpr_private_segment_wavefront_offset 0
		.amdhsa_system_sgpr_workgroup_id_x 1
		.amdhsa_system_sgpr_workgroup_id_y 0
		.amdhsa_system_sgpr_workgroup_id_z 0
		.amdhsa_system_sgpr_workgroup_info 0
		.amdhsa_system_vgpr_workitem_id 0
		.amdhsa_next_free_vgpr 1
		.amdhsa_next_free_sgpr 1
		.amdhsa_reserve_vcc 0
		.amdhsa_reserve_flat_scratch 0
		.amdhsa_float_round_mode_32 0
		.amdhsa_float_round_mode_16_64 0
		.amdhsa_float_denorm_mode_32 3
		.amdhsa_float_denorm_mode_16_64 3
		.amdhsa_dx10_clamp 1
		.amdhsa_ieee_mode 1
		.amdhsa_fp16_overflow 0
		.amdhsa_workgroup_processor_mode 1
		.amdhsa_memory_ordered 1
		.amdhsa_forward_progress 1
		.amdhsa_shared_vgpr_count 0
		.amdhsa_exception_fp_ieee_invalid_op 0
		.amdhsa_exception_fp_denorm_src 0
		.amdhsa_exception_fp_ieee_div_zero 0
		.amdhsa_exception_fp_ieee_overflow 0
		.amdhsa_exception_fp_ieee_underflow 0
		.amdhsa_exception_fp_ieee_inexact 0
		.amdhsa_exception_int_div_zero 0
	.end_amdhsa_kernel
	.section	.text._ZN7rocprim17ROCPRIM_400000_NS6detail17trampoline_kernelINS0_13select_configILj256ELj13ELNS0_17block_load_methodE3ELS4_3ELS4_3ELNS0_20block_scan_algorithmE0ELj4294967295EEENS1_25partition_config_selectorILNS1_17partition_subalgoE4EjNS0_10empty_typeEbEEZZNS1_14partition_implILS8_4ELb0ES6_15HIP_vector_typeIjLj2EENS0_17counting_iteratorIjlEEPS9_SG_NS0_5tupleIJPjSI_NS0_16reverse_iteratorISI_EEEEENSH_IJSG_SG_SG_EEES9_SI_JZNS1_25segmented_radix_sort_implINS0_14default_configELb0EPKdPdPKlPlN2at6native12_GLOBAL__N_18offset_tEEE10hipError_tPvRmT1_PNSt15iterator_traitsIS12_E10value_typeET2_T3_PNS13_IS18_E10value_typeET4_jRbjT5_S1E_jjP12ihipStream_tbEUljE_ZNSN_ISO_Lb0ESQ_SR_ST_SU_SY_EESZ_S10_S11_S12_S16_S17_S18_S1B_S1C_jS1D_jS1E_S1E_jjS1G_bEUljE0_EEESZ_S10_S11_S18_S1C_S1E_T6_T7_T9_mT8_S1G_bDpT10_ENKUlT_T0_E_clISt17integral_constantIbLb0EES1U_EEDaS1P_S1Q_EUlS1P_E_NS1_11comp_targetILNS1_3genE0ELNS1_11target_archE4294967295ELNS1_3gpuE0ELNS1_3repE0EEENS1_30default_config_static_selectorELNS0_4arch9wavefront6targetE0EEEvS12_,"axG",@progbits,_ZN7rocprim17ROCPRIM_400000_NS6detail17trampoline_kernelINS0_13select_configILj256ELj13ELNS0_17block_load_methodE3ELS4_3ELS4_3ELNS0_20block_scan_algorithmE0ELj4294967295EEENS1_25partition_config_selectorILNS1_17partition_subalgoE4EjNS0_10empty_typeEbEEZZNS1_14partition_implILS8_4ELb0ES6_15HIP_vector_typeIjLj2EENS0_17counting_iteratorIjlEEPS9_SG_NS0_5tupleIJPjSI_NS0_16reverse_iteratorISI_EEEEENSH_IJSG_SG_SG_EEES9_SI_JZNS1_25segmented_radix_sort_implINS0_14default_configELb0EPKdPdPKlPlN2at6native12_GLOBAL__N_18offset_tEEE10hipError_tPvRmT1_PNSt15iterator_traitsIS12_E10value_typeET2_T3_PNS13_IS18_E10value_typeET4_jRbjT5_S1E_jjP12ihipStream_tbEUljE_ZNSN_ISO_Lb0ESQ_SR_ST_SU_SY_EESZ_S10_S11_S12_S16_S17_S18_S1B_S1C_jS1D_jS1E_S1E_jjS1G_bEUljE0_EEESZ_S10_S11_S18_S1C_S1E_T6_T7_T9_mT8_S1G_bDpT10_ENKUlT_T0_E_clISt17integral_constantIbLb0EES1U_EEDaS1P_S1Q_EUlS1P_E_NS1_11comp_targetILNS1_3genE0ELNS1_11target_archE4294967295ELNS1_3gpuE0ELNS1_3repE0EEENS1_30default_config_static_selectorELNS0_4arch9wavefront6targetE0EEEvS12_,comdat
.Lfunc_end1149:
	.size	_ZN7rocprim17ROCPRIM_400000_NS6detail17trampoline_kernelINS0_13select_configILj256ELj13ELNS0_17block_load_methodE3ELS4_3ELS4_3ELNS0_20block_scan_algorithmE0ELj4294967295EEENS1_25partition_config_selectorILNS1_17partition_subalgoE4EjNS0_10empty_typeEbEEZZNS1_14partition_implILS8_4ELb0ES6_15HIP_vector_typeIjLj2EENS0_17counting_iteratorIjlEEPS9_SG_NS0_5tupleIJPjSI_NS0_16reverse_iteratorISI_EEEEENSH_IJSG_SG_SG_EEES9_SI_JZNS1_25segmented_radix_sort_implINS0_14default_configELb0EPKdPdPKlPlN2at6native12_GLOBAL__N_18offset_tEEE10hipError_tPvRmT1_PNSt15iterator_traitsIS12_E10value_typeET2_T3_PNS13_IS18_E10value_typeET4_jRbjT5_S1E_jjP12ihipStream_tbEUljE_ZNSN_ISO_Lb0ESQ_SR_ST_SU_SY_EESZ_S10_S11_S12_S16_S17_S18_S1B_S1C_jS1D_jS1E_S1E_jjS1G_bEUljE0_EEESZ_S10_S11_S18_S1C_S1E_T6_T7_T9_mT8_S1G_bDpT10_ENKUlT_T0_E_clISt17integral_constantIbLb0EES1U_EEDaS1P_S1Q_EUlS1P_E_NS1_11comp_targetILNS1_3genE0ELNS1_11target_archE4294967295ELNS1_3gpuE0ELNS1_3repE0EEENS1_30default_config_static_selectorELNS0_4arch9wavefront6targetE0EEEvS12_, .Lfunc_end1149-_ZN7rocprim17ROCPRIM_400000_NS6detail17trampoline_kernelINS0_13select_configILj256ELj13ELNS0_17block_load_methodE3ELS4_3ELS4_3ELNS0_20block_scan_algorithmE0ELj4294967295EEENS1_25partition_config_selectorILNS1_17partition_subalgoE4EjNS0_10empty_typeEbEEZZNS1_14partition_implILS8_4ELb0ES6_15HIP_vector_typeIjLj2EENS0_17counting_iteratorIjlEEPS9_SG_NS0_5tupleIJPjSI_NS0_16reverse_iteratorISI_EEEEENSH_IJSG_SG_SG_EEES9_SI_JZNS1_25segmented_radix_sort_implINS0_14default_configELb0EPKdPdPKlPlN2at6native12_GLOBAL__N_18offset_tEEE10hipError_tPvRmT1_PNSt15iterator_traitsIS12_E10value_typeET2_T3_PNS13_IS18_E10value_typeET4_jRbjT5_S1E_jjP12ihipStream_tbEUljE_ZNSN_ISO_Lb0ESQ_SR_ST_SU_SY_EESZ_S10_S11_S12_S16_S17_S18_S1B_S1C_jS1D_jS1E_S1E_jjS1G_bEUljE0_EEESZ_S10_S11_S18_S1C_S1E_T6_T7_T9_mT8_S1G_bDpT10_ENKUlT_T0_E_clISt17integral_constantIbLb0EES1U_EEDaS1P_S1Q_EUlS1P_E_NS1_11comp_targetILNS1_3genE0ELNS1_11target_archE4294967295ELNS1_3gpuE0ELNS1_3repE0EEENS1_30default_config_static_selectorELNS0_4arch9wavefront6targetE0EEEvS12_
                                        ; -- End function
	.set _ZN7rocprim17ROCPRIM_400000_NS6detail17trampoline_kernelINS0_13select_configILj256ELj13ELNS0_17block_load_methodE3ELS4_3ELS4_3ELNS0_20block_scan_algorithmE0ELj4294967295EEENS1_25partition_config_selectorILNS1_17partition_subalgoE4EjNS0_10empty_typeEbEEZZNS1_14partition_implILS8_4ELb0ES6_15HIP_vector_typeIjLj2EENS0_17counting_iteratorIjlEEPS9_SG_NS0_5tupleIJPjSI_NS0_16reverse_iteratorISI_EEEEENSH_IJSG_SG_SG_EEES9_SI_JZNS1_25segmented_radix_sort_implINS0_14default_configELb0EPKdPdPKlPlN2at6native12_GLOBAL__N_18offset_tEEE10hipError_tPvRmT1_PNSt15iterator_traitsIS12_E10value_typeET2_T3_PNS13_IS18_E10value_typeET4_jRbjT5_S1E_jjP12ihipStream_tbEUljE_ZNSN_ISO_Lb0ESQ_SR_ST_SU_SY_EESZ_S10_S11_S12_S16_S17_S18_S1B_S1C_jS1D_jS1E_S1E_jjS1G_bEUljE0_EEESZ_S10_S11_S18_S1C_S1E_T6_T7_T9_mT8_S1G_bDpT10_ENKUlT_T0_E_clISt17integral_constantIbLb0EES1U_EEDaS1P_S1Q_EUlS1P_E_NS1_11comp_targetILNS1_3genE0ELNS1_11target_archE4294967295ELNS1_3gpuE0ELNS1_3repE0EEENS1_30default_config_static_selectorELNS0_4arch9wavefront6targetE0EEEvS12_.num_vgpr, 0
	.set _ZN7rocprim17ROCPRIM_400000_NS6detail17trampoline_kernelINS0_13select_configILj256ELj13ELNS0_17block_load_methodE3ELS4_3ELS4_3ELNS0_20block_scan_algorithmE0ELj4294967295EEENS1_25partition_config_selectorILNS1_17partition_subalgoE4EjNS0_10empty_typeEbEEZZNS1_14partition_implILS8_4ELb0ES6_15HIP_vector_typeIjLj2EENS0_17counting_iteratorIjlEEPS9_SG_NS0_5tupleIJPjSI_NS0_16reverse_iteratorISI_EEEEENSH_IJSG_SG_SG_EEES9_SI_JZNS1_25segmented_radix_sort_implINS0_14default_configELb0EPKdPdPKlPlN2at6native12_GLOBAL__N_18offset_tEEE10hipError_tPvRmT1_PNSt15iterator_traitsIS12_E10value_typeET2_T3_PNS13_IS18_E10value_typeET4_jRbjT5_S1E_jjP12ihipStream_tbEUljE_ZNSN_ISO_Lb0ESQ_SR_ST_SU_SY_EESZ_S10_S11_S12_S16_S17_S18_S1B_S1C_jS1D_jS1E_S1E_jjS1G_bEUljE0_EEESZ_S10_S11_S18_S1C_S1E_T6_T7_T9_mT8_S1G_bDpT10_ENKUlT_T0_E_clISt17integral_constantIbLb0EES1U_EEDaS1P_S1Q_EUlS1P_E_NS1_11comp_targetILNS1_3genE0ELNS1_11target_archE4294967295ELNS1_3gpuE0ELNS1_3repE0EEENS1_30default_config_static_selectorELNS0_4arch9wavefront6targetE0EEEvS12_.num_agpr, 0
	.set _ZN7rocprim17ROCPRIM_400000_NS6detail17trampoline_kernelINS0_13select_configILj256ELj13ELNS0_17block_load_methodE3ELS4_3ELS4_3ELNS0_20block_scan_algorithmE0ELj4294967295EEENS1_25partition_config_selectorILNS1_17partition_subalgoE4EjNS0_10empty_typeEbEEZZNS1_14partition_implILS8_4ELb0ES6_15HIP_vector_typeIjLj2EENS0_17counting_iteratorIjlEEPS9_SG_NS0_5tupleIJPjSI_NS0_16reverse_iteratorISI_EEEEENSH_IJSG_SG_SG_EEES9_SI_JZNS1_25segmented_radix_sort_implINS0_14default_configELb0EPKdPdPKlPlN2at6native12_GLOBAL__N_18offset_tEEE10hipError_tPvRmT1_PNSt15iterator_traitsIS12_E10value_typeET2_T3_PNS13_IS18_E10value_typeET4_jRbjT5_S1E_jjP12ihipStream_tbEUljE_ZNSN_ISO_Lb0ESQ_SR_ST_SU_SY_EESZ_S10_S11_S12_S16_S17_S18_S1B_S1C_jS1D_jS1E_S1E_jjS1G_bEUljE0_EEESZ_S10_S11_S18_S1C_S1E_T6_T7_T9_mT8_S1G_bDpT10_ENKUlT_T0_E_clISt17integral_constantIbLb0EES1U_EEDaS1P_S1Q_EUlS1P_E_NS1_11comp_targetILNS1_3genE0ELNS1_11target_archE4294967295ELNS1_3gpuE0ELNS1_3repE0EEENS1_30default_config_static_selectorELNS0_4arch9wavefront6targetE0EEEvS12_.numbered_sgpr, 0
	.set _ZN7rocprim17ROCPRIM_400000_NS6detail17trampoline_kernelINS0_13select_configILj256ELj13ELNS0_17block_load_methodE3ELS4_3ELS4_3ELNS0_20block_scan_algorithmE0ELj4294967295EEENS1_25partition_config_selectorILNS1_17partition_subalgoE4EjNS0_10empty_typeEbEEZZNS1_14partition_implILS8_4ELb0ES6_15HIP_vector_typeIjLj2EENS0_17counting_iteratorIjlEEPS9_SG_NS0_5tupleIJPjSI_NS0_16reverse_iteratorISI_EEEEENSH_IJSG_SG_SG_EEES9_SI_JZNS1_25segmented_radix_sort_implINS0_14default_configELb0EPKdPdPKlPlN2at6native12_GLOBAL__N_18offset_tEEE10hipError_tPvRmT1_PNSt15iterator_traitsIS12_E10value_typeET2_T3_PNS13_IS18_E10value_typeET4_jRbjT5_S1E_jjP12ihipStream_tbEUljE_ZNSN_ISO_Lb0ESQ_SR_ST_SU_SY_EESZ_S10_S11_S12_S16_S17_S18_S1B_S1C_jS1D_jS1E_S1E_jjS1G_bEUljE0_EEESZ_S10_S11_S18_S1C_S1E_T6_T7_T9_mT8_S1G_bDpT10_ENKUlT_T0_E_clISt17integral_constantIbLb0EES1U_EEDaS1P_S1Q_EUlS1P_E_NS1_11comp_targetILNS1_3genE0ELNS1_11target_archE4294967295ELNS1_3gpuE0ELNS1_3repE0EEENS1_30default_config_static_selectorELNS0_4arch9wavefront6targetE0EEEvS12_.num_named_barrier, 0
	.set _ZN7rocprim17ROCPRIM_400000_NS6detail17trampoline_kernelINS0_13select_configILj256ELj13ELNS0_17block_load_methodE3ELS4_3ELS4_3ELNS0_20block_scan_algorithmE0ELj4294967295EEENS1_25partition_config_selectorILNS1_17partition_subalgoE4EjNS0_10empty_typeEbEEZZNS1_14partition_implILS8_4ELb0ES6_15HIP_vector_typeIjLj2EENS0_17counting_iteratorIjlEEPS9_SG_NS0_5tupleIJPjSI_NS0_16reverse_iteratorISI_EEEEENSH_IJSG_SG_SG_EEES9_SI_JZNS1_25segmented_radix_sort_implINS0_14default_configELb0EPKdPdPKlPlN2at6native12_GLOBAL__N_18offset_tEEE10hipError_tPvRmT1_PNSt15iterator_traitsIS12_E10value_typeET2_T3_PNS13_IS18_E10value_typeET4_jRbjT5_S1E_jjP12ihipStream_tbEUljE_ZNSN_ISO_Lb0ESQ_SR_ST_SU_SY_EESZ_S10_S11_S12_S16_S17_S18_S1B_S1C_jS1D_jS1E_S1E_jjS1G_bEUljE0_EEESZ_S10_S11_S18_S1C_S1E_T6_T7_T9_mT8_S1G_bDpT10_ENKUlT_T0_E_clISt17integral_constantIbLb0EES1U_EEDaS1P_S1Q_EUlS1P_E_NS1_11comp_targetILNS1_3genE0ELNS1_11target_archE4294967295ELNS1_3gpuE0ELNS1_3repE0EEENS1_30default_config_static_selectorELNS0_4arch9wavefront6targetE0EEEvS12_.private_seg_size, 0
	.set _ZN7rocprim17ROCPRIM_400000_NS6detail17trampoline_kernelINS0_13select_configILj256ELj13ELNS0_17block_load_methodE3ELS4_3ELS4_3ELNS0_20block_scan_algorithmE0ELj4294967295EEENS1_25partition_config_selectorILNS1_17partition_subalgoE4EjNS0_10empty_typeEbEEZZNS1_14partition_implILS8_4ELb0ES6_15HIP_vector_typeIjLj2EENS0_17counting_iteratorIjlEEPS9_SG_NS0_5tupleIJPjSI_NS0_16reverse_iteratorISI_EEEEENSH_IJSG_SG_SG_EEES9_SI_JZNS1_25segmented_radix_sort_implINS0_14default_configELb0EPKdPdPKlPlN2at6native12_GLOBAL__N_18offset_tEEE10hipError_tPvRmT1_PNSt15iterator_traitsIS12_E10value_typeET2_T3_PNS13_IS18_E10value_typeET4_jRbjT5_S1E_jjP12ihipStream_tbEUljE_ZNSN_ISO_Lb0ESQ_SR_ST_SU_SY_EESZ_S10_S11_S12_S16_S17_S18_S1B_S1C_jS1D_jS1E_S1E_jjS1G_bEUljE0_EEESZ_S10_S11_S18_S1C_S1E_T6_T7_T9_mT8_S1G_bDpT10_ENKUlT_T0_E_clISt17integral_constantIbLb0EES1U_EEDaS1P_S1Q_EUlS1P_E_NS1_11comp_targetILNS1_3genE0ELNS1_11target_archE4294967295ELNS1_3gpuE0ELNS1_3repE0EEENS1_30default_config_static_selectorELNS0_4arch9wavefront6targetE0EEEvS12_.uses_vcc, 0
	.set _ZN7rocprim17ROCPRIM_400000_NS6detail17trampoline_kernelINS0_13select_configILj256ELj13ELNS0_17block_load_methodE3ELS4_3ELS4_3ELNS0_20block_scan_algorithmE0ELj4294967295EEENS1_25partition_config_selectorILNS1_17partition_subalgoE4EjNS0_10empty_typeEbEEZZNS1_14partition_implILS8_4ELb0ES6_15HIP_vector_typeIjLj2EENS0_17counting_iteratorIjlEEPS9_SG_NS0_5tupleIJPjSI_NS0_16reverse_iteratorISI_EEEEENSH_IJSG_SG_SG_EEES9_SI_JZNS1_25segmented_radix_sort_implINS0_14default_configELb0EPKdPdPKlPlN2at6native12_GLOBAL__N_18offset_tEEE10hipError_tPvRmT1_PNSt15iterator_traitsIS12_E10value_typeET2_T3_PNS13_IS18_E10value_typeET4_jRbjT5_S1E_jjP12ihipStream_tbEUljE_ZNSN_ISO_Lb0ESQ_SR_ST_SU_SY_EESZ_S10_S11_S12_S16_S17_S18_S1B_S1C_jS1D_jS1E_S1E_jjS1G_bEUljE0_EEESZ_S10_S11_S18_S1C_S1E_T6_T7_T9_mT8_S1G_bDpT10_ENKUlT_T0_E_clISt17integral_constantIbLb0EES1U_EEDaS1P_S1Q_EUlS1P_E_NS1_11comp_targetILNS1_3genE0ELNS1_11target_archE4294967295ELNS1_3gpuE0ELNS1_3repE0EEENS1_30default_config_static_selectorELNS0_4arch9wavefront6targetE0EEEvS12_.uses_flat_scratch, 0
	.set _ZN7rocprim17ROCPRIM_400000_NS6detail17trampoline_kernelINS0_13select_configILj256ELj13ELNS0_17block_load_methodE3ELS4_3ELS4_3ELNS0_20block_scan_algorithmE0ELj4294967295EEENS1_25partition_config_selectorILNS1_17partition_subalgoE4EjNS0_10empty_typeEbEEZZNS1_14partition_implILS8_4ELb0ES6_15HIP_vector_typeIjLj2EENS0_17counting_iteratorIjlEEPS9_SG_NS0_5tupleIJPjSI_NS0_16reverse_iteratorISI_EEEEENSH_IJSG_SG_SG_EEES9_SI_JZNS1_25segmented_radix_sort_implINS0_14default_configELb0EPKdPdPKlPlN2at6native12_GLOBAL__N_18offset_tEEE10hipError_tPvRmT1_PNSt15iterator_traitsIS12_E10value_typeET2_T3_PNS13_IS18_E10value_typeET4_jRbjT5_S1E_jjP12ihipStream_tbEUljE_ZNSN_ISO_Lb0ESQ_SR_ST_SU_SY_EESZ_S10_S11_S12_S16_S17_S18_S1B_S1C_jS1D_jS1E_S1E_jjS1G_bEUljE0_EEESZ_S10_S11_S18_S1C_S1E_T6_T7_T9_mT8_S1G_bDpT10_ENKUlT_T0_E_clISt17integral_constantIbLb0EES1U_EEDaS1P_S1Q_EUlS1P_E_NS1_11comp_targetILNS1_3genE0ELNS1_11target_archE4294967295ELNS1_3gpuE0ELNS1_3repE0EEENS1_30default_config_static_selectorELNS0_4arch9wavefront6targetE0EEEvS12_.has_dyn_sized_stack, 0
	.set _ZN7rocprim17ROCPRIM_400000_NS6detail17trampoline_kernelINS0_13select_configILj256ELj13ELNS0_17block_load_methodE3ELS4_3ELS4_3ELNS0_20block_scan_algorithmE0ELj4294967295EEENS1_25partition_config_selectorILNS1_17partition_subalgoE4EjNS0_10empty_typeEbEEZZNS1_14partition_implILS8_4ELb0ES6_15HIP_vector_typeIjLj2EENS0_17counting_iteratorIjlEEPS9_SG_NS0_5tupleIJPjSI_NS0_16reverse_iteratorISI_EEEEENSH_IJSG_SG_SG_EEES9_SI_JZNS1_25segmented_radix_sort_implINS0_14default_configELb0EPKdPdPKlPlN2at6native12_GLOBAL__N_18offset_tEEE10hipError_tPvRmT1_PNSt15iterator_traitsIS12_E10value_typeET2_T3_PNS13_IS18_E10value_typeET4_jRbjT5_S1E_jjP12ihipStream_tbEUljE_ZNSN_ISO_Lb0ESQ_SR_ST_SU_SY_EESZ_S10_S11_S12_S16_S17_S18_S1B_S1C_jS1D_jS1E_S1E_jjS1G_bEUljE0_EEESZ_S10_S11_S18_S1C_S1E_T6_T7_T9_mT8_S1G_bDpT10_ENKUlT_T0_E_clISt17integral_constantIbLb0EES1U_EEDaS1P_S1Q_EUlS1P_E_NS1_11comp_targetILNS1_3genE0ELNS1_11target_archE4294967295ELNS1_3gpuE0ELNS1_3repE0EEENS1_30default_config_static_selectorELNS0_4arch9wavefront6targetE0EEEvS12_.has_recursion, 0
	.set _ZN7rocprim17ROCPRIM_400000_NS6detail17trampoline_kernelINS0_13select_configILj256ELj13ELNS0_17block_load_methodE3ELS4_3ELS4_3ELNS0_20block_scan_algorithmE0ELj4294967295EEENS1_25partition_config_selectorILNS1_17partition_subalgoE4EjNS0_10empty_typeEbEEZZNS1_14partition_implILS8_4ELb0ES6_15HIP_vector_typeIjLj2EENS0_17counting_iteratorIjlEEPS9_SG_NS0_5tupleIJPjSI_NS0_16reverse_iteratorISI_EEEEENSH_IJSG_SG_SG_EEES9_SI_JZNS1_25segmented_radix_sort_implINS0_14default_configELb0EPKdPdPKlPlN2at6native12_GLOBAL__N_18offset_tEEE10hipError_tPvRmT1_PNSt15iterator_traitsIS12_E10value_typeET2_T3_PNS13_IS18_E10value_typeET4_jRbjT5_S1E_jjP12ihipStream_tbEUljE_ZNSN_ISO_Lb0ESQ_SR_ST_SU_SY_EESZ_S10_S11_S12_S16_S17_S18_S1B_S1C_jS1D_jS1E_S1E_jjS1G_bEUljE0_EEESZ_S10_S11_S18_S1C_S1E_T6_T7_T9_mT8_S1G_bDpT10_ENKUlT_T0_E_clISt17integral_constantIbLb0EES1U_EEDaS1P_S1Q_EUlS1P_E_NS1_11comp_targetILNS1_3genE0ELNS1_11target_archE4294967295ELNS1_3gpuE0ELNS1_3repE0EEENS1_30default_config_static_selectorELNS0_4arch9wavefront6targetE0EEEvS12_.has_indirect_call, 0
	.section	.AMDGPU.csdata,"",@progbits
; Kernel info:
; codeLenInByte = 0
; TotalNumSgprs: 0
; NumVgprs: 0
; ScratchSize: 0
; MemoryBound: 0
; FloatMode: 240
; IeeeMode: 1
; LDSByteSize: 0 bytes/workgroup (compile time only)
; SGPRBlocks: 0
; VGPRBlocks: 0
; NumSGPRsForWavesPerEU: 1
; NumVGPRsForWavesPerEU: 1
; Occupancy: 16
; WaveLimiterHint : 0
; COMPUTE_PGM_RSRC2:SCRATCH_EN: 0
; COMPUTE_PGM_RSRC2:USER_SGPR: 6
; COMPUTE_PGM_RSRC2:TRAP_HANDLER: 0
; COMPUTE_PGM_RSRC2:TGID_X_EN: 1
; COMPUTE_PGM_RSRC2:TGID_Y_EN: 0
; COMPUTE_PGM_RSRC2:TGID_Z_EN: 0
; COMPUTE_PGM_RSRC2:TIDIG_COMP_CNT: 0
	.section	.text._ZN7rocprim17ROCPRIM_400000_NS6detail17trampoline_kernelINS0_13select_configILj256ELj13ELNS0_17block_load_methodE3ELS4_3ELS4_3ELNS0_20block_scan_algorithmE0ELj4294967295EEENS1_25partition_config_selectorILNS1_17partition_subalgoE4EjNS0_10empty_typeEbEEZZNS1_14partition_implILS8_4ELb0ES6_15HIP_vector_typeIjLj2EENS0_17counting_iteratorIjlEEPS9_SG_NS0_5tupleIJPjSI_NS0_16reverse_iteratorISI_EEEEENSH_IJSG_SG_SG_EEES9_SI_JZNS1_25segmented_radix_sort_implINS0_14default_configELb0EPKdPdPKlPlN2at6native12_GLOBAL__N_18offset_tEEE10hipError_tPvRmT1_PNSt15iterator_traitsIS12_E10value_typeET2_T3_PNS13_IS18_E10value_typeET4_jRbjT5_S1E_jjP12ihipStream_tbEUljE_ZNSN_ISO_Lb0ESQ_SR_ST_SU_SY_EESZ_S10_S11_S12_S16_S17_S18_S1B_S1C_jS1D_jS1E_S1E_jjS1G_bEUljE0_EEESZ_S10_S11_S18_S1C_S1E_T6_T7_T9_mT8_S1G_bDpT10_ENKUlT_T0_E_clISt17integral_constantIbLb0EES1U_EEDaS1P_S1Q_EUlS1P_E_NS1_11comp_targetILNS1_3genE5ELNS1_11target_archE942ELNS1_3gpuE9ELNS1_3repE0EEENS1_30default_config_static_selectorELNS0_4arch9wavefront6targetE0EEEvS12_,"axG",@progbits,_ZN7rocprim17ROCPRIM_400000_NS6detail17trampoline_kernelINS0_13select_configILj256ELj13ELNS0_17block_load_methodE3ELS4_3ELS4_3ELNS0_20block_scan_algorithmE0ELj4294967295EEENS1_25partition_config_selectorILNS1_17partition_subalgoE4EjNS0_10empty_typeEbEEZZNS1_14partition_implILS8_4ELb0ES6_15HIP_vector_typeIjLj2EENS0_17counting_iteratorIjlEEPS9_SG_NS0_5tupleIJPjSI_NS0_16reverse_iteratorISI_EEEEENSH_IJSG_SG_SG_EEES9_SI_JZNS1_25segmented_radix_sort_implINS0_14default_configELb0EPKdPdPKlPlN2at6native12_GLOBAL__N_18offset_tEEE10hipError_tPvRmT1_PNSt15iterator_traitsIS12_E10value_typeET2_T3_PNS13_IS18_E10value_typeET4_jRbjT5_S1E_jjP12ihipStream_tbEUljE_ZNSN_ISO_Lb0ESQ_SR_ST_SU_SY_EESZ_S10_S11_S12_S16_S17_S18_S1B_S1C_jS1D_jS1E_S1E_jjS1G_bEUljE0_EEESZ_S10_S11_S18_S1C_S1E_T6_T7_T9_mT8_S1G_bDpT10_ENKUlT_T0_E_clISt17integral_constantIbLb0EES1U_EEDaS1P_S1Q_EUlS1P_E_NS1_11comp_targetILNS1_3genE5ELNS1_11target_archE942ELNS1_3gpuE9ELNS1_3repE0EEENS1_30default_config_static_selectorELNS0_4arch9wavefront6targetE0EEEvS12_,comdat
	.globl	_ZN7rocprim17ROCPRIM_400000_NS6detail17trampoline_kernelINS0_13select_configILj256ELj13ELNS0_17block_load_methodE3ELS4_3ELS4_3ELNS0_20block_scan_algorithmE0ELj4294967295EEENS1_25partition_config_selectorILNS1_17partition_subalgoE4EjNS0_10empty_typeEbEEZZNS1_14partition_implILS8_4ELb0ES6_15HIP_vector_typeIjLj2EENS0_17counting_iteratorIjlEEPS9_SG_NS0_5tupleIJPjSI_NS0_16reverse_iteratorISI_EEEEENSH_IJSG_SG_SG_EEES9_SI_JZNS1_25segmented_radix_sort_implINS0_14default_configELb0EPKdPdPKlPlN2at6native12_GLOBAL__N_18offset_tEEE10hipError_tPvRmT1_PNSt15iterator_traitsIS12_E10value_typeET2_T3_PNS13_IS18_E10value_typeET4_jRbjT5_S1E_jjP12ihipStream_tbEUljE_ZNSN_ISO_Lb0ESQ_SR_ST_SU_SY_EESZ_S10_S11_S12_S16_S17_S18_S1B_S1C_jS1D_jS1E_S1E_jjS1G_bEUljE0_EEESZ_S10_S11_S18_S1C_S1E_T6_T7_T9_mT8_S1G_bDpT10_ENKUlT_T0_E_clISt17integral_constantIbLb0EES1U_EEDaS1P_S1Q_EUlS1P_E_NS1_11comp_targetILNS1_3genE5ELNS1_11target_archE942ELNS1_3gpuE9ELNS1_3repE0EEENS1_30default_config_static_selectorELNS0_4arch9wavefront6targetE0EEEvS12_ ; -- Begin function _ZN7rocprim17ROCPRIM_400000_NS6detail17trampoline_kernelINS0_13select_configILj256ELj13ELNS0_17block_load_methodE3ELS4_3ELS4_3ELNS0_20block_scan_algorithmE0ELj4294967295EEENS1_25partition_config_selectorILNS1_17partition_subalgoE4EjNS0_10empty_typeEbEEZZNS1_14partition_implILS8_4ELb0ES6_15HIP_vector_typeIjLj2EENS0_17counting_iteratorIjlEEPS9_SG_NS0_5tupleIJPjSI_NS0_16reverse_iteratorISI_EEEEENSH_IJSG_SG_SG_EEES9_SI_JZNS1_25segmented_radix_sort_implINS0_14default_configELb0EPKdPdPKlPlN2at6native12_GLOBAL__N_18offset_tEEE10hipError_tPvRmT1_PNSt15iterator_traitsIS12_E10value_typeET2_T3_PNS13_IS18_E10value_typeET4_jRbjT5_S1E_jjP12ihipStream_tbEUljE_ZNSN_ISO_Lb0ESQ_SR_ST_SU_SY_EESZ_S10_S11_S12_S16_S17_S18_S1B_S1C_jS1D_jS1E_S1E_jjS1G_bEUljE0_EEESZ_S10_S11_S18_S1C_S1E_T6_T7_T9_mT8_S1G_bDpT10_ENKUlT_T0_E_clISt17integral_constantIbLb0EES1U_EEDaS1P_S1Q_EUlS1P_E_NS1_11comp_targetILNS1_3genE5ELNS1_11target_archE942ELNS1_3gpuE9ELNS1_3repE0EEENS1_30default_config_static_selectorELNS0_4arch9wavefront6targetE0EEEvS12_
	.p2align	8
	.type	_ZN7rocprim17ROCPRIM_400000_NS6detail17trampoline_kernelINS0_13select_configILj256ELj13ELNS0_17block_load_methodE3ELS4_3ELS4_3ELNS0_20block_scan_algorithmE0ELj4294967295EEENS1_25partition_config_selectorILNS1_17partition_subalgoE4EjNS0_10empty_typeEbEEZZNS1_14partition_implILS8_4ELb0ES6_15HIP_vector_typeIjLj2EENS0_17counting_iteratorIjlEEPS9_SG_NS0_5tupleIJPjSI_NS0_16reverse_iteratorISI_EEEEENSH_IJSG_SG_SG_EEES9_SI_JZNS1_25segmented_radix_sort_implINS0_14default_configELb0EPKdPdPKlPlN2at6native12_GLOBAL__N_18offset_tEEE10hipError_tPvRmT1_PNSt15iterator_traitsIS12_E10value_typeET2_T3_PNS13_IS18_E10value_typeET4_jRbjT5_S1E_jjP12ihipStream_tbEUljE_ZNSN_ISO_Lb0ESQ_SR_ST_SU_SY_EESZ_S10_S11_S12_S16_S17_S18_S1B_S1C_jS1D_jS1E_S1E_jjS1G_bEUljE0_EEESZ_S10_S11_S18_S1C_S1E_T6_T7_T9_mT8_S1G_bDpT10_ENKUlT_T0_E_clISt17integral_constantIbLb0EES1U_EEDaS1P_S1Q_EUlS1P_E_NS1_11comp_targetILNS1_3genE5ELNS1_11target_archE942ELNS1_3gpuE9ELNS1_3repE0EEENS1_30default_config_static_selectorELNS0_4arch9wavefront6targetE0EEEvS12_,@function
_ZN7rocprim17ROCPRIM_400000_NS6detail17trampoline_kernelINS0_13select_configILj256ELj13ELNS0_17block_load_methodE3ELS4_3ELS4_3ELNS0_20block_scan_algorithmE0ELj4294967295EEENS1_25partition_config_selectorILNS1_17partition_subalgoE4EjNS0_10empty_typeEbEEZZNS1_14partition_implILS8_4ELb0ES6_15HIP_vector_typeIjLj2EENS0_17counting_iteratorIjlEEPS9_SG_NS0_5tupleIJPjSI_NS0_16reverse_iteratorISI_EEEEENSH_IJSG_SG_SG_EEES9_SI_JZNS1_25segmented_radix_sort_implINS0_14default_configELb0EPKdPdPKlPlN2at6native12_GLOBAL__N_18offset_tEEE10hipError_tPvRmT1_PNSt15iterator_traitsIS12_E10value_typeET2_T3_PNS13_IS18_E10value_typeET4_jRbjT5_S1E_jjP12ihipStream_tbEUljE_ZNSN_ISO_Lb0ESQ_SR_ST_SU_SY_EESZ_S10_S11_S12_S16_S17_S18_S1B_S1C_jS1D_jS1E_S1E_jjS1G_bEUljE0_EEESZ_S10_S11_S18_S1C_S1E_T6_T7_T9_mT8_S1G_bDpT10_ENKUlT_T0_E_clISt17integral_constantIbLb0EES1U_EEDaS1P_S1Q_EUlS1P_E_NS1_11comp_targetILNS1_3genE5ELNS1_11target_archE942ELNS1_3gpuE9ELNS1_3repE0EEENS1_30default_config_static_selectorELNS0_4arch9wavefront6targetE0EEEvS12_: ; @_ZN7rocprim17ROCPRIM_400000_NS6detail17trampoline_kernelINS0_13select_configILj256ELj13ELNS0_17block_load_methodE3ELS4_3ELS4_3ELNS0_20block_scan_algorithmE0ELj4294967295EEENS1_25partition_config_selectorILNS1_17partition_subalgoE4EjNS0_10empty_typeEbEEZZNS1_14partition_implILS8_4ELb0ES6_15HIP_vector_typeIjLj2EENS0_17counting_iteratorIjlEEPS9_SG_NS0_5tupleIJPjSI_NS0_16reverse_iteratorISI_EEEEENSH_IJSG_SG_SG_EEES9_SI_JZNS1_25segmented_radix_sort_implINS0_14default_configELb0EPKdPdPKlPlN2at6native12_GLOBAL__N_18offset_tEEE10hipError_tPvRmT1_PNSt15iterator_traitsIS12_E10value_typeET2_T3_PNS13_IS18_E10value_typeET4_jRbjT5_S1E_jjP12ihipStream_tbEUljE_ZNSN_ISO_Lb0ESQ_SR_ST_SU_SY_EESZ_S10_S11_S12_S16_S17_S18_S1B_S1C_jS1D_jS1E_S1E_jjS1G_bEUljE0_EEESZ_S10_S11_S18_S1C_S1E_T6_T7_T9_mT8_S1G_bDpT10_ENKUlT_T0_E_clISt17integral_constantIbLb0EES1U_EEDaS1P_S1Q_EUlS1P_E_NS1_11comp_targetILNS1_3genE5ELNS1_11target_archE942ELNS1_3gpuE9ELNS1_3repE0EEENS1_30default_config_static_selectorELNS0_4arch9wavefront6targetE0EEEvS12_
; %bb.0:
	.section	.rodata,"a",@progbits
	.p2align	6, 0x0
	.amdhsa_kernel _ZN7rocprim17ROCPRIM_400000_NS6detail17trampoline_kernelINS0_13select_configILj256ELj13ELNS0_17block_load_methodE3ELS4_3ELS4_3ELNS0_20block_scan_algorithmE0ELj4294967295EEENS1_25partition_config_selectorILNS1_17partition_subalgoE4EjNS0_10empty_typeEbEEZZNS1_14partition_implILS8_4ELb0ES6_15HIP_vector_typeIjLj2EENS0_17counting_iteratorIjlEEPS9_SG_NS0_5tupleIJPjSI_NS0_16reverse_iteratorISI_EEEEENSH_IJSG_SG_SG_EEES9_SI_JZNS1_25segmented_radix_sort_implINS0_14default_configELb0EPKdPdPKlPlN2at6native12_GLOBAL__N_18offset_tEEE10hipError_tPvRmT1_PNSt15iterator_traitsIS12_E10value_typeET2_T3_PNS13_IS18_E10value_typeET4_jRbjT5_S1E_jjP12ihipStream_tbEUljE_ZNSN_ISO_Lb0ESQ_SR_ST_SU_SY_EESZ_S10_S11_S12_S16_S17_S18_S1B_S1C_jS1D_jS1E_S1E_jjS1G_bEUljE0_EEESZ_S10_S11_S18_S1C_S1E_T6_T7_T9_mT8_S1G_bDpT10_ENKUlT_T0_E_clISt17integral_constantIbLb0EES1U_EEDaS1P_S1Q_EUlS1P_E_NS1_11comp_targetILNS1_3genE5ELNS1_11target_archE942ELNS1_3gpuE9ELNS1_3repE0EEENS1_30default_config_static_selectorELNS0_4arch9wavefront6targetE0EEEvS12_
		.amdhsa_group_segment_fixed_size 0
		.amdhsa_private_segment_fixed_size 0
		.amdhsa_kernarg_size 176
		.amdhsa_user_sgpr_count 6
		.amdhsa_user_sgpr_private_segment_buffer 1
		.amdhsa_user_sgpr_dispatch_ptr 0
		.amdhsa_user_sgpr_queue_ptr 0
		.amdhsa_user_sgpr_kernarg_segment_ptr 1
		.amdhsa_user_sgpr_dispatch_id 0
		.amdhsa_user_sgpr_flat_scratch_init 0
		.amdhsa_user_sgpr_private_segment_size 0
		.amdhsa_wavefront_size32 1
		.amdhsa_uses_dynamic_stack 0
		.amdhsa_system_sgpr_private_segment_wavefront_offset 0
		.amdhsa_system_sgpr_workgroup_id_x 1
		.amdhsa_system_sgpr_workgroup_id_y 0
		.amdhsa_system_sgpr_workgroup_id_z 0
		.amdhsa_system_sgpr_workgroup_info 0
		.amdhsa_system_vgpr_workitem_id 0
		.amdhsa_next_free_vgpr 1
		.amdhsa_next_free_sgpr 1
		.amdhsa_reserve_vcc 0
		.amdhsa_reserve_flat_scratch 0
		.amdhsa_float_round_mode_32 0
		.amdhsa_float_round_mode_16_64 0
		.amdhsa_float_denorm_mode_32 3
		.amdhsa_float_denorm_mode_16_64 3
		.amdhsa_dx10_clamp 1
		.amdhsa_ieee_mode 1
		.amdhsa_fp16_overflow 0
		.amdhsa_workgroup_processor_mode 1
		.amdhsa_memory_ordered 1
		.amdhsa_forward_progress 1
		.amdhsa_shared_vgpr_count 0
		.amdhsa_exception_fp_ieee_invalid_op 0
		.amdhsa_exception_fp_denorm_src 0
		.amdhsa_exception_fp_ieee_div_zero 0
		.amdhsa_exception_fp_ieee_overflow 0
		.amdhsa_exception_fp_ieee_underflow 0
		.amdhsa_exception_fp_ieee_inexact 0
		.amdhsa_exception_int_div_zero 0
	.end_amdhsa_kernel
	.section	.text._ZN7rocprim17ROCPRIM_400000_NS6detail17trampoline_kernelINS0_13select_configILj256ELj13ELNS0_17block_load_methodE3ELS4_3ELS4_3ELNS0_20block_scan_algorithmE0ELj4294967295EEENS1_25partition_config_selectorILNS1_17partition_subalgoE4EjNS0_10empty_typeEbEEZZNS1_14partition_implILS8_4ELb0ES6_15HIP_vector_typeIjLj2EENS0_17counting_iteratorIjlEEPS9_SG_NS0_5tupleIJPjSI_NS0_16reverse_iteratorISI_EEEEENSH_IJSG_SG_SG_EEES9_SI_JZNS1_25segmented_radix_sort_implINS0_14default_configELb0EPKdPdPKlPlN2at6native12_GLOBAL__N_18offset_tEEE10hipError_tPvRmT1_PNSt15iterator_traitsIS12_E10value_typeET2_T3_PNS13_IS18_E10value_typeET4_jRbjT5_S1E_jjP12ihipStream_tbEUljE_ZNSN_ISO_Lb0ESQ_SR_ST_SU_SY_EESZ_S10_S11_S12_S16_S17_S18_S1B_S1C_jS1D_jS1E_S1E_jjS1G_bEUljE0_EEESZ_S10_S11_S18_S1C_S1E_T6_T7_T9_mT8_S1G_bDpT10_ENKUlT_T0_E_clISt17integral_constantIbLb0EES1U_EEDaS1P_S1Q_EUlS1P_E_NS1_11comp_targetILNS1_3genE5ELNS1_11target_archE942ELNS1_3gpuE9ELNS1_3repE0EEENS1_30default_config_static_selectorELNS0_4arch9wavefront6targetE0EEEvS12_,"axG",@progbits,_ZN7rocprim17ROCPRIM_400000_NS6detail17trampoline_kernelINS0_13select_configILj256ELj13ELNS0_17block_load_methodE3ELS4_3ELS4_3ELNS0_20block_scan_algorithmE0ELj4294967295EEENS1_25partition_config_selectorILNS1_17partition_subalgoE4EjNS0_10empty_typeEbEEZZNS1_14partition_implILS8_4ELb0ES6_15HIP_vector_typeIjLj2EENS0_17counting_iteratorIjlEEPS9_SG_NS0_5tupleIJPjSI_NS0_16reverse_iteratorISI_EEEEENSH_IJSG_SG_SG_EEES9_SI_JZNS1_25segmented_radix_sort_implINS0_14default_configELb0EPKdPdPKlPlN2at6native12_GLOBAL__N_18offset_tEEE10hipError_tPvRmT1_PNSt15iterator_traitsIS12_E10value_typeET2_T3_PNS13_IS18_E10value_typeET4_jRbjT5_S1E_jjP12ihipStream_tbEUljE_ZNSN_ISO_Lb0ESQ_SR_ST_SU_SY_EESZ_S10_S11_S12_S16_S17_S18_S1B_S1C_jS1D_jS1E_S1E_jjS1G_bEUljE0_EEESZ_S10_S11_S18_S1C_S1E_T6_T7_T9_mT8_S1G_bDpT10_ENKUlT_T0_E_clISt17integral_constantIbLb0EES1U_EEDaS1P_S1Q_EUlS1P_E_NS1_11comp_targetILNS1_3genE5ELNS1_11target_archE942ELNS1_3gpuE9ELNS1_3repE0EEENS1_30default_config_static_selectorELNS0_4arch9wavefront6targetE0EEEvS12_,comdat
.Lfunc_end1150:
	.size	_ZN7rocprim17ROCPRIM_400000_NS6detail17trampoline_kernelINS0_13select_configILj256ELj13ELNS0_17block_load_methodE3ELS4_3ELS4_3ELNS0_20block_scan_algorithmE0ELj4294967295EEENS1_25partition_config_selectorILNS1_17partition_subalgoE4EjNS0_10empty_typeEbEEZZNS1_14partition_implILS8_4ELb0ES6_15HIP_vector_typeIjLj2EENS0_17counting_iteratorIjlEEPS9_SG_NS0_5tupleIJPjSI_NS0_16reverse_iteratorISI_EEEEENSH_IJSG_SG_SG_EEES9_SI_JZNS1_25segmented_radix_sort_implINS0_14default_configELb0EPKdPdPKlPlN2at6native12_GLOBAL__N_18offset_tEEE10hipError_tPvRmT1_PNSt15iterator_traitsIS12_E10value_typeET2_T3_PNS13_IS18_E10value_typeET4_jRbjT5_S1E_jjP12ihipStream_tbEUljE_ZNSN_ISO_Lb0ESQ_SR_ST_SU_SY_EESZ_S10_S11_S12_S16_S17_S18_S1B_S1C_jS1D_jS1E_S1E_jjS1G_bEUljE0_EEESZ_S10_S11_S18_S1C_S1E_T6_T7_T9_mT8_S1G_bDpT10_ENKUlT_T0_E_clISt17integral_constantIbLb0EES1U_EEDaS1P_S1Q_EUlS1P_E_NS1_11comp_targetILNS1_3genE5ELNS1_11target_archE942ELNS1_3gpuE9ELNS1_3repE0EEENS1_30default_config_static_selectorELNS0_4arch9wavefront6targetE0EEEvS12_, .Lfunc_end1150-_ZN7rocprim17ROCPRIM_400000_NS6detail17trampoline_kernelINS0_13select_configILj256ELj13ELNS0_17block_load_methodE3ELS4_3ELS4_3ELNS0_20block_scan_algorithmE0ELj4294967295EEENS1_25partition_config_selectorILNS1_17partition_subalgoE4EjNS0_10empty_typeEbEEZZNS1_14partition_implILS8_4ELb0ES6_15HIP_vector_typeIjLj2EENS0_17counting_iteratorIjlEEPS9_SG_NS0_5tupleIJPjSI_NS0_16reverse_iteratorISI_EEEEENSH_IJSG_SG_SG_EEES9_SI_JZNS1_25segmented_radix_sort_implINS0_14default_configELb0EPKdPdPKlPlN2at6native12_GLOBAL__N_18offset_tEEE10hipError_tPvRmT1_PNSt15iterator_traitsIS12_E10value_typeET2_T3_PNS13_IS18_E10value_typeET4_jRbjT5_S1E_jjP12ihipStream_tbEUljE_ZNSN_ISO_Lb0ESQ_SR_ST_SU_SY_EESZ_S10_S11_S12_S16_S17_S18_S1B_S1C_jS1D_jS1E_S1E_jjS1G_bEUljE0_EEESZ_S10_S11_S18_S1C_S1E_T6_T7_T9_mT8_S1G_bDpT10_ENKUlT_T0_E_clISt17integral_constantIbLb0EES1U_EEDaS1P_S1Q_EUlS1P_E_NS1_11comp_targetILNS1_3genE5ELNS1_11target_archE942ELNS1_3gpuE9ELNS1_3repE0EEENS1_30default_config_static_selectorELNS0_4arch9wavefront6targetE0EEEvS12_
                                        ; -- End function
	.set _ZN7rocprim17ROCPRIM_400000_NS6detail17trampoline_kernelINS0_13select_configILj256ELj13ELNS0_17block_load_methodE3ELS4_3ELS4_3ELNS0_20block_scan_algorithmE0ELj4294967295EEENS1_25partition_config_selectorILNS1_17partition_subalgoE4EjNS0_10empty_typeEbEEZZNS1_14partition_implILS8_4ELb0ES6_15HIP_vector_typeIjLj2EENS0_17counting_iteratorIjlEEPS9_SG_NS0_5tupleIJPjSI_NS0_16reverse_iteratorISI_EEEEENSH_IJSG_SG_SG_EEES9_SI_JZNS1_25segmented_radix_sort_implINS0_14default_configELb0EPKdPdPKlPlN2at6native12_GLOBAL__N_18offset_tEEE10hipError_tPvRmT1_PNSt15iterator_traitsIS12_E10value_typeET2_T3_PNS13_IS18_E10value_typeET4_jRbjT5_S1E_jjP12ihipStream_tbEUljE_ZNSN_ISO_Lb0ESQ_SR_ST_SU_SY_EESZ_S10_S11_S12_S16_S17_S18_S1B_S1C_jS1D_jS1E_S1E_jjS1G_bEUljE0_EEESZ_S10_S11_S18_S1C_S1E_T6_T7_T9_mT8_S1G_bDpT10_ENKUlT_T0_E_clISt17integral_constantIbLb0EES1U_EEDaS1P_S1Q_EUlS1P_E_NS1_11comp_targetILNS1_3genE5ELNS1_11target_archE942ELNS1_3gpuE9ELNS1_3repE0EEENS1_30default_config_static_selectorELNS0_4arch9wavefront6targetE0EEEvS12_.num_vgpr, 0
	.set _ZN7rocprim17ROCPRIM_400000_NS6detail17trampoline_kernelINS0_13select_configILj256ELj13ELNS0_17block_load_methodE3ELS4_3ELS4_3ELNS0_20block_scan_algorithmE0ELj4294967295EEENS1_25partition_config_selectorILNS1_17partition_subalgoE4EjNS0_10empty_typeEbEEZZNS1_14partition_implILS8_4ELb0ES6_15HIP_vector_typeIjLj2EENS0_17counting_iteratorIjlEEPS9_SG_NS0_5tupleIJPjSI_NS0_16reverse_iteratorISI_EEEEENSH_IJSG_SG_SG_EEES9_SI_JZNS1_25segmented_radix_sort_implINS0_14default_configELb0EPKdPdPKlPlN2at6native12_GLOBAL__N_18offset_tEEE10hipError_tPvRmT1_PNSt15iterator_traitsIS12_E10value_typeET2_T3_PNS13_IS18_E10value_typeET4_jRbjT5_S1E_jjP12ihipStream_tbEUljE_ZNSN_ISO_Lb0ESQ_SR_ST_SU_SY_EESZ_S10_S11_S12_S16_S17_S18_S1B_S1C_jS1D_jS1E_S1E_jjS1G_bEUljE0_EEESZ_S10_S11_S18_S1C_S1E_T6_T7_T9_mT8_S1G_bDpT10_ENKUlT_T0_E_clISt17integral_constantIbLb0EES1U_EEDaS1P_S1Q_EUlS1P_E_NS1_11comp_targetILNS1_3genE5ELNS1_11target_archE942ELNS1_3gpuE9ELNS1_3repE0EEENS1_30default_config_static_selectorELNS0_4arch9wavefront6targetE0EEEvS12_.num_agpr, 0
	.set _ZN7rocprim17ROCPRIM_400000_NS6detail17trampoline_kernelINS0_13select_configILj256ELj13ELNS0_17block_load_methodE3ELS4_3ELS4_3ELNS0_20block_scan_algorithmE0ELj4294967295EEENS1_25partition_config_selectorILNS1_17partition_subalgoE4EjNS0_10empty_typeEbEEZZNS1_14partition_implILS8_4ELb0ES6_15HIP_vector_typeIjLj2EENS0_17counting_iteratorIjlEEPS9_SG_NS0_5tupleIJPjSI_NS0_16reverse_iteratorISI_EEEEENSH_IJSG_SG_SG_EEES9_SI_JZNS1_25segmented_radix_sort_implINS0_14default_configELb0EPKdPdPKlPlN2at6native12_GLOBAL__N_18offset_tEEE10hipError_tPvRmT1_PNSt15iterator_traitsIS12_E10value_typeET2_T3_PNS13_IS18_E10value_typeET4_jRbjT5_S1E_jjP12ihipStream_tbEUljE_ZNSN_ISO_Lb0ESQ_SR_ST_SU_SY_EESZ_S10_S11_S12_S16_S17_S18_S1B_S1C_jS1D_jS1E_S1E_jjS1G_bEUljE0_EEESZ_S10_S11_S18_S1C_S1E_T6_T7_T9_mT8_S1G_bDpT10_ENKUlT_T0_E_clISt17integral_constantIbLb0EES1U_EEDaS1P_S1Q_EUlS1P_E_NS1_11comp_targetILNS1_3genE5ELNS1_11target_archE942ELNS1_3gpuE9ELNS1_3repE0EEENS1_30default_config_static_selectorELNS0_4arch9wavefront6targetE0EEEvS12_.numbered_sgpr, 0
	.set _ZN7rocprim17ROCPRIM_400000_NS6detail17trampoline_kernelINS0_13select_configILj256ELj13ELNS0_17block_load_methodE3ELS4_3ELS4_3ELNS0_20block_scan_algorithmE0ELj4294967295EEENS1_25partition_config_selectorILNS1_17partition_subalgoE4EjNS0_10empty_typeEbEEZZNS1_14partition_implILS8_4ELb0ES6_15HIP_vector_typeIjLj2EENS0_17counting_iteratorIjlEEPS9_SG_NS0_5tupleIJPjSI_NS0_16reverse_iteratorISI_EEEEENSH_IJSG_SG_SG_EEES9_SI_JZNS1_25segmented_radix_sort_implINS0_14default_configELb0EPKdPdPKlPlN2at6native12_GLOBAL__N_18offset_tEEE10hipError_tPvRmT1_PNSt15iterator_traitsIS12_E10value_typeET2_T3_PNS13_IS18_E10value_typeET4_jRbjT5_S1E_jjP12ihipStream_tbEUljE_ZNSN_ISO_Lb0ESQ_SR_ST_SU_SY_EESZ_S10_S11_S12_S16_S17_S18_S1B_S1C_jS1D_jS1E_S1E_jjS1G_bEUljE0_EEESZ_S10_S11_S18_S1C_S1E_T6_T7_T9_mT8_S1G_bDpT10_ENKUlT_T0_E_clISt17integral_constantIbLb0EES1U_EEDaS1P_S1Q_EUlS1P_E_NS1_11comp_targetILNS1_3genE5ELNS1_11target_archE942ELNS1_3gpuE9ELNS1_3repE0EEENS1_30default_config_static_selectorELNS0_4arch9wavefront6targetE0EEEvS12_.num_named_barrier, 0
	.set _ZN7rocprim17ROCPRIM_400000_NS6detail17trampoline_kernelINS0_13select_configILj256ELj13ELNS0_17block_load_methodE3ELS4_3ELS4_3ELNS0_20block_scan_algorithmE0ELj4294967295EEENS1_25partition_config_selectorILNS1_17partition_subalgoE4EjNS0_10empty_typeEbEEZZNS1_14partition_implILS8_4ELb0ES6_15HIP_vector_typeIjLj2EENS0_17counting_iteratorIjlEEPS9_SG_NS0_5tupleIJPjSI_NS0_16reverse_iteratorISI_EEEEENSH_IJSG_SG_SG_EEES9_SI_JZNS1_25segmented_radix_sort_implINS0_14default_configELb0EPKdPdPKlPlN2at6native12_GLOBAL__N_18offset_tEEE10hipError_tPvRmT1_PNSt15iterator_traitsIS12_E10value_typeET2_T3_PNS13_IS18_E10value_typeET4_jRbjT5_S1E_jjP12ihipStream_tbEUljE_ZNSN_ISO_Lb0ESQ_SR_ST_SU_SY_EESZ_S10_S11_S12_S16_S17_S18_S1B_S1C_jS1D_jS1E_S1E_jjS1G_bEUljE0_EEESZ_S10_S11_S18_S1C_S1E_T6_T7_T9_mT8_S1G_bDpT10_ENKUlT_T0_E_clISt17integral_constantIbLb0EES1U_EEDaS1P_S1Q_EUlS1P_E_NS1_11comp_targetILNS1_3genE5ELNS1_11target_archE942ELNS1_3gpuE9ELNS1_3repE0EEENS1_30default_config_static_selectorELNS0_4arch9wavefront6targetE0EEEvS12_.private_seg_size, 0
	.set _ZN7rocprim17ROCPRIM_400000_NS6detail17trampoline_kernelINS0_13select_configILj256ELj13ELNS0_17block_load_methodE3ELS4_3ELS4_3ELNS0_20block_scan_algorithmE0ELj4294967295EEENS1_25partition_config_selectorILNS1_17partition_subalgoE4EjNS0_10empty_typeEbEEZZNS1_14partition_implILS8_4ELb0ES6_15HIP_vector_typeIjLj2EENS0_17counting_iteratorIjlEEPS9_SG_NS0_5tupleIJPjSI_NS0_16reverse_iteratorISI_EEEEENSH_IJSG_SG_SG_EEES9_SI_JZNS1_25segmented_radix_sort_implINS0_14default_configELb0EPKdPdPKlPlN2at6native12_GLOBAL__N_18offset_tEEE10hipError_tPvRmT1_PNSt15iterator_traitsIS12_E10value_typeET2_T3_PNS13_IS18_E10value_typeET4_jRbjT5_S1E_jjP12ihipStream_tbEUljE_ZNSN_ISO_Lb0ESQ_SR_ST_SU_SY_EESZ_S10_S11_S12_S16_S17_S18_S1B_S1C_jS1D_jS1E_S1E_jjS1G_bEUljE0_EEESZ_S10_S11_S18_S1C_S1E_T6_T7_T9_mT8_S1G_bDpT10_ENKUlT_T0_E_clISt17integral_constantIbLb0EES1U_EEDaS1P_S1Q_EUlS1P_E_NS1_11comp_targetILNS1_3genE5ELNS1_11target_archE942ELNS1_3gpuE9ELNS1_3repE0EEENS1_30default_config_static_selectorELNS0_4arch9wavefront6targetE0EEEvS12_.uses_vcc, 0
	.set _ZN7rocprim17ROCPRIM_400000_NS6detail17trampoline_kernelINS0_13select_configILj256ELj13ELNS0_17block_load_methodE3ELS4_3ELS4_3ELNS0_20block_scan_algorithmE0ELj4294967295EEENS1_25partition_config_selectorILNS1_17partition_subalgoE4EjNS0_10empty_typeEbEEZZNS1_14partition_implILS8_4ELb0ES6_15HIP_vector_typeIjLj2EENS0_17counting_iteratorIjlEEPS9_SG_NS0_5tupleIJPjSI_NS0_16reverse_iteratorISI_EEEEENSH_IJSG_SG_SG_EEES9_SI_JZNS1_25segmented_radix_sort_implINS0_14default_configELb0EPKdPdPKlPlN2at6native12_GLOBAL__N_18offset_tEEE10hipError_tPvRmT1_PNSt15iterator_traitsIS12_E10value_typeET2_T3_PNS13_IS18_E10value_typeET4_jRbjT5_S1E_jjP12ihipStream_tbEUljE_ZNSN_ISO_Lb0ESQ_SR_ST_SU_SY_EESZ_S10_S11_S12_S16_S17_S18_S1B_S1C_jS1D_jS1E_S1E_jjS1G_bEUljE0_EEESZ_S10_S11_S18_S1C_S1E_T6_T7_T9_mT8_S1G_bDpT10_ENKUlT_T0_E_clISt17integral_constantIbLb0EES1U_EEDaS1P_S1Q_EUlS1P_E_NS1_11comp_targetILNS1_3genE5ELNS1_11target_archE942ELNS1_3gpuE9ELNS1_3repE0EEENS1_30default_config_static_selectorELNS0_4arch9wavefront6targetE0EEEvS12_.uses_flat_scratch, 0
	.set _ZN7rocprim17ROCPRIM_400000_NS6detail17trampoline_kernelINS0_13select_configILj256ELj13ELNS0_17block_load_methodE3ELS4_3ELS4_3ELNS0_20block_scan_algorithmE0ELj4294967295EEENS1_25partition_config_selectorILNS1_17partition_subalgoE4EjNS0_10empty_typeEbEEZZNS1_14partition_implILS8_4ELb0ES6_15HIP_vector_typeIjLj2EENS0_17counting_iteratorIjlEEPS9_SG_NS0_5tupleIJPjSI_NS0_16reverse_iteratorISI_EEEEENSH_IJSG_SG_SG_EEES9_SI_JZNS1_25segmented_radix_sort_implINS0_14default_configELb0EPKdPdPKlPlN2at6native12_GLOBAL__N_18offset_tEEE10hipError_tPvRmT1_PNSt15iterator_traitsIS12_E10value_typeET2_T3_PNS13_IS18_E10value_typeET4_jRbjT5_S1E_jjP12ihipStream_tbEUljE_ZNSN_ISO_Lb0ESQ_SR_ST_SU_SY_EESZ_S10_S11_S12_S16_S17_S18_S1B_S1C_jS1D_jS1E_S1E_jjS1G_bEUljE0_EEESZ_S10_S11_S18_S1C_S1E_T6_T7_T9_mT8_S1G_bDpT10_ENKUlT_T0_E_clISt17integral_constantIbLb0EES1U_EEDaS1P_S1Q_EUlS1P_E_NS1_11comp_targetILNS1_3genE5ELNS1_11target_archE942ELNS1_3gpuE9ELNS1_3repE0EEENS1_30default_config_static_selectorELNS0_4arch9wavefront6targetE0EEEvS12_.has_dyn_sized_stack, 0
	.set _ZN7rocprim17ROCPRIM_400000_NS6detail17trampoline_kernelINS0_13select_configILj256ELj13ELNS0_17block_load_methodE3ELS4_3ELS4_3ELNS0_20block_scan_algorithmE0ELj4294967295EEENS1_25partition_config_selectorILNS1_17partition_subalgoE4EjNS0_10empty_typeEbEEZZNS1_14partition_implILS8_4ELb0ES6_15HIP_vector_typeIjLj2EENS0_17counting_iteratorIjlEEPS9_SG_NS0_5tupleIJPjSI_NS0_16reverse_iteratorISI_EEEEENSH_IJSG_SG_SG_EEES9_SI_JZNS1_25segmented_radix_sort_implINS0_14default_configELb0EPKdPdPKlPlN2at6native12_GLOBAL__N_18offset_tEEE10hipError_tPvRmT1_PNSt15iterator_traitsIS12_E10value_typeET2_T3_PNS13_IS18_E10value_typeET4_jRbjT5_S1E_jjP12ihipStream_tbEUljE_ZNSN_ISO_Lb0ESQ_SR_ST_SU_SY_EESZ_S10_S11_S12_S16_S17_S18_S1B_S1C_jS1D_jS1E_S1E_jjS1G_bEUljE0_EEESZ_S10_S11_S18_S1C_S1E_T6_T7_T9_mT8_S1G_bDpT10_ENKUlT_T0_E_clISt17integral_constantIbLb0EES1U_EEDaS1P_S1Q_EUlS1P_E_NS1_11comp_targetILNS1_3genE5ELNS1_11target_archE942ELNS1_3gpuE9ELNS1_3repE0EEENS1_30default_config_static_selectorELNS0_4arch9wavefront6targetE0EEEvS12_.has_recursion, 0
	.set _ZN7rocprim17ROCPRIM_400000_NS6detail17trampoline_kernelINS0_13select_configILj256ELj13ELNS0_17block_load_methodE3ELS4_3ELS4_3ELNS0_20block_scan_algorithmE0ELj4294967295EEENS1_25partition_config_selectorILNS1_17partition_subalgoE4EjNS0_10empty_typeEbEEZZNS1_14partition_implILS8_4ELb0ES6_15HIP_vector_typeIjLj2EENS0_17counting_iteratorIjlEEPS9_SG_NS0_5tupleIJPjSI_NS0_16reverse_iteratorISI_EEEEENSH_IJSG_SG_SG_EEES9_SI_JZNS1_25segmented_radix_sort_implINS0_14default_configELb0EPKdPdPKlPlN2at6native12_GLOBAL__N_18offset_tEEE10hipError_tPvRmT1_PNSt15iterator_traitsIS12_E10value_typeET2_T3_PNS13_IS18_E10value_typeET4_jRbjT5_S1E_jjP12ihipStream_tbEUljE_ZNSN_ISO_Lb0ESQ_SR_ST_SU_SY_EESZ_S10_S11_S12_S16_S17_S18_S1B_S1C_jS1D_jS1E_S1E_jjS1G_bEUljE0_EEESZ_S10_S11_S18_S1C_S1E_T6_T7_T9_mT8_S1G_bDpT10_ENKUlT_T0_E_clISt17integral_constantIbLb0EES1U_EEDaS1P_S1Q_EUlS1P_E_NS1_11comp_targetILNS1_3genE5ELNS1_11target_archE942ELNS1_3gpuE9ELNS1_3repE0EEENS1_30default_config_static_selectorELNS0_4arch9wavefront6targetE0EEEvS12_.has_indirect_call, 0
	.section	.AMDGPU.csdata,"",@progbits
; Kernel info:
; codeLenInByte = 0
; TotalNumSgprs: 0
; NumVgprs: 0
; ScratchSize: 0
; MemoryBound: 0
; FloatMode: 240
; IeeeMode: 1
; LDSByteSize: 0 bytes/workgroup (compile time only)
; SGPRBlocks: 0
; VGPRBlocks: 0
; NumSGPRsForWavesPerEU: 1
; NumVGPRsForWavesPerEU: 1
; Occupancy: 16
; WaveLimiterHint : 0
; COMPUTE_PGM_RSRC2:SCRATCH_EN: 0
; COMPUTE_PGM_RSRC2:USER_SGPR: 6
; COMPUTE_PGM_RSRC2:TRAP_HANDLER: 0
; COMPUTE_PGM_RSRC2:TGID_X_EN: 1
; COMPUTE_PGM_RSRC2:TGID_Y_EN: 0
; COMPUTE_PGM_RSRC2:TGID_Z_EN: 0
; COMPUTE_PGM_RSRC2:TIDIG_COMP_CNT: 0
	.section	.text._ZN7rocprim17ROCPRIM_400000_NS6detail17trampoline_kernelINS0_13select_configILj256ELj13ELNS0_17block_load_methodE3ELS4_3ELS4_3ELNS0_20block_scan_algorithmE0ELj4294967295EEENS1_25partition_config_selectorILNS1_17partition_subalgoE4EjNS0_10empty_typeEbEEZZNS1_14partition_implILS8_4ELb0ES6_15HIP_vector_typeIjLj2EENS0_17counting_iteratorIjlEEPS9_SG_NS0_5tupleIJPjSI_NS0_16reverse_iteratorISI_EEEEENSH_IJSG_SG_SG_EEES9_SI_JZNS1_25segmented_radix_sort_implINS0_14default_configELb0EPKdPdPKlPlN2at6native12_GLOBAL__N_18offset_tEEE10hipError_tPvRmT1_PNSt15iterator_traitsIS12_E10value_typeET2_T3_PNS13_IS18_E10value_typeET4_jRbjT5_S1E_jjP12ihipStream_tbEUljE_ZNSN_ISO_Lb0ESQ_SR_ST_SU_SY_EESZ_S10_S11_S12_S16_S17_S18_S1B_S1C_jS1D_jS1E_S1E_jjS1G_bEUljE0_EEESZ_S10_S11_S18_S1C_S1E_T6_T7_T9_mT8_S1G_bDpT10_ENKUlT_T0_E_clISt17integral_constantIbLb0EES1U_EEDaS1P_S1Q_EUlS1P_E_NS1_11comp_targetILNS1_3genE4ELNS1_11target_archE910ELNS1_3gpuE8ELNS1_3repE0EEENS1_30default_config_static_selectorELNS0_4arch9wavefront6targetE0EEEvS12_,"axG",@progbits,_ZN7rocprim17ROCPRIM_400000_NS6detail17trampoline_kernelINS0_13select_configILj256ELj13ELNS0_17block_load_methodE3ELS4_3ELS4_3ELNS0_20block_scan_algorithmE0ELj4294967295EEENS1_25partition_config_selectorILNS1_17partition_subalgoE4EjNS0_10empty_typeEbEEZZNS1_14partition_implILS8_4ELb0ES6_15HIP_vector_typeIjLj2EENS0_17counting_iteratorIjlEEPS9_SG_NS0_5tupleIJPjSI_NS0_16reverse_iteratorISI_EEEEENSH_IJSG_SG_SG_EEES9_SI_JZNS1_25segmented_radix_sort_implINS0_14default_configELb0EPKdPdPKlPlN2at6native12_GLOBAL__N_18offset_tEEE10hipError_tPvRmT1_PNSt15iterator_traitsIS12_E10value_typeET2_T3_PNS13_IS18_E10value_typeET4_jRbjT5_S1E_jjP12ihipStream_tbEUljE_ZNSN_ISO_Lb0ESQ_SR_ST_SU_SY_EESZ_S10_S11_S12_S16_S17_S18_S1B_S1C_jS1D_jS1E_S1E_jjS1G_bEUljE0_EEESZ_S10_S11_S18_S1C_S1E_T6_T7_T9_mT8_S1G_bDpT10_ENKUlT_T0_E_clISt17integral_constantIbLb0EES1U_EEDaS1P_S1Q_EUlS1P_E_NS1_11comp_targetILNS1_3genE4ELNS1_11target_archE910ELNS1_3gpuE8ELNS1_3repE0EEENS1_30default_config_static_selectorELNS0_4arch9wavefront6targetE0EEEvS12_,comdat
	.globl	_ZN7rocprim17ROCPRIM_400000_NS6detail17trampoline_kernelINS0_13select_configILj256ELj13ELNS0_17block_load_methodE3ELS4_3ELS4_3ELNS0_20block_scan_algorithmE0ELj4294967295EEENS1_25partition_config_selectorILNS1_17partition_subalgoE4EjNS0_10empty_typeEbEEZZNS1_14partition_implILS8_4ELb0ES6_15HIP_vector_typeIjLj2EENS0_17counting_iteratorIjlEEPS9_SG_NS0_5tupleIJPjSI_NS0_16reverse_iteratorISI_EEEEENSH_IJSG_SG_SG_EEES9_SI_JZNS1_25segmented_radix_sort_implINS0_14default_configELb0EPKdPdPKlPlN2at6native12_GLOBAL__N_18offset_tEEE10hipError_tPvRmT1_PNSt15iterator_traitsIS12_E10value_typeET2_T3_PNS13_IS18_E10value_typeET4_jRbjT5_S1E_jjP12ihipStream_tbEUljE_ZNSN_ISO_Lb0ESQ_SR_ST_SU_SY_EESZ_S10_S11_S12_S16_S17_S18_S1B_S1C_jS1D_jS1E_S1E_jjS1G_bEUljE0_EEESZ_S10_S11_S18_S1C_S1E_T6_T7_T9_mT8_S1G_bDpT10_ENKUlT_T0_E_clISt17integral_constantIbLb0EES1U_EEDaS1P_S1Q_EUlS1P_E_NS1_11comp_targetILNS1_3genE4ELNS1_11target_archE910ELNS1_3gpuE8ELNS1_3repE0EEENS1_30default_config_static_selectorELNS0_4arch9wavefront6targetE0EEEvS12_ ; -- Begin function _ZN7rocprim17ROCPRIM_400000_NS6detail17trampoline_kernelINS0_13select_configILj256ELj13ELNS0_17block_load_methodE3ELS4_3ELS4_3ELNS0_20block_scan_algorithmE0ELj4294967295EEENS1_25partition_config_selectorILNS1_17partition_subalgoE4EjNS0_10empty_typeEbEEZZNS1_14partition_implILS8_4ELb0ES6_15HIP_vector_typeIjLj2EENS0_17counting_iteratorIjlEEPS9_SG_NS0_5tupleIJPjSI_NS0_16reverse_iteratorISI_EEEEENSH_IJSG_SG_SG_EEES9_SI_JZNS1_25segmented_radix_sort_implINS0_14default_configELb0EPKdPdPKlPlN2at6native12_GLOBAL__N_18offset_tEEE10hipError_tPvRmT1_PNSt15iterator_traitsIS12_E10value_typeET2_T3_PNS13_IS18_E10value_typeET4_jRbjT5_S1E_jjP12ihipStream_tbEUljE_ZNSN_ISO_Lb0ESQ_SR_ST_SU_SY_EESZ_S10_S11_S12_S16_S17_S18_S1B_S1C_jS1D_jS1E_S1E_jjS1G_bEUljE0_EEESZ_S10_S11_S18_S1C_S1E_T6_T7_T9_mT8_S1G_bDpT10_ENKUlT_T0_E_clISt17integral_constantIbLb0EES1U_EEDaS1P_S1Q_EUlS1P_E_NS1_11comp_targetILNS1_3genE4ELNS1_11target_archE910ELNS1_3gpuE8ELNS1_3repE0EEENS1_30default_config_static_selectorELNS0_4arch9wavefront6targetE0EEEvS12_
	.p2align	8
	.type	_ZN7rocprim17ROCPRIM_400000_NS6detail17trampoline_kernelINS0_13select_configILj256ELj13ELNS0_17block_load_methodE3ELS4_3ELS4_3ELNS0_20block_scan_algorithmE0ELj4294967295EEENS1_25partition_config_selectorILNS1_17partition_subalgoE4EjNS0_10empty_typeEbEEZZNS1_14partition_implILS8_4ELb0ES6_15HIP_vector_typeIjLj2EENS0_17counting_iteratorIjlEEPS9_SG_NS0_5tupleIJPjSI_NS0_16reverse_iteratorISI_EEEEENSH_IJSG_SG_SG_EEES9_SI_JZNS1_25segmented_radix_sort_implINS0_14default_configELb0EPKdPdPKlPlN2at6native12_GLOBAL__N_18offset_tEEE10hipError_tPvRmT1_PNSt15iterator_traitsIS12_E10value_typeET2_T3_PNS13_IS18_E10value_typeET4_jRbjT5_S1E_jjP12ihipStream_tbEUljE_ZNSN_ISO_Lb0ESQ_SR_ST_SU_SY_EESZ_S10_S11_S12_S16_S17_S18_S1B_S1C_jS1D_jS1E_S1E_jjS1G_bEUljE0_EEESZ_S10_S11_S18_S1C_S1E_T6_T7_T9_mT8_S1G_bDpT10_ENKUlT_T0_E_clISt17integral_constantIbLb0EES1U_EEDaS1P_S1Q_EUlS1P_E_NS1_11comp_targetILNS1_3genE4ELNS1_11target_archE910ELNS1_3gpuE8ELNS1_3repE0EEENS1_30default_config_static_selectorELNS0_4arch9wavefront6targetE0EEEvS12_,@function
_ZN7rocprim17ROCPRIM_400000_NS6detail17trampoline_kernelINS0_13select_configILj256ELj13ELNS0_17block_load_methodE3ELS4_3ELS4_3ELNS0_20block_scan_algorithmE0ELj4294967295EEENS1_25partition_config_selectorILNS1_17partition_subalgoE4EjNS0_10empty_typeEbEEZZNS1_14partition_implILS8_4ELb0ES6_15HIP_vector_typeIjLj2EENS0_17counting_iteratorIjlEEPS9_SG_NS0_5tupleIJPjSI_NS0_16reverse_iteratorISI_EEEEENSH_IJSG_SG_SG_EEES9_SI_JZNS1_25segmented_radix_sort_implINS0_14default_configELb0EPKdPdPKlPlN2at6native12_GLOBAL__N_18offset_tEEE10hipError_tPvRmT1_PNSt15iterator_traitsIS12_E10value_typeET2_T3_PNS13_IS18_E10value_typeET4_jRbjT5_S1E_jjP12ihipStream_tbEUljE_ZNSN_ISO_Lb0ESQ_SR_ST_SU_SY_EESZ_S10_S11_S12_S16_S17_S18_S1B_S1C_jS1D_jS1E_S1E_jjS1G_bEUljE0_EEESZ_S10_S11_S18_S1C_S1E_T6_T7_T9_mT8_S1G_bDpT10_ENKUlT_T0_E_clISt17integral_constantIbLb0EES1U_EEDaS1P_S1Q_EUlS1P_E_NS1_11comp_targetILNS1_3genE4ELNS1_11target_archE910ELNS1_3gpuE8ELNS1_3repE0EEENS1_30default_config_static_selectorELNS0_4arch9wavefront6targetE0EEEvS12_: ; @_ZN7rocprim17ROCPRIM_400000_NS6detail17trampoline_kernelINS0_13select_configILj256ELj13ELNS0_17block_load_methodE3ELS4_3ELS4_3ELNS0_20block_scan_algorithmE0ELj4294967295EEENS1_25partition_config_selectorILNS1_17partition_subalgoE4EjNS0_10empty_typeEbEEZZNS1_14partition_implILS8_4ELb0ES6_15HIP_vector_typeIjLj2EENS0_17counting_iteratorIjlEEPS9_SG_NS0_5tupleIJPjSI_NS0_16reverse_iteratorISI_EEEEENSH_IJSG_SG_SG_EEES9_SI_JZNS1_25segmented_radix_sort_implINS0_14default_configELb0EPKdPdPKlPlN2at6native12_GLOBAL__N_18offset_tEEE10hipError_tPvRmT1_PNSt15iterator_traitsIS12_E10value_typeET2_T3_PNS13_IS18_E10value_typeET4_jRbjT5_S1E_jjP12ihipStream_tbEUljE_ZNSN_ISO_Lb0ESQ_SR_ST_SU_SY_EESZ_S10_S11_S12_S16_S17_S18_S1B_S1C_jS1D_jS1E_S1E_jjS1G_bEUljE0_EEESZ_S10_S11_S18_S1C_S1E_T6_T7_T9_mT8_S1G_bDpT10_ENKUlT_T0_E_clISt17integral_constantIbLb0EES1U_EEDaS1P_S1Q_EUlS1P_E_NS1_11comp_targetILNS1_3genE4ELNS1_11target_archE910ELNS1_3gpuE8ELNS1_3repE0EEENS1_30default_config_static_selectorELNS0_4arch9wavefront6targetE0EEEvS12_
; %bb.0:
	.section	.rodata,"a",@progbits
	.p2align	6, 0x0
	.amdhsa_kernel _ZN7rocprim17ROCPRIM_400000_NS6detail17trampoline_kernelINS0_13select_configILj256ELj13ELNS0_17block_load_methodE3ELS4_3ELS4_3ELNS0_20block_scan_algorithmE0ELj4294967295EEENS1_25partition_config_selectorILNS1_17partition_subalgoE4EjNS0_10empty_typeEbEEZZNS1_14partition_implILS8_4ELb0ES6_15HIP_vector_typeIjLj2EENS0_17counting_iteratorIjlEEPS9_SG_NS0_5tupleIJPjSI_NS0_16reverse_iteratorISI_EEEEENSH_IJSG_SG_SG_EEES9_SI_JZNS1_25segmented_radix_sort_implINS0_14default_configELb0EPKdPdPKlPlN2at6native12_GLOBAL__N_18offset_tEEE10hipError_tPvRmT1_PNSt15iterator_traitsIS12_E10value_typeET2_T3_PNS13_IS18_E10value_typeET4_jRbjT5_S1E_jjP12ihipStream_tbEUljE_ZNSN_ISO_Lb0ESQ_SR_ST_SU_SY_EESZ_S10_S11_S12_S16_S17_S18_S1B_S1C_jS1D_jS1E_S1E_jjS1G_bEUljE0_EEESZ_S10_S11_S18_S1C_S1E_T6_T7_T9_mT8_S1G_bDpT10_ENKUlT_T0_E_clISt17integral_constantIbLb0EES1U_EEDaS1P_S1Q_EUlS1P_E_NS1_11comp_targetILNS1_3genE4ELNS1_11target_archE910ELNS1_3gpuE8ELNS1_3repE0EEENS1_30default_config_static_selectorELNS0_4arch9wavefront6targetE0EEEvS12_
		.amdhsa_group_segment_fixed_size 0
		.amdhsa_private_segment_fixed_size 0
		.amdhsa_kernarg_size 176
		.amdhsa_user_sgpr_count 6
		.amdhsa_user_sgpr_private_segment_buffer 1
		.amdhsa_user_sgpr_dispatch_ptr 0
		.amdhsa_user_sgpr_queue_ptr 0
		.amdhsa_user_sgpr_kernarg_segment_ptr 1
		.amdhsa_user_sgpr_dispatch_id 0
		.amdhsa_user_sgpr_flat_scratch_init 0
		.amdhsa_user_sgpr_private_segment_size 0
		.amdhsa_wavefront_size32 1
		.amdhsa_uses_dynamic_stack 0
		.amdhsa_system_sgpr_private_segment_wavefront_offset 0
		.amdhsa_system_sgpr_workgroup_id_x 1
		.amdhsa_system_sgpr_workgroup_id_y 0
		.amdhsa_system_sgpr_workgroup_id_z 0
		.amdhsa_system_sgpr_workgroup_info 0
		.amdhsa_system_vgpr_workitem_id 0
		.amdhsa_next_free_vgpr 1
		.amdhsa_next_free_sgpr 1
		.amdhsa_reserve_vcc 0
		.amdhsa_reserve_flat_scratch 0
		.amdhsa_float_round_mode_32 0
		.amdhsa_float_round_mode_16_64 0
		.amdhsa_float_denorm_mode_32 3
		.amdhsa_float_denorm_mode_16_64 3
		.amdhsa_dx10_clamp 1
		.amdhsa_ieee_mode 1
		.amdhsa_fp16_overflow 0
		.amdhsa_workgroup_processor_mode 1
		.amdhsa_memory_ordered 1
		.amdhsa_forward_progress 1
		.amdhsa_shared_vgpr_count 0
		.amdhsa_exception_fp_ieee_invalid_op 0
		.amdhsa_exception_fp_denorm_src 0
		.amdhsa_exception_fp_ieee_div_zero 0
		.amdhsa_exception_fp_ieee_overflow 0
		.amdhsa_exception_fp_ieee_underflow 0
		.amdhsa_exception_fp_ieee_inexact 0
		.amdhsa_exception_int_div_zero 0
	.end_amdhsa_kernel
	.section	.text._ZN7rocprim17ROCPRIM_400000_NS6detail17trampoline_kernelINS0_13select_configILj256ELj13ELNS0_17block_load_methodE3ELS4_3ELS4_3ELNS0_20block_scan_algorithmE0ELj4294967295EEENS1_25partition_config_selectorILNS1_17partition_subalgoE4EjNS0_10empty_typeEbEEZZNS1_14partition_implILS8_4ELb0ES6_15HIP_vector_typeIjLj2EENS0_17counting_iteratorIjlEEPS9_SG_NS0_5tupleIJPjSI_NS0_16reverse_iteratorISI_EEEEENSH_IJSG_SG_SG_EEES9_SI_JZNS1_25segmented_radix_sort_implINS0_14default_configELb0EPKdPdPKlPlN2at6native12_GLOBAL__N_18offset_tEEE10hipError_tPvRmT1_PNSt15iterator_traitsIS12_E10value_typeET2_T3_PNS13_IS18_E10value_typeET4_jRbjT5_S1E_jjP12ihipStream_tbEUljE_ZNSN_ISO_Lb0ESQ_SR_ST_SU_SY_EESZ_S10_S11_S12_S16_S17_S18_S1B_S1C_jS1D_jS1E_S1E_jjS1G_bEUljE0_EEESZ_S10_S11_S18_S1C_S1E_T6_T7_T9_mT8_S1G_bDpT10_ENKUlT_T0_E_clISt17integral_constantIbLb0EES1U_EEDaS1P_S1Q_EUlS1P_E_NS1_11comp_targetILNS1_3genE4ELNS1_11target_archE910ELNS1_3gpuE8ELNS1_3repE0EEENS1_30default_config_static_selectorELNS0_4arch9wavefront6targetE0EEEvS12_,"axG",@progbits,_ZN7rocprim17ROCPRIM_400000_NS6detail17trampoline_kernelINS0_13select_configILj256ELj13ELNS0_17block_load_methodE3ELS4_3ELS4_3ELNS0_20block_scan_algorithmE0ELj4294967295EEENS1_25partition_config_selectorILNS1_17partition_subalgoE4EjNS0_10empty_typeEbEEZZNS1_14partition_implILS8_4ELb0ES6_15HIP_vector_typeIjLj2EENS0_17counting_iteratorIjlEEPS9_SG_NS0_5tupleIJPjSI_NS0_16reverse_iteratorISI_EEEEENSH_IJSG_SG_SG_EEES9_SI_JZNS1_25segmented_radix_sort_implINS0_14default_configELb0EPKdPdPKlPlN2at6native12_GLOBAL__N_18offset_tEEE10hipError_tPvRmT1_PNSt15iterator_traitsIS12_E10value_typeET2_T3_PNS13_IS18_E10value_typeET4_jRbjT5_S1E_jjP12ihipStream_tbEUljE_ZNSN_ISO_Lb0ESQ_SR_ST_SU_SY_EESZ_S10_S11_S12_S16_S17_S18_S1B_S1C_jS1D_jS1E_S1E_jjS1G_bEUljE0_EEESZ_S10_S11_S18_S1C_S1E_T6_T7_T9_mT8_S1G_bDpT10_ENKUlT_T0_E_clISt17integral_constantIbLb0EES1U_EEDaS1P_S1Q_EUlS1P_E_NS1_11comp_targetILNS1_3genE4ELNS1_11target_archE910ELNS1_3gpuE8ELNS1_3repE0EEENS1_30default_config_static_selectorELNS0_4arch9wavefront6targetE0EEEvS12_,comdat
.Lfunc_end1151:
	.size	_ZN7rocprim17ROCPRIM_400000_NS6detail17trampoline_kernelINS0_13select_configILj256ELj13ELNS0_17block_load_methodE3ELS4_3ELS4_3ELNS0_20block_scan_algorithmE0ELj4294967295EEENS1_25partition_config_selectorILNS1_17partition_subalgoE4EjNS0_10empty_typeEbEEZZNS1_14partition_implILS8_4ELb0ES6_15HIP_vector_typeIjLj2EENS0_17counting_iteratorIjlEEPS9_SG_NS0_5tupleIJPjSI_NS0_16reverse_iteratorISI_EEEEENSH_IJSG_SG_SG_EEES9_SI_JZNS1_25segmented_radix_sort_implINS0_14default_configELb0EPKdPdPKlPlN2at6native12_GLOBAL__N_18offset_tEEE10hipError_tPvRmT1_PNSt15iterator_traitsIS12_E10value_typeET2_T3_PNS13_IS18_E10value_typeET4_jRbjT5_S1E_jjP12ihipStream_tbEUljE_ZNSN_ISO_Lb0ESQ_SR_ST_SU_SY_EESZ_S10_S11_S12_S16_S17_S18_S1B_S1C_jS1D_jS1E_S1E_jjS1G_bEUljE0_EEESZ_S10_S11_S18_S1C_S1E_T6_T7_T9_mT8_S1G_bDpT10_ENKUlT_T0_E_clISt17integral_constantIbLb0EES1U_EEDaS1P_S1Q_EUlS1P_E_NS1_11comp_targetILNS1_3genE4ELNS1_11target_archE910ELNS1_3gpuE8ELNS1_3repE0EEENS1_30default_config_static_selectorELNS0_4arch9wavefront6targetE0EEEvS12_, .Lfunc_end1151-_ZN7rocprim17ROCPRIM_400000_NS6detail17trampoline_kernelINS0_13select_configILj256ELj13ELNS0_17block_load_methodE3ELS4_3ELS4_3ELNS0_20block_scan_algorithmE0ELj4294967295EEENS1_25partition_config_selectorILNS1_17partition_subalgoE4EjNS0_10empty_typeEbEEZZNS1_14partition_implILS8_4ELb0ES6_15HIP_vector_typeIjLj2EENS0_17counting_iteratorIjlEEPS9_SG_NS0_5tupleIJPjSI_NS0_16reverse_iteratorISI_EEEEENSH_IJSG_SG_SG_EEES9_SI_JZNS1_25segmented_radix_sort_implINS0_14default_configELb0EPKdPdPKlPlN2at6native12_GLOBAL__N_18offset_tEEE10hipError_tPvRmT1_PNSt15iterator_traitsIS12_E10value_typeET2_T3_PNS13_IS18_E10value_typeET4_jRbjT5_S1E_jjP12ihipStream_tbEUljE_ZNSN_ISO_Lb0ESQ_SR_ST_SU_SY_EESZ_S10_S11_S12_S16_S17_S18_S1B_S1C_jS1D_jS1E_S1E_jjS1G_bEUljE0_EEESZ_S10_S11_S18_S1C_S1E_T6_T7_T9_mT8_S1G_bDpT10_ENKUlT_T0_E_clISt17integral_constantIbLb0EES1U_EEDaS1P_S1Q_EUlS1P_E_NS1_11comp_targetILNS1_3genE4ELNS1_11target_archE910ELNS1_3gpuE8ELNS1_3repE0EEENS1_30default_config_static_selectorELNS0_4arch9wavefront6targetE0EEEvS12_
                                        ; -- End function
	.set _ZN7rocprim17ROCPRIM_400000_NS6detail17trampoline_kernelINS0_13select_configILj256ELj13ELNS0_17block_load_methodE3ELS4_3ELS4_3ELNS0_20block_scan_algorithmE0ELj4294967295EEENS1_25partition_config_selectorILNS1_17partition_subalgoE4EjNS0_10empty_typeEbEEZZNS1_14partition_implILS8_4ELb0ES6_15HIP_vector_typeIjLj2EENS0_17counting_iteratorIjlEEPS9_SG_NS0_5tupleIJPjSI_NS0_16reverse_iteratorISI_EEEEENSH_IJSG_SG_SG_EEES9_SI_JZNS1_25segmented_radix_sort_implINS0_14default_configELb0EPKdPdPKlPlN2at6native12_GLOBAL__N_18offset_tEEE10hipError_tPvRmT1_PNSt15iterator_traitsIS12_E10value_typeET2_T3_PNS13_IS18_E10value_typeET4_jRbjT5_S1E_jjP12ihipStream_tbEUljE_ZNSN_ISO_Lb0ESQ_SR_ST_SU_SY_EESZ_S10_S11_S12_S16_S17_S18_S1B_S1C_jS1D_jS1E_S1E_jjS1G_bEUljE0_EEESZ_S10_S11_S18_S1C_S1E_T6_T7_T9_mT8_S1G_bDpT10_ENKUlT_T0_E_clISt17integral_constantIbLb0EES1U_EEDaS1P_S1Q_EUlS1P_E_NS1_11comp_targetILNS1_3genE4ELNS1_11target_archE910ELNS1_3gpuE8ELNS1_3repE0EEENS1_30default_config_static_selectorELNS0_4arch9wavefront6targetE0EEEvS12_.num_vgpr, 0
	.set _ZN7rocprim17ROCPRIM_400000_NS6detail17trampoline_kernelINS0_13select_configILj256ELj13ELNS0_17block_load_methodE3ELS4_3ELS4_3ELNS0_20block_scan_algorithmE0ELj4294967295EEENS1_25partition_config_selectorILNS1_17partition_subalgoE4EjNS0_10empty_typeEbEEZZNS1_14partition_implILS8_4ELb0ES6_15HIP_vector_typeIjLj2EENS0_17counting_iteratorIjlEEPS9_SG_NS0_5tupleIJPjSI_NS0_16reverse_iteratorISI_EEEEENSH_IJSG_SG_SG_EEES9_SI_JZNS1_25segmented_radix_sort_implINS0_14default_configELb0EPKdPdPKlPlN2at6native12_GLOBAL__N_18offset_tEEE10hipError_tPvRmT1_PNSt15iterator_traitsIS12_E10value_typeET2_T3_PNS13_IS18_E10value_typeET4_jRbjT5_S1E_jjP12ihipStream_tbEUljE_ZNSN_ISO_Lb0ESQ_SR_ST_SU_SY_EESZ_S10_S11_S12_S16_S17_S18_S1B_S1C_jS1D_jS1E_S1E_jjS1G_bEUljE0_EEESZ_S10_S11_S18_S1C_S1E_T6_T7_T9_mT8_S1G_bDpT10_ENKUlT_T0_E_clISt17integral_constantIbLb0EES1U_EEDaS1P_S1Q_EUlS1P_E_NS1_11comp_targetILNS1_3genE4ELNS1_11target_archE910ELNS1_3gpuE8ELNS1_3repE0EEENS1_30default_config_static_selectorELNS0_4arch9wavefront6targetE0EEEvS12_.num_agpr, 0
	.set _ZN7rocprim17ROCPRIM_400000_NS6detail17trampoline_kernelINS0_13select_configILj256ELj13ELNS0_17block_load_methodE3ELS4_3ELS4_3ELNS0_20block_scan_algorithmE0ELj4294967295EEENS1_25partition_config_selectorILNS1_17partition_subalgoE4EjNS0_10empty_typeEbEEZZNS1_14partition_implILS8_4ELb0ES6_15HIP_vector_typeIjLj2EENS0_17counting_iteratorIjlEEPS9_SG_NS0_5tupleIJPjSI_NS0_16reverse_iteratorISI_EEEEENSH_IJSG_SG_SG_EEES9_SI_JZNS1_25segmented_radix_sort_implINS0_14default_configELb0EPKdPdPKlPlN2at6native12_GLOBAL__N_18offset_tEEE10hipError_tPvRmT1_PNSt15iterator_traitsIS12_E10value_typeET2_T3_PNS13_IS18_E10value_typeET4_jRbjT5_S1E_jjP12ihipStream_tbEUljE_ZNSN_ISO_Lb0ESQ_SR_ST_SU_SY_EESZ_S10_S11_S12_S16_S17_S18_S1B_S1C_jS1D_jS1E_S1E_jjS1G_bEUljE0_EEESZ_S10_S11_S18_S1C_S1E_T6_T7_T9_mT8_S1G_bDpT10_ENKUlT_T0_E_clISt17integral_constantIbLb0EES1U_EEDaS1P_S1Q_EUlS1P_E_NS1_11comp_targetILNS1_3genE4ELNS1_11target_archE910ELNS1_3gpuE8ELNS1_3repE0EEENS1_30default_config_static_selectorELNS0_4arch9wavefront6targetE0EEEvS12_.numbered_sgpr, 0
	.set _ZN7rocprim17ROCPRIM_400000_NS6detail17trampoline_kernelINS0_13select_configILj256ELj13ELNS0_17block_load_methodE3ELS4_3ELS4_3ELNS0_20block_scan_algorithmE0ELj4294967295EEENS1_25partition_config_selectorILNS1_17partition_subalgoE4EjNS0_10empty_typeEbEEZZNS1_14partition_implILS8_4ELb0ES6_15HIP_vector_typeIjLj2EENS0_17counting_iteratorIjlEEPS9_SG_NS0_5tupleIJPjSI_NS0_16reverse_iteratorISI_EEEEENSH_IJSG_SG_SG_EEES9_SI_JZNS1_25segmented_radix_sort_implINS0_14default_configELb0EPKdPdPKlPlN2at6native12_GLOBAL__N_18offset_tEEE10hipError_tPvRmT1_PNSt15iterator_traitsIS12_E10value_typeET2_T3_PNS13_IS18_E10value_typeET4_jRbjT5_S1E_jjP12ihipStream_tbEUljE_ZNSN_ISO_Lb0ESQ_SR_ST_SU_SY_EESZ_S10_S11_S12_S16_S17_S18_S1B_S1C_jS1D_jS1E_S1E_jjS1G_bEUljE0_EEESZ_S10_S11_S18_S1C_S1E_T6_T7_T9_mT8_S1G_bDpT10_ENKUlT_T0_E_clISt17integral_constantIbLb0EES1U_EEDaS1P_S1Q_EUlS1P_E_NS1_11comp_targetILNS1_3genE4ELNS1_11target_archE910ELNS1_3gpuE8ELNS1_3repE0EEENS1_30default_config_static_selectorELNS0_4arch9wavefront6targetE0EEEvS12_.num_named_barrier, 0
	.set _ZN7rocprim17ROCPRIM_400000_NS6detail17trampoline_kernelINS0_13select_configILj256ELj13ELNS0_17block_load_methodE3ELS4_3ELS4_3ELNS0_20block_scan_algorithmE0ELj4294967295EEENS1_25partition_config_selectorILNS1_17partition_subalgoE4EjNS0_10empty_typeEbEEZZNS1_14partition_implILS8_4ELb0ES6_15HIP_vector_typeIjLj2EENS0_17counting_iteratorIjlEEPS9_SG_NS0_5tupleIJPjSI_NS0_16reverse_iteratorISI_EEEEENSH_IJSG_SG_SG_EEES9_SI_JZNS1_25segmented_radix_sort_implINS0_14default_configELb0EPKdPdPKlPlN2at6native12_GLOBAL__N_18offset_tEEE10hipError_tPvRmT1_PNSt15iterator_traitsIS12_E10value_typeET2_T3_PNS13_IS18_E10value_typeET4_jRbjT5_S1E_jjP12ihipStream_tbEUljE_ZNSN_ISO_Lb0ESQ_SR_ST_SU_SY_EESZ_S10_S11_S12_S16_S17_S18_S1B_S1C_jS1D_jS1E_S1E_jjS1G_bEUljE0_EEESZ_S10_S11_S18_S1C_S1E_T6_T7_T9_mT8_S1G_bDpT10_ENKUlT_T0_E_clISt17integral_constantIbLb0EES1U_EEDaS1P_S1Q_EUlS1P_E_NS1_11comp_targetILNS1_3genE4ELNS1_11target_archE910ELNS1_3gpuE8ELNS1_3repE0EEENS1_30default_config_static_selectorELNS0_4arch9wavefront6targetE0EEEvS12_.private_seg_size, 0
	.set _ZN7rocprim17ROCPRIM_400000_NS6detail17trampoline_kernelINS0_13select_configILj256ELj13ELNS0_17block_load_methodE3ELS4_3ELS4_3ELNS0_20block_scan_algorithmE0ELj4294967295EEENS1_25partition_config_selectorILNS1_17partition_subalgoE4EjNS0_10empty_typeEbEEZZNS1_14partition_implILS8_4ELb0ES6_15HIP_vector_typeIjLj2EENS0_17counting_iteratorIjlEEPS9_SG_NS0_5tupleIJPjSI_NS0_16reverse_iteratorISI_EEEEENSH_IJSG_SG_SG_EEES9_SI_JZNS1_25segmented_radix_sort_implINS0_14default_configELb0EPKdPdPKlPlN2at6native12_GLOBAL__N_18offset_tEEE10hipError_tPvRmT1_PNSt15iterator_traitsIS12_E10value_typeET2_T3_PNS13_IS18_E10value_typeET4_jRbjT5_S1E_jjP12ihipStream_tbEUljE_ZNSN_ISO_Lb0ESQ_SR_ST_SU_SY_EESZ_S10_S11_S12_S16_S17_S18_S1B_S1C_jS1D_jS1E_S1E_jjS1G_bEUljE0_EEESZ_S10_S11_S18_S1C_S1E_T6_T7_T9_mT8_S1G_bDpT10_ENKUlT_T0_E_clISt17integral_constantIbLb0EES1U_EEDaS1P_S1Q_EUlS1P_E_NS1_11comp_targetILNS1_3genE4ELNS1_11target_archE910ELNS1_3gpuE8ELNS1_3repE0EEENS1_30default_config_static_selectorELNS0_4arch9wavefront6targetE0EEEvS12_.uses_vcc, 0
	.set _ZN7rocprim17ROCPRIM_400000_NS6detail17trampoline_kernelINS0_13select_configILj256ELj13ELNS0_17block_load_methodE3ELS4_3ELS4_3ELNS0_20block_scan_algorithmE0ELj4294967295EEENS1_25partition_config_selectorILNS1_17partition_subalgoE4EjNS0_10empty_typeEbEEZZNS1_14partition_implILS8_4ELb0ES6_15HIP_vector_typeIjLj2EENS0_17counting_iteratorIjlEEPS9_SG_NS0_5tupleIJPjSI_NS0_16reverse_iteratorISI_EEEEENSH_IJSG_SG_SG_EEES9_SI_JZNS1_25segmented_radix_sort_implINS0_14default_configELb0EPKdPdPKlPlN2at6native12_GLOBAL__N_18offset_tEEE10hipError_tPvRmT1_PNSt15iterator_traitsIS12_E10value_typeET2_T3_PNS13_IS18_E10value_typeET4_jRbjT5_S1E_jjP12ihipStream_tbEUljE_ZNSN_ISO_Lb0ESQ_SR_ST_SU_SY_EESZ_S10_S11_S12_S16_S17_S18_S1B_S1C_jS1D_jS1E_S1E_jjS1G_bEUljE0_EEESZ_S10_S11_S18_S1C_S1E_T6_T7_T9_mT8_S1G_bDpT10_ENKUlT_T0_E_clISt17integral_constantIbLb0EES1U_EEDaS1P_S1Q_EUlS1P_E_NS1_11comp_targetILNS1_3genE4ELNS1_11target_archE910ELNS1_3gpuE8ELNS1_3repE0EEENS1_30default_config_static_selectorELNS0_4arch9wavefront6targetE0EEEvS12_.uses_flat_scratch, 0
	.set _ZN7rocprim17ROCPRIM_400000_NS6detail17trampoline_kernelINS0_13select_configILj256ELj13ELNS0_17block_load_methodE3ELS4_3ELS4_3ELNS0_20block_scan_algorithmE0ELj4294967295EEENS1_25partition_config_selectorILNS1_17partition_subalgoE4EjNS0_10empty_typeEbEEZZNS1_14partition_implILS8_4ELb0ES6_15HIP_vector_typeIjLj2EENS0_17counting_iteratorIjlEEPS9_SG_NS0_5tupleIJPjSI_NS0_16reverse_iteratorISI_EEEEENSH_IJSG_SG_SG_EEES9_SI_JZNS1_25segmented_radix_sort_implINS0_14default_configELb0EPKdPdPKlPlN2at6native12_GLOBAL__N_18offset_tEEE10hipError_tPvRmT1_PNSt15iterator_traitsIS12_E10value_typeET2_T3_PNS13_IS18_E10value_typeET4_jRbjT5_S1E_jjP12ihipStream_tbEUljE_ZNSN_ISO_Lb0ESQ_SR_ST_SU_SY_EESZ_S10_S11_S12_S16_S17_S18_S1B_S1C_jS1D_jS1E_S1E_jjS1G_bEUljE0_EEESZ_S10_S11_S18_S1C_S1E_T6_T7_T9_mT8_S1G_bDpT10_ENKUlT_T0_E_clISt17integral_constantIbLb0EES1U_EEDaS1P_S1Q_EUlS1P_E_NS1_11comp_targetILNS1_3genE4ELNS1_11target_archE910ELNS1_3gpuE8ELNS1_3repE0EEENS1_30default_config_static_selectorELNS0_4arch9wavefront6targetE0EEEvS12_.has_dyn_sized_stack, 0
	.set _ZN7rocprim17ROCPRIM_400000_NS6detail17trampoline_kernelINS0_13select_configILj256ELj13ELNS0_17block_load_methodE3ELS4_3ELS4_3ELNS0_20block_scan_algorithmE0ELj4294967295EEENS1_25partition_config_selectorILNS1_17partition_subalgoE4EjNS0_10empty_typeEbEEZZNS1_14partition_implILS8_4ELb0ES6_15HIP_vector_typeIjLj2EENS0_17counting_iteratorIjlEEPS9_SG_NS0_5tupleIJPjSI_NS0_16reverse_iteratorISI_EEEEENSH_IJSG_SG_SG_EEES9_SI_JZNS1_25segmented_radix_sort_implINS0_14default_configELb0EPKdPdPKlPlN2at6native12_GLOBAL__N_18offset_tEEE10hipError_tPvRmT1_PNSt15iterator_traitsIS12_E10value_typeET2_T3_PNS13_IS18_E10value_typeET4_jRbjT5_S1E_jjP12ihipStream_tbEUljE_ZNSN_ISO_Lb0ESQ_SR_ST_SU_SY_EESZ_S10_S11_S12_S16_S17_S18_S1B_S1C_jS1D_jS1E_S1E_jjS1G_bEUljE0_EEESZ_S10_S11_S18_S1C_S1E_T6_T7_T9_mT8_S1G_bDpT10_ENKUlT_T0_E_clISt17integral_constantIbLb0EES1U_EEDaS1P_S1Q_EUlS1P_E_NS1_11comp_targetILNS1_3genE4ELNS1_11target_archE910ELNS1_3gpuE8ELNS1_3repE0EEENS1_30default_config_static_selectorELNS0_4arch9wavefront6targetE0EEEvS12_.has_recursion, 0
	.set _ZN7rocprim17ROCPRIM_400000_NS6detail17trampoline_kernelINS0_13select_configILj256ELj13ELNS0_17block_load_methodE3ELS4_3ELS4_3ELNS0_20block_scan_algorithmE0ELj4294967295EEENS1_25partition_config_selectorILNS1_17partition_subalgoE4EjNS0_10empty_typeEbEEZZNS1_14partition_implILS8_4ELb0ES6_15HIP_vector_typeIjLj2EENS0_17counting_iteratorIjlEEPS9_SG_NS0_5tupleIJPjSI_NS0_16reverse_iteratorISI_EEEEENSH_IJSG_SG_SG_EEES9_SI_JZNS1_25segmented_radix_sort_implINS0_14default_configELb0EPKdPdPKlPlN2at6native12_GLOBAL__N_18offset_tEEE10hipError_tPvRmT1_PNSt15iterator_traitsIS12_E10value_typeET2_T3_PNS13_IS18_E10value_typeET4_jRbjT5_S1E_jjP12ihipStream_tbEUljE_ZNSN_ISO_Lb0ESQ_SR_ST_SU_SY_EESZ_S10_S11_S12_S16_S17_S18_S1B_S1C_jS1D_jS1E_S1E_jjS1G_bEUljE0_EEESZ_S10_S11_S18_S1C_S1E_T6_T7_T9_mT8_S1G_bDpT10_ENKUlT_T0_E_clISt17integral_constantIbLb0EES1U_EEDaS1P_S1Q_EUlS1P_E_NS1_11comp_targetILNS1_3genE4ELNS1_11target_archE910ELNS1_3gpuE8ELNS1_3repE0EEENS1_30default_config_static_selectorELNS0_4arch9wavefront6targetE0EEEvS12_.has_indirect_call, 0
	.section	.AMDGPU.csdata,"",@progbits
; Kernel info:
; codeLenInByte = 0
; TotalNumSgprs: 0
; NumVgprs: 0
; ScratchSize: 0
; MemoryBound: 0
; FloatMode: 240
; IeeeMode: 1
; LDSByteSize: 0 bytes/workgroup (compile time only)
; SGPRBlocks: 0
; VGPRBlocks: 0
; NumSGPRsForWavesPerEU: 1
; NumVGPRsForWavesPerEU: 1
; Occupancy: 16
; WaveLimiterHint : 0
; COMPUTE_PGM_RSRC2:SCRATCH_EN: 0
; COMPUTE_PGM_RSRC2:USER_SGPR: 6
; COMPUTE_PGM_RSRC2:TRAP_HANDLER: 0
; COMPUTE_PGM_RSRC2:TGID_X_EN: 1
; COMPUTE_PGM_RSRC2:TGID_Y_EN: 0
; COMPUTE_PGM_RSRC2:TGID_Z_EN: 0
; COMPUTE_PGM_RSRC2:TIDIG_COMP_CNT: 0
	.section	.text._ZN7rocprim17ROCPRIM_400000_NS6detail17trampoline_kernelINS0_13select_configILj256ELj13ELNS0_17block_load_methodE3ELS4_3ELS4_3ELNS0_20block_scan_algorithmE0ELj4294967295EEENS1_25partition_config_selectorILNS1_17partition_subalgoE4EjNS0_10empty_typeEbEEZZNS1_14partition_implILS8_4ELb0ES6_15HIP_vector_typeIjLj2EENS0_17counting_iteratorIjlEEPS9_SG_NS0_5tupleIJPjSI_NS0_16reverse_iteratorISI_EEEEENSH_IJSG_SG_SG_EEES9_SI_JZNS1_25segmented_radix_sort_implINS0_14default_configELb0EPKdPdPKlPlN2at6native12_GLOBAL__N_18offset_tEEE10hipError_tPvRmT1_PNSt15iterator_traitsIS12_E10value_typeET2_T3_PNS13_IS18_E10value_typeET4_jRbjT5_S1E_jjP12ihipStream_tbEUljE_ZNSN_ISO_Lb0ESQ_SR_ST_SU_SY_EESZ_S10_S11_S12_S16_S17_S18_S1B_S1C_jS1D_jS1E_S1E_jjS1G_bEUljE0_EEESZ_S10_S11_S18_S1C_S1E_T6_T7_T9_mT8_S1G_bDpT10_ENKUlT_T0_E_clISt17integral_constantIbLb0EES1U_EEDaS1P_S1Q_EUlS1P_E_NS1_11comp_targetILNS1_3genE3ELNS1_11target_archE908ELNS1_3gpuE7ELNS1_3repE0EEENS1_30default_config_static_selectorELNS0_4arch9wavefront6targetE0EEEvS12_,"axG",@progbits,_ZN7rocprim17ROCPRIM_400000_NS6detail17trampoline_kernelINS0_13select_configILj256ELj13ELNS0_17block_load_methodE3ELS4_3ELS4_3ELNS0_20block_scan_algorithmE0ELj4294967295EEENS1_25partition_config_selectorILNS1_17partition_subalgoE4EjNS0_10empty_typeEbEEZZNS1_14partition_implILS8_4ELb0ES6_15HIP_vector_typeIjLj2EENS0_17counting_iteratorIjlEEPS9_SG_NS0_5tupleIJPjSI_NS0_16reverse_iteratorISI_EEEEENSH_IJSG_SG_SG_EEES9_SI_JZNS1_25segmented_radix_sort_implINS0_14default_configELb0EPKdPdPKlPlN2at6native12_GLOBAL__N_18offset_tEEE10hipError_tPvRmT1_PNSt15iterator_traitsIS12_E10value_typeET2_T3_PNS13_IS18_E10value_typeET4_jRbjT5_S1E_jjP12ihipStream_tbEUljE_ZNSN_ISO_Lb0ESQ_SR_ST_SU_SY_EESZ_S10_S11_S12_S16_S17_S18_S1B_S1C_jS1D_jS1E_S1E_jjS1G_bEUljE0_EEESZ_S10_S11_S18_S1C_S1E_T6_T7_T9_mT8_S1G_bDpT10_ENKUlT_T0_E_clISt17integral_constantIbLb0EES1U_EEDaS1P_S1Q_EUlS1P_E_NS1_11comp_targetILNS1_3genE3ELNS1_11target_archE908ELNS1_3gpuE7ELNS1_3repE0EEENS1_30default_config_static_selectorELNS0_4arch9wavefront6targetE0EEEvS12_,comdat
	.globl	_ZN7rocprim17ROCPRIM_400000_NS6detail17trampoline_kernelINS0_13select_configILj256ELj13ELNS0_17block_load_methodE3ELS4_3ELS4_3ELNS0_20block_scan_algorithmE0ELj4294967295EEENS1_25partition_config_selectorILNS1_17partition_subalgoE4EjNS0_10empty_typeEbEEZZNS1_14partition_implILS8_4ELb0ES6_15HIP_vector_typeIjLj2EENS0_17counting_iteratorIjlEEPS9_SG_NS0_5tupleIJPjSI_NS0_16reverse_iteratorISI_EEEEENSH_IJSG_SG_SG_EEES9_SI_JZNS1_25segmented_radix_sort_implINS0_14default_configELb0EPKdPdPKlPlN2at6native12_GLOBAL__N_18offset_tEEE10hipError_tPvRmT1_PNSt15iterator_traitsIS12_E10value_typeET2_T3_PNS13_IS18_E10value_typeET4_jRbjT5_S1E_jjP12ihipStream_tbEUljE_ZNSN_ISO_Lb0ESQ_SR_ST_SU_SY_EESZ_S10_S11_S12_S16_S17_S18_S1B_S1C_jS1D_jS1E_S1E_jjS1G_bEUljE0_EEESZ_S10_S11_S18_S1C_S1E_T6_T7_T9_mT8_S1G_bDpT10_ENKUlT_T0_E_clISt17integral_constantIbLb0EES1U_EEDaS1P_S1Q_EUlS1P_E_NS1_11comp_targetILNS1_3genE3ELNS1_11target_archE908ELNS1_3gpuE7ELNS1_3repE0EEENS1_30default_config_static_selectorELNS0_4arch9wavefront6targetE0EEEvS12_ ; -- Begin function _ZN7rocprim17ROCPRIM_400000_NS6detail17trampoline_kernelINS0_13select_configILj256ELj13ELNS0_17block_load_methodE3ELS4_3ELS4_3ELNS0_20block_scan_algorithmE0ELj4294967295EEENS1_25partition_config_selectorILNS1_17partition_subalgoE4EjNS0_10empty_typeEbEEZZNS1_14partition_implILS8_4ELb0ES6_15HIP_vector_typeIjLj2EENS0_17counting_iteratorIjlEEPS9_SG_NS0_5tupleIJPjSI_NS0_16reverse_iteratorISI_EEEEENSH_IJSG_SG_SG_EEES9_SI_JZNS1_25segmented_radix_sort_implINS0_14default_configELb0EPKdPdPKlPlN2at6native12_GLOBAL__N_18offset_tEEE10hipError_tPvRmT1_PNSt15iterator_traitsIS12_E10value_typeET2_T3_PNS13_IS18_E10value_typeET4_jRbjT5_S1E_jjP12ihipStream_tbEUljE_ZNSN_ISO_Lb0ESQ_SR_ST_SU_SY_EESZ_S10_S11_S12_S16_S17_S18_S1B_S1C_jS1D_jS1E_S1E_jjS1G_bEUljE0_EEESZ_S10_S11_S18_S1C_S1E_T6_T7_T9_mT8_S1G_bDpT10_ENKUlT_T0_E_clISt17integral_constantIbLb0EES1U_EEDaS1P_S1Q_EUlS1P_E_NS1_11comp_targetILNS1_3genE3ELNS1_11target_archE908ELNS1_3gpuE7ELNS1_3repE0EEENS1_30default_config_static_selectorELNS0_4arch9wavefront6targetE0EEEvS12_
	.p2align	8
	.type	_ZN7rocprim17ROCPRIM_400000_NS6detail17trampoline_kernelINS0_13select_configILj256ELj13ELNS0_17block_load_methodE3ELS4_3ELS4_3ELNS0_20block_scan_algorithmE0ELj4294967295EEENS1_25partition_config_selectorILNS1_17partition_subalgoE4EjNS0_10empty_typeEbEEZZNS1_14partition_implILS8_4ELb0ES6_15HIP_vector_typeIjLj2EENS0_17counting_iteratorIjlEEPS9_SG_NS0_5tupleIJPjSI_NS0_16reverse_iteratorISI_EEEEENSH_IJSG_SG_SG_EEES9_SI_JZNS1_25segmented_radix_sort_implINS0_14default_configELb0EPKdPdPKlPlN2at6native12_GLOBAL__N_18offset_tEEE10hipError_tPvRmT1_PNSt15iterator_traitsIS12_E10value_typeET2_T3_PNS13_IS18_E10value_typeET4_jRbjT5_S1E_jjP12ihipStream_tbEUljE_ZNSN_ISO_Lb0ESQ_SR_ST_SU_SY_EESZ_S10_S11_S12_S16_S17_S18_S1B_S1C_jS1D_jS1E_S1E_jjS1G_bEUljE0_EEESZ_S10_S11_S18_S1C_S1E_T6_T7_T9_mT8_S1G_bDpT10_ENKUlT_T0_E_clISt17integral_constantIbLb0EES1U_EEDaS1P_S1Q_EUlS1P_E_NS1_11comp_targetILNS1_3genE3ELNS1_11target_archE908ELNS1_3gpuE7ELNS1_3repE0EEENS1_30default_config_static_selectorELNS0_4arch9wavefront6targetE0EEEvS12_,@function
_ZN7rocprim17ROCPRIM_400000_NS6detail17trampoline_kernelINS0_13select_configILj256ELj13ELNS0_17block_load_methodE3ELS4_3ELS4_3ELNS0_20block_scan_algorithmE0ELj4294967295EEENS1_25partition_config_selectorILNS1_17partition_subalgoE4EjNS0_10empty_typeEbEEZZNS1_14partition_implILS8_4ELb0ES6_15HIP_vector_typeIjLj2EENS0_17counting_iteratorIjlEEPS9_SG_NS0_5tupleIJPjSI_NS0_16reverse_iteratorISI_EEEEENSH_IJSG_SG_SG_EEES9_SI_JZNS1_25segmented_radix_sort_implINS0_14default_configELb0EPKdPdPKlPlN2at6native12_GLOBAL__N_18offset_tEEE10hipError_tPvRmT1_PNSt15iterator_traitsIS12_E10value_typeET2_T3_PNS13_IS18_E10value_typeET4_jRbjT5_S1E_jjP12ihipStream_tbEUljE_ZNSN_ISO_Lb0ESQ_SR_ST_SU_SY_EESZ_S10_S11_S12_S16_S17_S18_S1B_S1C_jS1D_jS1E_S1E_jjS1G_bEUljE0_EEESZ_S10_S11_S18_S1C_S1E_T6_T7_T9_mT8_S1G_bDpT10_ENKUlT_T0_E_clISt17integral_constantIbLb0EES1U_EEDaS1P_S1Q_EUlS1P_E_NS1_11comp_targetILNS1_3genE3ELNS1_11target_archE908ELNS1_3gpuE7ELNS1_3repE0EEENS1_30default_config_static_selectorELNS0_4arch9wavefront6targetE0EEEvS12_: ; @_ZN7rocprim17ROCPRIM_400000_NS6detail17trampoline_kernelINS0_13select_configILj256ELj13ELNS0_17block_load_methodE3ELS4_3ELS4_3ELNS0_20block_scan_algorithmE0ELj4294967295EEENS1_25partition_config_selectorILNS1_17partition_subalgoE4EjNS0_10empty_typeEbEEZZNS1_14partition_implILS8_4ELb0ES6_15HIP_vector_typeIjLj2EENS0_17counting_iteratorIjlEEPS9_SG_NS0_5tupleIJPjSI_NS0_16reverse_iteratorISI_EEEEENSH_IJSG_SG_SG_EEES9_SI_JZNS1_25segmented_radix_sort_implINS0_14default_configELb0EPKdPdPKlPlN2at6native12_GLOBAL__N_18offset_tEEE10hipError_tPvRmT1_PNSt15iterator_traitsIS12_E10value_typeET2_T3_PNS13_IS18_E10value_typeET4_jRbjT5_S1E_jjP12ihipStream_tbEUljE_ZNSN_ISO_Lb0ESQ_SR_ST_SU_SY_EESZ_S10_S11_S12_S16_S17_S18_S1B_S1C_jS1D_jS1E_S1E_jjS1G_bEUljE0_EEESZ_S10_S11_S18_S1C_S1E_T6_T7_T9_mT8_S1G_bDpT10_ENKUlT_T0_E_clISt17integral_constantIbLb0EES1U_EEDaS1P_S1Q_EUlS1P_E_NS1_11comp_targetILNS1_3genE3ELNS1_11target_archE908ELNS1_3gpuE7ELNS1_3repE0EEENS1_30default_config_static_selectorELNS0_4arch9wavefront6targetE0EEEvS12_
; %bb.0:
	.section	.rodata,"a",@progbits
	.p2align	6, 0x0
	.amdhsa_kernel _ZN7rocprim17ROCPRIM_400000_NS6detail17trampoline_kernelINS0_13select_configILj256ELj13ELNS0_17block_load_methodE3ELS4_3ELS4_3ELNS0_20block_scan_algorithmE0ELj4294967295EEENS1_25partition_config_selectorILNS1_17partition_subalgoE4EjNS0_10empty_typeEbEEZZNS1_14partition_implILS8_4ELb0ES6_15HIP_vector_typeIjLj2EENS0_17counting_iteratorIjlEEPS9_SG_NS0_5tupleIJPjSI_NS0_16reverse_iteratorISI_EEEEENSH_IJSG_SG_SG_EEES9_SI_JZNS1_25segmented_radix_sort_implINS0_14default_configELb0EPKdPdPKlPlN2at6native12_GLOBAL__N_18offset_tEEE10hipError_tPvRmT1_PNSt15iterator_traitsIS12_E10value_typeET2_T3_PNS13_IS18_E10value_typeET4_jRbjT5_S1E_jjP12ihipStream_tbEUljE_ZNSN_ISO_Lb0ESQ_SR_ST_SU_SY_EESZ_S10_S11_S12_S16_S17_S18_S1B_S1C_jS1D_jS1E_S1E_jjS1G_bEUljE0_EEESZ_S10_S11_S18_S1C_S1E_T6_T7_T9_mT8_S1G_bDpT10_ENKUlT_T0_E_clISt17integral_constantIbLb0EES1U_EEDaS1P_S1Q_EUlS1P_E_NS1_11comp_targetILNS1_3genE3ELNS1_11target_archE908ELNS1_3gpuE7ELNS1_3repE0EEENS1_30default_config_static_selectorELNS0_4arch9wavefront6targetE0EEEvS12_
		.amdhsa_group_segment_fixed_size 0
		.amdhsa_private_segment_fixed_size 0
		.amdhsa_kernarg_size 176
		.amdhsa_user_sgpr_count 6
		.amdhsa_user_sgpr_private_segment_buffer 1
		.amdhsa_user_sgpr_dispatch_ptr 0
		.amdhsa_user_sgpr_queue_ptr 0
		.amdhsa_user_sgpr_kernarg_segment_ptr 1
		.amdhsa_user_sgpr_dispatch_id 0
		.amdhsa_user_sgpr_flat_scratch_init 0
		.amdhsa_user_sgpr_private_segment_size 0
		.amdhsa_wavefront_size32 1
		.amdhsa_uses_dynamic_stack 0
		.amdhsa_system_sgpr_private_segment_wavefront_offset 0
		.amdhsa_system_sgpr_workgroup_id_x 1
		.amdhsa_system_sgpr_workgroup_id_y 0
		.amdhsa_system_sgpr_workgroup_id_z 0
		.amdhsa_system_sgpr_workgroup_info 0
		.amdhsa_system_vgpr_workitem_id 0
		.amdhsa_next_free_vgpr 1
		.amdhsa_next_free_sgpr 1
		.amdhsa_reserve_vcc 0
		.amdhsa_reserve_flat_scratch 0
		.amdhsa_float_round_mode_32 0
		.amdhsa_float_round_mode_16_64 0
		.amdhsa_float_denorm_mode_32 3
		.amdhsa_float_denorm_mode_16_64 3
		.amdhsa_dx10_clamp 1
		.amdhsa_ieee_mode 1
		.amdhsa_fp16_overflow 0
		.amdhsa_workgroup_processor_mode 1
		.amdhsa_memory_ordered 1
		.amdhsa_forward_progress 1
		.amdhsa_shared_vgpr_count 0
		.amdhsa_exception_fp_ieee_invalid_op 0
		.amdhsa_exception_fp_denorm_src 0
		.amdhsa_exception_fp_ieee_div_zero 0
		.amdhsa_exception_fp_ieee_overflow 0
		.amdhsa_exception_fp_ieee_underflow 0
		.amdhsa_exception_fp_ieee_inexact 0
		.amdhsa_exception_int_div_zero 0
	.end_amdhsa_kernel
	.section	.text._ZN7rocprim17ROCPRIM_400000_NS6detail17trampoline_kernelINS0_13select_configILj256ELj13ELNS0_17block_load_methodE3ELS4_3ELS4_3ELNS0_20block_scan_algorithmE0ELj4294967295EEENS1_25partition_config_selectorILNS1_17partition_subalgoE4EjNS0_10empty_typeEbEEZZNS1_14partition_implILS8_4ELb0ES6_15HIP_vector_typeIjLj2EENS0_17counting_iteratorIjlEEPS9_SG_NS0_5tupleIJPjSI_NS0_16reverse_iteratorISI_EEEEENSH_IJSG_SG_SG_EEES9_SI_JZNS1_25segmented_radix_sort_implINS0_14default_configELb0EPKdPdPKlPlN2at6native12_GLOBAL__N_18offset_tEEE10hipError_tPvRmT1_PNSt15iterator_traitsIS12_E10value_typeET2_T3_PNS13_IS18_E10value_typeET4_jRbjT5_S1E_jjP12ihipStream_tbEUljE_ZNSN_ISO_Lb0ESQ_SR_ST_SU_SY_EESZ_S10_S11_S12_S16_S17_S18_S1B_S1C_jS1D_jS1E_S1E_jjS1G_bEUljE0_EEESZ_S10_S11_S18_S1C_S1E_T6_T7_T9_mT8_S1G_bDpT10_ENKUlT_T0_E_clISt17integral_constantIbLb0EES1U_EEDaS1P_S1Q_EUlS1P_E_NS1_11comp_targetILNS1_3genE3ELNS1_11target_archE908ELNS1_3gpuE7ELNS1_3repE0EEENS1_30default_config_static_selectorELNS0_4arch9wavefront6targetE0EEEvS12_,"axG",@progbits,_ZN7rocprim17ROCPRIM_400000_NS6detail17trampoline_kernelINS0_13select_configILj256ELj13ELNS0_17block_load_methodE3ELS4_3ELS4_3ELNS0_20block_scan_algorithmE0ELj4294967295EEENS1_25partition_config_selectorILNS1_17partition_subalgoE4EjNS0_10empty_typeEbEEZZNS1_14partition_implILS8_4ELb0ES6_15HIP_vector_typeIjLj2EENS0_17counting_iteratorIjlEEPS9_SG_NS0_5tupleIJPjSI_NS0_16reverse_iteratorISI_EEEEENSH_IJSG_SG_SG_EEES9_SI_JZNS1_25segmented_radix_sort_implINS0_14default_configELb0EPKdPdPKlPlN2at6native12_GLOBAL__N_18offset_tEEE10hipError_tPvRmT1_PNSt15iterator_traitsIS12_E10value_typeET2_T3_PNS13_IS18_E10value_typeET4_jRbjT5_S1E_jjP12ihipStream_tbEUljE_ZNSN_ISO_Lb0ESQ_SR_ST_SU_SY_EESZ_S10_S11_S12_S16_S17_S18_S1B_S1C_jS1D_jS1E_S1E_jjS1G_bEUljE0_EEESZ_S10_S11_S18_S1C_S1E_T6_T7_T9_mT8_S1G_bDpT10_ENKUlT_T0_E_clISt17integral_constantIbLb0EES1U_EEDaS1P_S1Q_EUlS1P_E_NS1_11comp_targetILNS1_3genE3ELNS1_11target_archE908ELNS1_3gpuE7ELNS1_3repE0EEENS1_30default_config_static_selectorELNS0_4arch9wavefront6targetE0EEEvS12_,comdat
.Lfunc_end1152:
	.size	_ZN7rocprim17ROCPRIM_400000_NS6detail17trampoline_kernelINS0_13select_configILj256ELj13ELNS0_17block_load_methodE3ELS4_3ELS4_3ELNS0_20block_scan_algorithmE0ELj4294967295EEENS1_25partition_config_selectorILNS1_17partition_subalgoE4EjNS0_10empty_typeEbEEZZNS1_14partition_implILS8_4ELb0ES6_15HIP_vector_typeIjLj2EENS0_17counting_iteratorIjlEEPS9_SG_NS0_5tupleIJPjSI_NS0_16reverse_iteratorISI_EEEEENSH_IJSG_SG_SG_EEES9_SI_JZNS1_25segmented_radix_sort_implINS0_14default_configELb0EPKdPdPKlPlN2at6native12_GLOBAL__N_18offset_tEEE10hipError_tPvRmT1_PNSt15iterator_traitsIS12_E10value_typeET2_T3_PNS13_IS18_E10value_typeET4_jRbjT5_S1E_jjP12ihipStream_tbEUljE_ZNSN_ISO_Lb0ESQ_SR_ST_SU_SY_EESZ_S10_S11_S12_S16_S17_S18_S1B_S1C_jS1D_jS1E_S1E_jjS1G_bEUljE0_EEESZ_S10_S11_S18_S1C_S1E_T6_T7_T9_mT8_S1G_bDpT10_ENKUlT_T0_E_clISt17integral_constantIbLb0EES1U_EEDaS1P_S1Q_EUlS1P_E_NS1_11comp_targetILNS1_3genE3ELNS1_11target_archE908ELNS1_3gpuE7ELNS1_3repE0EEENS1_30default_config_static_selectorELNS0_4arch9wavefront6targetE0EEEvS12_, .Lfunc_end1152-_ZN7rocprim17ROCPRIM_400000_NS6detail17trampoline_kernelINS0_13select_configILj256ELj13ELNS0_17block_load_methodE3ELS4_3ELS4_3ELNS0_20block_scan_algorithmE0ELj4294967295EEENS1_25partition_config_selectorILNS1_17partition_subalgoE4EjNS0_10empty_typeEbEEZZNS1_14partition_implILS8_4ELb0ES6_15HIP_vector_typeIjLj2EENS0_17counting_iteratorIjlEEPS9_SG_NS0_5tupleIJPjSI_NS0_16reverse_iteratorISI_EEEEENSH_IJSG_SG_SG_EEES9_SI_JZNS1_25segmented_radix_sort_implINS0_14default_configELb0EPKdPdPKlPlN2at6native12_GLOBAL__N_18offset_tEEE10hipError_tPvRmT1_PNSt15iterator_traitsIS12_E10value_typeET2_T3_PNS13_IS18_E10value_typeET4_jRbjT5_S1E_jjP12ihipStream_tbEUljE_ZNSN_ISO_Lb0ESQ_SR_ST_SU_SY_EESZ_S10_S11_S12_S16_S17_S18_S1B_S1C_jS1D_jS1E_S1E_jjS1G_bEUljE0_EEESZ_S10_S11_S18_S1C_S1E_T6_T7_T9_mT8_S1G_bDpT10_ENKUlT_T0_E_clISt17integral_constantIbLb0EES1U_EEDaS1P_S1Q_EUlS1P_E_NS1_11comp_targetILNS1_3genE3ELNS1_11target_archE908ELNS1_3gpuE7ELNS1_3repE0EEENS1_30default_config_static_selectorELNS0_4arch9wavefront6targetE0EEEvS12_
                                        ; -- End function
	.set _ZN7rocprim17ROCPRIM_400000_NS6detail17trampoline_kernelINS0_13select_configILj256ELj13ELNS0_17block_load_methodE3ELS4_3ELS4_3ELNS0_20block_scan_algorithmE0ELj4294967295EEENS1_25partition_config_selectorILNS1_17partition_subalgoE4EjNS0_10empty_typeEbEEZZNS1_14partition_implILS8_4ELb0ES6_15HIP_vector_typeIjLj2EENS0_17counting_iteratorIjlEEPS9_SG_NS0_5tupleIJPjSI_NS0_16reverse_iteratorISI_EEEEENSH_IJSG_SG_SG_EEES9_SI_JZNS1_25segmented_radix_sort_implINS0_14default_configELb0EPKdPdPKlPlN2at6native12_GLOBAL__N_18offset_tEEE10hipError_tPvRmT1_PNSt15iterator_traitsIS12_E10value_typeET2_T3_PNS13_IS18_E10value_typeET4_jRbjT5_S1E_jjP12ihipStream_tbEUljE_ZNSN_ISO_Lb0ESQ_SR_ST_SU_SY_EESZ_S10_S11_S12_S16_S17_S18_S1B_S1C_jS1D_jS1E_S1E_jjS1G_bEUljE0_EEESZ_S10_S11_S18_S1C_S1E_T6_T7_T9_mT8_S1G_bDpT10_ENKUlT_T0_E_clISt17integral_constantIbLb0EES1U_EEDaS1P_S1Q_EUlS1P_E_NS1_11comp_targetILNS1_3genE3ELNS1_11target_archE908ELNS1_3gpuE7ELNS1_3repE0EEENS1_30default_config_static_selectorELNS0_4arch9wavefront6targetE0EEEvS12_.num_vgpr, 0
	.set _ZN7rocprim17ROCPRIM_400000_NS6detail17trampoline_kernelINS0_13select_configILj256ELj13ELNS0_17block_load_methodE3ELS4_3ELS4_3ELNS0_20block_scan_algorithmE0ELj4294967295EEENS1_25partition_config_selectorILNS1_17partition_subalgoE4EjNS0_10empty_typeEbEEZZNS1_14partition_implILS8_4ELb0ES6_15HIP_vector_typeIjLj2EENS0_17counting_iteratorIjlEEPS9_SG_NS0_5tupleIJPjSI_NS0_16reverse_iteratorISI_EEEEENSH_IJSG_SG_SG_EEES9_SI_JZNS1_25segmented_radix_sort_implINS0_14default_configELb0EPKdPdPKlPlN2at6native12_GLOBAL__N_18offset_tEEE10hipError_tPvRmT1_PNSt15iterator_traitsIS12_E10value_typeET2_T3_PNS13_IS18_E10value_typeET4_jRbjT5_S1E_jjP12ihipStream_tbEUljE_ZNSN_ISO_Lb0ESQ_SR_ST_SU_SY_EESZ_S10_S11_S12_S16_S17_S18_S1B_S1C_jS1D_jS1E_S1E_jjS1G_bEUljE0_EEESZ_S10_S11_S18_S1C_S1E_T6_T7_T9_mT8_S1G_bDpT10_ENKUlT_T0_E_clISt17integral_constantIbLb0EES1U_EEDaS1P_S1Q_EUlS1P_E_NS1_11comp_targetILNS1_3genE3ELNS1_11target_archE908ELNS1_3gpuE7ELNS1_3repE0EEENS1_30default_config_static_selectorELNS0_4arch9wavefront6targetE0EEEvS12_.num_agpr, 0
	.set _ZN7rocprim17ROCPRIM_400000_NS6detail17trampoline_kernelINS0_13select_configILj256ELj13ELNS0_17block_load_methodE3ELS4_3ELS4_3ELNS0_20block_scan_algorithmE0ELj4294967295EEENS1_25partition_config_selectorILNS1_17partition_subalgoE4EjNS0_10empty_typeEbEEZZNS1_14partition_implILS8_4ELb0ES6_15HIP_vector_typeIjLj2EENS0_17counting_iteratorIjlEEPS9_SG_NS0_5tupleIJPjSI_NS0_16reverse_iteratorISI_EEEEENSH_IJSG_SG_SG_EEES9_SI_JZNS1_25segmented_radix_sort_implINS0_14default_configELb0EPKdPdPKlPlN2at6native12_GLOBAL__N_18offset_tEEE10hipError_tPvRmT1_PNSt15iterator_traitsIS12_E10value_typeET2_T3_PNS13_IS18_E10value_typeET4_jRbjT5_S1E_jjP12ihipStream_tbEUljE_ZNSN_ISO_Lb0ESQ_SR_ST_SU_SY_EESZ_S10_S11_S12_S16_S17_S18_S1B_S1C_jS1D_jS1E_S1E_jjS1G_bEUljE0_EEESZ_S10_S11_S18_S1C_S1E_T6_T7_T9_mT8_S1G_bDpT10_ENKUlT_T0_E_clISt17integral_constantIbLb0EES1U_EEDaS1P_S1Q_EUlS1P_E_NS1_11comp_targetILNS1_3genE3ELNS1_11target_archE908ELNS1_3gpuE7ELNS1_3repE0EEENS1_30default_config_static_selectorELNS0_4arch9wavefront6targetE0EEEvS12_.numbered_sgpr, 0
	.set _ZN7rocprim17ROCPRIM_400000_NS6detail17trampoline_kernelINS0_13select_configILj256ELj13ELNS0_17block_load_methodE3ELS4_3ELS4_3ELNS0_20block_scan_algorithmE0ELj4294967295EEENS1_25partition_config_selectorILNS1_17partition_subalgoE4EjNS0_10empty_typeEbEEZZNS1_14partition_implILS8_4ELb0ES6_15HIP_vector_typeIjLj2EENS0_17counting_iteratorIjlEEPS9_SG_NS0_5tupleIJPjSI_NS0_16reverse_iteratorISI_EEEEENSH_IJSG_SG_SG_EEES9_SI_JZNS1_25segmented_radix_sort_implINS0_14default_configELb0EPKdPdPKlPlN2at6native12_GLOBAL__N_18offset_tEEE10hipError_tPvRmT1_PNSt15iterator_traitsIS12_E10value_typeET2_T3_PNS13_IS18_E10value_typeET4_jRbjT5_S1E_jjP12ihipStream_tbEUljE_ZNSN_ISO_Lb0ESQ_SR_ST_SU_SY_EESZ_S10_S11_S12_S16_S17_S18_S1B_S1C_jS1D_jS1E_S1E_jjS1G_bEUljE0_EEESZ_S10_S11_S18_S1C_S1E_T6_T7_T9_mT8_S1G_bDpT10_ENKUlT_T0_E_clISt17integral_constantIbLb0EES1U_EEDaS1P_S1Q_EUlS1P_E_NS1_11comp_targetILNS1_3genE3ELNS1_11target_archE908ELNS1_3gpuE7ELNS1_3repE0EEENS1_30default_config_static_selectorELNS0_4arch9wavefront6targetE0EEEvS12_.num_named_barrier, 0
	.set _ZN7rocprim17ROCPRIM_400000_NS6detail17trampoline_kernelINS0_13select_configILj256ELj13ELNS0_17block_load_methodE3ELS4_3ELS4_3ELNS0_20block_scan_algorithmE0ELj4294967295EEENS1_25partition_config_selectorILNS1_17partition_subalgoE4EjNS0_10empty_typeEbEEZZNS1_14partition_implILS8_4ELb0ES6_15HIP_vector_typeIjLj2EENS0_17counting_iteratorIjlEEPS9_SG_NS0_5tupleIJPjSI_NS0_16reverse_iteratorISI_EEEEENSH_IJSG_SG_SG_EEES9_SI_JZNS1_25segmented_radix_sort_implINS0_14default_configELb0EPKdPdPKlPlN2at6native12_GLOBAL__N_18offset_tEEE10hipError_tPvRmT1_PNSt15iterator_traitsIS12_E10value_typeET2_T3_PNS13_IS18_E10value_typeET4_jRbjT5_S1E_jjP12ihipStream_tbEUljE_ZNSN_ISO_Lb0ESQ_SR_ST_SU_SY_EESZ_S10_S11_S12_S16_S17_S18_S1B_S1C_jS1D_jS1E_S1E_jjS1G_bEUljE0_EEESZ_S10_S11_S18_S1C_S1E_T6_T7_T9_mT8_S1G_bDpT10_ENKUlT_T0_E_clISt17integral_constantIbLb0EES1U_EEDaS1P_S1Q_EUlS1P_E_NS1_11comp_targetILNS1_3genE3ELNS1_11target_archE908ELNS1_3gpuE7ELNS1_3repE0EEENS1_30default_config_static_selectorELNS0_4arch9wavefront6targetE0EEEvS12_.private_seg_size, 0
	.set _ZN7rocprim17ROCPRIM_400000_NS6detail17trampoline_kernelINS0_13select_configILj256ELj13ELNS0_17block_load_methodE3ELS4_3ELS4_3ELNS0_20block_scan_algorithmE0ELj4294967295EEENS1_25partition_config_selectorILNS1_17partition_subalgoE4EjNS0_10empty_typeEbEEZZNS1_14partition_implILS8_4ELb0ES6_15HIP_vector_typeIjLj2EENS0_17counting_iteratorIjlEEPS9_SG_NS0_5tupleIJPjSI_NS0_16reverse_iteratorISI_EEEEENSH_IJSG_SG_SG_EEES9_SI_JZNS1_25segmented_radix_sort_implINS0_14default_configELb0EPKdPdPKlPlN2at6native12_GLOBAL__N_18offset_tEEE10hipError_tPvRmT1_PNSt15iterator_traitsIS12_E10value_typeET2_T3_PNS13_IS18_E10value_typeET4_jRbjT5_S1E_jjP12ihipStream_tbEUljE_ZNSN_ISO_Lb0ESQ_SR_ST_SU_SY_EESZ_S10_S11_S12_S16_S17_S18_S1B_S1C_jS1D_jS1E_S1E_jjS1G_bEUljE0_EEESZ_S10_S11_S18_S1C_S1E_T6_T7_T9_mT8_S1G_bDpT10_ENKUlT_T0_E_clISt17integral_constantIbLb0EES1U_EEDaS1P_S1Q_EUlS1P_E_NS1_11comp_targetILNS1_3genE3ELNS1_11target_archE908ELNS1_3gpuE7ELNS1_3repE0EEENS1_30default_config_static_selectorELNS0_4arch9wavefront6targetE0EEEvS12_.uses_vcc, 0
	.set _ZN7rocprim17ROCPRIM_400000_NS6detail17trampoline_kernelINS0_13select_configILj256ELj13ELNS0_17block_load_methodE3ELS4_3ELS4_3ELNS0_20block_scan_algorithmE0ELj4294967295EEENS1_25partition_config_selectorILNS1_17partition_subalgoE4EjNS0_10empty_typeEbEEZZNS1_14partition_implILS8_4ELb0ES6_15HIP_vector_typeIjLj2EENS0_17counting_iteratorIjlEEPS9_SG_NS0_5tupleIJPjSI_NS0_16reverse_iteratorISI_EEEEENSH_IJSG_SG_SG_EEES9_SI_JZNS1_25segmented_radix_sort_implINS0_14default_configELb0EPKdPdPKlPlN2at6native12_GLOBAL__N_18offset_tEEE10hipError_tPvRmT1_PNSt15iterator_traitsIS12_E10value_typeET2_T3_PNS13_IS18_E10value_typeET4_jRbjT5_S1E_jjP12ihipStream_tbEUljE_ZNSN_ISO_Lb0ESQ_SR_ST_SU_SY_EESZ_S10_S11_S12_S16_S17_S18_S1B_S1C_jS1D_jS1E_S1E_jjS1G_bEUljE0_EEESZ_S10_S11_S18_S1C_S1E_T6_T7_T9_mT8_S1G_bDpT10_ENKUlT_T0_E_clISt17integral_constantIbLb0EES1U_EEDaS1P_S1Q_EUlS1P_E_NS1_11comp_targetILNS1_3genE3ELNS1_11target_archE908ELNS1_3gpuE7ELNS1_3repE0EEENS1_30default_config_static_selectorELNS0_4arch9wavefront6targetE0EEEvS12_.uses_flat_scratch, 0
	.set _ZN7rocprim17ROCPRIM_400000_NS6detail17trampoline_kernelINS0_13select_configILj256ELj13ELNS0_17block_load_methodE3ELS4_3ELS4_3ELNS0_20block_scan_algorithmE0ELj4294967295EEENS1_25partition_config_selectorILNS1_17partition_subalgoE4EjNS0_10empty_typeEbEEZZNS1_14partition_implILS8_4ELb0ES6_15HIP_vector_typeIjLj2EENS0_17counting_iteratorIjlEEPS9_SG_NS0_5tupleIJPjSI_NS0_16reverse_iteratorISI_EEEEENSH_IJSG_SG_SG_EEES9_SI_JZNS1_25segmented_radix_sort_implINS0_14default_configELb0EPKdPdPKlPlN2at6native12_GLOBAL__N_18offset_tEEE10hipError_tPvRmT1_PNSt15iterator_traitsIS12_E10value_typeET2_T3_PNS13_IS18_E10value_typeET4_jRbjT5_S1E_jjP12ihipStream_tbEUljE_ZNSN_ISO_Lb0ESQ_SR_ST_SU_SY_EESZ_S10_S11_S12_S16_S17_S18_S1B_S1C_jS1D_jS1E_S1E_jjS1G_bEUljE0_EEESZ_S10_S11_S18_S1C_S1E_T6_T7_T9_mT8_S1G_bDpT10_ENKUlT_T0_E_clISt17integral_constantIbLb0EES1U_EEDaS1P_S1Q_EUlS1P_E_NS1_11comp_targetILNS1_3genE3ELNS1_11target_archE908ELNS1_3gpuE7ELNS1_3repE0EEENS1_30default_config_static_selectorELNS0_4arch9wavefront6targetE0EEEvS12_.has_dyn_sized_stack, 0
	.set _ZN7rocprim17ROCPRIM_400000_NS6detail17trampoline_kernelINS0_13select_configILj256ELj13ELNS0_17block_load_methodE3ELS4_3ELS4_3ELNS0_20block_scan_algorithmE0ELj4294967295EEENS1_25partition_config_selectorILNS1_17partition_subalgoE4EjNS0_10empty_typeEbEEZZNS1_14partition_implILS8_4ELb0ES6_15HIP_vector_typeIjLj2EENS0_17counting_iteratorIjlEEPS9_SG_NS0_5tupleIJPjSI_NS0_16reverse_iteratorISI_EEEEENSH_IJSG_SG_SG_EEES9_SI_JZNS1_25segmented_radix_sort_implINS0_14default_configELb0EPKdPdPKlPlN2at6native12_GLOBAL__N_18offset_tEEE10hipError_tPvRmT1_PNSt15iterator_traitsIS12_E10value_typeET2_T3_PNS13_IS18_E10value_typeET4_jRbjT5_S1E_jjP12ihipStream_tbEUljE_ZNSN_ISO_Lb0ESQ_SR_ST_SU_SY_EESZ_S10_S11_S12_S16_S17_S18_S1B_S1C_jS1D_jS1E_S1E_jjS1G_bEUljE0_EEESZ_S10_S11_S18_S1C_S1E_T6_T7_T9_mT8_S1G_bDpT10_ENKUlT_T0_E_clISt17integral_constantIbLb0EES1U_EEDaS1P_S1Q_EUlS1P_E_NS1_11comp_targetILNS1_3genE3ELNS1_11target_archE908ELNS1_3gpuE7ELNS1_3repE0EEENS1_30default_config_static_selectorELNS0_4arch9wavefront6targetE0EEEvS12_.has_recursion, 0
	.set _ZN7rocprim17ROCPRIM_400000_NS6detail17trampoline_kernelINS0_13select_configILj256ELj13ELNS0_17block_load_methodE3ELS4_3ELS4_3ELNS0_20block_scan_algorithmE0ELj4294967295EEENS1_25partition_config_selectorILNS1_17partition_subalgoE4EjNS0_10empty_typeEbEEZZNS1_14partition_implILS8_4ELb0ES6_15HIP_vector_typeIjLj2EENS0_17counting_iteratorIjlEEPS9_SG_NS0_5tupleIJPjSI_NS0_16reverse_iteratorISI_EEEEENSH_IJSG_SG_SG_EEES9_SI_JZNS1_25segmented_radix_sort_implINS0_14default_configELb0EPKdPdPKlPlN2at6native12_GLOBAL__N_18offset_tEEE10hipError_tPvRmT1_PNSt15iterator_traitsIS12_E10value_typeET2_T3_PNS13_IS18_E10value_typeET4_jRbjT5_S1E_jjP12ihipStream_tbEUljE_ZNSN_ISO_Lb0ESQ_SR_ST_SU_SY_EESZ_S10_S11_S12_S16_S17_S18_S1B_S1C_jS1D_jS1E_S1E_jjS1G_bEUljE0_EEESZ_S10_S11_S18_S1C_S1E_T6_T7_T9_mT8_S1G_bDpT10_ENKUlT_T0_E_clISt17integral_constantIbLb0EES1U_EEDaS1P_S1Q_EUlS1P_E_NS1_11comp_targetILNS1_3genE3ELNS1_11target_archE908ELNS1_3gpuE7ELNS1_3repE0EEENS1_30default_config_static_selectorELNS0_4arch9wavefront6targetE0EEEvS12_.has_indirect_call, 0
	.section	.AMDGPU.csdata,"",@progbits
; Kernel info:
; codeLenInByte = 0
; TotalNumSgprs: 0
; NumVgprs: 0
; ScratchSize: 0
; MemoryBound: 0
; FloatMode: 240
; IeeeMode: 1
; LDSByteSize: 0 bytes/workgroup (compile time only)
; SGPRBlocks: 0
; VGPRBlocks: 0
; NumSGPRsForWavesPerEU: 1
; NumVGPRsForWavesPerEU: 1
; Occupancy: 16
; WaveLimiterHint : 0
; COMPUTE_PGM_RSRC2:SCRATCH_EN: 0
; COMPUTE_PGM_RSRC2:USER_SGPR: 6
; COMPUTE_PGM_RSRC2:TRAP_HANDLER: 0
; COMPUTE_PGM_RSRC2:TGID_X_EN: 1
; COMPUTE_PGM_RSRC2:TGID_Y_EN: 0
; COMPUTE_PGM_RSRC2:TGID_Z_EN: 0
; COMPUTE_PGM_RSRC2:TIDIG_COMP_CNT: 0
	.section	.text._ZN7rocprim17ROCPRIM_400000_NS6detail17trampoline_kernelINS0_13select_configILj256ELj13ELNS0_17block_load_methodE3ELS4_3ELS4_3ELNS0_20block_scan_algorithmE0ELj4294967295EEENS1_25partition_config_selectorILNS1_17partition_subalgoE4EjNS0_10empty_typeEbEEZZNS1_14partition_implILS8_4ELb0ES6_15HIP_vector_typeIjLj2EENS0_17counting_iteratorIjlEEPS9_SG_NS0_5tupleIJPjSI_NS0_16reverse_iteratorISI_EEEEENSH_IJSG_SG_SG_EEES9_SI_JZNS1_25segmented_radix_sort_implINS0_14default_configELb0EPKdPdPKlPlN2at6native12_GLOBAL__N_18offset_tEEE10hipError_tPvRmT1_PNSt15iterator_traitsIS12_E10value_typeET2_T3_PNS13_IS18_E10value_typeET4_jRbjT5_S1E_jjP12ihipStream_tbEUljE_ZNSN_ISO_Lb0ESQ_SR_ST_SU_SY_EESZ_S10_S11_S12_S16_S17_S18_S1B_S1C_jS1D_jS1E_S1E_jjS1G_bEUljE0_EEESZ_S10_S11_S18_S1C_S1E_T6_T7_T9_mT8_S1G_bDpT10_ENKUlT_T0_E_clISt17integral_constantIbLb0EES1U_EEDaS1P_S1Q_EUlS1P_E_NS1_11comp_targetILNS1_3genE2ELNS1_11target_archE906ELNS1_3gpuE6ELNS1_3repE0EEENS1_30default_config_static_selectorELNS0_4arch9wavefront6targetE0EEEvS12_,"axG",@progbits,_ZN7rocprim17ROCPRIM_400000_NS6detail17trampoline_kernelINS0_13select_configILj256ELj13ELNS0_17block_load_methodE3ELS4_3ELS4_3ELNS0_20block_scan_algorithmE0ELj4294967295EEENS1_25partition_config_selectorILNS1_17partition_subalgoE4EjNS0_10empty_typeEbEEZZNS1_14partition_implILS8_4ELb0ES6_15HIP_vector_typeIjLj2EENS0_17counting_iteratorIjlEEPS9_SG_NS0_5tupleIJPjSI_NS0_16reverse_iteratorISI_EEEEENSH_IJSG_SG_SG_EEES9_SI_JZNS1_25segmented_radix_sort_implINS0_14default_configELb0EPKdPdPKlPlN2at6native12_GLOBAL__N_18offset_tEEE10hipError_tPvRmT1_PNSt15iterator_traitsIS12_E10value_typeET2_T3_PNS13_IS18_E10value_typeET4_jRbjT5_S1E_jjP12ihipStream_tbEUljE_ZNSN_ISO_Lb0ESQ_SR_ST_SU_SY_EESZ_S10_S11_S12_S16_S17_S18_S1B_S1C_jS1D_jS1E_S1E_jjS1G_bEUljE0_EEESZ_S10_S11_S18_S1C_S1E_T6_T7_T9_mT8_S1G_bDpT10_ENKUlT_T0_E_clISt17integral_constantIbLb0EES1U_EEDaS1P_S1Q_EUlS1P_E_NS1_11comp_targetILNS1_3genE2ELNS1_11target_archE906ELNS1_3gpuE6ELNS1_3repE0EEENS1_30default_config_static_selectorELNS0_4arch9wavefront6targetE0EEEvS12_,comdat
	.globl	_ZN7rocprim17ROCPRIM_400000_NS6detail17trampoline_kernelINS0_13select_configILj256ELj13ELNS0_17block_load_methodE3ELS4_3ELS4_3ELNS0_20block_scan_algorithmE0ELj4294967295EEENS1_25partition_config_selectorILNS1_17partition_subalgoE4EjNS0_10empty_typeEbEEZZNS1_14partition_implILS8_4ELb0ES6_15HIP_vector_typeIjLj2EENS0_17counting_iteratorIjlEEPS9_SG_NS0_5tupleIJPjSI_NS0_16reverse_iteratorISI_EEEEENSH_IJSG_SG_SG_EEES9_SI_JZNS1_25segmented_radix_sort_implINS0_14default_configELb0EPKdPdPKlPlN2at6native12_GLOBAL__N_18offset_tEEE10hipError_tPvRmT1_PNSt15iterator_traitsIS12_E10value_typeET2_T3_PNS13_IS18_E10value_typeET4_jRbjT5_S1E_jjP12ihipStream_tbEUljE_ZNSN_ISO_Lb0ESQ_SR_ST_SU_SY_EESZ_S10_S11_S12_S16_S17_S18_S1B_S1C_jS1D_jS1E_S1E_jjS1G_bEUljE0_EEESZ_S10_S11_S18_S1C_S1E_T6_T7_T9_mT8_S1G_bDpT10_ENKUlT_T0_E_clISt17integral_constantIbLb0EES1U_EEDaS1P_S1Q_EUlS1P_E_NS1_11comp_targetILNS1_3genE2ELNS1_11target_archE906ELNS1_3gpuE6ELNS1_3repE0EEENS1_30default_config_static_selectorELNS0_4arch9wavefront6targetE0EEEvS12_ ; -- Begin function _ZN7rocprim17ROCPRIM_400000_NS6detail17trampoline_kernelINS0_13select_configILj256ELj13ELNS0_17block_load_methodE3ELS4_3ELS4_3ELNS0_20block_scan_algorithmE0ELj4294967295EEENS1_25partition_config_selectorILNS1_17partition_subalgoE4EjNS0_10empty_typeEbEEZZNS1_14partition_implILS8_4ELb0ES6_15HIP_vector_typeIjLj2EENS0_17counting_iteratorIjlEEPS9_SG_NS0_5tupleIJPjSI_NS0_16reverse_iteratorISI_EEEEENSH_IJSG_SG_SG_EEES9_SI_JZNS1_25segmented_radix_sort_implINS0_14default_configELb0EPKdPdPKlPlN2at6native12_GLOBAL__N_18offset_tEEE10hipError_tPvRmT1_PNSt15iterator_traitsIS12_E10value_typeET2_T3_PNS13_IS18_E10value_typeET4_jRbjT5_S1E_jjP12ihipStream_tbEUljE_ZNSN_ISO_Lb0ESQ_SR_ST_SU_SY_EESZ_S10_S11_S12_S16_S17_S18_S1B_S1C_jS1D_jS1E_S1E_jjS1G_bEUljE0_EEESZ_S10_S11_S18_S1C_S1E_T6_T7_T9_mT8_S1G_bDpT10_ENKUlT_T0_E_clISt17integral_constantIbLb0EES1U_EEDaS1P_S1Q_EUlS1P_E_NS1_11comp_targetILNS1_3genE2ELNS1_11target_archE906ELNS1_3gpuE6ELNS1_3repE0EEENS1_30default_config_static_selectorELNS0_4arch9wavefront6targetE0EEEvS12_
	.p2align	8
	.type	_ZN7rocprim17ROCPRIM_400000_NS6detail17trampoline_kernelINS0_13select_configILj256ELj13ELNS0_17block_load_methodE3ELS4_3ELS4_3ELNS0_20block_scan_algorithmE0ELj4294967295EEENS1_25partition_config_selectorILNS1_17partition_subalgoE4EjNS0_10empty_typeEbEEZZNS1_14partition_implILS8_4ELb0ES6_15HIP_vector_typeIjLj2EENS0_17counting_iteratorIjlEEPS9_SG_NS0_5tupleIJPjSI_NS0_16reverse_iteratorISI_EEEEENSH_IJSG_SG_SG_EEES9_SI_JZNS1_25segmented_radix_sort_implINS0_14default_configELb0EPKdPdPKlPlN2at6native12_GLOBAL__N_18offset_tEEE10hipError_tPvRmT1_PNSt15iterator_traitsIS12_E10value_typeET2_T3_PNS13_IS18_E10value_typeET4_jRbjT5_S1E_jjP12ihipStream_tbEUljE_ZNSN_ISO_Lb0ESQ_SR_ST_SU_SY_EESZ_S10_S11_S12_S16_S17_S18_S1B_S1C_jS1D_jS1E_S1E_jjS1G_bEUljE0_EEESZ_S10_S11_S18_S1C_S1E_T6_T7_T9_mT8_S1G_bDpT10_ENKUlT_T0_E_clISt17integral_constantIbLb0EES1U_EEDaS1P_S1Q_EUlS1P_E_NS1_11comp_targetILNS1_3genE2ELNS1_11target_archE906ELNS1_3gpuE6ELNS1_3repE0EEENS1_30default_config_static_selectorELNS0_4arch9wavefront6targetE0EEEvS12_,@function
_ZN7rocprim17ROCPRIM_400000_NS6detail17trampoline_kernelINS0_13select_configILj256ELj13ELNS0_17block_load_methodE3ELS4_3ELS4_3ELNS0_20block_scan_algorithmE0ELj4294967295EEENS1_25partition_config_selectorILNS1_17partition_subalgoE4EjNS0_10empty_typeEbEEZZNS1_14partition_implILS8_4ELb0ES6_15HIP_vector_typeIjLj2EENS0_17counting_iteratorIjlEEPS9_SG_NS0_5tupleIJPjSI_NS0_16reverse_iteratorISI_EEEEENSH_IJSG_SG_SG_EEES9_SI_JZNS1_25segmented_radix_sort_implINS0_14default_configELb0EPKdPdPKlPlN2at6native12_GLOBAL__N_18offset_tEEE10hipError_tPvRmT1_PNSt15iterator_traitsIS12_E10value_typeET2_T3_PNS13_IS18_E10value_typeET4_jRbjT5_S1E_jjP12ihipStream_tbEUljE_ZNSN_ISO_Lb0ESQ_SR_ST_SU_SY_EESZ_S10_S11_S12_S16_S17_S18_S1B_S1C_jS1D_jS1E_S1E_jjS1G_bEUljE0_EEESZ_S10_S11_S18_S1C_S1E_T6_T7_T9_mT8_S1G_bDpT10_ENKUlT_T0_E_clISt17integral_constantIbLb0EES1U_EEDaS1P_S1Q_EUlS1P_E_NS1_11comp_targetILNS1_3genE2ELNS1_11target_archE906ELNS1_3gpuE6ELNS1_3repE0EEENS1_30default_config_static_selectorELNS0_4arch9wavefront6targetE0EEEvS12_: ; @_ZN7rocprim17ROCPRIM_400000_NS6detail17trampoline_kernelINS0_13select_configILj256ELj13ELNS0_17block_load_methodE3ELS4_3ELS4_3ELNS0_20block_scan_algorithmE0ELj4294967295EEENS1_25partition_config_selectorILNS1_17partition_subalgoE4EjNS0_10empty_typeEbEEZZNS1_14partition_implILS8_4ELb0ES6_15HIP_vector_typeIjLj2EENS0_17counting_iteratorIjlEEPS9_SG_NS0_5tupleIJPjSI_NS0_16reverse_iteratorISI_EEEEENSH_IJSG_SG_SG_EEES9_SI_JZNS1_25segmented_radix_sort_implINS0_14default_configELb0EPKdPdPKlPlN2at6native12_GLOBAL__N_18offset_tEEE10hipError_tPvRmT1_PNSt15iterator_traitsIS12_E10value_typeET2_T3_PNS13_IS18_E10value_typeET4_jRbjT5_S1E_jjP12ihipStream_tbEUljE_ZNSN_ISO_Lb0ESQ_SR_ST_SU_SY_EESZ_S10_S11_S12_S16_S17_S18_S1B_S1C_jS1D_jS1E_S1E_jjS1G_bEUljE0_EEESZ_S10_S11_S18_S1C_S1E_T6_T7_T9_mT8_S1G_bDpT10_ENKUlT_T0_E_clISt17integral_constantIbLb0EES1U_EEDaS1P_S1Q_EUlS1P_E_NS1_11comp_targetILNS1_3genE2ELNS1_11target_archE906ELNS1_3gpuE6ELNS1_3repE0EEENS1_30default_config_static_selectorELNS0_4arch9wavefront6targetE0EEEvS12_
; %bb.0:
	.section	.rodata,"a",@progbits
	.p2align	6, 0x0
	.amdhsa_kernel _ZN7rocprim17ROCPRIM_400000_NS6detail17trampoline_kernelINS0_13select_configILj256ELj13ELNS0_17block_load_methodE3ELS4_3ELS4_3ELNS0_20block_scan_algorithmE0ELj4294967295EEENS1_25partition_config_selectorILNS1_17partition_subalgoE4EjNS0_10empty_typeEbEEZZNS1_14partition_implILS8_4ELb0ES6_15HIP_vector_typeIjLj2EENS0_17counting_iteratorIjlEEPS9_SG_NS0_5tupleIJPjSI_NS0_16reverse_iteratorISI_EEEEENSH_IJSG_SG_SG_EEES9_SI_JZNS1_25segmented_radix_sort_implINS0_14default_configELb0EPKdPdPKlPlN2at6native12_GLOBAL__N_18offset_tEEE10hipError_tPvRmT1_PNSt15iterator_traitsIS12_E10value_typeET2_T3_PNS13_IS18_E10value_typeET4_jRbjT5_S1E_jjP12ihipStream_tbEUljE_ZNSN_ISO_Lb0ESQ_SR_ST_SU_SY_EESZ_S10_S11_S12_S16_S17_S18_S1B_S1C_jS1D_jS1E_S1E_jjS1G_bEUljE0_EEESZ_S10_S11_S18_S1C_S1E_T6_T7_T9_mT8_S1G_bDpT10_ENKUlT_T0_E_clISt17integral_constantIbLb0EES1U_EEDaS1P_S1Q_EUlS1P_E_NS1_11comp_targetILNS1_3genE2ELNS1_11target_archE906ELNS1_3gpuE6ELNS1_3repE0EEENS1_30default_config_static_selectorELNS0_4arch9wavefront6targetE0EEEvS12_
		.amdhsa_group_segment_fixed_size 0
		.amdhsa_private_segment_fixed_size 0
		.amdhsa_kernarg_size 176
		.amdhsa_user_sgpr_count 6
		.amdhsa_user_sgpr_private_segment_buffer 1
		.amdhsa_user_sgpr_dispatch_ptr 0
		.amdhsa_user_sgpr_queue_ptr 0
		.amdhsa_user_sgpr_kernarg_segment_ptr 1
		.amdhsa_user_sgpr_dispatch_id 0
		.amdhsa_user_sgpr_flat_scratch_init 0
		.amdhsa_user_sgpr_private_segment_size 0
		.amdhsa_wavefront_size32 1
		.amdhsa_uses_dynamic_stack 0
		.amdhsa_system_sgpr_private_segment_wavefront_offset 0
		.amdhsa_system_sgpr_workgroup_id_x 1
		.amdhsa_system_sgpr_workgroup_id_y 0
		.amdhsa_system_sgpr_workgroup_id_z 0
		.amdhsa_system_sgpr_workgroup_info 0
		.amdhsa_system_vgpr_workitem_id 0
		.amdhsa_next_free_vgpr 1
		.amdhsa_next_free_sgpr 1
		.amdhsa_reserve_vcc 0
		.amdhsa_reserve_flat_scratch 0
		.amdhsa_float_round_mode_32 0
		.amdhsa_float_round_mode_16_64 0
		.amdhsa_float_denorm_mode_32 3
		.amdhsa_float_denorm_mode_16_64 3
		.amdhsa_dx10_clamp 1
		.amdhsa_ieee_mode 1
		.amdhsa_fp16_overflow 0
		.amdhsa_workgroup_processor_mode 1
		.amdhsa_memory_ordered 1
		.amdhsa_forward_progress 1
		.amdhsa_shared_vgpr_count 0
		.amdhsa_exception_fp_ieee_invalid_op 0
		.amdhsa_exception_fp_denorm_src 0
		.amdhsa_exception_fp_ieee_div_zero 0
		.amdhsa_exception_fp_ieee_overflow 0
		.amdhsa_exception_fp_ieee_underflow 0
		.amdhsa_exception_fp_ieee_inexact 0
		.amdhsa_exception_int_div_zero 0
	.end_amdhsa_kernel
	.section	.text._ZN7rocprim17ROCPRIM_400000_NS6detail17trampoline_kernelINS0_13select_configILj256ELj13ELNS0_17block_load_methodE3ELS4_3ELS4_3ELNS0_20block_scan_algorithmE0ELj4294967295EEENS1_25partition_config_selectorILNS1_17partition_subalgoE4EjNS0_10empty_typeEbEEZZNS1_14partition_implILS8_4ELb0ES6_15HIP_vector_typeIjLj2EENS0_17counting_iteratorIjlEEPS9_SG_NS0_5tupleIJPjSI_NS0_16reverse_iteratorISI_EEEEENSH_IJSG_SG_SG_EEES9_SI_JZNS1_25segmented_radix_sort_implINS0_14default_configELb0EPKdPdPKlPlN2at6native12_GLOBAL__N_18offset_tEEE10hipError_tPvRmT1_PNSt15iterator_traitsIS12_E10value_typeET2_T3_PNS13_IS18_E10value_typeET4_jRbjT5_S1E_jjP12ihipStream_tbEUljE_ZNSN_ISO_Lb0ESQ_SR_ST_SU_SY_EESZ_S10_S11_S12_S16_S17_S18_S1B_S1C_jS1D_jS1E_S1E_jjS1G_bEUljE0_EEESZ_S10_S11_S18_S1C_S1E_T6_T7_T9_mT8_S1G_bDpT10_ENKUlT_T0_E_clISt17integral_constantIbLb0EES1U_EEDaS1P_S1Q_EUlS1P_E_NS1_11comp_targetILNS1_3genE2ELNS1_11target_archE906ELNS1_3gpuE6ELNS1_3repE0EEENS1_30default_config_static_selectorELNS0_4arch9wavefront6targetE0EEEvS12_,"axG",@progbits,_ZN7rocprim17ROCPRIM_400000_NS6detail17trampoline_kernelINS0_13select_configILj256ELj13ELNS0_17block_load_methodE3ELS4_3ELS4_3ELNS0_20block_scan_algorithmE0ELj4294967295EEENS1_25partition_config_selectorILNS1_17partition_subalgoE4EjNS0_10empty_typeEbEEZZNS1_14partition_implILS8_4ELb0ES6_15HIP_vector_typeIjLj2EENS0_17counting_iteratorIjlEEPS9_SG_NS0_5tupleIJPjSI_NS0_16reverse_iteratorISI_EEEEENSH_IJSG_SG_SG_EEES9_SI_JZNS1_25segmented_radix_sort_implINS0_14default_configELb0EPKdPdPKlPlN2at6native12_GLOBAL__N_18offset_tEEE10hipError_tPvRmT1_PNSt15iterator_traitsIS12_E10value_typeET2_T3_PNS13_IS18_E10value_typeET4_jRbjT5_S1E_jjP12ihipStream_tbEUljE_ZNSN_ISO_Lb0ESQ_SR_ST_SU_SY_EESZ_S10_S11_S12_S16_S17_S18_S1B_S1C_jS1D_jS1E_S1E_jjS1G_bEUljE0_EEESZ_S10_S11_S18_S1C_S1E_T6_T7_T9_mT8_S1G_bDpT10_ENKUlT_T0_E_clISt17integral_constantIbLb0EES1U_EEDaS1P_S1Q_EUlS1P_E_NS1_11comp_targetILNS1_3genE2ELNS1_11target_archE906ELNS1_3gpuE6ELNS1_3repE0EEENS1_30default_config_static_selectorELNS0_4arch9wavefront6targetE0EEEvS12_,comdat
.Lfunc_end1153:
	.size	_ZN7rocprim17ROCPRIM_400000_NS6detail17trampoline_kernelINS0_13select_configILj256ELj13ELNS0_17block_load_methodE3ELS4_3ELS4_3ELNS0_20block_scan_algorithmE0ELj4294967295EEENS1_25partition_config_selectorILNS1_17partition_subalgoE4EjNS0_10empty_typeEbEEZZNS1_14partition_implILS8_4ELb0ES6_15HIP_vector_typeIjLj2EENS0_17counting_iteratorIjlEEPS9_SG_NS0_5tupleIJPjSI_NS0_16reverse_iteratorISI_EEEEENSH_IJSG_SG_SG_EEES9_SI_JZNS1_25segmented_radix_sort_implINS0_14default_configELb0EPKdPdPKlPlN2at6native12_GLOBAL__N_18offset_tEEE10hipError_tPvRmT1_PNSt15iterator_traitsIS12_E10value_typeET2_T3_PNS13_IS18_E10value_typeET4_jRbjT5_S1E_jjP12ihipStream_tbEUljE_ZNSN_ISO_Lb0ESQ_SR_ST_SU_SY_EESZ_S10_S11_S12_S16_S17_S18_S1B_S1C_jS1D_jS1E_S1E_jjS1G_bEUljE0_EEESZ_S10_S11_S18_S1C_S1E_T6_T7_T9_mT8_S1G_bDpT10_ENKUlT_T0_E_clISt17integral_constantIbLb0EES1U_EEDaS1P_S1Q_EUlS1P_E_NS1_11comp_targetILNS1_3genE2ELNS1_11target_archE906ELNS1_3gpuE6ELNS1_3repE0EEENS1_30default_config_static_selectorELNS0_4arch9wavefront6targetE0EEEvS12_, .Lfunc_end1153-_ZN7rocprim17ROCPRIM_400000_NS6detail17trampoline_kernelINS0_13select_configILj256ELj13ELNS0_17block_load_methodE3ELS4_3ELS4_3ELNS0_20block_scan_algorithmE0ELj4294967295EEENS1_25partition_config_selectorILNS1_17partition_subalgoE4EjNS0_10empty_typeEbEEZZNS1_14partition_implILS8_4ELb0ES6_15HIP_vector_typeIjLj2EENS0_17counting_iteratorIjlEEPS9_SG_NS0_5tupleIJPjSI_NS0_16reverse_iteratorISI_EEEEENSH_IJSG_SG_SG_EEES9_SI_JZNS1_25segmented_radix_sort_implINS0_14default_configELb0EPKdPdPKlPlN2at6native12_GLOBAL__N_18offset_tEEE10hipError_tPvRmT1_PNSt15iterator_traitsIS12_E10value_typeET2_T3_PNS13_IS18_E10value_typeET4_jRbjT5_S1E_jjP12ihipStream_tbEUljE_ZNSN_ISO_Lb0ESQ_SR_ST_SU_SY_EESZ_S10_S11_S12_S16_S17_S18_S1B_S1C_jS1D_jS1E_S1E_jjS1G_bEUljE0_EEESZ_S10_S11_S18_S1C_S1E_T6_T7_T9_mT8_S1G_bDpT10_ENKUlT_T0_E_clISt17integral_constantIbLb0EES1U_EEDaS1P_S1Q_EUlS1P_E_NS1_11comp_targetILNS1_3genE2ELNS1_11target_archE906ELNS1_3gpuE6ELNS1_3repE0EEENS1_30default_config_static_selectorELNS0_4arch9wavefront6targetE0EEEvS12_
                                        ; -- End function
	.set _ZN7rocprim17ROCPRIM_400000_NS6detail17trampoline_kernelINS0_13select_configILj256ELj13ELNS0_17block_load_methodE3ELS4_3ELS4_3ELNS0_20block_scan_algorithmE0ELj4294967295EEENS1_25partition_config_selectorILNS1_17partition_subalgoE4EjNS0_10empty_typeEbEEZZNS1_14partition_implILS8_4ELb0ES6_15HIP_vector_typeIjLj2EENS0_17counting_iteratorIjlEEPS9_SG_NS0_5tupleIJPjSI_NS0_16reverse_iteratorISI_EEEEENSH_IJSG_SG_SG_EEES9_SI_JZNS1_25segmented_radix_sort_implINS0_14default_configELb0EPKdPdPKlPlN2at6native12_GLOBAL__N_18offset_tEEE10hipError_tPvRmT1_PNSt15iterator_traitsIS12_E10value_typeET2_T3_PNS13_IS18_E10value_typeET4_jRbjT5_S1E_jjP12ihipStream_tbEUljE_ZNSN_ISO_Lb0ESQ_SR_ST_SU_SY_EESZ_S10_S11_S12_S16_S17_S18_S1B_S1C_jS1D_jS1E_S1E_jjS1G_bEUljE0_EEESZ_S10_S11_S18_S1C_S1E_T6_T7_T9_mT8_S1G_bDpT10_ENKUlT_T0_E_clISt17integral_constantIbLb0EES1U_EEDaS1P_S1Q_EUlS1P_E_NS1_11comp_targetILNS1_3genE2ELNS1_11target_archE906ELNS1_3gpuE6ELNS1_3repE0EEENS1_30default_config_static_selectorELNS0_4arch9wavefront6targetE0EEEvS12_.num_vgpr, 0
	.set _ZN7rocprim17ROCPRIM_400000_NS6detail17trampoline_kernelINS0_13select_configILj256ELj13ELNS0_17block_load_methodE3ELS4_3ELS4_3ELNS0_20block_scan_algorithmE0ELj4294967295EEENS1_25partition_config_selectorILNS1_17partition_subalgoE4EjNS0_10empty_typeEbEEZZNS1_14partition_implILS8_4ELb0ES6_15HIP_vector_typeIjLj2EENS0_17counting_iteratorIjlEEPS9_SG_NS0_5tupleIJPjSI_NS0_16reverse_iteratorISI_EEEEENSH_IJSG_SG_SG_EEES9_SI_JZNS1_25segmented_radix_sort_implINS0_14default_configELb0EPKdPdPKlPlN2at6native12_GLOBAL__N_18offset_tEEE10hipError_tPvRmT1_PNSt15iterator_traitsIS12_E10value_typeET2_T3_PNS13_IS18_E10value_typeET4_jRbjT5_S1E_jjP12ihipStream_tbEUljE_ZNSN_ISO_Lb0ESQ_SR_ST_SU_SY_EESZ_S10_S11_S12_S16_S17_S18_S1B_S1C_jS1D_jS1E_S1E_jjS1G_bEUljE0_EEESZ_S10_S11_S18_S1C_S1E_T6_T7_T9_mT8_S1G_bDpT10_ENKUlT_T0_E_clISt17integral_constantIbLb0EES1U_EEDaS1P_S1Q_EUlS1P_E_NS1_11comp_targetILNS1_3genE2ELNS1_11target_archE906ELNS1_3gpuE6ELNS1_3repE0EEENS1_30default_config_static_selectorELNS0_4arch9wavefront6targetE0EEEvS12_.num_agpr, 0
	.set _ZN7rocprim17ROCPRIM_400000_NS6detail17trampoline_kernelINS0_13select_configILj256ELj13ELNS0_17block_load_methodE3ELS4_3ELS4_3ELNS0_20block_scan_algorithmE0ELj4294967295EEENS1_25partition_config_selectorILNS1_17partition_subalgoE4EjNS0_10empty_typeEbEEZZNS1_14partition_implILS8_4ELb0ES6_15HIP_vector_typeIjLj2EENS0_17counting_iteratorIjlEEPS9_SG_NS0_5tupleIJPjSI_NS0_16reverse_iteratorISI_EEEEENSH_IJSG_SG_SG_EEES9_SI_JZNS1_25segmented_radix_sort_implINS0_14default_configELb0EPKdPdPKlPlN2at6native12_GLOBAL__N_18offset_tEEE10hipError_tPvRmT1_PNSt15iterator_traitsIS12_E10value_typeET2_T3_PNS13_IS18_E10value_typeET4_jRbjT5_S1E_jjP12ihipStream_tbEUljE_ZNSN_ISO_Lb0ESQ_SR_ST_SU_SY_EESZ_S10_S11_S12_S16_S17_S18_S1B_S1C_jS1D_jS1E_S1E_jjS1G_bEUljE0_EEESZ_S10_S11_S18_S1C_S1E_T6_T7_T9_mT8_S1G_bDpT10_ENKUlT_T0_E_clISt17integral_constantIbLb0EES1U_EEDaS1P_S1Q_EUlS1P_E_NS1_11comp_targetILNS1_3genE2ELNS1_11target_archE906ELNS1_3gpuE6ELNS1_3repE0EEENS1_30default_config_static_selectorELNS0_4arch9wavefront6targetE0EEEvS12_.numbered_sgpr, 0
	.set _ZN7rocprim17ROCPRIM_400000_NS6detail17trampoline_kernelINS0_13select_configILj256ELj13ELNS0_17block_load_methodE3ELS4_3ELS4_3ELNS0_20block_scan_algorithmE0ELj4294967295EEENS1_25partition_config_selectorILNS1_17partition_subalgoE4EjNS0_10empty_typeEbEEZZNS1_14partition_implILS8_4ELb0ES6_15HIP_vector_typeIjLj2EENS0_17counting_iteratorIjlEEPS9_SG_NS0_5tupleIJPjSI_NS0_16reverse_iteratorISI_EEEEENSH_IJSG_SG_SG_EEES9_SI_JZNS1_25segmented_radix_sort_implINS0_14default_configELb0EPKdPdPKlPlN2at6native12_GLOBAL__N_18offset_tEEE10hipError_tPvRmT1_PNSt15iterator_traitsIS12_E10value_typeET2_T3_PNS13_IS18_E10value_typeET4_jRbjT5_S1E_jjP12ihipStream_tbEUljE_ZNSN_ISO_Lb0ESQ_SR_ST_SU_SY_EESZ_S10_S11_S12_S16_S17_S18_S1B_S1C_jS1D_jS1E_S1E_jjS1G_bEUljE0_EEESZ_S10_S11_S18_S1C_S1E_T6_T7_T9_mT8_S1G_bDpT10_ENKUlT_T0_E_clISt17integral_constantIbLb0EES1U_EEDaS1P_S1Q_EUlS1P_E_NS1_11comp_targetILNS1_3genE2ELNS1_11target_archE906ELNS1_3gpuE6ELNS1_3repE0EEENS1_30default_config_static_selectorELNS0_4arch9wavefront6targetE0EEEvS12_.num_named_barrier, 0
	.set _ZN7rocprim17ROCPRIM_400000_NS6detail17trampoline_kernelINS0_13select_configILj256ELj13ELNS0_17block_load_methodE3ELS4_3ELS4_3ELNS0_20block_scan_algorithmE0ELj4294967295EEENS1_25partition_config_selectorILNS1_17partition_subalgoE4EjNS0_10empty_typeEbEEZZNS1_14partition_implILS8_4ELb0ES6_15HIP_vector_typeIjLj2EENS0_17counting_iteratorIjlEEPS9_SG_NS0_5tupleIJPjSI_NS0_16reverse_iteratorISI_EEEEENSH_IJSG_SG_SG_EEES9_SI_JZNS1_25segmented_radix_sort_implINS0_14default_configELb0EPKdPdPKlPlN2at6native12_GLOBAL__N_18offset_tEEE10hipError_tPvRmT1_PNSt15iterator_traitsIS12_E10value_typeET2_T3_PNS13_IS18_E10value_typeET4_jRbjT5_S1E_jjP12ihipStream_tbEUljE_ZNSN_ISO_Lb0ESQ_SR_ST_SU_SY_EESZ_S10_S11_S12_S16_S17_S18_S1B_S1C_jS1D_jS1E_S1E_jjS1G_bEUljE0_EEESZ_S10_S11_S18_S1C_S1E_T6_T7_T9_mT8_S1G_bDpT10_ENKUlT_T0_E_clISt17integral_constantIbLb0EES1U_EEDaS1P_S1Q_EUlS1P_E_NS1_11comp_targetILNS1_3genE2ELNS1_11target_archE906ELNS1_3gpuE6ELNS1_3repE0EEENS1_30default_config_static_selectorELNS0_4arch9wavefront6targetE0EEEvS12_.private_seg_size, 0
	.set _ZN7rocprim17ROCPRIM_400000_NS6detail17trampoline_kernelINS0_13select_configILj256ELj13ELNS0_17block_load_methodE3ELS4_3ELS4_3ELNS0_20block_scan_algorithmE0ELj4294967295EEENS1_25partition_config_selectorILNS1_17partition_subalgoE4EjNS0_10empty_typeEbEEZZNS1_14partition_implILS8_4ELb0ES6_15HIP_vector_typeIjLj2EENS0_17counting_iteratorIjlEEPS9_SG_NS0_5tupleIJPjSI_NS0_16reverse_iteratorISI_EEEEENSH_IJSG_SG_SG_EEES9_SI_JZNS1_25segmented_radix_sort_implINS0_14default_configELb0EPKdPdPKlPlN2at6native12_GLOBAL__N_18offset_tEEE10hipError_tPvRmT1_PNSt15iterator_traitsIS12_E10value_typeET2_T3_PNS13_IS18_E10value_typeET4_jRbjT5_S1E_jjP12ihipStream_tbEUljE_ZNSN_ISO_Lb0ESQ_SR_ST_SU_SY_EESZ_S10_S11_S12_S16_S17_S18_S1B_S1C_jS1D_jS1E_S1E_jjS1G_bEUljE0_EEESZ_S10_S11_S18_S1C_S1E_T6_T7_T9_mT8_S1G_bDpT10_ENKUlT_T0_E_clISt17integral_constantIbLb0EES1U_EEDaS1P_S1Q_EUlS1P_E_NS1_11comp_targetILNS1_3genE2ELNS1_11target_archE906ELNS1_3gpuE6ELNS1_3repE0EEENS1_30default_config_static_selectorELNS0_4arch9wavefront6targetE0EEEvS12_.uses_vcc, 0
	.set _ZN7rocprim17ROCPRIM_400000_NS6detail17trampoline_kernelINS0_13select_configILj256ELj13ELNS0_17block_load_methodE3ELS4_3ELS4_3ELNS0_20block_scan_algorithmE0ELj4294967295EEENS1_25partition_config_selectorILNS1_17partition_subalgoE4EjNS0_10empty_typeEbEEZZNS1_14partition_implILS8_4ELb0ES6_15HIP_vector_typeIjLj2EENS0_17counting_iteratorIjlEEPS9_SG_NS0_5tupleIJPjSI_NS0_16reverse_iteratorISI_EEEEENSH_IJSG_SG_SG_EEES9_SI_JZNS1_25segmented_radix_sort_implINS0_14default_configELb0EPKdPdPKlPlN2at6native12_GLOBAL__N_18offset_tEEE10hipError_tPvRmT1_PNSt15iterator_traitsIS12_E10value_typeET2_T3_PNS13_IS18_E10value_typeET4_jRbjT5_S1E_jjP12ihipStream_tbEUljE_ZNSN_ISO_Lb0ESQ_SR_ST_SU_SY_EESZ_S10_S11_S12_S16_S17_S18_S1B_S1C_jS1D_jS1E_S1E_jjS1G_bEUljE0_EEESZ_S10_S11_S18_S1C_S1E_T6_T7_T9_mT8_S1G_bDpT10_ENKUlT_T0_E_clISt17integral_constantIbLb0EES1U_EEDaS1P_S1Q_EUlS1P_E_NS1_11comp_targetILNS1_3genE2ELNS1_11target_archE906ELNS1_3gpuE6ELNS1_3repE0EEENS1_30default_config_static_selectorELNS0_4arch9wavefront6targetE0EEEvS12_.uses_flat_scratch, 0
	.set _ZN7rocprim17ROCPRIM_400000_NS6detail17trampoline_kernelINS0_13select_configILj256ELj13ELNS0_17block_load_methodE3ELS4_3ELS4_3ELNS0_20block_scan_algorithmE0ELj4294967295EEENS1_25partition_config_selectorILNS1_17partition_subalgoE4EjNS0_10empty_typeEbEEZZNS1_14partition_implILS8_4ELb0ES6_15HIP_vector_typeIjLj2EENS0_17counting_iteratorIjlEEPS9_SG_NS0_5tupleIJPjSI_NS0_16reverse_iteratorISI_EEEEENSH_IJSG_SG_SG_EEES9_SI_JZNS1_25segmented_radix_sort_implINS0_14default_configELb0EPKdPdPKlPlN2at6native12_GLOBAL__N_18offset_tEEE10hipError_tPvRmT1_PNSt15iterator_traitsIS12_E10value_typeET2_T3_PNS13_IS18_E10value_typeET4_jRbjT5_S1E_jjP12ihipStream_tbEUljE_ZNSN_ISO_Lb0ESQ_SR_ST_SU_SY_EESZ_S10_S11_S12_S16_S17_S18_S1B_S1C_jS1D_jS1E_S1E_jjS1G_bEUljE0_EEESZ_S10_S11_S18_S1C_S1E_T6_T7_T9_mT8_S1G_bDpT10_ENKUlT_T0_E_clISt17integral_constantIbLb0EES1U_EEDaS1P_S1Q_EUlS1P_E_NS1_11comp_targetILNS1_3genE2ELNS1_11target_archE906ELNS1_3gpuE6ELNS1_3repE0EEENS1_30default_config_static_selectorELNS0_4arch9wavefront6targetE0EEEvS12_.has_dyn_sized_stack, 0
	.set _ZN7rocprim17ROCPRIM_400000_NS6detail17trampoline_kernelINS0_13select_configILj256ELj13ELNS0_17block_load_methodE3ELS4_3ELS4_3ELNS0_20block_scan_algorithmE0ELj4294967295EEENS1_25partition_config_selectorILNS1_17partition_subalgoE4EjNS0_10empty_typeEbEEZZNS1_14partition_implILS8_4ELb0ES6_15HIP_vector_typeIjLj2EENS0_17counting_iteratorIjlEEPS9_SG_NS0_5tupleIJPjSI_NS0_16reverse_iteratorISI_EEEEENSH_IJSG_SG_SG_EEES9_SI_JZNS1_25segmented_radix_sort_implINS0_14default_configELb0EPKdPdPKlPlN2at6native12_GLOBAL__N_18offset_tEEE10hipError_tPvRmT1_PNSt15iterator_traitsIS12_E10value_typeET2_T3_PNS13_IS18_E10value_typeET4_jRbjT5_S1E_jjP12ihipStream_tbEUljE_ZNSN_ISO_Lb0ESQ_SR_ST_SU_SY_EESZ_S10_S11_S12_S16_S17_S18_S1B_S1C_jS1D_jS1E_S1E_jjS1G_bEUljE0_EEESZ_S10_S11_S18_S1C_S1E_T6_T7_T9_mT8_S1G_bDpT10_ENKUlT_T0_E_clISt17integral_constantIbLb0EES1U_EEDaS1P_S1Q_EUlS1P_E_NS1_11comp_targetILNS1_3genE2ELNS1_11target_archE906ELNS1_3gpuE6ELNS1_3repE0EEENS1_30default_config_static_selectorELNS0_4arch9wavefront6targetE0EEEvS12_.has_recursion, 0
	.set _ZN7rocprim17ROCPRIM_400000_NS6detail17trampoline_kernelINS0_13select_configILj256ELj13ELNS0_17block_load_methodE3ELS4_3ELS4_3ELNS0_20block_scan_algorithmE0ELj4294967295EEENS1_25partition_config_selectorILNS1_17partition_subalgoE4EjNS0_10empty_typeEbEEZZNS1_14partition_implILS8_4ELb0ES6_15HIP_vector_typeIjLj2EENS0_17counting_iteratorIjlEEPS9_SG_NS0_5tupleIJPjSI_NS0_16reverse_iteratorISI_EEEEENSH_IJSG_SG_SG_EEES9_SI_JZNS1_25segmented_radix_sort_implINS0_14default_configELb0EPKdPdPKlPlN2at6native12_GLOBAL__N_18offset_tEEE10hipError_tPvRmT1_PNSt15iterator_traitsIS12_E10value_typeET2_T3_PNS13_IS18_E10value_typeET4_jRbjT5_S1E_jjP12ihipStream_tbEUljE_ZNSN_ISO_Lb0ESQ_SR_ST_SU_SY_EESZ_S10_S11_S12_S16_S17_S18_S1B_S1C_jS1D_jS1E_S1E_jjS1G_bEUljE0_EEESZ_S10_S11_S18_S1C_S1E_T6_T7_T9_mT8_S1G_bDpT10_ENKUlT_T0_E_clISt17integral_constantIbLb0EES1U_EEDaS1P_S1Q_EUlS1P_E_NS1_11comp_targetILNS1_3genE2ELNS1_11target_archE906ELNS1_3gpuE6ELNS1_3repE0EEENS1_30default_config_static_selectorELNS0_4arch9wavefront6targetE0EEEvS12_.has_indirect_call, 0
	.section	.AMDGPU.csdata,"",@progbits
; Kernel info:
; codeLenInByte = 0
; TotalNumSgprs: 0
; NumVgprs: 0
; ScratchSize: 0
; MemoryBound: 0
; FloatMode: 240
; IeeeMode: 1
; LDSByteSize: 0 bytes/workgroup (compile time only)
; SGPRBlocks: 0
; VGPRBlocks: 0
; NumSGPRsForWavesPerEU: 1
; NumVGPRsForWavesPerEU: 1
; Occupancy: 16
; WaveLimiterHint : 0
; COMPUTE_PGM_RSRC2:SCRATCH_EN: 0
; COMPUTE_PGM_RSRC2:USER_SGPR: 6
; COMPUTE_PGM_RSRC2:TRAP_HANDLER: 0
; COMPUTE_PGM_RSRC2:TGID_X_EN: 1
; COMPUTE_PGM_RSRC2:TGID_Y_EN: 0
; COMPUTE_PGM_RSRC2:TGID_Z_EN: 0
; COMPUTE_PGM_RSRC2:TIDIG_COMP_CNT: 0
	.section	.text._ZN7rocprim17ROCPRIM_400000_NS6detail17trampoline_kernelINS0_13select_configILj256ELj13ELNS0_17block_load_methodE3ELS4_3ELS4_3ELNS0_20block_scan_algorithmE0ELj4294967295EEENS1_25partition_config_selectorILNS1_17partition_subalgoE4EjNS0_10empty_typeEbEEZZNS1_14partition_implILS8_4ELb0ES6_15HIP_vector_typeIjLj2EENS0_17counting_iteratorIjlEEPS9_SG_NS0_5tupleIJPjSI_NS0_16reverse_iteratorISI_EEEEENSH_IJSG_SG_SG_EEES9_SI_JZNS1_25segmented_radix_sort_implINS0_14default_configELb0EPKdPdPKlPlN2at6native12_GLOBAL__N_18offset_tEEE10hipError_tPvRmT1_PNSt15iterator_traitsIS12_E10value_typeET2_T3_PNS13_IS18_E10value_typeET4_jRbjT5_S1E_jjP12ihipStream_tbEUljE_ZNSN_ISO_Lb0ESQ_SR_ST_SU_SY_EESZ_S10_S11_S12_S16_S17_S18_S1B_S1C_jS1D_jS1E_S1E_jjS1G_bEUljE0_EEESZ_S10_S11_S18_S1C_S1E_T6_T7_T9_mT8_S1G_bDpT10_ENKUlT_T0_E_clISt17integral_constantIbLb0EES1U_EEDaS1P_S1Q_EUlS1P_E_NS1_11comp_targetILNS1_3genE10ELNS1_11target_archE1200ELNS1_3gpuE4ELNS1_3repE0EEENS1_30default_config_static_selectorELNS0_4arch9wavefront6targetE0EEEvS12_,"axG",@progbits,_ZN7rocprim17ROCPRIM_400000_NS6detail17trampoline_kernelINS0_13select_configILj256ELj13ELNS0_17block_load_methodE3ELS4_3ELS4_3ELNS0_20block_scan_algorithmE0ELj4294967295EEENS1_25partition_config_selectorILNS1_17partition_subalgoE4EjNS0_10empty_typeEbEEZZNS1_14partition_implILS8_4ELb0ES6_15HIP_vector_typeIjLj2EENS0_17counting_iteratorIjlEEPS9_SG_NS0_5tupleIJPjSI_NS0_16reverse_iteratorISI_EEEEENSH_IJSG_SG_SG_EEES9_SI_JZNS1_25segmented_radix_sort_implINS0_14default_configELb0EPKdPdPKlPlN2at6native12_GLOBAL__N_18offset_tEEE10hipError_tPvRmT1_PNSt15iterator_traitsIS12_E10value_typeET2_T3_PNS13_IS18_E10value_typeET4_jRbjT5_S1E_jjP12ihipStream_tbEUljE_ZNSN_ISO_Lb0ESQ_SR_ST_SU_SY_EESZ_S10_S11_S12_S16_S17_S18_S1B_S1C_jS1D_jS1E_S1E_jjS1G_bEUljE0_EEESZ_S10_S11_S18_S1C_S1E_T6_T7_T9_mT8_S1G_bDpT10_ENKUlT_T0_E_clISt17integral_constantIbLb0EES1U_EEDaS1P_S1Q_EUlS1P_E_NS1_11comp_targetILNS1_3genE10ELNS1_11target_archE1200ELNS1_3gpuE4ELNS1_3repE0EEENS1_30default_config_static_selectorELNS0_4arch9wavefront6targetE0EEEvS12_,comdat
	.globl	_ZN7rocprim17ROCPRIM_400000_NS6detail17trampoline_kernelINS0_13select_configILj256ELj13ELNS0_17block_load_methodE3ELS4_3ELS4_3ELNS0_20block_scan_algorithmE0ELj4294967295EEENS1_25partition_config_selectorILNS1_17partition_subalgoE4EjNS0_10empty_typeEbEEZZNS1_14partition_implILS8_4ELb0ES6_15HIP_vector_typeIjLj2EENS0_17counting_iteratorIjlEEPS9_SG_NS0_5tupleIJPjSI_NS0_16reverse_iteratorISI_EEEEENSH_IJSG_SG_SG_EEES9_SI_JZNS1_25segmented_radix_sort_implINS0_14default_configELb0EPKdPdPKlPlN2at6native12_GLOBAL__N_18offset_tEEE10hipError_tPvRmT1_PNSt15iterator_traitsIS12_E10value_typeET2_T3_PNS13_IS18_E10value_typeET4_jRbjT5_S1E_jjP12ihipStream_tbEUljE_ZNSN_ISO_Lb0ESQ_SR_ST_SU_SY_EESZ_S10_S11_S12_S16_S17_S18_S1B_S1C_jS1D_jS1E_S1E_jjS1G_bEUljE0_EEESZ_S10_S11_S18_S1C_S1E_T6_T7_T9_mT8_S1G_bDpT10_ENKUlT_T0_E_clISt17integral_constantIbLb0EES1U_EEDaS1P_S1Q_EUlS1P_E_NS1_11comp_targetILNS1_3genE10ELNS1_11target_archE1200ELNS1_3gpuE4ELNS1_3repE0EEENS1_30default_config_static_selectorELNS0_4arch9wavefront6targetE0EEEvS12_ ; -- Begin function _ZN7rocprim17ROCPRIM_400000_NS6detail17trampoline_kernelINS0_13select_configILj256ELj13ELNS0_17block_load_methodE3ELS4_3ELS4_3ELNS0_20block_scan_algorithmE0ELj4294967295EEENS1_25partition_config_selectorILNS1_17partition_subalgoE4EjNS0_10empty_typeEbEEZZNS1_14partition_implILS8_4ELb0ES6_15HIP_vector_typeIjLj2EENS0_17counting_iteratorIjlEEPS9_SG_NS0_5tupleIJPjSI_NS0_16reverse_iteratorISI_EEEEENSH_IJSG_SG_SG_EEES9_SI_JZNS1_25segmented_radix_sort_implINS0_14default_configELb0EPKdPdPKlPlN2at6native12_GLOBAL__N_18offset_tEEE10hipError_tPvRmT1_PNSt15iterator_traitsIS12_E10value_typeET2_T3_PNS13_IS18_E10value_typeET4_jRbjT5_S1E_jjP12ihipStream_tbEUljE_ZNSN_ISO_Lb0ESQ_SR_ST_SU_SY_EESZ_S10_S11_S12_S16_S17_S18_S1B_S1C_jS1D_jS1E_S1E_jjS1G_bEUljE0_EEESZ_S10_S11_S18_S1C_S1E_T6_T7_T9_mT8_S1G_bDpT10_ENKUlT_T0_E_clISt17integral_constantIbLb0EES1U_EEDaS1P_S1Q_EUlS1P_E_NS1_11comp_targetILNS1_3genE10ELNS1_11target_archE1200ELNS1_3gpuE4ELNS1_3repE0EEENS1_30default_config_static_selectorELNS0_4arch9wavefront6targetE0EEEvS12_
	.p2align	8
	.type	_ZN7rocprim17ROCPRIM_400000_NS6detail17trampoline_kernelINS0_13select_configILj256ELj13ELNS0_17block_load_methodE3ELS4_3ELS4_3ELNS0_20block_scan_algorithmE0ELj4294967295EEENS1_25partition_config_selectorILNS1_17partition_subalgoE4EjNS0_10empty_typeEbEEZZNS1_14partition_implILS8_4ELb0ES6_15HIP_vector_typeIjLj2EENS0_17counting_iteratorIjlEEPS9_SG_NS0_5tupleIJPjSI_NS0_16reverse_iteratorISI_EEEEENSH_IJSG_SG_SG_EEES9_SI_JZNS1_25segmented_radix_sort_implINS0_14default_configELb0EPKdPdPKlPlN2at6native12_GLOBAL__N_18offset_tEEE10hipError_tPvRmT1_PNSt15iterator_traitsIS12_E10value_typeET2_T3_PNS13_IS18_E10value_typeET4_jRbjT5_S1E_jjP12ihipStream_tbEUljE_ZNSN_ISO_Lb0ESQ_SR_ST_SU_SY_EESZ_S10_S11_S12_S16_S17_S18_S1B_S1C_jS1D_jS1E_S1E_jjS1G_bEUljE0_EEESZ_S10_S11_S18_S1C_S1E_T6_T7_T9_mT8_S1G_bDpT10_ENKUlT_T0_E_clISt17integral_constantIbLb0EES1U_EEDaS1P_S1Q_EUlS1P_E_NS1_11comp_targetILNS1_3genE10ELNS1_11target_archE1200ELNS1_3gpuE4ELNS1_3repE0EEENS1_30default_config_static_selectorELNS0_4arch9wavefront6targetE0EEEvS12_,@function
_ZN7rocprim17ROCPRIM_400000_NS6detail17trampoline_kernelINS0_13select_configILj256ELj13ELNS0_17block_load_methodE3ELS4_3ELS4_3ELNS0_20block_scan_algorithmE0ELj4294967295EEENS1_25partition_config_selectorILNS1_17partition_subalgoE4EjNS0_10empty_typeEbEEZZNS1_14partition_implILS8_4ELb0ES6_15HIP_vector_typeIjLj2EENS0_17counting_iteratorIjlEEPS9_SG_NS0_5tupleIJPjSI_NS0_16reverse_iteratorISI_EEEEENSH_IJSG_SG_SG_EEES9_SI_JZNS1_25segmented_radix_sort_implINS0_14default_configELb0EPKdPdPKlPlN2at6native12_GLOBAL__N_18offset_tEEE10hipError_tPvRmT1_PNSt15iterator_traitsIS12_E10value_typeET2_T3_PNS13_IS18_E10value_typeET4_jRbjT5_S1E_jjP12ihipStream_tbEUljE_ZNSN_ISO_Lb0ESQ_SR_ST_SU_SY_EESZ_S10_S11_S12_S16_S17_S18_S1B_S1C_jS1D_jS1E_S1E_jjS1G_bEUljE0_EEESZ_S10_S11_S18_S1C_S1E_T6_T7_T9_mT8_S1G_bDpT10_ENKUlT_T0_E_clISt17integral_constantIbLb0EES1U_EEDaS1P_S1Q_EUlS1P_E_NS1_11comp_targetILNS1_3genE10ELNS1_11target_archE1200ELNS1_3gpuE4ELNS1_3repE0EEENS1_30default_config_static_selectorELNS0_4arch9wavefront6targetE0EEEvS12_: ; @_ZN7rocprim17ROCPRIM_400000_NS6detail17trampoline_kernelINS0_13select_configILj256ELj13ELNS0_17block_load_methodE3ELS4_3ELS4_3ELNS0_20block_scan_algorithmE0ELj4294967295EEENS1_25partition_config_selectorILNS1_17partition_subalgoE4EjNS0_10empty_typeEbEEZZNS1_14partition_implILS8_4ELb0ES6_15HIP_vector_typeIjLj2EENS0_17counting_iteratorIjlEEPS9_SG_NS0_5tupleIJPjSI_NS0_16reverse_iteratorISI_EEEEENSH_IJSG_SG_SG_EEES9_SI_JZNS1_25segmented_radix_sort_implINS0_14default_configELb0EPKdPdPKlPlN2at6native12_GLOBAL__N_18offset_tEEE10hipError_tPvRmT1_PNSt15iterator_traitsIS12_E10value_typeET2_T3_PNS13_IS18_E10value_typeET4_jRbjT5_S1E_jjP12ihipStream_tbEUljE_ZNSN_ISO_Lb0ESQ_SR_ST_SU_SY_EESZ_S10_S11_S12_S16_S17_S18_S1B_S1C_jS1D_jS1E_S1E_jjS1G_bEUljE0_EEESZ_S10_S11_S18_S1C_S1E_T6_T7_T9_mT8_S1G_bDpT10_ENKUlT_T0_E_clISt17integral_constantIbLb0EES1U_EEDaS1P_S1Q_EUlS1P_E_NS1_11comp_targetILNS1_3genE10ELNS1_11target_archE1200ELNS1_3gpuE4ELNS1_3repE0EEENS1_30default_config_static_selectorELNS0_4arch9wavefront6targetE0EEEvS12_
; %bb.0:
	.section	.rodata,"a",@progbits
	.p2align	6, 0x0
	.amdhsa_kernel _ZN7rocprim17ROCPRIM_400000_NS6detail17trampoline_kernelINS0_13select_configILj256ELj13ELNS0_17block_load_methodE3ELS4_3ELS4_3ELNS0_20block_scan_algorithmE0ELj4294967295EEENS1_25partition_config_selectorILNS1_17partition_subalgoE4EjNS0_10empty_typeEbEEZZNS1_14partition_implILS8_4ELb0ES6_15HIP_vector_typeIjLj2EENS0_17counting_iteratorIjlEEPS9_SG_NS0_5tupleIJPjSI_NS0_16reverse_iteratorISI_EEEEENSH_IJSG_SG_SG_EEES9_SI_JZNS1_25segmented_radix_sort_implINS0_14default_configELb0EPKdPdPKlPlN2at6native12_GLOBAL__N_18offset_tEEE10hipError_tPvRmT1_PNSt15iterator_traitsIS12_E10value_typeET2_T3_PNS13_IS18_E10value_typeET4_jRbjT5_S1E_jjP12ihipStream_tbEUljE_ZNSN_ISO_Lb0ESQ_SR_ST_SU_SY_EESZ_S10_S11_S12_S16_S17_S18_S1B_S1C_jS1D_jS1E_S1E_jjS1G_bEUljE0_EEESZ_S10_S11_S18_S1C_S1E_T6_T7_T9_mT8_S1G_bDpT10_ENKUlT_T0_E_clISt17integral_constantIbLb0EES1U_EEDaS1P_S1Q_EUlS1P_E_NS1_11comp_targetILNS1_3genE10ELNS1_11target_archE1200ELNS1_3gpuE4ELNS1_3repE0EEENS1_30default_config_static_selectorELNS0_4arch9wavefront6targetE0EEEvS12_
		.amdhsa_group_segment_fixed_size 0
		.amdhsa_private_segment_fixed_size 0
		.amdhsa_kernarg_size 176
		.amdhsa_user_sgpr_count 6
		.amdhsa_user_sgpr_private_segment_buffer 1
		.amdhsa_user_sgpr_dispatch_ptr 0
		.amdhsa_user_sgpr_queue_ptr 0
		.amdhsa_user_sgpr_kernarg_segment_ptr 1
		.amdhsa_user_sgpr_dispatch_id 0
		.amdhsa_user_sgpr_flat_scratch_init 0
		.amdhsa_user_sgpr_private_segment_size 0
		.amdhsa_wavefront_size32 1
		.amdhsa_uses_dynamic_stack 0
		.amdhsa_system_sgpr_private_segment_wavefront_offset 0
		.amdhsa_system_sgpr_workgroup_id_x 1
		.amdhsa_system_sgpr_workgroup_id_y 0
		.amdhsa_system_sgpr_workgroup_id_z 0
		.amdhsa_system_sgpr_workgroup_info 0
		.amdhsa_system_vgpr_workitem_id 0
		.amdhsa_next_free_vgpr 1
		.amdhsa_next_free_sgpr 1
		.amdhsa_reserve_vcc 0
		.amdhsa_reserve_flat_scratch 0
		.amdhsa_float_round_mode_32 0
		.amdhsa_float_round_mode_16_64 0
		.amdhsa_float_denorm_mode_32 3
		.amdhsa_float_denorm_mode_16_64 3
		.amdhsa_dx10_clamp 1
		.amdhsa_ieee_mode 1
		.amdhsa_fp16_overflow 0
		.amdhsa_workgroup_processor_mode 1
		.amdhsa_memory_ordered 1
		.amdhsa_forward_progress 1
		.amdhsa_shared_vgpr_count 0
		.amdhsa_exception_fp_ieee_invalid_op 0
		.amdhsa_exception_fp_denorm_src 0
		.amdhsa_exception_fp_ieee_div_zero 0
		.amdhsa_exception_fp_ieee_overflow 0
		.amdhsa_exception_fp_ieee_underflow 0
		.amdhsa_exception_fp_ieee_inexact 0
		.amdhsa_exception_int_div_zero 0
	.end_amdhsa_kernel
	.section	.text._ZN7rocprim17ROCPRIM_400000_NS6detail17trampoline_kernelINS0_13select_configILj256ELj13ELNS0_17block_load_methodE3ELS4_3ELS4_3ELNS0_20block_scan_algorithmE0ELj4294967295EEENS1_25partition_config_selectorILNS1_17partition_subalgoE4EjNS0_10empty_typeEbEEZZNS1_14partition_implILS8_4ELb0ES6_15HIP_vector_typeIjLj2EENS0_17counting_iteratorIjlEEPS9_SG_NS0_5tupleIJPjSI_NS0_16reverse_iteratorISI_EEEEENSH_IJSG_SG_SG_EEES9_SI_JZNS1_25segmented_radix_sort_implINS0_14default_configELb0EPKdPdPKlPlN2at6native12_GLOBAL__N_18offset_tEEE10hipError_tPvRmT1_PNSt15iterator_traitsIS12_E10value_typeET2_T3_PNS13_IS18_E10value_typeET4_jRbjT5_S1E_jjP12ihipStream_tbEUljE_ZNSN_ISO_Lb0ESQ_SR_ST_SU_SY_EESZ_S10_S11_S12_S16_S17_S18_S1B_S1C_jS1D_jS1E_S1E_jjS1G_bEUljE0_EEESZ_S10_S11_S18_S1C_S1E_T6_T7_T9_mT8_S1G_bDpT10_ENKUlT_T0_E_clISt17integral_constantIbLb0EES1U_EEDaS1P_S1Q_EUlS1P_E_NS1_11comp_targetILNS1_3genE10ELNS1_11target_archE1200ELNS1_3gpuE4ELNS1_3repE0EEENS1_30default_config_static_selectorELNS0_4arch9wavefront6targetE0EEEvS12_,"axG",@progbits,_ZN7rocprim17ROCPRIM_400000_NS6detail17trampoline_kernelINS0_13select_configILj256ELj13ELNS0_17block_load_methodE3ELS4_3ELS4_3ELNS0_20block_scan_algorithmE0ELj4294967295EEENS1_25partition_config_selectorILNS1_17partition_subalgoE4EjNS0_10empty_typeEbEEZZNS1_14partition_implILS8_4ELb0ES6_15HIP_vector_typeIjLj2EENS0_17counting_iteratorIjlEEPS9_SG_NS0_5tupleIJPjSI_NS0_16reverse_iteratorISI_EEEEENSH_IJSG_SG_SG_EEES9_SI_JZNS1_25segmented_radix_sort_implINS0_14default_configELb0EPKdPdPKlPlN2at6native12_GLOBAL__N_18offset_tEEE10hipError_tPvRmT1_PNSt15iterator_traitsIS12_E10value_typeET2_T3_PNS13_IS18_E10value_typeET4_jRbjT5_S1E_jjP12ihipStream_tbEUljE_ZNSN_ISO_Lb0ESQ_SR_ST_SU_SY_EESZ_S10_S11_S12_S16_S17_S18_S1B_S1C_jS1D_jS1E_S1E_jjS1G_bEUljE0_EEESZ_S10_S11_S18_S1C_S1E_T6_T7_T9_mT8_S1G_bDpT10_ENKUlT_T0_E_clISt17integral_constantIbLb0EES1U_EEDaS1P_S1Q_EUlS1P_E_NS1_11comp_targetILNS1_3genE10ELNS1_11target_archE1200ELNS1_3gpuE4ELNS1_3repE0EEENS1_30default_config_static_selectorELNS0_4arch9wavefront6targetE0EEEvS12_,comdat
.Lfunc_end1154:
	.size	_ZN7rocprim17ROCPRIM_400000_NS6detail17trampoline_kernelINS0_13select_configILj256ELj13ELNS0_17block_load_methodE3ELS4_3ELS4_3ELNS0_20block_scan_algorithmE0ELj4294967295EEENS1_25partition_config_selectorILNS1_17partition_subalgoE4EjNS0_10empty_typeEbEEZZNS1_14partition_implILS8_4ELb0ES6_15HIP_vector_typeIjLj2EENS0_17counting_iteratorIjlEEPS9_SG_NS0_5tupleIJPjSI_NS0_16reverse_iteratorISI_EEEEENSH_IJSG_SG_SG_EEES9_SI_JZNS1_25segmented_radix_sort_implINS0_14default_configELb0EPKdPdPKlPlN2at6native12_GLOBAL__N_18offset_tEEE10hipError_tPvRmT1_PNSt15iterator_traitsIS12_E10value_typeET2_T3_PNS13_IS18_E10value_typeET4_jRbjT5_S1E_jjP12ihipStream_tbEUljE_ZNSN_ISO_Lb0ESQ_SR_ST_SU_SY_EESZ_S10_S11_S12_S16_S17_S18_S1B_S1C_jS1D_jS1E_S1E_jjS1G_bEUljE0_EEESZ_S10_S11_S18_S1C_S1E_T6_T7_T9_mT8_S1G_bDpT10_ENKUlT_T0_E_clISt17integral_constantIbLb0EES1U_EEDaS1P_S1Q_EUlS1P_E_NS1_11comp_targetILNS1_3genE10ELNS1_11target_archE1200ELNS1_3gpuE4ELNS1_3repE0EEENS1_30default_config_static_selectorELNS0_4arch9wavefront6targetE0EEEvS12_, .Lfunc_end1154-_ZN7rocprim17ROCPRIM_400000_NS6detail17trampoline_kernelINS0_13select_configILj256ELj13ELNS0_17block_load_methodE3ELS4_3ELS4_3ELNS0_20block_scan_algorithmE0ELj4294967295EEENS1_25partition_config_selectorILNS1_17partition_subalgoE4EjNS0_10empty_typeEbEEZZNS1_14partition_implILS8_4ELb0ES6_15HIP_vector_typeIjLj2EENS0_17counting_iteratorIjlEEPS9_SG_NS0_5tupleIJPjSI_NS0_16reverse_iteratorISI_EEEEENSH_IJSG_SG_SG_EEES9_SI_JZNS1_25segmented_radix_sort_implINS0_14default_configELb0EPKdPdPKlPlN2at6native12_GLOBAL__N_18offset_tEEE10hipError_tPvRmT1_PNSt15iterator_traitsIS12_E10value_typeET2_T3_PNS13_IS18_E10value_typeET4_jRbjT5_S1E_jjP12ihipStream_tbEUljE_ZNSN_ISO_Lb0ESQ_SR_ST_SU_SY_EESZ_S10_S11_S12_S16_S17_S18_S1B_S1C_jS1D_jS1E_S1E_jjS1G_bEUljE0_EEESZ_S10_S11_S18_S1C_S1E_T6_T7_T9_mT8_S1G_bDpT10_ENKUlT_T0_E_clISt17integral_constantIbLb0EES1U_EEDaS1P_S1Q_EUlS1P_E_NS1_11comp_targetILNS1_3genE10ELNS1_11target_archE1200ELNS1_3gpuE4ELNS1_3repE0EEENS1_30default_config_static_selectorELNS0_4arch9wavefront6targetE0EEEvS12_
                                        ; -- End function
	.set _ZN7rocprim17ROCPRIM_400000_NS6detail17trampoline_kernelINS0_13select_configILj256ELj13ELNS0_17block_load_methodE3ELS4_3ELS4_3ELNS0_20block_scan_algorithmE0ELj4294967295EEENS1_25partition_config_selectorILNS1_17partition_subalgoE4EjNS0_10empty_typeEbEEZZNS1_14partition_implILS8_4ELb0ES6_15HIP_vector_typeIjLj2EENS0_17counting_iteratorIjlEEPS9_SG_NS0_5tupleIJPjSI_NS0_16reverse_iteratorISI_EEEEENSH_IJSG_SG_SG_EEES9_SI_JZNS1_25segmented_radix_sort_implINS0_14default_configELb0EPKdPdPKlPlN2at6native12_GLOBAL__N_18offset_tEEE10hipError_tPvRmT1_PNSt15iterator_traitsIS12_E10value_typeET2_T3_PNS13_IS18_E10value_typeET4_jRbjT5_S1E_jjP12ihipStream_tbEUljE_ZNSN_ISO_Lb0ESQ_SR_ST_SU_SY_EESZ_S10_S11_S12_S16_S17_S18_S1B_S1C_jS1D_jS1E_S1E_jjS1G_bEUljE0_EEESZ_S10_S11_S18_S1C_S1E_T6_T7_T9_mT8_S1G_bDpT10_ENKUlT_T0_E_clISt17integral_constantIbLb0EES1U_EEDaS1P_S1Q_EUlS1P_E_NS1_11comp_targetILNS1_3genE10ELNS1_11target_archE1200ELNS1_3gpuE4ELNS1_3repE0EEENS1_30default_config_static_selectorELNS0_4arch9wavefront6targetE0EEEvS12_.num_vgpr, 0
	.set _ZN7rocprim17ROCPRIM_400000_NS6detail17trampoline_kernelINS0_13select_configILj256ELj13ELNS0_17block_load_methodE3ELS4_3ELS4_3ELNS0_20block_scan_algorithmE0ELj4294967295EEENS1_25partition_config_selectorILNS1_17partition_subalgoE4EjNS0_10empty_typeEbEEZZNS1_14partition_implILS8_4ELb0ES6_15HIP_vector_typeIjLj2EENS0_17counting_iteratorIjlEEPS9_SG_NS0_5tupleIJPjSI_NS0_16reverse_iteratorISI_EEEEENSH_IJSG_SG_SG_EEES9_SI_JZNS1_25segmented_radix_sort_implINS0_14default_configELb0EPKdPdPKlPlN2at6native12_GLOBAL__N_18offset_tEEE10hipError_tPvRmT1_PNSt15iterator_traitsIS12_E10value_typeET2_T3_PNS13_IS18_E10value_typeET4_jRbjT5_S1E_jjP12ihipStream_tbEUljE_ZNSN_ISO_Lb0ESQ_SR_ST_SU_SY_EESZ_S10_S11_S12_S16_S17_S18_S1B_S1C_jS1D_jS1E_S1E_jjS1G_bEUljE0_EEESZ_S10_S11_S18_S1C_S1E_T6_T7_T9_mT8_S1G_bDpT10_ENKUlT_T0_E_clISt17integral_constantIbLb0EES1U_EEDaS1P_S1Q_EUlS1P_E_NS1_11comp_targetILNS1_3genE10ELNS1_11target_archE1200ELNS1_3gpuE4ELNS1_3repE0EEENS1_30default_config_static_selectorELNS0_4arch9wavefront6targetE0EEEvS12_.num_agpr, 0
	.set _ZN7rocprim17ROCPRIM_400000_NS6detail17trampoline_kernelINS0_13select_configILj256ELj13ELNS0_17block_load_methodE3ELS4_3ELS4_3ELNS0_20block_scan_algorithmE0ELj4294967295EEENS1_25partition_config_selectorILNS1_17partition_subalgoE4EjNS0_10empty_typeEbEEZZNS1_14partition_implILS8_4ELb0ES6_15HIP_vector_typeIjLj2EENS0_17counting_iteratorIjlEEPS9_SG_NS0_5tupleIJPjSI_NS0_16reverse_iteratorISI_EEEEENSH_IJSG_SG_SG_EEES9_SI_JZNS1_25segmented_radix_sort_implINS0_14default_configELb0EPKdPdPKlPlN2at6native12_GLOBAL__N_18offset_tEEE10hipError_tPvRmT1_PNSt15iterator_traitsIS12_E10value_typeET2_T3_PNS13_IS18_E10value_typeET4_jRbjT5_S1E_jjP12ihipStream_tbEUljE_ZNSN_ISO_Lb0ESQ_SR_ST_SU_SY_EESZ_S10_S11_S12_S16_S17_S18_S1B_S1C_jS1D_jS1E_S1E_jjS1G_bEUljE0_EEESZ_S10_S11_S18_S1C_S1E_T6_T7_T9_mT8_S1G_bDpT10_ENKUlT_T0_E_clISt17integral_constantIbLb0EES1U_EEDaS1P_S1Q_EUlS1P_E_NS1_11comp_targetILNS1_3genE10ELNS1_11target_archE1200ELNS1_3gpuE4ELNS1_3repE0EEENS1_30default_config_static_selectorELNS0_4arch9wavefront6targetE0EEEvS12_.numbered_sgpr, 0
	.set _ZN7rocprim17ROCPRIM_400000_NS6detail17trampoline_kernelINS0_13select_configILj256ELj13ELNS0_17block_load_methodE3ELS4_3ELS4_3ELNS0_20block_scan_algorithmE0ELj4294967295EEENS1_25partition_config_selectorILNS1_17partition_subalgoE4EjNS0_10empty_typeEbEEZZNS1_14partition_implILS8_4ELb0ES6_15HIP_vector_typeIjLj2EENS0_17counting_iteratorIjlEEPS9_SG_NS0_5tupleIJPjSI_NS0_16reverse_iteratorISI_EEEEENSH_IJSG_SG_SG_EEES9_SI_JZNS1_25segmented_radix_sort_implINS0_14default_configELb0EPKdPdPKlPlN2at6native12_GLOBAL__N_18offset_tEEE10hipError_tPvRmT1_PNSt15iterator_traitsIS12_E10value_typeET2_T3_PNS13_IS18_E10value_typeET4_jRbjT5_S1E_jjP12ihipStream_tbEUljE_ZNSN_ISO_Lb0ESQ_SR_ST_SU_SY_EESZ_S10_S11_S12_S16_S17_S18_S1B_S1C_jS1D_jS1E_S1E_jjS1G_bEUljE0_EEESZ_S10_S11_S18_S1C_S1E_T6_T7_T9_mT8_S1G_bDpT10_ENKUlT_T0_E_clISt17integral_constantIbLb0EES1U_EEDaS1P_S1Q_EUlS1P_E_NS1_11comp_targetILNS1_3genE10ELNS1_11target_archE1200ELNS1_3gpuE4ELNS1_3repE0EEENS1_30default_config_static_selectorELNS0_4arch9wavefront6targetE0EEEvS12_.num_named_barrier, 0
	.set _ZN7rocprim17ROCPRIM_400000_NS6detail17trampoline_kernelINS0_13select_configILj256ELj13ELNS0_17block_load_methodE3ELS4_3ELS4_3ELNS0_20block_scan_algorithmE0ELj4294967295EEENS1_25partition_config_selectorILNS1_17partition_subalgoE4EjNS0_10empty_typeEbEEZZNS1_14partition_implILS8_4ELb0ES6_15HIP_vector_typeIjLj2EENS0_17counting_iteratorIjlEEPS9_SG_NS0_5tupleIJPjSI_NS0_16reverse_iteratorISI_EEEEENSH_IJSG_SG_SG_EEES9_SI_JZNS1_25segmented_radix_sort_implINS0_14default_configELb0EPKdPdPKlPlN2at6native12_GLOBAL__N_18offset_tEEE10hipError_tPvRmT1_PNSt15iterator_traitsIS12_E10value_typeET2_T3_PNS13_IS18_E10value_typeET4_jRbjT5_S1E_jjP12ihipStream_tbEUljE_ZNSN_ISO_Lb0ESQ_SR_ST_SU_SY_EESZ_S10_S11_S12_S16_S17_S18_S1B_S1C_jS1D_jS1E_S1E_jjS1G_bEUljE0_EEESZ_S10_S11_S18_S1C_S1E_T6_T7_T9_mT8_S1G_bDpT10_ENKUlT_T0_E_clISt17integral_constantIbLb0EES1U_EEDaS1P_S1Q_EUlS1P_E_NS1_11comp_targetILNS1_3genE10ELNS1_11target_archE1200ELNS1_3gpuE4ELNS1_3repE0EEENS1_30default_config_static_selectorELNS0_4arch9wavefront6targetE0EEEvS12_.private_seg_size, 0
	.set _ZN7rocprim17ROCPRIM_400000_NS6detail17trampoline_kernelINS0_13select_configILj256ELj13ELNS0_17block_load_methodE3ELS4_3ELS4_3ELNS0_20block_scan_algorithmE0ELj4294967295EEENS1_25partition_config_selectorILNS1_17partition_subalgoE4EjNS0_10empty_typeEbEEZZNS1_14partition_implILS8_4ELb0ES6_15HIP_vector_typeIjLj2EENS0_17counting_iteratorIjlEEPS9_SG_NS0_5tupleIJPjSI_NS0_16reverse_iteratorISI_EEEEENSH_IJSG_SG_SG_EEES9_SI_JZNS1_25segmented_radix_sort_implINS0_14default_configELb0EPKdPdPKlPlN2at6native12_GLOBAL__N_18offset_tEEE10hipError_tPvRmT1_PNSt15iterator_traitsIS12_E10value_typeET2_T3_PNS13_IS18_E10value_typeET4_jRbjT5_S1E_jjP12ihipStream_tbEUljE_ZNSN_ISO_Lb0ESQ_SR_ST_SU_SY_EESZ_S10_S11_S12_S16_S17_S18_S1B_S1C_jS1D_jS1E_S1E_jjS1G_bEUljE0_EEESZ_S10_S11_S18_S1C_S1E_T6_T7_T9_mT8_S1G_bDpT10_ENKUlT_T0_E_clISt17integral_constantIbLb0EES1U_EEDaS1P_S1Q_EUlS1P_E_NS1_11comp_targetILNS1_3genE10ELNS1_11target_archE1200ELNS1_3gpuE4ELNS1_3repE0EEENS1_30default_config_static_selectorELNS0_4arch9wavefront6targetE0EEEvS12_.uses_vcc, 0
	.set _ZN7rocprim17ROCPRIM_400000_NS6detail17trampoline_kernelINS0_13select_configILj256ELj13ELNS0_17block_load_methodE3ELS4_3ELS4_3ELNS0_20block_scan_algorithmE0ELj4294967295EEENS1_25partition_config_selectorILNS1_17partition_subalgoE4EjNS0_10empty_typeEbEEZZNS1_14partition_implILS8_4ELb0ES6_15HIP_vector_typeIjLj2EENS0_17counting_iteratorIjlEEPS9_SG_NS0_5tupleIJPjSI_NS0_16reverse_iteratorISI_EEEEENSH_IJSG_SG_SG_EEES9_SI_JZNS1_25segmented_radix_sort_implINS0_14default_configELb0EPKdPdPKlPlN2at6native12_GLOBAL__N_18offset_tEEE10hipError_tPvRmT1_PNSt15iterator_traitsIS12_E10value_typeET2_T3_PNS13_IS18_E10value_typeET4_jRbjT5_S1E_jjP12ihipStream_tbEUljE_ZNSN_ISO_Lb0ESQ_SR_ST_SU_SY_EESZ_S10_S11_S12_S16_S17_S18_S1B_S1C_jS1D_jS1E_S1E_jjS1G_bEUljE0_EEESZ_S10_S11_S18_S1C_S1E_T6_T7_T9_mT8_S1G_bDpT10_ENKUlT_T0_E_clISt17integral_constantIbLb0EES1U_EEDaS1P_S1Q_EUlS1P_E_NS1_11comp_targetILNS1_3genE10ELNS1_11target_archE1200ELNS1_3gpuE4ELNS1_3repE0EEENS1_30default_config_static_selectorELNS0_4arch9wavefront6targetE0EEEvS12_.uses_flat_scratch, 0
	.set _ZN7rocprim17ROCPRIM_400000_NS6detail17trampoline_kernelINS0_13select_configILj256ELj13ELNS0_17block_load_methodE3ELS4_3ELS4_3ELNS0_20block_scan_algorithmE0ELj4294967295EEENS1_25partition_config_selectorILNS1_17partition_subalgoE4EjNS0_10empty_typeEbEEZZNS1_14partition_implILS8_4ELb0ES6_15HIP_vector_typeIjLj2EENS0_17counting_iteratorIjlEEPS9_SG_NS0_5tupleIJPjSI_NS0_16reverse_iteratorISI_EEEEENSH_IJSG_SG_SG_EEES9_SI_JZNS1_25segmented_radix_sort_implINS0_14default_configELb0EPKdPdPKlPlN2at6native12_GLOBAL__N_18offset_tEEE10hipError_tPvRmT1_PNSt15iterator_traitsIS12_E10value_typeET2_T3_PNS13_IS18_E10value_typeET4_jRbjT5_S1E_jjP12ihipStream_tbEUljE_ZNSN_ISO_Lb0ESQ_SR_ST_SU_SY_EESZ_S10_S11_S12_S16_S17_S18_S1B_S1C_jS1D_jS1E_S1E_jjS1G_bEUljE0_EEESZ_S10_S11_S18_S1C_S1E_T6_T7_T9_mT8_S1G_bDpT10_ENKUlT_T0_E_clISt17integral_constantIbLb0EES1U_EEDaS1P_S1Q_EUlS1P_E_NS1_11comp_targetILNS1_3genE10ELNS1_11target_archE1200ELNS1_3gpuE4ELNS1_3repE0EEENS1_30default_config_static_selectorELNS0_4arch9wavefront6targetE0EEEvS12_.has_dyn_sized_stack, 0
	.set _ZN7rocprim17ROCPRIM_400000_NS6detail17trampoline_kernelINS0_13select_configILj256ELj13ELNS0_17block_load_methodE3ELS4_3ELS4_3ELNS0_20block_scan_algorithmE0ELj4294967295EEENS1_25partition_config_selectorILNS1_17partition_subalgoE4EjNS0_10empty_typeEbEEZZNS1_14partition_implILS8_4ELb0ES6_15HIP_vector_typeIjLj2EENS0_17counting_iteratorIjlEEPS9_SG_NS0_5tupleIJPjSI_NS0_16reverse_iteratorISI_EEEEENSH_IJSG_SG_SG_EEES9_SI_JZNS1_25segmented_radix_sort_implINS0_14default_configELb0EPKdPdPKlPlN2at6native12_GLOBAL__N_18offset_tEEE10hipError_tPvRmT1_PNSt15iterator_traitsIS12_E10value_typeET2_T3_PNS13_IS18_E10value_typeET4_jRbjT5_S1E_jjP12ihipStream_tbEUljE_ZNSN_ISO_Lb0ESQ_SR_ST_SU_SY_EESZ_S10_S11_S12_S16_S17_S18_S1B_S1C_jS1D_jS1E_S1E_jjS1G_bEUljE0_EEESZ_S10_S11_S18_S1C_S1E_T6_T7_T9_mT8_S1G_bDpT10_ENKUlT_T0_E_clISt17integral_constantIbLb0EES1U_EEDaS1P_S1Q_EUlS1P_E_NS1_11comp_targetILNS1_3genE10ELNS1_11target_archE1200ELNS1_3gpuE4ELNS1_3repE0EEENS1_30default_config_static_selectorELNS0_4arch9wavefront6targetE0EEEvS12_.has_recursion, 0
	.set _ZN7rocprim17ROCPRIM_400000_NS6detail17trampoline_kernelINS0_13select_configILj256ELj13ELNS0_17block_load_methodE3ELS4_3ELS4_3ELNS0_20block_scan_algorithmE0ELj4294967295EEENS1_25partition_config_selectorILNS1_17partition_subalgoE4EjNS0_10empty_typeEbEEZZNS1_14partition_implILS8_4ELb0ES6_15HIP_vector_typeIjLj2EENS0_17counting_iteratorIjlEEPS9_SG_NS0_5tupleIJPjSI_NS0_16reverse_iteratorISI_EEEEENSH_IJSG_SG_SG_EEES9_SI_JZNS1_25segmented_radix_sort_implINS0_14default_configELb0EPKdPdPKlPlN2at6native12_GLOBAL__N_18offset_tEEE10hipError_tPvRmT1_PNSt15iterator_traitsIS12_E10value_typeET2_T3_PNS13_IS18_E10value_typeET4_jRbjT5_S1E_jjP12ihipStream_tbEUljE_ZNSN_ISO_Lb0ESQ_SR_ST_SU_SY_EESZ_S10_S11_S12_S16_S17_S18_S1B_S1C_jS1D_jS1E_S1E_jjS1G_bEUljE0_EEESZ_S10_S11_S18_S1C_S1E_T6_T7_T9_mT8_S1G_bDpT10_ENKUlT_T0_E_clISt17integral_constantIbLb0EES1U_EEDaS1P_S1Q_EUlS1P_E_NS1_11comp_targetILNS1_3genE10ELNS1_11target_archE1200ELNS1_3gpuE4ELNS1_3repE0EEENS1_30default_config_static_selectorELNS0_4arch9wavefront6targetE0EEEvS12_.has_indirect_call, 0
	.section	.AMDGPU.csdata,"",@progbits
; Kernel info:
; codeLenInByte = 0
; TotalNumSgprs: 0
; NumVgprs: 0
; ScratchSize: 0
; MemoryBound: 0
; FloatMode: 240
; IeeeMode: 1
; LDSByteSize: 0 bytes/workgroup (compile time only)
; SGPRBlocks: 0
; VGPRBlocks: 0
; NumSGPRsForWavesPerEU: 1
; NumVGPRsForWavesPerEU: 1
; Occupancy: 16
; WaveLimiterHint : 0
; COMPUTE_PGM_RSRC2:SCRATCH_EN: 0
; COMPUTE_PGM_RSRC2:USER_SGPR: 6
; COMPUTE_PGM_RSRC2:TRAP_HANDLER: 0
; COMPUTE_PGM_RSRC2:TGID_X_EN: 1
; COMPUTE_PGM_RSRC2:TGID_Y_EN: 0
; COMPUTE_PGM_RSRC2:TGID_Z_EN: 0
; COMPUTE_PGM_RSRC2:TIDIG_COMP_CNT: 0
	.section	.text._ZN7rocprim17ROCPRIM_400000_NS6detail17trampoline_kernelINS0_13select_configILj256ELj13ELNS0_17block_load_methodE3ELS4_3ELS4_3ELNS0_20block_scan_algorithmE0ELj4294967295EEENS1_25partition_config_selectorILNS1_17partition_subalgoE4EjNS0_10empty_typeEbEEZZNS1_14partition_implILS8_4ELb0ES6_15HIP_vector_typeIjLj2EENS0_17counting_iteratorIjlEEPS9_SG_NS0_5tupleIJPjSI_NS0_16reverse_iteratorISI_EEEEENSH_IJSG_SG_SG_EEES9_SI_JZNS1_25segmented_radix_sort_implINS0_14default_configELb0EPKdPdPKlPlN2at6native12_GLOBAL__N_18offset_tEEE10hipError_tPvRmT1_PNSt15iterator_traitsIS12_E10value_typeET2_T3_PNS13_IS18_E10value_typeET4_jRbjT5_S1E_jjP12ihipStream_tbEUljE_ZNSN_ISO_Lb0ESQ_SR_ST_SU_SY_EESZ_S10_S11_S12_S16_S17_S18_S1B_S1C_jS1D_jS1E_S1E_jjS1G_bEUljE0_EEESZ_S10_S11_S18_S1C_S1E_T6_T7_T9_mT8_S1G_bDpT10_ENKUlT_T0_E_clISt17integral_constantIbLb0EES1U_EEDaS1P_S1Q_EUlS1P_E_NS1_11comp_targetILNS1_3genE9ELNS1_11target_archE1100ELNS1_3gpuE3ELNS1_3repE0EEENS1_30default_config_static_selectorELNS0_4arch9wavefront6targetE0EEEvS12_,"axG",@progbits,_ZN7rocprim17ROCPRIM_400000_NS6detail17trampoline_kernelINS0_13select_configILj256ELj13ELNS0_17block_load_methodE3ELS4_3ELS4_3ELNS0_20block_scan_algorithmE0ELj4294967295EEENS1_25partition_config_selectorILNS1_17partition_subalgoE4EjNS0_10empty_typeEbEEZZNS1_14partition_implILS8_4ELb0ES6_15HIP_vector_typeIjLj2EENS0_17counting_iteratorIjlEEPS9_SG_NS0_5tupleIJPjSI_NS0_16reverse_iteratorISI_EEEEENSH_IJSG_SG_SG_EEES9_SI_JZNS1_25segmented_radix_sort_implINS0_14default_configELb0EPKdPdPKlPlN2at6native12_GLOBAL__N_18offset_tEEE10hipError_tPvRmT1_PNSt15iterator_traitsIS12_E10value_typeET2_T3_PNS13_IS18_E10value_typeET4_jRbjT5_S1E_jjP12ihipStream_tbEUljE_ZNSN_ISO_Lb0ESQ_SR_ST_SU_SY_EESZ_S10_S11_S12_S16_S17_S18_S1B_S1C_jS1D_jS1E_S1E_jjS1G_bEUljE0_EEESZ_S10_S11_S18_S1C_S1E_T6_T7_T9_mT8_S1G_bDpT10_ENKUlT_T0_E_clISt17integral_constantIbLb0EES1U_EEDaS1P_S1Q_EUlS1P_E_NS1_11comp_targetILNS1_3genE9ELNS1_11target_archE1100ELNS1_3gpuE3ELNS1_3repE0EEENS1_30default_config_static_selectorELNS0_4arch9wavefront6targetE0EEEvS12_,comdat
	.globl	_ZN7rocprim17ROCPRIM_400000_NS6detail17trampoline_kernelINS0_13select_configILj256ELj13ELNS0_17block_load_methodE3ELS4_3ELS4_3ELNS0_20block_scan_algorithmE0ELj4294967295EEENS1_25partition_config_selectorILNS1_17partition_subalgoE4EjNS0_10empty_typeEbEEZZNS1_14partition_implILS8_4ELb0ES6_15HIP_vector_typeIjLj2EENS0_17counting_iteratorIjlEEPS9_SG_NS0_5tupleIJPjSI_NS0_16reverse_iteratorISI_EEEEENSH_IJSG_SG_SG_EEES9_SI_JZNS1_25segmented_radix_sort_implINS0_14default_configELb0EPKdPdPKlPlN2at6native12_GLOBAL__N_18offset_tEEE10hipError_tPvRmT1_PNSt15iterator_traitsIS12_E10value_typeET2_T3_PNS13_IS18_E10value_typeET4_jRbjT5_S1E_jjP12ihipStream_tbEUljE_ZNSN_ISO_Lb0ESQ_SR_ST_SU_SY_EESZ_S10_S11_S12_S16_S17_S18_S1B_S1C_jS1D_jS1E_S1E_jjS1G_bEUljE0_EEESZ_S10_S11_S18_S1C_S1E_T6_T7_T9_mT8_S1G_bDpT10_ENKUlT_T0_E_clISt17integral_constantIbLb0EES1U_EEDaS1P_S1Q_EUlS1P_E_NS1_11comp_targetILNS1_3genE9ELNS1_11target_archE1100ELNS1_3gpuE3ELNS1_3repE0EEENS1_30default_config_static_selectorELNS0_4arch9wavefront6targetE0EEEvS12_ ; -- Begin function _ZN7rocprim17ROCPRIM_400000_NS6detail17trampoline_kernelINS0_13select_configILj256ELj13ELNS0_17block_load_methodE3ELS4_3ELS4_3ELNS0_20block_scan_algorithmE0ELj4294967295EEENS1_25partition_config_selectorILNS1_17partition_subalgoE4EjNS0_10empty_typeEbEEZZNS1_14partition_implILS8_4ELb0ES6_15HIP_vector_typeIjLj2EENS0_17counting_iteratorIjlEEPS9_SG_NS0_5tupleIJPjSI_NS0_16reverse_iteratorISI_EEEEENSH_IJSG_SG_SG_EEES9_SI_JZNS1_25segmented_radix_sort_implINS0_14default_configELb0EPKdPdPKlPlN2at6native12_GLOBAL__N_18offset_tEEE10hipError_tPvRmT1_PNSt15iterator_traitsIS12_E10value_typeET2_T3_PNS13_IS18_E10value_typeET4_jRbjT5_S1E_jjP12ihipStream_tbEUljE_ZNSN_ISO_Lb0ESQ_SR_ST_SU_SY_EESZ_S10_S11_S12_S16_S17_S18_S1B_S1C_jS1D_jS1E_S1E_jjS1G_bEUljE0_EEESZ_S10_S11_S18_S1C_S1E_T6_T7_T9_mT8_S1G_bDpT10_ENKUlT_T0_E_clISt17integral_constantIbLb0EES1U_EEDaS1P_S1Q_EUlS1P_E_NS1_11comp_targetILNS1_3genE9ELNS1_11target_archE1100ELNS1_3gpuE3ELNS1_3repE0EEENS1_30default_config_static_selectorELNS0_4arch9wavefront6targetE0EEEvS12_
	.p2align	8
	.type	_ZN7rocprim17ROCPRIM_400000_NS6detail17trampoline_kernelINS0_13select_configILj256ELj13ELNS0_17block_load_methodE3ELS4_3ELS4_3ELNS0_20block_scan_algorithmE0ELj4294967295EEENS1_25partition_config_selectorILNS1_17partition_subalgoE4EjNS0_10empty_typeEbEEZZNS1_14partition_implILS8_4ELb0ES6_15HIP_vector_typeIjLj2EENS0_17counting_iteratorIjlEEPS9_SG_NS0_5tupleIJPjSI_NS0_16reverse_iteratorISI_EEEEENSH_IJSG_SG_SG_EEES9_SI_JZNS1_25segmented_radix_sort_implINS0_14default_configELb0EPKdPdPKlPlN2at6native12_GLOBAL__N_18offset_tEEE10hipError_tPvRmT1_PNSt15iterator_traitsIS12_E10value_typeET2_T3_PNS13_IS18_E10value_typeET4_jRbjT5_S1E_jjP12ihipStream_tbEUljE_ZNSN_ISO_Lb0ESQ_SR_ST_SU_SY_EESZ_S10_S11_S12_S16_S17_S18_S1B_S1C_jS1D_jS1E_S1E_jjS1G_bEUljE0_EEESZ_S10_S11_S18_S1C_S1E_T6_T7_T9_mT8_S1G_bDpT10_ENKUlT_T0_E_clISt17integral_constantIbLb0EES1U_EEDaS1P_S1Q_EUlS1P_E_NS1_11comp_targetILNS1_3genE9ELNS1_11target_archE1100ELNS1_3gpuE3ELNS1_3repE0EEENS1_30default_config_static_selectorELNS0_4arch9wavefront6targetE0EEEvS12_,@function
_ZN7rocprim17ROCPRIM_400000_NS6detail17trampoline_kernelINS0_13select_configILj256ELj13ELNS0_17block_load_methodE3ELS4_3ELS4_3ELNS0_20block_scan_algorithmE0ELj4294967295EEENS1_25partition_config_selectorILNS1_17partition_subalgoE4EjNS0_10empty_typeEbEEZZNS1_14partition_implILS8_4ELb0ES6_15HIP_vector_typeIjLj2EENS0_17counting_iteratorIjlEEPS9_SG_NS0_5tupleIJPjSI_NS0_16reverse_iteratorISI_EEEEENSH_IJSG_SG_SG_EEES9_SI_JZNS1_25segmented_radix_sort_implINS0_14default_configELb0EPKdPdPKlPlN2at6native12_GLOBAL__N_18offset_tEEE10hipError_tPvRmT1_PNSt15iterator_traitsIS12_E10value_typeET2_T3_PNS13_IS18_E10value_typeET4_jRbjT5_S1E_jjP12ihipStream_tbEUljE_ZNSN_ISO_Lb0ESQ_SR_ST_SU_SY_EESZ_S10_S11_S12_S16_S17_S18_S1B_S1C_jS1D_jS1E_S1E_jjS1G_bEUljE0_EEESZ_S10_S11_S18_S1C_S1E_T6_T7_T9_mT8_S1G_bDpT10_ENKUlT_T0_E_clISt17integral_constantIbLb0EES1U_EEDaS1P_S1Q_EUlS1P_E_NS1_11comp_targetILNS1_3genE9ELNS1_11target_archE1100ELNS1_3gpuE3ELNS1_3repE0EEENS1_30default_config_static_selectorELNS0_4arch9wavefront6targetE0EEEvS12_: ; @_ZN7rocprim17ROCPRIM_400000_NS6detail17trampoline_kernelINS0_13select_configILj256ELj13ELNS0_17block_load_methodE3ELS4_3ELS4_3ELNS0_20block_scan_algorithmE0ELj4294967295EEENS1_25partition_config_selectorILNS1_17partition_subalgoE4EjNS0_10empty_typeEbEEZZNS1_14partition_implILS8_4ELb0ES6_15HIP_vector_typeIjLj2EENS0_17counting_iteratorIjlEEPS9_SG_NS0_5tupleIJPjSI_NS0_16reverse_iteratorISI_EEEEENSH_IJSG_SG_SG_EEES9_SI_JZNS1_25segmented_radix_sort_implINS0_14default_configELb0EPKdPdPKlPlN2at6native12_GLOBAL__N_18offset_tEEE10hipError_tPvRmT1_PNSt15iterator_traitsIS12_E10value_typeET2_T3_PNS13_IS18_E10value_typeET4_jRbjT5_S1E_jjP12ihipStream_tbEUljE_ZNSN_ISO_Lb0ESQ_SR_ST_SU_SY_EESZ_S10_S11_S12_S16_S17_S18_S1B_S1C_jS1D_jS1E_S1E_jjS1G_bEUljE0_EEESZ_S10_S11_S18_S1C_S1E_T6_T7_T9_mT8_S1G_bDpT10_ENKUlT_T0_E_clISt17integral_constantIbLb0EES1U_EEDaS1P_S1Q_EUlS1P_E_NS1_11comp_targetILNS1_3genE9ELNS1_11target_archE1100ELNS1_3gpuE3ELNS1_3repE0EEENS1_30default_config_static_selectorELNS0_4arch9wavefront6targetE0EEEvS12_
; %bb.0:
	.section	.rodata,"a",@progbits
	.p2align	6, 0x0
	.amdhsa_kernel _ZN7rocprim17ROCPRIM_400000_NS6detail17trampoline_kernelINS0_13select_configILj256ELj13ELNS0_17block_load_methodE3ELS4_3ELS4_3ELNS0_20block_scan_algorithmE0ELj4294967295EEENS1_25partition_config_selectorILNS1_17partition_subalgoE4EjNS0_10empty_typeEbEEZZNS1_14partition_implILS8_4ELb0ES6_15HIP_vector_typeIjLj2EENS0_17counting_iteratorIjlEEPS9_SG_NS0_5tupleIJPjSI_NS0_16reverse_iteratorISI_EEEEENSH_IJSG_SG_SG_EEES9_SI_JZNS1_25segmented_radix_sort_implINS0_14default_configELb0EPKdPdPKlPlN2at6native12_GLOBAL__N_18offset_tEEE10hipError_tPvRmT1_PNSt15iterator_traitsIS12_E10value_typeET2_T3_PNS13_IS18_E10value_typeET4_jRbjT5_S1E_jjP12ihipStream_tbEUljE_ZNSN_ISO_Lb0ESQ_SR_ST_SU_SY_EESZ_S10_S11_S12_S16_S17_S18_S1B_S1C_jS1D_jS1E_S1E_jjS1G_bEUljE0_EEESZ_S10_S11_S18_S1C_S1E_T6_T7_T9_mT8_S1G_bDpT10_ENKUlT_T0_E_clISt17integral_constantIbLb0EES1U_EEDaS1P_S1Q_EUlS1P_E_NS1_11comp_targetILNS1_3genE9ELNS1_11target_archE1100ELNS1_3gpuE3ELNS1_3repE0EEENS1_30default_config_static_selectorELNS0_4arch9wavefront6targetE0EEEvS12_
		.amdhsa_group_segment_fixed_size 0
		.amdhsa_private_segment_fixed_size 0
		.amdhsa_kernarg_size 176
		.amdhsa_user_sgpr_count 6
		.amdhsa_user_sgpr_private_segment_buffer 1
		.amdhsa_user_sgpr_dispatch_ptr 0
		.amdhsa_user_sgpr_queue_ptr 0
		.amdhsa_user_sgpr_kernarg_segment_ptr 1
		.amdhsa_user_sgpr_dispatch_id 0
		.amdhsa_user_sgpr_flat_scratch_init 0
		.amdhsa_user_sgpr_private_segment_size 0
		.amdhsa_wavefront_size32 1
		.amdhsa_uses_dynamic_stack 0
		.amdhsa_system_sgpr_private_segment_wavefront_offset 0
		.amdhsa_system_sgpr_workgroup_id_x 1
		.amdhsa_system_sgpr_workgroup_id_y 0
		.amdhsa_system_sgpr_workgroup_id_z 0
		.amdhsa_system_sgpr_workgroup_info 0
		.amdhsa_system_vgpr_workitem_id 0
		.amdhsa_next_free_vgpr 1
		.amdhsa_next_free_sgpr 1
		.amdhsa_reserve_vcc 0
		.amdhsa_reserve_flat_scratch 0
		.amdhsa_float_round_mode_32 0
		.amdhsa_float_round_mode_16_64 0
		.amdhsa_float_denorm_mode_32 3
		.amdhsa_float_denorm_mode_16_64 3
		.amdhsa_dx10_clamp 1
		.amdhsa_ieee_mode 1
		.amdhsa_fp16_overflow 0
		.amdhsa_workgroup_processor_mode 1
		.amdhsa_memory_ordered 1
		.amdhsa_forward_progress 1
		.amdhsa_shared_vgpr_count 0
		.amdhsa_exception_fp_ieee_invalid_op 0
		.amdhsa_exception_fp_denorm_src 0
		.amdhsa_exception_fp_ieee_div_zero 0
		.amdhsa_exception_fp_ieee_overflow 0
		.amdhsa_exception_fp_ieee_underflow 0
		.amdhsa_exception_fp_ieee_inexact 0
		.amdhsa_exception_int_div_zero 0
	.end_amdhsa_kernel
	.section	.text._ZN7rocprim17ROCPRIM_400000_NS6detail17trampoline_kernelINS0_13select_configILj256ELj13ELNS0_17block_load_methodE3ELS4_3ELS4_3ELNS0_20block_scan_algorithmE0ELj4294967295EEENS1_25partition_config_selectorILNS1_17partition_subalgoE4EjNS0_10empty_typeEbEEZZNS1_14partition_implILS8_4ELb0ES6_15HIP_vector_typeIjLj2EENS0_17counting_iteratorIjlEEPS9_SG_NS0_5tupleIJPjSI_NS0_16reverse_iteratorISI_EEEEENSH_IJSG_SG_SG_EEES9_SI_JZNS1_25segmented_radix_sort_implINS0_14default_configELb0EPKdPdPKlPlN2at6native12_GLOBAL__N_18offset_tEEE10hipError_tPvRmT1_PNSt15iterator_traitsIS12_E10value_typeET2_T3_PNS13_IS18_E10value_typeET4_jRbjT5_S1E_jjP12ihipStream_tbEUljE_ZNSN_ISO_Lb0ESQ_SR_ST_SU_SY_EESZ_S10_S11_S12_S16_S17_S18_S1B_S1C_jS1D_jS1E_S1E_jjS1G_bEUljE0_EEESZ_S10_S11_S18_S1C_S1E_T6_T7_T9_mT8_S1G_bDpT10_ENKUlT_T0_E_clISt17integral_constantIbLb0EES1U_EEDaS1P_S1Q_EUlS1P_E_NS1_11comp_targetILNS1_3genE9ELNS1_11target_archE1100ELNS1_3gpuE3ELNS1_3repE0EEENS1_30default_config_static_selectorELNS0_4arch9wavefront6targetE0EEEvS12_,"axG",@progbits,_ZN7rocprim17ROCPRIM_400000_NS6detail17trampoline_kernelINS0_13select_configILj256ELj13ELNS0_17block_load_methodE3ELS4_3ELS4_3ELNS0_20block_scan_algorithmE0ELj4294967295EEENS1_25partition_config_selectorILNS1_17partition_subalgoE4EjNS0_10empty_typeEbEEZZNS1_14partition_implILS8_4ELb0ES6_15HIP_vector_typeIjLj2EENS0_17counting_iteratorIjlEEPS9_SG_NS0_5tupleIJPjSI_NS0_16reverse_iteratorISI_EEEEENSH_IJSG_SG_SG_EEES9_SI_JZNS1_25segmented_radix_sort_implINS0_14default_configELb0EPKdPdPKlPlN2at6native12_GLOBAL__N_18offset_tEEE10hipError_tPvRmT1_PNSt15iterator_traitsIS12_E10value_typeET2_T3_PNS13_IS18_E10value_typeET4_jRbjT5_S1E_jjP12ihipStream_tbEUljE_ZNSN_ISO_Lb0ESQ_SR_ST_SU_SY_EESZ_S10_S11_S12_S16_S17_S18_S1B_S1C_jS1D_jS1E_S1E_jjS1G_bEUljE0_EEESZ_S10_S11_S18_S1C_S1E_T6_T7_T9_mT8_S1G_bDpT10_ENKUlT_T0_E_clISt17integral_constantIbLb0EES1U_EEDaS1P_S1Q_EUlS1P_E_NS1_11comp_targetILNS1_3genE9ELNS1_11target_archE1100ELNS1_3gpuE3ELNS1_3repE0EEENS1_30default_config_static_selectorELNS0_4arch9wavefront6targetE0EEEvS12_,comdat
.Lfunc_end1155:
	.size	_ZN7rocprim17ROCPRIM_400000_NS6detail17trampoline_kernelINS0_13select_configILj256ELj13ELNS0_17block_load_methodE3ELS4_3ELS4_3ELNS0_20block_scan_algorithmE0ELj4294967295EEENS1_25partition_config_selectorILNS1_17partition_subalgoE4EjNS0_10empty_typeEbEEZZNS1_14partition_implILS8_4ELb0ES6_15HIP_vector_typeIjLj2EENS0_17counting_iteratorIjlEEPS9_SG_NS0_5tupleIJPjSI_NS0_16reverse_iteratorISI_EEEEENSH_IJSG_SG_SG_EEES9_SI_JZNS1_25segmented_radix_sort_implINS0_14default_configELb0EPKdPdPKlPlN2at6native12_GLOBAL__N_18offset_tEEE10hipError_tPvRmT1_PNSt15iterator_traitsIS12_E10value_typeET2_T3_PNS13_IS18_E10value_typeET4_jRbjT5_S1E_jjP12ihipStream_tbEUljE_ZNSN_ISO_Lb0ESQ_SR_ST_SU_SY_EESZ_S10_S11_S12_S16_S17_S18_S1B_S1C_jS1D_jS1E_S1E_jjS1G_bEUljE0_EEESZ_S10_S11_S18_S1C_S1E_T6_T7_T9_mT8_S1G_bDpT10_ENKUlT_T0_E_clISt17integral_constantIbLb0EES1U_EEDaS1P_S1Q_EUlS1P_E_NS1_11comp_targetILNS1_3genE9ELNS1_11target_archE1100ELNS1_3gpuE3ELNS1_3repE0EEENS1_30default_config_static_selectorELNS0_4arch9wavefront6targetE0EEEvS12_, .Lfunc_end1155-_ZN7rocprim17ROCPRIM_400000_NS6detail17trampoline_kernelINS0_13select_configILj256ELj13ELNS0_17block_load_methodE3ELS4_3ELS4_3ELNS0_20block_scan_algorithmE0ELj4294967295EEENS1_25partition_config_selectorILNS1_17partition_subalgoE4EjNS0_10empty_typeEbEEZZNS1_14partition_implILS8_4ELb0ES6_15HIP_vector_typeIjLj2EENS0_17counting_iteratorIjlEEPS9_SG_NS0_5tupleIJPjSI_NS0_16reverse_iteratorISI_EEEEENSH_IJSG_SG_SG_EEES9_SI_JZNS1_25segmented_radix_sort_implINS0_14default_configELb0EPKdPdPKlPlN2at6native12_GLOBAL__N_18offset_tEEE10hipError_tPvRmT1_PNSt15iterator_traitsIS12_E10value_typeET2_T3_PNS13_IS18_E10value_typeET4_jRbjT5_S1E_jjP12ihipStream_tbEUljE_ZNSN_ISO_Lb0ESQ_SR_ST_SU_SY_EESZ_S10_S11_S12_S16_S17_S18_S1B_S1C_jS1D_jS1E_S1E_jjS1G_bEUljE0_EEESZ_S10_S11_S18_S1C_S1E_T6_T7_T9_mT8_S1G_bDpT10_ENKUlT_T0_E_clISt17integral_constantIbLb0EES1U_EEDaS1P_S1Q_EUlS1P_E_NS1_11comp_targetILNS1_3genE9ELNS1_11target_archE1100ELNS1_3gpuE3ELNS1_3repE0EEENS1_30default_config_static_selectorELNS0_4arch9wavefront6targetE0EEEvS12_
                                        ; -- End function
	.set _ZN7rocprim17ROCPRIM_400000_NS6detail17trampoline_kernelINS0_13select_configILj256ELj13ELNS0_17block_load_methodE3ELS4_3ELS4_3ELNS0_20block_scan_algorithmE0ELj4294967295EEENS1_25partition_config_selectorILNS1_17partition_subalgoE4EjNS0_10empty_typeEbEEZZNS1_14partition_implILS8_4ELb0ES6_15HIP_vector_typeIjLj2EENS0_17counting_iteratorIjlEEPS9_SG_NS0_5tupleIJPjSI_NS0_16reverse_iteratorISI_EEEEENSH_IJSG_SG_SG_EEES9_SI_JZNS1_25segmented_radix_sort_implINS0_14default_configELb0EPKdPdPKlPlN2at6native12_GLOBAL__N_18offset_tEEE10hipError_tPvRmT1_PNSt15iterator_traitsIS12_E10value_typeET2_T3_PNS13_IS18_E10value_typeET4_jRbjT5_S1E_jjP12ihipStream_tbEUljE_ZNSN_ISO_Lb0ESQ_SR_ST_SU_SY_EESZ_S10_S11_S12_S16_S17_S18_S1B_S1C_jS1D_jS1E_S1E_jjS1G_bEUljE0_EEESZ_S10_S11_S18_S1C_S1E_T6_T7_T9_mT8_S1G_bDpT10_ENKUlT_T0_E_clISt17integral_constantIbLb0EES1U_EEDaS1P_S1Q_EUlS1P_E_NS1_11comp_targetILNS1_3genE9ELNS1_11target_archE1100ELNS1_3gpuE3ELNS1_3repE0EEENS1_30default_config_static_selectorELNS0_4arch9wavefront6targetE0EEEvS12_.num_vgpr, 0
	.set _ZN7rocprim17ROCPRIM_400000_NS6detail17trampoline_kernelINS0_13select_configILj256ELj13ELNS0_17block_load_methodE3ELS4_3ELS4_3ELNS0_20block_scan_algorithmE0ELj4294967295EEENS1_25partition_config_selectorILNS1_17partition_subalgoE4EjNS0_10empty_typeEbEEZZNS1_14partition_implILS8_4ELb0ES6_15HIP_vector_typeIjLj2EENS0_17counting_iteratorIjlEEPS9_SG_NS0_5tupleIJPjSI_NS0_16reverse_iteratorISI_EEEEENSH_IJSG_SG_SG_EEES9_SI_JZNS1_25segmented_radix_sort_implINS0_14default_configELb0EPKdPdPKlPlN2at6native12_GLOBAL__N_18offset_tEEE10hipError_tPvRmT1_PNSt15iterator_traitsIS12_E10value_typeET2_T3_PNS13_IS18_E10value_typeET4_jRbjT5_S1E_jjP12ihipStream_tbEUljE_ZNSN_ISO_Lb0ESQ_SR_ST_SU_SY_EESZ_S10_S11_S12_S16_S17_S18_S1B_S1C_jS1D_jS1E_S1E_jjS1G_bEUljE0_EEESZ_S10_S11_S18_S1C_S1E_T6_T7_T9_mT8_S1G_bDpT10_ENKUlT_T0_E_clISt17integral_constantIbLb0EES1U_EEDaS1P_S1Q_EUlS1P_E_NS1_11comp_targetILNS1_3genE9ELNS1_11target_archE1100ELNS1_3gpuE3ELNS1_3repE0EEENS1_30default_config_static_selectorELNS0_4arch9wavefront6targetE0EEEvS12_.num_agpr, 0
	.set _ZN7rocprim17ROCPRIM_400000_NS6detail17trampoline_kernelINS0_13select_configILj256ELj13ELNS0_17block_load_methodE3ELS4_3ELS4_3ELNS0_20block_scan_algorithmE0ELj4294967295EEENS1_25partition_config_selectorILNS1_17partition_subalgoE4EjNS0_10empty_typeEbEEZZNS1_14partition_implILS8_4ELb0ES6_15HIP_vector_typeIjLj2EENS0_17counting_iteratorIjlEEPS9_SG_NS0_5tupleIJPjSI_NS0_16reverse_iteratorISI_EEEEENSH_IJSG_SG_SG_EEES9_SI_JZNS1_25segmented_radix_sort_implINS0_14default_configELb0EPKdPdPKlPlN2at6native12_GLOBAL__N_18offset_tEEE10hipError_tPvRmT1_PNSt15iterator_traitsIS12_E10value_typeET2_T3_PNS13_IS18_E10value_typeET4_jRbjT5_S1E_jjP12ihipStream_tbEUljE_ZNSN_ISO_Lb0ESQ_SR_ST_SU_SY_EESZ_S10_S11_S12_S16_S17_S18_S1B_S1C_jS1D_jS1E_S1E_jjS1G_bEUljE0_EEESZ_S10_S11_S18_S1C_S1E_T6_T7_T9_mT8_S1G_bDpT10_ENKUlT_T0_E_clISt17integral_constantIbLb0EES1U_EEDaS1P_S1Q_EUlS1P_E_NS1_11comp_targetILNS1_3genE9ELNS1_11target_archE1100ELNS1_3gpuE3ELNS1_3repE0EEENS1_30default_config_static_selectorELNS0_4arch9wavefront6targetE0EEEvS12_.numbered_sgpr, 0
	.set _ZN7rocprim17ROCPRIM_400000_NS6detail17trampoline_kernelINS0_13select_configILj256ELj13ELNS0_17block_load_methodE3ELS4_3ELS4_3ELNS0_20block_scan_algorithmE0ELj4294967295EEENS1_25partition_config_selectorILNS1_17partition_subalgoE4EjNS0_10empty_typeEbEEZZNS1_14partition_implILS8_4ELb0ES6_15HIP_vector_typeIjLj2EENS0_17counting_iteratorIjlEEPS9_SG_NS0_5tupleIJPjSI_NS0_16reverse_iteratorISI_EEEEENSH_IJSG_SG_SG_EEES9_SI_JZNS1_25segmented_radix_sort_implINS0_14default_configELb0EPKdPdPKlPlN2at6native12_GLOBAL__N_18offset_tEEE10hipError_tPvRmT1_PNSt15iterator_traitsIS12_E10value_typeET2_T3_PNS13_IS18_E10value_typeET4_jRbjT5_S1E_jjP12ihipStream_tbEUljE_ZNSN_ISO_Lb0ESQ_SR_ST_SU_SY_EESZ_S10_S11_S12_S16_S17_S18_S1B_S1C_jS1D_jS1E_S1E_jjS1G_bEUljE0_EEESZ_S10_S11_S18_S1C_S1E_T6_T7_T9_mT8_S1G_bDpT10_ENKUlT_T0_E_clISt17integral_constantIbLb0EES1U_EEDaS1P_S1Q_EUlS1P_E_NS1_11comp_targetILNS1_3genE9ELNS1_11target_archE1100ELNS1_3gpuE3ELNS1_3repE0EEENS1_30default_config_static_selectorELNS0_4arch9wavefront6targetE0EEEvS12_.num_named_barrier, 0
	.set _ZN7rocprim17ROCPRIM_400000_NS6detail17trampoline_kernelINS0_13select_configILj256ELj13ELNS0_17block_load_methodE3ELS4_3ELS4_3ELNS0_20block_scan_algorithmE0ELj4294967295EEENS1_25partition_config_selectorILNS1_17partition_subalgoE4EjNS0_10empty_typeEbEEZZNS1_14partition_implILS8_4ELb0ES6_15HIP_vector_typeIjLj2EENS0_17counting_iteratorIjlEEPS9_SG_NS0_5tupleIJPjSI_NS0_16reverse_iteratorISI_EEEEENSH_IJSG_SG_SG_EEES9_SI_JZNS1_25segmented_radix_sort_implINS0_14default_configELb0EPKdPdPKlPlN2at6native12_GLOBAL__N_18offset_tEEE10hipError_tPvRmT1_PNSt15iterator_traitsIS12_E10value_typeET2_T3_PNS13_IS18_E10value_typeET4_jRbjT5_S1E_jjP12ihipStream_tbEUljE_ZNSN_ISO_Lb0ESQ_SR_ST_SU_SY_EESZ_S10_S11_S12_S16_S17_S18_S1B_S1C_jS1D_jS1E_S1E_jjS1G_bEUljE0_EEESZ_S10_S11_S18_S1C_S1E_T6_T7_T9_mT8_S1G_bDpT10_ENKUlT_T0_E_clISt17integral_constantIbLb0EES1U_EEDaS1P_S1Q_EUlS1P_E_NS1_11comp_targetILNS1_3genE9ELNS1_11target_archE1100ELNS1_3gpuE3ELNS1_3repE0EEENS1_30default_config_static_selectorELNS0_4arch9wavefront6targetE0EEEvS12_.private_seg_size, 0
	.set _ZN7rocprim17ROCPRIM_400000_NS6detail17trampoline_kernelINS0_13select_configILj256ELj13ELNS0_17block_load_methodE3ELS4_3ELS4_3ELNS0_20block_scan_algorithmE0ELj4294967295EEENS1_25partition_config_selectorILNS1_17partition_subalgoE4EjNS0_10empty_typeEbEEZZNS1_14partition_implILS8_4ELb0ES6_15HIP_vector_typeIjLj2EENS0_17counting_iteratorIjlEEPS9_SG_NS0_5tupleIJPjSI_NS0_16reverse_iteratorISI_EEEEENSH_IJSG_SG_SG_EEES9_SI_JZNS1_25segmented_radix_sort_implINS0_14default_configELb0EPKdPdPKlPlN2at6native12_GLOBAL__N_18offset_tEEE10hipError_tPvRmT1_PNSt15iterator_traitsIS12_E10value_typeET2_T3_PNS13_IS18_E10value_typeET4_jRbjT5_S1E_jjP12ihipStream_tbEUljE_ZNSN_ISO_Lb0ESQ_SR_ST_SU_SY_EESZ_S10_S11_S12_S16_S17_S18_S1B_S1C_jS1D_jS1E_S1E_jjS1G_bEUljE0_EEESZ_S10_S11_S18_S1C_S1E_T6_T7_T9_mT8_S1G_bDpT10_ENKUlT_T0_E_clISt17integral_constantIbLb0EES1U_EEDaS1P_S1Q_EUlS1P_E_NS1_11comp_targetILNS1_3genE9ELNS1_11target_archE1100ELNS1_3gpuE3ELNS1_3repE0EEENS1_30default_config_static_selectorELNS0_4arch9wavefront6targetE0EEEvS12_.uses_vcc, 0
	.set _ZN7rocprim17ROCPRIM_400000_NS6detail17trampoline_kernelINS0_13select_configILj256ELj13ELNS0_17block_load_methodE3ELS4_3ELS4_3ELNS0_20block_scan_algorithmE0ELj4294967295EEENS1_25partition_config_selectorILNS1_17partition_subalgoE4EjNS0_10empty_typeEbEEZZNS1_14partition_implILS8_4ELb0ES6_15HIP_vector_typeIjLj2EENS0_17counting_iteratorIjlEEPS9_SG_NS0_5tupleIJPjSI_NS0_16reverse_iteratorISI_EEEEENSH_IJSG_SG_SG_EEES9_SI_JZNS1_25segmented_radix_sort_implINS0_14default_configELb0EPKdPdPKlPlN2at6native12_GLOBAL__N_18offset_tEEE10hipError_tPvRmT1_PNSt15iterator_traitsIS12_E10value_typeET2_T3_PNS13_IS18_E10value_typeET4_jRbjT5_S1E_jjP12ihipStream_tbEUljE_ZNSN_ISO_Lb0ESQ_SR_ST_SU_SY_EESZ_S10_S11_S12_S16_S17_S18_S1B_S1C_jS1D_jS1E_S1E_jjS1G_bEUljE0_EEESZ_S10_S11_S18_S1C_S1E_T6_T7_T9_mT8_S1G_bDpT10_ENKUlT_T0_E_clISt17integral_constantIbLb0EES1U_EEDaS1P_S1Q_EUlS1P_E_NS1_11comp_targetILNS1_3genE9ELNS1_11target_archE1100ELNS1_3gpuE3ELNS1_3repE0EEENS1_30default_config_static_selectorELNS0_4arch9wavefront6targetE0EEEvS12_.uses_flat_scratch, 0
	.set _ZN7rocprim17ROCPRIM_400000_NS6detail17trampoline_kernelINS0_13select_configILj256ELj13ELNS0_17block_load_methodE3ELS4_3ELS4_3ELNS0_20block_scan_algorithmE0ELj4294967295EEENS1_25partition_config_selectorILNS1_17partition_subalgoE4EjNS0_10empty_typeEbEEZZNS1_14partition_implILS8_4ELb0ES6_15HIP_vector_typeIjLj2EENS0_17counting_iteratorIjlEEPS9_SG_NS0_5tupleIJPjSI_NS0_16reverse_iteratorISI_EEEEENSH_IJSG_SG_SG_EEES9_SI_JZNS1_25segmented_radix_sort_implINS0_14default_configELb0EPKdPdPKlPlN2at6native12_GLOBAL__N_18offset_tEEE10hipError_tPvRmT1_PNSt15iterator_traitsIS12_E10value_typeET2_T3_PNS13_IS18_E10value_typeET4_jRbjT5_S1E_jjP12ihipStream_tbEUljE_ZNSN_ISO_Lb0ESQ_SR_ST_SU_SY_EESZ_S10_S11_S12_S16_S17_S18_S1B_S1C_jS1D_jS1E_S1E_jjS1G_bEUljE0_EEESZ_S10_S11_S18_S1C_S1E_T6_T7_T9_mT8_S1G_bDpT10_ENKUlT_T0_E_clISt17integral_constantIbLb0EES1U_EEDaS1P_S1Q_EUlS1P_E_NS1_11comp_targetILNS1_3genE9ELNS1_11target_archE1100ELNS1_3gpuE3ELNS1_3repE0EEENS1_30default_config_static_selectorELNS0_4arch9wavefront6targetE0EEEvS12_.has_dyn_sized_stack, 0
	.set _ZN7rocprim17ROCPRIM_400000_NS6detail17trampoline_kernelINS0_13select_configILj256ELj13ELNS0_17block_load_methodE3ELS4_3ELS4_3ELNS0_20block_scan_algorithmE0ELj4294967295EEENS1_25partition_config_selectorILNS1_17partition_subalgoE4EjNS0_10empty_typeEbEEZZNS1_14partition_implILS8_4ELb0ES6_15HIP_vector_typeIjLj2EENS0_17counting_iteratorIjlEEPS9_SG_NS0_5tupleIJPjSI_NS0_16reverse_iteratorISI_EEEEENSH_IJSG_SG_SG_EEES9_SI_JZNS1_25segmented_radix_sort_implINS0_14default_configELb0EPKdPdPKlPlN2at6native12_GLOBAL__N_18offset_tEEE10hipError_tPvRmT1_PNSt15iterator_traitsIS12_E10value_typeET2_T3_PNS13_IS18_E10value_typeET4_jRbjT5_S1E_jjP12ihipStream_tbEUljE_ZNSN_ISO_Lb0ESQ_SR_ST_SU_SY_EESZ_S10_S11_S12_S16_S17_S18_S1B_S1C_jS1D_jS1E_S1E_jjS1G_bEUljE0_EEESZ_S10_S11_S18_S1C_S1E_T6_T7_T9_mT8_S1G_bDpT10_ENKUlT_T0_E_clISt17integral_constantIbLb0EES1U_EEDaS1P_S1Q_EUlS1P_E_NS1_11comp_targetILNS1_3genE9ELNS1_11target_archE1100ELNS1_3gpuE3ELNS1_3repE0EEENS1_30default_config_static_selectorELNS0_4arch9wavefront6targetE0EEEvS12_.has_recursion, 0
	.set _ZN7rocprim17ROCPRIM_400000_NS6detail17trampoline_kernelINS0_13select_configILj256ELj13ELNS0_17block_load_methodE3ELS4_3ELS4_3ELNS0_20block_scan_algorithmE0ELj4294967295EEENS1_25partition_config_selectorILNS1_17partition_subalgoE4EjNS0_10empty_typeEbEEZZNS1_14partition_implILS8_4ELb0ES6_15HIP_vector_typeIjLj2EENS0_17counting_iteratorIjlEEPS9_SG_NS0_5tupleIJPjSI_NS0_16reverse_iteratorISI_EEEEENSH_IJSG_SG_SG_EEES9_SI_JZNS1_25segmented_radix_sort_implINS0_14default_configELb0EPKdPdPKlPlN2at6native12_GLOBAL__N_18offset_tEEE10hipError_tPvRmT1_PNSt15iterator_traitsIS12_E10value_typeET2_T3_PNS13_IS18_E10value_typeET4_jRbjT5_S1E_jjP12ihipStream_tbEUljE_ZNSN_ISO_Lb0ESQ_SR_ST_SU_SY_EESZ_S10_S11_S12_S16_S17_S18_S1B_S1C_jS1D_jS1E_S1E_jjS1G_bEUljE0_EEESZ_S10_S11_S18_S1C_S1E_T6_T7_T9_mT8_S1G_bDpT10_ENKUlT_T0_E_clISt17integral_constantIbLb0EES1U_EEDaS1P_S1Q_EUlS1P_E_NS1_11comp_targetILNS1_3genE9ELNS1_11target_archE1100ELNS1_3gpuE3ELNS1_3repE0EEENS1_30default_config_static_selectorELNS0_4arch9wavefront6targetE0EEEvS12_.has_indirect_call, 0
	.section	.AMDGPU.csdata,"",@progbits
; Kernel info:
; codeLenInByte = 0
; TotalNumSgprs: 0
; NumVgprs: 0
; ScratchSize: 0
; MemoryBound: 0
; FloatMode: 240
; IeeeMode: 1
; LDSByteSize: 0 bytes/workgroup (compile time only)
; SGPRBlocks: 0
; VGPRBlocks: 0
; NumSGPRsForWavesPerEU: 1
; NumVGPRsForWavesPerEU: 1
; Occupancy: 16
; WaveLimiterHint : 0
; COMPUTE_PGM_RSRC2:SCRATCH_EN: 0
; COMPUTE_PGM_RSRC2:USER_SGPR: 6
; COMPUTE_PGM_RSRC2:TRAP_HANDLER: 0
; COMPUTE_PGM_RSRC2:TGID_X_EN: 1
; COMPUTE_PGM_RSRC2:TGID_Y_EN: 0
; COMPUTE_PGM_RSRC2:TGID_Z_EN: 0
; COMPUTE_PGM_RSRC2:TIDIG_COMP_CNT: 0
	.section	.text._ZN7rocprim17ROCPRIM_400000_NS6detail17trampoline_kernelINS0_13select_configILj256ELj13ELNS0_17block_load_methodE3ELS4_3ELS4_3ELNS0_20block_scan_algorithmE0ELj4294967295EEENS1_25partition_config_selectorILNS1_17partition_subalgoE4EjNS0_10empty_typeEbEEZZNS1_14partition_implILS8_4ELb0ES6_15HIP_vector_typeIjLj2EENS0_17counting_iteratorIjlEEPS9_SG_NS0_5tupleIJPjSI_NS0_16reverse_iteratorISI_EEEEENSH_IJSG_SG_SG_EEES9_SI_JZNS1_25segmented_radix_sort_implINS0_14default_configELb0EPKdPdPKlPlN2at6native12_GLOBAL__N_18offset_tEEE10hipError_tPvRmT1_PNSt15iterator_traitsIS12_E10value_typeET2_T3_PNS13_IS18_E10value_typeET4_jRbjT5_S1E_jjP12ihipStream_tbEUljE_ZNSN_ISO_Lb0ESQ_SR_ST_SU_SY_EESZ_S10_S11_S12_S16_S17_S18_S1B_S1C_jS1D_jS1E_S1E_jjS1G_bEUljE0_EEESZ_S10_S11_S18_S1C_S1E_T6_T7_T9_mT8_S1G_bDpT10_ENKUlT_T0_E_clISt17integral_constantIbLb0EES1U_EEDaS1P_S1Q_EUlS1P_E_NS1_11comp_targetILNS1_3genE8ELNS1_11target_archE1030ELNS1_3gpuE2ELNS1_3repE0EEENS1_30default_config_static_selectorELNS0_4arch9wavefront6targetE0EEEvS12_,"axG",@progbits,_ZN7rocprim17ROCPRIM_400000_NS6detail17trampoline_kernelINS0_13select_configILj256ELj13ELNS0_17block_load_methodE3ELS4_3ELS4_3ELNS0_20block_scan_algorithmE0ELj4294967295EEENS1_25partition_config_selectorILNS1_17partition_subalgoE4EjNS0_10empty_typeEbEEZZNS1_14partition_implILS8_4ELb0ES6_15HIP_vector_typeIjLj2EENS0_17counting_iteratorIjlEEPS9_SG_NS0_5tupleIJPjSI_NS0_16reverse_iteratorISI_EEEEENSH_IJSG_SG_SG_EEES9_SI_JZNS1_25segmented_radix_sort_implINS0_14default_configELb0EPKdPdPKlPlN2at6native12_GLOBAL__N_18offset_tEEE10hipError_tPvRmT1_PNSt15iterator_traitsIS12_E10value_typeET2_T3_PNS13_IS18_E10value_typeET4_jRbjT5_S1E_jjP12ihipStream_tbEUljE_ZNSN_ISO_Lb0ESQ_SR_ST_SU_SY_EESZ_S10_S11_S12_S16_S17_S18_S1B_S1C_jS1D_jS1E_S1E_jjS1G_bEUljE0_EEESZ_S10_S11_S18_S1C_S1E_T6_T7_T9_mT8_S1G_bDpT10_ENKUlT_T0_E_clISt17integral_constantIbLb0EES1U_EEDaS1P_S1Q_EUlS1P_E_NS1_11comp_targetILNS1_3genE8ELNS1_11target_archE1030ELNS1_3gpuE2ELNS1_3repE0EEENS1_30default_config_static_selectorELNS0_4arch9wavefront6targetE0EEEvS12_,comdat
	.globl	_ZN7rocprim17ROCPRIM_400000_NS6detail17trampoline_kernelINS0_13select_configILj256ELj13ELNS0_17block_load_methodE3ELS4_3ELS4_3ELNS0_20block_scan_algorithmE0ELj4294967295EEENS1_25partition_config_selectorILNS1_17partition_subalgoE4EjNS0_10empty_typeEbEEZZNS1_14partition_implILS8_4ELb0ES6_15HIP_vector_typeIjLj2EENS0_17counting_iteratorIjlEEPS9_SG_NS0_5tupleIJPjSI_NS0_16reverse_iteratorISI_EEEEENSH_IJSG_SG_SG_EEES9_SI_JZNS1_25segmented_radix_sort_implINS0_14default_configELb0EPKdPdPKlPlN2at6native12_GLOBAL__N_18offset_tEEE10hipError_tPvRmT1_PNSt15iterator_traitsIS12_E10value_typeET2_T3_PNS13_IS18_E10value_typeET4_jRbjT5_S1E_jjP12ihipStream_tbEUljE_ZNSN_ISO_Lb0ESQ_SR_ST_SU_SY_EESZ_S10_S11_S12_S16_S17_S18_S1B_S1C_jS1D_jS1E_S1E_jjS1G_bEUljE0_EEESZ_S10_S11_S18_S1C_S1E_T6_T7_T9_mT8_S1G_bDpT10_ENKUlT_T0_E_clISt17integral_constantIbLb0EES1U_EEDaS1P_S1Q_EUlS1P_E_NS1_11comp_targetILNS1_3genE8ELNS1_11target_archE1030ELNS1_3gpuE2ELNS1_3repE0EEENS1_30default_config_static_selectorELNS0_4arch9wavefront6targetE0EEEvS12_ ; -- Begin function _ZN7rocprim17ROCPRIM_400000_NS6detail17trampoline_kernelINS0_13select_configILj256ELj13ELNS0_17block_load_methodE3ELS4_3ELS4_3ELNS0_20block_scan_algorithmE0ELj4294967295EEENS1_25partition_config_selectorILNS1_17partition_subalgoE4EjNS0_10empty_typeEbEEZZNS1_14partition_implILS8_4ELb0ES6_15HIP_vector_typeIjLj2EENS0_17counting_iteratorIjlEEPS9_SG_NS0_5tupleIJPjSI_NS0_16reverse_iteratorISI_EEEEENSH_IJSG_SG_SG_EEES9_SI_JZNS1_25segmented_radix_sort_implINS0_14default_configELb0EPKdPdPKlPlN2at6native12_GLOBAL__N_18offset_tEEE10hipError_tPvRmT1_PNSt15iterator_traitsIS12_E10value_typeET2_T3_PNS13_IS18_E10value_typeET4_jRbjT5_S1E_jjP12ihipStream_tbEUljE_ZNSN_ISO_Lb0ESQ_SR_ST_SU_SY_EESZ_S10_S11_S12_S16_S17_S18_S1B_S1C_jS1D_jS1E_S1E_jjS1G_bEUljE0_EEESZ_S10_S11_S18_S1C_S1E_T6_T7_T9_mT8_S1G_bDpT10_ENKUlT_T0_E_clISt17integral_constantIbLb0EES1U_EEDaS1P_S1Q_EUlS1P_E_NS1_11comp_targetILNS1_3genE8ELNS1_11target_archE1030ELNS1_3gpuE2ELNS1_3repE0EEENS1_30default_config_static_selectorELNS0_4arch9wavefront6targetE0EEEvS12_
	.p2align	8
	.type	_ZN7rocprim17ROCPRIM_400000_NS6detail17trampoline_kernelINS0_13select_configILj256ELj13ELNS0_17block_load_methodE3ELS4_3ELS4_3ELNS0_20block_scan_algorithmE0ELj4294967295EEENS1_25partition_config_selectorILNS1_17partition_subalgoE4EjNS0_10empty_typeEbEEZZNS1_14partition_implILS8_4ELb0ES6_15HIP_vector_typeIjLj2EENS0_17counting_iteratorIjlEEPS9_SG_NS0_5tupleIJPjSI_NS0_16reverse_iteratorISI_EEEEENSH_IJSG_SG_SG_EEES9_SI_JZNS1_25segmented_radix_sort_implINS0_14default_configELb0EPKdPdPKlPlN2at6native12_GLOBAL__N_18offset_tEEE10hipError_tPvRmT1_PNSt15iterator_traitsIS12_E10value_typeET2_T3_PNS13_IS18_E10value_typeET4_jRbjT5_S1E_jjP12ihipStream_tbEUljE_ZNSN_ISO_Lb0ESQ_SR_ST_SU_SY_EESZ_S10_S11_S12_S16_S17_S18_S1B_S1C_jS1D_jS1E_S1E_jjS1G_bEUljE0_EEESZ_S10_S11_S18_S1C_S1E_T6_T7_T9_mT8_S1G_bDpT10_ENKUlT_T0_E_clISt17integral_constantIbLb0EES1U_EEDaS1P_S1Q_EUlS1P_E_NS1_11comp_targetILNS1_3genE8ELNS1_11target_archE1030ELNS1_3gpuE2ELNS1_3repE0EEENS1_30default_config_static_selectorELNS0_4arch9wavefront6targetE0EEEvS12_,@function
_ZN7rocprim17ROCPRIM_400000_NS6detail17trampoline_kernelINS0_13select_configILj256ELj13ELNS0_17block_load_methodE3ELS4_3ELS4_3ELNS0_20block_scan_algorithmE0ELj4294967295EEENS1_25partition_config_selectorILNS1_17partition_subalgoE4EjNS0_10empty_typeEbEEZZNS1_14partition_implILS8_4ELb0ES6_15HIP_vector_typeIjLj2EENS0_17counting_iteratorIjlEEPS9_SG_NS0_5tupleIJPjSI_NS0_16reverse_iteratorISI_EEEEENSH_IJSG_SG_SG_EEES9_SI_JZNS1_25segmented_radix_sort_implINS0_14default_configELb0EPKdPdPKlPlN2at6native12_GLOBAL__N_18offset_tEEE10hipError_tPvRmT1_PNSt15iterator_traitsIS12_E10value_typeET2_T3_PNS13_IS18_E10value_typeET4_jRbjT5_S1E_jjP12ihipStream_tbEUljE_ZNSN_ISO_Lb0ESQ_SR_ST_SU_SY_EESZ_S10_S11_S12_S16_S17_S18_S1B_S1C_jS1D_jS1E_S1E_jjS1G_bEUljE0_EEESZ_S10_S11_S18_S1C_S1E_T6_T7_T9_mT8_S1G_bDpT10_ENKUlT_T0_E_clISt17integral_constantIbLb0EES1U_EEDaS1P_S1Q_EUlS1P_E_NS1_11comp_targetILNS1_3genE8ELNS1_11target_archE1030ELNS1_3gpuE2ELNS1_3repE0EEENS1_30default_config_static_selectorELNS0_4arch9wavefront6targetE0EEEvS12_: ; @_ZN7rocprim17ROCPRIM_400000_NS6detail17trampoline_kernelINS0_13select_configILj256ELj13ELNS0_17block_load_methodE3ELS4_3ELS4_3ELNS0_20block_scan_algorithmE0ELj4294967295EEENS1_25partition_config_selectorILNS1_17partition_subalgoE4EjNS0_10empty_typeEbEEZZNS1_14partition_implILS8_4ELb0ES6_15HIP_vector_typeIjLj2EENS0_17counting_iteratorIjlEEPS9_SG_NS0_5tupleIJPjSI_NS0_16reverse_iteratorISI_EEEEENSH_IJSG_SG_SG_EEES9_SI_JZNS1_25segmented_radix_sort_implINS0_14default_configELb0EPKdPdPKlPlN2at6native12_GLOBAL__N_18offset_tEEE10hipError_tPvRmT1_PNSt15iterator_traitsIS12_E10value_typeET2_T3_PNS13_IS18_E10value_typeET4_jRbjT5_S1E_jjP12ihipStream_tbEUljE_ZNSN_ISO_Lb0ESQ_SR_ST_SU_SY_EESZ_S10_S11_S12_S16_S17_S18_S1B_S1C_jS1D_jS1E_S1E_jjS1G_bEUljE0_EEESZ_S10_S11_S18_S1C_S1E_T6_T7_T9_mT8_S1G_bDpT10_ENKUlT_T0_E_clISt17integral_constantIbLb0EES1U_EEDaS1P_S1Q_EUlS1P_E_NS1_11comp_targetILNS1_3genE8ELNS1_11target_archE1030ELNS1_3gpuE2ELNS1_3repE0EEENS1_30default_config_static_selectorELNS0_4arch9wavefront6targetE0EEEvS12_
; %bb.0:
	s_clause 0x6
	s_load_dword s3, s[4:5], 0x80
	s_load_dwordx2 s[34:35], s[4:5], 0x10
	s_load_dwordx2 s[0:1], s[4:5], 0x68
	s_load_dword s7, s[4:5], 0x8
	s_load_dwordx4 s[24:27], s[4:5], 0x58
	s_load_dwordx2 s[40:41], s[4:5], 0xa8
	s_load_dwordx8 s[16:23], s[4:5], 0x88
	s_mul_i32 s42, s6, 0xd00
	s_waitcnt lgkmcnt(0)
	s_mul_i32 s2, s3, 0xd00
	s_add_i32 s3, s3, -1
	s_add_u32 s8, s34, s2
	s_addc_u32 s9, s35, 0
	s_load_dwordx4 s[28:31], s[26:27], 0x0
	s_cmp_eq_u32 s6, s3
	v_cmp_gt_u64_e64 s1, s[0:1], s[8:9]
	s_cselect_b32 s33, -1, 0
	s_cmp_lg_u32 s6, s3
	s_cselect_b32 s3, -1, 0
	s_add_i32 s7, s7, s42
	s_or_b32 s1, s3, s1
	s_add_i32 s7, s7, s34
	s_and_b32 vcc_lo, exec_lo, s1
	v_add_nc_u32_e32 v1, s7, v0
	s_mov_b32 s3, -1
	v_add_nc_u32_e32 v2, 0x100, v1
	v_add_nc_u32_e32 v3, 0x200, v1
	;; [unrolled: 1-line block ×12, first 2 shown]
	s_cbranch_vccz .LBB1156_2
; %bb.1:
	v_lshlrev_b32_e32 v14, 2, v0
	s_mov_b32 s3, 0
	ds_write2st64_b32 v14, v1, v2 offset1:4
	ds_write2st64_b32 v14, v3, v4 offset0:8 offset1:12
	ds_write2st64_b32 v14, v5, v6 offset0:16 offset1:20
	;; [unrolled: 1-line block ×5, first 2 shown]
	ds_write_b32 v14, v13 offset:12288
	s_waitcnt lgkmcnt(0)
	s_barrier
.LBB1156_2:
	s_andn2_b32 vcc_lo, exec_lo, s3
	s_add_i32 s2, s2, s34
	s_cbranch_vccnz .LBB1156_4
; %bb.3:
	v_lshlrev_b32_e32 v14, 2, v0
	ds_write2st64_b32 v14, v1, v2 offset1:4
	ds_write2st64_b32 v14, v3, v4 offset0:8 offset1:12
	ds_write2st64_b32 v14, v5, v6 offset0:16 offset1:20
	;; [unrolled: 1-line block ×5, first 2 shown]
	ds_write_b32 v14, v13 offset:12288
	s_waitcnt lgkmcnt(0)
	s_barrier
.LBB1156_4:
	v_mul_u32_u24_e32 v29, 13, v0
	s_clause 0x1
	s_load_dwordx4 s[36:39], s[4:5], 0x28
	s_load_dwordx2 s[26:27], s[4:5], 0x38
	s_waitcnt lgkmcnt(0)
	buffer_gl0_inv
	v_cndmask_b32_e64 v27, 0, 1, s1
	s_sub_i32 s43, s0, s2
	v_lshlrev_b32_e32 v1, 2, v29
	s_andn2_b32 vcc_lo, exec_lo, s1
	ds_read_b32 v28, v1 offset:48
	ds_read2_b32 v[9:10], v1 offset0:10 offset1:11
	ds_read2_b32 v[11:12], v1 offset0:8 offset1:9
	ds_read2_b32 v[13:14], v1 offset0:6 offset1:7
	ds_read2_b32 v[15:16], v1 offset0:4 offset1:5
	ds_read2_b32 v[19:20], v1 offset1:1
	ds_read2_b32 v[17:18], v1 offset0:2 offset1:3
	s_waitcnt lgkmcnt(0)
	s_barrier
	buffer_gl0_inv
	s_cbranch_vccnz .LBB1156_32
; %bb.5:
	v_add_nc_u32_e32 v1, s17, v19
	v_add_nc_u32_e32 v2, s19, v19
	s_mov_b32 s45, 0
	s_mov_b32 s44, 0
	s_mov_b32 s1, exec_lo
	v_mul_lo_u32 v1, v1, s16
	v_mul_lo_u32 v2, v2, s18
	v_sub_nc_u32_e32 v1, v1, v2
	v_cmp_lt_u32_e32 vcc_lo, s20, v1
	v_cmpx_ge_u32_e64 s20, v1
	s_cbranch_execz .LBB1156_7
; %bb.6:
	v_add_nc_u32_e32 v1, s22, v19
	v_add_nc_u32_e32 v2, s40, v19
	v_mul_lo_u32 v1, v1, s21
	v_mul_lo_u32 v2, v2, s23
	v_sub_nc_u32_e32 v1, v1, v2
	v_cmp_lt_u32_e64 s0, s41, v1
	s_and_b32 s44, s0, exec_lo
.LBB1156_7:
	s_or_b32 exec_lo, exec_lo, s1
	v_add_nc_u32_e32 v1, s17, v20
	v_add_nc_u32_e32 v2, s19, v20
	s_mov_b32 s2, exec_lo
	v_mul_lo_u32 v1, v1, s16
	v_mul_lo_u32 v2, v2, s18
	v_sub_nc_u32_e32 v1, v1, v2
	v_cmp_lt_u32_e64 s0, s20, v1
	v_cmpx_ge_u32_e64 s20, v1
	s_cbranch_execz .LBB1156_9
; %bb.8:
	v_add_nc_u32_e32 v1, s22, v20
	v_add_nc_u32_e32 v2, s40, v20
	v_mul_lo_u32 v1, v1, s21
	v_mul_lo_u32 v2, v2, s23
	v_sub_nc_u32_e32 v1, v1, v2
	v_cmp_lt_u32_e64 s1, s41, v1
	s_and_b32 s45, s1, exec_lo
.LBB1156_9:
	s_or_b32 exec_lo, exec_lo, s2
	v_add_nc_u32_e32 v1, s17, v17
	v_add_nc_u32_e32 v2, s19, v17
	s_mov_b32 s47, 0
	s_mov_b32 s46, 0
	s_mov_b32 s3, exec_lo
	v_mul_lo_u32 v1, v1, s16
	v_mul_lo_u32 v2, v2, s18
	v_sub_nc_u32_e32 v1, v1, v2
	v_cmp_lt_u32_e64 s1, s20, v1
	v_cmpx_ge_u32_e64 s20, v1
	s_cbranch_execz .LBB1156_11
; %bb.10:
	v_add_nc_u32_e32 v1, s22, v17
	v_add_nc_u32_e32 v2, s40, v17
	v_mul_lo_u32 v1, v1, s21
	v_mul_lo_u32 v2, v2, s23
	v_sub_nc_u32_e32 v1, v1, v2
	v_cmp_lt_u32_e64 s2, s41, v1
	s_and_b32 s46, s2, exec_lo
.LBB1156_11:
	s_or_b32 exec_lo, exec_lo, s3
	v_add_nc_u32_e32 v1, s17, v18
	v_add_nc_u32_e32 v2, s19, v18
	s_mov_b32 s7, exec_lo
	v_mul_lo_u32 v1, v1, s16
	v_mul_lo_u32 v2, v2, s18
	v_sub_nc_u32_e32 v1, v1, v2
	v_cmp_lt_u32_e64 s2, s20, v1
	v_cmpx_ge_u32_e64 s20, v1
	s_cbranch_execz .LBB1156_13
; %bb.12:
	v_add_nc_u32_e32 v1, s22, v18
	v_add_nc_u32_e32 v2, s40, v18
	v_mul_lo_u32 v1, v1, s21
	v_mul_lo_u32 v2, v2, s23
	v_sub_nc_u32_e32 v1, v1, v2
	v_cmp_lt_u32_e64 s3, s41, v1
	s_and_b32 s47, s3, exec_lo
.LBB1156_13:
	s_or_b32 exec_lo, exec_lo, s7
	v_add_nc_u32_e32 v1, s17, v15
	v_add_nc_u32_e32 v2, s19, v15
	s_mov_b32 s49, 0
	s_mov_b32 s48, 0
	s_mov_b32 s8, exec_lo
	v_mul_lo_u32 v1, v1, s16
	v_mul_lo_u32 v2, v2, s18
	v_sub_nc_u32_e32 v1, v1, v2
	v_cmp_lt_u32_e64 s3, s20, v1
	;; [unrolled: 40-line block ×6, first 2 shown]
	v_cmpx_ge_u32_e64 s20, v1
	s_cbranch_execz .LBB1156_31
; %bb.30:
	v_add_nc_u32_e32 v1, s22, v28
	v_add_nc_u32_e32 v2, s40, v28
	v_mul_lo_u32 v1, v1, s21
	v_mul_lo_u32 v2, v2, s23
	v_sub_nc_u32_e32 v1, v1, v2
	v_cmp_lt_u32_e64 s15, s41, v1
	s_and_b32 s57, s15, exec_lo
.LBB1156_31:
	s_or_b32 exec_lo, exec_lo, s58
	v_cndmask_b32_e64 v2, 0, 1, s0
	v_cndmask_b32_e64 v4, 0, 1, s2
	v_cndmask_b32_e64 v1, 0, 1, vcc_lo
	v_cndmask_b32_e64 v3, 0, 1, s1
	v_cndmask_b32_e64 v6, 0, 1, s7
	v_lshlrev_b16 v2, 8, v2
	v_lshlrev_b16 v4, 8, v4
	v_cndmask_b32_e64 v8, 0, 1, s9
	v_cndmask_b32_e64 v22, 0, 1, s11
	;; [unrolled: 1-line block ×3, first 2 shown]
	v_or_b32_e32 v1, v1, v2
	v_or_b32_sdwa v2, v3, v4 dst_sel:WORD_1 dst_unused:UNUSED_PAD src0_sel:DWORD src1_sel:DWORD
	v_cndmask_b32_e64 v3, 0, 1, s44
	v_cndmask_b32_e64 v5, 0, 1, s3
	v_cndmask_b32_e64 v7, 0, 1, s8
	v_cndmask_b32_e64 v21, 0, 1, s10
	v_cndmask_b32_e64 v23, 0, 1, s12
	v_cndmask_b32_e64 v24, 0, 1, s56
	v_cndmask_b32_e64 v31, 0, 1, s52
	v_cndmask_b32_e64 v33, 0, 1, s50
	v_cndmask_b32_e64 v36, 0, 1, s48
	v_cndmask_b32_e64 v39, 0, 1, s46
	v_cndmask_b32_e64 v4, 0, 1, s14
	v_or_b32_sdwa v30, v1, v2 dst_sel:DWORD dst_unused:UNUSED_PAD src0_sel:WORD_0 src1_sel:DWORD
	v_lshlrev_b16 v1, 8, v6
	v_lshlrev_b16 v2, 8, v8
	;; [unrolled: 1-line block ×5, first 2 shown]
	v_cndmask_b32_e64 v26, 0, 1, s53
	v_cndmask_b32_e64 v32, 0, 1, s51
	;; [unrolled: 1-line block ×5, first 2 shown]
	v_or_b32_e32 v1, v5, v1
	v_or_b32_sdwa v2, v7, v2 dst_sel:WORD_1 dst_unused:UNUSED_PAD src0_sel:DWORD src1_sel:DWORD
	v_or_b32_e32 v5, v21, v6
	v_or_b32_sdwa v6, v23, v8 dst_sel:WORD_1 dst_unused:UNUSED_PAD src0_sel:DWORD src1_sel:DWORD
	v_or_b32_e32 v3, v4, v3
	v_lshlrev_b16 v4, 8, v39
	v_lshlrev_b16 v7, 8, v36
	;; [unrolled: 1-line block ×5, first 2 shown]
	v_or_b32_sdwa v4, v40, v4 dst_sel:WORD_1 dst_unused:UNUSED_PAD src0_sel:DWORD src1_sel:DWORD
	v_or_b32_e32 v7, v38, v7
	v_or_b32_sdwa v8, v35, v8 dst_sel:WORD_1 dst_unused:UNUSED_PAD src0_sel:DWORD src1_sel:DWORD
	v_or_b32_e32 v21, v32, v21
	v_or_b32_sdwa v22, v26, v22 dst_sel:WORD_1 dst_unused:UNUSED_PAD src0_sel:DWORD src1_sel:DWORD
	v_cndmask_b32_e64 v34, 0, 1, s55
	v_cndmask_b32_e64 v37, 0, 1, s57
	v_or_b32_sdwa v32, v1, v2 dst_sel:DWORD dst_unused:UNUSED_PAD src0_sel:WORD_0 src1_sel:DWORD
	v_or_b32_sdwa v35, v5, v6 dst_sel:DWORD dst_unused:UNUSED_PAD src0_sel:WORD_0 src1_sel:DWORD
	;; [unrolled: 1-line block ×5, first 2 shown]
	s_load_dwordx2 s[4:5], s[4:5], 0x78
	s_and_b32 vcc_lo, exec_lo, s54
	s_add_i32 s7, s43, 0xd00
	s_cbranch_vccnz .LBB1156_33
	s_branch .LBB1156_110
.LBB1156_32:
                                        ; implicit-def: $vgpr37
                                        ; implicit-def: $vgpr34
                                        ; implicit-def: $vgpr33
                                        ; implicit-def: $vgpr31
                                        ; implicit-def: $vgpr36
                                        ; implicit-def: $vgpr35
                                        ; implicit-def: $vgpr32
                                        ; implicit-def: $vgpr30
	s_load_dwordx2 s[4:5], s[4:5], 0x78
	s_add_i32 s7, s43, 0xd00
	s_cbranch_execz .LBB1156_110
.LBB1156_33:
	v_mov_b32_e32 v2, 0
	v_mov_b32_e32 v1, 0
	s_mov_b32 s1, exec_lo
	v_cmpx_gt_u32_e64 s7, v29
	s_cbranch_execz .LBB1156_37
; %bb.34:
	v_add_nc_u32_e32 v1, s17, v19
	v_add_nc_u32_e32 v2, s19, v19
	s_mov_b32 s3, 0
	s_mov_b32 s2, exec_lo
	v_mul_lo_u32 v1, v1, s16
	v_mul_lo_u32 v2, v2, s18
	v_sub_nc_u32_e32 v1, v1, v2
	v_cmp_lt_u32_e32 vcc_lo, s20, v1
	v_cmpx_ge_u32_e64 s20, v1
	s_cbranch_execz .LBB1156_36
; %bb.35:
	v_add_nc_u32_e32 v1, s22, v19
	v_add_nc_u32_e32 v2, s40, v19
	v_mul_lo_u32 v1, v1, s21
	v_mul_lo_u32 v2, v2, s23
	v_sub_nc_u32_e32 v1, v1, v2
	v_cmp_lt_u32_e64 s0, s41, v1
	s_and_b32 s3, s0, exec_lo
.LBB1156_36:
	s_or_b32 exec_lo, exec_lo, s2
	v_cndmask_b32_e64 v2, 0, 1, s3
	v_cndmask_b32_e64 v1, 0, 1, vcc_lo
.LBB1156_37:
	s_or_b32 exec_lo, exec_lo, s1
	v_add_nc_u32_e32 v3, 1, v29
	v_lshlrev_b16 v21, 8, v2
	v_and_b32_e32 v6, 0xff, v1
	v_lshlrev_b16 v7, 8, 0
                                        ; implicit-def: $vgpr5
                                        ; implicit-def: $vgpr8
                                        ; implicit-def: $vgpr2
                                        ; implicit-def: $vgpr4
	v_cmp_le_u32_e32 vcc_lo, s7, v3
                                        ; implicit-def: $vgpr3
	s_and_saveexec_b32 s0, vcc_lo
	s_xor_b32 s0, exec_lo, s0
	s_cbranch_execz .LBB1156_39
; %bb.38:
	v_mov_b32_e32 v1, 8
	v_mov_b32_e32 v2, 0xff
	;; [unrolled: 1-line block ×3, first 2 shown]
	v_and_b32_e32 v4, 0xffff, v7
	v_and_b32_e32 v3, 0xffff, v7
	v_lshrrev_b32_sdwa v1, v1, v21 dst_sel:BYTE_1 dst_unused:UNUSED_PAD src0_sel:DWORD src1_sel:WORD_0
	v_and_b32_sdwa v2, v21, v2 dst_sel:DWORD dst_unused:UNUSED_PAD src0_sel:WORD_0 src1_sel:DWORD
                                        ; implicit-def: $vgpr21
	v_or_b32_e32 v1, v2, v1
	v_and_b32_e32 v2, 0xffff, v7
                                        ; implicit-def: $vgpr7
	v_and_b32_e32 v8, 0xffff, v1
                                        ; implicit-def: $vgpr1
.LBB1156_39:
	s_andn2_saveexec_b32 s1, s0
	s_cbranch_execz .LBB1156_43
; %bb.40:
	v_add_nc_u32_e32 v2, s17, v20
	v_add_nc_u32_e32 v3, s19, v20
	s_mov_b32 s2, 0
	s_mov_b32 s3, exec_lo
	v_mul_lo_u32 v2, v2, s16
	v_mul_lo_u32 v3, v3, s18
	v_sub_nc_u32_e32 v2, v2, v3
	v_cmp_lt_u32_e32 vcc_lo, s20, v2
	v_cmpx_ge_u32_e64 s20, v2
	s_cbranch_execz .LBB1156_42
; %bb.41:
	v_add_nc_u32_e32 v2, s22, v20
	v_add_nc_u32_e32 v3, s40, v20
	v_mul_lo_u32 v2, v2, s21
	v_mul_lo_u32 v3, v3, s23
	v_sub_nc_u32_e32 v2, v2, v3
	v_cmp_lt_u32_e64 s0, s41, v2
	s_and_b32 s2, s0, exec_lo
.LBB1156_42:
	s_or_b32 exec_lo, exec_lo, s3
	v_mov_b32_e32 v2, 0xff
	v_mov_b32_e32 v3, 8
	v_cndmask_b32_e64 v4, 0, 1, vcc_lo
	v_mov_b32_e32 v5, 0
	v_and_b32_sdwa v2, v21, v2 dst_sel:DWORD dst_unused:UNUSED_PAD src0_sel:WORD_0 src1_sel:DWORD
	v_lshrrev_b32_sdwa v3, v3, v21 dst_sel:BYTE_1 dst_unused:UNUSED_PAD src0_sel:DWORD src1_sel:WORD_0
	v_lshlrev_b16 v4, 8, v4
	v_or_b32_e32 v2, v2, v3
	v_cndmask_b32_e64 v3, 0, 1, s2
	v_or_b32_sdwa v1, v1, v4 dst_sel:DWORD dst_unused:UNUSED_PAD src0_sel:BYTE_0 src1_sel:DWORD
	v_and_b32_e32 v4, 0xffff, v7
	v_and_b32_e32 v8, 0xffff, v2
	v_mov_b32_e32 v2, 0
	v_and_b32_e32 v6, 0xffff, v1
	v_lshl_or_b32 v8, v3, 16, v8
	v_and_b32_e32 v3, 0xffff, v7
.LBB1156_43:
	s_or_b32 exec_lo, exec_lo, s1
	v_add_nc_u32_e32 v1, 2, v29
                                        ; implicit-def: $vgpr7
	v_cmp_le_u32_e32 vcc_lo, s7, v1
                                        ; implicit-def: $vgpr1
	s_and_saveexec_b32 s0, vcc_lo
	s_xor_b32 s0, exec_lo, s0
	s_cbranch_execz .LBB1156_45
; %bb.44:
	v_lshrrev_b32_e32 v1, 24, v6
	v_mov_b32_e32 v7, 8
	v_and_b32_e32 v21, 0xff0000, v8
	v_perm_b32 v4, v4, v4, 0x3060504
	v_perm_b32 v1, v1, v6, 0x40c0100
	v_lshrrev_b32_sdwa v6, v7, v1 dst_sel:BYTE_1 dst_unused:UNUSED_PAD src0_sel:DWORD src1_sel:DWORD
	v_or_b32_sdwa v6, v1, v6 dst_sel:DWORD dst_unused:UNUSED_PAD src0_sel:BYTE_0 src1_sel:DWORD
	v_and_b32_e32 v6, 0xffff, v6
	v_and_or_b32 v7, 0xff000000, v1, v6
	v_perm_b32 v1, v8, v21, 0x3020504
                                        ; implicit-def: $vgpr6
                                        ; implicit-def: $vgpr8
.LBB1156_45:
	s_andn2_saveexec_b32 s1, s0
	s_cbranch_execz .LBB1156_49
; %bb.46:
	v_add_nc_u32_e32 v1, s17, v17
	v_add_nc_u32_e32 v7, s19, v17
	s_mov_b32 s2, 0
	s_mov_b32 s3, exec_lo
	v_mul_lo_u32 v1, v1, s16
	v_mul_lo_u32 v7, v7, s18
	v_sub_nc_u32_e32 v1, v1, v7
	v_cmp_lt_u32_e32 vcc_lo, s20, v1
	v_cmpx_ge_u32_e64 s20, v1
	s_cbranch_execz .LBB1156_48
; %bb.47:
	v_add_nc_u32_e32 v1, s22, v17
	v_add_nc_u32_e32 v7, s40, v17
	v_mul_lo_u32 v1, v1, s21
	v_mul_lo_u32 v7, v7, s23
	v_sub_nc_u32_e32 v1, v1, v7
	v_cmp_lt_u32_e64 s0, s41, v1
	s_and_b32 s2, s0, exec_lo
.LBB1156_48:
	s_or_b32 exec_lo, exec_lo, s3
	v_mov_b32_e32 v1, 8
	v_mov_b32_e32 v7, 24
	v_cndmask_b32_e64 v22, 0, 1, s2
	v_mov_b32_e32 v23, 0xff
	v_cndmask_b32_e64 v21, 0, 1, vcc_lo
	v_lshrrev_b32_sdwa v24, v1, v6 dst_sel:BYTE_1 dst_unused:UNUSED_PAD src0_sel:DWORD src1_sel:DWORD
	v_lshrrev_b32_sdwa v7, v7, v6 dst_sel:BYTE_1 dst_unused:UNUSED_PAD src0_sel:DWORD src1_sel:DWORD
	;; [unrolled: 1-line block ×3, first 2 shown]
	v_lshlrev_b16 v22, 8, v22
	v_and_b32_sdwa v23, v8, v23 dst_sel:DWORD dst_unused:UNUSED_PAD src0_sel:WORD_1 src1_sel:DWORD
	v_or_b32_sdwa v6, v6, v24 dst_sel:DWORD dst_unused:UNUSED_PAD src0_sel:BYTE_0 src1_sel:DWORD
	v_or_b32_sdwa v7, v21, v7 dst_sel:WORD_1 dst_unused:UNUSED_PAD src0_sel:DWORD src1_sel:DWORD
	v_or_b32_sdwa v1, v8, v1 dst_sel:DWORD dst_unused:UNUSED_PAD src0_sel:BYTE_0 src1_sel:DWORD
	v_or_b32_sdwa v8, v23, v22 dst_sel:WORD_1 dst_unused:UNUSED_PAD src0_sel:DWORD src1_sel:DWORD
	v_or_b32_sdwa v7, v6, v7 dst_sel:DWORD dst_unused:UNUSED_PAD src0_sel:WORD_0 src1_sel:DWORD
	v_or_b32_sdwa v1, v1, v8 dst_sel:DWORD dst_unused:UNUSED_PAD src0_sel:WORD_0 src1_sel:DWORD
.LBB1156_49:
	s_or_b32 exec_lo, exec_lo, s1
	v_add_nc_u32_e32 v6, 3, v29
                                        ; implicit-def: $vgpr30
	v_cmp_le_u32_e32 vcc_lo, s7, v6
                                        ; implicit-def: $vgpr6
	s_and_saveexec_b32 s0, vcc_lo
	s_xor_b32 s0, exec_lo, s0
	s_cbranch_execz .LBB1156_51
; %bb.50:
	v_mov_b32_e32 v6, 24
	v_mov_b32_e32 v8, 0xff
	;; [unrolled: 1-line block ×3, first 2 shown]
	v_and_b32_e32 v22, 0xff0000, v7
	v_perm_b32 v4, v4, v4, 0x3060504
	v_lshrrev_b32_sdwa v6, v6, v5 dst_sel:BYTE_1 dst_unused:UNUSED_PAD src0_sel:DWORD src1_sel:DWORD
	v_and_b32_sdwa v8, v5, v8 dst_sel:DWORD dst_unused:UNUSED_PAD src0_sel:WORD_1 src1_sel:DWORD
	v_lshrrev_b32_sdwa v5, v21, v5 dst_sel:BYTE_1 dst_unused:UNUSED_PAD src0_sel:DWORD src1_sel:DWORD
	v_perm_b32 v30, v7, v22, 0x3020504
	v_perm_b32 v3, v3, v3, 0x3060504
                                        ; implicit-def: $vgpr7
	v_or_b32_sdwa v6, v8, v6 dst_sel:WORD_1 dst_unused:UNUSED_PAD src0_sel:DWORD src1_sel:DWORD
	v_or_b32_sdwa v6, v5, v6 dst_sel:DWORD dst_unused:UNUSED_PAD src0_sel:WORD_0 src1_sel:DWORD
                                        ; implicit-def: $vgpr5
.LBB1156_51:
	s_andn2_saveexec_b32 s1, s0
	s_cbranch_execz .LBB1156_55
; %bb.52:
	v_add_nc_u32_e32 v6, s17, v18
	v_add_nc_u32_e32 v8, s19, v18
	s_mov_b32 s2, 0
	s_mov_b32 s3, exec_lo
	v_mul_lo_u32 v6, v6, s16
	v_mul_lo_u32 v8, v8, s18
	v_sub_nc_u32_e32 v6, v6, v8
	v_cmp_lt_u32_e32 vcc_lo, s20, v6
	v_cmpx_ge_u32_e64 s20, v6
	s_cbranch_execz .LBB1156_54
; %bb.53:
	v_add_nc_u32_e32 v6, s22, v18
	v_add_nc_u32_e32 v8, s40, v18
	v_mul_lo_u32 v6, v6, s21
	v_mul_lo_u32 v8, v8, s23
	v_sub_nc_u32_e32 v6, v6, v8
	v_cmp_lt_u32_e64 s0, s41, v6
	s_and_b32 s2, s0, exec_lo
.LBB1156_54:
	s_or_b32 exec_lo, exec_lo, s3
	v_mov_b32_e32 v6, 8
	v_cndmask_b32_e64 v8, 0, 1, vcc_lo
	v_mov_b32_e32 v21, 0xff
	v_mov_b32_e32 v22, 24
	v_cndmask_b32_e64 v23, 0, 1, s2
	v_lshrrev_b32_sdwa v24, v6, v7 dst_sel:BYTE_1 dst_unused:UNUSED_PAD src0_sel:DWORD src1_sel:DWORD
	v_lshlrev_b16 v8, 8, v8
	v_and_b32_sdwa v25, v7, v21 dst_sel:DWORD dst_unused:UNUSED_PAD src0_sel:WORD_1 src1_sel:DWORD
	v_lshrrev_b32_sdwa v22, v22, v5 dst_sel:BYTE_1 dst_unused:UNUSED_PAD src0_sel:DWORD src1_sel:DWORD
	v_and_b32_sdwa v21, v5, v21 dst_sel:DWORD dst_unused:UNUSED_PAD src0_sel:WORD_1 src1_sel:DWORD
	v_lshrrev_b32_sdwa v5, v6, v5 dst_sel:BYTE_1 dst_unused:UNUSED_PAD src0_sel:DWORD src1_sel:DWORD
	v_or_b32_sdwa v6, v7, v24 dst_sel:DWORD dst_unused:UNUSED_PAD src0_sel:BYTE_0 src1_sel:DWORD
	v_or_b32_sdwa v7, v25, v8 dst_sel:WORD_1 dst_unused:UNUSED_PAD src0_sel:DWORD src1_sel:DWORD
	v_or_b32_sdwa v8, v21, v22 dst_sel:WORD_1 dst_unused:UNUSED_PAD src0_sel:DWORD src1_sel:DWORD
	v_or_b32_e32 v5, v23, v5
	v_or_b32_sdwa v30, v6, v7 dst_sel:DWORD dst_unused:UNUSED_PAD src0_sel:WORD_0 src1_sel:DWORD
	v_or_b32_sdwa v6, v5, v8 dst_sel:DWORD dst_unused:UNUSED_PAD src0_sel:WORD_0 src1_sel:DWORD
.LBB1156_55:
	s_or_b32 exec_lo, exec_lo, s1
	v_add_nc_u32_e32 v5, 4, v29
                                        ; implicit-def: $vgpr7
	v_cmp_le_u32_e32 vcc_lo, s7, v5
                                        ; implicit-def: $vgpr5
	s_and_saveexec_b32 s0, vcc_lo
	s_xor_b32 s0, exec_lo, s0
	s_cbranch_execz .LBB1156_57
; %bb.56:
	v_mov_b32_e32 v5, 24
	v_mov_b32_e32 v7, 0xff
	;; [unrolled: 1-line block ×3, first 2 shown]
	v_perm_b32 v3, v3, v3, 0x3060504
	v_lshrrev_b32_sdwa v21, v5, v4 dst_sel:BYTE_1 dst_unused:UNUSED_PAD src0_sel:DWORD src1_sel:DWORD
	v_and_b32_sdwa v22, v4, v7 dst_sel:DWORD dst_unused:UNUSED_PAD src0_sel:WORD_1 src1_sel:DWORD
	v_lshrrev_b32_sdwa v5, v5, v6 dst_sel:BYTE_1 dst_unused:UNUSED_PAD src0_sel:DWORD src1_sel:DWORD
	v_and_b32_sdwa v7, v6, v7 dst_sel:DWORD dst_unused:UNUSED_PAD src0_sel:WORD_1 src1_sel:DWORD
	v_lshrrev_b32_sdwa v4, v8, v4 dst_sel:BYTE_1 dst_unused:UNUSED_PAD src0_sel:DWORD src1_sel:DWORD
	v_or_b32_sdwa v8, v22, v21 dst_sel:WORD_1 dst_unused:UNUSED_PAD src0_sel:DWORD src1_sel:DWORD
	v_or_b32_e32 v7, v7, v5
	v_or_b32_sdwa v5, v4, v8 dst_sel:DWORD dst_unused:UNUSED_PAD src0_sel:WORD_0 src1_sel:DWORD
                                        ; implicit-def: $vgpr4
	v_perm_b32 v7, v7, v6, 0x5040c00
                                        ; implicit-def: $vgpr6
.LBB1156_57:
	s_andn2_saveexec_b32 s1, s0
	s_cbranch_execz .LBB1156_61
; %bb.58:
	v_add_nc_u32_e32 v5, s17, v15
	v_add_nc_u32_e32 v7, s19, v15
	s_mov_b32 s2, 0
	s_mov_b32 s3, exec_lo
	v_mul_lo_u32 v5, v5, s16
	v_mul_lo_u32 v7, v7, s18
	v_sub_nc_u32_e32 v5, v5, v7
	v_cmp_lt_u32_e32 vcc_lo, s20, v5
	v_cmpx_ge_u32_e64 s20, v5
	s_cbranch_execz .LBB1156_60
; %bb.59:
	v_add_nc_u32_e32 v5, s22, v15
	v_add_nc_u32_e32 v7, s40, v15
	v_mul_lo_u32 v5, v5, s21
	v_mul_lo_u32 v7, v7, s23
	v_sub_nc_u32_e32 v5, v5, v7
	v_cmp_lt_u32_e64 s0, s41, v5
	s_and_b32 s2, s0, exec_lo
.LBB1156_60:
	s_or_b32 exec_lo, exec_lo, s3
	v_mov_b32_e32 v5, 24
	v_mov_b32_e32 v7, 0xff
	;; [unrolled: 1-line block ×3, first 2 shown]
	v_cndmask_b32_e64 v21, 0, 1, s2
	v_cndmask_b32_e64 v22, 0, 1, vcc_lo
	v_lshrrev_b32_sdwa v23, v5, v4 dst_sel:BYTE_1 dst_unused:UNUSED_PAD src0_sel:DWORD src1_sel:DWORD
	v_and_b32_sdwa v24, v4, v7 dst_sel:DWORD dst_unused:UNUSED_PAD src0_sel:WORD_1 src1_sel:DWORD
	v_lshrrev_b32_sdwa v4, v8, v4 dst_sel:BYTE_1 dst_unused:UNUSED_PAD src0_sel:DWORD src1_sel:DWORD
	v_lshlrev_b16 v8, 8, v21
	v_lshrrev_b32_sdwa v5, v5, v6 dst_sel:BYTE_1 dst_unused:UNUSED_PAD src0_sel:DWORD src1_sel:DWORD
	v_and_b32_sdwa v7, v6, v7 dst_sel:DWORD dst_unused:UNUSED_PAD src0_sel:WORD_1 src1_sel:DWORD
	v_or_b32_sdwa v21, v24, v23 dst_sel:WORD_1 dst_unused:UNUSED_PAD src0_sel:DWORD src1_sel:DWORD
	v_or_b32_e32 v4, v22, v4
	v_or_b32_sdwa v6, v6, v8 dst_sel:DWORD dst_unused:UNUSED_PAD src0_sel:BYTE_0 src1_sel:DWORD
	v_or_b32_sdwa v7, v7, v5 dst_sel:WORD_1 dst_unused:UNUSED_PAD src0_sel:DWORD src1_sel:DWORD
	v_or_b32_sdwa v5, v4, v21 dst_sel:DWORD dst_unused:UNUSED_PAD src0_sel:WORD_0 src1_sel:DWORD
	v_or_b32_sdwa v7, v6, v7 dst_sel:DWORD dst_unused:UNUSED_PAD src0_sel:WORD_0 src1_sel:DWORD
.LBB1156_61:
	s_or_b32 exec_lo, exec_lo, s1
	v_add_nc_u32_e32 v4, 5, v29
                                        ; implicit-def: $vgpr6
	v_cmp_le_u32_e32 vcc_lo, s7, v4
                                        ; implicit-def: $vgpr4
	s_and_saveexec_b32 s0, vcc_lo
	s_xor_b32 s0, exec_lo, s0
	s_cbranch_execz .LBB1156_63
; %bb.62:
	v_lshrrev_b32_e32 v4, 24, v7
	v_mov_b32_e32 v6, 8
	v_mov_b32_e32 v8, 0xff
	v_perm_b32 v3, v3, v3, 0x3060504
	v_perm_b32 v4, v4, v7, 0x40c0100
	v_mov_b32_e32 v7, 24
	v_and_b32_sdwa v8, v5, v8 dst_sel:DWORD dst_unused:UNUSED_PAD src0_sel:WORD_1 src1_sel:DWORD
	v_lshrrev_b32_sdwa v6, v6, v4 dst_sel:BYTE_1 dst_unused:UNUSED_PAD src0_sel:DWORD src1_sel:DWORD
	v_lshrrev_b32_sdwa v7, v7, v5 dst_sel:BYTE_1 dst_unused:UNUSED_PAD src0_sel:DWORD src1_sel:DWORD
	v_or_b32_sdwa v6, v4, v6 dst_sel:DWORD dst_unused:UNUSED_PAD src0_sel:BYTE_0 src1_sel:DWORD
	v_or_b32_e32 v7, v8, v7
	v_and_b32_e32 v8, 0xffff, v6
	v_perm_b32 v6, v7, v5, 0x5040c00
                                        ; implicit-def: $vgpr5
                                        ; implicit-def: $vgpr7
	v_and_or_b32 v4, 0xff000000, v4, v8
.LBB1156_63:
	s_andn2_saveexec_b32 s1, s0
	s_cbranch_execz .LBB1156_67
; %bb.64:
	v_add_nc_u32_e32 v4, s17, v16
	v_add_nc_u32_e32 v6, s19, v16
	s_mov_b32 s2, 0
	s_mov_b32 s3, exec_lo
	v_mul_lo_u32 v4, v4, s16
	v_mul_lo_u32 v6, v6, s18
	v_sub_nc_u32_e32 v4, v4, v6
	v_cmp_lt_u32_e32 vcc_lo, s20, v4
	v_cmpx_ge_u32_e64 s20, v4
	s_cbranch_execz .LBB1156_66
; %bb.65:
	v_add_nc_u32_e32 v4, s22, v16
	v_add_nc_u32_e32 v6, s40, v16
	v_mul_lo_u32 v4, v4, s21
	v_mul_lo_u32 v6, v6, s23
	v_sub_nc_u32_e32 v4, v4, v6
	v_cmp_lt_u32_e64 s0, s41, v4
	s_and_b32 s2, s0, exec_lo
.LBB1156_66:
	s_or_b32 exec_lo, exec_lo, s3
	v_cndmask_b32_e64 v4, 0, 1, vcc_lo
	v_mov_b32_e32 v6, 24
	v_mov_b32_e32 v8, 0xff
	;; [unrolled: 1-line block ×3, first 2 shown]
	v_cndmask_b32_e64 v22, 0, 1, s2
	v_lshlrev_b16 v4, 8, v4
	v_lshrrev_b32_sdwa v23, v6, v5 dst_sel:BYTE_1 dst_unused:UNUSED_PAD src0_sel:DWORD src1_sel:DWORD
	v_and_b32_sdwa v8, v5, v8 dst_sel:DWORD dst_unused:UNUSED_PAD src0_sel:WORD_1 src1_sel:DWORD
	v_lshrrev_b32_sdwa v21, v21, v7 dst_sel:BYTE_1 dst_unused:UNUSED_PAD src0_sel:DWORD src1_sel:DWORD
	v_lshrrev_b32_sdwa v6, v6, v7 dst_sel:BYTE_1 dst_unused:UNUSED_PAD src0_sel:DWORD src1_sel:DWORD
	v_or_b32_sdwa v4, v5, v4 dst_sel:DWORD dst_unused:UNUSED_PAD src0_sel:BYTE_0 src1_sel:DWORD
	v_or_b32_sdwa v5, v8, v23 dst_sel:WORD_1 dst_unused:UNUSED_PAD src0_sel:DWORD src1_sel:DWORD
	v_or_b32_sdwa v7, v7, v21 dst_sel:DWORD dst_unused:UNUSED_PAD src0_sel:BYTE_0 src1_sel:DWORD
	v_or_b32_sdwa v8, v22, v6 dst_sel:WORD_1 dst_unused:UNUSED_PAD src0_sel:DWORD src1_sel:DWORD
	v_or_b32_sdwa v6, v4, v5 dst_sel:DWORD dst_unused:UNUSED_PAD src0_sel:WORD_0 src1_sel:DWORD
	v_or_b32_sdwa v4, v7, v8 dst_sel:DWORD dst_unused:UNUSED_PAD src0_sel:WORD_0 src1_sel:DWORD
.LBB1156_67:
	s_or_b32 exec_lo, exec_lo, s1
	v_add_nc_u32_e32 v5, 6, v29
                                        ; implicit-def: $vgpr31
	v_cmp_le_u32_e32 vcc_lo, s7, v5
                                        ; implicit-def: $vgpr5
	s_and_saveexec_b32 s0, vcc_lo
	s_xor_b32 s0, exec_lo, s0
	s_cbranch_execz .LBB1156_69
; %bb.68:
	v_lshrrev_b32_e32 v5, 24, v6
	v_mov_b32_e32 v7, 8
	v_perm_b32 v3, v3, v3, 0x3060504
	v_perm_b32 v5, v5, v6, 0x40c0100
	v_lshrrev_b32_sdwa v6, v7, v5 dst_sel:BYTE_1 dst_unused:UNUSED_PAD src0_sel:DWORD src1_sel:DWORD
	v_and_b32_e32 v7, 0xff0000, v4
	v_or_b32_sdwa v6, v5, v6 dst_sel:DWORD dst_unused:UNUSED_PAD src0_sel:BYTE_0 src1_sel:DWORD
	v_perm_b32 v31, v4, v7, 0x3020504
                                        ; implicit-def: $vgpr4
	v_and_b32_e32 v6, 0xffff, v6
	v_and_or_b32 v5, 0xff000000, v5, v6
                                        ; implicit-def: $vgpr6
.LBB1156_69:
	s_andn2_saveexec_b32 s1, s0
	s_cbranch_execz .LBB1156_73
; %bb.70:
	v_add_nc_u32_e32 v5, s17, v13
	v_add_nc_u32_e32 v7, s19, v13
	s_mov_b32 s2, 0
	s_mov_b32 s3, exec_lo
	v_mul_lo_u32 v5, v5, s16
	v_mul_lo_u32 v7, v7, s18
	v_sub_nc_u32_e32 v5, v5, v7
	v_cmp_lt_u32_e32 vcc_lo, s20, v5
	v_cmpx_ge_u32_e64 s20, v5
	s_cbranch_execz .LBB1156_72
; %bb.71:
	v_add_nc_u32_e32 v5, s22, v13
	v_add_nc_u32_e32 v7, s40, v13
	v_mul_lo_u32 v5, v5, s21
	v_mul_lo_u32 v7, v7, s23
	v_sub_nc_u32_e32 v5, v5, v7
	v_cmp_lt_u32_e64 s0, s41, v5
	s_and_b32 s2, s0, exec_lo
.LBB1156_72:
	s_or_b32 exec_lo, exec_lo, s3
	v_mov_b32_e32 v5, 8
	v_mov_b32_e32 v7, 24
	v_cndmask_b32_e64 v21, 0, 1, s2
	v_mov_b32_e32 v22, 0xff
	v_cndmask_b32_e64 v8, 0, 1, vcc_lo
	v_lshrrev_b32_sdwa v23, v5, v6 dst_sel:BYTE_1 dst_unused:UNUSED_PAD src0_sel:DWORD src1_sel:DWORD
	v_lshrrev_b32_sdwa v7, v7, v6 dst_sel:BYTE_1 dst_unused:UNUSED_PAD src0_sel:DWORD src1_sel:DWORD
	;; [unrolled: 1-line block ×3, first 2 shown]
	v_lshlrev_b16 v21, 8, v21
	v_and_b32_sdwa v22, v4, v22 dst_sel:DWORD dst_unused:UNUSED_PAD src0_sel:WORD_1 src1_sel:DWORD
	v_or_b32_sdwa v6, v6, v23 dst_sel:DWORD dst_unused:UNUSED_PAD src0_sel:BYTE_0 src1_sel:DWORD
	v_or_b32_sdwa v7, v8, v7 dst_sel:WORD_1 dst_unused:UNUSED_PAD src0_sel:DWORD src1_sel:DWORD
	v_or_b32_sdwa v4, v4, v5 dst_sel:DWORD dst_unused:UNUSED_PAD src0_sel:BYTE_0 src1_sel:DWORD
	v_or_b32_sdwa v8, v22, v21 dst_sel:WORD_1 dst_unused:UNUSED_PAD src0_sel:DWORD src1_sel:DWORD
	v_or_b32_sdwa v5, v6, v7 dst_sel:DWORD dst_unused:UNUSED_PAD src0_sel:WORD_0 src1_sel:DWORD
	v_or_b32_sdwa v31, v4, v8 dst_sel:DWORD dst_unused:UNUSED_PAD src0_sel:WORD_0 src1_sel:DWORD
.LBB1156_73:
	s_or_b32 exec_lo, exec_lo, s1
	v_add_nc_u32_e32 v4, 7, v29
                                        ; implicit-def: $vgpr32
	v_cmp_le_u32_e32 vcc_lo, s7, v4
                                        ; implicit-def: $vgpr4
	s_and_saveexec_b32 s0, vcc_lo
	s_xor_b32 s0, exec_lo, s0
	s_cbranch_execz .LBB1156_75
; %bb.74:
	v_mov_b32_e32 v4, 24
	v_mov_b32_e32 v6, 0xff
	;; [unrolled: 1-line block ×3, first 2 shown]
	v_lshrrev_b32_sdwa v4, v4, v3 dst_sel:BYTE_1 dst_unused:UNUSED_PAD src0_sel:DWORD src1_sel:DWORD
	v_and_b32_sdwa v6, v3, v6 dst_sel:DWORD dst_unused:UNUSED_PAD src0_sel:WORD_1 src1_sel:DWORD
	v_lshrrev_b32_sdwa v3, v7, v3 dst_sel:BYTE_1 dst_unused:UNUSED_PAD src0_sel:DWORD src1_sel:DWORD
	v_and_b32_e32 v7, 0xff0000, v5
	v_or_b32_sdwa v4, v6, v4 dst_sel:WORD_1 dst_unused:UNUSED_PAD src0_sel:DWORD src1_sel:DWORD
	v_perm_b32 v32, v5, v7, 0x3020504
                                        ; implicit-def: $vgpr5
	v_or_b32_sdwa v4, v3, v4 dst_sel:DWORD dst_unused:UNUSED_PAD src0_sel:WORD_0 src1_sel:DWORD
                                        ; implicit-def: $vgpr3
.LBB1156_75:
	s_andn2_saveexec_b32 s1, s0
	s_cbranch_execz .LBB1156_79
; %bb.76:
	v_add_nc_u32_e32 v4, s17, v14
	v_add_nc_u32_e32 v6, s19, v14
	s_mov_b32 s2, 0
	s_mov_b32 s3, exec_lo
	v_mul_lo_u32 v4, v4, s16
	v_mul_lo_u32 v6, v6, s18
	v_sub_nc_u32_e32 v4, v4, v6
	v_cmp_lt_u32_e32 vcc_lo, s20, v4
	v_cmpx_ge_u32_e64 s20, v4
	s_cbranch_execz .LBB1156_78
; %bb.77:
	v_add_nc_u32_e32 v4, s22, v14
	v_add_nc_u32_e32 v6, s40, v14
	v_mul_lo_u32 v4, v4, s21
	v_mul_lo_u32 v6, v6, s23
	v_sub_nc_u32_e32 v4, v4, v6
	v_cmp_lt_u32_e64 s0, s41, v4
	s_and_b32 s2, s0, exec_lo
.LBB1156_78:
	s_or_b32 exec_lo, exec_lo, s3
	v_mov_b32_e32 v4, 8
	v_cndmask_b32_e64 v6, 0, 1, vcc_lo
	v_mov_b32_e32 v7, 0xff
	v_mov_b32_e32 v8, 24
	v_cndmask_b32_e64 v21, 0, 1, s2
	v_lshrrev_b32_sdwa v22, v4, v5 dst_sel:BYTE_1 dst_unused:UNUSED_PAD src0_sel:DWORD src1_sel:DWORD
	v_lshlrev_b16 v6, 8, v6
	v_and_b32_sdwa v23, v5, v7 dst_sel:DWORD dst_unused:UNUSED_PAD src0_sel:WORD_1 src1_sel:DWORD
	v_lshrrev_b32_sdwa v8, v8, v3 dst_sel:BYTE_1 dst_unused:UNUSED_PAD src0_sel:DWORD src1_sel:DWORD
	v_and_b32_sdwa v7, v3, v7 dst_sel:DWORD dst_unused:UNUSED_PAD src0_sel:WORD_1 src1_sel:DWORD
	v_lshrrev_b32_sdwa v3, v4, v3 dst_sel:BYTE_1 dst_unused:UNUSED_PAD src0_sel:DWORD src1_sel:DWORD
	v_or_b32_sdwa v4, v5, v22 dst_sel:DWORD dst_unused:UNUSED_PAD src0_sel:BYTE_0 src1_sel:DWORD
	v_or_b32_sdwa v5, v23, v6 dst_sel:WORD_1 dst_unused:UNUSED_PAD src0_sel:DWORD src1_sel:DWORD
	v_or_b32_sdwa v6, v7, v8 dst_sel:WORD_1 dst_unused:UNUSED_PAD src0_sel:DWORD src1_sel:DWORD
	v_or_b32_e32 v3, v21, v3
	v_or_b32_sdwa v32, v4, v5 dst_sel:DWORD dst_unused:UNUSED_PAD src0_sel:WORD_0 src1_sel:DWORD
	v_or_b32_sdwa v4, v3, v6 dst_sel:DWORD dst_unused:UNUSED_PAD src0_sel:WORD_0 src1_sel:DWORD
.LBB1156_79:
	s_or_b32 exec_lo, exec_lo, s1
	v_add_nc_u32_e32 v3, 8, v29
                                        ; implicit-def: $vgpr5
	v_cmp_le_u32_e32 vcc_lo, s7, v3
                                        ; implicit-def: $vgpr3
	s_and_saveexec_b32 s0, vcc_lo
	s_xor_b32 s0, exec_lo, s0
	s_cbranch_execz .LBB1156_81
; %bb.80:
	v_mov_b32_e32 v3, 24
	v_mov_b32_e32 v5, 0xff
	;; [unrolled: 1-line block ×3, first 2 shown]
	v_perm_b32 v1, v1, v1, 0x3060504
	v_lshrrev_b32_sdwa v7, v3, v4 dst_sel:BYTE_1 dst_unused:UNUSED_PAD src0_sel:DWORD src1_sel:DWORD
	v_lshrrev_b32_sdwa v3, v3, v2 dst_sel:BYTE_1 dst_unused:UNUSED_PAD src0_sel:DWORD src1_sel:DWORD
	v_and_b32_sdwa v8, v2, v5 dst_sel:DWORD dst_unused:UNUSED_PAD src0_sel:WORD_1 src1_sel:DWORD
	v_and_b32_sdwa v5, v4, v5 dst_sel:DWORD dst_unused:UNUSED_PAD src0_sel:WORD_1 src1_sel:DWORD
	v_lshrrev_b32_sdwa v2, v6, v2 dst_sel:BYTE_1 dst_unused:UNUSED_PAD src0_sel:DWORD src1_sel:DWORD
	v_or_b32_sdwa v3, v8, v3 dst_sel:WORD_1 dst_unused:UNUSED_PAD src0_sel:DWORD src1_sel:DWORD
	v_or_b32_e32 v5, v5, v7
	v_or_b32_sdwa v3, v2, v3 dst_sel:DWORD dst_unused:UNUSED_PAD src0_sel:WORD_0 src1_sel:DWORD
	v_perm_b32 v5, v5, v4, 0x5040c00
                                        ; implicit-def: $vgpr2
                                        ; implicit-def: $vgpr4
.LBB1156_81:
	s_andn2_saveexec_b32 s1, s0
	s_cbranch_execz .LBB1156_85
; %bb.82:
	v_add_nc_u32_e32 v3, s17, v11
	v_add_nc_u32_e32 v5, s19, v11
	s_mov_b32 s2, 0
	s_mov_b32 s3, exec_lo
	v_mul_lo_u32 v3, v3, s16
	v_mul_lo_u32 v5, v5, s18
	v_sub_nc_u32_e32 v3, v3, v5
	v_cmp_lt_u32_e32 vcc_lo, s20, v3
	v_cmpx_ge_u32_e64 s20, v3
	s_cbranch_execz .LBB1156_84
; %bb.83:
	v_add_nc_u32_e32 v3, s22, v11
	v_add_nc_u32_e32 v5, s40, v11
	v_mul_lo_u32 v3, v3, s21
	v_mul_lo_u32 v5, v5, s23
	v_sub_nc_u32_e32 v3, v3, v5
	v_cmp_lt_u32_e64 s0, s41, v3
	s_and_b32 s2, s0, exec_lo
.LBB1156_84:
	s_or_b32 exec_lo, exec_lo, s3
	v_mov_b32_e32 v3, 24
	v_mov_b32_e32 v5, 0xff
	;; [unrolled: 1-line block ×3, first 2 shown]
	v_cndmask_b32_e64 v7, 0, 1, s2
	v_cndmask_b32_e64 v8, 0, 1, vcc_lo
	v_lshrrev_b32_sdwa v21, v3, v2 dst_sel:BYTE_1 dst_unused:UNUSED_PAD src0_sel:DWORD src1_sel:DWORD
	v_and_b32_sdwa v22, v2, v5 dst_sel:DWORD dst_unused:UNUSED_PAD src0_sel:WORD_1 src1_sel:DWORD
	v_lshrrev_b32_sdwa v2, v6, v2 dst_sel:BYTE_1 dst_unused:UNUSED_PAD src0_sel:DWORD src1_sel:DWORD
	v_lshlrev_b16 v6, 8, v7
	v_lshrrev_b32_sdwa v3, v3, v4 dst_sel:BYTE_1 dst_unused:UNUSED_PAD src0_sel:DWORD src1_sel:DWORD
	v_and_b32_sdwa v5, v4, v5 dst_sel:DWORD dst_unused:UNUSED_PAD src0_sel:WORD_1 src1_sel:DWORD
	v_or_b32_sdwa v7, v22, v21 dst_sel:WORD_1 dst_unused:UNUSED_PAD src0_sel:DWORD src1_sel:DWORD
	v_or_b32_e32 v2, v8, v2
	v_or_b32_sdwa v4, v4, v6 dst_sel:DWORD dst_unused:UNUSED_PAD src0_sel:BYTE_0 src1_sel:DWORD
	v_or_b32_sdwa v5, v5, v3 dst_sel:WORD_1 dst_unused:UNUSED_PAD src0_sel:DWORD src1_sel:DWORD
	v_or_b32_sdwa v3, v2, v7 dst_sel:DWORD dst_unused:UNUSED_PAD src0_sel:WORD_0 src1_sel:DWORD
	v_or_b32_sdwa v5, v4, v5 dst_sel:DWORD dst_unused:UNUSED_PAD src0_sel:WORD_0 src1_sel:DWORD
.LBB1156_85:
	s_or_b32 exec_lo, exec_lo, s1
	v_add_nc_u32_e32 v2, 9, v29
                                        ; implicit-def: $vgpr4
	v_cmp_le_u32_e32 vcc_lo, s7, v2
                                        ; implicit-def: $vgpr2
	s_and_saveexec_b32 s0, vcc_lo
	s_xor_b32 s0, exec_lo, s0
	s_cbranch_execz .LBB1156_87
; %bb.86:
	v_lshrrev_b32_e32 v2, 24, v5
	v_mov_b32_e32 v4, 8
	v_mov_b32_e32 v6, 0xff
	v_perm_b32 v1, v1, v1, 0x3060504
	v_perm_b32 v2, v2, v5, 0x40c0100
	v_mov_b32_e32 v5, 24
	v_and_b32_sdwa v6, v3, v6 dst_sel:DWORD dst_unused:UNUSED_PAD src0_sel:WORD_1 src1_sel:DWORD
	v_lshrrev_b32_sdwa v4, v4, v2 dst_sel:BYTE_1 dst_unused:UNUSED_PAD src0_sel:DWORD src1_sel:DWORD
	v_lshrrev_b32_sdwa v5, v5, v3 dst_sel:BYTE_1 dst_unused:UNUSED_PAD src0_sel:DWORD src1_sel:DWORD
	v_or_b32_sdwa v4, v2, v4 dst_sel:DWORD dst_unused:UNUSED_PAD src0_sel:BYTE_0 src1_sel:DWORD
	v_or_b32_e32 v5, v6, v5
	v_and_b32_e32 v6, 0xffff, v4
	v_perm_b32 v4, v5, v3, 0x5040c00
                                        ; implicit-def: $vgpr3
                                        ; implicit-def: $vgpr5
	v_and_or_b32 v2, 0xff000000, v2, v6
.LBB1156_87:
	s_andn2_saveexec_b32 s1, s0
	s_cbranch_execz .LBB1156_91
; %bb.88:
	v_add_nc_u32_e32 v2, s17, v12
	v_add_nc_u32_e32 v4, s19, v12
	s_mov_b32 s2, 0
	s_mov_b32 s3, exec_lo
	v_mul_lo_u32 v2, v2, s16
	v_mul_lo_u32 v4, v4, s18
	v_sub_nc_u32_e32 v2, v2, v4
	v_cmp_lt_u32_e32 vcc_lo, s20, v2
	v_cmpx_ge_u32_e64 s20, v2
	s_cbranch_execz .LBB1156_90
; %bb.89:
	v_add_nc_u32_e32 v2, s22, v12
	v_add_nc_u32_e32 v4, s40, v12
	v_mul_lo_u32 v2, v2, s21
	v_mul_lo_u32 v4, v4, s23
	v_sub_nc_u32_e32 v2, v2, v4
	v_cmp_lt_u32_e64 s0, s41, v2
	s_and_b32 s2, s0, exec_lo
.LBB1156_90:
	s_or_b32 exec_lo, exec_lo, s3
	v_cndmask_b32_e64 v2, 0, 1, vcc_lo
	v_mov_b32_e32 v4, 24
	v_mov_b32_e32 v6, 0xff
	;; [unrolled: 1-line block ×3, first 2 shown]
	v_cndmask_b32_e64 v8, 0, 1, s2
	v_lshlrev_b16 v2, 8, v2
	v_lshrrev_b32_sdwa v21, v4, v3 dst_sel:BYTE_1 dst_unused:UNUSED_PAD src0_sel:DWORD src1_sel:DWORD
	v_and_b32_sdwa v6, v3, v6 dst_sel:DWORD dst_unused:UNUSED_PAD src0_sel:WORD_1 src1_sel:DWORD
	v_lshrrev_b32_sdwa v7, v7, v5 dst_sel:BYTE_1 dst_unused:UNUSED_PAD src0_sel:DWORD src1_sel:DWORD
	v_lshrrev_b32_sdwa v4, v4, v5 dst_sel:BYTE_1 dst_unused:UNUSED_PAD src0_sel:DWORD src1_sel:DWORD
	v_or_b32_sdwa v2, v3, v2 dst_sel:DWORD dst_unused:UNUSED_PAD src0_sel:BYTE_0 src1_sel:DWORD
	v_or_b32_sdwa v3, v6, v21 dst_sel:WORD_1 dst_unused:UNUSED_PAD src0_sel:DWORD src1_sel:DWORD
	v_or_b32_sdwa v5, v5, v7 dst_sel:DWORD dst_unused:UNUSED_PAD src0_sel:BYTE_0 src1_sel:DWORD
	v_or_b32_sdwa v6, v8, v4 dst_sel:WORD_1 dst_unused:UNUSED_PAD src0_sel:DWORD src1_sel:DWORD
	v_or_b32_sdwa v4, v2, v3 dst_sel:DWORD dst_unused:UNUSED_PAD src0_sel:WORD_0 src1_sel:DWORD
	v_or_b32_sdwa v2, v5, v6 dst_sel:DWORD dst_unused:UNUSED_PAD src0_sel:WORD_0 src1_sel:DWORD
.LBB1156_91:
	s_or_b32 exec_lo, exec_lo, s1
	v_add_nc_u32_e32 v3, 10, v29
                                        ; implicit-def: $vgpr33
	v_cmp_le_u32_e32 vcc_lo, s7, v3
                                        ; implicit-def: $vgpr3
	s_and_saveexec_b32 s0, vcc_lo
	s_xor_b32 s0, exec_lo, s0
	s_cbranch_execz .LBB1156_93
; %bb.92:
	v_lshrrev_b32_e32 v3, 24, v4
	v_mov_b32_e32 v5, 8
	v_perm_b32 v1, v1, v1, 0x3060504
	v_perm_b32 v3, v3, v4, 0x40c0100
	v_lshrrev_b32_sdwa v4, v5, v3 dst_sel:BYTE_1 dst_unused:UNUSED_PAD src0_sel:DWORD src1_sel:DWORD
	v_and_b32_e32 v5, 0xff0000, v2
	v_or_b32_sdwa v4, v3, v4 dst_sel:DWORD dst_unused:UNUSED_PAD src0_sel:BYTE_0 src1_sel:DWORD
	v_perm_b32 v33, v2, v5, 0x3020504
                                        ; implicit-def: $vgpr2
	v_and_b32_e32 v4, 0xffff, v4
	v_and_or_b32 v3, 0xff000000, v3, v4
                                        ; implicit-def: $vgpr4
.LBB1156_93:
	s_andn2_saveexec_b32 s1, s0
	s_cbranch_execz .LBB1156_97
; %bb.94:
	v_add_nc_u32_e32 v3, s17, v9
	v_add_nc_u32_e32 v5, s19, v9
	s_mov_b32 s2, 0
	s_mov_b32 s3, exec_lo
	v_mul_lo_u32 v3, v3, s16
	v_mul_lo_u32 v5, v5, s18
	v_sub_nc_u32_e32 v3, v3, v5
	v_cmp_lt_u32_e32 vcc_lo, s20, v3
	v_cmpx_ge_u32_e64 s20, v3
	s_cbranch_execz .LBB1156_96
; %bb.95:
	v_add_nc_u32_e32 v3, s22, v9
	v_add_nc_u32_e32 v5, s40, v9
	v_mul_lo_u32 v3, v3, s21
	v_mul_lo_u32 v5, v5, s23
	v_sub_nc_u32_e32 v3, v3, v5
	v_cmp_lt_u32_e64 s0, s41, v3
	s_and_b32 s2, s0, exec_lo
.LBB1156_96:
	s_or_b32 exec_lo, exec_lo, s3
	v_mov_b32_e32 v3, 8
	v_mov_b32_e32 v5, 24
	v_cndmask_b32_e64 v7, 0, 1, s2
	v_mov_b32_e32 v8, 0xff
	v_cndmask_b32_e64 v6, 0, 1, vcc_lo
	v_lshrrev_b32_sdwa v21, v3, v4 dst_sel:BYTE_1 dst_unused:UNUSED_PAD src0_sel:DWORD src1_sel:DWORD
	v_lshrrev_b32_sdwa v5, v5, v4 dst_sel:BYTE_1 dst_unused:UNUSED_PAD src0_sel:DWORD src1_sel:DWORD
	;; [unrolled: 1-line block ×3, first 2 shown]
	v_lshlrev_b16 v7, 8, v7
	v_and_b32_sdwa v8, v2, v8 dst_sel:DWORD dst_unused:UNUSED_PAD src0_sel:WORD_1 src1_sel:DWORD
	v_or_b32_sdwa v4, v4, v21 dst_sel:DWORD dst_unused:UNUSED_PAD src0_sel:BYTE_0 src1_sel:DWORD
	v_or_b32_sdwa v5, v6, v5 dst_sel:WORD_1 dst_unused:UNUSED_PAD src0_sel:DWORD src1_sel:DWORD
	v_or_b32_sdwa v2, v2, v3 dst_sel:DWORD dst_unused:UNUSED_PAD src0_sel:BYTE_0 src1_sel:DWORD
	v_or_b32_sdwa v6, v8, v7 dst_sel:WORD_1 dst_unused:UNUSED_PAD src0_sel:DWORD src1_sel:DWORD
	v_or_b32_sdwa v3, v4, v5 dst_sel:DWORD dst_unused:UNUSED_PAD src0_sel:WORD_0 src1_sel:DWORD
	v_or_b32_sdwa v33, v2, v6 dst_sel:DWORD dst_unused:UNUSED_PAD src0_sel:WORD_0 src1_sel:DWORD
.LBB1156_97:
	s_or_b32 exec_lo, exec_lo, s1
	v_add_nc_u32_e32 v2, 11, v29
	v_mov_b32_e32 v34, 0
	s_mov_b32 s0, exec_lo
                                        ; implicit-def: $vgpr35
	v_cmpx_le_u32_e64 s7, v2
	s_xor_b32 s0, exec_lo, s0
; %bb.98:
	v_and_b32_e32 v2, 0xff0000, v3
	v_perm_b32 v1, v1, v1, 0x3060504
	v_perm_b32 v35, v3, v2, 0x3020504
                                        ; implicit-def: $vgpr3
; %bb.99:
	s_andn2_saveexec_b32 s1, s0
	s_cbranch_execz .LBB1156_103
; %bb.100:
	v_add_nc_u32_e32 v2, s17, v10
	v_add_nc_u32_e32 v4, s19, v10
	s_mov_b32 s2, 0
	s_mov_b32 s3, exec_lo
	v_mul_lo_u32 v2, v2, s16
	v_mul_lo_u32 v4, v4, s18
	v_sub_nc_u32_e32 v2, v2, v4
	v_cmp_lt_u32_e32 vcc_lo, s20, v2
	v_cmpx_ge_u32_e64 s20, v2
	s_cbranch_execz .LBB1156_102
; %bb.101:
	v_add_nc_u32_e32 v2, s22, v10
	v_add_nc_u32_e32 v4, s40, v10
	v_mul_lo_u32 v2, v2, s21
	v_mul_lo_u32 v4, v4, s23
	v_sub_nc_u32_e32 v2, v2, v4
	v_cmp_lt_u32_e64 s0, s41, v2
	s_and_b32 s2, s0, exec_lo
.LBB1156_102:
	s_or_b32 exec_lo, exec_lo, s3
	v_mov_b32_e32 v2, 8
	v_cndmask_b32_e64 v4, 0, 1, vcc_lo
	v_mov_b32_e32 v5, 0xff
	v_cndmask_b32_e64 v34, 0, 1, s2
	v_lshrrev_b32_sdwa v2, v2, v3 dst_sel:BYTE_1 dst_unused:UNUSED_PAD src0_sel:DWORD src1_sel:DWORD
	v_lshlrev_b16 v4, 8, v4
	v_and_b32_sdwa v5, v3, v5 dst_sel:DWORD dst_unused:UNUSED_PAD src0_sel:WORD_1 src1_sel:DWORD
	v_or_b32_sdwa v2, v3, v2 dst_sel:DWORD dst_unused:UNUSED_PAD src0_sel:BYTE_0 src1_sel:DWORD
	v_or_b32_sdwa v3, v5, v4 dst_sel:WORD_1 dst_unused:UNUSED_PAD src0_sel:DWORD src1_sel:DWORD
	v_or_b32_sdwa v35, v2, v3 dst_sel:DWORD dst_unused:UNUSED_PAD src0_sel:WORD_0 src1_sel:DWORD
.LBB1156_103:
	s_or_b32 exec_lo, exec_lo, s1
	v_add_nc_u32_e32 v2, 12, v29
	s_mov_b32 s0, exec_lo
                                        ; implicit-def: $vgpr36
	v_cmpx_le_u32_e64 s7, v2
	s_xor_b32 s0, exec_lo, s0
	s_cbranch_execz .LBB1156_105
; %bb.104:
	v_mov_b32_e32 v2, 24
	v_mov_b32_e32 v3, 0xff
	;; [unrolled: 1-line block ×3, first 2 shown]
	v_lshrrev_b32_sdwa v2, v2, v1 dst_sel:BYTE_1 dst_unused:UNUSED_PAD src0_sel:DWORD src1_sel:DWORD
	v_and_b32_sdwa v3, v1, v3 dst_sel:DWORD dst_unused:UNUSED_PAD src0_sel:WORD_1 src1_sel:DWORD
	v_lshrrev_b32_sdwa v1, v4, v1 dst_sel:BYTE_1 dst_unused:UNUSED_PAD src0_sel:DWORD src1_sel:DWORD
	v_or_b32_sdwa v2, v3, v2 dst_sel:WORD_1 dst_unused:UNUSED_PAD src0_sel:DWORD src1_sel:DWORD
	v_or_b32_sdwa v36, v1, v2 dst_sel:DWORD dst_unused:UNUSED_PAD src0_sel:WORD_0 src1_sel:DWORD
                                        ; implicit-def: $vgpr1
.LBB1156_105:
	s_or_saveexec_b32 s1, s0
	v_mov_b32_e32 v37, 0
	s_xor_b32 exec_lo, exec_lo, s1
	s_cbranch_execz .LBB1156_109
; %bb.106:
	v_add_nc_u32_e32 v2, s17, v28
	v_add_nc_u32_e32 v3, s19, v28
	s_mov_b32 s2, 0
	s_mov_b32 s3, exec_lo
	v_mul_lo_u32 v2, v2, s16
	v_mul_lo_u32 v3, v3, s18
	v_sub_nc_u32_e32 v2, v2, v3
	v_cmp_lt_u32_e32 vcc_lo, s20, v2
	v_cmpx_ge_u32_e64 s20, v2
	s_cbranch_execz .LBB1156_108
; %bb.107:
	v_add_nc_u32_e32 v2, s22, v28
	v_add_nc_u32_e32 v3, s40, v28
	v_mul_lo_u32 v2, v2, s21
	v_mul_lo_u32 v3, v3, s23
	v_sub_nc_u32_e32 v2, v2, v3
	v_cmp_lt_u32_e64 s0, s41, v2
	s_and_b32 s2, s0, exec_lo
.LBB1156_108:
	s_or_b32 exec_lo, exec_lo, s3
	v_mov_b32_e32 v2, 24
	v_mov_b32_e32 v3, 0xff
	;; [unrolled: 1-line block ×3, first 2 shown]
	v_cndmask_b32_e64 v5, 0, 1, vcc_lo
	v_cndmask_b32_e64 v37, 0, 1, s2
	v_lshrrev_b32_sdwa v2, v2, v1 dst_sel:BYTE_1 dst_unused:UNUSED_PAD src0_sel:DWORD src1_sel:DWORD
	v_and_b32_sdwa v3, v1, v3 dst_sel:DWORD dst_unused:UNUSED_PAD src0_sel:WORD_1 src1_sel:DWORD
	v_lshrrev_b32_sdwa v1, v4, v1 dst_sel:BYTE_1 dst_unused:UNUSED_PAD src0_sel:DWORD src1_sel:DWORD
	v_or_b32_sdwa v2, v3, v2 dst_sel:WORD_1 dst_unused:UNUSED_PAD src0_sel:DWORD src1_sel:DWORD
	v_or_b32_e32 v1, v5, v1
	v_or_b32_sdwa v36, v1, v2 dst_sel:DWORD dst_unused:UNUSED_PAD src0_sel:WORD_0 src1_sel:DWORD
.LBB1156_109:
	s_or_b32 exec_lo, exec_lo, s1
.LBB1156_110:
	v_and_b32_e32 v60, 0xff, v30
	v_bfe_u32 v61, v36, 8, 8
	v_bfe_u32 v57, v30, 8, 8
	v_bfe_u32 v58, v36, 16, 8
	v_bfe_u32 v59, v30, 16, 8
	v_lshrrev_b32_e32 v43, 24, v36
	v_lshrrev_b32_e32 v42, 24, v30
	v_and_b32_e32 v56, 0xff, v31
	v_and_b32_e32 v54, 0xff, v32
	v_bfe_u32 v55, v31, 8, 8
	v_add3_u32 v1, v57, v60, v59
	v_add3_u32 v2, v58, v61, v43
	v_bfe_u32 v52, v32, 8, 8
	v_bfe_u32 v53, v31, 16, 8
	;; [unrolled: 1-line block ×3, first 2 shown]
	v_lshrrev_b32_e32 v41, 24, v31
	v_add3_u32 v1, v1, v42, v54
	v_add3_u32 v2, v2, v56, v55
	v_lshrrev_b32_e32 v40, 24, v32
	v_and_b32_e32 v51, 0xff, v33
	v_and_b32_e32 v49, 0xff, v35
	v_bfe_u32 v50, v33, 8, 8
	v_add3_u32 v1, v1, v52, v46
	v_add3_u32 v2, v2, v53, v41
	v_bfe_u32 v47, v35, 8, 8
	v_bfe_u32 v48, v33, 16, 8
	v_bfe_u32 v45, v35, 16, 8
	v_lshrrev_b32_e32 v39, 24, v33
	v_add3_u32 v1, v1, v40, v49
	v_add3_u32 v2, v2, v51, v50
	v_mbcnt_lo_u32_b32 v62, -1, 0
	v_lshrrev_b32_e32 v38, 24, v35
	v_and_b32_e32 v44, 0xff, v34
	v_and_b32_e32 v3, 0xff, v36
	;; [unrolled: 1-line block ×3, first 2 shown]
	v_add3_u32 v1, v1, v47, v45
	v_add3_u32 v2, v2, v48, v39
	v_and_b32_e32 v64, 15, v62
	v_and_b32_e32 v66, 16, v62
	v_lshrrev_b32_e32 v63, 5, v0
	v_add3_u32 v67, v1, v38, v3
	v_add3_u32 v68, v2, v44, v4
	v_cmp_eq_u32_e64 s1, 0, v64
	v_cmp_lt_u32_e64 s0, 1, v64
	v_cmp_lt_u32_e64 s2, 3, v64
	v_or_b32_e32 v65, 31, v0
	s_cmp_lg_u32 s6, 0
	s_mov_b32 s3, -1
	v_cmp_lt_u32_e32 vcc_lo, 7, v64
	s_cbranch_scc0 .LBB1156_132
; %bb.111:
	v_mov_b32_dpp v1, v68 row_shr:1 row_mask:0xf bank_mask:0xf
	v_mov_b32_dpp v2, v67 row_shr:1 row_mask:0xf bank_mask:0xf
	s_mov_b32 s3, exec_lo
	v_add_nc_u32_e32 v1, v1, v68
	v_add_nc_u32_e32 v2, v2, v67
	v_cndmask_b32_e64 v1, v1, v68, s1
	v_cndmask_b32_e64 v2, v2, v67, s1
	v_mov_b32_dpp v3, v1 row_shr:2 row_mask:0xf bank_mask:0xf
	v_mov_b32_dpp v4, v2 row_shr:2 row_mask:0xf bank_mask:0xf
	v_add_nc_u32_e32 v3, v1, v3
	v_add_nc_u32_e32 v4, v2, v4
	v_cndmask_b32_e64 v1, v1, v3, s0
	v_cndmask_b32_e64 v2, v2, v4, s0
	v_mov_b32_dpp v3, v1 row_shr:4 row_mask:0xf bank_mask:0xf
	v_mov_b32_dpp v4, v2 row_shr:4 row_mask:0xf bank_mask:0xf
	;; [unrolled: 6-line block ×3, first 2 shown]
	v_add_nc_u32_e32 v3, v1, v3
	v_add_nc_u32_e32 v4, v2, v4
	v_cndmask_b32_e32 v1, v1, v3, vcc_lo
	v_cndmask_b32_e32 v2, v2, v4, vcc_lo
	v_cmp_eq_u32_e32 vcc_lo, 0, v66
	ds_swizzle_b32 v3, v1 offset:swizzle(BROADCAST,32,15)
	ds_swizzle_b32 v4, v2 offset:swizzle(BROADCAST,32,15)
	s_waitcnt lgkmcnt(0)
	v_add_nc_u32_e32 v3, v1, v3
	v_add_nc_u32_e32 v4, v2, v4
	v_cmpx_eq_u32_e64 v0, v65
	s_cbranch_execz .LBB1156_113
; %bb.112:
	v_lshlrev_b32_e32 v7, 3, v63
	v_cndmask_b32_e32 v6, v3, v1, vcc_lo
	v_cndmask_b32_e32 v5, v4, v2, vcc_lo
	ds_write_b64 v7, v[5:6]
.LBB1156_113:
	s_or_b32 exec_lo, exec_lo, s3
	s_mov_b32 s3, exec_lo
	s_waitcnt lgkmcnt(0)
	s_barrier
	buffer_gl0_inv
	v_cmpx_gt_u32_e32 8, v0
	s_cbranch_execz .LBB1156_115
; %bb.114:
	v_lshlrev_b32_e32 v7, 3, v0
	v_and_b32_e32 v22, 7, v62
	ds_read_b64 v[5:6], v7
	v_cmp_eq_u32_e64 s2, 0, v22
	s_waitcnt lgkmcnt(0)
	v_mov_b32_dpp v8, v5 row_shr:1 row_mask:0xf bank_mask:0xf
	v_mov_b32_dpp v21, v6 row_shr:1 row_mask:0xf bank_mask:0xf
	v_add_nc_u32_e32 v8, v8, v5
	v_add_nc_u32_e32 v21, v21, v6
	v_cndmask_b32_e64 v5, v8, v5, s2
	v_cndmask_b32_e64 v6, v21, v6, s2
	v_cmp_lt_u32_e64 s2, 1, v22
	v_mov_b32_dpp v8, v5 row_shr:2 row_mask:0xf bank_mask:0xf
	v_mov_b32_dpp v21, v6 row_shr:2 row_mask:0xf bank_mask:0xf
	v_add_nc_u32_e32 v8, v5, v8
	v_add_nc_u32_e32 v21, v6, v21
	v_cndmask_b32_e64 v5, v5, v8, s2
	v_cndmask_b32_e64 v6, v6, v21, s2
	v_cmp_lt_u32_e64 s2, 3, v22
	v_mov_b32_dpp v8, v5 row_shr:4 row_mask:0xf bank_mask:0xf
	v_mov_b32_dpp v21, v6 row_shr:4 row_mask:0xf bank_mask:0xf
	v_cndmask_b32_e64 v8, 0, v8, s2
	v_cndmask_b32_e64 v21, 0, v21, s2
	v_add_nc_u32_e32 v5, v8, v5
	v_add_nc_u32_e32 v6, v21, v6
	ds_write_b64 v7, v[5:6]
.LBB1156_115:
	s_or_b32 exec_lo, exec_lo, s3
	v_cndmask_b32_e32 v1, v3, v1, vcc_lo
	v_cndmask_b32_e32 v2, v4, v2, vcc_lo
	s_mov_b32 s3, exec_lo
	v_cmp_gt_u32_e32 vcc_lo, 32, v0
	s_waitcnt lgkmcnt(0)
	s_barrier
	buffer_gl0_inv
                                        ; implicit-def: $vgpr21
	v_cmpx_lt_u32_e32 31, v0
	s_cbranch_execz .LBB1156_117
; %bb.116:
	v_lshl_add_u32 v3, v63, 3, -8
	ds_read_b64 v[21:22], v3
	s_waitcnt lgkmcnt(0)
	v_add_nc_u32_e32 v1, v22, v1
	v_add_nc_u32_e32 v2, v21, v2
.LBB1156_117:
	s_or_b32 exec_lo, exec_lo, s3
	v_sub_co_u32 v3, s2, v62, 1
	v_cmp_gt_i32_e64 s3, 0, v3
	v_cndmask_b32_e64 v3, v3, v62, s3
	v_lshlrev_b32_e32 v3, 2, v3
	ds_bpermute_b32 v69, v3, v2
	ds_bpermute_b32 v70, v3, v1
	s_and_saveexec_b32 s3, vcc_lo
	s_cbranch_execz .LBB1156_137
; %bb.118:
	v_mov_b32_e32 v4, 0
	ds_read_b64 v[1:2], v4 offset:56
	s_and_saveexec_b32 s8, s2
	s_cbranch_execz .LBB1156_120
; %bb.119:
	s_add_i32 s10, s6, 32
	s_mov_b32 s11, 0
	v_mov_b32_e32 v3, 1
	s_lshl_b64 s[10:11], s[10:11], 4
	s_add_u32 s10, s4, s10
	s_addc_u32 s11, s5, s11
	v_mov_b32_e32 v5, s10
	v_mov_b32_e32 v6, s11
	s_waitcnt lgkmcnt(0)
	;;#ASMSTART
	global_store_dwordx4 v[5:6], v[1:4] off	
s_waitcnt vmcnt(0)
	;;#ASMEND
.LBB1156_120:
	s_or_b32 exec_lo, exec_lo, s8
	v_xad_u32 v23, v62, -1, s6
	s_mov_b32 s9, 0
	v_add_nc_u32_e32 v3, 32, v23
	v_lshlrev_b64 v[5:6], 4, v[3:4]
	v_add_co_u32 v24, vcc_lo, s4, v5
	v_add_co_ci_u32_e64 v25, null, s5, v6, vcc_lo
	;;#ASMSTART
	global_load_dwordx4 v[5:8], v[24:25] off glc dlc	
s_waitcnt vmcnt(0)
	;;#ASMEND
	v_cmp_eq_u16_sdwa s10, v7, v4 src0_sel:BYTE_0 src1_sel:DWORD
	s_and_saveexec_b32 s8, s10
	s_cbranch_execz .LBB1156_124
; %bb.121:
	v_mov_b32_e32 v3, 0
.LBB1156_122:                           ; =>This Inner Loop Header: Depth=1
	;;#ASMSTART
	global_load_dwordx4 v[5:8], v[24:25] off glc dlc	
s_waitcnt vmcnt(0)
	;;#ASMEND
	v_cmp_ne_u16_sdwa s10, v7, v3 src0_sel:BYTE_0 src1_sel:DWORD
	s_or_b32 s9, s10, s9
	s_andn2_b32 exec_lo, exec_lo, s9
	s_cbranch_execnz .LBB1156_122
; %bb.123:
	s_or_b32 exec_lo, exec_lo, s9
.LBB1156_124:
	s_or_b32 exec_lo, exec_lo, s8
	v_cmp_ne_u32_e32 vcc_lo, 31, v62
	v_mov_b32_e32 v72, 2
	v_lshlrev_b32_e64 v73, v62, -1
	v_add_nc_u32_e32 v75, 2, v62
	v_add_nc_u32_e32 v77, 4, v62
	v_add_co_ci_u32_e64 v3, null, 0, v62, vcc_lo
	v_cmp_eq_u16_sdwa s8, v7, v72 src0_sel:BYTE_0 src1_sel:DWORD
	v_cmp_gt_u32_e32 vcc_lo, 30, v62
	v_add_nc_u32_e32 v79, 8, v62
	v_lshlrev_b32_e32 v71, 2, v3
	v_lshl_or_b32 v80, v62, 2, 64
	v_and_b32_e32 v8, s8, v73
	v_cndmask_b32_e64 v24, 0, 2, vcc_lo
	v_add_nc_u32_e32 v81, 16, v62
	ds_bpermute_b32 v3, v71, v6
	ds_bpermute_b32 v4, v71, v5
	v_or_b32_e32 v8, 0x80000000, v8
	v_add_lshl_u32 v74, v24, v62, 2
	v_ffbl_b32_e32 v8, v8
	v_cmp_lt_u32_e32 vcc_lo, v62, v8
	s_waitcnt lgkmcnt(1)
	v_add_nc_u32_e32 v3, v3, v6
	s_waitcnt lgkmcnt(0)
	v_add_nc_u32_e32 v4, v4, v5
	v_cndmask_b32_e32 v3, v6, v3, vcc_lo
	v_cndmask_b32_e32 v4, v5, v4, vcc_lo
	v_cmp_gt_u32_e32 vcc_lo, 28, v62
	ds_bpermute_b32 v5, v74, v3
	ds_bpermute_b32 v6, v74, v4
	v_cndmask_b32_e64 v24, 0, 4, vcc_lo
	v_cmp_gt_u32_e32 vcc_lo, v75, v8
	v_add_lshl_u32 v76, v24, v62, 2
	s_waitcnt lgkmcnt(1)
	v_add_nc_u32_e32 v5, v3, v5
	s_waitcnt lgkmcnt(0)
	v_add_nc_u32_e32 v6, v4, v6
	v_cndmask_b32_e32 v3, v5, v3, vcc_lo
	v_cndmask_b32_e32 v4, v6, v4, vcc_lo
	v_cmp_gt_u32_e32 vcc_lo, 24, v62
	ds_bpermute_b32 v5, v76, v3
	ds_bpermute_b32 v6, v76, v4
	v_cndmask_b32_e64 v24, 0, 8, vcc_lo
	v_cmp_gt_u32_e32 vcc_lo, v77, v8
	v_add_lshl_u32 v78, v24, v62, 2
	v_mov_b32_e32 v24, 0
	s_waitcnt lgkmcnt(1)
	v_add_nc_u32_e32 v5, v3, v5
	s_waitcnt lgkmcnt(0)
	v_add_nc_u32_e32 v6, v4, v6
	v_cndmask_b32_e32 v3, v5, v3, vcc_lo
	v_cndmask_b32_e32 v4, v6, v4, vcc_lo
	v_cmp_gt_u32_e32 vcc_lo, v79, v8
	ds_bpermute_b32 v5, v78, v3
	ds_bpermute_b32 v6, v78, v4
	s_waitcnt lgkmcnt(1)
	v_add_nc_u32_e32 v5, v3, v5
	s_waitcnt lgkmcnt(0)
	v_add_nc_u32_e32 v6, v4, v6
	v_cndmask_b32_e32 v3, v5, v3, vcc_lo
	v_cndmask_b32_e32 v4, v6, v4, vcc_lo
	v_cmp_le_u32_e32 vcc_lo, v81, v8
	ds_bpermute_b32 v6, v80, v3
	ds_bpermute_b32 v5, v80, v4
	s_waitcnt lgkmcnt(1)
	v_cndmask_b32_e32 v6, 0, v6, vcc_lo
	s_waitcnt lgkmcnt(0)
	v_cndmask_b32_e32 v5, 0, v5, vcc_lo
	v_add_nc_u32_e32 v6, v6, v3
	v_add_nc_u32_e32 v5, v5, v4
	s_branch .LBB1156_128
.LBB1156_125:                           ;   in Loop: Header=BB1156_128 Depth=1
	s_or_b32 exec_lo, exec_lo, s9
.LBB1156_126:                           ;   in Loop: Header=BB1156_128 Depth=1
	s_or_b32 exec_lo, exec_lo, s8
	ds_bpermute_b32 v8, v71, v5
	ds_bpermute_b32 v25, v71, v6
	v_cmp_eq_u16_sdwa s8, v7, v72 src0_sel:BYTE_0 src1_sel:DWORD
	v_subrev_nc_u32_e32 v23, 32, v23
	v_and_or_b32 v26, s8, v73, 0x80000000
	s_mov_b32 s8, 0
	v_ffbl_b32_e32 v26, v26
	v_cmp_lt_u32_e32 vcc_lo, v62, v26
	s_waitcnt lgkmcnt(1)
	v_add_nc_u32_e32 v8, v8, v5
	s_waitcnt lgkmcnt(0)
	v_add_nc_u32_e32 v25, v25, v6
	v_cndmask_b32_e32 v5, v5, v8, vcc_lo
	v_cndmask_b32_e32 v6, v6, v25, vcc_lo
	v_cmp_gt_u32_e32 vcc_lo, v75, v26
	ds_bpermute_b32 v8, v74, v5
	ds_bpermute_b32 v25, v74, v6
	s_waitcnt lgkmcnt(1)
	v_add_nc_u32_e32 v8, v5, v8
	s_waitcnt lgkmcnt(0)
	v_add_nc_u32_e32 v25, v6, v25
	v_cndmask_b32_e32 v5, v8, v5, vcc_lo
	v_cndmask_b32_e32 v6, v25, v6, vcc_lo
	v_cmp_gt_u32_e32 vcc_lo, v77, v26
	ds_bpermute_b32 v8, v76, v5
	ds_bpermute_b32 v25, v76, v6
	;; [unrolled: 9-line block ×3, first 2 shown]
	s_waitcnt lgkmcnt(1)
	v_add_nc_u32_e32 v8, v5, v8
	s_waitcnt lgkmcnt(0)
	v_add_nc_u32_e32 v25, v6, v25
	v_cndmask_b32_e32 v5, v8, v5, vcc_lo
	v_cndmask_b32_e32 v6, v25, v6, vcc_lo
	v_cmp_le_u32_e32 vcc_lo, v81, v26
	ds_bpermute_b32 v8, v80, v5
	ds_bpermute_b32 v25, v80, v6
	s_waitcnt lgkmcnt(1)
	v_cndmask_b32_e32 v8, 0, v8, vcc_lo
	s_waitcnt lgkmcnt(0)
	v_cndmask_b32_e32 v25, 0, v25, vcc_lo
	v_add3_u32 v5, v5, v3, v8
	v_add3_u32 v6, v6, v4, v25
.LBB1156_127:                           ;   in Loop: Header=BB1156_128 Depth=1
	s_and_b32 vcc_lo, exec_lo, s8
	s_cbranch_vccnz .LBB1156_133
.LBB1156_128:                           ; =>This Loop Header: Depth=1
                                        ;     Child Loop BB1156_131 Depth 2
	v_cmp_ne_u16_sdwa s8, v7, v72 src0_sel:BYTE_0 src1_sel:DWORD
	v_mov_b32_e32 v3, v5
	v_mov_b32_e32 v4, v6
                                        ; implicit-def: $vgpr7
                                        ; implicit-def: $vgpr5_vgpr6
	s_cmp_lg_u32 s8, exec_lo
	s_mov_b32 s8, -1
	s_cbranch_scc1 .LBB1156_127
; %bb.129:                              ;   in Loop: Header=BB1156_128 Depth=1
	v_lshlrev_b64 v[5:6], 4, v[23:24]
	v_add_co_u32 v25, vcc_lo, s4, v5
	v_add_co_ci_u32_e64 v26, null, s5, v6, vcc_lo
	;;#ASMSTART
	global_load_dwordx4 v[5:8], v[25:26] off glc dlc	
s_waitcnt vmcnt(0)
	;;#ASMEND
	v_cmp_eq_u16_sdwa s9, v7, v24 src0_sel:BYTE_0 src1_sel:DWORD
	s_and_saveexec_b32 s8, s9
	s_cbranch_execz .LBB1156_126
; %bb.130:                              ;   in Loop: Header=BB1156_128 Depth=1
	s_mov_b32 s9, 0
.LBB1156_131:                           ;   Parent Loop BB1156_128 Depth=1
                                        ; =>  This Inner Loop Header: Depth=2
	;;#ASMSTART
	global_load_dwordx4 v[5:8], v[25:26] off glc dlc	
s_waitcnt vmcnt(0)
	;;#ASMEND
	v_cmp_ne_u16_sdwa s10, v7, v24 src0_sel:BYTE_0 src1_sel:DWORD
	s_or_b32 s9, s10, s9
	s_andn2_b32 exec_lo, exec_lo, s9
	s_cbranch_execnz .LBB1156_131
	s_branch .LBB1156_125
.LBB1156_132:
                                        ; implicit-def: $vgpr23
                                        ; implicit-def: $vgpr3
                                        ; implicit-def: $vgpr24
	s_and_b32 vcc_lo, exec_lo, s3
	s_cbranch_vccnz .LBB1156_138
	s_branch .LBB1156_147
.LBB1156_133:
	s_and_saveexec_b32 s8, s2
	s_cbranch_execnz .LBB1156_375
; %bb.134:
	s_or_b32 exec_lo, exec_lo, s8
	s_and_saveexec_b32 s6, s2
	s_cbranch_execnz .LBB1156_376
.LBB1156_135:
	s_or_b32 exec_lo, exec_lo, s6
	v_cmp_eq_u32_e32 vcc_lo, 0, v0
	s_and_b32 exec_lo, exec_lo, vcc_lo
.LBB1156_136:
	v_mov_b32_e32 v1, 0
	ds_write_b64 v1, v[3:4] offset:56
.LBB1156_137:
	s_or_b32 exec_lo, exec_lo, s3
	v_mov_b32_e32 v1, 0
	s_waitcnt lgkmcnt(0)
	s_barrier
	buffer_gl0_inv
	v_cndmask_b32_e64 v7, v69, v21, s2
	ds_read_b64 v[5:6], v1 offset:56
	s_waitcnt lgkmcnt(0)
	s_barrier
	buffer_gl0_inv
	ds_read_b128 v[1:4], v1 offset:13312
	v_cndmask_b32_e64 v8, v70, v22, s2
	v_cmp_eq_u32_e32 vcc_lo, 0, v0
	v_add_nc_u32_e32 v7, v5, v7
	v_add_nc_u32_e32 v8, v6, v8
	v_cndmask_b32_e32 v24, v7, v5, vcc_lo
	v_cndmask_b32_e32 v23, v8, v6, vcc_lo
	s_branch .LBB1156_147
.LBB1156_138:
	s_waitcnt lgkmcnt(0)
	v_mov_b32_dpp v1, v67 row_shr:1 row_mask:0xf bank_mask:0xf
	v_mov_b32_dpp v2, v68 row_shr:1 row_mask:0xf bank_mask:0xf
	v_cmp_lt_u32_e32 vcc_lo, 3, v64
	v_add_nc_u32_e32 v1, v1, v67
	v_add_nc_u32_e32 v2, v2, v68
	v_cndmask_b32_e64 v1, v1, v67, s1
	v_cndmask_b32_e64 v2, v2, v68, s1
	s_mov_b32 s1, exec_lo
	v_mov_b32_dpp v3, v1 row_shr:2 row_mask:0xf bank_mask:0xf
	v_mov_b32_dpp v4, v2 row_shr:2 row_mask:0xf bank_mask:0xf
	v_add_nc_u32_e32 v3, v1, v3
	v_add_nc_u32_e32 v4, v2, v4
	v_cndmask_b32_e64 v1, v1, v3, s0
	v_cndmask_b32_e64 v2, v2, v4, s0
	v_mov_b32_dpp v3, v1 row_shr:4 row_mask:0xf bank_mask:0xf
	v_mov_b32_dpp v4, v2 row_shr:4 row_mask:0xf bank_mask:0xf
	v_add_nc_u32_e32 v3, v1, v3
	v_add_nc_u32_e32 v4, v2, v4
	v_cndmask_b32_e32 v3, v1, v3, vcc_lo
	v_cndmask_b32_e32 v2, v2, v4, vcc_lo
	v_cmp_lt_u32_e32 vcc_lo, 7, v64
	v_mov_b32_dpp v1, v3 row_shr:8 row_mask:0xf bank_mask:0xf
	v_mov_b32_dpp v4, v2 row_shr:8 row_mask:0xf bank_mask:0xf
	v_add_nc_u32_e32 v5, v3, v1
	v_add_nc_u32_e32 v1, v2, v4
	v_cndmask_b32_e32 v1, v2, v1, vcc_lo
	v_cndmask_b32_e32 v2, v3, v5, vcc_lo
	v_cmp_eq_u32_e32 vcc_lo, 0, v66
	ds_swizzle_b32 v3, v1 offset:swizzle(BROADCAST,32,15)
	ds_swizzle_b32 v4, v2 offset:swizzle(BROADCAST,32,15)
	s_waitcnt lgkmcnt(1)
	v_add_nc_u32_e32 v3, v1, v3
	s_waitcnt lgkmcnt(0)
	v_add_nc_u32_e32 v4, v2, v4
	v_cmpx_eq_u32_e64 v0, v65
	s_cbranch_execz .LBB1156_140
; %bb.139:
	v_cndmask_b32_e32 v5, v4, v2, vcc_lo
	v_cndmask_b32_e32 v6, v3, v1, vcc_lo
	v_lshlrev_b32_e32 v7, 3, v63
	ds_write_b64 v7, v[5:6]
.LBB1156_140:
	s_or_b32 exec_lo, exec_lo, s1
	s_mov_b32 s1, exec_lo
	s_waitcnt lgkmcnt(0)
	s_barrier
	buffer_gl0_inv
	v_cmpx_gt_u32_e32 8, v0
	s_cbranch_execz .LBB1156_142
; %bb.141:
	v_lshlrev_b32_e32 v7, 3, v0
	v_and_b32_e32 v22, 7, v62
	ds_read_b64 v[5:6], v7
	v_cmp_eq_u32_e64 s0, 0, v22
	s_waitcnt lgkmcnt(0)
	v_mov_b32_dpp v8, v5 row_shr:1 row_mask:0xf bank_mask:0xf
	v_mov_b32_dpp v21, v6 row_shr:1 row_mask:0xf bank_mask:0xf
	v_add_nc_u32_e32 v8, v8, v5
	v_add_nc_u32_e32 v21, v21, v6
	v_cndmask_b32_e64 v5, v8, v5, s0
	v_cndmask_b32_e64 v6, v21, v6, s0
	v_cmp_lt_u32_e64 s0, 1, v22
	v_mov_b32_dpp v8, v5 row_shr:2 row_mask:0xf bank_mask:0xf
	v_mov_b32_dpp v21, v6 row_shr:2 row_mask:0xf bank_mask:0xf
	v_add_nc_u32_e32 v8, v5, v8
	v_add_nc_u32_e32 v21, v6, v21
	v_cndmask_b32_e64 v5, v5, v8, s0
	v_cndmask_b32_e64 v6, v6, v21, s0
	v_cmp_lt_u32_e64 s0, 3, v22
	v_mov_b32_dpp v8, v5 row_shr:4 row_mask:0xf bank_mask:0xf
	v_mov_b32_dpp v21, v6 row_shr:4 row_mask:0xf bank_mask:0xf
	v_cndmask_b32_e64 v8, 0, v8, s0
	v_cndmask_b32_e64 v21, 0, v21, s0
	v_add_nc_u32_e32 v5, v8, v5
	v_add_nc_u32_e32 v6, v21, v6
	ds_write_b64 v7, v[5:6]
.LBB1156_142:
	s_or_b32 exec_lo, exec_lo, s1
	v_mov_b32_e32 v7, 0
	v_mov_b32_e32 v5, 0
	;; [unrolled: 1-line block ×3, first 2 shown]
	s_mov_b32 s1, exec_lo
	s_waitcnt lgkmcnt(0)
	s_barrier
	buffer_gl0_inv
	v_cmpx_lt_u32_e32 31, v0
; %bb.143:
	v_lshl_add_u32 v5, v63, 3, -8
	ds_read_b64 v[5:6], v5
; %bb.144:
	s_or_b32 exec_lo, exec_lo, s1
	v_sub_co_u32 v8, s0, v62, 1
	v_cndmask_b32_e32 v2, v4, v2, vcc_lo
	v_cndmask_b32_e32 v1, v3, v1, vcc_lo
	v_cmp_eq_u32_e32 vcc_lo, 0, v0
	v_cmp_gt_i32_e64 s1, 0, v8
	s_waitcnt lgkmcnt(0)
	v_add_nc_u32_e32 v2, v5, v2
	v_add_nc_u32_e32 v1, v6, v1
	v_cndmask_b32_e64 v4, v8, v62, s1
	v_lshlrev_b32_e32 v3, 2, v4
	ds_bpermute_b32 v8, v3, v2
	ds_bpermute_b32 v21, v3, v1
	ds_read_b64 v[1:2], v7 offset:56
	s_and_saveexec_b32 s1, vcc_lo
	s_cbranch_execz .LBB1156_146
; %bb.145:
	s_add_u32 s2, s4, 0x200
	s_addc_u32 s3, s5, 0
	v_mov_b32_e32 v3, 2
	v_mov_b32_e32 v23, s3
	;; [unrolled: 1-line block ×4, first 2 shown]
	s_waitcnt lgkmcnt(0)
	;;#ASMSTART
	global_store_dwordx4 v[22:23], v[1:4] off	
s_waitcnt vmcnt(0)
	;;#ASMEND
.LBB1156_146:
	s_or_b32 exec_lo, exec_lo, s1
	s_waitcnt lgkmcnt(1)
	v_cndmask_b32_e64 v3, v21, v6, s0
	v_cndmask_b32_e64 v5, v8, v5, s0
	v_mov_b32_e32 v4, 0
	s_waitcnt lgkmcnt(0)
	s_barrier
	v_cndmask_b32_e64 v23, v3, 0, vcc_lo
	v_cndmask_b32_e64 v24, v5, 0, vcc_lo
	v_mov_b32_e32 v3, 0
	buffer_gl0_inv
.LBB1156_147:
	v_add_nc_u32_e32 v61, v23, v61
	v_add_nc_u32_e32 v60, v24, v60
	s_waitcnt lgkmcnt(0)
	v_sub_nc_u32_e32 v23, v23, v4
	v_lshrrev_b32_e32 v26, 8, v36
	v_lshlrev_b32_e32 v66, 1, v1
	v_add_nc_u32_e32 v58, v61, v58
	v_sub_nc_u32_e32 v61, v61, v4
	v_add_nc_u32_e32 v57, v60, v57
	v_sub_nc_u32_e32 v24, v24, v3
	v_sub_nc_u32_e32 v60, v60, v3
	v_add_nc_u32_e32 v23, v23, v1
	v_add_nc_u32_e32 v61, v61, v1
	v_and_b32_e32 v26, 1, v26
	v_mov_b32_e32 v68, 1
	v_add3_u32 v29, v66, v2, v29
	v_add_nc_u32_e32 v73, v24, v23
	v_add_nc_u32_e32 v72, v61, v60
	v_cmp_eq_u32_e32 vcc_lo, 1, v26
	v_and_b32_sdwa v71, v68, v36 dst_sel:DWORD dst_unused:UNUSED_PAD src0_sel:DWORD src1_sel:WORD_1
	v_lshrrev_b32_e32 v25, 8, v30
	v_sub_nc_u32_e32 v73, v29, v73
	v_sub_nc_u32_e32 v72, v29, v72
	v_and_b32_e32 v67, 1, v30
	v_add_nc_u32_e32 v62, v58, v43
	v_and_b32_e32 v25, 1, v25
	v_cndmask_b32_e32 v23, v73, v23, vcc_lo
	v_add_nc_u32_e32 v72, 1, v72
	v_cmp_eq_u32_e32 vcc_lo, 1, v71
	v_sub_nc_u32_e32 v58, v58, v4
	v_add_nc_u32_e32 v59, v57, v59
	v_sub_nc_u32_e32 v57, v57, v3
	v_add_co_u32 v5, s0, s28, v3
	v_cndmask_b32_e32 v26, v72, v61, vcc_lo
	v_cmp_eq_u32_e32 vcc_lo, 1, v67
	v_add_nc_u32_e32 v58, v58, v1
	v_add_co_ci_u32_e64 v6, null, s29, 0, s0
	v_sub_co_u32 v64, s0, s30, v1
	v_cndmask_b32_e32 v67, v23, v24, vcc_lo
	v_cmp_eq_u32_e32 vcc_lo, 1, v25
	v_sub_co_ci_u32_e64 v65, null, s31, 0, s0
	v_and_b32_e32 v43, 1, v43
	v_add_nc_u32_e32 v56, v62, v56
	v_cndmask_b32_e32 v25, v26, v60, vcc_lo
	v_add_nc_u32_e32 v26, v58, v57
	v_add_co_u32 v23, vcc_lo, v64, v4
	v_add_co_ci_u32_e64 v24, null, 0, v65, vcc_lo
	v_sub_nc_u32_e32 v26, v29, v26
	v_sub_nc_u32_e32 v62, v62, v4
	v_and_b32_sdwa v30, v68, v30 dst_sel:DWORD dst_unused:UNUSED_PAD src0_sel:DWORD src1_sel:WORD_1
	v_cmp_eq_u32_e32 vcc_lo, 1, v43
	v_add_nc_u32_e32 v63, v59, v42
	v_add_nc_u32_e32 v26, 2, v26
	v_sub_nc_u32_e32 v59, v59, v3
	v_add_nc_u32_e32 v62, v62, v1
	v_add_nc_u32_e32 v55, v56, v55
	v_lshlrev_b32_e32 v60, 2, v67
	v_cndmask_b32_e32 v26, v26, v58, vcc_lo
	v_cmp_eq_u32_e32 vcc_lo, 1, v30
	v_lshlrev_b32_e32 v25, 2, v25
	v_sub_nc_u32_e32 v56, v56, v4
	v_add_nc_u32_e32 v43, v59, v62
	v_sub_nc_u32_e32 v58, v63, v3
	v_cndmask_b32_e32 v26, v26, v57, vcc_lo
	ds_write_b32 v60, v19
	v_add_nc_u32_e32 v56, v56, v1
	v_sub_nc_u32_e32 v19, v29, v43
	ds_write_b32 v25, v20
	v_lshlrev_b32_e32 v25, 2, v26
	v_and_b32_e32 v26, 1, v31
	v_lshrrev_b32_e32 v22, 8, v31
	v_add_nc_u32_e32 v54, v63, v54
	v_add_nc_u32_e32 v20, v58, v56
	v_add_nc_u32_e32 v19, 3, v19
	v_and_b32_e32 v30, 1, v42
	v_sub_nc_u32_e32 v42, v55, v4
	v_cmp_eq_u32_e32 vcc_lo, 1, v26
	v_sub_nc_u32_e32 v20, v29, v20
	v_and_b32_e32 v22, 1, v22
	v_sub_nc_u32_e32 v26, v54, v3
	v_add_nc_u32_e32 v42, v42, v1
	v_cndmask_b32_e32 v19, v19, v62, vcc_lo
	v_cmp_eq_u32_e32 vcc_lo, 1, v30
	v_add_nc_u32_e32 v20, 4, v20
	v_and_b32_e32 v30, 1, v32
	v_add_nc_u32_e32 v43, v26, v42
	v_lshrrev_b32_e32 v21, 8, v32
	v_cndmask_b32_e32 v19, v19, v59, vcc_lo
	v_cmp_eq_u32_e32 vcc_lo, 1, v22
	v_add_nc_u32_e32 v53, v55, v53
	ds_write_b32 v25, v17
	v_and_b32_sdwa v25, v68, v31 dst_sel:DWORD dst_unused:UNUSED_PAD src0_sel:DWORD src1_sel:WORD_1
	v_lshlrev_b32_e32 v17, 2, v19
	v_cndmask_b32_e32 v20, v20, v56, vcc_lo
	v_sub_nc_u32_e32 v19, v29, v43
	v_cmp_eq_u32_e32 vcc_lo, 1, v30
	v_add_nc_u32_e32 v52, v54, v52
	v_add_nc_u32_e32 v69, v53, v41
	v_and_b32_e32 v21, 1, v21
	v_sub_nc_u32_e32 v22, v53, v4
	v_cndmask_b32_e32 v20, v20, v58, vcc_lo
	v_add_nc_u32_e32 v19, 5, v19
	v_cmp_eq_u32_e32 vcc_lo, 1, v25
	v_add_nc_u32_e32 v46, v52, v46
	v_sub_nc_u32_e32 v30, v52, v3
	v_sub_nc_u32_e32 v31, v69, v4
	v_add_nc_u32_e32 v22, v22, v1
	v_cndmask_b32_e32 v19, v19, v42, vcc_lo
	v_cmp_eq_u32_e32 vcc_lo, 1, v21
	v_sub_nc_u32_e32 v25, v46, v3
	v_add_nc_u32_e32 v31, v31, v1
	v_lshlrev_b32_e32 v20, 2, v20
	v_add_nc_u32_e32 v42, v30, v22
	v_cndmask_b32_e32 v19, v19, v26, vcc_lo
	ds_write_b32 v17, v18
	v_add_nc_u32_e32 v21, v25, v31
	ds_write_b32 v20, v15
	v_sub_nc_u32_e32 v17, v29, v42
	v_lshlrev_b32_e32 v15, 2, v19
	v_and_b32_e32 v19, 1, v41
	v_sub_nc_u32_e32 v18, v29, v21
	v_and_b32_e32 v21, 1, v33
	v_add_nc_u32_e32 v17, 6, v17
	v_add_nc_u32_e32 v51, v69, v51
	v_cmp_eq_u32_e32 vcc_lo, 1, v19
	v_and_b32_sdwa v20, v68, v32 dst_sel:DWORD dst_unused:UNUSED_PAD src0_sel:DWORD src1_sel:WORD_1
	v_add_nc_u32_e32 v18, 7, v18
	v_add_nc_u32_e32 v70, v46, v40
	v_sub_nc_u32_e32 v19, v51, v4
	v_cndmask_b32_e32 v17, v17, v22, vcc_lo
	v_cmp_eq_u32_e32 vcc_lo, 1, v21
	v_and_b32_e32 v22, 1, v40
	v_add_nc_u32_e32 v50, v51, v50
	v_sub_nc_u32_e32 v21, v70, v3
	v_add_nc_u32_e32 v19, v19, v1
	v_cndmask_b32_e32 v18, v18, v31, vcc_lo
	v_cmp_eq_u32_e32 vcc_lo, 1, v20
	v_lshrrev_b32_e32 v8, 8, v33
	v_add_nc_u32_e32 v49, v70, v49
	v_add_nc_u32_e32 v20, v21, v19
	ds_write_b32 v15, v16
	v_cndmask_b32_e32 v17, v17, v30, vcc_lo
	v_cmp_eq_u32_e32 vcc_lo, 1, v22
	v_sub_nc_u32_e32 v15, v50, v4
	v_add_nc_u32_e32 v48, v50, v48
	v_and_b32_e32 v8, 1, v8
	v_lshlrev_b32_e32 v16, 2, v17
	v_cndmask_b32_e32 v18, v18, v25, vcc_lo
	v_add_nc_u32_e32 v15, v15, v1
	v_add_nc_u32_e32 v47, v49, v47
	v_cmp_eq_u32_e32 vcc_lo, 1, v8
	v_lshrrev_b32_e32 v7, 8, v35
	v_lshlrev_b32_e32 v17, 2, v18
	v_sub_nc_u32_e32 v18, v29, v20
	v_sub_nc_u32_e32 v20, v49, v3
	ds_write_b32 v16, v13
	ds_write_b32 v17, v14
	v_and_b32_e32 v16, 1, v35
	v_add_nc_u32_e32 v13, 8, v18
	v_add_nc_u32_e32 v14, v20, v15
	v_sub_nc_u32_e32 v17, v48, v4
	v_add_nc_u32_e32 v74, v48, v39
	v_add_nc_u32_e32 v45, v47, v45
	v_cndmask_b32_e32 v8, v13, v19, vcc_lo
	v_sub_nc_u32_e32 v13, v29, v14
	v_sub_nc_u32_e32 v14, v47, v3
	v_add_nc_u32_e32 v17, v17, v1
	v_cmp_eq_u32_e32 vcc_lo, 1, v16
	v_and_b32_sdwa v16, v68, v33 dst_sel:DWORD dst_unused:UNUSED_PAD src0_sel:DWORD src1_sel:WORD_1
	v_add_nc_u32_e32 v44, v74, v44
	v_add_nc_u32_e32 v13, 9, v13
	v_and_b32_e32 v7, 1, v7
	v_cndmask_b32_e32 v8, v8, v21, vcc_lo
	v_add_nc_u32_e32 v18, v14, v17
	v_sub_nc_u32_e32 v19, v74, v4
	v_cmp_eq_u32_e32 vcc_lo, 1, v16
	v_add_nc_u32_e32 v61, v45, v38
	v_and_b32_e32 v25, 1, v37
	v_sub_nc_u32_e32 v16, v29, v18
	v_sub_nc_u32_e32 v18, v45, v3
	v_cndmask_b32_e32 v13, v13, v15, vcc_lo
	v_sub_nc_u32_e32 v15, v44, v4
	v_add_nc_u32_e32 v19, v19, v1
	v_cmp_eq_u32_e32 vcc_lo, 1, v7
	v_sub_nc_u32_e32 v3, v61, v3
	v_add_nc_u32_e32 v16, 10, v16
	v_add_nc_u32_e32 v15, v15, v1
	v_and_b32_sdwa v22, v68, v35 dst_sel:DWORD dst_unused:UNUSED_PAD src0_sel:DWORD src1_sel:WORD_1
	v_cndmask_b32_e32 v7, v13, v20, vcc_lo
	v_add_nc_u32_e32 v13, v18, v19
	v_and_b32_e32 v20, 1, v39
	v_add_nc_u32_e32 v21, v3, v15
	v_lshlrev_b32_e32 v8, 2, v8
	v_lshlrev_b32_e32 v7, 2, v7
	v_sub_nc_u32_e32 v13, v29, v13
	v_cmp_eq_u32_e32 vcc_lo, 1, v20
	v_and_b32_e32 v20, 1, v34
	v_add_nc_u32_e32 v13, 11, v13
	v_cndmask_b32_e32 v16, v16, v17, vcc_lo
	v_sub_nc_u32_e32 v17, v29, v21
	v_cmp_eq_u32_e32 vcc_lo, 1, v20
	v_and_b32_e32 v21, 1, v38
	v_add_nc_u32_e32 v17, 12, v17
	v_cndmask_b32_e32 v13, v13, v19, vcc_lo
	v_cmp_eq_u32_e32 vcc_lo, 1, v25
	v_and_b32_e32 v19, 1, v36
	v_cndmask_b32_e32 v15, v17, v15, vcc_lo
	v_cmp_eq_u32_e32 vcc_lo, 1, v22
	v_cndmask_b32_e32 v14, v16, v14, vcc_lo
	v_cmp_eq_u32_e32 vcc_lo, 1, v21
	v_lshlrev_b32_e32 v14, 2, v14
	v_cndmask_b32_e32 v13, v13, v18, vcc_lo
	v_cmp_eq_u32_e32 vcc_lo, 1, v19
	v_lshlrev_b32_e32 v13, 2, v13
	v_cndmask_b32_e32 v3, v15, v3, vcc_lo
	v_lshlrev_b32_e32 v3, 2, v3
	ds_write_b32 v8, v11
	ds_write_b32 v7, v12
	;; [unrolled: 1-line block ×5, first 2 shown]
	v_add_co_u32 v3, s0, v2, v66
	v_add_co_ci_u32_e64 v7, null, 0, 0, s0
	s_add_u32 s0, s34, s42
	v_add_co_u32 v3, vcc_lo, v3, v23
	v_add_co_ci_u32_e64 v7, null, v7, v24, vcc_lo
	s_addc_u32 s1, s35, 0
	v_add_co_u32 v3, vcc_lo, v3, v5
	v_add_co_ci_u32_e64 v9, null, v7, v6, vcc_lo
	v_lshlrev_b64 v[7:8], 2, v[23:24]
	v_sub_co_u32 v3, vcc_lo, s0, v3
	v_sub_co_ci_u32_e64 v11, null, s1, v9, vcc_lo
	v_lshlrev_b64 v[9:10], 2, v[5:6]
	v_add_co_u32 v7, vcc_lo, s38, v7
	v_add_co_ci_u32_e64 v8, null, s39, v8, vcc_lo
	v_cmp_ne_u32_e32 vcc_lo, 1, v27
	v_add_co_u32 v9, s0, s36, v9
	v_add_nc_u32_e32 v12, v1, v2
	v_add_co_ci_u32_e64 v10, null, s37, v10, s0
	s_and_b32 vcc_lo, exec_lo, vcc_lo
	s_mov_b32 s0, -1
	s_waitcnt lgkmcnt(0)
	s_barrier
	buffer_gl0_inv
	s_cbranch_vccz .LBB1156_151
; %bb.148:
	s_and_b32 vcc_lo, exec_lo, s0
	s_cbranch_vccnz .LBB1156_256
.LBB1156_149:
	v_cmp_eq_u32_e32 vcc_lo, 0, v0
	s_and_b32 s0, vcc_lo, s33
	s_and_saveexec_b32 s1, s0
	s_cbranch_execnz .LBB1156_374
.LBB1156_150:
	s_endpgm
.LBB1156_151:
	s_mov_b32 s0, exec_lo
	v_cmpx_ge_u32_e64 v0, v1
	s_xor_b32 s0, exec_lo, s0
	s_cbranch_execz .LBB1156_157
; %bb.152:
	s_mov_b32 s1, exec_lo
	v_cmpx_ge_u32_e64 v0, v12
	s_xor_b32 s1, exec_lo, s1
	s_cbranch_execz .LBB1156_154
; %bb.153:
	v_lshlrev_b32_e32 v13, 2, v0
	ds_read_b32 v15, v13
	v_add_co_u32 v13, vcc_lo, v3, v0
	v_add_co_ci_u32_e64 v14, null, 0, v11, vcc_lo
	v_lshlrev_b64 v[13:14], 2, v[13:14]
	v_sub_co_u32 v13, vcc_lo, s26, v13
	v_sub_co_ci_u32_e64 v14, null, s27, v14, vcc_lo
	s_waitcnt lgkmcnt(0)
	global_store_dword v[13:14], v15, off offset:-4
.LBB1156_154:
	s_andn2_saveexec_b32 s1, s1
	s_cbranch_execz .LBB1156_156
; %bb.155:
	v_lshlrev_b32_e32 v13, 2, v0
	v_readfirstlane_b32 s2, v7
	v_readfirstlane_b32 s3, v8
	ds_read_b32 v14, v13
	s_waitcnt lgkmcnt(0)
	global_store_dword v13, v14, s[2:3]
.LBB1156_156:
	s_or_b32 exec_lo, exec_lo, s1
.LBB1156_157:
	s_andn2_saveexec_b32 s0, s0
	s_cbranch_execz .LBB1156_159
; %bb.158:
	v_lshlrev_b32_e32 v13, 2, v0
	v_readfirstlane_b32 s2, v9
	v_readfirstlane_b32 s3, v10
	ds_read_b32 v14, v13
	s_waitcnt lgkmcnt(0)
	global_store_dword v13, v14, s[2:3]
.LBB1156_159:
	s_or_b32 exec_lo, exec_lo, s0
	v_or_b32_e32 v13, 0x100, v0
	s_mov_b32 s0, exec_lo
	v_cmpx_ge_u32_e64 v13, v1
	s_xor_b32 s0, exec_lo, s0
	s_cbranch_execz .LBB1156_165
; %bb.160:
	s_mov_b32 s1, exec_lo
	v_cmpx_ge_u32_e64 v13, v12
	s_xor_b32 s1, exec_lo, s1
	s_cbranch_execz .LBB1156_162
; %bb.161:
	v_lshlrev_b32_e32 v13, 2, v0
	ds_read_b32 v15, v13 offset:1024
	v_add_co_u32 v13, vcc_lo, v3, v0
	v_add_co_ci_u32_e64 v14, null, 0, v11, vcc_lo
	v_lshlrev_b64 v[13:14], 2, v[13:14]
	v_sub_co_u32 v13, vcc_lo, s26, v13
	v_sub_co_ci_u32_e64 v14, null, s27, v14, vcc_lo
	s_waitcnt lgkmcnt(0)
	global_store_dword v[13:14], v15, off offset:-1028
.LBB1156_162:
	s_andn2_saveexec_b32 s1, s1
	s_cbranch_execz .LBB1156_164
; %bb.163:
	v_lshlrev_b32_e32 v13, 2, v0
	v_readfirstlane_b32 s2, v7
	v_readfirstlane_b32 s3, v8
	ds_read_b32 v14, v13 offset:1024
	s_waitcnt lgkmcnt(0)
	global_store_dword v13, v14, s[2:3] offset:1024
.LBB1156_164:
	s_or_b32 exec_lo, exec_lo, s1
.LBB1156_165:
	s_andn2_saveexec_b32 s0, s0
	s_cbranch_execz .LBB1156_167
; %bb.166:
	v_lshlrev_b32_e32 v13, 2, v0
	v_readfirstlane_b32 s2, v9
	v_readfirstlane_b32 s3, v10
	ds_read_b32 v14, v13 offset:1024
	s_waitcnt lgkmcnt(0)
	global_store_dword v13, v14, s[2:3] offset:1024
.LBB1156_167:
	s_or_b32 exec_lo, exec_lo, s0
	v_or_b32_e32 v13, 0x200, v0
	s_mov_b32 s0, exec_lo
	v_cmpx_ge_u32_e64 v13, v1
	s_xor_b32 s0, exec_lo, s0
	s_cbranch_execz .LBB1156_173
; %bb.168:
	s_mov_b32 s1, exec_lo
	v_cmpx_ge_u32_e64 v13, v12
	s_xor_b32 s1, exec_lo, s1
	s_cbranch_execz .LBB1156_170
; %bb.169:
	v_lshlrev_b32_e32 v15, 2, v0
	v_add_co_u32 v13, vcc_lo, v3, v0
	v_add_co_ci_u32_e64 v14, null, 0, v11, vcc_lo
	ds_read_b32 v15, v15 offset:2048
	v_lshlrev_b64 v[13:14], 2, v[13:14]
	v_sub_co_u32 v13, vcc_lo, s26, v13
	v_sub_co_ci_u32_e64 v14, null, s27, v14, vcc_lo
	v_add_co_u32 v13, vcc_lo, 0xfffff800, v13
	v_add_co_ci_u32_e64 v14, null, -1, v14, vcc_lo
	s_waitcnt lgkmcnt(0)
	global_store_dword v[13:14], v15, off offset:-4
                                        ; implicit-def: $vgpr13
.LBB1156_170:
	s_andn2_saveexec_b32 s1, s1
	s_cbranch_execz .LBB1156_172
; %bb.171:
	v_lshlrev_b32_e32 v14, 2, v0
	v_lshlrev_b32_e32 v13, 2, v13
	v_readfirstlane_b32 s2, v7
	v_readfirstlane_b32 s3, v8
	ds_read_b32 v14, v14 offset:2048
	s_waitcnt lgkmcnt(0)
	global_store_dword v13, v14, s[2:3]
.LBB1156_172:
	s_or_b32 exec_lo, exec_lo, s1
                                        ; implicit-def: $vgpr13
.LBB1156_173:
	s_andn2_saveexec_b32 s0, s0
	s_cbranch_execz .LBB1156_175
; %bb.174:
	v_lshlrev_b32_e32 v14, 2, v0
	v_lshlrev_b32_e32 v13, 2, v13
	v_readfirstlane_b32 s2, v9
	v_readfirstlane_b32 s3, v10
	ds_read_b32 v14, v14 offset:2048
	s_waitcnt lgkmcnt(0)
	global_store_dword v13, v14, s[2:3]
.LBB1156_175:
	s_or_b32 exec_lo, exec_lo, s0
	v_or_b32_e32 v13, 0x300, v0
	s_mov_b32 s0, exec_lo
	v_cmpx_ge_u32_e64 v13, v1
	s_xor_b32 s0, exec_lo, s0
	s_cbranch_execz .LBB1156_181
; %bb.176:
	s_mov_b32 s1, exec_lo
	v_cmpx_ge_u32_e64 v13, v12
	s_xor_b32 s1, exec_lo, s1
	s_cbranch_execz .LBB1156_178
; %bb.177:
	v_lshlrev_b32_e32 v14, 2, v0
	v_add_co_u32 v13, vcc_lo, v3, v13
	ds_read_b32 v15, v14 offset:3072
	v_add_co_ci_u32_e64 v14, null, 0, v11, vcc_lo
	v_lshlrev_b64 v[13:14], 2, v[13:14]
	v_sub_co_u32 v13, vcc_lo, s26, v13
	v_sub_co_ci_u32_e64 v14, null, s27, v14, vcc_lo
	s_waitcnt lgkmcnt(0)
	global_store_dword v[13:14], v15, off offset:-4
                                        ; implicit-def: $vgpr13
.LBB1156_178:
	s_andn2_saveexec_b32 s1, s1
	s_cbranch_execz .LBB1156_180
; %bb.179:
	v_lshlrev_b32_e32 v14, 2, v0
	v_lshlrev_b32_e32 v13, 2, v13
	v_readfirstlane_b32 s2, v7
	v_readfirstlane_b32 s3, v8
	ds_read_b32 v14, v14 offset:3072
	s_waitcnt lgkmcnt(0)
	global_store_dword v13, v14, s[2:3]
.LBB1156_180:
	s_or_b32 exec_lo, exec_lo, s1
                                        ; implicit-def: $vgpr13
.LBB1156_181:
	s_andn2_saveexec_b32 s0, s0
	s_cbranch_execz .LBB1156_183
; %bb.182:
	v_lshlrev_b32_e32 v14, 2, v0
	v_lshlrev_b32_e32 v13, 2, v13
	v_readfirstlane_b32 s2, v9
	v_readfirstlane_b32 s3, v10
	ds_read_b32 v14, v14 offset:3072
	s_waitcnt lgkmcnt(0)
	global_store_dword v13, v14, s[2:3]
.LBB1156_183:
	s_or_b32 exec_lo, exec_lo, s0
	v_or_b32_e32 v13, 0x400, v0
	s_mov_b32 s0, exec_lo
	v_cmpx_ge_u32_e64 v13, v1
	s_xor_b32 s0, exec_lo, s0
	s_cbranch_execz .LBB1156_189
; %bb.184:
	s_mov_b32 s1, exec_lo
	v_cmpx_ge_u32_e64 v13, v12
	s_xor_b32 s1, exec_lo, s1
	s_cbranch_execz .LBB1156_186
; %bb.185:
	v_lshlrev_b32_e32 v14, 2, v0
	v_add_co_u32 v13, vcc_lo, v3, v13
	ds_read_b32 v15, v14 offset:4096
	v_add_co_ci_u32_e64 v14, null, 0, v11, vcc_lo
	v_lshlrev_b64 v[13:14], 2, v[13:14]
	v_sub_co_u32 v13, vcc_lo, s26, v13
	v_sub_co_ci_u32_e64 v14, null, s27, v14, vcc_lo
	s_waitcnt lgkmcnt(0)
	global_store_dword v[13:14], v15, off offset:-4
                                        ; implicit-def: $vgpr13
.LBB1156_186:
	s_andn2_saveexec_b32 s1, s1
	s_cbranch_execz .LBB1156_188
; %bb.187:
	v_lshlrev_b32_e32 v14, 2, v0
	v_lshlrev_b32_e32 v13, 2, v13
	v_readfirstlane_b32 s2, v7
	v_readfirstlane_b32 s3, v8
	ds_read_b32 v14, v14 offset:4096
	s_waitcnt lgkmcnt(0)
	global_store_dword v13, v14, s[2:3]
.LBB1156_188:
	s_or_b32 exec_lo, exec_lo, s1
                                        ; implicit-def: $vgpr13
.LBB1156_189:
	;; [unrolled: 48-line block ×10, first 2 shown]
	s_andn2_saveexec_b32 s0, s0
	s_cbranch_execz .LBB1156_255
; %bb.254:
	v_lshlrev_b32_e32 v14, 2, v0
	v_lshlrev_b32_e32 v13, 2, v13
	v_readfirstlane_b32 s2, v9
	v_readfirstlane_b32 s3, v10
	ds_read_b32 v14, v14 offset:12288
	s_waitcnt lgkmcnt(0)
	global_store_dword v13, v14, s[2:3]
.LBB1156_255:
	s_or_b32 exec_lo, exec_lo, s0
	s_branch .LBB1156_149
.LBB1156_256:
	s_mov_b32 s0, exec_lo
	v_cmpx_gt_u32_e64 s7, v0
	s_cbranch_execz .LBB1156_265
; %bb.257:
	s_mov_b32 s1, exec_lo
	v_cmpx_ge_u32_e64 v0, v1
	s_xor_b32 s1, exec_lo, s1
	s_cbranch_execz .LBB1156_263
; %bb.258:
	s_mov_b32 s2, exec_lo
	v_cmpx_ge_u32_e64 v0, v12
	s_xor_b32 s2, exec_lo, s2
	s_cbranch_execz .LBB1156_260
; %bb.259:
	v_lshlrev_b32_e32 v13, 2, v0
	ds_read_b32 v15, v13
	v_add_co_u32 v13, vcc_lo, v3, v0
	v_add_co_ci_u32_e64 v14, null, 0, v11, vcc_lo
	v_lshlrev_b64 v[13:14], 2, v[13:14]
	v_sub_co_u32 v13, vcc_lo, s26, v13
	v_sub_co_ci_u32_e64 v14, null, s27, v14, vcc_lo
	s_waitcnt lgkmcnt(0)
	global_store_dword v[13:14], v15, off offset:-4
.LBB1156_260:
	s_andn2_saveexec_b32 s2, s2
	s_cbranch_execz .LBB1156_262
; %bb.261:
	v_lshlrev_b32_e32 v13, 2, v0
	v_readfirstlane_b32 s4, v7
	v_readfirstlane_b32 s5, v8
	ds_read_b32 v14, v13
	s_waitcnt lgkmcnt(0)
	global_store_dword v13, v14, s[4:5]
.LBB1156_262:
	s_or_b32 exec_lo, exec_lo, s2
.LBB1156_263:
	s_andn2_saveexec_b32 s1, s1
	s_cbranch_execz .LBB1156_265
; %bb.264:
	v_lshlrev_b32_e32 v13, 2, v0
	v_readfirstlane_b32 s2, v9
	v_readfirstlane_b32 s3, v10
	ds_read_b32 v14, v13
	s_waitcnt lgkmcnt(0)
	global_store_dword v13, v14, s[2:3]
.LBB1156_265:
	s_or_b32 exec_lo, exec_lo, s0
	v_or_b32_e32 v13, 0x100, v0
	s_mov_b32 s0, exec_lo
	v_cmpx_gt_u32_e64 s7, v13
	s_cbranch_execz .LBB1156_274
; %bb.266:
	s_mov_b32 s1, exec_lo
	v_cmpx_ge_u32_e64 v13, v1
	s_xor_b32 s1, exec_lo, s1
	s_cbranch_execz .LBB1156_272
; %bb.267:
	s_mov_b32 s2, exec_lo
	v_cmpx_ge_u32_e64 v13, v12
	s_xor_b32 s2, exec_lo, s2
	s_cbranch_execz .LBB1156_269
; %bb.268:
	v_lshlrev_b32_e32 v13, 2, v0
	ds_read_b32 v15, v13 offset:1024
	v_add_co_u32 v13, vcc_lo, v3, v0
	v_add_co_ci_u32_e64 v14, null, 0, v11, vcc_lo
	v_lshlrev_b64 v[13:14], 2, v[13:14]
	v_sub_co_u32 v13, vcc_lo, s26, v13
	v_sub_co_ci_u32_e64 v14, null, s27, v14, vcc_lo
	s_waitcnt lgkmcnt(0)
	global_store_dword v[13:14], v15, off offset:-1028
.LBB1156_269:
	s_andn2_saveexec_b32 s2, s2
	s_cbranch_execz .LBB1156_271
; %bb.270:
	v_lshlrev_b32_e32 v13, 2, v0
	v_readfirstlane_b32 s4, v7
	v_readfirstlane_b32 s5, v8
	ds_read_b32 v14, v13 offset:1024
	s_waitcnt lgkmcnt(0)
	global_store_dword v13, v14, s[4:5] offset:1024
.LBB1156_271:
	s_or_b32 exec_lo, exec_lo, s2
.LBB1156_272:
	s_andn2_saveexec_b32 s1, s1
	s_cbranch_execz .LBB1156_274
; %bb.273:
	v_lshlrev_b32_e32 v13, 2, v0
	v_readfirstlane_b32 s2, v9
	v_readfirstlane_b32 s3, v10
	ds_read_b32 v14, v13 offset:1024
	s_waitcnt lgkmcnt(0)
	global_store_dword v13, v14, s[2:3] offset:1024
.LBB1156_274:
	s_or_b32 exec_lo, exec_lo, s0
	v_or_b32_e32 v13, 0x200, v0
	s_mov_b32 s0, exec_lo
	v_cmpx_gt_u32_e64 s7, v13
	s_cbranch_execz .LBB1156_283
; %bb.275:
	s_mov_b32 s1, exec_lo
	v_cmpx_ge_u32_e64 v13, v1
	s_xor_b32 s1, exec_lo, s1
	s_cbranch_execz .LBB1156_281
; %bb.276:
	s_mov_b32 s2, exec_lo
	v_cmpx_ge_u32_e64 v13, v12
	s_xor_b32 s2, exec_lo, s2
	s_cbranch_execz .LBB1156_278
; %bb.277:
	v_lshlrev_b32_e32 v15, 2, v0
	v_add_co_u32 v13, vcc_lo, v3, v0
	v_add_co_ci_u32_e64 v14, null, 0, v11, vcc_lo
	ds_read_b32 v15, v15 offset:2048
	v_lshlrev_b64 v[13:14], 2, v[13:14]
	v_sub_co_u32 v13, vcc_lo, s26, v13
	v_sub_co_ci_u32_e64 v14, null, s27, v14, vcc_lo
	v_add_co_u32 v13, vcc_lo, 0xfffff800, v13
	v_add_co_ci_u32_e64 v14, null, -1, v14, vcc_lo
	s_waitcnt lgkmcnt(0)
	global_store_dword v[13:14], v15, off offset:-4
                                        ; implicit-def: $vgpr13
.LBB1156_278:
	s_andn2_saveexec_b32 s2, s2
	s_cbranch_execz .LBB1156_280
; %bb.279:
	v_lshlrev_b32_e32 v14, 2, v0
	v_lshlrev_b32_e32 v13, 2, v13
	v_readfirstlane_b32 s4, v7
	v_readfirstlane_b32 s5, v8
	ds_read_b32 v14, v14 offset:2048
	s_waitcnt lgkmcnt(0)
	global_store_dword v13, v14, s[4:5]
.LBB1156_280:
	s_or_b32 exec_lo, exec_lo, s2
                                        ; implicit-def: $vgpr13
.LBB1156_281:
	s_andn2_saveexec_b32 s1, s1
	s_cbranch_execz .LBB1156_283
; %bb.282:
	v_lshlrev_b32_e32 v14, 2, v0
	v_lshlrev_b32_e32 v13, 2, v13
	v_readfirstlane_b32 s2, v9
	v_readfirstlane_b32 s3, v10
	ds_read_b32 v14, v14 offset:2048
	s_waitcnt lgkmcnt(0)
	global_store_dword v13, v14, s[2:3]
.LBB1156_283:
	s_or_b32 exec_lo, exec_lo, s0
	v_or_b32_e32 v13, 0x300, v0
	s_mov_b32 s0, exec_lo
	v_cmpx_gt_u32_e64 s7, v13
	s_cbranch_execz .LBB1156_292
; %bb.284:
	s_mov_b32 s1, exec_lo
	v_cmpx_ge_u32_e64 v13, v1
	s_xor_b32 s1, exec_lo, s1
	s_cbranch_execz .LBB1156_290
; %bb.285:
	s_mov_b32 s2, exec_lo
	v_cmpx_ge_u32_e64 v13, v12
	s_xor_b32 s2, exec_lo, s2
	s_cbranch_execz .LBB1156_287
; %bb.286:
	v_lshlrev_b32_e32 v14, 2, v0
	v_add_co_u32 v13, vcc_lo, v3, v13
	ds_read_b32 v15, v14 offset:3072
	v_add_co_ci_u32_e64 v14, null, 0, v11, vcc_lo
	v_lshlrev_b64 v[13:14], 2, v[13:14]
	v_sub_co_u32 v13, vcc_lo, s26, v13
	v_sub_co_ci_u32_e64 v14, null, s27, v14, vcc_lo
	s_waitcnt lgkmcnt(0)
	global_store_dword v[13:14], v15, off offset:-4
                                        ; implicit-def: $vgpr13
.LBB1156_287:
	s_andn2_saveexec_b32 s2, s2
	s_cbranch_execz .LBB1156_289
; %bb.288:
	v_lshlrev_b32_e32 v14, 2, v0
	v_lshlrev_b32_e32 v13, 2, v13
	v_readfirstlane_b32 s4, v7
	v_readfirstlane_b32 s5, v8
	ds_read_b32 v14, v14 offset:3072
	s_waitcnt lgkmcnt(0)
	global_store_dword v13, v14, s[4:5]
.LBB1156_289:
	s_or_b32 exec_lo, exec_lo, s2
                                        ; implicit-def: $vgpr13
.LBB1156_290:
	s_andn2_saveexec_b32 s1, s1
	s_cbranch_execz .LBB1156_292
; %bb.291:
	v_lshlrev_b32_e32 v14, 2, v0
	v_lshlrev_b32_e32 v13, 2, v13
	v_readfirstlane_b32 s2, v9
	v_readfirstlane_b32 s3, v10
	ds_read_b32 v14, v14 offset:3072
	s_waitcnt lgkmcnt(0)
	global_store_dword v13, v14, s[2:3]
.LBB1156_292:
	s_or_b32 exec_lo, exec_lo, s0
	v_or_b32_e32 v13, 0x400, v0
	s_mov_b32 s0, exec_lo
	v_cmpx_gt_u32_e64 s7, v13
	s_cbranch_execz .LBB1156_301
; %bb.293:
	s_mov_b32 s1, exec_lo
	v_cmpx_ge_u32_e64 v13, v1
	s_xor_b32 s1, exec_lo, s1
	s_cbranch_execz .LBB1156_299
; %bb.294:
	s_mov_b32 s2, exec_lo
	v_cmpx_ge_u32_e64 v13, v12
	s_xor_b32 s2, exec_lo, s2
	s_cbranch_execz .LBB1156_296
; %bb.295:
	v_lshlrev_b32_e32 v14, 2, v0
	v_add_co_u32 v13, vcc_lo, v3, v13
	ds_read_b32 v15, v14 offset:4096
	v_add_co_ci_u32_e64 v14, null, 0, v11, vcc_lo
	v_lshlrev_b64 v[13:14], 2, v[13:14]
	v_sub_co_u32 v13, vcc_lo, s26, v13
	v_sub_co_ci_u32_e64 v14, null, s27, v14, vcc_lo
	s_waitcnt lgkmcnt(0)
	global_store_dword v[13:14], v15, off offset:-4
                                        ; implicit-def: $vgpr13
.LBB1156_296:
	s_andn2_saveexec_b32 s2, s2
	s_cbranch_execz .LBB1156_298
; %bb.297:
	v_lshlrev_b32_e32 v14, 2, v0
	v_lshlrev_b32_e32 v13, 2, v13
	v_readfirstlane_b32 s4, v7
	v_readfirstlane_b32 s5, v8
	ds_read_b32 v14, v14 offset:4096
	s_waitcnt lgkmcnt(0)
	global_store_dword v13, v14, s[4:5]
.LBB1156_298:
	s_or_b32 exec_lo, exec_lo, s2
                                        ; implicit-def: $vgpr13
.LBB1156_299:
	s_andn2_saveexec_b32 s1, s1
	s_cbranch_execz .LBB1156_301
; %bb.300:
	v_lshlrev_b32_e32 v14, 2, v0
	v_lshlrev_b32_e32 v13, 2, v13
	v_readfirstlane_b32 s2, v9
	v_readfirstlane_b32 s3, v10
	ds_read_b32 v14, v14 offset:4096
	s_waitcnt lgkmcnt(0)
	global_store_dword v13, v14, s[2:3]
.LBB1156_301:
	;; [unrolled: 52-line block ×9, first 2 shown]
	s_or_b32 exec_lo, exec_lo, s0
	v_or_b32_e32 v13, 0xc00, v0
	s_mov_b32 s0, exec_lo
	v_cmpx_gt_u32_e64 s7, v13
	s_cbranch_execz .LBB1156_373
; %bb.365:
	s_mov_b32 s1, exec_lo
	v_cmpx_ge_u32_e64 v13, v1
	s_xor_b32 s1, exec_lo, s1
	s_cbranch_execz .LBB1156_371
; %bb.366:
	s_mov_b32 s2, exec_lo
	v_cmpx_ge_u32_e64 v13, v12
	s_xor_b32 s2, exec_lo, s2
	s_cbranch_execz .LBB1156_368
; %bb.367:
	v_lshlrev_b32_e32 v7, 2, v0
	ds_read_b32 v9, v7 offset:12288
	v_add_co_u32 v7, vcc_lo, v3, v13
	v_add_co_ci_u32_e64 v8, null, 0, v11, vcc_lo
                                        ; implicit-def: $vgpr13
	v_lshlrev_b64 v[7:8], 2, v[7:8]
	v_sub_co_u32 v7, vcc_lo, s26, v7
	v_sub_co_ci_u32_e64 v8, null, s27, v8, vcc_lo
	s_waitcnt lgkmcnt(0)
	global_store_dword v[7:8], v9, off offset:-4
                                        ; implicit-def: $vgpr7_vgpr8
.LBB1156_368:
	s_andn2_saveexec_b32 s2, s2
	s_cbranch_execz .LBB1156_370
; %bb.369:
	v_lshlrev_b32_e32 v3, 2, v0
	v_lshlrev_b32_e32 v9, 2, v13
	v_readfirstlane_b32 s4, v7
	v_readfirstlane_b32 s5, v8
	ds_read_b32 v3, v3 offset:12288
	s_waitcnt lgkmcnt(0)
	global_store_dword v9, v3, s[4:5]
.LBB1156_370:
	s_or_b32 exec_lo, exec_lo, s2
                                        ; implicit-def: $vgpr13
                                        ; implicit-def: $vgpr9_vgpr10
.LBB1156_371:
	s_andn2_saveexec_b32 s1, s1
	s_cbranch_execz .LBB1156_373
; %bb.372:
	v_lshlrev_b32_e32 v3, 2, v0
	v_lshlrev_b32_e32 v7, 2, v13
	v_readfirstlane_b32 s2, v9
	v_readfirstlane_b32 s3, v10
	ds_read_b32 v3, v3 offset:12288
	s_waitcnt lgkmcnt(0)
	global_store_dword v7, v3, s[2:3]
.LBB1156_373:
	s_or_b32 exec_lo, exec_lo, s0
	v_cmp_eq_u32_e32 vcc_lo, 0, v0
	s_and_b32 s0, vcc_lo, s33
	s_and_saveexec_b32 s1, s0
	s_cbranch_execz .LBB1156_150
.LBB1156_374:
	v_add_co_u32 v0, s0, s30, v2
	v_add_co_ci_u32_e64 v3, null, s31, 0, s0
	v_mov_b32_e32 v7, 0
	v_add_co_u32 v2, vcc_lo, v0, v4
	v_add_co_ci_u32_e64 v3, null, 0, v3, vcc_lo
	v_add_co_u32 v0, vcc_lo, v5, v1
	v_add_co_ci_u32_e64 v1, null, 0, v6, vcc_lo
	global_store_dwordx4 v7, v[0:3], s[24:25]
	s_endpgm
.LBB1156_375:
	s_add_i32 s10, s6, 32
	s_mov_b32 s11, 0
	v_add_nc_u32_e32 v6, v4, v2
	s_lshl_b64 s[10:11], s[10:11], 4
	v_add_nc_u32_e32 v5, v3, v1
	s_add_u32 s10, s4, s10
	s_addc_u32 s11, s5, s11
	v_mov_b32_e32 v7, 2
	v_mov_b32_e32 v24, s11
	;; [unrolled: 1-line block ×4, first 2 shown]
	;;#ASMSTART
	global_store_dwordx4 v[23:24], v[5:8] off	
s_waitcnt vmcnt(0)
	;;#ASMEND
	s_or_b32 exec_lo, exec_lo, s8
	s_and_saveexec_b32 s6, s2
	s_cbranch_execz .LBB1156_135
.LBB1156_376:
	v_mov_b32_e32 v5, 0
	ds_write_b128 v5, v[1:4] offset:13312
	s_or_b32 exec_lo, exec_lo, s6
	v_cmp_eq_u32_e32 vcc_lo, 0, v0
	s_and_b32 exec_lo, exec_lo, vcc_lo
	s_cbranch_execnz .LBB1156_136
	s_branch .LBB1156_137
	.section	.rodata,"a",@progbits
	.p2align	6, 0x0
	.amdhsa_kernel _ZN7rocprim17ROCPRIM_400000_NS6detail17trampoline_kernelINS0_13select_configILj256ELj13ELNS0_17block_load_methodE3ELS4_3ELS4_3ELNS0_20block_scan_algorithmE0ELj4294967295EEENS1_25partition_config_selectorILNS1_17partition_subalgoE4EjNS0_10empty_typeEbEEZZNS1_14partition_implILS8_4ELb0ES6_15HIP_vector_typeIjLj2EENS0_17counting_iteratorIjlEEPS9_SG_NS0_5tupleIJPjSI_NS0_16reverse_iteratorISI_EEEEENSH_IJSG_SG_SG_EEES9_SI_JZNS1_25segmented_radix_sort_implINS0_14default_configELb0EPKdPdPKlPlN2at6native12_GLOBAL__N_18offset_tEEE10hipError_tPvRmT1_PNSt15iterator_traitsIS12_E10value_typeET2_T3_PNS13_IS18_E10value_typeET4_jRbjT5_S1E_jjP12ihipStream_tbEUljE_ZNSN_ISO_Lb0ESQ_SR_ST_SU_SY_EESZ_S10_S11_S12_S16_S17_S18_S1B_S1C_jS1D_jS1E_S1E_jjS1G_bEUljE0_EEESZ_S10_S11_S18_S1C_S1E_T6_T7_T9_mT8_S1G_bDpT10_ENKUlT_T0_E_clISt17integral_constantIbLb0EES1U_EEDaS1P_S1Q_EUlS1P_E_NS1_11comp_targetILNS1_3genE8ELNS1_11target_archE1030ELNS1_3gpuE2ELNS1_3repE0EEENS1_30default_config_static_selectorELNS0_4arch9wavefront6targetE0EEEvS12_
		.amdhsa_group_segment_fixed_size 13328
		.amdhsa_private_segment_fixed_size 0
		.amdhsa_kernarg_size 176
		.amdhsa_user_sgpr_count 6
		.amdhsa_user_sgpr_private_segment_buffer 1
		.amdhsa_user_sgpr_dispatch_ptr 0
		.amdhsa_user_sgpr_queue_ptr 0
		.amdhsa_user_sgpr_kernarg_segment_ptr 1
		.amdhsa_user_sgpr_dispatch_id 0
		.amdhsa_user_sgpr_flat_scratch_init 0
		.amdhsa_user_sgpr_private_segment_size 0
		.amdhsa_wavefront_size32 1
		.amdhsa_uses_dynamic_stack 0
		.amdhsa_system_sgpr_private_segment_wavefront_offset 0
		.amdhsa_system_sgpr_workgroup_id_x 1
		.amdhsa_system_sgpr_workgroup_id_y 0
		.amdhsa_system_sgpr_workgroup_id_z 0
		.amdhsa_system_sgpr_workgroup_info 0
		.amdhsa_system_vgpr_workitem_id 0
		.amdhsa_next_free_vgpr 82
		.amdhsa_next_free_sgpr 59
		.amdhsa_reserve_vcc 1
		.amdhsa_reserve_flat_scratch 0
		.amdhsa_float_round_mode_32 0
		.amdhsa_float_round_mode_16_64 0
		.amdhsa_float_denorm_mode_32 3
		.amdhsa_float_denorm_mode_16_64 3
		.amdhsa_dx10_clamp 1
		.amdhsa_ieee_mode 1
		.amdhsa_fp16_overflow 0
		.amdhsa_workgroup_processor_mode 1
		.amdhsa_memory_ordered 1
		.amdhsa_forward_progress 1
		.amdhsa_shared_vgpr_count 0
		.amdhsa_exception_fp_ieee_invalid_op 0
		.amdhsa_exception_fp_denorm_src 0
		.amdhsa_exception_fp_ieee_div_zero 0
		.amdhsa_exception_fp_ieee_overflow 0
		.amdhsa_exception_fp_ieee_underflow 0
		.amdhsa_exception_fp_ieee_inexact 0
		.amdhsa_exception_int_div_zero 0
	.end_amdhsa_kernel
	.section	.text._ZN7rocprim17ROCPRIM_400000_NS6detail17trampoline_kernelINS0_13select_configILj256ELj13ELNS0_17block_load_methodE3ELS4_3ELS4_3ELNS0_20block_scan_algorithmE0ELj4294967295EEENS1_25partition_config_selectorILNS1_17partition_subalgoE4EjNS0_10empty_typeEbEEZZNS1_14partition_implILS8_4ELb0ES6_15HIP_vector_typeIjLj2EENS0_17counting_iteratorIjlEEPS9_SG_NS0_5tupleIJPjSI_NS0_16reverse_iteratorISI_EEEEENSH_IJSG_SG_SG_EEES9_SI_JZNS1_25segmented_radix_sort_implINS0_14default_configELb0EPKdPdPKlPlN2at6native12_GLOBAL__N_18offset_tEEE10hipError_tPvRmT1_PNSt15iterator_traitsIS12_E10value_typeET2_T3_PNS13_IS18_E10value_typeET4_jRbjT5_S1E_jjP12ihipStream_tbEUljE_ZNSN_ISO_Lb0ESQ_SR_ST_SU_SY_EESZ_S10_S11_S12_S16_S17_S18_S1B_S1C_jS1D_jS1E_S1E_jjS1G_bEUljE0_EEESZ_S10_S11_S18_S1C_S1E_T6_T7_T9_mT8_S1G_bDpT10_ENKUlT_T0_E_clISt17integral_constantIbLb0EES1U_EEDaS1P_S1Q_EUlS1P_E_NS1_11comp_targetILNS1_3genE8ELNS1_11target_archE1030ELNS1_3gpuE2ELNS1_3repE0EEENS1_30default_config_static_selectorELNS0_4arch9wavefront6targetE0EEEvS12_,"axG",@progbits,_ZN7rocprim17ROCPRIM_400000_NS6detail17trampoline_kernelINS0_13select_configILj256ELj13ELNS0_17block_load_methodE3ELS4_3ELS4_3ELNS0_20block_scan_algorithmE0ELj4294967295EEENS1_25partition_config_selectorILNS1_17partition_subalgoE4EjNS0_10empty_typeEbEEZZNS1_14partition_implILS8_4ELb0ES6_15HIP_vector_typeIjLj2EENS0_17counting_iteratorIjlEEPS9_SG_NS0_5tupleIJPjSI_NS0_16reverse_iteratorISI_EEEEENSH_IJSG_SG_SG_EEES9_SI_JZNS1_25segmented_radix_sort_implINS0_14default_configELb0EPKdPdPKlPlN2at6native12_GLOBAL__N_18offset_tEEE10hipError_tPvRmT1_PNSt15iterator_traitsIS12_E10value_typeET2_T3_PNS13_IS18_E10value_typeET4_jRbjT5_S1E_jjP12ihipStream_tbEUljE_ZNSN_ISO_Lb0ESQ_SR_ST_SU_SY_EESZ_S10_S11_S12_S16_S17_S18_S1B_S1C_jS1D_jS1E_S1E_jjS1G_bEUljE0_EEESZ_S10_S11_S18_S1C_S1E_T6_T7_T9_mT8_S1G_bDpT10_ENKUlT_T0_E_clISt17integral_constantIbLb0EES1U_EEDaS1P_S1Q_EUlS1P_E_NS1_11comp_targetILNS1_3genE8ELNS1_11target_archE1030ELNS1_3gpuE2ELNS1_3repE0EEENS1_30default_config_static_selectorELNS0_4arch9wavefront6targetE0EEEvS12_,comdat
.Lfunc_end1156:
	.size	_ZN7rocprim17ROCPRIM_400000_NS6detail17trampoline_kernelINS0_13select_configILj256ELj13ELNS0_17block_load_methodE3ELS4_3ELS4_3ELNS0_20block_scan_algorithmE0ELj4294967295EEENS1_25partition_config_selectorILNS1_17partition_subalgoE4EjNS0_10empty_typeEbEEZZNS1_14partition_implILS8_4ELb0ES6_15HIP_vector_typeIjLj2EENS0_17counting_iteratorIjlEEPS9_SG_NS0_5tupleIJPjSI_NS0_16reverse_iteratorISI_EEEEENSH_IJSG_SG_SG_EEES9_SI_JZNS1_25segmented_radix_sort_implINS0_14default_configELb0EPKdPdPKlPlN2at6native12_GLOBAL__N_18offset_tEEE10hipError_tPvRmT1_PNSt15iterator_traitsIS12_E10value_typeET2_T3_PNS13_IS18_E10value_typeET4_jRbjT5_S1E_jjP12ihipStream_tbEUljE_ZNSN_ISO_Lb0ESQ_SR_ST_SU_SY_EESZ_S10_S11_S12_S16_S17_S18_S1B_S1C_jS1D_jS1E_S1E_jjS1G_bEUljE0_EEESZ_S10_S11_S18_S1C_S1E_T6_T7_T9_mT8_S1G_bDpT10_ENKUlT_T0_E_clISt17integral_constantIbLb0EES1U_EEDaS1P_S1Q_EUlS1P_E_NS1_11comp_targetILNS1_3genE8ELNS1_11target_archE1030ELNS1_3gpuE2ELNS1_3repE0EEENS1_30default_config_static_selectorELNS0_4arch9wavefront6targetE0EEEvS12_, .Lfunc_end1156-_ZN7rocprim17ROCPRIM_400000_NS6detail17trampoline_kernelINS0_13select_configILj256ELj13ELNS0_17block_load_methodE3ELS4_3ELS4_3ELNS0_20block_scan_algorithmE0ELj4294967295EEENS1_25partition_config_selectorILNS1_17partition_subalgoE4EjNS0_10empty_typeEbEEZZNS1_14partition_implILS8_4ELb0ES6_15HIP_vector_typeIjLj2EENS0_17counting_iteratorIjlEEPS9_SG_NS0_5tupleIJPjSI_NS0_16reverse_iteratorISI_EEEEENSH_IJSG_SG_SG_EEES9_SI_JZNS1_25segmented_radix_sort_implINS0_14default_configELb0EPKdPdPKlPlN2at6native12_GLOBAL__N_18offset_tEEE10hipError_tPvRmT1_PNSt15iterator_traitsIS12_E10value_typeET2_T3_PNS13_IS18_E10value_typeET4_jRbjT5_S1E_jjP12ihipStream_tbEUljE_ZNSN_ISO_Lb0ESQ_SR_ST_SU_SY_EESZ_S10_S11_S12_S16_S17_S18_S1B_S1C_jS1D_jS1E_S1E_jjS1G_bEUljE0_EEESZ_S10_S11_S18_S1C_S1E_T6_T7_T9_mT8_S1G_bDpT10_ENKUlT_T0_E_clISt17integral_constantIbLb0EES1U_EEDaS1P_S1Q_EUlS1P_E_NS1_11comp_targetILNS1_3genE8ELNS1_11target_archE1030ELNS1_3gpuE2ELNS1_3repE0EEENS1_30default_config_static_selectorELNS0_4arch9wavefront6targetE0EEEvS12_
                                        ; -- End function
	.set _ZN7rocprim17ROCPRIM_400000_NS6detail17trampoline_kernelINS0_13select_configILj256ELj13ELNS0_17block_load_methodE3ELS4_3ELS4_3ELNS0_20block_scan_algorithmE0ELj4294967295EEENS1_25partition_config_selectorILNS1_17partition_subalgoE4EjNS0_10empty_typeEbEEZZNS1_14partition_implILS8_4ELb0ES6_15HIP_vector_typeIjLj2EENS0_17counting_iteratorIjlEEPS9_SG_NS0_5tupleIJPjSI_NS0_16reverse_iteratorISI_EEEEENSH_IJSG_SG_SG_EEES9_SI_JZNS1_25segmented_radix_sort_implINS0_14default_configELb0EPKdPdPKlPlN2at6native12_GLOBAL__N_18offset_tEEE10hipError_tPvRmT1_PNSt15iterator_traitsIS12_E10value_typeET2_T3_PNS13_IS18_E10value_typeET4_jRbjT5_S1E_jjP12ihipStream_tbEUljE_ZNSN_ISO_Lb0ESQ_SR_ST_SU_SY_EESZ_S10_S11_S12_S16_S17_S18_S1B_S1C_jS1D_jS1E_S1E_jjS1G_bEUljE0_EEESZ_S10_S11_S18_S1C_S1E_T6_T7_T9_mT8_S1G_bDpT10_ENKUlT_T0_E_clISt17integral_constantIbLb0EES1U_EEDaS1P_S1Q_EUlS1P_E_NS1_11comp_targetILNS1_3genE8ELNS1_11target_archE1030ELNS1_3gpuE2ELNS1_3repE0EEENS1_30default_config_static_selectorELNS0_4arch9wavefront6targetE0EEEvS12_.num_vgpr, 82
	.set _ZN7rocprim17ROCPRIM_400000_NS6detail17trampoline_kernelINS0_13select_configILj256ELj13ELNS0_17block_load_methodE3ELS4_3ELS4_3ELNS0_20block_scan_algorithmE0ELj4294967295EEENS1_25partition_config_selectorILNS1_17partition_subalgoE4EjNS0_10empty_typeEbEEZZNS1_14partition_implILS8_4ELb0ES6_15HIP_vector_typeIjLj2EENS0_17counting_iteratorIjlEEPS9_SG_NS0_5tupleIJPjSI_NS0_16reverse_iteratorISI_EEEEENSH_IJSG_SG_SG_EEES9_SI_JZNS1_25segmented_radix_sort_implINS0_14default_configELb0EPKdPdPKlPlN2at6native12_GLOBAL__N_18offset_tEEE10hipError_tPvRmT1_PNSt15iterator_traitsIS12_E10value_typeET2_T3_PNS13_IS18_E10value_typeET4_jRbjT5_S1E_jjP12ihipStream_tbEUljE_ZNSN_ISO_Lb0ESQ_SR_ST_SU_SY_EESZ_S10_S11_S12_S16_S17_S18_S1B_S1C_jS1D_jS1E_S1E_jjS1G_bEUljE0_EEESZ_S10_S11_S18_S1C_S1E_T6_T7_T9_mT8_S1G_bDpT10_ENKUlT_T0_E_clISt17integral_constantIbLb0EES1U_EEDaS1P_S1Q_EUlS1P_E_NS1_11comp_targetILNS1_3genE8ELNS1_11target_archE1030ELNS1_3gpuE2ELNS1_3repE0EEENS1_30default_config_static_selectorELNS0_4arch9wavefront6targetE0EEEvS12_.num_agpr, 0
	.set _ZN7rocprim17ROCPRIM_400000_NS6detail17trampoline_kernelINS0_13select_configILj256ELj13ELNS0_17block_load_methodE3ELS4_3ELS4_3ELNS0_20block_scan_algorithmE0ELj4294967295EEENS1_25partition_config_selectorILNS1_17partition_subalgoE4EjNS0_10empty_typeEbEEZZNS1_14partition_implILS8_4ELb0ES6_15HIP_vector_typeIjLj2EENS0_17counting_iteratorIjlEEPS9_SG_NS0_5tupleIJPjSI_NS0_16reverse_iteratorISI_EEEEENSH_IJSG_SG_SG_EEES9_SI_JZNS1_25segmented_radix_sort_implINS0_14default_configELb0EPKdPdPKlPlN2at6native12_GLOBAL__N_18offset_tEEE10hipError_tPvRmT1_PNSt15iterator_traitsIS12_E10value_typeET2_T3_PNS13_IS18_E10value_typeET4_jRbjT5_S1E_jjP12ihipStream_tbEUljE_ZNSN_ISO_Lb0ESQ_SR_ST_SU_SY_EESZ_S10_S11_S12_S16_S17_S18_S1B_S1C_jS1D_jS1E_S1E_jjS1G_bEUljE0_EEESZ_S10_S11_S18_S1C_S1E_T6_T7_T9_mT8_S1G_bDpT10_ENKUlT_T0_E_clISt17integral_constantIbLb0EES1U_EEDaS1P_S1Q_EUlS1P_E_NS1_11comp_targetILNS1_3genE8ELNS1_11target_archE1030ELNS1_3gpuE2ELNS1_3repE0EEENS1_30default_config_static_selectorELNS0_4arch9wavefront6targetE0EEEvS12_.numbered_sgpr, 59
	.set _ZN7rocprim17ROCPRIM_400000_NS6detail17trampoline_kernelINS0_13select_configILj256ELj13ELNS0_17block_load_methodE3ELS4_3ELS4_3ELNS0_20block_scan_algorithmE0ELj4294967295EEENS1_25partition_config_selectorILNS1_17partition_subalgoE4EjNS0_10empty_typeEbEEZZNS1_14partition_implILS8_4ELb0ES6_15HIP_vector_typeIjLj2EENS0_17counting_iteratorIjlEEPS9_SG_NS0_5tupleIJPjSI_NS0_16reverse_iteratorISI_EEEEENSH_IJSG_SG_SG_EEES9_SI_JZNS1_25segmented_radix_sort_implINS0_14default_configELb0EPKdPdPKlPlN2at6native12_GLOBAL__N_18offset_tEEE10hipError_tPvRmT1_PNSt15iterator_traitsIS12_E10value_typeET2_T3_PNS13_IS18_E10value_typeET4_jRbjT5_S1E_jjP12ihipStream_tbEUljE_ZNSN_ISO_Lb0ESQ_SR_ST_SU_SY_EESZ_S10_S11_S12_S16_S17_S18_S1B_S1C_jS1D_jS1E_S1E_jjS1G_bEUljE0_EEESZ_S10_S11_S18_S1C_S1E_T6_T7_T9_mT8_S1G_bDpT10_ENKUlT_T0_E_clISt17integral_constantIbLb0EES1U_EEDaS1P_S1Q_EUlS1P_E_NS1_11comp_targetILNS1_3genE8ELNS1_11target_archE1030ELNS1_3gpuE2ELNS1_3repE0EEENS1_30default_config_static_selectorELNS0_4arch9wavefront6targetE0EEEvS12_.num_named_barrier, 0
	.set _ZN7rocprim17ROCPRIM_400000_NS6detail17trampoline_kernelINS0_13select_configILj256ELj13ELNS0_17block_load_methodE3ELS4_3ELS4_3ELNS0_20block_scan_algorithmE0ELj4294967295EEENS1_25partition_config_selectorILNS1_17partition_subalgoE4EjNS0_10empty_typeEbEEZZNS1_14partition_implILS8_4ELb0ES6_15HIP_vector_typeIjLj2EENS0_17counting_iteratorIjlEEPS9_SG_NS0_5tupleIJPjSI_NS0_16reverse_iteratorISI_EEEEENSH_IJSG_SG_SG_EEES9_SI_JZNS1_25segmented_radix_sort_implINS0_14default_configELb0EPKdPdPKlPlN2at6native12_GLOBAL__N_18offset_tEEE10hipError_tPvRmT1_PNSt15iterator_traitsIS12_E10value_typeET2_T3_PNS13_IS18_E10value_typeET4_jRbjT5_S1E_jjP12ihipStream_tbEUljE_ZNSN_ISO_Lb0ESQ_SR_ST_SU_SY_EESZ_S10_S11_S12_S16_S17_S18_S1B_S1C_jS1D_jS1E_S1E_jjS1G_bEUljE0_EEESZ_S10_S11_S18_S1C_S1E_T6_T7_T9_mT8_S1G_bDpT10_ENKUlT_T0_E_clISt17integral_constantIbLb0EES1U_EEDaS1P_S1Q_EUlS1P_E_NS1_11comp_targetILNS1_3genE8ELNS1_11target_archE1030ELNS1_3gpuE2ELNS1_3repE0EEENS1_30default_config_static_selectorELNS0_4arch9wavefront6targetE0EEEvS12_.private_seg_size, 0
	.set _ZN7rocprim17ROCPRIM_400000_NS6detail17trampoline_kernelINS0_13select_configILj256ELj13ELNS0_17block_load_methodE3ELS4_3ELS4_3ELNS0_20block_scan_algorithmE0ELj4294967295EEENS1_25partition_config_selectorILNS1_17partition_subalgoE4EjNS0_10empty_typeEbEEZZNS1_14partition_implILS8_4ELb0ES6_15HIP_vector_typeIjLj2EENS0_17counting_iteratorIjlEEPS9_SG_NS0_5tupleIJPjSI_NS0_16reverse_iteratorISI_EEEEENSH_IJSG_SG_SG_EEES9_SI_JZNS1_25segmented_radix_sort_implINS0_14default_configELb0EPKdPdPKlPlN2at6native12_GLOBAL__N_18offset_tEEE10hipError_tPvRmT1_PNSt15iterator_traitsIS12_E10value_typeET2_T3_PNS13_IS18_E10value_typeET4_jRbjT5_S1E_jjP12ihipStream_tbEUljE_ZNSN_ISO_Lb0ESQ_SR_ST_SU_SY_EESZ_S10_S11_S12_S16_S17_S18_S1B_S1C_jS1D_jS1E_S1E_jjS1G_bEUljE0_EEESZ_S10_S11_S18_S1C_S1E_T6_T7_T9_mT8_S1G_bDpT10_ENKUlT_T0_E_clISt17integral_constantIbLb0EES1U_EEDaS1P_S1Q_EUlS1P_E_NS1_11comp_targetILNS1_3genE8ELNS1_11target_archE1030ELNS1_3gpuE2ELNS1_3repE0EEENS1_30default_config_static_selectorELNS0_4arch9wavefront6targetE0EEEvS12_.uses_vcc, 1
	.set _ZN7rocprim17ROCPRIM_400000_NS6detail17trampoline_kernelINS0_13select_configILj256ELj13ELNS0_17block_load_methodE3ELS4_3ELS4_3ELNS0_20block_scan_algorithmE0ELj4294967295EEENS1_25partition_config_selectorILNS1_17partition_subalgoE4EjNS0_10empty_typeEbEEZZNS1_14partition_implILS8_4ELb0ES6_15HIP_vector_typeIjLj2EENS0_17counting_iteratorIjlEEPS9_SG_NS0_5tupleIJPjSI_NS0_16reverse_iteratorISI_EEEEENSH_IJSG_SG_SG_EEES9_SI_JZNS1_25segmented_radix_sort_implINS0_14default_configELb0EPKdPdPKlPlN2at6native12_GLOBAL__N_18offset_tEEE10hipError_tPvRmT1_PNSt15iterator_traitsIS12_E10value_typeET2_T3_PNS13_IS18_E10value_typeET4_jRbjT5_S1E_jjP12ihipStream_tbEUljE_ZNSN_ISO_Lb0ESQ_SR_ST_SU_SY_EESZ_S10_S11_S12_S16_S17_S18_S1B_S1C_jS1D_jS1E_S1E_jjS1G_bEUljE0_EEESZ_S10_S11_S18_S1C_S1E_T6_T7_T9_mT8_S1G_bDpT10_ENKUlT_T0_E_clISt17integral_constantIbLb0EES1U_EEDaS1P_S1Q_EUlS1P_E_NS1_11comp_targetILNS1_3genE8ELNS1_11target_archE1030ELNS1_3gpuE2ELNS1_3repE0EEENS1_30default_config_static_selectorELNS0_4arch9wavefront6targetE0EEEvS12_.uses_flat_scratch, 0
	.set _ZN7rocprim17ROCPRIM_400000_NS6detail17trampoline_kernelINS0_13select_configILj256ELj13ELNS0_17block_load_methodE3ELS4_3ELS4_3ELNS0_20block_scan_algorithmE0ELj4294967295EEENS1_25partition_config_selectorILNS1_17partition_subalgoE4EjNS0_10empty_typeEbEEZZNS1_14partition_implILS8_4ELb0ES6_15HIP_vector_typeIjLj2EENS0_17counting_iteratorIjlEEPS9_SG_NS0_5tupleIJPjSI_NS0_16reverse_iteratorISI_EEEEENSH_IJSG_SG_SG_EEES9_SI_JZNS1_25segmented_radix_sort_implINS0_14default_configELb0EPKdPdPKlPlN2at6native12_GLOBAL__N_18offset_tEEE10hipError_tPvRmT1_PNSt15iterator_traitsIS12_E10value_typeET2_T3_PNS13_IS18_E10value_typeET4_jRbjT5_S1E_jjP12ihipStream_tbEUljE_ZNSN_ISO_Lb0ESQ_SR_ST_SU_SY_EESZ_S10_S11_S12_S16_S17_S18_S1B_S1C_jS1D_jS1E_S1E_jjS1G_bEUljE0_EEESZ_S10_S11_S18_S1C_S1E_T6_T7_T9_mT8_S1G_bDpT10_ENKUlT_T0_E_clISt17integral_constantIbLb0EES1U_EEDaS1P_S1Q_EUlS1P_E_NS1_11comp_targetILNS1_3genE8ELNS1_11target_archE1030ELNS1_3gpuE2ELNS1_3repE0EEENS1_30default_config_static_selectorELNS0_4arch9wavefront6targetE0EEEvS12_.has_dyn_sized_stack, 0
	.set _ZN7rocprim17ROCPRIM_400000_NS6detail17trampoline_kernelINS0_13select_configILj256ELj13ELNS0_17block_load_methodE3ELS4_3ELS4_3ELNS0_20block_scan_algorithmE0ELj4294967295EEENS1_25partition_config_selectorILNS1_17partition_subalgoE4EjNS0_10empty_typeEbEEZZNS1_14partition_implILS8_4ELb0ES6_15HIP_vector_typeIjLj2EENS0_17counting_iteratorIjlEEPS9_SG_NS0_5tupleIJPjSI_NS0_16reverse_iteratorISI_EEEEENSH_IJSG_SG_SG_EEES9_SI_JZNS1_25segmented_radix_sort_implINS0_14default_configELb0EPKdPdPKlPlN2at6native12_GLOBAL__N_18offset_tEEE10hipError_tPvRmT1_PNSt15iterator_traitsIS12_E10value_typeET2_T3_PNS13_IS18_E10value_typeET4_jRbjT5_S1E_jjP12ihipStream_tbEUljE_ZNSN_ISO_Lb0ESQ_SR_ST_SU_SY_EESZ_S10_S11_S12_S16_S17_S18_S1B_S1C_jS1D_jS1E_S1E_jjS1G_bEUljE0_EEESZ_S10_S11_S18_S1C_S1E_T6_T7_T9_mT8_S1G_bDpT10_ENKUlT_T0_E_clISt17integral_constantIbLb0EES1U_EEDaS1P_S1Q_EUlS1P_E_NS1_11comp_targetILNS1_3genE8ELNS1_11target_archE1030ELNS1_3gpuE2ELNS1_3repE0EEENS1_30default_config_static_selectorELNS0_4arch9wavefront6targetE0EEEvS12_.has_recursion, 0
	.set _ZN7rocprim17ROCPRIM_400000_NS6detail17trampoline_kernelINS0_13select_configILj256ELj13ELNS0_17block_load_methodE3ELS4_3ELS4_3ELNS0_20block_scan_algorithmE0ELj4294967295EEENS1_25partition_config_selectorILNS1_17partition_subalgoE4EjNS0_10empty_typeEbEEZZNS1_14partition_implILS8_4ELb0ES6_15HIP_vector_typeIjLj2EENS0_17counting_iteratorIjlEEPS9_SG_NS0_5tupleIJPjSI_NS0_16reverse_iteratorISI_EEEEENSH_IJSG_SG_SG_EEES9_SI_JZNS1_25segmented_radix_sort_implINS0_14default_configELb0EPKdPdPKlPlN2at6native12_GLOBAL__N_18offset_tEEE10hipError_tPvRmT1_PNSt15iterator_traitsIS12_E10value_typeET2_T3_PNS13_IS18_E10value_typeET4_jRbjT5_S1E_jjP12ihipStream_tbEUljE_ZNSN_ISO_Lb0ESQ_SR_ST_SU_SY_EESZ_S10_S11_S12_S16_S17_S18_S1B_S1C_jS1D_jS1E_S1E_jjS1G_bEUljE0_EEESZ_S10_S11_S18_S1C_S1E_T6_T7_T9_mT8_S1G_bDpT10_ENKUlT_T0_E_clISt17integral_constantIbLb0EES1U_EEDaS1P_S1Q_EUlS1P_E_NS1_11comp_targetILNS1_3genE8ELNS1_11target_archE1030ELNS1_3gpuE2ELNS1_3repE0EEENS1_30default_config_static_selectorELNS0_4arch9wavefront6targetE0EEEvS12_.has_indirect_call, 0
	.section	.AMDGPU.csdata,"",@progbits
; Kernel info:
; codeLenInByte = 16236
; TotalNumSgprs: 61
; NumVgprs: 82
; ScratchSize: 0
; MemoryBound: 0
; FloatMode: 240
; IeeeMode: 1
; LDSByteSize: 13328 bytes/workgroup (compile time only)
; SGPRBlocks: 0
; VGPRBlocks: 10
; NumSGPRsForWavesPerEU: 61
; NumVGPRsForWavesPerEU: 82
; Occupancy: 10
; WaveLimiterHint : 1
; COMPUTE_PGM_RSRC2:SCRATCH_EN: 0
; COMPUTE_PGM_RSRC2:USER_SGPR: 6
; COMPUTE_PGM_RSRC2:TRAP_HANDLER: 0
; COMPUTE_PGM_RSRC2:TGID_X_EN: 1
; COMPUTE_PGM_RSRC2:TGID_Y_EN: 0
; COMPUTE_PGM_RSRC2:TGID_Z_EN: 0
; COMPUTE_PGM_RSRC2:TIDIG_COMP_CNT: 0
	.section	.text._ZN7rocprim17ROCPRIM_400000_NS6detail17trampoline_kernelINS0_13select_configILj256ELj13ELNS0_17block_load_methodE3ELS4_3ELS4_3ELNS0_20block_scan_algorithmE0ELj4294967295EEENS1_25partition_config_selectorILNS1_17partition_subalgoE4EjNS0_10empty_typeEbEEZZNS1_14partition_implILS8_4ELb0ES6_15HIP_vector_typeIjLj2EENS0_17counting_iteratorIjlEEPS9_SG_NS0_5tupleIJPjSI_NS0_16reverse_iteratorISI_EEEEENSH_IJSG_SG_SG_EEES9_SI_JZNS1_25segmented_radix_sort_implINS0_14default_configELb0EPKdPdPKlPlN2at6native12_GLOBAL__N_18offset_tEEE10hipError_tPvRmT1_PNSt15iterator_traitsIS12_E10value_typeET2_T3_PNS13_IS18_E10value_typeET4_jRbjT5_S1E_jjP12ihipStream_tbEUljE_ZNSN_ISO_Lb0ESQ_SR_ST_SU_SY_EESZ_S10_S11_S12_S16_S17_S18_S1B_S1C_jS1D_jS1E_S1E_jjS1G_bEUljE0_EEESZ_S10_S11_S18_S1C_S1E_T6_T7_T9_mT8_S1G_bDpT10_ENKUlT_T0_E_clISt17integral_constantIbLb1EES1U_EEDaS1P_S1Q_EUlS1P_E_NS1_11comp_targetILNS1_3genE0ELNS1_11target_archE4294967295ELNS1_3gpuE0ELNS1_3repE0EEENS1_30default_config_static_selectorELNS0_4arch9wavefront6targetE0EEEvS12_,"axG",@progbits,_ZN7rocprim17ROCPRIM_400000_NS6detail17trampoline_kernelINS0_13select_configILj256ELj13ELNS0_17block_load_methodE3ELS4_3ELS4_3ELNS0_20block_scan_algorithmE0ELj4294967295EEENS1_25partition_config_selectorILNS1_17partition_subalgoE4EjNS0_10empty_typeEbEEZZNS1_14partition_implILS8_4ELb0ES6_15HIP_vector_typeIjLj2EENS0_17counting_iteratorIjlEEPS9_SG_NS0_5tupleIJPjSI_NS0_16reverse_iteratorISI_EEEEENSH_IJSG_SG_SG_EEES9_SI_JZNS1_25segmented_radix_sort_implINS0_14default_configELb0EPKdPdPKlPlN2at6native12_GLOBAL__N_18offset_tEEE10hipError_tPvRmT1_PNSt15iterator_traitsIS12_E10value_typeET2_T3_PNS13_IS18_E10value_typeET4_jRbjT5_S1E_jjP12ihipStream_tbEUljE_ZNSN_ISO_Lb0ESQ_SR_ST_SU_SY_EESZ_S10_S11_S12_S16_S17_S18_S1B_S1C_jS1D_jS1E_S1E_jjS1G_bEUljE0_EEESZ_S10_S11_S18_S1C_S1E_T6_T7_T9_mT8_S1G_bDpT10_ENKUlT_T0_E_clISt17integral_constantIbLb1EES1U_EEDaS1P_S1Q_EUlS1P_E_NS1_11comp_targetILNS1_3genE0ELNS1_11target_archE4294967295ELNS1_3gpuE0ELNS1_3repE0EEENS1_30default_config_static_selectorELNS0_4arch9wavefront6targetE0EEEvS12_,comdat
	.globl	_ZN7rocprim17ROCPRIM_400000_NS6detail17trampoline_kernelINS0_13select_configILj256ELj13ELNS0_17block_load_methodE3ELS4_3ELS4_3ELNS0_20block_scan_algorithmE0ELj4294967295EEENS1_25partition_config_selectorILNS1_17partition_subalgoE4EjNS0_10empty_typeEbEEZZNS1_14partition_implILS8_4ELb0ES6_15HIP_vector_typeIjLj2EENS0_17counting_iteratorIjlEEPS9_SG_NS0_5tupleIJPjSI_NS0_16reverse_iteratorISI_EEEEENSH_IJSG_SG_SG_EEES9_SI_JZNS1_25segmented_radix_sort_implINS0_14default_configELb0EPKdPdPKlPlN2at6native12_GLOBAL__N_18offset_tEEE10hipError_tPvRmT1_PNSt15iterator_traitsIS12_E10value_typeET2_T3_PNS13_IS18_E10value_typeET4_jRbjT5_S1E_jjP12ihipStream_tbEUljE_ZNSN_ISO_Lb0ESQ_SR_ST_SU_SY_EESZ_S10_S11_S12_S16_S17_S18_S1B_S1C_jS1D_jS1E_S1E_jjS1G_bEUljE0_EEESZ_S10_S11_S18_S1C_S1E_T6_T7_T9_mT8_S1G_bDpT10_ENKUlT_T0_E_clISt17integral_constantIbLb1EES1U_EEDaS1P_S1Q_EUlS1P_E_NS1_11comp_targetILNS1_3genE0ELNS1_11target_archE4294967295ELNS1_3gpuE0ELNS1_3repE0EEENS1_30default_config_static_selectorELNS0_4arch9wavefront6targetE0EEEvS12_ ; -- Begin function _ZN7rocprim17ROCPRIM_400000_NS6detail17trampoline_kernelINS0_13select_configILj256ELj13ELNS0_17block_load_methodE3ELS4_3ELS4_3ELNS0_20block_scan_algorithmE0ELj4294967295EEENS1_25partition_config_selectorILNS1_17partition_subalgoE4EjNS0_10empty_typeEbEEZZNS1_14partition_implILS8_4ELb0ES6_15HIP_vector_typeIjLj2EENS0_17counting_iteratorIjlEEPS9_SG_NS0_5tupleIJPjSI_NS0_16reverse_iteratorISI_EEEEENSH_IJSG_SG_SG_EEES9_SI_JZNS1_25segmented_radix_sort_implINS0_14default_configELb0EPKdPdPKlPlN2at6native12_GLOBAL__N_18offset_tEEE10hipError_tPvRmT1_PNSt15iterator_traitsIS12_E10value_typeET2_T3_PNS13_IS18_E10value_typeET4_jRbjT5_S1E_jjP12ihipStream_tbEUljE_ZNSN_ISO_Lb0ESQ_SR_ST_SU_SY_EESZ_S10_S11_S12_S16_S17_S18_S1B_S1C_jS1D_jS1E_S1E_jjS1G_bEUljE0_EEESZ_S10_S11_S18_S1C_S1E_T6_T7_T9_mT8_S1G_bDpT10_ENKUlT_T0_E_clISt17integral_constantIbLb1EES1U_EEDaS1P_S1Q_EUlS1P_E_NS1_11comp_targetILNS1_3genE0ELNS1_11target_archE4294967295ELNS1_3gpuE0ELNS1_3repE0EEENS1_30default_config_static_selectorELNS0_4arch9wavefront6targetE0EEEvS12_
	.p2align	8
	.type	_ZN7rocprim17ROCPRIM_400000_NS6detail17trampoline_kernelINS0_13select_configILj256ELj13ELNS0_17block_load_methodE3ELS4_3ELS4_3ELNS0_20block_scan_algorithmE0ELj4294967295EEENS1_25partition_config_selectorILNS1_17partition_subalgoE4EjNS0_10empty_typeEbEEZZNS1_14partition_implILS8_4ELb0ES6_15HIP_vector_typeIjLj2EENS0_17counting_iteratorIjlEEPS9_SG_NS0_5tupleIJPjSI_NS0_16reverse_iteratorISI_EEEEENSH_IJSG_SG_SG_EEES9_SI_JZNS1_25segmented_radix_sort_implINS0_14default_configELb0EPKdPdPKlPlN2at6native12_GLOBAL__N_18offset_tEEE10hipError_tPvRmT1_PNSt15iterator_traitsIS12_E10value_typeET2_T3_PNS13_IS18_E10value_typeET4_jRbjT5_S1E_jjP12ihipStream_tbEUljE_ZNSN_ISO_Lb0ESQ_SR_ST_SU_SY_EESZ_S10_S11_S12_S16_S17_S18_S1B_S1C_jS1D_jS1E_S1E_jjS1G_bEUljE0_EEESZ_S10_S11_S18_S1C_S1E_T6_T7_T9_mT8_S1G_bDpT10_ENKUlT_T0_E_clISt17integral_constantIbLb1EES1U_EEDaS1P_S1Q_EUlS1P_E_NS1_11comp_targetILNS1_3genE0ELNS1_11target_archE4294967295ELNS1_3gpuE0ELNS1_3repE0EEENS1_30default_config_static_selectorELNS0_4arch9wavefront6targetE0EEEvS12_,@function
_ZN7rocprim17ROCPRIM_400000_NS6detail17trampoline_kernelINS0_13select_configILj256ELj13ELNS0_17block_load_methodE3ELS4_3ELS4_3ELNS0_20block_scan_algorithmE0ELj4294967295EEENS1_25partition_config_selectorILNS1_17partition_subalgoE4EjNS0_10empty_typeEbEEZZNS1_14partition_implILS8_4ELb0ES6_15HIP_vector_typeIjLj2EENS0_17counting_iteratorIjlEEPS9_SG_NS0_5tupleIJPjSI_NS0_16reverse_iteratorISI_EEEEENSH_IJSG_SG_SG_EEES9_SI_JZNS1_25segmented_radix_sort_implINS0_14default_configELb0EPKdPdPKlPlN2at6native12_GLOBAL__N_18offset_tEEE10hipError_tPvRmT1_PNSt15iterator_traitsIS12_E10value_typeET2_T3_PNS13_IS18_E10value_typeET4_jRbjT5_S1E_jjP12ihipStream_tbEUljE_ZNSN_ISO_Lb0ESQ_SR_ST_SU_SY_EESZ_S10_S11_S12_S16_S17_S18_S1B_S1C_jS1D_jS1E_S1E_jjS1G_bEUljE0_EEESZ_S10_S11_S18_S1C_S1E_T6_T7_T9_mT8_S1G_bDpT10_ENKUlT_T0_E_clISt17integral_constantIbLb1EES1U_EEDaS1P_S1Q_EUlS1P_E_NS1_11comp_targetILNS1_3genE0ELNS1_11target_archE4294967295ELNS1_3gpuE0ELNS1_3repE0EEENS1_30default_config_static_selectorELNS0_4arch9wavefront6targetE0EEEvS12_: ; @_ZN7rocprim17ROCPRIM_400000_NS6detail17trampoline_kernelINS0_13select_configILj256ELj13ELNS0_17block_load_methodE3ELS4_3ELS4_3ELNS0_20block_scan_algorithmE0ELj4294967295EEENS1_25partition_config_selectorILNS1_17partition_subalgoE4EjNS0_10empty_typeEbEEZZNS1_14partition_implILS8_4ELb0ES6_15HIP_vector_typeIjLj2EENS0_17counting_iteratorIjlEEPS9_SG_NS0_5tupleIJPjSI_NS0_16reverse_iteratorISI_EEEEENSH_IJSG_SG_SG_EEES9_SI_JZNS1_25segmented_radix_sort_implINS0_14default_configELb0EPKdPdPKlPlN2at6native12_GLOBAL__N_18offset_tEEE10hipError_tPvRmT1_PNSt15iterator_traitsIS12_E10value_typeET2_T3_PNS13_IS18_E10value_typeET4_jRbjT5_S1E_jjP12ihipStream_tbEUljE_ZNSN_ISO_Lb0ESQ_SR_ST_SU_SY_EESZ_S10_S11_S12_S16_S17_S18_S1B_S1C_jS1D_jS1E_S1E_jjS1G_bEUljE0_EEESZ_S10_S11_S18_S1C_S1E_T6_T7_T9_mT8_S1G_bDpT10_ENKUlT_T0_E_clISt17integral_constantIbLb1EES1U_EEDaS1P_S1Q_EUlS1P_E_NS1_11comp_targetILNS1_3genE0ELNS1_11target_archE4294967295ELNS1_3gpuE0ELNS1_3repE0EEENS1_30default_config_static_selectorELNS0_4arch9wavefront6targetE0EEEvS12_
; %bb.0:
	.section	.rodata,"a",@progbits
	.p2align	6, 0x0
	.amdhsa_kernel _ZN7rocprim17ROCPRIM_400000_NS6detail17trampoline_kernelINS0_13select_configILj256ELj13ELNS0_17block_load_methodE3ELS4_3ELS4_3ELNS0_20block_scan_algorithmE0ELj4294967295EEENS1_25partition_config_selectorILNS1_17partition_subalgoE4EjNS0_10empty_typeEbEEZZNS1_14partition_implILS8_4ELb0ES6_15HIP_vector_typeIjLj2EENS0_17counting_iteratorIjlEEPS9_SG_NS0_5tupleIJPjSI_NS0_16reverse_iteratorISI_EEEEENSH_IJSG_SG_SG_EEES9_SI_JZNS1_25segmented_radix_sort_implINS0_14default_configELb0EPKdPdPKlPlN2at6native12_GLOBAL__N_18offset_tEEE10hipError_tPvRmT1_PNSt15iterator_traitsIS12_E10value_typeET2_T3_PNS13_IS18_E10value_typeET4_jRbjT5_S1E_jjP12ihipStream_tbEUljE_ZNSN_ISO_Lb0ESQ_SR_ST_SU_SY_EESZ_S10_S11_S12_S16_S17_S18_S1B_S1C_jS1D_jS1E_S1E_jjS1G_bEUljE0_EEESZ_S10_S11_S18_S1C_S1E_T6_T7_T9_mT8_S1G_bDpT10_ENKUlT_T0_E_clISt17integral_constantIbLb1EES1U_EEDaS1P_S1Q_EUlS1P_E_NS1_11comp_targetILNS1_3genE0ELNS1_11target_archE4294967295ELNS1_3gpuE0ELNS1_3repE0EEENS1_30default_config_static_selectorELNS0_4arch9wavefront6targetE0EEEvS12_
		.amdhsa_group_segment_fixed_size 0
		.amdhsa_private_segment_fixed_size 0
		.amdhsa_kernarg_size 184
		.amdhsa_user_sgpr_count 6
		.amdhsa_user_sgpr_private_segment_buffer 1
		.amdhsa_user_sgpr_dispatch_ptr 0
		.amdhsa_user_sgpr_queue_ptr 0
		.amdhsa_user_sgpr_kernarg_segment_ptr 1
		.amdhsa_user_sgpr_dispatch_id 0
		.amdhsa_user_sgpr_flat_scratch_init 0
		.amdhsa_user_sgpr_private_segment_size 0
		.amdhsa_wavefront_size32 1
		.amdhsa_uses_dynamic_stack 0
		.amdhsa_system_sgpr_private_segment_wavefront_offset 0
		.amdhsa_system_sgpr_workgroup_id_x 1
		.amdhsa_system_sgpr_workgroup_id_y 0
		.amdhsa_system_sgpr_workgroup_id_z 0
		.amdhsa_system_sgpr_workgroup_info 0
		.amdhsa_system_vgpr_workitem_id 0
		.amdhsa_next_free_vgpr 1
		.amdhsa_next_free_sgpr 1
		.amdhsa_reserve_vcc 0
		.amdhsa_reserve_flat_scratch 0
		.amdhsa_float_round_mode_32 0
		.amdhsa_float_round_mode_16_64 0
		.amdhsa_float_denorm_mode_32 3
		.amdhsa_float_denorm_mode_16_64 3
		.amdhsa_dx10_clamp 1
		.amdhsa_ieee_mode 1
		.amdhsa_fp16_overflow 0
		.amdhsa_workgroup_processor_mode 1
		.amdhsa_memory_ordered 1
		.amdhsa_forward_progress 1
		.amdhsa_shared_vgpr_count 0
		.amdhsa_exception_fp_ieee_invalid_op 0
		.amdhsa_exception_fp_denorm_src 0
		.amdhsa_exception_fp_ieee_div_zero 0
		.amdhsa_exception_fp_ieee_overflow 0
		.amdhsa_exception_fp_ieee_underflow 0
		.amdhsa_exception_fp_ieee_inexact 0
		.amdhsa_exception_int_div_zero 0
	.end_amdhsa_kernel
	.section	.text._ZN7rocprim17ROCPRIM_400000_NS6detail17trampoline_kernelINS0_13select_configILj256ELj13ELNS0_17block_load_methodE3ELS4_3ELS4_3ELNS0_20block_scan_algorithmE0ELj4294967295EEENS1_25partition_config_selectorILNS1_17partition_subalgoE4EjNS0_10empty_typeEbEEZZNS1_14partition_implILS8_4ELb0ES6_15HIP_vector_typeIjLj2EENS0_17counting_iteratorIjlEEPS9_SG_NS0_5tupleIJPjSI_NS0_16reverse_iteratorISI_EEEEENSH_IJSG_SG_SG_EEES9_SI_JZNS1_25segmented_radix_sort_implINS0_14default_configELb0EPKdPdPKlPlN2at6native12_GLOBAL__N_18offset_tEEE10hipError_tPvRmT1_PNSt15iterator_traitsIS12_E10value_typeET2_T3_PNS13_IS18_E10value_typeET4_jRbjT5_S1E_jjP12ihipStream_tbEUljE_ZNSN_ISO_Lb0ESQ_SR_ST_SU_SY_EESZ_S10_S11_S12_S16_S17_S18_S1B_S1C_jS1D_jS1E_S1E_jjS1G_bEUljE0_EEESZ_S10_S11_S18_S1C_S1E_T6_T7_T9_mT8_S1G_bDpT10_ENKUlT_T0_E_clISt17integral_constantIbLb1EES1U_EEDaS1P_S1Q_EUlS1P_E_NS1_11comp_targetILNS1_3genE0ELNS1_11target_archE4294967295ELNS1_3gpuE0ELNS1_3repE0EEENS1_30default_config_static_selectorELNS0_4arch9wavefront6targetE0EEEvS12_,"axG",@progbits,_ZN7rocprim17ROCPRIM_400000_NS6detail17trampoline_kernelINS0_13select_configILj256ELj13ELNS0_17block_load_methodE3ELS4_3ELS4_3ELNS0_20block_scan_algorithmE0ELj4294967295EEENS1_25partition_config_selectorILNS1_17partition_subalgoE4EjNS0_10empty_typeEbEEZZNS1_14partition_implILS8_4ELb0ES6_15HIP_vector_typeIjLj2EENS0_17counting_iteratorIjlEEPS9_SG_NS0_5tupleIJPjSI_NS0_16reverse_iteratorISI_EEEEENSH_IJSG_SG_SG_EEES9_SI_JZNS1_25segmented_radix_sort_implINS0_14default_configELb0EPKdPdPKlPlN2at6native12_GLOBAL__N_18offset_tEEE10hipError_tPvRmT1_PNSt15iterator_traitsIS12_E10value_typeET2_T3_PNS13_IS18_E10value_typeET4_jRbjT5_S1E_jjP12ihipStream_tbEUljE_ZNSN_ISO_Lb0ESQ_SR_ST_SU_SY_EESZ_S10_S11_S12_S16_S17_S18_S1B_S1C_jS1D_jS1E_S1E_jjS1G_bEUljE0_EEESZ_S10_S11_S18_S1C_S1E_T6_T7_T9_mT8_S1G_bDpT10_ENKUlT_T0_E_clISt17integral_constantIbLb1EES1U_EEDaS1P_S1Q_EUlS1P_E_NS1_11comp_targetILNS1_3genE0ELNS1_11target_archE4294967295ELNS1_3gpuE0ELNS1_3repE0EEENS1_30default_config_static_selectorELNS0_4arch9wavefront6targetE0EEEvS12_,comdat
.Lfunc_end1157:
	.size	_ZN7rocprim17ROCPRIM_400000_NS6detail17trampoline_kernelINS0_13select_configILj256ELj13ELNS0_17block_load_methodE3ELS4_3ELS4_3ELNS0_20block_scan_algorithmE0ELj4294967295EEENS1_25partition_config_selectorILNS1_17partition_subalgoE4EjNS0_10empty_typeEbEEZZNS1_14partition_implILS8_4ELb0ES6_15HIP_vector_typeIjLj2EENS0_17counting_iteratorIjlEEPS9_SG_NS0_5tupleIJPjSI_NS0_16reverse_iteratorISI_EEEEENSH_IJSG_SG_SG_EEES9_SI_JZNS1_25segmented_radix_sort_implINS0_14default_configELb0EPKdPdPKlPlN2at6native12_GLOBAL__N_18offset_tEEE10hipError_tPvRmT1_PNSt15iterator_traitsIS12_E10value_typeET2_T3_PNS13_IS18_E10value_typeET4_jRbjT5_S1E_jjP12ihipStream_tbEUljE_ZNSN_ISO_Lb0ESQ_SR_ST_SU_SY_EESZ_S10_S11_S12_S16_S17_S18_S1B_S1C_jS1D_jS1E_S1E_jjS1G_bEUljE0_EEESZ_S10_S11_S18_S1C_S1E_T6_T7_T9_mT8_S1G_bDpT10_ENKUlT_T0_E_clISt17integral_constantIbLb1EES1U_EEDaS1P_S1Q_EUlS1P_E_NS1_11comp_targetILNS1_3genE0ELNS1_11target_archE4294967295ELNS1_3gpuE0ELNS1_3repE0EEENS1_30default_config_static_selectorELNS0_4arch9wavefront6targetE0EEEvS12_, .Lfunc_end1157-_ZN7rocprim17ROCPRIM_400000_NS6detail17trampoline_kernelINS0_13select_configILj256ELj13ELNS0_17block_load_methodE3ELS4_3ELS4_3ELNS0_20block_scan_algorithmE0ELj4294967295EEENS1_25partition_config_selectorILNS1_17partition_subalgoE4EjNS0_10empty_typeEbEEZZNS1_14partition_implILS8_4ELb0ES6_15HIP_vector_typeIjLj2EENS0_17counting_iteratorIjlEEPS9_SG_NS0_5tupleIJPjSI_NS0_16reverse_iteratorISI_EEEEENSH_IJSG_SG_SG_EEES9_SI_JZNS1_25segmented_radix_sort_implINS0_14default_configELb0EPKdPdPKlPlN2at6native12_GLOBAL__N_18offset_tEEE10hipError_tPvRmT1_PNSt15iterator_traitsIS12_E10value_typeET2_T3_PNS13_IS18_E10value_typeET4_jRbjT5_S1E_jjP12ihipStream_tbEUljE_ZNSN_ISO_Lb0ESQ_SR_ST_SU_SY_EESZ_S10_S11_S12_S16_S17_S18_S1B_S1C_jS1D_jS1E_S1E_jjS1G_bEUljE0_EEESZ_S10_S11_S18_S1C_S1E_T6_T7_T9_mT8_S1G_bDpT10_ENKUlT_T0_E_clISt17integral_constantIbLb1EES1U_EEDaS1P_S1Q_EUlS1P_E_NS1_11comp_targetILNS1_3genE0ELNS1_11target_archE4294967295ELNS1_3gpuE0ELNS1_3repE0EEENS1_30default_config_static_selectorELNS0_4arch9wavefront6targetE0EEEvS12_
                                        ; -- End function
	.set _ZN7rocprim17ROCPRIM_400000_NS6detail17trampoline_kernelINS0_13select_configILj256ELj13ELNS0_17block_load_methodE3ELS4_3ELS4_3ELNS0_20block_scan_algorithmE0ELj4294967295EEENS1_25partition_config_selectorILNS1_17partition_subalgoE4EjNS0_10empty_typeEbEEZZNS1_14partition_implILS8_4ELb0ES6_15HIP_vector_typeIjLj2EENS0_17counting_iteratorIjlEEPS9_SG_NS0_5tupleIJPjSI_NS0_16reverse_iteratorISI_EEEEENSH_IJSG_SG_SG_EEES9_SI_JZNS1_25segmented_radix_sort_implINS0_14default_configELb0EPKdPdPKlPlN2at6native12_GLOBAL__N_18offset_tEEE10hipError_tPvRmT1_PNSt15iterator_traitsIS12_E10value_typeET2_T3_PNS13_IS18_E10value_typeET4_jRbjT5_S1E_jjP12ihipStream_tbEUljE_ZNSN_ISO_Lb0ESQ_SR_ST_SU_SY_EESZ_S10_S11_S12_S16_S17_S18_S1B_S1C_jS1D_jS1E_S1E_jjS1G_bEUljE0_EEESZ_S10_S11_S18_S1C_S1E_T6_T7_T9_mT8_S1G_bDpT10_ENKUlT_T0_E_clISt17integral_constantIbLb1EES1U_EEDaS1P_S1Q_EUlS1P_E_NS1_11comp_targetILNS1_3genE0ELNS1_11target_archE4294967295ELNS1_3gpuE0ELNS1_3repE0EEENS1_30default_config_static_selectorELNS0_4arch9wavefront6targetE0EEEvS12_.num_vgpr, 0
	.set _ZN7rocprim17ROCPRIM_400000_NS6detail17trampoline_kernelINS0_13select_configILj256ELj13ELNS0_17block_load_methodE3ELS4_3ELS4_3ELNS0_20block_scan_algorithmE0ELj4294967295EEENS1_25partition_config_selectorILNS1_17partition_subalgoE4EjNS0_10empty_typeEbEEZZNS1_14partition_implILS8_4ELb0ES6_15HIP_vector_typeIjLj2EENS0_17counting_iteratorIjlEEPS9_SG_NS0_5tupleIJPjSI_NS0_16reverse_iteratorISI_EEEEENSH_IJSG_SG_SG_EEES9_SI_JZNS1_25segmented_radix_sort_implINS0_14default_configELb0EPKdPdPKlPlN2at6native12_GLOBAL__N_18offset_tEEE10hipError_tPvRmT1_PNSt15iterator_traitsIS12_E10value_typeET2_T3_PNS13_IS18_E10value_typeET4_jRbjT5_S1E_jjP12ihipStream_tbEUljE_ZNSN_ISO_Lb0ESQ_SR_ST_SU_SY_EESZ_S10_S11_S12_S16_S17_S18_S1B_S1C_jS1D_jS1E_S1E_jjS1G_bEUljE0_EEESZ_S10_S11_S18_S1C_S1E_T6_T7_T9_mT8_S1G_bDpT10_ENKUlT_T0_E_clISt17integral_constantIbLb1EES1U_EEDaS1P_S1Q_EUlS1P_E_NS1_11comp_targetILNS1_3genE0ELNS1_11target_archE4294967295ELNS1_3gpuE0ELNS1_3repE0EEENS1_30default_config_static_selectorELNS0_4arch9wavefront6targetE0EEEvS12_.num_agpr, 0
	.set _ZN7rocprim17ROCPRIM_400000_NS6detail17trampoline_kernelINS0_13select_configILj256ELj13ELNS0_17block_load_methodE3ELS4_3ELS4_3ELNS0_20block_scan_algorithmE0ELj4294967295EEENS1_25partition_config_selectorILNS1_17partition_subalgoE4EjNS0_10empty_typeEbEEZZNS1_14partition_implILS8_4ELb0ES6_15HIP_vector_typeIjLj2EENS0_17counting_iteratorIjlEEPS9_SG_NS0_5tupleIJPjSI_NS0_16reverse_iteratorISI_EEEEENSH_IJSG_SG_SG_EEES9_SI_JZNS1_25segmented_radix_sort_implINS0_14default_configELb0EPKdPdPKlPlN2at6native12_GLOBAL__N_18offset_tEEE10hipError_tPvRmT1_PNSt15iterator_traitsIS12_E10value_typeET2_T3_PNS13_IS18_E10value_typeET4_jRbjT5_S1E_jjP12ihipStream_tbEUljE_ZNSN_ISO_Lb0ESQ_SR_ST_SU_SY_EESZ_S10_S11_S12_S16_S17_S18_S1B_S1C_jS1D_jS1E_S1E_jjS1G_bEUljE0_EEESZ_S10_S11_S18_S1C_S1E_T6_T7_T9_mT8_S1G_bDpT10_ENKUlT_T0_E_clISt17integral_constantIbLb1EES1U_EEDaS1P_S1Q_EUlS1P_E_NS1_11comp_targetILNS1_3genE0ELNS1_11target_archE4294967295ELNS1_3gpuE0ELNS1_3repE0EEENS1_30default_config_static_selectorELNS0_4arch9wavefront6targetE0EEEvS12_.numbered_sgpr, 0
	.set _ZN7rocprim17ROCPRIM_400000_NS6detail17trampoline_kernelINS0_13select_configILj256ELj13ELNS0_17block_load_methodE3ELS4_3ELS4_3ELNS0_20block_scan_algorithmE0ELj4294967295EEENS1_25partition_config_selectorILNS1_17partition_subalgoE4EjNS0_10empty_typeEbEEZZNS1_14partition_implILS8_4ELb0ES6_15HIP_vector_typeIjLj2EENS0_17counting_iteratorIjlEEPS9_SG_NS0_5tupleIJPjSI_NS0_16reverse_iteratorISI_EEEEENSH_IJSG_SG_SG_EEES9_SI_JZNS1_25segmented_radix_sort_implINS0_14default_configELb0EPKdPdPKlPlN2at6native12_GLOBAL__N_18offset_tEEE10hipError_tPvRmT1_PNSt15iterator_traitsIS12_E10value_typeET2_T3_PNS13_IS18_E10value_typeET4_jRbjT5_S1E_jjP12ihipStream_tbEUljE_ZNSN_ISO_Lb0ESQ_SR_ST_SU_SY_EESZ_S10_S11_S12_S16_S17_S18_S1B_S1C_jS1D_jS1E_S1E_jjS1G_bEUljE0_EEESZ_S10_S11_S18_S1C_S1E_T6_T7_T9_mT8_S1G_bDpT10_ENKUlT_T0_E_clISt17integral_constantIbLb1EES1U_EEDaS1P_S1Q_EUlS1P_E_NS1_11comp_targetILNS1_3genE0ELNS1_11target_archE4294967295ELNS1_3gpuE0ELNS1_3repE0EEENS1_30default_config_static_selectorELNS0_4arch9wavefront6targetE0EEEvS12_.num_named_barrier, 0
	.set _ZN7rocprim17ROCPRIM_400000_NS6detail17trampoline_kernelINS0_13select_configILj256ELj13ELNS0_17block_load_methodE3ELS4_3ELS4_3ELNS0_20block_scan_algorithmE0ELj4294967295EEENS1_25partition_config_selectorILNS1_17partition_subalgoE4EjNS0_10empty_typeEbEEZZNS1_14partition_implILS8_4ELb0ES6_15HIP_vector_typeIjLj2EENS0_17counting_iteratorIjlEEPS9_SG_NS0_5tupleIJPjSI_NS0_16reverse_iteratorISI_EEEEENSH_IJSG_SG_SG_EEES9_SI_JZNS1_25segmented_radix_sort_implINS0_14default_configELb0EPKdPdPKlPlN2at6native12_GLOBAL__N_18offset_tEEE10hipError_tPvRmT1_PNSt15iterator_traitsIS12_E10value_typeET2_T3_PNS13_IS18_E10value_typeET4_jRbjT5_S1E_jjP12ihipStream_tbEUljE_ZNSN_ISO_Lb0ESQ_SR_ST_SU_SY_EESZ_S10_S11_S12_S16_S17_S18_S1B_S1C_jS1D_jS1E_S1E_jjS1G_bEUljE0_EEESZ_S10_S11_S18_S1C_S1E_T6_T7_T9_mT8_S1G_bDpT10_ENKUlT_T0_E_clISt17integral_constantIbLb1EES1U_EEDaS1P_S1Q_EUlS1P_E_NS1_11comp_targetILNS1_3genE0ELNS1_11target_archE4294967295ELNS1_3gpuE0ELNS1_3repE0EEENS1_30default_config_static_selectorELNS0_4arch9wavefront6targetE0EEEvS12_.private_seg_size, 0
	.set _ZN7rocprim17ROCPRIM_400000_NS6detail17trampoline_kernelINS0_13select_configILj256ELj13ELNS0_17block_load_methodE3ELS4_3ELS4_3ELNS0_20block_scan_algorithmE0ELj4294967295EEENS1_25partition_config_selectorILNS1_17partition_subalgoE4EjNS0_10empty_typeEbEEZZNS1_14partition_implILS8_4ELb0ES6_15HIP_vector_typeIjLj2EENS0_17counting_iteratorIjlEEPS9_SG_NS0_5tupleIJPjSI_NS0_16reverse_iteratorISI_EEEEENSH_IJSG_SG_SG_EEES9_SI_JZNS1_25segmented_radix_sort_implINS0_14default_configELb0EPKdPdPKlPlN2at6native12_GLOBAL__N_18offset_tEEE10hipError_tPvRmT1_PNSt15iterator_traitsIS12_E10value_typeET2_T3_PNS13_IS18_E10value_typeET4_jRbjT5_S1E_jjP12ihipStream_tbEUljE_ZNSN_ISO_Lb0ESQ_SR_ST_SU_SY_EESZ_S10_S11_S12_S16_S17_S18_S1B_S1C_jS1D_jS1E_S1E_jjS1G_bEUljE0_EEESZ_S10_S11_S18_S1C_S1E_T6_T7_T9_mT8_S1G_bDpT10_ENKUlT_T0_E_clISt17integral_constantIbLb1EES1U_EEDaS1P_S1Q_EUlS1P_E_NS1_11comp_targetILNS1_3genE0ELNS1_11target_archE4294967295ELNS1_3gpuE0ELNS1_3repE0EEENS1_30default_config_static_selectorELNS0_4arch9wavefront6targetE0EEEvS12_.uses_vcc, 0
	.set _ZN7rocprim17ROCPRIM_400000_NS6detail17trampoline_kernelINS0_13select_configILj256ELj13ELNS0_17block_load_methodE3ELS4_3ELS4_3ELNS0_20block_scan_algorithmE0ELj4294967295EEENS1_25partition_config_selectorILNS1_17partition_subalgoE4EjNS0_10empty_typeEbEEZZNS1_14partition_implILS8_4ELb0ES6_15HIP_vector_typeIjLj2EENS0_17counting_iteratorIjlEEPS9_SG_NS0_5tupleIJPjSI_NS0_16reverse_iteratorISI_EEEEENSH_IJSG_SG_SG_EEES9_SI_JZNS1_25segmented_radix_sort_implINS0_14default_configELb0EPKdPdPKlPlN2at6native12_GLOBAL__N_18offset_tEEE10hipError_tPvRmT1_PNSt15iterator_traitsIS12_E10value_typeET2_T3_PNS13_IS18_E10value_typeET4_jRbjT5_S1E_jjP12ihipStream_tbEUljE_ZNSN_ISO_Lb0ESQ_SR_ST_SU_SY_EESZ_S10_S11_S12_S16_S17_S18_S1B_S1C_jS1D_jS1E_S1E_jjS1G_bEUljE0_EEESZ_S10_S11_S18_S1C_S1E_T6_T7_T9_mT8_S1G_bDpT10_ENKUlT_T0_E_clISt17integral_constantIbLb1EES1U_EEDaS1P_S1Q_EUlS1P_E_NS1_11comp_targetILNS1_3genE0ELNS1_11target_archE4294967295ELNS1_3gpuE0ELNS1_3repE0EEENS1_30default_config_static_selectorELNS0_4arch9wavefront6targetE0EEEvS12_.uses_flat_scratch, 0
	.set _ZN7rocprim17ROCPRIM_400000_NS6detail17trampoline_kernelINS0_13select_configILj256ELj13ELNS0_17block_load_methodE3ELS4_3ELS4_3ELNS0_20block_scan_algorithmE0ELj4294967295EEENS1_25partition_config_selectorILNS1_17partition_subalgoE4EjNS0_10empty_typeEbEEZZNS1_14partition_implILS8_4ELb0ES6_15HIP_vector_typeIjLj2EENS0_17counting_iteratorIjlEEPS9_SG_NS0_5tupleIJPjSI_NS0_16reverse_iteratorISI_EEEEENSH_IJSG_SG_SG_EEES9_SI_JZNS1_25segmented_radix_sort_implINS0_14default_configELb0EPKdPdPKlPlN2at6native12_GLOBAL__N_18offset_tEEE10hipError_tPvRmT1_PNSt15iterator_traitsIS12_E10value_typeET2_T3_PNS13_IS18_E10value_typeET4_jRbjT5_S1E_jjP12ihipStream_tbEUljE_ZNSN_ISO_Lb0ESQ_SR_ST_SU_SY_EESZ_S10_S11_S12_S16_S17_S18_S1B_S1C_jS1D_jS1E_S1E_jjS1G_bEUljE0_EEESZ_S10_S11_S18_S1C_S1E_T6_T7_T9_mT8_S1G_bDpT10_ENKUlT_T0_E_clISt17integral_constantIbLb1EES1U_EEDaS1P_S1Q_EUlS1P_E_NS1_11comp_targetILNS1_3genE0ELNS1_11target_archE4294967295ELNS1_3gpuE0ELNS1_3repE0EEENS1_30default_config_static_selectorELNS0_4arch9wavefront6targetE0EEEvS12_.has_dyn_sized_stack, 0
	.set _ZN7rocprim17ROCPRIM_400000_NS6detail17trampoline_kernelINS0_13select_configILj256ELj13ELNS0_17block_load_methodE3ELS4_3ELS4_3ELNS0_20block_scan_algorithmE0ELj4294967295EEENS1_25partition_config_selectorILNS1_17partition_subalgoE4EjNS0_10empty_typeEbEEZZNS1_14partition_implILS8_4ELb0ES6_15HIP_vector_typeIjLj2EENS0_17counting_iteratorIjlEEPS9_SG_NS0_5tupleIJPjSI_NS0_16reverse_iteratorISI_EEEEENSH_IJSG_SG_SG_EEES9_SI_JZNS1_25segmented_radix_sort_implINS0_14default_configELb0EPKdPdPKlPlN2at6native12_GLOBAL__N_18offset_tEEE10hipError_tPvRmT1_PNSt15iterator_traitsIS12_E10value_typeET2_T3_PNS13_IS18_E10value_typeET4_jRbjT5_S1E_jjP12ihipStream_tbEUljE_ZNSN_ISO_Lb0ESQ_SR_ST_SU_SY_EESZ_S10_S11_S12_S16_S17_S18_S1B_S1C_jS1D_jS1E_S1E_jjS1G_bEUljE0_EEESZ_S10_S11_S18_S1C_S1E_T6_T7_T9_mT8_S1G_bDpT10_ENKUlT_T0_E_clISt17integral_constantIbLb1EES1U_EEDaS1P_S1Q_EUlS1P_E_NS1_11comp_targetILNS1_3genE0ELNS1_11target_archE4294967295ELNS1_3gpuE0ELNS1_3repE0EEENS1_30default_config_static_selectorELNS0_4arch9wavefront6targetE0EEEvS12_.has_recursion, 0
	.set _ZN7rocprim17ROCPRIM_400000_NS6detail17trampoline_kernelINS0_13select_configILj256ELj13ELNS0_17block_load_methodE3ELS4_3ELS4_3ELNS0_20block_scan_algorithmE0ELj4294967295EEENS1_25partition_config_selectorILNS1_17partition_subalgoE4EjNS0_10empty_typeEbEEZZNS1_14partition_implILS8_4ELb0ES6_15HIP_vector_typeIjLj2EENS0_17counting_iteratorIjlEEPS9_SG_NS0_5tupleIJPjSI_NS0_16reverse_iteratorISI_EEEEENSH_IJSG_SG_SG_EEES9_SI_JZNS1_25segmented_radix_sort_implINS0_14default_configELb0EPKdPdPKlPlN2at6native12_GLOBAL__N_18offset_tEEE10hipError_tPvRmT1_PNSt15iterator_traitsIS12_E10value_typeET2_T3_PNS13_IS18_E10value_typeET4_jRbjT5_S1E_jjP12ihipStream_tbEUljE_ZNSN_ISO_Lb0ESQ_SR_ST_SU_SY_EESZ_S10_S11_S12_S16_S17_S18_S1B_S1C_jS1D_jS1E_S1E_jjS1G_bEUljE0_EEESZ_S10_S11_S18_S1C_S1E_T6_T7_T9_mT8_S1G_bDpT10_ENKUlT_T0_E_clISt17integral_constantIbLb1EES1U_EEDaS1P_S1Q_EUlS1P_E_NS1_11comp_targetILNS1_3genE0ELNS1_11target_archE4294967295ELNS1_3gpuE0ELNS1_3repE0EEENS1_30default_config_static_selectorELNS0_4arch9wavefront6targetE0EEEvS12_.has_indirect_call, 0
	.section	.AMDGPU.csdata,"",@progbits
; Kernel info:
; codeLenInByte = 0
; TotalNumSgprs: 0
; NumVgprs: 0
; ScratchSize: 0
; MemoryBound: 0
; FloatMode: 240
; IeeeMode: 1
; LDSByteSize: 0 bytes/workgroup (compile time only)
; SGPRBlocks: 0
; VGPRBlocks: 0
; NumSGPRsForWavesPerEU: 1
; NumVGPRsForWavesPerEU: 1
; Occupancy: 16
; WaveLimiterHint : 0
; COMPUTE_PGM_RSRC2:SCRATCH_EN: 0
; COMPUTE_PGM_RSRC2:USER_SGPR: 6
; COMPUTE_PGM_RSRC2:TRAP_HANDLER: 0
; COMPUTE_PGM_RSRC2:TGID_X_EN: 1
; COMPUTE_PGM_RSRC2:TGID_Y_EN: 0
; COMPUTE_PGM_RSRC2:TGID_Z_EN: 0
; COMPUTE_PGM_RSRC2:TIDIG_COMP_CNT: 0
	.section	.text._ZN7rocprim17ROCPRIM_400000_NS6detail17trampoline_kernelINS0_13select_configILj256ELj13ELNS0_17block_load_methodE3ELS4_3ELS4_3ELNS0_20block_scan_algorithmE0ELj4294967295EEENS1_25partition_config_selectorILNS1_17partition_subalgoE4EjNS0_10empty_typeEbEEZZNS1_14partition_implILS8_4ELb0ES6_15HIP_vector_typeIjLj2EENS0_17counting_iteratorIjlEEPS9_SG_NS0_5tupleIJPjSI_NS0_16reverse_iteratorISI_EEEEENSH_IJSG_SG_SG_EEES9_SI_JZNS1_25segmented_radix_sort_implINS0_14default_configELb0EPKdPdPKlPlN2at6native12_GLOBAL__N_18offset_tEEE10hipError_tPvRmT1_PNSt15iterator_traitsIS12_E10value_typeET2_T3_PNS13_IS18_E10value_typeET4_jRbjT5_S1E_jjP12ihipStream_tbEUljE_ZNSN_ISO_Lb0ESQ_SR_ST_SU_SY_EESZ_S10_S11_S12_S16_S17_S18_S1B_S1C_jS1D_jS1E_S1E_jjS1G_bEUljE0_EEESZ_S10_S11_S18_S1C_S1E_T6_T7_T9_mT8_S1G_bDpT10_ENKUlT_T0_E_clISt17integral_constantIbLb1EES1U_EEDaS1P_S1Q_EUlS1P_E_NS1_11comp_targetILNS1_3genE5ELNS1_11target_archE942ELNS1_3gpuE9ELNS1_3repE0EEENS1_30default_config_static_selectorELNS0_4arch9wavefront6targetE0EEEvS12_,"axG",@progbits,_ZN7rocprim17ROCPRIM_400000_NS6detail17trampoline_kernelINS0_13select_configILj256ELj13ELNS0_17block_load_methodE3ELS4_3ELS4_3ELNS0_20block_scan_algorithmE0ELj4294967295EEENS1_25partition_config_selectorILNS1_17partition_subalgoE4EjNS0_10empty_typeEbEEZZNS1_14partition_implILS8_4ELb0ES6_15HIP_vector_typeIjLj2EENS0_17counting_iteratorIjlEEPS9_SG_NS0_5tupleIJPjSI_NS0_16reverse_iteratorISI_EEEEENSH_IJSG_SG_SG_EEES9_SI_JZNS1_25segmented_radix_sort_implINS0_14default_configELb0EPKdPdPKlPlN2at6native12_GLOBAL__N_18offset_tEEE10hipError_tPvRmT1_PNSt15iterator_traitsIS12_E10value_typeET2_T3_PNS13_IS18_E10value_typeET4_jRbjT5_S1E_jjP12ihipStream_tbEUljE_ZNSN_ISO_Lb0ESQ_SR_ST_SU_SY_EESZ_S10_S11_S12_S16_S17_S18_S1B_S1C_jS1D_jS1E_S1E_jjS1G_bEUljE0_EEESZ_S10_S11_S18_S1C_S1E_T6_T7_T9_mT8_S1G_bDpT10_ENKUlT_T0_E_clISt17integral_constantIbLb1EES1U_EEDaS1P_S1Q_EUlS1P_E_NS1_11comp_targetILNS1_3genE5ELNS1_11target_archE942ELNS1_3gpuE9ELNS1_3repE0EEENS1_30default_config_static_selectorELNS0_4arch9wavefront6targetE0EEEvS12_,comdat
	.globl	_ZN7rocprim17ROCPRIM_400000_NS6detail17trampoline_kernelINS0_13select_configILj256ELj13ELNS0_17block_load_methodE3ELS4_3ELS4_3ELNS0_20block_scan_algorithmE0ELj4294967295EEENS1_25partition_config_selectorILNS1_17partition_subalgoE4EjNS0_10empty_typeEbEEZZNS1_14partition_implILS8_4ELb0ES6_15HIP_vector_typeIjLj2EENS0_17counting_iteratorIjlEEPS9_SG_NS0_5tupleIJPjSI_NS0_16reverse_iteratorISI_EEEEENSH_IJSG_SG_SG_EEES9_SI_JZNS1_25segmented_radix_sort_implINS0_14default_configELb0EPKdPdPKlPlN2at6native12_GLOBAL__N_18offset_tEEE10hipError_tPvRmT1_PNSt15iterator_traitsIS12_E10value_typeET2_T3_PNS13_IS18_E10value_typeET4_jRbjT5_S1E_jjP12ihipStream_tbEUljE_ZNSN_ISO_Lb0ESQ_SR_ST_SU_SY_EESZ_S10_S11_S12_S16_S17_S18_S1B_S1C_jS1D_jS1E_S1E_jjS1G_bEUljE0_EEESZ_S10_S11_S18_S1C_S1E_T6_T7_T9_mT8_S1G_bDpT10_ENKUlT_T0_E_clISt17integral_constantIbLb1EES1U_EEDaS1P_S1Q_EUlS1P_E_NS1_11comp_targetILNS1_3genE5ELNS1_11target_archE942ELNS1_3gpuE9ELNS1_3repE0EEENS1_30default_config_static_selectorELNS0_4arch9wavefront6targetE0EEEvS12_ ; -- Begin function _ZN7rocprim17ROCPRIM_400000_NS6detail17trampoline_kernelINS0_13select_configILj256ELj13ELNS0_17block_load_methodE3ELS4_3ELS4_3ELNS0_20block_scan_algorithmE0ELj4294967295EEENS1_25partition_config_selectorILNS1_17partition_subalgoE4EjNS0_10empty_typeEbEEZZNS1_14partition_implILS8_4ELb0ES6_15HIP_vector_typeIjLj2EENS0_17counting_iteratorIjlEEPS9_SG_NS0_5tupleIJPjSI_NS0_16reverse_iteratorISI_EEEEENSH_IJSG_SG_SG_EEES9_SI_JZNS1_25segmented_radix_sort_implINS0_14default_configELb0EPKdPdPKlPlN2at6native12_GLOBAL__N_18offset_tEEE10hipError_tPvRmT1_PNSt15iterator_traitsIS12_E10value_typeET2_T3_PNS13_IS18_E10value_typeET4_jRbjT5_S1E_jjP12ihipStream_tbEUljE_ZNSN_ISO_Lb0ESQ_SR_ST_SU_SY_EESZ_S10_S11_S12_S16_S17_S18_S1B_S1C_jS1D_jS1E_S1E_jjS1G_bEUljE0_EEESZ_S10_S11_S18_S1C_S1E_T6_T7_T9_mT8_S1G_bDpT10_ENKUlT_T0_E_clISt17integral_constantIbLb1EES1U_EEDaS1P_S1Q_EUlS1P_E_NS1_11comp_targetILNS1_3genE5ELNS1_11target_archE942ELNS1_3gpuE9ELNS1_3repE0EEENS1_30default_config_static_selectorELNS0_4arch9wavefront6targetE0EEEvS12_
	.p2align	8
	.type	_ZN7rocprim17ROCPRIM_400000_NS6detail17trampoline_kernelINS0_13select_configILj256ELj13ELNS0_17block_load_methodE3ELS4_3ELS4_3ELNS0_20block_scan_algorithmE0ELj4294967295EEENS1_25partition_config_selectorILNS1_17partition_subalgoE4EjNS0_10empty_typeEbEEZZNS1_14partition_implILS8_4ELb0ES6_15HIP_vector_typeIjLj2EENS0_17counting_iteratorIjlEEPS9_SG_NS0_5tupleIJPjSI_NS0_16reverse_iteratorISI_EEEEENSH_IJSG_SG_SG_EEES9_SI_JZNS1_25segmented_radix_sort_implINS0_14default_configELb0EPKdPdPKlPlN2at6native12_GLOBAL__N_18offset_tEEE10hipError_tPvRmT1_PNSt15iterator_traitsIS12_E10value_typeET2_T3_PNS13_IS18_E10value_typeET4_jRbjT5_S1E_jjP12ihipStream_tbEUljE_ZNSN_ISO_Lb0ESQ_SR_ST_SU_SY_EESZ_S10_S11_S12_S16_S17_S18_S1B_S1C_jS1D_jS1E_S1E_jjS1G_bEUljE0_EEESZ_S10_S11_S18_S1C_S1E_T6_T7_T9_mT8_S1G_bDpT10_ENKUlT_T0_E_clISt17integral_constantIbLb1EES1U_EEDaS1P_S1Q_EUlS1P_E_NS1_11comp_targetILNS1_3genE5ELNS1_11target_archE942ELNS1_3gpuE9ELNS1_3repE0EEENS1_30default_config_static_selectorELNS0_4arch9wavefront6targetE0EEEvS12_,@function
_ZN7rocprim17ROCPRIM_400000_NS6detail17trampoline_kernelINS0_13select_configILj256ELj13ELNS0_17block_load_methodE3ELS4_3ELS4_3ELNS0_20block_scan_algorithmE0ELj4294967295EEENS1_25partition_config_selectorILNS1_17partition_subalgoE4EjNS0_10empty_typeEbEEZZNS1_14partition_implILS8_4ELb0ES6_15HIP_vector_typeIjLj2EENS0_17counting_iteratorIjlEEPS9_SG_NS0_5tupleIJPjSI_NS0_16reverse_iteratorISI_EEEEENSH_IJSG_SG_SG_EEES9_SI_JZNS1_25segmented_radix_sort_implINS0_14default_configELb0EPKdPdPKlPlN2at6native12_GLOBAL__N_18offset_tEEE10hipError_tPvRmT1_PNSt15iterator_traitsIS12_E10value_typeET2_T3_PNS13_IS18_E10value_typeET4_jRbjT5_S1E_jjP12ihipStream_tbEUljE_ZNSN_ISO_Lb0ESQ_SR_ST_SU_SY_EESZ_S10_S11_S12_S16_S17_S18_S1B_S1C_jS1D_jS1E_S1E_jjS1G_bEUljE0_EEESZ_S10_S11_S18_S1C_S1E_T6_T7_T9_mT8_S1G_bDpT10_ENKUlT_T0_E_clISt17integral_constantIbLb1EES1U_EEDaS1P_S1Q_EUlS1P_E_NS1_11comp_targetILNS1_3genE5ELNS1_11target_archE942ELNS1_3gpuE9ELNS1_3repE0EEENS1_30default_config_static_selectorELNS0_4arch9wavefront6targetE0EEEvS12_: ; @_ZN7rocprim17ROCPRIM_400000_NS6detail17trampoline_kernelINS0_13select_configILj256ELj13ELNS0_17block_load_methodE3ELS4_3ELS4_3ELNS0_20block_scan_algorithmE0ELj4294967295EEENS1_25partition_config_selectorILNS1_17partition_subalgoE4EjNS0_10empty_typeEbEEZZNS1_14partition_implILS8_4ELb0ES6_15HIP_vector_typeIjLj2EENS0_17counting_iteratorIjlEEPS9_SG_NS0_5tupleIJPjSI_NS0_16reverse_iteratorISI_EEEEENSH_IJSG_SG_SG_EEES9_SI_JZNS1_25segmented_radix_sort_implINS0_14default_configELb0EPKdPdPKlPlN2at6native12_GLOBAL__N_18offset_tEEE10hipError_tPvRmT1_PNSt15iterator_traitsIS12_E10value_typeET2_T3_PNS13_IS18_E10value_typeET4_jRbjT5_S1E_jjP12ihipStream_tbEUljE_ZNSN_ISO_Lb0ESQ_SR_ST_SU_SY_EESZ_S10_S11_S12_S16_S17_S18_S1B_S1C_jS1D_jS1E_S1E_jjS1G_bEUljE0_EEESZ_S10_S11_S18_S1C_S1E_T6_T7_T9_mT8_S1G_bDpT10_ENKUlT_T0_E_clISt17integral_constantIbLb1EES1U_EEDaS1P_S1Q_EUlS1P_E_NS1_11comp_targetILNS1_3genE5ELNS1_11target_archE942ELNS1_3gpuE9ELNS1_3repE0EEENS1_30default_config_static_selectorELNS0_4arch9wavefront6targetE0EEEvS12_
; %bb.0:
	.section	.rodata,"a",@progbits
	.p2align	6, 0x0
	.amdhsa_kernel _ZN7rocprim17ROCPRIM_400000_NS6detail17trampoline_kernelINS0_13select_configILj256ELj13ELNS0_17block_load_methodE3ELS4_3ELS4_3ELNS0_20block_scan_algorithmE0ELj4294967295EEENS1_25partition_config_selectorILNS1_17partition_subalgoE4EjNS0_10empty_typeEbEEZZNS1_14partition_implILS8_4ELb0ES6_15HIP_vector_typeIjLj2EENS0_17counting_iteratorIjlEEPS9_SG_NS0_5tupleIJPjSI_NS0_16reverse_iteratorISI_EEEEENSH_IJSG_SG_SG_EEES9_SI_JZNS1_25segmented_radix_sort_implINS0_14default_configELb0EPKdPdPKlPlN2at6native12_GLOBAL__N_18offset_tEEE10hipError_tPvRmT1_PNSt15iterator_traitsIS12_E10value_typeET2_T3_PNS13_IS18_E10value_typeET4_jRbjT5_S1E_jjP12ihipStream_tbEUljE_ZNSN_ISO_Lb0ESQ_SR_ST_SU_SY_EESZ_S10_S11_S12_S16_S17_S18_S1B_S1C_jS1D_jS1E_S1E_jjS1G_bEUljE0_EEESZ_S10_S11_S18_S1C_S1E_T6_T7_T9_mT8_S1G_bDpT10_ENKUlT_T0_E_clISt17integral_constantIbLb1EES1U_EEDaS1P_S1Q_EUlS1P_E_NS1_11comp_targetILNS1_3genE5ELNS1_11target_archE942ELNS1_3gpuE9ELNS1_3repE0EEENS1_30default_config_static_selectorELNS0_4arch9wavefront6targetE0EEEvS12_
		.amdhsa_group_segment_fixed_size 0
		.amdhsa_private_segment_fixed_size 0
		.amdhsa_kernarg_size 184
		.amdhsa_user_sgpr_count 6
		.amdhsa_user_sgpr_private_segment_buffer 1
		.amdhsa_user_sgpr_dispatch_ptr 0
		.amdhsa_user_sgpr_queue_ptr 0
		.amdhsa_user_sgpr_kernarg_segment_ptr 1
		.amdhsa_user_sgpr_dispatch_id 0
		.amdhsa_user_sgpr_flat_scratch_init 0
		.amdhsa_user_sgpr_private_segment_size 0
		.amdhsa_wavefront_size32 1
		.amdhsa_uses_dynamic_stack 0
		.amdhsa_system_sgpr_private_segment_wavefront_offset 0
		.amdhsa_system_sgpr_workgroup_id_x 1
		.amdhsa_system_sgpr_workgroup_id_y 0
		.amdhsa_system_sgpr_workgroup_id_z 0
		.amdhsa_system_sgpr_workgroup_info 0
		.amdhsa_system_vgpr_workitem_id 0
		.amdhsa_next_free_vgpr 1
		.amdhsa_next_free_sgpr 1
		.amdhsa_reserve_vcc 0
		.amdhsa_reserve_flat_scratch 0
		.amdhsa_float_round_mode_32 0
		.amdhsa_float_round_mode_16_64 0
		.amdhsa_float_denorm_mode_32 3
		.amdhsa_float_denorm_mode_16_64 3
		.amdhsa_dx10_clamp 1
		.amdhsa_ieee_mode 1
		.amdhsa_fp16_overflow 0
		.amdhsa_workgroup_processor_mode 1
		.amdhsa_memory_ordered 1
		.amdhsa_forward_progress 1
		.amdhsa_shared_vgpr_count 0
		.amdhsa_exception_fp_ieee_invalid_op 0
		.amdhsa_exception_fp_denorm_src 0
		.amdhsa_exception_fp_ieee_div_zero 0
		.amdhsa_exception_fp_ieee_overflow 0
		.amdhsa_exception_fp_ieee_underflow 0
		.amdhsa_exception_fp_ieee_inexact 0
		.amdhsa_exception_int_div_zero 0
	.end_amdhsa_kernel
	.section	.text._ZN7rocprim17ROCPRIM_400000_NS6detail17trampoline_kernelINS0_13select_configILj256ELj13ELNS0_17block_load_methodE3ELS4_3ELS4_3ELNS0_20block_scan_algorithmE0ELj4294967295EEENS1_25partition_config_selectorILNS1_17partition_subalgoE4EjNS0_10empty_typeEbEEZZNS1_14partition_implILS8_4ELb0ES6_15HIP_vector_typeIjLj2EENS0_17counting_iteratorIjlEEPS9_SG_NS0_5tupleIJPjSI_NS0_16reverse_iteratorISI_EEEEENSH_IJSG_SG_SG_EEES9_SI_JZNS1_25segmented_radix_sort_implINS0_14default_configELb0EPKdPdPKlPlN2at6native12_GLOBAL__N_18offset_tEEE10hipError_tPvRmT1_PNSt15iterator_traitsIS12_E10value_typeET2_T3_PNS13_IS18_E10value_typeET4_jRbjT5_S1E_jjP12ihipStream_tbEUljE_ZNSN_ISO_Lb0ESQ_SR_ST_SU_SY_EESZ_S10_S11_S12_S16_S17_S18_S1B_S1C_jS1D_jS1E_S1E_jjS1G_bEUljE0_EEESZ_S10_S11_S18_S1C_S1E_T6_T7_T9_mT8_S1G_bDpT10_ENKUlT_T0_E_clISt17integral_constantIbLb1EES1U_EEDaS1P_S1Q_EUlS1P_E_NS1_11comp_targetILNS1_3genE5ELNS1_11target_archE942ELNS1_3gpuE9ELNS1_3repE0EEENS1_30default_config_static_selectorELNS0_4arch9wavefront6targetE0EEEvS12_,"axG",@progbits,_ZN7rocprim17ROCPRIM_400000_NS6detail17trampoline_kernelINS0_13select_configILj256ELj13ELNS0_17block_load_methodE3ELS4_3ELS4_3ELNS0_20block_scan_algorithmE0ELj4294967295EEENS1_25partition_config_selectorILNS1_17partition_subalgoE4EjNS0_10empty_typeEbEEZZNS1_14partition_implILS8_4ELb0ES6_15HIP_vector_typeIjLj2EENS0_17counting_iteratorIjlEEPS9_SG_NS0_5tupleIJPjSI_NS0_16reverse_iteratorISI_EEEEENSH_IJSG_SG_SG_EEES9_SI_JZNS1_25segmented_radix_sort_implINS0_14default_configELb0EPKdPdPKlPlN2at6native12_GLOBAL__N_18offset_tEEE10hipError_tPvRmT1_PNSt15iterator_traitsIS12_E10value_typeET2_T3_PNS13_IS18_E10value_typeET4_jRbjT5_S1E_jjP12ihipStream_tbEUljE_ZNSN_ISO_Lb0ESQ_SR_ST_SU_SY_EESZ_S10_S11_S12_S16_S17_S18_S1B_S1C_jS1D_jS1E_S1E_jjS1G_bEUljE0_EEESZ_S10_S11_S18_S1C_S1E_T6_T7_T9_mT8_S1G_bDpT10_ENKUlT_T0_E_clISt17integral_constantIbLb1EES1U_EEDaS1P_S1Q_EUlS1P_E_NS1_11comp_targetILNS1_3genE5ELNS1_11target_archE942ELNS1_3gpuE9ELNS1_3repE0EEENS1_30default_config_static_selectorELNS0_4arch9wavefront6targetE0EEEvS12_,comdat
.Lfunc_end1158:
	.size	_ZN7rocprim17ROCPRIM_400000_NS6detail17trampoline_kernelINS0_13select_configILj256ELj13ELNS0_17block_load_methodE3ELS4_3ELS4_3ELNS0_20block_scan_algorithmE0ELj4294967295EEENS1_25partition_config_selectorILNS1_17partition_subalgoE4EjNS0_10empty_typeEbEEZZNS1_14partition_implILS8_4ELb0ES6_15HIP_vector_typeIjLj2EENS0_17counting_iteratorIjlEEPS9_SG_NS0_5tupleIJPjSI_NS0_16reverse_iteratorISI_EEEEENSH_IJSG_SG_SG_EEES9_SI_JZNS1_25segmented_radix_sort_implINS0_14default_configELb0EPKdPdPKlPlN2at6native12_GLOBAL__N_18offset_tEEE10hipError_tPvRmT1_PNSt15iterator_traitsIS12_E10value_typeET2_T3_PNS13_IS18_E10value_typeET4_jRbjT5_S1E_jjP12ihipStream_tbEUljE_ZNSN_ISO_Lb0ESQ_SR_ST_SU_SY_EESZ_S10_S11_S12_S16_S17_S18_S1B_S1C_jS1D_jS1E_S1E_jjS1G_bEUljE0_EEESZ_S10_S11_S18_S1C_S1E_T6_T7_T9_mT8_S1G_bDpT10_ENKUlT_T0_E_clISt17integral_constantIbLb1EES1U_EEDaS1P_S1Q_EUlS1P_E_NS1_11comp_targetILNS1_3genE5ELNS1_11target_archE942ELNS1_3gpuE9ELNS1_3repE0EEENS1_30default_config_static_selectorELNS0_4arch9wavefront6targetE0EEEvS12_, .Lfunc_end1158-_ZN7rocprim17ROCPRIM_400000_NS6detail17trampoline_kernelINS0_13select_configILj256ELj13ELNS0_17block_load_methodE3ELS4_3ELS4_3ELNS0_20block_scan_algorithmE0ELj4294967295EEENS1_25partition_config_selectorILNS1_17partition_subalgoE4EjNS0_10empty_typeEbEEZZNS1_14partition_implILS8_4ELb0ES6_15HIP_vector_typeIjLj2EENS0_17counting_iteratorIjlEEPS9_SG_NS0_5tupleIJPjSI_NS0_16reverse_iteratorISI_EEEEENSH_IJSG_SG_SG_EEES9_SI_JZNS1_25segmented_radix_sort_implINS0_14default_configELb0EPKdPdPKlPlN2at6native12_GLOBAL__N_18offset_tEEE10hipError_tPvRmT1_PNSt15iterator_traitsIS12_E10value_typeET2_T3_PNS13_IS18_E10value_typeET4_jRbjT5_S1E_jjP12ihipStream_tbEUljE_ZNSN_ISO_Lb0ESQ_SR_ST_SU_SY_EESZ_S10_S11_S12_S16_S17_S18_S1B_S1C_jS1D_jS1E_S1E_jjS1G_bEUljE0_EEESZ_S10_S11_S18_S1C_S1E_T6_T7_T9_mT8_S1G_bDpT10_ENKUlT_T0_E_clISt17integral_constantIbLb1EES1U_EEDaS1P_S1Q_EUlS1P_E_NS1_11comp_targetILNS1_3genE5ELNS1_11target_archE942ELNS1_3gpuE9ELNS1_3repE0EEENS1_30default_config_static_selectorELNS0_4arch9wavefront6targetE0EEEvS12_
                                        ; -- End function
	.set _ZN7rocprim17ROCPRIM_400000_NS6detail17trampoline_kernelINS0_13select_configILj256ELj13ELNS0_17block_load_methodE3ELS4_3ELS4_3ELNS0_20block_scan_algorithmE0ELj4294967295EEENS1_25partition_config_selectorILNS1_17partition_subalgoE4EjNS0_10empty_typeEbEEZZNS1_14partition_implILS8_4ELb0ES6_15HIP_vector_typeIjLj2EENS0_17counting_iteratorIjlEEPS9_SG_NS0_5tupleIJPjSI_NS0_16reverse_iteratorISI_EEEEENSH_IJSG_SG_SG_EEES9_SI_JZNS1_25segmented_radix_sort_implINS0_14default_configELb0EPKdPdPKlPlN2at6native12_GLOBAL__N_18offset_tEEE10hipError_tPvRmT1_PNSt15iterator_traitsIS12_E10value_typeET2_T3_PNS13_IS18_E10value_typeET4_jRbjT5_S1E_jjP12ihipStream_tbEUljE_ZNSN_ISO_Lb0ESQ_SR_ST_SU_SY_EESZ_S10_S11_S12_S16_S17_S18_S1B_S1C_jS1D_jS1E_S1E_jjS1G_bEUljE0_EEESZ_S10_S11_S18_S1C_S1E_T6_T7_T9_mT8_S1G_bDpT10_ENKUlT_T0_E_clISt17integral_constantIbLb1EES1U_EEDaS1P_S1Q_EUlS1P_E_NS1_11comp_targetILNS1_3genE5ELNS1_11target_archE942ELNS1_3gpuE9ELNS1_3repE0EEENS1_30default_config_static_selectorELNS0_4arch9wavefront6targetE0EEEvS12_.num_vgpr, 0
	.set _ZN7rocprim17ROCPRIM_400000_NS6detail17trampoline_kernelINS0_13select_configILj256ELj13ELNS0_17block_load_methodE3ELS4_3ELS4_3ELNS0_20block_scan_algorithmE0ELj4294967295EEENS1_25partition_config_selectorILNS1_17partition_subalgoE4EjNS0_10empty_typeEbEEZZNS1_14partition_implILS8_4ELb0ES6_15HIP_vector_typeIjLj2EENS0_17counting_iteratorIjlEEPS9_SG_NS0_5tupleIJPjSI_NS0_16reverse_iteratorISI_EEEEENSH_IJSG_SG_SG_EEES9_SI_JZNS1_25segmented_radix_sort_implINS0_14default_configELb0EPKdPdPKlPlN2at6native12_GLOBAL__N_18offset_tEEE10hipError_tPvRmT1_PNSt15iterator_traitsIS12_E10value_typeET2_T3_PNS13_IS18_E10value_typeET4_jRbjT5_S1E_jjP12ihipStream_tbEUljE_ZNSN_ISO_Lb0ESQ_SR_ST_SU_SY_EESZ_S10_S11_S12_S16_S17_S18_S1B_S1C_jS1D_jS1E_S1E_jjS1G_bEUljE0_EEESZ_S10_S11_S18_S1C_S1E_T6_T7_T9_mT8_S1G_bDpT10_ENKUlT_T0_E_clISt17integral_constantIbLb1EES1U_EEDaS1P_S1Q_EUlS1P_E_NS1_11comp_targetILNS1_3genE5ELNS1_11target_archE942ELNS1_3gpuE9ELNS1_3repE0EEENS1_30default_config_static_selectorELNS0_4arch9wavefront6targetE0EEEvS12_.num_agpr, 0
	.set _ZN7rocprim17ROCPRIM_400000_NS6detail17trampoline_kernelINS0_13select_configILj256ELj13ELNS0_17block_load_methodE3ELS4_3ELS4_3ELNS0_20block_scan_algorithmE0ELj4294967295EEENS1_25partition_config_selectorILNS1_17partition_subalgoE4EjNS0_10empty_typeEbEEZZNS1_14partition_implILS8_4ELb0ES6_15HIP_vector_typeIjLj2EENS0_17counting_iteratorIjlEEPS9_SG_NS0_5tupleIJPjSI_NS0_16reverse_iteratorISI_EEEEENSH_IJSG_SG_SG_EEES9_SI_JZNS1_25segmented_radix_sort_implINS0_14default_configELb0EPKdPdPKlPlN2at6native12_GLOBAL__N_18offset_tEEE10hipError_tPvRmT1_PNSt15iterator_traitsIS12_E10value_typeET2_T3_PNS13_IS18_E10value_typeET4_jRbjT5_S1E_jjP12ihipStream_tbEUljE_ZNSN_ISO_Lb0ESQ_SR_ST_SU_SY_EESZ_S10_S11_S12_S16_S17_S18_S1B_S1C_jS1D_jS1E_S1E_jjS1G_bEUljE0_EEESZ_S10_S11_S18_S1C_S1E_T6_T7_T9_mT8_S1G_bDpT10_ENKUlT_T0_E_clISt17integral_constantIbLb1EES1U_EEDaS1P_S1Q_EUlS1P_E_NS1_11comp_targetILNS1_3genE5ELNS1_11target_archE942ELNS1_3gpuE9ELNS1_3repE0EEENS1_30default_config_static_selectorELNS0_4arch9wavefront6targetE0EEEvS12_.numbered_sgpr, 0
	.set _ZN7rocprim17ROCPRIM_400000_NS6detail17trampoline_kernelINS0_13select_configILj256ELj13ELNS0_17block_load_methodE3ELS4_3ELS4_3ELNS0_20block_scan_algorithmE0ELj4294967295EEENS1_25partition_config_selectorILNS1_17partition_subalgoE4EjNS0_10empty_typeEbEEZZNS1_14partition_implILS8_4ELb0ES6_15HIP_vector_typeIjLj2EENS0_17counting_iteratorIjlEEPS9_SG_NS0_5tupleIJPjSI_NS0_16reverse_iteratorISI_EEEEENSH_IJSG_SG_SG_EEES9_SI_JZNS1_25segmented_radix_sort_implINS0_14default_configELb0EPKdPdPKlPlN2at6native12_GLOBAL__N_18offset_tEEE10hipError_tPvRmT1_PNSt15iterator_traitsIS12_E10value_typeET2_T3_PNS13_IS18_E10value_typeET4_jRbjT5_S1E_jjP12ihipStream_tbEUljE_ZNSN_ISO_Lb0ESQ_SR_ST_SU_SY_EESZ_S10_S11_S12_S16_S17_S18_S1B_S1C_jS1D_jS1E_S1E_jjS1G_bEUljE0_EEESZ_S10_S11_S18_S1C_S1E_T6_T7_T9_mT8_S1G_bDpT10_ENKUlT_T0_E_clISt17integral_constantIbLb1EES1U_EEDaS1P_S1Q_EUlS1P_E_NS1_11comp_targetILNS1_3genE5ELNS1_11target_archE942ELNS1_3gpuE9ELNS1_3repE0EEENS1_30default_config_static_selectorELNS0_4arch9wavefront6targetE0EEEvS12_.num_named_barrier, 0
	.set _ZN7rocprim17ROCPRIM_400000_NS6detail17trampoline_kernelINS0_13select_configILj256ELj13ELNS0_17block_load_methodE3ELS4_3ELS4_3ELNS0_20block_scan_algorithmE0ELj4294967295EEENS1_25partition_config_selectorILNS1_17partition_subalgoE4EjNS0_10empty_typeEbEEZZNS1_14partition_implILS8_4ELb0ES6_15HIP_vector_typeIjLj2EENS0_17counting_iteratorIjlEEPS9_SG_NS0_5tupleIJPjSI_NS0_16reverse_iteratorISI_EEEEENSH_IJSG_SG_SG_EEES9_SI_JZNS1_25segmented_radix_sort_implINS0_14default_configELb0EPKdPdPKlPlN2at6native12_GLOBAL__N_18offset_tEEE10hipError_tPvRmT1_PNSt15iterator_traitsIS12_E10value_typeET2_T3_PNS13_IS18_E10value_typeET4_jRbjT5_S1E_jjP12ihipStream_tbEUljE_ZNSN_ISO_Lb0ESQ_SR_ST_SU_SY_EESZ_S10_S11_S12_S16_S17_S18_S1B_S1C_jS1D_jS1E_S1E_jjS1G_bEUljE0_EEESZ_S10_S11_S18_S1C_S1E_T6_T7_T9_mT8_S1G_bDpT10_ENKUlT_T0_E_clISt17integral_constantIbLb1EES1U_EEDaS1P_S1Q_EUlS1P_E_NS1_11comp_targetILNS1_3genE5ELNS1_11target_archE942ELNS1_3gpuE9ELNS1_3repE0EEENS1_30default_config_static_selectorELNS0_4arch9wavefront6targetE0EEEvS12_.private_seg_size, 0
	.set _ZN7rocprim17ROCPRIM_400000_NS6detail17trampoline_kernelINS0_13select_configILj256ELj13ELNS0_17block_load_methodE3ELS4_3ELS4_3ELNS0_20block_scan_algorithmE0ELj4294967295EEENS1_25partition_config_selectorILNS1_17partition_subalgoE4EjNS0_10empty_typeEbEEZZNS1_14partition_implILS8_4ELb0ES6_15HIP_vector_typeIjLj2EENS0_17counting_iteratorIjlEEPS9_SG_NS0_5tupleIJPjSI_NS0_16reverse_iteratorISI_EEEEENSH_IJSG_SG_SG_EEES9_SI_JZNS1_25segmented_radix_sort_implINS0_14default_configELb0EPKdPdPKlPlN2at6native12_GLOBAL__N_18offset_tEEE10hipError_tPvRmT1_PNSt15iterator_traitsIS12_E10value_typeET2_T3_PNS13_IS18_E10value_typeET4_jRbjT5_S1E_jjP12ihipStream_tbEUljE_ZNSN_ISO_Lb0ESQ_SR_ST_SU_SY_EESZ_S10_S11_S12_S16_S17_S18_S1B_S1C_jS1D_jS1E_S1E_jjS1G_bEUljE0_EEESZ_S10_S11_S18_S1C_S1E_T6_T7_T9_mT8_S1G_bDpT10_ENKUlT_T0_E_clISt17integral_constantIbLb1EES1U_EEDaS1P_S1Q_EUlS1P_E_NS1_11comp_targetILNS1_3genE5ELNS1_11target_archE942ELNS1_3gpuE9ELNS1_3repE0EEENS1_30default_config_static_selectorELNS0_4arch9wavefront6targetE0EEEvS12_.uses_vcc, 0
	.set _ZN7rocprim17ROCPRIM_400000_NS6detail17trampoline_kernelINS0_13select_configILj256ELj13ELNS0_17block_load_methodE3ELS4_3ELS4_3ELNS0_20block_scan_algorithmE0ELj4294967295EEENS1_25partition_config_selectorILNS1_17partition_subalgoE4EjNS0_10empty_typeEbEEZZNS1_14partition_implILS8_4ELb0ES6_15HIP_vector_typeIjLj2EENS0_17counting_iteratorIjlEEPS9_SG_NS0_5tupleIJPjSI_NS0_16reverse_iteratorISI_EEEEENSH_IJSG_SG_SG_EEES9_SI_JZNS1_25segmented_radix_sort_implINS0_14default_configELb0EPKdPdPKlPlN2at6native12_GLOBAL__N_18offset_tEEE10hipError_tPvRmT1_PNSt15iterator_traitsIS12_E10value_typeET2_T3_PNS13_IS18_E10value_typeET4_jRbjT5_S1E_jjP12ihipStream_tbEUljE_ZNSN_ISO_Lb0ESQ_SR_ST_SU_SY_EESZ_S10_S11_S12_S16_S17_S18_S1B_S1C_jS1D_jS1E_S1E_jjS1G_bEUljE0_EEESZ_S10_S11_S18_S1C_S1E_T6_T7_T9_mT8_S1G_bDpT10_ENKUlT_T0_E_clISt17integral_constantIbLb1EES1U_EEDaS1P_S1Q_EUlS1P_E_NS1_11comp_targetILNS1_3genE5ELNS1_11target_archE942ELNS1_3gpuE9ELNS1_3repE0EEENS1_30default_config_static_selectorELNS0_4arch9wavefront6targetE0EEEvS12_.uses_flat_scratch, 0
	.set _ZN7rocprim17ROCPRIM_400000_NS6detail17trampoline_kernelINS0_13select_configILj256ELj13ELNS0_17block_load_methodE3ELS4_3ELS4_3ELNS0_20block_scan_algorithmE0ELj4294967295EEENS1_25partition_config_selectorILNS1_17partition_subalgoE4EjNS0_10empty_typeEbEEZZNS1_14partition_implILS8_4ELb0ES6_15HIP_vector_typeIjLj2EENS0_17counting_iteratorIjlEEPS9_SG_NS0_5tupleIJPjSI_NS0_16reverse_iteratorISI_EEEEENSH_IJSG_SG_SG_EEES9_SI_JZNS1_25segmented_radix_sort_implINS0_14default_configELb0EPKdPdPKlPlN2at6native12_GLOBAL__N_18offset_tEEE10hipError_tPvRmT1_PNSt15iterator_traitsIS12_E10value_typeET2_T3_PNS13_IS18_E10value_typeET4_jRbjT5_S1E_jjP12ihipStream_tbEUljE_ZNSN_ISO_Lb0ESQ_SR_ST_SU_SY_EESZ_S10_S11_S12_S16_S17_S18_S1B_S1C_jS1D_jS1E_S1E_jjS1G_bEUljE0_EEESZ_S10_S11_S18_S1C_S1E_T6_T7_T9_mT8_S1G_bDpT10_ENKUlT_T0_E_clISt17integral_constantIbLb1EES1U_EEDaS1P_S1Q_EUlS1P_E_NS1_11comp_targetILNS1_3genE5ELNS1_11target_archE942ELNS1_3gpuE9ELNS1_3repE0EEENS1_30default_config_static_selectorELNS0_4arch9wavefront6targetE0EEEvS12_.has_dyn_sized_stack, 0
	.set _ZN7rocprim17ROCPRIM_400000_NS6detail17trampoline_kernelINS0_13select_configILj256ELj13ELNS0_17block_load_methodE3ELS4_3ELS4_3ELNS0_20block_scan_algorithmE0ELj4294967295EEENS1_25partition_config_selectorILNS1_17partition_subalgoE4EjNS0_10empty_typeEbEEZZNS1_14partition_implILS8_4ELb0ES6_15HIP_vector_typeIjLj2EENS0_17counting_iteratorIjlEEPS9_SG_NS0_5tupleIJPjSI_NS0_16reverse_iteratorISI_EEEEENSH_IJSG_SG_SG_EEES9_SI_JZNS1_25segmented_radix_sort_implINS0_14default_configELb0EPKdPdPKlPlN2at6native12_GLOBAL__N_18offset_tEEE10hipError_tPvRmT1_PNSt15iterator_traitsIS12_E10value_typeET2_T3_PNS13_IS18_E10value_typeET4_jRbjT5_S1E_jjP12ihipStream_tbEUljE_ZNSN_ISO_Lb0ESQ_SR_ST_SU_SY_EESZ_S10_S11_S12_S16_S17_S18_S1B_S1C_jS1D_jS1E_S1E_jjS1G_bEUljE0_EEESZ_S10_S11_S18_S1C_S1E_T6_T7_T9_mT8_S1G_bDpT10_ENKUlT_T0_E_clISt17integral_constantIbLb1EES1U_EEDaS1P_S1Q_EUlS1P_E_NS1_11comp_targetILNS1_3genE5ELNS1_11target_archE942ELNS1_3gpuE9ELNS1_3repE0EEENS1_30default_config_static_selectorELNS0_4arch9wavefront6targetE0EEEvS12_.has_recursion, 0
	.set _ZN7rocprim17ROCPRIM_400000_NS6detail17trampoline_kernelINS0_13select_configILj256ELj13ELNS0_17block_load_methodE3ELS4_3ELS4_3ELNS0_20block_scan_algorithmE0ELj4294967295EEENS1_25partition_config_selectorILNS1_17partition_subalgoE4EjNS0_10empty_typeEbEEZZNS1_14partition_implILS8_4ELb0ES6_15HIP_vector_typeIjLj2EENS0_17counting_iteratorIjlEEPS9_SG_NS0_5tupleIJPjSI_NS0_16reverse_iteratorISI_EEEEENSH_IJSG_SG_SG_EEES9_SI_JZNS1_25segmented_radix_sort_implINS0_14default_configELb0EPKdPdPKlPlN2at6native12_GLOBAL__N_18offset_tEEE10hipError_tPvRmT1_PNSt15iterator_traitsIS12_E10value_typeET2_T3_PNS13_IS18_E10value_typeET4_jRbjT5_S1E_jjP12ihipStream_tbEUljE_ZNSN_ISO_Lb0ESQ_SR_ST_SU_SY_EESZ_S10_S11_S12_S16_S17_S18_S1B_S1C_jS1D_jS1E_S1E_jjS1G_bEUljE0_EEESZ_S10_S11_S18_S1C_S1E_T6_T7_T9_mT8_S1G_bDpT10_ENKUlT_T0_E_clISt17integral_constantIbLb1EES1U_EEDaS1P_S1Q_EUlS1P_E_NS1_11comp_targetILNS1_3genE5ELNS1_11target_archE942ELNS1_3gpuE9ELNS1_3repE0EEENS1_30default_config_static_selectorELNS0_4arch9wavefront6targetE0EEEvS12_.has_indirect_call, 0
	.section	.AMDGPU.csdata,"",@progbits
; Kernel info:
; codeLenInByte = 0
; TotalNumSgprs: 0
; NumVgprs: 0
; ScratchSize: 0
; MemoryBound: 0
; FloatMode: 240
; IeeeMode: 1
; LDSByteSize: 0 bytes/workgroup (compile time only)
; SGPRBlocks: 0
; VGPRBlocks: 0
; NumSGPRsForWavesPerEU: 1
; NumVGPRsForWavesPerEU: 1
; Occupancy: 16
; WaveLimiterHint : 0
; COMPUTE_PGM_RSRC2:SCRATCH_EN: 0
; COMPUTE_PGM_RSRC2:USER_SGPR: 6
; COMPUTE_PGM_RSRC2:TRAP_HANDLER: 0
; COMPUTE_PGM_RSRC2:TGID_X_EN: 1
; COMPUTE_PGM_RSRC2:TGID_Y_EN: 0
; COMPUTE_PGM_RSRC2:TGID_Z_EN: 0
; COMPUTE_PGM_RSRC2:TIDIG_COMP_CNT: 0
	.section	.text._ZN7rocprim17ROCPRIM_400000_NS6detail17trampoline_kernelINS0_13select_configILj256ELj13ELNS0_17block_load_methodE3ELS4_3ELS4_3ELNS0_20block_scan_algorithmE0ELj4294967295EEENS1_25partition_config_selectorILNS1_17partition_subalgoE4EjNS0_10empty_typeEbEEZZNS1_14partition_implILS8_4ELb0ES6_15HIP_vector_typeIjLj2EENS0_17counting_iteratorIjlEEPS9_SG_NS0_5tupleIJPjSI_NS0_16reverse_iteratorISI_EEEEENSH_IJSG_SG_SG_EEES9_SI_JZNS1_25segmented_radix_sort_implINS0_14default_configELb0EPKdPdPKlPlN2at6native12_GLOBAL__N_18offset_tEEE10hipError_tPvRmT1_PNSt15iterator_traitsIS12_E10value_typeET2_T3_PNS13_IS18_E10value_typeET4_jRbjT5_S1E_jjP12ihipStream_tbEUljE_ZNSN_ISO_Lb0ESQ_SR_ST_SU_SY_EESZ_S10_S11_S12_S16_S17_S18_S1B_S1C_jS1D_jS1E_S1E_jjS1G_bEUljE0_EEESZ_S10_S11_S18_S1C_S1E_T6_T7_T9_mT8_S1G_bDpT10_ENKUlT_T0_E_clISt17integral_constantIbLb1EES1U_EEDaS1P_S1Q_EUlS1P_E_NS1_11comp_targetILNS1_3genE4ELNS1_11target_archE910ELNS1_3gpuE8ELNS1_3repE0EEENS1_30default_config_static_selectorELNS0_4arch9wavefront6targetE0EEEvS12_,"axG",@progbits,_ZN7rocprim17ROCPRIM_400000_NS6detail17trampoline_kernelINS0_13select_configILj256ELj13ELNS0_17block_load_methodE3ELS4_3ELS4_3ELNS0_20block_scan_algorithmE0ELj4294967295EEENS1_25partition_config_selectorILNS1_17partition_subalgoE4EjNS0_10empty_typeEbEEZZNS1_14partition_implILS8_4ELb0ES6_15HIP_vector_typeIjLj2EENS0_17counting_iteratorIjlEEPS9_SG_NS0_5tupleIJPjSI_NS0_16reverse_iteratorISI_EEEEENSH_IJSG_SG_SG_EEES9_SI_JZNS1_25segmented_radix_sort_implINS0_14default_configELb0EPKdPdPKlPlN2at6native12_GLOBAL__N_18offset_tEEE10hipError_tPvRmT1_PNSt15iterator_traitsIS12_E10value_typeET2_T3_PNS13_IS18_E10value_typeET4_jRbjT5_S1E_jjP12ihipStream_tbEUljE_ZNSN_ISO_Lb0ESQ_SR_ST_SU_SY_EESZ_S10_S11_S12_S16_S17_S18_S1B_S1C_jS1D_jS1E_S1E_jjS1G_bEUljE0_EEESZ_S10_S11_S18_S1C_S1E_T6_T7_T9_mT8_S1G_bDpT10_ENKUlT_T0_E_clISt17integral_constantIbLb1EES1U_EEDaS1P_S1Q_EUlS1P_E_NS1_11comp_targetILNS1_3genE4ELNS1_11target_archE910ELNS1_3gpuE8ELNS1_3repE0EEENS1_30default_config_static_selectorELNS0_4arch9wavefront6targetE0EEEvS12_,comdat
	.globl	_ZN7rocprim17ROCPRIM_400000_NS6detail17trampoline_kernelINS0_13select_configILj256ELj13ELNS0_17block_load_methodE3ELS4_3ELS4_3ELNS0_20block_scan_algorithmE0ELj4294967295EEENS1_25partition_config_selectorILNS1_17partition_subalgoE4EjNS0_10empty_typeEbEEZZNS1_14partition_implILS8_4ELb0ES6_15HIP_vector_typeIjLj2EENS0_17counting_iteratorIjlEEPS9_SG_NS0_5tupleIJPjSI_NS0_16reverse_iteratorISI_EEEEENSH_IJSG_SG_SG_EEES9_SI_JZNS1_25segmented_radix_sort_implINS0_14default_configELb0EPKdPdPKlPlN2at6native12_GLOBAL__N_18offset_tEEE10hipError_tPvRmT1_PNSt15iterator_traitsIS12_E10value_typeET2_T3_PNS13_IS18_E10value_typeET4_jRbjT5_S1E_jjP12ihipStream_tbEUljE_ZNSN_ISO_Lb0ESQ_SR_ST_SU_SY_EESZ_S10_S11_S12_S16_S17_S18_S1B_S1C_jS1D_jS1E_S1E_jjS1G_bEUljE0_EEESZ_S10_S11_S18_S1C_S1E_T6_T7_T9_mT8_S1G_bDpT10_ENKUlT_T0_E_clISt17integral_constantIbLb1EES1U_EEDaS1P_S1Q_EUlS1P_E_NS1_11comp_targetILNS1_3genE4ELNS1_11target_archE910ELNS1_3gpuE8ELNS1_3repE0EEENS1_30default_config_static_selectorELNS0_4arch9wavefront6targetE0EEEvS12_ ; -- Begin function _ZN7rocprim17ROCPRIM_400000_NS6detail17trampoline_kernelINS0_13select_configILj256ELj13ELNS0_17block_load_methodE3ELS4_3ELS4_3ELNS0_20block_scan_algorithmE0ELj4294967295EEENS1_25partition_config_selectorILNS1_17partition_subalgoE4EjNS0_10empty_typeEbEEZZNS1_14partition_implILS8_4ELb0ES6_15HIP_vector_typeIjLj2EENS0_17counting_iteratorIjlEEPS9_SG_NS0_5tupleIJPjSI_NS0_16reverse_iteratorISI_EEEEENSH_IJSG_SG_SG_EEES9_SI_JZNS1_25segmented_radix_sort_implINS0_14default_configELb0EPKdPdPKlPlN2at6native12_GLOBAL__N_18offset_tEEE10hipError_tPvRmT1_PNSt15iterator_traitsIS12_E10value_typeET2_T3_PNS13_IS18_E10value_typeET4_jRbjT5_S1E_jjP12ihipStream_tbEUljE_ZNSN_ISO_Lb0ESQ_SR_ST_SU_SY_EESZ_S10_S11_S12_S16_S17_S18_S1B_S1C_jS1D_jS1E_S1E_jjS1G_bEUljE0_EEESZ_S10_S11_S18_S1C_S1E_T6_T7_T9_mT8_S1G_bDpT10_ENKUlT_T0_E_clISt17integral_constantIbLb1EES1U_EEDaS1P_S1Q_EUlS1P_E_NS1_11comp_targetILNS1_3genE4ELNS1_11target_archE910ELNS1_3gpuE8ELNS1_3repE0EEENS1_30default_config_static_selectorELNS0_4arch9wavefront6targetE0EEEvS12_
	.p2align	8
	.type	_ZN7rocprim17ROCPRIM_400000_NS6detail17trampoline_kernelINS0_13select_configILj256ELj13ELNS0_17block_load_methodE3ELS4_3ELS4_3ELNS0_20block_scan_algorithmE0ELj4294967295EEENS1_25partition_config_selectorILNS1_17partition_subalgoE4EjNS0_10empty_typeEbEEZZNS1_14partition_implILS8_4ELb0ES6_15HIP_vector_typeIjLj2EENS0_17counting_iteratorIjlEEPS9_SG_NS0_5tupleIJPjSI_NS0_16reverse_iteratorISI_EEEEENSH_IJSG_SG_SG_EEES9_SI_JZNS1_25segmented_radix_sort_implINS0_14default_configELb0EPKdPdPKlPlN2at6native12_GLOBAL__N_18offset_tEEE10hipError_tPvRmT1_PNSt15iterator_traitsIS12_E10value_typeET2_T3_PNS13_IS18_E10value_typeET4_jRbjT5_S1E_jjP12ihipStream_tbEUljE_ZNSN_ISO_Lb0ESQ_SR_ST_SU_SY_EESZ_S10_S11_S12_S16_S17_S18_S1B_S1C_jS1D_jS1E_S1E_jjS1G_bEUljE0_EEESZ_S10_S11_S18_S1C_S1E_T6_T7_T9_mT8_S1G_bDpT10_ENKUlT_T0_E_clISt17integral_constantIbLb1EES1U_EEDaS1P_S1Q_EUlS1P_E_NS1_11comp_targetILNS1_3genE4ELNS1_11target_archE910ELNS1_3gpuE8ELNS1_3repE0EEENS1_30default_config_static_selectorELNS0_4arch9wavefront6targetE0EEEvS12_,@function
_ZN7rocprim17ROCPRIM_400000_NS6detail17trampoline_kernelINS0_13select_configILj256ELj13ELNS0_17block_load_methodE3ELS4_3ELS4_3ELNS0_20block_scan_algorithmE0ELj4294967295EEENS1_25partition_config_selectorILNS1_17partition_subalgoE4EjNS0_10empty_typeEbEEZZNS1_14partition_implILS8_4ELb0ES6_15HIP_vector_typeIjLj2EENS0_17counting_iteratorIjlEEPS9_SG_NS0_5tupleIJPjSI_NS0_16reverse_iteratorISI_EEEEENSH_IJSG_SG_SG_EEES9_SI_JZNS1_25segmented_radix_sort_implINS0_14default_configELb0EPKdPdPKlPlN2at6native12_GLOBAL__N_18offset_tEEE10hipError_tPvRmT1_PNSt15iterator_traitsIS12_E10value_typeET2_T3_PNS13_IS18_E10value_typeET4_jRbjT5_S1E_jjP12ihipStream_tbEUljE_ZNSN_ISO_Lb0ESQ_SR_ST_SU_SY_EESZ_S10_S11_S12_S16_S17_S18_S1B_S1C_jS1D_jS1E_S1E_jjS1G_bEUljE0_EEESZ_S10_S11_S18_S1C_S1E_T6_T7_T9_mT8_S1G_bDpT10_ENKUlT_T0_E_clISt17integral_constantIbLb1EES1U_EEDaS1P_S1Q_EUlS1P_E_NS1_11comp_targetILNS1_3genE4ELNS1_11target_archE910ELNS1_3gpuE8ELNS1_3repE0EEENS1_30default_config_static_selectorELNS0_4arch9wavefront6targetE0EEEvS12_: ; @_ZN7rocprim17ROCPRIM_400000_NS6detail17trampoline_kernelINS0_13select_configILj256ELj13ELNS0_17block_load_methodE3ELS4_3ELS4_3ELNS0_20block_scan_algorithmE0ELj4294967295EEENS1_25partition_config_selectorILNS1_17partition_subalgoE4EjNS0_10empty_typeEbEEZZNS1_14partition_implILS8_4ELb0ES6_15HIP_vector_typeIjLj2EENS0_17counting_iteratorIjlEEPS9_SG_NS0_5tupleIJPjSI_NS0_16reverse_iteratorISI_EEEEENSH_IJSG_SG_SG_EEES9_SI_JZNS1_25segmented_radix_sort_implINS0_14default_configELb0EPKdPdPKlPlN2at6native12_GLOBAL__N_18offset_tEEE10hipError_tPvRmT1_PNSt15iterator_traitsIS12_E10value_typeET2_T3_PNS13_IS18_E10value_typeET4_jRbjT5_S1E_jjP12ihipStream_tbEUljE_ZNSN_ISO_Lb0ESQ_SR_ST_SU_SY_EESZ_S10_S11_S12_S16_S17_S18_S1B_S1C_jS1D_jS1E_S1E_jjS1G_bEUljE0_EEESZ_S10_S11_S18_S1C_S1E_T6_T7_T9_mT8_S1G_bDpT10_ENKUlT_T0_E_clISt17integral_constantIbLb1EES1U_EEDaS1P_S1Q_EUlS1P_E_NS1_11comp_targetILNS1_3genE4ELNS1_11target_archE910ELNS1_3gpuE8ELNS1_3repE0EEENS1_30default_config_static_selectorELNS0_4arch9wavefront6targetE0EEEvS12_
; %bb.0:
	.section	.rodata,"a",@progbits
	.p2align	6, 0x0
	.amdhsa_kernel _ZN7rocprim17ROCPRIM_400000_NS6detail17trampoline_kernelINS0_13select_configILj256ELj13ELNS0_17block_load_methodE3ELS4_3ELS4_3ELNS0_20block_scan_algorithmE0ELj4294967295EEENS1_25partition_config_selectorILNS1_17partition_subalgoE4EjNS0_10empty_typeEbEEZZNS1_14partition_implILS8_4ELb0ES6_15HIP_vector_typeIjLj2EENS0_17counting_iteratorIjlEEPS9_SG_NS0_5tupleIJPjSI_NS0_16reverse_iteratorISI_EEEEENSH_IJSG_SG_SG_EEES9_SI_JZNS1_25segmented_radix_sort_implINS0_14default_configELb0EPKdPdPKlPlN2at6native12_GLOBAL__N_18offset_tEEE10hipError_tPvRmT1_PNSt15iterator_traitsIS12_E10value_typeET2_T3_PNS13_IS18_E10value_typeET4_jRbjT5_S1E_jjP12ihipStream_tbEUljE_ZNSN_ISO_Lb0ESQ_SR_ST_SU_SY_EESZ_S10_S11_S12_S16_S17_S18_S1B_S1C_jS1D_jS1E_S1E_jjS1G_bEUljE0_EEESZ_S10_S11_S18_S1C_S1E_T6_T7_T9_mT8_S1G_bDpT10_ENKUlT_T0_E_clISt17integral_constantIbLb1EES1U_EEDaS1P_S1Q_EUlS1P_E_NS1_11comp_targetILNS1_3genE4ELNS1_11target_archE910ELNS1_3gpuE8ELNS1_3repE0EEENS1_30default_config_static_selectorELNS0_4arch9wavefront6targetE0EEEvS12_
		.amdhsa_group_segment_fixed_size 0
		.amdhsa_private_segment_fixed_size 0
		.amdhsa_kernarg_size 184
		.amdhsa_user_sgpr_count 6
		.amdhsa_user_sgpr_private_segment_buffer 1
		.amdhsa_user_sgpr_dispatch_ptr 0
		.amdhsa_user_sgpr_queue_ptr 0
		.amdhsa_user_sgpr_kernarg_segment_ptr 1
		.amdhsa_user_sgpr_dispatch_id 0
		.amdhsa_user_sgpr_flat_scratch_init 0
		.amdhsa_user_sgpr_private_segment_size 0
		.amdhsa_wavefront_size32 1
		.amdhsa_uses_dynamic_stack 0
		.amdhsa_system_sgpr_private_segment_wavefront_offset 0
		.amdhsa_system_sgpr_workgroup_id_x 1
		.amdhsa_system_sgpr_workgroup_id_y 0
		.amdhsa_system_sgpr_workgroup_id_z 0
		.amdhsa_system_sgpr_workgroup_info 0
		.amdhsa_system_vgpr_workitem_id 0
		.amdhsa_next_free_vgpr 1
		.amdhsa_next_free_sgpr 1
		.amdhsa_reserve_vcc 0
		.amdhsa_reserve_flat_scratch 0
		.amdhsa_float_round_mode_32 0
		.amdhsa_float_round_mode_16_64 0
		.amdhsa_float_denorm_mode_32 3
		.amdhsa_float_denorm_mode_16_64 3
		.amdhsa_dx10_clamp 1
		.amdhsa_ieee_mode 1
		.amdhsa_fp16_overflow 0
		.amdhsa_workgroup_processor_mode 1
		.amdhsa_memory_ordered 1
		.amdhsa_forward_progress 1
		.amdhsa_shared_vgpr_count 0
		.amdhsa_exception_fp_ieee_invalid_op 0
		.amdhsa_exception_fp_denorm_src 0
		.amdhsa_exception_fp_ieee_div_zero 0
		.amdhsa_exception_fp_ieee_overflow 0
		.amdhsa_exception_fp_ieee_underflow 0
		.amdhsa_exception_fp_ieee_inexact 0
		.amdhsa_exception_int_div_zero 0
	.end_amdhsa_kernel
	.section	.text._ZN7rocprim17ROCPRIM_400000_NS6detail17trampoline_kernelINS0_13select_configILj256ELj13ELNS0_17block_load_methodE3ELS4_3ELS4_3ELNS0_20block_scan_algorithmE0ELj4294967295EEENS1_25partition_config_selectorILNS1_17partition_subalgoE4EjNS0_10empty_typeEbEEZZNS1_14partition_implILS8_4ELb0ES6_15HIP_vector_typeIjLj2EENS0_17counting_iteratorIjlEEPS9_SG_NS0_5tupleIJPjSI_NS0_16reverse_iteratorISI_EEEEENSH_IJSG_SG_SG_EEES9_SI_JZNS1_25segmented_radix_sort_implINS0_14default_configELb0EPKdPdPKlPlN2at6native12_GLOBAL__N_18offset_tEEE10hipError_tPvRmT1_PNSt15iterator_traitsIS12_E10value_typeET2_T3_PNS13_IS18_E10value_typeET4_jRbjT5_S1E_jjP12ihipStream_tbEUljE_ZNSN_ISO_Lb0ESQ_SR_ST_SU_SY_EESZ_S10_S11_S12_S16_S17_S18_S1B_S1C_jS1D_jS1E_S1E_jjS1G_bEUljE0_EEESZ_S10_S11_S18_S1C_S1E_T6_T7_T9_mT8_S1G_bDpT10_ENKUlT_T0_E_clISt17integral_constantIbLb1EES1U_EEDaS1P_S1Q_EUlS1P_E_NS1_11comp_targetILNS1_3genE4ELNS1_11target_archE910ELNS1_3gpuE8ELNS1_3repE0EEENS1_30default_config_static_selectorELNS0_4arch9wavefront6targetE0EEEvS12_,"axG",@progbits,_ZN7rocprim17ROCPRIM_400000_NS6detail17trampoline_kernelINS0_13select_configILj256ELj13ELNS0_17block_load_methodE3ELS4_3ELS4_3ELNS0_20block_scan_algorithmE0ELj4294967295EEENS1_25partition_config_selectorILNS1_17partition_subalgoE4EjNS0_10empty_typeEbEEZZNS1_14partition_implILS8_4ELb0ES6_15HIP_vector_typeIjLj2EENS0_17counting_iteratorIjlEEPS9_SG_NS0_5tupleIJPjSI_NS0_16reverse_iteratorISI_EEEEENSH_IJSG_SG_SG_EEES9_SI_JZNS1_25segmented_radix_sort_implINS0_14default_configELb0EPKdPdPKlPlN2at6native12_GLOBAL__N_18offset_tEEE10hipError_tPvRmT1_PNSt15iterator_traitsIS12_E10value_typeET2_T3_PNS13_IS18_E10value_typeET4_jRbjT5_S1E_jjP12ihipStream_tbEUljE_ZNSN_ISO_Lb0ESQ_SR_ST_SU_SY_EESZ_S10_S11_S12_S16_S17_S18_S1B_S1C_jS1D_jS1E_S1E_jjS1G_bEUljE0_EEESZ_S10_S11_S18_S1C_S1E_T6_T7_T9_mT8_S1G_bDpT10_ENKUlT_T0_E_clISt17integral_constantIbLb1EES1U_EEDaS1P_S1Q_EUlS1P_E_NS1_11comp_targetILNS1_3genE4ELNS1_11target_archE910ELNS1_3gpuE8ELNS1_3repE0EEENS1_30default_config_static_selectorELNS0_4arch9wavefront6targetE0EEEvS12_,comdat
.Lfunc_end1159:
	.size	_ZN7rocprim17ROCPRIM_400000_NS6detail17trampoline_kernelINS0_13select_configILj256ELj13ELNS0_17block_load_methodE3ELS4_3ELS4_3ELNS0_20block_scan_algorithmE0ELj4294967295EEENS1_25partition_config_selectorILNS1_17partition_subalgoE4EjNS0_10empty_typeEbEEZZNS1_14partition_implILS8_4ELb0ES6_15HIP_vector_typeIjLj2EENS0_17counting_iteratorIjlEEPS9_SG_NS0_5tupleIJPjSI_NS0_16reverse_iteratorISI_EEEEENSH_IJSG_SG_SG_EEES9_SI_JZNS1_25segmented_radix_sort_implINS0_14default_configELb0EPKdPdPKlPlN2at6native12_GLOBAL__N_18offset_tEEE10hipError_tPvRmT1_PNSt15iterator_traitsIS12_E10value_typeET2_T3_PNS13_IS18_E10value_typeET4_jRbjT5_S1E_jjP12ihipStream_tbEUljE_ZNSN_ISO_Lb0ESQ_SR_ST_SU_SY_EESZ_S10_S11_S12_S16_S17_S18_S1B_S1C_jS1D_jS1E_S1E_jjS1G_bEUljE0_EEESZ_S10_S11_S18_S1C_S1E_T6_T7_T9_mT8_S1G_bDpT10_ENKUlT_T0_E_clISt17integral_constantIbLb1EES1U_EEDaS1P_S1Q_EUlS1P_E_NS1_11comp_targetILNS1_3genE4ELNS1_11target_archE910ELNS1_3gpuE8ELNS1_3repE0EEENS1_30default_config_static_selectorELNS0_4arch9wavefront6targetE0EEEvS12_, .Lfunc_end1159-_ZN7rocprim17ROCPRIM_400000_NS6detail17trampoline_kernelINS0_13select_configILj256ELj13ELNS0_17block_load_methodE3ELS4_3ELS4_3ELNS0_20block_scan_algorithmE0ELj4294967295EEENS1_25partition_config_selectorILNS1_17partition_subalgoE4EjNS0_10empty_typeEbEEZZNS1_14partition_implILS8_4ELb0ES6_15HIP_vector_typeIjLj2EENS0_17counting_iteratorIjlEEPS9_SG_NS0_5tupleIJPjSI_NS0_16reverse_iteratorISI_EEEEENSH_IJSG_SG_SG_EEES9_SI_JZNS1_25segmented_radix_sort_implINS0_14default_configELb0EPKdPdPKlPlN2at6native12_GLOBAL__N_18offset_tEEE10hipError_tPvRmT1_PNSt15iterator_traitsIS12_E10value_typeET2_T3_PNS13_IS18_E10value_typeET4_jRbjT5_S1E_jjP12ihipStream_tbEUljE_ZNSN_ISO_Lb0ESQ_SR_ST_SU_SY_EESZ_S10_S11_S12_S16_S17_S18_S1B_S1C_jS1D_jS1E_S1E_jjS1G_bEUljE0_EEESZ_S10_S11_S18_S1C_S1E_T6_T7_T9_mT8_S1G_bDpT10_ENKUlT_T0_E_clISt17integral_constantIbLb1EES1U_EEDaS1P_S1Q_EUlS1P_E_NS1_11comp_targetILNS1_3genE4ELNS1_11target_archE910ELNS1_3gpuE8ELNS1_3repE0EEENS1_30default_config_static_selectorELNS0_4arch9wavefront6targetE0EEEvS12_
                                        ; -- End function
	.set _ZN7rocprim17ROCPRIM_400000_NS6detail17trampoline_kernelINS0_13select_configILj256ELj13ELNS0_17block_load_methodE3ELS4_3ELS4_3ELNS0_20block_scan_algorithmE0ELj4294967295EEENS1_25partition_config_selectorILNS1_17partition_subalgoE4EjNS0_10empty_typeEbEEZZNS1_14partition_implILS8_4ELb0ES6_15HIP_vector_typeIjLj2EENS0_17counting_iteratorIjlEEPS9_SG_NS0_5tupleIJPjSI_NS0_16reverse_iteratorISI_EEEEENSH_IJSG_SG_SG_EEES9_SI_JZNS1_25segmented_radix_sort_implINS0_14default_configELb0EPKdPdPKlPlN2at6native12_GLOBAL__N_18offset_tEEE10hipError_tPvRmT1_PNSt15iterator_traitsIS12_E10value_typeET2_T3_PNS13_IS18_E10value_typeET4_jRbjT5_S1E_jjP12ihipStream_tbEUljE_ZNSN_ISO_Lb0ESQ_SR_ST_SU_SY_EESZ_S10_S11_S12_S16_S17_S18_S1B_S1C_jS1D_jS1E_S1E_jjS1G_bEUljE0_EEESZ_S10_S11_S18_S1C_S1E_T6_T7_T9_mT8_S1G_bDpT10_ENKUlT_T0_E_clISt17integral_constantIbLb1EES1U_EEDaS1P_S1Q_EUlS1P_E_NS1_11comp_targetILNS1_3genE4ELNS1_11target_archE910ELNS1_3gpuE8ELNS1_3repE0EEENS1_30default_config_static_selectorELNS0_4arch9wavefront6targetE0EEEvS12_.num_vgpr, 0
	.set _ZN7rocprim17ROCPRIM_400000_NS6detail17trampoline_kernelINS0_13select_configILj256ELj13ELNS0_17block_load_methodE3ELS4_3ELS4_3ELNS0_20block_scan_algorithmE0ELj4294967295EEENS1_25partition_config_selectorILNS1_17partition_subalgoE4EjNS0_10empty_typeEbEEZZNS1_14partition_implILS8_4ELb0ES6_15HIP_vector_typeIjLj2EENS0_17counting_iteratorIjlEEPS9_SG_NS0_5tupleIJPjSI_NS0_16reverse_iteratorISI_EEEEENSH_IJSG_SG_SG_EEES9_SI_JZNS1_25segmented_radix_sort_implINS0_14default_configELb0EPKdPdPKlPlN2at6native12_GLOBAL__N_18offset_tEEE10hipError_tPvRmT1_PNSt15iterator_traitsIS12_E10value_typeET2_T3_PNS13_IS18_E10value_typeET4_jRbjT5_S1E_jjP12ihipStream_tbEUljE_ZNSN_ISO_Lb0ESQ_SR_ST_SU_SY_EESZ_S10_S11_S12_S16_S17_S18_S1B_S1C_jS1D_jS1E_S1E_jjS1G_bEUljE0_EEESZ_S10_S11_S18_S1C_S1E_T6_T7_T9_mT8_S1G_bDpT10_ENKUlT_T0_E_clISt17integral_constantIbLb1EES1U_EEDaS1P_S1Q_EUlS1P_E_NS1_11comp_targetILNS1_3genE4ELNS1_11target_archE910ELNS1_3gpuE8ELNS1_3repE0EEENS1_30default_config_static_selectorELNS0_4arch9wavefront6targetE0EEEvS12_.num_agpr, 0
	.set _ZN7rocprim17ROCPRIM_400000_NS6detail17trampoline_kernelINS0_13select_configILj256ELj13ELNS0_17block_load_methodE3ELS4_3ELS4_3ELNS0_20block_scan_algorithmE0ELj4294967295EEENS1_25partition_config_selectorILNS1_17partition_subalgoE4EjNS0_10empty_typeEbEEZZNS1_14partition_implILS8_4ELb0ES6_15HIP_vector_typeIjLj2EENS0_17counting_iteratorIjlEEPS9_SG_NS0_5tupleIJPjSI_NS0_16reverse_iteratorISI_EEEEENSH_IJSG_SG_SG_EEES9_SI_JZNS1_25segmented_radix_sort_implINS0_14default_configELb0EPKdPdPKlPlN2at6native12_GLOBAL__N_18offset_tEEE10hipError_tPvRmT1_PNSt15iterator_traitsIS12_E10value_typeET2_T3_PNS13_IS18_E10value_typeET4_jRbjT5_S1E_jjP12ihipStream_tbEUljE_ZNSN_ISO_Lb0ESQ_SR_ST_SU_SY_EESZ_S10_S11_S12_S16_S17_S18_S1B_S1C_jS1D_jS1E_S1E_jjS1G_bEUljE0_EEESZ_S10_S11_S18_S1C_S1E_T6_T7_T9_mT8_S1G_bDpT10_ENKUlT_T0_E_clISt17integral_constantIbLb1EES1U_EEDaS1P_S1Q_EUlS1P_E_NS1_11comp_targetILNS1_3genE4ELNS1_11target_archE910ELNS1_3gpuE8ELNS1_3repE0EEENS1_30default_config_static_selectorELNS0_4arch9wavefront6targetE0EEEvS12_.numbered_sgpr, 0
	.set _ZN7rocprim17ROCPRIM_400000_NS6detail17trampoline_kernelINS0_13select_configILj256ELj13ELNS0_17block_load_methodE3ELS4_3ELS4_3ELNS0_20block_scan_algorithmE0ELj4294967295EEENS1_25partition_config_selectorILNS1_17partition_subalgoE4EjNS0_10empty_typeEbEEZZNS1_14partition_implILS8_4ELb0ES6_15HIP_vector_typeIjLj2EENS0_17counting_iteratorIjlEEPS9_SG_NS0_5tupleIJPjSI_NS0_16reverse_iteratorISI_EEEEENSH_IJSG_SG_SG_EEES9_SI_JZNS1_25segmented_radix_sort_implINS0_14default_configELb0EPKdPdPKlPlN2at6native12_GLOBAL__N_18offset_tEEE10hipError_tPvRmT1_PNSt15iterator_traitsIS12_E10value_typeET2_T3_PNS13_IS18_E10value_typeET4_jRbjT5_S1E_jjP12ihipStream_tbEUljE_ZNSN_ISO_Lb0ESQ_SR_ST_SU_SY_EESZ_S10_S11_S12_S16_S17_S18_S1B_S1C_jS1D_jS1E_S1E_jjS1G_bEUljE0_EEESZ_S10_S11_S18_S1C_S1E_T6_T7_T9_mT8_S1G_bDpT10_ENKUlT_T0_E_clISt17integral_constantIbLb1EES1U_EEDaS1P_S1Q_EUlS1P_E_NS1_11comp_targetILNS1_3genE4ELNS1_11target_archE910ELNS1_3gpuE8ELNS1_3repE0EEENS1_30default_config_static_selectorELNS0_4arch9wavefront6targetE0EEEvS12_.num_named_barrier, 0
	.set _ZN7rocprim17ROCPRIM_400000_NS6detail17trampoline_kernelINS0_13select_configILj256ELj13ELNS0_17block_load_methodE3ELS4_3ELS4_3ELNS0_20block_scan_algorithmE0ELj4294967295EEENS1_25partition_config_selectorILNS1_17partition_subalgoE4EjNS0_10empty_typeEbEEZZNS1_14partition_implILS8_4ELb0ES6_15HIP_vector_typeIjLj2EENS0_17counting_iteratorIjlEEPS9_SG_NS0_5tupleIJPjSI_NS0_16reverse_iteratorISI_EEEEENSH_IJSG_SG_SG_EEES9_SI_JZNS1_25segmented_radix_sort_implINS0_14default_configELb0EPKdPdPKlPlN2at6native12_GLOBAL__N_18offset_tEEE10hipError_tPvRmT1_PNSt15iterator_traitsIS12_E10value_typeET2_T3_PNS13_IS18_E10value_typeET4_jRbjT5_S1E_jjP12ihipStream_tbEUljE_ZNSN_ISO_Lb0ESQ_SR_ST_SU_SY_EESZ_S10_S11_S12_S16_S17_S18_S1B_S1C_jS1D_jS1E_S1E_jjS1G_bEUljE0_EEESZ_S10_S11_S18_S1C_S1E_T6_T7_T9_mT8_S1G_bDpT10_ENKUlT_T0_E_clISt17integral_constantIbLb1EES1U_EEDaS1P_S1Q_EUlS1P_E_NS1_11comp_targetILNS1_3genE4ELNS1_11target_archE910ELNS1_3gpuE8ELNS1_3repE0EEENS1_30default_config_static_selectorELNS0_4arch9wavefront6targetE0EEEvS12_.private_seg_size, 0
	.set _ZN7rocprim17ROCPRIM_400000_NS6detail17trampoline_kernelINS0_13select_configILj256ELj13ELNS0_17block_load_methodE3ELS4_3ELS4_3ELNS0_20block_scan_algorithmE0ELj4294967295EEENS1_25partition_config_selectorILNS1_17partition_subalgoE4EjNS0_10empty_typeEbEEZZNS1_14partition_implILS8_4ELb0ES6_15HIP_vector_typeIjLj2EENS0_17counting_iteratorIjlEEPS9_SG_NS0_5tupleIJPjSI_NS0_16reverse_iteratorISI_EEEEENSH_IJSG_SG_SG_EEES9_SI_JZNS1_25segmented_radix_sort_implINS0_14default_configELb0EPKdPdPKlPlN2at6native12_GLOBAL__N_18offset_tEEE10hipError_tPvRmT1_PNSt15iterator_traitsIS12_E10value_typeET2_T3_PNS13_IS18_E10value_typeET4_jRbjT5_S1E_jjP12ihipStream_tbEUljE_ZNSN_ISO_Lb0ESQ_SR_ST_SU_SY_EESZ_S10_S11_S12_S16_S17_S18_S1B_S1C_jS1D_jS1E_S1E_jjS1G_bEUljE0_EEESZ_S10_S11_S18_S1C_S1E_T6_T7_T9_mT8_S1G_bDpT10_ENKUlT_T0_E_clISt17integral_constantIbLb1EES1U_EEDaS1P_S1Q_EUlS1P_E_NS1_11comp_targetILNS1_3genE4ELNS1_11target_archE910ELNS1_3gpuE8ELNS1_3repE0EEENS1_30default_config_static_selectorELNS0_4arch9wavefront6targetE0EEEvS12_.uses_vcc, 0
	.set _ZN7rocprim17ROCPRIM_400000_NS6detail17trampoline_kernelINS0_13select_configILj256ELj13ELNS0_17block_load_methodE3ELS4_3ELS4_3ELNS0_20block_scan_algorithmE0ELj4294967295EEENS1_25partition_config_selectorILNS1_17partition_subalgoE4EjNS0_10empty_typeEbEEZZNS1_14partition_implILS8_4ELb0ES6_15HIP_vector_typeIjLj2EENS0_17counting_iteratorIjlEEPS9_SG_NS0_5tupleIJPjSI_NS0_16reverse_iteratorISI_EEEEENSH_IJSG_SG_SG_EEES9_SI_JZNS1_25segmented_radix_sort_implINS0_14default_configELb0EPKdPdPKlPlN2at6native12_GLOBAL__N_18offset_tEEE10hipError_tPvRmT1_PNSt15iterator_traitsIS12_E10value_typeET2_T3_PNS13_IS18_E10value_typeET4_jRbjT5_S1E_jjP12ihipStream_tbEUljE_ZNSN_ISO_Lb0ESQ_SR_ST_SU_SY_EESZ_S10_S11_S12_S16_S17_S18_S1B_S1C_jS1D_jS1E_S1E_jjS1G_bEUljE0_EEESZ_S10_S11_S18_S1C_S1E_T6_T7_T9_mT8_S1G_bDpT10_ENKUlT_T0_E_clISt17integral_constantIbLb1EES1U_EEDaS1P_S1Q_EUlS1P_E_NS1_11comp_targetILNS1_3genE4ELNS1_11target_archE910ELNS1_3gpuE8ELNS1_3repE0EEENS1_30default_config_static_selectorELNS0_4arch9wavefront6targetE0EEEvS12_.uses_flat_scratch, 0
	.set _ZN7rocprim17ROCPRIM_400000_NS6detail17trampoline_kernelINS0_13select_configILj256ELj13ELNS0_17block_load_methodE3ELS4_3ELS4_3ELNS0_20block_scan_algorithmE0ELj4294967295EEENS1_25partition_config_selectorILNS1_17partition_subalgoE4EjNS0_10empty_typeEbEEZZNS1_14partition_implILS8_4ELb0ES6_15HIP_vector_typeIjLj2EENS0_17counting_iteratorIjlEEPS9_SG_NS0_5tupleIJPjSI_NS0_16reverse_iteratorISI_EEEEENSH_IJSG_SG_SG_EEES9_SI_JZNS1_25segmented_radix_sort_implINS0_14default_configELb0EPKdPdPKlPlN2at6native12_GLOBAL__N_18offset_tEEE10hipError_tPvRmT1_PNSt15iterator_traitsIS12_E10value_typeET2_T3_PNS13_IS18_E10value_typeET4_jRbjT5_S1E_jjP12ihipStream_tbEUljE_ZNSN_ISO_Lb0ESQ_SR_ST_SU_SY_EESZ_S10_S11_S12_S16_S17_S18_S1B_S1C_jS1D_jS1E_S1E_jjS1G_bEUljE0_EEESZ_S10_S11_S18_S1C_S1E_T6_T7_T9_mT8_S1G_bDpT10_ENKUlT_T0_E_clISt17integral_constantIbLb1EES1U_EEDaS1P_S1Q_EUlS1P_E_NS1_11comp_targetILNS1_3genE4ELNS1_11target_archE910ELNS1_3gpuE8ELNS1_3repE0EEENS1_30default_config_static_selectorELNS0_4arch9wavefront6targetE0EEEvS12_.has_dyn_sized_stack, 0
	.set _ZN7rocprim17ROCPRIM_400000_NS6detail17trampoline_kernelINS0_13select_configILj256ELj13ELNS0_17block_load_methodE3ELS4_3ELS4_3ELNS0_20block_scan_algorithmE0ELj4294967295EEENS1_25partition_config_selectorILNS1_17partition_subalgoE4EjNS0_10empty_typeEbEEZZNS1_14partition_implILS8_4ELb0ES6_15HIP_vector_typeIjLj2EENS0_17counting_iteratorIjlEEPS9_SG_NS0_5tupleIJPjSI_NS0_16reverse_iteratorISI_EEEEENSH_IJSG_SG_SG_EEES9_SI_JZNS1_25segmented_radix_sort_implINS0_14default_configELb0EPKdPdPKlPlN2at6native12_GLOBAL__N_18offset_tEEE10hipError_tPvRmT1_PNSt15iterator_traitsIS12_E10value_typeET2_T3_PNS13_IS18_E10value_typeET4_jRbjT5_S1E_jjP12ihipStream_tbEUljE_ZNSN_ISO_Lb0ESQ_SR_ST_SU_SY_EESZ_S10_S11_S12_S16_S17_S18_S1B_S1C_jS1D_jS1E_S1E_jjS1G_bEUljE0_EEESZ_S10_S11_S18_S1C_S1E_T6_T7_T9_mT8_S1G_bDpT10_ENKUlT_T0_E_clISt17integral_constantIbLb1EES1U_EEDaS1P_S1Q_EUlS1P_E_NS1_11comp_targetILNS1_3genE4ELNS1_11target_archE910ELNS1_3gpuE8ELNS1_3repE0EEENS1_30default_config_static_selectorELNS0_4arch9wavefront6targetE0EEEvS12_.has_recursion, 0
	.set _ZN7rocprim17ROCPRIM_400000_NS6detail17trampoline_kernelINS0_13select_configILj256ELj13ELNS0_17block_load_methodE3ELS4_3ELS4_3ELNS0_20block_scan_algorithmE0ELj4294967295EEENS1_25partition_config_selectorILNS1_17partition_subalgoE4EjNS0_10empty_typeEbEEZZNS1_14partition_implILS8_4ELb0ES6_15HIP_vector_typeIjLj2EENS0_17counting_iteratorIjlEEPS9_SG_NS0_5tupleIJPjSI_NS0_16reverse_iteratorISI_EEEEENSH_IJSG_SG_SG_EEES9_SI_JZNS1_25segmented_radix_sort_implINS0_14default_configELb0EPKdPdPKlPlN2at6native12_GLOBAL__N_18offset_tEEE10hipError_tPvRmT1_PNSt15iterator_traitsIS12_E10value_typeET2_T3_PNS13_IS18_E10value_typeET4_jRbjT5_S1E_jjP12ihipStream_tbEUljE_ZNSN_ISO_Lb0ESQ_SR_ST_SU_SY_EESZ_S10_S11_S12_S16_S17_S18_S1B_S1C_jS1D_jS1E_S1E_jjS1G_bEUljE0_EEESZ_S10_S11_S18_S1C_S1E_T6_T7_T9_mT8_S1G_bDpT10_ENKUlT_T0_E_clISt17integral_constantIbLb1EES1U_EEDaS1P_S1Q_EUlS1P_E_NS1_11comp_targetILNS1_3genE4ELNS1_11target_archE910ELNS1_3gpuE8ELNS1_3repE0EEENS1_30default_config_static_selectorELNS0_4arch9wavefront6targetE0EEEvS12_.has_indirect_call, 0
	.section	.AMDGPU.csdata,"",@progbits
; Kernel info:
; codeLenInByte = 0
; TotalNumSgprs: 0
; NumVgprs: 0
; ScratchSize: 0
; MemoryBound: 0
; FloatMode: 240
; IeeeMode: 1
; LDSByteSize: 0 bytes/workgroup (compile time only)
; SGPRBlocks: 0
; VGPRBlocks: 0
; NumSGPRsForWavesPerEU: 1
; NumVGPRsForWavesPerEU: 1
; Occupancy: 16
; WaveLimiterHint : 0
; COMPUTE_PGM_RSRC2:SCRATCH_EN: 0
; COMPUTE_PGM_RSRC2:USER_SGPR: 6
; COMPUTE_PGM_RSRC2:TRAP_HANDLER: 0
; COMPUTE_PGM_RSRC2:TGID_X_EN: 1
; COMPUTE_PGM_RSRC2:TGID_Y_EN: 0
; COMPUTE_PGM_RSRC2:TGID_Z_EN: 0
; COMPUTE_PGM_RSRC2:TIDIG_COMP_CNT: 0
	.section	.text._ZN7rocprim17ROCPRIM_400000_NS6detail17trampoline_kernelINS0_13select_configILj256ELj13ELNS0_17block_load_methodE3ELS4_3ELS4_3ELNS0_20block_scan_algorithmE0ELj4294967295EEENS1_25partition_config_selectorILNS1_17partition_subalgoE4EjNS0_10empty_typeEbEEZZNS1_14partition_implILS8_4ELb0ES6_15HIP_vector_typeIjLj2EENS0_17counting_iteratorIjlEEPS9_SG_NS0_5tupleIJPjSI_NS0_16reverse_iteratorISI_EEEEENSH_IJSG_SG_SG_EEES9_SI_JZNS1_25segmented_radix_sort_implINS0_14default_configELb0EPKdPdPKlPlN2at6native12_GLOBAL__N_18offset_tEEE10hipError_tPvRmT1_PNSt15iterator_traitsIS12_E10value_typeET2_T3_PNS13_IS18_E10value_typeET4_jRbjT5_S1E_jjP12ihipStream_tbEUljE_ZNSN_ISO_Lb0ESQ_SR_ST_SU_SY_EESZ_S10_S11_S12_S16_S17_S18_S1B_S1C_jS1D_jS1E_S1E_jjS1G_bEUljE0_EEESZ_S10_S11_S18_S1C_S1E_T6_T7_T9_mT8_S1G_bDpT10_ENKUlT_T0_E_clISt17integral_constantIbLb1EES1U_EEDaS1P_S1Q_EUlS1P_E_NS1_11comp_targetILNS1_3genE3ELNS1_11target_archE908ELNS1_3gpuE7ELNS1_3repE0EEENS1_30default_config_static_selectorELNS0_4arch9wavefront6targetE0EEEvS12_,"axG",@progbits,_ZN7rocprim17ROCPRIM_400000_NS6detail17trampoline_kernelINS0_13select_configILj256ELj13ELNS0_17block_load_methodE3ELS4_3ELS4_3ELNS0_20block_scan_algorithmE0ELj4294967295EEENS1_25partition_config_selectorILNS1_17partition_subalgoE4EjNS0_10empty_typeEbEEZZNS1_14partition_implILS8_4ELb0ES6_15HIP_vector_typeIjLj2EENS0_17counting_iteratorIjlEEPS9_SG_NS0_5tupleIJPjSI_NS0_16reverse_iteratorISI_EEEEENSH_IJSG_SG_SG_EEES9_SI_JZNS1_25segmented_radix_sort_implINS0_14default_configELb0EPKdPdPKlPlN2at6native12_GLOBAL__N_18offset_tEEE10hipError_tPvRmT1_PNSt15iterator_traitsIS12_E10value_typeET2_T3_PNS13_IS18_E10value_typeET4_jRbjT5_S1E_jjP12ihipStream_tbEUljE_ZNSN_ISO_Lb0ESQ_SR_ST_SU_SY_EESZ_S10_S11_S12_S16_S17_S18_S1B_S1C_jS1D_jS1E_S1E_jjS1G_bEUljE0_EEESZ_S10_S11_S18_S1C_S1E_T6_T7_T9_mT8_S1G_bDpT10_ENKUlT_T0_E_clISt17integral_constantIbLb1EES1U_EEDaS1P_S1Q_EUlS1P_E_NS1_11comp_targetILNS1_3genE3ELNS1_11target_archE908ELNS1_3gpuE7ELNS1_3repE0EEENS1_30default_config_static_selectorELNS0_4arch9wavefront6targetE0EEEvS12_,comdat
	.globl	_ZN7rocprim17ROCPRIM_400000_NS6detail17trampoline_kernelINS0_13select_configILj256ELj13ELNS0_17block_load_methodE3ELS4_3ELS4_3ELNS0_20block_scan_algorithmE0ELj4294967295EEENS1_25partition_config_selectorILNS1_17partition_subalgoE4EjNS0_10empty_typeEbEEZZNS1_14partition_implILS8_4ELb0ES6_15HIP_vector_typeIjLj2EENS0_17counting_iteratorIjlEEPS9_SG_NS0_5tupleIJPjSI_NS0_16reverse_iteratorISI_EEEEENSH_IJSG_SG_SG_EEES9_SI_JZNS1_25segmented_radix_sort_implINS0_14default_configELb0EPKdPdPKlPlN2at6native12_GLOBAL__N_18offset_tEEE10hipError_tPvRmT1_PNSt15iterator_traitsIS12_E10value_typeET2_T3_PNS13_IS18_E10value_typeET4_jRbjT5_S1E_jjP12ihipStream_tbEUljE_ZNSN_ISO_Lb0ESQ_SR_ST_SU_SY_EESZ_S10_S11_S12_S16_S17_S18_S1B_S1C_jS1D_jS1E_S1E_jjS1G_bEUljE0_EEESZ_S10_S11_S18_S1C_S1E_T6_T7_T9_mT8_S1G_bDpT10_ENKUlT_T0_E_clISt17integral_constantIbLb1EES1U_EEDaS1P_S1Q_EUlS1P_E_NS1_11comp_targetILNS1_3genE3ELNS1_11target_archE908ELNS1_3gpuE7ELNS1_3repE0EEENS1_30default_config_static_selectorELNS0_4arch9wavefront6targetE0EEEvS12_ ; -- Begin function _ZN7rocprim17ROCPRIM_400000_NS6detail17trampoline_kernelINS0_13select_configILj256ELj13ELNS0_17block_load_methodE3ELS4_3ELS4_3ELNS0_20block_scan_algorithmE0ELj4294967295EEENS1_25partition_config_selectorILNS1_17partition_subalgoE4EjNS0_10empty_typeEbEEZZNS1_14partition_implILS8_4ELb0ES6_15HIP_vector_typeIjLj2EENS0_17counting_iteratorIjlEEPS9_SG_NS0_5tupleIJPjSI_NS0_16reverse_iteratorISI_EEEEENSH_IJSG_SG_SG_EEES9_SI_JZNS1_25segmented_radix_sort_implINS0_14default_configELb0EPKdPdPKlPlN2at6native12_GLOBAL__N_18offset_tEEE10hipError_tPvRmT1_PNSt15iterator_traitsIS12_E10value_typeET2_T3_PNS13_IS18_E10value_typeET4_jRbjT5_S1E_jjP12ihipStream_tbEUljE_ZNSN_ISO_Lb0ESQ_SR_ST_SU_SY_EESZ_S10_S11_S12_S16_S17_S18_S1B_S1C_jS1D_jS1E_S1E_jjS1G_bEUljE0_EEESZ_S10_S11_S18_S1C_S1E_T6_T7_T9_mT8_S1G_bDpT10_ENKUlT_T0_E_clISt17integral_constantIbLb1EES1U_EEDaS1P_S1Q_EUlS1P_E_NS1_11comp_targetILNS1_3genE3ELNS1_11target_archE908ELNS1_3gpuE7ELNS1_3repE0EEENS1_30default_config_static_selectorELNS0_4arch9wavefront6targetE0EEEvS12_
	.p2align	8
	.type	_ZN7rocprim17ROCPRIM_400000_NS6detail17trampoline_kernelINS0_13select_configILj256ELj13ELNS0_17block_load_methodE3ELS4_3ELS4_3ELNS0_20block_scan_algorithmE0ELj4294967295EEENS1_25partition_config_selectorILNS1_17partition_subalgoE4EjNS0_10empty_typeEbEEZZNS1_14partition_implILS8_4ELb0ES6_15HIP_vector_typeIjLj2EENS0_17counting_iteratorIjlEEPS9_SG_NS0_5tupleIJPjSI_NS0_16reverse_iteratorISI_EEEEENSH_IJSG_SG_SG_EEES9_SI_JZNS1_25segmented_radix_sort_implINS0_14default_configELb0EPKdPdPKlPlN2at6native12_GLOBAL__N_18offset_tEEE10hipError_tPvRmT1_PNSt15iterator_traitsIS12_E10value_typeET2_T3_PNS13_IS18_E10value_typeET4_jRbjT5_S1E_jjP12ihipStream_tbEUljE_ZNSN_ISO_Lb0ESQ_SR_ST_SU_SY_EESZ_S10_S11_S12_S16_S17_S18_S1B_S1C_jS1D_jS1E_S1E_jjS1G_bEUljE0_EEESZ_S10_S11_S18_S1C_S1E_T6_T7_T9_mT8_S1G_bDpT10_ENKUlT_T0_E_clISt17integral_constantIbLb1EES1U_EEDaS1P_S1Q_EUlS1P_E_NS1_11comp_targetILNS1_3genE3ELNS1_11target_archE908ELNS1_3gpuE7ELNS1_3repE0EEENS1_30default_config_static_selectorELNS0_4arch9wavefront6targetE0EEEvS12_,@function
_ZN7rocprim17ROCPRIM_400000_NS6detail17trampoline_kernelINS0_13select_configILj256ELj13ELNS0_17block_load_methodE3ELS4_3ELS4_3ELNS0_20block_scan_algorithmE0ELj4294967295EEENS1_25partition_config_selectorILNS1_17partition_subalgoE4EjNS0_10empty_typeEbEEZZNS1_14partition_implILS8_4ELb0ES6_15HIP_vector_typeIjLj2EENS0_17counting_iteratorIjlEEPS9_SG_NS0_5tupleIJPjSI_NS0_16reverse_iteratorISI_EEEEENSH_IJSG_SG_SG_EEES9_SI_JZNS1_25segmented_radix_sort_implINS0_14default_configELb0EPKdPdPKlPlN2at6native12_GLOBAL__N_18offset_tEEE10hipError_tPvRmT1_PNSt15iterator_traitsIS12_E10value_typeET2_T3_PNS13_IS18_E10value_typeET4_jRbjT5_S1E_jjP12ihipStream_tbEUljE_ZNSN_ISO_Lb0ESQ_SR_ST_SU_SY_EESZ_S10_S11_S12_S16_S17_S18_S1B_S1C_jS1D_jS1E_S1E_jjS1G_bEUljE0_EEESZ_S10_S11_S18_S1C_S1E_T6_T7_T9_mT8_S1G_bDpT10_ENKUlT_T0_E_clISt17integral_constantIbLb1EES1U_EEDaS1P_S1Q_EUlS1P_E_NS1_11comp_targetILNS1_3genE3ELNS1_11target_archE908ELNS1_3gpuE7ELNS1_3repE0EEENS1_30default_config_static_selectorELNS0_4arch9wavefront6targetE0EEEvS12_: ; @_ZN7rocprim17ROCPRIM_400000_NS6detail17trampoline_kernelINS0_13select_configILj256ELj13ELNS0_17block_load_methodE3ELS4_3ELS4_3ELNS0_20block_scan_algorithmE0ELj4294967295EEENS1_25partition_config_selectorILNS1_17partition_subalgoE4EjNS0_10empty_typeEbEEZZNS1_14partition_implILS8_4ELb0ES6_15HIP_vector_typeIjLj2EENS0_17counting_iteratorIjlEEPS9_SG_NS0_5tupleIJPjSI_NS0_16reverse_iteratorISI_EEEEENSH_IJSG_SG_SG_EEES9_SI_JZNS1_25segmented_radix_sort_implINS0_14default_configELb0EPKdPdPKlPlN2at6native12_GLOBAL__N_18offset_tEEE10hipError_tPvRmT1_PNSt15iterator_traitsIS12_E10value_typeET2_T3_PNS13_IS18_E10value_typeET4_jRbjT5_S1E_jjP12ihipStream_tbEUljE_ZNSN_ISO_Lb0ESQ_SR_ST_SU_SY_EESZ_S10_S11_S12_S16_S17_S18_S1B_S1C_jS1D_jS1E_S1E_jjS1G_bEUljE0_EEESZ_S10_S11_S18_S1C_S1E_T6_T7_T9_mT8_S1G_bDpT10_ENKUlT_T0_E_clISt17integral_constantIbLb1EES1U_EEDaS1P_S1Q_EUlS1P_E_NS1_11comp_targetILNS1_3genE3ELNS1_11target_archE908ELNS1_3gpuE7ELNS1_3repE0EEENS1_30default_config_static_selectorELNS0_4arch9wavefront6targetE0EEEvS12_
; %bb.0:
	.section	.rodata,"a",@progbits
	.p2align	6, 0x0
	.amdhsa_kernel _ZN7rocprim17ROCPRIM_400000_NS6detail17trampoline_kernelINS0_13select_configILj256ELj13ELNS0_17block_load_methodE3ELS4_3ELS4_3ELNS0_20block_scan_algorithmE0ELj4294967295EEENS1_25partition_config_selectorILNS1_17partition_subalgoE4EjNS0_10empty_typeEbEEZZNS1_14partition_implILS8_4ELb0ES6_15HIP_vector_typeIjLj2EENS0_17counting_iteratorIjlEEPS9_SG_NS0_5tupleIJPjSI_NS0_16reverse_iteratorISI_EEEEENSH_IJSG_SG_SG_EEES9_SI_JZNS1_25segmented_radix_sort_implINS0_14default_configELb0EPKdPdPKlPlN2at6native12_GLOBAL__N_18offset_tEEE10hipError_tPvRmT1_PNSt15iterator_traitsIS12_E10value_typeET2_T3_PNS13_IS18_E10value_typeET4_jRbjT5_S1E_jjP12ihipStream_tbEUljE_ZNSN_ISO_Lb0ESQ_SR_ST_SU_SY_EESZ_S10_S11_S12_S16_S17_S18_S1B_S1C_jS1D_jS1E_S1E_jjS1G_bEUljE0_EEESZ_S10_S11_S18_S1C_S1E_T6_T7_T9_mT8_S1G_bDpT10_ENKUlT_T0_E_clISt17integral_constantIbLb1EES1U_EEDaS1P_S1Q_EUlS1P_E_NS1_11comp_targetILNS1_3genE3ELNS1_11target_archE908ELNS1_3gpuE7ELNS1_3repE0EEENS1_30default_config_static_selectorELNS0_4arch9wavefront6targetE0EEEvS12_
		.amdhsa_group_segment_fixed_size 0
		.amdhsa_private_segment_fixed_size 0
		.amdhsa_kernarg_size 184
		.amdhsa_user_sgpr_count 6
		.amdhsa_user_sgpr_private_segment_buffer 1
		.amdhsa_user_sgpr_dispatch_ptr 0
		.amdhsa_user_sgpr_queue_ptr 0
		.amdhsa_user_sgpr_kernarg_segment_ptr 1
		.amdhsa_user_sgpr_dispatch_id 0
		.amdhsa_user_sgpr_flat_scratch_init 0
		.amdhsa_user_sgpr_private_segment_size 0
		.amdhsa_wavefront_size32 1
		.amdhsa_uses_dynamic_stack 0
		.amdhsa_system_sgpr_private_segment_wavefront_offset 0
		.amdhsa_system_sgpr_workgroup_id_x 1
		.amdhsa_system_sgpr_workgroup_id_y 0
		.amdhsa_system_sgpr_workgroup_id_z 0
		.amdhsa_system_sgpr_workgroup_info 0
		.amdhsa_system_vgpr_workitem_id 0
		.amdhsa_next_free_vgpr 1
		.amdhsa_next_free_sgpr 1
		.amdhsa_reserve_vcc 0
		.amdhsa_reserve_flat_scratch 0
		.amdhsa_float_round_mode_32 0
		.amdhsa_float_round_mode_16_64 0
		.amdhsa_float_denorm_mode_32 3
		.amdhsa_float_denorm_mode_16_64 3
		.amdhsa_dx10_clamp 1
		.amdhsa_ieee_mode 1
		.amdhsa_fp16_overflow 0
		.amdhsa_workgroup_processor_mode 1
		.amdhsa_memory_ordered 1
		.amdhsa_forward_progress 1
		.amdhsa_shared_vgpr_count 0
		.amdhsa_exception_fp_ieee_invalid_op 0
		.amdhsa_exception_fp_denorm_src 0
		.amdhsa_exception_fp_ieee_div_zero 0
		.amdhsa_exception_fp_ieee_overflow 0
		.amdhsa_exception_fp_ieee_underflow 0
		.amdhsa_exception_fp_ieee_inexact 0
		.amdhsa_exception_int_div_zero 0
	.end_amdhsa_kernel
	.section	.text._ZN7rocprim17ROCPRIM_400000_NS6detail17trampoline_kernelINS0_13select_configILj256ELj13ELNS0_17block_load_methodE3ELS4_3ELS4_3ELNS0_20block_scan_algorithmE0ELj4294967295EEENS1_25partition_config_selectorILNS1_17partition_subalgoE4EjNS0_10empty_typeEbEEZZNS1_14partition_implILS8_4ELb0ES6_15HIP_vector_typeIjLj2EENS0_17counting_iteratorIjlEEPS9_SG_NS0_5tupleIJPjSI_NS0_16reverse_iteratorISI_EEEEENSH_IJSG_SG_SG_EEES9_SI_JZNS1_25segmented_radix_sort_implINS0_14default_configELb0EPKdPdPKlPlN2at6native12_GLOBAL__N_18offset_tEEE10hipError_tPvRmT1_PNSt15iterator_traitsIS12_E10value_typeET2_T3_PNS13_IS18_E10value_typeET4_jRbjT5_S1E_jjP12ihipStream_tbEUljE_ZNSN_ISO_Lb0ESQ_SR_ST_SU_SY_EESZ_S10_S11_S12_S16_S17_S18_S1B_S1C_jS1D_jS1E_S1E_jjS1G_bEUljE0_EEESZ_S10_S11_S18_S1C_S1E_T6_T7_T9_mT8_S1G_bDpT10_ENKUlT_T0_E_clISt17integral_constantIbLb1EES1U_EEDaS1P_S1Q_EUlS1P_E_NS1_11comp_targetILNS1_3genE3ELNS1_11target_archE908ELNS1_3gpuE7ELNS1_3repE0EEENS1_30default_config_static_selectorELNS0_4arch9wavefront6targetE0EEEvS12_,"axG",@progbits,_ZN7rocprim17ROCPRIM_400000_NS6detail17trampoline_kernelINS0_13select_configILj256ELj13ELNS0_17block_load_methodE3ELS4_3ELS4_3ELNS0_20block_scan_algorithmE0ELj4294967295EEENS1_25partition_config_selectorILNS1_17partition_subalgoE4EjNS0_10empty_typeEbEEZZNS1_14partition_implILS8_4ELb0ES6_15HIP_vector_typeIjLj2EENS0_17counting_iteratorIjlEEPS9_SG_NS0_5tupleIJPjSI_NS0_16reverse_iteratorISI_EEEEENSH_IJSG_SG_SG_EEES9_SI_JZNS1_25segmented_radix_sort_implINS0_14default_configELb0EPKdPdPKlPlN2at6native12_GLOBAL__N_18offset_tEEE10hipError_tPvRmT1_PNSt15iterator_traitsIS12_E10value_typeET2_T3_PNS13_IS18_E10value_typeET4_jRbjT5_S1E_jjP12ihipStream_tbEUljE_ZNSN_ISO_Lb0ESQ_SR_ST_SU_SY_EESZ_S10_S11_S12_S16_S17_S18_S1B_S1C_jS1D_jS1E_S1E_jjS1G_bEUljE0_EEESZ_S10_S11_S18_S1C_S1E_T6_T7_T9_mT8_S1G_bDpT10_ENKUlT_T0_E_clISt17integral_constantIbLb1EES1U_EEDaS1P_S1Q_EUlS1P_E_NS1_11comp_targetILNS1_3genE3ELNS1_11target_archE908ELNS1_3gpuE7ELNS1_3repE0EEENS1_30default_config_static_selectorELNS0_4arch9wavefront6targetE0EEEvS12_,comdat
.Lfunc_end1160:
	.size	_ZN7rocprim17ROCPRIM_400000_NS6detail17trampoline_kernelINS0_13select_configILj256ELj13ELNS0_17block_load_methodE3ELS4_3ELS4_3ELNS0_20block_scan_algorithmE0ELj4294967295EEENS1_25partition_config_selectorILNS1_17partition_subalgoE4EjNS0_10empty_typeEbEEZZNS1_14partition_implILS8_4ELb0ES6_15HIP_vector_typeIjLj2EENS0_17counting_iteratorIjlEEPS9_SG_NS0_5tupleIJPjSI_NS0_16reverse_iteratorISI_EEEEENSH_IJSG_SG_SG_EEES9_SI_JZNS1_25segmented_radix_sort_implINS0_14default_configELb0EPKdPdPKlPlN2at6native12_GLOBAL__N_18offset_tEEE10hipError_tPvRmT1_PNSt15iterator_traitsIS12_E10value_typeET2_T3_PNS13_IS18_E10value_typeET4_jRbjT5_S1E_jjP12ihipStream_tbEUljE_ZNSN_ISO_Lb0ESQ_SR_ST_SU_SY_EESZ_S10_S11_S12_S16_S17_S18_S1B_S1C_jS1D_jS1E_S1E_jjS1G_bEUljE0_EEESZ_S10_S11_S18_S1C_S1E_T6_T7_T9_mT8_S1G_bDpT10_ENKUlT_T0_E_clISt17integral_constantIbLb1EES1U_EEDaS1P_S1Q_EUlS1P_E_NS1_11comp_targetILNS1_3genE3ELNS1_11target_archE908ELNS1_3gpuE7ELNS1_3repE0EEENS1_30default_config_static_selectorELNS0_4arch9wavefront6targetE0EEEvS12_, .Lfunc_end1160-_ZN7rocprim17ROCPRIM_400000_NS6detail17trampoline_kernelINS0_13select_configILj256ELj13ELNS0_17block_load_methodE3ELS4_3ELS4_3ELNS0_20block_scan_algorithmE0ELj4294967295EEENS1_25partition_config_selectorILNS1_17partition_subalgoE4EjNS0_10empty_typeEbEEZZNS1_14partition_implILS8_4ELb0ES6_15HIP_vector_typeIjLj2EENS0_17counting_iteratorIjlEEPS9_SG_NS0_5tupleIJPjSI_NS0_16reverse_iteratorISI_EEEEENSH_IJSG_SG_SG_EEES9_SI_JZNS1_25segmented_radix_sort_implINS0_14default_configELb0EPKdPdPKlPlN2at6native12_GLOBAL__N_18offset_tEEE10hipError_tPvRmT1_PNSt15iterator_traitsIS12_E10value_typeET2_T3_PNS13_IS18_E10value_typeET4_jRbjT5_S1E_jjP12ihipStream_tbEUljE_ZNSN_ISO_Lb0ESQ_SR_ST_SU_SY_EESZ_S10_S11_S12_S16_S17_S18_S1B_S1C_jS1D_jS1E_S1E_jjS1G_bEUljE0_EEESZ_S10_S11_S18_S1C_S1E_T6_T7_T9_mT8_S1G_bDpT10_ENKUlT_T0_E_clISt17integral_constantIbLb1EES1U_EEDaS1P_S1Q_EUlS1P_E_NS1_11comp_targetILNS1_3genE3ELNS1_11target_archE908ELNS1_3gpuE7ELNS1_3repE0EEENS1_30default_config_static_selectorELNS0_4arch9wavefront6targetE0EEEvS12_
                                        ; -- End function
	.set _ZN7rocprim17ROCPRIM_400000_NS6detail17trampoline_kernelINS0_13select_configILj256ELj13ELNS0_17block_load_methodE3ELS4_3ELS4_3ELNS0_20block_scan_algorithmE0ELj4294967295EEENS1_25partition_config_selectorILNS1_17partition_subalgoE4EjNS0_10empty_typeEbEEZZNS1_14partition_implILS8_4ELb0ES6_15HIP_vector_typeIjLj2EENS0_17counting_iteratorIjlEEPS9_SG_NS0_5tupleIJPjSI_NS0_16reverse_iteratorISI_EEEEENSH_IJSG_SG_SG_EEES9_SI_JZNS1_25segmented_radix_sort_implINS0_14default_configELb0EPKdPdPKlPlN2at6native12_GLOBAL__N_18offset_tEEE10hipError_tPvRmT1_PNSt15iterator_traitsIS12_E10value_typeET2_T3_PNS13_IS18_E10value_typeET4_jRbjT5_S1E_jjP12ihipStream_tbEUljE_ZNSN_ISO_Lb0ESQ_SR_ST_SU_SY_EESZ_S10_S11_S12_S16_S17_S18_S1B_S1C_jS1D_jS1E_S1E_jjS1G_bEUljE0_EEESZ_S10_S11_S18_S1C_S1E_T6_T7_T9_mT8_S1G_bDpT10_ENKUlT_T0_E_clISt17integral_constantIbLb1EES1U_EEDaS1P_S1Q_EUlS1P_E_NS1_11comp_targetILNS1_3genE3ELNS1_11target_archE908ELNS1_3gpuE7ELNS1_3repE0EEENS1_30default_config_static_selectorELNS0_4arch9wavefront6targetE0EEEvS12_.num_vgpr, 0
	.set _ZN7rocprim17ROCPRIM_400000_NS6detail17trampoline_kernelINS0_13select_configILj256ELj13ELNS0_17block_load_methodE3ELS4_3ELS4_3ELNS0_20block_scan_algorithmE0ELj4294967295EEENS1_25partition_config_selectorILNS1_17partition_subalgoE4EjNS0_10empty_typeEbEEZZNS1_14partition_implILS8_4ELb0ES6_15HIP_vector_typeIjLj2EENS0_17counting_iteratorIjlEEPS9_SG_NS0_5tupleIJPjSI_NS0_16reverse_iteratorISI_EEEEENSH_IJSG_SG_SG_EEES9_SI_JZNS1_25segmented_radix_sort_implINS0_14default_configELb0EPKdPdPKlPlN2at6native12_GLOBAL__N_18offset_tEEE10hipError_tPvRmT1_PNSt15iterator_traitsIS12_E10value_typeET2_T3_PNS13_IS18_E10value_typeET4_jRbjT5_S1E_jjP12ihipStream_tbEUljE_ZNSN_ISO_Lb0ESQ_SR_ST_SU_SY_EESZ_S10_S11_S12_S16_S17_S18_S1B_S1C_jS1D_jS1E_S1E_jjS1G_bEUljE0_EEESZ_S10_S11_S18_S1C_S1E_T6_T7_T9_mT8_S1G_bDpT10_ENKUlT_T0_E_clISt17integral_constantIbLb1EES1U_EEDaS1P_S1Q_EUlS1P_E_NS1_11comp_targetILNS1_3genE3ELNS1_11target_archE908ELNS1_3gpuE7ELNS1_3repE0EEENS1_30default_config_static_selectorELNS0_4arch9wavefront6targetE0EEEvS12_.num_agpr, 0
	.set _ZN7rocprim17ROCPRIM_400000_NS6detail17trampoline_kernelINS0_13select_configILj256ELj13ELNS0_17block_load_methodE3ELS4_3ELS4_3ELNS0_20block_scan_algorithmE0ELj4294967295EEENS1_25partition_config_selectorILNS1_17partition_subalgoE4EjNS0_10empty_typeEbEEZZNS1_14partition_implILS8_4ELb0ES6_15HIP_vector_typeIjLj2EENS0_17counting_iteratorIjlEEPS9_SG_NS0_5tupleIJPjSI_NS0_16reverse_iteratorISI_EEEEENSH_IJSG_SG_SG_EEES9_SI_JZNS1_25segmented_radix_sort_implINS0_14default_configELb0EPKdPdPKlPlN2at6native12_GLOBAL__N_18offset_tEEE10hipError_tPvRmT1_PNSt15iterator_traitsIS12_E10value_typeET2_T3_PNS13_IS18_E10value_typeET4_jRbjT5_S1E_jjP12ihipStream_tbEUljE_ZNSN_ISO_Lb0ESQ_SR_ST_SU_SY_EESZ_S10_S11_S12_S16_S17_S18_S1B_S1C_jS1D_jS1E_S1E_jjS1G_bEUljE0_EEESZ_S10_S11_S18_S1C_S1E_T6_T7_T9_mT8_S1G_bDpT10_ENKUlT_T0_E_clISt17integral_constantIbLb1EES1U_EEDaS1P_S1Q_EUlS1P_E_NS1_11comp_targetILNS1_3genE3ELNS1_11target_archE908ELNS1_3gpuE7ELNS1_3repE0EEENS1_30default_config_static_selectorELNS0_4arch9wavefront6targetE0EEEvS12_.numbered_sgpr, 0
	.set _ZN7rocprim17ROCPRIM_400000_NS6detail17trampoline_kernelINS0_13select_configILj256ELj13ELNS0_17block_load_methodE3ELS4_3ELS4_3ELNS0_20block_scan_algorithmE0ELj4294967295EEENS1_25partition_config_selectorILNS1_17partition_subalgoE4EjNS0_10empty_typeEbEEZZNS1_14partition_implILS8_4ELb0ES6_15HIP_vector_typeIjLj2EENS0_17counting_iteratorIjlEEPS9_SG_NS0_5tupleIJPjSI_NS0_16reverse_iteratorISI_EEEEENSH_IJSG_SG_SG_EEES9_SI_JZNS1_25segmented_radix_sort_implINS0_14default_configELb0EPKdPdPKlPlN2at6native12_GLOBAL__N_18offset_tEEE10hipError_tPvRmT1_PNSt15iterator_traitsIS12_E10value_typeET2_T3_PNS13_IS18_E10value_typeET4_jRbjT5_S1E_jjP12ihipStream_tbEUljE_ZNSN_ISO_Lb0ESQ_SR_ST_SU_SY_EESZ_S10_S11_S12_S16_S17_S18_S1B_S1C_jS1D_jS1E_S1E_jjS1G_bEUljE0_EEESZ_S10_S11_S18_S1C_S1E_T6_T7_T9_mT8_S1G_bDpT10_ENKUlT_T0_E_clISt17integral_constantIbLb1EES1U_EEDaS1P_S1Q_EUlS1P_E_NS1_11comp_targetILNS1_3genE3ELNS1_11target_archE908ELNS1_3gpuE7ELNS1_3repE0EEENS1_30default_config_static_selectorELNS0_4arch9wavefront6targetE0EEEvS12_.num_named_barrier, 0
	.set _ZN7rocprim17ROCPRIM_400000_NS6detail17trampoline_kernelINS0_13select_configILj256ELj13ELNS0_17block_load_methodE3ELS4_3ELS4_3ELNS0_20block_scan_algorithmE0ELj4294967295EEENS1_25partition_config_selectorILNS1_17partition_subalgoE4EjNS0_10empty_typeEbEEZZNS1_14partition_implILS8_4ELb0ES6_15HIP_vector_typeIjLj2EENS0_17counting_iteratorIjlEEPS9_SG_NS0_5tupleIJPjSI_NS0_16reverse_iteratorISI_EEEEENSH_IJSG_SG_SG_EEES9_SI_JZNS1_25segmented_radix_sort_implINS0_14default_configELb0EPKdPdPKlPlN2at6native12_GLOBAL__N_18offset_tEEE10hipError_tPvRmT1_PNSt15iterator_traitsIS12_E10value_typeET2_T3_PNS13_IS18_E10value_typeET4_jRbjT5_S1E_jjP12ihipStream_tbEUljE_ZNSN_ISO_Lb0ESQ_SR_ST_SU_SY_EESZ_S10_S11_S12_S16_S17_S18_S1B_S1C_jS1D_jS1E_S1E_jjS1G_bEUljE0_EEESZ_S10_S11_S18_S1C_S1E_T6_T7_T9_mT8_S1G_bDpT10_ENKUlT_T0_E_clISt17integral_constantIbLb1EES1U_EEDaS1P_S1Q_EUlS1P_E_NS1_11comp_targetILNS1_3genE3ELNS1_11target_archE908ELNS1_3gpuE7ELNS1_3repE0EEENS1_30default_config_static_selectorELNS0_4arch9wavefront6targetE0EEEvS12_.private_seg_size, 0
	.set _ZN7rocprim17ROCPRIM_400000_NS6detail17trampoline_kernelINS0_13select_configILj256ELj13ELNS0_17block_load_methodE3ELS4_3ELS4_3ELNS0_20block_scan_algorithmE0ELj4294967295EEENS1_25partition_config_selectorILNS1_17partition_subalgoE4EjNS0_10empty_typeEbEEZZNS1_14partition_implILS8_4ELb0ES6_15HIP_vector_typeIjLj2EENS0_17counting_iteratorIjlEEPS9_SG_NS0_5tupleIJPjSI_NS0_16reverse_iteratorISI_EEEEENSH_IJSG_SG_SG_EEES9_SI_JZNS1_25segmented_radix_sort_implINS0_14default_configELb0EPKdPdPKlPlN2at6native12_GLOBAL__N_18offset_tEEE10hipError_tPvRmT1_PNSt15iterator_traitsIS12_E10value_typeET2_T3_PNS13_IS18_E10value_typeET4_jRbjT5_S1E_jjP12ihipStream_tbEUljE_ZNSN_ISO_Lb0ESQ_SR_ST_SU_SY_EESZ_S10_S11_S12_S16_S17_S18_S1B_S1C_jS1D_jS1E_S1E_jjS1G_bEUljE0_EEESZ_S10_S11_S18_S1C_S1E_T6_T7_T9_mT8_S1G_bDpT10_ENKUlT_T0_E_clISt17integral_constantIbLb1EES1U_EEDaS1P_S1Q_EUlS1P_E_NS1_11comp_targetILNS1_3genE3ELNS1_11target_archE908ELNS1_3gpuE7ELNS1_3repE0EEENS1_30default_config_static_selectorELNS0_4arch9wavefront6targetE0EEEvS12_.uses_vcc, 0
	.set _ZN7rocprim17ROCPRIM_400000_NS6detail17trampoline_kernelINS0_13select_configILj256ELj13ELNS0_17block_load_methodE3ELS4_3ELS4_3ELNS0_20block_scan_algorithmE0ELj4294967295EEENS1_25partition_config_selectorILNS1_17partition_subalgoE4EjNS0_10empty_typeEbEEZZNS1_14partition_implILS8_4ELb0ES6_15HIP_vector_typeIjLj2EENS0_17counting_iteratorIjlEEPS9_SG_NS0_5tupleIJPjSI_NS0_16reverse_iteratorISI_EEEEENSH_IJSG_SG_SG_EEES9_SI_JZNS1_25segmented_radix_sort_implINS0_14default_configELb0EPKdPdPKlPlN2at6native12_GLOBAL__N_18offset_tEEE10hipError_tPvRmT1_PNSt15iterator_traitsIS12_E10value_typeET2_T3_PNS13_IS18_E10value_typeET4_jRbjT5_S1E_jjP12ihipStream_tbEUljE_ZNSN_ISO_Lb0ESQ_SR_ST_SU_SY_EESZ_S10_S11_S12_S16_S17_S18_S1B_S1C_jS1D_jS1E_S1E_jjS1G_bEUljE0_EEESZ_S10_S11_S18_S1C_S1E_T6_T7_T9_mT8_S1G_bDpT10_ENKUlT_T0_E_clISt17integral_constantIbLb1EES1U_EEDaS1P_S1Q_EUlS1P_E_NS1_11comp_targetILNS1_3genE3ELNS1_11target_archE908ELNS1_3gpuE7ELNS1_3repE0EEENS1_30default_config_static_selectorELNS0_4arch9wavefront6targetE0EEEvS12_.uses_flat_scratch, 0
	.set _ZN7rocprim17ROCPRIM_400000_NS6detail17trampoline_kernelINS0_13select_configILj256ELj13ELNS0_17block_load_methodE3ELS4_3ELS4_3ELNS0_20block_scan_algorithmE0ELj4294967295EEENS1_25partition_config_selectorILNS1_17partition_subalgoE4EjNS0_10empty_typeEbEEZZNS1_14partition_implILS8_4ELb0ES6_15HIP_vector_typeIjLj2EENS0_17counting_iteratorIjlEEPS9_SG_NS0_5tupleIJPjSI_NS0_16reverse_iteratorISI_EEEEENSH_IJSG_SG_SG_EEES9_SI_JZNS1_25segmented_radix_sort_implINS0_14default_configELb0EPKdPdPKlPlN2at6native12_GLOBAL__N_18offset_tEEE10hipError_tPvRmT1_PNSt15iterator_traitsIS12_E10value_typeET2_T3_PNS13_IS18_E10value_typeET4_jRbjT5_S1E_jjP12ihipStream_tbEUljE_ZNSN_ISO_Lb0ESQ_SR_ST_SU_SY_EESZ_S10_S11_S12_S16_S17_S18_S1B_S1C_jS1D_jS1E_S1E_jjS1G_bEUljE0_EEESZ_S10_S11_S18_S1C_S1E_T6_T7_T9_mT8_S1G_bDpT10_ENKUlT_T0_E_clISt17integral_constantIbLb1EES1U_EEDaS1P_S1Q_EUlS1P_E_NS1_11comp_targetILNS1_3genE3ELNS1_11target_archE908ELNS1_3gpuE7ELNS1_3repE0EEENS1_30default_config_static_selectorELNS0_4arch9wavefront6targetE0EEEvS12_.has_dyn_sized_stack, 0
	.set _ZN7rocprim17ROCPRIM_400000_NS6detail17trampoline_kernelINS0_13select_configILj256ELj13ELNS0_17block_load_methodE3ELS4_3ELS4_3ELNS0_20block_scan_algorithmE0ELj4294967295EEENS1_25partition_config_selectorILNS1_17partition_subalgoE4EjNS0_10empty_typeEbEEZZNS1_14partition_implILS8_4ELb0ES6_15HIP_vector_typeIjLj2EENS0_17counting_iteratorIjlEEPS9_SG_NS0_5tupleIJPjSI_NS0_16reverse_iteratorISI_EEEEENSH_IJSG_SG_SG_EEES9_SI_JZNS1_25segmented_radix_sort_implINS0_14default_configELb0EPKdPdPKlPlN2at6native12_GLOBAL__N_18offset_tEEE10hipError_tPvRmT1_PNSt15iterator_traitsIS12_E10value_typeET2_T3_PNS13_IS18_E10value_typeET4_jRbjT5_S1E_jjP12ihipStream_tbEUljE_ZNSN_ISO_Lb0ESQ_SR_ST_SU_SY_EESZ_S10_S11_S12_S16_S17_S18_S1B_S1C_jS1D_jS1E_S1E_jjS1G_bEUljE0_EEESZ_S10_S11_S18_S1C_S1E_T6_T7_T9_mT8_S1G_bDpT10_ENKUlT_T0_E_clISt17integral_constantIbLb1EES1U_EEDaS1P_S1Q_EUlS1P_E_NS1_11comp_targetILNS1_3genE3ELNS1_11target_archE908ELNS1_3gpuE7ELNS1_3repE0EEENS1_30default_config_static_selectorELNS0_4arch9wavefront6targetE0EEEvS12_.has_recursion, 0
	.set _ZN7rocprim17ROCPRIM_400000_NS6detail17trampoline_kernelINS0_13select_configILj256ELj13ELNS0_17block_load_methodE3ELS4_3ELS4_3ELNS0_20block_scan_algorithmE0ELj4294967295EEENS1_25partition_config_selectorILNS1_17partition_subalgoE4EjNS0_10empty_typeEbEEZZNS1_14partition_implILS8_4ELb0ES6_15HIP_vector_typeIjLj2EENS0_17counting_iteratorIjlEEPS9_SG_NS0_5tupleIJPjSI_NS0_16reverse_iteratorISI_EEEEENSH_IJSG_SG_SG_EEES9_SI_JZNS1_25segmented_radix_sort_implINS0_14default_configELb0EPKdPdPKlPlN2at6native12_GLOBAL__N_18offset_tEEE10hipError_tPvRmT1_PNSt15iterator_traitsIS12_E10value_typeET2_T3_PNS13_IS18_E10value_typeET4_jRbjT5_S1E_jjP12ihipStream_tbEUljE_ZNSN_ISO_Lb0ESQ_SR_ST_SU_SY_EESZ_S10_S11_S12_S16_S17_S18_S1B_S1C_jS1D_jS1E_S1E_jjS1G_bEUljE0_EEESZ_S10_S11_S18_S1C_S1E_T6_T7_T9_mT8_S1G_bDpT10_ENKUlT_T0_E_clISt17integral_constantIbLb1EES1U_EEDaS1P_S1Q_EUlS1P_E_NS1_11comp_targetILNS1_3genE3ELNS1_11target_archE908ELNS1_3gpuE7ELNS1_3repE0EEENS1_30default_config_static_selectorELNS0_4arch9wavefront6targetE0EEEvS12_.has_indirect_call, 0
	.section	.AMDGPU.csdata,"",@progbits
; Kernel info:
; codeLenInByte = 0
; TotalNumSgprs: 0
; NumVgprs: 0
; ScratchSize: 0
; MemoryBound: 0
; FloatMode: 240
; IeeeMode: 1
; LDSByteSize: 0 bytes/workgroup (compile time only)
; SGPRBlocks: 0
; VGPRBlocks: 0
; NumSGPRsForWavesPerEU: 1
; NumVGPRsForWavesPerEU: 1
; Occupancy: 16
; WaveLimiterHint : 0
; COMPUTE_PGM_RSRC2:SCRATCH_EN: 0
; COMPUTE_PGM_RSRC2:USER_SGPR: 6
; COMPUTE_PGM_RSRC2:TRAP_HANDLER: 0
; COMPUTE_PGM_RSRC2:TGID_X_EN: 1
; COMPUTE_PGM_RSRC2:TGID_Y_EN: 0
; COMPUTE_PGM_RSRC2:TGID_Z_EN: 0
; COMPUTE_PGM_RSRC2:TIDIG_COMP_CNT: 0
	.section	.text._ZN7rocprim17ROCPRIM_400000_NS6detail17trampoline_kernelINS0_13select_configILj256ELj13ELNS0_17block_load_methodE3ELS4_3ELS4_3ELNS0_20block_scan_algorithmE0ELj4294967295EEENS1_25partition_config_selectorILNS1_17partition_subalgoE4EjNS0_10empty_typeEbEEZZNS1_14partition_implILS8_4ELb0ES6_15HIP_vector_typeIjLj2EENS0_17counting_iteratorIjlEEPS9_SG_NS0_5tupleIJPjSI_NS0_16reverse_iteratorISI_EEEEENSH_IJSG_SG_SG_EEES9_SI_JZNS1_25segmented_radix_sort_implINS0_14default_configELb0EPKdPdPKlPlN2at6native12_GLOBAL__N_18offset_tEEE10hipError_tPvRmT1_PNSt15iterator_traitsIS12_E10value_typeET2_T3_PNS13_IS18_E10value_typeET4_jRbjT5_S1E_jjP12ihipStream_tbEUljE_ZNSN_ISO_Lb0ESQ_SR_ST_SU_SY_EESZ_S10_S11_S12_S16_S17_S18_S1B_S1C_jS1D_jS1E_S1E_jjS1G_bEUljE0_EEESZ_S10_S11_S18_S1C_S1E_T6_T7_T9_mT8_S1G_bDpT10_ENKUlT_T0_E_clISt17integral_constantIbLb1EES1U_EEDaS1P_S1Q_EUlS1P_E_NS1_11comp_targetILNS1_3genE2ELNS1_11target_archE906ELNS1_3gpuE6ELNS1_3repE0EEENS1_30default_config_static_selectorELNS0_4arch9wavefront6targetE0EEEvS12_,"axG",@progbits,_ZN7rocprim17ROCPRIM_400000_NS6detail17trampoline_kernelINS0_13select_configILj256ELj13ELNS0_17block_load_methodE3ELS4_3ELS4_3ELNS0_20block_scan_algorithmE0ELj4294967295EEENS1_25partition_config_selectorILNS1_17partition_subalgoE4EjNS0_10empty_typeEbEEZZNS1_14partition_implILS8_4ELb0ES6_15HIP_vector_typeIjLj2EENS0_17counting_iteratorIjlEEPS9_SG_NS0_5tupleIJPjSI_NS0_16reverse_iteratorISI_EEEEENSH_IJSG_SG_SG_EEES9_SI_JZNS1_25segmented_radix_sort_implINS0_14default_configELb0EPKdPdPKlPlN2at6native12_GLOBAL__N_18offset_tEEE10hipError_tPvRmT1_PNSt15iterator_traitsIS12_E10value_typeET2_T3_PNS13_IS18_E10value_typeET4_jRbjT5_S1E_jjP12ihipStream_tbEUljE_ZNSN_ISO_Lb0ESQ_SR_ST_SU_SY_EESZ_S10_S11_S12_S16_S17_S18_S1B_S1C_jS1D_jS1E_S1E_jjS1G_bEUljE0_EEESZ_S10_S11_S18_S1C_S1E_T6_T7_T9_mT8_S1G_bDpT10_ENKUlT_T0_E_clISt17integral_constantIbLb1EES1U_EEDaS1P_S1Q_EUlS1P_E_NS1_11comp_targetILNS1_3genE2ELNS1_11target_archE906ELNS1_3gpuE6ELNS1_3repE0EEENS1_30default_config_static_selectorELNS0_4arch9wavefront6targetE0EEEvS12_,comdat
	.globl	_ZN7rocprim17ROCPRIM_400000_NS6detail17trampoline_kernelINS0_13select_configILj256ELj13ELNS0_17block_load_methodE3ELS4_3ELS4_3ELNS0_20block_scan_algorithmE0ELj4294967295EEENS1_25partition_config_selectorILNS1_17partition_subalgoE4EjNS0_10empty_typeEbEEZZNS1_14partition_implILS8_4ELb0ES6_15HIP_vector_typeIjLj2EENS0_17counting_iteratorIjlEEPS9_SG_NS0_5tupleIJPjSI_NS0_16reverse_iteratorISI_EEEEENSH_IJSG_SG_SG_EEES9_SI_JZNS1_25segmented_radix_sort_implINS0_14default_configELb0EPKdPdPKlPlN2at6native12_GLOBAL__N_18offset_tEEE10hipError_tPvRmT1_PNSt15iterator_traitsIS12_E10value_typeET2_T3_PNS13_IS18_E10value_typeET4_jRbjT5_S1E_jjP12ihipStream_tbEUljE_ZNSN_ISO_Lb0ESQ_SR_ST_SU_SY_EESZ_S10_S11_S12_S16_S17_S18_S1B_S1C_jS1D_jS1E_S1E_jjS1G_bEUljE0_EEESZ_S10_S11_S18_S1C_S1E_T6_T7_T9_mT8_S1G_bDpT10_ENKUlT_T0_E_clISt17integral_constantIbLb1EES1U_EEDaS1P_S1Q_EUlS1P_E_NS1_11comp_targetILNS1_3genE2ELNS1_11target_archE906ELNS1_3gpuE6ELNS1_3repE0EEENS1_30default_config_static_selectorELNS0_4arch9wavefront6targetE0EEEvS12_ ; -- Begin function _ZN7rocprim17ROCPRIM_400000_NS6detail17trampoline_kernelINS0_13select_configILj256ELj13ELNS0_17block_load_methodE3ELS4_3ELS4_3ELNS0_20block_scan_algorithmE0ELj4294967295EEENS1_25partition_config_selectorILNS1_17partition_subalgoE4EjNS0_10empty_typeEbEEZZNS1_14partition_implILS8_4ELb0ES6_15HIP_vector_typeIjLj2EENS0_17counting_iteratorIjlEEPS9_SG_NS0_5tupleIJPjSI_NS0_16reverse_iteratorISI_EEEEENSH_IJSG_SG_SG_EEES9_SI_JZNS1_25segmented_radix_sort_implINS0_14default_configELb0EPKdPdPKlPlN2at6native12_GLOBAL__N_18offset_tEEE10hipError_tPvRmT1_PNSt15iterator_traitsIS12_E10value_typeET2_T3_PNS13_IS18_E10value_typeET4_jRbjT5_S1E_jjP12ihipStream_tbEUljE_ZNSN_ISO_Lb0ESQ_SR_ST_SU_SY_EESZ_S10_S11_S12_S16_S17_S18_S1B_S1C_jS1D_jS1E_S1E_jjS1G_bEUljE0_EEESZ_S10_S11_S18_S1C_S1E_T6_T7_T9_mT8_S1G_bDpT10_ENKUlT_T0_E_clISt17integral_constantIbLb1EES1U_EEDaS1P_S1Q_EUlS1P_E_NS1_11comp_targetILNS1_3genE2ELNS1_11target_archE906ELNS1_3gpuE6ELNS1_3repE0EEENS1_30default_config_static_selectorELNS0_4arch9wavefront6targetE0EEEvS12_
	.p2align	8
	.type	_ZN7rocprim17ROCPRIM_400000_NS6detail17trampoline_kernelINS0_13select_configILj256ELj13ELNS0_17block_load_methodE3ELS4_3ELS4_3ELNS0_20block_scan_algorithmE0ELj4294967295EEENS1_25partition_config_selectorILNS1_17partition_subalgoE4EjNS0_10empty_typeEbEEZZNS1_14partition_implILS8_4ELb0ES6_15HIP_vector_typeIjLj2EENS0_17counting_iteratorIjlEEPS9_SG_NS0_5tupleIJPjSI_NS0_16reverse_iteratorISI_EEEEENSH_IJSG_SG_SG_EEES9_SI_JZNS1_25segmented_radix_sort_implINS0_14default_configELb0EPKdPdPKlPlN2at6native12_GLOBAL__N_18offset_tEEE10hipError_tPvRmT1_PNSt15iterator_traitsIS12_E10value_typeET2_T3_PNS13_IS18_E10value_typeET4_jRbjT5_S1E_jjP12ihipStream_tbEUljE_ZNSN_ISO_Lb0ESQ_SR_ST_SU_SY_EESZ_S10_S11_S12_S16_S17_S18_S1B_S1C_jS1D_jS1E_S1E_jjS1G_bEUljE0_EEESZ_S10_S11_S18_S1C_S1E_T6_T7_T9_mT8_S1G_bDpT10_ENKUlT_T0_E_clISt17integral_constantIbLb1EES1U_EEDaS1P_S1Q_EUlS1P_E_NS1_11comp_targetILNS1_3genE2ELNS1_11target_archE906ELNS1_3gpuE6ELNS1_3repE0EEENS1_30default_config_static_selectorELNS0_4arch9wavefront6targetE0EEEvS12_,@function
_ZN7rocprim17ROCPRIM_400000_NS6detail17trampoline_kernelINS0_13select_configILj256ELj13ELNS0_17block_load_methodE3ELS4_3ELS4_3ELNS0_20block_scan_algorithmE0ELj4294967295EEENS1_25partition_config_selectorILNS1_17partition_subalgoE4EjNS0_10empty_typeEbEEZZNS1_14partition_implILS8_4ELb0ES6_15HIP_vector_typeIjLj2EENS0_17counting_iteratorIjlEEPS9_SG_NS0_5tupleIJPjSI_NS0_16reverse_iteratorISI_EEEEENSH_IJSG_SG_SG_EEES9_SI_JZNS1_25segmented_radix_sort_implINS0_14default_configELb0EPKdPdPKlPlN2at6native12_GLOBAL__N_18offset_tEEE10hipError_tPvRmT1_PNSt15iterator_traitsIS12_E10value_typeET2_T3_PNS13_IS18_E10value_typeET4_jRbjT5_S1E_jjP12ihipStream_tbEUljE_ZNSN_ISO_Lb0ESQ_SR_ST_SU_SY_EESZ_S10_S11_S12_S16_S17_S18_S1B_S1C_jS1D_jS1E_S1E_jjS1G_bEUljE0_EEESZ_S10_S11_S18_S1C_S1E_T6_T7_T9_mT8_S1G_bDpT10_ENKUlT_T0_E_clISt17integral_constantIbLb1EES1U_EEDaS1P_S1Q_EUlS1P_E_NS1_11comp_targetILNS1_3genE2ELNS1_11target_archE906ELNS1_3gpuE6ELNS1_3repE0EEENS1_30default_config_static_selectorELNS0_4arch9wavefront6targetE0EEEvS12_: ; @_ZN7rocprim17ROCPRIM_400000_NS6detail17trampoline_kernelINS0_13select_configILj256ELj13ELNS0_17block_load_methodE3ELS4_3ELS4_3ELNS0_20block_scan_algorithmE0ELj4294967295EEENS1_25partition_config_selectorILNS1_17partition_subalgoE4EjNS0_10empty_typeEbEEZZNS1_14partition_implILS8_4ELb0ES6_15HIP_vector_typeIjLj2EENS0_17counting_iteratorIjlEEPS9_SG_NS0_5tupleIJPjSI_NS0_16reverse_iteratorISI_EEEEENSH_IJSG_SG_SG_EEES9_SI_JZNS1_25segmented_radix_sort_implINS0_14default_configELb0EPKdPdPKlPlN2at6native12_GLOBAL__N_18offset_tEEE10hipError_tPvRmT1_PNSt15iterator_traitsIS12_E10value_typeET2_T3_PNS13_IS18_E10value_typeET4_jRbjT5_S1E_jjP12ihipStream_tbEUljE_ZNSN_ISO_Lb0ESQ_SR_ST_SU_SY_EESZ_S10_S11_S12_S16_S17_S18_S1B_S1C_jS1D_jS1E_S1E_jjS1G_bEUljE0_EEESZ_S10_S11_S18_S1C_S1E_T6_T7_T9_mT8_S1G_bDpT10_ENKUlT_T0_E_clISt17integral_constantIbLb1EES1U_EEDaS1P_S1Q_EUlS1P_E_NS1_11comp_targetILNS1_3genE2ELNS1_11target_archE906ELNS1_3gpuE6ELNS1_3repE0EEENS1_30default_config_static_selectorELNS0_4arch9wavefront6targetE0EEEvS12_
; %bb.0:
	.section	.rodata,"a",@progbits
	.p2align	6, 0x0
	.amdhsa_kernel _ZN7rocprim17ROCPRIM_400000_NS6detail17trampoline_kernelINS0_13select_configILj256ELj13ELNS0_17block_load_methodE3ELS4_3ELS4_3ELNS0_20block_scan_algorithmE0ELj4294967295EEENS1_25partition_config_selectorILNS1_17partition_subalgoE4EjNS0_10empty_typeEbEEZZNS1_14partition_implILS8_4ELb0ES6_15HIP_vector_typeIjLj2EENS0_17counting_iteratorIjlEEPS9_SG_NS0_5tupleIJPjSI_NS0_16reverse_iteratorISI_EEEEENSH_IJSG_SG_SG_EEES9_SI_JZNS1_25segmented_radix_sort_implINS0_14default_configELb0EPKdPdPKlPlN2at6native12_GLOBAL__N_18offset_tEEE10hipError_tPvRmT1_PNSt15iterator_traitsIS12_E10value_typeET2_T3_PNS13_IS18_E10value_typeET4_jRbjT5_S1E_jjP12ihipStream_tbEUljE_ZNSN_ISO_Lb0ESQ_SR_ST_SU_SY_EESZ_S10_S11_S12_S16_S17_S18_S1B_S1C_jS1D_jS1E_S1E_jjS1G_bEUljE0_EEESZ_S10_S11_S18_S1C_S1E_T6_T7_T9_mT8_S1G_bDpT10_ENKUlT_T0_E_clISt17integral_constantIbLb1EES1U_EEDaS1P_S1Q_EUlS1P_E_NS1_11comp_targetILNS1_3genE2ELNS1_11target_archE906ELNS1_3gpuE6ELNS1_3repE0EEENS1_30default_config_static_selectorELNS0_4arch9wavefront6targetE0EEEvS12_
		.amdhsa_group_segment_fixed_size 0
		.amdhsa_private_segment_fixed_size 0
		.amdhsa_kernarg_size 184
		.amdhsa_user_sgpr_count 6
		.amdhsa_user_sgpr_private_segment_buffer 1
		.amdhsa_user_sgpr_dispatch_ptr 0
		.amdhsa_user_sgpr_queue_ptr 0
		.amdhsa_user_sgpr_kernarg_segment_ptr 1
		.amdhsa_user_sgpr_dispatch_id 0
		.amdhsa_user_sgpr_flat_scratch_init 0
		.amdhsa_user_sgpr_private_segment_size 0
		.amdhsa_wavefront_size32 1
		.amdhsa_uses_dynamic_stack 0
		.amdhsa_system_sgpr_private_segment_wavefront_offset 0
		.amdhsa_system_sgpr_workgroup_id_x 1
		.amdhsa_system_sgpr_workgroup_id_y 0
		.amdhsa_system_sgpr_workgroup_id_z 0
		.amdhsa_system_sgpr_workgroup_info 0
		.amdhsa_system_vgpr_workitem_id 0
		.amdhsa_next_free_vgpr 1
		.amdhsa_next_free_sgpr 1
		.amdhsa_reserve_vcc 0
		.amdhsa_reserve_flat_scratch 0
		.amdhsa_float_round_mode_32 0
		.amdhsa_float_round_mode_16_64 0
		.amdhsa_float_denorm_mode_32 3
		.amdhsa_float_denorm_mode_16_64 3
		.amdhsa_dx10_clamp 1
		.amdhsa_ieee_mode 1
		.amdhsa_fp16_overflow 0
		.amdhsa_workgroup_processor_mode 1
		.amdhsa_memory_ordered 1
		.amdhsa_forward_progress 1
		.amdhsa_shared_vgpr_count 0
		.amdhsa_exception_fp_ieee_invalid_op 0
		.amdhsa_exception_fp_denorm_src 0
		.amdhsa_exception_fp_ieee_div_zero 0
		.amdhsa_exception_fp_ieee_overflow 0
		.amdhsa_exception_fp_ieee_underflow 0
		.amdhsa_exception_fp_ieee_inexact 0
		.amdhsa_exception_int_div_zero 0
	.end_amdhsa_kernel
	.section	.text._ZN7rocprim17ROCPRIM_400000_NS6detail17trampoline_kernelINS0_13select_configILj256ELj13ELNS0_17block_load_methodE3ELS4_3ELS4_3ELNS0_20block_scan_algorithmE0ELj4294967295EEENS1_25partition_config_selectorILNS1_17partition_subalgoE4EjNS0_10empty_typeEbEEZZNS1_14partition_implILS8_4ELb0ES6_15HIP_vector_typeIjLj2EENS0_17counting_iteratorIjlEEPS9_SG_NS0_5tupleIJPjSI_NS0_16reverse_iteratorISI_EEEEENSH_IJSG_SG_SG_EEES9_SI_JZNS1_25segmented_radix_sort_implINS0_14default_configELb0EPKdPdPKlPlN2at6native12_GLOBAL__N_18offset_tEEE10hipError_tPvRmT1_PNSt15iterator_traitsIS12_E10value_typeET2_T3_PNS13_IS18_E10value_typeET4_jRbjT5_S1E_jjP12ihipStream_tbEUljE_ZNSN_ISO_Lb0ESQ_SR_ST_SU_SY_EESZ_S10_S11_S12_S16_S17_S18_S1B_S1C_jS1D_jS1E_S1E_jjS1G_bEUljE0_EEESZ_S10_S11_S18_S1C_S1E_T6_T7_T9_mT8_S1G_bDpT10_ENKUlT_T0_E_clISt17integral_constantIbLb1EES1U_EEDaS1P_S1Q_EUlS1P_E_NS1_11comp_targetILNS1_3genE2ELNS1_11target_archE906ELNS1_3gpuE6ELNS1_3repE0EEENS1_30default_config_static_selectorELNS0_4arch9wavefront6targetE0EEEvS12_,"axG",@progbits,_ZN7rocprim17ROCPRIM_400000_NS6detail17trampoline_kernelINS0_13select_configILj256ELj13ELNS0_17block_load_methodE3ELS4_3ELS4_3ELNS0_20block_scan_algorithmE0ELj4294967295EEENS1_25partition_config_selectorILNS1_17partition_subalgoE4EjNS0_10empty_typeEbEEZZNS1_14partition_implILS8_4ELb0ES6_15HIP_vector_typeIjLj2EENS0_17counting_iteratorIjlEEPS9_SG_NS0_5tupleIJPjSI_NS0_16reverse_iteratorISI_EEEEENSH_IJSG_SG_SG_EEES9_SI_JZNS1_25segmented_radix_sort_implINS0_14default_configELb0EPKdPdPKlPlN2at6native12_GLOBAL__N_18offset_tEEE10hipError_tPvRmT1_PNSt15iterator_traitsIS12_E10value_typeET2_T3_PNS13_IS18_E10value_typeET4_jRbjT5_S1E_jjP12ihipStream_tbEUljE_ZNSN_ISO_Lb0ESQ_SR_ST_SU_SY_EESZ_S10_S11_S12_S16_S17_S18_S1B_S1C_jS1D_jS1E_S1E_jjS1G_bEUljE0_EEESZ_S10_S11_S18_S1C_S1E_T6_T7_T9_mT8_S1G_bDpT10_ENKUlT_T0_E_clISt17integral_constantIbLb1EES1U_EEDaS1P_S1Q_EUlS1P_E_NS1_11comp_targetILNS1_3genE2ELNS1_11target_archE906ELNS1_3gpuE6ELNS1_3repE0EEENS1_30default_config_static_selectorELNS0_4arch9wavefront6targetE0EEEvS12_,comdat
.Lfunc_end1161:
	.size	_ZN7rocprim17ROCPRIM_400000_NS6detail17trampoline_kernelINS0_13select_configILj256ELj13ELNS0_17block_load_methodE3ELS4_3ELS4_3ELNS0_20block_scan_algorithmE0ELj4294967295EEENS1_25partition_config_selectorILNS1_17partition_subalgoE4EjNS0_10empty_typeEbEEZZNS1_14partition_implILS8_4ELb0ES6_15HIP_vector_typeIjLj2EENS0_17counting_iteratorIjlEEPS9_SG_NS0_5tupleIJPjSI_NS0_16reverse_iteratorISI_EEEEENSH_IJSG_SG_SG_EEES9_SI_JZNS1_25segmented_radix_sort_implINS0_14default_configELb0EPKdPdPKlPlN2at6native12_GLOBAL__N_18offset_tEEE10hipError_tPvRmT1_PNSt15iterator_traitsIS12_E10value_typeET2_T3_PNS13_IS18_E10value_typeET4_jRbjT5_S1E_jjP12ihipStream_tbEUljE_ZNSN_ISO_Lb0ESQ_SR_ST_SU_SY_EESZ_S10_S11_S12_S16_S17_S18_S1B_S1C_jS1D_jS1E_S1E_jjS1G_bEUljE0_EEESZ_S10_S11_S18_S1C_S1E_T6_T7_T9_mT8_S1G_bDpT10_ENKUlT_T0_E_clISt17integral_constantIbLb1EES1U_EEDaS1P_S1Q_EUlS1P_E_NS1_11comp_targetILNS1_3genE2ELNS1_11target_archE906ELNS1_3gpuE6ELNS1_3repE0EEENS1_30default_config_static_selectorELNS0_4arch9wavefront6targetE0EEEvS12_, .Lfunc_end1161-_ZN7rocprim17ROCPRIM_400000_NS6detail17trampoline_kernelINS0_13select_configILj256ELj13ELNS0_17block_load_methodE3ELS4_3ELS4_3ELNS0_20block_scan_algorithmE0ELj4294967295EEENS1_25partition_config_selectorILNS1_17partition_subalgoE4EjNS0_10empty_typeEbEEZZNS1_14partition_implILS8_4ELb0ES6_15HIP_vector_typeIjLj2EENS0_17counting_iteratorIjlEEPS9_SG_NS0_5tupleIJPjSI_NS0_16reverse_iteratorISI_EEEEENSH_IJSG_SG_SG_EEES9_SI_JZNS1_25segmented_radix_sort_implINS0_14default_configELb0EPKdPdPKlPlN2at6native12_GLOBAL__N_18offset_tEEE10hipError_tPvRmT1_PNSt15iterator_traitsIS12_E10value_typeET2_T3_PNS13_IS18_E10value_typeET4_jRbjT5_S1E_jjP12ihipStream_tbEUljE_ZNSN_ISO_Lb0ESQ_SR_ST_SU_SY_EESZ_S10_S11_S12_S16_S17_S18_S1B_S1C_jS1D_jS1E_S1E_jjS1G_bEUljE0_EEESZ_S10_S11_S18_S1C_S1E_T6_T7_T9_mT8_S1G_bDpT10_ENKUlT_T0_E_clISt17integral_constantIbLb1EES1U_EEDaS1P_S1Q_EUlS1P_E_NS1_11comp_targetILNS1_3genE2ELNS1_11target_archE906ELNS1_3gpuE6ELNS1_3repE0EEENS1_30default_config_static_selectorELNS0_4arch9wavefront6targetE0EEEvS12_
                                        ; -- End function
	.set _ZN7rocprim17ROCPRIM_400000_NS6detail17trampoline_kernelINS0_13select_configILj256ELj13ELNS0_17block_load_methodE3ELS4_3ELS4_3ELNS0_20block_scan_algorithmE0ELj4294967295EEENS1_25partition_config_selectorILNS1_17partition_subalgoE4EjNS0_10empty_typeEbEEZZNS1_14partition_implILS8_4ELb0ES6_15HIP_vector_typeIjLj2EENS0_17counting_iteratorIjlEEPS9_SG_NS0_5tupleIJPjSI_NS0_16reverse_iteratorISI_EEEEENSH_IJSG_SG_SG_EEES9_SI_JZNS1_25segmented_radix_sort_implINS0_14default_configELb0EPKdPdPKlPlN2at6native12_GLOBAL__N_18offset_tEEE10hipError_tPvRmT1_PNSt15iterator_traitsIS12_E10value_typeET2_T3_PNS13_IS18_E10value_typeET4_jRbjT5_S1E_jjP12ihipStream_tbEUljE_ZNSN_ISO_Lb0ESQ_SR_ST_SU_SY_EESZ_S10_S11_S12_S16_S17_S18_S1B_S1C_jS1D_jS1E_S1E_jjS1G_bEUljE0_EEESZ_S10_S11_S18_S1C_S1E_T6_T7_T9_mT8_S1G_bDpT10_ENKUlT_T0_E_clISt17integral_constantIbLb1EES1U_EEDaS1P_S1Q_EUlS1P_E_NS1_11comp_targetILNS1_3genE2ELNS1_11target_archE906ELNS1_3gpuE6ELNS1_3repE0EEENS1_30default_config_static_selectorELNS0_4arch9wavefront6targetE0EEEvS12_.num_vgpr, 0
	.set _ZN7rocprim17ROCPRIM_400000_NS6detail17trampoline_kernelINS0_13select_configILj256ELj13ELNS0_17block_load_methodE3ELS4_3ELS4_3ELNS0_20block_scan_algorithmE0ELj4294967295EEENS1_25partition_config_selectorILNS1_17partition_subalgoE4EjNS0_10empty_typeEbEEZZNS1_14partition_implILS8_4ELb0ES6_15HIP_vector_typeIjLj2EENS0_17counting_iteratorIjlEEPS9_SG_NS0_5tupleIJPjSI_NS0_16reverse_iteratorISI_EEEEENSH_IJSG_SG_SG_EEES9_SI_JZNS1_25segmented_radix_sort_implINS0_14default_configELb0EPKdPdPKlPlN2at6native12_GLOBAL__N_18offset_tEEE10hipError_tPvRmT1_PNSt15iterator_traitsIS12_E10value_typeET2_T3_PNS13_IS18_E10value_typeET4_jRbjT5_S1E_jjP12ihipStream_tbEUljE_ZNSN_ISO_Lb0ESQ_SR_ST_SU_SY_EESZ_S10_S11_S12_S16_S17_S18_S1B_S1C_jS1D_jS1E_S1E_jjS1G_bEUljE0_EEESZ_S10_S11_S18_S1C_S1E_T6_T7_T9_mT8_S1G_bDpT10_ENKUlT_T0_E_clISt17integral_constantIbLb1EES1U_EEDaS1P_S1Q_EUlS1P_E_NS1_11comp_targetILNS1_3genE2ELNS1_11target_archE906ELNS1_3gpuE6ELNS1_3repE0EEENS1_30default_config_static_selectorELNS0_4arch9wavefront6targetE0EEEvS12_.num_agpr, 0
	.set _ZN7rocprim17ROCPRIM_400000_NS6detail17trampoline_kernelINS0_13select_configILj256ELj13ELNS0_17block_load_methodE3ELS4_3ELS4_3ELNS0_20block_scan_algorithmE0ELj4294967295EEENS1_25partition_config_selectorILNS1_17partition_subalgoE4EjNS0_10empty_typeEbEEZZNS1_14partition_implILS8_4ELb0ES6_15HIP_vector_typeIjLj2EENS0_17counting_iteratorIjlEEPS9_SG_NS0_5tupleIJPjSI_NS0_16reverse_iteratorISI_EEEEENSH_IJSG_SG_SG_EEES9_SI_JZNS1_25segmented_radix_sort_implINS0_14default_configELb0EPKdPdPKlPlN2at6native12_GLOBAL__N_18offset_tEEE10hipError_tPvRmT1_PNSt15iterator_traitsIS12_E10value_typeET2_T3_PNS13_IS18_E10value_typeET4_jRbjT5_S1E_jjP12ihipStream_tbEUljE_ZNSN_ISO_Lb0ESQ_SR_ST_SU_SY_EESZ_S10_S11_S12_S16_S17_S18_S1B_S1C_jS1D_jS1E_S1E_jjS1G_bEUljE0_EEESZ_S10_S11_S18_S1C_S1E_T6_T7_T9_mT8_S1G_bDpT10_ENKUlT_T0_E_clISt17integral_constantIbLb1EES1U_EEDaS1P_S1Q_EUlS1P_E_NS1_11comp_targetILNS1_3genE2ELNS1_11target_archE906ELNS1_3gpuE6ELNS1_3repE0EEENS1_30default_config_static_selectorELNS0_4arch9wavefront6targetE0EEEvS12_.numbered_sgpr, 0
	.set _ZN7rocprim17ROCPRIM_400000_NS6detail17trampoline_kernelINS0_13select_configILj256ELj13ELNS0_17block_load_methodE3ELS4_3ELS4_3ELNS0_20block_scan_algorithmE0ELj4294967295EEENS1_25partition_config_selectorILNS1_17partition_subalgoE4EjNS0_10empty_typeEbEEZZNS1_14partition_implILS8_4ELb0ES6_15HIP_vector_typeIjLj2EENS0_17counting_iteratorIjlEEPS9_SG_NS0_5tupleIJPjSI_NS0_16reverse_iteratorISI_EEEEENSH_IJSG_SG_SG_EEES9_SI_JZNS1_25segmented_radix_sort_implINS0_14default_configELb0EPKdPdPKlPlN2at6native12_GLOBAL__N_18offset_tEEE10hipError_tPvRmT1_PNSt15iterator_traitsIS12_E10value_typeET2_T3_PNS13_IS18_E10value_typeET4_jRbjT5_S1E_jjP12ihipStream_tbEUljE_ZNSN_ISO_Lb0ESQ_SR_ST_SU_SY_EESZ_S10_S11_S12_S16_S17_S18_S1B_S1C_jS1D_jS1E_S1E_jjS1G_bEUljE0_EEESZ_S10_S11_S18_S1C_S1E_T6_T7_T9_mT8_S1G_bDpT10_ENKUlT_T0_E_clISt17integral_constantIbLb1EES1U_EEDaS1P_S1Q_EUlS1P_E_NS1_11comp_targetILNS1_3genE2ELNS1_11target_archE906ELNS1_3gpuE6ELNS1_3repE0EEENS1_30default_config_static_selectorELNS0_4arch9wavefront6targetE0EEEvS12_.num_named_barrier, 0
	.set _ZN7rocprim17ROCPRIM_400000_NS6detail17trampoline_kernelINS0_13select_configILj256ELj13ELNS0_17block_load_methodE3ELS4_3ELS4_3ELNS0_20block_scan_algorithmE0ELj4294967295EEENS1_25partition_config_selectorILNS1_17partition_subalgoE4EjNS0_10empty_typeEbEEZZNS1_14partition_implILS8_4ELb0ES6_15HIP_vector_typeIjLj2EENS0_17counting_iteratorIjlEEPS9_SG_NS0_5tupleIJPjSI_NS0_16reverse_iteratorISI_EEEEENSH_IJSG_SG_SG_EEES9_SI_JZNS1_25segmented_radix_sort_implINS0_14default_configELb0EPKdPdPKlPlN2at6native12_GLOBAL__N_18offset_tEEE10hipError_tPvRmT1_PNSt15iterator_traitsIS12_E10value_typeET2_T3_PNS13_IS18_E10value_typeET4_jRbjT5_S1E_jjP12ihipStream_tbEUljE_ZNSN_ISO_Lb0ESQ_SR_ST_SU_SY_EESZ_S10_S11_S12_S16_S17_S18_S1B_S1C_jS1D_jS1E_S1E_jjS1G_bEUljE0_EEESZ_S10_S11_S18_S1C_S1E_T6_T7_T9_mT8_S1G_bDpT10_ENKUlT_T0_E_clISt17integral_constantIbLb1EES1U_EEDaS1P_S1Q_EUlS1P_E_NS1_11comp_targetILNS1_3genE2ELNS1_11target_archE906ELNS1_3gpuE6ELNS1_3repE0EEENS1_30default_config_static_selectorELNS0_4arch9wavefront6targetE0EEEvS12_.private_seg_size, 0
	.set _ZN7rocprim17ROCPRIM_400000_NS6detail17trampoline_kernelINS0_13select_configILj256ELj13ELNS0_17block_load_methodE3ELS4_3ELS4_3ELNS0_20block_scan_algorithmE0ELj4294967295EEENS1_25partition_config_selectorILNS1_17partition_subalgoE4EjNS0_10empty_typeEbEEZZNS1_14partition_implILS8_4ELb0ES6_15HIP_vector_typeIjLj2EENS0_17counting_iteratorIjlEEPS9_SG_NS0_5tupleIJPjSI_NS0_16reverse_iteratorISI_EEEEENSH_IJSG_SG_SG_EEES9_SI_JZNS1_25segmented_radix_sort_implINS0_14default_configELb0EPKdPdPKlPlN2at6native12_GLOBAL__N_18offset_tEEE10hipError_tPvRmT1_PNSt15iterator_traitsIS12_E10value_typeET2_T3_PNS13_IS18_E10value_typeET4_jRbjT5_S1E_jjP12ihipStream_tbEUljE_ZNSN_ISO_Lb0ESQ_SR_ST_SU_SY_EESZ_S10_S11_S12_S16_S17_S18_S1B_S1C_jS1D_jS1E_S1E_jjS1G_bEUljE0_EEESZ_S10_S11_S18_S1C_S1E_T6_T7_T9_mT8_S1G_bDpT10_ENKUlT_T0_E_clISt17integral_constantIbLb1EES1U_EEDaS1P_S1Q_EUlS1P_E_NS1_11comp_targetILNS1_3genE2ELNS1_11target_archE906ELNS1_3gpuE6ELNS1_3repE0EEENS1_30default_config_static_selectorELNS0_4arch9wavefront6targetE0EEEvS12_.uses_vcc, 0
	.set _ZN7rocprim17ROCPRIM_400000_NS6detail17trampoline_kernelINS0_13select_configILj256ELj13ELNS0_17block_load_methodE3ELS4_3ELS4_3ELNS0_20block_scan_algorithmE0ELj4294967295EEENS1_25partition_config_selectorILNS1_17partition_subalgoE4EjNS0_10empty_typeEbEEZZNS1_14partition_implILS8_4ELb0ES6_15HIP_vector_typeIjLj2EENS0_17counting_iteratorIjlEEPS9_SG_NS0_5tupleIJPjSI_NS0_16reverse_iteratorISI_EEEEENSH_IJSG_SG_SG_EEES9_SI_JZNS1_25segmented_radix_sort_implINS0_14default_configELb0EPKdPdPKlPlN2at6native12_GLOBAL__N_18offset_tEEE10hipError_tPvRmT1_PNSt15iterator_traitsIS12_E10value_typeET2_T3_PNS13_IS18_E10value_typeET4_jRbjT5_S1E_jjP12ihipStream_tbEUljE_ZNSN_ISO_Lb0ESQ_SR_ST_SU_SY_EESZ_S10_S11_S12_S16_S17_S18_S1B_S1C_jS1D_jS1E_S1E_jjS1G_bEUljE0_EEESZ_S10_S11_S18_S1C_S1E_T6_T7_T9_mT8_S1G_bDpT10_ENKUlT_T0_E_clISt17integral_constantIbLb1EES1U_EEDaS1P_S1Q_EUlS1P_E_NS1_11comp_targetILNS1_3genE2ELNS1_11target_archE906ELNS1_3gpuE6ELNS1_3repE0EEENS1_30default_config_static_selectorELNS0_4arch9wavefront6targetE0EEEvS12_.uses_flat_scratch, 0
	.set _ZN7rocprim17ROCPRIM_400000_NS6detail17trampoline_kernelINS0_13select_configILj256ELj13ELNS0_17block_load_methodE3ELS4_3ELS4_3ELNS0_20block_scan_algorithmE0ELj4294967295EEENS1_25partition_config_selectorILNS1_17partition_subalgoE4EjNS0_10empty_typeEbEEZZNS1_14partition_implILS8_4ELb0ES6_15HIP_vector_typeIjLj2EENS0_17counting_iteratorIjlEEPS9_SG_NS0_5tupleIJPjSI_NS0_16reverse_iteratorISI_EEEEENSH_IJSG_SG_SG_EEES9_SI_JZNS1_25segmented_radix_sort_implINS0_14default_configELb0EPKdPdPKlPlN2at6native12_GLOBAL__N_18offset_tEEE10hipError_tPvRmT1_PNSt15iterator_traitsIS12_E10value_typeET2_T3_PNS13_IS18_E10value_typeET4_jRbjT5_S1E_jjP12ihipStream_tbEUljE_ZNSN_ISO_Lb0ESQ_SR_ST_SU_SY_EESZ_S10_S11_S12_S16_S17_S18_S1B_S1C_jS1D_jS1E_S1E_jjS1G_bEUljE0_EEESZ_S10_S11_S18_S1C_S1E_T6_T7_T9_mT8_S1G_bDpT10_ENKUlT_T0_E_clISt17integral_constantIbLb1EES1U_EEDaS1P_S1Q_EUlS1P_E_NS1_11comp_targetILNS1_3genE2ELNS1_11target_archE906ELNS1_3gpuE6ELNS1_3repE0EEENS1_30default_config_static_selectorELNS0_4arch9wavefront6targetE0EEEvS12_.has_dyn_sized_stack, 0
	.set _ZN7rocprim17ROCPRIM_400000_NS6detail17trampoline_kernelINS0_13select_configILj256ELj13ELNS0_17block_load_methodE3ELS4_3ELS4_3ELNS0_20block_scan_algorithmE0ELj4294967295EEENS1_25partition_config_selectorILNS1_17partition_subalgoE4EjNS0_10empty_typeEbEEZZNS1_14partition_implILS8_4ELb0ES6_15HIP_vector_typeIjLj2EENS0_17counting_iteratorIjlEEPS9_SG_NS0_5tupleIJPjSI_NS0_16reverse_iteratorISI_EEEEENSH_IJSG_SG_SG_EEES9_SI_JZNS1_25segmented_radix_sort_implINS0_14default_configELb0EPKdPdPKlPlN2at6native12_GLOBAL__N_18offset_tEEE10hipError_tPvRmT1_PNSt15iterator_traitsIS12_E10value_typeET2_T3_PNS13_IS18_E10value_typeET4_jRbjT5_S1E_jjP12ihipStream_tbEUljE_ZNSN_ISO_Lb0ESQ_SR_ST_SU_SY_EESZ_S10_S11_S12_S16_S17_S18_S1B_S1C_jS1D_jS1E_S1E_jjS1G_bEUljE0_EEESZ_S10_S11_S18_S1C_S1E_T6_T7_T9_mT8_S1G_bDpT10_ENKUlT_T0_E_clISt17integral_constantIbLb1EES1U_EEDaS1P_S1Q_EUlS1P_E_NS1_11comp_targetILNS1_3genE2ELNS1_11target_archE906ELNS1_3gpuE6ELNS1_3repE0EEENS1_30default_config_static_selectorELNS0_4arch9wavefront6targetE0EEEvS12_.has_recursion, 0
	.set _ZN7rocprim17ROCPRIM_400000_NS6detail17trampoline_kernelINS0_13select_configILj256ELj13ELNS0_17block_load_methodE3ELS4_3ELS4_3ELNS0_20block_scan_algorithmE0ELj4294967295EEENS1_25partition_config_selectorILNS1_17partition_subalgoE4EjNS0_10empty_typeEbEEZZNS1_14partition_implILS8_4ELb0ES6_15HIP_vector_typeIjLj2EENS0_17counting_iteratorIjlEEPS9_SG_NS0_5tupleIJPjSI_NS0_16reverse_iteratorISI_EEEEENSH_IJSG_SG_SG_EEES9_SI_JZNS1_25segmented_radix_sort_implINS0_14default_configELb0EPKdPdPKlPlN2at6native12_GLOBAL__N_18offset_tEEE10hipError_tPvRmT1_PNSt15iterator_traitsIS12_E10value_typeET2_T3_PNS13_IS18_E10value_typeET4_jRbjT5_S1E_jjP12ihipStream_tbEUljE_ZNSN_ISO_Lb0ESQ_SR_ST_SU_SY_EESZ_S10_S11_S12_S16_S17_S18_S1B_S1C_jS1D_jS1E_S1E_jjS1G_bEUljE0_EEESZ_S10_S11_S18_S1C_S1E_T6_T7_T9_mT8_S1G_bDpT10_ENKUlT_T0_E_clISt17integral_constantIbLb1EES1U_EEDaS1P_S1Q_EUlS1P_E_NS1_11comp_targetILNS1_3genE2ELNS1_11target_archE906ELNS1_3gpuE6ELNS1_3repE0EEENS1_30default_config_static_selectorELNS0_4arch9wavefront6targetE0EEEvS12_.has_indirect_call, 0
	.section	.AMDGPU.csdata,"",@progbits
; Kernel info:
; codeLenInByte = 0
; TotalNumSgprs: 0
; NumVgprs: 0
; ScratchSize: 0
; MemoryBound: 0
; FloatMode: 240
; IeeeMode: 1
; LDSByteSize: 0 bytes/workgroup (compile time only)
; SGPRBlocks: 0
; VGPRBlocks: 0
; NumSGPRsForWavesPerEU: 1
; NumVGPRsForWavesPerEU: 1
; Occupancy: 16
; WaveLimiterHint : 0
; COMPUTE_PGM_RSRC2:SCRATCH_EN: 0
; COMPUTE_PGM_RSRC2:USER_SGPR: 6
; COMPUTE_PGM_RSRC2:TRAP_HANDLER: 0
; COMPUTE_PGM_RSRC2:TGID_X_EN: 1
; COMPUTE_PGM_RSRC2:TGID_Y_EN: 0
; COMPUTE_PGM_RSRC2:TGID_Z_EN: 0
; COMPUTE_PGM_RSRC2:TIDIG_COMP_CNT: 0
	.section	.text._ZN7rocprim17ROCPRIM_400000_NS6detail17trampoline_kernelINS0_13select_configILj256ELj13ELNS0_17block_load_methodE3ELS4_3ELS4_3ELNS0_20block_scan_algorithmE0ELj4294967295EEENS1_25partition_config_selectorILNS1_17partition_subalgoE4EjNS0_10empty_typeEbEEZZNS1_14partition_implILS8_4ELb0ES6_15HIP_vector_typeIjLj2EENS0_17counting_iteratorIjlEEPS9_SG_NS0_5tupleIJPjSI_NS0_16reverse_iteratorISI_EEEEENSH_IJSG_SG_SG_EEES9_SI_JZNS1_25segmented_radix_sort_implINS0_14default_configELb0EPKdPdPKlPlN2at6native12_GLOBAL__N_18offset_tEEE10hipError_tPvRmT1_PNSt15iterator_traitsIS12_E10value_typeET2_T3_PNS13_IS18_E10value_typeET4_jRbjT5_S1E_jjP12ihipStream_tbEUljE_ZNSN_ISO_Lb0ESQ_SR_ST_SU_SY_EESZ_S10_S11_S12_S16_S17_S18_S1B_S1C_jS1D_jS1E_S1E_jjS1G_bEUljE0_EEESZ_S10_S11_S18_S1C_S1E_T6_T7_T9_mT8_S1G_bDpT10_ENKUlT_T0_E_clISt17integral_constantIbLb1EES1U_EEDaS1P_S1Q_EUlS1P_E_NS1_11comp_targetILNS1_3genE10ELNS1_11target_archE1200ELNS1_3gpuE4ELNS1_3repE0EEENS1_30default_config_static_selectorELNS0_4arch9wavefront6targetE0EEEvS12_,"axG",@progbits,_ZN7rocprim17ROCPRIM_400000_NS6detail17trampoline_kernelINS0_13select_configILj256ELj13ELNS0_17block_load_methodE3ELS4_3ELS4_3ELNS0_20block_scan_algorithmE0ELj4294967295EEENS1_25partition_config_selectorILNS1_17partition_subalgoE4EjNS0_10empty_typeEbEEZZNS1_14partition_implILS8_4ELb0ES6_15HIP_vector_typeIjLj2EENS0_17counting_iteratorIjlEEPS9_SG_NS0_5tupleIJPjSI_NS0_16reverse_iteratorISI_EEEEENSH_IJSG_SG_SG_EEES9_SI_JZNS1_25segmented_radix_sort_implINS0_14default_configELb0EPKdPdPKlPlN2at6native12_GLOBAL__N_18offset_tEEE10hipError_tPvRmT1_PNSt15iterator_traitsIS12_E10value_typeET2_T3_PNS13_IS18_E10value_typeET4_jRbjT5_S1E_jjP12ihipStream_tbEUljE_ZNSN_ISO_Lb0ESQ_SR_ST_SU_SY_EESZ_S10_S11_S12_S16_S17_S18_S1B_S1C_jS1D_jS1E_S1E_jjS1G_bEUljE0_EEESZ_S10_S11_S18_S1C_S1E_T6_T7_T9_mT8_S1G_bDpT10_ENKUlT_T0_E_clISt17integral_constantIbLb1EES1U_EEDaS1P_S1Q_EUlS1P_E_NS1_11comp_targetILNS1_3genE10ELNS1_11target_archE1200ELNS1_3gpuE4ELNS1_3repE0EEENS1_30default_config_static_selectorELNS0_4arch9wavefront6targetE0EEEvS12_,comdat
	.globl	_ZN7rocprim17ROCPRIM_400000_NS6detail17trampoline_kernelINS0_13select_configILj256ELj13ELNS0_17block_load_methodE3ELS4_3ELS4_3ELNS0_20block_scan_algorithmE0ELj4294967295EEENS1_25partition_config_selectorILNS1_17partition_subalgoE4EjNS0_10empty_typeEbEEZZNS1_14partition_implILS8_4ELb0ES6_15HIP_vector_typeIjLj2EENS0_17counting_iteratorIjlEEPS9_SG_NS0_5tupleIJPjSI_NS0_16reverse_iteratorISI_EEEEENSH_IJSG_SG_SG_EEES9_SI_JZNS1_25segmented_radix_sort_implINS0_14default_configELb0EPKdPdPKlPlN2at6native12_GLOBAL__N_18offset_tEEE10hipError_tPvRmT1_PNSt15iterator_traitsIS12_E10value_typeET2_T3_PNS13_IS18_E10value_typeET4_jRbjT5_S1E_jjP12ihipStream_tbEUljE_ZNSN_ISO_Lb0ESQ_SR_ST_SU_SY_EESZ_S10_S11_S12_S16_S17_S18_S1B_S1C_jS1D_jS1E_S1E_jjS1G_bEUljE0_EEESZ_S10_S11_S18_S1C_S1E_T6_T7_T9_mT8_S1G_bDpT10_ENKUlT_T0_E_clISt17integral_constantIbLb1EES1U_EEDaS1P_S1Q_EUlS1P_E_NS1_11comp_targetILNS1_3genE10ELNS1_11target_archE1200ELNS1_3gpuE4ELNS1_3repE0EEENS1_30default_config_static_selectorELNS0_4arch9wavefront6targetE0EEEvS12_ ; -- Begin function _ZN7rocprim17ROCPRIM_400000_NS6detail17trampoline_kernelINS0_13select_configILj256ELj13ELNS0_17block_load_methodE3ELS4_3ELS4_3ELNS0_20block_scan_algorithmE0ELj4294967295EEENS1_25partition_config_selectorILNS1_17partition_subalgoE4EjNS0_10empty_typeEbEEZZNS1_14partition_implILS8_4ELb0ES6_15HIP_vector_typeIjLj2EENS0_17counting_iteratorIjlEEPS9_SG_NS0_5tupleIJPjSI_NS0_16reverse_iteratorISI_EEEEENSH_IJSG_SG_SG_EEES9_SI_JZNS1_25segmented_radix_sort_implINS0_14default_configELb0EPKdPdPKlPlN2at6native12_GLOBAL__N_18offset_tEEE10hipError_tPvRmT1_PNSt15iterator_traitsIS12_E10value_typeET2_T3_PNS13_IS18_E10value_typeET4_jRbjT5_S1E_jjP12ihipStream_tbEUljE_ZNSN_ISO_Lb0ESQ_SR_ST_SU_SY_EESZ_S10_S11_S12_S16_S17_S18_S1B_S1C_jS1D_jS1E_S1E_jjS1G_bEUljE0_EEESZ_S10_S11_S18_S1C_S1E_T6_T7_T9_mT8_S1G_bDpT10_ENKUlT_T0_E_clISt17integral_constantIbLb1EES1U_EEDaS1P_S1Q_EUlS1P_E_NS1_11comp_targetILNS1_3genE10ELNS1_11target_archE1200ELNS1_3gpuE4ELNS1_3repE0EEENS1_30default_config_static_selectorELNS0_4arch9wavefront6targetE0EEEvS12_
	.p2align	8
	.type	_ZN7rocprim17ROCPRIM_400000_NS6detail17trampoline_kernelINS0_13select_configILj256ELj13ELNS0_17block_load_methodE3ELS4_3ELS4_3ELNS0_20block_scan_algorithmE0ELj4294967295EEENS1_25partition_config_selectorILNS1_17partition_subalgoE4EjNS0_10empty_typeEbEEZZNS1_14partition_implILS8_4ELb0ES6_15HIP_vector_typeIjLj2EENS0_17counting_iteratorIjlEEPS9_SG_NS0_5tupleIJPjSI_NS0_16reverse_iteratorISI_EEEEENSH_IJSG_SG_SG_EEES9_SI_JZNS1_25segmented_radix_sort_implINS0_14default_configELb0EPKdPdPKlPlN2at6native12_GLOBAL__N_18offset_tEEE10hipError_tPvRmT1_PNSt15iterator_traitsIS12_E10value_typeET2_T3_PNS13_IS18_E10value_typeET4_jRbjT5_S1E_jjP12ihipStream_tbEUljE_ZNSN_ISO_Lb0ESQ_SR_ST_SU_SY_EESZ_S10_S11_S12_S16_S17_S18_S1B_S1C_jS1D_jS1E_S1E_jjS1G_bEUljE0_EEESZ_S10_S11_S18_S1C_S1E_T6_T7_T9_mT8_S1G_bDpT10_ENKUlT_T0_E_clISt17integral_constantIbLb1EES1U_EEDaS1P_S1Q_EUlS1P_E_NS1_11comp_targetILNS1_3genE10ELNS1_11target_archE1200ELNS1_3gpuE4ELNS1_3repE0EEENS1_30default_config_static_selectorELNS0_4arch9wavefront6targetE0EEEvS12_,@function
_ZN7rocprim17ROCPRIM_400000_NS6detail17trampoline_kernelINS0_13select_configILj256ELj13ELNS0_17block_load_methodE3ELS4_3ELS4_3ELNS0_20block_scan_algorithmE0ELj4294967295EEENS1_25partition_config_selectorILNS1_17partition_subalgoE4EjNS0_10empty_typeEbEEZZNS1_14partition_implILS8_4ELb0ES6_15HIP_vector_typeIjLj2EENS0_17counting_iteratorIjlEEPS9_SG_NS0_5tupleIJPjSI_NS0_16reverse_iteratorISI_EEEEENSH_IJSG_SG_SG_EEES9_SI_JZNS1_25segmented_radix_sort_implINS0_14default_configELb0EPKdPdPKlPlN2at6native12_GLOBAL__N_18offset_tEEE10hipError_tPvRmT1_PNSt15iterator_traitsIS12_E10value_typeET2_T3_PNS13_IS18_E10value_typeET4_jRbjT5_S1E_jjP12ihipStream_tbEUljE_ZNSN_ISO_Lb0ESQ_SR_ST_SU_SY_EESZ_S10_S11_S12_S16_S17_S18_S1B_S1C_jS1D_jS1E_S1E_jjS1G_bEUljE0_EEESZ_S10_S11_S18_S1C_S1E_T6_T7_T9_mT8_S1G_bDpT10_ENKUlT_T0_E_clISt17integral_constantIbLb1EES1U_EEDaS1P_S1Q_EUlS1P_E_NS1_11comp_targetILNS1_3genE10ELNS1_11target_archE1200ELNS1_3gpuE4ELNS1_3repE0EEENS1_30default_config_static_selectorELNS0_4arch9wavefront6targetE0EEEvS12_: ; @_ZN7rocprim17ROCPRIM_400000_NS6detail17trampoline_kernelINS0_13select_configILj256ELj13ELNS0_17block_load_methodE3ELS4_3ELS4_3ELNS0_20block_scan_algorithmE0ELj4294967295EEENS1_25partition_config_selectorILNS1_17partition_subalgoE4EjNS0_10empty_typeEbEEZZNS1_14partition_implILS8_4ELb0ES6_15HIP_vector_typeIjLj2EENS0_17counting_iteratorIjlEEPS9_SG_NS0_5tupleIJPjSI_NS0_16reverse_iteratorISI_EEEEENSH_IJSG_SG_SG_EEES9_SI_JZNS1_25segmented_radix_sort_implINS0_14default_configELb0EPKdPdPKlPlN2at6native12_GLOBAL__N_18offset_tEEE10hipError_tPvRmT1_PNSt15iterator_traitsIS12_E10value_typeET2_T3_PNS13_IS18_E10value_typeET4_jRbjT5_S1E_jjP12ihipStream_tbEUljE_ZNSN_ISO_Lb0ESQ_SR_ST_SU_SY_EESZ_S10_S11_S12_S16_S17_S18_S1B_S1C_jS1D_jS1E_S1E_jjS1G_bEUljE0_EEESZ_S10_S11_S18_S1C_S1E_T6_T7_T9_mT8_S1G_bDpT10_ENKUlT_T0_E_clISt17integral_constantIbLb1EES1U_EEDaS1P_S1Q_EUlS1P_E_NS1_11comp_targetILNS1_3genE10ELNS1_11target_archE1200ELNS1_3gpuE4ELNS1_3repE0EEENS1_30default_config_static_selectorELNS0_4arch9wavefront6targetE0EEEvS12_
; %bb.0:
	.section	.rodata,"a",@progbits
	.p2align	6, 0x0
	.amdhsa_kernel _ZN7rocprim17ROCPRIM_400000_NS6detail17trampoline_kernelINS0_13select_configILj256ELj13ELNS0_17block_load_methodE3ELS4_3ELS4_3ELNS0_20block_scan_algorithmE0ELj4294967295EEENS1_25partition_config_selectorILNS1_17partition_subalgoE4EjNS0_10empty_typeEbEEZZNS1_14partition_implILS8_4ELb0ES6_15HIP_vector_typeIjLj2EENS0_17counting_iteratorIjlEEPS9_SG_NS0_5tupleIJPjSI_NS0_16reverse_iteratorISI_EEEEENSH_IJSG_SG_SG_EEES9_SI_JZNS1_25segmented_radix_sort_implINS0_14default_configELb0EPKdPdPKlPlN2at6native12_GLOBAL__N_18offset_tEEE10hipError_tPvRmT1_PNSt15iterator_traitsIS12_E10value_typeET2_T3_PNS13_IS18_E10value_typeET4_jRbjT5_S1E_jjP12ihipStream_tbEUljE_ZNSN_ISO_Lb0ESQ_SR_ST_SU_SY_EESZ_S10_S11_S12_S16_S17_S18_S1B_S1C_jS1D_jS1E_S1E_jjS1G_bEUljE0_EEESZ_S10_S11_S18_S1C_S1E_T6_T7_T9_mT8_S1G_bDpT10_ENKUlT_T0_E_clISt17integral_constantIbLb1EES1U_EEDaS1P_S1Q_EUlS1P_E_NS1_11comp_targetILNS1_3genE10ELNS1_11target_archE1200ELNS1_3gpuE4ELNS1_3repE0EEENS1_30default_config_static_selectorELNS0_4arch9wavefront6targetE0EEEvS12_
		.amdhsa_group_segment_fixed_size 0
		.amdhsa_private_segment_fixed_size 0
		.amdhsa_kernarg_size 184
		.amdhsa_user_sgpr_count 6
		.amdhsa_user_sgpr_private_segment_buffer 1
		.amdhsa_user_sgpr_dispatch_ptr 0
		.amdhsa_user_sgpr_queue_ptr 0
		.amdhsa_user_sgpr_kernarg_segment_ptr 1
		.amdhsa_user_sgpr_dispatch_id 0
		.amdhsa_user_sgpr_flat_scratch_init 0
		.amdhsa_user_sgpr_private_segment_size 0
		.amdhsa_wavefront_size32 1
		.amdhsa_uses_dynamic_stack 0
		.amdhsa_system_sgpr_private_segment_wavefront_offset 0
		.amdhsa_system_sgpr_workgroup_id_x 1
		.amdhsa_system_sgpr_workgroup_id_y 0
		.amdhsa_system_sgpr_workgroup_id_z 0
		.amdhsa_system_sgpr_workgroup_info 0
		.amdhsa_system_vgpr_workitem_id 0
		.amdhsa_next_free_vgpr 1
		.amdhsa_next_free_sgpr 1
		.amdhsa_reserve_vcc 0
		.amdhsa_reserve_flat_scratch 0
		.amdhsa_float_round_mode_32 0
		.amdhsa_float_round_mode_16_64 0
		.amdhsa_float_denorm_mode_32 3
		.amdhsa_float_denorm_mode_16_64 3
		.amdhsa_dx10_clamp 1
		.amdhsa_ieee_mode 1
		.amdhsa_fp16_overflow 0
		.amdhsa_workgroup_processor_mode 1
		.amdhsa_memory_ordered 1
		.amdhsa_forward_progress 1
		.amdhsa_shared_vgpr_count 0
		.amdhsa_exception_fp_ieee_invalid_op 0
		.amdhsa_exception_fp_denorm_src 0
		.amdhsa_exception_fp_ieee_div_zero 0
		.amdhsa_exception_fp_ieee_overflow 0
		.amdhsa_exception_fp_ieee_underflow 0
		.amdhsa_exception_fp_ieee_inexact 0
		.amdhsa_exception_int_div_zero 0
	.end_amdhsa_kernel
	.section	.text._ZN7rocprim17ROCPRIM_400000_NS6detail17trampoline_kernelINS0_13select_configILj256ELj13ELNS0_17block_load_methodE3ELS4_3ELS4_3ELNS0_20block_scan_algorithmE0ELj4294967295EEENS1_25partition_config_selectorILNS1_17partition_subalgoE4EjNS0_10empty_typeEbEEZZNS1_14partition_implILS8_4ELb0ES6_15HIP_vector_typeIjLj2EENS0_17counting_iteratorIjlEEPS9_SG_NS0_5tupleIJPjSI_NS0_16reverse_iteratorISI_EEEEENSH_IJSG_SG_SG_EEES9_SI_JZNS1_25segmented_radix_sort_implINS0_14default_configELb0EPKdPdPKlPlN2at6native12_GLOBAL__N_18offset_tEEE10hipError_tPvRmT1_PNSt15iterator_traitsIS12_E10value_typeET2_T3_PNS13_IS18_E10value_typeET4_jRbjT5_S1E_jjP12ihipStream_tbEUljE_ZNSN_ISO_Lb0ESQ_SR_ST_SU_SY_EESZ_S10_S11_S12_S16_S17_S18_S1B_S1C_jS1D_jS1E_S1E_jjS1G_bEUljE0_EEESZ_S10_S11_S18_S1C_S1E_T6_T7_T9_mT8_S1G_bDpT10_ENKUlT_T0_E_clISt17integral_constantIbLb1EES1U_EEDaS1P_S1Q_EUlS1P_E_NS1_11comp_targetILNS1_3genE10ELNS1_11target_archE1200ELNS1_3gpuE4ELNS1_3repE0EEENS1_30default_config_static_selectorELNS0_4arch9wavefront6targetE0EEEvS12_,"axG",@progbits,_ZN7rocprim17ROCPRIM_400000_NS6detail17trampoline_kernelINS0_13select_configILj256ELj13ELNS0_17block_load_methodE3ELS4_3ELS4_3ELNS0_20block_scan_algorithmE0ELj4294967295EEENS1_25partition_config_selectorILNS1_17partition_subalgoE4EjNS0_10empty_typeEbEEZZNS1_14partition_implILS8_4ELb0ES6_15HIP_vector_typeIjLj2EENS0_17counting_iteratorIjlEEPS9_SG_NS0_5tupleIJPjSI_NS0_16reverse_iteratorISI_EEEEENSH_IJSG_SG_SG_EEES9_SI_JZNS1_25segmented_radix_sort_implINS0_14default_configELb0EPKdPdPKlPlN2at6native12_GLOBAL__N_18offset_tEEE10hipError_tPvRmT1_PNSt15iterator_traitsIS12_E10value_typeET2_T3_PNS13_IS18_E10value_typeET4_jRbjT5_S1E_jjP12ihipStream_tbEUljE_ZNSN_ISO_Lb0ESQ_SR_ST_SU_SY_EESZ_S10_S11_S12_S16_S17_S18_S1B_S1C_jS1D_jS1E_S1E_jjS1G_bEUljE0_EEESZ_S10_S11_S18_S1C_S1E_T6_T7_T9_mT8_S1G_bDpT10_ENKUlT_T0_E_clISt17integral_constantIbLb1EES1U_EEDaS1P_S1Q_EUlS1P_E_NS1_11comp_targetILNS1_3genE10ELNS1_11target_archE1200ELNS1_3gpuE4ELNS1_3repE0EEENS1_30default_config_static_selectorELNS0_4arch9wavefront6targetE0EEEvS12_,comdat
.Lfunc_end1162:
	.size	_ZN7rocprim17ROCPRIM_400000_NS6detail17trampoline_kernelINS0_13select_configILj256ELj13ELNS0_17block_load_methodE3ELS4_3ELS4_3ELNS0_20block_scan_algorithmE0ELj4294967295EEENS1_25partition_config_selectorILNS1_17partition_subalgoE4EjNS0_10empty_typeEbEEZZNS1_14partition_implILS8_4ELb0ES6_15HIP_vector_typeIjLj2EENS0_17counting_iteratorIjlEEPS9_SG_NS0_5tupleIJPjSI_NS0_16reverse_iteratorISI_EEEEENSH_IJSG_SG_SG_EEES9_SI_JZNS1_25segmented_radix_sort_implINS0_14default_configELb0EPKdPdPKlPlN2at6native12_GLOBAL__N_18offset_tEEE10hipError_tPvRmT1_PNSt15iterator_traitsIS12_E10value_typeET2_T3_PNS13_IS18_E10value_typeET4_jRbjT5_S1E_jjP12ihipStream_tbEUljE_ZNSN_ISO_Lb0ESQ_SR_ST_SU_SY_EESZ_S10_S11_S12_S16_S17_S18_S1B_S1C_jS1D_jS1E_S1E_jjS1G_bEUljE0_EEESZ_S10_S11_S18_S1C_S1E_T6_T7_T9_mT8_S1G_bDpT10_ENKUlT_T0_E_clISt17integral_constantIbLb1EES1U_EEDaS1P_S1Q_EUlS1P_E_NS1_11comp_targetILNS1_3genE10ELNS1_11target_archE1200ELNS1_3gpuE4ELNS1_3repE0EEENS1_30default_config_static_selectorELNS0_4arch9wavefront6targetE0EEEvS12_, .Lfunc_end1162-_ZN7rocprim17ROCPRIM_400000_NS6detail17trampoline_kernelINS0_13select_configILj256ELj13ELNS0_17block_load_methodE3ELS4_3ELS4_3ELNS0_20block_scan_algorithmE0ELj4294967295EEENS1_25partition_config_selectorILNS1_17partition_subalgoE4EjNS0_10empty_typeEbEEZZNS1_14partition_implILS8_4ELb0ES6_15HIP_vector_typeIjLj2EENS0_17counting_iteratorIjlEEPS9_SG_NS0_5tupleIJPjSI_NS0_16reverse_iteratorISI_EEEEENSH_IJSG_SG_SG_EEES9_SI_JZNS1_25segmented_radix_sort_implINS0_14default_configELb0EPKdPdPKlPlN2at6native12_GLOBAL__N_18offset_tEEE10hipError_tPvRmT1_PNSt15iterator_traitsIS12_E10value_typeET2_T3_PNS13_IS18_E10value_typeET4_jRbjT5_S1E_jjP12ihipStream_tbEUljE_ZNSN_ISO_Lb0ESQ_SR_ST_SU_SY_EESZ_S10_S11_S12_S16_S17_S18_S1B_S1C_jS1D_jS1E_S1E_jjS1G_bEUljE0_EEESZ_S10_S11_S18_S1C_S1E_T6_T7_T9_mT8_S1G_bDpT10_ENKUlT_T0_E_clISt17integral_constantIbLb1EES1U_EEDaS1P_S1Q_EUlS1P_E_NS1_11comp_targetILNS1_3genE10ELNS1_11target_archE1200ELNS1_3gpuE4ELNS1_3repE0EEENS1_30default_config_static_selectorELNS0_4arch9wavefront6targetE0EEEvS12_
                                        ; -- End function
	.set _ZN7rocprim17ROCPRIM_400000_NS6detail17trampoline_kernelINS0_13select_configILj256ELj13ELNS0_17block_load_methodE3ELS4_3ELS4_3ELNS0_20block_scan_algorithmE0ELj4294967295EEENS1_25partition_config_selectorILNS1_17partition_subalgoE4EjNS0_10empty_typeEbEEZZNS1_14partition_implILS8_4ELb0ES6_15HIP_vector_typeIjLj2EENS0_17counting_iteratorIjlEEPS9_SG_NS0_5tupleIJPjSI_NS0_16reverse_iteratorISI_EEEEENSH_IJSG_SG_SG_EEES9_SI_JZNS1_25segmented_radix_sort_implINS0_14default_configELb0EPKdPdPKlPlN2at6native12_GLOBAL__N_18offset_tEEE10hipError_tPvRmT1_PNSt15iterator_traitsIS12_E10value_typeET2_T3_PNS13_IS18_E10value_typeET4_jRbjT5_S1E_jjP12ihipStream_tbEUljE_ZNSN_ISO_Lb0ESQ_SR_ST_SU_SY_EESZ_S10_S11_S12_S16_S17_S18_S1B_S1C_jS1D_jS1E_S1E_jjS1G_bEUljE0_EEESZ_S10_S11_S18_S1C_S1E_T6_T7_T9_mT8_S1G_bDpT10_ENKUlT_T0_E_clISt17integral_constantIbLb1EES1U_EEDaS1P_S1Q_EUlS1P_E_NS1_11comp_targetILNS1_3genE10ELNS1_11target_archE1200ELNS1_3gpuE4ELNS1_3repE0EEENS1_30default_config_static_selectorELNS0_4arch9wavefront6targetE0EEEvS12_.num_vgpr, 0
	.set _ZN7rocprim17ROCPRIM_400000_NS6detail17trampoline_kernelINS0_13select_configILj256ELj13ELNS0_17block_load_methodE3ELS4_3ELS4_3ELNS0_20block_scan_algorithmE0ELj4294967295EEENS1_25partition_config_selectorILNS1_17partition_subalgoE4EjNS0_10empty_typeEbEEZZNS1_14partition_implILS8_4ELb0ES6_15HIP_vector_typeIjLj2EENS0_17counting_iteratorIjlEEPS9_SG_NS0_5tupleIJPjSI_NS0_16reverse_iteratorISI_EEEEENSH_IJSG_SG_SG_EEES9_SI_JZNS1_25segmented_radix_sort_implINS0_14default_configELb0EPKdPdPKlPlN2at6native12_GLOBAL__N_18offset_tEEE10hipError_tPvRmT1_PNSt15iterator_traitsIS12_E10value_typeET2_T3_PNS13_IS18_E10value_typeET4_jRbjT5_S1E_jjP12ihipStream_tbEUljE_ZNSN_ISO_Lb0ESQ_SR_ST_SU_SY_EESZ_S10_S11_S12_S16_S17_S18_S1B_S1C_jS1D_jS1E_S1E_jjS1G_bEUljE0_EEESZ_S10_S11_S18_S1C_S1E_T6_T7_T9_mT8_S1G_bDpT10_ENKUlT_T0_E_clISt17integral_constantIbLb1EES1U_EEDaS1P_S1Q_EUlS1P_E_NS1_11comp_targetILNS1_3genE10ELNS1_11target_archE1200ELNS1_3gpuE4ELNS1_3repE0EEENS1_30default_config_static_selectorELNS0_4arch9wavefront6targetE0EEEvS12_.num_agpr, 0
	.set _ZN7rocprim17ROCPRIM_400000_NS6detail17trampoline_kernelINS0_13select_configILj256ELj13ELNS0_17block_load_methodE3ELS4_3ELS4_3ELNS0_20block_scan_algorithmE0ELj4294967295EEENS1_25partition_config_selectorILNS1_17partition_subalgoE4EjNS0_10empty_typeEbEEZZNS1_14partition_implILS8_4ELb0ES6_15HIP_vector_typeIjLj2EENS0_17counting_iteratorIjlEEPS9_SG_NS0_5tupleIJPjSI_NS0_16reverse_iteratorISI_EEEEENSH_IJSG_SG_SG_EEES9_SI_JZNS1_25segmented_radix_sort_implINS0_14default_configELb0EPKdPdPKlPlN2at6native12_GLOBAL__N_18offset_tEEE10hipError_tPvRmT1_PNSt15iterator_traitsIS12_E10value_typeET2_T3_PNS13_IS18_E10value_typeET4_jRbjT5_S1E_jjP12ihipStream_tbEUljE_ZNSN_ISO_Lb0ESQ_SR_ST_SU_SY_EESZ_S10_S11_S12_S16_S17_S18_S1B_S1C_jS1D_jS1E_S1E_jjS1G_bEUljE0_EEESZ_S10_S11_S18_S1C_S1E_T6_T7_T9_mT8_S1G_bDpT10_ENKUlT_T0_E_clISt17integral_constantIbLb1EES1U_EEDaS1P_S1Q_EUlS1P_E_NS1_11comp_targetILNS1_3genE10ELNS1_11target_archE1200ELNS1_3gpuE4ELNS1_3repE0EEENS1_30default_config_static_selectorELNS0_4arch9wavefront6targetE0EEEvS12_.numbered_sgpr, 0
	.set _ZN7rocprim17ROCPRIM_400000_NS6detail17trampoline_kernelINS0_13select_configILj256ELj13ELNS0_17block_load_methodE3ELS4_3ELS4_3ELNS0_20block_scan_algorithmE0ELj4294967295EEENS1_25partition_config_selectorILNS1_17partition_subalgoE4EjNS0_10empty_typeEbEEZZNS1_14partition_implILS8_4ELb0ES6_15HIP_vector_typeIjLj2EENS0_17counting_iteratorIjlEEPS9_SG_NS0_5tupleIJPjSI_NS0_16reverse_iteratorISI_EEEEENSH_IJSG_SG_SG_EEES9_SI_JZNS1_25segmented_radix_sort_implINS0_14default_configELb0EPKdPdPKlPlN2at6native12_GLOBAL__N_18offset_tEEE10hipError_tPvRmT1_PNSt15iterator_traitsIS12_E10value_typeET2_T3_PNS13_IS18_E10value_typeET4_jRbjT5_S1E_jjP12ihipStream_tbEUljE_ZNSN_ISO_Lb0ESQ_SR_ST_SU_SY_EESZ_S10_S11_S12_S16_S17_S18_S1B_S1C_jS1D_jS1E_S1E_jjS1G_bEUljE0_EEESZ_S10_S11_S18_S1C_S1E_T6_T7_T9_mT8_S1G_bDpT10_ENKUlT_T0_E_clISt17integral_constantIbLb1EES1U_EEDaS1P_S1Q_EUlS1P_E_NS1_11comp_targetILNS1_3genE10ELNS1_11target_archE1200ELNS1_3gpuE4ELNS1_3repE0EEENS1_30default_config_static_selectorELNS0_4arch9wavefront6targetE0EEEvS12_.num_named_barrier, 0
	.set _ZN7rocprim17ROCPRIM_400000_NS6detail17trampoline_kernelINS0_13select_configILj256ELj13ELNS0_17block_load_methodE3ELS4_3ELS4_3ELNS0_20block_scan_algorithmE0ELj4294967295EEENS1_25partition_config_selectorILNS1_17partition_subalgoE4EjNS0_10empty_typeEbEEZZNS1_14partition_implILS8_4ELb0ES6_15HIP_vector_typeIjLj2EENS0_17counting_iteratorIjlEEPS9_SG_NS0_5tupleIJPjSI_NS0_16reverse_iteratorISI_EEEEENSH_IJSG_SG_SG_EEES9_SI_JZNS1_25segmented_radix_sort_implINS0_14default_configELb0EPKdPdPKlPlN2at6native12_GLOBAL__N_18offset_tEEE10hipError_tPvRmT1_PNSt15iterator_traitsIS12_E10value_typeET2_T3_PNS13_IS18_E10value_typeET4_jRbjT5_S1E_jjP12ihipStream_tbEUljE_ZNSN_ISO_Lb0ESQ_SR_ST_SU_SY_EESZ_S10_S11_S12_S16_S17_S18_S1B_S1C_jS1D_jS1E_S1E_jjS1G_bEUljE0_EEESZ_S10_S11_S18_S1C_S1E_T6_T7_T9_mT8_S1G_bDpT10_ENKUlT_T0_E_clISt17integral_constantIbLb1EES1U_EEDaS1P_S1Q_EUlS1P_E_NS1_11comp_targetILNS1_3genE10ELNS1_11target_archE1200ELNS1_3gpuE4ELNS1_3repE0EEENS1_30default_config_static_selectorELNS0_4arch9wavefront6targetE0EEEvS12_.private_seg_size, 0
	.set _ZN7rocprim17ROCPRIM_400000_NS6detail17trampoline_kernelINS0_13select_configILj256ELj13ELNS0_17block_load_methodE3ELS4_3ELS4_3ELNS0_20block_scan_algorithmE0ELj4294967295EEENS1_25partition_config_selectorILNS1_17partition_subalgoE4EjNS0_10empty_typeEbEEZZNS1_14partition_implILS8_4ELb0ES6_15HIP_vector_typeIjLj2EENS0_17counting_iteratorIjlEEPS9_SG_NS0_5tupleIJPjSI_NS0_16reverse_iteratorISI_EEEEENSH_IJSG_SG_SG_EEES9_SI_JZNS1_25segmented_radix_sort_implINS0_14default_configELb0EPKdPdPKlPlN2at6native12_GLOBAL__N_18offset_tEEE10hipError_tPvRmT1_PNSt15iterator_traitsIS12_E10value_typeET2_T3_PNS13_IS18_E10value_typeET4_jRbjT5_S1E_jjP12ihipStream_tbEUljE_ZNSN_ISO_Lb0ESQ_SR_ST_SU_SY_EESZ_S10_S11_S12_S16_S17_S18_S1B_S1C_jS1D_jS1E_S1E_jjS1G_bEUljE0_EEESZ_S10_S11_S18_S1C_S1E_T6_T7_T9_mT8_S1G_bDpT10_ENKUlT_T0_E_clISt17integral_constantIbLb1EES1U_EEDaS1P_S1Q_EUlS1P_E_NS1_11comp_targetILNS1_3genE10ELNS1_11target_archE1200ELNS1_3gpuE4ELNS1_3repE0EEENS1_30default_config_static_selectorELNS0_4arch9wavefront6targetE0EEEvS12_.uses_vcc, 0
	.set _ZN7rocprim17ROCPRIM_400000_NS6detail17trampoline_kernelINS0_13select_configILj256ELj13ELNS0_17block_load_methodE3ELS4_3ELS4_3ELNS0_20block_scan_algorithmE0ELj4294967295EEENS1_25partition_config_selectorILNS1_17partition_subalgoE4EjNS0_10empty_typeEbEEZZNS1_14partition_implILS8_4ELb0ES6_15HIP_vector_typeIjLj2EENS0_17counting_iteratorIjlEEPS9_SG_NS0_5tupleIJPjSI_NS0_16reverse_iteratorISI_EEEEENSH_IJSG_SG_SG_EEES9_SI_JZNS1_25segmented_radix_sort_implINS0_14default_configELb0EPKdPdPKlPlN2at6native12_GLOBAL__N_18offset_tEEE10hipError_tPvRmT1_PNSt15iterator_traitsIS12_E10value_typeET2_T3_PNS13_IS18_E10value_typeET4_jRbjT5_S1E_jjP12ihipStream_tbEUljE_ZNSN_ISO_Lb0ESQ_SR_ST_SU_SY_EESZ_S10_S11_S12_S16_S17_S18_S1B_S1C_jS1D_jS1E_S1E_jjS1G_bEUljE0_EEESZ_S10_S11_S18_S1C_S1E_T6_T7_T9_mT8_S1G_bDpT10_ENKUlT_T0_E_clISt17integral_constantIbLb1EES1U_EEDaS1P_S1Q_EUlS1P_E_NS1_11comp_targetILNS1_3genE10ELNS1_11target_archE1200ELNS1_3gpuE4ELNS1_3repE0EEENS1_30default_config_static_selectorELNS0_4arch9wavefront6targetE0EEEvS12_.uses_flat_scratch, 0
	.set _ZN7rocprim17ROCPRIM_400000_NS6detail17trampoline_kernelINS0_13select_configILj256ELj13ELNS0_17block_load_methodE3ELS4_3ELS4_3ELNS0_20block_scan_algorithmE0ELj4294967295EEENS1_25partition_config_selectorILNS1_17partition_subalgoE4EjNS0_10empty_typeEbEEZZNS1_14partition_implILS8_4ELb0ES6_15HIP_vector_typeIjLj2EENS0_17counting_iteratorIjlEEPS9_SG_NS0_5tupleIJPjSI_NS0_16reverse_iteratorISI_EEEEENSH_IJSG_SG_SG_EEES9_SI_JZNS1_25segmented_radix_sort_implINS0_14default_configELb0EPKdPdPKlPlN2at6native12_GLOBAL__N_18offset_tEEE10hipError_tPvRmT1_PNSt15iterator_traitsIS12_E10value_typeET2_T3_PNS13_IS18_E10value_typeET4_jRbjT5_S1E_jjP12ihipStream_tbEUljE_ZNSN_ISO_Lb0ESQ_SR_ST_SU_SY_EESZ_S10_S11_S12_S16_S17_S18_S1B_S1C_jS1D_jS1E_S1E_jjS1G_bEUljE0_EEESZ_S10_S11_S18_S1C_S1E_T6_T7_T9_mT8_S1G_bDpT10_ENKUlT_T0_E_clISt17integral_constantIbLb1EES1U_EEDaS1P_S1Q_EUlS1P_E_NS1_11comp_targetILNS1_3genE10ELNS1_11target_archE1200ELNS1_3gpuE4ELNS1_3repE0EEENS1_30default_config_static_selectorELNS0_4arch9wavefront6targetE0EEEvS12_.has_dyn_sized_stack, 0
	.set _ZN7rocprim17ROCPRIM_400000_NS6detail17trampoline_kernelINS0_13select_configILj256ELj13ELNS0_17block_load_methodE3ELS4_3ELS4_3ELNS0_20block_scan_algorithmE0ELj4294967295EEENS1_25partition_config_selectorILNS1_17partition_subalgoE4EjNS0_10empty_typeEbEEZZNS1_14partition_implILS8_4ELb0ES6_15HIP_vector_typeIjLj2EENS0_17counting_iteratorIjlEEPS9_SG_NS0_5tupleIJPjSI_NS0_16reverse_iteratorISI_EEEEENSH_IJSG_SG_SG_EEES9_SI_JZNS1_25segmented_radix_sort_implINS0_14default_configELb0EPKdPdPKlPlN2at6native12_GLOBAL__N_18offset_tEEE10hipError_tPvRmT1_PNSt15iterator_traitsIS12_E10value_typeET2_T3_PNS13_IS18_E10value_typeET4_jRbjT5_S1E_jjP12ihipStream_tbEUljE_ZNSN_ISO_Lb0ESQ_SR_ST_SU_SY_EESZ_S10_S11_S12_S16_S17_S18_S1B_S1C_jS1D_jS1E_S1E_jjS1G_bEUljE0_EEESZ_S10_S11_S18_S1C_S1E_T6_T7_T9_mT8_S1G_bDpT10_ENKUlT_T0_E_clISt17integral_constantIbLb1EES1U_EEDaS1P_S1Q_EUlS1P_E_NS1_11comp_targetILNS1_3genE10ELNS1_11target_archE1200ELNS1_3gpuE4ELNS1_3repE0EEENS1_30default_config_static_selectorELNS0_4arch9wavefront6targetE0EEEvS12_.has_recursion, 0
	.set _ZN7rocprim17ROCPRIM_400000_NS6detail17trampoline_kernelINS0_13select_configILj256ELj13ELNS0_17block_load_methodE3ELS4_3ELS4_3ELNS0_20block_scan_algorithmE0ELj4294967295EEENS1_25partition_config_selectorILNS1_17partition_subalgoE4EjNS0_10empty_typeEbEEZZNS1_14partition_implILS8_4ELb0ES6_15HIP_vector_typeIjLj2EENS0_17counting_iteratorIjlEEPS9_SG_NS0_5tupleIJPjSI_NS0_16reverse_iteratorISI_EEEEENSH_IJSG_SG_SG_EEES9_SI_JZNS1_25segmented_radix_sort_implINS0_14default_configELb0EPKdPdPKlPlN2at6native12_GLOBAL__N_18offset_tEEE10hipError_tPvRmT1_PNSt15iterator_traitsIS12_E10value_typeET2_T3_PNS13_IS18_E10value_typeET4_jRbjT5_S1E_jjP12ihipStream_tbEUljE_ZNSN_ISO_Lb0ESQ_SR_ST_SU_SY_EESZ_S10_S11_S12_S16_S17_S18_S1B_S1C_jS1D_jS1E_S1E_jjS1G_bEUljE0_EEESZ_S10_S11_S18_S1C_S1E_T6_T7_T9_mT8_S1G_bDpT10_ENKUlT_T0_E_clISt17integral_constantIbLb1EES1U_EEDaS1P_S1Q_EUlS1P_E_NS1_11comp_targetILNS1_3genE10ELNS1_11target_archE1200ELNS1_3gpuE4ELNS1_3repE0EEENS1_30default_config_static_selectorELNS0_4arch9wavefront6targetE0EEEvS12_.has_indirect_call, 0
	.section	.AMDGPU.csdata,"",@progbits
; Kernel info:
; codeLenInByte = 0
; TotalNumSgprs: 0
; NumVgprs: 0
; ScratchSize: 0
; MemoryBound: 0
; FloatMode: 240
; IeeeMode: 1
; LDSByteSize: 0 bytes/workgroup (compile time only)
; SGPRBlocks: 0
; VGPRBlocks: 0
; NumSGPRsForWavesPerEU: 1
; NumVGPRsForWavesPerEU: 1
; Occupancy: 16
; WaveLimiterHint : 0
; COMPUTE_PGM_RSRC2:SCRATCH_EN: 0
; COMPUTE_PGM_RSRC2:USER_SGPR: 6
; COMPUTE_PGM_RSRC2:TRAP_HANDLER: 0
; COMPUTE_PGM_RSRC2:TGID_X_EN: 1
; COMPUTE_PGM_RSRC2:TGID_Y_EN: 0
; COMPUTE_PGM_RSRC2:TGID_Z_EN: 0
; COMPUTE_PGM_RSRC2:TIDIG_COMP_CNT: 0
	.section	.text._ZN7rocprim17ROCPRIM_400000_NS6detail17trampoline_kernelINS0_13select_configILj256ELj13ELNS0_17block_load_methodE3ELS4_3ELS4_3ELNS0_20block_scan_algorithmE0ELj4294967295EEENS1_25partition_config_selectorILNS1_17partition_subalgoE4EjNS0_10empty_typeEbEEZZNS1_14partition_implILS8_4ELb0ES6_15HIP_vector_typeIjLj2EENS0_17counting_iteratorIjlEEPS9_SG_NS0_5tupleIJPjSI_NS0_16reverse_iteratorISI_EEEEENSH_IJSG_SG_SG_EEES9_SI_JZNS1_25segmented_radix_sort_implINS0_14default_configELb0EPKdPdPKlPlN2at6native12_GLOBAL__N_18offset_tEEE10hipError_tPvRmT1_PNSt15iterator_traitsIS12_E10value_typeET2_T3_PNS13_IS18_E10value_typeET4_jRbjT5_S1E_jjP12ihipStream_tbEUljE_ZNSN_ISO_Lb0ESQ_SR_ST_SU_SY_EESZ_S10_S11_S12_S16_S17_S18_S1B_S1C_jS1D_jS1E_S1E_jjS1G_bEUljE0_EEESZ_S10_S11_S18_S1C_S1E_T6_T7_T9_mT8_S1G_bDpT10_ENKUlT_T0_E_clISt17integral_constantIbLb1EES1U_EEDaS1P_S1Q_EUlS1P_E_NS1_11comp_targetILNS1_3genE9ELNS1_11target_archE1100ELNS1_3gpuE3ELNS1_3repE0EEENS1_30default_config_static_selectorELNS0_4arch9wavefront6targetE0EEEvS12_,"axG",@progbits,_ZN7rocprim17ROCPRIM_400000_NS6detail17trampoline_kernelINS0_13select_configILj256ELj13ELNS0_17block_load_methodE3ELS4_3ELS4_3ELNS0_20block_scan_algorithmE0ELj4294967295EEENS1_25partition_config_selectorILNS1_17partition_subalgoE4EjNS0_10empty_typeEbEEZZNS1_14partition_implILS8_4ELb0ES6_15HIP_vector_typeIjLj2EENS0_17counting_iteratorIjlEEPS9_SG_NS0_5tupleIJPjSI_NS0_16reverse_iteratorISI_EEEEENSH_IJSG_SG_SG_EEES9_SI_JZNS1_25segmented_radix_sort_implINS0_14default_configELb0EPKdPdPKlPlN2at6native12_GLOBAL__N_18offset_tEEE10hipError_tPvRmT1_PNSt15iterator_traitsIS12_E10value_typeET2_T3_PNS13_IS18_E10value_typeET4_jRbjT5_S1E_jjP12ihipStream_tbEUljE_ZNSN_ISO_Lb0ESQ_SR_ST_SU_SY_EESZ_S10_S11_S12_S16_S17_S18_S1B_S1C_jS1D_jS1E_S1E_jjS1G_bEUljE0_EEESZ_S10_S11_S18_S1C_S1E_T6_T7_T9_mT8_S1G_bDpT10_ENKUlT_T0_E_clISt17integral_constantIbLb1EES1U_EEDaS1P_S1Q_EUlS1P_E_NS1_11comp_targetILNS1_3genE9ELNS1_11target_archE1100ELNS1_3gpuE3ELNS1_3repE0EEENS1_30default_config_static_selectorELNS0_4arch9wavefront6targetE0EEEvS12_,comdat
	.globl	_ZN7rocprim17ROCPRIM_400000_NS6detail17trampoline_kernelINS0_13select_configILj256ELj13ELNS0_17block_load_methodE3ELS4_3ELS4_3ELNS0_20block_scan_algorithmE0ELj4294967295EEENS1_25partition_config_selectorILNS1_17partition_subalgoE4EjNS0_10empty_typeEbEEZZNS1_14partition_implILS8_4ELb0ES6_15HIP_vector_typeIjLj2EENS0_17counting_iteratorIjlEEPS9_SG_NS0_5tupleIJPjSI_NS0_16reverse_iteratorISI_EEEEENSH_IJSG_SG_SG_EEES9_SI_JZNS1_25segmented_radix_sort_implINS0_14default_configELb0EPKdPdPKlPlN2at6native12_GLOBAL__N_18offset_tEEE10hipError_tPvRmT1_PNSt15iterator_traitsIS12_E10value_typeET2_T3_PNS13_IS18_E10value_typeET4_jRbjT5_S1E_jjP12ihipStream_tbEUljE_ZNSN_ISO_Lb0ESQ_SR_ST_SU_SY_EESZ_S10_S11_S12_S16_S17_S18_S1B_S1C_jS1D_jS1E_S1E_jjS1G_bEUljE0_EEESZ_S10_S11_S18_S1C_S1E_T6_T7_T9_mT8_S1G_bDpT10_ENKUlT_T0_E_clISt17integral_constantIbLb1EES1U_EEDaS1P_S1Q_EUlS1P_E_NS1_11comp_targetILNS1_3genE9ELNS1_11target_archE1100ELNS1_3gpuE3ELNS1_3repE0EEENS1_30default_config_static_selectorELNS0_4arch9wavefront6targetE0EEEvS12_ ; -- Begin function _ZN7rocprim17ROCPRIM_400000_NS6detail17trampoline_kernelINS0_13select_configILj256ELj13ELNS0_17block_load_methodE3ELS4_3ELS4_3ELNS0_20block_scan_algorithmE0ELj4294967295EEENS1_25partition_config_selectorILNS1_17partition_subalgoE4EjNS0_10empty_typeEbEEZZNS1_14partition_implILS8_4ELb0ES6_15HIP_vector_typeIjLj2EENS0_17counting_iteratorIjlEEPS9_SG_NS0_5tupleIJPjSI_NS0_16reverse_iteratorISI_EEEEENSH_IJSG_SG_SG_EEES9_SI_JZNS1_25segmented_radix_sort_implINS0_14default_configELb0EPKdPdPKlPlN2at6native12_GLOBAL__N_18offset_tEEE10hipError_tPvRmT1_PNSt15iterator_traitsIS12_E10value_typeET2_T3_PNS13_IS18_E10value_typeET4_jRbjT5_S1E_jjP12ihipStream_tbEUljE_ZNSN_ISO_Lb0ESQ_SR_ST_SU_SY_EESZ_S10_S11_S12_S16_S17_S18_S1B_S1C_jS1D_jS1E_S1E_jjS1G_bEUljE0_EEESZ_S10_S11_S18_S1C_S1E_T6_T7_T9_mT8_S1G_bDpT10_ENKUlT_T0_E_clISt17integral_constantIbLb1EES1U_EEDaS1P_S1Q_EUlS1P_E_NS1_11comp_targetILNS1_3genE9ELNS1_11target_archE1100ELNS1_3gpuE3ELNS1_3repE0EEENS1_30default_config_static_selectorELNS0_4arch9wavefront6targetE0EEEvS12_
	.p2align	8
	.type	_ZN7rocprim17ROCPRIM_400000_NS6detail17trampoline_kernelINS0_13select_configILj256ELj13ELNS0_17block_load_methodE3ELS4_3ELS4_3ELNS0_20block_scan_algorithmE0ELj4294967295EEENS1_25partition_config_selectorILNS1_17partition_subalgoE4EjNS0_10empty_typeEbEEZZNS1_14partition_implILS8_4ELb0ES6_15HIP_vector_typeIjLj2EENS0_17counting_iteratorIjlEEPS9_SG_NS0_5tupleIJPjSI_NS0_16reverse_iteratorISI_EEEEENSH_IJSG_SG_SG_EEES9_SI_JZNS1_25segmented_radix_sort_implINS0_14default_configELb0EPKdPdPKlPlN2at6native12_GLOBAL__N_18offset_tEEE10hipError_tPvRmT1_PNSt15iterator_traitsIS12_E10value_typeET2_T3_PNS13_IS18_E10value_typeET4_jRbjT5_S1E_jjP12ihipStream_tbEUljE_ZNSN_ISO_Lb0ESQ_SR_ST_SU_SY_EESZ_S10_S11_S12_S16_S17_S18_S1B_S1C_jS1D_jS1E_S1E_jjS1G_bEUljE0_EEESZ_S10_S11_S18_S1C_S1E_T6_T7_T9_mT8_S1G_bDpT10_ENKUlT_T0_E_clISt17integral_constantIbLb1EES1U_EEDaS1P_S1Q_EUlS1P_E_NS1_11comp_targetILNS1_3genE9ELNS1_11target_archE1100ELNS1_3gpuE3ELNS1_3repE0EEENS1_30default_config_static_selectorELNS0_4arch9wavefront6targetE0EEEvS12_,@function
_ZN7rocprim17ROCPRIM_400000_NS6detail17trampoline_kernelINS0_13select_configILj256ELj13ELNS0_17block_load_methodE3ELS4_3ELS4_3ELNS0_20block_scan_algorithmE0ELj4294967295EEENS1_25partition_config_selectorILNS1_17partition_subalgoE4EjNS0_10empty_typeEbEEZZNS1_14partition_implILS8_4ELb0ES6_15HIP_vector_typeIjLj2EENS0_17counting_iteratorIjlEEPS9_SG_NS0_5tupleIJPjSI_NS0_16reverse_iteratorISI_EEEEENSH_IJSG_SG_SG_EEES9_SI_JZNS1_25segmented_radix_sort_implINS0_14default_configELb0EPKdPdPKlPlN2at6native12_GLOBAL__N_18offset_tEEE10hipError_tPvRmT1_PNSt15iterator_traitsIS12_E10value_typeET2_T3_PNS13_IS18_E10value_typeET4_jRbjT5_S1E_jjP12ihipStream_tbEUljE_ZNSN_ISO_Lb0ESQ_SR_ST_SU_SY_EESZ_S10_S11_S12_S16_S17_S18_S1B_S1C_jS1D_jS1E_S1E_jjS1G_bEUljE0_EEESZ_S10_S11_S18_S1C_S1E_T6_T7_T9_mT8_S1G_bDpT10_ENKUlT_T0_E_clISt17integral_constantIbLb1EES1U_EEDaS1P_S1Q_EUlS1P_E_NS1_11comp_targetILNS1_3genE9ELNS1_11target_archE1100ELNS1_3gpuE3ELNS1_3repE0EEENS1_30default_config_static_selectorELNS0_4arch9wavefront6targetE0EEEvS12_: ; @_ZN7rocprim17ROCPRIM_400000_NS6detail17trampoline_kernelINS0_13select_configILj256ELj13ELNS0_17block_load_methodE3ELS4_3ELS4_3ELNS0_20block_scan_algorithmE0ELj4294967295EEENS1_25partition_config_selectorILNS1_17partition_subalgoE4EjNS0_10empty_typeEbEEZZNS1_14partition_implILS8_4ELb0ES6_15HIP_vector_typeIjLj2EENS0_17counting_iteratorIjlEEPS9_SG_NS0_5tupleIJPjSI_NS0_16reverse_iteratorISI_EEEEENSH_IJSG_SG_SG_EEES9_SI_JZNS1_25segmented_radix_sort_implINS0_14default_configELb0EPKdPdPKlPlN2at6native12_GLOBAL__N_18offset_tEEE10hipError_tPvRmT1_PNSt15iterator_traitsIS12_E10value_typeET2_T3_PNS13_IS18_E10value_typeET4_jRbjT5_S1E_jjP12ihipStream_tbEUljE_ZNSN_ISO_Lb0ESQ_SR_ST_SU_SY_EESZ_S10_S11_S12_S16_S17_S18_S1B_S1C_jS1D_jS1E_S1E_jjS1G_bEUljE0_EEESZ_S10_S11_S18_S1C_S1E_T6_T7_T9_mT8_S1G_bDpT10_ENKUlT_T0_E_clISt17integral_constantIbLb1EES1U_EEDaS1P_S1Q_EUlS1P_E_NS1_11comp_targetILNS1_3genE9ELNS1_11target_archE1100ELNS1_3gpuE3ELNS1_3repE0EEENS1_30default_config_static_selectorELNS0_4arch9wavefront6targetE0EEEvS12_
; %bb.0:
	.section	.rodata,"a",@progbits
	.p2align	6, 0x0
	.amdhsa_kernel _ZN7rocprim17ROCPRIM_400000_NS6detail17trampoline_kernelINS0_13select_configILj256ELj13ELNS0_17block_load_methodE3ELS4_3ELS4_3ELNS0_20block_scan_algorithmE0ELj4294967295EEENS1_25partition_config_selectorILNS1_17partition_subalgoE4EjNS0_10empty_typeEbEEZZNS1_14partition_implILS8_4ELb0ES6_15HIP_vector_typeIjLj2EENS0_17counting_iteratorIjlEEPS9_SG_NS0_5tupleIJPjSI_NS0_16reverse_iteratorISI_EEEEENSH_IJSG_SG_SG_EEES9_SI_JZNS1_25segmented_radix_sort_implINS0_14default_configELb0EPKdPdPKlPlN2at6native12_GLOBAL__N_18offset_tEEE10hipError_tPvRmT1_PNSt15iterator_traitsIS12_E10value_typeET2_T3_PNS13_IS18_E10value_typeET4_jRbjT5_S1E_jjP12ihipStream_tbEUljE_ZNSN_ISO_Lb0ESQ_SR_ST_SU_SY_EESZ_S10_S11_S12_S16_S17_S18_S1B_S1C_jS1D_jS1E_S1E_jjS1G_bEUljE0_EEESZ_S10_S11_S18_S1C_S1E_T6_T7_T9_mT8_S1G_bDpT10_ENKUlT_T0_E_clISt17integral_constantIbLb1EES1U_EEDaS1P_S1Q_EUlS1P_E_NS1_11comp_targetILNS1_3genE9ELNS1_11target_archE1100ELNS1_3gpuE3ELNS1_3repE0EEENS1_30default_config_static_selectorELNS0_4arch9wavefront6targetE0EEEvS12_
		.amdhsa_group_segment_fixed_size 0
		.amdhsa_private_segment_fixed_size 0
		.amdhsa_kernarg_size 184
		.amdhsa_user_sgpr_count 6
		.amdhsa_user_sgpr_private_segment_buffer 1
		.amdhsa_user_sgpr_dispatch_ptr 0
		.amdhsa_user_sgpr_queue_ptr 0
		.amdhsa_user_sgpr_kernarg_segment_ptr 1
		.amdhsa_user_sgpr_dispatch_id 0
		.amdhsa_user_sgpr_flat_scratch_init 0
		.amdhsa_user_sgpr_private_segment_size 0
		.amdhsa_wavefront_size32 1
		.amdhsa_uses_dynamic_stack 0
		.amdhsa_system_sgpr_private_segment_wavefront_offset 0
		.amdhsa_system_sgpr_workgroup_id_x 1
		.amdhsa_system_sgpr_workgroup_id_y 0
		.amdhsa_system_sgpr_workgroup_id_z 0
		.amdhsa_system_sgpr_workgroup_info 0
		.amdhsa_system_vgpr_workitem_id 0
		.amdhsa_next_free_vgpr 1
		.amdhsa_next_free_sgpr 1
		.amdhsa_reserve_vcc 0
		.amdhsa_reserve_flat_scratch 0
		.amdhsa_float_round_mode_32 0
		.amdhsa_float_round_mode_16_64 0
		.amdhsa_float_denorm_mode_32 3
		.amdhsa_float_denorm_mode_16_64 3
		.amdhsa_dx10_clamp 1
		.amdhsa_ieee_mode 1
		.amdhsa_fp16_overflow 0
		.amdhsa_workgroup_processor_mode 1
		.amdhsa_memory_ordered 1
		.amdhsa_forward_progress 1
		.amdhsa_shared_vgpr_count 0
		.amdhsa_exception_fp_ieee_invalid_op 0
		.amdhsa_exception_fp_denorm_src 0
		.amdhsa_exception_fp_ieee_div_zero 0
		.amdhsa_exception_fp_ieee_overflow 0
		.amdhsa_exception_fp_ieee_underflow 0
		.amdhsa_exception_fp_ieee_inexact 0
		.amdhsa_exception_int_div_zero 0
	.end_amdhsa_kernel
	.section	.text._ZN7rocprim17ROCPRIM_400000_NS6detail17trampoline_kernelINS0_13select_configILj256ELj13ELNS0_17block_load_methodE3ELS4_3ELS4_3ELNS0_20block_scan_algorithmE0ELj4294967295EEENS1_25partition_config_selectorILNS1_17partition_subalgoE4EjNS0_10empty_typeEbEEZZNS1_14partition_implILS8_4ELb0ES6_15HIP_vector_typeIjLj2EENS0_17counting_iteratorIjlEEPS9_SG_NS0_5tupleIJPjSI_NS0_16reverse_iteratorISI_EEEEENSH_IJSG_SG_SG_EEES9_SI_JZNS1_25segmented_radix_sort_implINS0_14default_configELb0EPKdPdPKlPlN2at6native12_GLOBAL__N_18offset_tEEE10hipError_tPvRmT1_PNSt15iterator_traitsIS12_E10value_typeET2_T3_PNS13_IS18_E10value_typeET4_jRbjT5_S1E_jjP12ihipStream_tbEUljE_ZNSN_ISO_Lb0ESQ_SR_ST_SU_SY_EESZ_S10_S11_S12_S16_S17_S18_S1B_S1C_jS1D_jS1E_S1E_jjS1G_bEUljE0_EEESZ_S10_S11_S18_S1C_S1E_T6_T7_T9_mT8_S1G_bDpT10_ENKUlT_T0_E_clISt17integral_constantIbLb1EES1U_EEDaS1P_S1Q_EUlS1P_E_NS1_11comp_targetILNS1_3genE9ELNS1_11target_archE1100ELNS1_3gpuE3ELNS1_3repE0EEENS1_30default_config_static_selectorELNS0_4arch9wavefront6targetE0EEEvS12_,"axG",@progbits,_ZN7rocprim17ROCPRIM_400000_NS6detail17trampoline_kernelINS0_13select_configILj256ELj13ELNS0_17block_load_methodE3ELS4_3ELS4_3ELNS0_20block_scan_algorithmE0ELj4294967295EEENS1_25partition_config_selectorILNS1_17partition_subalgoE4EjNS0_10empty_typeEbEEZZNS1_14partition_implILS8_4ELb0ES6_15HIP_vector_typeIjLj2EENS0_17counting_iteratorIjlEEPS9_SG_NS0_5tupleIJPjSI_NS0_16reverse_iteratorISI_EEEEENSH_IJSG_SG_SG_EEES9_SI_JZNS1_25segmented_radix_sort_implINS0_14default_configELb0EPKdPdPKlPlN2at6native12_GLOBAL__N_18offset_tEEE10hipError_tPvRmT1_PNSt15iterator_traitsIS12_E10value_typeET2_T3_PNS13_IS18_E10value_typeET4_jRbjT5_S1E_jjP12ihipStream_tbEUljE_ZNSN_ISO_Lb0ESQ_SR_ST_SU_SY_EESZ_S10_S11_S12_S16_S17_S18_S1B_S1C_jS1D_jS1E_S1E_jjS1G_bEUljE0_EEESZ_S10_S11_S18_S1C_S1E_T6_T7_T9_mT8_S1G_bDpT10_ENKUlT_T0_E_clISt17integral_constantIbLb1EES1U_EEDaS1P_S1Q_EUlS1P_E_NS1_11comp_targetILNS1_3genE9ELNS1_11target_archE1100ELNS1_3gpuE3ELNS1_3repE0EEENS1_30default_config_static_selectorELNS0_4arch9wavefront6targetE0EEEvS12_,comdat
.Lfunc_end1163:
	.size	_ZN7rocprim17ROCPRIM_400000_NS6detail17trampoline_kernelINS0_13select_configILj256ELj13ELNS0_17block_load_methodE3ELS4_3ELS4_3ELNS0_20block_scan_algorithmE0ELj4294967295EEENS1_25partition_config_selectorILNS1_17partition_subalgoE4EjNS0_10empty_typeEbEEZZNS1_14partition_implILS8_4ELb0ES6_15HIP_vector_typeIjLj2EENS0_17counting_iteratorIjlEEPS9_SG_NS0_5tupleIJPjSI_NS0_16reverse_iteratorISI_EEEEENSH_IJSG_SG_SG_EEES9_SI_JZNS1_25segmented_radix_sort_implINS0_14default_configELb0EPKdPdPKlPlN2at6native12_GLOBAL__N_18offset_tEEE10hipError_tPvRmT1_PNSt15iterator_traitsIS12_E10value_typeET2_T3_PNS13_IS18_E10value_typeET4_jRbjT5_S1E_jjP12ihipStream_tbEUljE_ZNSN_ISO_Lb0ESQ_SR_ST_SU_SY_EESZ_S10_S11_S12_S16_S17_S18_S1B_S1C_jS1D_jS1E_S1E_jjS1G_bEUljE0_EEESZ_S10_S11_S18_S1C_S1E_T6_T7_T9_mT8_S1G_bDpT10_ENKUlT_T0_E_clISt17integral_constantIbLb1EES1U_EEDaS1P_S1Q_EUlS1P_E_NS1_11comp_targetILNS1_3genE9ELNS1_11target_archE1100ELNS1_3gpuE3ELNS1_3repE0EEENS1_30default_config_static_selectorELNS0_4arch9wavefront6targetE0EEEvS12_, .Lfunc_end1163-_ZN7rocprim17ROCPRIM_400000_NS6detail17trampoline_kernelINS0_13select_configILj256ELj13ELNS0_17block_load_methodE3ELS4_3ELS4_3ELNS0_20block_scan_algorithmE0ELj4294967295EEENS1_25partition_config_selectorILNS1_17partition_subalgoE4EjNS0_10empty_typeEbEEZZNS1_14partition_implILS8_4ELb0ES6_15HIP_vector_typeIjLj2EENS0_17counting_iteratorIjlEEPS9_SG_NS0_5tupleIJPjSI_NS0_16reverse_iteratorISI_EEEEENSH_IJSG_SG_SG_EEES9_SI_JZNS1_25segmented_radix_sort_implINS0_14default_configELb0EPKdPdPKlPlN2at6native12_GLOBAL__N_18offset_tEEE10hipError_tPvRmT1_PNSt15iterator_traitsIS12_E10value_typeET2_T3_PNS13_IS18_E10value_typeET4_jRbjT5_S1E_jjP12ihipStream_tbEUljE_ZNSN_ISO_Lb0ESQ_SR_ST_SU_SY_EESZ_S10_S11_S12_S16_S17_S18_S1B_S1C_jS1D_jS1E_S1E_jjS1G_bEUljE0_EEESZ_S10_S11_S18_S1C_S1E_T6_T7_T9_mT8_S1G_bDpT10_ENKUlT_T0_E_clISt17integral_constantIbLb1EES1U_EEDaS1P_S1Q_EUlS1P_E_NS1_11comp_targetILNS1_3genE9ELNS1_11target_archE1100ELNS1_3gpuE3ELNS1_3repE0EEENS1_30default_config_static_selectorELNS0_4arch9wavefront6targetE0EEEvS12_
                                        ; -- End function
	.set _ZN7rocprim17ROCPRIM_400000_NS6detail17trampoline_kernelINS0_13select_configILj256ELj13ELNS0_17block_load_methodE3ELS4_3ELS4_3ELNS0_20block_scan_algorithmE0ELj4294967295EEENS1_25partition_config_selectorILNS1_17partition_subalgoE4EjNS0_10empty_typeEbEEZZNS1_14partition_implILS8_4ELb0ES6_15HIP_vector_typeIjLj2EENS0_17counting_iteratorIjlEEPS9_SG_NS0_5tupleIJPjSI_NS0_16reverse_iteratorISI_EEEEENSH_IJSG_SG_SG_EEES9_SI_JZNS1_25segmented_radix_sort_implINS0_14default_configELb0EPKdPdPKlPlN2at6native12_GLOBAL__N_18offset_tEEE10hipError_tPvRmT1_PNSt15iterator_traitsIS12_E10value_typeET2_T3_PNS13_IS18_E10value_typeET4_jRbjT5_S1E_jjP12ihipStream_tbEUljE_ZNSN_ISO_Lb0ESQ_SR_ST_SU_SY_EESZ_S10_S11_S12_S16_S17_S18_S1B_S1C_jS1D_jS1E_S1E_jjS1G_bEUljE0_EEESZ_S10_S11_S18_S1C_S1E_T6_T7_T9_mT8_S1G_bDpT10_ENKUlT_T0_E_clISt17integral_constantIbLb1EES1U_EEDaS1P_S1Q_EUlS1P_E_NS1_11comp_targetILNS1_3genE9ELNS1_11target_archE1100ELNS1_3gpuE3ELNS1_3repE0EEENS1_30default_config_static_selectorELNS0_4arch9wavefront6targetE0EEEvS12_.num_vgpr, 0
	.set _ZN7rocprim17ROCPRIM_400000_NS6detail17trampoline_kernelINS0_13select_configILj256ELj13ELNS0_17block_load_methodE3ELS4_3ELS4_3ELNS0_20block_scan_algorithmE0ELj4294967295EEENS1_25partition_config_selectorILNS1_17partition_subalgoE4EjNS0_10empty_typeEbEEZZNS1_14partition_implILS8_4ELb0ES6_15HIP_vector_typeIjLj2EENS0_17counting_iteratorIjlEEPS9_SG_NS0_5tupleIJPjSI_NS0_16reverse_iteratorISI_EEEEENSH_IJSG_SG_SG_EEES9_SI_JZNS1_25segmented_radix_sort_implINS0_14default_configELb0EPKdPdPKlPlN2at6native12_GLOBAL__N_18offset_tEEE10hipError_tPvRmT1_PNSt15iterator_traitsIS12_E10value_typeET2_T3_PNS13_IS18_E10value_typeET4_jRbjT5_S1E_jjP12ihipStream_tbEUljE_ZNSN_ISO_Lb0ESQ_SR_ST_SU_SY_EESZ_S10_S11_S12_S16_S17_S18_S1B_S1C_jS1D_jS1E_S1E_jjS1G_bEUljE0_EEESZ_S10_S11_S18_S1C_S1E_T6_T7_T9_mT8_S1G_bDpT10_ENKUlT_T0_E_clISt17integral_constantIbLb1EES1U_EEDaS1P_S1Q_EUlS1P_E_NS1_11comp_targetILNS1_3genE9ELNS1_11target_archE1100ELNS1_3gpuE3ELNS1_3repE0EEENS1_30default_config_static_selectorELNS0_4arch9wavefront6targetE0EEEvS12_.num_agpr, 0
	.set _ZN7rocprim17ROCPRIM_400000_NS6detail17trampoline_kernelINS0_13select_configILj256ELj13ELNS0_17block_load_methodE3ELS4_3ELS4_3ELNS0_20block_scan_algorithmE0ELj4294967295EEENS1_25partition_config_selectorILNS1_17partition_subalgoE4EjNS0_10empty_typeEbEEZZNS1_14partition_implILS8_4ELb0ES6_15HIP_vector_typeIjLj2EENS0_17counting_iteratorIjlEEPS9_SG_NS0_5tupleIJPjSI_NS0_16reverse_iteratorISI_EEEEENSH_IJSG_SG_SG_EEES9_SI_JZNS1_25segmented_radix_sort_implINS0_14default_configELb0EPKdPdPKlPlN2at6native12_GLOBAL__N_18offset_tEEE10hipError_tPvRmT1_PNSt15iterator_traitsIS12_E10value_typeET2_T3_PNS13_IS18_E10value_typeET4_jRbjT5_S1E_jjP12ihipStream_tbEUljE_ZNSN_ISO_Lb0ESQ_SR_ST_SU_SY_EESZ_S10_S11_S12_S16_S17_S18_S1B_S1C_jS1D_jS1E_S1E_jjS1G_bEUljE0_EEESZ_S10_S11_S18_S1C_S1E_T6_T7_T9_mT8_S1G_bDpT10_ENKUlT_T0_E_clISt17integral_constantIbLb1EES1U_EEDaS1P_S1Q_EUlS1P_E_NS1_11comp_targetILNS1_3genE9ELNS1_11target_archE1100ELNS1_3gpuE3ELNS1_3repE0EEENS1_30default_config_static_selectorELNS0_4arch9wavefront6targetE0EEEvS12_.numbered_sgpr, 0
	.set _ZN7rocprim17ROCPRIM_400000_NS6detail17trampoline_kernelINS0_13select_configILj256ELj13ELNS0_17block_load_methodE3ELS4_3ELS4_3ELNS0_20block_scan_algorithmE0ELj4294967295EEENS1_25partition_config_selectorILNS1_17partition_subalgoE4EjNS0_10empty_typeEbEEZZNS1_14partition_implILS8_4ELb0ES6_15HIP_vector_typeIjLj2EENS0_17counting_iteratorIjlEEPS9_SG_NS0_5tupleIJPjSI_NS0_16reverse_iteratorISI_EEEEENSH_IJSG_SG_SG_EEES9_SI_JZNS1_25segmented_radix_sort_implINS0_14default_configELb0EPKdPdPKlPlN2at6native12_GLOBAL__N_18offset_tEEE10hipError_tPvRmT1_PNSt15iterator_traitsIS12_E10value_typeET2_T3_PNS13_IS18_E10value_typeET4_jRbjT5_S1E_jjP12ihipStream_tbEUljE_ZNSN_ISO_Lb0ESQ_SR_ST_SU_SY_EESZ_S10_S11_S12_S16_S17_S18_S1B_S1C_jS1D_jS1E_S1E_jjS1G_bEUljE0_EEESZ_S10_S11_S18_S1C_S1E_T6_T7_T9_mT8_S1G_bDpT10_ENKUlT_T0_E_clISt17integral_constantIbLb1EES1U_EEDaS1P_S1Q_EUlS1P_E_NS1_11comp_targetILNS1_3genE9ELNS1_11target_archE1100ELNS1_3gpuE3ELNS1_3repE0EEENS1_30default_config_static_selectorELNS0_4arch9wavefront6targetE0EEEvS12_.num_named_barrier, 0
	.set _ZN7rocprim17ROCPRIM_400000_NS6detail17trampoline_kernelINS0_13select_configILj256ELj13ELNS0_17block_load_methodE3ELS4_3ELS4_3ELNS0_20block_scan_algorithmE0ELj4294967295EEENS1_25partition_config_selectorILNS1_17partition_subalgoE4EjNS0_10empty_typeEbEEZZNS1_14partition_implILS8_4ELb0ES6_15HIP_vector_typeIjLj2EENS0_17counting_iteratorIjlEEPS9_SG_NS0_5tupleIJPjSI_NS0_16reverse_iteratorISI_EEEEENSH_IJSG_SG_SG_EEES9_SI_JZNS1_25segmented_radix_sort_implINS0_14default_configELb0EPKdPdPKlPlN2at6native12_GLOBAL__N_18offset_tEEE10hipError_tPvRmT1_PNSt15iterator_traitsIS12_E10value_typeET2_T3_PNS13_IS18_E10value_typeET4_jRbjT5_S1E_jjP12ihipStream_tbEUljE_ZNSN_ISO_Lb0ESQ_SR_ST_SU_SY_EESZ_S10_S11_S12_S16_S17_S18_S1B_S1C_jS1D_jS1E_S1E_jjS1G_bEUljE0_EEESZ_S10_S11_S18_S1C_S1E_T6_T7_T9_mT8_S1G_bDpT10_ENKUlT_T0_E_clISt17integral_constantIbLb1EES1U_EEDaS1P_S1Q_EUlS1P_E_NS1_11comp_targetILNS1_3genE9ELNS1_11target_archE1100ELNS1_3gpuE3ELNS1_3repE0EEENS1_30default_config_static_selectorELNS0_4arch9wavefront6targetE0EEEvS12_.private_seg_size, 0
	.set _ZN7rocprim17ROCPRIM_400000_NS6detail17trampoline_kernelINS0_13select_configILj256ELj13ELNS0_17block_load_methodE3ELS4_3ELS4_3ELNS0_20block_scan_algorithmE0ELj4294967295EEENS1_25partition_config_selectorILNS1_17partition_subalgoE4EjNS0_10empty_typeEbEEZZNS1_14partition_implILS8_4ELb0ES6_15HIP_vector_typeIjLj2EENS0_17counting_iteratorIjlEEPS9_SG_NS0_5tupleIJPjSI_NS0_16reverse_iteratorISI_EEEEENSH_IJSG_SG_SG_EEES9_SI_JZNS1_25segmented_radix_sort_implINS0_14default_configELb0EPKdPdPKlPlN2at6native12_GLOBAL__N_18offset_tEEE10hipError_tPvRmT1_PNSt15iterator_traitsIS12_E10value_typeET2_T3_PNS13_IS18_E10value_typeET4_jRbjT5_S1E_jjP12ihipStream_tbEUljE_ZNSN_ISO_Lb0ESQ_SR_ST_SU_SY_EESZ_S10_S11_S12_S16_S17_S18_S1B_S1C_jS1D_jS1E_S1E_jjS1G_bEUljE0_EEESZ_S10_S11_S18_S1C_S1E_T6_T7_T9_mT8_S1G_bDpT10_ENKUlT_T0_E_clISt17integral_constantIbLb1EES1U_EEDaS1P_S1Q_EUlS1P_E_NS1_11comp_targetILNS1_3genE9ELNS1_11target_archE1100ELNS1_3gpuE3ELNS1_3repE0EEENS1_30default_config_static_selectorELNS0_4arch9wavefront6targetE0EEEvS12_.uses_vcc, 0
	.set _ZN7rocprim17ROCPRIM_400000_NS6detail17trampoline_kernelINS0_13select_configILj256ELj13ELNS0_17block_load_methodE3ELS4_3ELS4_3ELNS0_20block_scan_algorithmE0ELj4294967295EEENS1_25partition_config_selectorILNS1_17partition_subalgoE4EjNS0_10empty_typeEbEEZZNS1_14partition_implILS8_4ELb0ES6_15HIP_vector_typeIjLj2EENS0_17counting_iteratorIjlEEPS9_SG_NS0_5tupleIJPjSI_NS0_16reverse_iteratorISI_EEEEENSH_IJSG_SG_SG_EEES9_SI_JZNS1_25segmented_radix_sort_implINS0_14default_configELb0EPKdPdPKlPlN2at6native12_GLOBAL__N_18offset_tEEE10hipError_tPvRmT1_PNSt15iterator_traitsIS12_E10value_typeET2_T3_PNS13_IS18_E10value_typeET4_jRbjT5_S1E_jjP12ihipStream_tbEUljE_ZNSN_ISO_Lb0ESQ_SR_ST_SU_SY_EESZ_S10_S11_S12_S16_S17_S18_S1B_S1C_jS1D_jS1E_S1E_jjS1G_bEUljE0_EEESZ_S10_S11_S18_S1C_S1E_T6_T7_T9_mT8_S1G_bDpT10_ENKUlT_T0_E_clISt17integral_constantIbLb1EES1U_EEDaS1P_S1Q_EUlS1P_E_NS1_11comp_targetILNS1_3genE9ELNS1_11target_archE1100ELNS1_3gpuE3ELNS1_3repE0EEENS1_30default_config_static_selectorELNS0_4arch9wavefront6targetE0EEEvS12_.uses_flat_scratch, 0
	.set _ZN7rocprim17ROCPRIM_400000_NS6detail17trampoline_kernelINS0_13select_configILj256ELj13ELNS0_17block_load_methodE3ELS4_3ELS4_3ELNS0_20block_scan_algorithmE0ELj4294967295EEENS1_25partition_config_selectorILNS1_17partition_subalgoE4EjNS0_10empty_typeEbEEZZNS1_14partition_implILS8_4ELb0ES6_15HIP_vector_typeIjLj2EENS0_17counting_iteratorIjlEEPS9_SG_NS0_5tupleIJPjSI_NS0_16reverse_iteratorISI_EEEEENSH_IJSG_SG_SG_EEES9_SI_JZNS1_25segmented_radix_sort_implINS0_14default_configELb0EPKdPdPKlPlN2at6native12_GLOBAL__N_18offset_tEEE10hipError_tPvRmT1_PNSt15iterator_traitsIS12_E10value_typeET2_T3_PNS13_IS18_E10value_typeET4_jRbjT5_S1E_jjP12ihipStream_tbEUljE_ZNSN_ISO_Lb0ESQ_SR_ST_SU_SY_EESZ_S10_S11_S12_S16_S17_S18_S1B_S1C_jS1D_jS1E_S1E_jjS1G_bEUljE0_EEESZ_S10_S11_S18_S1C_S1E_T6_T7_T9_mT8_S1G_bDpT10_ENKUlT_T0_E_clISt17integral_constantIbLb1EES1U_EEDaS1P_S1Q_EUlS1P_E_NS1_11comp_targetILNS1_3genE9ELNS1_11target_archE1100ELNS1_3gpuE3ELNS1_3repE0EEENS1_30default_config_static_selectorELNS0_4arch9wavefront6targetE0EEEvS12_.has_dyn_sized_stack, 0
	.set _ZN7rocprim17ROCPRIM_400000_NS6detail17trampoline_kernelINS0_13select_configILj256ELj13ELNS0_17block_load_methodE3ELS4_3ELS4_3ELNS0_20block_scan_algorithmE0ELj4294967295EEENS1_25partition_config_selectorILNS1_17partition_subalgoE4EjNS0_10empty_typeEbEEZZNS1_14partition_implILS8_4ELb0ES6_15HIP_vector_typeIjLj2EENS0_17counting_iteratorIjlEEPS9_SG_NS0_5tupleIJPjSI_NS0_16reverse_iteratorISI_EEEEENSH_IJSG_SG_SG_EEES9_SI_JZNS1_25segmented_radix_sort_implINS0_14default_configELb0EPKdPdPKlPlN2at6native12_GLOBAL__N_18offset_tEEE10hipError_tPvRmT1_PNSt15iterator_traitsIS12_E10value_typeET2_T3_PNS13_IS18_E10value_typeET4_jRbjT5_S1E_jjP12ihipStream_tbEUljE_ZNSN_ISO_Lb0ESQ_SR_ST_SU_SY_EESZ_S10_S11_S12_S16_S17_S18_S1B_S1C_jS1D_jS1E_S1E_jjS1G_bEUljE0_EEESZ_S10_S11_S18_S1C_S1E_T6_T7_T9_mT8_S1G_bDpT10_ENKUlT_T0_E_clISt17integral_constantIbLb1EES1U_EEDaS1P_S1Q_EUlS1P_E_NS1_11comp_targetILNS1_3genE9ELNS1_11target_archE1100ELNS1_3gpuE3ELNS1_3repE0EEENS1_30default_config_static_selectorELNS0_4arch9wavefront6targetE0EEEvS12_.has_recursion, 0
	.set _ZN7rocprim17ROCPRIM_400000_NS6detail17trampoline_kernelINS0_13select_configILj256ELj13ELNS0_17block_load_methodE3ELS4_3ELS4_3ELNS0_20block_scan_algorithmE0ELj4294967295EEENS1_25partition_config_selectorILNS1_17partition_subalgoE4EjNS0_10empty_typeEbEEZZNS1_14partition_implILS8_4ELb0ES6_15HIP_vector_typeIjLj2EENS0_17counting_iteratorIjlEEPS9_SG_NS0_5tupleIJPjSI_NS0_16reverse_iteratorISI_EEEEENSH_IJSG_SG_SG_EEES9_SI_JZNS1_25segmented_radix_sort_implINS0_14default_configELb0EPKdPdPKlPlN2at6native12_GLOBAL__N_18offset_tEEE10hipError_tPvRmT1_PNSt15iterator_traitsIS12_E10value_typeET2_T3_PNS13_IS18_E10value_typeET4_jRbjT5_S1E_jjP12ihipStream_tbEUljE_ZNSN_ISO_Lb0ESQ_SR_ST_SU_SY_EESZ_S10_S11_S12_S16_S17_S18_S1B_S1C_jS1D_jS1E_S1E_jjS1G_bEUljE0_EEESZ_S10_S11_S18_S1C_S1E_T6_T7_T9_mT8_S1G_bDpT10_ENKUlT_T0_E_clISt17integral_constantIbLb1EES1U_EEDaS1P_S1Q_EUlS1P_E_NS1_11comp_targetILNS1_3genE9ELNS1_11target_archE1100ELNS1_3gpuE3ELNS1_3repE0EEENS1_30default_config_static_selectorELNS0_4arch9wavefront6targetE0EEEvS12_.has_indirect_call, 0
	.section	.AMDGPU.csdata,"",@progbits
; Kernel info:
; codeLenInByte = 0
; TotalNumSgprs: 0
; NumVgprs: 0
; ScratchSize: 0
; MemoryBound: 0
; FloatMode: 240
; IeeeMode: 1
; LDSByteSize: 0 bytes/workgroup (compile time only)
; SGPRBlocks: 0
; VGPRBlocks: 0
; NumSGPRsForWavesPerEU: 1
; NumVGPRsForWavesPerEU: 1
; Occupancy: 16
; WaveLimiterHint : 0
; COMPUTE_PGM_RSRC2:SCRATCH_EN: 0
; COMPUTE_PGM_RSRC2:USER_SGPR: 6
; COMPUTE_PGM_RSRC2:TRAP_HANDLER: 0
; COMPUTE_PGM_RSRC2:TGID_X_EN: 1
; COMPUTE_PGM_RSRC2:TGID_Y_EN: 0
; COMPUTE_PGM_RSRC2:TGID_Z_EN: 0
; COMPUTE_PGM_RSRC2:TIDIG_COMP_CNT: 0
	.section	.text._ZN7rocprim17ROCPRIM_400000_NS6detail17trampoline_kernelINS0_13select_configILj256ELj13ELNS0_17block_load_methodE3ELS4_3ELS4_3ELNS0_20block_scan_algorithmE0ELj4294967295EEENS1_25partition_config_selectorILNS1_17partition_subalgoE4EjNS0_10empty_typeEbEEZZNS1_14partition_implILS8_4ELb0ES6_15HIP_vector_typeIjLj2EENS0_17counting_iteratorIjlEEPS9_SG_NS0_5tupleIJPjSI_NS0_16reverse_iteratorISI_EEEEENSH_IJSG_SG_SG_EEES9_SI_JZNS1_25segmented_radix_sort_implINS0_14default_configELb0EPKdPdPKlPlN2at6native12_GLOBAL__N_18offset_tEEE10hipError_tPvRmT1_PNSt15iterator_traitsIS12_E10value_typeET2_T3_PNS13_IS18_E10value_typeET4_jRbjT5_S1E_jjP12ihipStream_tbEUljE_ZNSN_ISO_Lb0ESQ_SR_ST_SU_SY_EESZ_S10_S11_S12_S16_S17_S18_S1B_S1C_jS1D_jS1E_S1E_jjS1G_bEUljE0_EEESZ_S10_S11_S18_S1C_S1E_T6_T7_T9_mT8_S1G_bDpT10_ENKUlT_T0_E_clISt17integral_constantIbLb1EES1U_EEDaS1P_S1Q_EUlS1P_E_NS1_11comp_targetILNS1_3genE8ELNS1_11target_archE1030ELNS1_3gpuE2ELNS1_3repE0EEENS1_30default_config_static_selectorELNS0_4arch9wavefront6targetE0EEEvS12_,"axG",@progbits,_ZN7rocprim17ROCPRIM_400000_NS6detail17trampoline_kernelINS0_13select_configILj256ELj13ELNS0_17block_load_methodE3ELS4_3ELS4_3ELNS0_20block_scan_algorithmE0ELj4294967295EEENS1_25partition_config_selectorILNS1_17partition_subalgoE4EjNS0_10empty_typeEbEEZZNS1_14partition_implILS8_4ELb0ES6_15HIP_vector_typeIjLj2EENS0_17counting_iteratorIjlEEPS9_SG_NS0_5tupleIJPjSI_NS0_16reverse_iteratorISI_EEEEENSH_IJSG_SG_SG_EEES9_SI_JZNS1_25segmented_radix_sort_implINS0_14default_configELb0EPKdPdPKlPlN2at6native12_GLOBAL__N_18offset_tEEE10hipError_tPvRmT1_PNSt15iterator_traitsIS12_E10value_typeET2_T3_PNS13_IS18_E10value_typeET4_jRbjT5_S1E_jjP12ihipStream_tbEUljE_ZNSN_ISO_Lb0ESQ_SR_ST_SU_SY_EESZ_S10_S11_S12_S16_S17_S18_S1B_S1C_jS1D_jS1E_S1E_jjS1G_bEUljE0_EEESZ_S10_S11_S18_S1C_S1E_T6_T7_T9_mT8_S1G_bDpT10_ENKUlT_T0_E_clISt17integral_constantIbLb1EES1U_EEDaS1P_S1Q_EUlS1P_E_NS1_11comp_targetILNS1_3genE8ELNS1_11target_archE1030ELNS1_3gpuE2ELNS1_3repE0EEENS1_30default_config_static_selectorELNS0_4arch9wavefront6targetE0EEEvS12_,comdat
	.globl	_ZN7rocprim17ROCPRIM_400000_NS6detail17trampoline_kernelINS0_13select_configILj256ELj13ELNS0_17block_load_methodE3ELS4_3ELS4_3ELNS0_20block_scan_algorithmE0ELj4294967295EEENS1_25partition_config_selectorILNS1_17partition_subalgoE4EjNS0_10empty_typeEbEEZZNS1_14partition_implILS8_4ELb0ES6_15HIP_vector_typeIjLj2EENS0_17counting_iteratorIjlEEPS9_SG_NS0_5tupleIJPjSI_NS0_16reverse_iteratorISI_EEEEENSH_IJSG_SG_SG_EEES9_SI_JZNS1_25segmented_radix_sort_implINS0_14default_configELb0EPKdPdPKlPlN2at6native12_GLOBAL__N_18offset_tEEE10hipError_tPvRmT1_PNSt15iterator_traitsIS12_E10value_typeET2_T3_PNS13_IS18_E10value_typeET4_jRbjT5_S1E_jjP12ihipStream_tbEUljE_ZNSN_ISO_Lb0ESQ_SR_ST_SU_SY_EESZ_S10_S11_S12_S16_S17_S18_S1B_S1C_jS1D_jS1E_S1E_jjS1G_bEUljE0_EEESZ_S10_S11_S18_S1C_S1E_T6_T7_T9_mT8_S1G_bDpT10_ENKUlT_T0_E_clISt17integral_constantIbLb1EES1U_EEDaS1P_S1Q_EUlS1P_E_NS1_11comp_targetILNS1_3genE8ELNS1_11target_archE1030ELNS1_3gpuE2ELNS1_3repE0EEENS1_30default_config_static_selectorELNS0_4arch9wavefront6targetE0EEEvS12_ ; -- Begin function _ZN7rocprim17ROCPRIM_400000_NS6detail17trampoline_kernelINS0_13select_configILj256ELj13ELNS0_17block_load_methodE3ELS4_3ELS4_3ELNS0_20block_scan_algorithmE0ELj4294967295EEENS1_25partition_config_selectorILNS1_17partition_subalgoE4EjNS0_10empty_typeEbEEZZNS1_14partition_implILS8_4ELb0ES6_15HIP_vector_typeIjLj2EENS0_17counting_iteratorIjlEEPS9_SG_NS0_5tupleIJPjSI_NS0_16reverse_iteratorISI_EEEEENSH_IJSG_SG_SG_EEES9_SI_JZNS1_25segmented_radix_sort_implINS0_14default_configELb0EPKdPdPKlPlN2at6native12_GLOBAL__N_18offset_tEEE10hipError_tPvRmT1_PNSt15iterator_traitsIS12_E10value_typeET2_T3_PNS13_IS18_E10value_typeET4_jRbjT5_S1E_jjP12ihipStream_tbEUljE_ZNSN_ISO_Lb0ESQ_SR_ST_SU_SY_EESZ_S10_S11_S12_S16_S17_S18_S1B_S1C_jS1D_jS1E_S1E_jjS1G_bEUljE0_EEESZ_S10_S11_S18_S1C_S1E_T6_T7_T9_mT8_S1G_bDpT10_ENKUlT_T0_E_clISt17integral_constantIbLb1EES1U_EEDaS1P_S1Q_EUlS1P_E_NS1_11comp_targetILNS1_3genE8ELNS1_11target_archE1030ELNS1_3gpuE2ELNS1_3repE0EEENS1_30default_config_static_selectorELNS0_4arch9wavefront6targetE0EEEvS12_
	.p2align	8
	.type	_ZN7rocprim17ROCPRIM_400000_NS6detail17trampoline_kernelINS0_13select_configILj256ELj13ELNS0_17block_load_methodE3ELS4_3ELS4_3ELNS0_20block_scan_algorithmE0ELj4294967295EEENS1_25partition_config_selectorILNS1_17partition_subalgoE4EjNS0_10empty_typeEbEEZZNS1_14partition_implILS8_4ELb0ES6_15HIP_vector_typeIjLj2EENS0_17counting_iteratorIjlEEPS9_SG_NS0_5tupleIJPjSI_NS0_16reverse_iteratorISI_EEEEENSH_IJSG_SG_SG_EEES9_SI_JZNS1_25segmented_radix_sort_implINS0_14default_configELb0EPKdPdPKlPlN2at6native12_GLOBAL__N_18offset_tEEE10hipError_tPvRmT1_PNSt15iterator_traitsIS12_E10value_typeET2_T3_PNS13_IS18_E10value_typeET4_jRbjT5_S1E_jjP12ihipStream_tbEUljE_ZNSN_ISO_Lb0ESQ_SR_ST_SU_SY_EESZ_S10_S11_S12_S16_S17_S18_S1B_S1C_jS1D_jS1E_S1E_jjS1G_bEUljE0_EEESZ_S10_S11_S18_S1C_S1E_T6_T7_T9_mT8_S1G_bDpT10_ENKUlT_T0_E_clISt17integral_constantIbLb1EES1U_EEDaS1P_S1Q_EUlS1P_E_NS1_11comp_targetILNS1_3genE8ELNS1_11target_archE1030ELNS1_3gpuE2ELNS1_3repE0EEENS1_30default_config_static_selectorELNS0_4arch9wavefront6targetE0EEEvS12_,@function
_ZN7rocprim17ROCPRIM_400000_NS6detail17trampoline_kernelINS0_13select_configILj256ELj13ELNS0_17block_load_methodE3ELS4_3ELS4_3ELNS0_20block_scan_algorithmE0ELj4294967295EEENS1_25partition_config_selectorILNS1_17partition_subalgoE4EjNS0_10empty_typeEbEEZZNS1_14partition_implILS8_4ELb0ES6_15HIP_vector_typeIjLj2EENS0_17counting_iteratorIjlEEPS9_SG_NS0_5tupleIJPjSI_NS0_16reverse_iteratorISI_EEEEENSH_IJSG_SG_SG_EEES9_SI_JZNS1_25segmented_radix_sort_implINS0_14default_configELb0EPKdPdPKlPlN2at6native12_GLOBAL__N_18offset_tEEE10hipError_tPvRmT1_PNSt15iterator_traitsIS12_E10value_typeET2_T3_PNS13_IS18_E10value_typeET4_jRbjT5_S1E_jjP12ihipStream_tbEUljE_ZNSN_ISO_Lb0ESQ_SR_ST_SU_SY_EESZ_S10_S11_S12_S16_S17_S18_S1B_S1C_jS1D_jS1E_S1E_jjS1G_bEUljE0_EEESZ_S10_S11_S18_S1C_S1E_T6_T7_T9_mT8_S1G_bDpT10_ENKUlT_T0_E_clISt17integral_constantIbLb1EES1U_EEDaS1P_S1Q_EUlS1P_E_NS1_11comp_targetILNS1_3genE8ELNS1_11target_archE1030ELNS1_3gpuE2ELNS1_3repE0EEENS1_30default_config_static_selectorELNS0_4arch9wavefront6targetE0EEEvS12_: ; @_ZN7rocprim17ROCPRIM_400000_NS6detail17trampoline_kernelINS0_13select_configILj256ELj13ELNS0_17block_load_methodE3ELS4_3ELS4_3ELNS0_20block_scan_algorithmE0ELj4294967295EEENS1_25partition_config_selectorILNS1_17partition_subalgoE4EjNS0_10empty_typeEbEEZZNS1_14partition_implILS8_4ELb0ES6_15HIP_vector_typeIjLj2EENS0_17counting_iteratorIjlEEPS9_SG_NS0_5tupleIJPjSI_NS0_16reverse_iteratorISI_EEEEENSH_IJSG_SG_SG_EEES9_SI_JZNS1_25segmented_radix_sort_implINS0_14default_configELb0EPKdPdPKlPlN2at6native12_GLOBAL__N_18offset_tEEE10hipError_tPvRmT1_PNSt15iterator_traitsIS12_E10value_typeET2_T3_PNS13_IS18_E10value_typeET4_jRbjT5_S1E_jjP12ihipStream_tbEUljE_ZNSN_ISO_Lb0ESQ_SR_ST_SU_SY_EESZ_S10_S11_S12_S16_S17_S18_S1B_S1C_jS1D_jS1E_S1E_jjS1G_bEUljE0_EEESZ_S10_S11_S18_S1C_S1E_T6_T7_T9_mT8_S1G_bDpT10_ENKUlT_T0_E_clISt17integral_constantIbLb1EES1U_EEDaS1P_S1Q_EUlS1P_E_NS1_11comp_targetILNS1_3genE8ELNS1_11target_archE1030ELNS1_3gpuE2ELNS1_3repE0EEENS1_30default_config_static_selectorELNS0_4arch9wavefront6targetE0EEEvS12_
; %bb.0:
	s_endpgm
	.section	.rodata,"a",@progbits
	.p2align	6, 0x0
	.amdhsa_kernel _ZN7rocprim17ROCPRIM_400000_NS6detail17trampoline_kernelINS0_13select_configILj256ELj13ELNS0_17block_load_methodE3ELS4_3ELS4_3ELNS0_20block_scan_algorithmE0ELj4294967295EEENS1_25partition_config_selectorILNS1_17partition_subalgoE4EjNS0_10empty_typeEbEEZZNS1_14partition_implILS8_4ELb0ES6_15HIP_vector_typeIjLj2EENS0_17counting_iteratorIjlEEPS9_SG_NS0_5tupleIJPjSI_NS0_16reverse_iteratorISI_EEEEENSH_IJSG_SG_SG_EEES9_SI_JZNS1_25segmented_radix_sort_implINS0_14default_configELb0EPKdPdPKlPlN2at6native12_GLOBAL__N_18offset_tEEE10hipError_tPvRmT1_PNSt15iterator_traitsIS12_E10value_typeET2_T3_PNS13_IS18_E10value_typeET4_jRbjT5_S1E_jjP12ihipStream_tbEUljE_ZNSN_ISO_Lb0ESQ_SR_ST_SU_SY_EESZ_S10_S11_S12_S16_S17_S18_S1B_S1C_jS1D_jS1E_S1E_jjS1G_bEUljE0_EEESZ_S10_S11_S18_S1C_S1E_T6_T7_T9_mT8_S1G_bDpT10_ENKUlT_T0_E_clISt17integral_constantIbLb1EES1U_EEDaS1P_S1Q_EUlS1P_E_NS1_11comp_targetILNS1_3genE8ELNS1_11target_archE1030ELNS1_3gpuE2ELNS1_3repE0EEENS1_30default_config_static_selectorELNS0_4arch9wavefront6targetE0EEEvS12_
		.amdhsa_group_segment_fixed_size 0
		.amdhsa_private_segment_fixed_size 0
		.amdhsa_kernarg_size 184
		.amdhsa_user_sgpr_count 6
		.amdhsa_user_sgpr_private_segment_buffer 1
		.amdhsa_user_sgpr_dispatch_ptr 0
		.amdhsa_user_sgpr_queue_ptr 0
		.amdhsa_user_sgpr_kernarg_segment_ptr 1
		.amdhsa_user_sgpr_dispatch_id 0
		.amdhsa_user_sgpr_flat_scratch_init 0
		.amdhsa_user_sgpr_private_segment_size 0
		.amdhsa_wavefront_size32 1
		.amdhsa_uses_dynamic_stack 0
		.amdhsa_system_sgpr_private_segment_wavefront_offset 0
		.amdhsa_system_sgpr_workgroup_id_x 1
		.amdhsa_system_sgpr_workgroup_id_y 0
		.amdhsa_system_sgpr_workgroup_id_z 0
		.amdhsa_system_sgpr_workgroup_info 0
		.amdhsa_system_vgpr_workitem_id 0
		.amdhsa_next_free_vgpr 1
		.amdhsa_next_free_sgpr 1
		.amdhsa_reserve_vcc 0
		.amdhsa_reserve_flat_scratch 0
		.amdhsa_float_round_mode_32 0
		.amdhsa_float_round_mode_16_64 0
		.amdhsa_float_denorm_mode_32 3
		.amdhsa_float_denorm_mode_16_64 3
		.amdhsa_dx10_clamp 1
		.amdhsa_ieee_mode 1
		.amdhsa_fp16_overflow 0
		.amdhsa_workgroup_processor_mode 1
		.amdhsa_memory_ordered 1
		.amdhsa_forward_progress 1
		.amdhsa_shared_vgpr_count 0
		.amdhsa_exception_fp_ieee_invalid_op 0
		.amdhsa_exception_fp_denorm_src 0
		.amdhsa_exception_fp_ieee_div_zero 0
		.amdhsa_exception_fp_ieee_overflow 0
		.amdhsa_exception_fp_ieee_underflow 0
		.amdhsa_exception_fp_ieee_inexact 0
		.amdhsa_exception_int_div_zero 0
	.end_amdhsa_kernel
	.section	.text._ZN7rocprim17ROCPRIM_400000_NS6detail17trampoline_kernelINS0_13select_configILj256ELj13ELNS0_17block_load_methodE3ELS4_3ELS4_3ELNS0_20block_scan_algorithmE0ELj4294967295EEENS1_25partition_config_selectorILNS1_17partition_subalgoE4EjNS0_10empty_typeEbEEZZNS1_14partition_implILS8_4ELb0ES6_15HIP_vector_typeIjLj2EENS0_17counting_iteratorIjlEEPS9_SG_NS0_5tupleIJPjSI_NS0_16reverse_iteratorISI_EEEEENSH_IJSG_SG_SG_EEES9_SI_JZNS1_25segmented_radix_sort_implINS0_14default_configELb0EPKdPdPKlPlN2at6native12_GLOBAL__N_18offset_tEEE10hipError_tPvRmT1_PNSt15iterator_traitsIS12_E10value_typeET2_T3_PNS13_IS18_E10value_typeET4_jRbjT5_S1E_jjP12ihipStream_tbEUljE_ZNSN_ISO_Lb0ESQ_SR_ST_SU_SY_EESZ_S10_S11_S12_S16_S17_S18_S1B_S1C_jS1D_jS1E_S1E_jjS1G_bEUljE0_EEESZ_S10_S11_S18_S1C_S1E_T6_T7_T9_mT8_S1G_bDpT10_ENKUlT_T0_E_clISt17integral_constantIbLb1EES1U_EEDaS1P_S1Q_EUlS1P_E_NS1_11comp_targetILNS1_3genE8ELNS1_11target_archE1030ELNS1_3gpuE2ELNS1_3repE0EEENS1_30default_config_static_selectorELNS0_4arch9wavefront6targetE0EEEvS12_,"axG",@progbits,_ZN7rocprim17ROCPRIM_400000_NS6detail17trampoline_kernelINS0_13select_configILj256ELj13ELNS0_17block_load_methodE3ELS4_3ELS4_3ELNS0_20block_scan_algorithmE0ELj4294967295EEENS1_25partition_config_selectorILNS1_17partition_subalgoE4EjNS0_10empty_typeEbEEZZNS1_14partition_implILS8_4ELb0ES6_15HIP_vector_typeIjLj2EENS0_17counting_iteratorIjlEEPS9_SG_NS0_5tupleIJPjSI_NS0_16reverse_iteratorISI_EEEEENSH_IJSG_SG_SG_EEES9_SI_JZNS1_25segmented_radix_sort_implINS0_14default_configELb0EPKdPdPKlPlN2at6native12_GLOBAL__N_18offset_tEEE10hipError_tPvRmT1_PNSt15iterator_traitsIS12_E10value_typeET2_T3_PNS13_IS18_E10value_typeET4_jRbjT5_S1E_jjP12ihipStream_tbEUljE_ZNSN_ISO_Lb0ESQ_SR_ST_SU_SY_EESZ_S10_S11_S12_S16_S17_S18_S1B_S1C_jS1D_jS1E_S1E_jjS1G_bEUljE0_EEESZ_S10_S11_S18_S1C_S1E_T6_T7_T9_mT8_S1G_bDpT10_ENKUlT_T0_E_clISt17integral_constantIbLb1EES1U_EEDaS1P_S1Q_EUlS1P_E_NS1_11comp_targetILNS1_3genE8ELNS1_11target_archE1030ELNS1_3gpuE2ELNS1_3repE0EEENS1_30default_config_static_selectorELNS0_4arch9wavefront6targetE0EEEvS12_,comdat
.Lfunc_end1164:
	.size	_ZN7rocprim17ROCPRIM_400000_NS6detail17trampoline_kernelINS0_13select_configILj256ELj13ELNS0_17block_load_methodE3ELS4_3ELS4_3ELNS0_20block_scan_algorithmE0ELj4294967295EEENS1_25partition_config_selectorILNS1_17partition_subalgoE4EjNS0_10empty_typeEbEEZZNS1_14partition_implILS8_4ELb0ES6_15HIP_vector_typeIjLj2EENS0_17counting_iteratorIjlEEPS9_SG_NS0_5tupleIJPjSI_NS0_16reverse_iteratorISI_EEEEENSH_IJSG_SG_SG_EEES9_SI_JZNS1_25segmented_radix_sort_implINS0_14default_configELb0EPKdPdPKlPlN2at6native12_GLOBAL__N_18offset_tEEE10hipError_tPvRmT1_PNSt15iterator_traitsIS12_E10value_typeET2_T3_PNS13_IS18_E10value_typeET4_jRbjT5_S1E_jjP12ihipStream_tbEUljE_ZNSN_ISO_Lb0ESQ_SR_ST_SU_SY_EESZ_S10_S11_S12_S16_S17_S18_S1B_S1C_jS1D_jS1E_S1E_jjS1G_bEUljE0_EEESZ_S10_S11_S18_S1C_S1E_T6_T7_T9_mT8_S1G_bDpT10_ENKUlT_T0_E_clISt17integral_constantIbLb1EES1U_EEDaS1P_S1Q_EUlS1P_E_NS1_11comp_targetILNS1_3genE8ELNS1_11target_archE1030ELNS1_3gpuE2ELNS1_3repE0EEENS1_30default_config_static_selectorELNS0_4arch9wavefront6targetE0EEEvS12_, .Lfunc_end1164-_ZN7rocprim17ROCPRIM_400000_NS6detail17trampoline_kernelINS0_13select_configILj256ELj13ELNS0_17block_load_methodE3ELS4_3ELS4_3ELNS0_20block_scan_algorithmE0ELj4294967295EEENS1_25partition_config_selectorILNS1_17partition_subalgoE4EjNS0_10empty_typeEbEEZZNS1_14partition_implILS8_4ELb0ES6_15HIP_vector_typeIjLj2EENS0_17counting_iteratorIjlEEPS9_SG_NS0_5tupleIJPjSI_NS0_16reverse_iteratorISI_EEEEENSH_IJSG_SG_SG_EEES9_SI_JZNS1_25segmented_radix_sort_implINS0_14default_configELb0EPKdPdPKlPlN2at6native12_GLOBAL__N_18offset_tEEE10hipError_tPvRmT1_PNSt15iterator_traitsIS12_E10value_typeET2_T3_PNS13_IS18_E10value_typeET4_jRbjT5_S1E_jjP12ihipStream_tbEUljE_ZNSN_ISO_Lb0ESQ_SR_ST_SU_SY_EESZ_S10_S11_S12_S16_S17_S18_S1B_S1C_jS1D_jS1E_S1E_jjS1G_bEUljE0_EEESZ_S10_S11_S18_S1C_S1E_T6_T7_T9_mT8_S1G_bDpT10_ENKUlT_T0_E_clISt17integral_constantIbLb1EES1U_EEDaS1P_S1Q_EUlS1P_E_NS1_11comp_targetILNS1_3genE8ELNS1_11target_archE1030ELNS1_3gpuE2ELNS1_3repE0EEENS1_30default_config_static_selectorELNS0_4arch9wavefront6targetE0EEEvS12_
                                        ; -- End function
	.set _ZN7rocprim17ROCPRIM_400000_NS6detail17trampoline_kernelINS0_13select_configILj256ELj13ELNS0_17block_load_methodE3ELS4_3ELS4_3ELNS0_20block_scan_algorithmE0ELj4294967295EEENS1_25partition_config_selectorILNS1_17partition_subalgoE4EjNS0_10empty_typeEbEEZZNS1_14partition_implILS8_4ELb0ES6_15HIP_vector_typeIjLj2EENS0_17counting_iteratorIjlEEPS9_SG_NS0_5tupleIJPjSI_NS0_16reverse_iteratorISI_EEEEENSH_IJSG_SG_SG_EEES9_SI_JZNS1_25segmented_radix_sort_implINS0_14default_configELb0EPKdPdPKlPlN2at6native12_GLOBAL__N_18offset_tEEE10hipError_tPvRmT1_PNSt15iterator_traitsIS12_E10value_typeET2_T3_PNS13_IS18_E10value_typeET4_jRbjT5_S1E_jjP12ihipStream_tbEUljE_ZNSN_ISO_Lb0ESQ_SR_ST_SU_SY_EESZ_S10_S11_S12_S16_S17_S18_S1B_S1C_jS1D_jS1E_S1E_jjS1G_bEUljE0_EEESZ_S10_S11_S18_S1C_S1E_T6_T7_T9_mT8_S1G_bDpT10_ENKUlT_T0_E_clISt17integral_constantIbLb1EES1U_EEDaS1P_S1Q_EUlS1P_E_NS1_11comp_targetILNS1_3genE8ELNS1_11target_archE1030ELNS1_3gpuE2ELNS1_3repE0EEENS1_30default_config_static_selectorELNS0_4arch9wavefront6targetE0EEEvS12_.num_vgpr, 0
	.set _ZN7rocprim17ROCPRIM_400000_NS6detail17trampoline_kernelINS0_13select_configILj256ELj13ELNS0_17block_load_methodE3ELS4_3ELS4_3ELNS0_20block_scan_algorithmE0ELj4294967295EEENS1_25partition_config_selectorILNS1_17partition_subalgoE4EjNS0_10empty_typeEbEEZZNS1_14partition_implILS8_4ELb0ES6_15HIP_vector_typeIjLj2EENS0_17counting_iteratorIjlEEPS9_SG_NS0_5tupleIJPjSI_NS0_16reverse_iteratorISI_EEEEENSH_IJSG_SG_SG_EEES9_SI_JZNS1_25segmented_radix_sort_implINS0_14default_configELb0EPKdPdPKlPlN2at6native12_GLOBAL__N_18offset_tEEE10hipError_tPvRmT1_PNSt15iterator_traitsIS12_E10value_typeET2_T3_PNS13_IS18_E10value_typeET4_jRbjT5_S1E_jjP12ihipStream_tbEUljE_ZNSN_ISO_Lb0ESQ_SR_ST_SU_SY_EESZ_S10_S11_S12_S16_S17_S18_S1B_S1C_jS1D_jS1E_S1E_jjS1G_bEUljE0_EEESZ_S10_S11_S18_S1C_S1E_T6_T7_T9_mT8_S1G_bDpT10_ENKUlT_T0_E_clISt17integral_constantIbLb1EES1U_EEDaS1P_S1Q_EUlS1P_E_NS1_11comp_targetILNS1_3genE8ELNS1_11target_archE1030ELNS1_3gpuE2ELNS1_3repE0EEENS1_30default_config_static_selectorELNS0_4arch9wavefront6targetE0EEEvS12_.num_agpr, 0
	.set _ZN7rocprim17ROCPRIM_400000_NS6detail17trampoline_kernelINS0_13select_configILj256ELj13ELNS0_17block_load_methodE3ELS4_3ELS4_3ELNS0_20block_scan_algorithmE0ELj4294967295EEENS1_25partition_config_selectorILNS1_17partition_subalgoE4EjNS0_10empty_typeEbEEZZNS1_14partition_implILS8_4ELb0ES6_15HIP_vector_typeIjLj2EENS0_17counting_iteratorIjlEEPS9_SG_NS0_5tupleIJPjSI_NS0_16reverse_iteratorISI_EEEEENSH_IJSG_SG_SG_EEES9_SI_JZNS1_25segmented_radix_sort_implINS0_14default_configELb0EPKdPdPKlPlN2at6native12_GLOBAL__N_18offset_tEEE10hipError_tPvRmT1_PNSt15iterator_traitsIS12_E10value_typeET2_T3_PNS13_IS18_E10value_typeET4_jRbjT5_S1E_jjP12ihipStream_tbEUljE_ZNSN_ISO_Lb0ESQ_SR_ST_SU_SY_EESZ_S10_S11_S12_S16_S17_S18_S1B_S1C_jS1D_jS1E_S1E_jjS1G_bEUljE0_EEESZ_S10_S11_S18_S1C_S1E_T6_T7_T9_mT8_S1G_bDpT10_ENKUlT_T0_E_clISt17integral_constantIbLb1EES1U_EEDaS1P_S1Q_EUlS1P_E_NS1_11comp_targetILNS1_3genE8ELNS1_11target_archE1030ELNS1_3gpuE2ELNS1_3repE0EEENS1_30default_config_static_selectorELNS0_4arch9wavefront6targetE0EEEvS12_.numbered_sgpr, 0
	.set _ZN7rocprim17ROCPRIM_400000_NS6detail17trampoline_kernelINS0_13select_configILj256ELj13ELNS0_17block_load_methodE3ELS4_3ELS4_3ELNS0_20block_scan_algorithmE0ELj4294967295EEENS1_25partition_config_selectorILNS1_17partition_subalgoE4EjNS0_10empty_typeEbEEZZNS1_14partition_implILS8_4ELb0ES6_15HIP_vector_typeIjLj2EENS0_17counting_iteratorIjlEEPS9_SG_NS0_5tupleIJPjSI_NS0_16reverse_iteratorISI_EEEEENSH_IJSG_SG_SG_EEES9_SI_JZNS1_25segmented_radix_sort_implINS0_14default_configELb0EPKdPdPKlPlN2at6native12_GLOBAL__N_18offset_tEEE10hipError_tPvRmT1_PNSt15iterator_traitsIS12_E10value_typeET2_T3_PNS13_IS18_E10value_typeET4_jRbjT5_S1E_jjP12ihipStream_tbEUljE_ZNSN_ISO_Lb0ESQ_SR_ST_SU_SY_EESZ_S10_S11_S12_S16_S17_S18_S1B_S1C_jS1D_jS1E_S1E_jjS1G_bEUljE0_EEESZ_S10_S11_S18_S1C_S1E_T6_T7_T9_mT8_S1G_bDpT10_ENKUlT_T0_E_clISt17integral_constantIbLb1EES1U_EEDaS1P_S1Q_EUlS1P_E_NS1_11comp_targetILNS1_3genE8ELNS1_11target_archE1030ELNS1_3gpuE2ELNS1_3repE0EEENS1_30default_config_static_selectorELNS0_4arch9wavefront6targetE0EEEvS12_.num_named_barrier, 0
	.set _ZN7rocprim17ROCPRIM_400000_NS6detail17trampoline_kernelINS0_13select_configILj256ELj13ELNS0_17block_load_methodE3ELS4_3ELS4_3ELNS0_20block_scan_algorithmE0ELj4294967295EEENS1_25partition_config_selectorILNS1_17partition_subalgoE4EjNS0_10empty_typeEbEEZZNS1_14partition_implILS8_4ELb0ES6_15HIP_vector_typeIjLj2EENS0_17counting_iteratorIjlEEPS9_SG_NS0_5tupleIJPjSI_NS0_16reverse_iteratorISI_EEEEENSH_IJSG_SG_SG_EEES9_SI_JZNS1_25segmented_radix_sort_implINS0_14default_configELb0EPKdPdPKlPlN2at6native12_GLOBAL__N_18offset_tEEE10hipError_tPvRmT1_PNSt15iterator_traitsIS12_E10value_typeET2_T3_PNS13_IS18_E10value_typeET4_jRbjT5_S1E_jjP12ihipStream_tbEUljE_ZNSN_ISO_Lb0ESQ_SR_ST_SU_SY_EESZ_S10_S11_S12_S16_S17_S18_S1B_S1C_jS1D_jS1E_S1E_jjS1G_bEUljE0_EEESZ_S10_S11_S18_S1C_S1E_T6_T7_T9_mT8_S1G_bDpT10_ENKUlT_T0_E_clISt17integral_constantIbLb1EES1U_EEDaS1P_S1Q_EUlS1P_E_NS1_11comp_targetILNS1_3genE8ELNS1_11target_archE1030ELNS1_3gpuE2ELNS1_3repE0EEENS1_30default_config_static_selectorELNS0_4arch9wavefront6targetE0EEEvS12_.private_seg_size, 0
	.set _ZN7rocprim17ROCPRIM_400000_NS6detail17trampoline_kernelINS0_13select_configILj256ELj13ELNS0_17block_load_methodE3ELS4_3ELS4_3ELNS0_20block_scan_algorithmE0ELj4294967295EEENS1_25partition_config_selectorILNS1_17partition_subalgoE4EjNS0_10empty_typeEbEEZZNS1_14partition_implILS8_4ELb0ES6_15HIP_vector_typeIjLj2EENS0_17counting_iteratorIjlEEPS9_SG_NS0_5tupleIJPjSI_NS0_16reverse_iteratorISI_EEEEENSH_IJSG_SG_SG_EEES9_SI_JZNS1_25segmented_radix_sort_implINS0_14default_configELb0EPKdPdPKlPlN2at6native12_GLOBAL__N_18offset_tEEE10hipError_tPvRmT1_PNSt15iterator_traitsIS12_E10value_typeET2_T3_PNS13_IS18_E10value_typeET4_jRbjT5_S1E_jjP12ihipStream_tbEUljE_ZNSN_ISO_Lb0ESQ_SR_ST_SU_SY_EESZ_S10_S11_S12_S16_S17_S18_S1B_S1C_jS1D_jS1E_S1E_jjS1G_bEUljE0_EEESZ_S10_S11_S18_S1C_S1E_T6_T7_T9_mT8_S1G_bDpT10_ENKUlT_T0_E_clISt17integral_constantIbLb1EES1U_EEDaS1P_S1Q_EUlS1P_E_NS1_11comp_targetILNS1_3genE8ELNS1_11target_archE1030ELNS1_3gpuE2ELNS1_3repE0EEENS1_30default_config_static_selectorELNS0_4arch9wavefront6targetE0EEEvS12_.uses_vcc, 0
	.set _ZN7rocprim17ROCPRIM_400000_NS6detail17trampoline_kernelINS0_13select_configILj256ELj13ELNS0_17block_load_methodE3ELS4_3ELS4_3ELNS0_20block_scan_algorithmE0ELj4294967295EEENS1_25partition_config_selectorILNS1_17partition_subalgoE4EjNS0_10empty_typeEbEEZZNS1_14partition_implILS8_4ELb0ES6_15HIP_vector_typeIjLj2EENS0_17counting_iteratorIjlEEPS9_SG_NS0_5tupleIJPjSI_NS0_16reverse_iteratorISI_EEEEENSH_IJSG_SG_SG_EEES9_SI_JZNS1_25segmented_radix_sort_implINS0_14default_configELb0EPKdPdPKlPlN2at6native12_GLOBAL__N_18offset_tEEE10hipError_tPvRmT1_PNSt15iterator_traitsIS12_E10value_typeET2_T3_PNS13_IS18_E10value_typeET4_jRbjT5_S1E_jjP12ihipStream_tbEUljE_ZNSN_ISO_Lb0ESQ_SR_ST_SU_SY_EESZ_S10_S11_S12_S16_S17_S18_S1B_S1C_jS1D_jS1E_S1E_jjS1G_bEUljE0_EEESZ_S10_S11_S18_S1C_S1E_T6_T7_T9_mT8_S1G_bDpT10_ENKUlT_T0_E_clISt17integral_constantIbLb1EES1U_EEDaS1P_S1Q_EUlS1P_E_NS1_11comp_targetILNS1_3genE8ELNS1_11target_archE1030ELNS1_3gpuE2ELNS1_3repE0EEENS1_30default_config_static_selectorELNS0_4arch9wavefront6targetE0EEEvS12_.uses_flat_scratch, 0
	.set _ZN7rocprim17ROCPRIM_400000_NS6detail17trampoline_kernelINS0_13select_configILj256ELj13ELNS0_17block_load_methodE3ELS4_3ELS4_3ELNS0_20block_scan_algorithmE0ELj4294967295EEENS1_25partition_config_selectorILNS1_17partition_subalgoE4EjNS0_10empty_typeEbEEZZNS1_14partition_implILS8_4ELb0ES6_15HIP_vector_typeIjLj2EENS0_17counting_iteratorIjlEEPS9_SG_NS0_5tupleIJPjSI_NS0_16reverse_iteratorISI_EEEEENSH_IJSG_SG_SG_EEES9_SI_JZNS1_25segmented_radix_sort_implINS0_14default_configELb0EPKdPdPKlPlN2at6native12_GLOBAL__N_18offset_tEEE10hipError_tPvRmT1_PNSt15iterator_traitsIS12_E10value_typeET2_T3_PNS13_IS18_E10value_typeET4_jRbjT5_S1E_jjP12ihipStream_tbEUljE_ZNSN_ISO_Lb0ESQ_SR_ST_SU_SY_EESZ_S10_S11_S12_S16_S17_S18_S1B_S1C_jS1D_jS1E_S1E_jjS1G_bEUljE0_EEESZ_S10_S11_S18_S1C_S1E_T6_T7_T9_mT8_S1G_bDpT10_ENKUlT_T0_E_clISt17integral_constantIbLb1EES1U_EEDaS1P_S1Q_EUlS1P_E_NS1_11comp_targetILNS1_3genE8ELNS1_11target_archE1030ELNS1_3gpuE2ELNS1_3repE0EEENS1_30default_config_static_selectorELNS0_4arch9wavefront6targetE0EEEvS12_.has_dyn_sized_stack, 0
	.set _ZN7rocprim17ROCPRIM_400000_NS6detail17trampoline_kernelINS0_13select_configILj256ELj13ELNS0_17block_load_methodE3ELS4_3ELS4_3ELNS0_20block_scan_algorithmE0ELj4294967295EEENS1_25partition_config_selectorILNS1_17partition_subalgoE4EjNS0_10empty_typeEbEEZZNS1_14partition_implILS8_4ELb0ES6_15HIP_vector_typeIjLj2EENS0_17counting_iteratorIjlEEPS9_SG_NS0_5tupleIJPjSI_NS0_16reverse_iteratorISI_EEEEENSH_IJSG_SG_SG_EEES9_SI_JZNS1_25segmented_radix_sort_implINS0_14default_configELb0EPKdPdPKlPlN2at6native12_GLOBAL__N_18offset_tEEE10hipError_tPvRmT1_PNSt15iterator_traitsIS12_E10value_typeET2_T3_PNS13_IS18_E10value_typeET4_jRbjT5_S1E_jjP12ihipStream_tbEUljE_ZNSN_ISO_Lb0ESQ_SR_ST_SU_SY_EESZ_S10_S11_S12_S16_S17_S18_S1B_S1C_jS1D_jS1E_S1E_jjS1G_bEUljE0_EEESZ_S10_S11_S18_S1C_S1E_T6_T7_T9_mT8_S1G_bDpT10_ENKUlT_T0_E_clISt17integral_constantIbLb1EES1U_EEDaS1P_S1Q_EUlS1P_E_NS1_11comp_targetILNS1_3genE8ELNS1_11target_archE1030ELNS1_3gpuE2ELNS1_3repE0EEENS1_30default_config_static_selectorELNS0_4arch9wavefront6targetE0EEEvS12_.has_recursion, 0
	.set _ZN7rocprim17ROCPRIM_400000_NS6detail17trampoline_kernelINS0_13select_configILj256ELj13ELNS0_17block_load_methodE3ELS4_3ELS4_3ELNS0_20block_scan_algorithmE0ELj4294967295EEENS1_25partition_config_selectorILNS1_17partition_subalgoE4EjNS0_10empty_typeEbEEZZNS1_14partition_implILS8_4ELb0ES6_15HIP_vector_typeIjLj2EENS0_17counting_iteratorIjlEEPS9_SG_NS0_5tupleIJPjSI_NS0_16reverse_iteratorISI_EEEEENSH_IJSG_SG_SG_EEES9_SI_JZNS1_25segmented_radix_sort_implINS0_14default_configELb0EPKdPdPKlPlN2at6native12_GLOBAL__N_18offset_tEEE10hipError_tPvRmT1_PNSt15iterator_traitsIS12_E10value_typeET2_T3_PNS13_IS18_E10value_typeET4_jRbjT5_S1E_jjP12ihipStream_tbEUljE_ZNSN_ISO_Lb0ESQ_SR_ST_SU_SY_EESZ_S10_S11_S12_S16_S17_S18_S1B_S1C_jS1D_jS1E_S1E_jjS1G_bEUljE0_EEESZ_S10_S11_S18_S1C_S1E_T6_T7_T9_mT8_S1G_bDpT10_ENKUlT_T0_E_clISt17integral_constantIbLb1EES1U_EEDaS1P_S1Q_EUlS1P_E_NS1_11comp_targetILNS1_3genE8ELNS1_11target_archE1030ELNS1_3gpuE2ELNS1_3repE0EEENS1_30default_config_static_selectorELNS0_4arch9wavefront6targetE0EEEvS12_.has_indirect_call, 0
	.section	.AMDGPU.csdata,"",@progbits
; Kernel info:
; codeLenInByte = 4
; TotalNumSgprs: 0
; NumVgprs: 0
; ScratchSize: 0
; MemoryBound: 0
; FloatMode: 240
; IeeeMode: 1
; LDSByteSize: 0 bytes/workgroup (compile time only)
; SGPRBlocks: 0
; VGPRBlocks: 0
; NumSGPRsForWavesPerEU: 1
; NumVGPRsForWavesPerEU: 1
; Occupancy: 16
; WaveLimiterHint : 0
; COMPUTE_PGM_RSRC2:SCRATCH_EN: 0
; COMPUTE_PGM_RSRC2:USER_SGPR: 6
; COMPUTE_PGM_RSRC2:TRAP_HANDLER: 0
; COMPUTE_PGM_RSRC2:TGID_X_EN: 1
; COMPUTE_PGM_RSRC2:TGID_Y_EN: 0
; COMPUTE_PGM_RSRC2:TGID_Z_EN: 0
; COMPUTE_PGM_RSRC2:TIDIG_COMP_CNT: 0
	.section	.text._ZN7rocprim17ROCPRIM_400000_NS6detail17trampoline_kernelINS0_13select_configILj256ELj13ELNS0_17block_load_methodE3ELS4_3ELS4_3ELNS0_20block_scan_algorithmE0ELj4294967295EEENS1_25partition_config_selectorILNS1_17partition_subalgoE4EjNS0_10empty_typeEbEEZZNS1_14partition_implILS8_4ELb0ES6_15HIP_vector_typeIjLj2EENS0_17counting_iteratorIjlEEPS9_SG_NS0_5tupleIJPjSI_NS0_16reverse_iteratorISI_EEEEENSH_IJSG_SG_SG_EEES9_SI_JZNS1_25segmented_radix_sort_implINS0_14default_configELb0EPKdPdPKlPlN2at6native12_GLOBAL__N_18offset_tEEE10hipError_tPvRmT1_PNSt15iterator_traitsIS12_E10value_typeET2_T3_PNS13_IS18_E10value_typeET4_jRbjT5_S1E_jjP12ihipStream_tbEUljE_ZNSN_ISO_Lb0ESQ_SR_ST_SU_SY_EESZ_S10_S11_S12_S16_S17_S18_S1B_S1C_jS1D_jS1E_S1E_jjS1G_bEUljE0_EEESZ_S10_S11_S18_S1C_S1E_T6_T7_T9_mT8_S1G_bDpT10_ENKUlT_T0_E_clISt17integral_constantIbLb1EES1T_IbLb0EEEEDaS1P_S1Q_EUlS1P_E_NS1_11comp_targetILNS1_3genE0ELNS1_11target_archE4294967295ELNS1_3gpuE0ELNS1_3repE0EEENS1_30default_config_static_selectorELNS0_4arch9wavefront6targetE0EEEvS12_,"axG",@progbits,_ZN7rocprim17ROCPRIM_400000_NS6detail17trampoline_kernelINS0_13select_configILj256ELj13ELNS0_17block_load_methodE3ELS4_3ELS4_3ELNS0_20block_scan_algorithmE0ELj4294967295EEENS1_25partition_config_selectorILNS1_17partition_subalgoE4EjNS0_10empty_typeEbEEZZNS1_14partition_implILS8_4ELb0ES6_15HIP_vector_typeIjLj2EENS0_17counting_iteratorIjlEEPS9_SG_NS0_5tupleIJPjSI_NS0_16reverse_iteratorISI_EEEEENSH_IJSG_SG_SG_EEES9_SI_JZNS1_25segmented_radix_sort_implINS0_14default_configELb0EPKdPdPKlPlN2at6native12_GLOBAL__N_18offset_tEEE10hipError_tPvRmT1_PNSt15iterator_traitsIS12_E10value_typeET2_T3_PNS13_IS18_E10value_typeET4_jRbjT5_S1E_jjP12ihipStream_tbEUljE_ZNSN_ISO_Lb0ESQ_SR_ST_SU_SY_EESZ_S10_S11_S12_S16_S17_S18_S1B_S1C_jS1D_jS1E_S1E_jjS1G_bEUljE0_EEESZ_S10_S11_S18_S1C_S1E_T6_T7_T9_mT8_S1G_bDpT10_ENKUlT_T0_E_clISt17integral_constantIbLb1EES1T_IbLb0EEEEDaS1P_S1Q_EUlS1P_E_NS1_11comp_targetILNS1_3genE0ELNS1_11target_archE4294967295ELNS1_3gpuE0ELNS1_3repE0EEENS1_30default_config_static_selectorELNS0_4arch9wavefront6targetE0EEEvS12_,comdat
	.globl	_ZN7rocprim17ROCPRIM_400000_NS6detail17trampoline_kernelINS0_13select_configILj256ELj13ELNS0_17block_load_methodE3ELS4_3ELS4_3ELNS0_20block_scan_algorithmE0ELj4294967295EEENS1_25partition_config_selectorILNS1_17partition_subalgoE4EjNS0_10empty_typeEbEEZZNS1_14partition_implILS8_4ELb0ES6_15HIP_vector_typeIjLj2EENS0_17counting_iteratorIjlEEPS9_SG_NS0_5tupleIJPjSI_NS0_16reverse_iteratorISI_EEEEENSH_IJSG_SG_SG_EEES9_SI_JZNS1_25segmented_radix_sort_implINS0_14default_configELb0EPKdPdPKlPlN2at6native12_GLOBAL__N_18offset_tEEE10hipError_tPvRmT1_PNSt15iterator_traitsIS12_E10value_typeET2_T3_PNS13_IS18_E10value_typeET4_jRbjT5_S1E_jjP12ihipStream_tbEUljE_ZNSN_ISO_Lb0ESQ_SR_ST_SU_SY_EESZ_S10_S11_S12_S16_S17_S18_S1B_S1C_jS1D_jS1E_S1E_jjS1G_bEUljE0_EEESZ_S10_S11_S18_S1C_S1E_T6_T7_T9_mT8_S1G_bDpT10_ENKUlT_T0_E_clISt17integral_constantIbLb1EES1T_IbLb0EEEEDaS1P_S1Q_EUlS1P_E_NS1_11comp_targetILNS1_3genE0ELNS1_11target_archE4294967295ELNS1_3gpuE0ELNS1_3repE0EEENS1_30default_config_static_selectorELNS0_4arch9wavefront6targetE0EEEvS12_ ; -- Begin function _ZN7rocprim17ROCPRIM_400000_NS6detail17trampoline_kernelINS0_13select_configILj256ELj13ELNS0_17block_load_methodE3ELS4_3ELS4_3ELNS0_20block_scan_algorithmE0ELj4294967295EEENS1_25partition_config_selectorILNS1_17partition_subalgoE4EjNS0_10empty_typeEbEEZZNS1_14partition_implILS8_4ELb0ES6_15HIP_vector_typeIjLj2EENS0_17counting_iteratorIjlEEPS9_SG_NS0_5tupleIJPjSI_NS0_16reverse_iteratorISI_EEEEENSH_IJSG_SG_SG_EEES9_SI_JZNS1_25segmented_radix_sort_implINS0_14default_configELb0EPKdPdPKlPlN2at6native12_GLOBAL__N_18offset_tEEE10hipError_tPvRmT1_PNSt15iterator_traitsIS12_E10value_typeET2_T3_PNS13_IS18_E10value_typeET4_jRbjT5_S1E_jjP12ihipStream_tbEUljE_ZNSN_ISO_Lb0ESQ_SR_ST_SU_SY_EESZ_S10_S11_S12_S16_S17_S18_S1B_S1C_jS1D_jS1E_S1E_jjS1G_bEUljE0_EEESZ_S10_S11_S18_S1C_S1E_T6_T7_T9_mT8_S1G_bDpT10_ENKUlT_T0_E_clISt17integral_constantIbLb1EES1T_IbLb0EEEEDaS1P_S1Q_EUlS1P_E_NS1_11comp_targetILNS1_3genE0ELNS1_11target_archE4294967295ELNS1_3gpuE0ELNS1_3repE0EEENS1_30default_config_static_selectorELNS0_4arch9wavefront6targetE0EEEvS12_
	.p2align	8
	.type	_ZN7rocprim17ROCPRIM_400000_NS6detail17trampoline_kernelINS0_13select_configILj256ELj13ELNS0_17block_load_methodE3ELS4_3ELS4_3ELNS0_20block_scan_algorithmE0ELj4294967295EEENS1_25partition_config_selectorILNS1_17partition_subalgoE4EjNS0_10empty_typeEbEEZZNS1_14partition_implILS8_4ELb0ES6_15HIP_vector_typeIjLj2EENS0_17counting_iteratorIjlEEPS9_SG_NS0_5tupleIJPjSI_NS0_16reverse_iteratorISI_EEEEENSH_IJSG_SG_SG_EEES9_SI_JZNS1_25segmented_radix_sort_implINS0_14default_configELb0EPKdPdPKlPlN2at6native12_GLOBAL__N_18offset_tEEE10hipError_tPvRmT1_PNSt15iterator_traitsIS12_E10value_typeET2_T3_PNS13_IS18_E10value_typeET4_jRbjT5_S1E_jjP12ihipStream_tbEUljE_ZNSN_ISO_Lb0ESQ_SR_ST_SU_SY_EESZ_S10_S11_S12_S16_S17_S18_S1B_S1C_jS1D_jS1E_S1E_jjS1G_bEUljE0_EEESZ_S10_S11_S18_S1C_S1E_T6_T7_T9_mT8_S1G_bDpT10_ENKUlT_T0_E_clISt17integral_constantIbLb1EES1T_IbLb0EEEEDaS1P_S1Q_EUlS1P_E_NS1_11comp_targetILNS1_3genE0ELNS1_11target_archE4294967295ELNS1_3gpuE0ELNS1_3repE0EEENS1_30default_config_static_selectorELNS0_4arch9wavefront6targetE0EEEvS12_,@function
_ZN7rocprim17ROCPRIM_400000_NS6detail17trampoline_kernelINS0_13select_configILj256ELj13ELNS0_17block_load_methodE3ELS4_3ELS4_3ELNS0_20block_scan_algorithmE0ELj4294967295EEENS1_25partition_config_selectorILNS1_17partition_subalgoE4EjNS0_10empty_typeEbEEZZNS1_14partition_implILS8_4ELb0ES6_15HIP_vector_typeIjLj2EENS0_17counting_iteratorIjlEEPS9_SG_NS0_5tupleIJPjSI_NS0_16reverse_iteratorISI_EEEEENSH_IJSG_SG_SG_EEES9_SI_JZNS1_25segmented_radix_sort_implINS0_14default_configELb0EPKdPdPKlPlN2at6native12_GLOBAL__N_18offset_tEEE10hipError_tPvRmT1_PNSt15iterator_traitsIS12_E10value_typeET2_T3_PNS13_IS18_E10value_typeET4_jRbjT5_S1E_jjP12ihipStream_tbEUljE_ZNSN_ISO_Lb0ESQ_SR_ST_SU_SY_EESZ_S10_S11_S12_S16_S17_S18_S1B_S1C_jS1D_jS1E_S1E_jjS1G_bEUljE0_EEESZ_S10_S11_S18_S1C_S1E_T6_T7_T9_mT8_S1G_bDpT10_ENKUlT_T0_E_clISt17integral_constantIbLb1EES1T_IbLb0EEEEDaS1P_S1Q_EUlS1P_E_NS1_11comp_targetILNS1_3genE0ELNS1_11target_archE4294967295ELNS1_3gpuE0ELNS1_3repE0EEENS1_30default_config_static_selectorELNS0_4arch9wavefront6targetE0EEEvS12_: ; @_ZN7rocprim17ROCPRIM_400000_NS6detail17trampoline_kernelINS0_13select_configILj256ELj13ELNS0_17block_load_methodE3ELS4_3ELS4_3ELNS0_20block_scan_algorithmE0ELj4294967295EEENS1_25partition_config_selectorILNS1_17partition_subalgoE4EjNS0_10empty_typeEbEEZZNS1_14partition_implILS8_4ELb0ES6_15HIP_vector_typeIjLj2EENS0_17counting_iteratorIjlEEPS9_SG_NS0_5tupleIJPjSI_NS0_16reverse_iteratorISI_EEEEENSH_IJSG_SG_SG_EEES9_SI_JZNS1_25segmented_radix_sort_implINS0_14default_configELb0EPKdPdPKlPlN2at6native12_GLOBAL__N_18offset_tEEE10hipError_tPvRmT1_PNSt15iterator_traitsIS12_E10value_typeET2_T3_PNS13_IS18_E10value_typeET4_jRbjT5_S1E_jjP12ihipStream_tbEUljE_ZNSN_ISO_Lb0ESQ_SR_ST_SU_SY_EESZ_S10_S11_S12_S16_S17_S18_S1B_S1C_jS1D_jS1E_S1E_jjS1G_bEUljE0_EEESZ_S10_S11_S18_S1C_S1E_T6_T7_T9_mT8_S1G_bDpT10_ENKUlT_T0_E_clISt17integral_constantIbLb1EES1T_IbLb0EEEEDaS1P_S1Q_EUlS1P_E_NS1_11comp_targetILNS1_3genE0ELNS1_11target_archE4294967295ELNS1_3gpuE0ELNS1_3repE0EEENS1_30default_config_static_selectorELNS0_4arch9wavefront6targetE0EEEvS12_
; %bb.0:
	.section	.rodata,"a",@progbits
	.p2align	6, 0x0
	.amdhsa_kernel _ZN7rocprim17ROCPRIM_400000_NS6detail17trampoline_kernelINS0_13select_configILj256ELj13ELNS0_17block_load_methodE3ELS4_3ELS4_3ELNS0_20block_scan_algorithmE0ELj4294967295EEENS1_25partition_config_selectorILNS1_17partition_subalgoE4EjNS0_10empty_typeEbEEZZNS1_14partition_implILS8_4ELb0ES6_15HIP_vector_typeIjLj2EENS0_17counting_iteratorIjlEEPS9_SG_NS0_5tupleIJPjSI_NS0_16reverse_iteratorISI_EEEEENSH_IJSG_SG_SG_EEES9_SI_JZNS1_25segmented_radix_sort_implINS0_14default_configELb0EPKdPdPKlPlN2at6native12_GLOBAL__N_18offset_tEEE10hipError_tPvRmT1_PNSt15iterator_traitsIS12_E10value_typeET2_T3_PNS13_IS18_E10value_typeET4_jRbjT5_S1E_jjP12ihipStream_tbEUljE_ZNSN_ISO_Lb0ESQ_SR_ST_SU_SY_EESZ_S10_S11_S12_S16_S17_S18_S1B_S1C_jS1D_jS1E_S1E_jjS1G_bEUljE0_EEESZ_S10_S11_S18_S1C_S1E_T6_T7_T9_mT8_S1G_bDpT10_ENKUlT_T0_E_clISt17integral_constantIbLb1EES1T_IbLb0EEEEDaS1P_S1Q_EUlS1P_E_NS1_11comp_targetILNS1_3genE0ELNS1_11target_archE4294967295ELNS1_3gpuE0ELNS1_3repE0EEENS1_30default_config_static_selectorELNS0_4arch9wavefront6targetE0EEEvS12_
		.amdhsa_group_segment_fixed_size 0
		.amdhsa_private_segment_fixed_size 0
		.amdhsa_kernarg_size 176
		.amdhsa_user_sgpr_count 6
		.amdhsa_user_sgpr_private_segment_buffer 1
		.amdhsa_user_sgpr_dispatch_ptr 0
		.amdhsa_user_sgpr_queue_ptr 0
		.amdhsa_user_sgpr_kernarg_segment_ptr 1
		.amdhsa_user_sgpr_dispatch_id 0
		.amdhsa_user_sgpr_flat_scratch_init 0
		.amdhsa_user_sgpr_private_segment_size 0
		.amdhsa_wavefront_size32 1
		.amdhsa_uses_dynamic_stack 0
		.amdhsa_system_sgpr_private_segment_wavefront_offset 0
		.amdhsa_system_sgpr_workgroup_id_x 1
		.amdhsa_system_sgpr_workgroup_id_y 0
		.amdhsa_system_sgpr_workgroup_id_z 0
		.amdhsa_system_sgpr_workgroup_info 0
		.amdhsa_system_vgpr_workitem_id 0
		.amdhsa_next_free_vgpr 1
		.amdhsa_next_free_sgpr 1
		.amdhsa_reserve_vcc 0
		.amdhsa_reserve_flat_scratch 0
		.amdhsa_float_round_mode_32 0
		.amdhsa_float_round_mode_16_64 0
		.amdhsa_float_denorm_mode_32 3
		.amdhsa_float_denorm_mode_16_64 3
		.amdhsa_dx10_clamp 1
		.amdhsa_ieee_mode 1
		.amdhsa_fp16_overflow 0
		.amdhsa_workgroup_processor_mode 1
		.amdhsa_memory_ordered 1
		.amdhsa_forward_progress 1
		.amdhsa_shared_vgpr_count 0
		.amdhsa_exception_fp_ieee_invalid_op 0
		.amdhsa_exception_fp_denorm_src 0
		.amdhsa_exception_fp_ieee_div_zero 0
		.amdhsa_exception_fp_ieee_overflow 0
		.amdhsa_exception_fp_ieee_underflow 0
		.amdhsa_exception_fp_ieee_inexact 0
		.amdhsa_exception_int_div_zero 0
	.end_amdhsa_kernel
	.section	.text._ZN7rocprim17ROCPRIM_400000_NS6detail17trampoline_kernelINS0_13select_configILj256ELj13ELNS0_17block_load_methodE3ELS4_3ELS4_3ELNS0_20block_scan_algorithmE0ELj4294967295EEENS1_25partition_config_selectorILNS1_17partition_subalgoE4EjNS0_10empty_typeEbEEZZNS1_14partition_implILS8_4ELb0ES6_15HIP_vector_typeIjLj2EENS0_17counting_iteratorIjlEEPS9_SG_NS0_5tupleIJPjSI_NS0_16reverse_iteratorISI_EEEEENSH_IJSG_SG_SG_EEES9_SI_JZNS1_25segmented_radix_sort_implINS0_14default_configELb0EPKdPdPKlPlN2at6native12_GLOBAL__N_18offset_tEEE10hipError_tPvRmT1_PNSt15iterator_traitsIS12_E10value_typeET2_T3_PNS13_IS18_E10value_typeET4_jRbjT5_S1E_jjP12ihipStream_tbEUljE_ZNSN_ISO_Lb0ESQ_SR_ST_SU_SY_EESZ_S10_S11_S12_S16_S17_S18_S1B_S1C_jS1D_jS1E_S1E_jjS1G_bEUljE0_EEESZ_S10_S11_S18_S1C_S1E_T6_T7_T9_mT8_S1G_bDpT10_ENKUlT_T0_E_clISt17integral_constantIbLb1EES1T_IbLb0EEEEDaS1P_S1Q_EUlS1P_E_NS1_11comp_targetILNS1_3genE0ELNS1_11target_archE4294967295ELNS1_3gpuE0ELNS1_3repE0EEENS1_30default_config_static_selectorELNS0_4arch9wavefront6targetE0EEEvS12_,"axG",@progbits,_ZN7rocprim17ROCPRIM_400000_NS6detail17trampoline_kernelINS0_13select_configILj256ELj13ELNS0_17block_load_methodE3ELS4_3ELS4_3ELNS0_20block_scan_algorithmE0ELj4294967295EEENS1_25partition_config_selectorILNS1_17partition_subalgoE4EjNS0_10empty_typeEbEEZZNS1_14partition_implILS8_4ELb0ES6_15HIP_vector_typeIjLj2EENS0_17counting_iteratorIjlEEPS9_SG_NS0_5tupleIJPjSI_NS0_16reverse_iteratorISI_EEEEENSH_IJSG_SG_SG_EEES9_SI_JZNS1_25segmented_radix_sort_implINS0_14default_configELb0EPKdPdPKlPlN2at6native12_GLOBAL__N_18offset_tEEE10hipError_tPvRmT1_PNSt15iterator_traitsIS12_E10value_typeET2_T3_PNS13_IS18_E10value_typeET4_jRbjT5_S1E_jjP12ihipStream_tbEUljE_ZNSN_ISO_Lb0ESQ_SR_ST_SU_SY_EESZ_S10_S11_S12_S16_S17_S18_S1B_S1C_jS1D_jS1E_S1E_jjS1G_bEUljE0_EEESZ_S10_S11_S18_S1C_S1E_T6_T7_T9_mT8_S1G_bDpT10_ENKUlT_T0_E_clISt17integral_constantIbLb1EES1T_IbLb0EEEEDaS1P_S1Q_EUlS1P_E_NS1_11comp_targetILNS1_3genE0ELNS1_11target_archE4294967295ELNS1_3gpuE0ELNS1_3repE0EEENS1_30default_config_static_selectorELNS0_4arch9wavefront6targetE0EEEvS12_,comdat
.Lfunc_end1165:
	.size	_ZN7rocprim17ROCPRIM_400000_NS6detail17trampoline_kernelINS0_13select_configILj256ELj13ELNS0_17block_load_methodE3ELS4_3ELS4_3ELNS0_20block_scan_algorithmE0ELj4294967295EEENS1_25partition_config_selectorILNS1_17partition_subalgoE4EjNS0_10empty_typeEbEEZZNS1_14partition_implILS8_4ELb0ES6_15HIP_vector_typeIjLj2EENS0_17counting_iteratorIjlEEPS9_SG_NS0_5tupleIJPjSI_NS0_16reverse_iteratorISI_EEEEENSH_IJSG_SG_SG_EEES9_SI_JZNS1_25segmented_radix_sort_implINS0_14default_configELb0EPKdPdPKlPlN2at6native12_GLOBAL__N_18offset_tEEE10hipError_tPvRmT1_PNSt15iterator_traitsIS12_E10value_typeET2_T3_PNS13_IS18_E10value_typeET4_jRbjT5_S1E_jjP12ihipStream_tbEUljE_ZNSN_ISO_Lb0ESQ_SR_ST_SU_SY_EESZ_S10_S11_S12_S16_S17_S18_S1B_S1C_jS1D_jS1E_S1E_jjS1G_bEUljE0_EEESZ_S10_S11_S18_S1C_S1E_T6_T7_T9_mT8_S1G_bDpT10_ENKUlT_T0_E_clISt17integral_constantIbLb1EES1T_IbLb0EEEEDaS1P_S1Q_EUlS1P_E_NS1_11comp_targetILNS1_3genE0ELNS1_11target_archE4294967295ELNS1_3gpuE0ELNS1_3repE0EEENS1_30default_config_static_selectorELNS0_4arch9wavefront6targetE0EEEvS12_, .Lfunc_end1165-_ZN7rocprim17ROCPRIM_400000_NS6detail17trampoline_kernelINS0_13select_configILj256ELj13ELNS0_17block_load_methodE3ELS4_3ELS4_3ELNS0_20block_scan_algorithmE0ELj4294967295EEENS1_25partition_config_selectorILNS1_17partition_subalgoE4EjNS0_10empty_typeEbEEZZNS1_14partition_implILS8_4ELb0ES6_15HIP_vector_typeIjLj2EENS0_17counting_iteratorIjlEEPS9_SG_NS0_5tupleIJPjSI_NS0_16reverse_iteratorISI_EEEEENSH_IJSG_SG_SG_EEES9_SI_JZNS1_25segmented_radix_sort_implINS0_14default_configELb0EPKdPdPKlPlN2at6native12_GLOBAL__N_18offset_tEEE10hipError_tPvRmT1_PNSt15iterator_traitsIS12_E10value_typeET2_T3_PNS13_IS18_E10value_typeET4_jRbjT5_S1E_jjP12ihipStream_tbEUljE_ZNSN_ISO_Lb0ESQ_SR_ST_SU_SY_EESZ_S10_S11_S12_S16_S17_S18_S1B_S1C_jS1D_jS1E_S1E_jjS1G_bEUljE0_EEESZ_S10_S11_S18_S1C_S1E_T6_T7_T9_mT8_S1G_bDpT10_ENKUlT_T0_E_clISt17integral_constantIbLb1EES1T_IbLb0EEEEDaS1P_S1Q_EUlS1P_E_NS1_11comp_targetILNS1_3genE0ELNS1_11target_archE4294967295ELNS1_3gpuE0ELNS1_3repE0EEENS1_30default_config_static_selectorELNS0_4arch9wavefront6targetE0EEEvS12_
                                        ; -- End function
	.set _ZN7rocprim17ROCPRIM_400000_NS6detail17trampoline_kernelINS0_13select_configILj256ELj13ELNS0_17block_load_methodE3ELS4_3ELS4_3ELNS0_20block_scan_algorithmE0ELj4294967295EEENS1_25partition_config_selectorILNS1_17partition_subalgoE4EjNS0_10empty_typeEbEEZZNS1_14partition_implILS8_4ELb0ES6_15HIP_vector_typeIjLj2EENS0_17counting_iteratorIjlEEPS9_SG_NS0_5tupleIJPjSI_NS0_16reverse_iteratorISI_EEEEENSH_IJSG_SG_SG_EEES9_SI_JZNS1_25segmented_radix_sort_implINS0_14default_configELb0EPKdPdPKlPlN2at6native12_GLOBAL__N_18offset_tEEE10hipError_tPvRmT1_PNSt15iterator_traitsIS12_E10value_typeET2_T3_PNS13_IS18_E10value_typeET4_jRbjT5_S1E_jjP12ihipStream_tbEUljE_ZNSN_ISO_Lb0ESQ_SR_ST_SU_SY_EESZ_S10_S11_S12_S16_S17_S18_S1B_S1C_jS1D_jS1E_S1E_jjS1G_bEUljE0_EEESZ_S10_S11_S18_S1C_S1E_T6_T7_T9_mT8_S1G_bDpT10_ENKUlT_T0_E_clISt17integral_constantIbLb1EES1T_IbLb0EEEEDaS1P_S1Q_EUlS1P_E_NS1_11comp_targetILNS1_3genE0ELNS1_11target_archE4294967295ELNS1_3gpuE0ELNS1_3repE0EEENS1_30default_config_static_selectorELNS0_4arch9wavefront6targetE0EEEvS12_.num_vgpr, 0
	.set _ZN7rocprim17ROCPRIM_400000_NS6detail17trampoline_kernelINS0_13select_configILj256ELj13ELNS0_17block_load_methodE3ELS4_3ELS4_3ELNS0_20block_scan_algorithmE0ELj4294967295EEENS1_25partition_config_selectorILNS1_17partition_subalgoE4EjNS0_10empty_typeEbEEZZNS1_14partition_implILS8_4ELb0ES6_15HIP_vector_typeIjLj2EENS0_17counting_iteratorIjlEEPS9_SG_NS0_5tupleIJPjSI_NS0_16reverse_iteratorISI_EEEEENSH_IJSG_SG_SG_EEES9_SI_JZNS1_25segmented_radix_sort_implINS0_14default_configELb0EPKdPdPKlPlN2at6native12_GLOBAL__N_18offset_tEEE10hipError_tPvRmT1_PNSt15iterator_traitsIS12_E10value_typeET2_T3_PNS13_IS18_E10value_typeET4_jRbjT5_S1E_jjP12ihipStream_tbEUljE_ZNSN_ISO_Lb0ESQ_SR_ST_SU_SY_EESZ_S10_S11_S12_S16_S17_S18_S1B_S1C_jS1D_jS1E_S1E_jjS1G_bEUljE0_EEESZ_S10_S11_S18_S1C_S1E_T6_T7_T9_mT8_S1G_bDpT10_ENKUlT_T0_E_clISt17integral_constantIbLb1EES1T_IbLb0EEEEDaS1P_S1Q_EUlS1P_E_NS1_11comp_targetILNS1_3genE0ELNS1_11target_archE4294967295ELNS1_3gpuE0ELNS1_3repE0EEENS1_30default_config_static_selectorELNS0_4arch9wavefront6targetE0EEEvS12_.num_agpr, 0
	.set _ZN7rocprim17ROCPRIM_400000_NS6detail17trampoline_kernelINS0_13select_configILj256ELj13ELNS0_17block_load_methodE3ELS4_3ELS4_3ELNS0_20block_scan_algorithmE0ELj4294967295EEENS1_25partition_config_selectorILNS1_17partition_subalgoE4EjNS0_10empty_typeEbEEZZNS1_14partition_implILS8_4ELb0ES6_15HIP_vector_typeIjLj2EENS0_17counting_iteratorIjlEEPS9_SG_NS0_5tupleIJPjSI_NS0_16reverse_iteratorISI_EEEEENSH_IJSG_SG_SG_EEES9_SI_JZNS1_25segmented_radix_sort_implINS0_14default_configELb0EPKdPdPKlPlN2at6native12_GLOBAL__N_18offset_tEEE10hipError_tPvRmT1_PNSt15iterator_traitsIS12_E10value_typeET2_T3_PNS13_IS18_E10value_typeET4_jRbjT5_S1E_jjP12ihipStream_tbEUljE_ZNSN_ISO_Lb0ESQ_SR_ST_SU_SY_EESZ_S10_S11_S12_S16_S17_S18_S1B_S1C_jS1D_jS1E_S1E_jjS1G_bEUljE0_EEESZ_S10_S11_S18_S1C_S1E_T6_T7_T9_mT8_S1G_bDpT10_ENKUlT_T0_E_clISt17integral_constantIbLb1EES1T_IbLb0EEEEDaS1P_S1Q_EUlS1P_E_NS1_11comp_targetILNS1_3genE0ELNS1_11target_archE4294967295ELNS1_3gpuE0ELNS1_3repE0EEENS1_30default_config_static_selectorELNS0_4arch9wavefront6targetE0EEEvS12_.numbered_sgpr, 0
	.set _ZN7rocprim17ROCPRIM_400000_NS6detail17trampoline_kernelINS0_13select_configILj256ELj13ELNS0_17block_load_methodE3ELS4_3ELS4_3ELNS0_20block_scan_algorithmE0ELj4294967295EEENS1_25partition_config_selectorILNS1_17partition_subalgoE4EjNS0_10empty_typeEbEEZZNS1_14partition_implILS8_4ELb0ES6_15HIP_vector_typeIjLj2EENS0_17counting_iteratorIjlEEPS9_SG_NS0_5tupleIJPjSI_NS0_16reverse_iteratorISI_EEEEENSH_IJSG_SG_SG_EEES9_SI_JZNS1_25segmented_radix_sort_implINS0_14default_configELb0EPKdPdPKlPlN2at6native12_GLOBAL__N_18offset_tEEE10hipError_tPvRmT1_PNSt15iterator_traitsIS12_E10value_typeET2_T3_PNS13_IS18_E10value_typeET4_jRbjT5_S1E_jjP12ihipStream_tbEUljE_ZNSN_ISO_Lb0ESQ_SR_ST_SU_SY_EESZ_S10_S11_S12_S16_S17_S18_S1B_S1C_jS1D_jS1E_S1E_jjS1G_bEUljE0_EEESZ_S10_S11_S18_S1C_S1E_T6_T7_T9_mT8_S1G_bDpT10_ENKUlT_T0_E_clISt17integral_constantIbLb1EES1T_IbLb0EEEEDaS1P_S1Q_EUlS1P_E_NS1_11comp_targetILNS1_3genE0ELNS1_11target_archE4294967295ELNS1_3gpuE0ELNS1_3repE0EEENS1_30default_config_static_selectorELNS0_4arch9wavefront6targetE0EEEvS12_.num_named_barrier, 0
	.set _ZN7rocprim17ROCPRIM_400000_NS6detail17trampoline_kernelINS0_13select_configILj256ELj13ELNS0_17block_load_methodE3ELS4_3ELS4_3ELNS0_20block_scan_algorithmE0ELj4294967295EEENS1_25partition_config_selectorILNS1_17partition_subalgoE4EjNS0_10empty_typeEbEEZZNS1_14partition_implILS8_4ELb0ES6_15HIP_vector_typeIjLj2EENS0_17counting_iteratorIjlEEPS9_SG_NS0_5tupleIJPjSI_NS0_16reverse_iteratorISI_EEEEENSH_IJSG_SG_SG_EEES9_SI_JZNS1_25segmented_radix_sort_implINS0_14default_configELb0EPKdPdPKlPlN2at6native12_GLOBAL__N_18offset_tEEE10hipError_tPvRmT1_PNSt15iterator_traitsIS12_E10value_typeET2_T3_PNS13_IS18_E10value_typeET4_jRbjT5_S1E_jjP12ihipStream_tbEUljE_ZNSN_ISO_Lb0ESQ_SR_ST_SU_SY_EESZ_S10_S11_S12_S16_S17_S18_S1B_S1C_jS1D_jS1E_S1E_jjS1G_bEUljE0_EEESZ_S10_S11_S18_S1C_S1E_T6_T7_T9_mT8_S1G_bDpT10_ENKUlT_T0_E_clISt17integral_constantIbLb1EES1T_IbLb0EEEEDaS1P_S1Q_EUlS1P_E_NS1_11comp_targetILNS1_3genE0ELNS1_11target_archE4294967295ELNS1_3gpuE0ELNS1_3repE0EEENS1_30default_config_static_selectorELNS0_4arch9wavefront6targetE0EEEvS12_.private_seg_size, 0
	.set _ZN7rocprim17ROCPRIM_400000_NS6detail17trampoline_kernelINS0_13select_configILj256ELj13ELNS0_17block_load_methodE3ELS4_3ELS4_3ELNS0_20block_scan_algorithmE0ELj4294967295EEENS1_25partition_config_selectorILNS1_17partition_subalgoE4EjNS0_10empty_typeEbEEZZNS1_14partition_implILS8_4ELb0ES6_15HIP_vector_typeIjLj2EENS0_17counting_iteratorIjlEEPS9_SG_NS0_5tupleIJPjSI_NS0_16reverse_iteratorISI_EEEEENSH_IJSG_SG_SG_EEES9_SI_JZNS1_25segmented_radix_sort_implINS0_14default_configELb0EPKdPdPKlPlN2at6native12_GLOBAL__N_18offset_tEEE10hipError_tPvRmT1_PNSt15iterator_traitsIS12_E10value_typeET2_T3_PNS13_IS18_E10value_typeET4_jRbjT5_S1E_jjP12ihipStream_tbEUljE_ZNSN_ISO_Lb0ESQ_SR_ST_SU_SY_EESZ_S10_S11_S12_S16_S17_S18_S1B_S1C_jS1D_jS1E_S1E_jjS1G_bEUljE0_EEESZ_S10_S11_S18_S1C_S1E_T6_T7_T9_mT8_S1G_bDpT10_ENKUlT_T0_E_clISt17integral_constantIbLb1EES1T_IbLb0EEEEDaS1P_S1Q_EUlS1P_E_NS1_11comp_targetILNS1_3genE0ELNS1_11target_archE4294967295ELNS1_3gpuE0ELNS1_3repE0EEENS1_30default_config_static_selectorELNS0_4arch9wavefront6targetE0EEEvS12_.uses_vcc, 0
	.set _ZN7rocprim17ROCPRIM_400000_NS6detail17trampoline_kernelINS0_13select_configILj256ELj13ELNS0_17block_load_methodE3ELS4_3ELS4_3ELNS0_20block_scan_algorithmE0ELj4294967295EEENS1_25partition_config_selectorILNS1_17partition_subalgoE4EjNS0_10empty_typeEbEEZZNS1_14partition_implILS8_4ELb0ES6_15HIP_vector_typeIjLj2EENS0_17counting_iteratorIjlEEPS9_SG_NS0_5tupleIJPjSI_NS0_16reverse_iteratorISI_EEEEENSH_IJSG_SG_SG_EEES9_SI_JZNS1_25segmented_radix_sort_implINS0_14default_configELb0EPKdPdPKlPlN2at6native12_GLOBAL__N_18offset_tEEE10hipError_tPvRmT1_PNSt15iterator_traitsIS12_E10value_typeET2_T3_PNS13_IS18_E10value_typeET4_jRbjT5_S1E_jjP12ihipStream_tbEUljE_ZNSN_ISO_Lb0ESQ_SR_ST_SU_SY_EESZ_S10_S11_S12_S16_S17_S18_S1B_S1C_jS1D_jS1E_S1E_jjS1G_bEUljE0_EEESZ_S10_S11_S18_S1C_S1E_T6_T7_T9_mT8_S1G_bDpT10_ENKUlT_T0_E_clISt17integral_constantIbLb1EES1T_IbLb0EEEEDaS1P_S1Q_EUlS1P_E_NS1_11comp_targetILNS1_3genE0ELNS1_11target_archE4294967295ELNS1_3gpuE0ELNS1_3repE0EEENS1_30default_config_static_selectorELNS0_4arch9wavefront6targetE0EEEvS12_.uses_flat_scratch, 0
	.set _ZN7rocprim17ROCPRIM_400000_NS6detail17trampoline_kernelINS0_13select_configILj256ELj13ELNS0_17block_load_methodE3ELS4_3ELS4_3ELNS0_20block_scan_algorithmE0ELj4294967295EEENS1_25partition_config_selectorILNS1_17partition_subalgoE4EjNS0_10empty_typeEbEEZZNS1_14partition_implILS8_4ELb0ES6_15HIP_vector_typeIjLj2EENS0_17counting_iteratorIjlEEPS9_SG_NS0_5tupleIJPjSI_NS0_16reverse_iteratorISI_EEEEENSH_IJSG_SG_SG_EEES9_SI_JZNS1_25segmented_radix_sort_implINS0_14default_configELb0EPKdPdPKlPlN2at6native12_GLOBAL__N_18offset_tEEE10hipError_tPvRmT1_PNSt15iterator_traitsIS12_E10value_typeET2_T3_PNS13_IS18_E10value_typeET4_jRbjT5_S1E_jjP12ihipStream_tbEUljE_ZNSN_ISO_Lb0ESQ_SR_ST_SU_SY_EESZ_S10_S11_S12_S16_S17_S18_S1B_S1C_jS1D_jS1E_S1E_jjS1G_bEUljE0_EEESZ_S10_S11_S18_S1C_S1E_T6_T7_T9_mT8_S1G_bDpT10_ENKUlT_T0_E_clISt17integral_constantIbLb1EES1T_IbLb0EEEEDaS1P_S1Q_EUlS1P_E_NS1_11comp_targetILNS1_3genE0ELNS1_11target_archE4294967295ELNS1_3gpuE0ELNS1_3repE0EEENS1_30default_config_static_selectorELNS0_4arch9wavefront6targetE0EEEvS12_.has_dyn_sized_stack, 0
	.set _ZN7rocprim17ROCPRIM_400000_NS6detail17trampoline_kernelINS0_13select_configILj256ELj13ELNS0_17block_load_methodE3ELS4_3ELS4_3ELNS0_20block_scan_algorithmE0ELj4294967295EEENS1_25partition_config_selectorILNS1_17partition_subalgoE4EjNS0_10empty_typeEbEEZZNS1_14partition_implILS8_4ELb0ES6_15HIP_vector_typeIjLj2EENS0_17counting_iteratorIjlEEPS9_SG_NS0_5tupleIJPjSI_NS0_16reverse_iteratorISI_EEEEENSH_IJSG_SG_SG_EEES9_SI_JZNS1_25segmented_radix_sort_implINS0_14default_configELb0EPKdPdPKlPlN2at6native12_GLOBAL__N_18offset_tEEE10hipError_tPvRmT1_PNSt15iterator_traitsIS12_E10value_typeET2_T3_PNS13_IS18_E10value_typeET4_jRbjT5_S1E_jjP12ihipStream_tbEUljE_ZNSN_ISO_Lb0ESQ_SR_ST_SU_SY_EESZ_S10_S11_S12_S16_S17_S18_S1B_S1C_jS1D_jS1E_S1E_jjS1G_bEUljE0_EEESZ_S10_S11_S18_S1C_S1E_T6_T7_T9_mT8_S1G_bDpT10_ENKUlT_T0_E_clISt17integral_constantIbLb1EES1T_IbLb0EEEEDaS1P_S1Q_EUlS1P_E_NS1_11comp_targetILNS1_3genE0ELNS1_11target_archE4294967295ELNS1_3gpuE0ELNS1_3repE0EEENS1_30default_config_static_selectorELNS0_4arch9wavefront6targetE0EEEvS12_.has_recursion, 0
	.set _ZN7rocprim17ROCPRIM_400000_NS6detail17trampoline_kernelINS0_13select_configILj256ELj13ELNS0_17block_load_methodE3ELS4_3ELS4_3ELNS0_20block_scan_algorithmE0ELj4294967295EEENS1_25partition_config_selectorILNS1_17partition_subalgoE4EjNS0_10empty_typeEbEEZZNS1_14partition_implILS8_4ELb0ES6_15HIP_vector_typeIjLj2EENS0_17counting_iteratorIjlEEPS9_SG_NS0_5tupleIJPjSI_NS0_16reverse_iteratorISI_EEEEENSH_IJSG_SG_SG_EEES9_SI_JZNS1_25segmented_radix_sort_implINS0_14default_configELb0EPKdPdPKlPlN2at6native12_GLOBAL__N_18offset_tEEE10hipError_tPvRmT1_PNSt15iterator_traitsIS12_E10value_typeET2_T3_PNS13_IS18_E10value_typeET4_jRbjT5_S1E_jjP12ihipStream_tbEUljE_ZNSN_ISO_Lb0ESQ_SR_ST_SU_SY_EESZ_S10_S11_S12_S16_S17_S18_S1B_S1C_jS1D_jS1E_S1E_jjS1G_bEUljE0_EEESZ_S10_S11_S18_S1C_S1E_T6_T7_T9_mT8_S1G_bDpT10_ENKUlT_T0_E_clISt17integral_constantIbLb1EES1T_IbLb0EEEEDaS1P_S1Q_EUlS1P_E_NS1_11comp_targetILNS1_3genE0ELNS1_11target_archE4294967295ELNS1_3gpuE0ELNS1_3repE0EEENS1_30default_config_static_selectorELNS0_4arch9wavefront6targetE0EEEvS12_.has_indirect_call, 0
	.section	.AMDGPU.csdata,"",@progbits
; Kernel info:
; codeLenInByte = 0
; TotalNumSgprs: 0
; NumVgprs: 0
; ScratchSize: 0
; MemoryBound: 0
; FloatMode: 240
; IeeeMode: 1
; LDSByteSize: 0 bytes/workgroup (compile time only)
; SGPRBlocks: 0
; VGPRBlocks: 0
; NumSGPRsForWavesPerEU: 1
; NumVGPRsForWavesPerEU: 1
; Occupancy: 16
; WaveLimiterHint : 0
; COMPUTE_PGM_RSRC2:SCRATCH_EN: 0
; COMPUTE_PGM_RSRC2:USER_SGPR: 6
; COMPUTE_PGM_RSRC2:TRAP_HANDLER: 0
; COMPUTE_PGM_RSRC2:TGID_X_EN: 1
; COMPUTE_PGM_RSRC2:TGID_Y_EN: 0
; COMPUTE_PGM_RSRC2:TGID_Z_EN: 0
; COMPUTE_PGM_RSRC2:TIDIG_COMP_CNT: 0
	.section	.text._ZN7rocprim17ROCPRIM_400000_NS6detail17trampoline_kernelINS0_13select_configILj256ELj13ELNS0_17block_load_methodE3ELS4_3ELS4_3ELNS0_20block_scan_algorithmE0ELj4294967295EEENS1_25partition_config_selectorILNS1_17partition_subalgoE4EjNS0_10empty_typeEbEEZZNS1_14partition_implILS8_4ELb0ES6_15HIP_vector_typeIjLj2EENS0_17counting_iteratorIjlEEPS9_SG_NS0_5tupleIJPjSI_NS0_16reverse_iteratorISI_EEEEENSH_IJSG_SG_SG_EEES9_SI_JZNS1_25segmented_radix_sort_implINS0_14default_configELb0EPKdPdPKlPlN2at6native12_GLOBAL__N_18offset_tEEE10hipError_tPvRmT1_PNSt15iterator_traitsIS12_E10value_typeET2_T3_PNS13_IS18_E10value_typeET4_jRbjT5_S1E_jjP12ihipStream_tbEUljE_ZNSN_ISO_Lb0ESQ_SR_ST_SU_SY_EESZ_S10_S11_S12_S16_S17_S18_S1B_S1C_jS1D_jS1E_S1E_jjS1G_bEUljE0_EEESZ_S10_S11_S18_S1C_S1E_T6_T7_T9_mT8_S1G_bDpT10_ENKUlT_T0_E_clISt17integral_constantIbLb1EES1T_IbLb0EEEEDaS1P_S1Q_EUlS1P_E_NS1_11comp_targetILNS1_3genE5ELNS1_11target_archE942ELNS1_3gpuE9ELNS1_3repE0EEENS1_30default_config_static_selectorELNS0_4arch9wavefront6targetE0EEEvS12_,"axG",@progbits,_ZN7rocprim17ROCPRIM_400000_NS6detail17trampoline_kernelINS0_13select_configILj256ELj13ELNS0_17block_load_methodE3ELS4_3ELS4_3ELNS0_20block_scan_algorithmE0ELj4294967295EEENS1_25partition_config_selectorILNS1_17partition_subalgoE4EjNS0_10empty_typeEbEEZZNS1_14partition_implILS8_4ELb0ES6_15HIP_vector_typeIjLj2EENS0_17counting_iteratorIjlEEPS9_SG_NS0_5tupleIJPjSI_NS0_16reverse_iteratorISI_EEEEENSH_IJSG_SG_SG_EEES9_SI_JZNS1_25segmented_radix_sort_implINS0_14default_configELb0EPKdPdPKlPlN2at6native12_GLOBAL__N_18offset_tEEE10hipError_tPvRmT1_PNSt15iterator_traitsIS12_E10value_typeET2_T3_PNS13_IS18_E10value_typeET4_jRbjT5_S1E_jjP12ihipStream_tbEUljE_ZNSN_ISO_Lb0ESQ_SR_ST_SU_SY_EESZ_S10_S11_S12_S16_S17_S18_S1B_S1C_jS1D_jS1E_S1E_jjS1G_bEUljE0_EEESZ_S10_S11_S18_S1C_S1E_T6_T7_T9_mT8_S1G_bDpT10_ENKUlT_T0_E_clISt17integral_constantIbLb1EES1T_IbLb0EEEEDaS1P_S1Q_EUlS1P_E_NS1_11comp_targetILNS1_3genE5ELNS1_11target_archE942ELNS1_3gpuE9ELNS1_3repE0EEENS1_30default_config_static_selectorELNS0_4arch9wavefront6targetE0EEEvS12_,comdat
	.globl	_ZN7rocprim17ROCPRIM_400000_NS6detail17trampoline_kernelINS0_13select_configILj256ELj13ELNS0_17block_load_methodE3ELS4_3ELS4_3ELNS0_20block_scan_algorithmE0ELj4294967295EEENS1_25partition_config_selectorILNS1_17partition_subalgoE4EjNS0_10empty_typeEbEEZZNS1_14partition_implILS8_4ELb0ES6_15HIP_vector_typeIjLj2EENS0_17counting_iteratorIjlEEPS9_SG_NS0_5tupleIJPjSI_NS0_16reverse_iteratorISI_EEEEENSH_IJSG_SG_SG_EEES9_SI_JZNS1_25segmented_radix_sort_implINS0_14default_configELb0EPKdPdPKlPlN2at6native12_GLOBAL__N_18offset_tEEE10hipError_tPvRmT1_PNSt15iterator_traitsIS12_E10value_typeET2_T3_PNS13_IS18_E10value_typeET4_jRbjT5_S1E_jjP12ihipStream_tbEUljE_ZNSN_ISO_Lb0ESQ_SR_ST_SU_SY_EESZ_S10_S11_S12_S16_S17_S18_S1B_S1C_jS1D_jS1E_S1E_jjS1G_bEUljE0_EEESZ_S10_S11_S18_S1C_S1E_T6_T7_T9_mT8_S1G_bDpT10_ENKUlT_T0_E_clISt17integral_constantIbLb1EES1T_IbLb0EEEEDaS1P_S1Q_EUlS1P_E_NS1_11comp_targetILNS1_3genE5ELNS1_11target_archE942ELNS1_3gpuE9ELNS1_3repE0EEENS1_30default_config_static_selectorELNS0_4arch9wavefront6targetE0EEEvS12_ ; -- Begin function _ZN7rocprim17ROCPRIM_400000_NS6detail17trampoline_kernelINS0_13select_configILj256ELj13ELNS0_17block_load_methodE3ELS4_3ELS4_3ELNS0_20block_scan_algorithmE0ELj4294967295EEENS1_25partition_config_selectorILNS1_17partition_subalgoE4EjNS0_10empty_typeEbEEZZNS1_14partition_implILS8_4ELb0ES6_15HIP_vector_typeIjLj2EENS0_17counting_iteratorIjlEEPS9_SG_NS0_5tupleIJPjSI_NS0_16reverse_iteratorISI_EEEEENSH_IJSG_SG_SG_EEES9_SI_JZNS1_25segmented_radix_sort_implINS0_14default_configELb0EPKdPdPKlPlN2at6native12_GLOBAL__N_18offset_tEEE10hipError_tPvRmT1_PNSt15iterator_traitsIS12_E10value_typeET2_T3_PNS13_IS18_E10value_typeET4_jRbjT5_S1E_jjP12ihipStream_tbEUljE_ZNSN_ISO_Lb0ESQ_SR_ST_SU_SY_EESZ_S10_S11_S12_S16_S17_S18_S1B_S1C_jS1D_jS1E_S1E_jjS1G_bEUljE0_EEESZ_S10_S11_S18_S1C_S1E_T6_T7_T9_mT8_S1G_bDpT10_ENKUlT_T0_E_clISt17integral_constantIbLb1EES1T_IbLb0EEEEDaS1P_S1Q_EUlS1P_E_NS1_11comp_targetILNS1_3genE5ELNS1_11target_archE942ELNS1_3gpuE9ELNS1_3repE0EEENS1_30default_config_static_selectorELNS0_4arch9wavefront6targetE0EEEvS12_
	.p2align	8
	.type	_ZN7rocprim17ROCPRIM_400000_NS6detail17trampoline_kernelINS0_13select_configILj256ELj13ELNS0_17block_load_methodE3ELS4_3ELS4_3ELNS0_20block_scan_algorithmE0ELj4294967295EEENS1_25partition_config_selectorILNS1_17partition_subalgoE4EjNS0_10empty_typeEbEEZZNS1_14partition_implILS8_4ELb0ES6_15HIP_vector_typeIjLj2EENS0_17counting_iteratorIjlEEPS9_SG_NS0_5tupleIJPjSI_NS0_16reverse_iteratorISI_EEEEENSH_IJSG_SG_SG_EEES9_SI_JZNS1_25segmented_radix_sort_implINS0_14default_configELb0EPKdPdPKlPlN2at6native12_GLOBAL__N_18offset_tEEE10hipError_tPvRmT1_PNSt15iterator_traitsIS12_E10value_typeET2_T3_PNS13_IS18_E10value_typeET4_jRbjT5_S1E_jjP12ihipStream_tbEUljE_ZNSN_ISO_Lb0ESQ_SR_ST_SU_SY_EESZ_S10_S11_S12_S16_S17_S18_S1B_S1C_jS1D_jS1E_S1E_jjS1G_bEUljE0_EEESZ_S10_S11_S18_S1C_S1E_T6_T7_T9_mT8_S1G_bDpT10_ENKUlT_T0_E_clISt17integral_constantIbLb1EES1T_IbLb0EEEEDaS1P_S1Q_EUlS1P_E_NS1_11comp_targetILNS1_3genE5ELNS1_11target_archE942ELNS1_3gpuE9ELNS1_3repE0EEENS1_30default_config_static_selectorELNS0_4arch9wavefront6targetE0EEEvS12_,@function
_ZN7rocprim17ROCPRIM_400000_NS6detail17trampoline_kernelINS0_13select_configILj256ELj13ELNS0_17block_load_methodE3ELS4_3ELS4_3ELNS0_20block_scan_algorithmE0ELj4294967295EEENS1_25partition_config_selectorILNS1_17partition_subalgoE4EjNS0_10empty_typeEbEEZZNS1_14partition_implILS8_4ELb0ES6_15HIP_vector_typeIjLj2EENS0_17counting_iteratorIjlEEPS9_SG_NS0_5tupleIJPjSI_NS0_16reverse_iteratorISI_EEEEENSH_IJSG_SG_SG_EEES9_SI_JZNS1_25segmented_radix_sort_implINS0_14default_configELb0EPKdPdPKlPlN2at6native12_GLOBAL__N_18offset_tEEE10hipError_tPvRmT1_PNSt15iterator_traitsIS12_E10value_typeET2_T3_PNS13_IS18_E10value_typeET4_jRbjT5_S1E_jjP12ihipStream_tbEUljE_ZNSN_ISO_Lb0ESQ_SR_ST_SU_SY_EESZ_S10_S11_S12_S16_S17_S18_S1B_S1C_jS1D_jS1E_S1E_jjS1G_bEUljE0_EEESZ_S10_S11_S18_S1C_S1E_T6_T7_T9_mT8_S1G_bDpT10_ENKUlT_T0_E_clISt17integral_constantIbLb1EES1T_IbLb0EEEEDaS1P_S1Q_EUlS1P_E_NS1_11comp_targetILNS1_3genE5ELNS1_11target_archE942ELNS1_3gpuE9ELNS1_3repE0EEENS1_30default_config_static_selectorELNS0_4arch9wavefront6targetE0EEEvS12_: ; @_ZN7rocprim17ROCPRIM_400000_NS6detail17trampoline_kernelINS0_13select_configILj256ELj13ELNS0_17block_load_methodE3ELS4_3ELS4_3ELNS0_20block_scan_algorithmE0ELj4294967295EEENS1_25partition_config_selectorILNS1_17partition_subalgoE4EjNS0_10empty_typeEbEEZZNS1_14partition_implILS8_4ELb0ES6_15HIP_vector_typeIjLj2EENS0_17counting_iteratorIjlEEPS9_SG_NS0_5tupleIJPjSI_NS0_16reverse_iteratorISI_EEEEENSH_IJSG_SG_SG_EEES9_SI_JZNS1_25segmented_radix_sort_implINS0_14default_configELb0EPKdPdPKlPlN2at6native12_GLOBAL__N_18offset_tEEE10hipError_tPvRmT1_PNSt15iterator_traitsIS12_E10value_typeET2_T3_PNS13_IS18_E10value_typeET4_jRbjT5_S1E_jjP12ihipStream_tbEUljE_ZNSN_ISO_Lb0ESQ_SR_ST_SU_SY_EESZ_S10_S11_S12_S16_S17_S18_S1B_S1C_jS1D_jS1E_S1E_jjS1G_bEUljE0_EEESZ_S10_S11_S18_S1C_S1E_T6_T7_T9_mT8_S1G_bDpT10_ENKUlT_T0_E_clISt17integral_constantIbLb1EES1T_IbLb0EEEEDaS1P_S1Q_EUlS1P_E_NS1_11comp_targetILNS1_3genE5ELNS1_11target_archE942ELNS1_3gpuE9ELNS1_3repE0EEENS1_30default_config_static_selectorELNS0_4arch9wavefront6targetE0EEEvS12_
; %bb.0:
	.section	.rodata,"a",@progbits
	.p2align	6, 0x0
	.amdhsa_kernel _ZN7rocprim17ROCPRIM_400000_NS6detail17trampoline_kernelINS0_13select_configILj256ELj13ELNS0_17block_load_methodE3ELS4_3ELS4_3ELNS0_20block_scan_algorithmE0ELj4294967295EEENS1_25partition_config_selectorILNS1_17partition_subalgoE4EjNS0_10empty_typeEbEEZZNS1_14partition_implILS8_4ELb0ES6_15HIP_vector_typeIjLj2EENS0_17counting_iteratorIjlEEPS9_SG_NS0_5tupleIJPjSI_NS0_16reverse_iteratorISI_EEEEENSH_IJSG_SG_SG_EEES9_SI_JZNS1_25segmented_radix_sort_implINS0_14default_configELb0EPKdPdPKlPlN2at6native12_GLOBAL__N_18offset_tEEE10hipError_tPvRmT1_PNSt15iterator_traitsIS12_E10value_typeET2_T3_PNS13_IS18_E10value_typeET4_jRbjT5_S1E_jjP12ihipStream_tbEUljE_ZNSN_ISO_Lb0ESQ_SR_ST_SU_SY_EESZ_S10_S11_S12_S16_S17_S18_S1B_S1C_jS1D_jS1E_S1E_jjS1G_bEUljE0_EEESZ_S10_S11_S18_S1C_S1E_T6_T7_T9_mT8_S1G_bDpT10_ENKUlT_T0_E_clISt17integral_constantIbLb1EES1T_IbLb0EEEEDaS1P_S1Q_EUlS1P_E_NS1_11comp_targetILNS1_3genE5ELNS1_11target_archE942ELNS1_3gpuE9ELNS1_3repE0EEENS1_30default_config_static_selectorELNS0_4arch9wavefront6targetE0EEEvS12_
		.amdhsa_group_segment_fixed_size 0
		.amdhsa_private_segment_fixed_size 0
		.amdhsa_kernarg_size 176
		.amdhsa_user_sgpr_count 6
		.amdhsa_user_sgpr_private_segment_buffer 1
		.amdhsa_user_sgpr_dispatch_ptr 0
		.amdhsa_user_sgpr_queue_ptr 0
		.amdhsa_user_sgpr_kernarg_segment_ptr 1
		.amdhsa_user_sgpr_dispatch_id 0
		.amdhsa_user_sgpr_flat_scratch_init 0
		.amdhsa_user_sgpr_private_segment_size 0
		.amdhsa_wavefront_size32 1
		.amdhsa_uses_dynamic_stack 0
		.amdhsa_system_sgpr_private_segment_wavefront_offset 0
		.amdhsa_system_sgpr_workgroup_id_x 1
		.amdhsa_system_sgpr_workgroup_id_y 0
		.amdhsa_system_sgpr_workgroup_id_z 0
		.amdhsa_system_sgpr_workgroup_info 0
		.amdhsa_system_vgpr_workitem_id 0
		.amdhsa_next_free_vgpr 1
		.amdhsa_next_free_sgpr 1
		.amdhsa_reserve_vcc 0
		.amdhsa_reserve_flat_scratch 0
		.amdhsa_float_round_mode_32 0
		.amdhsa_float_round_mode_16_64 0
		.amdhsa_float_denorm_mode_32 3
		.amdhsa_float_denorm_mode_16_64 3
		.amdhsa_dx10_clamp 1
		.amdhsa_ieee_mode 1
		.amdhsa_fp16_overflow 0
		.amdhsa_workgroup_processor_mode 1
		.amdhsa_memory_ordered 1
		.amdhsa_forward_progress 1
		.amdhsa_shared_vgpr_count 0
		.amdhsa_exception_fp_ieee_invalid_op 0
		.amdhsa_exception_fp_denorm_src 0
		.amdhsa_exception_fp_ieee_div_zero 0
		.amdhsa_exception_fp_ieee_overflow 0
		.amdhsa_exception_fp_ieee_underflow 0
		.amdhsa_exception_fp_ieee_inexact 0
		.amdhsa_exception_int_div_zero 0
	.end_amdhsa_kernel
	.section	.text._ZN7rocprim17ROCPRIM_400000_NS6detail17trampoline_kernelINS0_13select_configILj256ELj13ELNS0_17block_load_methodE3ELS4_3ELS4_3ELNS0_20block_scan_algorithmE0ELj4294967295EEENS1_25partition_config_selectorILNS1_17partition_subalgoE4EjNS0_10empty_typeEbEEZZNS1_14partition_implILS8_4ELb0ES6_15HIP_vector_typeIjLj2EENS0_17counting_iteratorIjlEEPS9_SG_NS0_5tupleIJPjSI_NS0_16reverse_iteratorISI_EEEEENSH_IJSG_SG_SG_EEES9_SI_JZNS1_25segmented_radix_sort_implINS0_14default_configELb0EPKdPdPKlPlN2at6native12_GLOBAL__N_18offset_tEEE10hipError_tPvRmT1_PNSt15iterator_traitsIS12_E10value_typeET2_T3_PNS13_IS18_E10value_typeET4_jRbjT5_S1E_jjP12ihipStream_tbEUljE_ZNSN_ISO_Lb0ESQ_SR_ST_SU_SY_EESZ_S10_S11_S12_S16_S17_S18_S1B_S1C_jS1D_jS1E_S1E_jjS1G_bEUljE0_EEESZ_S10_S11_S18_S1C_S1E_T6_T7_T9_mT8_S1G_bDpT10_ENKUlT_T0_E_clISt17integral_constantIbLb1EES1T_IbLb0EEEEDaS1P_S1Q_EUlS1P_E_NS1_11comp_targetILNS1_3genE5ELNS1_11target_archE942ELNS1_3gpuE9ELNS1_3repE0EEENS1_30default_config_static_selectorELNS0_4arch9wavefront6targetE0EEEvS12_,"axG",@progbits,_ZN7rocprim17ROCPRIM_400000_NS6detail17trampoline_kernelINS0_13select_configILj256ELj13ELNS0_17block_load_methodE3ELS4_3ELS4_3ELNS0_20block_scan_algorithmE0ELj4294967295EEENS1_25partition_config_selectorILNS1_17partition_subalgoE4EjNS0_10empty_typeEbEEZZNS1_14partition_implILS8_4ELb0ES6_15HIP_vector_typeIjLj2EENS0_17counting_iteratorIjlEEPS9_SG_NS0_5tupleIJPjSI_NS0_16reverse_iteratorISI_EEEEENSH_IJSG_SG_SG_EEES9_SI_JZNS1_25segmented_radix_sort_implINS0_14default_configELb0EPKdPdPKlPlN2at6native12_GLOBAL__N_18offset_tEEE10hipError_tPvRmT1_PNSt15iterator_traitsIS12_E10value_typeET2_T3_PNS13_IS18_E10value_typeET4_jRbjT5_S1E_jjP12ihipStream_tbEUljE_ZNSN_ISO_Lb0ESQ_SR_ST_SU_SY_EESZ_S10_S11_S12_S16_S17_S18_S1B_S1C_jS1D_jS1E_S1E_jjS1G_bEUljE0_EEESZ_S10_S11_S18_S1C_S1E_T6_T7_T9_mT8_S1G_bDpT10_ENKUlT_T0_E_clISt17integral_constantIbLb1EES1T_IbLb0EEEEDaS1P_S1Q_EUlS1P_E_NS1_11comp_targetILNS1_3genE5ELNS1_11target_archE942ELNS1_3gpuE9ELNS1_3repE0EEENS1_30default_config_static_selectorELNS0_4arch9wavefront6targetE0EEEvS12_,comdat
.Lfunc_end1166:
	.size	_ZN7rocprim17ROCPRIM_400000_NS6detail17trampoline_kernelINS0_13select_configILj256ELj13ELNS0_17block_load_methodE3ELS4_3ELS4_3ELNS0_20block_scan_algorithmE0ELj4294967295EEENS1_25partition_config_selectorILNS1_17partition_subalgoE4EjNS0_10empty_typeEbEEZZNS1_14partition_implILS8_4ELb0ES6_15HIP_vector_typeIjLj2EENS0_17counting_iteratorIjlEEPS9_SG_NS0_5tupleIJPjSI_NS0_16reverse_iteratorISI_EEEEENSH_IJSG_SG_SG_EEES9_SI_JZNS1_25segmented_radix_sort_implINS0_14default_configELb0EPKdPdPKlPlN2at6native12_GLOBAL__N_18offset_tEEE10hipError_tPvRmT1_PNSt15iterator_traitsIS12_E10value_typeET2_T3_PNS13_IS18_E10value_typeET4_jRbjT5_S1E_jjP12ihipStream_tbEUljE_ZNSN_ISO_Lb0ESQ_SR_ST_SU_SY_EESZ_S10_S11_S12_S16_S17_S18_S1B_S1C_jS1D_jS1E_S1E_jjS1G_bEUljE0_EEESZ_S10_S11_S18_S1C_S1E_T6_T7_T9_mT8_S1G_bDpT10_ENKUlT_T0_E_clISt17integral_constantIbLb1EES1T_IbLb0EEEEDaS1P_S1Q_EUlS1P_E_NS1_11comp_targetILNS1_3genE5ELNS1_11target_archE942ELNS1_3gpuE9ELNS1_3repE0EEENS1_30default_config_static_selectorELNS0_4arch9wavefront6targetE0EEEvS12_, .Lfunc_end1166-_ZN7rocprim17ROCPRIM_400000_NS6detail17trampoline_kernelINS0_13select_configILj256ELj13ELNS0_17block_load_methodE3ELS4_3ELS4_3ELNS0_20block_scan_algorithmE0ELj4294967295EEENS1_25partition_config_selectorILNS1_17partition_subalgoE4EjNS0_10empty_typeEbEEZZNS1_14partition_implILS8_4ELb0ES6_15HIP_vector_typeIjLj2EENS0_17counting_iteratorIjlEEPS9_SG_NS0_5tupleIJPjSI_NS0_16reverse_iteratorISI_EEEEENSH_IJSG_SG_SG_EEES9_SI_JZNS1_25segmented_radix_sort_implINS0_14default_configELb0EPKdPdPKlPlN2at6native12_GLOBAL__N_18offset_tEEE10hipError_tPvRmT1_PNSt15iterator_traitsIS12_E10value_typeET2_T3_PNS13_IS18_E10value_typeET4_jRbjT5_S1E_jjP12ihipStream_tbEUljE_ZNSN_ISO_Lb0ESQ_SR_ST_SU_SY_EESZ_S10_S11_S12_S16_S17_S18_S1B_S1C_jS1D_jS1E_S1E_jjS1G_bEUljE0_EEESZ_S10_S11_S18_S1C_S1E_T6_T7_T9_mT8_S1G_bDpT10_ENKUlT_T0_E_clISt17integral_constantIbLb1EES1T_IbLb0EEEEDaS1P_S1Q_EUlS1P_E_NS1_11comp_targetILNS1_3genE5ELNS1_11target_archE942ELNS1_3gpuE9ELNS1_3repE0EEENS1_30default_config_static_selectorELNS0_4arch9wavefront6targetE0EEEvS12_
                                        ; -- End function
	.set _ZN7rocprim17ROCPRIM_400000_NS6detail17trampoline_kernelINS0_13select_configILj256ELj13ELNS0_17block_load_methodE3ELS4_3ELS4_3ELNS0_20block_scan_algorithmE0ELj4294967295EEENS1_25partition_config_selectorILNS1_17partition_subalgoE4EjNS0_10empty_typeEbEEZZNS1_14partition_implILS8_4ELb0ES6_15HIP_vector_typeIjLj2EENS0_17counting_iteratorIjlEEPS9_SG_NS0_5tupleIJPjSI_NS0_16reverse_iteratorISI_EEEEENSH_IJSG_SG_SG_EEES9_SI_JZNS1_25segmented_radix_sort_implINS0_14default_configELb0EPKdPdPKlPlN2at6native12_GLOBAL__N_18offset_tEEE10hipError_tPvRmT1_PNSt15iterator_traitsIS12_E10value_typeET2_T3_PNS13_IS18_E10value_typeET4_jRbjT5_S1E_jjP12ihipStream_tbEUljE_ZNSN_ISO_Lb0ESQ_SR_ST_SU_SY_EESZ_S10_S11_S12_S16_S17_S18_S1B_S1C_jS1D_jS1E_S1E_jjS1G_bEUljE0_EEESZ_S10_S11_S18_S1C_S1E_T6_T7_T9_mT8_S1G_bDpT10_ENKUlT_T0_E_clISt17integral_constantIbLb1EES1T_IbLb0EEEEDaS1P_S1Q_EUlS1P_E_NS1_11comp_targetILNS1_3genE5ELNS1_11target_archE942ELNS1_3gpuE9ELNS1_3repE0EEENS1_30default_config_static_selectorELNS0_4arch9wavefront6targetE0EEEvS12_.num_vgpr, 0
	.set _ZN7rocprim17ROCPRIM_400000_NS6detail17trampoline_kernelINS0_13select_configILj256ELj13ELNS0_17block_load_methodE3ELS4_3ELS4_3ELNS0_20block_scan_algorithmE0ELj4294967295EEENS1_25partition_config_selectorILNS1_17partition_subalgoE4EjNS0_10empty_typeEbEEZZNS1_14partition_implILS8_4ELb0ES6_15HIP_vector_typeIjLj2EENS0_17counting_iteratorIjlEEPS9_SG_NS0_5tupleIJPjSI_NS0_16reverse_iteratorISI_EEEEENSH_IJSG_SG_SG_EEES9_SI_JZNS1_25segmented_radix_sort_implINS0_14default_configELb0EPKdPdPKlPlN2at6native12_GLOBAL__N_18offset_tEEE10hipError_tPvRmT1_PNSt15iterator_traitsIS12_E10value_typeET2_T3_PNS13_IS18_E10value_typeET4_jRbjT5_S1E_jjP12ihipStream_tbEUljE_ZNSN_ISO_Lb0ESQ_SR_ST_SU_SY_EESZ_S10_S11_S12_S16_S17_S18_S1B_S1C_jS1D_jS1E_S1E_jjS1G_bEUljE0_EEESZ_S10_S11_S18_S1C_S1E_T6_T7_T9_mT8_S1G_bDpT10_ENKUlT_T0_E_clISt17integral_constantIbLb1EES1T_IbLb0EEEEDaS1P_S1Q_EUlS1P_E_NS1_11comp_targetILNS1_3genE5ELNS1_11target_archE942ELNS1_3gpuE9ELNS1_3repE0EEENS1_30default_config_static_selectorELNS0_4arch9wavefront6targetE0EEEvS12_.num_agpr, 0
	.set _ZN7rocprim17ROCPRIM_400000_NS6detail17trampoline_kernelINS0_13select_configILj256ELj13ELNS0_17block_load_methodE3ELS4_3ELS4_3ELNS0_20block_scan_algorithmE0ELj4294967295EEENS1_25partition_config_selectorILNS1_17partition_subalgoE4EjNS0_10empty_typeEbEEZZNS1_14partition_implILS8_4ELb0ES6_15HIP_vector_typeIjLj2EENS0_17counting_iteratorIjlEEPS9_SG_NS0_5tupleIJPjSI_NS0_16reverse_iteratorISI_EEEEENSH_IJSG_SG_SG_EEES9_SI_JZNS1_25segmented_radix_sort_implINS0_14default_configELb0EPKdPdPKlPlN2at6native12_GLOBAL__N_18offset_tEEE10hipError_tPvRmT1_PNSt15iterator_traitsIS12_E10value_typeET2_T3_PNS13_IS18_E10value_typeET4_jRbjT5_S1E_jjP12ihipStream_tbEUljE_ZNSN_ISO_Lb0ESQ_SR_ST_SU_SY_EESZ_S10_S11_S12_S16_S17_S18_S1B_S1C_jS1D_jS1E_S1E_jjS1G_bEUljE0_EEESZ_S10_S11_S18_S1C_S1E_T6_T7_T9_mT8_S1G_bDpT10_ENKUlT_T0_E_clISt17integral_constantIbLb1EES1T_IbLb0EEEEDaS1P_S1Q_EUlS1P_E_NS1_11comp_targetILNS1_3genE5ELNS1_11target_archE942ELNS1_3gpuE9ELNS1_3repE0EEENS1_30default_config_static_selectorELNS0_4arch9wavefront6targetE0EEEvS12_.numbered_sgpr, 0
	.set _ZN7rocprim17ROCPRIM_400000_NS6detail17trampoline_kernelINS0_13select_configILj256ELj13ELNS0_17block_load_methodE3ELS4_3ELS4_3ELNS0_20block_scan_algorithmE0ELj4294967295EEENS1_25partition_config_selectorILNS1_17partition_subalgoE4EjNS0_10empty_typeEbEEZZNS1_14partition_implILS8_4ELb0ES6_15HIP_vector_typeIjLj2EENS0_17counting_iteratorIjlEEPS9_SG_NS0_5tupleIJPjSI_NS0_16reverse_iteratorISI_EEEEENSH_IJSG_SG_SG_EEES9_SI_JZNS1_25segmented_radix_sort_implINS0_14default_configELb0EPKdPdPKlPlN2at6native12_GLOBAL__N_18offset_tEEE10hipError_tPvRmT1_PNSt15iterator_traitsIS12_E10value_typeET2_T3_PNS13_IS18_E10value_typeET4_jRbjT5_S1E_jjP12ihipStream_tbEUljE_ZNSN_ISO_Lb0ESQ_SR_ST_SU_SY_EESZ_S10_S11_S12_S16_S17_S18_S1B_S1C_jS1D_jS1E_S1E_jjS1G_bEUljE0_EEESZ_S10_S11_S18_S1C_S1E_T6_T7_T9_mT8_S1G_bDpT10_ENKUlT_T0_E_clISt17integral_constantIbLb1EES1T_IbLb0EEEEDaS1P_S1Q_EUlS1P_E_NS1_11comp_targetILNS1_3genE5ELNS1_11target_archE942ELNS1_3gpuE9ELNS1_3repE0EEENS1_30default_config_static_selectorELNS0_4arch9wavefront6targetE0EEEvS12_.num_named_barrier, 0
	.set _ZN7rocprim17ROCPRIM_400000_NS6detail17trampoline_kernelINS0_13select_configILj256ELj13ELNS0_17block_load_methodE3ELS4_3ELS4_3ELNS0_20block_scan_algorithmE0ELj4294967295EEENS1_25partition_config_selectorILNS1_17partition_subalgoE4EjNS0_10empty_typeEbEEZZNS1_14partition_implILS8_4ELb0ES6_15HIP_vector_typeIjLj2EENS0_17counting_iteratorIjlEEPS9_SG_NS0_5tupleIJPjSI_NS0_16reverse_iteratorISI_EEEEENSH_IJSG_SG_SG_EEES9_SI_JZNS1_25segmented_radix_sort_implINS0_14default_configELb0EPKdPdPKlPlN2at6native12_GLOBAL__N_18offset_tEEE10hipError_tPvRmT1_PNSt15iterator_traitsIS12_E10value_typeET2_T3_PNS13_IS18_E10value_typeET4_jRbjT5_S1E_jjP12ihipStream_tbEUljE_ZNSN_ISO_Lb0ESQ_SR_ST_SU_SY_EESZ_S10_S11_S12_S16_S17_S18_S1B_S1C_jS1D_jS1E_S1E_jjS1G_bEUljE0_EEESZ_S10_S11_S18_S1C_S1E_T6_T7_T9_mT8_S1G_bDpT10_ENKUlT_T0_E_clISt17integral_constantIbLb1EES1T_IbLb0EEEEDaS1P_S1Q_EUlS1P_E_NS1_11comp_targetILNS1_3genE5ELNS1_11target_archE942ELNS1_3gpuE9ELNS1_3repE0EEENS1_30default_config_static_selectorELNS0_4arch9wavefront6targetE0EEEvS12_.private_seg_size, 0
	.set _ZN7rocprim17ROCPRIM_400000_NS6detail17trampoline_kernelINS0_13select_configILj256ELj13ELNS0_17block_load_methodE3ELS4_3ELS4_3ELNS0_20block_scan_algorithmE0ELj4294967295EEENS1_25partition_config_selectorILNS1_17partition_subalgoE4EjNS0_10empty_typeEbEEZZNS1_14partition_implILS8_4ELb0ES6_15HIP_vector_typeIjLj2EENS0_17counting_iteratorIjlEEPS9_SG_NS0_5tupleIJPjSI_NS0_16reverse_iteratorISI_EEEEENSH_IJSG_SG_SG_EEES9_SI_JZNS1_25segmented_radix_sort_implINS0_14default_configELb0EPKdPdPKlPlN2at6native12_GLOBAL__N_18offset_tEEE10hipError_tPvRmT1_PNSt15iterator_traitsIS12_E10value_typeET2_T3_PNS13_IS18_E10value_typeET4_jRbjT5_S1E_jjP12ihipStream_tbEUljE_ZNSN_ISO_Lb0ESQ_SR_ST_SU_SY_EESZ_S10_S11_S12_S16_S17_S18_S1B_S1C_jS1D_jS1E_S1E_jjS1G_bEUljE0_EEESZ_S10_S11_S18_S1C_S1E_T6_T7_T9_mT8_S1G_bDpT10_ENKUlT_T0_E_clISt17integral_constantIbLb1EES1T_IbLb0EEEEDaS1P_S1Q_EUlS1P_E_NS1_11comp_targetILNS1_3genE5ELNS1_11target_archE942ELNS1_3gpuE9ELNS1_3repE0EEENS1_30default_config_static_selectorELNS0_4arch9wavefront6targetE0EEEvS12_.uses_vcc, 0
	.set _ZN7rocprim17ROCPRIM_400000_NS6detail17trampoline_kernelINS0_13select_configILj256ELj13ELNS0_17block_load_methodE3ELS4_3ELS4_3ELNS0_20block_scan_algorithmE0ELj4294967295EEENS1_25partition_config_selectorILNS1_17partition_subalgoE4EjNS0_10empty_typeEbEEZZNS1_14partition_implILS8_4ELb0ES6_15HIP_vector_typeIjLj2EENS0_17counting_iteratorIjlEEPS9_SG_NS0_5tupleIJPjSI_NS0_16reverse_iteratorISI_EEEEENSH_IJSG_SG_SG_EEES9_SI_JZNS1_25segmented_radix_sort_implINS0_14default_configELb0EPKdPdPKlPlN2at6native12_GLOBAL__N_18offset_tEEE10hipError_tPvRmT1_PNSt15iterator_traitsIS12_E10value_typeET2_T3_PNS13_IS18_E10value_typeET4_jRbjT5_S1E_jjP12ihipStream_tbEUljE_ZNSN_ISO_Lb0ESQ_SR_ST_SU_SY_EESZ_S10_S11_S12_S16_S17_S18_S1B_S1C_jS1D_jS1E_S1E_jjS1G_bEUljE0_EEESZ_S10_S11_S18_S1C_S1E_T6_T7_T9_mT8_S1G_bDpT10_ENKUlT_T0_E_clISt17integral_constantIbLb1EES1T_IbLb0EEEEDaS1P_S1Q_EUlS1P_E_NS1_11comp_targetILNS1_3genE5ELNS1_11target_archE942ELNS1_3gpuE9ELNS1_3repE0EEENS1_30default_config_static_selectorELNS0_4arch9wavefront6targetE0EEEvS12_.uses_flat_scratch, 0
	.set _ZN7rocprim17ROCPRIM_400000_NS6detail17trampoline_kernelINS0_13select_configILj256ELj13ELNS0_17block_load_methodE3ELS4_3ELS4_3ELNS0_20block_scan_algorithmE0ELj4294967295EEENS1_25partition_config_selectorILNS1_17partition_subalgoE4EjNS0_10empty_typeEbEEZZNS1_14partition_implILS8_4ELb0ES6_15HIP_vector_typeIjLj2EENS0_17counting_iteratorIjlEEPS9_SG_NS0_5tupleIJPjSI_NS0_16reverse_iteratorISI_EEEEENSH_IJSG_SG_SG_EEES9_SI_JZNS1_25segmented_radix_sort_implINS0_14default_configELb0EPKdPdPKlPlN2at6native12_GLOBAL__N_18offset_tEEE10hipError_tPvRmT1_PNSt15iterator_traitsIS12_E10value_typeET2_T3_PNS13_IS18_E10value_typeET4_jRbjT5_S1E_jjP12ihipStream_tbEUljE_ZNSN_ISO_Lb0ESQ_SR_ST_SU_SY_EESZ_S10_S11_S12_S16_S17_S18_S1B_S1C_jS1D_jS1E_S1E_jjS1G_bEUljE0_EEESZ_S10_S11_S18_S1C_S1E_T6_T7_T9_mT8_S1G_bDpT10_ENKUlT_T0_E_clISt17integral_constantIbLb1EES1T_IbLb0EEEEDaS1P_S1Q_EUlS1P_E_NS1_11comp_targetILNS1_3genE5ELNS1_11target_archE942ELNS1_3gpuE9ELNS1_3repE0EEENS1_30default_config_static_selectorELNS0_4arch9wavefront6targetE0EEEvS12_.has_dyn_sized_stack, 0
	.set _ZN7rocprim17ROCPRIM_400000_NS6detail17trampoline_kernelINS0_13select_configILj256ELj13ELNS0_17block_load_methodE3ELS4_3ELS4_3ELNS0_20block_scan_algorithmE0ELj4294967295EEENS1_25partition_config_selectorILNS1_17partition_subalgoE4EjNS0_10empty_typeEbEEZZNS1_14partition_implILS8_4ELb0ES6_15HIP_vector_typeIjLj2EENS0_17counting_iteratorIjlEEPS9_SG_NS0_5tupleIJPjSI_NS0_16reverse_iteratorISI_EEEEENSH_IJSG_SG_SG_EEES9_SI_JZNS1_25segmented_radix_sort_implINS0_14default_configELb0EPKdPdPKlPlN2at6native12_GLOBAL__N_18offset_tEEE10hipError_tPvRmT1_PNSt15iterator_traitsIS12_E10value_typeET2_T3_PNS13_IS18_E10value_typeET4_jRbjT5_S1E_jjP12ihipStream_tbEUljE_ZNSN_ISO_Lb0ESQ_SR_ST_SU_SY_EESZ_S10_S11_S12_S16_S17_S18_S1B_S1C_jS1D_jS1E_S1E_jjS1G_bEUljE0_EEESZ_S10_S11_S18_S1C_S1E_T6_T7_T9_mT8_S1G_bDpT10_ENKUlT_T0_E_clISt17integral_constantIbLb1EES1T_IbLb0EEEEDaS1P_S1Q_EUlS1P_E_NS1_11comp_targetILNS1_3genE5ELNS1_11target_archE942ELNS1_3gpuE9ELNS1_3repE0EEENS1_30default_config_static_selectorELNS0_4arch9wavefront6targetE0EEEvS12_.has_recursion, 0
	.set _ZN7rocprim17ROCPRIM_400000_NS6detail17trampoline_kernelINS0_13select_configILj256ELj13ELNS0_17block_load_methodE3ELS4_3ELS4_3ELNS0_20block_scan_algorithmE0ELj4294967295EEENS1_25partition_config_selectorILNS1_17partition_subalgoE4EjNS0_10empty_typeEbEEZZNS1_14partition_implILS8_4ELb0ES6_15HIP_vector_typeIjLj2EENS0_17counting_iteratorIjlEEPS9_SG_NS0_5tupleIJPjSI_NS0_16reverse_iteratorISI_EEEEENSH_IJSG_SG_SG_EEES9_SI_JZNS1_25segmented_radix_sort_implINS0_14default_configELb0EPKdPdPKlPlN2at6native12_GLOBAL__N_18offset_tEEE10hipError_tPvRmT1_PNSt15iterator_traitsIS12_E10value_typeET2_T3_PNS13_IS18_E10value_typeET4_jRbjT5_S1E_jjP12ihipStream_tbEUljE_ZNSN_ISO_Lb0ESQ_SR_ST_SU_SY_EESZ_S10_S11_S12_S16_S17_S18_S1B_S1C_jS1D_jS1E_S1E_jjS1G_bEUljE0_EEESZ_S10_S11_S18_S1C_S1E_T6_T7_T9_mT8_S1G_bDpT10_ENKUlT_T0_E_clISt17integral_constantIbLb1EES1T_IbLb0EEEEDaS1P_S1Q_EUlS1P_E_NS1_11comp_targetILNS1_3genE5ELNS1_11target_archE942ELNS1_3gpuE9ELNS1_3repE0EEENS1_30default_config_static_selectorELNS0_4arch9wavefront6targetE0EEEvS12_.has_indirect_call, 0
	.section	.AMDGPU.csdata,"",@progbits
; Kernel info:
; codeLenInByte = 0
; TotalNumSgprs: 0
; NumVgprs: 0
; ScratchSize: 0
; MemoryBound: 0
; FloatMode: 240
; IeeeMode: 1
; LDSByteSize: 0 bytes/workgroup (compile time only)
; SGPRBlocks: 0
; VGPRBlocks: 0
; NumSGPRsForWavesPerEU: 1
; NumVGPRsForWavesPerEU: 1
; Occupancy: 16
; WaveLimiterHint : 0
; COMPUTE_PGM_RSRC2:SCRATCH_EN: 0
; COMPUTE_PGM_RSRC2:USER_SGPR: 6
; COMPUTE_PGM_RSRC2:TRAP_HANDLER: 0
; COMPUTE_PGM_RSRC2:TGID_X_EN: 1
; COMPUTE_PGM_RSRC2:TGID_Y_EN: 0
; COMPUTE_PGM_RSRC2:TGID_Z_EN: 0
; COMPUTE_PGM_RSRC2:TIDIG_COMP_CNT: 0
	.section	.text._ZN7rocprim17ROCPRIM_400000_NS6detail17trampoline_kernelINS0_13select_configILj256ELj13ELNS0_17block_load_methodE3ELS4_3ELS4_3ELNS0_20block_scan_algorithmE0ELj4294967295EEENS1_25partition_config_selectorILNS1_17partition_subalgoE4EjNS0_10empty_typeEbEEZZNS1_14partition_implILS8_4ELb0ES6_15HIP_vector_typeIjLj2EENS0_17counting_iteratorIjlEEPS9_SG_NS0_5tupleIJPjSI_NS0_16reverse_iteratorISI_EEEEENSH_IJSG_SG_SG_EEES9_SI_JZNS1_25segmented_radix_sort_implINS0_14default_configELb0EPKdPdPKlPlN2at6native12_GLOBAL__N_18offset_tEEE10hipError_tPvRmT1_PNSt15iterator_traitsIS12_E10value_typeET2_T3_PNS13_IS18_E10value_typeET4_jRbjT5_S1E_jjP12ihipStream_tbEUljE_ZNSN_ISO_Lb0ESQ_SR_ST_SU_SY_EESZ_S10_S11_S12_S16_S17_S18_S1B_S1C_jS1D_jS1E_S1E_jjS1G_bEUljE0_EEESZ_S10_S11_S18_S1C_S1E_T6_T7_T9_mT8_S1G_bDpT10_ENKUlT_T0_E_clISt17integral_constantIbLb1EES1T_IbLb0EEEEDaS1P_S1Q_EUlS1P_E_NS1_11comp_targetILNS1_3genE4ELNS1_11target_archE910ELNS1_3gpuE8ELNS1_3repE0EEENS1_30default_config_static_selectorELNS0_4arch9wavefront6targetE0EEEvS12_,"axG",@progbits,_ZN7rocprim17ROCPRIM_400000_NS6detail17trampoline_kernelINS0_13select_configILj256ELj13ELNS0_17block_load_methodE3ELS4_3ELS4_3ELNS0_20block_scan_algorithmE0ELj4294967295EEENS1_25partition_config_selectorILNS1_17partition_subalgoE4EjNS0_10empty_typeEbEEZZNS1_14partition_implILS8_4ELb0ES6_15HIP_vector_typeIjLj2EENS0_17counting_iteratorIjlEEPS9_SG_NS0_5tupleIJPjSI_NS0_16reverse_iteratorISI_EEEEENSH_IJSG_SG_SG_EEES9_SI_JZNS1_25segmented_radix_sort_implINS0_14default_configELb0EPKdPdPKlPlN2at6native12_GLOBAL__N_18offset_tEEE10hipError_tPvRmT1_PNSt15iterator_traitsIS12_E10value_typeET2_T3_PNS13_IS18_E10value_typeET4_jRbjT5_S1E_jjP12ihipStream_tbEUljE_ZNSN_ISO_Lb0ESQ_SR_ST_SU_SY_EESZ_S10_S11_S12_S16_S17_S18_S1B_S1C_jS1D_jS1E_S1E_jjS1G_bEUljE0_EEESZ_S10_S11_S18_S1C_S1E_T6_T7_T9_mT8_S1G_bDpT10_ENKUlT_T0_E_clISt17integral_constantIbLb1EES1T_IbLb0EEEEDaS1P_S1Q_EUlS1P_E_NS1_11comp_targetILNS1_3genE4ELNS1_11target_archE910ELNS1_3gpuE8ELNS1_3repE0EEENS1_30default_config_static_selectorELNS0_4arch9wavefront6targetE0EEEvS12_,comdat
	.globl	_ZN7rocprim17ROCPRIM_400000_NS6detail17trampoline_kernelINS0_13select_configILj256ELj13ELNS0_17block_load_methodE3ELS4_3ELS4_3ELNS0_20block_scan_algorithmE0ELj4294967295EEENS1_25partition_config_selectorILNS1_17partition_subalgoE4EjNS0_10empty_typeEbEEZZNS1_14partition_implILS8_4ELb0ES6_15HIP_vector_typeIjLj2EENS0_17counting_iteratorIjlEEPS9_SG_NS0_5tupleIJPjSI_NS0_16reverse_iteratorISI_EEEEENSH_IJSG_SG_SG_EEES9_SI_JZNS1_25segmented_radix_sort_implINS0_14default_configELb0EPKdPdPKlPlN2at6native12_GLOBAL__N_18offset_tEEE10hipError_tPvRmT1_PNSt15iterator_traitsIS12_E10value_typeET2_T3_PNS13_IS18_E10value_typeET4_jRbjT5_S1E_jjP12ihipStream_tbEUljE_ZNSN_ISO_Lb0ESQ_SR_ST_SU_SY_EESZ_S10_S11_S12_S16_S17_S18_S1B_S1C_jS1D_jS1E_S1E_jjS1G_bEUljE0_EEESZ_S10_S11_S18_S1C_S1E_T6_T7_T9_mT8_S1G_bDpT10_ENKUlT_T0_E_clISt17integral_constantIbLb1EES1T_IbLb0EEEEDaS1P_S1Q_EUlS1P_E_NS1_11comp_targetILNS1_3genE4ELNS1_11target_archE910ELNS1_3gpuE8ELNS1_3repE0EEENS1_30default_config_static_selectorELNS0_4arch9wavefront6targetE0EEEvS12_ ; -- Begin function _ZN7rocprim17ROCPRIM_400000_NS6detail17trampoline_kernelINS0_13select_configILj256ELj13ELNS0_17block_load_methodE3ELS4_3ELS4_3ELNS0_20block_scan_algorithmE0ELj4294967295EEENS1_25partition_config_selectorILNS1_17partition_subalgoE4EjNS0_10empty_typeEbEEZZNS1_14partition_implILS8_4ELb0ES6_15HIP_vector_typeIjLj2EENS0_17counting_iteratorIjlEEPS9_SG_NS0_5tupleIJPjSI_NS0_16reverse_iteratorISI_EEEEENSH_IJSG_SG_SG_EEES9_SI_JZNS1_25segmented_radix_sort_implINS0_14default_configELb0EPKdPdPKlPlN2at6native12_GLOBAL__N_18offset_tEEE10hipError_tPvRmT1_PNSt15iterator_traitsIS12_E10value_typeET2_T3_PNS13_IS18_E10value_typeET4_jRbjT5_S1E_jjP12ihipStream_tbEUljE_ZNSN_ISO_Lb0ESQ_SR_ST_SU_SY_EESZ_S10_S11_S12_S16_S17_S18_S1B_S1C_jS1D_jS1E_S1E_jjS1G_bEUljE0_EEESZ_S10_S11_S18_S1C_S1E_T6_T7_T9_mT8_S1G_bDpT10_ENKUlT_T0_E_clISt17integral_constantIbLb1EES1T_IbLb0EEEEDaS1P_S1Q_EUlS1P_E_NS1_11comp_targetILNS1_3genE4ELNS1_11target_archE910ELNS1_3gpuE8ELNS1_3repE0EEENS1_30default_config_static_selectorELNS0_4arch9wavefront6targetE0EEEvS12_
	.p2align	8
	.type	_ZN7rocprim17ROCPRIM_400000_NS6detail17trampoline_kernelINS0_13select_configILj256ELj13ELNS0_17block_load_methodE3ELS4_3ELS4_3ELNS0_20block_scan_algorithmE0ELj4294967295EEENS1_25partition_config_selectorILNS1_17partition_subalgoE4EjNS0_10empty_typeEbEEZZNS1_14partition_implILS8_4ELb0ES6_15HIP_vector_typeIjLj2EENS0_17counting_iteratorIjlEEPS9_SG_NS0_5tupleIJPjSI_NS0_16reverse_iteratorISI_EEEEENSH_IJSG_SG_SG_EEES9_SI_JZNS1_25segmented_radix_sort_implINS0_14default_configELb0EPKdPdPKlPlN2at6native12_GLOBAL__N_18offset_tEEE10hipError_tPvRmT1_PNSt15iterator_traitsIS12_E10value_typeET2_T3_PNS13_IS18_E10value_typeET4_jRbjT5_S1E_jjP12ihipStream_tbEUljE_ZNSN_ISO_Lb0ESQ_SR_ST_SU_SY_EESZ_S10_S11_S12_S16_S17_S18_S1B_S1C_jS1D_jS1E_S1E_jjS1G_bEUljE0_EEESZ_S10_S11_S18_S1C_S1E_T6_T7_T9_mT8_S1G_bDpT10_ENKUlT_T0_E_clISt17integral_constantIbLb1EES1T_IbLb0EEEEDaS1P_S1Q_EUlS1P_E_NS1_11comp_targetILNS1_3genE4ELNS1_11target_archE910ELNS1_3gpuE8ELNS1_3repE0EEENS1_30default_config_static_selectorELNS0_4arch9wavefront6targetE0EEEvS12_,@function
_ZN7rocprim17ROCPRIM_400000_NS6detail17trampoline_kernelINS0_13select_configILj256ELj13ELNS0_17block_load_methodE3ELS4_3ELS4_3ELNS0_20block_scan_algorithmE0ELj4294967295EEENS1_25partition_config_selectorILNS1_17partition_subalgoE4EjNS0_10empty_typeEbEEZZNS1_14partition_implILS8_4ELb0ES6_15HIP_vector_typeIjLj2EENS0_17counting_iteratorIjlEEPS9_SG_NS0_5tupleIJPjSI_NS0_16reverse_iteratorISI_EEEEENSH_IJSG_SG_SG_EEES9_SI_JZNS1_25segmented_radix_sort_implINS0_14default_configELb0EPKdPdPKlPlN2at6native12_GLOBAL__N_18offset_tEEE10hipError_tPvRmT1_PNSt15iterator_traitsIS12_E10value_typeET2_T3_PNS13_IS18_E10value_typeET4_jRbjT5_S1E_jjP12ihipStream_tbEUljE_ZNSN_ISO_Lb0ESQ_SR_ST_SU_SY_EESZ_S10_S11_S12_S16_S17_S18_S1B_S1C_jS1D_jS1E_S1E_jjS1G_bEUljE0_EEESZ_S10_S11_S18_S1C_S1E_T6_T7_T9_mT8_S1G_bDpT10_ENKUlT_T0_E_clISt17integral_constantIbLb1EES1T_IbLb0EEEEDaS1P_S1Q_EUlS1P_E_NS1_11comp_targetILNS1_3genE4ELNS1_11target_archE910ELNS1_3gpuE8ELNS1_3repE0EEENS1_30default_config_static_selectorELNS0_4arch9wavefront6targetE0EEEvS12_: ; @_ZN7rocprim17ROCPRIM_400000_NS6detail17trampoline_kernelINS0_13select_configILj256ELj13ELNS0_17block_load_methodE3ELS4_3ELS4_3ELNS0_20block_scan_algorithmE0ELj4294967295EEENS1_25partition_config_selectorILNS1_17partition_subalgoE4EjNS0_10empty_typeEbEEZZNS1_14partition_implILS8_4ELb0ES6_15HIP_vector_typeIjLj2EENS0_17counting_iteratorIjlEEPS9_SG_NS0_5tupleIJPjSI_NS0_16reverse_iteratorISI_EEEEENSH_IJSG_SG_SG_EEES9_SI_JZNS1_25segmented_radix_sort_implINS0_14default_configELb0EPKdPdPKlPlN2at6native12_GLOBAL__N_18offset_tEEE10hipError_tPvRmT1_PNSt15iterator_traitsIS12_E10value_typeET2_T3_PNS13_IS18_E10value_typeET4_jRbjT5_S1E_jjP12ihipStream_tbEUljE_ZNSN_ISO_Lb0ESQ_SR_ST_SU_SY_EESZ_S10_S11_S12_S16_S17_S18_S1B_S1C_jS1D_jS1E_S1E_jjS1G_bEUljE0_EEESZ_S10_S11_S18_S1C_S1E_T6_T7_T9_mT8_S1G_bDpT10_ENKUlT_T0_E_clISt17integral_constantIbLb1EES1T_IbLb0EEEEDaS1P_S1Q_EUlS1P_E_NS1_11comp_targetILNS1_3genE4ELNS1_11target_archE910ELNS1_3gpuE8ELNS1_3repE0EEENS1_30default_config_static_selectorELNS0_4arch9wavefront6targetE0EEEvS12_
; %bb.0:
	.section	.rodata,"a",@progbits
	.p2align	6, 0x0
	.amdhsa_kernel _ZN7rocprim17ROCPRIM_400000_NS6detail17trampoline_kernelINS0_13select_configILj256ELj13ELNS0_17block_load_methodE3ELS4_3ELS4_3ELNS0_20block_scan_algorithmE0ELj4294967295EEENS1_25partition_config_selectorILNS1_17partition_subalgoE4EjNS0_10empty_typeEbEEZZNS1_14partition_implILS8_4ELb0ES6_15HIP_vector_typeIjLj2EENS0_17counting_iteratorIjlEEPS9_SG_NS0_5tupleIJPjSI_NS0_16reverse_iteratorISI_EEEEENSH_IJSG_SG_SG_EEES9_SI_JZNS1_25segmented_radix_sort_implINS0_14default_configELb0EPKdPdPKlPlN2at6native12_GLOBAL__N_18offset_tEEE10hipError_tPvRmT1_PNSt15iterator_traitsIS12_E10value_typeET2_T3_PNS13_IS18_E10value_typeET4_jRbjT5_S1E_jjP12ihipStream_tbEUljE_ZNSN_ISO_Lb0ESQ_SR_ST_SU_SY_EESZ_S10_S11_S12_S16_S17_S18_S1B_S1C_jS1D_jS1E_S1E_jjS1G_bEUljE0_EEESZ_S10_S11_S18_S1C_S1E_T6_T7_T9_mT8_S1G_bDpT10_ENKUlT_T0_E_clISt17integral_constantIbLb1EES1T_IbLb0EEEEDaS1P_S1Q_EUlS1P_E_NS1_11comp_targetILNS1_3genE4ELNS1_11target_archE910ELNS1_3gpuE8ELNS1_3repE0EEENS1_30default_config_static_selectorELNS0_4arch9wavefront6targetE0EEEvS12_
		.amdhsa_group_segment_fixed_size 0
		.amdhsa_private_segment_fixed_size 0
		.amdhsa_kernarg_size 176
		.amdhsa_user_sgpr_count 6
		.amdhsa_user_sgpr_private_segment_buffer 1
		.amdhsa_user_sgpr_dispatch_ptr 0
		.amdhsa_user_sgpr_queue_ptr 0
		.amdhsa_user_sgpr_kernarg_segment_ptr 1
		.amdhsa_user_sgpr_dispatch_id 0
		.amdhsa_user_sgpr_flat_scratch_init 0
		.amdhsa_user_sgpr_private_segment_size 0
		.amdhsa_wavefront_size32 1
		.amdhsa_uses_dynamic_stack 0
		.amdhsa_system_sgpr_private_segment_wavefront_offset 0
		.amdhsa_system_sgpr_workgroup_id_x 1
		.amdhsa_system_sgpr_workgroup_id_y 0
		.amdhsa_system_sgpr_workgroup_id_z 0
		.amdhsa_system_sgpr_workgroup_info 0
		.amdhsa_system_vgpr_workitem_id 0
		.amdhsa_next_free_vgpr 1
		.amdhsa_next_free_sgpr 1
		.amdhsa_reserve_vcc 0
		.amdhsa_reserve_flat_scratch 0
		.amdhsa_float_round_mode_32 0
		.amdhsa_float_round_mode_16_64 0
		.amdhsa_float_denorm_mode_32 3
		.amdhsa_float_denorm_mode_16_64 3
		.amdhsa_dx10_clamp 1
		.amdhsa_ieee_mode 1
		.amdhsa_fp16_overflow 0
		.amdhsa_workgroup_processor_mode 1
		.amdhsa_memory_ordered 1
		.amdhsa_forward_progress 1
		.amdhsa_shared_vgpr_count 0
		.amdhsa_exception_fp_ieee_invalid_op 0
		.amdhsa_exception_fp_denorm_src 0
		.amdhsa_exception_fp_ieee_div_zero 0
		.amdhsa_exception_fp_ieee_overflow 0
		.amdhsa_exception_fp_ieee_underflow 0
		.amdhsa_exception_fp_ieee_inexact 0
		.amdhsa_exception_int_div_zero 0
	.end_amdhsa_kernel
	.section	.text._ZN7rocprim17ROCPRIM_400000_NS6detail17trampoline_kernelINS0_13select_configILj256ELj13ELNS0_17block_load_methodE3ELS4_3ELS4_3ELNS0_20block_scan_algorithmE0ELj4294967295EEENS1_25partition_config_selectorILNS1_17partition_subalgoE4EjNS0_10empty_typeEbEEZZNS1_14partition_implILS8_4ELb0ES6_15HIP_vector_typeIjLj2EENS0_17counting_iteratorIjlEEPS9_SG_NS0_5tupleIJPjSI_NS0_16reverse_iteratorISI_EEEEENSH_IJSG_SG_SG_EEES9_SI_JZNS1_25segmented_radix_sort_implINS0_14default_configELb0EPKdPdPKlPlN2at6native12_GLOBAL__N_18offset_tEEE10hipError_tPvRmT1_PNSt15iterator_traitsIS12_E10value_typeET2_T3_PNS13_IS18_E10value_typeET4_jRbjT5_S1E_jjP12ihipStream_tbEUljE_ZNSN_ISO_Lb0ESQ_SR_ST_SU_SY_EESZ_S10_S11_S12_S16_S17_S18_S1B_S1C_jS1D_jS1E_S1E_jjS1G_bEUljE0_EEESZ_S10_S11_S18_S1C_S1E_T6_T7_T9_mT8_S1G_bDpT10_ENKUlT_T0_E_clISt17integral_constantIbLb1EES1T_IbLb0EEEEDaS1P_S1Q_EUlS1P_E_NS1_11comp_targetILNS1_3genE4ELNS1_11target_archE910ELNS1_3gpuE8ELNS1_3repE0EEENS1_30default_config_static_selectorELNS0_4arch9wavefront6targetE0EEEvS12_,"axG",@progbits,_ZN7rocprim17ROCPRIM_400000_NS6detail17trampoline_kernelINS0_13select_configILj256ELj13ELNS0_17block_load_methodE3ELS4_3ELS4_3ELNS0_20block_scan_algorithmE0ELj4294967295EEENS1_25partition_config_selectorILNS1_17partition_subalgoE4EjNS0_10empty_typeEbEEZZNS1_14partition_implILS8_4ELb0ES6_15HIP_vector_typeIjLj2EENS0_17counting_iteratorIjlEEPS9_SG_NS0_5tupleIJPjSI_NS0_16reverse_iteratorISI_EEEEENSH_IJSG_SG_SG_EEES9_SI_JZNS1_25segmented_radix_sort_implINS0_14default_configELb0EPKdPdPKlPlN2at6native12_GLOBAL__N_18offset_tEEE10hipError_tPvRmT1_PNSt15iterator_traitsIS12_E10value_typeET2_T3_PNS13_IS18_E10value_typeET4_jRbjT5_S1E_jjP12ihipStream_tbEUljE_ZNSN_ISO_Lb0ESQ_SR_ST_SU_SY_EESZ_S10_S11_S12_S16_S17_S18_S1B_S1C_jS1D_jS1E_S1E_jjS1G_bEUljE0_EEESZ_S10_S11_S18_S1C_S1E_T6_T7_T9_mT8_S1G_bDpT10_ENKUlT_T0_E_clISt17integral_constantIbLb1EES1T_IbLb0EEEEDaS1P_S1Q_EUlS1P_E_NS1_11comp_targetILNS1_3genE4ELNS1_11target_archE910ELNS1_3gpuE8ELNS1_3repE0EEENS1_30default_config_static_selectorELNS0_4arch9wavefront6targetE0EEEvS12_,comdat
.Lfunc_end1167:
	.size	_ZN7rocprim17ROCPRIM_400000_NS6detail17trampoline_kernelINS0_13select_configILj256ELj13ELNS0_17block_load_methodE3ELS4_3ELS4_3ELNS0_20block_scan_algorithmE0ELj4294967295EEENS1_25partition_config_selectorILNS1_17partition_subalgoE4EjNS0_10empty_typeEbEEZZNS1_14partition_implILS8_4ELb0ES6_15HIP_vector_typeIjLj2EENS0_17counting_iteratorIjlEEPS9_SG_NS0_5tupleIJPjSI_NS0_16reverse_iteratorISI_EEEEENSH_IJSG_SG_SG_EEES9_SI_JZNS1_25segmented_radix_sort_implINS0_14default_configELb0EPKdPdPKlPlN2at6native12_GLOBAL__N_18offset_tEEE10hipError_tPvRmT1_PNSt15iterator_traitsIS12_E10value_typeET2_T3_PNS13_IS18_E10value_typeET4_jRbjT5_S1E_jjP12ihipStream_tbEUljE_ZNSN_ISO_Lb0ESQ_SR_ST_SU_SY_EESZ_S10_S11_S12_S16_S17_S18_S1B_S1C_jS1D_jS1E_S1E_jjS1G_bEUljE0_EEESZ_S10_S11_S18_S1C_S1E_T6_T7_T9_mT8_S1G_bDpT10_ENKUlT_T0_E_clISt17integral_constantIbLb1EES1T_IbLb0EEEEDaS1P_S1Q_EUlS1P_E_NS1_11comp_targetILNS1_3genE4ELNS1_11target_archE910ELNS1_3gpuE8ELNS1_3repE0EEENS1_30default_config_static_selectorELNS0_4arch9wavefront6targetE0EEEvS12_, .Lfunc_end1167-_ZN7rocprim17ROCPRIM_400000_NS6detail17trampoline_kernelINS0_13select_configILj256ELj13ELNS0_17block_load_methodE3ELS4_3ELS4_3ELNS0_20block_scan_algorithmE0ELj4294967295EEENS1_25partition_config_selectorILNS1_17partition_subalgoE4EjNS0_10empty_typeEbEEZZNS1_14partition_implILS8_4ELb0ES6_15HIP_vector_typeIjLj2EENS0_17counting_iteratorIjlEEPS9_SG_NS0_5tupleIJPjSI_NS0_16reverse_iteratorISI_EEEEENSH_IJSG_SG_SG_EEES9_SI_JZNS1_25segmented_radix_sort_implINS0_14default_configELb0EPKdPdPKlPlN2at6native12_GLOBAL__N_18offset_tEEE10hipError_tPvRmT1_PNSt15iterator_traitsIS12_E10value_typeET2_T3_PNS13_IS18_E10value_typeET4_jRbjT5_S1E_jjP12ihipStream_tbEUljE_ZNSN_ISO_Lb0ESQ_SR_ST_SU_SY_EESZ_S10_S11_S12_S16_S17_S18_S1B_S1C_jS1D_jS1E_S1E_jjS1G_bEUljE0_EEESZ_S10_S11_S18_S1C_S1E_T6_T7_T9_mT8_S1G_bDpT10_ENKUlT_T0_E_clISt17integral_constantIbLb1EES1T_IbLb0EEEEDaS1P_S1Q_EUlS1P_E_NS1_11comp_targetILNS1_3genE4ELNS1_11target_archE910ELNS1_3gpuE8ELNS1_3repE0EEENS1_30default_config_static_selectorELNS0_4arch9wavefront6targetE0EEEvS12_
                                        ; -- End function
	.set _ZN7rocprim17ROCPRIM_400000_NS6detail17trampoline_kernelINS0_13select_configILj256ELj13ELNS0_17block_load_methodE3ELS4_3ELS4_3ELNS0_20block_scan_algorithmE0ELj4294967295EEENS1_25partition_config_selectorILNS1_17partition_subalgoE4EjNS0_10empty_typeEbEEZZNS1_14partition_implILS8_4ELb0ES6_15HIP_vector_typeIjLj2EENS0_17counting_iteratorIjlEEPS9_SG_NS0_5tupleIJPjSI_NS0_16reverse_iteratorISI_EEEEENSH_IJSG_SG_SG_EEES9_SI_JZNS1_25segmented_radix_sort_implINS0_14default_configELb0EPKdPdPKlPlN2at6native12_GLOBAL__N_18offset_tEEE10hipError_tPvRmT1_PNSt15iterator_traitsIS12_E10value_typeET2_T3_PNS13_IS18_E10value_typeET4_jRbjT5_S1E_jjP12ihipStream_tbEUljE_ZNSN_ISO_Lb0ESQ_SR_ST_SU_SY_EESZ_S10_S11_S12_S16_S17_S18_S1B_S1C_jS1D_jS1E_S1E_jjS1G_bEUljE0_EEESZ_S10_S11_S18_S1C_S1E_T6_T7_T9_mT8_S1G_bDpT10_ENKUlT_T0_E_clISt17integral_constantIbLb1EES1T_IbLb0EEEEDaS1P_S1Q_EUlS1P_E_NS1_11comp_targetILNS1_3genE4ELNS1_11target_archE910ELNS1_3gpuE8ELNS1_3repE0EEENS1_30default_config_static_selectorELNS0_4arch9wavefront6targetE0EEEvS12_.num_vgpr, 0
	.set _ZN7rocprim17ROCPRIM_400000_NS6detail17trampoline_kernelINS0_13select_configILj256ELj13ELNS0_17block_load_methodE3ELS4_3ELS4_3ELNS0_20block_scan_algorithmE0ELj4294967295EEENS1_25partition_config_selectorILNS1_17partition_subalgoE4EjNS0_10empty_typeEbEEZZNS1_14partition_implILS8_4ELb0ES6_15HIP_vector_typeIjLj2EENS0_17counting_iteratorIjlEEPS9_SG_NS0_5tupleIJPjSI_NS0_16reverse_iteratorISI_EEEEENSH_IJSG_SG_SG_EEES9_SI_JZNS1_25segmented_radix_sort_implINS0_14default_configELb0EPKdPdPKlPlN2at6native12_GLOBAL__N_18offset_tEEE10hipError_tPvRmT1_PNSt15iterator_traitsIS12_E10value_typeET2_T3_PNS13_IS18_E10value_typeET4_jRbjT5_S1E_jjP12ihipStream_tbEUljE_ZNSN_ISO_Lb0ESQ_SR_ST_SU_SY_EESZ_S10_S11_S12_S16_S17_S18_S1B_S1C_jS1D_jS1E_S1E_jjS1G_bEUljE0_EEESZ_S10_S11_S18_S1C_S1E_T6_T7_T9_mT8_S1G_bDpT10_ENKUlT_T0_E_clISt17integral_constantIbLb1EES1T_IbLb0EEEEDaS1P_S1Q_EUlS1P_E_NS1_11comp_targetILNS1_3genE4ELNS1_11target_archE910ELNS1_3gpuE8ELNS1_3repE0EEENS1_30default_config_static_selectorELNS0_4arch9wavefront6targetE0EEEvS12_.num_agpr, 0
	.set _ZN7rocprim17ROCPRIM_400000_NS6detail17trampoline_kernelINS0_13select_configILj256ELj13ELNS0_17block_load_methodE3ELS4_3ELS4_3ELNS0_20block_scan_algorithmE0ELj4294967295EEENS1_25partition_config_selectorILNS1_17partition_subalgoE4EjNS0_10empty_typeEbEEZZNS1_14partition_implILS8_4ELb0ES6_15HIP_vector_typeIjLj2EENS0_17counting_iteratorIjlEEPS9_SG_NS0_5tupleIJPjSI_NS0_16reverse_iteratorISI_EEEEENSH_IJSG_SG_SG_EEES9_SI_JZNS1_25segmented_radix_sort_implINS0_14default_configELb0EPKdPdPKlPlN2at6native12_GLOBAL__N_18offset_tEEE10hipError_tPvRmT1_PNSt15iterator_traitsIS12_E10value_typeET2_T3_PNS13_IS18_E10value_typeET4_jRbjT5_S1E_jjP12ihipStream_tbEUljE_ZNSN_ISO_Lb0ESQ_SR_ST_SU_SY_EESZ_S10_S11_S12_S16_S17_S18_S1B_S1C_jS1D_jS1E_S1E_jjS1G_bEUljE0_EEESZ_S10_S11_S18_S1C_S1E_T6_T7_T9_mT8_S1G_bDpT10_ENKUlT_T0_E_clISt17integral_constantIbLb1EES1T_IbLb0EEEEDaS1P_S1Q_EUlS1P_E_NS1_11comp_targetILNS1_3genE4ELNS1_11target_archE910ELNS1_3gpuE8ELNS1_3repE0EEENS1_30default_config_static_selectorELNS0_4arch9wavefront6targetE0EEEvS12_.numbered_sgpr, 0
	.set _ZN7rocprim17ROCPRIM_400000_NS6detail17trampoline_kernelINS0_13select_configILj256ELj13ELNS0_17block_load_methodE3ELS4_3ELS4_3ELNS0_20block_scan_algorithmE0ELj4294967295EEENS1_25partition_config_selectorILNS1_17partition_subalgoE4EjNS0_10empty_typeEbEEZZNS1_14partition_implILS8_4ELb0ES6_15HIP_vector_typeIjLj2EENS0_17counting_iteratorIjlEEPS9_SG_NS0_5tupleIJPjSI_NS0_16reverse_iteratorISI_EEEEENSH_IJSG_SG_SG_EEES9_SI_JZNS1_25segmented_radix_sort_implINS0_14default_configELb0EPKdPdPKlPlN2at6native12_GLOBAL__N_18offset_tEEE10hipError_tPvRmT1_PNSt15iterator_traitsIS12_E10value_typeET2_T3_PNS13_IS18_E10value_typeET4_jRbjT5_S1E_jjP12ihipStream_tbEUljE_ZNSN_ISO_Lb0ESQ_SR_ST_SU_SY_EESZ_S10_S11_S12_S16_S17_S18_S1B_S1C_jS1D_jS1E_S1E_jjS1G_bEUljE0_EEESZ_S10_S11_S18_S1C_S1E_T6_T7_T9_mT8_S1G_bDpT10_ENKUlT_T0_E_clISt17integral_constantIbLb1EES1T_IbLb0EEEEDaS1P_S1Q_EUlS1P_E_NS1_11comp_targetILNS1_3genE4ELNS1_11target_archE910ELNS1_3gpuE8ELNS1_3repE0EEENS1_30default_config_static_selectorELNS0_4arch9wavefront6targetE0EEEvS12_.num_named_barrier, 0
	.set _ZN7rocprim17ROCPRIM_400000_NS6detail17trampoline_kernelINS0_13select_configILj256ELj13ELNS0_17block_load_methodE3ELS4_3ELS4_3ELNS0_20block_scan_algorithmE0ELj4294967295EEENS1_25partition_config_selectorILNS1_17partition_subalgoE4EjNS0_10empty_typeEbEEZZNS1_14partition_implILS8_4ELb0ES6_15HIP_vector_typeIjLj2EENS0_17counting_iteratorIjlEEPS9_SG_NS0_5tupleIJPjSI_NS0_16reverse_iteratorISI_EEEEENSH_IJSG_SG_SG_EEES9_SI_JZNS1_25segmented_radix_sort_implINS0_14default_configELb0EPKdPdPKlPlN2at6native12_GLOBAL__N_18offset_tEEE10hipError_tPvRmT1_PNSt15iterator_traitsIS12_E10value_typeET2_T3_PNS13_IS18_E10value_typeET4_jRbjT5_S1E_jjP12ihipStream_tbEUljE_ZNSN_ISO_Lb0ESQ_SR_ST_SU_SY_EESZ_S10_S11_S12_S16_S17_S18_S1B_S1C_jS1D_jS1E_S1E_jjS1G_bEUljE0_EEESZ_S10_S11_S18_S1C_S1E_T6_T7_T9_mT8_S1G_bDpT10_ENKUlT_T0_E_clISt17integral_constantIbLb1EES1T_IbLb0EEEEDaS1P_S1Q_EUlS1P_E_NS1_11comp_targetILNS1_3genE4ELNS1_11target_archE910ELNS1_3gpuE8ELNS1_3repE0EEENS1_30default_config_static_selectorELNS0_4arch9wavefront6targetE0EEEvS12_.private_seg_size, 0
	.set _ZN7rocprim17ROCPRIM_400000_NS6detail17trampoline_kernelINS0_13select_configILj256ELj13ELNS0_17block_load_methodE3ELS4_3ELS4_3ELNS0_20block_scan_algorithmE0ELj4294967295EEENS1_25partition_config_selectorILNS1_17partition_subalgoE4EjNS0_10empty_typeEbEEZZNS1_14partition_implILS8_4ELb0ES6_15HIP_vector_typeIjLj2EENS0_17counting_iteratorIjlEEPS9_SG_NS0_5tupleIJPjSI_NS0_16reverse_iteratorISI_EEEEENSH_IJSG_SG_SG_EEES9_SI_JZNS1_25segmented_radix_sort_implINS0_14default_configELb0EPKdPdPKlPlN2at6native12_GLOBAL__N_18offset_tEEE10hipError_tPvRmT1_PNSt15iterator_traitsIS12_E10value_typeET2_T3_PNS13_IS18_E10value_typeET4_jRbjT5_S1E_jjP12ihipStream_tbEUljE_ZNSN_ISO_Lb0ESQ_SR_ST_SU_SY_EESZ_S10_S11_S12_S16_S17_S18_S1B_S1C_jS1D_jS1E_S1E_jjS1G_bEUljE0_EEESZ_S10_S11_S18_S1C_S1E_T6_T7_T9_mT8_S1G_bDpT10_ENKUlT_T0_E_clISt17integral_constantIbLb1EES1T_IbLb0EEEEDaS1P_S1Q_EUlS1P_E_NS1_11comp_targetILNS1_3genE4ELNS1_11target_archE910ELNS1_3gpuE8ELNS1_3repE0EEENS1_30default_config_static_selectorELNS0_4arch9wavefront6targetE0EEEvS12_.uses_vcc, 0
	.set _ZN7rocprim17ROCPRIM_400000_NS6detail17trampoline_kernelINS0_13select_configILj256ELj13ELNS0_17block_load_methodE3ELS4_3ELS4_3ELNS0_20block_scan_algorithmE0ELj4294967295EEENS1_25partition_config_selectorILNS1_17partition_subalgoE4EjNS0_10empty_typeEbEEZZNS1_14partition_implILS8_4ELb0ES6_15HIP_vector_typeIjLj2EENS0_17counting_iteratorIjlEEPS9_SG_NS0_5tupleIJPjSI_NS0_16reverse_iteratorISI_EEEEENSH_IJSG_SG_SG_EEES9_SI_JZNS1_25segmented_radix_sort_implINS0_14default_configELb0EPKdPdPKlPlN2at6native12_GLOBAL__N_18offset_tEEE10hipError_tPvRmT1_PNSt15iterator_traitsIS12_E10value_typeET2_T3_PNS13_IS18_E10value_typeET4_jRbjT5_S1E_jjP12ihipStream_tbEUljE_ZNSN_ISO_Lb0ESQ_SR_ST_SU_SY_EESZ_S10_S11_S12_S16_S17_S18_S1B_S1C_jS1D_jS1E_S1E_jjS1G_bEUljE0_EEESZ_S10_S11_S18_S1C_S1E_T6_T7_T9_mT8_S1G_bDpT10_ENKUlT_T0_E_clISt17integral_constantIbLb1EES1T_IbLb0EEEEDaS1P_S1Q_EUlS1P_E_NS1_11comp_targetILNS1_3genE4ELNS1_11target_archE910ELNS1_3gpuE8ELNS1_3repE0EEENS1_30default_config_static_selectorELNS0_4arch9wavefront6targetE0EEEvS12_.uses_flat_scratch, 0
	.set _ZN7rocprim17ROCPRIM_400000_NS6detail17trampoline_kernelINS0_13select_configILj256ELj13ELNS0_17block_load_methodE3ELS4_3ELS4_3ELNS0_20block_scan_algorithmE0ELj4294967295EEENS1_25partition_config_selectorILNS1_17partition_subalgoE4EjNS0_10empty_typeEbEEZZNS1_14partition_implILS8_4ELb0ES6_15HIP_vector_typeIjLj2EENS0_17counting_iteratorIjlEEPS9_SG_NS0_5tupleIJPjSI_NS0_16reverse_iteratorISI_EEEEENSH_IJSG_SG_SG_EEES9_SI_JZNS1_25segmented_radix_sort_implINS0_14default_configELb0EPKdPdPKlPlN2at6native12_GLOBAL__N_18offset_tEEE10hipError_tPvRmT1_PNSt15iterator_traitsIS12_E10value_typeET2_T3_PNS13_IS18_E10value_typeET4_jRbjT5_S1E_jjP12ihipStream_tbEUljE_ZNSN_ISO_Lb0ESQ_SR_ST_SU_SY_EESZ_S10_S11_S12_S16_S17_S18_S1B_S1C_jS1D_jS1E_S1E_jjS1G_bEUljE0_EEESZ_S10_S11_S18_S1C_S1E_T6_T7_T9_mT8_S1G_bDpT10_ENKUlT_T0_E_clISt17integral_constantIbLb1EES1T_IbLb0EEEEDaS1P_S1Q_EUlS1P_E_NS1_11comp_targetILNS1_3genE4ELNS1_11target_archE910ELNS1_3gpuE8ELNS1_3repE0EEENS1_30default_config_static_selectorELNS0_4arch9wavefront6targetE0EEEvS12_.has_dyn_sized_stack, 0
	.set _ZN7rocprim17ROCPRIM_400000_NS6detail17trampoline_kernelINS0_13select_configILj256ELj13ELNS0_17block_load_methodE3ELS4_3ELS4_3ELNS0_20block_scan_algorithmE0ELj4294967295EEENS1_25partition_config_selectorILNS1_17partition_subalgoE4EjNS0_10empty_typeEbEEZZNS1_14partition_implILS8_4ELb0ES6_15HIP_vector_typeIjLj2EENS0_17counting_iteratorIjlEEPS9_SG_NS0_5tupleIJPjSI_NS0_16reverse_iteratorISI_EEEEENSH_IJSG_SG_SG_EEES9_SI_JZNS1_25segmented_radix_sort_implINS0_14default_configELb0EPKdPdPKlPlN2at6native12_GLOBAL__N_18offset_tEEE10hipError_tPvRmT1_PNSt15iterator_traitsIS12_E10value_typeET2_T3_PNS13_IS18_E10value_typeET4_jRbjT5_S1E_jjP12ihipStream_tbEUljE_ZNSN_ISO_Lb0ESQ_SR_ST_SU_SY_EESZ_S10_S11_S12_S16_S17_S18_S1B_S1C_jS1D_jS1E_S1E_jjS1G_bEUljE0_EEESZ_S10_S11_S18_S1C_S1E_T6_T7_T9_mT8_S1G_bDpT10_ENKUlT_T0_E_clISt17integral_constantIbLb1EES1T_IbLb0EEEEDaS1P_S1Q_EUlS1P_E_NS1_11comp_targetILNS1_3genE4ELNS1_11target_archE910ELNS1_3gpuE8ELNS1_3repE0EEENS1_30default_config_static_selectorELNS0_4arch9wavefront6targetE0EEEvS12_.has_recursion, 0
	.set _ZN7rocprim17ROCPRIM_400000_NS6detail17trampoline_kernelINS0_13select_configILj256ELj13ELNS0_17block_load_methodE3ELS4_3ELS4_3ELNS0_20block_scan_algorithmE0ELj4294967295EEENS1_25partition_config_selectorILNS1_17partition_subalgoE4EjNS0_10empty_typeEbEEZZNS1_14partition_implILS8_4ELb0ES6_15HIP_vector_typeIjLj2EENS0_17counting_iteratorIjlEEPS9_SG_NS0_5tupleIJPjSI_NS0_16reverse_iteratorISI_EEEEENSH_IJSG_SG_SG_EEES9_SI_JZNS1_25segmented_radix_sort_implINS0_14default_configELb0EPKdPdPKlPlN2at6native12_GLOBAL__N_18offset_tEEE10hipError_tPvRmT1_PNSt15iterator_traitsIS12_E10value_typeET2_T3_PNS13_IS18_E10value_typeET4_jRbjT5_S1E_jjP12ihipStream_tbEUljE_ZNSN_ISO_Lb0ESQ_SR_ST_SU_SY_EESZ_S10_S11_S12_S16_S17_S18_S1B_S1C_jS1D_jS1E_S1E_jjS1G_bEUljE0_EEESZ_S10_S11_S18_S1C_S1E_T6_T7_T9_mT8_S1G_bDpT10_ENKUlT_T0_E_clISt17integral_constantIbLb1EES1T_IbLb0EEEEDaS1P_S1Q_EUlS1P_E_NS1_11comp_targetILNS1_3genE4ELNS1_11target_archE910ELNS1_3gpuE8ELNS1_3repE0EEENS1_30default_config_static_selectorELNS0_4arch9wavefront6targetE0EEEvS12_.has_indirect_call, 0
	.section	.AMDGPU.csdata,"",@progbits
; Kernel info:
; codeLenInByte = 0
; TotalNumSgprs: 0
; NumVgprs: 0
; ScratchSize: 0
; MemoryBound: 0
; FloatMode: 240
; IeeeMode: 1
; LDSByteSize: 0 bytes/workgroup (compile time only)
; SGPRBlocks: 0
; VGPRBlocks: 0
; NumSGPRsForWavesPerEU: 1
; NumVGPRsForWavesPerEU: 1
; Occupancy: 16
; WaveLimiterHint : 0
; COMPUTE_PGM_RSRC2:SCRATCH_EN: 0
; COMPUTE_PGM_RSRC2:USER_SGPR: 6
; COMPUTE_PGM_RSRC2:TRAP_HANDLER: 0
; COMPUTE_PGM_RSRC2:TGID_X_EN: 1
; COMPUTE_PGM_RSRC2:TGID_Y_EN: 0
; COMPUTE_PGM_RSRC2:TGID_Z_EN: 0
; COMPUTE_PGM_RSRC2:TIDIG_COMP_CNT: 0
	.section	.text._ZN7rocprim17ROCPRIM_400000_NS6detail17trampoline_kernelINS0_13select_configILj256ELj13ELNS0_17block_load_methodE3ELS4_3ELS4_3ELNS0_20block_scan_algorithmE0ELj4294967295EEENS1_25partition_config_selectorILNS1_17partition_subalgoE4EjNS0_10empty_typeEbEEZZNS1_14partition_implILS8_4ELb0ES6_15HIP_vector_typeIjLj2EENS0_17counting_iteratorIjlEEPS9_SG_NS0_5tupleIJPjSI_NS0_16reverse_iteratorISI_EEEEENSH_IJSG_SG_SG_EEES9_SI_JZNS1_25segmented_radix_sort_implINS0_14default_configELb0EPKdPdPKlPlN2at6native12_GLOBAL__N_18offset_tEEE10hipError_tPvRmT1_PNSt15iterator_traitsIS12_E10value_typeET2_T3_PNS13_IS18_E10value_typeET4_jRbjT5_S1E_jjP12ihipStream_tbEUljE_ZNSN_ISO_Lb0ESQ_SR_ST_SU_SY_EESZ_S10_S11_S12_S16_S17_S18_S1B_S1C_jS1D_jS1E_S1E_jjS1G_bEUljE0_EEESZ_S10_S11_S18_S1C_S1E_T6_T7_T9_mT8_S1G_bDpT10_ENKUlT_T0_E_clISt17integral_constantIbLb1EES1T_IbLb0EEEEDaS1P_S1Q_EUlS1P_E_NS1_11comp_targetILNS1_3genE3ELNS1_11target_archE908ELNS1_3gpuE7ELNS1_3repE0EEENS1_30default_config_static_selectorELNS0_4arch9wavefront6targetE0EEEvS12_,"axG",@progbits,_ZN7rocprim17ROCPRIM_400000_NS6detail17trampoline_kernelINS0_13select_configILj256ELj13ELNS0_17block_load_methodE3ELS4_3ELS4_3ELNS0_20block_scan_algorithmE0ELj4294967295EEENS1_25partition_config_selectorILNS1_17partition_subalgoE4EjNS0_10empty_typeEbEEZZNS1_14partition_implILS8_4ELb0ES6_15HIP_vector_typeIjLj2EENS0_17counting_iteratorIjlEEPS9_SG_NS0_5tupleIJPjSI_NS0_16reverse_iteratorISI_EEEEENSH_IJSG_SG_SG_EEES9_SI_JZNS1_25segmented_radix_sort_implINS0_14default_configELb0EPKdPdPKlPlN2at6native12_GLOBAL__N_18offset_tEEE10hipError_tPvRmT1_PNSt15iterator_traitsIS12_E10value_typeET2_T3_PNS13_IS18_E10value_typeET4_jRbjT5_S1E_jjP12ihipStream_tbEUljE_ZNSN_ISO_Lb0ESQ_SR_ST_SU_SY_EESZ_S10_S11_S12_S16_S17_S18_S1B_S1C_jS1D_jS1E_S1E_jjS1G_bEUljE0_EEESZ_S10_S11_S18_S1C_S1E_T6_T7_T9_mT8_S1G_bDpT10_ENKUlT_T0_E_clISt17integral_constantIbLb1EES1T_IbLb0EEEEDaS1P_S1Q_EUlS1P_E_NS1_11comp_targetILNS1_3genE3ELNS1_11target_archE908ELNS1_3gpuE7ELNS1_3repE0EEENS1_30default_config_static_selectorELNS0_4arch9wavefront6targetE0EEEvS12_,comdat
	.globl	_ZN7rocprim17ROCPRIM_400000_NS6detail17trampoline_kernelINS0_13select_configILj256ELj13ELNS0_17block_load_methodE3ELS4_3ELS4_3ELNS0_20block_scan_algorithmE0ELj4294967295EEENS1_25partition_config_selectorILNS1_17partition_subalgoE4EjNS0_10empty_typeEbEEZZNS1_14partition_implILS8_4ELb0ES6_15HIP_vector_typeIjLj2EENS0_17counting_iteratorIjlEEPS9_SG_NS0_5tupleIJPjSI_NS0_16reverse_iteratorISI_EEEEENSH_IJSG_SG_SG_EEES9_SI_JZNS1_25segmented_radix_sort_implINS0_14default_configELb0EPKdPdPKlPlN2at6native12_GLOBAL__N_18offset_tEEE10hipError_tPvRmT1_PNSt15iterator_traitsIS12_E10value_typeET2_T3_PNS13_IS18_E10value_typeET4_jRbjT5_S1E_jjP12ihipStream_tbEUljE_ZNSN_ISO_Lb0ESQ_SR_ST_SU_SY_EESZ_S10_S11_S12_S16_S17_S18_S1B_S1C_jS1D_jS1E_S1E_jjS1G_bEUljE0_EEESZ_S10_S11_S18_S1C_S1E_T6_T7_T9_mT8_S1G_bDpT10_ENKUlT_T0_E_clISt17integral_constantIbLb1EES1T_IbLb0EEEEDaS1P_S1Q_EUlS1P_E_NS1_11comp_targetILNS1_3genE3ELNS1_11target_archE908ELNS1_3gpuE7ELNS1_3repE0EEENS1_30default_config_static_selectorELNS0_4arch9wavefront6targetE0EEEvS12_ ; -- Begin function _ZN7rocprim17ROCPRIM_400000_NS6detail17trampoline_kernelINS0_13select_configILj256ELj13ELNS0_17block_load_methodE3ELS4_3ELS4_3ELNS0_20block_scan_algorithmE0ELj4294967295EEENS1_25partition_config_selectorILNS1_17partition_subalgoE4EjNS0_10empty_typeEbEEZZNS1_14partition_implILS8_4ELb0ES6_15HIP_vector_typeIjLj2EENS0_17counting_iteratorIjlEEPS9_SG_NS0_5tupleIJPjSI_NS0_16reverse_iteratorISI_EEEEENSH_IJSG_SG_SG_EEES9_SI_JZNS1_25segmented_radix_sort_implINS0_14default_configELb0EPKdPdPKlPlN2at6native12_GLOBAL__N_18offset_tEEE10hipError_tPvRmT1_PNSt15iterator_traitsIS12_E10value_typeET2_T3_PNS13_IS18_E10value_typeET4_jRbjT5_S1E_jjP12ihipStream_tbEUljE_ZNSN_ISO_Lb0ESQ_SR_ST_SU_SY_EESZ_S10_S11_S12_S16_S17_S18_S1B_S1C_jS1D_jS1E_S1E_jjS1G_bEUljE0_EEESZ_S10_S11_S18_S1C_S1E_T6_T7_T9_mT8_S1G_bDpT10_ENKUlT_T0_E_clISt17integral_constantIbLb1EES1T_IbLb0EEEEDaS1P_S1Q_EUlS1P_E_NS1_11comp_targetILNS1_3genE3ELNS1_11target_archE908ELNS1_3gpuE7ELNS1_3repE0EEENS1_30default_config_static_selectorELNS0_4arch9wavefront6targetE0EEEvS12_
	.p2align	8
	.type	_ZN7rocprim17ROCPRIM_400000_NS6detail17trampoline_kernelINS0_13select_configILj256ELj13ELNS0_17block_load_methodE3ELS4_3ELS4_3ELNS0_20block_scan_algorithmE0ELj4294967295EEENS1_25partition_config_selectorILNS1_17partition_subalgoE4EjNS0_10empty_typeEbEEZZNS1_14partition_implILS8_4ELb0ES6_15HIP_vector_typeIjLj2EENS0_17counting_iteratorIjlEEPS9_SG_NS0_5tupleIJPjSI_NS0_16reverse_iteratorISI_EEEEENSH_IJSG_SG_SG_EEES9_SI_JZNS1_25segmented_radix_sort_implINS0_14default_configELb0EPKdPdPKlPlN2at6native12_GLOBAL__N_18offset_tEEE10hipError_tPvRmT1_PNSt15iterator_traitsIS12_E10value_typeET2_T3_PNS13_IS18_E10value_typeET4_jRbjT5_S1E_jjP12ihipStream_tbEUljE_ZNSN_ISO_Lb0ESQ_SR_ST_SU_SY_EESZ_S10_S11_S12_S16_S17_S18_S1B_S1C_jS1D_jS1E_S1E_jjS1G_bEUljE0_EEESZ_S10_S11_S18_S1C_S1E_T6_T7_T9_mT8_S1G_bDpT10_ENKUlT_T0_E_clISt17integral_constantIbLb1EES1T_IbLb0EEEEDaS1P_S1Q_EUlS1P_E_NS1_11comp_targetILNS1_3genE3ELNS1_11target_archE908ELNS1_3gpuE7ELNS1_3repE0EEENS1_30default_config_static_selectorELNS0_4arch9wavefront6targetE0EEEvS12_,@function
_ZN7rocprim17ROCPRIM_400000_NS6detail17trampoline_kernelINS0_13select_configILj256ELj13ELNS0_17block_load_methodE3ELS4_3ELS4_3ELNS0_20block_scan_algorithmE0ELj4294967295EEENS1_25partition_config_selectorILNS1_17partition_subalgoE4EjNS0_10empty_typeEbEEZZNS1_14partition_implILS8_4ELb0ES6_15HIP_vector_typeIjLj2EENS0_17counting_iteratorIjlEEPS9_SG_NS0_5tupleIJPjSI_NS0_16reverse_iteratorISI_EEEEENSH_IJSG_SG_SG_EEES9_SI_JZNS1_25segmented_radix_sort_implINS0_14default_configELb0EPKdPdPKlPlN2at6native12_GLOBAL__N_18offset_tEEE10hipError_tPvRmT1_PNSt15iterator_traitsIS12_E10value_typeET2_T3_PNS13_IS18_E10value_typeET4_jRbjT5_S1E_jjP12ihipStream_tbEUljE_ZNSN_ISO_Lb0ESQ_SR_ST_SU_SY_EESZ_S10_S11_S12_S16_S17_S18_S1B_S1C_jS1D_jS1E_S1E_jjS1G_bEUljE0_EEESZ_S10_S11_S18_S1C_S1E_T6_T7_T9_mT8_S1G_bDpT10_ENKUlT_T0_E_clISt17integral_constantIbLb1EES1T_IbLb0EEEEDaS1P_S1Q_EUlS1P_E_NS1_11comp_targetILNS1_3genE3ELNS1_11target_archE908ELNS1_3gpuE7ELNS1_3repE0EEENS1_30default_config_static_selectorELNS0_4arch9wavefront6targetE0EEEvS12_: ; @_ZN7rocprim17ROCPRIM_400000_NS6detail17trampoline_kernelINS0_13select_configILj256ELj13ELNS0_17block_load_methodE3ELS4_3ELS4_3ELNS0_20block_scan_algorithmE0ELj4294967295EEENS1_25partition_config_selectorILNS1_17partition_subalgoE4EjNS0_10empty_typeEbEEZZNS1_14partition_implILS8_4ELb0ES6_15HIP_vector_typeIjLj2EENS0_17counting_iteratorIjlEEPS9_SG_NS0_5tupleIJPjSI_NS0_16reverse_iteratorISI_EEEEENSH_IJSG_SG_SG_EEES9_SI_JZNS1_25segmented_radix_sort_implINS0_14default_configELb0EPKdPdPKlPlN2at6native12_GLOBAL__N_18offset_tEEE10hipError_tPvRmT1_PNSt15iterator_traitsIS12_E10value_typeET2_T3_PNS13_IS18_E10value_typeET4_jRbjT5_S1E_jjP12ihipStream_tbEUljE_ZNSN_ISO_Lb0ESQ_SR_ST_SU_SY_EESZ_S10_S11_S12_S16_S17_S18_S1B_S1C_jS1D_jS1E_S1E_jjS1G_bEUljE0_EEESZ_S10_S11_S18_S1C_S1E_T6_T7_T9_mT8_S1G_bDpT10_ENKUlT_T0_E_clISt17integral_constantIbLb1EES1T_IbLb0EEEEDaS1P_S1Q_EUlS1P_E_NS1_11comp_targetILNS1_3genE3ELNS1_11target_archE908ELNS1_3gpuE7ELNS1_3repE0EEENS1_30default_config_static_selectorELNS0_4arch9wavefront6targetE0EEEvS12_
; %bb.0:
	.section	.rodata,"a",@progbits
	.p2align	6, 0x0
	.amdhsa_kernel _ZN7rocprim17ROCPRIM_400000_NS6detail17trampoline_kernelINS0_13select_configILj256ELj13ELNS0_17block_load_methodE3ELS4_3ELS4_3ELNS0_20block_scan_algorithmE0ELj4294967295EEENS1_25partition_config_selectorILNS1_17partition_subalgoE4EjNS0_10empty_typeEbEEZZNS1_14partition_implILS8_4ELb0ES6_15HIP_vector_typeIjLj2EENS0_17counting_iteratorIjlEEPS9_SG_NS0_5tupleIJPjSI_NS0_16reverse_iteratorISI_EEEEENSH_IJSG_SG_SG_EEES9_SI_JZNS1_25segmented_radix_sort_implINS0_14default_configELb0EPKdPdPKlPlN2at6native12_GLOBAL__N_18offset_tEEE10hipError_tPvRmT1_PNSt15iterator_traitsIS12_E10value_typeET2_T3_PNS13_IS18_E10value_typeET4_jRbjT5_S1E_jjP12ihipStream_tbEUljE_ZNSN_ISO_Lb0ESQ_SR_ST_SU_SY_EESZ_S10_S11_S12_S16_S17_S18_S1B_S1C_jS1D_jS1E_S1E_jjS1G_bEUljE0_EEESZ_S10_S11_S18_S1C_S1E_T6_T7_T9_mT8_S1G_bDpT10_ENKUlT_T0_E_clISt17integral_constantIbLb1EES1T_IbLb0EEEEDaS1P_S1Q_EUlS1P_E_NS1_11comp_targetILNS1_3genE3ELNS1_11target_archE908ELNS1_3gpuE7ELNS1_3repE0EEENS1_30default_config_static_selectorELNS0_4arch9wavefront6targetE0EEEvS12_
		.amdhsa_group_segment_fixed_size 0
		.amdhsa_private_segment_fixed_size 0
		.amdhsa_kernarg_size 176
		.amdhsa_user_sgpr_count 6
		.amdhsa_user_sgpr_private_segment_buffer 1
		.amdhsa_user_sgpr_dispatch_ptr 0
		.amdhsa_user_sgpr_queue_ptr 0
		.amdhsa_user_sgpr_kernarg_segment_ptr 1
		.amdhsa_user_sgpr_dispatch_id 0
		.amdhsa_user_sgpr_flat_scratch_init 0
		.amdhsa_user_sgpr_private_segment_size 0
		.amdhsa_wavefront_size32 1
		.amdhsa_uses_dynamic_stack 0
		.amdhsa_system_sgpr_private_segment_wavefront_offset 0
		.amdhsa_system_sgpr_workgroup_id_x 1
		.amdhsa_system_sgpr_workgroup_id_y 0
		.amdhsa_system_sgpr_workgroup_id_z 0
		.amdhsa_system_sgpr_workgroup_info 0
		.amdhsa_system_vgpr_workitem_id 0
		.amdhsa_next_free_vgpr 1
		.amdhsa_next_free_sgpr 1
		.amdhsa_reserve_vcc 0
		.amdhsa_reserve_flat_scratch 0
		.amdhsa_float_round_mode_32 0
		.amdhsa_float_round_mode_16_64 0
		.amdhsa_float_denorm_mode_32 3
		.amdhsa_float_denorm_mode_16_64 3
		.amdhsa_dx10_clamp 1
		.amdhsa_ieee_mode 1
		.amdhsa_fp16_overflow 0
		.amdhsa_workgroup_processor_mode 1
		.amdhsa_memory_ordered 1
		.amdhsa_forward_progress 1
		.amdhsa_shared_vgpr_count 0
		.amdhsa_exception_fp_ieee_invalid_op 0
		.amdhsa_exception_fp_denorm_src 0
		.amdhsa_exception_fp_ieee_div_zero 0
		.amdhsa_exception_fp_ieee_overflow 0
		.amdhsa_exception_fp_ieee_underflow 0
		.amdhsa_exception_fp_ieee_inexact 0
		.amdhsa_exception_int_div_zero 0
	.end_amdhsa_kernel
	.section	.text._ZN7rocprim17ROCPRIM_400000_NS6detail17trampoline_kernelINS0_13select_configILj256ELj13ELNS0_17block_load_methodE3ELS4_3ELS4_3ELNS0_20block_scan_algorithmE0ELj4294967295EEENS1_25partition_config_selectorILNS1_17partition_subalgoE4EjNS0_10empty_typeEbEEZZNS1_14partition_implILS8_4ELb0ES6_15HIP_vector_typeIjLj2EENS0_17counting_iteratorIjlEEPS9_SG_NS0_5tupleIJPjSI_NS0_16reverse_iteratorISI_EEEEENSH_IJSG_SG_SG_EEES9_SI_JZNS1_25segmented_radix_sort_implINS0_14default_configELb0EPKdPdPKlPlN2at6native12_GLOBAL__N_18offset_tEEE10hipError_tPvRmT1_PNSt15iterator_traitsIS12_E10value_typeET2_T3_PNS13_IS18_E10value_typeET4_jRbjT5_S1E_jjP12ihipStream_tbEUljE_ZNSN_ISO_Lb0ESQ_SR_ST_SU_SY_EESZ_S10_S11_S12_S16_S17_S18_S1B_S1C_jS1D_jS1E_S1E_jjS1G_bEUljE0_EEESZ_S10_S11_S18_S1C_S1E_T6_T7_T9_mT8_S1G_bDpT10_ENKUlT_T0_E_clISt17integral_constantIbLb1EES1T_IbLb0EEEEDaS1P_S1Q_EUlS1P_E_NS1_11comp_targetILNS1_3genE3ELNS1_11target_archE908ELNS1_3gpuE7ELNS1_3repE0EEENS1_30default_config_static_selectorELNS0_4arch9wavefront6targetE0EEEvS12_,"axG",@progbits,_ZN7rocprim17ROCPRIM_400000_NS6detail17trampoline_kernelINS0_13select_configILj256ELj13ELNS0_17block_load_methodE3ELS4_3ELS4_3ELNS0_20block_scan_algorithmE0ELj4294967295EEENS1_25partition_config_selectorILNS1_17partition_subalgoE4EjNS0_10empty_typeEbEEZZNS1_14partition_implILS8_4ELb0ES6_15HIP_vector_typeIjLj2EENS0_17counting_iteratorIjlEEPS9_SG_NS0_5tupleIJPjSI_NS0_16reverse_iteratorISI_EEEEENSH_IJSG_SG_SG_EEES9_SI_JZNS1_25segmented_radix_sort_implINS0_14default_configELb0EPKdPdPKlPlN2at6native12_GLOBAL__N_18offset_tEEE10hipError_tPvRmT1_PNSt15iterator_traitsIS12_E10value_typeET2_T3_PNS13_IS18_E10value_typeET4_jRbjT5_S1E_jjP12ihipStream_tbEUljE_ZNSN_ISO_Lb0ESQ_SR_ST_SU_SY_EESZ_S10_S11_S12_S16_S17_S18_S1B_S1C_jS1D_jS1E_S1E_jjS1G_bEUljE0_EEESZ_S10_S11_S18_S1C_S1E_T6_T7_T9_mT8_S1G_bDpT10_ENKUlT_T0_E_clISt17integral_constantIbLb1EES1T_IbLb0EEEEDaS1P_S1Q_EUlS1P_E_NS1_11comp_targetILNS1_3genE3ELNS1_11target_archE908ELNS1_3gpuE7ELNS1_3repE0EEENS1_30default_config_static_selectorELNS0_4arch9wavefront6targetE0EEEvS12_,comdat
.Lfunc_end1168:
	.size	_ZN7rocprim17ROCPRIM_400000_NS6detail17trampoline_kernelINS0_13select_configILj256ELj13ELNS0_17block_load_methodE3ELS4_3ELS4_3ELNS0_20block_scan_algorithmE0ELj4294967295EEENS1_25partition_config_selectorILNS1_17partition_subalgoE4EjNS0_10empty_typeEbEEZZNS1_14partition_implILS8_4ELb0ES6_15HIP_vector_typeIjLj2EENS0_17counting_iteratorIjlEEPS9_SG_NS0_5tupleIJPjSI_NS0_16reverse_iteratorISI_EEEEENSH_IJSG_SG_SG_EEES9_SI_JZNS1_25segmented_radix_sort_implINS0_14default_configELb0EPKdPdPKlPlN2at6native12_GLOBAL__N_18offset_tEEE10hipError_tPvRmT1_PNSt15iterator_traitsIS12_E10value_typeET2_T3_PNS13_IS18_E10value_typeET4_jRbjT5_S1E_jjP12ihipStream_tbEUljE_ZNSN_ISO_Lb0ESQ_SR_ST_SU_SY_EESZ_S10_S11_S12_S16_S17_S18_S1B_S1C_jS1D_jS1E_S1E_jjS1G_bEUljE0_EEESZ_S10_S11_S18_S1C_S1E_T6_T7_T9_mT8_S1G_bDpT10_ENKUlT_T0_E_clISt17integral_constantIbLb1EES1T_IbLb0EEEEDaS1P_S1Q_EUlS1P_E_NS1_11comp_targetILNS1_3genE3ELNS1_11target_archE908ELNS1_3gpuE7ELNS1_3repE0EEENS1_30default_config_static_selectorELNS0_4arch9wavefront6targetE0EEEvS12_, .Lfunc_end1168-_ZN7rocprim17ROCPRIM_400000_NS6detail17trampoline_kernelINS0_13select_configILj256ELj13ELNS0_17block_load_methodE3ELS4_3ELS4_3ELNS0_20block_scan_algorithmE0ELj4294967295EEENS1_25partition_config_selectorILNS1_17partition_subalgoE4EjNS0_10empty_typeEbEEZZNS1_14partition_implILS8_4ELb0ES6_15HIP_vector_typeIjLj2EENS0_17counting_iteratorIjlEEPS9_SG_NS0_5tupleIJPjSI_NS0_16reverse_iteratorISI_EEEEENSH_IJSG_SG_SG_EEES9_SI_JZNS1_25segmented_radix_sort_implINS0_14default_configELb0EPKdPdPKlPlN2at6native12_GLOBAL__N_18offset_tEEE10hipError_tPvRmT1_PNSt15iterator_traitsIS12_E10value_typeET2_T3_PNS13_IS18_E10value_typeET4_jRbjT5_S1E_jjP12ihipStream_tbEUljE_ZNSN_ISO_Lb0ESQ_SR_ST_SU_SY_EESZ_S10_S11_S12_S16_S17_S18_S1B_S1C_jS1D_jS1E_S1E_jjS1G_bEUljE0_EEESZ_S10_S11_S18_S1C_S1E_T6_T7_T9_mT8_S1G_bDpT10_ENKUlT_T0_E_clISt17integral_constantIbLb1EES1T_IbLb0EEEEDaS1P_S1Q_EUlS1P_E_NS1_11comp_targetILNS1_3genE3ELNS1_11target_archE908ELNS1_3gpuE7ELNS1_3repE0EEENS1_30default_config_static_selectorELNS0_4arch9wavefront6targetE0EEEvS12_
                                        ; -- End function
	.set _ZN7rocprim17ROCPRIM_400000_NS6detail17trampoline_kernelINS0_13select_configILj256ELj13ELNS0_17block_load_methodE3ELS4_3ELS4_3ELNS0_20block_scan_algorithmE0ELj4294967295EEENS1_25partition_config_selectorILNS1_17partition_subalgoE4EjNS0_10empty_typeEbEEZZNS1_14partition_implILS8_4ELb0ES6_15HIP_vector_typeIjLj2EENS0_17counting_iteratorIjlEEPS9_SG_NS0_5tupleIJPjSI_NS0_16reverse_iteratorISI_EEEEENSH_IJSG_SG_SG_EEES9_SI_JZNS1_25segmented_radix_sort_implINS0_14default_configELb0EPKdPdPKlPlN2at6native12_GLOBAL__N_18offset_tEEE10hipError_tPvRmT1_PNSt15iterator_traitsIS12_E10value_typeET2_T3_PNS13_IS18_E10value_typeET4_jRbjT5_S1E_jjP12ihipStream_tbEUljE_ZNSN_ISO_Lb0ESQ_SR_ST_SU_SY_EESZ_S10_S11_S12_S16_S17_S18_S1B_S1C_jS1D_jS1E_S1E_jjS1G_bEUljE0_EEESZ_S10_S11_S18_S1C_S1E_T6_T7_T9_mT8_S1G_bDpT10_ENKUlT_T0_E_clISt17integral_constantIbLb1EES1T_IbLb0EEEEDaS1P_S1Q_EUlS1P_E_NS1_11comp_targetILNS1_3genE3ELNS1_11target_archE908ELNS1_3gpuE7ELNS1_3repE0EEENS1_30default_config_static_selectorELNS0_4arch9wavefront6targetE0EEEvS12_.num_vgpr, 0
	.set _ZN7rocprim17ROCPRIM_400000_NS6detail17trampoline_kernelINS0_13select_configILj256ELj13ELNS0_17block_load_methodE3ELS4_3ELS4_3ELNS0_20block_scan_algorithmE0ELj4294967295EEENS1_25partition_config_selectorILNS1_17partition_subalgoE4EjNS0_10empty_typeEbEEZZNS1_14partition_implILS8_4ELb0ES6_15HIP_vector_typeIjLj2EENS0_17counting_iteratorIjlEEPS9_SG_NS0_5tupleIJPjSI_NS0_16reverse_iteratorISI_EEEEENSH_IJSG_SG_SG_EEES9_SI_JZNS1_25segmented_radix_sort_implINS0_14default_configELb0EPKdPdPKlPlN2at6native12_GLOBAL__N_18offset_tEEE10hipError_tPvRmT1_PNSt15iterator_traitsIS12_E10value_typeET2_T3_PNS13_IS18_E10value_typeET4_jRbjT5_S1E_jjP12ihipStream_tbEUljE_ZNSN_ISO_Lb0ESQ_SR_ST_SU_SY_EESZ_S10_S11_S12_S16_S17_S18_S1B_S1C_jS1D_jS1E_S1E_jjS1G_bEUljE0_EEESZ_S10_S11_S18_S1C_S1E_T6_T7_T9_mT8_S1G_bDpT10_ENKUlT_T0_E_clISt17integral_constantIbLb1EES1T_IbLb0EEEEDaS1P_S1Q_EUlS1P_E_NS1_11comp_targetILNS1_3genE3ELNS1_11target_archE908ELNS1_3gpuE7ELNS1_3repE0EEENS1_30default_config_static_selectorELNS0_4arch9wavefront6targetE0EEEvS12_.num_agpr, 0
	.set _ZN7rocprim17ROCPRIM_400000_NS6detail17trampoline_kernelINS0_13select_configILj256ELj13ELNS0_17block_load_methodE3ELS4_3ELS4_3ELNS0_20block_scan_algorithmE0ELj4294967295EEENS1_25partition_config_selectorILNS1_17partition_subalgoE4EjNS0_10empty_typeEbEEZZNS1_14partition_implILS8_4ELb0ES6_15HIP_vector_typeIjLj2EENS0_17counting_iteratorIjlEEPS9_SG_NS0_5tupleIJPjSI_NS0_16reverse_iteratorISI_EEEEENSH_IJSG_SG_SG_EEES9_SI_JZNS1_25segmented_radix_sort_implINS0_14default_configELb0EPKdPdPKlPlN2at6native12_GLOBAL__N_18offset_tEEE10hipError_tPvRmT1_PNSt15iterator_traitsIS12_E10value_typeET2_T3_PNS13_IS18_E10value_typeET4_jRbjT5_S1E_jjP12ihipStream_tbEUljE_ZNSN_ISO_Lb0ESQ_SR_ST_SU_SY_EESZ_S10_S11_S12_S16_S17_S18_S1B_S1C_jS1D_jS1E_S1E_jjS1G_bEUljE0_EEESZ_S10_S11_S18_S1C_S1E_T6_T7_T9_mT8_S1G_bDpT10_ENKUlT_T0_E_clISt17integral_constantIbLb1EES1T_IbLb0EEEEDaS1P_S1Q_EUlS1P_E_NS1_11comp_targetILNS1_3genE3ELNS1_11target_archE908ELNS1_3gpuE7ELNS1_3repE0EEENS1_30default_config_static_selectorELNS0_4arch9wavefront6targetE0EEEvS12_.numbered_sgpr, 0
	.set _ZN7rocprim17ROCPRIM_400000_NS6detail17trampoline_kernelINS0_13select_configILj256ELj13ELNS0_17block_load_methodE3ELS4_3ELS4_3ELNS0_20block_scan_algorithmE0ELj4294967295EEENS1_25partition_config_selectorILNS1_17partition_subalgoE4EjNS0_10empty_typeEbEEZZNS1_14partition_implILS8_4ELb0ES6_15HIP_vector_typeIjLj2EENS0_17counting_iteratorIjlEEPS9_SG_NS0_5tupleIJPjSI_NS0_16reverse_iteratorISI_EEEEENSH_IJSG_SG_SG_EEES9_SI_JZNS1_25segmented_radix_sort_implINS0_14default_configELb0EPKdPdPKlPlN2at6native12_GLOBAL__N_18offset_tEEE10hipError_tPvRmT1_PNSt15iterator_traitsIS12_E10value_typeET2_T3_PNS13_IS18_E10value_typeET4_jRbjT5_S1E_jjP12ihipStream_tbEUljE_ZNSN_ISO_Lb0ESQ_SR_ST_SU_SY_EESZ_S10_S11_S12_S16_S17_S18_S1B_S1C_jS1D_jS1E_S1E_jjS1G_bEUljE0_EEESZ_S10_S11_S18_S1C_S1E_T6_T7_T9_mT8_S1G_bDpT10_ENKUlT_T0_E_clISt17integral_constantIbLb1EES1T_IbLb0EEEEDaS1P_S1Q_EUlS1P_E_NS1_11comp_targetILNS1_3genE3ELNS1_11target_archE908ELNS1_3gpuE7ELNS1_3repE0EEENS1_30default_config_static_selectorELNS0_4arch9wavefront6targetE0EEEvS12_.num_named_barrier, 0
	.set _ZN7rocprim17ROCPRIM_400000_NS6detail17trampoline_kernelINS0_13select_configILj256ELj13ELNS0_17block_load_methodE3ELS4_3ELS4_3ELNS0_20block_scan_algorithmE0ELj4294967295EEENS1_25partition_config_selectorILNS1_17partition_subalgoE4EjNS0_10empty_typeEbEEZZNS1_14partition_implILS8_4ELb0ES6_15HIP_vector_typeIjLj2EENS0_17counting_iteratorIjlEEPS9_SG_NS0_5tupleIJPjSI_NS0_16reverse_iteratorISI_EEEEENSH_IJSG_SG_SG_EEES9_SI_JZNS1_25segmented_radix_sort_implINS0_14default_configELb0EPKdPdPKlPlN2at6native12_GLOBAL__N_18offset_tEEE10hipError_tPvRmT1_PNSt15iterator_traitsIS12_E10value_typeET2_T3_PNS13_IS18_E10value_typeET4_jRbjT5_S1E_jjP12ihipStream_tbEUljE_ZNSN_ISO_Lb0ESQ_SR_ST_SU_SY_EESZ_S10_S11_S12_S16_S17_S18_S1B_S1C_jS1D_jS1E_S1E_jjS1G_bEUljE0_EEESZ_S10_S11_S18_S1C_S1E_T6_T7_T9_mT8_S1G_bDpT10_ENKUlT_T0_E_clISt17integral_constantIbLb1EES1T_IbLb0EEEEDaS1P_S1Q_EUlS1P_E_NS1_11comp_targetILNS1_3genE3ELNS1_11target_archE908ELNS1_3gpuE7ELNS1_3repE0EEENS1_30default_config_static_selectorELNS0_4arch9wavefront6targetE0EEEvS12_.private_seg_size, 0
	.set _ZN7rocprim17ROCPRIM_400000_NS6detail17trampoline_kernelINS0_13select_configILj256ELj13ELNS0_17block_load_methodE3ELS4_3ELS4_3ELNS0_20block_scan_algorithmE0ELj4294967295EEENS1_25partition_config_selectorILNS1_17partition_subalgoE4EjNS0_10empty_typeEbEEZZNS1_14partition_implILS8_4ELb0ES6_15HIP_vector_typeIjLj2EENS0_17counting_iteratorIjlEEPS9_SG_NS0_5tupleIJPjSI_NS0_16reverse_iteratorISI_EEEEENSH_IJSG_SG_SG_EEES9_SI_JZNS1_25segmented_radix_sort_implINS0_14default_configELb0EPKdPdPKlPlN2at6native12_GLOBAL__N_18offset_tEEE10hipError_tPvRmT1_PNSt15iterator_traitsIS12_E10value_typeET2_T3_PNS13_IS18_E10value_typeET4_jRbjT5_S1E_jjP12ihipStream_tbEUljE_ZNSN_ISO_Lb0ESQ_SR_ST_SU_SY_EESZ_S10_S11_S12_S16_S17_S18_S1B_S1C_jS1D_jS1E_S1E_jjS1G_bEUljE0_EEESZ_S10_S11_S18_S1C_S1E_T6_T7_T9_mT8_S1G_bDpT10_ENKUlT_T0_E_clISt17integral_constantIbLb1EES1T_IbLb0EEEEDaS1P_S1Q_EUlS1P_E_NS1_11comp_targetILNS1_3genE3ELNS1_11target_archE908ELNS1_3gpuE7ELNS1_3repE0EEENS1_30default_config_static_selectorELNS0_4arch9wavefront6targetE0EEEvS12_.uses_vcc, 0
	.set _ZN7rocprim17ROCPRIM_400000_NS6detail17trampoline_kernelINS0_13select_configILj256ELj13ELNS0_17block_load_methodE3ELS4_3ELS4_3ELNS0_20block_scan_algorithmE0ELj4294967295EEENS1_25partition_config_selectorILNS1_17partition_subalgoE4EjNS0_10empty_typeEbEEZZNS1_14partition_implILS8_4ELb0ES6_15HIP_vector_typeIjLj2EENS0_17counting_iteratorIjlEEPS9_SG_NS0_5tupleIJPjSI_NS0_16reverse_iteratorISI_EEEEENSH_IJSG_SG_SG_EEES9_SI_JZNS1_25segmented_radix_sort_implINS0_14default_configELb0EPKdPdPKlPlN2at6native12_GLOBAL__N_18offset_tEEE10hipError_tPvRmT1_PNSt15iterator_traitsIS12_E10value_typeET2_T3_PNS13_IS18_E10value_typeET4_jRbjT5_S1E_jjP12ihipStream_tbEUljE_ZNSN_ISO_Lb0ESQ_SR_ST_SU_SY_EESZ_S10_S11_S12_S16_S17_S18_S1B_S1C_jS1D_jS1E_S1E_jjS1G_bEUljE0_EEESZ_S10_S11_S18_S1C_S1E_T6_T7_T9_mT8_S1G_bDpT10_ENKUlT_T0_E_clISt17integral_constantIbLb1EES1T_IbLb0EEEEDaS1P_S1Q_EUlS1P_E_NS1_11comp_targetILNS1_3genE3ELNS1_11target_archE908ELNS1_3gpuE7ELNS1_3repE0EEENS1_30default_config_static_selectorELNS0_4arch9wavefront6targetE0EEEvS12_.uses_flat_scratch, 0
	.set _ZN7rocprim17ROCPRIM_400000_NS6detail17trampoline_kernelINS0_13select_configILj256ELj13ELNS0_17block_load_methodE3ELS4_3ELS4_3ELNS0_20block_scan_algorithmE0ELj4294967295EEENS1_25partition_config_selectorILNS1_17partition_subalgoE4EjNS0_10empty_typeEbEEZZNS1_14partition_implILS8_4ELb0ES6_15HIP_vector_typeIjLj2EENS0_17counting_iteratorIjlEEPS9_SG_NS0_5tupleIJPjSI_NS0_16reverse_iteratorISI_EEEEENSH_IJSG_SG_SG_EEES9_SI_JZNS1_25segmented_radix_sort_implINS0_14default_configELb0EPKdPdPKlPlN2at6native12_GLOBAL__N_18offset_tEEE10hipError_tPvRmT1_PNSt15iterator_traitsIS12_E10value_typeET2_T3_PNS13_IS18_E10value_typeET4_jRbjT5_S1E_jjP12ihipStream_tbEUljE_ZNSN_ISO_Lb0ESQ_SR_ST_SU_SY_EESZ_S10_S11_S12_S16_S17_S18_S1B_S1C_jS1D_jS1E_S1E_jjS1G_bEUljE0_EEESZ_S10_S11_S18_S1C_S1E_T6_T7_T9_mT8_S1G_bDpT10_ENKUlT_T0_E_clISt17integral_constantIbLb1EES1T_IbLb0EEEEDaS1P_S1Q_EUlS1P_E_NS1_11comp_targetILNS1_3genE3ELNS1_11target_archE908ELNS1_3gpuE7ELNS1_3repE0EEENS1_30default_config_static_selectorELNS0_4arch9wavefront6targetE0EEEvS12_.has_dyn_sized_stack, 0
	.set _ZN7rocprim17ROCPRIM_400000_NS6detail17trampoline_kernelINS0_13select_configILj256ELj13ELNS0_17block_load_methodE3ELS4_3ELS4_3ELNS0_20block_scan_algorithmE0ELj4294967295EEENS1_25partition_config_selectorILNS1_17partition_subalgoE4EjNS0_10empty_typeEbEEZZNS1_14partition_implILS8_4ELb0ES6_15HIP_vector_typeIjLj2EENS0_17counting_iteratorIjlEEPS9_SG_NS0_5tupleIJPjSI_NS0_16reverse_iteratorISI_EEEEENSH_IJSG_SG_SG_EEES9_SI_JZNS1_25segmented_radix_sort_implINS0_14default_configELb0EPKdPdPKlPlN2at6native12_GLOBAL__N_18offset_tEEE10hipError_tPvRmT1_PNSt15iterator_traitsIS12_E10value_typeET2_T3_PNS13_IS18_E10value_typeET4_jRbjT5_S1E_jjP12ihipStream_tbEUljE_ZNSN_ISO_Lb0ESQ_SR_ST_SU_SY_EESZ_S10_S11_S12_S16_S17_S18_S1B_S1C_jS1D_jS1E_S1E_jjS1G_bEUljE0_EEESZ_S10_S11_S18_S1C_S1E_T6_T7_T9_mT8_S1G_bDpT10_ENKUlT_T0_E_clISt17integral_constantIbLb1EES1T_IbLb0EEEEDaS1P_S1Q_EUlS1P_E_NS1_11comp_targetILNS1_3genE3ELNS1_11target_archE908ELNS1_3gpuE7ELNS1_3repE0EEENS1_30default_config_static_selectorELNS0_4arch9wavefront6targetE0EEEvS12_.has_recursion, 0
	.set _ZN7rocprim17ROCPRIM_400000_NS6detail17trampoline_kernelINS0_13select_configILj256ELj13ELNS0_17block_load_methodE3ELS4_3ELS4_3ELNS0_20block_scan_algorithmE0ELj4294967295EEENS1_25partition_config_selectorILNS1_17partition_subalgoE4EjNS0_10empty_typeEbEEZZNS1_14partition_implILS8_4ELb0ES6_15HIP_vector_typeIjLj2EENS0_17counting_iteratorIjlEEPS9_SG_NS0_5tupleIJPjSI_NS0_16reverse_iteratorISI_EEEEENSH_IJSG_SG_SG_EEES9_SI_JZNS1_25segmented_radix_sort_implINS0_14default_configELb0EPKdPdPKlPlN2at6native12_GLOBAL__N_18offset_tEEE10hipError_tPvRmT1_PNSt15iterator_traitsIS12_E10value_typeET2_T3_PNS13_IS18_E10value_typeET4_jRbjT5_S1E_jjP12ihipStream_tbEUljE_ZNSN_ISO_Lb0ESQ_SR_ST_SU_SY_EESZ_S10_S11_S12_S16_S17_S18_S1B_S1C_jS1D_jS1E_S1E_jjS1G_bEUljE0_EEESZ_S10_S11_S18_S1C_S1E_T6_T7_T9_mT8_S1G_bDpT10_ENKUlT_T0_E_clISt17integral_constantIbLb1EES1T_IbLb0EEEEDaS1P_S1Q_EUlS1P_E_NS1_11comp_targetILNS1_3genE3ELNS1_11target_archE908ELNS1_3gpuE7ELNS1_3repE0EEENS1_30default_config_static_selectorELNS0_4arch9wavefront6targetE0EEEvS12_.has_indirect_call, 0
	.section	.AMDGPU.csdata,"",@progbits
; Kernel info:
; codeLenInByte = 0
; TotalNumSgprs: 0
; NumVgprs: 0
; ScratchSize: 0
; MemoryBound: 0
; FloatMode: 240
; IeeeMode: 1
; LDSByteSize: 0 bytes/workgroup (compile time only)
; SGPRBlocks: 0
; VGPRBlocks: 0
; NumSGPRsForWavesPerEU: 1
; NumVGPRsForWavesPerEU: 1
; Occupancy: 16
; WaveLimiterHint : 0
; COMPUTE_PGM_RSRC2:SCRATCH_EN: 0
; COMPUTE_PGM_RSRC2:USER_SGPR: 6
; COMPUTE_PGM_RSRC2:TRAP_HANDLER: 0
; COMPUTE_PGM_RSRC2:TGID_X_EN: 1
; COMPUTE_PGM_RSRC2:TGID_Y_EN: 0
; COMPUTE_PGM_RSRC2:TGID_Z_EN: 0
; COMPUTE_PGM_RSRC2:TIDIG_COMP_CNT: 0
	.section	.text._ZN7rocprim17ROCPRIM_400000_NS6detail17trampoline_kernelINS0_13select_configILj256ELj13ELNS0_17block_load_methodE3ELS4_3ELS4_3ELNS0_20block_scan_algorithmE0ELj4294967295EEENS1_25partition_config_selectorILNS1_17partition_subalgoE4EjNS0_10empty_typeEbEEZZNS1_14partition_implILS8_4ELb0ES6_15HIP_vector_typeIjLj2EENS0_17counting_iteratorIjlEEPS9_SG_NS0_5tupleIJPjSI_NS0_16reverse_iteratorISI_EEEEENSH_IJSG_SG_SG_EEES9_SI_JZNS1_25segmented_radix_sort_implINS0_14default_configELb0EPKdPdPKlPlN2at6native12_GLOBAL__N_18offset_tEEE10hipError_tPvRmT1_PNSt15iterator_traitsIS12_E10value_typeET2_T3_PNS13_IS18_E10value_typeET4_jRbjT5_S1E_jjP12ihipStream_tbEUljE_ZNSN_ISO_Lb0ESQ_SR_ST_SU_SY_EESZ_S10_S11_S12_S16_S17_S18_S1B_S1C_jS1D_jS1E_S1E_jjS1G_bEUljE0_EEESZ_S10_S11_S18_S1C_S1E_T6_T7_T9_mT8_S1G_bDpT10_ENKUlT_T0_E_clISt17integral_constantIbLb1EES1T_IbLb0EEEEDaS1P_S1Q_EUlS1P_E_NS1_11comp_targetILNS1_3genE2ELNS1_11target_archE906ELNS1_3gpuE6ELNS1_3repE0EEENS1_30default_config_static_selectorELNS0_4arch9wavefront6targetE0EEEvS12_,"axG",@progbits,_ZN7rocprim17ROCPRIM_400000_NS6detail17trampoline_kernelINS0_13select_configILj256ELj13ELNS0_17block_load_methodE3ELS4_3ELS4_3ELNS0_20block_scan_algorithmE0ELj4294967295EEENS1_25partition_config_selectorILNS1_17partition_subalgoE4EjNS0_10empty_typeEbEEZZNS1_14partition_implILS8_4ELb0ES6_15HIP_vector_typeIjLj2EENS0_17counting_iteratorIjlEEPS9_SG_NS0_5tupleIJPjSI_NS0_16reverse_iteratorISI_EEEEENSH_IJSG_SG_SG_EEES9_SI_JZNS1_25segmented_radix_sort_implINS0_14default_configELb0EPKdPdPKlPlN2at6native12_GLOBAL__N_18offset_tEEE10hipError_tPvRmT1_PNSt15iterator_traitsIS12_E10value_typeET2_T3_PNS13_IS18_E10value_typeET4_jRbjT5_S1E_jjP12ihipStream_tbEUljE_ZNSN_ISO_Lb0ESQ_SR_ST_SU_SY_EESZ_S10_S11_S12_S16_S17_S18_S1B_S1C_jS1D_jS1E_S1E_jjS1G_bEUljE0_EEESZ_S10_S11_S18_S1C_S1E_T6_T7_T9_mT8_S1G_bDpT10_ENKUlT_T0_E_clISt17integral_constantIbLb1EES1T_IbLb0EEEEDaS1P_S1Q_EUlS1P_E_NS1_11comp_targetILNS1_3genE2ELNS1_11target_archE906ELNS1_3gpuE6ELNS1_3repE0EEENS1_30default_config_static_selectorELNS0_4arch9wavefront6targetE0EEEvS12_,comdat
	.globl	_ZN7rocprim17ROCPRIM_400000_NS6detail17trampoline_kernelINS0_13select_configILj256ELj13ELNS0_17block_load_methodE3ELS4_3ELS4_3ELNS0_20block_scan_algorithmE0ELj4294967295EEENS1_25partition_config_selectorILNS1_17partition_subalgoE4EjNS0_10empty_typeEbEEZZNS1_14partition_implILS8_4ELb0ES6_15HIP_vector_typeIjLj2EENS0_17counting_iteratorIjlEEPS9_SG_NS0_5tupleIJPjSI_NS0_16reverse_iteratorISI_EEEEENSH_IJSG_SG_SG_EEES9_SI_JZNS1_25segmented_radix_sort_implINS0_14default_configELb0EPKdPdPKlPlN2at6native12_GLOBAL__N_18offset_tEEE10hipError_tPvRmT1_PNSt15iterator_traitsIS12_E10value_typeET2_T3_PNS13_IS18_E10value_typeET4_jRbjT5_S1E_jjP12ihipStream_tbEUljE_ZNSN_ISO_Lb0ESQ_SR_ST_SU_SY_EESZ_S10_S11_S12_S16_S17_S18_S1B_S1C_jS1D_jS1E_S1E_jjS1G_bEUljE0_EEESZ_S10_S11_S18_S1C_S1E_T6_T7_T9_mT8_S1G_bDpT10_ENKUlT_T0_E_clISt17integral_constantIbLb1EES1T_IbLb0EEEEDaS1P_S1Q_EUlS1P_E_NS1_11comp_targetILNS1_3genE2ELNS1_11target_archE906ELNS1_3gpuE6ELNS1_3repE0EEENS1_30default_config_static_selectorELNS0_4arch9wavefront6targetE0EEEvS12_ ; -- Begin function _ZN7rocprim17ROCPRIM_400000_NS6detail17trampoline_kernelINS0_13select_configILj256ELj13ELNS0_17block_load_methodE3ELS4_3ELS4_3ELNS0_20block_scan_algorithmE0ELj4294967295EEENS1_25partition_config_selectorILNS1_17partition_subalgoE4EjNS0_10empty_typeEbEEZZNS1_14partition_implILS8_4ELb0ES6_15HIP_vector_typeIjLj2EENS0_17counting_iteratorIjlEEPS9_SG_NS0_5tupleIJPjSI_NS0_16reverse_iteratorISI_EEEEENSH_IJSG_SG_SG_EEES9_SI_JZNS1_25segmented_radix_sort_implINS0_14default_configELb0EPKdPdPKlPlN2at6native12_GLOBAL__N_18offset_tEEE10hipError_tPvRmT1_PNSt15iterator_traitsIS12_E10value_typeET2_T3_PNS13_IS18_E10value_typeET4_jRbjT5_S1E_jjP12ihipStream_tbEUljE_ZNSN_ISO_Lb0ESQ_SR_ST_SU_SY_EESZ_S10_S11_S12_S16_S17_S18_S1B_S1C_jS1D_jS1E_S1E_jjS1G_bEUljE0_EEESZ_S10_S11_S18_S1C_S1E_T6_T7_T9_mT8_S1G_bDpT10_ENKUlT_T0_E_clISt17integral_constantIbLb1EES1T_IbLb0EEEEDaS1P_S1Q_EUlS1P_E_NS1_11comp_targetILNS1_3genE2ELNS1_11target_archE906ELNS1_3gpuE6ELNS1_3repE0EEENS1_30default_config_static_selectorELNS0_4arch9wavefront6targetE0EEEvS12_
	.p2align	8
	.type	_ZN7rocprim17ROCPRIM_400000_NS6detail17trampoline_kernelINS0_13select_configILj256ELj13ELNS0_17block_load_methodE3ELS4_3ELS4_3ELNS0_20block_scan_algorithmE0ELj4294967295EEENS1_25partition_config_selectorILNS1_17partition_subalgoE4EjNS0_10empty_typeEbEEZZNS1_14partition_implILS8_4ELb0ES6_15HIP_vector_typeIjLj2EENS0_17counting_iteratorIjlEEPS9_SG_NS0_5tupleIJPjSI_NS0_16reverse_iteratorISI_EEEEENSH_IJSG_SG_SG_EEES9_SI_JZNS1_25segmented_radix_sort_implINS0_14default_configELb0EPKdPdPKlPlN2at6native12_GLOBAL__N_18offset_tEEE10hipError_tPvRmT1_PNSt15iterator_traitsIS12_E10value_typeET2_T3_PNS13_IS18_E10value_typeET4_jRbjT5_S1E_jjP12ihipStream_tbEUljE_ZNSN_ISO_Lb0ESQ_SR_ST_SU_SY_EESZ_S10_S11_S12_S16_S17_S18_S1B_S1C_jS1D_jS1E_S1E_jjS1G_bEUljE0_EEESZ_S10_S11_S18_S1C_S1E_T6_T7_T9_mT8_S1G_bDpT10_ENKUlT_T0_E_clISt17integral_constantIbLb1EES1T_IbLb0EEEEDaS1P_S1Q_EUlS1P_E_NS1_11comp_targetILNS1_3genE2ELNS1_11target_archE906ELNS1_3gpuE6ELNS1_3repE0EEENS1_30default_config_static_selectorELNS0_4arch9wavefront6targetE0EEEvS12_,@function
_ZN7rocprim17ROCPRIM_400000_NS6detail17trampoline_kernelINS0_13select_configILj256ELj13ELNS0_17block_load_methodE3ELS4_3ELS4_3ELNS0_20block_scan_algorithmE0ELj4294967295EEENS1_25partition_config_selectorILNS1_17partition_subalgoE4EjNS0_10empty_typeEbEEZZNS1_14partition_implILS8_4ELb0ES6_15HIP_vector_typeIjLj2EENS0_17counting_iteratorIjlEEPS9_SG_NS0_5tupleIJPjSI_NS0_16reverse_iteratorISI_EEEEENSH_IJSG_SG_SG_EEES9_SI_JZNS1_25segmented_radix_sort_implINS0_14default_configELb0EPKdPdPKlPlN2at6native12_GLOBAL__N_18offset_tEEE10hipError_tPvRmT1_PNSt15iterator_traitsIS12_E10value_typeET2_T3_PNS13_IS18_E10value_typeET4_jRbjT5_S1E_jjP12ihipStream_tbEUljE_ZNSN_ISO_Lb0ESQ_SR_ST_SU_SY_EESZ_S10_S11_S12_S16_S17_S18_S1B_S1C_jS1D_jS1E_S1E_jjS1G_bEUljE0_EEESZ_S10_S11_S18_S1C_S1E_T6_T7_T9_mT8_S1G_bDpT10_ENKUlT_T0_E_clISt17integral_constantIbLb1EES1T_IbLb0EEEEDaS1P_S1Q_EUlS1P_E_NS1_11comp_targetILNS1_3genE2ELNS1_11target_archE906ELNS1_3gpuE6ELNS1_3repE0EEENS1_30default_config_static_selectorELNS0_4arch9wavefront6targetE0EEEvS12_: ; @_ZN7rocprim17ROCPRIM_400000_NS6detail17trampoline_kernelINS0_13select_configILj256ELj13ELNS0_17block_load_methodE3ELS4_3ELS4_3ELNS0_20block_scan_algorithmE0ELj4294967295EEENS1_25partition_config_selectorILNS1_17partition_subalgoE4EjNS0_10empty_typeEbEEZZNS1_14partition_implILS8_4ELb0ES6_15HIP_vector_typeIjLj2EENS0_17counting_iteratorIjlEEPS9_SG_NS0_5tupleIJPjSI_NS0_16reverse_iteratorISI_EEEEENSH_IJSG_SG_SG_EEES9_SI_JZNS1_25segmented_radix_sort_implINS0_14default_configELb0EPKdPdPKlPlN2at6native12_GLOBAL__N_18offset_tEEE10hipError_tPvRmT1_PNSt15iterator_traitsIS12_E10value_typeET2_T3_PNS13_IS18_E10value_typeET4_jRbjT5_S1E_jjP12ihipStream_tbEUljE_ZNSN_ISO_Lb0ESQ_SR_ST_SU_SY_EESZ_S10_S11_S12_S16_S17_S18_S1B_S1C_jS1D_jS1E_S1E_jjS1G_bEUljE0_EEESZ_S10_S11_S18_S1C_S1E_T6_T7_T9_mT8_S1G_bDpT10_ENKUlT_T0_E_clISt17integral_constantIbLb1EES1T_IbLb0EEEEDaS1P_S1Q_EUlS1P_E_NS1_11comp_targetILNS1_3genE2ELNS1_11target_archE906ELNS1_3gpuE6ELNS1_3repE0EEENS1_30default_config_static_selectorELNS0_4arch9wavefront6targetE0EEEvS12_
; %bb.0:
	.section	.rodata,"a",@progbits
	.p2align	6, 0x0
	.amdhsa_kernel _ZN7rocprim17ROCPRIM_400000_NS6detail17trampoline_kernelINS0_13select_configILj256ELj13ELNS0_17block_load_methodE3ELS4_3ELS4_3ELNS0_20block_scan_algorithmE0ELj4294967295EEENS1_25partition_config_selectorILNS1_17partition_subalgoE4EjNS0_10empty_typeEbEEZZNS1_14partition_implILS8_4ELb0ES6_15HIP_vector_typeIjLj2EENS0_17counting_iteratorIjlEEPS9_SG_NS0_5tupleIJPjSI_NS0_16reverse_iteratorISI_EEEEENSH_IJSG_SG_SG_EEES9_SI_JZNS1_25segmented_radix_sort_implINS0_14default_configELb0EPKdPdPKlPlN2at6native12_GLOBAL__N_18offset_tEEE10hipError_tPvRmT1_PNSt15iterator_traitsIS12_E10value_typeET2_T3_PNS13_IS18_E10value_typeET4_jRbjT5_S1E_jjP12ihipStream_tbEUljE_ZNSN_ISO_Lb0ESQ_SR_ST_SU_SY_EESZ_S10_S11_S12_S16_S17_S18_S1B_S1C_jS1D_jS1E_S1E_jjS1G_bEUljE0_EEESZ_S10_S11_S18_S1C_S1E_T6_T7_T9_mT8_S1G_bDpT10_ENKUlT_T0_E_clISt17integral_constantIbLb1EES1T_IbLb0EEEEDaS1P_S1Q_EUlS1P_E_NS1_11comp_targetILNS1_3genE2ELNS1_11target_archE906ELNS1_3gpuE6ELNS1_3repE0EEENS1_30default_config_static_selectorELNS0_4arch9wavefront6targetE0EEEvS12_
		.amdhsa_group_segment_fixed_size 0
		.amdhsa_private_segment_fixed_size 0
		.amdhsa_kernarg_size 176
		.amdhsa_user_sgpr_count 6
		.amdhsa_user_sgpr_private_segment_buffer 1
		.amdhsa_user_sgpr_dispatch_ptr 0
		.amdhsa_user_sgpr_queue_ptr 0
		.amdhsa_user_sgpr_kernarg_segment_ptr 1
		.amdhsa_user_sgpr_dispatch_id 0
		.amdhsa_user_sgpr_flat_scratch_init 0
		.amdhsa_user_sgpr_private_segment_size 0
		.amdhsa_wavefront_size32 1
		.amdhsa_uses_dynamic_stack 0
		.amdhsa_system_sgpr_private_segment_wavefront_offset 0
		.amdhsa_system_sgpr_workgroup_id_x 1
		.amdhsa_system_sgpr_workgroup_id_y 0
		.amdhsa_system_sgpr_workgroup_id_z 0
		.amdhsa_system_sgpr_workgroup_info 0
		.amdhsa_system_vgpr_workitem_id 0
		.amdhsa_next_free_vgpr 1
		.amdhsa_next_free_sgpr 1
		.amdhsa_reserve_vcc 0
		.amdhsa_reserve_flat_scratch 0
		.amdhsa_float_round_mode_32 0
		.amdhsa_float_round_mode_16_64 0
		.amdhsa_float_denorm_mode_32 3
		.amdhsa_float_denorm_mode_16_64 3
		.amdhsa_dx10_clamp 1
		.amdhsa_ieee_mode 1
		.amdhsa_fp16_overflow 0
		.amdhsa_workgroup_processor_mode 1
		.amdhsa_memory_ordered 1
		.amdhsa_forward_progress 1
		.amdhsa_shared_vgpr_count 0
		.amdhsa_exception_fp_ieee_invalid_op 0
		.amdhsa_exception_fp_denorm_src 0
		.amdhsa_exception_fp_ieee_div_zero 0
		.amdhsa_exception_fp_ieee_overflow 0
		.amdhsa_exception_fp_ieee_underflow 0
		.amdhsa_exception_fp_ieee_inexact 0
		.amdhsa_exception_int_div_zero 0
	.end_amdhsa_kernel
	.section	.text._ZN7rocprim17ROCPRIM_400000_NS6detail17trampoline_kernelINS0_13select_configILj256ELj13ELNS0_17block_load_methodE3ELS4_3ELS4_3ELNS0_20block_scan_algorithmE0ELj4294967295EEENS1_25partition_config_selectorILNS1_17partition_subalgoE4EjNS0_10empty_typeEbEEZZNS1_14partition_implILS8_4ELb0ES6_15HIP_vector_typeIjLj2EENS0_17counting_iteratorIjlEEPS9_SG_NS0_5tupleIJPjSI_NS0_16reverse_iteratorISI_EEEEENSH_IJSG_SG_SG_EEES9_SI_JZNS1_25segmented_radix_sort_implINS0_14default_configELb0EPKdPdPKlPlN2at6native12_GLOBAL__N_18offset_tEEE10hipError_tPvRmT1_PNSt15iterator_traitsIS12_E10value_typeET2_T3_PNS13_IS18_E10value_typeET4_jRbjT5_S1E_jjP12ihipStream_tbEUljE_ZNSN_ISO_Lb0ESQ_SR_ST_SU_SY_EESZ_S10_S11_S12_S16_S17_S18_S1B_S1C_jS1D_jS1E_S1E_jjS1G_bEUljE0_EEESZ_S10_S11_S18_S1C_S1E_T6_T7_T9_mT8_S1G_bDpT10_ENKUlT_T0_E_clISt17integral_constantIbLb1EES1T_IbLb0EEEEDaS1P_S1Q_EUlS1P_E_NS1_11comp_targetILNS1_3genE2ELNS1_11target_archE906ELNS1_3gpuE6ELNS1_3repE0EEENS1_30default_config_static_selectorELNS0_4arch9wavefront6targetE0EEEvS12_,"axG",@progbits,_ZN7rocprim17ROCPRIM_400000_NS6detail17trampoline_kernelINS0_13select_configILj256ELj13ELNS0_17block_load_methodE3ELS4_3ELS4_3ELNS0_20block_scan_algorithmE0ELj4294967295EEENS1_25partition_config_selectorILNS1_17partition_subalgoE4EjNS0_10empty_typeEbEEZZNS1_14partition_implILS8_4ELb0ES6_15HIP_vector_typeIjLj2EENS0_17counting_iteratorIjlEEPS9_SG_NS0_5tupleIJPjSI_NS0_16reverse_iteratorISI_EEEEENSH_IJSG_SG_SG_EEES9_SI_JZNS1_25segmented_radix_sort_implINS0_14default_configELb0EPKdPdPKlPlN2at6native12_GLOBAL__N_18offset_tEEE10hipError_tPvRmT1_PNSt15iterator_traitsIS12_E10value_typeET2_T3_PNS13_IS18_E10value_typeET4_jRbjT5_S1E_jjP12ihipStream_tbEUljE_ZNSN_ISO_Lb0ESQ_SR_ST_SU_SY_EESZ_S10_S11_S12_S16_S17_S18_S1B_S1C_jS1D_jS1E_S1E_jjS1G_bEUljE0_EEESZ_S10_S11_S18_S1C_S1E_T6_T7_T9_mT8_S1G_bDpT10_ENKUlT_T0_E_clISt17integral_constantIbLb1EES1T_IbLb0EEEEDaS1P_S1Q_EUlS1P_E_NS1_11comp_targetILNS1_3genE2ELNS1_11target_archE906ELNS1_3gpuE6ELNS1_3repE0EEENS1_30default_config_static_selectorELNS0_4arch9wavefront6targetE0EEEvS12_,comdat
.Lfunc_end1169:
	.size	_ZN7rocprim17ROCPRIM_400000_NS6detail17trampoline_kernelINS0_13select_configILj256ELj13ELNS0_17block_load_methodE3ELS4_3ELS4_3ELNS0_20block_scan_algorithmE0ELj4294967295EEENS1_25partition_config_selectorILNS1_17partition_subalgoE4EjNS0_10empty_typeEbEEZZNS1_14partition_implILS8_4ELb0ES6_15HIP_vector_typeIjLj2EENS0_17counting_iteratorIjlEEPS9_SG_NS0_5tupleIJPjSI_NS0_16reverse_iteratorISI_EEEEENSH_IJSG_SG_SG_EEES9_SI_JZNS1_25segmented_radix_sort_implINS0_14default_configELb0EPKdPdPKlPlN2at6native12_GLOBAL__N_18offset_tEEE10hipError_tPvRmT1_PNSt15iterator_traitsIS12_E10value_typeET2_T3_PNS13_IS18_E10value_typeET4_jRbjT5_S1E_jjP12ihipStream_tbEUljE_ZNSN_ISO_Lb0ESQ_SR_ST_SU_SY_EESZ_S10_S11_S12_S16_S17_S18_S1B_S1C_jS1D_jS1E_S1E_jjS1G_bEUljE0_EEESZ_S10_S11_S18_S1C_S1E_T6_T7_T9_mT8_S1G_bDpT10_ENKUlT_T0_E_clISt17integral_constantIbLb1EES1T_IbLb0EEEEDaS1P_S1Q_EUlS1P_E_NS1_11comp_targetILNS1_3genE2ELNS1_11target_archE906ELNS1_3gpuE6ELNS1_3repE0EEENS1_30default_config_static_selectorELNS0_4arch9wavefront6targetE0EEEvS12_, .Lfunc_end1169-_ZN7rocprim17ROCPRIM_400000_NS6detail17trampoline_kernelINS0_13select_configILj256ELj13ELNS0_17block_load_methodE3ELS4_3ELS4_3ELNS0_20block_scan_algorithmE0ELj4294967295EEENS1_25partition_config_selectorILNS1_17partition_subalgoE4EjNS0_10empty_typeEbEEZZNS1_14partition_implILS8_4ELb0ES6_15HIP_vector_typeIjLj2EENS0_17counting_iteratorIjlEEPS9_SG_NS0_5tupleIJPjSI_NS0_16reverse_iteratorISI_EEEEENSH_IJSG_SG_SG_EEES9_SI_JZNS1_25segmented_radix_sort_implINS0_14default_configELb0EPKdPdPKlPlN2at6native12_GLOBAL__N_18offset_tEEE10hipError_tPvRmT1_PNSt15iterator_traitsIS12_E10value_typeET2_T3_PNS13_IS18_E10value_typeET4_jRbjT5_S1E_jjP12ihipStream_tbEUljE_ZNSN_ISO_Lb0ESQ_SR_ST_SU_SY_EESZ_S10_S11_S12_S16_S17_S18_S1B_S1C_jS1D_jS1E_S1E_jjS1G_bEUljE0_EEESZ_S10_S11_S18_S1C_S1E_T6_T7_T9_mT8_S1G_bDpT10_ENKUlT_T0_E_clISt17integral_constantIbLb1EES1T_IbLb0EEEEDaS1P_S1Q_EUlS1P_E_NS1_11comp_targetILNS1_3genE2ELNS1_11target_archE906ELNS1_3gpuE6ELNS1_3repE0EEENS1_30default_config_static_selectorELNS0_4arch9wavefront6targetE0EEEvS12_
                                        ; -- End function
	.set _ZN7rocprim17ROCPRIM_400000_NS6detail17trampoline_kernelINS0_13select_configILj256ELj13ELNS0_17block_load_methodE3ELS4_3ELS4_3ELNS0_20block_scan_algorithmE0ELj4294967295EEENS1_25partition_config_selectorILNS1_17partition_subalgoE4EjNS0_10empty_typeEbEEZZNS1_14partition_implILS8_4ELb0ES6_15HIP_vector_typeIjLj2EENS0_17counting_iteratorIjlEEPS9_SG_NS0_5tupleIJPjSI_NS0_16reverse_iteratorISI_EEEEENSH_IJSG_SG_SG_EEES9_SI_JZNS1_25segmented_radix_sort_implINS0_14default_configELb0EPKdPdPKlPlN2at6native12_GLOBAL__N_18offset_tEEE10hipError_tPvRmT1_PNSt15iterator_traitsIS12_E10value_typeET2_T3_PNS13_IS18_E10value_typeET4_jRbjT5_S1E_jjP12ihipStream_tbEUljE_ZNSN_ISO_Lb0ESQ_SR_ST_SU_SY_EESZ_S10_S11_S12_S16_S17_S18_S1B_S1C_jS1D_jS1E_S1E_jjS1G_bEUljE0_EEESZ_S10_S11_S18_S1C_S1E_T6_T7_T9_mT8_S1G_bDpT10_ENKUlT_T0_E_clISt17integral_constantIbLb1EES1T_IbLb0EEEEDaS1P_S1Q_EUlS1P_E_NS1_11comp_targetILNS1_3genE2ELNS1_11target_archE906ELNS1_3gpuE6ELNS1_3repE0EEENS1_30default_config_static_selectorELNS0_4arch9wavefront6targetE0EEEvS12_.num_vgpr, 0
	.set _ZN7rocprim17ROCPRIM_400000_NS6detail17trampoline_kernelINS0_13select_configILj256ELj13ELNS0_17block_load_methodE3ELS4_3ELS4_3ELNS0_20block_scan_algorithmE0ELj4294967295EEENS1_25partition_config_selectorILNS1_17partition_subalgoE4EjNS0_10empty_typeEbEEZZNS1_14partition_implILS8_4ELb0ES6_15HIP_vector_typeIjLj2EENS0_17counting_iteratorIjlEEPS9_SG_NS0_5tupleIJPjSI_NS0_16reverse_iteratorISI_EEEEENSH_IJSG_SG_SG_EEES9_SI_JZNS1_25segmented_radix_sort_implINS0_14default_configELb0EPKdPdPKlPlN2at6native12_GLOBAL__N_18offset_tEEE10hipError_tPvRmT1_PNSt15iterator_traitsIS12_E10value_typeET2_T3_PNS13_IS18_E10value_typeET4_jRbjT5_S1E_jjP12ihipStream_tbEUljE_ZNSN_ISO_Lb0ESQ_SR_ST_SU_SY_EESZ_S10_S11_S12_S16_S17_S18_S1B_S1C_jS1D_jS1E_S1E_jjS1G_bEUljE0_EEESZ_S10_S11_S18_S1C_S1E_T6_T7_T9_mT8_S1G_bDpT10_ENKUlT_T0_E_clISt17integral_constantIbLb1EES1T_IbLb0EEEEDaS1P_S1Q_EUlS1P_E_NS1_11comp_targetILNS1_3genE2ELNS1_11target_archE906ELNS1_3gpuE6ELNS1_3repE0EEENS1_30default_config_static_selectorELNS0_4arch9wavefront6targetE0EEEvS12_.num_agpr, 0
	.set _ZN7rocprim17ROCPRIM_400000_NS6detail17trampoline_kernelINS0_13select_configILj256ELj13ELNS0_17block_load_methodE3ELS4_3ELS4_3ELNS0_20block_scan_algorithmE0ELj4294967295EEENS1_25partition_config_selectorILNS1_17partition_subalgoE4EjNS0_10empty_typeEbEEZZNS1_14partition_implILS8_4ELb0ES6_15HIP_vector_typeIjLj2EENS0_17counting_iteratorIjlEEPS9_SG_NS0_5tupleIJPjSI_NS0_16reverse_iteratorISI_EEEEENSH_IJSG_SG_SG_EEES9_SI_JZNS1_25segmented_radix_sort_implINS0_14default_configELb0EPKdPdPKlPlN2at6native12_GLOBAL__N_18offset_tEEE10hipError_tPvRmT1_PNSt15iterator_traitsIS12_E10value_typeET2_T3_PNS13_IS18_E10value_typeET4_jRbjT5_S1E_jjP12ihipStream_tbEUljE_ZNSN_ISO_Lb0ESQ_SR_ST_SU_SY_EESZ_S10_S11_S12_S16_S17_S18_S1B_S1C_jS1D_jS1E_S1E_jjS1G_bEUljE0_EEESZ_S10_S11_S18_S1C_S1E_T6_T7_T9_mT8_S1G_bDpT10_ENKUlT_T0_E_clISt17integral_constantIbLb1EES1T_IbLb0EEEEDaS1P_S1Q_EUlS1P_E_NS1_11comp_targetILNS1_3genE2ELNS1_11target_archE906ELNS1_3gpuE6ELNS1_3repE0EEENS1_30default_config_static_selectorELNS0_4arch9wavefront6targetE0EEEvS12_.numbered_sgpr, 0
	.set _ZN7rocprim17ROCPRIM_400000_NS6detail17trampoline_kernelINS0_13select_configILj256ELj13ELNS0_17block_load_methodE3ELS4_3ELS4_3ELNS0_20block_scan_algorithmE0ELj4294967295EEENS1_25partition_config_selectorILNS1_17partition_subalgoE4EjNS0_10empty_typeEbEEZZNS1_14partition_implILS8_4ELb0ES6_15HIP_vector_typeIjLj2EENS0_17counting_iteratorIjlEEPS9_SG_NS0_5tupleIJPjSI_NS0_16reverse_iteratorISI_EEEEENSH_IJSG_SG_SG_EEES9_SI_JZNS1_25segmented_radix_sort_implINS0_14default_configELb0EPKdPdPKlPlN2at6native12_GLOBAL__N_18offset_tEEE10hipError_tPvRmT1_PNSt15iterator_traitsIS12_E10value_typeET2_T3_PNS13_IS18_E10value_typeET4_jRbjT5_S1E_jjP12ihipStream_tbEUljE_ZNSN_ISO_Lb0ESQ_SR_ST_SU_SY_EESZ_S10_S11_S12_S16_S17_S18_S1B_S1C_jS1D_jS1E_S1E_jjS1G_bEUljE0_EEESZ_S10_S11_S18_S1C_S1E_T6_T7_T9_mT8_S1G_bDpT10_ENKUlT_T0_E_clISt17integral_constantIbLb1EES1T_IbLb0EEEEDaS1P_S1Q_EUlS1P_E_NS1_11comp_targetILNS1_3genE2ELNS1_11target_archE906ELNS1_3gpuE6ELNS1_3repE0EEENS1_30default_config_static_selectorELNS0_4arch9wavefront6targetE0EEEvS12_.num_named_barrier, 0
	.set _ZN7rocprim17ROCPRIM_400000_NS6detail17trampoline_kernelINS0_13select_configILj256ELj13ELNS0_17block_load_methodE3ELS4_3ELS4_3ELNS0_20block_scan_algorithmE0ELj4294967295EEENS1_25partition_config_selectorILNS1_17partition_subalgoE4EjNS0_10empty_typeEbEEZZNS1_14partition_implILS8_4ELb0ES6_15HIP_vector_typeIjLj2EENS0_17counting_iteratorIjlEEPS9_SG_NS0_5tupleIJPjSI_NS0_16reverse_iteratorISI_EEEEENSH_IJSG_SG_SG_EEES9_SI_JZNS1_25segmented_radix_sort_implINS0_14default_configELb0EPKdPdPKlPlN2at6native12_GLOBAL__N_18offset_tEEE10hipError_tPvRmT1_PNSt15iterator_traitsIS12_E10value_typeET2_T3_PNS13_IS18_E10value_typeET4_jRbjT5_S1E_jjP12ihipStream_tbEUljE_ZNSN_ISO_Lb0ESQ_SR_ST_SU_SY_EESZ_S10_S11_S12_S16_S17_S18_S1B_S1C_jS1D_jS1E_S1E_jjS1G_bEUljE0_EEESZ_S10_S11_S18_S1C_S1E_T6_T7_T9_mT8_S1G_bDpT10_ENKUlT_T0_E_clISt17integral_constantIbLb1EES1T_IbLb0EEEEDaS1P_S1Q_EUlS1P_E_NS1_11comp_targetILNS1_3genE2ELNS1_11target_archE906ELNS1_3gpuE6ELNS1_3repE0EEENS1_30default_config_static_selectorELNS0_4arch9wavefront6targetE0EEEvS12_.private_seg_size, 0
	.set _ZN7rocprim17ROCPRIM_400000_NS6detail17trampoline_kernelINS0_13select_configILj256ELj13ELNS0_17block_load_methodE3ELS4_3ELS4_3ELNS0_20block_scan_algorithmE0ELj4294967295EEENS1_25partition_config_selectorILNS1_17partition_subalgoE4EjNS0_10empty_typeEbEEZZNS1_14partition_implILS8_4ELb0ES6_15HIP_vector_typeIjLj2EENS0_17counting_iteratorIjlEEPS9_SG_NS0_5tupleIJPjSI_NS0_16reverse_iteratorISI_EEEEENSH_IJSG_SG_SG_EEES9_SI_JZNS1_25segmented_radix_sort_implINS0_14default_configELb0EPKdPdPKlPlN2at6native12_GLOBAL__N_18offset_tEEE10hipError_tPvRmT1_PNSt15iterator_traitsIS12_E10value_typeET2_T3_PNS13_IS18_E10value_typeET4_jRbjT5_S1E_jjP12ihipStream_tbEUljE_ZNSN_ISO_Lb0ESQ_SR_ST_SU_SY_EESZ_S10_S11_S12_S16_S17_S18_S1B_S1C_jS1D_jS1E_S1E_jjS1G_bEUljE0_EEESZ_S10_S11_S18_S1C_S1E_T6_T7_T9_mT8_S1G_bDpT10_ENKUlT_T0_E_clISt17integral_constantIbLb1EES1T_IbLb0EEEEDaS1P_S1Q_EUlS1P_E_NS1_11comp_targetILNS1_3genE2ELNS1_11target_archE906ELNS1_3gpuE6ELNS1_3repE0EEENS1_30default_config_static_selectorELNS0_4arch9wavefront6targetE0EEEvS12_.uses_vcc, 0
	.set _ZN7rocprim17ROCPRIM_400000_NS6detail17trampoline_kernelINS0_13select_configILj256ELj13ELNS0_17block_load_methodE3ELS4_3ELS4_3ELNS0_20block_scan_algorithmE0ELj4294967295EEENS1_25partition_config_selectorILNS1_17partition_subalgoE4EjNS0_10empty_typeEbEEZZNS1_14partition_implILS8_4ELb0ES6_15HIP_vector_typeIjLj2EENS0_17counting_iteratorIjlEEPS9_SG_NS0_5tupleIJPjSI_NS0_16reverse_iteratorISI_EEEEENSH_IJSG_SG_SG_EEES9_SI_JZNS1_25segmented_radix_sort_implINS0_14default_configELb0EPKdPdPKlPlN2at6native12_GLOBAL__N_18offset_tEEE10hipError_tPvRmT1_PNSt15iterator_traitsIS12_E10value_typeET2_T3_PNS13_IS18_E10value_typeET4_jRbjT5_S1E_jjP12ihipStream_tbEUljE_ZNSN_ISO_Lb0ESQ_SR_ST_SU_SY_EESZ_S10_S11_S12_S16_S17_S18_S1B_S1C_jS1D_jS1E_S1E_jjS1G_bEUljE0_EEESZ_S10_S11_S18_S1C_S1E_T6_T7_T9_mT8_S1G_bDpT10_ENKUlT_T0_E_clISt17integral_constantIbLb1EES1T_IbLb0EEEEDaS1P_S1Q_EUlS1P_E_NS1_11comp_targetILNS1_3genE2ELNS1_11target_archE906ELNS1_3gpuE6ELNS1_3repE0EEENS1_30default_config_static_selectorELNS0_4arch9wavefront6targetE0EEEvS12_.uses_flat_scratch, 0
	.set _ZN7rocprim17ROCPRIM_400000_NS6detail17trampoline_kernelINS0_13select_configILj256ELj13ELNS0_17block_load_methodE3ELS4_3ELS4_3ELNS0_20block_scan_algorithmE0ELj4294967295EEENS1_25partition_config_selectorILNS1_17partition_subalgoE4EjNS0_10empty_typeEbEEZZNS1_14partition_implILS8_4ELb0ES6_15HIP_vector_typeIjLj2EENS0_17counting_iteratorIjlEEPS9_SG_NS0_5tupleIJPjSI_NS0_16reverse_iteratorISI_EEEEENSH_IJSG_SG_SG_EEES9_SI_JZNS1_25segmented_radix_sort_implINS0_14default_configELb0EPKdPdPKlPlN2at6native12_GLOBAL__N_18offset_tEEE10hipError_tPvRmT1_PNSt15iterator_traitsIS12_E10value_typeET2_T3_PNS13_IS18_E10value_typeET4_jRbjT5_S1E_jjP12ihipStream_tbEUljE_ZNSN_ISO_Lb0ESQ_SR_ST_SU_SY_EESZ_S10_S11_S12_S16_S17_S18_S1B_S1C_jS1D_jS1E_S1E_jjS1G_bEUljE0_EEESZ_S10_S11_S18_S1C_S1E_T6_T7_T9_mT8_S1G_bDpT10_ENKUlT_T0_E_clISt17integral_constantIbLb1EES1T_IbLb0EEEEDaS1P_S1Q_EUlS1P_E_NS1_11comp_targetILNS1_3genE2ELNS1_11target_archE906ELNS1_3gpuE6ELNS1_3repE0EEENS1_30default_config_static_selectorELNS0_4arch9wavefront6targetE0EEEvS12_.has_dyn_sized_stack, 0
	.set _ZN7rocprim17ROCPRIM_400000_NS6detail17trampoline_kernelINS0_13select_configILj256ELj13ELNS0_17block_load_methodE3ELS4_3ELS4_3ELNS0_20block_scan_algorithmE0ELj4294967295EEENS1_25partition_config_selectorILNS1_17partition_subalgoE4EjNS0_10empty_typeEbEEZZNS1_14partition_implILS8_4ELb0ES6_15HIP_vector_typeIjLj2EENS0_17counting_iteratorIjlEEPS9_SG_NS0_5tupleIJPjSI_NS0_16reverse_iteratorISI_EEEEENSH_IJSG_SG_SG_EEES9_SI_JZNS1_25segmented_radix_sort_implINS0_14default_configELb0EPKdPdPKlPlN2at6native12_GLOBAL__N_18offset_tEEE10hipError_tPvRmT1_PNSt15iterator_traitsIS12_E10value_typeET2_T3_PNS13_IS18_E10value_typeET4_jRbjT5_S1E_jjP12ihipStream_tbEUljE_ZNSN_ISO_Lb0ESQ_SR_ST_SU_SY_EESZ_S10_S11_S12_S16_S17_S18_S1B_S1C_jS1D_jS1E_S1E_jjS1G_bEUljE0_EEESZ_S10_S11_S18_S1C_S1E_T6_T7_T9_mT8_S1G_bDpT10_ENKUlT_T0_E_clISt17integral_constantIbLb1EES1T_IbLb0EEEEDaS1P_S1Q_EUlS1P_E_NS1_11comp_targetILNS1_3genE2ELNS1_11target_archE906ELNS1_3gpuE6ELNS1_3repE0EEENS1_30default_config_static_selectorELNS0_4arch9wavefront6targetE0EEEvS12_.has_recursion, 0
	.set _ZN7rocprim17ROCPRIM_400000_NS6detail17trampoline_kernelINS0_13select_configILj256ELj13ELNS0_17block_load_methodE3ELS4_3ELS4_3ELNS0_20block_scan_algorithmE0ELj4294967295EEENS1_25partition_config_selectorILNS1_17partition_subalgoE4EjNS0_10empty_typeEbEEZZNS1_14partition_implILS8_4ELb0ES6_15HIP_vector_typeIjLj2EENS0_17counting_iteratorIjlEEPS9_SG_NS0_5tupleIJPjSI_NS0_16reverse_iteratorISI_EEEEENSH_IJSG_SG_SG_EEES9_SI_JZNS1_25segmented_radix_sort_implINS0_14default_configELb0EPKdPdPKlPlN2at6native12_GLOBAL__N_18offset_tEEE10hipError_tPvRmT1_PNSt15iterator_traitsIS12_E10value_typeET2_T3_PNS13_IS18_E10value_typeET4_jRbjT5_S1E_jjP12ihipStream_tbEUljE_ZNSN_ISO_Lb0ESQ_SR_ST_SU_SY_EESZ_S10_S11_S12_S16_S17_S18_S1B_S1C_jS1D_jS1E_S1E_jjS1G_bEUljE0_EEESZ_S10_S11_S18_S1C_S1E_T6_T7_T9_mT8_S1G_bDpT10_ENKUlT_T0_E_clISt17integral_constantIbLb1EES1T_IbLb0EEEEDaS1P_S1Q_EUlS1P_E_NS1_11comp_targetILNS1_3genE2ELNS1_11target_archE906ELNS1_3gpuE6ELNS1_3repE0EEENS1_30default_config_static_selectorELNS0_4arch9wavefront6targetE0EEEvS12_.has_indirect_call, 0
	.section	.AMDGPU.csdata,"",@progbits
; Kernel info:
; codeLenInByte = 0
; TotalNumSgprs: 0
; NumVgprs: 0
; ScratchSize: 0
; MemoryBound: 0
; FloatMode: 240
; IeeeMode: 1
; LDSByteSize: 0 bytes/workgroup (compile time only)
; SGPRBlocks: 0
; VGPRBlocks: 0
; NumSGPRsForWavesPerEU: 1
; NumVGPRsForWavesPerEU: 1
; Occupancy: 16
; WaveLimiterHint : 0
; COMPUTE_PGM_RSRC2:SCRATCH_EN: 0
; COMPUTE_PGM_RSRC2:USER_SGPR: 6
; COMPUTE_PGM_RSRC2:TRAP_HANDLER: 0
; COMPUTE_PGM_RSRC2:TGID_X_EN: 1
; COMPUTE_PGM_RSRC2:TGID_Y_EN: 0
; COMPUTE_PGM_RSRC2:TGID_Z_EN: 0
; COMPUTE_PGM_RSRC2:TIDIG_COMP_CNT: 0
	.section	.text._ZN7rocprim17ROCPRIM_400000_NS6detail17trampoline_kernelINS0_13select_configILj256ELj13ELNS0_17block_load_methodE3ELS4_3ELS4_3ELNS0_20block_scan_algorithmE0ELj4294967295EEENS1_25partition_config_selectorILNS1_17partition_subalgoE4EjNS0_10empty_typeEbEEZZNS1_14partition_implILS8_4ELb0ES6_15HIP_vector_typeIjLj2EENS0_17counting_iteratorIjlEEPS9_SG_NS0_5tupleIJPjSI_NS0_16reverse_iteratorISI_EEEEENSH_IJSG_SG_SG_EEES9_SI_JZNS1_25segmented_radix_sort_implINS0_14default_configELb0EPKdPdPKlPlN2at6native12_GLOBAL__N_18offset_tEEE10hipError_tPvRmT1_PNSt15iterator_traitsIS12_E10value_typeET2_T3_PNS13_IS18_E10value_typeET4_jRbjT5_S1E_jjP12ihipStream_tbEUljE_ZNSN_ISO_Lb0ESQ_SR_ST_SU_SY_EESZ_S10_S11_S12_S16_S17_S18_S1B_S1C_jS1D_jS1E_S1E_jjS1G_bEUljE0_EEESZ_S10_S11_S18_S1C_S1E_T6_T7_T9_mT8_S1G_bDpT10_ENKUlT_T0_E_clISt17integral_constantIbLb1EES1T_IbLb0EEEEDaS1P_S1Q_EUlS1P_E_NS1_11comp_targetILNS1_3genE10ELNS1_11target_archE1200ELNS1_3gpuE4ELNS1_3repE0EEENS1_30default_config_static_selectorELNS0_4arch9wavefront6targetE0EEEvS12_,"axG",@progbits,_ZN7rocprim17ROCPRIM_400000_NS6detail17trampoline_kernelINS0_13select_configILj256ELj13ELNS0_17block_load_methodE3ELS4_3ELS4_3ELNS0_20block_scan_algorithmE0ELj4294967295EEENS1_25partition_config_selectorILNS1_17partition_subalgoE4EjNS0_10empty_typeEbEEZZNS1_14partition_implILS8_4ELb0ES6_15HIP_vector_typeIjLj2EENS0_17counting_iteratorIjlEEPS9_SG_NS0_5tupleIJPjSI_NS0_16reverse_iteratorISI_EEEEENSH_IJSG_SG_SG_EEES9_SI_JZNS1_25segmented_radix_sort_implINS0_14default_configELb0EPKdPdPKlPlN2at6native12_GLOBAL__N_18offset_tEEE10hipError_tPvRmT1_PNSt15iterator_traitsIS12_E10value_typeET2_T3_PNS13_IS18_E10value_typeET4_jRbjT5_S1E_jjP12ihipStream_tbEUljE_ZNSN_ISO_Lb0ESQ_SR_ST_SU_SY_EESZ_S10_S11_S12_S16_S17_S18_S1B_S1C_jS1D_jS1E_S1E_jjS1G_bEUljE0_EEESZ_S10_S11_S18_S1C_S1E_T6_T7_T9_mT8_S1G_bDpT10_ENKUlT_T0_E_clISt17integral_constantIbLb1EES1T_IbLb0EEEEDaS1P_S1Q_EUlS1P_E_NS1_11comp_targetILNS1_3genE10ELNS1_11target_archE1200ELNS1_3gpuE4ELNS1_3repE0EEENS1_30default_config_static_selectorELNS0_4arch9wavefront6targetE0EEEvS12_,comdat
	.globl	_ZN7rocprim17ROCPRIM_400000_NS6detail17trampoline_kernelINS0_13select_configILj256ELj13ELNS0_17block_load_methodE3ELS4_3ELS4_3ELNS0_20block_scan_algorithmE0ELj4294967295EEENS1_25partition_config_selectorILNS1_17partition_subalgoE4EjNS0_10empty_typeEbEEZZNS1_14partition_implILS8_4ELb0ES6_15HIP_vector_typeIjLj2EENS0_17counting_iteratorIjlEEPS9_SG_NS0_5tupleIJPjSI_NS0_16reverse_iteratorISI_EEEEENSH_IJSG_SG_SG_EEES9_SI_JZNS1_25segmented_radix_sort_implINS0_14default_configELb0EPKdPdPKlPlN2at6native12_GLOBAL__N_18offset_tEEE10hipError_tPvRmT1_PNSt15iterator_traitsIS12_E10value_typeET2_T3_PNS13_IS18_E10value_typeET4_jRbjT5_S1E_jjP12ihipStream_tbEUljE_ZNSN_ISO_Lb0ESQ_SR_ST_SU_SY_EESZ_S10_S11_S12_S16_S17_S18_S1B_S1C_jS1D_jS1E_S1E_jjS1G_bEUljE0_EEESZ_S10_S11_S18_S1C_S1E_T6_T7_T9_mT8_S1G_bDpT10_ENKUlT_T0_E_clISt17integral_constantIbLb1EES1T_IbLb0EEEEDaS1P_S1Q_EUlS1P_E_NS1_11comp_targetILNS1_3genE10ELNS1_11target_archE1200ELNS1_3gpuE4ELNS1_3repE0EEENS1_30default_config_static_selectorELNS0_4arch9wavefront6targetE0EEEvS12_ ; -- Begin function _ZN7rocprim17ROCPRIM_400000_NS6detail17trampoline_kernelINS0_13select_configILj256ELj13ELNS0_17block_load_methodE3ELS4_3ELS4_3ELNS0_20block_scan_algorithmE0ELj4294967295EEENS1_25partition_config_selectorILNS1_17partition_subalgoE4EjNS0_10empty_typeEbEEZZNS1_14partition_implILS8_4ELb0ES6_15HIP_vector_typeIjLj2EENS0_17counting_iteratorIjlEEPS9_SG_NS0_5tupleIJPjSI_NS0_16reverse_iteratorISI_EEEEENSH_IJSG_SG_SG_EEES9_SI_JZNS1_25segmented_radix_sort_implINS0_14default_configELb0EPKdPdPKlPlN2at6native12_GLOBAL__N_18offset_tEEE10hipError_tPvRmT1_PNSt15iterator_traitsIS12_E10value_typeET2_T3_PNS13_IS18_E10value_typeET4_jRbjT5_S1E_jjP12ihipStream_tbEUljE_ZNSN_ISO_Lb0ESQ_SR_ST_SU_SY_EESZ_S10_S11_S12_S16_S17_S18_S1B_S1C_jS1D_jS1E_S1E_jjS1G_bEUljE0_EEESZ_S10_S11_S18_S1C_S1E_T6_T7_T9_mT8_S1G_bDpT10_ENKUlT_T0_E_clISt17integral_constantIbLb1EES1T_IbLb0EEEEDaS1P_S1Q_EUlS1P_E_NS1_11comp_targetILNS1_3genE10ELNS1_11target_archE1200ELNS1_3gpuE4ELNS1_3repE0EEENS1_30default_config_static_selectorELNS0_4arch9wavefront6targetE0EEEvS12_
	.p2align	8
	.type	_ZN7rocprim17ROCPRIM_400000_NS6detail17trampoline_kernelINS0_13select_configILj256ELj13ELNS0_17block_load_methodE3ELS4_3ELS4_3ELNS0_20block_scan_algorithmE0ELj4294967295EEENS1_25partition_config_selectorILNS1_17partition_subalgoE4EjNS0_10empty_typeEbEEZZNS1_14partition_implILS8_4ELb0ES6_15HIP_vector_typeIjLj2EENS0_17counting_iteratorIjlEEPS9_SG_NS0_5tupleIJPjSI_NS0_16reverse_iteratorISI_EEEEENSH_IJSG_SG_SG_EEES9_SI_JZNS1_25segmented_radix_sort_implINS0_14default_configELb0EPKdPdPKlPlN2at6native12_GLOBAL__N_18offset_tEEE10hipError_tPvRmT1_PNSt15iterator_traitsIS12_E10value_typeET2_T3_PNS13_IS18_E10value_typeET4_jRbjT5_S1E_jjP12ihipStream_tbEUljE_ZNSN_ISO_Lb0ESQ_SR_ST_SU_SY_EESZ_S10_S11_S12_S16_S17_S18_S1B_S1C_jS1D_jS1E_S1E_jjS1G_bEUljE0_EEESZ_S10_S11_S18_S1C_S1E_T6_T7_T9_mT8_S1G_bDpT10_ENKUlT_T0_E_clISt17integral_constantIbLb1EES1T_IbLb0EEEEDaS1P_S1Q_EUlS1P_E_NS1_11comp_targetILNS1_3genE10ELNS1_11target_archE1200ELNS1_3gpuE4ELNS1_3repE0EEENS1_30default_config_static_selectorELNS0_4arch9wavefront6targetE0EEEvS12_,@function
_ZN7rocprim17ROCPRIM_400000_NS6detail17trampoline_kernelINS0_13select_configILj256ELj13ELNS0_17block_load_methodE3ELS4_3ELS4_3ELNS0_20block_scan_algorithmE0ELj4294967295EEENS1_25partition_config_selectorILNS1_17partition_subalgoE4EjNS0_10empty_typeEbEEZZNS1_14partition_implILS8_4ELb0ES6_15HIP_vector_typeIjLj2EENS0_17counting_iteratorIjlEEPS9_SG_NS0_5tupleIJPjSI_NS0_16reverse_iteratorISI_EEEEENSH_IJSG_SG_SG_EEES9_SI_JZNS1_25segmented_radix_sort_implINS0_14default_configELb0EPKdPdPKlPlN2at6native12_GLOBAL__N_18offset_tEEE10hipError_tPvRmT1_PNSt15iterator_traitsIS12_E10value_typeET2_T3_PNS13_IS18_E10value_typeET4_jRbjT5_S1E_jjP12ihipStream_tbEUljE_ZNSN_ISO_Lb0ESQ_SR_ST_SU_SY_EESZ_S10_S11_S12_S16_S17_S18_S1B_S1C_jS1D_jS1E_S1E_jjS1G_bEUljE0_EEESZ_S10_S11_S18_S1C_S1E_T6_T7_T9_mT8_S1G_bDpT10_ENKUlT_T0_E_clISt17integral_constantIbLb1EES1T_IbLb0EEEEDaS1P_S1Q_EUlS1P_E_NS1_11comp_targetILNS1_3genE10ELNS1_11target_archE1200ELNS1_3gpuE4ELNS1_3repE0EEENS1_30default_config_static_selectorELNS0_4arch9wavefront6targetE0EEEvS12_: ; @_ZN7rocprim17ROCPRIM_400000_NS6detail17trampoline_kernelINS0_13select_configILj256ELj13ELNS0_17block_load_methodE3ELS4_3ELS4_3ELNS0_20block_scan_algorithmE0ELj4294967295EEENS1_25partition_config_selectorILNS1_17partition_subalgoE4EjNS0_10empty_typeEbEEZZNS1_14partition_implILS8_4ELb0ES6_15HIP_vector_typeIjLj2EENS0_17counting_iteratorIjlEEPS9_SG_NS0_5tupleIJPjSI_NS0_16reverse_iteratorISI_EEEEENSH_IJSG_SG_SG_EEES9_SI_JZNS1_25segmented_radix_sort_implINS0_14default_configELb0EPKdPdPKlPlN2at6native12_GLOBAL__N_18offset_tEEE10hipError_tPvRmT1_PNSt15iterator_traitsIS12_E10value_typeET2_T3_PNS13_IS18_E10value_typeET4_jRbjT5_S1E_jjP12ihipStream_tbEUljE_ZNSN_ISO_Lb0ESQ_SR_ST_SU_SY_EESZ_S10_S11_S12_S16_S17_S18_S1B_S1C_jS1D_jS1E_S1E_jjS1G_bEUljE0_EEESZ_S10_S11_S18_S1C_S1E_T6_T7_T9_mT8_S1G_bDpT10_ENKUlT_T0_E_clISt17integral_constantIbLb1EES1T_IbLb0EEEEDaS1P_S1Q_EUlS1P_E_NS1_11comp_targetILNS1_3genE10ELNS1_11target_archE1200ELNS1_3gpuE4ELNS1_3repE0EEENS1_30default_config_static_selectorELNS0_4arch9wavefront6targetE0EEEvS12_
; %bb.0:
	.section	.rodata,"a",@progbits
	.p2align	6, 0x0
	.amdhsa_kernel _ZN7rocprim17ROCPRIM_400000_NS6detail17trampoline_kernelINS0_13select_configILj256ELj13ELNS0_17block_load_methodE3ELS4_3ELS4_3ELNS0_20block_scan_algorithmE0ELj4294967295EEENS1_25partition_config_selectorILNS1_17partition_subalgoE4EjNS0_10empty_typeEbEEZZNS1_14partition_implILS8_4ELb0ES6_15HIP_vector_typeIjLj2EENS0_17counting_iteratorIjlEEPS9_SG_NS0_5tupleIJPjSI_NS0_16reverse_iteratorISI_EEEEENSH_IJSG_SG_SG_EEES9_SI_JZNS1_25segmented_radix_sort_implINS0_14default_configELb0EPKdPdPKlPlN2at6native12_GLOBAL__N_18offset_tEEE10hipError_tPvRmT1_PNSt15iterator_traitsIS12_E10value_typeET2_T3_PNS13_IS18_E10value_typeET4_jRbjT5_S1E_jjP12ihipStream_tbEUljE_ZNSN_ISO_Lb0ESQ_SR_ST_SU_SY_EESZ_S10_S11_S12_S16_S17_S18_S1B_S1C_jS1D_jS1E_S1E_jjS1G_bEUljE0_EEESZ_S10_S11_S18_S1C_S1E_T6_T7_T9_mT8_S1G_bDpT10_ENKUlT_T0_E_clISt17integral_constantIbLb1EES1T_IbLb0EEEEDaS1P_S1Q_EUlS1P_E_NS1_11comp_targetILNS1_3genE10ELNS1_11target_archE1200ELNS1_3gpuE4ELNS1_3repE0EEENS1_30default_config_static_selectorELNS0_4arch9wavefront6targetE0EEEvS12_
		.amdhsa_group_segment_fixed_size 0
		.amdhsa_private_segment_fixed_size 0
		.amdhsa_kernarg_size 176
		.amdhsa_user_sgpr_count 6
		.amdhsa_user_sgpr_private_segment_buffer 1
		.amdhsa_user_sgpr_dispatch_ptr 0
		.amdhsa_user_sgpr_queue_ptr 0
		.amdhsa_user_sgpr_kernarg_segment_ptr 1
		.amdhsa_user_sgpr_dispatch_id 0
		.amdhsa_user_sgpr_flat_scratch_init 0
		.amdhsa_user_sgpr_private_segment_size 0
		.amdhsa_wavefront_size32 1
		.amdhsa_uses_dynamic_stack 0
		.amdhsa_system_sgpr_private_segment_wavefront_offset 0
		.amdhsa_system_sgpr_workgroup_id_x 1
		.amdhsa_system_sgpr_workgroup_id_y 0
		.amdhsa_system_sgpr_workgroup_id_z 0
		.amdhsa_system_sgpr_workgroup_info 0
		.amdhsa_system_vgpr_workitem_id 0
		.amdhsa_next_free_vgpr 1
		.amdhsa_next_free_sgpr 1
		.amdhsa_reserve_vcc 0
		.amdhsa_reserve_flat_scratch 0
		.amdhsa_float_round_mode_32 0
		.amdhsa_float_round_mode_16_64 0
		.amdhsa_float_denorm_mode_32 3
		.amdhsa_float_denorm_mode_16_64 3
		.amdhsa_dx10_clamp 1
		.amdhsa_ieee_mode 1
		.amdhsa_fp16_overflow 0
		.amdhsa_workgroup_processor_mode 1
		.amdhsa_memory_ordered 1
		.amdhsa_forward_progress 1
		.amdhsa_shared_vgpr_count 0
		.amdhsa_exception_fp_ieee_invalid_op 0
		.amdhsa_exception_fp_denorm_src 0
		.amdhsa_exception_fp_ieee_div_zero 0
		.amdhsa_exception_fp_ieee_overflow 0
		.amdhsa_exception_fp_ieee_underflow 0
		.amdhsa_exception_fp_ieee_inexact 0
		.amdhsa_exception_int_div_zero 0
	.end_amdhsa_kernel
	.section	.text._ZN7rocprim17ROCPRIM_400000_NS6detail17trampoline_kernelINS0_13select_configILj256ELj13ELNS0_17block_load_methodE3ELS4_3ELS4_3ELNS0_20block_scan_algorithmE0ELj4294967295EEENS1_25partition_config_selectorILNS1_17partition_subalgoE4EjNS0_10empty_typeEbEEZZNS1_14partition_implILS8_4ELb0ES6_15HIP_vector_typeIjLj2EENS0_17counting_iteratorIjlEEPS9_SG_NS0_5tupleIJPjSI_NS0_16reverse_iteratorISI_EEEEENSH_IJSG_SG_SG_EEES9_SI_JZNS1_25segmented_radix_sort_implINS0_14default_configELb0EPKdPdPKlPlN2at6native12_GLOBAL__N_18offset_tEEE10hipError_tPvRmT1_PNSt15iterator_traitsIS12_E10value_typeET2_T3_PNS13_IS18_E10value_typeET4_jRbjT5_S1E_jjP12ihipStream_tbEUljE_ZNSN_ISO_Lb0ESQ_SR_ST_SU_SY_EESZ_S10_S11_S12_S16_S17_S18_S1B_S1C_jS1D_jS1E_S1E_jjS1G_bEUljE0_EEESZ_S10_S11_S18_S1C_S1E_T6_T7_T9_mT8_S1G_bDpT10_ENKUlT_T0_E_clISt17integral_constantIbLb1EES1T_IbLb0EEEEDaS1P_S1Q_EUlS1P_E_NS1_11comp_targetILNS1_3genE10ELNS1_11target_archE1200ELNS1_3gpuE4ELNS1_3repE0EEENS1_30default_config_static_selectorELNS0_4arch9wavefront6targetE0EEEvS12_,"axG",@progbits,_ZN7rocprim17ROCPRIM_400000_NS6detail17trampoline_kernelINS0_13select_configILj256ELj13ELNS0_17block_load_methodE3ELS4_3ELS4_3ELNS0_20block_scan_algorithmE0ELj4294967295EEENS1_25partition_config_selectorILNS1_17partition_subalgoE4EjNS0_10empty_typeEbEEZZNS1_14partition_implILS8_4ELb0ES6_15HIP_vector_typeIjLj2EENS0_17counting_iteratorIjlEEPS9_SG_NS0_5tupleIJPjSI_NS0_16reverse_iteratorISI_EEEEENSH_IJSG_SG_SG_EEES9_SI_JZNS1_25segmented_radix_sort_implINS0_14default_configELb0EPKdPdPKlPlN2at6native12_GLOBAL__N_18offset_tEEE10hipError_tPvRmT1_PNSt15iterator_traitsIS12_E10value_typeET2_T3_PNS13_IS18_E10value_typeET4_jRbjT5_S1E_jjP12ihipStream_tbEUljE_ZNSN_ISO_Lb0ESQ_SR_ST_SU_SY_EESZ_S10_S11_S12_S16_S17_S18_S1B_S1C_jS1D_jS1E_S1E_jjS1G_bEUljE0_EEESZ_S10_S11_S18_S1C_S1E_T6_T7_T9_mT8_S1G_bDpT10_ENKUlT_T0_E_clISt17integral_constantIbLb1EES1T_IbLb0EEEEDaS1P_S1Q_EUlS1P_E_NS1_11comp_targetILNS1_3genE10ELNS1_11target_archE1200ELNS1_3gpuE4ELNS1_3repE0EEENS1_30default_config_static_selectorELNS0_4arch9wavefront6targetE0EEEvS12_,comdat
.Lfunc_end1170:
	.size	_ZN7rocprim17ROCPRIM_400000_NS6detail17trampoline_kernelINS0_13select_configILj256ELj13ELNS0_17block_load_methodE3ELS4_3ELS4_3ELNS0_20block_scan_algorithmE0ELj4294967295EEENS1_25partition_config_selectorILNS1_17partition_subalgoE4EjNS0_10empty_typeEbEEZZNS1_14partition_implILS8_4ELb0ES6_15HIP_vector_typeIjLj2EENS0_17counting_iteratorIjlEEPS9_SG_NS0_5tupleIJPjSI_NS0_16reverse_iteratorISI_EEEEENSH_IJSG_SG_SG_EEES9_SI_JZNS1_25segmented_radix_sort_implINS0_14default_configELb0EPKdPdPKlPlN2at6native12_GLOBAL__N_18offset_tEEE10hipError_tPvRmT1_PNSt15iterator_traitsIS12_E10value_typeET2_T3_PNS13_IS18_E10value_typeET4_jRbjT5_S1E_jjP12ihipStream_tbEUljE_ZNSN_ISO_Lb0ESQ_SR_ST_SU_SY_EESZ_S10_S11_S12_S16_S17_S18_S1B_S1C_jS1D_jS1E_S1E_jjS1G_bEUljE0_EEESZ_S10_S11_S18_S1C_S1E_T6_T7_T9_mT8_S1G_bDpT10_ENKUlT_T0_E_clISt17integral_constantIbLb1EES1T_IbLb0EEEEDaS1P_S1Q_EUlS1P_E_NS1_11comp_targetILNS1_3genE10ELNS1_11target_archE1200ELNS1_3gpuE4ELNS1_3repE0EEENS1_30default_config_static_selectorELNS0_4arch9wavefront6targetE0EEEvS12_, .Lfunc_end1170-_ZN7rocprim17ROCPRIM_400000_NS6detail17trampoline_kernelINS0_13select_configILj256ELj13ELNS0_17block_load_methodE3ELS4_3ELS4_3ELNS0_20block_scan_algorithmE0ELj4294967295EEENS1_25partition_config_selectorILNS1_17partition_subalgoE4EjNS0_10empty_typeEbEEZZNS1_14partition_implILS8_4ELb0ES6_15HIP_vector_typeIjLj2EENS0_17counting_iteratorIjlEEPS9_SG_NS0_5tupleIJPjSI_NS0_16reverse_iteratorISI_EEEEENSH_IJSG_SG_SG_EEES9_SI_JZNS1_25segmented_radix_sort_implINS0_14default_configELb0EPKdPdPKlPlN2at6native12_GLOBAL__N_18offset_tEEE10hipError_tPvRmT1_PNSt15iterator_traitsIS12_E10value_typeET2_T3_PNS13_IS18_E10value_typeET4_jRbjT5_S1E_jjP12ihipStream_tbEUljE_ZNSN_ISO_Lb0ESQ_SR_ST_SU_SY_EESZ_S10_S11_S12_S16_S17_S18_S1B_S1C_jS1D_jS1E_S1E_jjS1G_bEUljE0_EEESZ_S10_S11_S18_S1C_S1E_T6_T7_T9_mT8_S1G_bDpT10_ENKUlT_T0_E_clISt17integral_constantIbLb1EES1T_IbLb0EEEEDaS1P_S1Q_EUlS1P_E_NS1_11comp_targetILNS1_3genE10ELNS1_11target_archE1200ELNS1_3gpuE4ELNS1_3repE0EEENS1_30default_config_static_selectorELNS0_4arch9wavefront6targetE0EEEvS12_
                                        ; -- End function
	.set _ZN7rocprim17ROCPRIM_400000_NS6detail17trampoline_kernelINS0_13select_configILj256ELj13ELNS0_17block_load_methodE3ELS4_3ELS4_3ELNS0_20block_scan_algorithmE0ELj4294967295EEENS1_25partition_config_selectorILNS1_17partition_subalgoE4EjNS0_10empty_typeEbEEZZNS1_14partition_implILS8_4ELb0ES6_15HIP_vector_typeIjLj2EENS0_17counting_iteratorIjlEEPS9_SG_NS0_5tupleIJPjSI_NS0_16reverse_iteratorISI_EEEEENSH_IJSG_SG_SG_EEES9_SI_JZNS1_25segmented_radix_sort_implINS0_14default_configELb0EPKdPdPKlPlN2at6native12_GLOBAL__N_18offset_tEEE10hipError_tPvRmT1_PNSt15iterator_traitsIS12_E10value_typeET2_T3_PNS13_IS18_E10value_typeET4_jRbjT5_S1E_jjP12ihipStream_tbEUljE_ZNSN_ISO_Lb0ESQ_SR_ST_SU_SY_EESZ_S10_S11_S12_S16_S17_S18_S1B_S1C_jS1D_jS1E_S1E_jjS1G_bEUljE0_EEESZ_S10_S11_S18_S1C_S1E_T6_T7_T9_mT8_S1G_bDpT10_ENKUlT_T0_E_clISt17integral_constantIbLb1EES1T_IbLb0EEEEDaS1P_S1Q_EUlS1P_E_NS1_11comp_targetILNS1_3genE10ELNS1_11target_archE1200ELNS1_3gpuE4ELNS1_3repE0EEENS1_30default_config_static_selectorELNS0_4arch9wavefront6targetE0EEEvS12_.num_vgpr, 0
	.set _ZN7rocprim17ROCPRIM_400000_NS6detail17trampoline_kernelINS0_13select_configILj256ELj13ELNS0_17block_load_methodE3ELS4_3ELS4_3ELNS0_20block_scan_algorithmE0ELj4294967295EEENS1_25partition_config_selectorILNS1_17partition_subalgoE4EjNS0_10empty_typeEbEEZZNS1_14partition_implILS8_4ELb0ES6_15HIP_vector_typeIjLj2EENS0_17counting_iteratorIjlEEPS9_SG_NS0_5tupleIJPjSI_NS0_16reverse_iteratorISI_EEEEENSH_IJSG_SG_SG_EEES9_SI_JZNS1_25segmented_radix_sort_implINS0_14default_configELb0EPKdPdPKlPlN2at6native12_GLOBAL__N_18offset_tEEE10hipError_tPvRmT1_PNSt15iterator_traitsIS12_E10value_typeET2_T3_PNS13_IS18_E10value_typeET4_jRbjT5_S1E_jjP12ihipStream_tbEUljE_ZNSN_ISO_Lb0ESQ_SR_ST_SU_SY_EESZ_S10_S11_S12_S16_S17_S18_S1B_S1C_jS1D_jS1E_S1E_jjS1G_bEUljE0_EEESZ_S10_S11_S18_S1C_S1E_T6_T7_T9_mT8_S1G_bDpT10_ENKUlT_T0_E_clISt17integral_constantIbLb1EES1T_IbLb0EEEEDaS1P_S1Q_EUlS1P_E_NS1_11comp_targetILNS1_3genE10ELNS1_11target_archE1200ELNS1_3gpuE4ELNS1_3repE0EEENS1_30default_config_static_selectorELNS0_4arch9wavefront6targetE0EEEvS12_.num_agpr, 0
	.set _ZN7rocprim17ROCPRIM_400000_NS6detail17trampoline_kernelINS0_13select_configILj256ELj13ELNS0_17block_load_methodE3ELS4_3ELS4_3ELNS0_20block_scan_algorithmE0ELj4294967295EEENS1_25partition_config_selectorILNS1_17partition_subalgoE4EjNS0_10empty_typeEbEEZZNS1_14partition_implILS8_4ELb0ES6_15HIP_vector_typeIjLj2EENS0_17counting_iteratorIjlEEPS9_SG_NS0_5tupleIJPjSI_NS0_16reverse_iteratorISI_EEEEENSH_IJSG_SG_SG_EEES9_SI_JZNS1_25segmented_radix_sort_implINS0_14default_configELb0EPKdPdPKlPlN2at6native12_GLOBAL__N_18offset_tEEE10hipError_tPvRmT1_PNSt15iterator_traitsIS12_E10value_typeET2_T3_PNS13_IS18_E10value_typeET4_jRbjT5_S1E_jjP12ihipStream_tbEUljE_ZNSN_ISO_Lb0ESQ_SR_ST_SU_SY_EESZ_S10_S11_S12_S16_S17_S18_S1B_S1C_jS1D_jS1E_S1E_jjS1G_bEUljE0_EEESZ_S10_S11_S18_S1C_S1E_T6_T7_T9_mT8_S1G_bDpT10_ENKUlT_T0_E_clISt17integral_constantIbLb1EES1T_IbLb0EEEEDaS1P_S1Q_EUlS1P_E_NS1_11comp_targetILNS1_3genE10ELNS1_11target_archE1200ELNS1_3gpuE4ELNS1_3repE0EEENS1_30default_config_static_selectorELNS0_4arch9wavefront6targetE0EEEvS12_.numbered_sgpr, 0
	.set _ZN7rocprim17ROCPRIM_400000_NS6detail17trampoline_kernelINS0_13select_configILj256ELj13ELNS0_17block_load_methodE3ELS4_3ELS4_3ELNS0_20block_scan_algorithmE0ELj4294967295EEENS1_25partition_config_selectorILNS1_17partition_subalgoE4EjNS0_10empty_typeEbEEZZNS1_14partition_implILS8_4ELb0ES6_15HIP_vector_typeIjLj2EENS0_17counting_iteratorIjlEEPS9_SG_NS0_5tupleIJPjSI_NS0_16reverse_iteratorISI_EEEEENSH_IJSG_SG_SG_EEES9_SI_JZNS1_25segmented_radix_sort_implINS0_14default_configELb0EPKdPdPKlPlN2at6native12_GLOBAL__N_18offset_tEEE10hipError_tPvRmT1_PNSt15iterator_traitsIS12_E10value_typeET2_T3_PNS13_IS18_E10value_typeET4_jRbjT5_S1E_jjP12ihipStream_tbEUljE_ZNSN_ISO_Lb0ESQ_SR_ST_SU_SY_EESZ_S10_S11_S12_S16_S17_S18_S1B_S1C_jS1D_jS1E_S1E_jjS1G_bEUljE0_EEESZ_S10_S11_S18_S1C_S1E_T6_T7_T9_mT8_S1G_bDpT10_ENKUlT_T0_E_clISt17integral_constantIbLb1EES1T_IbLb0EEEEDaS1P_S1Q_EUlS1P_E_NS1_11comp_targetILNS1_3genE10ELNS1_11target_archE1200ELNS1_3gpuE4ELNS1_3repE0EEENS1_30default_config_static_selectorELNS0_4arch9wavefront6targetE0EEEvS12_.num_named_barrier, 0
	.set _ZN7rocprim17ROCPRIM_400000_NS6detail17trampoline_kernelINS0_13select_configILj256ELj13ELNS0_17block_load_methodE3ELS4_3ELS4_3ELNS0_20block_scan_algorithmE0ELj4294967295EEENS1_25partition_config_selectorILNS1_17partition_subalgoE4EjNS0_10empty_typeEbEEZZNS1_14partition_implILS8_4ELb0ES6_15HIP_vector_typeIjLj2EENS0_17counting_iteratorIjlEEPS9_SG_NS0_5tupleIJPjSI_NS0_16reverse_iteratorISI_EEEEENSH_IJSG_SG_SG_EEES9_SI_JZNS1_25segmented_radix_sort_implINS0_14default_configELb0EPKdPdPKlPlN2at6native12_GLOBAL__N_18offset_tEEE10hipError_tPvRmT1_PNSt15iterator_traitsIS12_E10value_typeET2_T3_PNS13_IS18_E10value_typeET4_jRbjT5_S1E_jjP12ihipStream_tbEUljE_ZNSN_ISO_Lb0ESQ_SR_ST_SU_SY_EESZ_S10_S11_S12_S16_S17_S18_S1B_S1C_jS1D_jS1E_S1E_jjS1G_bEUljE0_EEESZ_S10_S11_S18_S1C_S1E_T6_T7_T9_mT8_S1G_bDpT10_ENKUlT_T0_E_clISt17integral_constantIbLb1EES1T_IbLb0EEEEDaS1P_S1Q_EUlS1P_E_NS1_11comp_targetILNS1_3genE10ELNS1_11target_archE1200ELNS1_3gpuE4ELNS1_3repE0EEENS1_30default_config_static_selectorELNS0_4arch9wavefront6targetE0EEEvS12_.private_seg_size, 0
	.set _ZN7rocprim17ROCPRIM_400000_NS6detail17trampoline_kernelINS0_13select_configILj256ELj13ELNS0_17block_load_methodE3ELS4_3ELS4_3ELNS0_20block_scan_algorithmE0ELj4294967295EEENS1_25partition_config_selectorILNS1_17partition_subalgoE4EjNS0_10empty_typeEbEEZZNS1_14partition_implILS8_4ELb0ES6_15HIP_vector_typeIjLj2EENS0_17counting_iteratorIjlEEPS9_SG_NS0_5tupleIJPjSI_NS0_16reverse_iteratorISI_EEEEENSH_IJSG_SG_SG_EEES9_SI_JZNS1_25segmented_radix_sort_implINS0_14default_configELb0EPKdPdPKlPlN2at6native12_GLOBAL__N_18offset_tEEE10hipError_tPvRmT1_PNSt15iterator_traitsIS12_E10value_typeET2_T3_PNS13_IS18_E10value_typeET4_jRbjT5_S1E_jjP12ihipStream_tbEUljE_ZNSN_ISO_Lb0ESQ_SR_ST_SU_SY_EESZ_S10_S11_S12_S16_S17_S18_S1B_S1C_jS1D_jS1E_S1E_jjS1G_bEUljE0_EEESZ_S10_S11_S18_S1C_S1E_T6_T7_T9_mT8_S1G_bDpT10_ENKUlT_T0_E_clISt17integral_constantIbLb1EES1T_IbLb0EEEEDaS1P_S1Q_EUlS1P_E_NS1_11comp_targetILNS1_3genE10ELNS1_11target_archE1200ELNS1_3gpuE4ELNS1_3repE0EEENS1_30default_config_static_selectorELNS0_4arch9wavefront6targetE0EEEvS12_.uses_vcc, 0
	.set _ZN7rocprim17ROCPRIM_400000_NS6detail17trampoline_kernelINS0_13select_configILj256ELj13ELNS0_17block_load_methodE3ELS4_3ELS4_3ELNS0_20block_scan_algorithmE0ELj4294967295EEENS1_25partition_config_selectorILNS1_17partition_subalgoE4EjNS0_10empty_typeEbEEZZNS1_14partition_implILS8_4ELb0ES6_15HIP_vector_typeIjLj2EENS0_17counting_iteratorIjlEEPS9_SG_NS0_5tupleIJPjSI_NS0_16reverse_iteratorISI_EEEEENSH_IJSG_SG_SG_EEES9_SI_JZNS1_25segmented_radix_sort_implINS0_14default_configELb0EPKdPdPKlPlN2at6native12_GLOBAL__N_18offset_tEEE10hipError_tPvRmT1_PNSt15iterator_traitsIS12_E10value_typeET2_T3_PNS13_IS18_E10value_typeET4_jRbjT5_S1E_jjP12ihipStream_tbEUljE_ZNSN_ISO_Lb0ESQ_SR_ST_SU_SY_EESZ_S10_S11_S12_S16_S17_S18_S1B_S1C_jS1D_jS1E_S1E_jjS1G_bEUljE0_EEESZ_S10_S11_S18_S1C_S1E_T6_T7_T9_mT8_S1G_bDpT10_ENKUlT_T0_E_clISt17integral_constantIbLb1EES1T_IbLb0EEEEDaS1P_S1Q_EUlS1P_E_NS1_11comp_targetILNS1_3genE10ELNS1_11target_archE1200ELNS1_3gpuE4ELNS1_3repE0EEENS1_30default_config_static_selectorELNS0_4arch9wavefront6targetE0EEEvS12_.uses_flat_scratch, 0
	.set _ZN7rocprim17ROCPRIM_400000_NS6detail17trampoline_kernelINS0_13select_configILj256ELj13ELNS0_17block_load_methodE3ELS4_3ELS4_3ELNS0_20block_scan_algorithmE0ELj4294967295EEENS1_25partition_config_selectorILNS1_17partition_subalgoE4EjNS0_10empty_typeEbEEZZNS1_14partition_implILS8_4ELb0ES6_15HIP_vector_typeIjLj2EENS0_17counting_iteratorIjlEEPS9_SG_NS0_5tupleIJPjSI_NS0_16reverse_iteratorISI_EEEEENSH_IJSG_SG_SG_EEES9_SI_JZNS1_25segmented_radix_sort_implINS0_14default_configELb0EPKdPdPKlPlN2at6native12_GLOBAL__N_18offset_tEEE10hipError_tPvRmT1_PNSt15iterator_traitsIS12_E10value_typeET2_T3_PNS13_IS18_E10value_typeET4_jRbjT5_S1E_jjP12ihipStream_tbEUljE_ZNSN_ISO_Lb0ESQ_SR_ST_SU_SY_EESZ_S10_S11_S12_S16_S17_S18_S1B_S1C_jS1D_jS1E_S1E_jjS1G_bEUljE0_EEESZ_S10_S11_S18_S1C_S1E_T6_T7_T9_mT8_S1G_bDpT10_ENKUlT_T0_E_clISt17integral_constantIbLb1EES1T_IbLb0EEEEDaS1P_S1Q_EUlS1P_E_NS1_11comp_targetILNS1_3genE10ELNS1_11target_archE1200ELNS1_3gpuE4ELNS1_3repE0EEENS1_30default_config_static_selectorELNS0_4arch9wavefront6targetE0EEEvS12_.has_dyn_sized_stack, 0
	.set _ZN7rocprim17ROCPRIM_400000_NS6detail17trampoline_kernelINS0_13select_configILj256ELj13ELNS0_17block_load_methodE3ELS4_3ELS4_3ELNS0_20block_scan_algorithmE0ELj4294967295EEENS1_25partition_config_selectorILNS1_17partition_subalgoE4EjNS0_10empty_typeEbEEZZNS1_14partition_implILS8_4ELb0ES6_15HIP_vector_typeIjLj2EENS0_17counting_iteratorIjlEEPS9_SG_NS0_5tupleIJPjSI_NS0_16reverse_iteratorISI_EEEEENSH_IJSG_SG_SG_EEES9_SI_JZNS1_25segmented_radix_sort_implINS0_14default_configELb0EPKdPdPKlPlN2at6native12_GLOBAL__N_18offset_tEEE10hipError_tPvRmT1_PNSt15iterator_traitsIS12_E10value_typeET2_T3_PNS13_IS18_E10value_typeET4_jRbjT5_S1E_jjP12ihipStream_tbEUljE_ZNSN_ISO_Lb0ESQ_SR_ST_SU_SY_EESZ_S10_S11_S12_S16_S17_S18_S1B_S1C_jS1D_jS1E_S1E_jjS1G_bEUljE0_EEESZ_S10_S11_S18_S1C_S1E_T6_T7_T9_mT8_S1G_bDpT10_ENKUlT_T0_E_clISt17integral_constantIbLb1EES1T_IbLb0EEEEDaS1P_S1Q_EUlS1P_E_NS1_11comp_targetILNS1_3genE10ELNS1_11target_archE1200ELNS1_3gpuE4ELNS1_3repE0EEENS1_30default_config_static_selectorELNS0_4arch9wavefront6targetE0EEEvS12_.has_recursion, 0
	.set _ZN7rocprim17ROCPRIM_400000_NS6detail17trampoline_kernelINS0_13select_configILj256ELj13ELNS0_17block_load_methodE3ELS4_3ELS4_3ELNS0_20block_scan_algorithmE0ELj4294967295EEENS1_25partition_config_selectorILNS1_17partition_subalgoE4EjNS0_10empty_typeEbEEZZNS1_14partition_implILS8_4ELb0ES6_15HIP_vector_typeIjLj2EENS0_17counting_iteratorIjlEEPS9_SG_NS0_5tupleIJPjSI_NS0_16reverse_iteratorISI_EEEEENSH_IJSG_SG_SG_EEES9_SI_JZNS1_25segmented_radix_sort_implINS0_14default_configELb0EPKdPdPKlPlN2at6native12_GLOBAL__N_18offset_tEEE10hipError_tPvRmT1_PNSt15iterator_traitsIS12_E10value_typeET2_T3_PNS13_IS18_E10value_typeET4_jRbjT5_S1E_jjP12ihipStream_tbEUljE_ZNSN_ISO_Lb0ESQ_SR_ST_SU_SY_EESZ_S10_S11_S12_S16_S17_S18_S1B_S1C_jS1D_jS1E_S1E_jjS1G_bEUljE0_EEESZ_S10_S11_S18_S1C_S1E_T6_T7_T9_mT8_S1G_bDpT10_ENKUlT_T0_E_clISt17integral_constantIbLb1EES1T_IbLb0EEEEDaS1P_S1Q_EUlS1P_E_NS1_11comp_targetILNS1_3genE10ELNS1_11target_archE1200ELNS1_3gpuE4ELNS1_3repE0EEENS1_30default_config_static_selectorELNS0_4arch9wavefront6targetE0EEEvS12_.has_indirect_call, 0
	.section	.AMDGPU.csdata,"",@progbits
; Kernel info:
; codeLenInByte = 0
; TotalNumSgprs: 0
; NumVgprs: 0
; ScratchSize: 0
; MemoryBound: 0
; FloatMode: 240
; IeeeMode: 1
; LDSByteSize: 0 bytes/workgroup (compile time only)
; SGPRBlocks: 0
; VGPRBlocks: 0
; NumSGPRsForWavesPerEU: 1
; NumVGPRsForWavesPerEU: 1
; Occupancy: 16
; WaveLimiterHint : 0
; COMPUTE_PGM_RSRC2:SCRATCH_EN: 0
; COMPUTE_PGM_RSRC2:USER_SGPR: 6
; COMPUTE_PGM_RSRC2:TRAP_HANDLER: 0
; COMPUTE_PGM_RSRC2:TGID_X_EN: 1
; COMPUTE_PGM_RSRC2:TGID_Y_EN: 0
; COMPUTE_PGM_RSRC2:TGID_Z_EN: 0
; COMPUTE_PGM_RSRC2:TIDIG_COMP_CNT: 0
	.section	.text._ZN7rocprim17ROCPRIM_400000_NS6detail17trampoline_kernelINS0_13select_configILj256ELj13ELNS0_17block_load_methodE3ELS4_3ELS4_3ELNS0_20block_scan_algorithmE0ELj4294967295EEENS1_25partition_config_selectorILNS1_17partition_subalgoE4EjNS0_10empty_typeEbEEZZNS1_14partition_implILS8_4ELb0ES6_15HIP_vector_typeIjLj2EENS0_17counting_iteratorIjlEEPS9_SG_NS0_5tupleIJPjSI_NS0_16reverse_iteratorISI_EEEEENSH_IJSG_SG_SG_EEES9_SI_JZNS1_25segmented_radix_sort_implINS0_14default_configELb0EPKdPdPKlPlN2at6native12_GLOBAL__N_18offset_tEEE10hipError_tPvRmT1_PNSt15iterator_traitsIS12_E10value_typeET2_T3_PNS13_IS18_E10value_typeET4_jRbjT5_S1E_jjP12ihipStream_tbEUljE_ZNSN_ISO_Lb0ESQ_SR_ST_SU_SY_EESZ_S10_S11_S12_S16_S17_S18_S1B_S1C_jS1D_jS1E_S1E_jjS1G_bEUljE0_EEESZ_S10_S11_S18_S1C_S1E_T6_T7_T9_mT8_S1G_bDpT10_ENKUlT_T0_E_clISt17integral_constantIbLb1EES1T_IbLb0EEEEDaS1P_S1Q_EUlS1P_E_NS1_11comp_targetILNS1_3genE9ELNS1_11target_archE1100ELNS1_3gpuE3ELNS1_3repE0EEENS1_30default_config_static_selectorELNS0_4arch9wavefront6targetE0EEEvS12_,"axG",@progbits,_ZN7rocprim17ROCPRIM_400000_NS6detail17trampoline_kernelINS0_13select_configILj256ELj13ELNS0_17block_load_methodE3ELS4_3ELS4_3ELNS0_20block_scan_algorithmE0ELj4294967295EEENS1_25partition_config_selectorILNS1_17partition_subalgoE4EjNS0_10empty_typeEbEEZZNS1_14partition_implILS8_4ELb0ES6_15HIP_vector_typeIjLj2EENS0_17counting_iteratorIjlEEPS9_SG_NS0_5tupleIJPjSI_NS0_16reverse_iteratorISI_EEEEENSH_IJSG_SG_SG_EEES9_SI_JZNS1_25segmented_radix_sort_implINS0_14default_configELb0EPKdPdPKlPlN2at6native12_GLOBAL__N_18offset_tEEE10hipError_tPvRmT1_PNSt15iterator_traitsIS12_E10value_typeET2_T3_PNS13_IS18_E10value_typeET4_jRbjT5_S1E_jjP12ihipStream_tbEUljE_ZNSN_ISO_Lb0ESQ_SR_ST_SU_SY_EESZ_S10_S11_S12_S16_S17_S18_S1B_S1C_jS1D_jS1E_S1E_jjS1G_bEUljE0_EEESZ_S10_S11_S18_S1C_S1E_T6_T7_T9_mT8_S1G_bDpT10_ENKUlT_T0_E_clISt17integral_constantIbLb1EES1T_IbLb0EEEEDaS1P_S1Q_EUlS1P_E_NS1_11comp_targetILNS1_3genE9ELNS1_11target_archE1100ELNS1_3gpuE3ELNS1_3repE0EEENS1_30default_config_static_selectorELNS0_4arch9wavefront6targetE0EEEvS12_,comdat
	.globl	_ZN7rocprim17ROCPRIM_400000_NS6detail17trampoline_kernelINS0_13select_configILj256ELj13ELNS0_17block_load_methodE3ELS4_3ELS4_3ELNS0_20block_scan_algorithmE0ELj4294967295EEENS1_25partition_config_selectorILNS1_17partition_subalgoE4EjNS0_10empty_typeEbEEZZNS1_14partition_implILS8_4ELb0ES6_15HIP_vector_typeIjLj2EENS0_17counting_iteratorIjlEEPS9_SG_NS0_5tupleIJPjSI_NS0_16reverse_iteratorISI_EEEEENSH_IJSG_SG_SG_EEES9_SI_JZNS1_25segmented_radix_sort_implINS0_14default_configELb0EPKdPdPKlPlN2at6native12_GLOBAL__N_18offset_tEEE10hipError_tPvRmT1_PNSt15iterator_traitsIS12_E10value_typeET2_T3_PNS13_IS18_E10value_typeET4_jRbjT5_S1E_jjP12ihipStream_tbEUljE_ZNSN_ISO_Lb0ESQ_SR_ST_SU_SY_EESZ_S10_S11_S12_S16_S17_S18_S1B_S1C_jS1D_jS1E_S1E_jjS1G_bEUljE0_EEESZ_S10_S11_S18_S1C_S1E_T6_T7_T9_mT8_S1G_bDpT10_ENKUlT_T0_E_clISt17integral_constantIbLb1EES1T_IbLb0EEEEDaS1P_S1Q_EUlS1P_E_NS1_11comp_targetILNS1_3genE9ELNS1_11target_archE1100ELNS1_3gpuE3ELNS1_3repE0EEENS1_30default_config_static_selectorELNS0_4arch9wavefront6targetE0EEEvS12_ ; -- Begin function _ZN7rocprim17ROCPRIM_400000_NS6detail17trampoline_kernelINS0_13select_configILj256ELj13ELNS0_17block_load_methodE3ELS4_3ELS4_3ELNS0_20block_scan_algorithmE0ELj4294967295EEENS1_25partition_config_selectorILNS1_17partition_subalgoE4EjNS0_10empty_typeEbEEZZNS1_14partition_implILS8_4ELb0ES6_15HIP_vector_typeIjLj2EENS0_17counting_iteratorIjlEEPS9_SG_NS0_5tupleIJPjSI_NS0_16reverse_iteratorISI_EEEEENSH_IJSG_SG_SG_EEES9_SI_JZNS1_25segmented_radix_sort_implINS0_14default_configELb0EPKdPdPKlPlN2at6native12_GLOBAL__N_18offset_tEEE10hipError_tPvRmT1_PNSt15iterator_traitsIS12_E10value_typeET2_T3_PNS13_IS18_E10value_typeET4_jRbjT5_S1E_jjP12ihipStream_tbEUljE_ZNSN_ISO_Lb0ESQ_SR_ST_SU_SY_EESZ_S10_S11_S12_S16_S17_S18_S1B_S1C_jS1D_jS1E_S1E_jjS1G_bEUljE0_EEESZ_S10_S11_S18_S1C_S1E_T6_T7_T9_mT8_S1G_bDpT10_ENKUlT_T0_E_clISt17integral_constantIbLb1EES1T_IbLb0EEEEDaS1P_S1Q_EUlS1P_E_NS1_11comp_targetILNS1_3genE9ELNS1_11target_archE1100ELNS1_3gpuE3ELNS1_3repE0EEENS1_30default_config_static_selectorELNS0_4arch9wavefront6targetE0EEEvS12_
	.p2align	8
	.type	_ZN7rocprim17ROCPRIM_400000_NS6detail17trampoline_kernelINS0_13select_configILj256ELj13ELNS0_17block_load_methodE3ELS4_3ELS4_3ELNS0_20block_scan_algorithmE0ELj4294967295EEENS1_25partition_config_selectorILNS1_17partition_subalgoE4EjNS0_10empty_typeEbEEZZNS1_14partition_implILS8_4ELb0ES6_15HIP_vector_typeIjLj2EENS0_17counting_iteratorIjlEEPS9_SG_NS0_5tupleIJPjSI_NS0_16reverse_iteratorISI_EEEEENSH_IJSG_SG_SG_EEES9_SI_JZNS1_25segmented_radix_sort_implINS0_14default_configELb0EPKdPdPKlPlN2at6native12_GLOBAL__N_18offset_tEEE10hipError_tPvRmT1_PNSt15iterator_traitsIS12_E10value_typeET2_T3_PNS13_IS18_E10value_typeET4_jRbjT5_S1E_jjP12ihipStream_tbEUljE_ZNSN_ISO_Lb0ESQ_SR_ST_SU_SY_EESZ_S10_S11_S12_S16_S17_S18_S1B_S1C_jS1D_jS1E_S1E_jjS1G_bEUljE0_EEESZ_S10_S11_S18_S1C_S1E_T6_T7_T9_mT8_S1G_bDpT10_ENKUlT_T0_E_clISt17integral_constantIbLb1EES1T_IbLb0EEEEDaS1P_S1Q_EUlS1P_E_NS1_11comp_targetILNS1_3genE9ELNS1_11target_archE1100ELNS1_3gpuE3ELNS1_3repE0EEENS1_30default_config_static_selectorELNS0_4arch9wavefront6targetE0EEEvS12_,@function
_ZN7rocprim17ROCPRIM_400000_NS6detail17trampoline_kernelINS0_13select_configILj256ELj13ELNS0_17block_load_methodE3ELS4_3ELS4_3ELNS0_20block_scan_algorithmE0ELj4294967295EEENS1_25partition_config_selectorILNS1_17partition_subalgoE4EjNS0_10empty_typeEbEEZZNS1_14partition_implILS8_4ELb0ES6_15HIP_vector_typeIjLj2EENS0_17counting_iteratorIjlEEPS9_SG_NS0_5tupleIJPjSI_NS0_16reverse_iteratorISI_EEEEENSH_IJSG_SG_SG_EEES9_SI_JZNS1_25segmented_radix_sort_implINS0_14default_configELb0EPKdPdPKlPlN2at6native12_GLOBAL__N_18offset_tEEE10hipError_tPvRmT1_PNSt15iterator_traitsIS12_E10value_typeET2_T3_PNS13_IS18_E10value_typeET4_jRbjT5_S1E_jjP12ihipStream_tbEUljE_ZNSN_ISO_Lb0ESQ_SR_ST_SU_SY_EESZ_S10_S11_S12_S16_S17_S18_S1B_S1C_jS1D_jS1E_S1E_jjS1G_bEUljE0_EEESZ_S10_S11_S18_S1C_S1E_T6_T7_T9_mT8_S1G_bDpT10_ENKUlT_T0_E_clISt17integral_constantIbLb1EES1T_IbLb0EEEEDaS1P_S1Q_EUlS1P_E_NS1_11comp_targetILNS1_3genE9ELNS1_11target_archE1100ELNS1_3gpuE3ELNS1_3repE0EEENS1_30default_config_static_selectorELNS0_4arch9wavefront6targetE0EEEvS12_: ; @_ZN7rocprim17ROCPRIM_400000_NS6detail17trampoline_kernelINS0_13select_configILj256ELj13ELNS0_17block_load_methodE3ELS4_3ELS4_3ELNS0_20block_scan_algorithmE0ELj4294967295EEENS1_25partition_config_selectorILNS1_17partition_subalgoE4EjNS0_10empty_typeEbEEZZNS1_14partition_implILS8_4ELb0ES6_15HIP_vector_typeIjLj2EENS0_17counting_iteratorIjlEEPS9_SG_NS0_5tupleIJPjSI_NS0_16reverse_iteratorISI_EEEEENSH_IJSG_SG_SG_EEES9_SI_JZNS1_25segmented_radix_sort_implINS0_14default_configELb0EPKdPdPKlPlN2at6native12_GLOBAL__N_18offset_tEEE10hipError_tPvRmT1_PNSt15iterator_traitsIS12_E10value_typeET2_T3_PNS13_IS18_E10value_typeET4_jRbjT5_S1E_jjP12ihipStream_tbEUljE_ZNSN_ISO_Lb0ESQ_SR_ST_SU_SY_EESZ_S10_S11_S12_S16_S17_S18_S1B_S1C_jS1D_jS1E_S1E_jjS1G_bEUljE0_EEESZ_S10_S11_S18_S1C_S1E_T6_T7_T9_mT8_S1G_bDpT10_ENKUlT_T0_E_clISt17integral_constantIbLb1EES1T_IbLb0EEEEDaS1P_S1Q_EUlS1P_E_NS1_11comp_targetILNS1_3genE9ELNS1_11target_archE1100ELNS1_3gpuE3ELNS1_3repE0EEENS1_30default_config_static_selectorELNS0_4arch9wavefront6targetE0EEEvS12_
; %bb.0:
	.section	.rodata,"a",@progbits
	.p2align	6, 0x0
	.amdhsa_kernel _ZN7rocprim17ROCPRIM_400000_NS6detail17trampoline_kernelINS0_13select_configILj256ELj13ELNS0_17block_load_methodE3ELS4_3ELS4_3ELNS0_20block_scan_algorithmE0ELj4294967295EEENS1_25partition_config_selectorILNS1_17partition_subalgoE4EjNS0_10empty_typeEbEEZZNS1_14partition_implILS8_4ELb0ES6_15HIP_vector_typeIjLj2EENS0_17counting_iteratorIjlEEPS9_SG_NS0_5tupleIJPjSI_NS0_16reverse_iteratorISI_EEEEENSH_IJSG_SG_SG_EEES9_SI_JZNS1_25segmented_radix_sort_implINS0_14default_configELb0EPKdPdPKlPlN2at6native12_GLOBAL__N_18offset_tEEE10hipError_tPvRmT1_PNSt15iterator_traitsIS12_E10value_typeET2_T3_PNS13_IS18_E10value_typeET4_jRbjT5_S1E_jjP12ihipStream_tbEUljE_ZNSN_ISO_Lb0ESQ_SR_ST_SU_SY_EESZ_S10_S11_S12_S16_S17_S18_S1B_S1C_jS1D_jS1E_S1E_jjS1G_bEUljE0_EEESZ_S10_S11_S18_S1C_S1E_T6_T7_T9_mT8_S1G_bDpT10_ENKUlT_T0_E_clISt17integral_constantIbLb1EES1T_IbLb0EEEEDaS1P_S1Q_EUlS1P_E_NS1_11comp_targetILNS1_3genE9ELNS1_11target_archE1100ELNS1_3gpuE3ELNS1_3repE0EEENS1_30default_config_static_selectorELNS0_4arch9wavefront6targetE0EEEvS12_
		.amdhsa_group_segment_fixed_size 0
		.amdhsa_private_segment_fixed_size 0
		.amdhsa_kernarg_size 176
		.amdhsa_user_sgpr_count 6
		.amdhsa_user_sgpr_private_segment_buffer 1
		.amdhsa_user_sgpr_dispatch_ptr 0
		.amdhsa_user_sgpr_queue_ptr 0
		.amdhsa_user_sgpr_kernarg_segment_ptr 1
		.amdhsa_user_sgpr_dispatch_id 0
		.amdhsa_user_sgpr_flat_scratch_init 0
		.amdhsa_user_sgpr_private_segment_size 0
		.amdhsa_wavefront_size32 1
		.amdhsa_uses_dynamic_stack 0
		.amdhsa_system_sgpr_private_segment_wavefront_offset 0
		.amdhsa_system_sgpr_workgroup_id_x 1
		.amdhsa_system_sgpr_workgroup_id_y 0
		.amdhsa_system_sgpr_workgroup_id_z 0
		.amdhsa_system_sgpr_workgroup_info 0
		.amdhsa_system_vgpr_workitem_id 0
		.amdhsa_next_free_vgpr 1
		.amdhsa_next_free_sgpr 1
		.amdhsa_reserve_vcc 0
		.amdhsa_reserve_flat_scratch 0
		.amdhsa_float_round_mode_32 0
		.amdhsa_float_round_mode_16_64 0
		.amdhsa_float_denorm_mode_32 3
		.amdhsa_float_denorm_mode_16_64 3
		.amdhsa_dx10_clamp 1
		.amdhsa_ieee_mode 1
		.amdhsa_fp16_overflow 0
		.amdhsa_workgroup_processor_mode 1
		.amdhsa_memory_ordered 1
		.amdhsa_forward_progress 1
		.amdhsa_shared_vgpr_count 0
		.amdhsa_exception_fp_ieee_invalid_op 0
		.amdhsa_exception_fp_denorm_src 0
		.amdhsa_exception_fp_ieee_div_zero 0
		.amdhsa_exception_fp_ieee_overflow 0
		.amdhsa_exception_fp_ieee_underflow 0
		.amdhsa_exception_fp_ieee_inexact 0
		.amdhsa_exception_int_div_zero 0
	.end_amdhsa_kernel
	.section	.text._ZN7rocprim17ROCPRIM_400000_NS6detail17trampoline_kernelINS0_13select_configILj256ELj13ELNS0_17block_load_methodE3ELS4_3ELS4_3ELNS0_20block_scan_algorithmE0ELj4294967295EEENS1_25partition_config_selectorILNS1_17partition_subalgoE4EjNS0_10empty_typeEbEEZZNS1_14partition_implILS8_4ELb0ES6_15HIP_vector_typeIjLj2EENS0_17counting_iteratorIjlEEPS9_SG_NS0_5tupleIJPjSI_NS0_16reverse_iteratorISI_EEEEENSH_IJSG_SG_SG_EEES9_SI_JZNS1_25segmented_radix_sort_implINS0_14default_configELb0EPKdPdPKlPlN2at6native12_GLOBAL__N_18offset_tEEE10hipError_tPvRmT1_PNSt15iterator_traitsIS12_E10value_typeET2_T3_PNS13_IS18_E10value_typeET4_jRbjT5_S1E_jjP12ihipStream_tbEUljE_ZNSN_ISO_Lb0ESQ_SR_ST_SU_SY_EESZ_S10_S11_S12_S16_S17_S18_S1B_S1C_jS1D_jS1E_S1E_jjS1G_bEUljE0_EEESZ_S10_S11_S18_S1C_S1E_T6_T7_T9_mT8_S1G_bDpT10_ENKUlT_T0_E_clISt17integral_constantIbLb1EES1T_IbLb0EEEEDaS1P_S1Q_EUlS1P_E_NS1_11comp_targetILNS1_3genE9ELNS1_11target_archE1100ELNS1_3gpuE3ELNS1_3repE0EEENS1_30default_config_static_selectorELNS0_4arch9wavefront6targetE0EEEvS12_,"axG",@progbits,_ZN7rocprim17ROCPRIM_400000_NS6detail17trampoline_kernelINS0_13select_configILj256ELj13ELNS0_17block_load_methodE3ELS4_3ELS4_3ELNS0_20block_scan_algorithmE0ELj4294967295EEENS1_25partition_config_selectorILNS1_17partition_subalgoE4EjNS0_10empty_typeEbEEZZNS1_14partition_implILS8_4ELb0ES6_15HIP_vector_typeIjLj2EENS0_17counting_iteratorIjlEEPS9_SG_NS0_5tupleIJPjSI_NS0_16reverse_iteratorISI_EEEEENSH_IJSG_SG_SG_EEES9_SI_JZNS1_25segmented_radix_sort_implINS0_14default_configELb0EPKdPdPKlPlN2at6native12_GLOBAL__N_18offset_tEEE10hipError_tPvRmT1_PNSt15iterator_traitsIS12_E10value_typeET2_T3_PNS13_IS18_E10value_typeET4_jRbjT5_S1E_jjP12ihipStream_tbEUljE_ZNSN_ISO_Lb0ESQ_SR_ST_SU_SY_EESZ_S10_S11_S12_S16_S17_S18_S1B_S1C_jS1D_jS1E_S1E_jjS1G_bEUljE0_EEESZ_S10_S11_S18_S1C_S1E_T6_T7_T9_mT8_S1G_bDpT10_ENKUlT_T0_E_clISt17integral_constantIbLb1EES1T_IbLb0EEEEDaS1P_S1Q_EUlS1P_E_NS1_11comp_targetILNS1_3genE9ELNS1_11target_archE1100ELNS1_3gpuE3ELNS1_3repE0EEENS1_30default_config_static_selectorELNS0_4arch9wavefront6targetE0EEEvS12_,comdat
.Lfunc_end1171:
	.size	_ZN7rocprim17ROCPRIM_400000_NS6detail17trampoline_kernelINS0_13select_configILj256ELj13ELNS0_17block_load_methodE3ELS4_3ELS4_3ELNS0_20block_scan_algorithmE0ELj4294967295EEENS1_25partition_config_selectorILNS1_17partition_subalgoE4EjNS0_10empty_typeEbEEZZNS1_14partition_implILS8_4ELb0ES6_15HIP_vector_typeIjLj2EENS0_17counting_iteratorIjlEEPS9_SG_NS0_5tupleIJPjSI_NS0_16reverse_iteratorISI_EEEEENSH_IJSG_SG_SG_EEES9_SI_JZNS1_25segmented_radix_sort_implINS0_14default_configELb0EPKdPdPKlPlN2at6native12_GLOBAL__N_18offset_tEEE10hipError_tPvRmT1_PNSt15iterator_traitsIS12_E10value_typeET2_T3_PNS13_IS18_E10value_typeET4_jRbjT5_S1E_jjP12ihipStream_tbEUljE_ZNSN_ISO_Lb0ESQ_SR_ST_SU_SY_EESZ_S10_S11_S12_S16_S17_S18_S1B_S1C_jS1D_jS1E_S1E_jjS1G_bEUljE0_EEESZ_S10_S11_S18_S1C_S1E_T6_T7_T9_mT8_S1G_bDpT10_ENKUlT_T0_E_clISt17integral_constantIbLb1EES1T_IbLb0EEEEDaS1P_S1Q_EUlS1P_E_NS1_11comp_targetILNS1_3genE9ELNS1_11target_archE1100ELNS1_3gpuE3ELNS1_3repE0EEENS1_30default_config_static_selectorELNS0_4arch9wavefront6targetE0EEEvS12_, .Lfunc_end1171-_ZN7rocprim17ROCPRIM_400000_NS6detail17trampoline_kernelINS0_13select_configILj256ELj13ELNS0_17block_load_methodE3ELS4_3ELS4_3ELNS0_20block_scan_algorithmE0ELj4294967295EEENS1_25partition_config_selectorILNS1_17partition_subalgoE4EjNS0_10empty_typeEbEEZZNS1_14partition_implILS8_4ELb0ES6_15HIP_vector_typeIjLj2EENS0_17counting_iteratorIjlEEPS9_SG_NS0_5tupleIJPjSI_NS0_16reverse_iteratorISI_EEEEENSH_IJSG_SG_SG_EEES9_SI_JZNS1_25segmented_radix_sort_implINS0_14default_configELb0EPKdPdPKlPlN2at6native12_GLOBAL__N_18offset_tEEE10hipError_tPvRmT1_PNSt15iterator_traitsIS12_E10value_typeET2_T3_PNS13_IS18_E10value_typeET4_jRbjT5_S1E_jjP12ihipStream_tbEUljE_ZNSN_ISO_Lb0ESQ_SR_ST_SU_SY_EESZ_S10_S11_S12_S16_S17_S18_S1B_S1C_jS1D_jS1E_S1E_jjS1G_bEUljE0_EEESZ_S10_S11_S18_S1C_S1E_T6_T7_T9_mT8_S1G_bDpT10_ENKUlT_T0_E_clISt17integral_constantIbLb1EES1T_IbLb0EEEEDaS1P_S1Q_EUlS1P_E_NS1_11comp_targetILNS1_3genE9ELNS1_11target_archE1100ELNS1_3gpuE3ELNS1_3repE0EEENS1_30default_config_static_selectorELNS0_4arch9wavefront6targetE0EEEvS12_
                                        ; -- End function
	.set _ZN7rocprim17ROCPRIM_400000_NS6detail17trampoline_kernelINS0_13select_configILj256ELj13ELNS0_17block_load_methodE3ELS4_3ELS4_3ELNS0_20block_scan_algorithmE0ELj4294967295EEENS1_25partition_config_selectorILNS1_17partition_subalgoE4EjNS0_10empty_typeEbEEZZNS1_14partition_implILS8_4ELb0ES6_15HIP_vector_typeIjLj2EENS0_17counting_iteratorIjlEEPS9_SG_NS0_5tupleIJPjSI_NS0_16reverse_iteratorISI_EEEEENSH_IJSG_SG_SG_EEES9_SI_JZNS1_25segmented_radix_sort_implINS0_14default_configELb0EPKdPdPKlPlN2at6native12_GLOBAL__N_18offset_tEEE10hipError_tPvRmT1_PNSt15iterator_traitsIS12_E10value_typeET2_T3_PNS13_IS18_E10value_typeET4_jRbjT5_S1E_jjP12ihipStream_tbEUljE_ZNSN_ISO_Lb0ESQ_SR_ST_SU_SY_EESZ_S10_S11_S12_S16_S17_S18_S1B_S1C_jS1D_jS1E_S1E_jjS1G_bEUljE0_EEESZ_S10_S11_S18_S1C_S1E_T6_T7_T9_mT8_S1G_bDpT10_ENKUlT_T0_E_clISt17integral_constantIbLb1EES1T_IbLb0EEEEDaS1P_S1Q_EUlS1P_E_NS1_11comp_targetILNS1_3genE9ELNS1_11target_archE1100ELNS1_3gpuE3ELNS1_3repE0EEENS1_30default_config_static_selectorELNS0_4arch9wavefront6targetE0EEEvS12_.num_vgpr, 0
	.set _ZN7rocprim17ROCPRIM_400000_NS6detail17trampoline_kernelINS0_13select_configILj256ELj13ELNS0_17block_load_methodE3ELS4_3ELS4_3ELNS0_20block_scan_algorithmE0ELj4294967295EEENS1_25partition_config_selectorILNS1_17partition_subalgoE4EjNS0_10empty_typeEbEEZZNS1_14partition_implILS8_4ELb0ES6_15HIP_vector_typeIjLj2EENS0_17counting_iteratorIjlEEPS9_SG_NS0_5tupleIJPjSI_NS0_16reverse_iteratorISI_EEEEENSH_IJSG_SG_SG_EEES9_SI_JZNS1_25segmented_radix_sort_implINS0_14default_configELb0EPKdPdPKlPlN2at6native12_GLOBAL__N_18offset_tEEE10hipError_tPvRmT1_PNSt15iterator_traitsIS12_E10value_typeET2_T3_PNS13_IS18_E10value_typeET4_jRbjT5_S1E_jjP12ihipStream_tbEUljE_ZNSN_ISO_Lb0ESQ_SR_ST_SU_SY_EESZ_S10_S11_S12_S16_S17_S18_S1B_S1C_jS1D_jS1E_S1E_jjS1G_bEUljE0_EEESZ_S10_S11_S18_S1C_S1E_T6_T7_T9_mT8_S1G_bDpT10_ENKUlT_T0_E_clISt17integral_constantIbLb1EES1T_IbLb0EEEEDaS1P_S1Q_EUlS1P_E_NS1_11comp_targetILNS1_3genE9ELNS1_11target_archE1100ELNS1_3gpuE3ELNS1_3repE0EEENS1_30default_config_static_selectorELNS0_4arch9wavefront6targetE0EEEvS12_.num_agpr, 0
	.set _ZN7rocprim17ROCPRIM_400000_NS6detail17trampoline_kernelINS0_13select_configILj256ELj13ELNS0_17block_load_methodE3ELS4_3ELS4_3ELNS0_20block_scan_algorithmE0ELj4294967295EEENS1_25partition_config_selectorILNS1_17partition_subalgoE4EjNS0_10empty_typeEbEEZZNS1_14partition_implILS8_4ELb0ES6_15HIP_vector_typeIjLj2EENS0_17counting_iteratorIjlEEPS9_SG_NS0_5tupleIJPjSI_NS0_16reverse_iteratorISI_EEEEENSH_IJSG_SG_SG_EEES9_SI_JZNS1_25segmented_radix_sort_implINS0_14default_configELb0EPKdPdPKlPlN2at6native12_GLOBAL__N_18offset_tEEE10hipError_tPvRmT1_PNSt15iterator_traitsIS12_E10value_typeET2_T3_PNS13_IS18_E10value_typeET4_jRbjT5_S1E_jjP12ihipStream_tbEUljE_ZNSN_ISO_Lb0ESQ_SR_ST_SU_SY_EESZ_S10_S11_S12_S16_S17_S18_S1B_S1C_jS1D_jS1E_S1E_jjS1G_bEUljE0_EEESZ_S10_S11_S18_S1C_S1E_T6_T7_T9_mT8_S1G_bDpT10_ENKUlT_T0_E_clISt17integral_constantIbLb1EES1T_IbLb0EEEEDaS1P_S1Q_EUlS1P_E_NS1_11comp_targetILNS1_3genE9ELNS1_11target_archE1100ELNS1_3gpuE3ELNS1_3repE0EEENS1_30default_config_static_selectorELNS0_4arch9wavefront6targetE0EEEvS12_.numbered_sgpr, 0
	.set _ZN7rocprim17ROCPRIM_400000_NS6detail17trampoline_kernelINS0_13select_configILj256ELj13ELNS0_17block_load_methodE3ELS4_3ELS4_3ELNS0_20block_scan_algorithmE0ELj4294967295EEENS1_25partition_config_selectorILNS1_17partition_subalgoE4EjNS0_10empty_typeEbEEZZNS1_14partition_implILS8_4ELb0ES6_15HIP_vector_typeIjLj2EENS0_17counting_iteratorIjlEEPS9_SG_NS0_5tupleIJPjSI_NS0_16reverse_iteratorISI_EEEEENSH_IJSG_SG_SG_EEES9_SI_JZNS1_25segmented_radix_sort_implINS0_14default_configELb0EPKdPdPKlPlN2at6native12_GLOBAL__N_18offset_tEEE10hipError_tPvRmT1_PNSt15iterator_traitsIS12_E10value_typeET2_T3_PNS13_IS18_E10value_typeET4_jRbjT5_S1E_jjP12ihipStream_tbEUljE_ZNSN_ISO_Lb0ESQ_SR_ST_SU_SY_EESZ_S10_S11_S12_S16_S17_S18_S1B_S1C_jS1D_jS1E_S1E_jjS1G_bEUljE0_EEESZ_S10_S11_S18_S1C_S1E_T6_T7_T9_mT8_S1G_bDpT10_ENKUlT_T0_E_clISt17integral_constantIbLb1EES1T_IbLb0EEEEDaS1P_S1Q_EUlS1P_E_NS1_11comp_targetILNS1_3genE9ELNS1_11target_archE1100ELNS1_3gpuE3ELNS1_3repE0EEENS1_30default_config_static_selectorELNS0_4arch9wavefront6targetE0EEEvS12_.num_named_barrier, 0
	.set _ZN7rocprim17ROCPRIM_400000_NS6detail17trampoline_kernelINS0_13select_configILj256ELj13ELNS0_17block_load_methodE3ELS4_3ELS4_3ELNS0_20block_scan_algorithmE0ELj4294967295EEENS1_25partition_config_selectorILNS1_17partition_subalgoE4EjNS0_10empty_typeEbEEZZNS1_14partition_implILS8_4ELb0ES6_15HIP_vector_typeIjLj2EENS0_17counting_iteratorIjlEEPS9_SG_NS0_5tupleIJPjSI_NS0_16reverse_iteratorISI_EEEEENSH_IJSG_SG_SG_EEES9_SI_JZNS1_25segmented_radix_sort_implINS0_14default_configELb0EPKdPdPKlPlN2at6native12_GLOBAL__N_18offset_tEEE10hipError_tPvRmT1_PNSt15iterator_traitsIS12_E10value_typeET2_T3_PNS13_IS18_E10value_typeET4_jRbjT5_S1E_jjP12ihipStream_tbEUljE_ZNSN_ISO_Lb0ESQ_SR_ST_SU_SY_EESZ_S10_S11_S12_S16_S17_S18_S1B_S1C_jS1D_jS1E_S1E_jjS1G_bEUljE0_EEESZ_S10_S11_S18_S1C_S1E_T6_T7_T9_mT8_S1G_bDpT10_ENKUlT_T0_E_clISt17integral_constantIbLb1EES1T_IbLb0EEEEDaS1P_S1Q_EUlS1P_E_NS1_11comp_targetILNS1_3genE9ELNS1_11target_archE1100ELNS1_3gpuE3ELNS1_3repE0EEENS1_30default_config_static_selectorELNS0_4arch9wavefront6targetE0EEEvS12_.private_seg_size, 0
	.set _ZN7rocprim17ROCPRIM_400000_NS6detail17trampoline_kernelINS0_13select_configILj256ELj13ELNS0_17block_load_methodE3ELS4_3ELS4_3ELNS0_20block_scan_algorithmE0ELj4294967295EEENS1_25partition_config_selectorILNS1_17partition_subalgoE4EjNS0_10empty_typeEbEEZZNS1_14partition_implILS8_4ELb0ES6_15HIP_vector_typeIjLj2EENS0_17counting_iteratorIjlEEPS9_SG_NS0_5tupleIJPjSI_NS0_16reverse_iteratorISI_EEEEENSH_IJSG_SG_SG_EEES9_SI_JZNS1_25segmented_radix_sort_implINS0_14default_configELb0EPKdPdPKlPlN2at6native12_GLOBAL__N_18offset_tEEE10hipError_tPvRmT1_PNSt15iterator_traitsIS12_E10value_typeET2_T3_PNS13_IS18_E10value_typeET4_jRbjT5_S1E_jjP12ihipStream_tbEUljE_ZNSN_ISO_Lb0ESQ_SR_ST_SU_SY_EESZ_S10_S11_S12_S16_S17_S18_S1B_S1C_jS1D_jS1E_S1E_jjS1G_bEUljE0_EEESZ_S10_S11_S18_S1C_S1E_T6_T7_T9_mT8_S1G_bDpT10_ENKUlT_T0_E_clISt17integral_constantIbLb1EES1T_IbLb0EEEEDaS1P_S1Q_EUlS1P_E_NS1_11comp_targetILNS1_3genE9ELNS1_11target_archE1100ELNS1_3gpuE3ELNS1_3repE0EEENS1_30default_config_static_selectorELNS0_4arch9wavefront6targetE0EEEvS12_.uses_vcc, 0
	.set _ZN7rocprim17ROCPRIM_400000_NS6detail17trampoline_kernelINS0_13select_configILj256ELj13ELNS0_17block_load_methodE3ELS4_3ELS4_3ELNS0_20block_scan_algorithmE0ELj4294967295EEENS1_25partition_config_selectorILNS1_17partition_subalgoE4EjNS0_10empty_typeEbEEZZNS1_14partition_implILS8_4ELb0ES6_15HIP_vector_typeIjLj2EENS0_17counting_iteratorIjlEEPS9_SG_NS0_5tupleIJPjSI_NS0_16reverse_iteratorISI_EEEEENSH_IJSG_SG_SG_EEES9_SI_JZNS1_25segmented_radix_sort_implINS0_14default_configELb0EPKdPdPKlPlN2at6native12_GLOBAL__N_18offset_tEEE10hipError_tPvRmT1_PNSt15iterator_traitsIS12_E10value_typeET2_T3_PNS13_IS18_E10value_typeET4_jRbjT5_S1E_jjP12ihipStream_tbEUljE_ZNSN_ISO_Lb0ESQ_SR_ST_SU_SY_EESZ_S10_S11_S12_S16_S17_S18_S1B_S1C_jS1D_jS1E_S1E_jjS1G_bEUljE0_EEESZ_S10_S11_S18_S1C_S1E_T6_T7_T9_mT8_S1G_bDpT10_ENKUlT_T0_E_clISt17integral_constantIbLb1EES1T_IbLb0EEEEDaS1P_S1Q_EUlS1P_E_NS1_11comp_targetILNS1_3genE9ELNS1_11target_archE1100ELNS1_3gpuE3ELNS1_3repE0EEENS1_30default_config_static_selectorELNS0_4arch9wavefront6targetE0EEEvS12_.uses_flat_scratch, 0
	.set _ZN7rocprim17ROCPRIM_400000_NS6detail17trampoline_kernelINS0_13select_configILj256ELj13ELNS0_17block_load_methodE3ELS4_3ELS4_3ELNS0_20block_scan_algorithmE0ELj4294967295EEENS1_25partition_config_selectorILNS1_17partition_subalgoE4EjNS0_10empty_typeEbEEZZNS1_14partition_implILS8_4ELb0ES6_15HIP_vector_typeIjLj2EENS0_17counting_iteratorIjlEEPS9_SG_NS0_5tupleIJPjSI_NS0_16reverse_iteratorISI_EEEEENSH_IJSG_SG_SG_EEES9_SI_JZNS1_25segmented_radix_sort_implINS0_14default_configELb0EPKdPdPKlPlN2at6native12_GLOBAL__N_18offset_tEEE10hipError_tPvRmT1_PNSt15iterator_traitsIS12_E10value_typeET2_T3_PNS13_IS18_E10value_typeET4_jRbjT5_S1E_jjP12ihipStream_tbEUljE_ZNSN_ISO_Lb0ESQ_SR_ST_SU_SY_EESZ_S10_S11_S12_S16_S17_S18_S1B_S1C_jS1D_jS1E_S1E_jjS1G_bEUljE0_EEESZ_S10_S11_S18_S1C_S1E_T6_T7_T9_mT8_S1G_bDpT10_ENKUlT_T0_E_clISt17integral_constantIbLb1EES1T_IbLb0EEEEDaS1P_S1Q_EUlS1P_E_NS1_11comp_targetILNS1_3genE9ELNS1_11target_archE1100ELNS1_3gpuE3ELNS1_3repE0EEENS1_30default_config_static_selectorELNS0_4arch9wavefront6targetE0EEEvS12_.has_dyn_sized_stack, 0
	.set _ZN7rocprim17ROCPRIM_400000_NS6detail17trampoline_kernelINS0_13select_configILj256ELj13ELNS0_17block_load_methodE3ELS4_3ELS4_3ELNS0_20block_scan_algorithmE0ELj4294967295EEENS1_25partition_config_selectorILNS1_17partition_subalgoE4EjNS0_10empty_typeEbEEZZNS1_14partition_implILS8_4ELb0ES6_15HIP_vector_typeIjLj2EENS0_17counting_iteratorIjlEEPS9_SG_NS0_5tupleIJPjSI_NS0_16reverse_iteratorISI_EEEEENSH_IJSG_SG_SG_EEES9_SI_JZNS1_25segmented_radix_sort_implINS0_14default_configELb0EPKdPdPKlPlN2at6native12_GLOBAL__N_18offset_tEEE10hipError_tPvRmT1_PNSt15iterator_traitsIS12_E10value_typeET2_T3_PNS13_IS18_E10value_typeET4_jRbjT5_S1E_jjP12ihipStream_tbEUljE_ZNSN_ISO_Lb0ESQ_SR_ST_SU_SY_EESZ_S10_S11_S12_S16_S17_S18_S1B_S1C_jS1D_jS1E_S1E_jjS1G_bEUljE0_EEESZ_S10_S11_S18_S1C_S1E_T6_T7_T9_mT8_S1G_bDpT10_ENKUlT_T0_E_clISt17integral_constantIbLb1EES1T_IbLb0EEEEDaS1P_S1Q_EUlS1P_E_NS1_11comp_targetILNS1_3genE9ELNS1_11target_archE1100ELNS1_3gpuE3ELNS1_3repE0EEENS1_30default_config_static_selectorELNS0_4arch9wavefront6targetE0EEEvS12_.has_recursion, 0
	.set _ZN7rocprim17ROCPRIM_400000_NS6detail17trampoline_kernelINS0_13select_configILj256ELj13ELNS0_17block_load_methodE3ELS4_3ELS4_3ELNS0_20block_scan_algorithmE0ELj4294967295EEENS1_25partition_config_selectorILNS1_17partition_subalgoE4EjNS0_10empty_typeEbEEZZNS1_14partition_implILS8_4ELb0ES6_15HIP_vector_typeIjLj2EENS0_17counting_iteratorIjlEEPS9_SG_NS0_5tupleIJPjSI_NS0_16reverse_iteratorISI_EEEEENSH_IJSG_SG_SG_EEES9_SI_JZNS1_25segmented_radix_sort_implINS0_14default_configELb0EPKdPdPKlPlN2at6native12_GLOBAL__N_18offset_tEEE10hipError_tPvRmT1_PNSt15iterator_traitsIS12_E10value_typeET2_T3_PNS13_IS18_E10value_typeET4_jRbjT5_S1E_jjP12ihipStream_tbEUljE_ZNSN_ISO_Lb0ESQ_SR_ST_SU_SY_EESZ_S10_S11_S12_S16_S17_S18_S1B_S1C_jS1D_jS1E_S1E_jjS1G_bEUljE0_EEESZ_S10_S11_S18_S1C_S1E_T6_T7_T9_mT8_S1G_bDpT10_ENKUlT_T0_E_clISt17integral_constantIbLb1EES1T_IbLb0EEEEDaS1P_S1Q_EUlS1P_E_NS1_11comp_targetILNS1_3genE9ELNS1_11target_archE1100ELNS1_3gpuE3ELNS1_3repE0EEENS1_30default_config_static_selectorELNS0_4arch9wavefront6targetE0EEEvS12_.has_indirect_call, 0
	.section	.AMDGPU.csdata,"",@progbits
; Kernel info:
; codeLenInByte = 0
; TotalNumSgprs: 0
; NumVgprs: 0
; ScratchSize: 0
; MemoryBound: 0
; FloatMode: 240
; IeeeMode: 1
; LDSByteSize: 0 bytes/workgroup (compile time only)
; SGPRBlocks: 0
; VGPRBlocks: 0
; NumSGPRsForWavesPerEU: 1
; NumVGPRsForWavesPerEU: 1
; Occupancy: 16
; WaveLimiterHint : 0
; COMPUTE_PGM_RSRC2:SCRATCH_EN: 0
; COMPUTE_PGM_RSRC2:USER_SGPR: 6
; COMPUTE_PGM_RSRC2:TRAP_HANDLER: 0
; COMPUTE_PGM_RSRC2:TGID_X_EN: 1
; COMPUTE_PGM_RSRC2:TGID_Y_EN: 0
; COMPUTE_PGM_RSRC2:TGID_Z_EN: 0
; COMPUTE_PGM_RSRC2:TIDIG_COMP_CNT: 0
	.section	.text._ZN7rocprim17ROCPRIM_400000_NS6detail17trampoline_kernelINS0_13select_configILj256ELj13ELNS0_17block_load_methodE3ELS4_3ELS4_3ELNS0_20block_scan_algorithmE0ELj4294967295EEENS1_25partition_config_selectorILNS1_17partition_subalgoE4EjNS0_10empty_typeEbEEZZNS1_14partition_implILS8_4ELb0ES6_15HIP_vector_typeIjLj2EENS0_17counting_iteratorIjlEEPS9_SG_NS0_5tupleIJPjSI_NS0_16reverse_iteratorISI_EEEEENSH_IJSG_SG_SG_EEES9_SI_JZNS1_25segmented_radix_sort_implINS0_14default_configELb0EPKdPdPKlPlN2at6native12_GLOBAL__N_18offset_tEEE10hipError_tPvRmT1_PNSt15iterator_traitsIS12_E10value_typeET2_T3_PNS13_IS18_E10value_typeET4_jRbjT5_S1E_jjP12ihipStream_tbEUljE_ZNSN_ISO_Lb0ESQ_SR_ST_SU_SY_EESZ_S10_S11_S12_S16_S17_S18_S1B_S1C_jS1D_jS1E_S1E_jjS1G_bEUljE0_EEESZ_S10_S11_S18_S1C_S1E_T6_T7_T9_mT8_S1G_bDpT10_ENKUlT_T0_E_clISt17integral_constantIbLb1EES1T_IbLb0EEEEDaS1P_S1Q_EUlS1P_E_NS1_11comp_targetILNS1_3genE8ELNS1_11target_archE1030ELNS1_3gpuE2ELNS1_3repE0EEENS1_30default_config_static_selectorELNS0_4arch9wavefront6targetE0EEEvS12_,"axG",@progbits,_ZN7rocprim17ROCPRIM_400000_NS6detail17trampoline_kernelINS0_13select_configILj256ELj13ELNS0_17block_load_methodE3ELS4_3ELS4_3ELNS0_20block_scan_algorithmE0ELj4294967295EEENS1_25partition_config_selectorILNS1_17partition_subalgoE4EjNS0_10empty_typeEbEEZZNS1_14partition_implILS8_4ELb0ES6_15HIP_vector_typeIjLj2EENS0_17counting_iteratorIjlEEPS9_SG_NS0_5tupleIJPjSI_NS0_16reverse_iteratorISI_EEEEENSH_IJSG_SG_SG_EEES9_SI_JZNS1_25segmented_radix_sort_implINS0_14default_configELb0EPKdPdPKlPlN2at6native12_GLOBAL__N_18offset_tEEE10hipError_tPvRmT1_PNSt15iterator_traitsIS12_E10value_typeET2_T3_PNS13_IS18_E10value_typeET4_jRbjT5_S1E_jjP12ihipStream_tbEUljE_ZNSN_ISO_Lb0ESQ_SR_ST_SU_SY_EESZ_S10_S11_S12_S16_S17_S18_S1B_S1C_jS1D_jS1E_S1E_jjS1G_bEUljE0_EEESZ_S10_S11_S18_S1C_S1E_T6_T7_T9_mT8_S1G_bDpT10_ENKUlT_T0_E_clISt17integral_constantIbLb1EES1T_IbLb0EEEEDaS1P_S1Q_EUlS1P_E_NS1_11comp_targetILNS1_3genE8ELNS1_11target_archE1030ELNS1_3gpuE2ELNS1_3repE0EEENS1_30default_config_static_selectorELNS0_4arch9wavefront6targetE0EEEvS12_,comdat
	.globl	_ZN7rocprim17ROCPRIM_400000_NS6detail17trampoline_kernelINS0_13select_configILj256ELj13ELNS0_17block_load_methodE3ELS4_3ELS4_3ELNS0_20block_scan_algorithmE0ELj4294967295EEENS1_25partition_config_selectorILNS1_17partition_subalgoE4EjNS0_10empty_typeEbEEZZNS1_14partition_implILS8_4ELb0ES6_15HIP_vector_typeIjLj2EENS0_17counting_iteratorIjlEEPS9_SG_NS0_5tupleIJPjSI_NS0_16reverse_iteratorISI_EEEEENSH_IJSG_SG_SG_EEES9_SI_JZNS1_25segmented_radix_sort_implINS0_14default_configELb0EPKdPdPKlPlN2at6native12_GLOBAL__N_18offset_tEEE10hipError_tPvRmT1_PNSt15iterator_traitsIS12_E10value_typeET2_T3_PNS13_IS18_E10value_typeET4_jRbjT5_S1E_jjP12ihipStream_tbEUljE_ZNSN_ISO_Lb0ESQ_SR_ST_SU_SY_EESZ_S10_S11_S12_S16_S17_S18_S1B_S1C_jS1D_jS1E_S1E_jjS1G_bEUljE0_EEESZ_S10_S11_S18_S1C_S1E_T6_T7_T9_mT8_S1G_bDpT10_ENKUlT_T0_E_clISt17integral_constantIbLb1EES1T_IbLb0EEEEDaS1P_S1Q_EUlS1P_E_NS1_11comp_targetILNS1_3genE8ELNS1_11target_archE1030ELNS1_3gpuE2ELNS1_3repE0EEENS1_30default_config_static_selectorELNS0_4arch9wavefront6targetE0EEEvS12_ ; -- Begin function _ZN7rocprim17ROCPRIM_400000_NS6detail17trampoline_kernelINS0_13select_configILj256ELj13ELNS0_17block_load_methodE3ELS4_3ELS4_3ELNS0_20block_scan_algorithmE0ELj4294967295EEENS1_25partition_config_selectorILNS1_17partition_subalgoE4EjNS0_10empty_typeEbEEZZNS1_14partition_implILS8_4ELb0ES6_15HIP_vector_typeIjLj2EENS0_17counting_iteratorIjlEEPS9_SG_NS0_5tupleIJPjSI_NS0_16reverse_iteratorISI_EEEEENSH_IJSG_SG_SG_EEES9_SI_JZNS1_25segmented_radix_sort_implINS0_14default_configELb0EPKdPdPKlPlN2at6native12_GLOBAL__N_18offset_tEEE10hipError_tPvRmT1_PNSt15iterator_traitsIS12_E10value_typeET2_T3_PNS13_IS18_E10value_typeET4_jRbjT5_S1E_jjP12ihipStream_tbEUljE_ZNSN_ISO_Lb0ESQ_SR_ST_SU_SY_EESZ_S10_S11_S12_S16_S17_S18_S1B_S1C_jS1D_jS1E_S1E_jjS1G_bEUljE0_EEESZ_S10_S11_S18_S1C_S1E_T6_T7_T9_mT8_S1G_bDpT10_ENKUlT_T0_E_clISt17integral_constantIbLb1EES1T_IbLb0EEEEDaS1P_S1Q_EUlS1P_E_NS1_11comp_targetILNS1_3genE8ELNS1_11target_archE1030ELNS1_3gpuE2ELNS1_3repE0EEENS1_30default_config_static_selectorELNS0_4arch9wavefront6targetE0EEEvS12_
	.p2align	8
	.type	_ZN7rocprim17ROCPRIM_400000_NS6detail17trampoline_kernelINS0_13select_configILj256ELj13ELNS0_17block_load_methodE3ELS4_3ELS4_3ELNS0_20block_scan_algorithmE0ELj4294967295EEENS1_25partition_config_selectorILNS1_17partition_subalgoE4EjNS0_10empty_typeEbEEZZNS1_14partition_implILS8_4ELb0ES6_15HIP_vector_typeIjLj2EENS0_17counting_iteratorIjlEEPS9_SG_NS0_5tupleIJPjSI_NS0_16reverse_iteratorISI_EEEEENSH_IJSG_SG_SG_EEES9_SI_JZNS1_25segmented_radix_sort_implINS0_14default_configELb0EPKdPdPKlPlN2at6native12_GLOBAL__N_18offset_tEEE10hipError_tPvRmT1_PNSt15iterator_traitsIS12_E10value_typeET2_T3_PNS13_IS18_E10value_typeET4_jRbjT5_S1E_jjP12ihipStream_tbEUljE_ZNSN_ISO_Lb0ESQ_SR_ST_SU_SY_EESZ_S10_S11_S12_S16_S17_S18_S1B_S1C_jS1D_jS1E_S1E_jjS1G_bEUljE0_EEESZ_S10_S11_S18_S1C_S1E_T6_T7_T9_mT8_S1G_bDpT10_ENKUlT_T0_E_clISt17integral_constantIbLb1EES1T_IbLb0EEEEDaS1P_S1Q_EUlS1P_E_NS1_11comp_targetILNS1_3genE8ELNS1_11target_archE1030ELNS1_3gpuE2ELNS1_3repE0EEENS1_30default_config_static_selectorELNS0_4arch9wavefront6targetE0EEEvS12_,@function
_ZN7rocprim17ROCPRIM_400000_NS6detail17trampoline_kernelINS0_13select_configILj256ELj13ELNS0_17block_load_methodE3ELS4_3ELS4_3ELNS0_20block_scan_algorithmE0ELj4294967295EEENS1_25partition_config_selectorILNS1_17partition_subalgoE4EjNS0_10empty_typeEbEEZZNS1_14partition_implILS8_4ELb0ES6_15HIP_vector_typeIjLj2EENS0_17counting_iteratorIjlEEPS9_SG_NS0_5tupleIJPjSI_NS0_16reverse_iteratorISI_EEEEENSH_IJSG_SG_SG_EEES9_SI_JZNS1_25segmented_radix_sort_implINS0_14default_configELb0EPKdPdPKlPlN2at6native12_GLOBAL__N_18offset_tEEE10hipError_tPvRmT1_PNSt15iterator_traitsIS12_E10value_typeET2_T3_PNS13_IS18_E10value_typeET4_jRbjT5_S1E_jjP12ihipStream_tbEUljE_ZNSN_ISO_Lb0ESQ_SR_ST_SU_SY_EESZ_S10_S11_S12_S16_S17_S18_S1B_S1C_jS1D_jS1E_S1E_jjS1G_bEUljE0_EEESZ_S10_S11_S18_S1C_S1E_T6_T7_T9_mT8_S1G_bDpT10_ENKUlT_T0_E_clISt17integral_constantIbLb1EES1T_IbLb0EEEEDaS1P_S1Q_EUlS1P_E_NS1_11comp_targetILNS1_3genE8ELNS1_11target_archE1030ELNS1_3gpuE2ELNS1_3repE0EEENS1_30default_config_static_selectorELNS0_4arch9wavefront6targetE0EEEvS12_: ; @_ZN7rocprim17ROCPRIM_400000_NS6detail17trampoline_kernelINS0_13select_configILj256ELj13ELNS0_17block_load_methodE3ELS4_3ELS4_3ELNS0_20block_scan_algorithmE0ELj4294967295EEENS1_25partition_config_selectorILNS1_17partition_subalgoE4EjNS0_10empty_typeEbEEZZNS1_14partition_implILS8_4ELb0ES6_15HIP_vector_typeIjLj2EENS0_17counting_iteratorIjlEEPS9_SG_NS0_5tupleIJPjSI_NS0_16reverse_iteratorISI_EEEEENSH_IJSG_SG_SG_EEES9_SI_JZNS1_25segmented_radix_sort_implINS0_14default_configELb0EPKdPdPKlPlN2at6native12_GLOBAL__N_18offset_tEEE10hipError_tPvRmT1_PNSt15iterator_traitsIS12_E10value_typeET2_T3_PNS13_IS18_E10value_typeET4_jRbjT5_S1E_jjP12ihipStream_tbEUljE_ZNSN_ISO_Lb0ESQ_SR_ST_SU_SY_EESZ_S10_S11_S12_S16_S17_S18_S1B_S1C_jS1D_jS1E_S1E_jjS1G_bEUljE0_EEESZ_S10_S11_S18_S1C_S1E_T6_T7_T9_mT8_S1G_bDpT10_ENKUlT_T0_E_clISt17integral_constantIbLb1EES1T_IbLb0EEEEDaS1P_S1Q_EUlS1P_E_NS1_11comp_targetILNS1_3genE8ELNS1_11target_archE1030ELNS1_3gpuE2ELNS1_3repE0EEENS1_30default_config_static_selectorELNS0_4arch9wavefront6targetE0EEEvS12_
; %bb.0:
	s_endpgm
	.section	.rodata,"a",@progbits
	.p2align	6, 0x0
	.amdhsa_kernel _ZN7rocprim17ROCPRIM_400000_NS6detail17trampoline_kernelINS0_13select_configILj256ELj13ELNS0_17block_load_methodE3ELS4_3ELS4_3ELNS0_20block_scan_algorithmE0ELj4294967295EEENS1_25partition_config_selectorILNS1_17partition_subalgoE4EjNS0_10empty_typeEbEEZZNS1_14partition_implILS8_4ELb0ES6_15HIP_vector_typeIjLj2EENS0_17counting_iteratorIjlEEPS9_SG_NS0_5tupleIJPjSI_NS0_16reverse_iteratorISI_EEEEENSH_IJSG_SG_SG_EEES9_SI_JZNS1_25segmented_radix_sort_implINS0_14default_configELb0EPKdPdPKlPlN2at6native12_GLOBAL__N_18offset_tEEE10hipError_tPvRmT1_PNSt15iterator_traitsIS12_E10value_typeET2_T3_PNS13_IS18_E10value_typeET4_jRbjT5_S1E_jjP12ihipStream_tbEUljE_ZNSN_ISO_Lb0ESQ_SR_ST_SU_SY_EESZ_S10_S11_S12_S16_S17_S18_S1B_S1C_jS1D_jS1E_S1E_jjS1G_bEUljE0_EEESZ_S10_S11_S18_S1C_S1E_T6_T7_T9_mT8_S1G_bDpT10_ENKUlT_T0_E_clISt17integral_constantIbLb1EES1T_IbLb0EEEEDaS1P_S1Q_EUlS1P_E_NS1_11comp_targetILNS1_3genE8ELNS1_11target_archE1030ELNS1_3gpuE2ELNS1_3repE0EEENS1_30default_config_static_selectorELNS0_4arch9wavefront6targetE0EEEvS12_
		.amdhsa_group_segment_fixed_size 0
		.amdhsa_private_segment_fixed_size 0
		.amdhsa_kernarg_size 176
		.amdhsa_user_sgpr_count 6
		.amdhsa_user_sgpr_private_segment_buffer 1
		.amdhsa_user_sgpr_dispatch_ptr 0
		.amdhsa_user_sgpr_queue_ptr 0
		.amdhsa_user_sgpr_kernarg_segment_ptr 1
		.amdhsa_user_sgpr_dispatch_id 0
		.amdhsa_user_sgpr_flat_scratch_init 0
		.amdhsa_user_sgpr_private_segment_size 0
		.amdhsa_wavefront_size32 1
		.amdhsa_uses_dynamic_stack 0
		.amdhsa_system_sgpr_private_segment_wavefront_offset 0
		.amdhsa_system_sgpr_workgroup_id_x 1
		.amdhsa_system_sgpr_workgroup_id_y 0
		.amdhsa_system_sgpr_workgroup_id_z 0
		.amdhsa_system_sgpr_workgroup_info 0
		.amdhsa_system_vgpr_workitem_id 0
		.amdhsa_next_free_vgpr 1
		.amdhsa_next_free_sgpr 1
		.amdhsa_reserve_vcc 0
		.amdhsa_reserve_flat_scratch 0
		.amdhsa_float_round_mode_32 0
		.amdhsa_float_round_mode_16_64 0
		.amdhsa_float_denorm_mode_32 3
		.amdhsa_float_denorm_mode_16_64 3
		.amdhsa_dx10_clamp 1
		.amdhsa_ieee_mode 1
		.amdhsa_fp16_overflow 0
		.amdhsa_workgroup_processor_mode 1
		.amdhsa_memory_ordered 1
		.amdhsa_forward_progress 1
		.amdhsa_shared_vgpr_count 0
		.amdhsa_exception_fp_ieee_invalid_op 0
		.amdhsa_exception_fp_denorm_src 0
		.amdhsa_exception_fp_ieee_div_zero 0
		.amdhsa_exception_fp_ieee_overflow 0
		.amdhsa_exception_fp_ieee_underflow 0
		.amdhsa_exception_fp_ieee_inexact 0
		.amdhsa_exception_int_div_zero 0
	.end_amdhsa_kernel
	.section	.text._ZN7rocprim17ROCPRIM_400000_NS6detail17trampoline_kernelINS0_13select_configILj256ELj13ELNS0_17block_load_methodE3ELS4_3ELS4_3ELNS0_20block_scan_algorithmE0ELj4294967295EEENS1_25partition_config_selectorILNS1_17partition_subalgoE4EjNS0_10empty_typeEbEEZZNS1_14partition_implILS8_4ELb0ES6_15HIP_vector_typeIjLj2EENS0_17counting_iteratorIjlEEPS9_SG_NS0_5tupleIJPjSI_NS0_16reverse_iteratorISI_EEEEENSH_IJSG_SG_SG_EEES9_SI_JZNS1_25segmented_radix_sort_implINS0_14default_configELb0EPKdPdPKlPlN2at6native12_GLOBAL__N_18offset_tEEE10hipError_tPvRmT1_PNSt15iterator_traitsIS12_E10value_typeET2_T3_PNS13_IS18_E10value_typeET4_jRbjT5_S1E_jjP12ihipStream_tbEUljE_ZNSN_ISO_Lb0ESQ_SR_ST_SU_SY_EESZ_S10_S11_S12_S16_S17_S18_S1B_S1C_jS1D_jS1E_S1E_jjS1G_bEUljE0_EEESZ_S10_S11_S18_S1C_S1E_T6_T7_T9_mT8_S1G_bDpT10_ENKUlT_T0_E_clISt17integral_constantIbLb1EES1T_IbLb0EEEEDaS1P_S1Q_EUlS1P_E_NS1_11comp_targetILNS1_3genE8ELNS1_11target_archE1030ELNS1_3gpuE2ELNS1_3repE0EEENS1_30default_config_static_selectorELNS0_4arch9wavefront6targetE0EEEvS12_,"axG",@progbits,_ZN7rocprim17ROCPRIM_400000_NS6detail17trampoline_kernelINS0_13select_configILj256ELj13ELNS0_17block_load_methodE3ELS4_3ELS4_3ELNS0_20block_scan_algorithmE0ELj4294967295EEENS1_25partition_config_selectorILNS1_17partition_subalgoE4EjNS0_10empty_typeEbEEZZNS1_14partition_implILS8_4ELb0ES6_15HIP_vector_typeIjLj2EENS0_17counting_iteratorIjlEEPS9_SG_NS0_5tupleIJPjSI_NS0_16reverse_iteratorISI_EEEEENSH_IJSG_SG_SG_EEES9_SI_JZNS1_25segmented_radix_sort_implINS0_14default_configELb0EPKdPdPKlPlN2at6native12_GLOBAL__N_18offset_tEEE10hipError_tPvRmT1_PNSt15iterator_traitsIS12_E10value_typeET2_T3_PNS13_IS18_E10value_typeET4_jRbjT5_S1E_jjP12ihipStream_tbEUljE_ZNSN_ISO_Lb0ESQ_SR_ST_SU_SY_EESZ_S10_S11_S12_S16_S17_S18_S1B_S1C_jS1D_jS1E_S1E_jjS1G_bEUljE0_EEESZ_S10_S11_S18_S1C_S1E_T6_T7_T9_mT8_S1G_bDpT10_ENKUlT_T0_E_clISt17integral_constantIbLb1EES1T_IbLb0EEEEDaS1P_S1Q_EUlS1P_E_NS1_11comp_targetILNS1_3genE8ELNS1_11target_archE1030ELNS1_3gpuE2ELNS1_3repE0EEENS1_30default_config_static_selectorELNS0_4arch9wavefront6targetE0EEEvS12_,comdat
.Lfunc_end1172:
	.size	_ZN7rocprim17ROCPRIM_400000_NS6detail17trampoline_kernelINS0_13select_configILj256ELj13ELNS0_17block_load_methodE3ELS4_3ELS4_3ELNS0_20block_scan_algorithmE0ELj4294967295EEENS1_25partition_config_selectorILNS1_17partition_subalgoE4EjNS0_10empty_typeEbEEZZNS1_14partition_implILS8_4ELb0ES6_15HIP_vector_typeIjLj2EENS0_17counting_iteratorIjlEEPS9_SG_NS0_5tupleIJPjSI_NS0_16reverse_iteratorISI_EEEEENSH_IJSG_SG_SG_EEES9_SI_JZNS1_25segmented_radix_sort_implINS0_14default_configELb0EPKdPdPKlPlN2at6native12_GLOBAL__N_18offset_tEEE10hipError_tPvRmT1_PNSt15iterator_traitsIS12_E10value_typeET2_T3_PNS13_IS18_E10value_typeET4_jRbjT5_S1E_jjP12ihipStream_tbEUljE_ZNSN_ISO_Lb0ESQ_SR_ST_SU_SY_EESZ_S10_S11_S12_S16_S17_S18_S1B_S1C_jS1D_jS1E_S1E_jjS1G_bEUljE0_EEESZ_S10_S11_S18_S1C_S1E_T6_T7_T9_mT8_S1G_bDpT10_ENKUlT_T0_E_clISt17integral_constantIbLb1EES1T_IbLb0EEEEDaS1P_S1Q_EUlS1P_E_NS1_11comp_targetILNS1_3genE8ELNS1_11target_archE1030ELNS1_3gpuE2ELNS1_3repE0EEENS1_30default_config_static_selectorELNS0_4arch9wavefront6targetE0EEEvS12_, .Lfunc_end1172-_ZN7rocprim17ROCPRIM_400000_NS6detail17trampoline_kernelINS0_13select_configILj256ELj13ELNS0_17block_load_methodE3ELS4_3ELS4_3ELNS0_20block_scan_algorithmE0ELj4294967295EEENS1_25partition_config_selectorILNS1_17partition_subalgoE4EjNS0_10empty_typeEbEEZZNS1_14partition_implILS8_4ELb0ES6_15HIP_vector_typeIjLj2EENS0_17counting_iteratorIjlEEPS9_SG_NS0_5tupleIJPjSI_NS0_16reverse_iteratorISI_EEEEENSH_IJSG_SG_SG_EEES9_SI_JZNS1_25segmented_radix_sort_implINS0_14default_configELb0EPKdPdPKlPlN2at6native12_GLOBAL__N_18offset_tEEE10hipError_tPvRmT1_PNSt15iterator_traitsIS12_E10value_typeET2_T3_PNS13_IS18_E10value_typeET4_jRbjT5_S1E_jjP12ihipStream_tbEUljE_ZNSN_ISO_Lb0ESQ_SR_ST_SU_SY_EESZ_S10_S11_S12_S16_S17_S18_S1B_S1C_jS1D_jS1E_S1E_jjS1G_bEUljE0_EEESZ_S10_S11_S18_S1C_S1E_T6_T7_T9_mT8_S1G_bDpT10_ENKUlT_T0_E_clISt17integral_constantIbLb1EES1T_IbLb0EEEEDaS1P_S1Q_EUlS1P_E_NS1_11comp_targetILNS1_3genE8ELNS1_11target_archE1030ELNS1_3gpuE2ELNS1_3repE0EEENS1_30default_config_static_selectorELNS0_4arch9wavefront6targetE0EEEvS12_
                                        ; -- End function
	.set _ZN7rocprim17ROCPRIM_400000_NS6detail17trampoline_kernelINS0_13select_configILj256ELj13ELNS0_17block_load_methodE3ELS4_3ELS4_3ELNS0_20block_scan_algorithmE0ELj4294967295EEENS1_25partition_config_selectorILNS1_17partition_subalgoE4EjNS0_10empty_typeEbEEZZNS1_14partition_implILS8_4ELb0ES6_15HIP_vector_typeIjLj2EENS0_17counting_iteratorIjlEEPS9_SG_NS0_5tupleIJPjSI_NS0_16reverse_iteratorISI_EEEEENSH_IJSG_SG_SG_EEES9_SI_JZNS1_25segmented_radix_sort_implINS0_14default_configELb0EPKdPdPKlPlN2at6native12_GLOBAL__N_18offset_tEEE10hipError_tPvRmT1_PNSt15iterator_traitsIS12_E10value_typeET2_T3_PNS13_IS18_E10value_typeET4_jRbjT5_S1E_jjP12ihipStream_tbEUljE_ZNSN_ISO_Lb0ESQ_SR_ST_SU_SY_EESZ_S10_S11_S12_S16_S17_S18_S1B_S1C_jS1D_jS1E_S1E_jjS1G_bEUljE0_EEESZ_S10_S11_S18_S1C_S1E_T6_T7_T9_mT8_S1G_bDpT10_ENKUlT_T0_E_clISt17integral_constantIbLb1EES1T_IbLb0EEEEDaS1P_S1Q_EUlS1P_E_NS1_11comp_targetILNS1_3genE8ELNS1_11target_archE1030ELNS1_3gpuE2ELNS1_3repE0EEENS1_30default_config_static_selectorELNS0_4arch9wavefront6targetE0EEEvS12_.num_vgpr, 0
	.set _ZN7rocprim17ROCPRIM_400000_NS6detail17trampoline_kernelINS0_13select_configILj256ELj13ELNS0_17block_load_methodE3ELS4_3ELS4_3ELNS0_20block_scan_algorithmE0ELj4294967295EEENS1_25partition_config_selectorILNS1_17partition_subalgoE4EjNS0_10empty_typeEbEEZZNS1_14partition_implILS8_4ELb0ES6_15HIP_vector_typeIjLj2EENS0_17counting_iteratorIjlEEPS9_SG_NS0_5tupleIJPjSI_NS0_16reverse_iteratorISI_EEEEENSH_IJSG_SG_SG_EEES9_SI_JZNS1_25segmented_radix_sort_implINS0_14default_configELb0EPKdPdPKlPlN2at6native12_GLOBAL__N_18offset_tEEE10hipError_tPvRmT1_PNSt15iterator_traitsIS12_E10value_typeET2_T3_PNS13_IS18_E10value_typeET4_jRbjT5_S1E_jjP12ihipStream_tbEUljE_ZNSN_ISO_Lb0ESQ_SR_ST_SU_SY_EESZ_S10_S11_S12_S16_S17_S18_S1B_S1C_jS1D_jS1E_S1E_jjS1G_bEUljE0_EEESZ_S10_S11_S18_S1C_S1E_T6_T7_T9_mT8_S1G_bDpT10_ENKUlT_T0_E_clISt17integral_constantIbLb1EES1T_IbLb0EEEEDaS1P_S1Q_EUlS1P_E_NS1_11comp_targetILNS1_3genE8ELNS1_11target_archE1030ELNS1_3gpuE2ELNS1_3repE0EEENS1_30default_config_static_selectorELNS0_4arch9wavefront6targetE0EEEvS12_.num_agpr, 0
	.set _ZN7rocprim17ROCPRIM_400000_NS6detail17trampoline_kernelINS0_13select_configILj256ELj13ELNS0_17block_load_methodE3ELS4_3ELS4_3ELNS0_20block_scan_algorithmE0ELj4294967295EEENS1_25partition_config_selectorILNS1_17partition_subalgoE4EjNS0_10empty_typeEbEEZZNS1_14partition_implILS8_4ELb0ES6_15HIP_vector_typeIjLj2EENS0_17counting_iteratorIjlEEPS9_SG_NS0_5tupleIJPjSI_NS0_16reverse_iteratorISI_EEEEENSH_IJSG_SG_SG_EEES9_SI_JZNS1_25segmented_radix_sort_implINS0_14default_configELb0EPKdPdPKlPlN2at6native12_GLOBAL__N_18offset_tEEE10hipError_tPvRmT1_PNSt15iterator_traitsIS12_E10value_typeET2_T3_PNS13_IS18_E10value_typeET4_jRbjT5_S1E_jjP12ihipStream_tbEUljE_ZNSN_ISO_Lb0ESQ_SR_ST_SU_SY_EESZ_S10_S11_S12_S16_S17_S18_S1B_S1C_jS1D_jS1E_S1E_jjS1G_bEUljE0_EEESZ_S10_S11_S18_S1C_S1E_T6_T7_T9_mT8_S1G_bDpT10_ENKUlT_T0_E_clISt17integral_constantIbLb1EES1T_IbLb0EEEEDaS1P_S1Q_EUlS1P_E_NS1_11comp_targetILNS1_3genE8ELNS1_11target_archE1030ELNS1_3gpuE2ELNS1_3repE0EEENS1_30default_config_static_selectorELNS0_4arch9wavefront6targetE0EEEvS12_.numbered_sgpr, 0
	.set _ZN7rocprim17ROCPRIM_400000_NS6detail17trampoline_kernelINS0_13select_configILj256ELj13ELNS0_17block_load_methodE3ELS4_3ELS4_3ELNS0_20block_scan_algorithmE0ELj4294967295EEENS1_25partition_config_selectorILNS1_17partition_subalgoE4EjNS0_10empty_typeEbEEZZNS1_14partition_implILS8_4ELb0ES6_15HIP_vector_typeIjLj2EENS0_17counting_iteratorIjlEEPS9_SG_NS0_5tupleIJPjSI_NS0_16reverse_iteratorISI_EEEEENSH_IJSG_SG_SG_EEES9_SI_JZNS1_25segmented_radix_sort_implINS0_14default_configELb0EPKdPdPKlPlN2at6native12_GLOBAL__N_18offset_tEEE10hipError_tPvRmT1_PNSt15iterator_traitsIS12_E10value_typeET2_T3_PNS13_IS18_E10value_typeET4_jRbjT5_S1E_jjP12ihipStream_tbEUljE_ZNSN_ISO_Lb0ESQ_SR_ST_SU_SY_EESZ_S10_S11_S12_S16_S17_S18_S1B_S1C_jS1D_jS1E_S1E_jjS1G_bEUljE0_EEESZ_S10_S11_S18_S1C_S1E_T6_T7_T9_mT8_S1G_bDpT10_ENKUlT_T0_E_clISt17integral_constantIbLb1EES1T_IbLb0EEEEDaS1P_S1Q_EUlS1P_E_NS1_11comp_targetILNS1_3genE8ELNS1_11target_archE1030ELNS1_3gpuE2ELNS1_3repE0EEENS1_30default_config_static_selectorELNS0_4arch9wavefront6targetE0EEEvS12_.num_named_barrier, 0
	.set _ZN7rocprim17ROCPRIM_400000_NS6detail17trampoline_kernelINS0_13select_configILj256ELj13ELNS0_17block_load_methodE3ELS4_3ELS4_3ELNS0_20block_scan_algorithmE0ELj4294967295EEENS1_25partition_config_selectorILNS1_17partition_subalgoE4EjNS0_10empty_typeEbEEZZNS1_14partition_implILS8_4ELb0ES6_15HIP_vector_typeIjLj2EENS0_17counting_iteratorIjlEEPS9_SG_NS0_5tupleIJPjSI_NS0_16reverse_iteratorISI_EEEEENSH_IJSG_SG_SG_EEES9_SI_JZNS1_25segmented_radix_sort_implINS0_14default_configELb0EPKdPdPKlPlN2at6native12_GLOBAL__N_18offset_tEEE10hipError_tPvRmT1_PNSt15iterator_traitsIS12_E10value_typeET2_T3_PNS13_IS18_E10value_typeET4_jRbjT5_S1E_jjP12ihipStream_tbEUljE_ZNSN_ISO_Lb0ESQ_SR_ST_SU_SY_EESZ_S10_S11_S12_S16_S17_S18_S1B_S1C_jS1D_jS1E_S1E_jjS1G_bEUljE0_EEESZ_S10_S11_S18_S1C_S1E_T6_T7_T9_mT8_S1G_bDpT10_ENKUlT_T0_E_clISt17integral_constantIbLb1EES1T_IbLb0EEEEDaS1P_S1Q_EUlS1P_E_NS1_11comp_targetILNS1_3genE8ELNS1_11target_archE1030ELNS1_3gpuE2ELNS1_3repE0EEENS1_30default_config_static_selectorELNS0_4arch9wavefront6targetE0EEEvS12_.private_seg_size, 0
	.set _ZN7rocprim17ROCPRIM_400000_NS6detail17trampoline_kernelINS0_13select_configILj256ELj13ELNS0_17block_load_methodE3ELS4_3ELS4_3ELNS0_20block_scan_algorithmE0ELj4294967295EEENS1_25partition_config_selectorILNS1_17partition_subalgoE4EjNS0_10empty_typeEbEEZZNS1_14partition_implILS8_4ELb0ES6_15HIP_vector_typeIjLj2EENS0_17counting_iteratorIjlEEPS9_SG_NS0_5tupleIJPjSI_NS0_16reverse_iteratorISI_EEEEENSH_IJSG_SG_SG_EEES9_SI_JZNS1_25segmented_radix_sort_implINS0_14default_configELb0EPKdPdPKlPlN2at6native12_GLOBAL__N_18offset_tEEE10hipError_tPvRmT1_PNSt15iterator_traitsIS12_E10value_typeET2_T3_PNS13_IS18_E10value_typeET4_jRbjT5_S1E_jjP12ihipStream_tbEUljE_ZNSN_ISO_Lb0ESQ_SR_ST_SU_SY_EESZ_S10_S11_S12_S16_S17_S18_S1B_S1C_jS1D_jS1E_S1E_jjS1G_bEUljE0_EEESZ_S10_S11_S18_S1C_S1E_T6_T7_T9_mT8_S1G_bDpT10_ENKUlT_T0_E_clISt17integral_constantIbLb1EES1T_IbLb0EEEEDaS1P_S1Q_EUlS1P_E_NS1_11comp_targetILNS1_3genE8ELNS1_11target_archE1030ELNS1_3gpuE2ELNS1_3repE0EEENS1_30default_config_static_selectorELNS0_4arch9wavefront6targetE0EEEvS12_.uses_vcc, 0
	.set _ZN7rocprim17ROCPRIM_400000_NS6detail17trampoline_kernelINS0_13select_configILj256ELj13ELNS0_17block_load_methodE3ELS4_3ELS4_3ELNS0_20block_scan_algorithmE0ELj4294967295EEENS1_25partition_config_selectorILNS1_17partition_subalgoE4EjNS0_10empty_typeEbEEZZNS1_14partition_implILS8_4ELb0ES6_15HIP_vector_typeIjLj2EENS0_17counting_iteratorIjlEEPS9_SG_NS0_5tupleIJPjSI_NS0_16reverse_iteratorISI_EEEEENSH_IJSG_SG_SG_EEES9_SI_JZNS1_25segmented_radix_sort_implINS0_14default_configELb0EPKdPdPKlPlN2at6native12_GLOBAL__N_18offset_tEEE10hipError_tPvRmT1_PNSt15iterator_traitsIS12_E10value_typeET2_T3_PNS13_IS18_E10value_typeET4_jRbjT5_S1E_jjP12ihipStream_tbEUljE_ZNSN_ISO_Lb0ESQ_SR_ST_SU_SY_EESZ_S10_S11_S12_S16_S17_S18_S1B_S1C_jS1D_jS1E_S1E_jjS1G_bEUljE0_EEESZ_S10_S11_S18_S1C_S1E_T6_T7_T9_mT8_S1G_bDpT10_ENKUlT_T0_E_clISt17integral_constantIbLb1EES1T_IbLb0EEEEDaS1P_S1Q_EUlS1P_E_NS1_11comp_targetILNS1_3genE8ELNS1_11target_archE1030ELNS1_3gpuE2ELNS1_3repE0EEENS1_30default_config_static_selectorELNS0_4arch9wavefront6targetE0EEEvS12_.uses_flat_scratch, 0
	.set _ZN7rocprim17ROCPRIM_400000_NS6detail17trampoline_kernelINS0_13select_configILj256ELj13ELNS0_17block_load_methodE3ELS4_3ELS4_3ELNS0_20block_scan_algorithmE0ELj4294967295EEENS1_25partition_config_selectorILNS1_17partition_subalgoE4EjNS0_10empty_typeEbEEZZNS1_14partition_implILS8_4ELb0ES6_15HIP_vector_typeIjLj2EENS0_17counting_iteratorIjlEEPS9_SG_NS0_5tupleIJPjSI_NS0_16reverse_iteratorISI_EEEEENSH_IJSG_SG_SG_EEES9_SI_JZNS1_25segmented_radix_sort_implINS0_14default_configELb0EPKdPdPKlPlN2at6native12_GLOBAL__N_18offset_tEEE10hipError_tPvRmT1_PNSt15iterator_traitsIS12_E10value_typeET2_T3_PNS13_IS18_E10value_typeET4_jRbjT5_S1E_jjP12ihipStream_tbEUljE_ZNSN_ISO_Lb0ESQ_SR_ST_SU_SY_EESZ_S10_S11_S12_S16_S17_S18_S1B_S1C_jS1D_jS1E_S1E_jjS1G_bEUljE0_EEESZ_S10_S11_S18_S1C_S1E_T6_T7_T9_mT8_S1G_bDpT10_ENKUlT_T0_E_clISt17integral_constantIbLb1EES1T_IbLb0EEEEDaS1P_S1Q_EUlS1P_E_NS1_11comp_targetILNS1_3genE8ELNS1_11target_archE1030ELNS1_3gpuE2ELNS1_3repE0EEENS1_30default_config_static_selectorELNS0_4arch9wavefront6targetE0EEEvS12_.has_dyn_sized_stack, 0
	.set _ZN7rocprim17ROCPRIM_400000_NS6detail17trampoline_kernelINS0_13select_configILj256ELj13ELNS0_17block_load_methodE3ELS4_3ELS4_3ELNS0_20block_scan_algorithmE0ELj4294967295EEENS1_25partition_config_selectorILNS1_17partition_subalgoE4EjNS0_10empty_typeEbEEZZNS1_14partition_implILS8_4ELb0ES6_15HIP_vector_typeIjLj2EENS0_17counting_iteratorIjlEEPS9_SG_NS0_5tupleIJPjSI_NS0_16reverse_iteratorISI_EEEEENSH_IJSG_SG_SG_EEES9_SI_JZNS1_25segmented_radix_sort_implINS0_14default_configELb0EPKdPdPKlPlN2at6native12_GLOBAL__N_18offset_tEEE10hipError_tPvRmT1_PNSt15iterator_traitsIS12_E10value_typeET2_T3_PNS13_IS18_E10value_typeET4_jRbjT5_S1E_jjP12ihipStream_tbEUljE_ZNSN_ISO_Lb0ESQ_SR_ST_SU_SY_EESZ_S10_S11_S12_S16_S17_S18_S1B_S1C_jS1D_jS1E_S1E_jjS1G_bEUljE0_EEESZ_S10_S11_S18_S1C_S1E_T6_T7_T9_mT8_S1G_bDpT10_ENKUlT_T0_E_clISt17integral_constantIbLb1EES1T_IbLb0EEEEDaS1P_S1Q_EUlS1P_E_NS1_11comp_targetILNS1_3genE8ELNS1_11target_archE1030ELNS1_3gpuE2ELNS1_3repE0EEENS1_30default_config_static_selectorELNS0_4arch9wavefront6targetE0EEEvS12_.has_recursion, 0
	.set _ZN7rocprim17ROCPRIM_400000_NS6detail17trampoline_kernelINS0_13select_configILj256ELj13ELNS0_17block_load_methodE3ELS4_3ELS4_3ELNS0_20block_scan_algorithmE0ELj4294967295EEENS1_25partition_config_selectorILNS1_17partition_subalgoE4EjNS0_10empty_typeEbEEZZNS1_14partition_implILS8_4ELb0ES6_15HIP_vector_typeIjLj2EENS0_17counting_iteratorIjlEEPS9_SG_NS0_5tupleIJPjSI_NS0_16reverse_iteratorISI_EEEEENSH_IJSG_SG_SG_EEES9_SI_JZNS1_25segmented_radix_sort_implINS0_14default_configELb0EPKdPdPKlPlN2at6native12_GLOBAL__N_18offset_tEEE10hipError_tPvRmT1_PNSt15iterator_traitsIS12_E10value_typeET2_T3_PNS13_IS18_E10value_typeET4_jRbjT5_S1E_jjP12ihipStream_tbEUljE_ZNSN_ISO_Lb0ESQ_SR_ST_SU_SY_EESZ_S10_S11_S12_S16_S17_S18_S1B_S1C_jS1D_jS1E_S1E_jjS1G_bEUljE0_EEESZ_S10_S11_S18_S1C_S1E_T6_T7_T9_mT8_S1G_bDpT10_ENKUlT_T0_E_clISt17integral_constantIbLb1EES1T_IbLb0EEEEDaS1P_S1Q_EUlS1P_E_NS1_11comp_targetILNS1_3genE8ELNS1_11target_archE1030ELNS1_3gpuE2ELNS1_3repE0EEENS1_30default_config_static_selectorELNS0_4arch9wavefront6targetE0EEEvS12_.has_indirect_call, 0
	.section	.AMDGPU.csdata,"",@progbits
; Kernel info:
; codeLenInByte = 4
; TotalNumSgprs: 0
; NumVgprs: 0
; ScratchSize: 0
; MemoryBound: 0
; FloatMode: 240
; IeeeMode: 1
; LDSByteSize: 0 bytes/workgroup (compile time only)
; SGPRBlocks: 0
; VGPRBlocks: 0
; NumSGPRsForWavesPerEU: 1
; NumVGPRsForWavesPerEU: 1
; Occupancy: 16
; WaveLimiterHint : 0
; COMPUTE_PGM_RSRC2:SCRATCH_EN: 0
; COMPUTE_PGM_RSRC2:USER_SGPR: 6
; COMPUTE_PGM_RSRC2:TRAP_HANDLER: 0
; COMPUTE_PGM_RSRC2:TGID_X_EN: 1
; COMPUTE_PGM_RSRC2:TGID_Y_EN: 0
; COMPUTE_PGM_RSRC2:TGID_Z_EN: 0
; COMPUTE_PGM_RSRC2:TIDIG_COMP_CNT: 0
	.section	.text._ZN7rocprim17ROCPRIM_400000_NS6detail17trampoline_kernelINS0_13select_configILj256ELj13ELNS0_17block_load_methodE3ELS4_3ELS4_3ELNS0_20block_scan_algorithmE0ELj4294967295EEENS1_25partition_config_selectorILNS1_17partition_subalgoE4EjNS0_10empty_typeEbEEZZNS1_14partition_implILS8_4ELb0ES6_15HIP_vector_typeIjLj2EENS0_17counting_iteratorIjlEEPS9_SG_NS0_5tupleIJPjSI_NS0_16reverse_iteratorISI_EEEEENSH_IJSG_SG_SG_EEES9_SI_JZNS1_25segmented_radix_sort_implINS0_14default_configELb0EPKdPdPKlPlN2at6native12_GLOBAL__N_18offset_tEEE10hipError_tPvRmT1_PNSt15iterator_traitsIS12_E10value_typeET2_T3_PNS13_IS18_E10value_typeET4_jRbjT5_S1E_jjP12ihipStream_tbEUljE_ZNSN_ISO_Lb0ESQ_SR_ST_SU_SY_EESZ_S10_S11_S12_S16_S17_S18_S1B_S1C_jS1D_jS1E_S1E_jjS1G_bEUljE0_EEESZ_S10_S11_S18_S1C_S1E_T6_T7_T9_mT8_S1G_bDpT10_ENKUlT_T0_E_clISt17integral_constantIbLb0EES1T_IbLb1EEEEDaS1P_S1Q_EUlS1P_E_NS1_11comp_targetILNS1_3genE0ELNS1_11target_archE4294967295ELNS1_3gpuE0ELNS1_3repE0EEENS1_30default_config_static_selectorELNS0_4arch9wavefront6targetE0EEEvS12_,"axG",@progbits,_ZN7rocprim17ROCPRIM_400000_NS6detail17trampoline_kernelINS0_13select_configILj256ELj13ELNS0_17block_load_methodE3ELS4_3ELS4_3ELNS0_20block_scan_algorithmE0ELj4294967295EEENS1_25partition_config_selectorILNS1_17partition_subalgoE4EjNS0_10empty_typeEbEEZZNS1_14partition_implILS8_4ELb0ES6_15HIP_vector_typeIjLj2EENS0_17counting_iteratorIjlEEPS9_SG_NS0_5tupleIJPjSI_NS0_16reverse_iteratorISI_EEEEENSH_IJSG_SG_SG_EEES9_SI_JZNS1_25segmented_radix_sort_implINS0_14default_configELb0EPKdPdPKlPlN2at6native12_GLOBAL__N_18offset_tEEE10hipError_tPvRmT1_PNSt15iterator_traitsIS12_E10value_typeET2_T3_PNS13_IS18_E10value_typeET4_jRbjT5_S1E_jjP12ihipStream_tbEUljE_ZNSN_ISO_Lb0ESQ_SR_ST_SU_SY_EESZ_S10_S11_S12_S16_S17_S18_S1B_S1C_jS1D_jS1E_S1E_jjS1G_bEUljE0_EEESZ_S10_S11_S18_S1C_S1E_T6_T7_T9_mT8_S1G_bDpT10_ENKUlT_T0_E_clISt17integral_constantIbLb0EES1T_IbLb1EEEEDaS1P_S1Q_EUlS1P_E_NS1_11comp_targetILNS1_3genE0ELNS1_11target_archE4294967295ELNS1_3gpuE0ELNS1_3repE0EEENS1_30default_config_static_selectorELNS0_4arch9wavefront6targetE0EEEvS12_,comdat
	.globl	_ZN7rocprim17ROCPRIM_400000_NS6detail17trampoline_kernelINS0_13select_configILj256ELj13ELNS0_17block_load_methodE3ELS4_3ELS4_3ELNS0_20block_scan_algorithmE0ELj4294967295EEENS1_25partition_config_selectorILNS1_17partition_subalgoE4EjNS0_10empty_typeEbEEZZNS1_14partition_implILS8_4ELb0ES6_15HIP_vector_typeIjLj2EENS0_17counting_iteratorIjlEEPS9_SG_NS0_5tupleIJPjSI_NS0_16reverse_iteratorISI_EEEEENSH_IJSG_SG_SG_EEES9_SI_JZNS1_25segmented_radix_sort_implINS0_14default_configELb0EPKdPdPKlPlN2at6native12_GLOBAL__N_18offset_tEEE10hipError_tPvRmT1_PNSt15iterator_traitsIS12_E10value_typeET2_T3_PNS13_IS18_E10value_typeET4_jRbjT5_S1E_jjP12ihipStream_tbEUljE_ZNSN_ISO_Lb0ESQ_SR_ST_SU_SY_EESZ_S10_S11_S12_S16_S17_S18_S1B_S1C_jS1D_jS1E_S1E_jjS1G_bEUljE0_EEESZ_S10_S11_S18_S1C_S1E_T6_T7_T9_mT8_S1G_bDpT10_ENKUlT_T0_E_clISt17integral_constantIbLb0EES1T_IbLb1EEEEDaS1P_S1Q_EUlS1P_E_NS1_11comp_targetILNS1_3genE0ELNS1_11target_archE4294967295ELNS1_3gpuE0ELNS1_3repE0EEENS1_30default_config_static_selectorELNS0_4arch9wavefront6targetE0EEEvS12_ ; -- Begin function _ZN7rocprim17ROCPRIM_400000_NS6detail17trampoline_kernelINS0_13select_configILj256ELj13ELNS0_17block_load_methodE3ELS4_3ELS4_3ELNS0_20block_scan_algorithmE0ELj4294967295EEENS1_25partition_config_selectorILNS1_17partition_subalgoE4EjNS0_10empty_typeEbEEZZNS1_14partition_implILS8_4ELb0ES6_15HIP_vector_typeIjLj2EENS0_17counting_iteratorIjlEEPS9_SG_NS0_5tupleIJPjSI_NS0_16reverse_iteratorISI_EEEEENSH_IJSG_SG_SG_EEES9_SI_JZNS1_25segmented_radix_sort_implINS0_14default_configELb0EPKdPdPKlPlN2at6native12_GLOBAL__N_18offset_tEEE10hipError_tPvRmT1_PNSt15iterator_traitsIS12_E10value_typeET2_T3_PNS13_IS18_E10value_typeET4_jRbjT5_S1E_jjP12ihipStream_tbEUljE_ZNSN_ISO_Lb0ESQ_SR_ST_SU_SY_EESZ_S10_S11_S12_S16_S17_S18_S1B_S1C_jS1D_jS1E_S1E_jjS1G_bEUljE0_EEESZ_S10_S11_S18_S1C_S1E_T6_T7_T9_mT8_S1G_bDpT10_ENKUlT_T0_E_clISt17integral_constantIbLb0EES1T_IbLb1EEEEDaS1P_S1Q_EUlS1P_E_NS1_11comp_targetILNS1_3genE0ELNS1_11target_archE4294967295ELNS1_3gpuE0ELNS1_3repE0EEENS1_30default_config_static_selectorELNS0_4arch9wavefront6targetE0EEEvS12_
	.p2align	8
	.type	_ZN7rocprim17ROCPRIM_400000_NS6detail17trampoline_kernelINS0_13select_configILj256ELj13ELNS0_17block_load_methodE3ELS4_3ELS4_3ELNS0_20block_scan_algorithmE0ELj4294967295EEENS1_25partition_config_selectorILNS1_17partition_subalgoE4EjNS0_10empty_typeEbEEZZNS1_14partition_implILS8_4ELb0ES6_15HIP_vector_typeIjLj2EENS0_17counting_iteratorIjlEEPS9_SG_NS0_5tupleIJPjSI_NS0_16reverse_iteratorISI_EEEEENSH_IJSG_SG_SG_EEES9_SI_JZNS1_25segmented_radix_sort_implINS0_14default_configELb0EPKdPdPKlPlN2at6native12_GLOBAL__N_18offset_tEEE10hipError_tPvRmT1_PNSt15iterator_traitsIS12_E10value_typeET2_T3_PNS13_IS18_E10value_typeET4_jRbjT5_S1E_jjP12ihipStream_tbEUljE_ZNSN_ISO_Lb0ESQ_SR_ST_SU_SY_EESZ_S10_S11_S12_S16_S17_S18_S1B_S1C_jS1D_jS1E_S1E_jjS1G_bEUljE0_EEESZ_S10_S11_S18_S1C_S1E_T6_T7_T9_mT8_S1G_bDpT10_ENKUlT_T0_E_clISt17integral_constantIbLb0EES1T_IbLb1EEEEDaS1P_S1Q_EUlS1P_E_NS1_11comp_targetILNS1_3genE0ELNS1_11target_archE4294967295ELNS1_3gpuE0ELNS1_3repE0EEENS1_30default_config_static_selectorELNS0_4arch9wavefront6targetE0EEEvS12_,@function
_ZN7rocprim17ROCPRIM_400000_NS6detail17trampoline_kernelINS0_13select_configILj256ELj13ELNS0_17block_load_methodE3ELS4_3ELS4_3ELNS0_20block_scan_algorithmE0ELj4294967295EEENS1_25partition_config_selectorILNS1_17partition_subalgoE4EjNS0_10empty_typeEbEEZZNS1_14partition_implILS8_4ELb0ES6_15HIP_vector_typeIjLj2EENS0_17counting_iteratorIjlEEPS9_SG_NS0_5tupleIJPjSI_NS0_16reverse_iteratorISI_EEEEENSH_IJSG_SG_SG_EEES9_SI_JZNS1_25segmented_radix_sort_implINS0_14default_configELb0EPKdPdPKlPlN2at6native12_GLOBAL__N_18offset_tEEE10hipError_tPvRmT1_PNSt15iterator_traitsIS12_E10value_typeET2_T3_PNS13_IS18_E10value_typeET4_jRbjT5_S1E_jjP12ihipStream_tbEUljE_ZNSN_ISO_Lb0ESQ_SR_ST_SU_SY_EESZ_S10_S11_S12_S16_S17_S18_S1B_S1C_jS1D_jS1E_S1E_jjS1G_bEUljE0_EEESZ_S10_S11_S18_S1C_S1E_T6_T7_T9_mT8_S1G_bDpT10_ENKUlT_T0_E_clISt17integral_constantIbLb0EES1T_IbLb1EEEEDaS1P_S1Q_EUlS1P_E_NS1_11comp_targetILNS1_3genE0ELNS1_11target_archE4294967295ELNS1_3gpuE0ELNS1_3repE0EEENS1_30default_config_static_selectorELNS0_4arch9wavefront6targetE0EEEvS12_: ; @_ZN7rocprim17ROCPRIM_400000_NS6detail17trampoline_kernelINS0_13select_configILj256ELj13ELNS0_17block_load_methodE3ELS4_3ELS4_3ELNS0_20block_scan_algorithmE0ELj4294967295EEENS1_25partition_config_selectorILNS1_17partition_subalgoE4EjNS0_10empty_typeEbEEZZNS1_14partition_implILS8_4ELb0ES6_15HIP_vector_typeIjLj2EENS0_17counting_iteratorIjlEEPS9_SG_NS0_5tupleIJPjSI_NS0_16reverse_iteratorISI_EEEEENSH_IJSG_SG_SG_EEES9_SI_JZNS1_25segmented_radix_sort_implINS0_14default_configELb0EPKdPdPKlPlN2at6native12_GLOBAL__N_18offset_tEEE10hipError_tPvRmT1_PNSt15iterator_traitsIS12_E10value_typeET2_T3_PNS13_IS18_E10value_typeET4_jRbjT5_S1E_jjP12ihipStream_tbEUljE_ZNSN_ISO_Lb0ESQ_SR_ST_SU_SY_EESZ_S10_S11_S12_S16_S17_S18_S1B_S1C_jS1D_jS1E_S1E_jjS1G_bEUljE0_EEESZ_S10_S11_S18_S1C_S1E_T6_T7_T9_mT8_S1G_bDpT10_ENKUlT_T0_E_clISt17integral_constantIbLb0EES1T_IbLb1EEEEDaS1P_S1Q_EUlS1P_E_NS1_11comp_targetILNS1_3genE0ELNS1_11target_archE4294967295ELNS1_3gpuE0ELNS1_3repE0EEENS1_30default_config_static_selectorELNS0_4arch9wavefront6targetE0EEEvS12_
; %bb.0:
	.section	.rodata,"a",@progbits
	.p2align	6, 0x0
	.amdhsa_kernel _ZN7rocprim17ROCPRIM_400000_NS6detail17trampoline_kernelINS0_13select_configILj256ELj13ELNS0_17block_load_methodE3ELS4_3ELS4_3ELNS0_20block_scan_algorithmE0ELj4294967295EEENS1_25partition_config_selectorILNS1_17partition_subalgoE4EjNS0_10empty_typeEbEEZZNS1_14partition_implILS8_4ELb0ES6_15HIP_vector_typeIjLj2EENS0_17counting_iteratorIjlEEPS9_SG_NS0_5tupleIJPjSI_NS0_16reverse_iteratorISI_EEEEENSH_IJSG_SG_SG_EEES9_SI_JZNS1_25segmented_radix_sort_implINS0_14default_configELb0EPKdPdPKlPlN2at6native12_GLOBAL__N_18offset_tEEE10hipError_tPvRmT1_PNSt15iterator_traitsIS12_E10value_typeET2_T3_PNS13_IS18_E10value_typeET4_jRbjT5_S1E_jjP12ihipStream_tbEUljE_ZNSN_ISO_Lb0ESQ_SR_ST_SU_SY_EESZ_S10_S11_S12_S16_S17_S18_S1B_S1C_jS1D_jS1E_S1E_jjS1G_bEUljE0_EEESZ_S10_S11_S18_S1C_S1E_T6_T7_T9_mT8_S1G_bDpT10_ENKUlT_T0_E_clISt17integral_constantIbLb0EES1T_IbLb1EEEEDaS1P_S1Q_EUlS1P_E_NS1_11comp_targetILNS1_3genE0ELNS1_11target_archE4294967295ELNS1_3gpuE0ELNS1_3repE0EEENS1_30default_config_static_selectorELNS0_4arch9wavefront6targetE0EEEvS12_
		.amdhsa_group_segment_fixed_size 0
		.amdhsa_private_segment_fixed_size 0
		.amdhsa_kernarg_size 184
		.amdhsa_user_sgpr_count 6
		.amdhsa_user_sgpr_private_segment_buffer 1
		.amdhsa_user_sgpr_dispatch_ptr 0
		.amdhsa_user_sgpr_queue_ptr 0
		.amdhsa_user_sgpr_kernarg_segment_ptr 1
		.amdhsa_user_sgpr_dispatch_id 0
		.amdhsa_user_sgpr_flat_scratch_init 0
		.amdhsa_user_sgpr_private_segment_size 0
		.amdhsa_wavefront_size32 1
		.amdhsa_uses_dynamic_stack 0
		.amdhsa_system_sgpr_private_segment_wavefront_offset 0
		.amdhsa_system_sgpr_workgroup_id_x 1
		.amdhsa_system_sgpr_workgroup_id_y 0
		.amdhsa_system_sgpr_workgroup_id_z 0
		.amdhsa_system_sgpr_workgroup_info 0
		.amdhsa_system_vgpr_workitem_id 0
		.amdhsa_next_free_vgpr 1
		.amdhsa_next_free_sgpr 1
		.amdhsa_reserve_vcc 0
		.amdhsa_reserve_flat_scratch 0
		.amdhsa_float_round_mode_32 0
		.amdhsa_float_round_mode_16_64 0
		.amdhsa_float_denorm_mode_32 3
		.amdhsa_float_denorm_mode_16_64 3
		.amdhsa_dx10_clamp 1
		.amdhsa_ieee_mode 1
		.amdhsa_fp16_overflow 0
		.amdhsa_workgroup_processor_mode 1
		.amdhsa_memory_ordered 1
		.amdhsa_forward_progress 1
		.amdhsa_shared_vgpr_count 0
		.amdhsa_exception_fp_ieee_invalid_op 0
		.amdhsa_exception_fp_denorm_src 0
		.amdhsa_exception_fp_ieee_div_zero 0
		.amdhsa_exception_fp_ieee_overflow 0
		.amdhsa_exception_fp_ieee_underflow 0
		.amdhsa_exception_fp_ieee_inexact 0
		.amdhsa_exception_int_div_zero 0
	.end_amdhsa_kernel
	.section	.text._ZN7rocprim17ROCPRIM_400000_NS6detail17trampoline_kernelINS0_13select_configILj256ELj13ELNS0_17block_load_methodE3ELS4_3ELS4_3ELNS0_20block_scan_algorithmE0ELj4294967295EEENS1_25partition_config_selectorILNS1_17partition_subalgoE4EjNS0_10empty_typeEbEEZZNS1_14partition_implILS8_4ELb0ES6_15HIP_vector_typeIjLj2EENS0_17counting_iteratorIjlEEPS9_SG_NS0_5tupleIJPjSI_NS0_16reverse_iteratorISI_EEEEENSH_IJSG_SG_SG_EEES9_SI_JZNS1_25segmented_radix_sort_implINS0_14default_configELb0EPKdPdPKlPlN2at6native12_GLOBAL__N_18offset_tEEE10hipError_tPvRmT1_PNSt15iterator_traitsIS12_E10value_typeET2_T3_PNS13_IS18_E10value_typeET4_jRbjT5_S1E_jjP12ihipStream_tbEUljE_ZNSN_ISO_Lb0ESQ_SR_ST_SU_SY_EESZ_S10_S11_S12_S16_S17_S18_S1B_S1C_jS1D_jS1E_S1E_jjS1G_bEUljE0_EEESZ_S10_S11_S18_S1C_S1E_T6_T7_T9_mT8_S1G_bDpT10_ENKUlT_T0_E_clISt17integral_constantIbLb0EES1T_IbLb1EEEEDaS1P_S1Q_EUlS1P_E_NS1_11comp_targetILNS1_3genE0ELNS1_11target_archE4294967295ELNS1_3gpuE0ELNS1_3repE0EEENS1_30default_config_static_selectorELNS0_4arch9wavefront6targetE0EEEvS12_,"axG",@progbits,_ZN7rocprim17ROCPRIM_400000_NS6detail17trampoline_kernelINS0_13select_configILj256ELj13ELNS0_17block_load_methodE3ELS4_3ELS4_3ELNS0_20block_scan_algorithmE0ELj4294967295EEENS1_25partition_config_selectorILNS1_17partition_subalgoE4EjNS0_10empty_typeEbEEZZNS1_14partition_implILS8_4ELb0ES6_15HIP_vector_typeIjLj2EENS0_17counting_iteratorIjlEEPS9_SG_NS0_5tupleIJPjSI_NS0_16reverse_iteratorISI_EEEEENSH_IJSG_SG_SG_EEES9_SI_JZNS1_25segmented_radix_sort_implINS0_14default_configELb0EPKdPdPKlPlN2at6native12_GLOBAL__N_18offset_tEEE10hipError_tPvRmT1_PNSt15iterator_traitsIS12_E10value_typeET2_T3_PNS13_IS18_E10value_typeET4_jRbjT5_S1E_jjP12ihipStream_tbEUljE_ZNSN_ISO_Lb0ESQ_SR_ST_SU_SY_EESZ_S10_S11_S12_S16_S17_S18_S1B_S1C_jS1D_jS1E_S1E_jjS1G_bEUljE0_EEESZ_S10_S11_S18_S1C_S1E_T6_T7_T9_mT8_S1G_bDpT10_ENKUlT_T0_E_clISt17integral_constantIbLb0EES1T_IbLb1EEEEDaS1P_S1Q_EUlS1P_E_NS1_11comp_targetILNS1_3genE0ELNS1_11target_archE4294967295ELNS1_3gpuE0ELNS1_3repE0EEENS1_30default_config_static_selectorELNS0_4arch9wavefront6targetE0EEEvS12_,comdat
.Lfunc_end1173:
	.size	_ZN7rocprim17ROCPRIM_400000_NS6detail17trampoline_kernelINS0_13select_configILj256ELj13ELNS0_17block_load_methodE3ELS4_3ELS4_3ELNS0_20block_scan_algorithmE0ELj4294967295EEENS1_25partition_config_selectorILNS1_17partition_subalgoE4EjNS0_10empty_typeEbEEZZNS1_14partition_implILS8_4ELb0ES6_15HIP_vector_typeIjLj2EENS0_17counting_iteratorIjlEEPS9_SG_NS0_5tupleIJPjSI_NS0_16reverse_iteratorISI_EEEEENSH_IJSG_SG_SG_EEES9_SI_JZNS1_25segmented_radix_sort_implINS0_14default_configELb0EPKdPdPKlPlN2at6native12_GLOBAL__N_18offset_tEEE10hipError_tPvRmT1_PNSt15iterator_traitsIS12_E10value_typeET2_T3_PNS13_IS18_E10value_typeET4_jRbjT5_S1E_jjP12ihipStream_tbEUljE_ZNSN_ISO_Lb0ESQ_SR_ST_SU_SY_EESZ_S10_S11_S12_S16_S17_S18_S1B_S1C_jS1D_jS1E_S1E_jjS1G_bEUljE0_EEESZ_S10_S11_S18_S1C_S1E_T6_T7_T9_mT8_S1G_bDpT10_ENKUlT_T0_E_clISt17integral_constantIbLb0EES1T_IbLb1EEEEDaS1P_S1Q_EUlS1P_E_NS1_11comp_targetILNS1_3genE0ELNS1_11target_archE4294967295ELNS1_3gpuE0ELNS1_3repE0EEENS1_30default_config_static_selectorELNS0_4arch9wavefront6targetE0EEEvS12_, .Lfunc_end1173-_ZN7rocprim17ROCPRIM_400000_NS6detail17trampoline_kernelINS0_13select_configILj256ELj13ELNS0_17block_load_methodE3ELS4_3ELS4_3ELNS0_20block_scan_algorithmE0ELj4294967295EEENS1_25partition_config_selectorILNS1_17partition_subalgoE4EjNS0_10empty_typeEbEEZZNS1_14partition_implILS8_4ELb0ES6_15HIP_vector_typeIjLj2EENS0_17counting_iteratorIjlEEPS9_SG_NS0_5tupleIJPjSI_NS0_16reverse_iteratorISI_EEEEENSH_IJSG_SG_SG_EEES9_SI_JZNS1_25segmented_radix_sort_implINS0_14default_configELb0EPKdPdPKlPlN2at6native12_GLOBAL__N_18offset_tEEE10hipError_tPvRmT1_PNSt15iterator_traitsIS12_E10value_typeET2_T3_PNS13_IS18_E10value_typeET4_jRbjT5_S1E_jjP12ihipStream_tbEUljE_ZNSN_ISO_Lb0ESQ_SR_ST_SU_SY_EESZ_S10_S11_S12_S16_S17_S18_S1B_S1C_jS1D_jS1E_S1E_jjS1G_bEUljE0_EEESZ_S10_S11_S18_S1C_S1E_T6_T7_T9_mT8_S1G_bDpT10_ENKUlT_T0_E_clISt17integral_constantIbLb0EES1T_IbLb1EEEEDaS1P_S1Q_EUlS1P_E_NS1_11comp_targetILNS1_3genE0ELNS1_11target_archE4294967295ELNS1_3gpuE0ELNS1_3repE0EEENS1_30default_config_static_selectorELNS0_4arch9wavefront6targetE0EEEvS12_
                                        ; -- End function
	.set _ZN7rocprim17ROCPRIM_400000_NS6detail17trampoline_kernelINS0_13select_configILj256ELj13ELNS0_17block_load_methodE3ELS4_3ELS4_3ELNS0_20block_scan_algorithmE0ELj4294967295EEENS1_25partition_config_selectorILNS1_17partition_subalgoE4EjNS0_10empty_typeEbEEZZNS1_14partition_implILS8_4ELb0ES6_15HIP_vector_typeIjLj2EENS0_17counting_iteratorIjlEEPS9_SG_NS0_5tupleIJPjSI_NS0_16reverse_iteratorISI_EEEEENSH_IJSG_SG_SG_EEES9_SI_JZNS1_25segmented_radix_sort_implINS0_14default_configELb0EPKdPdPKlPlN2at6native12_GLOBAL__N_18offset_tEEE10hipError_tPvRmT1_PNSt15iterator_traitsIS12_E10value_typeET2_T3_PNS13_IS18_E10value_typeET4_jRbjT5_S1E_jjP12ihipStream_tbEUljE_ZNSN_ISO_Lb0ESQ_SR_ST_SU_SY_EESZ_S10_S11_S12_S16_S17_S18_S1B_S1C_jS1D_jS1E_S1E_jjS1G_bEUljE0_EEESZ_S10_S11_S18_S1C_S1E_T6_T7_T9_mT8_S1G_bDpT10_ENKUlT_T0_E_clISt17integral_constantIbLb0EES1T_IbLb1EEEEDaS1P_S1Q_EUlS1P_E_NS1_11comp_targetILNS1_3genE0ELNS1_11target_archE4294967295ELNS1_3gpuE0ELNS1_3repE0EEENS1_30default_config_static_selectorELNS0_4arch9wavefront6targetE0EEEvS12_.num_vgpr, 0
	.set _ZN7rocprim17ROCPRIM_400000_NS6detail17trampoline_kernelINS0_13select_configILj256ELj13ELNS0_17block_load_methodE3ELS4_3ELS4_3ELNS0_20block_scan_algorithmE0ELj4294967295EEENS1_25partition_config_selectorILNS1_17partition_subalgoE4EjNS0_10empty_typeEbEEZZNS1_14partition_implILS8_4ELb0ES6_15HIP_vector_typeIjLj2EENS0_17counting_iteratorIjlEEPS9_SG_NS0_5tupleIJPjSI_NS0_16reverse_iteratorISI_EEEEENSH_IJSG_SG_SG_EEES9_SI_JZNS1_25segmented_radix_sort_implINS0_14default_configELb0EPKdPdPKlPlN2at6native12_GLOBAL__N_18offset_tEEE10hipError_tPvRmT1_PNSt15iterator_traitsIS12_E10value_typeET2_T3_PNS13_IS18_E10value_typeET4_jRbjT5_S1E_jjP12ihipStream_tbEUljE_ZNSN_ISO_Lb0ESQ_SR_ST_SU_SY_EESZ_S10_S11_S12_S16_S17_S18_S1B_S1C_jS1D_jS1E_S1E_jjS1G_bEUljE0_EEESZ_S10_S11_S18_S1C_S1E_T6_T7_T9_mT8_S1G_bDpT10_ENKUlT_T0_E_clISt17integral_constantIbLb0EES1T_IbLb1EEEEDaS1P_S1Q_EUlS1P_E_NS1_11comp_targetILNS1_3genE0ELNS1_11target_archE4294967295ELNS1_3gpuE0ELNS1_3repE0EEENS1_30default_config_static_selectorELNS0_4arch9wavefront6targetE0EEEvS12_.num_agpr, 0
	.set _ZN7rocprim17ROCPRIM_400000_NS6detail17trampoline_kernelINS0_13select_configILj256ELj13ELNS0_17block_load_methodE3ELS4_3ELS4_3ELNS0_20block_scan_algorithmE0ELj4294967295EEENS1_25partition_config_selectorILNS1_17partition_subalgoE4EjNS0_10empty_typeEbEEZZNS1_14partition_implILS8_4ELb0ES6_15HIP_vector_typeIjLj2EENS0_17counting_iteratorIjlEEPS9_SG_NS0_5tupleIJPjSI_NS0_16reverse_iteratorISI_EEEEENSH_IJSG_SG_SG_EEES9_SI_JZNS1_25segmented_radix_sort_implINS0_14default_configELb0EPKdPdPKlPlN2at6native12_GLOBAL__N_18offset_tEEE10hipError_tPvRmT1_PNSt15iterator_traitsIS12_E10value_typeET2_T3_PNS13_IS18_E10value_typeET4_jRbjT5_S1E_jjP12ihipStream_tbEUljE_ZNSN_ISO_Lb0ESQ_SR_ST_SU_SY_EESZ_S10_S11_S12_S16_S17_S18_S1B_S1C_jS1D_jS1E_S1E_jjS1G_bEUljE0_EEESZ_S10_S11_S18_S1C_S1E_T6_T7_T9_mT8_S1G_bDpT10_ENKUlT_T0_E_clISt17integral_constantIbLb0EES1T_IbLb1EEEEDaS1P_S1Q_EUlS1P_E_NS1_11comp_targetILNS1_3genE0ELNS1_11target_archE4294967295ELNS1_3gpuE0ELNS1_3repE0EEENS1_30default_config_static_selectorELNS0_4arch9wavefront6targetE0EEEvS12_.numbered_sgpr, 0
	.set _ZN7rocprim17ROCPRIM_400000_NS6detail17trampoline_kernelINS0_13select_configILj256ELj13ELNS0_17block_load_methodE3ELS4_3ELS4_3ELNS0_20block_scan_algorithmE0ELj4294967295EEENS1_25partition_config_selectorILNS1_17partition_subalgoE4EjNS0_10empty_typeEbEEZZNS1_14partition_implILS8_4ELb0ES6_15HIP_vector_typeIjLj2EENS0_17counting_iteratorIjlEEPS9_SG_NS0_5tupleIJPjSI_NS0_16reverse_iteratorISI_EEEEENSH_IJSG_SG_SG_EEES9_SI_JZNS1_25segmented_radix_sort_implINS0_14default_configELb0EPKdPdPKlPlN2at6native12_GLOBAL__N_18offset_tEEE10hipError_tPvRmT1_PNSt15iterator_traitsIS12_E10value_typeET2_T3_PNS13_IS18_E10value_typeET4_jRbjT5_S1E_jjP12ihipStream_tbEUljE_ZNSN_ISO_Lb0ESQ_SR_ST_SU_SY_EESZ_S10_S11_S12_S16_S17_S18_S1B_S1C_jS1D_jS1E_S1E_jjS1G_bEUljE0_EEESZ_S10_S11_S18_S1C_S1E_T6_T7_T9_mT8_S1G_bDpT10_ENKUlT_T0_E_clISt17integral_constantIbLb0EES1T_IbLb1EEEEDaS1P_S1Q_EUlS1P_E_NS1_11comp_targetILNS1_3genE0ELNS1_11target_archE4294967295ELNS1_3gpuE0ELNS1_3repE0EEENS1_30default_config_static_selectorELNS0_4arch9wavefront6targetE0EEEvS12_.num_named_barrier, 0
	.set _ZN7rocprim17ROCPRIM_400000_NS6detail17trampoline_kernelINS0_13select_configILj256ELj13ELNS0_17block_load_methodE3ELS4_3ELS4_3ELNS0_20block_scan_algorithmE0ELj4294967295EEENS1_25partition_config_selectorILNS1_17partition_subalgoE4EjNS0_10empty_typeEbEEZZNS1_14partition_implILS8_4ELb0ES6_15HIP_vector_typeIjLj2EENS0_17counting_iteratorIjlEEPS9_SG_NS0_5tupleIJPjSI_NS0_16reverse_iteratorISI_EEEEENSH_IJSG_SG_SG_EEES9_SI_JZNS1_25segmented_radix_sort_implINS0_14default_configELb0EPKdPdPKlPlN2at6native12_GLOBAL__N_18offset_tEEE10hipError_tPvRmT1_PNSt15iterator_traitsIS12_E10value_typeET2_T3_PNS13_IS18_E10value_typeET4_jRbjT5_S1E_jjP12ihipStream_tbEUljE_ZNSN_ISO_Lb0ESQ_SR_ST_SU_SY_EESZ_S10_S11_S12_S16_S17_S18_S1B_S1C_jS1D_jS1E_S1E_jjS1G_bEUljE0_EEESZ_S10_S11_S18_S1C_S1E_T6_T7_T9_mT8_S1G_bDpT10_ENKUlT_T0_E_clISt17integral_constantIbLb0EES1T_IbLb1EEEEDaS1P_S1Q_EUlS1P_E_NS1_11comp_targetILNS1_3genE0ELNS1_11target_archE4294967295ELNS1_3gpuE0ELNS1_3repE0EEENS1_30default_config_static_selectorELNS0_4arch9wavefront6targetE0EEEvS12_.private_seg_size, 0
	.set _ZN7rocprim17ROCPRIM_400000_NS6detail17trampoline_kernelINS0_13select_configILj256ELj13ELNS0_17block_load_methodE3ELS4_3ELS4_3ELNS0_20block_scan_algorithmE0ELj4294967295EEENS1_25partition_config_selectorILNS1_17partition_subalgoE4EjNS0_10empty_typeEbEEZZNS1_14partition_implILS8_4ELb0ES6_15HIP_vector_typeIjLj2EENS0_17counting_iteratorIjlEEPS9_SG_NS0_5tupleIJPjSI_NS0_16reverse_iteratorISI_EEEEENSH_IJSG_SG_SG_EEES9_SI_JZNS1_25segmented_radix_sort_implINS0_14default_configELb0EPKdPdPKlPlN2at6native12_GLOBAL__N_18offset_tEEE10hipError_tPvRmT1_PNSt15iterator_traitsIS12_E10value_typeET2_T3_PNS13_IS18_E10value_typeET4_jRbjT5_S1E_jjP12ihipStream_tbEUljE_ZNSN_ISO_Lb0ESQ_SR_ST_SU_SY_EESZ_S10_S11_S12_S16_S17_S18_S1B_S1C_jS1D_jS1E_S1E_jjS1G_bEUljE0_EEESZ_S10_S11_S18_S1C_S1E_T6_T7_T9_mT8_S1G_bDpT10_ENKUlT_T0_E_clISt17integral_constantIbLb0EES1T_IbLb1EEEEDaS1P_S1Q_EUlS1P_E_NS1_11comp_targetILNS1_3genE0ELNS1_11target_archE4294967295ELNS1_3gpuE0ELNS1_3repE0EEENS1_30default_config_static_selectorELNS0_4arch9wavefront6targetE0EEEvS12_.uses_vcc, 0
	.set _ZN7rocprim17ROCPRIM_400000_NS6detail17trampoline_kernelINS0_13select_configILj256ELj13ELNS0_17block_load_methodE3ELS4_3ELS4_3ELNS0_20block_scan_algorithmE0ELj4294967295EEENS1_25partition_config_selectorILNS1_17partition_subalgoE4EjNS0_10empty_typeEbEEZZNS1_14partition_implILS8_4ELb0ES6_15HIP_vector_typeIjLj2EENS0_17counting_iteratorIjlEEPS9_SG_NS0_5tupleIJPjSI_NS0_16reverse_iteratorISI_EEEEENSH_IJSG_SG_SG_EEES9_SI_JZNS1_25segmented_radix_sort_implINS0_14default_configELb0EPKdPdPKlPlN2at6native12_GLOBAL__N_18offset_tEEE10hipError_tPvRmT1_PNSt15iterator_traitsIS12_E10value_typeET2_T3_PNS13_IS18_E10value_typeET4_jRbjT5_S1E_jjP12ihipStream_tbEUljE_ZNSN_ISO_Lb0ESQ_SR_ST_SU_SY_EESZ_S10_S11_S12_S16_S17_S18_S1B_S1C_jS1D_jS1E_S1E_jjS1G_bEUljE0_EEESZ_S10_S11_S18_S1C_S1E_T6_T7_T9_mT8_S1G_bDpT10_ENKUlT_T0_E_clISt17integral_constantIbLb0EES1T_IbLb1EEEEDaS1P_S1Q_EUlS1P_E_NS1_11comp_targetILNS1_3genE0ELNS1_11target_archE4294967295ELNS1_3gpuE0ELNS1_3repE0EEENS1_30default_config_static_selectorELNS0_4arch9wavefront6targetE0EEEvS12_.uses_flat_scratch, 0
	.set _ZN7rocprim17ROCPRIM_400000_NS6detail17trampoline_kernelINS0_13select_configILj256ELj13ELNS0_17block_load_methodE3ELS4_3ELS4_3ELNS0_20block_scan_algorithmE0ELj4294967295EEENS1_25partition_config_selectorILNS1_17partition_subalgoE4EjNS0_10empty_typeEbEEZZNS1_14partition_implILS8_4ELb0ES6_15HIP_vector_typeIjLj2EENS0_17counting_iteratorIjlEEPS9_SG_NS0_5tupleIJPjSI_NS0_16reverse_iteratorISI_EEEEENSH_IJSG_SG_SG_EEES9_SI_JZNS1_25segmented_radix_sort_implINS0_14default_configELb0EPKdPdPKlPlN2at6native12_GLOBAL__N_18offset_tEEE10hipError_tPvRmT1_PNSt15iterator_traitsIS12_E10value_typeET2_T3_PNS13_IS18_E10value_typeET4_jRbjT5_S1E_jjP12ihipStream_tbEUljE_ZNSN_ISO_Lb0ESQ_SR_ST_SU_SY_EESZ_S10_S11_S12_S16_S17_S18_S1B_S1C_jS1D_jS1E_S1E_jjS1G_bEUljE0_EEESZ_S10_S11_S18_S1C_S1E_T6_T7_T9_mT8_S1G_bDpT10_ENKUlT_T0_E_clISt17integral_constantIbLb0EES1T_IbLb1EEEEDaS1P_S1Q_EUlS1P_E_NS1_11comp_targetILNS1_3genE0ELNS1_11target_archE4294967295ELNS1_3gpuE0ELNS1_3repE0EEENS1_30default_config_static_selectorELNS0_4arch9wavefront6targetE0EEEvS12_.has_dyn_sized_stack, 0
	.set _ZN7rocprim17ROCPRIM_400000_NS6detail17trampoline_kernelINS0_13select_configILj256ELj13ELNS0_17block_load_methodE3ELS4_3ELS4_3ELNS0_20block_scan_algorithmE0ELj4294967295EEENS1_25partition_config_selectorILNS1_17partition_subalgoE4EjNS0_10empty_typeEbEEZZNS1_14partition_implILS8_4ELb0ES6_15HIP_vector_typeIjLj2EENS0_17counting_iteratorIjlEEPS9_SG_NS0_5tupleIJPjSI_NS0_16reverse_iteratorISI_EEEEENSH_IJSG_SG_SG_EEES9_SI_JZNS1_25segmented_radix_sort_implINS0_14default_configELb0EPKdPdPKlPlN2at6native12_GLOBAL__N_18offset_tEEE10hipError_tPvRmT1_PNSt15iterator_traitsIS12_E10value_typeET2_T3_PNS13_IS18_E10value_typeET4_jRbjT5_S1E_jjP12ihipStream_tbEUljE_ZNSN_ISO_Lb0ESQ_SR_ST_SU_SY_EESZ_S10_S11_S12_S16_S17_S18_S1B_S1C_jS1D_jS1E_S1E_jjS1G_bEUljE0_EEESZ_S10_S11_S18_S1C_S1E_T6_T7_T9_mT8_S1G_bDpT10_ENKUlT_T0_E_clISt17integral_constantIbLb0EES1T_IbLb1EEEEDaS1P_S1Q_EUlS1P_E_NS1_11comp_targetILNS1_3genE0ELNS1_11target_archE4294967295ELNS1_3gpuE0ELNS1_3repE0EEENS1_30default_config_static_selectorELNS0_4arch9wavefront6targetE0EEEvS12_.has_recursion, 0
	.set _ZN7rocprim17ROCPRIM_400000_NS6detail17trampoline_kernelINS0_13select_configILj256ELj13ELNS0_17block_load_methodE3ELS4_3ELS4_3ELNS0_20block_scan_algorithmE0ELj4294967295EEENS1_25partition_config_selectorILNS1_17partition_subalgoE4EjNS0_10empty_typeEbEEZZNS1_14partition_implILS8_4ELb0ES6_15HIP_vector_typeIjLj2EENS0_17counting_iteratorIjlEEPS9_SG_NS0_5tupleIJPjSI_NS0_16reverse_iteratorISI_EEEEENSH_IJSG_SG_SG_EEES9_SI_JZNS1_25segmented_radix_sort_implINS0_14default_configELb0EPKdPdPKlPlN2at6native12_GLOBAL__N_18offset_tEEE10hipError_tPvRmT1_PNSt15iterator_traitsIS12_E10value_typeET2_T3_PNS13_IS18_E10value_typeET4_jRbjT5_S1E_jjP12ihipStream_tbEUljE_ZNSN_ISO_Lb0ESQ_SR_ST_SU_SY_EESZ_S10_S11_S12_S16_S17_S18_S1B_S1C_jS1D_jS1E_S1E_jjS1G_bEUljE0_EEESZ_S10_S11_S18_S1C_S1E_T6_T7_T9_mT8_S1G_bDpT10_ENKUlT_T0_E_clISt17integral_constantIbLb0EES1T_IbLb1EEEEDaS1P_S1Q_EUlS1P_E_NS1_11comp_targetILNS1_3genE0ELNS1_11target_archE4294967295ELNS1_3gpuE0ELNS1_3repE0EEENS1_30default_config_static_selectorELNS0_4arch9wavefront6targetE0EEEvS12_.has_indirect_call, 0
	.section	.AMDGPU.csdata,"",@progbits
; Kernel info:
; codeLenInByte = 0
; TotalNumSgprs: 0
; NumVgprs: 0
; ScratchSize: 0
; MemoryBound: 0
; FloatMode: 240
; IeeeMode: 1
; LDSByteSize: 0 bytes/workgroup (compile time only)
; SGPRBlocks: 0
; VGPRBlocks: 0
; NumSGPRsForWavesPerEU: 1
; NumVGPRsForWavesPerEU: 1
; Occupancy: 16
; WaveLimiterHint : 0
; COMPUTE_PGM_RSRC2:SCRATCH_EN: 0
; COMPUTE_PGM_RSRC2:USER_SGPR: 6
; COMPUTE_PGM_RSRC2:TRAP_HANDLER: 0
; COMPUTE_PGM_RSRC2:TGID_X_EN: 1
; COMPUTE_PGM_RSRC2:TGID_Y_EN: 0
; COMPUTE_PGM_RSRC2:TGID_Z_EN: 0
; COMPUTE_PGM_RSRC2:TIDIG_COMP_CNT: 0
	.section	.text._ZN7rocprim17ROCPRIM_400000_NS6detail17trampoline_kernelINS0_13select_configILj256ELj13ELNS0_17block_load_methodE3ELS4_3ELS4_3ELNS0_20block_scan_algorithmE0ELj4294967295EEENS1_25partition_config_selectorILNS1_17partition_subalgoE4EjNS0_10empty_typeEbEEZZNS1_14partition_implILS8_4ELb0ES6_15HIP_vector_typeIjLj2EENS0_17counting_iteratorIjlEEPS9_SG_NS0_5tupleIJPjSI_NS0_16reverse_iteratorISI_EEEEENSH_IJSG_SG_SG_EEES9_SI_JZNS1_25segmented_radix_sort_implINS0_14default_configELb0EPKdPdPKlPlN2at6native12_GLOBAL__N_18offset_tEEE10hipError_tPvRmT1_PNSt15iterator_traitsIS12_E10value_typeET2_T3_PNS13_IS18_E10value_typeET4_jRbjT5_S1E_jjP12ihipStream_tbEUljE_ZNSN_ISO_Lb0ESQ_SR_ST_SU_SY_EESZ_S10_S11_S12_S16_S17_S18_S1B_S1C_jS1D_jS1E_S1E_jjS1G_bEUljE0_EEESZ_S10_S11_S18_S1C_S1E_T6_T7_T9_mT8_S1G_bDpT10_ENKUlT_T0_E_clISt17integral_constantIbLb0EES1T_IbLb1EEEEDaS1P_S1Q_EUlS1P_E_NS1_11comp_targetILNS1_3genE5ELNS1_11target_archE942ELNS1_3gpuE9ELNS1_3repE0EEENS1_30default_config_static_selectorELNS0_4arch9wavefront6targetE0EEEvS12_,"axG",@progbits,_ZN7rocprim17ROCPRIM_400000_NS6detail17trampoline_kernelINS0_13select_configILj256ELj13ELNS0_17block_load_methodE3ELS4_3ELS4_3ELNS0_20block_scan_algorithmE0ELj4294967295EEENS1_25partition_config_selectorILNS1_17partition_subalgoE4EjNS0_10empty_typeEbEEZZNS1_14partition_implILS8_4ELb0ES6_15HIP_vector_typeIjLj2EENS0_17counting_iteratorIjlEEPS9_SG_NS0_5tupleIJPjSI_NS0_16reverse_iteratorISI_EEEEENSH_IJSG_SG_SG_EEES9_SI_JZNS1_25segmented_radix_sort_implINS0_14default_configELb0EPKdPdPKlPlN2at6native12_GLOBAL__N_18offset_tEEE10hipError_tPvRmT1_PNSt15iterator_traitsIS12_E10value_typeET2_T3_PNS13_IS18_E10value_typeET4_jRbjT5_S1E_jjP12ihipStream_tbEUljE_ZNSN_ISO_Lb0ESQ_SR_ST_SU_SY_EESZ_S10_S11_S12_S16_S17_S18_S1B_S1C_jS1D_jS1E_S1E_jjS1G_bEUljE0_EEESZ_S10_S11_S18_S1C_S1E_T6_T7_T9_mT8_S1G_bDpT10_ENKUlT_T0_E_clISt17integral_constantIbLb0EES1T_IbLb1EEEEDaS1P_S1Q_EUlS1P_E_NS1_11comp_targetILNS1_3genE5ELNS1_11target_archE942ELNS1_3gpuE9ELNS1_3repE0EEENS1_30default_config_static_selectorELNS0_4arch9wavefront6targetE0EEEvS12_,comdat
	.globl	_ZN7rocprim17ROCPRIM_400000_NS6detail17trampoline_kernelINS0_13select_configILj256ELj13ELNS0_17block_load_methodE3ELS4_3ELS4_3ELNS0_20block_scan_algorithmE0ELj4294967295EEENS1_25partition_config_selectorILNS1_17partition_subalgoE4EjNS0_10empty_typeEbEEZZNS1_14partition_implILS8_4ELb0ES6_15HIP_vector_typeIjLj2EENS0_17counting_iteratorIjlEEPS9_SG_NS0_5tupleIJPjSI_NS0_16reverse_iteratorISI_EEEEENSH_IJSG_SG_SG_EEES9_SI_JZNS1_25segmented_radix_sort_implINS0_14default_configELb0EPKdPdPKlPlN2at6native12_GLOBAL__N_18offset_tEEE10hipError_tPvRmT1_PNSt15iterator_traitsIS12_E10value_typeET2_T3_PNS13_IS18_E10value_typeET4_jRbjT5_S1E_jjP12ihipStream_tbEUljE_ZNSN_ISO_Lb0ESQ_SR_ST_SU_SY_EESZ_S10_S11_S12_S16_S17_S18_S1B_S1C_jS1D_jS1E_S1E_jjS1G_bEUljE0_EEESZ_S10_S11_S18_S1C_S1E_T6_T7_T9_mT8_S1G_bDpT10_ENKUlT_T0_E_clISt17integral_constantIbLb0EES1T_IbLb1EEEEDaS1P_S1Q_EUlS1P_E_NS1_11comp_targetILNS1_3genE5ELNS1_11target_archE942ELNS1_3gpuE9ELNS1_3repE0EEENS1_30default_config_static_selectorELNS0_4arch9wavefront6targetE0EEEvS12_ ; -- Begin function _ZN7rocprim17ROCPRIM_400000_NS6detail17trampoline_kernelINS0_13select_configILj256ELj13ELNS0_17block_load_methodE3ELS4_3ELS4_3ELNS0_20block_scan_algorithmE0ELj4294967295EEENS1_25partition_config_selectorILNS1_17partition_subalgoE4EjNS0_10empty_typeEbEEZZNS1_14partition_implILS8_4ELb0ES6_15HIP_vector_typeIjLj2EENS0_17counting_iteratorIjlEEPS9_SG_NS0_5tupleIJPjSI_NS0_16reverse_iteratorISI_EEEEENSH_IJSG_SG_SG_EEES9_SI_JZNS1_25segmented_radix_sort_implINS0_14default_configELb0EPKdPdPKlPlN2at6native12_GLOBAL__N_18offset_tEEE10hipError_tPvRmT1_PNSt15iterator_traitsIS12_E10value_typeET2_T3_PNS13_IS18_E10value_typeET4_jRbjT5_S1E_jjP12ihipStream_tbEUljE_ZNSN_ISO_Lb0ESQ_SR_ST_SU_SY_EESZ_S10_S11_S12_S16_S17_S18_S1B_S1C_jS1D_jS1E_S1E_jjS1G_bEUljE0_EEESZ_S10_S11_S18_S1C_S1E_T6_T7_T9_mT8_S1G_bDpT10_ENKUlT_T0_E_clISt17integral_constantIbLb0EES1T_IbLb1EEEEDaS1P_S1Q_EUlS1P_E_NS1_11comp_targetILNS1_3genE5ELNS1_11target_archE942ELNS1_3gpuE9ELNS1_3repE0EEENS1_30default_config_static_selectorELNS0_4arch9wavefront6targetE0EEEvS12_
	.p2align	8
	.type	_ZN7rocprim17ROCPRIM_400000_NS6detail17trampoline_kernelINS0_13select_configILj256ELj13ELNS0_17block_load_methodE3ELS4_3ELS4_3ELNS0_20block_scan_algorithmE0ELj4294967295EEENS1_25partition_config_selectorILNS1_17partition_subalgoE4EjNS0_10empty_typeEbEEZZNS1_14partition_implILS8_4ELb0ES6_15HIP_vector_typeIjLj2EENS0_17counting_iteratorIjlEEPS9_SG_NS0_5tupleIJPjSI_NS0_16reverse_iteratorISI_EEEEENSH_IJSG_SG_SG_EEES9_SI_JZNS1_25segmented_radix_sort_implINS0_14default_configELb0EPKdPdPKlPlN2at6native12_GLOBAL__N_18offset_tEEE10hipError_tPvRmT1_PNSt15iterator_traitsIS12_E10value_typeET2_T3_PNS13_IS18_E10value_typeET4_jRbjT5_S1E_jjP12ihipStream_tbEUljE_ZNSN_ISO_Lb0ESQ_SR_ST_SU_SY_EESZ_S10_S11_S12_S16_S17_S18_S1B_S1C_jS1D_jS1E_S1E_jjS1G_bEUljE0_EEESZ_S10_S11_S18_S1C_S1E_T6_T7_T9_mT8_S1G_bDpT10_ENKUlT_T0_E_clISt17integral_constantIbLb0EES1T_IbLb1EEEEDaS1P_S1Q_EUlS1P_E_NS1_11comp_targetILNS1_3genE5ELNS1_11target_archE942ELNS1_3gpuE9ELNS1_3repE0EEENS1_30default_config_static_selectorELNS0_4arch9wavefront6targetE0EEEvS12_,@function
_ZN7rocprim17ROCPRIM_400000_NS6detail17trampoline_kernelINS0_13select_configILj256ELj13ELNS0_17block_load_methodE3ELS4_3ELS4_3ELNS0_20block_scan_algorithmE0ELj4294967295EEENS1_25partition_config_selectorILNS1_17partition_subalgoE4EjNS0_10empty_typeEbEEZZNS1_14partition_implILS8_4ELb0ES6_15HIP_vector_typeIjLj2EENS0_17counting_iteratorIjlEEPS9_SG_NS0_5tupleIJPjSI_NS0_16reverse_iteratorISI_EEEEENSH_IJSG_SG_SG_EEES9_SI_JZNS1_25segmented_radix_sort_implINS0_14default_configELb0EPKdPdPKlPlN2at6native12_GLOBAL__N_18offset_tEEE10hipError_tPvRmT1_PNSt15iterator_traitsIS12_E10value_typeET2_T3_PNS13_IS18_E10value_typeET4_jRbjT5_S1E_jjP12ihipStream_tbEUljE_ZNSN_ISO_Lb0ESQ_SR_ST_SU_SY_EESZ_S10_S11_S12_S16_S17_S18_S1B_S1C_jS1D_jS1E_S1E_jjS1G_bEUljE0_EEESZ_S10_S11_S18_S1C_S1E_T6_T7_T9_mT8_S1G_bDpT10_ENKUlT_T0_E_clISt17integral_constantIbLb0EES1T_IbLb1EEEEDaS1P_S1Q_EUlS1P_E_NS1_11comp_targetILNS1_3genE5ELNS1_11target_archE942ELNS1_3gpuE9ELNS1_3repE0EEENS1_30default_config_static_selectorELNS0_4arch9wavefront6targetE0EEEvS12_: ; @_ZN7rocprim17ROCPRIM_400000_NS6detail17trampoline_kernelINS0_13select_configILj256ELj13ELNS0_17block_load_methodE3ELS4_3ELS4_3ELNS0_20block_scan_algorithmE0ELj4294967295EEENS1_25partition_config_selectorILNS1_17partition_subalgoE4EjNS0_10empty_typeEbEEZZNS1_14partition_implILS8_4ELb0ES6_15HIP_vector_typeIjLj2EENS0_17counting_iteratorIjlEEPS9_SG_NS0_5tupleIJPjSI_NS0_16reverse_iteratorISI_EEEEENSH_IJSG_SG_SG_EEES9_SI_JZNS1_25segmented_radix_sort_implINS0_14default_configELb0EPKdPdPKlPlN2at6native12_GLOBAL__N_18offset_tEEE10hipError_tPvRmT1_PNSt15iterator_traitsIS12_E10value_typeET2_T3_PNS13_IS18_E10value_typeET4_jRbjT5_S1E_jjP12ihipStream_tbEUljE_ZNSN_ISO_Lb0ESQ_SR_ST_SU_SY_EESZ_S10_S11_S12_S16_S17_S18_S1B_S1C_jS1D_jS1E_S1E_jjS1G_bEUljE0_EEESZ_S10_S11_S18_S1C_S1E_T6_T7_T9_mT8_S1G_bDpT10_ENKUlT_T0_E_clISt17integral_constantIbLb0EES1T_IbLb1EEEEDaS1P_S1Q_EUlS1P_E_NS1_11comp_targetILNS1_3genE5ELNS1_11target_archE942ELNS1_3gpuE9ELNS1_3repE0EEENS1_30default_config_static_selectorELNS0_4arch9wavefront6targetE0EEEvS12_
; %bb.0:
	.section	.rodata,"a",@progbits
	.p2align	6, 0x0
	.amdhsa_kernel _ZN7rocprim17ROCPRIM_400000_NS6detail17trampoline_kernelINS0_13select_configILj256ELj13ELNS0_17block_load_methodE3ELS4_3ELS4_3ELNS0_20block_scan_algorithmE0ELj4294967295EEENS1_25partition_config_selectorILNS1_17partition_subalgoE4EjNS0_10empty_typeEbEEZZNS1_14partition_implILS8_4ELb0ES6_15HIP_vector_typeIjLj2EENS0_17counting_iteratorIjlEEPS9_SG_NS0_5tupleIJPjSI_NS0_16reverse_iteratorISI_EEEEENSH_IJSG_SG_SG_EEES9_SI_JZNS1_25segmented_radix_sort_implINS0_14default_configELb0EPKdPdPKlPlN2at6native12_GLOBAL__N_18offset_tEEE10hipError_tPvRmT1_PNSt15iterator_traitsIS12_E10value_typeET2_T3_PNS13_IS18_E10value_typeET4_jRbjT5_S1E_jjP12ihipStream_tbEUljE_ZNSN_ISO_Lb0ESQ_SR_ST_SU_SY_EESZ_S10_S11_S12_S16_S17_S18_S1B_S1C_jS1D_jS1E_S1E_jjS1G_bEUljE0_EEESZ_S10_S11_S18_S1C_S1E_T6_T7_T9_mT8_S1G_bDpT10_ENKUlT_T0_E_clISt17integral_constantIbLb0EES1T_IbLb1EEEEDaS1P_S1Q_EUlS1P_E_NS1_11comp_targetILNS1_3genE5ELNS1_11target_archE942ELNS1_3gpuE9ELNS1_3repE0EEENS1_30default_config_static_selectorELNS0_4arch9wavefront6targetE0EEEvS12_
		.amdhsa_group_segment_fixed_size 0
		.amdhsa_private_segment_fixed_size 0
		.amdhsa_kernarg_size 184
		.amdhsa_user_sgpr_count 6
		.amdhsa_user_sgpr_private_segment_buffer 1
		.amdhsa_user_sgpr_dispatch_ptr 0
		.amdhsa_user_sgpr_queue_ptr 0
		.amdhsa_user_sgpr_kernarg_segment_ptr 1
		.amdhsa_user_sgpr_dispatch_id 0
		.amdhsa_user_sgpr_flat_scratch_init 0
		.amdhsa_user_sgpr_private_segment_size 0
		.amdhsa_wavefront_size32 1
		.amdhsa_uses_dynamic_stack 0
		.amdhsa_system_sgpr_private_segment_wavefront_offset 0
		.amdhsa_system_sgpr_workgroup_id_x 1
		.amdhsa_system_sgpr_workgroup_id_y 0
		.amdhsa_system_sgpr_workgroup_id_z 0
		.amdhsa_system_sgpr_workgroup_info 0
		.amdhsa_system_vgpr_workitem_id 0
		.amdhsa_next_free_vgpr 1
		.amdhsa_next_free_sgpr 1
		.amdhsa_reserve_vcc 0
		.amdhsa_reserve_flat_scratch 0
		.amdhsa_float_round_mode_32 0
		.amdhsa_float_round_mode_16_64 0
		.amdhsa_float_denorm_mode_32 3
		.amdhsa_float_denorm_mode_16_64 3
		.amdhsa_dx10_clamp 1
		.amdhsa_ieee_mode 1
		.amdhsa_fp16_overflow 0
		.amdhsa_workgroup_processor_mode 1
		.amdhsa_memory_ordered 1
		.amdhsa_forward_progress 1
		.amdhsa_shared_vgpr_count 0
		.amdhsa_exception_fp_ieee_invalid_op 0
		.amdhsa_exception_fp_denorm_src 0
		.amdhsa_exception_fp_ieee_div_zero 0
		.amdhsa_exception_fp_ieee_overflow 0
		.amdhsa_exception_fp_ieee_underflow 0
		.amdhsa_exception_fp_ieee_inexact 0
		.amdhsa_exception_int_div_zero 0
	.end_amdhsa_kernel
	.section	.text._ZN7rocprim17ROCPRIM_400000_NS6detail17trampoline_kernelINS0_13select_configILj256ELj13ELNS0_17block_load_methodE3ELS4_3ELS4_3ELNS0_20block_scan_algorithmE0ELj4294967295EEENS1_25partition_config_selectorILNS1_17partition_subalgoE4EjNS0_10empty_typeEbEEZZNS1_14partition_implILS8_4ELb0ES6_15HIP_vector_typeIjLj2EENS0_17counting_iteratorIjlEEPS9_SG_NS0_5tupleIJPjSI_NS0_16reverse_iteratorISI_EEEEENSH_IJSG_SG_SG_EEES9_SI_JZNS1_25segmented_radix_sort_implINS0_14default_configELb0EPKdPdPKlPlN2at6native12_GLOBAL__N_18offset_tEEE10hipError_tPvRmT1_PNSt15iterator_traitsIS12_E10value_typeET2_T3_PNS13_IS18_E10value_typeET4_jRbjT5_S1E_jjP12ihipStream_tbEUljE_ZNSN_ISO_Lb0ESQ_SR_ST_SU_SY_EESZ_S10_S11_S12_S16_S17_S18_S1B_S1C_jS1D_jS1E_S1E_jjS1G_bEUljE0_EEESZ_S10_S11_S18_S1C_S1E_T6_T7_T9_mT8_S1G_bDpT10_ENKUlT_T0_E_clISt17integral_constantIbLb0EES1T_IbLb1EEEEDaS1P_S1Q_EUlS1P_E_NS1_11comp_targetILNS1_3genE5ELNS1_11target_archE942ELNS1_3gpuE9ELNS1_3repE0EEENS1_30default_config_static_selectorELNS0_4arch9wavefront6targetE0EEEvS12_,"axG",@progbits,_ZN7rocprim17ROCPRIM_400000_NS6detail17trampoline_kernelINS0_13select_configILj256ELj13ELNS0_17block_load_methodE3ELS4_3ELS4_3ELNS0_20block_scan_algorithmE0ELj4294967295EEENS1_25partition_config_selectorILNS1_17partition_subalgoE4EjNS0_10empty_typeEbEEZZNS1_14partition_implILS8_4ELb0ES6_15HIP_vector_typeIjLj2EENS0_17counting_iteratorIjlEEPS9_SG_NS0_5tupleIJPjSI_NS0_16reverse_iteratorISI_EEEEENSH_IJSG_SG_SG_EEES9_SI_JZNS1_25segmented_radix_sort_implINS0_14default_configELb0EPKdPdPKlPlN2at6native12_GLOBAL__N_18offset_tEEE10hipError_tPvRmT1_PNSt15iterator_traitsIS12_E10value_typeET2_T3_PNS13_IS18_E10value_typeET4_jRbjT5_S1E_jjP12ihipStream_tbEUljE_ZNSN_ISO_Lb0ESQ_SR_ST_SU_SY_EESZ_S10_S11_S12_S16_S17_S18_S1B_S1C_jS1D_jS1E_S1E_jjS1G_bEUljE0_EEESZ_S10_S11_S18_S1C_S1E_T6_T7_T9_mT8_S1G_bDpT10_ENKUlT_T0_E_clISt17integral_constantIbLb0EES1T_IbLb1EEEEDaS1P_S1Q_EUlS1P_E_NS1_11comp_targetILNS1_3genE5ELNS1_11target_archE942ELNS1_3gpuE9ELNS1_3repE0EEENS1_30default_config_static_selectorELNS0_4arch9wavefront6targetE0EEEvS12_,comdat
.Lfunc_end1174:
	.size	_ZN7rocprim17ROCPRIM_400000_NS6detail17trampoline_kernelINS0_13select_configILj256ELj13ELNS0_17block_load_methodE3ELS4_3ELS4_3ELNS0_20block_scan_algorithmE0ELj4294967295EEENS1_25partition_config_selectorILNS1_17partition_subalgoE4EjNS0_10empty_typeEbEEZZNS1_14partition_implILS8_4ELb0ES6_15HIP_vector_typeIjLj2EENS0_17counting_iteratorIjlEEPS9_SG_NS0_5tupleIJPjSI_NS0_16reverse_iteratorISI_EEEEENSH_IJSG_SG_SG_EEES9_SI_JZNS1_25segmented_radix_sort_implINS0_14default_configELb0EPKdPdPKlPlN2at6native12_GLOBAL__N_18offset_tEEE10hipError_tPvRmT1_PNSt15iterator_traitsIS12_E10value_typeET2_T3_PNS13_IS18_E10value_typeET4_jRbjT5_S1E_jjP12ihipStream_tbEUljE_ZNSN_ISO_Lb0ESQ_SR_ST_SU_SY_EESZ_S10_S11_S12_S16_S17_S18_S1B_S1C_jS1D_jS1E_S1E_jjS1G_bEUljE0_EEESZ_S10_S11_S18_S1C_S1E_T6_T7_T9_mT8_S1G_bDpT10_ENKUlT_T0_E_clISt17integral_constantIbLb0EES1T_IbLb1EEEEDaS1P_S1Q_EUlS1P_E_NS1_11comp_targetILNS1_3genE5ELNS1_11target_archE942ELNS1_3gpuE9ELNS1_3repE0EEENS1_30default_config_static_selectorELNS0_4arch9wavefront6targetE0EEEvS12_, .Lfunc_end1174-_ZN7rocprim17ROCPRIM_400000_NS6detail17trampoline_kernelINS0_13select_configILj256ELj13ELNS0_17block_load_methodE3ELS4_3ELS4_3ELNS0_20block_scan_algorithmE0ELj4294967295EEENS1_25partition_config_selectorILNS1_17partition_subalgoE4EjNS0_10empty_typeEbEEZZNS1_14partition_implILS8_4ELb0ES6_15HIP_vector_typeIjLj2EENS0_17counting_iteratorIjlEEPS9_SG_NS0_5tupleIJPjSI_NS0_16reverse_iteratorISI_EEEEENSH_IJSG_SG_SG_EEES9_SI_JZNS1_25segmented_radix_sort_implINS0_14default_configELb0EPKdPdPKlPlN2at6native12_GLOBAL__N_18offset_tEEE10hipError_tPvRmT1_PNSt15iterator_traitsIS12_E10value_typeET2_T3_PNS13_IS18_E10value_typeET4_jRbjT5_S1E_jjP12ihipStream_tbEUljE_ZNSN_ISO_Lb0ESQ_SR_ST_SU_SY_EESZ_S10_S11_S12_S16_S17_S18_S1B_S1C_jS1D_jS1E_S1E_jjS1G_bEUljE0_EEESZ_S10_S11_S18_S1C_S1E_T6_T7_T9_mT8_S1G_bDpT10_ENKUlT_T0_E_clISt17integral_constantIbLb0EES1T_IbLb1EEEEDaS1P_S1Q_EUlS1P_E_NS1_11comp_targetILNS1_3genE5ELNS1_11target_archE942ELNS1_3gpuE9ELNS1_3repE0EEENS1_30default_config_static_selectorELNS0_4arch9wavefront6targetE0EEEvS12_
                                        ; -- End function
	.set _ZN7rocprim17ROCPRIM_400000_NS6detail17trampoline_kernelINS0_13select_configILj256ELj13ELNS0_17block_load_methodE3ELS4_3ELS4_3ELNS0_20block_scan_algorithmE0ELj4294967295EEENS1_25partition_config_selectorILNS1_17partition_subalgoE4EjNS0_10empty_typeEbEEZZNS1_14partition_implILS8_4ELb0ES6_15HIP_vector_typeIjLj2EENS0_17counting_iteratorIjlEEPS9_SG_NS0_5tupleIJPjSI_NS0_16reverse_iteratorISI_EEEEENSH_IJSG_SG_SG_EEES9_SI_JZNS1_25segmented_radix_sort_implINS0_14default_configELb0EPKdPdPKlPlN2at6native12_GLOBAL__N_18offset_tEEE10hipError_tPvRmT1_PNSt15iterator_traitsIS12_E10value_typeET2_T3_PNS13_IS18_E10value_typeET4_jRbjT5_S1E_jjP12ihipStream_tbEUljE_ZNSN_ISO_Lb0ESQ_SR_ST_SU_SY_EESZ_S10_S11_S12_S16_S17_S18_S1B_S1C_jS1D_jS1E_S1E_jjS1G_bEUljE0_EEESZ_S10_S11_S18_S1C_S1E_T6_T7_T9_mT8_S1G_bDpT10_ENKUlT_T0_E_clISt17integral_constantIbLb0EES1T_IbLb1EEEEDaS1P_S1Q_EUlS1P_E_NS1_11comp_targetILNS1_3genE5ELNS1_11target_archE942ELNS1_3gpuE9ELNS1_3repE0EEENS1_30default_config_static_selectorELNS0_4arch9wavefront6targetE0EEEvS12_.num_vgpr, 0
	.set _ZN7rocprim17ROCPRIM_400000_NS6detail17trampoline_kernelINS0_13select_configILj256ELj13ELNS0_17block_load_methodE3ELS4_3ELS4_3ELNS0_20block_scan_algorithmE0ELj4294967295EEENS1_25partition_config_selectorILNS1_17partition_subalgoE4EjNS0_10empty_typeEbEEZZNS1_14partition_implILS8_4ELb0ES6_15HIP_vector_typeIjLj2EENS0_17counting_iteratorIjlEEPS9_SG_NS0_5tupleIJPjSI_NS0_16reverse_iteratorISI_EEEEENSH_IJSG_SG_SG_EEES9_SI_JZNS1_25segmented_radix_sort_implINS0_14default_configELb0EPKdPdPKlPlN2at6native12_GLOBAL__N_18offset_tEEE10hipError_tPvRmT1_PNSt15iterator_traitsIS12_E10value_typeET2_T3_PNS13_IS18_E10value_typeET4_jRbjT5_S1E_jjP12ihipStream_tbEUljE_ZNSN_ISO_Lb0ESQ_SR_ST_SU_SY_EESZ_S10_S11_S12_S16_S17_S18_S1B_S1C_jS1D_jS1E_S1E_jjS1G_bEUljE0_EEESZ_S10_S11_S18_S1C_S1E_T6_T7_T9_mT8_S1G_bDpT10_ENKUlT_T0_E_clISt17integral_constantIbLb0EES1T_IbLb1EEEEDaS1P_S1Q_EUlS1P_E_NS1_11comp_targetILNS1_3genE5ELNS1_11target_archE942ELNS1_3gpuE9ELNS1_3repE0EEENS1_30default_config_static_selectorELNS0_4arch9wavefront6targetE0EEEvS12_.num_agpr, 0
	.set _ZN7rocprim17ROCPRIM_400000_NS6detail17trampoline_kernelINS0_13select_configILj256ELj13ELNS0_17block_load_methodE3ELS4_3ELS4_3ELNS0_20block_scan_algorithmE0ELj4294967295EEENS1_25partition_config_selectorILNS1_17partition_subalgoE4EjNS0_10empty_typeEbEEZZNS1_14partition_implILS8_4ELb0ES6_15HIP_vector_typeIjLj2EENS0_17counting_iteratorIjlEEPS9_SG_NS0_5tupleIJPjSI_NS0_16reverse_iteratorISI_EEEEENSH_IJSG_SG_SG_EEES9_SI_JZNS1_25segmented_radix_sort_implINS0_14default_configELb0EPKdPdPKlPlN2at6native12_GLOBAL__N_18offset_tEEE10hipError_tPvRmT1_PNSt15iterator_traitsIS12_E10value_typeET2_T3_PNS13_IS18_E10value_typeET4_jRbjT5_S1E_jjP12ihipStream_tbEUljE_ZNSN_ISO_Lb0ESQ_SR_ST_SU_SY_EESZ_S10_S11_S12_S16_S17_S18_S1B_S1C_jS1D_jS1E_S1E_jjS1G_bEUljE0_EEESZ_S10_S11_S18_S1C_S1E_T6_T7_T9_mT8_S1G_bDpT10_ENKUlT_T0_E_clISt17integral_constantIbLb0EES1T_IbLb1EEEEDaS1P_S1Q_EUlS1P_E_NS1_11comp_targetILNS1_3genE5ELNS1_11target_archE942ELNS1_3gpuE9ELNS1_3repE0EEENS1_30default_config_static_selectorELNS0_4arch9wavefront6targetE0EEEvS12_.numbered_sgpr, 0
	.set _ZN7rocprim17ROCPRIM_400000_NS6detail17trampoline_kernelINS0_13select_configILj256ELj13ELNS0_17block_load_methodE3ELS4_3ELS4_3ELNS0_20block_scan_algorithmE0ELj4294967295EEENS1_25partition_config_selectorILNS1_17partition_subalgoE4EjNS0_10empty_typeEbEEZZNS1_14partition_implILS8_4ELb0ES6_15HIP_vector_typeIjLj2EENS0_17counting_iteratorIjlEEPS9_SG_NS0_5tupleIJPjSI_NS0_16reverse_iteratorISI_EEEEENSH_IJSG_SG_SG_EEES9_SI_JZNS1_25segmented_radix_sort_implINS0_14default_configELb0EPKdPdPKlPlN2at6native12_GLOBAL__N_18offset_tEEE10hipError_tPvRmT1_PNSt15iterator_traitsIS12_E10value_typeET2_T3_PNS13_IS18_E10value_typeET4_jRbjT5_S1E_jjP12ihipStream_tbEUljE_ZNSN_ISO_Lb0ESQ_SR_ST_SU_SY_EESZ_S10_S11_S12_S16_S17_S18_S1B_S1C_jS1D_jS1E_S1E_jjS1G_bEUljE0_EEESZ_S10_S11_S18_S1C_S1E_T6_T7_T9_mT8_S1G_bDpT10_ENKUlT_T0_E_clISt17integral_constantIbLb0EES1T_IbLb1EEEEDaS1P_S1Q_EUlS1P_E_NS1_11comp_targetILNS1_3genE5ELNS1_11target_archE942ELNS1_3gpuE9ELNS1_3repE0EEENS1_30default_config_static_selectorELNS0_4arch9wavefront6targetE0EEEvS12_.num_named_barrier, 0
	.set _ZN7rocprim17ROCPRIM_400000_NS6detail17trampoline_kernelINS0_13select_configILj256ELj13ELNS0_17block_load_methodE3ELS4_3ELS4_3ELNS0_20block_scan_algorithmE0ELj4294967295EEENS1_25partition_config_selectorILNS1_17partition_subalgoE4EjNS0_10empty_typeEbEEZZNS1_14partition_implILS8_4ELb0ES6_15HIP_vector_typeIjLj2EENS0_17counting_iteratorIjlEEPS9_SG_NS0_5tupleIJPjSI_NS0_16reverse_iteratorISI_EEEEENSH_IJSG_SG_SG_EEES9_SI_JZNS1_25segmented_radix_sort_implINS0_14default_configELb0EPKdPdPKlPlN2at6native12_GLOBAL__N_18offset_tEEE10hipError_tPvRmT1_PNSt15iterator_traitsIS12_E10value_typeET2_T3_PNS13_IS18_E10value_typeET4_jRbjT5_S1E_jjP12ihipStream_tbEUljE_ZNSN_ISO_Lb0ESQ_SR_ST_SU_SY_EESZ_S10_S11_S12_S16_S17_S18_S1B_S1C_jS1D_jS1E_S1E_jjS1G_bEUljE0_EEESZ_S10_S11_S18_S1C_S1E_T6_T7_T9_mT8_S1G_bDpT10_ENKUlT_T0_E_clISt17integral_constantIbLb0EES1T_IbLb1EEEEDaS1P_S1Q_EUlS1P_E_NS1_11comp_targetILNS1_3genE5ELNS1_11target_archE942ELNS1_3gpuE9ELNS1_3repE0EEENS1_30default_config_static_selectorELNS0_4arch9wavefront6targetE0EEEvS12_.private_seg_size, 0
	.set _ZN7rocprim17ROCPRIM_400000_NS6detail17trampoline_kernelINS0_13select_configILj256ELj13ELNS0_17block_load_methodE3ELS4_3ELS4_3ELNS0_20block_scan_algorithmE0ELj4294967295EEENS1_25partition_config_selectorILNS1_17partition_subalgoE4EjNS0_10empty_typeEbEEZZNS1_14partition_implILS8_4ELb0ES6_15HIP_vector_typeIjLj2EENS0_17counting_iteratorIjlEEPS9_SG_NS0_5tupleIJPjSI_NS0_16reverse_iteratorISI_EEEEENSH_IJSG_SG_SG_EEES9_SI_JZNS1_25segmented_radix_sort_implINS0_14default_configELb0EPKdPdPKlPlN2at6native12_GLOBAL__N_18offset_tEEE10hipError_tPvRmT1_PNSt15iterator_traitsIS12_E10value_typeET2_T3_PNS13_IS18_E10value_typeET4_jRbjT5_S1E_jjP12ihipStream_tbEUljE_ZNSN_ISO_Lb0ESQ_SR_ST_SU_SY_EESZ_S10_S11_S12_S16_S17_S18_S1B_S1C_jS1D_jS1E_S1E_jjS1G_bEUljE0_EEESZ_S10_S11_S18_S1C_S1E_T6_T7_T9_mT8_S1G_bDpT10_ENKUlT_T0_E_clISt17integral_constantIbLb0EES1T_IbLb1EEEEDaS1P_S1Q_EUlS1P_E_NS1_11comp_targetILNS1_3genE5ELNS1_11target_archE942ELNS1_3gpuE9ELNS1_3repE0EEENS1_30default_config_static_selectorELNS0_4arch9wavefront6targetE0EEEvS12_.uses_vcc, 0
	.set _ZN7rocprim17ROCPRIM_400000_NS6detail17trampoline_kernelINS0_13select_configILj256ELj13ELNS0_17block_load_methodE3ELS4_3ELS4_3ELNS0_20block_scan_algorithmE0ELj4294967295EEENS1_25partition_config_selectorILNS1_17partition_subalgoE4EjNS0_10empty_typeEbEEZZNS1_14partition_implILS8_4ELb0ES6_15HIP_vector_typeIjLj2EENS0_17counting_iteratorIjlEEPS9_SG_NS0_5tupleIJPjSI_NS0_16reverse_iteratorISI_EEEEENSH_IJSG_SG_SG_EEES9_SI_JZNS1_25segmented_radix_sort_implINS0_14default_configELb0EPKdPdPKlPlN2at6native12_GLOBAL__N_18offset_tEEE10hipError_tPvRmT1_PNSt15iterator_traitsIS12_E10value_typeET2_T3_PNS13_IS18_E10value_typeET4_jRbjT5_S1E_jjP12ihipStream_tbEUljE_ZNSN_ISO_Lb0ESQ_SR_ST_SU_SY_EESZ_S10_S11_S12_S16_S17_S18_S1B_S1C_jS1D_jS1E_S1E_jjS1G_bEUljE0_EEESZ_S10_S11_S18_S1C_S1E_T6_T7_T9_mT8_S1G_bDpT10_ENKUlT_T0_E_clISt17integral_constantIbLb0EES1T_IbLb1EEEEDaS1P_S1Q_EUlS1P_E_NS1_11comp_targetILNS1_3genE5ELNS1_11target_archE942ELNS1_3gpuE9ELNS1_3repE0EEENS1_30default_config_static_selectorELNS0_4arch9wavefront6targetE0EEEvS12_.uses_flat_scratch, 0
	.set _ZN7rocprim17ROCPRIM_400000_NS6detail17trampoline_kernelINS0_13select_configILj256ELj13ELNS0_17block_load_methodE3ELS4_3ELS4_3ELNS0_20block_scan_algorithmE0ELj4294967295EEENS1_25partition_config_selectorILNS1_17partition_subalgoE4EjNS0_10empty_typeEbEEZZNS1_14partition_implILS8_4ELb0ES6_15HIP_vector_typeIjLj2EENS0_17counting_iteratorIjlEEPS9_SG_NS0_5tupleIJPjSI_NS0_16reverse_iteratorISI_EEEEENSH_IJSG_SG_SG_EEES9_SI_JZNS1_25segmented_radix_sort_implINS0_14default_configELb0EPKdPdPKlPlN2at6native12_GLOBAL__N_18offset_tEEE10hipError_tPvRmT1_PNSt15iterator_traitsIS12_E10value_typeET2_T3_PNS13_IS18_E10value_typeET4_jRbjT5_S1E_jjP12ihipStream_tbEUljE_ZNSN_ISO_Lb0ESQ_SR_ST_SU_SY_EESZ_S10_S11_S12_S16_S17_S18_S1B_S1C_jS1D_jS1E_S1E_jjS1G_bEUljE0_EEESZ_S10_S11_S18_S1C_S1E_T6_T7_T9_mT8_S1G_bDpT10_ENKUlT_T0_E_clISt17integral_constantIbLb0EES1T_IbLb1EEEEDaS1P_S1Q_EUlS1P_E_NS1_11comp_targetILNS1_3genE5ELNS1_11target_archE942ELNS1_3gpuE9ELNS1_3repE0EEENS1_30default_config_static_selectorELNS0_4arch9wavefront6targetE0EEEvS12_.has_dyn_sized_stack, 0
	.set _ZN7rocprim17ROCPRIM_400000_NS6detail17trampoline_kernelINS0_13select_configILj256ELj13ELNS0_17block_load_methodE3ELS4_3ELS4_3ELNS0_20block_scan_algorithmE0ELj4294967295EEENS1_25partition_config_selectorILNS1_17partition_subalgoE4EjNS0_10empty_typeEbEEZZNS1_14partition_implILS8_4ELb0ES6_15HIP_vector_typeIjLj2EENS0_17counting_iteratorIjlEEPS9_SG_NS0_5tupleIJPjSI_NS0_16reverse_iteratorISI_EEEEENSH_IJSG_SG_SG_EEES9_SI_JZNS1_25segmented_radix_sort_implINS0_14default_configELb0EPKdPdPKlPlN2at6native12_GLOBAL__N_18offset_tEEE10hipError_tPvRmT1_PNSt15iterator_traitsIS12_E10value_typeET2_T3_PNS13_IS18_E10value_typeET4_jRbjT5_S1E_jjP12ihipStream_tbEUljE_ZNSN_ISO_Lb0ESQ_SR_ST_SU_SY_EESZ_S10_S11_S12_S16_S17_S18_S1B_S1C_jS1D_jS1E_S1E_jjS1G_bEUljE0_EEESZ_S10_S11_S18_S1C_S1E_T6_T7_T9_mT8_S1G_bDpT10_ENKUlT_T0_E_clISt17integral_constantIbLb0EES1T_IbLb1EEEEDaS1P_S1Q_EUlS1P_E_NS1_11comp_targetILNS1_3genE5ELNS1_11target_archE942ELNS1_3gpuE9ELNS1_3repE0EEENS1_30default_config_static_selectorELNS0_4arch9wavefront6targetE0EEEvS12_.has_recursion, 0
	.set _ZN7rocprim17ROCPRIM_400000_NS6detail17trampoline_kernelINS0_13select_configILj256ELj13ELNS0_17block_load_methodE3ELS4_3ELS4_3ELNS0_20block_scan_algorithmE0ELj4294967295EEENS1_25partition_config_selectorILNS1_17partition_subalgoE4EjNS0_10empty_typeEbEEZZNS1_14partition_implILS8_4ELb0ES6_15HIP_vector_typeIjLj2EENS0_17counting_iteratorIjlEEPS9_SG_NS0_5tupleIJPjSI_NS0_16reverse_iteratorISI_EEEEENSH_IJSG_SG_SG_EEES9_SI_JZNS1_25segmented_radix_sort_implINS0_14default_configELb0EPKdPdPKlPlN2at6native12_GLOBAL__N_18offset_tEEE10hipError_tPvRmT1_PNSt15iterator_traitsIS12_E10value_typeET2_T3_PNS13_IS18_E10value_typeET4_jRbjT5_S1E_jjP12ihipStream_tbEUljE_ZNSN_ISO_Lb0ESQ_SR_ST_SU_SY_EESZ_S10_S11_S12_S16_S17_S18_S1B_S1C_jS1D_jS1E_S1E_jjS1G_bEUljE0_EEESZ_S10_S11_S18_S1C_S1E_T6_T7_T9_mT8_S1G_bDpT10_ENKUlT_T0_E_clISt17integral_constantIbLb0EES1T_IbLb1EEEEDaS1P_S1Q_EUlS1P_E_NS1_11comp_targetILNS1_3genE5ELNS1_11target_archE942ELNS1_3gpuE9ELNS1_3repE0EEENS1_30default_config_static_selectorELNS0_4arch9wavefront6targetE0EEEvS12_.has_indirect_call, 0
	.section	.AMDGPU.csdata,"",@progbits
; Kernel info:
; codeLenInByte = 0
; TotalNumSgprs: 0
; NumVgprs: 0
; ScratchSize: 0
; MemoryBound: 0
; FloatMode: 240
; IeeeMode: 1
; LDSByteSize: 0 bytes/workgroup (compile time only)
; SGPRBlocks: 0
; VGPRBlocks: 0
; NumSGPRsForWavesPerEU: 1
; NumVGPRsForWavesPerEU: 1
; Occupancy: 16
; WaveLimiterHint : 0
; COMPUTE_PGM_RSRC2:SCRATCH_EN: 0
; COMPUTE_PGM_RSRC2:USER_SGPR: 6
; COMPUTE_PGM_RSRC2:TRAP_HANDLER: 0
; COMPUTE_PGM_RSRC2:TGID_X_EN: 1
; COMPUTE_PGM_RSRC2:TGID_Y_EN: 0
; COMPUTE_PGM_RSRC2:TGID_Z_EN: 0
; COMPUTE_PGM_RSRC2:TIDIG_COMP_CNT: 0
	.section	.text._ZN7rocprim17ROCPRIM_400000_NS6detail17trampoline_kernelINS0_13select_configILj256ELj13ELNS0_17block_load_methodE3ELS4_3ELS4_3ELNS0_20block_scan_algorithmE0ELj4294967295EEENS1_25partition_config_selectorILNS1_17partition_subalgoE4EjNS0_10empty_typeEbEEZZNS1_14partition_implILS8_4ELb0ES6_15HIP_vector_typeIjLj2EENS0_17counting_iteratorIjlEEPS9_SG_NS0_5tupleIJPjSI_NS0_16reverse_iteratorISI_EEEEENSH_IJSG_SG_SG_EEES9_SI_JZNS1_25segmented_radix_sort_implINS0_14default_configELb0EPKdPdPKlPlN2at6native12_GLOBAL__N_18offset_tEEE10hipError_tPvRmT1_PNSt15iterator_traitsIS12_E10value_typeET2_T3_PNS13_IS18_E10value_typeET4_jRbjT5_S1E_jjP12ihipStream_tbEUljE_ZNSN_ISO_Lb0ESQ_SR_ST_SU_SY_EESZ_S10_S11_S12_S16_S17_S18_S1B_S1C_jS1D_jS1E_S1E_jjS1G_bEUljE0_EEESZ_S10_S11_S18_S1C_S1E_T6_T7_T9_mT8_S1G_bDpT10_ENKUlT_T0_E_clISt17integral_constantIbLb0EES1T_IbLb1EEEEDaS1P_S1Q_EUlS1P_E_NS1_11comp_targetILNS1_3genE4ELNS1_11target_archE910ELNS1_3gpuE8ELNS1_3repE0EEENS1_30default_config_static_selectorELNS0_4arch9wavefront6targetE0EEEvS12_,"axG",@progbits,_ZN7rocprim17ROCPRIM_400000_NS6detail17trampoline_kernelINS0_13select_configILj256ELj13ELNS0_17block_load_methodE3ELS4_3ELS4_3ELNS0_20block_scan_algorithmE0ELj4294967295EEENS1_25partition_config_selectorILNS1_17partition_subalgoE4EjNS0_10empty_typeEbEEZZNS1_14partition_implILS8_4ELb0ES6_15HIP_vector_typeIjLj2EENS0_17counting_iteratorIjlEEPS9_SG_NS0_5tupleIJPjSI_NS0_16reverse_iteratorISI_EEEEENSH_IJSG_SG_SG_EEES9_SI_JZNS1_25segmented_radix_sort_implINS0_14default_configELb0EPKdPdPKlPlN2at6native12_GLOBAL__N_18offset_tEEE10hipError_tPvRmT1_PNSt15iterator_traitsIS12_E10value_typeET2_T3_PNS13_IS18_E10value_typeET4_jRbjT5_S1E_jjP12ihipStream_tbEUljE_ZNSN_ISO_Lb0ESQ_SR_ST_SU_SY_EESZ_S10_S11_S12_S16_S17_S18_S1B_S1C_jS1D_jS1E_S1E_jjS1G_bEUljE0_EEESZ_S10_S11_S18_S1C_S1E_T6_T7_T9_mT8_S1G_bDpT10_ENKUlT_T0_E_clISt17integral_constantIbLb0EES1T_IbLb1EEEEDaS1P_S1Q_EUlS1P_E_NS1_11comp_targetILNS1_3genE4ELNS1_11target_archE910ELNS1_3gpuE8ELNS1_3repE0EEENS1_30default_config_static_selectorELNS0_4arch9wavefront6targetE0EEEvS12_,comdat
	.globl	_ZN7rocprim17ROCPRIM_400000_NS6detail17trampoline_kernelINS0_13select_configILj256ELj13ELNS0_17block_load_methodE3ELS4_3ELS4_3ELNS0_20block_scan_algorithmE0ELj4294967295EEENS1_25partition_config_selectorILNS1_17partition_subalgoE4EjNS0_10empty_typeEbEEZZNS1_14partition_implILS8_4ELb0ES6_15HIP_vector_typeIjLj2EENS0_17counting_iteratorIjlEEPS9_SG_NS0_5tupleIJPjSI_NS0_16reverse_iteratorISI_EEEEENSH_IJSG_SG_SG_EEES9_SI_JZNS1_25segmented_radix_sort_implINS0_14default_configELb0EPKdPdPKlPlN2at6native12_GLOBAL__N_18offset_tEEE10hipError_tPvRmT1_PNSt15iterator_traitsIS12_E10value_typeET2_T3_PNS13_IS18_E10value_typeET4_jRbjT5_S1E_jjP12ihipStream_tbEUljE_ZNSN_ISO_Lb0ESQ_SR_ST_SU_SY_EESZ_S10_S11_S12_S16_S17_S18_S1B_S1C_jS1D_jS1E_S1E_jjS1G_bEUljE0_EEESZ_S10_S11_S18_S1C_S1E_T6_T7_T9_mT8_S1G_bDpT10_ENKUlT_T0_E_clISt17integral_constantIbLb0EES1T_IbLb1EEEEDaS1P_S1Q_EUlS1P_E_NS1_11comp_targetILNS1_3genE4ELNS1_11target_archE910ELNS1_3gpuE8ELNS1_3repE0EEENS1_30default_config_static_selectorELNS0_4arch9wavefront6targetE0EEEvS12_ ; -- Begin function _ZN7rocprim17ROCPRIM_400000_NS6detail17trampoline_kernelINS0_13select_configILj256ELj13ELNS0_17block_load_methodE3ELS4_3ELS4_3ELNS0_20block_scan_algorithmE0ELj4294967295EEENS1_25partition_config_selectorILNS1_17partition_subalgoE4EjNS0_10empty_typeEbEEZZNS1_14partition_implILS8_4ELb0ES6_15HIP_vector_typeIjLj2EENS0_17counting_iteratorIjlEEPS9_SG_NS0_5tupleIJPjSI_NS0_16reverse_iteratorISI_EEEEENSH_IJSG_SG_SG_EEES9_SI_JZNS1_25segmented_radix_sort_implINS0_14default_configELb0EPKdPdPKlPlN2at6native12_GLOBAL__N_18offset_tEEE10hipError_tPvRmT1_PNSt15iterator_traitsIS12_E10value_typeET2_T3_PNS13_IS18_E10value_typeET4_jRbjT5_S1E_jjP12ihipStream_tbEUljE_ZNSN_ISO_Lb0ESQ_SR_ST_SU_SY_EESZ_S10_S11_S12_S16_S17_S18_S1B_S1C_jS1D_jS1E_S1E_jjS1G_bEUljE0_EEESZ_S10_S11_S18_S1C_S1E_T6_T7_T9_mT8_S1G_bDpT10_ENKUlT_T0_E_clISt17integral_constantIbLb0EES1T_IbLb1EEEEDaS1P_S1Q_EUlS1P_E_NS1_11comp_targetILNS1_3genE4ELNS1_11target_archE910ELNS1_3gpuE8ELNS1_3repE0EEENS1_30default_config_static_selectorELNS0_4arch9wavefront6targetE0EEEvS12_
	.p2align	8
	.type	_ZN7rocprim17ROCPRIM_400000_NS6detail17trampoline_kernelINS0_13select_configILj256ELj13ELNS0_17block_load_methodE3ELS4_3ELS4_3ELNS0_20block_scan_algorithmE0ELj4294967295EEENS1_25partition_config_selectorILNS1_17partition_subalgoE4EjNS0_10empty_typeEbEEZZNS1_14partition_implILS8_4ELb0ES6_15HIP_vector_typeIjLj2EENS0_17counting_iteratorIjlEEPS9_SG_NS0_5tupleIJPjSI_NS0_16reverse_iteratorISI_EEEEENSH_IJSG_SG_SG_EEES9_SI_JZNS1_25segmented_radix_sort_implINS0_14default_configELb0EPKdPdPKlPlN2at6native12_GLOBAL__N_18offset_tEEE10hipError_tPvRmT1_PNSt15iterator_traitsIS12_E10value_typeET2_T3_PNS13_IS18_E10value_typeET4_jRbjT5_S1E_jjP12ihipStream_tbEUljE_ZNSN_ISO_Lb0ESQ_SR_ST_SU_SY_EESZ_S10_S11_S12_S16_S17_S18_S1B_S1C_jS1D_jS1E_S1E_jjS1G_bEUljE0_EEESZ_S10_S11_S18_S1C_S1E_T6_T7_T9_mT8_S1G_bDpT10_ENKUlT_T0_E_clISt17integral_constantIbLb0EES1T_IbLb1EEEEDaS1P_S1Q_EUlS1P_E_NS1_11comp_targetILNS1_3genE4ELNS1_11target_archE910ELNS1_3gpuE8ELNS1_3repE0EEENS1_30default_config_static_selectorELNS0_4arch9wavefront6targetE0EEEvS12_,@function
_ZN7rocprim17ROCPRIM_400000_NS6detail17trampoline_kernelINS0_13select_configILj256ELj13ELNS0_17block_load_methodE3ELS4_3ELS4_3ELNS0_20block_scan_algorithmE0ELj4294967295EEENS1_25partition_config_selectorILNS1_17partition_subalgoE4EjNS0_10empty_typeEbEEZZNS1_14partition_implILS8_4ELb0ES6_15HIP_vector_typeIjLj2EENS0_17counting_iteratorIjlEEPS9_SG_NS0_5tupleIJPjSI_NS0_16reverse_iteratorISI_EEEEENSH_IJSG_SG_SG_EEES9_SI_JZNS1_25segmented_radix_sort_implINS0_14default_configELb0EPKdPdPKlPlN2at6native12_GLOBAL__N_18offset_tEEE10hipError_tPvRmT1_PNSt15iterator_traitsIS12_E10value_typeET2_T3_PNS13_IS18_E10value_typeET4_jRbjT5_S1E_jjP12ihipStream_tbEUljE_ZNSN_ISO_Lb0ESQ_SR_ST_SU_SY_EESZ_S10_S11_S12_S16_S17_S18_S1B_S1C_jS1D_jS1E_S1E_jjS1G_bEUljE0_EEESZ_S10_S11_S18_S1C_S1E_T6_T7_T9_mT8_S1G_bDpT10_ENKUlT_T0_E_clISt17integral_constantIbLb0EES1T_IbLb1EEEEDaS1P_S1Q_EUlS1P_E_NS1_11comp_targetILNS1_3genE4ELNS1_11target_archE910ELNS1_3gpuE8ELNS1_3repE0EEENS1_30default_config_static_selectorELNS0_4arch9wavefront6targetE0EEEvS12_: ; @_ZN7rocprim17ROCPRIM_400000_NS6detail17trampoline_kernelINS0_13select_configILj256ELj13ELNS0_17block_load_methodE3ELS4_3ELS4_3ELNS0_20block_scan_algorithmE0ELj4294967295EEENS1_25partition_config_selectorILNS1_17partition_subalgoE4EjNS0_10empty_typeEbEEZZNS1_14partition_implILS8_4ELb0ES6_15HIP_vector_typeIjLj2EENS0_17counting_iteratorIjlEEPS9_SG_NS0_5tupleIJPjSI_NS0_16reverse_iteratorISI_EEEEENSH_IJSG_SG_SG_EEES9_SI_JZNS1_25segmented_radix_sort_implINS0_14default_configELb0EPKdPdPKlPlN2at6native12_GLOBAL__N_18offset_tEEE10hipError_tPvRmT1_PNSt15iterator_traitsIS12_E10value_typeET2_T3_PNS13_IS18_E10value_typeET4_jRbjT5_S1E_jjP12ihipStream_tbEUljE_ZNSN_ISO_Lb0ESQ_SR_ST_SU_SY_EESZ_S10_S11_S12_S16_S17_S18_S1B_S1C_jS1D_jS1E_S1E_jjS1G_bEUljE0_EEESZ_S10_S11_S18_S1C_S1E_T6_T7_T9_mT8_S1G_bDpT10_ENKUlT_T0_E_clISt17integral_constantIbLb0EES1T_IbLb1EEEEDaS1P_S1Q_EUlS1P_E_NS1_11comp_targetILNS1_3genE4ELNS1_11target_archE910ELNS1_3gpuE8ELNS1_3repE0EEENS1_30default_config_static_selectorELNS0_4arch9wavefront6targetE0EEEvS12_
; %bb.0:
	.section	.rodata,"a",@progbits
	.p2align	6, 0x0
	.amdhsa_kernel _ZN7rocprim17ROCPRIM_400000_NS6detail17trampoline_kernelINS0_13select_configILj256ELj13ELNS0_17block_load_methodE3ELS4_3ELS4_3ELNS0_20block_scan_algorithmE0ELj4294967295EEENS1_25partition_config_selectorILNS1_17partition_subalgoE4EjNS0_10empty_typeEbEEZZNS1_14partition_implILS8_4ELb0ES6_15HIP_vector_typeIjLj2EENS0_17counting_iteratorIjlEEPS9_SG_NS0_5tupleIJPjSI_NS0_16reverse_iteratorISI_EEEEENSH_IJSG_SG_SG_EEES9_SI_JZNS1_25segmented_radix_sort_implINS0_14default_configELb0EPKdPdPKlPlN2at6native12_GLOBAL__N_18offset_tEEE10hipError_tPvRmT1_PNSt15iterator_traitsIS12_E10value_typeET2_T3_PNS13_IS18_E10value_typeET4_jRbjT5_S1E_jjP12ihipStream_tbEUljE_ZNSN_ISO_Lb0ESQ_SR_ST_SU_SY_EESZ_S10_S11_S12_S16_S17_S18_S1B_S1C_jS1D_jS1E_S1E_jjS1G_bEUljE0_EEESZ_S10_S11_S18_S1C_S1E_T6_T7_T9_mT8_S1G_bDpT10_ENKUlT_T0_E_clISt17integral_constantIbLb0EES1T_IbLb1EEEEDaS1P_S1Q_EUlS1P_E_NS1_11comp_targetILNS1_3genE4ELNS1_11target_archE910ELNS1_3gpuE8ELNS1_3repE0EEENS1_30default_config_static_selectorELNS0_4arch9wavefront6targetE0EEEvS12_
		.amdhsa_group_segment_fixed_size 0
		.amdhsa_private_segment_fixed_size 0
		.amdhsa_kernarg_size 184
		.amdhsa_user_sgpr_count 6
		.amdhsa_user_sgpr_private_segment_buffer 1
		.amdhsa_user_sgpr_dispatch_ptr 0
		.amdhsa_user_sgpr_queue_ptr 0
		.amdhsa_user_sgpr_kernarg_segment_ptr 1
		.amdhsa_user_sgpr_dispatch_id 0
		.amdhsa_user_sgpr_flat_scratch_init 0
		.amdhsa_user_sgpr_private_segment_size 0
		.amdhsa_wavefront_size32 1
		.amdhsa_uses_dynamic_stack 0
		.amdhsa_system_sgpr_private_segment_wavefront_offset 0
		.amdhsa_system_sgpr_workgroup_id_x 1
		.amdhsa_system_sgpr_workgroup_id_y 0
		.amdhsa_system_sgpr_workgroup_id_z 0
		.amdhsa_system_sgpr_workgroup_info 0
		.amdhsa_system_vgpr_workitem_id 0
		.amdhsa_next_free_vgpr 1
		.amdhsa_next_free_sgpr 1
		.amdhsa_reserve_vcc 0
		.amdhsa_reserve_flat_scratch 0
		.amdhsa_float_round_mode_32 0
		.amdhsa_float_round_mode_16_64 0
		.amdhsa_float_denorm_mode_32 3
		.amdhsa_float_denorm_mode_16_64 3
		.amdhsa_dx10_clamp 1
		.amdhsa_ieee_mode 1
		.amdhsa_fp16_overflow 0
		.amdhsa_workgroup_processor_mode 1
		.amdhsa_memory_ordered 1
		.amdhsa_forward_progress 1
		.amdhsa_shared_vgpr_count 0
		.amdhsa_exception_fp_ieee_invalid_op 0
		.amdhsa_exception_fp_denorm_src 0
		.amdhsa_exception_fp_ieee_div_zero 0
		.amdhsa_exception_fp_ieee_overflow 0
		.amdhsa_exception_fp_ieee_underflow 0
		.amdhsa_exception_fp_ieee_inexact 0
		.amdhsa_exception_int_div_zero 0
	.end_amdhsa_kernel
	.section	.text._ZN7rocprim17ROCPRIM_400000_NS6detail17trampoline_kernelINS0_13select_configILj256ELj13ELNS0_17block_load_methodE3ELS4_3ELS4_3ELNS0_20block_scan_algorithmE0ELj4294967295EEENS1_25partition_config_selectorILNS1_17partition_subalgoE4EjNS0_10empty_typeEbEEZZNS1_14partition_implILS8_4ELb0ES6_15HIP_vector_typeIjLj2EENS0_17counting_iteratorIjlEEPS9_SG_NS0_5tupleIJPjSI_NS0_16reverse_iteratorISI_EEEEENSH_IJSG_SG_SG_EEES9_SI_JZNS1_25segmented_radix_sort_implINS0_14default_configELb0EPKdPdPKlPlN2at6native12_GLOBAL__N_18offset_tEEE10hipError_tPvRmT1_PNSt15iterator_traitsIS12_E10value_typeET2_T3_PNS13_IS18_E10value_typeET4_jRbjT5_S1E_jjP12ihipStream_tbEUljE_ZNSN_ISO_Lb0ESQ_SR_ST_SU_SY_EESZ_S10_S11_S12_S16_S17_S18_S1B_S1C_jS1D_jS1E_S1E_jjS1G_bEUljE0_EEESZ_S10_S11_S18_S1C_S1E_T6_T7_T9_mT8_S1G_bDpT10_ENKUlT_T0_E_clISt17integral_constantIbLb0EES1T_IbLb1EEEEDaS1P_S1Q_EUlS1P_E_NS1_11comp_targetILNS1_3genE4ELNS1_11target_archE910ELNS1_3gpuE8ELNS1_3repE0EEENS1_30default_config_static_selectorELNS0_4arch9wavefront6targetE0EEEvS12_,"axG",@progbits,_ZN7rocprim17ROCPRIM_400000_NS6detail17trampoline_kernelINS0_13select_configILj256ELj13ELNS0_17block_load_methodE3ELS4_3ELS4_3ELNS0_20block_scan_algorithmE0ELj4294967295EEENS1_25partition_config_selectorILNS1_17partition_subalgoE4EjNS0_10empty_typeEbEEZZNS1_14partition_implILS8_4ELb0ES6_15HIP_vector_typeIjLj2EENS0_17counting_iteratorIjlEEPS9_SG_NS0_5tupleIJPjSI_NS0_16reverse_iteratorISI_EEEEENSH_IJSG_SG_SG_EEES9_SI_JZNS1_25segmented_radix_sort_implINS0_14default_configELb0EPKdPdPKlPlN2at6native12_GLOBAL__N_18offset_tEEE10hipError_tPvRmT1_PNSt15iterator_traitsIS12_E10value_typeET2_T3_PNS13_IS18_E10value_typeET4_jRbjT5_S1E_jjP12ihipStream_tbEUljE_ZNSN_ISO_Lb0ESQ_SR_ST_SU_SY_EESZ_S10_S11_S12_S16_S17_S18_S1B_S1C_jS1D_jS1E_S1E_jjS1G_bEUljE0_EEESZ_S10_S11_S18_S1C_S1E_T6_T7_T9_mT8_S1G_bDpT10_ENKUlT_T0_E_clISt17integral_constantIbLb0EES1T_IbLb1EEEEDaS1P_S1Q_EUlS1P_E_NS1_11comp_targetILNS1_3genE4ELNS1_11target_archE910ELNS1_3gpuE8ELNS1_3repE0EEENS1_30default_config_static_selectorELNS0_4arch9wavefront6targetE0EEEvS12_,comdat
.Lfunc_end1175:
	.size	_ZN7rocprim17ROCPRIM_400000_NS6detail17trampoline_kernelINS0_13select_configILj256ELj13ELNS0_17block_load_methodE3ELS4_3ELS4_3ELNS0_20block_scan_algorithmE0ELj4294967295EEENS1_25partition_config_selectorILNS1_17partition_subalgoE4EjNS0_10empty_typeEbEEZZNS1_14partition_implILS8_4ELb0ES6_15HIP_vector_typeIjLj2EENS0_17counting_iteratorIjlEEPS9_SG_NS0_5tupleIJPjSI_NS0_16reverse_iteratorISI_EEEEENSH_IJSG_SG_SG_EEES9_SI_JZNS1_25segmented_radix_sort_implINS0_14default_configELb0EPKdPdPKlPlN2at6native12_GLOBAL__N_18offset_tEEE10hipError_tPvRmT1_PNSt15iterator_traitsIS12_E10value_typeET2_T3_PNS13_IS18_E10value_typeET4_jRbjT5_S1E_jjP12ihipStream_tbEUljE_ZNSN_ISO_Lb0ESQ_SR_ST_SU_SY_EESZ_S10_S11_S12_S16_S17_S18_S1B_S1C_jS1D_jS1E_S1E_jjS1G_bEUljE0_EEESZ_S10_S11_S18_S1C_S1E_T6_T7_T9_mT8_S1G_bDpT10_ENKUlT_T0_E_clISt17integral_constantIbLb0EES1T_IbLb1EEEEDaS1P_S1Q_EUlS1P_E_NS1_11comp_targetILNS1_3genE4ELNS1_11target_archE910ELNS1_3gpuE8ELNS1_3repE0EEENS1_30default_config_static_selectorELNS0_4arch9wavefront6targetE0EEEvS12_, .Lfunc_end1175-_ZN7rocprim17ROCPRIM_400000_NS6detail17trampoline_kernelINS0_13select_configILj256ELj13ELNS0_17block_load_methodE3ELS4_3ELS4_3ELNS0_20block_scan_algorithmE0ELj4294967295EEENS1_25partition_config_selectorILNS1_17partition_subalgoE4EjNS0_10empty_typeEbEEZZNS1_14partition_implILS8_4ELb0ES6_15HIP_vector_typeIjLj2EENS0_17counting_iteratorIjlEEPS9_SG_NS0_5tupleIJPjSI_NS0_16reverse_iteratorISI_EEEEENSH_IJSG_SG_SG_EEES9_SI_JZNS1_25segmented_radix_sort_implINS0_14default_configELb0EPKdPdPKlPlN2at6native12_GLOBAL__N_18offset_tEEE10hipError_tPvRmT1_PNSt15iterator_traitsIS12_E10value_typeET2_T3_PNS13_IS18_E10value_typeET4_jRbjT5_S1E_jjP12ihipStream_tbEUljE_ZNSN_ISO_Lb0ESQ_SR_ST_SU_SY_EESZ_S10_S11_S12_S16_S17_S18_S1B_S1C_jS1D_jS1E_S1E_jjS1G_bEUljE0_EEESZ_S10_S11_S18_S1C_S1E_T6_T7_T9_mT8_S1G_bDpT10_ENKUlT_T0_E_clISt17integral_constantIbLb0EES1T_IbLb1EEEEDaS1P_S1Q_EUlS1P_E_NS1_11comp_targetILNS1_3genE4ELNS1_11target_archE910ELNS1_3gpuE8ELNS1_3repE0EEENS1_30default_config_static_selectorELNS0_4arch9wavefront6targetE0EEEvS12_
                                        ; -- End function
	.set _ZN7rocprim17ROCPRIM_400000_NS6detail17trampoline_kernelINS0_13select_configILj256ELj13ELNS0_17block_load_methodE3ELS4_3ELS4_3ELNS0_20block_scan_algorithmE0ELj4294967295EEENS1_25partition_config_selectorILNS1_17partition_subalgoE4EjNS0_10empty_typeEbEEZZNS1_14partition_implILS8_4ELb0ES6_15HIP_vector_typeIjLj2EENS0_17counting_iteratorIjlEEPS9_SG_NS0_5tupleIJPjSI_NS0_16reverse_iteratorISI_EEEEENSH_IJSG_SG_SG_EEES9_SI_JZNS1_25segmented_radix_sort_implINS0_14default_configELb0EPKdPdPKlPlN2at6native12_GLOBAL__N_18offset_tEEE10hipError_tPvRmT1_PNSt15iterator_traitsIS12_E10value_typeET2_T3_PNS13_IS18_E10value_typeET4_jRbjT5_S1E_jjP12ihipStream_tbEUljE_ZNSN_ISO_Lb0ESQ_SR_ST_SU_SY_EESZ_S10_S11_S12_S16_S17_S18_S1B_S1C_jS1D_jS1E_S1E_jjS1G_bEUljE0_EEESZ_S10_S11_S18_S1C_S1E_T6_T7_T9_mT8_S1G_bDpT10_ENKUlT_T0_E_clISt17integral_constantIbLb0EES1T_IbLb1EEEEDaS1P_S1Q_EUlS1P_E_NS1_11comp_targetILNS1_3genE4ELNS1_11target_archE910ELNS1_3gpuE8ELNS1_3repE0EEENS1_30default_config_static_selectorELNS0_4arch9wavefront6targetE0EEEvS12_.num_vgpr, 0
	.set _ZN7rocprim17ROCPRIM_400000_NS6detail17trampoline_kernelINS0_13select_configILj256ELj13ELNS0_17block_load_methodE3ELS4_3ELS4_3ELNS0_20block_scan_algorithmE0ELj4294967295EEENS1_25partition_config_selectorILNS1_17partition_subalgoE4EjNS0_10empty_typeEbEEZZNS1_14partition_implILS8_4ELb0ES6_15HIP_vector_typeIjLj2EENS0_17counting_iteratorIjlEEPS9_SG_NS0_5tupleIJPjSI_NS0_16reverse_iteratorISI_EEEEENSH_IJSG_SG_SG_EEES9_SI_JZNS1_25segmented_radix_sort_implINS0_14default_configELb0EPKdPdPKlPlN2at6native12_GLOBAL__N_18offset_tEEE10hipError_tPvRmT1_PNSt15iterator_traitsIS12_E10value_typeET2_T3_PNS13_IS18_E10value_typeET4_jRbjT5_S1E_jjP12ihipStream_tbEUljE_ZNSN_ISO_Lb0ESQ_SR_ST_SU_SY_EESZ_S10_S11_S12_S16_S17_S18_S1B_S1C_jS1D_jS1E_S1E_jjS1G_bEUljE0_EEESZ_S10_S11_S18_S1C_S1E_T6_T7_T9_mT8_S1G_bDpT10_ENKUlT_T0_E_clISt17integral_constantIbLb0EES1T_IbLb1EEEEDaS1P_S1Q_EUlS1P_E_NS1_11comp_targetILNS1_3genE4ELNS1_11target_archE910ELNS1_3gpuE8ELNS1_3repE0EEENS1_30default_config_static_selectorELNS0_4arch9wavefront6targetE0EEEvS12_.num_agpr, 0
	.set _ZN7rocprim17ROCPRIM_400000_NS6detail17trampoline_kernelINS0_13select_configILj256ELj13ELNS0_17block_load_methodE3ELS4_3ELS4_3ELNS0_20block_scan_algorithmE0ELj4294967295EEENS1_25partition_config_selectorILNS1_17partition_subalgoE4EjNS0_10empty_typeEbEEZZNS1_14partition_implILS8_4ELb0ES6_15HIP_vector_typeIjLj2EENS0_17counting_iteratorIjlEEPS9_SG_NS0_5tupleIJPjSI_NS0_16reverse_iteratorISI_EEEEENSH_IJSG_SG_SG_EEES9_SI_JZNS1_25segmented_radix_sort_implINS0_14default_configELb0EPKdPdPKlPlN2at6native12_GLOBAL__N_18offset_tEEE10hipError_tPvRmT1_PNSt15iterator_traitsIS12_E10value_typeET2_T3_PNS13_IS18_E10value_typeET4_jRbjT5_S1E_jjP12ihipStream_tbEUljE_ZNSN_ISO_Lb0ESQ_SR_ST_SU_SY_EESZ_S10_S11_S12_S16_S17_S18_S1B_S1C_jS1D_jS1E_S1E_jjS1G_bEUljE0_EEESZ_S10_S11_S18_S1C_S1E_T6_T7_T9_mT8_S1G_bDpT10_ENKUlT_T0_E_clISt17integral_constantIbLb0EES1T_IbLb1EEEEDaS1P_S1Q_EUlS1P_E_NS1_11comp_targetILNS1_3genE4ELNS1_11target_archE910ELNS1_3gpuE8ELNS1_3repE0EEENS1_30default_config_static_selectorELNS0_4arch9wavefront6targetE0EEEvS12_.numbered_sgpr, 0
	.set _ZN7rocprim17ROCPRIM_400000_NS6detail17trampoline_kernelINS0_13select_configILj256ELj13ELNS0_17block_load_methodE3ELS4_3ELS4_3ELNS0_20block_scan_algorithmE0ELj4294967295EEENS1_25partition_config_selectorILNS1_17partition_subalgoE4EjNS0_10empty_typeEbEEZZNS1_14partition_implILS8_4ELb0ES6_15HIP_vector_typeIjLj2EENS0_17counting_iteratorIjlEEPS9_SG_NS0_5tupleIJPjSI_NS0_16reverse_iteratorISI_EEEEENSH_IJSG_SG_SG_EEES9_SI_JZNS1_25segmented_radix_sort_implINS0_14default_configELb0EPKdPdPKlPlN2at6native12_GLOBAL__N_18offset_tEEE10hipError_tPvRmT1_PNSt15iterator_traitsIS12_E10value_typeET2_T3_PNS13_IS18_E10value_typeET4_jRbjT5_S1E_jjP12ihipStream_tbEUljE_ZNSN_ISO_Lb0ESQ_SR_ST_SU_SY_EESZ_S10_S11_S12_S16_S17_S18_S1B_S1C_jS1D_jS1E_S1E_jjS1G_bEUljE0_EEESZ_S10_S11_S18_S1C_S1E_T6_T7_T9_mT8_S1G_bDpT10_ENKUlT_T0_E_clISt17integral_constantIbLb0EES1T_IbLb1EEEEDaS1P_S1Q_EUlS1P_E_NS1_11comp_targetILNS1_3genE4ELNS1_11target_archE910ELNS1_3gpuE8ELNS1_3repE0EEENS1_30default_config_static_selectorELNS0_4arch9wavefront6targetE0EEEvS12_.num_named_barrier, 0
	.set _ZN7rocprim17ROCPRIM_400000_NS6detail17trampoline_kernelINS0_13select_configILj256ELj13ELNS0_17block_load_methodE3ELS4_3ELS4_3ELNS0_20block_scan_algorithmE0ELj4294967295EEENS1_25partition_config_selectorILNS1_17partition_subalgoE4EjNS0_10empty_typeEbEEZZNS1_14partition_implILS8_4ELb0ES6_15HIP_vector_typeIjLj2EENS0_17counting_iteratorIjlEEPS9_SG_NS0_5tupleIJPjSI_NS0_16reverse_iteratorISI_EEEEENSH_IJSG_SG_SG_EEES9_SI_JZNS1_25segmented_radix_sort_implINS0_14default_configELb0EPKdPdPKlPlN2at6native12_GLOBAL__N_18offset_tEEE10hipError_tPvRmT1_PNSt15iterator_traitsIS12_E10value_typeET2_T3_PNS13_IS18_E10value_typeET4_jRbjT5_S1E_jjP12ihipStream_tbEUljE_ZNSN_ISO_Lb0ESQ_SR_ST_SU_SY_EESZ_S10_S11_S12_S16_S17_S18_S1B_S1C_jS1D_jS1E_S1E_jjS1G_bEUljE0_EEESZ_S10_S11_S18_S1C_S1E_T6_T7_T9_mT8_S1G_bDpT10_ENKUlT_T0_E_clISt17integral_constantIbLb0EES1T_IbLb1EEEEDaS1P_S1Q_EUlS1P_E_NS1_11comp_targetILNS1_3genE4ELNS1_11target_archE910ELNS1_3gpuE8ELNS1_3repE0EEENS1_30default_config_static_selectorELNS0_4arch9wavefront6targetE0EEEvS12_.private_seg_size, 0
	.set _ZN7rocprim17ROCPRIM_400000_NS6detail17trampoline_kernelINS0_13select_configILj256ELj13ELNS0_17block_load_methodE3ELS4_3ELS4_3ELNS0_20block_scan_algorithmE0ELj4294967295EEENS1_25partition_config_selectorILNS1_17partition_subalgoE4EjNS0_10empty_typeEbEEZZNS1_14partition_implILS8_4ELb0ES6_15HIP_vector_typeIjLj2EENS0_17counting_iteratorIjlEEPS9_SG_NS0_5tupleIJPjSI_NS0_16reverse_iteratorISI_EEEEENSH_IJSG_SG_SG_EEES9_SI_JZNS1_25segmented_radix_sort_implINS0_14default_configELb0EPKdPdPKlPlN2at6native12_GLOBAL__N_18offset_tEEE10hipError_tPvRmT1_PNSt15iterator_traitsIS12_E10value_typeET2_T3_PNS13_IS18_E10value_typeET4_jRbjT5_S1E_jjP12ihipStream_tbEUljE_ZNSN_ISO_Lb0ESQ_SR_ST_SU_SY_EESZ_S10_S11_S12_S16_S17_S18_S1B_S1C_jS1D_jS1E_S1E_jjS1G_bEUljE0_EEESZ_S10_S11_S18_S1C_S1E_T6_T7_T9_mT8_S1G_bDpT10_ENKUlT_T0_E_clISt17integral_constantIbLb0EES1T_IbLb1EEEEDaS1P_S1Q_EUlS1P_E_NS1_11comp_targetILNS1_3genE4ELNS1_11target_archE910ELNS1_3gpuE8ELNS1_3repE0EEENS1_30default_config_static_selectorELNS0_4arch9wavefront6targetE0EEEvS12_.uses_vcc, 0
	.set _ZN7rocprim17ROCPRIM_400000_NS6detail17trampoline_kernelINS0_13select_configILj256ELj13ELNS0_17block_load_methodE3ELS4_3ELS4_3ELNS0_20block_scan_algorithmE0ELj4294967295EEENS1_25partition_config_selectorILNS1_17partition_subalgoE4EjNS0_10empty_typeEbEEZZNS1_14partition_implILS8_4ELb0ES6_15HIP_vector_typeIjLj2EENS0_17counting_iteratorIjlEEPS9_SG_NS0_5tupleIJPjSI_NS0_16reverse_iteratorISI_EEEEENSH_IJSG_SG_SG_EEES9_SI_JZNS1_25segmented_radix_sort_implINS0_14default_configELb0EPKdPdPKlPlN2at6native12_GLOBAL__N_18offset_tEEE10hipError_tPvRmT1_PNSt15iterator_traitsIS12_E10value_typeET2_T3_PNS13_IS18_E10value_typeET4_jRbjT5_S1E_jjP12ihipStream_tbEUljE_ZNSN_ISO_Lb0ESQ_SR_ST_SU_SY_EESZ_S10_S11_S12_S16_S17_S18_S1B_S1C_jS1D_jS1E_S1E_jjS1G_bEUljE0_EEESZ_S10_S11_S18_S1C_S1E_T6_T7_T9_mT8_S1G_bDpT10_ENKUlT_T0_E_clISt17integral_constantIbLb0EES1T_IbLb1EEEEDaS1P_S1Q_EUlS1P_E_NS1_11comp_targetILNS1_3genE4ELNS1_11target_archE910ELNS1_3gpuE8ELNS1_3repE0EEENS1_30default_config_static_selectorELNS0_4arch9wavefront6targetE0EEEvS12_.uses_flat_scratch, 0
	.set _ZN7rocprim17ROCPRIM_400000_NS6detail17trampoline_kernelINS0_13select_configILj256ELj13ELNS0_17block_load_methodE3ELS4_3ELS4_3ELNS0_20block_scan_algorithmE0ELj4294967295EEENS1_25partition_config_selectorILNS1_17partition_subalgoE4EjNS0_10empty_typeEbEEZZNS1_14partition_implILS8_4ELb0ES6_15HIP_vector_typeIjLj2EENS0_17counting_iteratorIjlEEPS9_SG_NS0_5tupleIJPjSI_NS0_16reverse_iteratorISI_EEEEENSH_IJSG_SG_SG_EEES9_SI_JZNS1_25segmented_radix_sort_implINS0_14default_configELb0EPKdPdPKlPlN2at6native12_GLOBAL__N_18offset_tEEE10hipError_tPvRmT1_PNSt15iterator_traitsIS12_E10value_typeET2_T3_PNS13_IS18_E10value_typeET4_jRbjT5_S1E_jjP12ihipStream_tbEUljE_ZNSN_ISO_Lb0ESQ_SR_ST_SU_SY_EESZ_S10_S11_S12_S16_S17_S18_S1B_S1C_jS1D_jS1E_S1E_jjS1G_bEUljE0_EEESZ_S10_S11_S18_S1C_S1E_T6_T7_T9_mT8_S1G_bDpT10_ENKUlT_T0_E_clISt17integral_constantIbLb0EES1T_IbLb1EEEEDaS1P_S1Q_EUlS1P_E_NS1_11comp_targetILNS1_3genE4ELNS1_11target_archE910ELNS1_3gpuE8ELNS1_3repE0EEENS1_30default_config_static_selectorELNS0_4arch9wavefront6targetE0EEEvS12_.has_dyn_sized_stack, 0
	.set _ZN7rocprim17ROCPRIM_400000_NS6detail17trampoline_kernelINS0_13select_configILj256ELj13ELNS0_17block_load_methodE3ELS4_3ELS4_3ELNS0_20block_scan_algorithmE0ELj4294967295EEENS1_25partition_config_selectorILNS1_17partition_subalgoE4EjNS0_10empty_typeEbEEZZNS1_14partition_implILS8_4ELb0ES6_15HIP_vector_typeIjLj2EENS0_17counting_iteratorIjlEEPS9_SG_NS0_5tupleIJPjSI_NS0_16reverse_iteratorISI_EEEEENSH_IJSG_SG_SG_EEES9_SI_JZNS1_25segmented_radix_sort_implINS0_14default_configELb0EPKdPdPKlPlN2at6native12_GLOBAL__N_18offset_tEEE10hipError_tPvRmT1_PNSt15iterator_traitsIS12_E10value_typeET2_T3_PNS13_IS18_E10value_typeET4_jRbjT5_S1E_jjP12ihipStream_tbEUljE_ZNSN_ISO_Lb0ESQ_SR_ST_SU_SY_EESZ_S10_S11_S12_S16_S17_S18_S1B_S1C_jS1D_jS1E_S1E_jjS1G_bEUljE0_EEESZ_S10_S11_S18_S1C_S1E_T6_T7_T9_mT8_S1G_bDpT10_ENKUlT_T0_E_clISt17integral_constantIbLb0EES1T_IbLb1EEEEDaS1P_S1Q_EUlS1P_E_NS1_11comp_targetILNS1_3genE4ELNS1_11target_archE910ELNS1_3gpuE8ELNS1_3repE0EEENS1_30default_config_static_selectorELNS0_4arch9wavefront6targetE0EEEvS12_.has_recursion, 0
	.set _ZN7rocprim17ROCPRIM_400000_NS6detail17trampoline_kernelINS0_13select_configILj256ELj13ELNS0_17block_load_methodE3ELS4_3ELS4_3ELNS0_20block_scan_algorithmE0ELj4294967295EEENS1_25partition_config_selectorILNS1_17partition_subalgoE4EjNS0_10empty_typeEbEEZZNS1_14partition_implILS8_4ELb0ES6_15HIP_vector_typeIjLj2EENS0_17counting_iteratorIjlEEPS9_SG_NS0_5tupleIJPjSI_NS0_16reverse_iteratorISI_EEEEENSH_IJSG_SG_SG_EEES9_SI_JZNS1_25segmented_radix_sort_implINS0_14default_configELb0EPKdPdPKlPlN2at6native12_GLOBAL__N_18offset_tEEE10hipError_tPvRmT1_PNSt15iterator_traitsIS12_E10value_typeET2_T3_PNS13_IS18_E10value_typeET4_jRbjT5_S1E_jjP12ihipStream_tbEUljE_ZNSN_ISO_Lb0ESQ_SR_ST_SU_SY_EESZ_S10_S11_S12_S16_S17_S18_S1B_S1C_jS1D_jS1E_S1E_jjS1G_bEUljE0_EEESZ_S10_S11_S18_S1C_S1E_T6_T7_T9_mT8_S1G_bDpT10_ENKUlT_T0_E_clISt17integral_constantIbLb0EES1T_IbLb1EEEEDaS1P_S1Q_EUlS1P_E_NS1_11comp_targetILNS1_3genE4ELNS1_11target_archE910ELNS1_3gpuE8ELNS1_3repE0EEENS1_30default_config_static_selectorELNS0_4arch9wavefront6targetE0EEEvS12_.has_indirect_call, 0
	.section	.AMDGPU.csdata,"",@progbits
; Kernel info:
; codeLenInByte = 0
; TotalNumSgprs: 0
; NumVgprs: 0
; ScratchSize: 0
; MemoryBound: 0
; FloatMode: 240
; IeeeMode: 1
; LDSByteSize: 0 bytes/workgroup (compile time only)
; SGPRBlocks: 0
; VGPRBlocks: 0
; NumSGPRsForWavesPerEU: 1
; NumVGPRsForWavesPerEU: 1
; Occupancy: 16
; WaveLimiterHint : 0
; COMPUTE_PGM_RSRC2:SCRATCH_EN: 0
; COMPUTE_PGM_RSRC2:USER_SGPR: 6
; COMPUTE_PGM_RSRC2:TRAP_HANDLER: 0
; COMPUTE_PGM_RSRC2:TGID_X_EN: 1
; COMPUTE_PGM_RSRC2:TGID_Y_EN: 0
; COMPUTE_PGM_RSRC2:TGID_Z_EN: 0
; COMPUTE_PGM_RSRC2:TIDIG_COMP_CNT: 0
	.section	.text._ZN7rocprim17ROCPRIM_400000_NS6detail17trampoline_kernelINS0_13select_configILj256ELj13ELNS0_17block_load_methodE3ELS4_3ELS4_3ELNS0_20block_scan_algorithmE0ELj4294967295EEENS1_25partition_config_selectorILNS1_17partition_subalgoE4EjNS0_10empty_typeEbEEZZNS1_14partition_implILS8_4ELb0ES6_15HIP_vector_typeIjLj2EENS0_17counting_iteratorIjlEEPS9_SG_NS0_5tupleIJPjSI_NS0_16reverse_iteratorISI_EEEEENSH_IJSG_SG_SG_EEES9_SI_JZNS1_25segmented_radix_sort_implINS0_14default_configELb0EPKdPdPKlPlN2at6native12_GLOBAL__N_18offset_tEEE10hipError_tPvRmT1_PNSt15iterator_traitsIS12_E10value_typeET2_T3_PNS13_IS18_E10value_typeET4_jRbjT5_S1E_jjP12ihipStream_tbEUljE_ZNSN_ISO_Lb0ESQ_SR_ST_SU_SY_EESZ_S10_S11_S12_S16_S17_S18_S1B_S1C_jS1D_jS1E_S1E_jjS1G_bEUljE0_EEESZ_S10_S11_S18_S1C_S1E_T6_T7_T9_mT8_S1G_bDpT10_ENKUlT_T0_E_clISt17integral_constantIbLb0EES1T_IbLb1EEEEDaS1P_S1Q_EUlS1P_E_NS1_11comp_targetILNS1_3genE3ELNS1_11target_archE908ELNS1_3gpuE7ELNS1_3repE0EEENS1_30default_config_static_selectorELNS0_4arch9wavefront6targetE0EEEvS12_,"axG",@progbits,_ZN7rocprim17ROCPRIM_400000_NS6detail17trampoline_kernelINS0_13select_configILj256ELj13ELNS0_17block_load_methodE3ELS4_3ELS4_3ELNS0_20block_scan_algorithmE0ELj4294967295EEENS1_25partition_config_selectorILNS1_17partition_subalgoE4EjNS0_10empty_typeEbEEZZNS1_14partition_implILS8_4ELb0ES6_15HIP_vector_typeIjLj2EENS0_17counting_iteratorIjlEEPS9_SG_NS0_5tupleIJPjSI_NS0_16reverse_iteratorISI_EEEEENSH_IJSG_SG_SG_EEES9_SI_JZNS1_25segmented_radix_sort_implINS0_14default_configELb0EPKdPdPKlPlN2at6native12_GLOBAL__N_18offset_tEEE10hipError_tPvRmT1_PNSt15iterator_traitsIS12_E10value_typeET2_T3_PNS13_IS18_E10value_typeET4_jRbjT5_S1E_jjP12ihipStream_tbEUljE_ZNSN_ISO_Lb0ESQ_SR_ST_SU_SY_EESZ_S10_S11_S12_S16_S17_S18_S1B_S1C_jS1D_jS1E_S1E_jjS1G_bEUljE0_EEESZ_S10_S11_S18_S1C_S1E_T6_T7_T9_mT8_S1G_bDpT10_ENKUlT_T0_E_clISt17integral_constantIbLb0EES1T_IbLb1EEEEDaS1P_S1Q_EUlS1P_E_NS1_11comp_targetILNS1_3genE3ELNS1_11target_archE908ELNS1_3gpuE7ELNS1_3repE0EEENS1_30default_config_static_selectorELNS0_4arch9wavefront6targetE0EEEvS12_,comdat
	.globl	_ZN7rocprim17ROCPRIM_400000_NS6detail17trampoline_kernelINS0_13select_configILj256ELj13ELNS0_17block_load_methodE3ELS4_3ELS4_3ELNS0_20block_scan_algorithmE0ELj4294967295EEENS1_25partition_config_selectorILNS1_17partition_subalgoE4EjNS0_10empty_typeEbEEZZNS1_14partition_implILS8_4ELb0ES6_15HIP_vector_typeIjLj2EENS0_17counting_iteratorIjlEEPS9_SG_NS0_5tupleIJPjSI_NS0_16reverse_iteratorISI_EEEEENSH_IJSG_SG_SG_EEES9_SI_JZNS1_25segmented_radix_sort_implINS0_14default_configELb0EPKdPdPKlPlN2at6native12_GLOBAL__N_18offset_tEEE10hipError_tPvRmT1_PNSt15iterator_traitsIS12_E10value_typeET2_T3_PNS13_IS18_E10value_typeET4_jRbjT5_S1E_jjP12ihipStream_tbEUljE_ZNSN_ISO_Lb0ESQ_SR_ST_SU_SY_EESZ_S10_S11_S12_S16_S17_S18_S1B_S1C_jS1D_jS1E_S1E_jjS1G_bEUljE0_EEESZ_S10_S11_S18_S1C_S1E_T6_T7_T9_mT8_S1G_bDpT10_ENKUlT_T0_E_clISt17integral_constantIbLb0EES1T_IbLb1EEEEDaS1P_S1Q_EUlS1P_E_NS1_11comp_targetILNS1_3genE3ELNS1_11target_archE908ELNS1_3gpuE7ELNS1_3repE0EEENS1_30default_config_static_selectorELNS0_4arch9wavefront6targetE0EEEvS12_ ; -- Begin function _ZN7rocprim17ROCPRIM_400000_NS6detail17trampoline_kernelINS0_13select_configILj256ELj13ELNS0_17block_load_methodE3ELS4_3ELS4_3ELNS0_20block_scan_algorithmE0ELj4294967295EEENS1_25partition_config_selectorILNS1_17partition_subalgoE4EjNS0_10empty_typeEbEEZZNS1_14partition_implILS8_4ELb0ES6_15HIP_vector_typeIjLj2EENS0_17counting_iteratorIjlEEPS9_SG_NS0_5tupleIJPjSI_NS0_16reverse_iteratorISI_EEEEENSH_IJSG_SG_SG_EEES9_SI_JZNS1_25segmented_radix_sort_implINS0_14default_configELb0EPKdPdPKlPlN2at6native12_GLOBAL__N_18offset_tEEE10hipError_tPvRmT1_PNSt15iterator_traitsIS12_E10value_typeET2_T3_PNS13_IS18_E10value_typeET4_jRbjT5_S1E_jjP12ihipStream_tbEUljE_ZNSN_ISO_Lb0ESQ_SR_ST_SU_SY_EESZ_S10_S11_S12_S16_S17_S18_S1B_S1C_jS1D_jS1E_S1E_jjS1G_bEUljE0_EEESZ_S10_S11_S18_S1C_S1E_T6_T7_T9_mT8_S1G_bDpT10_ENKUlT_T0_E_clISt17integral_constantIbLb0EES1T_IbLb1EEEEDaS1P_S1Q_EUlS1P_E_NS1_11comp_targetILNS1_3genE3ELNS1_11target_archE908ELNS1_3gpuE7ELNS1_3repE0EEENS1_30default_config_static_selectorELNS0_4arch9wavefront6targetE0EEEvS12_
	.p2align	8
	.type	_ZN7rocprim17ROCPRIM_400000_NS6detail17trampoline_kernelINS0_13select_configILj256ELj13ELNS0_17block_load_methodE3ELS4_3ELS4_3ELNS0_20block_scan_algorithmE0ELj4294967295EEENS1_25partition_config_selectorILNS1_17partition_subalgoE4EjNS0_10empty_typeEbEEZZNS1_14partition_implILS8_4ELb0ES6_15HIP_vector_typeIjLj2EENS0_17counting_iteratorIjlEEPS9_SG_NS0_5tupleIJPjSI_NS0_16reverse_iteratorISI_EEEEENSH_IJSG_SG_SG_EEES9_SI_JZNS1_25segmented_radix_sort_implINS0_14default_configELb0EPKdPdPKlPlN2at6native12_GLOBAL__N_18offset_tEEE10hipError_tPvRmT1_PNSt15iterator_traitsIS12_E10value_typeET2_T3_PNS13_IS18_E10value_typeET4_jRbjT5_S1E_jjP12ihipStream_tbEUljE_ZNSN_ISO_Lb0ESQ_SR_ST_SU_SY_EESZ_S10_S11_S12_S16_S17_S18_S1B_S1C_jS1D_jS1E_S1E_jjS1G_bEUljE0_EEESZ_S10_S11_S18_S1C_S1E_T6_T7_T9_mT8_S1G_bDpT10_ENKUlT_T0_E_clISt17integral_constantIbLb0EES1T_IbLb1EEEEDaS1P_S1Q_EUlS1P_E_NS1_11comp_targetILNS1_3genE3ELNS1_11target_archE908ELNS1_3gpuE7ELNS1_3repE0EEENS1_30default_config_static_selectorELNS0_4arch9wavefront6targetE0EEEvS12_,@function
_ZN7rocprim17ROCPRIM_400000_NS6detail17trampoline_kernelINS0_13select_configILj256ELj13ELNS0_17block_load_methodE3ELS4_3ELS4_3ELNS0_20block_scan_algorithmE0ELj4294967295EEENS1_25partition_config_selectorILNS1_17partition_subalgoE4EjNS0_10empty_typeEbEEZZNS1_14partition_implILS8_4ELb0ES6_15HIP_vector_typeIjLj2EENS0_17counting_iteratorIjlEEPS9_SG_NS0_5tupleIJPjSI_NS0_16reverse_iteratorISI_EEEEENSH_IJSG_SG_SG_EEES9_SI_JZNS1_25segmented_radix_sort_implINS0_14default_configELb0EPKdPdPKlPlN2at6native12_GLOBAL__N_18offset_tEEE10hipError_tPvRmT1_PNSt15iterator_traitsIS12_E10value_typeET2_T3_PNS13_IS18_E10value_typeET4_jRbjT5_S1E_jjP12ihipStream_tbEUljE_ZNSN_ISO_Lb0ESQ_SR_ST_SU_SY_EESZ_S10_S11_S12_S16_S17_S18_S1B_S1C_jS1D_jS1E_S1E_jjS1G_bEUljE0_EEESZ_S10_S11_S18_S1C_S1E_T6_T7_T9_mT8_S1G_bDpT10_ENKUlT_T0_E_clISt17integral_constantIbLb0EES1T_IbLb1EEEEDaS1P_S1Q_EUlS1P_E_NS1_11comp_targetILNS1_3genE3ELNS1_11target_archE908ELNS1_3gpuE7ELNS1_3repE0EEENS1_30default_config_static_selectorELNS0_4arch9wavefront6targetE0EEEvS12_: ; @_ZN7rocprim17ROCPRIM_400000_NS6detail17trampoline_kernelINS0_13select_configILj256ELj13ELNS0_17block_load_methodE3ELS4_3ELS4_3ELNS0_20block_scan_algorithmE0ELj4294967295EEENS1_25partition_config_selectorILNS1_17partition_subalgoE4EjNS0_10empty_typeEbEEZZNS1_14partition_implILS8_4ELb0ES6_15HIP_vector_typeIjLj2EENS0_17counting_iteratorIjlEEPS9_SG_NS0_5tupleIJPjSI_NS0_16reverse_iteratorISI_EEEEENSH_IJSG_SG_SG_EEES9_SI_JZNS1_25segmented_radix_sort_implINS0_14default_configELb0EPKdPdPKlPlN2at6native12_GLOBAL__N_18offset_tEEE10hipError_tPvRmT1_PNSt15iterator_traitsIS12_E10value_typeET2_T3_PNS13_IS18_E10value_typeET4_jRbjT5_S1E_jjP12ihipStream_tbEUljE_ZNSN_ISO_Lb0ESQ_SR_ST_SU_SY_EESZ_S10_S11_S12_S16_S17_S18_S1B_S1C_jS1D_jS1E_S1E_jjS1G_bEUljE0_EEESZ_S10_S11_S18_S1C_S1E_T6_T7_T9_mT8_S1G_bDpT10_ENKUlT_T0_E_clISt17integral_constantIbLb0EES1T_IbLb1EEEEDaS1P_S1Q_EUlS1P_E_NS1_11comp_targetILNS1_3genE3ELNS1_11target_archE908ELNS1_3gpuE7ELNS1_3repE0EEENS1_30default_config_static_selectorELNS0_4arch9wavefront6targetE0EEEvS12_
; %bb.0:
	.section	.rodata,"a",@progbits
	.p2align	6, 0x0
	.amdhsa_kernel _ZN7rocprim17ROCPRIM_400000_NS6detail17trampoline_kernelINS0_13select_configILj256ELj13ELNS0_17block_load_methodE3ELS4_3ELS4_3ELNS0_20block_scan_algorithmE0ELj4294967295EEENS1_25partition_config_selectorILNS1_17partition_subalgoE4EjNS0_10empty_typeEbEEZZNS1_14partition_implILS8_4ELb0ES6_15HIP_vector_typeIjLj2EENS0_17counting_iteratorIjlEEPS9_SG_NS0_5tupleIJPjSI_NS0_16reverse_iteratorISI_EEEEENSH_IJSG_SG_SG_EEES9_SI_JZNS1_25segmented_radix_sort_implINS0_14default_configELb0EPKdPdPKlPlN2at6native12_GLOBAL__N_18offset_tEEE10hipError_tPvRmT1_PNSt15iterator_traitsIS12_E10value_typeET2_T3_PNS13_IS18_E10value_typeET4_jRbjT5_S1E_jjP12ihipStream_tbEUljE_ZNSN_ISO_Lb0ESQ_SR_ST_SU_SY_EESZ_S10_S11_S12_S16_S17_S18_S1B_S1C_jS1D_jS1E_S1E_jjS1G_bEUljE0_EEESZ_S10_S11_S18_S1C_S1E_T6_T7_T9_mT8_S1G_bDpT10_ENKUlT_T0_E_clISt17integral_constantIbLb0EES1T_IbLb1EEEEDaS1P_S1Q_EUlS1P_E_NS1_11comp_targetILNS1_3genE3ELNS1_11target_archE908ELNS1_3gpuE7ELNS1_3repE0EEENS1_30default_config_static_selectorELNS0_4arch9wavefront6targetE0EEEvS12_
		.amdhsa_group_segment_fixed_size 0
		.amdhsa_private_segment_fixed_size 0
		.amdhsa_kernarg_size 184
		.amdhsa_user_sgpr_count 6
		.amdhsa_user_sgpr_private_segment_buffer 1
		.amdhsa_user_sgpr_dispatch_ptr 0
		.amdhsa_user_sgpr_queue_ptr 0
		.amdhsa_user_sgpr_kernarg_segment_ptr 1
		.amdhsa_user_sgpr_dispatch_id 0
		.amdhsa_user_sgpr_flat_scratch_init 0
		.amdhsa_user_sgpr_private_segment_size 0
		.amdhsa_wavefront_size32 1
		.amdhsa_uses_dynamic_stack 0
		.amdhsa_system_sgpr_private_segment_wavefront_offset 0
		.amdhsa_system_sgpr_workgroup_id_x 1
		.amdhsa_system_sgpr_workgroup_id_y 0
		.amdhsa_system_sgpr_workgroup_id_z 0
		.amdhsa_system_sgpr_workgroup_info 0
		.amdhsa_system_vgpr_workitem_id 0
		.amdhsa_next_free_vgpr 1
		.amdhsa_next_free_sgpr 1
		.amdhsa_reserve_vcc 0
		.amdhsa_reserve_flat_scratch 0
		.amdhsa_float_round_mode_32 0
		.amdhsa_float_round_mode_16_64 0
		.amdhsa_float_denorm_mode_32 3
		.amdhsa_float_denorm_mode_16_64 3
		.amdhsa_dx10_clamp 1
		.amdhsa_ieee_mode 1
		.amdhsa_fp16_overflow 0
		.amdhsa_workgroup_processor_mode 1
		.amdhsa_memory_ordered 1
		.amdhsa_forward_progress 1
		.amdhsa_shared_vgpr_count 0
		.amdhsa_exception_fp_ieee_invalid_op 0
		.amdhsa_exception_fp_denorm_src 0
		.amdhsa_exception_fp_ieee_div_zero 0
		.amdhsa_exception_fp_ieee_overflow 0
		.amdhsa_exception_fp_ieee_underflow 0
		.amdhsa_exception_fp_ieee_inexact 0
		.amdhsa_exception_int_div_zero 0
	.end_amdhsa_kernel
	.section	.text._ZN7rocprim17ROCPRIM_400000_NS6detail17trampoline_kernelINS0_13select_configILj256ELj13ELNS0_17block_load_methodE3ELS4_3ELS4_3ELNS0_20block_scan_algorithmE0ELj4294967295EEENS1_25partition_config_selectorILNS1_17partition_subalgoE4EjNS0_10empty_typeEbEEZZNS1_14partition_implILS8_4ELb0ES6_15HIP_vector_typeIjLj2EENS0_17counting_iteratorIjlEEPS9_SG_NS0_5tupleIJPjSI_NS0_16reverse_iteratorISI_EEEEENSH_IJSG_SG_SG_EEES9_SI_JZNS1_25segmented_radix_sort_implINS0_14default_configELb0EPKdPdPKlPlN2at6native12_GLOBAL__N_18offset_tEEE10hipError_tPvRmT1_PNSt15iterator_traitsIS12_E10value_typeET2_T3_PNS13_IS18_E10value_typeET4_jRbjT5_S1E_jjP12ihipStream_tbEUljE_ZNSN_ISO_Lb0ESQ_SR_ST_SU_SY_EESZ_S10_S11_S12_S16_S17_S18_S1B_S1C_jS1D_jS1E_S1E_jjS1G_bEUljE0_EEESZ_S10_S11_S18_S1C_S1E_T6_T7_T9_mT8_S1G_bDpT10_ENKUlT_T0_E_clISt17integral_constantIbLb0EES1T_IbLb1EEEEDaS1P_S1Q_EUlS1P_E_NS1_11comp_targetILNS1_3genE3ELNS1_11target_archE908ELNS1_3gpuE7ELNS1_3repE0EEENS1_30default_config_static_selectorELNS0_4arch9wavefront6targetE0EEEvS12_,"axG",@progbits,_ZN7rocprim17ROCPRIM_400000_NS6detail17trampoline_kernelINS0_13select_configILj256ELj13ELNS0_17block_load_methodE3ELS4_3ELS4_3ELNS0_20block_scan_algorithmE0ELj4294967295EEENS1_25partition_config_selectorILNS1_17partition_subalgoE4EjNS0_10empty_typeEbEEZZNS1_14partition_implILS8_4ELb0ES6_15HIP_vector_typeIjLj2EENS0_17counting_iteratorIjlEEPS9_SG_NS0_5tupleIJPjSI_NS0_16reverse_iteratorISI_EEEEENSH_IJSG_SG_SG_EEES9_SI_JZNS1_25segmented_radix_sort_implINS0_14default_configELb0EPKdPdPKlPlN2at6native12_GLOBAL__N_18offset_tEEE10hipError_tPvRmT1_PNSt15iterator_traitsIS12_E10value_typeET2_T3_PNS13_IS18_E10value_typeET4_jRbjT5_S1E_jjP12ihipStream_tbEUljE_ZNSN_ISO_Lb0ESQ_SR_ST_SU_SY_EESZ_S10_S11_S12_S16_S17_S18_S1B_S1C_jS1D_jS1E_S1E_jjS1G_bEUljE0_EEESZ_S10_S11_S18_S1C_S1E_T6_T7_T9_mT8_S1G_bDpT10_ENKUlT_T0_E_clISt17integral_constantIbLb0EES1T_IbLb1EEEEDaS1P_S1Q_EUlS1P_E_NS1_11comp_targetILNS1_3genE3ELNS1_11target_archE908ELNS1_3gpuE7ELNS1_3repE0EEENS1_30default_config_static_selectorELNS0_4arch9wavefront6targetE0EEEvS12_,comdat
.Lfunc_end1176:
	.size	_ZN7rocprim17ROCPRIM_400000_NS6detail17trampoline_kernelINS0_13select_configILj256ELj13ELNS0_17block_load_methodE3ELS4_3ELS4_3ELNS0_20block_scan_algorithmE0ELj4294967295EEENS1_25partition_config_selectorILNS1_17partition_subalgoE4EjNS0_10empty_typeEbEEZZNS1_14partition_implILS8_4ELb0ES6_15HIP_vector_typeIjLj2EENS0_17counting_iteratorIjlEEPS9_SG_NS0_5tupleIJPjSI_NS0_16reverse_iteratorISI_EEEEENSH_IJSG_SG_SG_EEES9_SI_JZNS1_25segmented_radix_sort_implINS0_14default_configELb0EPKdPdPKlPlN2at6native12_GLOBAL__N_18offset_tEEE10hipError_tPvRmT1_PNSt15iterator_traitsIS12_E10value_typeET2_T3_PNS13_IS18_E10value_typeET4_jRbjT5_S1E_jjP12ihipStream_tbEUljE_ZNSN_ISO_Lb0ESQ_SR_ST_SU_SY_EESZ_S10_S11_S12_S16_S17_S18_S1B_S1C_jS1D_jS1E_S1E_jjS1G_bEUljE0_EEESZ_S10_S11_S18_S1C_S1E_T6_T7_T9_mT8_S1G_bDpT10_ENKUlT_T0_E_clISt17integral_constantIbLb0EES1T_IbLb1EEEEDaS1P_S1Q_EUlS1P_E_NS1_11comp_targetILNS1_3genE3ELNS1_11target_archE908ELNS1_3gpuE7ELNS1_3repE0EEENS1_30default_config_static_selectorELNS0_4arch9wavefront6targetE0EEEvS12_, .Lfunc_end1176-_ZN7rocprim17ROCPRIM_400000_NS6detail17trampoline_kernelINS0_13select_configILj256ELj13ELNS0_17block_load_methodE3ELS4_3ELS4_3ELNS0_20block_scan_algorithmE0ELj4294967295EEENS1_25partition_config_selectorILNS1_17partition_subalgoE4EjNS0_10empty_typeEbEEZZNS1_14partition_implILS8_4ELb0ES6_15HIP_vector_typeIjLj2EENS0_17counting_iteratorIjlEEPS9_SG_NS0_5tupleIJPjSI_NS0_16reverse_iteratorISI_EEEEENSH_IJSG_SG_SG_EEES9_SI_JZNS1_25segmented_radix_sort_implINS0_14default_configELb0EPKdPdPKlPlN2at6native12_GLOBAL__N_18offset_tEEE10hipError_tPvRmT1_PNSt15iterator_traitsIS12_E10value_typeET2_T3_PNS13_IS18_E10value_typeET4_jRbjT5_S1E_jjP12ihipStream_tbEUljE_ZNSN_ISO_Lb0ESQ_SR_ST_SU_SY_EESZ_S10_S11_S12_S16_S17_S18_S1B_S1C_jS1D_jS1E_S1E_jjS1G_bEUljE0_EEESZ_S10_S11_S18_S1C_S1E_T6_T7_T9_mT8_S1G_bDpT10_ENKUlT_T0_E_clISt17integral_constantIbLb0EES1T_IbLb1EEEEDaS1P_S1Q_EUlS1P_E_NS1_11comp_targetILNS1_3genE3ELNS1_11target_archE908ELNS1_3gpuE7ELNS1_3repE0EEENS1_30default_config_static_selectorELNS0_4arch9wavefront6targetE0EEEvS12_
                                        ; -- End function
	.set _ZN7rocprim17ROCPRIM_400000_NS6detail17trampoline_kernelINS0_13select_configILj256ELj13ELNS0_17block_load_methodE3ELS4_3ELS4_3ELNS0_20block_scan_algorithmE0ELj4294967295EEENS1_25partition_config_selectorILNS1_17partition_subalgoE4EjNS0_10empty_typeEbEEZZNS1_14partition_implILS8_4ELb0ES6_15HIP_vector_typeIjLj2EENS0_17counting_iteratorIjlEEPS9_SG_NS0_5tupleIJPjSI_NS0_16reverse_iteratorISI_EEEEENSH_IJSG_SG_SG_EEES9_SI_JZNS1_25segmented_radix_sort_implINS0_14default_configELb0EPKdPdPKlPlN2at6native12_GLOBAL__N_18offset_tEEE10hipError_tPvRmT1_PNSt15iterator_traitsIS12_E10value_typeET2_T3_PNS13_IS18_E10value_typeET4_jRbjT5_S1E_jjP12ihipStream_tbEUljE_ZNSN_ISO_Lb0ESQ_SR_ST_SU_SY_EESZ_S10_S11_S12_S16_S17_S18_S1B_S1C_jS1D_jS1E_S1E_jjS1G_bEUljE0_EEESZ_S10_S11_S18_S1C_S1E_T6_T7_T9_mT8_S1G_bDpT10_ENKUlT_T0_E_clISt17integral_constantIbLb0EES1T_IbLb1EEEEDaS1P_S1Q_EUlS1P_E_NS1_11comp_targetILNS1_3genE3ELNS1_11target_archE908ELNS1_3gpuE7ELNS1_3repE0EEENS1_30default_config_static_selectorELNS0_4arch9wavefront6targetE0EEEvS12_.num_vgpr, 0
	.set _ZN7rocprim17ROCPRIM_400000_NS6detail17trampoline_kernelINS0_13select_configILj256ELj13ELNS0_17block_load_methodE3ELS4_3ELS4_3ELNS0_20block_scan_algorithmE0ELj4294967295EEENS1_25partition_config_selectorILNS1_17partition_subalgoE4EjNS0_10empty_typeEbEEZZNS1_14partition_implILS8_4ELb0ES6_15HIP_vector_typeIjLj2EENS0_17counting_iteratorIjlEEPS9_SG_NS0_5tupleIJPjSI_NS0_16reverse_iteratorISI_EEEEENSH_IJSG_SG_SG_EEES9_SI_JZNS1_25segmented_radix_sort_implINS0_14default_configELb0EPKdPdPKlPlN2at6native12_GLOBAL__N_18offset_tEEE10hipError_tPvRmT1_PNSt15iterator_traitsIS12_E10value_typeET2_T3_PNS13_IS18_E10value_typeET4_jRbjT5_S1E_jjP12ihipStream_tbEUljE_ZNSN_ISO_Lb0ESQ_SR_ST_SU_SY_EESZ_S10_S11_S12_S16_S17_S18_S1B_S1C_jS1D_jS1E_S1E_jjS1G_bEUljE0_EEESZ_S10_S11_S18_S1C_S1E_T6_T7_T9_mT8_S1G_bDpT10_ENKUlT_T0_E_clISt17integral_constantIbLb0EES1T_IbLb1EEEEDaS1P_S1Q_EUlS1P_E_NS1_11comp_targetILNS1_3genE3ELNS1_11target_archE908ELNS1_3gpuE7ELNS1_3repE0EEENS1_30default_config_static_selectorELNS0_4arch9wavefront6targetE0EEEvS12_.num_agpr, 0
	.set _ZN7rocprim17ROCPRIM_400000_NS6detail17trampoline_kernelINS0_13select_configILj256ELj13ELNS0_17block_load_methodE3ELS4_3ELS4_3ELNS0_20block_scan_algorithmE0ELj4294967295EEENS1_25partition_config_selectorILNS1_17partition_subalgoE4EjNS0_10empty_typeEbEEZZNS1_14partition_implILS8_4ELb0ES6_15HIP_vector_typeIjLj2EENS0_17counting_iteratorIjlEEPS9_SG_NS0_5tupleIJPjSI_NS0_16reverse_iteratorISI_EEEEENSH_IJSG_SG_SG_EEES9_SI_JZNS1_25segmented_radix_sort_implINS0_14default_configELb0EPKdPdPKlPlN2at6native12_GLOBAL__N_18offset_tEEE10hipError_tPvRmT1_PNSt15iterator_traitsIS12_E10value_typeET2_T3_PNS13_IS18_E10value_typeET4_jRbjT5_S1E_jjP12ihipStream_tbEUljE_ZNSN_ISO_Lb0ESQ_SR_ST_SU_SY_EESZ_S10_S11_S12_S16_S17_S18_S1B_S1C_jS1D_jS1E_S1E_jjS1G_bEUljE0_EEESZ_S10_S11_S18_S1C_S1E_T6_T7_T9_mT8_S1G_bDpT10_ENKUlT_T0_E_clISt17integral_constantIbLb0EES1T_IbLb1EEEEDaS1P_S1Q_EUlS1P_E_NS1_11comp_targetILNS1_3genE3ELNS1_11target_archE908ELNS1_3gpuE7ELNS1_3repE0EEENS1_30default_config_static_selectorELNS0_4arch9wavefront6targetE0EEEvS12_.numbered_sgpr, 0
	.set _ZN7rocprim17ROCPRIM_400000_NS6detail17trampoline_kernelINS0_13select_configILj256ELj13ELNS0_17block_load_methodE3ELS4_3ELS4_3ELNS0_20block_scan_algorithmE0ELj4294967295EEENS1_25partition_config_selectorILNS1_17partition_subalgoE4EjNS0_10empty_typeEbEEZZNS1_14partition_implILS8_4ELb0ES6_15HIP_vector_typeIjLj2EENS0_17counting_iteratorIjlEEPS9_SG_NS0_5tupleIJPjSI_NS0_16reverse_iteratorISI_EEEEENSH_IJSG_SG_SG_EEES9_SI_JZNS1_25segmented_radix_sort_implINS0_14default_configELb0EPKdPdPKlPlN2at6native12_GLOBAL__N_18offset_tEEE10hipError_tPvRmT1_PNSt15iterator_traitsIS12_E10value_typeET2_T3_PNS13_IS18_E10value_typeET4_jRbjT5_S1E_jjP12ihipStream_tbEUljE_ZNSN_ISO_Lb0ESQ_SR_ST_SU_SY_EESZ_S10_S11_S12_S16_S17_S18_S1B_S1C_jS1D_jS1E_S1E_jjS1G_bEUljE0_EEESZ_S10_S11_S18_S1C_S1E_T6_T7_T9_mT8_S1G_bDpT10_ENKUlT_T0_E_clISt17integral_constantIbLb0EES1T_IbLb1EEEEDaS1P_S1Q_EUlS1P_E_NS1_11comp_targetILNS1_3genE3ELNS1_11target_archE908ELNS1_3gpuE7ELNS1_3repE0EEENS1_30default_config_static_selectorELNS0_4arch9wavefront6targetE0EEEvS12_.num_named_barrier, 0
	.set _ZN7rocprim17ROCPRIM_400000_NS6detail17trampoline_kernelINS0_13select_configILj256ELj13ELNS0_17block_load_methodE3ELS4_3ELS4_3ELNS0_20block_scan_algorithmE0ELj4294967295EEENS1_25partition_config_selectorILNS1_17partition_subalgoE4EjNS0_10empty_typeEbEEZZNS1_14partition_implILS8_4ELb0ES6_15HIP_vector_typeIjLj2EENS0_17counting_iteratorIjlEEPS9_SG_NS0_5tupleIJPjSI_NS0_16reverse_iteratorISI_EEEEENSH_IJSG_SG_SG_EEES9_SI_JZNS1_25segmented_radix_sort_implINS0_14default_configELb0EPKdPdPKlPlN2at6native12_GLOBAL__N_18offset_tEEE10hipError_tPvRmT1_PNSt15iterator_traitsIS12_E10value_typeET2_T3_PNS13_IS18_E10value_typeET4_jRbjT5_S1E_jjP12ihipStream_tbEUljE_ZNSN_ISO_Lb0ESQ_SR_ST_SU_SY_EESZ_S10_S11_S12_S16_S17_S18_S1B_S1C_jS1D_jS1E_S1E_jjS1G_bEUljE0_EEESZ_S10_S11_S18_S1C_S1E_T6_T7_T9_mT8_S1G_bDpT10_ENKUlT_T0_E_clISt17integral_constantIbLb0EES1T_IbLb1EEEEDaS1P_S1Q_EUlS1P_E_NS1_11comp_targetILNS1_3genE3ELNS1_11target_archE908ELNS1_3gpuE7ELNS1_3repE0EEENS1_30default_config_static_selectorELNS0_4arch9wavefront6targetE0EEEvS12_.private_seg_size, 0
	.set _ZN7rocprim17ROCPRIM_400000_NS6detail17trampoline_kernelINS0_13select_configILj256ELj13ELNS0_17block_load_methodE3ELS4_3ELS4_3ELNS0_20block_scan_algorithmE0ELj4294967295EEENS1_25partition_config_selectorILNS1_17partition_subalgoE4EjNS0_10empty_typeEbEEZZNS1_14partition_implILS8_4ELb0ES6_15HIP_vector_typeIjLj2EENS0_17counting_iteratorIjlEEPS9_SG_NS0_5tupleIJPjSI_NS0_16reverse_iteratorISI_EEEEENSH_IJSG_SG_SG_EEES9_SI_JZNS1_25segmented_radix_sort_implINS0_14default_configELb0EPKdPdPKlPlN2at6native12_GLOBAL__N_18offset_tEEE10hipError_tPvRmT1_PNSt15iterator_traitsIS12_E10value_typeET2_T3_PNS13_IS18_E10value_typeET4_jRbjT5_S1E_jjP12ihipStream_tbEUljE_ZNSN_ISO_Lb0ESQ_SR_ST_SU_SY_EESZ_S10_S11_S12_S16_S17_S18_S1B_S1C_jS1D_jS1E_S1E_jjS1G_bEUljE0_EEESZ_S10_S11_S18_S1C_S1E_T6_T7_T9_mT8_S1G_bDpT10_ENKUlT_T0_E_clISt17integral_constantIbLb0EES1T_IbLb1EEEEDaS1P_S1Q_EUlS1P_E_NS1_11comp_targetILNS1_3genE3ELNS1_11target_archE908ELNS1_3gpuE7ELNS1_3repE0EEENS1_30default_config_static_selectorELNS0_4arch9wavefront6targetE0EEEvS12_.uses_vcc, 0
	.set _ZN7rocprim17ROCPRIM_400000_NS6detail17trampoline_kernelINS0_13select_configILj256ELj13ELNS0_17block_load_methodE3ELS4_3ELS4_3ELNS0_20block_scan_algorithmE0ELj4294967295EEENS1_25partition_config_selectorILNS1_17partition_subalgoE4EjNS0_10empty_typeEbEEZZNS1_14partition_implILS8_4ELb0ES6_15HIP_vector_typeIjLj2EENS0_17counting_iteratorIjlEEPS9_SG_NS0_5tupleIJPjSI_NS0_16reverse_iteratorISI_EEEEENSH_IJSG_SG_SG_EEES9_SI_JZNS1_25segmented_radix_sort_implINS0_14default_configELb0EPKdPdPKlPlN2at6native12_GLOBAL__N_18offset_tEEE10hipError_tPvRmT1_PNSt15iterator_traitsIS12_E10value_typeET2_T3_PNS13_IS18_E10value_typeET4_jRbjT5_S1E_jjP12ihipStream_tbEUljE_ZNSN_ISO_Lb0ESQ_SR_ST_SU_SY_EESZ_S10_S11_S12_S16_S17_S18_S1B_S1C_jS1D_jS1E_S1E_jjS1G_bEUljE0_EEESZ_S10_S11_S18_S1C_S1E_T6_T7_T9_mT8_S1G_bDpT10_ENKUlT_T0_E_clISt17integral_constantIbLb0EES1T_IbLb1EEEEDaS1P_S1Q_EUlS1P_E_NS1_11comp_targetILNS1_3genE3ELNS1_11target_archE908ELNS1_3gpuE7ELNS1_3repE0EEENS1_30default_config_static_selectorELNS0_4arch9wavefront6targetE0EEEvS12_.uses_flat_scratch, 0
	.set _ZN7rocprim17ROCPRIM_400000_NS6detail17trampoline_kernelINS0_13select_configILj256ELj13ELNS0_17block_load_methodE3ELS4_3ELS4_3ELNS0_20block_scan_algorithmE0ELj4294967295EEENS1_25partition_config_selectorILNS1_17partition_subalgoE4EjNS0_10empty_typeEbEEZZNS1_14partition_implILS8_4ELb0ES6_15HIP_vector_typeIjLj2EENS0_17counting_iteratorIjlEEPS9_SG_NS0_5tupleIJPjSI_NS0_16reverse_iteratorISI_EEEEENSH_IJSG_SG_SG_EEES9_SI_JZNS1_25segmented_radix_sort_implINS0_14default_configELb0EPKdPdPKlPlN2at6native12_GLOBAL__N_18offset_tEEE10hipError_tPvRmT1_PNSt15iterator_traitsIS12_E10value_typeET2_T3_PNS13_IS18_E10value_typeET4_jRbjT5_S1E_jjP12ihipStream_tbEUljE_ZNSN_ISO_Lb0ESQ_SR_ST_SU_SY_EESZ_S10_S11_S12_S16_S17_S18_S1B_S1C_jS1D_jS1E_S1E_jjS1G_bEUljE0_EEESZ_S10_S11_S18_S1C_S1E_T6_T7_T9_mT8_S1G_bDpT10_ENKUlT_T0_E_clISt17integral_constantIbLb0EES1T_IbLb1EEEEDaS1P_S1Q_EUlS1P_E_NS1_11comp_targetILNS1_3genE3ELNS1_11target_archE908ELNS1_3gpuE7ELNS1_3repE0EEENS1_30default_config_static_selectorELNS0_4arch9wavefront6targetE0EEEvS12_.has_dyn_sized_stack, 0
	.set _ZN7rocprim17ROCPRIM_400000_NS6detail17trampoline_kernelINS0_13select_configILj256ELj13ELNS0_17block_load_methodE3ELS4_3ELS4_3ELNS0_20block_scan_algorithmE0ELj4294967295EEENS1_25partition_config_selectorILNS1_17partition_subalgoE4EjNS0_10empty_typeEbEEZZNS1_14partition_implILS8_4ELb0ES6_15HIP_vector_typeIjLj2EENS0_17counting_iteratorIjlEEPS9_SG_NS0_5tupleIJPjSI_NS0_16reverse_iteratorISI_EEEEENSH_IJSG_SG_SG_EEES9_SI_JZNS1_25segmented_radix_sort_implINS0_14default_configELb0EPKdPdPKlPlN2at6native12_GLOBAL__N_18offset_tEEE10hipError_tPvRmT1_PNSt15iterator_traitsIS12_E10value_typeET2_T3_PNS13_IS18_E10value_typeET4_jRbjT5_S1E_jjP12ihipStream_tbEUljE_ZNSN_ISO_Lb0ESQ_SR_ST_SU_SY_EESZ_S10_S11_S12_S16_S17_S18_S1B_S1C_jS1D_jS1E_S1E_jjS1G_bEUljE0_EEESZ_S10_S11_S18_S1C_S1E_T6_T7_T9_mT8_S1G_bDpT10_ENKUlT_T0_E_clISt17integral_constantIbLb0EES1T_IbLb1EEEEDaS1P_S1Q_EUlS1P_E_NS1_11comp_targetILNS1_3genE3ELNS1_11target_archE908ELNS1_3gpuE7ELNS1_3repE0EEENS1_30default_config_static_selectorELNS0_4arch9wavefront6targetE0EEEvS12_.has_recursion, 0
	.set _ZN7rocprim17ROCPRIM_400000_NS6detail17trampoline_kernelINS0_13select_configILj256ELj13ELNS0_17block_load_methodE3ELS4_3ELS4_3ELNS0_20block_scan_algorithmE0ELj4294967295EEENS1_25partition_config_selectorILNS1_17partition_subalgoE4EjNS0_10empty_typeEbEEZZNS1_14partition_implILS8_4ELb0ES6_15HIP_vector_typeIjLj2EENS0_17counting_iteratorIjlEEPS9_SG_NS0_5tupleIJPjSI_NS0_16reverse_iteratorISI_EEEEENSH_IJSG_SG_SG_EEES9_SI_JZNS1_25segmented_radix_sort_implINS0_14default_configELb0EPKdPdPKlPlN2at6native12_GLOBAL__N_18offset_tEEE10hipError_tPvRmT1_PNSt15iterator_traitsIS12_E10value_typeET2_T3_PNS13_IS18_E10value_typeET4_jRbjT5_S1E_jjP12ihipStream_tbEUljE_ZNSN_ISO_Lb0ESQ_SR_ST_SU_SY_EESZ_S10_S11_S12_S16_S17_S18_S1B_S1C_jS1D_jS1E_S1E_jjS1G_bEUljE0_EEESZ_S10_S11_S18_S1C_S1E_T6_T7_T9_mT8_S1G_bDpT10_ENKUlT_T0_E_clISt17integral_constantIbLb0EES1T_IbLb1EEEEDaS1P_S1Q_EUlS1P_E_NS1_11comp_targetILNS1_3genE3ELNS1_11target_archE908ELNS1_3gpuE7ELNS1_3repE0EEENS1_30default_config_static_selectorELNS0_4arch9wavefront6targetE0EEEvS12_.has_indirect_call, 0
	.section	.AMDGPU.csdata,"",@progbits
; Kernel info:
; codeLenInByte = 0
; TotalNumSgprs: 0
; NumVgprs: 0
; ScratchSize: 0
; MemoryBound: 0
; FloatMode: 240
; IeeeMode: 1
; LDSByteSize: 0 bytes/workgroup (compile time only)
; SGPRBlocks: 0
; VGPRBlocks: 0
; NumSGPRsForWavesPerEU: 1
; NumVGPRsForWavesPerEU: 1
; Occupancy: 16
; WaveLimiterHint : 0
; COMPUTE_PGM_RSRC2:SCRATCH_EN: 0
; COMPUTE_PGM_RSRC2:USER_SGPR: 6
; COMPUTE_PGM_RSRC2:TRAP_HANDLER: 0
; COMPUTE_PGM_RSRC2:TGID_X_EN: 1
; COMPUTE_PGM_RSRC2:TGID_Y_EN: 0
; COMPUTE_PGM_RSRC2:TGID_Z_EN: 0
; COMPUTE_PGM_RSRC2:TIDIG_COMP_CNT: 0
	.section	.text._ZN7rocprim17ROCPRIM_400000_NS6detail17trampoline_kernelINS0_13select_configILj256ELj13ELNS0_17block_load_methodE3ELS4_3ELS4_3ELNS0_20block_scan_algorithmE0ELj4294967295EEENS1_25partition_config_selectorILNS1_17partition_subalgoE4EjNS0_10empty_typeEbEEZZNS1_14partition_implILS8_4ELb0ES6_15HIP_vector_typeIjLj2EENS0_17counting_iteratorIjlEEPS9_SG_NS0_5tupleIJPjSI_NS0_16reverse_iteratorISI_EEEEENSH_IJSG_SG_SG_EEES9_SI_JZNS1_25segmented_radix_sort_implINS0_14default_configELb0EPKdPdPKlPlN2at6native12_GLOBAL__N_18offset_tEEE10hipError_tPvRmT1_PNSt15iterator_traitsIS12_E10value_typeET2_T3_PNS13_IS18_E10value_typeET4_jRbjT5_S1E_jjP12ihipStream_tbEUljE_ZNSN_ISO_Lb0ESQ_SR_ST_SU_SY_EESZ_S10_S11_S12_S16_S17_S18_S1B_S1C_jS1D_jS1E_S1E_jjS1G_bEUljE0_EEESZ_S10_S11_S18_S1C_S1E_T6_T7_T9_mT8_S1G_bDpT10_ENKUlT_T0_E_clISt17integral_constantIbLb0EES1T_IbLb1EEEEDaS1P_S1Q_EUlS1P_E_NS1_11comp_targetILNS1_3genE2ELNS1_11target_archE906ELNS1_3gpuE6ELNS1_3repE0EEENS1_30default_config_static_selectorELNS0_4arch9wavefront6targetE0EEEvS12_,"axG",@progbits,_ZN7rocprim17ROCPRIM_400000_NS6detail17trampoline_kernelINS0_13select_configILj256ELj13ELNS0_17block_load_methodE3ELS4_3ELS4_3ELNS0_20block_scan_algorithmE0ELj4294967295EEENS1_25partition_config_selectorILNS1_17partition_subalgoE4EjNS0_10empty_typeEbEEZZNS1_14partition_implILS8_4ELb0ES6_15HIP_vector_typeIjLj2EENS0_17counting_iteratorIjlEEPS9_SG_NS0_5tupleIJPjSI_NS0_16reverse_iteratorISI_EEEEENSH_IJSG_SG_SG_EEES9_SI_JZNS1_25segmented_radix_sort_implINS0_14default_configELb0EPKdPdPKlPlN2at6native12_GLOBAL__N_18offset_tEEE10hipError_tPvRmT1_PNSt15iterator_traitsIS12_E10value_typeET2_T3_PNS13_IS18_E10value_typeET4_jRbjT5_S1E_jjP12ihipStream_tbEUljE_ZNSN_ISO_Lb0ESQ_SR_ST_SU_SY_EESZ_S10_S11_S12_S16_S17_S18_S1B_S1C_jS1D_jS1E_S1E_jjS1G_bEUljE0_EEESZ_S10_S11_S18_S1C_S1E_T6_T7_T9_mT8_S1G_bDpT10_ENKUlT_T0_E_clISt17integral_constantIbLb0EES1T_IbLb1EEEEDaS1P_S1Q_EUlS1P_E_NS1_11comp_targetILNS1_3genE2ELNS1_11target_archE906ELNS1_3gpuE6ELNS1_3repE0EEENS1_30default_config_static_selectorELNS0_4arch9wavefront6targetE0EEEvS12_,comdat
	.globl	_ZN7rocprim17ROCPRIM_400000_NS6detail17trampoline_kernelINS0_13select_configILj256ELj13ELNS0_17block_load_methodE3ELS4_3ELS4_3ELNS0_20block_scan_algorithmE0ELj4294967295EEENS1_25partition_config_selectorILNS1_17partition_subalgoE4EjNS0_10empty_typeEbEEZZNS1_14partition_implILS8_4ELb0ES6_15HIP_vector_typeIjLj2EENS0_17counting_iteratorIjlEEPS9_SG_NS0_5tupleIJPjSI_NS0_16reverse_iteratorISI_EEEEENSH_IJSG_SG_SG_EEES9_SI_JZNS1_25segmented_radix_sort_implINS0_14default_configELb0EPKdPdPKlPlN2at6native12_GLOBAL__N_18offset_tEEE10hipError_tPvRmT1_PNSt15iterator_traitsIS12_E10value_typeET2_T3_PNS13_IS18_E10value_typeET4_jRbjT5_S1E_jjP12ihipStream_tbEUljE_ZNSN_ISO_Lb0ESQ_SR_ST_SU_SY_EESZ_S10_S11_S12_S16_S17_S18_S1B_S1C_jS1D_jS1E_S1E_jjS1G_bEUljE0_EEESZ_S10_S11_S18_S1C_S1E_T6_T7_T9_mT8_S1G_bDpT10_ENKUlT_T0_E_clISt17integral_constantIbLb0EES1T_IbLb1EEEEDaS1P_S1Q_EUlS1P_E_NS1_11comp_targetILNS1_3genE2ELNS1_11target_archE906ELNS1_3gpuE6ELNS1_3repE0EEENS1_30default_config_static_selectorELNS0_4arch9wavefront6targetE0EEEvS12_ ; -- Begin function _ZN7rocprim17ROCPRIM_400000_NS6detail17trampoline_kernelINS0_13select_configILj256ELj13ELNS0_17block_load_methodE3ELS4_3ELS4_3ELNS0_20block_scan_algorithmE0ELj4294967295EEENS1_25partition_config_selectorILNS1_17partition_subalgoE4EjNS0_10empty_typeEbEEZZNS1_14partition_implILS8_4ELb0ES6_15HIP_vector_typeIjLj2EENS0_17counting_iteratorIjlEEPS9_SG_NS0_5tupleIJPjSI_NS0_16reverse_iteratorISI_EEEEENSH_IJSG_SG_SG_EEES9_SI_JZNS1_25segmented_radix_sort_implINS0_14default_configELb0EPKdPdPKlPlN2at6native12_GLOBAL__N_18offset_tEEE10hipError_tPvRmT1_PNSt15iterator_traitsIS12_E10value_typeET2_T3_PNS13_IS18_E10value_typeET4_jRbjT5_S1E_jjP12ihipStream_tbEUljE_ZNSN_ISO_Lb0ESQ_SR_ST_SU_SY_EESZ_S10_S11_S12_S16_S17_S18_S1B_S1C_jS1D_jS1E_S1E_jjS1G_bEUljE0_EEESZ_S10_S11_S18_S1C_S1E_T6_T7_T9_mT8_S1G_bDpT10_ENKUlT_T0_E_clISt17integral_constantIbLb0EES1T_IbLb1EEEEDaS1P_S1Q_EUlS1P_E_NS1_11comp_targetILNS1_3genE2ELNS1_11target_archE906ELNS1_3gpuE6ELNS1_3repE0EEENS1_30default_config_static_selectorELNS0_4arch9wavefront6targetE0EEEvS12_
	.p2align	8
	.type	_ZN7rocprim17ROCPRIM_400000_NS6detail17trampoline_kernelINS0_13select_configILj256ELj13ELNS0_17block_load_methodE3ELS4_3ELS4_3ELNS0_20block_scan_algorithmE0ELj4294967295EEENS1_25partition_config_selectorILNS1_17partition_subalgoE4EjNS0_10empty_typeEbEEZZNS1_14partition_implILS8_4ELb0ES6_15HIP_vector_typeIjLj2EENS0_17counting_iteratorIjlEEPS9_SG_NS0_5tupleIJPjSI_NS0_16reverse_iteratorISI_EEEEENSH_IJSG_SG_SG_EEES9_SI_JZNS1_25segmented_radix_sort_implINS0_14default_configELb0EPKdPdPKlPlN2at6native12_GLOBAL__N_18offset_tEEE10hipError_tPvRmT1_PNSt15iterator_traitsIS12_E10value_typeET2_T3_PNS13_IS18_E10value_typeET4_jRbjT5_S1E_jjP12ihipStream_tbEUljE_ZNSN_ISO_Lb0ESQ_SR_ST_SU_SY_EESZ_S10_S11_S12_S16_S17_S18_S1B_S1C_jS1D_jS1E_S1E_jjS1G_bEUljE0_EEESZ_S10_S11_S18_S1C_S1E_T6_T7_T9_mT8_S1G_bDpT10_ENKUlT_T0_E_clISt17integral_constantIbLb0EES1T_IbLb1EEEEDaS1P_S1Q_EUlS1P_E_NS1_11comp_targetILNS1_3genE2ELNS1_11target_archE906ELNS1_3gpuE6ELNS1_3repE0EEENS1_30default_config_static_selectorELNS0_4arch9wavefront6targetE0EEEvS12_,@function
_ZN7rocprim17ROCPRIM_400000_NS6detail17trampoline_kernelINS0_13select_configILj256ELj13ELNS0_17block_load_methodE3ELS4_3ELS4_3ELNS0_20block_scan_algorithmE0ELj4294967295EEENS1_25partition_config_selectorILNS1_17partition_subalgoE4EjNS0_10empty_typeEbEEZZNS1_14partition_implILS8_4ELb0ES6_15HIP_vector_typeIjLj2EENS0_17counting_iteratorIjlEEPS9_SG_NS0_5tupleIJPjSI_NS0_16reverse_iteratorISI_EEEEENSH_IJSG_SG_SG_EEES9_SI_JZNS1_25segmented_radix_sort_implINS0_14default_configELb0EPKdPdPKlPlN2at6native12_GLOBAL__N_18offset_tEEE10hipError_tPvRmT1_PNSt15iterator_traitsIS12_E10value_typeET2_T3_PNS13_IS18_E10value_typeET4_jRbjT5_S1E_jjP12ihipStream_tbEUljE_ZNSN_ISO_Lb0ESQ_SR_ST_SU_SY_EESZ_S10_S11_S12_S16_S17_S18_S1B_S1C_jS1D_jS1E_S1E_jjS1G_bEUljE0_EEESZ_S10_S11_S18_S1C_S1E_T6_T7_T9_mT8_S1G_bDpT10_ENKUlT_T0_E_clISt17integral_constantIbLb0EES1T_IbLb1EEEEDaS1P_S1Q_EUlS1P_E_NS1_11comp_targetILNS1_3genE2ELNS1_11target_archE906ELNS1_3gpuE6ELNS1_3repE0EEENS1_30default_config_static_selectorELNS0_4arch9wavefront6targetE0EEEvS12_: ; @_ZN7rocprim17ROCPRIM_400000_NS6detail17trampoline_kernelINS0_13select_configILj256ELj13ELNS0_17block_load_methodE3ELS4_3ELS4_3ELNS0_20block_scan_algorithmE0ELj4294967295EEENS1_25partition_config_selectorILNS1_17partition_subalgoE4EjNS0_10empty_typeEbEEZZNS1_14partition_implILS8_4ELb0ES6_15HIP_vector_typeIjLj2EENS0_17counting_iteratorIjlEEPS9_SG_NS0_5tupleIJPjSI_NS0_16reverse_iteratorISI_EEEEENSH_IJSG_SG_SG_EEES9_SI_JZNS1_25segmented_radix_sort_implINS0_14default_configELb0EPKdPdPKlPlN2at6native12_GLOBAL__N_18offset_tEEE10hipError_tPvRmT1_PNSt15iterator_traitsIS12_E10value_typeET2_T3_PNS13_IS18_E10value_typeET4_jRbjT5_S1E_jjP12ihipStream_tbEUljE_ZNSN_ISO_Lb0ESQ_SR_ST_SU_SY_EESZ_S10_S11_S12_S16_S17_S18_S1B_S1C_jS1D_jS1E_S1E_jjS1G_bEUljE0_EEESZ_S10_S11_S18_S1C_S1E_T6_T7_T9_mT8_S1G_bDpT10_ENKUlT_T0_E_clISt17integral_constantIbLb0EES1T_IbLb1EEEEDaS1P_S1Q_EUlS1P_E_NS1_11comp_targetILNS1_3genE2ELNS1_11target_archE906ELNS1_3gpuE6ELNS1_3repE0EEENS1_30default_config_static_selectorELNS0_4arch9wavefront6targetE0EEEvS12_
; %bb.0:
	.section	.rodata,"a",@progbits
	.p2align	6, 0x0
	.amdhsa_kernel _ZN7rocprim17ROCPRIM_400000_NS6detail17trampoline_kernelINS0_13select_configILj256ELj13ELNS0_17block_load_methodE3ELS4_3ELS4_3ELNS0_20block_scan_algorithmE0ELj4294967295EEENS1_25partition_config_selectorILNS1_17partition_subalgoE4EjNS0_10empty_typeEbEEZZNS1_14partition_implILS8_4ELb0ES6_15HIP_vector_typeIjLj2EENS0_17counting_iteratorIjlEEPS9_SG_NS0_5tupleIJPjSI_NS0_16reverse_iteratorISI_EEEEENSH_IJSG_SG_SG_EEES9_SI_JZNS1_25segmented_radix_sort_implINS0_14default_configELb0EPKdPdPKlPlN2at6native12_GLOBAL__N_18offset_tEEE10hipError_tPvRmT1_PNSt15iterator_traitsIS12_E10value_typeET2_T3_PNS13_IS18_E10value_typeET4_jRbjT5_S1E_jjP12ihipStream_tbEUljE_ZNSN_ISO_Lb0ESQ_SR_ST_SU_SY_EESZ_S10_S11_S12_S16_S17_S18_S1B_S1C_jS1D_jS1E_S1E_jjS1G_bEUljE0_EEESZ_S10_S11_S18_S1C_S1E_T6_T7_T9_mT8_S1G_bDpT10_ENKUlT_T0_E_clISt17integral_constantIbLb0EES1T_IbLb1EEEEDaS1P_S1Q_EUlS1P_E_NS1_11comp_targetILNS1_3genE2ELNS1_11target_archE906ELNS1_3gpuE6ELNS1_3repE0EEENS1_30default_config_static_selectorELNS0_4arch9wavefront6targetE0EEEvS12_
		.amdhsa_group_segment_fixed_size 0
		.amdhsa_private_segment_fixed_size 0
		.amdhsa_kernarg_size 184
		.amdhsa_user_sgpr_count 6
		.amdhsa_user_sgpr_private_segment_buffer 1
		.amdhsa_user_sgpr_dispatch_ptr 0
		.amdhsa_user_sgpr_queue_ptr 0
		.amdhsa_user_sgpr_kernarg_segment_ptr 1
		.amdhsa_user_sgpr_dispatch_id 0
		.amdhsa_user_sgpr_flat_scratch_init 0
		.amdhsa_user_sgpr_private_segment_size 0
		.amdhsa_wavefront_size32 1
		.amdhsa_uses_dynamic_stack 0
		.amdhsa_system_sgpr_private_segment_wavefront_offset 0
		.amdhsa_system_sgpr_workgroup_id_x 1
		.amdhsa_system_sgpr_workgroup_id_y 0
		.amdhsa_system_sgpr_workgroup_id_z 0
		.amdhsa_system_sgpr_workgroup_info 0
		.amdhsa_system_vgpr_workitem_id 0
		.amdhsa_next_free_vgpr 1
		.amdhsa_next_free_sgpr 1
		.amdhsa_reserve_vcc 0
		.amdhsa_reserve_flat_scratch 0
		.amdhsa_float_round_mode_32 0
		.amdhsa_float_round_mode_16_64 0
		.amdhsa_float_denorm_mode_32 3
		.amdhsa_float_denorm_mode_16_64 3
		.amdhsa_dx10_clamp 1
		.amdhsa_ieee_mode 1
		.amdhsa_fp16_overflow 0
		.amdhsa_workgroup_processor_mode 1
		.amdhsa_memory_ordered 1
		.amdhsa_forward_progress 1
		.amdhsa_shared_vgpr_count 0
		.amdhsa_exception_fp_ieee_invalid_op 0
		.amdhsa_exception_fp_denorm_src 0
		.amdhsa_exception_fp_ieee_div_zero 0
		.amdhsa_exception_fp_ieee_overflow 0
		.amdhsa_exception_fp_ieee_underflow 0
		.amdhsa_exception_fp_ieee_inexact 0
		.amdhsa_exception_int_div_zero 0
	.end_amdhsa_kernel
	.section	.text._ZN7rocprim17ROCPRIM_400000_NS6detail17trampoline_kernelINS0_13select_configILj256ELj13ELNS0_17block_load_methodE3ELS4_3ELS4_3ELNS0_20block_scan_algorithmE0ELj4294967295EEENS1_25partition_config_selectorILNS1_17partition_subalgoE4EjNS0_10empty_typeEbEEZZNS1_14partition_implILS8_4ELb0ES6_15HIP_vector_typeIjLj2EENS0_17counting_iteratorIjlEEPS9_SG_NS0_5tupleIJPjSI_NS0_16reverse_iteratorISI_EEEEENSH_IJSG_SG_SG_EEES9_SI_JZNS1_25segmented_radix_sort_implINS0_14default_configELb0EPKdPdPKlPlN2at6native12_GLOBAL__N_18offset_tEEE10hipError_tPvRmT1_PNSt15iterator_traitsIS12_E10value_typeET2_T3_PNS13_IS18_E10value_typeET4_jRbjT5_S1E_jjP12ihipStream_tbEUljE_ZNSN_ISO_Lb0ESQ_SR_ST_SU_SY_EESZ_S10_S11_S12_S16_S17_S18_S1B_S1C_jS1D_jS1E_S1E_jjS1G_bEUljE0_EEESZ_S10_S11_S18_S1C_S1E_T6_T7_T9_mT8_S1G_bDpT10_ENKUlT_T0_E_clISt17integral_constantIbLb0EES1T_IbLb1EEEEDaS1P_S1Q_EUlS1P_E_NS1_11comp_targetILNS1_3genE2ELNS1_11target_archE906ELNS1_3gpuE6ELNS1_3repE0EEENS1_30default_config_static_selectorELNS0_4arch9wavefront6targetE0EEEvS12_,"axG",@progbits,_ZN7rocprim17ROCPRIM_400000_NS6detail17trampoline_kernelINS0_13select_configILj256ELj13ELNS0_17block_load_methodE3ELS4_3ELS4_3ELNS0_20block_scan_algorithmE0ELj4294967295EEENS1_25partition_config_selectorILNS1_17partition_subalgoE4EjNS0_10empty_typeEbEEZZNS1_14partition_implILS8_4ELb0ES6_15HIP_vector_typeIjLj2EENS0_17counting_iteratorIjlEEPS9_SG_NS0_5tupleIJPjSI_NS0_16reverse_iteratorISI_EEEEENSH_IJSG_SG_SG_EEES9_SI_JZNS1_25segmented_radix_sort_implINS0_14default_configELb0EPKdPdPKlPlN2at6native12_GLOBAL__N_18offset_tEEE10hipError_tPvRmT1_PNSt15iterator_traitsIS12_E10value_typeET2_T3_PNS13_IS18_E10value_typeET4_jRbjT5_S1E_jjP12ihipStream_tbEUljE_ZNSN_ISO_Lb0ESQ_SR_ST_SU_SY_EESZ_S10_S11_S12_S16_S17_S18_S1B_S1C_jS1D_jS1E_S1E_jjS1G_bEUljE0_EEESZ_S10_S11_S18_S1C_S1E_T6_T7_T9_mT8_S1G_bDpT10_ENKUlT_T0_E_clISt17integral_constantIbLb0EES1T_IbLb1EEEEDaS1P_S1Q_EUlS1P_E_NS1_11comp_targetILNS1_3genE2ELNS1_11target_archE906ELNS1_3gpuE6ELNS1_3repE0EEENS1_30default_config_static_selectorELNS0_4arch9wavefront6targetE0EEEvS12_,comdat
.Lfunc_end1177:
	.size	_ZN7rocprim17ROCPRIM_400000_NS6detail17trampoline_kernelINS0_13select_configILj256ELj13ELNS0_17block_load_methodE3ELS4_3ELS4_3ELNS0_20block_scan_algorithmE0ELj4294967295EEENS1_25partition_config_selectorILNS1_17partition_subalgoE4EjNS0_10empty_typeEbEEZZNS1_14partition_implILS8_4ELb0ES6_15HIP_vector_typeIjLj2EENS0_17counting_iteratorIjlEEPS9_SG_NS0_5tupleIJPjSI_NS0_16reverse_iteratorISI_EEEEENSH_IJSG_SG_SG_EEES9_SI_JZNS1_25segmented_radix_sort_implINS0_14default_configELb0EPKdPdPKlPlN2at6native12_GLOBAL__N_18offset_tEEE10hipError_tPvRmT1_PNSt15iterator_traitsIS12_E10value_typeET2_T3_PNS13_IS18_E10value_typeET4_jRbjT5_S1E_jjP12ihipStream_tbEUljE_ZNSN_ISO_Lb0ESQ_SR_ST_SU_SY_EESZ_S10_S11_S12_S16_S17_S18_S1B_S1C_jS1D_jS1E_S1E_jjS1G_bEUljE0_EEESZ_S10_S11_S18_S1C_S1E_T6_T7_T9_mT8_S1G_bDpT10_ENKUlT_T0_E_clISt17integral_constantIbLb0EES1T_IbLb1EEEEDaS1P_S1Q_EUlS1P_E_NS1_11comp_targetILNS1_3genE2ELNS1_11target_archE906ELNS1_3gpuE6ELNS1_3repE0EEENS1_30default_config_static_selectorELNS0_4arch9wavefront6targetE0EEEvS12_, .Lfunc_end1177-_ZN7rocprim17ROCPRIM_400000_NS6detail17trampoline_kernelINS0_13select_configILj256ELj13ELNS0_17block_load_methodE3ELS4_3ELS4_3ELNS0_20block_scan_algorithmE0ELj4294967295EEENS1_25partition_config_selectorILNS1_17partition_subalgoE4EjNS0_10empty_typeEbEEZZNS1_14partition_implILS8_4ELb0ES6_15HIP_vector_typeIjLj2EENS0_17counting_iteratorIjlEEPS9_SG_NS0_5tupleIJPjSI_NS0_16reverse_iteratorISI_EEEEENSH_IJSG_SG_SG_EEES9_SI_JZNS1_25segmented_radix_sort_implINS0_14default_configELb0EPKdPdPKlPlN2at6native12_GLOBAL__N_18offset_tEEE10hipError_tPvRmT1_PNSt15iterator_traitsIS12_E10value_typeET2_T3_PNS13_IS18_E10value_typeET4_jRbjT5_S1E_jjP12ihipStream_tbEUljE_ZNSN_ISO_Lb0ESQ_SR_ST_SU_SY_EESZ_S10_S11_S12_S16_S17_S18_S1B_S1C_jS1D_jS1E_S1E_jjS1G_bEUljE0_EEESZ_S10_S11_S18_S1C_S1E_T6_T7_T9_mT8_S1G_bDpT10_ENKUlT_T0_E_clISt17integral_constantIbLb0EES1T_IbLb1EEEEDaS1P_S1Q_EUlS1P_E_NS1_11comp_targetILNS1_3genE2ELNS1_11target_archE906ELNS1_3gpuE6ELNS1_3repE0EEENS1_30default_config_static_selectorELNS0_4arch9wavefront6targetE0EEEvS12_
                                        ; -- End function
	.set _ZN7rocprim17ROCPRIM_400000_NS6detail17trampoline_kernelINS0_13select_configILj256ELj13ELNS0_17block_load_methodE3ELS4_3ELS4_3ELNS0_20block_scan_algorithmE0ELj4294967295EEENS1_25partition_config_selectorILNS1_17partition_subalgoE4EjNS0_10empty_typeEbEEZZNS1_14partition_implILS8_4ELb0ES6_15HIP_vector_typeIjLj2EENS0_17counting_iteratorIjlEEPS9_SG_NS0_5tupleIJPjSI_NS0_16reverse_iteratorISI_EEEEENSH_IJSG_SG_SG_EEES9_SI_JZNS1_25segmented_radix_sort_implINS0_14default_configELb0EPKdPdPKlPlN2at6native12_GLOBAL__N_18offset_tEEE10hipError_tPvRmT1_PNSt15iterator_traitsIS12_E10value_typeET2_T3_PNS13_IS18_E10value_typeET4_jRbjT5_S1E_jjP12ihipStream_tbEUljE_ZNSN_ISO_Lb0ESQ_SR_ST_SU_SY_EESZ_S10_S11_S12_S16_S17_S18_S1B_S1C_jS1D_jS1E_S1E_jjS1G_bEUljE0_EEESZ_S10_S11_S18_S1C_S1E_T6_T7_T9_mT8_S1G_bDpT10_ENKUlT_T0_E_clISt17integral_constantIbLb0EES1T_IbLb1EEEEDaS1P_S1Q_EUlS1P_E_NS1_11comp_targetILNS1_3genE2ELNS1_11target_archE906ELNS1_3gpuE6ELNS1_3repE0EEENS1_30default_config_static_selectorELNS0_4arch9wavefront6targetE0EEEvS12_.num_vgpr, 0
	.set _ZN7rocprim17ROCPRIM_400000_NS6detail17trampoline_kernelINS0_13select_configILj256ELj13ELNS0_17block_load_methodE3ELS4_3ELS4_3ELNS0_20block_scan_algorithmE0ELj4294967295EEENS1_25partition_config_selectorILNS1_17partition_subalgoE4EjNS0_10empty_typeEbEEZZNS1_14partition_implILS8_4ELb0ES6_15HIP_vector_typeIjLj2EENS0_17counting_iteratorIjlEEPS9_SG_NS0_5tupleIJPjSI_NS0_16reverse_iteratorISI_EEEEENSH_IJSG_SG_SG_EEES9_SI_JZNS1_25segmented_radix_sort_implINS0_14default_configELb0EPKdPdPKlPlN2at6native12_GLOBAL__N_18offset_tEEE10hipError_tPvRmT1_PNSt15iterator_traitsIS12_E10value_typeET2_T3_PNS13_IS18_E10value_typeET4_jRbjT5_S1E_jjP12ihipStream_tbEUljE_ZNSN_ISO_Lb0ESQ_SR_ST_SU_SY_EESZ_S10_S11_S12_S16_S17_S18_S1B_S1C_jS1D_jS1E_S1E_jjS1G_bEUljE0_EEESZ_S10_S11_S18_S1C_S1E_T6_T7_T9_mT8_S1G_bDpT10_ENKUlT_T0_E_clISt17integral_constantIbLb0EES1T_IbLb1EEEEDaS1P_S1Q_EUlS1P_E_NS1_11comp_targetILNS1_3genE2ELNS1_11target_archE906ELNS1_3gpuE6ELNS1_3repE0EEENS1_30default_config_static_selectorELNS0_4arch9wavefront6targetE0EEEvS12_.num_agpr, 0
	.set _ZN7rocprim17ROCPRIM_400000_NS6detail17trampoline_kernelINS0_13select_configILj256ELj13ELNS0_17block_load_methodE3ELS4_3ELS4_3ELNS0_20block_scan_algorithmE0ELj4294967295EEENS1_25partition_config_selectorILNS1_17partition_subalgoE4EjNS0_10empty_typeEbEEZZNS1_14partition_implILS8_4ELb0ES6_15HIP_vector_typeIjLj2EENS0_17counting_iteratorIjlEEPS9_SG_NS0_5tupleIJPjSI_NS0_16reverse_iteratorISI_EEEEENSH_IJSG_SG_SG_EEES9_SI_JZNS1_25segmented_radix_sort_implINS0_14default_configELb0EPKdPdPKlPlN2at6native12_GLOBAL__N_18offset_tEEE10hipError_tPvRmT1_PNSt15iterator_traitsIS12_E10value_typeET2_T3_PNS13_IS18_E10value_typeET4_jRbjT5_S1E_jjP12ihipStream_tbEUljE_ZNSN_ISO_Lb0ESQ_SR_ST_SU_SY_EESZ_S10_S11_S12_S16_S17_S18_S1B_S1C_jS1D_jS1E_S1E_jjS1G_bEUljE0_EEESZ_S10_S11_S18_S1C_S1E_T6_T7_T9_mT8_S1G_bDpT10_ENKUlT_T0_E_clISt17integral_constantIbLb0EES1T_IbLb1EEEEDaS1P_S1Q_EUlS1P_E_NS1_11comp_targetILNS1_3genE2ELNS1_11target_archE906ELNS1_3gpuE6ELNS1_3repE0EEENS1_30default_config_static_selectorELNS0_4arch9wavefront6targetE0EEEvS12_.numbered_sgpr, 0
	.set _ZN7rocprim17ROCPRIM_400000_NS6detail17trampoline_kernelINS0_13select_configILj256ELj13ELNS0_17block_load_methodE3ELS4_3ELS4_3ELNS0_20block_scan_algorithmE0ELj4294967295EEENS1_25partition_config_selectorILNS1_17partition_subalgoE4EjNS0_10empty_typeEbEEZZNS1_14partition_implILS8_4ELb0ES6_15HIP_vector_typeIjLj2EENS0_17counting_iteratorIjlEEPS9_SG_NS0_5tupleIJPjSI_NS0_16reverse_iteratorISI_EEEEENSH_IJSG_SG_SG_EEES9_SI_JZNS1_25segmented_radix_sort_implINS0_14default_configELb0EPKdPdPKlPlN2at6native12_GLOBAL__N_18offset_tEEE10hipError_tPvRmT1_PNSt15iterator_traitsIS12_E10value_typeET2_T3_PNS13_IS18_E10value_typeET4_jRbjT5_S1E_jjP12ihipStream_tbEUljE_ZNSN_ISO_Lb0ESQ_SR_ST_SU_SY_EESZ_S10_S11_S12_S16_S17_S18_S1B_S1C_jS1D_jS1E_S1E_jjS1G_bEUljE0_EEESZ_S10_S11_S18_S1C_S1E_T6_T7_T9_mT8_S1G_bDpT10_ENKUlT_T0_E_clISt17integral_constantIbLb0EES1T_IbLb1EEEEDaS1P_S1Q_EUlS1P_E_NS1_11comp_targetILNS1_3genE2ELNS1_11target_archE906ELNS1_3gpuE6ELNS1_3repE0EEENS1_30default_config_static_selectorELNS0_4arch9wavefront6targetE0EEEvS12_.num_named_barrier, 0
	.set _ZN7rocprim17ROCPRIM_400000_NS6detail17trampoline_kernelINS0_13select_configILj256ELj13ELNS0_17block_load_methodE3ELS4_3ELS4_3ELNS0_20block_scan_algorithmE0ELj4294967295EEENS1_25partition_config_selectorILNS1_17partition_subalgoE4EjNS0_10empty_typeEbEEZZNS1_14partition_implILS8_4ELb0ES6_15HIP_vector_typeIjLj2EENS0_17counting_iteratorIjlEEPS9_SG_NS0_5tupleIJPjSI_NS0_16reverse_iteratorISI_EEEEENSH_IJSG_SG_SG_EEES9_SI_JZNS1_25segmented_radix_sort_implINS0_14default_configELb0EPKdPdPKlPlN2at6native12_GLOBAL__N_18offset_tEEE10hipError_tPvRmT1_PNSt15iterator_traitsIS12_E10value_typeET2_T3_PNS13_IS18_E10value_typeET4_jRbjT5_S1E_jjP12ihipStream_tbEUljE_ZNSN_ISO_Lb0ESQ_SR_ST_SU_SY_EESZ_S10_S11_S12_S16_S17_S18_S1B_S1C_jS1D_jS1E_S1E_jjS1G_bEUljE0_EEESZ_S10_S11_S18_S1C_S1E_T6_T7_T9_mT8_S1G_bDpT10_ENKUlT_T0_E_clISt17integral_constantIbLb0EES1T_IbLb1EEEEDaS1P_S1Q_EUlS1P_E_NS1_11comp_targetILNS1_3genE2ELNS1_11target_archE906ELNS1_3gpuE6ELNS1_3repE0EEENS1_30default_config_static_selectorELNS0_4arch9wavefront6targetE0EEEvS12_.private_seg_size, 0
	.set _ZN7rocprim17ROCPRIM_400000_NS6detail17trampoline_kernelINS0_13select_configILj256ELj13ELNS0_17block_load_methodE3ELS4_3ELS4_3ELNS0_20block_scan_algorithmE0ELj4294967295EEENS1_25partition_config_selectorILNS1_17partition_subalgoE4EjNS0_10empty_typeEbEEZZNS1_14partition_implILS8_4ELb0ES6_15HIP_vector_typeIjLj2EENS0_17counting_iteratorIjlEEPS9_SG_NS0_5tupleIJPjSI_NS0_16reverse_iteratorISI_EEEEENSH_IJSG_SG_SG_EEES9_SI_JZNS1_25segmented_radix_sort_implINS0_14default_configELb0EPKdPdPKlPlN2at6native12_GLOBAL__N_18offset_tEEE10hipError_tPvRmT1_PNSt15iterator_traitsIS12_E10value_typeET2_T3_PNS13_IS18_E10value_typeET4_jRbjT5_S1E_jjP12ihipStream_tbEUljE_ZNSN_ISO_Lb0ESQ_SR_ST_SU_SY_EESZ_S10_S11_S12_S16_S17_S18_S1B_S1C_jS1D_jS1E_S1E_jjS1G_bEUljE0_EEESZ_S10_S11_S18_S1C_S1E_T6_T7_T9_mT8_S1G_bDpT10_ENKUlT_T0_E_clISt17integral_constantIbLb0EES1T_IbLb1EEEEDaS1P_S1Q_EUlS1P_E_NS1_11comp_targetILNS1_3genE2ELNS1_11target_archE906ELNS1_3gpuE6ELNS1_3repE0EEENS1_30default_config_static_selectorELNS0_4arch9wavefront6targetE0EEEvS12_.uses_vcc, 0
	.set _ZN7rocprim17ROCPRIM_400000_NS6detail17trampoline_kernelINS0_13select_configILj256ELj13ELNS0_17block_load_methodE3ELS4_3ELS4_3ELNS0_20block_scan_algorithmE0ELj4294967295EEENS1_25partition_config_selectorILNS1_17partition_subalgoE4EjNS0_10empty_typeEbEEZZNS1_14partition_implILS8_4ELb0ES6_15HIP_vector_typeIjLj2EENS0_17counting_iteratorIjlEEPS9_SG_NS0_5tupleIJPjSI_NS0_16reverse_iteratorISI_EEEEENSH_IJSG_SG_SG_EEES9_SI_JZNS1_25segmented_radix_sort_implINS0_14default_configELb0EPKdPdPKlPlN2at6native12_GLOBAL__N_18offset_tEEE10hipError_tPvRmT1_PNSt15iterator_traitsIS12_E10value_typeET2_T3_PNS13_IS18_E10value_typeET4_jRbjT5_S1E_jjP12ihipStream_tbEUljE_ZNSN_ISO_Lb0ESQ_SR_ST_SU_SY_EESZ_S10_S11_S12_S16_S17_S18_S1B_S1C_jS1D_jS1E_S1E_jjS1G_bEUljE0_EEESZ_S10_S11_S18_S1C_S1E_T6_T7_T9_mT8_S1G_bDpT10_ENKUlT_T0_E_clISt17integral_constantIbLb0EES1T_IbLb1EEEEDaS1P_S1Q_EUlS1P_E_NS1_11comp_targetILNS1_3genE2ELNS1_11target_archE906ELNS1_3gpuE6ELNS1_3repE0EEENS1_30default_config_static_selectorELNS0_4arch9wavefront6targetE0EEEvS12_.uses_flat_scratch, 0
	.set _ZN7rocprim17ROCPRIM_400000_NS6detail17trampoline_kernelINS0_13select_configILj256ELj13ELNS0_17block_load_methodE3ELS4_3ELS4_3ELNS0_20block_scan_algorithmE0ELj4294967295EEENS1_25partition_config_selectorILNS1_17partition_subalgoE4EjNS0_10empty_typeEbEEZZNS1_14partition_implILS8_4ELb0ES6_15HIP_vector_typeIjLj2EENS0_17counting_iteratorIjlEEPS9_SG_NS0_5tupleIJPjSI_NS0_16reverse_iteratorISI_EEEEENSH_IJSG_SG_SG_EEES9_SI_JZNS1_25segmented_radix_sort_implINS0_14default_configELb0EPKdPdPKlPlN2at6native12_GLOBAL__N_18offset_tEEE10hipError_tPvRmT1_PNSt15iterator_traitsIS12_E10value_typeET2_T3_PNS13_IS18_E10value_typeET4_jRbjT5_S1E_jjP12ihipStream_tbEUljE_ZNSN_ISO_Lb0ESQ_SR_ST_SU_SY_EESZ_S10_S11_S12_S16_S17_S18_S1B_S1C_jS1D_jS1E_S1E_jjS1G_bEUljE0_EEESZ_S10_S11_S18_S1C_S1E_T6_T7_T9_mT8_S1G_bDpT10_ENKUlT_T0_E_clISt17integral_constantIbLb0EES1T_IbLb1EEEEDaS1P_S1Q_EUlS1P_E_NS1_11comp_targetILNS1_3genE2ELNS1_11target_archE906ELNS1_3gpuE6ELNS1_3repE0EEENS1_30default_config_static_selectorELNS0_4arch9wavefront6targetE0EEEvS12_.has_dyn_sized_stack, 0
	.set _ZN7rocprim17ROCPRIM_400000_NS6detail17trampoline_kernelINS0_13select_configILj256ELj13ELNS0_17block_load_methodE3ELS4_3ELS4_3ELNS0_20block_scan_algorithmE0ELj4294967295EEENS1_25partition_config_selectorILNS1_17partition_subalgoE4EjNS0_10empty_typeEbEEZZNS1_14partition_implILS8_4ELb0ES6_15HIP_vector_typeIjLj2EENS0_17counting_iteratorIjlEEPS9_SG_NS0_5tupleIJPjSI_NS0_16reverse_iteratorISI_EEEEENSH_IJSG_SG_SG_EEES9_SI_JZNS1_25segmented_radix_sort_implINS0_14default_configELb0EPKdPdPKlPlN2at6native12_GLOBAL__N_18offset_tEEE10hipError_tPvRmT1_PNSt15iterator_traitsIS12_E10value_typeET2_T3_PNS13_IS18_E10value_typeET4_jRbjT5_S1E_jjP12ihipStream_tbEUljE_ZNSN_ISO_Lb0ESQ_SR_ST_SU_SY_EESZ_S10_S11_S12_S16_S17_S18_S1B_S1C_jS1D_jS1E_S1E_jjS1G_bEUljE0_EEESZ_S10_S11_S18_S1C_S1E_T6_T7_T9_mT8_S1G_bDpT10_ENKUlT_T0_E_clISt17integral_constantIbLb0EES1T_IbLb1EEEEDaS1P_S1Q_EUlS1P_E_NS1_11comp_targetILNS1_3genE2ELNS1_11target_archE906ELNS1_3gpuE6ELNS1_3repE0EEENS1_30default_config_static_selectorELNS0_4arch9wavefront6targetE0EEEvS12_.has_recursion, 0
	.set _ZN7rocprim17ROCPRIM_400000_NS6detail17trampoline_kernelINS0_13select_configILj256ELj13ELNS0_17block_load_methodE3ELS4_3ELS4_3ELNS0_20block_scan_algorithmE0ELj4294967295EEENS1_25partition_config_selectorILNS1_17partition_subalgoE4EjNS0_10empty_typeEbEEZZNS1_14partition_implILS8_4ELb0ES6_15HIP_vector_typeIjLj2EENS0_17counting_iteratorIjlEEPS9_SG_NS0_5tupleIJPjSI_NS0_16reverse_iteratorISI_EEEEENSH_IJSG_SG_SG_EEES9_SI_JZNS1_25segmented_radix_sort_implINS0_14default_configELb0EPKdPdPKlPlN2at6native12_GLOBAL__N_18offset_tEEE10hipError_tPvRmT1_PNSt15iterator_traitsIS12_E10value_typeET2_T3_PNS13_IS18_E10value_typeET4_jRbjT5_S1E_jjP12ihipStream_tbEUljE_ZNSN_ISO_Lb0ESQ_SR_ST_SU_SY_EESZ_S10_S11_S12_S16_S17_S18_S1B_S1C_jS1D_jS1E_S1E_jjS1G_bEUljE0_EEESZ_S10_S11_S18_S1C_S1E_T6_T7_T9_mT8_S1G_bDpT10_ENKUlT_T0_E_clISt17integral_constantIbLb0EES1T_IbLb1EEEEDaS1P_S1Q_EUlS1P_E_NS1_11comp_targetILNS1_3genE2ELNS1_11target_archE906ELNS1_3gpuE6ELNS1_3repE0EEENS1_30default_config_static_selectorELNS0_4arch9wavefront6targetE0EEEvS12_.has_indirect_call, 0
	.section	.AMDGPU.csdata,"",@progbits
; Kernel info:
; codeLenInByte = 0
; TotalNumSgprs: 0
; NumVgprs: 0
; ScratchSize: 0
; MemoryBound: 0
; FloatMode: 240
; IeeeMode: 1
; LDSByteSize: 0 bytes/workgroup (compile time only)
; SGPRBlocks: 0
; VGPRBlocks: 0
; NumSGPRsForWavesPerEU: 1
; NumVGPRsForWavesPerEU: 1
; Occupancy: 16
; WaveLimiterHint : 0
; COMPUTE_PGM_RSRC2:SCRATCH_EN: 0
; COMPUTE_PGM_RSRC2:USER_SGPR: 6
; COMPUTE_PGM_RSRC2:TRAP_HANDLER: 0
; COMPUTE_PGM_RSRC2:TGID_X_EN: 1
; COMPUTE_PGM_RSRC2:TGID_Y_EN: 0
; COMPUTE_PGM_RSRC2:TGID_Z_EN: 0
; COMPUTE_PGM_RSRC2:TIDIG_COMP_CNT: 0
	.section	.text._ZN7rocprim17ROCPRIM_400000_NS6detail17trampoline_kernelINS0_13select_configILj256ELj13ELNS0_17block_load_methodE3ELS4_3ELS4_3ELNS0_20block_scan_algorithmE0ELj4294967295EEENS1_25partition_config_selectorILNS1_17partition_subalgoE4EjNS0_10empty_typeEbEEZZNS1_14partition_implILS8_4ELb0ES6_15HIP_vector_typeIjLj2EENS0_17counting_iteratorIjlEEPS9_SG_NS0_5tupleIJPjSI_NS0_16reverse_iteratorISI_EEEEENSH_IJSG_SG_SG_EEES9_SI_JZNS1_25segmented_radix_sort_implINS0_14default_configELb0EPKdPdPKlPlN2at6native12_GLOBAL__N_18offset_tEEE10hipError_tPvRmT1_PNSt15iterator_traitsIS12_E10value_typeET2_T3_PNS13_IS18_E10value_typeET4_jRbjT5_S1E_jjP12ihipStream_tbEUljE_ZNSN_ISO_Lb0ESQ_SR_ST_SU_SY_EESZ_S10_S11_S12_S16_S17_S18_S1B_S1C_jS1D_jS1E_S1E_jjS1G_bEUljE0_EEESZ_S10_S11_S18_S1C_S1E_T6_T7_T9_mT8_S1G_bDpT10_ENKUlT_T0_E_clISt17integral_constantIbLb0EES1T_IbLb1EEEEDaS1P_S1Q_EUlS1P_E_NS1_11comp_targetILNS1_3genE10ELNS1_11target_archE1200ELNS1_3gpuE4ELNS1_3repE0EEENS1_30default_config_static_selectorELNS0_4arch9wavefront6targetE0EEEvS12_,"axG",@progbits,_ZN7rocprim17ROCPRIM_400000_NS6detail17trampoline_kernelINS0_13select_configILj256ELj13ELNS0_17block_load_methodE3ELS4_3ELS4_3ELNS0_20block_scan_algorithmE0ELj4294967295EEENS1_25partition_config_selectorILNS1_17partition_subalgoE4EjNS0_10empty_typeEbEEZZNS1_14partition_implILS8_4ELb0ES6_15HIP_vector_typeIjLj2EENS0_17counting_iteratorIjlEEPS9_SG_NS0_5tupleIJPjSI_NS0_16reverse_iteratorISI_EEEEENSH_IJSG_SG_SG_EEES9_SI_JZNS1_25segmented_radix_sort_implINS0_14default_configELb0EPKdPdPKlPlN2at6native12_GLOBAL__N_18offset_tEEE10hipError_tPvRmT1_PNSt15iterator_traitsIS12_E10value_typeET2_T3_PNS13_IS18_E10value_typeET4_jRbjT5_S1E_jjP12ihipStream_tbEUljE_ZNSN_ISO_Lb0ESQ_SR_ST_SU_SY_EESZ_S10_S11_S12_S16_S17_S18_S1B_S1C_jS1D_jS1E_S1E_jjS1G_bEUljE0_EEESZ_S10_S11_S18_S1C_S1E_T6_T7_T9_mT8_S1G_bDpT10_ENKUlT_T0_E_clISt17integral_constantIbLb0EES1T_IbLb1EEEEDaS1P_S1Q_EUlS1P_E_NS1_11comp_targetILNS1_3genE10ELNS1_11target_archE1200ELNS1_3gpuE4ELNS1_3repE0EEENS1_30default_config_static_selectorELNS0_4arch9wavefront6targetE0EEEvS12_,comdat
	.globl	_ZN7rocprim17ROCPRIM_400000_NS6detail17trampoline_kernelINS0_13select_configILj256ELj13ELNS0_17block_load_methodE3ELS4_3ELS4_3ELNS0_20block_scan_algorithmE0ELj4294967295EEENS1_25partition_config_selectorILNS1_17partition_subalgoE4EjNS0_10empty_typeEbEEZZNS1_14partition_implILS8_4ELb0ES6_15HIP_vector_typeIjLj2EENS0_17counting_iteratorIjlEEPS9_SG_NS0_5tupleIJPjSI_NS0_16reverse_iteratorISI_EEEEENSH_IJSG_SG_SG_EEES9_SI_JZNS1_25segmented_radix_sort_implINS0_14default_configELb0EPKdPdPKlPlN2at6native12_GLOBAL__N_18offset_tEEE10hipError_tPvRmT1_PNSt15iterator_traitsIS12_E10value_typeET2_T3_PNS13_IS18_E10value_typeET4_jRbjT5_S1E_jjP12ihipStream_tbEUljE_ZNSN_ISO_Lb0ESQ_SR_ST_SU_SY_EESZ_S10_S11_S12_S16_S17_S18_S1B_S1C_jS1D_jS1E_S1E_jjS1G_bEUljE0_EEESZ_S10_S11_S18_S1C_S1E_T6_T7_T9_mT8_S1G_bDpT10_ENKUlT_T0_E_clISt17integral_constantIbLb0EES1T_IbLb1EEEEDaS1P_S1Q_EUlS1P_E_NS1_11comp_targetILNS1_3genE10ELNS1_11target_archE1200ELNS1_3gpuE4ELNS1_3repE0EEENS1_30default_config_static_selectorELNS0_4arch9wavefront6targetE0EEEvS12_ ; -- Begin function _ZN7rocprim17ROCPRIM_400000_NS6detail17trampoline_kernelINS0_13select_configILj256ELj13ELNS0_17block_load_methodE3ELS4_3ELS4_3ELNS0_20block_scan_algorithmE0ELj4294967295EEENS1_25partition_config_selectorILNS1_17partition_subalgoE4EjNS0_10empty_typeEbEEZZNS1_14partition_implILS8_4ELb0ES6_15HIP_vector_typeIjLj2EENS0_17counting_iteratorIjlEEPS9_SG_NS0_5tupleIJPjSI_NS0_16reverse_iteratorISI_EEEEENSH_IJSG_SG_SG_EEES9_SI_JZNS1_25segmented_radix_sort_implINS0_14default_configELb0EPKdPdPKlPlN2at6native12_GLOBAL__N_18offset_tEEE10hipError_tPvRmT1_PNSt15iterator_traitsIS12_E10value_typeET2_T3_PNS13_IS18_E10value_typeET4_jRbjT5_S1E_jjP12ihipStream_tbEUljE_ZNSN_ISO_Lb0ESQ_SR_ST_SU_SY_EESZ_S10_S11_S12_S16_S17_S18_S1B_S1C_jS1D_jS1E_S1E_jjS1G_bEUljE0_EEESZ_S10_S11_S18_S1C_S1E_T6_T7_T9_mT8_S1G_bDpT10_ENKUlT_T0_E_clISt17integral_constantIbLb0EES1T_IbLb1EEEEDaS1P_S1Q_EUlS1P_E_NS1_11comp_targetILNS1_3genE10ELNS1_11target_archE1200ELNS1_3gpuE4ELNS1_3repE0EEENS1_30default_config_static_selectorELNS0_4arch9wavefront6targetE0EEEvS12_
	.p2align	8
	.type	_ZN7rocprim17ROCPRIM_400000_NS6detail17trampoline_kernelINS0_13select_configILj256ELj13ELNS0_17block_load_methodE3ELS4_3ELS4_3ELNS0_20block_scan_algorithmE0ELj4294967295EEENS1_25partition_config_selectorILNS1_17partition_subalgoE4EjNS0_10empty_typeEbEEZZNS1_14partition_implILS8_4ELb0ES6_15HIP_vector_typeIjLj2EENS0_17counting_iteratorIjlEEPS9_SG_NS0_5tupleIJPjSI_NS0_16reverse_iteratorISI_EEEEENSH_IJSG_SG_SG_EEES9_SI_JZNS1_25segmented_radix_sort_implINS0_14default_configELb0EPKdPdPKlPlN2at6native12_GLOBAL__N_18offset_tEEE10hipError_tPvRmT1_PNSt15iterator_traitsIS12_E10value_typeET2_T3_PNS13_IS18_E10value_typeET4_jRbjT5_S1E_jjP12ihipStream_tbEUljE_ZNSN_ISO_Lb0ESQ_SR_ST_SU_SY_EESZ_S10_S11_S12_S16_S17_S18_S1B_S1C_jS1D_jS1E_S1E_jjS1G_bEUljE0_EEESZ_S10_S11_S18_S1C_S1E_T6_T7_T9_mT8_S1G_bDpT10_ENKUlT_T0_E_clISt17integral_constantIbLb0EES1T_IbLb1EEEEDaS1P_S1Q_EUlS1P_E_NS1_11comp_targetILNS1_3genE10ELNS1_11target_archE1200ELNS1_3gpuE4ELNS1_3repE0EEENS1_30default_config_static_selectorELNS0_4arch9wavefront6targetE0EEEvS12_,@function
_ZN7rocprim17ROCPRIM_400000_NS6detail17trampoline_kernelINS0_13select_configILj256ELj13ELNS0_17block_load_methodE3ELS4_3ELS4_3ELNS0_20block_scan_algorithmE0ELj4294967295EEENS1_25partition_config_selectorILNS1_17partition_subalgoE4EjNS0_10empty_typeEbEEZZNS1_14partition_implILS8_4ELb0ES6_15HIP_vector_typeIjLj2EENS0_17counting_iteratorIjlEEPS9_SG_NS0_5tupleIJPjSI_NS0_16reverse_iteratorISI_EEEEENSH_IJSG_SG_SG_EEES9_SI_JZNS1_25segmented_radix_sort_implINS0_14default_configELb0EPKdPdPKlPlN2at6native12_GLOBAL__N_18offset_tEEE10hipError_tPvRmT1_PNSt15iterator_traitsIS12_E10value_typeET2_T3_PNS13_IS18_E10value_typeET4_jRbjT5_S1E_jjP12ihipStream_tbEUljE_ZNSN_ISO_Lb0ESQ_SR_ST_SU_SY_EESZ_S10_S11_S12_S16_S17_S18_S1B_S1C_jS1D_jS1E_S1E_jjS1G_bEUljE0_EEESZ_S10_S11_S18_S1C_S1E_T6_T7_T9_mT8_S1G_bDpT10_ENKUlT_T0_E_clISt17integral_constantIbLb0EES1T_IbLb1EEEEDaS1P_S1Q_EUlS1P_E_NS1_11comp_targetILNS1_3genE10ELNS1_11target_archE1200ELNS1_3gpuE4ELNS1_3repE0EEENS1_30default_config_static_selectorELNS0_4arch9wavefront6targetE0EEEvS12_: ; @_ZN7rocprim17ROCPRIM_400000_NS6detail17trampoline_kernelINS0_13select_configILj256ELj13ELNS0_17block_load_methodE3ELS4_3ELS4_3ELNS0_20block_scan_algorithmE0ELj4294967295EEENS1_25partition_config_selectorILNS1_17partition_subalgoE4EjNS0_10empty_typeEbEEZZNS1_14partition_implILS8_4ELb0ES6_15HIP_vector_typeIjLj2EENS0_17counting_iteratorIjlEEPS9_SG_NS0_5tupleIJPjSI_NS0_16reverse_iteratorISI_EEEEENSH_IJSG_SG_SG_EEES9_SI_JZNS1_25segmented_radix_sort_implINS0_14default_configELb0EPKdPdPKlPlN2at6native12_GLOBAL__N_18offset_tEEE10hipError_tPvRmT1_PNSt15iterator_traitsIS12_E10value_typeET2_T3_PNS13_IS18_E10value_typeET4_jRbjT5_S1E_jjP12ihipStream_tbEUljE_ZNSN_ISO_Lb0ESQ_SR_ST_SU_SY_EESZ_S10_S11_S12_S16_S17_S18_S1B_S1C_jS1D_jS1E_S1E_jjS1G_bEUljE0_EEESZ_S10_S11_S18_S1C_S1E_T6_T7_T9_mT8_S1G_bDpT10_ENKUlT_T0_E_clISt17integral_constantIbLb0EES1T_IbLb1EEEEDaS1P_S1Q_EUlS1P_E_NS1_11comp_targetILNS1_3genE10ELNS1_11target_archE1200ELNS1_3gpuE4ELNS1_3repE0EEENS1_30default_config_static_selectorELNS0_4arch9wavefront6targetE0EEEvS12_
; %bb.0:
	.section	.rodata,"a",@progbits
	.p2align	6, 0x0
	.amdhsa_kernel _ZN7rocprim17ROCPRIM_400000_NS6detail17trampoline_kernelINS0_13select_configILj256ELj13ELNS0_17block_load_methodE3ELS4_3ELS4_3ELNS0_20block_scan_algorithmE0ELj4294967295EEENS1_25partition_config_selectorILNS1_17partition_subalgoE4EjNS0_10empty_typeEbEEZZNS1_14partition_implILS8_4ELb0ES6_15HIP_vector_typeIjLj2EENS0_17counting_iteratorIjlEEPS9_SG_NS0_5tupleIJPjSI_NS0_16reverse_iteratorISI_EEEEENSH_IJSG_SG_SG_EEES9_SI_JZNS1_25segmented_radix_sort_implINS0_14default_configELb0EPKdPdPKlPlN2at6native12_GLOBAL__N_18offset_tEEE10hipError_tPvRmT1_PNSt15iterator_traitsIS12_E10value_typeET2_T3_PNS13_IS18_E10value_typeET4_jRbjT5_S1E_jjP12ihipStream_tbEUljE_ZNSN_ISO_Lb0ESQ_SR_ST_SU_SY_EESZ_S10_S11_S12_S16_S17_S18_S1B_S1C_jS1D_jS1E_S1E_jjS1G_bEUljE0_EEESZ_S10_S11_S18_S1C_S1E_T6_T7_T9_mT8_S1G_bDpT10_ENKUlT_T0_E_clISt17integral_constantIbLb0EES1T_IbLb1EEEEDaS1P_S1Q_EUlS1P_E_NS1_11comp_targetILNS1_3genE10ELNS1_11target_archE1200ELNS1_3gpuE4ELNS1_3repE0EEENS1_30default_config_static_selectorELNS0_4arch9wavefront6targetE0EEEvS12_
		.amdhsa_group_segment_fixed_size 0
		.amdhsa_private_segment_fixed_size 0
		.amdhsa_kernarg_size 184
		.amdhsa_user_sgpr_count 6
		.amdhsa_user_sgpr_private_segment_buffer 1
		.amdhsa_user_sgpr_dispatch_ptr 0
		.amdhsa_user_sgpr_queue_ptr 0
		.amdhsa_user_sgpr_kernarg_segment_ptr 1
		.amdhsa_user_sgpr_dispatch_id 0
		.amdhsa_user_sgpr_flat_scratch_init 0
		.amdhsa_user_sgpr_private_segment_size 0
		.amdhsa_wavefront_size32 1
		.amdhsa_uses_dynamic_stack 0
		.amdhsa_system_sgpr_private_segment_wavefront_offset 0
		.amdhsa_system_sgpr_workgroup_id_x 1
		.amdhsa_system_sgpr_workgroup_id_y 0
		.amdhsa_system_sgpr_workgroup_id_z 0
		.amdhsa_system_sgpr_workgroup_info 0
		.amdhsa_system_vgpr_workitem_id 0
		.amdhsa_next_free_vgpr 1
		.amdhsa_next_free_sgpr 1
		.amdhsa_reserve_vcc 0
		.amdhsa_reserve_flat_scratch 0
		.amdhsa_float_round_mode_32 0
		.amdhsa_float_round_mode_16_64 0
		.amdhsa_float_denorm_mode_32 3
		.amdhsa_float_denorm_mode_16_64 3
		.amdhsa_dx10_clamp 1
		.amdhsa_ieee_mode 1
		.amdhsa_fp16_overflow 0
		.amdhsa_workgroup_processor_mode 1
		.amdhsa_memory_ordered 1
		.amdhsa_forward_progress 1
		.amdhsa_shared_vgpr_count 0
		.amdhsa_exception_fp_ieee_invalid_op 0
		.amdhsa_exception_fp_denorm_src 0
		.amdhsa_exception_fp_ieee_div_zero 0
		.amdhsa_exception_fp_ieee_overflow 0
		.amdhsa_exception_fp_ieee_underflow 0
		.amdhsa_exception_fp_ieee_inexact 0
		.amdhsa_exception_int_div_zero 0
	.end_amdhsa_kernel
	.section	.text._ZN7rocprim17ROCPRIM_400000_NS6detail17trampoline_kernelINS0_13select_configILj256ELj13ELNS0_17block_load_methodE3ELS4_3ELS4_3ELNS0_20block_scan_algorithmE0ELj4294967295EEENS1_25partition_config_selectorILNS1_17partition_subalgoE4EjNS0_10empty_typeEbEEZZNS1_14partition_implILS8_4ELb0ES6_15HIP_vector_typeIjLj2EENS0_17counting_iteratorIjlEEPS9_SG_NS0_5tupleIJPjSI_NS0_16reverse_iteratorISI_EEEEENSH_IJSG_SG_SG_EEES9_SI_JZNS1_25segmented_radix_sort_implINS0_14default_configELb0EPKdPdPKlPlN2at6native12_GLOBAL__N_18offset_tEEE10hipError_tPvRmT1_PNSt15iterator_traitsIS12_E10value_typeET2_T3_PNS13_IS18_E10value_typeET4_jRbjT5_S1E_jjP12ihipStream_tbEUljE_ZNSN_ISO_Lb0ESQ_SR_ST_SU_SY_EESZ_S10_S11_S12_S16_S17_S18_S1B_S1C_jS1D_jS1E_S1E_jjS1G_bEUljE0_EEESZ_S10_S11_S18_S1C_S1E_T6_T7_T9_mT8_S1G_bDpT10_ENKUlT_T0_E_clISt17integral_constantIbLb0EES1T_IbLb1EEEEDaS1P_S1Q_EUlS1P_E_NS1_11comp_targetILNS1_3genE10ELNS1_11target_archE1200ELNS1_3gpuE4ELNS1_3repE0EEENS1_30default_config_static_selectorELNS0_4arch9wavefront6targetE0EEEvS12_,"axG",@progbits,_ZN7rocprim17ROCPRIM_400000_NS6detail17trampoline_kernelINS0_13select_configILj256ELj13ELNS0_17block_load_methodE3ELS4_3ELS4_3ELNS0_20block_scan_algorithmE0ELj4294967295EEENS1_25partition_config_selectorILNS1_17partition_subalgoE4EjNS0_10empty_typeEbEEZZNS1_14partition_implILS8_4ELb0ES6_15HIP_vector_typeIjLj2EENS0_17counting_iteratorIjlEEPS9_SG_NS0_5tupleIJPjSI_NS0_16reverse_iteratorISI_EEEEENSH_IJSG_SG_SG_EEES9_SI_JZNS1_25segmented_radix_sort_implINS0_14default_configELb0EPKdPdPKlPlN2at6native12_GLOBAL__N_18offset_tEEE10hipError_tPvRmT1_PNSt15iterator_traitsIS12_E10value_typeET2_T3_PNS13_IS18_E10value_typeET4_jRbjT5_S1E_jjP12ihipStream_tbEUljE_ZNSN_ISO_Lb0ESQ_SR_ST_SU_SY_EESZ_S10_S11_S12_S16_S17_S18_S1B_S1C_jS1D_jS1E_S1E_jjS1G_bEUljE0_EEESZ_S10_S11_S18_S1C_S1E_T6_T7_T9_mT8_S1G_bDpT10_ENKUlT_T0_E_clISt17integral_constantIbLb0EES1T_IbLb1EEEEDaS1P_S1Q_EUlS1P_E_NS1_11comp_targetILNS1_3genE10ELNS1_11target_archE1200ELNS1_3gpuE4ELNS1_3repE0EEENS1_30default_config_static_selectorELNS0_4arch9wavefront6targetE0EEEvS12_,comdat
.Lfunc_end1178:
	.size	_ZN7rocprim17ROCPRIM_400000_NS6detail17trampoline_kernelINS0_13select_configILj256ELj13ELNS0_17block_load_methodE3ELS4_3ELS4_3ELNS0_20block_scan_algorithmE0ELj4294967295EEENS1_25partition_config_selectorILNS1_17partition_subalgoE4EjNS0_10empty_typeEbEEZZNS1_14partition_implILS8_4ELb0ES6_15HIP_vector_typeIjLj2EENS0_17counting_iteratorIjlEEPS9_SG_NS0_5tupleIJPjSI_NS0_16reverse_iteratorISI_EEEEENSH_IJSG_SG_SG_EEES9_SI_JZNS1_25segmented_radix_sort_implINS0_14default_configELb0EPKdPdPKlPlN2at6native12_GLOBAL__N_18offset_tEEE10hipError_tPvRmT1_PNSt15iterator_traitsIS12_E10value_typeET2_T3_PNS13_IS18_E10value_typeET4_jRbjT5_S1E_jjP12ihipStream_tbEUljE_ZNSN_ISO_Lb0ESQ_SR_ST_SU_SY_EESZ_S10_S11_S12_S16_S17_S18_S1B_S1C_jS1D_jS1E_S1E_jjS1G_bEUljE0_EEESZ_S10_S11_S18_S1C_S1E_T6_T7_T9_mT8_S1G_bDpT10_ENKUlT_T0_E_clISt17integral_constantIbLb0EES1T_IbLb1EEEEDaS1P_S1Q_EUlS1P_E_NS1_11comp_targetILNS1_3genE10ELNS1_11target_archE1200ELNS1_3gpuE4ELNS1_3repE0EEENS1_30default_config_static_selectorELNS0_4arch9wavefront6targetE0EEEvS12_, .Lfunc_end1178-_ZN7rocprim17ROCPRIM_400000_NS6detail17trampoline_kernelINS0_13select_configILj256ELj13ELNS0_17block_load_methodE3ELS4_3ELS4_3ELNS0_20block_scan_algorithmE0ELj4294967295EEENS1_25partition_config_selectorILNS1_17partition_subalgoE4EjNS0_10empty_typeEbEEZZNS1_14partition_implILS8_4ELb0ES6_15HIP_vector_typeIjLj2EENS0_17counting_iteratorIjlEEPS9_SG_NS0_5tupleIJPjSI_NS0_16reverse_iteratorISI_EEEEENSH_IJSG_SG_SG_EEES9_SI_JZNS1_25segmented_radix_sort_implINS0_14default_configELb0EPKdPdPKlPlN2at6native12_GLOBAL__N_18offset_tEEE10hipError_tPvRmT1_PNSt15iterator_traitsIS12_E10value_typeET2_T3_PNS13_IS18_E10value_typeET4_jRbjT5_S1E_jjP12ihipStream_tbEUljE_ZNSN_ISO_Lb0ESQ_SR_ST_SU_SY_EESZ_S10_S11_S12_S16_S17_S18_S1B_S1C_jS1D_jS1E_S1E_jjS1G_bEUljE0_EEESZ_S10_S11_S18_S1C_S1E_T6_T7_T9_mT8_S1G_bDpT10_ENKUlT_T0_E_clISt17integral_constantIbLb0EES1T_IbLb1EEEEDaS1P_S1Q_EUlS1P_E_NS1_11comp_targetILNS1_3genE10ELNS1_11target_archE1200ELNS1_3gpuE4ELNS1_3repE0EEENS1_30default_config_static_selectorELNS0_4arch9wavefront6targetE0EEEvS12_
                                        ; -- End function
	.set _ZN7rocprim17ROCPRIM_400000_NS6detail17trampoline_kernelINS0_13select_configILj256ELj13ELNS0_17block_load_methodE3ELS4_3ELS4_3ELNS0_20block_scan_algorithmE0ELj4294967295EEENS1_25partition_config_selectorILNS1_17partition_subalgoE4EjNS0_10empty_typeEbEEZZNS1_14partition_implILS8_4ELb0ES6_15HIP_vector_typeIjLj2EENS0_17counting_iteratorIjlEEPS9_SG_NS0_5tupleIJPjSI_NS0_16reverse_iteratorISI_EEEEENSH_IJSG_SG_SG_EEES9_SI_JZNS1_25segmented_radix_sort_implINS0_14default_configELb0EPKdPdPKlPlN2at6native12_GLOBAL__N_18offset_tEEE10hipError_tPvRmT1_PNSt15iterator_traitsIS12_E10value_typeET2_T3_PNS13_IS18_E10value_typeET4_jRbjT5_S1E_jjP12ihipStream_tbEUljE_ZNSN_ISO_Lb0ESQ_SR_ST_SU_SY_EESZ_S10_S11_S12_S16_S17_S18_S1B_S1C_jS1D_jS1E_S1E_jjS1G_bEUljE0_EEESZ_S10_S11_S18_S1C_S1E_T6_T7_T9_mT8_S1G_bDpT10_ENKUlT_T0_E_clISt17integral_constantIbLb0EES1T_IbLb1EEEEDaS1P_S1Q_EUlS1P_E_NS1_11comp_targetILNS1_3genE10ELNS1_11target_archE1200ELNS1_3gpuE4ELNS1_3repE0EEENS1_30default_config_static_selectorELNS0_4arch9wavefront6targetE0EEEvS12_.num_vgpr, 0
	.set _ZN7rocprim17ROCPRIM_400000_NS6detail17trampoline_kernelINS0_13select_configILj256ELj13ELNS0_17block_load_methodE3ELS4_3ELS4_3ELNS0_20block_scan_algorithmE0ELj4294967295EEENS1_25partition_config_selectorILNS1_17partition_subalgoE4EjNS0_10empty_typeEbEEZZNS1_14partition_implILS8_4ELb0ES6_15HIP_vector_typeIjLj2EENS0_17counting_iteratorIjlEEPS9_SG_NS0_5tupleIJPjSI_NS0_16reverse_iteratorISI_EEEEENSH_IJSG_SG_SG_EEES9_SI_JZNS1_25segmented_radix_sort_implINS0_14default_configELb0EPKdPdPKlPlN2at6native12_GLOBAL__N_18offset_tEEE10hipError_tPvRmT1_PNSt15iterator_traitsIS12_E10value_typeET2_T3_PNS13_IS18_E10value_typeET4_jRbjT5_S1E_jjP12ihipStream_tbEUljE_ZNSN_ISO_Lb0ESQ_SR_ST_SU_SY_EESZ_S10_S11_S12_S16_S17_S18_S1B_S1C_jS1D_jS1E_S1E_jjS1G_bEUljE0_EEESZ_S10_S11_S18_S1C_S1E_T6_T7_T9_mT8_S1G_bDpT10_ENKUlT_T0_E_clISt17integral_constantIbLb0EES1T_IbLb1EEEEDaS1P_S1Q_EUlS1P_E_NS1_11comp_targetILNS1_3genE10ELNS1_11target_archE1200ELNS1_3gpuE4ELNS1_3repE0EEENS1_30default_config_static_selectorELNS0_4arch9wavefront6targetE0EEEvS12_.num_agpr, 0
	.set _ZN7rocprim17ROCPRIM_400000_NS6detail17trampoline_kernelINS0_13select_configILj256ELj13ELNS0_17block_load_methodE3ELS4_3ELS4_3ELNS0_20block_scan_algorithmE0ELj4294967295EEENS1_25partition_config_selectorILNS1_17partition_subalgoE4EjNS0_10empty_typeEbEEZZNS1_14partition_implILS8_4ELb0ES6_15HIP_vector_typeIjLj2EENS0_17counting_iteratorIjlEEPS9_SG_NS0_5tupleIJPjSI_NS0_16reverse_iteratorISI_EEEEENSH_IJSG_SG_SG_EEES9_SI_JZNS1_25segmented_radix_sort_implINS0_14default_configELb0EPKdPdPKlPlN2at6native12_GLOBAL__N_18offset_tEEE10hipError_tPvRmT1_PNSt15iterator_traitsIS12_E10value_typeET2_T3_PNS13_IS18_E10value_typeET4_jRbjT5_S1E_jjP12ihipStream_tbEUljE_ZNSN_ISO_Lb0ESQ_SR_ST_SU_SY_EESZ_S10_S11_S12_S16_S17_S18_S1B_S1C_jS1D_jS1E_S1E_jjS1G_bEUljE0_EEESZ_S10_S11_S18_S1C_S1E_T6_T7_T9_mT8_S1G_bDpT10_ENKUlT_T0_E_clISt17integral_constantIbLb0EES1T_IbLb1EEEEDaS1P_S1Q_EUlS1P_E_NS1_11comp_targetILNS1_3genE10ELNS1_11target_archE1200ELNS1_3gpuE4ELNS1_3repE0EEENS1_30default_config_static_selectorELNS0_4arch9wavefront6targetE0EEEvS12_.numbered_sgpr, 0
	.set _ZN7rocprim17ROCPRIM_400000_NS6detail17trampoline_kernelINS0_13select_configILj256ELj13ELNS0_17block_load_methodE3ELS4_3ELS4_3ELNS0_20block_scan_algorithmE0ELj4294967295EEENS1_25partition_config_selectorILNS1_17partition_subalgoE4EjNS0_10empty_typeEbEEZZNS1_14partition_implILS8_4ELb0ES6_15HIP_vector_typeIjLj2EENS0_17counting_iteratorIjlEEPS9_SG_NS0_5tupleIJPjSI_NS0_16reverse_iteratorISI_EEEEENSH_IJSG_SG_SG_EEES9_SI_JZNS1_25segmented_radix_sort_implINS0_14default_configELb0EPKdPdPKlPlN2at6native12_GLOBAL__N_18offset_tEEE10hipError_tPvRmT1_PNSt15iterator_traitsIS12_E10value_typeET2_T3_PNS13_IS18_E10value_typeET4_jRbjT5_S1E_jjP12ihipStream_tbEUljE_ZNSN_ISO_Lb0ESQ_SR_ST_SU_SY_EESZ_S10_S11_S12_S16_S17_S18_S1B_S1C_jS1D_jS1E_S1E_jjS1G_bEUljE0_EEESZ_S10_S11_S18_S1C_S1E_T6_T7_T9_mT8_S1G_bDpT10_ENKUlT_T0_E_clISt17integral_constantIbLb0EES1T_IbLb1EEEEDaS1P_S1Q_EUlS1P_E_NS1_11comp_targetILNS1_3genE10ELNS1_11target_archE1200ELNS1_3gpuE4ELNS1_3repE0EEENS1_30default_config_static_selectorELNS0_4arch9wavefront6targetE0EEEvS12_.num_named_barrier, 0
	.set _ZN7rocprim17ROCPRIM_400000_NS6detail17trampoline_kernelINS0_13select_configILj256ELj13ELNS0_17block_load_methodE3ELS4_3ELS4_3ELNS0_20block_scan_algorithmE0ELj4294967295EEENS1_25partition_config_selectorILNS1_17partition_subalgoE4EjNS0_10empty_typeEbEEZZNS1_14partition_implILS8_4ELb0ES6_15HIP_vector_typeIjLj2EENS0_17counting_iteratorIjlEEPS9_SG_NS0_5tupleIJPjSI_NS0_16reverse_iteratorISI_EEEEENSH_IJSG_SG_SG_EEES9_SI_JZNS1_25segmented_radix_sort_implINS0_14default_configELb0EPKdPdPKlPlN2at6native12_GLOBAL__N_18offset_tEEE10hipError_tPvRmT1_PNSt15iterator_traitsIS12_E10value_typeET2_T3_PNS13_IS18_E10value_typeET4_jRbjT5_S1E_jjP12ihipStream_tbEUljE_ZNSN_ISO_Lb0ESQ_SR_ST_SU_SY_EESZ_S10_S11_S12_S16_S17_S18_S1B_S1C_jS1D_jS1E_S1E_jjS1G_bEUljE0_EEESZ_S10_S11_S18_S1C_S1E_T6_T7_T9_mT8_S1G_bDpT10_ENKUlT_T0_E_clISt17integral_constantIbLb0EES1T_IbLb1EEEEDaS1P_S1Q_EUlS1P_E_NS1_11comp_targetILNS1_3genE10ELNS1_11target_archE1200ELNS1_3gpuE4ELNS1_3repE0EEENS1_30default_config_static_selectorELNS0_4arch9wavefront6targetE0EEEvS12_.private_seg_size, 0
	.set _ZN7rocprim17ROCPRIM_400000_NS6detail17trampoline_kernelINS0_13select_configILj256ELj13ELNS0_17block_load_methodE3ELS4_3ELS4_3ELNS0_20block_scan_algorithmE0ELj4294967295EEENS1_25partition_config_selectorILNS1_17partition_subalgoE4EjNS0_10empty_typeEbEEZZNS1_14partition_implILS8_4ELb0ES6_15HIP_vector_typeIjLj2EENS0_17counting_iteratorIjlEEPS9_SG_NS0_5tupleIJPjSI_NS0_16reverse_iteratorISI_EEEEENSH_IJSG_SG_SG_EEES9_SI_JZNS1_25segmented_radix_sort_implINS0_14default_configELb0EPKdPdPKlPlN2at6native12_GLOBAL__N_18offset_tEEE10hipError_tPvRmT1_PNSt15iterator_traitsIS12_E10value_typeET2_T3_PNS13_IS18_E10value_typeET4_jRbjT5_S1E_jjP12ihipStream_tbEUljE_ZNSN_ISO_Lb0ESQ_SR_ST_SU_SY_EESZ_S10_S11_S12_S16_S17_S18_S1B_S1C_jS1D_jS1E_S1E_jjS1G_bEUljE0_EEESZ_S10_S11_S18_S1C_S1E_T6_T7_T9_mT8_S1G_bDpT10_ENKUlT_T0_E_clISt17integral_constantIbLb0EES1T_IbLb1EEEEDaS1P_S1Q_EUlS1P_E_NS1_11comp_targetILNS1_3genE10ELNS1_11target_archE1200ELNS1_3gpuE4ELNS1_3repE0EEENS1_30default_config_static_selectorELNS0_4arch9wavefront6targetE0EEEvS12_.uses_vcc, 0
	.set _ZN7rocprim17ROCPRIM_400000_NS6detail17trampoline_kernelINS0_13select_configILj256ELj13ELNS0_17block_load_methodE3ELS4_3ELS4_3ELNS0_20block_scan_algorithmE0ELj4294967295EEENS1_25partition_config_selectorILNS1_17partition_subalgoE4EjNS0_10empty_typeEbEEZZNS1_14partition_implILS8_4ELb0ES6_15HIP_vector_typeIjLj2EENS0_17counting_iteratorIjlEEPS9_SG_NS0_5tupleIJPjSI_NS0_16reverse_iteratorISI_EEEEENSH_IJSG_SG_SG_EEES9_SI_JZNS1_25segmented_radix_sort_implINS0_14default_configELb0EPKdPdPKlPlN2at6native12_GLOBAL__N_18offset_tEEE10hipError_tPvRmT1_PNSt15iterator_traitsIS12_E10value_typeET2_T3_PNS13_IS18_E10value_typeET4_jRbjT5_S1E_jjP12ihipStream_tbEUljE_ZNSN_ISO_Lb0ESQ_SR_ST_SU_SY_EESZ_S10_S11_S12_S16_S17_S18_S1B_S1C_jS1D_jS1E_S1E_jjS1G_bEUljE0_EEESZ_S10_S11_S18_S1C_S1E_T6_T7_T9_mT8_S1G_bDpT10_ENKUlT_T0_E_clISt17integral_constantIbLb0EES1T_IbLb1EEEEDaS1P_S1Q_EUlS1P_E_NS1_11comp_targetILNS1_3genE10ELNS1_11target_archE1200ELNS1_3gpuE4ELNS1_3repE0EEENS1_30default_config_static_selectorELNS0_4arch9wavefront6targetE0EEEvS12_.uses_flat_scratch, 0
	.set _ZN7rocprim17ROCPRIM_400000_NS6detail17trampoline_kernelINS0_13select_configILj256ELj13ELNS0_17block_load_methodE3ELS4_3ELS4_3ELNS0_20block_scan_algorithmE0ELj4294967295EEENS1_25partition_config_selectorILNS1_17partition_subalgoE4EjNS0_10empty_typeEbEEZZNS1_14partition_implILS8_4ELb0ES6_15HIP_vector_typeIjLj2EENS0_17counting_iteratorIjlEEPS9_SG_NS0_5tupleIJPjSI_NS0_16reverse_iteratorISI_EEEEENSH_IJSG_SG_SG_EEES9_SI_JZNS1_25segmented_radix_sort_implINS0_14default_configELb0EPKdPdPKlPlN2at6native12_GLOBAL__N_18offset_tEEE10hipError_tPvRmT1_PNSt15iterator_traitsIS12_E10value_typeET2_T3_PNS13_IS18_E10value_typeET4_jRbjT5_S1E_jjP12ihipStream_tbEUljE_ZNSN_ISO_Lb0ESQ_SR_ST_SU_SY_EESZ_S10_S11_S12_S16_S17_S18_S1B_S1C_jS1D_jS1E_S1E_jjS1G_bEUljE0_EEESZ_S10_S11_S18_S1C_S1E_T6_T7_T9_mT8_S1G_bDpT10_ENKUlT_T0_E_clISt17integral_constantIbLb0EES1T_IbLb1EEEEDaS1P_S1Q_EUlS1P_E_NS1_11comp_targetILNS1_3genE10ELNS1_11target_archE1200ELNS1_3gpuE4ELNS1_3repE0EEENS1_30default_config_static_selectorELNS0_4arch9wavefront6targetE0EEEvS12_.has_dyn_sized_stack, 0
	.set _ZN7rocprim17ROCPRIM_400000_NS6detail17trampoline_kernelINS0_13select_configILj256ELj13ELNS0_17block_load_methodE3ELS4_3ELS4_3ELNS0_20block_scan_algorithmE0ELj4294967295EEENS1_25partition_config_selectorILNS1_17partition_subalgoE4EjNS0_10empty_typeEbEEZZNS1_14partition_implILS8_4ELb0ES6_15HIP_vector_typeIjLj2EENS0_17counting_iteratorIjlEEPS9_SG_NS0_5tupleIJPjSI_NS0_16reverse_iteratorISI_EEEEENSH_IJSG_SG_SG_EEES9_SI_JZNS1_25segmented_radix_sort_implINS0_14default_configELb0EPKdPdPKlPlN2at6native12_GLOBAL__N_18offset_tEEE10hipError_tPvRmT1_PNSt15iterator_traitsIS12_E10value_typeET2_T3_PNS13_IS18_E10value_typeET4_jRbjT5_S1E_jjP12ihipStream_tbEUljE_ZNSN_ISO_Lb0ESQ_SR_ST_SU_SY_EESZ_S10_S11_S12_S16_S17_S18_S1B_S1C_jS1D_jS1E_S1E_jjS1G_bEUljE0_EEESZ_S10_S11_S18_S1C_S1E_T6_T7_T9_mT8_S1G_bDpT10_ENKUlT_T0_E_clISt17integral_constantIbLb0EES1T_IbLb1EEEEDaS1P_S1Q_EUlS1P_E_NS1_11comp_targetILNS1_3genE10ELNS1_11target_archE1200ELNS1_3gpuE4ELNS1_3repE0EEENS1_30default_config_static_selectorELNS0_4arch9wavefront6targetE0EEEvS12_.has_recursion, 0
	.set _ZN7rocprim17ROCPRIM_400000_NS6detail17trampoline_kernelINS0_13select_configILj256ELj13ELNS0_17block_load_methodE3ELS4_3ELS4_3ELNS0_20block_scan_algorithmE0ELj4294967295EEENS1_25partition_config_selectorILNS1_17partition_subalgoE4EjNS0_10empty_typeEbEEZZNS1_14partition_implILS8_4ELb0ES6_15HIP_vector_typeIjLj2EENS0_17counting_iteratorIjlEEPS9_SG_NS0_5tupleIJPjSI_NS0_16reverse_iteratorISI_EEEEENSH_IJSG_SG_SG_EEES9_SI_JZNS1_25segmented_radix_sort_implINS0_14default_configELb0EPKdPdPKlPlN2at6native12_GLOBAL__N_18offset_tEEE10hipError_tPvRmT1_PNSt15iterator_traitsIS12_E10value_typeET2_T3_PNS13_IS18_E10value_typeET4_jRbjT5_S1E_jjP12ihipStream_tbEUljE_ZNSN_ISO_Lb0ESQ_SR_ST_SU_SY_EESZ_S10_S11_S12_S16_S17_S18_S1B_S1C_jS1D_jS1E_S1E_jjS1G_bEUljE0_EEESZ_S10_S11_S18_S1C_S1E_T6_T7_T9_mT8_S1G_bDpT10_ENKUlT_T0_E_clISt17integral_constantIbLb0EES1T_IbLb1EEEEDaS1P_S1Q_EUlS1P_E_NS1_11comp_targetILNS1_3genE10ELNS1_11target_archE1200ELNS1_3gpuE4ELNS1_3repE0EEENS1_30default_config_static_selectorELNS0_4arch9wavefront6targetE0EEEvS12_.has_indirect_call, 0
	.section	.AMDGPU.csdata,"",@progbits
; Kernel info:
; codeLenInByte = 0
; TotalNumSgprs: 0
; NumVgprs: 0
; ScratchSize: 0
; MemoryBound: 0
; FloatMode: 240
; IeeeMode: 1
; LDSByteSize: 0 bytes/workgroup (compile time only)
; SGPRBlocks: 0
; VGPRBlocks: 0
; NumSGPRsForWavesPerEU: 1
; NumVGPRsForWavesPerEU: 1
; Occupancy: 16
; WaveLimiterHint : 0
; COMPUTE_PGM_RSRC2:SCRATCH_EN: 0
; COMPUTE_PGM_RSRC2:USER_SGPR: 6
; COMPUTE_PGM_RSRC2:TRAP_HANDLER: 0
; COMPUTE_PGM_RSRC2:TGID_X_EN: 1
; COMPUTE_PGM_RSRC2:TGID_Y_EN: 0
; COMPUTE_PGM_RSRC2:TGID_Z_EN: 0
; COMPUTE_PGM_RSRC2:TIDIG_COMP_CNT: 0
	.section	.text._ZN7rocprim17ROCPRIM_400000_NS6detail17trampoline_kernelINS0_13select_configILj256ELj13ELNS0_17block_load_methodE3ELS4_3ELS4_3ELNS0_20block_scan_algorithmE0ELj4294967295EEENS1_25partition_config_selectorILNS1_17partition_subalgoE4EjNS0_10empty_typeEbEEZZNS1_14partition_implILS8_4ELb0ES6_15HIP_vector_typeIjLj2EENS0_17counting_iteratorIjlEEPS9_SG_NS0_5tupleIJPjSI_NS0_16reverse_iteratorISI_EEEEENSH_IJSG_SG_SG_EEES9_SI_JZNS1_25segmented_radix_sort_implINS0_14default_configELb0EPKdPdPKlPlN2at6native12_GLOBAL__N_18offset_tEEE10hipError_tPvRmT1_PNSt15iterator_traitsIS12_E10value_typeET2_T3_PNS13_IS18_E10value_typeET4_jRbjT5_S1E_jjP12ihipStream_tbEUljE_ZNSN_ISO_Lb0ESQ_SR_ST_SU_SY_EESZ_S10_S11_S12_S16_S17_S18_S1B_S1C_jS1D_jS1E_S1E_jjS1G_bEUljE0_EEESZ_S10_S11_S18_S1C_S1E_T6_T7_T9_mT8_S1G_bDpT10_ENKUlT_T0_E_clISt17integral_constantIbLb0EES1T_IbLb1EEEEDaS1P_S1Q_EUlS1P_E_NS1_11comp_targetILNS1_3genE9ELNS1_11target_archE1100ELNS1_3gpuE3ELNS1_3repE0EEENS1_30default_config_static_selectorELNS0_4arch9wavefront6targetE0EEEvS12_,"axG",@progbits,_ZN7rocprim17ROCPRIM_400000_NS6detail17trampoline_kernelINS0_13select_configILj256ELj13ELNS0_17block_load_methodE3ELS4_3ELS4_3ELNS0_20block_scan_algorithmE0ELj4294967295EEENS1_25partition_config_selectorILNS1_17partition_subalgoE4EjNS0_10empty_typeEbEEZZNS1_14partition_implILS8_4ELb0ES6_15HIP_vector_typeIjLj2EENS0_17counting_iteratorIjlEEPS9_SG_NS0_5tupleIJPjSI_NS0_16reverse_iteratorISI_EEEEENSH_IJSG_SG_SG_EEES9_SI_JZNS1_25segmented_radix_sort_implINS0_14default_configELb0EPKdPdPKlPlN2at6native12_GLOBAL__N_18offset_tEEE10hipError_tPvRmT1_PNSt15iterator_traitsIS12_E10value_typeET2_T3_PNS13_IS18_E10value_typeET4_jRbjT5_S1E_jjP12ihipStream_tbEUljE_ZNSN_ISO_Lb0ESQ_SR_ST_SU_SY_EESZ_S10_S11_S12_S16_S17_S18_S1B_S1C_jS1D_jS1E_S1E_jjS1G_bEUljE0_EEESZ_S10_S11_S18_S1C_S1E_T6_T7_T9_mT8_S1G_bDpT10_ENKUlT_T0_E_clISt17integral_constantIbLb0EES1T_IbLb1EEEEDaS1P_S1Q_EUlS1P_E_NS1_11comp_targetILNS1_3genE9ELNS1_11target_archE1100ELNS1_3gpuE3ELNS1_3repE0EEENS1_30default_config_static_selectorELNS0_4arch9wavefront6targetE0EEEvS12_,comdat
	.globl	_ZN7rocprim17ROCPRIM_400000_NS6detail17trampoline_kernelINS0_13select_configILj256ELj13ELNS0_17block_load_methodE3ELS4_3ELS4_3ELNS0_20block_scan_algorithmE0ELj4294967295EEENS1_25partition_config_selectorILNS1_17partition_subalgoE4EjNS0_10empty_typeEbEEZZNS1_14partition_implILS8_4ELb0ES6_15HIP_vector_typeIjLj2EENS0_17counting_iteratorIjlEEPS9_SG_NS0_5tupleIJPjSI_NS0_16reverse_iteratorISI_EEEEENSH_IJSG_SG_SG_EEES9_SI_JZNS1_25segmented_radix_sort_implINS0_14default_configELb0EPKdPdPKlPlN2at6native12_GLOBAL__N_18offset_tEEE10hipError_tPvRmT1_PNSt15iterator_traitsIS12_E10value_typeET2_T3_PNS13_IS18_E10value_typeET4_jRbjT5_S1E_jjP12ihipStream_tbEUljE_ZNSN_ISO_Lb0ESQ_SR_ST_SU_SY_EESZ_S10_S11_S12_S16_S17_S18_S1B_S1C_jS1D_jS1E_S1E_jjS1G_bEUljE0_EEESZ_S10_S11_S18_S1C_S1E_T6_T7_T9_mT8_S1G_bDpT10_ENKUlT_T0_E_clISt17integral_constantIbLb0EES1T_IbLb1EEEEDaS1P_S1Q_EUlS1P_E_NS1_11comp_targetILNS1_3genE9ELNS1_11target_archE1100ELNS1_3gpuE3ELNS1_3repE0EEENS1_30default_config_static_selectorELNS0_4arch9wavefront6targetE0EEEvS12_ ; -- Begin function _ZN7rocprim17ROCPRIM_400000_NS6detail17trampoline_kernelINS0_13select_configILj256ELj13ELNS0_17block_load_methodE3ELS4_3ELS4_3ELNS0_20block_scan_algorithmE0ELj4294967295EEENS1_25partition_config_selectorILNS1_17partition_subalgoE4EjNS0_10empty_typeEbEEZZNS1_14partition_implILS8_4ELb0ES6_15HIP_vector_typeIjLj2EENS0_17counting_iteratorIjlEEPS9_SG_NS0_5tupleIJPjSI_NS0_16reverse_iteratorISI_EEEEENSH_IJSG_SG_SG_EEES9_SI_JZNS1_25segmented_radix_sort_implINS0_14default_configELb0EPKdPdPKlPlN2at6native12_GLOBAL__N_18offset_tEEE10hipError_tPvRmT1_PNSt15iterator_traitsIS12_E10value_typeET2_T3_PNS13_IS18_E10value_typeET4_jRbjT5_S1E_jjP12ihipStream_tbEUljE_ZNSN_ISO_Lb0ESQ_SR_ST_SU_SY_EESZ_S10_S11_S12_S16_S17_S18_S1B_S1C_jS1D_jS1E_S1E_jjS1G_bEUljE0_EEESZ_S10_S11_S18_S1C_S1E_T6_T7_T9_mT8_S1G_bDpT10_ENKUlT_T0_E_clISt17integral_constantIbLb0EES1T_IbLb1EEEEDaS1P_S1Q_EUlS1P_E_NS1_11comp_targetILNS1_3genE9ELNS1_11target_archE1100ELNS1_3gpuE3ELNS1_3repE0EEENS1_30default_config_static_selectorELNS0_4arch9wavefront6targetE0EEEvS12_
	.p2align	8
	.type	_ZN7rocprim17ROCPRIM_400000_NS6detail17trampoline_kernelINS0_13select_configILj256ELj13ELNS0_17block_load_methodE3ELS4_3ELS4_3ELNS0_20block_scan_algorithmE0ELj4294967295EEENS1_25partition_config_selectorILNS1_17partition_subalgoE4EjNS0_10empty_typeEbEEZZNS1_14partition_implILS8_4ELb0ES6_15HIP_vector_typeIjLj2EENS0_17counting_iteratorIjlEEPS9_SG_NS0_5tupleIJPjSI_NS0_16reverse_iteratorISI_EEEEENSH_IJSG_SG_SG_EEES9_SI_JZNS1_25segmented_radix_sort_implINS0_14default_configELb0EPKdPdPKlPlN2at6native12_GLOBAL__N_18offset_tEEE10hipError_tPvRmT1_PNSt15iterator_traitsIS12_E10value_typeET2_T3_PNS13_IS18_E10value_typeET4_jRbjT5_S1E_jjP12ihipStream_tbEUljE_ZNSN_ISO_Lb0ESQ_SR_ST_SU_SY_EESZ_S10_S11_S12_S16_S17_S18_S1B_S1C_jS1D_jS1E_S1E_jjS1G_bEUljE0_EEESZ_S10_S11_S18_S1C_S1E_T6_T7_T9_mT8_S1G_bDpT10_ENKUlT_T0_E_clISt17integral_constantIbLb0EES1T_IbLb1EEEEDaS1P_S1Q_EUlS1P_E_NS1_11comp_targetILNS1_3genE9ELNS1_11target_archE1100ELNS1_3gpuE3ELNS1_3repE0EEENS1_30default_config_static_selectorELNS0_4arch9wavefront6targetE0EEEvS12_,@function
_ZN7rocprim17ROCPRIM_400000_NS6detail17trampoline_kernelINS0_13select_configILj256ELj13ELNS0_17block_load_methodE3ELS4_3ELS4_3ELNS0_20block_scan_algorithmE0ELj4294967295EEENS1_25partition_config_selectorILNS1_17partition_subalgoE4EjNS0_10empty_typeEbEEZZNS1_14partition_implILS8_4ELb0ES6_15HIP_vector_typeIjLj2EENS0_17counting_iteratorIjlEEPS9_SG_NS0_5tupleIJPjSI_NS0_16reverse_iteratorISI_EEEEENSH_IJSG_SG_SG_EEES9_SI_JZNS1_25segmented_radix_sort_implINS0_14default_configELb0EPKdPdPKlPlN2at6native12_GLOBAL__N_18offset_tEEE10hipError_tPvRmT1_PNSt15iterator_traitsIS12_E10value_typeET2_T3_PNS13_IS18_E10value_typeET4_jRbjT5_S1E_jjP12ihipStream_tbEUljE_ZNSN_ISO_Lb0ESQ_SR_ST_SU_SY_EESZ_S10_S11_S12_S16_S17_S18_S1B_S1C_jS1D_jS1E_S1E_jjS1G_bEUljE0_EEESZ_S10_S11_S18_S1C_S1E_T6_T7_T9_mT8_S1G_bDpT10_ENKUlT_T0_E_clISt17integral_constantIbLb0EES1T_IbLb1EEEEDaS1P_S1Q_EUlS1P_E_NS1_11comp_targetILNS1_3genE9ELNS1_11target_archE1100ELNS1_3gpuE3ELNS1_3repE0EEENS1_30default_config_static_selectorELNS0_4arch9wavefront6targetE0EEEvS12_: ; @_ZN7rocprim17ROCPRIM_400000_NS6detail17trampoline_kernelINS0_13select_configILj256ELj13ELNS0_17block_load_methodE3ELS4_3ELS4_3ELNS0_20block_scan_algorithmE0ELj4294967295EEENS1_25partition_config_selectorILNS1_17partition_subalgoE4EjNS0_10empty_typeEbEEZZNS1_14partition_implILS8_4ELb0ES6_15HIP_vector_typeIjLj2EENS0_17counting_iteratorIjlEEPS9_SG_NS0_5tupleIJPjSI_NS0_16reverse_iteratorISI_EEEEENSH_IJSG_SG_SG_EEES9_SI_JZNS1_25segmented_radix_sort_implINS0_14default_configELb0EPKdPdPKlPlN2at6native12_GLOBAL__N_18offset_tEEE10hipError_tPvRmT1_PNSt15iterator_traitsIS12_E10value_typeET2_T3_PNS13_IS18_E10value_typeET4_jRbjT5_S1E_jjP12ihipStream_tbEUljE_ZNSN_ISO_Lb0ESQ_SR_ST_SU_SY_EESZ_S10_S11_S12_S16_S17_S18_S1B_S1C_jS1D_jS1E_S1E_jjS1G_bEUljE0_EEESZ_S10_S11_S18_S1C_S1E_T6_T7_T9_mT8_S1G_bDpT10_ENKUlT_T0_E_clISt17integral_constantIbLb0EES1T_IbLb1EEEEDaS1P_S1Q_EUlS1P_E_NS1_11comp_targetILNS1_3genE9ELNS1_11target_archE1100ELNS1_3gpuE3ELNS1_3repE0EEENS1_30default_config_static_selectorELNS0_4arch9wavefront6targetE0EEEvS12_
; %bb.0:
	.section	.rodata,"a",@progbits
	.p2align	6, 0x0
	.amdhsa_kernel _ZN7rocprim17ROCPRIM_400000_NS6detail17trampoline_kernelINS0_13select_configILj256ELj13ELNS0_17block_load_methodE3ELS4_3ELS4_3ELNS0_20block_scan_algorithmE0ELj4294967295EEENS1_25partition_config_selectorILNS1_17partition_subalgoE4EjNS0_10empty_typeEbEEZZNS1_14partition_implILS8_4ELb0ES6_15HIP_vector_typeIjLj2EENS0_17counting_iteratorIjlEEPS9_SG_NS0_5tupleIJPjSI_NS0_16reverse_iteratorISI_EEEEENSH_IJSG_SG_SG_EEES9_SI_JZNS1_25segmented_radix_sort_implINS0_14default_configELb0EPKdPdPKlPlN2at6native12_GLOBAL__N_18offset_tEEE10hipError_tPvRmT1_PNSt15iterator_traitsIS12_E10value_typeET2_T3_PNS13_IS18_E10value_typeET4_jRbjT5_S1E_jjP12ihipStream_tbEUljE_ZNSN_ISO_Lb0ESQ_SR_ST_SU_SY_EESZ_S10_S11_S12_S16_S17_S18_S1B_S1C_jS1D_jS1E_S1E_jjS1G_bEUljE0_EEESZ_S10_S11_S18_S1C_S1E_T6_T7_T9_mT8_S1G_bDpT10_ENKUlT_T0_E_clISt17integral_constantIbLb0EES1T_IbLb1EEEEDaS1P_S1Q_EUlS1P_E_NS1_11comp_targetILNS1_3genE9ELNS1_11target_archE1100ELNS1_3gpuE3ELNS1_3repE0EEENS1_30default_config_static_selectorELNS0_4arch9wavefront6targetE0EEEvS12_
		.amdhsa_group_segment_fixed_size 0
		.amdhsa_private_segment_fixed_size 0
		.amdhsa_kernarg_size 184
		.amdhsa_user_sgpr_count 6
		.amdhsa_user_sgpr_private_segment_buffer 1
		.amdhsa_user_sgpr_dispatch_ptr 0
		.amdhsa_user_sgpr_queue_ptr 0
		.amdhsa_user_sgpr_kernarg_segment_ptr 1
		.amdhsa_user_sgpr_dispatch_id 0
		.amdhsa_user_sgpr_flat_scratch_init 0
		.amdhsa_user_sgpr_private_segment_size 0
		.amdhsa_wavefront_size32 1
		.amdhsa_uses_dynamic_stack 0
		.amdhsa_system_sgpr_private_segment_wavefront_offset 0
		.amdhsa_system_sgpr_workgroup_id_x 1
		.amdhsa_system_sgpr_workgroup_id_y 0
		.amdhsa_system_sgpr_workgroup_id_z 0
		.amdhsa_system_sgpr_workgroup_info 0
		.amdhsa_system_vgpr_workitem_id 0
		.amdhsa_next_free_vgpr 1
		.amdhsa_next_free_sgpr 1
		.amdhsa_reserve_vcc 0
		.amdhsa_reserve_flat_scratch 0
		.amdhsa_float_round_mode_32 0
		.amdhsa_float_round_mode_16_64 0
		.amdhsa_float_denorm_mode_32 3
		.amdhsa_float_denorm_mode_16_64 3
		.amdhsa_dx10_clamp 1
		.amdhsa_ieee_mode 1
		.amdhsa_fp16_overflow 0
		.amdhsa_workgroup_processor_mode 1
		.amdhsa_memory_ordered 1
		.amdhsa_forward_progress 1
		.amdhsa_shared_vgpr_count 0
		.amdhsa_exception_fp_ieee_invalid_op 0
		.amdhsa_exception_fp_denorm_src 0
		.amdhsa_exception_fp_ieee_div_zero 0
		.amdhsa_exception_fp_ieee_overflow 0
		.amdhsa_exception_fp_ieee_underflow 0
		.amdhsa_exception_fp_ieee_inexact 0
		.amdhsa_exception_int_div_zero 0
	.end_amdhsa_kernel
	.section	.text._ZN7rocprim17ROCPRIM_400000_NS6detail17trampoline_kernelINS0_13select_configILj256ELj13ELNS0_17block_load_methodE3ELS4_3ELS4_3ELNS0_20block_scan_algorithmE0ELj4294967295EEENS1_25partition_config_selectorILNS1_17partition_subalgoE4EjNS0_10empty_typeEbEEZZNS1_14partition_implILS8_4ELb0ES6_15HIP_vector_typeIjLj2EENS0_17counting_iteratorIjlEEPS9_SG_NS0_5tupleIJPjSI_NS0_16reverse_iteratorISI_EEEEENSH_IJSG_SG_SG_EEES9_SI_JZNS1_25segmented_radix_sort_implINS0_14default_configELb0EPKdPdPKlPlN2at6native12_GLOBAL__N_18offset_tEEE10hipError_tPvRmT1_PNSt15iterator_traitsIS12_E10value_typeET2_T3_PNS13_IS18_E10value_typeET4_jRbjT5_S1E_jjP12ihipStream_tbEUljE_ZNSN_ISO_Lb0ESQ_SR_ST_SU_SY_EESZ_S10_S11_S12_S16_S17_S18_S1B_S1C_jS1D_jS1E_S1E_jjS1G_bEUljE0_EEESZ_S10_S11_S18_S1C_S1E_T6_T7_T9_mT8_S1G_bDpT10_ENKUlT_T0_E_clISt17integral_constantIbLb0EES1T_IbLb1EEEEDaS1P_S1Q_EUlS1P_E_NS1_11comp_targetILNS1_3genE9ELNS1_11target_archE1100ELNS1_3gpuE3ELNS1_3repE0EEENS1_30default_config_static_selectorELNS0_4arch9wavefront6targetE0EEEvS12_,"axG",@progbits,_ZN7rocprim17ROCPRIM_400000_NS6detail17trampoline_kernelINS0_13select_configILj256ELj13ELNS0_17block_load_methodE3ELS4_3ELS4_3ELNS0_20block_scan_algorithmE0ELj4294967295EEENS1_25partition_config_selectorILNS1_17partition_subalgoE4EjNS0_10empty_typeEbEEZZNS1_14partition_implILS8_4ELb0ES6_15HIP_vector_typeIjLj2EENS0_17counting_iteratorIjlEEPS9_SG_NS0_5tupleIJPjSI_NS0_16reverse_iteratorISI_EEEEENSH_IJSG_SG_SG_EEES9_SI_JZNS1_25segmented_radix_sort_implINS0_14default_configELb0EPKdPdPKlPlN2at6native12_GLOBAL__N_18offset_tEEE10hipError_tPvRmT1_PNSt15iterator_traitsIS12_E10value_typeET2_T3_PNS13_IS18_E10value_typeET4_jRbjT5_S1E_jjP12ihipStream_tbEUljE_ZNSN_ISO_Lb0ESQ_SR_ST_SU_SY_EESZ_S10_S11_S12_S16_S17_S18_S1B_S1C_jS1D_jS1E_S1E_jjS1G_bEUljE0_EEESZ_S10_S11_S18_S1C_S1E_T6_T7_T9_mT8_S1G_bDpT10_ENKUlT_T0_E_clISt17integral_constantIbLb0EES1T_IbLb1EEEEDaS1P_S1Q_EUlS1P_E_NS1_11comp_targetILNS1_3genE9ELNS1_11target_archE1100ELNS1_3gpuE3ELNS1_3repE0EEENS1_30default_config_static_selectorELNS0_4arch9wavefront6targetE0EEEvS12_,comdat
.Lfunc_end1179:
	.size	_ZN7rocprim17ROCPRIM_400000_NS6detail17trampoline_kernelINS0_13select_configILj256ELj13ELNS0_17block_load_methodE3ELS4_3ELS4_3ELNS0_20block_scan_algorithmE0ELj4294967295EEENS1_25partition_config_selectorILNS1_17partition_subalgoE4EjNS0_10empty_typeEbEEZZNS1_14partition_implILS8_4ELb0ES6_15HIP_vector_typeIjLj2EENS0_17counting_iteratorIjlEEPS9_SG_NS0_5tupleIJPjSI_NS0_16reverse_iteratorISI_EEEEENSH_IJSG_SG_SG_EEES9_SI_JZNS1_25segmented_radix_sort_implINS0_14default_configELb0EPKdPdPKlPlN2at6native12_GLOBAL__N_18offset_tEEE10hipError_tPvRmT1_PNSt15iterator_traitsIS12_E10value_typeET2_T3_PNS13_IS18_E10value_typeET4_jRbjT5_S1E_jjP12ihipStream_tbEUljE_ZNSN_ISO_Lb0ESQ_SR_ST_SU_SY_EESZ_S10_S11_S12_S16_S17_S18_S1B_S1C_jS1D_jS1E_S1E_jjS1G_bEUljE0_EEESZ_S10_S11_S18_S1C_S1E_T6_T7_T9_mT8_S1G_bDpT10_ENKUlT_T0_E_clISt17integral_constantIbLb0EES1T_IbLb1EEEEDaS1P_S1Q_EUlS1P_E_NS1_11comp_targetILNS1_3genE9ELNS1_11target_archE1100ELNS1_3gpuE3ELNS1_3repE0EEENS1_30default_config_static_selectorELNS0_4arch9wavefront6targetE0EEEvS12_, .Lfunc_end1179-_ZN7rocprim17ROCPRIM_400000_NS6detail17trampoline_kernelINS0_13select_configILj256ELj13ELNS0_17block_load_methodE3ELS4_3ELS4_3ELNS0_20block_scan_algorithmE0ELj4294967295EEENS1_25partition_config_selectorILNS1_17partition_subalgoE4EjNS0_10empty_typeEbEEZZNS1_14partition_implILS8_4ELb0ES6_15HIP_vector_typeIjLj2EENS0_17counting_iteratorIjlEEPS9_SG_NS0_5tupleIJPjSI_NS0_16reverse_iteratorISI_EEEEENSH_IJSG_SG_SG_EEES9_SI_JZNS1_25segmented_radix_sort_implINS0_14default_configELb0EPKdPdPKlPlN2at6native12_GLOBAL__N_18offset_tEEE10hipError_tPvRmT1_PNSt15iterator_traitsIS12_E10value_typeET2_T3_PNS13_IS18_E10value_typeET4_jRbjT5_S1E_jjP12ihipStream_tbEUljE_ZNSN_ISO_Lb0ESQ_SR_ST_SU_SY_EESZ_S10_S11_S12_S16_S17_S18_S1B_S1C_jS1D_jS1E_S1E_jjS1G_bEUljE0_EEESZ_S10_S11_S18_S1C_S1E_T6_T7_T9_mT8_S1G_bDpT10_ENKUlT_T0_E_clISt17integral_constantIbLb0EES1T_IbLb1EEEEDaS1P_S1Q_EUlS1P_E_NS1_11comp_targetILNS1_3genE9ELNS1_11target_archE1100ELNS1_3gpuE3ELNS1_3repE0EEENS1_30default_config_static_selectorELNS0_4arch9wavefront6targetE0EEEvS12_
                                        ; -- End function
	.set _ZN7rocprim17ROCPRIM_400000_NS6detail17trampoline_kernelINS0_13select_configILj256ELj13ELNS0_17block_load_methodE3ELS4_3ELS4_3ELNS0_20block_scan_algorithmE0ELj4294967295EEENS1_25partition_config_selectorILNS1_17partition_subalgoE4EjNS0_10empty_typeEbEEZZNS1_14partition_implILS8_4ELb0ES6_15HIP_vector_typeIjLj2EENS0_17counting_iteratorIjlEEPS9_SG_NS0_5tupleIJPjSI_NS0_16reverse_iteratorISI_EEEEENSH_IJSG_SG_SG_EEES9_SI_JZNS1_25segmented_radix_sort_implINS0_14default_configELb0EPKdPdPKlPlN2at6native12_GLOBAL__N_18offset_tEEE10hipError_tPvRmT1_PNSt15iterator_traitsIS12_E10value_typeET2_T3_PNS13_IS18_E10value_typeET4_jRbjT5_S1E_jjP12ihipStream_tbEUljE_ZNSN_ISO_Lb0ESQ_SR_ST_SU_SY_EESZ_S10_S11_S12_S16_S17_S18_S1B_S1C_jS1D_jS1E_S1E_jjS1G_bEUljE0_EEESZ_S10_S11_S18_S1C_S1E_T6_T7_T9_mT8_S1G_bDpT10_ENKUlT_T0_E_clISt17integral_constantIbLb0EES1T_IbLb1EEEEDaS1P_S1Q_EUlS1P_E_NS1_11comp_targetILNS1_3genE9ELNS1_11target_archE1100ELNS1_3gpuE3ELNS1_3repE0EEENS1_30default_config_static_selectorELNS0_4arch9wavefront6targetE0EEEvS12_.num_vgpr, 0
	.set _ZN7rocprim17ROCPRIM_400000_NS6detail17trampoline_kernelINS0_13select_configILj256ELj13ELNS0_17block_load_methodE3ELS4_3ELS4_3ELNS0_20block_scan_algorithmE0ELj4294967295EEENS1_25partition_config_selectorILNS1_17partition_subalgoE4EjNS0_10empty_typeEbEEZZNS1_14partition_implILS8_4ELb0ES6_15HIP_vector_typeIjLj2EENS0_17counting_iteratorIjlEEPS9_SG_NS0_5tupleIJPjSI_NS0_16reverse_iteratorISI_EEEEENSH_IJSG_SG_SG_EEES9_SI_JZNS1_25segmented_radix_sort_implINS0_14default_configELb0EPKdPdPKlPlN2at6native12_GLOBAL__N_18offset_tEEE10hipError_tPvRmT1_PNSt15iterator_traitsIS12_E10value_typeET2_T3_PNS13_IS18_E10value_typeET4_jRbjT5_S1E_jjP12ihipStream_tbEUljE_ZNSN_ISO_Lb0ESQ_SR_ST_SU_SY_EESZ_S10_S11_S12_S16_S17_S18_S1B_S1C_jS1D_jS1E_S1E_jjS1G_bEUljE0_EEESZ_S10_S11_S18_S1C_S1E_T6_T7_T9_mT8_S1G_bDpT10_ENKUlT_T0_E_clISt17integral_constantIbLb0EES1T_IbLb1EEEEDaS1P_S1Q_EUlS1P_E_NS1_11comp_targetILNS1_3genE9ELNS1_11target_archE1100ELNS1_3gpuE3ELNS1_3repE0EEENS1_30default_config_static_selectorELNS0_4arch9wavefront6targetE0EEEvS12_.num_agpr, 0
	.set _ZN7rocprim17ROCPRIM_400000_NS6detail17trampoline_kernelINS0_13select_configILj256ELj13ELNS0_17block_load_methodE3ELS4_3ELS4_3ELNS0_20block_scan_algorithmE0ELj4294967295EEENS1_25partition_config_selectorILNS1_17partition_subalgoE4EjNS0_10empty_typeEbEEZZNS1_14partition_implILS8_4ELb0ES6_15HIP_vector_typeIjLj2EENS0_17counting_iteratorIjlEEPS9_SG_NS0_5tupleIJPjSI_NS0_16reverse_iteratorISI_EEEEENSH_IJSG_SG_SG_EEES9_SI_JZNS1_25segmented_radix_sort_implINS0_14default_configELb0EPKdPdPKlPlN2at6native12_GLOBAL__N_18offset_tEEE10hipError_tPvRmT1_PNSt15iterator_traitsIS12_E10value_typeET2_T3_PNS13_IS18_E10value_typeET4_jRbjT5_S1E_jjP12ihipStream_tbEUljE_ZNSN_ISO_Lb0ESQ_SR_ST_SU_SY_EESZ_S10_S11_S12_S16_S17_S18_S1B_S1C_jS1D_jS1E_S1E_jjS1G_bEUljE0_EEESZ_S10_S11_S18_S1C_S1E_T6_T7_T9_mT8_S1G_bDpT10_ENKUlT_T0_E_clISt17integral_constantIbLb0EES1T_IbLb1EEEEDaS1P_S1Q_EUlS1P_E_NS1_11comp_targetILNS1_3genE9ELNS1_11target_archE1100ELNS1_3gpuE3ELNS1_3repE0EEENS1_30default_config_static_selectorELNS0_4arch9wavefront6targetE0EEEvS12_.numbered_sgpr, 0
	.set _ZN7rocprim17ROCPRIM_400000_NS6detail17trampoline_kernelINS0_13select_configILj256ELj13ELNS0_17block_load_methodE3ELS4_3ELS4_3ELNS0_20block_scan_algorithmE0ELj4294967295EEENS1_25partition_config_selectorILNS1_17partition_subalgoE4EjNS0_10empty_typeEbEEZZNS1_14partition_implILS8_4ELb0ES6_15HIP_vector_typeIjLj2EENS0_17counting_iteratorIjlEEPS9_SG_NS0_5tupleIJPjSI_NS0_16reverse_iteratorISI_EEEEENSH_IJSG_SG_SG_EEES9_SI_JZNS1_25segmented_radix_sort_implINS0_14default_configELb0EPKdPdPKlPlN2at6native12_GLOBAL__N_18offset_tEEE10hipError_tPvRmT1_PNSt15iterator_traitsIS12_E10value_typeET2_T3_PNS13_IS18_E10value_typeET4_jRbjT5_S1E_jjP12ihipStream_tbEUljE_ZNSN_ISO_Lb0ESQ_SR_ST_SU_SY_EESZ_S10_S11_S12_S16_S17_S18_S1B_S1C_jS1D_jS1E_S1E_jjS1G_bEUljE0_EEESZ_S10_S11_S18_S1C_S1E_T6_T7_T9_mT8_S1G_bDpT10_ENKUlT_T0_E_clISt17integral_constantIbLb0EES1T_IbLb1EEEEDaS1P_S1Q_EUlS1P_E_NS1_11comp_targetILNS1_3genE9ELNS1_11target_archE1100ELNS1_3gpuE3ELNS1_3repE0EEENS1_30default_config_static_selectorELNS0_4arch9wavefront6targetE0EEEvS12_.num_named_barrier, 0
	.set _ZN7rocprim17ROCPRIM_400000_NS6detail17trampoline_kernelINS0_13select_configILj256ELj13ELNS0_17block_load_methodE3ELS4_3ELS4_3ELNS0_20block_scan_algorithmE0ELj4294967295EEENS1_25partition_config_selectorILNS1_17partition_subalgoE4EjNS0_10empty_typeEbEEZZNS1_14partition_implILS8_4ELb0ES6_15HIP_vector_typeIjLj2EENS0_17counting_iteratorIjlEEPS9_SG_NS0_5tupleIJPjSI_NS0_16reverse_iteratorISI_EEEEENSH_IJSG_SG_SG_EEES9_SI_JZNS1_25segmented_radix_sort_implINS0_14default_configELb0EPKdPdPKlPlN2at6native12_GLOBAL__N_18offset_tEEE10hipError_tPvRmT1_PNSt15iterator_traitsIS12_E10value_typeET2_T3_PNS13_IS18_E10value_typeET4_jRbjT5_S1E_jjP12ihipStream_tbEUljE_ZNSN_ISO_Lb0ESQ_SR_ST_SU_SY_EESZ_S10_S11_S12_S16_S17_S18_S1B_S1C_jS1D_jS1E_S1E_jjS1G_bEUljE0_EEESZ_S10_S11_S18_S1C_S1E_T6_T7_T9_mT8_S1G_bDpT10_ENKUlT_T0_E_clISt17integral_constantIbLb0EES1T_IbLb1EEEEDaS1P_S1Q_EUlS1P_E_NS1_11comp_targetILNS1_3genE9ELNS1_11target_archE1100ELNS1_3gpuE3ELNS1_3repE0EEENS1_30default_config_static_selectorELNS0_4arch9wavefront6targetE0EEEvS12_.private_seg_size, 0
	.set _ZN7rocprim17ROCPRIM_400000_NS6detail17trampoline_kernelINS0_13select_configILj256ELj13ELNS0_17block_load_methodE3ELS4_3ELS4_3ELNS0_20block_scan_algorithmE0ELj4294967295EEENS1_25partition_config_selectorILNS1_17partition_subalgoE4EjNS0_10empty_typeEbEEZZNS1_14partition_implILS8_4ELb0ES6_15HIP_vector_typeIjLj2EENS0_17counting_iteratorIjlEEPS9_SG_NS0_5tupleIJPjSI_NS0_16reverse_iteratorISI_EEEEENSH_IJSG_SG_SG_EEES9_SI_JZNS1_25segmented_radix_sort_implINS0_14default_configELb0EPKdPdPKlPlN2at6native12_GLOBAL__N_18offset_tEEE10hipError_tPvRmT1_PNSt15iterator_traitsIS12_E10value_typeET2_T3_PNS13_IS18_E10value_typeET4_jRbjT5_S1E_jjP12ihipStream_tbEUljE_ZNSN_ISO_Lb0ESQ_SR_ST_SU_SY_EESZ_S10_S11_S12_S16_S17_S18_S1B_S1C_jS1D_jS1E_S1E_jjS1G_bEUljE0_EEESZ_S10_S11_S18_S1C_S1E_T6_T7_T9_mT8_S1G_bDpT10_ENKUlT_T0_E_clISt17integral_constantIbLb0EES1T_IbLb1EEEEDaS1P_S1Q_EUlS1P_E_NS1_11comp_targetILNS1_3genE9ELNS1_11target_archE1100ELNS1_3gpuE3ELNS1_3repE0EEENS1_30default_config_static_selectorELNS0_4arch9wavefront6targetE0EEEvS12_.uses_vcc, 0
	.set _ZN7rocprim17ROCPRIM_400000_NS6detail17trampoline_kernelINS0_13select_configILj256ELj13ELNS0_17block_load_methodE3ELS4_3ELS4_3ELNS0_20block_scan_algorithmE0ELj4294967295EEENS1_25partition_config_selectorILNS1_17partition_subalgoE4EjNS0_10empty_typeEbEEZZNS1_14partition_implILS8_4ELb0ES6_15HIP_vector_typeIjLj2EENS0_17counting_iteratorIjlEEPS9_SG_NS0_5tupleIJPjSI_NS0_16reverse_iteratorISI_EEEEENSH_IJSG_SG_SG_EEES9_SI_JZNS1_25segmented_radix_sort_implINS0_14default_configELb0EPKdPdPKlPlN2at6native12_GLOBAL__N_18offset_tEEE10hipError_tPvRmT1_PNSt15iterator_traitsIS12_E10value_typeET2_T3_PNS13_IS18_E10value_typeET4_jRbjT5_S1E_jjP12ihipStream_tbEUljE_ZNSN_ISO_Lb0ESQ_SR_ST_SU_SY_EESZ_S10_S11_S12_S16_S17_S18_S1B_S1C_jS1D_jS1E_S1E_jjS1G_bEUljE0_EEESZ_S10_S11_S18_S1C_S1E_T6_T7_T9_mT8_S1G_bDpT10_ENKUlT_T0_E_clISt17integral_constantIbLb0EES1T_IbLb1EEEEDaS1P_S1Q_EUlS1P_E_NS1_11comp_targetILNS1_3genE9ELNS1_11target_archE1100ELNS1_3gpuE3ELNS1_3repE0EEENS1_30default_config_static_selectorELNS0_4arch9wavefront6targetE0EEEvS12_.uses_flat_scratch, 0
	.set _ZN7rocprim17ROCPRIM_400000_NS6detail17trampoline_kernelINS0_13select_configILj256ELj13ELNS0_17block_load_methodE3ELS4_3ELS4_3ELNS0_20block_scan_algorithmE0ELj4294967295EEENS1_25partition_config_selectorILNS1_17partition_subalgoE4EjNS0_10empty_typeEbEEZZNS1_14partition_implILS8_4ELb0ES6_15HIP_vector_typeIjLj2EENS0_17counting_iteratorIjlEEPS9_SG_NS0_5tupleIJPjSI_NS0_16reverse_iteratorISI_EEEEENSH_IJSG_SG_SG_EEES9_SI_JZNS1_25segmented_radix_sort_implINS0_14default_configELb0EPKdPdPKlPlN2at6native12_GLOBAL__N_18offset_tEEE10hipError_tPvRmT1_PNSt15iterator_traitsIS12_E10value_typeET2_T3_PNS13_IS18_E10value_typeET4_jRbjT5_S1E_jjP12ihipStream_tbEUljE_ZNSN_ISO_Lb0ESQ_SR_ST_SU_SY_EESZ_S10_S11_S12_S16_S17_S18_S1B_S1C_jS1D_jS1E_S1E_jjS1G_bEUljE0_EEESZ_S10_S11_S18_S1C_S1E_T6_T7_T9_mT8_S1G_bDpT10_ENKUlT_T0_E_clISt17integral_constantIbLb0EES1T_IbLb1EEEEDaS1P_S1Q_EUlS1P_E_NS1_11comp_targetILNS1_3genE9ELNS1_11target_archE1100ELNS1_3gpuE3ELNS1_3repE0EEENS1_30default_config_static_selectorELNS0_4arch9wavefront6targetE0EEEvS12_.has_dyn_sized_stack, 0
	.set _ZN7rocprim17ROCPRIM_400000_NS6detail17trampoline_kernelINS0_13select_configILj256ELj13ELNS0_17block_load_methodE3ELS4_3ELS4_3ELNS0_20block_scan_algorithmE0ELj4294967295EEENS1_25partition_config_selectorILNS1_17partition_subalgoE4EjNS0_10empty_typeEbEEZZNS1_14partition_implILS8_4ELb0ES6_15HIP_vector_typeIjLj2EENS0_17counting_iteratorIjlEEPS9_SG_NS0_5tupleIJPjSI_NS0_16reverse_iteratorISI_EEEEENSH_IJSG_SG_SG_EEES9_SI_JZNS1_25segmented_radix_sort_implINS0_14default_configELb0EPKdPdPKlPlN2at6native12_GLOBAL__N_18offset_tEEE10hipError_tPvRmT1_PNSt15iterator_traitsIS12_E10value_typeET2_T3_PNS13_IS18_E10value_typeET4_jRbjT5_S1E_jjP12ihipStream_tbEUljE_ZNSN_ISO_Lb0ESQ_SR_ST_SU_SY_EESZ_S10_S11_S12_S16_S17_S18_S1B_S1C_jS1D_jS1E_S1E_jjS1G_bEUljE0_EEESZ_S10_S11_S18_S1C_S1E_T6_T7_T9_mT8_S1G_bDpT10_ENKUlT_T0_E_clISt17integral_constantIbLb0EES1T_IbLb1EEEEDaS1P_S1Q_EUlS1P_E_NS1_11comp_targetILNS1_3genE9ELNS1_11target_archE1100ELNS1_3gpuE3ELNS1_3repE0EEENS1_30default_config_static_selectorELNS0_4arch9wavefront6targetE0EEEvS12_.has_recursion, 0
	.set _ZN7rocprim17ROCPRIM_400000_NS6detail17trampoline_kernelINS0_13select_configILj256ELj13ELNS0_17block_load_methodE3ELS4_3ELS4_3ELNS0_20block_scan_algorithmE0ELj4294967295EEENS1_25partition_config_selectorILNS1_17partition_subalgoE4EjNS0_10empty_typeEbEEZZNS1_14partition_implILS8_4ELb0ES6_15HIP_vector_typeIjLj2EENS0_17counting_iteratorIjlEEPS9_SG_NS0_5tupleIJPjSI_NS0_16reverse_iteratorISI_EEEEENSH_IJSG_SG_SG_EEES9_SI_JZNS1_25segmented_radix_sort_implINS0_14default_configELb0EPKdPdPKlPlN2at6native12_GLOBAL__N_18offset_tEEE10hipError_tPvRmT1_PNSt15iterator_traitsIS12_E10value_typeET2_T3_PNS13_IS18_E10value_typeET4_jRbjT5_S1E_jjP12ihipStream_tbEUljE_ZNSN_ISO_Lb0ESQ_SR_ST_SU_SY_EESZ_S10_S11_S12_S16_S17_S18_S1B_S1C_jS1D_jS1E_S1E_jjS1G_bEUljE0_EEESZ_S10_S11_S18_S1C_S1E_T6_T7_T9_mT8_S1G_bDpT10_ENKUlT_T0_E_clISt17integral_constantIbLb0EES1T_IbLb1EEEEDaS1P_S1Q_EUlS1P_E_NS1_11comp_targetILNS1_3genE9ELNS1_11target_archE1100ELNS1_3gpuE3ELNS1_3repE0EEENS1_30default_config_static_selectorELNS0_4arch9wavefront6targetE0EEEvS12_.has_indirect_call, 0
	.section	.AMDGPU.csdata,"",@progbits
; Kernel info:
; codeLenInByte = 0
; TotalNumSgprs: 0
; NumVgprs: 0
; ScratchSize: 0
; MemoryBound: 0
; FloatMode: 240
; IeeeMode: 1
; LDSByteSize: 0 bytes/workgroup (compile time only)
; SGPRBlocks: 0
; VGPRBlocks: 0
; NumSGPRsForWavesPerEU: 1
; NumVGPRsForWavesPerEU: 1
; Occupancy: 16
; WaveLimiterHint : 0
; COMPUTE_PGM_RSRC2:SCRATCH_EN: 0
; COMPUTE_PGM_RSRC2:USER_SGPR: 6
; COMPUTE_PGM_RSRC2:TRAP_HANDLER: 0
; COMPUTE_PGM_RSRC2:TGID_X_EN: 1
; COMPUTE_PGM_RSRC2:TGID_Y_EN: 0
; COMPUTE_PGM_RSRC2:TGID_Z_EN: 0
; COMPUTE_PGM_RSRC2:TIDIG_COMP_CNT: 0
	.section	.text._ZN7rocprim17ROCPRIM_400000_NS6detail17trampoline_kernelINS0_13select_configILj256ELj13ELNS0_17block_load_methodE3ELS4_3ELS4_3ELNS0_20block_scan_algorithmE0ELj4294967295EEENS1_25partition_config_selectorILNS1_17partition_subalgoE4EjNS0_10empty_typeEbEEZZNS1_14partition_implILS8_4ELb0ES6_15HIP_vector_typeIjLj2EENS0_17counting_iteratorIjlEEPS9_SG_NS0_5tupleIJPjSI_NS0_16reverse_iteratorISI_EEEEENSH_IJSG_SG_SG_EEES9_SI_JZNS1_25segmented_radix_sort_implINS0_14default_configELb0EPKdPdPKlPlN2at6native12_GLOBAL__N_18offset_tEEE10hipError_tPvRmT1_PNSt15iterator_traitsIS12_E10value_typeET2_T3_PNS13_IS18_E10value_typeET4_jRbjT5_S1E_jjP12ihipStream_tbEUljE_ZNSN_ISO_Lb0ESQ_SR_ST_SU_SY_EESZ_S10_S11_S12_S16_S17_S18_S1B_S1C_jS1D_jS1E_S1E_jjS1G_bEUljE0_EEESZ_S10_S11_S18_S1C_S1E_T6_T7_T9_mT8_S1G_bDpT10_ENKUlT_T0_E_clISt17integral_constantIbLb0EES1T_IbLb1EEEEDaS1P_S1Q_EUlS1P_E_NS1_11comp_targetILNS1_3genE8ELNS1_11target_archE1030ELNS1_3gpuE2ELNS1_3repE0EEENS1_30default_config_static_selectorELNS0_4arch9wavefront6targetE0EEEvS12_,"axG",@progbits,_ZN7rocprim17ROCPRIM_400000_NS6detail17trampoline_kernelINS0_13select_configILj256ELj13ELNS0_17block_load_methodE3ELS4_3ELS4_3ELNS0_20block_scan_algorithmE0ELj4294967295EEENS1_25partition_config_selectorILNS1_17partition_subalgoE4EjNS0_10empty_typeEbEEZZNS1_14partition_implILS8_4ELb0ES6_15HIP_vector_typeIjLj2EENS0_17counting_iteratorIjlEEPS9_SG_NS0_5tupleIJPjSI_NS0_16reverse_iteratorISI_EEEEENSH_IJSG_SG_SG_EEES9_SI_JZNS1_25segmented_radix_sort_implINS0_14default_configELb0EPKdPdPKlPlN2at6native12_GLOBAL__N_18offset_tEEE10hipError_tPvRmT1_PNSt15iterator_traitsIS12_E10value_typeET2_T3_PNS13_IS18_E10value_typeET4_jRbjT5_S1E_jjP12ihipStream_tbEUljE_ZNSN_ISO_Lb0ESQ_SR_ST_SU_SY_EESZ_S10_S11_S12_S16_S17_S18_S1B_S1C_jS1D_jS1E_S1E_jjS1G_bEUljE0_EEESZ_S10_S11_S18_S1C_S1E_T6_T7_T9_mT8_S1G_bDpT10_ENKUlT_T0_E_clISt17integral_constantIbLb0EES1T_IbLb1EEEEDaS1P_S1Q_EUlS1P_E_NS1_11comp_targetILNS1_3genE8ELNS1_11target_archE1030ELNS1_3gpuE2ELNS1_3repE0EEENS1_30default_config_static_selectorELNS0_4arch9wavefront6targetE0EEEvS12_,comdat
	.globl	_ZN7rocprim17ROCPRIM_400000_NS6detail17trampoline_kernelINS0_13select_configILj256ELj13ELNS0_17block_load_methodE3ELS4_3ELS4_3ELNS0_20block_scan_algorithmE0ELj4294967295EEENS1_25partition_config_selectorILNS1_17partition_subalgoE4EjNS0_10empty_typeEbEEZZNS1_14partition_implILS8_4ELb0ES6_15HIP_vector_typeIjLj2EENS0_17counting_iteratorIjlEEPS9_SG_NS0_5tupleIJPjSI_NS0_16reverse_iteratorISI_EEEEENSH_IJSG_SG_SG_EEES9_SI_JZNS1_25segmented_radix_sort_implINS0_14default_configELb0EPKdPdPKlPlN2at6native12_GLOBAL__N_18offset_tEEE10hipError_tPvRmT1_PNSt15iterator_traitsIS12_E10value_typeET2_T3_PNS13_IS18_E10value_typeET4_jRbjT5_S1E_jjP12ihipStream_tbEUljE_ZNSN_ISO_Lb0ESQ_SR_ST_SU_SY_EESZ_S10_S11_S12_S16_S17_S18_S1B_S1C_jS1D_jS1E_S1E_jjS1G_bEUljE0_EEESZ_S10_S11_S18_S1C_S1E_T6_T7_T9_mT8_S1G_bDpT10_ENKUlT_T0_E_clISt17integral_constantIbLb0EES1T_IbLb1EEEEDaS1P_S1Q_EUlS1P_E_NS1_11comp_targetILNS1_3genE8ELNS1_11target_archE1030ELNS1_3gpuE2ELNS1_3repE0EEENS1_30default_config_static_selectorELNS0_4arch9wavefront6targetE0EEEvS12_ ; -- Begin function _ZN7rocprim17ROCPRIM_400000_NS6detail17trampoline_kernelINS0_13select_configILj256ELj13ELNS0_17block_load_methodE3ELS4_3ELS4_3ELNS0_20block_scan_algorithmE0ELj4294967295EEENS1_25partition_config_selectorILNS1_17partition_subalgoE4EjNS0_10empty_typeEbEEZZNS1_14partition_implILS8_4ELb0ES6_15HIP_vector_typeIjLj2EENS0_17counting_iteratorIjlEEPS9_SG_NS0_5tupleIJPjSI_NS0_16reverse_iteratorISI_EEEEENSH_IJSG_SG_SG_EEES9_SI_JZNS1_25segmented_radix_sort_implINS0_14default_configELb0EPKdPdPKlPlN2at6native12_GLOBAL__N_18offset_tEEE10hipError_tPvRmT1_PNSt15iterator_traitsIS12_E10value_typeET2_T3_PNS13_IS18_E10value_typeET4_jRbjT5_S1E_jjP12ihipStream_tbEUljE_ZNSN_ISO_Lb0ESQ_SR_ST_SU_SY_EESZ_S10_S11_S12_S16_S17_S18_S1B_S1C_jS1D_jS1E_S1E_jjS1G_bEUljE0_EEESZ_S10_S11_S18_S1C_S1E_T6_T7_T9_mT8_S1G_bDpT10_ENKUlT_T0_E_clISt17integral_constantIbLb0EES1T_IbLb1EEEEDaS1P_S1Q_EUlS1P_E_NS1_11comp_targetILNS1_3genE8ELNS1_11target_archE1030ELNS1_3gpuE2ELNS1_3repE0EEENS1_30default_config_static_selectorELNS0_4arch9wavefront6targetE0EEEvS12_
	.p2align	8
	.type	_ZN7rocprim17ROCPRIM_400000_NS6detail17trampoline_kernelINS0_13select_configILj256ELj13ELNS0_17block_load_methodE3ELS4_3ELS4_3ELNS0_20block_scan_algorithmE0ELj4294967295EEENS1_25partition_config_selectorILNS1_17partition_subalgoE4EjNS0_10empty_typeEbEEZZNS1_14partition_implILS8_4ELb0ES6_15HIP_vector_typeIjLj2EENS0_17counting_iteratorIjlEEPS9_SG_NS0_5tupleIJPjSI_NS0_16reverse_iteratorISI_EEEEENSH_IJSG_SG_SG_EEES9_SI_JZNS1_25segmented_radix_sort_implINS0_14default_configELb0EPKdPdPKlPlN2at6native12_GLOBAL__N_18offset_tEEE10hipError_tPvRmT1_PNSt15iterator_traitsIS12_E10value_typeET2_T3_PNS13_IS18_E10value_typeET4_jRbjT5_S1E_jjP12ihipStream_tbEUljE_ZNSN_ISO_Lb0ESQ_SR_ST_SU_SY_EESZ_S10_S11_S12_S16_S17_S18_S1B_S1C_jS1D_jS1E_S1E_jjS1G_bEUljE0_EEESZ_S10_S11_S18_S1C_S1E_T6_T7_T9_mT8_S1G_bDpT10_ENKUlT_T0_E_clISt17integral_constantIbLb0EES1T_IbLb1EEEEDaS1P_S1Q_EUlS1P_E_NS1_11comp_targetILNS1_3genE8ELNS1_11target_archE1030ELNS1_3gpuE2ELNS1_3repE0EEENS1_30default_config_static_selectorELNS0_4arch9wavefront6targetE0EEEvS12_,@function
_ZN7rocprim17ROCPRIM_400000_NS6detail17trampoline_kernelINS0_13select_configILj256ELj13ELNS0_17block_load_methodE3ELS4_3ELS4_3ELNS0_20block_scan_algorithmE0ELj4294967295EEENS1_25partition_config_selectorILNS1_17partition_subalgoE4EjNS0_10empty_typeEbEEZZNS1_14partition_implILS8_4ELb0ES6_15HIP_vector_typeIjLj2EENS0_17counting_iteratorIjlEEPS9_SG_NS0_5tupleIJPjSI_NS0_16reverse_iteratorISI_EEEEENSH_IJSG_SG_SG_EEES9_SI_JZNS1_25segmented_radix_sort_implINS0_14default_configELb0EPKdPdPKlPlN2at6native12_GLOBAL__N_18offset_tEEE10hipError_tPvRmT1_PNSt15iterator_traitsIS12_E10value_typeET2_T3_PNS13_IS18_E10value_typeET4_jRbjT5_S1E_jjP12ihipStream_tbEUljE_ZNSN_ISO_Lb0ESQ_SR_ST_SU_SY_EESZ_S10_S11_S12_S16_S17_S18_S1B_S1C_jS1D_jS1E_S1E_jjS1G_bEUljE0_EEESZ_S10_S11_S18_S1C_S1E_T6_T7_T9_mT8_S1G_bDpT10_ENKUlT_T0_E_clISt17integral_constantIbLb0EES1T_IbLb1EEEEDaS1P_S1Q_EUlS1P_E_NS1_11comp_targetILNS1_3genE8ELNS1_11target_archE1030ELNS1_3gpuE2ELNS1_3repE0EEENS1_30default_config_static_selectorELNS0_4arch9wavefront6targetE0EEEvS12_: ; @_ZN7rocprim17ROCPRIM_400000_NS6detail17trampoline_kernelINS0_13select_configILj256ELj13ELNS0_17block_load_methodE3ELS4_3ELS4_3ELNS0_20block_scan_algorithmE0ELj4294967295EEENS1_25partition_config_selectorILNS1_17partition_subalgoE4EjNS0_10empty_typeEbEEZZNS1_14partition_implILS8_4ELb0ES6_15HIP_vector_typeIjLj2EENS0_17counting_iteratorIjlEEPS9_SG_NS0_5tupleIJPjSI_NS0_16reverse_iteratorISI_EEEEENSH_IJSG_SG_SG_EEES9_SI_JZNS1_25segmented_radix_sort_implINS0_14default_configELb0EPKdPdPKlPlN2at6native12_GLOBAL__N_18offset_tEEE10hipError_tPvRmT1_PNSt15iterator_traitsIS12_E10value_typeET2_T3_PNS13_IS18_E10value_typeET4_jRbjT5_S1E_jjP12ihipStream_tbEUljE_ZNSN_ISO_Lb0ESQ_SR_ST_SU_SY_EESZ_S10_S11_S12_S16_S17_S18_S1B_S1C_jS1D_jS1E_S1E_jjS1G_bEUljE0_EEESZ_S10_S11_S18_S1C_S1E_T6_T7_T9_mT8_S1G_bDpT10_ENKUlT_T0_E_clISt17integral_constantIbLb0EES1T_IbLb1EEEEDaS1P_S1Q_EUlS1P_E_NS1_11comp_targetILNS1_3genE8ELNS1_11target_archE1030ELNS1_3gpuE2ELNS1_3repE0EEENS1_30default_config_static_selectorELNS0_4arch9wavefront6targetE0EEEvS12_
; %bb.0:
	s_clause 0x7
	s_load_dwordx2 s[34:35], s[4:5], 0x10
	s_load_dwordx4 s[28:31], s[4:5], 0x28
	s_load_dwordx2 s[14:15], s[4:5], 0x38
	s_load_dwordx4 s[24:27], s[4:5], 0x58
	s_load_dwordx2 s[2:3], s[4:5], 0x68
	s_load_dwordx2 s[36:37], s[4:5], 0x78
	;; [unrolled: 1-line block ×3, first 2 shown]
	s_load_dwordx8 s[16:23], s[4:5], 0x90
	v_cmp_eq_u32_e64 s0, 0, v0
	s_and_saveexec_b32 s1, s0
	s_cbranch_execz .LBB1180_4
; %bb.1:
	s_mov_b32 s7, exec_lo
	s_mov_b32 s6, exec_lo
	v_mbcnt_lo_u32_b32 v1, s7, 0
                                        ; implicit-def: $vgpr2
	v_cmpx_eq_u32_e32 0, v1
	s_cbranch_execz .LBB1180_3
; %bb.2:
	s_load_dwordx2 s[8:9], s[4:5], 0x88
	s_bcnt1_i32_b32 s7, s7
	v_mov_b32_e32 v2, 0
	v_mov_b32_e32 v3, s7
	s_waitcnt lgkmcnt(0)
	global_atomic_add v2, v2, v3, s[8:9] glc
.LBB1180_3:
	s_or_b32 exec_lo, exec_lo, s6
	s_waitcnt vmcnt(0)
	v_readfirstlane_b32 s6, v2
	v_mov_b32_e32 v2, 0
	v_add_nc_u32_e32 v1, s6, v1
	ds_write_b32 v2, v1
.LBB1180_4:
	s_or_b32 exec_lo, exec_lo, s1
	v_mov_b32_e32 v1, 0
	s_clause 0x1
	s_load_dword s6, s[4:5], 0x8
	s_load_dword s1, s[4:5], 0x80
	s_waitcnt lgkmcnt(0)
	s_barrier
	buffer_gl0_inv
	ds_read_b32 v5, v1
	s_waitcnt lgkmcnt(0)
	s_barrier
	buffer_gl0_inv
	global_load_dwordx4 v[1:4], v1, s[26:27]
	s_add_i32 s5, s6, s34
	s_mul_i32 s4, s1, 0xd00
	s_add_i32 s1, s1, -1
	s_add_u32 s6, s34, s4
	s_addc_u32 s7, s35, 0
	v_mul_lo_u32 v31, 0xd00, v5
	v_readfirstlane_b32 s27, v5
	v_cmp_gt_u64_e64 s3, s[2:3], s[6:7]
	v_cmp_ne_u32_e32 vcc_lo, s1, v5
	s_cmp_eq_u32 s27, s1
	s_cselect_b32 s26, -1, 0
	v_add3_u32 v5, v31, s5, v0
	s_or_b32 s1, s3, vcc_lo
	s_mov_b32 s3, -1
	s_and_b32 vcc_lo, exec_lo, s1
	v_add_nc_u32_e32 v6, 0x100, v5
	v_add_nc_u32_e32 v7, 0x200, v5
	;; [unrolled: 1-line block ×12, first 2 shown]
	s_cbranch_vccz .LBB1180_6
; %bb.5:
	v_lshlrev_b32_e32 v18, 2, v0
	s_mov_b32 s3, 0
	ds_write2st64_b32 v18, v5, v6 offset1:4
	ds_write2st64_b32 v18, v7, v8 offset0:8 offset1:12
	ds_write2st64_b32 v18, v9, v10 offset0:16 offset1:20
	;; [unrolled: 1-line block ×5, first 2 shown]
	ds_write_b32 v18, v17 offset:12288
	s_waitcnt vmcnt(0) lgkmcnt(0)
	s_barrier
.LBB1180_6:
	s_andn2_b32 vcc_lo, exec_lo, s3
	s_add_i32 s4, s4, s34
	s_cbranch_vccnz .LBB1180_8
; %bb.7:
	v_lshlrev_b32_e32 v18, 2, v0
	ds_write2st64_b32 v18, v5, v6 offset1:4
	ds_write2st64_b32 v18, v7, v8 offset0:8 offset1:12
	ds_write2st64_b32 v18, v9, v10 offset0:16 offset1:20
	;; [unrolled: 1-line block ×5, first 2 shown]
	ds_write_b32 v18, v17 offset:12288
	s_waitcnt vmcnt(0) lgkmcnt(0)
	s_barrier
.LBB1180_8:
	v_mul_u32_u24_e32 v34, 13, v0
	s_waitcnt vmcnt(0)
	buffer_gl0_inv
	v_cndmask_b32_e64 v32, 0, 1, s1
	s_sub_i32 s33, s2, s4
	s_andn2_b32 vcc_lo, exec_lo, s1
	v_lshlrev_b32_e32 v5, 2, v34
	ds_read_b32 v33, v5 offset:48
	ds_read2_b32 v[13:14], v5 offset0:10 offset1:11
	ds_read2_b32 v[15:16], v5 offset0:8 offset1:9
	;; [unrolled: 1-line block ×4, first 2 shown]
	ds_read2_b32 v[23:24], v5 offset1:1
	ds_read2_b32 v[21:22], v5 offset0:2 offset1:3
	s_waitcnt lgkmcnt(0)
	s_barrier
	buffer_gl0_inv
	s_cbranch_vccnz .LBB1180_36
; %bb.9:
	v_add_nc_u32_e32 v5, s17, v23
	v_add_nc_u32_e32 v6, s19, v23
	s_mov_b32 s41, 0
	s_mov_b32 s40, 0
	s_mov_b32 s2, exec_lo
	v_mul_lo_u32 v5, v5, s16
	v_mul_lo_u32 v6, v6, s18
	v_sub_nc_u32_e32 v5, v5, v6
	v_cmp_lt_u32_e32 vcc_lo, s20, v5
	v_cmpx_ge_u32_e64 s20, v5
	s_cbranch_execz .LBB1180_11
; %bb.10:
	v_add_nc_u32_e32 v5, s22, v23
	v_add_nc_u32_e32 v6, s38, v23
	v_mul_lo_u32 v5, v5, s21
	v_mul_lo_u32 v6, v6, s23
	v_sub_nc_u32_e32 v5, v5, v6
	v_cmp_lt_u32_e64 s1, s39, v5
	s_and_b32 s40, s1, exec_lo
.LBB1180_11:
	s_or_b32 exec_lo, exec_lo, s2
	v_add_nc_u32_e32 v5, s17, v24
	v_add_nc_u32_e32 v6, s19, v24
	s_mov_b32 s3, exec_lo
	v_mul_lo_u32 v5, v5, s16
	v_mul_lo_u32 v6, v6, s18
	v_sub_nc_u32_e32 v5, v5, v6
	v_cmp_lt_u32_e64 s1, s20, v5
	v_cmpx_ge_u32_e64 s20, v5
	s_cbranch_execz .LBB1180_13
; %bb.12:
	v_add_nc_u32_e32 v5, s22, v24
	v_add_nc_u32_e32 v6, s38, v24
	v_mul_lo_u32 v5, v5, s21
	v_mul_lo_u32 v6, v6, s23
	v_sub_nc_u32_e32 v5, v5, v6
	v_cmp_lt_u32_e64 s2, s39, v5
	s_and_b32 s41, s2, exec_lo
.LBB1180_13:
	s_or_b32 exec_lo, exec_lo, s3
	v_add_nc_u32_e32 v5, s17, v21
	v_add_nc_u32_e32 v6, s19, v21
	s_mov_b32 s43, 0
	s_mov_b32 s42, 0
	s_mov_b32 s4, exec_lo
	v_mul_lo_u32 v5, v5, s16
	v_mul_lo_u32 v6, v6, s18
	v_sub_nc_u32_e32 v5, v5, v6
	v_cmp_lt_u32_e64 s2, s20, v5
	v_cmpx_ge_u32_e64 s20, v5
	s_cbranch_execz .LBB1180_15
; %bb.14:
	v_add_nc_u32_e32 v5, s22, v21
	v_add_nc_u32_e32 v6, s38, v21
	v_mul_lo_u32 v5, v5, s21
	v_mul_lo_u32 v6, v6, s23
	v_sub_nc_u32_e32 v5, v5, v6
	v_cmp_lt_u32_e64 s3, s39, v5
	s_and_b32 s42, s3, exec_lo
.LBB1180_15:
	s_or_b32 exec_lo, exec_lo, s4
	v_add_nc_u32_e32 v5, s17, v22
	v_add_nc_u32_e32 v6, s19, v22
	s_mov_b32 s5, exec_lo
	v_mul_lo_u32 v5, v5, s16
	v_mul_lo_u32 v6, v6, s18
	v_sub_nc_u32_e32 v5, v5, v6
	v_cmp_lt_u32_e64 s3, s20, v5
	v_cmpx_ge_u32_e64 s20, v5
	s_cbranch_execz .LBB1180_17
; %bb.16:
	v_add_nc_u32_e32 v5, s22, v22
	v_add_nc_u32_e32 v6, s38, v22
	v_mul_lo_u32 v5, v5, s21
	v_mul_lo_u32 v6, v6, s23
	v_sub_nc_u32_e32 v5, v5, v6
	v_cmp_lt_u32_e64 s4, s39, v5
	s_and_b32 s43, s4, exec_lo
.LBB1180_17:
	s_or_b32 exec_lo, exec_lo, s5
	v_add_nc_u32_e32 v5, s17, v19
	v_add_nc_u32_e32 v6, s19, v19
	s_mov_b32 s45, 0
	s_mov_b32 s44, 0
	s_mov_b32 s6, exec_lo
	v_mul_lo_u32 v5, v5, s16
	v_mul_lo_u32 v6, v6, s18
	v_sub_nc_u32_e32 v5, v5, v6
	v_cmp_lt_u32_e64 s4, s20, v5
	;; [unrolled: 40-line block ×6, first 2 shown]
	v_cmpx_ge_u32_e64 s20, v5
	s_cbranch_execz .LBB1180_35
; %bb.34:
	v_add_nc_u32_e32 v5, s22, v33
	v_add_nc_u32_e32 v6, s38, v33
	v_mul_lo_u32 v5, v5, s21
	v_mul_lo_u32 v6, v6, s23
	v_sub_nc_u32_e32 v5, v5, v6
	v_cmp_lt_u32_e64 s13, s39, v5
	s_and_b32 s53, s13, exec_lo
.LBB1180_35:
	s_or_b32 exec_lo, exec_lo, s54
	v_cndmask_b32_e64 v6, 0, 1, s1
	v_cndmask_b32_e64 v8, 0, 1, s3
	v_cndmask_b32_e64 v5, 0, 1, vcc_lo
	v_cndmask_b32_e64 v7, 0, 1, s2
	v_cndmask_b32_e64 v10, 0, 1, s5
	v_lshlrev_b16 v6, 8, v6
	v_lshlrev_b16 v8, 8, v8
	v_cndmask_b32_e64 v12, 0, 1, s7
	v_cndmask_b32_e64 v26, 0, 1, s9
	;; [unrolled: 1-line block ×3, first 2 shown]
	v_or_b32_e32 v5, v5, v6
	v_or_b32_sdwa v6, v7, v8 dst_sel:WORD_1 dst_unused:UNUSED_PAD src0_sel:DWORD src1_sel:DWORD
	v_cndmask_b32_e64 v7, 0, 1, s40
	v_cndmask_b32_e64 v9, 0, 1, s4
	;; [unrolled: 1-line block ×11, first 2 shown]
	v_or_b32_sdwa v35, v5, v6 dst_sel:DWORD dst_unused:UNUSED_PAD src0_sel:WORD_0 src1_sel:DWORD
	v_lshlrev_b16 v5, 8, v10
	v_lshlrev_b16 v6, 8, v12
	;; [unrolled: 1-line block ×5, first 2 shown]
	v_cndmask_b32_e64 v30, 0, 1, s49
	v_cndmask_b32_e64 v37, 0, 1, s47
	;; [unrolled: 1-line block ×5, first 2 shown]
	v_or_b32_e32 v5, v9, v5
	v_or_b32_sdwa v6, v11, v6 dst_sel:WORD_1 dst_unused:UNUSED_PAD src0_sel:DWORD src1_sel:DWORD
	v_or_b32_e32 v9, v25, v10
	v_or_b32_sdwa v10, v27, v12 dst_sel:WORD_1 dst_unused:UNUSED_PAD src0_sel:DWORD src1_sel:DWORD
	v_or_b32_e32 v7, v8, v7
	v_lshlrev_b16 v8, 8, v44
	v_lshlrev_b16 v11, 8, v41
	;; [unrolled: 1-line block ×5, first 2 shown]
	v_or_b32_sdwa v8, v45, v8 dst_sel:WORD_1 dst_unused:UNUSED_PAD src0_sel:DWORD src1_sel:DWORD
	v_or_b32_e32 v11, v43, v11
	v_or_b32_sdwa v12, v40, v12 dst_sel:WORD_1 dst_unused:UNUSED_PAD src0_sel:DWORD src1_sel:DWORD
	v_or_b32_e32 v25, v37, v25
	v_or_b32_sdwa v26, v30, v26 dst_sel:WORD_1 dst_unused:UNUSED_PAD src0_sel:DWORD src1_sel:DWORD
	v_cndmask_b32_e64 v39, 0, 1, s51
	v_cndmask_b32_e64 v42, 0, 1, s53
	v_or_b32_sdwa v37, v5, v6 dst_sel:DWORD dst_unused:UNUSED_PAD src0_sel:WORD_0 src1_sel:DWORD
	v_or_b32_sdwa v40, v9, v10 dst_sel:DWORD dst_unused:UNUSED_PAD src0_sel:WORD_0 src1_sel:DWORD
	;; [unrolled: 1-line block ×5, first 2 shown]
	s_and_b32 vcc_lo, exec_lo, s50
	s_add_i32 s5, s33, 0xd00
	s_cbranch_vccnz .LBB1180_37
	s_branch .LBB1180_114
.LBB1180_36:
                                        ; implicit-def: $vgpr42
                                        ; implicit-def: $vgpr39
                                        ; implicit-def: $vgpr38
                                        ; implicit-def: $vgpr36
                                        ; implicit-def: $vgpr41
                                        ; implicit-def: $vgpr40
                                        ; implicit-def: $vgpr37
                                        ; implicit-def: $vgpr35
	s_add_i32 s5, s33, 0xd00
	s_cbranch_execz .LBB1180_114
.LBB1180_37:
	v_mov_b32_e32 v6, 0
	v_mov_b32_e32 v5, 0
	s_mov_b32 s2, exec_lo
	v_cmpx_gt_u32_e64 s5, v34
	s_cbranch_execz .LBB1180_41
; %bb.38:
	v_add_nc_u32_e32 v5, s17, v23
	v_add_nc_u32_e32 v6, s19, v23
	s_mov_b32 s4, 0
	s_mov_b32 s3, exec_lo
	v_mul_lo_u32 v5, v5, s16
	v_mul_lo_u32 v6, v6, s18
	v_sub_nc_u32_e32 v5, v5, v6
	v_cmp_lt_u32_e32 vcc_lo, s20, v5
	v_cmpx_ge_u32_e64 s20, v5
	s_cbranch_execz .LBB1180_40
; %bb.39:
	v_add_nc_u32_e32 v5, s22, v23
	v_add_nc_u32_e32 v6, s38, v23
	v_mul_lo_u32 v5, v5, s21
	v_mul_lo_u32 v6, v6, s23
	v_sub_nc_u32_e32 v5, v5, v6
	v_cmp_lt_u32_e64 s1, s39, v5
	s_and_b32 s4, s1, exec_lo
.LBB1180_40:
	s_or_b32 exec_lo, exec_lo, s3
	v_cndmask_b32_e64 v6, 0, 1, s4
	v_cndmask_b32_e64 v5, 0, 1, vcc_lo
.LBB1180_41:
	s_or_b32 exec_lo, exec_lo, s2
	v_add_nc_u32_e32 v7, 1, v34
	v_lshlrev_b16 v25, 8, v6
	v_and_b32_e32 v10, 0xff, v5
	v_lshlrev_b16 v11, 8, 0
                                        ; implicit-def: $vgpr9
                                        ; implicit-def: $vgpr12
                                        ; implicit-def: $vgpr6
                                        ; implicit-def: $vgpr8
	v_cmp_le_u32_e32 vcc_lo, s5, v7
                                        ; implicit-def: $vgpr7
	s_and_saveexec_b32 s1, vcc_lo
	s_xor_b32 s1, exec_lo, s1
	s_cbranch_execz .LBB1180_43
; %bb.42:
	v_mov_b32_e32 v5, 8
	v_mov_b32_e32 v6, 0xff
	;; [unrolled: 1-line block ×3, first 2 shown]
	v_and_b32_e32 v8, 0xffff, v11
	v_and_b32_e32 v7, 0xffff, v11
	v_lshrrev_b32_sdwa v5, v5, v25 dst_sel:BYTE_1 dst_unused:UNUSED_PAD src0_sel:DWORD src1_sel:WORD_0
	v_and_b32_sdwa v6, v25, v6 dst_sel:DWORD dst_unused:UNUSED_PAD src0_sel:WORD_0 src1_sel:DWORD
                                        ; implicit-def: $vgpr25
	v_or_b32_e32 v5, v6, v5
	v_and_b32_e32 v6, 0xffff, v11
                                        ; implicit-def: $vgpr11
	v_and_b32_e32 v12, 0xffff, v5
                                        ; implicit-def: $vgpr5
.LBB1180_43:
	s_andn2_saveexec_b32 s2, s1
	s_cbranch_execz .LBB1180_47
; %bb.44:
	v_add_nc_u32_e32 v6, s17, v24
	v_add_nc_u32_e32 v7, s19, v24
	s_mov_b32 s3, 0
	s_mov_b32 s4, exec_lo
	v_mul_lo_u32 v6, v6, s16
	v_mul_lo_u32 v7, v7, s18
	v_sub_nc_u32_e32 v6, v6, v7
	v_cmp_lt_u32_e32 vcc_lo, s20, v6
	v_cmpx_ge_u32_e64 s20, v6
	s_cbranch_execz .LBB1180_46
; %bb.45:
	v_add_nc_u32_e32 v6, s22, v24
	v_add_nc_u32_e32 v7, s38, v24
	v_mul_lo_u32 v6, v6, s21
	v_mul_lo_u32 v7, v7, s23
	v_sub_nc_u32_e32 v6, v6, v7
	v_cmp_lt_u32_e64 s1, s39, v6
	s_and_b32 s3, s1, exec_lo
.LBB1180_46:
	s_or_b32 exec_lo, exec_lo, s4
	v_mov_b32_e32 v6, 0xff
	v_mov_b32_e32 v7, 8
	v_cndmask_b32_e64 v8, 0, 1, vcc_lo
	v_mov_b32_e32 v9, 0
	v_and_b32_sdwa v6, v25, v6 dst_sel:DWORD dst_unused:UNUSED_PAD src0_sel:WORD_0 src1_sel:DWORD
	v_lshrrev_b32_sdwa v7, v7, v25 dst_sel:BYTE_1 dst_unused:UNUSED_PAD src0_sel:DWORD src1_sel:WORD_0
	v_lshlrev_b16 v8, 8, v8
	v_or_b32_e32 v6, v6, v7
	v_cndmask_b32_e64 v7, 0, 1, s3
	v_or_b32_sdwa v5, v5, v8 dst_sel:DWORD dst_unused:UNUSED_PAD src0_sel:BYTE_0 src1_sel:DWORD
	v_and_b32_e32 v8, 0xffff, v11
	v_and_b32_e32 v12, 0xffff, v6
	v_mov_b32_e32 v6, 0
	v_and_b32_e32 v10, 0xffff, v5
	v_lshl_or_b32 v12, v7, 16, v12
	v_and_b32_e32 v7, 0xffff, v11
.LBB1180_47:
	s_or_b32 exec_lo, exec_lo, s2
	v_add_nc_u32_e32 v5, 2, v34
                                        ; implicit-def: $vgpr11
	v_cmp_le_u32_e32 vcc_lo, s5, v5
                                        ; implicit-def: $vgpr5
	s_and_saveexec_b32 s1, vcc_lo
	s_xor_b32 s1, exec_lo, s1
	s_cbranch_execz .LBB1180_49
; %bb.48:
	v_lshrrev_b32_e32 v5, 24, v10
	v_mov_b32_e32 v11, 8
	v_and_b32_e32 v25, 0xff0000, v12
	v_perm_b32 v8, v8, v8, 0x3060504
	v_perm_b32 v5, v5, v10, 0x40c0100
	v_lshrrev_b32_sdwa v10, v11, v5 dst_sel:BYTE_1 dst_unused:UNUSED_PAD src0_sel:DWORD src1_sel:DWORD
	v_or_b32_sdwa v10, v5, v10 dst_sel:DWORD dst_unused:UNUSED_PAD src0_sel:BYTE_0 src1_sel:DWORD
	v_and_b32_e32 v10, 0xffff, v10
	v_and_or_b32 v11, 0xff000000, v5, v10
	v_perm_b32 v5, v12, v25, 0x3020504
                                        ; implicit-def: $vgpr10
                                        ; implicit-def: $vgpr12
.LBB1180_49:
	s_andn2_saveexec_b32 s2, s1
	s_cbranch_execz .LBB1180_53
; %bb.50:
	v_add_nc_u32_e32 v5, s17, v21
	v_add_nc_u32_e32 v11, s19, v21
	s_mov_b32 s3, 0
	s_mov_b32 s4, exec_lo
	v_mul_lo_u32 v5, v5, s16
	v_mul_lo_u32 v11, v11, s18
	v_sub_nc_u32_e32 v5, v5, v11
	v_cmp_lt_u32_e32 vcc_lo, s20, v5
	v_cmpx_ge_u32_e64 s20, v5
	s_cbranch_execz .LBB1180_52
; %bb.51:
	v_add_nc_u32_e32 v5, s22, v21
	v_add_nc_u32_e32 v11, s38, v21
	v_mul_lo_u32 v5, v5, s21
	v_mul_lo_u32 v11, v11, s23
	v_sub_nc_u32_e32 v5, v5, v11
	v_cmp_lt_u32_e64 s1, s39, v5
	s_and_b32 s3, s1, exec_lo
.LBB1180_52:
	s_or_b32 exec_lo, exec_lo, s4
	v_mov_b32_e32 v5, 8
	v_mov_b32_e32 v11, 24
	v_cndmask_b32_e64 v26, 0, 1, s3
	v_mov_b32_e32 v27, 0xff
	v_cndmask_b32_e64 v25, 0, 1, vcc_lo
	v_lshrrev_b32_sdwa v28, v5, v10 dst_sel:BYTE_1 dst_unused:UNUSED_PAD src0_sel:DWORD src1_sel:DWORD
	v_lshrrev_b32_sdwa v11, v11, v10 dst_sel:BYTE_1 dst_unused:UNUSED_PAD src0_sel:DWORD src1_sel:DWORD
	;; [unrolled: 1-line block ×3, first 2 shown]
	v_lshlrev_b16 v26, 8, v26
	v_and_b32_sdwa v27, v12, v27 dst_sel:DWORD dst_unused:UNUSED_PAD src0_sel:WORD_1 src1_sel:DWORD
	v_or_b32_sdwa v10, v10, v28 dst_sel:DWORD dst_unused:UNUSED_PAD src0_sel:BYTE_0 src1_sel:DWORD
	v_or_b32_sdwa v11, v25, v11 dst_sel:WORD_1 dst_unused:UNUSED_PAD src0_sel:DWORD src1_sel:DWORD
	v_or_b32_sdwa v5, v12, v5 dst_sel:DWORD dst_unused:UNUSED_PAD src0_sel:BYTE_0 src1_sel:DWORD
	v_or_b32_sdwa v12, v27, v26 dst_sel:WORD_1 dst_unused:UNUSED_PAD src0_sel:DWORD src1_sel:DWORD
	v_or_b32_sdwa v11, v10, v11 dst_sel:DWORD dst_unused:UNUSED_PAD src0_sel:WORD_0 src1_sel:DWORD
	v_or_b32_sdwa v5, v5, v12 dst_sel:DWORD dst_unused:UNUSED_PAD src0_sel:WORD_0 src1_sel:DWORD
.LBB1180_53:
	s_or_b32 exec_lo, exec_lo, s2
	v_add_nc_u32_e32 v10, 3, v34
                                        ; implicit-def: $vgpr35
	v_cmp_le_u32_e32 vcc_lo, s5, v10
                                        ; implicit-def: $vgpr10
	s_and_saveexec_b32 s1, vcc_lo
	s_xor_b32 s1, exec_lo, s1
	s_cbranch_execz .LBB1180_55
; %bb.54:
	v_mov_b32_e32 v10, 24
	v_mov_b32_e32 v12, 0xff
	;; [unrolled: 1-line block ×3, first 2 shown]
	v_and_b32_e32 v26, 0xff0000, v11
	v_perm_b32 v8, v8, v8, 0x3060504
	v_lshrrev_b32_sdwa v10, v10, v9 dst_sel:BYTE_1 dst_unused:UNUSED_PAD src0_sel:DWORD src1_sel:DWORD
	v_and_b32_sdwa v12, v9, v12 dst_sel:DWORD dst_unused:UNUSED_PAD src0_sel:WORD_1 src1_sel:DWORD
	v_lshrrev_b32_sdwa v9, v25, v9 dst_sel:BYTE_1 dst_unused:UNUSED_PAD src0_sel:DWORD src1_sel:DWORD
	v_perm_b32 v35, v11, v26, 0x3020504
	v_perm_b32 v7, v7, v7, 0x3060504
                                        ; implicit-def: $vgpr11
	v_or_b32_sdwa v10, v12, v10 dst_sel:WORD_1 dst_unused:UNUSED_PAD src0_sel:DWORD src1_sel:DWORD
	v_or_b32_sdwa v10, v9, v10 dst_sel:DWORD dst_unused:UNUSED_PAD src0_sel:WORD_0 src1_sel:DWORD
                                        ; implicit-def: $vgpr9
.LBB1180_55:
	s_andn2_saveexec_b32 s2, s1
	s_cbranch_execz .LBB1180_59
; %bb.56:
	v_add_nc_u32_e32 v10, s17, v22
	v_add_nc_u32_e32 v12, s19, v22
	s_mov_b32 s3, 0
	s_mov_b32 s4, exec_lo
	v_mul_lo_u32 v10, v10, s16
	v_mul_lo_u32 v12, v12, s18
	v_sub_nc_u32_e32 v10, v10, v12
	v_cmp_lt_u32_e32 vcc_lo, s20, v10
	v_cmpx_ge_u32_e64 s20, v10
	s_cbranch_execz .LBB1180_58
; %bb.57:
	v_add_nc_u32_e32 v10, s22, v22
	v_add_nc_u32_e32 v12, s38, v22
	v_mul_lo_u32 v10, v10, s21
	v_mul_lo_u32 v12, v12, s23
	v_sub_nc_u32_e32 v10, v10, v12
	v_cmp_lt_u32_e64 s1, s39, v10
	s_and_b32 s3, s1, exec_lo
.LBB1180_58:
	s_or_b32 exec_lo, exec_lo, s4
	v_mov_b32_e32 v10, 8
	v_cndmask_b32_e64 v12, 0, 1, vcc_lo
	v_mov_b32_e32 v25, 0xff
	v_mov_b32_e32 v26, 24
	v_cndmask_b32_e64 v27, 0, 1, s3
	v_lshrrev_b32_sdwa v28, v10, v11 dst_sel:BYTE_1 dst_unused:UNUSED_PAD src0_sel:DWORD src1_sel:DWORD
	v_lshlrev_b16 v12, 8, v12
	v_and_b32_sdwa v29, v11, v25 dst_sel:DWORD dst_unused:UNUSED_PAD src0_sel:WORD_1 src1_sel:DWORD
	v_lshrrev_b32_sdwa v26, v26, v9 dst_sel:BYTE_1 dst_unused:UNUSED_PAD src0_sel:DWORD src1_sel:DWORD
	v_and_b32_sdwa v25, v9, v25 dst_sel:DWORD dst_unused:UNUSED_PAD src0_sel:WORD_1 src1_sel:DWORD
	v_lshrrev_b32_sdwa v9, v10, v9 dst_sel:BYTE_1 dst_unused:UNUSED_PAD src0_sel:DWORD src1_sel:DWORD
	v_or_b32_sdwa v10, v11, v28 dst_sel:DWORD dst_unused:UNUSED_PAD src0_sel:BYTE_0 src1_sel:DWORD
	v_or_b32_sdwa v11, v29, v12 dst_sel:WORD_1 dst_unused:UNUSED_PAD src0_sel:DWORD src1_sel:DWORD
	v_or_b32_sdwa v12, v25, v26 dst_sel:WORD_1 dst_unused:UNUSED_PAD src0_sel:DWORD src1_sel:DWORD
	v_or_b32_e32 v9, v27, v9
	v_or_b32_sdwa v35, v10, v11 dst_sel:DWORD dst_unused:UNUSED_PAD src0_sel:WORD_0 src1_sel:DWORD
	v_or_b32_sdwa v10, v9, v12 dst_sel:DWORD dst_unused:UNUSED_PAD src0_sel:WORD_0 src1_sel:DWORD
.LBB1180_59:
	s_or_b32 exec_lo, exec_lo, s2
	v_add_nc_u32_e32 v9, 4, v34
                                        ; implicit-def: $vgpr11
	v_cmp_le_u32_e32 vcc_lo, s5, v9
                                        ; implicit-def: $vgpr9
	s_and_saveexec_b32 s1, vcc_lo
	s_xor_b32 s1, exec_lo, s1
	s_cbranch_execz .LBB1180_61
; %bb.60:
	v_mov_b32_e32 v9, 24
	v_mov_b32_e32 v11, 0xff
	;; [unrolled: 1-line block ×3, first 2 shown]
	v_perm_b32 v7, v7, v7, 0x3060504
	v_lshrrev_b32_sdwa v25, v9, v8 dst_sel:BYTE_1 dst_unused:UNUSED_PAD src0_sel:DWORD src1_sel:DWORD
	v_and_b32_sdwa v26, v8, v11 dst_sel:DWORD dst_unused:UNUSED_PAD src0_sel:WORD_1 src1_sel:DWORD
	v_lshrrev_b32_sdwa v9, v9, v10 dst_sel:BYTE_1 dst_unused:UNUSED_PAD src0_sel:DWORD src1_sel:DWORD
	v_and_b32_sdwa v11, v10, v11 dst_sel:DWORD dst_unused:UNUSED_PAD src0_sel:WORD_1 src1_sel:DWORD
	v_lshrrev_b32_sdwa v8, v12, v8 dst_sel:BYTE_1 dst_unused:UNUSED_PAD src0_sel:DWORD src1_sel:DWORD
	v_or_b32_sdwa v12, v26, v25 dst_sel:WORD_1 dst_unused:UNUSED_PAD src0_sel:DWORD src1_sel:DWORD
	v_or_b32_e32 v11, v11, v9
	v_or_b32_sdwa v9, v8, v12 dst_sel:DWORD dst_unused:UNUSED_PAD src0_sel:WORD_0 src1_sel:DWORD
                                        ; implicit-def: $vgpr8
	v_perm_b32 v11, v11, v10, 0x5040c00
                                        ; implicit-def: $vgpr10
.LBB1180_61:
	s_andn2_saveexec_b32 s2, s1
	s_cbranch_execz .LBB1180_65
; %bb.62:
	v_add_nc_u32_e32 v9, s17, v19
	v_add_nc_u32_e32 v11, s19, v19
	s_mov_b32 s3, 0
	s_mov_b32 s4, exec_lo
	v_mul_lo_u32 v9, v9, s16
	v_mul_lo_u32 v11, v11, s18
	v_sub_nc_u32_e32 v9, v9, v11
	v_cmp_lt_u32_e32 vcc_lo, s20, v9
	v_cmpx_ge_u32_e64 s20, v9
	s_cbranch_execz .LBB1180_64
; %bb.63:
	v_add_nc_u32_e32 v9, s22, v19
	v_add_nc_u32_e32 v11, s38, v19
	v_mul_lo_u32 v9, v9, s21
	v_mul_lo_u32 v11, v11, s23
	v_sub_nc_u32_e32 v9, v9, v11
	v_cmp_lt_u32_e64 s1, s39, v9
	s_and_b32 s3, s1, exec_lo
.LBB1180_64:
	s_or_b32 exec_lo, exec_lo, s4
	v_mov_b32_e32 v9, 24
	v_mov_b32_e32 v11, 0xff
	;; [unrolled: 1-line block ×3, first 2 shown]
	v_cndmask_b32_e64 v25, 0, 1, s3
	v_cndmask_b32_e64 v26, 0, 1, vcc_lo
	v_lshrrev_b32_sdwa v27, v9, v8 dst_sel:BYTE_1 dst_unused:UNUSED_PAD src0_sel:DWORD src1_sel:DWORD
	v_and_b32_sdwa v28, v8, v11 dst_sel:DWORD dst_unused:UNUSED_PAD src0_sel:WORD_1 src1_sel:DWORD
	v_lshrrev_b32_sdwa v8, v12, v8 dst_sel:BYTE_1 dst_unused:UNUSED_PAD src0_sel:DWORD src1_sel:DWORD
	v_lshlrev_b16 v12, 8, v25
	v_lshrrev_b32_sdwa v9, v9, v10 dst_sel:BYTE_1 dst_unused:UNUSED_PAD src0_sel:DWORD src1_sel:DWORD
	v_and_b32_sdwa v11, v10, v11 dst_sel:DWORD dst_unused:UNUSED_PAD src0_sel:WORD_1 src1_sel:DWORD
	v_or_b32_sdwa v25, v28, v27 dst_sel:WORD_1 dst_unused:UNUSED_PAD src0_sel:DWORD src1_sel:DWORD
	v_or_b32_e32 v8, v26, v8
	v_or_b32_sdwa v10, v10, v12 dst_sel:DWORD dst_unused:UNUSED_PAD src0_sel:BYTE_0 src1_sel:DWORD
	v_or_b32_sdwa v11, v11, v9 dst_sel:WORD_1 dst_unused:UNUSED_PAD src0_sel:DWORD src1_sel:DWORD
	v_or_b32_sdwa v9, v8, v25 dst_sel:DWORD dst_unused:UNUSED_PAD src0_sel:WORD_0 src1_sel:DWORD
	v_or_b32_sdwa v11, v10, v11 dst_sel:DWORD dst_unused:UNUSED_PAD src0_sel:WORD_0 src1_sel:DWORD
.LBB1180_65:
	s_or_b32 exec_lo, exec_lo, s2
	v_add_nc_u32_e32 v8, 5, v34
                                        ; implicit-def: $vgpr10
	v_cmp_le_u32_e32 vcc_lo, s5, v8
                                        ; implicit-def: $vgpr8
	s_and_saveexec_b32 s1, vcc_lo
	s_xor_b32 s1, exec_lo, s1
	s_cbranch_execz .LBB1180_67
; %bb.66:
	v_lshrrev_b32_e32 v8, 24, v11
	v_mov_b32_e32 v10, 8
	v_mov_b32_e32 v12, 0xff
	v_perm_b32 v7, v7, v7, 0x3060504
	v_perm_b32 v8, v8, v11, 0x40c0100
	v_mov_b32_e32 v11, 24
	v_and_b32_sdwa v12, v9, v12 dst_sel:DWORD dst_unused:UNUSED_PAD src0_sel:WORD_1 src1_sel:DWORD
	v_lshrrev_b32_sdwa v10, v10, v8 dst_sel:BYTE_1 dst_unused:UNUSED_PAD src0_sel:DWORD src1_sel:DWORD
	v_lshrrev_b32_sdwa v11, v11, v9 dst_sel:BYTE_1 dst_unused:UNUSED_PAD src0_sel:DWORD src1_sel:DWORD
	v_or_b32_sdwa v10, v8, v10 dst_sel:DWORD dst_unused:UNUSED_PAD src0_sel:BYTE_0 src1_sel:DWORD
	v_or_b32_e32 v11, v12, v11
	v_and_b32_e32 v12, 0xffff, v10
	v_perm_b32 v10, v11, v9, 0x5040c00
                                        ; implicit-def: $vgpr9
                                        ; implicit-def: $vgpr11
	v_and_or_b32 v8, 0xff000000, v8, v12
.LBB1180_67:
	s_andn2_saveexec_b32 s2, s1
	s_cbranch_execz .LBB1180_71
; %bb.68:
	v_add_nc_u32_e32 v8, s17, v20
	v_add_nc_u32_e32 v10, s19, v20
	s_mov_b32 s3, 0
	s_mov_b32 s4, exec_lo
	v_mul_lo_u32 v8, v8, s16
	v_mul_lo_u32 v10, v10, s18
	v_sub_nc_u32_e32 v8, v8, v10
	v_cmp_lt_u32_e32 vcc_lo, s20, v8
	v_cmpx_ge_u32_e64 s20, v8
	s_cbranch_execz .LBB1180_70
; %bb.69:
	v_add_nc_u32_e32 v8, s22, v20
	v_add_nc_u32_e32 v10, s38, v20
	v_mul_lo_u32 v8, v8, s21
	v_mul_lo_u32 v10, v10, s23
	v_sub_nc_u32_e32 v8, v8, v10
	v_cmp_lt_u32_e64 s1, s39, v8
	s_and_b32 s3, s1, exec_lo
.LBB1180_70:
	s_or_b32 exec_lo, exec_lo, s4
	v_cndmask_b32_e64 v8, 0, 1, vcc_lo
	v_mov_b32_e32 v10, 24
	v_mov_b32_e32 v12, 0xff
	;; [unrolled: 1-line block ×3, first 2 shown]
	v_cndmask_b32_e64 v26, 0, 1, s3
	v_lshlrev_b16 v8, 8, v8
	v_lshrrev_b32_sdwa v27, v10, v9 dst_sel:BYTE_1 dst_unused:UNUSED_PAD src0_sel:DWORD src1_sel:DWORD
	v_and_b32_sdwa v12, v9, v12 dst_sel:DWORD dst_unused:UNUSED_PAD src0_sel:WORD_1 src1_sel:DWORD
	v_lshrrev_b32_sdwa v25, v25, v11 dst_sel:BYTE_1 dst_unused:UNUSED_PAD src0_sel:DWORD src1_sel:DWORD
	v_lshrrev_b32_sdwa v10, v10, v11 dst_sel:BYTE_1 dst_unused:UNUSED_PAD src0_sel:DWORD src1_sel:DWORD
	v_or_b32_sdwa v8, v9, v8 dst_sel:DWORD dst_unused:UNUSED_PAD src0_sel:BYTE_0 src1_sel:DWORD
	v_or_b32_sdwa v9, v12, v27 dst_sel:WORD_1 dst_unused:UNUSED_PAD src0_sel:DWORD src1_sel:DWORD
	v_or_b32_sdwa v11, v11, v25 dst_sel:DWORD dst_unused:UNUSED_PAD src0_sel:BYTE_0 src1_sel:DWORD
	v_or_b32_sdwa v12, v26, v10 dst_sel:WORD_1 dst_unused:UNUSED_PAD src0_sel:DWORD src1_sel:DWORD
	v_or_b32_sdwa v10, v8, v9 dst_sel:DWORD dst_unused:UNUSED_PAD src0_sel:WORD_0 src1_sel:DWORD
	v_or_b32_sdwa v8, v11, v12 dst_sel:DWORD dst_unused:UNUSED_PAD src0_sel:WORD_0 src1_sel:DWORD
.LBB1180_71:
	s_or_b32 exec_lo, exec_lo, s2
	v_add_nc_u32_e32 v9, 6, v34
                                        ; implicit-def: $vgpr36
	v_cmp_le_u32_e32 vcc_lo, s5, v9
                                        ; implicit-def: $vgpr9
	s_and_saveexec_b32 s1, vcc_lo
	s_xor_b32 s1, exec_lo, s1
	s_cbranch_execz .LBB1180_73
; %bb.72:
	v_lshrrev_b32_e32 v9, 24, v10
	v_mov_b32_e32 v11, 8
	v_perm_b32 v7, v7, v7, 0x3060504
	v_perm_b32 v9, v9, v10, 0x40c0100
	v_lshrrev_b32_sdwa v10, v11, v9 dst_sel:BYTE_1 dst_unused:UNUSED_PAD src0_sel:DWORD src1_sel:DWORD
	v_and_b32_e32 v11, 0xff0000, v8
	v_or_b32_sdwa v10, v9, v10 dst_sel:DWORD dst_unused:UNUSED_PAD src0_sel:BYTE_0 src1_sel:DWORD
	v_perm_b32 v36, v8, v11, 0x3020504
                                        ; implicit-def: $vgpr8
	v_and_b32_e32 v10, 0xffff, v10
	v_and_or_b32 v9, 0xff000000, v9, v10
                                        ; implicit-def: $vgpr10
.LBB1180_73:
	s_andn2_saveexec_b32 s2, s1
	s_cbranch_execz .LBB1180_77
; %bb.74:
	v_add_nc_u32_e32 v9, s17, v17
	v_add_nc_u32_e32 v11, s19, v17
	s_mov_b32 s3, 0
	s_mov_b32 s4, exec_lo
	v_mul_lo_u32 v9, v9, s16
	v_mul_lo_u32 v11, v11, s18
	v_sub_nc_u32_e32 v9, v9, v11
	v_cmp_lt_u32_e32 vcc_lo, s20, v9
	v_cmpx_ge_u32_e64 s20, v9
	s_cbranch_execz .LBB1180_76
; %bb.75:
	v_add_nc_u32_e32 v9, s22, v17
	v_add_nc_u32_e32 v11, s38, v17
	v_mul_lo_u32 v9, v9, s21
	v_mul_lo_u32 v11, v11, s23
	v_sub_nc_u32_e32 v9, v9, v11
	v_cmp_lt_u32_e64 s1, s39, v9
	s_and_b32 s3, s1, exec_lo
.LBB1180_76:
	s_or_b32 exec_lo, exec_lo, s4
	v_mov_b32_e32 v9, 8
	v_mov_b32_e32 v11, 24
	v_cndmask_b32_e64 v25, 0, 1, s3
	v_mov_b32_e32 v26, 0xff
	v_cndmask_b32_e64 v12, 0, 1, vcc_lo
	v_lshrrev_b32_sdwa v27, v9, v10 dst_sel:BYTE_1 dst_unused:UNUSED_PAD src0_sel:DWORD src1_sel:DWORD
	v_lshrrev_b32_sdwa v11, v11, v10 dst_sel:BYTE_1 dst_unused:UNUSED_PAD src0_sel:DWORD src1_sel:DWORD
	v_lshrrev_b32_sdwa v9, v9, v8 dst_sel:BYTE_1 dst_unused:UNUSED_PAD src0_sel:DWORD src1_sel:DWORD
	v_lshlrev_b16 v25, 8, v25
	v_and_b32_sdwa v26, v8, v26 dst_sel:DWORD dst_unused:UNUSED_PAD src0_sel:WORD_1 src1_sel:DWORD
	v_or_b32_sdwa v10, v10, v27 dst_sel:DWORD dst_unused:UNUSED_PAD src0_sel:BYTE_0 src1_sel:DWORD
	v_or_b32_sdwa v11, v12, v11 dst_sel:WORD_1 dst_unused:UNUSED_PAD src0_sel:DWORD src1_sel:DWORD
	v_or_b32_sdwa v8, v8, v9 dst_sel:DWORD dst_unused:UNUSED_PAD src0_sel:BYTE_0 src1_sel:DWORD
	v_or_b32_sdwa v12, v26, v25 dst_sel:WORD_1 dst_unused:UNUSED_PAD src0_sel:DWORD src1_sel:DWORD
	v_or_b32_sdwa v9, v10, v11 dst_sel:DWORD dst_unused:UNUSED_PAD src0_sel:WORD_0 src1_sel:DWORD
	v_or_b32_sdwa v36, v8, v12 dst_sel:DWORD dst_unused:UNUSED_PAD src0_sel:WORD_0 src1_sel:DWORD
.LBB1180_77:
	s_or_b32 exec_lo, exec_lo, s2
	v_add_nc_u32_e32 v8, 7, v34
                                        ; implicit-def: $vgpr37
	v_cmp_le_u32_e32 vcc_lo, s5, v8
                                        ; implicit-def: $vgpr8
	s_and_saveexec_b32 s1, vcc_lo
	s_xor_b32 s1, exec_lo, s1
	s_cbranch_execz .LBB1180_79
; %bb.78:
	v_mov_b32_e32 v8, 24
	v_mov_b32_e32 v10, 0xff
	;; [unrolled: 1-line block ×3, first 2 shown]
	v_lshrrev_b32_sdwa v8, v8, v7 dst_sel:BYTE_1 dst_unused:UNUSED_PAD src0_sel:DWORD src1_sel:DWORD
	v_and_b32_sdwa v10, v7, v10 dst_sel:DWORD dst_unused:UNUSED_PAD src0_sel:WORD_1 src1_sel:DWORD
	v_lshrrev_b32_sdwa v7, v11, v7 dst_sel:BYTE_1 dst_unused:UNUSED_PAD src0_sel:DWORD src1_sel:DWORD
	v_and_b32_e32 v11, 0xff0000, v9
	v_or_b32_sdwa v8, v10, v8 dst_sel:WORD_1 dst_unused:UNUSED_PAD src0_sel:DWORD src1_sel:DWORD
	v_perm_b32 v37, v9, v11, 0x3020504
                                        ; implicit-def: $vgpr9
	v_or_b32_sdwa v8, v7, v8 dst_sel:DWORD dst_unused:UNUSED_PAD src0_sel:WORD_0 src1_sel:DWORD
                                        ; implicit-def: $vgpr7
.LBB1180_79:
	s_andn2_saveexec_b32 s2, s1
	s_cbranch_execz .LBB1180_83
; %bb.80:
	v_add_nc_u32_e32 v8, s17, v18
	v_add_nc_u32_e32 v10, s19, v18
	s_mov_b32 s3, 0
	s_mov_b32 s4, exec_lo
	v_mul_lo_u32 v8, v8, s16
	v_mul_lo_u32 v10, v10, s18
	v_sub_nc_u32_e32 v8, v8, v10
	v_cmp_lt_u32_e32 vcc_lo, s20, v8
	v_cmpx_ge_u32_e64 s20, v8
	s_cbranch_execz .LBB1180_82
; %bb.81:
	v_add_nc_u32_e32 v8, s22, v18
	v_add_nc_u32_e32 v10, s38, v18
	v_mul_lo_u32 v8, v8, s21
	v_mul_lo_u32 v10, v10, s23
	v_sub_nc_u32_e32 v8, v8, v10
	v_cmp_lt_u32_e64 s1, s39, v8
	s_and_b32 s3, s1, exec_lo
.LBB1180_82:
	s_or_b32 exec_lo, exec_lo, s4
	v_mov_b32_e32 v8, 8
	v_cndmask_b32_e64 v10, 0, 1, vcc_lo
	v_mov_b32_e32 v11, 0xff
	v_mov_b32_e32 v12, 24
	v_cndmask_b32_e64 v25, 0, 1, s3
	v_lshrrev_b32_sdwa v26, v8, v9 dst_sel:BYTE_1 dst_unused:UNUSED_PAD src0_sel:DWORD src1_sel:DWORD
	v_lshlrev_b16 v10, 8, v10
	v_and_b32_sdwa v27, v9, v11 dst_sel:DWORD dst_unused:UNUSED_PAD src0_sel:WORD_1 src1_sel:DWORD
	v_lshrrev_b32_sdwa v12, v12, v7 dst_sel:BYTE_1 dst_unused:UNUSED_PAD src0_sel:DWORD src1_sel:DWORD
	v_and_b32_sdwa v11, v7, v11 dst_sel:DWORD dst_unused:UNUSED_PAD src0_sel:WORD_1 src1_sel:DWORD
	v_lshrrev_b32_sdwa v7, v8, v7 dst_sel:BYTE_1 dst_unused:UNUSED_PAD src0_sel:DWORD src1_sel:DWORD
	v_or_b32_sdwa v8, v9, v26 dst_sel:DWORD dst_unused:UNUSED_PAD src0_sel:BYTE_0 src1_sel:DWORD
	v_or_b32_sdwa v9, v27, v10 dst_sel:WORD_1 dst_unused:UNUSED_PAD src0_sel:DWORD src1_sel:DWORD
	v_or_b32_sdwa v10, v11, v12 dst_sel:WORD_1 dst_unused:UNUSED_PAD src0_sel:DWORD src1_sel:DWORD
	v_or_b32_e32 v7, v25, v7
	v_or_b32_sdwa v37, v8, v9 dst_sel:DWORD dst_unused:UNUSED_PAD src0_sel:WORD_0 src1_sel:DWORD
	v_or_b32_sdwa v8, v7, v10 dst_sel:DWORD dst_unused:UNUSED_PAD src0_sel:WORD_0 src1_sel:DWORD
.LBB1180_83:
	s_or_b32 exec_lo, exec_lo, s2
	v_add_nc_u32_e32 v7, 8, v34
                                        ; implicit-def: $vgpr9
	v_cmp_le_u32_e32 vcc_lo, s5, v7
                                        ; implicit-def: $vgpr7
	s_and_saveexec_b32 s1, vcc_lo
	s_xor_b32 s1, exec_lo, s1
	s_cbranch_execz .LBB1180_85
; %bb.84:
	v_mov_b32_e32 v7, 24
	v_mov_b32_e32 v9, 0xff
	;; [unrolled: 1-line block ×3, first 2 shown]
	v_perm_b32 v5, v5, v5, 0x3060504
	v_lshrrev_b32_sdwa v11, v7, v8 dst_sel:BYTE_1 dst_unused:UNUSED_PAD src0_sel:DWORD src1_sel:DWORD
	v_lshrrev_b32_sdwa v7, v7, v6 dst_sel:BYTE_1 dst_unused:UNUSED_PAD src0_sel:DWORD src1_sel:DWORD
	v_and_b32_sdwa v12, v6, v9 dst_sel:DWORD dst_unused:UNUSED_PAD src0_sel:WORD_1 src1_sel:DWORD
	v_and_b32_sdwa v9, v8, v9 dst_sel:DWORD dst_unused:UNUSED_PAD src0_sel:WORD_1 src1_sel:DWORD
	v_lshrrev_b32_sdwa v6, v10, v6 dst_sel:BYTE_1 dst_unused:UNUSED_PAD src0_sel:DWORD src1_sel:DWORD
	v_or_b32_sdwa v7, v12, v7 dst_sel:WORD_1 dst_unused:UNUSED_PAD src0_sel:DWORD src1_sel:DWORD
	v_or_b32_e32 v9, v9, v11
	v_or_b32_sdwa v7, v6, v7 dst_sel:DWORD dst_unused:UNUSED_PAD src0_sel:WORD_0 src1_sel:DWORD
	v_perm_b32 v9, v9, v8, 0x5040c00
                                        ; implicit-def: $vgpr6
                                        ; implicit-def: $vgpr8
.LBB1180_85:
	s_andn2_saveexec_b32 s2, s1
	s_cbranch_execz .LBB1180_89
; %bb.86:
	v_add_nc_u32_e32 v7, s17, v15
	v_add_nc_u32_e32 v9, s19, v15
	s_mov_b32 s3, 0
	s_mov_b32 s4, exec_lo
	v_mul_lo_u32 v7, v7, s16
	v_mul_lo_u32 v9, v9, s18
	v_sub_nc_u32_e32 v7, v7, v9
	v_cmp_lt_u32_e32 vcc_lo, s20, v7
	v_cmpx_ge_u32_e64 s20, v7
	s_cbranch_execz .LBB1180_88
; %bb.87:
	v_add_nc_u32_e32 v7, s22, v15
	v_add_nc_u32_e32 v9, s38, v15
	v_mul_lo_u32 v7, v7, s21
	v_mul_lo_u32 v9, v9, s23
	v_sub_nc_u32_e32 v7, v7, v9
	v_cmp_lt_u32_e64 s1, s39, v7
	s_and_b32 s3, s1, exec_lo
.LBB1180_88:
	s_or_b32 exec_lo, exec_lo, s4
	v_mov_b32_e32 v7, 24
	v_mov_b32_e32 v9, 0xff
	;; [unrolled: 1-line block ×3, first 2 shown]
	v_cndmask_b32_e64 v11, 0, 1, s3
	v_cndmask_b32_e64 v12, 0, 1, vcc_lo
	v_lshrrev_b32_sdwa v25, v7, v6 dst_sel:BYTE_1 dst_unused:UNUSED_PAD src0_sel:DWORD src1_sel:DWORD
	v_and_b32_sdwa v26, v6, v9 dst_sel:DWORD dst_unused:UNUSED_PAD src0_sel:WORD_1 src1_sel:DWORD
	v_lshrrev_b32_sdwa v6, v10, v6 dst_sel:BYTE_1 dst_unused:UNUSED_PAD src0_sel:DWORD src1_sel:DWORD
	v_lshlrev_b16 v10, 8, v11
	v_lshrrev_b32_sdwa v7, v7, v8 dst_sel:BYTE_1 dst_unused:UNUSED_PAD src0_sel:DWORD src1_sel:DWORD
	v_and_b32_sdwa v9, v8, v9 dst_sel:DWORD dst_unused:UNUSED_PAD src0_sel:WORD_1 src1_sel:DWORD
	v_or_b32_sdwa v11, v26, v25 dst_sel:WORD_1 dst_unused:UNUSED_PAD src0_sel:DWORD src1_sel:DWORD
	v_or_b32_e32 v6, v12, v6
	v_or_b32_sdwa v8, v8, v10 dst_sel:DWORD dst_unused:UNUSED_PAD src0_sel:BYTE_0 src1_sel:DWORD
	v_or_b32_sdwa v9, v9, v7 dst_sel:WORD_1 dst_unused:UNUSED_PAD src0_sel:DWORD src1_sel:DWORD
	v_or_b32_sdwa v7, v6, v11 dst_sel:DWORD dst_unused:UNUSED_PAD src0_sel:WORD_0 src1_sel:DWORD
	v_or_b32_sdwa v9, v8, v9 dst_sel:DWORD dst_unused:UNUSED_PAD src0_sel:WORD_0 src1_sel:DWORD
.LBB1180_89:
	s_or_b32 exec_lo, exec_lo, s2
	v_add_nc_u32_e32 v6, 9, v34
                                        ; implicit-def: $vgpr8
	v_cmp_le_u32_e32 vcc_lo, s5, v6
                                        ; implicit-def: $vgpr6
	s_and_saveexec_b32 s1, vcc_lo
	s_xor_b32 s1, exec_lo, s1
	s_cbranch_execz .LBB1180_91
; %bb.90:
	v_lshrrev_b32_e32 v6, 24, v9
	v_mov_b32_e32 v8, 8
	v_mov_b32_e32 v10, 0xff
	v_perm_b32 v5, v5, v5, 0x3060504
	v_perm_b32 v6, v6, v9, 0x40c0100
	v_mov_b32_e32 v9, 24
	v_and_b32_sdwa v10, v7, v10 dst_sel:DWORD dst_unused:UNUSED_PAD src0_sel:WORD_1 src1_sel:DWORD
	v_lshrrev_b32_sdwa v8, v8, v6 dst_sel:BYTE_1 dst_unused:UNUSED_PAD src0_sel:DWORD src1_sel:DWORD
	v_lshrrev_b32_sdwa v9, v9, v7 dst_sel:BYTE_1 dst_unused:UNUSED_PAD src0_sel:DWORD src1_sel:DWORD
	v_or_b32_sdwa v8, v6, v8 dst_sel:DWORD dst_unused:UNUSED_PAD src0_sel:BYTE_0 src1_sel:DWORD
	v_or_b32_e32 v9, v10, v9
	v_and_b32_e32 v10, 0xffff, v8
	v_perm_b32 v8, v9, v7, 0x5040c00
                                        ; implicit-def: $vgpr7
                                        ; implicit-def: $vgpr9
	v_and_or_b32 v6, 0xff000000, v6, v10
.LBB1180_91:
	s_andn2_saveexec_b32 s2, s1
	s_cbranch_execz .LBB1180_95
; %bb.92:
	v_add_nc_u32_e32 v6, s17, v16
	v_add_nc_u32_e32 v8, s19, v16
	s_mov_b32 s3, 0
	s_mov_b32 s4, exec_lo
	v_mul_lo_u32 v6, v6, s16
	v_mul_lo_u32 v8, v8, s18
	v_sub_nc_u32_e32 v6, v6, v8
	v_cmp_lt_u32_e32 vcc_lo, s20, v6
	v_cmpx_ge_u32_e64 s20, v6
	s_cbranch_execz .LBB1180_94
; %bb.93:
	v_add_nc_u32_e32 v6, s22, v16
	v_add_nc_u32_e32 v8, s38, v16
	v_mul_lo_u32 v6, v6, s21
	v_mul_lo_u32 v8, v8, s23
	v_sub_nc_u32_e32 v6, v6, v8
	v_cmp_lt_u32_e64 s1, s39, v6
	s_and_b32 s3, s1, exec_lo
.LBB1180_94:
	s_or_b32 exec_lo, exec_lo, s4
	v_cndmask_b32_e64 v6, 0, 1, vcc_lo
	v_mov_b32_e32 v8, 24
	v_mov_b32_e32 v10, 0xff
	;; [unrolled: 1-line block ×3, first 2 shown]
	v_cndmask_b32_e64 v12, 0, 1, s3
	v_lshlrev_b16 v6, 8, v6
	v_lshrrev_b32_sdwa v25, v8, v7 dst_sel:BYTE_1 dst_unused:UNUSED_PAD src0_sel:DWORD src1_sel:DWORD
	v_and_b32_sdwa v10, v7, v10 dst_sel:DWORD dst_unused:UNUSED_PAD src0_sel:WORD_1 src1_sel:DWORD
	v_lshrrev_b32_sdwa v11, v11, v9 dst_sel:BYTE_1 dst_unused:UNUSED_PAD src0_sel:DWORD src1_sel:DWORD
	v_lshrrev_b32_sdwa v8, v8, v9 dst_sel:BYTE_1 dst_unused:UNUSED_PAD src0_sel:DWORD src1_sel:DWORD
	v_or_b32_sdwa v6, v7, v6 dst_sel:DWORD dst_unused:UNUSED_PAD src0_sel:BYTE_0 src1_sel:DWORD
	v_or_b32_sdwa v7, v10, v25 dst_sel:WORD_1 dst_unused:UNUSED_PAD src0_sel:DWORD src1_sel:DWORD
	v_or_b32_sdwa v9, v9, v11 dst_sel:DWORD dst_unused:UNUSED_PAD src0_sel:BYTE_0 src1_sel:DWORD
	v_or_b32_sdwa v10, v12, v8 dst_sel:WORD_1 dst_unused:UNUSED_PAD src0_sel:DWORD src1_sel:DWORD
	v_or_b32_sdwa v8, v6, v7 dst_sel:DWORD dst_unused:UNUSED_PAD src0_sel:WORD_0 src1_sel:DWORD
	v_or_b32_sdwa v6, v9, v10 dst_sel:DWORD dst_unused:UNUSED_PAD src0_sel:WORD_0 src1_sel:DWORD
.LBB1180_95:
	s_or_b32 exec_lo, exec_lo, s2
	v_add_nc_u32_e32 v7, 10, v34
                                        ; implicit-def: $vgpr38
	v_cmp_le_u32_e32 vcc_lo, s5, v7
                                        ; implicit-def: $vgpr7
	s_and_saveexec_b32 s1, vcc_lo
	s_xor_b32 s1, exec_lo, s1
	s_cbranch_execz .LBB1180_97
; %bb.96:
	v_lshrrev_b32_e32 v7, 24, v8
	v_mov_b32_e32 v9, 8
	v_perm_b32 v5, v5, v5, 0x3060504
	v_perm_b32 v7, v7, v8, 0x40c0100
	v_lshrrev_b32_sdwa v8, v9, v7 dst_sel:BYTE_1 dst_unused:UNUSED_PAD src0_sel:DWORD src1_sel:DWORD
	v_and_b32_e32 v9, 0xff0000, v6
	v_or_b32_sdwa v8, v7, v8 dst_sel:DWORD dst_unused:UNUSED_PAD src0_sel:BYTE_0 src1_sel:DWORD
	v_perm_b32 v38, v6, v9, 0x3020504
                                        ; implicit-def: $vgpr6
	v_and_b32_e32 v8, 0xffff, v8
	v_and_or_b32 v7, 0xff000000, v7, v8
                                        ; implicit-def: $vgpr8
.LBB1180_97:
	s_andn2_saveexec_b32 s2, s1
	s_cbranch_execz .LBB1180_101
; %bb.98:
	v_add_nc_u32_e32 v7, s17, v13
	v_add_nc_u32_e32 v9, s19, v13
	s_mov_b32 s3, 0
	s_mov_b32 s4, exec_lo
	v_mul_lo_u32 v7, v7, s16
	v_mul_lo_u32 v9, v9, s18
	v_sub_nc_u32_e32 v7, v7, v9
	v_cmp_lt_u32_e32 vcc_lo, s20, v7
	v_cmpx_ge_u32_e64 s20, v7
	s_cbranch_execz .LBB1180_100
; %bb.99:
	v_add_nc_u32_e32 v7, s22, v13
	v_add_nc_u32_e32 v9, s38, v13
	v_mul_lo_u32 v7, v7, s21
	v_mul_lo_u32 v9, v9, s23
	v_sub_nc_u32_e32 v7, v7, v9
	v_cmp_lt_u32_e64 s1, s39, v7
	s_and_b32 s3, s1, exec_lo
.LBB1180_100:
	s_or_b32 exec_lo, exec_lo, s4
	v_mov_b32_e32 v7, 8
	v_mov_b32_e32 v9, 24
	v_cndmask_b32_e64 v11, 0, 1, s3
	v_mov_b32_e32 v12, 0xff
	v_cndmask_b32_e64 v10, 0, 1, vcc_lo
	v_lshrrev_b32_sdwa v25, v7, v8 dst_sel:BYTE_1 dst_unused:UNUSED_PAD src0_sel:DWORD src1_sel:DWORD
	v_lshrrev_b32_sdwa v9, v9, v8 dst_sel:BYTE_1 dst_unused:UNUSED_PAD src0_sel:DWORD src1_sel:DWORD
	;; [unrolled: 1-line block ×3, first 2 shown]
	v_lshlrev_b16 v11, 8, v11
	v_and_b32_sdwa v12, v6, v12 dst_sel:DWORD dst_unused:UNUSED_PAD src0_sel:WORD_1 src1_sel:DWORD
	v_or_b32_sdwa v8, v8, v25 dst_sel:DWORD dst_unused:UNUSED_PAD src0_sel:BYTE_0 src1_sel:DWORD
	v_or_b32_sdwa v9, v10, v9 dst_sel:WORD_1 dst_unused:UNUSED_PAD src0_sel:DWORD src1_sel:DWORD
	v_or_b32_sdwa v6, v6, v7 dst_sel:DWORD dst_unused:UNUSED_PAD src0_sel:BYTE_0 src1_sel:DWORD
	v_or_b32_sdwa v10, v12, v11 dst_sel:WORD_1 dst_unused:UNUSED_PAD src0_sel:DWORD src1_sel:DWORD
	v_or_b32_sdwa v7, v8, v9 dst_sel:DWORD dst_unused:UNUSED_PAD src0_sel:WORD_0 src1_sel:DWORD
	v_or_b32_sdwa v38, v6, v10 dst_sel:DWORD dst_unused:UNUSED_PAD src0_sel:WORD_0 src1_sel:DWORD
.LBB1180_101:
	s_or_b32 exec_lo, exec_lo, s2
	v_add_nc_u32_e32 v6, 11, v34
	v_mov_b32_e32 v39, 0
	s_mov_b32 s1, exec_lo
                                        ; implicit-def: $vgpr40
	v_cmpx_le_u32_e64 s5, v6
	s_xor_b32 s1, exec_lo, s1
; %bb.102:
	v_and_b32_e32 v6, 0xff0000, v7
	v_perm_b32 v5, v5, v5, 0x3060504
	v_perm_b32 v40, v7, v6, 0x3020504
                                        ; implicit-def: $vgpr7
; %bb.103:
	s_andn2_saveexec_b32 s2, s1
	s_cbranch_execz .LBB1180_107
; %bb.104:
	v_add_nc_u32_e32 v6, s17, v14
	v_add_nc_u32_e32 v8, s19, v14
	s_mov_b32 s3, 0
	s_mov_b32 s4, exec_lo
	v_mul_lo_u32 v6, v6, s16
	v_mul_lo_u32 v8, v8, s18
	v_sub_nc_u32_e32 v6, v6, v8
	v_cmp_lt_u32_e32 vcc_lo, s20, v6
	v_cmpx_ge_u32_e64 s20, v6
	s_cbranch_execz .LBB1180_106
; %bb.105:
	v_add_nc_u32_e32 v6, s22, v14
	v_add_nc_u32_e32 v8, s38, v14
	v_mul_lo_u32 v6, v6, s21
	v_mul_lo_u32 v8, v8, s23
	v_sub_nc_u32_e32 v6, v6, v8
	v_cmp_lt_u32_e64 s1, s39, v6
	s_and_b32 s3, s1, exec_lo
.LBB1180_106:
	s_or_b32 exec_lo, exec_lo, s4
	v_mov_b32_e32 v6, 8
	v_cndmask_b32_e64 v8, 0, 1, vcc_lo
	v_mov_b32_e32 v9, 0xff
	v_cndmask_b32_e64 v39, 0, 1, s3
	v_lshrrev_b32_sdwa v6, v6, v7 dst_sel:BYTE_1 dst_unused:UNUSED_PAD src0_sel:DWORD src1_sel:DWORD
	v_lshlrev_b16 v8, 8, v8
	v_and_b32_sdwa v9, v7, v9 dst_sel:DWORD dst_unused:UNUSED_PAD src0_sel:WORD_1 src1_sel:DWORD
	v_or_b32_sdwa v6, v7, v6 dst_sel:DWORD dst_unused:UNUSED_PAD src0_sel:BYTE_0 src1_sel:DWORD
	v_or_b32_sdwa v7, v9, v8 dst_sel:WORD_1 dst_unused:UNUSED_PAD src0_sel:DWORD src1_sel:DWORD
	v_or_b32_sdwa v40, v6, v7 dst_sel:DWORD dst_unused:UNUSED_PAD src0_sel:WORD_0 src1_sel:DWORD
.LBB1180_107:
	s_or_b32 exec_lo, exec_lo, s2
	v_add_nc_u32_e32 v6, 12, v34
	s_mov_b32 s1, exec_lo
                                        ; implicit-def: $vgpr41
	v_cmpx_le_u32_e64 s5, v6
	s_xor_b32 s1, exec_lo, s1
	s_cbranch_execz .LBB1180_109
; %bb.108:
	v_mov_b32_e32 v6, 24
	v_mov_b32_e32 v7, 0xff
	v_mov_b32_e32 v8, 8
	v_lshrrev_b32_sdwa v6, v6, v5 dst_sel:BYTE_1 dst_unused:UNUSED_PAD src0_sel:DWORD src1_sel:DWORD
	v_and_b32_sdwa v7, v5, v7 dst_sel:DWORD dst_unused:UNUSED_PAD src0_sel:WORD_1 src1_sel:DWORD
	v_lshrrev_b32_sdwa v5, v8, v5 dst_sel:BYTE_1 dst_unused:UNUSED_PAD src0_sel:DWORD src1_sel:DWORD
	v_or_b32_sdwa v6, v7, v6 dst_sel:WORD_1 dst_unused:UNUSED_PAD src0_sel:DWORD src1_sel:DWORD
	v_or_b32_sdwa v41, v5, v6 dst_sel:DWORD dst_unused:UNUSED_PAD src0_sel:WORD_0 src1_sel:DWORD
                                        ; implicit-def: $vgpr5
.LBB1180_109:
	s_or_saveexec_b32 s2, s1
	v_mov_b32_e32 v42, 0
	s_xor_b32 exec_lo, exec_lo, s2
	s_cbranch_execz .LBB1180_113
; %bb.110:
	v_add_nc_u32_e32 v6, s17, v33
	v_add_nc_u32_e32 v7, s19, v33
	s_mov_b32 s3, 0
	s_mov_b32 s4, exec_lo
	v_mul_lo_u32 v6, v6, s16
	v_mul_lo_u32 v7, v7, s18
	v_sub_nc_u32_e32 v6, v6, v7
	v_cmp_lt_u32_e32 vcc_lo, s20, v6
	v_cmpx_ge_u32_e64 s20, v6
	s_cbranch_execz .LBB1180_112
; %bb.111:
	v_add_nc_u32_e32 v6, s22, v33
	v_add_nc_u32_e32 v7, s38, v33
	v_mul_lo_u32 v6, v6, s21
	v_mul_lo_u32 v7, v7, s23
	v_sub_nc_u32_e32 v6, v6, v7
	v_cmp_lt_u32_e64 s1, s39, v6
	s_and_b32 s3, s1, exec_lo
.LBB1180_112:
	s_or_b32 exec_lo, exec_lo, s4
	v_mov_b32_e32 v6, 24
	v_mov_b32_e32 v7, 0xff
	;; [unrolled: 1-line block ×3, first 2 shown]
	v_cndmask_b32_e64 v9, 0, 1, vcc_lo
	v_cndmask_b32_e64 v42, 0, 1, s3
	v_lshrrev_b32_sdwa v6, v6, v5 dst_sel:BYTE_1 dst_unused:UNUSED_PAD src0_sel:DWORD src1_sel:DWORD
	v_and_b32_sdwa v7, v5, v7 dst_sel:DWORD dst_unused:UNUSED_PAD src0_sel:WORD_1 src1_sel:DWORD
	v_lshrrev_b32_sdwa v5, v8, v5 dst_sel:BYTE_1 dst_unused:UNUSED_PAD src0_sel:DWORD src1_sel:DWORD
	v_or_b32_sdwa v6, v7, v6 dst_sel:WORD_1 dst_unused:UNUSED_PAD src0_sel:DWORD src1_sel:DWORD
	v_or_b32_e32 v5, v9, v5
	v_or_b32_sdwa v41, v5, v6 dst_sel:DWORD dst_unused:UNUSED_PAD src0_sel:WORD_0 src1_sel:DWORD
.LBB1180_113:
	s_or_b32 exec_lo, exec_lo, s2
.LBB1180_114:
	v_and_b32_e32 v65, 0xff, v35
	v_bfe_u32 v66, v41, 8, 8
	v_bfe_u32 v62, v35, 8, 8
	;; [unrolled: 1-line block ×4, first 2 shown]
	v_lshrrev_b32_e32 v48, 24, v41
	v_lshrrev_b32_e32 v47, 24, v35
	v_and_b32_e32 v61, 0xff, v36
	v_and_b32_e32 v59, 0xff, v37
	v_bfe_u32 v60, v36, 8, 8
	v_add3_u32 v5, v62, v65, v64
	v_add3_u32 v6, v63, v66, v48
	v_bfe_u32 v57, v37, 8, 8
	v_bfe_u32 v58, v36, 16, 8
	;; [unrolled: 1-line block ×3, first 2 shown]
	v_lshrrev_b32_e32 v46, 24, v36
	v_add3_u32 v5, v5, v47, v59
	v_add3_u32 v6, v6, v61, v60
	v_lshrrev_b32_e32 v45, 24, v37
	v_and_b32_e32 v56, 0xff, v38
	v_and_b32_e32 v54, 0xff, v40
	v_bfe_u32 v55, v38, 8, 8
	v_add3_u32 v5, v5, v57, v52
	v_add3_u32 v6, v6, v58, v46
	v_bfe_u32 v51, v40, 8, 8
	v_bfe_u32 v53, v38, 16, 8
	;; [unrolled: 1-line block ×3, first 2 shown]
	v_lshrrev_b32_e32 v44, 24, v38
	v_add3_u32 v5, v5, v45, v54
	v_add3_u32 v6, v6, v56, v55
	v_mbcnt_lo_u32_b32 v67, -1, 0
	v_lshrrev_b32_e32 v43, 24, v40
	v_and_b32_e32 v50, 0xff, v39
	v_and_b32_e32 v7, 0xff, v41
	;; [unrolled: 1-line block ×3, first 2 shown]
	v_add3_u32 v5, v5, v51, v49
	v_add3_u32 v6, v6, v53, v44
	v_and_b32_e32 v69, 15, v67
	v_and_b32_e32 v71, 16, v67
	v_lshrrev_b32_e32 v68, 5, v0
	v_add3_u32 v72, v5, v43, v7
	v_add3_u32 v73, v6, v50, v8
	v_cmp_eq_u32_e64 s2, 0, v69
	v_cmp_lt_u32_e64 s1, 1, v69
	v_cmp_lt_u32_e64 s3, 3, v69
	v_or_b32_e32 v70, 31, v0
	s_cmp_lg_u32 s27, 0
	s_mov_b32 s4, -1
	v_cmp_lt_u32_e32 vcc_lo, 7, v69
	s_cbranch_scc0 .LBB1180_136
; %bb.115:
	v_mov_b32_dpp v5, v73 row_shr:1 row_mask:0xf bank_mask:0xf
	v_mov_b32_dpp v6, v72 row_shr:1 row_mask:0xf bank_mask:0xf
	s_mov_b32 s4, exec_lo
	v_add_nc_u32_e32 v5, v5, v73
	v_add_nc_u32_e32 v6, v6, v72
	v_cndmask_b32_e64 v5, v5, v73, s2
	v_cndmask_b32_e64 v6, v6, v72, s2
	v_mov_b32_dpp v7, v5 row_shr:2 row_mask:0xf bank_mask:0xf
	v_mov_b32_dpp v8, v6 row_shr:2 row_mask:0xf bank_mask:0xf
	v_add_nc_u32_e32 v7, v5, v7
	v_add_nc_u32_e32 v8, v6, v8
	v_cndmask_b32_e64 v5, v5, v7, s1
	v_cndmask_b32_e64 v6, v6, v8, s1
	v_mov_b32_dpp v7, v5 row_shr:4 row_mask:0xf bank_mask:0xf
	v_mov_b32_dpp v8, v6 row_shr:4 row_mask:0xf bank_mask:0xf
	;; [unrolled: 6-line block ×3, first 2 shown]
	v_add_nc_u32_e32 v7, v5, v7
	v_add_nc_u32_e32 v8, v6, v8
	v_cndmask_b32_e32 v5, v5, v7, vcc_lo
	v_cndmask_b32_e32 v6, v6, v8, vcc_lo
	v_cmp_eq_u32_e32 vcc_lo, 0, v71
	ds_swizzle_b32 v7, v5 offset:swizzle(BROADCAST,32,15)
	ds_swizzle_b32 v8, v6 offset:swizzle(BROADCAST,32,15)
	s_waitcnt lgkmcnt(1)
	v_add_nc_u32_e32 v7, v5, v7
	s_waitcnt lgkmcnt(0)
	v_add_nc_u32_e32 v8, v6, v8
	v_cmpx_eq_u32_e64 v0, v70
	s_cbranch_execz .LBB1180_117
; %bb.116:
	v_lshlrev_b32_e32 v11, 3, v68
	v_cndmask_b32_e32 v10, v7, v5, vcc_lo
	v_cndmask_b32_e32 v9, v8, v6, vcc_lo
	ds_write_b64 v11, v[9:10]
.LBB1180_117:
	s_or_b32 exec_lo, exec_lo, s4
	s_mov_b32 s4, exec_lo
	s_waitcnt lgkmcnt(0)
	s_barrier
	buffer_gl0_inv
	v_cmpx_gt_u32_e32 8, v0
	s_cbranch_execz .LBB1180_119
; %bb.118:
	v_lshlrev_b32_e32 v11, 3, v0
	v_and_b32_e32 v26, 7, v67
	ds_read_b64 v[9:10], v11
	v_cmp_eq_u32_e64 s3, 0, v26
	s_waitcnt lgkmcnt(0)
	v_mov_b32_dpp v12, v9 row_shr:1 row_mask:0xf bank_mask:0xf
	v_mov_b32_dpp v25, v10 row_shr:1 row_mask:0xf bank_mask:0xf
	v_add_nc_u32_e32 v12, v12, v9
	v_add_nc_u32_e32 v25, v25, v10
	v_cndmask_b32_e64 v9, v12, v9, s3
	v_cndmask_b32_e64 v10, v25, v10, s3
	v_cmp_lt_u32_e64 s3, 1, v26
	v_mov_b32_dpp v12, v9 row_shr:2 row_mask:0xf bank_mask:0xf
	v_mov_b32_dpp v25, v10 row_shr:2 row_mask:0xf bank_mask:0xf
	v_add_nc_u32_e32 v12, v9, v12
	v_add_nc_u32_e32 v25, v10, v25
	v_cndmask_b32_e64 v9, v9, v12, s3
	v_cndmask_b32_e64 v10, v10, v25, s3
	v_cmp_lt_u32_e64 s3, 3, v26
	v_mov_b32_dpp v12, v9 row_shr:4 row_mask:0xf bank_mask:0xf
	v_mov_b32_dpp v25, v10 row_shr:4 row_mask:0xf bank_mask:0xf
	v_cndmask_b32_e64 v12, 0, v12, s3
	v_cndmask_b32_e64 v25, 0, v25, s3
	v_add_nc_u32_e32 v9, v12, v9
	v_add_nc_u32_e32 v10, v25, v10
	ds_write_b64 v11, v[9:10]
.LBB1180_119:
	s_or_b32 exec_lo, exec_lo, s4
	v_cndmask_b32_e32 v5, v7, v5, vcc_lo
	v_cndmask_b32_e32 v6, v8, v6, vcc_lo
	s_mov_b32 s4, exec_lo
	v_cmp_gt_u32_e32 vcc_lo, 32, v0
	s_waitcnt lgkmcnt(0)
	s_barrier
	buffer_gl0_inv
                                        ; implicit-def: $vgpr25
	v_cmpx_lt_u32_e32 31, v0
	s_cbranch_execz .LBB1180_121
; %bb.120:
	v_lshl_add_u32 v7, v68, 3, -8
	ds_read_b64 v[25:26], v7
	s_waitcnt lgkmcnt(0)
	v_add_nc_u32_e32 v5, v26, v5
	v_add_nc_u32_e32 v6, v25, v6
.LBB1180_121:
	s_or_b32 exec_lo, exec_lo, s4
	v_sub_co_u32 v7, s3, v67, 1
	v_cmp_gt_i32_e64 s4, 0, v7
	v_cndmask_b32_e64 v7, v7, v67, s4
	v_lshlrev_b32_e32 v7, 2, v7
	ds_bpermute_b32 v74, v7, v6
	ds_bpermute_b32 v75, v7, v5
	s_and_saveexec_b32 s4, vcc_lo
	s_cbranch_execz .LBB1180_141
; %bb.122:
	v_mov_b32_e32 v8, 0
	ds_read_b64 v[5:6], v8 offset:56
	s_and_saveexec_b32 s6, s3
	s_cbranch_execz .LBB1180_124
; %bb.123:
	s_add_i32 s8, s27, 32
	s_mov_b32 s9, 0
	v_mov_b32_e32 v7, 1
	s_lshl_b64 s[8:9], s[8:9], 4
	s_add_u32 s8, s36, s8
	s_addc_u32 s9, s37, s9
	v_mov_b32_e32 v10, s9
	v_mov_b32_e32 v9, s8
	s_waitcnt lgkmcnt(0)
	;;#ASMSTART
	global_store_dwordx4 v[9:10], v[5:8] off	
s_waitcnt vmcnt(0)
	;;#ASMEND
.LBB1180_124:
	s_or_b32 exec_lo, exec_lo, s6
	v_xad_u32 v27, v67, -1, s27
	s_mov_b32 s7, 0
	v_add_nc_u32_e32 v7, 32, v27
	v_lshlrev_b64 v[9:10], 4, v[7:8]
	v_add_co_u32 v28, vcc_lo, s36, v9
	v_add_co_ci_u32_e64 v29, null, s37, v10, vcc_lo
	;;#ASMSTART
	global_load_dwordx4 v[9:12], v[28:29] off glc dlc	
s_waitcnt vmcnt(0)
	;;#ASMEND
	v_cmp_eq_u16_sdwa s8, v11, v8 src0_sel:BYTE_0 src1_sel:DWORD
	s_and_saveexec_b32 s6, s8
	s_cbranch_execz .LBB1180_128
; %bb.125:
	v_mov_b32_e32 v7, 0
.LBB1180_126:                           ; =>This Inner Loop Header: Depth=1
	;;#ASMSTART
	global_load_dwordx4 v[9:12], v[28:29] off glc dlc	
s_waitcnt vmcnt(0)
	;;#ASMEND
	v_cmp_ne_u16_sdwa s8, v11, v7 src0_sel:BYTE_0 src1_sel:DWORD
	s_or_b32 s7, s8, s7
	s_andn2_b32 exec_lo, exec_lo, s7
	s_cbranch_execnz .LBB1180_126
; %bb.127:
	s_or_b32 exec_lo, exec_lo, s7
.LBB1180_128:
	s_or_b32 exec_lo, exec_lo, s6
	v_cmp_ne_u32_e32 vcc_lo, 31, v67
	v_mov_b32_e32 v77, 2
	v_lshlrev_b32_e64 v78, v67, -1
	v_add_nc_u32_e32 v80, 2, v67
	v_add_nc_u32_e32 v82, 4, v67
	v_add_co_ci_u32_e64 v7, null, 0, v67, vcc_lo
	v_cmp_eq_u16_sdwa s6, v11, v77 src0_sel:BYTE_0 src1_sel:DWORD
	v_cmp_gt_u32_e32 vcc_lo, 30, v67
	v_add_nc_u32_e32 v84, 8, v67
	v_lshlrev_b32_e32 v76, 2, v7
	v_lshl_or_b32 v85, v67, 2, 64
	v_and_b32_e32 v12, s6, v78
	v_cndmask_b32_e64 v28, 0, 2, vcc_lo
	v_add_nc_u32_e32 v86, 16, v67
	ds_bpermute_b32 v7, v76, v10
	ds_bpermute_b32 v8, v76, v9
	v_or_b32_e32 v12, 0x80000000, v12
	v_add_lshl_u32 v79, v28, v67, 2
	v_ffbl_b32_e32 v12, v12
	v_cmp_lt_u32_e32 vcc_lo, v67, v12
	s_waitcnt lgkmcnt(1)
	v_add_nc_u32_e32 v7, v7, v10
	s_waitcnt lgkmcnt(0)
	v_add_nc_u32_e32 v8, v8, v9
	v_cndmask_b32_e32 v7, v10, v7, vcc_lo
	v_cndmask_b32_e32 v8, v9, v8, vcc_lo
	v_cmp_gt_u32_e32 vcc_lo, 28, v67
	ds_bpermute_b32 v9, v79, v7
	ds_bpermute_b32 v10, v79, v8
	v_cndmask_b32_e64 v28, 0, 4, vcc_lo
	v_cmp_gt_u32_e32 vcc_lo, v80, v12
	v_add_lshl_u32 v81, v28, v67, 2
	s_waitcnt lgkmcnt(1)
	v_add_nc_u32_e32 v9, v7, v9
	s_waitcnt lgkmcnt(0)
	v_add_nc_u32_e32 v10, v8, v10
	v_cndmask_b32_e32 v7, v9, v7, vcc_lo
	v_cndmask_b32_e32 v8, v10, v8, vcc_lo
	v_cmp_gt_u32_e32 vcc_lo, 24, v67
	ds_bpermute_b32 v9, v81, v7
	ds_bpermute_b32 v10, v81, v8
	v_cndmask_b32_e64 v28, 0, 8, vcc_lo
	v_cmp_gt_u32_e32 vcc_lo, v82, v12
	v_add_lshl_u32 v83, v28, v67, 2
	v_mov_b32_e32 v28, 0
	s_waitcnt lgkmcnt(1)
	v_add_nc_u32_e32 v9, v7, v9
	s_waitcnt lgkmcnt(0)
	v_add_nc_u32_e32 v10, v8, v10
	v_cndmask_b32_e32 v7, v9, v7, vcc_lo
	v_cndmask_b32_e32 v8, v10, v8, vcc_lo
	v_cmp_gt_u32_e32 vcc_lo, v84, v12
	ds_bpermute_b32 v9, v83, v7
	ds_bpermute_b32 v10, v83, v8
	s_waitcnt lgkmcnt(1)
	v_add_nc_u32_e32 v9, v7, v9
	s_waitcnt lgkmcnt(0)
	v_add_nc_u32_e32 v10, v8, v10
	v_cndmask_b32_e32 v7, v9, v7, vcc_lo
	v_cndmask_b32_e32 v8, v10, v8, vcc_lo
	v_cmp_le_u32_e32 vcc_lo, v86, v12
	ds_bpermute_b32 v10, v85, v7
	ds_bpermute_b32 v9, v85, v8
	s_waitcnt lgkmcnt(1)
	v_cndmask_b32_e32 v10, 0, v10, vcc_lo
	s_waitcnt lgkmcnt(0)
	v_cndmask_b32_e32 v9, 0, v9, vcc_lo
	v_add_nc_u32_e32 v10, v10, v7
	v_add_nc_u32_e32 v9, v9, v8
	s_branch .LBB1180_132
.LBB1180_129:                           ;   in Loop: Header=BB1180_132 Depth=1
	s_or_b32 exec_lo, exec_lo, s7
.LBB1180_130:                           ;   in Loop: Header=BB1180_132 Depth=1
	s_or_b32 exec_lo, exec_lo, s6
	ds_bpermute_b32 v12, v76, v9
	ds_bpermute_b32 v29, v76, v10
	v_cmp_eq_u16_sdwa s6, v11, v77 src0_sel:BYTE_0 src1_sel:DWORD
	v_subrev_nc_u32_e32 v27, 32, v27
	v_and_or_b32 v30, s6, v78, 0x80000000
	s_mov_b32 s6, 0
	v_ffbl_b32_e32 v30, v30
	v_cmp_lt_u32_e32 vcc_lo, v67, v30
	s_waitcnt lgkmcnt(1)
	v_add_nc_u32_e32 v12, v12, v9
	s_waitcnt lgkmcnt(0)
	v_add_nc_u32_e32 v29, v29, v10
	v_cndmask_b32_e32 v9, v9, v12, vcc_lo
	v_cndmask_b32_e32 v10, v10, v29, vcc_lo
	v_cmp_gt_u32_e32 vcc_lo, v80, v30
	ds_bpermute_b32 v12, v79, v9
	ds_bpermute_b32 v29, v79, v10
	s_waitcnt lgkmcnt(1)
	v_add_nc_u32_e32 v12, v9, v12
	s_waitcnt lgkmcnt(0)
	v_add_nc_u32_e32 v29, v10, v29
	v_cndmask_b32_e32 v9, v12, v9, vcc_lo
	v_cndmask_b32_e32 v10, v29, v10, vcc_lo
	v_cmp_gt_u32_e32 vcc_lo, v82, v30
	ds_bpermute_b32 v12, v81, v9
	ds_bpermute_b32 v29, v81, v10
	;; [unrolled: 9-line block ×3, first 2 shown]
	s_waitcnt lgkmcnt(1)
	v_add_nc_u32_e32 v12, v9, v12
	s_waitcnt lgkmcnt(0)
	v_add_nc_u32_e32 v29, v10, v29
	v_cndmask_b32_e32 v9, v12, v9, vcc_lo
	v_cndmask_b32_e32 v10, v29, v10, vcc_lo
	v_cmp_le_u32_e32 vcc_lo, v86, v30
	ds_bpermute_b32 v12, v85, v9
	ds_bpermute_b32 v29, v85, v10
	s_waitcnt lgkmcnt(1)
	v_cndmask_b32_e32 v12, 0, v12, vcc_lo
	s_waitcnt lgkmcnt(0)
	v_cndmask_b32_e32 v29, 0, v29, vcc_lo
	v_add3_u32 v9, v9, v7, v12
	v_add3_u32 v10, v10, v8, v29
.LBB1180_131:                           ;   in Loop: Header=BB1180_132 Depth=1
	s_and_b32 vcc_lo, exec_lo, s6
	s_cbranch_vccnz .LBB1180_137
.LBB1180_132:                           ; =>This Loop Header: Depth=1
                                        ;     Child Loop BB1180_135 Depth 2
	v_cmp_ne_u16_sdwa s6, v11, v77 src0_sel:BYTE_0 src1_sel:DWORD
	v_mov_b32_e32 v7, v9
	v_mov_b32_e32 v8, v10
                                        ; implicit-def: $vgpr11
                                        ; implicit-def: $vgpr9_vgpr10
	s_cmp_lg_u32 s6, exec_lo
	s_mov_b32 s6, -1
	s_cbranch_scc1 .LBB1180_131
; %bb.133:                              ;   in Loop: Header=BB1180_132 Depth=1
	v_lshlrev_b64 v[9:10], 4, v[27:28]
	v_add_co_u32 v29, vcc_lo, s36, v9
	v_add_co_ci_u32_e64 v30, null, s37, v10, vcc_lo
	;;#ASMSTART
	global_load_dwordx4 v[9:12], v[29:30] off glc dlc	
s_waitcnt vmcnt(0)
	;;#ASMEND
	v_cmp_eq_u16_sdwa s7, v11, v28 src0_sel:BYTE_0 src1_sel:DWORD
	s_and_saveexec_b32 s6, s7
	s_cbranch_execz .LBB1180_130
; %bb.134:                              ;   in Loop: Header=BB1180_132 Depth=1
	s_mov_b32 s7, 0
.LBB1180_135:                           ;   Parent Loop BB1180_132 Depth=1
                                        ; =>  This Inner Loop Header: Depth=2
	;;#ASMSTART
	global_load_dwordx4 v[9:12], v[29:30] off glc dlc	
s_waitcnt vmcnt(0)
	;;#ASMEND
	v_cmp_ne_u16_sdwa s8, v11, v28 src0_sel:BYTE_0 src1_sel:DWORD
	s_or_b32 s7, s8, s7
	s_andn2_b32 exec_lo, exec_lo, s7
	s_cbranch_execnz .LBB1180_135
	s_branch .LBB1180_129
.LBB1180_136:
                                        ; implicit-def: $vgpr25
                                        ; implicit-def: $vgpr7
                                        ; implicit-def: $vgpr26
	s_and_b32 vcc_lo, exec_lo, s4
	s_cbranch_vccnz .LBB1180_142
	s_branch .LBB1180_151
.LBB1180_137:
	s_and_saveexec_b32 s6, s3
	s_cbranch_execnz .LBB1180_379
; %bb.138:
	s_or_b32 exec_lo, exec_lo, s6
	s_and_saveexec_b32 s6, s3
	s_cbranch_execnz .LBB1180_380
.LBB1180_139:
	s_or_b32 exec_lo, exec_lo, s6
	s_and_b32 exec_lo, exec_lo, s0
.LBB1180_140:
	v_mov_b32_e32 v5, 0
	ds_write_b64 v5, v[7:8] offset:56
.LBB1180_141:
	s_or_b32 exec_lo, exec_lo, s4
	v_mov_b32_e32 v5, 0
	s_waitcnt lgkmcnt(0)
	s_barrier
	buffer_gl0_inv
	v_cndmask_b32_e64 v11, v75, v26, s3
	ds_read_b64 v[9:10], v5 offset:56
	s_waitcnt lgkmcnt(0)
	s_barrier
	buffer_gl0_inv
	ds_read_b128 v[5:8], v5 offset:13312
	v_cndmask_b32_e64 v12, v74, v25, s3
	v_add_nc_u32_e32 v11, v10, v11
	v_add_nc_u32_e32 v12, v9, v12
	v_cndmask_b32_e64 v25, v11, v10, s0
	v_cndmask_b32_e64 v26, v12, v9, s0
	s_branch .LBB1180_151
.LBB1180_142:
	s_waitcnt lgkmcnt(0)
	v_mov_b32_dpp v5, v72 row_shr:1 row_mask:0xf bank_mask:0xf
	v_mov_b32_dpp v6, v73 row_shr:1 row_mask:0xf bank_mask:0xf
	v_cmp_lt_u32_e32 vcc_lo, 3, v69
	v_add_nc_u32_e32 v5, v5, v72
	v_add_nc_u32_e32 v6, v6, v73
	v_cndmask_b32_e64 v5, v5, v72, s2
	v_cndmask_b32_e64 v6, v6, v73, s2
	s_mov_b32 s2, exec_lo
	v_mov_b32_dpp v7, v5 row_shr:2 row_mask:0xf bank_mask:0xf
	v_mov_b32_dpp v8, v6 row_shr:2 row_mask:0xf bank_mask:0xf
	v_add_nc_u32_e32 v7, v5, v7
	v_add_nc_u32_e32 v8, v6, v8
	v_cndmask_b32_e64 v5, v5, v7, s1
	v_cndmask_b32_e64 v6, v6, v8, s1
	v_mov_b32_dpp v7, v5 row_shr:4 row_mask:0xf bank_mask:0xf
	v_mov_b32_dpp v8, v6 row_shr:4 row_mask:0xf bank_mask:0xf
	v_add_nc_u32_e32 v7, v5, v7
	v_add_nc_u32_e32 v8, v6, v8
	v_cndmask_b32_e32 v7, v5, v7, vcc_lo
	v_cndmask_b32_e32 v6, v6, v8, vcc_lo
	v_cmp_lt_u32_e32 vcc_lo, 7, v69
	v_mov_b32_dpp v5, v7 row_shr:8 row_mask:0xf bank_mask:0xf
	v_mov_b32_dpp v8, v6 row_shr:8 row_mask:0xf bank_mask:0xf
	v_add_nc_u32_e32 v9, v7, v5
	v_add_nc_u32_e32 v5, v6, v8
	v_cndmask_b32_e32 v5, v6, v5, vcc_lo
	v_cndmask_b32_e32 v6, v7, v9, vcc_lo
	v_cmp_eq_u32_e32 vcc_lo, 0, v71
	ds_swizzle_b32 v7, v5 offset:swizzle(BROADCAST,32,15)
	ds_swizzle_b32 v8, v6 offset:swizzle(BROADCAST,32,15)
	s_waitcnt lgkmcnt(1)
	v_add_nc_u32_e32 v7, v5, v7
	s_waitcnt lgkmcnt(0)
	v_add_nc_u32_e32 v8, v6, v8
	v_cmpx_eq_u32_e64 v0, v70
	s_cbranch_execz .LBB1180_144
; %bb.143:
	v_cndmask_b32_e32 v9, v8, v6, vcc_lo
	v_cndmask_b32_e32 v10, v7, v5, vcc_lo
	v_lshlrev_b32_e32 v11, 3, v68
	ds_write_b64 v11, v[9:10]
.LBB1180_144:
	s_or_b32 exec_lo, exec_lo, s2
	s_mov_b32 s2, exec_lo
	s_waitcnt lgkmcnt(0)
	s_barrier
	buffer_gl0_inv
	v_cmpx_gt_u32_e32 8, v0
	s_cbranch_execz .LBB1180_146
; %bb.145:
	v_lshlrev_b32_e32 v11, 3, v0
	v_and_b32_e32 v26, 7, v67
	ds_read_b64 v[9:10], v11
	v_cmp_eq_u32_e64 s1, 0, v26
	s_waitcnt lgkmcnt(0)
	v_mov_b32_dpp v12, v9 row_shr:1 row_mask:0xf bank_mask:0xf
	v_mov_b32_dpp v25, v10 row_shr:1 row_mask:0xf bank_mask:0xf
	v_add_nc_u32_e32 v12, v12, v9
	v_add_nc_u32_e32 v25, v25, v10
	v_cndmask_b32_e64 v9, v12, v9, s1
	v_cndmask_b32_e64 v10, v25, v10, s1
	v_cmp_lt_u32_e64 s1, 1, v26
	v_mov_b32_dpp v12, v9 row_shr:2 row_mask:0xf bank_mask:0xf
	v_mov_b32_dpp v25, v10 row_shr:2 row_mask:0xf bank_mask:0xf
	v_add_nc_u32_e32 v12, v9, v12
	v_add_nc_u32_e32 v25, v10, v25
	v_cndmask_b32_e64 v9, v9, v12, s1
	v_cndmask_b32_e64 v10, v10, v25, s1
	v_cmp_lt_u32_e64 s1, 3, v26
	v_mov_b32_dpp v12, v9 row_shr:4 row_mask:0xf bank_mask:0xf
	v_mov_b32_dpp v25, v10 row_shr:4 row_mask:0xf bank_mask:0xf
	v_cndmask_b32_e64 v12, 0, v12, s1
	v_cndmask_b32_e64 v25, 0, v25, s1
	v_add_nc_u32_e32 v9, v12, v9
	v_add_nc_u32_e32 v10, v25, v10
	ds_write_b64 v11, v[9:10]
.LBB1180_146:
	s_or_b32 exec_lo, exec_lo, s2
	v_mov_b32_e32 v11, 0
	v_mov_b32_e32 v9, 0
	;; [unrolled: 1-line block ×3, first 2 shown]
	s_mov_b32 s2, exec_lo
	s_waitcnt lgkmcnt(0)
	s_barrier
	buffer_gl0_inv
	v_cmpx_lt_u32_e32 31, v0
; %bb.147:
	v_lshl_add_u32 v9, v68, 3, -8
	ds_read_b64 v[9:10], v9
; %bb.148:
	s_or_b32 exec_lo, exec_lo, s2
	v_sub_co_u32 v12, s1, v67, 1
	v_cndmask_b32_e32 v6, v8, v6, vcc_lo
	v_cndmask_b32_e32 v5, v7, v5, vcc_lo
	v_cmp_gt_i32_e64 s2, 0, v12
	s_waitcnt lgkmcnt(0)
	v_add_nc_u32_e32 v6, v9, v6
	v_add_nc_u32_e32 v5, v10, v5
	v_cndmask_b32_e64 v8, v12, v67, s2
	v_lshlrev_b32_e32 v7, 2, v8
	ds_bpermute_b32 v12, v7, v6
	ds_bpermute_b32 v25, v7, v5
	ds_read_b64 v[5:6], v11 offset:56
	s_and_saveexec_b32 s2, s0
	s_cbranch_execz .LBB1180_150
; %bb.149:
	s_add_u32 s6, s36, 0x200
	s_addc_u32 s7, s37, 0
	v_mov_b32_e32 v7, 2
	v_mov_b32_e32 v27, s7
	;; [unrolled: 1-line block ×4, first 2 shown]
	s_waitcnt lgkmcnt(0)
	;;#ASMSTART
	global_store_dwordx4 v[26:27], v[5:8] off	
s_waitcnt vmcnt(0)
	;;#ASMEND
.LBB1180_150:
	s_or_b32 exec_lo, exec_lo, s2
	s_waitcnt lgkmcnt(1)
	v_cndmask_b32_e64 v7, v25, v10, s1
	v_cndmask_b32_e64 v9, v12, v9, s1
	v_mov_b32_e32 v8, 0
	s_waitcnt lgkmcnt(0)
	s_barrier
	v_cndmask_b32_e64 v25, v7, 0, s0
	v_cndmask_b32_e64 v26, v9, 0, s0
	v_mov_b32_e32 v7, 0
	buffer_gl0_inv
.LBB1180_151:
	v_add_nc_u32_e32 v30, v25, v66
	v_add_nc_u32_e32 v29, v26, v65
	s_waitcnt lgkmcnt(0)
	v_sub_nc_u32_e32 v25, v25, v8
	v_lshrrev_b32_e32 v28, 8, v41
	v_lshlrev_b32_e32 v69, 1, v5
	v_add_nc_u32_e32 v63, v30, v63
	v_sub_nc_u32_e32 v30, v30, v8
	v_add_nc_u32_e32 v62, v29, v62
	v_sub_nc_u32_e32 v26, v26, v7
	;; [unrolled: 2-line block ×3, first 2 shown]
	v_add_nc_u32_e32 v30, v30, v5
	v_and_b32_e32 v28, 1, v28
	v_mov_b32_e32 v71, 1
	v_add3_u32 v34, v69, v6, v34
	v_add_nc_u32_e32 v75, v26, v25
	v_add_nc_u32_e32 v76, v30, v29
	v_add_co_u32 v1, vcc_lo, v1, v7
	v_add_co_ci_u32_e64 v2, null, 0, v2, vcc_lo
	v_sub_co_u32 v67, vcc_lo, v3, v5
	v_subrev_co_ci_u32_e64 v68, null, 0, v4, vcc_lo
	v_and_b32_sdwa v74, v71, v41 dst_sel:DWORD dst_unused:UNUSED_PAD src0_sel:DWORD src1_sel:WORD_1
	v_sub_nc_u32_e32 v76, v34, v76
	v_sub_nc_u32_e32 v75, v34, v75
	v_cmp_eq_u32_e32 vcc_lo, 1, v28
	v_lshrrev_b32_e32 v27, 8, v35
	v_add_nc_u32_e32 v65, v63, v48
	v_and_b32_e32 v70, 1, v35
	v_sub_nc_u32_e32 v63, v63, v8
	v_add_nc_u32_e32 v76, 1, v76
	v_cndmask_b32_e32 v25, v75, v25, vcc_lo
	v_cmp_eq_u32_e32 vcc_lo, 1, v74
	v_add_nc_u32_e32 v64, v62, v64
	v_and_b32_e32 v27, 1, v27
	v_sub_nc_u32_e32 v62, v62, v7
	v_add_nc_u32_e32 v63, v63, v5
	v_cndmask_b32_e32 v30, v76, v30, vcc_lo
	v_cmp_eq_u32_e32 vcc_lo, 1, v70
	v_and_b32_e32 v48, 1, v48
	v_add_nc_u32_e32 v61, v65, v61
	v_add_nc_u32_e32 v74, v63, v62
	v_and_b32_sdwa v35, v71, v35 dst_sel:DWORD dst_unused:UNUSED_PAD src0_sel:DWORD src1_sel:WORD_1
	v_cndmask_b32_e32 v70, v25, v26, vcc_lo
	v_cmp_eq_u32_e32 vcc_lo, 1, v27
	v_sub_nc_u32_e32 v65, v65, v8
	v_add_nc_u32_e32 v66, v64, v47
	v_add_nc_u32_e32 v60, v61, v60
	v_sub_nc_u32_e32 v61, v61, v8
	v_cndmask_b32_e32 v27, v30, v29, vcc_lo
	v_sub_nc_u32_e32 v29, v34, v74
	v_add_co_u32 v25, vcc_lo, v67, v8
	v_add_co_ci_u32_e64 v26, null, 0, v68, vcc_lo
	v_add_nc_u32_e32 v29, 2, v29
	v_cmp_eq_u32_e32 vcc_lo, 1, v48
	v_sub_nc_u32_e32 v48, v64, v7
	v_lshlrev_b32_e32 v30, 2, v70
	v_add_nc_u32_e32 v61, v61, v5
	v_lshlrev_b32_e32 v27, 2, v27
	v_cndmask_b32_e32 v29, v29, v63, vcc_lo
	v_add_nc_u32_e32 v63, v65, v5
	v_cmp_eq_u32_e32 vcc_lo, 1, v35
	v_sub_nc_u32_e32 v35, v66, v7
	v_lshrrev_b32_e32 v12, 8, v36
	ds_write_b32 v30, v23
	ds_write_b32 v27, v24
	v_and_b32_e32 v30, 1, v36
	v_cndmask_b32_e32 v29, v29, v62, vcc_lo
	v_add_nc_u32_e32 v62, v48, v63
	v_add_nc_u32_e32 v24, v35, v61
	;; [unrolled: 1-line block ×3, first 2 shown]
	v_and_b32_e32 v12, 1, v12
	v_lshlrev_b32_e32 v23, 2, v29
	v_sub_nc_u32_e32 v27, v34, v62
	v_and_b32_e32 v29, 1, v47
	v_sub_nc_u32_e32 v47, v60, v8
	v_sub_nc_u32_e32 v24, v34, v24
	v_cmp_eq_u32_e32 vcc_lo, 1, v30
	v_add_nc_u32_e32 v27, 3, v27
	v_add_nc_u32_e32 v57, v59, v57
	v_sub_nc_u32_e32 v59, v59, v7
	v_add_nc_u32_e32 v47, v47, v5
	v_add_nc_u32_e32 v24, 4, v24
	v_cndmask_b32_e32 v27, v27, v63, vcc_lo
	v_cmp_eq_u32_e32 vcc_lo, 1, v12
	v_add_nc_u32_e32 v58, v60, v58
	v_and_b32_e32 v30, 1, v37
	v_add_nc_u32_e32 v60, v59, v47
	v_lshrrev_b32_e32 v11, 8, v37
	v_cndmask_b32_e32 v12, v24, v61, vcc_lo
	v_cmp_eq_u32_e32 vcc_lo, 1, v29
	ds_write_b32 v23, v21
	v_and_b32_sdwa v23, v71, v36 dst_sel:DWORD dst_unused:UNUSED_PAD src0_sel:DWORD src1_sel:WORD_1
	v_add_nc_u32_e32 v72, v58, v46
	v_and_b32_e32 v11, 1, v11
	v_cndmask_b32_e32 v24, v27, v48, vcc_lo
	v_sub_nc_u32_e32 v27, v34, v60
	v_cmp_eq_u32_e32 vcc_lo, 1, v30
	v_add_nc_u32_e32 v52, v57, v52
	v_sub_nc_u32_e32 v29, v72, v8
	v_lshlrev_b32_e32 v21, 2, v24
	v_add_nc_u32_e32 v24, 5, v27
	v_cndmask_b32_e32 v12, v12, v35, vcc_lo
	v_sub_nc_u32_e32 v27, v58, v8
	v_cmp_eq_u32_e32 vcc_lo, 1, v23
	v_add_nc_u32_e32 v29, v29, v5
	v_add_nc_u32_e32 v56, v72, v56
	v_lshlrev_b32_e32 v12, 2, v12
	v_add_nc_u32_e32 v27, v27, v5
	v_cndmask_b32_e32 v23, v24, v47, vcc_lo
	v_sub_nc_u32_e32 v24, v57, v7
	v_cmp_eq_u32_e32 vcc_lo, 1, v11
	ds_write_b32 v21, v22
	ds_write_b32 v12, v19
	v_and_b32_e32 v22, 1, v46
	v_and_b32_e32 v35, 1, v38
	v_add_nc_u32_e32 v30, v24, v27
	v_cndmask_b32_e32 v11, v23, v59, vcc_lo
	v_sub_nc_u32_e32 v23, v52, v7
	v_cmp_eq_u32_e32 vcc_lo, 1, v22
	v_add_nc_u32_e32 v73, v52, v45
	v_sub_nc_u32_e32 v19, v34, v30
	v_sub_nc_u32_e32 v30, v56, v8
	v_add_nc_u32_e32 v12, v23, v29
	v_and_b32_sdwa v21, v71, v37 dst_sel:DWORD dst_unused:UNUSED_PAD src0_sel:DWORD src1_sel:WORD_1
	v_sub_nc_u32_e32 v36, v73, v7
	v_add_nc_u32_e32 v19, 6, v19
	v_add_nc_u32_e32 v30, v30, v5
	v_sub_nc_u32_e32 v12, v34, v12
	v_and_b32_e32 v22, 1, v45
	v_lshrrev_b32_e32 v10, 8, v38
	v_cndmask_b32_e32 v19, v19, v27, vcc_lo
	v_cmp_eq_u32_e32 vcc_lo, 1, v35
	v_add_nc_u32_e32 v12, 7, v12
	v_add_nc_u32_e32 v55, v56, v55
	v_add_nc_u32_e32 v27, v36, v30
	v_add_nc_u32_e32 v54, v73, v54
	v_and_b32_e32 v10, 1, v10
	v_cndmask_b32_e32 v12, v12, v29, vcc_lo
	v_cmp_eq_u32_e32 vcc_lo, 1, v21
	v_sub_nc_u32_e32 v21, v34, v27
	v_add_nc_u32_e32 v53, v55, v53
	v_lshlrev_b32_e32 v11, 2, v11
	v_add_nc_u32_e32 v51, v54, v51
	v_cndmask_b32_e32 v19, v19, v24, vcc_lo
	v_cmp_eq_u32_e32 vcc_lo, 1, v22
	v_sub_nc_u32_e32 v22, v55, v8
	v_add_nc_u32_e32 v21, 8, v21
	v_sub_nc_u32_e32 v24, v54, v7
	v_lshlrev_b32_e32 v19, 2, v19
	v_cndmask_b32_e32 v12, v12, v23, vcc_lo
	v_add_nc_u32_e32 v22, v22, v5
	v_cmp_eq_u32_e32 vcc_lo, 1, v10
	v_add_nc_u32_e32 v77, v53, v44
	v_and_b32_e32 v23, 1, v40
	v_lshlrev_b32_e32 v12, 2, v12
	ds_write_b32 v11, v20
	ds_write_b32 v19, v17
	;; [unrolled: 1-line block ×3, first 2 shown]
	v_cndmask_b32_e32 v10, v21, v30, vcc_lo
	v_add_nc_u32_e32 v21, v24, v22
	v_sub_nc_u32_e32 v12, v53, v8
	v_lshrrev_b32_e32 v9, 8, v40
	v_add_nc_u32_e32 v49, v51, v49
	v_cmp_eq_u32_e32 vcc_lo, 1, v23
	v_sub_nc_u32_e32 v11, v34, v21
	v_and_b32_sdwa v17, v71, v38 dst_sel:DWORD dst_unused:UNUSED_PAD src0_sel:DWORD src1_sel:WORD_1
	v_sub_nc_u32_e32 v18, v51, v7
	v_sub_nc_u32_e32 v19, v77, v8
	v_add_nc_u32_e32 v12, v12, v5
	v_cndmask_b32_e32 v10, v10, v36, vcc_lo
	v_and_b32_e32 v9, 1, v9
	v_add_nc_u32_e32 v11, 9, v11
	v_cmp_eq_u32_e32 vcc_lo, 1, v17
	v_sub_nc_u32_e32 v17, v49, v7
	v_add_nc_u32_e32 v19, v19, v5
	v_add_nc_u32_e32 v20, v18, v12
	v_add_nc_u32_e32 v28, v77, v50
	v_cndmask_b32_e32 v11, v11, v22, vcc_lo
	v_cmp_eq_u32_e32 vcc_lo, 1, v9
	v_add_nc_u32_e32 v21, v17, v19
	v_sub_nc_u32_e32 v20, v34, v20
	v_and_b32_e32 v23, 1, v44
	v_add_nc_u32_e32 v50, v49, v43
	v_cndmask_b32_e32 v9, v11, v24, vcc_lo
	v_sub_nc_u32_e32 v11, v28, v8
	v_sub_nc_u32_e32 v21, v34, v21
	v_add_nc_u32_e32 v20, 10, v20
	v_and_b32_e32 v24, 1, v39
	v_cmp_eq_u32_e32 vcc_lo, 1, v23
	v_and_b32_sdwa v22, v71, v40 dst_sel:DWORD dst_unused:UNUSED_PAD src0_sel:DWORD src1_sel:WORD_1
	v_sub_nc_u32_e32 v7, v50, v7
	v_add_nc_u32_e32 v11, v11, v5
	v_add_nc_u32_e32 v21, 11, v21
	v_cndmask_b32_e32 v12, v20, v12, vcc_lo
	v_cmp_eq_u32_e32 vcc_lo, 1, v24
	v_and_b32_e32 v20, 1, v43
	v_add_nc_u32_e32 v27, v7, v11
	v_lshlrev_b32_e32 v10, 2, v10
	v_lshlrev_b32_e32 v9, 2, v9
	v_cndmask_b32_e32 v19, v21, v19, vcc_lo
	v_cmp_eq_u32_e32 vcc_lo, 1, v22
	v_sub_nc_u32_e32 v23, v34, v27
	v_cndmask_b32_e32 v12, v12, v18, vcc_lo
	v_and_b32_e32 v18, 1, v42
	v_cmp_eq_u32_e32 vcc_lo, 1, v20
	v_add_nc_u32_e32 v21, 12, v23
	v_lshlrev_b32_e32 v12, 2, v12
	v_cndmask_b32_e32 v17, v19, v17, vcc_lo
	v_and_b32_e32 v19, 1, v41
	v_cmp_eq_u32_e32 vcc_lo, 1, v18
	v_lshlrev_b32_e32 v17, 2, v17
	ds_write_b32 v10, v15
	ds_write_b32 v9, v16
	;; [unrolled: 1-line block ×4, first 2 shown]
	v_cndmask_b32_e32 v11, v21, v11, vcc_lo
	v_cmp_eq_u32_e32 vcc_lo, 1, v19
	v_add_co_u32 v9, s1, v6, v69
	v_add_co_ci_u32_e64 v10, null, 0, 0, s1
	v_cndmask_b32_e32 v7, v11, v7, vcc_lo
	v_add_co_u32 v11, s1, s34, v31
	v_add_co_ci_u32_e64 v12, null, s35, 0, s1
	v_lshlrev_b32_e32 v7, 2, v7
	v_add_nc_u32_e32 v14, v5, v6
	ds_write_b32 v7, v33
	v_add_co_u32 v7, vcc_lo, v9, v25
	v_add_co_ci_u32_e64 v9, null, v10, v26, vcc_lo
	s_waitcnt lgkmcnt(0)
	v_add_co_u32 v7, vcc_lo, v7, v1
	v_add_co_ci_u32_e64 v13, null, v9, v2, vcc_lo
	v_lshlrev_b64 v[9:10], 2, v[25:26]
	v_sub_co_u32 v7, vcc_lo, v11, v7
	v_sub_co_ci_u32_e64 v13, null, v12, v13, vcc_lo
	v_lshlrev_b64 v[11:12], 2, v[1:2]
	v_add_co_u32 v9, vcc_lo, s30, v9
	v_add_co_ci_u32_e64 v10, null, s31, v10, vcc_lo
	v_cmp_ne_u32_e32 vcc_lo, 1, v32
	v_add_co_u32 v11, s1, s28, v11
	v_add_co_ci_u32_e64 v12, null, s29, v12, s1
	s_mov_b32 s1, -1
	s_barrier
	buffer_gl0_inv
	s_cbranch_vccz .LBB1180_155
; %bb.152:
	s_and_b32 vcc_lo, exec_lo, s1
	s_cbranch_vccnz .LBB1180_260
.LBB1180_153:
	s_and_b32 s0, s0, s26
	s_and_saveexec_b32 s1, s0
	s_cbranch_execnz .LBB1180_378
.LBB1180_154:
	s_endpgm
.LBB1180_155:
	s_mov_b32 s1, exec_lo
	v_cmpx_ge_u32_e64 v0, v5
	s_xor_b32 s1, exec_lo, s1
	s_cbranch_execz .LBB1180_161
; %bb.156:
	s_mov_b32 s2, exec_lo
	v_cmpx_ge_u32_e64 v0, v14
	s_xor_b32 s2, exec_lo, s2
	s_cbranch_execz .LBB1180_158
; %bb.157:
	v_lshlrev_b32_e32 v15, 2, v0
	ds_read_b32 v17, v15
	v_add_co_u32 v15, vcc_lo, v7, v0
	v_add_co_ci_u32_e64 v16, null, 0, v13, vcc_lo
	v_lshlrev_b64 v[15:16], 2, v[15:16]
	v_sub_co_u32 v15, vcc_lo, s14, v15
	v_sub_co_ci_u32_e64 v16, null, s15, v16, vcc_lo
	s_waitcnt lgkmcnt(0)
	global_store_dword v[15:16], v17, off offset:-4
.LBB1180_158:
	s_andn2_saveexec_b32 s2, s2
	s_cbranch_execz .LBB1180_160
; %bb.159:
	v_lshlrev_b32_e32 v15, 2, v0
	v_readfirstlane_b32 s6, v9
	v_readfirstlane_b32 s7, v10
	ds_read_b32 v16, v15
	s_waitcnt lgkmcnt(0)
	global_store_dword v15, v16, s[6:7]
.LBB1180_160:
	s_or_b32 exec_lo, exec_lo, s2
.LBB1180_161:
	s_andn2_saveexec_b32 s1, s1
	s_cbranch_execz .LBB1180_163
; %bb.162:
	v_lshlrev_b32_e32 v15, 2, v0
	v_readfirstlane_b32 s2, v11
	v_readfirstlane_b32 s3, v12
	ds_read_b32 v16, v15
	s_waitcnt lgkmcnt(0)
	global_store_dword v15, v16, s[2:3]
.LBB1180_163:
	s_or_b32 exec_lo, exec_lo, s1
	v_or_b32_e32 v15, 0x100, v0
	s_mov_b32 s1, exec_lo
	v_cmpx_ge_u32_e64 v15, v5
	s_xor_b32 s1, exec_lo, s1
	s_cbranch_execz .LBB1180_169
; %bb.164:
	s_mov_b32 s2, exec_lo
	v_cmpx_ge_u32_e64 v15, v14
	s_xor_b32 s2, exec_lo, s2
	s_cbranch_execz .LBB1180_166
; %bb.165:
	v_lshlrev_b32_e32 v15, 2, v0
	ds_read_b32 v17, v15 offset:1024
	v_add_co_u32 v15, vcc_lo, v7, v0
	v_add_co_ci_u32_e64 v16, null, 0, v13, vcc_lo
	v_lshlrev_b64 v[15:16], 2, v[15:16]
	v_sub_co_u32 v15, vcc_lo, s14, v15
	v_sub_co_ci_u32_e64 v16, null, s15, v16, vcc_lo
	s_waitcnt lgkmcnt(0)
	global_store_dword v[15:16], v17, off offset:-1028
.LBB1180_166:
	s_andn2_saveexec_b32 s2, s2
	s_cbranch_execz .LBB1180_168
; %bb.167:
	v_lshlrev_b32_e32 v15, 2, v0
	v_readfirstlane_b32 s6, v9
	v_readfirstlane_b32 s7, v10
	ds_read_b32 v16, v15 offset:1024
	s_waitcnt lgkmcnt(0)
	global_store_dword v15, v16, s[6:7] offset:1024
.LBB1180_168:
	s_or_b32 exec_lo, exec_lo, s2
.LBB1180_169:
	s_andn2_saveexec_b32 s1, s1
	s_cbranch_execz .LBB1180_171
; %bb.170:
	v_lshlrev_b32_e32 v15, 2, v0
	v_readfirstlane_b32 s2, v11
	v_readfirstlane_b32 s3, v12
	ds_read_b32 v16, v15 offset:1024
	s_waitcnt lgkmcnt(0)
	global_store_dword v15, v16, s[2:3] offset:1024
.LBB1180_171:
	s_or_b32 exec_lo, exec_lo, s1
	v_or_b32_e32 v15, 0x200, v0
	s_mov_b32 s1, exec_lo
	v_cmpx_ge_u32_e64 v15, v5
	s_xor_b32 s1, exec_lo, s1
	s_cbranch_execz .LBB1180_177
; %bb.172:
	s_mov_b32 s2, exec_lo
	v_cmpx_ge_u32_e64 v15, v14
	s_xor_b32 s2, exec_lo, s2
	s_cbranch_execz .LBB1180_174
; %bb.173:
	v_lshlrev_b32_e32 v17, 2, v0
	v_add_co_u32 v15, vcc_lo, v7, v0
	v_add_co_ci_u32_e64 v16, null, 0, v13, vcc_lo
	ds_read_b32 v17, v17 offset:2048
	v_lshlrev_b64 v[15:16], 2, v[15:16]
	v_sub_co_u32 v15, vcc_lo, s14, v15
	v_sub_co_ci_u32_e64 v16, null, s15, v16, vcc_lo
	v_add_co_u32 v15, vcc_lo, 0xfffff800, v15
	v_add_co_ci_u32_e64 v16, null, -1, v16, vcc_lo
	s_waitcnt lgkmcnt(0)
	global_store_dword v[15:16], v17, off offset:-4
                                        ; implicit-def: $vgpr15
.LBB1180_174:
	s_andn2_saveexec_b32 s2, s2
	s_cbranch_execz .LBB1180_176
; %bb.175:
	v_lshlrev_b32_e32 v16, 2, v0
	v_lshlrev_b32_e32 v15, 2, v15
	v_readfirstlane_b32 s6, v9
	v_readfirstlane_b32 s7, v10
	ds_read_b32 v16, v16 offset:2048
	s_waitcnt lgkmcnt(0)
	global_store_dword v15, v16, s[6:7]
.LBB1180_176:
	s_or_b32 exec_lo, exec_lo, s2
                                        ; implicit-def: $vgpr15
.LBB1180_177:
	s_andn2_saveexec_b32 s1, s1
	s_cbranch_execz .LBB1180_179
; %bb.178:
	v_lshlrev_b32_e32 v16, 2, v0
	v_lshlrev_b32_e32 v15, 2, v15
	v_readfirstlane_b32 s2, v11
	v_readfirstlane_b32 s3, v12
	ds_read_b32 v16, v16 offset:2048
	s_waitcnt lgkmcnt(0)
	global_store_dword v15, v16, s[2:3]
.LBB1180_179:
	s_or_b32 exec_lo, exec_lo, s1
	v_or_b32_e32 v15, 0x300, v0
	s_mov_b32 s1, exec_lo
	v_cmpx_ge_u32_e64 v15, v5
	s_xor_b32 s1, exec_lo, s1
	s_cbranch_execz .LBB1180_185
; %bb.180:
	s_mov_b32 s2, exec_lo
	v_cmpx_ge_u32_e64 v15, v14
	s_xor_b32 s2, exec_lo, s2
	s_cbranch_execz .LBB1180_182
; %bb.181:
	v_lshlrev_b32_e32 v16, 2, v0
	v_add_co_u32 v15, vcc_lo, v7, v15
	ds_read_b32 v17, v16 offset:3072
	v_add_co_ci_u32_e64 v16, null, 0, v13, vcc_lo
	v_lshlrev_b64 v[15:16], 2, v[15:16]
	v_sub_co_u32 v15, vcc_lo, s14, v15
	v_sub_co_ci_u32_e64 v16, null, s15, v16, vcc_lo
	s_waitcnt lgkmcnt(0)
	global_store_dword v[15:16], v17, off offset:-4
                                        ; implicit-def: $vgpr15
.LBB1180_182:
	s_andn2_saveexec_b32 s2, s2
	s_cbranch_execz .LBB1180_184
; %bb.183:
	v_lshlrev_b32_e32 v16, 2, v0
	v_lshlrev_b32_e32 v15, 2, v15
	v_readfirstlane_b32 s6, v9
	v_readfirstlane_b32 s7, v10
	ds_read_b32 v16, v16 offset:3072
	s_waitcnt lgkmcnt(0)
	global_store_dword v15, v16, s[6:7]
.LBB1180_184:
	s_or_b32 exec_lo, exec_lo, s2
                                        ; implicit-def: $vgpr15
.LBB1180_185:
	s_andn2_saveexec_b32 s1, s1
	s_cbranch_execz .LBB1180_187
; %bb.186:
	v_lshlrev_b32_e32 v16, 2, v0
	v_lshlrev_b32_e32 v15, 2, v15
	v_readfirstlane_b32 s2, v11
	v_readfirstlane_b32 s3, v12
	ds_read_b32 v16, v16 offset:3072
	s_waitcnt lgkmcnt(0)
	global_store_dword v15, v16, s[2:3]
.LBB1180_187:
	s_or_b32 exec_lo, exec_lo, s1
	v_or_b32_e32 v15, 0x400, v0
	s_mov_b32 s1, exec_lo
	v_cmpx_ge_u32_e64 v15, v5
	s_xor_b32 s1, exec_lo, s1
	s_cbranch_execz .LBB1180_193
; %bb.188:
	s_mov_b32 s2, exec_lo
	v_cmpx_ge_u32_e64 v15, v14
	s_xor_b32 s2, exec_lo, s2
	s_cbranch_execz .LBB1180_190
; %bb.189:
	v_lshlrev_b32_e32 v16, 2, v0
	v_add_co_u32 v15, vcc_lo, v7, v15
	ds_read_b32 v17, v16 offset:4096
	v_add_co_ci_u32_e64 v16, null, 0, v13, vcc_lo
	v_lshlrev_b64 v[15:16], 2, v[15:16]
	v_sub_co_u32 v15, vcc_lo, s14, v15
	v_sub_co_ci_u32_e64 v16, null, s15, v16, vcc_lo
	s_waitcnt lgkmcnt(0)
	global_store_dword v[15:16], v17, off offset:-4
                                        ; implicit-def: $vgpr15
.LBB1180_190:
	s_andn2_saveexec_b32 s2, s2
	s_cbranch_execz .LBB1180_192
; %bb.191:
	v_lshlrev_b32_e32 v16, 2, v0
	v_lshlrev_b32_e32 v15, 2, v15
	v_readfirstlane_b32 s6, v9
	v_readfirstlane_b32 s7, v10
	ds_read_b32 v16, v16 offset:4096
	s_waitcnt lgkmcnt(0)
	global_store_dword v15, v16, s[6:7]
.LBB1180_192:
	s_or_b32 exec_lo, exec_lo, s2
                                        ; implicit-def: $vgpr15
.LBB1180_193:
	;; [unrolled: 48-line block ×10, first 2 shown]
	s_andn2_saveexec_b32 s1, s1
	s_cbranch_execz .LBB1180_259
; %bb.258:
	v_lshlrev_b32_e32 v16, 2, v0
	v_lshlrev_b32_e32 v15, 2, v15
	v_readfirstlane_b32 s2, v11
	v_readfirstlane_b32 s3, v12
	ds_read_b32 v16, v16 offset:12288
	s_waitcnt lgkmcnt(0)
	global_store_dword v15, v16, s[2:3]
.LBB1180_259:
	s_or_b32 exec_lo, exec_lo, s1
	s_branch .LBB1180_153
.LBB1180_260:
	s_mov_b32 s1, exec_lo
	v_cmpx_gt_u32_e64 s5, v0
	s_cbranch_execz .LBB1180_269
; %bb.261:
	s_mov_b32 s2, exec_lo
	v_cmpx_ge_u32_e64 v0, v5
	s_xor_b32 s2, exec_lo, s2
	s_cbranch_execz .LBB1180_267
; %bb.262:
	s_mov_b32 s3, exec_lo
	v_cmpx_ge_u32_e64 v0, v14
	s_xor_b32 s3, exec_lo, s3
	s_cbranch_execz .LBB1180_264
; %bb.263:
	v_lshlrev_b32_e32 v15, 2, v0
	ds_read_b32 v17, v15
	v_add_co_u32 v15, vcc_lo, v7, v0
	v_add_co_ci_u32_e64 v16, null, 0, v13, vcc_lo
	v_lshlrev_b64 v[15:16], 2, v[15:16]
	v_sub_co_u32 v15, vcc_lo, s14, v15
	v_sub_co_ci_u32_e64 v16, null, s15, v16, vcc_lo
	s_waitcnt lgkmcnt(0)
	global_store_dword v[15:16], v17, off offset:-4
.LBB1180_264:
	s_andn2_saveexec_b32 s3, s3
	s_cbranch_execz .LBB1180_266
; %bb.265:
	v_lshlrev_b32_e32 v15, 2, v0
	v_readfirstlane_b32 s6, v9
	v_readfirstlane_b32 s7, v10
	ds_read_b32 v16, v15
	s_waitcnt lgkmcnt(0)
	global_store_dword v15, v16, s[6:7]
.LBB1180_266:
	s_or_b32 exec_lo, exec_lo, s3
.LBB1180_267:
	s_andn2_saveexec_b32 s2, s2
	s_cbranch_execz .LBB1180_269
; %bb.268:
	v_lshlrev_b32_e32 v15, 2, v0
	v_readfirstlane_b32 s2, v11
	v_readfirstlane_b32 s3, v12
	ds_read_b32 v16, v15
	s_waitcnt lgkmcnt(0)
	global_store_dword v15, v16, s[2:3]
.LBB1180_269:
	s_or_b32 exec_lo, exec_lo, s1
	v_or_b32_e32 v15, 0x100, v0
	s_mov_b32 s1, exec_lo
	v_cmpx_gt_u32_e64 s5, v15
	s_cbranch_execz .LBB1180_278
; %bb.270:
	s_mov_b32 s2, exec_lo
	v_cmpx_ge_u32_e64 v15, v5
	s_xor_b32 s2, exec_lo, s2
	s_cbranch_execz .LBB1180_276
; %bb.271:
	s_mov_b32 s3, exec_lo
	v_cmpx_ge_u32_e64 v15, v14
	s_xor_b32 s3, exec_lo, s3
	s_cbranch_execz .LBB1180_273
; %bb.272:
	v_lshlrev_b32_e32 v15, 2, v0
	ds_read_b32 v17, v15 offset:1024
	v_add_co_u32 v15, vcc_lo, v7, v0
	v_add_co_ci_u32_e64 v16, null, 0, v13, vcc_lo
	v_lshlrev_b64 v[15:16], 2, v[15:16]
	v_sub_co_u32 v15, vcc_lo, s14, v15
	v_sub_co_ci_u32_e64 v16, null, s15, v16, vcc_lo
	s_waitcnt lgkmcnt(0)
	global_store_dword v[15:16], v17, off offset:-1028
.LBB1180_273:
	s_andn2_saveexec_b32 s3, s3
	s_cbranch_execz .LBB1180_275
; %bb.274:
	v_lshlrev_b32_e32 v15, 2, v0
	v_readfirstlane_b32 s6, v9
	v_readfirstlane_b32 s7, v10
	ds_read_b32 v16, v15 offset:1024
	s_waitcnt lgkmcnt(0)
	global_store_dword v15, v16, s[6:7] offset:1024
.LBB1180_275:
	s_or_b32 exec_lo, exec_lo, s3
.LBB1180_276:
	s_andn2_saveexec_b32 s2, s2
	s_cbranch_execz .LBB1180_278
; %bb.277:
	v_lshlrev_b32_e32 v15, 2, v0
	v_readfirstlane_b32 s2, v11
	v_readfirstlane_b32 s3, v12
	ds_read_b32 v16, v15 offset:1024
	s_waitcnt lgkmcnt(0)
	global_store_dword v15, v16, s[2:3] offset:1024
.LBB1180_278:
	s_or_b32 exec_lo, exec_lo, s1
	v_or_b32_e32 v15, 0x200, v0
	s_mov_b32 s1, exec_lo
	v_cmpx_gt_u32_e64 s5, v15
	s_cbranch_execz .LBB1180_287
; %bb.279:
	s_mov_b32 s2, exec_lo
	v_cmpx_ge_u32_e64 v15, v5
	s_xor_b32 s2, exec_lo, s2
	s_cbranch_execz .LBB1180_285
; %bb.280:
	s_mov_b32 s3, exec_lo
	v_cmpx_ge_u32_e64 v15, v14
	s_xor_b32 s3, exec_lo, s3
	s_cbranch_execz .LBB1180_282
; %bb.281:
	v_lshlrev_b32_e32 v17, 2, v0
	v_add_co_u32 v15, vcc_lo, v7, v0
	v_add_co_ci_u32_e64 v16, null, 0, v13, vcc_lo
	ds_read_b32 v17, v17 offset:2048
	v_lshlrev_b64 v[15:16], 2, v[15:16]
	v_sub_co_u32 v15, vcc_lo, s14, v15
	v_sub_co_ci_u32_e64 v16, null, s15, v16, vcc_lo
	v_add_co_u32 v15, vcc_lo, 0xfffff800, v15
	v_add_co_ci_u32_e64 v16, null, -1, v16, vcc_lo
	s_waitcnt lgkmcnt(0)
	global_store_dword v[15:16], v17, off offset:-4
                                        ; implicit-def: $vgpr15
.LBB1180_282:
	s_andn2_saveexec_b32 s3, s3
	s_cbranch_execz .LBB1180_284
; %bb.283:
	v_lshlrev_b32_e32 v16, 2, v0
	v_lshlrev_b32_e32 v15, 2, v15
	v_readfirstlane_b32 s6, v9
	v_readfirstlane_b32 s7, v10
	ds_read_b32 v16, v16 offset:2048
	s_waitcnt lgkmcnt(0)
	global_store_dword v15, v16, s[6:7]
.LBB1180_284:
	s_or_b32 exec_lo, exec_lo, s3
                                        ; implicit-def: $vgpr15
.LBB1180_285:
	s_andn2_saveexec_b32 s2, s2
	s_cbranch_execz .LBB1180_287
; %bb.286:
	v_lshlrev_b32_e32 v16, 2, v0
	v_lshlrev_b32_e32 v15, 2, v15
	v_readfirstlane_b32 s2, v11
	v_readfirstlane_b32 s3, v12
	ds_read_b32 v16, v16 offset:2048
	s_waitcnt lgkmcnt(0)
	global_store_dword v15, v16, s[2:3]
.LBB1180_287:
	s_or_b32 exec_lo, exec_lo, s1
	v_or_b32_e32 v15, 0x300, v0
	s_mov_b32 s1, exec_lo
	v_cmpx_gt_u32_e64 s5, v15
	s_cbranch_execz .LBB1180_296
; %bb.288:
	s_mov_b32 s2, exec_lo
	v_cmpx_ge_u32_e64 v15, v5
	s_xor_b32 s2, exec_lo, s2
	s_cbranch_execz .LBB1180_294
; %bb.289:
	s_mov_b32 s3, exec_lo
	v_cmpx_ge_u32_e64 v15, v14
	s_xor_b32 s3, exec_lo, s3
	s_cbranch_execz .LBB1180_291
; %bb.290:
	v_lshlrev_b32_e32 v16, 2, v0
	v_add_co_u32 v15, vcc_lo, v7, v15
	ds_read_b32 v17, v16 offset:3072
	v_add_co_ci_u32_e64 v16, null, 0, v13, vcc_lo
	v_lshlrev_b64 v[15:16], 2, v[15:16]
	v_sub_co_u32 v15, vcc_lo, s14, v15
	v_sub_co_ci_u32_e64 v16, null, s15, v16, vcc_lo
	s_waitcnt lgkmcnt(0)
	global_store_dword v[15:16], v17, off offset:-4
                                        ; implicit-def: $vgpr15
.LBB1180_291:
	s_andn2_saveexec_b32 s3, s3
	s_cbranch_execz .LBB1180_293
; %bb.292:
	v_lshlrev_b32_e32 v16, 2, v0
	v_lshlrev_b32_e32 v15, 2, v15
	v_readfirstlane_b32 s6, v9
	v_readfirstlane_b32 s7, v10
	ds_read_b32 v16, v16 offset:3072
	s_waitcnt lgkmcnt(0)
	global_store_dword v15, v16, s[6:7]
.LBB1180_293:
	s_or_b32 exec_lo, exec_lo, s3
                                        ; implicit-def: $vgpr15
.LBB1180_294:
	s_andn2_saveexec_b32 s2, s2
	s_cbranch_execz .LBB1180_296
; %bb.295:
	v_lshlrev_b32_e32 v16, 2, v0
	v_lshlrev_b32_e32 v15, 2, v15
	v_readfirstlane_b32 s2, v11
	v_readfirstlane_b32 s3, v12
	ds_read_b32 v16, v16 offset:3072
	s_waitcnt lgkmcnt(0)
	global_store_dword v15, v16, s[2:3]
.LBB1180_296:
	s_or_b32 exec_lo, exec_lo, s1
	v_or_b32_e32 v15, 0x400, v0
	s_mov_b32 s1, exec_lo
	v_cmpx_gt_u32_e64 s5, v15
	s_cbranch_execz .LBB1180_305
; %bb.297:
	s_mov_b32 s2, exec_lo
	v_cmpx_ge_u32_e64 v15, v5
	s_xor_b32 s2, exec_lo, s2
	s_cbranch_execz .LBB1180_303
; %bb.298:
	s_mov_b32 s3, exec_lo
	v_cmpx_ge_u32_e64 v15, v14
	s_xor_b32 s3, exec_lo, s3
	s_cbranch_execz .LBB1180_300
; %bb.299:
	v_lshlrev_b32_e32 v16, 2, v0
	v_add_co_u32 v15, vcc_lo, v7, v15
	ds_read_b32 v17, v16 offset:4096
	v_add_co_ci_u32_e64 v16, null, 0, v13, vcc_lo
	v_lshlrev_b64 v[15:16], 2, v[15:16]
	v_sub_co_u32 v15, vcc_lo, s14, v15
	v_sub_co_ci_u32_e64 v16, null, s15, v16, vcc_lo
	s_waitcnt lgkmcnt(0)
	global_store_dword v[15:16], v17, off offset:-4
                                        ; implicit-def: $vgpr15
.LBB1180_300:
	s_andn2_saveexec_b32 s3, s3
	s_cbranch_execz .LBB1180_302
; %bb.301:
	v_lshlrev_b32_e32 v16, 2, v0
	v_lshlrev_b32_e32 v15, 2, v15
	v_readfirstlane_b32 s6, v9
	v_readfirstlane_b32 s7, v10
	ds_read_b32 v16, v16 offset:4096
	s_waitcnt lgkmcnt(0)
	global_store_dword v15, v16, s[6:7]
.LBB1180_302:
	s_or_b32 exec_lo, exec_lo, s3
                                        ; implicit-def: $vgpr15
.LBB1180_303:
	s_andn2_saveexec_b32 s2, s2
	s_cbranch_execz .LBB1180_305
; %bb.304:
	v_lshlrev_b32_e32 v16, 2, v0
	v_lshlrev_b32_e32 v15, 2, v15
	v_readfirstlane_b32 s2, v11
	v_readfirstlane_b32 s3, v12
	ds_read_b32 v16, v16 offset:4096
	s_waitcnt lgkmcnt(0)
	global_store_dword v15, v16, s[2:3]
.LBB1180_305:
	;; [unrolled: 52-line block ×9, first 2 shown]
	s_or_b32 exec_lo, exec_lo, s1
	v_or_b32_e32 v15, 0xc00, v0
	s_mov_b32 s1, exec_lo
	v_cmpx_gt_u32_e64 s5, v15
	s_cbranch_execz .LBB1180_377
; %bb.369:
	s_mov_b32 s2, exec_lo
	v_cmpx_ge_u32_e64 v15, v5
	s_xor_b32 s2, exec_lo, s2
	s_cbranch_execz .LBB1180_375
; %bb.370:
	s_mov_b32 s3, exec_lo
	v_cmpx_ge_u32_e64 v15, v14
	s_xor_b32 s3, exec_lo, s3
	s_cbranch_execz .LBB1180_372
; %bb.371:
	v_lshlrev_b32_e32 v0, 2, v0
	v_add_co_u32 v9, vcc_lo, v7, v15
	v_add_co_ci_u32_e64 v10, null, 0, v13, vcc_lo
	ds_read_b32 v0, v0 offset:12288
                                        ; implicit-def: $vgpr15
	v_lshlrev_b64 v[9:10], 2, v[9:10]
	v_sub_co_u32 v9, vcc_lo, s14, v9
	v_sub_co_ci_u32_e64 v10, null, s15, v10, vcc_lo
	s_waitcnt lgkmcnt(0)
	global_store_dword v[9:10], v0, off offset:-4
                                        ; implicit-def: $vgpr0
                                        ; implicit-def: $vgpr9_vgpr10
.LBB1180_372:
	s_andn2_saveexec_b32 s3, s3
	s_cbranch_execz .LBB1180_374
; %bb.373:
	v_lshlrev_b32_e32 v0, 2, v0
	v_lshlrev_b32_e32 v7, 2, v15
	v_readfirstlane_b32 s4, v9
	v_readfirstlane_b32 s5, v10
	ds_read_b32 v0, v0 offset:12288
	s_waitcnt lgkmcnt(0)
	global_store_dword v7, v0, s[4:5]
.LBB1180_374:
	s_or_b32 exec_lo, exec_lo, s3
                                        ; implicit-def: $vgpr0
                                        ; implicit-def: $vgpr15
                                        ; implicit-def: $vgpr11_vgpr12
.LBB1180_375:
	s_andn2_saveexec_b32 s2, s2
	s_cbranch_execz .LBB1180_377
; %bb.376:
	v_lshlrev_b32_e32 v0, 2, v0
	v_lshlrev_b32_e32 v7, 2, v15
	v_readfirstlane_b32 s2, v11
	v_readfirstlane_b32 s3, v12
	ds_read_b32 v0, v0 offset:12288
	s_waitcnt lgkmcnt(0)
	global_store_dword v7, v0, s[2:3]
.LBB1180_377:
	s_or_b32 exec_lo, exec_lo, s1
	s_and_b32 s0, s0, s26
	s_and_saveexec_b32 s1, s0
	s_cbranch_execz .LBB1180_154
.LBB1180_378:
	v_add_co_u32 v0, vcc_lo, v3, v6
	v_add_co_ci_u32_e64 v4, null, 0, v4, vcc_lo
	v_mov_b32_e32 v6, 0
	v_add_co_u32 v3, vcc_lo, v0, v8
	v_add_co_ci_u32_e64 v4, null, 0, v4, vcc_lo
	v_add_co_u32 v1, vcc_lo, v1, v5
	v_add_co_ci_u32_e64 v2, null, 0, v2, vcc_lo
	global_store_dwordx4 v6, v[1:4], s[24:25]
	s_endpgm
.LBB1180_379:
	s_add_i32 s8, s27, 32
	s_mov_b32 s9, 0
	v_add_nc_u32_e32 v10, v8, v6
	s_lshl_b64 s[8:9], s[8:9], 4
	v_add_nc_u32_e32 v9, v7, v5
	s_add_u32 s8, s36, s8
	s_addc_u32 s9, s37, s9
	v_mov_b32_e32 v11, 2
	v_mov_b32_e32 v28, s9
	;; [unrolled: 1-line block ×4, first 2 shown]
	;;#ASMSTART
	global_store_dwordx4 v[27:28], v[9:12] off	
s_waitcnt vmcnt(0)
	;;#ASMEND
	s_or_b32 exec_lo, exec_lo, s6
	s_and_saveexec_b32 s6, s3
	s_cbranch_execz .LBB1180_139
.LBB1180_380:
	v_mov_b32_e32 v9, 0
	ds_write_b128 v9, v[5:8] offset:13312
	s_or_b32 exec_lo, exec_lo, s6
	s_and_b32 exec_lo, exec_lo, s0
	s_cbranch_execnz .LBB1180_140
	s_branch .LBB1180_141
	.section	.rodata,"a",@progbits
	.p2align	6, 0x0
	.amdhsa_kernel _ZN7rocprim17ROCPRIM_400000_NS6detail17trampoline_kernelINS0_13select_configILj256ELj13ELNS0_17block_load_methodE3ELS4_3ELS4_3ELNS0_20block_scan_algorithmE0ELj4294967295EEENS1_25partition_config_selectorILNS1_17partition_subalgoE4EjNS0_10empty_typeEbEEZZNS1_14partition_implILS8_4ELb0ES6_15HIP_vector_typeIjLj2EENS0_17counting_iteratorIjlEEPS9_SG_NS0_5tupleIJPjSI_NS0_16reverse_iteratorISI_EEEEENSH_IJSG_SG_SG_EEES9_SI_JZNS1_25segmented_radix_sort_implINS0_14default_configELb0EPKdPdPKlPlN2at6native12_GLOBAL__N_18offset_tEEE10hipError_tPvRmT1_PNSt15iterator_traitsIS12_E10value_typeET2_T3_PNS13_IS18_E10value_typeET4_jRbjT5_S1E_jjP12ihipStream_tbEUljE_ZNSN_ISO_Lb0ESQ_SR_ST_SU_SY_EESZ_S10_S11_S12_S16_S17_S18_S1B_S1C_jS1D_jS1E_S1E_jjS1G_bEUljE0_EEESZ_S10_S11_S18_S1C_S1E_T6_T7_T9_mT8_S1G_bDpT10_ENKUlT_T0_E_clISt17integral_constantIbLb0EES1T_IbLb1EEEEDaS1P_S1Q_EUlS1P_E_NS1_11comp_targetILNS1_3genE8ELNS1_11target_archE1030ELNS1_3gpuE2ELNS1_3repE0EEENS1_30default_config_static_selectorELNS0_4arch9wavefront6targetE0EEEvS12_
		.amdhsa_group_segment_fixed_size 13328
		.amdhsa_private_segment_fixed_size 0
		.amdhsa_kernarg_size 184
		.amdhsa_user_sgpr_count 6
		.amdhsa_user_sgpr_private_segment_buffer 1
		.amdhsa_user_sgpr_dispatch_ptr 0
		.amdhsa_user_sgpr_queue_ptr 0
		.amdhsa_user_sgpr_kernarg_segment_ptr 1
		.amdhsa_user_sgpr_dispatch_id 0
		.amdhsa_user_sgpr_flat_scratch_init 0
		.amdhsa_user_sgpr_private_segment_size 0
		.amdhsa_wavefront_size32 1
		.amdhsa_uses_dynamic_stack 0
		.amdhsa_system_sgpr_private_segment_wavefront_offset 0
		.amdhsa_system_sgpr_workgroup_id_x 1
		.amdhsa_system_sgpr_workgroup_id_y 0
		.amdhsa_system_sgpr_workgroup_id_z 0
		.amdhsa_system_sgpr_workgroup_info 0
		.amdhsa_system_vgpr_workitem_id 0
		.amdhsa_next_free_vgpr 87
		.amdhsa_next_free_sgpr 55
		.amdhsa_reserve_vcc 1
		.amdhsa_reserve_flat_scratch 0
		.amdhsa_float_round_mode_32 0
		.amdhsa_float_round_mode_16_64 0
		.amdhsa_float_denorm_mode_32 3
		.amdhsa_float_denorm_mode_16_64 3
		.amdhsa_dx10_clamp 1
		.amdhsa_ieee_mode 1
		.amdhsa_fp16_overflow 0
		.amdhsa_workgroup_processor_mode 1
		.amdhsa_memory_ordered 1
		.amdhsa_forward_progress 1
		.amdhsa_shared_vgpr_count 0
		.amdhsa_exception_fp_ieee_invalid_op 0
		.amdhsa_exception_fp_denorm_src 0
		.amdhsa_exception_fp_ieee_div_zero 0
		.amdhsa_exception_fp_ieee_overflow 0
		.amdhsa_exception_fp_ieee_underflow 0
		.amdhsa_exception_fp_ieee_inexact 0
		.amdhsa_exception_int_div_zero 0
	.end_amdhsa_kernel
	.section	.text._ZN7rocprim17ROCPRIM_400000_NS6detail17trampoline_kernelINS0_13select_configILj256ELj13ELNS0_17block_load_methodE3ELS4_3ELS4_3ELNS0_20block_scan_algorithmE0ELj4294967295EEENS1_25partition_config_selectorILNS1_17partition_subalgoE4EjNS0_10empty_typeEbEEZZNS1_14partition_implILS8_4ELb0ES6_15HIP_vector_typeIjLj2EENS0_17counting_iteratorIjlEEPS9_SG_NS0_5tupleIJPjSI_NS0_16reverse_iteratorISI_EEEEENSH_IJSG_SG_SG_EEES9_SI_JZNS1_25segmented_radix_sort_implINS0_14default_configELb0EPKdPdPKlPlN2at6native12_GLOBAL__N_18offset_tEEE10hipError_tPvRmT1_PNSt15iterator_traitsIS12_E10value_typeET2_T3_PNS13_IS18_E10value_typeET4_jRbjT5_S1E_jjP12ihipStream_tbEUljE_ZNSN_ISO_Lb0ESQ_SR_ST_SU_SY_EESZ_S10_S11_S12_S16_S17_S18_S1B_S1C_jS1D_jS1E_S1E_jjS1G_bEUljE0_EEESZ_S10_S11_S18_S1C_S1E_T6_T7_T9_mT8_S1G_bDpT10_ENKUlT_T0_E_clISt17integral_constantIbLb0EES1T_IbLb1EEEEDaS1P_S1Q_EUlS1P_E_NS1_11comp_targetILNS1_3genE8ELNS1_11target_archE1030ELNS1_3gpuE2ELNS1_3repE0EEENS1_30default_config_static_selectorELNS0_4arch9wavefront6targetE0EEEvS12_,"axG",@progbits,_ZN7rocprim17ROCPRIM_400000_NS6detail17trampoline_kernelINS0_13select_configILj256ELj13ELNS0_17block_load_methodE3ELS4_3ELS4_3ELNS0_20block_scan_algorithmE0ELj4294967295EEENS1_25partition_config_selectorILNS1_17partition_subalgoE4EjNS0_10empty_typeEbEEZZNS1_14partition_implILS8_4ELb0ES6_15HIP_vector_typeIjLj2EENS0_17counting_iteratorIjlEEPS9_SG_NS0_5tupleIJPjSI_NS0_16reverse_iteratorISI_EEEEENSH_IJSG_SG_SG_EEES9_SI_JZNS1_25segmented_radix_sort_implINS0_14default_configELb0EPKdPdPKlPlN2at6native12_GLOBAL__N_18offset_tEEE10hipError_tPvRmT1_PNSt15iterator_traitsIS12_E10value_typeET2_T3_PNS13_IS18_E10value_typeET4_jRbjT5_S1E_jjP12ihipStream_tbEUljE_ZNSN_ISO_Lb0ESQ_SR_ST_SU_SY_EESZ_S10_S11_S12_S16_S17_S18_S1B_S1C_jS1D_jS1E_S1E_jjS1G_bEUljE0_EEESZ_S10_S11_S18_S1C_S1E_T6_T7_T9_mT8_S1G_bDpT10_ENKUlT_T0_E_clISt17integral_constantIbLb0EES1T_IbLb1EEEEDaS1P_S1Q_EUlS1P_E_NS1_11comp_targetILNS1_3genE8ELNS1_11target_archE1030ELNS1_3gpuE2ELNS1_3repE0EEENS1_30default_config_static_selectorELNS0_4arch9wavefront6targetE0EEEvS12_,comdat
.Lfunc_end1180:
	.size	_ZN7rocprim17ROCPRIM_400000_NS6detail17trampoline_kernelINS0_13select_configILj256ELj13ELNS0_17block_load_methodE3ELS4_3ELS4_3ELNS0_20block_scan_algorithmE0ELj4294967295EEENS1_25partition_config_selectorILNS1_17partition_subalgoE4EjNS0_10empty_typeEbEEZZNS1_14partition_implILS8_4ELb0ES6_15HIP_vector_typeIjLj2EENS0_17counting_iteratorIjlEEPS9_SG_NS0_5tupleIJPjSI_NS0_16reverse_iteratorISI_EEEEENSH_IJSG_SG_SG_EEES9_SI_JZNS1_25segmented_radix_sort_implINS0_14default_configELb0EPKdPdPKlPlN2at6native12_GLOBAL__N_18offset_tEEE10hipError_tPvRmT1_PNSt15iterator_traitsIS12_E10value_typeET2_T3_PNS13_IS18_E10value_typeET4_jRbjT5_S1E_jjP12ihipStream_tbEUljE_ZNSN_ISO_Lb0ESQ_SR_ST_SU_SY_EESZ_S10_S11_S12_S16_S17_S18_S1B_S1C_jS1D_jS1E_S1E_jjS1G_bEUljE0_EEESZ_S10_S11_S18_S1C_S1E_T6_T7_T9_mT8_S1G_bDpT10_ENKUlT_T0_E_clISt17integral_constantIbLb0EES1T_IbLb1EEEEDaS1P_S1Q_EUlS1P_E_NS1_11comp_targetILNS1_3genE8ELNS1_11target_archE1030ELNS1_3gpuE2ELNS1_3repE0EEENS1_30default_config_static_selectorELNS0_4arch9wavefront6targetE0EEEvS12_, .Lfunc_end1180-_ZN7rocprim17ROCPRIM_400000_NS6detail17trampoline_kernelINS0_13select_configILj256ELj13ELNS0_17block_load_methodE3ELS4_3ELS4_3ELNS0_20block_scan_algorithmE0ELj4294967295EEENS1_25partition_config_selectorILNS1_17partition_subalgoE4EjNS0_10empty_typeEbEEZZNS1_14partition_implILS8_4ELb0ES6_15HIP_vector_typeIjLj2EENS0_17counting_iteratorIjlEEPS9_SG_NS0_5tupleIJPjSI_NS0_16reverse_iteratorISI_EEEEENSH_IJSG_SG_SG_EEES9_SI_JZNS1_25segmented_radix_sort_implINS0_14default_configELb0EPKdPdPKlPlN2at6native12_GLOBAL__N_18offset_tEEE10hipError_tPvRmT1_PNSt15iterator_traitsIS12_E10value_typeET2_T3_PNS13_IS18_E10value_typeET4_jRbjT5_S1E_jjP12ihipStream_tbEUljE_ZNSN_ISO_Lb0ESQ_SR_ST_SU_SY_EESZ_S10_S11_S12_S16_S17_S18_S1B_S1C_jS1D_jS1E_S1E_jjS1G_bEUljE0_EEESZ_S10_S11_S18_S1C_S1E_T6_T7_T9_mT8_S1G_bDpT10_ENKUlT_T0_E_clISt17integral_constantIbLb0EES1T_IbLb1EEEEDaS1P_S1Q_EUlS1P_E_NS1_11comp_targetILNS1_3genE8ELNS1_11target_archE1030ELNS1_3gpuE2ELNS1_3repE0EEENS1_30default_config_static_selectorELNS0_4arch9wavefront6targetE0EEEvS12_
                                        ; -- End function
	.set _ZN7rocprim17ROCPRIM_400000_NS6detail17trampoline_kernelINS0_13select_configILj256ELj13ELNS0_17block_load_methodE3ELS4_3ELS4_3ELNS0_20block_scan_algorithmE0ELj4294967295EEENS1_25partition_config_selectorILNS1_17partition_subalgoE4EjNS0_10empty_typeEbEEZZNS1_14partition_implILS8_4ELb0ES6_15HIP_vector_typeIjLj2EENS0_17counting_iteratorIjlEEPS9_SG_NS0_5tupleIJPjSI_NS0_16reverse_iteratorISI_EEEEENSH_IJSG_SG_SG_EEES9_SI_JZNS1_25segmented_radix_sort_implINS0_14default_configELb0EPKdPdPKlPlN2at6native12_GLOBAL__N_18offset_tEEE10hipError_tPvRmT1_PNSt15iterator_traitsIS12_E10value_typeET2_T3_PNS13_IS18_E10value_typeET4_jRbjT5_S1E_jjP12ihipStream_tbEUljE_ZNSN_ISO_Lb0ESQ_SR_ST_SU_SY_EESZ_S10_S11_S12_S16_S17_S18_S1B_S1C_jS1D_jS1E_S1E_jjS1G_bEUljE0_EEESZ_S10_S11_S18_S1C_S1E_T6_T7_T9_mT8_S1G_bDpT10_ENKUlT_T0_E_clISt17integral_constantIbLb0EES1T_IbLb1EEEEDaS1P_S1Q_EUlS1P_E_NS1_11comp_targetILNS1_3genE8ELNS1_11target_archE1030ELNS1_3gpuE2ELNS1_3repE0EEENS1_30default_config_static_selectorELNS0_4arch9wavefront6targetE0EEEvS12_.num_vgpr, 87
	.set _ZN7rocprim17ROCPRIM_400000_NS6detail17trampoline_kernelINS0_13select_configILj256ELj13ELNS0_17block_load_methodE3ELS4_3ELS4_3ELNS0_20block_scan_algorithmE0ELj4294967295EEENS1_25partition_config_selectorILNS1_17partition_subalgoE4EjNS0_10empty_typeEbEEZZNS1_14partition_implILS8_4ELb0ES6_15HIP_vector_typeIjLj2EENS0_17counting_iteratorIjlEEPS9_SG_NS0_5tupleIJPjSI_NS0_16reverse_iteratorISI_EEEEENSH_IJSG_SG_SG_EEES9_SI_JZNS1_25segmented_radix_sort_implINS0_14default_configELb0EPKdPdPKlPlN2at6native12_GLOBAL__N_18offset_tEEE10hipError_tPvRmT1_PNSt15iterator_traitsIS12_E10value_typeET2_T3_PNS13_IS18_E10value_typeET4_jRbjT5_S1E_jjP12ihipStream_tbEUljE_ZNSN_ISO_Lb0ESQ_SR_ST_SU_SY_EESZ_S10_S11_S12_S16_S17_S18_S1B_S1C_jS1D_jS1E_S1E_jjS1G_bEUljE0_EEESZ_S10_S11_S18_S1C_S1E_T6_T7_T9_mT8_S1G_bDpT10_ENKUlT_T0_E_clISt17integral_constantIbLb0EES1T_IbLb1EEEEDaS1P_S1Q_EUlS1P_E_NS1_11comp_targetILNS1_3genE8ELNS1_11target_archE1030ELNS1_3gpuE2ELNS1_3repE0EEENS1_30default_config_static_selectorELNS0_4arch9wavefront6targetE0EEEvS12_.num_agpr, 0
	.set _ZN7rocprim17ROCPRIM_400000_NS6detail17trampoline_kernelINS0_13select_configILj256ELj13ELNS0_17block_load_methodE3ELS4_3ELS4_3ELNS0_20block_scan_algorithmE0ELj4294967295EEENS1_25partition_config_selectorILNS1_17partition_subalgoE4EjNS0_10empty_typeEbEEZZNS1_14partition_implILS8_4ELb0ES6_15HIP_vector_typeIjLj2EENS0_17counting_iteratorIjlEEPS9_SG_NS0_5tupleIJPjSI_NS0_16reverse_iteratorISI_EEEEENSH_IJSG_SG_SG_EEES9_SI_JZNS1_25segmented_radix_sort_implINS0_14default_configELb0EPKdPdPKlPlN2at6native12_GLOBAL__N_18offset_tEEE10hipError_tPvRmT1_PNSt15iterator_traitsIS12_E10value_typeET2_T3_PNS13_IS18_E10value_typeET4_jRbjT5_S1E_jjP12ihipStream_tbEUljE_ZNSN_ISO_Lb0ESQ_SR_ST_SU_SY_EESZ_S10_S11_S12_S16_S17_S18_S1B_S1C_jS1D_jS1E_S1E_jjS1G_bEUljE0_EEESZ_S10_S11_S18_S1C_S1E_T6_T7_T9_mT8_S1G_bDpT10_ENKUlT_T0_E_clISt17integral_constantIbLb0EES1T_IbLb1EEEEDaS1P_S1Q_EUlS1P_E_NS1_11comp_targetILNS1_3genE8ELNS1_11target_archE1030ELNS1_3gpuE2ELNS1_3repE0EEENS1_30default_config_static_selectorELNS0_4arch9wavefront6targetE0EEEvS12_.numbered_sgpr, 55
	.set _ZN7rocprim17ROCPRIM_400000_NS6detail17trampoline_kernelINS0_13select_configILj256ELj13ELNS0_17block_load_methodE3ELS4_3ELS4_3ELNS0_20block_scan_algorithmE0ELj4294967295EEENS1_25partition_config_selectorILNS1_17partition_subalgoE4EjNS0_10empty_typeEbEEZZNS1_14partition_implILS8_4ELb0ES6_15HIP_vector_typeIjLj2EENS0_17counting_iteratorIjlEEPS9_SG_NS0_5tupleIJPjSI_NS0_16reverse_iteratorISI_EEEEENSH_IJSG_SG_SG_EEES9_SI_JZNS1_25segmented_radix_sort_implINS0_14default_configELb0EPKdPdPKlPlN2at6native12_GLOBAL__N_18offset_tEEE10hipError_tPvRmT1_PNSt15iterator_traitsIS12_E10value_typeET2_T3_PNS13_IS18_E10value_typeET4_jRbjT5_S1E_jjP12ihipStream_tbEUljE_ZNSN_ISO_Lb0ESQ_SR_ST_SU_SY_EESZ_S10_S11_S12_S16_S17_S18_S1B_S1C_jS1D_jS1E_S1E_jjS1G_bEUljE0_EEESZ_S10_S11_S18_S1C_S1E_T6_T7_T9_mT8_S1G_bDpT10_ENKUlT_T0_E_clISt17integral_constantIbLb0EES1T_IbLb1EEEEDaS1P_S1Q_EUlS1P_E_NS1_11comp_targetILNS1_3genE8ELNS1_11target_archE1030ELNS1_3gpuE2ELNS1_3repE0EEENS1_30default_config_static_selectorELNS0_4arch9wavefront6targetE0EEEvS12_.num_named_barrier, 0
	.set _ZN7rocprim17ROCPRIM_400000_NS6detail17trampoline_kernelINS0_13select_configILj256ELj13ELNS0_17block_load_methodE3ELS4_3ELS4_3ELNS0_20block_scan_algorithmE0ELj4294967295EEENS1_25partition_config_selectorILNS1_17partition_subalgoE4EjNS0_10empty_typeEbEEZZNS1_14partition_implILS8_4ELb0ES6_15HIP_vector_typeIjLj2EENS0_17counting_iteratorIjlEEPS9_SG_NS0_5tupleIJPjSI_NS0_16reverse_iteratorISI_EEEEENSH_IJSG_SG_SG_EEES9_SI_JZNS1_25segmented_radix_sort_implINS0_14default_configELb0EPKdPdPKlPlN2at6native12_GLOBAL__N_18offset_tEEE10hipError_tPvRmT1_PNSt15iterator_traitsIS12_E10value_typeET2_T3_PNS13_IS18_E10value_typeET4_jRbjT5_S1E_jjP12ihipStream_tbEUljE_ZNSN_ISO_Lb0ESQ_SR_ST_SU_SY_EESZ_S10_S11_S12_S16_S17_S18_S1B_S1C_jS1D_jS1E_S1E_jjS1G_bEUljE0_EEESZ_S10_S11_S18_S1C_S1E_T6_T7_T9_mT8_S1G_bDpT10_ENKUlT_T0_E_clISt17integral_constantIbLb0EES1T_IbLb1EEEEDaS1P_S1Q_EUlS1P_E_NS1_11comp_targetILNS1_3genE8ELNS1_11target_archE1030ELNS1_3gpuE2ELNS1_3repE0EEENS1_30default_config_static_selectorELNS0_4arch9wavefront6targetE0EEEvS12_.private_seg_size, 0
	.set _ZN7rocprim17ROCPRIM_400000_NS6detail17trampoline_kernelINS0_13select_configILj256ELj13ELNS0_17block_load_methodE3ELS4_3ELS4_3ELNS0_20block_scan_algorithmE0ELj4294967295EEENS1_25partition_config_selectorILNS1_17partition_subalgoE4EjNS0_10empty_typeEbEEZZNS1_14partition_implILS8_4ELb0ES6_15HIP_vector_typeIjLj2EENS0_17counting_iteratorIjlEEPS9_SG_NS0_5tupleIJPjSI_NS0_16reverse_iteratorISI_EEEEENSH_IJSG_SG_SG_EEES9_SI_JZNS1_25segmented_radix_sort_implINS0_14default_configELb0EPKdPdPKlPlN2at6native12_GLOBAL__N_18offset_tEEE10hipError_tPvRmT1_PNSt15iterator_traitsIS12_E10value_typeET2_T3_PNS13_IS18_E10value_typeET4_jRbjT5_S1E_jjP12ihipStream_tbEUljE_ZNSN_ISO_Lb0ESQ_SR_ST_SU_SY_EESZ_S10_S11_S12_S16_S17_S18_S1B_S1C_jS1D_jS1E_S1E_jjS1G_bEUljE0_EEESZ_S10_S11_S18_S1C_S1E_T6_T7_T9_mT8_S1G_bDpT10_ENKUlT_T0_E_clISt17integral_constantIbLb0EES1T_IbLb1EEEEDaS1P_S1Q_EUlS1P_E_NS1_11comp_targetILNS1_3genE8ELNS1_11target_archE1030ELNS1_3gpuE2ELNS1_3repE0EEENS1_30default_config_static_selectorELNS0_4arch9wavefront6targetE0EEEvS12_.uses_vcc, 1
	.set _ZN7rocprim17ROCPRIM_400000_NS6detail17trampoline_kernelINS0_13select_configILj256ELj13ELNS0_17block_load_methodE3ELS4_3ELS4_3ELNS0_20block_scan_algorithmE0ELj4294967295EEENS1_25partition_config_selectorILNS1_17partition_subalgoE4EjNS0_10empty_typeEbEEZZNS1_14partition_implILS8_4ELb0ES6_15HIP_vector_typeIjLj2EENS0_17counting_iteratorIjlEEPS9_SG_NS0_5tupleIJPjSI_NS0_16reverse_iteratorISI_EEEEENSH_IJSG_SG_SG_EEES9_SI_JZNS1_25segmented_radix_sort_implINS0_14default_configELb0EPKdPdPKlPlN2at6native12_GLOBAL__N_18offset_tEEE10hipError_tPvRmT1_PNSt15iterator_traitsIS12_E10value_typeET2_T3_PNS13_IS18_E10value_typeET4_jRbjT5_S1E_jjP12ihipStream_tbEUljE_ZNSN_ISO_Lb0ESQ_SR_ST_SU_SY_EESZ_S10_S11_S12_S16_S17_S18_S1B_S1C_jS1D_jS1E_S1E_jjS1G_bEUljE0_EEESZ_S10_S11_S18_S1C_S1E_T6_T7_T9_mT8_S1G_bDpT10_ENKUlT_T0_E_clISt17integral_constantIbLb0EES1T_IbLb1EEEEDaS1P_S1Q_EUlS1P_E_NS1_11comp_targetILNS1_3genE8ELNS1_11target_archE1030ELNS1_3gpuE2ELNS1_3repE0EEENS1_30default_config_static_selectorELNS0_4arch9wavefront6targetE0EEEvS12_.uses_flat_scratch, 0
	.set _ZN7rocprim17ROCPRIM_400000_NS6detail17trampoline_kernelINS0_13select_configILj256ELj13ELNS0_17block_load_methodE3ELS4_3ELS4_3ELNS0_20block_scan_algorithmE0ELj4294967295EEENS1_25partition_config_selectorILNS1_17partition_subalgoE4EjNS0_10empty_typeEbEEZZNS1_14partition_implILS8_4ELb0ES6_15HIP_vector_typeIjLj2EENS0_17counting_iteratorIjlEEPS9_SG_NS0_5tupleIJPjSI_NS0_16reverse_iteratorISI_EEEEENSH_IJSG_SG_SG_EEES9_SI_JZNS1_25segmented_radix_sort_implINS0_14default_configELb0EPKdPdPKlPlN2at6native12_GLOBAL__N_18offset_tEEE10hipError_tPvRmT1_PNSt15iterator_traitsIS12_E10value_typeET2_T3_PNS13_IS18_E10value_typeET4_jRbjT5_S1E_jjP12ihipStream_tbEUljE_ZNSN_ISO_Lb0ESQ_SR_ST_SU_SY_EESZ_S10_S11_S12_S16_S17_S18_S1B_S1C_jS1D_jS1E_S1E_jjS1G_bEUljE0_EEESZ_S10_S11_S18_S1C_S1E_T6_T7_T9_mT8_S1G_bDpT10_ENKUlT_T0_E_clISt17integral_constantIbLb0EES1T_IbLb1EEEEDaS1P_S1Q_EUlS1P_E_NS1_11comp_targetILNS1_3genE8ELNS1_11target_archE1030ELNS1_3gpuE2ELNS1_3repE0EEENS1_30default_config_static_selectorELNS0_4arch9wavefront6targetE0EEEvS12_.has_dyn_sized_stack, 0
	.set _ZN7rocprim17ROCPRIM_400000_NS6detail17trampoline_kernelINS0_13select_configILj256ELj13ELNS0_17block_load_methodE3ELS4_3ELS4_3ELNS0_20block_scan_algorithmE0ELj4294967295EEENS1_25partition_config_selectorILNS1_17partition_subalgoE4EjNS0_10empty_typeEbEEZZNS1_14partition_implILS8_4ELb0ES6_15HIP_vector_typeIjLj2EENS0_17counting_iteratorIjlEEPS9_SG_NS0_5tupleIJPjSI_NS0_16reverse_iteratorISI_EEEEENSH_IJSG_SG_SG_EEES9_SI_JZNS1_25segmented_radix_sort_implINS0_14default_configELb0EPKdPdPKlPlN2at6native12_GLOBAL__N_18offset_tEEE10hipError_tPvRmT1_PNSt15iterator_traitsIS12_E10value_typeET2_T3_PNS13_IS18_E10value_typeET4_jRbjT5_S1E_jjP12ihipStream_tbEUljE_ZNSN_ISO_Lb0ESQ_SR_ST_SU_SY_EESZ_S10_S11_S12_S16_S17_S18_S1B_S1C_jS1D_jS1E_S1E_jjS1G_bEUljE0_EEESZ_S10_S11_S18_S1C_S1E_T6_T7_T9_mT8_S1G_bDpT10_ENKUlT_T0_E_clISt17integral_constantIbLb0EES1T_IbLb1EEEEDaS1P_S1Q_EUlS1P_E_NS1_11comp_targetILNS1_3genE8ELNS1_11target_archE1030ELNS1_3gpuE2ELNS1_3repE0EEENS1_30default_config_static_selectorELNS0_4arch9wavefront6targetE0EEEvS12_.has_recursion, 0
	.set _ZN7rocprim17ROCPRIM_400000_NS6detail17trampoline_kernelINS0_13select_configILj256ELj13ELNS0_17block_load_methodE3ELS4_3ELS4_3ELNS0_20block_scan_algorithmE0ELj4294967295EEENS1_25partition_config_selectorILNS1_17partition_subalgoE4EjNS0_10empty_typeEbEEZZNS1_14partition_implILS8_4ELb0ES6_15HIP_vector_typeIjLj2EENS0_17counting_iteratorIjlEEPS9_SG_NS0_5tupleIJPjSI_NS0_16reverse_iteratorISI_EEEEENSH_IJSG_SG_SG_EEES9_SI_JZNS1_25segmented_radix_sort_implINS0_14default_configELb0EPKdPdPKlPlN2at6native12_GLOBAL__N_18offset_tEEE10hipError_tPvRmT1_PNSt15iterator_traitsIS12_E10value_typeET2_T3_PNS13_IS18_E10value_typeET4_jRbjT5_S1E_jjP12ihipStream_tbEUljE_ZNSN_ISO_Lb0ESQ_SR_ST_SU_SY_EESZ_S10_S11_S12_S16_S17_S18_S1B_S1C_jS1D_jS1E_S1E_jjS1G_bEUljE0_EEESZ_S10_S11_S18_S1C_S1E_T6_T7_T9_mT8_S1G_bDpT10_ENKUlT_T0_E_clISt17integral_constantIbLb0EES1T_IbLb1EEEEDaS1P_S1Q_EUlS1P_E_NS1_11comp_targetILNS1_3genE8ELNS1_11target_archE1030ELNS1_3gpuE2ELNS1_3repE0EEENS1_30default_config_static_selectorELNS0_4arch9wavefront6targetE0EEEvS12_.has_indirect_call, 0
	.section	.AMDGPU.csdata,"",@progbits
; Kernel info:
; codeLenInByte = 16368
; TotalNumSgprs: 57
; NumVgprs: 87
; ScratchSize: 0
; MemoryBound: 0
; FloatMode: 240
; IeeeMode: 1
; LDSByteSize: 13328 bytes/workgroup (compile time only)
; SGPRBlocks: 0
; VGPRBlocks: 10
; NumSGPRsForWavesPerEU: 57
; NumVGPRsForWavesPerEU: 87
; Occupancy: 10
; WaveLimiterHint : 1
; COMPUTE_PGM_RSRC2:SCRATCH_EN: 0
; COMPUTE_PGM_RSRC2:USER_SGPR: 6
; COMPUTE_PGM_RSRC2:TRAP_HANDLER: 0
; COMPUTE_PGM_RSRC2:TGID_X_EN: 1
; COMPUTE_PGM_RSRC2:TGID_Y_EN: 0
; COMPUTE_PGM_RSRC2:TGID_Z_EN: 0
; COMPUTE_PGM_RSRC2:TIDIG_COMP_CNT: 0
	.section	.text._ZN7rocprim17ROCPRIM_400000_NS6detail17trampoline_kernelINS0_13select_configILj256ELj13ELNS0_17block_load_methodE3ELS4_3ELS4_3ELNS0_20block_scan_algorithmE0ELj4294967295EEENS1_25partition_config_selectorILNS1_17partition_subalgoE3EjNS0_10empty_typeEbEEZZNS1_14partition_implILS8_3ELb0ES6_jNS0_17counting_iteratorIjlEEPS9_SE_NS0_5tupleIJPjSE_EEENSF_IJSE_SE_EEES9_SG_JZNS1_25segmented_radix_sort_implINS0_14default_configELb0EPKdPdPKlPlN2at6native12_GLOBAL__N_18offset_tEEE10hipError_tPvRmT1_PNSt15iterator_traitsISY_E10value_typeET2_T3_PNSZ_IS14_E10value_typeET4_jRbjT5_S1A_jjP12ihipStream_tbEUljE_EEESV_SW_SX_S14_S18_S1A_T6_T7_T9_mT8_S1C_bDpT10_ENKUlT_T0_E_clISt17integral_constantIbLb0EES1P_EEDaS1K_S1L_EUlS1K_E_NS1_11comp_targetILNS1_3genE0ELNS1_11target_archE4294967295ELNS1_3gpuE0ELNS1_3repE0EEENS1_30default_config_static_selectorELNS0_4arch9wavefront6targetE0EEEvSY_,"axG",@progbits,_ZN7rocprim17ROCPRIM_400000_NS6detail17trampoline_kernelINS0_13select_configILj256ELj13ELNS0_17block_load_methodE3ELS4_3ELS4_3ELNS0_20block_scan_algorithmE0ELj4294967295EEENS1_25partition_config_selectorILNS1_17partition_subalgoE3EjNS0_10empty_typeEbEEZZNS1_14partition_implILS8_3ELb0ES6_jNS0_17counting_iteratorIjlEEPS9_SE_NS0_5tupleIJPjSE_EEENSF_IJSE_SE_EEES9_SG_JZNS1_25segmented_radix_sort_implINS0_14default_configELb0EPKdPdPKlPlN2at6native12_GLOBAL__N_18offset_tEEE10hipError_tPvRmT1_PNSt15iterator_traitsISY_E10value_typeET2_T3_PNSZ_IS14_E10value_typeET4_jRbjT5_S1A_jjP12ihipStream_tbEUljE_EEESV_SW_SX_S14_S18_S1A_T6_T7_T9_mT8_S1C_bDpT10_ENKUlT_T0_E_clISt17integral_constantIbLb0EES1P_EEDaS1K_S1L_EUlS1K_E_NS1_11comp_targetILNS1_3genE0ELNS1_11target_archE4294967295ELNS1_3gpuE0ELNS1_3repE0EEENS1_30default_config_static_selectorELNS0_4arch9wavefront6targetE0EEEvSY_,comdat
	.globl	_ZN7rocprim17ROCPRIM_400000_NS6detail17trampoline_kernelINS0_13select_configILj256ELj13ELNS0_17block_load_methodE3ELS4_3ELS4_3ELNS0_20block_scan_algorithmE0ELj4294967295EEENS1_25partition_config_selectorILNS1_17partition_subalgoE3EjNS0_10empty_typeEbEEZZNS1_14partition_implILS8_3ELb0ES6_jNS0_17counting_iteratorIjlEEPS9_SE_NS0_5tupleIJPjSE_EEENSF_IJSE_SE_EEES9_SG_JZNS1_25segmented_radix_sort_implINS0_14default_configELb0EPKdPdPKlPlN2at6native12_GLOBAL__N_18offset_tEEE10hipError_tPvRmT1_PNSt15iterator_traitsISY_E10value_typeET2_T3_PNSZ_IS14_E10value_typeET4_jRbjT5_S1A_jjP12ihipStream_tbEUljE_EEESV_SW_SX_S14_S18_S1A_T6_T7_T9_mT8_S1C_bDpT10_ENKUlT_T0_E_clISt17integral_constantIbLb0EES1P_EEDaS1K_S1L_EUlS1K_E_NS1_11comp_targetILNS1_3genE0ELNS1_11target_archE4294967295ELNS1_3gpuE0ELNS1_3repE0EEENS1_30default_config_static_selectorELNS0_4arch9wavefront6targetE0EEEvSY_ ; -- Begin function _ZN7rocprim17ROCPRIM_400000_NS6detail17trampoline_kernelINS0_13select_configILj256ELj13ELNS0_17block_load_methodE3ELS4_3ELS4_3ELNS0_20block_scan_algorithmE0ELj4294967295EEENS1_25partition_config_selectorILNS1_17partition_subalgoE3EjNS0_10empty_typeEbEEZZNS1_14partition_implILS8_3ELb0ES6_jNS0_17counting_iteratorIjlEEPS9_SE_NS0_5tupleIJPjSE_EEENSF_IJSE_SE_EEES9_SG_JZNS1_25segmented_radix_sort_implINS0_14default_configELb0EPKdPdPKlPlN2at6native12_GLOBAL__N_18offset_tEEE10hipError_tPvRmT1_PNSt15iterator_traitsISY_E10value_typeET2_T3_PNSZ_IS14_E10value_typeET4_jRbjT5_S1A_jjP12ihipStream_tbEUljE_EEESV_SW_SX_S14_S18_S1A_T6_T7_T9_mT8_S1C_bDpT10_ENKUlT_T0_E_clISt17integral_constantIbLb0EES1P_EEDaS1K_S1L_EUlS1K_E_NS1_11comp_targetILNS1_3genE0ELNS1_11target_archE4294967295ELNS1_3gpuE0ELNS1_3repE0EEENS1_30default_config_static_selectorELNS0_4arch9wavefront6targetE0EEEvSY_
	.p2align	8
	.type	_ZN7rocprim17ROCPRIM_400000_NS6detail17trampoline_kernelINS0_13select_configILj256ELj13ELNS0_17block_load_methodE3ELS4_3ELS4_3ELNS0_20block_scan_algorithmE0ELj4294967295EEENS1_25partition_config_selectorILNS1_17partition_subalgoE3EjNS0_10empty_typeEbEEZZNS1_14partition_implILS8_3ELb0ES6_jNS0_17counting_iteratorIjlEEPS9_SE_NS0_5tupleIJPjSE_EEENSF_IJSE_SE_EEES9_SG_JZNS1_25segmented_radix_sort_implINS0_14default_configELb0EPKdPdPKlPlN2at6native12_GLOBAL__N_18offset_tEEE10hipError_tPvRmT1_PNSt15iterator_traitsISY_E10value_typeET2_T3_PNSZ_IS14_E10value_typeET4_jRbjT5_S1A_jjP12ihipStream_tbEUljE_EEESV_SW_SX_S14_S18_S1A_T6_T7_T9_mT8_S1C_bDpT10_ENKUlT_T0_E_clISt17integral_constantIbLb0EES1P_EEDaS1K_S1L_EUlS1K_E_NS1_11comp_targetILNS1_3genE0ELNS1_11target_archE4294967295ELNS1_3gpuE0ELNS1_3repE0EEENS1_30default_config_static_selectorELNS0_4arch9wavefront6targetE0EEEvSY_,@function
_ZN7rocprim17ROCPRIM_400000_NS6detail17trampoline_kernelINS0_13select_configILj256ELj13ELNS0_17block_load_methodE3ELS4_3ELS4_3ELNS0_20block_scan_algorithmE0ELj4294967295EEENS1_25partition_config_selectorILNS1_17partition_subalgoE3EjNS0_10empty_typeEbEEZZNS1_14partition_implILS8_3ELb0ES6_jNS0_17counting_iteratorIjlEEPS9_SE_NS0_5tupleIJPjSE_EEENSF_IJSE_SE_EEES9_SG_JZNS1_25segmented_radix_sort_implINS0_14default_configELb0EPKdPdPKlPlN2at6native12_GLOBAL__N_18offset_tEEE10hipError_tPvRmT1_PNSt15iterator_traitsISY_E10value_typeET2_T3_PNSZ_IS14_E10value_typeET4_jRbjT5_S1A_jjP12ihipStream_tbEUljE_EEESV_SW_SX_S14_S18_S1A_T6_T7_T9_mT8_S1C_bDpT10_ENKUlT_T0_E_clISt17integral_constantIbLb0EES1P_EEDaS1K_S1L_EUlS1K_E_NS1_11comp_targetILNS1_3genE0ELNS1_11target_archE4294967295ELNS1_3gpuE0ELNS1_3repE0EEENS1_30default_config_static_selectorELNS0_4arch9wavefront6targetE0EEEvSY_: ; @_ZN7rocprim17ROCPRIM_400000_NS6detail17trampoline_kernelINS0_13select_configILj256ELj13ELNS0_17block_load_methodE3ELS4_3ELS4_3ELNS0_20block_scan_algorithmE0ELj4294967295EEENS1_25partition_config_selectorILNS1_17partition_subalgoE3EjNS0_10empty_typeEbEEZZNS1_14partition_implILS8_3ELb0ES6_jNS0_17counting_iteratorIjlEEPS9_SE_NS0_5tupleIJPjSE_EEENSF_IJSE_SE_EEES9_SG_JZNS1_25segmented_radix_sort_implINS0_14default_configELb0EPKdPdPKlPlN2at6native12_GLOBAL__N_18offset_tEEE10hipError_tPvRmT1_PNSt15iterator_traitsISY_E10value_typeET2_T3_PNSZ_IS14_E10value_typeET4_jRbjT5_S1A_jjP12ihipStream_tbEUljE_EEESV_SW_SX_S14_S18_S1A_T6_T7_T9_mT8_S1C_bDpT10_ENKUlT_T0_E_clISt17integral_constantIbLb0EES1P_EEDaS1K_S1L_EUlS1K_E_NS1_11comp_targetILNS1_3genE0ELNS1_11target_archE4294967295ELNS1_3gpuE0ELNS1_3repE0EEENS1_30default_config_static_selectorELNS0_4arch9wavefront6targetE0EEEvSY_
; %bb.0:
	.section	.rodata,"a",@progbits
	.p2align	6, 0x0
	.amdhsa_kernel _ZN7rocprim17ROCPRIM_400000_NS6detail17trampoline_kernelINS0_13select_configILj256ELj13ELNS0_17block_load_methodE3ELS4_3ELS4_3ELNS0_20block_scan_algorithmE0ELj4294967295EEENS1_25partition_config_selectorILNS1_17partition_subalgoE3EjNS0_10empty_typeEbEEZZNS1_14partition_implILS8_3ELb0ES6_jNS0_17counting_iteratorIjlEEPS9_SE_NS0_5tupleIJPjSE_EEENSF_IJSE_SE_EEES9_SG_JZNS1_25segmented_radix_sort_implINS0_14default_configELb0EPKdPdPKlPlN2at6native12_GLOBAL__N_18offset_tEEE10hipError_tPvRmT1_PNSt15iterator_traitsISY_E10value_typeET2_T3_PNSZ_IS14_E10value_typeET4_jRbjT5_S1A_jjP12ihipStream_tbEUljE_EEESV_SW_SX_S14_S18_S1A_T6_T7_T9_mT8_S1C_bDpT10_ENKUlT_T0_E_clISt17integral_constantIbLb0EES1P_EEDaS1K_S1L_EUlS1K_E_NS1_11comp_targetILNS1_3genE0ELNS1_11target_archE4294967295ELNS1_3gpuE0ELNS1_3repE0EEENS1_30default_config_static_selectorELNS0_4arch9wavefront6targetE0EEEvSY_
		.amdhsa_group_segment_fixed_size 0
		.amdhsa_private_segment_fixed_size 0
		.amdhsa_kernarg_size 144
		.amdhsa_user_sgpr_count 6
		.amdhsa_user_sgpr_private_segment_buffer 1
		.amdhsa_user_sgpr_dispatch_ptr 0
		.amdhsa_user_sgpr_queue_ptr 0
		.amdhsa_user_sgpr_kernarg_segment_ptr 1
		.amdhsa_user_sgpr_dispatch_id 0
		.amdhsa_user_sgpr_flat_scratch_init 0
		.amdhsa_user_sgpr_private_segment_size 0
		.amdhsa_wavefront_size32 1
		.amdhsa_uses_dynamic_stack 0
		.amdhsa_system_sgpr_private_segment_wavefront_offset 0
		.amdhsa_system_sgpr_workgroup_id_x 1
		.amdhsa_system_sgpr_workgroup_id_y 0
		.amdhsa_system_sgpr_workgroup_id_z 0
		.amdhsa_system_sgpr_workgroup_info 0
		.amdhsa_system_vgpr_workitem_id 0
		.amdhsa_next_free_vgpr 1
		.amdhsa_next_free_sgpr 1
		.amdhsa_reserve_vcc 0
		.amdhsa_reserve_flat_scratch 0
		.amdhsa_float_round_mode_32 0
		.amdhsa_float_round_mode_16_64 0
		.amdhsa_float_denorm_mode_32 3
		.amdhsa_float_denorm_mode_16_64 3
		.amdhsa_dx10_clamp 1
		.amdhsa_ieee_mode 1
		.amdhsa_fp16_overflow 0
		.amdhsa_workgroup_processor_mode 1
		.amdhsa_memory_ordered 1
		.amdhsa_forward_progress 1
		.amdhsa_shared_vgpr_count 0
		.amdhsa_exception_fp_ieee_invalid_op 0
		.amdhsa_exception_fp_denorm_src 0
		.amdhsa_exception_fp_ieee_div_zero 0
		.amdhsa_exception_fp_ieee_overflow 0
		.amdhsa_exception_fp_ieee_underflow 0
		.amdhsa_exception_fp_ieee_inexact 0
		.amdhsa_exception_int_div_zero 0
	.end_amdhsa_kernel
	.section	.text._ZN7rocprim17ROCPRIM_400000_NS6detail17trampoline_kernelINS0_13select_configILj256ELj13ELNS0_17block_load_methodE3ELS4_3ELS4_3ELNS0_20block_scan_algorithmE0ELj4294967295EEENS1_25partition_config_selectorILNS1_17partition_subalgoE3EjNS0_10empty_typeEbEEZZNS1_14partition_implILS8_3ELb0ES6_jNS0_17counting_iteratorIjlEEPS9_SE_NS0_5tupleIJPjSE_EEENSF_IJSE_SE_EEES9_SG_JZNS1_25segmented_radix_sort_implINS0_14default_configELb0EPKdPdPKlPlN2at6native12_GLOBAL__N_18offset_tEEE10hipError_tPvRmT1_PNSt15iterator_traitsISY_E10value_typeET2_T3_PNSZ_IS14_E10value_typeET4_jRbjT5_S1A_jjP12ihipStream_tbEUljE_EEESV_SW_SX_S14_S18_S1A_T6_T7_T9_mT8_S1C_bDpT10_ENKUlT_T0_E_clISt17integral_constantIbLb0EES1P_EEDaS1K_S1L_EUlS1K_E_NS1_11comp_targetILNS1_3genE0ELNS1_11target_archE4294967295ELNS1_3gpuE0ELNS1_3repE0EEENS1_30default_config_static_selectorELNS0_4arch9wavefront6targetE0EEEvSY_,"axG",@progbits,_ZN7rocprim17ROCPRIM_400000_NS6detail17trampoline_kernelINS0_13select_configILj256ELj13ELNS0_17block_load_methodE3ELS4_3ELS4_3ELNS0_20block_scan_algorithmE0ELj4294967295EEENS1_25partition_config_selectorILNS1_17partition_subalgoE3EjNS0_10empty_typeEbEEZZNS1_14partition_implILS8_3ELb0ES6_jNS0_17counting_iteratorIjlEEPS9_SE_NS0_5tupleIJPjSE_EEENSF_IJSE_SE_EEES9_SG_JZNS1_25segmented_radix_sort_implINS0_14default_configELb0EPKdPdPKlPlN2at6native12_GLOBAL__N_18offset_tEEE10hipError_tPvRmT1_PNSt15iterator_traitsISY_E10value_typeET2_T3_PNSZ_IS14_E10value_typeET4_jRbjT5_S1A_jjP12ihipStream_tbEUljE_EEESV_SW_SX_S14_S18_S1A_T6_T7_T9_mT8_S1C_bDpT10_ENKUlT_T0_E_clISt17integral_constantIbLb0EES1P_EEDaS1K_S1L_EUlS1K_E_NS1_11comp_targetILNS1_3genE0ELNS1_11target_archE4294967295ELNS1_3gpuE0ELNS1_3repE0EEENS1_30default_config_static_selectorELNS0_4arch9wavefront6targetE0EEEvSY_,comdat
.Lfunc_end1181:
	.size	_ZN7rocprim17ROCPRIM_400000_NS6detail17trampoline_kernelINS0_13select_configILj256ELj13ELNS0_17block_load_methodE3ELS4_3ELS4_3ELNS0_20block_scan_algorithmE0ELj4294967295EEENS1_25partition_config_selectorILNS1_17partition_subalgoE3EjNS0_10empty_typeEbEEZZNS1_14partition_implILS8_3ELb0ES6_jNS0_17counting_iteratorIjlEEPS9_SE_NS0_5tupleIJPjSE_EEENSF_IJSE_SE_EEES9_SG_JZNS1_25segmented_radix_sort_implINS0_14default_configELb0EPKdPdPKlPlN2at6native12_GLOBAL__N_18offset_tEEE10hipError_tPvRmT1_PNSt15iterator_traitsISY_E10value_typeET2_T3_PNSZ_IS14_E10value_typeET4_jRbjT5_S1A_jjP12ihipStream_tbEUljE_EEESV_SW_SX_S14_S18_S1A_T6_T7_T9_mT8_S1C_bDpT10_ENKUlT_T0_E_clISt17integral_constantIbLb0EES1P_EEDaS1K_S1L_EUlS1K_E_NS1_11comp_targetILNS1_3genE0ELNS1_11target_archE4294967295ELNS1_3gpuE0ELNS1_3repE0EEENS1_30default_config_static_selectorELNS0_4arch9wavefront6targetE0EEEvSY_, .Lfunc_end1181-_ZN7rocprim17ROCPRIM_400000_NS6detail17trampoline_kernelINS0_13select_configILj256ELj13ELNS0_17block_load_methodE3ELS4_3ELS4_3ELNS0_20block_scan_algorithmE0ELj4294967295EEENS1_25partition_config_selectorILNS1_17partition_subalgoE3EjNS0_10empty_typeEbEEZZNS1_14partition_implILS8_3ELb0ES6_jNS0_17counting_iteratorIjlEEPS9_SE_NS0_5tupleIJPjSE_EEENSF_IJSE_SE_EEES9_SG_JZNS1_25segmented_radix_sort_implINS0_14default_configELb0EPKdPdPKlPlN2at6native12_GLOBAL__N_18offset_tEEE10hipError_tPvRmT1_PNSt15iterator_traitsISY_E10value_typeET2_T3_PNSZ_IS14_E10value_typeET4_jRbjT5_S1A_jjP12ihipStream_tbEUljE_EEESV_SW_SX_S14_S18_S1A_T6_T7_T9_mT8_S1C_bDpT10_ENKUlT_T0_E_clISt17integral_constantIbLb0EES1P_EEDaS1K_S1L_EUlS1K_E_NS1_11comp_targetILNS1_3genE0ELNS1_11target_archE4294967295ELNS1_3gpuE0ELNS1_3repE0EEENS1_30default_config_static_selectorELNS0_4arch9wavefront6targetE0EEEvSY_
                                        ; -- End function
	.set _ZN7rocprim17ROCPRIM_400000_NS6detail17trampoline_kernelINS0_13select_configILj256ELj13ELNS0_17block_load_methodE3ELS4_3ELS4_3ELNS0_20block_scan_algorithmE0ELj4294967295EEENS1_25partition_config_selectorILNS1_17partition_subalgoE3EjNS0_10empty_typeEbEEZZNS1_14partition_implILS8_3ELb0ES6_jNS0_17counting_iteratorIjlEEPS9_SE_NS0_5tupleIJPjSE_EEENSF_IJSE_SE_EEES9_SG_JZNS1_25segmented_radix_sort_implINS0_14default_configELb0EPKdPdPKlPlN2at6native12_GLOBAL__N_18offset_tEEE10hipError_tPvRmT1_PNSt15iterator_traitsISY_E10value_typeET2_T3_PNSZ_IS14_E10value_typeET4_jRbjT5_S1A_jjP12ihipStream_tbEUljE_EEESV_SW_SX_S14_S18_S1A_T6_T7_T9_mT8_S1C_bDpT10_ENKUlT_T0_E_clISt17integral_constantIbLb0EES1P_EEDaS1K_S1L_EUlS1K_E_NS1_11comp_targetILNS1_3genE0ELNS1_11target_archE4294967295ELNS1_3gpuE0ELNS1_3repE0EEENS1_30default_config_static_selectorELNS0_4arch9wavefront6targetE0EEEvSY_.num_vgpr, 0
	.set _ZN7rocprim17ROCPRIM_400000_NS6detail17trampoline_kernelINS0_13select_configILj256ELj13ELNS0_17block_load_methodE3ELS4_3ELS4_3ELNS0_20block_scan_algorithmE0ELj4294967295EEENS1_25partition_config_selectorILNS1_17partition_subalgoE3EjNS0_10empty_typeEbEEZZNS1_14partition_implILS8_3ELb0ES6_jNS0_17counting_iteratorIjlEEPS9_SE_NS0_5tupleIJPjSE_EEENSF_IJSE_SE_EEES9_SG_JZNS1_25segmented_radix_sort_implINS0_14default_configELb0EPKdPdPKlPlN2at6native12_GLOBAL__N_18offset_tEEE10hipError_tPvRmT1_PNSt15iterator_traitsISY_E10value_typeET2_T3_PNSZ_IS14_E10value_typeET4_jRbjT5_S1A_jjP12ihipStream_tbEUljE_EEESV_SW_SX_S14_S18_S1A_T6_T7_T9_mT8_S1C_bDpT10_ENKUlT_T0_E_clISt17integral_constantIbLb0EES1P_EEDaS1K_S1L_EUlS1K_E_NS1_11comp_targetILNS1_3genE0ELNS1_11target_archE4294967295ELNS1_3gpuE0ELNS1_3repE0EEENS1_30default_config_static_selectorELNS0_4arch9wavefront6targetE0EEEvSY_.num_agpr, 0
	.set _ZN7rocprim17ROCPRIM_400000_NS6detail17trampoline_kernelINS0_13select_configILj256ELj13ELNS0_17block_load_methodE3ELS4_3ELS4_3ELNS0_20block_scan_algorithmE0ELj4294967295EEENS1_25partition_config_selectorILNS1_17partition_subalgoE3EjNS0_10empty_typeEbEEZZNS1_14partition_implILS8_3ELb0ES6_jNS0_17counting_iteratorIjlEEPS9_SE_NS0_5tupleIJPjSE_EEENSF_IJSE_SE_EEES9_SG_JZNS1_25segmented_radix_sort_implINS0_14default_configELb0EPKdPdPKlPlN2at6native12_GLOBAL__N_18offset_tEEE10hipError_tPvRmT1_PNSt15iterator_traitsISY_E10value_typeET2_T3_PNSZ_IS14_E10value_typeET4_jRbjT5_S1A_jjP12ihipStream_tbEUljE_EEESV_SW_SX_S14_S18_S1A_T6_T7_T9_mT8_S1C_bDpT10_ENKUlT_T0_E_clISt17integral_constantIbLb0EES1P_EEDaS1K_S1L_EUlS1K_E_NS1_11comp_targetILNS1_3genE0ELNS1_11target_archE4294967295ELNS1_3gpuE0ELNS1_3repE0EEENS1_30default_config_static_selectorELNS0_4arch9wavefront6targetE0EEEvSY_.numbered_sgpr, 0
	.set _ZN7rocprim17ROCPRIM_400000_NS6detail17trampoline_kernelINS0_13select_configILj256ELj13ELNS0_17block_load_methodE3ELS4_3ELS4_3ELNS0_20block_scan_algorithmE0ELj4294967295EEENS1_25partition_config_selectorILNS1_17partition_subalgoE3EjNS0_10empty_typeEbEEZZNS1_14partition_implILS8_3ELb0ES6_jNS0_17counting_iteratorIjlEEPS9_SE_NS0_5tupleIJPjSE_EEENSF_IJSE_SE_EEES9_SG_JZNS1_25segmented_radix_sort_implINS0_14default_configELb0EPKdPdPKlPlN2at6native12_GLOBAL__N_18offset_tEEE10hipError_tPvRmT1_PNSt15iterator_traitsISY_E10value_typeET2_T3_PNSZ_IS14_E10value_typeET4_jRbjT5_S1A_jjP12ihipStream_tbEUljE_EEESV_SW_SX_S14_S18_S1A_T6_T7_T9_mT8_S1C_bDpT10_ENKUlT_T0_E_clISt17integral_constantIbLb0EES1P_EEDaS1K_S1L_EUlS1K_E_NS1_11comp_targetILNS1_3genE0ELNS1_11target_archE4294967295ELNS1_3gpuE0ELNS1_3repE0EEENS1_30default_config_static_selectorELNS0_4arch9wavefront6targetE0EEEvSY_.num_named_barrier, 0
	.set _ZN7rocprim17ROCPRIM_400000_NS6detail17trampoline_kernelINS0_13select_configILj256ELj13ELNS0_17block_load_methodE3ELS4_3ELS4_3ELNS0_20block_scan_algorithmE0ELj4294967295EEENS1_25partition_config_selectorILNS1_17partition_subalgoE3EjNS0_10empty_typeEbEEZZNS1_14partition_implILS8_3ELb0ES6_jNS0_17counting_iteratorIjlEEPS9_SE_NS0_5tupleIJPjSE_EEENSF_IJSE_SE_EEES9_SG_JZNS1_25segmented_radix_sort_implINS0_14default_configELb0EPKdPdPKlPlN2at6native12_GLOBAL__N_18offset_tEEE10hipError_tPvRmT1_PNSt15iterator_traitsISY_E10value_typeET2_T3_PNSZ_IS14_E10value_typeET4_jRbjT5_S1A_jjP12ihipStream_tbEUljE_EEESV_SW_SX_S14_S18_S1A_T6_T7_T9_mT8_S1C_bDpT10_ENKUlT_T0_E_clISt17integral_constantIbLb0EES1P_EEDaS1K_S1L_EUlS1K_E_NS1_11comp_targetILNS1_3genE0ELNS1_11target_archE4294967295ELNS1_3gpuE0ELNS1_3repE0EEENS1_30default_config_static_selectorELNS0_4arch9wavefront6targetE0EEEvSY_.private_seg_size, 0
	.set _ZN7rocprim17ROCPRIM_400000_NS6detail17trampoline_kernelINS0_13select_configILj256ELj13ELNS0_17block_load_methodE3ELS4_3ELS4_3ELNS0_20block_scan_algorithmE0ELj4294967295EEENS1_25partition_config_selectorILNS1_17partition_subalgoE3EjNS0_10empty_typeEbEEZZNS1_14partition_implILS8_3ELb0ES6_jNS0_17counting_iteratorIjlEEPS9_SE_NS0_5tupleIJPjSE_EEENSF_IJSE_SE_EEES9_SG_JZNS1_25segmented_radix_sort_implINS0_14default_configELb0EPKdPdPKlPlN2at6native12_GLOBAL__N_18offset_tEEE10hipError_tPvRmT1_PNSt15iterator_traitsISY_E10value_typeET2_T3_PNSZ_IS14_E10value_typeET4_jRbjT5_S1A_jjP12ihipStream_tbEUljE_EEESV_SW_SX_S14_S18_S1A_T6_T7_T9_mT8_S1C_bDpT10_ENKUlT_T0_E_clISt17integral_constantIbLb0EES1P_EEDaS1K_S1L_EUlS1K_E_NS1_11comp_targetILNS1_3genE0ELNS1_11target_archE4294967295ELNS1_3gpuE0ELNS1_3repE0EEENS1_30default_config_static_selectorELNS0_4arch9wavefront6targetE0EEEvSY_.uses_vcc, 0
	.set _ZN7rocprim17ROCPRIM_400000_NS6detail17trampoline_kernelINS0_13select_configILj256ELj13ELNS0_17block_load_methodE3ELS4_3ELS4_3ELNS0_20block_scan_algorithmE0ELj4294967295EEENS1_25partition_config_selectorILNS1_17partition_subalgoE3EjNS0_10empty_typeEbEEZZNS1_14partition_implILS8_3ELb0ES6_jNS0_17counting_iteratorIjlEEPS9_SE_NS0_5tupleIJPjSE_EEENSF_IJSE_SE_EEES9_SG_JZNS1_25segmented_radix_sort_implINS0_14default_configELb0EPKdPdPKlPlN2at6native12_GLOBAL__N_18offset_tEEE10hipError_tPvRmT1_PNSt15iterator_traitsISY_E10value_typeET2_T3_PNSZ_IS14_E10value_typeET4_jRbjT5_S1A_jjP12ihipStream_tbEUljE_EEESV_SW_SX_S14_S18_S1A_T6_T7_T9_mT8_S1C_bDpT10_ENKUlT_T0_E_clISt17integral_constantIbLb0EES1P_EEDaS1K_S1L_EUlS1K_E_NS1_11comp_targetILNS1_3genE0ELNS1_11target_archE4294967295ELNS1_3gpuE0ELNS1_3repE0EEENS1_30default_config_static_selectorELNS0_4arch9wavefront6targetE0EEEvSY_.uses_flat_scratch, 0
	.set _ZN7rocprim17ROCPRIM_400000_NS6detail17trampoline_kernelINS0_13select_configILj256ELj13ELNS0_17block_load_methodE3ELS4_3ELS4_3ELNS0_20block_scan_algorithmE0ELj4294967295EEENS1_25partition_config_selectorILNS1_17partition_subalgoE3EjNS0_10empty_typeEbEEZZNS1_14partition_implILS8_3ELb0ES6_jNS0_17counting_iteratorIjlEEPS9_SE_NS0_5tupleIJPjSE_EEENSF_IJSE_SE_EEES9_SG_JZNS1_25segmented_radix_sort_implINS0_14default_configELb0EPKdPdPKlPlN2at6native12_GLOBAL__N_18offset_tEEE10hipError_tPvRmT1_PNSt15iterator_traitsISY_E10value_typeET2_T3_PNSZ_IS14_E10value_typeET4_jRbjT5_S1A_jjP12ihipStream_tbEUljE_EEESV_SW_SX_S14_S18_S1A_T6_T7_T9_mT8_S1C_bDpT10_ENKUlT_T0_E_clISt17integral_constantIbLb0EES1P_EEDaS1K_S1L_EUlS1K_E_NS1_11comp_targetILNS1_3genE0ELNS1_11target_archE4294967295ELNS1_3gpuE0ELNS1_3repE0EEENS1_30default_config_static_selectorELNS0_4arch9wavefront6targetE0EEEvSY_.has_dyn_sized_stack, 0
	.set _ZN7rocprim17ROCPRIM_400000_NS6detail17trampoline_kernelINS0_13select_configILj256ELj13ELNS0_17block_load_methodE3ELS4_3ELS4_3ELNS0_20block_scan_algorithmE0ELj4294967295EEENS1_25partition_config_selectorILNS1_17partition_subalgoE3EjNS0_10empty_typeEbEEZZNS1_14partition_implILS8_3ELb0ES6_jNS0_17counting_iteratorIjlEEPS9_SE_NS0_5tupleIJPjSE_EEENSF_IJSE_SE_EEES9_SG_JZNS1_25segmented_radix_sort_implINS0_14default_configELb0EPKdPdPKlPlN2at6native12_GLOBAL__N_18offset_tEEE10hipError_tPvRmT1_PNSt15iterator_traitsISY_E10value_typeET2_T3_PNSZ_IS14_E10value_typeET4_jRbjT5_S1A_jjP12ihipStream_tbEUljE_EEESV_SW_SX_S14_S18_S1A_T6_T7_T9_mT8_S1C_bDpT10_ENKUlT_T0_E_clISt17integral_constantIbLb0EES1P_EEDaS1K_S1L_EUlS1K_E_NS1_11comp_targetILNS1_3genE0ELNS1_11target_archE4294967295ELNS1_3gpuE0ELNS1_3repE0EEENS1_30default_config_static_selectorELNS0_4arch9wavefront6targetE0EEEvSY_.has_recursion, 0
	.set _ZN7rocprim17ROCPRIM_400000_NS6detail17trampoline_kernelINS0_13select_configILj256ELj13ELNS0_17block_load_methodE3ELS4_3ELS4_3ELNS0_20block_scan_algorithmE0ELj4294967295EEENS1_25partition_config_selectorILNS1_17partition_subalgoE3EjNS0_10empty_typeEbEEZZNS1_14partition_implILS8_3ELb0ES6_jNS0_17counting_iteratorIjlEEPS9_SE_NS0_5tupleIJPjSE_EEENSF_IJSE_SE_EEES9_SG_JZNS1_25segmented_radix_sort_implINS0_14default_configELb0EPKdPdPKlPlN2at6native12_GLOBAL__N_18offset_tEEE10hipError_tPvRmT1_PNSt15iterator_traitsISY_E10value_typeET2_T3_PNSZ_IS14_E10value_typeET4_jRbjT5_S1A_jjP12ihipStream_tbEUljE_EEESV_SW_SX_S14_S18_S1A_T6_T7_T9_mT8_S1C_bDpT10_ENKUlT_T0_E_clISt17integral_constantIbLb0EES1P_EEDaS1K_S1L_EUlS1K_E_NS1_11comp_targetILNS1_3genE0ELNS1_11target_archE4294967295ELNS1_3gpuE0ELNS1_3repE0EEENS1_30default_config_static_selectorELNS0_4arch9wavefront6targetE0EEEvSY_.has_indirect_call, 0
	.section	.AMDGPU.csdata,"",@progbits
; Kernel info:
; codeLenInByte = 0
; TotalNumSgprs: 0
; NumVgprs: 0
; ScratchSize: 0
; MemoryBound: 0
; FloatMode: 240
; IeeeMode: 1
; LDSByteSize: 0 bytes/workgroup (compile time only)
; SGPRBlocks: 0
; VGPRBlocks: 0
; NumSGPRsForWavesPerEU: 1
; NumVGPRsForWavesPerEU: 1
; Occupancy: 16
; WaveLimiterHint : 0
; COMPUTE_PGM_RSRC2:SCRATCH_EN: 0
; COMPUTE_PGM_RSRC2:USER_SGPR: 6
; COMPUTE_PGM_RSRC2:TRAP_HANDLER: 0
; COMPUTE_PGM_RSRC2:TGID_X_EN: 1
; COMPUTE_PGM_RSRC2:TGID_Y_EN: 0
; COMPUTE_PGM_RSRC2:TGID_Z_EN: 0
; COMPUTE_PGM_RSRC2:TIDIG_COMP_CNT: 0
	.section	.text._ZN7rocprim17ROCPRIM_400000_NS6detail17trampoline_kernelINS0_13select_configILj256ELj13ELNS0_17block_load_methodE3ELS4_3ELS4_3ELNS0_20block_scan_algorithmE0ELj4294967295EEENS1_25partition_config_selectorILNS1_17partition_subalgoE3EjNS0_10empty_typeEbEEZZNS1_14partition_implILS8_3ELb0ES6_jNS0_17counting_iteratorIjlEEPS9_SE_NS0_5tupleIJPjSE_EEENSF_IJSE_SE_EEES9_SG_JZNS1_25segmented_radix_sort_implINS0_14default_configELb0EPKdPdPKlPlN2at6native12_GLOBAL__N_18offset_tEEE10hipError_tPvRmT1_PNSt15iterator_traitsISY_E10value_typeET2_T3_PNSZ_IS14_E10value_typeET4_jRbjT5_S1A_jjP12ihipStream_tbEUljE_EEESV_SW_SX_S14_S18_S1A_T6_T7_T9_mT8_S1C_bDpT10_ENKUlT_T0_E_clISt17integral_constantIbLb0EES1P_EEDaS1K_S1L_EUlS1K_E_NS1_11comp_targetILNS1_3genE5ELNS1_11target_archE942ELNS1_3gpuE9ELNS1_3repE0EEENS1_30default_config_static_selectorELNS0_4arch9wavefront6targetE0EEEvSY_,"axG",@progbits,_ZN7rocprim17ROCPRIM_400000_NS6detail17trampoline_kernelINS0_13select_configILj256ELj13ELNS0_17block_load_methodE3ELS4_3ELS4_3ELNS0_20block_scan_algorithmE0ELj4294967295EEENS1_25partition_config_selectorILNS1_17partition_subalgoE3EjNS0_10empty_typeEbEEZZNS1_14partition_implILS8_3ELb0ES6_jNS0_17counting_iteratorIjlEEPS9_SE_NS0_5tupleIJPjSE_EEENSF_IJSE_SE_EEES9_SG_JZNS1_25segmented_radix_sort_implINS0_14default_configELb0EPKdPdPKlPlN2at6native12_GLOBAL__N_18offset_tEEE10hipError_tPvRmT1_PNSt15iterator_traitsISY_E10value_typeET2_T3_PNSZ_IS14_E10value_typeET4_jRbjT5_S1A_jjP12ihipStream_tbEUljE_EEESV_SW_SX_S14_S18_S1A_T6_T7_T9_mT8_S1C_bDpT10_ENKUlT_T0_E_clISt17integral_constantIbLb0EES1P_EEDaS1K_S1L_EUlS1K_E_NS1_11comp_targetILNS1_3genE5ELNS1_11target_archE942ELNS1_3gpuE9ELNS1_3repE0EEENS1_30default_config_static_selectorELNS0_4arch9wavefront6targetE0EEEvSY_,comdat
	.globl	_ZN7rocprim17ROCPRIM_400000_NS6detail17trampoline_kernelINS0_13select_configILj256ELj13ELNS0_17block_load_methodE3ELS4_3ELS4_3ELNS0_20block_scan_algorithmE0ELj4294967295EEENS1_25partition_config_selectorILNS1_17partition_subalgoE3EjNS0_10empty_typeEbEEZZNS1_14partition_implILS8_3ELb0ES6_jNS0_17counting_iteratorIjlEEPS9_SE_NS0_5tupleIJPjSE_EEENSF_IJSE_SE_EEES9_SG_JZNS1_25segmented_radix_sort_implINS0_14default_configELb0EPKdPdPKlPlN2at6native12_GLOBAL__N_18offset_tEEE10hipError_tPvRmT1_PNSt15iterator_traitsISY_E10value_typeET2_T3_PNSZ_IS14_E10value_typeET4_jRbjT5_S1A_jjP12ihipStream_tbEUljE_EEESV_SW_SX_S14_S18_S1A_T6_T7_T9_mT8_S1C_bDpT10_ENKUlT_T0_E_clISt17integral_constantIbLb0EES1P_EEDaS1K_S1L_EUlS1K_E_NS1_11comp_targetILNS1_3genE5ELNS1_11target_archE942ELNS1_3gpuE9ELNS1_3repE0EEENS1_30default_config_static_selectorELNS0_4arch9wavefront6targetE0EEEvSY_ ; -- Begin function _ZN7rocprim17ROCPRIM_400000_NS6detail17trampoline_kernelINS0_13select_configILj256ELj13ELNS0_17block_load_methodE3ELS4_3ELS4_3ELNS0_20block_scan_algorithmE0ELj4294967295EEENS1_25partition_config_selectorILNS1_17partition_subalgoE3EjNS0_10empty_typeEbEEZZNS1_14partition_implILS8_3ELb0ES6_jNS0_17counting_iteratorIjlEEPS9_SE_NS0_5tupleIJPjSE_EEENSF_IJSE_SE_EEES9_SG_JZNS1_25segmented_radix_sort_implINS0_14default_configELb0EPKdPdPKlPlN2at6native12_GLOBAL__N_18offset_tEEE10hipError_tPvRmT1_PNSt15iterator_traitsISY_E10value_typeET2_T3_PNSZ_IS14_E10value_typeET4_jRbjT5_S1A_jjP12ihipStream_tbEUljE_EEESV_SW_SX_S14_S18_S1A_T6_T7_T9_mT8_S1C_bDpT10_ENKUlT_T0_E_clISt17integral_constantIbLb0EES1P_EEDaS1K_S1L_EUlS1K_E_NS1_11comp_targetILNS1_3genE5ELNS1_11target_archE942ELNS1_3gpuE9ELNS1_3repE0EEENS1_30default_config_static_selectorELNS0_4arch9wavefront6targetE0EEEvSY_
	.p2align	8
	.type	_ZN7rocprim17ROCPRIM_400000_NS6detail17trampoline_kernelINS0_13select_configILj256ELj13ELNS0_17block_load_methodE3ELS4_3ELS4_3ELNS0_20block_scan_algorithmE0ELj4294967295EEENS1_25partition_config_selectorILNS1_17partition_subalgoE3EjNS0_10empty_typeEbEEZZNS1_14partition_implILS8_3ELb0ES6_jNS0_17counting_iteratorIjlEEPS9_SE_NS0_5tupleIJPjSE_EEENSF_IJSE_SE_EEES9_SG_JZNS1_25segmented_radix_sort_implINS0_14default_configELb0EPKdPdPKlPlN2at6native12_GLOBAL__N_18offset_tEEE10hipError_tPvRmT1_PNSt15iterator_traitsISY_E10value_typeET2_T3_PNSZ_IS14_E10value_typeET4_jRbjT5_S1A_jjP12ihipStream_tbEUljE_EEESV_SW_SX_S14_S18_S1A_T6_T7_T9_mT8_S1C_bDpT10_ENKUlT_T0_E_clISt17integral_constantIbLb0EES1P_EEDaS1K_S1L_EUlS1K_E_NS1_11comp_targetILNS1_3genE5ELNS1_11target_archE942ELNS1_3gpuE9ELNS1_3repE0EEENS1_30default_config_static_selectorELNS0_4arch9wavefront6targetE0EEEvSY_,@function
_ZN7rocprim17ROCPRIM_400000_NS6detail17trampoline_kernelINS0_13select_configILj256ELj13ELNS0_17block_load_methodE3ELS4_3ELS4_3ELNS0_20block_scan_algorithmE0ELj4294967295EEENS1_25partition_config_selectorILNS1_17partition_subalgoE3EjNS0_10empty_typeEbEEZZNS1_14partition_implILS8_3ELb0ES6_jNS0_17counting_iteratorIjlEEPS9_SE_NS0_5tupleIJPjSE_EEENSF_IJSE_SE_EEES9_SG_JZNS1_25segmented_radix_sort_implINS0_14default_configELb0EPKdPdPKlPlN2at6native12_GLOBAL__N_18offset_tEEE10hipError_tPvRmT1_PNSt15iterator_traitsISY_E10value_typeET2_T3_PNSZ_IS14_E10value_typeET4_jRbjT5_S1A_jjP12ihipStream_tbEUljE_EEESV_SW_SX_S14_S18_S1A_T6_T7_T9_mT8_S1C_bDpT10_ENKUlT_T0_E_clISt17integral_constantIbLb0EES1P_EEDaS1K_S1L_EUlS1K_E_NS1_11comp_targetILNS1_3genE5ELNS1_11target_archE942ELNS1_3gpuE9ELNS1_3repE0EEENS1_30default_config_static_selectorELNS0_4arch9wavefront6targetE0EEEvSY_: ; @_ZN7rocprim17ROCPRIM_400000_NS6detail17trampoline_kernelINS0_13select_configILj256ELj13ELNS0_17block_load_methodE3ELS4_3ELS4_3ELNS0_20block_scan_algorithmE0ELj4294967295EEENS1_25partition_config_selectorILNS1_17partition_subalgoE3EjNS0_10empty_typeEbEEZZNS1_14partition_implILS8_3ELb0ES6_jNS0_17counting_iteratorIjlEEPS9_SE_NS0_5tupleIJPjSE_EEENSF_IJSE_SE_EEES9_SG_JZNS1_25segmented_radix_sort_implINS0_14default_configELb0EPKdPdPKlPlN2at6native12_GLOBAL__N_18offset_tEEE10hipError_tPvRmT1_PNSt15iterator_traitsISY_E10value_typeET2_T3_PNSZ_IS14_E10value_typeET4_jRbjT5_S1A_jjP12ihipStream_tbEUljE_EEESV_SW_SX_S14_S18_S1A_T6_T7_T9_mT8_S1C_bDpT10_ENKUlT_T0_E_clISt17integral_constantIbLb0EES1P_EEDaS1K_S1L_EUlS1K_E_NS1_11comp_targetILNS1_3genE5ELNS1_11target_archE942ELNS1_3gpuE9ELNS1_3repE0EEENS1_30default_config_static_selectorELNS0_4arch9wavefront6targetE0EEEvSY_
; %bb.0:
	.section	.rodata,"a",@progbits
	.p2align	6, 0x0
	.amdhsa_kernel _ZN7rocprim17ROCPRIM_400000_NS6detail17trampoline_kernelINS0_13select_configILj256ELj13ELNS0_17block_load_methodE3ELS4_3ELS4_3ELNS0_20block_scan_algorithmE0ELj4294967295EEENS1_25partition_config_selectorILNS1_17partition_subalgoE3EjNS0_10empty_typeEbEEZZNS1_14partition_implILS8_3ELb0ES6_jNS0_17counting_iteratorIjlEEPS9_SE_NS0_5tupleIJPjSE_EEENSF_IJSE_SE_EEES9_SG_JZNS1_25segmented_radix_sort_implINS0_14default_configELb0EPKdPdPKlPlN2at6native12_GLOBAL__N_18offset_tEEE10hipError_tPvRmT1_PNSt15iterator_traitsISY_E10value_typeET2_T3_PNSZ_IS14_E10value_typeET4_jRbjT5_S1A_jjP12ihipStream_tbEUljE_EEESV_SW_SX_S14_S18_S1A_T6_T7_T9_mT8_S1C_bDpT10_ENKUlT_T0_E_clISt17integral_constantIbLb0EES1P_EEDaS1K_S1L_EUlS1K_E_NS1_11comp_targetILNS1_3genE5ELNS1_11target_archE942ELNS1_3gpuE9ELNS1_3repE0EEENS1_30default_config_static_selectorELNS0_4arch9wavefront6targetE0EEEvSY_
		.amdhsa_group_segment_fixed_size 0
		.amdhsa_private_segment_fixed_size 0
		.amdhsa_kernarg_size 144
		.amdhsa_user_sgpr_count 6
		.amdhsa_user_sgpr_private_segment_buffer 1
		.amdhsa_user_sgpr_dispatch_ptr 0
		.amdhsa_user_sgpr_queue_ptr 0
		.amdhsa_user_sgpr_kernarg_segment_ptr 1
		.amdhsa_user_sgpr_dispatch_id 0
		.amdhsa_user_sgpr_flat_scratch_init 0
		.amdhsa_user_sgpr_private_segment_size 0
		.amdhsa_wavefront_size32 1
		.amdhsa_uses_dynamic_stack 0
		.amdhsa_system_sgpr_private_segment_wavefront_offset 0
		.amdhsa_system_sgpr_workgroup_id_x 1
		.amdhsa_system_sgpr_workgroup_id_y 0
		.amdhsa_system_sgpr_workgroup_id_z 0
		.amdhsa_system_sgpr_workgroup_info 0
		.amdhsa_system_vgpr_workitem_id 0
		.amdhsa_next_free_vgpr 1
		.amdhsa_next_free_sgpr 1
		.amdhsa_reserve_vcc 0
		.amdhsa_reserve_flat_scratch 0
		.amdhsa_float_round_mode_32 0
		.amdhsa_float_round_mode_16_64 0
		.amdhsa_float_denorm_mode_32 3
		.amdhsa_float_denorm_mode_16_64 3
		.amdhsa_dx10_clamp 1
		.amdhsa_ieee_mode 1
		.amdhsa_fp16_overflow 0
		.amdhsa_workgroup_processor_mode 1
		.amdhsa_memory_ordered 1
		.amdhsa_forward_progress 1
		.amdhsa_shared_vgpr_count 0
		.amdhsa_exception_fp_ieee_invalid_op 0
		.amdhsa_exception_fp_denorm_src 0
		.amdhsa_exception_fp_ieee_div_zero 0
		.amdhsa_exception_fp_ieee_overflow 0
		.amdhsa_exception_fp_ieee_underflow 0
		.amdhsa_exception_fp_ieee_inexact 0
		.amdhsa_exception_int_div_zero 0
	.end_amdhsa_kernel
	.section	.text._ZN7rocprim17ROCPRIM_400000_NS6detail17trampoline_kernelINS0_13select_configILj256ELj13ELNS0_17block_load_methodE3ELS4_3ELS4_3ELNS0_20block_scan_algorithmE0ELj4294967295EEENS1_25partition_config_selectorILNS1_17partition_subalgoE3EjNS0_10empty_typeEbEEZZNS1_14partition_implILS8_3ELb0ES6_jNS0_17counting_iteratorIjlEEPS9_SE_NS0_5tupleIJPjSE_EEENSF_IJSE_SE_EEES9_SG_JZNS1_25segmented_radix_sort_implINS0_14default_configELb0EPKdPdPKlPlN2at6native12_GLOBAL__N_18offset_tEEE10hipError_tPvRmT1_PNSt15iterator_traitsISY_E10value_typeET2_T3_PNSZ_IS14_E10value_typeET4_jRbjT5_S1A_jjP12ihipStream_tbEUljE_EEESV_SW_SX_S14_S18_S1A_T6_T7_T9_mT8_S1C_bDpT10_ENKUlT_T0_E_clISt17integral_constantIbLb0EES1P_EEDaS1K_S1L_EUlS1K_E_NS1_11comp_targetILNS1_3genE5ELNS1_11target_archE942ELNS1_3gpuE9ELNS1_3repE0EEENS1_30default_config_static_selectorELNS0_4arch9wavefront6targetE0EEEvSY_,"axG",@progbits,_ZN7rocprim17ROCPRIM_400000_NS6detail17trampoline_kernelINS0_13select_configILj256ELj13ELNS0_17block_load_methodE3ELS4_3ELS4_3ELNS0_20block_scan_algorithmE0ELj4294967295EEENS1_25partition_config_selectorILNS1_17partition_subalgoE3EjNS0_10empty_typeEbEEZZNS1_14partition_implILS8_3ELb0ES6_jNS0_17counting_iteratorIjlEEPS9_SE_NS0_5tupleIJPjSE_EEENSF_IJSE_SE_EEES9_SG_JZNS1_25segmented_radix_sort_implINS0_14default_configELb0EPKdPdPKlPlN2at6native12_GLOBAL__N_18offset_tEEE10hipError_tPvRmT1_PNSt15iterator_traitsISY_E10value_typeET2_T3_PNSZ_IS14_E10value_typeET4_jRbjT5_S1A_jjP12ihipStream_tbEUljE_EEESV_SW_SX_S14_S18_S1A_T6_T7_T9_mT8_S1C_bDpT10_ENKUlT_T0_E_clISt17integral_constantIbLb0EES1P_EEDaS1K_S1L_EUlS1K_E_NS1_11comp_targetILNS1_3genE5ELNS1_11target_archE942ELNS1_3gpuE9ELNS1_3repE0EEENS1_30default_config_static_selectorELNS0_4arch9wavefront6targetE0EEEvSY_,comdat
.Lfunc_end1182:
	.size	_ZN7rocprim17ROCPRIM_400000_NS6detail17trampoline_kernelINS0_13select_configILj256ELj13ELNS0_17block_load_methodE3ELS4_3ELS4_3ELNS0_20block_scan_algorithmE0ELj4294967295EEENS1_25partition_config_selectorILNS1_17partition_subalgoE3EjNS0_10empty_typeEbEEZZNS1_14partition_implILS8_3ELb0ES6_jNS0_17counting_iteratorIjlEEPS9_SE_NS0_5tupleIJPjSE_EEENSF_IJSE_SE_EEES9_SG_JZNS1_25segmented_radix_sort_implINS0_14default_configELb0EPKdPdPKlPlN2at6native12_GLOBAL__N_18offset_tEEE10hipError_tPvRmT1_PNSt15iterator_traitsISY_E10value_typeET2_T3_PNSZ_IS14_E10value_typeET4_jRbjT5_S1A_jjP12ihipStream_tbEUljE_EEESV_SW_SX_S14_S18_S1A_T6_T7_T9_mT8_S1C_bDpT10_ENKUlT_T0_E_clISt17integral_constantIbLb0EES1P_EEDaS1K_S1L_EUlS1K_E_NS1_11comp_targetILNS1_3genE5ELNS1_11target_archE942ELNS1_3gpuE9ELNS1_3repE0EEENS1_30default_config_static_selectorELNS0_4arch9wavefront6targetE0EEEvSY_, .Lfunc_end1182-_ZN7rocprim17ROCPRIM_400000_NS6detail17trampoline_kernelINS0_13select_configILj256ELj13ELNS0_17block_load_methodE3ELS4_3ELS4_3ELNS0_20block_scan_algorithmE0ELj4294967295EEENS1_25partition_config_selectorILNS1_17partition_subalgoE3EjNS0_10empty_typeEbEEZZNS1_14partition_implILS8_3ELb0ES6_jNS0_17counting_iteratorIjlEEPS9_SE_NS0_5tupleIJPjSE_EEENSF_IJSE_SE_EEES9_SG_JZNS1_25segmented_radix_sort_implINS0_14default_configELb0EPKdPdPKlPlN2at6native12_GLOBAL__N_18offset_tEEE10hipError_tPvRmT1_PNSt15iterator_traitsISY_E10value_typeET2_T3_PNSZ_IS14_E10value_typeET4_jRbjT5_S1A_jjP12ihipStream_tbEUljE_EEESV_SW_SX_S14_S18_S1A_T6_T7_T9_mT8_S1C_bDpT10_ENKUlT_T0_E_clISt17integral_constantIbLb0EES1P_EEDaS1K_S1L_EUlS1K_E_NS1_11comp_targetILNS1_3genE5ELNS1_11target_archE942ELNS1_3gpuE9ELNS1_3repE0EEENS1_30default_config_static_selectorELNS0_4arch9wavefront6targetE0EEEvSY_
                                        ; -- End function
	.set _ZN7rocprim17ROCPRIM_400000_NS6detail17trampoline_kernelINS0_13select_configILj256ELj13ELNS0_17block_load_methodE3ELS4_3ELS4_3ELNS0_20block_scan_algorithmE0ELj4294967295EEENS1_25partition_config_selectorILNS1_17partition_subalgoE3EjNS0_10empty_typeEbEEZZNS1_14partition_implILS8_3ELb0ES6_jNS0_17counting_iteratorIjlEEPS9_SE_NS0_5tupleIJPjSE_EEENSF_IJSE_SE_EEES9_SG_JZNS1_25segmented_radix_sort_implINS0_14default_configELb0EPKdPdPKlPlN2at6native12_GLOBAL__N_18offset_tEEE10hipError_tPvRmT1_PNSt15iterator_traitsISY_E10value_typeET2_T3_PNSZ_IS14_E10value_typeET4_jRbjT5_S1A_jjP12ihipStream_tbEUljE_EEESV_SW_SX_S14_S18_S1A_T6_T7_T9_mT8_S1C_bDpT10_ENKUlT_T0_E_clISt17integral_constantIbLb0EES1P_EEDaS1K_S1L_EUlS1K_E_NS1_11comp_targetILNS1_3genE5ELNS1_11target_archE942ELNS1_3gpuE9ELNS1_3repE0EEENS1_30default_config_static_selectorELNS0_4arch9wavefront6targetE0EEEvSY_.num_vgpr, 0
	.set _ZN7rocprim17ROCPRIM_400000_NS6detail17trampoline_kernelINS0_13select_configILj256ELj13ELNS0_17block_load_methodE3ELS4_3ELS4_3ELNS0_20block_scan_algorithmE0ELj4294967295EEENS1_25partition_config_selectorILNS1_17partition_subalgoE3EjNS0_10empty_typeEbEEZZNS1_14partition_implILS8_3ELb0ES6_jNS0_17counting_iteratorIjlEEPS9_SE_NS0_5tupleIJPjSE_EEENSF_IJSE_SE_EEES9_SG_JZNS1_25segmented_radix_sort_implINS0_14default_configELb0EPKdPdPKlPlN2at6native12_GLOBAL__N_18offset_tEEE10hipError_tPvRmT1_PNSt15iterator_traitsISY_E10value_typeET2_T3_PNSZ_IS14_E10value_typeET4_jRbjT5_S1A_jjP12ihipStream_tbEUljE_EEESV_SW_SX_S14_S18_S1A_T6_T7_T9_mT8_S1C_bDpT10_ENKUlT_T0_E_clISt17integral_constantIbLb0EES1P_EEDaS1K_S1L_EUlS1K_E_NS1_11comp_targetILNS1_3genE5ELNS1_11target_archE942ELNS1_3gpuE9ELNS1_3repE0EEENS1_30default_config_static_selectorELNS0_4arch9wavefront6targetE0EEEvSY_.num_agpr, 0
	.set _ZN7rocprim17ROCPRIM_400000_NS6detail17trampoline_kernelINS0_13select_configILj256ELj13ELNS0_17block_load_methodE3ELS4_3ELS4_3ELNS0_20block_scan_algorithmE0ELj4294967295EEENS1_25partition_config_selectorILNS1_17partition_subalgoE3EjNS0_10empty_typeEbEEZZNS1_14partition_implILS8_3ELb0ES6_jNS0_17counting_iteratorIjlEEPS9_SE_NS0_5tupleIJPjSE_EEENSF_IJSE_SE_EEES9_SG_JZNS1_25segmented_radix_sort_implINS0_14default_configELb0EPKdPdPKlPlN2at6native12_GLOBAL__N_18offset_tEEE10hipError_tPvRmT1_PNSt15iterator_traitsISY_E10value_typeET2_T3_PNSZ_IS14_E10value_typeET4_jRbjT5_S1A_jjP12ihipStream_tbEUljE_EEESV_SW_SX_S14_S18_S1A_T6_T7_T9_mT8_S1C_bDpT10_ENKUlT_T0_E_clISt17integral_constantIbLb0EES1P_EEDaS1K_S1L_EUlS1K_E_NS1_11comp_targetILNS1_3genE5ELNS1_11target_archE942ELNS1_3gpuE9ELNS1_3repE0EEENS1_30default_config_static_selectorELNS0_4arch9wavefront6targetE0EEEvSY_.numbered_sgpr, 0
	.set _ZN7rocprim17ROCPRIM_400000_NS6detail17trampoline_kernelINS0_13select_configILj256ELj13ELNS0_17block_load_methodE3ELS4_3ELS4_3ELNS0_20block_scan_algorithmE0ELj4294967295EEENS1_25partition_config_selectorILNS1_17partition_subalgoE3EjNS0_10empty_typeEbEEZZNS1_14partition_implILS8_3ELb0ES6_jNS0_17counting_iteratorIjlEEPS9_SE_NS0_5tupleIJPjSE_EEENSF_IJSE_SE_EEES9_SG_JZNS1_25segmented_radix_sort_implINS0_14default_configELb0EPKdPdPKlPlN2at6native12_GLOBAL__N_18offset_tEEE10hipError_tPvRmT1_PNSt15iterator_traitsISY_E10value_typeET2_T3_PNSZ_IS14_E10value_typeET4_jRbjT5_S1A_jjP12ihipStream_tbEUljE_EEESV_SW_SX_S14_S18_S1A_T6_T7_T9_mT8_S1C_bDpT10_ENKUlT_T0_E_clISt17integral_constantIbLb0EES1P_EEDaS1K_S1L_EUlS1K_E_NS1_11comp_targetILNS1_3genE5ELNS1_11target_archE942ELNS1_3gpuE9ELNS1_3repE0EEENS1_30default_config_static_selectorELNS0_4arch9wavefront6targetE0EEEvSY_.num_named_barrier, 0
	.set _ZN7rocprim17ROCPRIM_400000_NS6detail17trampoline_kernelINS0_13select_configILj256ELj13ELNS0_17block_load_methodE3ELS4_3ELS4_3ELNS0_20block_scan_algorithmE0ELj4294967295EEENS1_25partition_config_selectorILNS1_17partition_subalgoE3EjNS0_10empty_typeEbEEZZNS1_14partition_implILS8_3ELb0ES6_jNS0_17counting_iteratorIjlEEPS9_SE_NS0_5tupleIJPjSE_EEENSF_IJSE_SE_EEES9_SG_JZNS1_25segmented_radix_sort_implINS0_14default_configELb0EPKdPdPKlPlN2at6native12_GLOBAL__N_18offset_tEEE10hipError_tPvRmT1_PNSt15iterator_traitsISY_E10value_typeET2_T3_PNSZ_IS14_E10value_typeET4_jRbjT5_S1A_jjP12ihipStream_tbEUljE_EEESV_SW_SX_S14_S18_S1A_T6_T7_T9_mT8_S1C_bDpT10_ENKUlT_T0_E_clISt17integral_constantIbLb0EES1P_EEDaS1K_S1L_EUlS1K_E_NS1_11comp_targetILNS1_3genE5ELNS1_11target_archE942ELNS1_3gpuE9ELNS1_3repE0EEENS1_30default_config_static_selectorELNS0_4arch9wavefront6targetE0EEEvSY_.private_seg_size, 0
	.set _ZN7rocprim17ROCPRIM_400000_NS6detail17trampoline_kernelINS0_13select_configILj256ELj13ELNS0_17block_load_methodE3ELS4_3ELS4_3ELNS0_20block_scan_algorithmE0ELj4294967295EEENS1_25partition_config_selectorILNS1_17partition_subalgoE3EjNS0_10empty_typeEbEEZZNS1_14partition_implILS8_3ELb0ES6_jNS0_17counting_iteratorIjlEEPS9_SE_NS0_5tupleIJPjSE_EEENSF_IJSE_SE_EEES9_SG_JZNS1_25segmented_radix_sort_implINS0_14default_configELb0EPKdPdPKlPlN2at6native12_GLOBAL__N_18offset_tEEE10hipError_tPvRmT1_PNSt15iterator_traitsISY_E10value_typeET2_T3_PNSZ_IS14_E10value_typeET4_jRbjT5_S1A_jjP12ihipStream_tbEUljE_EEESV_SW_SX_S14_S18_S1A_T6_T7_T9_mT8_S1C_bDpT10_ENKUlT_T0_E_clISt17integral_constantIbLb0EES1P_EEDaS1K_S1L_EUlS1K_E_NS1_11comp_targetILNS1_3genE5ELNS1_11target_archE942ELNS1_3gpuE9ELNS1_3repE0EEENS1_30default_config_static_selectorELNS0_4arch9wavefront6targetE0EEEvSY_.uses_vcc, 0
	.set _ZN7rocprim17ROCPRIM_400000_NS6detail17trampoline_kernelINS0_13select_configILj256ELj13ELNS0_17block_load_methodE3ELS4_3ELS4_3ELNS0_20block_scan_algorithmE0ELj4294967295EEENS1_25partition_config_selectorILNS1_17partition_subalgoE3EjNS0_10empty_typeEbEEZZNS1_14partition_implILS8_3ELb0ES6_jNS0_17counting_iteratorIjlEEPS9_SE_NS0_5tupleIJPjSE_EEENSF_IJSE_SE_EEES9_SG_JZNS1_25segmented_radix_sort_implINS0_14default_configELb0EPKdPdPKlPlN2at6native12_GLOBAL__N_18offset_tEEE10hipError_tPvRmT1_PNSt15iterator_traitsISY_E10value_typeET2_T3_PNSZ_IS14_E10value_typeET4_jRbjT5_S1A_jjP12ihipStream_tbEUljE_EEESV_SW_SX_S14_S18_S1A_T6_T7_T9_mT8_S1C_bDpT10_ENKUlT_T0_E_clISt17integral_constantIbLb0EES1P_EEDaS1K_S1L_EUlS1K_E_NS1_11comp_targetILNS1_3genE5ELNS1_11target_archE942ELNS1_3gpuE9ELNS1_3repE0EEENS1_30default_config_static_selectorELNS0_4arch9wavefront6targetE0EEEvSY_.uses_flat_scratch, 0
	.set _ZN7rocprim17ROCPRIM_400000_NS6detail17trampoline_kernelINS0_13select_configILj256ELj13ELNS0_17block_load_methodE3ELS4_3ELS4_3ELNS0_20block_scan_algorithmE0ELj4294967295EEENS1_25partition_config_selectorILNS1_17partition_subalgoE3EjNS0_10empty_typeEbEEZZNS1_14partition_implILS8_3ELb0ES6_jNS0_17counting_iteratorIjlEEPS9_SE_NS0_5tupleIJPjSE_EEENSF_IJSE_SE_EEES9_SG_JZNS1_25segmented_radix_sort_implINS0_14default_configELb0EPKdPdPKlPlN2at6native12_GLOBAL__N_18offset_tEEE10hipError_tPvRmT1_PNSt15iterator_traitsISY_E10value_typeET2_T3_PNSZ_IS14_E10value_typeET4_jRbjT5_S1A_jjP12ihipStream_tbEUljE_EEESV_SW_SX_S14_S18_S1A_T6_T7_T9_mT8_S1C_bDpT10_ENKUlT_T0_E_clISt17integral_constantIbLb0EES1P_EEDaS1K_S1L_EUlS1K_E_NS1_11comp_targetILNS1_3genE5ELNS1_11target_archE942ELNS1_3gpuE9ELNS1_3repE0EEENS1_30default_config_static_selectorELNS0_4arch9wavefront6targetE0EEEvSY_.has_dyn_sized_stack, 0
	.set _ZN7rocprim17ROCPRIM_400000_NS6detail17trampoline_kernelINS0_13select_configILj256ELj13ELNS0_17block_load_methodE3ELS4_3ELS4_3ELNS0_20block_scan_algorithmE0ELj4294967295EEENS1_25partition_config_selectorILNS1_17partition_subalgoE3EjNS0_10empty_typeEbEEZZNS1_14partition_implILS8_3ELb0ES6_jNS0_17counting_iteratorIjlEEPS9_SE_NS0_5tupleIJPjSE_EEENSF_IJSE_SE_EEES9_SG_JZNS1_25segmented_radix_sort_implINS0_14default_configELb0EPKdPdPKlPlN2at6native12_GLOBAL__N_18offset_tEEE10hipError_tPvRmT1_PNSt15iterator_traitsISY_E10value_typeET2_T3_PNSZ_IS14_E10value_typeET4_jRbjT5_S1A_jjP12ihipStream_tbEUljE_EEESV_SW_SX_S14_S18_S1A_T6_T7_T9_mT8_S1C_bDpT10_ENKUlT_T0_E_clISt17integral_constantIbLb0EES1P_EEDaS1K_S1L_EUlS1K_E_NS1_11comp_targetILNS1_3genE5ELNS1_11target_archE942ELNS1_3gpuE9ELNS1_3repE0EEENS1_30default_config_static_selectorELNS0_4arch9wavefront6targetE0EEEvSY_.has_recursion, 0
	.set _ZN7rocprim17ROCPRIM_400000_NS6detail17trampoline_kernelINS0_13select_configILj256ELj13ELNS0_17block_load_methodE3ELS4_3ELS4_3ELNS0_20block_scan_algorithmE0ELj4294967295EEENS1_25partition_config_selectorILNS1_17partition_subalgoE3EjNS0_10empty_typeEbEEZZNS1_14partition_implILS8_3ELb0ES6_jNS0_17counting_iteratorIjlEEPS9_SE_NS0_5tupleIJPjSE_EEENSF_IJSE_SE_EEES9_SG_JZNS1_25segmented_radix_sort_implINS0_14default_configELb0EPKdPdPKlPlN2at6native12_GLOBAL__N_18offset_tEEE10hipError_tPvRmT1_PNSt15iterator_traitsISY_E10value_typeET2_T3_PNSZ_IS14_E10value_typeET4_jRbjT5_S1A_jjP12ihipStream_tbEUljE_EEESV_SW_SX_S14_S18_S1A_T6_T7_T9_mT8_S1C_bDpT10_ENKUlT_T0_E_clISt17integral_constantIbLb0EES1P_EEDaS1K_S1L_EUlS1K_E_NS1_11comp_targetILNS1_3genE5ELNS1_11target_archE942ELNS1_3gpuE9ELNS1_3repE0EEENS1_30default_config_static_selectorELNS0_4arch9wavefront6targetE0EEEvSY_.has_indirect_call, 0
	.section	.AMDGPU.csdata,"",@progbits
; Kernel info:
; codeLenInByte = 0
; TotalNumSgprs: 0
; NumVgprs: 0
; ScratchSize: 0
; MemoryBound: 0
; FloatMode: 240
; IeeeMode: 1
; LDSByteSize: 0 bytes/workgroup (compile time only)
; SGPRBlocks: 0
; VGPRBlocks: 0
; NumSGPRsForWavesPerEU: 1
; NumVGPRsForWavesPerEU: 1
; Occupancy: 16
; WaveLimiterHint : 0
; COMPUTE_PGM_RSRC2:SCRATCH_EN: 0
; COMPUTE_PGM_RSRC2:USER_SGPR: 6
; COMPUTE_PGM_RSRC2:TRAP_HANDLER: 0
; COMPUTE_PGM_RSRC2:TGID_X_EN: 1
; COMPUTE_PGM_RSRC2:TGID_Y_EN: 0
; COMPUTE_PGM_RSRC2:TGID_Z_EN: 0
; COMPUTE_PGM_RSRC2:TIDIG_COMP_CNT: 0
	.section	.text._ZN7rocprim17ROCPRIM_400000_NS6detail17trampoline_kernelINS0_13select_configILj256ELj13ELNS0_17block_load_methodE3ELS4_3ELS4_3ELNS0_20block_scan_algorithmE0ELj4294967295EEENS1_25partition_config_selectorILNS1_17partition_subalgoE3EjNS0_10empty_typeEbEEZZNS1_14partition_implILS8_3ELb0ES6_jNS0_17counting_iteratorIjlEEPS9_SE_NS0_5tupleIJPjSE_EEENSF_IJSE_SE_EEES9_SG_JZNS1_25segmented_radix_sort_implINS0_14default_configELb0EPKdPdPKlPlN2at6native12_GLOBAL__N_18offset_tEEE10hipError_tPvRmT1_PNSt15iterator_traitsISY_E10value_typeET2_T3_PNSZ_IS14_E10value_typeET4_jRbjT5_S1A_jjP12ihipStream_tbEUljE_EEESV_SW_SX_S14_S18_S1A_T6_T7_T9_mT8_S1C_bDpT10_ENKUlT_T0_E_clISt17integral_constantIbLb0EES1P_EEDaS1K_S1L_EUlS1K_E_NS1_11comp_targetILNS1_3genE4ELNS1_11target_archE910ELNS1_3gpuE8ELNS1_3repE0EEENS1_30default_config_static_selectorELNS0_4arch9wavefront6targetE0EEEvSY_,"axG",@progbits,_ZN7rocprim17ROCPRIM_400000_NS6detail17trampoline_kernelINS0_13select_configILj256ELj13ELNS0_17block_load_methodE3ELS4_3ELS4_3ELNS0_20block_scan_algorithmE0ELj4294967295EEENS1_25partition_config_selectorILNS1_17partition_subalgoE3EjNS0_10empty_typeEbEEZZNS1_14partition_implILS8_3ELb0ES6_jNS0_17counting_iteratorIjlEEPS9_SE_NS0_5tupleIJPjSE_EEENSF_IJSE_SE_EEES9_SG_JZNS1_25segmented_radix_sort_implINS0_14default_configELb0EPKdPdPKlPlN2at6native12_GLOBAL__N_18offset_tEEE10hipError_tPvRmT1_PNSt15iterator_traitsISY_E10value_typeET2_T3_PNSZ_IS14_E10value_typeET4_jRbjT5_S1A_jjP12ihipStream_tbEUljE_EEESV_SW_SX_S14_S18_S1A_T6_T7_T9_mT8_S1C_bDpT10_ENKUlT_T0_E_clISt17integral_constantIbLb0EES1P_EEDaS1K_S1L_EUlS1K_E_NS1_11comp_targetILNS1_3genE4ELNS1_11target_archE910ELNS1_3gpuE8ELNS1_3repE0EEENS1_30default_config_static_selectorELNS0_4arch9wavefront6targetE0EEEvSY_,comdat
	.globl	_ZN7rocprim17ROCPRIM_400000_NS6detail17trampoline_kernelINS0_13select_configILj256ELj13ELNS0_17block_load_methodE3ELS4_3ELS4_3ELNS0_20block_scan_algorithmE0ELj4294967295EEENS1_25partition_config_selectorILNS1_17partition_subalgoE3EjNS0_10empty_typeEbEEZZNS1_14partition_implILS8_3ELb0ES6_jNS0_17counting_iteratorIjlEEPS9_SE_NS0_5tupleIJPjSE_EEENSF_IJSE_SE_EEES9_SG_JZNS1_25segmented_radix_sort_implINS0_14default_configELb0EPKdPdPKlPlN2at6native12_GLOBAL__N_18offset_tEEE10hipError_tPvRmT1_PNSt15iterator_traitsISY_E10value_typeET2_T3_PNSZ_IS14_E10value_typeET4_jRbjT5_S1A_jjP12ihipStream_tbEUljE_EEESV_SW_SX_S14_S18_S1A_T6_T7_T9_mT8_S1C_bDpT10_ENKUlT_T0_E_clISt17integral_constantIbLb0EES1P_EEDaS1K_S1L_EUlS1K_E_NS1_11comp_targetILNS1_3genE4ELNS1_11target_archE910ELNS1_3gpuE8ELNS1_3repE0EEENS1_30default_config_static_selectorELNS0_4arch9wavefront6targetE0EEEvSY_ ; -- Begin function _ZN7rocprim17ROCPRIM_400000_NS6detail17trampoline_kernelINS0_13select_configILj256ELj13ELNS0_17block_load_methodE3ELS4_3ELS4_3ELNS0_20block_scan_algorithmE0ELj4294967295EEENS1_25partition_config_selectorILNS1_17partition_subalgoE3EjNS0_10empty_typeEbEEZZNS1_14partition_implILS8_3ELb0ES6_jNS0_17counting_iteratorIjlEEPS9_SE_NS0_5tupleIJPjSE_EEENSF_IJSE_SE_EEES9_SG_JZNS1_25segmented_radix_sort_implINS0_14default_configELb0EPKdPdPKlPlN2at6native12_GLOBAL__N_18offset_tEEE10hipError_tPvRmT1_PNSt15iterator_traitsISY_E10value_typeET2_T3_PNSZ_IS14_E10value_typeET4_jRbjT5_S1A_jjP12ihipStream_tbEUljE_EEESV_SW_SX_S14_S18_S1A_T6_T7_T9_mT8_S1C_bDpT10_ENKUlT_T0_E_clISt17integral_constantIbLb0EES1P_EEDaS1K_S1L_EUlS1K_E_NS1_11comp_targetILNS1_3genE4ELNS1_11target_archE910ELNS1_3gpuE8ELNS1_3repE0EEENS1_30default_config_static_selectorELNS0_4arch9wavefront6targetE0EEEvSY_
	.p2align	8
	.type	_ZN7rocprim17ROCPRIM_400000_NS6detail17trampoline_kernelINS0_13select_configILj256ELj13ELNS0_17block_load_methodE3ELS4_3ELS4_3ELNS0_20block_scan_algorithmE0ELj4294967295EEENS1_25partition_config_selectorILNS1_17partition_subalgoE3EjNS0_10empty_typeEbEEZZNS1_14partition_implILS8_3ELb0ES6_jNS0_17counting_iteratorIjlEEPS9_SE_NS0_5tupleIJPjSE_EEENSF_IJSE_SE_EEES9_SG_JZNS1_25segmented_radix_sort_implINS0_14default_configELb0EPKdPdPKlPlN2at6native12_GLOBAL__N_18offset_tEEE10hipError_tPvRmT1_PNSt15iterator_traitsISY_E10value_typeET2_T3_PNSZ_IS14_E10value_typeET4_jRbjT5_S1A_jjP12ihipStream_tbEUljE_EEESV_SW_SX_S14_S18_S1A_T6_T7_T9_mT8_S1C_bDpT10_ENKUlT_T0_E_clISt17integral_constantIbLb0EES1P_EEDaS1K_S1L_EUlS1K_E_NS1_11comp_targetILNS1_3genE4ELNS1_11target_archE910ELNS1_3gpuE8ELNS1_3repE0EEENS1_30default_config_static_selectorELNS0_4arch9wavefront6targetE0EEEvSY_,@function
_ZN7rocprim17ROCPRIM_400000_NS6detail17trampoline_kernelINS0_13select_configILj256ELj13ELNS0_17block_load_methodE3ELS4_3ELS4_3ELNS0_20block_scan_algorithmE0ELj4294967295EEENS1_25partition_config_selectorILNS1_17partition_subalgoE3EjNS0_10empty_typeEbEEZZNS1_14partition_implILS8_3ELb0ES6_jNS0_17counting_iteratorIjlEEPS9_SE_NS0_5tupleIJPjSE_EEENSF_IJSE_SE_EEES9_SG_JZNS1_25segmented_radix_sort_implINS0_14default_configELb0EPKdPdPKlPlN2at6native12_GLOBAL__N_18offset_tEEE10hipError_tPvRmT1_PNSt15iterator_traitsISY_E10value_typeET2_T3_PNSZ_IS14_E10value_typeET4_jRbjT5_S1A_jjP12ihipStream_tbEUljE_EEESV_SW_SX_S14_S18_S1A_T6_T7_T9_mT8_S1C_bDpT10_ENKUlT_T0_E_clISt17integral_constantIbLb0EES1P_EEDaS1K_S1L_EUlS1K_E_NS1_11comp_targetILNS1_3genE4ELNS1_11target_archE910ELNS1_3gpuE8ELNS1_3repE0EEENS1_30default_config_static_selectorELNS0_4arch9wavefront6targetE0EEEvSY_: ; @_ZN7rocprim17ROCPRIM_400000_NS6detail17trampoline_kernelINS0_13select_configILj256ELj13ELNS0_17block_load_methodE3ELS4_3ELS4_3ELNS0_20block_scan_algorithmE0ELj4294967295EEENS1_25partition_config_selectorILNS1_17partition_subalgoE3EjNS0_10empty_typeEbEEZZNS1_14partition_implILS8_3ELb0ES6_jNS0_17counting_iteratorIjlEEPS9_SE_NS0_5tupleIJPjSE_EEENSF_IJSE_SE_EEES9_SG_JZNS1_25segmented_radix_sort_implINS0_14default_configELb0EPKdPdPKlPlN2at6native12_GLOBAL__N_18offset_tEEE10hipError_tPvRmT1_PNSt15iterator_traitsISY_E10value_typeET2_T3_PNSZ_IS14_E10value_typeET4_jRbjT5_S1A_jjP12ihipStream_tbEUljE_EEESV_SW_SX_S14_S18_S1A_T6_T7_T9_mT8_S1C_bDpT10_ENKUlT_T0_E_clISt17integral_constantIbLb0EES1P_EEDaS1K_S1L_EUlS1K_E_NS1_11comp_targetILNS1_3genE4ELNS1_11target_archE910ELNS1_3gpuE8ELNS1_3repE0EEENS1_30default_config_static_selectorELNS0_4arch9wavefront6targetE0EEEvSY_
; %bb.0:
	.section	.rodata,"a",@progbits
	.p2align	6, 0x0
	.amdhsa_kernel _ZN7rocprim17ROCPRIM_400000_NS6detail17trampoline_kernelINS0_13select_configILj256ELj13ELNS0_17block_load_methodE3ELS4_3ELS4_3ELNS0_20block_scan_algorithmE0ELj4294967295EEENS1_25partition_config_selectorILNS1_17partition_subalgoE3EjNS0_10empty_typeEbEEZZNS1_14partition_implILS8_3ELb0ES6_jNS0_17counting_iteratorIjlEEPS9_SE_NS0_5tupleIJPjSE_EEENSF_IJSE_SE_EEES9_SG_JZNS1_25segmented_radix_sort_implINS0_14default_configELb0EPKdPdPKlPlN2at6native12_GLOBAL__N_18offset_tEEE10hipError_tPvRmT1_PNSt15iterator_traitsISY_E10value_typeET2_T3_PNSZ_IS14_E10value_typeET4_jRbjT5_S1A_jjP12ihipStream_tbEUljE_EEESV_SW_SX_S14_S18_S1A_T6_T7_T9_mT8_S1C_bDpT10_ENKUlT_T0_E_clISt17integral_constantIbLb0EES1P_EEDaS1K_S1L_EUlS1K_E_NS1_11comp_targetILNS1_3genE4ELNS1_11target_archE910ELNS1_3gpuE8ELNS1_3repE0EEENS1_30default_config_static_selectorELNS0_4arch9wavefront6targetE0EEEvSY_
		.amdhsa_group_segment_fixed_size 0
		.amdhsa_private_segment_fixed_size 0
		.amdhsa_kernarg_size 144
		.amdhsa_user_sgpr_count 6
		.amdhsa_user_sgpr_private_segment_buffer 1
		.amdhsa_user_sgpr_dispatch_ptr 0
		.amdhsa_user_sgpr_queue_ptr 0
		.amdhsa_user_sgpr_kernarg_segment_ptr 1
		.amdhsa_user_sgpr_dispatch_id 0
		.amdhsa_user_sgpr_flat_scratch_init 0
		.amdhsa_user_sgpr_private_segment_size 0
		.amdhsa_wavefront_size32 1
		.amdhsa_uses_dynamic_stack 0
		.amdhsa_system_sgpr_private_segment_wavefront_offset 0
		.amdhsa_system_sgpr_workgroup_id_x 1
		.amdhsa_system_sgpr_workgroup_id_y 0
		.amdhsa_system_sgpr_workgroup_id_z 0
		.amdhsa_system_sgpr_workgroup_info 0
		.amdhsa_system_vgpr_workitem_id 0
		.amdhsa_next_free_vgpr 1
		.amdhsa_next_free_sgpr 1
		.amdhsa_reserve_vcc 0
		.amdhsa_reserve_flat_scratch 0
		.amdhsa_float_round_mode_32 0
		.amdhsa_float_round_mode_16_64 0
		.amdhsa_float_denorm_mode_32 3
		.amdhsa_float_denorm_mode_16_64 3
		.amdhsa_dx10_clamp 1
		.amdhsa_ieee_mode 1
		.amdhsa_fp16_overflow 0
		.amdhsa_workgroup_processor_mode 1
		.amdhsa_memory_ordered 1
		.amdhsa_forward_progress 1
		.amdhsa_shared_vgpr_count 0
		.amdhsa_exception_fp_ieee_invalid_op 0
		.amdhsa_exception_fp_denorm_src 0
		.amdhsa_exception_fp_ieee_div_zero 0
		.amdhsa_exception_fp_ieee_overflow 0
		.amdhsa_exception_fp_ieee_underflow 0
		.amdhsa_exception_fp_ieee_inexact 0
		.amdhsa_exception_int_div_zero 0
	.end_amdhsa_kernel
	.section	.text._ZN7rocprim17ROCPRIM_400000_NS6detail17trampoline_kernelINS0_13select_configILj256ELj13ELNS0_17block_load_methodE3ELS4_3ELS4_3ELNS0_20block_scan_algorithmE0ELj4294967295EEENS1_25partition_config_selectorILNS1_17partition_subalgoE3EjNS0_10empty_typeEbEEZZNS1_14partition_implILS8_3ELb0ES6_jNS0_17counting_iteratorIjlEEPS9_SE_NS0_5tupleIJPjSE_EEENSF_IJSE_SE_EEES9_SG_JZNS1_25segmented_radix_sort_implINS0_14default_configELb0EPKdPdPKlPlN2at6native12_GLOBAL__N_18offset_tEEE10hipError_tPvRmT1_PNSt15iterator_traitsISY_E10value_typeET2_T3_PNSZ_IS14_E10value_typeET4_jRbjT5_S1A_jjP12ihipStream_tbEUljE_EEESV_SW_SX_S14_S18_S1A_T6_T7_T9_mT8_S1C_bDpT10_ENKUlT_T0_E_clISt17integral_constantIbLb0EES1P_EEDaS1K_S1L_EUlS1K_E_NS1_11comp_targetILNS1_3genE4ELNS1_11target_archE910ELNS1_3gpuE8ELNS1_3repE0EEENS1_30default_config_static_selectorELNS0_4arch9wavefront6targetE0EEEvSY_,"axG",@progbits,_ZN7rocprim17ROCPRIM_400000_NS6detail17trampoline_kernelINS0_13select_configILj256ELj13ELNS0_17block_load_methodE3ELS4_3ELS4_3ELNS0_20block_scan_algorithmE0ELj4294967295EEENS1_25partition_config_selectorILNS1_17partition_subalgoE3EjNS0_10empty_typeEbEEZZNS1_14partition_implILS8_3ELb0ES6_jNS0_17counting_iteratorIjlEEPS9_SE_NS0_5tupleIJPjSE_EEENSF_IJSE_SE_EEES9_SG_JZNS1_25segmented_radix_sort_implINS0_14default_configELb0EPKdPdPKlPlN2at6native12_GLOBAL__N_18offset_tEEE10hipError_tPvRmT1_PNSt15iterator_traitsISY_E10value_typeET2_T3_PNSZ_IS14_E10value_typeET4_jRbjT5_S1A_jjP12ihipStream_tbEUljE_EEESV_SW_SX_S14_S18_S1A_T6_T7_T9_mT8_S1C_bDpT10_ENKUlT_T0_E_clISt17integral_constantIbLb0EES1P_EEDaS1K_S1L_EUlS1K_E_NS1_11comp_targetILNS1_3genE4ELNS1_11target_archE910ELNS1_3gpuE8ELNS1_3repE0EEENS1_30default_config_static_selectorELNS0_4arch9wavefront6targetE0EEEvSY_,comdat
.Lfunc_end1183:
	.size	_ZN7rocprim17ROCPRIM_400000_NS6detail17trampoline_kernelINS0_13select_configILj256ELj13ELNS0_17block_load_methodE3ELS4_3ELS4_3ELNS0_20block_scan_algorithmE0ELj4294967295EEENS1_25partition_config_selectorILNS1_17partition_subalgoE3EjNS0_10empty_typeEbEEZZNS1_14partition_implILS8_3ELb0ES6_jNS0_17counting_iteratorIjlEEPS9_SE_NS0_5tupleIJPjSE_EEENSF_IJSE_SE_EEES9_SG_JZNS1_25segmented_radix_sort_implINS0_14default_configELb0EPKdPdPKlPlN2at6native12_GLOBAL__N_18offset_tEEE10hipError_tPvRmT1_PNSt15iterator_traitsISY_E10value_typeET2_T3_PNSZ_IS14_E10value_typeET4_jRbjT5_S1A_jjP12ihipStream_tbEUljE_EEESV_SW_SX_S14_S18_S1A_T6_T7_T9_mT8_S1C_bDpT10_ENKUlT_T0_E_clISt17integral_constantIbLb0EES1P_EEDaS1K_S1L_EUlS1K_E_NS1_11comp_targetILNS1_3genE4ELNS1_11target_archE910ELNS1_3gpuE8ELNS1_3repE0EEENS1_30default_config_static_selectorELNS0_4arch9wavefront6targetE0EEEvSY_, .Lfunc_end1183-_ZN7rocprim17ROCPRIM_400000_NS6detail17trampoline_kernelINS0_13select_configILj256ELj13ELNS0_17block_load_methodE3ELS4_3ELS4_3ELNS0_20block_scan_algorithmE0ELj4294967295EEENS1_25partition_config_selectorILNS1_17partition_subalgoE3EjNS0_10empty_typeEbEEZZNS1_14partition_implILS8_3ELb0ES6_jNS0_17counting_iteratorIjlEEPS9_SE_NS0_5tupleIJPjSE_EEENSF_IJSE_SE_EEES9_SG_JZNS1_25segmented_radix_sort_implINS0_14default_configELb0EPKdPdPKlPlN2at6native12_GLOBAL__N_18offset_tEEE10hipError_tPvRmT1_PNSt15iterator_traitsISY_E10value_typeET2_T3_PNSZ_IS14_E10value_typeET4_jRbjT5_S1A_jjP12ihipStream_tbEUljE_EEESV_SW_SX_S14_S18_S1A_T6_T7_T9_mT8_S1C_bDpT10_ENKUlT_T0_E_clISt17integral_constantIbLb0EES1P_EEDaS1K_S1L_EUlS1K_E_NS1_11comp_targetILNS1_3genE4ELNS1_11target_archE910ELNS1_3gpuE8ELNS1_3repE0EEENS1_30default_config_static_selectorELNS0_4arch9wavefront6targetE0EEEvSY_
                                        ; -- End function
	.set _ZN7rocprim17ROCPRIM_400000_NS6detail17trampoline_kernelINS0_13select_configILj256ELj13ELNS0_17block_load_methodE3ELS4_3ELS4_3ELNS0_20block_scan_algorithmE0ELj4294967295EEENS1_25partition_config_selectorILNS1_17partition_subalgoE3EjNS0_10empty_typeEbEEZZNS1_14partition_implILS8_3ELb0ES6_jNS0_17counting_iteratorIjlEEPS9_SE_NS0_5tupleIJPjSE_EEENSF_IJSE_SE_EEES9_SG_JZNS1_25segmented_radix_sort_implINS0_14default_configELb0EPKdPdPKlPlN2at6native12_GLOBAL__N_18offset_tEEE10hipError_tPvRmT1_PNSt15iterator_traitsISY_E10value_typeET2_T3_PNSZ_IS14_E10value_typeET4_jRbjT5_S1A_jjP12ihipStream_tbEUljE_EEESV_SW_SX_S14_S18_S1A_T6_T7_T9_mT8_S1C_bDpT10_ENKUlT_T0_E_clISt17integral_constantIbLb0EES1P_EEDaS1K_S1L_EUlS1K_E_NS1_11comp_targetILNS1_3genE4ELNS1_11target_archE910ELNS1_3gpuE8ELNS1_3repE0EEENS1_30default_config_static_selectorELNS0_4arch9wavefront6targetE0EEEvSY_.num_vgpr, 0
	.set _ZN7rocprim17ROCPRIM_400000_NS6detail17trampoline_kernelINS0_13select_configILj256ELj13ELNS0_17block_load_methodE3ELS4_3ELS4_3ELNS0_20block_scan_algorithmE0ELj4294967295EEENS1_25partition_config_selectorILNS1_17partition_subalgoE3EjNS0_10empty_typeEbEEZZNS1_14partition_implILS8_3ELb0ES6_jNS0_17counting_iteratorIjlEEPS9_SE_NS0_5tupleIJPjSE_EEENSF_IJSE_SE_EEES9_SG_JZNS1_25segmented_radix_sort_implINS0_14default_configELb0EPKdPdPKlPlN2at6native12_GLOBAL__N_18offset_tEEE10hipError_tPvRmT1_PNSt15iterator_traitsISY_E10value_typeET2_T3_PNSZ_IS14_E10value_typeET4_jRbjT5_S1A_jjP12ihipStream_tbEUljE_EEESV_SW_SX_S14_S18_S1A_T6_T7_T9_mT8_S1C_bDpT10_ENKUlT_T0_E_clISt17integral_constantIbLb0EES1P_EEDaS1K_S1L_EUlS1K_E_NS1_11comp_targetILNS1_3genE4ELNS1_11target_archE910ELNS1_3gpuE8ELNS1_3repE0EEENS1_30default_config_static_selectorELNS0_4arch9wavefront6targetE0EEEvSY_.num_agpr, 0
	.set _ZN7rocprim17ROCPRIM_400000_NS6detail17trampoline_kernelINS0_13select_configILj256ELj13ELNS0_17block_load_methodE3ELS4_3ELS4_3ELNS0_20block_scan_algorithmE0ELj4294967295EEENS1_25partition_config_selectorILNS1_17partition_subalgoE3EjNS0_10empty_typeEbEEZZNS1_14partition_implILS8_3ELb0ES6_jNS0_17counting_iteratorIjlEEPS9_SE_NS0_5tupleIJPjSE_EEENSF_IJSE_SE_EEES9_SG_JZNS1_25segmented_radix_sort_implINS0_14default_configELb0EPKdPdPKlPlN2at6native12_GLOBAL__N_18offset_tEEE10hipError_tPvRmT1_PNSt15iterator_traitsISY_E10value_typeET2_T3_PNSZ_IS14_E10value_typeET4_jRbjT5_S1A_jjP12ihipStream_tbEUljE_EEESV_SW_SX_S14_S18_S1A_T6_T7_T9_mT8_S1C_bDpT10_ENKUlT_T0_E_clISt17integral_constantIbLb0EES1P_EEDaS1K_S1L_EUlS1K_E_NS1_11comp_targetILNS1_3genE4ELNS1_11target_archE910ELNS1_3gpuE8ELNS1_3repE0EEENS1_30default_config_static_selectorELNS0_4arch9wavefront6targetE0EEEvSY_.numbered_sgpr, 0
	.set _ZN7rocprim17ROCPRIM_400000_NS6detail17trampoline_kernelINS0_13select_configILj256ELj13ELNS0_17block_load_methodE3ELS4_3ELS4_3ELNS0_20block_scan_algorithmE0ELj4294967295EEENS1_25partition_config_selectorILNS1_17partition_subalgoE3EjNS0_10empty_typeEbEEZZNS1_14partition_implILS8_3ELb0ES6_jNS0_17counting_iteratorIjlEEPS9_SE_NS0_5tupleIJPjSE_EEENSF_IJSE_SE_EEES9_SG_JZNS1_25segmented_radix_sort_implINS0_14default_configELb0EPKdPdPKlPlN2at6native12_GLOBAL__N_18offset_tEEE10hipError_tPvRmT1_PNSt15iterator_traitsISY_E10value_typeET2_T3_PNSZ_IS14_E10value_typeET4_jRbjT5_S1A_jjP12ihipStream_tbEUljE_EEESV_SW_SX_S14_S18_S1A_T6_T7_T9_mT8_S1C_bDpT10_ENKUlT_T0_E_clISt17integral_constantIbLb0EES1P_EEDaS1K_S1L_EUlS1K_E_NS1_11comp_targetILNS1_3genE4ELNS1_11target_archE910ELNS1_3gpuE8ELNS1_3repE0EEENS1_30default_config_static_selectorELNS0_4arch9wavefront6targetE0EEEvSY_.num_named_barrier, 0
	.set _ZN7rocprim17ROCPRIM_400000_NS6detail17trampoline_kernelINS0_13select_configILj256ELj13ELNS0_17block_load_methodE3ELS4_3ELS4_3ELNS0_20block_scan_algorithmE0ELj4294967295EEENS1_25partition_config_selectorILNS1_17partition_subalgoE3EjNS0_10empty_typeEbEEZZNS1_14partition_implILS8_3ELb0ES6_jNS0_17counting_iteratorIjlEEPS9_SE_NS0_5tupleIJPjSE_EEENSF_IJSE_SE_EEES9_SG_JZNS1_25segmented_radix_sort_implINS0_14default_configELb0EPKdPdPKlPlN2at6native12_GLOBAL__N_18offset_tEEE10hipError_tPvRmT1_PNSt15iterator_traitsISY_E10value_typeET2_T3_PNSZ_IS14_E10value_typeET4_jRbjT5_S1A_jjP12ihipStream_tbEUljE_EEESV_SW_SX_S14_S18_S1A_T6_T7_T9_mT8_S1C_bDpT10_ENKUlT_T0_E_clISt17integral_constantIbLb0EES1P_EEDaS1K_S1L_EUlS1K_E_NS1_11comp_targetILNS1_3genE4ELNS1_11target_archE910ELNS1_3gpuE8ELNS1_3repE0EEENS1_30default_config_static_selectorELNS0_4arch9wavefront6targetE0EEEvSY_.private_seg_size, 0
	.set _ZN7rocprim17ROCPRIM_400000_NS6detail17trampoline_kernelINS0_13select_configILj256ELj13ELNS0_17block_load_methodE3ELS4_3ELS4_3ELNS0_20block_scan_algorithmE0ELj4294967295EEENS1_25partition_config_selectorILNS1_17partition_subalgoE3EjNS0_10empty_typeEbEEZZNS1_14partition_implILS8_3ELb0ES6_jNS0_17counting_iteratorIjlEEPS9_SE_NS0_5tupleIJPjSE_EEENSF_IJSE_SE_EEES9_SG_JZNS1_25segmented_radix_sort_implINS0_14default_configELb0EPKdPdPKlPlN2at6native12_GLOBAL__N_18offset_tEEE10hipError_tPvRmT1_PNSt15iterator_traitsISY_E10value_typeET2_T3_PNSZ_IS14_E10value_typeET4_jRbjT5_S1A_jjP12ihipStream_tbEUljE_EEESV_SW_SX_S14_S18_S1A_T6_T7_T9_mT8_S1C_bDpT10_ENKUlT_T0_E_clISt17integral_constantIbLb0EES1P_EEDaS1K_S1L_EUlS1K_E_NS1_11comp_targetILNS1_3genE4ELNS1_11target_archE910ELNS1_3gpuE8ELNS1_3repE0EEENS1_30default_config_static_selectorELNS0_4arch9wavefront6targetE0EEEvSY_.uses_vcc, 0
	.set _ZN7rocprim17ROCPRIM_400000_NS6detail17trampoline_kernelINS0_13select_configILj256ELj13ELNS0_17block_load_methodE3ELS4_3ELS4_3ELNS0_20block_scan_algorithmE0ELj4294967295EEENS1_25partition_config_selectorILNS1_17partition_subalgoE3EjNS0_10empty_typeEbEEZZNS1_14partition_implILS8_3ELb0ES6_jNS0_17counting_iteratorIjlEEPS9_SE_NS0_5tupleIJPjSE_EEENSF_IJSE_SE_EEES9_SG_JZNS1_25segmented_radix_sort_implINS0_14default_configELb0EPKdPdPKlPlN2at6native12_GLOBAL__N_18offset_tEEE10hipError_tPvRmT1_PNSt15iterator_traitsISY_E10value_typeET2_T3_PNSZ_IS14_E10value_typeET4_jRbjT5_S1A_jjP12ihipStream_tbEUljE_EEESV_SW_SX_S14_S18_S1A_T6_T7_T9_mT8_S1C_bDpT10_ENKUlT_T0_E_clISt17integral_constantIbLb0EES1P_EEDaS1K_S1L_EUlS1K_E_NS1_11comp_targetILNS1_3genE4ELNS1_11target_archE910ELNS1_3gpuE8ELNS1_3repE0EEENS1_30default_config_static_selectorELNS0_4arch9wavefront6targetE0EEEvSY_.uses_flat_scratch, 0
	.set _ZN7rocprim17ROCPRIM_400000_NS6detail17trampoline_kernelINS0_13select_configILj256ELj13ELNS0_17block_load_methodE3ELS4_3ELS4_3ELNS0_20block_scan_algorithmE0ELj4294967295EEENS1_25partition_config_selectorILNS1_17partition_subalgoE3EjNS0_10empty_typeEbEEZZNS1_14partition_implILS8_3ELb0ES6_jNS0_17counting_iteratorIjlEEPS9_SE_NS0_5tupleIJPjSE_EEENSF_IJSE_SE_EEES9_SG_JZNS1_25segmented_radix_sort_implINS0_14default_configELb0EPKdPdPKlPlN2at6native12_GLOBAL__N_18offset_tEEE10hipError_tPvRmT1_PNSt15iterator_traitsISY_E10value_typeET2_T3_PNSZ_IS14_E10value_typeET4_jRbjT5_S1A_jjP12ihipStream_tbEUljE_EEESV_SW_SX_S14_S18_S1A_T6_T7_T9_mT8_S1C_bDpT10_ENKUlT_T0_E_clISt17integral_constantIbLb0EES1P_EEDaS1K_S1L_EUlS1K_E_NS1_11comp_targetILNS1_3genE4ELNS1_11target_archE910ELNS1_3gpuE8ELNS1_3repE0EEENS1_30default_config_static_selectorELNS0_4arch9wavefront6targetE0EEEvSY_.has_dyn_sized_stack, 0
	.set _ZN7rocprim17ROCPRIM_400000_NS6detail17trampoline_kernelINS0_13select_configILj256ELj13ELNS0_17block_load_methodE3ELS4_3ELS4_3ELNS0_20block_scan_algorithmE0ELj4294967295EEENS1_25partition_config_selectorILNS1_17partition_subalgoE3EjNS0_10empty_typeEbEEZZNS1_14partition_implILS8_3ELb0ES6_jNS0_17counting_iteratorIjlEEPS9_SE_NS0_5tupleIJPjSE_EEENSF_IJSE_SE_EEES9_SG_JZNS1_25segmented_radix_sort_implINS0_14default_configELb0EPKdPdPKlPlN2at6native12_GLOBAL__N_18offset_tEEE10hipError_tPvRmT1_PNSt15iterator_traitsISY_E10value_typeET2_T3_PNSZ_IS14_E10value_typeET4_jRbjT5_S1A_jjP12ihipStream_tbEUljE_EEESV_SW_SX_S14_S18_S1A_T6_T7_T9_mT8_S1C_bDpT10_ENKUlT_T0_E_clISt17integral_constantIbLb0EES1P_EEDaS1K_S1L_EUlS1K_E_NS1_11comp_targetILNS1_3genE4ELNS1_11target_archE910ELNS1_3gpuE8ELNS1_3repE0EEENS1_30default_config_static_selectorELNS0_4arch9wavefront6targetE0EEEvSY_.has_recursion, 0
	.set _ZN7rocprim17ROCPRIM_400000_NS6detail17trampoline_kernelINS0_13select_configILj256ELj13ELNS0_17block_load_methodE3ELS4_3ELS4_3ELNS0_20block_scan_algorithmE0ELj4294967295EEENS1_25partition_config_selectorILNS1_17partition_subalgoE3EjNS0_10empty_typeEbEEZZNS1_14partition_implILS8_3ELb0ES6_jNS0_17counting_iteratorIjlEEPS9_SE_NS0_5tupleIJPjSE_EEENSF_IJSE_SE_EEES9_SG_JZNS1_25segmented_radix_sort_implINS0_14default_configELb0EPKdPdPKlPlN2at6native12_GLOBAL__N_18offset_tEEE10hipError_tPvRmT1_PNSt15iterator_traitsISY_E10value_typeET2_T3_PNSZ_IS14_E10value_typeET4_jRbjT5_S1A_jjP12ihipStream_tbEUljE_EEESV_SW_SX_S14_S18_S1A_T6_T7_T9_mT8_S1C_bDpT10_ENKUlT_T0_E_clISt17integral_constantIbLb0EES1P_EEDaS1K_S1L_EUlS1K_E_NS1_11comp_targetILNS1_3genE4ELNS1_11target_archE910ELNS1_3gpuE8ELNS1_3repE0EEENS1_30default_config_static_selectorELNS0_4arch9wavefront6targetE0EEEvSY_.has_indirect_call, 0
	.section	.AMDGPU.csdata,"",@progbits
; Kernel info:
; codeLenInByte = 0
; TotalNumSgprs: 0
; NumVgprs: 0
; ScratchSize: 0
; MemoryBound: 0
; FloatMode: 240
; IeeeMode: 1
; LDSByteSize: 0 bytes/workgroup (compile time only)
; SGPRBlocks: 0
; VGPRBlocks: 0
; NumSGPRsForWavesPerEU: 1
; NumVGPRsForWavesPerEU: 1
; Occupancy: 16
; WaveLimiterHint : 0
; COMPUTE_PGM_RSRC2:SCRATCH_EN: 0
; COMPUTE_PGM_RSRC2:USER_SGPR: 6
; COMPUTE_PGM_RSRC2:TRAP_HANDLER: 0
; COMPUTE_PGM_RSRC2:TGID_X_EN: 1
; COMPUTE_PGM_RSRC2:TGID_Y_EN: 0
; COMPUTE_PGM_RSRC2:TGID_Z_EN: 0
; COMPUTE_PGM_RSRC2:TIDIG_COMP_CNT: 0
	.section	.text._ZN7rocprim17ROCPRIM_400000_NS6detail17trampoline_kernelINS0_13select_configILj256ELj13ELNS0_17block_load_methodE3ELS4_3ELS4_3ELNS0_20block_scan_algorithmE0ELj4294967295EEENS1_25partition_config_selectorILNS1_17partition_subalgoE3EjNS0_10empty_typeEbEEZZNS1_14partition_implILS8_3ELb0ES6_jNS0_17counting_iteratorIjlEEPS9_SE_NS0_5tupleIJPjSE_EEENSF_IJSE_SE_EEES9_SG_JZNS1_25segmented_radix_sort_implINS0_14default_configELb0EPKdPdPKlPlN2at6native12_GLOBAL__N_18offset_tEEE10hipError_tPvRmT1_PNSt15iterator_traitsISY_E10value_typeET2_T3_PNSZ_IS14_E10value_typeET4_jRbjT5_S1A_jjP12ihipStream_tbEUljE_EEESV_SW_SX_S14_S18_S1A_T6_T7_T9_mT8_S1C_bDpT10_ENKUlT_T0_E_clISt17integral_constantIbLb0EES1P_EEDaS1K_S1L_EUlS1K_E_NS1_11comp_targetILNS1_3genE3ELNS1_11target_archE908ELNS1_3gpuE7ELNS1_3repE0EEENS1_30default_config_static_selectorELNS0_4arch9wavefront6targetE0EEEvSY_,"axG",@progbits,_ZN7rocprim17ROCPRIM_400000_NS6detail17trampoline_kernelINS0_13select_configILj256ELj13ELNS0_17block_load_methodE3ELS4_3ELS4_3ELNS0_20block_scan_algorithmE0ELj4294967295EEENS1_25partition_config_selectorILNS1_17partition_subalgoE3EjNS0_10empty_typeEbEEZZNS1_14partition_implILS8_3ELb0ES6_jNS0_17counting_iteratorIjlEEPS9_SE_NS0_5tupleIJPjSE_EEENSF_IJSE_SE_EEES9_SG_JZNS1_25segmented_radix_sort_implINS0_14default_configELb0EPKdPdPKlPlN2at6native12_GLOBAL__N_18offset_tEEE10hipError_tPvRmT1_PNSt15iterator_traitsISY_E10value_typeET2_T3_PNSZ_IS14_E10value_typeET4_jRbjT5_S1A_jjP12ihipStream_tbEUljE_EEESV_SW_SX_S14_S18_S1A_T6_T7_T9_mT8_S1C_bDpT10_ENKUlT_T0_E_clISt17integral_constantIbLb0EES1P_EEDaS1K_S1L_EUlS1K_E_NS1_11comp_targetILNS1_3genE3ELNS1_11target_archE908ELNS1_3gpuE7ELNS1_3repE0EEENS1_30default_config_static_selectorELNS0_4arch9wavefront6targetE0EEEvSY_,comdat
	.globl	_ZN7rocprim17ROCPRIM_400000_NS6detail17trampoline_kernelINS0_13select_configILj256ELj13ELNS0_17block_load_methodE3ELS4_3ELS4_3ELNS0_20block_scan_algorithmE0ELj4294967295EEENS1_25partition_config_selectorILNS1_17partition_subalgoE3EjNS0_10empty_typeEbEEZZNS1_14partition_implILS8_3ELb0ES6_jNS0_17counting_iteratorIjlEEPS9_SE_NS0_5tupleIJPjSE_EEENSF_IJSE_SE_EEES9_SG_JZNS1_25segmented_radix_sort_implINS0_14default_configELb0EPKdPdPKlPlN2at6native12_GLOBAL__N_18offset_tEEE10hipError_tPvRmT1_PNSt15iterator_traitsISY_E10value_typeET2_T3_PNSZ_IS14_E10value_typeET4_jRbjT5_S1A_jjP12ihipStream_tbEUljE_EEESV_SW_SX_S14_S18_S1A_T6_T7_T9_mT8_S1C_bDpT10_ENKUlT_T0_E_clISt17integral_constantIbLb0EES1P_EEDaS1K_S1L_EUlS1K_E_NS1_11comp_targetILNS1_3genE3ELNS1_11target_archE908ELNS1_3gpuE7ELNS1_3repE0EEENS1_30default_config_static_selectorELNS0_4arch9wavefront6targetE0EEEvSY_ ; -- Begin function _ZN7rocprim17ROCPRIM_400000_NS6detail17trampoline_kernelINS0_13select_configILj256ELj13ELNS0_17block_load_methodE3ELS4_3ELS4_3ELNS0_20block_scan_algorithmE0ELj4294967295EEENS1_25partition_config_selectorILNS1_17partition_subalgoE3EjNS0_10empty_typeEbEEZZNS1_14partition_implILS8_3ELb0ES6_jNS0_17counting_iteratorIjlEEPS9_SE_NS0_5tupleIJPjSE_EEENSF_IJSE_SE_EEES9_SG_JZNS1_25segmented_radix_sort_implINS0_14default_configELb0EPKdPdPKlPlN2at6native12_GLOBAL__N_18offset_tEEE10hipError_tPvRmT1_PNSt15iterator_traitsISY_E10value_typeET2_T3_PNSZ_IS14_E10value_typeET4_jRbjT5_S1A_jjP12ihipStream_tbEUljE_EEESV_SW_SX_S14_S18_S1A_T6_T7_T9_mT8_S1C_bDpT10_ENKUlT_T0_E_clISt17integral_constantIbLb0EES1P_EEDaS1K_S1L_EUlS1K_E_NS1_11comp_targetILNS1_3genE3ELNS1_11target_archE908ELNS1_3gpuE7ELNS1_3repE0EEENS1_30default_config_static_selectorELNS0_4arch9wavefront6targetE0EEEvSY_
	.p2align	8
	.type	_ZN7rocprim17ROCPRIM_400000_NS6detail17trampoline_kernelINS0_13select_configILj256ELj13ELNS0_17block_load_methodE3ELS4_3ELS4_3ELNS0_20block_scan_algorithmE0ELj4294967295EEENS1_25partition_config_selectorILNS1_17partition_subalgoE3EjNS0_10empty_typeEbEEZZNS1_14partition_implILS8_3ELb0ES6_jNS0_17counting_iteratorIjlEEPS9_SE_NS0_5tupleIJPjSE_EEENSF_IJSE_SE_EEES9_SG_JZNS1_25segmented_radix_sort_implINS0_14default_configELb0EPKdPdPKlPlN2at6native12_GLOBAL__N_18offset_tEEE10hipError_tPvRmT1_PNSt15iterator_traitsISY_E10value_typeET2_T3_PNSZ_IS14_E10value_typeET4_jRbjT5_S1A_jjP12ihipStream_tbEUljE_EEESV_SW_SX_S14_S18_S1A_T6_T7_T9_mT8_S1C_bDpT10_ENKUlT_T0_E_clISt17integral_constantIbLb0EES1P_EEDaS1K_S1L_EUlS1K_E_NS1_11comp_targetILNS1_3genE3ELNS1_11target_archE908ELNS1_3gpuE7ELNS1_3repE0EEENS1_30default_config_static_selectorELNS0_4arch9wavefront6targetE0EEEvSY_,@function
_ZN7rocprim17ROCPRIM_400000_NS6detail17trampoline_kernelINS0_13select_configILj256ELj13ELNS0_17block_load_methodE3ELS4_3ELS4_3ELNS0_20block_scan_algorithmE0ELj4294967295EEENS1_25partition_config_selectorILNS1_17partition_subalgoE3EjNS0_10empty_typeEbEEZZNS1_14partition_implILS8_3ELb0ES6_jNS0_17counting_iteratorIjlEEPS9_SE_NS0_5tupleIJPjSE_EEENSF_IJSE_SE_EEES9_SG_JZNS1_25segmented_radix_sort_implINS0_14default_configELb0EPKdPdPKlPlN2at6native12_GLOBAL__N_18offset_tEEE10hipError_tPvRmT1_PNSt15iterator_traitsISY_E10value_typeET2_T3_PNSZ_IS14_E10value_typeET4_jRbjT5_S1A_jjP12ihipStream_tbEUljE_EEESV_SW_SX_S14_S18_S1A_T6_T7_T9_mT8_S1C_bDpT10_ENKUlT_T0_E_clISt17integral_constantIbLb0EES1P_EEDaS1K_S1L_EUlS1K_E_NS1_11comp_targetILNS1_3genE3ELNS1_11target_archE908ELNS1_3gpuE7ELNS1_3repE0EEENS1_30default_config_static_selectorELNS0_4arch9wavefront6targetE0EEEvSY_: ; @_ZN7rocprim17ROCPRIM_400000_NS6detail17trampoline_kernelINS0_13select_configILj256ELj13ELNS0_17block_load_methodE3ELS4_3ELS4_3ELNS0_20block_scan_algorithmE0ELj4294967295EEENS1_25partition_config_selectorILNS1_17partition_subalgoE3EjNS0_10empty_typeEbEEZZNS1_14partition_implILS8_3ELb0ES6_jNS0_17counting_iteratorIjlEEPS9_SE_NS0_5tupleIJPjSE_EEENSF_IJSE_SE_EEES9_SG_JZNS1_25segmented_radix_sort_implINS0_14default_configELb0EPKdPdPKlPlN2at6native12_GLOBAL__N_18offset_tEEE10hipError_tPvRmT1_PNSt15iterator_traitsISY_E10value_typeET2_T3_PNSZ_IS14_E10value_typeET4_jRbjT5_S1A_jjP12ihipStream_tbEUljE_EEESV_SW_SX_S14_S18_S1A_T6_T7_T9_mT8_S1C_bDpT10_ENKUlT_T0_E_clISt17integral_constantIbLb0EES1P_EEDaS1K_S1L_EUlS1K_E_NS1_11comp_targetILNS1_3genE3ELNS1_11target_archE908ELNS1_3gpuE7ELNS1_3repE0EEENS1_30default_config_static_selectorELNS0_4arch9wavefront6targetE0EEEvSY_
; %bb.0:
	.section	.rodata,"a",@progbits
	.p2align	6, 0x0
	.amdhsa_kernel _ZN7rocprim17ROCPRIM_400000_NS6detail17trampoline_kernelINS0_13select_configILj256ELj13ELNS0_17block_load_methodE3ELS4_3ELS4_3ELNS0_20block_scan_algorithmE0ELj4294967295EEENS1_25partition_config_selectorILNS1_17partition_subalgoE3EjNS0_10empty_typeEbEEZZNS1_14partition_implILS8_3ELb0ES6_jNS0_17counting_iteratorIjlEEPS9_SE_NS0_5tupleIJPjSE_EEENSF_IJSE_SE_EEES9_SG_JZNS1_25segmented_radix_sort_implINS0_14default_configELb0EPKdPdPKlPlN2at6native12_GLOBAL__N_18offset_tEEE10hipError_tPvRmT1_PNSt15iterator_traitsISY_E10value_typeET2_T3_PNSZ_IS14_E10value_typeET4_jRbjT5_S1A_jjP12ihipStream_tbEUljE_EEESV_SW_SX_S14_S18_S1A_T6_T7_T9_mT8_S1C_bDpT10_ENKUlT_T0_E_clISt17integral_constantIbLb0EES1P_EEDaS1K_S1L_EUlS1K_E_NS1_11comp_targetILNS1_3genE3ELNS1_11target_archE908ELNS1_3gpuE7ELNS1_3repE0EEENS1_30default_config_static_selectorELNS0_4arch9wavefront6targetE0EEEvSY_
		.amdhsa_group_segment_fixed_size 0
		.amdhsa_private_segment_fixed_size 0
		.amdhsa_kernarg_size 144
		.amdhsa_user_sgpr_count 6
		.amdhsa_user_sgpr_private_segment_buffer 1
		.amdhsa_user_sgpr_dispatch_ptr 0
		.amdhsa_user_sgpr_queue_ptr 0
		.amdhsa_user_sgpr_kernarg_segment_ptr 1
		.amdhsa_user_sgpr_dispatch_id 0
		.amdhsa_user_sgpr_flat_scratch_init 0
		.amdhsa_user_sgpr_private_segment_size 0
		.amdhsa_wavefront_size32 1
		.amdhsa_uses_dynamic_stack 0
		.amdhsa_system_sgpr_private_segment_wavefront_offset 0
		.amdhsa_system_sgpr_workgroup_id_x 1
		.amdhsa_system_sgpr_workgroup_id_y 0
		.amdhsa_system_sgpr_workgroup_id_z 0
		.amdhsa_system_sgpr_workgroup_info 0
		.amdhsa_system_vgpr_workitem_id 0
		.amdhsa_next_free_vgpr 1
		.amdhsa_next_free_sgpr 1
		.amdhsa_reserve_vcc 0
		.amdhsa_reserve_flat_scratch 0
		.amdhsa_float_round_mode_32 0
		.amdhsa_float_round_mode_16_64 0
		.amdhsa_float_denorm_mode_32 3
		.amdhsa_float_denorm_mode_16_64 3
		.amdhsa_dx10_clamp 1
		.amdhsa_ieee_mode 1
		.amdhsa_fp16_overflow 0
		.amdhsa_workgroup_processor_mode 1
		.amdhsa_memory_ordered 1
		.amdhsa_forward_progress 1
		.amdhsa_shared_vgpr_count 0
		.amdhsa_exception_fp_ieee_invalid_op 0
		.amdhsa_exception_fp_denorm_src 0
		.amdhsa_exception_fp_ieee_div_zero 0
		.amdhsa_exception_fp_ieee_overflow 0
		.amdhsa_exception_fp_ieee_underflow 0
		.amdhsa_exception_fp_ieee_inexact 0
		.amdhsa_exception_int_div_zero 0
	.end_amdhsa_kernel
	.section	.text._ZN7rocprim17ROCPRIM_400000_NS6detail17trampoline_kernelINS0_13select_configILj256ELj13ELNS0_17block_load_methodE3ELS4_3ELS4_3ELNS0_20block_scan_algorithmE0ELj4294967295EEENS1_25partition_config_selectorILNS1_17partition_subalgoE3EjNS0_10empty_typeEbEEZZNS1_14partition_implILS8_3ELb0ES6_jNS0_17counting_iteratorIjlEEPS9_SE_NS0_5tupleIJPjSE_EEENSF_IJSE_SE_EEES9_SG_JZNS1_25segmented_radix_sort_implINS0_14default_configELb0EPKdPdPKlPlN2at6native12_GLOBAL__N_18offset_tEEE10hipError_tPvRmT1_PNSt15iterator_traitsISY_E10value_typeET2_T3_PNSZ_IS14_E10value_typeET4_jRbjT5_S1A_jjP12ihipStream_tbEUljE_EEESV_SW_SX_S14_S18_S1A_T6_T7_T9_mT8_S1C_bDpT10_ENKUlT_T0_E_clISt17integral_constantIbLb0EES1P_EEDaS1K_S1L_EUlS1K_E_NS1_11comp_targetILNS1_3genE3ELNS1_11target_archE908ELNS1_3gpuE7ELNS1_3repE0EEENS1_30default_config_static_selectorELNS0_4arch9wavefront6targetE0EEEvSY_,"axG",@progbits,_ZN7rocprim17ROCPRIM_400000_NS6detail17trampoline_kernelINS0_13select_configILj256ELj13ELNS0_17block_load_methodE3ELS4_3ELS4_3ELNS0_20block_scan_algorithmE0ELj4294967295EEENS1_25partition_config_selectorILNS1_17partition_subalgoE3EjNS0_10empty_typeEbEEZZNS1_14partition_implILS8_3ELb0ES6_jNS0_17counting_iteratorIjlEEPS9_SE_NS0_5tupleIJPjSE_EEENSF_IJSE_SE_EEES9_SG_JZNS1_25segmented_radix_sort_implINS0_14default_configELb0EPKdPdPKlPlN2at6native12_GLOBAL__N_18offset_tEEE10hipError_tPvRmT1_PNSt15iterator_traitsISY_E10value_typeET2_T3_PNSZ_IS14_E10value_typeET4_jRbjT5_S1A_jjP12ihipStream_tbEUljE_EEESV_SW_SX_S14_S18_S1A_T6_T7_T9_mT8_S1C_bDpT10_ENKUlT_T0_E_clISt17integral_constantIbLb0EES1P_EEDaS1K_S1L_EUlS1K_E_NS1_11comp_targetILNS1_3genE3ELNS1_11target_archE908ELNS1_3gpuE7ELNS1_3repE0EEENS1_30default_config_static_selectorELNS0_4arch9wavefront6targetE0EEEvSY_,comdat
.Lfunc_end1184:
	.size	_ZN7rocprim17ROCPRIM_400000_NS6detail17trampoline_kernelINS0_13select_configILj256ELj13ELNS0_17block_load_methodE3ELS4_3ELS4_3ELNS0_20block_scan_algorithmE0ELj4294967295EEENS1_25partition_config_selectorILNS1_17partition_subalgoE3EjNS0_10empty_typeEbEEZZNS1_14partition_implILS8_3ELb0ES6_jNS0_17counting_iteratorIjlEEPS9_SE_NS0_5tupleIJPjSE_EEENSF_IJSE_SE_EEES9_SG_JZNS1_25segmented_radix_sort_implINS0_14default_configELb0EPKdPdPKlPlN2at6native12_GLOBAL__N_18offset_tEEE10hipError_tPvRmT1_PNSt15iterator_traitsISY_E10value_typeET2_T3_PNSZ_IS14_E10value_typeET4_jRbjT5_S1A_jjP12ihipStream_tbEUljE_EEESV_SW_SX_S14_S18_S1A_T6_T7_T9_mT8_S1C_bDpT10_ENKUlT_T0_E_clISt17integral_constantIbLb0EES1P_EEDaS1K_S1L_EUlS1K_E_NS1_11comp_targetILNS1_3genE3ELNS1_11target_archE908ELNS1_3gpuE7ELNS1_3repE0EEENS1_30default_config_static_selectorELNS0_4arch9wavefront6targetE0EEEvSY_, .Lfunc_end1184-_ZN7rocprim17ROCPRIM_400000_NS6detail17trampoline_kernelINS0_13select_configILj256ELj13ELNS0_17block_load_methodE3ELS4_3ELS4_3ELNS0_20block_scan_algorithmE0ELj4294967295EEENS1_25partition_config_selectorILNS1_17partition_subalgoE3EjNS0_10empty_typeEbEEZZNS1_14partition_implILS8_3ELb0ES6_jNS0_17counting_iteratorIjlEEPS9_SE_NS0_5tupleIJPjSE_EEENSF_IJSE_SE_EEES9_SG_JZNS1_25segmented_radix_sort_implINS0_14default_configELb0EPKdPdPKlPlN2at6native12_GLOBAL__N_18offset_tEEE10hipError_tPvRmT1_PNSt15iterator_traitsISY_E10value_typeET2_T3_PNSZ_IS14_E10value_typeET4_jRbjT5_S1A_jjP12ihipStream_tbEUljE_EEESV_SW_SX_S14_S18_S1A_T6_T7_T9_mT8_S1C_bDpT10_ENKUlT_T0_E_clISt17integral_constantIbLb0EES1P_EEDaS1K_S1L_EUlS1K_E_NS1_11comp_targetILNS1_3genE3ELNS1_11target_archE908ELNS1_3gpuE7ELNS1_3repE0EEENS1_30default_config_static_selectorELNS0_4arch9wavefront6targetE0EEEvSY_
                                        ; -- End function
	.set _ZN7rocprim17ROCPRIM_400000_NS6detail17trampoline_kernelINS0_13select_configILj256ELj13ELNS0_17block_load_methodE3ELS4_3ELS4_3ELNS0_20block_scan_algorithmE0ELj4294967295EEENS1_25partition_config_selectorILNS1_17partition_subalgoE3EjNS0_10empty_typeEbEEZZNS1_14partition_implILS8_3ELb0ES6_jNS0_17counting_iteratorIjlEEPS9_SE_NS0_5tupleIJPjSE_EEENSF_IJSE_SE_EEES9_SG_JZNS1_25segmented_radix_sort_implINS0_14default_configELb0EPKdPdPKlPlN2at6native12_GLOBAL__N_18offset_tEEE10hipError_tPvRmT1_PNSt15iterator_traitsISY_E10value_typeET2_T3_PNSZ_IS14_E10value_typeET4_jRbjT5_S1A_jjP12ihipStream_tbEUljE_EEESV_SW_SX_S14_S18_S1A_T6_T7_T9_mT8_S1C_bDpT10_ENKUlT_T0_E_clISt17integral_constantIbLb0EES1P_EEDaS1K_S1L_EUlS1K_E_NS1_11comp_targetILNS1_3genE3ELNS1_11target_archE908ELNS1_3gpuE7ELNS1_3repE0EEENS1_30default_config_static_selectorELNS0_4arch9wavefront6targetE0EEEvSY_.num_vgpr, 0
	.set _ZN7rocprim17ROCPRIM_400000_NS6detail17trampoline_kernelINS0_13select_configILj256ELj13ELNS0_17block_load_methodE3ELS4_3ELS4_3ELNS0_20block_scan_algorithmE0ELj4294967295EEENS1_25partition_config_selectorILNS1_17partition_subalgoE3EjNS0_10empty_typeEbEEZZNS1_14partition_implILS8_3ELb0ES6_jNS0_17counting_iteratorIjlEEPS9_SE_NS0_5tupleIJPjSE_EEENSF_IJSE_SE_EEES9_SG_JZNS1_25segmented_radix_sort_implINS0_14default_configELb0EPKdPdPKlPlN2at6native12_GLOBAL__N_18offset_tEEE10hipError_tPvRmT1_PNSt15iterator_traitsISY_E10value_typeET2_T3_PNSZ_IS14_E10value_typeET4_jRbjT5_S1A_jjP12ihipStream_tbEUljE_EEESV_SW_SX_S14_S18_S1A_T6_T7_T9_mT8_S1C_bDpT10_ENKUlT_T0_E_clISt17integral_constantIbLb0EES1P_EEDaS1K_S1L_EUlS1K_E_NS1_11comp_targetILNS1_3genE3ELNS1_11target_archE908ELNS1_3gpuE7ELNS1_3repE0EEENS1_30default_config_static_selectorELNS0_4arch9wavefront6targetE0EEEvSY_.num_agpr, 0
	.set _ZN7rocprim17ROCPRIM_400000_NS6detail17trampoline_kernelINS0_13select_configILj256ELj13ELNS0_17block_load_methodE3ELS4_3ELS4_3ELNS0_20block_scan_algorithmE0ELj4294967295EEENS1_25partition_config_selectorILNS1_17partition_subalgoE3EjNS0_10empty_typeEbEEZZNS1_14partition_implILS8_3ELb0ES6_jNS0_17counting_iteratorIjlEEPS9_SE_NS0_5tupleIJPjSE_EEENSF_IJSE_SE_EEES9_SG_JZNS1_25segmented_radix_sort_implINS0_14default_configELb0EPKdPdPKlPlN2at6native12_GLOBAL__N_18offset_tEEE10hipError_tPvRmT1_PNSt15iterator_traitsISY_E10value_typeET2_T3_PNSZ_IS14_E10value_typeET4_jRbjT5_S1A_jjP12ihipStream_tbEUljE_EEESV_SW_SX_S14_S18_S1A_T6_T7_T9_mT8_S1C_bDpT10_ENKUlT_T0_E_clISt17integral_constantIbLb0EES1P_EEDaS1K_S1L_EUlS1K_E_NS1_11comp_targetILNS1_3genE3ELNS1_11target_archE908ELNS1_3gpuE7ELNS1_3repE0EEENS1_30default_config_static_selectorELNS0_4arch9wavefront6targetE0EEEvSY_.numbered_sgpr, 0
	.set _ZN7rocprim17ROCPRIM_400000_NS6detail17trampoline_kernelINS0_13select_configILj256ELj13ELNS0_17block_load_methodE3ELS4_3ELS4_3ELNS0_20block_scan_algorithmE0ELj4294967295EEENS1_25partition_config_selectorILNS1_17partition_subalgoE3EjNS0_10empty_typeEbEEZZNS1_14partition_implILS8_3ELb0ES6_jNS0_17counting_iteratorIjlEEPS9_SE_NS0_5tupleIJPjSE_EEENSF_IJSE_SE_EEES9_SG_JZNS1_25segmented_radix_sort_implINS0_14default_configELb0EPKdPdPKlPlN2at6native12_GLOBAL__N_18offset_tEEE10hipError_tPvRmT1_PNSt15iterator_traitsISY_E10value_typeET2_T3_PNSZ_IS14_E10value_typeET4_jRbjT5_S1A_jjP12ihipStream_tbEUljE_EEESV_SW_SX_S14_S18_S1A_T6_T7_T9_mT8_S1C_bDpT10_ENKUlT_T0_E_clISt17integral_constantIbLb0EES1P_EEDaS1K_S1L_EUlS1K_E_NS1_11comp_targetILNS1_3genE3ELNS1_11target_archE908ELNS1_3gpuE7ELNS1_3repE0EEENS1_30default_config_static_selectorELNS0_4arch9wavefront6targetE0EEEvSY_.num_named_barrier, 0
	.set _ZN7rocprim17ROCPRIM_400000_NS6detail17trampoline_kernelINS0_13select_configILj256ELj13ELNS0_17block_load_methodE3ELS4_3ELS4_3ELNS0_20block_scan_algorithmE0ELj4294967295EEENS1_25partition_config_selectorILNS1_17partition_subalgoE3EjNS0_10empty_typeEbEEZZNS1_14partition_implILS8_3ELb0ES6_jNS0_17counting_iteratorIjlEEPS9_SE_NS0_5tupleIJPjSE_EEENSF_IJSE_SE_EEES9_SG_JZNS1_25segmented_radix_sort_implINS0_14default_configELb0EPKdPdPKlPlN2at6native12_GLOBAL__N_18offset_tEEE10hipError_tPvRmT1_PNSt15iterator_traitsISY_E10value_typeET2_T3_PNSZ_IS14_E10value_typeET4_jRbjT5_S1A_jjP12ihipStream_tbEUljE_EEESV_SW_SX_S14_S18_S1A_T6_T7_T9_mT8_S1C_bDpT10_ENKUlT_T0_E_clISt17integral_constantIbLb0EES1P_EEDaS1K_S1L_EUlS1K_E_NS1_11comp_targetILNS1_3genE3ELNS1_11target_archE908ELNS1_3gpuE7ELNS1_3repE0EEENS1_30default_config_static_selectorELNS0_4arch9wavefront6targetE0EEEvSY_.private_seg_size, 0
	.set _ZN7rocprim17ROCPRIM_400000_NS6detail17trampoline_kernelINS0_13select_configILj256ELj13ELNS0_17block_load_methodE3ELS4_3ELS4_3ELNS0_20block_scan_algorithmE0ELj4294967295EEENS1_25partition_config_selectorILNS1_17partition_subalgoE3EjNS0_10empty_typeEbEEZZNS1_14partition_implILS8_3ELb0ES6_jNS0_17counting_iteratorIjlEEPS9_SE_NS0_5tupleIJPjSE_EEENSF_IJSE_SE_EEES9_SG_JZNS1_25segmented_radix_sort_implINS0_14default_configELb0EPKdPdPKlPlN2at6native12_GLOBAL__N_18offset_tEEE10hipError_tPvRmT1_PNSt15iterator_traitsISY_E10value_typeET2_T3_PNSZ_IS14_E10value_typeET4_jRbjT5_S1A_jjP12ihipStream_tbEUljE_EEESV_SW_SX_S14_S18_S1A_T6_T7_T9_mT8_S1C_bDpT10_ENKUlT_T0_E_clISt17integral_constantIbLb0EES1P_EEDaS1K_S1L_EUlS1K_E_NS1_11comp_targetILNS1_3genE3ELNS1_11target_archE908ELNS1_3gpuE7ELNS1_3repE0EEENS1_30default_config_static_selectorELNS0_4arch9wavefront6targetE0EEEvSY_.uses_vcc, 0
	.set _ZN7rocprim17ROCPRIM_400000_NS6detail17trampoline_kernelINS0_13select_configILj256ELj13ELNS0_17block_load_methodE3ELS4_3ELS4_3ELNS0_20block_scan_algorithmE0ELj4294967295EEENS1_25partition_config_selectorILNS1_17partition_subalgoE3EjNS0_10empty_typeEbEEZZNS1_14partition_implILS8_3ELb0ES6_jNS0_17counting_iteratorIjlEEPS9_SE_NS0_5tupleIJPjSE_EEENSF_IJSE_SE_EEES9_SG_JZNS1_25segmented_radix_sort_implINS0_14default_configELb0EPKdPdPKlPlN2at6native12_GLOBAL__N_18offset_tEEE10hipError_tPvRmT1_PNSt15iterator_traitsISY_E10value_typeET2_T3_PNSZ_IS14_E10value_typeET4_jRbjT5_S1A_jjP12ihipStream_tbEUljE_EEESV_SW_SX_S14_S18_S1A_T6_T7_T9_mT8_S1C_bDpT10_ENKUlT_T0_E_clISt17integral_constantIbLb0EES1P_EEDaS1K_S1L_EUlS1K_E_NS1_11comp_targetILNS1_3genE3ELNS1_11target_archE908ELNS1_3gpuE7ELNS1_3repE0EEENS1_30default_config_static_selectorELNS0_4arch9wavefront6targetE0EEEvSY_.uses_flat_scratch, 0
	.set _ZN7rocprim17ROCPRIM_400000_NS6detail17trampoline_kernelINS0_13select_configILj256ELj13ELNS0_17block_load_methodE3ELS4_3ELS4_3ELNS0_20block_scan_algorithmE0ELj4294967295EEENS1_25partition_config_selectorILNS1_17partition_subalgoE3EjNS0_10empty_typeEbEEZZNS1_14partition_implILS8_3ELb0ES6_jNS0_17counting_iteratorIjlEEPS9_SE_NS0_5tupleIJPjSE_EEENSF_IJSE_SE_EEES9_SG_JZNS1_25segmented_radix_sort_implINS0_14default_configELb0EPKdPdPKlPlN2at6native12_GLOBAL__N_18offset_tEEE10hipError_tPvRmT1_PNSt15iterator_traitsISY_E10value_typeET2_T3_PNSZ_IS14_E10value_typeET4_jRbjT5_S1A_jjP12ihipStream_tbEUljE_EEESV_SW_SX_S14_S18_S1A_T6_T7_T9_mT8_S1C_bDpT10_ENKUlT_T0_E_clISt17integral_constantIbLb0EES1P_EEDaS1K_S1L_EUlS1K_E_NS1_11comp_targetILNS1_3genE3ELNS1_11target_archE908ELNS1_3gpuE7ELNS1_3repE0EEENS1_30default_config_static_selectorELNS0_4arch9wavefront6targetE0EEEvSY_.has_dyn_sized_stack, 0
	.set _ZN7rocprim17ROCPRIM_400000_NS6detail17trampoline_kernelINS0_13select_configILj256ELj13ELNS0_17block_load_methodE3ELS4_3ELS4_3ELNS0_20block_scan_algorithmE0ELj4294967295EEENS1_25partition_config_selectorILNS1_17partition_subalgoE3EjNS0_10empty_typeEbEEZZNS1_14partition_implILS8_3ELb0ES6_jNS0_17counting_iteratorIjlEEPS9_SE_NS0_5tupleIJPjSE_EEENSF_IJSE_SE_EEES9_SG_JZNS1_25segmented_radix_sort_implINS0_14default_configELb0EPKdPdPKlPlN2at6native12_GLOBAL__N_18offset_tEEE10hipError_tPvRmT1_PNSt15iterator_traitsISY_E10value_typeET2_T3_PNSZ_IS14_E10value_typeET4_jRbjT5_S1A_jjP12ihipStream_tbEUljE_EEESV_SW_SX_S14_S18_S1A_T6_T7_T9_mT8_S1C_bDpT10_ENKUlT_T0_E_clISt17integral_constantIbLb0EES1P_EEDaS1K_S1L_EUlS1K_E_NS1_11comp_targetILNS1_3genE3ELNS1_11target_archE908ELNS1_3gpuE7ELNS1_3repE0EEENS1_30default_config_static_selectorELNS0_4arch9wavefront6targetE0EEEvSY_.has_recursion, 0
	.set _ZN7rocprim17ROCPRIM_400000_NS6detail17trampoline_kernelINS0_13select_configILj256ELj13ELNS0_17block_load_methodE3ELS4_3ELS4_3ELNS0_20block_scan_algorithmE0ELj4294967295EEENS1_25partition_config_selectorILNS1_17partition_subalgoE3EjNS0_10empty_typeEbEEZZNS1_14partition_implILS8_3ELb0ES6_jNS0_17counting_iteratorIjlEEPS9_SE_NS0_5tupleIJPjSE_EEENSF_IJSE_SE_EEES9_SG_JZNS1_25segmented_radix_sort_implINS0_14default_configELb0EPKdPdPKlPlN2at6native12_GLOBAL__N_18offset_tEEE10hipError_tPvRmT1_PNSt15iterator_traitsISY_E10value_typeET2_T3_PNSZ_IS14_E10value_typeET4_jRbjT5_S1A_jjP12ihipStream_tbEUljE_EEESV_SW_SX_S14_S18_S1A_T6_T7_T9_mT8_S1C_bDpT10_ENKUlT_T0_E_clISt17integral_constantIbLb0EES1P_EEDaS1K_S1L_EUlS1K_E_NS1_11comp_targetILNS1_3genE3ELNS1_11target_archE908ELNS1_3gpuE7ELNS1_3repE0EEENS1_30default_config_static_selectorELNS0_4arch9wavefront6targetE0EEEvSY_.has_indirect_call, 0
	.section	.AMDGPU.csdata,"",@progbits
; Kernel info:
; codeLenInByte = 0
; TotalNumSgprs: 0
; NumVgprs: 0
; ScratchSize: 0
; MemoryBound: 0
; FloatMode: 240
; IeeeMode: 1
; LDSByteSize: 0 bytes/workgroup (compile time only)
; SGPRBlocks: 0
; VGPRBlocks: 0
; NumSGPRsForWavesPerEU: 1
; NumVGPRsForWavesPerEU: 1
; Occupancy: 16
; WaveLimiterHint : 0
; COMPUTE_PGM_RSRC2:SCRATCH_EN: 0
; COMPUTE_PGM_RSRC2:USER_SGPR: 6
; COMPUTE_PGM_RSRC2:TRAP_HANDLER: 0
; COMPUTE_PGM_RSRC2:TGID_X_EN: 1
; COMPUTE_PGM_RSRC2:TGID_Y_EN: 0
; COMPUTE_PGM_RSRC2:TGID_Z_EN: 0
; COMPUTE_PGM_RSRC2:TIDIG_COMP_CNT: 0
	.section	.text._ZN7rocprim17ROCPRIM_400000_NS6detail17trampoline_kernelINS0_13select_configILj256ELj13ELNS0_17block_load_methodE3ELS4_3ELS4_3ELNS0_20block_scan_algorithmE0ELj4294967295EEENS1_25partition_config_selectorILNS1_17partition_subalgoE3EjNS0_10empty_typeEbEEZZNS1_14partition_implILS8_3ELb0ES6_jNS0_17counting_iteratorIjlEEPS9_SE_NS0_5tupleIJPjSE_EEENSF_IJSE_SE_EEES9_SG_JZNS1_25segmented_radix_sort_implINS0_14default_configELb0EPKdPdPKlPlN2at6native12_GLOBAL__N_18offset_tEEE10hipError_tPvRmT1_PNSt15iterator_traitsISY_E10value_typeET2_T3_PNSZ_IS14_E10value_typeET4_jRbjT5_S1A_jjP12ihipStream_tbEUljE_EEESV_SW_SX_S14_S18_S1A_T6_T7_T9_mT8_S1C_bDpT10_ENKUlT_T0_E_clISt17integral_constantIbLb0EES1P_EEDaS1K_S1L_EUlS1K_E_NS1_11comp_targetILNS1_3genE2ELNS1_11target_archE906ELNS1_3gpuE6ELNS1_3repE0EEENS1_30default_config_static_selectorELNS0_4arch9wavefront6targetE0EEEvSY_,"axG",@progbits,_ZN7rocprim17ROCPRIM_400000_NS6detail17trampoline_kernelINS0_13select_configILj256ELj13ELNS0_17block_load_methodE3ELS4_3ELS4_3ELNS0_20block_scan_algorithmE0ELj4294967295EEENS1_25partition_config_selectorILNS1_17partition_subalgoE3EjNS0_10empty_typeEbEEZZNS1_14partition_implILS8_3ELb0ES6_jNS0_17counting_iteratorIjlEEPS9_SE_NS0_5tupleIJPjSE_EEENSF_IJSE_SE_EEES9_SG_JZNS1_25segmented_radix_sort_implINS0_14default_configELb0EPKdPdPKlPlN2at6native12_GLOBAL__N_18offset_tEEE10hipError_tPvRmT1_PNSt15iterator_traitsISY_E10value_typeET2_T3_PNSZ_IS14_E10value_typeET4_jRbjT5_S1A_jjP12ihipStream_tbEUljE_EEESV_SW_SX_S14_S18_S1A_T6_T7_T9_mT8_S1C_bDpT10_ENKUlT_T0_E_clISt17integral_constantIbLb0EES1P_EEDaS1K_S1L_EUlS1K_E_NS1_11comp_targetILNS1_3genE2ELNS1_11target_archE906ELNS1_3gpuE6ELNS1_3repE0EEENS1_30default_config_static_selectorELNS0_4arch9wavefront6targetE0EEEvSY_,comdat
	.globl	_ZN7rocprim17ROCPRIM_400000_NS6detail17trampoline_kernelINS0_13select_configILj256ELj13ELNS0_17block_load_methodE3ELS4_3ELS4_3ELNS0_20block_scan_algorithmE0ELj4294967295EEENS1_25partition_config_selectorILNS1_17partition_subalgoE3EjNS0_10empty_typeEbEEZZNS1_14partition_implILS8_3ELb0ES6_jNS0_17counting_iteratorIjlEEPS9_SE_NS0_5tupleIJPjSE_EEENSF_IJSE_SE_EEES9_SG_JZNS1_25segmented_radix_sort_implINS0_14default_configELb0EPKdPdPKlPlN2at6native12_GLOBAL__N_18offset_tEEE10hipError_tPvRmT1_PNSt15iterator_traitsISY_E10value_typeET2_T3_PNSZ_IS14_E10value_typeET4_jRbjT5_S1A_jjP12ihipStream_tbEUljE_EEESV_SW_SX_S14_S18_S1A_T6_T7_T9_mT8_S1C_bDpT10_ENKUlT_T0_E_clISt17integral_constantIbLb0EES1P_EEDaS1K_S1L_EUlS1K_E_NS1_11comp_targetILNS1_3genE2ELNS1_11target_archE906ELNS1_3gpuE6ELNS1_3repE0EEENS1_30default_config_static_selectorELNS0_4arch9wavefront6targetE0EEEvSY_ ; -- Begin function _ZN7rocprim17ROCPRIM_400000_NS6detail17trampoline_kernelINS0_13select_configILj256ELj13ELNS0_17block_load_methodE3ELS4_3ELS4_3ELNS0_20block_scan_algorithmE0ELj4294967295EEENS1_25partition_config_selectorILNS1_17partition_subalgoE3EjNS0_10empty_typeEbEEZZNS1_14partition_implILS8_3ELb0ES6_jNS0_17counting_iteratorIjlEEPS9_SE_NS0_5tupleIJPjSE_EEENSF_IJSE_SE_EEES9_SG_JZNS1_25segmented_radix_sort_implINS0_14default_configELb0EPKdPdPKlPlN2at6native12_GLOBAL__N_18offset_tEEE10hipError_tPvRmT1_PNSt15iterator_traitsISY_E10value_typeET2_T3_PNSZ_IS14_E10value_typeET4_jRbjT5_S1A_jjP12ihipStream_tbEUljE_EEESV_SW_SX_S14_S18_S1A_T6_T7_T9_mT8_S1C_bDpT10_ENKUlT_T0_E_clISt17integral_constantIbLb0EES1P_EEDaS1K_S1L_EUlS1K_E_NS1_11comp_targetILNS1_3genE2ELNS1_11target_archE906ELNS1_3gpuE6ELNS1_3repE0EEENS1_30default_config_static_selectorELNS0_4arch9wavefront6targetE0EEEvSY_
	.p2align	8
	.type	_ZN7rocprim17ROCPRIM_400000_NS6detail17trampoline_kernelINS0_13select_configILj256ELj13ELNS0_17block_load_methodE3ELS4_3ELS4_3ELNS0_20block_scan_algorithmE0ELj4294967295EEENS1_25partition_config_selectorILNS1_17partition_subalgoE3EjNS0_10empty_typeEbEEZZNS1_14partition_implILS8_3ELb0ES6_jNS0_17counting_iteratorIjlEEPS9_SE_NS0_5tupleIJPjSE_EEENSF_IJSE_SE_EEES9_SG_JZNS1_25segmented_radix_sort_implINS0_14default_configELb0EPKdPdPKlPlN2at6native12_GLOBAL__N_18offset_tEEE10hipError_tPvRmT1_PNSt15iterator_traitsISY_E10value_typeET2_T3_PNSZ_IS14_E10value_typeET4_jRbjT5_S1A_jjP12ihipStream_tbEUljE_EEESV_SW_SX_S14_S18_S1A_T6_T7_T9_mT8_S1C_bDpT10_ENKUlT_T0_E_clISt17integral_constantIbLb0EES1P_EEDaS1K_S1L_EUlS1K_E_NS1_11comp_targetILNS1_3genE2ELNS1_11target_archE906ELNS1_3gpuE6ELNS1_3repE0EEENS1_30default_config_static_selectorELNS0_4arch9wavefront6targetE0EEEvSY_,@function
_ZN7rocprim17ROCPRIM_400000_NS6detail17trampoline_kernelINS0_13select_configILj256ELj13ELNS0_17block_load_methodE3ELS4_3ELS4_3ELNS0_20block_scan_algorithmE0ELj4294967295EEENS1_25partition_config_selectorILNS1_17partition_subalgoE3EjNS0_10empty_typeEbEEZZNS1_14partition_implILS8_3ELb0ES6_jNS0_17counting_iteratorIjlEEPS9_SE_NS0_5tupleIJPjSE_EEENSF_IJSE_SE_EEES9_SG_JZNS1_25segmented_radix_sort_implINS0_14default_configELb0EPKdPdPKlPlN2at6native12_GLOBAL__N_18offset_tEEE10hipError_tPvRmT1_PNSt15iterator_traitsISY_E10value_typeET2_T3_PNSZ_IS14_E10value_typeET4_jRbjT5_S1A_jjP12ihipStream_tbEUljE_EEESV_SW_SX_S14_S18_S1A_T6_T7_T9_mT8_S1C_bDpT10_ENKUlT_T0_E_clISt17integral_constantIbLb0EES1P_EEDaS1K_S1L_EUlS1K_E_NS1_11comp_targetILNS1_3genE2ELNS1_11target_archE906ELNS1_3gpuE6ELNS1_3repE0EEENS1_30default_config_static_selectorELNS0_4arch9wavefront6targetE0EEEvSY_: ; @_ZN7rocprim17ROCPRIM_400000_NS6detail17trampoline_kernelINS0_13select_configILj256ELj13ELNS0_17block_load_methodE3ELS4_3ELS4_3ELNS0_20block_scan_algorithmE0ELj4294967295EEENS1_25partition_config_selectorILNS1_17partition_subalgoE3EjNS0_10empty_typeEbEEZZNS1_14partition_implILS8_3ELb0ES6_jNS0_17counting_iteratorIjlEEPS9_SE_NS0_5tupleIJPjSE_EEENSF_IJSE_SE_EEES9_SG_JZNS1_25segmented_radix_sort_implINS0_14default_configELb0EPKdPdPKlPlN2at6native12_GLOBAL__N_18offset_tEEE10hipError_tPvRmT1_PNSt15iterator_traitsISY_E10value_typeET2_T3_PNSZ_IS14_E10value_typeET4_jRbjT5_S1A_jjP12ihipStream_tbEUljE_EEESV_SW_SX_S14_S18_S1A_T6_T7_T9_mT8_S1C_bDpT10_ENKUlT_T0_E_clISt17integral_constantIbLb0EES1P_EEDaS1K_S1L_EUlS1K_E_NS1_11comp_targetILNS1_3genE2ELNS1_11target_archE906ELNS1_3gpuE6ELNS1_3repE0EEENS1_30default_config_static_selectorELNS0_4arch9wavefront6targetE0EEEvSY_
; %bb.0:
	.section	.rodata,"a",@progbits
	.p2align	6, 0x0
	.amdhsa_kernel _ZN7rocprim17ROCPRIM_400000_NS6detail17trampoline_kernelINS0_13select_configILj256ELj13ELNS0_17block_load_methodE3ELS4_3ELS4_3ELNS0_20block_scan_algorithmE0ELj4294967295EEENS1_25partition_config_selectorILNS1_17partition_subalgoE3EjNS0_10empty_typeEbEEZZNS1_14partition_implILS8_3ELb0ES6_jNS0_17counting_iteratorIjlEEPS9_SE_NS0_5tupleIJPjSE_EEENSF_IJSE_SE_EEES9_SG_JZNS1_25segmented_radix_sort_implINS0_14default_configELb0EPKdPdPKlPlN2at6native12_GLOBAL__N_18offset_tEEE10hipError_tPvRmT1_PNSt15iterator_traitsISY_E10value_typeET2_T3_PNSZ_IS14_E10value_typeET4_jRbjT5_S1A_jjP12ihipStream_tbEUljE_EEESV_SW_SX_S14_S18_S1A_T6_T7_T9_mT8_S1C_bDpT10_ENKUlT_T0_E_clISt17integral_constantIbLb0EES1P_EEDaS1K_S1L_EUlS1K_E_NS1_11comp_targetILNS1_3genE2ELNS1_11target_archE906ELNS1_3gpuE6ELNS1_3repE0EEENS1_30default_config_static_selectorELNS0_4arch9wavefront6targetE0EEEvSY_
		.amdhsa_group_segment_fixed_size 0
		.amdhsa_private_segment_fixed_size 0
		.amdhsa_kernarg_size 144
		.amdhsa_user_sgpr_count 6
		.amdhsa_user_sgpr_private_segment_buffer 1
		.amdhsa_user_sgpr_dispatch_ptr 0
		.amdhsa_user_sgpr_queue_ptr 0
		.amdhsa_user_sgpr_kernarg_segment_ptr 1
		.amdhsa_user_sgpr_dispatch_id 0
		.amdhsa_user_sgpr_flat_scratch_init 0
		.amdhsa_user_sgpr_private_segment_size 0
		.amdhsa_wavefront_size32 1
		.amdhsa_uses_dynamic_stack 0
		.amdhsa_system_sgpr_private_segment_wavefront_offset 0
		.amdhsa_system_sgpr_workgroup_id_x 1
		.amdhsa_system_sgpr_workgroup_id_y 0
		.amdhsa_system_sgpr_workgroup_id_z 0
		.amdhsa_system_sgpr_workgroup_info 0
		.amdhsa_system_vgpr_workitem_id 0
		.amdhsa_next_free_vgpr 1
		.amdhsa_next_free_sgpr 1
		.amdhsa_reserve_vcc 0
		.amdhsa_reserve_flat_scratch 0
		.amdhsa_float_round_mode_32 0
		.amdhsa_float_round_mode_16_64 0
		.amdhsa_float_denorm_mode_32 3
		.amdhsa_float_denorm_mode_16_64 3
		.amdhsa_dx10_clamp 1
		.amdhsa_ieee_mode 1
		.amdhsa_fp16_overflow 0
		.amdhsa_workgroup_processor_mode 1
		.amdhsa_memory_ordered 1
		.amdhsa_forward_progress 1
		.amdhsa_shared_vgpr_count 0
		.amdhsa_exception_fp_ieee_invalid_op 0
		.amdhsa_exception_fp_denorm_src 0
		.amdhsa_exception_fp_ieee_div_zero 0
		.amdhsa_exception_fp_ieee_overflow 0
		.amdhsa_exception_fp_ieee_underflow 0
		.amdhsa_exception_fp_ieee_inexact 0
		.amdhsa_exception_int_div_zero 0
	.end_amdhsa_kernel
	.section	.text._ZN7rocprim17ROCPRIM_400000_NS6detail17trampoline_kernelINS0_13select_configILj256ELj13ELNS0_17block_load_methodE3ELS4_3ELS4_3ELNS0_20block_scan_algorithmE0ELj4294967295EEENS1_25partition_config_selectorILNS1_17partition_subalgoE3EjNS0_10empty_typeEbEEZZNS1_14partition_implILS8_3ELb0ES6_jNS0_17counting_iteratorIjlEEPS9_SE_NS0_5tupleIJPjSE_EEENSF_IJSE_SE_EEES9_SG_JZNS1_25segmented_radix_sort_implINS0_14default_configELb0EPKdPdPKlPlN2at6native12_GLOBAL__N_18offset_tEEE10hipError_tPvRmT1_PNSt15iterator_traitsISY_E10value_typeET2_T3_PNSZ_IS14_E10value_typeET4_jRbjT5_S1A_jjP12ihipStream_tbEUljE_EEESV_SW_SX_S14_S18_S1A_T6_T7_T9_mT8_S1C_bDpT10_ENKUlT_T0_E_clISt17integral_constantIbLb0EES1P_EEDaS1K_S1L_EUlS1K_E_NS1_11comp_targetILNS1_3genE2ELNS1_11target_archE906ELNS1_3gpuE6ELNS1_3repE0EEENS1_30default_config_static_selectorELNS0_4arch9wavefront6targetE0EEEvSY_,"axG",@progbits,_ZN7rocprim17ROCPRIM_400000_NS6detail17trampoline_kernelINS0_13select_configILj256ELj13ELNS0_17block_load_methodE3ELS4_3ELS4_3ELNS0_20block_scan_algorithmE0ELj4294967295EEENS1_25partition_config_selectorILNS1_17partition_subalgoE3EjNS0_10empty_typeEbEEZZNS1_14partition_implILS8_3ELb0ES6_jNS0_17counting_iteratorIjlEEPS9_SE_NS0_5tupleIJPjSE_EEENSF_IJSE_SE_EEES9_SG_JZNS1_25segmented_radix_sort_implINS0_14default_configELb0EPKdPdPKlPlN2at6native12_GLOBAL__N_18offset_tEEE10hipError_tPvRmT1_PNSt15iterator_traitsISY_E10value_typeET2_T3_PNSZ_IS14_E10value_typeET4_jRbjT5_S1A_jjP12ihipStream_tbEUljE_EEESV_SW_SX_S14_S18_S1A_T6_T7_T9_mT8_S1C_bDpT10_ENKUlT_T0_E_clISt17integral_constantIbLb0EES1P_EEDaS1K_S1L_EUlS1K_E_NS1_11comp_targetILNS1_3genE2ELNS1_11target_archE906ELNS1_3gpuE6ELNS1_3repE0EEENS1_30default_config_static_selectorELNS0_4arch9wavefront6targetE0EEEvSY_,comdat
.Lfunc_end1185:
	.size	_ZN7rocprim17ROCPRIM_400000_NS6detail17trampoline_kernelINS0_13select_configILj256ELj13ELNS0_17block_load_methodE3ELS4_3ELS4_3ELNS0_20block_scan_algorithmE0ELj4294967295EEENS1_25partition_config_selectorILNS1_17partition_subalgoE3EjNS0_10empty_typeEbEEZZNS1_14partition_implILS8_3ELb0ES6_jNS0_17counting_iteratorIjlEEPS9_SE_NS0_5tupleIJPjSE_EEENSF_IJSE_SE_EEES9_SG_JZNS1_25segmented_radix_sort_implINS0_14default_configELb0EPKdPdPKlPlN2at6native12_GLOBAL__N_18offset_tEEE10hipError_tPvRmT1_PNSt15iterator_traitsISY_E10value_typeET2_T3_PNSZ_IS14_E10value_typeET4_jRbjT5_S1A_jjP12ihipStream_tbEUljE_EEESV_SW_SX_S14_S18_S1A_T6_T7_T9_mT8_S1C_bDpT10_ENKUlT_T0_E_clISt17integral_constantIbLb0EES1P_EEDaS1K_S1L_EUlS1K_E_NS1_11comp_targetILNS1_3genE2ELNS1_11target_archE906ELNS1_3gpuE6ELNS1_3repE0EEENS1_30default_config_static_selectorELNS0_4arch9wavefront6targetE0EEEvSY_, .Lfunc_end1185-_ZN7rocprim17ROCPRIM_400000_NS6detail17trampoline_kernelINS0_13select_configILj256ELj13ELNS0_17block_load_methodE3ELS4_3ELS4_3ELNS0_20block_scan_algorithmE0ELj4294967295EEENS1_25partition_config_selectorILNS1_17partition_subalgoE3EjNS0_10empty_typeEbEEZZNS1_14partition_implILS8_3ELb0ES6_jNS0_17counting_iteratorIjlEEPS9_SE_NS0_5tupleIJPjSE_EEENSF_IJSE_SE_EEES9_SG_JZNS1_25segmented_radix_sort_implINS0_14default_configELb0EPKdPdPKlPlN2at6native12_GLOBAL__N_18offset_tEEE10hipError_tPvRmT1_PNSt15iterator_traitsISY_E10value_typeET2_T3_PNSZ_IS14_E10value_typeET4_jRbjT5_S1A_jjP12ihipStream_tbEUljE_EEESV_SW_SX_S14_S18_S1A_T6_T7_T9_mT8_S1C_bDpT10_ENKUlT_T0_E_clISt17integral_constantIbLb0EES1P_EEDaS1K_S1L_EUlS1K_E_NS1_11comp_targetILNS1_3genE2ELNS1_11target_archE906ELNS1_3gpuE6ELNS1_3repE0EEENS1_30default_config_static_selectorELNS0_4arch9wavefront6targetE0EEEvSY_
                                        ; -- End function
	.set _ZN7rocprim17ROCPRIM_400000_NS6detail17trampoline_kernelINS0_13select_configILj256ELj13ELNS0_17block_load_methodE3ELS4_3ELS4_3ELNS0_20block_scan_algorithmE0ELj4294967295EEENS1_25partition_config_selectorILNS1_17partition_subalgoE3EjNS0_10empty_typeEbEEZZNS1_14partition_implILS8_3ELb0ES6_jNS0_17counting_iteratorIjlEEPS9_SE_NS0_5tupleIJPjSE_EEENSF_IJSE_SE_EEES9_SG_JZNS1_25segmented_radix_sort_implINS0_14default_configELb0EPKdPdPKlPlN2at6native12_GLOBAL__N_18offset_tEEE10hipError_tPvRmT1_PNSt15iterator_traitsISY_E10value_typeET2_T3_PNSZ_IS14_E10value_typeET4_jRbjT5_S1A_jjP12ihipStream_tbEUljE_EEESV_SW_SX_S14_S18_S1A_T6_T7_T9_mT8_S1C_bDpT10_ENKUlT_T0_E_clISt17integral_constantIbLb0EES1P_EEDaS1K_S1L_EUlS1K_E_NS1_11comp_targetILNS1_3genE2ELNS1_11target_archE906ELNS1_3gpuE6ELNS1_3repE0EEENS1_30default_config_static_selectorELNS0_4arch9wavefront6targetE0EEEvSY_.num_vgpr, 0
	.set _ZN7rocprim17ROCPRIM_400000_NS6detail17trampoline_kernelINS0_13select_configILj256ELj13ELNS0_17block_load_methodE3ELS4_3ELS4_3ELNS0_20block_scan_algorithmE0ELj4294967295EEENS1_25partition_config_selectorILNS1_17partition_subalgoE3EjNS0_10empty_typeEbEEZZNS1_14partition_implILS8_3ELb0ES6_jNS0_17counting_iteratorIjlEEPS9_SE_NS0_5tupleIJPjSE_EEENSF_IJSE_SE_EEES9_SG_JZNS1_25segmented_radix_sort_implINS0_14default_configELb0EPKdPdPKlPlN2at6native12_GLOBAL__N_18offset_tEEE10hipError_tPvRmT1_PNSt15iterator_traitsISY_E10value_typeET2_T3_PNSZ_IS14_E10value_typeET4_jRbjT5_S1A_jjP12ihipStream_tbEUljE_EEESV_SW_SX_S14_S18_S1A_T6_T7_T9_mT8_S1C_bDpT10_ENKUlT_T0_E_clISt17integral_constantIbLb0EES1P_EEDaS1K_S1L_EUlS1K_E_NS1_11comp_targetILNS1_3genE2ELNS1_11target_archE906ELNS1_3gpuE6ELNS1_3repE0EEENS1_30default_config_static_selectorELNS0_4arch9wavefront6targetE0EEEvSY_.num_agpr, 0
	.set _ZN7rocprim17ROCPRIM_400000_NS6detail17trampoline_kernelINS0_13select_configILj256ELj13ELNS0_17block_load_methodE3ELS4_3ELS4_3ELNS0_20block_scan_algorithmE0ELj4294967295EEENS1_25partition_config_selectorILNS1_17partition_subalgoE3EjNS0_10empty_typeEbEEZZNS1_14partition_implILS8_3ELb0ES6_jNS0_17counting_iteratorIjlEEPS9_SE_NS0_5tupleIJPjSE_EEENSF_IJSE_SE_EEES9_SG_JZNS1_25segmented_radix_sort_implINS0_14default_configELb0EPKdPdPKlPlN2at6native12_GLOBAL__N_18offset_tEEE10hipError_tPvRmT1_PNSt15iterator_traitsISY_E10value_typeET2_T3_PNSZ_IS14_E10value_typeET4_jRbjT5_S1A_jjP12ihipStream_tbEUljE_EEESV_SW_SX_S14_S18_S1A_T6_T7_T9_mT8_S1C_bDpT10_ENKUlT_T0_E_clISt17integral_constantIbLb0EES1P_EEDaS1K_S1L_EUlS1K_E_NS1_11comp_targetILNS1_3genE2ELNS1_11target_archE906ELNS1_3gpuE6ELNS1_3repE0EEENS1_30default_config_static_selectorELNS0_4arch9wavefront6targetE0EEEvSY_.numbered_sgpr, 0
	.set _ZN7rocprim17ROCPRIM_400000_NS6detail17trampoline_kernelINS0_13select_configILj256ELj13ELNS0_17block_load_methodE3ELS4_3ELS4_3ELNS0_20block_scan_algorithmE0ELj4294967295EEENS1_25partition_config_selectorILNS1_17partition_subalgoE3EjNS0_10empty_typeEbEEZZNS1_14partition_implILS8_3ELb0ES6_jNS0_17counting_iteratorIjlEEPS9_SE_NS0_5tupleIJPjSE_EEENSF_IJSE_SE_EEES9_SG_JZNS1_25segmented_radix_sort_implINS0_14default_configELb0EPKdPdPKlPlN2at6native12_GLOBAL__N_18offset_tEEE10hipError_tPvRmT1_PNSt15iterator_traitsISY_E10value_typeET2_T3_PNSZ_IS14_E10value_typeET4_jRbjT5_S1A_jjP12ihipStream_tbEUljE_EEESV_SW_SX_S14_S18_S1A_T6_T7_T9_mT8_S1C_bDpT10_ENKUlT_T0_E_clISt17integral_constantIbLb0EES1P_EEDaS1K_S1L_EUlS1K_E_NS1_11comp_targetILNS1_3genE2ELNS1_11target_archE906ELNS1_3gpuE6ELNS1_3repE0EEENS1_30default_config_static_selectorELNS0_4arch9wavefront6targetE0EEEvSY_.num_named_barrier, 0
	.set _ZN7rocprim17ROCPRIM_400000_NS6detail17trampoline_kernelINS0_13select_configILj256ELj13ELNS0_17block_load_methodE3ELS4_3ELS4_3ELNS0_20block_scan_algorithmE0ELj4294967295EEENS1_25partition_config_selectorILNS1_17partition_subalgoE3EjNS0_10empty_typeEbEEZZNS1_14partition_implILS8_3ELb0ES6_jNS0_17counting_iteratorIjlEEPS9_SE_NS0_5tupleIJPjSE_EEENSF_IJSE_SE_EEES9_SG_JZNS1_25segmented_radix_sort_implINS0_14default_configELb0EPKdPdPKlPlN2at6native12_GLOBAL__N_18offset_tEEE10hipError_tPvRmT1_PNSt15iterator_traitsISY_E10value_typeET2_T3_PNSZ_IS14_E10value_typeET4_jRbjT5_S1A_jjP12ihipStream_tbEUljE_EEESV_SW_SX_S14_S18_S1A_T6_T7_T9_mT8_S1C_bDpT10_ENKUlT_T0_E_clISt17integral_constantIbLb0EES1P_EEDaS1K_S1L_EUlS1K_E_NS1_11comp_targetILNS1_3genE2ELNS1_11target_archE906ELNS1_3gpuE6ELNS1_3repE0EEENS1_30default_config_static_selectorELNS0_4arch9wavefront6targetE0EEEvSY_.private_seg_size, 0
	.set _ZN7rocprim17ROCPRIM_400000_NS6detail17trampoline_kernelINS0_13select_configILj256ELj13ELNS0_17block_load_methodE3ELS4_3ELS4_3ELNS0_20block_scan_algorithmE0ELj4294967295EEENS1_25partition_config_selectorILNS1_17partition_subalgoE3EjNS0_10empty_typeEbEEZZNS1_14partition_implILS8_3ELb0ES6_jNS0_17counting_iteratorIjlEEPS9_SE_NS0_5tupleIJPjSE_EEENSF_IJSE_SE_EEES9_SG_JZNS1_25segmented_radix_sort_implINS0_14default_configELb0EPKdPdPKlPlN2at6native12_GLOBAL__N_18offset_tEEE10hipError_tPvRmT1_PNSt15iterator_traitsISY_E10value_typeET2_T3_PNSZ_IS14_E10value_typeET4_jRbjT5_S1A_jjP12ihipStream_tbEUljE_EEESV_SW_SX_S14_S18_S1A_T6_T7_T9_mT8_S1C_bDpT10_ENKUlT_T0_E_clISt17integral_constantIbLb0EES1P_EEDaS1K_S1L_EUlS1K_E_NS1_11comp_targetILNS1_3genE2ELNS1_11target_archE906ELNS1_3gpuE6ELNS1_3repE0EEENS1_30default_config_static_selectorELNS0_4arch9wavefront6targetE0EEEvSY_.uses_vcc, 0
	.set _ZN7rocprim17ROCPRIM_400000_NS6detail17trampoline_kernelINS0_13select_configILj256ELj13ELNS0_17block_load_methodE3ELS4_3ELS4_3ELNS0_20block_scan_algorithmE0ELj4294967295EEENS1_25partition_config_selectorILNS1_17partition_subalgoE3EjNS0_10empty_typeEbEEZZNS1_14partition_implILS8_3ELb0ES6_jNS0_17counting_iteratorIjlEEPS9_SE_NS0_5tupleIJPjSE_EEENSF_IJSE_SE_EEES9_SG_JZNS1_25segmented_radix_sort_implINS0_14default_configELb0EPKdPdPKlPlN2at6native12_GLOBAL__N_18offset_tEEE10hipError_tPvRmT1_PNSt15iterator_traitsISY_E10value_typeET2_T3_PNSZ_IS14_E10value_typeET4_jRbjT5_S1A_jjP12ihipStream_tbEUljE_EEESV_SW_SX_S14_S18_S1A_T6_T7_T9_mT8_S1C_bDpT10_ENKUlT_T0_E_clISt17integral_constantIbLb0EES1P_EEDaS1K_S1L_EUlS1K_E_NS1_11comp_targetILNS1_3genE2ELNS1_11target_archE906ELNS1_3gpuE6ELNS1_3repE0EEENS1_30default_config_static_selectorELNS0_4arch9wavefront6targetE0EEEvSY_.uses_flat_scratch, 0
	.set _ZN7rocprim17ROCPRIM_400000_NS6detail17trampoline_kernelINS0_13select_configILj256ELj13ELNS0_17block_load_methodE3ELS4_3ELS4_3ELNS0_20block_scan_algorithmE0ELj4294967295EEENS1_25partition_config_selectorILNS1_17partition_subalgoE3EjNS0_10empty_typeEbEEZZNS1_14partition_implILS8_3ELb0ES6_jNS0_17counting_iteratorIjlEEPS9_SE_NS0_5tupleIJPjSE_EEENSF_IJSE_SE_EEES9_SG_JZNS1_25segmented_radix_sort_implINS0_14default_configELb0EPKdPdPKlPlN2at6native12_GLOBAL__N_18offset_tEEE10hipError_tPvRmT1_PNSt15iterator_traitsISY_E10value_typeET2_T3_PNSZ_IS14_E10value_typeET4_jRbjT5_S1A_jjP12ihipStream_tbEUljE_EEESV_SW_SX_S14_S18_S1A_T6_T7_T9_mT8_S1C_bDpT10_ENKUlT_T0_E_clISt17integral_constantIbLb0EES1P_EEDaS1K_S1L_EUlS1K_E_NS1_11comp_targetILNS1_3genE2ELNS1_11target_archE906ELNS1_3gpuE6ELNS1_3repE0EEENS1_30default_config_static_selectorELNS0_4arch9wavefront6targetE0EEEvSY_.has_dyn_sized_stack, 0
	.set _ZN7rocprim17ROCPRIM_400000_NS6detail17trampoline_kernelINS0_13select_configILj256ELj13ELNS0_17block_load_methodE3ELS4_3ELS4_3ELNS0_20block_scan_algorithmE0ELj4294967295EEENS1_25partition_config_selectorILNS1_17partition_subalgoE3EjNS0_10empty_typeEbEEZZNS1_14partition_implILS8_3ELb0ES6_jNS0_17counting_iteratorIjlEEPS9_SE_NS0_5tupleIJPjSE_EEENSF_IJSE_SE_EEES9_SG_JZNS1_25segmented_radix_sort_implINS0_14default_configELb0EPKdPdPKlPlN2at6native12_GLOBAL__N_18offset_tEEE10hipError_tPvRmT1_PNSt15iterator_traitsISY_E10value_typeET2_T3_PNSZ_IS14_E10value_typeET4_jRbjT5_S1A_jjP12ihipStream_tbEUljE_EEESV_SW_SX_S14_S18_S1A_T6_T7_T9_mT8_S1C_bDpT10_ENKUlT_T0_E_clISt17integral_constantIbLb0EES1P_EEDaS1K_S1L_EUlS1K_E_NS1_11comp_targetILNS1_3genE2ELNS1_11target_archE906ELNS1_3gpuE6ELNS1_3repE0EEENS1_30default_config_static_selectorELNS0_4arch9wavefront6targetE0EEEvSY_.has_recursion, 0
	.set _ZN7rocprim17ROCPRIM_400000_NS6detail17trampoline_kernelINS0_13select_configILj256ELj13ELNS0_17block_load_methodE3ELS4_3ELS4_3ELNS0_20block_scan_algorithmE0ELj4294967295EEENS1_25partition_config_selectorILNS1_17partition_subalgoE3EjNS0_10empty_typeEbEEZZNS1_14partition_implILS8_3ELb0ES6_jNS0_17counting_iteratorIjlEEPS9_SE_NS0_5tupleIJPjSE_EEENSF_IJSE_SE_EEES9_SG_JZNS1_25segmented_radix_sort_implINS0_14default_configELb0EPKdPdPKlPlN2at6native12_GLOBAL__N_18offset_tEEE10hipError_tPvRmT1_PNSt15iterator_traitsISY_E10value_typeET2_T3_PNSZ_IS14_E10value_typeET4_jRbjT5_S1A_jjP12ihipStream_tbEUljE_EEESV_SW_SX_S14_S18_S1A_T6_T7_T9_mT8_S1C_bDpT10_ENKUlT_T0_E_clISt17integral_constantIbLb0EES1P_EEDaS1K_S1L_EUlS1K_E_NS1_11comp_targetILNS1_3genE2ELNS1_11target_archE906ELNS1_3gpuE6ELNS1_3repE0EEENS1_30default_config_static_selectorELNS0_4arch9wavefront6targetE0EEEvSY_.has_indirect_call, 0
	.section	.AMDGPU.csdata,"",@progbits
; Kernel info:
; codeLenInByte = 0
; TotalNumSgprs: 0
; NumVgprs: 0
; ScratchSize: 0
; MemoryBound: 0
; FloatMode: 240
; IeeeMode: 1
; LDSByteSize: 0 bytes/workgroup (compile time only)
; SGPRBlocks: 0
; VGPRBlocks: 0
; NumSGPRsForWavesPerEU: 1
; NumVGPRsForWavesPerEU: 1
; Occupancy: 16
; WaveLimiterHint : 0
; COMPUTE_PGM_RSRC2:SCRATCH_EN: 0
; COMPUTE_PGM_RSRC2:USER_SGPR: 6
; COMPUTE_PGM_RSRC2:TRAP_HANDLER: 0
; COMPUTE_PGM_RSRC2:TGID_X_EN: 1
; COMPUTE_PGM_RSRC2:TGID_Y_EN: 0
; COMPUTE_PGM_RSRC2:TGID_Z_EN: 0
; COMPUTE_PGM_RSRC2:TIDIG_COMP_CNT: 0
	.section	.text._ZN7rocprim17ROCPRIM_400000_NS6detail17trampoline_kernelINS0_13select_configILj256ELj13ELNS0_17block_load_methodE3ELS4_3ELS4_3ELNS0_20block_scan_algorithmE0ELj4294967295EEENS1_25partition_config_selectorILNS1_17partition_subalgoE3EjNS0_10empty_typeEbEEZZNS1_14partition_implILS8_3ELb0ES6_jNS0_17counting_iteratorIjlEEPS9_SE_NS0_5tupleIJPjSE_EEENSF_IJSE_SE_EEES9_SG_JZNS1_25segmented_radix_sort_implINS0_14default_configELb0EPKdPdPKlPlN2at6native12_GLOBAL__N_18offset_tEEE10hipError_tPvRmT1_PNSt15iterator_traitsISY_E10value_typeET2_T3_PNSZ_IS14_E10value_typeET4_jRbjT5_S1A_jjP12ihipStream_tbEUljE_EEESV_SW_SX_S14_S18_S1A_T6_T7_T9_mT8_S1C_bDpT10_ENKUlT_T0_E_clISt17integral_constantIbLb0EES1P_EEDaS1K_S1L_EUlS1K_E_NS1_11comp_targetILNS1_3genE10ELNS1_11target_archE1200ELNS1_3gpuE4ELNS1_3repE0EEENS1_30default_config_static_selectorELNS0_4arch9wavefront6targetE0EEEvSY_,"axG",@progbits,_ZN7rocprim17ROCPRIM_400000_NS6detail17trampoline_kernelINS0_13select_configILj256ELj13ELNS0_17block_load_methodE3ELS4_3ELS4_3ELNS0_20block_scan_algorithmE0ELj4294967295EEENS1_25partition_config_selectorILNS1_17partition_subalgoE3EjNS0_10empty_typeEbEEZZNS1_14partition_implILS8_3ELb0ES6_jNS0_17counting_iteratorIjlEEPS9_SE_NS0_5tupleIJPjSE_EEENSF_IJSE_SE_EEES9_SG_JZNS1_25segmented_radix_sort_implINS0_14default_configELb0EPKdPdPKlPlN2at6native12_GLOBAL__N_18offset_tEEE10hipError_tPvRmT1_PNSt15iterator_traitsISY_E10value_typeET2_T3_PNSZ_IS14_E10value_typeET4_jRbjT5_S1A_jjP12ihipStream_tbEUljE_EEESV_SW_SX_S14_S18_S1A_T6_T7_T9_mT8_S1C_bDpT10_ENKUlT_T0_E_clISt17integral_constantIbLb0EES1P_EEDaS1K_S1L_EUlS1K_E_NS1_11comp_targetILNS1_3genE10ELNS1_11target_archE1200ELNS1_3gpuE4ELNS1_3repE0EEENS1_30default_config_static_selectorELNS0_4arch9wavefront6targetE0EEEvSY_,comdat
	.globl	_ZN7rocprim17ROCPRIM_400000_NS6detail17trampoline_kernelINS0_13select_configILj256ELj13ELNS0_17block_load_methodE3ELS4_3ELS4_3ELNS0_20block_scan_algorithmE0ELj4294967295EEENS1_25partition_config_selectorILNS1_17partition_subalgoE3EjNS0_10empty_typeEbEEZZNS1_14partition_implILS8_3ELb0ES6_jNS0_17counting_iteratorIjlEEPS9_SE_NS0_5tupleIJPjSE_EEENSF_IJSE_SE_EEES9_SG_JZNS1_25segmented_radix_sort_implINS0_14default_configELb0EPKdPdPKlPlN2at6native12_GLOBAL__N_18offset_tEEE10hipError_tPvRmT1_PNSt15iterator_traitsISY_E10value_typeET2_T3_PNSZ_IS14_E10value_typeET4_jRbjT5_S1A_jjP12ihipStream_tbEUljE_EEESV_SW_SX_S14_S18_S1A_T6_T7_T9_mT8_S1C_bDpT10_ENKUlT_T0_E_clISt17integral_constantIbLb0EES1P_EEDaS1K_S1L_EUlS1K_E_NS1_11comp_targetILNS1_3genE10ELNS1_11target_archE1200ELNS1_3gpuE4ELNS1_3repE0EEENS1_30default_config_static_selectorELNS0_4arch9wavefront6targetE0EEEvSY_ ; -- Begin function _ZN7rocprim17ROCPRIM_400000_NS6detail17trampoline_kernelINS0_13select_configILj256ELj13ELNS0_17block_load_methodE3ELS4_3ELS4_3ELNS0_20block_scan_algorithmE0ELj4294967295EEENS1_25partition_config_selectorILNS1_17partition_subalgoE3EjNS0_10empty_typeEbEEZZNS1_14partition_implILS8_3ELb0ES6_jNS0_17counting_iteratorIjlEEPS9_SE_NS0_5tupleIJPjSE_EEENSF_IJSE_SE_EEES9_SG_JZNS1_25segmented_radix_sort_implINS0_14default_configELb0EPKdPdPKlPlN2at6native12_GLOBAL__N_18offset_tEEE10hipError_tPvRmT1_PNSt15iterator_traitsISY_E10value_typeET2_T3_PNSZ_IS14_E10value_typeET4_jRbjT5_S1A_jjP12ihipStream_tbEUljE_EEESV_SW_SX_S14_S18_S1A_T6_T7_T9_mT8_S1C_bDpT10_ENKUlT_T0_E_clISt17integral_constantIbLb0EES1P_EEDaS1K_S1L_EUlS1K_E_NS1_11comp_targetILNS1_3genE10ELNS1_11target_archE1200ELNS1_3gpuE4ELNS1_3repE0EEENS1_30default_config_static_selectorELNS0_4arch9wavefront6targetE0EEEvSY_
	.p2align	8
	.type	_ZN7rocprim17ROCPRIM_400000_NS6detail17trampoline_kernelINS0_13select_configILj256ELj13ELNS0_17block_load_methodE3ELS4_3ELS4_3ELNS0_20block_scan_algorithmE0ELj4294967295EEENS1_25partition_config_selectorILNS1_17partition_subalgoE3EjNS0_10empty_typeEbEEZZNS1_14partition_implILS8_3ELb0ES6_jNS0_17counting_iteratorIjlEEPS9_SE_NS0_5tupleIJPjSE_EEENSF_IJSE_SE_EEES9_SG_JZNS1_25segmented_radix_sort_implINS0_14default_configELb0EPKdPdPKlPlN2at6native12_GLOBAL__N_18offset_tEEE10hipError_tPvRmT1_PNSt15iterator_traitsISY_E10value_typeET2_T3_PNSZ_IS14_E10value_typeET4_jRbjT5_S1A_jjP12ihipStream_tbEUljE_EEESV_SW_SX_S14_S18_S1A_T6_T7_T9_mT8_S1C_bDpT10_ENKUlT_T0_E_clISt17integral_constantIbLb0EES1P_EEDaS1K_S1L_EUlS1K_E_NS1_11comp_targetILNS1_3genE10ELNS1_11target_archE1200ELNS1_3gpuE4ELNS1_3repE0EEENS1_30default_config_static_selectorELNS0_4arch9wavefront6targetE0EEEvSY_,@function
_ZN7rocprim17ROCPRIM_400000_NS6detail17trampoline_kernelINS0_13select_configILj256ELj13ELNS0_17block_load_methodE3ELS4_3ELS4_3ELNS0_20block_scan_algorithmE0ELj4294967295EEENS1_25partition_config_selectorILNS1_17partition_subalgoE3EjNS0_10empty_typeEbEEZZNS1_14partition_implILS8_3ELb0ES6_jNS0_17counting_iteratorIjlEEPS9_SE_NS0_5tupleIJPjSE_EEENSF_IJSE_SE_EEES9_SG_JZNS1_25segmented_radix_sort_implINS0_14default_configELb0EPKdPdPKlPlN2at6native12_GLOBAL__N_18offset_tEEE10hipError_tPvRmT1_PNSt15iterator_traitsISY_E10value_typeET2_T3_PNSZ_IS14_E10value_typeET4_jRbjT5_S1A_jjP12ihipStream_tbEUljE_EEESV_SW_SX_S14_S18_S1A_T6_T7_T9_mT8_S1C_bDpT10_ENKUlT_T0_E_clISt17integral_constantIbLb0EES1P_EEDaS1K_S1L_EUlS1K_E_NS1_11comp_targetILNS1_3genE10ELNS1_11target_archE1200ELNS1_3gpuE4ELNS1_3repE0EEENS1_30default_config_static_selectorELNS0_4arch9wavefront6targetE0EEEvSY_: ; @_ZN7rocprim17ROCPRIM_400000_NS6detail17trampoline_kernelINS0_13select_configILj256ELj13ELNS0_17block_load_methodE3ELS4_3ELS4_3ELNS0_20block_scan_algorithmE0ELj4294967295EEENS1_25partition_config_selectorILNS1_17partition_subalgoE3EjNS0_10empty_typeEbEEZZNS1_14partition_implILS8_3ELb0ES6_jNS0_17counting_iteratorIjlEEPS9_SE_NS0_5tupleIJPjSE_EEENSF_IJSE_SE_EEES9_SG_JZNS1_25segmented_radix_sort_implINS0_14default_configELb0EPKdPdPKlPlN2at6native12_GLOBAL__N_18offset_tEEE10hipError_tPvRmT1_PNSt15iterator_traitsISY_E10value_typeET2_T3_PNSZ_IS14_E10value_typeET4_jRbjT5_S1A_jjP12ihipStream_tbEUljE_EEESV_SW_SX_S14_S18_S1A_T6_T7_T9_mT8_S1C_bDpT10_ENKUlT_T0_E_clISt17integral_constantIbLb0EES1P_EEDaS1K_S1L_EUlS1K_E_NS1_11comp_targetILNS1_3genE10ELNS1_11target_archE1200ELNS1_3gpuE4ELNS1_3repE0EEENS1_30default_config_static_selectorELNS0_4arch9wavefront6targetE0EEEvSY_
; %bb.0:
	.section	.rodata,"a",@progbits
	.p2align	6, 0x0
	.amdhsa_kernel _ZN7rocprim17ROCPRIM_400000_NS6detail17trampoline_kernelINS0_13select_configILj256ELj13ELNS0_17block_load_methodE3ELS4_3ELS4_3ELNS0_20block_scan_algorithmE0ELj4294967295EEENS1_25partition_config_selectorILNS1_17partition_subalgoE3EjNS0_10empty_typeEbEEZZNS1_14partition_implILS8_3ELb0ES6_jNS0_17counting_iteratorIjlEEPS9_SE_NS0_5tupleIJPjSE_EEENSF_IJSE_SE_EEES9_SG_JZNS1_25segmented_radix_sort_implINS0_14default_configELb0EPKdPdPKlPlN2at6native12_GLOBAL__N_18offset_tEEE10hipError_tPvRmT1_PNSt15iterator_traitsISY_E10value_typeET2_T3_PNSZ_IS14_E10value_typeET4_jRbjT5_S1A_jjP12ihipStream_tbEUljE_EEESV_SW_SX_S14_S18_S1A_T6_T7_T9_mT8_S1C_bDpT10_ENKUlT_T0_E_clISt17integral_constantIbLb0EES1P_EEDaS1K_S1L_EUlS1K_E_NS1_11comp_targetILNS1_3genE10ELNS1_11target_archE1200ELNS1_3gpuE4ELNS1_3repE0EEENS1_30default_config_static_selectorELNS0_4arch9wavefront6targetE0EEEvSY_
		.amdhsa_group_segment_fixed_size 0
		.amdhsa_private_segment_fixed_size 0
		.amdhsa_kernarg_size 144
		.amdhsa_user_sgpr_count 6
		.amdhsa_user_sgpr_private_segment_buffer 1
		.amdhsa_user_sgpr_dispatch_ptr 0
		.amdhsa_user_sgpr_queue_ptr 0
		.amdhsa_user_sgpr_kernarg_segment_ptr 1
		.amdhsa_user_sgpr_dispatch_id 0
		.amdhsa_user_sgpr_flat_scratch_init 0
		.amdhsa_user_sgpr_private_segment_size 0
		.amdhsa_wavefront_size32 1
		.amdhsa_uses_dynamic_stack 0
		.amdhsa_system_sgpr_private_segment_wavefront_offset 0
		.amdhsa_system_sgpr_workgroup_id_x 1
		.amdhsa_system_sgpr_workgroup_id_y 0
		.amdhsa_system_sgpr_workgroup_id_z 0
		.amdhsa_system_sgpr_workgroup_info 0
		.amdhsa_system_vgpr_workitem_id 0
		.amdhsa_next_free_vgpr 1
		.amdhsa_next_free_sgpr 1
		.amdhsa_reserve_vcc 0
		.amdhsa_reserve_flat_scratch 0
		.amdhsa_float_round_mode_32 0
		.amdhsa_float_round_mode_16_64 0
		.amdhsa_float_denorm_mode_32 3
		.amdhsa_float_denorm_mode_16_64 3
		.amdhsa_dx10_clamp 1
		.amdhsa_ieee_mode 1
		.amdhsa_fp16_overflow 0
		.amdhsa_workgroup_processor_mode 1
		.amdhsa_memory_ordered 1
		.amdhsa_forward_progress 1
		.amdhsa_shared_vgpr_count 0
		.amdhsa_exception_fp_ieee_invalid_op 0
		.amdhsa_exception_fp_denorm_src 0
		.amdhsa_exception_fp_ieee_div_zero 0
		.amdhsa_exception_fp_ieee_overflow 0
		.amdhsa_exception_fp_ieee_underflow 0
		.amdhsa_exception_fp_ieee_inexact 0
		.amdhsa_exception_int_div_zero 0
	.end_amdhsa_kernel
	.section	.text._ZN7rocprim17ROCPRIM_400000_NS6detail17trampoline_kernelINS0_13select_configILj256ELj13ELNS0_17block_load_methodE3ELS4_3ELS4_3ELNS0_20block_scan_algorithmE0ELj4294967295EEENS1_25partition_config_selectorILNS1_17partition_subalgoE3EjNS0_10empty_typeEbEEZZNS1_14partition_implILS8_3ELb0ES6_jNS0_17counting_iteratorIjlEEPS9_SE_NS0_5tupleIJPjSE_EEENSF_IJSE_SE_EEES9_SG_JZNS1_25segmented_radix_sort_implINS0_14default_configELb0EPKdPdPKlPlN2at6native12_GLOBAL__N_18offset_tEEE10hipError_tPvRmT1_PNSt15iterator_traitsISY_E10value_typeET2_T3_PNSZ_IS14_E10value_typeET4_jRbjT5_S1A_jjP12ihipStream_tbEUljE_EEESV_SW_SX_S14_S18_S1A_T6_T7_T9_mT8_S1C_bDpT10_ENKUlT_T0_E_clISt17integral_constantIbLb0EES1P_EEDaS1K_S1L_EUlS1K_E_NS1_11comp_targetILNS1_3genE10ELNS1_11target_archE1200ELNS1_3gpuE4ELNS1_3repE0EEENS1_30default_config_static_selectorELNS0_4arch9wavefront6targetE0EEEvSY_,"axG",@progbits,_ZN7rocprim17ROCPRIM_400000_NS6detail17trampoline_kernelINS0_13select_configILj256ELj13ELNS0_17block_load_methodE3ELS4_3ELS4_3ELNS0_20block_scan_algorithmE0ELj4294967295EEENS1_25partition_config_selectorILNS1_17partition_subalgoE3EjNS0_10empty_typeEbEEZZNS1_14partition_implILS8_3ELb0ES6_jNS0_17counting_iteratorIjlEEPS9_SE_NS0_5tupleIJPjSE_EEENSF_IJSE_SE_EEES9_SG_JZNS1_25segmented_radix_sort_implINS0_14default_configELb0EPKdPdPKlPlN2at6native12_GLOBAL__N_18offset_tEEE10hipError_tPvRmT1_PNSt15iterator_traitsISY_E10value_typeET2_T3_PNSZ_IS14_E10value_typeET4_jRbjT5_S1A_jjP12ihipStream_tbEUljE_EEESV_SW_SX_S14_S18_S1A_T6_T7_T9_mT8_S1C_bDpT10_ENKUlT_T0_E_clISt17integral_constantIbLb0EES1P_EEDaS1K_S1L_EUlS1K_E_NS1_11comp_targetILNS1_3genE10ELNS1_11target_archE1200ELNS1_3gpuE4ELNS1_3repE0EEENS1_30default_config_static_selectorELNS0_4arch9wavefront6targetE0EEEvSY_,comdat
.Lfunc_end1186:
	.size	_ZN7rocprim17ROCPRIM_400000_NS6detail17trampoline_kernelINS0_13select_configILj256ELj13ELNS0_17block_load_methodE3ELS4_3ELS4_3ELNS0_20block_scan_algorithmE0ELj4294967295EEENS1_25partition_config_selectorILNS1_17partition_subalgoE3EjNS0_10empty_typeEbEEZZNS1_14partition_implILS8_3ELb0ES6_jNS0_17counting_iteratorIjlEEPS9_SE_NS0_5tupleIJPjSE_EEENSF_IJSE_SE_EEES9_SG_JZNS1_25segmented_radix_sort_implINS0_14default_configELb0EPKdPdPKlPlN2at6native12_GLOBAL__N_18offset_tEEE10hipError_tPvRmT1_PNSt15iterator_traitsISY_E10value_typeET2_T3_PNSZ_IS14_E10value_typeET4_jRbjT5_S1A_jjP12ihipStream_tbEUljE_EEESV_SW_SX_S14_S18_S1A_T6_T7_T9_mT8_S1C_bDpT10_ENKUlT_T0_E_clISt17integral_constantIbLb0EES1P_EEDaS1K_S1L_EUlS1K_E_NS1_11comp_targetILNS1_3genE10ELNS1_11target_archE1200ELNS1_3gpuE4ELNS1_3repE0EEENS1_30default_config_static_selectorELNS0_4arch9wavefront6targetE0EEEvSY_, .Lfunc_end1186-_ZN7rocprim17ROCPRIM_400000_NS6detail17trampoline_kernelINS0_13select_configILj256ELj13ELNS0_17block_load_methodE3ELS4_3ELS4_3ELNS0_20block_scan_algorithmE0ELj4294967295EEENS1_25partition_config_selectorILNS1_17partition_subalgoE3EjNS0_10empty_typeEbEEZZNS1_14partition_implILS8_3ELb0ES6_jNS0_17counting_iteratorIjlEEPS9_SE_NS0_5tupleIJPjSE_EEENSF_IJSE_SE_EEES9_SG_JZNS1_25segmented_radix_sort_implINS0_14default_configELb0EPKdPdPKlPlN2at6native12_GLOBAL__N_18offset_tEEE10hipError_tPvRmT1_PNSt15iterator_traitsISY_E10value_typeET2_T3_PNSZ_IS14_E10value_typeET4_jRbjT5_S1A_jjP12ihipStream_tbEUljE_EEESV_SW_SX_S14_S18_S1A_T6_T7_T9_mT8_S1C_bDpT10_ENKUlT_T0_E_clISt17integral_constantIbLb0EES1P_EEDaS1K_S1L_EUlS1K_E_NS1_11comp_targetILNS1_3genE10ELNS1_11target_archE1200ELNS1_3gpuE4ELNS1_3repE0EEENS1_30default_config_static_selectorELNS0_4arch9wavefront6targetE0EEEvSY_
                                        ; -- End function
	.set _ZN7rocprim17ROCPRIM_400000_NS6detail17trampoline_kernelINS0_13select_configILj256ELj13ELNS0_17block_load_methodE3ELS4_3ELS4_3ELNS0_20block_scan_algorithmE0ELj4294967295EEENS1_25partition_config_selectorILNS1_17partition_subalgoE3EjNS0_10empty_typeEbEEZZNS1_14partition_implILS8_3ELb0ES6_jNS0_17counting_iteratorIjlEEPS9_SE_NS0_5tupleIJPjSE_EEENSF_IJSE_SE_EEES9_SG_JZNS1_25segmented_radix_sort_implINS0_14default_configELb0EPKdPdPKlPlN2at6native12_GLOBAL__N_18offset_tEEE10hipError_tPvRmT1_PNSt15iterator_traitsISY_E10value_typeET2_T3_PNSZ_IS14_E10value_typeET4_jRbjT5_S1A_jjP12ihipStream_tbEUljE_EEESV_SW_SX_S14_S18_S1A_T6_T7_T9_mT8_S1C_bDpT10_ENKUlT_T0_E_clISt17integral_constantIbLb0EES1P_EEDaS1K_S1L_EUlS1K_E_NS1_11comp_targetILNS1_3genE10ELNS1_11target_archE1200ELNS1_3gpuE4ELNS1_3repE0EEENS1_30default_config_static_selectorELNS0_4arch9wavefront6targetE0EEEvSY_.num_vgpr, 0
	.set _ZN7rocprim17ROCPRIM_400000_NS6detail17trampoline_kernelINS0_13select_configILj256ELj13ELNS0_17block_load_methodE3ELS4_3ELS4_3ELNS0_20block_scan_algorithmE0ELj4294967295EEENS1_25partition_config_selectorILNS1_17partition_subalgoE3EjNS0_10empty_typeEbEEZZNS1_14partition_implILS8_3ELb0ES6_jNS0_17counting_iteratorIjlEEPS9_SE_NS0_5tupleIJPjSE_EEENSF_IJSE_SE_EEES9_SG_JZNS1_25segmented_radix_sort_implINS0_14default_configELb0EPKdPdPKlPlN2at6native12_GLOBAL__N_18offset_tEEE10hipError_tPvRmT1_PNSt15iterator_traitsISY_E10value_typeET2_T3_PNSZ_IS14_E10value_typeET4_jRbjT5_S1A_jjP12ihipStream_tbEUljE_EEESV_SW_SX_S14_S18_S1A_T6_T7_T9_mT8_S1C_bDpT10_ENKUlT_T0_E_clISt17integral_constantIbLb0EES1P_EEDaS1K_S1L_EUlS1K_E_NS1_11comp_targetILNS1_3genE10ELNS1_11target_archE1200ELNS1_3gpuE4ELNS1_3repE0EEENS1_30default_config_static_selectorELNS0_4arch9wavefront6targetE0EEEvSY_.num_agpr, 0
	.set _ZN7rocprim17ROCPRIM_400000_NS6detail17trampoline_kernelINS0_13select_configILj256ELj13ELNS0_17block_load_methodE3ELS4_3ELS4_3ELNS0_20block_scan_algorithmE0ELj4294967295EEENS1_25partition_config_selectorILNS1_17partition_subalgoE3EjNS0_10empty_typeEbEEZZNS1_14partition_implILS8_3ELb0ES6_jNS0_17counting_iteratorIjlEEPS9_SE_NS0_5tupleIJPjSE_EEENSF_IJSE_SE_EEES9_SG_JZNS1_25segmented_radix_sort_implINS0_14default_configELb0EPKdPdPKlPlN2at6native12_GLOBAL__N_18offset_tEEE10hipError_tPvRmT1_PNSt15iterator_traitsISY_E10value_typeET2_T3_PNSZ_IS14_E10value_typeET4_jRbjT5_S1A_jjP12ihipStream_tbEUljE_EEESV_SW_SX_S14_S18_S1A_T6_T7_T9_mT8_S1C_bDpT10_ENKUlT_T0_E_clISt17integral_constantIbLb0EES1P_EEDaS1K_S1L_EUlS1K_E_NS1_11comp_targetILNS1_3genE10ELNS1_11target_archE1200ELNS1_3gpuE4ELNS1_3repE0EEENS1_30default_config_static_selectorELNS0_4arch9wavefront6targetE0EEEvSY_.numbered_sgpr, 0
	.set _ZN7rocprim17ROCPRIM_400000_NS6detail17trampoline_kernelINS0_13select_configILj256ELj13ELNS0_17block_load_methodE3ELS4_3ELS4_3ELNS0_20block_scan_algorithmE0ELj4294967295EEENS1_25partition_config_selectorILNS1_17partition_subalgoE3EjNS0_10empty_typeEbEEZZNS1_14partition_implILS8_3ELb0ES6_jNS0_17counting_iteratorIjlEEPS9_SE_NS0_5tupleIJPjSE_EEENSF_IJSE_SE_EEES9_SG_JZNS1_25segmented_radix_sort_implINS0_14default_configELb0EPKdPdPKlPlN2at6native12_GLOBAL__N_18offset_tEEE10hipError_tPvRmT1_PNSt15iterator_traitsISY_E10value_typeET2_T3_PNSZ_IS14_E10value_typeET4_jRbjT5_S1A_jjP12ihipStream_tbEUljE_EEESV_SW_SX_S14_S18_S1A_T6_T7_T9_mT8_S1C_bDpT10_ENKUlT_T0_E_clISt17integral_constantIbLb0EES1P_EEDaS1K_S1L_EUlS1K_E_NS1_11comp_targetILNS1_3genE10ELNS1_11target_archE1200ELNS1_3gpuE4ELNS1_3repE0EEENS1_30default_config_static_selectorELNS0_4arch9wavefront6targetE0EEEvSY_.num_named_barrier, 0
	.set _ZN7rocprim17ROCPRIM_400000_NS6detail17trampoline_kernelINS0_13select_configILj256ELj13ELNS0_17block_load_methodE3ELS4_3ELS4_3ELNS0_20block_scan_algorithmE0ELj4294967295EEENS1_25partition_config_selectorILNS1_17partition_subalgoE3EjNS0_10empty_typeEbEEZZNS1_14partition_implILS8_3ELb0ES6_jNS0_17counting_iteratorIjlEEPS9_SE_NS0_5tupleIJPjSE_EEENSF_IJSE_SE_EEES9_SG_JZNS1_25segmented_radix_sort_implINS0_14default_configELb0EPKdPdPKlPlN2at6native12_GLOBAL__N_18offset_tEEE10hipError_tPvRmT1_PNSt15iterator_traitsISY_E10value_typeET2_T3_PNSZ_IS14_E10value_typeET4_jRbjT5_S1A_jjP12ihipStream_tbEUljE_EEESV_SW_SX_S14_S18_S1A_T6_T7_T9_mT8_S1C_bDpT10_ENKUlT_T0_E_clISt17integral_constantIbLb0EES1P_EEDaS1K_S1L_EUlS1K_E_NS1_11comp_targetILNS1_3genE10ELNS1_11target_archE1200ELNS1_3gpuE4ELNS1_3repE0EEENS1_30default_config_static_selectorELNS0_4arch9wavefront6targetE0EEEvSY_.private_seg_size, 0
	.set _ZN7rocprim17ROCPRIM_400000_NS6detail17trampoline_kernelINS0_13select_configILj256ELj13ELNS0_17block_load_methodE3ELS4_3ELS4_3ELNS0_20block_scan_algorithmE0ELj4294967295EEENS1_25partition_config_selectorILNS1_17partition_subalgoE3EjNS0_10empty_typeEbEEZZNS1_14partition_implILS8_3ELb0ES6_jNS0_17counting_iteratorIjlEEPS9_SE_NS0_5tupleIJPjSE_EEENSF_IJSE_SE_EEES9_SG_JZNS1_25segmented_radix_sort_implINS0_14default_configELb0EPKdPdPKlPlN2at6native12_GLOBAL__N_18offset_tEEE10hipError_tPvRmT1_PNSt15iterator_traitsISY_E10value_typeET2_T3_PNSZ_IS14_E10value_typeET4_jRbjT5_S1A_jjP12ihipStream_tbEUljE_EEESV_SW_SX_S14_S18_S1A_T6_T7_T9_mT8_S1C_bDpT10_ENKUlT_T0_E_clISt17integral_constantIbLb0EES1P_EEDaS1K_S1L_EUlS1K_E_NS1_11comp_targetILNS1_3genE10ELNS1_11target_archE1200ELNS1_3gpuE4ELNS1_3repE0EEENS1_30default_config_static_selectorELNS0_4arch9wavefront6targetE0EEEvSY_.uses_vcc, 0
	.set _ZN7rocprim17ROCPRIM_400000_NS6detail17trampoline_kernelINS0_13select_configILj256ELj13ELNS0_17block_load_methodE3ELS4_3ELS4_3ELNS0_20block_scan_algorithmE0ELj4294967295EEENS1_25partition_config_selectorILNS1_17partition_subalgoE3EjNS0_10empty_typeEbEEZZNS1_14partition_implILS8_3ELb0ES6_jNS0_17counting_iteratorIjlEEPS9_SE_NS0_5tupleIJPjSE_EEENSF_IJSE_SE_EEES9_SG_JZNS1_25segmented_radix_sort_implINS0_14default_configELb0EPKdPdPKlPlN2at6native12_GLOBAL__N_18offset_tEEE10hipError_tPvRmT1_PNSt15iterator_traitsISY_E10value_typeET2_T3_PNSZ_IS14_E10value_typeET4_jRbjT5_S1A_jjP12ihipStream_tbEUljE_EEESV_SW_SX_S14_S18_S1A_T6_T7_T9_mT8_S1C_bDpT10_ENKUlT_T0_E_clISt17integral_constantIbLb0EES1P_EEDaS1K_S1L_EUlS1K_E_NS1_11comp_targetILNS1_3genE10ELNS1_11target_archE1200ELNS1_3gpuE4ELNS1_3repE0EEENS1_30default_config_static_selectorELNS0_4arch9wavefront6targetE0EEEvSY_.uses_flat_scratch, 0
	.set _ZN7rocprim17ROCPRIM_400000_NS6detail17trampoline_kernelINS0_13select_configILj256ELj13ELNS0_17block_load_methodE3ELS4_3ELS4_3ELNS0_20block_scan_algorithmE0ELj4294967295EEENS1_25partition_config_selectorILNS1_17partition_subalgoE3EjNS0_10empty_typeEbEEZZNS1_14partition_implILS8_3ELb0ES6_jNS0_17counting_iteratorIjlEEPS9_SE_NS0_5tupleIJPjSE_EEENSF_IJSE_SE_EEES9_SG_JZNS1_25segmented_radix_sort_implINS0_14default_configELb0EPKdPdPKlPlN2at6native12_GLOBAL__N_18offset_tEEE10hipError_tPvRmT1_PNSt15iterator_traitsISY_E10value_typeET2_T3_PNSZ_IS14_E10value_typeET4_jRbjT5_S1A_jjP12ihipStream_tbEUljE_EEESV_SW_SX_S14_S18_S1A_T6_T7_T9_mT8_S1C_bDpT10_ENKUlT_T0_E_clISt17integral_constantIbLb0EES1P_EEDaS1K_S1L_EUlS1K_E_NS1_11comp_targetILNS1_3genE10ELNS1_11target_archE1200ELNS1_3gpuE4ELNS1_3repE0EEENS1_30default_config_static_selectorELNS0_4arch9wavefront6targetE0EEEvSY_.has_dyn_sized_stack, 0
	.set _ZN7rocprim17ROCPRIM_400000_NS6detail17trampoline_kernelINS0_13select_configILj256ELj13ELNS0_17block_load_methodE3ELS4_3ELS4_3ELNS0_20block_scan_algorithmE0ELj4294967295EEENS1_25partition_config_selectorILNS1_17partition_subalgoE3EjNS0_10empty_typeEbEEZZNS1_14partition_implILS8_3ELb0ES6_jNS0_17counting_iteratorIjlEEPS9_SE_NS0_5tupleIJPjSE_EEENSF_IJSE_SE_EEES9_SG_JZNS1_25segmented_radix_sort_implINS0_14default_configELb0EPKdPdPKlPlN2at6native12_GLOBAL__N_18offset_tEEE10hipError_tPvRmT1_PNSt15iterator_traitsISY_E10value_typeET2_T3_PNSZ_IS14_E10value_typeET4_jRbjT5_S1A_jjP12ihipStream_tbEUljE_EEESV_SW_SX_S14_S18_S1A_T6_T7_T9_mT8_S1C_bDpT10_ENKUlT_T0_E_clISt17integral_constantIbLb0EES1P_EEDaS1K_S1L_EUlS1K_E_NS1_11comp_targetILNS1_3genE10ELNS1_11target_archE1200ELNS1_3gpuE4ELNS1_3repE0EEENS1_30default_config_static_selectorELNS0_4arch9wavefront6targetE0EEEvSY_.has_recursion, 0
	.set _ZN7rocprim17ROCPRIM_400000_NS6detail17trampoline_kernelINS0_13select_configILj256ELj13ELNS0_17block_load_methodE3ELS4_3ELS4_3ELNS0_20block_scan_algorithmE0ELj4294967295EEENS1_25partition_config_selectorILNS1_17partition_subalgoE3EjNS0_10empty_typeEbEEZZNS1_14partition_implILS8_3ELb0ES6_jNS0_17counting_iteratorIjlEEPS9_SE_NS0_5tupleIJPjSE_EEENSF_IJSE_SE_EEES9_SG_JZNS1_25segmented_radix_sort_implINS0_14default_configELb0EPKdPdPKlPlN2at6native12_GLOBAL__N_18offset_tEEE10hipError_tPvRmT1_PNSt15iterator_traitsISY_E10value_typeET2_T3_PNSZ_IS14_E10value_typeET4_jRbjT5_S1A_jjP12ihipStream_tbEUljE_EEESV_SW_SX_S14_S18_S1A_T6_T7_T9_mT8_S1C_bDpT10_ENKUlT_T0_E_clISt17integral_constantIbLb0EES1P_EEDaS1K_S1L_EUlS1K_E_NS1_11comp_targetILNS1_3genE10ELNS1_11target_archE1200ELNS1_3gpuE4ELNS1_3repE0EEENS1_30default_config_static_selectorELNS0_4arch9wavefront6targetE0EEEvSY_.has_indirect_call, 0
	.section	.AMDGPU.csdata,"",@progbits
; Kernel info:
; codeLenInByte = 0
; TotalNumSgprs: 0
; NumVgprs: 0
; ScratchSize: 0
; MemoryBound: 0
; FloatMode: 240
; IeeeMode: 1
; LDSByteSize: 0 bytes/workgroup (compile time only)
; SGPRBlocks: 0
; VGPRBlocks: 0
; NumSGPRsForWavesPerEU: 1
; NumVGPRsForWavesPerEU: 1
; Occupancy: 16
; WaveLimiterHint : 0
; COMPUTE_PGM_RSRC2:SCRATCH_EN: 0
; COMPUTE_PGM_RSRC2:USER_SGPR: 6
; COMPUTE_PGM_RSRC2:TRAP_HANDLER: 0
; COMPUTE_PGM_RSRC2:TGID_X_EN: 1
; COMPUTE_PGM_RSRC2:TGID_Y_EN: 0
; COMPUTE_PGM_RSRC2:TGID_Z_EN: 0
; COMPUTE_PGM_RSRC2:TIDIG_COMP_CNT: 0
	.section	.text._ZN7rocprim17ROCPRIM_400000_NS6detail17trampoline_kernelINS0_13select_configILj256ELj13ELNS0_17block_load_methodE3ELS4_3ELS4_3ELNS0_20block_scan_algorithmE0ELj4294967295EEENS1_25partition_config_selectorILNS1_17partition_subalgoE3EjNS0_10empty_typeEbEEZZNS1_14partition_implILS8_3ELb0ES6_jNS0_17counting_iteratorIjlEEPS9_SE_NS0_5tupleIJPjSE_EEENSF_IJSE_SE_EEES9_SG_JZNS1_25segmented_radix_sort_implINS0_14default_configELb0EPKdPdPKlPlN2at6native12_GLOBAL__N_18offset_tEEE10hipError_tPvRmT1_PNSt15iterator_traitsISY_E10value_typeET2_T3_PNSZ_IS14_E10value_typeET4_jRbjT5_S1A_jjP12ihipStream_tbEUljE_EEESV_SW_SX_S14_S18_S1A_T6_T7_T9_mT8_S1C_bDpT10_ENKUlT_T0_E_clISt17integral_constantIbLb0EES1P_EEDaS1K_S1L_EUlS1K_E_NS1_11comp_targetILNS1_3genE9ELNS1_11target_archE1100ELNS1_3gpuE3ELNS1_3repE0EEENS1_30default_config_static_selectorELNS0_4arch9wavefront6targetE0EEEvSY_,"axG",@progbits,_ZN7rocprim17ROCPRIM_400000_NS6detail17trampoline_kernelINS0_13select_configILj256ELj13ELNS0_17block_load_methodE3ELS4_3ELS4_3ELNS0_20block_scan_algorithmE0ELj4294967295EEENS1_25partition_config_selectorILNS1_17partition_subalgoE3EjNS0_10empty_typeEbEEZZNS1_14partition_implILS8_3ELb0ES6_jNS0_17counting_iteratorIjlEEPS9_SE_NS0_5tupleIJPjSE_EEENSF_IJSE_SE_EEES9_SG_JZNS1_25segmented_radix_sort_implINS0_14default_configELb0EPKdPdPKlPlN2at6native12_GLOBAL__N_18offset_tEEE10hipError_tPvRmT1_PNSt15iterator_traitsISY_E10value_typeET2_T3_PNSZ_IS14_E10value_typeET4_jRbjT5_S1A_jjP12ihipStream_tbEUljE_EEESV_SW_SX_S14_S18_S1A_T6_T7_T9_mT8_S1C_bDpT10_ENKUlT_T0_E_clISt17integral_constantIbLb0EES1P_EEDaS1K_S1L_EUlS1K_E_NS1_11comp_targetILNS1_3genE9ELNS1_11target_archE1100ELNS1_3gpuE3ELNS1_3repE0EEENS1_30default_config_static_selectorELNS0_4arch9wavefront6targetE0EEEvSY_,comdat
	.globl	_ZN7rocprim17ROCPRIM_400000_NS6detail17trampoline_kernelINS0_13select_configILj256ELj13ELNS0_17block_load_methodE3ELS4_3ELS4_3ELNS0_20block_scan_algorithmE0ELj4294967295EEENS1_25partition_config_selectorILNS1_17partition_subalgoE3EjNS0_10empty_typeEbEEZZNS1_14partition_implILS8_3ELb0ES6_jNS0_17counting_iteratorIjlEEPS9_SE_NS0_5tupleIJPjSE_EEENSF_IJSE_SE_EEES9_SG_JZNS1_25segmented_radix_sort_implINS0_14default_configELb0EPKdPdPKlPlN2at6native12_GLOBAL__N_18offset_tEEE10hipError_tPvRmT1_PNSt15iterator_traitsISY_E10value_typeET2_T3_PNSZ_IS14_E10value_typeET4_jRbjT5_S1A_jjP12ihipStream_tbEUljE_EEESV_SW_SX_S14_S18_S1A_T6_T7_T9_mT8_S1C_bDpT10_ENKUlT_T0_E_clISt17integral_constantIbLb0EES1P_EEDaS1K_S1L_EUlS1K_E_NS1_11comp_targetILNS1_3genE9ELNS1_11target_archE1100ELNS1_3gpuE3ELNS1_3repE0EEENS1_30default_config_static_selectorELNS0_4arch9wavefront6targetE0EEEvSY_ ; -- Begin function _ZN7rocprim17ROCPRIM_400000_NS6detail17trampoline_kernelINS0_13select_configILj256ELj13ELNS0_17block_load_methodE3ELS4_3ELS4_3ELNS0_20block_scan_algorithmE0ELj4294967295EEENS1_25partition_config_selectorILNS1_17partition_subalgoE3EjNS0_10empty_typeEbEEZZNS1_14partition_implILS8_3ELb0ES6_jNS0_17counting_iteratorIjlEEPS9_SE_NS0_5tupleIJPjSE_EEENSF_IJSE_SE_EEES9_SG_JZNS1_25segmented_radix_sort_implINS0_14default_configELb0EPKdPdPKlPlN2at6native12_GLOBAL__N_18offset_tEEE10hipError_tPvRmT1_PNSt15iterator_traitsISY_E10value_typeET2_T3_PNSZ_IS14_E10value_typeET4_jRbjT5_S1A_jjP12ihipStream_tbEUljE_EEESV_SW_SX_S14_S18_S1A_T6_T7_T9_mT8_S1C_bDpT10_ENKUlT_T0_E_clISt17integral_constantIbLb0EES1P_EEDaS1K_S1L_EUlS1K_E_NS1_11comp_targetILNS1_3genE9ELNS1_11target_archE1100ELNS1_3gpuE3ELNS1_3repE0EEENS1_30default_config_static_selectorELNS0_4arch9wavefront6targetE0EEEvSY_
	.p2align	8
	.type	_ZN7rocprim17ROCPRIM_400000_NS6detail17trampoline_kernelINS0_13select_configILj256ELj13ELNS0_17block_load_methodE3ELS4_3ELS4_3ELNS0_20block_scan_algorithmE0ELj4294967295EEENS1_25partition_config_selectorILNS1_17partition_subalgoE3EjNS0_10empty_typeEbEEZZNS1_14partition_implILS8_3ELb0ES6_jNS0_17counting_iteratorIjlEEPS9_SE_NS0_5tupleIJPjSE_EEENSF_IJSE_SE_EEES9_SG_JZNS1_25segmented_radix_sort_implINS0_14default_configELb0EPKdPdPKlPlN2at6native12_GLOBAL__N_18offset_tEEE10hipError_tPvRmT1_PNSt15iterator_traitsISY_E10value_typeET2_T3_PNSZ_IS14_E10value_typeET4_jRbjT5_S1A_jjP12ihipStream_tbEUljE_EEESV_SW_SX_S14_S18_S1A_T6_T7_T9_mT8_S1C_bDpT10_ENKUlT_T0_E_clISt17integral_constantIbLb0EES1P_EEDaS1K_S1L_EUlS1K_E_NS1_11comp_targetILNS1_3genE9ELNS1_11target_archE1100ELNS1_3gpuE3ELNS1_3repE0EEENS1_30default_config_static_selectorELNS0_4arch9wavefront6targetE0EEEvSY_,@function
_ZN7rocprim17ROCPRIM_400000_NS6detail17trampoline_kernelINS0_13select_configILj256ELj13ELNS0_17block_load_methodE3ELS4_3ELS4_3ELNS0_20block_scan_algorithmE0ELj4294967295EEENS1_25partition_config_selectorILNS1_17partition_subalgoE3EjNS0_10empty_typeEbEEZZNS1_14partition_implILS8_3ELb0ES6_jNS0_17counting_iteratorIjlEEPS9_SE_NS0_5tupleIJPjSE_EEENSF_IJSE_SE_EEES9_SG_JZNS1_25segmented_radix_sort_implINS0_14default_configELb0EPKdPdPKlPlN2at6native12_GLOBAL__N_18offset_tEEE10hipError_tPvRmT1_PNSt15iterator_traitsISY_E10value_typeET2_T3_PNSZ_IS14_E10value_typeET4_jRbjT5_S1A_jjP12ihipStream_tbEUljE_EEESV_SW_SX_S14_S18_S1A_T6_T7_T9_mT8_S1C_bDpT10_ENKUlT_T0_E_clISt17integral_constantIbLb0EES1P_EEDaS1K_S1L_EUlS1K_E_NS1_11comp_targetILNS1_3genE9ELNS1_11target_archE1100ELNS1_3gpuE3ELNS1_3repE0EEENS1_30default_config_static_selectorELNS0_4arch9wavefront6targetE0EEEvSY_: ; @_ZN7rocprim17ROCPRIM_400000_NS6detail17trampoline_kernelINS0_13select_configILj256ELj13ELNS0_17block_load_methodE3ELS4_3ELS4_3ELNS0_20block_scan_algorithmE0ELj4294967295EEENS1_25partition_config_selectorILNS1_17partition_subalgoE3EjNS0_10empty_typeEbEEZZNS1_14partition_implILS8_3ELb0ES6_jNS0_17counting_iteratorIjlEEPS9_SE_NS0_5tupleIJPjSE_EEENSF_IJSE_SE_EEES9_SG_JZNS1_25segmented_radix_sort_implINS0_14default_configELb0EPKdPdPKlPlN2at6native12_GLOBAL__N_18offset_tEEE10hipError_tPvRmT1_PNSt15iterator_traitsISY_E10value_typeET2_T3_PNSZ_IS14_E10value_typeET4_jRbjT5_S1A_jjP12ihipStream_tbEUljE_EEESV_SW_SX_S14_S18_S1A_T6_T7_T9_mT8_S1C_bDpT10_ENKUlT_T0_E_clISt17integral_constantIbLb0EES1P_EEDaS1K_S1L_EUlS1K_E_NS1_11comp_targetILNS1_3genE9ELNS1_11target_archE1100ELNS1_3gpuE3ELNS1_3repE0EEENS1_30default_config_static_selectorELNS0_4arch9wavefront6targetE0EEEvSY_
; %bb.0:
	.section	.rodata,"a",@progbits
	.p2align	6, 0x0
	.amdhsa_kernel _ZN7rocprim17ROCPRIM_400000_NS6detail17trampoline_kernelINS0_13select_configILj256ELj13ELNS0_17block_load_methodE3ELS4_3ELS4_3ELNS0_20block_scan_algorithmE0ELj4294967295EEENS1_25partition_config_selectorILNS1_17partition_subalgoE3EjNS0_10empty_typeEbEEZZNS1_14partition_implILS8_3ELb0ES6_jNS0_17counting_iteratorIjlEEPS9_SE_NS0_5tupleIJPjSE_EEENSF_IJSE_SE_EEES9_SG_JZNS1_25segmented_radix_sort_implINS0_14default_configELb0EPKdPdPKlPlN2at6native12_GLOBAL__N_18offset_tEEE10hipError_tPvRmT1_PNSt15iterator_traitsISY_E10value_typeET2_T3_PNSZ_IS14_E10value_typeET4_jRbjT5_S1A_jjP12ihipStream_tbEUljE_EEESV_SW_SX_S14_S18_S1A_T6_T7_T9_mT8_S1C_bDpT10_ENKUlT_T0_E_clISt17integral_constantIbLb0EES1P_EEDaS1K_S1L_EUlS1K_E_NS1_11comp_targetILNS1_3genE9ELNS1_11target_archE1100ELNS1_3gpuE3ELNS1_3repE0EEENS1_30default_config_static_selectorELNS0_4arch9wavefront6targetE0EEEvSY_
		.amdhsa_group_segment_fixed_size 0
		.amdhsa_private_segment_fixed_size 0
		.amdhsa_kernarg_size 144
		.amdhsa_user_sgpr_count 6
		.amdhsa_user_sgpr_private_segment_buffer 1
		.amdhsa_user_sgpr_dispatch_ptr 0
		.amdhsa_user_sgpr_queue_ptr 0
		.amdhsa_user_sgpr_kernarg_segment_ptr 1
		.amdhsa_user_sgpr_dispatch_id 0
		.amdhsa_user_sgpr_flat_scratch_init 0
		.amdhsa_user_sgpr_private_segment_size 0
		.amdhsa_wavefront_size32 1
		.amdhsa_uses_dynamic_stack 0
		.amdhsa_system_sgpr_private_segment_wavefront_offset 0
		.amdhsa_system_sgpr_workgroup_id_x 1
		.amdhsa_system_sgpr_workgroup_id_y 0
		.amdhsa_system_sgpr_workgroup_id_z 0
		.amdhsa_system_sgpr_workgroup_info 0
		.amdhsa_system_vgpr_workitem_id 0
		.amdhsa_next_free_vgpr 1
		.amdhsa_next_free_sgpr 1
		.amdhsa_reserve_vcc 0
		.amdhsa_reserve_flat_scratch 0
		.amdhsa_float_round_mode_32 0
		.amdhsa_float_round_mode_16_64 0
		.amdhsa_float_denorm_mode_32 3
		.amdhsa_float_denorm_mode_16_64 3
		.amdhsa_dx10_clamp 1
		.amdhsa_ieee_mode 1
		.amdhsa_fp16_overflow 0
		.amdhsa_workgroup_processor_mode 1
		.amdhsa_memory_ordered 1
		.amdhsa_forward_progress 1
		.amdhsa_shared_vgpr_count 0
		.amdhsa_exception_fp_ieee_invalid_op 0
		.amdhsa_exception_fp_denorm_src 0
		.amdhsa_exception_fp_ieee_div_zero 0
		.amdhsa_exception_fp_ieee_overflow 0
		.amdhsa_exception_fp_ieee_underflow 0
		.amdhsa_exception_fp_ieee_inexact 0
		.amdhsa_exception_int_div_zero 0
	.end_amdhsa_kernel
	.section	.text._ZN7rocprim17ROCPRIM_400000_NS6detail17trampoline_kernelINS0_13select_configILj256ELj13ELNS0_17block_load_methodE3ELS4_3ELS4_3ELNS0_20block_scan_algorithmE0ELj4294967295EEENS1_25partition_config_selectorILNS1_17partition_subalgoE3EjNS0_10empty_typeEbEEZZNS1_14partition_implILS8_3ELb0ES6_jNS0_17counting_iteratorIjlEEPS9_SE_NS0_5tupleIJPjSE_EEENSF_IJSE_SE_EEES9_SG_JZNS1_25segmented_radix_sort_implINS0_14default_configELb0EPKdPdPKlPlN2at6native12_GLOBAL__N_18offset_tEEE10hipError_tPvRmT1_PNSt15iterator_traitsISY_E10value_typeET2_T3_PNSZ_IS14_E10value_typeET4_jRbjT5_S1A_jjP12ihipStream_tbEUljE_EEESV_SW_SX_S14_S18_S1A_T6_T7_T9_mT8_S1C_bDpT10_ENKUlT_T0_E_clISt17integral_constantIbLb0EES1P_EEDaS1K_S1L_EUlS1K_E_NS1_11comp_targetILNS1_3genE9ELNS1_11target_archE1100ELNS1_3gpuE3ELNS1_3repE0EEENS1_30default_config_static_selectorELNS0_4arch9wavefront6targetE0EEEvSY_,"axG",@progbits,_ZN7rocprim17ROCPRIM_400000_NS6detail17trampoline_kernelINS0_13select_configILj256ELj13ELNS0_17block_load_methodE3ELS4_3ELS4_3ELNS0_20block_scan_algorithmE0ELj4294967295EEENS1_25partition_config_selectorILNS1_17partition_subalgoE3EjNS0_10empty_typeEbEEZZNS1_14partition_implILS8_3ELb0ES6_jNS0_17counting_iteratorIjlEEPS9_SE_NS0_5tupleIJPjSE_EEENSF_IJSE_SE_EEES9_SG_JZNS1_25segmented_radix_sort_implINS0_14default_configELb0EPKdPdPKlPlN2at6native12_GLOBAL__N_18offset_tEEE10hipError_tPvRmT1_PNSt15iterator_traitsISY_E10value_typeET2_T3_PNSZ_IS14_E10value_typeET4_jRbjT5_S1A_jjP12ihipStream_tbEUljE_EEESV_SW_SX_S14_S18_S1A_T6_T7_T9_mT8_S1C_bDpT10_ENKUlT_T0_E_clISt17integral_constantIbLb0EES1P_EEDaS1K_S1L_EUlS1K_E_NS1_11comp_targetILNS1_3genE9ELNS1_11target_archE1100ELNS1_3gpuE3ELNS1_3repE0EEENS1_30default_config_static_selectorELNS0_4arch9wavefront6targetE0EEEvSY_,comdat
.Lfunc_end1187:
	.size	_ZN7rocprim17ROCPRIM_400000_NS6detail17trampoline_kernelINS0_13select_configILj256ELj13ELNS0_17block_load_methodE3ELS4_3ELS4_3ELNS0_20block_scan_algorithmE0ELj4294967295EEENS1_25partition_config_selectorILNS1_17partition_subalgoE3EjNS0_10empty_typeEbEEZZNS1_14partition_implILS8_3ELb0ES6_jNS0_17counting_iteratorIjlEEPS9_SE_NS0_5tupleIJPjSE_EEENSF_IJSE_SE_EEES9_SG_JZNS1_25segmented_radix_sort_implINS0_14default_configELb0EPKdPdPKlPlN2at6native12_GLOBAL__N_18offset_tEEE10hipError_tPvRmT1_PNSt15iterator_traitsISY_E10value_typeET2_T3_PNSZ_IS14_E10value_typeET4_jRbjT5_S1A_jjP12ihipStream_tbEUljE_EEESV_SW_SX_S14_S18_S1A_T6_T7_T9_mT8_S1C_bDpT10_ENKUlT_T0_E_clISt17integral_constantIbLb0EES1P_EEDaS1K_S1L_EUlS1K_E_NS1_11comp_targetILNS1_3genE9ELNS1_11target_archE1100ELNS1_3gpuE3ELNS1_3repE0EEENS1_30default_config_static_selectorELNS0_4arch9wavefront6targetE0EEEvSY_, .Lfunc_end1187-_ZN7rocprim17ROCPRIM_400000_NS6detail17trampoline_kernelINS0_13select_configILj256ELj13ELNS0_17block_load_methodE3ELS4_3ELS4_3ELNS0_20block_scan_algorithmE0ELj4294967295EEENS1_25partition_config_selectorILNS1_17partition_subalgoE3EjNS0_10empty_typeEbEEZZNS1_14partition_implILS8_3ELb0ES6_jNS0_17counting_iteratorIjlEEPS9_SE_NS0_5tupleIJPjSE_EEENSF_IJSE_SE_EEES9_SG_JZNS1_25segmented_radix_sort_implINS0_14default_configELb0EPKdPdPKlPlN2at6native12_GLOBAL__N_18offset_tEEE10hipError_tPvRmT1_PNSt15iterator_traitsISY_E10value_typeET2_T3_PNSZ_IS14_E10value_typeET4_jRbjT5_S1A_jjP12ihipStream_tbEUljE_EEESV_SW_SX_S14_S18_S1A_T6_T7_T9_mT8_S1C_bDpT10_ENKUlT_T0_E_clISt17integral_constantIbLb0EES1P_EEDaS1K_S1L_EUlS1K_E_NS1_11comp_targetILNS1_3genE9ELNS1_11target_archE1100ELNS1_3gpuE3ELNS1_3repE0EEENS1_30default_config_static_selectorELNS0_4arch9wavefront6targetE0EEEvSY_
                                        ; -- End function
	.set _ZN7rocprim17ROCPRIM_400000_NS6detail17trampoline_kernelINS0_13select_configILj256ELj13ELNS0_17block_load_methodE3ELS4_3ELS4_3ELNS0_20block_scan_algorithmE0ELj4294967295EEENS1_25partition_config_selectorILNS1_17partition_subalgoE3EjNS0_10empty_typeEbEEZZNS1_14partition_implILS8_3ELb0ES6_jNS0_17counting_iteratorIjlEEPS9_SE_NS0_5tupleIJPjSE_EEENSF_IJSE_SE_EEES9_SG_JZNS1_25segmented_radix_sort_implINS0_14default_configELb0EPKdPdPKlPlN2at6native12_GLOBAL__N_18offset_tEEE10hipError_tPvRmT1_PNSt15iterator_traitsISY_E10value_typeET2_T3_PNSZ_IS14_E10value_typeET4_jRbjT5_S1A_jjP12ihipStream_tbEUljE_EEESV_SW_SX_S14_S18_S1A_T6_T7_T9_mT8_S1C_bDpT10_ENKUlT_T0_E_clISt17integral_constantIbLb0EES1P_EEDaS1K_S1L_EUlS1K_E_NS1_11comp_targetILNS1_3genE9ELNS1_11target_archE1100ELNS1_3gpuE3ELNS1_3repE0EEENS1_30default_config_static_selectorELNS0_4arch9wavefront6targetE0EEEvSY_.num_vgpr, 0
	.set _ZN7rocprim17ROCPRIM_400000_NS6detail17trampoline_kernelINS0_13select_configILj256ELj13ELNS0_17block_load_methodE3ELS4_3ELS4_3ELNS0_20block_scan_algorithmE0ELj4294967295EEENS1_25partition_config_selectorILNS1_17partition_subalgoE3EjNS0_10empty_typeEbEEZZNS1_14partition_implILS8_3ELb0ES6_jNS0_17counting_iteratorIjlEEPS9_SE_NS0_5tupleIJPjSE_EEENSF_IJSE_SE_EEES9_SG_JZNS1_25segmented_radix_sort_implINS0_14default_configELb0EPKdPdPKlPlN2at6native12_GLOBAL__N_18offset_tEEE10hipError_tPvRmT1_PNSt15iterator_traitsISY_E10value_typeET2_T3_PNSZ_IS14_E10value_typeET4_jRbjT5_S1A_jjP12ihipStream_tbEUljE_EEESV_SW_SX_S14_S18_S1A_T6_T7_T9_mT8_S1C_bDpT10_ENKUlT_T0_E_clISt17integral_constantIbLb0EES1P_EEDaS1K_S1L_EUlS1K_E_NS1_11comp_targetILNS1_3genE9ELNS1_11target_archE1100ELNS1_3gpuE3ELNS1_3repE0EEENS1_30default_config_static_selectorELNS0_4arch9wavefront6targetE0EEEvSY_.num_agpr, 0
	.set _ZN7rocprim17ROCPRIM_400000_NS6detail17trampoline_kernelINS0_13select_configILj256ELj13ELNS0_17block_load_methodE3ELS4_3ELS4_3ELNS0_20block_scan_algorithmE0ELj4294967295EEENS1_25partition_config_selectorILNS1_17partition_subalgoE3EjNS0_10empty_typeEbEEZZNS1_14partition_implILS8_3ELb0ES6_jNS0_17counting_iteratorIjlEEPS9_SE_NS0_5tupleIJPjSE_EEENSF_IJSE_SE_EEES9_SG_JZNS1_25segmented_radix_sort_implINS0_14default_configELb0EPKdPdPKlPlN2at6native12_GLOBAL__N_18offset_tEEE10hipError_tPvRmT1_PNSt15iterator_traitsISY_E10value_typeET2_T3_PNSZ_IS14_E10value_typeET4_jRbjT5_S1A_jjP12ihipStream_tbEUljE_EEESV_SW_SX_S14_S18_S1A_T6_T7_T9_mT8_S1C_bDpT10_ENKUlT_T0_E_clISt17integral_constantIbLb0EES1P_EEDaS1K_S1L_EUlS1K_E_NS1_11comp_targetILNS1_3genE9ELNS1_11target_archE1100ELNS1_3gpuE3ELNS1_3repE0EEENS1_30default_config_static_selectorELNS0_4arch9wavefront6targetE0EEEvSY_.numbered_sgpr, 0
	.set _ZN7rocprim17ROCPRIM_400000_NS6detail17trampoline_kernelINS0_13select_configILj256ELj13ELNS0_17block_load_methodE3ELS4_3ELS4_3ELNS0_20block_scan_algorithmE0ELj4294967295EEENS1_25partition_config_selectorILNS1_17partition_subalgoE3EjNS0_10empty_typeEbEEZZNS1_14partition_implILS8_3ELb0ES6_jNS0_17counting_iteratorIjlEEPS9_SE_NS0_5tupleIJPjSE_EEENSF_IJSE_SE_EEES9_SG_JZNS1_25segmented_radix_sort_implINS0_14default_configELb0EPKdPdPKlPlN2at6native12_GLOBAL__N_18offset_tEEE10hipError_tPvRmT1_PNSt15iterator_traitsISY_E10value_typeET2_T3_PNSZ_IS14_E10value_typeET4_jRbjT5_S1A_jjP12ihipStream_tbEUljE_EEESV_SW_SX_S14_S18_S1A_T6_T7_T9_mT8_S1C_bDpT10_ENKUlT_T0_E_clISt17integral_constantIbLb0EES1P_EEDaS1K_S1L_EUlS1K_E_NS1_11comp_targetILNS1_3genE9ELNS1_11target_archE1100ELNS1_3gpuE3ELNS1_3repE0EEENS1_30default_config_static_selectorELNS0_4arch9wavefront6targetE0EEEvSY_.num_named_barrier, 0
	.set _ZN7rocprim17ROCPRIM_400000_NS6detail17trampoline_kernelINS0_13select_configILj256ELj13ELNS0_17block_load_methodE3ELS4_3ELS4_3ELNS0_20block_scan_algorithmE0ELj4294967295EEENS1_25partition_config_selectorILNS1_17partition_subalgoE3EjNS0_10empty_typeEbEEZZNS1_14partition_implILS8_3ELb0ES6_jNS0_17counting_iteratorIjlEEPS9_SE_NS0_5tupleIJPjSE_EEENSF_IJSE_SE_EEES9_SG_JZNS1_25segmented_radix_sort_implINS0_14default_configELb0EPKdPdPKlPlN2at6native12_GLOBAL__N_18offset_tEEE10hipError_tPvRmT1_PNSt15iterator_traitsISY_E10value_typeET2_T3_PNSZ_IS14_E10value_typeET4_jRbjT5_S1A_jjP12ihipStream_tbEUljE_EEESV_SW_SX_S14_S18_S1A_T6_T7_T9_mT8_S1C_bDpT10_ENKUlT_T0_E_clISt17integral_constantIbLb0EES1P_EEDaS1K_S1L_EUlS1K_E_NS1_11comp_targetILNS1_3genE9ELNS1_11target_archE1100ELNS1_3gpuE3ELNS1_3repE0EEENS1_30default_config_static_selectorELNS0_4arch9wavefront6targetE0EEEvSY_.private_seg_size, 0
	.set _ZN7rocprim17ROCPRIM_400000_NS6detail17trampoline_kernelINS0_13select_configILj256ELj13ELNS0_17block_load_methodE3ELS4_3ELS4_3ELNS0_20block_scan_algorithmE0ELj4294967295EEENS1_25partition_config_selectorILNS1_17partition_subalgoE3EjNS0_10empty_typeEbEEZZNS1_14partition_implILS8_3ELb0ES6_jNS0_17counting_iteratorIjlEEPS9_SE_NS0_5tupleIJPjSE_EEENSF_IJSE_SE_EEES9_SG_JZNS1_25segmented_radix_sort_implINS0_14default_configELb0EPKdPdPKlPlN2at6native12_GLOBAL__N_18offset_tEEE10hipError_tPvRmT1_PNSt15iterator_traitsISY_E10value_typeET2_T3_PNSZ_IS14_E10value_typeET4_jRbjT5_S1A_jjP12ihipStream_tbEUljE_EEESV_SW_SX_S14_S18_S1A_T6_T7_T9_mT8_S1C_bDpT10_ENKUlT_T0_E_clISt17integral_constantIbLb0EES1P_EEDaS1K_S1L_EUlS1K_E_NS1_11comp_targetILNS1_3genE9ELNS1_11target_archE1100ELNS1_3gpuE3ELNS1_3repE0EEENS1_30default_config_static_selectorELNS0_4arch9wavefront6targetE0EEEvSY_.uses_vcc, 0
	.set _ZN7rocprim17ROCPRIM_400000_NS6detail17trampoline_kernelINS0_13select_configILj256ELj13ELNS0_17block_load_methodE3ELS4_3ELS4_3ELNS0_20block_scan_algorithmE0ELj4294967295EEENS1_25partition_config_selectorILNS1_17partition_subalgoE3EjNS0_10empty_typeEbEEZZNS1_14partition_implILS8_3ELb0ES6_jNS0_17counting_iteratorIjlEEPS9_SE_NS0_5tupleIJPjSE_EEENSF_IJSE_SE_EEES9_SG_JZNS1_25segmented_radix_sort_implINS0_14default_configELb0EPKdPdPKlPlN2at6native12_GLOBAL__N_18offset_tEEE10hipError_tPvRmT1_PNSt15iterator_traitsISY_E10value_typeET2_T3_PNSZ_IS14_E10value_typeET4_jRbjT5_S1A_jjP12ihipStream_tbEUljE_EEESV_SW_SX_S14_S18_S1A_T6_T7_T9_mT8_S1C_bDpT10_ENKUlT_T0_E_clISt17integral_constantIbLb0EES1P_EEDaS1K_S1L_EUlS1K_E_NS1_11comp_targetILNS1_3genE9ELNS1_11target_archE1100ELNS1_3gpuE3ELNS1_3repE0EEENS1_30default_config_static_selectorELNS0_4arch9wavefront6targetE0EEEvSY_.uses_flat_scratch, 0
	.set _ZN7rocprim17ROCPRIM_400000_NS6detail17trampoline_kernelINS0_13select_configILj256ELj13ELNS0_17block_load_methodE3ELS4_3ELS4_3ELNS0_20block_scan_algorithmE0ELj4294967295EEENS1_25partition_config_selectorILNS1_17partition_subalgoE3EjNS0_10empty_typeEbEEZZNS1_14partition_implILS8_3ELb0ES6_jNS0_17counting_iteratorIjlEEPS9_SE_NS0_5tupleIJPjSE_EEENSF_IJSE_SE_EEES9_SG_JZNS1_25segmented_radix_sort_implINS0_14default_configELb0EPKdPdPKlPlN2at6native12_GLOBAL__N_18offset_tEEE10hipError_tPvRmT1_PNSt15iterator_traitsISY_E10value_typeET2_T3_PNSZ_IS14_E10value_typeET4_jRbjT5_S1A_jjP12ihipStream_tbEUljE_EEESV_SW_SX_S14_S18_S1A_T6_T7_T9_mT8_S1C_bDpT10_ENKUlT_T0_E_clISt17integral_constantIbLb0EES1P_EEDaS1K_S1L_EUlS1K_E_NS1_11comp_targetILNS1_3genE9ELNS1_11target_archE1100ELNS1_3gpuE3ELNS1_3repE0EEENS1_30default_config_static_selectorELNS0_4arch9wavefront6targetE0EEEvSY_.has_dyn_sized_stack, 0
	.set _ZN7rocprim17ROCPRIM_400000_NS6detail17trampoline_kernelINS0_13select_configILj256ELj13ELNS0_17block_load_methodE3ELS4_3ELS4_3ELNS0_20block_scan_algorithmE0ELj4294967295EEENS1_25partition_config_selectorILNS1_17partition_subalgoE3EjNS0_10empty_typeEbEEZZNS1_14partition_implILS8_3ELb0ES6_jNS0_17counting_iteratorIjlEEPS9_SE_NS0_5tupleIJPjSE_EEENSF_IJSE_SE_EEES9_SG_JZNS1_25segmented_radix_sort_implINS0_14default_configELb0EPKdPdPKlPlN2at6native12_GLOBAL__N_18offset_tEEE10hipError_tPvRmT1_PNSt15iterator_traitsISY_E10value_typeET2_T3_PNSZ_IS14_E10value_typeET4_jRbjT5_S1A_jjP12ihipStream_tbEUljE_EEESV_SW_SX_S14_S18_S1A_T6_T7_T9_mT8_S1C_bDpT10_ENKUlT_T0_E_clISt17integral_constantIbLb0EES1P_EEDaS1K_S1L_EUlS1K_E_NS1_11comp_targetILNS1_3genE9ELNS1_11target_archE1100ELNS1_3gpuE3ELNS1_3repE0EEENS1_30default_config_static_selectorELNS0_4arch9wavefront6targetE0EEEvSY_.has_recursion, 0
	.set _ZN7rocprim17ROCPRIM_400000_NS6detail17trampoline_kernelINS0_13select_configILj256ELj13ELNS0_17block_load_methodE3ELS4_3ELS4_3ELNS0_20block_scan_algorithmE0ELj4294967295EEENS1_25partition_config_selectorILNS1_17partition_subalgoE3EjNS0_10empty_typeEbEEZZNS1_14partition_implILS8_3ELb0ES6_jNS0_17counting_iteratorIjlEEPS9_SE_NS0_5tupleIJPjSE_EEENSF_IJSE_SE_EEES9_SG_JZNS1_25segmented_radix_sort_implINS0_14default_configELb0EPKdPdPKlPlN2at6native12_GLOBAL__N_18offset_tEEE10hipError_tPvRmT1_PNSt15iterator_traitsISY_E10value_typeET2_T3_PNSZ_IS14_E10value_typeET4_jRbjT5_S1A_jjP12ihipStream_tbEUljE_EEESV_SW_SX_S14_S18_S1A_T6_T7_T9_mT8_S1C_bDpT10_ENKUlT_T0_E_clISt17integral_constantIbLb0EES1P_EEDaS1K_S1L_EUlS1K_E_NS1_11comp_targetILNS1_3genE9ELNS1_11target_archE1100ELNS1_3gpuE3ELNS1_3repE0EEENS1_30default_config_static_selectorELNS0_4arch9wavefront6targetE0EEEvSY_.has_indirect_call, 0
	.section	.AMDGPU.csdata,"",@progbits
; Kernel info:
; codeLenInByte = 0
; TotalNumSgprs: 0
; NumVgprs: 0
; ScratchSize: 0
; MemoryBound: 0
; FloatMode: 240
; IeeeMode: 1
; LDSByteSize: 0 bytes/workgroup (compile time only)
; SGPRBlocks: 0
; VGPRBlocks: 0
; NumSGPRsForWavesPerEU: 1
; NumVGPRsForWavesPerEU: 1
; Occupancy: 16
; WaveLimiterHint : 0
; COMPUTE_PGM_RSRC2:SCRATCH_EN: 0
; COMPUTE_PGM_RSRC2:USER_SGPR: 6
; COMPUTE_PGM_RSRC2:TRAP_HANDLER: 0
; COMPUTE_PGM_RSRC2:TGID_X_EN: 1
; COMPUTE_PGM_RSRC2:TGID_Y_EN: 0
; COMPUTE_PGM_RSRC2:TGID_Z_EN: 0
; COMPUTE_PGM_RSRC2:TIDIG_COMP_CNT: 0
	.section	.text._ZN7rocprim17ROCPRIM_400000_NS6detail17trampoline_kernelINS0_13select_configILj256ELj13ELNS0_17block_load_methodE3ELS4_3ELS4_3ELNS0_20block_scan_algorithmE0ELj4294967295EEENS1_25partition_config_selectorILNS1_17partition_subalgoE3EjNS0_10empty_typeEbEEZZNS1_14partition_implILS8_3ELb0ES6_jNS0_17counting_iteratorIjlEEPS9_SE_NS0_5tupleIJPjSE_EEENSF_IJSE_SE_EEES9_SG_JZNS1_25segmented_radix_sort_implINS0_14default_configELb0EPKdPdPKlPlN2at6native12_GLOBAL__N_18offset_tEEE10hipError_tPvRmT1_PNSt15iterator_traitsISY_E10value_typeET2_T3_PNSZ_IS14_E10value_typeET4_jRbjT5_S1A_jjP12ihipStream_tbEUljE_EEESV_SW_SX_S14_S18_S1A_T6_T7_T9_mT8_S1C_bDpT10_ENKUlT_T0_E_clISt17integral_constantIbLb0EES1P_EEDaS1K_S1L_EUlS1K_E_NS1_11comp_targetILNS1_3genE8ELNS1_11target_archE1030ELNS1_3gpuE2ELNS1_3repE0EEENS1_30default_config_static_selectorELNS0_4arch9wavefront6targetE0EEEvSY_,"axG",@progbits,_ZN7rocprim17ROCPRIM_400000_NS6detail17trampoline_kernelINS0_13select_configILj256ELj13ELNS0_17block_load_methodE3ELS4_3ELS4_3ELNS0_20block_scan_algorithmE0ELj4294967295EEENS1_25partition_config_selectorILNS1_17partition_subalgoE3EjNS0_10empty_typeEbEEZZNS1_14partition_implILS8_3ELb0ES6_jNS0_17counting_iteratorIjlEEPS9_SE_NS0_5tupleIJPjSE_EEENSF_IJSE_SE_EEES9_SG_JZNS1_25segmented_radix_sort_implINS0_14default_configELb0EPKdPdPKlPlN2at6native12_GLOBAL__N_18offset_tEEE10hipError_tPvRmT1_PNSt15iterator_traitsISY_E10value_typeET2_T3_PNSZ_IS14_E10value_typeET4_jRbjT5_S1A_jjP12ihipStream_tbEUljE_EEESV_SW_SX_S14_S18_S1A_T6_T7_T9_mT8_S1C_bDpT10_ENKUlT_T0_E_clISt17integral_constantIbLb0EES1P_EEDaS1K_S1L_EUlS1K_E_NS1_11comp_targetILNS1_3genE8ELNS1_11target_archE1030ELNS1_3gpuE2ELNS1_3repE0EEENS1_30default_config_static_selectorELNS0_4arch9wavefront6targetE0EEEvSY_,comdat
	.globl	_ZN7rocprim17ROCPRIM_400000_NS6detail17trampoline_kernelINS0_13select_configILj256ELj13ELNS0_17block_load_methodE3ELS4_3ELS4_3ELNS0_20block_scan_algorithmE0ELj4294967295EEENS1_25partition_config_selectorILNS1_17partition_subalgoE3EjNS0_10empty_typeEbEEZZNS1_14partition_implILS8_3ELb0ES6_jNS0_17counting_iteratorIjlEEPS9_SE_NS0_5tupleIJPjSE_EEENSF_IJSE_SE_EEES9_SG_JZNS1_25segmented_radix_sort_implINS0_14default_configELb0EPKdPdPKlPlN2at6native12_GLOBAL__N_18offset_tEEE10hipError_tPvRmT1_PNSt15iterator_traitsISY_E10value_typeET2_T3_PNSZ_IS14_E10value_typeET4_jRbjT5_S1A_jjP12ihipStream_tbEUljE_EEESV_SW_SX_S14_S18_S1A_T6_T7_T9_mT8_S1C_bDpT10_ENKUlT_T0_E_clISt17integral_constantIbLb0EES1P_EEDaS1K_S1L_EUlS1K_E_NS1_11comp_targetILNS1_3genE8ELNS1_11target_archE1030ELNS1_3gpuE2ELNS1_3repE0EEENS1_30default_config_static_selectorELNS0_4arch9wavefront6targetE0EEEvSY_ ; -- Begin function _ZN7rocprim17ROCPRIM_400000_NS6detail17trampoline_kernelINS0_13select_configILj256ELj13ELNS0_17block_load_methodE3ELS4_3ELS4_3ELNS0_20block_scan_algorithmE0ELj4294967295EEENS1_25partition_config_selectorILNS1_17partition_subalgoE3EjNS0_10empty_typeEbEEZZNS1_14partition_implILS8_3ELb0ES6_jNS0_17counting_iteratorIjlEEPS9_SE_NS0_5tupleIJPjSE_EEENSF_IJSE_SE_EEES9_SG_JZNS1_25segmented_radix_sort_implINS0_14default_configELb0EPKdPdPKlPlN2at6native12_GLOBAL__N_18offset_tEEE10hipError_tPvRmT1_PNSt15iterator_traitsISY_E10value_typeET2_T3_PNSZ_IS14_E10value_typeET4_jRbjT5_S1A_jjP12ihipStream_tbEUljE_EEESV_SW_SX_S14_S18_S1A_T6_T7_T9_mT8_S1C_bDpT10_ENKUlT_T0_E_clISt17integral_constantIbLb0EES1P_EEDaS1K_S1L_EUlS1K_E_NS1_11comp_targetILNS1_3genE8ELNS1_11target_archE1030ELNS1_3gpuE2ELNS1_3repE0EEENS1_30default_config_static_selectorELNS0_4arch9wavefront6targetE0EEEvSY_
	.p2align	8
	.type	_ZN7rocprim17ROCPRIM_400000_NS6detail17trampoline_kernelINS0_13select_configILj256ELj13ELNS0_17block_load_methodE3ELS4_3ELS4_3ELNS0_20block_scan_algorithmE0ELj4294967295EEENS1_25partition_config_selectorILNS1_17partition_subalgoE3EjNS0_10empty_typeEbEEZZNS1_14partition_implILS8_3ELb0ES6_jNS0_17counting_iteratorIjlEEPS9_SE_NS0_5tupleIJPjSE_EEENSF_IJSE_SE_EEES9_SG_JZNS1_25segmented_radix_sort_implINS0_14default_configELb0EPKdPdPKlPlN2at6native12_GLOBAL__N_18offset_tEEE10hipError_tPvRmT1_PNSt15iterator_traitsISY_E10value_typeET2_T3_PNSZ_IS14_E10value_typeET4_jRbjT5_S1A_jjP12ihipStream_tbEUljE_EEESV_SW_SX_S14_S18_S1A_T6_T7_T9_mT8_S1C_bDpT10_ENKUlT_T0_E_clISt17integral_constantIbLb0EES1P_EEDaS1K_S1L_EUlS1K_E_NS1_11comp_targetILNS1_3genE8ELNS1_11target_archE1030ELNS1_3gpuE2ELNS1_3repE0EEENS1_30default_config_static_selectorELNS0_4arch9wavefront6targetE0EEEvSY_,@function
_ZN7rocprim17ROCPRIM_400000_NS6detail17trampoline_kernelINS0_13select_configILj256ELj13ELNS0_17block_load_methodE3ELS4_3ELS4_3ELNS0_20block_scan_algorithmE0ELj4294967295EEENS1_25partition_config_selectorILNS1_17partition_subalgoE3EjNS0_10empty_typeEbEEZZNS1_14partition_implILS8_3ELb0ES6_jNS0_17counting_iteratorIjlEEPS9_SE_NS0_5tupleIJPjSE_EEENSF_IJSE_SE_EEES9_SG_JZNS1_25segmented_radix_sort_implINS0_14default_configELb0EPKdPdPKlPlN2at6native12_GLOBAL__N_18offset_tEEE10hipError_tPvRmT1_PNSt15iterator_traitsISY_E10value_typeET2_T3_PNSZ_IS14_E10value_typeET4_jRbjT5_S1A_jjP12ihipStream_tbEUljE_EEESV_SW_SX_S14_S18_S1A_T6_T7_T9_mT8_S1C_bDpT10_ENKUlT_T0_E_clISt17integral_constantIbLb0EES1P_EEDaS1K_S1L_EUlS1K_E_NS1_11comp_targetILNS1_3genE8ELNS1_11target_archE1030ELNS1_3gpuE2ELNS1_3repE0EEENS1_30default_config_static_selectorELNS0_4arch9wavefront6targetE0EEEvSY_: ; @_ZN7rocprim17ROCPRIM_400000_NS6detail17trampoline_kernelINS0_13select_configILj256ELj13ELNS0_17block_load_methodE3ELS4_3ELS4_3ELNS0_20block_scan_algorithmE0ELj4294967295EEENS1_25partition_config_selectorILNS1_17partition_subalgoE3EjNS0_10empty_typeEbEEZZNS1_14partition_implILS8_3ELb0ES6_jNS0_17counting_iteratorIjlEEPS9_SE_NS0_5tupleIJPjSE_EEENSF_IJSE_SE_EEES9_SG_JZNS1_25segmented_radix_sort_implINS0_14default_configELb0EPKdPdPKlPlN2at6native12_GLOBAL__N_18offset_tEEE10hipError_tPvRmT1_PNSt15iterator_traitsISY_E10value_typeET2_T3_PNSZ_IS14_E10value_typeET4_jRbjT5_S1A_jjP12ihipStream_tbEUljE_EEESV_SW_SX_S14_S18_S1A_T6_T7_T9_mT8_S1C_bDpT10_ENKUlT_T0_E_clISt17integral_constantIbLb0EES1P_EEDaS1K_S1L_EUlS1K_E_NS1_11comp_targetILNS1_3genE8ELNS1_11target_archE1030ELNS1_3gpuE2ELNS1_3repE0EEENS1_30default_config_static_selectorELNS0_4arch9wavefront6targetE0EEEvSY_
; %bb.0:
	s_clause 0x6
	s_load_dword s0, s[4:5], 0x70
	s_load_dwordx2 s[16:17], s[4:5], 0x10
	s_load_dwordx4 s[12:15], s[4:5], 0x48
	s_load_dwordx2 s[18:19], s[4:5], 0x58
	s_load_dword s7, s[4:5], 0x8
	s_load_dwordx4 s[8:11], s[4:5], 0x78
	s_load_dword s1, s[4:5], 0x88
	s_mul_i32 s26, s6, 0xd00
	v_lshlrev_b32_e32 v42, 2, v0
	s_waitcnt lgkmcnt(0)
	s_mul_i32 s2, s0, 0xd00
	s_add_i32 s0, s0, -1
	s_add_i32 s3, s2, s16
	s_load_dwordx2 s[20:21], s[14:15], 0x0
	s_sub_i32 s25, s18, s3
	s_addk_i32 s25, 0xd00
	s_add_u32 s2, s16, s2
	s_addc_u32 s3, s17, 0
	s_cmp_eq_u32 s6, s0
	v_cmp_gt_u64_e64 s2, s[18:19], s[2:3]
	s_cselect_b32 s24, -1, 0
	s_cmp_lg_u32 s6, s0
	s_cselect_b32 s0, -1, 0
	s_add_i32 s3, s7, s26
	s_or_b32 s2, s0, s2
	s_add_i32 s3, s3, s16
	s_and_b32 vcc_lo, exec_lo, s2
	v_add_nc_u32_e32 v1, s3, v0
	s_mov_b32 s7, -1
	s_cbranch_vccz .LBB1188_2
; %bb.1:
	v_add_nc_u32_e32 v2, 0x100, v1
	v_add_nc_u32_e32 v3, 0x200, v1
	v_add_nc_u32_e32 v4, 0x300, v1
	v_add_nc_u32_e32 v5, 0x400, v1
	v_add_nc_u32_e32 v6, 0x500, v1
	v_add_nc_u32_e32 v7, 0x600, v1
	v_add_nc_u32_e32 v8, 0x700, v1
	v_add_nc_u32_e32 v9, 0x800, v1
	v_add_nc_u32_e32 v10, 0x900, v1
	v_add_nc_u32_e32 v11, 0xa00, v1
	v_add_nc_u32_e32 v12, 0xb00, v1
	v_add_nc_u32_e32 v13, 0xc00, v1
	ds_write2st64_b32 v42, v1, v2 offset1:4
	ds_write2st64_b32 v42, v3, v4 offset0:8 offset1:12
	ds_write2st64_b32 v42, v5, v6 offset0:16 offset1:20
	;; [unrolled: 1-line block ×5, first 2 shown]
	ds_write_b32 v42, v13 offset:12288
	s_waitcnt lgkmcnt(0)
	s_mov_b32 s7, 0
	s_barrier
.LBB1188_2:
	v_cmp_gt_u32_e64 s0, s25, v0
	v_or_b32_e32 v41, 0x100, v0
	v_or_b32_e32 v40, 0x200, v0
	v_or_b32_e32 v39, 0x300, v0
	v_or_b32_e32 v38, 0x400, v0
	v_or_b32_e32 v37, 0x500, v0
	v_or_b32_e32 v36, 0x600, v0
	v_or_b32_e32 v35, 0x700, v0
	v_or_b32_e32 v34, 0x800, v0
	v_or_b32_e32 v33, 0x900, v0
	v_or_b32_e32 v32, 0xa00, v0
	v_or_b32_e32 v31, 0xb00, v0
	v_or_b32_e32 v30, 0xc00, v0
	s_andn2_b32 vcc_lo, exec_lo, s7
	s_cbranch_vccnz .LBB1188_4
; %bb.3:
	v_add_nc_u32_e32 v2, s3, v41
	v_cmp_gt_u32_e32 vcc_lo, s25, v41
	v_add_nc_u32_e32 v3, s3, v40
	v_add_nc_u32_e32 v4, s3, v39
	v_add_nc_u32_e32 v5, s3, v38
	v_add_nc_u32_e32 v6, s3, v37
	v_cndmask_b32_e32 v2, 0, v2, vcc_lo
	v_cmp_gt_u32_e32 vcc_lo, s25, v40
	v_add_nc_u32_e32 v7, s3, v36
	v_add_nc_u32_e32 v8, s3, v35
	;; [unrolled: 1-line block ×4, first 2 shown]
	v_cndmask_b32_e32 v3, 0, v3, vcc_lo
	v_cmp_gt_u32_e32 vcc_lo, s25, v39
	v_add_nc_u32_e32 v11, s3, v32
	v_add_nc_u32_e32 v12, s3, v31
	v_cndmask_b32_e64 v1, 0, v1, s0
	v_add_nc_u32_e32 v13, s3, v30
	v_cndmask_b32_e32 v4, 0, v4, vcc_lo
	v_cmp_gt_u32_e32 vcc_lo, s25, v38
	v_cndmask_b32_e32 v5, 0, v5, vcc_lo
	v_cmp_gt_u32_e32 vcc_lo, s25, v37
	v_cndmask_b32_e32 v6, 0, v6, vcc_lo
	v_cmp_gt_u32_e32 vcc_lo, s25, v36
	v_cndmask_b32_e32 v7, 0, v7, vcc_lo
	v_cmp_gt_u32_e32 vcc_lo, s25, v35
	v_cndmask_b32_e32 v8, 0, v8, vcc_lo
	v_cmp_gt_u32_e32 vcc_lo, s25, v34
	v_cndmask_b32_e32 v9, 0, v9, vcc_lo
	v_cmp_gt_u32_e32 vcc_lo, s25, v33
	v_cndmask_b32_e32 v10, 0, v10, vcc_lo
	v_cmp_gt_u32_e32 vcc_lo, s25, v32
	v_cndmask_b32_e32 v11, 0, v11, vcc_lo
	v_cmp_gt_u32_e32 vcc_lo, s25, v31
	v_cndmask_b32_e32 v12, 0, v12, vcc_lo
	v_cmp_gt_u32_e32 vcc_lo, s25, v30
	v_cndmask_b32_e32 v13, 0, v13, vcc_lo
	ds_write2st64_b32 v42, v1, v2 offset1:4
	ds_write2st64_b32 v42, v3, v4 offset0:8 offset1:12
	ds_write2st64_b32 v42, v5, v6 offset0:16 offset1:20
	;; [unrolled: 1-line block ×5, first 2 shown]
	ds_write_b32 v42, v13 offset:12288
	s_waitcnt lgkmcnt(0)
	s_barrier
.LBB1188_4:
	v_mul_u32_u24_e32 v45, 13, v0
	s_waitcnt lgkmcnt(0)
	buffer_gl0_inv
	v_cndmask_b32_e64 v43, 0, 1, s2
	s_andn2_b32 vcc_lo, exec_lo, s2
	v_lshlrev_b32_e32 v1, 2, v45
	ds_read2_b32 v[26:27], v1 offset0:2 offset1:3
	ds_read2_b32 v[22:23], v1 offset0:6 offset1:7
	;; [unrolled: 1-line block ×3, first 2 shown]
	ds_read2_b32 v[28:29], v1 offset1:1
	ds_read2_b32 v[18:19], v1 offset0:10 offset1:11
	ds_read_b32 v44, v1 offset:48
	ds_read2_b32 v[20:21], v1 offset0:8 offset1:9
	s_waitcnt lgkmcnt(0)
	s_barrier
	buffer_gl0_inv
	s_cbranch_vccnz .LBB1188_6
; %bb.5:
	v_add_nc_u32_e32 v1, s9, v27
	v_add_nc_u32_e32 v4, s9, v26
	;; [unrolled: 1-line block ×6, first 2 shown]
	v_mul_lo_u32 v4, v4, s8
	v_mul_lo_u32 v1, v1, s8
	;; [unrolled: 1-line block ×4, first 2 shown]
	v_add_nc_u32_e32 v3, s9, v28
	v_add_nc_u32_e32 v7, s11, v28
	v_mul_lo_u32 v2, v2, s8
	v_mul_lo_u32 v6, v6, s10
	v_add_nc_u32_e32 v10, s11, v25
	v_mul_lo_u32 v3, v3, s8
	v_mul_lo_u32 v7, v7, s10
	v_sub_nc_u32_e32 v1, v1, v5
	v_sub_nc_u32_e32 v4, v4, v8
	v_add_nc_u32_e32 v5, s9, v23
	v_add_nc_u32_e32 v8, s11, v23
	v_sub_nc_u32_e32 v2, v2, v6
	v_add_nc_u32_e32 v6, s9, v25
	v_add_nc_u32_e32 v9, s9, v22
	v_mul_lo_u32 v5, v5, s8
	v_mul_lo_u32 v8, v8, s10
	v_sub_nc_u32_e32 v3, v3, v7
	v_add_nc_u32_e32 v7, s9, v24
	v_add_nc_u32_e32 v11, s11, v22
	v_mul_lo_u32 v6, v6, s8
	v_mul_lo_u32 v10, v10, s10
	v_add_nc_u32_e32 v12, s11, v24
	v_mul_lo_u32 v9, v9, s8
	v_mul_lo_u32 v7, v7, s8
	;; [unrolled: 1-line block ×3, first 2 shown]
	v_sub_nc_u32_e32 v5, v5, v8
	v_mul_lo_u32 v8, v12, s10
	v_cmp_lt_u32_e32 vcc_lo, s1, v1
	v_sub_nc_u32_e32 v6, v6, v10
	v_add_nc_u32_e32 v10, s9, v19
	v_add_nc_u32_e32 v14, s11, v19
	;; [unrolled: 1-line block ×3, first 2 shown]
	v_cndmask_b32_e64 v1, 0, 1, vcc_lo
	v_cmp_lt_u32_e32 vcc_lo, s1, v2
	v_sub_nc_u32_e32 v7, v7, v8
	v_sub_nc_u32_e32 v8, v9, v11
	v_add_nc_u32_e32 v11, s9, v21
	v_mul_lo_u32 v10, v10, s8
	v_mul_lo_u32 v14, v14, s10
	v_cndmask_b32_e64 v2, 0, 1, vcc_lo
	v_cmp_lt_u32_e32 vcc_lo, s1, v5
	v_mul_lo_u32 v11, v11, s8
	v_mul_lo_u32 v15, v15, s10
	v_mov_b32_e32 v9, 8
	v_lshlrev_b16 v2, 8, v2
	v_cndmask_b32_e64 v5, 0, 1, vcc_lo
	v_cmp_lt_u32_e32 vcc_lo, s1, v6
	v_sub_nc_u32_e32 v10, v10, v14
	v_add_nc_u32_e32 v12, s9, v20
	v_add_nc_u32_e32 v16, s11, v20
	v_sub_nc_u32_e32 v11, v11, v15
	v_cndmask_b32_e64 v6, 0, 1, vcc_lo
	v_cmp_lt_u32_e32 vcc_lo, s1, v10
	v_lshrrev_b32_sdwa v2, v9, v2 dst_sel:BYTE_1 dst_unused:UNUSED_PAD src0_sel:DWORD src1_sel:DWORD
	v_add_nc_u32_e32 v13, s9, v18
	v_add_nc_u32_e32 v17, s11, v18
	v_mul_lo_u32 v12, v12, s8
	v_cndmask_b32_e64 v10, 0, 1, vcc_lo
	v_cmp_lt_u32_e32 vcc_lo, s1, v11
	v_mul_lo_u32 v16, v16, s10
	v_mul_lo_u32 v13, v13, s8
	;; [unrolled: 1-line block ×3, first 2 shown]
	v_add_nc_u32_e32 v14, s9, v44
	v_cndmask_b32_e64 v11, 0, 1, vcc_lo
	v_cmp_lt_u32_e32 vcc_lo, s1, v3
	v_add_nc_u32_e32 v15, s11, v44
	v_lshlrev_b16 v1, 8, v1
	v_sub_nc_u32_e32 v12, v12, v16
	v_lshlrev_b16 v11, 8, v11
	v_cndmask_b32_e64 v3, 0, 1, vcc_lo
	v_cmp_lt_u32_e32 vcc_lo, s1, v4
	v_sub_nc_u32_e32 v13, v13, v17
	v_mul_lo_u32 v14, v14, s8
	v_mul_lo_u32 v15, v15, s10
	v_or_b32_e32 v2, v3, v2
	v_cndmask_b32_e64 v3, 0, 1, vcc_lo
	v_cmp_lt_u32_e32 vcc_lo, s1, v7
	v_lshlrev_b16 v6, 8, v6
	v_lshlrev_b16 v10, 8, v10
	;; [unrolled: 1-line block ×3, first 2 shown]
	v_lshrrev_b32_sdwa v1, v9, v1 dst_sel:BYTE_1 dst_unused:UNUSED_PAD src0_sel:DWORD src1_sel:DWORD
	v_cndmask_b32_e64 v4, 0, 1, vcc_lo
	v_cmp_lt_u32_e32 vcc_lo, s1, v8
	v_lshrrev_b32_sdwa v8, v9, v11 dst_sel:BYTE_1 dst_unused:UNUSED_PAD src0_sel:DWORD src1_sel:DWORD
	v_lshrrev_b32_sdwa v6, v9, v6 dst_sel:BYTE_1 dst_unused:UNUSED_PAD src0_sel:DWORD src1_sel:DWORD
	v_sub_nc_u32_e32 v14, v14, v15
	v_lshrrev_b32_sdwa v9, v9, v10 dst_sel:BYTE_1 dst_unused:UNUSED_PAD src0_sel:DWORD src1_sel:DWORD
	v_cndmask_b32_e64 v7, 0, 1, vcc_lo
	v_cmp_lt_u32_e32 vcc_lo, s1, v12
	v_or_b32_sdwa v1, v3, v1 dst_sel:WORD_1 dst_unused:UNUSED_PAD src0_sel:DWORD src1_sel:DWORD
	v_or_b32_e32 v3, v4, v6
	v_or_b32_sdwa v4, v7, v5 dst_sel:WORD_1 dst_unused:UNUSED_PAD src0_sel:DWORD src1_sel:DWORD
	v_cndmask_b32_e64 v11, 0, 1, vcc_lo
	v_cmp_lt_u32_e32 vcc_lo, s1, v13
	v_or_b32_sdwa v50, v2, v1 dst_sel:DWORD dst_unused:UNUSED_PAD src0_sel:WORD_0 src1_sel:DWORD
	v_or_b32_sdwa v48, v3, v4 dst_sel:DWORD dst_unused:UNUSED_PAD src0_sel:WORD_0 src1_sel:DWORD
	v_or_b32_e32 v5, v11, v8
	v_cndmask_b32_e64 v10, 0, 1, vcc_lo
	v_cmp_lt_u32_e32 vcc_lo, s1, v14
	v_or_b32_sdwa v6, v10, v9 dst_sel:WORD_1 dst_unused:UNUSED_PAD src0_sel:DWORD src1_sel:DWORD
	v_cndmask_b32_e64 v46, 0, 1, vcc_lo
	v_or_b32_sdwa v47, v5, v6 dst_sel:DWORD dst_unused:UNUSED_PAD src0_sel:WORD_0 src1_sel:DWORD
	s_clause 0x1
	s_load_dwordx2 s[14:15], s[4:5], 0x28
	s_load_dwordx2 s[22:23], s[4:5], 0x68
	s_cbranch_execz .LBB1188_7
	s_branch .LBB1188_34
.LBB1188_6:
                                        ; implicit-def: $vgpr46
                                        ; implicit-def: $vgpr47
                                        ; implicit-def: $vgpr48
                                        ; implicit-def: $vgpr50
	s_clause 0x1
	s_load_dwordx2 s[14:15], s[4:5], 0x28
	s_load_dwordx2 s[22:23], s[4:5], 0x68
.LBB1188_7:
	v_mov_b32_e32 v2, 0
	v_mov_b32_e32 v1, 0
	s_mov_b32 s0, exec_lo
	v_cmpx_gt_u32_e64 s25, v45
	s_cbranch_execz .LBB1188_9
; %bb.8:
	v_add_nc_u32_e32 v1, s9, v28
	v_add_nc_u32_e32 v3, s11, v28
	v_mul_lo_u32 v1, v1, s8
	v_mul_lo_u32 v3, v3, s10
	v_sub_nc_u32_e32 v1, v1, v3
	v_cmp_lt_u32_e32 vcc_lo, s1, v1
	v_cndmask_b32_e64 v1, 0, 1, vcc_lo
.LBB1188_9:
	s_or_b32 exec_lo, exec_lo, s0
	v_add_nc_u32_e32 v3, 1, v45
	s_mov_b32 s0, exec_lo
	v_cmpx_gt_u32_e64 s25, v3
	s_cbranch_execz .LBB1188_11
; %bb.10:
	v_add_nc_u32_e32 v2, s9, v29
	v_add_nc_u32_e32 v3, s11, v29
	v_mul_lo_u32 v2, v2, s8
	v_mul_lo_u32 v3, v3, s10
	v_sub_nc_u32_e32 v2, v2, v3
	v_cmp_lt_u32_e32 vcc_lo, s1, v2
	v_cndmask_b32_e64 v2, 0, 1, vcc_lo
.LBB1188_11:
	s_or_b32 exec_lo, exec_lo, s0
	v_add_nc_u32_e32 v3, 2, v45
	v_mov_b32_e32 v4, 0
	v_cmp_gt_u32_e32 vcc_lo, s25, v3
	v_mov_b32_e32 v3, 0
	s_and_saveexec_b32 s0, vcc_lo
	s_cbranch_execz .LBB1188_13
; %bb.12:
	v_add_nc_u32_e32 v3, s9, v26
	v_add_nc_u32_e32 v5, s11, v26
	v_mul_lo_u32 v3, v3, s8
	v_mul_lo_u32 v5, v5, s10
	v_sub_nc_u32_e32 v3, v3, v5
	v_cmp_lt_u32_e32 vcc_lo, s1, v3
	v_cndmask_b32_e64 v3, 0, 1, vcc_lo
.LBB1188_13:
	s_or_b32 exec_lo, exec_lo, s0
	v_add_nc_u32_e32 v5, 3, v45
	s_mov_b32 s0, exec_lo
	v_cmpx_gt_u32_e64 s25, v5
	s_cbranch_execz .LBB1188_15
; %bb.14:
	v_add_nc_u32_e32 v4, s9, v27
	v_add_nc_u32_e32 v5, s11, v27
	v_mul_lo_u32 v4, v4, s8
	v_mul_lo_u32 v5, v5, s10
	v_sub_nc_u32_e32 v4, v4, v5
	v_cmp_lt_u32_e32 vcc_lo, s1, v4
	v_cndmask_b32_e64 v4, 0, 1, vcc_lo
.LBB1188_15:
	s_or_b32 exec_lo, exec_lo, s0
	v_add_nc_u32_e32 v5, 4, v45
	v_mov_b32_e32 v6, 0
	v_cmp_gt_u32_e32 vcc_lo, s25, v5
	v_mov_b32_e32 v5, 0
	s_and_saveexec_b32 s0, vcc_lo
	;; [unrolled: 30-line block ×5, first 2 shown]
	s_cbranch_execz .LBB1188_29
; %bb.28:
	v_add_nc_u32_e32 v11, s9, v18
	v_add_nc_u32_e32 v13, s11, v18
	v_mul_lo_u32 v11, v11, s8
	v_mul_lo_u32 v13, v13, s10
	v_sub_nc_u32_e32 v11, v11, v13
	v_cmp_lt_u32_e32 vcc_lo, s1, v11
	v_cndmask_b32_e64 v11, 0, 1, vcc_lo
.LBB1188_29:
	s_or_b32 exec_lo, exec_lo, s0
	v_add_nc_u32_e32 v13, 11, v45
	s_mov_b32 s0, exec_lo
	v_cmpx_gt_u32_e64 s25, v13
	s_cbranch_execz .LBB1188_31
; %bb.30:
	v_add_nc_u32_e32 v12, s9, v19
	v_add_nc_u32_e32 v13, s11, v19
	v_mul_lo_u32 v12, v12, s8
	v_mul_lo_u32 v13, v13, s10
	v_sub_nc_u32_e32 v12, v12, v13
	v_cmp_lt_u32_e32 vcc_lo, s1, v12
	v_cndmask_b32_e64 v12, 0, 1, vcc_lo
.LBB1188_31:
	s_or_b32 exec_lo, exec_lo, s0
	v_add_nc_u32_e32 v13, 12, v45
	v_mov_b32_e32 v46, 0
	s_mov_b32 s0, exec_lo
	v_cmpx_gt_u32_e64 s25, v13
	s_cbranch_execz .LBB1188_33
; %bb.32:
	v_add_nc_u32_e32 v13, s9, v44
	v_add_nc_u32_e32 v14, s11, v44
	v_mul_lo_u32 v13, v13, s8
	v_mul_lo_u32 v14, v14, s10
	v_sub_nc_u32_e32 v13, v13, v14
	v_cmp_lt_u32_e32 vcc_lo, s1, v13
	v_cndmask_b32_e64 v46, 0, 1, vcc_lo
.LBB1188_33:
	s_or_b32 exec_lo, exec_lo, s0
	v_lshlrev_b16 v2, 8, v2
	v_lshlrev_b16 v4, 8, v4
	;; [unrolled: 1-line block ×5, first 2 shown]
	v_or_b32_e32 v1, v1, v2
	v_lshlrev_b16 v2, 8, v12
	v_or_b32_sdwa v3, v3, v4 dst_sel:WORD_1 dst_unused:UNUSED_PAD src0_sel:DWORD src1_sel:DWORD
	v_or_b32_e32 v4, v5, v6
	v_or_b32_sdwa v5, v7, v8 dst_sel:WORD_1 dst_unused:UNUSED_PAD src0_sel:DWORD src1_sel:DWORD
	v_or_b32_e32 v6, v9, v10
	v_or_b32_sdwa v2, v11, v2 dst_sel:WORD_1 dst_unused:UNUSED_PAD src0_sel:DWORD src1_sel:DWORD
	v_or_b32_sdwa v50, v1, v3 dst_sel:DWORD dst_unused:UNUSED_PAD src0_sel:WORD_0 src1_sel:DWORD
	v_or_b32_sdwa v48, v4, v5 dst_sel:DWORD dst_unused:UNUSED_PAD src0_sel:WORD_0 src1_sel:DWORD
	;; [unrolled: 1-line block ×3, first 2 shown]
.LBB1188_34:
	v_and_b32_e32 v53, 0xff, v50
	v_bfe_u32 v54, v50, 8, 8
	v_bfe_u32 v55, v50, 16, 8
	v_lshrrev_b32_e32 v52, 24, v50
	v_and_b32_e32 v56, 0xff, v48
	v_bfe_u32 v57, v48, 8, 8
	v_bfe_u32 v58, v48, 16, 8
	v_add3_u32 v1, v54, v53, v55
	v_lshrrev_b32_e32 v51, 24, v48
	v_and_b32_e32 v59, 0xff, v47
	v_bfe_u32 v60, v47, 8, 8
	v_mbcnt_lo_u32_b32 v62, -1, 0
	v_add3_u32 v1, v1, v52, v56
	v_bfe_u32 v61, v47, 16, 8
	v_lshrrev_b32_e32 v49, 24, v47
	v_and_b32_e32 v2, 0xff, v46
	v_and_b32_e32 v3, 15, v62
	v_add3_u32 v1, v1, v57, v58
	v_or_b32_e32 v4, 31, v0
	v_and_b32_e32 v5, 16, v62
	v_lshrrev_b32_e32 v63, 5, v0
	v_cmp_eq_u32_e64 s5, 0, v3
	v_add3_u32 v1, v1, v51, v59
	v_cmp_lt_u32_e64 s4, 1, v3
	v_cmp_lt_u32_e64 s3, 3, v3
	;; [unrolled: 1-line block ×3, first 2 shown]
	v_cmp_eq_u32_e64 s1, 0, v5
	v_add3_u32 v1, v1, v60, v61
	v_cmp_eq_u32_e64 s0, v0, v4
	s_cmp_lg_u32 s6, 0
	s_mov_b32 s7, -1
	v_add3_u32 v64, v1, v49, v2
	s_cbranch_scc0 .LBB1188_56
; %bb.35:
	v_mov_b32_dpp v1, v64 row_shr:1 row_mask:0xf bank_mask:0xf
	v_cndmask_b32_e64 v1, v1, 0, s5
	v_add_nc_u32_e32 v1, v1, v64
	v_mov_b32_dpp v2, v1 row_shr:2 row_mask:0xf bank_mask:0xf
	v_cndmask_b32_e64 v2, 0, v2, s4
	v_add_nc_u32_e32 v1, v1, v2
	v_mov_b32_dpp v2, v1 row_shr:4 row_mask:0xf bank_mask:0xf
	v_cndmask_b32_e64 v2, 0, v2, s3
	v_add_nc_u32_e32 v1, v1, v2
	v_mov_b32_dpp v2, v1 row_shr:8 row_mask:0xf bank_mask:0xf
	v_cndmask_b32_e64 v2, 0, v2, s2
	v_add_nc_u32_e32 v1, v1, v2
	ds_swizzle_b32 v2, v1 offset:swizzle(BROADCAST,32,15)
	s_waitcnt lgkmcnt(0)
	v_cndmask_b32_e64 v2, v2, 0, s1
	v_add_nc_u32_e32 v1, v1, v2
	s_and_saveexec_b32 s7, s0
; %bb.36:
	v_lshlrev_b32_e32 v2, 2, v63
	ds_write_b32 v2, v1
; %bb.37:
	s_or_b32 exec_lo, exec_lo, s7
	s_mov_b32 s7, exec_lo
	s_waitcnt lgkmcnt(0)
	s_barrier
	buffer_gl0_inv
	v_cmpx_gt_u32_e32 8, v0
	s_cbranch_execz .LBB1188_39
; %bb.38:
	ds_read_b32 v2, v42
	v_and_b32_e32 v3, 7, v62
	v_cmp_ne_u32_e32 vcc_lo, 0, v3
	s_waitcnt lgkmcnt(0)
	v_mov_b32_dpp v4, v2 row_shr:1 row_mask:0xf bank_mask:0xf
	v_cndmask_b32_e32 v4, 0, v4, vcc_lo
	v_cmp_lt_u32_e32 vcc_lo, 1, v3
	v_add_nc_u32_e32 v2, v4, v2
	v_mov_b32_dpp v4, v2 row_shr:2 row_mask:0xf bank_mask:0xf
	v_cndmask_b32_e32 v4, 0, v4, vcc_lo
	v_cmp_lt_u32_e32 vcc_lo, 3, v3
	v_add_nc_u32_e32 v2, v2, v4
	v_mov_b32_dpp v4, v2 row_shr:4 row_mask:0xf bank_mask:0xf
	v_cndmask_b32_e32 v3, 0, v4, vcc_lo
	v_add_nc_u32_e32 v2, v2, v3
	ds_write_b32 v42, v2
.LBB1188_39:
	s_or_b32 exec_lo, exec_lo, s7
	s_mov_b32 s8, exec_lo
	v_cmp_gt_u32_e32 vcc_lo, 32, v0
	s_waitcnt lgkmcnt(0)
	s_barrier
	buffer_gl0_inv
                                        ; implicit-def: $vgpr10
	v_cmpx_lt_u32_e32 31, v0
	s_cbranch_execz .LBB1188_41
; %bb.40:
	v_lshl_add_u32 v2, v63, 2, -4
	ds_read_b32 v10, v2
	s_waitcnt lgkmcnt(0)
	v_add_nc_u32_e32 v1, v10, v1
.LBB1188_41:
	s_or_b32 exec_lo, exec_lo, s8
	v_sub_co_u32 v2, s7, v62, 1
	v_cmp_gt_i32_e64 s8, 0, v2
	v_cndmask_b32_e64 v2, v2, v62, s8
	v_lshlrev_b32_e32 v2, 2, v2
	ds_bpermute_b32 v11, v2, v1
	s_and_saveexec_b32 s8, vcc_lo
	s_cbranch_execz .LBB1188_61
; %bb.42:
	v_mov_b32_e32 v7, 0
	ds_read_b32 v1, v7 offset:28
	s_and_saveexec_b32 s9, s7
	s_cbranch_execz .LBB1188_44
; %bb.43:
	s_add_i32 s10, s6, 32
	s_mov_b32 s11, 0
	v_mov_b32_e32 v2, 1
	s_lshl_b64 s[10:11], s[10:11], 3
	s_add_u32 s10, s22, s10
	s_addc_u32 s11, s23, s11
	s_waitcnt lgkmcnt(0)
	global_store_dwordx2 v7, v[1:2], s[10:11]
.LBB1188_44:
	s_or_b32 exec_lo, exec_lo, s9
	v_xad_u32 v3, v62, -1, s6
	s_mov_b32 s10, 0
	v_add_nc_u32_e32 v6, 32, v3
	v_lshlrev_b64 v[4:5], 3, v[6:7]
	v_add_co_u32 v8, vcc_lo, s22, v4
	v_add_co_ci_u32_e64 v9, null, s23, v5, vcc_lo
	global_load_dwordx2 v[5:6], v[8:9], off glc dlc
	s_waitcnt vmcnt(0)
	v_cmp_eq_u16_sdwa s11, v6, v7 src0_sel:BYTE_0 src1_sel:DWORD
	s_and_saveexec_b32 s9, s11
	s_cbranch_execz .LBB1188_48
; %bb.45:
	v_mov_b32_e32 v2, 0
.LBB1188_46:                            ; =>This Inner Loop Header: Depth=1
	global_load_dwordx2 v[5:6], v[8:9], off glc dlc
	s_waitcnt vmcnt(0)
	v_cmp_ne_u16_sdwa s11, v6, v2 src0_sel:BYTE_0 src1_sel:DWORD
	s_or_b32 s10, s11, s10
	s_andn2_b32 exec_lo, exec_lo, s10
	s_cbranch_execnz .LBB1188_46
; %bb.47:
	s_or_b32 exec_lo, exec_lo, s10
.LBB1188_48:
	s_or_b32 exec_lo, exec_lo, s9
	v_cmp_ne_u32_e32 vcc_lo, 31, v62
	v_mov_b32_e32 v12, 2
	v_lshlrev_b32_e64 v13, v62, -1
	v_add_nc_u32_e32 v15, 2, v62
	v_add_nc_u32_e32 v17, 4, v62
	v_add_co_ci_u32_e64 v2, null, 0, v62, vcc_lo
	v_cmp_eq_u16_sdwa s9, v6, v12 src0_sel:BYTE_0 src1_sel:DWORD
	v_cmp_gt_u32_e32 vcc_lo, 30, v62
	v_add_nc_u32_e32 v66, 8, v62
	v_lshlrev_b32_e32 v9, 2, v2
	v_lshl_or_b32 v67, v62, 2, 64
	v_and_or_b32 v4, s9, v13, 0x80000000
	v_cndmask_b32_e64 v7, 0, 2, vcc_lo
	v_add_nc_u32_e32 v68, 16, v62
	ds_bpermute_b32 v2, v9, v5
	v_ffbl_b32_e32 v4, v4
	v_add_lshl_u32 v14, v7, v62, 2
	v_cmp_lt_u32_e32 vcc_lo, v62, v4
	s_waitcnt lgkmcnt(0)
	v_cndmask_b32_e32 v2, 0, v2, vcc_lo
	v_cmp_gt_u32_e32 vcc_lo, 28, v62
	v_add_nc_u32_e32 v2, v2, v5
	v_cndmask_b32_e64 v7, 0, 4, vcc_lo
	v_cmp_le_u32_e32 vcc_lo, v15, v4
	ds_bpermute_b32 v5, v14, v2
	v_add_lshl_u32 v16, v7, v62, 2
	s_waitcnt lgkmcnt(0)
	v_cndmask_b32_e32 v5, 0, v5, vcc_lo
	v_cmp_gt_u32_e32 vcc_lo, 24, v62
	v_add_nc_u32_e32 v2, v2, v5
	v_cndmask_b32_e64 v7, 0, 8, vcc_lo
	v_cmp_le_u32_e32 vcc_lo, v17, v4
	ds_bpermute_b32 v5, v16, v2
	v_add_lshl_u32 v65, v7, v62, 2
	s_waitcnt lgkmcnt(0)
	v_cndmask_b32_e32 v5, 0, v5, vcc_lo
	v_cmp_le_u32_e32 vcc_lo, v66, v4
	v_add_nc_u32_e32 v2, v2, v5
	ds_bpermute_b32 v5, v65, v2
	s_waitcnt lgkmcnt(0)
	v_cndmask_b32_e32 v5, 0, v5, vcc_lo
	v_cmp_le_u32_e32 vcc_lo, v68, v4
	v_add_nc_u32_e32 v2, v2, v5
	ds_bpermute_b32 v5, v67, v2
	s_waitcnt lgkmcnt(0)
	v_cndmask_b32_e32 v4, 0, v5, vcc_lo
	v_add_nc_u32_e32 v5, v2, v4
	v_mov_b32_e32 v4, 0
	s_branch .LBB1188_52
.LBB1188_49:                            ;   in Loop: Header=BB1188_52 Depth=1
	s_or_b32 exec_lo, exec_lo, s10
.LBB1188_50:                            ;   in Loop: Header=BB1188_52 Depth=1
	s_or_b32 exec_lo, exec_lo, s9
	ds_bpermute_b32 v7, v9, v5
	v_cmp_eq_u16_sdwa s9, v6, v12 src0_sel:BYTE_0 src1_sel:DWORD
	v_subrev_nc_u32_e32 v3, 32, v3
	v_and_or_b32 v8, s9, v13, 0x80000000
	s_mov_b32 s9, 0
	v_ffbl_b32_e32 v8, v8
	v_cmp_lt_u32_e32 vcc_lo, v62, v8
	s_waitcnt lgkmcnt(0)
	v_cndmask_b32_e32 v7, 0, v7, vcc_lo
	v_cmp_le_u32_e32 vcc_lo, v15, v8
	v_add_nc_u32_e32 v5, v7, v5
	ds_bpermute_b32 v7, v14, v5
	s_waitcnt lgkmcnt(0)
	v_cndmask_b32_e32 v7, 0, v7, vcc_lo
	v_cmp_le_u32_e32 vcc_lo, v17, v8
	v_add_nc_u32_e32 v5, v5, v7
	ds_bpermute_b32 v7, v16, v5
	;; [unrolled: 5-line block ×4, first 2 shown]
	s_waitcnt lgkmcnt(0)
	v_cndmask_b32_e32 v7, 0, v7, vcc_lo
	v_add3_u32 v5, v7, v2, v5
.LBB1188_51:                            ;   in Loop: Header=BB1188_52 Depth=1
	s_and_b32 vcc_lo, exec_lo, s9
	s_cbranch_vccnz .LBB1188_57
.LBB1188_52:                            ; =>This Loop Header: Depth=1
                                        ;     Child Loop BB1188_55 Depth 2
	v_cmp_ne_u16_sdwa s9, v6, v12 src0_sel:BYTE_0 src1_sel:DWORD
	v_mov_b32_e32 v2, v5
                                        ; implicit-def: $vgpr5
                                        ; implicit-def: $vgpr6
	s_cmp_lg_u32 s9, exec_lo
	s_mov_b32 s9, -1
	s_cbranch_scc1 .LBB1188_51
; %bb.53:                               ;   in Loop: Header=BB1188_52 Depth=1
	v_lshlrev_b64 v[5:6], 3, v[3:4]
	v_add_co_u32 v7, vcc_lo, s22, v5
	v_add_co_ci_u32_e64 v8, null, s23, v6, vcc_lo
	global_load_dwordx2 v[5:6], v[7:8], off glc dlc
	s_waitcnt vmcnt(0)
	v_cmp_eq_u16_sdwa s10, v6, v4 src0_sel:BYTE_0 src1_sel:DWORD
	s_and_saveexec_b32 s9, s10
	s_cbranch_execz .LBB1188_50
; %bb.54:                               ;   in Loop: Header=BB1188_52 Depth=1
	s_mov_b32 s10, 0
.LBB1188_55:                            ;   Parent Loop BB1188_52 Depth=1
                                        ; =>  This Inner Loop Header: Depth=2
	global_load_dwordx2 v[5:6], v[7:8], off glc dlc
	s_waitcnt vmcnt(0)
	v_cmp_ne_u16_sdwa s11, v6, v4 src0_sel:BYTE_0 src1_sel:DWORD
	s_or_b32 s10, s11, s10
	s_andn2_b32 exec_lo, exec_lo, s10
	s_cbranch_execnz .LBB1188_55
	s_branch .LBB1188_49
.LBB1188_56:
                                        ; implicit-def: $vgpr17
                                        ; implicit-def: $vgpr1_vgpr2_vgpr3_vgpr4_vgpr5_vgpr6_vgpr7_vgpr8_vgpr9_vgpr10_vgpr11_vgpr12_vgpr13_vgpr14_vgpr15_vgpr16
	s_and_b32 vcc_lo, exec_lo, s7
	s_cbranch_vccnz .LBB1188_62
	s_branch .LBB1188_71
.LBB1188_57:
	s_and_saveexec_b32 s9, s7
	s_cbranch_execz .LBB1188_59
; %bb.58:
	s_add_i32 s10, s6, 32
	s_mov_b32 s11, 0
	v_add_nc_u32_e32 v3, v2, v1
	v_mov_b32_e32 v4, 2
	s_lshl_b64 s[10:11], s[10:11], 3
	v_mov_b32_e32 v5, 0
	s_add_u32 s10, s22, s10
	s_addc_u32 s11, s23, s11
	global_store_dwordx2 v5, v[3:4], s[10:11]
	ds_write_b64 v5, v[1:2] offset:13312
.LBB1188_59:
	s_or_b32 exec_lo, exec_lo, s9
	v_cmp_eq_u32_e32 vcc_lo, 0, v0
	s_and_b32 exec_lo, exec_lo, vcc_lo
; %bb.60:
	v_mov_b32_e32 v1, 0
	ds_write_b32 v1, v2 offset:28
.LBB1188_61:
	s_or_b32 exec_lo, exec_lo, s8
	v_mov_b32_e32 v12, 0
	s_waitcnt lgkmcnt(0)
	s_waitcnt_vscnt null, 0x0
	s_barrier
	buffer_gl0_inv
	v_cndmask_b32_e64 v2, v11, v10, s7
	ds_read_b32 v1, v12 offset:28
	v_cmp_ne_u32_e32 vcc_lo, 0, v0
	s_waitcnt lgkmcnt(0)
	s_barrier
	buffer_gl0_inv
	ds_read_b64 v[16:17], v12 offset:13312
	v_cndmask_b32_e32 v2, 0, v2, vcc_lo
	v_add_nc_u32_e32 v1, v1, v2
	v_add_nc_u32_e32 v2, v1, v53
	;; [unrolled: 1-line block ×13, first 2 shown]
	s_branch .LBB1188_71
.LBB1188_62:
	v_mov_b32_dpp v1, v64 row_shr:1 row_mask:0xf bank_mask:0xf
	v_cndmask_b32_e64 v1, v1, 0, s5
	v_add_nc_u32_e32 v1, v1, v64
	v_mov_b32_dpp v2, v1 row_shr:2 row_mask:0xf bank_mask:0xf
	v_cndmask_b32_e64 v2, 0, v2, s4
	v_add_nc_u32_e32 v1, v1, v2
	;; [unrolled: 3-line block ×4, first 2 shown]
	ds_swizzle_b32 v2, v1 offset:swizzle(BROADCAST,32,15)
	s_waitcnt lgkmcnt(0)
	v_cndmask_b32_e64 v2, v2, 0, s1
	v_add_nc_u32_e32 v1, v1, v2
	s_and_saveexec_b32 s1, s0
; %bb.63:
	v_lshlrev_b32_e32 v2, 2, v63
	ds_write_b32 v2, v1
; %bb.64:
	s_or_b32 exec_lo, exec_lo, s1
	s_mov_b32 s0, exec_lo
	s_waitcnt lgkmcnt(0)
	s_barrier
	buffer_gl0_inv
	v_cmpx_gt_u32_e32 8, v0
	s_cbranch_execz .LBB1188_66
; %bb.65:
	ds_read_b32 v2, v42
	v_and_b32_e32 v3, 7, v62
	v_cmp_ne_u32_e32 vcc_lo, 0, v3
	s_waitcnt lgkmcnt(0)
	v_mov_b32_dpp v4, v2 row_shr:1 row_mask:0xf bank_mask:0xf
	v_cndmask_b32_e32 v4, 0, v4, vcc_lo
	v_cmp_lt_u32_e32 vcc_lo, 1, v3
	v_add_nc_u32_e32 v2, v4, v2
	v_mov_b32_dpp v4, v2 row_shr:2 row_mask:0xf bank_mask:0xf
	v_cndmask_b32_e32 v4, 0, v4, vcc_lo
	v_cmp_lt_u32_e32 vcc_lo, 3, v3
	v_add_nc_u32_e32 v2, v2, v4
	v_mov_b32_dpp v4, v2 row_shr:4 row_mask:0xf bank_mask:0xf
	v_cndmask_b32_e32 v3, 0, v4, vcc_lo
	v_add_nc_u32_e32 v2, v2, v3
	ds_write_b32 v42, v2
.LBB1188_66:
	s_or_b32 exec_lo, exec_lo, s0
	v_mov_b32_e32 v3, 0
	v_mov_b32_e32 v2, 0
	s_mov_b32 s0, exec_lo
	s_waitcnt lgkmcnt(0)
	s_barrier
	buffer_gl0_inv
	v_cmpx_lt_u32_e32 31, v0
; %bb.67:
	v_lshl_add_u32 v2, v63, 2, -4
	ds_read_b32 v2, v2
; %bb.68:
	s_or_b32 exec_lo, exec_lo, s0
	v_sub_co_u32 v4, vcc_lo, v62, 1
	s_waitcnt lgkmcnt(0)
	v_add_nc_u32_e32 v1, v2, v1
	ds_read_b32 v16, v3 offset:28
	v_cmp_gt_i32_e64 s0, 0, v4
	v_cndmask_b32_e64 v4, v4, v62, s0
	v_cmp_eq_u32_e64 s0, 0, v0
	v_lshlrev_b32_e32 v4, 2, v4
	ds_bpermute_b32 v1, v4, v1
	s_and_saveexec_b32 s1, s0
	s_cbranch_execz .LBB1188_70
; %bb.69:
	v_mov_b32_e32 v3, 0
	v_mov_b32_e32 v17, 2
	s_waitcnt lgkmcnt(1)
	global_store_dwordx2 v3, v[16:17], s[22:23] offset:256
.LBB1188_70:
	s_or_b32 exec_lo, exec_lo, s1
	s_waitcnt lgkmcnt(0)
	v_cndmask_b32_e32 v1, v1, v2, vcc_lo
	v_mov_b32_e32 v17, 0
	s_waitcnt_vscnt null, 0x0
	s_barrier
	buffer_gl0_inv
	v_cndmask_b32_e64 v1, v1, 0, s0
	v_add_nc_u32_e32 v2, v1, v53
	v_add_nc_u32_e32 v3, v2, v54
	;; [unrolled: 1-line block ×12, first 2 shown]
.LBB1188_71:
	s_waitcnt lgkmcnt(0)
	v_add_nc_u32_e32 v45, v16, v45
	v_sub_nc_u32_e32 v1, v1, v17
	v_and_b32_e32 v54, 1, v50
	v_lshrrev_b32_e32 v53, 8, v50
	v_sub_nc_u32_e32 v2, v2, v17
	v_sub_nc_u32_e32 v3, v3, v17
	;; [unrolled: 1-line block ×3, first 2 shown]
	v_cmp_eq_u32_e32 vcc_lo, 1, v54
	v_and_b32_e32 v53, 1, v53
	v_mov_b32_e32 v56, 1
	v_sub_nc_u32_e32 v54, v45, v2
	v_sub_nc_u32_e32 v4, v4, v17
	v_cndmask_b32_e32 v1, v55, v1, vcc_lo
	v_sub_nc_u32_e32 v55, v45, v3
	v_and_b32_sdwa v50, v56, v50 dst_sel:DWORD dst_unused:UNUSED_PAD src0_sel:DWORD src1_sel:WORD_1
	v_add_nc_u32_e32 v54, 1, v54
	v_cmp_eq_u32_e32 vcc_lo, 1, v53
	v_lshlrev_b32_e32 v1, 2, v1
	v_and_b32_e32 v52, 1, v52
	v_sub_nc_u32_e32 v57, v45, v4
	v_add_nc_u32_e32 v55, 2, v55
	v_lshrrev_b32_e32 v15, 8, v48
	ds_write_b32 v1, v28
	v_cndmask_b32_e32 v1, v54, v2, vcc_lo
	v_cmp_eq_u32_e32 vcc_lo, 1, v50
	v_add_nc_u32_e32 v57, 3, v57
	v_lshrrev_b32_e32 v14, 8, v47
	v_lshlrev_b32_e32 v1, 2, v1
	v_cndmask_b32_e32 v2, v55, v3, vcc_lo
	v_cmp_eq_u32_e32 vcc_lo, 1, v52
	ds_write_b32 v1, v29
	v_lshlrev_b32_e32 v2, 2, v2
	v_cndmask_b32_e32 v3, v57, v4, vcc_lo
	v_sub_nc_u32_e32 v4, v5, v17
	v_sub_nc_u32_e32 v5, v6, v17
	v_lshlrev_b32_e32 v3, 2, v3
	v_sub_nc_u32_e32 v1, v45, v4
	v_sub_nc_u32_e32 v6, v45, v5
	ds_write_b32 v2, v26
	ds_write_b32 v3, v27
	v_and_b32_e32 v2, 1, v48
	v_add_nc_u32_e32 v1, 4, v1
	v_add_nc_u32_e32 v3, 5, v6
	v_sub_nc_u32_e32 v6, v7, v17
	v_and_b32_e32 v7, 1, v15
	v_cmp_eq_u32_e32 vcc_lo, 1, v2
	v_sub_nc_u32_e32 v2, v8, v17
	v_and_b32_e32 v8, 1, v51
	v_add_co_u32 v15, s0, s20, v17
	v_cndmask_b32_e32 v1, v1, v4, vcc_lo
	v_sub_nc_u32_e32 v4, v45, v6
	v_cmp_eq_u32_e32 vcc_lo, 1, v7
	v_and_b32_sdwa v7, v56, v48 dst_sel:DWORD dst_unused:UNUSED_PAD src0_sel:DWORD src1_sel:WORD_1
	v_lshlrev_b32_e32 v1, 2, v1
	v_add_nc_u32_e32 v4, 6, v4
	v_cndmask_b32_e32 v3, v3, v5, vcc_lo
	v_sub_nc_u32_e32 v5, v45, v2
	v_cmp_eq_u32_e32 vcc_lo, 1, v7
	v_sub_nc_u32_e32 v7, v13, v17
	v_lshlrev_b32_e32 v3, 2, v3
	v_add_nc_u32_e32 v5, 7, v5
	v_cndmask_b32_e32 v4, v4, v6, vcc_lo
	v_cmp_eq_u32_e32 vcc_lo, 1, v8
	v_sub_nc_u32_e32 v6, v9, v17
	ds_write_b32 v1, v24
	ds_write_b32 v3, v25
	v_lshlrev_b32_e32 v3, 2, v4
	v_cndmask_b32_e32 v2, v5, v2, vcc_lo
	v_sub_nc_u32_e32 v1, v45, v6
	v_and_b32_e32 v5, 1, v47
	v_sub_nc_u32_e32 v4, v10, v17
	v_and_b32_e32 v10, 1, v49
	v_lshlrev_b32_e32 v2, 2, v2
	v_add_nc_u32_e32 v1, 8, v1
	ds_write_b32 v3, v22
	ds_write_b32 v2, v23
	v_cmp_eq_u32_e32 vcc_lo, 1, v5
	v_sub_nc_u32_e32 v3, v11, v17
	v_sub_nc_u32_e32 v2, v45, v4
	;; [unrolled: 1-line block ×3, first 2 shown]
	v_and_b32_e32 v11, 1, v46
	v_cndmask_b32_e32 v1, v1, v6, vcc_lo
	v_and_b32_e32 v6, 1, v14
	v_sub_nc_u32_e32 v8, v45, v3
	v_add_nc_u32_e32 v2, 9, v2
	v_sub_nc_u32_e32 v9, v45, v5
	v_lshlrev_b32_e32 v1, 2, v1
	v_cmp_eq_u32_e32 vcc_lo, 1, v6
	v_add_nc_u32_e32 v6, 10, v8
	v_and_b32_sdwa v8, v56, v47 dst_sel:DWORD dst_unused:UNUSED_PAD src0_sel:DWORD src1_sel:WORD_1
	v_add_nc_u32_e32 v9, 11, v9
	v_add_co_ci_u32_e64 v17, null, s21, 0, s0
	v_cndmask_b32_e32 v2, v2, v4, vcc_lo
	v_cmp_eq_u32_e32 vcc_lo, 1, v8
	v_sub_nc_u32_e32 v4, v45, v7
	v_lshlrev_b32_e32 v2, 2, v2
	v_cndmask_b32_e32 v3, v6, v3, vcc_lo
	v_cmp_eq_u32_e32 vcc_lo, 1, v10
	v_add_nc_u32_e32 v4, 12, v4
	v_lshlrev_b32_e32 v3, 2, v3
	v_cndmask_b32_e32 v5, v9, v5, vcc_lo
	v_cmp_eq_u32_e32 vcc_lo, 1, v11
	v_lshlrev_b32_e32 v5, 2, v5
	v_cndmask_b32_e32 v4, v4, v7, vcc_lo
	v_cmp_ne_u32_e32 vcc_lo, 1, v43
	v_lshlrev_b32_e32 v4, 2, v4
	ds_write_b32 v1, v20
	ds_write_b32 v2, v21
	;; [unrolled: 1-line block ×5, first 2 shown]
	s_waitcnt lgkmcnt(0)
	s_barrier
	buffer_gl0_inv
	ds_read2st64_b32 v[11:12], v42 offset1:4
	ds_read2st64_b32 v[9:10], v42 offset0:8 offset1:12
	ds_read2st64_b32 v[7:8], v42 offset0:16 offset1:20
	ds_read2st64_b32 v[5:6], v42 offset0:24 offset1:28
	ds_read2st64_b32 v[3:4], v42 offset0:32 offset1:36
	ds_read2st64_b32 v[1:2], v42 offset0:40 offset1:44
	ds_read_b32 v18, v42 offset:12288
	s_cbranch_vccnz .LBB1188_125
; %bb.72:
	s_sub_u32 s0, s18, s26
	v_sub_co_u32 v13, vcc_lo, v15, s16
	s_subb_u32 s1, s19, 0
	v_add_co_u32 v19, s0, s0, v16
	v_subrev_co_ci_u32_e64 v14, null, s17, v17, vcc_lo
	v_add_co_ci_u32_e64 v20, null, s1, 0, s0
	v_add_co_u32 v19, vcc_lo, v19, v13
	s_mov_b32 s0, exec_lo
	v_add_co_ci_u32_e64 v20, null, v20, v14, vcc_lo
                                        ; implicit-def: $vgpr13_vgpr14
	v_cmpx_ge_u32_e64 v0, v16
	s_xor_b32 s0, exec_lo, s0
; %bb.73:
	v_not_b32_e32 v13, v0
	v_ashrrev_i32_e32 v14, 31, v13
	v_add_co_u32 v13, vcc_lo, v19, v13
	v_add_co_ci_u32_e64 v14, null, v20, v14, vcc_lo
; %bb.74:
	s_andn2_saveexec_b32 s0, s0
; %bb.75:
	v_add_co_u32 v13, vcc_lo, v15, v0
	v_add_co_ci_u32_e64 v14, null, 0, v17, vcc_lo
; %bb.76:
	s_or_b32 exec_lo, exec_lo, s0
	v_lshlrev_b64 v[13:14], 2, v[13:14]
	s_mov_b32 s0, exec_lo
	v_add_co_u32 v13, vcc_lo, s14, v13
	v_add_co_ci_u32_e64 v14, null, s15, v14, vcc_lo
	s_waitcnt lgkmcnt(6)
	global_store_dword v[13:14], v11, off
                                        ; implicit-def: $vgpr13_vgpr14
	v_cmpx_ge_u32_e64 v41, v16
	s_xor_b32 s0, exec_lo, s0
; %bb.77:
	v_xor_b32_e32 v13, 0xfffffeff, v0
	v_ashrrev_i32_e32 v14, 31, v13
	v_add_co_u32 v13, vcc_lo, v19, v13
	v_add_co_ci_u32_e64 v14, null, v20, v14, vcc_lo
; %bb.78:
	s_andn2_saveexec_b32 s0, s0
; %bb.79:
	v_add_co_u32 v13, vcc_lo, v15, v41
	v_add_co_ci_u32_e64 v14, null, 0, v17, vcc_lo
; %bb.80:
	s_or_b32 exec_lo, exec_lo, s0
	v_lshlrev_b64 v[13:14], 2, v[13:14]
	s_mov_b32 s0, exec_lo
	v_add_co_u32 v13, vcc_lo, s14, v13
	v_add_co_ci_u32_e64 v14, null, s15, v14, vcc_lo
	global_store_dword v[13:14], v12, off
                                        ; implicit-def: $vgpr13_vgpr14
	v_cmpx_ge_u32_e64 v40, v16
	s_xor_b32 s0, exec_lo, s0
; %bb.81:
	v_xor_b32_e32 v13, 0xfffffdff, v0
	v_ashrrev_i32_e32 v14, 31, v13
	v_add_co_u32 v13, vcc_lo, v19, v13
	v_add_co_ci_u32_e64 v14, null, v20, v14, vcc_lo
; %bb.82:
	s_andn2_saveexec_b32 s0, s0
; %bb.83:
	v_add_co_u32 v13, vcc_lo, v15, v40
	v_add_co_ci_u32_e64 v14, null, 0, v17, vcc_lo
; %bb.84:
	s_or_b32 exec_lo, exec_lo, s0
	v_lshlrev_b64 v[13:14], 2, v[13:14]
	s_mov_b32 s0, exec_lo
	v_add_co_u32 v13, vcc_lo, s14, v13
	v_add_co_ci_u32_e64 v14, null, s15, v14, vcc_lo
	s_waitcnt lgkmcnt(5)
	global_store_dword v[13:14], v9, off
                                        ; implicit-def: $vgpr13_vgpr14
	v_cmpx_ge_u32_e64 v39, v16
	s_xor_b32 s0, exec_lo, s0
; %bb.85:
	v_xor_b32_e32 v13, 0xfffffcff, v0
	v_ashrrev_i32_e32 v14, 31, v13
	v_add_co_u32 v13, vcc_lo, v19, v13
	v_add_co_ci_u32_e64 v14, null, v20, v14, vcc_lo
; %bb.86:
	s_andn2_saveexec_b32 s0, s0
; %bb.87:
	v_add_co_u32 v13, vcc_lo, v15, v39
	v_add_co_ci_u32_e64 v14, null, 0, v17, vcc_lo
; %bb.88:
	s_or_b32 exec_lo, exec_lo, s0
	v_lshlrev_b64 v[13:14], 2, v[13:14]
	s_mov_b32 s0, exec_lo
	v_add_co_u32 v13, vcc_lo, s14, v13
	v_add_co_ci_u32_e64 v14, null, s15, v14, vcc_lo
	global_store_dword v[13:14], v10, off
                                        ; implicit-def: $vgpr13_vgpr14
	v_cmpx_ge_u32_e64 v38, v16
	s_xor_b32 s0, exec_lo, s0
; %bb.89:
	v_xor_b32_e32 v13, 0xfffffbff, v0
	;; [unrolled: 41-line block ×6, first 2 shown]
	v_ashrrev_i32_e32 v14, 31, v13
	v_add_co_u32 v13, vcc_lo, v19, v13
	v_add_co_ci_u32_e64 v14, null, v20, v14, vcc_lo
; %bb.122:
	s_andn2_saveexec_b32 s0, s0
; %bb.123:
	v_add_co_u32 v13, vcc_lo, v15, v30
	v_add_co_ci_u32_e64 v14, null, 0, v17, vcc_lo
; %bb.124:
	s_or_b32 exec_lo, exec_lo, s0
	s_mov_b32 s0, -1
	s_branch .LBB1188_205
.LBB1188_125:
	s_mov_b32 s0, 0
                                        ; implicit-def: $vgpr13_vgpr14
	s_cbranch_execz .LBB1188_205
; %bb.126:
	s_add_u32 s1, s16, s26
	s_addc_u32 s2, s17, 0
	s_sub_u32 s1, s18, s1
	s_subb_u32 s2, s19, s2
	v_add_co_u32 v13, s1, s1, v16
	v_add_co_ci_u32_e64 v14, null, s2, 0, s1
	s_mov_b32 s1, exec_lo
	v_add_co_u32 v19, vcc_lo, v13, v15
	v_add_co_ci_u32_e64 v20, null, v14, v17, vcc_lo
	v_cmpx_gt_u32_e64 s25, v0
	s_cbranch_execz .LBB1188_162
; %bb.127:
	s_mov_b32 s2, exec_lo
                                        ; implicit-def: $vgpr13_vgpr14
	v_cmpx_ge_u32_e64 v0, v16
	s_xor_b32 s2, exec_lo, s2
; %bb.128:
	v_not_b32_e32 v13, v0
	v_ashrrev_i32_e32 v14, 31, v13
	v_add_co_u32 v13, vcc_lo, v19, v13
	v_add_co_ci_u32_e64 v14, null, v20, v14, vcc_lo
; %bb.129:
	s_andn2_saveexec_b32 s2, s2
; %bb.130:
	v_add_co_u32 v13, vcc_lo, v15, v0
	v_add_co_ci_u32_e64 v14, null, 0, v17, vcc_lo
; %bb.131:
	s_or_b32 exec_lo, exec_lo, s2
	v_lshlrev_b64 v[13:14], 2, v[13:14]
	v_add_co_u32 v13, vcc_lo, s14, v13
	v_add_co_ci_u32_e64 v14, null, s15, v14, vcc_lo
	s_waitcnt lgkmcnt(6)
	global_store_dword v[13:14], v11, off
	s_or_b32 exec_lo, exec_lo, s1
	s_mov_b32 s1, exec_lo
	v_cmpx_gt_u32_e64 s25, v41
	s_cbranch_execnz .LBB1188_163
.LBB1188_132:
	s_or_b32 exec_lo, exec_lo, s1
	s_mov_b32 s1, exec_lo
	v_cmpx_gt_u32_e64 s25, v40
	s_cbranch_execz .LBB1188_168
.LBB1188_133:
	s_mov_b32 s2, exec_lo
                                        ; implicit-def: $vgpr11_vgpr12
	v_cmpx_ge_u32_e64 v40, v16
	s_xor_b32 s2, exec_lo, s2
	s_cbranch_execz .LBB1188_135
; %bb.134:
	s_waitcnt lgkmcnt(6)
	v_xor_b32_e32 v11, 0xfffffdff, v0
                                        ; implicit-def: $vgpr40
	v_ashrrev_i32_e32 v12, 31, v11
	v_add_co_u32 v11, vcc_lo, v19, v11
	v_add_co_ci_u32_e64 v12, null, v20, v12, vcc_lo
.LBB1188_135:
	s_andn2_saveexec_b32 s2, s2
	s_cbranch_execz .LBB1188_137
; %bb.136:
	s_waitcnt lgkmcnt(6)
	v_add_co_u32 v11, vcc_lo, v15, v40
	v_add_co_ci_u32_e64 v12, null, 0, v17, vcc_lo
.LBB1188_137:
	s_or_b32 exec_lo, exec_lo, s2
	s_waitcnt lgkmcnt(6)
	v_lshlrev_b64 v[11:12], 2, v[11:12]
	v_add_co_u32 v11, vcc_lo, s14, v11
	v_add_co_ci_u32_e64 v12, null, s15, v12, vcc_lo
	s_waitcnt lgkmcnt(5)
	global_store_dword v[11:12], v9, off
	s_or_b32 exec_lo, exec_lo, s1
	s_mov_b32 s1, exec_lo
	v_cmpx_gt_u32_e64 s25, v39
	s_cbranch_execnz .LBB1188_169
.LBB1188_138:
	s_or_b32 exec_lo, exec_lo, s1
	s_mov_b32 s1, exec_lo
	v_cmpx_gt_u32_e64 s25, v38
	s_cbranch_execz .LBB1188_174
.LBB1188_139:
	s_mov_b32 s2, exec_lo
                                        ; implicit-def: $vgpr9_vgpr10
	v_cmpx_ge_u32_e64 v38, v16
	s_xor_b32 s2, exec_lo, s2
	s_cbranch_execz .LBB1188_141
; %bb.140:
	s_waitcnt lgkmcnt(5)
	v_xor_b32_e32 v9, 0xfffffbff, v0
                                        ; implicit-def: $vgpr38
	v_ashrrev_i32_e32 v10, 31, v9
	v_add_co_u32 v9, vcc_lo, v19, v9
	v_add_co_ci_u32_e64 v10, null, v20, v10, vcc_lo
.LBB1188_141:
	s_andn2_saveexec_b32 s2, s2
	s_cbranch_execz .LBB1188_143
; %bb.142:
	s_waitcnt lgkmcnt(5)
	v_add_co_u32 v9, vcc_lo, v15, v38
	v_add_co_ci_u32_e64 v10, null, 0, v17, vcc_lo
.LBB1188_143:
	s_or_b32 exec_lo, exec_lo, s2
	s_waitcnt lgkmcnt(5)
	v_lshlrev_b64 v[9:10], 2, v[9:10]
	v_add_co_u32 v9, vcc_lo, s14, v9
	v_add_co_ci_u32_e64 v10, null, s15, v10, vcc_lo
	s_waitcnt lgkmcnt(4)
	global_store_dword v[9:10], v7, off
	s_or_b32 exec_lo, exec_lo, s1
	s_mov_b32 s1, exec_lo
	v_cmpx_gt_u32_e64 s25, v37
	s_cbranch_execnz .LBB1188_175
.LBB1188_144:
	s_or_b32 exec_lo, exec_lo, s1
	s_mov_b32 s1, exec_lo
	v_cmpx_gt_u32_e64 s25, v36
	s_cbranch_execz .LBB1188_180
.LBB1188_145:
	s_mov_b32 s2, exec_lo
                                        ; implicit-def: $vgpr7_vgpr8
	v_cmpx_ge_u32_e64 v36, v16
	s_xor_b32 s2, exec_lo, s2
	s_cbranch_execz .LBB1188_147
; %bb.146:
	s_waitcnt lgkmcnt(4)
	v_xor_b32_e32 v7, 0xfffff9ff, v0
                                        ; implicit-def: $vgpr36
	v_ashrrev_i32_e32 v8, 31, v7
	v_add_co_u32 v7, vcc_lo, v19, v7
	v_add_co_ci_u32_e64 v8, null, v20, v8, vcc_lo
.LBB1188_147:
	s_andn2_saveexec_b32 s2, s2
	s_cbranch_execz .LBB1188_149
; %bb.148:
	s_waitcnt lgkmcnt(4)
	v_add_co_u32 v7, vcc_lo, v15, v36
	v_add_co_ci_u32_e64 v8, null, 0, v17, vcc_lo
.LBB1188_149:
	s_or_b32 exec_lo, exec_lo, s2
	s_waitcnt lgkmcnt(4)
	v_lshlrev_b64 v[7:8], 2, v[7:8]
	v_add_co_u32 v7, vcc_lo, s14, v7
	v_add_co_ci_u32_e64 v8, null, s15, v8, vcc_lo
	s_waitcnt lgkmcnt(3)
	global_store_dword v[7:8], v5, off
	s_or_b32 exec_lo, exec_lo, s1
	s_mov_b32 s1, exec_lo
	v_cmpx_gt_u32_e64 s25, v35
	s_cbranch_execnz .LBB1188_181
.LBB1188_150:
	s_or_b32 exec_lo, exec_lo, s1
	s_mov_b32 s1, exec_lo
	v_cmpx_gt_u32_e64 s25, v34
	s_cbranch_execz .LBB1188_186
.LBB1188_151:
	s_mov_b32 s2, exec_lo
                                        ; implicit-def: $vgpr5_vgpr6
	v_cmpx_ge_u32_e64 v34, v16
	s_xor_b32 s2, exec_lo, s2
	s_cbranch_execz .LBB1188_153
; %bb.152:
	s_waitcnt lgkmcnt(3)
	v_xor_b32_e32 v5, 0xfffff7ff, v0
                                        ; implicit-def: $vgpr34
	v_ashrrev_i32_e32 v6, 31, v5
	v_add_co_u32 v5, vcc_lo, v19, v5
	v_add_co_ci_u32_e64 v6, null, v20, v6, vcc_lo
.LBB1188_153:
	s_andn2_saveexec_b32 s2, s2
	s_cbranch_execz .LBB1188_155
; %bb.154:
	s_waitcnt lgkmcnt(3)
	v_add_co_u32 v5, vcc_lo, v15, v34
	v_add_co_ci_u32_e64 v6, null, 0, v17, vcc_lo
.LBB1188_155:
	s_or_b32 exec_lo, exec_lo, s2
	s_waitcnt lgkmcnt(3)
	v_lshlrev_b64 v[5:6], 2, v[5:6]
	v_add_co_u32 v5, vcc_lo, s14, v5
	v_add_co_ci_u32_e64 v6, null, s15, v6, vcc_lo
	s_waitcnt lgkmcnt(2)
	global_store_dword v[5:6], v3, off
	s_or_b32 exec_lo, exec_lo, s1
	s_mov_b32 s1, exec_lo
	v_cmpx_gt_u32_e64 s25, v33
	s_cbranch_execnz .LBB1188_187
.LBB1188_156:
	s_or_b32 exec_lo, exec_lo, s1
	s_mov_b32 s1, exec_lo
	v_cmpx_gt_u32_e64 s25, v32
	s_cbranch_execz .LBB1188_192
.LBB1188_157:
	s_mov_b32 s2, exec_lo
                                        ; implicit-def: $vgpr3_vgpr4
	v_cmpx_ge_u32_e64 v32, v16
	s_xor_b32 s2, exec_lo, s2
	s_cbranch_execz .LBB1188_159
; %bb.158:
	s_waitcnt lgkmcnt(2)
	v_xor_b32_e32 v3, 0xfffff5ff, v0
                                        ; implicit-def: $vgpr32
	v_ashrrev_i32_e32 v4, 31, v3
	v_add_co_u32 v3, vcc_lo, v19, v3
	v_add_co_ci_u32_e64 v4, null, v20, v4, vcc_lo
.LBB1188_159:
	s_andn2_saveexec_b32 s2, s2
	s_cbranch_execz .LBB1188_161
; %bb.160:
	s_waitcnt lgkmcnt(2)
	v_add_co_u32 v3, vcc_lo, v15, v32
	v_add_co_ci_u32_e64 v4, null, 0, v17, vcc_lo
.LBB1188_161:
	s_or_b32 exec_lo, exec_lo, s2
	s_waitcnt lgkmcnt(2)
	v_lshlrev_b64 v[3:4], 2, v[3:4]
	v_add_co_u32 v3, vcc_lo, s14, v3
	v_add_co_ci_u32_e64 v4, null, s15, v4, vcc_lo
	s_waitcnt lgkmcnt(1)
	global_store_dword v[3:4], v1, off
	s_or_b32 exec_lo, exec_lo, s1
	s_mov_b32 s1, exec_lo
	v_cmpx_gt_u32_e64 s25, v31
	s_cbranch_execz .LBB1188_198
	s_branch .LBB1188_193
.LBB1188_162:
	s_or_b32 exec_lo, exec_lo, s1
	s_mov_b32 s1, exec_lo
	v_cmpx_gt_u32_e64 s25, v41
	s_cbranch_execz .LBB1188_132
.LBB1188_163:
	s_mov_b32 s2, exec_lo
                                        ; implicit-def: $vgpr13_vgpr14
	v_cmpx_ge_u32_e64 v41, v16
	s_xor_b32 s2, exec_lo, s2
	s_cbranch_execz .LBB1188_165
; %bb.164:
	s_waitcnt lgkmcnt(6)
	v_xor_b32_e32 v11, 0xfffffeff, v0
                                        ; implicit-def: $vgpr41
	v_ashrrev_i32_e32 v14, 31, v11
	v_add_co_u32 v13, vcc_lo, v19, v11
	v_add_co_ci_u32_e64 v14, null, v20, v14, vcc_lo
.LBB1188_165:
	s_andn2_saveexec_b32 s2, s2
; %bb.166:
	v_add_co_u32 v13, vcc_lo, v15, v41
	v_add_co_ci_u32_e64 v14, null, 0, v17, vcc_lo
; %bb.167:
	s_or_b32 exec_lo, exec_lo, s2
	v_lshlrev_b64 v[13:14], 2, v[13:14]
	v_add_co_u32 v13, vcc_lo, s14, v13
	v_add_co_ci_u32_e64 v14, null, s15, v14, vcc_lo
	s_waitcnt lgkmcnt(6)
	global_store_dword v[13:14], v12, off
	s_or_b32 exec_lo, exec_lo, s1
	s_mov_b32 s1, exec_lo
	v_cmpx_gt_u32_e64 s25, v40
	s_cbranch_execnz .LBB1188_133
.LBB1188_168:
	s_or_b32 exec_lo, exec_lo, s1
	s_mov_b32 s1, exec_lo
	v_cmpx_gt_u32_e64 s25, v39
	s_cbranch_execz .LBB1188_138
.LBB1188_169:
	s_mov_b32 s2, exec_lo
                                        ; implicit-def: $vgpr11_vgpr12
	v_cmpx_ge_u32_e64 v39, v16
	s_xor_b32 s2, exec_lo, s2
	s_cbranch_execz .LBB1188_171
; %bb.170:
	s_waitcnt lgkmcnt(5)
	v_xor_b32_e32 v9, 0xfffffcff, v0
                                        ; implicit-def: $vgpr39
	v_ashrrev_i32_e32 v12, 31, v9
	v_add_co_u32 v11, vcc_lo, v19, v9
	v_add_co_ci_u32_e64 v12, null, v20, v12, vcc_lo
.LBB1188_171:
	s_andn2_saveexec_b32 s2, s2
	s_cbranch_execz .LBB1188_173
; %bb.172:
	s_waitcnt lgkmcnt(6)
	v_add_co_u32 v11, vcc_lo, v15, v39
	v_add_co_ci_u32_e64 v12, null, 0, v17, vcc_lo
.LBB1188_173:
	s_or_b32 exec_lo, exec_lo, s2
	s_waitcnt lgkmcnt(6)
	v_lshlrev_b64 v[11:12], 2, v[11:12]
	v_add_co_u32 v11, vcc_lo, s14, v11
	v_add_co_ci_u32_e64 v12, null, s15, v12, vcc_lo
	s_waitcnt lgkmcnt(5)
	global_store_dword v[11:12], v10, off
	s_or_b32 exec_lo, exec_lo, s1
	s_mov_b32 s1, exec_lo
	v_cmpx_gt_u32_e64 s25, v38
	s_cbranch_execnz .LBB1188_139
.LBB1188_174:
	s_or_b32 exec_lo, exec_lo, s1
	s_mov_b32 s1, exec_lo
	v_cmpx_gt_u32_e64 s25, v37
	s_cbranch_execz .LBB1188_144
.LBB1188_175:
	s_mov_b32 s2, exec_lo
                                        ; implicit-def: $vgpr9_vgpr10
	v_cmpx_ge_u32_e64 v37, v16
	s_xor_b32 s2, exec_lo, s2
	s_cbranch_execz .LBB1188_177
; %bb.176:
	s_waitcnt lgkmcnt(4)
	v_xor_b32_e32 v7, 0xfffffaff, v0
                                        ; implicit-def: $vgpr37
	v_ashrrev_i32_e32 v10, 31, v7
	v_add_co_u32 v9, vcc_lo, v19, v7
	v_add_co_ci_u32_e64 v10, null, v20, v10, vcc_lo
.LBB1188_177:
	s_andn2_saveexec_b32 s2, s2
	s_cbranch_execz .LBB1188_179
; %bb.178:
	s_waitcnt lgkmcnt(5)
	v_add_co_u32 v9, vcc_lo, v15, v37
	v_add_co_ci_u32_e64 v10, null, 0, v17, vcc_lo
.LBB1188_179:
	s_or_b32 exec_lo, exec_lo, s2
	s_waitcnt lgkmcnt(5)
	v_lshlrev_b64 v[9:10], 2, v[9:10]
	v_add_co_u32 v9, vcc_lo, s14, v9
	v_add_co_ci_u32_e64 v10, null, s15, v10, vcc_lo
	s_waitcnt lgkmcnt(4)
	global_store_dword v[9:10], v8, off
	s_or_b32 exec_lo, exec_lo, s1
	s_mov_b32 s1, exec_lo
	v_cmpx_gt_u32_e64 s25, v36
	s_cbranch_execnz .LBB1188_145
.LBB1188_180:
	s_or_b32 exec_lo, exec_lo, s1
	s_mov_b32 s1, exec_lo
	v_cmpx_gt_u32_e64 s25, v35
	s_cbranch_execz .LBB1188_150
.LBB1188_181:
	s_mov_b32 s2, exec_lo
                                        ; implicit-def: $vgpr7_vgpr8
	v_cmpx_ge_u32_e64 v35, v16
	s_xor_b32 s2, exec_lo, s2
	s_cbranch_execz .LBB1188_183
; %bb.182:
	s_waitcnt lgkmcnt(3)
	v_xor_b32_e32 v5, 0xfffff8ff, v0
                                        ; implicit-def: $vgpr35
	v_ashrrev_i32_e32 v8, 31, v5
	v_add_co_u32 v7, vcc_lo, v19, v5
	v_add_co_ci_u32_e64 v8, null, v20, v8, vcc_lo
.LBB1188_183:
	s_andn2_saveexec_b32 s2, s2
	s_cbranch_execz .LBB1188_185
; %bb.184:
	s_waitcnt lgkmcnt(4)
	v_add_co_u32 v7, vcc_lo, v15, v35
	v_add_co_ci_u32_e64 v8, null, 0, v17, vcc_lo
.LBB1188_185:
	s_or_b32 exec_lo, exec_lo, s2
	s_waitcnt lgkmcnt(4)
	v_lshlrev_b64 v[7:8], 2, v[7:8]
	v_add_co_u32 v7, vcc_lo, s14, v7
	v_add_co_ci_u32_e64 v8, null, s15, v8, vcc_lo
	s_waitcnt lgkmcnt(3)
	global_store_dword v[7:8], v6, off
	s_or_b32 exec_lo, exec_lo, s1
	s_mov_b32 s1, exec_lo
	v_cmpx_gt_u32_e64 s25, v34
	s_cbranch_execnz .LBB1188_151
.LBB1188_186:
	s_or_b32 exec_lo, exec_lo, s1
	s_mov_b32 s1, exec_lo
	v_cmpx_gt_u32_e64 s25, v33
	s_cbranch_execz .LBB1188_156
.LBB1188_187:
	s_mov_b32 s2, exec_lo
                                        ; implicit-def: $vgpr5_vgpr6
	v_cmpx_ge_u32_e64 v33, v16
	s_xor_b32 s2, exec_lo, s2
	s_cbranch_execz .LBB1188_189
; %bb.188:
	s_waitcnt lgkmcnt(2)
	v_xor_b32_e32 v3, 0xfffff6ff, v0
                                        ; implicit-def: $vgpr33
	v_ashrrev_i32_e32 v6, 31, v3
	v_add_co_u32 v5, vcc_lo, v19, v3
	v_add_co_ci_u32_e64 v6, null, v20, v6, vcc_lo
.LBB1188_189:
	s_andn2_saveexec_b32 s2, s2
	s_cbranch_execz .LBB1188_191
; %bb.190:
	s_waitcnt lgkmcnt(3)
	v_add_co_u32 v5, vcc_lo, v15, v33
	v_add_co_ci_u32_e64 v6, null, 0, v17, vcc_lo
.LBB1188_191:
	s_or_b32 exec_lo, exec_lo, s2
	s_waitcnt lgkmcnt(3)
	v_lshlrev_b64 v[5:6], 2, v[5:6]
	v_add_co_u32 v5, vcc_lo, s14, v5
	v_add_co_ci_u32_e64 v6, null, s15, v6, vcc_lo
	s_waitcnt lgkmcnt(2)
	global_store_dword v[5:6], v4, off
	s_or_b32 exec_lo, exec_lo, s1
	s_mov_b32 s1, exec_lo
	v_cmpx_gt_u32_e64 s25, v32
	s_cbranch_execnz .LBB1188_157
.LBB1188_192:
	s_or_b32 exec_lo, exec_lo, s1
	s_mov_b32 s1, exec_lo
	v_cmpx_gt_u32_e64 s25, v31
	s_cbranch_execz .LBB1188_198
.LBB1188_193:
	s_mov_b32 s2, exec_lo
                                        ; implicit-def: $vgpr3_vgpr4
	v_cmpx_ge_u32_e64 v31, v16
	s_xor_b32 s2, exec_lo, s2
	s_cbranch_execz .LBB1188_195
; %bb.194:
	s_waitcnt lgkmcnt(1)
	v_xor_b32_e32 v1, 0xfffff4ff, v0
                                        ; implicit-def: $vgpr31
	v_ashrrev_i32_e32 v4, 31, v1
	v_add_co_u32 v3, vcc_lo, v19, v1
	v_add_co_ci_u32_e64 v4, null, v20, v4, vcc_lo
.LBB1188_195:
	s_andn2_saveexec_b32 s2, s2
	s_cbranch_execz .LBB1188_197
; %bb.196:
	s_waitcnt lgkmcnt(2)
	v_add_co_u32 v3, vcc_lo, v15, v31
	v_add_co_ci_u32_e64 v4, null, 0, v17, vcc_lo
.LBB1188_197:
	s_or_b32 exec_lo, exec_lo, s2
	s_waitcnt lgkmcnt(2)
	v_lshlrev_b64 v[3:4], 2, v[3:4]
	v_add_co_u32 v3, vcc_lo, s14, v3
	v_add_co_ci_u32_e64 v4, null, s15, v4, vcc_lo
	s_waitcnt lgkmcnt(1)
	global_store_dword v[3:4], v2, off
.LBB1188_198:
	s_or_b32 exec_lo, exec_lo, s1
	s_mov_b32 s1, exec_lo
                                        ; implicit-def: $vgpr13_vgpr14
	v_cmpx_gt_u32_e64 s25, v30
	s_cbranch_execz .LBB1188_204
; %bb.199:
	s_mov_b32 s2, exec_lo
                                        ; implicit-def: $vgpr13_vgpr14
	v_cmpx_ge_u32_e64 v30, v16
	s_xor_b32 s2, exec_lo, s2
	s_cbranch_execz .LBB1188_201
; %bb.200:
	s_waitcnt lgkmcnt(1)
	v_xor_b32_e32 v1, 0xfffff3ff, v0
                                        ; implicit-def: $vgpr30
	v_ashrrev_i32_e32 v2, 31, v1
	v_add_co_u32 v13, vcc_lo, v19, v1
	v_add_co_ci_u32_e64 v14, null, v20, v2, vcc_lo
.LBB1188_201:
	s_andn2_saveexec_b32 s2, s2
; %bb.202:
	v_add_co_u32 v13, vcc_lo, v15, v30
	v_add_co_ci_u32_e64 v14, null, 0, v17, vcc_lo
; %bb.203:
	s_or_b32 exec_lo, exec_lo, s2
	s_or_b32 s0, s0, exec_lo
.LBB1188_204:
	s_or_b32 exec_lo, exec_lo, s1
.LBB1188_205:
	s_and_saveexec_b32 s1, s0
	s_cbranch_execz .LBB1188_207
; %bb.206:
	s_waitcnt lgkmcnt(1)
	v_lshlrev_b64 v[1:2], 2, v[13:14]
	v_add_co_u32 v1, vcc_lo, s14, v1
	v_add_co_ci_u32_e64 v2, null, s15, v2, vcc_lo
	s_waitcnt lgkmcnt(0)
	global_store_dword v[1:2], v18, off
.LBB1188_207:
	s_or_b32 exec_lo, exec_lo, s1
	v_cmp_eq_u32_e32 vcc_lo, 0, v0
	s_and_b32 s0, vcc_lo, s24
	s_and_saveexec_b32 s1, s0
	s_cbranch_execz .LBB1188_209
; %bb.208:
	v_add_co_u32 v0, vcc_lo, v15, v16
	s_waitcnt lgkmcnt(1)
	v_mov_b32_e32 v2, 0
	v_add_co_ci_u32_e64 v1, null, 0, v17, vcc_lo
	global_store_dwordx2 v2, v[0:1], s[12:13]
.LBB1188_209:
	s_endpgm
	.section	.rodata,"a",@progbits
	.p2align	6, 0x0
	.amdhsa_kernel _ZN7rocprim17ROCPRIM_400000_NS6detail17trampoline_kernelINS0_13select_configILj256ELj13ELNS0_17block_load_methodE3ELS4_3ELS4_3ELNS0_20block_scan_algorithmE0ELj4294967295EEENS1_25partition_config_selectorILNS1_17partition_subalgoE3EjNS0_10empty_typeEbEEZZNS1_14partition_implILS8_3ELb0ES6_jNS0_17counting_iteratorIjlEEPS9_SE_NS0_5tupleIJPjSE_EEENSF_IJSE_SE_EEES9_SG_JZNS1_25segmented_radix_sort_implINS0_14default_configELb0EPKdPdPKlPlN2at6native12_GLOBAL__N_18offset_tEEE10hipError_tPvRmT1_PNSt15iterator_traitsISY_E10value_typeET2_T3_PNSZ_IS14_E10value_typeET4_jRbjT5_S1A_jjP12ihipStream_tbEUljE_EEESV_SW_SX_S14_S18_S1A_T6_T7_T9_mT8_S1C_bDpT10_ENKUlT_T0_E_clISt17integral_constantIbLb0EES1P_EEDaS1K_S1L_EUlS1K_E_NS1_11comp_targetILNS1_3genE8ELNS1_11target_archE1030ELNS1_3gpuE2ELNS1_3repE0EEENS1_30default_config_static_selectorELNS0_4arch9wavefront6targetE0EEEvSY_
		.amdhsa_group_segment_fixed_size 13320
		.amdhsa_private_segment_fixed_size 0
		.amdhsa_kernarg_size 144
		.amdhsa_user_sgpr_count 6
		.amdhsa_user_sgpr_private_segment_buffer 1
		.amdhsa_user_sgpr_dispatch_ptr 0
		.amdhsa_user_sgpr_queue_ptr 0
		.amdhsa_user_sgpr_kernarg_segment_ptr 1
		.amdhsa_user_sgpr_dispatch_id 0
		.amdhsa_user_sgpr_flat_scratch_init 0
		.amdhsa_user_sgpr_private_segment_size 0
		.amdhsa_wavefront_size32 1
		.amdhsa_uses_dynamic_stack 0
		.amdhsa_system_sgpr_private_segment_wavefront_offset 0
		.amdhsa_system_sgpr_workgroup_id_x 1
		.amdhsa_system_sgpr_workgroup_id_y 0
		.amdhsa_system_sgpr_workgroup_id_z 0
		.amdhsa_system_sgpr_workgroup_info 0
		.amdhsa_system_vgpr_workitem_id 0
		.amdhsa_next_free_vgpr 69
		.amdhsa_next_free_sgpr 27
		.amdhsa_reserve_vcc 1
		.amdhsa_reserve_flat_scratch 0
		.amdhsa_float_round_mode_32 0
		.amdhsa_float_round_mode_16_64 0
		.amdhsa_float_denorm_mode_32 3
		.amdhsa_float_denorm_mode_16_64 3
		.amdhsa_dx10_clamp 1
		.amdhsa_ieee_mode 1
		.amdhsa_fp16_overflow 0
		.amdhsa_workgroup_processor_mode 1
		.amdhsa_memory_ordered 1
		.amdhsa_forward_progress 1
		.amdhsa_shared_vgpr_count 0
		.amdhsa_exception_fp_ieee_invalid_op 0
		.amdhsa_exception_fp_denorm_src 0
		.amdhsa_exception_fp_ieee_div_zero 0
		.amdhsa_exception_fp_ieee_overflow 0
		.amdhsa_exception_fp_ieee_underflow 0
		.amdhsa_exception_fp_ieee_inexact 0
		.amdhsa_exception_int_div_zero 0
	.end_amdhsa_kernel
	.section	.text._ZN7rocprim17ROCPRIM_400000_NS6detail17trampoline_kernelINS0_13select_configILj256ELj13ELNS0_17block_load_methodE3ELS4_3ELS4_3ELNS0_20block_scan_algorithmE0ELj4294967295EEENS1_25partition_config_selectorILNS1_17partition_subalgoE3EjNS0_10empty_typeEbEEZZNS1_14partition_implILS8_3ELb0ES6_jNS0_17counting_iteratorIjlEEPS9_SE_NS0_5tupleIJPjSE_EEENSF_IJSE_SE_EEES9_SG_JZNS1_25segmented_radix_sort_implINS0_14default_configELb0EPKdPdPKlPlN2at6native12_GLOBAL__N_18offset_tEEE10hipError_tPvRmT1_PNSt15iterator_traitsISY_E10value_typeET2_T3_PNSZ_IS14_E10value_typeET4_jRbjT5_S1A_jjP12ihipStream_tbEUljE_EEESV_SW_SX_S14_S18_S1A_T6_T7_T9_mT8_S1C_bDpT10_ENKUlT_T0_E_clISt17integral_constantIbLb0EES1P_EEDaS1K_S1L_EUlS1K_E_NS1_11comp_targetILNS1_3genE8ELNS1_11target_archE1030ELNS1_3gpuE2ELNS1_3repE0EEENS1_30default_config_static_selectorELNS0_4arch9wavefront6targetE0EEEvSY_,"axG",@progbits,_ZN7rocprim17ROCPRIM_400000_NS6detail17trampoline_kernelINS0_13select_configILj256ELj13ELNS0_17block_load_methodE3ELS4_3ELS4_3ELNS0_20block_scan_algorithmE0ELj4294967295EEENS1_25partition_config_selectorILNS1_17partition_subalgoE3EjNS0_10empty_typeEbEEZZNS1_14partition_implILS8_3ELb0ES6_jNS0_17counting_iteratorIjlEEPS9_SE_NS0_5tupleIJPjSE_EEENSF_IJSE_SE_EEES9_SG_JZNS1_25segmented_radix_sort_implINS0_14default_configELb0EPKdPdPKlPlN2at6native12_GLOBAL__N_18offset_tEEE10hipError_tPvRmT1_PNSt15iterator_traitsISY_E10value_typeET2_T3_PNSZ_IS14_E10value_typeET4_jRbjT5_S1A_jjP12ihipStream_tbEUljE_EEESV_SW_SX_S14_S18_S1A_T6_T7_T9_mT8_S1C_bDpT10_ENKUlT_T0_E_clISt17integral_constantIbLb0EES1P_EEDaS1K_S1L_EUlS1K_E_NS1_11comp_targetILNS1_3genE8ELNS1_11target_archE1030ELNS1_3gpuE2ELNS1_3repE0EEENS1_30default_config_static_selectorELNS0_4arch9wavefront6targetE0EEEvSY_,comdat
.Lfunc_end1188:
	.size	_ZN7rocprim17ROCPRIM_400000_NS6detail17trampoline_kernelINS0_13select_configILj256ELj13ELNS0_17block_load_methodE3ELS4_3ELS4_3ELNS0_20block_scan_algorithmE0ELj4294967295EEENS1_25partition_config_selectorILNS1_17partition_subalgoE3EjNS0_10empty_typeEbEEZZNS1_14partition_implILS8_3ELb0ES6_jNS0_17counting_iteratorIjlEEPS9_SE_NS0_5tupleIJPjSE_EEENSF_IJSE_SE_EEES9_SG_JZNS1_25segmented_radix_sort_implINS0_14default_configELb0EPKdPdPKlPlN2at6native12_GLOBAL__N_18offset_tEEE10hipError_tPvRmT1_PNSt15iterator_traitsISY_E10value_typeET2_T3_PNSZ_IS14_E10value_typeET4_jRbjT5_S1A_jjP12ihipStream_tbEUljE_EEESV_SW_SX_S14_S18_S1A_T6_T7_T9_mT8_S1C_bDpT10_ENKUlT_T0_E_clISt17integral_constantIbLb0EES1P_EEDaS1K_S1L_EUlS1K_E_NS1_11comp_targetILNS1_3genE8ELNS1_11target_archE1030ELNS1_3gpuE2ELNS1_3repE0EEENS1_30default_config_static_selectorELNS0_4arch9wavefront6targetE0EEEvSY_, .Lfunc_end1188-_ZN7rocprim17ROCPRIM_400000_NS6detail17trampoline_kernelINS0_13select_configILj256ELj13ELNS0_17block_load_methodE3ELS4_3ELS4_3ELNS0_20block_scan_algorithmE0ELj4294967295EEENS1_25partition_config_selectorILNS1_17partition_subalgoE3EjNS0_10empty_typeEbEEZZNS1_14partition_implILS8_3ELb0ES6_jNS0_17counting_iteratorIjlEEPS9_SE_NS0_5tupleIJPjSE_EEENSF_IJSE_SE_EEES9_SG_JZNS1_25segmented_radix_sort_implINS0_14default_configELb0EPKdPdPKlPlN2at6native12_GLOBAL__N_18offset_tEEE10hipError_tPvRmT1_PNSt15iterator_traitsISY_E10value_typeET2_T3_PNSZ_IS14_E10value_typeET4_jRbjT5_S1A_jjP12ihipStream_tbEUljE_EEESV_SW_SX_S14_S18_S1A_T6_T7_T9_mT8_S1C_bDpT10_ENKUlT_T0_E_clISt17integral_constantIbLb0EES1P_EEDaS1K_S1L_EUlS1K_E_NS1_11comp_targetILNS1_3genE8ELNS1_11target_archE1030ELNS1_3gpuE2ELNS1_3repE0EEENS1_30default_config_static_selectorELNS0_4arch9wavefront6targetE0EEEvSY_
                                        ; -- End function
	.set _ZN7rocprim17ROCPRIM_400000_NS6detail17trampoline_kernelINS0_13select_configILj256ELj13ELNS0_17block_load_methodE3ELS4_3ELS4_3ELNS0_20block_scan_algorithmE0ELj4294967295EEENS1_25partition_config_selectorILNS1_17partition_subalgoE3EjNS0_10empty_typeEbEEZZNS1_14partition_implILS8_3ELb0ES6_jNS0_17counting_iteratorIjlEEPS9_SE_NS0_5tupleIJPjSE_EEENSF_IJSE_SE_EEES9_SG_JZNS1_25segmented_radix_sort_implINS0_14default_configELb0EPKdPdPKlPlN2at6native12_GLOBAL__N_18offset_tEEE10hipError_tPvRmT1_PNSt15iterator_traitsISY_E10value_typeET2_T3_PNSZ_IS14_E10value_typeET4_jRbjT5_S1A_jjP12ihipStream_tbEUljE_EEESV_SW_SX_S14_S18_S1A_T6_T7_T9_mT8_S1C_bDpT10_ENKUlT_T0_E_clISt17integral_constantIbLb0EES1P_EEDaS1K_S1L_EUlS1K_E_NS1_11comp_targetILNS1_3genE8ELNS1_11target_archE1030ELNS1_3gpuE2ELNS1_3repE0EEENS1_30default_config_static_selectorELNS0_4arch9wavefront6targetE0EEEvSY_.num_vgpr, 69
	.set _ZN7rocprim17ROCPRIM_400000_NS6detail17trampoline_kernelINS0_13select_configILj256ELj13ELNS0_17block_load_methodE3ELS4_3ELS4_3ELNS0_20block_scan_algorithmE0ELj4294967295EEENS1_25partition_config_selectorILNS1_17partition_subalgoE3EjNS0_10empty_typeEbEEZZNS1_14partition_implILS8_3ELb0ES6_jNS0_17counting_iteratorIjlEEPS9_SE_NS0_5tupleIJPjSE_EEENSF_IJSE_SE_EEES9_SG_JZNS1_25segmented_radix_sort_implINS0_14default_configELb0EPKdPdPKlPlN2at6native12_GLOBAL__N_18offset_tEEE10hipError_tPvRmT1_PNSt15iterator_traitsISY_E10value_typeET2_T3_PNSZ_IS14_E10value_typeET4_jRbjT5_S1A_jjP12ihipStream_tbEUljE_EEESV_SW_SX_S14_S18_S1A_T6_T7_T9_mT8_S1C_bDpT10_ENKUlT_T0_E_clISt17integral_constantIbLb0EES1P_EEDaS1K_S1L_EUlS1K_E_NS1_11comp_targetILNS1_3genE8ELNS1_11target_archE1030ELNS1_3gpuE2ELNS1_3repE0EEENS1_30default_config_static_selectorELNS0_4arch9wavefront6targetE0EEEvSY_.num_agpr, 0
	.set _ZN7rocprim17ROCPRIM_400000_NS6detail17trampoline_kernelINS0_13select_configILj256ELj13ELNS0_17block_load_methodE3ELS4_3ELS4_3ELNS0_20block_scan_algorithmE0ELj4294967295EEENS1_25partition_config_selectorILNS1_17partition_subalgoE3EjNS0_10empty_typeEbEEZZNS1_14partition_implILS8_3ELb0ES6_jNS0_17counting_iteratorIjlEEPS9_SE_NS0_5tupleIJPjSE_EEENSF_IJSE_SE_EEES9_SG_JZNS1_25segmented_radix_sort_implINS0_14default_configELb0EPKdPdPKlPlN2at6native12_GLOBAL__N_18offset_tEEE10hipError_tPvRmT1_PNSt15iterator_traitsISY_E10value_typeET2_T3_PNSZ_IS14_E10value_typeET4_jRbjT5_S1A_jjP12ihipStream_tbEUljE_EEESV_SW_SX_S14_S18_S1A_T6_T7_T9_mT8_S1C_bDpT10_ENKUlT_T0_E_clISt17integral_constantIbLb0EES1P_EEDaS1K_S1L_EUlS1K_E_NS1_11comp_targetILNS1_3genE8ELNS1_11target_archE1030ELNS1_3gpuE2ELNS1_3repE0EEENS1_30default_config_static_selectorELNS0_4arch9wavefront6targetE0EEEvSY_.numbered_sgpr, 27
	.set _ZN7rocprim17ROCPRIM_400000_NS6detail17trampoline_kernelINS0_13select_configILj256ELj13ELNS0_17block_load_methodE3ELS4_3ELS4_3ELNS0_20block_scan_algorithmE0ELj4294967295EEENS1_25partition_config_selectorILNS1_17partition_subalgoE3EjNS0_10empty_typeEbEEZZNS1_14partition_implILS8_3ELb0ES6_jNS0_17counting_iteratorIjlEEPS9_SE_NS0_5tupleIJPjSE_EEENSF_IJSE_SE_EEES9_SG_JZNS1_25segmented_radix_sort_implINS0_14default_configELb0EPKdPdPKlPlN2at6native12_GLOBAL__N_18offset_tEEE10hipError_tPvRmT1_PNSt15iterator_traitsISY_E10value_typeET2_T3_PNSZ_IS14_E10value_typeET4_jRbjT5_S1A_jjP12ihipStream_tbEUljE_EEESV_SW_SX_S14_S18_S1A_T6_T7_T9_mT8_S1C_bDpT10_ENKUlT_T0_E_clISt17integral_constantIbLb0EES1P_EEDaS1K_S1L_EUlS1K_E_NS1_11comp_targetILNS1_3genE8ELNS1_11target_archE1030ELNS1_3gpuE2ELNS1_3repE0EEENS1_30default_config_static_selectorELNS0_4arch9wavefront6targetE0EEEvSY_.num_named_barrier, 0
	.set _ZN7rocprim17ROCPRIM_400000_NS6detail17trampoline_kernelINS0_13select_configILj256ELj13ELNS0_17block_load_methodE3ELS4_3ELS4_3ELNS0_20block_scan_algorithmE0ELj4294967295EEENS1_25partition_config_selectorILNS1_17partition_subalgoE3EjNS0_10empty_typeEbEEZZNS1_14partition_implILS8_3ELb0ES6_jNS0_17counting_iteratorIjlEEPS9_SE_NS0_5tupleIJPjSE_EEENSF_IJSE_SE_EEES9_SG_JZNS1_25segmented_radix_sort_implINS0_14default_configELb0EPKdPdPKlPlN2at6native12_GLOBAL__N_18offset_tEEE10hipError_tPvRmT1_PNSt15iterator_traitsISY_E10value_typeET2_T3_PNSZ_IS14_E10value_typeET4_jRbjT5_S1A_jjP12ihipStream_tbEUljE_EEESV_SW_SX_S14_S18_S1A_T6_T7_T9_mT8_S1C_bDpT10_ENKUlT_T0_E_clISt17integral_constantIbLb0EES1P_EEDaS1K_S1L_EUlS1K_E_NS1_11comp_targetILNS1_3genE8ELNS1_11target_archE1030ELNS1_3gpuE2ELNS1_3repE0EEENS1_30default_config_static_selectorELNS0_4arch9wavefront6targetE0EEEvSY_.private_seg_size, 0
	.set _ZN7rocprim17ROCPRIM_400000_NS6detail17trampoline_kernelINS0_13select_configILj256ELj13ELNS0_17block_load_methodE3ELS4_3ELS4_3ELNS0_20block_scan_algorithmE0ELj4294967295EEENS1_25partition_config_selectorILNS1_17partition_subalgoE3EjNS0_10empty_typeEbEEZZNS1_14partition_implILS8_3ELb0ES6_jNS0_17counting_iteratorIjlEEPS9_SE_NS0_5tupleIJPjSE_EEENSF_IJSE_SE_EEES9_SG_JZNS1_25segmented_radix_sort_implINS0_14default_configELb0EPKdPdPKlPlN2at6native12_GLOBAL__N_18offset_tEEE10hipError_tPvRmT1_PNSt15iterator_traitsISY_E10value_typeET2_T3_PNSZ_IS14_E10value_typeET4_jRbjT5_S1A_jjP12ihipStream_tbEUljE_EEESV_SW_SX_S14_S18_S1A_T6_T7_T9_mT8_S1C_bDpT10_ENKUlT_T0_E_clISt17integral_constantIbLb0EES1P_EEDaS1K_S1L_EUlS1K_E_NS1_11comp_targetILNS1_3genE8ELNS1_11target_archE1030ELNS1_3gpuE2ELNS1_3repE0EEENS1_30default_config_static_selectorELNS0_4arch9wavefront6targetE0EEEvSY_.uses_vcc, 1
	.set _ZN7rocprim17ROCPRIM_400000_NS6detail17trampoline_kernelINS0_13select_configILj256ELj13ELNS0_17block_load_methodE3ELS4_3ELS4_3ELNS0_20block_scan_algorithmE0ELj4294967295EEENS1_25partition_config_selectorILNS1_17partition_subalgoE3EjNS0_10empty_typeEbEEZZNS1_14partition_implILS8_3ELb0ES6_jNS0_17counting_iteratorIjlEEPS9_SE_NS0_5tupleIJPjSE_EEENSF_IJSE_SE_EEES9_SG_JZNS1_25segmented_radix_sort_implINS0_14default_configELb0EPKdPdPKlPlN2at6native12_GLOBAL__N_18offset_tEEE10hipError_tPvRmT1_PNSt15iterator_traitsISY_E10value_typeET2_T3_PNSZ_IS14_E10value_typeET4_jRbjT5_S1A_jjP12ihipStream_tbEUljE_EEESV_SW_SX_S14_S18_S1A_T6_T7_T9_mT8_S1C_bDpT10_ENKUlT_T0_E_clISt17integral_constantIbLb0EES1P_EEDaS1K_S1L_EUlS1K_E_NS1_11comp_targetILNS1_3genE8ELNS1_11target_archE1030ELNS1_3gpuE2ELNS1_3repE0EEENS1_30default_config_static_selectorELNS0_4arch9wavefront6targetE0EEEvSY_.uses_flat_scratch, 0
	.set _ZN7rocprim17ROCPRIM_400000_NS6detail17trampoline_kernelINS0_13select_configILj256ELj13ELNS0_17block_load_methodE3ELS4_3ELS4_3ELNS0_20block_scan_algorithmE0ELj4294967295EEENS1_25partition_config_selectorILNS1_17partition_subalgoE3EjNS0_10empty_typeEbEEZZNS1_14partition_implILS8_3ELb0ES6_jNS0_17counting_iteratorIjlEEPS9_SE_NS0_5tupleIJPjSE_EEENSF_IJSE_SE_EEES9_SG_JZNS1_25segmented_radix_sort_implINS0_14default_configELb0EPKdPdPKlPlN2at6native12_GLOBAL__N_18offset_tEEE10hipError_tPvRmT1_PNSt15iterator_traitsISY_E10value_typeET2_T3_PNSZ_IS14_E10value_typeET4_jRbjT5_S1A_jjP12ihipStream_tbEUljE_EEESV_SW_SX_S14_S18_S1A_T6_T7_T9_mT8_S1C_bDpT10_ENKUlT_T0_E_clISt17integral_constantIbLb0EES1P_EEDaS1K_S1L_EUlS1K_E_NS1_11comp_targetILNS1_3genE8ELNS1_11target_archE1030ELNS1_3gpuE2ELNS1_3repE0EEENS1_30default_config_static_selectorELNS0_4arch9wavefront6targetE0EEEvSY_.has_dyn_sized_stack, 0
	.set _ZN7rocprim17ROCPRIM_400000_NS6detail17trampoline_kernelINS0_13select_configILj256ELj13ELNS0_17block_load_methodE3ELS4_3ELS4_3ELNS0_20block_scan_algorithmE0ELj4294967295EEENS1_25partition_config_selectorILNS1_17partition_subalgoE3EjNS0_10empty_typeEbEEZZNS1_14partition_implILS8_3ELb0ES6_jNS0_17counting_iteratorIjlEEPS9_SE_NS0_5tupleIJPjSE_EEENSF_IJSE_SE_EEES9_SG_JZNS1_25segmented_radix_sort_implINS0_14default_configELb0EPKdPdPKlPlN2at6native12_GLOBAL__N_18offset_tEEE10hipError_tPvRmT1_PNSt15iterator_traitsISY_E10value_typeET2_T3_PNSZ_IS14_E10value_typeET4_jRbjT5_S1A_jjP12ihipStream_tbEUljE_EEESV_SW_SX_S14_S18_S1A_T6_T7_T9_mT8_S1C_bDpT10_ENKUlT_T0_E_clISt17integral_constantIbLb0EES1P_EEDaS1K_S1L_EUlS1K_E_NS1_11comp_targetILNS1_3genE8ELNS1_11target_archE1030ELNS1_3gpuE2ELNS1_3repE0EEENS1_30default_config_static_selectorELNS0_4arch9wavefront6targetE0EEEvSY_.has_recursion, 0
	.set _ZN7rocprim17ROCPRIM_400000_NS6detail17trampoline_kernelINS0_13select_configILj256ELj13ELNS0_17block_load_methodE3ELS4_3ELS4_3ELNS0_20block_scan_algorithmE0ELj4294967295EEENS1_25partition_config_selectorILNS1_17partition_subalgoE3EjNS0_10empty_typeEbEEZZNS1_14partition_implILS8_3ELb0ES6_jNS0_17counting_iteratorIjlEEPS9_SE_NS0_5tupleIJPjSE_EEENSF_IJSE_SE_EEES9_SG_JZNS1_25segmented_radix_sort_implINS0_14default_configELb0EPKdPdPKlPlN2at6native12_GLOBAL__N_18offset_tEEE10hipError_tPvRmT1_PNSt15iterator_traitsISY_E10value_typeET2_T3_PNSZ_IS14_E10value_typeET4_jRbjT5_S1A_jjP12ihipStream_tbEUljE_EEESV_SW_SX_S14_S18_S1A_T6_T7_T9_mT8_S1C_bDpT10_ENKUlT_T0_E_clISt17integral_constantIbLb0EES1P_EEDaS1K_S1L_EUlS1K_E_NS1_11comp_targetILNS1_3genE8ELNS1_11target_archE1030ELNS1_3gpuE2ELNS1_3repE0EEENS1_30default_config_static_selectorELNS0_4arch9wavefront6targetE0EEEvSY_.has_indirect_call, 0
	.section	.AMDGPU.csdata,"",@progbits
; Kernel info:
; codeLenInByte = 8564
; TotalNumSgprs: 29
; NumVgprs: 69
; ScratchSize: 0
; MemoryBound: 0
; FloatMode: 240
; IeeeMode: 1
; LDSByteSize: 13320 bytes/workgroup (compile time only)
; SGPRBlocks: 0
; VGPRBlocks: 8
; NumSGPRsForWavesPerEU: 29
; NumVGPRsForWavesPerEU: 69
; Occupancy: 12
; WaveLimiterHint : 0
; COMPUTE_PGM_RSRC2:SCRATCH_EN: 0
; COMPUTE_PGM_RSRC2:USER_SGPR: 6
; COMPUTE_PGM_RSRC2:TRAP_HANDLER: 0
; COMPUTE_PGM_RSRC2:TGID_X_EN: 1
; COMPUTE_PGM_RSRC2:TGID_Y_EN: 0
; COMPUTE_PGM_RSRC2:TGID_Z_EN: 0
; COMPUTE_PGM_RSRC2:TIDIG_COMP_CNT: 0
	.section	.text._ZN7rocprim17ROCPRIM_400000_NS6detail17trampoline_kernelINS0_13select_configILj256ELj13ELNS0_17block_load_methodE3ELS4_3ELS4_3ELNS0_20block_scan_algorithmE0ELj4294967295EEENS1_25partition_config_selectorILNS1_17partition_subalgoE3EjNS0_10empty_typeEbEEZZNS1_14partition_implILS8_3ELb0ES6_jNS0_17counting_iteratorIjlEEPS9_SE_NS0_5tupleIJPjSE_EEENSF_IJSE_SE_EEES9_SG_JZNS1_25segmented_radix_sort_implINS0_14default_configELb0EPKdPdPKlPlN2at6native12_GLOBAL__N_18offset_tEEE10hipError_tPvRmT1_PNSt15iterator_traitsISY_E10value_typeET2_T3_PNSZ_IS14_E10value_typeET4_jRbjT5_S1A_jjP12ihipStream_tbEUljE_EEESV_SW_SX_S14_S18_S1A_T6_T7_T9_mT8_S1C_bDpT10_ENKUlT_T0_E_clISt17integral_constantIbLb1EES1P_EEDaS1K_S1L_EUlS1K_E_NS1_11comp_targetILNS1_3genE0ELNS1_11target_archE4294967295ELNS1_3gpuE0ELNS1_3repE0EEENS1_30default_config_static_selectorELNS0_4arch9wavefront6targetE0EEEvSY_,"axG",@progbits,_ZN7rocprim17ROCPRIM_400000_NS6detail17trampoline_kernelINS0_13select_configILj256ELj13ELNS0_17block_load_methodE3ELS4_3ELS4_3ELNS0_20block_scan_algorithmE0ELj4294967295EEENS1_25partition_config_selectorILNS1_17partition_subalgoE3EjNS0_10empty_typeEbEEZZNS1_14partition_implILS8_3ELb0ES6_jNS0_17counting_iteratorIjlEEPS9_SE_NS0_5tupleIJPjSE_EEENSF_IJSE_SE_EEES9_SG_JZNS1_25segmented_radix_sort_implINS0_14default_configELb0EPKdPdPKlPlN2at6native12_GLOBAL__N_18offset_tEEE10hipError_tPvRmT1_PNSt15iterator_traitsISY_E10value_typeET2_T3_PNSZ_IS14_E10value_typeET4_jRbjT5_S1A_jjP12ihipStream_tbEUljE_EEESV_SW_SX_S14_S18_S1A_T6_T7_T9_mT8_S1C_bDpT10_ENKUlT_T0_E_clISt17integral_constantIbLb1EES1P_EEDaS1K_S1L_EUlS1K_E_NS1_11comp_targetILNS1_3genE0ELNS1_11target_archE4294967295ELNS1_3gpuE0ELNS1_3repE0EEENS1_30default_config_static_selectorELNS0_4arch9wavefront6targetE0EEEvSY_,comdat
	.globl	_ZN7rocprim17ROCPRIM_400000_NS6detail17trampoline_kernelINS0_13select_configILj256ELj13ELNS0_17block_load_methodE3ELS4_3ELS4_3ELNS0_20block_scan_algorithmE0ELj4294967295EEENS1_25partition_config_selectorILNS1_17partition_subalgoE3EjNS0_10empty_typeEbEEZZNS1_14partition_implILS8_3ELb0ES6_jNS0_17counting_iteratorIjlEEPS9_SE_NS0_5tupleIJPjSE_EEENSF_IJSE_SE_EEES9_SG_JZNS1_25segmented_radix_sort_implINS0_14default_configELb0EPKdPdPKlPlN2at6native12_GLOBAL__N_18offset_tEEE10hipError_tPvRmT1_PNSt15iterator_traitsISY_E10value_typeET2_T3_PNSZ_IS14_E10value_typeET4_jRbjT5_S1A_jjP12ihipStream_tbEUljE_EEESV_SW_SX_S14_S18_S1A_T6_T7_T9_mT8_S1C_bDpT10_ENKUlT_T0_E_clISt17integral_constantIbLb1EES1P_EEDaS1K_S1L_EUlS1K_E_NS1_11comp_targetILNS1_3genE0ELNS1_11target_archE4294967295ELNS1_3gpuE0ELNS1_3repE0EEENS1_30default_config_static_selectorELNS0_4arch9wavefront6targetE0EEEvSY_ ; -- Begin function _ZN7rocprim17ROCPRIM_400000_NS6detail17trampoline_kernelINS0_13select_configILj256ELj13ELNS0_17block_load_methodE3ELS4_3ELS4_3ELNS0_20block_scan_algorithmE0ELj4294967295EEENS1_25partition_config_selectorILNS1_17partition_subalgoE3EjNS0_10empty_typeEbEEZZNS1_14partition_implILS8_3ELb0ES6_jNS0_17counting_iteratorIjlEEPS9_SE_NS0_5tupleIJPjSE_EEENSF_IJSE_SE_EEES9_SG_JZNS1_25segmented_radix_sort_implINS0_14default_configELb0EPKdPdPKlPlN2at6native12_GLOBAL__N_18offset_tEEE10hipError_tPvRmT1_PNSt15iterator_traitsISY_E10value_typeET2_T3_PNSZ_IS14_E10value_typeET4_jRbjT5_S1A_jjP12ihipStream_tbEUljE_EEESV_SW_SX_S14_S18_S1A_T6_T7_T9_mT8_S1C_bDpT10_ENKUlT_T0_E_clISt17integral_constantIbLb1EES1P_EEDaS1K_S1L_EUlS1K_E_NS1_11comp_targetILNS1_3genE0ELNS1_11target_archE4294967295ELNS1_3gpuE0ELNS1_3repE0EEENS1_30default_config_static_selectorELNS0_4arch9wavefront6targetE0EEEvSY_
	.p2align	8
	.type	_ZN7rocprim17ROCPRIM_400000_NS6detail17trampoline_kernelINS0_13select_configILj256ELj13ELNS0_17block_load_methodE3ELS4_3ELS4_3ELNS0_20block_scan_algorithmE0ELj4294967295EEENS1_25partition_config_selectorILNS1_17partition_subalgoE3EjNS0_10empty_typeEbEEZZNS1_14partition_implILS8_3ELb0ES6_jNS0_17counting_iteratorIjlEEPS9_SE_NS0_5tupleIJPjSE_EEENSF_IJSE_SE_EEES9_SG_JZNS1_25segmented_radix_sort_implINS0_14default_configELb0EPKdPdPKlPlN2at6native12_GLOBAL__N_18offset_tEEE10hipError_tPvRmT1_PNSt15iterator_traitsISY_E10value_typeET2_T3_PNSZ_IS14_E10value_typeET4_jRbjT5_S1A_jjP12ihipStream_tbEUljE_EEESV_SW_SX_S14_S18_S1A_T6_T7_T9_mT8_S1C_bDpT10_ENKUlT_T0_E_clISt17integral_constantIbLb1EES1P_EEDaS1K_S1L_EUlS1K_E_NS1_11comp_targetILNS1_3genE0ELNS1_11target_archE4294967295ELNS1_3gpuE0ELNS1_3repE0EEENS1_30default_config_static_selectorELNS0_4arch9wavefront6targetE0EEEvSY_,@function
_ZN7rocprim17ROCPRIM_400000_NS6detail17trampoline_kernelINS0_13select_configILj256ELj13ELNS0_17block_load_methodE3ELS4_3ELS4_3ELNS0_20block_scan_algorithmE0ELj4294967295EEENS1_25partition_config_selectorILNS1_17partition_subalgoE3EjNS0_10empty_typeEbEEZZNS1_14partition_implILS8_3ELb0ES6_jNS0_17counting_iteratorIjlEEPS9_SE_NS0_5tupleIJPjSE_EEENSF_IJSE_SE_EEES9_SG_JZNS1_25segmented_radix_sort_implINS0_14default_configELb0EPKdPdPKlPlN2at6native12_GLOBAL__N_18offset_tEEE10hipError_tPvRmT1_PNSt15iterator_traitsISY_E10value_typeET2_T3_PNSZ_IS14_E10value_typeET4_jRbjT5_S1A_jjP12ihipStream_tbEUljE_EEESV_SW_SX_S14_S18_S1A_T6_T7_T9_mT8_S1C_bDpT10_ENKUlT_T0_E_clISt17integral_constantIbLb1EES1P_EEDaS1K_S1L_EUlS1K_E_NS1_11comp_targetILNS1_3genE0ELNS1_11target_archE4294967295ELNS1_3gpuE0ELNS1_3repE0EEENS1_30default_config_static_selectorELNS0_4arch9wavefront6targetE0EEEvSY_: ; @_ZN7rocprim17ROCPRIM_400000_NS6detail17trampoline_kernelINS0_13select_configILj256ELj13ELNS0_17block_load_methodE3ELS4_3ELS4_3ELNS0_20block_scan_algorithmE0ELj4294967295EEENS1_25partition_config_selectorILNS1_17partition_subalgoE3EjNS0_10empty_typeEbEEZZNS1_14partition_implILS8_3ELb0ES6_jNS0_17counting_iteratorIjlEEPS9_SE_NS0_5tupleIJPjSE_EEENSF_IJSE_SE_EEES9_SG_JZNS1_25segmented_radix_sort_implINS0_14default_configELb0EPKdPdPKlPlN2at6native12_GLOBAL__N_18offset_tEEE10hipError_tPvRmT1_PNSt15iterator_traitsISY_E10value_typeET2_T3_PNSZ_IS14_E10value_typeET4_jRbjT5_S1A_jjP12ihipStream_tbEUljE_EEESV_SW_SX_S14_S18_S1A_T6_T7_T9_mT8_S1C_bDpT10_ENKUlT_T0_E_clISt17integral_constantIbLb1EES1P_EEDaS1K_S1L_EUlS1K_E_NS1_11comp_targetILNS1_3genE0ELNS1_11target_archE4294967295ELNS1_3gpuE0ELNS1_3repE0EEENS1_30default_config_static_selectorELNS0_4arch9wavefront6targetE0EEEvSY_
; %bb.0:
	.section	.rodata,"a",@progbits
	.p2align	6, 0x0
	.amdhsa_kernel _ZN7rocprim17ROCPRIM_400000_NS6detail17trampoline_kernelINS0_13select_configILj256ELj13ELNS0_17block_load_methodE3ELS4_3ELS4_3ELNS0_20block_scan_algorithmE0ELj4294967295EEENS1_25partition_config_selectorILNS1_17partition_subalgoE3EjNS0_10empty_typeEbEEZZNS1_14partition_implILS8_3ELb0ES6_jNS0_17counting_iteratorIjlEEPS9_SE_NS0_5tupleIJPjSE_EEENSF_IJSE_SE_EEES9_SG_JZNS1_25segmented_radix_sort_implINS0_14default_configELb0EPKdPdPKlPlN2at6native12_GLOBAL__N_18offset_tEEE10hipError_tPvRmT1_PNSt15iterator_traitsISY_E10value_typeET2_T3_PNSZ_IS14_E10value_typeET4_jRbjT5_S1A_jjP12ihipStream_tbEUljE_EEESV_SW_SX_S14_S18_S1A_T6_T7_T9_mT8_S1C_bDpT10_ENKUlT_T0_E_clISt17integral_constantIbLb1EES1P_EEDaS1K_S1L_EUlS1K_E_NS1_11comp_targetILNS1_3genE0ELNS1_11target_archE4294967295ELNS1_3gpuE0ELNS1_3repE0EEENS1_30default_config_static_selectorELNS0_4arch9wavefront6targetE0EEEvSY_
		.amdhsa_group_segment_fixed_size 0
		.amdhsa_private_segment_fixed_size 0
		.amdhsa_kernarg_size 152
		.amdhsa_user_sgpr_count 6
		.amdhsa_user_sgpr_private_segment_buffer 1
		.amdhsa_user_sgpr_dispatch_ptr 0
		.amdhsa_user_sgpr_queue_ptr 0
		.amdhsa_user_sgpr_kernarg_segment_ptr 1
		.amdhsa_user_sgpr_dispatch_id 0
		.amdhsa_user_sgpr_flat_scratch_init 0
		.amdhsa_user_sgpr_private_segment_size 0
		.amdhsa_wavefront_size32 1
		.amdhsa_uses_dynamic_stack 0
		.amdhsa_system_sgpr_private_segment_wavefront_offset 0
		.amdhsa_system_sgpr_workgroup_id_x 1
		.amdhsa_system_sgpr_workgroup_id_y 0
		.amdhsa_system_sgpr_workgroup_id_z 0
		.amdhsa_system_sgpr_workgroup_info 0
		.amdhsa_system_vgpr_workitem_id 0
		.amdhsa_next_free_vgpr 1
		.amdhsa_next_free_sgpr 1
		.amdhsa_reserve_vcc 0
		.amdhsa_reserve_flat_scratch 0
		.amdhsa_float_round_mode_32 0
		.amdhsa_float_round_mode_16_64 0
		.amdhsa_float_denorm_mode_32 3
		.amdhsa_float_denorm_mode_16_64 3
		.amdhsa_dx10_clamp 1
		.amdhsa_ieee_mode 1
		.amdhsa_fp16_overflow 0
		.amdhsa_workgroup_processor_mode 1
		.amdhsa_memory_ordered 1
		.amdhsa_forward_progress 1
		.amdhsa_shared_vgpr_count 0
		.amdhsa_exception_fp_ieee_invalid_op 0
		.amdhsa_exception_fp_denorm_src 0
		.amdhsa_exception_fp_ieee_div_zero 0
		.amdhsa_exception_fp_ieee_overflow 0
		.amdhsa_exception_fp_ieee_underflow 0
		.amdhsa_exception_fp_ieee_inexact 0
		.amdhsa_exception_int_div_zero 0
	.end_amdhsa_kernel
	.section	.text._ZN7rocprim17ROCPRIM_400000_NS6detail17trampoline_kernelINS0_13select_configILj256ELj13ELNS0_17block_load_methodE3ELS4_3ELS4_3ELNS0_20block_scan_algorithmE0ELj4294967295EEENS1_25partition_config_selectorILNS1_17partition_subalgoE3EjNS0_10empty_typeEbEEZZNS1_14partition_implILS8_3ELb0ES6_jNS0_17counting_iteratorIjlEEPS9_SE_NS0_5tupleIJPjSE_EEENSF_IJSE_SE_EEES9_SG_JZNS1_25segmented_radix_sort_implINS0_14default_configELb0EPKdPdPKlPlN2at6native12_GLOBAL__N_18offset_tEEE10hipError_tPvRmT1_PNSt15iterator_traitsISY_E10value_typeET2_T3_PNSZ_IS14_E10value_typeET4_jRbjT5_S1A_jjP12ihipStream_tbEUljE_EEESV_SW_SX_S14_S18_S1A_T6_T7_T9_mT8_S1C_bDpT10_ENKUlT_T0_E_clISt17integral_constantIbLb1EES1P_EEDaS1K_S1L_EUlS1K_E_NS1_11comp_targetILNS1_3genE0ELNS1_11target_archE4294967295ELNS1_3gpuE0ELNS1_3repE0EEENS1_30default_config_static_selectorELNS0_4arch9wavefront6targetE0EEEvSY_,"axG",@progbits,_ZN7rocprim17ROCPRIM_400000_NS6detail17trampoline_kernelINS0_13select_configILj256ELj13ELNS0_17block_load_methodE3ELS4_3ELS4_3ELNS0_20block_scan_algorithmE0ELj4294967295EEENS1_25partition_config_selectorILNS1_17partition_subalgoE3EjNS0_10empty_typeEbEEZZNS1_14partition_implILS8_3ELb0ES6_jNS0_17counting_iteratorIjlEEPS9_SE_NS0_5tupleIJPjSE_EEENSF_IJSE_SE_EEES9_SG_JZNS1_25segmented_radix_sort_implINS0_14default_configELb0EPKdPdPKlPlN2at6native12_GLOBAL__N_18offset_tEEE10hipError_tPvRmT1_PNSt15iterator_traitsISY_E10value_typeET2_T3_PNSZ_IS14_E10value_typeET4_jRbjT5_S1A_jjP12ihipStream_tbEUljE_EEESV_SW_SX_S14_S18_S1A_T6_T7_T9_mT8_S1C_bDpT10_ENKUlT_T0_E_clISt17integral_constantIbLb1EES1P_EEDaS1K_S1L_EUlS1K_E_NS1_11comp_targetILNS1_3genE0ELNS1_11target_archE4294967295ELNS1_3gpuE0ELNS1_3repE0EEENS1_30default_config_static_selectorELNS0_4arch9wavefront6targetE0EEEvSY_,comdat
.Lfunc_end1189:
	.size	_ZN7rocprim17ROCPRIM_400000_NS6detail17trampoline_kernelINS0_13select_configILj256ELj13ELNS0_17block_load_methodE3ELS4_3ELS4_3ELNS0_20block_scan_algorithmE0ELj4294967295EEENS1_25partition_config_selectorILNS1_17partition_subalgoE3EjNS0_10empty_typeEbEEZZNS1_14partition_implILS8_3ELb0ES6_jNS0_17counting_iteratorIjlEEPS9_SE_NS0_5tupleIJPjSE_EEENSF_IJSE_SE_EEES9_SG_JZNS1_25segmented_radix_sort_implINS0_14default_configELb0EPKdPdPKlPlN2at6native12_GLOBAL__N_18offset_tEEE10hipError_tPvRmT1_PNSt15iterator_traitsISY_E10value_typeET2_T3_PNSZ_IS14_E10value_typeET4_jRbjT5_S1A_jjP12ihipStream_tbEUljE_EEESV_SW_SX_S14_S18_S1A_T6_T7_T9_mT8_S1C_bDpT10_ENKUlT_T0_E_clISt17integral_constantIbLb1EES1P_EEDaS1K_S1L_EUlS1K_E_NS1_11comp_targetILNS1_3genE0ELNS1_11target_archE4294967295ELNS1_3gpuE0ELNS1_3repE0EEENS1_30default_config_static_selectorELNS0_4arch9wavefront6targetE0EEEvSY_, .Lfunc_end1189-_ZN7rocprim17ROCPRIM_400000_NS6detail17trampoline_kernelINS0_13select_configILj256ELj13ELNS0_17block_load_methodE3ELS4_3ELS4_3ELNS0_20block_scan_algorithmE0ELj4294967295EEENS1_25partition_config_selectorILNS1_17partition_subalgoE3EjNS0_10empty_typeEbEEZZNS1_14partition_implILS8_3ELb0ES6_jNS0_17counting_iteratorIjlEEPS9_SE_NS0_5tupleIJPjSE_EEENSF_IJSE_SE_EEES9_SG_JZNS1_25segmented_radix_sort_implINS0_14default_configELb0EPKdPdPKlPlN2at6native12_GLOBAL__N_18offset_tEEE10hipError_tPvRmT1_PNSt15iterator_traitsISY_E10value_typeET2_T3_PNSZ_IS14_E10value_typeET4_jRbjT5_S1A_jjP12ihipStream_tbEUljE_EEESV_SW_SX_S14_S18_S1A_T6_T7_T9_mT8_S1C_bDpT10_ENKUlT_T0_E_clISt17integral_constantIbLb1EES1P_EEDaS1K_S1L_EUlS1K_E_NS1_11comp_targetILNS1_3genE0ELNS1_11target_archE4294967295ELNS1_3gpuE0ELNS1_3repE0EEENS1_30default_config_static_selectorELNS0_4arch9wavefront6targetE0EEEvSY_
                                        ; -- End function
	.set _ZN7rocprim17ROCPRIM_400000_NS6detail17trampoline_kernelINS0_13select_configILj256ELj13ELNS0_17block_load_methodE3ELS4_3ELS4_3ELNS0_20block_scan_algorithmE0ELj4294967295EEENS1_25partition_config_selectorILNS1_17partition_subalgoE3EjNS0_10empty_typeEbEEZZNS1_14partition_implILS8_3ELb0ES6_jNS0_17counting_iteratorIjlEEPS9_SE_NS0_5tupleIJPjSE_EEENSF_IJSE_SE_EEES9_SG_JZNS1_25segmented_radix_sort_implINS0_14default_configELb0EPKdPdPKlPlN2at6native12_GLOBAL__N_18offset_tEEE10hipError_tPvRmT1_PNSt15iterator_traitsISY_E10value_typeET2_T3_PNSZ_IS14_E10value_typeET4_jRbjT5_S1A_jjP12ihipStream_tbEUljE_EEESV_SW_SX_S14_S18_S1A_T6_T7_T9_mT8_S1C_bDpT10_ENKUlT_T0_E_clISt17integral_constantIbLb1EES1P_EEDaS1K_S1L_EUlS1K_E_NS1_11comp_targetILNS1_3genE0ELNS1_11target_archE4294967295ELNS1_3gpuE0ELNS1_3repE0EEENS1_30default_config_static_selectorELNS0_4arch9wavefront6targetE0EEEvSY_.num_vgpr, 0
	.set _ZN7rocprim17ROCPRIM_400000_NS6detail17trampoline_kernelINS0_13select_configILj256ELj13ELNS0_17block_load_methodE3ELS4_3ELS4_3ELNS0_20block_scan_algorithmE0ELj4294967295EEENS1_25partition_config_selectorILNS1_17partition_subalgoE3EjNS0_10empty_typeEbEEZZNS1_14partition_implILS8_3ELb0ES6_jNS0_17counting_iteratorIjlEEPS9_SE_NS0_5tupleIJPjSE_EEENSF_IJSE_SE_EEES9_SG_JZNS1_25segmented_radix_sort_implINS0_14default_configELb0EPKdPdPKlPlN2at6native12_GLOBAL__N_18offset_tEEE10hipError_tPvRmT1_PNSt15iterator_traitsISY_E10value_typeET2_T3_PNSZ_IS14_E10value_typeET4_jRbjT5_S1A_jjP12ihipStream_tbEUljE_EEESV_SW_SX_S14_S18_S1A_T6_T7_T9_mT8_S1C_bDpT10_ENKUlT_T0_E_clISt17integral_constantIbLb1EES1P_EEDaS1K_S1L_EUlS1K_E_NS1_11comp_targetILNS1_3genE0ELNS1_11target_archE4294967295ELNS1_3gpuE0ELNS1_3repE0EEENS1_30default_config_static_selectorELNS0_4arch9wavefront6targetE0EEEvSY_.num_agpr, 0
	.set _ZN7rocprim17ROCPRIM_400000_NS6detail17trampoline_kernelINS0_13select_configILj256ELj13ELNS0_17block_load_methodE3ELS4_3ELS4_3ELNS0_20block_scan_algorithmE0ELj4294967295EEENS1_25partition_config_selectorILNS1_17partition_subalgoE3EjNS0_10empty_typeEbEEZZNS1_14partition_implILS8_3ELb0ES6_jNS0_17counting_iteratorIjlEEPS9_SE_NS0_5tupleIJPjSE_EEENSF_IJSE_SE_EEES9_SG_JZNS1_25segmented_radix_sort_implINS0_14default_configELb0EPKdPdPKlPlN2at6native12_GLOBAL__N_18offset_tEEE10hipError_tPvRmT1_PNSt15iterator_traitsISY_E10value_typeET2_T3_PNSZ_IS14_E10value_typeET4_jRbjT5_S1A_jjP12ihipStream_tbEUljE_EEESV_SW_SX_S14_S18_S1A_T6_T7_T9_mT8_S1C_bDpT10_ENKUlT_T0_E_clISt17integral_constantIbLb1EES1P_EEDaS1K_S1L_EUlS1K_E_NS1_11comp_targetILNS1_3genE0ELNS1_11target_archE4294967295ELNS1_3gpuE0ELNS1_3repE0EEENS1_30default_config_static_selectorELNS0_4arch9wavefront6targetE0EEEvSY_.numbered_sgpr, 0
	.set _ZN7rocprim17ROCPRIM_400000_NS6detail17trampoline_kernelINS0_13select_configILj256ELj13ELNS0_17block_load_methodE3ELS4_3ELS4_3ELNS0_20block_scan_algorithmE0ELj4294967295EEENS1_25partition_config_selectorILNS1_17partition_subalgoE3EjNS0_10empty_typeEbEEZZNS1_14partition_implILS8_3ELb0ES6_jNS0_17counting_iteratorIjlEEPS9_SE_NS0_5tupleIJPjSE_EEENSF_IJSE_SE_EEES9_SG_JZNS1_25segmented_radix_sort_implINS0_14default_configELb0EPKdPdPKlPlN2at6native12_GLOBAL__N_18offset_tEEE10hipError_tPvRmT1_PNSt15iterator_traitsISY_E10value_typeET2_T3_PNSZ_IS14_E10value_typeET4_jRbjT5_S1A_jjP12ihipStream_tbEUljE_EEESV_SW_SX_S14_S18_S1A_T6_T7_T9_mT8_S1C_bDpT10_ENKUlT_T0_E_clISt17integral_constantIbLb1EES1P_EEDaS1K_S1L_EUlS1K_E_NS1_11comp_targetILNS1_3genE0ELNS1_11target_archE4294967295ELNS1_3gpuE0ELNS1_3repE0EEENS1_30default_config_static_selectorELNS0_4arch9wavefront6targetE0EEEvSY_.num_named_barrier, 0
	.set _ZN7rocprim17ROCPRIM_400000_NS6detail17trampoline_kernelINS0_13select_configILj256ELj13ELNS0_17block_load_methodE3ELS4_3ELS4_3ELNS0_20block_scan_algorithmE0ELj4294967295EEENS1_25partition_config_selectorILNS1_17partition_subalgoE3EjNS0_10empty_typeEbEEZZNS1_14partition_implILS8_3ELb0ES6_jNS0_17counting_iteratorIjlEEPS9_SE_NS0_5tupleIJPjSE_EEENSF_IJSE_SE_EEES9_SG_JZNS1_25segmented_radix_sort_implINS0_14default_configELb0EPKdPdPKlPlN2at6native12_GLOBAL__N_18offset_tEEE10hipError_tPvRmT1_PNSt15iterator_traitsISY_E10value_typeET2_T3_PNSZ_IS14_E10value_typeET4_jRbjT5_S1A_jjP12ihipStream_tbEUljE_EEESV_SW_SX_S14_S18_S1A_T6_T7_T9_mT8_S1C_bDpT10_ENKUlT_T0_E_clISt17integral_constantIbLb1EES1P_EEDaS1K_S1L_EUlS1K_E_NS1_11comp_targetILNS1_3genE0ELNS1_11target_archE4294967295ELNS1_3gpuE0ELNS1_3repE0EEENS1_30default_config_static_selectorELNS0_4arch9wavefront6targetE0EEEvSY_.private_seg_size, 0
	.set _ZN7rocprim17ROCPRIM_400000_NS6detail17trampoline_kernelINS0_13select_configILj256ELj13ELNS0_17block_load_methodE3ELS4_3ELS4_3ELNS0_20block_scan_algorithmE0ELj4294967295EEENS1_25partition_config_selectorILNS1_17partition_subalgoE3EjNS0_10empty_typeEbEEZZNS1_14partition_implILS8_3ELb0ES6_jNS0_17counting_iteratorIjlEEPS9_SE_NS0_5tupleIJPjSE_EEENSF_IJSE_SE_EEES9_SG_JZNS1_25segmented_radix_sort_implINS0_14default_configELb0EPKdPdPKlPlN2at6native12_GLOBAL__N_18offset_tEEE10hipError_tPvRmT1_PNSt15iterator_traitsISY_E10value_typeET2_T3_PNSZ_IS14_E10value_typeET4_jRbjT5_S1A_jjP12ihipStream_tbEUljE_EEESV_SW_SX_S14_S18_S1A_T6_T7_T9_mT8_S1C_bDpT10_ENKUlT_T0_E_clISt17integral_constantIbLb1EES1P_EEDaS1K_S1L_EUlS1K_E_NS1_11comp_targetILNS1_3genE0ELNS1_11target_archE4294967295ELNS1_3gpuE0ELNS1_3repE0EEENS1_30default_config_static_selectorELNS0_4arch9wavefront6targetE0EEEvSY_.uses_vcc, 0
	.set _ZN7rocprim17ROCPRIM_400000_NS6detail17trampoline_kernelINS0_13select_configILj256ELj13ELNS0_17block_load_methodE3ELS4_3ELS4_3ELNS0_20block_scan_algorithmE0ELj4294967295EEENS1_25partition_config_selectorILNS1_17partition_subalgoE3EjNS0_10empty_typeEbEEZZNS1_14partition_implILS8_3ELb0ES6_jNS0_17counting_iteratorIjlEEPS9_SE_NS0_5tupleIJPjSE_EEENSF_IJSE_SE_EEES9_SG_JZNS1_25segmented_radix_sort_implINS0_14default_configELb0EPKdPdPKlPlN2at6native12_GLOBAL__N_18offset_tEEE10hipError_tPvRmT1_PNSt15iterator_traitsISY_E10value_typeET2_T3_PNSZ_IS14_E10value_typeET4_jRbjT5_S1A_jjP12ihipStream_tbEUljE_EEESV_SW_SX_S14_S18_S1A_T6_T7_T9_mT8_S1C_bDpT10_ENKUlT_T0_E_clISt17integral_constantIbLb1EES1P_EEDaS1K_S1L_EUlS1K_E_NS1_11comp_targetILNS1_3genE0ELNS1_11target_archE4294967295ELNS1_3gpuE0ELNS1_3repE0EEENS1_30default_config_static_selectorELNS0_4arch9wavefront6targetE0EEEvSY_.uses_flat_scratch, 0
	.set _ZN7rocprim17ROCPRIM_400000_NS6detail17trampoline_kernelINS0_13select_configILj256ELj13ELNS0_17block_load_methodE3ELS4_3ELS4_3ELNS0_20block_scan_algorithmE0ELj4294967295EEENS1_25partition_config_selectorILNS1_17partition_subalgoE3EjNS0_10empty_typeEbEEZZNS1_14partition_implILS8_3ELb0ES6_jNS0_17counting_iteratorIjlEEPS9_SE_NS0_5tupleIJPjSE_EEENSF_IJSE_SE_EEES9_SG_JZNS1_25segmented_radix_sort_implINS0_14default_configELb0EPKdPdPKlPlN2at6native12_GLOBAL__N_18offset_tEEE10hipError_tPvRmT1_PNSt15iterator_traitsISY_E10value_typeET2_T3_PNSZ_IS14_E10value_typeET4_jRbjT5_S1A_jjP12ihipStream_tbEUljE_EEESV_SW_SX_S14_S18_S1A_T6_T7_T9_mT8_S1C_bDpT10_ENKUlT_T0_E_clISt17integral_constantIbLb1EES1P_EEDaS1K_S1L_EUlS1K_E_NS1_11comp_targetILNS1_3genE0ELNS1_11target_archE4294967295ELNS1_3gpuE0ELNS1_3repE0EEENS1_30default_config_static_selectorELNS0_4arch9wavefront6targetE0EEEvSY_.has_dyn_sized_stack, 0
	.set _ZN7rocprim17ROCPRIM_400000_NS6detail17trampoline_kernelINS0_13select_configILj256ELj13ELNS0_17block_load_methodE3ELS4_3ELS4_3ELNS0_20block_scan_algorithmE0ELj4294967295EEENS1_25partition_config_selectorILNS1_17partition_subalgoE3EjNS0_10empty_typeEbEEZZNS1_14partition_implILS8_3ELb0ES6_jNS0_17counting_iteratorIjlEEPS9_SE_NS0_5tupleIJPjSE_EEENSF_IJSE_SE_EEES9_SG_JZNS1_25segmented_radix_sort_implINS0_14default_configELb0EPKdPdPKlPlN2at6native12_GLOBAL__N_18offset_tEEE10hipError_tPvRmT1_PNSt15iterator_traitsISY_E10value_typeET2_T3_PNSZ_IS14_E10value_typeET4_jRbjT5_S1A_jjP12ihipStream_tbEUljE_EEESV_SW_SX_S14_S18_S1A_T6_T7_T9_mT8_S1C_bDpT10_ENKUlT_T0_E_clISt17integral_constantIbLb1EES1P_EEDaS1K_S1L_EUlS1K_E_NS1_11comp_targetILNS1_3genE0ELNS1_11target_archE4294967295ELNS1_3gpuE0ELNS1_3repE0EEENS1_30default_config_static_selectorELNS0_4arch9wavefront6targetE0EEEvSY_.has_recursion, 0
	.set _ZN7rocprim17ROCPRIM_400000_NS6detail17trampoline_kernelINS0_13select_configILj256ELj13ELNS0_17block_load_methodE3ELS4_3ELS4_3ELNS0_20block_scan_algorithmE0ELj4294967295EEENS1_25partition_config_selectorILNS1_17partition_subalgoE3EjNS0_10empty_typeEbEEZZNS1_14partition_implILS8_3ELb0ES6_jNS0_17counting_iteratorIjlEEPS9_SE_NS0_5tupleIJPjSE_EEENSF_IJSE_SE_EEES9_SG_JZNS1_25segmented_radix_sort_implINS0_14default_configELb0EPKdPdPKlPlN2at6native12_GLOBAL__N_18offset_tEEE10hipError_tPvRmT1_PNSt15iterator_traitsISY_E10value_typeET2_T3_PNSZ_IS14_E10value_typeET4_jRbjT5_S1A_jjP12ihipStream_tbEUljE_EEESV_SW_SX_S14_S18_S1A_T6_T7_T9_mT8_S1C_bDpT10_ENKUlT_T0_E_clISt17integral_constantIbLb1EES1P_EEDaS1K_S1L_EUlS1K_E_NS1_11comp_targetILNS1_3genE0ELNS1_11target_archE4294967295ELNS1_3gpuE0ELNS1_3repE0EEENS1_30default_config_static_selectorELNS0_4arch9wavefront6targetE0EEEvSY_.has_indirect_call, 0
	.section	.AMDGPU.csdata,"",@progbits
; Kernel info:
; codeLenInByte = 0
; TotalNumSgprs: 0
; NumVgprs: 0
; ScratchSize: 0
; MemoryBound: 0
; FloatMode: 240
; IeeeMode: 1
; LDSByteSize: 0 bytes/workgroup (compile time only)
; SGPRBlocks: 0
; VGPRBlocks: 0
; NumSGPRsForWavesPerEU: 1
; NumVGPRsForWavesPerEU: 1
; Occupancy: 16
; WaveLimiterHint : 0
; COMPUTE_PGM_RSRC2:SCRATCH_EN: 0
; COMPUTE_PGM_RSRC2:USER_SGPR: 6
; COMPUTE_PGM_RSRC2:TRAP_HANDLER: 0
; COMPUTE_PGM_RSRC2:TGID_X_EN: 1
; COMPUTE_PGM_RSRC2:TGID_Y_EN: 0
; COMPUTE_PGM_RSRC2:TGID_Z_EN: 0
; COMPUTE_PGM_RSRC2:TIDIG_COMP_CNT: 0
	.section	.text._ZN7rocprim17ROCPRIM_400000_NS6detail17trampoline_kernelINS0_13select_configILj256ELj13ELNS0_17block_load_methodE3ELS4_3ELS4_3ELNS0_20block_scan_algorithmE0ELj4294967295EEENS1_25partition_config_selectorILNS1_17partition_subalgoE3EjNS0_10empty_typeEbEEZZNS1_14partition_implILS8_3ELb0ES6_jNS0_17counting_iteratorIjlEEPS9_SE_NS0_5tupleIJPjSE_EEENSF_IJSE_SE_EEES9_SG_JZNS1_25segmented_radix_sort_implINS0_14default_configELb0EPKdPdPKlPlN2at6native12_GLOBAL__N_18offset_tEEE10hipError_tPvRmT1_PNSt15iterator_traitsISY_E10value_typeET2_T3_PNSZ_IS14_E10value_typeET4_jRbjT5_S1A_jjP12ihipStream_tbEUljE_EEESV_SW_SX_S14_S18_S1A_T6_T7_T9_mT8_S1C_bDpT10_ENKUlT_T0_E_clISt17integral_constantIbLb1EES1P_EEDaS1K_S1L_EUlS1K_E_NS1_11comp_targetILNS1_3genE5ELNS1_11target_archE942ELNS1_3gpuE9ELNS1_3repE0EEENS1_30default_config_static_selectorELNS0_4arch9wavefront6targetE0EEEvSY_,"axG",@progbits,_ZN7rocprim17ROCPRIM_400000_NS6detail17trampoline_kernelINS0_13select_configILj256ELj13ELNS0_17block_load_methodE3ELS4_3ELS4_3ELNS0_20block_scan_algorithmE0ELj4294967295EEENS1_25partition_config_selectorILNS1_17partition_subalgoE3EjNS0_10empty_typeEbEEZZNS1_14partition_implILS8_3ELb0ES6_jNS0_17counting_iteratorIjlEEPS9_SE_NS0_5tupleIJPjSE_EEENSF_IJSE_SE_EEES9_SG_JZNS1_25segmented_radix_sort_implINS0_14default_configELb0EPKdPdPKlPlN2at6native12_GLOBAL__N_18offset_tEEE10hipError_tPvRmT1_PNSt15iterator_traitsISY_E10value_typeET2_T3_PNSZ_IS14_E10value_typeET4_jRbjT5_S1A_jjP12ihipStream_tbEUljE_EEESV_SW_SX_S14_S18_S1A_T6_T7_T9_mT8_S1C_bDpT10_ENKUlT_T0_E_clISt17integral_constantIbLb1EES1P_EEDaS1K_S1L_EUlS1K_E_NS1_11comp_targetILNS1_3genE5ELNS1_11target_archE942ELNS1_3gpuE9ELNS1_3repE0EEENS1_30default_config_static_selectorELNS0_4arch9wavefront6targetE0EEEvSY_,comdat
	.globl	_ZN7rocprim17ROCPRIM_400000_NS6detail17trampoline_kernelINS0_13select_configILj256ELj13ELNS0_17block_load_methodE3ELS4_3ELS4_3ELNS0_20block_scan_algorithmE0ELj4294967295EEENS1_25partition_config_selectorILNS1_17partition_subalgoE3EjNS0_10empty_typeEbEEZZNS1_14partition_implILS8_3ELb0ES6_jNS0_17counting_iteratorIjlEEPS9_SE_NS0_5tupleIJPjSE_EEENSF_IJSE_SE_EEES9_SG_JZNS1_25segmented_radix_sort_implINS0_14default_configELb0EPKdPdPKlPlN2at6native12_GLOBAL__N_18offset_tEEE10hipError_tPvRmT1_PNSt15iterator_traitsISY_E10value_typeET2_T3_PNSZ_IS14_E10value_typeET4_jRbjT5_S1A_jjP12ihipStream_tbEUljE_EEESV_SW_SX_S14_S18_S1A_T6_T7_T9_mT8_S1C_bDpT10_ENKUlT_T0_E_clISt17integral_constantIbLb1EES1P_EEDaS1K_S1L_EUlS1K_E_NS1_11comp_targetILNS1_3genE5ELNS1_11target_archE942ELNS1_3gpuE9ELNS1_3repE0EEENS1_30default_config_static_selectorELNS0_4arch9wavefront6targetE0EEEvSY_ ; -- Begin function _ZN7rocprim17ROCPRIM_400000_NS6detail17trampoline_kernelINS0_13select_configILj256ELj13ELNS0_17block_load_methodE3ELS4_3ELS4_3ELNS0_20block_scan_algorithmE0ELj4294967295EEENS1_25partition_config_selectorILNS1_17partition_subalgoE3EjNS0_10empty_typeEbEEZZNS1_14partition_implILS8_3ELb0ES6_jNS0_17counting_iteratorIjlEEPS9_SE_NS0_5tupleIJPjSE_EEENSF_IJSE_SE_EEES9_SG_JZNS1_25segmented_radix_sort_implINS0_14default_configELb0EPKdPdPKlPlN2at6native12_GLOBAL__N_18offset_tEEE10hipError_tPvRmT1_PNSt15iterator_traitsISY_E10value_typeET2_T3_PNSZ_IS14_E10value_typeET4_jRbjT5_S1A_jjP12ihipStream_tbEUljE_EEESV_SW_SX_S14_S18_S1A_T6_T7_T9_mT8_S1C_bDpT10_ENKUlT_T0_E_clISt17integral_constantIbLb1EES1P_EEDaS1K_S1L_EUlS1K_E_NS1_11comp_targetILNS1_3genE5ELNS1_11target_archE942ELNS1_3gpuE9ELNS1_3repE0EEENS1_30default_config_static_selectorELNS0_4arch9wavefront6targetE0EEEvSY_
	.p2align	8
	.type	_ZN7rocprim17ROCPRIM_400000_NS6detail17trampoline_kernelINS0_13select_configILj256ELj13ELNS0_17block_load_methodE3ELS4_3ELS4_3ELNS0_20block_scan_algorithmE0ELj4294967295EEENS1_25partition_config_selectorILNS1_17partition_subalgoE3EjNS0_10empty_typeEbEEZZNS1_14partition_implILS8_3ELb0ES6_jNS0_17counting_iteratorIjlEEPS9_SE_NS0_5tupleIJPjSE_EEENSF_IJSE_SE_EEES9_SG_JZNS1_25segmented_radix_sort_implINS0_14default_configELb0EPKdPdPKlPlN2at6native12_GLOBAL__N_18offset_tEEE10hipError_tPvRmT1_PNSt15iterator_traitsISY_E10value_typeET2_T3_PNSZ_IS14_E10value_typeET4_jRbjT5_S1A_jjP12ihipStream_tbEUljE_EEESV_SW_SX_S14_S18_S1A_T6_T7_T9_mT8_S1C_bDpT10_ENKUlT_T0_E_clISt17integral_constantIbLb1EES1P_EEDaS1K_S1L_EUlS1K_E_NS1_11comp_targetILNS1_3genE5ELNS1_11target_archE942ELNS1_3gpuE9ELNS1_3repE0EEENS1_30default_config_static_selectorELNS0_4arch9wavefront6targetE0EEEvSY_,@function
_ZN7rocprim17ROCPRIM_400000_NS6detail17trampoline_kernelINS0_13select_configILj256ELj13ELNS0_17block_load_methodE3ELS4_3ELS4_3ELNS0_20block_scan_algorithmE0ELj4294967295EEENS1_25partition_config_selectorILNS1_17partition_subalgoE3EjNS0_10empty_typeEbEEZZNS1_14partition_implILS8_3ELb0ES6_jNS0_17counting_iteratorIjlEEPS9_SE_NS0_5tupleIJPjSE_EEENSF_IJSE_SE_EEES9_SG_JZNS1_25segmented_radix_sort_implINS0_14default_configELb0EPKdPdPKlPlN2at6native12_GLOBAL__N_18offset_tEEE10hipError_tPvRmT1_PNSt15iterator_traitsISY_E10value_typeET2_T3_PNSZ_IS14_E10value_typeET4_jRbjT5_S1A_jjP12ihipStream_tbEUljE_EEESV_SW_SX_S14_S18_S1A_T6_T7_T9_mT8_S1C_bDpT10_ENKUlT_T0_E_clISt17integral_constantIbLb1EES1P_EEDaS1K_S1L_EUlS1K_E_NS1_11comp_targetILNS1_3genE5ELNS1_11target_archE942ELNS1_3gpuE9ELNS1_3repE0EEENS1_30default_config_static_selectorELNS0_4arch9wavefront6targetE0EEEvSY_: ; @_ZN7rocprim17ROCPRIM_400000_NS6detail17trampoline_kernelINS0_13select_configILj256ELj13ELNS0_17block_load_methodE3ELS4_3ELS4_3ELNS0_20block_scan_algorithmE0ELj4294967295EEENS1_25partition_config_selectorILNS1_17partition_subalgoE3EjNS0_10empty_typeEbEEZZNS1_14partition_implILS8_3ELb0ES6_jNS0_17counting_iteratorIjlEEPS9_SE_NS0_5tupleIJPjSE_EEENSF_IJSE_SE_EEES9_SG_JZNS1_25segmented_radix_sort_implINS0_14default_configELb0EPKdPdPKlPlN2at6native12_GLOBAL__N_18offset_tEEE10hipError_tPvRmT1_PNSt15iterator_traitsISY_E10value_typeET2_T3_PNSZ_IS14_E10value_typeET4_jRbjT5_S1A_jjP12ihipStream_tbEUljE_EEESV_SW_SX_S14_S18_S1A_T6_T7_T9_mT8_S1C_bDpT10_ENKUlT_T0_E_clISt17integral_constantIbLb1EES1P_EEDaS1K_S1L_EUlS1K_E_NS1_11comp_targetILNS1_3genE5ELNS1_11target_archE942ELNS1_3gpuE9ELNS1_3repE0EEENS1_30default_config_static_selectorELNS0_4arch9wavefront6targetE0EEEvSY_
; %bb.0:
	.section	.rodata,"a",@progbits
	.p2align	6, 0x0
	.amdhsa_kernel _ZN7rocprim17ROCPRIM_400000_NS6detail17trampoline_kernelINS0_13select_configILj256ELj13ELNS0_17block_load_methodE3ELS4_3ELS4_3ELNS0_20block_scan_algorithmE0ELj4294967295EEENS1_25partition_config_selectorILNS1_17partition_subalgoE3EjNS0_10empty_typeEbEEZZNS1_14partition_implILS8_3ELb0ES6_jNS0_17counting_iteratorIjlEEPS9_SE_NS0_5tupleIJPjSE_EEENSF_IJSE_SE_EEES9_SG_JZNS1_25segmented_radix_sort_implINS0_14default_configELb0EPKdPdPKlPlN2at6native12_GLOBAL__N_18offset_tEEE10hipError_tPvRmT1_PNSt15iterator_traitsISY_E10value_typeET2_T3_PNSZ_IS14_E10value_typeET4_jRbjT5_S1A_jjP12ihipStream_tbEUljE_EEESV_SW_SX_S14_S18_S1A_T6_T7_T9_mT8_S1C_bDpT10_ENKUlT_T0_E_clISt17integral_constantIbLb1EES1P_EEDaS1K_S1L_EUlS1K_E_NS1_11comp_targetILNS1_3genE5ELNS1_11target_archE942ELNS1_3gpuE9ELNS1_3repE0EEENS1_30default_config_static_selectorELNS0_4arch9wavefront6targetE0EEEvSY_
		.amdhsa_group_segment_fixed_size 0
		.amdhsa_private_segment_fixed_size 0
		.amdhsa_kernarg_size 152
		.amdhsa_user_sgpr_count 6
		.amdhsa_user_sgpr_private_segment_buffer 1
		.amdhsa_user_sgpr_dispatch_ptr 0
		.amdhsa_user_sgpr_queue_ptr 0
		.amdhsa_user_sgpr_kernarg_segment_ptr 1
		.amdhsa_user_sgpr_dispatch_id 0
		.amdhsa_user_sgpr_flat_scratch_init 0
		.amdhsa_user_sgpr_private_segment_size 0
		.amdhsa_wavefront_size32 1
		.amdhsa_uses_dynamic_stack 0
		.amdhsa_system_sgpr_private_segment_wavefront_offset 0
		.amdhsa_system_sgpr_workgroup_id_x 1
		.amdhsa_system_sgpr_workgroup_id_y 0
		.amdhsa_system_sgpr_workgroup_id_z 0
		.amdhsa_system_sgpr_workgroup_info 0
		.amdhsa_system_vgpr_workitem_id 0
		.amdhsa_next_free_vgpr 1
		.amdhsa_next_free_sgpr 1
		.amdhsa_reserve_vcc 0
		.amdhsa_reserve_flat_scratch 0
		.amdhsa_float_round_mode_32 0
		.amdhsa_float_round_mode_16_64 0
		.amdhsa_float_denorm_mode_32 3
		.amdhsa_float_denorm_mode_16_64 3
		.amdhsa_dx10_clamp 1
		.amdhsa_ieee_mode 1
		.amdhsa_fp16_overflow 0
		.amdhsa_workgroup_processor_mode 1
		.amdhsa_memory_ordered 1
		.amdhsa_forward_progress 1
		.amdhsa_shared_vgpr_count 0
		.amdhsa_exception_fp_ieee_invalid_op 0
		.amdhsa_exception_fp_denorm_src 0
		.amdhsa_exception_fp_ieee_div_zero 0
		.amdhsa_exception_fp_ieee_overflow 0
		.amdhsa_exception_fp_ieee_underflow 0
		.amdhsa_exception_fp_ieee_inexact 0
		.amdhsa_exception_int_div_zero 0
	.end_amdhsa_kernel
	.section	.text._ZN7rocprim17ROCPRIM_400000_NS6detail17trampoline_kernelINS0_13select_configILj256ELj13ELNS0_17block_load_methodE3ELS4_3ELS4_3ELNS0_20block_scan_algorithmE0ELj4294967295EEENS1_25partition_config_selectorILNS1_17partition_subalgoE3EjNS0_10empty_typeEbEEZZNS1_14partition_implILS8_3ELb0ES6_jNS0_17counting_iteratorIjlEEPS9_SE_NS0_5tupleIJPjSE_EEENSF_IJSE_SE_EEES9_SG_JZNS1_25segmented_radix_sort_implINS0_14default_configELb0EPKdPdPKlPlN2at6native12_GLOBAL__N_18offset_tEEE10hipError_tPvRmT1_PNSt15iterator_traitsISY_E10value_typeET2_T3_PNSZ_IS14_E10value_typeET4_jRbjT5_S1A_jjP12ihipStream_tbEUljE_EEESV_SW_SX_S14_S18_S1A_T6_T7_T9_mT8_S1C_bDpT10_ENKUlT_T0_E_clISt17integral_constantIbLb1EES1P_EEDaS1K_S1L_EUlS1K_E_NS1_11comp_targetILNS1_3genE5ELNS1_11target_archE942ELNS1_3gpuE9ELNS1_3repE0EEENS1_30default_config_static_selectorELNS0_4arch9wavefront6targetE0EEEvSY_,"axG",@progbits,_ZN7rocprim17ROCPRIM_400000_NS6detail17trampoline_kernelINS0_13select_configILj256ELj13ELNS0_17block_load_methodE3ELS4_3ELS4_3ELNS0_20block_scan_algorithmE0ELj4294967295EEENS1_25partition_config_selectorILNS1_17partition_subalgoE3EjNS0_10empty_typeEbEEZZNS1_14partition_implILS8_3ELb0ES6_jNS0_17counting_iteratorIjlEEPS9_SE_NS0_5tupleIJPjSE_EEENSF_IJSE_SE_EEES9_SG_JZNS1_25segmented_radix_sort_implINS0_14default_configELb0EPKdPdPKlPlN2at6native12_GLOBAL__N_18offset_tEEE10hipError_tPvRmT1_PNSt15iterator_traitsISY_E10value_typeET2_T3_PNSZ_IS14_E10value_typeET4_jRbjT5_S1A_jjP12ihipStream_tbEUljE_EEESV_SW_SX_S14_S18_S1A_T6_T7_T9_mT8_S1C_bDpT10_ENKUlT_T0_E_clISt17integral_constantIbLb1EES1P_EEDaS1K_S1L_EUlS1K_E_NS1_11comp_targetILNS1_3genE5ELNS1_11target_archE942ELNS1_3gpuE9ELNS1_3repE0EEENS1_30default_config_static_selectorELNS0_4arch9wavefront6targetE0EEEvSY_,comdat
.Lfunc_end1190:
	.size	_ZN7rocprim17ROCPRIM_400000_NS6detail17trampoline_kernelINS0_13select_configILj256ELj13ELNS0_17block_load_methodE3ELS4_3ELS4_3ELNS0_20block_scan_algorithmE0ELj4294967295EEENS1_25partition_config_selectorILNS1_17partition_subalgoE3EjNS0_10empty_typeEbEEZZNS1_14partition_implILS8_3ELb0ES6_jNS0_17counting_iteratorIjlEEPS9_SE_NS0_5tupleIJPjSE_EEENSF_IJSE_SE_EEES9_SG_JZNS1_25segmented_radix_sort_implINS0_14default_configELb0EPKdPdPKlPlN2at6native12_GLOBAL__N_18offset_tEEE10hipError_tPvRmT1_PNSt15iterator_traitsISY_E10value_typeET2_T3_PNSZ_IS14_E10value_typeET4_jRbjT5_S1A_jjP12ihipStream_tbEUljE_EEESV_SW_SX_S14_S18_S1A_T6_T7_T9_mT8_S1C_bDpT10_ENKUlT_T0_E_clISt17integral_constantIbLb1EES1P_EEDaS1K_S1L_EUlS1K_E_NS1_11comp_targetILNS1_3genE5ELNS1_11target_archE942ELNS1_3gpuE9ELNS1_3repE0EEENS1_30default_config_static_selectorELNS0_4arch9wavefront6targetE0EEEvSY_, .Lfunc_end1190-_ZN7rocprim17ROCPRIM_400000_NS6detail17trampoline_kernelINS0_13select_configILj256ELj13ELNS0_17block_load_methodE3ELS4_3ELS4_3ELNS0_20block_scan_algorithmE0ELj4294967295EEENS1_25partition_config_selectorILNS1_17partition_subalgoE3EjNS0_10empty_typeEbEEZZNS1_14partition_implILS8_3ELb0ES6_jNS0_17counting_iteratorIjlEEPS9_SE_NS0_5tupleIJPjSE_EEENSF_IJSE_SE_EEES9_SG_JZNS1_25segmented_radix_sort_implINS0_14default_configELb0EPKdPdPKlPlN2at6native12_GLOBAL__N_18offset_tEEE10hipError_tPvRmT1_PNSt15iterator_traitsISY_E10value_typeET2_T3_PNSZ_IS14_E10value_typeET4_jRbjT5_S1A_jjP12ihipStream_tbEUljE_EEESV_SW_SX_S14_S18_S1A_T6_T7_T9_mT8_S1C_bDpT10_ENKUlT_T0_E_clISt17integral_constantIbLb1EES1P_EEDaS1K_S1L_EUlS1K_E_NS1_11comp_targetILNS1_3genE5ELNS1_11target_archE942ELNS1_3gpuE9ELNS1_3repE0EEENS1_30default_config_static_selectorELNS0_4arch9wavefront6targetE0EEEvSY_
                                        ; -- End function
	.set _ZN7rocprim17ROCPRIM_400000_NS6detail17trampoline_kernelINS0_13select_configILj256ELj13ELNS0_17block_load_methodE3ELS4_3ELS4_3ELNS0_20block_scan_algorithmE0ELj4294967295EEENS1_25partition_config_selectorILNS1_17partition_subalgoE3EjNS0_10empty_typeEbEEZZNS1_14partition_implILS8_3ELb0ES6_jNS0_17counting_iteratorIjlEEPS9_SE_NS0_5tupleIJPjSE_EEENSF_IJSE_SE_EEES9_SG_JZNS1_25segmented_radix_sort_implINS0_14default_configELb0EPKdPdPKlPlN2at6native12_GLOBAL__N_18offset_tEEE10hipError_tPvRmT1_PNSt15iterator_traitsISY_E10value_typeET2_T3_PNSZ_IS14_E10value_typeET4_jRbjT5_S1A_jjP12ihipStream_tbEUljE_EEESV_SW_SX_S14_S18_S1A_T6_T7_T9_mT8_S1C_bDpT10_ENKUlT_T0_E_clISt17integral_constantIbLb1EES1P_EEDaS1K_S1L_EUlS1K_E_NS1_11comp_targetILNS1_3genE5ELNS1_11target_archE942ELNS1_3gpuE9ELNS1_3repE0EEENS1_30default_config_static_selectorELNS0_4arch9wavefront6targetE0EEEvSY_.num_vgpr, 0
	.set _ZN7rocprim17ROCPRIM_400000_NS6detail17trampoline_kernelINS0_13select_configILj256ELj13ELNS0_17block_load_methodE3ELS4_3ELS4_3ELNS0_20block_scan_algorithmE0ELj4294967295EEENS1_25partition_config_selectorILNS1_17partition_subalgoE3EjNS0_10empty_typeEbEEZZNS1_14partition_implILS8_3ELb0ES6_jNS0_17counting_iteratorIjlEEPS9_SE_NS0_5tupleIJPjSE_EEENSF_IJSE_SE_EEES9_SG_JZNS1_25segmented_radix_sort_implINS0_14default_configELb0EPKdPdPKlPlN2at6native12_GLOBAL__N_18offset_tEEE10hipError_tPvRmT1_PNSt15iterator_traitsISY_E10value_typeET2_T3_PNSZ_IS14_E10value_typeET4_jRbjT5_S1A_jjP12ihipStream_tbEUljE_EEESV_SW_SX_S14_S18_S1A_T6_T7_T9_mT8_S1C_bDpT10_ENKUlT_T0_E_clISt17integral_constantIbLb1EES1P_EEDaS1K_S1L_EUlS1K_E_NS1_11comp_targetILNS1_3genE5ELNS1_11target_archE942ELNS1_3gpuE9ELNS1_3repE0EEENS1_30default_config_static_selectorELNS0_4arch9wavefront6targetE0EEEvSY_.num_agpr, 0
	.set _ZN7rocprim17ROCPRIM_400000_NS6detail17trampoline_kernelINS0_13select_configILj256ELj13ELNS0_17block_load_methodE3ELS4_3ELS4_3ELNS0_20block_scan_algorithmE0ELj4294967295EEENS1_25partition_config_selectorILNS1_17partition_subalgoE3EjNS0_10empty_typeEbEEZZNS1_14partition_implILS8_3ELb0ES6_jNS0_17counting_iteratorIjlEEPS9_SE_NS0_5tupleIJPjSE_EEENSF_IJSE_SE_EEES9_SG_JZNS1_25segmented_radix_sort_implINS0_14default_configELb0EPKdPdPKlPlN2at6native12_GLOBAL__N_18offset_tEEE10hipError_tPvRmT1_PNSt15iterator_traitsISY_E10value_typeET2_T3_PNSZ_IS14_E10value_typeET4_jRbjT5_S1A_jjP12ihipStream_tbEUljE_EEESV_SW_SX_S14_S18_S1A_T6_T7_T9_mT8_S1C_bDpT10_ENKUlT_T0_E_clISt17integral_constantIbLb1EES1P_EEDaS1K_S1L_EUlS1K_E_NS1_11comp_targetILNS1_3genE5ELNS1_11target_archE942ELNS1_3gpuE9ELNS1_3repE0EEENS1_30default_config_static_selectorELNS0_4arch9wavefront6targetE0EEEvSY_.numbered_sgpr, 0
	.set _ZN7rocprim17ROCPRIM_400000_NS6detail17trampoline_kernelINS0_13select_configILj256ELj13ELNS0_17block_load_methodE3ELS4_3ELS4_3ELNS0_20block_scan_algorithmE0ELj4294967295EEENS1_25partition_config_selectorILNS1_17partition_subalgoE3EjNS0_10empty_typeEbEEZZNS1_14partition_implILS8_3ELb0ES6_jNS0_17counting_iteratorIjlEEPS9_SE_NS0_5tupleIJPjSE_EEENSF_IJSE_SE_EEES9_SG_JZNS1_25segmented_radix_sort_implINS0_14default_configELb0EPKdPdPKlPlN2at6native12_GLOBAL__N_18offset_tEEE10hipError_tPvRmT1_PNSt15iterator_traitsISY_E10value_typeET2_T3_PNSZ_IS14_E10value_typeET4_jRbjT5_S1A_jjP12ihipStream_tbEUljE_EEESV_SW_SX_S14_S18_S1A_T6_T7_T9_mT8_S1C_bDpT10_ENKUlT_T0_E_clISt17integral_constantIbLb1EES1P_EEDaS1K_S1L_EUlS1K_E_NS1_11comp_targetILNS1_3genE5ELNS1_11target_archE942ELNS1_3gpuE9ELNS1_3repE0EEENS1_30default_config_static_selectorELNS0_4arch9wavefront6targetE0EEEvSY_.num_named_barrier, 0
	.set _ZN7rocprim17ROCPRIM_400000_NS6detail17trampoline_kernelINS0_13select_configILj256ELj13ELNS0_17block_load_methodE3ELS4_3ELS4_3ELNS0_20block_scan_algorithmE0ELj4294967295EEENS1_25partition_config_selectorILNS1_17partition_subalgoE3EjNS0_10empty_typeEbEEZZNS1_14partition_implILS8_3ELb0ES6_jNS0_17counting_iteratorIjlEEPS9_SE_NS0_5tupleIJPjSE_EEENSF_IJSE_SE_EEES9_SG_JZNS1_25segmented_radix_sort_implINS0_14default_configELb0EPKdPdPKlPlN2at6native12_GLOBAL__N_18offset_tEEE10hipError_tPvRmT1_PNSt15iterator_traitsISY_E10value_typeET2_T3_PNSZ_IS14_E10value_typeET4_jRbjT5_S1A_jjP12ihipStream_tbEUljE_EEESV_SW_SX_S14_S18_S1A_T6_T7_T9_mT8_S1C_bDpT10_ENKUlT_T0_E_clISt17integral_constantIbLb1EES1P_EEDaS1K_S1L_EUlS1K_E_NS1_11comp_targetILNS1_3genE5ELNS1_11target_archE942ELNS1_3gpuE9ELNS1_3repE0EEENS1_30default_config_static_selectorELNS0_4arch9wavefront6targetE0EEEvSY_.private_seg_size, 0
	.set _ZN7rocprim17ROCPRIM_400000_NS6detail17trampoline_kernelINS0_13select_configILj256ELj13ELNS0_17block_load_methodE3ELS4_3ELS4_3ELNS0_20block_scan_algorithmE0ELj4294967295EEENS1_25partition_config_selectorILNS1_17partition_subalgoE3EjNS0_10empty_typeEbEEZZNS1_14partition_implILS8_3ELb0ES6_jNS0_17counting_iteratorIjlEEPS9_SE_NS0_5tupleIJPjSE_EEENSF_IJSE_SE_EEES9_SG_JZNS1_25segmented_radix_sort_implINS0_14default_configELb0EPKdPdPKlPlN2at6native12_GLOBAL__N_18offset_tEEE10hipError_tPvRmT1_PNSt15iterator_traitsISY_E10value_typeET2_T3_PNSZ_IS14_E10value_typeET4_jRbjT5_S1A_jjP12ihipStream_tbEUljE_EEESV_SW_SX_S14_S18_S1A_T6_T7_T9_mT8_S1C_bDpT10_ENKUlT_T0_E_clISt17integral_constantIbLb1EES1P_EEDaS1K_S1L_EUlS1K_E_NS1_11comp_targetILNS1_3genE5ELNS1_11target_archE942ELNS1_3gpuE9ELNS1_3repE0EEENS1_30default_config_static_selectorELNS0_4arch9wavefront6targetE0EEEvSY_.uses_vcc, 0
	.set _ZN7rocprim17ROCPRIM_400000_NS6detail17trampoline_kernelINS0_13select_configILj256ELj13ELNS0_17block_load_methodE3ELS4_3ELS4_3ELNS0_20block_scan_algorithmE0ELj4294967295EEENS1_25partition_config_selectorILNS1_17partition_subalgoE3EjNS0_10empty_typeEbEEZZNS1_14partition_implILS8_3ELb0ES6_jNS0_17counting_iteratorIjlEEPS9_SE_NS0_5tupleIJPjSE_EEENSF_IJSE_SE_EEES9_SG_JZNS1_25segmented_radix_sort_implINS0_14default_configELb0EPKdPdPKlPlN2at6native12_GLOBAL__N_18offset_tEEE10hipError_tPvRmT1_PNSt15iterator_traitsISY_E10value_typeET2_T3_PNSZ_IS14_E10value_typeET4_jRbjT5_S1A_jjP12ihipStream_tbEUljE_EEESV_SW_SX_S14_S18_S1A_T6_T7_T9_mT8_S1C_bDpT10_ENKUlT_T0_E_clISt17integral_constantIbLb1EES1P_EEDaS1K_S1L_EUlS1K_E_NS1_11comp_targetILNS1_3genE5ELNS1_11target_archE942ELNS1_3gpuE9ELNS1_3repE0EEENS1_30default_config_static_selectorELNS0_4arch9wavefront6targetE0EEEvSY_.uses_flat_scratch, 0
	.set _ZN7rocprim17ROCPRIM_400000_NS6detail17trampoline_kernelINS0_13select_configILj256ELj13ELNS0_17block_load_methodE3ELS4_3ELS4_3ELNS0_20block_scan_algorithmE0ELj4294967295EEENS1_25partition_config_selectorILNS1_17partition_subalgoE3EjNS0_10empty_typeEbEEZZNS1_14partition_implILS8_3ELb0ES6_jNS0_17counting_iteratorIjlEEPS9_SE_NS0_5tupleIJPjSE_EEENSF_IJSE_SE_EEES9_SG_JZNS1_25segmented_radix_sort_implINS0_14default_configELb0EPKdPdPKlPlN2at6native12_GLOBAL__N_18offset_tEEE10hipError_tPvRmT1_PNSt15iterator_traitsISY_E10value_typeET2_T3_PNSZ_IS14_E10value_typeET4_jRbjT5_S1A_jjP12ihipStream_tbEUljE_EEESV_SW_SX_S14_S18_S1A_T6_T7_T9_mT8_S1C_bDpT10_ENKUlT_T0_E_clISt17integral_constantIbLb1EES1P_EEDaS1K_S1L_EUlS1K_E_NS1_11comp_targetILNS1_3genE5ELNS1_11target_archE942ELNS1_3gpuE9ELNS1_3repE0EEENS1_30default_config_static_selectorELNS0_4arch9wavefront6targetE0EEEvSY_.has_dyn_sized_stack, 0
	.set _ZN7rocprim17ROCPRIM_400000_NS6detail17trampoline_kernelINS0_13select_configILj256ELj13ELNS0_17block_load_methodE3ELS4_3ELS4_3ELNS0_20block_scan_algorithmE0ELj4294967295EEENS1_25partition_config_selectorILNS1_17partition_subalgoE3EjNS0_10empty_typeEbEEZZNS1_14partition_implILS8_3ELb0ES6_jNS0_17counting_iteratorIjlEEPS9_SE_NS0_5tupleIJPjSE_EEENSF_IJSE_SE_EEES9_SG_JZNS1_25segmented_radix_sort_implINS0_14default_configELb0EPKdPdPKlPlN2at6native12_GLOBAL__N_18offset_tEEE10hipError_tPvRmT1_PNSt15iterator_traitsISY_E10value_typeET2_T3_PNSZ_IS14_E10value_typeET4_jRbjT5_S1A_jjP12ihipStream_tbEUljE_EEESV_SW_SX_S14_S18_S1A_T6_T7_T9_mT8_S1C_bDpT10_ENKUlT_T0_E_clISt17integral_constantIbLb1EES1P_EEDaS1K_S1L_EUlS1K_E_NS1_11comp_targetILNS1_3genE5ELNS1_11target_archE942ELNS1_3gpuE9ELNS1_3repE0EEENS1_30default_config_static_selectorELNS0_4arch9wavefront6targetE0EEEvSY_.has_recursion, 0
	.set _ZN7rocprim17ROCPRIM_400000_NS6detail17trampoline_kernelINS0_13select_configILj256ELj13ELNS0_17block_load_methodE3ELS4_3ELS4_3ELNS0_20block_scan_algorithmE0ELj4294967295EEENS1_25partition_config_selectorILNS1_17partition_subalgoE3EjNS0_10empty_typeEbEEZZNS1_14partition_implILS8_3ELb0ES6_jNS0_17counting_iteratorIjlEEPS9_SE_NS0_5tupleIJPjSE_EEENSF_IJSE_SE_EEES9_SG_JZNS1_25segmented_radix_sort_implINS0_14default_configELb0EPKdPdPKlPlN2at6native12_GLOBAL__N_18offset_tEEE10hipError_tPvRmT1_PNSt15iterator_traitsISY_E10value_typeET2_T3_PNSZ_IS14_E10value_typeET4_jRbjT5_S1A_jjP12ihipStream_tbEUljE_EEESV_SW_SX_S14_S18_S1A_T6_T7_T9_mT8_S1C_bDpT10_ENKUlT_T0_E_clISt17integral_constantIbLb1EES1P_EEDaS1K_S1L_EUlS1K_E_NS1_11comp_targetILNS1_3genE5ELNS1_11target_archE942ELNS1_3gpuE9ELNS1_3repE0EEENS1_30default_config_static_selectorELNS0_4arch9wavefront6targetE0EEEvSY_.has_indirect_call, 0
	.section	.AMDGPU.csdata,"",@progbits
; Kernel info:
; codeLenInByte = 0
; TotalNumSgprs: 0
; NumVgprs: 0
; ScratchSize: 0
; MemoryBound: 0
; FloatMode: 240
; IeeeMode: 1
; LDSByteSize: 0 bytes/workgroup (compile time only)
; SGPRBlocks: 0
; VGPRBlocks: 0
; NumSGPRsForWavesPerEU: 1
; NumVGPRsForWavesPerEU: 1
; Occupancy: 16
; WaveLimiterHint : 0
; COMPUTE_PGM_RSRC2:SCRATCH_EN: 0
; COMPUTE_PGM_RSRC2:USER_SGPR: 6
; COMPUTE_PGM_RSRC2:TRAP_HANDLER: 0
; COMPUTE_PGM_RSRC2:TGID_X_EN: 1
; COMPUTE_PGM_RSRC2:TGID_Y_EN: 0
; COMPUTE_PGM_RSRC2:TGID_Z_EN: 0
; COMPUTE_PGM_RSRC2:TIDIG_COMP_CNT: 0
	.section	.text._ZN7rocprim17ROCPRIM_400000_NS6detail17trampoline_kernelINS0_13select_configILj256ELj13ELNS0_17block_load_methodE3ELS4_3ELS4_3ELNS0_20block_scan_algorithmE0ELj4294967295EEENS1_25partition_config_selectorILNS1_17partition_subalgoE3EjNS0_10empty_typeEbEEZZNS1_14partition_implILS8_3ELb0ES6_jNS0_17counting_iteratorIjlEEPS9_SE_NS0_5tupleIJPjSE_EEENSF_IJSE_SE_EEES9_SG_JZNS1_25segmented_radix_sort_implINS0_14default_configELb0EPKdPdPKlPlN2at6native12_GLOBAL__N_18offset_tEEE10hipError_tPvRmT1_PNSt15iterator_traitsISY_E10value_typeET2_T3_PNSZ_IS14_E10value_typeET4_jRbjT5_S1A_jjP12ihipStream_tbEUljE_EEESV_SW_SX_S14_S18_S1A_T6_T7_T9_mT8_S1C_bDpT10_ENKUlT_T0_E_clISt17integral_constantIbLb1EES1P_EEDaS1K_S1L_EUlS1K_E_NS1_11comp_targetILNS1_3genE4ELNS1_11target_archE910ELNS1_3gpuE8ELNS1_3repE0EEENS1_30default_config_static_selectorELNS0_4arch9wavefront6targetE0EEEvSY_,"axG",@progbits,_ZN7rocprim17ROCPRIM_400000_NS6detail17trampoline_kernelINS0_13select_configILj256ELj13ELNS0_17block_load_methodE3ELS4_3ELS4_3ELNS0_20block_scan_algorithmE0ELj4294967295EEENS1_25partition_config_selectorILNS1_17partition_subalgoE3EjNS0_10empty_typeEbEEZZNS1_14partition_implILS8_3ELb0ES6_jNS0_17counting_iteratorIjlEEPS9_SE_NS0_5tupleIJPjSE_EEENSF_IJSE_SE_EEES9_SG_JZNS1_25segmented_radix_sort_implINS0_14default_configELb0EPKdPdPKlPlN2at6native12_GLOBAL__N_18offset_tEEE10hipError_tPvRmT1_PNSt15iterator_traitsISY_E10value_typeET2_T3_PNSZ_IS14_E10value_typeET4_jRbjT5_S1A_jjP12ihipStream_tbEUljE_EEESV_SW_SX_S14_S18_S1A_T6_T7_T9_mT8_S1C_bDpT10_ENKUlT_T0_E_clISt17integral_constantIbLb1EES1P_EEDaS1K_S1L_EUlS1K_E_NS1_11comp_targetILNS1_3genE4ELNS1_11target_archE910ELNS1_3gpuE8ELNS1_3repE0EEENS1_30default_config_static_selectorELNS0_4arch9wavefront6targetE0EEEvSY_,comdat
	.globl	_ZN7rocprim17ROCPRIM_400000_NS6detail17trampoline_kernelINS0_13select_configILj256ELj13ELNS0_17block_load_methodE3ELS4_3ELS4_3ELNS0_20block_scan_algorithmE0ELj4294967295EEENS1_25partition_config_selectorILNS1_17partition_subalgoE3EjNS0_10empty_typeEbEEZZNS1_14partition_implILS8_3ELb0ES6_jNS0_17counting_iteratorIjlEEPS9_SE_NS0_5tupleIJPjSE_EEENSF_IJSE_SE_EEES9_SG_JZNS1_25segmented_radix_sort_implINS0_14default_configELb0EPKdPdPKlPlN2at6native12_GLOBAL__N_18offset_tEEE10hipError_tPvRmT1_PNSt15iterator_traitsISY_E10value_typeET2_T3_PNSZ_IS14_E10value_typeET4_jRbjT5_S1A_jjP12ihipStream_tbEUljE_EEESV_SW_SX_S14_S18_S1A_T6_T7_T9_mT8_S1C_bDpT10_ENKUlT_T0_E_clISt17integral_constantIbLb1EES1P_EEDaS1K_S1L_EUlS1K_E_NS1_11comp_targetILNS1_3genE4ELNS1_11target_archE910ELNS1_3gpuE8ELNS1_3repE0EEENS1_30default_config_static_selectorELNS0_4arch9wavefront6targetE0EEEvSY_ ; -- Begin function _ZN7rocprim17ROCPRIM_400000_NS6detail17trampoline_kernelINS0_13select_configILj256ELj13ELNS0_17block_load_methodE3ELS4_3ELS4_3ELNS0_20block_scan_algorithmE0ELj4294967295EEENS1_25partition_config_selectorILNS1_17partition_subalgoE3EjNS0_10empty_typeEbEEZZNS1_14partition_implILS8_3ELb0ES6_jNS0_17counting_iteratorIjlEEPS9_SE_NS0_5tupleIJPjSE_EEENSF_IJSE_SE_EEES9_SG_JZNS1_25segmented_radix_sort_implINS0_14default_configELb0EPKdPdPKlPlN2at6native12_GLOBAL__N_18offset_tEEE10hipError_tPvRmT1_PNSt15iterator_traitsISY_E10value_typeET2_T3_PNSZ_IS14_E10value_typeET4_jRbjT5_S1A_jjP12ihipStream_tbEUljE_EEESV_SW_SX_S14_S18_S1A_T6_T7_T9_mT8_S1C_bDpT10_ENKUlT_T0_E_clISt17integral_constantIbLb1EES1P_EEDaS1K_S1L_EUlS1K_E_NS1_11comp_targetILNS1_3genE4ELNS1_11target_archE910ELNS1_3gpuE8ELNS1_3repE0EEENS1_30default_config_static_selectorELNS0_4arch9wavefront6targetE0EEEvSY_
	.p2align	8
	.type	_ZN7rocprim17ROCPRIM_400000_NS6detail17trampoline_kernelINS0_13select_configILj256ELj13ELNS0_17block_load_methodE3ELS4_3ELS4_3ELNS0_20block_scan_algorithmE0ELj4294967295EEENS1_25partition_config_selectorILNS1_17partition_subalgoE3EjNS0_10empty_typeEbEEZZNS1_14partition_implILS8_3ELb0ES6_jNS0_17counting_iteratorIjlEEPS9_SE_NS0_5tupleIJPjSE_EEENSF_IJSE_SE_EEES9_SG_JZNS1_25segmented_radix_sort_implINS0_14default_configELb0EPKdPdPKlPlN2at6native12_GLOBAL__N_18offset_tEEE10hipError_tPvRmT1_PNSt15iterator_traitsISY_E10value_typeET2_T3_PNSZ_IS14_E10value_typeET4_jRbjT5_S1A_jjP12ihipStream_tbEUljE_EEESV_SW_SX_S14_S18_S1A_T6_T7_T9_mT8_S1C_bDpT10_ENKUlT_T0_E_clISt17integral_constantIbLb1EES1P_EEDaS1K_S1L_EUlS1K_E_NS1_11comp_targetILNS1_3genE4ELNS1_11target_archE910ELNS1_3gpuE8ELNS1_3repE0EEENS1_30default_config_static_selectorELNS0_4arch9wavefront6targetE0EEEvSY_,@function
_ZN7rocprim17ROCPRIM_400000_NS6detail17trampoline_kernelINS0_13select_configILj256ELj13ELNS0_17block_load_methodE3ELS4_3ELS4_3ELNS0_20block_scan_algorithmE0ELj4294967295EEENS1_25partition_config_selectorILNS1_17partition_subalgoE3EjNS0_10empty_typeEbEEZZNS1_14partition_implILS8_3ELb0ES6_jNS0_17counting_iteratorIjlEEPS9_SE_NS0_5tupleIJPjSE_EEENSF_IJSE_SE_EEES9_SG_JZNS1_25segmented_radix_sort_implINS0_14default_configELb0EPKdPdPKlPlN2at6native12_GLOBAL__N_18offset_tEEE10hipError_tPvRmT1_PNSt15iterator_traitsISY_E10value_typeET2_T3_PNSZ_IS14_E10value_typeET4_jRbjT5_S1A_jjP12ihipStream_tbEUljE_EEESV_SW_SX_S14_S18_S1A_T6_T7_T9_mT8_S1C_bDpT10_ENKUlT_T0_E_clISt17integral_constantIbLb1EES1P_EEDaS1K_S1L_EUlS1K_E_NS1_11comp_targetILNS1_3genE4ELNS1_11target_archE910ELNS1_3gpuE8ELNS1_3repE0EEENS1_30default_config_static_selectorELNS0_4arch9wavefront6targetE0EEEvSY_: ; @_ZN7rocprim17ROCPRIM_400000_NS6detail17trampoline_kernelINS0_13select_configILj256ELj13ELNS0_17block_load_methodE3ELS4_3ELS4_3ELNS0_20block_scan_algorithmE0ELj4294967295EEENS1_25partition_config_selectorILNS1_17partition_subalgoE3EjNS0_10empty_typeEbEEZZNS1_14partition_implILS8_3ELb0ES6_jNS0_17counting_iteratorIjlEEPS9_SE_NS0_5tupleIJPjSE_EEENSF_IJSE_SE_EEES9_SG_JZNS1_25segmented_radix_sort_implINS0_14default_configELb0EPKdPdPKlPlN2at6native12_GLOBAL__N_18offset_tEEE10hipError_tPvRmT1_PNSt15iterator_traitsISY_E10value_typeET2_T3_PNSZ_IS14_E10value_typeET4_jRbjT5_S1A_jjP12ihipStream_tbEUljE_EEESV_SW_SX_S14_S18_S1A_T6_T7_T9_mT8_S1C_bDpT10_ENKUlT_T0_E_clISt17integral_constantIbLb1EES1P_EEDaS1K_S1L_EUlS1K_E_NS1_11comp_targetILNS1_3genE4ELNS1_11target_archE910ELNS1_3gpuE8ELNS1_3repE0EEENS1_30default_config_static_selectorELNS0_4arch9wavefront6targetE0EEEvSY_
; %bb.0:
	.section	.rodata,"a",@progbits
	.p2align	6, 0x0
	.amdhsa_kernel _ZN7rocprim17ROCPRIM_400000_NS6detail17trampoline_kernelINS0_13select_configILj256ELj13ELNS0_17block_load_methodE3ELS4_3ELS4_3ELNS0_20block_scan_algorithmE0ELj4294967295EEENS1_25partition_config_selectorILNS1_17partition_subalgoE3EjNS0_10empty_typeEbEEZZNS1_14partition_implILS8_3ELb0ES6_jNS0_17counting_iteratorIjlEEPS9_SE_NS0_5tupleIJPjSE_EEENSF_IJSE_SE_EEES9_SG_JZNS1_25segmented_radix_sort_implINS0_14default_configELb0EPKdPdPKlPlN2at6native12_GLOBAL__N_18offset_tEEE10hipError_tPvRmT1_PNSt15iterator_traitsISY_E10value_typeET2_T3_PNSZ_IS14_E10value_typeET4_jRbjT5_S1A_jjP12ihipStream_tbEUljE_EEESV_SW_SX_S14_S18_S1A_T6_T7_T9_mT8_S1C_bDpT10_ENKUlT_T0_E_clISt17integral_constantIbLb1EES1P_EEDaS1K_S1L_EUlS1K_E_NS1_11comp_targetILNS1_3genE4ELNS1_11target_archE910ELNS1_3gpuE8ELNS1_3repE0EEENS1_30default_config_static_selectorELNS0_4arch9wavefront6targetE0EEEvSY_
		.amdhsa_group_segment_fixed_size 0
		.amdhsa_private_segment_fixed_size 0
		.amdhsa_kernarg_size 152
		.amdhsa_user_sgpr_count 6
		.amdhsa_user_sgpr_private_segment_buffer 1
		.amdhsa_user_sgpr_dispatch_ptr 0
		.amdhsa_user_sgpr_queue_ptr 0
		.amdhsa_user_sgpr_kernarg_segment_ptr 1
		.amdhsa_user_sgpr_dispatch_id 0
		.amdhsa_user_sgpr_flat_scratch_init 0
		.amdhsa_user_sgpr_private_segment_size 0
		.amdhsa_wavefront_size32 1
		.amdhsa_uses_dynamic_stack 0
		.amdhsa_system_sgpr_private_segment_wavefront_offset 0
		.amdhsa_system_sgpr_workgroup_id_x 1
		.amdhsa_system_sgpr_workgroup_id_y 0
		.amdhsa_system_sgpr_workgroup_id_z 0
		.amdhsa_system_sgpr_workgroup_info 0
		.amdhsa_system_vgpr_workitem_id 0
		.amdhsa_next_free_vgpr 1
		.amdhsa_next_free_sgpr 1
		.amdhsa_reserve_vcc 0
		.amdhsa_reserve_flat_scratch 0
		.amdhsa_float_round_mode_32 0
		.amdhsa_float_round_mode_16_64 0
		.amdhsa_float_denorm_mode_32 3
		.amdhsa_float_denorm_mode_16_64 3
		.amdhsa_dx10_clamp 1
		.amdhsa_ieee_mode 1
		.amdhsa_fp16_overflow 0
		.amdhsa_workgroup_processor_mode 1
		.amdhsa_memory_ordered 1
		.amdhsa_forward_progress 1
		.amdhsa_shared_vgpr_count 0
		.amdhsa_exception_fp_ieee_invalid_op 0
		.amdhsa_exception_fp_denorm_src 0
		.amdhsa_exception_fp_ieee_div_zero 0
		.amdhsa_exception_fp_ieee_overflow 0
		.amdhsa_exception_fp_ieee_underflow 0
		.amdhsa_exception_fp_ieee_inexact 0
		.amdhsa_exception_int_div_zero 0
	.end_amdhsa_kernel
	.section	.text._ZN7rocprim17ROCPRIM_400000_NS6detail17trampoline_kernelINS0_13select_configILj256ELj13ELNS0_17block_load_methodE3ELS4_3ELS4_3ELNS0_20block_scan_algorithmE0ELj4294967295EEENS1_25partition_config_selectorILNS1_17partition_subalgoE3EjNS0_10empty_typeEbEEZZNS1_14partition_implILS8_3ELb0ES6_jNS0_17counting_iteratorIjlEEPS9_SE_NS0_5tupleIJPjSE_EEENSF_IJSE_SE_EEES9_SG_JZNS1_25segmented_radix_sort_implINS0_14default_configELb0EPKdPdPKlPlN2at6native12_GLOBAL__N_18offset_tEEE10hipError_tPvRmT1_PNSt15iterator_traitsISY_E10value_typeET2_T3_PNSZ_IS14_E10value_typeET4_jRbjT5_S1A_jjP12ihipStream_tbEUljE_EEESV_SW_SX_S14_S18_S1A_T6_T7_T9_mT8_S1C_bDpT10_ENKUlT_T0_E_clISt17integral_constantIbLb1EES1P_EEDaS1K_S1L_EUlS1K_E_NS1_11comp_targetILNS1_3genE4ELNS1_11target_archE910ELNS1_3gpuE8ELNS1_3repE0EEENS1_30default_config_static_selectorELNS0_4arch9wavefront6targetE0EEEvSY_,"axG",@progbits,_ZN7rocprim17ROCPRIM_400000_NS6detail17trampoline_kernelINS0_13select_configILj256ELj13ELNS0_17block_load_methodE3ELS4_3ELS4_3ELNS0_20block_scan_algorithmE0ELj4294967295EEENS1_25partition_config_selectorILNS1_17partition_subalgoE3EjNS0_10empty_typeEbEEZZNS1_14partition_implILS8_3ELb0ES6_jNS0_17counting_iteratorIjlEEPS9_SE_NS0_5tupleIJPjSE_EEENSF_IJSE_SE_EEES9_SG_JZNS1_25segmented_radix_sort_implINS0_14default_configELb0EPKdPdPKlPlN2at6native12_GLOBAL__N_18offset_tEEE10hipError_tPvRmT1_PNSt15iterator_traitsISY_E10value_typeET2_T3_PNSZ_IS14_E10value_typeET4_jRbjT5_S1A_jjP12ihipStream_tbEUljE_EEESV_SW_SX_S14_S18_S1A_T6_T7_T9_mT8_S1C_bDpT10_ENKUlT_T0_E_clISt17integral_constantIbLb1EES1P_EEDaS1K_S1L_EUlS1K_E_NS1_11comp_targetILNS1_3genE4ELNS1_11target_archE910ELNS1_3gpuE8ELNS1_3repE0EEENS1_30default_config_static_selectorELNS0_4arch9wavefront6targetE0EEEvSY_,comdat
.Lfunc_end1191:
	.size	_ZN7rocprim17ROCPRIM_400000_NS6detail17trampoline_kernelINS0_13select_configILj256ELj13ELNS0_17block_load_methodE3ELS4_3ELS4_3ELNS0_20block_scan_algorithmE0ELj4294967295EEENS1_25partition_config_selectorILNS1_17partition_subalgoE3EjNS0_10empty_typeEbEEZZNS1_14partition_implILS8_3ELb0ES6_jNS0_17counting_iteratorIjlEEPS9_SE_NS0_5tupleIJPjSE_EEENSF_IJSE_SE_EEES9_SG_JZNS1_25segmented_radix_sort_implINS0_14default_configELb0EPKdPdPKlPlN2at6native12_GLOBAL__N_18offset_tEEE10hipError_tPvRmT1_PNSt15iterator_traitsISY_E10value_typeET2_T3_PNSZ_IS14_E10value_typeET4_jRbjT5_S1A_jjP12ihipStream_tbEUljE_EEESV_SW_SX_S14_S18_S1A_T6_T7_T9_mT8_S1C_bDpT10_ENKUlT_T0_E_clISt17integral_constantIbLb1EES1P_EEDaS1K_S1L_EUlS1K_E_NS1_11comp_targetILNS1_3genE4ELNS1_11target_archE910ELNS1_3gpuE8ELNS1_3repE0EEENS1_30default_config_static_selectorELNS0_4arch9wavefront6targetE0EEEvSY_, .Lfunc_end1191-_ZN7rocprim17ROCPRIM_400000_NS6detail17trampoline_kernelINS0_13select_configILj256ELj13ELNS0_17block_load_methodE3ELS4_3ELS4_3ELNS0_20block_scan_algorithmE0ELj4294967295EEENS1_25partition_config_selectorILNS1_17partition_subalgoE3EjNS0_10empty_typeEbEEZZNS1_14partition_implILS8_3ELb0ES6_jNS0_17counting_iteratorIjlEEPS9_SE_NS0_5tupleIJPjSE_EEENSF_IJSE_SE_EEES9_SG_JZNS1_25segmented_radix_sort_implINS0_14default_configELb0EPKdPdPKlPlN2at6native12_GLOBAL__N_18offset_tEEE10hipError_tPvRmT1_PNSt15iterator_traitsISY_E10value_typeET2_T3_PNSZ_IS14_E10value_typeET4_jRbjT5_S1A_jjP12ihipStream_tbEUljE_EEESV_SW_SX_S14_S18_S1A_T6_T7_T9_mT8_S1C_bDpT10_ENKUlT_T0_E_clISt17integral_constantIbLb1EES1P_EEDaS1K_S1L_EUlS1K_E_NS1_11comp_targetILNS1_3genE4ELNS1_11target_archE910ELNS1_3gpuE8ELNS1_3repE0EEENS1_30default_config_static_selectorELNS0_4arch9wavefront6targetE0EEEvSY_
                                        ; -- End function
	.set _ZN7rocprim17ROCPRIM_400000_NS6detail17trampoline_kernelINS0_13select_configILj256ELj13ELNS0_17block_load_methodE3ELS4_3ELS4_3ELNS0_20block_scan_algorithmE0ELj4294967295EEENS1_25partition_config_selectorILNS1_17partition_subalgoE3EjNS0_10empty_typeEbEEZZNS1_14partition_implILS8_3ELb0ES6_jNS0_17counting_iteratorIjlEEPS9_SE_NS0_5tupleIJPjSE_EEENSF_IJSE_SE_EEES9_SG_JZNS1_25segmented_radix_sort_implINS0_14default_configELb0EPKdPdPKlPlN2at6native12_GLOBAL__N_18offset_tEEE10hipError_tPvRmT1_PNSt15iterator_traitsISY_E10value_typeET2_T3_PNSZ_IS14_E10value_typeET4_jRbjT5_S1A_jjP12ihipStream_tbEUljE_EEESV_SW_SX_S14_S18_S1A_T6_T7_T9_mT8_S1C_bDpT10_ENKUlT_T0_E_clISt17integral_constantIbLb1EES1P_EEDaS1K_S1L_EUlS1K_E_NS1_11comp_targetILNS1_3genE4ELNS1_11target_archE910ELNS1_3gpuE8ELNS1_3repE0EEENS1_30default_config_static_selectorELNS0_4arch9wavefront6targetE0EEEvSY_.num_vgpr, 0
	.set _ZN7rocprim17ROCPRIM_400000_NS6detail17trampoline_kernelINS0_13select_configILj256ELj13ELNS0_17block_load_methodE3ELS4_3ELS4_3ELNS0_20block_scan_algorithmE0ELj4294967295EEENS1_25partition_config_selectorILNS1_17partition_subalgoE3EjNS0_10empty_typeEbEEZZNS1_14partition_implILS8_3ELb0ES6_jNS0_17counting_iteratorIjlEEPS9_SE_NS0_5tupleIJPjSE_EEENSF_IJSE_SE_EEES9_SG_JZNS1_25segmented_radix_sort_implINS0_14default_configELb0EPKdPdPKlPlN2at6native12_GLOBAL__N_18offset_tEEE10hipError_tPvRmT1_PNSt15iterator_traitsISY_E10value_typeET2_T3_PNSZ_IS14_E10value_typeET4_jRbjT5_S1A_jjP12ihipStream_tbEUljE_EEESV_SW_SX_S14_S18_S1A_T6_T7_T9_mT8_S1C_bDpT10_ENKUlT_T0_E_clISt17integral_constantIbLb1EES1P_EEDaS1K_S1L_EUlS1K_E_NS1_11comp_targetILNS1_3genE4ELNS1_11target_archE910ELNS1_3gpuE8ELNS1_3repE0EEENS1_30default_config_static_selectorELNS0_4arch9wavefront6targetE0EEEvSY_.num_agpr, 0
	.set _ZN7rocprim17ROCPRIM_400000_NS6detail17trampoline_kernelINS0_13select_configILj256ELj13ELNS0_17block_load_methodE3ELS4_3ELS4_3ELNS0_20block_scan_algorithmE0ELj4294967295EEENS1_25partition_config_selectorILNS1_17partition_subalgoE3EjNS0_10empty_typeEbEEZZNS1_14partition_implILS8_3ELb0ES6_jNS0_17counting_iteratorIjlEEPS9_SE_NS0_5tupleIJPjSE_EEENSF_IJSE_SE_EEES9_SG_JZNS1_25segmented_radix_sort_implINS0_14default_configELb0EPKdPdPKlPlN2at6native12_GLOBAL__N_18offset_tEEE10hipError_tPvRmT1_PNSt15iterator_traitsISY_E10value_typeET2_T3_PNSZ_IS14_E10value_typeET4_jRbjT5_S1A_jjP12ihipStream_tbEUljE_EEESV_SW_SX_S14_S18_S1A_T6_T7_T9_mT8_S1C_bDpT10_ENKUlT_T0_E_clISt17integral_constantIbLb1EES1P_EEDaS1K_S1L_EUlS1K_E_NS1_11comp_targetILNS1_3genE4ELNS1_11target_archE910ELNS1_3gpuE8ELNS1_3repE0EEENS1_30default_config_static_selectorELNS0_4arch9wavefront6targetE0EEEvSY_.numbered_sgpr, 0
	.set _ZN7rocprim17ROCPRIM_400000_NS6detail17trampoline_kernelINS0_13select_configILj256ELj13ELNS0_17block_load_methodE3ELS4_3ELS4_3ELNS0_20block_scan_algorithmE0ELj4294967295EEENS1_25partition_config_selectorILNS1_17partition_subalgoE3EjNS0_10empty_typeEbEEZZNS1_14partition_implILS8_3ELb0ES6_jNS0_17counting_iteratorIjlEEPS9_SE_NS0_5tupleIJPjSE_EEENSF_IJSE_SE_EEES9_SG_JZNS1_25segmented_radix_sort_implINS0_14default_configELb0EPKdPdPKlPlN2at6native12_GLOBAL__N_18offset_tEEE10hipError_tPvRmT1_PNSt15iterator_traitsISY_E10value_typeET2_T3_PNSZ_IS14_E10value_typeET4_jRbjT5_S1A_jjP12ihipStream_tbEUljE_EEESV_SW_SX_S14_S18_S1A_T6_T7_T9_mT8_S1C_bDpT10_ENKUlT_T0_E_clISt17integral_constantIbLb1EES1P_EEDaS1K_S1L_EUlS1K_E_NS1_11comp_targetILNS1_3genE4ELNS1_11target_archE910ELNS1_3gpuE8ELNS1_3repE0EEENS1_30default_config_static_selectorELNS0_4arch9wavefront6targetE0EEEvSY_.num_named_barrier, 0
	.set _ZN7rocprim17ROCPRIM_400000_NS6detail17trampoline_kernelINS0_13select_configILj256ELj13ELNS0_17block_load_methodE3ELS4_3ELS4_3ELNS0_20block_scan_algorithmE0ELj4294967295EEENS1_25partition_config_selectorILNS1_17partition_subalgoE3EjNS0_10empty_typeEbEEZZNS1_14partition_implILS8_3ELb0ES6_jNS0_17counting_iteratorIjlEEPS9_SE_NS0_5tupleIJPjSE_EEENSF_IJSE_SE_EEES9_SG_JZNS1_25segmented_radix_sort_implINS0_14default_configELb0EPKdPdPKlPlN2at6native12_GLOBAL__N_18offset_tEEE10hipError_tPvRmT1_PNSt15iterator_traitsISY_E10value_typeET2_T3_PNSZ_IS14_E10value_typeET4_jRbjT5_S1A_jjP12ihipStream_tbEUljE_EEESV_SW_SX_S14_S18_S1A_T6_T7_T9_mT8_S1C_bDpT10_ENKUlT_T0_E_clISt17integral_constantIbLb1EES1P_EEDaS1K_S1L_EUlS1K_E_NS1_11comp_targetILNS1_3genE4ELNS1_11target_archE910ELNS1_3gpuE8ELNS1_3repE0EEENS1_30default_config_static_selectorELNS0_4arch9wavefront6targetE0EEEvSY_.private_seg_size, 0
	.set _ZN7rocprim17ROCPRIM_400000_NS6detail17trampoline_kernelINS0_13select_configILj256ELj13ELNS0_17block_load_methodE3ELS4_3ELS4_3ELNS0_20block_scan_algorithmE0ELj4294967295EEENS1_25partition_config_selectorILNS1_17partition_subalgoE3EjNS0_10empty_typeEbEEZZNS1_14partition_implILS8_3ELb0ES6_jNS0_17counting_iteratorIjlEEPS9_SE_NS0_5tupleIJPjSE_EEENSF_IJSE_SE_EEES9_SG_JZNS1_25segmented_radix_sort_implINS0_14default_configELb0EPKdPdPKlPlN2at6native12_GLOBAL__N_18offset_tEEE10hipError_tPvRmT1_PNSt15iterator_traitsISY_E10value_typeET2_T3_PNSZ_IS14_E10value_typeET4_jRbjT5_S1A_jjP12ihipStream_tbEUljE_EEESV_SW_SX_S14_S18_S1A_T6_T7_T9_mT8_S1C_bDpT10_ENKUlT_T0_E_clISt17integral_constantIbLb1EES1P_EEDaS1K_S1L_EUlS1K_E_NS1_11comp_targetILNS1_3genE4ELNS1_11target_archE910ELNS1_3gpuE8ELNS1_3repE0EEENS1_30default_config_static_selectorELNS0_4arch9wavefront6targetE0EEEvSY_.uses_vcc, 0
	.set _ZN7rocprim17ROCPRIM_400000_NS6detail17trampoline_kernelINS0_13select_configILj256ELj13ELNS0_17block_load_methodE3ELS4_3ELS4_3ELNS0_20block_scan_algorithmE0ELj4294967295EEENS1_25partition_config_selectorILNS1_17partition_subalgoE3EjNS0_10empty_typeEbEEZZNS1_14partition_implILS8_3ELb0ES6_jNS0_17counting_iteratorIjlEEPS9_SE_NS0_5tupleIJPjSE_EEENSF_IJSE_SE_EEES9_SG_JZNS1_25segmented_radix_sort_implINS0_14default_configELb0EPKdPdPKlPlN2at6native12_GLOBAL__N_18offset_tEEE10hipError_tPvRmT1_PNSt15iterator_traitsISY_E10value_typeET2_T3_PNSZ_IS14_E10value_typeET4_jRbjT5_S1A_jjP12ihipStream_tbEUljE_EEESV_SW_SX_S14_S18_S1A_T6_T7_T9_mT8_S1C_bDpT10_ENKUlT_T0_E_clISt17integral_constantIbLb1EES1P_EEDaS1K_S1L_EUlS1K_E_NS1_11comp_targetILNS1_3genE4ELNS1_11target_archE910ELNS1_3gpuE8ELNS1_3repE0EEENS1_30default_config_static_selectorELNS0_4arch9wavefront6targetE0EEEvSY_.uses_flat_scratch, 0
	.set _ZN7rocprim17ROCPRIM_400000_NS6detail17trampoline_kernelINS0_13select_configILj256ELj13ELNS0_17block_load_methodE3ELS4_3ELS4_3ELNS0_20block_scan_algorithmE0ELj4294967295EEENS1_25partition_config_selectorILNS1_17partition_subalgoE3EjNS0_10empty_typeEbEEZZNS1_14partition_implILS8_3ELb0ES6_jNS0_17counting_iteratorIjlEEPS9_SE_NS0_5tupleIJPjSE_EEENSF_IJSE_SE_EEES9_SG_JZNS1_25segmented_radix_sort_implINS0_14default_configELb0EPKdPdPKlPlN2at6native12_GLOBAL__N_18offset_tEEE10hipError_tPvRmT1_PNSt15iterator_traitsISY_E10value_typeET2_T3_PNSZ_IS14_E10value_typeET4_jRbjT5_S1A_jjP12ihipStream_tbEUljE_EEESV_SW_SX_S14_S18_S1A_T6_T7_T9_mT8_S1C_bDpT10_ENKUlT_T0_E_clISt17integral_constantIbLb1EES1P_EEDaS1K_S1L_EUlS1K_E_NS1_11comp_targetILNS1_3genE4ELNS1_11target_archE910ELNS1_3gpuE8ELNS1_3repE0EEENS1_30default_config_static_selectorELNS0_4arch9wavefront6targetE0EEEvSY_.has_dyn_sized_stack, 0
	.set _ZN7rocprim17ROCPRIM_400000_NS6detail17trampoline_kernelINS0_13select_configILj256ELj13ELNS0_17block_load_methodE3ELS4_3ELS4_3ELNS0_20block_scan_algorithmE0ELj4294967295EEENS1_25partition_config_selectorILNS1_17partition_subalgoE3EjNS0_10empty_typeEbEEZZNS1_14partition_implILS8_3ELb0ES6_jNS0_17counting_iteratorIjlEEPS9_SE_NS0_5tupleIJPjSE_EEENSF_IJSE_SE_EEES9_SG_JZNS1_25segmented_radix_sort_implINS0_14default_configELb0EPKdPdPKlPlN2at6native12_GLOBAL__N_18offset_tEEE10hipError_tPvRmT1_PNSt15iterator_traitsISY_E10value_typeET2_T3_PNSZ_IS14_E10value_typeET4_jRbjT5_S1A_jjP12ihipStream_tbEUljE_EEESV_SW_SX_S14_S18_S1A_T6_T7_T9_mT8_S1C_bDpT10_ENKUlT_T0_E_clISt17integral_constantIbLb1EES1P_EEDaS1K_S1L_EUlS1K_E_NS1_11comp_targetILNS1_3genE4ELNS1_11target_archE910ELNS1_3gpuE8ELNS1_3repE0EEENS1_30default_config_static_selectorELNS0_4arch9wavefront6targetE0EEEvSY_.has_recursion, 0
	.set _ZN7rocprim17ROCPRIM_400000_NS6detail17trampoline_kernelINS0_13select_configILj256ELj13ELNS0_17block_load_methodE3ELS4_3ELS4_3ELNS0_20block_scan_algorithmE0ELj4294967295EEENS1_25partition_config_selectorILNS1_17partition_subalgoE3EjNS0_10empty_typeEbEEZZNS1_14partition_implILS8_3ELb0ES6_jNS0_17counting_iteratorIjlEEPS9_SE_NS0_5tupleIJPjSE_EEENSF_IJSE_SE_EEES9_SG_JZNS1_25segmented_radix_sort_implINS0_14default_configELb0EPKdPdPKlPlN2at6native12_GLOBAL__N_18offset_tEEE10hipError_tPvRmT1_PNSt15iterator_traitsISY_E10value_typeET2_T3_PNSZ_IS14_E10value_typeET4_jRbjT5_S1A_jjP12ihipStream_tbEUljE_EEESV_SW_SX_S14_S18_S1A_T6_T7_T9_mT8_S1C_bDpT10_ENKUlT_T0_E_clISt17integral_constantIbLb1EES1P_EEDaS1K_S1L_EUlS1K_E_NS1_11comp_targetILNS1_3genE4ELNS1_11target_archE910ELNS1_3gpuE8ELNS1_3repE0EEENS1_30default_config_static_selectorELNS0_4arch9wavefront6targetE0EEEvSY_.has_indirect_call, 0
	.section	.AMDGPU.csdata,"",@progbits
; Kernel info:
; codeLenInByte = 0
; TotalNumSgprs: 0
; NumVgprs: 0
; ScratchSize: 0
; MemoryBound: 0
; FloatMode: 240
; IeeeMode: 1
; LDSByteSize: 0 bytes/workgroup (compile time only)
; SGPRBlocks: 0
; VGPRBlocks: 0
; NumSGPRsForWavesPerEU: 1
; NumVGPRsForWavesPerEU: 1
; Occupancy: 16
; WaveLimiterHint : 0
; COMPUTE_PGM_RSRC2:SCRATCH_EN: 0
; COMPUTE_PGM_RSRC2:USER_SGPR: 6
; COMPUTE_PGM_RSRC2:TRAP_HANDLER: 0
; COMPUTE_PGM_RSRC2:TGID_X_EN: 1
; COMPUTE_PGM_RSRC2:TGID_Y_EN: 0
; COMPUTE_PGM_RSRC2:TGID_Z_EN: 0
; COMPUTE_PGM_RSRC2:TIDIG_COMP_CNT: 0
	.section	.text._ZN7rocprim17ROCPRIM_400000_NS6detail17trampoline_kernelINS0_13select_configILj256ELj13ELNS0_17block_load_methodE3ELS4_3ELS4_3ELNS0_20block_scan_algorithmE0ELj4294967295EEENS1_25partition_config_selectorILNS1_17partition_subalgoE3EjNS0_10empty_typeEbEEZZNS1_14partition_implILS8_3ELb0ES6_jNS0_17counting_iteratorIjlEEPS9_SE_NS0_5tupleIJPjSE_EEENSF_IJSE_SE_EEES9_SG_JZNS1_25segmented_radix_sort_implINS0_14default_configELb0EPKdPdPKlPlN2at6native12_GLOBAL__N_18offset_tEEE10hipError_tPvRmT1_PNSt15iterator_traitsISY_E10value_typeET2_T3_PNSZ_IS14_E10value_typeET4_jRbjT5_S1A_jjP12ihipStream_tbEUljE_EEESV_SW_SX_S14_S18_S1A_T6_T7_T9_mT8_S1C_bDpT10_ENKUlT_T0_E_clISt17integral_constantIbLb1EES1P_EEDaS1K_S1L_EUlS1K_E_NS1_11comp_targetILNS1_3genE3ELNS1_11target_archE908ELNS1_3gpuE7ELNS1_3repE0EEENS1_30default_config_static_selectorELNS0_4arch9wavefront6targetE0EEEvSY_,"axG",@progbits,_ZN7rocprim17ROCPRIM_400000_NS6detail17trampoline_kernelINS0_13select_configILj256ELj13ELNS0_17block_load_methodE3ELS4_3ELS4_3ELNS0_20block_scan_algorithmE0ELj4294967295EEENS1_25partition_config_selectorILNS1_17partition_subalgoE3EjNS0_10empty_typeEbEEZZNS1_14partition_implILS8_3ELb0ES6_jNS0_17counting_iteratorIjlEEPS9_SE_NS0_5tupleIJPjSE_EEENSF_IJSE_SE_EEES9_SG_JZNS1_25segmented_radix_sort_implINS0_14default_configELb0EPKdPdPKlPlN2at6native12_GLOBAL__N_18offset_tEEE10hipError_tPvRmT1_PNSt15iterator_traitsISY_E10value_typeET2_T3_PNSZ_IS14_E10value_typeET4_jRbjT5_S1A_jjP12ihipStream_tbEUljE_EEESV_SW_SX_S14_S18_S1A_T6_T7_T9_mT8_S1C_bDpT10_ENKUlT_T0_E_clISt17integral_constantIbLb1EES1P_EEDaS1K_S1L_EUlS1K_E_NS1_11comp_targetILNS1_3genE3ELNS1_11target_archE908ELNS1_3gpuE7ELNS1_3repE0EEENS1_30default_config_static_selectorELNS0_4arch9wavefront6targetE0EEEvSY_,comdat
	.globl	_ZN7rocprim17ROCPRIM_400000_NS6detail17trampoline_kernelINS0_13select_configILj256ELj13ELNS0_17block_load_methodE3ELS4_3ELS4_3ELNS0_20block_scan_algorithmE0ELj4294967295EEENS1_25partition_config_selectorILNS1_17partition_subalgoE3EjNS0_10empty_typeEbEEZZNS1_14partition_implILS8_3ELb0ES6_jNS0_17counting_iteratorIjlEEPS9_SE_NS0_5tupleIJPjSE_EEENSF_IJSE_SE_EEES9_SG_JZNS1_25segmented_radix_sort_implINS0_14default_configELb0EPKdPdPKlPlN2at6native12_GLOBAL__N_18offset_tEEE10hipError_tPvRmT1_PNSt15iterator_traitsISY_E10value_typeET2_T3_PNSZ_IS14_E10value_typeET4_jRbjT5_S1A_jjP12ihipStream_tbEUljE_EEESV_SW_SX_S14_S18_S1A_T6_T7_T9_mT8_S1C_bDpT10_ENKUlT_T0_E_clISt17integral_constantIbLb1EES1P_EEDaS1K_S1L_EUlS1K_E_NS1_11comp_targetILNS1_3genE3ELNS1_11target_archE908ELNS1_3gpuE7ELNS1_3repE0EEENS1_30default_config_static_selectorELNS0_4arch9wavefront6targetE0EEEvSY_ ; -- Begin function _ZN7rocprim17ROCPRIM_400000_NS6detail17trampoline_kernelINS0_13select_configILj256ELj13ELNS0_17block_load_methodE3ELS4_3ELS4_3ELNS0_20block_scan_algorithmE0ELj4294967295EEENS1_25partition_config_selectorILNS1_17partition_subalgoE3EjNS0_10empty_typeEbEEZZNS1_14partition_implILS8_3ELb0ES6_jNS0_17counting_iteratorIjlEEPS9_SE_NS0_5tupleIJPjSE_EEENSF_IJSE_SE_EEES9_SG_JZNS1_25segmented_radix_sort_implINS0_14default_configELb0EPKdPdPKlPlN2at6native12_GLOBAL__N_18offset_tEEE10hipError_tPvRmT1_PNSt15iterator_traitsISY_E10value_typeET2_T3_PNSZ_IS14_E10value_typeET4_jRbjT5_S1A_jjP12ihipStream_tbEUljE_EEESV_SW_SX_S14_S18_S1A_T6_T7_T9_mT8_S1C_bDpT10_ENKUlT_T0_E_clISt17integral_constantIbLb1EES1P_EEDaS1K_S1L_EUlS1K_E_NS1_11comp_targetILNS1_3genE3ELNS1_11target_archE908ELNS1_3gpuE7ELNS1_3repE0EEENS1_30default_config_static_selectorELNS0_4arch9wavefront6targetE0EEEvSY_
	.p2align	8
	.type	_ZN7rocprim17ROCPRIM_400000_NS6detail17trampoline_kernelINS0_13select_configILj256ELj13ELNS0_17block_load_methodE3ELS4_3ELS4_3ELNS0_20block_scan_algorithmE0ELj4294967295EEENS1_25partition_config_selectorILNS1_17partition_subalgoE3EjNS0_10empty_typeEbEEZZNS1_14partition_implILS8_3ELb0ES6_jNS0_17counting_iteratorIjlEEPS9_SE_NS0_5tupleIJPjSE_EEENSF_IJSE_SE_EEES9_SG_JZNS1_25segmented_radix_sort_implINS0_14default_configELb0EPKdPdPKlPlN2at6native12_GLOBAL__N_18offset_tEEE10hipError_tPvRmT1_PNSt15iterator_traitsISY_E10value_typeET2_T3_PNSZ_IS14_E10value_typeET4_jRbjT5_S1A_jjP12ihipStream_tbEUljE_EEESV_SW_SX_S14_S18_S1A_T6_T7_T9_mT8_S1C_bDpT10_ENKUlT_T0_E_clISt17integral_constantIbLb1EES1P_EEDaS1K_S1L_EUlS1K_E_NS1_11comp_targetILNS1_3genE3ELNS1_11target_archE908ELNS1_3gpuE7ELNS1_3repE0EEENS1_30default_config_static_selectorELNS0_4arch9wavefront6targetE0EEEvSY_,@function
_ZN7rocprim17ROCPRIM_400000_NS6detail17trampoline_kernelINS0_13select_configILj256ELj13ELNS0_17block_load_methodE3ELS4_3ELS4_3ELNS0_20block_scan_algorithmE0ELj4294967295EEENS1_25partition_config_selectorILNS1_17partition_subalgoE3EjNS0_10empty_typeEbEEZZNS1_14partition_implILS8_3ELb0ES6_jNS0_17counting_iteratorIjlEEPS9_SE_NS0_5tupleIJPjSE_EEENSF_IJSE_SE_EEES9_SG_JZNS1_25segmented_radix_sort_implINS0_14default_configELb0EPKdPdPKlPlN2at6native12_GLOBAL__N_18offset_tEEE10hipError_tPvRmT1_PNSt15iterator_traitsISY_E10value_typeET2_T3_PNSZ_IS14_E10value_typeET4_jRbjT5_S1A_jjP12ihipStream_tbEUljE_EEESV_SW_SX_S14_S18_S1A_T6_T7_T9_mT8_S1C_bDpT10_ENKUlT_T0_E_clISt17integral_constantIbLb1EES1P_EEDaS1K_S1L_EUlS1K_E_NS1_11comp_targetILNS1_3genE3ELNS1_11target_archE908ELNS1_3gpuE7ELNS1_3repE0EEENS1_30default_config_static_selectorELNS0_4arch9wavefront6targetE0EEEvSY_: ; @_ZN7rocprim17ROCPRIM_400000_NS6detail17trampoline_kernelINS0_13select_configILj256ELj13ELNS0_17block_load_methodE3ELS4_3ELS4_3ELNS0_20block_scan_algorithmE0ELj4294967295EEENS1_25partition_config_selectorILNS1_17partition_subalgoE3EjNS0_10empty_typeEbEEZZNS1_14partition_implILS8_3ELb0ES6_jNS0_17counting_iteratorIjlEEPS9_SE_NS0_5tupleIJPjSE_EEENSF_IJSE_SE_EEES9_SG_JZNS1_25segmented_radix_sort_implINS0_14default_configELb0EPKdPdPKlPlN2at6native12_GLOBAL__N_18offset_tEEE10hipError_tPvRmT1_PNSt15iterator_traitsISY_E10value_typeET2_T3_PNSZ_IS14_E10value_typeET4_jRbjT5_S1A_jjP12ihipStream_tbEUljE_EEESV_SW_SX_S14_S18_S1A_T6_T7_T9_mT8_S1C_bDpT10_ENKUlT_T0_E_clISt17integral_constantIbLb1EES1P_EEDaS1K_S1L_EUlS1K_E_NS1_11comp_targetILNS1_3genE3ELNS1_11target_archE908ELNS1_3gpuE7ELNS1_3repE0EEENS1_30default_config_static_selectorELNS0_4arch9wavefront6targetE0EEEvSY_
; %bb.0:
	.section	.rodata,"a",@progbits
	.p2align	6, 0x0
	.amdhsa_kernel _ZN7rocprim17ROCPRIM_400000_NS6detail17trampoline_kernelINS0_13select_configILj256ELj13ELNS0_17block_load_methodE3ELS4_3ELS4_3ELNS0_20block_scan_algorithmE0ELj4294967295EEENS1_25partition_config_selectorILNS1_17partition_subalgoE3EjNS0_10empty_typeEbEEZZNS1_14partition_implILS8_3ELb0ES6_jNS0_17counting_iteratorIjlEEPS9_SE_NS0_5tupleIJPjSE_EEENSF_IJSE_SE_EEES9_SG_JZNS1_25segmented_radix_sort_implINS0_14default_configELb0EPKdPdPKlPlN2at6native12_GLOBAL__N_18offset_tEEE10hipError_tPvRmT1_PNSt15iterator_traitsISY_E10value_typeET2_T3_PNSZ_IS14_E10value_typeET4_jRbjT5_S1A_jjP12ihipStream_tbEUljE_EEESV_SW_SX_S14_S18_S1A_T6_T7_T9_mT8_S1C_bDpT10_ENKUlT_T0_E_clISt17integral_constantIbLb1EES1P_EEDaS1K_S1L_EUlS1K_E_NS1_11comp_targetILNS1_3genE3ELNS1_11target_archE908ELNS1_3gpuE7ELNS1_3repE0EEENS1_30default_config_static_selectorELNS0_4arch9wavefront6targetE0EEEvSY_
		.amdhsa_group_segment_fixed_size 0
		.amdhsa_private_segment_fixed_size 0
		.amdhsa_kernarg_size 152
		.amdhsa_user_sgpr_count 6
		.amdhsa_user_sgpr_private_segment_buffer 1
		.amdhsa_user_sgpr_dispatch_ptr 0
		.amdhsa_user_sgpr_queue_ptr 0
		.amdhsa_user_sgpr_kernarg_segment_ptr 1
		.amdhsa_user_sgpr_dispatch_id 0
		.amdhsa_user_sgpr_flat_scratch_init 0
		.amdhsa_user_sgpr_private_segment_size 0
		.amdhsa_wavefront_size32 1
		.amdhsa_uses_dynamic_stack 0
		.amdhsa_system_sgpr_private_segment_wavefront_offset 0
		.amdhsa_system_sgpr_workgroup_id_x 1
		.amdhsa_system_sgpr_workgroup_id_y 0
		.amdhsa_system_sgpr_workgroup_id_z 0
		.amdhsa_system_sgpr_workgroup_info 0
		.amdhsa_system_vgpr_workitem_id 0
		.amdhsa_next_free_vgpr 1
		.amdhsa_next_free_sgpr 1
		.amdhsa_reserve_vcc 0
		.amdhsa_reserve_flat_scratch 0
		.amdhsa_float_round_mode_32 0
		.amdhsa_float_round_mode_16_64 0
		.amdhsa_float_denorm_mode_32 3
		.amdhsa_float_denorm_mode_16_64 3
		.amdhsa_dx10_clamp 1
		.amdhsa_ieee_mode 1
		.amdhsa_fp16_overflow 0
		.amdhsa_workgroup_processor_mode 1
		.amdhsa_memory_ordered 1
		.amdhsa_forward_progress 1
		.amdhsa_shared_vgpr_count 0
		.amdhsa_exception_fp_ieee_invalid_op 0
		.amdhsa_exception_fp_denorm_src 0
		.amdhsa_exception_fp_ieee_div_zero 0
		.amdhsa_exception_fp_ieee_overflow 0
		.amdhsa_exception_fp_ieee_underflow 0
		.amdhsa_exception_fp_ieee_inexact 0
		.amdhsa_exception_int_div_zero 0
	.end_amdhsa_kernel
	.section	.text._ZN7rocprim17ROCPRIM_400000_NS6detail17trampoline_kernelINS0_13select_configILj256ELj13ELNS0_17block_load_methodE3ELS4_3ELS4_3ELNS0_20block_scan_algorithmE0ELj4294967295EEENS1_25partition_config_selectorILNS1_17partition_subalgoE3EjNS0_10empty_typeEbEEZZNS1_14partition_implILS8_3ELb0ES6_jNS0_17counting_iteratorIjlEEPS9_SE_NS0_5tupleIJPjSE_EEENSF_IJSE_SE_EEES9_SG_JZNS1_25segmented_radix_sort_implINS0_14default_configELb0EPKdPdPKlPlN2at6native12_GLOBAL__N_18offset_tEEE10hipError_tPvRmT1_PNSt15iterator_traitsISY_E10value_typeET2_T3_PNSZ_IS14_E10value_typeET4_jRbjT5_S1A_jjP12ihipStream_tbEUljE_EEESV_SW_SX_S14_S18_S1A_T6_T7_T9_mT8_S1C_bDpT10_ENKUlT_T0_E_clISt17integral_constantIbLb1EES1P_EEDaS1K_S1L_EUlS1K_E_NS1_11comp_targetILNS1_3genE3ELNS1_11target_archE908ELNS1_3gpuE7ELNS1_3repE0EEENS1_30default_config_static_selectorELNS0_4arch9wavefront6targetE0EEEvSY_,"axG",@progbits,_ZN7rocprim17ROCPRIM_400000_NS6detail17trampoline_kernelINS0_13select_configILj256ELj13ELNS0_17block_load_methodE3ELS4_3ELS4_3ELNS0_20block_scan_algorithmE0ELj4294967295EEENS1_25partition_config_selectorILNS1_17partition_subalgoE3EjNS0_10empty_typeEbEEZZNS1_14partition_implILS8_3ELb0ES6_jNS0_17counting_iteratorIjlEEPS9_SE_NS0_5tupleIJPjSE_EEENSF_IJSE_SE_EEES9_SG_JZNS1_25segmented_radix_sort_implINS0_14default_configELb0EPKdPdPKlPlN2at6native12_GLOBAL__N_18offset_tEEE10hipError_tPvRmT1_PNSt15iterator_traitsISY_E10value_typeET2_T3_PNSZ_IS14_E10value_typeET4_jRbjT5_S1A_jjP12ihipStream_tbEUljE_EEESV_SW_SX_S14_S18_S1A_T6_T7_T9_mT8_S1C_bDpT10_ENKUlT_T0_E_clISt17integral_constantIbLb1EES1P_EEDaS1K_S1L_EUlS1K_E_NS1_11comp_targetILNS1_3genE3ELNS1_11target_archE908ELNS1_3gpuE7ELNS1_3repE0EEENS1_30default_config_static_selectorELNS0_4arch9wavefront6targetE0EEEvSY_,comdat
.Lfunc_end1192:
	.size	_ZN7rocprim17ROCPRIM_400000_NS6detail17trampoline_kernelINS0_13select_configILj256ELj13ELNS0_17block_load_methodE3ELS4_3ELS4_3ELNS0_20block_scan_algorithmE0ELj4294967295EEENS1_25partition_config_selectorILNS1_17partition_subalgoE3EjNS0_10empty_typeEbEEZZNS1_14partition_implILS8_3ELb0ES6_jNS0_17counting_iteratorIjlEEPS9_SE_NS0_5tupleIJPjSE_EEENSF_IJSE_SE_EEES9_SG_JZNS1_25segmented_radix_sort_implINS0_14default_configELb0EPKdPdPKlPlN2at6native12_GLOBAL__N_18offset_tEEE10hipError_tPvRmT1_PNSt15iterator_traitsISY_E10value_typeET2_T3_PNSZ_IS14_E10value_typeET4_jRbjT5_S1A_jjP12ihipStream_tbEUljE_EEESV_SW_SX_S14_S18_S1A_T6_T7_T9_mT8_S1C_bDpT10_ENKUlT_T0_E_clISt17integral_constantIbLb1EES1P_EEDaS1K_S1L_EUlS1K_E_NS1_11comp_targetILNS1_3genE3ELNS1_11target_archE908ELNS1_3gpuE7ELNS1_3repE0EEENS1_30default_config_static_selectorELNS0_4arch9wavefront6targetE0EEEvSY_, .Lfunc_end1192-_ZN7rocprim17ROCPRIM_400000_NS6detail17trampoline_kernelINS0_13select_configILj256ELj13ELNS0_17block_load_methodE3ELS4_3ELS4_3ELNS0_20block_scan_algorithmE0ELj4294967295EEENS1_25partition_config_selectorILNS1_17partition_subalgoE3EjNS0_10empty_typeEbEEZZNS1_14partition_implILS8_3ELb0ES6_jNS0_17counting_iteratorIjlEEPS9_SE_NS0_5tupleIJPjSE_EEENSF_IJSE_SE_EEES9_SG_JZNS1_25segmented_radix_sort_implINS0_14default_configELb0EPKdPdPKlPlN2at6native12_GLOBAL__N_18offset_tEEE10hipError_tPvRmT1_PNSt15iterator_traitsISY_E10value_typeET2_T3_PNSZ_IS14_E10value_typeET4_jRbjT5_S1A_jjP12ihipStream_tbEUljE_EEESV_SW_SX_S14_S18_S1A_T6_T7_T9_mT8_S1C_bDpT10_ENKUlT_T0_E_clISt17integral_constantIbLb1EES1P_EEDaS1K_S1L_EUlS1K_E_NS1_11comp_targetILNS1_3genE3ELNS1_11target_archE908ELNS1_3gpuE7ELNS1_3repE0EEENS1_30default_config_static_selectorELNS0_4arch9wavefront6targetE0EEEvSY_
                                        ; -- End function
	.set _ZN7rocprim17ROCPRIM_400000_NS6detail17trampoline_kernelINS0_13select_configILj256ELj13ELNS0_17block_load_methodE3ELS4_3ELS4_3ELNS0_20block_scan_algorithmE0ELj4294967295EEENS1_25partition_config_selectorILNS1_17partition_subalgoE3EjNS0_10empty_typeEbEEZZNS1_14partition_implILS8_3ELb0ES6_jNS0_17counting_iteratorIjlEEPS9_SE_NS0_5tupleIJPjSE_EEENSF_IJSE_SE_EEES9_SG_JZNS1_25segmented_radix_sort_implINS0_14default_configELb0EPKdPdPKlPlN2at6native12_GLOBAL__N_18offset_tEEE10hipError_tPvRmT1_PNSt15iterator_traitsISY_E10value_typeET2_T3_PNSZ_IS14_E10value_typeET4_jRbjT5_S1A_jjP12ihipStream_tbEUljE_EEESV_SW_SX_S14_S18_S1A_T6_T7_T9_mT8_S1C_bDpT10_ENKUlT_T0_E_clISt17integral_constantIbLb1EES1P_EEDaS1K_S1L_EUlS1K_E_NS1_11comp_targetILNS1_3genE3ELNS1_11target_archE908ELNS1_3gpuE7ELNS1_3repE0EEENS1_30default_config_static_selectorELNS0_4arch9wavefront6targetE0EEEvSY_.num_vgpr, 0
	.set _ZN7rocprim17ROCPRIM_400000_NS6detail17trampoline_kernelINS0_13select_configILj256ELj13ELNS0_17block_load_methodE3ELS4_3ELS4_3ELNS0_20block_scan_algorithmE0ELj4294967295EEENS1_25partition_config_selectorILNS1_17partition_subalgoE3EjNS0_10empty_typeEbEEZZNS1_14partition_implILS8_3ELb0ES6_jNS0_17counting_iteratorIjlEEPS9_SE_NS0_5tupleIJPjSE_EEENSF_IJSE_SE_EEES9_SG_JZNS1_25segmented_radix_sort_implINS0_14default_configELb0EPKdPdPKlPlN2at6native12_GLOBAL__N_18offset_tEEE10hipError_tPvRmT1_PNSt15iterator_traitsISY_E10value_typeET2_T3_PNSZ_IS14_E10value_typeET4_jRbjT5_S1A_jjP12ihipStream_tbEUljE_EEESV_SW_SX_S14_S18_S1A_T6_T7_T9_mT8_S1C_bDpT10_ENKUlT_T0_E_clISt17integral_constantIbLb1EES1P_EEDaS1K_S1L_EUlS1K_E_NS1_11comp_targetILNS1_3genE3ELNS1_11target_archE908ELNS1_3gpuE7ELNS1_3repE0EEENS1_30default_config_static_selectorELNS0_4arch9wavefront6targetE0EEEvSY_.num_agpr, 0
	.set _ZN7rocprim17ROCPRIM_400000_NS6detail17trampoline_kernelINS0_13select_configILj256ELj13ELNS0_17block_load_methodE3ELS4_3ELS4_3ELNS0_20block_scan_algorithmE0ELj4294967295EEENS1_25partition_config_selectorILNS1_17partition_subalgoE3EjNS0_10empty_typeEbEEZZNS1_14partition_implILS8_3ELb0ES6_jNS0_17counting_iteratorIjlEEPS9_SE_NS0_5tupleIJPjSE_EEENSF_IJSE_SE_EEES9_SG_JZNS1_25segmented_radix_sort_implINS0_14default_configELb0EPKdPdPKlPlN2at6native12_GLOBAL__N_18offset_tEEE10hipError_tPvRmT1_PNSt15iterator_traitsISY_E10value_typeET2_T3_PNSZ_IS14_E10value_typeET4_jRbjT5_S1A_jjP12ihipStream_tbEUljE_EEESV_SW_SX_S14_S18_S1A_T6_T7_T9_mT8_S1C_bDpT10_ENKUlT_T0_E_clISt17integral_constantIbLb1EES1P_EEDaS1K_S1L_EUlS1K_E_NS1_11comp_targetILNS1_3genE3ELNS1_11target_archE908ELNS1_3gpuE7ELNS1_3repE0EEENS1_30default_config_static_selectorELNS0_4arch9wavefront6targetE0EEEvSY_.numbered_sgpr, 0
	.set _ZN7rocprim17ROCPRIM_400000_NS6detail17trampoline_kernelINS0_13select_configILj256ELj13ELNS0_17block_load_methodE3ELS4_3ELS4_3ELNS0_20block_scan_algorithmE0ELj4294967295EEENS1_25partition_config_selectorILNS1_17partition_subalgoE3EjNS0_10empty_typeEbEEZZNS1_14partition_implILS8_3ELb0ES6_jNS0_17counting_iteratorIjlEEPS9_SE_NS0_5tupleIJPjSE_EEENSF_IJSE_SE_EEES9_SG_JZNS1_25segmented_radix_sort_implINS0_14default_configELb0EPKdPdPKlPlN2at6native12_GLOBAL__N_18offset_tEEE10hipError_tPvRmT1_PNSt15iterator_traitsISY_E10value_typeET2_T3_PNSZ_IS14_E10value_typeET4_jRbjT5_S1A_jjP12ihipStream_tbEUljE_EEESV_SW_SX_S14_S18_S1A_T6_T7_T9_mT8_S1C_bDpT10_ENKUlT_T0_E_clISt17integral_constantIbLb1EES1P_EEDaS1K_S1L_EUlS1K_E_NS1_11comp_targetILNS1_3genE3ELNS1_11target_archE908ELNS1_3gpuE7ELNS1_3repE0EEENS1_30default_config_static_selectorELNS0_4arch9wavefront6targetE0EEEvSY_.num_named_barrier, 0
	.set _ZN7rocprim17ROCPRIM_400000_NS6detail17trampoline_kernelINS0_13select_configILj256ELj13ELNS0_17block_load_methodE3ELS4_3ELS4_3ELNS0_20block_scan_algorithmE0ELj4294967295EEENS1_25partition_config_selectorILNS1_17partition_subalgoE3EjNS0_10empty_typeEbEEZZNS1_14partition_implILS8_3ELb0ES6_jNS0_17counting_iteratorIjlEEPS9_SE_NS0_5tupleIJPjSE_EEENSF_IJSE_SE_EEES9_SG_JZNS1_25segmented_radix_sort_implINS0_14default_configELb0EPKdPdPKlPlN2at6native12_GLOBAL__N_18offset_tEEE10hipError_tPvRmT1_PNSt15iterator_traitsISY_E10value_typeET2_T3_PNSZ_IS14_E10value_typeET4_jRbjT5_S1A_jjP12ihipStream_tbEUljE_EEESV_SW_SX_S14_S18_S1A_T6_T7_T9_mT8_S1C_bDpT10_ENKUlT_T0_E_clISt17integral_constantIbLb1EES1P_EEDaS1K_S1L_EUlS1K_E_NS1_11comp_targetILNS1_3genE3ELNS1_11target_archE908ELNS1_3gpuE7ELNS1_3repE0EEENS1_30default_config_static_selectorELNS0_4arch9wavefront6targetE0EEEvSY_.private_seg_size, 0
	.set _ZN7rocprim17ROCPRIM_400000_NS6detail17trampoline_kernelINS0_13select_configILj256ELj13ELNS0_17block_load_methodE3ELS4_3ELS4_3ELNS0_20block_scan_algorithmE0ELj4294967295EEENS1_25partition_config_selectorILNS1_17partition_subalgoE3EjNS0_10empty_typeEbEEZZNS1_14partition_implILS8_3ELb0ES6_jNS0_17counting_iteratorIjlEEPS9_SE_NS0_5tupleIJPjSE_EEENSF_IJSE_SE_EEES9_SG_JZNS1_25segmented_radix_sort_implINS0_14default_configELb0EPKdPdPKlPlN2at6native12_GLOBAL__N_18offset_tEEE10hipError_tPvRmT1_PNSt15iterator_traitsISY_E10value_typeET2_T3_PNSZ_IS14_E10value_typeET4_jRbjT5_S1A_jjP12ihipStream_tbEUljE_EEESV_SW_SX_S14_S18_S1A_T6_T7_T9_mT8_S1C_bDpT10_ENKUlT_T0_E_clISt17integral_constantIbLb1EES1P_EEDaS1K_S1L_EUlS1K_E_NS1_11comp_targetILNS1_3genE3ELNS1_11target_archE908ELNS1_3gpuE7ELNS1_3repE0EEENS1_30default_config_static_selectorELNS0_4arch9wavefront6targetE0EEEvSY_.uses_vcc, 0
	.set _ZN7rocprim17ROCPRIM_400000_NS6detail17trampoline_kernelINS0_13select_configILj256ELj13ELNS0_17block_load_methodE3ELS4_3ELS4_3ELNS0_20block_scan_algorithmE0ELj4294967295EEENS1_25partition_config_selectorILNS1_17partition_subalgoE3EjNS0_10empty_typeEbEEZZNS1_14partition_implILS8_3ELb0ES6_jNS0_17counting_iteratorIjlEEPS9_SE_NS0_5tupleIJPjSE_EEENSF_IJSE_SE_EEES9_SG_JZNS1_25segmented_radix_sort_implINS0_14default_configELb0EPKdPdPKlPlN2at6native12_GLOBAL__N_18offset_tEEE10hipError_tPvRmT1_PNSt15iterator_traitsISY_E10value_typeET2_T3_PNSZ_IS14_E10value_typeET4_jRbjT5_S1A_jjP12ihipStream_tbEUljE_EEESV_SW_SX_S14_S18_S1A_T6_T7_T9_mT8_S1C_bDpT10_ENKUlT_T0_E_clISt17integral_constantIbLb1EES1P_EEDaS1K_S1L_EUlS1K_E_NS1_11comp_targetILNS1_3genE3ELNS1_11target_archE908ELNS1_3gpuE7ELNS1_3repE0EEENS1_30default_config_static_selectorELNS0_4arch9wavefront6targetE0EEEvSY_.uses_flat_scratch, 0
	.set _ZN7rocprim17ROCPRIM_400000_NS6detail17trampoline_kernelINS0_13select_configILj256ELj13ELNS0_17block_load_methodE3ELS4_3ELS4_3ELNS0_20block_scan_algorithmE0ELj4294967295EEENS1_25partition_config_selectorILNS1_17partition_subalgoE3EjNS0_10empty_typeEbEEZZNS1_14partition_implILS8_3ELb0ES6_jNS0_17counting_iteratorIjlEEPS9_SE_NS0_5tupleIJPjSE_EEENSF_IJSE_SE_EEES9_SG_JZNS1_25segmented_radix_sort_implINS0_14default_configELb0EPKdPdPKlPlN2at6native12_GLOBAL__N_18offset_tEEE10hipError_tPvRmT1_PNSt15iterator_traitsISY_E10value_typeET2_T3_PNSZ_IS14_E10value_typeET4_jRbjT5_S1A_jjP12ihipStream_tbEUljE_EEESV_SW_SX_S14_S18_S1A_T6_T7_T9_mT8_S1C_bDpT10_ENKUlT_T0_E_clISt17integral_constantIbLb1EES1P_EEDaS1K_S1L_EUlS1K_E_NS1_11comp_targetILNS1_3genE3ELNS1_11target_archE908ELNS1_3gpuE7ELNS1_3repE0EEENS1_30default_config_static_selectorELNS0_4arch9wavefront6targetE0EEEvSY_.has_dyn_sized_stack, 0
	.set _ZN7rocprim17ROCPRIM_400000_NS6detail17trampoline_kernelINS0_13select_configILj256ELj13ELNS0_17block_load_methodE3ELS4_3ELS4_3ELNS0_20block_scan_algorithmE0ELj4294967295EEENS1_25partition_config_selectorILNS1_17partition_subalgoE3EjNS0_10empty_typeEbEEZZNS1_14partition_implILS8_3ELb0ES6_jNS0_17counting_iteratorIjlEEPS9_SE_NS0_5tupleIJPjSE_EEENSF_IJSE_SE_EEES9_SG_JZNS1_25segmented_radix_sort_implINS0_14default_configELb0EPKdPdPKlPlN2at6native12_GLOBAL__N_18offset_tEEE10hipError_tPvRmT1_PNSt15iterator_traitsISY_E10value_typeET2_T3_PNSZ_IS14_E10value_typeET4_jRbjT5_S1A_jjP12ihipStream_tbEUljE_EEESV_SW_SX_S14_S18_S1A_T6_T7_T9_mT8_S1C_bDpT10_ENKUlT_T0_E_clISt17integral_constantIbLb1EES1P_EEDaS1K_S1L_EUlS1K_E_NS1_11comp_targetILNS1_3genE3ELNS1_11target_archE908ELNS1_3gpuE7ELNS1_3repE0EEENS1_30default_config_static_selectorELNS0_4arch9wavefront6targetE0EEEvSY_.has_recursion, 0
	.set _ZN7rocprim17ROCPRIM_400000_NS6detail17trampoline_kernelINS0_13select_configILj256ELj13ELNS0_17block_load_methodE3ELS4_3ELS4_3ELNS0_20block_scan_algorithmE0ELj4294967295EEENS1_25partition_config_selectorILNS1_17partition_subalgoE3EjNS0_10empty_typeEbEEZZNS1_14partition_implILS8_3ELb0ES6_jNS0_17counting_iteratorIjlEEPS9_SE_NS0_5tupleIJPjSE_EEENSF_IJSE_SE_EEES9_SG_JZNS1_25segmented_radix_sort_implINS0_14default_configELb0EPKdPdPKlPlN2at6native12_GLOBAL__N_18offset_tEEE10hipError_tPvRmT1_PNSt15iterator_traitsISY_E10value_typeET2_T3_PNSZ_IS14_E10value_typeET4_jRbjT5_S1A_jjP12ihipStream_tbEUljE_EEESV_SW_SX_S14_S18_S1A_T6_T7_T9_mT8_S1C_bDpT10_ENKUlT_T0_E_clISt17integral_constantIbLb1EES1P_EEDaS1K_S1L_EUlS1K_E_NS1_11comp_targetILNS1_3genE3ELNS1_11target_archE908ELNS1_3gpuE7ELNS1_3repE0EEENS1_30default_config_static_selectorELNS0_4arch9wavefront6targetE0EEEvSY_.has_indirect_call, 0
	.section	.AMDGPU.csdata,"",@progbits
; Kernel info:
; codeLenInByte = 0
; TotalNumSgprs: 0
; NumVgprs: 0
; ScratchSize: 0
; MemoryBound: 0
; FloatMode: 240
; IeeeMode: 1
; LDSByteSize: 0 bytes/workgroup (compile time only)
; SGPRBlocks: 0
; VGPRBlocks: 0
; NumSGPRsForWavesPerEU: 1
; NumVGPRsForWavesPerEU: 1
; Occupancy: 16
; WaveLimiterHint : 0
; COMPUTE_PGM_RSRC2:SCRATCH_EN: 0
; COMPUTE_PGM_RSRC2:USER_SGPR: 6
; COMPUTE_PGM_RSRC2:TRAP_HANDLER: 0
; COMPUTE_PGM_RSRC2:TGID_X_EN: 1
; COMPUTE_PGM_RSRC2:TGID_Y_EN: 0
; COMPUTE_PGM_RSRC2:TGID_Z_EN: 0
; COMPUTE_PGM_RSRC2:TIDIG_COMP_CNT: 0
	.section	.text._ZN7rocprim17ROCPRIM_400000_NS6detail17trampoline_kernelINS0_13select_configILj256ELj13ELNS0_17block_load_methodE3ELS4_3ELS4_3ELNS0_20block_scan_algorithmE0ELj4294967295EEENS1_25partition_config_selectorILNS1_17partition_subalgoE3EjNS0_10empty_typeEbEEZZNS1_14partition_implILS8_3ELb0ES6_jNS0_17counting_iteratorIjlEEPS9_SE_NS0_5tupleIJPjSE_EEENSF_IJSE_SE_EEES9_SG_JZNS1_25segmented_radix_sort_implINS0_14default_configELb0EPKdPdPKlPlN2at6native12_GLOBAL__N_18offset_tEEE10hipError_tPvRmT1_PNSt15iterator_traitsISY_E10value_typeET2_T3_PNSZ_IS14_E10value_typeET4_jRbjT5_S1A_jjP12ihipStream_tbEUljE_EEESV_SW_SX_S14_S18_S1A_T6_T7_T9_mT8_S1C_bDpT10_ENKUlT_T0_E_clISt17integral_constantIbLb1EES1P_EEDaS1K_S1L_EUlS1K_E_NS1_11comp_targetILNS1_3genE2ELNS1_11target_archE906ELNS1_3gpuE6ELNS1_3repE0EEENS1_30default_config_static_selectorELNS0_4arch9wavefront6targetE0EEEvSY_,"axG",@progbits,_ZN7rocprim17ROCPRIM_400000_NS6detail17trampoline_kernelINS0_13select_configILj256ELj13ELNS0_17block_load_methodE3ELS4_3ELS4_3ELNS0_20block_scan_algorithmE0ELj4294967295EEENS1_25partition_config_selectorILNS1_17partition_subalgoE3EjNS0_10empty_typeEbEEZZNS1_14partition_implILS8_3ELb0ES6_jNS0_17counting_iteratorIjlEEPS9_SE_NS0_5tupleIJPjSE_EEENSF_IJSE_SE_EEES9_SG_JZNS1_25segmented_radix_sort_implINS0_14default_configELb0EPKdPdPKlPlN2at6native12_GLOBAL__N_18offset_tEEE10hipError_tPvRmT1_PNSt15iterator_traitsISY_E10value_typeET2_T3_PNSZ_IS14_E10value_typeET4_jRbjT5_S1A_jjP12ihipStream_tbEUljE_EEESV_SW_SX_S14_S18_S1A_T6_T7_T9_mT8_S1C_bDpT10_ENKUlT_T0_E_clISt17integral_constantIbLb1EES1P_EEDaS1K_S1L_EUlS1K_E_NS1_11comp_targetILNS1_3genE2ELNS1_11target_archE906ELNS1_3gpuE6ELNS1_3repE0EEENS1_30default_config_static_selectorELNS0_4arch9wavefront6targetE0EEEvSY_,comdat
	.globl	_ZN7rocprim17ROCPRIM_400000_NS6detail17trampoline_kernelINS0_13select_configILj256ELj13ELNS0_17block_load_methodE3ELS4_3ELS4_3ELNS0_20block_scan_algorithmE0ELj4294967295EEENS1_25partition_config_selectorILNS1_17partition_subalgoE3EjNS0_10empty_typeEbEEZZNS1_14partition_implILS8_3ELb0ES6_jNS0_17counting_iteratorIjlEEPS9_SE_NS0_5tupleIJPjSE_EEENSF_IJSE_SE_EEES9_SG_JZNS1_25segmented_radix_sort_implINS0_14default_configELb0EPKdPdPKlPlN2at6native12_GLOBAL__N_18offset_tEEE10hipError_tPvRmT1_PNSt15iterator_traitsISY_E10value_typeET2_T3_PNSZ_IS14_E10value_typeET4_jRbjT5_S1A_jjP12ihipStream_tbEUljE_EEESV_SW_SX_S14_S18_S1A_T6_T7_T9_mT8_S1C_bDpT10_ENKUlT_T0_E_clISt17integral_constantIbLb1EES1P_EEDaS1K_S1L_EUlS1K_E_NS1_11comp_targetILNS1_3genE2ELNS1_11target_archE906ELNS1_3gpuE6ELNS1_3repE0EEENS1_30default_config_static_selectorELNS0_4arch9wavefront6targetE0EEEvSY_ ; -- Begin function _ZN7rocprim17ROCPRIM_400000_NS6detail17trampoline_kernelINS0_13select_configILj256ELj13ELNS0_17block_load_methodE3ELS4_3ELS4_3ELNS0_20block_scan_algorithmE0ELj4294967295EEENS1_25partition_config_selectorILNS1_17partition_subalgoE3EjNS0_10empty_typeEbEEZZNS1_14partition_implILS8_3ELb0ES6_jNS0_17counting_iteratorIjlEEPS9_SE_NS0_5tupleIJPjSE_EEENSF_IJSE_SE_EEES9_SG_JZNS1_25segmented_radix_sort_implINS0_14default_configELb0EPKdPdPKlPlN2at6native12_GLOBAL__N_18offset_tEEE10hipError_tPvRmT1_PNSt15iterator_traitsISY_E10value_typeET2_T3_PNSZ_IS14_E10value_typeET4_jRbjT5_S1A_jjP12ihipStream_tbEUljE_EEESV_SW_SX_S14_S18_S1A_T6_T7_T9_mT8_S1C_bDpT10_ENKUlT_T0_E_clISt17integral_constantIbLb1EES1P_EEDaS1K_S1L_EUlS1K_E_NS1_11comp_targetILNS1_3genE2ELNS1_11target_archE906ELNS1_3gpuE6ELNS1_3repE0EEENS1_30default_config_static_selectorELNS0_4arch9wavefront6targetE0EEEvSY_
	.p2align	8
	.type	_ZN7rocprim17ROCPRIM_400000_NS6detail17trampoline_kernelINS0_13select_configILj256ELj13ELNS0_17block_load_methodE3ELS4_3ELS4_3ELNS0_20block_scan_algorithmE0ELj4294967295EEENS1_25partition_config_selectorILNS1_17partition_subalgoE3EjNS0_10empty_typeEbEEZZNS1_14partition_implILS8_3ELb0ES6_jNS0_17counting_iteratorIjlEEPS9_SE_NS0_5tupleIJPjSE_EEENSF_IJSE_SE_EEES9_SG_JZNS1_25segmented_radix_sort_implINS0_14default_configELb0EPKdPdPKlPlN2at6native12_GLOBAL__N_18offset_tEEE10hipError_tPvRmT1_PNSt15iterator_traitsISY_E10value_typeET2_T3_PNSZ_IS14_E10value_typeET4_jRbjT5_S1A_jjP12ihipStream_tbEUljE_EEESV_SW_SX_S14_S18_S1A_T6_T7_T9_mT8_S1C_bDpT10_ENKUlT_T0_E_clISt17integral_constantIbLb1EES1P_EEDaS1K_S1L_EUlS1K_E_NS1_11comp_targetILNS1_3genE2ELNS1_11target_archE906ELNS1_3gpuE6ELNS1_3repE0EEENS1_30default_config_static_selectorELNS0_4arch9wavefront6targetE0EEEvSY_,@function
_ZN7rocprim17ROCPRIM_400000_NS6detail17trampoline_kernelINS0_13select_configILj256ELj13ELNS0_17block_load_methodE3ELS4_3ELS4_3ELNS0_20block_scan_algorithmE0ELj4294967295EEENS1_25partition_config_selectorILNS1_17partition_subalgoE3EjNS0_10empty_typeEbEEZZNS1_14partition_implILS8_3ELb0ES6_jNS0_17counting_iteratorIjlEEPS9_SE_NS0_5tupleIJPjSE_EEENSF_IJSE_SE_EEES9_SG_JZNS1_25segmented_radix_sort_implINS0_14default_configELb0EPKdPdPKlPlN2at6native12_GLOBAL__N_18offset_tEEE10hipError_tPvRmT1_PNSt15iterator_traitsISY_E10value_typeET2_T3_PNSZ_IS14_E10value_typeET4_jRbjT5_S1A_jjP12ihipStream_tbEUljE_EEESV_SW_SX_S14_S18_S1A_T6_T7_T9_mT8_S1C_bDpT10_ENKUlT_T0_E_clISt17integral_constantIbLb1EES1P_EEDaS1K_S1L_EUlS1K_E_NS1_11comp_targetILNS1_3genE2ELNS1_11target_archE906ELNS1_3gpuE6ELNS1_3repE0EEENS1_30default_config_static_selectorELNS0_4arch9wavefront6targetE0EEEvSY_: ; @_ZN7rocprim17ROCPRIM_400000_NS6detail17trampoline_kernelINS0_13select_configILj256ELj13ELNS0_17block_load_methodE3ELS4_3ELS4_3ELNS0_20block_scan_algorithmE0ELj4294967295EEENS1_25partition_config_selectorILNS1_17partition_subalgoE3EjNS0_10empty_typeEbEEZZNS1_14partition_implILS8_3ELb0ES6_jNS0_17counting_iteratorIjlEEPS9_SE_NS0_5tupleIJPjSE_EEENSF_IJSE_SE_EEES9_SG_JZNS1_25segmented_radix_sort_implINS0_14default_configELb0EPKdPdPKlPlN2at6native12_GLOBAL__N_18offset_tEEE10hipError_tPvRmT1_PNSt15iterator_traitsISY_E10value_typeET2_T3_PNSZ_IS14_E10value_typeET4_jRbjT5_S1A_jjP12ihipStream_tbEUljE_EEESV_SW_SX_S14_S18_S1A_T6_T7_T9_mT8_S1C_bDpT10_ENKUlT_T0_E_clISt17integral_constantIbLb1EES1P_EEDaS1K_S1L_EUlS1K_E_NS1_11comp_targetILNS1_3genE2ELNS1_11target_archE906ELNS1_3gpuE6ELNS1_3repE0EEENS1_30default_config_static_selectorELNS0_4arch9wavefront6targetE0EEEvSY_
; %bb.0:
	.section	.rodata,"a",@progbits
	.p2align	6, 0x0
	.amdhsa_kernel _ZN7rocprim17ROCPRIM_400000_NS6detail17trampoline_kernelINS0_13select_configILj256ELj13ELNS0_17block_load_methodE3ELS4_3ELS4_3ELNS0_20block_scan_algorithmE0ELj4294967295EEENS1_25partition_config_selectorILNS1_17partition_subalgoE3EjNS0_10empty_typeEbEEZZNS1_14partition_implILS8_3ELb0ES6_jNS0_17counting_iteratorIjlEEPS9_SE_NS0_5tupleIJPjSE_EEENSF_IJSE_SE_EEES9_SG_JZNS1_25segmented_radix_sort_implINS0_14default_configELb0EPKdPdPKlPlN2at6native12_GLOBAL__N_18offset_tEEE10hipError_tPvRmT1_PNSt15iterator_traitsISY_E10value_typeET2_T3_PNSZ_IS14_E10value_typeET4_jRbjT5_S1A_jjP12ihipStream_tbEUljE_EEESV_SW_SX_S14_S18_S1A_T6_T7_T9_mT8_S1C_bDpT10_ENKUlT_T0_E_clISt17integral_constantIbLb1EES1P_EEDaS1K_S1L_EUlS1K_E_NS1_11comp_targetILNS1_3genE2ELNS1_11target_archE906ELNS1_3gpuE6ELNS1_3repE0EEENS1_30default_config_static_selectorELNS0_4arch9wavefront6targetE0EEEvSY_
		.amdhsa_group_segment_fixed_size 0
		.amdhsa_private_segment_fixed_size 0
		.amdhsa_kernarg_size 152
		.amdhsa_user_sgpr_count 6
		.amdhsa_user_sgpr_private_segment_buffer 1
		.amdhsa_user_sgpr_dispatch_ptr 0
		.amdhsa_user_sgpr_queue_ptr 0
		.amdhsa_user_sgpr_kernarg_segment_ptr 1
		.amdhsa_user_sgpr_dispatch_id 0
		.amdhsa_user_sgpr_flat_scratch_init 0
		.amdhsa_user_sgpr_private_segment_size 0
		.amdhsa_wavefront_size32 1
		.amdhsa_uses_dynamic_stack 0
		.amdhsa_system_sgpr_private_segment_wavefront_offset 0
		.amdhsa_system_sgpr_workgroup_id_x 1
		.amdhsa_system_sgpr_workgroup_id_y 0
		.amdhsa_system_sgpr_workgroup_id_z 0
		.amdhsa_system_sgpr_workgroup_info 0
		.amdhsa_system_vgpr_workitem_id 0
		.amdhsa_next_free_vgpr 1
		.amdhsa_next_free_sgpr 1
		.amdhsa_reserve_vcc 0
		.amdhsa_reserve_flat_scratch 0
		.amdhsa_float_round_mode_32 0
		.amdhsa_float_round_mode_16_64 0
		.amdhsa_float_denorm_mode_32 3
		.amdhsa_float_denorm_mode_16_64 3
		.amdhsa_dx10_clamp 1
		.amdhsa_ieee_mode 1
		.amdhsa_fp16_overflow 0
		.amdhsa_workgroup_processor_mode 1
		.amdhsa_memory_ordered 1
		.amdhsa_forward_progress 1
		.amdhsa_shared_vgpr_count 0
		.amdhsa_exception_fp_ieee_invalid_op 0
		.amdhsa_exception_fp_denorm_src 0
		.amdhsa_exception_fp_ieee_div_zero 0
		.amdhsa_exception_fp_ieee_overflow 0
		.amdhsa_exception_fp_ieee_underflow 0
		.amdhsa_exception_fp_ieee_inexact 0
		.amdhsa_exception_int_div_zero 0
	.end_amdhsa_kernel
	.section	.text._ZN7rocprim17ROCPRIM_400000_NS6detail17trampoline_kernelINS0_13select_configILj256ELj13ELNS0_17block_load_methodE3ELS4_3ELS4_3ELNS0_20block_scan_algorithmE0ELj4294967295EEENS1_25partition_config_selectorILNS1_17partition_subalgoE3EjNS0_10empty_typeEbEEZZNS1_14partition_implILS8_3ELb0ES6_jNS0_17counting_iteratorIjlEEPS9_SE_NS0_5tupleIJPjSE_EEENSF_IJSE_SE_EEES9_SG_JZNS1_25segmented_radix_sort_implINS0_14default_configELb0EPKdPdPKlPlN2at6native12_GLOBAL__N_18offset_tEEE10hipError_tPvRmT1_PNSt15iterator_traitsISY_E10value_typeET2_T3_PNSZ_IS14_E10value_typeET4_jRbjT5_S1A_jjP12ihipStream_tbEUljE_EEESV_SW_SX_S14_S18_S1A_T6_T7_T9_mT8_S1C_bDpT10_ENKUlT_T0_E_clISt17integral_constantIbLb1EES1P_EEDaS1K_S1L_EUlS1K_E_NS1_11comp_targetILNS1_3genE2ELNS1_11target_archE906ELNS1_3gpuE6ELNS1_3repE0EEENS1_30default_config_static_selectorELNS0_4arch9wavefront6targetE0EEEvSY_,"axG",@progbits,_ZN7rocprim17ROCPRIM_400000_NS6detail17trampoline_kernelINS0_13select_configILj256ELj13ELNS0_17block_load_methodE3ELS4_3ELS4_3ELNS0_20block_scan_algorithmE0ELj4294967295EEENS1_25partition_config_selectorILNS1_17partition_subalgoE3EjNS0_10empty_typeEbEEZZNS1_14partition_implILS8_3ELb0ES6_jNS0_17counting_iteratorIjlEEPS9_SE_NS0_5tupleIJPjSE_EEENSF_IJSE_SE_EEES9_SG_JZNS1_25segmented_radix_sort_implINS0_14default_configELb0EPKdPdPKlPlN2at6native12_GLOBAL__N_18offset_tEEE10hipError_tPvRmT1_PNSt15iterator_traitsISY_E10value_typeET2_T3_PNSZ_IS14_E10value_typeET4_jRbjT5_S1A_jjP12ihipStream_tbEUljE_EEESV_SW_SX_S14_S18_S1A_T6_T7_T9_mT8_S1C_bDpT10_ENKUlT_T0_E_clISt17integral_constantIbLb1EES1P_EEDaS1K_S1L_EUlS1K_E_NS1_11comp_targetILNS1_3genE2ELNS1_11target_archE906ELNS1_3gpuE6ELNS1_3repE0EEENS1_30default_config_static_selectorELNS0_4arch9wavefront6targetE0EEEvSY_,comdat
.Lfunc_end1193:
	.size	_ZN7rocprim17ROCPRIM_400000_NS6detail17trampoline_kernelINS0_13select_configILj256ELj13ELNS0_17block_load_methodE3ELS4_3ELS4_3ELNS0_20block_scan_algorithmE0ELj4294967295EEENS1_25partition_config_selectorILNS1_17partition_subalgoE3EjNS0_10empty_typeEbEEZZNS1_14partition_implILS8_3ELb0ES6_jNS0_17counting_iteratorIjlEEPS9_SE_NS0_5tupleIJPjSE_EEENSF_IJSE_SE_EEES9_SG_JZNS1_25segmented_radix_sort_implINS0_14default_configELb0EPKdPdPKlPlN2at6native12_GLOBAL__N_18offset_tEEE10hipError_tPvRmT1_PNSt15iterator_traitsISY_E10value_typeET2_T3_PNSZ_IS14_E10value_typeET4_jRbjT5_S1A_jjP12ihipStream_tbEUljE_EEESV_SW_SX_S14_S18_S1A_T6_T7_T9_mT8_S1C_bDpT10_ENKUlT_T0_E_clISt17integral_constantIbLb1EES1P_EEDaS1K_S1L_EUlS1K_E_NS1_11comp_targetILNS1_3genE2ELNS1_11target_archE906ELNS1_3gpuE6ELNS1_3repE0EEENS1_30default_config_static_selectorELNS0_4arch9wavefront6targetE0EEEvSY_, .Lfunc_end1193-_ZN7rocprim17ROCPRIM_400000_NS6detail17trampoline_kernelINS0_13select_configILj256ELj13ELNS0_17block_load_methodE3ELS4_3ELS4_3ELNS0_20block_scan_algorithmE0ELj4294967295EEENS1_25partition_config_selectorILNS1_17partition_subalgoE3EjNS0_10empty_typeEbEEZZNS1_14partition_implILS8_3ELb0ES6_jNS0_17counting_iteratorIjlEEPS9_SE_NS0_5tupleIJPjSE_EEENSF_IJSE_SE_EEES9_SG_JZNS1_25segmented_radix_sort_implINS0_14default_configELb0EPKdPdPKlPlN2at6native12_GLOBAL__N_18offset_tEEE10hipError_tPvRmT1_PNSt15iterator_traitsISY_E10value_typeET2_T3_PNSZ_IS14_E10value_typeET4_jRbjT5_S1A_jjP12ihipStream_tbEUljE_EEESV_SW_SX_S14_S18_S1A_T6_T7_T9_mT8_S1C_bDpT10_ENKUlT_T0_E_clISt17integral_constantIbLb1EES1P_EEDaS1K_S1L_EUlS1K_E_NS1_11comp_targetILNS1_3genE2ELNS1_11target_archE906ELNS1_3gpuE6ELNS1_3repE0EEENS1_30default_config_static_selectorELNS0_4arch9wavefront6targetE0EEEvSY_
                                        ; -- End function
	.set _ZN7rocprim17ROCPRIM_400000_NS6detail17trampoline_kernelINS0_13select_configILj256ELj13ELNS0_17block_load_methodE3ELS4_3ELS4_3ELNS0_20block_scan_algorithmE0ELj4294967295EEENS1_25partition_config_selectorILNS1_17partition_subalgoE3EjNS0_10empty_typeEbEEZZNS1_14partition_implILS8_3ELb0ES6_jNS0_17counting_iteratorIjlEEPS9_SE_NS0_5tupleIJPjSE_EEENSF_IJSE_SE_EEES9_SG_JZNS1_25segmented_radix_sort_implINS0_14default_configELb0EPKdPdPKlPlN2at6native12_GLOBAL__N_18offset_tEEE10hipError_tPvRmT1_PNSt15iterator_traitsISY_E10value_typeET2_T3_PNSZ_IS14_E10value_typeET4_jRbjT5_S1A_jjP12ihipStream_tbEUljE_EEESV_SW_SX_S14_S18_S1A_T6_T7_T9_mT8_S1C_bDpT10_ENKUlT_T0_E_clISt17integral_constantIbLb1EES1P_EEDaS1K_S1L_EUlS1K_E_NS1_11comp_targetILNS1_3genE2ELNS1_11target_archE906ELNS1_3gpuE6ELNS1_3repE0EEENS1_30default_config_static_selectorELNS0_4arch9wavefront6targetE0EEEvSY_.num_vgpr, 0
	.set _ZN7rocprim17ROCPRIM_400000_NS6detail17trampoline_kernelINS0_13select_configILj256ELj13ELNS0_17block_load_methodE3ELS4_3ELS4_3ELNS0_20block_scan_algorithmE0ELj4294967295EEENS1_25partition_config_selectorILNS1_17partition_subalgoE3EjNS0_10empty_typeEbEEZZNS1_14partition_implILS8_3ELb0ES6_jNS0_17counting_iteratorIjlEEPS9_SE_NS0_5tupleIJPjSE_EEENSF_IJSE_SE_EEES9_SG_JZNS1_25segmented_radix_sort_implINS0_14default_configELb0EPKdPdPKlPlN2at6native12_GLOBAL__N_18offset_tEEE10hipError_tPvRmT1_PNSt15iterator_traitsISY_E10value_typeET2_T3_PNSZ_IS14_E10value_typeET4_jRbjT5_S1A_jjP12ihipStream_tbEUljE_EEESV_SW_SX_S14_S18_S1A_T6_T7_T9_mT8_S1C_bDpT10_ENKUlT_T0_E_clISt17integral_constantIbLb1EES1P_EEDaS1K_S1L_EUlS1K_E_NS1_11comp_targetILNS1_3genE2ELNS1_11target_archE906ELNS1_3gpuE6ELNS1_3repE0EEENS1_30default_config_static_selectorELNS0_4arch9wavefront6targetE0EEEvSY_.num_agpr, 0
	.set _ZN7rocprim17ROCPRIM_400000_NS6detail17trampoline_kernelINS0_13select_configILj256ELj13ELNS0_17block_load_methodE3ELS4_3ELS4_3ELNS0_20block_scan_algorithmE0ELj4294967295EEENS1_25partition_config_selectorILNS1_17partition_subalgoE3EjNS0_10empty_typeEbEEZZNS1_14partition_implILS8_3ELb0ES6_jNS0_17counting_iteratorIjlEEPS9_SE_NS0_5tupleIJPjSE_EEENSF_IJSE_SE_EEES9_SG_JZNS1_25segmented_radix_sort_implINS0_14default_configELb0EPKdPdPKlPlN2at6native12_GLOBAL__N_18offset_tEEE10hipError_tPvRmT1_PNSt15iterator_traitsISY_E10value_typeET2_T3_PNSZ_IS14_E10value_typeET4_jRbjT5_S1A_jjP12ihipStream_tbEUljE_EEESV_SW_SX_S14_S18_S1A_T6_T7_T9_mT8_S1C_bDpT10_ENKUlT_T0_E_clISt17integral_constantIbLb1EES1P_EEDaS1K_S1L_EUlS1K_E_NS1_11comp_targetILNS1_3genE2ELNS1_11target_archE906ELNS1_3gpuE6ELNS1_3repE0EEENS1_30default_config_static_selectorELNS0_4arch9wavefront6targetE0EEEvSY_.numbered_sgpr, 0
	.set _ZN7rocprim17ROCPRIM_400000_NS6detail17trampoline_kernelINS0_13select_configILj256ELj13ELNS0_17block_load_methodE3ELS4_3ELS4_3ELNS0_20block_scan_algorithmE0ELj4294967295EEENS1_25partition_config_selectorILNS1_17partition_subalgoE3EjNS0_10empty_typeEbEEZZNS1_14partition_implILS8_3ELb0ES6_jNS0_17counting_iteratorIjlEEPS9_SE_NS0_5tupleIJPjSE_EEENSF_IJSE_SE_EEES9_SG_JZNS1_25segmented_radix_sort_implINS0_14default_configELb0EPKdPdPKlPlN2at6native12_GLOBAL__N_18offset_tEEE10hipError_tPvRmT1_PNSt15iterator_traitsISY_E10value_typeET2_T3_PNSZ_IS14_E10value_typeET4_jRbjT5_S1A_jjP12ihipStream_tbEUljE_EEESV_SW_SX_S14_S18_S1A_T6_T7_T9_mT8_S1C_bDpT10_ENKUlT_T0_E_clISt17integral_constantIbLb1EES1P_EEDaS1K_S1L_EUlS1K_E_NS1_11comp_targetILNS1_3genE2ELNS1_11target_archE906ELNS1_3gpuE6ELNS1_3repE0EEENS1_30default_config_static_selectorELNS0_4arch9wavefront6targetE0EEEvSY_.num_named_barrier, 0
	.set _ZN7rocprim17ROCPRIM_400000_NS6detail17trampoline_kernelINS0_13select_configILj256ELj13ELNS0_17block_load_methodE3ELS4_3ELS4_3ELNS0_20block_scan_algorithmE0ELj4294967295EEENS1_25partition_config_selectorILNS1_17partition_subalgoE3EjNS0_10empty_typeEbEEZZNS1_14partition_implILS8_3ELb0ES6_jNS0_17counting_iteratorIjlEEPS9_SE_NS0_5tupleIJPjSE_EEENSF_IJSE_SE_EEES9_SG_JZNS1_25segmented_radix_sort_implINS0_14default_configELb0EPKdPdPKlPlN2at6native12_GLOBAL__N_18offset_tEEE10hipError_tPvRmT1_PNSt15iterator_traitsISY_E10value_typeET2_T3_PNSZ_IS14_E10value_typeET4_jRbjT5_S1A_jjP12ihipStream_tbEUljE_EEESV_SW_SX_S14_S18_S1A_T6_T7_T9_mT8_S1C_bDpT10_ENKUlT_T0_E_clISt17integral_constantIbLb1EES1P_EEDaS1K_S1L_EUlS1K_E_NS1_11comp_targetILNS1_3genE2ELNS1_11target_archE906ELNS1_3gpuE6ELNS1_3repE0EEENS1_30default_config_static_selectorELNS0_4arch9wavefront6targetE0EEEvSY_.private_seg_size, 0
	.set _ZN7rocprim17ROCPRIM_400000_NS6detail17trampoline_kernelINS0_13select_configILj256ELj13ELNS0_17block_load_methodE3ELS4_3ELS4_3ELNS0_20block_scan_algorithmE0ELj4294967295EEENS1_25partition_config_selectorILNS1_17partition_subalgoE3EjNS0_10empty_typeEbEEZZNS1_14partition_implILS8_3ELb0ES6_jNS0_17counting_iteratorIjlEEPS9_SE_NS0_5tupleIJPjSE_EEENSF_IJSE_SE_EEES9_SG_JZNS1_25segmented_radix_sort_implINS0_14default_configELb0EPKdPdPKlPlN2at6native12_GLOBAL__N_18offset_tEEE10hipError_tPvRmT1_PNSt15iterator_traitsISY_E10value_typeET2_T3_PNSZ_IS14_E10value_typeET4_jRbjT5_S1A_jjP12ihipStream_tbEUljE_EEESV_SW_SX_S14_S18_S1A_T6_T7_T9_mT8_S1C_bDpT10_ENKUlT_T0_E_clISt17integral_constantIbLb1EES1P_EEDaS1K_S1L_EUlS1K_E_NS1_11comp_targetILNS1_3genE2ELNS1_11target_archE906ELNS1_3gpuE6ELNS1_3repE0EEENS1_30default_config_static_selectorELNS0_4arch9wavefront6targetE0EEEvSY_.uses_vcc, 0
	.set _ZN7rocprim17ROCPRIM_400000_NS6detail17trampoline_kernelINS0_13select_configILj256ELj13ELNS0_17block_load_methodE3ELS4_3ELS4_3ELNS0_20block_scan_algorithmE0ELj4294967295EEENS1_25partition_config_selectorILNS1_17partition_subalgoE3EjNS0_10empty_typeEbEEZZNS1_14partition_implILS8_3ELb0ES6_jNS0_17counting_iteratorIjlEEPS9_SE_NS0_5tupleIJPjSE_EEENSF_IJSE_SE_EEES9_SG_JZNS1_25segmented_radix_sort_implINS0_14default_configELb0EPKdPdPKlPlN2at6native12_GLOBAL__N_18offset_tEEE10hipError_tPvRmT1_PNSt15iterator_traitsISY_E10value_typeET2_T3_PNSZ_IS14_E10value_typeET4_jRbjT5_S1A_jjP12ihipStream_tbEUljE_EEESV_SW_SX_S14_S18_S1A_T6_T7_T9_mT8_S1C_bDpT10_ENKUlT_T0_E_clISt17integral_constantIbLb1EES1P_EEDaS1K_S1L_EUlS1K_E_NS1_11comp_targetILNS1_3genE2ELNS1_11target_archE906ELNS1_3gpuE6ELNS1_3repE0EEENS1_30default_config_static_selectorELNS0_4arch9wavefront6targetE0EEEvSY_.uses_flat_scratch, 0
	.set _ZN7rocprim17ROCPRIM_400000_NS6detail17trampoline_kernelINS0_13select_configILj256ELj13ELNS0_17block_load_methodE3ELS4_3ELS4_3ELNS0_20block_scan_algorithmE0ELj4294967295EEENS1_25partition_config_selectorILNS1_17partition_subalgoE3EjNS0_10empty_typeEbEEZZNS1_14partition_implILS8_3ELb0ES6_jNS0_17counting_iteratorIjlEEPS9_SE_NS0_5tupleIJPjSE_EEENSF_IJSE_SE_EEES9_SG_JZNS1_25segmented_radix_sort_implINS0_14default_configELb0EPKdPdPKlPlN2at6native12_GLOBAL__N_18offset_tEEE10hipError_tPvRmT1_PNSt15iterator_traitsISY_E10value_typeET2_T3_PNSZ_IS14_E10value_typeET4_jRbjT5_S1A_jjP12ihipStream_tbEUljE_EEESV_SW_SX_S14_S18_S1A_T6_T7_T9_mT8_S1C_bDpT10_ENKUlT_T0_E_clISt17integral_constantIbLb1EES1P_EEDaS1K_S1L_EUlS1K_E_NS1_11comp_targetILNS1_3genE2ELNS1_11target_archE906ELNS1_3gpuE6ELNS1_3repE0EEENS1_30default_config_static_selectorELNS0_4arch9wavefront6targetE0EEEvSY_.has_dyn_sized_stack, 0
	.set _ZN7rocprim17ROCPRIM_400000_NS6detail17trampoline_kernelINS0_13select_configILj256ELj13ELNS0_17block_load_methodE3ELS4_3ELS4_3ELNS0_20block_scan_algorithmE0ELj4294967295EEENS1_25partition_config_selectorILNS1_17partition_subalgoE3EjNS0_10empty_typeEbEEZZNS1_14partition_implILS8_3ELb0ES6_jNS0_17counting_iteratorIjlEEPS9_SE_NS0_5tupleIJPjSE_EEENSF_IJSE_SE_EEES9_SG_JZNS1_25segmented_radix_sort_implINS0_14default_configELb0EPKdPdPKlPlN2at6native12_GLOBAL__N_18offset_tEEE10hipError_tPvRmT1_PNSt15iterator_traitsISY_E10value_typeET2_T3_PNSZ_IS14_E10value_typeET4_jRbjT5_S1A_jjP12ihipStream_tbEUljE_EEESV_SW_SX_S14_S18_S1A_T6_T7_T9_mT8_S1C_bDpT10_ENKUlT_T0_E_clISt17integral_constantIbLb1EES1P_EEDaS1K_S1L_EUlS1K_E_NS1_11comp_targetILNS1_3genE2ELNS1_11target_archE906ELNS1_3gpuE6ELNS1_3repE0EEENS1_30default_config_static_selectorELNS0_4arch9wavefront6targetE0EEEvSY_.has_recursion, 0
	.set _ZN7rocprim17ROCPRIM_400000_NS6detail17trampoline_kernelINS0_13select_configILj256ELj13ELNS0_17block_load_methodE3ELS4_3ELS4_3ELNS0_20block_scan_algorithmE0ELj4294967295EEENS1_25partition_config_selectorILNS1_17partition_subalgoE3EjNS0_10empty_typeEbEEZZNS1_14partition_implILS8_3ELb0ES6_jNS0_17counting_iteratorIjlEEPS9_SE_NS0_5tupleIJPjSE_EEENSF_IJSE_SE_EEES9_SG_JZNS1_25segmented_radix_sort_implINS0_14default_configELb0EPKdPdPKlPlN2at6native12_GLOBAL__N_18offset_tEEE10hipError_tPvRmT1_PNSt15iterator_traitsISY_E10value_typeET2_T3_PNSZ_IS14_E10value_typeET4_jRbjT5_S1A_jjP12ihipStream_tbEUljE_EEESV_SW_SX_S14_S18_S1A_T6_T7_T9_mT8_S1C_bDpT10_ENKUlT_T0_E_clISt17integral_constantIbLb1EES1P_EEDaS1K_S1L_EUlS1K_E_NS1_11comp_targetILNS1_3genE2ELNS1_11target_archE906ELNS1_3gpuE6ELNS1_3repE0EEENS1_30default_config_static_selectorELNS0_4arch9wavefront6targetE0EEEvSY_.has_indirect_call, 0
	.section	.AMDGPU.csdata,"",@progbits
; Kernel info:
; codeLenInByte = 0
; TotalNumSgprs: 0
; NumVgprs: 0
; ScratchSize: 0
; MemoryBound: 0
; FloatMode: 240
; IeeeMode: 1
; LDSByteSize: 0 bytes/workgroup (compile time only)
; SGPRBlocks: 0
; VGPRBlocks: 0
; NumSGPRsForWavesPerEU: 1
; NumVGPRsForWavesPerEU: 1
; Occupancy: 16
; WaveLimiterHint : 0
; COMPUTE_PGM_RSRC2:SCRATCH_EN: 0
; COMPUTE_PGM_RSRC2:USER_SGPR: 6
; COMPUTE_PGM_RSRC2:TRAP_HANDLER: 0
; COMPUTE_PGM_RSRC2:TGID_X_EN: 1
; COMPUTE_PGM_RSRC2:TGID_Y_EN: 0
; COMPUTE_PGM_RSRC2:TGID_Z_EN: 0
; COMPUTE_PGM_RSRC2:TIDIG_COMP_CNT: 0
	.section	.text._ZN7rocprim17ROCPRIM_400000_NS6detail17trampoline_kernelINS0_13select_configILj256ELj13ELNS0_17block_load_methodE3ELS4_3ELS4_3ELNS0_20block_scan_algorithmE0ELj4294967295EEENS1_25partition_config_selectorILNS1_17partition_subalgoE3EjNS0_10empty_typeEbEEZZNS1_14partition_implILS8_3ELb0ES6_jNS0_17counting_iteratorIjlEEPS9_SE_NS0_5tupleIJPjSE_EEENSF_IJSE_SE_EEES9_SG_JZNS1_25segmented_radix_sort_implINS0_14default_configELb0EPKdPdPKlPlN2at6native12_GLOBAL__N_18offset_tEEE10hipError_tPvRmT1_PNSt15iterator_traitsISY_E10value_typeET2_T3_PNSZ_IS14_E10value_typeET4_jRbjT5_S1A_jjP12ihipStream_tbEUljE_EEESV_SW_SX_S14_S18_S1A_T6_T7_T9_mT8_S1C_bDpT10_ENKUlT_T0_E_clISt17integral_constantIbLb1EES1P_EEDaS1K_S1L_EUlS1K_E_NS1_11comp_targetILNS1_3genE10ELNS1_11target_archE1200ELNS1_3gpuE4ELNS1_3repE0EEENS1_30default_config_static_selectorELNS0_4arch9wavefront6targetE0EEEvSY_,"axG",@progbits,_ZN7rocprim17ROCPRIM_400000_NS6detail17trampoline_kernelINS0_13select_configILj256ELj13ELNS0_17block_load_methodE3ELS4_3ELS4_3ELNS0_20block_scan_algorithmE0ELj4294967295EEENS1_25partition_config_selectorILNS1_17partition_subalgoE3EjNS0_10empty_typeEbEEZZNS1_14partition_implILS8_3ELb0ES6_jNS0_17counting_iteratorIjlEEPS9_SE_NS0_5tupleIJPjSE_EEENSF_IJSE_SE_EEES9_SG_JZNS1_25segmented_radix_sort_implINS0_14default_configELb0EPKdPdPKlPlN2at6native12_GLOBAL__N_18offset_tEEE10hipError_tPvRmT1_PNSt15iterator_traitsISY_E10value_typeET2_T3_PNSZ_IS14_E10value_typeET4_jRbjT5_S1A_jjP12ihipStream_tbEUljE_EEESV_SW_SX_S14_S18_S1A_T6_T7_T9_mT8_S1C_bDpT10_ENKUlT_T0_E_clISt17integral_constantIbLb1EES1P_EEDaS1K_S1L_EUlS1K_E_NS1_11comp_targetILNS1_3genE10ELNS1_11target_archE1200ELNS1_3gpuE4ELNS1_3repE0EEENS1_30default_config_static_selectorELNS0_4arch9wavefront6targetE0EEEvSY_,comdat
	.globl	_ZN7rocprim17ROCPRIM_400000_NS6detail17trampoline_kernelINS0_13select_configILj256ELj13ELNS0_17block_load_methodE3ELS4_3ELS4_3ELNS0_20block_scan_algorithmE0ELj4294967295EEENS1_25partition_config_selectorILNS1_17partition_subalgoE3EjNS0_10empty_typeEbEEZZNS1_14partition_implILS8_3ELb0ES6_jNS0_17counting_iteratorIjlEEPS9_SE_NS0_5tupleIJPjSE_EEENSF_IJSE_SE_EEES9_SG_JZNS1_25segmented_radix_sort_implINS0_14default_configELb0EPKdPdPKlPlN2at6native12_GLOBAL__N_18offset_tEEE10hipError_tPvRmT1_PNSt15iterator_traitsISY_E10value_typeET2_T3_PNSZ_IS14_E10value_typeET4_jRbjT5_S1A_jjP12ihipStream_tbEUljE_EEESV_SW_SX_S14_S18_S1A_T6_T7_T9_mT8_S1C_bDpT10_ENKUlT_T0_E_clISt17integral_constantIbLb1EES1P_EEDaS1K_S1L_EUlS1K_E_NS1_11comp_targetILNS1_3genE10ELNS1_11target_archE1200ELNS1_3gpuE4ELNS1_3repE0EEENS1_30default_config_static_selectorELNS0_4arch9wavefront6targetE0EEEvSY_ ; -- Begin function _ZN7rocprim17ROCPRIM_400000_NS6detail17trampoline_kernelINS0_13select_configILj256ELj13ELNS0_17block_load_methodE3ELS4_3ELS4_3ELNS0_20block_scan_algorithmE0ELj4294967295EEENS1_25partition_config_selectorILNS1_17partition_subalgoE3EjNS0_10empty_typeEbEEZZNS1_14partition_implILS8_3ELb0ES6_jNS0_17counting_iteratorIjlEEPS9_SE_NS0_5tupleIJPjSE_EEENSF_IJSE_SE_EEES9_SG_JZNS1_25segmented_radix_sort_implINS0_14default_configELb0EPKdPdPKlPlN2at6native12_GLOBAL__N_18offset_tEEE10hipError_tPvRmT1_PNSt15iterator_traitsISY_E10value_typeET2_T3_PNSZ_IS14_E10value_typeET4_jRbjT5_S1A_jjP12ihipStream_tbEUljE_EEESV_SW_SX_S14_S18_S1A_T6_T7_T9_mT8_S1C_bDpT10_ENKUlT_T0_E_clISt17integral_constantIbLb1EES1P_EEDaS1K_S1L_EUlS1K_E_NS1_11comp_targetILNS1_3genE10ELNS1_11target_archE1200ELNS1_3gpuE4ELNS1_3repE0EEENS1_30default_config_static_selectorELNS0_4arch9wavefront6targetE0EEEvSY_
	.p2align	8
	.type	_ZN7rocprim17ROCPRIM_400000_NS6detail17trampoline_kernelINS0_13select_configILj256ELj13ELNS0_17block_load_methodE3ELS4_3ELS4_3ELNS0_20block_scan_algorithmE0ELj4294967295EEENS1_25partition_config_selectorILNS1_17partition_subalgoE3EjNS0_10empty_typeEbEEZZNS1_14partition_implILS8_3ELb0ES6_jNS0_17counting_iteratorIjlEEPS9_SE_NS0_5tupleIJPjSE_EEENSF_IJSE_SE_EEES9_SG_JZNS1_25segmented_radix_sort_implINS0_14default_configELb0EPKdPdPKlPlN2at6native12_GLOBAL__N_18offset_tEEE10hipError_tPvRmT1_PNSt15iterator_traitsISY_E10value_typeET2_T3_PNSZ_IS14_E10value_typeET4_jRbjT5_S1A_jjP12ihipStream_tbEUljE_EEESV_SW_SX_S14_S18_S1A_T6_T7_T9_mT8_S1C_bDpT10_ENKUlT_T0_E_clISt17integral_constantIbLb1EES1P_EEDaS1K_S1L_EUlS1K_E_NS1_11comp_targetILNS1_3genE10ELNS1_11target_archE1200ELNS1_3gpuE4ELNS1_3repE0EEENS1_30default_config_static_selectorELNS0_4arch9wavefront6targetE0EEEvSY_,@function
_ZN7rocprim17ROCPRIM_400000_NS6detail17trampoline_kernelINS0_13select_configILj256ELj13ELNS0_17block_load_methodE3ELS4_3ELS4_3ELNS0_20block_scan_algorithmE0ELj4294967295EEENS1_25partition_config_selectorILNS1_17partition_subalgoE3EjNS0_10empty_typeEbEEZZNS1_14partition_implILS8_3ELb0ES6_jNS0_17counting_iteratorIjlEEPS9_SE_NS0_5tupleIJPjSE_EEENSF_IJSE_SE_EEES9_SG_JZNS1_25segmented_radix_sort_implINS0_14default_configELb0EPKdPdPKlPlN2at6native12_GLOBAL__N_18offset_tEEE10hipError_tPvRmT1_PNSt15iterator_traitsISY_E10value_typeET2_T3_PNSZ_IS14_E10value_typeET4_jRbjT5_S1A_jjP12ihipStream_tbEUljE_EEESV_SW_SX_S14_S18_S1A_T6_T7_T9_mT8_S1C_bDpT10_ENKUlT_T0_E_clISt17integral_constantIbLb1EES1P_EEDaS1K_S1L_EUlS1K_E_NS1_11comp_targetILNS1_3genE10ELNS1_11target_archE1200ELNS1_3gpuE4ELNS1_3repE0EEENS1_30default_config_static_selectorELNS0_4arch9wavefront6targetE0EEEvSY_: ; @_ZN7rocprim17ROCPRIM_400000_NS6detail17trampoline_kernelINS0_13select_configILj256ELj13ELNS0_17block_load_methodE3ELS4_3ELS4_3ELNS0_20block_scan_algorithmE0ELj4294967295EEENS1_25partition_config_selectorILNS1_17partition_subalgoE3EjNS0_10empty_typeEbEEZZNS1_14partition_implILS8_3ELb0ES6_jNS0_17counting_iteratorIjlEEPS9_SE_NS0_5tupleIJPjSE_EEENSF_IJSE_SE_EEES9_SG_JZNS1_25segmented_radix_sort_implINS0_14default_configELb0EPKdPdPKlPlN2at6native12_GLOBAL__N_18offset_tEEE10hipError_tPvRmT1_PNSt15iterator_traitsISY_E10value_typeET2_T3_PNSZ_IS14_E10value_typeET4_jRbjT5_S1A_jjP12ihipStream_tbEUljE_EEESV_SW_SX_S14_S18_S1A_T6_T7_T9_mT8_S1C_bDpT10_ENKUlT_T0_E_clISt17integral_constantIbLb1EES1P_EEDaS1K_S1L_EUlS1K_E_NS1_11comp_targetILNS1_3genE10ELNS1_11target_archE1200ELNS1_3gpuE4ELNS1_3repE0EEENS1_30default_config_static_selectorELNS0_4arch9wavefront6targetE0EEEvSY_
; %bb.0:
	.section	.rodata,"a",@progbits
	.p2align	6, 0x0
	.amdhsa_kernel _ZN7rocprim17ROCPRIM_400000_NS6detail17trampoline_kernelINS0_13select_configILj256ELj13ELNS0_17block_load_methodE3ELS4_3ELS4_3ELNS0_20block_scan_algorithmE0ELj4294967295EEENS1_25partition_config_selectorILNS1_17partition_subalgoE3EjNS0_10empty_typeEbEEZZNS1_14partition_implILS8_3ELb0ES6_jNS0_17counting_iteratorIjlEEPS9_SE_NS0_5tupleIJPjSE_EEENSF_IJSE_SE_EEES9_SG_JZNS1_25segmented_radix_sort_implINS0_14default_configELb0EPKdPdPKlPlN2at6native12_GLOBAL__N_18offset_tEEE10hipError_tPvRmT1_PNSt15iterator_traitsISY_E10value_typeET2_T3_PNSZ_IS14_E10value_typeET4_jRbjT5_S1A_jjP12ihipStream_tbEUljE_EEESV_SW_SX_S14_S18_S1A_T6_T7_T9_mT8_S1C_bDpT10_ENKUlT_T0_E_clISt17integral_constantIbLb1EES1P_EEDaS1K_S1L_EUlS1K_E_NS1_11comp_targetILNS1_3genE10ELNS1_11target_archE1200ELNS1_3gpuE4ELNS1_3repE0EEENS1_30default_config_static_selectorELNS0_4arch9wavefront6targetE0EEEvSY_
		.amdhsa_group_segment_fixed_size 0
		.amdhsa_private_segment_fixed_size 0
		.amdhsa_kernarg_size 152
		.amdhsa_user_sgpr_count 6
		.amdhsa_user_sgpr_private_segment_buffer 1
		.amdhsa_user_sgpr_dispatch_ptr 0
		.amdhsa_user_sgpr_queue_ptr 0
		.amdhsa_user_sgpr_kernarg_segment_ptr 1
		.amdhsa_user_sgpr_dispatch_id 0
		.amdhsa_user_sgpr_flat_scratch_init 0
		.amdhsa_user_sgpr_private_segment_size 0
		.amdhsa_wavefront_size32 1
		.amdhsa_uses_dynamic_stack 0
		.amdhsa_system_sgpr_private_segment_wavefront_offset 0
		.amdhsa_system_sgpr_workgroup_id_x 1
		.amdhsa_system_sgpr_workgroup_id_y 0
		.amdhsa_system_sgpr_workgroup_id_z 0
		.amdhsa_system_sgpr_workgroup_info 0
		.amdhsa_system_vgpr_workitem_id 0
		.amdhsa_next_free_vgpr 1
		.amdhsa_next_free_sgpr 1
		.amdhsa_reserve_vcc 0
		.amdhsa_reserve_flat_scratch 0
		.amdhsa_float_round_mode_32 0
		.amdhsa_float_round_mode_16_64 0
		.amdhsa_float_denorm_mode_32 3
		.amdhsa_float_denorm_mode_16_64 3
		.amdhsa_dx10_clamp 1
		.amdhsa_ieee_mode 1
		.amdhsa_fp16_overflow 0
		.amdhsa_workgroup_processor_mode 1
		.amdhsa_memory_ordered 1
		.amdhsa_forward_progress 1
		.amdhsa_shared_vgpr_count 0
		.amdhsa_exception_fp_ieee_invalid_op 0
		.amdhsa_exception_fp_denorm_src 0
		.amdhsa_exception_fp_ieee_div_zero 0
		.amdhsa_exception_fp_ieee_overflow 0
		.amdhsa_exception_fp_ieee_underflow 0
		.amdhsa_exception_fp_ieee_inexact 0
		.amdhsa_exception_int_div_zero 0
	.end_amdhsa_kernel
	.section	.text._ZN7rocprim17ROCPRIM_400000_NS6detail17trampoline_kernelINS0_13select_configILj256ELj13ELNS0_17block_load_methodE3ELS4_3ELS4_3ELNS0_20block_scan_algorithmE0ELj4294967295EEENS1_25partition_config_selectorILNS1_17partition_subalgoE3EjNS0_10empty_typeEbEEZZNS1_14partition_implILS8_3ELb0ES6_jNS0_17counting_iteratorIjlEEPS9_SE_NS0_5tupleIJPjSE_EEENSF_IJSE_SE_EEES9_SG_JZNS1_25segmented_radix_sort_implINS0_14default_configELb0EPKdPdPKlPlN2at6native12_GLOBAL__N_18offset_tEEE10hipError_tPvRmT1_PNSt15iterator_traitsISY_E10value_typeET2_T3_PNSZ_IS14_E10value_typeET4_jRbjT5_S1A_jjP12ihipStream_tbEUljE_EEESV_SW_SX_S14_S18_S1A_T6_T7_T9_mT8_S1C_bDpT10_ENKUlT_T0_E_clISt17integral_constantIbLb1EES1P_EEDaS1K_S1L_EUlS1K_E_NS1_11comp_targetILNS1_3genE10ELNS1_11target_archE1200ELNS1_3gpuE4ELNS1_3repE0EEENS1_30default_config_static_selectorELNS0_4arch9wavefront6targetE0EEEvSY_,"axG",@progbits,_ZN7rocprim17ROCPRIM_400000_NS6detail17trampoline_kernelINS0_13select_configILj256ELj13ELNS0_17block_load_methodE3ELS4_3ELS4_3ELNS0_20block_scan_algorithmE0ELj4294967295EEENS1_25partition_config_selectorILNS1_17partition_subalgoE3EjNS0_10empty_typeEbEEZZNS1_14partition_implILS8_3ELb0ES6_jNS0_17counting_iteratorIjlEEPS9_SE_NS0_5tupleIJPjSE_EEENSF_IJSE_SE_EEES9_SG_JZNS1_25segmented_radix_sort_implINS0_14default_configELb0EPKdPdPKlPlN2at6native12_GLOBAL__N_18offset_tEEE10hipError_tPvRmT1_PNSt15iterator_traitsISY_E10value_typeET2_T3_PNSZ_IS14_E10value_typeET4_jRbjT5_S1A_jjP12ihipStream_tbEUljE_EEESV_SW_SX_S14_S18_S1A_T6_T7_T9_mT8_S1C_bDpT10_ENKUlT_T0_E_clISt17integral_constantIbLb1EES1P_EEDaS1K_S1L_EUlS1K_E_NS1_11comp_targetILNS1_3genE10ELNS1_11target_archE1200ELNS1_3gpuE4ELNS1_3repE0EEENS1_30default_config_static_selectorELNS0_4arch9wavefront6targetE0EEEvSY_,comdat
.Lfunc_end1194:
	.size	_ZN7rocprim17ROCPRIM_400000_NS6detail17trampoline_kernelINS0_13select_configILj256ELj13ELNS0_17block_load_methodE3ELS4_3ELS4_3ELNS0_20block_scan_algorithmE0ELj4294967295EEENS1_25partition_config_selectorILNS1_17partition_subalgoE3EjNS0_10empty_typeEbEEZZNS1_14partition_implILS8_3ELb0ES6_jNS0_17counting_iteratorIjlEEPS9_SE_NS0_5tupleIJPjSE_EEENSF_IJSE_SE_EEES9_SG_JZNS1_25segmented_radix_sort_implINS0_14default_configELb0EPKdPdPKlPlN2at6native12_GLOBAL__N_18offset_tEEE10hipError_tPvRmT1_PNSt15iterator_traitsISY_E10value_typeET2_T3_PNSZ_IS14_E10value_typeET4_jRbjT5_S1A_jjP12ihipStream_tbEUljE_EEESV_SW_SX_S14_S18_S1A_T6_T7_T9_mT8_S1C_bDpT10_ENKUlT_T0_E_clISt17integral_constantIbLb1EES1P_EEDaS1K_S1L_EUlS1K_E_NS1_11comp_targetILNS1_3genE10ELNS1_11target_archE1200ELNS1_3gpuE4ELNS1_3repE0EEENS1_30default_config_static_selectorELNS0_4arch9wavefront6targetE0EEEvSY_, .Lfunc_end1194-_ZN7rocprim17ROCPRIM_400000_NS6detail17trampoline_kernelINS0_13select_configILj256ELj13ELNS0_17block_load_methodE3ELS4_3ELS4_3ELNS0_20block_scan_algorithmE0ELj4294967295EEENS1_25partition_config_selectorILNS1_17partition_subalgoE3EjNS0_10empty_typeEbEEZZNS1_14partition_implILS8_3ELb0ES6_jNS0_17counting_iteratorIjlEEPS9_SE_NS0_5tupleIJPjSE_EEENSF_IJSE_SE_EEES9_SG_JZNS1_25segmented_radix_sort_implINS0_14default_configELb0EPKdPdPKlPlN2at6native12_GLOBAL__N_18offset_tEEE10hipError_tPvRmT1_PNSt15iterator_traitsISY_E10value_typeET2_T3_PNSZ_IS14_E10value_typeET4_jRbjT5_S1A_jjP12ihipStream_tbEUljE_EEESV_SW_SX_S14_S18_S1A_T6_T7_T9_mT8_S1C_bDpT10_ENKUlT_T0_E_clISt17integral_constantIbLb1EES1P_EEDaS1K_S1L_EUlS1K_E_NS1_11comp_targetILNS1_3genE10ELNS1_11target_archE1200ELNS1_3gpuE4ELNS1_3repE0EEENS1_30default_config_static_selectorELNS0_4arch9wavefront6targetE0EEEvSY_
                                        ; -- End function
	.set _ZN7rocprim17ROCPRIM_400000_NS6detail17trampoline_kernelINS0_13select_configILj256ELj13ELNS0_17block_load_methodE3ELS4_3ELS4_3ELNS0_20block_scan_algorithmE0ELj4294967295EEENS1_25partition_config_selectorILNS1_17partition_subalgoE3EjNS0_10empty_typeEbEEZZNS1_14partition_implILS8_3ELb0ES6_jNS0_17counting_iteratorIjlEEPS9_SE_NS0_5tupleIJPjSE_EEENSF_IJSE_SE_EEES9_SG_JZNS1_25segmented_radix_sort_implINS0_14default_configELb0EPKdPdPKlPlN2at6native12_GLOBAL__N_18offset_tEEE10hipError_tPvRmT1_PNSt15iterator_traitsISY_E10value_typeET2_T3_PNSZ_IS14_E10value_typeET4_jRbjT5_S1A_jjP12ihipStream_tbEUljE_EEESV_SW_SX_S14_S18_S1A_T6_T7_T9_mT8_S1C_bDpT10_ENKUlT_T0_E_clISt17integral_constantIbLb1EES1P_EEDaS1K_S1L_EUlS1K_E_NS1_11comp_targetILNS1_3genE10ELNS1_11target_archE1200ELNS1_3gpuE4ELNS1_3repE0EEENS1_30default_config_static_selectorELNS0_4arch9wavefront6targetE0EEEvSY_.num_vgpr, 0
	.set _ZN7rocprim17ROCPRIM_400000_NS6detail17trampoline_kernelINS0_13select_configILj256ELj13ELNS0_17block_load_methodE3ELS4_3ELS4_3ELNS0_20block_scan_algorithmE0ELj4294967295EEENS1_25partition_config_selectorILNS1_17partition_subalgoE3EjNS0_10empty_typeEbEEZZNS1_14partition_implILS8_3ELb0ES6_jNS0_17counting_iteratorIjlEEPS9_SE_NS0_5tupleIJPjSE_EEENSF_IJSE_SE_EEES9_SG_JZNS1_25segmented_radix_sort_implINS0_14default_configELb0EPKdPdPKlPlN2at6native12_GLOBAL__N_18offset_tEEE10hipError_tPvRmT1_PNSt15iterator_traitsISY_E10value_typeET2_T3_PNSZ_IS14_E10value_typeET4_jRbjT5_S1A_jjP12ihipStream_tbEUljE_EEESV_SW_SX_S14_S18_S1A_T6_T7_T9_mT8_S1C_bDpT10_ENKUlT_T0_E_clISt17integral_constantIbLb1EES1P_EEDaS1K_S1L_EUlS1K_E_NS1_11comp_targetILNS1_3genE10ELNS1_11target_archE1200ELNS1_3gpuE4ELNS1_3repE0EEENS1_30default_config_static_selectorELNS0_4arch9wavefront6targetE0EEEvSY_.num_agpr, 0
	.set _ZN7rocprim17ROCPRIM_400000_NS6detail17trampoline_kernelINS0_13select_configILj256ELj13ELNS0_17block_load_methodE3ELS4_3ELS4_3ELNS0_20block_scan_algorithmE0ELj4294967295EEENS1_25partition_config_selectorILNS1_17partition_subalgoE3EjNS0_10empty_typeEbEEZZNS1_14partition_implILS8_3ELb0ES6_jNS0_17counting_iteratorIjlEEPS9_SE_NS0_5tupleIJPjSE_EEENSF_IJSE_SE_EEES9_SG_JZNS1_25segmented_radix_sort_implINS0_14default_configELb0EPKdPdPKlPlN2at6native12_GLOBAL__N_18offset_tEEE10hipError_tPvRmT1_PNSt15iterator_traitsISY_E10value_typeET2_T3_PNSZ_IS14_E10value_typeET4_jRbjT5_S1A_jjP12ihipStream_tbEUljE_EEESV_SW_SX_S14_S18_S1A_T6_T7_T9_mT8_S1C_bDpT10_ENKUlT_T0_E_clISt17integral_constantIbLb1EES1P_EEDaS1K_S1L_EUlS1K_E_NS1_11comp_targetILNS1_3genE10ELNS1_11target_archE1200ELNS1_3gpuE4ELNS1_3repE0EEENS1_30default_config_static_selectorELNS0_4arch9wavefront6targetE0EEEvSY_.numbered_sgpr, 0
	.set _ZN7rocprim17ROCPRIM_400000_NS6detail17trampoline_kernelINS0_13select_configILj256ELj13ELNS0_17block_load_methodE3ELS4_3ELS4_3ELNS0_20block_scan_algorithmE0ELj4294967295EEENS1_25partition_config_selectorILNS1_17partition_subalgoE3EjNS0_10empty_typeEbEEZZNS1_14partition_implILS8_3ELb0ES6_jNS0_17counting_iteratorIjlEEPS9_SE_NS0_5tupleIJPjSE_EEENSF_IJSE_SE_EEES9_SG_JZNS1_25segmented_radix_sort_implINS0_14default_configELb0EPKdPdPKlPlN2at6native12_GLOBAL__N_18offset_tEEE10hipError_tPvRmT1_PNSt15iterator_traitsISY_E10value_typeET2_T3_PNSZ_IS14_E10value_typeET4_jRbjT5_S1A_jjP12ihipStream_tbEUljE_EEESV_SW_SX_S14_S18_S1A_T6_T7_T9_mT8_S1C_bDpT10_ENKUlT_T0_E_clISt17integral_constantIbLb1EES1P_EEDaS1K_S1L_EUlS1K_E_NS1_11comp_targetILNS1_3genE10ELNS1_11target_archE1200ELNS1_3gpuE4ELNS1_3repE0EEENS1_30default_config_static_selectorELNS0_4arch9wavefront6targetE0EEEvSY_.num_named_barrier, 0
	.set _ZN7rocprim17ROCPRIM_400000_NS6detail17trampoline_kernelINS0_13select_configILj256ELj13ELNS0_17block_load_methodE3ELS4_3ELS4_3ELNS0_20block_scan_algorithmE0ELj4294967295EEENS1_25partition_config_selectorILNS1_17partition_subalgoE3EjNS0_10empty_typeEbEEZZNS1_14partition_implILS8_3ELb0ES6_jNS0_17counting_iteratorIjlEEPS9_SE_NS0_5tupleIJPjSE_EEENSF_IJSE_SE_EEES9_SG_JZNS1_25segmented_radix_sort_implINS0_14default_configELb0EPKdPdPKlPlN2at6native12_GLOBAL__N_18offset_tEEE10hipError_tPvRmT1_PNSt15iterator_traitsISY_E10value_typeET2_T3_PNSZ_IS14_E10value_typeET4_jRbjT5_S1A_jjP12ihipStream_tbEUljE_EEESV_SW_SX_S14_S18_S1A_T6_T7_T9_mT8_S1C_bDpT10_ENKUlT_T0_E_clISt17integral_constantIbLb1EES1P_EEDaS1K_S1L_EUlS1K_E_NS1_11comp_targetILNS1_3genE10ELNS1_11target_archE1200ELNS1_3gpuE4ELNS1_3repE0EEENS1_30default_config_static_selectorELNS0_4arch9wavefront6targetE0EEEvSY_.private_seg_size, 0
	.set _ZN7rocprim17ROCPRIM_400000_NS6detail17trampoline_kernelINS0_13select_configILj256ELj13ELNS0_17block_load_methodE3ELS4_3ELS4_3ELNS0_20block_scan_algorithmE0ELj4294967295EEENS1_25partition_config_selectorILNS1_17partition_subalgoE3EjNS0_10empty_typeEbEEZZNS1_14partition_implILS8_3ELb0ES6_jNS0_17counting_iteratorIjlEEPS9_SE_NS0_5tupleIJPjSE_EEENSF_IJSE_SE_EEES9_SG_JZNS1_25segmented_radix_sort_implINS0_14default_configELb0EPKdPdPKlPlN2at6native12_GLOBAL__N_18offset_tEEE10hipError_tPvRmT1_PNSt15iterator_traitsISY_E10value_typeET2_T3_PNSZ_IS14_E10value_typeET4_jRbjT5_S1A_jjP12ihipStream_tbEUljE_EEESV_SW_SX_S14_S18_S1A_T6_T7_T9_mT8_S1C_bDpT10_ENKUlT_T0_E_clISt17integral_constantIbLb1EES1P_EEDaS1K_S1L_EUlS1K_E_NS1_11comp_targetILNS1_3genE10ELNS1_11target_archE1200ELNS1_3gpuE4ELNS1_3repE0EEENS1_30default_config_static_selectorELNS0_4arch9wavefront6targetE0EEEvSY_.uses_vcc, 0
	.set _ZN7rocprim17ROCPRIM_400000_NS6detail17trampoline_kernelINS0_13select_configILj256ELj13ELNS0_17block_load_methodE3ELS4_3ELS4_3ELNS0_20block_scan_algorithmE0ELj4294967295EEENS1_25partition_config_selectorILNS1_17partition_subalgoE3EjNS0_10empty_typeEbEEZZNS1_14partition_implILS8_3ELb0ES6_jNS0_17counting_iteratorIjlEEPS9_SE_NS0_5tupleIJPjSE_EEENSF_IJSE_SE_EEES9_SG_JZNS1_25segmented_radix_sort_implINS0_14default_configELb0EPKdPdPKlPlN2at6native12_GLOBAL__N_18offset_tEEE10hipError_tPvRmT1_PNSt15iterator_traitsISY_E10value_typeET2_T3_PNSZ_IS14_E10value_typeET4_jRbjT5_S1A_jjP12ihipStream_tbEUljE_EEESV_SW_SX_S14_S18_S1A_T6_T7_T9_mT8_S1C_bDpT10_ENKUlT_T0_E_clISt17integral_constantIbLb1EES1P_EEDaS1K_S1L_EUlS1K_E_NS1_11comp_targetILNS1_3genE10ELNS1_11target_archE1200ELNS1_3gpuE4ELNS1_3repE0EEENS1_30default_config_static_selectorELNS0_4arch9wavefront6targetE0EEEvSY_.uses_flat_scratch, 0
	.set _ZN7rocprim17ROCPRIM_400000_NS6detail17trampoline_kernelINS0_13select_configILj256ELj13ELNS0_17block_load_methodE3ELS4_3ELS4_3ELNS0_20block_scan_algorithmE0ELj4294967295EEENS1_25partition_config_selectorILNS1_17partition_subalgoE3EjNS0_10empty_typeEbEEZZNS1_14partition_implILS8_3ELb0ES6_jNS0_17counting_iteratorIjlEEPS9_SE_NS0_5tupleIJPjSE_EEENSF_IJSE_SE_EEES9_SG_JZNS1_25segmented_radix_sort_implINS0_14default_configELb0EPKdPdPKlPlN2at6native12_GLOBAL__N_18offset_tEEE10hipError_tPvRmT1_PNSt15iterator_traitsISY_E10value_typeET2_T3_PNSZ_IS14_E10value_typeET4_jRbjT5_S1A_jjP12ihipStream_tbEUljE_EEESV_SW_SX_S14_S18_S1A_T6_T7_T9_mT8_S1C_bDpT10_ENKUlT_T0_E_clISt17integral_constantIbLb1EES1P_EEDaS1K_S1L_EUlS1K_E_NS1_11comp_targetILNS1_3genE10ELNS1_11target_archE1200ELNS1_3gpuE4ELNS1_3repE0EEENS1_30default_config_static_selectorELNS0_4arch9wavefront6targetE0EEEvSY_.has_dyn_sized_stack, 0
	.set _ZN7rocprim17ROCPRIM_400000_NS6detail17trampoline_kernelINS0_13select_configILj256ELj13ELNS0_17block_load_methodE3ELS4_3ELS4_3ELNS0_20block_scan_algorithmE0ELj4294967295EEENS1_25partition_config_selectorILNS1_17partition_subalgoE3EjNS0_10empty_typeEbEEZZNS1_14partition_implILS8_3ELb0ES6_jNS0_17counting_iteratorIjlEEPS9_SE_NS0_5tupleIJPjSE_EEENSF_IJSE_SE_EEES9_SG_JZNS1_25segmented_radix_sort_implINS0_14default_configELb0EPKdPdPKlPlN2at6native12_GLOBAL__N_18offset_tEEE10hipError_tPvRmT1_PNSt15iterator_traitsISY_E10value_typeET2_T3_PNSZ_IS14_E10value_typeET4_jRbjT5_S1A_jjP12ihipStream_tbEUljE_EEESV_SW_SX_S14_S18_S1A_T6_T7_T9_mT8_S1C_bDpT10_ENKUlT_T0_E_clISt17integral_constantIbLb1EES1P_EEDaS1K_S1L_EUlS1K_E_NS1_11comp_targetILNS1_3genE10ELNS1_11target_archE1200ELNS1_3gpuE4ELNS1_3repE0EEENS1_30default_config_static_selectorELNS0_4arch9wavefront6targetE0EEEvSY_.has_recursion, 0
	.set _ZN7rocprim17ROCPRIM_400000_NS6detail17trampoline_kernelINS0_13select_configILj256ELj13ELNS0_17block_load_methodE3ELS4_3ELS4_3ELNS0_20block_scan_algorithmE0ELj4294967295EEENS1_25partition_config_selectorILNS1_17partition_subalgoE3EjNS0_10empty_typeEbEEZZNS1_14partition_implILS8_3ELb0ES6_jNS0_17counting_iteratorIjlEEPS9_SE_NS0_5tupleIJPjSE_EEENSF_IJSE_SE_EEES9_SG_JZNS1_25segmented_radix_sort_implINS0_14default_configELb0EPKdPdPKlPlN2at6native12_GLOBAL__N_18offset_tEEE10hipError_tPvRmT1_PNSt15iterator_traitsISY_E10value_typeET2_T3_PNSZ_IS14_E10value_typeET4_jRbjT5_S1A_jjP12ihipStream_tbEUljE_EEESV_SW_SX_S14_S18_S1A_T6_T7_T9_mT8_S1C_bDpT10_ENKUlT_T0_E_clISt17integral_constantIbLb1EES1P_EEDaS1K_S1L_EUlS1K_E_NS1_11comp_targetILNS1_3genE10ELNS1_11target_archE1200ELNS1_3gpuE4ELNS1_3repE0EEENS1_30default_config_static_selectorELNS0_4arch9wavefront6targetE0EEEvSY_.has_indirect_call, 0
	.section	.AMDGPU.csdata,"",@progbits
; Kernel info:
; codeLenInByte = 0
; TotalNumSgprs: 0
; NumVgprs: 0
; ScratchSize: 0
; MemoryBound: 0
; FloatMode: 240
; IeeeMode: 1
; LDSByteSize: 0 bytes/workgroup (compile time only)
; SGPRBlocks: 0
; VGPRBlocks: 0
; NumSGPRsForWavesPerEU: 1
; NumVGPRsForWavesPerEU: 1
; Occupancy: 16
; WaveLimiterHint : 0
; COMPUTE_PGM_RSRC2:SCRATCH_EN: 0
; COMPUTE_PGM_RSRC2:USER_SGPR: 6
; COMPUTE_PGM_RSRC2:TRAP_HANDLER: 0
; COMPUTE_PGM_RSRC2:TGID_X_EN: 1
; COMPUTE_PGM_RSRC2:TGID_Y_EN: 0
; COMPUTE_PGM_RSRC2:TGID_Z_EN: 0
; COMPUTE_PGM_RSRC2:TIDIG_COMP_CNT: 0
	.section	.text._ZN7rocprim17ROCPRIM_400000_NS6detail17trampoline_kernelINS0_13select_configILj256ELj13ELNS0_17block_load_methodE3ELS4_3ELS4_3ELNS0_20block_scan_algorithmE0ELj4294967295EEENS1_25partition_config_selectorILNS1_17partition_subalgoE3EjNS0_10empty_typeEbEEZZNS1_14partition_implILS8_3ELb0ES6_jNS0_17counting_iteratorIjlEEPS9_SE_NS0_5tupleIJPjSE_EEENSF_IJSE_SE_EEES9_SG_JZNS1_25segmented_radix_sort_implINS0_14default_configELb0EPKdPdPKlPlN2at6native12_GLOBAL__N_18offset_tEEE10hipError_tPvRmT1_PNSt15iterator_traitsISY_E10value_typeET2_T3_PNSZ_IS14_E10value_typeET4_jRbjT5_S1A_jjP12ihipStream_tbEUljE_EEESV_SW_SX_S14_S18_S1A_T6_T7_T9_mT8_S1C_bDpT10_ENKUlT_T0_E_clISt17integral_constantIbLb1EES1P_EEDaS1K_S1L_EUlS1K_E_NS1_11comp_targetILNS1_3genE9ELNS1_11target_archE1100ELNS1_3gpuE3ELNS1_3repE0EEENS1_30default_config_static_selectorELNS0_4arch9wavefront6targetE0EEEvSY_,"axG",@progbits,_ZN7rocprim17ROCPRIM_400000_NS6detail17trampoline_kernelINS0_13select_configILj256ELj13ELNS0_17block_load_methodE3ELS4_3ELS4_3ELNS0_20block_scan_algorithmE0ELj4294967295EEENS1_25partition_config_selectorILNS1_17partition_subalgoE3EjNS0_10empty_typeEbEEZZNS1_14partition_implILS8_3ELb0ES6_jNS0_17counting_iteratorIjlEEPS9_SE_NS0_5tupleIJPjSE_EEENSF_IJSE_SE_EEES9_SG_JZNS1_25segmented_radix_sort_implINS0_14default_configELb0EPKdPdPKlPlN2at6native12_GLOBAL__N_18offset_tEEE10hipError_tPvRmT1_PNSt15iterator_traitsISY_E10value_typeET2_T3_PNSZ_IS14_E10value_typeET4_jRbjT5_S1A_jjP12ihipStream_tbEUljE_EEESV_SW_SX_S14_S18_S1A_T6_T7_T9_mT8_S1C_bDpT10_ENKUlT_T0_E_clISt17integral_constantIbLb1EES1P_EEDaS1K_S1L_EUlS1K_E_NS1_11comp_targetILNS1_3genE9ELNS1_11target_archE1100ELNS1_3gpuE3ELNS1_3repE0EEENS1_30default_config_static_selectorELNS0_4arch9wavefront6targetE0EEEvSY_,comdat
	.globl	_ZN7rocprim17ROCPRIM_400000_NS6detail17trampoline_kernelINS0_13select_configILj256ELj13ELNS0_17block_load_methodE3ELS4_3ELS4_3ELNS0_20block_scan_algorithmE0ELj4294967295EEENS1_25partition_config_selectorILNS1_17partition_subalgoE3EjNS0_10empty_typeEbEEZZNS1_14partition_implILS8_3ELb0ES6_jNS0_17counting_iteratorIjlEEPS9_SE_NS0_5tupleIJPjSE_EEENSF_IJSE_SE_EEES9_SG_JZNS1_25segmented_radix_sort_implINS0_14default_configELb0EPKdPdPKlPlN2at6native12_GLOBAL__N_18offset_tEEE10hipError_tPvRmT1_PNSt15iterator_traitsISY_E10value_typeET2_T3_PNSZ_IS14_E10value_typeET4_jRbjT5_S1A_jjP12ihipStream_tbEUljE_EEESV_SW_SX_S14_S18_S1A_T6_T7_T9_mT8_S1C_bDpT10_ENKUlT_T0_E_clISt17integral_constantIbLb1EES1P_EEDaS1K_S1L_EUlS1K_E_NS1_11comp_targetILNS1_3genE9ELNS1_11target_archE1100ELNS1_3gpuE3ELNS1_3repE0EEENS1_30default_config_static_selectorELNS0_4arch9wavefront6targetE0EEEvSY_ ; -- Begin function _ZN7rocprim17ROCPRIM_400000_NS6detail17trampoline_kernelINS0_13select_configILj256ELj13ELNS0_17block_load_methodE3ELS4_3ELS4_3ELNS0_20block_scan_algorithmE0ELj4294967295EEENS1_25partition_config_selectorILNS1_17partition_subalgoE3EjNS0_10empty_typeEbEEZZNS1_14partition_implILS8_3ELb0ES6_jNS0_17counting_iteratorIjlEEPS9_SE_NS0_5tupleIJPjSE_EEENSF_IJSE_SE_EEES9_SG_JZNS1_25segmented_radix_sort_implINS0_14default_configELb0EPKdPdPKlPlN2at6native12_GLOBAL__N_18offset_tEEE10hipError_tPvRmT1_PNSt15iterator_traitsISY_E10value_typeET2_T3_PNSZ_IS14_E10value_typeET4_jRbjT5_S1A_jjP12ihipStream_tbEUljE_EEESV_SW_SX_S14_S18_S1A_T6_T7_T9_mT8_S1C_bDpT10_ENKUlT_T0_E_clISt17integral_constantIbLb1EES1P_EEDaS1K_S1L_EUlS1K_E_NS1_11comp_targetILNS1_3genE9ELNS1_11target_archE1100ELNS1_3gpuE3ELNS1_3repE0EEENS1_30default_config_static_selectorELNS0_4arch9wavefront6targetE0EEEvSY_
	.p2align	8
	.type	_ZN7rocprim17ROCPRIM_400000_NS6detail17trampoline_kernelINS0_13select_configILj256ELj13ELNS0_17block_load_methodE3ELS4_3ELS4_3ELNS0_20block_scan_algorithmE0ELj4294967295EEENS1_25partition_config_selectorILNS1_17partition_subalgoE3EjNS0_10empty_typeEbEEZZNS1_14partition_implILS8_3ELb0ES6_jNS0_17counting_iteratorIjlEEPS9_SE_NS0_5tupleIJPjSE_EEENSF_IJSE_SE_EEES9_SG_JZNS1_25segmented_radix_sort_implINS0_14default_configELb0EPKdPdPKlPlN2at6native12_GLOBAL__N_18offset_tEEE10hipError_tPvRmT1_PNSt15iterator_traitsISY_E10value_typeET2_T3_PNSZ_IS14_E10value_typeET4_jRbjT5_S1A_jjP12ihipStream_tbEUljE_EEESV_SW_SX_S14_S18_S1A_T6_T7_T9_mT8_S1C_bDpT10_ENKUlT_T0_E_clISt17integral_constantIbLb1EES1P_EEDaS1K_S1L_EUlS1K_E_NS1_11comp_targetILNS1_3genE9ELNS1_11target_archE1100ELNS1_3gpuE3ELNS1_3repE0EEENS1_30default_config_static_selectorELNS0_4arch9wavefront6targetE0EEEvSY_,@function
_ZN7rocprim17ROCPRIM_400000_NS6detail17trampoline_kernelINS0_13select_configILj256ELj13ELNS0_17block_load_methodE3ELS4_3ELS4_3ELNS0_20block_scan_algorithmE0ELj4294967295EEENS1_25partition_config_selectorILNS1_17partition_subalgoE3EjNS0_10empty_typeEbEEZZNS1_14partition_implILS8_3ELb0ES6_jNS0_17counting_iteratorIjlEEPS9_SE_NS0_5tupleIJPjSE_EEENSF_IJSE_SE_EEES9_SG_JZNS1_25segmented_radix_sort_implINS0_14default_configELb0EPKdPdPKlPlN2at6native12_GLOBAL__N_18offset_tEEE10hipError_tPvRmT1_PNSt15iterator_traitsISY_E10value_typeET2_T3_PNSZ_IS14_E10value_typeET4_jRbjT5_S1A_jjP12ihipStream_tbEUljE_EEESV_SW_SX_S14_S18_S1A_T6_T7_T9_mT8_S1C_bDpT10_ENKUlT_T0_E_clISt17integral_constantIbLb1EES1P_EEDaS1K_S1L_EUlS1K_E_NS1_11comp_targetILNS1_3genE9ELNS1_11target_archE1100ELNS1_3gpuE3ELNS1_3repE0EEENS1_30default_config_static_selectorELNS0_4arch9wavefront6targetE0EEEvSY_: ; @_ZN7rocprim17ROCPRIM_400000_NS6detail17trampoline_kernelINS0_13select_configILj256ELj13ELNS0_17block_load_methodE3ELS4_3ELS4_3ELNS0_20block_scan_algorithmE0ELj4294967295EEENS1_25partition_config_selectorILNS1_17partition_subalgoE3EjNS0_10empty_typeEbEEZZNS1_14partition_implILS8_3ELb0ES6_jNS0_17counting_iteratorIjlEEPS9_SE_NS0_5tupleIJPjSE_EEENSF_IJSE_SE_EEES9_SG_JZNS1_25segmented_radix_sort_implINS0_14default_configELb0EPKdPdPKlPlN2at6native12_GLOBAL__N_18offset_tEEE10hipError_tPvRmT1_PNSt15iterator_traitsISY_E10value_typeET2_T3_PNSZ_IS14_E10value_typeET4_jRbjT5_S1A_jjP12ihipStream_tbEUljE_EEESV_SW_SX_S14_S18_S1A_T6_T7_T9_mT8_S1C_bDpT10_ENKUlT_T0_E_clISt17integral_constantIbLb1EES1P_EEDaS1K_S1L_EUlS1K_E_NS1_11comp_targetILNS1_3genE9ELNS1_11target_archE1100ELNS1_3gpuE3ELNS1_3repE0EEENS1_30default_config_static_selectorELNS0_4arch9wavefront6targetE0EEEvSY_
; %bb.0:
	.section	.rodata,"a",@progbits
	.p2align	6, 0x0
	.amdhsa_kernel _ZN7rocprim17ROCPRIM_400000_NS6detail17trampoline_kernelINS0_13select_configILj256ELj13ELNS0_17block_load_methodE3ELS4_3ELS4_3ELNS0_20block_scan_algorithmE0ELj4294967295EEENS1_25partition_config_selectorILNS1_17partition_subalgoE3EjNS0_10empty_typeEbEEZZNS1_14partition_implILS8_3ELb0ES6_jNS0_17counting_iteratorIjlEEPS9_SE_NS0_5tupleIJPjSE_EEENSF_IJSE_SE_EEES9_SG_JZNS1_25segmented_radix_sort_implINS0_14default_configELb0EPKdPdPKlPlN2at6native12_GLOBAL__N_18offset_tEEE10hipError_tPvRmT1_PNSt15iterator_traitsISY_E10value_typeET2_T3_PNSZ_IS14_E10value_typeET4_jRbjT5_S1A_jjP12ihipStream_tbEUljE_EEESV_SW_SX_S14_S18_S1A_T6_T7_T9_mT8_S1C_bDpT10_ENKUlT_T0_E_clISt17integral_constantIbLb1EES1P_EEDaS1K_S1L_EUlS1K_E_NS1_11comp_targetILNS1_3genE9ELNS1_11target_archE1100ELNS1_3gpuE3ELNS1_3repE0EEENS1_30default_config_static_selectorELNS0_4arch9wavefront6targetE0EEEvSY_
		.amdhsa_group_segment_fixed_size 0
		.amdhsa_private_segment_fixed_size 0
		.amdhsa_kernarg_size 152
		.amdhsa_user_sgpr_count 6
		.amdhsa_user_sgpr_private_segment_buffer 1
		.amdhsa_user_sgpr_dispatch_ptr 0
		.amdhsa_user_sgpr_queue_ptr 0
		.amdhsa_user_sgpr_kernarg_segment_ptr 1
		.amdhsa_user_sgpr_dispatch_id 0
		.amdhsa_user_sgpr_flat_scratch_init 0
		.amdhsa_user_sgpr_private_segment_size 0
		.amdhsa_wavefront_size32 1
		.amdhsa_uses_dynamic_stack 0
		.amdhsa_system_sgpr_private_segment_wavefront_offset 0
		.amdhsa_system_sgpr_workgroup_id_x 1
		.amdhsa_system_sgpr_workgroup_id_y 0
		.amdhsa_system_sgpr_workgroup_id_z 0
		.amdhsa_system_sgpr_workgroup_info 0
		.amdhsa_system_vgpr_workitem_id 0
		.amdhsa_next_free_vgpr 1
		.amdhsa_next_free_sgpr 1
		.amdhsa_reserve_vcc 0
		.amdhsa_reserve_flat_scratch 0
		.amdhsa_float_round_mode_32 0
		.amdhsa_float_round_mode_16_64 0
		.amdhsa_float_denorm_mode_32 3
		.amdhsa_float_denorm_mode_16_64 3
		.amdhsa_dx10_clamp 1
		.amdhsa_ieee_mode 1
		.amdhsa_fp16_overflow 0
		.amdhsa_workgroup_processor_mode 1
		.amdhsa_memory_ordered 1
		.amdhsa_forward_progress 1
		.amdhsa_shared_vgpr_count 0
		.amdhsa_exception_fp_ieee_invalid_op 0
		.amdhsa_exception_fp_denorm_src 0
		.amdhsa_exception_fp_ieee_div_zero 0
		.amdhsa_exception_fp_ieee_overflow 0
		.amdhsa_exception_fp_ieee_underflow 0
		.amdhsa_exception_fp_ieee_inexact 0
		.amdhsa_exception_int_div_zero 0
	.end_amdhsa_kernel
	.section	.text._ZN7rocprim17ROCPRIM_400000_NS6detail17trampoline_kernelINS0_13select_configILj256ELj13ELNS0_17block_load_methodE3ELS4_3ELS4_3ELNS0_20block_scan_algorithmE0ELj4294967295EEENS1_25partition_config_selectorILNS1_17partition_subalgoE3EjNS0_10empty_typeEbEEZZNS1_14partition_implILS8_3ELb0ES6_jNS0_17counting_iteratorIjlEEPS9_SE_NS0_5tupleIJPjSE_EEENSF_IJSE_SE_EEES9_SG_JZNS1_25segmented_radix_sort_implINS0_14default_configELb0EPKdPdPKlPlN2at6native12_GLOBAL__N_18offset_tEEE10hipError_tPvRmT1_PNSt15iterator_traitsISY_E10value_typeET2_T3_PNSZ_IS14_E10value_typeET4_jRbjT5_S1A_jjP12ihipStream_tbEUljE_EEESV_SW_SX_S14_S18_S1A_T6_T7_T9_mT8_S1C_bDpT10_ENKUlT_T0_E_clISt17integral_constantIbLb1EES1P_EEDaS1K_S1L_EUlS1K_E_NS1_11comp_targetILNS1_3genE9ELNS1_11target_archE1100ELNS1_3gpuE3ELNS1_3repE0EEENS1_30default_config_static_selectorELNS0_4arch9wavefront6targetE0EEEvSY_,"axG",@progbits,_ZN7rocprim17ROCPRIM_400000_NS6detail17trampoline_kernelINS0_13select_configILj256ELj13ELNS0_17block_load_methodE3ELS4_3ELS4_3ELNS0_20block_scan_algorithmE0ELj4294967295EEENS1_25partition_config_selectorILNS1_17partition_subalgoE3EjNS0_10empty_typeEbEEZZNS1_14partition_implILS8_3ELb0ES6_jNS0_17counting_iteratorIjlEEPS9_SE_NS0_5tupleIJPjSE_EEENSF_IJSE_SE_EEES9_SG_JZNS1_25segmented_radix_sort_implINS0_14default_configELb0EPKdPdPKlPlN2at6native12_GLOBAL__N_18offset_tEEE10hipError_tPvRmT1_PNSt15iterator_traitsISY_E10value_typeET2_T3_PNSZ_IS14_E10value_typeET4_jRbjT5_S1A_jjP12ihipStream_tbEUljE_EEESV_SW_SX_S14_S18_S1A_T6_T7_T9_mT8_S1C_bDpT10_ENKUlT_T0_E_clISt17integral_constantIbLb1EES1P_EEDaS1K_S1L_EUlS1K_E_NS1_11comp_targetILNS1_3genE9ELNS1_11target_archE1100ELNS1_3gpuE3ELNS1_3repE0EEENS1_30default_config_static_selectorELNS0_4arch9wavefront6targetE0EEEvSY_,comdat
.Lfunc_end1195:
	.size	_ZN7rocprim17ROCPRIM_400000_NS6detail17trampoline_kernelINS0_13select_configILj256ELj13ELNS0_17block_load_methodE3ELS4_3ELS4_3ELNS0_20block_scan_algorithmE0ELj4294967295EEENS1_25partition_config_selectorILNS1_17partition_subalgoE3EjNS0_10empty_typeEbEEZZNS1_14partition_implILS8_3ELb0ES6_jNS0_17counting_iteratorIjlEEPS9_SE_NS0_5tupleIJPjSE_EEENSF_IJSE_SE_EEES9_SG_JZNS1_25segmented_radix_sort_implINS0_14default_configELb0EPKdPdPKlPlN2at6native12_GLOBAL__N_18offset_tEEE10hipError_tPvRmT1_PNSt15iterator_traitsISY_E10value_typeET2_T3_PNSZ_IS14_E10value_typeET4_jRbjT5_S1A_jjP12ihipStream_tbEUljE_EEESV_SW_SX_S14_S18_S1A_T6_T7_T9_mT8_S1C_bDpT10_ENKUlT_T0_E_clISt17integral_constantIbLb1EES1P_EEDaS1K_S1L_EUlS1K_E_NS1_11comp_targetILNS1_3genE9ELNS1_11target_archE1100ELNS1_3gpuE3ELNS1_3repE0EEENS1_30default_config_static_selectorELNS0_4arch9wavefront6targetE0EEEvSY_, .Lfunc_end1195-_ZN7rocprim17ROCPRIM_400000_NS6detail17trampoline_kernelINS0_13select_configILj256ELj13ELNS0_17block_load_methodE3ELS4_3ELS4_3ELNS0_20block_scan_algorithmE0ELj4294967295EEENS1_25partition_config_selectorILNS1_17partition_subalgoE3EjNS0_10empty_typeEbEEZZNS1_14partition_implILS8_3ELb0ES6_jNS0_17counting_iteratorIjlEEPS9_SE_NS0_5tupleIJPjSE_EEENSF_IJSE_SE_EEES9_SG_JZNS1_25segmented_radix_sort_implINS0_14default_configELb0EPKdPdPKlPlN2at6native12_GLOBAL__N_18offset_tEEE10hipError_tPvRmT1_PNSt15iterator_traitsISY_E10value_typeET2_T3_PNSZ_IS14_E10value_typeET4_jRbjT5_S1A_jjP12ihipStream_tbEUljE_EEESV_SW_SX_S14_S18_S1A_T6_T7_T9_mT8_S1C_bDpT10_ENKUlT_T0_E_clISt17integral_constantIbLb1EES1P_EEDaS1K_S1L_EUlS1K_E_NS1_11comp_targetILNS1_3genE9ELNS1_11target_archE1100ELNS1_3gpuE3ELNS1_3repE0EEENS1_30default_config_static_selectorELNS0_4arch9wavefront6targetE0EEEvSY_
                                        ; -- End function
	.set _ZN7rocprim17ROCPRIM_400000_NS6detail17trampoline_kernelINS0_13select_configILj256ELj13ELNS0_17block_load_methodE3ELS4_3ELS4_3ELNS0_20block_scan_algorithmE0ELj4294967295EEENS1_25partition_config_selectorILNS1_17partition_subalgoE3EjNS0_10empty_typeEbEEZZNS1_14partition_implILS8_3ELb0ES6_jNS0_17counting_iteratorIjlEEPS9_SE_NS0_5tupleIJPjSE_EEENSF_IJSE_SE_EEES9_SG_JZNS1_25segmented_radix_sort_implINS0_14default_configELb0EPKdPdPKlPlN2at6native12_GLOBAL__N_18offset_tEEE10hipError_tPvRmT1_PNSt15iterator_traitsISY_E10value_typeET2_T3_PNSZ_IS14_E10value_typeET4_jRbjT5_S1A_jjP12ihipStream_tbEUljE_EEESV_SW_SX_S14_S18_S1A_T6_T7_T9_mT8_S1C_bDpT10_ENKUlT_T0_E_clISt17integral_constantIbLb1EES1P_EEDaS1K_S1L_EUlS1K_E_NS1_11comp_targetILNS1_3genE9ELNS1_11target_archE1100ELNS1_3gpuE3ELNS1_3repE0EEENS1_30default_config_static_selectorELNS0_4arch9wavefront6targetE0EEEvSY_.num_vgpr, 0
	.set _ZN7rocprim17ROCPRIM_400000_NS6detail17trampoline_kernelINS0_13select_configILj256ELj13ELNS0_17block_load_methodE3ELS4_3ELS4_3ELNS0_20block_scan_algorithmE0ELj4294967295EEENS1_25partition_config_selectorILNS1_17partition_subalgoE3EjNS0_10empty_typeEbEEZZNS1_14partition_implILS8_3ELb0ES6_jNS0_17counting_iteratorIjlEEPS9_SE_NS0_5tupleIJPjSE_EEENSF_IJSE_SE_EEES9_SG_JZNS1_25segmented_radix_sort_implINS0_14default_configELb0EPKdPdPKlPlN2at6native12_GLOBAL__N_18offset_tEEE10hipError_tPvRmT1_PNSt15iterator_traitsISY_E10value_typeET2_T3_PNSZ_IS14_E10value_typeET4_jRbjT5_S1A_jjP12ihipStream_tbEUljE_EEESV_SW_SX_S14_S18_S1A_T6_T7_T9_mT8_S1C_bDpT10_ENKUlT_T0_E_clISt17integral_constantIbLb1EES1P_EEDaS1K_S1L_EUlS1K_E_NS1_11comp_targetILNS1_3genE9ELNS1_11target_archE1100ELNS1_3gpuE3ELNS1_3repE0EEENS1_30default_config_static_selectorELNS0_4arch9wavefront6targetE0EEEvSY_.num_agpr, 0
	.set _ZN7rocprim17ROCPRIM_400000_NS6detail17trampoline_kernelINS0_13select_configILj256ELj13ELNS0_17block_load_methodE3ELS4_3ELS4_3ELNS0_20block_scan_algorithmE0ELj4294967295EEENS1_25partition_config_selectorILNS1_17partition_subalgoE3EjNS0_10empty_typeEbEEZZNS1_14partition_implILS8_3ELb0ES6_jNS0_17counting_iteratorIjlEEPS9_SE_NS0_5tupleIJPjSE_EEENSF_IJSE_SE_EEES9_SG_JZNS1_25segmented_radix_sort_implINS0_14default_configELb0EPKdPdPKlPlN2at6native12_GLOBAL__N_18offset_tEEE10hipError_tPvRmT1_PNSt15iterator_traitsISY_E10value_typeET2_T3_PNSZ_IS14_E10value_typeET4_jRbjT5_S1A_jjP12ihipStream_tbEUljE_EEESV_SW_SX_S14_S18_S1A_T6_T7_T9_mT8_S1C_bDpT10_ENKUlT_T0_E_clISt17integral_constantIbLb1EES1P_EEDaS1K_S1L_EUlS1K_E_NS1_11comp_targetILNS1_3genE9ELNS1_11target_archE1100ELNS1_3gpuE3ELNS1_3repE0EEENS1_30default_config_static_selectorELNS0_4arch9wavefront6targetE0EEEvSY_.numbered_sgpr, 0
	.set _ZN7rocprim17ROCPRIM_400000_NS6detail17trampoline_kernelINS0_13select_configILj256ELj13ELNS0_17block_load_methodE3ELS4_3ELS4_3ELNS0_20block_scan_algorithmE0ELj4294967295EEENS1_25partition_config_selectorILNS1_17partition_subalgoE3EjNS0_10empty_typeEbEEZZNS1_14partition_implILS8_3ELb0ES6_jNS0_17counting_iteratorIjlEEPS9_SE_NS0_5tupleIJPjSE_EEENSF_IJSE_SE_EEES9_SG_JZNS1_25segmented_radix_sort_implINS0_14default_configELb0EPKdPdPKlPlN2at6native12_GLOBAL__N_18offset_tEEE10hipError_tPvRmT1_PNSt15iterator_traitsISY_E10value_typeET2_T3_PNSZ_IS14_E10value_typeET4_jRbjT5_S1A_jjP12ihipStream_tbEUljE_EEESV_SW_SX_S14_S18_S1A_T6_T7_T9_mT8_S1C_bDpT10_ENKUlT_T0_E_clISt17integral_constantIbLb1EES1P_EEDaS1K_S1L_EUlS1K_E_NS1_11comp_targetILNS1_3genE9ELNS1_11target_archE1100ELNS1_3gpuE3ELNS1_3repE0EEENS1_30default_config_static_selectorELNS0_4arch9wavefront6targetE0EEEvSY_.num_named_barrier, 0
	.set _ZN7rocprim17ROCPRIM_400000_NS6detail17trampoline_kernelINS0_13select_configILj256ELj13ELNS0_17block_load_methodE3ELS4_3ELS4_3ELNS0_20block_scan_algorithmE0ELj4294967295EEENS1_25partition_config_selectorILNS1_17partition_subalgoE3EjNS0_10empty_typeEbEEZZNS1_14partition_implILS8_3ELb0ES6_jNS0_17counting_iteratorIjlEEPS9_SE_NS0_5tupleIJPjSE_EEENSF_IJSE_SE_EEES9_SG_JZNS1_25segmented_radix_sort_implINS0_14default_configELb0EPKdPdPKlPlN2at6native12_GLOBAL__N_18offset_tEEE10hipError_tPvRmT1_PNSt15iterator_traitsISY_E10value_typeET2_T3_PNSZ_IS14_E10value_typeET4_jRbjT5_S1A_jjP12ihipStream_tbEUljE_EEESV_SW_SX_S14_S18_S1A_T6_T7_T9_mT8_S1C_bDpT10_ENKUlT_T0_E_clISt17integral_constantIbLb1EES1P_EEDaS1K_S1L_EUlS1K_E_NS1_11comp_targetILNS1_3genE9ELNS1_11target_archE1100ELNS1_3gpuE3ELNS1_3repE0EEENS1_30default_config_static_selectorELNS0_4arch9wavefront6targetE0EEEvSY_.private_seg_size, 0
	.set _ZN7rocprim17ROCPRIM_400000_NS6detail17trampoline_kernelINS0_13select_configILj256ELj13ELNS0_17block_load_methodE3ELS4_3ELS4_3ELNS0_20block_scan_algorithmE0ELj4294967295EEENS1_25partition_config_selectorILNS1_17partition_subalgoE3EjNS0_10empty_typeEbEEZZNS1_14partition_implILS8_3ELb0ES6_jNS0_17counting_iteratorIjlEEPS9_SE_NS0_5tupleIJPjSE_EEENSF_IJSE_SE_EEES9_SG_JZNS1_25segmented_radix_sort_implINS0_14default_configELb0EPKdPdPKlPlN2at6native12_GLOBAL__N_18offset_tEEE10hipError_tPvRmT1_PNSt15iterator_traitsISY_E10value_typeET2_T3_PNSZ_IS14_E10value_typeET4_jRbjT5_S1A_jjP12ihipStream_tbEUljE_EEESV_SW_SX_S14_S18_S1A_T6_T7_T9_mT8_S1C_bDpT10_ENKUlT_T0_E_clISt17integral_constantIbLb1EES1P_EEDaS1K_S1L_EUlS1K_E_NS1_11comp_targetILNS1_3genE9ELNS1_11target_archE1100ELNS1_3gpuE3ELNS1_3repE0EEENS1_30default_config_static_selectorELNS0_4arch9wavefront6targetE0EEEvSY_.uses_vcc, 0
	.set _ZN7rocprim17ROCPRIM_400000_NS6detail17trampoline_kernelINS0_13select_configILj256ELj13ELNS0_17block_load_methodE3ELS4_3ELS4_3ELNS0_20block_scan_algorithmE0ELj4294967295EEENS1_25partition_config_selectorILNS1_17partition_subalgoE3EjNS0_10empty_typeEbEEZZNS1_14partition_implILS8_3ELb0ES6_jNS0_17counting_iteratorIjlEEPS9_SE_NS0_5tupleIJPjSE_EEENSF_IJSE_SE_EEES9_SG_JZNS1_25segmented_radix_sort_implINS0_14default_configELb0EPKdPdPKlPlN2at6native12_GLOBAL__N_18offset_tEEE10hipError_tPvRmT1_PNSt15iterator_traitsISY_E10value_typeET2_T3_PNSZ_IS14_E10value_typeET4_jRbjT5_S1A_jjP12ihipStream_tbEUljE_EEESV_SW_SX_S14_S18_S1A_T6_T7_T9_mT8_S1C_bDpT10_ENKUlT_T0_E_clISt17integral_constantIbLb1EES1P_EEDaS1K_S1L_EUlS1K_E_NS1_11comp_targetILNS1_3genE9ELNS1_11target_archE1100ELNS1_3gpuE3ELNS1_3repE0EEENS1_30default_config_static_selectorELNS0_4arch9wavefront6targetE0EEEvSY_.uses_flat_scratch, 0
	.set _ZN7rocprim17ROCPRIM_400000_NS6detail17trampoline_kernelINS0_13select_configILj256ELj13ELNS0_17block_load_methodE3ELS4_3ELS4_3ELNS0_20block_scan_algorithmE0ELj4294967295EEENS1_25partition_config_selectorILNS1_17partition_subalgoE3EjNS0_10empty_typeEbEEZZNS1_14partition_implILS8_3ELb0ES6_jNS0_17counting_iteratorIjlEEPS9_SE_NS0_5tupleIJPjSE_EEENSF_IJSE_SE_EEES9_SG_JZNS1_25segmented_radix_sort_implINS0_14default_configELb0EPKdPdPKlPlN2at6native12_GLOBAL__N_18offset_tEEE10hipError_tPvRmT1_PNSt15iterator_traitsISY_E10value_typeET2_T3_PNSZ_IS14_E10value_typeET4_jRbjT5_S1A_jjP12ihipStream_tbEUljE_EEESV_SW_SX_S14_S18_S1A_T6_T7_T9_mT8_S1C_bDpT10_ENKUlT_T0_E_clISt17integral_constantIbLb1EES1P_EEDaS1K_S1L_EUlS1K_E_NS1_11comp_targetILNS1_3genE9ELNS1_11target_archE1100ELNS1_3gpuE3ELNS1_3repE0EEENS1_30default_config_static_selectorELNS0_4arch9wavefront6targetE0EEEvSY_.has_dyn_sized_stack, 0
	.set _ZN7rocprim17ROCPRIM_400000_NS6detail17trampoline_kernelINS0_13select_configILj256ELj13ELNS0_17block_load_methodE3ELS4_3ELS4_3ELNS0_20block_scan_algorithmE0ELj4294967295EEENS1_25partition_config_selectorILNS1_17partition_subalgoE3EjNS0_10empty_typeEbEEZZNS1_14partition_implILS8_3ELb0ES6_jNS0_17counting_iteratorIjlEEPS9_SE_NS0_5tupleIJPjSE_EEENSF_IJSE_SE_EEES9_SG_JZNS1_25segmented_radix_sort_implINS0_14default_configELb0EPKdPdPKlPlN2at6native12_GLOBAL__N_18offset_tEEE10hipError_tPvRmT1_PNSt15iterator_traitsISY_E10value_typeET2_T3_PNSZ_IS14_E10value_typeET4_jRbjT5_S1A_jjP12ihipStream_tbEUljE_EEESV_SW_SX_S14_S18_S1A_T6_T7_T9_mT8_S1C_bDpT10_ENKUlT_T0_E_clISt17integral_constantIbLb1EES1P_EEDaS1K_S1L_EUlS1K_E_NS1_11comp_targetILNS1_3genE9ELNS1_11target_archE1100ELNS1_3gpuE3ELNS1_3repE0EEENS1_30default_config_static_selectorELNS0_4arch9wavefront6targetE0EEEvSY_.has_recursion, 0
	.set _ZN7rocprim17ROCPRIM_400000_NS6detail17trampoline_kernelINS0_13select_configILj256ELj13ELNS0_17block_load_methodE3ELS4_3ELS4_3ELNS0_20block_scan_algorithmE0ELj4294967295EEENS1_25partition_config_selectorILNS1_17partition_subalgoE3EjNS0_10empty_typeEbEEZZNS1_14partition_implILS8_3ELb0ES6_jNS0_17counting_iteratorIjlEEPS9_SE_NS0_5tupleIJPjSE_EEENSF_IJSE_SE_EEES9_SG_JZNS1_25segmented_radix_sort_implINS0_14default_configELb0EPKdPdPKlPlN2at6native12_GLOBAL__N_18offset_tEEE10hipError_tPvRmT1_PNSt15iterator_traitsISY_E10value_typeET2_T3_PNSZ_IS14_E10value_typeET4_jRbjT5_S1A_jjP12ihipStream_tbEUljE_EEESV_SW_SX_S14_S18_S1A_T6_T7_T9_mT8_S1C_bDpT10_ENKUlT_T0_E_clISt17integral_constantIbLb1EES1P_EEDaS1K_S1L_EUlS1K_E_NS1_11comp_targetILNS1_3genE9ELNS1_11target_archE1100ELNS1_3gpuE3ELNS1_3repE0EEENS1_30default_config_static_selectorELNS0_4arch9wavefront6targetE0EEEvSY_.has_indirect_call, 0
	.section	.AMDGPU.csdata,"",@progbits
; Kernel info:
; codeLenInByte = 0
; TotalNumSgprs: 0
; NumVgprs: 0
; ScratchSize: 0
; MemoryBound: 0
; FloatMode: 240
; IeeeMode: 1
; LDSByteSize: 0 bytes/workgroup (compile time only)
; SGPRBlocks: 0
; VGPRBlocks: 0
; NumSGPRsForWavesPerEU: 1
; NumVGPRsForWavesPerEU: 1
; Occupancy: 16
; WaveLimiterHint : 0
; COMPUTE_PGM_RSRC2:SCRATCH_EN: 0
; COMPUTE_PGM_RSRC2:USER_SGPR: 6
; COMPUTE_PGM_RSRC2:TRAP_HANDLER: 0
; COMPUTE_PGM_RSRC2:TGID_X_EN: 1
; COMPUTE_PGM_RSRC2:TGID_Y_EN: 0
; COMPUTE_PGM_RSRC2:TGID_Z_EN: 0
; COMPUTE_PGM_RSRC2:TIDIG_COMP_CNT: 0
	.section	.text._ZN7rocprim17ROCPRIM_400000_NS6detail17trampoline_kernelINS0_13select_configILj256ELj13ELNS0_17block_load_methodE3ELS4_3ELS4_3ELNS0_20block_scan_algorithmE0ELj4294967295EEENS1_25partition_config_selectorILNS1_17partition_subalgoE3EjNS0_10empty_typeEbEEZZNS1_14partition_implILS8_3ELb0ES6_jNS0_17counting_iteratorIjlEEPS9_SE_NS0_5tupleIJPjSE_EEENSF_IJSE_SE_EEES9_SG_JZNS1_25segmented_radix_sort_implINS0_14default_configELb0EPKdPdPKlPlN2at6native12_GLOBAL__N_18offset_tEEE10hipError_tPvRmT1_PNSt15iterator_traitsISY_E10value_typeET2_T3_PNSZ_IS14_E10value_typeET4_jRbjT5_S1A_jjP12ihipStream_tbEUljE_EEESV_SW_SX_S14_S18_S1A_T6_T7_T9_mT8_S1C_bDpT10_ENKUlT_T0_E_clISt17integral_constantIbLb1EES1P_EEDaS1K_S1L_EUlS1K_E_NS1_11comp_targetILNS1_3genE8ELNS1_11target_archE1030ELNS1_3gpuE2ELNS1_3repE0EEENS1_30default_config_static_selectorELNS0_4arch9wavefront6targetE0EEEvSY_,"axG",@progbits,_ZN7rocprim17ROCPRIM_400000_NS6detail17trampoline_kernelINS0_13select_configILj256ELj13ELNS0_17block_load_methodE3ELS4_3ELS4_3ELNS0_20block_scan_algorithmE0ELj4294967295EEENS1_25partition_config_selectorILNS1_17partition_subalgoE3EjNS0_10empty_typeEbEEZZNS1_14partition_implILS8_3ELb0ES6_jNS0_17counting_iteratorIjlEEPS9_SE_NS0_5tupleIJPjSE_EEENSF_IJSE_SE_EEES9_SG_JZNS1_25segmented_radix_sort_implINS0_14default_configELb0EPKdPdPKlPlN2at6native12_GLOBAL__N_18offset_tEEE10hipError_tPvRmT1_PNSt15iterator_traitsISY_E10value_typeET2_T3_PNSZ_IS14_E10value_typeET4_jRbjT5_S1A_jjP12ihipStream_tbEUljE_EEESV_SW_SX_S14_S18_S1A_T6_T7_T9_mT8_S1C_bDpT10_ENKUlT_T0_E_clISt17integral_constantIbLb1EES1P_EEDaS1K_S1L_EUlS1K_E_NS1_11comp_targetILNS1_3genE8ELNS1_11target_archE1030ELNS1_3gpuE2ELNS1_3repE0EEENS1_30default_config_static_selectorELNS0_4arch9wavefront6targetE0EEEvSY_,comdat
	.globl	_ZN7rocprim17ROCPRIM_400000_NS6detail17trampoline_kernelINS0_13select_configILj256ELj13ELNS0_17block_load_methodE3ELS4_3ELS4_3ELNS0_20block_scan_algorithmE0ELj4294967295EEENS1_25partition_config_selectorILNS1_17partition_subalgoE3EjNS0_10empty_typeEbEEZZNS1_14partition_implILS8_3ELb0ES6_jNS0_17counting_iteratorIjlEEPS9_SE_NS0_5tupleIJPjSE_EEENSF_IJSE_SE_EEES9_SG_JZNS1_25segmented_radix_sort_implINS0_14default_configELb0EPKdPdPKlPlN2at6native12_GLOBAL__N_18offset_tEEE10hipError_tPvRmT1_PNSt15iterator_traitsISY_E10value_typeET2_T3_PNSZ_IS14_E10value_typeET4_jRbjT5_S1A_jjP12ihipStream_tbEUljE_EEESV_SW_SX_S14_S18_S1A_T6_T7_T9_mT8_S1C_bDpT10_ENKUlT_T0_E_clISt17integral_constantIbLb1EES1P_EEDaS1K_S1L_EUlS1K_E_NS1_11comp_targetILNS1_3genE8ELNS1_11target_archE1030ELNS1_3gpuE2ELNS1_3repE0EEENS1_30default_config_static_selectorELNS0_4arch9wavefront6targetE0EEEvSY_ ; -- Begin function _ZN7rocprim17ROCPRIM_400000_NS6detail17trampoline_kernelINS0_13select_configILj256ELj13ELNS0_17block_load_methodE3ELS4_3ELS4_3ELNS0_20block_scan_algorithmE0ELj4294967295EEENS1_25partition_config_selectorILNS1_17partition_subalgoE3EjNS0_10empty_typeEbEEZZNS1_14partition_implILS8_3ELb0ES6_jNS0_17counting_iteratorIjlEEPS9_SE_NS0_5tupleIJPjSE_EEENSF_IJSE_SE_EEES9_SG_JZNS1_25segmented_radix_sort_implINS0_14default_configELb0EPKdPdPKlPlN2at6native12_GLOBAL__N_18offset_tEEE10hipError_tPvRmT1_PNSt15iterator_traitsISY_E10value_typeET2_T3_PNSZ_IS14_E10value_typeET4_jRbjT5_S1A_jjP12ihipStream_tbEUljE_EEESV_SW_SX_S14_S18_S1A_T6_T7_T9_mT8_S1C_bDpT10_ENKUlT_T0_E_clISt17integral_constantIbLb1EES1P_EEDaS1K_S1L_EUlS1K_E_NS1_11comp_targetILNS1_3genE8ELNS1_11target_archE1030ELNS1_3gpuE2ELNS1_3repE0EEENS1_30default_config_static_selectorELNS0_4arch9wavefront6targetE0EEEvSY_
	.p2align	8
	.type	_ZN7rocprim17ROCPRIM_400000_NS6detail17trampoline_kernelINS0_13select_configILj256ELj13ELNS0_17block_load_methodE3ELS4_3ELS4_3ELNS0_20block_scan_algorithmE0ELj4294967295EEENS1_25partition_config_selectorILNS1_17partition_subalgoE3EjNS0_10empty_typeEbEEZZNS1_14partition_implILS8_3ELb0ES6_jNS0_17counting_iteratorIjlEEPS9_SE_NS0_5tupleIJPjSE_EEENSF_IJSE_SE_EEES9_SG_JZNS1_25segmented_radix_sort_implINS0_14default_configELb0EPKdPdPKlPlN2at6native12_GLOBAL__N_18offset_tEEE10hipError_tPvRmT1_PNSt15iterator_traitsISY_E10value_typeET2_T3_PNSZ_IS14_E10value_typeET4_jRbjT5_S1A_jjP12ihipStream_tbEUljE_EEESV_SW_SX_S14_S18_S1A_T6_T7_T9_mT8_S1C_bDpT10_ENKUlT_T0_E_clISt17integral_constantIbLb1EES1P_EEDaS1K_S1L_EUlS1K_E_NS1_11comp_targetILNS1_3genE8ELNS1_11target_archE1030ELNS1_3gpuE2ELNS1_3repE0EEENS1_30default_config_static_selectorELNS0_4arch9wavefront6targetE0EEEvSY_,@function
_ZN7rocprim17ROCPRIM_400000_NS6detail17trampoline_kernelINS0_13select_configILj256ELj13ELNS0_17block_load_methodE3ELS4_3ELS4_3ELNS0_20block_scan_algorithmE0ELj4294967295EEENS1_25partition_config_selectorILNS1_17partition_subalgoE3EjNS0_10empty_typeEbEEZZNS1_14partition_implILS8_3ELb0ES6_jNS0_17counting_iteratorIjlEEPS9_SE_NS0_5tupleIJPjSE_EEENSF_IJSE_SE_EEES9_SG_JZNS1_25segmented_radix_sort_implINS0_14default_configELb0EPKdPdPKlPlN2at6native12_GLOBAL__N_18offset_tEEE10hipError_tPvRmT1_PNSt15iterator_traitsISY_E10value_typeET2_T3_PNSZ_IS14_E10value_typeET4_jRbjT5_S1A_jjP12ihipStream_tbEUljE_EEESV_SW_SX_S14_S18_S1A_T6_T7_T9_mT8_S1C_bDpT10_ENKUlT_T0_E_clISt17integral_constantIbLb1EES1P_EEDaS1K_S1L_EUlS1K_E_NS1_11comp_targetILNS1_3genE8ELNS1_11target_archE1030ELNS1_3gpuE2ELNS1_3repE0EEENS1_30default_config_static_selectorELNS0_4arch9wavefront6targetE0EEEvSY_: ; @_ZN7rocprim17ROCPRIM_400000_NS6detail17trampoline_kernelINS0_13select_configILj256ELj13ELNS0_17block_load_methodE3ELS4_3ELS4_3ELNS0_20block_scan_algorithmE0ELj4294967295EEENS1_25partition_config_selectorILNS1_17partition_subalgoE3EjNS0_10empty_typeEbEEZZNS1_14partition_implILS8_3ELb0ES6_jNS0_17counting_iteratorIjlEEPS9_SE_NS0_5tupleIJPjSE_EEENSF_IJSE_SE_EEES9_SG_JZNS1_25segmented_radix_sort_implINS0_14default_configELb0EPKdPdPKlPlN2at6native12_GLOBAL__N_18offset_tEEE10hipError_tPvRmT1_PNSt15iterator_traitsISY_E10value_typeET2_T3_PNSZ_IS14_E10value_typeET4_jRbjT5_S1A_jjP12ihipStream_tbEUljE_EEESV_SW_SX_S14_S18_S1A_T6_T7_T9_mT8_S1C_bDpT10_ENKUlT_T0_E_clISt17integral_constantIbLb1EES1P_EEDaS1K_S1L_EUlS1K_E_NS1_11comp_targetILNS1_3genE8ELNS1_11target_archE1030ELNS1_3gpuE2ELNS1_3repE0EEENS1_30default_config_static_selectorELNS0_4arch9wavefront6targetE0EEEvSY_
; %bb.0:
	s_endpgm
	.section	.rodata,"a",@progbits
	.p2align	6, 0x0
	.amdhsa_kernel _ZN7rocprim17ROCPRIM_400000_NS6detail17trampoline_kernelINS0_13select_configILj256ELj13ELNS0_17block_load_methodE3ELS4_3ELS4_3ELNS0_20block_scan_algorithmE0ELj4294967295EEENS1_25partition_config_selectorILNS1_17partition_subalgoE3EjNS0_10empty_typeEbEEZZNS1_14partition_implILS8_3ELb0ES6_jNS0_17counting_iteratorIjlEEPS9_SE_NS0_5tupleIJPjSE_EEENSF_IJSE_SE_EEES9_SG_JZNS1_25segmented_radix_sort_implINS0_14default_configELb0EPKdPdPKlPlN2at6native12_GLOBAL__N_18offset_tEEE10hipError_tPvRmT1_PNSt15iterator_traitsISY_E10value_typeET2_T3_PNSZ_IS14_E10value_typeET4_jRbjT5_S1A_jjP12ihipStream_tbEUljE_EEESV_SW_SX_S14_S18_S1A_T6_T7_T9_mT8_S1C_bDpT10_ENKUlT_T0_E_clISt17integral_constantIbLb1EES1P_EEDaS1K_S1L_EUlS1K_E_NS1_11comp_targetILNS1_3genE8ELNS1_11target_archE1030ELNS1_3gpuE2ELNS1_3repE0EEENS1_30default_config_static_selectorELNS0_4arch9wavefront6targetE0EEEvSY_
		.amdhsa_group_segment_fixed_size 0
		.amdhsa_private_segment_fixed_size 0
		.amdhsa_kernarg_size 152
		.amdhsa_user_sgpr_count 6
		.amdhsa_user_sgpr_private_segment_buffer 1
		.amdhsa_user_sgpr_dispatch_ptr 0
		.amdhsa_user_sgpr_queue_ptr 0
		.amdhsa_user_sgpr_kernarg_segment_ptr 1
		.amdhsa_user_sgpr_dispatch_id 0
		.amdhsa_user_sgpr_flat_scratch_init 0
		.amdhsa_user_sgpr_private_segment_size 0
		.amdhsa_wavefront_size32 1
		.amdhsa_uses_dynamic_stack 0
		.amdhsa_system_sgpr_private_segment_wavefront_offset 0
		.amdhsa_system_sgpr_workgroup_id_x 1
		.amdhsa_system_sgpr_workgroup_id_y 0
		.amdhsa_system_sgpr_workgroup_id_z 0
		.amdhsa_system_sgpr_workgroup_info 0
		.amdhsa_system_vgpr_workitem_id 0
		.amdhsa_next_free_vgpr 1
		.amdhsa_next_free_sgpr 1
		.amdhsa_reserve_vcc 0
		.amdhsa_reserve_flat_scratch 0
		.amdhsa_float_round_mode_32 0
		.amdhsa_float_round_mode_16_64 0
		.amdhsa_float_denorm_mode_32 3
		.amdhsa_float_denorm_mode_16_64 3
		.amdhsa_dx10_clamp 1
		.amdhsa_ieee_mode 1
		.amdhsa_fp16_overflow 0
		.amdhsa_workgroup_processor_mode 1
		.amdhsa_memory_ordered 1
		.amdhsa_forward_progress 1
		.amdhsa_shared_vgpr_count 0
		.amdhsa_exception_fp_ieee_invalid_op 0
		.amdhsa_exception_fp_denorm_src 0
		.amdhsa_exception_fp_ieee_div_zero 0
		.amdhsa_exception_fp_ieee_overflow 0
		.amdhsa_exception_fp_ieee_underflow 0
		.amdhsa_exception_fp_ieee_inexact 0
		.amdhsa_exception_int_div_zero 0
	.end_amdhsa_kernel
	.section	.text._ZN7rocprim17ROCPRIM_400000_NS6detail17trampoline_kernelINS0_13select_configILj256ELj13ELNS0_17block_load_methodE3ELS4_3ELS4_3ELNS0_20block_scan_algorithmE0ELj4294967295EEENS1_25partition_config_selectorILNS1_17partition_subalgoE3EjNS0_10empty_typeEbEEZZNS1_14partition_implILS8_3ELb0ES6_jNS0_17counting_iteratorIjlEEPS9_SE_NS0_5tupleIJPjSE_EEENSF_IJSE_SE_EEES9_SG_JZNS1_25segmented_radix_sort_implINS0_14default_configELb0EPKdPdPKlPlN2at6native12_GLOBAL__N_18offset_tEEE10hipError_tPvRmT1_PNSt15iterator_traitsISY_E10value_typeET2_T3_PNSZ_IS14_E10value_typeET4_jRbjT5_S1A_jjP12ihipStream_tbEUljE_EEESV_SW_SX_S14_S18_S1A_T6_T7_T9_mT8_S1C_bDpT10_ENKUlT_T0_E_clISt17integral_constantIbLb1EES1P_EEDaS1K_S1L_EUlS1K_E_NS1_11comp_targetILNS1_3genE8ELNS1_11target_archE1030ELNS1_3gpuE2ELNS1_3repE0EEENS1_30default_config_static_selectorELNS0_4arch9wavefront6targetE0EEEvSY_,"axG",@progbits,_ZN7rocprim17ROCPRIM_400000_NS6detail17trampoline_kernelINS0_13select_configILj256ELj13ELNS0_17block_load_methodE3ELS4_3ELS4_3ELNS0_20block_scan_algorithmE0ELj4294967295EEENS1_25partition_config_selectorILNS1_17partition_subalgoE3EjNS0_10empty_typeEbEEZZNS1_14partition_implILS8_3ELb0ES6_jNS0_17counting_iteratorIjlEEPS9_SE_NS0_5tupleIJPjSE_EEENSF_IJSE_SE_EEES9_SG_JZNS1_25segmented_radix_sort_implINS0_14default_configELb0EPKdPdPKlPlN2at6native12_GLOBAL__N_18offset_tEEE10hipError_tPvRmT1_PNSt15iterator_traitsISY_E10value_typeET2_T3_PNSZ_IS14_E10value_typeET4_jRbjT5_S1A_jjP12ihipStream_tbEUljE_EEESV_SW_SX_S14_S18_S1A_T6_T7_T9_mT8_S1C_bDpT10_ENKUlT_T0_E_clISt17integral_constantIbLb1EES1P_EEDaS1K_S1L_EUlS1K_E_NS1_11comp_targetILNS1_3genE8ELNS1_11target_archE1030ELNS1_3gpuE2ELNS1_3repE0EEENS1_30default_config_static_selectorELNS0_4arch9wavefront6targetE0EEEvSY_,comdat
.Lfunc_end1196:
	.size	_ZN7rocprim17ROCPRIM_400000_NS6detail17trampoline_kernelINS0_13select_configILj256ELj13ELNS0_17block_load_methodE3ELS4_3ELS4_3ELNS0_20block_scan_algorithmE0ELj4294967295EEENS1_25partition_config_selectorILNS1_17partition_subalgoE3EjNS0_10empty_typeEbEEZZNS1_14partition_implILS8_3ELb0ES6_jNS0_17counting_iteratorIjlEEPS9_SE_NS0_5tupleIJPjSE_EEENSF_IJSE_SE_EEES9_SG_JZNS1_25segmented_radix_sort_implINS0_14default_configELb0EPKdPdPKlPlN2at6native12_GLOBAL__N_18offset_tEEE10hipError_tPvRmT1_PNSt15iterator_traitsISY_E10value_typeET2_T3_PNSZ_IS14_E10value_typeET4_jRbjT5_S1A_jjP12ihipStream_tbEUljE_EEESV_SW_SX_S14_S18_S1A_T6_T7_T9_mT8_S1C_bDpT10_ENKUlT_T0_E_clISt17integral_constantIbLb1EES1P_EEDaS1K_S1L_EUlS1K_E_NS1_11comp_targetILNS1_3genE8ELNS1_11target_archE1030ELNS1_3gpuE2ELNS1_3repE0EEENS1_30default_config_static_selectorELNS0_4arch9wavefront6targetE0EEEvSY_, .Lfunc_end1196-_ZN7rocprim17ROCPRIM_400000_NS6detail17trampoline_kernelINS0_13select_configILj256ELj13ELNS0_17block_load_methodE3ELS4_3ELS4_3ELNS0_20block_scan_algorithmE0ELj4294967295EEENS1_25partition_config_selectorILNS1_17partition_subalgoE3EjNS0_10empty_typeEbEEZZNS1_14partition_implILS8_3ELb0ES6_jNS0_17counting_iteratorIjlEEPS9_SE_NS0_5tupleIJPjSE_EEENSF_IJSE_SE_EEES9_SG_JZNS1_25segmented_radix_sort_implINS0_14default_configELb0EPKdPdPKlPlN2at6native12_GLOBAL__N_18offset_tEEE10hipError_tPvRmT1_PNSt15iterator_traitsISY_E10value_typeET2_T3_PNSZ_IS14_E10value_typeET4_jRbjT5_S1A_jjP12ihipStream_tbEUljE_EEESV_SW_SX_S14_S18_S1A_T6_T7_T9_mT8_S1C_bDpT10_ENKUlT_T0_E_clISt17integral_constantIbLb1EES1P_EEDaS1K_S1L_EUlS1K_E_NS1_11comp_targetILNS1_3genE8ELNS1_11target_archE1030ELNS1_3gpuE2ELNS1_3repE0EEENS1_30default_config_static_selectorELNS0_4arch9wavefront6targetE0EEEvSY_
                                        ; -- End function
	.set _ZN7rocprim17ROCPRIM_400000_NS6detail17trampoline_kernelINS0_13select_configILj256ELj13ELNS0_17block_load_methodE3ELS4_3ELS4_3ELNS0_20block_scan_algorithmE0ELj4294967295EEENS1_25partition_config_selectorILNS1_17partition_subalgoE3EjNS0_10empty_typeEbEEZZNS1_14partition_implILS8_3ELb0ES6_jNS0_17counting_iteratorIjlEEPS9_SE_NS0_5tupleIJPjSE_EEENSF_IJSE_SE_EEES9_SG_JZNS1_25segmented_radix_sort_implINS0_14default_configELb0EPKdPdPKlPlN2at6native12_GLOBAL__N_18offset_tEEE10hipError_tPvRmT1_PNSt15iterator_traitsISY_E10value_typeET2_T3_PNSZ_IS14_E10value_typeET4_jRbjT5_S1A_jjP12ihipStream_tbEUljE_EEESV_SW_SX_S14_S18_S1A_T6_T7_T9_mT8_S1C_bDpT10_ENKUlT_T0_E_clISt17integral_constantIbLb1EES1P_EEDaS1K_S1L_EUlS1K_E_NS1_11comp_targetILNS1_3genE8ELNS1_11target_archE1030ELNS1_3gpuE2ELNS1_3repE0EEENS1_30default_config_static_selectorELNS0_4arch9wavefront6targetE0EEEvSY_.num_vgpr, 0
	.set _ZN7rocprim17ROCPRIM_400000_NS6detail17trampoline_kernelINS0_13select_configILj256ELj13ELNS0_17block_load_methodE3ELS4_3ELS4_3ELNS0_20block_scan_algorithmE0ELj4294967295EEENS1_25partition_config_selectorILNS1_17partition_subalgoE3EjNS0_10empty_typeEbEEZZNS1_14partition_implILS8_3ELb0ES6_jNS0_17counting_iteratorIjlEEPS9_SE_NS0_5tupleIJPjSE_EEENSF_IJSE_SE_EEES9_SG_JZNS1_25segmented_radix_sort_implINS0_14default_configELb0EPKdPdPKlPlN2at6native12_GLOBAL__N_18offset_tEEE10hipError_tPvRmT1_PNSt15iterator_traitsISY_E10value_typeET2_T3_PNSZ_IS14_E10value_typeET4_jRbjT5_S1A_jjP12ihipStream_tbEUljE_EEESV_SW_SX_S14_S18_S1A_T6_T7_T9_mT8_S1C_bDpT10_ENKUlT_T0_E_clISt17integral_constantIbLb1EES1P_EEDaS1K_S1L_EUlS1K_E_NS1_11comp_targetILNS1_3genE8ELNS1_11target_archE1030ELNS1_3gpuE2ELNS1_3repE0EEENS1_30default_config_static_selectorELNS0_4arch9wavefront6targetE0EEEvSY_.num_agpr, 0
	.set _ZN7rocprim17ROCPRIM_400000_NS6detail17trampoline_kernelINS0_13select_configILj256ELj13ELNS0_17block_load_methodE3ELS4_3ELS4_3ELNS0_20block_scan_algorithmE0ELj4294967295EEENS1_25partition_config_selectorILNS1_17partition_subalgoE3EjNS0_10empty_typeEbEEZZNS1_14partition_implILS8_3ELb0ES6_jNS0_17counting_iteratorIjlEEPS9_SE_NS0_5tupleIJPjSE_EEENSF_IJSE_SE_EEES9_SG_JZNS1_25segmented_radix_sort_implINS0_14default_configELb0EPKdPdPKlPlN2at6native12_GLOBAL__N_18offset_tEEE10hipError_tPvRmT1_PNSt15iterator_traitsISY_E10value_typeET2_T3_PNSZ_IS14_E10value_typeET4_jRbjT5_S1A_jjP12ihipStream_tbEUljE_EEESV_SW_SX_S14_S18_S1A_T6_T7_T9_mT8_S1C_bDpT10_ENKUlT_T0_E_clISt17integral_constantIbLb1EES1P_EEDaS1K_S1L_EUlS1K_E_NS1_11comp_targetILNS1_3genE8ELNS1_11target_archE1030ELNS1_3gpuE2ELNS1_3repE0EEENS1_30default_config_static_selectorELNS0_4arch9wavefront6targetE0EEEvSY_.numbered_sgpr, 0
	.set _ZN7rocprim17ROCPRIM_400000_NS6detail17trampoline_kernelINS0_13select_configILj256ELj13ELNS0_17block_load_methodE3ELS4_3ELS4_3ELNS0_20block_scan_algorithmE0ELj4294967295EEENS1_25partition_config_selectorILNS1_17partition_subalgoE3EjNS0_10empty_typeEbEEZZNS1_14partition_implILS8_3ELb0ES6_jNS0_17counting_iteratorIjlEEPS9_SE_NS0_5tupleIJPjSE_EEENSF_IJSE_SE_EEES9_SG_JZNS1_25segmented_radix_sort_implINS0_14default_configELb0EPKdPdPKlPlN2at6native12_GLOBAL__N_18offset_tEEE10hipError_tPvRmT1_PNSt15iterator_traitsISY_E10value_typeET2_T3_PNSZ_IS14_E10value_typeET4_jRbjT5_S1A_jjP12ihipStream_tbEUljE_EEESV_SW_SX_S14_S18_S1A_T6_T7_T9_mT8_S1C_bDpT10_ENKUlT_T0_E_clISt17integral_constantIbLb1EES1P_EEDaS1K_S1L_EUlS1K_E_NS1_11comp_targetILNS1_3genE8ELNS1_11target_archE1030ELNS1_3gpuE2ELNS1_3repE0EEENS1_30default_config_static_selectorELNS0_4arch9wavefront6targetE0EEEvSY_.num_named_barrier, 0
	.set _ZN7rocprim17ROCPRIM_400000_NS6detail17trampoline_kernelINS0_13select_configILj256ELj13ELNS0_17block_load_methodE3ELS4_3ELS4_3ELNS0_20block_scan_algorithmE0ELj4294967295EEENS1_25partition_config_selectorILNS1_17partition_subalgoE3EjNS0_10empty_typeEbEEZZNS1_14partition_implILS8_3ELb0ES6_jNS0_17counting_iteratorIjlEEPS9_SE_NS0_5tupleIJPjSE_EEENSF_IJSE_SE_EEES9_SG_JZNS1_25segmented_radix_sort_implINS0_14default_configELb0EPKdPdPKlPlN2at6native12_GLOBAL__N_18offset_tEEE10hipError_tPvRmT1_PNSt15iterator_traitsISY_E10value_typeET2_T3_PNSZ_IS14_E10value_typeET4_jRbjT5_S1A_jjP12ihipStream_tbEUljE_EEESV_SW_SX_S14_S18_S1A_T6_T7_T9_mT8_S1C_bDpT10_ENKUlT_T0_E_clISt17integral_constantIbLb1EES1P_EEDaS1K_S1L_EUlS1K_E_NS1_11comp_targetILNS1_3genE8ELNS1_11target_archE1030ELNS1_3gpuE2ELNS1_3repE0EEENS1_30default_config_static_selectorELNS0_4arch9wavefront6targetE0EEEvSY_.private_seg_size, 0
	.set _ZN7rocprim17ROCPRIM_400000_NS6detail17trampoline_kernelINS0_13select_configILj256ELj13ELNS0_17block_load_methodE3ELS4_3ELS4_3ELNS0_20block_scan_algorithmE0ELj4294967295EEENS1_25partition_config_selectorILNS1_17partition_subalgoE3EjNS0_10empty_typeEbEEZZNS1_14partition_implILS8_3ELb0ES6_jNS0_17counting_iteratorIjlEEPS9_SE_NS0_5tupleIJPjSE_EEENSF_IJSE_SE_EEES9_SG_JZNS1_25segmented_radix_sort_implINS0_14default_configELb0EPKdPdPKlPlN2at6native12_GLOBAL__N_18offset_tEEE10hipError_tPvRmT1_PNSt15iterator_traitsISY_E10value_typeET2_T3_PNSZ_IS14_E10value_typeET4_jRbjT5_S1A_jjP12ihipStream_tbEUljE_EEESV_SW_SX_S14_S18_S1A_T6_T7_T9_mT8_S1C_bDpT10_ENKUlT_T0_E_clISt17integral_constantIbLb1EES1P_EEDaS1K_S1L_EUlS1K_E_NS1_11comp_targetILNS1_3genE8ELNS1_11target_archE1030ELNS1_3gpuE2ELNS1_3repE0EEENS1_30default_config_static_selectorELNS0_4arch9wavefront6targetE0EEEvSY_.uses_vcc, 0
	.set _ZN7rocprim17ROCPRIM_400000_NS6detail17trampoline_kernelINS0_13select_configILj256ELj13ELNS0_17block_load_methodE3ELS4_3ELS4_3ELNS0_20block_scan_algorithmE0ELj4294967295EEENS1_25partition_config_selectorILNS1_17partition_subalgoE3EjNS0_10empty_typeEbEEZZNS1_14partition_implILS8_3ELb0ES6_jNS0_17counting_iteratorIjlEEPS9_SE_NS0_5tupleIJPjSE_EEENSF_IJSE_SE_EEES9_SG_JZNS1_25segmented_radix_sort_implINS0_14default_configELb0EPKdPdPKlPlN2at6native12_GLOBAL__N_18offset_tEEE10hipError_tPvRmT1_PNSt15iterator_traitsISY_E10value_typeET2_T3_PNSZ_IS14_E10value_typeET4_jRbjT5_S1A_jjP12ihipStream_tbEUljE_EEESV_SW_SX_S14_S18_S1A_T6_T7_T9_mT8_S1C_bDpT10_ENKUlT_T0_E_clISt17integral_constantIbLb1EES1P_EEDaS1K_S1L_EUlS1K_E_NS1_11comp_targetILNS1_3genE8ELNS1_11target_archE1030ELNS1_3gpuE2ELNS1_3repE0EEENS1_30default_config_static_selectorELNS0_4arch9wavefront6targetE0EEEvSY_.uses_flat_scratch, 0
	.set _ZN7rocprim17ROCPRIM_400000_NS6detail17trampoline_kernelINS0_13select_configILj256ELj13ELNS0_17block_load_methodE3ELS4_3ELS4_3ELNS0_20block_scan_algorithmE0ELj4294967295EEENS1_25partition_config_selectorILNS1_17partition_subalgoE3EjNS0_10empty_typeEbEEZZNS1_14partition_implILS8_3ELb0ES6_jNS0_17counting_iteratorIjlEEPS9_SE_NS0_5tupleIJPjSE_EEENSF_IJSE_SE_EEES9_SG_JZNS1_25segmented_radix_sort_implINS0_14default_configELb0EPKdPdPKlPlN2at6native12_GLOBAL__N_18offset_tEEE10hipError_tPvRmT1_PNSt15iterator_traitsISY_E10value_typeET2_T3_PNSZ_IS14_E10value_typeET4_jRbjT5_S1A_jjP12ihipStream_tbEUljE_EEESV_SW_SX_S14_S18_S1A_T6_T7_T9_mT8_S1C_bDpT10_ENKUlT_T0_E_clISt17integral_constantIbLb1EES1P_EEDaS1K_S1L_EUlS1K_E_NS1_11comp_targetILNS1_3genE8ELNS1_11target_archE1030ELNS1_3gpuE2ELNS1_3repE0EEENS1_30default_config_static_selectorELNS0_4arch9wavefront6targetE0EEEvSY_.has_dyn_sized_stack, 0
	.set _ZN7rocprim17ROCPRIM_400000_NS6detail17trampoline_kernelINS0_13select_configILj256ELj13ELNS0_17block_load_methodE3ELS4_3ELS4_3ELNS0_20block_scan_algorithmE0ELj4294967295EEENS1_25partition_config_selectorILNS1_17partition_subalgoE3EjNS0_10empty_typeEbEEZZNS1_14partition_implILS8_3ELb0ES6_jNS0_17counting_iteratorIjlEEPS9_SE_NS0_5tupleIJPjSE_EEENSF_IJSE_SE_EEES9_SG_JZNS1_25segmented_radix_sort_implINS0_14default_configELb0EPKdPdPKlPlN2at6native12_GLOBAL__N_18offset_tEEE10hipError_tPvRmT1_PNSt15iterator_traitsISY_E10value_typeET2_T3_PNSZ_IS14_E10value_typeET4_jRbjT5_S1A_jjP12ihipStream_tbEUljE_EEESV_SW_SX_S14_S18_S1A_T6_T7_T9_mT8_S1C_bDpT10_ENKUlT_T0_E_clISt17integral_constantIbLb1EES1P_EEDaS1K_S1L_EUlS1K_E_NS1_11comp_targetILNS1_3genE8ELNS1_11target_archE1030ELNS1_3gpuE2ELNS1_3repE0EEENS1_30default_config_static_selectorELNS0_4arch9wavefront6targetE0EEEvSY_.has_recursion, 0
	.set _ZN7rocprim17ROCPRIM_400000_NS6detail17trampoline_kernelINS0_13select_configILj256ELj13ELNS0_17block_load_methodE3ELS4_3ELS4_3ELNS0_20block_scan_algorithmE0ELj4294967295EEENS1_25partition_config_selectorILNS1_17partition_subalgoE3EjNS0_10empty_typeEbEEZZNS1_14partition_implILS8_3ELb0ES6_jNS0_17counting_iteratorIjlEEPS9_SE_NS0_5tupleIJPjSE_EEENSF_IJSE_SE_EEES9_SG_JZNS1_25segmented_radix_sort_implINS0_14default_configELb0EPKdPdPKlPlN2at6native12_GLOBAL__N_18offset_tEEE10hipError_tPvRmT1_PNSt15iterator_traitsISY_E10value_typeET2_T3_PNSZ_IS14_E10value_typeET4_jRbjT5_S1A_jjP12ihipStream_tbEUljE_EEESV_SW_SX_S14_S18_S1A_T6_T7_T9_mT8_S1C_bDpT10_ENKUlT_T0_E_clISt17integral_constantIbLb1EES1P_EEDaS1K_S1L_EUlS1K_E_NS1_11comp_targetILNS1_3genE8ELNS1_11target_archE1030ELNS1_3gpuE2ELNS1_3repE0EEENS1_30default_config_static_selectorELNS0_4arch9wavefront6targetE0EEEvSY_.has_indirect_call, 0
	.section	.AMDGPU.csdata,"",@progbits
; Kernel info:
; codeLenInByte = 4
; TotalNumSgprs: 0
; NumVgprs: 0
; ScratchSize: 0
; MemoryBound: 0
; FloatMode: 240
; IeeeMode: 1
; LDSByteSize: 0 bytes/workgroup (compile time only)
; SGPRBlocks: 0
; VGPRBlocks: 0
; NumSGPRsForWavesPerEU: 1
; NumVGPRsForWavesPerEU: 1
; Occupancy: 16
; WaveLimiterHint : 0
; COMPUTE_PGM_RSRC2:SCRATCH_EN: 0
; COMPUTE_PGM_RSRC2:USER_SGPR: 6
; COMPUTE_PGM_RSRC2:TRAP_HANDLER: 0
; COMPUTE_PGM_RSRC2:TGID_X_EN: 1
; COMPUTE_PGM_RSRC2:TGID_Y_EN: 0
; COMPUTE_PGM_RSRC2:TGID_Z_EN: 0
; COMPUTE_PGM_RSRC2:TIDIG_COMP_CNT: 0
	.section	.text._ZN7rocprim17ROCPRIM_400000_NS6detail17trampoline_kernelINS0_13select_configILj256ELj13ELNS0_17block_load_methodE3ELS4_3ELS4_3ELNS0_20block_scan_algorithmE0ELj4294967295EEENS1_25partition_config_selectorILNS1_17partition_subalgoE3EjNS0_10empty_typeEbEEZZNS1_14partition_implILS8_3ELb0ES6_jNS0_17counting_iteratorIjlEEPS9_SE_NS0_5tupleIJPjSE_EEENSF_IJSE_SE_EEES9_SG_JZNS1_25segmented_radix_sort_implINS0_14default_configELb0EPKdPdPKlPlN2at6native12_GLOBAL__N_18offset_tEEE10hipError_tPvRmT1_PNSt15iterator_traitsISY_E10value_typeET2_T3_PNSZ_IS14_E10value_typeET4_jRbjT5_S1A_jjP12ihipStream_tbEUljE_EEESV_SW_SX_S14_S18_S1A_T6_T7_T9_mT8_S1C_bDpT10_ENKUlT_T0_E_clISt17integral_constantIbLb1EES1O_IbLb0EEEEDaS1K_S1L_EUlS1K_E_NS1_11comp_targetILNS1_3genE0ELNS1_11target_archE4294967295ELNS1_3gpuE0ELNS1_3repE0EEENS1_30default_config_static_selectorELNS0_4arch9wavefront6targetE0EEEvSY_,"axG",@progbits,_ZN7rocprim17ROCPRIM_400000_NS6detail17trampoline_kernelINS0_13select_configILj256ELj13ELNS0_17block_load_methodE3ELS4_3ELS4_3ELNS0_20block_scan_algorithmE0ELj4294967295EEENS1_25partition_config_selectorILNS1_17partition_subalgoE3EjNS0_10empty_typeEbEEZZNS1_14partition_implILS8_3ELb0ES6_jNS0_17counting_iteratorIjlEEPS9_SE_NS0_5tupleIJPjSE_EEENSF_IJSE_SE_EEES9_SG_JZNS1_25segmented_radix_sort_implINS0_14default_configELb0EPKdPdPKlPlN2at6native12_GLOBAL__N_18offset_tEEE10hipError_tPvRmT1_PNSt15iterator_traitsISY_E10value_typeET2_T3_PNSZ_IS14_E10value_typeET4_jRbjT5_S1A_jjP12ihipStream_tbEUljE_EEESV_SW_SX_S14_S18_S1A_T6_T7_T9_mT8_S1C_bDpT10_ENKUlT_T0_E_clISt17integral_constantIbLb1EES1O_IbLb0EEEEDaS1K_S1L_EUlS1K_E_NS1_11comp_targetILNS1_3genE0ELNS1_11target_archE4294967295ELNS1_3gpuE0ELNS1_3repE0EEENS1_30default_config_static_selectorELNS0_4arch9wavefront6targetE0EEEvSY_,comdat
	.globl	_ZN7rocprim17ROCPRIM_400000_NS6detail17trampoline_kernelINS0_13select_configILj256ELj13ELNS0_17block_load_methodE3ELS4_3ELS4_3ELNS0_20block_scan_algorithmE0ELj4294967295EEENS1_25partition_config_selectorILNS1_17partition_subalgoE3EjNS0_10empty_typeEbEEZZNS1_14partition_implILS8_3ELb0ES6_jNS0_17counting_iteratorIjlEEPS9_SE_NS0_5tupleIJPjSE_EEENSF_IJSE_SE_EEES9_SG_JZNS1_25segmented_radix_sort_implINS0_14default_configELb0EPKdPdPKlPlN2at6native12_GLOBAL__N_18offset_tEEE10hipError_tPvRmT1_PNSt15iterator_traitsISY_E10value_typeET2_T3_PNSZ_IS14_E10value_typeET4_jRbjT5_S1A_jjP12ihipStream_tbEUljE_EEESV_SW_SX_S14_S18_S1A_T6_T7_T9_mT8_S1C_bDpT10_ENKUlT_T0_E_clISt17integral_constantIbLb1EES1O_IbLb0EEEEDaS1K_S1L_EUlS1K_E_NS1_11comp_targetILNS1_3genE0ELNS1_11target_archE4294967295ELNS1_3gpuE0ELNS1_3repE0EEENS1_30default_config_static_selectorELNS0_4arch9wavefront6targetE0EEEvSY_ ; -- Begin function _ZN7rocprim17ROCPRIM_400000_NS6detail17trampoline_kernelINS0_13select_configILj256ELj13ELNS0_17block_load_methodE3ELS4_3ELS4_3ELNS0_20block_scan_algorithmE0ELj4294967295EEENS1_25partition_config_selectorILNS1_17partition_subalgoE3EjNS0_10empty_typeEbEEZZNS1_14partition_implILS8_3ELb0ES6_jNS0_17counting_iteratorIjlEEPS9_SE_NS0_5tupleIJPjSE_EEENSF_IJSE_SE_EEES9_SG_JZNS1_25segmented_radix_sort_implINS0_14default_configELb0EPKdPdPKlPlN2at6native12_GLOBAL__N_18offset_tEEE10hipError_tPvRmT1_PNSt15iterator_traitsISY_E10value_typeET2_T3_PNSZ_IS14_E10value_typeET4_jRbjT5_S1A_jjP12ihipStream_tbEUljE_EEESV_SW_SX_S14_S18_S1A_T6_T7_T9_mT8_S1C_bDpT10_ENKUlT_T0_E_clISt17integral_constantIbLb1EES1O_IbLb0EEEEDaS1K_S1L_EUlS1K_E_NS1_11comp_targetILNS1_3genE0ELNS1_11target_archE4294967295ELNS1_3gpuE0ELNS1_3repE0EEENS1_30default_config_static_selectorELNS0_4arch9wavefront6targetE0EEEvSY_
	.p2align	8
	.type	_ZN7rocprim17ROCPRIM_400000_NS6detail17trampoline_kernelINS0_13select_configILj256ELj13ELNS0_17block_load_methodE3ELS4_3ELS4_3ELNS0_20block_scan_algorithmE0ELj4294967295EEENS1_25partition_config_selectorILNS1_17partition_subalgoE3EjNS0_10empty_typeEbEEZZNS1_14partition_implILS8_3ELb0ES6_jNS0_17counting_iteratorIjlEEPS9_SE_NS0_5tupleIJPjSE_EEENSF_IJSE_SE_EEES9_SG_JZNS1_25segmented_radix_sort_implINS0_14default_configELb0EPKdPdPKlPlN2at6native12_GLOBAL__N_18offset_tEEE10hipError_tPvRmT1_PNSt15iterator_traitsISY_E10value_typeET2_T3_PNSZ_IS14_E10value_typeET4_jRbjT5_S1A_jjP12ihipStream_tbEUljE_EEESV_SW_SX_S14_S18_S1A_T6_T7_T9_mT8_S1C_bDpT10_ENKUlT_T0_E_clISt17integral_constantIbLb1EES1O_IbLb0EEEEDaS1K_S1L_EUlS1K_E_NS1_11comp_targetILNS1_3genE0ELNS1_11target_archE4294967295ELNS1_3gpuE0ELNS1_3repE0EEENS1_30default_config_static_selectorELNS0_4arch9wavefront6targetE0EEEvSY_,@function
_ZN7rocprim17ROCPRIM_400000_NS6detail17trampoline_kernelINS0_13select_configILj256ELj13ELNS0_17block_load_methodE3ELS4_3ELS4_3ELNS0_20block_scan_algorithmE0ELj4294967295EEENS1_25partition_config_selectorILNS1_17partition_subalgoE3EjNS0_10empty_typeEbEEZZNS1_14partition_implILS8_3ELb0ES6_jNS0_17counting_iteratorIjlEEPS9_SE_NS0_5tupleIJPjSE_EEENSF_IJSE_SE_EEES9_SG_JZNS1_25segmented_radix_sort_implINS0_14default_configELb0EPKdPdPKlPlN2at6native12_GLOBAL__N_18offset_tEEE10hipError_tPvRmT1_PNSt15iterator_traitsISY_E10value_typeET2_T3_PNSZ_IS14_E10value_typeET4_jRbjT5_S1A_jjP12ihipStream_tbEUljE_EEESV_SW_SX_S14_S18_S1A_T6_T7_T9_mT8_S1C_bDpT10_ENKUlT_T0_E_clISt17integral_constantIbLb1EES1O_IbLb0EEEEDaS1K_S1L_EUlS1K_E_NS1_11comp_targetILNS1_3genE0ELNS1_11target_archE4294967295ELNS1_3gpuE0ELNS1_3repE0EEENS1_30default_config_static_selectorELNS0_4arch9wavefront6targetE0EEEvSY_: ; @_ZN7rocprim17ROCPRIM_400000_NS6detail17trampoline_kernelINS0_13select_configILj256ELj13ELNS0_17block_load_methodE3ELS4_3ELS4_3ELNS0_20block_scan_algorithmE0ELj4294967295EEENS1_25partition_config_selectorILNS1_17partition_subalgoE3EjNS0_10empty_typeEbEEZZNS1_14partition_implILS8_3ELb0ES6_jNS0_17counting_iteratorIjlEEPS9_SE_NS0_5tupleIJPjSE_EEENSF_IJSE_SE_EEES9_SG_JZNS1_25segmented_radix_sort_implINS0_14default_configELb0EPKdPdPKlPlN2at6native12_GLOBAL__N_18offset_tEEE10hipError_tPvRmT1_PNSt15iterator_traitsISY_E10value_typeET2_T3_PNSZ_IS14_E10value_typeET4_jRbjT5_S1A_jjP12ihipStream_tbEUljE_EEESV_SW_SX_S14_S18_S1A_T6_T7_T9_mT8_S1C_bDpT10_ENKUlT_T0_E_clISt17integral_constantIbLb1EES1O_IbLb0EEEEDaS1K_S1L_EUlS1K_E_NS1_11comp_targetILNS1_3genE0ELNS1_11target_archE4294967295ELNS1_3gpuE0ELNS1_3repE0EEENS1_30default_config_static_selectorELNS0_4arch9wavefront6targetE0EEEvSY_
; %bb.0:
	.section	.rodata,"a",@progbits
	.p2align	6, 0x0
	.amdhsa_kernel _ZN7rocprim17ROCPRIM_400000_NS6detail17trampoline_kernelINS0_13select_configILj256ELj13ELNS0_17block_load_methodE3ELS4_3ELS4_3ELNS0_20block_scan_algorithmE0ELj4294967295EEENS1_25partition_config_selectorILNS1_17partition_subalgoE3EjNS0_10empty_typeEbEEZZNS1_14partition_implILS8_3ELb0ES6_jNS0_17counting_iteratorIjlEEPS9_SE_NS0_5tupleIJPjSE_EEENSF_IJSE_SE_EEES9_SG_JZNS1_25segmented_radix_sort_implINS0_14default_configELb0EPKdPdPKlPlN2at6native12_GLOBAL__N_18offset_tEEE10hipError_tPvRmT1_PNSt15iterator_traitsISY_E10value_typeET2_T3_PNSZ_IS14_E10value_typeET4_jRbjT5_S1A_jjP12ihipStream_tbEUljE_EEESV_SW_SX_S14_S18_S1A_T6_T7_T9_mT8_S1C_bDpT10_ENKUlT_T0_E_clISt17integral_constantIbLb1EES1O_IbLb0EEEEDaS1K_S1L_EUlS1K_E_NS1_11comp_targetILNS1_3genE0ELNS1_11target_archE4294967295ELNS1_3gpuE0ELNS1_3repE0EEENS1_30default_config_static_selectorELNS0_4arch9wavefront6targetE0EEEvSY_
		.amdhsa_group_segment_fixed_size 0
		.amdhsa_private_segment_fixed_size 0
		.amdhsa_kernarg_size 144
		.amdhsa_user_sgpr_count 6
		.amdhsa_user_sgpr_private_segment_buffer 1
		.amdhsa_user_sgpr_dispatch_ptr 0
		.amdhsa_user_sgpr_queue_ptr 0
		.amdhsa_user_sgpr_kernarg_segment_ptr 1
		.amdhsa_user_sgpr_dispatch_id 0
		.amdhsa_user_sgpr_flat_scratch_init 0
		.amdhsa_user_sgpr_private_segment_size 0
		.amdhsa_wavefront_size32 1
		.amdhsa_uses_dynamic_stack 0
		.amdhsa_system_sgpr_private_segment_wavefront_offset 0
		.amdhsa_system_sgpr_workgroup_id_x 1
		.amdhsa_system_sgpr_workgroup_id_y 0
		.amdhsa_system_sgpr_workgroup_id_z 0
		.amdhsa_system_sgpr_workgroup_info 0
		.amdhsa_system_vgpr_workitem_id 0
		.amdhsa_next_free_vgpr 1
		.amdhsa_next_free_sgpr 1
		.amdhsa_reserve_vcc 0
		.amdhsa_reserve_flat_scratch 0
		.amdhsa_float_round_mode_32 0
		.amdhsa_float_round_mode_16_64 0
		.amdhsa_float_denorm_mode_32 3
		.amdhsa_float_denorm_mode_16_64 3
		.amdhsa_dx10_clamp 1
		.amdhsa_ieee_mode 1
		.amdhsa_fp16_overflow 0
		.amdhsa_workgroup_processor_mode 1
		.amdhsa_memory_ordered 1
		.amdhsa_forward_progress 1
		.amdhsa_shared_vgpr_count 0
		.amdhsa_exception_fp_ieee_invalid_op 0
		.amdhsa_exception_fp_denorm_src 0
		.amdhsa_exception_fp_ieee_div_zero 0
		.amdhsa_exception_fp_ieee_overflow 0
		.amdhsa_exception_fp_ieee_underflow 0
		.amdhsa_exception_fp_ieee_inexact 0
		.amdhsa_exception_int_div_zero 0
	.end_amdhsa_kernel
	.section	.text._ZN7rocprim17ROCPRIM_400000_NS6detail17trampoline_kernelINS0_13select_configILj256ELj13ELNS0_17block_load_methodE3ELS4_3ELS4_3ELNS0_20block_scan_algorithmE0ELj4294967295EEENS1_25partition_config_selectorILNS1_17partition_subalgoE3EjNS0_10empty_typeEbEEZZNS1_14partition_implILS8_3ELb0ES6_jNS0_17counting_iteratorIjlEEPS9_SE_NS0_5tupleIJPjSE_EEENSF_IJSE_SE_EEES9_SG_JZNS1_25segmented_radix_sort_implINS0_14default_configELb0EPKdPdPKlPlN2at6native12_GLOBAL__N_18offset_tEEE10hipError_tPvRmT1_PNSt15iterator_traitsISY_E10value_typeET2_T3_PNSZ_IS14_E10value_typeET4_jRbjT5_S1A_jjP12ihipStream_tbEUljE_EEESV_SW_SX_S14_S18_S1A_T6_T7_T9_mT8_S1C_bDpT10_ENKUlT_T0_E_clISt17integral_constantIbLb1EES1O_IbLb0EEEEDaS1K_S1L_EUlS1K_E_NS1_11comp_targetILNS1_3genE0ELNS1_11target_archE4294967295ELNS1_3gpuE0ELNS1_3repE0EEENS1_30default_config_static_selectorELNS0_4arch9wavefront6targetE0EEEvSY_,"axG",@progbits,_ZN7rocprim17ROCPRIM_400000_NS6detail17trampoline_kernelINS0_13select_configILj256ELj13ELNS0_17block_load_methodE3ELS4_3ELS4_3ELNS0_20block_scan_algorithmE0ELj4294967295EEENS1_25partition_config_selectorILNS1_17partition_subalgoE3EjNS0_10empty_typeEbEEZZNS1_14partition_implILS8_3ELb0ES6_jNS0_17counting_iteratorIjlEEPS9_SE_NS0_5tupleIJPjSE_EEENSF_IJSE_SE_EEES9_SG_JZNS1_25segmented_radix_sort_implINS0_14default_configELb0EPKdPdPKlPlN2at6native12_GLOBAL__N_18offset_tEEE10hipError_tPvRmT1_PNSt15iterator_traitsISY_E10value_typeET2_T3_PNSZ_IS14_E10value_typeET4_jRbjT5_S1A_jjP12ihipStream_tbEUljE_EEESV_SW_SX_S14_S18_S1A_T6_T7_T9_mT8_S1C_bDpT10_ENKUlT_T0_E_clISt17integral_constantIbLb1EES1O_IbLb0EEEEDaS1K_S1L_EUlS1K_E_NS1_11comp_targetILNS1_3genE0ELNS1_11target_archE4294967295ELNS1_3gpuE0ELNS1_3repE0EEENS1_30default_config_static_selectorELNS0_4arch9wavefront6targetE0EEEvSY_,comdat
.Lfunc_end1197:
	.size	_ZN7rocprim17ROCPRIM_400000_NS6detail17trampoline_kernelINS0_13select_configILj256ELj13ELNS0_17block_load_methodE3ELS4_3ELS4_3ELNS0_20block_scan_algorithmE0ELj4294967295EEENS1_25partition_config_selectorILNS1_17partition_subalgoE3EjNS0_10empty_typeEbEEZZNS1_14partition_implILS8_3ELb0ES6_jNS0_17counting_iteratorIjlEEPS9_SE_NS0_5tupleIJPjSE_EEENSF_IJSE_SE_EEES9_SG_JZNS1_25segmented_radix_sort_implINS0_14default_configELb0EPKdPdPKlPlN2at6native12_GLOBAL__N_18offset_tEEE10hipError_tPvRmT1_PNSt15iterator_traitsISY_E10value_typeET2_T3_PNSZ_IS14_E10value_typeET4_jRbjT5_S1A_jjP12ihipStream_tbEUljE_EEESV_SW_SX_S14_S18_S1A_T6_T7_T9_mT8_S1C_bDpT10_ENKUlT_T0_E_clISt17integral_constantIbLb1EES1O_IbLb0EEEEDaS1K_S1L_EUlS1K_E_NS1_11comp_targetILNS1_3genE0ELNS1_11target_archE4294967295ELNS1_3gpuE0ELNS1_3repE0EEENS1_30default_config_static_selectorELNS0_4arch9wavefront6targetE0EEEvSY_, .Lfunc_end1197-_ZN7rocprim17ROCPRIM_400000_NS6detail17trampoline_kernelINS0_13select_configILj256ELj13ELNS0_17block_load_methodE3ELS4_3ELS4_3ELNS0_20block_scan_algorithmE0ELj4294967295EEENS1_25partition_config_selectorILNS1_17partition_subalgoE3EjNS0_10empty_typeEbEEZZNS1_14partition_implILS8_3ELb0ES6_jNS0_17counting_iteratorIjlEEPS9_SE_NS0_5tupleIJPjSE_EEENSF_IJSE_SE_EEES9_SG_JZNS1_25segmented_radix_sort_implINS0_14default_configELb0EPKdPdPKlPlN2at6native12_GLOBAL__N_18offset_tEEE10hipError_tPvRmT1_PNSt15iterator_traitsISY_E10value_typeET2_T3_PNSZ_IS14_E10value_typeET4_jRbjT5_S1A_jjP12ihipStream_tbEUljE_EEESV_SW_SX_S14_S18_S1A_T6_T7_T9_mT8_S1C_bDpT10_ENKUlT_T0_E_clISt17integral_constantIbLb1EES1O_IbLb0EEEEDaS1K_S1L_EUlS1K_E_NS1_11comp_targetILNS1_3genE0ELNS1_11target_archE4294967295ELNS1_3gpuE0ELNS1_3repE0EEENS1_30default_config_static_selectorELNS0_4arch9wavefront6targetE0EEEvSY_
                                        ; -- End function
	.set _ZN7rocprim17ROCPRIM_400000_NS6detail17trampoline_kernelINS0_13select_configILj256ELj13ELNS0_17block_load_methodE3ELS4_3ELS4_3ELNS0_20block_scan_algorithmE0ELj4294967295EEENS1_25partition_config_selectorILNS1_17partition_subalgoE3EjNS0_10empty_typeEbEEZZNS1_14partition_implILS8_3ELb0ES6_jNS0_17counting_iteratorIjlEEPS9_SE_NS0_5tupleIJPjSE_EEENSF_IJSE_SE_EEES9_SG_JZNS1_25segmented_radix_sort_implINS0_14default_configELb0EPKdPdPKlPlN2at6native12_GLOBAL__N_18offset_tEEE10hipError_tPvRmT1_PNSt15iterator_traitsISY_E10value_typeET2_T3_PNSZ_IS14_E10value_typeET4_jRbjT5_S1A_jjP12ihipStream_tbEUljE_EEESV_SW_SX_S14_S18_S1A_T6_T7_T9_mT8_S1C_bDpT10_ENKUlT_T0_E_clISt17integral_constantIbLb1EES1O_IbLb0EEEEDaS1K_S1L_EUlS1K_E_NS1_11comp_targetILNS1_3genE0ELNS1_11target_archE4294967295ELNS1_3gpuE0ELNS1_3repE0EEENS1_30default_config_static_selectorELNS0_4arch9wavefront6targetE0EEEvSY_.num_vgpr, 0
	.set _ZN7rocprim17ROCPRIM_400000_NS6detail17trampoline_kernelINS0_13select_configILj256ELj13ELNS0_17block_load_methodE3ELS4_3ELS4_3ELNS0_20block_scan_algorithmE0ELj4294967295EEENS1_25partition_config_selectorILNS1_17partition_subalgoE3EjNS0_10empty_typeEbEEZZNS1_14partition_implILS8_3ELb0ES6_jNS0_17counting_iteratorIjlEEPS9_SE_NS0_5tupleIJPjSE_EEENSF_IJSE_SE_EEES9_SG_JZNS1_25segmented_radix_sort_implINS0_14default_configELb0EPKdPdPKlPlN2at6native12_GLOBAL__N_18offset_tEEE10hipError_tPvRmT1_PNSt15iterator_traitsISY_E10value_typeET2_T3_PNSZ_IS14_E10value_typeET4_jRbjT5_S1A_jjP12ihipStream_tbEUljE_EEESV_SW_SX_S14_S18_S1A_T6_T7_T9_mT8_S1C_bDpT10_ENKUlT_T0_E_clISt17integral_constantIbLb1EES1O_IbLb0EEEEDaS1K_S1L_EUlS1K_E_NS1_11comp_targetILNS1_3genE0ELNS1_11target_archE4294967295ELNS1_3gpuE0ELNS1_3repE0EEENS1_30default_config_static_selectorELNS0_4arch9wavefront6targetE0EEEvSY_.num_agpr, 0
	.set _ZN7rocprim17ROCPRIM_400000_NS6detail17trampoline_kernelINS0_13select_configILj256ELj13ELNS0_17block_load_methodE3ELS4_3ELS4_3ELNS0_20block_scan_algorithmE0ELj4294967295EEENS1_25partition_config_selectorILNS1_17partition_subalgoE3EjNS0_10empty_typeEbEEZZNS1_14partition_implILS8_3ELb0ES6_jNS0_17counting_iteratorIjlEEPS9_SE_NS0_5tupleIJPjSE_EEENSF_IJSE_SE_EEES9_SG_JZNS1_25segmented_radix_sort_implINS0_14default_configELb0EPKdPdPKlPlN2at6native12_GLOBAL__N_18offset_tEEE10hipError_tPvRmT1_PNSt15iterator_traitsISY_E10value_typeET2_T3_PNSZ_IS14_E10value_typeET4_jRbjT5_S1A_jjP12ihipStream_tbEUljE_EEESV_SW_SX_S14_S18_S1A_T6_T7_T9_mT8_S1C_bDpT10_ENKUlT_T0_E_clISt17integral_constantIbLb1EES1O_IbLb0EEEEDaS1K_S1L_EUlS1K_E_NS1_11comp_targetILNS1_3genE0ELNS1_11target_archE4294967295ELNS1_3gpuE0ELNS1_3repE0EEENS1_30default_config_static_selectorELNS0_4arch9wavefront6targetE0EEEvSY_.numbered_sgpr, 0
	.set _ZN7rocprim17ROCPRIM_400000_NS6detail17trampoline_kernelINS0_13select_configILj256ELj13ELNS0_17block_load_methodE3ELS4_3ELS4_3ELNS0_20block_scan_algorithmE0ELj4294967295EEENS1_25partition_config_selectorILNS1_17partition_subalgoE3EjNS0_10empty_typeEbEEZZNS1_14partition_implILS8_3ELb0ES6_jNS0_17counting_iteratorIjlEEPS9_SE_NS0_5tupleIJPjSE_EEENSF_IJSE_SE_EEES9_SG_JZNS1_25segmented_radix_sort_implINS0_14default_configELb0EPKdPdPKlPlN2at6native12_GLOBAL__N_18offset_tEEE10hipError_tPvRmT1_PNSt15iterator_traitsISY_E10value_typeET2_T3_PNSZ_IS14_E10value_typeET4_jRbjT5_S1A_jjP12ihipStream_tbEUljE_EEESV_SW_SX_S14_S18_S1A_T6_T7_T9_mT8_S1C_bDpT10_ENKUlT_T0_E_clISt17integral_constantIbLb1EES1O_IbLb0EEEEDaS1K_S1L_EUlS1K_E_NS1_11comp_targetILNS1_3genE0ELNS1_11target_archE4294967295ELNS1_3gpuE0ELNS1_3repE0EEENS1_30default_config_static_selectorELNS0_4arch9wavefront6targetE0EEEvSY_.num_named_barrier, 0
	.set _ZN7rocprim17ROCPRIM_400000_NS6detail17trampoline_kernelINS0_13select_configILj256ELj13ELNS0_17block_load_methodE3ELS4_3ELS4_3ELNS0_20block_scan_algorithmE0ELj4294967295EEENS1_25partition_config_selectorILNS1_17partition_subalgoE3EjNS0_10empty_typeEbEEZZNS1_14partition_implILS8_3ELb0ES6_jNS0_17counting_iteratorIjlEEPS9_SE_NS0_5tupleIJPjSE_EEENSF_IJSE_SE_EEES9_SG_JZNS1_25segmented_radix_sort_implINS0_14default_configELb0EPKdPdPKlPlN2at6native12_GLOBAL__N_18offset_tEEE10hipError_tPvRmT1_PNSt15iterator_traitsISY_E10value_typeET2_T3_PNSZ_IS14_E10value_typeET4_jRbjT5_S1A_jjP12ihipStream_tbEUljE_EEESV_SW_SX_S14_S18_S1A_T6_T7_T9_mT8_S1C_bDpT10_ENKUlT_T0_E_clISt17integral_constantIbLb1EES1O_IbLb0EEEEDaS1K_S1L_EUlS1K_E_NS1_11comp_targetILNS1_3genE0ELNS1_11target_archE4294967295ELNS1_3gpuE0ELNS1_3repE0EEENS1_30default_config_static_selectorELNS0_4arch9wavefront6targetE0EEEvSY_.private_seg_size, 0
	.set _ZN7rocprim17ROCPRIM_400000_NS6detail17trampoline_kernelINS0_13select_configILj256ELj13ELNS0_17block_load_methodE3ELS4_3ELS4_3ELNS0_20block_scan_algorithmE0ELj4294967295EEENS1_25partition_config_selectorILNS1_17partition_subalgoE3EjNS0_10empty_typeEbEEZZNS1_14partition_implILS8_3ELb0ES6_jNS0_17counting_iteratorIjlEEPS9_SE_NS0_5tupleIJPjSE_EEENSF_IJSE_SE_EEES9_SG_JZNS1_25segmented_radix_sort_implINS0_14default_configELb0EPKdPdPKlPlN2at6native12_GLOBAL__N_18offset_tEEE10hipError_tPvRmT1_PNSt15iterator_traitsISY_E10value_typeET2_T3_PNSZ_IS14_E10value_typeET4_jRbjT5_S1A_jjP12ihipStream_tbEUljE_EEESV_SW_SX_S14_S18_S1A_T6_T7_T9_mT8_S1C_bDpT10_ENKUlT_T0_E_clISt17integral_constantIbLb1EES1O_IbLb0EEEEDaS1K_S1L_EUlS1K_E_NS1_11comp_targetILNS1_3genE0ELNS1_11target_archE4294967295ELNS1_3gpuE0ELNS1_3repE0EEENS1_30default_config_static_selectorELNS0_4arch9wavefront6targetE0EEEvSY_.uses_vcc, 0
	.set _ZN7rocprim17ROCPRIM_400000_NS6detail17trampoline_kernelINS0_13select_configILj256ELj13ELNS0_17block_load_methodE3ELS4_3ELS4_3ELNS0_20block_scan_algorithmE0ELj4294967295EEENS1_25partition_config_selectorILNS1_17partition_subalgoE3EjNS0_10empty_typeEbEEZZNS1_14partition_implILS8_3ELb0ES6_jNS0_17counting_iteratorIjlEEPS9_SE_NS0_5tupleIJPjSE_EEENSF_IJSE_SE_EEES9_SG_JZNS1_25segmented_radix_sort_implINS0_14default_configELb0EPKdPdPKlPlN2at6native12_GLOBAL__N_18offset_tEEE10hipError_tPvRmT1_PNSt15iterator_traitsISY_E10value_typeET2_T3_PNSZ_IS14_E10value_typeET4_jRbjT5_S1A_jjP12ihipStream_tbEUljE_EEESV_SW_SX_S14_S18_S1A_T6_T7_T9_mT8_S1C_bDpT10_ENKUlT_T0_E_clISt17integral_constantIbLb1EES1O_IbLb0EEEEDaS1K_S1L_EUlS1K_E_NS1_11comp_targetILNS1_3genE0ELNS1_11target_archE4294967295ELNS1_3gpuE0ELNS1_3repE0EEENS1_30default_config_static_selectorELNS0_4arch9wavefront6targetE0EEEvSY_.uses_flat_scratch, 0
	.set _ZN7rocprim17ROCPRIM_400000_NS6detail17trampoline_kernelINS0_13select_configILj256ELj13ELNS0_17block_load_methodE3ELS4_3ELS4_3ELNS0_20block_scan_algorithmE0ELj4294967295EEENS1_25partition_config_selectorILNS1_17partition_subalgoE3EjNS0_10empty_typeEbEEZZNS1_14partition_implILS8_3ELb0ES6_jNS0_17counting_iteratorIjlEEPS9_SE_NS0_5tupleIJPjSE_EEENSF_IJSE_SE_EEES9_SG_JZNS1_25segmented_radix_sort_implINS0_14default_configELb0EPKdPdPKlPlN2at6native12_GLOBAL__N_18offset_tEEE10hipError_tPvRmT1_PNSt15iterator_traitsISY_E10value_typeET2_T3_PNSZ_IS14_E10value_typeET4_jRbjT5_S1A_jjP12ihipStream_tbEUljE_EEESV_SW_SX_S14_S18_S1A_T6_T7_T9_mT8_S1C_bDpT10_ENKUlT_T0_E_clISt17integral_constantIbLb1EES1O_IbLb0EEEEDaS1K_S1L_EUlS1K_E_NS1_11comp_targetILNS1_3genE0ELNS1_11target_archE4294967295ELNS1_3gpuE0ELNS1_3repE0EEENS1_30default_config_static_selectorELNS0_4arch9wavefront6targetE0EEEvSY_.has_dyn_sized_stack, 0
	.set _ZN7rocprim17ROCPRIM_400000_NS6detail17trampoline_kernelINS0_13select_configILj256ELj13ELNS0_17block_load_methodE3ELS4_3ELS4_3ELNS0_20block_scan_algorithmE0ELj4294967295EEENS1_25partition_config_selectorILNS1_17partition_subalgoE3EjNS0_10empty_typeEbEEZZNS1_14partition_implILS8_3ELb0ES6_jNS0_17counting_iteratorIjlEEPS9_SE_NS0_5tupleIJPjSE_EEENSF_IJSE_SE_EEES9_SG_JZNS1_25segmented_radix_sort_implINS0_14default_configELb0EPKdPdPKlPlN2at6native12_GLOBAL__N_18offset_tEEE10hipError_tPvRmT1_PNSt15iterator_traitsISY_E10value_typeET2_T3_PNSZ_IS14_E10value_typeET4_jRbjT5_S1A_jjP12ihipStream_tbEUljE_EEESV_SW_SX_S14_S18_S1A_T6_T7_T9_mT8_S1C_bDpT10_ENKUlT_T0_E_clISt17integral_constantIbLb1EES1O_IbLb0EEEEDaS1K_S1L_EUlS1K_E_NS1_11comp_targetILNS1_3genE0ELNS1_11target_archE4294967295ELNS1_3gpuE0ELNS1_3repE0EEENS1_30default_config_static_selectorELNS0_4arch9wavefront6targetE0EEEvSY_.has_recursion, 0
	.set _ZN7rocprim17ROCPRIM_400000_NS6detail17trampoline_kernelINS0_13select_configILj256ELj13ELNS0_17block_load_methodE3ELS4_3ELS4_3ELNS0_20block_scan_algorithmE0ELj4294967295EEENS1_25partition_config_selectorILNS1_17partition_subalgoE3EjNS0_10empty_typeEbEEZZNS1_14partition_implILS8_3ELb0ES6_jNS0_17counting_iteratorIjlEEPS9_SE_NS0_5tupleIJPjSE_EEENSF_IJSE_SE_EEES9_SG_JZNS1_25segmented_radix_sort_implINS0_14default_configELb0EPKdPdPKlPlN2at6native12_GLOBAL__N_18offset_tEEE10hipError_tPvRmT1_PNSt15iterator_traitsISY_E10value_typeET2_T3_PNSZ_IS14_E10value_typeET4_jRbjT5_S1A_jjP12ihipStream_tbEUljE_EEESV_SW_SX_S14_S18_S1A_T6_T7_T9_mT8_S1C_bDpT10_ENKUlT_T0_E_clISt17integral_constantIbLb1EES1O_IbLb0EEEEDaS1K_S1L_EUlS1K_E_NS1_11comp_targetILNS1_3genE0ELNS1_11target_archE4294967295ELNS1_3gpuE0ELNS1_3repE0EEENS1_30default_config_static_selectorELNS0_4arch9wavefront6targetE0EEEvSY_.has_indirect_call, 0
	.section	.AMDGPU.csdata,"",@progbits
; Kernel info:
; codeLenInByte = 0
; TotalNumSgprs: 0
; NumVgprs: 0
; ScratchSize: 0
; MemoryBound: 0
; FloatMode: 240
; IeeeMode: 1
; LDSByteSize: 0 bytes/workgroup (compile time only)
; SGPRBlocks: 0
; VGPRBlocks: 0
; NumSGPRsForWavesPerEU: 1
; NumVGPRsForWavesPerEU: 1
; Occupancy: 16
; WaveLimiterHint : 0
; COMPUTE_PGM_RSRC2:SCRATCH_EN: 0
; COMPUTE_PGM_RSRC2:USER_SGPR: 6
; COMPUTE_PGM_RSRC2:TRAP_HANDLER: 0
; COMPUTE_PGM_RSRC2:TGID_X_EN: 1
; COMPUTE_PGM_RSRC2:TGID_Y_EN: 0
; COMPUTE_PGM_RSRC2:TGID_Z_EN: 0
; COMPUTE_PGM_RSRC2:TIDIG_COMP_CNT: 0
	.section	.text._ZN7rocprim17ROCPRIM_400000_NS6detail17trampoline_kernelINS0_13select_configILj256ELj13ELNS0_17block_load_methodE3ELS4_3ELS4_3ELNS0_20block_scan_algorithmE0ELj4294967295EEENS1_25partition_config_selectorILNS1_17partition_subalgoE3EjNS0_10empty_typeEbEEZZNS1_14partition_implILS8_3ELb0ES6_jNS0_17counting_iteratorIjlEEPS9_SE_NS0_5tupleIJPjSE_EEENSF_IJSE_SE_EEES9_SG_JZNS1_25segmented_radix_sort_implINS0_14default_configELb0EPKdPdPKlPlN2at6native12_GLOBAL__N_18offset_tEEE10hipError_tPvRmT1_PNSt15iterator_traitsISY_E10value_typeET2_T3_PNSZ_IS14_E10value_typeET4_jRbjT5_S1A_jjP12ihipStream_tbEUljE_EEESV_SW_SX_S14_S18_S1A_T6_T7_T9_mT8_S1C_bDpT10_ENKUlT_T0_E_clISt17integral_constantIbLb1EES1O_IbLb0EEEEDaS1K_S1L_EUlS1K_E_NS1_11comp_targetILNS1_3genE5ELNS1_11target_archE942ELNS1_3gpuE9ELNS1_3repE0EEENS1_30default_config_static_selectorELNS0_4arch9wavefront6targetE0EEEvSY_,"axG",@progbits,_ZN7rocprim17ROCPRIM_400000_NS6detail17trampoline_kernelINS0_13select_configILj256ELj13ELNS0_17block_load_methodE3ELS4_3ELS4_3ELNS0_20block_scan_algorithmE0ELj4294967295EEENS1_25partition_config_selectorILNS1_17partition_subalgoE3EjNS0_10empty_typeEbEEZZNS1_14partition_implILS8_3ELb0ES6_jNS0_17counting_iteratorIjlEEPS9_SE_NS0_5tupleIJPjSE_EEENSF_IJSE_SE_EEES9_SG_JZNS1_25segmented_radix_sort_implINS0_14default_configELb0EPKdPdPKlPlN2at6native12_GLOBAL__N_18offset_tEEE10hipError_tPvRmT1_PNSt15iterator_traitsISY_E10value_typeET2_T3_PNSZ_IS14_E10value_typeET4_jRbjT5_S1A_jjP12ihipStream_tbEUljE_EEESV_SW_SX_S14_S18_S1A_T6_T7_T9_mT8_S1C_bDpT10_ENKUlT_T0_E_clISt17integral_constantIbLb1EES1O_IbLb0EEEEDaS1K_S1L_EUlS1K_E_NS1_11comp_targetILNS1_3genE5ELNS1_11target_archE942ELNS1_3gpuE9ELNS1_3repE0EEENS1_30default_config_static_selectorELNS0_4arch9wavefront6targetE0EEEvSY_,comdat
	.globl	_ZN7rocprim17ROCPRIM_400000_NS6detail17trampoline_kernelINS0_13select_configILj256ELj13ELNS0_17block_load_methodE3ELS4_3ELS4_3ELNS0_20block_scan_algorithmE0ELj4294967295EEENS1_25partition_config_selectorILNS1_17partition_subalgoE3EjNS0_10empty_typeEbEEZZNS1_14partition_implILS8_3ELb0ES6_jNS0_17counting_iteratorIjlEEPS9_SE_NS0_5tupleIJPjSE_EEENSF_IJSE_SE_EEES9_SG_JZNS1_25segmented_radix_sort_implINS0_14default_configELb0EPKdPdPKlPlN2at6native12_GLOBAL__N_18offset_tEEE10hipError_tPvRmT1_PNSt15iterator_traitsISY_E10value_typeET2_T3_PNSZ_IS14_E10value_typeET4_jRbjT5_S1A_jjP12ihipStream_tbEUljE_EEESV_SW_SX_S14_S18_S1A_T6_T7_T9_mT8_S1C_bDpT10_ENKUlT_T0_E_clISt17integral_constantIbLb1EES1O_IbLb0EEEEDaS1K_S1L_EUlS1K_E_NS1_11comp_targetILNS1_3genE5ELNS1_11target_archE942ELNS1_3gpuE9ELNS1_3repE0EEENS1_30default_config_static_selectorELNS0_4arch9wavefront6targetE0EEEvSY_ ; -- Begin function _ZN7rocprim17ROCPRIM_400000_NS6detail17trampoline_kernelINS0_13select_configILj256ELj13ELNS0_17block_load_methodE3ELS4_3ELS4_3ELNS0_20block_scan_algorithmE0ELj4294967295EEENS1_25partition_config_selectorILNS1_17partition_subalgoE3EjNS0_10empty_typeEbEEZZNS1_14partition_implILS8_3ELb0ES6_jNS0_17counting_iteratorIjlEEPS9_SE_NS0_5tupleIJPjSE_EEENSF_IJSE_SE_EEES9_SG_JZNS1_25segmented_radix_sort_implINS0_14default_configELb0EPKdPdPKlPlN2at6native12_GLOBAL__N_18offset_tEEE10hipError_tPvRmT1_PNSt15iterator_traitsISY_E10value_typeET2_T3_PNSZ_IS14_E10value_typeET4_jRbjT5_S1A_jjP12ihipStream_tbEUljE_EEESV_SW_SX_S14_S18_S1A_T6_T7_T9_mT8_S1C_bDpT10_ENKUlT_T0_E_clISt17integral_constantIbLb1EES1O_IbLb0EEEEDaS1K_S1L_EUlS1K_E_NS1_11comp_targetILNS1_3genE5ELNS1_11target_archE942ELNS1_3gpuE9ELNS1_3repE0EEENS1_30default_config_static_selectorELNS0_4arch9wavefront6targetE0EEEvSY_
	.p2align	8
	.type	_ZN7rocprim17ROCPRIM_400000_NS6detail17trampoline_kernelINS0_13select_configILj256ELj13ELNS0_17block_load_methodE3ELS4_3ELS4_3ELNS0_20block_scan_algorithmE0ELj4294967295EEENS1_25partition_config_selectorILNS1_17partition_subalgoE3EjNS0_10empty_typeEbEEZZNS1_14partition_implILS8_3ELb0ES6_jNS0_17counting_iteratorIjlEEPS9_SE_NS0_5tupleIJPjSE_EEENSF_IJSE_SE_EEES9_SG_JZNS1_25segmented_radix_sort_implINS0_14default_configELb0EPKdPdPKlPlN2at6native12_GLOBAL__N_18offset_tEEE10hipError_tPvRmT1_PNSt15iterator_traitsISY_E10value_typeET2_T3_PNSZ_IS14_E10value_typeET4_jRbjT5_S1A_jjP12ihipStream_tbEUljE_EEESV_SW_SX_S14_S18_S1A_T6_T7_T9_mT8_S1C_bDpT10_ENKUlT_T0_E_clISt17integral_constantIbLb1EES1O_IbLb0EEEEDaS1K_S1L_EUlS1K_E_NS1_11comp_targetILNS1_3genE5ELNS1_11target_archE942ELNS1_3gpuE9ELNS1_3repE0EEENS1_30default_config_static_selectorELNS0_4arch9wavefront6targetE0EEEvSY_,@function
_ZN7rocprim17ROCPRIM_400000_NS6detail17trampoline_kernelINS0_13select_configILj256ELj13ELNS0_17block_load_methodE3ELS4_3ELS4_3ELNS0_20block_scan_algorithmE0ELj4294967295EEENS1_25partition_config_selectorILNS1_17partition_subalgoE3EjNS0_10empty_typeEbEEZZNS1_14partition_implILS8_3ELb0ES6_jNS0_17counting_iteratorIjlEEPS9_SE_NS0_5tupleIJPjSE_EEENSF_IJSE_SE_EEES9_SG_JZNS1_25segmented_radix_sort_implINS0_14default_configELb0EPKdPdPKlPlN2at6native12_GLOBAL__N_18offset_tEEE10hipError_tPvRmT1_PNSt15iterator_traitsISY_E10value_typeET2_T3_PNSZ_IS14_E10value_typeET4_jRbjT5_S1A_jjP12ihipStream_tbEUljE_EEESV_SW_SX_S14_S18_S1A_T6_T7_T9_mT8_S1C_bDpT10_ENKUlT_T0_E_clISt17integral_constantIbLb1EES1O_IbLb0EEEEDaS1K_S1L_EUlS1K_E_NS1_11comp_targetILNS1_3genE5ELNS1_11target_archE942ELNS1_3gpuE9ELNS1_3repE0EEENS1_30default_config_static_selectorELNS0_4arch9wavefront6targetE0EEEvSY_: ; @_ZN7rocprim17ROCPRIM_400000_NS6detail17trampoline_kernelINS0_13select_configILj256ELj13ELNS0_17block_load_methodE3ELS4_3ELS4_3ELNS0_20block_scan_algorithmE0ELj4294967295EEENS1_25partition_config_selectorILNS1_17partition_subalgoE3EjNS0_10empty_typeEbEEZZNS1_14partition_implILS8_3ELb0ES6_jNS0_17counting_iteratorIjlEEPS9_SE_NS0_5tupleIJPjSE_EEENSF_IJSE_SE_EEES9_SG_JZNS1_25segmented_radix_sort_implINS0_14default_configELb0EPKdPdPKlPlN2at6native12_GLOBAL__N_18offset_tEEE10hipError_tPvRmT1_PNSt15iterator_traitsISY_E10value_typeET2_T3_PNSZ_IS14_E10value_typeET4_jRbjT5_S1A_jjP12ihipStream_tbEUljE_EEESV_SW_SX_S14_S18_S1A_T6_T7_T9_mT8_S1C_bDpT10_ENKUlT_T0_E_clISt17integral_constantIbLb1EES1O_IbLb0EEEEDaS1K_S1L_EUlS1K_E_NS1_11comp_targetILNS1_3genE5ELNS1_11target_archE942ELNS1_3gpuE9ELNS1_3repE0EEENS1_30default_config_static_selectorELNS0_4arch9wavefront6targetE0EEEvSY_
; %bb.0:
	.section	.rodata,"a",@progbits
	.p2align	6, 0x0
	.amdhsa_kernel _ZN7rocprim17ROCPRIM_400000_NS6detail17trampoline_kernelINS0_13select_configILj256ELj13ELNS0_17block_load_methodE3ELS4_3ELS4_3ELNS0_20block_scan_algorithmE0ELj4294967295EEENS1_25partition_config_selectorILNS1_17partition_subalgoE3EjNS0_10empty_typeEbEEZZNS1_14partition_implILS8_3ELb0ES6_jNS0_17counting_iteratorIjlEEPS9_SE_NS0_5tupleIJPjSE_EEENSF_IJSE_SE_EEES9_SG_JZNS1_25segmented_radix_sort_implINS0_14default_configELb0EPKdPdPKlPlN2at6native12_GLOBAL__N_18offset_tEEE10hipError_tPvRmT1_PNSt15iterator_traitsISY_E10value_typeET2_T3_PNSZ_IS14_E10value_typeET4_jRbjT5_S1A_jjP12ihipStream_tbEUljE_EEESV_SW_SX_S14_S18_S1A_T6_T7_T9_mT8_S1C_bDpT10_ENKUlT_T0_E_clISt17integral_constantIbLb1EES1O_IbLb0EEEEDaS1K_S1L_EUlS1K_E_NS1_11comp_targetILNS1_3genE5ELNS1_11target_archE942ELNS1_3gpuE9ELNS1_3repE0EEENS1_30default_config_static_selectorELNS0_4arch9wavefront6targetE0EEEvSY_
		.amdhsa_group_segment_fixed_size 0
		.amdhsa_private_segment_fixed_size 0
		.amdhsa_kernarg_size 144
		.amdhsa_user_sgpr_count 6
		.amdhsa_user_sgpr_private_segment_buffer 1
		.amdhsa_user_sgpr_dispatch_ptr 0
		.amdhsa_user_sgpr_queue_ptr 0
		.amdhsa_user_sgpr_kernarg_segment_ptr 1
		.amdhsa_user_sgpr_dispatch_id 0
		.amdhsa_user_sgpr_flat_scratch_init 0
		.amdhsa_user_sgpr_private_segment_size 0
		.amdhsa_wavefront_size32 1
		.amdhsa_uses_dynamic_stack 0
		.amdhsa_system_sgpr_private_segment_wavefront_offset 0
		.amdhsa_system_sgpr_workgroup_id_x 1
		.amdhsa_system_sgpr_workgroup_id_y 0
		.amdhsa_system_sgpr_workgroup_id_z 0
		.amdhsa_system_sgpr_workgroup_info 0
		.amdhsa_system_vgpr_workitem_id 0
		.amdhsa_next_free_vgpr 1
		.amdhsa_next_free_sgpr 1
		.amdhsa_reserve_vcc 0
		.amdhsa_reserve_flat_scratch 0
		.amdhsa_float_round_mode_32 0
		.amdhsa_float_round_mode_16_64 0
		.amdhsa_float_denorm_mode_32 3
		.amdhsa_float_denorm_mode_16_64 3
		.amdhsa_dx10_clamp 1
		.amdhsa_ieee_mode 1
		.amdhsa_fp16_overflow 0
		.amdhsa_workgroup_processor_mode 1
		.amdhsa_memory_ordered 1
		.amdhsa_forward_progress 1
		.amdhsa_shared_vgpr_count 0
		.amdhsa_exception_fp_ieee_invalid_op 0
		.amdhsa_exception_fp_denorm_src 0
		.amdhsa_exception_fp_ieee_div_zero 0
		.amdhsa_exception_fp_ieee_overflow 0
		.amdhsa_exception_fp_ieee_underflow 0
		.amdhsa_exception_fp_ieee_inexact 0
		.amdhsa_exception_int_div_zero 0
	.end_amdhsa_kernel
	.section	.text._ZN7rocprim17ROCPRIM_400000_NS6detail17trampoline_kernelINS0_13select_configILj256ELj13ELNS0_17block_load_methodE3ELS4_3ELS4_3ELNS0_20block_scan_algorithmE0ELj4294967295EEENS1_25partition_config_selectorILNS1_17partition_subalgoE3EjNS0_10empty_typeEbEEZZNS1_14partition_implILS8_3ELb0ES6_jNS0_17counting_iteratorIjlEEPS9_SE_NS0_5tupleIJPjSE_EEENSF_IJSE_SE_EEES9_SG_JZNS1_25segmented_radix_sort_implINS0_14default_configELb0EPKdPdPKlPlN2at6native12_GLOBAL__N_18offset_tEEE10hipError_tPvRmT1_PNSt15iterator_traitsISY_E10value_typeET2_T3_PNSZ_IS14_E10value_typeET4_jRbjT5_S1A_jjP12ihipStream_tbEUljE_EEESV_SW_SX_S14_S18_S1A_T6_T7_T9_mT8_S1C_bDpT10_ENKUlT_T0_E_clISt17integral_constantIbLb1EES1O_IbLb0EEEEDaS1K_S1L_EUlS1K_E_NS1_11comp_targetILNS1_3genE5ELNS1_11target_archE942ELNS1_3gpuE9ELNS1_3repE0EEENS1_30default_config_static_selectorELNS0_4arch9wavefront6targetE0EEEvSY_,"axG",@progbits,_ZN7rocprim17ROCPRIM_400000_NS6detail17trampoline_kernelINS0_13select_configILj256ELj13ELNS0_17block_load_methodE3ELS4_3ELS4_3ELNS0_20block_scan_algorithmE0ELj4294967295EEENS1_25partition_config_selectorILNS1_17partition_subalgoE3EjNS0_10empty_typeEbEEZZNS1_14partition_implILS8_3ELb0ES6_jNS0_17counting_iteratorIjlEEPS9_SE_NS0_5tupleIJPjSE_EEENSF_IJSE_SE_EEES9_SG_JZNS1_25segmented_radix_sort_implINS0_14default_configELb0EPKdPdPKlPlN2at6native12_GLOBAL__N_18offset_tEEE10hipError_tPvRmT1_PNSt15iterator_traitsISY_E10value_typeET2_T3_PNSZ_IS14_E10value_typeET4_jRbjT5_S1A_jjP12ihipStream_tbEUljE_EEESV_SW_SX_S14_S18_S1A_T6_T7_T9_mT8_S1C_bDpT10_ENKUlT_T0_E_clISt17integral_constantIbLb1EES1O_IbLb0EEEEDaS1K_S1L_EUlS1K_E_NS1_11comp_targetILNS1_3genE5ELNS1_11target_archE942ELNS1_3gpuE9ELNS1_3repE0EEENS1_30default_config_static_selectorELNS0_4arch9wavefront6targetE0EEEvSY_,comdat
.Lfunc_end1198:
	.size	_ZN7rocprim17ROCPRIM_400000_NS6detail17trampoline_kernelINS0_13select_configILj256ELj13ELNS0_17block_load_methodE3ELS4_3ELS4_3ELNS0_20block_scan_algorithmE0ELj4294967295EEENS1_25partition_config_selectorILNS1_17partition_subalgoE3EjNS0_10empty_typeEbEEZZNS1_14partition_implILS8_3ELb0ES6_jNS0_17counting_iteratorIjlEEPS9_SE_NS0_5tupleIJPjSE_EEENSF_IJSE_SE_EEES9_SG_JZNS1_25segmented_radix_sort_implINS0_14default_configELb0EPKdPdPKlPlN2at6native12_GLOBAL__N_18offset_tEEE10hipError_tPvRmT1_PNSt15iterator_traitsISY_E10value_typeET2_T3_PNSZ_IS14_E10value_typeET4_jRbjT5_S1A_jjP12ihipStream_tbEUljE_EEESV_SW_SX_S14_S18_S1A_T6_T7_T9_mT8_S1C_bDpT10_ENKUlT_T0_E_clISt17integral_constantIbLb1EES1O_IbLb0EEEEDaS1K_S1L_EUlS1K_E_NS1_11comp_targetILNS1_3genE5ELNS1_11target_archE942ELNS1_3gpuE9ELNS1_3repE0EEENS1_30default_config_static_selectorELNS0_4arch9wavefront6targetE0EEEvSY_, .Lfunc_end1198-_ZN7rocprim17ROCPRIM_400000_NS6detail17trampoline_kernelINS0_13select_configILj256ELj13ELNS0_17block_load_methodE3ELS4_3ELS4_3ELNS0_20block_scan_algorithmE0ELj4294967295EEENS1_25partition_config_selectorILNS1_17partition_subalgoE3EjNS0_10empty_typeEbEEZZNS1_14partition_implILS8_3ELb0ES6_jNS0_17counting_iteratorIjlEEPS9_SE_NS0_5tupleIJPjSE_EEENSF_IJSE_SE_EEES9_SG_JZNS1_25segmented_radix_sort_implINS0_14default_configELb0EPKdPdPKlPlN2at6native12_GLOBAL__N_18offset_tEEE10hipError_tPvRmT1_PNSt15iterator_traitsISY_E10value_typeET2_T3_PNSZ_IS14_E10value_typeET4_jRbjT5_S1A_jjP12ihipStream_tbEUljE_EEESV_SW_SX_S14_S18_S1A_T6_T7_T9_mT8_S1C_bDpT10_ENKUlT_T0_E_clISt17integral_constantIbLb1EES1O_IbLb0EEEEDaS1K_S1L_EUlS1K_E_NS1_11comp_targetILNS1_3genE5ELNS1_11target_archE942ELNS1_3gpuE9ELNS1_3repE0EEENS1_30default_config_static_selectorELNS0_4arch9wavefront6targetE0EEEvSY_
                                        ; -- End function
	.set _ZN7rocprim17ROCPRIM_400000_NS6detail17trampoline_kernelINS0_13select_configILj256ELj13ELNS0_17block_load_methodE3ELS4_3ELS4_3ELNS0_20block_scan_algorithmE0ELj4294967295EEENS1_25partition_config_selectorILNS1_17partition_subalgoE3EjNS0_10empty_typeEbEEZZNS1_14partition_implILS8_3ELb0ES6_jNS0_17counting_iteratorIjlEEPS9_SE_NS0_5tupleIJPjSE_EEENSF_IJSE_SE_EEES9_SG_JZNS1_25segmented_radix_sort_implINS0_14default_configELb0EPKdPdPKlPlN2at6native12_GLOBAL__N_18offset_tEEE10hipError_tPvRmT1_PNSt15iterator_traitsISY_E10value_typeET2_T3_PNSZ_IS14_E10value_typeET4_jRbjT5_S1A_jjP12ihipStream_tbEUljE_EEESV_SW_SX_S14_S18_S1A_T6_T7_T9_mT8_S1C_bDpT10_ENKUlT_T0_E_clISt17integral_constantIbLb1EES1O_IbLb0EEEEDaS1K_S1L_EUlS1K_E_NS1_11comp_targetILNS1_3genE5ELNS1_11target_archE942ELNS1_3gpuE9ELNS1_3repE0EEENS1_30default_config_static_selectorELNS0_4arch9wavefront6targetE0EEEvSY_.num_vgpr, 0
	.set _ZN7rocprim17ROCPRIM_400000_NS6detail17trampoline_kernelINS0_13select_configILj256ELj13ELNS0_17block_load_methodE3ELS4_3ELS4_3ELNS0_20block_scan_algorithmE0ELj4294967295EEENS1_25partition_config_selectorILNS1_17partition_subalgoE3EjNS0_10empty_typeEbEEZZNS1_14partition_implILS8_3ELb0ES6_jNS0_17counting_iteratorIjlEEPS9_SE_NS0_5tupleIJPjSE_EEENSF_IJSE_SE_EEES9_SG_JZNS1_25segmented_radix_sort_implINS0_14default_configELb0EPKdPdPKlPlN2at6native12_GLOBAL__N_18offset_tEEE10hipError_tPvRmT1_PNSt15iterator_traitsISY_E10value_typeET2_T3_PNSZ_IS14_E10value_typeET4_jRbjT5_S1A_jjP12ihipStream_tbEUljE_EEESV_SW_SX_S14_S18_S1A_T6_T7_T9_mT8_S1C_bDpT10_ENKUlT_T0_E_clISt17integral_constantIbLb1EES1O_IbLb0EEEEDaS1K_S1L_EUlS1K_E_NS1_11comp_targetILNS1_3genE5ELNS1_11target_archE942ELNS1_3gpuE9ELNS1_3repE0EEENS1_30default_config_static_selectorELNS0_4arch9wavefront6targetE0EEEvSY_.num_agpr, 0
	.set _ZN7rocprim17ROCPRIM_400000_NS6detail17trampoline_kernelINS0_13select_configILj256ELj13ELNS0_17block_load_methodE3ELS4_3ELS4_3ELNS0_20block_scan_algorithmE0ELj4294967295EEENS1_25partition_config_selectorILNS1_17partition_subalgoE3EjNS0_10empty_typeEbEEZZNS1_14partition_implILS8_3ELb0ES6_jNS0_17counting_iteratorIjlEEPS9_SE_NS0_5tupleIJPjSE_EEENSF_IJSE_SE_EEES9_SG_JZNS1_25segmented_radix_sort_implINS0_14default_configELb0EPKdPdPKlPlN2at6native12_GLOBAL__N_18offset_tEEE10hipError_tPvRmT1_PNSt15iterator_traitsISY_E10value_typeET2_T3_PNSZ_IS14_E10value_typeET4_jRbjT5_S1A_jjP12ihipStream_tbEUljE_EEESV_SW_SX_S14_S18_S1A_T6_T7_T9_mT8_S1C_bDpT10_ENKUlT_T0_E_clISt17integral_constantIbLb1EES1O_IbLb0EEEEDaS1K_S1L_EUlS1K_E_NS1_11comp_targetILNS1_3genE5ELNS1_11target_archE942ELNS1_3gpuE9ELNS1_3repE0EEENS1_30default_config_static_selectorELNS0_4arch9wavefront6targetE0EEEvSY_.numbered_sgpr, 0
	.set _ZN7rocprim17ROCPRIM_400000_NS6detail17trampoline_kernelINS0_13select_configILj256ELj13ELNS0_17block_load_methodE3ELS4_3ELS4_3ELNS0_20block_scan_algorithmE0ELj4294967295EEENS1_25partition_config_selectorILNS1_17partition_subalgoE3EjNS0_10empty_typeEbEEZZNS1_14partition_implILS8_3ELb0ES6_jNS0_17counting_iteratorIjlEEPS9_SE_NS0_5tupleIJPjSE_EEENSF_IJSE_SE_EEES9_SG_JZNS1_25segmented_radix_sort_implINS0_14default_configELb0EPKdPdPKlPlN2at6native12_GLOBAL__N_18offset_tEEE10hipError_tPvRmT1_PNSt15iterator_traitsISY_E10value_typeET2_T3_PNSZ_IS14_E10value_typeET4_jRbjT5_S1A_jjP12ihipStream_tbEUljE_EEESV_SW_SX_S14_S18_S1A_T6_T7_T9_mT8_S1C_bDpT10_ENKUlT_T0_E_clISt17integral_constantIbLb1EES1O_IbLb0EEEEDaS1K_S1L_EUlS1K_E_NS1_11comp_targetILNS1_3genE5ELNS1_11target_archE942ELNS1_3gpuE9ELNS1_3repE0EEENS1_30default_config_static_selectorELNS0_4arch9wavefront6targetE0EEEvSY_.num_named_barrier, 0
	.set _ZN7rocprim17ROCPRIM_400000_NS6detail17trampoline_kernelINS0_13select_configILj256ELj13ELNS0_17block_load_methodE3ELS4_3ELS4_3ELNS0_20block_scan_algorithmE0ELj4294967295EEENS1_25partition_config_selectorILNS1_17partition_subalgoE3EjNS0_10empty_typeEbEEZZNS1_14partition_implILS8_3ELb0ES6_jNS0_17counting_iteratorIjlEEPS9_SE_NS0_5tupleIJPjSE_EEENSF_IJSE_SE_EEES9_SG_JZNS1_25segmented_radix_sort_implINS0_14default_configELb0EPKdPdPKlPlN2at6native12_GLOBAL__N_18offset_tEEE10hipError_tPvRmT1_PNSt15iterator_traitsISY_E10value_typeET2_T3_PNSZ_IS14_E10value_typeET4_jRbjT5_S1A_jjP12ihipStream_tbEUljE_EEESV_SW_SX_S14_S18_S1A_T6_T7_T9_mT8_S1C_bDpT10_ENKUlT_T0_E_clISt17integral_constantIbLb1EES1O_IbLb0EEEEDaS1K_S1L_EUlS1K_E_NS1_11comp_targetILNS1_3genE5ELNS1_11target_archE942ELNS1_3gpuE9ELNS1_3repE0EEENS1_30default_config_static_selectorELNS0_4arch9wavefront6targetE0EEEvSY_.private_seg_size, 0
	.set _ZN7rocprim17ROCPRIM_400000_NS6detail17trampoline_kernelINS0_13select_configILj256ELj13ELNS0_17block_load_methodE3ELS4_3ELS4_3ELNS0_20block_scan_algorithmE0ELj4294967295EEENS1_25partition_config_selectorILNS1_17partition_subalgoE3EjNS0_10empty_typeEbEEZZNS1_14partition_implILS8_3ELb0ES6_jNS0_17counting_iteratorIjlEEPS9_SE_NS0_5tupleIJPjSE_EEENSF_IJSE_SE_EEES9_SG_JZNS1_25segmented_radix_sort_implINS0_14default_configELb0EPKdPdPKlPlN2at6native12_GLOBAL__N_18offset_tEEE10hipError_tPvRmT1_PNSt15iterator_traitsISY_E10value_typeET2_T3_PNSZ_IS14_E10value_typeET4_jRbjT5_S1A_jjP12ihipStream_tbEUljE_EEESV_SW_SX_S14_S18_S1A_T6_T7_T9_mT8_S1C_bDpT10_ENKUlT_T0_E_clISt17integral_constantIbLb1EES1O_IbLb0EEEEDaS1K_S1L_EUlS1K_E_NS1_11comp_targetILNS1_3genE5ELNS1_11target_archE942ELNS1_3gpuE9ELNS1_3repE0EEENS1_30default_config_static_selectorELNS0_4arch9wavefront6targetE0EEEvSY_.uses_vcc, 0
	.set _ZN7rocprim17ROCPRIM_400000_NS6detail17trampoline_kernelINS0_13select_configILj256ELj13ELNS0_17block_load_methodE3ELS4_3ELS4_3ELNS0_20block_scan_algorithmE0ELj4294967295EEENS1_25partition_config_selectorILNS1_17partition_subalgoE3EjNS0_10empty_typeEbEEZZNS1_14partition_implILS8_3ELb0ES6_jNS0_17counting_iteratorIjlEEPS9_SE_NS0_5tupleIJPjSE_EEENSF_IJSE_SE_EEES9_SG_JZNS1_25segmented_radix_sort_implINS0_14default_configELb0EPKdPdPKlPlN2at6native12_GLOBAL__N_18offset_tEEE10hipError_tPvRmT1_PNSt15iterator_traitsISY_E10value_typeET2_T3_PNSZ_IS14_E10value_typeET4_jRbjT5_S1A_jjP12ihipStream_tbEUljE_EEESV_SW_SX_S14_S18_S1A_T6_T7_T9_mT8_S1C_bDpT10_ENKUlT_T0_E_clISt17integral_constantIbLb1EES1O_IbLb0EEEEDaS1K_S1L_EUlS1K_E_NS1_11comp_targetILNS1_3genE5ELNS1_11target_archE942ELNS1_3gpuE9ELNS1_3repE0EEENS1_30default_config_static_selectorELNS0_4arch9wavefront6targetE0EEEvSY_.uses_flat_scratch, 0
	.set _ZN7rocprim17ROCPRIM_400000_NS6detail17trampoline_kernelINS0_13select_configILj256ELj13ELNS0_17block_load_methodE3ELS4_3ELS4_3ELNS0_20block_scan_algorithmE0ELj4294967295EEENS1_25partition_config_selectorILNS1_17partition_subalgoE3EjNS0_10empty_typeEbEEZZNS1_14partition_implILS8_3ELb0ES6_jNS0_17counting_iteratorIjlEEPS9_SE_NS0_5tupleIJPjSE_EEENSF_IJSE_SE_EEES9_SG_JZNS1_25segmented_radix_sort_implINS0_14default_configELb0EPKdPdPKlPlN2at6native12_GLOBAL__N_18offset_tEEE10hipError_tPvRmT1_PNSt15iterator_traitsISY_E10value_typeET2_T3_PNSZ_IS14_E10value_typeET4_jRbjT5_S1A_jjP12ihipStream_tbEUljE_EEESV_SW_SX_S14_S18_S1A_T6_T7_T9_mT8_S1C_bDpT10_ENKUlT_T0_E_clISt17integral_constantIbLb1EES1O_IbLb0EEEEDaS1K_S1L_EUlS1K_E_NS1_11comp_targetILNS1_3genE5ELNS1_11target_archE942ELNS1_3gpuE9ELNS1_3repE0EEENS1_30default_config_static_selectorELNS0_4arch9wavefront6targetE0EEEvSY_.has_dyn_sized_stack, 0
	.set _ZN7rocprim17ROCPRIM_400000_NS6detail17trampoline_kernelINS0_13select_configILj256ELj13ELNS0_17block_load_methodE3ELS4_3ELS4_3ELNS0_20block_scan_algorithmE0ELj4294967295EEENS1_25partition_config_selectorILNS1_17partition_subalgoE3EjNS0_10empty_typeEbEEZZNS1_14partition_implILS8_3ELb0ES6_jNS0_17counting_iteratorIjlEEPS9_SE_NS0_5tupleIJPjSE_EEENSF_IJSE_SE_EEES9_SG_JZNS1_25segmented_radix_sort_implINS0_14default_configELb0EPKdPdPKlPlN2at6native12_GLOBAL__N_18offset_tEEE10hipError_tPvRmT1_PNSt15iterator_traitsISY_E10value_typeET2_T3_PNSZ_IS14_E10value_typeET4_jRbjT5_S1A_jjP12ihipStream_tbEUljE_EEESV_SW_SX_S14_S18_S1A_T6_T7_T9_mT8_S1C_bDpT10_ENKUlT_T0_E_clISt17integral_constantIbLb1EES1O_IbLb0EEEEDaS1K_S1L_EUlS1K_E_NS1_11comp_targetILNS1_3genE5ELNS1_11target_archE942ELNS1_3gpuE9ELNS1_3repE0EEENS1_30default_config_static_selectorELNS0_4arch9wavefront6targetE0EEEvSY_.has_recursion, 0
	.set _ZN7rocprim17ROCPRIM_400000_NS6detail17trampoline_kernelINS0_13select_configILj256ELj13ELNS0_17block_load_methodE3ELS4_3ELS4_3ELNS0_20block_scan_algorithmE0ELj4294967295EEENS1_25partition_config_selectorILNS1_17partition_subalgoE3EjNS0_10empty_typeEbEEZZNS1_14partition_implILS8_3ELb0ES6_jNS0_17counting_iteratorIjlEEPS9_SE_NS0_5tupleIJPjSE_EEENSF_IJSE_SE_EEES9_SG_JZNS1_25segmented_radix_sort_implINS0_14default_configELb0EPKdPdPKlPlN2at6native12_GLOBAL__N_18offset_tEEE10hipError_tPvRmT1_PNSt15iterator_traitsISY_E10value_typeET2_T3_PNSZ_IS14_E10value_typeET4_jRbjT5_S1A_jjP12ihipStream_tbEUljE_EEESV_SW_SX_S14_S18_S1A_T6_T7_T9_mT8_S1C_bDpT10_ENKUlT_T0_E_clISt17integral_constantIbLb1EES1O_IbLb0EEEEDaS1K_S1L_EUlS1K_E_NS1_11comp_targetILNS1_3genE5ELNS1_11target_archE942ELNS1_3gpuE9ELNS1_3repE0EEENS1_30default_config_static_selectorELNS0_4arch9wavefront6targetE0EEEvSY_.has_indirect_call, 0
	.section	.AMDGPU.csdata,"",@progbits
; Kernel info:
; codeLenInByte = 0
; TotalNumSgprs: 0
; NumVgprs: 0
; ScratchSize: 0
; MemoryBound: 0
; FloatMode: 240
; IeeeMode: 1
; LDSByteSize: 0 bytes/workgroup (compile time only)
; SGPRBlocks: 0
; VGPRBlocks: 0
; NumSGPRsForWavesPerEU: 1
; NumVGPRsForWavesPerEU: 1
; Occupancy: 16
; WaveLimiterHint : 0
; COMPUTE_PGM_RSRC2:SCRATCH_EN: 0
; COMPUTE_PGM_RSRC2:USER_SGPR: 6
; COMPUTE_PGM_RSRC2:TRAP_HANDLER: 0
; COMPUTE_PGM_RSRC2:TGID_X_EN: 1
; COMPUTE_PGM_RSRC2:TGID_Y_EN: 0
; COMPUTE_PGM_RSRC2:TGID_Z_EN: 0
; COMPUTE_PGM_RSRC2:TIDIG_COMP_CNT: 0
	.section	.text._ZN7rocprim17ROCPRIM_400000_NS6detail17trampoline_kernelINS0_13select_configILj256ELj13ELNS0_17block_load_methodE3ELS4_3ELS4_3ELNS0_20block_scan_algorithmE0ELj4294967295EEENS1_25partition_config_selectorILNS1_17partition_subalgoE3EjNS0_10empty_typeEbEEZZNS1_14partition_implILS8_3ELb0ES6_jNS0_17counting_iteratorIjlEEPS9_SE_NS0_5tupleIJPjSE_EEENSF_IJSE_SE_EEES9_SG_JZNS1_25segmented_radix_sort_implINS0_14default_configELb0EPKdPdPKlPlN2at6native12_GLOBAL__N_18offset_tEEE10hipError_tPvRmT1_PNSt15iterator_traitsISY_E10value_typeET2_T3_PNSZ_IS14_E10value_typeET4_jRbjT5_S1A_jjP12ihipStream_tbEUljE_EEESV_SW_SX_S14_S18_S1A_T6_T7_T9_mT8_S1C_bDpT10_ENKUlT_T0_E_clISt17integral_constantIbLb1EES1O_IbLb0EEEEDaS1K_S1L_EUlS1K_E_NS1_11comp_targetILNS1_3genE4ELNS1_11target_archE910ELNS1_3gpuE8ELNS1_3repE0EEENS1_30default_config_static_selectorELNS0_4arch9wavefront6targetE0EEEvSY_,"axG",@progbits,_ZN7rocprim17ROCPRIM_400000_NS6detail17trampoline_kernelINS0_13select_configILj256ELj13ELNS0_17block_load_methodE3ELS4_3ELS4_3ELNS0_20block_scan_algorithmE0ELj4294967295EEENS1_25partition_config_selectorILNS1_17partition_subalgoE3EjNS0_10empty_typeEbEEZZNS1_14partition_implILS8_3ELb0ES6_jNS0_17counting_iteratorIjlEEPS9_SE_NS0_5tupleIJPjSE_EEENSF_IJSE_SE_EEES9_SG_JZNS1_25segmented_radix_sort_implINS0_14default_configELb0EPKdPdPKlPlN2at6native12_GLOBAL__N_18offset_tEEE10hipError_tPvRmT1_PNSt15iterator_traitsISY_E10value_typeET2_T3_PNSZ_IS14_E10value_typeET4_jRbjT5_S1A_jjP12ihipStream_tbEUljE_EEESV_SW_SX_S14_S18_S1A_T6_T7_T9_mT8_S1C_bDpT10_ENKUlT_T0_E_clISt17integral_constantIbLb1EES1O_IbLb0EEEEDaS1K_S1L_EUlS1K_E_NS1_11comp_targetILNS1_3genE4ELNS1_11target_archE910ELNS1_3gpuE8ELNS1_3repE0EEENS1_30default_config_static_selectorELNS0_4arch9wavefront6targetE0EEEvSY_,comdat
	.globl	_ZN7rocprim17ROCPRIM_400000_NS6detail17trampoline_kernelINS0_13select_configILj256ELj13ELNS0_17block_load_methodE3ELS4_3ELS4_3ELNS0_20block_scan_algorithmE0ELj4294967295EEENS1_25partition_config_selectorILNS1_17partition_subalgoE3EjNS0_10empty_typeEbEEZZNS1_14partition_implILS8_3ELb0ES6_jNS0_17counting_iteratorIjlEEPS9_SE_NS0_5tupleIJPjSE_EEENSF_IJSE_SE_EEES9_SG_JZNS1_25segmented_radix_sort_implINS0_14default_configELb0EPKdPdPKlPlN2at6native12_GLOBAL__N_18offset_tEEE10hipError_tPvRmT1_PNSt15iterator_traitsISY_E10value_typeET2_T3_PNSZ_IS14_E10value_typeET4_jRbjT5_S1A_jjP12ihipStream_tbEUljE_EEESV_SW_SX_S14_S18_S1A_T6_T7_T9_mT8_S1C_bDpT10_ENKUlT_T0_E_clISt17integral_constantIbLb1EES1O_IbLb0EEEEDaS1K_S1L_EUlS1K_E_NS1_11comp_targetILNS1_3genE4ELNS1_11target_archE910ELNS1_3gpuE8ELNS1_3repE0EEENS1_30default_config_static_selectorELNS0_4arch9wavefront6targetE0EEEvSY_ ; -- Begin function _ZN7rocprim17ROCPRIM_400000_NS6detail17trampoline_kernelINS0_13select_configILj256ELj13ELNS0_17block_load_methodE3ELS4_3ELS4_3ELNS0_20block_scan_algorithmE0ELj4294967295EEENS1_25partition_config_selectorILNS1_17partition_subalgoE3EjNS0_10empty_typeEbEEZZNS1_14partition_implILS8_3ELb0ES6_jNS0_17counting_iteratorIjlEEPS9_SE_NS0_5tupleIJPjSE_EEENSF_IJSE_SE_EEES9_SG_JZNS1_25segmented_radix_sort_implINS0_14default_configELb0EPKdPdPKlPlN2at6native12_GLOBAL__N_18offset_tEEE10hipError_tPvRmT1_PNSt15iterator_traitsISY_E10value_typeET2_T3_PNSZ_IS14_E10value_typeET4_jRbjT5_S1A_jjP12ihipStream_tbEUljE_EEESV_SW_SX_S14_S18_S1A_T6_T7_T9_mT8_S1C_bDpT10_ENKUlT_T0_E_clISt17integral_constantIbLb1EES1O_IbLb0EEEEDaS1K_S1L_EUlS1K_E_NS1_11comp_targetILNS1_3genE4ELNS1_11target_archE910ELNS1_3gpuE8ELNS1_3repE0EEENS1_30default_config_static_selectorELNS0_4arch9wavefront6targetE0EEEvSY_
	.p2align	8
	.type	_ZN7rocprim17ROCPRIM_400000_NS6detail17trampoline_kernelINS0_13select_configILj256ELj13ELNS0_17block_load_methodE3ELS4_3ELS4_3ELNS0_20block_scan_algorithmE0ELj4294967295EEENS1_25partition_config_selectorILNS1_17partition_subalgoE3EjNS0_10empty_typeEbEEZZNS1_14partition_implILS8_3ELb0ES6_jNS0_17counting_iteratorIjlEEPS9_SE_NS0_5tupleIJPjSE_EEENSF_IJSE_SE_EEES9_SG_JZNS1_25segmented_radix_sort_implINS0_14default_configELb0EPKdPdPKlPlN2at6native12_GLOBAL__N_18offset_tEEE10hipError_tPvRmT1_PNSt15iterator_traitsISY_E10value_typeET2_T3_PNSZ_IS14_E10value_typeET4_jRbjT5_S1A_jjP12ihipStream_tbEUljE_EEESV_SW_SX_S14_S18_S1A_T6_T7_T9_mT8_S1C_bDpT10_ENKUlT_T0_E_clISt17integral_constantIbLb1EES1O_IbLb0EEEEDaS1K_S1L_EUlS1K_E_NS1_11comp_targetILNS1_3genE4ELNS1_11target_archE910ELNS1_3gpuE8ELNS1_3repE0EEENS1_30default_config_static_selectorELNS0_4arch9wavefront6targetE0EEEvSY_,@function
_ZN7rocprim17ROCPRIM_400000_NS6detail17trampoline_kernelINS0_13select_configILj256ELj13ELNS0_17block_load_methodE3ELS4_3ELS4_3ELNS0_20block_scan_algorithmE0ELj4294967295EEENS1_25partition_config_selectorILNS1_17partition_subalgoE3EjNS0_10empty_typeEbEEZZNS1_14partition_implILS8_3ELb0ES6_jNS0_17counting_iteratorIjlEEPS9_SE_NS0_5tupleIJPjSE_EEENSF_IJSE_SE_EEES9_SG_JZNS1_25segmented_radix_sort_implINS0_14default_configELb0EPKdPdPKlPlN2at6native12_GLOBAL__N_18offset_tEEE10hipError_tPvRmT1_PNSt15iterator_traitsISY_E10value_typeET2_T3_PNSZ_IS14_E10value_typeET4_jRbjT5_S1A_jjP12ihipStream_tbEUljE_EEESV_SW_SX_S14_S18_S1A_T6_T7_T9_mT8_S1C_bDpT10_ENKUlT_T0_E_clISt17integral_constantIbLb1EES1O_IbLb0EEEEDaS1K_S1L_EUlS1K_E_NS1_11comp_targetILNS1_3genE4ELNS1_11target_archE910ELNS1_3gpuE8ELNS1_3repE0EEENS1_30default_config_static_selectorELNS0_4arch9wavefront6targetE0EEEvSY_: ; @_ZN7rocprim17ROCPRIM_400000_NS6detail17trampoline_kernelINS0_13select_configILj256ELj13ELNS0_17block_load_methodE3ELS4_3ELS4_3ELNS0_20block_scan_algorithmE0ELj4294967295EEENS1_25partition_config_selectorILNS1_17partition_subalgoE3EjNS0_10empty_typeEbEEZZNS1_14partition_implILS8_3ELb0ES6_jNS0_17counting_iteratorIjlEEPS9_SE_NS0_5tupleIJPjSE_EEENSF_IJSE_SE_EEES9_SG_JZNS1_25segmented_radix_sort_implINS0_14default_configELb0EPKdPdPKlPlN2at6native12_GLOBAL__N_18offset_tEEE10hipError_tPvRmT1_PNSt15iterator_traitsISY_E10value_typeET2_T3_PNSZ_IS14_E10value_typeET4_jRbjT5_S1A_jjP12ihipStream_tbEUljE_EEESV_SW_SX_S14_S18_S1A_T6_T7_T9_mT8_S1C_bDpT10_ENKUlT_T0_E_clISt17integral_constantIbLb1EES1O_IbLb0EEEEDaS1K_S1L_EUlS1K_E_NS1_11comp_targetILNS1_3genE4ELNS1_11target_archE910ELNS1_3gpuE8ELNS1_3repE0EEENS1_30default_config_static_selectorELNS0_4arch9wavefront6targetE0EEEvSY_
; %bb.0:
	.section	.rodata,"a",@progbits
	.p2align	6, 0x0
	.amdhsa_kernel _ZN7rocprim17ROCPRIM_400000_NS6detail17trampoline_kernelINS0_13select_configILj256ELj13ELNS0_17block_load_methodE3ELS4_3ELS4_3ELNS0_20block_scan_algorithmE0ELj4294967295EEENS1_25partition_config_selectorILNS1_17partition_subalgoE3EjNS0_10empty_typeEbEEZZNS1_14partition_implILS8_3ELb0ES6_jNS0_17counting_iteratorIjlEEPS9_SE_NS0_5tupleIJPjSE_EEENSF_IJSE_SE_EEES9_SG_JZNS1_25segmented_radix_sort_implINS0_14default_configELb0EPKdPdPKlPlN2at6native12_GLOBAL__N_18offset_tEEE10hipError_tPvRmT1_PNSt15iterator_traitsISY_E10value_typeET2_T3_PNSZ_IS14_E10value_typeET4_jRbjT5_S1A_jjP12ihipStream_tbEUljE_EEESV_SW_SX_S14_S18_S1A_T6_T7_T9_mT8_S1C_bDpT10_ENKUlT_T0_E_clISt17integral_constantIbLb1EES1O_IbLb0EEEEDaS1K_S1L_EUlS1K_E_NS1_11comp_targetILNS1_3genE4ELNS1_11target_archE910ELNS1_3gpuE8ELNS1_3repE0EEENS1_30default_config_static_selectorELNS0_4arch9wavefront6targetE0EEEvSY_
		.amdhsa_group_segment_fixed_size 0
		.amdhsa_private_segment_fixed_size 0
		.amdhsa_kernarg_size 144
		.amdhsa_user_sgpr_count 6
		.amdhsa_user_sgpr_private_segment_buffer 1
		.amdhsa_user_sgpr_dispatch_ptr 0
		.amdhsa_user_sgpr_queue_ptr 0
		.amdhsa_user_sgpr_kernarg_segment_ptr 1
		.amdhsa_user_sgpr_dispatch_id 0
		.amdhsa_user_sgpr_flat_scratch_init 0
		.amdhsa_user_sgpr_private_segment_size 0
		.amdhsa_wavefront_size32 1
		.amdhsa_uses_dynamic_stack 0
		.amdhsa_system_sgpr_private_segment_wavefront_offset 0
		.amdhsa_system_sgpr_workgroup_id_x 1
		.amdhsa_system_sgpr_workgroup_id_y 0
		.amdhsa_system_sgpr_workgroup_id_z 0
		.amdhsa_system_sgpr_workgroup_info 0
		.amdhsa_system_vgpr_workitem_id 0
		.amdhsa_next_free_vgpr 1
		.amdhsa_next_free_sgpr 1
		.amdhsa_reserve_vcc 0
		.amdhsa_reserve_flat_scratch 0
		.amdhsa_float_round_mode_32 0
		.amdhsa_float_round_mode_16_64 0
		.amdhsa_float_denorm_mode_32 3
		.amdhsa_float_denorm_mode_16_64 3
		.amdhsa_dx10_clamp 1
		.amdhsa_ieee_mode 1
		.amdhsa_fp16_overflow 0
		.amdhsa_workgroup_processor_mode 1
		.amdhsa_memory_ordered 1
		.amdhsa_forward_progress 1
		.amdhsa_shared_vgpr_count 0
		.amdhsa_exception_fp_ieee_invalid_op 0
		.amdhsa_exception_fp_denorm_src 0
		.amdhsa_exception_fp_ieee_div_zero 0
		.amdhsa_exception_fp_ieee_overflow 0
		.amdhsa_exception_fp_ieee_underflow 0
		.amdhsa_exception_fp_ieee_inexact 0
		.amdhsa_exception_int_div_zero 0
	.end_amdhsa_kernel
	.section	.text._ZN7rocprim17ROCPRIM_400000_NS6detail17trampoline_kernelINS0_13select_configILj256ELj13ELNS0_17block_load_methodE3ELS4_3ELS4_3ELNS0_20block_scan_algorithmE0ELj4294967295EEENS1_25partition_config_selectorILNS1_17partition_subalgoE3EjNS0_10empty_typeEbEEZZNS1_14partition_implILS8_3ELb0ES6_jNS0_17counting_iteratorIjlEEPS9_SE_NS0_5tupleIJPjSE_EEENSF_IJSE_SE_EEES9_SG_JZNS1_25segmented_radix_sort_implINS0_14default_configELb0EPKdPdPKlPlN2at6native12_GLOBAL__N_18offset_tEEE10hipError_tPvRmT1_PNSt15iterator_traitsISY_E10value_typeET2_T3_PNSZ_IS14_E10value_typeET4_jRbjT5_S1A_jjP12ihipStream_tbEUljE_EEESV_SW_SX_S14_S18_S1A_T6_T7_T9_mT8_S1C_bDpT10_ENKUlT_T0_E_clISt17integral_constantIbLb1EES1O_IbLb0EEEEDaS1K_S1L_EUlS1K_E_NS1_11comp_targetILNS1_3genE4ELNS1_11target_archE910ELNS1_3gpuE8ELNS1_3repE0EEENS1_30default_config_static_selectorELNS0_4arch9wavefront6targetE0EEEvSY_,"axG",@progbits,_ZN7rocprim17ROCPRIM_400000_NS6detail17trampoline_kernelINS0_13select_configILj256ELj13ELNS0_17block_load_methodE3ELS4_3ELS4_3ELNS0_20block_scan_algorithmE0ELj4294967295EEENS1_25partition_config_selectorILNS1_17partition_subalgoE3EjNS0_10empty_typeEbEEZZNS1_14partition_implILS8_3ELb0ES6_jNS0_17counting_iteratorIjlEEPS9_SE_NS0_5tupleIJPjSE_EEENSF_IJSE_SE_EEES9_SG_JZNS1_25segmented_radix_sort_implINS0_14default_configELb0EPKdPdPKlPlN2at6native12_GLOBAL__N_18offset_tEEE10hipError_tPvRmT1_PNSt15iterator_traitsISY_E10value_typeET2_T3_PNSZ_IS14_E10value_typeET4_jRbjT5_S1A_jjP12ihipStream_tbEUljE_EEESV_SW_SX_S14_S18_S1A_T6_T7_T9_mT8_S1C_bDpT10_ENKUlT_T0_E_clISt17integral_constantIbLb1EES1O_IbLb0EEEEDaS1K_S1L_EUlS1K_E_NS1_11comp_targetILNS1_3genE4ELNS1_11target_archE910ELNS1_3gpuE8ELNS1_3repE0EEENS1_30default_config_static_selectorELNS0_4arch9wavefront6targetE0EEEvSY_,comdat
.Lfunc_end1199:
	.size	_ZN7rocprim17ROCPRIM_400000_NS6detail17trampoline_kernelINS0_13select_configILj256ELj13ELNS0_17block_load_methodE3ELS4_3ELS4_3ELNS0_20block_scan_algorithmE0ELj4294967295EEENS1_25partition_config_selectorILNS1_17partition_subalgoE3EjNS0_10empty_typeEbEEZZNS1_14partition_implILS8_3ELb0ES6_jNS0_17counting_iteratorIjlEEPS9_SE_NS0_5tupleIJPjSE_EEENSF_IJSE_SE_EEES9_SG_JZNS1_25segmented_radix_sort_implINS0_14default_configELb0EPKdPdPKlPlN2at6native12_GLOBAL__N_18offset_tEEE10hipError_tPvRmT1_PNSt15iterator_traitsISY_E10value_typeET2_T3_PNSZ_IS14_E10value_typeET4_jRbjT5_S1A_jjP12ihipStream_tbEUljE_EEESV_SW_SX_S14_S18_S1A_T6_T7_T9_mT8_S1C_bDpT10_ENKUlT_T0_E_clISt17integral_constantIbLb1EES1O_IbLb0EEEEDaS1K_S1L_EUlS1K_E_NS1_11comp_targetILNS1_3genE4ELNS1_11target_archE910ELNS1_3gpuE8ELNS1_3repE0EEENS1_30default_config_static_selectorELNS0_4arch9wavefront6targetE0EEEvSY_, .Lfunc_end1199-_ZN7rocprim17ROCPRIM_400000_NS6detail17trampoline_kernelINS0_13select_configILj256ELj13ELNS0_17block_load_methodE3ELS4_3ELS4_3ELNS0_20block_scan_algorithmE0ELj4294967295EEENS1_25partition_config_selectorILNS1_17partition_subalgoE3EjNS0_10empty_typeEbEEZZNS1_14partition_implILS8_3ELb0ES6_jNS0_17counting_iteratorIjlEEPS9_SE_NS0_5tupleIJPjSE_EEENSF_IJSE_SE_EEES9_SG_JZNS1_25segmented_radix_sort_implINS0_14default_configELb0EPKdPdPKlPlN2at6native12_GLOBAL__N_18offset_tEEE10hipError_tPvRmT1_PNSt15iterator_traitsISY_E10value_typeET2_T3_PNSZ_IS14_E10value_typeET4_jRbjT5_S1A_jjP12ihipStream_tbEUljE_EEESV_SW_SX_S14_S18_S1A_T6_T7_T9_mT8_S1C_bDpT10_ENKUlT_T0_E_clISt17integral_constantIbLb1EES1O_IbLb0EEEEDaS1K_S1L_EUlS1K_E_NS1_11comp_targetILNS1_3genE4ELNS1_11target_archE910ELNS1_3gpuE8ELNS1_3repE0EEENS1_30default_config_static_selectorELNS0_4arch9wavefront6targetE0EEEvSY_
                                        ; -- End function
	.set _ZN7rocprim17ROCPRIM_400000_NS6detail17trampoline_kernelINS0_13select_configILj256ELj13ELNS0_17block_load_methodE3ELS4_3ELS4_3ELNS0_20block_scan_algorithmE0ELj4294967295EEENS1_25partition_config_selectorILNS1_17partition_subalgoE3EjNS0_10empty_typeEbEEZZNS1_14partition_implILS8_3ELb0ES6_jNS0_17counting_iteratorIjlEEPS9_SE_NS0_5tupleIJPjSE_EEENSF_IJSE_SE_EEES9_SG_JZNS1_25segmented_radix_sort_implINS0_14default_configELb0EPKdPdPKlPlN2at6native12_GLOBAL__N_18offset_tEEE10hipError_tPvRmT1_PNSt15iterator_traitsISY_E10value_typeET2_T3_PNSZ_IS14_E10value_typeET4_jRbjT5_S1A_jjP12ihipStream_tbEUljE_EEESV_SW_SX_S14_S18_S1A_T6_T7_T9_mT8_S1C_bDpT10_ENKUlT_T0_E_clISt17integral_constantIbLb1EES1O_IbLb0EEEEDaS1K_S1L_EUlS1K_E_NS1_11comp_targetILNS1_3genE4ELNS1_11target_archE910ELNS1_3gpuE8ELNS1_3repE0EEENS1_30default_config_static_selectorELNS0_4arch9wavefront6targetE0EEEvSY_.num_vgpr, 0
	.set _ZN7rocprim17ROCPRIM_400000_NS6detail17trampoline_kernelINS0_13select_configILj256ELj13ELNS0_17block_load_methodE3ELS4_3ELS4_3ELNS0_20block_scan_algorithmE0ELj4294967295EEENS1_25partition_config_selectorILNS1_17partition_subalgoE3EjNS0_10empty_typeEbEEZZNS1_14partition_implILS8_3ELb0ES6_jNS0_17counting_iteratorIjlEEPS9_SE_NS0_5tupleIJPjSE_EEENSF_IJSE_SE_EEES9_SG_JZNS1_25segmented_radix_sort_implINS0_14default_configELb0EPKdPdPKlPlN2at6native12_GLOBAL__N_18offset_tEEE10hipError_tPvRmT1_PNSt15iterator_traitsISY_E10value_typeET2_T3_PNSZ_IS14_E10value_typeET4_jRbjT5_S1A_jjP12ihipStream_tbEUljE_EEESV_SW_SX_S14_S18_S1A_T6_T7_T9_mT8_S1C_bDpT10_ENKUlT_T0_E_clISt17integral_constantIbLb1EES1O_IbLb0EEEEDaS1K_S1L_EUlS1K_E_NS1_11comp_targetILNS1_3genE4ELNS1_11target_archE910ELNS1_3gpuE8ELNS1_3repE0EEENS1_30default_config_static_selectorELNS0_4arch9wavefront6targetE0EEEvSY_.num_agpr, 0
	.set _ZN7rocprim17ROCPRIM_400000_NS6detail17trampoline_kernelINS0_13select_configILj256ELj13ELNS0_17block_load_methodE3ELS4_3ELS4_3ELNS0_20block_scan_algorithmE0ELj4294967295EEENS1_25partition_config_selectorILNS1_17partition_subalgoE3EjNS0_10empty_typeEbEEZZNS1_14partition_implILS8_3ELb0ES6_jNS0_17counting_iteratorIjlEEPS9_SE_NS0_5tupleIJPjSE_EEENSF_IJSE_SE_EEES9_SG_JZNS1_25segmented_radix_sort_implINS0_14default_configELb0EPKdPdPKlPlN2at6native12_GLOBAL__N_18offset_tEEE10hipError_tPvRmT1_PNSt15iterator_traitsISY_E10value_typeET2_T3_PNSZ_IS14_E10value_typeET4_jRbjT5_S1A_jjP12ihipStream_tbEUljE_EEESV_SW_SX_S14_S18_S1A_T6_T7_T9_mT8_S1C_bDpT10_ENKUlT_T0_E_clISt17integral_constantIbLb1EES1O_IbLb0EEEEDaS1K_S1L_EUlS1K_E_NS1_11comp_targetILNS1_3genE4ELNS1_11target_archE910ELNS1_3gpuE8ELNS1_3repE0EEENS1_30default_config_static_selectorELNS0_4arch9wavefront6targetE0EEEvSY_.numbered_sgpr, 0
	.set _ZN7rocprim17ROCPRIM_400000_NS6detail17trampoline_kernelINS0_13select_configILj256ELj13ELNS0_17block_load_methodE3ELS4_3ELS4_3ELNS0_20block_scan_algorithmE0ELj4294967295EEENS1_25partition_config_selectorILNS1_17partition_subalgoE3EjNS0_10empty_typeEbEEZZNS1_14partition_implILS8_3ELb0ES6_jNS0_17counting_iteratorIjlEEPS9_SE_NS0_5tupleIJPjSE_EEENSF_IJSE_SE_EEES9_SG_JZNS1_25segmented_radix_sort_implINS0_14default_configELb0EPKdPdPKlPlN2at6native12_GLOBAL__N_18offset_tEEE10hipError_tPvRmT1_PNSt15iterator_traitsISY_E10value_typeET2_T3_PNSZ_IS14_E10value_typeET4_jRbjT5_S1A_jjP12ihipStream_tbEUljE_EEESV_SW_SX_S14_S18_S1A_T6_T7_T9_mT8_S1C_bDpT10_ENKUlT_T0_E_clISt17integral_constantIbLb1EES1O_IbLb0EEEEDaS1K_S1L_EUlS1K_E_NS1_11comp_targetILNS1_3genE4ELNS1_11target_archE910ELNS1_3gpuE8ELNS1_3repE0EEENS1_30default_config_static_selectorELNS0_4arch9wavefront6targetE0EEEvSY_.num_named_barrier, 0
	.set _ZN7rocprim17ROCPRIM_400000_NS6detail17trampoline_kernelINS0_13select_configILj256ELj13ELNS0_17block_load_methodE3ELS4_3ELS4_3ELNS0_20block_scan_algorithmE0ELj4294967295EEENS1_25partition_config_selectorILNS1_17partition_subalgoE3EjNS0_10empty_typeEbEEZZNS1_14partition_implILS8_3ELb0ES6_jNS0_17counting_iteratorIjlEEPS9_SE_NS0_5tupleIJPjSE_EEENSF_IJSE_SE_EEES9_SG_JZNS1_25segmented_radix_sort_implINS0_14default_configELb0EPKdPdPKlPlN2at6native12_GLOBAL__N_18offset_tEEE10hipError_tPvRmT1_PNSt15iterator_traitsISY_E10value_typeET2_T3_PNSZ_IS14_E10value_typeET4_jRbjT5_S1A_jjP12ihipStream_tbEUljE_EEESV_SW_SX_S14_S18_S1A_T6_T7_T9_mT8_S1C_bDpT10_ENKUlT_T0_E_clISt17integral_constantIbLb1EES1O_IbLb0EEEEDaS1K_S1L_EUlS1K_E_NS1_11comp_targetILNS1_3genE4ELNS1_11target_archE910ELNS1_3gpuE8ELNS1_3repE0EEENS1_30default_config_static_selectorELNS0_4arch9wavefront6targetE0EEEvSY_.private_seg_size, 0
	.set _ZN7rocprim17ROCPRIM_400000_NS6detail17trampoline_kernelINS0_13select_configILj256ELj13ELNS0_17block_load_methodE3ELS4_3ELS4_3ELNS0_20block_scan_algorithmE0ELj4294967295EEENS1_25partition_config_selectorILNS1_17partition_subalgoE3EjNS0_10empty_typeEbEEZZNS1_14partition_implILS8_3ELb0ES6_jNS0_17counting_iteratorIjlEEPS9_SE_NS0_5tupleIJPjSE_EEENSF_IJSE_SE_EEES9_SG_JZNS1_25segmented_radix_sort_implINS0_14default_configELb0EPKdPdPKlPlN2at6native12_GLOBAL__N_18offset_tEEE10hipError_tPvRmT1_PNSt15iterator_traitsISY_E10value_typeET2_T3_PNSZ_IS14_E10value_typeET4_jRbjT5_S1A_jjP12ihipStream_tbEUljE_EEESV_SW_SX_S14_S18_S1A_T6_T7_T9_mT8_S1C_bDpT10_ENKUlT_T0_E_clISt17integral_constantIbLb1EES1O_IbLb0EEEEDaS1K_S1L_EUlS1K_E_NS1_11comp_targetILNS1_3genE4ELNS1_11target_archE910ELNS1_3gpuE8ELNS1_3repE0EEENS1_30default_config_static_selectorELNS0_4arch9wavefront6targetE0EEEvSY_.uses_vcc, 0
	.set _ZN7rocprim17ROCPRIM_400000_NS6detail17trampoline_kernelINS0_13select_configILj256ELj13ELNS0_17block_load_methodE3ELS4_3ELS4_3ELNS0_20block_scan_algorithmE0ELj4294967295EEENS1_25partition_config_selectorILNS1_17partition_subalgoE3EjNS0_10empty_typeEbEEZZNS1_14partition_implILS8_3ELb0ES6_jNS0_17counting_iteratorIjlEEPS9_SE_NS0_5tupleIJPjSE_EEENSF_IJSE_SE_EEES9_SG_JZNS1_25segmented_radix_sort_implINS0_14default_configELb0EPKdPdPKlPlN2at6native12_GLOBAL__N_18offset_tEEE10hipError_tPvRmT1_PNSt15iterator_traitsISY_E10value_typeET2_T3_PNSZ_IS14_E10value_typeET4_jRbjT5_S1A_jjP12ihipStream_tbEUljE_EEESV_SW_SX_S14_S18_S1A_T6_T7_T9_mT8_S1C_bDpT10_ENKUlT_T0_E_clISt17integral_constantIbLb1EES1O_IbLb0EEEEDaS1K_S1L_EUlS1K_E_NS1_11comp_targetILNS1_3genE4ELNS1_11target_archE910ELNS1_3gpuE8ELNS1_3repE0EEENS1_30default_config_static_selectorELNS0_4arch9wavefront6targetE0EEEvSY_.uses_flat_scratch, 0
	.set _ZN7rocprim17ROCPRIM_400000_NS6detail17trampoline_kernelINS0_13select_configILj256ELj13ELNS0_17block_load_methodE3ELS4_3ELS4_3ELNS0_20block_scan_algorithmE0ELj4294967295EEENS1_25partition_config_selectorILNS1_17partition_subalgoE3EjNS0_10empty_typeEbEEZZNS1_14partition_implILS8_3ELb0ES6_jNS0_17counting_iteratorIjlEEPS9_SE_NS0_5tupleIJPjSE_EEENSF_IJSE_SE_EEES9_SG_JZNS1_25segmented_radix_sort_implINS0_14default_configELb0EPKdPdPKlPlN2at6native12_GLOBAL__N_18offset_tEEE10hipError_tPvRmT1_PNSt15iterator_traitsISY_E10value_typeET2_T3_PNSZ_IS14_E10value_typeET4_jRbjT5_S1A_jjP12ihipStream_tbEUljE_EEESV_SW_SX_S14_S18_S1A_T6_T7_T9_mT8_S1C_bDpT10_ENKUlT_T0_E_clISt17integral_constantIbLb1EES1O_IbLb0EEEEDaS1K_S1L_EUlS1K_E_NS1_11comp_targetILNS1_3genE4ELNS1_11target_archE910ELNS1_3gpuE8ELNS1_3repE0EEENS1_30default_config_static_selectorELNS0_4arch9wavefront6targetE0EEEvSY_.has_dyn_sized_stack, 0
	.set _ZN7rocprim17ROCPRIM_400000_NS6detail17trampoline_kernelINS0_13select_configILj256ELj13ELNS0_17block_load_methodE3ELS4_3ELS4_3ELNS0_20block_scan_algorithmE0ELj4294967295EEENS1_25partition_config_selectorILNS1_17partition_subalgoE3EjNS0_10empty_typeEbEEZZNS1_14partition_implILS8_3ELb0ES6_jNS0_17counting_iteratorIjlEEPS9_SE_NS0_5tupleIJPjSE_EEENSF_IJSE_SE_EEES9_SG_JZNS1_25segmented_radix_sort_implINS0_14default_configELb0EPKdPdPKlPlN2at6native12_GLOBAL__N_18offset_tEEE10hipError_tPvRmT1_PNSt15iterator_traitsISY_E10value_typeET2_T3_PNSZ_IS14_E10value_typeET4_jRbjT5_S1A_jjP12ihipStream_tbEUljE_EEESV_SW_SX_S14_S18_S1A_T6_T7_T9_mT8_S1C_bDpT10_ENKUlT_T0_E_clISt17integral_constantIbLb1EES1O_IbLb0EEEEDaS1K_S1L_EUlS1K_E_NS1_11comp_targetILNS1_3genE4ELNS1_11target_archE910ELNS1_3gpuE8ELNS1_3repE0EEENS1_30default_config_static_selectorELNS0_4arch9wavefront6targetE0EEEvSY_.has_recursion, 0
	.set _ZN7rocprim17ROCPRIM_400000_NS6detail17trampoline_kernelINS0_13select_configILj256ELj13ELNS0_17block_load_methodE3ELS4_3ELS4_3ELNS0_20block_scan_algorithmE0ELj4294967295EEENS1_25partition_config_selectorILNS1_17partition_subalgoE3EjNS0_10empty_typeEbEEZZNS1_14partition_implILS8_3ELb0ES6_jNS0_17counting_iteratorIjlEEPS9_SE_NS0_5tupleIJPjSE_EEENSF_IJSE_SE_EEES9_SG_JZNS1_25segmented_radix_sort_implINS0_14default_configELb0EPKdPdPKlPlN2at6native12_GLOBAL__N_18offset_tEEE10hipError_tPvRmT1_PNSt15iterator_traitsISY_E10value_typeET2_T3_PNSZ_IS14_E10value_typeET4_jRbjT5_S1A_jjP12ihipStream_tbEUljE_EEESV_SW_SX_S14_S18_S1A_T6_T7_T9_mT8_S1C_bDpT10_ENKUlT_T0_E_clISt17integral_constantIbLb1EES1O_IbLb0EEEEDaS1K_S1L_EUlS1K_E_NS1_11comp_targetILNS1_3genE4ELNS1_11target_archE910ELNS1_3gpuE8ELNS1_3repE0EEENS1_30default_config_static_selectorELNS0_4arch9wavefront6targetE0EEEvSY_.has_indirect_call, 0
	.section	.AMDGPU.csdata,"",@progbits
; Kernel info:
; codeLenInByte = 0
; TotalNumSgprs: 0
; NumVgprs: 0
; ScratchSize: 0
; MemoryBound: 0
; FloatMode: 240
; IeeeMode: 1
; LDSByteSize: 0 bytes/workgroup (compile time only)
; SGPRBlocks: 0
; VGPRBlocks: 0
; NumSGPRsForWavesPerEU: 1
; NumVGPRsForWavesPerEU: 1
; Occupancy: 16
; WaveLimiterHint : 0
; COMPUTE_PGM_RSRC2:SCRATCH_EN: 0
; COMPUTE_PGM_RSRC2:USER_SGPR: 6
; COMPUTE_PGM_RSRC2:TRAP_HANDLER: 0
; COMPUTE_PGM_RSRC2:TGID_X_EN: 1
; COMPUTE_PGM_RSRC2:TGID_Y_EN: 0
; COMPUTE_PGM_RSRC2:TGID_Z_EN: 0
; COMPUTE_PGM_RSRC2:TIDIG_COMP_CNT: 0
	.section	.text._ZN7rocprim17ROCPRIM_400000_NS6detail17trampoline_kernelINS0_13select_configILj256ELj13ELNS0_17block_load_methodE3ELS4_3ELS4_3ELNS0_20block_scan_algorithmE0ELj4294967295EEENS1_25partition_config_selectorILNS1_17partition_subalgoE3EjNS0_10empty_typeEbEEZZNS1_14partition_implILS8_3ELb0ES6_jNS0_17counting_iteratorIjlEEPS9_SE_NS0_5tupleIJPjSE_EEENSF_IJSE_SE_EEES9_SG_JZNS1_25segmented_radix_sort_implINS0_14default_configELb0EPKdPdPKlPlN2at6native12_GLOBAL__N_18offset_tEEE10hipError_tPvRmT1_PNSt15iterator_traitsISY_E10value_typeET2_T3_PNSZ_IS14_E10value_typeET4_jRbjT5_S1A_jjP12ihipStream_tbEUljE_EEESV_SW_SX_S14_S18_S1A_T6_T7_T9_mT8_S1C_bDpT10_ENKUlT_T0_E_clISt17integral_constantIbLb1EES1O_IbLb0EEEEDaS1K_S1L_EUlS1K_E_NS1_11comp_targetILNS1_3genE3ELNS1_11target_archE908ELNS1_3gpuE7ELNS1_3repE0EEENS1_30default_config_static_selectorELNS0_4arch9wavefront6targetE0EEEvSY_,"axG",@progbits,_ZN7rocprim17ROCPRIM_400000_NS6detail17trampoline_kernelINS0_13select_configILj256ELj13ELNS0_17block_load_methodE3ELS4_3ELS4_3ELNS0_20block_scan_algorithmE0ELj4294967295EEENS1_25partition_config_selectorILNS1_17partition_subalgoE3EjNS0_10empty_typeEbEEZZNS1_14partition_implILS8_3ELb0ES6_jNS0_17counting_iteratorIjlEEPS9_SE_NS0_5tupleIJPjSE_EEENSF_IJSE_SE_EEES9_SG_JZNS1_25segmented_radix_sort_implINS0_14default_configELb0EPKdPdPKlPlN2at6native12_GLOBAL__N_18offset_tEEE10hipError_tPvRmT1_PNSt15iterator_traitsISY_E10value_typeET2_T3_PNSZ_IS14_E10value_typeET4_jRbjT5_S1A_jjP12ihipStream_tbEUljE_EEESV_SW_SX_S14_S18_S1A_T6_T7_T9_mT8_S1C_bDpT10_ENKUlT_T0_E_clISt17integral_constantIbLb1EES1O_IbLb0EEEEDaS1K_S1L_EUlS1K_E_NS1_11comp_targetILNS1_3genE3ELNS1_11target_archE908ELNS1_3gpuE7ELNS1_3repE0EEENS1_30default_config_static_selectorELNS0_4arch9wavefront6targetE0EEEvSY_,comdat
	.globl	_ZN7rocprim17ROCPRIM_400000_NS6detail17trampoline_kernelINS0_13select_configILj256ELj13ELNS0_17block_load_methodE3ELS4_3ELS4_3ELNS0_20block_scan_algorithmE0ELj4294967295EEENS1_25partition_config_selectorILNS1_17partition_subalgoE3EjNS0_10empty_typeEbEEZZNS1_14partition_implILS8_3ELb0ES6_jNS0_17counting_iteratorIjlEEPS9_SE_NS0_5tupleIJPjSE_EEENSF_IJSE_SE_EEES9_SG_JZNS1_25segmented_radix_sort_implINS0_14default_configELb0EPKdPdPKlPlN2at6native12_GLOBAL__N_18offset_tEEE10hipError_tPvRmT1_PNSt15iterator_traitsISY_E10value_typeET2_T3_PNSZ_IS14_E10value_typeET4_jRbjT5_S1A_jjP12ihipStream_tbEUljE_EEESV_SW_SX_S14_S18_S1A_T6_T7_T9_mT8_S1C_bDpT10_ENKUlT_T0_E_clISt17integral_constantIbLb1EES1O_IbLb0EEEEDaS1K_S1L_EUlS1K_E_NS1_11comp_targetILNS1_3genE3ELNS1_11target_archE908ELNS1_3gpuE7ELNS1_3repE0EEENS1_30default_config_static_selectorELNS0_4arch9wavefront6targetE0EEEvSY_ ; -- Begin function _ZN7rocprim17ROCPRIM_400000_NS6detail17trampoline_kernelINS0_13select_configILj256ELj13ELNS0_17block_load_methodE3ELS4_3ELS4_3ELNS0_20block_scan_algorithmE0ELj4294967295EEENS1_25partition_config_selectorILNS1_17partition_subalgoE3EjNS0_10empty_typeEbEEZZNS1_14partition_implILS8_3ELb0ES6_jNS0_17counting_iteratorIjlEEPS9_SE_NS0_5tupleIJPjSE_EEENSF_IJSE_SE_EEES9_SG_JZNS1_25segmented_radix_sort_implINS0_14default_configELb0EPKdPdPKlPlN2at6native12_GLOBAL__N_18offset_tEEE10hipError_tPvRmT1_PNSt15iterator_traitsISY_E10value_typeET2_T3_PNSZ_IS14_E10value_typeET4_jRbjT5_S1A_jjP12ihipStream_tbEUljE_EEESV_SW_SX_S14_S18_S1A_T6_T7_T9_mT8_S1C_bDpT10_ENKUlT_T0_E_clISt17integral_constantIbLb1EES1O_IbLb0EEEEDaS1K_S1L_EUlS1K_E_NS1_11comp_targetILNS1_3genE3ELNS1_11target_archE908ELNS1_3gpuE7ELNS1_3repE0EEENS1_30default_config_static_selectorELNS0_4arch9wavefront6targetE0EEEvSY_
	.p2align	8
	.type	_ZN7rocprim17ROCPRIM_400000_NS6detail17trampoline_kernelINS0_13select_configILj256ELj13ELNS0_17block_load_methodE3ELS4_3ELS4_3ELNS0_20block_scan_algorithmE0ELj4294967295EEENS1_25partition_config_selectorILNS1_17partition_subalgoE3EjNS0_10empty_typeEbEEZZNS1_14partition_implILS8_3ELb0ES6_jNS0_17counting_iteratorIjlEEPS9_SE_NS0_5tupleIJPjSE_EEENSF_IJSE_SE_EEES9_SG_JZNS1_25segmented_radix_sort_implINS0_14default_configELb0EPKdPdPKlPlN2at6native12_GLOBAL__N_18offset_tEEE10hipError_tPvRmT1_PNSt15iterator_traitsISY_E10value_typeET2_T3_PNSZ_IS14_E10value_typeET4_jRbjT5_S1A_jjP12ihipStream_tbEUljE_EEESV_SW_SX_S14_S18_S1A_T6_T7_T9_mT8_S1C_bDpT10_ENKUlT_T0_E_clISt17integral_constantIbLb1EES1O_IbLb0EEEEDaS1K_S1L_EUlS1K_E_NS1_11comp_targetILNS1_3genE3ELNS1_11target_archE908ELNS1_3gpuE7ELNS1_3repE0EEENS1_30default_config_static_selectorELNS0_4arch9wavefront6targetE0EEEvSY_,@function
_ZN7rocprim17ROCPRIM_400000_NS6detail17trampoline_kernelINS0_13select_configILj256ELj13ELNS0_17block_load_methodE3ELS4_3ELS4_3ELNS0_20block_scan_algorithmE0ELj4294967295EEENS1_25partition_config_selectorILNS1_17partition_subalgoE3EjNS0_10empty_typeEbEEZZNS1_14partition_implILS8_3ELb0ES6_jNS0_17counting_iteratorIjlEEPS9_SE_NS0_5tupleIJPjSE_EEENSF_IJSE_SE_EEES9_SG_JZNS1_25segmented_radix_sort_implINS0_14default_configELb0EPKdPdPKlPlN2at6native12_GLOBAL__N_18offset_tEEE10hipError_tPvRmT1_PNSt15iterator_traitsISY_E10value_typeET2_T3_PNSZ_IS14_E10value_typeET4_jRbjT5_S1A_jjP12ihipStream_tbEUljE_EEESV_SW_SX_S14_S18_S1A_T6_T7_T9_mT8_S1C_bDpT10_ENKUlT_T0_E_clISt17integral_constantIbLb1EES1O_IbLb0EEEEDaS1K_S1L_EUlS1K_E_NS1_11comp_targetILNS1_3genE3ELNS1_11target_archE908ELNS1_3gpuE7ELNS1_3repE0EEENS1_30default_config_static_selectorELNS0_4arch9wavefront6targetE0EEEvSY_: ; @_ZN7rocprim17ROCPRIM_400000_NS6detail17trampoline_kernelINS0_13select_configILj256ELj13ELNS0_17block_load_methodE3ELS4_3ELS4_3ELNS0_20block_scan_algorithmE0ELj4294967295EEENS1_25partition_config_selectorILNS1_17partition_subalgoE3EjNS0_10empty_typeEbEEZZNS1_14partition_implILS8_3ELb0ES6_jNS0_17counting_iteratorIjlEEPS9_SE_NS0_5tupleIJPjSE_EEENSF_IJSE_SE_EEES9_SG_JZNS1_25segmented_radix_sort_implINS0_14default_configELb0EPKdPdPKlPlN2at6native12_GLOBAL__N_18offset_tEEE10hipError_tPvRmT1_PNSt15iterator_traitsISY_E10value_typeET2_T3_PNSZ_IS14_E10value_typeET4_jRbjT5_S1A_jjP12ihipStream_tbEUljE_EEESV_SW_SX_S14_S18_S1A_T6_T7_T9_mT8_S1C_bDpT10_ENKUlT_T0_E_clISt17integral_constantIbLb1EES1O_IbLb0EEEEDaS1K_S1L_EUlS1K_E_NS1_11comp_targetILNS1_3genE3ELNS1_11target_archE908ELNS1_3gpuE7ELNS1_3repE0EEENS1_30default_config_static_selectorELNS0_4arch9wavefront6targetE0EEEvSY_
; %bb.0:
	.section	.rodata,"a",@progbits
	.p2align	6, 0x0
	.amdhsa_kernel _ZN7rocprim17ROCPRIM_400000_NS6detail17trampoline_kernelINS0_13select_configILj256ELj13ELNS0_17block_load_methodE3ELS4_3ELS4_3ELNS0_20block_scan_algorithmE0ELj4294967295EEENS1_25partition_config_selectorILNS1_17partition_subalgoE3EjNS0_10empty_typeEbEEZZNS1_14partition_implILS8_3ELb0ES6_jNS0_17counting_iteratorIjlEEPS9_SE_NS0_5tupleIJPjSE_EEENSF_IJSE_SE_EEES9_SG_JZNS1_25segmented_radix_sort_implINS0_14default_configELb0EPKdPdPKlPlN2at6native12_GLOBAL__N_18offset_tEEE10hipError_tPvRmT1_PNSt15iterator_traitsISY_E10value_typeET2_T3_PNSZ_IS14_E10value_typeET4_jRbjT5_S1A_jjP12ihipStream_tbEUljE_EEESV_SW_SX_S14_S18_S1A_T6_T7_T9_mT8_S1C_bDpT10_ENKUlT_T0_E_clISt17integral_constantIbLb1EES1O_IbLb0EEEEDaS1K_S1L_EUlS1K_E_NS1_11comp_targetILNS1_3genE3ELNS1_11target_archE908ELNS1_3gpuE7ELNS1_3repE0EEENS1_30default_config_static_selectorELNS0_4arch9wavefront6targetE0EEEvSY_
		.amdhsa_group_segment_fixed_size 0
		.amdhsa_private_segment_fixed_size 0
		.amdhsa_kernarg_size 144
		.amdhsa_user_sgpr_count 6
		.amdhsa_user_sgpr_private_segment_buffer 1
		.amdhsa_user_sgpr_dispatch_ptr 0
		.amdhsa_user_sgpr_queue_ptr 0
		.amdhsa_user_sgpr_kernarg_segment_ptr 1
		.amdhsa_user_sgpr_dispatch_id 0
		.amdhsa_user_sgpr_flat_scratch_init 0
		.amdhsa_user_sgpr_private_segment_size 0
		.amdhsa_wavefront_size32 1
		.amdhsa_uses_dynamic_stack 0
		.amdhsa_system_sgpr_private_segment_wavefront_offset 0
		.amdhsa_system_sgpr_workgroup_id_x 1
		.amdhsa_system_sgpr_workgroup_id_y 0
		.amdhsa_system_sgpr_workgroup_id_z 0
		.amdhsa_system_sgpr_workgroup_info 0
		.amdhsa_system_vgpr_workitem_id 0
		.amdhsa_next_free_vgpr 1
		.amdhsa_next_free_sgpr 1
		.amdhsa_reserve_vcc 0
		.amdhsa_reserve_flat_scratch 0
		.amdhsa_float_round_mode_32 0
		.amdhsa_float_round_mode_16_64 0
		.amdhsa_float_denorm_mode_32 3
		.amdhsa_float_denorm_mode_16_64 3
		.amdhsa_dx10_clamp 1
		.amdhsa_ieee_mode 1
		.amdhsa_fp16_overflow 0
		.amdhsa_workgroup_processor_mode 1
		.amdhsa_memory_ordered 1
		.amdhsa_forward_progress 1
		.amdhsa_shared_vgpr_count 0
		.amdhsa_exception_fp_ieee_invalid_op 0
		.amdhsa_exception_fp_denorm_src 0
		.amdhsa_exception_fp_ieee_div_zero 0
		.amdhsa_exception_fp_ieee_overflow 0
		.amdhsa_exception_fp_ieee_underflow 0
		.amdhsa_exception_fp_ieee_inexact 0
		.amdhsa_exception_int_div_zero 0
	.end_amdhsa_kernel
	.section	.text._ZN7rocprim17ROCPRIM_400000_NS6detail17trampoline_kernelINS0_13select_configILj256ELj13ELNS0_17block_load_methodE3ELS4_3ELS4_3ELNS0_20block_scan_algorithmE0ELj4294967295EEENS1_25partition_config_selectorILNS1_17partition_subalgoE3EjNS0_10empty_typeEbEEZZNS1_14partition_implILS8_3ELb0ES6_jNS0_17counting_iteratorIjlEEPS9_SE_NS0_5tupleIJPjSE_EEENSF_IJSE_SE_EEES9_SG_JZNS1_25segmented_radix_sort_implINS0_14default_configELb0EPKdPdPKlPlN2at6native12_GLOBAL__N_18offset_tEEE10hipError_tPvRmT1_PNSt15iterator_traitsISY_E10value_typeET2_T3_PNSZ_IS14_E10value_typeET4_jRbjT5_S1A_jjP12ihipStream_tbEUljE_EEESV_SW_SX_S14_S18_S1A_T6_T7_T9_mT8_S1C_bDpT10_ENKUlT_T0_E_clISt17integral_constantIbLb1EES1O_IbLb0EEEEDaS1K_S1L_EUlS1K_E_NS1_11comp_targetILNS1_3genE3ELNS1_11target_archE908ELNS1_3gpuE7ELNS1_3repE0EEENS1_30default_config_static_selectorELNS0_4arch9wavefront6targetE0EEEvSY_,"axG",@progbits,_ZN7rocprim17ROCPRIM_400000_NS6detail17trampoline_kernelINS0_13select_configILj256ELj13ELNS0_17block_load_methodE3ELS4_3ELS4_3ELNS0_20block_scan_algorithmE0ELj4294967295EEENS1_25partition_config_selectorILNS1_17partition_subalgoE3EjNS0_10empty_typeEbEEZZNS1_14partition_implILS8_3ELb0ES6_jNS0_17counting_iteratorIjlEEPS9_SE_NS0_5tupleIJPjSE_EEENSF_IJSE_SE_EEES9_SG_JZNS1_25segmented_radix_sort_implINS0_14default_configELb0EPKdPdPKlPlN2at6native12_GLOBAL__N_18offset_tEEE10hipError_tPvRmT1_PNSt15iterator_traitsISY_E10value_typeET2_T3_PNSZ_IS14_E10value_typeET4_jRbjT5_S1A_jjP12ihipStream_tbEUljE_EEESV_SW_SX_S14_S18_S1A_T6_T7_T9_mT8_S1C_bDpT10_ENKUlT_T0_E_clISt17integral_constantIbLb1EES1O_IbLb0EEEEDaS1K_S1L_EUlS1K_E_NS1_11comp_targetILNS1_3genE3ELNS1_11target_archE908ELNS1_3gpuE7ELNS1_3repE0EEENS1_30default_config_static_selectorELNS0_4arch9wavefront6targetE0EEEvSY_,comdat
.Lfunc_end1200:
	.size	_ZN7rocprim17ROCPRIM_400000_NS6detail17trampoline_kernelINS0_13select_configILj256ELj13ELNS0_17block_load_methodE3ELS4_3ELS4_3ELNS0_20block_scan_algorithmE0ELj4294967295EEENS1_25partition_config_selectorILNS1_17partition_subalgoE3EjNS0_10empty_typeEbEEZZNS1_14partition_implILS8_3ELb0ES6_jNS0_17counting_iteratorIjlEEPS9_SE_NS0_5tupleIJPjSE_EEENSF_IJSE_SE_EEES9_SG_JZNS1_25segmented_radix_sort_implINS0_14default_configELb0EPKdPdPKlPlN2at6native12_GLOBAL__N_18offset_tEEE10hipError_tPvRmT1_PNSt15iterator_traitsISY_E10value_typeET2_T3_PNSZ_IS14_E10value_typeET4_jRbjT5_S1A_jjP12ihipStream_tbEUljE_EEESV_SW_SX_S14_S18_S1A_T6_T7_T9_mT8_S1C_bDpT10_ENKUlT_T0_E_clISt17integral_constantIbLb1EES1O_IbLb0EEEEDaS1K_S1L_EUlS1K_E_NS1_11comp_targetILNS1_3genE3ELNS1_11target_archE908ELNS1_3gpuE7ELNS1_3repE0EEENS1_30default_config_static_selectorELNS0_4arch9wavefront6targetE0EEEvSY_, .Lfunc_end1200-_ZN7rocprim17ROCPRIM_400000_NS6detail17trampoline_kernelINS0_13select_configILj256ELj13ELNS0_17block_load_methodE3ELS4_3ELS4_3ELNS0_20block_scan_algorithmE0ELj4294967295EEENS1_25partition_config_selectorILNS1_17partition_subalgoE3EjNS0_10empty_typeEbEEZZNS1_14partition_implILS8_3ELb0ES6_jNS0_17counting_iteratorIjlEEPS9_SE_NS0_5tupleIJPjSE_EEENSF_IJSE_SE_EEES9_SG_JZNS1_25segmented_radix_sort_implINS0_14default_configELb0EPKdPdPKlPlN2at6native12_GLOBAL__N_18offset_tEEE10hipError_tPvRmT1_PNSt15iterator_traitsISY_E10value_typeET2_T3_PNSZ_IS14_E10value_typeET4_jRbjT5_S1A_jjP12ihipStream_tbEUljE_EEESV_SW_SX_S14_S18_S1A_T6_T7_T9_mT8_S1C_bDpT10_ENKUlT_T0_E_clISt17integral_constantIbLb1EES1O_IbLb0EEEEDaS1K_S1L_EUlS1K_E_NS1_11comp_targetILNS1_3genE3ELNS1_11target_archE908ELNS1_3gpuE7ELNS1_3repE0EEENS1_30default_config_static_selectorELNS0_4arch9wavefront6targetE0EEEvSY_
                                        ; -- End function
	.set _ZN7rocprim17ROCPRIM_400000_NS6detail17trampoline_kernelINS0_13select_configILj256ELj13ELNS0_17block_load_methodE3ELS4_3ELS4_3ELNS0_20block_scan_algorithmE0ELj4294967295EEENS1_25partition_config_selectorILNS1_17partition_subalgoE3EjNS0_10empty_typeEbEEZZNS1_14partition_implILS8_3ELb0ES6_jNS0_17counting_iteratorIjlEEPS9_SE_NS0_5tupleIJPjSE_EEENSF_IJSE_SE_EEES9_SG_JZNS1_25segmented_radix_sort_implINS0_14default_configELb0EPKdPdPKlPlN2at6native12_GLOBAL__N_18offset_tEEE10hipError_tPvRmT1_PNSt15iterator_traitsISY_E10value_typeET2_T3_PNSZ_IS14_E10value_typeET4_jRbjT5_S1A_jjP12ihipStream_tbEUljE_EEESV_SW_SX_S14_S18_S1A_T6_T7_T9_mT8_S1C_bDpT10_ENKUlT_T0_E_clISt17integral_constantIbLb1EES1O_IbLb0EEEEDaS1K_S1L_EUlS1K_E_NS1_11comp_targetILNS1_3genE3ELNS1_11target_archE908ELNS1_3gpuE7ELNS1_3repE0EEENS1_30default_config_static_selectorELNS0_4arch9wavefront6targetE0EEEvSY_.num_vgpr, 0
	.set _ZN7rocprim17ROCPRIM_400000_NS6detail17trampoline_kernelINS0_13select_configILj256ELj13ELNS0_17block_load_methodE3ELS4_3ELS4_3ELNS0_20block_scan_algorithmE0ELj4294967295EEENS1_25partition_config_selectorILNS1_17partition_subalgoE3EjNS0_10empty_typeEbEEZZNS1_14partition_implILS8_3ELb0ES6_jNS0_17counting_iteratorIjlEEPS9_SE_NS0_5tupleIJPjSE_EEENSF_IJSE_SE_EEES9_SG_JZNS1_25segmented_radix_sort_implINS0_14default_configELb0EPKdPdPKlPlN2at6native12_GLOBAL__N_18offset_tEEE10hipError_tPvRmT1_PNSt15iterator_traitsISY_E10value_typeET2_T3_PNSZ_IS14_E10value_typeET4_jRbjT5_S1A_jjP12ihipStream_tbEUljE_EEESV_SW_SX_S14_S18_S1A_T6_T7_T9_mT8_S1C_bDpT10_ENKUlT_T0_E_clISt17integral_constantIbLb1EES1O_IbLb0EEEEDaS1K_S1L_EUlS1K_E_NS1_11comp_targetILNS1_3genE3ELNS1_11target_archE908ELNS1_3gpuE7ELNS1_3repE0EEENS1_30default_config_static_selectorELNS0_4arch9wavefront6targetE0EEEvSY_.num_agpr, 0
	.set _ZN7rocprim17ROCPRIM_400000_NS6detail17trampoline_kernelINS0_13select_configILj256ELj13ELNS0_17block_load_methodE3ELS4_3ELS4_3ELNS0_20block_scan_algorithmE0ELj4294967295EEENS1_25partition_config_selectorILNS1_17partition_subalgoE3EjNS0_10empty_typeEbEEZZNS1_14partition_implILS8_3ELb0ES6_jNS0_17counting_iteratorIjlEEPS9_SE_NS0_5tupleIJPjSE_EEENSF_IJSE_SE_EEES9_SG_JZNS1_25segmented_radix_sort_implINS0_14default_configELb0EPKdPdPKlPlN2at6native12_GLOBAL__N_18offset_tEEE10hipError_tPvRmT1_PNSt15iterator_traitsISY_E10value_typeET2_T3_PNSZ_IS14_E10value_typeET4_jRbjT5_S1A_jjP12ihipStream_tbEUljE_EEESV_SW_SX_S14_S18_S1A_T6_T7_T9_mT8_S1C_bDpT10_ENKUlT_T0_E_clISt17integral_constantIbLb1EES1O_IbLb0EEEEDaS1K_S1L_EUlS1K_E_NS1_11comp_targetILNS1_3genE3ELNS1_11target_archE908ELNS1_3gpuE7ELNS1_3repE0EEENS1_30default_config_static_selectorELNS0_4arch9wavefront6targetE0EEEvSY_.numbered_sgpr, 0
	.set _ZN7rocprim17ROCPRIM_400000_NS6detail17trampoline_kernelINS0_13select_configILj256ELj13ELNS0_17block_load_methodE3ELS4_3ELS4_3ELNS0_20block_scan_algorithmE0ELj4294967295EEENS1_25partition_config_selectorILNS1_17partition_subalgoE3EjNS0_10empty_typeEbEEZZNS1_14partition_implILS8_3ELb0ES6_jNS0_17counting_iteratorIjlEEPS9_SE_NS0_5tupleIJPjSE_EEENSF_IJSE_SE_EEES9_SG_JZNS1_25segmented_radix_sort_implINS0_14default_configELb0EPKdPdPKlPlN2at6native12_GLOBAL__N_18offset_tEEE10hipError_tPvRmT1_PNSt15iterator_traitsISY_E10value_typeET2_T3_PNSZ_IS14_E10value_typeET4_jRbjT5_S1A_jjP12ihipStream_tbEUljE_EEESV_SW_SX_S14_S18_S1A_T6_T7_T9_mT8_S1C_bDpT10_ENKUlT_T0_E_clISt17integral_constantIbLb1EES1O_IbLb0EEEEDaS1K_S1L_EUlS1K_E_NS1_11comp_targetILNS1_3genE3ELNS1_11target_archE908ELNS1_3gpuE7ELNS1_3repE0EEENS1_30default_config_static_selectorELNS0_4arch9wavefront6targetE0EEEvSY_.num_named_barrier, 0
	.set _ZN7rocprim17ROCPRIM_400000_NS6detail17trampoline_kernelINS0_13select_configILj256ELj13ELNS0_17block_load_methodE3ELS4_3ELS4_3ELNS0_20block_scan_algorithmE0ELj4294967295EEENS1_25partition_config_selectorILNS1_17partition_subalgoE3EjNS0_10empty_typeEbEEZZNS1_14partition_implILS8_3ELb0ES6_jNS0_17counting_iteratorIjlEEPS9_SE_NS0_5tupleIJPjSE_EEENSF_IJSE_SE_EEES9_SG_JZNS1_25segmented_radix_sort_implINS0_14default_configELb0EPKdPdPKlPlN2at6native12_GLOBAL__N_18offset_tEEE10hipError_tPvRmT1_PNSt15iterator_traitsISY_E10value_typeET2_T3_PNSZ_IS14_E10value_typeET4_jRbjT5_S1A_jjP12ihipStream_tbEUljE_EEESV_SW_SX_S14_S18_S1A_T6_T7_T9_mT8_S1C_bDpT10_ENKUlT_T0_E_clISt17integral_constantIbLb1EES1O_IbLb0EEEEDaS1K_S1L_EUlS1K_E_NS1_11comp_targetILNS1_3genE3ELNS1_11target_archE908ELNS1_3gpuE7ELNS1_3repE0EEENS1_30default_config_static_selectorELNS0_4arch9wavefront6targetE0EEEvSY_.private_seg_size, 0
	.set _ZN7rocprim17ROCPRIM_400000_NS6detail17trampoline_kernelINS0_13select_configILj256ELj13ELNS0_17block_load_methodE3ELS4_3ELS4_3ELNS0_20block_scan_algorithmE0ELj4294967295EEENS1_25partition_config_selectorILNS1_17partition_subalgoE3EjNS0_10empty_typeEbEEZZNS1_14partition_implILS8_3ELb0ES6_jNS0_17counting_iteratorIjlEEPS9_SE_NS0_5tupleIJPjSE_EEENSF_IJSE_SE_EEES9_SG_JZNS1_25segmented_radix_sort_implINS0_14default_configELb0EPKdPdPKlPlN2at6native12_GLOBAL__N_18offset_tEEE10hipError_tPvRmT1_PNSt15iterator_traitsISY_E10value_typeET2_T3_PNSZ_IS14_E10value_typeET4_jRbjT5_S1A_jjP12ihipStream_tbEUljE_EEESV_SW_SX_S14_S18_S1A_T6_T7_T9_mT8_S1C_bDpT10_ENKUlT_T0_E_clISt17integral_constantIbLb1EES1O_IbLb0EEEEDaS1K_S1L_EUlS1K_E_NS1_11comp_targetILNS1_3genE3ELNS1_11target_archE908ELNS1_3gpuE7ELNS1_3repE0EEENS1_30default_config_static_selectorELNS0_4arch9wavefront6targetE0EEEvSY_.uses_vcc, 0
	.set _ZN7rocprim17ROCPRIM_400000_NS6detail17trampoline_kernelINS0_13select_configILj256ELj13ELNS0_17block_load_methodE3ELS4_3ELS4_3ELNS0_20block_scan_algorithmE0ELj4294967295EEENS1_25partition_config_selectorILNS1_17partition_subalgoE3EjNS0_10empty_typeEbEEZZNS1_14partition_implILS8_3ELb0ES6_jNS0_17counting_iteratorIjlEEPS9_SE_NS0_5tupleIJPjSE_EEENSF_IJSE_SE_EEES9_SG_JZNS1_25segmented_radix_sort_implINS0_14default_configELb0EPKdPdPKlPlN2at6native12_GLOBAL__N_18offset_tEEE10hipError_tPvRmT1_PNSt15iterator_traitsISY_E10value_typeET2_T3_PNSZ_IS14_E10value_typeET4_jRbjT5_S1A_jjP12ihipStream_tbEUljE_EEESV_SW_SX_S14_S18_S1A_T6_T7_T9_mT8_S1C_bDpT10_ENKUlT_T0_E_clISt17integral_constantIbLb1EES1O_IbLb0EEEEDaS1K_S1L_EUlS1K_E_NS1_11comp_targetILNS1_3genE3ELNS1_11target_archE908ELNS1_3gpuE7ELNS1_3repE0EEENS1_30default_config_static_selectorELNS0_4arch9wavefront6targetE0EEEvSY_.uses_flat_scratch, 0
	.set _ZN7rocprim17ROCPRIM_400000_NS6detail17trampoline_kernelINS0_13select_configILj256ELj13ELNS0_17block_load_methodE3ELS4_3ELS4_3ELNS0_20block_scan_algorithmE0ELj4294967295EEENS1_25partition_config_selectorILNS1_17partition_subalgoE3EjNS0_10empty_typeEbEEZZNS1_14partition_implILS8_3ELb0ES6_jNS0_17counting_iteratorIjlEEPS9_SE_NS0_5tupleIJPjSE_EEENSF_IJSE_SE_EEES9_SG_JZNS1_25segmented_radix_sort_implINS0_14default_configELb0EPKdPdPKlPlN2at6native12_GLOBAL__N_18offset_tEEE10hipError_tPvRmT1_PNSt15iterator_traitsISY_E10value_typeET2_T3_PNSZ_IS14_E10value_typeET4_jRbjT5_S1A_jjP12ihipStream_tbEUljE_EEESV_SW_SX_S14_S18_S1A_T6_T7_T9_mT8_S1C_bDpT10_ENKUlT_T0_E_clISt17integral_constantIbLb1EES1O_IbLb0EEEEDaS1K_S1L_EUlS1K_E_NS1_11comp_targetILNS1_3genE3ELNS1_11target_archE908ELNS1_3gpuE7ELNS1_3repE0EEENS1_30default_config_static_selectorELNS0_4arch9wavefront6targetE0EEEvSY_.has_dyn_sized_stack, 0
	.set _ZN7rocprim17ROCPRIM_400000_NS6detail17trampoline_kernelINS0_13select_configILj256ELj13ELNS0_17block_load_methodE3ELS4_3ELS4_3ELNS0_20block_scan_algorithmE0ELj4294967295EEENS1_25partition_config_selectorILNS1_17partition_subalgoE3EjNS0_10empty_typeEbEEZZNS1_14partition_implILS8_3ELb0ES6_jNS0_17counting_iteratorIjlEEPS9_SE_NS0_5tupleIJPjSE_EEENSF_IJSE_SE_EEES9_SG_JZNS1_25segmented_radix_sort_implINS0_14default_configELb0EPKdPdPKlPlN2at6native12_GLOBAL__N_18offset_tEEE10hipError_tPvRmT1_PNSt15iterator_traitsISY_E10value_typeET2_T3_PNSZ_IS14_E10value_typeET4_jRbjT5_S1A_jjP12ihipStream_tbEUljE_EEESV_SW_SX_S14_S18_S1A_T6_T7_T9_mT8_S1C_bDpT10_ENKUlT_T0_E_clISt17integral_constantIbLb1EES1O_IbLb0EEEEDaS1K_S1L_EUlS1K_E_NS1_11comp_targetILNS1_3genE3ELNS1_11target_archE908ELNS1_3gpuE7ELNS1_3repE0EEENS1_30default_config_static_selectorELNS0_4arch9wavefront6targetE0EEEvSY_.has_recursion, 0
	.set _ZN7rocprim17ROCPRIM_400000_NS6detail17trampoline_kernelINS0_13select_configILj256ELj13ELNS0_17block_load_methodE3ELS4_3ELS4_3ELNS0_20block_scan_algorithmE0ELj4294967295EEENS1_25partition_config_selectorILNS1_17partition_subalgoE3EjNS0_10empty_typeEbEEZZNS1_14partition_implILS8_3ELb0ES6_jNS0_17counting_iteratorIjlEEPS9_SE_NS0_5tupleIJPjSE_EEENSF_IJSE_SE_EEES9_SG_JZNS1_25segmented_radix_sort_implINS0_14default_configELb0EPKdPdPKlPlN2at6native12_GLOBAL__N_18offset_tEEE10hipError_tPvRmT1_PNSt15iterator_traitsISY_E10value_typeET2_T3_PNSZ_IS14_E10value_typeET4_jRbjT5_S1A_jjP12ihipStream_tbEUljE_EEESV_SW_SX_S14_S18_S1A_T6_T7_T9_mT8_S1C_bDpT10_ENKUlT_T0_E_clISt17integral_constantIbLb1EES1O_IbLb0EEEEDaS1K_S1L_EUlS1K_E_NS1_11comp_targetILNS1_3genE3ELNS1_11target_archE908ELNS1_3gpuE7ELNS1_3repE0EEENS1_30default_config_static_selectorELNS0_4arch9wavefront6targetE0EEEvSY_.has_indirect_call, 0
	.section	.AMDGPU.csdata,"",@progbits
; Kernel info:
; codeLenInByte = 0
; TotalNumSgprs: 0
; NumVgprs: 0
; ScratchSize: 0
; MemoryBound: 0
; FloatMode: 240
; IeeeMode: 1
; LDSByteSize: 0 bytes/workgroup (compile time only)
; SGPRBlocks: 0
; VGPRBlocks: 0
; NumSGPRsForWavesPerEU: 1
; NumVGPRsForWavesPerEU: 1
; Occupancy: 16
; WaveLimiterHint : 0
; COMPUTE_PGM_RSRC2:SCRATCH_EN: 0
; COMPUTE_PGM_RSRC2:USER_SGPR: 6
; COMPUTE_PGM_RSRC2:TRAP_HANDLER: 0
; COMPUTE_PGM_RSRC2:TGID_X_EN: 1
; COMPUTE_PGM_RSRC2:TGID_Y_EN: 0
; COMPUTE_PGM_RSRC2:TGID_Z_EN: 0
; COMPUTE_PGM_RSRC2:TIDIG_COMP_CNT: 0
	.section	.text._ZN7rocprim17ROCPRIM_400000_NS6detail17trampoline_kernelINS0_13select_configILj256ELj13ELNS0_17block_load_methodE3ELS4_3ELS4_3ELNS0_20block_scan_algorithmE0ELj4294967295EEENS1_25partition_config_selectorILNS1_17partition_subalgoE3EjNS0_10empty_typeEbEEZZNS1_14partition_implILS8_3ELb0ES6_jNS0_17counting_iteratorIjlEEPS9_SE_NS0_5tupleIJPjSE_EEENSF_IJSE_SE_EEES9_SG_JZNS1_25segmented_radix_sort_implINS0_14default_configELb0EPKdPdPKlPlN2at6native12_GLOBAL__N_18offset_tEEE10hipError_tPvRmT1_PNSt15iterator_traitsISY_E10value_typeET2_T3_PNSZ_IS14_E10value_typeET4_jRbjT5_S1A_jjP12ihipStream_tbEUljE_EEESV_SW_SX_S14_S18_S1A_T6_T7_T9_mT8_S1C_bDpT10_ENKUlT_T0_E_clISt17integral_constantIbLb1EES1O_IbLb0EEEEDaS1K_S1L_EUlS1K_E_NS1_11comp_targetILNS1_3genE2ELNS1_11target_archE906ELNS1_3gpuE6ELNS1_3repE0EEENS1_30default_config_static_selectorELNS0_4arch9wavefront6targetE0EEEvSY_,"axG",@progbits,_ZN7rocprim17ROCPRIM_400000_NS6detail17trampoline_kernelINS0_13select_configILj256ELj13ELNS0_17block_load_methodE3ELS4_3ELS4_3ELNS0_20block_scan_algorithmE0ELj4294967295EEENS1_25partition_config_selectorILNS1_17partition_subalgoE3EjNS0_10empty_typeEbEEZZNS1_14partition_implILS8_3ELb0ES6_jNS0_17counting_iteratorIjlEEPS9_SE_NS0_5tupleIJPjSE_EEENSF_IJSE_SE_EEES9_SG_JZNS1_25segmented_radix_sort_implINS0_14default_configELb0EPKdPdPKlPlN2at6native12_GLOBAL__N_18offset_tEEE10hipError_tPvRmT1_PNSt15iterator_traitsISY_E10value_typeET2_T3_PNSZ_IS14_E10value_typeET4_jRbjT5_S1A_jjP12ihipStream_tbEUljE_EEESV_SW_SX_S14_S18_S1A_T6_T7_T9_mT8_S1C_bDpT10_ENKUlT_T0_E_clISt17integral_constantIbLb1EES1O_IbLb0EEEEDaS1K_S1L_EUlS1K_E_NS1_11comp_targetILNS1_3genE2ELNS1_11target_archE906ELNS1_3gpuE6ELNS1_3repE0EEENS1_30default_config_static_selectorELNS0_4arch9wavefront6targetE0EEEvSY_,comdat
	.globl	_ZN7rocprim17ROCPRIM_400000_NS6detail17trampoline_kernelINS0_13select_configILj256ELj13ELNS0_17block_load_methodE3ELS4_3ELS4_3ELNS0_20block_scan_algorithmE0ELj4294967295EEENS1_25partition_config_selectorILNS1_17partition_subalgoE3EjNS0_10empty_typeEbEEZZNS1_14partition_implILS8_3ELb0ES6_jNS0_17counting_iteratorIjlEEPS9_SE_NS0_5tupleIJPjSE_EEENSF_IJSE_SE_EEES9_SG_JZNS1_25segmented_radix_sort_implINS0_14default_configELb0EPKdPdPKlPlN2at6native12_GLOBAL__N_18offset_tEEE10hipError_tPvRmT1_PNSt15iterator_traitsISY_E10value_typeET2_T3_PNSZ_IS14_E10value_typeET4_jRbjT5_S1A_jjP12ihipStream_tbEUljE_EEESV_SW_SX_S14_S18_S1A_T6_T7_T9_mT8_S1C_bDpT10_ENKUlT_T0_E_clISt17integral_constantIbLb1EES1O_IbLb0EEEEDaS1K_S1L_EUlS1K_E_NS1_11comp_targetILNS1_3genE2ELNS1_11target_archE906ELNS1_3gpuE6ELNS1_3repE0EEENS1_30default_config_static_selectorELNS0_4arch9wavefront6targetE0EEEvSY_ ; -- Begin function _ZN7rocprim17ROCPRIM_400000_NS6detail17trampoline_kernelINS0_13select_configILj256ELj13ELNS0_17block_load_methodE3ELS4_3ELS4_3ELNS0_20block_scan_algorithmE0ELj4294967295EEENS1_25partition_config_selectorILNS1_17partition_subalgoE3EjNS0_10empty_typeEbEEZZNS1_14partition_implILS8_3ELb0ES6_jNS0_17counting_iteratorIjlEEPS9_SE_NS0_5tupleIJPjSE_EEENSF_IJSE_SE_EEES9_SG_JZNS1_25segmented_radix_sort_implINS0_14default_configELb0EPKdPdPKlPlN2at6native12_GLOBAL__N_18offset_tEEE10hipError_tPvRmT1_PNSt15iterator_traitsISY_E10value_typeET2_T3_PNSZ_IS14_E10value_typeET4_jRbjT5_S1A_jjP12ihipStream_tbEUljE_EEESV_SW_SX_S14_S18_S1A_T6_T7_T9_mT8_S1C_bDpT10_ENKUlT_T0_E_clISt17integral_constantIbLb1EES1O_IbLb0EEEEDaS1K_S1L_EUlS1K_E_NS1_11comp_targetILNS1_3genE2ELNS1_11target_archE906ELNS1_3gpuE6ELNS1_3repE0EEENS1_30default_config_static_selectorELNS0_4arch9wavefront6targetE0EEEvSY_
	.p2align	8
	.type	_ZN7rocprim17ROCPRIM_400000_NS6detail17trampoline_kernelINS0_13select_configILj256ELj13ELNS0_17block_load_methodE3ELS4_3ELS4_3ELNS0_20block_scan_algorithmE0ELj4294967295EEENS1_25partition_config_selectorILNS1_17partition_subalgoE3EjNS0_10empty_typeEbEEZZNS1_14partition_implILS8_3ELb0ES6_jNS0_17counting_iteratorIjlEEPS9_SE_NS0_5tupleIJPjSE_EEENSF_IJSE_SE_EEES9_SG_JZNS1_25segmented_radix_sort_implINS0_14default_configELb0EPKdPdPKlPlN2at6native12_GLOBAL__N_18offset_tEEE10hipError_tPvRmT1_PNSt15iterator_traitsISY_E10value_typeET2_T3_PNSZ_IS14_E10value_typeET4_jRbjT5_S1A_jjP12ihipStream_tbEUljE_EEESV_SW_SX_S14_S18_S1A_T6_T7_T9_mT8_S1C_bDpT10_ENKUlT_T0_E_clISt17integral_constantIbLb1EES1O_IbLb0EEEEDaS1K_S1L_EUlS1K_E_NS1_11comp_targetILNS1_3genE2ELNS1_11target_archE906ELNS1_3gpuE6ELNS1_3repE0EEENS1_30default_config_static_selectorELNS0_4arch9wavefront6targetE0EEEvSY_,@function
_ZN7rocprim17ROCPRIM_400000_NS6detail17trampoline_kernelINS0_13select_configILj256ELj13ELNS0_17block_load_methodE3ELS4_3ELS4_3ELNS0_20block_scan_algorithmE0ELj4294967295EEENS1_25partition_config_selectorILNS1_17partition_subalgoE3EjNS0_10empty_typeEbEEZZNS1_14partition_implILS8_3ELb0ES6_jNS0_17counting_iteratorIjlEEPS9_SE_NS0_5tupleIJPjSE_EEENSF_IJSE_SE_EEES9_SG_JZNS1_25segmented_radix_sort_implINS0_14default_configELb0EPKdPdPKlPlN2at6native12_GLOBAL__N_18offset_tEEE10hipError_tPvRmT1_PNSt15iterator_traitsISY_E10value_typeET2_T3_PNSZ_IS14_E10value_typeET4_jRbjT5_S1A_jjP12ihipStream_tbEUljE_EEESV_SW_SX_S14_S18_S1A_T6_T7_T9_mT8_S1C_bDpT10_ENKUlT_T0_E_clISt17integral_constantIbLb1EES1O_IbLb0EEEEDaS1K_S1L_EUlS1K_E_NS1_11comp_targetILNS1_3genE2ELNS1_11target_archE906ELNS1_3gpuE6ELNS1_3repE0EEENS1_30default_config_static_selectorELNS0_4arch9wavefront6targetE0EEEvSY_: ; @_ZN7rocprim17ROCPRIM_400000_NS6detail17trampoline_kernelINS0_13select_configILj256ELj13ELNS0_17block_load_methodE3ELS4_3ELS4_3ELNS0_20block_scan_algorithmE0ELj4294967295EEENS1_25partition_config_selectorILNS1_17partition_subalgoE3EjNS0_10empty_typeEbEEZZNS1_14partition_implILS8_3ELb0ES6_jNS0_17counting_iteratorIjlEEPS9_SE_NS0_5tupleIJPjSE_EEENSF_IJSE_SE_EEES9_SG_JZNS1_25segmented_radix_sort_implINS0_14default_configELb0EPKdPdPKlPlN2at6native12_GLOBAL__N_18offset_tEEE10hipError_tPvRmT1_PNSt15iterator_traitsISY_E10value_typeET2_T3_PNSZ_IS14_E10value_typeET4_jRbjT5_S1A_jjP12ihipStream_tbEUljE_EEESV_SW_SX_S14_S18_S1A_T6_T7_T9_mT8_S1C_bDpT10_ENKUlT_T0_E_clISt17integral_constantIbLb1EES1O_IbLb0EEEEDaS1K_S1L_EUlS1K_E_NS1_11comp_targetILNS1_3genE2ELNS1_11target_archE906ELNS1_3gpuE6ELNS1_3repE0EEENS1_30default_config_static_selectorELNS0_4arch9wavefront6targetE0EEEvSY_
; %bb.0:
	.section	.rodata,"a",@progbits
	.p2align	6, 0x0
	.amdhsa_kernel _ZN7rocprim17ROCPRIM_400000_NS6detail17trampoline_kernelINS0_13select_configILj256ELj13ELNS0_17block_load_methodE3ELS4_3ELS4_3ELNS0_20block_scan_algorithmE0ELj4294967295EEENS1_25partition_config_selectorILNS1_17partition_subalgoE3EjNS0_10empty_typeEbEEZZNS1_14partition_implILS8_3ELb0ES6_jNS0_17counting_iteratorIjlEEPS9_SE_NS0_5tupleIJPjSE_EEENSF_IJSE_SE_EEES9_SG_JZNS1_25segmented_radix_sort_implINS0_14default_configELb0EPKdPdPKlPlN2at6native12_GLOBAL__N_18offset_tEEE10hipError_tPvRmT1_PNSt15iterator_traitsISY_E10value_typeET2_T3_PNSZ_IS14_E10value_typeET4_jRbjT5_S1A_jjP12ihipStream_tbEUljE_EEESV_SW_SX_S14_S18_S1A_T6_T7_T9_mT8_S1C_bDpT10_ENKUlT_T0_E_clISt17integral_constantIbLb1EES1O_IbLb0EEEEDaS1K_S1L_EUlS1K_E_NS1_11comp_targetILNS1_3genE2ELNS1_11target_archE906ELNS1_3gpuE6ELNS1_3repE0EEENS1_30default_config_static_selectorELNS0_4arch9wavefront6targetE0EEEvSY_
		.amdhsa_group_segment_fixed_size 0
		.amdhsa_private_segment_fixed_size 0
		.amdhsa_kernarg_size 144
		.amdhsa_user_sgpr_count 6
		.amdhsa_user_sgpr_private_segment_buffer 1
		.amdhsa_user_sgpr_dispatch_ptr 0
		.amdhsa_user_sgpr_queue_ptr 0
		.amdhsa_user_sgpr_kernarg_segment_ptr 1
		.amdhsa_user_sgpr_dispatch_id 0
		.amdhsa_user_sgpr_flat_scratch_init 0
		.amdhsa_user_sgpr_private_segment_size 0
		.amdhsa_wavefront_size32 1
		.amdhsa_uses_dynamic_stack 0
		.amdhsa_system_sgpr_private_segment_wavefront_offset 0
		.amdhsa_system_sgpr_workgroup_id_x 1
		.amdhsa_system_sgpr_workgroup_id_y 0
		.amdhsa_system_sgpr_workgroup_id_z 0
		.amdhsa_system_sgpr_workgroup_info 0
		.amdhsa_system_vgpr_workitem_id 0
		.amdhsa_next_free_vgpr 1
		.amdhsa_next_free_sgpr 1
		.amdhsa_reserve_vcc 0
		.amdhsa_reserve_flat_scratch 0
		.amdhsa_float_round_mode_32 0
		.amdhsa_float_round_mode_16_64 0
		.amdhsa_float_denorm_mode_32 3
		.amdhsa_float_denorm_mode_16_64 3
		.amdhsa_dx10_clamp 1
		.amdhsa_ieee_mode 1
		.amdhsa_fp16_overflow 0
		.amdhsa_workgroup_processor_mode 1
		.amdhsa_memory_ordered 1
		.amdhsa_forward_progress 1
		.amdhsa_shared_vgpr_count 0
		.amdhsa_exception_fp_ieee_invalid_op 0
		.amdhsa_exception_fp_denorm_src 0
		.amdhsa_exception_fp_ieee_div_zero 0
		.amdhsa_exception_fp_ieee_overflow 0
		.amdhsa_exception_fp_ieee_underflow 0
		.amdhsa_exception_fp_ieee_inexact 0
		.amdhsa_exception_int_div_zero 0
	.end_amdhsa_kernel
	.section	.text._ZN7rocprim17ROCPRIM_400000_NS6detail17trampoline_kernelINS0_13select_configILj256ELj13ELNS0_17block_load_methodE3ELS4_3ELS4_3ELNS0_20block_scan_algorithmE0ELj4294967295EEENS1_25partition_config_selectorILNS1_17partition_subalgoE3EjNS0_10empty_typeEbEEZZNS1_14partition_implILS8_3ELb0ES6_jNS0_17counting_iteratorIjlEEPS9_SE_NS0_5tupleIJPjSE_EEENSF_IJSE_SE_EEES9_SG_JZNS1_25segmented_radix_sort_implINS0_14default_configELb0EPKdPdPKlPlN2at6native12_GLOBAL__N_18offset_tEEE10hipError_tPvRmT1_PNSt15iterator_traitsISY_E10value_typeET2_T3_PNSZ_IS14_E10value_typeET4_jRbjT5_S1A_jjP12ihipStream_tbEUljE_EEESV_SW_SX_S14_S18_S1A_T6_T7_T9_mT8_S1C_bDpT10_ENKUlT_T0_E_clISt17integral_constantIbLb1EES1O_IbLb0EEEEDaS1K_S1L_EUlS1K_E_NS1_11comp_targetILNS1_3genE2ELNS1_11target_archE906ELNS1_3gpuE6ELNS1_3repE0EEENS1_30default_config_static_selectorELNS0_4arch9wavefront6targetE0EEEvSY_,"axG",@progbits,_ZN7rocprim17ROCPRIM_400000_NS6detail17trampoline_kernelINS0_13select_configILj256ELj13ELNS0_17block_load_methodE3ELS4_3ELS4_3ELNS0_20block_scan_algorithmE0ELj4294967295EEENS1_25partition_config_selectorILNS1_17partition_subalgoE3EjNS0_10empty_typeEbEEZZNS1_14partition_implILS8_3ELb0ES6_jNS0_17counting_iteratorIjlEEPS9_SE_NS0_5tupleIJPjSE_EEENSF_IJSE_SE_EEES9_SG_JZNS1_25segmented_radix_sort_implINS0_14default_configELb0EPKdPdPKlPlN2at6native12_GLOBAL__N_18offset_tEEE10hipError_tPvRmT1_PNSt15iterator_traitsISY_E10value_typeET2_T3_PNSZ_IS14_E10value_typeET4_jRbjT5_S1A_jjP12ihipStream_tbEUljE_EEESV_SW_SX_S14_S18_S1A_T6_T7_T9_mT8_S1C_bDpT10_ENKUlT_T0_E_clISt17integral_constantIbLb1EES1O_IbLb0EEEEDaS1K_S1L_EUlS1K_E_NS1_11comp_targetILNS1_3genE2ELNS1_11target_archE906ELNS1_3gpuE6ELNS1_3repE0EEENS1_30default_config_static_selectorELNS0_4arch9wavefront6targetE0EEEvSY_,comdat
.Lfunc_end1201:
	.size	_ZN7rocprim17ROCPRIM_400000_NS6detail17trampoline_kernelINS0_13select_configILj256ELj13ELNS0_17block_load_methodE3ELS4_3ELS4_3ELNS0_20block_scan_algorithmE0ELj4294967295EEENS1_25partition_config_selectorILNS1_17partition_subalgoE3EjNS0_10empty_typeEbEEZZNS1_14partition_implILS8_3ELb0ES6_jNS0_17counting_iteratorIjlEEPS9_SE_NS0_5tupleIJPjSE_EEENSF_IJSE_SE_EEES9_SG_JZNS1_25segmented_radix_sort_implINS0_14default_configELb0EPKdPdPKlPlN2at6native12_GLOBAL__N_18offset_tEEE10hipError_tPvRmT1_PNSt15iterator_traitsISY_E10value_typeET2_T3_PNSZ_IS14_E10value_typeET4_jRbjT5_S1A_jjP12ihipStream_tbEUljE_EEESV_SW_SX_S14_S18_S1A_T6_T7_T9_mT8_S1C_bDpT10_ENKUlT_T0_E_clISt17integral_constantIbLb1EES1O_IbLb0EEEEDaS1K_S1L_EUlS1K_E_NS1_11comp_targetILNS1_3genE2ELNS1_11target_archE906ELNS1_3gpuE6ELNS1_3repE0EEENS1_30default_config_static_selectorELNS0_4arch9wavefront6targetE0EEEvSY_, .Lfunc_end1201-_ZN7rocprim17ROCPRIM_400000_NS6detail17trampoline_kernelINS0_13select_configILj256ELj13ELNS0_17block_load_methodE3ELS4_3ELS4_3ELNS0_20block_scan_algorithmE0ELj4294967295EEENS1_25partition_config_selectorILNS1_17partition_subalgoE3EjNS0_10empty_typeEbEEZZNS1_14partition_implILS8_3ELb0ES6_jNS0_17counting_iteratorIjlEEPS9_SE_NS0_5tupleIJPjSE_EEENSF_IJSE_SE_EEES9_SG_JZNS1_25segmented_radix_sort_implINS0_14default_configELb0EPKdPdPKlPlN2at6native12_GLOBAL__N_18offset_tEEE10hipError_tPvRmT1_PNSt15iterator_traitsISY_E10value_typeET2_T3_PNSZ_IS14_E10value_typeET4_jRbjT5_S1A_jjP12ihipStream_tbEUljE_EEESV_SW_SX_S14_S18_S1A_T6_T7_T9_mT8_S1C_bDpT10_ENKUlT_T0_E_clISt17integral_constantIbLb1EES1O_IbLb0EEEEDaS1K_S1L_EUlS1K_E_NS1_11comp_targetILNS1_3genE2ELNS1_11target_archE906ELNS1_3gpuE6ELNS1_3repE0EEENS1_30default_config_static_selectorELNS0_4arch9wavefront6targetE0EEEvSY_
                                        ; -- End function
	.set _ZN7rocprim17ROCPRIM_400000_NS6detail17trampoline_kernelINS0_13select_configILj256ELj13ELNS0_17block_load_methodE3ELS4_3ELS4_3ELNS0_20block_scan_algorithmE0ELj4294967295EEENS1_25partition_config_selectorILNS1_17partition_subalgoE3EjNS0_10empty_typeEbEEZZNS1_14partition_implILS8_3ELb0ES6_jNS0_17counting_iteratorIjlEEPS9_SE_NS0_5tupleIJPjSE_EEENSF_IJSE_SE_EEES9_SG_JZNS1_25segmented_radix_sort_implINS0_14default_configELb0EPKdPdPKlPlN2at6native12_GLOBAL__N_18offset_tEEE10hipError_tPvRmT1_PNSt15iterator_traitsISY_E10value_typeET2_T3_PNSZ_IS14_E10value_typeET4_jRbjT5_S1A_jjP12ihipStream_tbEUljE_EEESV_SW_SX_S14_S18_S1A_T6_T7_T9_mT8_S1C_bDpT10_ENKUlT_T0_E_clISt17integral_constantIbLb1EES1O_IbLb0EEEEDaS1K_S1L_EUlS1K_E_NS1_11comp_targetILNS1_3genE2ELNS1_11target_archE906ELNS1_3gpuE6ELNS1_3repE0EEENS1_30default_config_static_selectorELNS0_4arch9wavefront6targetE0EEEvSY_.num_vgpr, 0
	.set _ZN7rocprim17ROCPRIM_400000_NS6detail17trampoline_kernelINS0_13select_configILj256ELj13ELNS0_17block_load_methodE3ELS4_3ELS4_3ELNS0_20block_scan_algorithmE0ELj4294967295EEENS1_25partition_config_selectorILNS1_17partition_subalgoE3EjNS0_10empty_typeEbEEZZNS1_14partition_implILS8_3ELb0ES6_jNS0_17counting_iteratorIjlEEPS9_SE_NS0_5tupleIJPjSE_EEENSF_IJSE_SE_EEES9_SG_JZNS1_25segmented_radix_sort_implINS0_14default_configELb0EPKdPdPKlPlN2at6native12_GLOBAL__N_18offset_tEEE10hipError_tPvRmT1_PNSt15iterator_traitsISY_E10value_typeET2_T3_PNSZ_IS14_E10value_typeET4_jRbjT5_S1A_jjP12ihipStream_tbEUljE_EEESV_SW_SX_S14_S18_S1A_T6_T7_T9_mT8_S1C_bDpT10_ENKUlT_T0_E_clISt17integral_constantIbLb1EES1O_IbLb0EEEEDaS1K_S1L_EUlS1K_E_NS1_11comp_targetILNS1_3genE2ELNS1_11target_archE906ELNS1_3gpuE6ELNS1_3repE0EEENS1_30default_config_static_selectorELNS0_4arch9wavefront6targetE0EEEvSY_.num_agpr, 0
	.set _ZN7rocprim17ROCPRIM_400000_NS6detail17trampoline_kernelINS0_13select_configILj256ELj13ELNS0_17block_load_methodE3ELS4_3ELS4_3ELNS0_20block_scan_algorithmE0ELj4294967295EEENS1_25partition_config_selectorILNS1_17partition_subalgoE3EjNS0_10empty_typeEbEEZZNS1_14partition_implILS8_3ELb0ES6_jNS0_17counting_iteratorIjlEEPS9_SE_NS0_5tupleIJPjSE_EEENSF_IJSE_SE_EEES9_SG_JZNS1_25segmented_radix_sort_implINS0_14default_configELb0EPKdPdPKlPlN2at6native12_GLOBAL__N_18offset_tEEE10hipError_tPvRmT1_PNSt15iterator_traitsISY_E10value_typeET2_T3_PNSZ_IS14_E10value_typeET4_jRbjT5_S1A_jjP12ihipStream_tbEUljE_EEESV_SW_SX_S14_S18_S1A_T6_T7_T9_mT8_S1C_bDpT10_ENKUlT_T0_E_clISt17integral_constantIbLb1EES1O_IbLb0EEEEDaS1K_S1L_EUlS1K_E_NS1_11comp_targetILNS1_3genE2ELNS1_11target_archE906ELNS1_3gpuE6ELNS1_3repE0EEENS1_30default_config_static_selectorELNS0_4arch9wavefront6targetE0EEEvSY_.numbered_sgpr, 0
	.set _ZN7rocprim17ROCPRIM_400000_NS6detail17trampoline_kernelINS0_13select_configILj256ELj13ELNS0_17block_load_methodE3ELS4_3ELS4_3ELNS0_20block_scan_algorithmE0ELj4294967295EEENS1_25partition_config_selectorILNS1_17partition_subalgoE3EjNS0_10empty_typeEbEEZZNS1_14partition_implILS8_3ELb0ES6_jNS0_17counting_iteratorIjlEEPS9_SE_NS0_5tupleIJPjSE_EEENSF_IJSE_SE_EEES9_SG_JZNS1_25segmented_radix_sort_implINS0_14default_configELb0EPKdPdPKlPlN2at6native12_GLOBAL__N_18offset_tEEE10hipError_tPvRmT1_PNSt15iterator_traitsISY_E10value_typeET2_T3_PNSZ_IS14_E10value_typeET4_jRbjT5_S1A_jjP12ihipStream_tbEUljE_EEESV_SW_SX_S14_S18_S1A_T6_T7_T9_mT8_S1C_bDpT10_ENKUlT_T0_E_clISt17integral_constantIbLb1EES1O_IbLb0EEEEDaS1K_S1L_EUlS1K_E_NS1_11comp_targetILNS1_3genE2ELNS1_11target_archE906ELNS1_3gpuE6ELNS1_3repE0EEENS1_30default_config_static_selectorELNS0_4arch9wavefront6targetE0EEEvSY_.num_named_barrier, 0
	.set _ZN7rocprim17ROCPRIM_400000_NS6detail17trampoline_kernelINS0_13select_configILj256ELj13ELNS0_17block_load_methodE3ELS4_3ELS4_3ELNS0_20block_scan_algorithmE0ELj4294967295EEENS1_25partition_config_selectorILNS1_17partition_subalgoE3EjNS0_10empty_typeEbEEZZNS1_14partition_implILS8_3ELb0ES6_jNS0_17counting_iteratorIjlEEPS9_SE_NS0_5tupleIJPjSE_EEENSF_IJSE_SE_EEES9_SG_JZNS1_25segmented_radix_sort_implINS0_14default_configELb0EPKdPdPKlPlN2at6native12_GLOBAL__N_18offset_tEEE10hipError_tPvRmT1_PNSt15iterator_traitsISY_E10value_typeET2_T3_PNSZ_IS14_E10value_typeET4_jRbjT5_S1A_jjP12ihipStream_tbEUljE_EEESV_SW_SX_S14_S18_S1A_T6_T7_T9_mT8_S1C_bDpT10_ENKUlT_T0_E_clISt17integral_constantIbLb1EES1O_IbLb0EEEEDaS1K_S1L_EUlS1K_E_NS1_11comp_targetILNS1_3genE2ELNS1_11target_archE906ELNS1_3gpuE6ELNS1_3repE0EEENS1_30default_config_static_selectorELNS0_4arch9wavefront6targetE0EEEvSY_.private_seg_size, 0
	.set _ZN7rocprim17ROCPRIM_400000_NS6detail17trampoline_kernelINS0_13select_configILj256ELj13ELNS0_17block_load_methodE3ELS4_3ELS4_3ELNS0_20block_scan_algorithmE0ELj4294967295EEENS1_25partition_config_selectorILNS1_17partition_subalgoE3EjNS0_10empty_typeEbEEZZNS1_14partition_implILS8_3ELb0ES6_jNS0_17counting_iteratorIjlEEPS9_SE_NS0_5tupleIJPjSE_EEENSF_IJSE_SE_EEES9_SG_JZNS1_25segmented_radix_sort_implINS0_14default_configELb0EPKdPdPKlPlN2at6native12_GLOBAL__N_18offset_tEEE10hipError_tPvRmT1_PNSt15iterator_traitsISY_E10value_typeET2_T3_PNSZ_IS14_E10value_typeET4_jRbjT5_S1A_jjP12ihipStream_tbEUljE_EEESV_SW_SX_S14_S18_S1A_T6_T7_T9_mT8_S1C_bDpT10_ENKUlT_T0_E_clISt17integral_constantIbLb1EES1O_IbLb0EEEEDaS1K_S1L_EUlS1K_E_NS1_11comp_targetILNS1_3genE2ELNS1_11target_archE906ELNS1_3gpuE6ELNS1_3repE0EEENS1_30default_config_static_selectorELNS0_4arch9wavefront6targetE0EEEvSY_.uses_vcc, 0
	.set _ZN7rocprim17ROCPRIM_400000_NS6detail17trampoline_kernelINS0_13select_configILj256ELj13ELNS0_17block_load_methodE3ELS4_3ELS4_3ELNS0_20block_scan_algorithmE0ELj4294967295EEENS1_25partition_config_selectorILNS1_17partition_subalgoE3EjNS0_10empty_typeEbEEZZNS1_14partition_implILS8_3ELb0ES6_jNS0_17counting_iteratorIjlEEPS9_SE_NS0_5tupleIJPjSE_EEENSF_IJSE_SE_EEES9_SG_JZNS1_25segmented_radix_sort_implINS0_14default_configELb0EPKdPdPKlPlN2at6native12_GLOBAL__N_18offset_tEEE10hipError_tPvRmT1_PNSt15iterator_traitsISY_E10value_typeET2_T3_PNSZ_IS14_E10value_typeET4_jRbjT5_S1A_jjP12ihipStream_tbEUljE_EEESV_SW_SX_S14_S18_S1A_T6_T7_T9_mT8_S1C_bDpT10_ENKUlT_T0_E_clISt17integral_constantIbLb1EES1O_IbLb0EEEEDaS1K_S1L_EUlS1K_E_NS1_11comp_targetILNS1_3genE2ELNS1_11target_archE906ELNS1_3gpuE6ELNS1_3repE0EEENS1_30default_config_static_selectorELNS0_4arch9wavefront6targetE0EEEvSY_.uses_flat_scratch, 0
	.set _ZN7rocprim17ROCPRIM_400000_NS6detail17trampoline_kernelINS0_13select_configILj256ELj13ELNS0_17block_load_methodE3ELS4_3ELS4_3ELNS0_20block_scan_algorithmE0ELj4294967295EEENS1_25partition_config_selectorILNS1_17partition_subalgoE3EjNS0_10empty_typeEbEEZZNS1_14partition_implILS8_3ELb0ES6_jNS0_17counting_iteratorIjlEEPS9_SE_NS0_5tupleIJPjSE_EEENSF_IJSE_SE_EEES9_SG_JZNS1_25segmented_radix_sort_implINS0_14default_configELb0EPKdPdPKlPlN2at6native12_GLOBAL__N_18offset_tEEE10hipError_tPvRmT1_PNSt15iterator_traitsISY_E10value_typeET2_T3_PNSZ_IS14_E10value_typeET4_jRbjT5_S1A_jjP12ihipStream_tbEUljE_EEESV_SW_SX_S14_S18_S1A_T6_T7_T9_mT8_S1C_bDpT10_ENKUlT_T0_E_clISt17integral_constantIbLb1EES1O_IbLb0EEEEDaS1K_S1L_EUlS1K_E_NS1_11comp_targetILNS1_3genE2ELNS1_11target_archE906ELNS1_3gpuE6ELNS1_3repE0EEENS1_30default_config_static_selectorELNS0_4arch9wavefront6targetE0EEEvSY_.has_dyn_sized_stack, 0
	.set _ZN7rocprim17ROCPRIM_400000_NS6detail17trampoline_kernelINS0_13select_configILj256ELj13ELNS0_17block_load_methodE3ELS4_3ELS4_3ELNS0_20block_scan_algorithmE0ELj4294967295EEENS1_25partition_config_selectorILNS1_17partition_subalgoE3EjNS0_10empty_typeEbEEZZNS1_14partition_implILS8_3ELb0ES6_jNS0_17counting_iteratorIjlEEPS9_SE_NS0_5tupleIJPjSE_EEENSF_IJSE_SE_EEES9_SG_JZNS1_25segmented_radix_sort_implINS0_14default_configELb0EPKdPdPKlPlN2at6native12_GLOBAL__N_18offset_tEEE10hipError_tPvRmT1_PNSt15iterator_traitsISY_E10value_typeET2_T3_PNSZ_IS14_E10value_typeET4_jRbjT5_S1A_jjP12ihipStream_tbEUljE_EEESV_SW_SX_S14_S18_S1A_T6_T7_T9_mT8_S1C_bDpT10_ENKUlT_T0_E_clISt17integral_constantIbLb1EES1O_IbLb0EEEEDaS1K_S1L_EUlS1K_E_NS1_11comp_targetILNS1_3genE2ELNS1_11target_archE906ELNS1_3gpuE6ELNS1_3repE0EEENS1_30default_config_static_selectorELNS0_4arch9wavefront6targetE0EEEvSY_.has_recursion, 0
	.set _ZN7rocprim17ROCPRIM_400000_NS6detail17trampoline_kernelINS0_13select_configILj256ELj13ELNS0_17block_load_methodE3ELS4_3ELS4_3ELNS0_20block_scan_algorithmE0ELj4294967295EEENS1_25partition_config_selectorILNS1_17partition_subalgoE3EjNS0_10empty_typeEbEEZZNS1_14partition_implILS8_3ELb0ES6_jNS0_17counting_iteratorIjlEEPS9_SE_NS0_5tupleIJPjSE_EEENSF_IJSE_SE_EEES9_SG_JZNS1_25segmented_radix_sort_implINS0_14default_configELb0EPKdPdPKlPlN2at6native12_GLOBAL__N_18offset_tEEE10hipError_tPvRmT1_PNSt15iterator_traitsISY_E10value_typeET2_T3_PNSZ_IS14_E10value_typeET4_jRbjT5_S1A_jjP12ihipStream_tbEUljE_EEESV_SW_SX_S14_S18_S1A_T6_T7_T9_mT8_S1C_bDpT10_ENKUlT_T0_E_clISt17integral_constantIbLb1EES1O_IbLb0EEEEDaS1K_S1L_EUlS1K_E_NS1_11comp_targetILNS1_3genE2ELNS1_11target_archE906ELNS1_3gpuE6ELNS1_3repE0EEENS1_30default_config_static_selectorELNS0_4arch9wavefront6targetE0EEEvSY_.has_indirect_call, 0
	.section	.AMDGPU.csdata,"",@progbits
; Kernel info:
; codeLenInByte = 0
; TotalNumSgprs: 0
; NumVgprs: 0
; ScratchSize: 0
; MemoryBound: 0
; FloatMode: 240
; IeeeMode: 1
; LDSByteSize: 0 bytes/workgroup (compile time only)
; SGPRBlocks: 0
; VGPRBlocks: 0
; NumSGPRsForWavesPerEU: 1
; NumVGPRsForWavesPerEU: 1
; Occupancy: 16
; WaveLimiterHint : 0
; COMPUTE_PGM_RSRC2:SCRATCH_EN: 0
; COMPUTE_PGM_RSRC2:USER_SGPR: 6
; COMPUTE_PGM_RSRC2:TRAP_HANDLER: 0
; COMPUTE_PGM_RSRC2:TGID_X_EN: 1
; COMPUTE_PGM_RSRC2:TGID_Y_EN: 0
; COMPUTE_PGM_RSRC2:TGID_Z_EN: 0
; COMPUTE_PGM_RSRC2:TIDIG_COMP_CNT: 0
	.section	.text._ZN7rocprim17ROCPRIM_400000_NS6detail17trampoline_kernelINS0_13select_configILj256ELj13ELNS0_17block_load_methodE3ELS4_3ELS4_3ELNS0_20block_scan_algorithmE0ELj4294967295EEENS1_25partition_config_selectorILNS1_17partition_subalgoE3EjNS0_10empty_typeEbEEZZNS1_14partition_implILS8_3ELb0ES6_jNS0_17counting_iteratorIjlEEPS9_SE_NS0_5tupleIJPjSE_EEENSF_IJSE_SE_EEES9_SG_JZNS1_25segmented_radix_sort_implINS0_14default_configELb0EPKdPdPKlPlN2at6native12_GLOBAL__N_18offset_tEEE10hipError_tPvRmT1_PNSt15iterator_traitsISY_E10value_typeET2_T3_PNSZ_IS14_E10value_typeET4_jRbjT5_S1A_jjP12ihipStream_tbEUljE_EEESV_SW_SX_S14_S18_S1A_T6_T7_T9_mT8_S1C_bDpT10_ENKUlT_T0_E_clISt17integral_constantIbLb1EES1O_IbLb0EEEEDaS1K_S1L_EUlS1K_E_NS1_11comp_targetILNS1_3genE10ELNS1_11target_archE1200ELNS1_3gpuE4ELNS1_3repE0EEENS1_30default_config_static_selectorELNS0_4arch9wavefront6targetE0EEEvSY_,"axG",@progbits,_ZN7rocprim17ROCPRIM_400000_NS6detail17trampoline_kernelINS0_13select_configILj256ELj13ELNS0_17block_load_methodE3ELS4_3ELS4_3ELNS0_20block_scan_algorithmE0ELj4294967295EEENS1_25partition_config_selectorILNS1_17partition_subalgoE3EjNS0_10empty_typeEbEEZZNS1_14partition_implILS8_3ELb0ES6_jNS0_17counting_iteratorIjlEEPS9_SE_NS0_5tupleIJPjSE_EEENSF_IJSE_SE_EEES9_SG_JZNS1_25segmented_radix_sort_implINS0_14default_configELb0EPKdPdPKlPlN2at6native12_GLOBAL__N_18offset_tEEE10hipError_tPvRmT1_PNSt15iterator_traitsISY_E10value_typeET2_T3_PNSZ_IS14_E10value_typeET4_jRbjT5_S1A_jjP12ihipStream_tbEUljE_EEESV_SW_SX_S14_S18_S1A_T6_T7_T9_mT8_S1C_bDpT10_ENKUlT_T0_E_clISt17integral_constantIbLb1EES1O_IbLb0EEEEDaS1K_S1L_EUlS1K_E_NS1_11comp_targetILNS1_3genE10ELNS1_11target_archE1200ELNS1_3gpuE4ELNS1_3repE0EEENS1_30default_config_static_selectorELNS0_4arch9wavefront6targetE0EEEvSY_,comdat
	.globl	_ZN7rocprim17ROCPRIM_400000_NS6detail17trampoline_kernelINS0_13select_configILj256ELj13ELNS0_17block_load_methodE3ELS4_3ELS4_3ELNS0_20block_scan_algorithmE0ELj4294967295EEENS1_25partition_config_selectorILNS1_17partition_subalgoE3EjNS0_10empty_typeEbEEZZNS1_14partition_implILS8_3ELb0ES6_jNS0_17counting_iteratorIjlEEPS9_SE_NS0_5tupleIJPjSE_EEENSF_IJSE_SE_EEES9_SG_JZNS1_25segmented_radix_sort_implINS0_14default_configELb0EPKdPdPKlPlN2at6native12_GLOBAL__N_18offset_tEEE10hipError_tPvRmT1_PNSt15iterator_traitsISY_E10value_typeET2_T3_PNSZ_IS14_E10value_typeET4_jRbjT5_S1A_jjP12ihipStream_tbEUljE_EEESV_SW_SX_S14_S18_S1A_T6_T7_T9_mT8_S1C_bDpT10_ENKUlT_T0_E_clISt17integral_constantIbLb1EES1O_IbLb0EEEEDaS1K_S1L_EUlS1K_E_NS1_11comp_targetILNS1_3genE10ELNS1_11target_archE1200ELNS1_3gpuE4ELNS1_3repE0EEENS1_30default_config_static_selectorELNS0_4arch9wavefront6targetE0EEEvSY_ ; -- Begin function _ZN7rocprim17ROCPRIM_400000_NS6detail17trampoline_kernelINS0_13select_configILj256ELj13ELNS0_17block_load_methodE3ELS4_3ELS4_3ELNS0_20block_scan_algorithmE0ELj4294967295EEENS1_25partition_config_selectorILNS1_17partition_subalgoE3EjNS0_10empty_typeEbEEZZNS1_14partition_implILS8_3ELb0ES6_jNS0_17counting_iteratorIjlEEPS9_SE_NS0_5tupleIJPjSE_EEENSF_IJSE_SE_EEES9_SG_JZNS1_25segmented_radix_sort_implINS0_14default_configELb0EPKdPdPKlPlN2at6native12_GLOBAL__N_18offset_tEEE10hipError_tPvRmT1_PNSt15iterator_traitsISY_E10value_typeET2_T3_PNSZ_IS14_E10value_typeET4_jRbjT5_S1A_jjP12ihipStream_tbEUljE_EEESV_SW_SX_S14_S18_S1A_T6_T7_T9_mT8_S1C_bDpT10_ENKUlT_T0_E_clISt17integral_constantIbLb1EES1O_IbLb0EEEEDaS1K_S1L_EUlS1K_E_NS1_11comp_targetILNS1_3genE10ELNS1_11target_archE1200ELNS1_3gpuE4ELNS1_3repE0EEENS1_30default_config_static_selectorELNS0_4arch9wavefront6targetE0EEEvSY_
	.p2align	8
	.type	_ZN7rocprim17ROCPRIM_400000_NS6detail17trampoline_kernelINS0_13select_configILj256ELj13ELNS0_17block_load_methodE3ELS4_3ELS4_3ELNS0_20block_scan_algorithmE0ELj4294967295EEENS1_25partition_config_selectorILNS1_17partition_subalgoE3EjNS0_10empty_typeEbEEZZNS1_14partition_implILS8_3ELb0ES6_jNS0_17counting_iteratorIjlEEPS9_SE_NS0_5tupleIJPjSE_EEENSF_IJSE_SE_EEES9_SG_JZNS1_25segmented_radix_sort_implINS0_14default_configELb0EPKdPdPKlPlN2at6native12_GLOBAL__N_18offset_tEEE10hipError_tPvRmT1_PNSt15iterator_traitsISY_E10value_typeET2_T3_PNSZ_IS14_E10value_typeET4_jRbjT5_S1A_jjP12ihipStream_tbEUljE_EEESV_SW_SX_S14_S18_S1A_T6_T7_T9_mT8_S1C_bDpT10_ENKUlT_T0_E_clISt17integral_constantIbLb1EES1O_IbLb0EEEEDaS1K_S1L_EUlS1K_E_NS1_11comp_targetILNS1_3genE10ELNS1_11target_archE1200ELNS1_3gpuE4ELNS1_3repE0EEENS1_30default_config_static_selectorELNS0_4arch9wavefront6targetE0EEEvSY_,@function
_ZN7rocprim17ROCPRIM_400000_NS6detail17trampoline_kernelINS0_13select_configILj256ELj13ELNS0_17block_load_methodE3ELS4_3ELS4_3ELNS0_20block_scan_algorithmE0ELj4294967295EEENS1_25partition_config_selectorILNS1_17partition_subalgoE3EjNS0_10empty_typeEbEEZZNS1_14partition_implILS8_3ELb0ES6_jNS0_17counting_iteratorIjlEEPS9_SE_NS0_5tupleIJPjSE_EEENSF_IJSE_SE_EEES9_SG_JZNS1_25segmented_radix_sort_implINS0_14default_configELb0EPKdPdPKlPlN2at6native12_GLOBAL__N_18offset_tEEE10hipError_tPvRmT1_PNSt15iterator_traitsISY_E10value_typeET2_T3_PNSZ_IS14_E10value_typeET4_jRbjT5_S1A_jjP12ihipStream_tbEUljE_EEESV_SW_SX_S14_S18_S1A_T6_T7_T9_mT8_S1C_bDpT10_ENKUlT_T0_E_clISt17integral_constantIbLb1EES1O_IbLb0EEEEDaS1K_S1L_EUlS1K_E_NS1_11comp_targetILNS1_3genE10ELNS1_11target_archE1200ELNS1_3gpuE4ELNS1_3repE0EEENS1_30default_config_static_selectorELNS0_4arch9wavefront6targetE0EEEvSY_: ; @_ZN7rocprim17ROCPRIM_400000_NS6detail17trampoline_kernelINS0_13select_configILj256ELj13ELNS0_17block_load_methodE3ELS4_3ELS4_3ELNS0_20block_scan_algorithmE0ELj4294967295EEENS1_25partition_config_selectorILNS1_17partition_subalgoE3EjNS0_10empty_typeEbEEZZNS1_14partition_implILS8_3ELb0ES6_jNS0_17counting_iteratorIjlEEPS9_SE_NS0_5tupleIJPjSE_EEENSF_IJSE_SE_EEES9_SG_JZNS1_25segmented_radix_sort_implINS0_14default_configELb0EPKdPdPKlPlN2at6native12_GLOBAL__N_18offset_tEEE10hipError_tPvRmT1_PNSt15iterator_traitsISY_E10value_typeET2_T3_PNSZ_IS14_E10value_typeET4_jRbjT5_S1A_jjP12ihipStream_tbEUljE_EEESV_SW_SX_S14_S18_S1A_T6_T7_T9_mT8_S1C_bDpT10_ENKUlT_T0_E_clISt17integral_constantIbLb1EES1O_IbLb0EEEEDaS1K_S1L_EUlS1K_E_NS1_11comp_targetILNS1_3genE10ELNS1_11target_archE1200ELNS1_3gpuE4ELNS1_3repE0EEENS1_30default_config_static_selectorELNS0_4arch9wavefront6targetE0EEEvSY_
; %bb.0:
	.section	.rodata,"a",@progbits
	.p2align	6, 0x0
	.amdhsa_kernel _ZN7rocprim17ROCPRIM_400000_NS6detail17trampoline_kernelINS0_13select_configILj256ELj13ELNS0_17block_load_methodE3ELS4_3ELS4_3ELNS0_20block_scan_algorithmE0ELj4294967295EEENS1_25partition_config_selectorILNS1_17partition_subalgoE3EjNS0_10empty_typeEbEEZZNS1_14partition_implILS8_3ELb0ES6_jNS0_17counting_iteratorIjlEEPS9_SE_NS0_5tupleIJPjSE_EEENSF_IJSE_SE_EEES9_SG_JZNS1_25segmented_radix_sort_implINS0_14default_configELb0EPKdPdPKlPlN2at6native12_GLOBAL__N_18offset_tEEE10hipError_tPvRmT1_PNSt15iterator_traitsISY_E10value_typeET2_T3_PNSZ_IS14_E10value_typeET4_jRbjT5_S1A_jjP12ihipStream_tbEUljE_EEESV_SW_SX_S14_S18_S1A_T6_T7_T9_mT8_S1C_bDpT10_ENKUlT_T0_E_clISt17integral_constantIbLb1EES1O_IbLb0EEEEDaS1K_S1L_EUlS1K_E_NS1_11comp_targetILNS1_3genE10ELNS1_11target_archE1200ELNS1_3gpuE4ELNS1_3repE0EEENS1_30default_config_static_selectorELNS0_4arch9wavefront6targetE0EEEvSY_
		.amdhsa_group_segment_fixed_size 0
		.amdhsa_private_segment_fixed_size 0
		.amdhsa_kernarg_size 144
		.amdhsa_user_sgpr_count 6
		.amdhsa_user_sgpr_private_segment_buffer 1
		.amdhsa_user_sgpr_dispatch_ptr 0
		.amdhsa_user_sgpr_queue_ptr 0
		.amdhsa_user_sgpr_kernarg_segment_ptr 1
		.amdhsa_user_sgpr_dispatch_id 0
		.amdhsa_user_sgpr_flat_scratch_init 0
		.amdhsa_user_sgpr_private_segment_size 0
		.amdhsa_wavefront_size32 1
		.amdhsa_uses_dynamic_stack 0
		.amdhsa_system_sgpr_private_segment_wavefront_offset 0
		.amdhsa_system_sgpr_workgroup_id_x 1
		.amdhsa_system_sgpr_workgroup_id_y 0
		.amdhsa_system_sgpr_workgroup_id_z 0
		.amdhsa_system_sgpr_workgroup_info 0
		.amdhsa_system_vgpr_workitem_id 0
		.amdhsa_next_free_vgpr 1
		.amdhsa_next_free_sgpr 1
		.amdhsa_reserve_vcc 0
		.amdhsa_reserve_flat_scratch 0
		.amdhsa_float_round_mode_32 0
		.amdhsa_float_round_mode_16_64 0
		.amdhsa_float_denorm_mode_32 3
		.amdhsa_float_denorm_mode_16_64 3
		.amdhsa_dx10_clamp 1
		.amdhsa_ieee_mode 1
		.amdhsa_fp16_overflow 0
		.amdhsa_workgroup_processor_mode 1
		.amdhsa_memory_ordered 1
		.amdhsa_forward_progress 1
		.amdhsa_shared_vgpr_count 0
		.amdhsa_exception_fp_ieee_invalid_op 0
		.amdhsa_exception_fp_denorm_src 0
		.amdhsa_exception_fp_ieee_div_zero 0
		.amdhsa_exception_fp_ieee_overflow 0
		.amdhsa_exception_fp_ieee_underflow 0
		.amdhsa_exception_fp_ieee_inexact 0
		.amdhsa_exception_int_div_zero 0
	.end_amdhsa_kernel
	.section	.text._ZN7rocprim17ROCPRIM_400000_NS6detail17trampoline_kernelINS0_13select_configILj256ELj13ELNS0_17block_load_methodE3ELS4_3ELS4_3ELNS0_20block_scan_algorithmE0ELj4294967295EEENS1_25partition_config_selectorILNS1_17partition_subalgoE3EjNS0_10empty_typeEbEEZZNS1_14partition_implILS8_3ELb0ES6_jNS0_17counting_iteratorIjlEEPS9_SE_NS0_5tupleIJPjSE_EEENSF_IJSE_SE_EEES9_SG_JZNS1_25segmented_radix_sort_implINS0_14default_configELb0EPKdPdPKlPlN2at6native12_GLOBAL__N_18offset_tEEE10hipError_tPvRmT1_PNSt15iterator_traitsISY_E10value_typeET2_T3_PNSZ_IS14_E10value_typeET4_jRbjT5_S1A_jjP12ihipStream_tbEUljE_EEESV_SW_SX_S14_S18_S1A_T6_T7_T9_mT8_S1C_bDpT10_ENKUlT_T0_E_clISt17integral_constantIbLb1EES1O_IbLb0EEEEDaS1K_S1L_EUlS1K_E_NS1_11comp_targetILNS1_3genE10ELNS1_11target_archE1200ELNS1_3gpuE4ELNS1_3repE0EEENS1_30default_config_static_selectorELNS0_4arch9wavefront6targetE0EEEvSY_,"axG",@progbits,_ZN7rocprim17ROCPRIM_400000_NS6detail17trampoline_kernelINS0_13select_configILj256ELj13ELNS0_17block_load_methodE3ELS4_3ELS4_3ELNS0_20block_scan_algorithmE0ELj4294967295EEENS1_25partition_config_selectorILNS1_17partition_subalgoE3EjNS0_10empty_typeEbEEZZNS1_14partition_implILS8_3ELb0ES6_jNS0_17counting_iteratorIjlEEPS9_SE_NS0_5tupleIJPjSE_EEENSF_IJSE_SE_EEES9_SG_JZNS1_25segmented_radix_sort_implINS0_14default_configELb0EPKdPdPKlPlN2at6native12_GLOBAL__N_18offset_tEEE10hipError_tPvRmT1_PNSt15iterator_traitsISY_E10value_typeET2_T3_PNSZ_IS14_E10value_typeET4_jRbjT5_S1A_jjP12ihipStream_tbEUljE_EEESV_SW_SX_S14_S18_S1A_T6_T7_T9_mT8_S1C_bDpT10_ENKUlT_T0_E_clISt17integral_constantIbLb1EES1O_IbLb0EEEEDaS1K_S1L_EUlS1K_E_NS1_11comp_targetILNS1_3genE10ELNS1_11target_archE1200ELNS1_3gpuE4ELNS1_3repE0EEENS1_30default_config_static_selectorELNS0_4arch9wavefront6targetE0EEEvSY_,comdat
.Lfunc_end1202:
	.size	_ZN7rocprim17ROCPRIM_400000_NS6detail17trampoline_kernelINS0_13select_configILj256ELj13ELNS0_17block_load_methodE3ELS4_3ELS4_3ELNS0_20block_scan_algorithmE0ELj4294967295EEENS1_25partition_config_selectorILNS1_17partition_subalgoE3EjNS0_10empty_typeEbEEZZNS1_14partition_implILS8_3ELb0ES6_jNS0_17counting_iteratorIjlEEPS9_SE_NS0_5tupleIJPjSE_EEENSF_IJSE_SE_EEES9_SG_JZNS1_25segmented_radix_sort_implINS0_14default_configELb0EPKdPdPKlPlN2at6native12_GLOBAL__N_18offset_tEEE10hipError_tPvRmT1_PNSt15iterator_traitsISY_E10value_typeET2_T3_PNSZ_IS14_E10value_typeET4_jRbjT5_S1A_jjP12ihipStream_tbEUljE_EEESV_SW_SX_S14_S18_S1A_T6_T7_T9_mT8_S1C_bDpT10_ENKUlT_T0_E_clISt17integral_constantIbLb1EES1O_IbLb0EEEEDaS1K_S1L_EUlS1K_E_NS1_11comp_targetILNS1_3genE10ELNS1_11target_archE1200ELNS1_3gpuE4ELNS1_3repE0EEENS1_30default_config_static_selectorELNS0_4arch9wavefront6targetE0EEEvSY_, .Lfunc_end1202-_ZN7rocprim17ROCPRIM_400000_NS6detail17trampoline_kernelINS0_13select_configILj256ELj13ELNS0_17block_load_methodE3ELS4_3ELS4_3ELNS0_20block_scan_algorithmE0ELj4294967295EEENS1_25partition_config_selectorILNS1_17partition_subalgoE3EjNS0_10empty_typeEbEEZZNS1_14partition_implILS8_3ELb0ES6_jNS0_17counting_iteratorIjlEEPS9_SE_NS0_5tupleIJPjSE_EEENSF_IJSE_SE_EEES9_SG_JZNS1_25segmented_radix_sort_implINS0_14default_configELb0EPKdPdPKlPlN2at6native12_GLOBAL__N_18offset_tEEE10hipError_tPvRmT1_PNSt15iterator_traitsISY_E10value_typeET2_T3_PNSZ_IS14_E10value_typeET4_jRbjT5_S1A_jjP12ihipStream_tbEUljE_EEESV_SW_SX_S14_S18_S1A_T6_T7_T9_mT8_S1C_bDpT10_ENKUlT_T0_E_clISt17integral_constantIbLb1EES1O_IbLb0EEEEDaS1K_S1L_EUlS1K_E_NS1_11comp_targetILNS1_3genE10ELNS1_11target_archE1200ELNS1_3gpuE4ELNS1_3repE0EEENS1_30default_config_static_selectorELNS0_4arch9wavefront6targetE0EEEvSY_
                                        ; -- End function
	.set _ZN7rocprim17ROCPRIM_400000_NS6detail17trampoline_kernelINS0_13select_configILj256ELj13ELNS0_17block_load_methodE3ELS4_3ELS4_3ELNS0_20block_scan_algorithmE0ELj4294967295EEENS1_25partition_config_selectorILNS1_17partition_subalgoE3EjNS0_10empty_typeEbEEZZNS1_14partition_implILS8_3ELb0ES6_jNS0_17counting_iteratorIjlEEPS9_SE_NS0_5tupleIJPjSE_EEENSF_IJSE_SE_EEES9_SG_JZNS1_25segmented_radix_sort_implINS0_14default_configELb0EPKdPdPKlPlN2at6native12_GLOBAL__N_18offset_tEEE10hipError_tPvRmT1_PNSt15iterator_traitsISY_E10value_typeET2_T3_PNSZ_IS14_E10value_typeET4_jRbjT5_S1A_jjP12ihipStream_tbEUljE_EEESV_SW_SX_S14_S18_S1A_T6_T7_T9_mT8_S1C_bDpT10_ENKUlT_T0_E_clISt17integral_constantIbLb1EES1O_IbLb0EEEEDaS1K_S1L_EUlS1K_E_NS1_11comp_targetILNS1_3genE10ELNS1_11target_archE1200ELNS1_3gpuE4ELNS1_3repE0EEENS1_30default_config_static_selectorELNS0_4arch9wavefront6targetE0EEEvSY_.num_vgpr, 0
	.set _ZN7rocprim17ROCPRIM_400000_NS6detail17trampoline_kernelINS0_13select_configILj256ELj13ELNS0_17block_load_methodE3ELS4_3ELS4_3ELNS0_20block_scan_algorithmE0ELj4294967295EEENS1_25partition_config_selectorILNS1_17partition_subalgoE3EjNS0_10empty_typeEbEEZZNS1_14partition_implILS8_3ELb0ES6_jNS0_17counting_iteratorIjlEEPS9_SE_NS0_5tupleIJPjSE_EEENSF_IJSE_SE_EEES9_SG_JZNS1_25segmented_radix_sort_implINS0_14default_configELb0EPKdPdPKlPlN2at6native12_GLOBAL__N_18offset_tEEE10hipError_tPvRmT1_PNSt15iterator_traitsISY_E10value_typeET2_T3_PNSZ_IS14_E10value_typeET4_jRbjT5_S1A_jjP12ihipStream_tbEUljE_EEESV_SW_SX_S14_S18_S1A_T6_T7_T9_mT8_S1C_bDpT10_ENKUlT_T0_E_clISt17integral_constantIbLb1EES1O_IbLb0EEEEDaS1K_S1L_EUlS1K_E_NS1_11comp_targetILNS1_3genE10ELNS1_11target_archE1200ELNS1_3gpuE4ELNS1_3repE0EEENS1_30default_config_static_selectorELNS0_4arch9wavefront6targetE0EEEvSY_.num_agpr, 0
	.set _ZN7rocprim17ROCPRIM_400000_NS6detail17trampoline_kernelINS0_13select_configILj256ELj13ELNS0_17block_load_methodE3ELS4_3ELS4_3ELNS0_20block_scan_algorithmE0ELj4294967295EEENS1_25partition_config_selectorILNS1_17partition_subalgoE3EjNS0_10empty_typeEbEEZZNS1_14partition_implILS8_3ELb0ES6_jNS0_17counting_iteratorIjlEEPS9_SE_NS0_5tupleIJPjSE_EEENSF_IJSE_SE_EEES9_SG_JZNS1_25segmented_radix_sort_implINS0_14default_configELb0EPKdPdPKlPlN2at6native12_GLOBAL__N_18offset_tEEE10hipError_tPvRmT1_PNSt15iterator_traitsISY_E10value_typeET2_T3_PNSZ_IS14_E10value_typeET4_jRbjT5_S1A_jjP12ihipStream_tbEUljE_EEESV_SW_SX_S14_S18_S1A_T6_T7_T9_mT8_S1C_bDpT10_ENKUlT_T0_E_clISt17integral_constantIbLb1EES1O_IbLb0EEEEDaS1K_S1L_EUlS1K_E_NS1_11comp_targetILNS1_3genE10ELNS1_11target_archE1200ELNS1_3gpuE4ELNS1_3repE0EEENS1_30default_config_static_selectorELNS0_4arch9wavefront6targetE0EEEvSY_.numbered_sgpr, 0
	.set _ZN7rocprim17ROCPRIM_400000_NS6detail17trampoline_kernelINS0_13select_configILj256ELj13ELNS0_17block_load_methodE3ELS4_3ELS4_3ELNS0_20block_scan_algorithmE0ELj4294967295EEENS1_25partition_config_selectorILNS1_17partition_subalgoE3EjNS0_10empty_typeEbEEZZNS1_14partition_implILS8_3ELb0ES6_jNS0_17counting_iteratorIjlEEPS9_SE_NS0_5tupleIJPjSE_EEENSF_IJSE_SE_EEES9_SG_JZNS1_25segmented_radix_sort_implINS0_14default_configELb0EPKdPdPKlPlN2at6native12_GLOBAL__N_18offset_tEEE10hipError_tPvRmT1_PNSt15iterator_traitsISY_E10value_typeET2_T3_PNSZ_IS14_E10value_typeET4_jRbjT5_S1A_jjP12ihipStream_tbEUljE_EEESV_SW_SX_S14_S18_S1A_T6_T7_T9_mT8_S1C_bDpT10_ENKUlT_T0_E_clISt17integral_constantIbLb1EES1O_IbLb0EEEEDaS1K_S1L_EUlS1K_E_NS1_11comp_targetILNS1_3genE10ELNS1_11target_archE1200ELNS1_3gpuE4ELNS1_3repE0EEENS1_30default_config_static_selectorELNS0_4arch9wavefront6targetE0EEEvSY_.num_named_barrier, 0
	.set _ZN7rocprim17ROCPRIM_400000_NS6detail17trampoline_kernelINS0_13select_configILj256ELj13ELNS0_17block_load_methodE3ELS4_3ELS4_3ELNS0_20block_scan_algorithmE0ELj4294967295EEENS1_25partition_config_selectorILNS1_17partition_subalgoE3EjNS0_10empty_typeEbEEZZNS1_14partition_implILS8_3ELb0ES6_jNS0_17counting_iteratorIjlEEPS9_SE_NS0_5tupleIJPjSE_EEENSF_IJSE_SE_EEES9_SG_JZNS1_25segmented_radix_sort_implINS0_14default_configELb0EPKdPdPKlPlN2at6native12_GLOBAL__N_18offset_tEEE10hipError_tPvRmT1_PNSt15iterator_traitsISY_E10value_typeET2_T3_PNSZ_IS14_E10value_typeET4_jRbjT5_S1A_jjP12ihipStream_tbEUljE_EEESV_SW_SX_S14_S18_S1A_T6_T7_T9_mT8_S1C_bDpT10_ENKUlT_T0_E_clISt17integral_constantIbLb1EES1O_IbLb0EEEEDaS1K_S1L_EUlS1K_E_NS1_11comp_targetILNS1_3genE10ELNS1_11target_archE1200ELNS1_3gpuE4ELNS1_3repE0EEENS1_30default_config_static_selectorELNS0_4arch9wavefront6targetE0EEEvSY_.private_seg_size, 0
	.set _ZN7rocprim17ROCPRIM_400000_NS6detail17trampoline_kernelINS0_13select_configILj256ELj13ELNS0_17block_load_methodE3ELS4_3ELS4_3ELNS0_20block_scan_algorithmE0ELj4294967295EEENS1_25partition_config_selectorILNS1_17partition_subalgoE3EjNS0_10empty_typeEbEEZZNS1_14partition_implILS8_3ELb0ES6_jNS0_17counting_iteratorIjlEEPS9_SE_NS0_5tupleIJPjSE_EEENSF_IJSE_SE_EEES9_SG_JZNS1_25segmented_radix_sort_implINS0_14default_configELb0EPKdPdPKlPlN2at6native12_GLOBAL__N_18offset_tEEE10hipError_tPvRmT1_PNSt15iterator_traitsISY_E10value_typeET2_T3_PNSZ_IS14_E10value_typeET4_jRbjT5_S1A_jjP12ihipStream_tbEUljE_EEESV_SW_SX_S14_S18_S1A_T6_T7_T9_mT8_S1C_bDpT10_ENKUlT_T0_E_clISt17integral_constantIbLb1EES1O_IbLb0EEEEDaS1K_S1L_EUlS1K_E_NS1_11comp_targetILNS1_3genE10ELNS1_11target_archE1200ELNS1_3gpuE4ELNS1_3repE0EEENS1_30default_config_static_selectorELNS0_4arch9wavefront6targetE0EEEvSY_.uses_vcc, 0
	.set _ZN7rocprim17ROCPRIM_400000_NS6detail17trampoline_kernelINS0_13select_configILj256ELj13ELNS0_17block_load_methodE3ELS4_3ELS4_3ELNS0_20block_scan_algorithmE0ELj4294967295EEENS1_25partition_config_selectorILNS1_17partition_subalgoE3EjNS0_10empty_typeEbEEZZNS1_14partition_implILS8_3ELb0ES6_jNS0_17counting_iteratorIjlEEPS9_SE_NS0_5tupleIJPjSE_EEENSF_IJSE_SE_EEES9_SG_JZNS1_25segmented_radix_sort_implINS0_14default_configELb0EPKdPdPKlPlN2at6native12_GLOBAL__N_18offset_tEEE10hipError_tPvRmT1_PNSt15iterator_traitsISY_E10value_typeET2_T3_PNSZ_IS14_E10value_typeET4_jRbjT5_S1A_jjP12ihipStream_tbEUljE_EEESV_SW_SX_S14_S18_S1A_T6_T7_T9_mT8_S1C_bDpT10_ENKUlT_T0_E_clISt17integral_constantIbLb1EES1O_IbLb0EEEEDaS1K_S1L_EUlS1K_E_NS1_11comp_targetILNS1_3genE10ELNS1_11target_archE1200ELNS1_3gpuE4ELNS1_3repE0EEENS1_30default_config_static_selectorELNS0_4arch9wavefront6targetE0EEEvSY_.uses_flat_scratch, 0
	.set _ZN7rocprim17ROCPRIM_400000_NS6detail17trampoline_kernelINS0_13select_configILj256ELj13ELNS0_17block_load_methodE3ELS4_3ELS4_3ELNS0_20block_scan_algorithmE0ELj4294967295EEENS1_25partition_config_selectorILNS1_17partition_subalgoE3EjNS0_10empty_typeEbEEZZNS1_14partition_implILS8_3ELb0ES6_jNS0_17counting_iteratorIjlEEPS9_SE_NS0_5tupleIJPjSE_EEENSF_IJSE_SE_EEES9_SG_JZNS1_25segmented_radix_sort_implINS0_14default_configELb0EPKdPdPKlPlN2at6native12_GLOBAL__N_18offset_tEEE10hipError_tPvRmT1_PNSt15iterator_traitsISY_E10value_typeET2_T3_PNSZ_IS14_E10value_typeET4_jRbjT5_S1A_jjP12ihipStream_tbEUljE_EEESV_SW_SX_S14_S18_S1A_T6_T7_T9_mT8_S1C_bDpT10_ENKUlT_T0_E_clISt17integral_constantIbLb1EES1O_IbLb0EEEEDaS1K_S1L_EUlS1K_E_NS1_11comp_targetILNS1_3genE10ELNS1_11target_archE1200ELNS1_3gpuE4ELNS1_3repE0EEENS1_30default_config_static_selectorELNS0_4arch9wavefront6targetE0EEEvSY_.has_dyn_sized_stack, 0
	.set _ZN7rocprim17ROCPRIM_400000_NS6detail17trampoline_kernelINS0_13select_configILj256ELj13ELNS0_17block_load_methodE3ELS4_3ELS4_3ELNS0_20block_scan_algorithmE0ELj4294967295EEENS1_25partition_config_selectorILNS1_17partition_subalgoE3EjNS0_10empty_typeEbEEZZNS1_14partition_implILS8_3ELb0ES6_jNS0_17counting_iteratorIjlEEPS9_SE_NS0_5tupleIJPjSE_EEENSF_IJSE_SE_EEES9_SG_JZNS1_25segmented_radix_sort_implINS0_14default_configELb0EPKdPdPKlPlN2at6native12_GLOBAL__N_18offset_tEEE10hipError_tPvRmT1_PNSt15iterator_traitsISY_E10value_typeET2_T3_PNSZ_IS14_E10value_typeET4_jRbjT5_S1A_jjP12ihipStream_tbEUljE_EEESV_SW_SX_S14_S18_S1A_T6_T7_T9_mT8_S1C_bDpT10_ENKUlT_T0_E_clISt17integral_constantIbLb1EES1O_IbLb0EEEEDaS1K_S1L_EUlS1K_E_NS1_11comp_targetILNS1_3genE10ELNS1_11target_archE1200ELNS1_3gpuE4ELNS1_3repE0EEENS1_30default_config_static_selectorELNS0_4arch9wavefront6targetE0EEEvSY_.has_recursion, 0
	.set _ZN7rocprim17ROCPRIM_400000_NS6detail17trampoline_kernelINS0_13select_configILj256ELj13ELNS0_17block_load_methodE3ELS4_3ELS4_3ELNS0_20block_scan_algorithmE0ELj4294967295EEENS1_25partition_config_selectorILNS1_17partition_subalgoE3EjNS0_10empty_typeEbEEZZNS1_14partition_implILS8_3ELb0ES6_jNS0_17counting_iteratorIjlEEPS9_SE_NS0_5tupleIJPjSE_EEENSF_IJSE_SE_EEES9_SG_JZNS1_25segmented_radix_sort_implINS0_14default_configELb0EPKdPdPKlPlN2at6native12_GLOBAL__N_18offset_tEEE10hipError_tPvRmT1_PNSt15iterator_traitsISY_E10value_typeET2_T3_PNSZ_IS14_E10value_typeET4_jRbjT5_S1A_jjP12ihipStream_tbEUljE_EEESV_SW_SX_S14_S18_S1A_T6_T7_T9_mT8_S1C_bDpT10_ENKUlT_T0_E_clISt17integral_constantIbLb1EES1O_IbLb0EEEEDaS1K_S1L_EUlS1K_E_NS1_11comp_targetILNS1_3genE10ELNS1_11target_archE1200ELNS1_3gpuE4ELNS1_3repE0EEENS1_30default_config_static_selectorELNS0_4arch9wavefront6targetE0EEEvSY_.has_indirect_call, 0
	.section	.AMDGPU.csdata,"",@progbits
; Kernel info:
; codeLenInByte = 0
; TotalNumSgprs: 0
; NumVgprs: 0
; ScratchSize: 0
; MemoryBound: 0
; FloatMode: 240
; IeeeMode: 1
; LDSByteSize: 0 bytes/workgroup (compile time only)
; SGPRBlocks: 0
; VGPRBlocks: 0
; NumSGPRsForWavesPerEU: 1
; NumVGPRsForWavesPerEU: 1
; Occupancy: 16
; WaveLimiterHint : 0
; COMPUTE_PGM_RSRC2:SCRATCH_EN: 0
; COMPUTE_PGM_RSRC2:USER_SGPR: 6
; COMPUTE_PGM_RSRC2:TRAP_HANDLER: 0
; COMPUTE_PGM_RSRC2:TGID_X_EN: 1
; COMPUTE_PGM_RSRC2:TGID_Y_EN: 0
; COMPUTE_PGM_RSRC2:TGID_Z_EN: 0
; COMPUTE_PGM_RSRC2:TIDIG_COMP_CNT: 0
	.section	.text._ZN7rocprim17ROCPRIM_400000_NS6detail17trampoline_kernelINS0_13select_configILj256ELj13ELNS0_17block_load_methodE3ELS4_3ELS4_3ELNS0_20block_scan_algorithmE0ELj4294967295EEENS1_25partition_config_selectorILNS1_17partition_subalgoE3EjNS0_10empty_typeEbEEZZNS1_14partition_implILS8_3ELb0ES6_jNS0_17counting_iteratorIjlEEPS9_SE_NS0_5tupleIJPjSE_EEENSF_IJSE_SE_EEES9_SG_JZNS1_25segmented_radix_sort_implINS0_14default_configELb0EPKdPdPKlPlN2at6native12_GLOBAL__N_18offset_tEEE10hipError_tPvRmT1_PNSt15iterator_traitsISY_E10value_typeET2_T3_PNSZ_IS14_E10value_typeET4_jRbjT5_S1A_jjP12ihipStream_tbEUljE_EEESV_SW_SX_S14_S18_S1A_T6_T7_T9_mT8_S1C_bDpT10_ENKUlT_T0_E_clISt17integral_constantIbLb1EES1O_IbLb0EEEEDaS1K_S1L_EUlS1K_E_NS1_11comp_targetILNS1_3genE9ELNS1_11target_archE1100ELNS1_3gpuE3ELNS1_3repE0EEENS1_30default_config_static_selectorELNS0_4arch9wavefront6targetE0EEEvSY_,"axG",@progbits,_ZN7rocprim17ROCPRIM_400000_NS6detail17trampoline_kernelINS0_13select_configILj256ELj13ELNS0_17block_load_methodE3ELS4_3ELS4_3ELNS0_20block_scan_algorithmE0ELj4294967295EEENS1_25partition_config_selectorILNS1_17partition_subalgoE3EjNS0_10empty_typeEbEEZZNS1_14partition_implILS8_3ELb0ES6_jNS0_17counting_iteratorIjlEEPS9_SE_NS0_5tupleIJPjSE_EEENSF_IJSE_SE_EEES9_SG_JZNS1_25segmented_radix_sort_implINS0_14default_configELb0EPKdPdPKlPlN2at6native12_GLOBAL__N_18offset_tEEE10hipError_tPvRmT1_PNSt15iterator_traitsISY_E10value_typeET2_T3_PNSZ_IS14_E10value_typeET4_jRbjT5_S1A_jjP12ihipStream_tbEUljE_EEESV_SW_SX_S14_S18_S1A_T6_T7_T9_mT8_S1C_bDpT10_ENKUlT_T0_E_clISt17integral_constantIbLb1EES1O_IbLb0EEEEDaS1K_S1L_EUlS1K_E_NS1_11comp_targetILNS1_3genE9ELNS1_11target_archE1100ELNS1_3gpuE3ELNS1_3repE0EEENS1_30default_config_static_selectorELNS0_4arch9wavefront6targetE0EEEvSY_,comdat
	.globl	_ZN7rocprim17ROCPRIM_400000_NS6detail17trampoline_kernelINS0_13select_configILj256ELj13ELNS0_17block_load_methodE3ELS4_3ELS4_3ELNS0_20block_scan_algorithmE0ELj4294967295EEENS1_25partition_config_selectorILNS1_17partition_subalgoE3EjNS0_10empty_typeEbEEZZNS1_14partition_implILS8_3ELb0ES6_jNS0_17counting_iteratorIjlEEPS9_SE_NS0_5tupleIJPjSE_EEENSF_IJSE_SE_EEES9_SG_JZNS1_25segmented_radix_sort_implINS0_14default_configELb0EPKdPdPKlPlN2at6native12_GLOBAL__N_18offset_tEEE10hipError_tPvRmT1_PNSt15iterator_traitsISY_E10value_typeET2_T3_PNSZ_IS14_E10value_typeET4_jRbjT5_S1A_jjP12ihipStream_tbEUljE_EEESV_SW_SX_S14_S18_S1A_T6_T7_T9_mT8_S1C_bDpT10_ENKUlT_T0_E_clISt17integral_constantIbLb1EES1O_IbLb0EEEEDaS1K_S1L_EUlS1K_E_NS1_11comp_targetILNS1_3genE9ELNS1_11target_archE1100ELNS1_3gpuE3ELNS1_3repE0EEENS1_30default_config_static_selectorELNS0_4arch9wavefront6targetE0EEEvSY_ ; -- Begin function _ZN7rocprim17ROCPRIM_400000_NS6detail17trampoline_kernelINS0_13select_configILj256ELj13ELNS0_17block_load_methodE3ELS4_3ELS4_3ELNS0_20block_scan_algorithmE0ELj4294967295EEENS1_25partition_config_selectorILNS1_17partition_subalgoE3EjNS0_10empty_typeEbEEZZNS1_14partition_implILS8_3ELb0ES6_jNS0_17counting_iteratorIjlEEPS9_SE_NS0_5tupleIJPjSE_EEENSF_IJSE_SE_EEES9_SG_JZNS1_25segmented_radix_sort_implINS0_14default_configELb0EPKdPdPKlPlN2at6native12_GLOBAL__N_18offset_tEEE10hipError_tPvRmT1_PNSt15iterator_traitsISY_E10value_typeET2_T3_PNSZ_IS14_E10value_typeET4_jRbjT5_S1A_jjP12ihipStream_tbEUljE_EEESV_SW_SX_S14_S18_S1A_T6_T7_T9_mT8_S1C_bDpT10_ENKUlT_T0_E_clISt17integral_constantIbLb1EES1O_IbLb0EEEEDaS1K_S1L_EUlS1K_E_NS1_11comp_targetILNS1_3genE9ELNS1_11target_archE1100ELNS1_3gpuE3ELNS1_3repE0EEENS1_30default_config_static_selectorELNS0_4arch9wavefront6targetE0EEEvSY_
	.p2align	8
	.type	_ZN7rocprim17ROCPRIM_400000_NS6detail17trampoline_kernelINS0_13select_configILj256ELj13ELNS0_17block_load_methodE3ELS4_3ELS4_3ELNS0_20block_scan_algorithmE0ELj4294967295EEENS1_25partition_config_selectorILNS1_17partition_subalgoE3EjNS0_10empty_typeEbEEZZNS1_14partition_implILS8_3ELb0ES6_jNS0_17counting_iteratorIjlEEPS9_SE_NS0_5tupleIJPjSE_EEENSF_IJSE_SE_EEES9_SG_JZNS1_25segmented_radix_sort_implINS0_14default_configELb0EPKdPdPKlPlN2at6native12_GLOBAL__N_18offset_tEEE10hipError_tPvRmT1_PNSt15iterator_traitsISY_E10value_typeET2_T3_PNSZ_IS14_E10value_typeET4_jRbjT5_S1A_jjP12ihipStream_tbEUljE_EEESV_SW_SX_S14_S18_S1A_T6_T7_T9_mT8_S1C_bDpT10_ENKUlT_T0_E_clISt17integral_constantIbLb1EES1O_IbLb0EEEEDaS1K_S1L_EUlS1K_E_NS1_11comp_targetILNS1_3genE9ELNS1_11target_archE1100ELNS1_3gpuE3ELNS1_3repE0EEENS1_30default_config_static_selectorELNS0_4arch9wavefront6targetE0EEEvSY_,@function
_ZN7rocprim17ROCPRIM_400000_NS6detail17trampoline_kernelINS0_13select_configILj256ELj13ELNS0_17block_load_methodE3ELS4_3ELS4_3ELNS0_20block_scan_algorithmE0ELj4294967295EEENS1_25partition_config_selectorILNS1_17partition_subalgoE3EjNS0_10empty_typeEbEEZZNS1_14partition_implILS8_3ELb0ES6_jNS0_17counting_iteratorIjlEEPS9_SE_NS0_5tupleIJPjSE_EEENSF_IJSE_SE_EEES9_SG_JZNS1_25segmented_radix_sort_implINS0_14default_configELb0EPKdPdPKlPlN2at6native12_GLOBAL__N_18offset_tEEE10hipError_tPvRmT1_PNSt15iterator_traitsISY_E10value_typeET2_T3_PNSZ_IS14_E10value_typeET4_jRbjT5_S1A_jjP12ihipStream_tbEUljE_EEESV_SW_SX_S14_S18_S1A_T6_T7_T9_mT8_S1C_bDpT10_ENKUlT_T0_E_clISt17integral_constantIbLb1EES1O_IbLb0EEEEDaS1K_S1L_EUlS1K_E_NS1_11comp_targetILNS1_3genE9ELNS1_11target_archE1100ELNS1_3gpuE3ELNS1_3repE0EEENS1_30default_config_static_selectorELNS0_4arch9wavefront6targetE0EEEvSY_: ; @_ZN7rocprim17ROCPRIM_400000_NS6detail17trampoline_kernelINS0_13select_configILj256ELj13ELNS0_17block_load_methodE3ELS4_3ELS4_3ELNS0_20block_scan_algorithmE0ELj4294967295EEENS1_25partition_config_selectorILNS1_17partition_subalgoE3EjNS0_10empty_typeEbEEZZNS1_14partition_implILS8_3ELb0ES6_jNS0_17counting_iteratorIjlEEPS9_SE_NS0_5tupleIJPjSE_EEENSF_IJSE_SE_EEES9_SG_JZNS1_25segmented_radix_sort_implINS0_14default_configELb0EPKdPdPKlPlN2at6native12_GLOBAL__N_18offset_tEEE10hipError_tPvRmT1_PNSt15iterator_traitsISY_E10value_typeET2_T3_PNSZ_IS14_E10value_typeET4_jRbjT5_S1A_jjP12ihipStream_tbEUljE_EEESV_SW_SX_S14_S18_S1A_T6_T7_T9_mT8_S1C_bDpT10_ENKUlT_T0_E_clISt17integral_constantIbLb1EES1O_IbLb0EEEEDaS1K_S1L_EUlS1K_E_NS1_11comp_targetILNS1_3genE9ELNS1_11target_archE1100ELNS1_3gpuE3ELNS1_3repE0EEENS1_30default_config_static_selectorELNS0_4arch9wavefront6targetE0EEEvSY_
; %bb.0:
	.section	.rodata,"a",@progbits
	.p2align	6, 0x0
	.amdhsa_kernel _ZN7rocprim17ROCPRIM_400000_NS6detail17trampoline_kernelINS0_13select_configILj256ELj13ELNS0_17block_load_methodE3ELS4_3ELS4_3ELNS0_20block_scan_algorithmE0ELj4294967295EEENS1_25partition_config_selectorILNS1_17partition_subalgoE3EjNS0_10empty_typeEbEEZZNS1_14partition_implILS8_3ELb0ES6_jNS0_17counting_iteratorIjlEEPS9_SE_NS0_5tupleIJPjSE_EEENSF_IJSE_SE_EEES9_SG_JZNS1_25segmented_radix_sort_implINS0_14default_configELb0EPKdPdPKlPlN2at6native12_GLOBAL__N_18offset_tEEE10hipError_tPvRmT1_PNSt15iterator_traitsISY_E10value_typeET2_T3_PNSZ_IS14_E10value_typeET4_jRbjT5_S1A_jjP12ihipStream_tbEUljE_EEESV_SW_SX_S14_S18_S1A_T6_T7_T9_mT8_S1C_bDpT10_ENKUlT_T0_E_clISt17integral_constantIbLb1EES1O_IbLb0EEEEDaS1K_S1L_EUlS1K_E_NS1_11comp_targetILNS1_3genE9ELNS1_11target_archE1100ELNS1_3gpuE3ELNS1_3repE0EEENS1_30default_config_static_selectorELNS0_4arch9wavefront6targetE0EEEvSY_
		.amdhsa_group_segment_fixed_size 0
		.amdhsa_private_segment_fixed_size 0
		.amdhsa_kernarg_size 144
		.amdhsa_user_sgpr_count 6
		.amdhsa_user_sgpr_private_segment_buffer 1
		.amdhsa_user_sgpr_dispatch_ptr 0
		.amdhsa_user_sgpr_queue_ptr 0
		.amdhsa_user_sgpr_kernarg_segment_ptr 1
		.amdhsa_user_sgpr_dispatch_id 0
		.amdhsa_user_sgpr_flat_scratch_init 0
		.amdhsa_user_sgpr_private_segment_size 0
		.amdhsa_wavefront_size32 1
		.amdhsa_uses_dynamic_stack 0
		.amdhsa_system_sgpr_private_segment_wavefront_offset 0
		.amdhsa_system_sgpr_workgroup_id_x 1
		.amdhsa_system_sgpr_workgroup_id_y 0
		.amdhsa_system_sgpr_workgroup_id_z 0
		.amdhsa_system_sgpr_workgroup_info 0
		.amdhsa_system_vgpr_workitem_id 0
		.amdhsa_next_free_vgpr 1
		.amdhsa_next_free_sgpr 1
		.amdhsa_reserve_vcc 0
		.amdhsa_reserve_flat_scratch 0
		.amdhsa_float_round_mode_32 0
		.amdhsa_float_round_mode_16_64 0
		.amdhsa_float_denorm_mode_32 3
		.amdhsa_float_denorm_mode_16_64 3
		.amdhsa_dx10_clamp 1
		.amdhsa_ieee_mode 1
		.amdhsa_fp16_overflow 0
		.amdhsa_workgroup_processor_mode 1
		.amdhsa_memory_ordered 1
		.amdhsa_forward_progress 1
		.amdhsa_shared_vgpr_count 0
		.amdhsa_exception_fp_ieee_invalid_op 0
		.amdhsa_exception_fp_denorm_src 0
		.amdhsa_exception_fp_ieee_div_zero 0
		.amdhsa_exception_fp_ieee_overflow 0
		.amdhsa_exception_fp_ieee_underflow 0
		.amdhsa_exception_fp_ieee_inexact 0
		.amdhsa_exception_int_div_zero 0
	.end_amdhsa_kernel
	.section	.text._ZN7rocprim17ROCPRIM_400000_NS6detail17trampoline_kernelINS0_13select_configILj256ELj13ELNS0_17block_load_methodE3ELS4_3ELS4_3ELNS0_20block_scan_algorithmE0ELj4294967295EEENS1_25partition_config_selectorILNS1_17partition_subalgoE3EjNS0_10empty_typeEbEEZZNS1_14partition_implILS8_3ELb0ES6_jNS0_17counting_iteratorIjlEEPS9_SE_NS0_5tupleIJPjSE_EEENSF_IJSE_SE_EEES9_SG_JZNS1_25segmented_radix_sort_implINS0_14default_configELb0EPKdPdPKlPlN2at6native12_GLOBAL__N_18offset_tEEE10hipError_tPvRmT1_PNSt15iterator_traitsISY_E10value_typeET2_T3_PNSZ_IS14_E10value_typeET4_jRbjT5_S1A_jjP12ihipStream_tbEUljE_EEESV_SW_SX_S14_S18_S1A_T6_T7_T9_mT8_S1C_bDpT10_ENKUlT_T0_E_clISt17integral_constantIbLb1EES1O_IbLb0EEEEDaS1K_S1L_EUlS1K_E_NS1_11comp_targetILNS1_3genE9ELNS1_11target_archE1100ELNS1_3gpuE3ELNS1_3repE0EEENS1_30default_config_static_selectorELNS0_4arch9wavefront6targetE0EEEvSY_,"axG",@progbits,_ZN7rocprim17ROCPRIM_400000_NS6detail17trampoline_kernelINS0_13select_configILj256ELj13ELNS0_17block_load_methodE3ELS4_3ELS4_3ELNS0_20block_scan_algorithmE0ELj4294967295EEENS1_25partition_config_selectorILNS1_17partition_subalgoE3EjNS0_10empty_typeEbEEZZNS1_14partition_implILS8_3ELb0ES6_jNS0_17counting_iteratorIjlEEPS9_SE_NS0_5tupleIJPjSE_EEENSF_IJSE_SE_EEES9_SG_JZNS1_25segmented_radix_sort_implINS0_14default_configELb0EPKdPdPKlPlN2at6native12_GLOBAL__N_18offset_tEEE10hipError_tPvRmT1_PNSt15iterator_traitsISY_E10value_typeET2_T3_PNSZ_IS14_E10value_typeET4_jRbjT5_S1A_jjP12ihipStream_tbEUljE_EEESV_SW_SX_S14_S18_S1A_T6_T7_T9_mT8_S1C_bDpT10_ENKUlT_T0_E_clISt17integral_constantIbLb1EES1O_IbLb0EEEEDaS1K_S1L_EUlS1K_E_NS1_11comp_targetILNS1_3genE9ELNS1_11target_archE1100ELNS1_3gpuE3ELNS1_3repE0EEENS1_30default_config_static_selectorELNS0_4arch9wavefront6targetE0EEEvSY_,comdat
.Lfunc_end1203:
	.size	_ZN7rocprim17ROCPRIM_400000_NS6detail17trampoline_kernelINS0_13select_configILj256ELj13ELNS0_17block_load_methodE3ELS4_3ELS4_3ELNS0_20block_scan_algorithmE0ELj4294967295EEENS1_25partition_config_selectorILNS1_17partition_subalgoE3EjNS0_10empty_typeEbEEZZNS1_14partition_implILS8_3ELb0ES6_jNS0_17counting_iteratorIjlEEPS9_SE_NS0_5tupleIJPjSE_EEENSF_IJSE_SE_EEES9_SG_JZNS1_25segmented_radix_sort_implINS0_14default_configELb0EPKdPdPKlPlN2at6native12_GLOBAL__N_18offset_tEEE10hipError_tPvRmT1_PNSt15iterator_traitsISY_E10value_typeET2_T3_PNSZ_IS14_E10value_typeET4_jRbjT5_S1A_jjP12ihipStream_tbEUljE_EEESV_SW_SX_S14_S18_S1A_T6_T7_T9_mT8_S1C_bDpT10_ENKUlT_T0_E_clISt17integral_constantIbLb1EES1O_IbLb0EEEEDaS1K_S1L_EUlS1K_E_NS1_11comp_targetILNS1_3genE9ELNS1_11target_archE1100ELNS1_3gpuE3ELNS1_3repE0EEENS1_30default_config_static_selectorELNS0_4arch9wavefront6targetE0EEEvSY_, .Lfunc_end1203-_ZN7rocprim17ROCPRIM_400000_NS6detail17trampoline_kernelINS0_13select_configILj256ELj13ELNS0_17block_load_methodE3ELS4_3ELS4_3ELNS0_20block_scan_algorithmE0ELj4294967295EEENS1_25partition_config_selectorILNS1_17partition_subalgoE3EjNS0_10empty_typeEbEEZZNS1_14partition_implILS8_3ELb0ES6_jNS0_17counting_iteratorIjlEEPS9_SE_NS0_5tupleIJPjSE_EEENSF_IJSE_SE_EEES9_SG_JZNS1_25segmented_radix_sort_implINS0_14default_configELb0EPKdPdPKlPlN2at6native12_GLOBAL__N_18offset_tEEE10hipError_tPvRmT1_PNSt15iterator_traitsISY_E10value_typeET2_T3_PNSZ_IS14_E10value_typeET4_jRbjT5_S1A_jjP12ihipStream_tbEUljE_EEESV_SW_SX_S14_S18_S1A_T6_T7_T9_mT8_S1C_bDpT10_ENKUlT_T0_E_clISt17integral_constantIbLb1EES1O_IbLb0EEEEDaS1K_S1L_EUlS1K_E_NS1_11comp_targetILNS1_3genE9ELNS1_11target_archE1100ELNS1_3gpuE3ELNS1_3repE0EEENS1_30default_config_static_selectorELNS0_4arch9wavefront6targetE0EEEvSY_
                                        ; -- End function
	.set _ZN7rocprim17ROCPRIM_400000_NS6detail17trampoline_kernelINS0_13select_configILj256ELj13ELNS0_17block_load_methodE3ELS4_3ELS4_3ELNS0_20block_scan_algorithmE0ELj4294967295EEENS1_25partition_config_selectorILNS1_17partition_subalgoE3EjNS0_10empty_typeEbEEZZNS1_14partition_implILS8_3ELb0ES6_jNS0_17counting_iteratorIjlEEPS9_SE_NS0_5tupleIJPjSE_EEENSF_IJSE_SE_EEES9_SG_JZNS1_25segmented_radix_sort_implINS0_14default_configELb0EPKdPdPKlPlN2at6native12_GLOBAL__N_18offset_tEEE10hipError_tPvRmT1_PNSt15iterator_traitsISY_E10value_typeET2_T3_PNSZ_IS14_E10value_typeET4_jRbjT5_S1A_jjP12ihipStream_tbEUljE_EEESV_SW_SX_S14_S18_S1A_T6_T7_T9_mT8_S1C_bDpT10_ENKUlT_T0_E_clISt17integral_constantIbLb1EES1O_IbLb0EEEEDaS1K_S1L_EUlS1K_E_NS1_11comp_targetILNS1_3genE9ELNS1_11target_archE1100ELNS1_3gpuE3ELNS1_3repE0EEENS1_30default_config_static_selectorELNS0_4arch9wavefront6targetE0EEEvSY_.num_vgpr, 0
	.set _ZN7rocprim17ROCPRIM_400000_NS6detail17trampoline_kernelINS0_13select_configILj256ELj13ELNS0_17block_load_methodE3ELS4_3ELS4_3ELNS0_20block_scan_algorithmE0ELj4294967295EEENS1_25partition_config_selectorILNS1_17partition_subalgoE3EjNS0_10empty_typeEbEEZZNS1_14partition_implILS8_3ELb0ES6_jNS0_17counting_iteratorIjlEEPS9_SE_NS0_5tupleIJPjSE_EEENSF_IJSE_SE_EEES9_SG_JZNS1_25segmented_radix_sort_implINS0_14default_configELb0EPKdPdPKlPlN2at6native12_GLOBAL__N_18offset_tEEE10hipError_tPvRmT1_PNSt15iterator_traitsISY_E10value_typeET2_T3_PNSZ_IS14_E10value_typeET4_jRbjT5_S1A_jjP12ihipStream_tbEUljE_EEESV_SW_SX_S14_S18_S1A_T6_T7_T9_mT8_S1C_bDpT10_ENKUlT_T0_E_clISt17integral_constantIbLb1EES1O_IbLb0EEEEDaS1K_S1L_EUlS1K_E_NS1_11comp_targetILNS1_3genE9ELNS1_11target_archE1100ELNS1_3gpuE3ELNS1_3repE0EEENS1_30default_config_static_selectorELNS0_4arch9wavefront6targetE0EEEvSY_.num_agpr, 0
	.set _ZN7rocprim17ROCPRIM_400000_NS6detail17trampoline_kernelINS0_13select_configILj256ELj13ELNS0_17block_load_methodE3ELS4_3ELS4_3ELNS0_20block_scan_algorithmE0ELj4294967295EEENS1_25partition_config_selectorILNS1_17partition_subalgoE3EjNS0_10empty_typeEbEEZZNS1_14partition_implILS8_3ELb0ES6_jNS0_17counting_iteratorIjlEEPS9_SE_NS0_5tupleIJPjSE_EEENSF_IJSE_SE_EEES9_SG_JZNS1_25segmented_radix_sort_implINS0_14default_configELb0EPKdPdPKlPlN2at6native12_GLOBAL__N_18offset_tEEE10hipError_tPvRmT1_PNSt15iterator_traitsISY_E10value_typeET2_T3_PNSZ_IS14_E10value_typeET4_jRbjT5_S1A_jjP12ihipStream_tbEUljE_EEESV_SW_SX_S14_S18_S1A_T6_T7_T9_mT8_S1C_bDpT10_ENKUlT_T0_E_clISt17integral_constantIbLb1EES1O_IbLb0EEEEDaS1K_S1L_EUlS1K_E_NS1_11comp_targetILNS1_3genE9ELNS1_11target_archE1100ELNS1_3gpuE3ELNS1_3repE0EEENS1_30default_config_static_selectorELNS0_4arch9wavefront6targetE0EEEvSY_.numbered_sgpr, 0
	.set _ZN7rocprim17ROCPRIM_400000_NS6detail17trampoline_kernelINS0_13select_configILj256ELj13ELNS0_17block_load_methodE3ELS4_3ELS4_3ELNS0_20block_scan_algorithmE0ELj4294967295EEENS1_25partition_config_selectorILNS1_17partition_subalgoE3EjNS0_10empty_typeEbEEZZNS1_14partition_implILS8_3ELb0ES6_jNS0_17counting_iteratorIjlEEPS9_SE_NS0_5tupleIJPjSE_EEENSF_IJSE_SE_EEES9_SG_JZNS1_25segmented_radix_sort_implINS0_14default_configELb0EPKdPdPKlPlN2at6native12_GLOBAL__N_18offset_tEEE10hipError_tPvRmT1_PNSt15iterator_traitsISY_E10value_typeET2_T3_PNSZ_IS14_E10value_typeET4_jRbjT5_S1A_jjP12ihipStream_tbEUljE_EEESV_SW_SX_S14_S18_S1A_T6_T7_T9_mT8_S1C_bDpT10_ENKUlT_T0_E_clISt17integral_constantIbLb1EES1O_IbLb0EEEEDaS1K_S1L_EUlS1K_E_NS1_11comp_targetILNS1_3genE9ELNS1_11target_archE1100ELNS1_3gpuE3ELNS1_3repE0EEENS1_30default_config_static_selectorELNS0_4arch9wavefront6targetE0EEEvSY_.num_named_barrier, 0
	.set _ZN7rocprim17ROCPRIM_400000_NS6detail17trampoline_kernelINS0_13select_configILj256ELj13ELNS0_17block_load_methodE3ELS4_3ELS4_3ELNS0_20block_scan_algorithmE0ELj4294967295EEENS1_25partition_config_selectorILNS1_17partition_subalgoE3EjNS0_10empty_typeEbEEZZNS1_14partition_implILS8_3ELb0ES6_jNS0_17counting_iteratorIjlEEPS9_SE_NS0_5tupleIJPjSE_EEENSF_IJSE_SE_EEES9_SG_JZNS1_25segmented_radix_sort_implINS0_14default_configELb0EPKdPdPKlPlN2at6native12_GLOBAL__N_18offset_tEEE10hipError_tPvRmT1_PNSt15iterator_traitsISY_E10value_typeET2_T3_PNSZ_IS14_E10value_typeET4_jRbjT5_S1A_jjP12ihipStream_tbEUljE_EEESV_SW_SX_S14_S18_S1A_T6_T7_T9_mT8_S1C_bDpT10_ENKUlT_T0_E_clISt17integral_constantIbLb1EES1O_IbLb0EEEEDaS1K_S1L_EUlS1K_E_NS1_11comp_targetILNS1_3genE9ELNS1_11target_archE1100ELNS1_3gpuE3ELNS1_3repE0EEENS1_30default_config_static_selectorELNS0_4arch9wavefront6targetE0EEEvSY_.private_seg_size, 0
	.set _ZN7rocprim17ROCPRIM_400000_NS6detail17trampoline_kernelINS0_13select_configILj256ELj13ELNS0_17block_load_methodE3ELS4_3ELS4_3ELNS0_20block_scan_algorithmE0ELj4294967295EEENS1_25partition_config_selectorILNS1_17partition_subalgoE3EjNS0_10empty_typeEbEEZZNS1_14partition_implILS8_3ELb0ES6_jNS0_17counting_iteratorIjlEEPS9_SE_NS0_5tupleIJPjSE_EEENSF_IJSE_SE_EEES9_SG_JZNS1_25segmented_radix_sort_implINS0_14default_configELb0EPKdPdPKlPlN2at6native12_GLOBAL__N_18offset_tEEE10hipError_tPvRmT1_PNSt15iterator_traitsISY_E10value_typeET2_T3_PNSZ_IS14_E10value_typeET4_jRbjT5_S1A_jjP12ihipStream_tbEUljE_EEESV_SW_SX_S14_S18_S1A_T6_T7_T9_mT8_S1C_bDpT10_ENKUlT_T0_E_clISt17integral_constantIbLb1EES1O_IbLb0EEEEDaS1K_S1L_EUlS1K_E_NS1_11comp_targetILNS1_3genE9ELNS1_11target_archE1100ELNS1_3gpuE3ELNS1_3repE0EEENS1_30default_config_static_selectorELNS0_4arch9wavefront6targetE0EEEvSY_.uses_vcc, 0
	.set _ZN7rocprim17ROCPRIM_400000_NS6detail17trampoline_kernelINS0_13select_configILj256ELj13ELNS0_17block_load_methodE3ELS4_3ELS4_3ELNS0_20block_scan_algorithmE0ELj4294967295EEENS1_25partition_config_selectorILNS1_17partition_subalgoE3EjNS0_10empty_typeEbEEZZNS1_14partition_implILS8_3ELb0ES6_jNS0_17counting_iteratorIjlEEPS9_SE_NS0_5tupleIJPjSE_EEENSF_IJSE_SE_EEES9_SG_JZNS1_25segmented_radix_sort_implINS0_14default_configELb0EPKdPdPKlPlN2at6native12_GLOBAL__N_18offset_tEEE10hipError_tPvRmT1_PNSt15iterator_traitsISY_E10value_typeET2_T3_PNSZ_IS14_E10value_typeET4_jRbjT5_S1A_jjP12ihipStream_tbEUljE_EEESV_SW_SX_S14_S18_S1A_T6_T7_T9_mT8_S1C_bDpT10_ENKUlT_T0_E_clISt17integral_constantIbLb1EES1O_IbLb0EEEEDaS1K_S1L_EUlS1K_E_NS1_11comp_targetILNS1_3genE9ELNS1_11target_archE1100ELNS1_3gpuE3ELNS1_3repE0EEENS1_30default_config_static_selectorELNS0_4arch9wavefront6targetE0EEEvSY_.uses_flat_scratch, 0
	.set _ZN7rocprim17ROCPRIM_400000_NS6detail17trampoline_kernelINS0_13select_configILj256ELj13ELNS0_17block_load_methodE3ELS4_3ELS4_3ELNS0_20block_scan_algorithmE0ELj4294967295EEENS1_25partition_config_selectorILNS1_17partition_subalgoE3EjNS0_10empty_typeEbEEZZNS1_14partition_implILS8_3ELb0ES6_jNS0_17counting_iteratorIjlEEPS9_SE_NS0_5tupleIJPjSE_EEENSF_IJSE_SE_EEES9_SG_JZNS1_25segmented_radix_sort_implINS0_14default_configELb0EPKdPdPKlPlN2at6native12_GLOBAL__N_18offset_tEEE10hipError_tPvRmT1_PNSt15iterator_traitsISY_E10value_typeET2_T3_PNSZ_IS14_E10value_typeET4_jRbjT5_S1A_jjP12ihipStream_tbEUljE_EEESV_SW_SX_S14_S18_S1A_T6_T7_T9_mT8_S1C_bDpT10_ENKUlT_T0_E_clISt17integral_constantIbLb1EES1O_IbLb0EEEEDaS1K_S1L_EUlS1K_E_NS1_11comp_targetILNS1_3genE9ELNS1_11target_archE1100ELNS1_3gpuE3ELNS1_3repE0EEENS1_30default_config_static_selectorELNS0_4arch9wavefront6targetE0EEEvSY_.has_dyn_sized_stack, 0
	.set _ZN7rocprim17ROCPRIM_400000_NS6detail17trampoline_kernelINS0_13select_configILj256ELj13ELNS0_17block_load_methodE3ELS4_3ELS4_3ELNS0_20block_scan_algorithmE0ELj4294967295EEENS1_25partition_config_selectorILNS1_17partition_subalgoE3EjNS0_10empty_typeEbEEZZNS1_14partition_implILS8_3ELb0ES6_jNS0_17counting_iteratorIjlEEPS9_SE_NS0_5tupleIJPjSE_EEENSF_IJSE_SE_EEES9_SG_JZNS1_25segmented_radix_sort_implINS0_14default_configELb0EPKdPdPKlPlN2at6native12_GLOBAL__N_18offset_tEEE10hipError_tPvRmT1_PNSt15iterator_traitsISY_E10value_typeET2_T3_PNSZ_IS14_E10value_typeET4_jRbjT5_S1A_jjP12ihipStream_tbEUljE_EEESV_SW_SX_S14_S18_S1A_T6_T7_T9_mT8_S1C_bDpT10_ENKUlT_T0_E_clISt17integral_constantIbLb1EES1O_IbLb0EEEEDaS1K_S1L_EUlS1K_E_NS1_11comp_targetILNS1_3genE9ELNS1_11target_archE1100ELNS1_3gpuE3ELNS1_3repE0EEENS1_30default_config_static_selectorELNS0_4arch9wavefront6targetE0EEEvSY_.has_recursion, 0
	.set _ZN7rocprim17ROCPRIM_400000_NS6detail17trampoline_kernelINS0_13select_configILj256ELj13ELNS0_17block_load_methodE3ELS4_3ELS4_3ELNS0_20block_scan_algorithmE0ELj4294967295EEENS1_25partition_config_selectorILNS1_17partition_subalgoE3EjNS0_10empty_typeEbEEZZNS1_14partition_implILS8_3ELb0ES6_jNS0_17counting_iteratorIjlEEPS9_SE_NS0_5tupleIJPjSE_EEENSF_IJSE_SE_EEES9_SG_JZNS1_25segmented_radix_sort_implINS0_14default_configELb0EPKdPdPKlPlN2at6native12_GLOBAL__N_18offset_tEEE10hipError_tPvRmT1_PNSt15iterator_traitsISY_E10value_typeET2_T3_PNSZ_IS14_E10value_typeET4_jRbjT5_S1A_jjP12ihipStream_tbEUljE_EEESV_SW_SX_S14_S18_S1A_T6_T7_T9_mT8_S1C_bDpT10_ENKUlT_T0_E_clISt17integral_constantIbLb1EES1O_IbLb0EEEEDaS1K_S1L_EUlS1K_E_NS1_11comp_targetILNS1_3genE9ELNS1_11target_archE1100ELNS1_3gpuE3ELNS1_3repE0EEENS1_30default_config_static_selectorELNS0_4arch9wavefront6targetE0EEEvSY_.has_indirect_call, 0
	.section	.AMDGPU.csdata,"",@progbits
; Kernel info:
; codeLenInByte = 0
; TotalNumSgprs: 0
; NumVgprs: 0
; ScratchSize: 0
; MemoryBound: 0
; FloatMode: 240
; IeeeMode: 1
; LDSByteSize: 0 bytes/workgroup (compile time only)
; SGPRBlocks: 0
; VGPRBlocks: 0
; NumSGPRsForWavesPerEU: 1
; NumVGPRsForWavesPerEU: 1
; Occupancy: 16
; WaveLimiterHint : 0
; COMPUTE_PGM_RSRC2:SCRATCH_EN: 0
; COMPUTE_PGM_RSRC2:USER_SGPR: 6
; COMPUTE_PGM_RSRC2:TRAP_HANDLER: 0
; COMPUTE_PGM_RSRC2:TGID_X_EN: 1
; COMPUTE_PGM_RSRC2:TGID_Y_EN: 0
; COMPUTE_PGM_RSRC2:TGID_Z_EN: 0
; COMPUTE_PGM_RSRC2:TIDIG_COMP_CNT: 0
	.section	.text._ZN7rocprim17ROCPRIM_400000_NS6detail17trampoline_kernelINS0_13select_configILj256ELj13ELNS0_17block_load_methodE3ELS4_3ELS4_3ELNS0_20block_scan_algorithmE0ELj4294967295EEENS1_25partition_config_selectorILNS1_17partition_subalgoE3EjNS0_10empty_typeEbEEZZNS1_14partition_implILS8_3ELb0ES6_jNS0_17counting_iteratorIjlEEPS9_SE_NS0_5tupleIJPjSE_EEENSF_IJSE_SE_EEES9_SG_JZNS1_25segmented_radix_sort_implINS0_14default_configELb0EPKdPdPKlPlN2at6native12_GLOBAL__N_18offset_tEEE10hipError_tPvRmT1_PNSt15iterator_traitsISY_E10value_typeET2_T3_PNSZ_IS14_E10value_typeET4_jRbjT5_S1A_jjP12ihipStream_tbEUljE_EEESV_SW_SX_S14_S18_S1A_T6_T7_T9_mT8_S1C_bDpT10_ENKUlT_T0_E_clISt17integral_constantIbLb1EES1O_IbLb0EEEEDaS1K_S1L_EUlS1K_E_NS1_11comp_targetILNS1_3genE8ELNS1_11target_archE1030ELNS1_3gpuE2ELNS1_3repE0EEENS1_30default_config_static_selectorELNS0_4arch9wavefront6targetE0EEEvSY_,"axG",@progbits,_ZN7rocprim17ROCPRIM_400000_NS6detail17trampoline_kernelINS0_13select_configILj256ELj13ELNS0_17block_load_methodE3ELS4_3ELS4_3ELNS0_20block_scan_algorithmE0ELj4294967295EEENS1_25partition_config_selectorILNS1_17partition_subalgoE3EjNS0_10empty_typeEbEEZZNS1_14partition_implILS8_3ELb0ES6_jNS0_17counting_iteratorIjlEEPS9_SE_NS0_5tupleIJPjSE_EEENSF_IJSE_SE_EEES9_SG_JZNS1_25segmented_radix_sort_implINS0_14default_configELb0EPKdPdPKlPlN2at6native12_GLOBAL__N_18offset_tEEE10hipError_tPvRmT1_PNSt15iterator_traitsISY_E10value_typeET2_T3_PNSZ_IS14_E10value_typeET4_jRbjT5_S1A_jjP12ihipStream_tbEUljE_EEESV_SW_SX_S14_S18_S1A_T6_T7_T9_mT8_S1C_bDpT10_ENKUlT_T0_E_clISt17integral_constantIbLb1EES1O_IbLb0EEEEDaS1K_S1L_EUlS1K_E_NS1_11comp_targetILNS1_3genE8ELNS1_11target_archE1030ELNS1_3gpuE2ELNS1_3repE0EEENS1_30default_config_static_selectorELNS0_4arch9wavefront6targetE0EEEvSY_,comdat
	.globl	_ZN7rocprim17ROCPRIM_400000_NS6detail17trampoline_kernelINS0_13select_configILj256ELj13ELNS0_17block_load_methodE3ELS4_3ELS4_3ELNS0_20block_scan_algorithmE0ELj4294967295EEENS1_25partition_config_selectorILNS1_17partition_subalgoE3EjNS0_10empty_typeEbEEZZNS1_14partition_implILS8_3ELb0ES6_jNS0_17counting_iteratorIjlEEPS9_SE_NS0_5tupleIJPjSE_EEENSF_IJSE_SE_EEES9_SG_JZNS1_25segmented_radix_sort_implINS0_14default_configELb0EPKdPdPKlPlN2at6native12_GLOBAL__N_18offset_tEEE10hipError_tPvRmT1_PNSt15iterator_traitsISY_E10value_typeET2_T3_PNSZ_IS14_E10value_typeET4_jRbjT5_S1A_jjP12ihipStream_tbEUljE_EEESV_SW_SX_S14_S18_S1A_T6_T7_T9_mT8_S1C_bDpT10_ENKUlT_T0_E_clISt17integral_constantIbLb1EES1O_IbLb0EEEEDaS1K_S1L_EUlS1K_E_NS1_11comp_targetILNS1_3genE8ELNS1_11target_archE1030ELNS1_3gpuE2ELNS1_3repE0EEENS1_30default_config_static_selectorELNS0_4arch9wavefront6targetE0EEEvSY_ ; -- Begin function _ZN7rocprim17ROCPRIM_400000_NS6detail17trampoline_kernelINS0_13select_configILj256ELj13ELNS0_17block_load_methodE3ELS4_3ELS4_3ELNS0_20block_scan_algorithmE0ELj4294967295EEENS1_25partition_config_selectorILNS1_17partition_subalgoE3EjNS0_10empty_typeEbEEZZNS1_14partition_implILS8_3ELb0ES6_jNS0_17counting_iteratorIjlEEPS9_SE_NS0_5tupleIJPjSE_EEENSF_IJSE_SE_EEES9_SG_JZNS1_25segmented_radix_sort_implINS0_14default_configELb0EPKdPdPKlPlN2at6native12_GLOBAL__N_18offset_tEEE10hipError_tPvRmT1_PNSt15iterator_traitsISY_E10value_typeET2_T3_PNSZ_IS14_E10value_typeET4_jRbjT5_S1A_jjP12ihipStream_tbEUljE_EEESV_SW_SX_S14_S18_S1A_T6_T7_T9_mT8_S1C_bDpT10_ENKUlT_T0_E_clISt17integral_constantIbLb1EES1O_IbLb0EEEEDaS1K_S1L_EUlS1K_E_NS1_11comp_targetILNS1_3genE8ELNS1_11target_archE1030ELNS1_3gpuE2ELNS1_3repE0EEENS1_30default_config_static_selectorELNS0_4arch9wavefront6targetE0EEEvSY_
	.p2align	8
	.type	_ZN7rocprim17ROCPRIM_400000_NS6detail17trampoline_kernelINS0_13select_configILj256ELj13ELNS0_17block_load_methodE3ELS4_3ELS4_3ELNS0_20block_scan_algorithmE0ELj4294967295EEENS1_25partition_config_selectorILNS1_17partition_subalgoE3EjNS0_10empty_typeEbEEZZNS1_14partition_implILS8_3ELb0ES6_jNS0_17counting_iteratorIjlEEPS9_SE_NS0_5tupleIJPjSE_EEENSF_IJSE_SE_EEES9_SG_JZNS1_25segmented_radix_sort_implINS0_14default_configELb0EPKdPdPKlPlN2at6native12_GLOBAL__N_18offset_tEEE10hipError_tPvRmT1_PNSt15iterator_traitsISY_E10value_typeET2_T3_PNSZ_IS14_E10value_typeET4_jRbjT5_S1A_jjP12ihipStream_tbEUljE_EEESV_SW_SX_S14_S18_S1A_T6_T7_T9_mT8_S1C_bDpT10_ENKUlT_T0_E_clISt17integral_constantIbLb1EES1O_IbLb0EEEEDaS1K_S1L_EUlS1K_E_NS1_11comp_targetILNS1_3genE8ELNS1_11target_archE1030ELNS1_3gpuE2ELNS1_3repE0EEENS1_30default_config_static_selectorELNS0_4arch9wavefront6targetE0EEEvSY_,@function
_ZN7rocprim17ROCPRIM_400000_NS6detail17trampoline_kernelINS0_13select_configILj256ELj13ELNS0_17block_load_methodE3ELS4_3ELS4_3ELNS0_20block_scan_algorithmE0ELj4294967295EEENS1_25partition_config_selectorILNS1_17partition_subalgoE3EjNS0_10empty_typeEbEEZZNS1_14partition_implILS8_3ELb0ES6_jNS0_17counting_iteratorIjlEEPS9_SE_NS0_5tupleIJPjSE_EEENSF_IJSE_SE_EEES9_SG_JZNS1_25segmented_radix_sort_implINS0_14default_configELb0EPKdPdPKlPlN2at6native12_GLOBAL__N_18offset_tEEE10hipError_tPvRmT1_PNSt15iterator_traitsISY_E10value_typeET2_T3_PNSZ_IS14_E10value_typeET4_jRbjT5_S1A_jjP12ihipStream_tbEUljE_EEESV_SW_SX_S14_S18_S1A_T6_T7_T9_mT8_S1C_bDpT10_ENKUlT_T0_E_clISt17integral_constantIbLb1EES1O_IbLb0EEEEDaS1K_S1L_EUlS1K_E_NS1_11comp_targetILNS1_3genE8ELNS1_11target_archE1030ELNS1_3gpuE2ELNS1_3repE0EEENS1_30default_config_static_selectorELNS0_4arch9wavefront6targetE0EEEvSY_: ; @_ZN7rocprim17ROCPRIM_400000_NS6detail17trampoline_kernelINS0_13select_configILj256ELj13ELNS0_17block_load_methodE3ELS4_3ELS4_3ELNS0_20block_scan_algorithmE0ELj4294967295EEENS1_25partition_config_selectorILNS1_17partition_subalgoE3EjNS0_10empty_typeEbEEZZNS1_14partition_implILS8_3ELb0ES6_jNS0_17counting_iteratorIjlEEPS9_SE_NS0_5tupleIJPjSE_EEENSF_IJSE_SE_EEES9_SG_JZNS1_25segmented_radix_sort_implINS0_14default_configELb0EPKdPdPKlPlN2at6native12_GLOBAL__N_18offset_tEEE10hipError_tPvRmT1_PNSt15iterator_traitsISY_E10value_typeET2_T3_PNSZ_IS14_E10value_typeET4_jRbjT5_S1A_jjP12ihipStream_tbEUljE_EEESV_SW_SX_S14_S18_S1A_T6_T7_T9_mT8_S1C_bDpT10_ENKUlT_T0_E_clISt17integral_constantIbLb1EES1O_IbLb0EEEEDaS1K_S1L_EUlS1K_E_NS1_11comp_targetILNS1_3genE8ELNS1_11target_archE1030ELNS1_3gpuE2ELNS1_3repE0EEENS1_30default_config_static_selectorELNS0_4arch9wavefront6targetE0EEEvSY_
; %bb.0:
	s_endpgm
	.section	.rodata,"a",@progbits
	.p2align	6, 0x0
	.amdhsa_kernel _ZN7rocprim17ROCPRIM_400000_NS6detail17trampoline_kernelINS0_13select_configILj256ELj13ELNS0_17block_load_methodE3ELS4_3ELS4_3ELNS0_20block_scan_algorithmE0ELj4294967295EEENS1_25partition_config_selectorILNS1_17partition_subalgoE3EjNS0_10empty_typeEbEEZZNS1_14partition_implILS8_3ELb0ES6_jNS0_17counting_iteratorIjlEEPS9_SE_NS0_5tupleIJPjSE_EEENSF_IJSE_SE_EEES9_SG_JZNS1_25segmented_radix_sort_implINS0_14default_configELb0EPKdPdPKlPlN2at6native12_GLOBAL__N_18offset_tEEE10hipError_tPvRmT1_PNSt15iterator_traitsISY_E10value_typeET2_T3_PNSZ_IS14_E10value_typeET4_jRbjT5_S1A_jjP12ihipStream_tbEUljE_EEESV_SW_SX_S14_S18_S1A_T6_T7_T9_mT8_S1C_bDpT10_ENKUlT_T0_E_clISt17integral_constantIbLb1EES1O_IbLb0EEEEDaS1K_S1L_EUlS1K_E_NS1_11comp_targetILNS1_3genE8ELNS1_11target_archE1030ELNS1_3gpuE2ELNS1_3repE0EEENS1_30default_config_static_selectorELNS0_4arch9wavefront6targetE0EEEvSY_
		.amdhsa_group_segment_fixed_size 0
		.amdhsa_private_segment_fixed_size 0
		.amdhsa_kernarg_size 144
		.amdhsa_user_sgpr_count 6
		.amdhsa_user_sgpr_private_segment_buffer 1
		.amdhsa_user_sgpr_dispatch_ptr 0
		.amdhsa_user_sgpr_queue_ptr 0
		.amdhsa_user_sgpr_kernarg_segment_ptr 1
		.amdhsa_user_sgpr_dispatch_id 0
		.amdhsa_user_sgpr_flat_scratch_init 0
		.amdhsa_user_sgpr_private_segment_size 0
		.amdhsa_wavefront_size32 1
		.amdhsa_uses_dynamic_stack 0
		.amdhsa_system_sgpr_private_segment_wavefront_offset 0
		.amdhsa_system_sgpr_workgroup_id_x 1
		.amdhsa_system_sgpr_workgroup_id_y 0
		.amdhsa_system_sgpr_workgroup_id_z 0
		.amdhsa_system_sgpr_workgroup_info 0
		.amdhsa_system_vgpr_workitem_id 0
		.amdhsa_next_free_vgpr 1
		.amdhsa_next_free_sgpr 1
		.amdhsa_reserve_vcc 0
		.amdhsa_reserve_flat_scratch 0
		.amdhsa_float_round_mode_32 0
		.amdhsa_float_round_mode_16_64 0
		.amdhsa_float_denorm_mode_32 3
		.amdhsa_float_denorm_mode_16_64 3
		.amdhsa_dx10_clamp 1
		.amdhsa_ieee_mode 1
		.amdhsa_fp16_overflow 0
		.amdhsa_workgroup_processor_mode 1
		.amdhsa_memory_ordered 1
		.amdhsa_forward_progress 1
		.amdhsa_shared_vgpr_count 0
		.amdhsa_exception_fp_ieee_invalid_op 0
		.amdhsa_exception_fp_denorm_src 0
		.amdhsa_exception_fp_ieee_div_zero 0
		.amdhsa_exception_fp_ieee_overflow 0
		.amdhsa_exception_fp_ieee_underflow 0
		.amdhsa_exception_fp_ieee_inexact 0
		.amdhsa_exception_int_div_zero 0
	.end_amdhsa_kernel
	.section	.text._ZN7rocprim17ROCPRIM_400000_NS6detail17trampoline_kernelINS0_13select_configILj256ELj13ELNS0_17block_load_methodE3ELS4_3ELS4_3ELNS0_20block_scan_algorithmE0ELj4294967295EEENS1_25partition_config_selectorILNS1_17partition_subalgoE3EjNS0_10empty_typeEbEEZZNS1_14partition_implILS8_3ELb0ES6_jNS0_17counting_iteratorIjlEEPS9_SE_NS0_5tupleIJPjSE_EEENSF_IJSE_SE_EEES9_SG_JZNS1_25segmented_radix_sort_implINS0_14default_configELb0EPKdPdPKlPlN2at6native12_GLOBAL__N_18offset_tEEE10hipError_tPvRmT1_PNSt15iterator_traitsISY_E10value_typeET2_T3_PNSZ_IS14_E10value_typeET4_jRbjT5_S1A_jjP12ihipStream_tbEUljE_EEESV_SW_SX_S14_S18_S1A_T6_T7_T9_mT8_S1C_bDpT10_ENKUlT_T0_E_clISt17integral_constantIbLb1EES1O_IbLb0EEEEDaS1K_S1L_EUlS1K_E_NS1_11comp_targetILNS1_3genE8ELNS1_11target_archE1030ELNS1_3gpuE2ELNS1_3repE0EEENS1_30default_config_static_selectorELNS0_4arch9wavefront6targetE0EEEvSY_,"axG",@progbits,_ZN7rocprim17ROCPRIM_400000_NS6detail17trampoline_kernelINS0_13select_configILj256ELj13ELNS0_17block_load_methodE3ELS4_3ELS4_3ELNS0_20block_scan_algorithmE0ELj4294967295EEENS1_25partition_config_selectorILNS1_17partition_subalgoE3EjNS0_10empty_typeEbEEZZNS1_14partition_implILS8_3ELb0ES6_jNS0_17counting_iteratorIjlEEPS9_SE_NS0_5tupleIJPjSE_EEENSF_IJSE_SE_EEES9_SG_JZNS1_25segmented_radix_sort_implINS0_14default_configELb0EPKdPdPKlPlN2at6native12_GLOBAL__N_18offset_tEEE10hipError_tPvRmT1_PNSt15iterator_traitsISY_E10value_typeET2_T3_PNSZ_IS14_E10value_typeET4_jRbjT5_S1A_jjP12ihipStream_tbEUljE_EEESV_SW_SX_S14_S18_S1A_T6_T7_T9_mT8_S1C_bDpT10_ENKUlT_T0_E_clISt17integral_constantIbLb1EES1O_IbLb0EEEEDaS1K_S1L_EUlS1K_E_NS1_11comp_targetILNS1_3genE8ELNS1_11target_archE1030ELNS1_3gpuE2ELNS1_3repE0EEENS1_30default_config_static_selectorELNS0_4arch9wavefront6targetE0EEEvSY_,comdat
.Lfunc_end1204:
	.size	_ZN7rocprim17ROCPRIM_400000_NS6detail17trampoline_kernelINS0_13select_configILj256ELj13ELNS0_17block_load_methodE3ELS4_3ELS4_3ELNS0_20block_scan_algorithmE0ELj4294967295EEENS1_25partition_config_selectorILNS1_17partition_subalgoE3EjNS0_10empty_typeEbEEZZNS1_14partition_implILS8_3ELb0ES6_jNS0_17counting_iteratorIjlEEPS9_SE_NS0_5tupleIJPjSE_EEENSF_IJSE_SE_EEES9_SG_JZNS1_25segmented_radix_sort_implINS0_14default_configELb0EPKdPdPKlPlN2at6native12_GLOBAL__N_18offset_tEEE10hipError_tPvRmT1_PNSt15iterator_traitsISY_E10value_typeET2_T3_PNSZ_IS14_E10value_typeET4_jRbjT5_S1A_jjP12ihipStream_tbEUljE_EEESV_SW_SX_S14_S18_S1A_T6_T7_T9_mT8_S1C_bDpT10_ENKUlT_T0_E_clISt17integral_constantIbLb1EES1O_IbLb0EEEEDaS1K_S1L_EUlS1K_E_NS1_11comp_targetILNS1_3genE8ELNS1_11target_archE1030ELNS1_3gpuE2ELNS1_3repE0EEENS1_30default_config_static_selectorELNS0_4arch9wavefront6targetE0EEEvSY_, .Lfunc_end1204-_ZN7rocprim17ROCPRIM_400000_NS6detail17trampoline_kernelINS0_13select_configILj256ELj13ELNS0_17block_load_methodE3ELS4_3ELS4_3ELNS0_20block_scan_algorithmE0ELj4294967295EEENS1_25partition_config_selectorILNS1_17partition_subalgoE3EjNS0_10empty_typeEbEEZZNS1_14partition_implILS8_3ELb0ES6_jNS0_17counting_iteratorIjlEEPS9_SE_NS0_5tupleIJPjSE_EEENSF_IJSE_SE_EEES9_SG_JZNS1_25segmented_radix_sort_implINS0_14default_configELb0EPKdPdPKlPlN2at6native12_GLOBAL__N_18offset_tEEE10hipError_tPvRmT1_PNSt15iterator_traitsISY_E10value_typeET2_T3_PNSZ_IS14_E10value_typeET4_jRbjT5_S1A_jjP12ihipStream_tbEUljE_EEESV_SW_SX_S14_S18_S1A_T6_T7_T9_mT8_S1C_bDpT10_ENKUlT_T0_E_clISt17integral_constantIbLb1EES1O_IbLb0EEEEDaS1K_S1L_EUlS1K_E_NS1_11comp_targetILNS1_3genE8ELNS1_11target_archE1030ELNS1_3gpuE2ELNS1_3repE0EEENS1_30default_config_static_selectorELNS0_4arch9wavefront6targetE0EEEvSY_
                                        ; -- End function
	.set _ZN7rocprim17ROCPRIM_400000_NS6detail17trampoline_kernelINS0_13select_configILj256ELj13ELNS0_17block_load_methodE3ELS4_3ELS4_3ELNS0_20block_scan_algorithmE0ELj4294967295EEENS1_25partition_config_selectorILNS1_17partition_subalgoE3EjNS0_10empty_typeEbEEZZNS1_14partition_implILS8_3ELb0ES6_jNS0_17counting_iteratorIjlEEPS9_SE_NS0_5tupleIJPjSE_EEENSF_IJSE_SE_EEES9_SG_JZNS1_25segmented_radix_sort_implINS0_14default_configELb0EPKdPdPKlPlN2at6native12_GLOBAL__N_18offset_tEEE10hipError_tPvRmT1_PNSt15iterator_traitsISY_E10value_typeET2_T3_PNSZ_IS14_E10value_typeET4_jRbjT5_S1A_jjP12ihipStream_tbEUljE_EEESV_SW_SX_S14_S18_S1A_T6_T7_T9_mT8_S1C_bDpT10_ENKUlT_T0_E_clISt17integral_constantIbLb1EES1O_IbLb0EEEEDaS1K_S1L_EUlS1K_E_NS1_11comp_targetILNS1_3genE8ELNS1_11target_archE1030ELNS1_3gpuE2ELNS1_3repE0EEENS1_30default_config_static_selectorELNS0_4arch9wavefront6targetE0EEEvSY_.num_vgpr, 0
	.set _ZN7rocprim17ROCPRIM_400000_NS6detail17trampoline_kernelINS0_13select_configILj256ELj13ELNS0_17block_load_methodE3ELS4_3ELS4_3ELNS0_20block_scan_algorithmE0ELj4294967295EEENS1_25partition_config_selectorILNS1_17partition_subalgoE3EjNS0_10empty_typeEbEEZZNS1_14partition_implILS8_3ELb0ES6_jNS0_17counting_iteratorIjlEEPS9_SE_NS0_5tupleIJPjSE_EEENSF_IJSE_SE_EEES9_SG_JZNS1_25segmented_radix_sort_implINS0_14default_configELb0EPKdPdPKlPlN2at6native12_GLOBAL__N_18offset_tEEE10hipError_tPvRmT1_PNSt15iterator_traitsISY_E10value_typeET2_T3_PNSZ_IS14_E10value_typeET4_jRbjT5_S1A_jjP12ihipStream_tbEUljE_EEESV_SW_SX_S14_S18_S1A_T6_T7_T9_mT8_S1C_bDpT10_ENKUlT_T0_E_clISt17integral_constantIbLb1EES1O_IbLb0EEEEDaS1K_S1L_EUlS1K_E_NS1_11comp_targetILNS1_3genE8ELNS1_11target_archE1030ELNS1_3gpuE2ELNS1_3repE0EEENS1_30default_config_static_selectorELNS0_4arch9wavefront6targetE0EEEvSY_.num_agpr, 0
	.set _ZN7rocprim17ROCPRIM_400000_NS6detail17trampoline_kernelINS0_13select_configILj256ELj13ELNS0_17block_load_methodE3ELS4_3ELS4_3ELNS0_20block_scan_algorithmE0ELj4294967295EEENS1_25partition_config_selectorILNS1_17partition_subalgoE3EjNS0_10empty_typeEbEEZZNS1_14partition_implILS8_3ELb0ES6_jNS0_17counting_iteratorIjlEEPS9_SE_NS0_5tupleIJPjSE_EEENSF_IJSE_SE_EEES9_SG_JZNS1_25segmented_radix_sort_implINS0_14default_configELb0EPKdPdPKlPlN2at6native12_GLOBAL__N_18offset_tEEE10hipError_tPvRmT1_PNSt15iterator_traitsISY_E10value_typeET2_T3_PNSZ_IS14_E10value_typeET4_jRbjT5_S1A_jjP12ihipStream_tbEUljE_EEESV_SW_SX_S14_S18_S1A_T6_T7_T9_mT8_S1C_bDpT10_ENKUlT_T0_E_clISt17integral_constantIbLb1EES1O_IbLb0EEEEDaS1K_S1L_EUlS1K_E_NS1_11comp_targetILNS1_3genE8ELNS1_11target_archE1030ELNS1_3gpuE2ELNS1_3repE0EEENS1_30default_config_static_selectorELNS0_4arch9wavefront6targetE0EEEvSY_.numbered_sgpr, 0
	.set _ZN7rocprim17ROCPRIM_400000_NS6detail17trampoline_kernelINS0_13select_configILj256ELj13ELNS0_17block_load_methodE3ELS4_3ELS4_3ELNS0_20block_scan_algorithmE0ELj4294967295EEENS1_25partition_config_selectorILNS1_17partition_subalgoE3EjNS0_10empty_typeEbEEZZNS1_14partition_implILS8_3ELb0ES6_jNS0_17counting_iteratorIjlEEPS9_SE_NS0_5tupleIJPjSE_EEENSF_IJSE_SE_EEES9_SG_JZNS1_25segmented_radix_sort_implINS0_14default_configELb0EPKdPdPKlPlN2at6native12_GLOBAL__N_18offset_tEEE10hipError_tPvRmT1_PNSt15iterator_traitsISY_E10value_typeET2_T3_PNSZ_IS14_E10value_typeET4_jRbjT5_S1A_jjP12ihipStream_tbEUljE_EEESV_SW_SX_S14_S18_S1A_T6_T7_T9_mT8_S1C_bDpT10_ENKUlT_T0_E_clISt17integral_constantIbLb1EES1O_IbLb0EEEEDaS1K_S1L_EUlS1K_E_NS1_11comp_targetILNS1_3genE8ELNS1_11target_archE1030ELNS1_3gpuE2ELNS1_3repE0EEENS1_30default_config_static_selectorELNS0_4arch9wavefront6targetE0EEEvSY_.num_named_barrier, 0
	.set _ZN7rocprim17ROCPRIM_400000_NS6detail17trampoline_kernelINS0_13select_configILj256ELj13ELNS0_17block_load_methodE3ELS4_3ELS4_3ELNS0_20block_scan_algorithmE0ELj4294967295EEENS1_25partition_config_selectorILNS1_17partition_subalgoE3EjNS0_10empty_typeEbEEZZNS1_14partition_implILS8_3ELb0ES6_jNS0_17counting_iteratorIjlEEPS9_SE_NS0_5tupleIJPjSE_EEENSF_IJSE_SE_EEES9_SG_JZNS1_25segmented_radix_sort_implINS0_14default_configELb0EPKdPdPKlPlN2at6native12_GLOBAL__N_18offset_tEEE10hipError_tPvRmT1_PNSt15iterator_traitsISY_E10value_typeET2_T3_PNSZ_IS14_E10value_typeET4_jRbjT5_S1A_jjP12ihipStream_tbEUljE_EEESV_SW_SX_S14_S18_S1A_T6_T7_T9_mT8_S1C_bDpT10_ENKUlT_T0_E_clISt17integral_constantIbLb1EES1O_IbLb0EEEEDaS1K_S1L_EUlS1K_E_NS1_11comp_targetILNS1_3genE8ELNS1_11target_archE1030ELNS1_3gpuE2ELNS1_3repE0EEENS1_30default_config_static_selectorELNS0_4arch9wavefront6targetE0EEEvSY_.private_seg_size, 0
	.set _ZN7rocprim17ROCPRIM_400000_NS6detail17trampoline_kernelINS0_13select_configILj256ELj13ELNS0_17block_load_methodE3ELS4_3ELS4_3ELNS0_20block_scan_algorithmE0ELj4294967295EEENS1_25partition_config_selectorILNS1_17partition_subalgoE3EjNS0_10empty_typeEbEEZZNS1_14partition_implILS8_3ELb0ES6_jNS0_17counting_iteratorIjlEEPS9_SE_NS0_5tupleIJPjSE_EEENSF_IJSE_SE_EEES9_SG_JZNS1_25segmented_radix_sort_implINS0_14default_configELb0EPKdPdPKlPlN2at6native12_GLOBAL__N_18offset_tEEE10hipError_tPvRmT1_PNSt15iterator_traitsISY_E10value_typeET2_T3_PNSZ_IS14_E10value_typeET4_jRbjT5_S1A_jjP12ihipStream_tbEUljE_EEESV_SW_SX_S14_S18_S1A_T6_T7_T9_mT8_S1C_bDpT10_ENKUlT_T0_E_clISt17integral_constantIbLb1EES1O_IbLb0EEEEDaS1K_S1L_EUlS1K_E_NS1_11comp_targetILNS1_3genE8ELNS1_11target_archE1030ELNS1_3gpuE2ELNS1_3repE0EEENS1_30default_config_static_selectorELNS0_4arch9wavefront6targetE0EEEvSY_.uses_vcc, 0
	.set _ZN7rocprim17ROCPRIM_400000_NS6detail17trampoline_kernelINS0_13select_configILj256ELj13ELNS0_17block_load_methodE3ELS4_3ELS4_3ELNS0_20block_scan_algorithmE0ELj4294967295EEENS1_25partition_config_selectorILNS1_17partition_subalgoE3EjNS0_10empty_typeEbEEZZNS1_14partition_implILS8_3ELb0ES6_jNS0_17counting_iteratorIjlEEPS9_SE_NS0_5tupleIJPjSE_EEENSF_IJSE_SE_EEES9_SG_JZNS1_25segmented_radix_sort_implINS0_14default_configELb0EPKdPdPKlPlN2at6native12_GLOBAL__N_18offset_tEEE10hipError_tPvRmT1_PNSt15iterator_traitsISY_E10value_typeET2_T3_PNSZ_IS14_E10value_typeET4_jRbjT5_S1A_jjP12ihipStream_tbEUljE_EEESV_SW_SX_S14_S18_S1A_T6_T7_T9_mT8_S1C_bDpT10_ENKUlT_T0_E_clISt17integral_constantIbLb1EES1O_IbLb0EEEEDaS1K_S1L_EUlS1K_E_NS1_11comp_targetILNS1_3genE8ELNS1_11target_archE1030ELNS1_3gpuE2ELNS1_3repE0EEENS1_30default_config_static_selectorELNS0_4arch9wavefront6targetE0EEEvSY_.uses_flat_scratch, 0
	.set _ZN7rocprim17ROCPRIM_400000_NS6detail17trampoline_kernelINS0_13select_configILj256ELj13ELNS0_17block_load_methodE3ELS4_3ELS4_3ELNS0_20block_scan_algorithmE0ELj4294967295EEENS1_25partition_config_selectorILNS1_17partition_subalgoE3EjNS0_10empty_typeEbEEZZNS1_14partition_implILS8_3ELb0ES6_jNS0_17counting_iteratorIjlEEPS9_SE_NS0_5tupleIJPjSE_EEENSF_IJSE_SE_EEES9_SG_JZNS1_25segmented_radix_sort_implINS0_14default_configELb0EPKdPdPKlPlN2at6native12_GLOBAL__N_18offset_tEEE10hipError_tPvRmT1_PNSt15iterator_traitsISY_E10value_typeET2_T3_PNSZ_IS14_E10value_typeET4_jRbjT5_S1A_jjP12ihipStream_tbEUljE_EEESV_SW_SX_S14_S18_S1A_T6_T7_T9_mT8_S1C_bDpT10_ENKUlT_T0_E_clISt17integral_constantIbLb1EES1O_IbLb0EEEEDaS1K_S1L_EUlS1K_E_NS1_11comp_targetILNS1_3genE8ELNS1_11target_archE1030ELNS1_3gpuE2ELNS1_3repE0EEENS1_30default_config_static_selectorELNS0_4arch9wavefront6targetE0EEEvSY_.has_dyn_sized_stack, 0
	.set _ZN7rocprim17ROCPRIM_400000_NS6detail17trampoline_kernelINS0_13select_configILj256ELj13ELNS0_17block_load_methodE3ELS4_3ELS4_3ELNS0_20block_scan_algorithmE0ELj4294967295EEENS1_25partition_config_selectorILNS1_17partition_subalgoE3EjNS0_10empty_typeEbEEZZNS1_14partition_implILS8_3ELb0ES6_jNS0_17counting_iteratorIjlEEPS9_SE_NS0_5tupleIJPjSE_EEENSF_IJSE_SE_EEES9_SG_JZNS1_25segmented_radix_sort_implINS0_14default_configELb0EPKdPdPKlPlN2at6native12_GLOBAL__N_18offset_tEEE10hipError_tPvRmT1_PNSt15iterator_traitsISY_E10value_typeET2_T3_PNSZ_IS14_E10value_typeET4_jRbjT5_S1A_jjP12ihipStream_tbEUljE_EEESV_SW_SX_S14_S18_S1A_T6_T7_T9_mT8_S1C_bDpT10_ENKUlT_T0_E_clISt17integral_constantIbLb1EES1O_IbLb0EEEEDaS1K_S1L_EUlS1K_E_NS1_11comp_targetILNS1_3genE8ELNS1_11target_archE1030ELNS1_3gpuE2ELNS1_3repE0EEENS1_30default_config_static_selectorELNS0_4arch9wavefront6targetE0EEEvSY_.has_recursion, 0
	.set _ZN7rocprim17ROCPRIM_400000_NS6detail17trampoline_kernelINS0_13select_configILj256ELj13ELNS0_17block_load_methodE3ELS4_3ELS4_3ELNS0_20block_scan_algorithmE0ELj4294967295EEENS1_25partition_config_selectorILNS1_17partition_subalgoE3EjNS0_10empty_typeEbEEZZNS1_14partition_implILS8_3ELb0ES6_jNS0_17counting_iteratorIjlEEPS9_SE_NS0_5tupleIJPjSE_EEENSF_IJSE_SE_EEES9_SG_JZNS1_25segmented_radix_sort_implINS0_14default_configELb0EPKdPdPKlPlN2at6native12_GLOBAL__N_18offset_tEEE10hipError_tPvRmT1_PNSt15iterator_traitsISY_E10value_typeET2_T3_PNSZ_IS14_E10value_typeET4_jRbjT5_S1A_jjP12ihipStream_tbEUljE_EEESV_SW_SX_S14_S18_S1A_T6_T7_T9_mT8_S1C_bDpT10_ENKUlT_T0_E_clISt17integral_constantIbLb1EES1O_IbLb0EEEEDaS1K_S1L_EUlS1K_E_NS1_11comp_targetILNS1_3genE8ELNS1_11target_archE1030ELNS1_3gpuE2ELNS1_3repE0EEENS1_30default_config_static_selectorELNS0_4arch9wavefront6targetE0EEEvSY_.has_indirect_call, 0
	.section	.AMDGPU.csdata,"",@progbits
; Kernel info:
; codeLenInByte = 4
; TotalNumSgprs: 0
; NumVgprs: 0
; ScratchSize: 0
; MemoryBound: 0
; FloatMode: 240
; IeeeMode: 1
; LDSByteSize: 0 bytes/workgroup (compile time only)
; SGPRBlocks: 0
; VGPRBlocks: 0
; NumSGPRsForWavesPerEU: 1
; NumVGPRsForWavesPerEU: 1
; Occupancy: 16
; WaveLimiterHint : 0
; COMPUTE_PGM_RSRC2:SCRATCH_EN: 0
; COMPUTE_PGM_RSRC2:USER_SGPR: 6
; COMPUTE_PGM_RSRC2:TRAP_HANDLER: 0
; COMPUTE_PGM_RSRC2:TGID_X_EN: 1
; COMPUTE_PGM_RSRC2:TGID_Y_EN: 0
; COMPUTE_PGM_RSRC2:TGID_Z_EN: 0
; COMPUTE_PGM_RSRC2:TIDIG_COMP_CNT: 0
	.section	.text._ZN7rocprim17ROCPRIM_400000_NS6detail17trampoline_kernelINS0_13select_configILj256ELj13ELNS0_17block_load_methodE3ELS4_3ELS4_3ELNS0_20block_scan_algorithmE0ELj4294967295EEENS1_25partition_config_selectorILNS1_17partition_subalgoE3EjNS0_10empty_typeEbEEZZNS1_14partition_implILS8_3ELb0ES6_jNS0_17counting_iteratorIjlEEPS9_SE_NS0_5tupleIJPjSE_EEENSF_IJSE_SE_EEES9_SG_JZNS1_25segmented_radix_sort_implINS0_14default_configELb0EPKdPdPKlPlN2at6native12_GLOBAL__N_18offset_tEEE10hipError_tPvRmT1_PNSt15iterator_traitsISY_E10value_typeET2_T3_PNSZ_IS14_E10value_typeET4_jRbjT5_S1A_jjP12ihipStream_tbEUljE_EEESV_SW_SX_S14_S18_S1A_T6_T7_T9_mT8_S1C_bDpT10_ENKUlT_T0_E_clISt17integral_constantIbLb0EES1O_IbLb1EEEEDaS1K_S1L_EUlS1K_E_NS1_11comp_targetILNS1_3genE0ELNS1_11target_archE4294967295ELNS1_3gpuE0ELNS1_3repE0EEENS1_30default_config_static_selectorELNS0_4arch9wavefront6targetE0EEEvSY_,"axG",@progbits,_ZN7rocprim17ROCPRIM_400000_NS6detail17trampoline_kernelINS0_13select_configILj256ELj13ELNS0_17block_load_methodE3ELS4_3ELS4_3ELNS0_20block_scan_algorithmE0ELj4294967295EEENS1_25partition_config_selectorILNS1_17partition_subalgoE3EjNS0_10empty_typeEbEEZZNS1_14partition_implILS8_3ELb0ES6_jNS0_17counting_iteratorIjlEEPS9_SE_NS0_5tupleIJPjSE_EEENSF_IJSE_SE_EEES9_SG_JZNS1_25segmented_radix_sort_implINS0_14default_configELb0EPKdPdPKlPlN2at6native12_GLOBAL__N_18offset_tEEE10hipError_tPvRmT1_PNSt15iterator_traitsISY_E10value_typeET2_T3_PNSZ_IS14_E10value_typeET4_jRbjT5_S1A_jjP12ihipStream_tbEUljE_EEESV_SW_SX_S14_S18_S1A_T6_T7_T9_mT8_S1C_bDpT10_ENKUlT_T0_E_clISt17integral_constantIbLb0EES1O_IbLb1EEEEDaS1K_S1L_EUlS1K_E_NS1_11comp_targetILNS1_3genE0ELNS1_11target_archE4294967295ELNS1_3gpuE0ELNS1_3repE0EEENS1_30default_config_static_selectorELNS0_4arch9wavefront6targetE0EEEvSY_,comdat
	.globl	_ZN7rocprim17ROCPRIM_400000_NS6detail17trampoline_kernelINS0_13select_configILj256ELj13ELNS0_17block_load_methodE3ELS4_3ELS4_3ELNS0_20block_scan_algorithmE0ELj4294967295EEENS1_25partition_config_selectorILNS1_17partition_subalgoE3EjNS0_10empty_typeEbEEZZNS1_14partition_implILS8_3ELb0ES6_jNS0_17counting_iteratorIjlEEPS9_SE_NS0_5tupleIJPjSE_EEENSF_IJSE_SE_EEES9_SG_JZNS1_25segmented_radix_sort_implINS0_14default_configELb0EPKdPdPKlPlN2at6native12_GLOBAL__N_18offset_tEEE10hipError_tPvRmT1_PNSt15iterator_traitsISY_E10value_typeET2_T3_PNSZ_IS14_E10value_typeET4_jRbjT5_S1A_jjP12ihipStream_tbEUljE_EEESV_SW_SX_S14_S18_S1A_T6_T7_T9_mT8_S1C_bDpT10_ENKUlT_T0_E_clISt17integral_constantIbLb0EES1O_IbLb1EEEEDaS1K_S1L_EUlS1K_E_NS1_11comp_targetILNS1_3genE0ELNS1_11target_archE4294967295ELNS1_3gpuE0ELNS1_3repE0EEENS1_30default_config_static_selectorELNS0_4arch9wavefront6targetE0EEEvSY_ ; -- Begin function _ZN7rocprim17ROCPRIM_400000_NS6detail17trampoline_kernelINS0_13select_configILj256ELj13ELNS0_17block_load_methodE3ELS4_3ELS4_3ELNS0_20block_scan_algorithmE0ELj4294967295EEENS1_25partition_config_selectorILNS1_17partition_subalgoE3EjNS0_10empty_typeEbEEZZNS1_14partition_implILS8_3ELb0ES6_jNS0_17counting_iteratorIjlEEPS9_SE_NS0_5tupleIJPjSE_EEENSF_IJSE_SE_EEES9_SG_JZNS1_25segmented_radix_sort_implINS0_14default_configELb0EPKdPdPKlPlN2at6native12_GLOBAL__N_18offset_tEEE10hipError_tPvRmT1_PNSt15iterator_traitsISY_E10value_typeET2_T3_PNSZ_IS14_E10value_typeET4_jRbjT5_S1A_jjP12ihipStream_tbEUljE_EEESV_SW_SX_S14_S18_S1A_T6_T7_T9_mT8_S1C_bDpT10_ENKUlT_T0_E_clISt17integral_constantIbLb0EES1O_IbLb1EEEEDaS1K_S1L_EUlS1K_E_NS1_11comp_targetILNS1_3genE0ELNS1_11target_archE4294967295ELNS1_3gpuE0ELNS1_3repE0EEENS1_30default_config_static_selectorELNS0_4arch9wavefront6targetE0EEEvSY_
	.p2align	8
	.type	_ZN7rocprim17ROCPRIM_400000_NS6detail17trampoline_kernelINS0_13select_configILj256ELj13ELNS0_17block_load_methodE3ELS4_3ELS4_3ELNS0_20block_scan_algorithmE0ELj4294967295EEENS1_25partition_config_selectorILNS1_17partition_subalgoE3EjNS0_10empty_typeEbEEZZNS1_14partition_implILS8_3ELb0ES6_jNS0_17counting_iteratorIjlEEPS9_SE_NS0_5tupleIJPjSE_EEENSF_IJSE_SE_EEES9_SG_JZNS1_25segmented_radix_sort_implINS0_14default_configELb0EPKdPdPKlPlN2at6native12_GLOBAL__N_18offset_tEEE10hipError_tPvRmT1_PNSt15iterator_traitsISY_E10value_typeET2_T3_PNSZ_IS14_E10value_typeET4_jRbjT5_S1A_jjP12ihipStream_tbEUljE_EEESV_SW_SX_S14_S18_S1A_T6_T7_T9_mT8_S1C_bDpT10_ENKUlT_T0_E_clISt17integral_constantIbLb0EES1O_IbLb1EEEEDaS1K_S1L_EUlS1K_E_NS1_11comp_targetILNS1_3genE0ELNS1_11target_archE4294967295ELNS1_3gpuE0ELNS1_3repE0EEENS1_30default_config_static_selectorELNS0_4arch9wavefront6targetE0EEEvSY_,@function
_ZN7rocprim17ROCPRIM_400000_NS6detail17trampoline_kernelINS0_13select_configILj256ELj13ELNS0_17block_load_methodE3ELS4_3ELS4_3ELNS0_20block_scan_algorithmE0ELj4294967295EEENS1_25partition_config_selectorILNS1_17partition_subalgoE3EjNS0_10empty_typeEbEEZZNS1_14partition_implILS8_3ELb0ES6_jNS0_17counting_iteratorIjlEEPS9_SE_NS0_5tupleIJPjSE_EEENSF_IJSE_SE_EEES9_SG_JZNS1_25segmented_radix_sort_implINS0_14default_configELb0EPKdPdPKlPlN2at6native12_GLOBAL__N_18offset_tEEE10hipError_tPvRmT1_PNSt15iterator_traitsISY_E10value_typeET2_T3_PNSZ_IS14_E10value_typeET4_jRbjT5_S1A_jjP12ihipStream_tbEUljE_EEESV_SW_SX_S14_S18_S1A_T6_T7_T9_mT8_S1C_bDpT10_ENKUlT_T0_E_clISt17integral_constantIbLb0EES1O_IbLb1EEEEDaS1K_S1L_EUlS1K_E_NS1_11comp_targetILNS1_3genE0ELNS1_11target_archE4294967295ELNS1_3gpuE0ELNS1_3repE0EEENS1_30default_config_static_selectorELNS0_4arch9wavefront6targetE0EEEvSY_: ; @_ZN7rocprim17ROCPRIM_400000_NS6detail17trampoline_kernelINS0_13select_configILj256ELj13ELNS0_17block_load_methodE3ELS4_3ELS4_3ELNS0_20block_scan_algorithmE0ELj4294967295EEENS1_25partition_config_selectorILNS1_17partition_subalgoE3EjNS0_10empty_typeEbEEZZNS1_14partition_implILS8_3ELb0ES6_jNS0_17counting_iteratorIjlEEPS9_SE_NS0_5tupleIJPjSE_EEENSF_IJSE_SE_EEES9_SG_JZNS1_25segmented_radix_sort_implINS0_14default_configELb0EPKdPdPKlPlN2at6native12_GLOBAL__N_18offset_tEEE10hipError_tPvRmT1_PNSt15iterator_traitsISY_E10value_typeET2_T3_PNSZ_IS14_E10value_typeET4_jRbjT5_S1A_jjP12ihipStream_tbEUljE_EEESV_SW_SX_S14_S18_S1A_T6_T7_T9_mT8_S1C_bDpT10_ENKUlT_T0_E_clISt17integral_constantIbLb0EES1O_IbLb1EEEEDaS1K_S1L_EUlS1K_E_NS1_11comp_targetILNS1_3genE0ELNS1_11target_archE4294967295ELNS1_3gpuE0ELNS1_3repE0EEENS1_30default_config_static_selectorELNS0_4arch9wavefront6targetE0EEEvSY_
; %bb.0:
	.section	.rodata,"a",@progbits
	.p2align	6, 0x0
	.amdhsa_kernel _ZN7rocprim17ROCPRIM_400000_NS6detail17trampoline_kernelINS0_13select_configILj256ELj13ELNS0_17block_load_methodE3ELS4_3ELS4_3ELNS0_20block_scan_algorithmE0ELj4294967295EEENS1_25partition_config_selectorILNS1_17partition_subalgoE3EjNS0_10empty_typeEbEEZZNS1_14partition_implILS8_3ELb0ES6_jNS0_17counting_iteratorIjlEEPS9_SE_NS0_5tupleIJPjSE_EEENSF_IJSE_SE_EEES9_SG_JZNS1_25segmented_radix_sort_implINS0_14default_configELb0EPKdPdPKlPlN2at6native12_GLOBAL__N_18offset_tEEE10hipError_tPvRmT1_PNSt15iterator_traitsISY_E10value_typeET2_T3_PNSZ_IS14_E10value_typeET4_jRbjT5_S1A_jjP12ihipStream_tbEUljE_EEESV_SW_SX_S14_S18_S1A_T6_T7_T9_mT8_S1C_bDpT10_ENKUlT_T0_E_clISt17integral_constantIbLb0EES1O_IbLb1EEEEDaS1K_S1L_EUlS1K_E_NS1_11comp_targetILNS1_3genE0ELNS1_11target_archE4294967295ELNS1_3gpuE0ELNS1_3repE0EEENS1_30default_config_static_selectorELNS0_4arch9wavefront6targetE0EEEvSY_
		.amdhsa_group_segment_fixed_size 0
		.amdhsa_private_segment_fixed_size 0
		.amdhsa_kernarg_size 152
		.amdhsa_user_sgpr_count 6
		.amdhsa_user_sgpr_private_segment_buffer 1
		.amdhsa_user_sgpr_dispatch_ptr 0
		.amdhsa_user_sgpr_queue_ptr 0
		.amdhsa_user_sgpr_kernarg_segment_ptr 1
		.amdhsa_user_sgpr_dispatch_id 0
		.amdhsa_user_sgpr_flat_scratch_init 0
		.amdhsa_user_sgpr_private_segment_size 0
		.amdhsa_wavefront_size32 1
		.amdhsa_uses_dynamic_stack 0
		.amdhsa_system_sgpr_private_segment_wavefront_offset 0
		.amdhsa_system_sgpr_workgroup_id_x 1
		.amdhsa_system_sgpr_workgroup_id_y 0
		.amdhsa_system_sgpr_workgroup_id_z 0
		.amdhsa_system_sgpr_workgroup_info 0
		.amdhsa_system_vgpr_workitem_id 0
		.amdhsa_next_free_vgpr 1
		.amdhsa_next_free_sgpr 1
		.amdhsa_reserve_vcc 0
		.amdhsa_reserve_flat_scratch 0
		.amdhsa_float_round_mode_32 0
		.amdhsa_float_round_mode_16_64 0
		.amdhsa_float_denorm_mode_32 3
		.amdhsa_float_denorm_mode_16_64 3
		.amdhsa_dx10_clamp 1
		.amdhsa_ieee_mode 1
		.amdhsa_fp16_overflow 0
		.amdhsa_workgroup_processor_mode 1
		.amdhsa_memory_ordered 1
		.amdhsa_forward_progress 1
		.amdhsa_shared_vgpr_count 0
		.amdhsa_exception_fp_ieee_invalid_op 0
		.amdhsa_exception_fp_denorm_src 0
		.amdhsa_exception_fp_ieee_div_zero 0
		.amdhsa_exception_fp_ieee_overflow 0
		.amdhsa_exception_fp_ieee_underflow 0
		.amdhsa_exception_fp_ieee_inexact 0
		.amdhsa_exception_int_div_zero 0
	.end_amdhsa_kernel
	.section	.text._ZN7rocprim17ROCPRIM_400000_NS6detail17trampoline_kernelINS0_13select_configILj256ELj13ELNS0_17block_load_methodE3ELS4_3ELS4_3ELNS0_20block_scan_algorithmE0ELj4294967295EEENS1_25partition_config_selectorILNS1_17partition_subalgoE3EjNS0_10empty_typeEbEEZZNS1_14partition_implILS8_3ELb0ES6_jNS0_17counting_iteratorIjlEEPS9_SE_NS0_5tupleIJPjSE_EEENSF_IJSE_SE_EEES9_SG_JZNS1_25segmented_radix_sort_implINS0_14default_configELb0EPKdPdPKlPlN2at6native12_GLOBAL__N_18offset_tEEE10hipError_tPvRmT1_PNSt15iterator_traitsISY_E10value_typeET2_T3_PNSZ_IS14_E10value_typeET4_jRbjT5_S1A_jjP12ihipStream_tbEUljE_EEESV_SW_SX_S14_S18_S1A_T6_T7_T9_mT8_S1C_bDpT10_ENKUlT_T0_E_clISt17integral_constantIbLb0EES1O_IbLb1EEEEDaS1K_S1L_EUlS1K_E_NS1_11comp_targetILNS1_3genE0ELNS1_11target_archE4294967295ELNS1_3gpuE0ELNS1_3repE0EEENS1_30default_config_static_selectorELNS0_4arch9wavefront6targetE0EEEvSY_,"axG",@progbits,_ZN7rocprim17ROCPRIM_400000_NS6detail17trampoline_kernelINS0_13select_configILj256ELj13ELNS0_17block_load_methodE3ELS4_3ELS4_3ELNS0_20block_scan_algorithmE0ELj4294967295EEENS1_25partition_config_selectorILNS1_17partition_subalgoE3EjNS0_10empty_typeEbEEZZNS1_14partition_implILS8_3ELb0ES6_jNS0_17counting_iteratorIjlEEPS9_SE_NS0_5tupleIJPjSE_EEENSF_IJSE_SE_EEES9_SG_JZNS1_25segmented_radix_sort_implINS0_14default_configELb0EPKdPdPKlPlN2at6native12_GLOBAL__N_18offset_tEEE10hipError_tPvRmT1_PNSt15iterator_traitsISY_E10value_typeET2_T3_PNSZ_IS14_E10value_typeET4_jRbjT5_S1A_jjP12ihipStream_tbEUljE_EEESV_SW_SX_S14_S18_S1A_T6_T7_T9_mT8_S1C_bDpT10_ENKUlT_T0_E_clISt17integral_constantIbLb0EES1O_IbLb1EEEEDaS1K_S1L_EUlS1K_E_NS1_11comp_targetILNS1_3genE0ELNS1_11target_archE4294967295ELNS1_3gpuE0ELNS1_3repE0EEENS1_30default_config_static_selectorELNS0_4arch9wavefront6targetE0EEEvSY_,comdat
.Lfunc_end1205:
	.size	_ZN7rocprim17ROCPRIM_400000_NS6detail17trampoline_kernelINS0_13select_configILj256ELj13ELNS0_17block_load_methodE3ELS4_3ELS4_3ELNS0_20block_scan_algorithmE0ELj4294967295EEENS1_25partition_config_selectorILNS1_17partition_subalgoE3EjNS0_10empty_typeEbEEZZNS1_14partition_implILS8_3ELb0ES6_jNS0_17counting_iteratorIjlEEPS9_SE_NS0_5tupleIJPjSE_EEENSF_IJSE_SE_EEES9_SG_JZNS1_25segmented_radix_sort_implINS0_14default_configELb0EPKdPdPKlPlN2at6native12_GLOBAL__N_18offset_tEEE10hipError_tPvRmT1_PNSt15iterator_traitsISY_E10value_typeET2_T3_PNSZ_IS14_E10value_typeET4_jRbjT5_S1A_jjP12ihipStream_tbEUljE_EEESV_SW_SX_S14_S18_S1A_T6_T7_T9_mT8_S1C_bDpT10_ENKUlT_T0_E_clISt17integral_constantIbLb0EES1O_IbLb1EEEEDaS1K_S1L_EUlS1K_E_NS1_11comp_targetILNS1_3genE0ELNS1_11target_archE4294967295ELNS1_3gpuE0ELNS1_3repE0EEENS1_30default_config_static_selectorELNS0_4arch9wavefront6targetE0EEEvSY_, .Lfunc_end1205-_ZN7rocprim17ROCPRIM_400000_NS6detail17trampoline_kernelINS0_13select_configILj256ELj13ELNS0_17block_load_methodE3ELS4_3ELS4_3ELNS0_20block_scan_algorithmE0ELj4294967295EEENS1_25partition_config_selectorILNS1_17partition_subalgoE3EjNS0_10empty_typeEbEEZZNS1_14partition_implILS8_3ELb0ES6_jNS0_17counting_iteratorIjlEEPS9_SE_NS0_5tupleIJPjSE_EEENSF_IJSE_SE_EEES9_SG_JZNS1_25segmented_radix_sort_implINS0_14default_configELb0EPKdPdPKlPlN2at6native12_GLOBAL__N_18offset_tEEE10hipError_tPvRmT1_PNSt15iterator_traitsISY_E10value_typeET2_T3_PNSZ_IS14_E10value_typeET4_jRbjT5_S1A_jjP12ihipStream_tbEUljE_EEESV_SW_SX_S14_S18_S1A_T6_T7_T9_mT8_S1C_bDpT10_ENKUlT_T0_E_clISt17integral_constantIbLb0EES1O_IbLb1EEEEDaS1K_S1L_EUlS1K_E_NS1_11comp_targetILNS1_3genE0ELNS1_11target_archE4294967295ELNS1_3gpuE0ELNS1_3repE0EEENS1_30default_config_static_selectorELNS0_4arch9wavefront6targetE0EEEvSY_
                                        ; -- End function
	.set _ZN7rocprim17ROCPRIM_400000_NS6detail17trampoline_kernelINS0_13select_configILj256ELj13ELNS0_17block_load_methodE3ELS4_3ELS4_3ELNS0_20block_scan_algorithmE0ELj4294967295EEENS1_25partition_config_selectorILNS1_17partition_subalgoE3EjNS0_10empty_typeEbEEZZNS1_14partition_implILS8_3ELb0ES6_jNS0_17counting_iteratorIjlEEPS9_SE_NS0_5tupleIJPjSE_EEENSF_IJSE_SE_EEES9_SG_JZNS1_25segmented_radix_sort_implINS0_14default_configELb0EPKdPdPKlPlN2at6native12_GLOBAL__N_18offset_tEEE10hipError_tPvRmT1_PNSt15iterator_traitsISY_E10value_typeET2_T3_PNSZ_IS14_E10value_typeET4_jRbjT5_S1A_jjP12ihipStream_tbEUljE_EEESV_SW_SX_S14_S18_S1A_T6_T7_T9_mT8_S1C_bDpT10_ENKUlT_T0_E_clISt17integral_constantIbLb0EES1O_IbLb1EEEEDaS1K_S1L_EUlS1K_E_NS1_11comp_targetILNS1_3genE0ELNS1_11target_archE4294967295ELNS1_3gpuE0ELNS1_3repE0EEENS1_30default_config_static_selectorELNS0_4arch9wavefront6targetE0EEEvSY_.num_vgpr, 0
	.set _ZN7rocprim17ROCPRIM_400000_NS6detail17trampoline_kernelINS0_13select_configILj256ELj13ELNS0_17block_load_methodE3ELS4_3ELS4_3ELNS0_20block_scan_algorithmE0ELj4294967295EEENS1_25partition_config_selectorILNS1_17partition_subalgoE3EjNS0_10empty_typeEbEEZZNS1_14partition_implILS8_3ELb0ES6_jNS0_17counting_iteratorIjlEEPS9_SE_NS0_5tupleIJPjSE_EEENSF_IJSE_SE_EEES9_SG_JZNS1_25segmented_radix_sort_implINS0_14default_configELb0EPKdPdPKlPlN2at6native12_GLOBAL__N_18offset_tEEE10hipError_tPvRmT1_PNSt15iterator_traitsISY_E10value_typeET2_T3_PNSZ_IS14_E10value_typeET4_jRbjT5_S1A_jjP12ihipStream_tbEUljE_EEESV_SW_SX_S14_S18_S1A_T6_T7_T9_mT8_S1C_bDpT10_ENKUlT_T0_E_clISt17integral_constantIbLb0EES1O_IbLb1EEEEDaS1K_S1L_EUlS1K_E_NS1_11comp_targetILNS1_3genE0ELNS1_11target_archE4294967295ELNS1_3gpuE0ELNS1_3repE0EEENS1_30default_config_static_selectorELNS0_4arch9wavefront6targetE0EEEvSY_.num_agpr, 0
	.set _ZN7rocprim17ROCPRIM_400000_NS6detail17trampoline_kernelINS0_13select_configILj256ELj13ELNS0_17block_load_methodE3ELS4_3ELS4_3ELNS0_20block_scan_algorithmE0ELj4294967295EEENS1_25partition_config_selectorILNS1_17partition_subalgoE3EjNS0_10empty_typeEbEEZZNS1_14partition_implILS8_3ELb0ES6_jNS0_17counting_iteratorIjlEEPS9_SE_NS0_5tupleIJPjSE_EEENSF_IJSE_SE_EEES9_SG_JZNS1_25segmented_radix_sort_implINS0_14default_configELb0EPKdPdPKlPlN2at6native12_GLOBAL__N_18offset_tEEE10hipError_tPvRmT1_PNSt15iterator_traitsISY_E10value_typeET2_T3_PNSZ_IS14_E10value_typeET4_jRbjT5_S1A_jjP12ihipStream_tbEUljE_EEESV_SW_SX_S14_S18_S1A_T6_T7_T9_mT8_S1C_bDpT10_ENKUlT_T0_E_clISt17integral_constantIbLb0EES1O_IbLb1EEEEDaS1K_S1L_EUlS1K_E_NS1_11comp_targetILNS1_3genE0ELNS1_11target_archE4294967295ELNS1_3gpuE0ELNS1_3repE0EEENS1_30default_config_static_selectorELNS0_4arch9wavefront6targetE0EEEvSY_.numbered_sgpr, 0
	.set _ZN7rocprim17ROCPRIM_400000_NS6detail17trampoline_kernelINS0_13select_configILj256ELj13ELNS0_17block_load_methodE3ELS4_3ELS4_3ELNS0_20block_scan_algorithmE0ELj4294967295EEENS1_25partition_config_selectorILNS1_17partition_subalgoE3EjNS0_10empty_typeEbEEZZNS1_14partition_implILS8_3ELb0ES6_jNS0_17counting_iteratorIjlEEPS9_SE_NS0_5tupleIJPjSE_EEENSF_IJSE_SE_EEES9_SG_JZNS1_25segmented_radix_sort_implINS0_14default_configELb0EPKdPdPKlPlN2at6native12_GLOBAL__N_18offset_tEEE10hipError_tPvRmT1_PNSt15iterator_traitsISY_E10value_typeET2_T3_PNSZ_IS14_E10value_typeET4_jRbjT5_S1A_jjP12ihipStream_tbEUljE_EEESV_SW_SX_S14_S18_S1A_T6_T7_T9_mT8_S1C_bDpT10_ENKUlT_T0_E_clISt17integral_constantIbLb0EES1O_IbLb1EEEEDaS1K_S1L_EUlS1K_E_NS1_11comp_targetILNS1_3genE0ELNS1_11target_archE4294967295ELNS1_3gpuE0ELNS1_3repE0EEENS1_30default_config_static_selectorELNS0_4arch9wavefront6targetE0EEEvSY_.num_named_barrier, 0
	.set _ZN7rocprim17ROCPRIM_400000_NS6detail17trampoline_kernelINS0_13select_configILj256ELj13ELNS0_17block_load_methodE3ELS4_3ELS4_3ELNS0_20block_scan_algorithmE0ELj4294967295EEENS1_25partition_config_selectorILNS1_17partition_subalgoE3EjNS0_10empty_typeEbEEZZNS1_14partition_implILS8_3ELb0ES6_jNS0_17counting_iteratorIjlEEPS9_SE_NS0_5tupleIJPjSE_EEENSF_IJSE_SE_EEES9_SG_JZNS1_25segmented_radix_sort_implINS0_14default_configELb0EPKdPdPKlPlN2at6native12_GLOBAL__N_18offset_tEEE10hipError_tPvRmT1_PNSt15iterator_traitsISY_E10value_typeET2_T3_PNSZ_IS14_E10value_typeET4_jRbjT5_S1A_jjP12ihipStream_tbEUljE_EEESV_SW_SX_S14_S18_S1A_T6_T7_T9_mT8_S1C_bDpT10_ENKUlT_T0_E_clISt17integral_constantIbLb0EES1O_IbLb1EEEEDaS1K_S1L_EUlS1K_E_NS1_11comp_targetILNS1_3genE0ELNS1_11target_archE4294967295ELNS1_3gpuE0ELNS1_3repE0EEENS1_30default_config_static_selectorELNS0_4arch9wavefront6targetE0EEEvSY_.private_seg_size, 0
	.set _ZN7rocprim17ROCPRIM_400000_NS6detail17trampoline_kernelINS0_13select_configILj256ELj13ELNS0_17block_load_methodE3ELS4_3ELS4_3ELNS0_20block_scan_algorithmE0ELj4294967295EEENS1_25partition_config_selectorILNS1_17partition_subalgoE3EjNS0_10empty_typeEbEEZZNS1_14partition_implILS8_3ELb0ES6_jNS0_17counting_iteratorIjlEEPS9_SE_NS0_5tupleIJPjSE_EEENSF_IJSE_SE_EEES9_SG_JZNS1_25segmented_radix_sort_implINS0_14default_configELb0EPKdPdPKlPlN2at6native12_GLOBAL__N_18offset_tEEE10hipError_tPvRmT1_PNSt15iterator_traitsISY_E10value_typeET2_T3_PNSZ_IS14_E10value_typeET4_jRbjT5_S1A_jjP12ihipStream_tbEUljE_EEESV_SW_SX_S14_S18_S1A_T6_T7_T9_mT8_S1C_bDpT10_ENKUlT_T0_E_clISt17integral_constantIbLb0EES1O_IbLb1EEEEDaS1K_S1L_EUlS1K_E_NS1_11comp_targetILNS1_3genE0ELNS1_11target_archE4294967295ELNS1_3gpuE0ELNS1_3repE0EEENS1_30default_config_static_selectorELNS0_4arch9wavefront6targetE0EEEvSY_.uses_vcc, 0
	.set _ZN7rocprim17ROCPRIM_400000_NS6detail17trampoline_kernelINS0_13select_configILj256ELj13ELNS0_17block_load_methodE3ELS4_3ELS4_3ELNS0_20block_scan_algorithmE0ELj4294967295EEENS1_25partition_config_selectorILNS1_17partition_subalgoE3EjNS0_10empty_typeEbEEZZNS1_14partition_implILS8_3ELb0ES6_jNS0_17counting_iteratorIjlEEPS9_SE_NS0_5tupleIJPjSE_EEENSF_IJSE_SE_EEES9_SG_JZNS1_25segmented_radix_sort_implINS0_14default_configELb0EPKdPdPKlPlN2at6native12_GLOBAL__N_18offset_tEEE10hipError_tPvRmT1_PNSt15iterator_traitsISY_E10value_typeET2_T3_PNSZ_IS14_E10value_typeET4_jRbjT5_S1A_jjP12ihipStream_tbEUljE_EEESV_SW_SX_S14_S18_S1A_T6_T7_T9_mT8_S1C_bDpT10_ENKUlT_T0_E_clISt17integral_constantIbLb0EES1O_IbLb1EEEEDaS1K_S1L_EUlS1K_E_NS1_11comp_targetILNS1_3genE0ELNS1_11target_archE4294967295ELNS1_3gpuE0ELNS1_3repE0EEENS1_30default_config_static_selectorELNS0_4arch9wavefront6targetE0EEEvSY_.uses_flat_scratch, 0
	.set _ZN7rocprim17ROCPRIM_400000_NS6detail17trampoline_kernelINS0_13select_configILj256ELj13ELNS0_17block_load_methodE3ELS4_3ELS4_3ELNS0_20block_scan_algorithmE0ELj4294967295EEENS1_25partition_config_selectorILNS1_17partition_subalgoE3EjNS0_10empty_typeEbEEZZNS1_14partition_implILS8_3ELb0ES6_jNS0_17counting_iteratorIjlEEPS9_SE_NS0_5tupleIJPjSE_EEENSF_IJSE_SE_EEES9_SG_JZNS1_25segmented_radix_sort_implINS0_14default_configELb0EPKdPdPKlPlN2at6native12_GLOBAL__N_18offset_tEEE10hipError_tPvRmT1_PNSt15iterator_traitsISY_E10value_typeET2_T3_PNSZ_IS14_E10value_typeET4_jRbjT5_S1A_jjP12ihipStream_tbEUljE_EEESV_SW_SX_S14_S18_S1A_T6_T7_T9_mT8_S1C_bDpT10_ENKUlT_T0_E_clISt17integral_constantIbLb0EES1O_IbLb1EEEEDaS1K_S1L_EUlS1K_E_NS1_11comp_targetILNS1_3genE0ELNS1_11target_archE4294967295ELNS1_3gpuE0ELNS1_3repE0EEENS1_30default_config_static_selectorELNS0_4arch9wavefront6targetE0EEEvSY_.has_dyn_sized_stack, 0
	.set _ZN7rocprim17ROCPRIM_400000_NS6detail17trampoline_kernelINS0_13select_configILj256ELj13ELNS0_17block_load_methodE3ELS4_3ELS4_3ELNS0_20block_scan_algorithmE0ELj4294967295EEENS1_25partition_config_selectorILNS1_17partition_subalgoE3EjNS0_10empty_typeEbEEZZNS1_14partition_implILS8_3ELb0ES6_jNS0_17counting_iteratorIjlEEPS9_SE_NS0_5tupleIJPjSE_EEENSF_IJSE_SE_EEES9_SG_JZNS1_25segmented_radix_sort_implINS0_14default_configELb0EPKdPdPKlPlN2at6native12_GLOBAL__N_18offset_tEEE10hipError_tPvRmT1_PNSt15iterator_traitsISY_E10value_typeET2_T3_PNSZ_IS14_E10value_typeET4_jRbjT5_S1A_jjP12ihipStream_tbEUljE_EEESV_SW_SX_S14_S18_S1A_T6_T7_T9_mT8_S1C_bDpT10_ENKUlT_T0_E_clISt17integral_constantIbLb0EES1O_IbLb1EEEEDaS1K_S1L_EUlS1K_E_NS1_11comp_targetILNS1_3genE0ELNS1_11target_archE4294967295ELNS1_3gpuE0ELNS1_3repE0EEENS1_30default_config_static_selectorELNS0_4arch9wavefront6targetE0EEEvSY_.has_recursion, 0
	.set _ZN7rocprim17ROCPRIM_400000_NS6detail17trampoline_kernelINS0_13select_configILj256ELj13ELNS0_17block_load_methodE3ELS4_3ELS4_3ELNS0_20block_scan_algorithmE0ELj4294967295EEENS1_25partition_config_selectorILNS1_17partition_subalgoE3EjNS0_10empty_typeEbEEZZNS1_14partition_implILS8_3ELb0ES6_jNS0_17counting_iteratorIjlEEPS9_SE_NS0_5tupleIJPjSE_EEENSF_IJSE_SE_EEES9_SG_JZNS1_25segmented_radix_sort_implINS0_14default_configELb0EPKdPdPKlPlN2at6native12_GLOBAL__N_18offset_tEEE10hipError_tPvRmT1_PNSt15iterator_traitsISY_E10value_typeET2_T3_PNSZ_IS14_E10value_typeET4_jRbjT5_S1A_jjP12ihipStream_tbEUljE_EEESV_SW_SX_S14_S18_S1A_T6_T7_T9_mT8_S1C_bDpT10_ENKUlT_T0_E_clISt17integral_constantIbLb0EES1O_IbLb1EEEEDaS1K_S1L_EUlS1K_E_NS1_11comp_targetILNS1_3genE0ELNS1_11target_archE4294967295ELNS1_3gpuE0ELNS1_3repE0EEENS1_30default_config_static_selectorELNS0_4arch9wavefront6targetE0EEEvSY_.has_indirect_call, 0
	.section	.AMDGPU.csdata,"",@progbits
; Kernel info:
; codeLenInByte = 0
; TotalNumSgprs: 0
; NumVgprs: 0
; ScratchSize: 0
; MemoryBound: 0
; FloatMode: 240
; IeeeMode: 1
; LDSByteSize: 0 bytes/workgroup (compile time only)
; SGPRBlocks: 0
; VGPRBlocks: 0
; NumSGPRsForWavesPerEU: 1
; NumVGPRsForWavesPerEU: 1
; Occupancy: 16
; WaveLimiterHint : 0
; COMPUTE_PGM_RSRC2:SCRATCH_EN: 0
; COMPUTE_PGM_RSRC2:USER_SGPR: 6
; COMPUTE_PGM_RSRC2:TRAP_HANDLER: 0
; COMPUTE_PGM_RSRC2:TGID_X_EN: 1
; COMPUTE_PGM_RSRC2:TGID_Y_EN: 0
; COMPUTE_PGM_RSRC2:TGID_Z_EN: 0
; COMPUTE_PGM_RSRC2:TIDIG_COMP_CNT: 0
	.section	.text._ZN7rocprim17ROCPRIM_400000_NS6detail17trampoline_kernelINS0_13select_configILj256ELj13ELNS0_17block_load_methodE3ELS4_3ELS4_3ELNS0_20block_scan_algorithmE0ELj4294967295EEENS1_25partition_config_selectorILNS1_17partition_subalgoE3EjNS0_10empty_typeEbEEZZNS1_14partition_implILS8_3ELb0ES6_jNS0_17counting_iteratorIjlEEPS9_SE_NS0_5tupleIJPjSE_EEENSF_IJSE_SE_EEES9_SG_JZNS1_25segmented_radix_sort_implINS0_14default_configELb0EPKdPdPKlPlN2at6native12_GLOBAL__N_18offset_tEEE10hipError_tPvRmT1_PNSt15iterator_traitsISY_E10value_typeET2_T3_PNSZ_IS14_E10value_typeET4_jRbjT5_S1A_jjP12ihipStream_tbEUljE_EEESV_SW_SX_S14_S18_S1A_T6_T7_T9_mT8_S1C_bDpT10_ENKUlT_T0_E_clISt17integral_constantIbLb0EES1O_IbLb1EEEEDaS1K_S1L_EUlS1K_E_NS1_11comp_targetILNS1_3genE5ELNS1_11target_archE942ELNS1_3gpuE9ELNS1_3repE0EEENS1_30default_config_static_selectorELNS0_4arch9wavefront6targetE0EEEvSY_,"axG",@progbits,_ZN7rocprim17ROCPRIM_400000_NS6detail17trampoline_kernelINS0_13select_configILj256ELj13ELNS0_17block_load_methodE3ELS4_3ELS4_3ELNS0_20block_scan_algorithmE0ELj4294967295EEENS1_25partition_config_selectorILNS1_17partition_subalgoE3EjNS0_10empty_typeEbEEZZNS1_14partition_implILS8_3ELb0ES6_jNS0_17counting_iteratorIjlEEPS9_SE_NS0_5tupleIJPjSE_EEENSF_IJSE_SE_EEES9_SG_JZNS1_25segmented_radix_sort_implINS0_14default_configELb0EPKdPdPKlPlN2at6native12_GLOBAL__N_18offset_tEEE10hipError_tPvRmT1_PNSt15iterator_traitsISY_E10value_typeET2_T3_PNSZ_IS14_E10value_typeET4_jRbjT5_S1A_jjP12ihipStream_tbEUljE_EEESV_SW_SX_S14_S18_S1A_T6_T7_T9_mT8_S1C_bDpT10_ENKUlT_T0_E_clISt17integral_constantIbLb0EES1O_IbLb1EEEEDaS1K_S1L_EUlS1K_E_NS1_11comp_targetILNS1_3genE5ELNS1_11target_archE942ELNS1_3gpuE9ELNS1_3repE0EEENS1_30default_config_static_selectorELNS0_4arch9wavefront6targetE0EEEvSY_,comdat
	.globl	_ZN7rocprim17ROCPRIM_400000_NS6detail17trampoline_kernelINS0_13select_configILj256ELj13ELNS0_17block_load_methodE3ELS4_3ELS4_3ELNS0_20block_scan_algorithmE0ELj4294967295EEENS1_25partition_config_selectorILNS1_17partition_subalgoE3EjNS0_10empty_typeEbEEZZNS1_14partition_implILS8_3ELb0ES6_jNS0_17counting_iteratorIjlEEPS9_SE_NS0_5tupleIJPjSE_EEENSF_IJSE_SE_EEES9_SG_JZNS1_25segmented_radix_sort_implINS0_14default_configELb0EPKdPdPKlPlN2at6native12_GLOBAL__N_18offset_tEEE10hipError_tPvRmT1_PNSt15iterator_traitsISY_E10value_typeET2_T3_PNSZ_IS14_E10value_typeET4_jRbjT5_S1A_jjP12ihipStream_tbEUljE_EEESV_SW_SX_S14_S18_S1A_T6_T7_T9_mT8_S1C_bDpT10_ENKUlT_T0_E_clISt17integral_constantIbLb0EES1O_IbLb1EEEEDaS1K_S1L_EUlS1K_E_NS1_11comp_targetILNS1_3genE5ELNS1_11target_archE942ELNS1_3gpuE9ELNS1_3repE0EEENS1_30default_config_static_selectorELNS0_4arch9wavefront6targetE0EEEvSY_ ; -- Begin function _ZN7rocprim17ROCPRIM_400000_NS6detail17trampoline_kernelINS0_13select_configILj256ELj13ELNS0_17block_load_methodE3ELS4_3ELS4_3ELNS0_20block_scan_algorithmE0ELj4294967295EEENS1_25partition_config_selectorILNS1_17partition_subalgoE3EjNS0_10empty_typeEbEEZZNS1_14partition_implILS8_3ELb0ES6_jNS0_17counting_iteratorIjlEEPS9_SE_NS0_5tupleIJPjSE_EEENSF_IJSE_SE_EEES9_SG_JZNS1_25segmented_radix_sort_implINS0_14default_configELb0EPKdPdPKlPlN2at6native12_GLOBAL__N_18offset_tEEE10hipError_tPvRmT1_PNSt15iterator_traitsISY_E10value_typeET2_T3_PNSZ_IS14_E10value_typeET4_jRbjT5_S1A_jjP12ihipStream_tbEUljE_EEESV_SW_SX_S14_S18_S1A_T6_T7_T9_mT8_S1C_bDpT10_ENKUlT_T0_E_clISt17integral_constantIbLb0EES1O_IbLb1EEEEDaS1K_S1L_EUlS1K_E_NS1_11comp_targetILNS1_3genE5ELNS1_11target_archE942ELNS1_3gpuE9ELNS1_3repE0EEENS1_30default_config_static_selectorELNS0_4arch9wavefront6targetE0EEEvSY_
	.p2align	8
	.type	_ZN7rocprim17ROCPRIM_400000_NS6detail17trampoline_kernelINS0_13select_configILj256ELj13ELNS0_17block_load_methodE3ELS4_3ELS4_3ELNS0_20block_scan_algorithmE0ELj4294967295EEENS1_25partition_config_selectorILNS1_17partition_subalgoE3EjNS0_10empty_typeEbEEZZNS1_14partition_implILS8_3ELb0ES6_jNS0_17counting_iteratorIjlEEPS9_SE_NS0_5tupleIJPjSE_EEENSF_IJSE_SE_EEES9_SG_JZNS1_25segmented_radix_sort_implINS0_14default_configELb0EPKdPdPKlPlN2at6native12_GLOBAL__N_18offset_tEEE10hipError_tPvRmT1_PNSt15iterator_traitsISY_E10value_typeET2_T3_PNSZ_IS14_E10value_typeET4_jRbjT5_S1A_jjP12ihipStream_tbEUljE_EEESV_SW_SX_S14_S18_S1A_T6_T7_T9_mT8_S1C_bDpT10_ENKUlT_T0_E_clISt17integral_constantIbLb0EES1O_IbLb1EEEEDaS1K_S1L_EUlS1K_E_NS1_11comp_targetILNS1_3genE5ELNS1_11target_archE942ELNS1_3gpuE9ELNS1_3repE0EEENS1_30default_config_static_selectorELNS0_4arch9wavefront6targetE0EEEvSY_,@function
_ZN7rocprim17ROCPRIM_400000_NS6detail17trampoline_kernelINS0_13select_configILj256ELj13ELNS0_17block_load_methodE3ELS4_3ELS4_3ELNS0_20block_scan_algorithmE0ELj4294967295EEENS1_25partition_config_selectorILNS1_17partition_subalgoE3EjNS0_10empty_typeEbEEZZNS1_14partition_implILS8_3ELb0ES6_jNS0_17counting_iteratorIjlEEPS9_SE_NS0_5tupleIJPjSE_EEENSF_IJSE_SE_EEES9_SG_JZNS1_25segmented_radix_sort_implINS0_14default_configELb0EPKdPdPKlPlN2at6native12_GLOBAL__N_18offset_tEEE10hipError_tPvRmT1_PNSt15iterator_traitsISY_E10value_typeET2_T3_PNSZ_IS14_E10value_typeET4_jRbjT5_S1A_jjP12ihipStream_tbEUljE_EEESV_SW_SX_S14_S18_S1A_T6_T7_T9_mT8_S1C_bDpT10_ENKUlT_T0_E_clISt17integral_constantIbLb0EES1O_IbLb1EEEEDaS1K_S1L_EUlS1K_E_NS1_11comp_targetILNS1_3genE5ELNS1_11target_archE942ELNS1_3gpuE9ELNS1_3repE0EEENS1_30default_config_static_selectorELNS0_4arch9wavefront6targetE0EEEvSY_: ; @_ZN7rocprim17ROCPRIM_400000_NS6detail17trampoline_kernelINS0_13select_configILj256ELj13ELNS0_17block_load_methodE3ELS4_3ELS4_3ELNS0_20block_scan_algorithmE0ELj4294967295EEENS1_25partition_config_selectorILNS1_17partition_subalgoE3EjNS0_10empty_typeEbEEZZNS1_14partition_implILS8_3ELb0ES6_jNS0_17counting_iteratorIjlEEPS9_SE_NS0_5tupleIJPjSE_EEENSF_IJSE_SE_EEES9_SG_JZNS1_25segmented_radix_sort_implINS0_14default_configELb0EPKdPdPKlPlN2at6native12_GLOBAL__N_18offset_tEEE10hipError_tPvRmT1_PNSt15iterator_traitsISY_E10value_typeET2_T3_PNSZ_IS14_E10value_typeET4_jRbjT5_S1A_jjP12ihipStream_tbEUljE_EEESV_SW_SX_S14_S18_S1A_T6_T7_T9_mT8_S1C_bDpT10_ENKUlT_T0_E_clISt17integral_constantIbLb0EES1O_IbLb1EEEEDaS1K_S1L_EUlS1K_E_NS1_11comp_targetILNS1_3genE5ELNS1_11target_archE942ELNS1_3gpuE9ELNS1_3repE0EEENS1_30default_config_static_selectorELNS0_4arch9wavefront6targetE0EEEvSY_
; %bb.0:
	.section	.rodata,"a",@progbits
	.p2align	6, 0x0
	.amdhsa_kernel _ZN7rocprim17ROCPRIM_400000_NS6detail17trampoline_kernelINS0_13select_configILj256ELj13ELNS0_17block_load_methodE3ELS4_3ELS4_3ELNS0_20block_scan_algorithmE0ELj4294967295EEENS1_25partition_config_selectorILNS1_17partition_subalgoE3EjNS0_10empty_typeEbEEZZNS1_14partition_implILS8_3ELb0ES6_jNS0_17counting_iteratorIjlEEPS9_SE_NS0_5tupleIJPjSE_EEENSF_IJSE_SE_EEES9_SG_JZNS1_25segmented_radix_sort_implINS0_14default_configELb0EPKdPdPKlPlN2at6native12_GLOBAL__N_18offset_tEEE10hipError_tPvRmT1_PNSt15iterator_traitsISY_E10value_typeET2_T3_PNSZ_IS14_E10value_typeET4_jRbjT5_S1A_jjP12ihipStream_tbEUljE_EEESV_SW_SX_S14_S18_S1A_T6_T7_T9_mT8_S1C_bDpT10_ENKUlT_T0_E_clISt17integral_constantIbLb0EES1O_IbLb1EEEEDaS1K_S1L_EUlS1K_E_NS1_11comp_targetILNS1_3genE5ELNS1_11target_archE942ELNS1_3gpuE9ELNS1_3repE0EEENS1_30default_config_static_selectorELNS0_4arch9wavefront6targetE0EEEvSY_
		.amdhsa_group_segment_fixed_size 0
		.amdhsa_private_segment_fixed_size 0
		.amdhsa_kernarg_size 152
		.amdhsa_user_sgpr_count 6
		.amdhsa_user_sgpr_private_segment_buffer 1
		.amdhsa_user_sgpr_dispatch_ptr 0
		.amdhsa_user_sgpr_queue_ptr 0
		.amdhsa_user_sgpr_kernarg_segment_ptr 1
		.amdhsa_user_sgpr_dispatch_id 0
		.amdhsa_user_sgpr_flat_scratch_init 0
		.amdhsa_user_sgpr_private_segment_size 0
		.amdhsa_wavefront_size32 1
		.amdhsa_uses_dynamic_stack 0
		.amdhsa_system_sgpr_private_segment_wavefront_offset 0
		.amdhsa_system_sgpr_workgroup_id_x 1
		.amdhsa_system_sgpr_workgroup_id_y 0
		.amdhsa_system_sgpr_workgroup_id_z 0
		.amdhsa_system_sgpr_workgroup_info 0
		.amdhsa_system_vgpr_workitem_id 0
		.amdhsa_next_free_vgpr 1
		.amdhsa_next_free_sgpr 1
		.amdhsa_reserve_vcc 0
		.amdhsa_reserve_flat_scratch 0
		.amdhsa_float_round_mode_32 0
		.amdhsa_float_round_mode_16_64 0
		.amdhsa_float_denorm_mode_32 3
		.amdhsa_float_denorm_mode_16_64 3
		.amdhsa_dx10_clamp 1
		.amdhsa_ieee_mode 1
		.amdhsa_fp16_overflow 0
		.amdhsa_workgroup_processor_mode 1
		.amdhsa_memory_ordered 1
		.amdhsa_forward_progress 1
		.amdhsa_shared_vgpr_count 0
		.amdhsa_exception_fp_ieee_invalid_op 0
		.amdhsa_exception_fp_denorm_src 0
		.amdhsa_exception_fp_ieee_div_zero 0
		.amdhsa_exception_fp_ieee_overflow 0
		.amdhsa_exception_fp_ieee_underflow 0
		.amdhsa_exception_fp_ieee_inexact 0
		.amdhsa_exception_int_div_zero 0
	.end_amdhsa_kernel
	.section	.text._ZN7rocprim17ROCPRIM_400000_NS6detail17trampoline_kernelINS0_13select_configILj256ELj13ELNS0_17block_load_methodE3ELS4_3ELS4_3ELNS0_20block_scan_algorithmE0ELj4294967295EEENS1_25partition_config_selectorILNS1_17partition_subalgoE3EjNS0_10empty_typeEbEEZZNS1_14partition_implILS8_3ELb0ES6_jNS0_17counting_iteratorIjlEEPS9_SE_NS0_5tupleIJPjSE_EEENSF_IJSE_SE_EEES9_SG_JZNS1_25segmented_radix_sort_implINS0_14default_configELb0EPKdPdPKlPlN2at6native12_GLOBAL__N_18offset_tEEE10hipError_tPvRmT1_PNSt15iterator_traitsISY_E10value_typeET2_T3_PNSZ_IS14_E10value_typeET4_jRbjT5_S1A_jjP12ihipStream_tbEUljE_EEESV_SW_SX_S14_S18_S1A_T6_T7_T9_mT8_S1C_bDpT10_ENKUlT_T0_E_clISt17integral_constantIbLb0EES1O_IbLb1EEEEDaS1K_S1L_EUlS1K_E_NS1_11comp_targetILNS1_3genE5ELNS1_11target_archE942ELNS1_3gpuE9ELNS1_3repE0EEENS1_30default_config_static_selectorELNS0_4arch9wavefront6targetE0EEEvSY_,"axG",@progbits,_ZN7rocprim17ROCPRIM_400000_NS6detail17trampoline_kernelINS0_13select_configILj256ELj13ELNS0_17block_load_methodE3ELS4_3ELS4_3ELNS0_20block_scan_algorithmE0ELj4294967295EEENS1_25partition_config_selectorILNS1_17partition_subalgoE3EjNS0_10empty_typeEbEEZZNS1_14partition_implILS8_3ELb0ES6_jNS0_17counting_iteratorIjlEEPS9_SE_NS0_5tupleIJPjSE_EEENSF_IJSE_SE_EEES9_SG_JZNS1_25segmented_radix_sort_implINS0_14default_configELb0EPKdPdPKlPlN2at6native12_GLOBAL__N_18offset_tEEE10hipError_tPvRmT1_PNSt15iterator_traitsISY_E10value_typeET2_T3_PNSZ_IS14_E10value_typeET4_jRbjT5_S1A_jjP12ihipStream_tbEUljE_EEESV_SW_SX_S14_S18_S1A_T6_T7_T9_mT8_S1C_bDpT10_ENKUlT_T0_E_clISt17integral_constantIbLb0EES1O_IbLb1EEEEDaS1K_S1L_EUlS1K_E_NS1_11comp_targetILNS1_3genE5ELNS1_11target_archE942ELNS1_3gpuE9ELNS1_3repE0EEENS1_30default_config_static_selectorELNS0_4arch9wavefront6targetE0EEEvSY_,comdat
.Lfunc_end1206:
	.size	_ZN7rocprim17ROCPRIM_400000_NS6detail17trampoline_kernelINS0_13select_configILj256ELj13ELNS0_17block_load_methodE3ELS4_3ELS4_3ELNS0_20block_scan_algorithmE0ELj4294967295EEENS1_25partition_config_selectorILNS1_17partition_subalgoE3EjNS0_10empty_typeEbEEZZNS1_14partition_implILS8_3ELb0ES6_jNS0_17counting_iteratorIjlEEPS9_SE_NS0_5tupleIJPjSE_EEENSF_IJSE_SE_EEES9_SG_JZNS1_25segmented_radix_sort_implINS0_14default_configELb0EPKdPdPKlPlN2at6native12_GLOBAL__N_18offset_tEEE10hipError_tPvRmT1_PNSt15iterator_traitsISY_E10value_typeET2_T3_PNSZ_IS14_E10value_typeET4_jRbjT5_S1A_jjP12ihipStream_tbEUljE_EEESV_SW_SX_S14_S18_S1A_T6_T7_T9_mT8_S1C_bDpT10_ENKUlT_T0_E_clISt17integral_constantIbLb0EES1O_IbLb1EEEEDaS1K_S1L_EUlS1K_E_NS1_11comp_targetILNS1_3genE5ELNS1_11target_archE942ELNS1_3gpuE9ELNS1_3repE0EEENS1_30default_config_static_selectorELNS0_4arch9wavefront6targetE0EEEvSY_, .Lfunc_end1206-_ZN7rocprim17ROCPRIM_400000_NS6detail17trampoline_kernelINS0_13select_configILj256ELj13ELNS0_17block_load_methodE3ELS4_3ELS4_3ELNS0_20block_scan_algorithmE0ELj4294967295EEENS1_25partition_config_selectorILNS1_17partition_subalgoE3EjNS0_10empty_typeEbEEZZNS1_14partition_implILS8_3ELb0ES6_jNS0_17counting_iteratorIjlEEPS9_SE_NS0_5tupleIJPjSE_EEENSF_IJSE_SE_EEES9_SG_JZNS1_25segmented_radix_sort_implINS0_14default_configELb0EPKdPdPKlPlN2at6native12_GLOBAL__N_18offset_tEEE10hipError_tPvRmT1_PNSt15iterator_traitsISY_E10value_typeET2_T3_PNSZ_IS14_E10value_typeET4_jRbjT5_S1A_jjP12ihipStream_tbEUljE_EEESV_SW_SX_S14_S18_S1A_T6_T7_T9_mT8_S1C_bDpT10_ENKUlT_T0_E_clISt17integral_constantIbLb0EES1O_IbLb1EEEEDaS1K_S1L_EUlS1K_E_NS1_11comp_targetILNS1_3genE5ELNS1_11target_archE942ELNS1_3gpuE9ELNS1_3repE0EEENS1_30default_config_static_selectorELNS0_4arch9wavefront6targetE0EEEvSY_
                                        ; -- End function
	.set _ZN7rocprim17ROCPRIM_400000_NS6detail17trampoline_kernelINS0_13select_configILj256ELj13ELNS0_17block_load_methodE3ELS4_3ELS4_3ELNS0_20block_scan_algorithmE0ELj4294967295EEENS1_25partition_config_selectorILNS1_17partition_subalgoE3EjNS0_10empty_typeEbEEZZNS1_14partition_implILS8_3ELb0ES6_jNS0_17counting_iteratorIjlEEPS9_SE_NS0_5tupleIJPjSE_EEENSF_IJSE_SE_EEES9_SG_JZNS1_25segmented_radix_sort_implINS0_14default_configELb0EPKdPdPKlPlN2at6native12_GLOBAL__N_18offset_tEEE10hipError_tPvRmT1_PNSt15iterator_traitsISY_E10value_typeET2_T3_PNSZ_IS14_E10value_typeET4_jRbjT5_S1A_jjP12ihipStream_tbEUljE_EEESV_SW_SX_S14_S18_S1A_T6_T7_T9_mT8_S1C_bDpT10_ENKUlT_T0_E_clISt17integral_constantIbLb0EES1O_IbLb1EEEEDaS1K_S1L_EUlS1K_E_NS1_11comp_targetILNS1_3genE5ELNS1_11target_archE942ELNS1_3gpuE9ELNS1_3repE0EEENS1_30default_config_static_selectorELNS0_4arch9wavefront6targetE0EEEvSY_.num_vgpr, 0
	.set _ZN7rocprim17ROCPRIM_400000_NS6detail17trampoline_kernelINS0_13select_configILj256ELj13ELNS0_17block_load_methodE3ELS4_3ELS4_3ELNS0_20block_scan_algorithmE0ELj4294967295EEENS1_25partition_config_selectorILNS1_17partition_subalgoE3EjNS0_10empty_typeEbEEZZNS1_14partition_implILS8_3ELb0ES6_jNS0_17counting_iteratorIjlEEPS9_SE_NS0_5tupleIJPjSE_EEENSF_IJSE_SE_EEES9_SG_JZNS1_25segmented_radix_sort_implINS0_14default_configELb0EPKdPdPKlPlN2at6native12_GLOBAL__N_18offset_tEEE10hipError_tPvRmT1_PNSt15iterator_traitsISY_E10value_typeET2_T3_PNSZ_IS14_E10value_typeET4_jRbjT5_S1A_jjP12ihipStream_tbEUljE_EEESV_SW_SX_S14_S18_S1A_T6_T7_T9_mT8_S1C_bDpT10_ENKUlT_T0_E_clISt17integral_constantIbLb0EES1O_IbLb1EEEEDaS1K_S1L_EUlS1K_E_NS1_11comp_targetILNS1_3genE5ELNS1_11target_archE942ELNS1_3gpuE9ELNS1_3repE0EEENS1_30default_config_static_selectorELNS0_4arch9wavefront6targetE0EEEvSY_.num_agpr, 0
	.set _ZN7rocprim17ROCPRIM_400000_NS6detail17trampoline_kernelINS0_13select_configILj256ELj13ELNS0_17block_load_methodE3ELS4_3ELS4_3ELNS0_20block_scan_algorithmE0ELj4294967295EEENS1_25partition_config_selectorILNS1_17partition_subalgoE3EjNS0_10empty_typeEbEEZZNS1_14partition_implILS8_3ELb0ES6_jNS0_17counting_iteratorIjlEEPS9_SE_NS0_5tupleIJPjSE_EEENSF_IJSE_SE_EEES9_SG_JZNS1_25segmented_radix_sort_implINS0_14default_configELb0EPKdPdPKlPlN2at6native12_GLOBAL__N_18offset_tEEE10hipError_tPvRmT1_PNSt15iterator_traitsISY_E10value_typeET2_T3_PNSZ_IS14_E10value_typeET4_jRbjT5_S1A_jjP12ihipStream_tbEUljE_EEESV_SW_SX_S14_S18_S1A_T6_T7_T9_mT8_S1C_bDpT10_ENKUlT_T0_E_clISt17integral_constantIbLb0EES1O_IbLb1EEEEDaS1K_S1L_EUlS1K_E_NS1_11comp_targetILNS1_3genE5ELNS1_11target_archE942ELNS1_3gpuE9ELNS1_3repE0EEENS1_30default_config_static_selectorELNS0_4arch9wavefront6targetE0EEEvSY_.numbered_sgpr, 0
	.set _ZN7rocprim17ROCPRIM_400000_NS6detail17trampoline_kernelINS0_13select_configILj256ELj13ELNS0_17block_load_methodE3ELS4_3ELS4_3ELNS0_20block_scan_algorithmE0ELj4294967295EEENS1_25partition_config_selectorILNS1_17partition_subalgoE3EjNS0_10empty_typeEbEEZZNS1_14partition_implILS8_3ELb0ES6_jNS0_17counting_iteratorIjlEEPS9_SE_NS0_5tupleIJPjSE_EEENSF_IJSE_SE_EEES9_SG_JZNS1_25segmented_radix_sort_implINS0_14default_configELb0EPKdPdPKlPlN2at6native12_GLOBAL__N_18offset_tEEE10hipError_tPvRmT1_PNSt15iterator_traitsISY_E10value_typeET2_T3_PNSZ_IS14_E10value_typeET4_jRbjT5_S1A_jjP12ihipStream_tbEUljE_EEESV_SW_SX_S14_S18_S1A_T6_T7_T9_mT8_S1C_bDpT10_ENKUlT_T0_E_clISt17integral_constantIbLb0EES1O_IbLb1EEEEDaS1K_S1L_EUlS1K_E_NS1_11comp_targetILNS1_3genE5ELNS1_11target_archE942ELNS1_3gpuE9ELNS1_3repE0EEENS1_30default_config_static_selectorELNS0_4arch9wavefront6targetE0EEEvSY_.num_named_barrier, 0
	.set _ZN7rocprim17ROCPRIM_400000_NS6detail17trampoline_kernelINS0_13select_configILj256ELj13ELNS0_17block_load_methodE3ELS4_3ELS4_3ELNS0_20block_scan_algorithmE0ELj4294967295EEENS1_25partition_config_selectorILNS1_17partition_subalgoE3EjNS0_10empty_typeEbEEZZNS1_14partition_implILS8_3ELb0ES6_jNS0_17counting_iteratorIjlEEPS9_SE_NS0_5tupleIJPjSE_EEENSF_IJSE_SE_EEES9_SG_JZNS1_25segmented_radix_sort_implINS0_14default_configELb0EPKdPdPKlPlN2at6native12_GLOBAL__N_18offset_tEEE10hipError_tPvRmT1_PNSt15iterator_traitsISY_E10value_typeET2_T3_PNSZ_IS14_E10value_typeET4_jRbjT5_S1A_jjP12ihipStream_tbEUljE_EEESV_SW_SX_S14_S18_S1A_T6_T7_T9_mT8_S1C_bDpT10_ENKUlT_T0_E_clISt17integral_constantIbLb0EES1O_IbLb1EEEEDaS1K_S1L_EUlS1K_E_NS1_11comp_targetILNS1_3genE5ELNS1_11target_archE942ELNS1_3gpuE9ELNS1_3repE0EEENS1_30default_config_static_selectorELNS0_4arch9wavefront6targetE0EEEvSY_.private_seg_size, 0
	.set _ZN7rocprim17ROCPRIM_400000_NS6detail17trampoline_kernelINS0_13select_configILj256ELj13ELNS0_17block_load_methodE3ELS4_3ELS4_3ELNS0_20block_scan_algorithmE0ELj4294967295EEENS1_25partition_config_selectorILNS1_17partition_subalgoE3EjNS0_10empty_typeEbEEZZNS1_14partition_implILS8_3ELb0ES6_jNS0_17counting_iteratorIjlEEPS9_SE_NS0_5tupleIJPjSE_EEENSF_IJSE_SE_EEES9_SG_JZNS1_25segmented_radix_sort_implINS0_14default_configELb0EPKdPdPKlPlN2at6native12_GLOBAL__N_18offset_tEEE10hipError_tPvRmT1_PNSt15iterator_traitsISY_E10value_typeET2_T3_PNSZ_IS14_E10value_typeET4_jRbjT5_S1A_jjP12ihipStream_tbEUljE_EEESV_SW_SX_S14_S18_S1A_T6_T7_T9_mT8_S1C_bDpT10_ENKUlT_T0_E_clISt17integral_constantIbLb0EES1O_IbLb1EEEEDaS1K_S1L_EUlS1K_E_NS1_11comp_targetILNS1_3genE5ELNS1_11target_archE942ELNS1_3gpuE9ELNS1_3repE0EEENS1_30default_config_static_selectorELNS0_4arch9wavefront6targetE0EEEvSY_.uses_vcc, 0
	.set _ZN7rocprim17ROCPRIM_400000_NS6detail17trampoline_kernelINS0_13select_configILj256ELj13ELNS0_17block_load_methodE3ELS4_3ELS4_3ELNS0_20block_scan_algorithmE0ELj4294967295EEENS1_25partition_config_selectorILNS1_17partition_subalgoE3EjNS0_10empty_typeEbEEZZNS1_14partition_implILS8_3ELb0ES6_jNS0_17counting_iteratorIjlEEPS9_SE_NS0_5tupleIJPjSE_EEENSF_IJSE_SE_EEES9_SG_JZNS1_25segmented_radix_sort_implINS0_14default_configELb0EPKdPdPKlPlN2at6native12_GLOBAL__N_18offset_tEEE10hipError_tPvRmT1_PNSt15iterator_traitsISY_E10value_typeET2_T3_PNSZ_IS14_E10value_typeET4_jRbjT5_S1A_jjP12ihipStream_tbEUljE_EEESV_SW_SX_S14_S18_S1A_T6_T7_T9_mT8_S1C_bDpT10_ENKUlT_T0_E_clISt17integral_constantIbLb0EES1O_IbLb1EEEEDaS1K_S1L_EUlS1K_E_NS1_11comp_targetILNS1_3genE5ELNS1_11target_archE942ELNS1_3gpuE9ELNS1_3repE0EEENS1_30default_config_static_selectorELNS0_4arch9wavefront6targetE0EEEvSY_.uses_flat_scratch, 0
	.set _ZN7rocprim17ROCPRIM_400000_NS6detail17trampoline_kernelINS0_13select_configILj256ELj13ELNS0_17block_load_methodE3ELS4_3ELS4_3ELNS0_20block_scan_algorithmE0ELj4294967295EEENS1_25partition_config_selectorILNS1_17partition_subalgoE3EjNS0_10empty_typeEbEEZZNS1_14partition_implILS8_3ELb0ES6_jNS0_17counting_iteratorIjlEEPS9_SE_NS0_5tupleIJPjSE_EEENSF_IJSE_SE_EEES9_SG_JZNS1_25segmented_radix_sort_implINS0_14default_configELb0EPKdPdPKlPlN2at6native12_GLOBAL__N_18offset_tEEE10hipError_tPvRmT1_PNSt15iterator_traitsISY_E10value_typeET2_T3_PNSZ_IS14_E10value_typeET4_jRbjT5_S1A_jjP12ihipStream_tbEUljE_EEESV_SW_SX_S14_S18_S1A_T6_T7_T9_mT8_S1C_bDpT10_ENKUlT_T0_E_clISt17integral_constantIbLb0EES1O_IbLb1EEEEDaS1K_S1L_EUlS1K_E_NS1_11comp_targetILNS1_3genE5ELNS1_11target_archE942ELNS1_3gpuE9ELNS1_3repE0EEENS1_30default_config_static_selectorELNS0_4arch9wavefront6targetE0EEEvSY_.has_dyn_sized_stack, 0
	.set _ZN7rocprim17ROCPRIM_400000_NS6detail17trampoline_kernelINS0_13select_configILj256ELj13ELNS0_17block_load_methodE3ELS4_3ELS4_3ELNS0_20block_scan_algorithmE0ELj4294967295EEENS1_25partition_config_selectorILNS1_17partition_subalgoE3EjNS0_10empty_typeEbEEZZNS1_14partition_implILS8_3ELb0ES6_jNS0_17counting_iteratorIjlEEPS9_SE_NS0_5tupleIJPjSE_EEENSF_IJSE_SE_EEES9_SG_JZNS1_25segmented_radix_sort_implINS0_14default_configELb0EPKdPdPKlPlN2at6native12_GLOBAL__N_18offset_tEEE10hipError_tPvRmT1_PNSt15iterator_traitsISY_E10value_typeET2_T3_PNSZ_IS14_E10value_typeET4_jRbjT5_S1A_jjP12ihipStream_tbEUljE_EEESV_SW_SX_S14_S18_S1A_T6_T7_T9_mT8_S1C_bDpT10_ENKUlT_T0_E_clISt17integral_constantIbLb0EES1O_IbLb1EEEEDaS1K_S1L_EUlS1K_E_NS1_11comp_targetILNS1_3genE5ELNS1_11target_archE942ELNS1_3gpuE9ELNS1_3repE0EEENS1_30default_config_static_selectorELNS0_4arch9wavefront6targetE0EEEvSY_.has_recursion, 0
	.set _ZN7rocprim17ROCPRIM_400000_NS6detail17trampoline_kernelINS0_13select_configILj256ELj13ELNS0_17block_load_methodE3ELS4_3ELS4_3ELNS0_20block_scan_algorithmE0ELj4294967295EEENS1_25partition_config_selectorILNS1_17partition_subalgoE3EjNS0_10empty_typeEbEEZZNS1_14partition_implILS8_3ELb0ES6_jNS0_17counting_iteratorIjlEEPS9_SE_NS0_5tupleIJPjSE_EEENSF_IJSE_SE_EEES9_SG_JZNS1_25segmented_radix_sort_implINS0_14default_configELb0EPKdPdPKlPlN2at6native12_GLOBAL__N_18offset_tEEE10hipError_tPvRmT1_PNSt15iterator_traitsISY_E10value_typeET2_T3_PNSZ_IS14_E10value_typeET4_jRbjT5_S1A_jjP12ihipStream_tbEUljE_EEESV_SW_SX_S14_S18_S1A_T6_T7_T9_mT8_S1C_bDpT10_ENKUlT_T0_E_clISt17integral_constantIbLb0EES1O_IbLb1EEEEDaS1K_S1L_EUlS1K_E_NS1_11comp_targetILNS1_3genE5ELNS1_11target_archE942ELNS1_3gpuE9ELNS1_3repE0EEENS1_30default_config_static_selectorELNS0_4arch9wavefront6targetE0EEEvSY_.has_indirect_call, 0
	.section	.AMDGPU.csdata,"",@progbits
; Kernel info:
; codeLenInByte = 0
; TotalNumSgprs: 0
; NumVgprs: 0
; ScratchSize: 0
; MemoryBound: 0
; FloatMode: 240
; IeeeMode: 1
; LDSByteSize: 0 bytes/workgroup (compile time only)
; SGPRBlocks: 0
; VGPRBlocks: 0
; NumSGPRsForWavesPerEU: 1
; NumVGPRsForWavesPerEU: 1
; Occupancy: 16
; WaveLimiterHint : 0
; COMPUTE_PGM_RSRC2:SCRATCH_EN: 0
; COMPUTE_PGM_RSRC2:USER_SGPR: 6
; COMPUTE_PGM_RSRC2:TRAP_HANDLER: 0
; COMPUTE_PGM_RSRC2:TGID_X_EN: 1
; COMPUTE_PGM_RSRC2:TGID_Y_EN: 0
; COMPUTE_PGM_RSRC2:TGID_Z_EN: 0
; COMPUTE_PGM_RSRC2:TIDIG_COMP_CNT: 0
	.section	.text._ZN7rocprim17ROCPRIM_400000_NS6detail17trampoline_kernelINS0_13select_configILj256ELj13ELNS0_17block_load_methodE3ELS4_3ELS4_3ELNS0_20block_scan_algorithmE0ELj4294967295EEENS1_25partition_config_selectorILNS1_17partition_subalgoE3EjNS0_10empty_typeEbEEZZNS1_14partition_implILS8_3ELb0ES6_jNS0_17counting_iteratorIjlEEPS9_SE_NS0_5tupleIJPjSE_EEENSF_IJSE_SE_EEES9_SG_JZNS1_25segmented_radix_sort_implINS0_14default_configELb0EPKdPdPKlPlN2at6native12_GLOBAL__N_18offset_tEEE10hipError_tPvRmT1_PNSt15iterator_traitsISY_E10value_typeET2_T3_PNSZ_IS14_E10value_typeET4_jRbjT5_S1A_jjP12ihipStream_tbEUljE_EEESV_SW_SX_S14_S18_S1A_T6_T7_T9_mT8_S1C_bDpT10_ENKUlT_T0_E_clISt17integral_constantIbLb0EES1O_IbLb1EEEEDaS1K_S1L_EUlS1K_E_NS1_11comp_targetILNS1_3genE4ELNS1_11target_archE910ELNS1_3gpuE8ELNS1_3repE0EEENS1_30default_config_static_selectorELNS0_4arch9wavefront6targetE0EEEvSY_,"axG",@progbits,_ZN7rocprim17ROCPRIM_400000_NS6detail17trampoline_kernelINS0_13select_configILj256ELj13ELNS0_17block_load_methodE3ELS4_3ELS4_3ELNS0_20block_scan_algorithmE0ELj4294967295EEENS1_25partition_config_selectorILNS1_17partition_subalgoE3EjNS0_10empty_typeEbEEZZNS1_14partition_implILS8_3ELb0ES6_jNS0_17counting_iteratorIjlEEPS9_SE_NS0_5tupleIJPjSE_EEENSF_IJSE_SE_EEES9_SG_JZNS1_25segmented_radix_sort_implINS0_14default_configELb0EPKdPdPKlPlN2at6native12_GLOBAL__N_18offset_tEEE10hipError_tPvRmT1_PNSt15iterator_traitsISY_E10value_typeET2_T3_PNSZ_IS14_E10value_typeET4_jRbjT5_S1A_jjP12ihipStream_tbEUljE_EEESV_SW_SX_S14_S18_S1A_T6_T7_T9_mT8_S1C_bDpT10_ENKUlT_T0_E_clISt17integral_constantIbLb0EES1O_IbLb1EEEEDaS1K_S1L_EUlS1K_E_NS1_11comp_targetILNS1_3genE4ELNS1_11target_archE910ELNS1_3gpuE8ELNS1_3repE0EEENS1_30default_config_static_selectorELNS0_4arch9wavefront6targetE0EEEvSY_,comdat
	.globl	_ZN7rocprim17ROCPRIM_400000_NS6detail17trampoline_kernelINS0_13select_configILj256ELj13ELNS0_17block_load_methodE3ELS4_3ELS4_3ELNS0_20block_scan_algorithmE0ELj4294967295EEENS1_25partition_config_selectorILNS1_17partition_subalgoE3EjNS0_10empty_typeEbEEZZNS1_14partition_implILS8_3ELb0ES6_jNS0_17counting_iteratorIjlEEPS9_SE_NS0_5tupleIJPjSE_EEENSF_IJSE_SE_EEES9_SG_JZNS1_25segmented_radix_sort_implINS0_14default_configELb0EPKdPdPKlPlN2at6native12_GLOBAL__N_18offset_tEEE10hipError_tPvRmT1_PNSt15iterator_traitsISY_E10value_typeET2_T3_PNSZ_IS14_E10value_typeET4_jRbjT5_S1A_jjP12ihipStream_tbEUljE_EEESV_SW_SX_S14_S18_S1A_T6_T7_T9_mT8_S1C_bDpT10_ENKUlT_T0_E_clISt17integral_constantIbLb0EES1O_IbLb1EEEEDaS1K_S1L_EUlS1K_E_NS1_11comp_targetILNS1_3genE4ELNS1_11target_archE910ELNS1_3gpuE8ELNS1_3repE0EEENS1_30default_config_static_selectorELNS0_4arch9wavefront6targetE0EEEvSY_ ; -- Begin function _ZN7rocprim17ROCPRIM_400000_NS6detail17trampoline_kernelINS0_13select_configILj256ELj13ELNS0_17block_load_methodE3ELS4_3ELS4_3ELNS0_20block_scan_algorithmE0ELj4294967295EEENS1_25partition_config_selectorILNS1_17partition_subalgoE3EjNS0_10empty_typeEbEEZZNS1_14partition_implILS8_3ELb0ES6_jNS0_17counting_iteratorIjlEEPS9_SE_NS0_5tupleIJPjSE_EEENSF_IJSE_SE_EEES9_SG_JZNS1_25segmented_radix_sort_implINS0_14default_configELb0EPKdPdPKlPlN2at6native12_GLOBAL__N_18offset_tEEE10hipError_tPvRmT1_PNSt15iterator_traitsISY_E10value_typeET2_T3_PNSZ_IS14_E10value_typeET4_jRbjT5_S1A_jjP12ihipStream_tbEUljE_EEESV_SW_SX_S14_S18_S1A_T6_T7_T9_mT8_S1C_bDpT10_ENKUlT_T0_E_clISt17integral_constantIbLb0EES1O_IbLb1EEEEDaS1K_S1L_EUlS1K_E_NS1_11comp_targetILNS1_3genE4ELNS1_11target_archE910ELNS1_3gpuE8ELNS1_3repE0EEENS1_30default_config_static_selectorELNS0_4arch9wavefront6targetE0EEEvSY_
	.p2align	8
	.type	_ZN7rocprim17ROCPRIM_400000_NS6detail17trampoline_kernelINS0_13select_configILj256ELj13ELNS0_17block_load_methodE3ELS4_3ELS4_3ELNS0_20block_scan_algorithmE0ELj4294967295EEENS1_25partition_config_selectorILNS1_17partition_subalgoE3EjNS0_10empty_typeEbEEZZNS1_14partition_implILS8_3ELb0ES6_jNS0_17counting_iteratorIjlEEPS9_SE_NS0_5tupleIJPjSE_EEENSF_IJSE_SE_EEES9_SG_JZNS1_25segmented_radix_sort_implINS0_14default_configELb0EPKdPdPKlPlN2at6native12_GLOBAL__N_18offset_tEEE10hipError_tPvRmT1_PNSt15iterator_traitsISY_E10value_typeET2_T3_PNSZ_IS14_E10value_typeET4_jRbjT5_S1A_jjP12ihipStream_tbEUljE_EEESV_SW_SX_S14_S18_S1A_T6_T7_T9_mT8_S1C_bDpT10_ENKUlT_T0_E_clISt17integral_constantIbLb0EES1O_IbLb1EEEEDaS1K_S1L_EUlS1K_E_NS1_11comp_targetILNS1_3genE4ELNS1_11target_archE910ELNS1_3gpuE8ELNS1_3repE0EEENS1_30default_config_static_selectorELNS0_4arch9wavefront6targetE0EEEvSY_,@function
_ZN7rocprim17ROCPRIM_400000_NS6detail17trampoline_kernelINS0_13select_configILj256ELj13ELNS0_17block_load_methodE3ELS4_3ELS4_3ELNS0_20block_scan_algorithmE0ELj4294967295EEENS1_25partition_config_selectorILNS1_17partition_subalgoE3EjNS0_10empty_typeEbEEZZNS1_14partition_implILS8_3ELb0ES6_jNS0_17counting_iteratorIjlEEPS9_SE_NS0_5tupleIJPjSE_EEENSF_IJSE_SE_EEES9_SG_JZNS1_25segmented_radix_sort_implINS0_14default_configELb0EPKdPdPKlPlN2at6native12_GLOBAL__N_18offset_tEEE10hipError_tPvRmT1_PNSt15iterator_traitsISY_E10value_typeET2_T3_PNSZ_IS14_E10value_typeET4_jRbjT5_S1A_jjP12ihipStream_tbEUljE_EEESV_SW_SX_S14_S18_S1A_T6_T7_T9_mT8_S1C_bDpT10_ENKUlT_T0_E_clISt17integral_constantIbLb0EES1O_IbLb1EEEEDaS1K_S1L_EUlS1K_E_NS1_11comp_targetILNS1_3genE4ELNS1_11target_archE910ELNS1_3gpuE8ELNS1_3repE0EEENS1_30default_config_static_selectorELNS0_4arch9wavefront6targetE0EEEvSY_: ; @_ZN7rocprim17ROCPRIM_400000_NS6detail17trampoline_kernelINS0_13select_configILj256ELj13ELNS0_17block_load_methodE3ELS4_3ELS4_3ELNS0_20block_scan_algorithmE0ELj4294967295EEENS1_25partition_config_selectorILNS1_17partition_subalgoE3EjNS0_10empty_typeEbEEZZNS1_14partition_implILS8_3ELb0ES6_jNS0_17counting_iteratorIjlEEPS9_SE_NS0_5tupleIJPjSE_EEENSF_IJSE_SE_EEES9_SG_JZNS1_25segmented_radix_sort_implINS0_14default_configELb0EPKdPdPKlPlN2at6native12_GLOBAL__N_18offset_tEEE10hipError_tPvRmT1_PNSt15iterator_traitsISY_E10value_typeET2_T3_PNSZ_IS14_E10value_typeET4_jRbjT5_S1A_jjP12ihipStream_tbEUljE_EEESV_SW_SX_S14_S18_S1A_T6_T7_T9_mT8_S1C_bDpT10_ENKUlT_T0_E_clISt17integral_constantIbLb0EES1O_IbLb1EEEEDaS1K_S1L_EUlS1K_E_NS1_11comp_targetILNS1_3genE4ELNS1_11target_archE910ELNS1_3gpuE8ELNS1_3repE0EEENS1_30default_config_static_selectorELNS0_4arch9wavefront6targetE0EEEvSY_
; %bb.0:
	.section	.rodata,"a",@progbits
	.p2align	6, 0x0
	.amdhsa_kernel _ZN7rocprim17ROCPRIM_400000_NS6detail17trampoline_kernelINS0_13select_configILj256ELj13ELNS0_17block_load_methodE3ELS4_3ELS4_3ELNS0_20block_scan_algorithmE0ELj4294967295EEENS1_25partition_config_selectorILNS1_17partition_subalgoE3EjNS0_10empty_typeEbEEZZNS1_14partition_implILS8_3ELb0ES6_jNS0_17counting_iteratorIjlEEPS9_SE_NS0_5tupleIJPjSE_EEENSF_IJSE_SE_EEES9_SG_JZNS1_25segmented_radix_sort_implINS0_14default_configELb0EPKdPdPKlPlN2at6native12_GLOBAL__N_18offset_tEEE10hipError_tPvRmT1_PNSt15iterator_traitsISY_E10value_typeET2_T3_PNSZ_IS14_E10value_typeET4_jRbjT5_S1A_jjP12ihipStream_tbEUljE_EEESV_SW_SX_S14_S18_S1A_T6_T7_T9_mT8_S1C_bDpT10_ENKUlT_T0_E_clISt17integral_constantIbLb0EES1O_IbLb1EEEEDaS1K_S1L_EUlS1K_E_NS1_11comp_targetILNS1_3genE4ELNS1_11target_archE910ELNS1_3gpuE8ELNS1_3repE0EEENS1_30default_config_static_selectorELNS0_4arch9wavefront6targetE0EEEvSY_
		.amdhsa_group_segment_fixed_size 0
		.amdhsa_private_segment_fixed_size 0
		.amdhsa_kernarg_size 152
		.amdhsa_user_sgpr_count 6
		.amdhsa_user_sgpr_private_segment_buffer 1
		.amdhsa_user_sgpr_dispatch_ptr 0
		.amdhsa_user_sgpr_queue_ptr 0
		.amdhsa_user_sgpr_kernarg_segment_ptr 1
		.amdhsa_user_sgpr_dispatch_id 0
		.amdhsa_user_sgpr_flat_scratch_init 0
		.amdhsa_user_sgpr_private_segment_size 0
		.amdhsa_wavefront_size32 1
		.amdhsa_uses_dynamic_stack 0
		.amdhsa_system_sgpr_private_segment_wavefront_offset 0
		.amdhsa_system_sgpr_workgroup_id_x 1
		.amdhsa_system_sgpr_workgroup_id_y 0
		.amdhsa_system_sgpr_workgroup_id_z 0
		.amdhsa_system_sgpr_workgroup_info 0
		.amdhsa_system_vgpr_workitem_id 0
		.amdhsa_next_free_vgpr 1
		.amdhsa_next_free_sgpr 1
		.amdhsa_reserve_vcc 0
		.amdhsa_reserve_flat_scratch 0
		.amdhsa_float_round_mode_32 0
		.amdhsa_float_round_mode_16_64 0
		.amdhsa_float_denorm_mode_32 3
		.amdhsa_float_denorm_mode_16_64 3
		.amdhsa_dx10_clamp 1
		.amdhsa_ieee_mode 1
		.amdhsa_fp16_overflow 0
		.amdhsa_workgroup_processor_mode 1
		.amdhsa_memory_ordered 1
		.amdhsa_forward_progress 1
		.amdhsa_shared_vgpr_count 0
		.amdhsa_exception_fp_ieee_invalid_op 0
		.amdhsa_exception_fp_denorm_src 0
		.amdhsa_exception_fp_ieee_div_zero 0
		.amdhsa_exception_fp_ieee_overflow 0
		.amdhsa_exception_fp_ieee_underflow 0
		.amdhsa_exception_fp_ieee_inexact 0
		.amdhsa_exception_int_div_zero 0
	.end_amdhsa_kernel
	.section	.text._ZN7rocprim17ROCPRIM_400000_NS6detail17trampoline_kernelINS0_13select_configILj256ELj13ELNS0_17block_load_methodE3ELS4_3ELS4_3ELNS0_20block_scan_algorithmE0ELj4294967295EEENS1_25partition_config_selectorILNS1_17partition_subalgoE3EjNS0_10empty_typeEbEEZZNS1_14partition_implILS8_3ELb0ES6_jNS0_17counting_iteratorIjlEEPS9_SE_NS0_5tupleIJPjSE_EEENSF_IJSE_SE_EEES9_SG_JZNS1_25segmented_radix_sort_implINS0_14default_configELb0EPKdPdPKlPlN2at6native12_GLOBAL__N_18offset_tEEE10hipError_tPvRmT1_PNSt15iterator_traitsISY_E10value_typeET2_T3_PNSZ_IS14_E10value_typeET4_jRbjT5_S1A_jjP12ihipStream_tbEUljE_EEESV_SW_SX_S14_S18_S1A_T6_T7_T9_mT8_S1C_bDpT10_ENKUlT_T0_E_clISt17integral_constantIbLb0EES1O_IbLb1EEEEDaS1K_S1L_EUlS1K_E_NS1_11comp_targetILNS1_3genE4ELNS1_11target_archE910ELNS1_3gpuE8ELNS1_3repE0EEENS1_30default_config_static_selectorELNS0_4arch9wavefront6targetE0EEEvSY_,"axG",@progbits,_ZN7rocprim17ROCPRIM_400000_NS6detail17trampoline_kernelINS0_13select_configILj256ELj13ELNS0_17block_load_methodE3ELS4_3ELS4_3ELNS0_20block_scan_algorithmE0ELj4294967295EEENS1_25partition_config_selectorILNS1_17partition_subalgoE3EjNS0_10empty_typeEbEEZZNS1_14partition_implILS8_3ELb0ES6_jNS0_17counting_iteratorIjlEEPS9_SE_NS0_5tupleIJPjSE_EEENSF_IJSE_SE_EEES9_SG_JZNS1_25segmented_radix_sort_implINS0_14default_configELb0EPKdPdPKlPlN2at6native12_GLOBAL__N_18offset_tEEE10hipError_tPvRmT1_PNSt15iterator_traitsISY_E10value_typeET2_T3_PNSZ_IS14_E10value_typeET4_jRbjT5_S1A_jjP12ihipStream_tbEUljE_EEESV_SW_SX_S14_S18_S1A_T6_T7_T9_mT8_S1C_bDpT10_ENKUlT_T0_E_clISt17integral_constantIbLb0EES1O_IbLb1EEEEDaS1K_S1L_EUlS1K_E_NS1_11comp_targetILNS1_3genE4ELNS1_11target_archE910ELNS1_3gpuE8ELNS1_3repE0EEENS1_30default_config_static_selectorELNS0_4arch9wavefront6targetE0EEEvSY_,comdat
.Lfunc_end1207:
	.size	_ZN7rocprim17ROCPRIM_400000_NS6detail17trampoline_kernelINS0_13select_configILj256ELj13ELNS0_17block_load_methodE3ELS4_3ELS4_3ELNS0_20block_scan_algorithmE0ELj4294967295EEENS1_25partition_config_selectorILNS1_17partition_subalgoE3EjNS0_10empty_typeEbEEZZNS1_14partition_implILS8_3ELb0ES6_jNS0_17counting_iteratorIjlEEPS9_SE_NS0_5tupleIJPjSE_EEENSF_IJSE_SE_EEES9_SG_JZNS1_25segmented_radix_sort_implINS0_14default_configELb0EPKdPdPKlPlN2at6native12_GLOBAL__N_18offset_tEEE10hipError_tPvRmT1_PNSt15iterator_traitsISY_E10value_typeET2_T3_PNSZ_IS14_E10value_typeET4_jRbjT5_S1A_jjP12ihipStream_tbEUljE_EEESV_SW_SX_S14_S18_S1A_T6_T7_T9_mT8_S1C_bDpT10_ENKUlT_T0_E_clISt17integral_constantIbLb0EES1O_IbLb1EEEEDaS1K_S1L_EUlS1K_E_NS1_11comp_targetILNS1_3genE4ELNS1_11target_archE910ELNS1_3gpuE8ELNS1_3repE0EEENS1_30default_config_static_selectorELNS0_4arch9wavefront6targetE0EEEvSY_, .Lfunc_end1207-_ZN7rocprim17ROCPRIM_400000_NS6detail17trampoline_kernelINS0_13select_configILj256ELj13ELNS0_17block_load_methodE3ELS4_3ELS4_3ELNS0_20block_scan_algorithmE0ELj4294967295EEENS1_25partition_config_selectorILNS1_17partition_subalgoE3EjNS0_10empty_typeEbEEZZNS1_14partition_implILS8_3ELb0ES6_jNS0_17counting_iteratorIjlEEPS9_SE_NS0_5tupleIJPjSE_EEENSF_IJSE_SE_EEES9_SG_JZNS1_25segmented_radix_sort_implINS0_14default_configELb0EPKdPdPKlPlN2at6native12_GLOBAL__N_18offset_tEEE10hipError_tPvRmT1_PNSt15iterator_traitsISY_E10value_typeET2_T3_PNSZ_IS14_E10value_typeET4_jRbjT5_S1A_jjP12ihipStream_tbEUljE_EEESV_SW_SX_S14_S18_S1A_T6_T7_T9_mT8_S1C_bDpT10_ENKUlT_T0_E_clISt17integral_constantIbLb0EES1O_IbLb1EEEEDaS1K_S1L_EUlS1K_E_NS1_11comp_targetILNS1_3genE4ELNS1_11target_archE910ELNS1_3gpuE8ELNS1_3repE0EEENS1_30default_config_static_selectorELNS0_4arch9wavefront6targetE0EEEvSY_
                                        ; -- End function
	.set _ZN7rocprim17ROCPRIM_400000_NS6detail17trampoline_kernelINS0_13select_configILj256ELj13ELNS0_17block_load_methodE3ELS4_3ELS4_3ELNS0_20block_scan_algorithmE0ELj4294967295EEENS1_25partition_config_selectorILNS1_17partition_subalgoE3EjNS0_10empty_typeEbEEZZNS1_14partition_implILS8_3ELb0ES6_jNS0_17counting_iteratorIjlEEPS9_SE_NS0_5tupleIJPjSE_EEENSF_IJSE_SE_EEES9_SG_JZNS1_25segmented_radix_sort_implINS0_14default_configELb0EPKdPdPKlPlN2at6native12_GLOBAL__N_18offset_tEEE10hipError_tPvRmT1_PNSt15iterator_traitsISY_E10value_typeET2_T3_PNSZ_IS14_E10value_typeET4_jRbjT5_S1A_jjP12ihipStream_tbEUljE_EEESV_SW_SX_S14_S18_S1A_T6_T7_T9_mT8_S1C_bDpT10_ENKUlT_T0_E_clISt17integral_constantIbLb0EES1O_IbLb1EEEEDaS1K_S1L_EUlS1K_E_NS1_11comp_targetILNS1_3genE4ELNS1_11target_archE910ELNS1_3gpuE8ELNS1_3repE0EEENS1_30default_config_static_selectorELNS0_4arch9wavefront6targetE0EEEvSY_.num_vgpr, 0
	.set _ZN7rocprim17ROCPRIM_400000_NS6detail17trampoline_kernelINS0_13select_configILj256ELj13ELNS0_17block_load_methodE3ELS4_3ELS4_3ELNS0_20block_scan_algorithmE0ELj4294967295EEENS1_25partition_config_selectorILNS1_17partition_subalgoE3EjNS0_10empty_typeEbEEZZNS1_14partition_implILS8_3ELb0ES6_jNS0_17counting_iteratorIjlEEPS9_SE_NS0_5tupleIJPjSE_EEENSF_IJSE_SE_EEES9_SG_JZNS1_25segmented_radix_sort_implINS0_14default_configELb0EPKdPdPKlPlN2at6native12_GLOBAL__N_18offset_tEEE10hipError_tPvRmT1_PNSt15iterator_traitsISY_E10value_typeET2_T3_PNSZ_IS14_E10value_typeET4_jRbjT5_S1A_jjP12ihipStream_tbEUljE_EEESV_SW_SX_S14_S18_S1A_T6_T7_T9_mT8_S1C_bDpT10_ENKUlT_T0_E_clISt17integral_constantIbLb0EES1O_IbLb1EEEEDaS1K_S1L_EUlS1K_E_NS1_11comp_targetILNS1_3genE4ELNS1_11target_archE910ELNS1_3gpuE8ELNS1_3repE0EEENS1_30default_config_static_selectorELNS0_4arch9wavefront6targetE0EEEvSY_.num_agpr, 0
	.set _ZN7rocprim17ROCPRIM_400000_NS6detail17trampoline_kernelINS0_13select_configILj256ELj13ELNS0_17block_load_methodE3ELS4_3ELS4_3ELNS0_20block_scan_algorithmE0ELj4294967295EEENS1_25partition_config_selectorILNS1_17partition_subalgoE3EjNS0_10empty_typeEbEEZZNS1_14partition_implILS8_3ELb0ES6_jNS0_17counting_iteratorIjlEEPS9_SE_NS0_5tupleIJPjSE_EEENSF_IJSE_SE_EEES9_SG_JZNS1_25segmented_radix_sort_implINS0_14default_configELb0EPKdPdPKlPlN2at6native12_GLOBAL__N_18offset_tEEE10hipError_tPvRmT1_PNSt15iterator_traitsISY_E10value_typeET2_T3_PNSZ_IS14_E10value_typeET4_jRbjT5_S1A_jjP12ihipStream_tbEUljE_EEESV_SW_SX_S14_S18_S1A_T6_T7_T9_mT8_S1C_bDpT10_ENKUlT_T0_E_clISt17integral_constantIbLb0EES1O_IbLb1EEEEDaS1K_S1L_EUlS1K_E_NS1_11comp_targetILNS1_3genE4ELNS1_11target_archE910ELNS1_3gpuE8ELNS1_3repE0EEENS1_30default_config_static_selectorELNS0_4arch9wavefront6targetE0EEEvSY_.numbered_sgpr, 0
	.set _ZN7rocprim17ROCPRIM_400000_NS6detail17trampoline_kernelINS0_13select_configILj256ELj13ELNS0_17block_load_methodE3ELS4_3ELS4_3ELNS0_20block_scan_algorithmE0ELj4294967295EEENS1_25partition_config_selectorILNS1_17partition_subalgoE3EjNS0_10empty_typeEbEEZZNS1_14partition_implILS8_3ELb0ES6_jNS0_17counting_iteratorIjlEEPS9_SE_NS0_5tupleIJPjSE_EEENSF_IJSE_SE_EEES9_SG_JZNS1_25segmented_radix_sort_implINS0_14default_configELb0EPKdPdPKlPlN2at6native12_GLOBAL__N_18offset_tEEE10hipError_tPvRmT1_PNSt15iterator_traitsISY_E10value_typeET2_T3_PNSZ_IS14_E10value_typeET4_jRbjT5_S1A_jjP12ihipStream_tbEUljE_EEESV_SW_SX_S14_S18_S1A_T6_T7_T9_mT8_S1C_bDpT10_ENKUlT_T0_E_clISt17integral_constantIbLb0EES1O_IbLb1EEEEDaS1K_S1L_EUlS1K_E_NS1_11comp_targetILNS1_3genE4ELNS1_11target_archE910ELNS1_3gpuE8ELNS1_3repE0EEENS1_30default_config_static_selectorELNS0_4arch9wavefront6targetE0EEEvSY_.num_named_barrier, 0
	.set _ZN7rocprim17ROCPRIM_400000_NS6detail17trampoline_kernelINS0_13select_configILj256ELj13ELNS0_17block_load_methodE3ELS4_3ELS4_3ELNS0_20block_scan_algorithmE0ELj4294967295EEENS1_25partition_config_selectorILNS1_17partition_subalgoE3EjNS0_10empty_typeEbEEZZNS1_14partition_implILS8_3ELb0ES6_jNS0_17counting_iteratorIjlEEPS9_SE_NS0_5tupleIJPjSE_EEENSF_IJSE_SE_EEES9_SG_JZNS1_25segmented_radix_sort_implINS0_14default_configELb0EPKdPdPKlPlN2at6native12_GLOBAL__N_18offset_tEEE10hipError_tPvRmT1_PNSt15iterator_traitsISY_E10value_typeET2_T3_PNSZ_IS14_E10value_typeET4_jRbjT5_S1A_jjP12ihipStream_tbEUljE_EEESV_SW_SX_S14_S18_S1A_T6_T7_T9_mT8_S1C_bDpT10_ENKUlT_T0_E_clISt17integral_constantIbLb0EES1O_IbLb1EEEEDaS1K_S1L_EUlS1K_E_NS1_11comp_targetILNS1_3genE4ELNS1_11target_archE910ELNS1_3gpuE8ELNS1_3repE0EEENS1_30default_config_static_selectorELNS0_4arch9wavefront6targetE0EEEvSY_.private_seg_size, 0
	.set _ZN7rocprim17ROCPRIM_400000_NS6detail17trampoline_kernelINS0_13select_configILj256ELj13ELNS0_17block_load_methodE3ELS4_3ELS4_3ELNS0_20block_scan_algorithmE0ELj4294967295EEENS1_25partition_config_selectorILNS1_17partition_subalgoE3EjNS0_10empty_typeEbEEZZNS1_14partition_implILS8_3ELb0ES6_jNS0_17counting_iteratorIjlEEPS9_SE_NS0_5tupleIJPjSE_EEENSF_IJSE_SE_EEES9_SG_JZNS1_25segmented_radix_sort_implINS0_14default_configELb0EPKdPdPKlPlN2at6native12_GLOBAL__N_18offset_tEEE10hipError_tPvRmT1_PNSt15iterator_traitsISY_E10value_typeET2_T3_PNSZ_IS14_E10value_typeET4_jRbjT5_S1A_jjP12ihipStream_tbEUljE_EEESV_SW_SX_S14_S18_S1A_T6_T7_T9_mT8_S1C_bDpT10_ENKUlT_T0_E_clISt17integral_constantIbLb0EES1O_IbLb1EEEEDaS1K_S1L_EUlS1K_E_NS1_11comp_targetILNS1_3genE4ELNS1_11target_archE910ELNS1_3gpuE8ELNS1_3repE0EEENS1_30default_config_static_selectorELNS0_4arch9wavefront6targetE0EEEvSY_.uses_vcc, 0
	.set _ZN7rocprim17ROCPRIM_400000_NS6detail17trampoline_kernelINS0_13select_configILj256ELj13ELNS0_17block_load_methodE3ELS4_3ELS4_3ELNS0_20block_scan_algorithmE0ELj4294967295EEENS1_25partition_config_selectorILNS1_17partition_subalgoE3EjNS0_10empty_typeEbEEZZNS1_14partition_implILS8_3ELb0ES6_jNS0_17counting_iteratorIjlEEPS9_SE_NS0_5tupleIJPjSE_EEENSF_IJSE_SE_EEES9_SG_JZNS1_25segmented_radix_sort_implINS0_14default_configELb0EPKdPdPKlPlN2at6native12_GLOBAL__N_18offset_tEEE10hipError_tPvRmT1_PNSt15iterator_traitsISY_E10value_typeET2_T3_PNSZ_IS14_E10value_typeET4_jRbjT5_S1A_jjP12ihipStream_tbEUljE_EEESV_SW_SX_S14_S18_S1A_T6_T7_T9_mT8_S1C_bDpT10_ENKUlT_T0_E_clISt17integral_constantIbLb0EES1O_IbLb1EEEEDaS1K_S1L_EUlS1K_E_NS1_11comp_targetILNS1_3genE4ELNS1_11target_archE910ELNS1_3gpuE8ELNS1_3repE0EEENS1_30default_config_static_selectorELNS0_4arch9wavefront6targetE0EEEvSY_.uses_flat_scratch, 0
	.set _ZN7rocprim17ROCPRIM_400000_NS6detail17trampoline_kernelINS0_13select_configILj256ELj13ELNS0_17block_load_methodE3ELS4_3ELS4_3ELNS0_20block_scan_algorithmE0ELj4294967295EEENS1_25partition_config_selectorILNS1_17partition_subalgoE3EjNS0_10empty_typeEbEEZZNS1_14partition_implILS8_3ELb0ES6_jNS0_17counting_iteratorIjlEEPS9_SE_NS0_5tupleIJPjSE_EEENSF_IJSE_SE_EEES9_SG_JZNS1_25segmented_radix_sort_implINS0_14default_configELb0EPKdPdPKlPlN2at6native12_GLOBAL__N_18offset_tEEE10hipError_tPvRmT1_PNSt15iterator_traitsISY_E10value_typeET2_T3_PNSZ_IS14_E10value_typeET4_jRbjT5_S1A_jjP12ihipStream_tbEUljE_EEESV_SW_SX_S14_S18_S1A_T6_T7_T9_mT8_S1C_bDpT10_ENKUlT_T0_E_clISt17integral_constantIbLb0EES1O_IbLb1EEEEDaS1K_S1L_EUlS1K_E_NS1_11comp_targetILNS1_3genE4ELNS1_11target_archE910ELNS1_3gpuE8ELNS1_3repE0EEENS1_30default_config_static_selectorELNS0_4arch9wavefront6targetE0EEEvSY_.has_dyn_sized_stack, 0
	.set _ZN7rocprim17ROCPRIM_400000_NS6detail17trampoline_kernelINS0_13select_configILj256ELj13ELNS0_17block_load_methodE3ELS4_3ELS4_3ELNS0_20block_scan_algorithmE0ELj4294967295EEENS1_25partition_config_selectorILNS1_17partition_subalgoE3EjNS0_10empty_typeEbEEZZNS1_14partition_implILS8_3ELb0ES6_jNS0_17counting_iteratorIjlEEPS9_SE_NS0_5tupleIJPjSE_EEENSF_IJSE_SE_EEES9_SG_JZNS1_25segmented_radix_sort_implINS0_14default_configELb0EPKdPdPKlPlN2at6native12_GLOBAL__N_18offset_tEEE10hipError_tPvRmT1_PNSt15iterator_traitsISY_E10value_typeET2_T3_PNSZ_IS14_E10value_typeET4_jRbjT5_S1A_jjP12ihipStream_tbEUljE_EEESV_SW_SX_S14_S18_S1A_T6_T7_T9_mT8_S1C_bDpT10_ENKUlT_T0_E_clISt17integral_constantIbLb0EES1O_IbLb1EEEEDaS1K_S1L_EUlS1K_E_NS1_11comp_targetILNS1_3genE4ELNS1_11target_archE910ELNS1_3gpuE8ELNS1_3repE0EEENS1_30default_config_static_selectorELNS0_4arch9wavefront6targetE0EEEvSY_.has_recursion, 0
	.set _ZN7rocprim17ROCPRIM_400000_NS6detail17trampoline_kernelINS0_13select_configILj256ELj13ELNS0_17block_load_methodE3ELS4_3ELS4_3ELNS0_20block_scan_algorithmE0ELj4294967295EEENS1_25partition_config_selectorILNS1_17partition_subalgoE3EjNS0_10empty_typeEbEEZZNS1_14partition_implILS8_3ELb0ES6_jNS0_17counting_iteratorIjlEEPS9_SE_NS0_5tupleIJPjSE_EEENSF_IJSE_SE_EEES9_SG_JZNS1_25segmented_radix_sort_implINS0_14default_configELb0EPKdPdPKlPlN2at6native12_GLOBAL__N_18offset_tEEE10hipError_tPvRmT1_PNSt15iterator_traitsISY_E10value_typeET2_T3_PNSZ_IS14_E10value_typeET4_jRbjT5_S1A_jjP12ihipStream_tbEUljE_EEESV_SW_SX_S14_S18_S1A_T6_T7_T9_mT8_S1C_bDpT10_ENKUlT_T0_E_clISt17integral_constantIbLb0EES1O_IbLb1EEEEDaS1K_S1L_EUlS1K_E_NS1_11comp_targetILNS1_3genE4ELNS1_11target_archE910ELNS1_3gpuE8ELNS1_3repE0EEENS1_30default_config_static_selectorELNS0_4arch9wavefront6targetE0EEEvSY_.has_indirect_call, 0
	.section	.AMDGPU.csdata,"",@progbits
; Kernel info:
; codeLenInByte = 0
; TotalNumSgprs: 0
; NumVgprs: 0
; ScratchSize: 0
; MemoryBound: 0
; FloatMode: 240
; IeeeMode: 1
; LDSByteSize: 0 bytes/workgroup (compile time only)
; SGPRBlocks: 0
; VGPRBlocks: 0
; NumSGPRsForWavesPerEU: 1
; NumVGPRsForWavesPerEU: 1
; Occupancy: 16
; WaveLimiterHint : 0
; COMPUTE_PGM_RSRC2:SCRATCH_EN: 0
; COMPUTE_PGM_RSRC2:USER_SGPR: 6
; COMPUTE_PGM_RSRC2:TRAP_HANDLER: 0
; COMPUTE_PGM_RSRC2:TGID_X_EN: 1
; COMPUTE_PGM_RSRC2:TGID_Y_EN: 0
; COMPUTE_PGM_RSRC2:TGID_Z_EN: 0
; COMPUTE_PGM_RSRC2:TIDIG_COMP_CNT: 0
	.section	.text._ZN7rocprim17ROCPRIM_400000_NS6detail17trampoline_kernelINS0_13select_configILj256ELj13ELNS0_17block_load_methodE3ELS4_3ELS4_3ELNS0_20block_scan_algorithmE0ELj4294967295EEENS1_25partition_config_selectorILNS1_17partition_subalgoE3EjNS0_10empty_typeEbEEZZNS1_14partition_implILS8_3ELb0ES6_jNS0_17counting_iteratorIjlEEPS9_SE_NS0_5tupleIJPjSE_EEENSF_IJSE_SE_EEES9_SG_JZNS1_25segmented_radix_sort_implINS0_14default_configELb0EPKdPdPKlPlN2at6native12_GLOBAL__N_18offset_tEEE10hipError_tPvRmT1_PNSt15iterator_traitsISY_E10value_typeET2_T3_PNSZ_IS14_E10value_typeET4_jRbjT5_S1A_jjP12ihipStream_tbEUljE_EEESV_SW_SX_S14_S18_S1A_T6_T7_T9_mT8_S1C_bDpT10_ENKUlT_T0_E_clISt17integral_constantIbLb0EES1O_IbLb1EEEEDaS1K_S1L_EUlS1K_E_NS1_11comp_targetILNS1_3genE3ELNS1_11target_archE908ELNS1_3gpuE7ELNS1_3repE0EEENS1_30default_config_static_selectorELNS0_4arch9wavefront6targetE0EEEvSY_,"axG",@progbits,_ZN7rocprim17ROCPRIM_400000_NS6detail17trampoline_kernelINS0_13select_configILj256ELj13ELNS0_17block_load_methodE3ELS4_3ELS4_3ELNS0_20block_scan_algorithmE0ELj4294967295EEENS1_25partition_config_selectorILNS1_17partition_subalgoE3EjNS0_10empty_typeEbEEZZNS1_14partition_implILS8_3ELb0ES6_jNS0_17counting_iteratorIjlEEPS9_SE_NS0_5tupleIJPjSE_EEENSF_IJSE_SE_EEES9_SG_JZNS1_25segmented_radix_sort_implINS0_14default_configELb0EPKdPdPKlPlN2at6native12_GLOBAL__N_18offset_tEEE10hipError_tPvRmT1_PNSt15iterator_traitsISY_E10value_typeET2_T3_PNSZ_IS14_E10value_typeET4_jRbjT5_S1A_jjP12ihipStream_tbEUljE_EEESV_SW_SX_S14_S18_S1A_T6_T7_T9_mT8_S1C_bDpT10_ENKUlT_T0_E_clISt17integral_constantIbLb0EES1O_IbLb1EEEEDaS1K_S1L_EUlS1K_E_NS1_11comp_targetILNS1_3genE3ELNS1_11target_archE908ELNS1_3gpuE7ELNS1_3repE0EEENS1_30default_config_static_selectorELNS0_4arch9wavefront6targetE0EEEvSY_,comdat
	.globl	_ZN7rocprim17ROCPRIM_400000_NS6detail17trampoline_kernelINS0_13select_configILj256ELj13ELNS0_17block_load_methodE3ELS4_3ELS4_3ELNS0_20block_scan_algorithmE0ELj4294967295EEENS1_25partition_config_selectorILNS1_17partition_subalgoE3EjNS0_10empty_typeEbEEZZNS1_14partition_implILS8_3ELb0ES6_jNS0_17counting_iteratorIjlEEPS9_SE_NS0_5tupleIJPjSE_EEENSF_IJSE_SE_EEES9_SG_JZNS1_25segmented_radix_sort_implINS0_14default_configELb0EPKdPdPKlPlN2at6native12_GLOBAL__N_18offset_tEEE10hipError_tPvRmT1_PNSt15iterator_traitsISY_E10value_typeET2_T3_PNSZ_IS14_E10value_typeET4_jRbjT5_S1A_jjP12ihipStream_tbEUljE_EEESV_SW_SX_S14_S18_S1A_T6_T7_T9_mT8_S1C_bDpT10_ENKUlT_T0_E_clISt17integral_constantIbLb0EES1O_IbLb1EEEEDaS1K_S1L_EUlS1K_E_NS1_11comp_targetILNS1_3genE3ELNS1_11target_archE908ELNS1_3gpuE7ELNS1_3repE0EEENS1_30default_config_static_selectorELNS0_4arch9wavefront6targetE0EEEvSY_ ; -- Begin function _ZN7rocprim17ROCPRIM_400000_NS6detail17trampoline_kernelINS0_13select_configILj256ELj13ELNS0_17block_load_methodE3ELS4_3ELS4_3ELNS0_20block_scan_algorithmE0ELj4294967295EEENS1_25partition_config_selectorILNS1_17partition_subalgoE3EjNS0_10empty_typeEbEEZZNS1_14partition_implILS8_3ELb0ES6_jNS0_17counting_iteratorIjlEEPS9_SE_NS0_5tupleIJPjSE_EEENSF_IJSE_SE_EEES9_SG_JZNS1_25segmented_radix_sort_implINS0_14default_configELb0EPKdPdPKlPlN2at6native12_GLOBAL__N_18offset_tEEE10hipError_tPvRmT1_PNSt15iterator_traitsISY_E10value_typeET2_T3_PNSZ_IS14_E10value_typeET4_jRbjT5_S1A_jjP12ihipStream_tbEUljE_EEESV_SW_SX_S14_S18_S1A_T6_T7_T9_mT8_S1C_bDpT10_ENKUlT_T0_E_clISt17integral_constantIbLb0EES1O_IbLb1EEEEDaS1K_S1L_EUlS1K_E_NS1_11comp_targetILNS1_3genE3ELNS1_11target_archE908ELNS1_3gpuE7ELNS1_3repE0EEENS1_30default_config_static_selectorELNS0_4arch9wavefront6targetE0EEEvSY_
	.p2align	8
	.type	_ZN7rocprim17ROCPRIM_400000_NS6detail17trampoline_kernelINS0_13select_configILj256ELj13ELNS0_17block_load_methodE3ELS4_3ELS4_3ELNS0_20block_scan_algorithmE0ELj4294967295EEENS1_25partition_config_selectorILNS1_17partition_subalgoE3EjNS0_10empty_typeEbEEZZNS1_14partition_implILS8_3ELb0ES6_jNS0_17counting_iteratorIjlEEPS9_SE_NS0_5tupleIJPjSE_EEENSF_IJSE_SE_EEES9_SG_JZNS1_25segmented_radix_sort_implINS0_14default_configELb0EPKdPdPKlPlN2at6native12_GLOBAL__N_18offset_tEEE10hipError_tPvRmT1_PNSt15iterator_traitsISY_E10value_typeET2_T3_PNSZ_IS14_E10value_typeET4_jRbjT5_S1A_jjP12ihipStream_tbEUljE_EEESV_SW_SX_S14_S18_S1A_T6_T7_T9_mT8_S1C_bDpT10_ENKUlT_T0_E_clISt17integral_constantIbLb0EES1O_IbLb1EEEEDaS1K_S1L_EUlS1K_E_NS1_11comp_targetILNS1_3genE3ELNS1_11target_archE908ELNS1_3gpuE7ELNS1_3repE0EEENS1_30default_config_static_selectorELNS0_4arch9wavefront6targetE0EEEvSY_,@function
_ZN7rocprim17ROCPRIM_400000_NS6detail17trampoline_kernelINS0_13select_configILj256ELj13ELNS0_17block_load_methodE3ELS4_3ELS4_3ELNS0_20block_scan_algorithmE0ELj4294967295EEENS1_25partition_config_selectorILNS1_17partition_subalgoE3EjNS0_10empty_typeEbEEZZNS1_14partition_implILS8_3ELb0ES6_jNS0_17counting_iteratorIjlEEPS9_SE_NS0_5tupleIJPjSE_EEENSF_IJSE_SE_EEES9_SG_JZNS1_25segmented_radix_sort_implINS0_14default_configELb0EPKdPdPKlPlN2at6native12_GLOBAL__N_18offset_tEEE10hipError_tPvRmT1_PNSt15iterator_traitsISY_E10value_typeET2_T3_PNSZ_IS14_E10value_typeET4_jRbjT5_S1A_jjP12ihipStream_tbEUljE_EEESV_SW_SX_S14_S18_S1A_T6_T7_T9_mT8_S1C_bDpT10_ENKUlT_T0_E_clISt17integral_constantIbLb0EES1O_IbLb1EEEEDaS1K_S1L_EUlS1K_E_NS1_11comp_targetILNS1_3genE3ELNS1_11target_archE908ELNS1_3gpuE7ELNS1_3repE0EEENS1_30default_config_static_selectorELNS0_4arch9wavefront6targetE0EEEvSY_: ; @_ZN7rocprim17ROCPRIM_400000_NS6detail17trampoline_kernelINS0_13select_configILj256ELj13ELNS0_17block_load_methodE3ELS4_3ELS4_3ELNS0_20block_scan_algorithmE0ELj4294967295EEENS1_25partition_config_selectorILNS1_17partition_subalgoE3EjNS0_10empty_typeEbEEZZNS1_14partition_implILS8_3ELb0ES6_jNS0_17counting_iteratorIjlEEPS9_SE_NS0_5tupleIJPjSE_EEENSF_IJSE_SE_EEES9_SG_JZNS1_25segmented_radix_sort_implINS0_14default_configELb0EPKdPdPKlPlN2at6native12_GLOBAL__N_18offset_tEEE10hipError_tPvRmT1_PNSt15iterator_traitsISY_E10value_typeET2_T3_PNSZ_IS14_E10value_typeET4_jRbjT5_S1A_jjP12ihipStream_tbEUljE_EEESV_SW_SX_S14_S18_S1A_T6_T7_T9_mT8_S1C_bDpT10_ENKUlT_T0_E_clISt17integral_constantIbLb0EES1O_IbLb1EEEEDaS1K_S1L_EUlS1K_E_NS1_11comp_targetILNS1_3genE3ELNS1_11target_archE908ELNS1_3gpuE7ELNS1_3repE0EEENS1_30default_config_static_selectorELNS0_4arch9wavefront6targetE0EEEvSY_
; %bb.0:
	.section	.rodata,"a",@progbits
	.p2align	6, 0x0
	.amdhsa_kernel _ZN7rocprim17ROCPRIM_400000_NS6detail17trampoline_kernelINS0_13select_configILj256ELj13ELNS0_17block_load_methodE3ELS4_3ELS4_3ELNS0_20block_scan_algorithmE0ELj4294967295EEENS1_25partition_config_selectorILNS1_17partition_subalgoE3EjNS0_10empty_typeEbEEZZNS1_14partition_implILS8_3ELb0ES6_jNS0_17counting_iteratorIjlEEPS9_SE_NS0_5tupleIJPjSE_EEENSF_IJSE_SE_EEES9_SG_JZNS1_25segmented_radix_sort_implINS0_14default_configELb0EPKdPdPKlPlN2at6native12_GLOBAL__N_18offset_tEEE10hipError_tPvRmT1_PNSt15iterator_traitsISY_E10value_typeET2_T3_PNSZ_IS14_E10value_typeET4_jRbjT5_S1A_jjP12ihipStream_tbEUljE_EEESV_SW_SX_S14_S18_S1A_T6_T7_T9_mT8_S1C_bDpT10_ENKUlT_T0_E_clISt17integral_constantIbLb0EES1O_IbLb1EEEEDaS1K_S1L_EUlS1K_E_NS1_11comp_targetILNS1_3genE3ELNS1_11target_archE908ELNS1_3gpuE7ELNS1_3repE0EEENS1_30default_config_static_selectorELNS0_4arch9wavefront6targetE0EEEvSY_
		.amdhsa_group_segment_fixed_size 0
		.amdhsa_private_segment_fixed_size 0
		.amdhsa_kernarg_size 152
		.amdhsa_user_sgpr_count 6
		.amdhsa_user_sgpr_private_segment_buffer 1
		.amdhsa_user_sgpr_dispatch_ptr 0
		.amdhsa_user_sgpr_queue_ptr 0
		.amdhsa_user_sgpr_kernarg_segment_ptr 1
		.amdhsa_user_sgpr_dispatch_id 0
		.amdhsa_user_sgpr_flat_scratch_init 0
		.amdhsa_user_sgpr_private_segment_size 0
		.amdhsa_wavefront_size32 1
		.amdhsa_uses_dynamic_stack 0
		.amdhsa_system_sgpr_private_segment_wavefront_offset 0
		.amdhsa_system_sgpr_workgroup_id_x 1
		.amdhsa_system_sgpr_workgroup_id_y 0
		.amdhsa_system_sgpr_workgroup_id_z 0
		.amdhsa_system_sgpr_workgroup_info 0
		.amdhsa_system_vgpr_workitem_id 0
		.amdhsa_next_free_vgpr 1
		.amdhsa_next_free_sgpr 1
		.amdhsa_reserve_vcc 0
		.amdhsa_reserve_flat_scratch 0
		.amdhsa_float_round_mode_32 0
		.amdhsa_float_round_mode_16_64 0
		.amdhsa_float_denorm_mode_32 3
		.amdhsa_float_denorm_mode_16_64 3
		.amdhsa_dx10_clamp 1
		.amdhsa_ieee_mode 1
		.amdhsa_fp16_overflow 0
		.amdhsa_workgroup_processor_mode 1
		.amdhsa_memory_ordered 1
		.amdhsa_forward_progress 1
		.amdhsa_shared_vgpr_count 0
		.amdhsa_exception_fp_ieee_invalid_op 0
		.amdhsa_exception_fp_denorm_src 0
		.amdhsa_exception_fp_ieee_div_zero 0
		.amdhsa_exception_fp_ieee_overflow 0
		.amdhsa_exception_fp_ieee_underflow 0
		.amdhsa_exception_fp_ieee_inexact 0
		.amdhsa_exception_int_div_zero 0
	.end_amdhsa_kernel
	.section	.text._ZN7rocprim17ROCPRIM_400000_NS6detail17trampoline_kernelINS0_13select_configILj256ELj13ELNS0_17block_load_methodE3ELS4_3ELS4_3ELNS0_20block_scan_algorithmE0ELj4294967295EEENS1_25partition_config_selectorILNS1_17partition_subalgoE3EjNS0_10empty_typeEbEEZZNS1_14partition_implILS8_3ELb0ES6_jNS0_17counting_iteratorIjlEEPS9_SE_NS0_5tupleIJPjSE_EEENSF_IJSE_SE_EEES9_SG_JZNS1_25segmented_radix_sort_implINS0_14default_configELb0EPKdPdPKlPlN2at6native12_GLOBAL__N_18offset_tEEE10hipError_tPvRmT1_PNSt15iterator_traitsISY_E10value_typeET2_T3_PNSZ_IS14_E10value_typeET4_jRbjT5_S1A_jjP12ihipStream_tbEUljE_EEESV_SW_SX_S14_S18_S1A_T6_T7_T9_mT8_S1C_bDpT10_ENKUlT_T0_E_clISt17integral_constantIbLb0EES1O_IbLb1EEEEDaS1K_S1L_EUlS1K_E_NS1_11comp_targetILNS1_3genE3ELNS1_11target_archE908ELNS1_3gpuE7ELNS1_3repE0EEENS1_30default_config_static_selectorELNS0_4arch9wavefront6targetE0EEEvSY_,"axG",@progbits,_ZN7rocprim17ROCPRIM_400000_NS6detail17trampoline_kernelINS0_13select_configILj256ELj13ELNS0_17block_load_methodE3ELS4_3ELS4_3ELNS0_20block_scan_algorithmE0ELj4294967295EEENS1_25partition_config_selectorILNS1_17partition_subalgoE3EjNS0_10empty_typeEbEEZZNS1_14partition_implILS8_3ELb0ES6_jNS0_17counting_iteratorIjlEEPS9_SE_NS0_5tupleIJPjSE_EEENSF_IJSE_SE_EEES9_SG_JZNS1_25segmented_radix_sort_implINS0_14default_configELb0EPKdPdPKlPlN2at6native12_GLOBAL__N_18offset_tEEE10hipError_tPvRmT1_PNSt15iterator_traitsISY_E10value_typeET2_T3_PNSZ_IS14_E10value_typeET4_jRbjT5_S1A_jjP12ihipStream_tbEUljE_EEESV_SW_SX_S14_S18_S1A_T6_T7_T9_mT8_S1C_bDpT10_ENKUlT_T0_E_clISt17integral_constantIbLb0EES1O_IbLb1EEEEDaS1K_S1L_EUlS1K_E_NS1_11comp_targetILNS1_3genE3ELNS1_11target_archE908ELNS1_3gpuE7ELNS1_3repE0EEENS1_30default_config_static_selectorELNS0_4arch9wavefront6targetE0EEEvSY_,comdat
.Lfunc_end1208:
	.size	_ZN7rocprim17ROCPRIM_400000_NS6detail17trampoline_kernelINS0_13select_configILj256ELj13ELNS0_17block_load_methodE3ELS4_3ELS4_3ELNS0_20block_scan_algorithmE0ELj4294967295EEENS1_25partition_config_selectorILNS1_17partition_subalgoE3EjNS0_10empty_typeEbEEZZNS1_14partition_implILS8_3ELb0ES6_jNS0_17counting_iteratorIjlEEPS9_SE_NS0_5tupleIJPjSE_EEENSF_IJSE_SE_EEES9_SG_JZNS1_25segmented_radix_sort_implINS0_14default_configELb0EPKdPdPKlPlN2at6native12_GLOBAL__N_18offset_tEEE10hipError_tPvRmT1_PNSt15iterator_traitsISY_E10value_typeET2_T3_PNSZ_IS14_E10value_typeET4_jRbjT5_S1A_jjP12ihipStream_tbEUljE_EEESV_SW_SX_S14_S18_S1A_T6_T7_T9_mT8_S1C_bDpT10_ENKUlT_T0_E_clISt17integral_constantIbLb0EES1O_IbLb1EEEEDaS1K_S1L_EUlS1K_E_NS1_11comp_targetILNS1_3genE3ELNS1_11target_archE908ELNS1_3gpuE7ELNS1_3repE0EEENS1_30default_config_static_selectorELNS0_4arch9wavefront6targetE0EEEvSY_, .Lfunc_end1208-_ZN7rocprim17ROCPRIM_400000_NS6detail17trampoline_kernelINS0_13select_configILj256ELj13ELNS0_17block_load_methodE3ELS4_3ELS4_3ELNS0_20block_scan_algorithmE0ELj4294967295EEENS1_25partition_config_selectorILNS1_17partition_subalgoE3EjNS0_10empty_typeEbEEZZNS1_14partition_implILS8_3ELb0ES6_jNS0_17counting_iteratorIjlEEPS9_SE_NS0_5tupleIJPjSE_EEENSF_IJSE_SE_EEES9_SG_JZNS1_25segmented_radix_sort_implINS0_14default_configELb0EPKdPdPKlPlN2at6native12_GLOBAL__N_18offset_tEEE10hipError_tPvRmT1_PNSt15iterator_traitsISY_E10value_typeET2_T3_PNSZ_IS14_E10value_typeET4_jRbjT5_S1A_jjP12ihipStream_tbEUljE_EEESV_SW_SX_S14_S18_S1A_T6_T7_T9_mT8_S1C_bDpT10_ENKUlT_T0_E_clISt17integral_constantIbLb0EES1O_IbLb1EEEEDaS1K_S1L_EUlS1K_E_NS1_11comp_targetILNS1_3genE3ELNS1_11target_archE908ELNS1_3gpuE7ELNS1_3repE0EEENS1_30default_config_static_selectorELNS0_4arch9wavefront6targetE0EEEvSY_
                                        ; -- End function
	.set _ZN7rocprim17ROCPRIM_400000_NS6detail17trampoline_kernelINS0_13select_configILj256ELj13ELNS0_17block_load_methodE3ELS4_3ELS4_3ELNS0_20block_scan_algorithmE0ELj4294967295EEENS1_25partition_config_selectorILNS1_17partition_subalgoE3EjNS0_10empty_typeEbEEZZNS1_14partition_implILS8_3ELb0ES6_jNS0_17counting_iteratorIjlEEPS9_SE_NS0_5tupleIJPjSE_EEENSF_IJSE_SE_EEES9_SG_JZNS1_25segmented_radix_sort_implINS0_14default_configELb0EPKdPdPKlPlN2at6native12_GLOBAL__N_18offset_tEEE10hipError_tPvRmT1_PNSt15iterator_traitsISY_E10value_typeET2_T3_PNSZ_IS14_E10value_typeET4_jRbjT5_S1A_jjP12ihipStream_tbEUljE_EEESV_SW_SX_S14_S18_S1A_T6_T7_T9_mT8_S1C_bDpT10_ENKUlT_T0_E_clISt17integral_constantIbLb0EES1O_IbLb1EEEEDaS1K_S1L_EUlS1K_E_NS1_11comp_targetILNS1_3genE3ELNS1_11target_archE908ELNS1_3gpuE7ELNS1_3repE0EEENS1_30default_config_static_selectorELNS0_4arch9wavefront6targetE0EEEvSY_.num_vgpr, 0
	.set _ZN7rocprim17ROCPRIM_400000_NS6detail17trampoline_kernelINS0_13select_configILj256ELj13ELNS0_17block_load_methodE3ELS4_3ELS4_3ELNS0_20block_scan_algorithmE0ELj4294967295EEENS1_25partition_config_selectorILNS1_17partition_subalgoE3EjNS0_10empty_typeEbEEZZNS1_14partition_implILS8_3ELb0ES6_jNS0_17counting_iteratorIjlEEPS9_SE_NS0_5tupleIJPjSE_EEENSF_IJSE_SE_EEES9_SG_JZNS1_25segmented_radix_sort_implINS0_14default_configELb0EPKdPdPKlPlN2at6native12_GLOBAL__N_18offset_tEEE10hipError_tPvRmT1_PNSt15iterator_traitsISY_E10value_typeET2_T3_PNSZ_IS14_E10value_typeET4_jRbjT5_S1A_jjP12ihipStream_tbEUljE_EEESV_SW_SX_S14_S18_S1A_T6_T7_T9_mT8_S1C_bDpT10_ENKUlT_T0_E_clISt17integral_constantIbLb0EES1O_IbLb1EEEEDaS1K_S1L_EUlS1K_E_NS1_11comp_targetILNS1_3genE3ELNS1_11target_archE908ELNS1_3gpuE7ELNS1_3repE0EEENS1_30default_config_static_selectorELNS0_4arch9wavefront6targetE0EEEvSY_.num_agpr, 0
	.set _ZN7rocprim17ROCPRIM_400000_NS6detail17trampoline_kernelINS0_13select_configILj256ELj13ELNS0_17block_load_methodE3ELS4_3ELS4_3ELNS0_20block_scan_algorithmE0ELj4294967295EEENS1_25partition_config_selectorILNS1_17partition_subalgoE3EjNS0_10empty_typeEbEEZZNS1_14partition_implILS8_3ELb0ES6_jNS0_17counting_iteratorIjlEEPS9_SE_NS0_5tupleIJPjSE_EEENSF_IJSE_SE_EEES9_SG_JZNS1_25segmented_radix_sort_implINS0_14default_configELb0EPKdPdPKlPlN2at6native12_GLOBAL__N_18offset_tEEE10hipError_tPvRmT1_PNSt15iterator_traitsISY_E10value_typeET2_T3_PNSZ_IS14_E10value_typeET4_jRbjT5_S1A_jjP12ihipStream_tbEUljE_EEESV_SW_SX_S14_S18_S1A_T6_T7_T9_mT8_S1C_bDpT10_ENKUlT_T0_E_clISt17integral_constantIbLb0EES1O_IbLb1EEEEDaS1K_S1L_EUlS1K_E_NS1_11comp_targetILNS1_3genE3ELNS1_11target_archE908ELNS1_3gpuE7ELNS1_3repE0EEENS1_30default_config_static_selectorELNS0_4arch9wavefront6targetE0EEEvSY_.numbered_sgpr, 0
	.set _ZN7rocprim17ROCPRIM_400000_NS6detail17trampoline_kernelINS0_13select_configILj256ELj13ELNS0_17block_load_methodE3ELS4_3ELS4_3ELNS0_20block_scan_algorithmE0ELj4294967295EEENS1_25partition_config_selectorILNS1_17partition_subalgoE3EjNS0_10empty_typeEbEEZZNS1_14partition_implILS8_3ELb0ES6_jNS0_17counting_iteratorIjlEEPS9_SE_NS0_5tupleIJPjSE_EEENSF_IJSE_SE_EEES9_SG_JZNS1_25segmented_radix_sort_implINS0_14default_configELb0EPKdPdPKlPlN2at6native12_GLOBAL__N_18offset_tEEE10hipError_tPvRmT1_PNSt15iterator_traitsISY_E10value_typeET2_T3_PNSZ_IS14_E10value_typeET4_jRbjT5_S1A_jjP12ihipStream_tbEUljE_EEESV_SW_SX_S14_S18_S1A_T6_T7_T9_mT8_S1C_bDpT10_ENKUlT_T0_E_clISt17integral_constantIbLb0EES1O_IbLb1EEEEDaS1K_S1L_EUlS1K_E_NS1_11comp_targetILNS1_3genE3ELNS1_11target_archE908ELNS1_3gpuE7ELNS1_3repE0EEENS1_30default_config_static_selectorELNS0_4arch9wavefront6targetE0EEEvSY_.num_named_barrier, 0
	.set _ZN7rocprim17ROCPRIM_400000_NS6detail17trampoline_kernelINS0_13select_configILj256ELj13ELNS0_17block_load_methodE3ELS4_3ELS4_3ELNS0_20block_scan_algorithmE0ELj4294967295EEENS1_25partition_config_selectorILNS1_17partition_subalgoE3EjNS0_10empty_typeEbEEZZNS1_14partition_implILS8_3ELb0ES6_jNS0_17counting_iteratorIjlEEPS9_SE_NS0_5tupleIJPjSE_EEENSF_IJSE_SE_EEES9_SG_JZNS1_25segmented_radix_sort_implINS0_14default_configELb0EPKdPdPKlPlN2at6native12_GLOBAL__N_18offset_tEEE10hipError_tPvRmT1_PNSt15iterator_traitsISY_E10value_typeET2_T3_PNSZ_IS14_E10value_typeET4_jRbjT5_S1A_jjP12ihipStream_tbEUljE_EEESV_SW_SX_S14_S18_S1A_T6_T7_T9_mT8_S1C_bDpT10_ENKUlT_T0_E_clISt17integral_constantIbLb0EES1O_IbLb1EEEEDaS1K_S1L_EUlS1K_E_NS1_11comp_targetILNS1_3genE3ELNS1_11target_archE908ELNS1_3gpuE7ELNS1_3repE0EEENS1_30default_config_static_selectorELNS0_4arch9wavefront6targetE0EEEvSY_.private_seg_size, 0
	.set _ZN7rocprim17ROCPRIM_400000_NS6detail17trampoline_kernelINS0_13select_configILj256ELj13ELNS0_17block_load_methodE3ELS4_3ELS4_3ELNS0_20block_scan_algorithmE0ELj4294967295EEENS1_25partition_config_selectorILNS1_17partition_subalgoE3EjNS0_10empty_typeEbEEZZNS1_14partition_implILS8_3ELb0ES6_jNS0_17counting_iteratorIjlEEPS9_SE_NS0_5tupleIJPjSE_EEENSF_IJSE_SE_EEES9_SG_JZNS1_25segmented_radix_sort_implINS0_14default_configELb0EPKdPdPKlPlN2at6native12_GLOBAL__N_18offset_tEEE10hipError_tPvRmT1_PNSt15iterator_traitsISY_E10value_typeET2_T3_PNSZ_IS14_E10value_typeET4_jRbjT5_S1A_jjP12ihipStream_tbEUljE_EEESV_SW_SX_S14_S18_S1A_T6_T7_T9_mT8_S1C_bDpT10_ENKUlT_T0_E_clISt17integral_constantIbLb0EES1O_IbLb1EEEEDaS1K_S1L_EUlS1K_E_NS1_11comp_targetILNS1_3genE3ELNS1_11target_archE908ELNS1_3gpuE7ELNS1_3repE0EEENS1_30default_config_static_selectorELNS0_4arch9wavefront6targetE0EEEvSY_.uses_vcc, 0
	.set _ZN7rocprim17ROCPRIM_400000_NS6detail17trampoline_kernelINS0_13select_configILj256ELj13ELNS0_17block_load_methodE3ELS4_3ELS4_3ELNS0_20block_scan_algorithmE0ELj4294967295EEENS1_25partition_config_selectorILNS1_17partition_subalgoE3EjNS0_10empty_typeEbEEZZNS1_14partition_implILS8_3ELb0ES6_jNS0_17counting_iteratorIjlEEPS9_SE_NS0_5tupleIJPjSE_EEENSF_IJSE_SE_EEES9_SG_JZNS1_25segmented_radix_sort_implINS0_14default_configELb0EPKdPdPKlPlN2at6native12_GLOBAL__N_18offset_tEEE10hipError_tPvRmT1_PNSt15iterator_traitsISY_E10value_typeET2_T3_PNSZ_IS14_E10value_typeET4_jRbjT5_S1A_jjP12ihipStream_tbEUljE_EEESV_SW_SX_S14_S18_S1A_T6_T7_T9_mT8_S1C_bDpT10_ENKUlT_T0_E_clISt17integral_constantIbLb0EES1O_IbLb1EEEEDaS1K_S1L_EUlS1K_E_NS1_11comp_targetILNS1_3genE3ELNS1_11target_archE908ELNS1_3gpuE7ELNS1_3repE0EEENS1_30default_config_static_selectorELNS0_4arch9wavefront6targetE0EEEvSY_.uses_flat_scratch, 0
	.set _ZN7rocprim17ROCPRIM_400000_NS6detail17trampoline_kernelINS0_13select_configILj256ELj13ELNS0_17block_load_methodE3ELS4_3ELS4_3ELNS0_20block_scan_algorithmE0ELj4294967295EEENS1_25partition_config_selectorILNS1_17partition_subalgoE3EjNS0_10empty_typeEbEEZZNS1_14partition_implILS8_3ELb0ES6_jNS0_17counting_iteratorIjlEEPS9_SE_NS0_5tupleIJPjSE_EEENSF_IJSE_SE_EEES9_SG_JZNS1_25segmented_radix_sort_implINS0_14default_configELb0EPKdPdPKlPlN2at6native12_GLOBAL__N_18offset_tEEE10hipError_tPvRmT1_PNSt15iterator_traitsISY_E10value_typeET2_T3_PNSZ_IS14_E10value_typeET4_jRbjT5_S1A_jjP12ihipStream_tbEUljE_EEESV_SW_SX_S14_S18_S1A_T6_T7_T9_mT8_S1C_bDpT10_ENKUlT_T0_E_clISt17integral_constantIbLb0EES1O_IbLb1EEEEDaS1K_S1L_EUlS1K_E_NS1_11comp_targetILNS1_3genE3ELNS1_11target_archE908ELNS1_3gpuE7ELNS1_3repE0EEENS1_30default_config_static_selectorELNS0_4arch9wavefront6targetE0EEEvSY_.has_dyn_sized_stack, 0
	.set _ZN7rocprim17ROCPRIM_400000_NS6detail17trampoline_kernelINS0_13select_configILj256ELj13ELNS0_17block_load_methodE3ELS4_3ELS4_3ELNS0_20block_scan_algorithmE0ELj4294967295EEENS1_25partition_config_selectorILNS1_17partition_subalgoE3EjNS0_10empty_typeEbEEZZNS1_14partition_implILS8_3ELb0ES6_jNS0_17counting_iteratorIjlEEPS9_SE_NS0_5tupleIJPjSE_EEENSF_IJSE_SE_EEES9_SG_JZNS1_25segmented_radix_sort_implINS0_14default_configELb0EPKdPdPKlPlN2at6native12_GLOBAL__N_18offset_tEEE10hipError_tPvRmT1_PNSt15iterator_traitsISY_E10value_typeET2_T3_PNSZ_IS14_E10value_typeET4_jRbjT5_S1A_jjP12ihipStream_tbEUljE_EEESV_SW_SX_S14_S18_S1A_T6_T7_T9_mT8_S1C_bDpT10_ENKUlT_T0_E_clISt17integral_constantIbLb0EES1O_IbLb1EEEEDaS1K_S1L_EUlS1K_E_NS1_11comp_targetILNS1_3genE3ELNS1_11target_archE908ELNS1_3gpuE7ELNS1_3repE0EEENS1_30default_config_static_selectorELNS0_4arch9wavefront6targetE0EEEvSY_.has_recursion, 0
	.set _ZN7rocprim17ROCPRIM_400000_NS6detail17trampoline_kernelINS0_13select_configILj256ELj13ELNS0_17block_load_methodE3ELS4_3ELS4_3ELNS0_20block_scan_algorithmE0ELj4294967295EEENS1_25partition_config_selectorILNS1_17partition_subalgoE3EjNS0_10empty_typeEbEEZZNS1_14partition_implILS8_3ELb0ES6_jNS0_17counting_iteratorIjlEEPS9_SE_NS0_5tupleIJPjSE_EEENSF_IJSE_SE_EEES9_SG_JZNS1_25segmented_radix_sort_implINS0_14default_configELb0EPKdPdPKlPlN2at6native12_GLOBAL__N_18offset_tEEE10hipError_tPvRmT1_PNSt15iterator_traitsISY_E10value_typeET2_T3_PNSZ_IS14_E10value_typeET4_jRbjT5_S1A_jjP12ihipStream_tbEUljE_EEESV_SW_SX_S14_S18_S1A_T6_T7_T9_mT8_S1C_bDpT10_ENKUlT_T0_E_clISt17integral_constantIbLb0EES1O_IbLb1EEEEDaS1K_S1L_EUlS1K_E_NS1_11comp_targetILNS1_3genE3ELNS1_11target_archE908ELNS1_3gpuE7ELNS1_3repE0EEENS1_30default_config_static_selectorELNS0_4arch9wavefront6targetE0EEEvSY_.has_indirect_call, 0
	.section	.AMDGPU.csdata,"",@progbits
; Kernel info:
; codeLenInByte = 0
; TotalNumSgprs: 0
; NumVgprs: 0
; ScratchSize: 0
; MemoryBound: 0
; FloatMode: 240
; IeeeMode: 1
; LDSByteSize: 0 bytes/workgroup (compile time only)
; SGPRBlocks: 0
; VGPRBlocks: 0
; NumSGPRsForWavesPerEU: 1
; NumVGPRsForWavesPerEU: 1
; Occupancy: 16
; WaveLimiterHint : 0
; COMPUTE_PGM_RSRC2:SCRATCH_EN: 0
; COMPUTE_PGM_RSRC2:USER_SGPR: 6
; COMPUTE_PGM_RSRC2:TRAP_HANDLER: 0
; COMPUTE_PGM_RSRC2:TGID_X_EN: 1
; COMPUTE_PGM_RSRC2:TGID_Y_EN: 0
; COMPUTE_PGM_RSRC2:TGID_Z_EN: 0
; COMPUTE_PGM_RSRC2:TIDIG_COMP_CNT: 0
	.section	.text._ZN7rocprim17ROCPRIM_400000_NS6detail17trampoline_kernelINS0_13select_configILj256ELj13ELNS0_17block_load_methodE3ELS4_3ELS4_3ELNS0_20block_scan_algorithmE0ELj4294967295EEENS1_25partition_config_selectorILNS1_17partition_subalgoE3EjNS0_10empty_typeEbEEZZNS1_14partition_implILS8_3ELb0ES6_jNS0_17counting_iteratorIjlEEPS9_SE_NS0_5tupleIJPjSE_EEENSF_IJSE_SE_EEES9_SG_JZNS1_25segmented_radix_sort_implINS0_14default_configELb0EPKdPdPKlPlN2at6native12_GLOBAL__N_18offset_tEEE10hipError_tPvRmT1_PNSt15iterator_traitsISY_E10value_typeET2_T3_PNSZ_IS14_E10value_typeET4_jRbjT5_S1A_jjP12ihipStream_tbEUljE_EEESV_SW_SX_S14_S18_S1A_T6_T7_T9_mT8_S1C_bDpT10_ENKUlT_T0_E_clISt17integral_constantIbLb0EES1O_IbLb1EEEEDaS1K_S1L_EUlS1K_E_NS1_11comp_targetILNS1_3genE2ELNS1_11target_archE906ELNS1_3gpuE6ELNS1_3repE0EEENS1_30default_config_static_selectorELNS0_4arch9wavefront6targetE0EEEvSY_,"axG",@progbits,_ZN7rocprim17ROCPRIM_400000_NS6detail17trampoline_kernelINS0_13select_configILj256ELj13ELNS0_17block_load_methodE3ELS4_3ELS4_3ELNS0_20block_scan_algorithmE0ELj4294967295EEENS1_25partition_config_selectorILNS1_17partition_subalgoE3EjNS0_10empty_typeEbEEZZNS1_14partition_implILS8_3ELb0ES6_jNS0_17counting_iteratorIjlEEPS9_SE_NS0_5tupleIJPjSE_EEENSF_IJSE_SE_EEES9_SG_JZNS1_25segmented_radix_sort_implINS0_14default_configELb0EPKdPdPKlPlN2at6native12_GLOBAL__N_18offset_tEEE10hipError_tPvRmT1_PNSt15iterator_traitsISY_E10value_typeET2_T3_PNSZ_IS14_E10value_typeET4_jRbjT5_S1A_jjP12ihipStream_tbEUljE_EEESV_SW_SX_S14_S18_S1A_T6_T7_T9_mT8_S1C_bDpT10_ENKUlT_T0_E_clISt17integral_constantIbLb0EES1O_IbLb1EEEEDaS1K_S1L_EUlS1K_E_NS1_11comp_targetILNS1_3genE2ELNS1_11target_archE906ELNS1_3gpuE6ELNS1_3repE0EEENS1_30default_config_static_selectorELNS0_4arch9wavefront6targetE0EEEvSY_,comdat
	.globl	_ZN7rocprim17ROCPRIM_400000_NS6detail17trampoline_kernelINS0_13select_configILj256ELj13ELNS0_17block_load_methodE3ELS4_3ELS4_3ELNS0_20block_scan_algorithmE0ELj4294967295EEENS1_25partition_config_selectorILNS1_17partition_subalgoE3EjNS0_10empty_typeEbEEZZNS1_14partition_implILS8_3ELb0ES6_jNS0_17counting_iteratorIjlEEPS9_SE_NS0_5tupleIJPjSE_EEENSF_IJSE_SE_EEES9_SG_JZNS1_25segmented_radix_sort_implINS0_14default_configELb0EPKdPdPKlPlN2at6native12_GLOBAL__N_18offset_tEEE10hipError_tPvRmT1_PNSt15iterator_traitsISY_E10value_typeET2_T3_PNSZ_IS14_E10value_typeET4_jRbjT5_S1A_jjP12ihipStream_tbEUljE_EEESV_SW_SX_S14_S18_S1A_T6_T7_T9_mT8_S1C_bDpT10_ENKUlT_T0_E_clISt17integral_constantIbLb0EES1O_IbLb1EEEEDaS1K_S1L_EUlS1K_E_NS1_11comp_targetILNS1_3genE2ELNS1_11target_archE906ELNS1_3gpuE6ELNS1_3repE0EEENS1_30default_config_static_selectorELNS0_4arch9wavefront6targetE0EEEvSY_ ; -- Begin function _ZN7rocprim17ROCPRIM_400000_NS6detail17trampoline_kernelINS0_13select_configILj256ELj13ELNS0_17block_load_methodE3ELS4_3ELS4_3ELNS0_20block_scan_algorithmE0ELj4294967295EEENS1_25partition_config_selectorILNS1_17partition_subalgoE3EjNS0_10empty_typeEbEEZZNS1_14partition_implILS8_3ELb0ES6_jNS0_17counting_iteratorIjlEEPS9_SE_NS0_5tupleIJPjSE_EEENSF_IJSE_SE_EEES9_SG_JZNS1_25segmented_radix_sort_implINS0_14default_configELb0EPKdPdPKlPlN2at6native12_GLOBAL__N_18offset_tEEE10hipError_tPvRmT1_PNSt15iterator_traitsISY_E10value_typeET2_T3_PNSZ_IS14_E10value_typeET4_jRbjT5_S1A_jjP12ihipStream_tbEUljE_EEESV_SW_SX_S14_S18_S1A_T6_T7_T9_mT8_S1C_bDpT10_ENKUlT_T0_E_clISt17integral_constantIbLb0EES1O_IbLb1EEEEDaS1K_S1L_EUlS1K_E_NS1_11comp_targetILNS1_3genE2ELNS1_11target_archE906ELNS1_3gpuE6ELNS1_3repE0EEENS1_30default_config_static_selectorELNS0_4arch9wavefront6targetE0EEEvSY_
	.p2align	8
	.type	_ZN7rocprim17ROCPRIM_400000_NS6detail17trampoline_kernelINS0_13select_configILj256ELj13ELNS0_17block_load_methodE3ELS4_3ELS4_3ELNS0_20block_scan_algorithmE0ELj4294967295EEENS1_25partition_config_selectorILNS1_17partition_subalgoE3EjNS0_10empty_typeEbEEZZNS1_14partition_implILS8_3ELb0ES6_jNS0_17counting_iteratorIjlEEPS9_SE_NS0_5tupleIJPjSE_EEENSF_IJSE_SE_EEES9_SG_JZNS1_25segmented_radix_sort_implINS0_14default_configELb0EPKdPdPKlPlN2at6native12_GLOBAL__N_18offset_tEEE10hipError_tPvRmT1_PNSt15iterator_traitsISY_E10value_typeET2_T3_PNSZ_IS14_E10value_typeET4_jRbjT5_S1A_jjP12ihipStream_tbEUljE_EEESV_SW_SX_S14_S18_S1A_T6_T7_T9_mT8_S1C_bDpT10_ENKUlT_T0_E_clISt17integral_constantIbLb0EES1O_IbLb1EEEEDaS1K_S1L_EUlS1K_E_NS1_11comp_targetILNS1_3genE2ELNS1_11target_archE906ELNS1_3gpuE6ELNS1_3repE0EEENS1_30default_config_static_selectorELNS0_4arch9wavefront6targetE0EEEvSY_,@function
_ZN7rocprim17ROCPRIM_400000_NS6detail17trampoline_kernelINS0_13select_configILj256ELj13ELNS0_17block_load_methodE3ELS4_3ELS4_3ELNS0_20block_scan_algorithmE0ELj4294967295EEENS1_25partition_config_selectorILNS1_17partition_subalgoE3EjNS0_10empty_typeEbEEZZNS1_14partition_implILS8_3ELb0ES6_jNS0_17counting_iteratorIjlEEPS9_SE_NS0_5tupleIJPjSE_EEENSF_IJSE_SE_EEES9_SG_JZNS1_25segmented_radix_sort_implINS0_14default_configELb0EPKdPdPKlPlN2at6native12_GLOBAL__N_18offset_tEEE10hipError_tPvRmT1_PNSt15iterator_traitsISY_E10value_typeET2_T3_PNSZ_IS14_E10value_typeET4_jRbjT5_S1A_jjP12ihipStream_tbEUljE_EEESV_SW_SX_S14_S18_S1A_T6_T7_T9_mT8_S1C_bDpT10_ENKUlT_T0_E_clISt17integral_constantIbLb0EES1O_IbLb1EEEEDaS1K_S1L_EUlS1K_E_NS1_11comp_targetILNS1_3genE2ELNS1_11target_archE906ELNS1_3gpuE6ELNS1_3repE0EEENS1_30default_config_static_selectorELNS0_4arch9wavefront6targetE0EEEvSY_: ; @_ZN7rocprim17ROCPRIM_400000_NS6detail17trampoline_kernelINS0_13select_configILj256ELj13ELNS0_17block_load_methodE3ELS4_3ELS4_3ELNS0_20block_scan_algorithmE0ELj4294967295EEENS1_25partition_config_selectorILNS1_17partition_subalgoE3EjNS0_10empty_typeEbEEZZNS1_14partition_implILS8_3ELb0ES6_jNS0_17counting_iteratorIjlEEPS9_SE_NS0_5tupleIJPjSE_EEENSF_IJSE_SE_EEES9_SG_JZNS1_25segmented_radix_sort_implINS0_14default_configELb0EPKdPdPKlPlN2at6native12_GLOBAL__N_18offset_tEEE10hipError_tPvRmT1_PNSt15iterator_traitsISY_E10value_typeET2_T3_PNSZ_IS14_E10value_typeET4_jRbjT5_S1A_jjP12ihipStream_tbEUljE_EEESV_SW_SX_S14_S18_S1A_T6_T7_T9_mT8_S1C_bDpT10_ENKUlT_T0_E_clISt17integral_constantIbLb0EES1O_IbLb1EEEEDaS1K_S1L_EUlS1K_E_NS1_11comp_targetILNS1_3genE2ELNS1_11target_archE906ELNS1_3gpuE6ELNS1_3repE0EEENS1_30default_config_static_selectorELNS0_4arch9wavefront6targetE0EEEvSY_
; %bb.0:
	.section	.rodata,"a",@progbits
	.p2align	6, 0x0
	.amdhsa_kernel _ZN7rocprim17ROCPRIM_400000_NS6detail17trampoline_kernelINS0_13select_configILj256ELj13ELNS0_17block_load_methodE3ELS4_3ELS4_3ELNS0_20block_scan_algorithmE0ELj4294967295EEENS1_25partition_config_selectorILNS1_17partition_subalgoE3EjNS0_10empty_typeEbEEZZNS1_14partition_implILS8_3ELb0ES6_jNS0_17counting_iteratorIjlEEPS9_SE_NS0_5tupleIJPjSE_EEENSF_IJSE_SE_EEES9_SG_JZNS1_25segmented_radix_sort_implINS0_14default_configELb0EPKdPdPKlPlN2at6native12_GLOBAL__N_18offset_tEEE10hipError_tPvRmT1_PNSt15iterator_traitsISY_E10value_typeET2_T3_PNSZ_IS14_E10value_typeET4_jRbjT5_S1A_jjP12ihipStream_tbEUljE_EEESV_SW_SX_S14_S18_S1A_T6_T7_T9_mT8_S1C_bDpT10_ENKUlT_T0_E_clISt17integral_constantIbLb0EES1O_IbLb1EEEEDaS1K_S1L_EUlS1K_E_NS1_11comp_targetILNS1_3genE2ELNS1_11target_archE906ELNS1_3gpuE6ELNS1_3repE0EEENS1_30default_config_static_selectorELNS0_4arch9wavefront6targetE0EEEvSY_
		.amdhsa_group_segment_fixed_size 0
		.amdhsa_private_segment_fixed_size 0
		.amdhsa_kernarg_size 152
		.amdhsa_user_sgpr_count 6
		.amdhsa_user_sgpr_private_segment_buffer 1
		.amdhsa_user_sgpr_dispatch_ptr 0
		.amdhsa_user_sgpr_queue_ptr 0
		.amdhsa_user_sgpr_kernarg_segment_ptr 1
		.amdhsa_user_sgpr_dispatch_id 0
		.amdhsa_user_sgpr_flat_scratch_init 0
		.amdhsa_user_sgpr_private_segment_size 0
		.amdhsa_wavefront_size32 1
		.amdhsa_uses_dynamic_stack 0
		.amdhsa_system_sgpr_private_segment_wavefront_offset 0
		.amdhsa_system_sgpr_workgroup_id_x 1
		.amdhsa_system_sgpr_workgroup_id_y 0
		.amdhsa_system_sgpr_workgroup_id_z 0
		.amdhsa_system_sgpr_workgroup_info 0
		.amdhsa_system_vgpr_workitem_id 0
		.amdhsa_next_free_vgpr 1
		.amdhsa_next_free_sgpr 1
		.amdhsa_reserve_vcc 0
		.amdhsa_reserve_flat_scratch 0
		.amdhsa_float_round_mode_32 0
		.amdhsa_float_round_mode_16_64 0
		.amdhsa_float_denorm_mode_32 3
		.amdhsa_float_denorm_mode_16_64 3
		.amdhsa_dx10_clamp 1
		.amdhsa_ieee_mode 1
		.amdhsa_fp16_overflow 0
		.amdhsa_workgroup_processor_mode 1
		.amdhsa_memory_ordered 1
		.amdhsa_forward_progress 1
		.amdhsa_shared_vgpr_count 0
		.amdhsa_exception_fp_ieee_invalid_op 0
		.amdhsa_exception_fp_denorm_src 0
		.amdhsa_exception_fp_ieee_div_zero 0
		.amdhsa_exception_fp_ieee_overflow 0
		.amdhsa_exception_fp_ieee_underflow 0
		.amdhsa_exception_fp_ieee_inexact 0
		.amdhsa_exception_int_div_zero 0
	.end_amdhsa_kernel
	.section	.text._ZN7rocprim17ROCPRIM_400000_NS6detail17trampoline_kernelINS0_13select_configILj256ELj13ELNS0_17block_load_methodE3ELS4_3ELS4_3ELNS0_20block_scan_algorithmE0ELj4294967295EEENS1_25partition_config_selectorILNS1_17partition_subalgoE3EjNS0_10empty_typeEbEEZZNS1_14partition_implILS8_3ELb0ES6_jNS0_17counting_iteratorIjlEEPS9_SE_NS0_5tupleIJPjSE_EEENSF_IJSE_SE_EEES9_SG_JZNS1_25segmented_radix_sort_implINS0_14default_configELb0EPKdPdPKlPlN2at6native12_GLOBAL__N_18offset_tEEE10hipError_tPvRmT1_PNSt15iterator_traitsISY_E10value_typeET2_T3_PNSZ_IS14_E10value_typeET4_jRbjT5_S1A_jjP12ihipStream_tbEUljE_EEESV_SW_SX_S14_S18_S1A_T6_T7_T9_mT8_S1C_bDpT10_ENKUlT_T0_E_clISt17integral_constantIbLb0EES1O_IbLb1EEEEDaS1K_S1L_EUlS1K_E_NS1_11comp_targetILNS1_3genE2ELNS1_11target_archE906ELNS1_3gpuE6ELNS1_3repE0EEENS1_30default_config_static_selectorELNS0_4arch9wavefront6targetE0EEEvSY_,"axG",@progbits,_ZN7rocprim17ROCPRIM_400000_NS6detail17trampoline_kernelINS0_13select_configILj256ELj13ELNS0_17block_load_methodE3ELS4_3ELS4_3ELNS0_20block_scan_algorithmE0ELj4294967295EEENS1_25partition_config_selectorILNS1_17partition_subalgoE3EjNS0_10empty_typeEbEEZZNS1_14partition_implILS8_3ELb0ES6_jNS0_17counting_iteratorIjlEEPS9_SE_NS0_5tupleIJPjSE_EEENSF_IJSE_SE_EEES9_SG_JZNS1_25segmented_radix_sort_implINS0_14default_configELb0EPKdPdPKlPlN2at6native12_GLOBAL__N_18offset_tEEE10hipError_tPvRmT1_PNSt15iterator_traitsISY_E10value_typeET2_T3_PNSZ_IS14_E10value_typeET4_jRbjT5_S1A_jjP12ihipStream_tbEUljE_EEESV_SW_SX_S14_S18_S1A_T6_T7_T9_mT8_S1C_bDpT10_ENKUlT_T0_E_clISt17integral_constantIbLb0EES1O_IbLb1EEEEDaS1K_S1L_EUlS1K_E_NS1_11comp_targetILNS1_3genE2ELNS1_11target_archE906ELNS1_3gpuE6ELNS1_3repE0EEENS1_30default_config_static_selectorELNS0_4arch9wavefront6targetE0EEEvSY_,comdat
.Lfunc_end1209:
	.size	_ZN7rocprim17ROCPRIM_400000_NS6detail17trampoline_kernelINS0_13select_configILj256ELj13ELNS0_17block_load_methodE3ELS4_3ELS4_3ELNS0_20block_scan_algorithmE0ELj4294967295EEENS1_25partition_config_selectorILNS1_17partition_subalgoE3EjNS0_10empty_typeEbEEZZNS1_14partition_implILS8_3ELb0ES6_jNS0_17counting_iteratorIjlEEPS9_SE_NS0_5tupleIJPjSE_EEENSF_IJSE_SE_EEES9_SG_JZNS1_25segmented_radix_sort_implINS0_14default_configELb0EPKdPdPKlPlN2at6native12_GLOBAL__N_18offset_tEEE10hipError_tPvRmT1_PNSt15iterator_traitsISY_E10value_typeET2_T3_PNSZ_IS14_E10value_typeET4_jRbjT5_S1A_jjP12ihipStream_tbEUljE_EEESV_SW_SX_S14_S18_S1A_T6_T7_T9_mT8_S1C_bDpT10_ENKUlT_T0_E_clISt17integral_constantIbLb0EES1O_IbLb1EEEEDaS1K_S1L_EUlS1K_E_NS1_11comp_targetILNS1_3genE2ELNS1_11target_archE906ELNS1_3gpuE6ELNS1_3repE0EEENS1_30default_config_static_selectorELNS0_4arch9wavefront6targetE0EEEvSY_, .Lfunc_end1209-_ZN7rocprim17ROCPRIM_400000_NS6detail17trampoline_kernelINS0_13select_configILj256ELj13ELNS0_17block_load_methodE3ELS4_3ELS4_3ELNS0_20block_scan_algorithmE0ELj4294967295EEENS1_25partition_config_selectorILNS1_17partition_subalgoE3EjNS0_10empty_typeEbEEZZNS1_14partition_implILS8_3ELb0ES6_jNS0_17counting_iteratorIjlEEPS9_SE_NS0_5tupleIJPjSE_EEENSF_IJSE_SE_EEES9_SG_JZNS1_25segmented_radix_sort_implINS0_14default_configELb0EPKdPdPKlPlN2at6native12_GLOBAL__N_18offset_tEEE10hipError_tPvRmT1_PNSt15iterator_traitsISY_E10value_typeET2_T3_PNSZ_IS14_E10value_typeET4_jRbjT5_S1A_jjP12ihipStream_tbEUljE_EEESV_SW_SX_S14_S18_S1A_T6_T7_T9_mT8_S1C_bDpT10_ENKUlT_T0_E_clISt17integral_constantIbLb0EES1O_IbLb1EEEEDaS1K_S1L_EUlS1K_E_NS1_11comp_targetILNS1_3genE2ELNS1_11target_archE906ELNS1_3gpuE6ELNS1_3repE0EEENS1_30default_config_static_selectorELNS0_4arch9wavefront6targetE0EEEvSY_
                                        ; -- End function
	.set _ZN7rocprim17ROCPRIM_400000_NS6detail17trampoline_kernelINS0_13select_configILj256ELj13ELNS0_17block_load_methodE3ELS4_3ELS4_3ELNS0_20block_scan_algorithmE0ELj4294967295EEENS1_25partition_config_selectorILNS1_17partition_subalgoE3EjNS0_10empty_typeEbEEZZNS1_14partition_implILS8_3ELb0ES6_jNS0_17counting_iteratorIjlEEPS9_SE_NS0_5tupleIJPjSE_EEENSF_IJSE_SE_EEES9_SG_JZNS1_25segmented_radix_sort_implINS0_14default_configELb0EPKdPdPKlPlN2at6native12_GLOBAL__N_18offset_tEEE10hipError_tPvRmT1_PNSt15iterator_traitsISY_E10value_typeET2_T3_PNSZ_IS14_E10value_typeET4_jRbjT5_S1A_jjP12ihipStream_tbEUljE_EEESV_SW_SX_S14_S18_S1A_T6_T7_T9_mT8_S1C_bDpT10_ENKUlT_T0_E_clISt17integral_constantIbLb0EES1O_IbLb1EEEEDaS1K_S1L_EUlS1K_E_NS1_11comp_targetILNS1_3genE2ELNS1_11target_archE906ELNS1_3gpuE6ELNS1_3repE0EEENS1_30default_config_static_selectorELNS0_4arch9wavefront6targetE0EEEvSY_.num_vgpr, 0
	.set _ZN7rocprim17ROCPRIM_400000_NS6detail17trampoline_kernelINS0_13select_configILj256ELj13ELNS0_17block_load_methodE3ELS4_3ELS4_3ELNS0_20block_scan_algorithmE0ELj4294967295EEENS1_25partition_config_selectorILNS1_17partition_subalgoE3EjNS0_10empty_typeEbEEZZNS1_14partition_implILS8_3ELb0ES6_jNS0_17counting_iteratorIjlEEPS9_SE_NS0_5tupleIJPjSE_EEENSF_IJSE_SE_EEES9_SG_JZNS1_25segmented_radix_sort_implINS0_14default_configELb0EPKdPdPKlPlN2at6native12_GLOBAL__N_18offset_tEEE10hipError_tPvRmT1_PNSt15iterator_traitsISY_E10value_typeET2_T3_PNSZ_IS14_E10value_typeET4_jRbjT5_S1A_jjP12ihipStream_tbEUljE_EEESV_SW_SX_S14_S18_S1A_T6_T7_T9_mT8_S1C_bDpT10_ENKUlT_T0_E_clISt17integral_constantIbLb0EES1O_IbLb1EEEEDaS1K_S1L_EUlS1K_E_NS1_11comp_targetILNS1_3genE2ELNS1_11target_archE906ELNS1_3gpuE6ELNS1_3repE0EEENS1_30default_config_static_selectorELNS0_4arch9wavefront6targetE0EEEvSY_.num_agpr, 0
	.set _ZN7rocprim17ROCPRIM_400000_NS6detail17trampoline_kernelINS0_13select_configILj256ELj13ELNS0_17block_load_methodE3ELS4_3ELS4_3ELNS0_20block_scan_algorithmE0ELj4294967295EEENS1_25partition_config_selectorILNS1_17partition_subalgoE3EjNS0_10empty_typeEbEEZZNS1_14partition_implILS8_3ELb0ES6_jNS0_17counting_iteratorIjlEEPS9_SE_NS0_5tupleIJPjSE_EEENSF_IJSE_SE_EEES9_SG_JZNS1_25segmented_radix_sort_implINS0_14default_configELb0EPKdPdPKlPlN2at6native12_GLOBAL__N_18offset_tEEE10hipError_tPvRmT1_PNSt15iterator_traitsISY_E10value_typeET2_T3_PNSZ_IS14_E10value_typeET4_jRbjT5_S1A_jjP12ihipStream_tbEUljE_EEESV_SW_SX_S14_S18_S1A_T6_T7_T9_mT8_S1C_bDpT10_ENKUlT_T0_E_clISt17integral_constantIbLb0EES1O_IbLb1EEEEDaS1K_S1L_EUlS1K_E_NS1_11comp_targetILNS1_3genE2ELNS1_11target_archE906ELNS1_3gpuE6ELNS1_3repE0EEENS1_30default_config_static_selectorELNS0_4arch9wavefront6targetE0EEEvSY_.numbered_sgpr, 0
	.set _ZN7rocprim17ROCPRIM_400000_NS6detail17trampoline_kernelINS0_13select_configILj256ELj13ELNS0_17block_load_methodE3ELS4_3ELS4_3ELNS0_20block_scan_algorithmE0ELj4294967295EEENS1_25partition_config_selectorILNS1_17partition_subalgoE3EjNS0_10empty_typeEbEEZZNS1_14partition_implILS8_3ELb0ES6_jNS0_17counting_iteratorIjlEEPS9_SE_NS0_5tupleIJPjSE_EEENSF_IJSE_SE_EEES9_SG_JZNS1_25segmented_radix_sort_implINS0_14default_configELb0EPKdPdPKlPlN2at6native12_GLOBAL__N_18offset_tEEE10hipError_tPvRmT1_PNSt15iterator_traitsISY_E10value_typeET2_T3_PNSZ_IS14_E10value_typeET4_jRbjT5_S1A_jjP12ihipStream_tbEUljE_EEESV_SW_SX_S14_S18_S1A_T6_T7_T9_mT8_S1C_bDpT10_ENKUlT_T0_E_clISt17integral_constantIbLb0EES1O_IbLb1EEEEDaS1K_S1L_EUlS1K_E_NS1_11comp_targetILNS1_3genE2ELNS1_11target_archE906ELNS1_3gpuE6ELNS1_3repE0EEENS1_30default_config_static_selectorELNS0_4arch9wavefront6targetE0EEEvSY_.num_named_barrier, 0
	.set _ZN7rocprim17ROCPRIM_400000_NS6detail17trampoline_kernelINS0_13select_configILj256ELj13ELNS0_17block_load_methodE3ELS4_3ELS4_3ELNS0_20block_scan_algorithmE0ELj4294967295EEENS1_25partition_config_selectorILNS1_17partition_subalgoE3EjNS0_10empty_typeEbEEZZNS1_14partition_implILS8_3ELb0ES6_jNS0_17counting_iteratorIjlEEPS9_SE_NS0_5tupleIJPjSE_EEENSF_IJSE_SE_EEES9_SG_JZNS1_25segmented_radix_sort_implINS0_14default_configELb0EPKdPdPKlPlN2at6native12_GLOBAL__N_18offset_tEEE10hipError_tPvRmT1_PNSt15iterator_traitsISY_E10value_typeET2_T3_PNSZ_IS14_E10value_typeET4_jRbjT5_S1A_jjP12ihipStream_tbEUljE_EEESV_SW_SX_S14_S18_S1A_T6_T7_T9_mT8_S1C_bDpT10_ENKUlT_T0_E_clISt17integral_constantIbLb0EES1O_IbLb1EEEEDaS1K_S1L_EUlS1K_E_NS1_11comp_targetILNS1_3genE2ELNS1_11target_archE906ELNS1_3gpuE6ELNS1_3repE0EEENS1_30default_config_static_selectorELNS0_4arch9wavefront6targetE0EEEvSY_.private_seg_size, 0
	.set _ZN7rocprim17ROCPRIM_400000_NS6detail17trampoline_kernelINS0_13select_configILj256ELj13ELNS0_17block_load_methodE3ELS4_3ELS4_3ELNS0_20block_scan_algorithmE0ELj4294967295EEENS1_25partition_config_selectorILNS1_17partition_subalgoE3EjNS0_10empty_typeEbEEZZNS1_14partition_implILS8_3ELb0ES6_jNS0_17counting_iteratorIjlEEPS9_SE_NS0_5tupleIJPjSE_EEENSF_IJSE_SE_EEES9_SG_JZNS1_25segmented_radix_sort_implINS0_14default_configELb0EPKdPdPKlPlN2at6native12_GLOBAL__N_18offset_tEEE10hipError_tPvRmT1_PNSt15iterator_traitsISY_E10value_typeET2_T3_PNSZ_IS14_E10value_typeET4_jRbjT5_S1A_jjP12ihipStream_tbEUljE_EEESV_SW_SX_S14_S18_S1A_T6_T7_T9_mT8_S1C_bDpT10_ENKUlT_T0_E_clISt17integral_constantIbLb0EES1O_IbLb1EEEEDaS1K_S1L_EUlS1K_E_NS1_11comp_targetILNS1_3genE2ELNS1_11target_archE906ELNS1_3gpuE6ELNS1_3repE0EEENS1_30default_config_static_selectorELNS0_4arch9wavefront6targetE0EEEvSY_.uses_vcc, 0
	.set _ZN7rocprim17ROCPRIM_400000_NS6detail17trampoline_kernelINS0_13select_configILj256ELj13ELNS0_17block_load_methodE3ELS4_3ELS4_3ELNS0_20block_scan_algorithmE0ELj4294967295EEENS1_25partition_config_selectorILNS1_17partition_subalgoE3EjNS0_10empty_typeEbEEZZNS1_14partition_implILS8_3ELb0ES6_jNS0_17counting_iteratorIjlEEPS9_SE_NS0_5tupleIJPjSE_EEENSF_IJSE_SE_EEES9_SG_JZNS1_25segmented_radix_sort_implINS0_14default_configELb0EPKdPdPKlPlN2at6native12_GLOBAL__N_18offset_tEEE10hipError_tPvRmT1_PNSt15iterator_traitsISY_E10value_typeET2_T3_PNSZ_IS14_E10value_typeET4_jRbjT5_S1A_jjP12ihipStream_tbEUljE_EEESV_SW_SX_S14_S18_S1A_T6_T7_T9_mT8_S1C_bDpT10_ENKUlT_T0_E_clISt17integral_constantIbLb0EES1O_IbLb1EEEEDaS1K_S1L_EUlS1K_E_NS1_11comp_targetILNS1_3genE2ELNS1_11target_archE906ELNS1_3gpuE6ELNS1_3repE0EEENS1_30default_config_static_selectorELNS0_4arch9wavefront6targetE0EEEvSY_.uses_flat_scratch, 0
	.set _ZN7rocprim17ROCPRIM_400000_NS6detail17trampoline_kernelINS0_13select_configILj256ELj13ELNS0_17block_load_methodE3ELS4_3ELS4_3ELNS0_20block_scan_algorithmE0ELj4294967295EEENS1_25partition_config_selectorILNS1_17partition_subalgoE3EjNS0_10empty_typeEbEEZZNS1_14partition_implILS8_3ELb0ES6_jNS0_17counting_iteratorIjlEEPS9_SE_NS0_5tupleIJPjSE_EEENSF_IJSE_SE_EEES9_SG_JZNS1_25segmented_radix_sort_implINS0_14default_configELb0EPKdPdPKlPlN2at6native12_GLOBAL__N_18offset_tEEE10hipError_tPvRmT1_PNSt15iterator_traitsISY_E10value_typeET2_T3_PNSZ_IS14_E10value_typeET4_jRbjT5_S1A_jjP12ihipStream_tbEUljE_EEESV_SW_SX_S14_S18_S1A_T6_T7_T9_mT8_S1C_bDpT10_ENKUlT_T0_E_clISt17integral_constantIbLb0EES1O_IbLb1EEEEDaS1K_S1L_EUlS1K_E_NS1_11comp_targetILNS1_3genE2ELNS1_11target_archE906ELNS1_3gpuE6ELNS1_3repE0EEENS1_30default_config_static_selectorELNS0_4arch9wavefront6targetE0EEEvSY_.has_dyn_sized_stack, 0
	.set _ZN7rocprim17ROCPRIM_400000_NS6detail17trampoline_kernelINS0_13select_configILj256ELj13ELNS0_17block_load_methodE3ELS4_3ELS4_3ELNS0_20block_scan_algorithmE0ELj4294967295EEENS1_25partition_config_selectorILNS1_17partition_subalgoE3EjNS0_10empty_typeEbEEZZNS1_14partition_implILS8_3ELb0ES6_jNS0_17counting_iteratorIjlEEPS9_SE_NS0_5tupleIJPjSE_EEENSF_IJSE_SE_EEES9_SG_JZNS1_25segmented_radix_sort_implINS0_14default_configELb0EPKdPdPKlPlN2at6native12_GLOBAL__N_18offset_tEEE10hipError_tPvRmT1_PNSt15iterator_traitsISY_E10value_typeET2_T3_PNSZ_IS14_E10value_typeET4_jRbjT5_S1A_jjP12ihipStream_tbEUljE_EEESV_SW_SX_S14_S18_S1A_T6_T7_T9_mT8_S1C_bDpT10_ENKUlT_T0_E_clISt17integral_constantIbLb0EES1O_IbLb1EEEEDaS1K_S1L_EUlS1K_E_NS1_11comp_targetILNS1_3genE2ELNS1_11target_archE906ELNS1_3gpuE6ELNS1_3repE0EEENS1_30default_config_static_selectorELNS0_4arch9wavefront6targetE0EEEvSY_.has_recursion, 0
	.set _ZN7rocprim17ROCPRIM_400000_NS6detail17trampoline_kernelINS0_13select_configILj256ELj13ELNS0_17block_load_methodE3ELS4_3ELS4_3ELNS0_20block_scan_algorithmE0ELj4294967295EEENS1_25partition_config_selectorILNS1_17partition_subalgoE3EjNS0_10empty_typeEbEEZZNS1_14partition_implILS8_3ELb0ES6_jNS0_17counting_iteratorIjlEEPS9_SE_NS0_5tupleIJPjSE_EEENSF_IJSE_SE_EEES9_SG_JZNS1_25segmented_radix_sort_implINS0_14default_configELb0EPKdPdPKlPlN2at6native12_GLOBAL__N_18offset_tEEE10hipError_tPvRmT1_PNSt15iterator_traitsISY_E10value_typeET2_T3_PNSZ_IS14_E10value_typeET4_jRbjT5_S1A_jjP12ihipStream_tbEUljE_EEESV_SW_SX_S14_S18_S1A_T6_T7_T9_mT8_S1C_bDpT10_ENKUlT_T0_E_clISt17integral_constantIbLb0EES1O_IbLb1EEEEDaS1K_S1L_EUlS1K_E_NS1_11comp_targetILNS1_3genE2ELNS1_11target_archE906ELNS1_3gpuE6ELNS1_3repE0EEENS1_30default_config_static_selectorELNS0_4arch9wavefront6targetE0EEEvSY_.has_indirect_call, 0
	.section	.AMDGPU.csdata,"",@progbits
; Kernel info:
; codeLenInByte = 0
; TotalNumSgprs: 0
; NumVgprs: 0
; ScratchSize: 0
; MemoryBound: 0
; FloatMode: 240
; IeeeMode: 1
; LDSByteSize: 0 bytes/workgroup (compile time only)
; SGPRBlocks: 0
; VGPRBlocks: 0
; NumSGPRsForWavesPerEU: 1
; NumVGPRsForWavesPerEU: 1
; Occupancy: 16
; WaveLimiterHint : 0
; COMPUTE_PGM_RSRC2:SCRATCH_EN: 0
; COMPUTE_PGM_RSRC2:USER_SGPR: 6
; COMPUTE_PGM_RSRC2:TRAP_HANDLER: 0
; COMPUTE_PGM_RSRC2:TGID_X_EN: 1
; COMPUTE_PGM_RSRC2:TGID_Y_EN: 0
; COMPUTE_PGM_RSRC2:TGID_Z_EN: 0
; COMPUTE_PGM_RSRC2:TIDIG_COMP_CNT: 0
	.section	.text._ZN7rocprim17ROCPRIM_400000_NS6detail17trampoline_kernelINS0_13select_configILj256ELj13ELNS0_17block_load_methodE3ELS4_3ELS4_3ELNS0_20block_scan_algorithmE0ELj4294967295EEENS1_25partition_config_selectorILNS1_17partition_subalgoE3EjNS0_10empty_typeEbEEZZNS1_14partition_implILS8_3ELb0ES6_jNS0_17counting_iteratorIjlEEPS9_SE_NS0_5tupleIJPjSE_EEENSF_IJSE_SE_EEES9_SG_JZNS1_25segmented_radix_sort_implINS0_14default_configELb0EPKdPdPKlPlN2at6native12_GLOBAL__N_18offset_tEEE10hipError_tPvRmT1_PNSt15iterator_traitsISY_E10value_typeET2_T3_PNSZ_IS14_E10value_typeET4_jRbjT5_S1A_jjP12ihipStream_tbEUljE_EEESV_SW_SX_S14_S18_S1A_T6_T7_T9_mT8_S1C_bDpT10_ENKUlT_T0_E_clISt17integral_constantIbLb0EES1O_IbLb1EEEEDaS1K_S1L_EUlS1K_E_NS1_11comp_targetILNS1_3genE10ELNS1_11target_archE1200ELNS1_3gpuE4ELNS1_3repE0EEENS1_30default_config_static_selectorELNS0_4arch9wavefront6targetE0EEEvSY_,"axG",@progbits,_ZN7rocprim17ROCPRIM_400000_NS6detail17trampoline_kernelINS0_13select_configILj256ELj13ELNS0_17block_load_methodE3ELS4_3ELS4_3ELNS0_20block_scan_algorithmE0ELj4294967295EEENS1_25partition_config_selectorILNS1_17partition_subalgoE3EjNS0_10empty_typeEbEEZZNS1_14partition_implILS8_3ELb0ES6_jNS0_17counting_iteratorIjlEEPS9_SE_NS0_5tupleIJPjSE_EEENSF_IJSE_SE_EEES9_SG_JZNS1_25segmented_radix_sort_implINS0_14default_configELb0EPKdPdPKlPlN2at6native12_GLOBAL__N_18offset_tEEE10hipError_tPvRmT1_PNSt15iterator_traitsISY_E10value_typeET2_T3_PNSZ_IS14_E10value_typeET4_jRbjT5_S1A_jjP12ihipStream_tbEUljE_EEESV_SW_SX_S14_S18_S1A_T6_T7_T9_mT8_S1C_bDpT10_ENKUlT_T0_E_clISt17integral_constantIbLb0EES1O_IbLb1EEEEDaS1K_S1L_EUlS1K_E_NS1_11comp_targetILNS1_3genE10ELNS1_11target_archE1200ELNS1_3gpuE4ELNS1_3repE0EEENS1_30default_config_static_selectorELNS0_4arch9wavefront6targetE0EEEvSY_,comdat
	.globl	_ZN7rocprim17ROCPRIM_400000_NS6detail17trampoline_kernelINS0_13select_configILj256ELj13ELNS0_17block_load_methodE3ELS4_3ELS4_3ELNS0_20block_scan_algorithmE0ELj4294967295EEENS1_25partition_config_selectorILNS1_17partition_subalgoE3EjNS0_10empty_typeEbEEZZNS1_14partition_implILS8_3ELb0ES6_jNS0_17counting_iteratorIjlEEPS9_SE_NS0_5tupleIJPjSE_EEENSF_IJSE_SE_EEES9_SG_JZNS1_25segmented_radix_sort_implINS0_14default_configELb0EPKdPdPKlPlN2at6native12_GLOBAL__N_18offset_tEEE10hipError_tPvRmT1_PNSt15iterator_traitsISY_E10value_typeET2_T3_PNSZ_IS14_E10value_typeET4_jRbjT5_S1A_jjP12ihipStream_tbEUljE_EEESV_SW_SX_S14_S18_S1A_T6_T7_T9_mT8_S1C_bDpT10_ENKUlT_T0_E_clISt17integral_constantIbLb0EES1O_IbLb1EEEEDaS1K_S1L_EUlS1K_E_NS1_11comp_targetILNS1_3genE10ELNS1_11target_archE1200ELNS1_3gpuE4ELNS1_3repE0EEENS1_30default_config_static_selectorELNS0_4arch9wavefront6targetE0EEEvSY_ ; -- Begin function _ZN7rocprim17ROCPRIM_400000_NS6detail17trampoline_kernelINS0_13select_configILj256ELj13ELNS0_17block_load_methodE3ELS4_3ELS4_3ELNS0_20block_scan_algorithmE0ELj4294967295EEENS1_25partition_config_selectorILNS1_17partition_subalgoE3EjNS0_10empty_typeEbEEZZNS1_14partition_implILS8_3ELb0ES6_jNS0_17counting_iteratorIjlEEPS9_SE_NS0_5tupleIJPjSE_EEENSF_IJSE_SE_EEES9_SG_JZNS1_25segmented_radix_sort_implINS0_14default_configELb0EPKdPdPKlPlN2at6native12_GLOBAL__N_18offset_tEEE10hipError_tPvRmT1_PNSt15iterator_traitsISY_E10value_typeET2_T3_PNSZ_IS14_E10value_typeET4_jRbjT5_S1A_jjP12ihipStream_tbEUljE_EEESV_SW_SX_S14_S18_S1A_T6_T7_T9_mT8_S1C_bDpT10_ENKUlT_T0_E_clISt17integral_constantIbLb0EES1O_IbLb1EEEEDaS1K_S1L_EUlS1K_E_NS1_11comp_targetILNS1_3genE10ELNS1_11target_archE1200ELNS1_3gpuE4ELNS1_3repE0EEENS1_30default_config_static_selectorELNS0_4arch9wavefront6targetE0EEEvSY_
	.p2align	8
	.type	_ZN7rocprim17ROCPRIM_400000_NS6detail17trampoline_kernelINS0_13select_configILj256ELj13ELNS0_17block_load_methodE3ELS4_3ELS4_3ELNS0_20block_scan_algorithmE0ELj4294967295EEENS1_25partition_config_selectorILNS1_17partition_subalgoE3EjNS0_10empty_typeEbEEZZNS1_14partition_implILS8_3ELb0ES6_jNS0_17counting_iteratorIjlEEPS9_SE_NS0_5tupleIJPjSE_EEENSF_IJSE_SE_EEES9_SG_JZNS1_25segmented_radix_sort_implINS0_14default_configELb0EPKdPdPKlPlN2at6native12_GLOBAL__N_18offset_tEEE10hipError_tPvRmT1_PNSt15iterator_traitsISY_E10value_typeET2_T3_PNSZ_IS14_E10value_typeET4_jRbjT5_S1A_jjP12ihipStream_tbEUljE_EEESV_SW_SX_S14_S18_S1A_T6_T7_T9_mT8_S1C_bDpT10_ENKUlT_T0_E_clISt17integral_constantIbLb0EES1O_IbLb1EEEEDaS1K_S1L_EUlS1K_E_NS1_11comp_targetILNS1_3genE10ELNS1_11target_archE1200ELNS1_3gpuE4ELNS1_3repE0EEENS1_30default_config_static_selectorELNS0_4arch9wavefront6targetE0EEEvSY_,@function
_ZN7rocprim17ROCPRIM_400000_NS6detail17trampoline_kernelINS0_13select_configILj256ELj13ELNS0_17block_load_methodE3ELS4_3ELS4_3ELNS0_20block_scan_algorithmE0ELj4294967295EEENS1_25partition_config_selectorILNS1_17partition_subalgoE3EjNS0_10empty_typeEbEEZZNS1_14partition_implILS8_3ELb0ES6_jNS0_17counting_iteratorIjlEEPS9_SE_NS0_5tupleIJPjSE_EEENSF_IJSE_SE_EEES9_SG_JZNS1_25segmented_radix_sort_implINS0_14default_configELb0EPKdPdPKlPlN2at6native12_GLOBAL__N_18offset_tEEE10hipError_tPvRmT1_PNSt15iterator_traitsISY_E10value_typeET2_T3_PNSZ_IS14_E10value_typeET4_jRbjT5_S1A_jjP12ihipStream_tbEUljE_EEESV_SW_SX_S14_S18_S1A_T6_T7_T9_mT8_S1C_bDpT10_ENKUlT_T0_E_clISt17integral_constantIbLb0EES1O_IbLb1EEEEDaS1K_S1L_EUlS1K_E_NS1_11comp_targetILNS1_3genE10ELNS1_11target_archE1200ELNS1_3gpuE4ELNS1_3repE0EEENS1_30default_config_static_selectorELNS0_4arch9wavefront6targetE0EEEvSY_: ; @_ZN7rocprim17ROCPRIM_400000_NS6detail17trampoline_kernelINS0_13select_configILj256ELj13ELNS0_17block_load_methodE3ELS4_3ELS4_3ELNS0_20block_scan_algorithmE0ELj4294967295EEENS1_25partition_config_selectorILNS1_17partition_subalgoE3EjNS0_10empty_typeEbEEZZNS1_14partition_implILS8_3ELb0ES6_jNS0_17counting_iteratorIjlEEPS9_SE_NS0_5tupleIJPjSE_EEENSF_IJSE_SE_EEES9_SG_JZNS1_25segmented_radix_sort_implINS0_14default_configELb0EPKdPdPKlPlN2at6native12_GLOBAL__N_18offset_tEEE10hipError_tPvRmT1_PNSt15iterator_traitsISY_E10value_typeET2_T3_PNSZ_IS14_E10value_typeET4_jRbjT5_S1A_jjP12ihipStream_tbEUljE_EEESV_SW_SX_S14_S18_S1A_T6_T7_T9_mT8_S1C_bDpT10_ENKUlT_T0_E_clISt17integral_constantIbLb0EES1O_IbLb1EEEEDaS1K_S1L_EUlS1K_E_NS1_11comp_targetILNS1_3genE10ELNS1_11target_archE1200ELNS1_3gpuE4ELNS1_3repE0EEENS1_30default_config_static_selectorELNS0_4arch9wavefront6targetE0EEEvSY_
; %bb.0:
	.section	.rodata,"a",@progbits
	.p2align	6, 0x0
	.amdhsa_kernel _ZN7rocprim17ROCPRIM_400000_NS6detail17trampoline_kernelINS0_13select_configILj256ELj13ELNS0_17block_load_methodE3ELS4_3ELS4_3ELNS0_20block_scan_algorithmE0ELj4294967295EEENS1_25partition_config_selectorILNS1_17partition_subalgoE3EjNS0_10empty_typeEbEEZZNS1_14partition_implILS8_3ELb0ES6_jNS0_17counting_iteratorIjlEEPS9_SE_NS0_5tupleIJPjSE_EEENSF_IJSE_SE_EEES9_SG_JZNS1_25segmented_radix_sort_implINS0_14default_configELb0EPKdPdPKlPlN2at6native12_GLOBAL__N_18offset_tEEE10hipError_tPvRmT1_PNSt15iterator_traitsISY_E10value_typeET2_T3_PNSZ_IS14_E10value_typeET4_jRbjT5_S1A_jjP12ihipStream_tbEUljE_EEESV_SW_SX_S14_S18_S1A_T6_T7_T9_mT8_S1C_bDpT10_ENKUlT_T0_E_clISt17integral_constantIbLb0EES1O_IbLb1EEEEDaS1K_S1L_EUlS1K_E_NS1_11comp_targetILNS1_3genE10ELNS1_11target_archE1200ELNS1_3gpuE4ELNS1_3repE0EEENS1_30default_config_static_selectorELNS0_4arch9wavefront6targetE0EEEvSY_
		.amdhsa_group_segment_fixed_size 0
		.amdhsa_private_segment_fixed_size 0
		.amdhsa_kernarg_size 152
		.amdhsa_user_sgpr_count 6
		.amdhsa_user_sgpr_private_segment_buffer 1
		.amdhsa_user_sgpr_dispatch_ptr 0
		.amdhsa_user_sgpr_queue_ptr 0
		.amdhsa_user_sgpr_kernarg_segment_ptr 1
		.amdhsa_user_sgpr_dispatch_id 0
		.amdhsa_user_sgpr_flat_scratch_init 0
		.amdhsa_user_sgpr_private_segment_size 0
		.amdhsa_wavefront_size32 1
		.amdhsa_uses_dynamic_stack 0
		.amdhsa_system_sgpr_private_segment_wavefront_offset 0
		.amdhsa_system_sgpr_workgroup_id_x 1
		.amdhsa_system_sgpr_workgroup_id_y 0
		.amdhsa_system_sgpr_workgroup_id_z 0
		.amdhsa_system_sgpr_workgroup_info 0
		.amdhsa_system_vgpr_workitem_id 0
		.amdhsa_next_free_vgpr 1
		.amdhsa_next_free_sgpr 1
		.amdhsa_reserve_vcc 0
		.amdhsa_reserve_flat_scratch 0
		.amdhsa_float_round_mode_32 0
		.amdhsa_float_round_mode_16_64 0
		.amdhsa_float_denorm_mode_32 3
		.amdhsa_float_denorm_mode_16_64 3
		.amdhsa_dx10_clamp 1
		.amdhsa_ieee_mode 1
		.amdhsa_fp16_overflow 0
		.amdhsa_workgroup_processor_mode 1
		.amdhsa_memory_ordered 1
		.amdhsa_forward_progress 1
		.amdhsa_shared_vgpr_count 0
		.amdhsa_exception_fp_ieee_invalid_op 0
		.amdhsa_exception_fp_denorm_src 0
		.amdhsa_exception_fp_ieee_div_zero 0
		.amdhsa_exception_fp_ieee_overflow 0
		.amdhsa_exception_fp_ieee_underflow 0
		.amdhsa_exception_fp_ieee_inexact 0
		.amdhsa_exception_int_div_zero 0
	.end_amdhsa_kernel
	.section	.text._ZN7rocprim17ROCPRIM_400000_NS6detail17trampoline_kernelINS0_13select_configILj256ELj13ELNS0_17block_load_methodE3ELS4_3ELS4_3ELNS0_20block_scan_algorithmE0ELj4294967295EEENS1_25partition_config_selectorILNS1_17partition_subalgoE3EjNS0_10empty_typeEbEEZZNS1_14partition_implILS8_3ELb0ES6_jNS0_17counting_iteratorIjlEEPS9_SE_NS0_5tupleIJPjSE_EEENSF_IJSE_SE_EEES9_SG_JZNS1_25segmented_radix_sort_implINS0_14default_configELb0EPKdPdPKlPlN2at6native12_GLOBAL__N_18offset_tEEE10hipError_tPvRmT1_PNSt15iterator_traitsISY_E10value_typeET2_T3_PNSZ_IS14_E10value_typeET4_jRbjT5_S1A_jjP12ihipStream_tbEUljE_EEESV_SW_SX_S14_S18_S1A_T6_T7_T9_mT8_S1C_bDpT10_ENKUlT_T0_E_clISt17integral_constantIbLb0EES1O_IbLb1EEEEDaS1K_S1L_EUlS1K_E_NS1_11comp_targetILNS1_3genE10ELNS1_11target_archE1200ELNS1_3gpuE4ELNS1_3repE0EEENS1_30default_config_static_selectorELNS0_4arch9wavefront6targetE0EEEvSY_,"axG",@progbits,_ZN7rocprim17ROCPRIM_400000_NS6detail17trampoline_kernelINS0_13select_configILj256ELj13ELNS0_17block_load_methodE3ELS4_3ELS4_3ELNS0_20block_scan_algorithmE0ELj4294967295EEENS1_25partition_config_selectorILNS1_17partition_subalgoE3EjNS0_10empty_typeEbEEZZNS1_14partition_implILS8_3ELb0ES6_jNS0_17counting_iteratorIjlEEPS9_SE_NS0_5tupleIJPjSE_EEENSF_IJSE_SE_EEES9_SG_JZNS1_25segmented_radix_sort_implINS0_14default_configELb0EPKdPdPKlPlN2at6native12_GLOBAL__N_18offset_tEEE10hipError_tPvRmT1_PNSt15iterator_traitsISY_E10value_typeET2_T3_PNSZ_IS14_E10value_typeET4_jRbjT5_S1A_jjP12ihipStream_tbEUljE_EEESV_SW_SX_S14_S18_S1A_T6_T7_T9_mT8_S1C_bDpT10_ENKUlT_T0_E_clISt17integral_constantIbLb0EES1O_IbLb1EEEEDaS1K_S1L_EUlS1K_E_NS1_11comp_targetILNS1_3genE10ELNS1_11target_archE1200ELNS1_3gpuE4ELNS1_3repE0EEENS1_30default_config_static_selectorELNS0_4arch9wavefront6targetE0EEEvSY_,comdat
.Lfunc_end1210:
	.size	_ZN7rocprim17ROCPRIM_400000_NS6detail17trampoline_kernelINS0_13select_configILj256ELj13ELNS0_17block_load_methodE3ELS4_3ELS4_3ELNS0_20block_scan_algorithmE0ELj4294967295EEENS1_25partition_config_selectorILNS1_17partition_subalgoE3EjNS0_10empty_typeEbEEZZNS1_14partition_implILS8_3ELb0ES6_jNS0_17counting_iteratorIjlEEPS9_SE_NS0_5tupleIJPjSE_EEENSF_IJSE_SE_EEES9_SG_JZNS1_25segmented_radix_sort_implINS0_14default_configELb0EPKdPdPKlPlN2at6native12_GLOBAL__N_18offset_tEEE10hipError_tPvRmT1_PNSt15iterator_traitsISY_E10value_typeET2_T3_PNSZ_IS14_E10value_typeET4_jRbjT5_S1A_jjP12ihipStream_tbEUljE_EEESV_SW_SX_S14_S18_S1A_T6_T7_T9_mT8_S1C_bDpT10_ENKUlT_T0_E_clISt17integral_constantIbLb0EES1O_IbLb1EEEEDaS1K_S1L_EUlS1K_E_NS1_11comp_targetILNS1_3genE10ELNS1_11target_archE1200ELNS1_3gpuE4ELNS1_3repE0EEENS1_30default_config_static_selectorELNS0_4arch9wavefront6targetE0EEEvSY_, .Lfunc_end1210-_ZN7rocprim17ROCPRIM_400000_NS6detail17trampoline_kernelINS0_13select_configILj256ELj13ELNS0_17block_load_methodE3ELS4_3ELS4_3ELNS0_20block_scan_algorithmE0ELj4294967295EEENS1_25partition_config_selectorILNS1_17partition_subalgoE3EjNS0_10empty_typeEbEEZZNS1_14partition_implILS8_3ELb0ES6_jNS0_17counting_iteratorIjlEEPS9_SE_NS0_5tupleIJPjSE_EEENSF_IJSE_SE_EEES9_SG_JZNS1_25segmented_radix_sort_implINS0_14default_configELb0EPKdPdPKlPlN2at6native12_GLOBAL__N_18offset_tEEE10hipError_tPvRmT1_PNSt15iterator_traitsISY_E10value_typeET2_T3_PNSZ_IS14_E10value_typeET4_jRbjT5_S1A_jjP12ihipStream_tbEUljE_EEESV_SW_SX_S14_S18_S1A_T6_T7_T9_mT8_S1C_bDpT10_ENKUlT_T0_E_clISt17integral_constantIbLb0EES1O_IbLb1EEEEDaS1K_S1L_EUlS1K_E_NS1_11comp_targetILNS1_3genE10ELNS1_11target_archE1200ELNS1_3gpuE4ELNS1_3repE0EEENS1_30default_config_static_selectorELNS0_4arch9wavefront6targetE0EEEvSY_
                                        ; -- End function
	.set _ZN7rocprim17ROCPRIM_400000_NS6detail17trampoline_kernelINS0_13select_configILj256ELj13ELNS0_17block_load_methodE3ELS4_3ELS4_3ELNS0_20block_scan_algorithmE0ELj4294967295EEENS1_25partition_config_selectorILNS1_17partition_subalgoE3EjNS0_10empty_typeEbEEZZNS1_14partition_implILS8_3ELb0ES6_jNS0_17counting_iteratorIjlEEPS9_SE_NS0_5tupleIJPjSE_EEENSF_IJSE_SE_EEES9_SG_JZNS1_25segmented_radix_sort_implINS0_14default_configELb0EPKdPdPKlPlN2at6native12_GLOBAL__N_18offset_tEEE10hipError_tPvRmT1_PNSt15iterator_traitsISY_E10value_typeET2_T3_PNSZ_IS14_E10value_typeET4_jRbjT5_S1A_jjP12ihipStream_tbEUljE_EEESV_SW_SX_S14_S18_S1A_T6_T7_T9_mT8_S1C_bDpT10_ENKUlT_T0_E_clISt17integral_constantIbLb0EES1O_IbLb1EEEEDaS1K_S1L_EUlS1K_E_NS1_11comp_targetILNS1_3genE10ELNS1_11target_archE1200ELNS1_3gpuE4ELNS1_3repE0EEENS1_30default_config_static_selectorELNS0_4arch9wavefront6targetE0EEEvSY_.num_vgpr, 0
	.set _ZN7rocprim17ROCPRIM_400000_NS6detail17trampoline_kernelINS0_13select_configILj256ELj13ELNS0_17block_load_methodE3ELS4_3ELS4_3ELNS0_20block_scan_algorithmE0ELj4294967295EEENS1_25partition_config_selectorILNS1_17partition_subalgoE3EjNS0_10empty_typeEbEEZZNS1_14partition_implILS8_3ELb0ES6_jNS0_17counting_iteratorIjlEEPS9_SE_NS0_5tupleIJPjSE_EEENSF_IJSE_SE_EEES9_SG_JZNS1_25segmented_radix_sort_implINS0_14default_configELb0EPKdPdPKlPlN2at6native12_GLOBAL__N_18offset_tEEE10hipError_tPvRmT1_PNSt15iterator_traitsISY_E10value_typeET2_T3_PNSZ_IS14_E10value_typeET4_jRbjT5_S1A_jjP12ihipStream_tbEUljE_EEESV_SW_SX_S14_S18_S1A_T6_T7_T9_mT8_S1C_bDpT10_ENKUlT_T0_E_clISt17integral_constantIbLb0EES1O_IbLb1EEEEDaS1K_S1L_EUlS1K_E_NS1_11comp_targetILNS1_3genE10ELNS1_11target_archE1200ELNS1_3gpuE4ELNS1_3repE0EEENS1_30default_config_static_selectorELNS0_4arch9wavefront6targetE0EEEvSY_.num_agpr, 0
	.set _ZN7rocprim17ROCPRIM_400000_NS6detail17trampoline_kernelINS0_13select_configILj256ELj13ELNS0_17block_load_methodE3ELS4_3ELS4_3ELNS0_20block_scan_algorithmE0ELj4294967295EEENS1_25partition_config_selectorILNS1_17partition_subalgoE3EjNS0_10empty_typeEbEEZZNS1_14partition_implILS8_3ELb0ES6_jNS0_17counting_iteratorIjlEEPS9_SE_NS0_5tupleIJPjSE_EEENSF_IJSE_SE_EEES9_SG_JZNS1_25segmented_radix_sort_implINS0_14default_configELb0EPKdPdPKlPlN2at6native12_GLOBAL__N_18offset_tEEE10hipError_tPvRmT1_PNSt15iterator_traitsISY_E10value_typeET2_T3_PNSZ_IS14_E10value_typeET4_jRbjT5_S1A_jjP12ihipStream_tbEUljE_EEESV_SW_SX_S14_S18_S1A_T6_T7_T9_mT8_S1C_bDpT10_ENKUlT_T0_E_clISt17integral_constantIbLb0EES1O_IbLb1EEEEDaS1K_S1L_EUlS1K_E_NS1_11comp_targetILNS1_3genE10ELNS1_11target_archE1200ELNS1_3gpuE4ELNS1_3repE0EEENS1_30default_config_static_selectorELNS0_4arch9wavefront6targetE0EEEvSY_.numbered_sgpr, 0
	.set _ZN7rocprim17ROCPRIM_400000_NS6detail17trampoline_kernelINS0_13select_configILj256ELj13ELNS0_17block_load_methodE3ELS4_3ELS4_3ELNS0_20block_scan_algorithmE0ELj4294967295EEENS1_25partition_config_selectorILNS1_17partition_subalgoE3EjNS0_10empty_typeEbEEZZNS1_14partition_implILS8_3ELb0ES6_jNS0_17counting_iteratorIjlEEPS9_SE_NS0_5tupleIJPjSE_EEENSF_IJSE_SE_EEES9_SG_JZNS1_25segmented_radix_sort_implINS0_14default_configELb0EPKdPdPKlPlN2at6native12_GLOBAL__N_18offset_tEEE10hipError_tPvRmT1_PNSt15iterator_traitsISY_E10value_typeET2_T3_PNSZ_IS14_E10value_typeET4_jRbjT5_S1A_jjP12ihipStream_tbEUljE_EEESV_SW_SX_S14_S18_S1A_T6_T7_T9_mT8_S1C_bDpT10_ENKUlT_T0_E_clISt17integral_constantIbLb0EES1O_IbLb1EEEEDaS1K_S1L_EUlS1K_E_NS1_11comp_targetILNS1_3genE10ELNS1_11target_archE1200ELNS1_3gpuE4ELNS1_3repE0EEENS1_30default_config_static_selectorELNS0_4arch9wavefront6targetE0EEEvSY_.num_named_barrier, 0
	.set _ZN7rocprim17ROCPRIM_400000_NS6detail17trampoline_kernelINS0_13select_configILj256ELj13ELNS0_17block_load_methodE3ELS4_3ELS4_3ELNS0_20block_scan_algorithmE0ELj4294967295EEENS1_25partition_config_selectorILNS1_17partition_subalgoE3EjNS0_10empty_typeEbEEZZNS1_14partition_implILS8_3ELb0ES6_jNS0_17counting_iteratorIjlEEPS9_SE_NS0_5tupleIJPjSE_EEENSF_IJSE_SE_EEES9_SG_JZNS1_25segmented_radix_sort_implINS0_14default_configELb0EPKdPdPKlPlN2at6native12_GLOBAL__N_18offset_tEEE10hipError_tPvRmT1_PNSt15iterator_traitsISY_E10value_typeET2_T3_PNSZ_IS14_E10value_typeET4_jRbjT5_S1A_jjP12ihipStream_tbEUljE_EEESV_SW_SX_S14_S18_S1A_T6_T7_T9_mT8_S1C_bDpT10_ENKUlT_T0_E_clISt17integral_constantIbLb0EES1O_IbLb1EEEEDaS1K_S1L_EUlS1K_E_NS1_11comp_targetILNS1_3genE10ELNS1_11target_archE1200ELNS1_3gpuE4ELNS1_3repE0EEENS1_30default_config_static_selectorELNS0_4arch9wavefront6targetE0EEEvSY_.private_seg_size, 0
	.set _ZN7rocprim17ROCPRIM_400000_NS6detail17trampoline_kernelINS0_13select_configILj256ELj13ELNS0_17block_load_methodE3ELS4_3ELS4_3ELNS0_20block_scan_algorithmE0ELj4294967295EEENS1_25partition_config_selectorILNS1_17partition_subalgoE3EjNS0_10empty_typeEbEEZZNS1_14partition_implILS8_3ELb0ES6_jNS0_17counting_iteratorIjlEEPS9_SE_NS0_5tupleIJPjSE_EEENSF_IJSE_SE_EEES9_SG_JZNS1_25segmented_radix_sort_implINS0_14default_configELb0EPKdPdPKlPlN2at6native12_GLOBAL__N_18offset_tEEE10hipError_tPvRmT1_PNSt15iterator_traitsISY_E10value_typeET2_T3_PNSZ_IS14_E10value_typeET4_jRbjT5_S1A_jjP12ihipStream_tbEUljE_EEESV_SW_SX_S14_S18_S1A_T6_T7_T9_mT8_S1C_bDpT10_ENKUlT_T0_E_clISt17integral_constantIbLb0EES1O_IbLb1EEEEDaS1K_S1L_EUlS1K_E_NS1_11comp_targetILNS1_3genE10ELNS1_11target_archE1200ELNS1_3gpuE4ELNS1_3repE0EEENS1_30default_config_static_selectorELNS0_4arch9wavefront6targetE0EEEvSY_.uses_vcc, 0
	.set _ZN7rocprim17ROCPRIM_400000_NS6detail17trampoline_kernelINS0_13select_configILj256ELj13ELNS0_17block_load_methodE3ELS4_3ELS4_3ELNS0_20block_scan_algorithmE0ELj4294967295EEENS1_25partition_config_selectorILNS1_17partition_subalgoE3EjNS0_10empty_typeEbEEZZNS1_14partition_implILS8_3ELb0ES6_jNS0_17counting_iteratorIjlEEPS9_SE_NS0_5tupleIJPjSE_EEENSF_IJSE_SE_EEES9_SG_JZNS1_25segmented_radix_sort_implINS0_14default_configELb0EPKdPdPKlPlN2at6native12_GLOBAL__N_18offset_tEEE10hipError_tPvRmT1_PNSt15iterator_traitsISY_E10value_typeET2_T3_PNSZ_IS14_E10value_typeET4_jRbjT5_S1A_jjP12ihipStream_tbEUljE_EEESV_SW_SX_S14_S18_S1A_T6_T7_T9_mT8_S1C_bDpT10_ENKUlT_T0_E_clISt17integral_constantIbLb0EES1O_IbLb1EEEEDaS1K_S1L_EUlS1K_E_NS1_11comp_targetILNS1_3genE10ELNS1_11target_archE1200ELNS1_3gpuE4ELNS1_3repE0EEENS1_30default_config_static_selectorELNS0_4arch9wavefront6targetE0EEEvSY_.uses_flat_scratch, 0
	.set _ZN7rocprim17ROCPRIM_400000_NS6detail17trampoline_kernelINS0_13select_configILj256ELj13ELNS0_17block_load_methodE3ELS4_3ELS4_3ELNS0_20block_scan_algorithmE0ELj4294967295EEENS1_25partition_config_selectorILNS1_17partition_subalgoE3EjNS0_10empty_typeEbEEZZNS1_14partition_implILS8_3ELb0ES6_jNS0_17counting_iteratorIjlEEPS9_SE_NS0_5tupleIJPjSE_EEENSF_IJSE_SE_EEES9_SG_JZNS1_25segmented_radix_sort_implINS0_14default_configELb0EPKdPdPKlPlN2at6native12_GLOBAL__N_18offset_tEEE10hipError_tPvRmT1_PNSt15iterator_traitsISY_E10value_typeET2_T3_PNSZ_IS14_E10value_typeET4_jRbjT5_S1A_jjP12ihipStream_tbEUljE_EEESV_SW_SX_S14_S18_S1A_T6_T7_T9_mT8_S1C_bDpT10_ENKUlT_T0_E_clISt17integral_constantIbLb0EES1O_IbLb1EEEEDaS1K_S1L_EUlS1K_E_NS1_11comp_targetILNS1_3genE10ELNS1_11target_archE1200ELNS1_3gpuE4ELNS1_3repE0EEENS1_30default_config_static_selectorELNS0_4arch9wavefront6targetE0EEEvSY_.has_dyn_sized_stack, 0
	.set _ZN7rocprim17ROCPRIM_400000_NS6detail17trampoline_kernelINS0_13select_configILj256ELj13ELNS0_17block_load_methodE3ELS4_3ELS4_3ELNS0_20block_scan_algorithmE0ELj4294967295EEENS1_25partition_config_selectorILNS1_17partition_subalgoE3EjNS0_10empty_typeEbEEZZNS1_14partition_implILS8_3ELb0ES6_jNS0_17counting_iteratorIjlEEPS9_SE_NS0_5tupleIJPjSE_EEENSF_IJSE_SE_EEES9_SG_JZNS1_25segmented_radix_sort_implINS0_14default_configELb0EPKdPdPKlPlN2at6native12_GLOBAL__N_18offset_tEEE10hipError_tPvRmT1_PNSt15iterator_traitsISY_E10value_typeET2_T3_PNSZ_IS14_E10value_typeET4_jRbjT5_S1A_jjP12ihipStream_tbEUljE_EEESV_SW_SX_S14_S18_S1A_T6_T7_T9_mT8_S1C_bDpT10_ENKUlT_T0_E_clISt17integral_constantIbLb0EES1O_IbLb1EEEEDaS1K_S1L_EUlS1K_E_NS1_11comp_targetILNS1_3genE10ELNS1_11target_archE1200ELNS1_3gpuE4ELNS1_3repE0EEENS1_30default_config_static_selectorELNS0_4arch9wavefront6targetE0EEEvSY_.has_recursion, 0
	.set _ZN7rocprim17ROCPRIM_400000_NS6detail17trampoline_kernelINS0_13select_configILj256ELj13ELNS0_17block_load_methodE3ELS4_3ELS4_3ELNS0_20block_scan_algorithmE0ELj4294967295EEENS1_25partition_config_selectorILNS1_17partition_subalgoE3EjNS0_10empty_typeEbEEZZNS1_14partition_implILS8_3ELb0ES6_jNS0_17counting_iteratorIjlEEPS9_SE_NS0_5tupleIJPjSE_EEENSF_IJSE_SE_EEES9_SG_JZNS1_25segmented_radix_sort_implINS0_14default_configELb0EPKdPdPKlPlN2at6native12_GLOBAL__N_18offset_tEEE10hipError_tPvRmT1_PNSt15iterator_traitsISY_E10value_typeET2_T3_PNSZ_IS14_E10value_typeET4_jRbjT5_S1A_jjP12ihipStream_tbEUljE_EEESV_SW_SX_S14_S18_S1A_T6_T7_T9_mT8_S1C_bDpT10_ENKUlT_T0_E_clISt17integral_constantIbLb0EES1O_IbLb1EEEEDaS1K_S1L_EUlS1K_E_NS1_11comp_targetILNS1_3genE10ELNS1_11target_archE1200ELNS1_3gpuE4ELNS1_3repE0EEENS1_30default_config_static_selectorELNS0_4arch9wavefront6targetE0EEEvSY_.has_indirect_call, 0
	.section	.AMDGPU.csdata,"",@progbits
; Kernel info:
; codeLenInByte = 0
; TotalNumSgprs: 0
; NumVgprs: 0
; ScratchSize: 0
; MemoryBound: 0
; FloatMode: 240
; IeeeMode: 1
; LDSByteSize: 0 bytes/workgroup (compile time only)
; SGPRBlocks: 0
; VGPRBlocks: 0
; NumSGPRsForWavesPerEU: 1
; NumVGPRsForWavesPerEU: 1
; Occupancy: 16
; WaveLimiterHint : 0
; COMPUTE_PGM_RSRC2:SCRATCH_EN: 0
; COMPUTE_PGM_RSRC2:USER_SGPR: 6
; COMPUTE_PGM_RSRC2:TRAP_HANDLER: 0
; COMPUTE_PGM_RSRC2:TGID_X_EN: 1
; COMPUTE_PGM_RSRC2:TGID_Y_EN: 0
; COMPUTE_PGM_RSRC2:TGID_Z_EN: 0
; COMPUTE_PGM_RSRC2:TIDIG_COMP_CNT: 0
	.section	.text._ZN7rocprim17ROCPRIM_400000_NS6detail17trampoline_kernelINS0_13select_configILj256ELj13ELNS0_17block_load_methodE3ELS4_3ELS4_3ELNS0_20block_scan_algorithmE0ELj4294967295EEENS1_25partition_config_selectorILNS1_17partition_subalgoE3EjNS0_10empty_typeEbEEZZNS1_14partition_implILS8_3ELb0ES6_jNS0_17counting_iteratorIjlEEPS9_SE_NS0_5tupleIJPjSE_EEENSF_IJSE_SE_EEES9_SG_JZNS1_25segmented_radix_sort_implINS0_14default_configELb0EPKdPdPKlPlN2at6native12_GLOBAL__N_18offset_tEEE10hipError_tPvRmT1_PNSt15iterator_traitsISY_E10value_typeET2_T3_PNSZ_IS14_E10value_typeET4_jRbjT5_S1A_jjP12ihipStream_tbEUljE_EEESV_SW_SX_S14_S18_S1A_T6_T7_T9_mT8_S1C_bDpT10_ENKUlT_T0_E_clISt17integral_constantIbLb0EES1O_IbLb1EEEEDaS1K_S1L_EUlS1K_E_NS1_11comp_targetILNS1_3genE9ELNS1_11target_archE1100ELNS1_3gpuE3ELNS1_3repE0EEENS1_30default_config_static_selectorELNS0_4arch9wavefront6targetE0EEEvSY_,"axG",@progbits,_ZN7rocprim17ROCPRIM_400000_NS6detail17trampoline_kernelINS0_13select_configILj256ELj13ELNS0_17block_load_methodE3ELS4_3ELS4_3ELNS0_20block_scan_algorithmE0ELj4294967295EEENS1_25partition_config_selectorILNS1_17partition_subalgoE3EjNS0_10empty_typeEbEEZZNS1_14partition_implILS8_3ELb0ES6_jNS0_17counting_iteratorIjlEEPS9_SE_NS0_5tupleIJPjSE_EEENSF_IJSE_SE_EEES9_SG_JZNS1_25segmented_radix_sort_implINS0_14default_configELb0EPKdPdPKlPlN2at6native12_GLOBAL__N_18offset_tEEE10hipError_tPvRmT1_PNSt15iterator_traitsISY_E10value_typeET2_T3_PNSZ_IS14_E10value_typeET4_jRbjT5_S1A_jjP12ihipStream_tbEUljE_EEESV_SW_SX_S14_S18_S1A_T6_T7_T9_mT8_S1C_bDpT10_ENKUlT_T0_E_clISt17integral_constantIbLb0EES1O_IbLb1EEEEDaS1K_S1L_EUlS1K_E_NS1_11comp_targetILNS1_3genE9ELNS1_11target_archE1100ELNS1_3gpuE3ELNS1_3repE0EEENS1_30default_config_static_selectorELNS0_4arch9wavefront6targetE0EEEvSY_,comdat
	.globl	_ZN7rocprim17ROCPRIM_400000_NS6detail17trampoline_kernelINS0_13select_configILj256ELj13ELNS0_17block_load_methodE3ELS4_3ELS4_3ELNS0_20block_scan_algorithmE0ELj4294967295EEENS1_25partition_config_selectorILNS1_17partition_subalgoE3EjNS0_10empty_typeEbEEZZNS1_14partition_implILS8_3ELb0ES6_jNS0_17counting_iteratorIjlEEPS9_SE_NS0_5tupleIJPjSE_EEENSF_IJSE_SE_EEES9_SG_JZNS1_25segmented_radix_sort_implINS0_14default_configELb0EPKdPdPKlPlN2at6native12_GLOBAL__N_18offset_tEEE10hipError_tPvRmT1_PNSt15iterator_traitsISY_E10value_typeET2_T3_PNSZ_IS14_E10value_typeET4_jRbjT5_S1A_jjP12ihipStream_tbEUljE_EEESV_SW_SX_S14_S18_S1A_T6_T7_T9_mT8_S1C_bDpT10_ENKUlT_T0_E_clISt17integral_constantIbLb0EES1O_IbLb1EEEEDaS1K_S1L_EUlS1K_E_NS1_11comp_targetILNS1_3genE9ELNS1_11target_archE1100ELNS1_3gpuE3ELNS1_3repE0EEENS1_30default_config_static_selectorELNS0_4arch9wavefront6targetE0EEEvSY_ ; -- Begin function _ZN7rocprim17ROCPRIM_400000_NS6detail17trampoline_kernelINS0_13select_configILj256ELj13ELNS0_17block_load_methodE3ELS4_3ELS4_3ELNS0_20block_scan_algorithmE0ELj4294967295EEENS1_25partition_config_selectorILNS1_17partition_subalgoE3EjNS0_10empty_typeEbEEZZNS1_14partition_implILS8_3ELb0ES6_jNS0_17counting_iteratorIjlEEPS9_SE_NS0_5tupleIJPjSE_EEENSF_IJSE_SE_EEES9_SG_JZNS1_25segmented_radix_sort_implINS0_14default_configELb0EPKdPdPKlPlN2at6native12_GLOBAL__N_18offset_tEEE10hipError_tPvRmT1_PNSt15iterator_traitsISY_E10value_typeET2_T3_PNSZ_IS14_E10value_typeET4_jRbjT5_S1A_jjP12ihipStream_tbEUljE_EEESV_SW_SX_S14_S18_S1A_T6_T7_T9_mT8_S1C_bDpT10_ENKUlT_T0_E_clISt17integral_constantIbLb0EES1O_IbLb1EEEEDaS1K_S1L_EUlS1K_E_NS1_11comp_targetILNS1_3genE9ELNS1_11target_archE1100ELNS1_3gpuE3ELNS1_3repE0EEENS1_30default_config_static_selectorELNS0_4arch9wavefront6targetE0EEEvSY_
	.p2align	8
	.type	_ZN7rocprim17ROCPRIM_400000_NS6detail17trampoline_kernelINS0_13select_configILj256ELj13ELNS0_17block_load_methodE3ELS4_3ELS4_3ELNS0_20block_scan_algorithmE0ELj4294967295EEENS1_25partition_config_selectorILNS1_17partition_subalgoE3EjNS0_10empty_typeEbEEZZNS1_14partition_implILS8_3ELb0ES6_jNS0_17counting_iteratorIjlEEPS9_SE_NS0_5tupleIJPjSE_EEENSF_IJSE_SE_EEES9_SG_JZNS1_25segmented_radix_sort_implINS0_14default_configELb0EPKdPdPKlPlN2at6native12_GLOBAL__N_18offset_tEEE10hipError_tPvRmT1_PNSt15iterator_traitsISY_E10value_typeET2_T3_PNSZ_IS14_E10value_typeET4_jRbjT5_S1A_jjP12ihipStream_tbEUljE_EEESV_SW_SX_S14_S18_S1A_T6_T7_T9_mT8_S1C_bDpT10_ENKUlT_T0_E_clISt17integral_constantIbLb0EES1O_IbLb1EEEEDaS1K_S1L_EUlS1K_E_NS1_11comp_targetILNS1_3genE9ELNS1_11target_archE1100ELNS1_3gpuE3ELNS1_3repE0EEENS1_30default_config_static_selectorELNS0_4arch9wavefront6targetE0EEEvSY_,@function
_ZN7rocprim17ROCPRIM_400000_NS6detail17trampoline_kernelINS0_13select_configILj256ELj13ELNS0_17block_load_methodE3ELS4_3ELS4_3ELNS0_20block_scan_algorithmE0ELj4294967295EEENS1_25partition_config_selectorILNS1_17partition_subalgoE3EjNS0_10empty_typeEbEEZZNS1_14partition_implILS8_3ELb0ES6_jNS0_17counting_iteratorIjlEEPS9_SE_NS0_5tupleIJPjSE_EEENSF_IJSE_SE_EEES9_SG_JZNS1_25segmented_radix_sort_implINS0_14default_configELb0EPKdPdPKlPlN2at6native12_GLOBAL__N_18offset_tEEE10hipError_tPvRmT1_PNSt15iterator_traitsISY_E10value_typeET2_T3_PNSZ_IS14_E10value_typeET4_jRbjT5_S1A_jjP12ihipStream_tbEUljE_EEESV_SW_SX_S14_S18_S1A_T6_T7_T9_mT8_S1C_bDpT10_ENKUlT_T0_E_clISt17integral_constantIbLb0EES1O_IbLb1EEEEDaS1K_S1L_EUlS1K_E_NS1_11comp_targetILNS1_3genE9ELNS1_11target_archE1100ELNS1_3gpuE3ELNS1_3repE0EEENS1_30default_config_static_selectorELNS0_4arch9wavefront6targetE0EEEvSY_: ; @_ZN7rocprim17ROCPRIM_400000_NS6detail17trampoline_kernelINS0_13select_configILj256ELj13ELNS0_17block_load_methodE3ELS4_3ELS4_3ELNS0_20block_scan_algorithmE0ELj4294967295EEENS1_25partition_config_selectorILNS1_17partition_subalgoE3EjNS0_10empty_typeEbEEZZNS1_14partition_implILS8_3ELb0ES6_jNS0_17counting_iteratorIjlEEPS9_SE_NS0_5tupleIJPjSE_EEENSF_IJSE_SE_EEES9_SG_JZNS1_25segmented_radix_sort_implINS0_14default_configELb0EPKdPdPKlPlN2at6native12_GLOBAL__N_18offset_tEEE10hipError_tPvRmT1_PNSt15iterator_traitsISY_E10value_typeET2_T3_PNSZ_IS14_E10value_typeET4_jRbjT5_S1A_jjP12ihipStream_tbEUljE_EEESV_SW_SX_S14_S18_S1A_T6_T7_T9_mT8_S1C_bDpT10_ENKUlT_T0_E_clISt17integral_constantIbLb0EES1O_IbLb1EEEEDaS1K_S1L_EUlS1K_E_NS1_11comp_targetILNS1_3genE9ELNS1_11target_archE1100ELNS1_3gpuE3ELNS1_3repE0EEENS1_30default_config_static_selectorELNS0_4arch9wavefront6targetE0EEEvSY_
; %bb.0:
	.section	.rodata,"a",@progbits
	.p2align	6, 0x0
	.amdhsa_kernel _ZN7rocprim17ROCPRIM_400000_NS6detail17trampoline_kernelINS0_13select_configILj256ELj13ELNS0_17block_load_methodE3ELS4_3ELS4_3ELNS0_20block_scan_algorithmE0ELj4294967295EEENS1_25partition_config_selectorILNS1_17partition_subalgoE3EjNS0_10empty_typeEbEEZZNS1_14partition_implILS8_3ELb0ES6_jNS0_17counting_iteratorIjlEEPS9_SE_NS0_5tupleIJPjSE_EEENSF_IJSE_SE_EEES9_SG_JZNS1_25segmented_radix_sort_implINS0_14default_configELb0EPKdPdPKlPlN2at6native12_GLOBAL__N_18offset_tEEE10hipError_tPvRmT1_PNSt15iterator_traitsISY_E10value_typeET2_T3_PNSZ_IS14_E10value_typeET4_jRbjT5_S1A_jjP12ihipStream_tbEUljE_EEESV_SW_SX_S14_S18_S1A_T6_T7_T9_mT8_S1C_bDpT10_ENKUlT_T0_E_clISt17integral_constantIbLb0EES1O_IbLb1EEEEDaS1K_S1L_EUlS1K_E_NS1_11comp_targetILNS1_3genE9ELNS1_11target_archE1100ELNS1_3gpuE3ELNS1_3repE0EEENS1_30default_config_static_selectorELNS0_4arch9wavefront6targetE0EEEvSY_
		.amdhsa_group_segment_fixed_size 0
		.amdhsa_private_segment_fixed_size 0
		.amdhsa_kernarg_size 152
		.amdhsa_user_sgpr_count 6
		.amdhsa_user_sgpr_private_segment_buffer 1
		.amdhsa_user_sgpr_dispatch_ptr 0
		.amdhsa_user_sgpr_queue_ptr 0
		.amdhsa_user_sgpr_kernarg_segment_ptr 1
		.amdhsa_user_sgpr_dispatch_id 0
		.amdhsa_user_sgpr_flat_scratch_init 0
		.amdhsa_user_sgpr_private_segment_size 0
		.amdhsa_wavefront_size32 1
		.amdhsa_uses_dynamic_stack 0
		.amdhsa_system_sgpr_private_segment_wavefront_offset 0
		.amdhsa_system_sgpr_workgroup_id_x 1
		.amdhsa_system_sgpr_workgroup_id_y 0
		.amdhsa_system_sgpr_workgroup_id_z 0
		.amdhsa_system_sgpr_workgroup_info 0
		.amdhsa_system_vgpr_workitem_id 0
		.amdhsa_next_free_vgpr 1
		.amdhsa_next_free_sgpr 1
		.amdhsa_reserve_vcc 0
		.amdhsa_reserve_flat_scratch 0
		.amdhsa_float_round_mode_32 0
		.amdhsa_float_round_mode_16_64 0
		.amdhsa_float_denorm_mode_32 3
		.amdhsa_float_denorm_mode_16_64 3
		.amdhsa_dx10_clamp 1
		.amdhsa_ieee_mode 1
		.amdhsa_fp16_overflow 0
		.amdhsa_workgroup_processor_mode 1
		.amdhsa_memory_ordered 1
		.amdhsa_forward_progress 1
		.amdhsa_shared_vgpr_count 0
		.amdhsa_exception_fp_ieee_invalid_op 0
		.amdhsa_exception_fp_denorm_src 0
		.amdhsa_exception_fp_ieee_div_zero 0
		.amdhsa_exception_fp_ieee_overflow 0
		.amdhsa_exception_fp_ieee_underflow 0
		.amdhsa_exception_fp_ieee_inexact 0
		.amdhsa_exception_int_div_zero 0
	.end_amdhsa_kernel
	.section	.text._ZN7rocprim17ROCPRIM_400000_NS6detail17trampoline_kernelINS0_13select_configILj256ELj13ELNS0_17block_load_methodE3ELS4_3ELS4_3ELNS0_20block_scan_algorithmE0ELj4294967295EEENS1_25partition_config_selectorILNS1_17partition_subalgoE3EjNS0_10empty_typeEbEEZZNS1_14partition_implILS8_3ELb0ES6_jNS0_17counting_iteratorIjlEEPS9_SE_NS0_5tupleIJPjSE_EEENSF_IJSE_SE_EEES9_SG_JZNS1_25segmented_radix_sort_implINS0_14default_configELb0EPKdPdPKlPlN2at6native12_GLOBAL__N_18offset_tEEE10hipError_tPvRmT1_PNSt15iterator_traitsISY_E10value_typeET2_T3_PNSZ_IS14_E10value_typeET4_jRbjT5_S1A_jjP12ihipStream_tbEUljE_EEESV_SW_SX_S14_S18_S1A_T6_T7_T9_mT8_S1C_bDpT10_ENKUlT_T0_E_clISt17integral_constantIbLb0EES1O_IbLb1EEEEDaS1K_S1L_EUlS1K_E_NS1_11comp_targetILNS1_3genE9ELNS1_11target_archE1100ELNS1_3gpuE3ELNS1_3repE0EEENS1_30default_config_static_selectorELNS0_4arch9wavefront6targetE0EEEvSY_,"axG",@progbits,_ZN7rocprim17ROCPRIM_400000_NS6detail17trampoline_kernelINS0_13select_configILj256ELj13ELNS0_17block_load_methodE3ELS4_3ELS4_3ELNS0_20block_scan_algorithmE0ELj4294967295EEENS1_25partition_config_selectorILNS1_17partition_subalgoE3EjNS0_10empty_typeEbEEZZNS1_14partition_implILS8_3ELb0ES6_jNS0_17counting_iteratorIjlEEPS9_SE_NS0_5tupleIJPjSE_EEENSF_IJSE_SE_EEES9_SG_JZNS1_25segmented_radix_sort_implINS0_14default_configELb0EPKdPdPKlPlN2at6native12_GLOBAL__N_18offset_tEEE10hipError_tPvRmT1_PNSt15iterator_traitsISY_E10value_typeET2_T3_PNSZ_IS14_E10value_typeET4_jRbjT5_S1A_jjP12ihipStream_tbEUljE_EEESV_SW_SX_S14_S18_S1A_T6_T7_T9_mT8_S1C_bDpT10_ENKUlT_T0_E_clISt17integral_constantIbLb0EES1O_IbLb1EEEEDaS1K_S1L_EUlS1K_E_NS1_11comp_targetILNS1_3genE9ELNS1_11target_archE1100ELNS1_3gpuE3ELNS1_3repE0EEENS1_30default_config_static_selectorELNS0_4arch9wavefront6targetE0EEEvSY_,comdat
.Lfunc_end1211:
	.size	_ZN7rocprim17ROCPRIM_400000_NS6detail17trampoline_kernelINS0_13select_configILj256ELj13ELNS0_17block_load_methodE3ELS4_3ELS4_3ELNS0_20block_scan_algorithmE0ELj4294967295EEENS1_25partition_config_selectorILNS1_17partition_subalgoE3EjNS0_10empty_typeEbEEZZNS1_14partition_implILS8_3ELb0ES6_jNS0_17counting_iteratorIjlEEPS9_SE_NS0_5tupleIJPjSE_EEENSF_IJSE_SE_EEES9_SG_JZNS1_25segmented_radix_sort_implINS0_14default_configELb0EPKdPdPKlPlN2at6native12_GLOBAL__N_18offset_tEEE10hipError_tPvRmT1_PNSt15iterator_traitsISY_E10value_typeET2_T3_PNSZ_IS14_E10value_typeET4_jRbjT5_S1A_jjP12ihipStream_tbEUljE_EEESV_SW_SX_S14_S18_S1A_T6_T7_T9_mT8_S1C_bDpT10_ENKUlT_T0_E_clISt17integral_constantIbLb0EES1O_IbLb1EEEEDaS1K_S1L_EUlS1K_E_NS1_11comp_targetILNS1_3genE9ELNS1_11target_archE1100ELNS1_3gpuE3ELNS1_3repE0EEENS1_30default_config_static_selectorELNS0_4arch9wavefront6targetE0EEEvSY_, .Lfunc_end1211-_ZN7rocprim17ROCPRIM_400000_NS6detail17trampoline_kernelINS0_13select_configILj256ELj13ELNS0_17block_load_methodE3ELS4_3ELS4_3ELNS0_20block_scan_algorithmE0ELj4294967295EEENS1_25partition_config_selectorILNS1_17partition_subalgoE3EjNS0_10empty_typeEbEEZZNS1_14partition_implILS8_3ELb0ES6_jNS0_17counting_iteratorIjlEEPS9_SE_NS0_5tupleIJPjSE_EEENSF_IJSE_SE_EEES9_SG_JZNS1_25segmented_radix_sort_implINS0_14default_configELb0EPKdPdPKlPlN2at6native12_GLOBAL__N_18offset_tEEE10hipError_tPvRmT1_PNSt15iterator_traitsISY_E10value_typeET2_T3_PNSZ_IS14_E10value_typeET4_jRbjT5_S1A_jjP12ihipStream_tbEUljE_EEESV_SW_SX_S14_S18_S1A_T6_T7_T9_mT8_S1C_bDpT10_ENKUlT_T0_E_clISt17integral_constantIbLb0EES1O_IbLb1EEEEDaS1K_S1L_EUlS1K_E_NS1_11comp_targetILNS1_3genE9ELNS1_11target_archE1100ELNS1_3gpuE3ELNS1_3repE0EEENS1_30default_config_static_selectorELNS0_4arch9wavefront6targetE0EEEvSY_
                                        ; -- End function
	.set _ZN7rocprim17ROCPRIM_400000_NS6detail17trampoline_kernelINS0_13select_configILj256ELj13ELNS0_17block_load_methodE3ELS4_3ELS4_3ELNS0_20block_scan_algorithmE0ELj4294967295EEENS1_25partition_config_selectorILNS1_17partition_subalgoE3EjNS0_10empty_typeEbEEZZNS1_14partition_implILS8_3ELb0ES6_jNS0_17counting_iteratorIjlEEPS9_SE_NS0_5tupleIJPjSE_EEENSF_IJSE_SE_EEES9_SG_JZNS1_25segmented_radix_sort_implINS0_14default_configELb0EPKdPdPKlPlN2at6native12_GLOBAL__N_18offset_tEEE10hipError_tPvRmT1_PNSt15iterator_traitsISY_E10value_typeET2_T3_PNSZ_IS14_E10value_typeET4_jRbjT5_S1A_jjP12ihipStream_tbEUljE_EEESV_SW_SX_S14_S18_S1A_T6_T7_T9_mT8_S1C_bDpT10_ENKUlT_T0_E_clISt17integral_constantIbLb0EES1O_IbLb1EEEEDaS1K_S1L_EUlS1K_E_NS1_11comp_targetILNS1_3genE9ELNS1_11target_archE1100ELNS1_3gpuE3ELNS1_3repE0EEENS1_30default_config_static_selectorELNS0_4arch9wavefront6targetE0EEEvSY_.num_vgpr, 0
	.set _ZN7rocprim17ROCPRIM_400000_NS6detail17trampoline_kernelINS0_13select_configILj256ELj13ELNS0_17block_load_methodE3ELS4_3ELS4_3ELNS0_20block_scan_algorithmE0ELj4294967295EEENS1_25partition_config_selectorILNS1_17partition_subalgoE3EjNS0_10empty_typeEbEEZZNS1_14partition_implILS8_3ELb0ES6_jNS0_17counting_iteratorIjlEEPS9_SE_NS0_5tupleIJPjSE_EEENSF_IJSE_SE_EEES9_SG_JZNS1_25segmented_radix_sort_implINS0_14default_configELb0EPKdPdPKlPlN2at6native12_GLOBAL__N_18offset_tEEE10hipError_tPvRmT1_PNSt15iterator_traitsISY_E10value_typeET2_T3_PNSZ_IS14_E10value_typeET4_jRbjT5_S1A_jjP12ihipStream_tbEUljE_EEESV_SW_SX_S14_S18_S1A_T6_T7_T9_mT8_S1C_bDpT10_ENKUlT_T0_E_clISt17integral_constantIbLb0EES1O_IbLb1EEEEDaS1K_S1L_EUlS1K_E_NS1_11comp_targetILNS1_3genE9ELNS1_11target_archE1100ELNS1_3gpuE3ELNS1_3repE0EEENS1_30default_config_static_selectorELNS0_4arch9wavefront6targetE0EEEvSY_.num_agpr, 0
	.set _ZN7rocprim17ROCPRIM_400000_NS6detail17trampoline_kernelINS0_13select_configILj256ELj13ELNS0_17block_load_methodE3ELS4_3ELS4_3ELNS0_20block_scan_algorithmE0ELj4294967295EEENS1_25partition_config_selectorILNS1_17partition_subalgoE3EjNS0_10empty_typeEbEEZZNS1_14partition_implILS8_3ELb0ES6_jNS0_17counting_iteratorIjlEEPS9_SE_NS0_5tupleIJPjSE_EEENSF_IJSE_SE_EEES9_SG_JZNS1_25segmented_radix_sort_implINS0_14default_configELb0EPKdPdPKlPlN2at6native12_GLOBAL__N_18offset_tEEE10hipError_tPvRmT1_PNSt15iterator_traitsISY_E10value_typeET2_T3_PNSZ_IS14_E10value_typeET4_jRbjT5_S1A_jjP12ihipStream_tbEUljE_EEESV_SW_SX_S14_S18_S1A_T6_T7_T9_mT8_S1C_bDpT10_ENKUlT_T0_E_clISt17integral_constantIbLb0EES1O_IbLb1EEEEDaS1K_S1L_EUlS1K_E_NS1_11comp_targetILNS1_3genE9ELNS1_11target_archE1100ELNS1_3gpuE3ELNS1_3repE0EEENS1_30default_config_static_selectorELNS0_4arch9wavefront6targetE0EEEvSY_.numbered_sgpr, 0
	.set _ZN7rocprim17ROCPRIM_400000_NS6detail17trampoline_kernelINS0_13select_configILj256ELj13ELNS0_17block_load_methodE3ELS4_3ELS4_3ELNS0_20block_scan_algorithmE0ELj4294967295EEENS1_25partition_config_selectorILNS1_17partition_subalgoE3EjNS0_10empty_typeEbEEZZNS1_14partition_implILS8_3ELb0ES6_jNS0_17counting_iteratorIjlEEPS9_SE_NS0_5tupleIJPjSE_EEENSF_IJSE_SE_EEES9_SG_JZNS1_25segmented_radix_sort_implINS0_14default_configELb0EPKdPdPKlPlN2at6native12_GLOBAL__N_18offset_tEEE10hipError_tPvRmT1_PNSt15iterator_traitsISY_E10value_typeET2_T3_PNSZ_IS14_E10value_typeET4_jRbjT5_S1A_jjP12ihipStream_tbEUljE_EEESV_SW_SX_S14_S18_S1A_T6_T7_T9_mT8_S1C_bDpT10_ENKUlT_T0_E_clISt17integral_constantIbLb0EES1O_IbLb1EEEEDaS1K_S1L_EUlS1K_E_NS1_11comp_targetILNS1_3genE9ELNS1_11target_archE1100ELNS1_3gpuE3ELNS1_3repE0EEENS1_30default_config_static_selectorELNS0_4arch9wavefront6targetE0EEEvSY_.num_named_barrier, 0
	.set _ZN7rocprim17ROCPRIM_400000_NS6detail17trampoline_kernelINS0_13select_configILj256ELj13ELNS0_17block_load_methodE3ELS4_3ELS4_3ELNS0_20block_scan_algorithmE0ELj4294967295EEENS1_25partition_config_selectorILNS1_17partition_subalgoE3EjNS0_10empty_typeEbEEZZNS1_14partition_implILS8_3ELb0ES6_jNS0_17counting_iteratorIjlEEPS9_SE_NS0_5tupleIJPjSE_EEENSF_IJSE_SE_EEES9_SG_JZNS1_25segmented_radix_sort_implINS0_14default_configELb0EPKdPdPKlPlN2at6native12_GLOBAL__N_18offset_tEEE10hipError_tPvRmT1_PNSt15iterator_traitsISY_E10value_typeET2_T3_PNSZ_IS14_E10value_typeET4_jRbjT5_S1A_jjP12ihipStream_tbEUljE_EEESV_SW_SX_S14_S18_S1A_T6_T7_T9_mT8_S1C_bDpT10_ENKUlT_T0_E_clISt17integral_constantIbLb0EES1O_IbLb1EEEEDaS1K_S1L_EUlS1K_E_NS1_11comp_targetILNS1_3genE9ELNS1_11target_archE1100ELNS1_3gpuE3ELNS1_3repE0EEENS1_30default_config_static_selectorELNS0_4arch9wavefront6targetE0EEEvSY_.private_seg_size, 0
	.set _ZN7rocprim17ROCPRIM_400000_NS6detail17trampoline_kernelINS0_13select_configILj256ELj13ELNS0_17block_load_methodE3ELS4_3ELS4_3ELNS0_20block_scan_algorithmE0ELj4294967295EEENS1_25partition_config_selectorILNS1_17partition_subalgoE3EjNS0_10empty_typeEbEEZZNS1_14partition_implILS8_3ELb0ES6_jNS0_17counting_iteratorIjlEEPS9_SE_NS0_5tupleIJPjSE_EEENSF_IJSE_SE_EEES9_SG_JZNS1_25segmented_radix_sort_implINS0_14default_configELb0EPKdPdPKlPlN2at6native12_GLOBAL__N_18offset_tEEE10hipError_tPvRmT1_PNSt15iterator_traitsISY_E10value_typeET2_T3_PNSZ_IS14_E10value_typeET4_jRbjT5_S1A_jjP12ihipStream_tbEUljE_EEESV_SW_SX_S14_S18_S1A_T6_T7_T9_mT8_S1C_bDpT10_ENKUlT_T0_E_clISt17integral_constantIbLb0EES1O_IbLb1EEEEDaS1K_S1L_EUlS1K_E_NS1_11comp_targetILNS1_3genE9ELNS1_11target_archE1100ELNS1_3gpuE3ELNS1_3repE0EEENS1_30default_config_static_selectorELNS0_4arch9wavefront6targetE0EEEvSY_.uses_vcc, 0
	.set _ZN7rocprim17ROCPRIM_400000_NS6detail17trampoline_kernelINS0_13select_configILj256ELj13ELNS0_17block_load_methodE3ELS4_3ELS4_3ELNS0_20block_scan_algorithmE0ELj4294967295EEENS1_25partition_config_selectorILNS1_17partition_subalgoE3EjNS0_10empty_typeEbEEZZNS1_14partition_implILS8_3ELb0ES6_jNS0_17counting_iteratorIjlEEPS9_SE_NS0_5tupleIJPjSE_EEENSF_IJSE_SE_EEES9_SG_JZNS1_25segmented_radix_sort_implINS0_14default_configELb0EPKdPdPKlPlN2at6native12_GLOBAL__N_18offset_tEEE10hipError_tPvRmT1_PNSt15iterator_traitsISY_E10value_typeET2_T3_PNSZ_IS14_E10value_typeET4_jRbjT5_S1A_jjP12ihipStream_tbEUljE_EEESV_SW_SX_S14_S18_S1A_T6_T7_T9_mT8_S1C_bDpT10_ENKUlT_T0_E_clISt17integral_constantIbLb0EES1O_IbLb1EEEEDaS1K_S1L_EUlS1K_E_NS1_11comp_targetILNS1_3genE9ELNS1_11target_archE1100ELNS1_3gpuE3ELNS1_3repE0EEENS1_30default_config_static_selectorELNS0_4arch9wavefront6targetE0EEEvSY_.uses_flat_scratch, 0
	.set _ZN7rocprim17ROCPRIM_400000_NS6detail17trampoline_kernelINS0_13select_configILj256ELj13ELNS0_17block_load_methodE3ELS4_3ELS4_3ELNS0_20block_scan_algorithmE0ELj4294967295EEENS1_25partition_config_selectorILNS1_17partition_subalgoE3EjNS0_10empty_typeEbEEZZNS1_14partition_implILS8_3ELb0ES6_jNS0_17counting_iteratorIjlEEPS9_SE_NS0_5tupleIJPjSE_EEENSF_IJSE_SE_EEES9_SG_JZNS1_25segmented_radix_sort_implINS0_14default_configELb0EPKdPdPKlPlN2at6native12_GLOBAL__N_18offset_tEEE10hipError_tPvRmT1_PNSt15iterator_traitsISY_E10value_typeET2_T3_PNSZ_IS14_E10value_typeET4_jRbjT5_S1A_jjP12ihipStream_tbEUljE_EEESV_SW_SX_S14_S18_S1A_T6_T7_T9_mT8_S1C_bDpT10_ENKUlT_T0_E_clISt17integral_constantIbLb0EES1O_IbLb1EEEEDaS1K_S1L_EUlS1K_E_NS1_11comp_targetILNS1_3genE9ELNS1_11target_archE1100ELNS1_3gpuE3ELNS1_3repE0EEENS1_30default_config_static_selectorELNS0_4arch9wavefront6targetE0EEEvSY_.has_dyn_sized_stack, 0
	.set _ZN7rocprim17ROCPRIM_400000_NS6detail17trampoline_kernelINS0_13select_configILj256ELj13ELNS0_17block_load_methodE3ELS4_3ELS4_3ELNS0_20block_scan_algorithmE0ELj4294967295EEENS1_25partition_config_selectorILNS1_17partition_subalgoE3EjNS0_10empty_typeEbEEZZNS1_14partition_implILS8_3ELb0ES6_jNS0_17counting_iteratorIjlEEPS9_SE_NS0_5tupleIJPjSE_EEENSF_IJSE_SE_EEES9_SG_JZNS1_25segmented_radix_sort_implINS0_14default_configELb0EPKdPdPKlPlN2at6native12_GLOBAL__N_18offset_tEEE10hipError_tPvRmT1_PNSt15iterator_traitsISY_E10value_typeET2_T3_PNSZ_IS14_E10value_typeET4_jRbjT5_S1A_jjP12ihipStream_tbEUljE_EEESV_SW_SX_S14_S18_S1A_T6_T7_T9_mT8_S1C_bDpT10_ENKUlT_T0_E_clISt17integral_constantIbLb0EES1O_IbLb1EEEEDaS1K_S1L_EUlS1K_E_NS1_11comp_targetILNS1_3genE9ELNS1_11target_archE1100ELNS1_3gpuE3ELNS1_3repE0EEENS1_30default_config_static_selectorELNS0_4arch9wavefront6targetE0EEEvSY_.has_recursion, 0
	.set _ZN7rocprim17ROCPRIM_400000_NS6detail17trampoline_kernelINS0_13select_configILj256ELj13ELNS0_17block_load_methodE3ELS4_3ELS4_3ELNS0_20block_scan_algorithmE0ELj4294967295EEENS1_25partition_config_selectorILNS1_17partition_subalgoE3EjNS0_10empty_typeEbEEZZNS1_14partition_implILS8_3ELb0ES6_jNS0_17counting_iteratorIjlEEPS9_SE_NS0_5tupleIJPjSE_EEENSF_IJSE_SE_EEES9_SG_JZNS1_25segmented_radix_sort_implINS0_14default_configELb0EPKdPdPKlPlN2at6native12_GLOBAL__N_18offset_tEEE10hipError_tPvRmT1_PNSt15iterator_traitsISY_E10value_typeET2_T3_PNSZ_IS14_E10value_typeET4_jRbjT5_S1A_jjP12ihipStream_tbEUljE_EEESV_SW_SX_S14_S18_S1A_T6_T7_T9_mT8_S1C_bDpT10_ENKUlT_T0_E_clISt17integral_constantIbLb0EES1O_IbLb1EEEEDaS1K_S1L_EUlS1K_E_NS1_11comp_targetILNS1_3genE9ELNS1_11target_archE1100ELNS1_3gpuE3ELNS1_3repE0EEENS1_30default_config_static_selectorELNS0_4arch9wavefront6targetE0EEEvSY_.has_indirect_call, 0
	.section	.AMDGPU.csdata,"",@progbits
; Kernel info:
; codeLenInByte = 0
; TotalNumSgprs: 0
; NumVgprs: 0
; ScratchSize: 0
; MemoryBound: 0
; FloatMode: 240
; IeeeMode: 1
; LDSByteSize: 0 bytes/workgroup (compile time only)
; SGPRBlocks: 0
; VGPRBlocks: 0
; NumSGPRsForWavesPerEU: 1
; NumVGPRsForWavesPerEU: 1
; Occupancy: 16
; WaveLimiterHint : 0
; COMPUTE_PGM_RSRC2:SCRATCH_EN: 0
; COMPUTE_PGM_RSRC2:USER_SGPR: 6
; COMPUTE_PGM_RSRC2:TRAP_HANDLER: 0
; COMPUTE_PGM_RSRC2:TGID_X_EN: 1
; COMPUTE_PGM_RSRC2:TGID_Y_EN: 0
; COMPUTE_PGM_RSRC2:TGID_Z_EN: 0
; COMPUTE_PGM_RSRC2:TIDIG_COMP_CNT: 0
	.section	.text._ZN7rocprim17ROCPRIM_400000_NS6detail17trampoline_kernelINS0_13select_configILj256ELj13ELNS0_17block_load_methodE3ELS4_3ELS4_3ELNS0_20block_scan_algorithmE0ELj4294967295EEENS1_25partition_config_selectorILNS1_17partition_subalgoE3EjNS0_10empty_typeEbEEZZNS1_14partition_implILS8_3ELb0ES6_jNS0_17counting_iteratorIjlEEPS9_SE_NS0_5tupleIJPjSE_EEENSF_IJSE_SE_EEES9_SG_JZNS1_25segmented_radix_sort_implINS0_14default_configELb0EPKdPdPKlPlN2at6native12_GLOBAL__N_18offset_tEEE10hipError_tPvRmT1_PNSt15iterator_traitsISY_E10value_typeET2_T3_PNSZ_IS14_E10value_typeET4_jRbjT5_S1A_jjP12ihipStream_tbEUljE_EEESV_SW_SX_S14_S18_S1A_T6_T7_T9_mT8_S1C_bDpT10_ENKUlT_T0_E_clISt17integral_constantIbLb0EES1O_IbLb1EEEEDaS1K_S1L_EUlS1K_E_NS1_11comp_targetILNS1_3genE8ELNS1_11target_archE1030ELNS1_3gpuE2ELNS1_3repE0EEENS1_30default_config_static_selectorELNS0_4arch9wavefront6targetE0EEEvSY_,"axG",@progbits,_ZN7rocprim17ROCPRIM_400000_NS6detail17trampoline_kernelINS0_13select_configILj256ELj13ELNS0_17block_load_methodE3ELS4_3ELS4_3ELNS0_20block_scan_algorithmE0ELj4294967295EEENS1_25partition_config_selectorILNS1_17partition_subalgoE3EjNS0_10empty_typeEbEEZZNS1_14partition_implILS8_3ELb0ES6_jNS0_17counting_iteratorIjlEEPS9_SE_NS0_5tupleIJPjSE_EEENSF_IJSE_SE_EEES9_SG_JZNS1_25segmented_radix_sort_implINS0_14default_configELb0EPKdPdPKlPlN2at6native12_GLOBAL__N_18offset_tEEE10hipError_tPvRmT1_PNSt15iterator_traitsISY_E10value_typeET2_T3_PNSZ_IS14_E10value_typeET4_jRbjT5_S1A_jjP12ihipStream_tbEUljE_EEESV_SW_SX_S14_S18_S1A_T6_T7_T9_mT8_S1C_bDpT10_ENKUlT_T0_E_clISt17integral_constantIbLb0EES1O_IbLb1EEEEDaS1K_S1L_EUlS1K_E_NS1_11comp_targetILNS1_3genE8ELNS1_11target_archE1030ELNS1_3gpuE2ELNS1_3repE0EEENS1_30default_config_static_selectorELNS0_4arch9wavefront6targetE0EEEvSY_,comdat
	.globl	_ZN7rocprim17ROCPRIM_400000_NS6detail17trampoline_kernelINS0_13select_configILj256ELj13ELNS0_17block_load_methodE3ELS4_3ELS4_3ELNS0_20block_scan_algorithmE0ELj4294967295EEENS1_25partition_config_selectorILNS1_17partition_subalgoE3EjNS0_10empty_typeEbEEZZNS1_14partition_implILS8_3ELb0ES6_jNS0_17counting_iteratorIjlEEPS9_SE_NS0_5tupleIJPjSE_EEENSF_IJSE_SE_EEES9_SG_JZNS1_25segmented_radix_sort_implINS0_14default_configELb0EPKdPdPKlPlN2at6native12_GLOBAL__N_18offset_tEEE10hipError_tPvRmT1_PNSt15iterator_traitsISY_E10value_typeET2_T3_PNSZ_IS14_E10value_typeET4_jRbjT5_S1A_jjP12ihipStream_tbEUljE_EEESV_SW_SX_S14_S18_S1A_T6_T7_T9_mT8_S1C_bDpT10_ENKUlT_T0_E_clISt17integral_constantIbLb0EES1O_IbLb1EEEEDaS1K_S1L_EUlS1K_E_NS1_11comp_targetILNS1_3genE8ELNS1_11target_archE1030ELNS1_3gpuE2ELNS1_3repE0EEENS1_30default_config_static_selectorELNS0_4arch9wavefront6targetE0EEEvSY_ ; -- Begin function _ZN7rocprim17ROCPRIM_400000_NS6detail17trampoline_kernelINS0_13select_configILj256ELj13ELNS0_17block_load_methodE3ELS4_3ELS4_3ELNS0_20block_scan_algorithmE0ELj4294967295EEENS1_25partition_config_selectorILNS1_17partition_subalgoE3EjNS0_10empty_typeEbEEZZNS1_14partition_implILS8_3ELb0ES6_jNS0_17counting_iteratorIjlEEPS9_SE_NS0_5tupleIJPjSE_EEENSF_IJSE_SE_EEES9_SG_JZNS1_25segmented_radix_sort_implINS0_14default_configELb0EPKdPdPKlPlN2at6native12_GLOBAL__N_18offset_tEEE10hipError_tPvRmT1_PNSt15iterator_traitsISY_E10value_typeET2_T3_PNSZ_IS14_E10value_typeET4_jRbjT5_S1A_jjP12ihipStream_tbEUljE_EEESV_SW_SX_S14_S18_S1A_T6_T7_T9_mT8_S1C_bDpT10_ENKUlT_T0_E_clISt17integral_constantIbLb0EES1O_IbLb1EEEEDaS1K_S1L_EUlS1K_E_NS1_11comp_targetILNS1_3genE8ELNS1_11target_archE1030ELNS1_3gpuE2ELNS1_3repE0EEENS1_30default_config_static_selectorELNS0_4arch9wavefront6targetE0EEEvSY_
	.p2align	8
	.type	_ZN7rocprim17ROCPRIM_400000_NS6detail17trampoline_kernelINS0_13select_configILj256ELj13ELNS0_17block_load_methodE3ELS4_3ELS4_3ELNS0_20block_scan_algorithmE0ELj4294967295EEENS1_25partition_config_selectorILNS1_17partition_subalgoE3EjNS0_10empty_typeEbEEZZNS1_14partition_implILS8_3ELb0ES6_jNS0_17counting_iteratorIjlEEPS9_SE_NS0_5tupleIJPjSE_EEENSF_IJSE_SE_EEES9_SG_JZNS1_25segmented_radix_sort_implINS0_14default_configELb0EPKdPdPKlPlN2at6native12_GLOBAL__N_18offset_tEEE10hipError_tPvRmT1_PNSt15iterator_traitsISY_E10value_typeET2_T3_PNSZ_IS14_E10value_typeET4_jRbjT5_S1A_jjP12ihipStream_tbEUljE_EEESV_SW_SX_S14_S18_S1A_T6_T7_T9_mT8_S1C_bDpT10_ENKUlT_T0_E_clISt17integral_constantIbLb0EES1O_IbLb1EEEEDaS1K_S1L_EUlS1K_E_NS1_11comp_targetILNS1_3genE8ELNS1_11target_archE1030ELNS1_3gpuE2ELNS1_3repE0EEENS1_30default_config_static_selectorELNS0_4arch9wavefront6targetE0EEEvSY_,@function
_ZN7rocprim17ROCPRIM_400000_NS6detail17trampoline_kernelINS0_13select_configILj256ELj13ELNS0_17block_load_methodE3ELS4_3ELS4_3ELNS0_20block_scan_algorithmE0ELj4294967295EEENS1_25partition_config_selectorILNS1_17partition_subalgoE3EjNS0_10empty_typeEbEEZZNS1_14partition_implILS8_3ELb0ES6_jNS0_17counting_iteratorIjlEEPS9_SE_NS0_5tupleIJPjSE_EEENSF_IJSE_SE_EEES9_SG_JZNS1_25segmented_radix_sort_implINS0_14default_configELb0EPKdPdPKlPlN2at6native12_GLOBAL__N_18offset_tEEE10hipError_tPvRmT1_PNSt15iterator_traitsISY_E10value_typeET2_T3_PNSZ_IS14_E10value_typeET4_jRbjT5_S1A_jjP12ihipStream_tbEUljE_EEESV_SW_SX_S14_S18_S1A_T6_T7_T9_mT8_S1C_bDpT10_ENKUlT_T0_E_clISt17integral_constantIbLb0EES1O_IbLb1EEEEDaS1K_S1L_EUlS1K_E_NS1_11comp_targetILNS1_3genE8ELNS1_11target_archE1030ELNS1_3gpuE2ELNS1_3repE0EEENS1_30default_config_static_selectorELNS0_4arch9wavefront6targetE0EEEvSY_: ; @_ZN7rocprim17ROCPRIM_400000_NS6detail17trampoline_kernelINS0_13select_configILj256ELj13ELNS0_17block_load_methodE3ELS4_3ELS4_3ELNS0_20block_scan_algorithmE0ELj4294967295EEENS1_25partition_config_selectorILNS1_17partition_subalgoE3EjNS0_10empty_typeEbEEZZNS1_14partition_implILS8_3ELb0ES6_jNS0_17counting_iteratorIjlEEPS9_SE_NS0_5tupleIJPjSE_EEENSF_IJSE_SE_EEES9_SG_JZNS1_25segmented_radix_sort_implINS0_14default_configELb0EPKdPdPKlPlN2at6native12_GLOBAL__N_18offset_tEEE10hipError_tPvRmT1_PNSt15iterator_traitsISY_E10value_typeET2_T3_PNSZ_IS14_E10value_typeET4_jRbjT5_S1A_jjP12ihipStream_tbEUljE_EEESV_SW_SX_S14_S18_S1A_T6_T7_T9_mT8_S1C_bDpT10_ENKUlT_T0_E_clISt17integral_constantIbLb0EES1O_IbLb1EEEEDaS1K_S1L_EUlS1K_E_NS1_11comp_targetILNS1_3genE8ELNS1_11target_archE1030ELNS1_3gpuE2ELNS1_3repE0EEENS1_30default_config_static_selectorELNS0_4arch9wavefront6targetE0EEEvSY_
; %bb.0:
	s_clause 0x6
	s_load_dwordx2 s[18:19], s[4:5], 0x10
	s_load_dwordx2 s[16:17], s[4:5], 0x28
	;; [unrolled: 1-line block ×3, first 2 shown]
	s_load_dwordx4 s[12:15], s[4:5], 0x48
	s_load_dword s2, s[4:5], 0x90
	s_load_dwordx2 s[22:23], s[4:5], 0x68
	s_load_dwordx4 s[8:11], s[4:5], 0x80
	v_cmp_eq_u32_e64 s0, 0, v0
	s_and_saveexec_b32 s1, s0
	s_cbranch_execz .LBB1212_4
; %bb.1:
	s_mov_b32 s6, exec_lo
	s_mov_b32 s3, exec_lo
	v_mbcnt_lo_u32_b32 v1, s6, 0
                                        ; implicit-def: $vgpr2
	v_cmpx_eq_u32_e32 0, v1
	s_cbranch_execz .LBB1212_3
; %bb.2:
	s_load_dwordx2 s[24:25], s[4:5], 0x78
	s_bcnt1_i32_b32 s6, s6
	v_mov_b32_e32 v2, 0
	v_mov_b32_e32 v3, s6
	s_waitcnt lgkmcnt(0)
	global_atomic_add v2, v2, v3, s[24:25] glc
.LBB1212_3:
	s_or_b32 exec_lo, exec_lo, s3
	s_waitcnt vmcnt(0)
	v_readfirstlane_b32 s3, v2
	v_mov_b32_e32 v2, 0
	v_add_nc_u32_e32 v1, s3, v1
	ds_write_b32 v2, v1
.LBB1212_4:
	s_or_b32 exec_lo, exec_lo, s1
	v_mov_b32_e32 v1, 0
	s_clause 0x1
	s_load_dword s3, s[4:5], 0x8
	s_load_dword s1, s[4:5], 0x70
	s_waitcnt lgkmcnt(0)
	s_barrier
	buffer_gl0_inv
	ds_read_b32 v2, v1
	s_waitcnt lgkmcnt(0)
	s_barrier
	buffer_gl0_inv
	global_load_dwordx2 v[18:19], v1, s[14:15]
	v_lshlrev_b32_e32 v44, 2, v0
	s_add_i32 s4, s3, s18
	s_mul_i32 s5, s1, 0xd00
	s_add_i32 s1, s1, -1
	s_add_i32 s3, s5, s18
	s_sub_i32 s15, s20, s3
	v_readfirstlane_b32 s25, v2
	s_addk_i32 s15, 0xd00
	s_add_u32 s6, s18, s5
	s_addc_u32 s7, s19, 0
	v_cmp_ne_u32_e32 vcc_lo, s1, v2
	v_cmp_gt_u64_e64 s3, s[20:21], s[6:7]
	s_cmp_eq_u32 s25, s1
	s_mul_i32 s24, s25, 0xd00
	s_cselect_b32 s14, -1, 0
	s_mov_b32 s5, -1
	s_or_b32 s3, s3, vcc_lo
	s_and_b32 vcc_lo, exec_lo, s3
	s_cbranch_vccz .LBB1212_6
; %bb.5:
	v_add3_u32 v1, s24, s4, v0
	s_mov_b32 s5, 0
	v_add_nc_u32_e32 v2, 0x100, v1
	v_add_nc_u32_e32 v3, 0x200, v1
	;; [unrolled: 1-line block ×12, first 2 shown]
	ds_write2st64_b32 v44, v1, v2 offset1:4
	ds_write2st64_b32 v44, v3, v4 offset0:8 offset1:12
	ds_write2st64_b32 v44, v5, v6 offset0:16 offset1:20
	ds_write2st64_b32 v44, v7, v8 offset0:24 offset1:28
	ds_write2st64_b32 v44, v9, v10 offset0:32 offset1:36
	ds_write2st64_b32 v44, v11, v12 offset0:40 offset1:44
	ds_write_b32 v44, v13 offset:12288
	s_waitcnt vmcnt(0) lgkmcnt(0)
	s_barrier
.LBB1212_6:
	v_cmp_gt_u32_e64 s1, s15, v0
	v_or_b32_e32 v43, 0x100, v0
	v_or_b32_e32 v42, 0x200, v0
	;; [unrolled: 1-line block ×12, first 2 shown]
	s_andn2_b32 vcc_lo, exec_lo, s5
	s_cbranch_vccnz .LBB1212_8
; %bb.7:
	s_add_i32 s4, s24, s4
	v_cmp_gt_u32_e32 vcc_lo, s15, v43
	v_add_nc_u32_e32 v2, s4, v43
	v_add_nc_u32_e32 v3, s4, v42
	;; [unrolled: 1-line block ×5, first 2 shown]
	v_cndmask_b32_e32 v2, 0, v2, vcc_lo
	v_cmp_gt_u32_e32 vcc_lo, s15, v42
	v_add_nc_u32_e32 v7, s4, v38
	v_add_nc_u32_e32 v8, s4, v37
	;; [unrolled: 1-line block ×4, first 2 shown]
	v_cndmask_b32_e32 v3, 0, v3, vcc_lo
	v_cmp_gt_u32_e32 vcc_lo, s15, v41
	v_add_nc_u32_e32 v11, s4, v34
	v_add_nc_u32_e32 v1, s4, v0
	;; [unrolled: 1-line block ×4, first 2 shown]
	v_cndmask_b32_e32 v4, 0, v4, vcc_lo
	v_cmp_gt_u32_e32 vcc_lo, s15, v40
	v_cndmask_b32_e64 v1, 0, v1, s1
	v_cndmask_b32_e32 v5, 0, v5, vcc_lo
	v_cmp_gt_u32_e32 vcc_lo, s15, v39
	v_cndmask_b32_e32 v6, 0, v6, vcc_lo
	v_cmp_gt_u32_e32 vcc_lo, s15, v38
	;; [unrolled: 2-line block ×8, first 2 shown]
	v_cndmask_b32_e32 v13, 0, v13, vcc_lo
	ds_write2st64_b32 v44, v1, v2 offset1:4
	ds_write2st64_b32 v44, v3, v4 offset0:8 offset1:12
	ds_write2st64_b32 v44, v5, v6 offset0:16 offset1:20
	;; [unrolled: 1-line block ×5, first 2 shown]
	ds_write_b32 v44, v13 offset:12288
	s_waitcnt vmcnt(0) lgkmcnt(0)
	s_barrier
.LBB1212_8:
	v_mul_u32_u24_e32 v47, 13, v0
	s_waitcnt vmcnt(0)
	buffer_gl0_inv
	v_cndmask_b32_e64 v45, 0, 1, s3
	s_andn2_b32 vcc_lo, exec_lo, s3
	v_lshlrev_b32_e32 v1, 2, v47
	ds_read2_b32 v[28:29], v1 offset0:2 offset1:3
	ds_read2_b32 v[24:25], v1 offset0:6 offset1:7
	;; [unrolled: 1-line block ×3, first 2 shown]
	ds_read2_b32 v[30:31], v1 offset1:1
	ds_read2_b32 v[20:21], v1 offset0:10 offset1:11
	ds_read_b32 v46, v1 offset:48
	ds_read2_b32 v[22:23], v1 offset0:8 offset1:9
	s_waitcnt lgkmcnt(0)
	s_barrier
	buffer_gl0_inv
	s_cbranch_vccnz .LBB1212_10
; %bb.9:
	v_add_nc_u32_e32 v1, s9, v29
	v_add_nc_u32_e32 v4, s9, v28
	;; [unrolled: 1-line block ×6, first 2 shown]
	v_mul_lo_u32 v4, v4, s8
	v_mul_lo_u32 v1, v1, s8
	;; [unrolled: 1-line block ×4, first 2 shown]
	v_add_nc_u32_e32 v3, s9, v30
	v_add_nc_u32_e32 v7, s11, v30
	v_mul_lo_u32 v2, v2, s8
	v_mul_lo_u32 v6, v6, s10
	v_add_nc_u32_e32 v10, s11, v27
	v_mul_lo_u32 v3, v3, s8
	v_mul_lo_u32 v7, v7, s10
	v_sub_nc_u32_e32 v1, v1, v5
	v_sub_nc_u32_e32 v4, v4, v8
	v_add_nc_u32_e32 v5, s9, v25
	v_add_nc_u32_e32 v8, s11, v25
	v_sub_nc_u32_e32 v2, v2, v6
	v_add_nc_u32_e32 v6, s9, v27
	v_add_nc_u32_e32 v9, s9, v24
	v_mul_lo_u32 v5, v5, s8
	v_mul_lo_u32 v8, v8, s10
	v_sub_nc_u32_e32 v3, v3, v7
	v_add_nc_u32_e32 v7, s9, v26
	v_add_nc_u32_e32 v11, s11, v24
	v_mul_lo_u32 v6, v6, s8
	v_mul_lo_u32 v10, v10, s10
	v_add_nc_u32_e32 v12, s11, v26
	v_mul_lo_u32 v9, v9, s8
	v_mul_lo_u32 v7, v7, s8
	;; [unrolled: 1-line block ×3, first 2 shown]
	v_sub_nc_u32_e32 v5, v5, v8
	v_mul_lo_u32 v8, v12, s10
	v_cmp_lt_u32_e32 vcc_lo, s2, v1
	v_sub_nc_u32_e32 v6, v6, v10
	v_add_nc_u32_e32 v10, s9, v21
	v_add_nc_u32_e32 v14, s11, v21
	;; [unrolled: 1-line block ×3, first 2 shown]
	v_cndmask_b32_e64 v1, 0, 1, vcc_lo
	v_cmp_lt_u32_e32 vcc_lo, s2, v2
	v_sub_nc_u32_e32 v7, v7, v8
	v_sub_nc_u32_e32 v8, v9, v11
	v_add_nc_u32_e32 v11, s9, v23
	v_mul_lo_u32 v10, v10, s8
	v_mul_lo_u32 v14, v14, s10
	v_cndmask_b32_e64 v2, 0, 1, vcc_lo
	v_cmp_lt_u32_e32 vcc_lo, s2, v5
	v_mul_lo_u32 v11, v11, s8
	v_mul_lo_u32 v15, v15, s10
	v_mov_b32_e32 v9, 8
	v_lshlrev_b16 v2, 8, v2
	v_cndmask_b32_e64 v5, 0, 1, vcc_lo
	v_cmp_lt_u32_e32 vcc_lo, s2, v6
	v_sub_nc_u32_e32 v10, v10, v14
	v_add_nc_u32_e32 v12, s9, v22
	v_add_nc_u32_e32 v16, s11, v22
	v_sub_nc_u32_e32 v11, v11, v15
	v_cndmask_b32_e64 v6, 0, 1, vcc_lo
	v_cmp_lt_u32_e32 vcc_lo, s2, v10
	v_lshrrev_b32_sdwa v2, v9, v2 dst_sel:BYTE_1 dst_unused:UNUSED_PAD src0_sel:DWORD src1_sel:DWORD
	v_add_nc_u32_e32 v13, s9, v20
	v_add_nc_u32_e32 v17, s11, v20
	v_mul_lo_u32 v12, v12, s8
	v_cndmask_b32_e64 v10, 0, 1, vcc_lo
	v_cmp_lt_u32_e32 vcc_lo, s2, v11
	v_mul_lo_u32 v16, v16, s10
	v_mul_lo_u32 v13, v13, s8
	;; [unrolled: 1-line block ×3, first 2 shown]
	v_add_nc_u32_e32 v14, s9, v46
	v_cndmask_b32_e64 v11, 0, 1, vcc_lo
	v_cmp_lt_u32_e32 vcc_lo, s2, v3
	v_add_nc_u32_e32 v15, s11, v46
	v_lshlrev_b16 v1, 8, v1
	v_sub_nc_u32_e32 v12, v12, v16
	v_lshlrev_b16 v11, 8, v11
	v_cndmask_b32_e64 v3, 0, 1, vcc_lo
	v_cmp_lt_u32_e32 vcc_lo, s2, v4
	v_sub_nc_u32_e32 v13, v13, v17
	v_mul_lo_u32 v14, v14, s8
	v_mul_lo_u32 v15, v15, s10
	v_or_b32_e32 v2, v3, v2
	v_cndmask_b32_e64 v3, 0, 1, vcc_lo
	v_cmp_lt_u32_e32 vcc_lo, s2, v7
	v_lshlrev_b16 v6, 8, v6
	v_lshlrev_b16 v10, 8, v10
	v_lshlrev_b16 v5, 8, v5
	v_lshrrev_b32_sdwa v1, v9, v1 dst_sel:BYTE_1 dst_unused:UNUSED_PAD src0_sel:DWORD src1_sel:DWORD
	v_cndmask_b32_e64 v4, 0, 1, vcc_lo
	v_cmp_lt_u32_e32 vcc_lo, s2, v8
	v_lshrrev_b32_sdwa v8, v9, v11 dst_sel:BYTE_1 dst_unused:UNUSED_PAD src0_sel:DWORD src1_sel:DWORD
	v_lshrrev_b32_sdwa v6, v9, v6 dst_sel:BYTE_1 dst_unused:UNUSED_PAD src0_sel:DWORD src1_sel:DWORD
	v_sub_nc_u32_e32 v14, v14, v15
	v_lshrrev_b32_sdwa v9, v9, v10 dst_sel:BYTE_1 dst_unused:UNUSED_PAD src0_sel:DWORD src1_sel:DWORD
	v_cndmask_b32_e64 v7, 0, 1, vcc_lo
	v_cmp_lt_u32_e32 vcc_lo, s2, v12
	v_or_b32_sdwa v1, v3, v1 dst_sel:WORD_1 dst_unused:UNUSED_PAD src0_sel:DWORD src1_sel:DWORD
	v_or_b32_e32 v3, v4, v6
	v_or_b32_sdwa v4, v7, v5 dst_sel:WORD_1 dst_unused:UNUSED_PAD src0_sel:DWORD src1_sel:DWORD
	v_cndmask_b32_e64 v11, 0, 1, vcc_lo
	v_cmp_lt_u32_e32 vcc_lo, s2, v13
	v_or_b32_sdwa v52, v2, v1 dst_sel:DWORD dst_unused:UNUSED_PAD src0_sel:WORD_0 src1_sel:DWORD
	v_or_b32_sdwa v50, v3, v4 dst_sel:DWORD dst_unused:UNUSED_PAD src0_sel:WORD_0 src1_sel:DWORD
	v_or_b32_e32 v5, v11, v8
	v_cndmask_b32_e64 v10, 0, 1, vcc_lo
	v_cmp_lt_u32_e32 vcc_lo, s2, v14
	v_or_b32_sdwa v6, v10, v9 dst_sel:WORD_1 dst_unused:UNUSED_PAD src0_sel:DWORD src1_sel:DWORD
	v_cndmask_b32_e64 v48, 0, 1, vcc_lo
	v_or_b32_sdwa v49, v5, v6 dst_sel:DWORD dst_unused:UNUSED_PAD src0_sel:WORD_0 src1_sel:DWORD
	s_cbranch_execz .LBB1212_11
	s_branch .LBB1212_38
.LBB1212_10:
                                        ; implicit-def: $vgpr48
                                        ; implicit-def: $vgpr49
                                        ; implicit-def: $vgpr50
                                        ; implicit-def: $vgpr52
.LBB1212_11:
	v_mov_b32_e32 v2, 0
	v_mov_b32_e32 v1, 0
	s_mov_b32 s1, exec_lo
	v_cmpx_gt_u32_e64 s15, v47
	s_cbranch_execz .LBB1212_13
; %bb.12:
	v_add_nc_u32_e32 v1, s9, v30
	v_add_nc_u32_e32 v3, s11, v30
	v_mul_lo_u32 v1, v1, s8
	v_mul_lo_u32 v3, v3, s10
	v_sub_nc_u32_e32 v1, v1, v3
	v_cmp_lt_u32_e32 vcc_lo, s2, v1
	v_cndmask_b32_e64 v1, 0, 1, vcc_lo
.LBB1212_13:
	s_or_b32 exec_lo, exec_lo, s1
	v_add_nc_u32_e32 v3, 1, v47
	s_mov_b32 s1, exec_lo
	v_cmpx_gt_u32_e64 s15, v3
	s_cbranch_execz .LBB1212_15
; %bb.14:
	v_add_nc_u32_e32 v2, s9, v31
	v_add_nc_u32_e32 v3, s11, v31
	v_mul_lo_u32 v2, v2, s8
	v_mul_lo_u32 v3, v3, s10
	v_sub_nc_u32_e32 v2, v2, v3
	v_cmp_lt_u32_e32 vcc_lo, s2, v2
	v_cndmask_b32_e64 v2, 0, 1, vcc_lo
.LBB1212_15:
	s_or_b32 exec_lo, exec_lo, s1
	v_add_nc_u32_e32 v3, 2, v47
	v_mov_b32_e32 v4, 0
	v_cmp_gt_u32_e32 vcc_lo, s15, v3
	v_mov_b32_e32 v3, 0
	s_and_saveexec_b32 s1, vcc_lo
	s_cbranch_execz .LBB1212_17
; %bb.16:
	v_add_nc_u32_e32 v3, s9, v28
	v_add_nc_u32_e32 v5, s11, v28
	v_mul_lo_u32 v3, v3, s8
	v_mul_lo_u32 v5, v5, s10
	v_sub_nc_u32_e32 v3, v3, v5
	v_cmp_lt_u32_e32 vcc_lo, s2, v3
	v_cndmask_b32_e64 v3, 0, 1, vcc_lo
.LBB1212_17:
	s_or_b32 exec_lo, exec_lo, s1
	v_add_nc_u32_e32 v5, 3, v47
	s_mov_b32 s1, exec_lo
	v_cmpx_gt_u32_e64 s15, v5
	s_cbranch_execz .LBB1212_19
; %bb.18:
	v_add_nc_u32_e32 v4, s9, v29
	v_add_nc_u32_e32 v5, s11, v29
	v_mul_lo_u32 v4, v4, s8
	v_mul_lo_u32 v5, v5, s10
	v_sub_nc_u32_e32 v4, v4, v5
	v_cmp_lt_u32_e32 vcc_lo, s2, v4
	v_cndmask_b32_e64 v4, 0, 1, vcc_lo
.LBB1212_19:
	s_or_b32 exec_lo, exec_lo, s1
	v_add_nc_u32_e32 v5, 4, v47
	v_mov_b32_e32 v6, 0
	v_cmp_gt_u32_e32 vcc_lo, s15, v5
	v_mov_b32_e32 v5, 0
	s_and_saveexec_b32 s1, vcc_lo
	;; [unrolled: 30-line block ×5, first 2 shown]
	s_cbranch_execz .LBB1212_33
; %bb.32:
	v_add_nc_u32_e32 v11, s9, v20
	v_add_nc_u32_e32 v13, s11, v20
	v_mul_lo_u32 v11, v11, s8
	v_mul_lo_u32 v13, v13, s10
	v_sub_nc_u32_e32 v11, v11, v13
	v_cmp_lt_u32_e32 vcc_lo, s2, v11
	v_cndmask_b32_e64 v11, 0, 1, vcc_lo
.LBB1212_33:
	s_or_b32 exec_lo, exec_lo, s1
	v_add_nc_u32_e32 v13, 11, v47
	s_mov_b32 s1, exec_lo
	v_cmpx_gt_u32_e64 s15, v13
	s_cbranch_execz .LBB1212_35
; %bb.34:
	v_add_nc_u32_e32 v12, s9, v21
	v_add_nc_u32_e32 v13, s11, v21
	v_mul_lo_u32 v12, v12, s8
	v_mul_lo_u32 v13, v13, s10
	v_sub_nc_u32_e32 v12, v12, v13
	v_cmp_lt_u32_e32 vcc_lo, s2, v12
	v_cndmask_b32_e64 v12, 0, 1, vcc_lo
.LBB1212_35:
	s_or_b32 exec_lo, exec_lo, s1
	v_add_nc_u32_e32 v13, 12, v47
	v_mov_b32_e32 v48, 0
	s_mov_b32 s1, exec_lo
	v_cmpx_gt_u32_e64 s15, v13
	s_cbranch_execz .LBB1212_37
; %bb.36:
	v_add_nc_u32_e32 v13, s9, v46
	v_add_nc_u32_e32 v14, s11, v46
	v_mul_lo_u32 v13, v13, s8
	v_mul_lo_u32 v14, v14, s10
	v_sub_nc_u32_e32 v13, v13, v14
	v_cmp_lt_u32_e32 vcc_lo, s2, v13
	v_cndmask_b32_e64 v48, 0, 1, vcc_lo
.LBB1212_37:
	s_or_b32 exec_lo, exec_lo, s1
	v_lshlrev_b16 v2, 8, v2
	v_lshlrev_b16 v4, 8, v4
	;; [unrolled: 1-line block ×5, first 2 shown]
	v_or_b32_e32 v1, v1, v2
	v_lshlrev_b16 v2, 8, v12
	v_or_b32_sdwa v3, v3, v4 dst_sel:WORD_1 dst_unused:UNUSED_PAD src0_sel:DWORD src1_sel:DWORD
	v_or_b32_e32 v4, v5, v6
	v_or_b32_sdwa v5, v7, v8 dst_sel:WORD_1 dst_unused:UNUSED_PAD src0_sel:DWORD src1_sel:DWORD
	v_or_b32_e32 v6, v9, v10
	v_or_b32_sdwa v2, v11, v2 dst_sel:WORD_1 dst_unused:UNUSED_PAD src0_sel:DWORD src1_sel:DWORD
	v_or_b32_sdwa v52, v1, v3 dst_sel:DWORD dst_unused:UNUSED_PAD src0_sel:WORD_0 src1_sel:DWORD
	v_or_b32_sdwa v50, v4, v5 dst_sel:DWORD dst_unused:UNUSED_PAD src0_sel:WORD_0 src1_sel:DWORD
	;; [unrolled: 1-line block ×3, first 2 shown]
.LBB1212_38:
	v_and_b32_e32 v55, 0xff, v52
	v_bfe_u32 v56, v52, 8, 8
	v_bfe_u32 v57, v52, 16, 8
	v_lshrrev_b32_e32 v54, 24, v52
	v_and_b32_e32 v58, 0xff, v50
	v_bfe_u32 v59, v50, 8, 8
	v_bfe_u32 v60, v50, 16, 8
	v_add3_u32 v1, v56, v55, v57
	v_lshrrev_b32_e32 v53, 24, v50
	v_and_b32_e32 v61, 0xff, v49
	v_bfe_u32 v62, v49, 8, 8
	v_mbcnt_lo_u32_b32 v64, -1, 0
	v_add3_u32 v1, v1, v54, v58
	v_bfe_u32 v63, v49, 16, 8
	v_lshrrev_b32_e32 v51, 24, v49
	v_and_b32_e32 v2, 0xff, v48
	v_and_b32_e32 v3, 15, v64
	v_add3_u32 v1, v1, v59, v60
	v_or_b32_e32 v4, 31, v0
	v_and_b32_e32 v5, 16, v64
	v_lshrrev_b32_e32 v65, 5, v0
	v_cmp_eq_u32_e64 s6, 0, v3
	v_add3_u32 v1, v1, v53, v61
	v_cmp_lt_u32_e64 s5, 1, v3
	v_cmp_lt_u32_e64 s4, 3, v3
	;; [unrolled: 1-line block ×3, first 2 shown]
	v_cmp_eq_u32_e64 s2, 0, v5
	v_add3_u32 v1, v1, v62, v63
	v_cmp_eq_u32_e64 s1, v0, v4
	s_cmp_lg_u32 s25, 0
	s_mov_b32 s7, -1
	v_add3_u32 v66, v1, v51, v2
	s_cbranch_scc0 .LBB1212_60
; %bb.39:
	v_mov_b32_dpp v1, v66 row_shr:1 row_mask:0xf bank_mask:0xf
	v_cndmask_b32_e64 v1, v1, 0, s6
	v_add_nc_u32_e32 v1, v1, v66
	v_mov_b32_dpp v2, v1 row_shr:2 row_mask:0xf bank_mask:0xf
	v_cndmask_b32_e64 v2, 0, v2, s5
	v_add_nc_u32_e32 v1, v1, v2
	;; [unrolled: 3-line block ×4, first 2 shown]
	ds_swizzle_b32 v2, v1 offset:swizzle(BROADCAST,32,15)
	s_waitcnt lgkmcnt(0)
	v_cndmask_b32_e64 v2, v2, 0, s2
	v_add_nc_u32_e32 v1, v1, v2
	s_and_saveexec_b32 s7, s1
; %bb.40:
	v_lshlrev_b32_e32 v2, 2, v65
	ds_write_b32 v2, v1
; %bb.41:
	s_or_b32 exec_lo, exec_lo, s7
	s_mov_b32 s7, exec_lo
	s_waitcnt lgkmcnt(0)
	s_barrier
	buffer_gl0_inv
	v_cmpx_gt_u32_e32 8, v0
	s_cbranch_execz .LBB1212_43
; %bb.42:
	ds_read_b32 v2, v44
	v_and_b32_e32 v3, 7, v64
	v_cmp_ne_u32_e32 vcc_lo, 0, v3
	s_waitcnt lgkmcnt(0)
	v_mov_b32_dpp v4, v2 row_shr:1 row_mask:0xf bank_mask:0xf
	v_cndmask_b32_e32 v4, 0, v4, vcc_lo
	v_cmp_lt_u32_e32 vcc_lo, 1, v3
	v_add_nc_u32_e32 v2, v4, v2
	v_mov_b32_dpp v4, v2 row_shr:2 row_mask:0xf bank_mask:0xf
	v_cndmask_b32_e32 v4, 0, v4, vcc_lo
	v_cmp_lt_u32_e32 vcc_lo, 3, v3
	v_add_nc_u32_e32 v2, v2, v4
	v_mov_b32_dpp v4, v2 row_shr:4 row_mask:0xf bank_mask:0xf
	v_cndmask_b32_e32 v3, 0, v4, vcc_lo
	v_add_nc_u32_e32 v2, v2, v3
	ds_write_b32 v44, v2
.LBB1212_43:
	s_or_b32 exec_lo, exec_lo, s7
	s_mov_b32 s8, exec_lo
	v_cmp_gt_u32_e32 vcc_lo, 32, v0
	s_waitcnt lgkmcnt(0)
	s_barrier
	buffer_gl0_inv
                                        ; implicit-def: $vgpr10
	v_cmpx_lt_u32_e32 31, v0
	s_cbranch_execz .LBB1212_45
; %bb.44:
	v_lshl_add_u32 v2, v65, 2, -4
	ds_read_b32 v10, v2
	s_waitcnt lgkmcnt(0)
	v_add_nc_u32_e32 v1, v10, v1
.LBB1212_45:
	s_or_b32 exec_lo, exec_lo, s8
	v_sub_co_u32 v2, s7, v64, 1
	v_cmp_gt_i32_e64 s8, 0, v2
	v_cndmask_b32_e64 v2, v2, v64, s8
	v_lshlrev_b32_e32 v2, 2, v2
	ds_bpermute_b32 v11, v2, v1
	s_and_saveexec_b32 s8, vcc_lo
	s_cbranch_execz .LBB1212_65
; %bb.46:
	v_mov_b32_e32 v7, 0
	ds_read_b32 v1, v7 offset:28
	s_and_saveexec_b32 s9, s7
	s_cbranch_execz .LBB1212_48
; %bb.47:
	s_add_i32 s10, s25, 32
	s_mov_b32 s11, 0
	v_mov_b32_e32 v2, 1
	s_lshl_b64 s[10:11], s[10:11], 3
	s_add_u32 s10, s22, s10
	s_addc_u32 s11, s23, s11
	s_waitcnt lgkmcnt(0)
	global_store_dwordx2 v7, v[1:2], s[10:11]
.LBB1212_48:
	s_or_b32 exec_lo, exec_lo, s9
	v_xad_u32 v3, v64, -1, s25
	s_mov_b32 s10, 0
	v_add_nc_u32_e32 v6, 32, v3
	v_lshlrev_b64 v[4:5], 3, v[6:7]
	v_add_co_u32 v8, vcc_lo, s22, v4
	v_add_co_ci_u32_e64 v9, null, s23, v5, vcc_lo
	global_load_dwordx2 v[5:6], v[8:9], off glc dlc
	s_waitcnt vmcnt(0)
	v_cmp_eq_u16_sdwa s11, v6, v7 src0_sel:BYTE_0 src1_sel:DWORD
	s_and_saveexec_b32 s9, s11
	s_cbranch_execz .LBB1212_52
; %bb.49:
	v_mov_b32_e32 v2, 0
.LBB1212_50:                            ; =>This Inner Loop Header: Depth=1
	global_load_dwordx2 v[5:6], v[8:9], off glc dlc
	s_waitcnt vmcnt(0)
	v_cmp_ne_u16_sdwa s11, v6, v2 src0_sel:BYTE_0 src1_sel:DWORD
	s_or_b32 s10, s11, s10
	s_andn2_b32 exec_lo, exec_lo, s10
	s_cbranch_execnz .LBB1212_50
; %bb.51:
	s_or_b32 exec_lo, exec_lo, s10
.LBB1212_52:
	s_or_b32 exec_lo, exec_lo, s9
	v_cmp_ne_u32_e32 vcc_lo, 31, v64
	v_mov_b32_e32 v12, 2
	v_lshlrev_b32_e64 v13, v64, -1
	v_add_nc_u32_e32 v15, 2, v64
	v_add_nc_u32_e32 v17, 4, v64
	v_add_co_ci_u32_e64 v2, null, 0, v64, vcc_lo
	v_cmp_eq_u16_sdwa s9, v6, v12 src0_sel:BYTE_0 src1_sel:DWORD
	v_cmp_gt_u32_e32 vcc_lo, 30, v64
	v_add_nc_u32_e32 v68, 8, v64
	v_lshlrev_b32_e32 v9, 2, v2
	v_lshl_or_b32 v69, v64, 2, 64
	v_and_or_b32 v4, s9, v13, 0x80000000
	v_cndmask_b32_e64 v7, 0, 2, vcc_lo
	v_add_nc_u32_e32 v70, 16, v64
	ds_bpermute_b32 v2, v9, v5
	v_ffbl_b32_e32 v4, v4
	v_add_lshl_u32 v14, v7, v64, 2
	v_cmp_lt_u32_e32 vcc_lo, v64, v4
	s_waitcnt lgkmcnt(0)
	v_cndmask_b32_e32 v2, 0, v2, vcc_lo
	v_cmp_gt_u32_e32 vcc_lo, 28, v64
	v_add_nc_u32_e32 v2, v2, v5
	v_cndmask_b32_e64 v7, 0, 4, vcc_lo
	v_cmp_le_u32_e32 vcc_lo, v15, v4
	ds_bpermute_b32 v5, v14, v2
	v_add_lshl_u32 v16, v7, v64, 2
	s_waitcnt lgkmcnt(0)
	v_cndmask_b32_e32 v5, 0, v5, vcc_lo
	v_cmp_gt_u32_e32 vcc_lo, 24, v64
	v_add_nc_u32_e32 v2, v2, v5
	v_cndmask_b32_e64 v7, 0, 8, vcc_lo
	v_cmp_le_u32_e32 vcc_lo, v17, v4
	ds_bpermute_b32 v5, v16, v2
	v_add_lshl_u32 v67, v7, v64, 2
	s_waitcnt lgkmcnt(0)
	v_cndmask_b32_e32 v5, 0, v5, vcc_lo
	v_cmp_le_u32_e32 vcc_lo, v68, v4
	v_add_nc_u32_e32 v2, v2, v5
	ds_bpermute_b32 v5, v67, v2
	s_waitcnt lgkmcnt(0)
	v_cndmask_b32_e32 v5, 0, v5, vcc_lo
	v_cmp_le_u32_e32 vcc_lo, v70, v4
	v_add_nc_u32_e32 v2, v2, v5
	ds_bpermute_b32 v5, v69, v2
	s_waitcnt lgkmcnt(0)
	v_cndmask_b32_e32 v4, 0, v5, vcc_lo
	v_add_nc_u32_e32 v5, v2, v4
	v_mov_b32_e32 v4, 0
	s_branch .LBB1212_56
.LBB1212_53:                            ;   in Loop: Header=BB1212_56 Depth=1
	s_or_b32 exec_lo, exec_lo, s10
.LBB1212_54:                            ;   in Loop: Header=BB1212_56 Depth=1
	s_or_b32 exec_lo, exec_lo, s9
	ds_bpermute_b32 v7, v9, v5
	v_cmp_eq_u16_sdwa s9, v6, v12 src0_sel:BYTE_0 src1_sel:DWORD
	v_subrev_nc_u32_e32 v3, 32, v3
	v_and_or_b32 v8, s9, v13, 0x80000000
	s_mov_b32 s9, 0
	v_ffbl_b32_e32 v8, v8
	v_cmp_lt_u32_e32 vcc_lo, v64, v8
	s_waitcnt lgkmcnt(0)
	v_cndmask_b32_e32 v7, 0, v7, vcc_lo
	v_cmp_le_u32_e32 vcc_lo, v15, v8
	v_add_nc_u32_e32 v5, v7, v5
	ds_bpermute_b32 v7, v14, v5
	s_waitcnt lgkmcnt(0)
	v_cndmask_b32_e32 v7, 0, v7, vcc_lo
	v_cmp_le_u32_e32 vcc_lo, v17, v8
	v_add_nc_u32_e32 v5, v5, v7
	ds_bpermute_b32 v7, v16, v5
	;; [unrolled: 5-line block ×4, first 2 shown]
	s_waitcnt lgkmcnt(0)
	v_cndmask_b32_e32 v7, 0, v7, vcc_lo
	v_add3_u32 v5, v7, v2, v5
.LBB1212_55:                            ;   in Loop: Header=BB1212_56 Depth=1
	s_and_b32 vcc_lo, exec_lo, s9
	s_cbranch_vccnz .LBB1212_61
.LBB1212_56:                            ; =>This Loop Header: Depth=1
                                        ;     Child Loop BB1212_59 Depth 2
	v_cmp_ne_u16_sdwa s9, v6, v12 src0_sel:BYTE_0 src1_sel:DWORD
	v_mov_b32_e32 v2, v5
                                        ; implicit-def: $vgpr5
                                        ; implicit-def: $vgpr6
	s_cmp_lg_u32 s9, exec_lo
	s_mov_b32 s9, -1
	s_cbranch_scc1 .LBB1212_55
; %bb.57:                               ;   in Loop: Header=BB1212_56 Depth=1
	v_lshlrev_b64 v[5:6], 3, v[3:4]
	v_add_co_u32 v7, vcc_lo, s22, v5
	v_add_co_ci_u32_e64 v8, null, s23, v6, vcc_lo
	global_load_dwordx2 v[5:6], v[7:8], off glc dlc
	s_waitcnt vmcnt(0)
	v_cmp_eq_u16_sdwa s10, v6, v4 src0_sel:BYTE_0 src1_sel:DWORD
	s_and_saveexec_b32 s9, s10
	s_cbranch_execz .LBB1212_54
; %bb.58:                               ;   in Loop: Header=BB1212_56 Depth=1
	s_mov_b32 s10, 0
.LBB1212_59:                            ;   Parent Loop BB1212_56 Depth=1
                                        ; =>  This Inner Loop Header: Depth=2
	global_load_dwordx2 v[5:6], v[7:8], off glc dlc
	s_waitcnt vmcnt(0)
	v_cmp_ne_u16_sdwa s11, v6, v4 src0_sel:BYTE_0 src1_sel:DWORD
	s_or_b32 s10, s11, s10
	s_andn2_b32 exec_lo, exec_lo, s10
	s_cbranch_execnz .LBB1212_59
	s_branch .LBB1212_53
.LBB1212_60:
                                        ; implicit-def: $vgpr17
                                        ; implicit-def: $vgpr1_vgpr2_vgpr3_vgpr4_vgpr5_vgpr6_vgpr7_vgpr8_vgpr9_vgpr10_vgpr11_vgpr12_vgpr13_vgpr14_vgpr15_vgpr16
	s_and_b32 vcc_lo, exec_lo, s7
	s_cbranch_vccnz .LBB1212_66
	s_branch .LBB1212_75
.LBB1212_61:
	s_and_saveexec_b32 s9, s7
	s_cbranch_execz .LBB1212_63
; %bb.62:
	s_add_i32 s10, s25, 32
	s_mov_b32 s11, 0
	v_add_nc_u32_e32 v3, v2, v1
	v_mov_b32_e32 v4, 2
	s_lshl_b64 s[10:11], s[10:11], 3
	v_mov_b32_e32 v5, 0
	s_add_u32 s10, s22, s10
	s_addc_u32 s11, s23, s11
	global_store_dwordx2 v5, v[3:4], s[10:11]
	ds_write_b64 v5, v[1:2] offset:13312
.LBB1212_63:
	s_or_b32 exec_lo, exec_lo, s9
	s_and_b32 exec_lo, exec_lo, s0
; %bb.64:
	v_mov_b32_e32 v1, 0
	ds_write_b32 v1, v2 offset:28
.LBB1212_65:
	s_or_b32 exec_lo, exec_lo, s8
	v_mov_b32_e32 v12, 0
	s_waitcnt lgkmcnt(0)
	s_waitcnt_vscnt null, 0x0
	s_barrier
	buffer_gl0_inv
	v_cndmask_b32_e64 v2, v11, v10, s7
	ds_read_b32 v1, v12 offset:28
	s_waitcnt lgkmcnt(0)
	s_barrier
	buffer_gl0_inv
	v_cndmask_b32_e64 v2, v2, 0, s0
	ds_read_b64 v[16:17], v12 offset:13312
	v_add_nc_u32_e32 v1, v1, v2
	v_add_nc_u32_e32 v2, v1, v55
	;; [unrolled: 1-line block ×13, first 2 shown]
	s_branch .LBB1212_75
.LBB1212_66:
	v_mov_b32_dpp v1, v66 row_shr:1 row_mask:0xf bank_mask:0xf
	v_cndmask_b32_e64 v1, v1, 0, s6
	v_add_nc_u32_e32 v1, v1, v66
	v_mov_b32_dpp v2, v1 row_shr:2 row_mask:0xf bank_mask:0xf
	v_cndmask_b32_e64 v2, 0, v2, s5
	v_add_nc_u32_e32 v1, v1, v2
	;; [unrolled: 3-line block ×4, first 2 shown]
	ds_swizzle_b32 v2, v1 offset:swizzle(BROADCAST,32,15)
	s_waitcnt lgkmcnt(0)
	v_cndmask_b32_e64 v2, v2, 0, s2
	v_add_nc_u32_e32 v1, v1, v2
	s_and_saveexec_b32 s2, s1
; %bb.67:
	v_lshlrev_b32_e32 v2, 2, v65
	ds_write_b32 v2, v1
; %bb.68:
	s_or_b32 exec_lo, exec_lo, s2
	s_mov_b32 s1, exec_lo
	s_waitcnt lgkmcnt(0)
	s_barrier
	buffer_gl0_inv
	v_cmpx_gt_u32_e32 8, v0
	s_cbranch_execz .LBB1212_70
; %bb.69:
	ds_read_b32 v2, v44
	v_and_b32_e32 v3, 7, v64
	v_cmp_ne_u32_e32 vcc_lo, 0, v3
	s_waitcnt lgkmcnt(0)
	v_mov_b32_dpp v4, v2 row_shr:1 row_mask:0xf bank_mask:0xf
	v_cndmask_b32_e32 v4, 0, v4, vcc_lo
	v_cmp_lt_u32_e32 vcc_lo, 1, v3
	v_add_nc_u32_e32 v2, v4, v2
	v_mov_b32_dpp v4, v2 row_shr:2 row_mask:0xf bank_mask:0xf
	v_cndmask_b32_e32 v4, 0, v4, vcc_lo
	v_cmp_lt_u32_e32 vcc_lo, 3, v3
	v_add_nc_u32_e32 v2, v2, v4
	v_mov_b32_dpp v4, v2 row_shr:4 row_mask:0xf bank_mask:0xf
	v_cndmask_b32_e32 v3, 0, v4, vcc_lo
	v_add_nc_u32_e32 v2, v2, v3
	ds_write_b32 v44, v2
.LBB1212_70:
	s_or_b32 exec_lo, exec_lo, s1
	v_mov_b32_e32 v3, 0
	v_mov_b32_e32 v2, 0
	s_mov_b32 s1, exec_lo
	s_waitcnt lgkmcnt(0)
	s_barrier
	buffer_gl0_inv
	v_cmpx_lt_u32_e32 31, v0
; %bb.71:
	v_lshl_add_u32 v2, v65, 2, -4
	ds_read_b32 v2, v2
; %bb.72:
	s_or_b32 exec_lo, exec_lo, s1
	v_sub_co_u32 v4, vcc_lo, v64, 1
	s_waitcnt lgkmcnt(0)
	v_add_nc_u32_e32 v1, v2, v1
	ds_read_b32 v16, v3 offset:28
	v_cmp_gt_i32_e64 s1, 0, v4
	v_cndmask_b32_e64 v4, v4, v64, s1
	v_lshlrev_b32_e32 v4, 2, v4
	ds_bpermute_b32 v1, v4, v1
	s_and_saveexec_b32 s1, s0
	s_cbranch_execz .LBB1212_74
; %bb.73:
	v_mov_b32_e32 v3, 0
	v_mov_b32_e32 v17, 2
	s_waitcnt lgkmcnt(1)
	global_store_dwordx2 v3, v[16:17], s[22:23] offset:256
.LBB1212_74:
	s_or_b32 exec_lo, exec_lo, s1
	s_waitcnt lgkmcnt(0)
	v_cndmask_b32_e32 v1, v1, v2, vcc_lo
	v_mov_b32_e32 v17, 0
	s_waitcnt_vscnt null, 0x0
	s_barrier
	buffer_gl0_inv
	v_cndmask_b32_e64 v1, v1, 0, s0
	v_add_nc_u32_e32 v2, v1, v55
	v_add_nc_u32_e32 v3, v2, v56
	;; [unrolled: 1-line block ×12, first 2 shown]
.LBB1212_75:
	s_waitcnt lgkmcnt(0)
	v_add_nc_u32_e32 v47, v16, v47
	v_sub_nc_u32_e32 v1, v1, v17
	v_and_b32_e32 v56, 1, v52
	v_lshrrev_b32_e32 v55, 8, v52
	v_sub_nc_u32_e32 v2, v2, v17
	v_sub_nc_u32_e32 v3, v3, v17
	;; [unrolled: 1-line block ×3, first 2 shown]
	v_cmp_eq_u32_e32 vcc_lo, 1, v56
	v_and_b32_e32 v55, 1, v55
	v_mov_b32_e32 v58, 1
	v_sub_nc_u32_e32 v56, v47, v2
	v_sub_nc_u32_e32 v4, v4, v17
	v_cndmask_b32_e32 v1, v57, v1, vcc_lo
	v_sub_nc_u32_e32 v57, v47, v3
	v_and_b32_sdwa v52, v58, v52 dst_sel:DWORD dst_unused:UNUSED_PAD src0_sel:DWORD src1_sel:WORD_1
	v_add_nc_u32_e32 v56, 1, v56
	v_cmp_eq_u32_e32 vcc_lo, 1, v55
	v_lshlrev_b32_e32 v1, 2, v1
	v_and_b32_e32 v54, 1, v54
	v_sub_nc_u32_e32 v59, v47, v4
	v_add_nc_u32_e32 v57, 2, v57
	v_lshrrev_b32_e32 v15, 8, v50
	ds_write_b32 v1, v30
	v_cndmask_b32_e32 v1, v56, v2, vcc_lo
	v_cmp_eq_u32_e32 vcc_lo, 1, v52
	v_add_nc_u32_e32 v59, 3, v59
	v_lshrrev_b32_e32 v14, 8, v49
	v_lshlrev_b32_e32 v1, 2, v1
	v_cndmask_b32_e32 v2, v57, v3, vcc_lo
	v_cmp_eq_u32_e32 vcc_lo, 1, v54
	ds_write_b32 v1, v31
	v_lshlrev_b32_e32 v2, 2, v2
	v_cndmask_b32_e32 v3, v59, v4, vcc_lo
	v_sub_nc_u32_e32 v4, v5, v17
	v_sub_nc_u32_e32 v5, v6, v17
	v_lshlrev_b32_e32 v3, 2, v3
	v_sub_nc_u32_e32 v1, v47, v4
	v_sub_nc_u32_e32 v6, v47, v5
	ds_write_b32 v2, v28
	ds_write_b32 v3, v29
	v_and_b32_e32 v2, 1, v50
	v_add_nc_u32_e32 v1, 4, v1
	v_add_nc_u32_e32 v3, 5, v6
	v_sub_nc_u32_e32 v6, v7, v17
	v_and_b32_e32 v7, 1, v15
	v_cmp_eq_u32_e32 vcc_lo, 1, v2
	v_sub_nc_u32_e32 v2, v8, v17
	v_and_b32_e32 v8, 1, v53
	v_add_co_u32 v15, s1, v18, v17
	v_cndmask_b32_e32 v1, v1, v4, vcc_lo
	v_sub_nc_u32_e32 v4, v47, v6
	v_cmp_eq_u32_e32 vcc_lo, 1, v7
	v_and_b32_sdwa v7, v58, v50 dst_sel:DWORD dst_unused:UNUSED_PAD src0_sel:DWORD src1_sel:WORD_1
	v_lshlrev_b32_e32 v1, 2, v1
	v_add_nc_u32_e32 v4, 6, v4
	v_cndmask_b32_e32 v3, v3, v5, vcc_lo
	v_sub_nc_u32_e32 v5, v47, v2
	v_cmp_eq_u32_e32 vcc_lo, 1, v7
	v_sub_nc_u32_e32 v7, v13, v17
	v_lshlrev_b32_e32 v3, 2, v3
	v_add_nc_u32_e32 v5, 7, v5
	v_cndmask_b32_e32 v4, v4, v6, vcc_lo
	v_cmp_eq_u32_e32 vcc_lo, 1, v8
	v_sub_nc_u32_e32 v6, v9, v17
	ds_write_b32 v1, v26
	ds_write_b32 v3, v27
	v_lshlrev_b32_e32 v3, 2, v4
	v_cndmask_b32_e32 v2, v5, v2, vcc_lo
	v_sub_nc_u32_e32 v1, v47, v6
	v_and_b32_e32 v5, 1, v49
	v_sub_nc_u32_e32 v4, v10, v17
	v_and_b32_e32 v10, 1, v51
	v_lshlrev_b32_e32 v2, 2, v2
	v_add_nc_u32_e32 v1, 8, v1
	ds_write_b32 v3, v24
	ds_write_b32 v2, v25
	v_cmp_eq_u32_e32 vcc_lo, 1, v5
	v_sub_nc_u32_e32 v3, v11, v17
	v_sub_nc_u32_e32 v2, v47, v4
	;; [unrolled: 1-line block ×3, first 2 shown]
	v_and_b32_e32 v11, 1, v48
	v_cndmask_b32_e32 v1, v1, v6, vcc_lo
	v_and_b32_e32 v6, 1, v14
	v_sub_nc_u32_e32 v8, v47, v3
	v_add_nc_u32_e32 v2, 9, v2
	v_sub_nc_u32_e32 v9, v47, v5
	v_lshlrev_b32_e32 v1, 2, v1
	v_cmp_eq_u32_e32 vcc_lo, 1, v6
	v_add_nc_u32_e32 v6, 10, v8
	v_and_b32_sdwa v8, v58, v49 dst_sel:DWORD dst_unused:UNUSED_PAD src0_sel:DWORD src1_sel:WORD_1
	v_add_nc_u32_e32 v9, 11, v9
	v_add_co_ci_u32_e64 v17, null, 0, v19, s1
	v_cndmask_b32_e32 v2, v2, v4, vcc_lo
	v_cmp_eq_u32_e32 vcc_lo, 1, v8
	v_sub_nc_u32_e32 v4, v47, v7
	v_lshlrev_b32_e32 v2, 2, v2
	v_cndmask_b32_e32 v3, v6, v3, vcc_lo
	v_cmp_eq_u32_e32 vcc_lo, 1, v10
	v_add_nc_u32_e32 v4, 12, v4
	v_lshlrev_b32_e32 v3, 2, v3
	v_cndmask_b32_e32 v5, v9, v5, vcc_lo
	v_cmp_eq_u32_e32 vcc_lo, 1, v11
	v_lshlrev_b32_e32 v5, 2, v5
	v_cndmask_b32_e32 v4, v4, v7, vcc_lo
	v_cmp_ne_u32_e32 vcc_lo, 1, v45
	v_lshlrev_b32_e32 v4, 2, v4
	ds_write_b32 v1, v22
	ds_write_b32 v2, v23
	;; [unrolled: 1-line block ×5, first 2 shown]
	s_waitcnt lgkmcnt(0)
	s_barrier
	buffer_gl0_inv
	ds_read2st64_b32 v[11:12], v44 offset1:4
	ds_read2st64_b32 v[9:10], v44 offset0:8 offset1:12
	ds_read2st64_b32 v[7:8], v44 offset0:16 offset1:20
	;; [unrolled: 1-line block ×5, first 2 shown]
	ds_read_b32 v20, v44 offset:12288
	s_cbranch_vccnz .LBB1212_132
; %bb.76:
	s_sub_u32 s1, s20, s24
	v_sub_co_u32 v13, vcc_lo, v15, s18
	s_subb_u32 s2, s21, 0
	v_add_co_u32 v18, s1, s1, v16
	v_subrev_co_ci_u32_e64 v14, null, s19, v17, vcc_lo
	v_add_co_ci_u32_e64 v19, null, s2, 0, s1
	v_add_co_u32 v18, vcc_lo, v18, v13
	s_mov_b32 s1, exec_lo
	v_add_co_ci_u32_e64 v19, null, v19, v14, vcc_lo
                                        ; implicit-def: $vgpr13_vgpr14
	v_cmpx_ge_u32_e64 v0, v16
	s_xor_b32 s1, exec_lo, s1
; %bb.77:
	v_not_b32_e32 v13, v0
	v_ashrrev_i32_e32 v14, 31, v13
	v_add_co_u32 v13, vcc_lo, v18, v13
	v_add_co_ci_u32_e64 v14, null, v19, v14, vcc_lo
; %bb.78:
	s_andn2_saveexec_b32 s1, s1
; %bb.79:
	v_add_co_u32 v13, vcc_lo, v15, v0
	v_add_co_ci_u32_e64 v14, null, 0, v17, vcc_lo
; %bb.80:
	s_or_b32 exec_lo, exec_lo, s1
	v_lshlrev_b64 v[13:14], 2, v[13:14]
	s_mov_b32 s1, exec_lo
	v_add_co_u32 v13, vcc_lo, s16, v13
	v_add_co_ci_u32_e64 v14, null, s17, v14, vcc_lo
	s_waitcnt lgkmcnt(6)
	global_store_dword v[13:14], v11, off
                                        ; implicit-def: $vgpr13_vgpr14
	v_cmpx_ge_u32_e64 v43, v16
	s_xor_b32 s1, exec_lo, s1
; %bb.81:
	v_xor_b32_e32 v13, 0xfffffeff, v0
	v_ashrrev_i32_e32 v14, 31, v13
	v_add_co_u32 v13, vcc_lo, v18, v13
	v_add_co_ci_u32_e64 v14, null, v19, v14, vcc_lo
; %bb.82:
	s_andn2_saveexec_b32 s1, s1
; %bb.83:
	v_add_co_u32 v13, vcc_lo, v15, v43
	v_add_co_ci_u32_e64 v14, null, 0, v17, vcc_lo
; %bb.84:
	s_or_b32 exec_lo, exec_lo, s1
	v_lshlrev_b64 v[13:14], 2, v[13:14]
	s_mov_b32 s1, exec_lo
	v_add_co_u32 v13, vcc_lo, s16, v13
	v_add_co_ci_u32_e64 v14, null, s17, v14, vcc_lo
	global_store_dword v[13:14], v12, off
                                        ; implicit-def: $vgpr13_vgpr14
	v_cmpx_ge_u32_e64 v42, v16
	s_xor_b32 s1, exec_lo, s1
; %bb.85:
	v_xor_b32_e32 v13, 0xfffffdff, v0
	v_ashrrev_i32_e32 v14, 31, v13
	v_add_co_u32 v13, vcc_lo, v18, v13
	v_add_co_ci_u32_e64 v14, null, v19, v14, vcc_lo
; %bb.86:
	s_andn2_saveexec_b32 s1, s1
; %bb.87:
	v_add_co_u32 v13, vcc_lo, v15, v42
	v_add_co_ci_u32_e64 v14, null, 0, v17, vcc_lo
; %bb.88:
	s_or_b32 exec_lo, exec_lo, s1
	v_lshlrev_b64 v[13:14], 2, v[13:14]
	s_mov_b32 s1, exec_lo
	v_add_co_u32 v13, vcc_lo, s16, v13
	v_add_co_ci_u32_e64 v14, null, s17, v14, vcc_lo
	s_waitcnt lgkmcnt(5)
	global_store_dword v[13:14], v9, off
                                        ; implicit-def: $vgpr13_vgpr14
	v_cmpx_ge_u32_e64 v41, v16
	s_xor_b32 s1, exec_lo, s1
; %bb.89:
	v_xor_b32_e32 v13, 0xfffffcff, v0
	v_ashrrev_i32_e32 v14, 31, v13
	v_add_co_u32 v13, vcc_lo, v18, v13
	v_add_co_ci_u32_e64 v14, null, v19, v14, vcc_lo
; %bb.90:
	s_andn2_saveexec_b32 s1, s1
; %bb.91:
	v_add_co_u32 v13, vcc_lo, v15, v41
	v_add_co_ci_u32_e64 v14, null, 0, v17, vcc_lo
; %bb.92:
	s_or_b32 exec_lo, exec_lo, s1
	v_lshlrev_b64 v[13:14], 2, v[13:14]
	s_mov_b32 s1, exec_lo
	v_add_co_u32 v13, vcc_lo, s16, v13
	v_add_co_ci_u32_e64 v14, null, s17, v14, vcc_lo
	global_store_dword v[13:14], v10, off
                                        ; implicit-def: $vgpr13_vgpr14
	v_cmpx_ge_u32_e64 v40, v16
	s_xor_b32 s1, exec_lo, s1
; %bb.93:
	v_xor_b32_e32 v13, 0xfffffbff, v0
	;; [unrolled: 41-line block ×6, first 2 shown]
	v_ashrrev_i32_e32 v14, 31, v13
	v_add_co_u32 v13, vcc_lo, v18, v13
	v_add_co_ci_u32_e64 v14, null, v19, v14, vcc_lo
; %bb.126:
	s_andn2_saveexec_b32 s1, s1
; %bb.127:
	v_add_co_u32 v13, vcc_lo, v15, v32
	v_add_co_ci_u32_e64 v14, null, 0, v17, vcc_lo
; %bb.128:
	s_or_b32 exec_lo, exec_lo, s1
	s_mov_b32 s1, -1
.LBB1212_129:
	s_and_saveexec_b32 s2, s1
	s_cbranch_execz .LBB1212_212
.LBB1212_130:
	s_waitcnt lgkmcnt(1)
	v_lshlrev_b64 v[0:1], 2, v[13:14]
	v_add_co_u32 v0, vcc_lo, s16, v0
	v_add_co_ci_u32_e64 v1, null, s17, v1, vcc_lo
	s_waitcnt lgkmcnt(0)
	global_store_dword v[0:1], v20, off
	s_or_b32 exec_lo, exec_lo, s2
	s_and_b32 s0, s0, s14
	s_and_saveexec_b32 s1, s0
	s_cbranch_execnz .LBB1212_213
.LBB1212_131:
	s_endpgm
.LBB1212_132:
	s_mov_b32 s1, 0
                                        ; implicit-def: $vgpr13_vgpr14
	s_cbranch_execz .LBB1212_129
; %bb.133:
	s_add_u32 s2, s18, s24
	s_addc_u32 s3, s19, 0
	s_sub_u32 s2, s20, s2
	s_subb_u32 s3, s21, s3
	v_add_co_u32 v13, s2, s2, v16
	v_add_co_ci_u32_e64 v14, null, s3, 0, s2
	s_mov_b32 s2, exec_lo
	v_add_co_u32 v18, vcc_lo, v13, v15
	v_add_co_ci_u32_e64 v19, null, v14, v17, vcc_lo
	v_cmpx_gt_u32_e64 s15, v0
	s_cbranch_execz .LBB1212_169
; %bb.134:
	s_mov_b32 s3, exec_lo
                                        ; implicit-def: $vgpr13_vgpr14
	v_cmpx_ge_u32_e64 v0, v16
	s_xor_b32 s3, exec_lo, s3
; %bb.135:
	v_not_b32_e32 v13, v0
	v_ashrrev_i32_e32 v14, 31, v13
	v_add_co_u32 v13, vcc_lo, v18, v13
	v_add_co_ci_u32_e64 v14, null, v19, v14, vcc_lo
; %bb.136:
	s_andn2_saveexec_b32 s3, s3
; %bb.137:
	v_add_co_u32 v13, vcc_lo, v15, v0
	v_add_co_ci_u32_e64 v14, null, 0, v17, vcc_lo
; %bb.138:
	s_or_b32 exec_lo, exec_lo, s3
	v_lshlrev_b64 v[13:14], 2, v[13:14]
	v_add_co_u32 v13, vcc_lo, s16, v13
	v_add_co_ci_u32_e64 v14, null, s17, v14, vcc_lo
	s_waitcnt lgkmcnt(6)
	global_store_dword v[13:14], v11, off
	s_or_b32 exec_lo, exec_lo, s2
	s_mov_b32 s2, exec_lo
	v_cmpx_gt_u32_e64 s15, v43
	s_cbranch_execnz .LBB1212_170
.LBB1212_139:
	s_or_b32 exec_lo, exec_lo, s2
	s_mov_b32 s2, exec_lo
	v_cmpx_gt_u32_e64 s15, v42
	s_cbranch_execz .LBB1212_175
.LBB1212_140:
	s_mov_b32 s3, exec_lo
                                        ; implicit-def: $vgpr11_vgpr12
	v_cmpx_ge_u32_e64 v42, v16
	s_xor_b32 s3, exec_lo, s3
	s_cbranch_execz .LBB1212_142
; %bb.141:
	s_waitcnt lgkmcnt(6)
	v_xor_b32_e32 v11, 0xfffffdff, v0
                                        ; implicit-def: $vgpr42
	v_ashrrev_i32_e32 v12, 31, v11
	v_add_co_u32 v11, vcc_lo, v18, v11
	v_add_co_ci_u32_e64 v12, null, v19, v12, vcc_lo
.LBB1212_142:
	s_andn2_saveexec_b32 s3, s3
	s_cbranch_execz .LBB1212_144
; %bb.143:
	s_waitcnt lgkmcnt(6)
	v_add_co_u32 v11, vcc_lo, v15, v42
	v_add_co_ci_u32_e64 v12, null, 0, v17, vcc_lo
.LBB1212_144:
	s_or_b32 exec_lo, exec_lo, s3
	s_waitcnt lgkmcnt(6)
	v_lshlrev_b64 v[11:12], 2, v[11:12]
	v_add_co_u32 v11, vcc_lo, s16, v11
	v_add_co_ci_u32_e64 v12, null, s17, v12, vcc_lo
	s_waitcnt lgkmcnt(5)
	global_store_dword v[11:12], v9, off
	s_or_b32 exec_lo, exec_lo, s2
	s_mov_b32 s2, exec_lo
	v_cmpx_gt_u32_e64 s15, v41
	s_cbranch_execnz .LBB1212_176
.LBB1212_145:
	s_or_b32 exec_lo, exec_lo, s2
	s_mov_b32 s2, exec_lo
	v_cmpx_gt_u32_e64 s15, v40
	s_cbranch_execz .LBB1212_181
.LBB1212_146:
	s_mov_b32 s3, exec_lo
                                        ; implicit-def: $vgpr9_vgpr10
	v_cmpx_ge_u32_e64 v40, v16
	s_xor_b32 s3, exec_lo, s3
	s_cbranch_execz .LBB1212_148
; %bb.147:
	s_waitcnt lgkmcnt(5)
	v_xor_b32_e32 v9, 0xfffffbff, v0
                                        ; implicit-def: $vgpr40
	v_ashrrev_i32_e32 v10, 31, v9
	v_add_co_u32 v9, vcc_lo, v18, v9
	v_add_co_ci_u32_e64 v10, null, v19, v10, vcc_lo
.LBB1212_148:
	s_andn2_saveexec_b32 s3, s3
	s_cbranch_execz .LBB1212_150
; %bb.149:
	s_waitcnt lgkmcnt(5)
	v_add_co_u32 v9, vcc_lo, v15, v40
	v_add_co_ci_u32_e64 v10, null, 0, v17, vcc_lo
.LBB1212_150:
	s_or_b32 exec_lo, exec_lo, s3
	s_waitcnt lgkmcnt(5)
	v_lshlrev_b64 v[9:10], 2, v[9:10]
	v_add_co_u32 v9, vcc_lo, s16, v9
	v_add_co_ci_u32_e64 v10, null, s17, v10, vcc_lo
	s_waitcnt lgkmcnt(4)
	global_store_dword v[9:10], v7, off
	s_or_b32 exec_lo, exec_lo, s2
	s_mov_b32 s2, exec_lo
	v_cmpx_gt_u32_e64 s15, v39
	s_cbranch_execnz .LBB1212_182
.LBB1212_151:
	s_or_b32 exec_lo, exec_lo, s2
	s_mov_b32 s2, exec_lo
	v_cmpx_gt_u32_e64 s15, v38
	s_cbranch_execz .LBB1212_187
.LBB1212_152:
	s_mov_b32 s3, exec_lo
                                        ; implicit-def: $vgpr7_vgpr8
	v_cmpx_ge_u32_e64 v38, v16
	s_xor_b32 s3, exec_lo, s3
	s_cbranch_execz .LBB1212_154
; %bb.153:
	s_waitcnt lgkmcnt(4)
	v_xor_b32_e32 v7, 0xfffff9ff, v0
                                        ; implicit-def: $vgpr38
	v_ashrrev_i32_e32 v8, 31, v7
	v_add_co_u32 v7, vcc_lo, v18, v7
	v_add_co_ci_u32_e64 v8, null, v19, v8, vcc_lo
.LBB1212_154:
	s_andn2_saveexec_b32 s3, s3
	s_cbranch_execz .LBB1212_156
; %bb.155:
	s_waitcnt lgkmcnt(4)
	v_add_co_u32 v7, vcc_lo, v15, v38
	v_add_co_ci_u32_e64 v8, null, 0, v17, vcc_lo
.LBB1212_156:
	s_or_b32 exec_lo, exec_lo, s3
	s_waitcnt lgkmcnt(4)
	v_lshlrev_b64 v[7:8], 2, v[7:8]
	v_add_co_u32 v7, vcc_lo, s16, v7
	v_add_co_ci_u32_e64 v8, null, s17, v8, vcc_lo
	s_waitcnt lgkmcnt(3)
	global_store_dword v[7:8], v5, off
	s_or_b32 exec_lo, exec_lo, s2
	s_mov_b32 s2, exec_lo
	v_cmpx_gt_u32_e64 s15, v37
	s_cbranch_execnz .LBB1212_188
.LBB1212_157:
	s_or_b32 exec_lo, exec_lo, s2
	s_mov_b32 s2, exec_lo
	v_cmpx_gt_u32_e64 s15, v36
	s_cbranch_execz .LBB1212_193
.LBB1212_158:
	s_mov_b32 s3, exec_lo
                                        ; implicit-def: $vgpr5_vgpr6
	v_cmpx_ge_u32_e64 v36, v16
	s_xor_b32 s3, exec_lo, s3
	s_cbranch_execz .LBB1212_160
; %bb.159:
	s_waitcnt lgkmcnt(3)
	v_xor_b32_e32 v5, 0xfffff7ff, v0
                                        ; implicit-def: $vgpr36
	v_ashrrev_i32_e32 v6, 31, v5
	v_add_co_u32 v5, vcc_lo, v18, v5
	v_add_co_ci_u32_e64 v6, null, v19, v6, vcc_lo
.LBB1212_160:
	s_andn2_saveexec_b32 s3, s3
	s_cbranch_execz .LBB1212_162
; %bb.161:
	s_waitcnt lgkmcnt(3)
	v_add_co_u32 v5, vcc_lo, v15, v36
	v_add_co_ci_u32_e64 v6, null, 0, v17, vcc_lo
.LBB1212_162:
	s_or_b32 exec_lo, exec_lo, s3
	s_waitcnt lgkmcnt(3)
	v_lshlrev_b64 v[5:6], 2, v[5:6]
	v_add_co_u32 v5, vcc_lo, s16, v5
	v_add_co_ci_u32_e64 v6, null, s17, v6, vcc_lo
	s_waitcnt lgkmcnt(2)
	global_store_dword v[5:6], v3, off
	s_or_b32 exec_lo, exec_lo, s2
	s_mov_b32 s2, exec_lo
	v_cmpx_gt_u32_e64 s15, v35
	s_cbranch_execnz .LBB1212_194
.LBB1212_163:
	s_or_b32 exec_lo, exec_lo, s2
	s_mov_b32 s2, exec_lo
	v_cmpx_gt_u32_e64 s15, v34
	s_cbranch_execz .LBB1212_199
.LBB1212_164:
	s_mov_b32 s3, exec_lo
                                        ; implicit-def: $vgpr3_vgpr4
	v_cmpx_ge_u32_e64 v34, v16
	s_xor_b32 s3, exec_lo, s3
	s_cbranch_execz .LBB1212_166
; %bb.165:
	s_waitcnt lgkmcnt(2)
	v_xor_b32_e32 v3, 0xfffff5ff, v0
                                        ; implicit-def: $vgpr34
	v_ashrrev_i32_e32 v4, 31, v3
	v_add_co_u32 v3, vcc_lo, v18, v3
	v_add_co_ci_u32_e64 v4, null, v19, v4, vcc_lo
.LBB1212_166:
	s_andn2_saveexec_b32 s3, s3
	s_cbranch_execz .LBB1212_168
; %bb.167:
	s_waitcnt lgkmcnt(2)
	v_add_co_u32 v3, vcc_lo, v15, v34
	v_add_co_ci_u32_e64 v4, null, 0, v17, vcc_lo
.LBB1212_168:
	s_or_b32 exec_lo, exec_lo, s3
	s_waitcnt lgkmcnt(2)
	v_lshlrev_b64 v[3:4], 2, v[3:4]
	v_add_co_u32 v3, vcc_lo, s16, v3
	v_add_co_ci_u32_e64 v4, null, s17, v4, vcc_lo
	s_waitcnt lgkmcnt(1)
	global_store_dword v[3:4], v1, off
	s_or_b32 exec_lo, exec_lo, s2
	s_mov_b32 s2, exec_lo
	v_cmpx_gt_u32_e64 s15, v33
	s_cbranch_execz .LBB1212_205
	s_branch .LBB1212_200
.LBB1212_169:
	s_or_b32 exec_lo, exec_lo, s2
	s_mov_b32 s2, exec_lo
	v_cmpx_gt_u32_e64 s15, v43
	s_cbranch_execz .LBB1212_139
.LBB1212_170:
	s_mov_b32 s3, exec_lo
                                        ; implicit-def: $vgpr13_vgpr14
	v_cmpx_ge_u32_e64 v43, v16
	s_xor_b32 s3, exec_lo, s3
	s_cbranch_execz .LBB1212_172
; %bb.171:
	s_waitcnt lgkmcnt(6)
	v_xor_b32_e32 v11, 0xfffffeff, v0
                                        ; implicit-def: $vgpr43
	v_ashrrev_i32_e32 v14, 31, v11
	v_add_co_u32 v13, vcc_lo, v18, v11
	v_add_co_ci_u32_e64 v14, null, v19, v14, vcc_lo
.LBB1212_172:
	s_andn2_saveexec_b32 s3, s3
; %bb.173:
	v_add_co_u32 v13, vcc_lo, v15, v43
	v_add_co_ci_u32_e64 v14, null, 0, v17, vcc_lo
; %bb.174:
	s_or_b32 exec_lo, exec_lo, s3
	v_lshlrev_b64 v[13:14], 2, v[13:14]
	v_add_co_u32 v13, vcc_lo, s16, v13
	v_add_co_ci_u32_e64 v14, null, s17, v14, vcc_lo
	s_waitcnt lgkmcnt(6)
	global_store_dword v[13:14], v12, off
	s_or_b32 exec_lo, exec_lo, s2
	s_mov_b32 s2, exec_lo
	v_cmpx_gt_u32_e64 s15, v42
	s_cbranch_execnz .LBB1212_140
.LBB1212_175:
	s_or_b32 exec_lo, exec_lo, s2
	s_mov_b32 s2, exec_lo
	v_cmpx_gt_u32_e64 s15, v41
	s_cbranch_execz .LBB1212_145
.LBB1212_176:
	s_mov_b32 s3, exec_lo
                                        ; implicit-def: $vgpr11_vgpr12
	v_cmpx_ge_u32_e64 v41, v16
	s_xor_b32 s3, exec_lo, s3
	s_cbranch_execz .LBB1212_178
; %bb.177:
	s_waitcnt lgkmcnt(5)
	v_xor_b32_e32 v9, 0xfffffcff, v0
                                        ; implicit-def: $vgpr41
	v_ashrrev_i32_e32 v12, 31, v9
	v_add_co_u32 v11, vcc_lo, v18, v9
	v_add_co_ci_u32_e64 v12, null, v19, v12, vcc_lo
.LBB1212_178:
	s_andn2_saveexec_b32 s3, s3
	s_cbranch_execz .LBB1212_180
; %bb.179:
	s_waitcnt lgkmcnt(6)
	v_add_co_u32 v11, vcc_lo, v15, v41
	v_add_co_ci_u32_e64 v12, null, 0, v17, vcc_lo
.LBB1212_180:
	s_or_b32 exec_lo, exec_lo, s3
	s_waitcnt lgkmcnt(6)
	v_lshlrev_b64 v[11:12], 2, v[11:12]
	v_add_co_u32 v11, vcc_lo, s16, v11
	v_add_co_ci_u32_e64 v12, null, s17, v12, vcc_lo
	s_waitcnt lgkmcnt(5)
	global_store_dword v[11:12], v10, off
	s_or_b32 exec_lo, exec_lo, s2
	s_mov_b32 s2, exec_lo
	v_cmpx_gt_u32_e64 s15, v40
	s_cbranch_execnz .LBB1212_146
.LBB1212_181:
	s_or_b32 exec_lo, exec_lo, s2
	s_mov_b32 s2, exec_lo
	v_cmpx_gt_u32_e64 s15, v39
	s_cbranch_execz .LBB1212_151
.LBB1212_182:
	s_mov_b32 s3, exec_lo
                                        ; implicit-def: $vgpr9_vgpr10
	v_cmpx_ge_u32_e64 v39, v16
	s_xor_b32 s3, exec_lo, s3
	s_cbranch_execz .LBB1212_184
; %bb.183:
	s_waitcnt lgkmcnt(4)
	v_xor_b32_e32 v7, 0xfffffaff, v0
                                        ; implicit-def: $vgpr39
	v_ashrrev_i32_e32 v10, 31, v7
	v_add_co_u32 v9, vcc_lo, v18, v7
	v_add_co_ci_u32_e64 v10, null, v19, v10, vcc_lo
.LBB1212_184:
	s_andn2_saveexec_b32 s3, s3
	s_cbranch_execz .LBB1212_186
; %bb.185:
	s_waitcnt lgkmcnt(5)
	v_add_co_u32 v9, vcc_lo, v15, v39
	v_add_co_ci_u32_e64 v10, null, 0, v17, vcc_lo
.LBB1212_186:
	s_or_b32 exec_lo, exec_lo, s3
	s_waitcnt lgkmcnt(5)
	v_lshlrev_b64 v[9:10], 2, v[9:10]
	v_add_co_u32 v9, vcc_lo, s16, v9
	v_add_co_ci_u32_e64 v10, null, s17, v10, vcc_lo
	s_waitcnt lgkmcnt(4)
	global_store_dword v[9:10], v8, off
	s_or_b32 exec_lo, exec_lo, s2
	s_mov_b32 s2, exec_lo
	v_cmpx_gt_u32_e64 s15, v38
	s_cbranch_execnz .LBB1212_152
.LBB1212_187:
	s_or_b32 exec_lo, exec_lo, s2
	s_mov_b32 s2, exec_lo
	v_cmpx_gt_u32_e64 s15, v37
	s_cbranch_execz .LBB1212_157
.LBB1212_188:
	s_mov_b32 s3, exec_lo
                                        ; implicit-def: $vgpr7_vgpr8
	v_cmpx_ge_u32_e64 v37, v16
	s_xor_b32 s3, exec_lo, s3
	s_cbranch_execz .LBB1212_190
; %bb.189:
	s_waitcnt lgkmcnt(3)
	v_xor_b32_e32 v5, 0xfffff8ff, v0
                                        ; implicit-def: $vgpr37
	v_ashrrev_i32_e32 v8, 31, v5
	v_add_co_u32 v7, vcc_lo, v18, v5
	v_add_co_ci_u32_e64 v8, null, v19, v8, vcc_lo
.LBB1212_190:
	s_andn2_saveexec_b32 s3, s3
	s_cbranch_execz .LBB1212_192
; %bb.191:
	s_waitcnt lgkmcnt(4)
	v_add_co_u32 v7, vcc_lo, v15, v37
	v_add_co_ci_u32_e64 v8, null, 0, v17, vcc_lo
.LBB1212_192:
	s_or_b32 exec_lo, exec_lo, s3
	s_waitcnt lgkmcnt(4)
	v_lshlrev_b64 v[7:8], 2, v[7:8]
	v_add_co_u32 v7, vcc_lo, s16, v7
	v_add_co_ci_u32_e64 v8, null, s17, v8, vcc_lo
	s_waitcnt lgkmcnt(3)
	global_store_dword v[7:8], v6, off
	s_or_b32 exec_lo, exec_lo, s2
	s_mov_b32 s2, exec_lo
	v_cmpx_gt_u32_e64 s15, v36
	s_cbranch_execnz .LBB1212_158
.LBB1212_193:
	s_or_b32 exec_lo, exec_lo, s2
	s_mov_b32 s2, exec_lo
	v_cmpx_gt_u32_e64 s15, v35
	s_cbranch_execz .LBB1212_163
.LBB1212_194:
	s_mov_b32 s3, exec_lo
                                        ; implicit-def: $vgpr5_vgpr6
	v_cmpx_ge_u32_e64 v35, v16
	s_xor_b32 s3, exec_lo, s3
	s_cbranch_execz .LBB1212_196
; %bb.195:
	s_waitcnt lgkmcnt(2)
	v_xor_b32_e32 v3, 0xfffff6ff, v0
                                        ; implicit-def: $vgpr35
	v_ashrrev_i32_e32 v6, 31, v3
	v_add_co_u32 v5, vcc_lo, v18, v3
	v_add_co_ci_u32_e64 v6, null, v19, v6, vcc_lo
.LBB1212_196:
	s_andn2_saveexec_b32 s3, s3
	s_cbranch_execz .LBB1212_198
; %bb.197:
	s_waitcnt lgkmcnt(3)
	v_add_co_u32 v5, vcc_lo, v15, v35
	v_add_co_ci_u32_e64 v6, null, 0, v17, vcc_lo
.LBB1212_198:
	s_or_b32 exec_lo, exec_lo, s3
	s_waitcnt lgkmcnt(3)
	v_lshlrev_b64 v[5:6], 2, v[5:6]
	v_add_co_u32 v5, vcc_lo, s16, v5
	v_add_co_ci_u32_e64 v6, null, s17, v6, vcc_lo
	s_waitcnt lgkmcnt(2)
	global_store_dword v[5:6], v4, off
	s_or_b32 exec_lo, exec_lo, s2
	s_mov_b32 s2, exec_lo
	v_cmpx_gt_u32_e64 s15, v34
	s_cbranch_execnz .LBB1212_164
.LBB1212_199:
	s_or_b32 exec_lo, exec_lo, s2
	s_mov_b32 s2, exec_lo
	v_cmpx_gt_u32_e64 s15, v33
	s_cbranch_execz .LBB1212_205
.LBB1212_200:
	s_mov_b32 s3, exec_lo
                                        ; implicit-def: $vgpr3_vgpr4
	v_cmpx_ge_u32_e64 v33, v16
	s_xor_b32 s3, exec_lo, s3
	s_cbranch_execz .LBB1212_202
; %bb.201:
	s_waitcnt lgkmcnt(1)
	v_xor_b32_e32 v1, 0xfffff4ff, v0
                                        ; implicit-def: $vgpr33
	v_ashrrev_i32_e32 v4, 31, v1
	v_add_co_u32 v3, vcc_lo, v18, v1
	v_add_co_ci_u32_e64 v4, null, v19, v4, vcc_lo
.LBB1212_202:
	s_andn2_saveexec_b32 s3, s3
	s_cbranch_execz .LBB1212_204
; %bb.203:
	s_waitcnt lgkmcnt(2)
	v_add_co_u32 v3, vcc_lo, v15, v33
	v_add_co_ci_u32_e64 v4, null, 0, v17, vcc_lo
.LBB1212_204:
	s_or_b32 exec_lo, exec_lo, s3
	s_waitcnt lgkmcnt(2)
	v_lshlrev_b64 v[3:4], 2, v[3:4]
	v_add_co_u32 v3, vcc_lo, s16, v3
	v_add_co_ci_u32_e64 v4, null, s17, v4, vcc_lo
	s_waitcnt lgkmcnt(1)
	global_store_dword v[3:4], v2, off
.LBB1212_205:
	s_or_b32 exec_lo, exec_lo, s2
	s_mov_b32 s2, exec_lo
                                        ; implicit-def: $vgpr13_vgpr14
	v_cmpx_gt_u32_e64 s15, v32
	s_cbranch_execz .LBB1212_211
; %bb.206:
	s_mov_b32 s3, exec_lo
                                        ; implicit-def: $vgpr13_vgpr14
	v_cmpx_ge_u32_e64 v32, v16
	s_xor_b32 s3, exec_lo, s3
	s_cbranch_execz .LBB1212_208
; %bb.207:
	v_xor_b32_e32 v0, 0xfffff3ff, v0
                                        ; implicit-def: $vgpr32
	s_waitcnt lgkmcnt(1)
	v_ashrrev_i32_e32 v1, 31, v0
	v_add_co_u32 v13, vcc_lo, v18, v0
	v_add_co_ci_u32_e64 v14, null, v19, v1, vcc_lo
.LBB1212_208:
	s_andn2_saveexec_b32 s3, s3
; %bb.209:
	v_add_co_u32 v13, vcc_lo, v15, v32
	v_add_co_ci_u32_e64 v14, null, 0, v17, vcc_lo
; %bb.210:
	s_or_b32 exec_lo, exec_lo, s3
	s_or_b32 s1, s1, exec_lo
.LBB1212_211:
	s_or_b32 exec_lo, exec_lo, s2
	s_and_saveexec_b32 s2, s1
	s_cbranch_execnz .LBB1212_130
.LBB1212_212:
	s_or_b32 exec_lo, exec_lo, s2
	s_and_b32 s0, s0, s14
	s_and_saveexec_b32 s1, s0
	s_cbranch_execz .LBB1212_131
.LBB1212_213:
	v_add_co_u32 v0, vcc_lo, v15, v16
	s_waitcnt lgkmcnt(1)
	v_mov_b32_e32 v2, 0
	v_add_co_ci_u32_e64 v1, null, 0, v17, vcc_lo
	global_store_dwordx2 v2, v[0:1], s[12:13]
	s_endpgm
	.section	.rodata,"a",@progbits
	.p2align	6, 0x0
	.amdhsa_kernel _ZN7rocprim17ROCPRIM_400000_NS6detail17trampoline_kernelINS0_13select_configILj256ELj13ELNS0_17block_load_methodE3ELS4_3ELS4_3ELNS0_20block_scan_algorithmE0ELj4294967295EEENS1_25partition_config_selectorILNS1_17partition_subalgoE3EjNS0_10empty_typeEbEEZZNS1_14partition_implILS8_3ELb0ES6_jNS0_17counting_iteratorIjlEEPS9_SE_NS0_5tupleIJPjSE_EEENSF_IJSE_SE_EEES9_SG_JZNS1_25segmented_radix_sort_implINS0_14default_configELb0EPKdPdPKlPlN2at6native12_GLOBAL__N_18offset_tEEE10hipError_tPvRmT1_PNSt15iterator_traitsISY_E10value_typeET2_T3_PNSZ_IS14_E10value_typeET4_jRbjT5_S1A_jjP12ihipStream_tbEUljE_EEESV_SW_SX_S14_S18_S1A_T6_T7_T9_mT8_S1C_bDpT10_ENKUlT_T0_E_clISt17integral_constantIbLb0EES1O_IbLb1EEEEDaS1K_S1L_EUlS1K_E_NS1_11comp_targetILNS1_3genE8ELNS1_11target_archE1030ELNS1_3gpuE2ELNS1_3repE0EEENS1_30default_config_static_selectorELNS0_4arch9wavefront6targetE0EEEvSY_
		.amdhsa_group_segment_fixed_size 13320
		.amdhsa_private_segment_fixed_size 0
		.amdhsa_kernarg_size 152
		.amdhsa_user_sgpr_count 6
		.amdhsa_user_sgpr_private_segment_buffer 1
		.amdhsa_user_sgpr_dispatch_ptr 0
		.amdhsa_user_sgpr_queue_ptr 0
		.amdhsa_user_sgpr_kernarg_segment_ptr 1
		.amdhsa_user_sgpr_dispatch_id 0
		.amdhsa_user_sgpr_flat_scratch_init 0
		.amdhsa_user_sgpr_private_segment_size 0
		.amdhsa_wavefront_size32 1
		.amdhsa_uses_dynamic_stack 0
		.amdhsa_system_sgpr_private_segment_wavefront_offset 0
		.amdhsa_system_sgpr_workgroup_id_x 1
		.amdhsa_system_sgpr_workgroup_id_y 0
		.amdhsa_system_sgpr_workgroup_id_z 0
		.amdhsa_system_sgpr_workgroup_info 0
		.amdhsa_system_vgpr_workitem_id 0
		.amdhsa_next_free_vgpr 71
		.amdhsa_next_free_sgpr 26
		.amdhsa_reserve_vcc 1
		.amdhsa_reserve_flat_scratch 0
		.amdhsa_float_round_mode_32 0
		.amdhsa_float_round_mode_16_64 0
		.amdhsa_float_denorm_mode_32 3
		.amdhsa_float_denorm_mode_16_64 3
		.amdhsa_dx10_clamp 1
		.amdhsa_ieee_mode 1
		.amdhsa_fp16_overflow 0
		.amdhsa_workgroup_processor_mode 1
		.amdhsa_memory_ordered 1
		.amdhsa_forward_progress 1
		.amdhsa_shared_vgpr_count 0
		.amdhsa_exception_fp_ieee_invalid_op 0
		.amdhsa_exception_fp_denorm_src 0
		.amdhsa_exception_fp_ieee_div_zero 0
		.amdhsa_exception_fp_ieee_overflow 0
		.amdhsa_exception_fp_ieee_underflow 0
		.amdhsa_exception_fp_ieee_inexact 0
		.amdhsa_exception_int_div_zero 0
	.end_amdhsa_kernel
	.section	.text._ZN7rocprim17ROCPRIM_400000_NS6detail17trampoline_kernelINS0_13select_configILj256ELj13ELNS0_17block_load_methodE3ELS4_3ELS4_3ELNS0_20block_scan_algorithmE0ELj4294967295EEENS1_25partition_config_selectorILNS1_17partition_subalgoE3EjNS0_10empty_typeEbEEZZNS1_14partition_implILS8_3ELb0ES6_jNS0_17counting_iteratorIjlEEPS9_SE_NS0_5tupleIJPjSE_EEENSF_IJSE_SE_EEES9_SG_JZNS1_25segmented_radix_sort_implINS0_14default_configELb0EPKdPdPKlPlN2at6native12_GLOBAL__N_18offset_tEEE10hipError_tPvRmT1_PNSt15iterator_traitsISY_E10value_typeET2_T3_PNSZ_IS14_E10value_typeET4_jRbjT5_S1A_jjP12ihipStream_tbEUljE_EEESV_SW_SX_S14_S18_S1A_T6_T7_T9_mT8_S1C_bDpT10_ENKUlT_T0_E_clISt17integral_constantIbLb0EES1O_IbLb1EEEEDaS1K_S1L_EUlS1K_E_NS1_11comp_targetILNS1_3genE8ELNS1_11target_archE1030ELNS1_3gpuE2ELNS1_3repE0EEENS1_30default_config_static_selectorELNS0_4arch9wavefront6targetE0EEEvSY_,"axG",@progbits,_ZN7rocprim17ROCPRIM_400000_NS6detail17trampoline_kernelINS0_13select_configILj256ELj13ELNS0_17block_load_methodE3ELS4_3ELS4_3ELNS0_20block_scan_algorithmE0ELj4294967295EEENS1_25partition_config_selectorILNS1_17partition_subalgoE3EjNS0_10empty_typeEbEEZZNS1_14partition_implILS8_3ELb0ES6_jNS0_17counting_iteratorIjlEEPS9_SE_NS0_5tupleIJPjSE_EEENSF_IJSE_SE_EEES9_SG_JZNS1_25segmented_radix_sort_implINS0_14default_configELb0EPKdPdPKlPlN2at6native12_GLOBAL__N_18offset_tEEE10hipError_tPvRmT1_PNSt15iterator_traitsISY_E10value_typeET2_T3_PNSZ_IS14_E10value_typeET4_jRbjT5_S1A_jjP12ihipStream_tbEUljE_EEESV_SW_SX_S14_S18_S1A_T6_T7_T9_mT8_S1C_bDpT10_ENKUlT_T0_E_clISt17integral_constantIbLb0EES1O_IbLb1EEEEDaS1K_S1L_EUlS1K_E_NS1_11comp_targetILNS1_3genE8ELNS1_11target_archE1030ELNS1_3gpuE2ELNS1_3repE0EEENS1_30default_config_static_selectorELNS0_4arch9wavefront6targetE0EEEvSY_,comdat
.Lfunc_end1212:
	.size	_ZN7rocprim17ROCPRIM_400000_NS6detail17trampoline_kernelINS0_13select_configILj256ELj13ELNS0_17block_load_methodE3ELS4_3ELS4_3ELNS0_20block_scan_algorithmE0ELj4294967295EEENS1_25partition_config_selectorILNS1_17partition_subalgoE3EjNS0_10empty_typeEbEEZZNS1_14partition_implILS8_3ELb0ES6_jNS0_17counting_iteratorIjlEEPS9_SE_NS0_5tupleIJPjSE_EEENSF_IJSE_SE_EEES9_SG_JZNS1_25segmented_radix_sort_implINS0_14default_configELb0EPKdPdPKlPlN2at6native12_GLOBAL__N_18offset_tEEE10hipError_tPvRmT1_PNSt15iterator_traitsISY_E10value_typeET2_T3_PNSZ_IS14_E10value_typeET4_jRbjT5_S1A_jjP12ihipStream_tbEUljE_EEESV_SW_SX_S14_S18_S1A_T6_T7_T9_mT8_S1C_bDpT10_ENKUlT_T0_E_clISt17integral_constantIbLb0EES1O_IbLb1EEEEDaS1K_S1L_EUlS1K_E_NS1_11comp_targetILNS1_3genE8ELNS1_11target_archE1030ELNS1_3gpuE2ELNS1_3repE0EEENS1_30default_config_static_selectorELNS0_4arch9wavefront6targetE0EEEvSY_, .Lfunc_end1212-_ZN7rocprim17ROCPRIM_400000_NS6detail17trampoline_kernelINS0_13select_configILj256ELj13ELNS0_17block_load_methodE3ELS4_3ELS4_3ELNS0_20block_scan_algorithmE0ELj4294967295EEENS1_25partition_config_selectorILNS1_17partition_subalgoE3EjNS0_10empty_typeEbEEZZNS1_14partition_implILS8_3ELb0ES6_jNS0_17counting_iteratorIjlEEPS9_SE_NS0_5tupleIJPjSE_EEENSF_IJSE_SE_EEES9_SG_JZNS1_25segmented_radix_sort_implINS0_14default_configELb0EPKdPdPKlPlN2at6native12_GLOBAL__N_18offset_tEEE10hipError_tPvRmT1_PNSt15iterator_traitsISY_E10value_typeET2_T3_PNSZ_IS14_E10value_typeET4_jRbjT5_S1A_jjP12ihipStream_tbEUljE_EEESV_SW_SX_S14_S18_S1A_T6_T7_T9_mT8_S1C_bDpT10_ENKUlT_T0_E_clISt17integral_constantIbLb0EES1O_IbLb1EEEEDaS1K_S1L_EUlS1K_E_NS1_11comp_targetILNS1_3genE8ELNS1_11target_archE1030ELNS1_3gpuE2ELNS1_3repE0EEENS1_30default_config_static_selectorELNS0_4arch9wavefront6targetE0EEEvSY_
                                        ; -- End function
	.set _ZN7rocprim17ROCPRIM_400000_NS6detail17trampoline_kernelINS0_13select_configILj256ELj13ELNS0_17block_load_methodE3ELS4_3ELS4_3ELNS0_20block_scan_algorithmE0ELj4294967295EEENS1_25partition_config_selectorILNS1_17partition_subalgoE3EjNS0_10empty_typeEbEEZZNS1_14partition_implILS8_3ELb0ES6_jNS0_17counting_iteratorIjlEEPS9_SE_NS0_5tupleIJPjSE_EEENSF_IJSE_SE_EEES9_SG_JZNS1_25segmented_radix_sort_implINS0_14default_configELb0EPKdPdPKlPlN2at6native12_GLOBAL__N_18offset_tEEE10hipError_tPvRmT1_PNSt15iterator_traitsISY_E10value_typeET2_T3_PNSZ_IS14_E10value_typeET4_jRbjT5_S1A_jjP12ihipStream_tbEUljE_EEESV_SW_SX_S14_S18_S1A_T6_T7_T9_mT8_S1C_bDpT10_ENKUlT_T0_E_clISt17integral_constantIbLb0EES1O_IbLb1EEEEDaS1K_S1L_EUlS1K_E_NS1_11comp_targetILNS1_3genE8ELNS1_11target_archE1030ELNS1_3gpuE2ELNS1_3repE0EEENS1_30default_config_static_selectorELNS0_4arch9wavefront6targetE0EEEvSY_.num_vgpr, 71
	.set _ZN7rocprim17ROCPRIM_400000_NS6detail17trampoline_kernelINS0_13select_configILj256ELj13ELNS0_17block_load_methodE3ELS4_3ELS4_3ELNS0_20block_scan_algorithmE0ELj4294967295EEENS1_25partition_config_selectorILNS1_17partition_subalgoE3EjNS0_10empty_typeEbEEZZNS1_14partition_implILS8_3ELb0ES6_jNS0_17counting_iteratorIjlEEPS9_SE_NS0_5tupleIJPjSE_EEENSF_IJSE_SE_EEES9_SG_JZNS1_25segmented_radix_sort_implINS0_14default_configELb0EPKdPdPKlPlN2at6native12_GLOBAL__N_18offset_tEEE10hipError_tPvRmT1_PNSt15iterator_traitsISY_E10value_typeET2_T3_PNSZ_IS14_E10value_typeET4_jRbjT5_S1A_jjP12ihipStream_tbEUljE_EEESV_SW_SX_S14_S18_S1A_T6_T7_T9_mT8_S1C_bDpT10_ENKUlT_T0_E_clISt17integral_constantIbLb0EES1O_IbLb1EEEEDaS1K_S1L_EUlS1K_E_NS1_11comp_targetILNS1_3genE8ELNS1_11target_archE1030ELNS1_3gpuE2ELNS1_3repE0EEENS1_30default_config_static_selectorELNS0_4arch9wavefront6targetE0EEEvSY_.num_agpr, 0
	.set _ZN7rocprim17ROCPRIM_400000_NS6detail17trampoline_kernelINS0_13select_configILj256ELj13ELNS0_17block_load_methodE3ELS4_3ELS4_3ELNS0_20block_scan_algorithmE0ELj4294967295EEENS1_25partition_config_selectorILNS1_17partition_subalgoE3EjNS0_10empty_typeEbEEZZNS1_14partition_implILS8_3ELb0ES6_jNS0_17counting_iteratorIjlEEPS9_SE_NS0_5tupleIJPjSE_EEENSF_IJSE_SE_EEES9_SG_JZNS1_25segmented_radix_sort_implINS0_14default_configELb0EPKdPdPKlPlN2at6native12_GLOBAL__N_18offset_tEEE10hipError_tPvRmT1_PNSt15iterator_traitsISY_E10value_typeET2_T3_PNSZ_IS14_E10value_typeET4_jRbjT5_S1A_jjP12ihipStream_tbEUljE_EEESV_SW_SX_S14_S18_S1A_T6_T7_T9_mT8_S1C_bDpT10_ENKUlT_T0_E_clISt17integral_constantIbLb0EES1O_IbLb1EEEEDaS1K_S1L_EUlS1K_E_NS1_11comp_targetILNS1_3genE8ELNS1_11target_archE1030ELNS1_3gpuE2ELNS1_3repE0EEENS1_30default_config_static_selectorELNS0_4arch9wavefront6targetE0EEEvSY_.numbered_sgpr, 26
	.set _ZN7rocprim17ROCPRIM_400000_NS6detail17trampoline_kernelINS0_13select_configILj256ELj13ELNS0_17block_load_methodE3ELS4_3ELS4_3ELNS0_20block_scan_algorithmE0ELj4294967295EEENS1_25partition_config_selectorILNS1_17partition_subalgoE3EjNS0_10empty_typeEbEEZZNS1_14partition_implILS8_3ELb0ES6_jNS0_17counting_iteratorIjlEEPS9_SE_NS0_5tupleIJPjSE_EEENSF_IJSE_SE_EEES9_SG_JZNS1_25segmented_radix_sort_implINS0_14default_configELb0EPKdPdPKlPlN2at6native12_GLOBAL__N_18offset_tEEE10hipError_tPvRmT1_PNSt15iterator_traitsISY_E10value_typeET2_T3_PNSZ_IS14_E10value_typeET4_jRbjT5_S1A_jjP12ihipStream_tbEUljE_EEESV_SW_SX_S14_S18_S1A_T6_T7_T9_mT8_S1C_bDpT10_ENKUlT_T0_E_clISt17integral_constantIbLb0EES1O_IbLb1EEEEDaS1K_S1L_EUlS1K_E_NS1_11comp_targetILNS1_3genE8ELNS1_11target_archE1030ELNS1_3gpuE2ELNS1_3repE0EEENS1_30default_config_static_selectorELNS0_4arch9wavefront6targetE0EEEvSY_.num_named_barrier, 0
	.set _ZN7rocprim17ROCPRIM_400000_NS6detail17trampoline_kernelINS0_13select_configILj256ELj13ELNS0_17block_load_methodE3ELS4_3ELS4_3ELNS0_20block_scan_algorithmE0ELj4294967295EEENS1_25partition_config_selectorILNS1_17partition_subalgoE3EjNS0_10empty_typeEbEEZZNS1_14partition_implILS8_3ELb0ES6_jNS0_17counting_iteratorIjlEEPS9_SE_NS0_5tupleIJPjSE_EEENSF_IJSE_SE_EEES9_SG_JZNS1_25segmented_radix_sort_implINS0_14default_configELb0EPKdPdPKlPlN2at6native12_GLOBAL__N_18offset_tEEE10hipError_tPvRmT1_PNSt15iterator_traitsISY_E10value_typeET2_T3_PNSZ_IS14_E10value_typeET4_jRbjT5_S1A_jjP12ihipStream_tbEUljE_EEESV_SW_SX_S14_S18_S1A_T6_T7_T9_mT8_S1C_bDpT10_ENKUlT_T0_E_clISt17integral_constantIbLb0EES1O_IbLb1EEEEDaS1K_S1L_EUlS1K_E_NS1_11comp_targetILNS1_3genE8ELNS1_11target_archE1030ELNS1_3gpuE2ELNS1_3repE0EEENS1_30default_config_static_selectorELNS0_4arch9wavefront6targetE0EEEvSY_.private_seg_size, 0
	.set _ZN7rocprim17ROCPRIM_400000_NS6detail17trampoline_kernelINS0_13select_configILj256ELj13ELNS0_17block_load_methodE3ELS4_3ELS4_3ELNS0_20block_scan_algorithmE0ELj4294967295EEENS1_25partition_config_selectorILNS1_17partition_subalgoE3EjNS0_10empty_typeEbEEZZNS1_14partition_implILS8_3ELb0ES6_jNS0_17counting_iteratorIjlEEPS9_SE_NS0_5tupleIJPjSE_EEENSF_IJSE_SE_EEES9_SG_JZNS1_25segmented_radix_sort_implINS0_14default_configELb0EPKdPdPKlPlN2at6native12_GLOBAL__N_18offset_tEEE10hipError_tPvRmT1_PNSt15iterator_traitsISY_E10value_typeET2_T3_PNSZ_IS14_E10value_typeET4_jRbjT5_S1A_jjP12ihipStream_tbEUljE_EEESV_SW_SX_S14_S18_S1A_T6_T7_T9_mT8_S1C_bDpT10_ENKUlT_T0_E_clISt17integral_constantIbLb0EES1O_IbLb1EEEEDaS1K_S1L_EUlS1K_E_NS1_11comp_targetILNS1_3genE8ELNS1_11target_archE1030ELNS1_3gpuE2ELNS1_3repE0EEENS1_30default_config_static_selectorELNS0_4arch9wavefront6targetE0EEEvSY_.uses_vcc, 1
	.set _ZN7rocprim17ROCPRIM_400000_NS6detail17trampoline_kernelINS0_13select_configILj256ELj13ELNS0_17block_load_methodE3ELS4_3ELS4_3ELNS0_20block_scan_algorithmE0ELj4294967295EEENS1_25partition_config_selectorILNS1_17partition_subalgoE3EjNS0_10empty_typeEbEEZZNS1_14partition_implILS8_3ELb0ES6_jNS0_17counting_iteratorIjlEEPS9_SE_NS0_5tupleIJPjSE_EEENSF_IJSE_SE_EEES9_SG_JZNS1_25segmented_radix_sort_implINS0_14default_configELb0EPKdPdPKlPlN2at6native12_GLOBAL__N_18offset_tEEE10hipError_tPvRmT1_PNSt15iterator_traitsISY_E10value_typeET2_T3_PNSZ_IS14_E10value_typeET4_jRbjT5_S1A_jjP12ihipStream_tbEUljE_EEESV_SW_SX_S14_S18_S1A_T6_T7_T9_mT8_S1C_bDpT10_ENKUlT_T0_E_clISt17integral_constantIbLb0EES1O_IbLb1EEEEDaS1K_S1L_EUlS1K_E_NS1_11comp_targetILNS1_3genE8ELNS1_11target_archE1030ELNS1_3gpuE2ELNS1_3repE0EEENS1_30default_config_static_selectorELNS0_4arch9wavefront6targetE0EEEvSY_.uses_flat_scratch, 0
	.set _ZN7rocprim17ROCPRIM_400000_NS6detail17trampoline_kernelINS0_13select_configILj256ELj13ELNS0_17block_load_methodE3ELS4_3ELS4_3ELNS0_20block_scan_algorithmE0ELj4294967295EEENS1_25partition_config_selectorILNS1_17partition_subalgoE3EjNS0_10empty_typeEbEEZZNS1_14partition_implILS8_3ELb0ES6_jNS0_17counting_iteratorIjlEEPS9_SE_NS0_5tupleIJPjSE_EEENSF_IJSE_SE_EEES9_SG_JZNS1_25segmented_radix_sort_implINS0_14default_configELb0EPKdPdPKlPlN2at6native12_GLOBAL__N_18offset_tEEE10hipError_tPvRmT1_PNSt15iterator_traitsISY_E10value_typeET2_T3_PNSZ_IS14_E10value_typeET4_jRbjT5_S1A_jjP12ihipStream_tbEUljE_EEESV_SW_SX_S14_S18_S1A_T6_T7_T9_mT8_S1C_bDpT10_ENKUlT_T0_E_clISt17integral_constantIbLb0EES1O_IbLb1EEEEDaS1K_S1L_EUlS1K_E_NS1_11comp_targetILNS1_3genE8ELNS1_11target_archE1030ELNS1_3gpuE2ELNS1_3repE0EEENS1_30default_config_static_selectorELNS0_4arch9wavefront6targetE0EEEvSY_.has_dyn_sized_stack, 0
	.set _ZN7rocprim17ROCPRIM_400000_NS6detail17trampoline_kernelINS0_13select_configILj256ELj13ELNS0_17block_load_methodE3ELS4_3ELS4_3ELNS0_20block_scan_algorithmE0ELj4294967295EEENS1_25partition_config_selectorILNS1_17partition_subalgoE3EjNS0_10empty_typeEbEEZZNS1_14partition_implILS8_3ELb0ES6_jNS0_17counting_iteratorIjlEEPS9_SE_NS0_5tupleIJPjSE_EEENSF_IJSE_SE_EEES9_SG_JZNS1_25segmented_radix_sort_implINS0_14default_configELb0EPKdPdPKlPlN2at6native12_GLOBAL__N_18offset_tEEE10hipError_tPvRmT1_PNSt15iterator_traitsISY_E10value_typeET2_T3_PNSZ_IS14_E10value_typeET4_jRbjT5_S1A_jjP12ihipStream_tbEUljE_EEESV_SW_SX_S14_S18_S1A_T6_T7_T9_mT8_S1C_bDpT10_ENKUlT_T0_E_clISt17integral_constantIbLb0EES1O_IbLb1EEEEDaS1K_S1L_EUlS1K_E_NS1_11comp_targetILNS1_3genE8ELNS1_11target_archE1030ELNS1_3gpuE2ELNS1_3repE0EEENS1_30default_config_static_selectorELNS0_4arch9wavefront6targetE0EEEvSY_.has_recursion, 0
	.set _ZN7rocprim17ROCPRIM_400000_NS6detail17trampoline_kernelINS0_13select_configILj256ELj13ELNS0_17block_load_methodE3ELS4_3ELS4_3ELNS0_20block_scan_algorithmE0ELj4294967295EEENS1_25partition_config_selectorILNS1_17partition_subalgoE3EjNS0_10empty_typeEbEEZZNS1_14partition_implILS8_3ELb0ES6_jNS0_17counting_iteratorIjlEEPS9_SE_NS0_5tupleIJPjSE_EEENSF_IJSE_SE_EEES9_SG_JZNS1_25segmented_radix_sort_implINS0_14default_configELb0EPKdPdPKlPlN2at6native12_GLOBAL__N_18offset_tEEE10hipError_tPvRmT1_PNSt15iterator_traitsISY_E10value_typeET2_T3_PNSZ_IS14_E10value_typeET4_jRbjT5_S1A_jjP12ihipStream_tbEUljE_EEESV_SW_SX_S14_S18_S1A_T6_T7_T9_mT8_S1C_bDpT10_ENKUlT_T0_E_clISt17integral_constantIbLb0EES1O_IbLb1EEEEDaS1K_S1L_EUlS1K_E_NS1_11comp_targetILNS1_3genE8ELNS1_11target_archE1030ELNS1_3gpuE2ELNS1_3repE0EEENS1_30default_config_static_selectorELNS0_4arch9wavefront6targetE0EEEvSY_.has_indirect_call, 0
	.section	.AMDGPU.csdata,"",@progbits
; Kernel info:
; codeLenInByte = 8704
; TotalNumSgprs: 28
; NumVgprs: 71
; ScratchSize: 0
; MemoryBound: 0
; FloatMode: 240
; IeeeMode: 1
; LDSByteSize: 13320 bytes/workgroup (compile time only)
; SGPRBlocks: 0
; VGPRBlocks: 8
; NumSGPRsForWavesPerEU: 28
; NumVGPRsForWavesPerEU: 71
; Occupancy: 12
; WaveLimiterHint : 0
; COMPUTE_PGM_RSRC2:SCRATCH_EN: 0
; COMPUTE_PGM_RSRC2:USER_SGPR: 6
; COMPUTE_PGM_RSRC2:TRAP_HANDLER: 0
; COMPUTE_PGM_RSRC2:TGID_X_EN: 1
; COMPUTE_PGM_RSRC2:TGID_Y_EN: 0
; COMPUTE_PGM_RSRC2:TGID_Z_EN: 0
; COMPUTE_PGM_RSRC2:TIDIG_COMP_CNT: 0
	.section	.text._ZN7rocprim17ROCPRIM_400000_NS6detail17trampoline_kernelINS0_14default_configENS1_36segmented_radix_sort_config_selectorIdlEEZNS1_25segmented_radix_sort_implIS3_Lb0EPKdPdPKlPlN2at6native12_GLOBAL__N_18offset_tEEE10hipError_tPvRmT1_PNSt15iterator_traitsISK_E10value_typeET2_T3_PNSL_ISQ_E10value_typeET4_jRbjT5_SW_jjP12ihipStream_tbEUlT_E_NS1_11comp_targetILNS1_3genE0ELNS1_11target_archE4294967295ELNS1_3gpuE0ELNS1_3repE0EEENS1_30default_config_static_selectorELNS0_4arch9wavefront6targetE0EEEvSK_,"axG",@progbits,_ZN7rocprim17ROCPRIM_400000_NS6detail17trampoline_kernelINS0_14default_configENS1_36segmented_radix_sort_config_selectorIdlEEZNS1_25segmented_radix_sort_implIS3_Lb0EPKdPdPKlPlN2at6native12_GLOBAL__N_18offset_tEEE10hipError_tPvRmT1_PNSt15iterator_traitsISK_E10value_typeET2_T3_PNSL_ISQ_E10value_typeET4_jRbjT5_SW_jjP12ihipStream_tbEUlT_E_NS1_11comp_targetILNS1_3genE0ELNS1_11target_archE4294967295ELNS1_3gpuE0ELNS1_3repE0EEENS1_30default_config_static_selectorELNS0_4arch9wavefront6targetE0EEEvSK_,comdat
	.globl	_ZN7rocprim17ROCPRIM_400000_NS6detail17trampoline_kernelINS0_14default_configENS1_36segmented_radix_sort_config_selectorIdlEEZNS1_25segmented_radix_sort_implIS3_Lb0EPKdPdPKlPlN2at6native12_GLOBAL__N_18offset_tEEE10hipError_tPvRmT1_PNSt15iterator_traitsISK_E10value_typeET2_T3_PNSL_ISQ_E10value_typeET4_jRbjT5_SW_jjP12ihipStream_tbEUlT_E_NS1_11comp_targetILNS1_3genE0ELNS1_11target_archE4294967295ELNS1_3gpuE0ELNS1_3repE0EEENS1_30default_config_static_selectorELNS0_4arch9wavefront6targetE0EEEvSK_ ; -- Begin function _ZN7rocprim17ROCPRIM_400000_NS6detail17trampoline_kernelINS0_14default_configENS1_36segmented_radix_sort_config_selectorIdlEEZNS1_25segmented_radix_sort_implIS3_Lb0EPKdPdPKlPlN2at6native12_GLOBAL__N_18offset_tEEE10hipError_tPvRmT1_PNSt15iterator_traitsISK_E10value_typeET2_T3_PNSL_ISQ_E10value_typeET4_jRbjT5_SW_jjP12ihipStream_tbEUlT_E_NS1_11comp_targetILNS1_3genE0ELNS1_11target_archE4294967295ELNS1_3gpuE0ELNS1_3repE0EEENS1_30default_config_static_selectorELNS0_4arch9wavefront6targetE0EEEvSK_
	.p2align	8
	.type	_ZN7rocprim17ROCPRIM_400000_NS6detail17trampoline_kernelINS0_14default_configENS1_36segmented_radix_sort_config_selectorIdlEEZNS1_25segmented_radix_sort_implIS3_Lb0EPKdPdPKlPlN2at6native12_GLOBAL__N_18offset_tEEE10hipError_tPvRmT1_PNSt15iterator_traitsISK_E10value_typeET2_T3_PNSL_ISQ_E10value_typeET4_jRbjT5_SW_jjP12ihipStream_tbEUlT_E_NS1_11comp_targetILNS1_3genE0ELNS1_11target_archE4294967295ELNS1_3gpuE0ELNS1_3repE0EEENS1_30default_config_static_selectorELNS0_4arch9wavefront6targetE0EEEvSK_,@function
_ZN7rocprim17ROCPRIM_400000_NS6detail17trampoline_kernelINS0_14default_configENS1_36segmented_radix_sort_config_selectorIdlEEZNS1_25segmented_radix_sort_implIS3_Lb0EPKdPdPKlPlN2at6native12_GLOBAL__N_18offset_tEEE10hipError_tPvRmT1_PNSt15iterator_traitsISK_E10value_typeET2_T3_PNSL_ISQ_E10value_typeET4_jRbjT5_SW_jjP12ihipStream_tbEUlT_E_NS1_11comp_targetILNS1_3genE0ELNS1_11target_archE4294967295ELNS1_3gpuE0ELNS1_3repE0EEENS1_30default_config_static_selectorELNS0_4arch9wavefront6targetE0EEEvSK_: ; @_ZN7rocprim17ROCPRIM_400000_NS6detail17trampoline_kernelINS0_14default_configENS1_36segmented_radix_sort_config_selectorIdlEEZNS1_25segmented_radix_sort_implIS3_Lb0EPKdPdPKlPlN2at6native12_GLOBAL__N_18offset_tEEE10hipError_tPvRmT1_PNSt15iterator_traitsISK_E10value_typeET2_T3_PNSL_ISQ_E10value_typeET4_jRbjT5_SW_jjP12ihipStream_tbEUlT_E_NS1_11comp_targetILNS1_3genE0ELNS1_11target_archE4294967295ELNS1_3gpuE0ELNS1_3repE0EEENS1_30default_config_static_selectorELNS0_4arch9wavefront6targetE0EEEvSK_
; %bb.0:
	.section	.rodata,"a",@progbits
	.p2align	6, 0x0
	.amdhsa_kernel _ZN7rocprim17ROCPRIM_400000_NS6detail17trampoline_kernelINS0_14default_configENS1_36segmented_radix_sort_config_selectorIdlEEZNS1_25segmented_radix_sort_implIS3_Lb0EPKdPdPKlPlN2at6native12_GLOBAL__N_18offset_tEEE10hipError_tPvRmT1_PNSt15iterator_traitsISK_E10value_typeET2_T3_PNSL_ISQ_E10value_typeET4_jRbjT5_SW_jjP12ihipStream_tbEUlT_E_NS1_11comp_targetILNS1_3genE0ELNS1_11target_archE4294967295ELNS1_3gpuE0ELNS1_3repE0EEENS1_30default_config_static_selectorELNS0_4arch9wavefront6targetE0EEEvSK_
		.amdhsa_group_segment_fixed_size 0
		.amdhsa_private_segment_fixed_size 0
		.amdhsa_kernarg_size 96
		.amdhsa_user_sgpr_count 6
		.amdhsa_user_sgpr_private_segment_buffer 1
		.amdhsa_user_sgpr_dispatch_ptr 0
		.amdhsa_user_sgpr_queue_ptr 0
		.amdhsa_user_sgpr_kernarg_segment_ptr 1
		.amdhsa_user_sgpr_dispatch_id 0
		.amdhsa_user_sgpr_flat_scratch_init 0
		.amdhsa_user_sgpr_private_segment_size 0
		.amdhsa_wavefront_size32 1
		.amdhsa_uses_dynamic_stack 0
		.amdhsa_system_sgpr_private_segment_wavefront_offset 0
		.amdhsa_system_sgpr_workgroup_id_x 1
		.amdhsa_system_sgpr_workgroup_id_y 0
		.amdhsa_system_sgpr_workgroup_id_z 0
		.amdhsa_system_sgpr_workgroup_info 0
		.amdhsa_system_vgpr_workitem_id 0
		.amdhsa_next_free_vgpr 1
		.amdhsa_next_free_sgpr 1
		.amdhsa_reserve_vcc 0
		.amdhsa_reserve_flat_scratch 0
		.amdhsa_float_round_mode_32 0
		.amdhsa_float_round_mode_16_64 0
		.amdhsa_float_denorm_mode_32 3
		.amdhsa_float_denorm_mode_16_64 3
		.amdhsa_dx10_clamp 1
		.amdhsa_ieee_mode 1
		.amdhsa_fp16_overflow 0
		.amdhsa_workgroup_processor_mode 1
		.amdhsa_memory_ordered 1
		.amdhsa_forward_progress 1
		.amdhsa_shared_vgpr_count 0
		.amdhsa_exception_fp_ieee_invalid_op 0
		.amdhsa_exception_fp_denorm_src 0
		.amdhsa_exception_fp_ieee_div_zero 0
		.amdhsa_exception_fp_ieee_overflow 0
		.amdhsa_exception_fp_ieee_underflow 0
		.amdhsa_exception_fp_ieee_inexact 0
		.amdhsa_exception_int_div_zero 0
	.end_amdhsa_kernel
	.section	.text._ZN7rocprim17ROCPRIM_400000_NS6detail17trampoline_kernelINS0_14default_configENS1_36segmented_radix_sort_config_selectorIdlEEZNS1_25segmented_radix_sort_implIS3_Lb0EPKdPdPKlPlN2at6native12_GLOBAL__N_18offset_tEEE10hipError_tPvRmT1_PNSt15iterator_traitsISK_E10value_typeET2_T3_PNSL_ISQ_E10value_typeET4_jRbjT5_SW_jjP12ihipStream_tbEUlT_E_NS1_11comp_targetILNS1_3genE0ELNS1_11target_archE4294967295ELNS1_3gpuE0ELNS1_3repE0EEENS1_30default_config_static_selectorELNS0_4arch9wavefront6targetE0EEEvSK_,"axG",@progbits,_ZN7rocprim17ROCPRIM_400000_NS6detail17trampoline_kernelINS0_14default_configENS1_36segmented_radix_sort_config_selectorIdlEEZNS1_25segmented_radix_sort_implIS3_Lb0EPKdPdPKlPlN2at6native12_GLOBAL__N_18offset_tEEE10hipError_tPvRmT1_PNSt15iterator_traitsISK_E10value_typeET2_T3_PNSL_ISQ_E10value_typeET4_jRbjT5_SW_jjP12ihipStream_tbEUlT_E_NS1_11comp_targetILNS1_3genE0ELNS1_11target_archE4294967295ELNS1_3gpuE0ELNS1_3repE0EEENS1_30default_config_static_selectorELNS0_4arch9wavefront6targetE0EEEvSK_,comdat
.Lfunc_end1213:
	.size	_ZN7rocprim17ROCPRIM_400000_NS6detail17trampoline_kernelINS0_14default_configENS1_36segmented_radix_sort_config_selectorIdlEEZNS1_25segmented_radix_sort_implIS3_Lb0EPKdPdPKlPlN2at6native12_GLOBAL__N_18offset_tEEE10hipError_tPvRmT1_PNSt15iterator_traitsISK_E10value_typeET2_T3_PNSL_ISQ_E10value_typeET4_jRbjT5_SW_jjP12ihipStream_tbEUlT_E_NS1_11comp_targetILNS1_3genE0ELNS1_11target_archE4294967295ELNS1_3gpuE0ELNS1_3repE0EEENS1_30default_config_static_selectorELNS0_4arch9wavefront6targetE0EEEvSK_, .Lfunc_end1213-_ZN7rocprim17ROCPRIM_400000_NS6detail17trampoline_kernelINS0_14default_configENS1_36segmented_radix_sort_config_selectorIdlEEZNS1_25segmented_radix_sort_implIS3_Lb0EPKdPdPKlPlN2at6native12_GLOBAL__N_18offset_tEEE10hipError_tPvRmT1_PNSt15iterator_traitsISK_E10value_typeET2_T3_PNSL_ISQ_E10value_typeET4_jRbjT5_SW_jjP12ihipStream_tbEUlT_E_NS1_11comp_targetILNS1_3genE0ELNS1_11target_archE4294967295ELNS1_3gpuE0ELNS1_3repE0EEENS1_30default_config_static_selectorELNS0_4arch9wavefront6targetE0EEEvSK_
                                        ; -- End function
	.set _ZN7rocprim17ROCPRIM_400000_NS6detail17trampoline_kernelINS0_14default_configENS1_36segmented_radix_sort_config_selectorIdlEEZNS1_25segmented_radix_sort_implIS3_Lb0EPKdPdPKlPlN2at6native12_GLOBAL__N_18offset_tEEE10hipError_tPvRmT1_PNSt15iterator_traitsISK_E10value_typeET2_T3_PNSL_ISQ_E10value_typeET4_jRbjT5_SW_jjP12ihipStream_tbEUlT_E_NS1_11comp_targetILNS1_3genE0ELNS1_11target_archE4294967295ELNS1_3gpuE0ELNS1_3repE0EEENS1_30default_config_static_selectorELNS0_4arch9wavefront6targetE0EEEvSK_.num_vgpr, 0
	.set _ZN7rocprim17ROCPRIM_400000_NS6detail17trampoline_kernelINS0_14default_configENS1_36segmented_radix_sort_config_selectorIdlEEZNS1_25segmented_radix_sort_implIS3_Lb0EPKdPdPKlPlN2at6native12_GLOBAL__N_18offset_tEEE10hipError_tPvRmT1_PNSt15iterator_traitsISK_E10value_typeET2_T3_PNSL_ISQ_E10value_typeET4_jRbjT5_SW_jjP12ihipStream_tbEUlT_E_NS1_11comp_targetILNS1_3genE0ELNS1_11target_archE4294967295ELNS1_3gpuE0ELNS1_3repE0EEENS1_30default_config_static_selectorELNS0_4arch9wavefront6targetE0EEEvSK_.num_agpr, 0
	.set _ZN7rocprim17ROCPRIM_400000_NS6detail17trampoline_kernelINS0_14default_configENS1_36segmented_radix_sort_config_selectorIdlEEZNS1_25segmented_radix_sort_implIS3_Lb0EPKdPdPKlPlN2at6native12_GLOBAL__N_18offset_tEEE10hipError_tPvRmT1_PNSt15iterator_traitsISK_E10value_typeET2_T3_PNSL_ISQ_E10value_typeET4_jRbjT5_SW_jjP12ihipStream_tbEUlT_E_NS1_11comp_targetILNS1_3genE0ELNS1_11target_archE4294967295ELNS1_3gpuE0ELNS1_3repE0EEENS1_30default_config_static_selectorELNS0_4arch9wavefront6targetE0EEEvSK_.numbered_sgpr, 0
	.set _ZN7rocprim17ROCPRIM_400000_NS6detail17trampoline_kernelINS0_14default_configENS1_36segmented_radix_sort_config_selectorIdlEEZNS1_25segmented_radix_sort_implIS3_Lb0EPKdPdPKlPlN2at6native12_GLOBAL__N_18offset_tEEE10hipError_tPvRmT1_PNSt15iterator_traitsISK_E10value_typeET2_T3_PNSL_ISQ_E10value_typeET4_jRbjT5_SW_jjP12ihipStream_tbEUlT_E_NS1_11comp_targetILNS1_3genE0ELNS1_11target_archE4294967295ELNS1_3gpuE0ELNS1_3repE0EEENS1_30default_config_static_selectorELNS0_4arch9wavefront6targetE0EEEvSK_.num_named_barrier, 0
	.set _ZN7rocprim17ROCPRIM_400000_NS6detail17trampoline_kernelINS0_14default_configENS1_36segmented_radix_sort_config_selectorIdlEEZNS1_25segmented_radix_sort_implIS3_Lb0EPKdPdPKlPlN2at6native12_GLOBAL__N_18offset_tEEE10hipError_tPvRmT1_PNSt15iterator_traitsISK_E10value_typeET2_T3_PNSL_ISQ_E10value_typeET4_jRbjT5_SW_jjP12ihipStream_tbEUlT_E_NS1_11comp_targetILNS1_3genE0ELNS1_11target_archE4294967295ELNS1_3gpuE0ELNS1_3repE0EEENS1_30default_config_static_selectorELNS0_4arch9wavefront6targetE0EEEvSK_.private_seg_size, 0
	.set _ZN7rocprim17ROCPRIM_400000_NS6detail17trampoline_kernelINS0_14default_configENS1_36segmented_radix_sort_config_selectorIdlEEZNS1_25segmented_radix_sort_implIS3_Lb0EPKdPdPKlPlN2at6native12_GLOBAL__N_18offset_tEEE10hipError_tPvRmT1_PNSt15iterator_traitsISK_E10value_typeET2_T3_PNSL_ISQ_E10value_typeET4_jRbjT5_SW_jjP12ihipStream_tbEUlT_E_NS1_11comp_targetILNS1_3genE0ELNS1_11target_archE4294967295ELNS1_3gpuE0ELNS1_3repE0EEENS1_30default_config_static_selectorELNS0_4arch9wavefront6targetE0EEEvSK_.uses_vcc, 0
	.set _ZN7rocprim17ROCPRIM_400000_NS6detail17trampoline_kernelINS0_14default_configENS1_36segmented_radix_sort_config_selectorIdlEEZNS1_25segmented_radix_sort_implIS3_Lb0EPKdPdPKlPlN2at6native12_GLOBAL__N_18offset_tEEE10hipError_tPvRmT1_PNSt15iterator_traitsISK_E10value_typeET2_T3_PNSL_ISQ_E10value_typeET4_jRbjT5_SW_jjP12ihipStream_tbEUlT_E_NS1_11comp_targetILNS1_3genE0ELNS1_11target_archE4294967295ELNS1_3gpuE0ELNS1_3repE0EEENS1_30default_config_static_selectorELNS0_4arch9wavefront6targetE0EEEvSK_.uses_flat_scratch, 0
	.set _ZN7rocprim17ROCPRIM_400000_NS6detail17trampoline_kernelINS0_14default_configENS1_36segmented_radix_sort_config_selectorIdlEEZNS1_25segmented_radix_sort_implIS3_Lb0EPKdPdPKlPlN2at6native12_GLOBAL__N_18offset_tEEE10hipError_tPvRmT1_PNSt15iterator_traitsISK_E10value_typeET2_T3_PNSL_ISQ_E10value_typeET4_jRbjT5_SW_jjP12ihipStream_tbEUlT_E_NS1_11comp_targetILNS1_3genE0ELNS1_11target_archE4294967295ELNS1_3gpuE0ELNS1_3repE0EEENS1_30default_config_static_selectorELNS0_4arch9wavefront6targetE0EEEvSK_.has_dyn_sized_stack, 0
	.set _ZN7rocprim17ROCPRIM_400000_NS6detail17trampoline_kernelINS0_14default_configENS1_36segmented_radix_sort_config_selectorIdlEEZNS1_25segmented_radix_sort_implIS3_Lb0EPKdPdPKlPlN2at6native12_GLOBAL__N_18offset_tEEE10hipError_tPvRmT1_PNSt15iterator_traitsISK_E10value_typeET2_T3_PNSL_ISQ_E10value_typeET4_jRbjT5_SW_jjP12ihipStream_tbEUlT_E_NS1_11comp_targetILNS1_3genE0ELNS1_11target_archE4294967295ELNS1_3gpuE0ELNS1_3repE0EEENS1_30default_config_static_selectorELNS0_4arch9wavefront6targetE0EEEvSK_.has_recursion, 0
	.set _ZN7rocprim17ROCPRIM_400000_NS6detail17trampoline_kernelINS0_14default_configENS1_36segmented_radix_sort_config_selectorIdlEEZNS1_25segmented_radix_sort_implIS3_Lb0EPKdPdPKlPlN2at6native12_GLOBAL__N_18offset_tEEE10hipError_tPvRmT1_PNSt15iterator_traitsISK_E10value_typeET2_T3_PNSL_ISQ_E10value_typeET4_jRbjT5_SW_jjP12ihipStream_tbEUlT_E_NS1_11comp_targetILNS1_3genE0ELNS1_11target_archE4294967295ELNS1_3gpuE0ELNS1_3repE0EEENS1_30default_config_static_selectorELNS0_4arch9wavefront6targetE0EEEvSK_.has_indirect_call, 0
	.section	.AMDGPU.csdata,"",@progbits
; Kernel info:
; codeLenInByte = 0
; TotalNumSgprs: 0
; NumVgprs: 0
; ScratchSize: 0
; MemoryBound: 0
; FloatMode: 240
; IeeeMode: 1
; LDSByteSize: 0 bytes/workgroup (compile time only)
; SGPRBlocks: 0
; VGPRBlocks: 0
; NumSGPRsForWavesPerEU: 1
; NumVGPRsForWavesPerEU: 1
; Occupancy: 16
; WaveLimiterHint : 0
; COMPUTE_PGM_RSRC2:SCRATCH_EN: 0
; COMPUTE_PGM_RSRC2:USER_SGPR: 6
; COMPUTE_PGM_RSRC2:TRAP_HANDLER: 0
; COMPUTE_PGM_RSRC2:TGID_X_EN: 1
; COMPUTE_PGM_RSRC2:TGID_Y_EN: 0
; COMPUTE_PGM_RSRC2:TGID_Z_EN: 0
; COMPUTE_PGM_RSRC2:TIDIG_COMP_CNT: 0
	.section	.text._ZN7rocprim17ROCPRIM_400000_NS6detail17trampoline_kernelINS0_14default_configENS1_36segmented_radix_sort_config_selectorIdlEEZNS1_25segmented_radix_sort_implIS3_Lb0EPKdPdPKlPlN2at6native12_GLOBAL__N_18offset_tEEE10hipError_tPvRmT1_PNSt15iterator_traitsISK_E10value_typeET2_T3_PNSL_ISQ_E10value_typeET4_jRbjT5_SW_jjP12ihipStream_tbEUlT_E_NS1_11comp_targetILNS1_3genE5ELNS1_11target_archE942ELNS1_3gpuE9ELNS1_3repE0EEENS1_30default_config_static_selectorELNS0_4arch9wavefront6targetE0EEEvSK_,"axG",@progbits,_ZN7rocprim17ROCPRIM_400000_NS6detail17trampoline_kernelINS0_14default_configENS1_36segmented_radix_sort_config_selectorIdlEEZNS1_25segmented_radix_sort_implIS3_Lb0EPKdPdPKlPlN2at6native12_GLOBAL__N_18offset_tEEE10hipError_tPvRmT1_PNSt15iterator_traitsISK_E10value_typeET2_T3_PNSL_ISQ_E10value_typeET4_jRbjT5_SW_jjP12ihipStream_tbEUlT_E_NS1_11comp_targetILNS1_3genE5ELNS1_11target_archE942ELNS1_3gpuE9ELNS1_3repE0EEENS1_30default_config_static_selectorELNS0_4arch9wavefront6targetE0EEEvSK_,comdat
	.globl	_ZN7rocprim17ROCPRIM_400000_NS6detail17trampoline_kernelINS0_14default_configENS1_36segmented_radix_sort_config_selectorIdlEEZNS1_25segmented_radix_sort_implIS3_Lb0EPKdPdPKlPlN2at6native12_GLOBAL__N_18offset_tEEE10hipError_tPvRmT1_PNSt15iterator_traitsISK_E10value_typeET2_T3_PNSL_ISQ_E10value_typeET4_jRbjT5_SW_jjP12ihipStream_tbEUlT_E_NS1_11comp_targetILNS1_3genE5ELNS1_11target_archE942ELNS1_3gpuE9ELNS1_3repE0EEENS1_30default_config_static_selectorELNS0_4arch9wavefront6targetE0EEEvSK_ ; -- Begin function _ZN7rocprim17ROCPRIM_400000_NS6detail17trampoline_kernelINS0_14default_configENS1_36segmented_radix_sort_config_selectorIdlEEZNS1_25segmented_radix_sort_implIS3_Lb0EPKdPdPKlPlN2at6native12_GLOBAL__N_18offset_tEEE10hipError_tPvRmT1_PNSt15iterator_traitsISK_E10value_typeET2_T3_PNSL_ISQ_E10value_typeET4_jRbjT5_SW_jjP12ihipStream_tbEUlT_E_NS1_11comp_targetILNS1_3genE5ELNS1_11target_archE942ELNS1_3gpuE9ELNS1_3repE0EEENS1_30default_config_static_selectorELNS0_4arch9wavefront6targetE0EEEvSK_
	.p2align	8
	.type	_ZN7rocprim17ROCPRIM_400000_NS6detail17trampoline_kernelINS0_14default_configENS1_36segmented_radix_sort_config_selectorIdlEEZNS1_25segmented_radix_sort_implIS3_Lb0EPKdPdPKlPlN2at6native12_GLOBAL__N_18offset_tEEE10hipError_tPvRmT1_PNSt15iterator_traitsISK_E10value_typeET2_T3_PNSL_ISQ_E10value_typeET4_jRbjT5_SW_jjP12ihipStream_tbEUlT_E_NS1_11comp_targetILNS1_3genE5ELNS1_11target_archE942ELNS1_3gpuE9ELNS1_3repE0EEENS1_30default_config_static_selectorELNS0_4arch9wavefront6targetE0EEEvSK_,@function
_ZN7rocprim17ROCPRIM_400000_NS6detail17trampoline_kernelINS0_14default_configENS1_36segmented_radix_sort_config_selectorIdlEEZNS1_25segmented_radix_sort_implIS3_Lb0EPKdPdPKlPlN2at6native12_GLOBAL__N_18offset_tEEE10hipError_tPvRmT1_PNSt15iterator_traitsISK_E10value_typeET2_T3_PNSL_ISQ_E10value_typeET4_jRbjT5_SW_jjP12ihipStream_tbEUlT_E_NS1_11comp_targetILNS1_3genE5ELNS1_11target_archE942ELNS1_3gpuE9ELNS1_3repE0EEENS1_30default_config_static_selectorELNS0_4arch9wavefront6targetE0EEEvSK_: ; @_ZN7rocprim17ROCPRIM_400000_NS6detail17trampoline_kernelINS0_14default_configENS1_36segmented_radix_sort_config_selectorIdlEEZNS1_25segmented_radix_sort_implIS3_Lb0EPKdPdPKlPlN2at6native12_GLOBAL__N_18offset_tEEE10hipError_tPvRmT1_PNSt15iterator_traitsISK_E10value_typeET2_T3_PNSL_ISQ_E10value_typeET4_jRbjT5_SW_jjP12ihipStream_tbEUlT_E_NS1_11comp_targetILNS1_3genE5ELNS1_11target_archE942ELNS1_3gpuE9ELNS1_3repE0EEENS1_30default_config_static_selectorELNS0_4arch9wavefront6targetE0EEEvSK_
; %bb.0:
	.section	.rodata,"a",@progbits
	.p2align	6, 0x0
	.amdhsa_kernel _ZN7rocprim17ROCPRIM_400000_NS6detail17trampoline_kernelINS0_14default_configENS1_36segmented_radix_sort_config_selectorIdlEEZNS1_25segmented_radix_sort_implIS3_Lb0EPKdPdPKlPlN2at6native12_GLOBAL__N_18offset_tEEE10hipError_tPvRmT1_PNSt15iterator_traitsISK_E10value_typeET2_T3_PNSL_ISQ_E10value_typeET4_jRbjT5_SW_jjP12ihipStream_tbEUlT_E_NS1_11comp_targetILNS1_3genE5ELNS1_11target_archE942ELNS1_3gpuE9ELNS1_3repE0EEENS1_30default_config_static_selectorELNS0_4arch9wavefront6targetE0EEEvSK_
		.amdhsa_group_segment_fixed_size 0
		.amdhsa_private_segment_fixed_size 0
		.amdhsa_kernarg_size 96
		.amdhsa_user_sgpr_count 6
		.amdhsa_user_sgpr_private_segment_buffer 1
		.amdhsa_user_sgpr_dispatch_ptr 0
		.amdhsa_user_sgpr_queue_ptr 0
		.amdhsa_user_sgpr_kernarg_segment_ptr 1
		.amdhsa_user_sgpr_dispatch_id 0
		.amdhsa_user_sgpr_flat_scratch_init 0
		.amdhsa_user_sgpr_private_segment_size 0
		.amdhsa_wavefront_size32 1
		.amdhsa_uses_dynamic_stack 0
		.amdhsa_system_sgpr_private_segment_wavefront_offset 0
		.amdhsa_system_sgpr_workgroup_id_x 1
		.amdhsa_system_sgpr_workgroup_id_y 0
		.amdhsa_system_sgpr_workgroup_id_z 0
		.amdhsa_system_sgpr_workgroup_info 0
		.amdhsa_system_vgpr_workitem_id 0
		.amdhsa_next_free_vgpr 1
		.amdhsa_next_free_sgpr 1
		.amdhsa_reserve_vcc 0
		.amdhsa_reserve_flat_scratch 0
		.amdhsa_float_round_mode_32 0
		.amdhsa_float_round_mode_16_64 0
		.amdhsa_float_denorm_mode_32 3
		.amdhsa_float_denorm_mode_16_64 3
		.amdhsa_dx10_clamp 1
		.amdhsa_ieee_mode 1
		.amdhsa_fp16_overflow 0
		.amdhsa_workgroup_processor_mode 1
		.amdhsa_memory_ordered 1
		.amdhsa_forward_progress 1
		.amdhsa_shared_vgpr_count 0
		.amdhsa_exception_fp_ieee_invalid_op 0
		.amdhsa_exception_fp_denorm_src 0
		.amdhsa_exception_fp_ieee_div_zero 0
		.amdhsa_exception_fp_ieee_overflow 0
		.amdhsa_exception_fp_ieee_underflow 0
		.amdhsa_exception_fp_ieee_inexact 0
		.amdhsa_exception_int_div_zero 0
	.end_amdhsa_kernel
	.section	.text._ZN7rocprim17ROCPRIM_400000_NS6detail17trampoline_kernelINS0_14default_configENS1_36segmented_radix_sort_config_selectorIdlEEZNS1_25segmented_radix_sort_implIS3_Lb0EPKdPdPKlPlN2at6native12_GLOBAL__N_18offset_tEEE10hipError_tPvRmT1_PNSt15iterator_traitsISK_E10value_typeET2_T3_PNSL_ISQ_E10value_typeET4_jRbjT5_SW_jjP12ihipStream_tbEUlT_E_NS1_11comp_targetILNS1_3genE5ELNS1_11target_archE942ELNS1_3gpuE9ELNS1_3repE0EEENS1_30default_config_static_selectorELNS0_4arch9wavefront6targetE0EEEvSK_,"axG",@progbits,_ZN7rocprim17ROCPRIM_400000_NS6detail17trampoline_kernelINS0_14default_configENS1_36segmented_radix_sort_config_selectorIdlEEZNS1_25segmented_radix_sort_implIS3_Lb0EPKdPdPKlPlN2at6native12_GLOBAL__N_18offset_tEEE10hipError_tPvRmT1_PNSt15iterator_traitsISK_E10value_typeET2_T3_PNSL_ISQ_E10value_typeET4_jRbjT5_SW_jjP12ihipStream_tbEUlT_E_NS1_11comp_targetILNS1_3genE5ELNS1_11target_archE942ELNS1_3gpuE9ELNS1_3repE0EEENS1_30default_config_static_selectorELNS0_4arch9wavefront6targetE0EEEvSK_,comdat
.Lfunc_end1214:
	.size	_ZN7rocprim17ROCPRIM_400000_NS6detail17trampoline_kernelINS0_14default_configENS1_36segmented_radix_sort_config_selectorIdlEEZNS1_25segmented_radix_sort_implIS3_Lb0EPKdPdPKlPlN2at6native12_GLOBAL__N_18offset_tEEE10hipError_tPvRmT1_PNSt15iterator_traitsISK_E10value_typeET2_T3_PNSL_ISQ_E10value_typeET4_jRbjT5_SW_jjP12ihipStream_tbEUlT_E_NS1_11comp_targetILNS1_3genE5ELNS1_11target_archE942ELNS1_3gpuE9ELNS1_3repE0EEENS1_30default_config_static_selectorELNS0_4arch9wavefront6targetE0EEEvSK_, .Lfunc_end1214-_ZN7rocprim17ROCPRIM_400000_NS6detail17trampoline_kernelINS0_14default_configENS1_36segmented_radix_sort_config_selectorIdlEEZNS1_25segmented_radix_sort_implIS3_Lb0EPKdPdPKlPlN2at6native12_GLOBAL__N_18offset_tEEE10hipError_tPvRmT1_PNSt15iterator_traitsISK_E10value_typeET2_T3_PNSL_ISQ_E10value_typeET4_jRbjT5_SW_jjP12ihipStream_tbEUlT_E_NS1_11comp_targetILNS1_3genE5ELNS1_11target_archE942ELNS1_3gpuE9ELNS1_3repE0EEENS1_30default_config_static_selectorELNS0_4arch9wavefront6targetE0EEEvSK_
                                        ; -- End function
	.set _ZN7rocprim17ROCPRIM_400000_NS6detail17trampoline_kernelINS0_14default_configENS1_36segmented_radix_sort_config_selectorIdlEEZNS1_25segmented_radix_sort_implIS3_Lb0EPKdPdPKlPlN2at6native12_GLOBAL__N_18offset_tEEE10hipError_tPvRmT1_PNSt15iterator_traitsISK_E10value_typeET2_T3_PNSL_ISQ_E10value_typeET4_jRbjT5_SW_jjP12ihipStream_tbEUlT_E_NS1_11comp_targetILNS1_3genE5ELNS1_11target_archE942ELNS1_3gpuE9ELNS1_3repE0EEENS1_30default_config_static_selectorELNS0_4arch9wavefront6targetE0EEEvSK_.num_vgpr, 0
	.set _ZN7rocprim17ROCPRIM_400000_NS6detail17trampoline_kernelINS0_14default_configENS1_36segmented_radix_sort_config_selectorIdlEEZNS1_25segmented_radix_sort_implIS3_Lb0EPKdPdPKlPlN2at6native12_GLOBAL__N_18offset_tEEE10hipError_tPvRmT1_PNSt15iterator_traitsISK_E10value_typeET2_T3_PNSL_ISQ_E10value_typeET4_jRbjT5_SW_jjP12ihipStream_tbEUlT_E_NS1_11comp_targetILNS1_3genE5ELNS1_11target_archE942ELNS1_3gpuE9ELNS1_3repE0EEENS1_30default_config_static_selectorELNS0_4arch9wavefront6targetE0EEEvSK_.num_agpr, 0
	.set _ZN7rocprim17ROCPRIM_400000_NS6detail17trampoline_kernelINS0_14default_configENS1_36segmented_radix_sort_config_selectorIdlEEZNS1_25segmented_radix_sort_implIS3_Lb0EPKdPdPKlPlN2at6native12_GLOBAL__N_18offset_tEEE10hipError_tPvRmT1_PNSt15iterator_traitsISK_E10value_typeET2_T3_PNSL_ISQ_E10value_typeET4_jRbjT5_SW_jjP12ihipStream_tbEUlT_E_NS1_11comp_targetILNS1_3genE5ELNS1_11target_archE942ELNS1_3gpuE9ELNS1_3repE0EEENS1_30default_config_static_selectorELNS0_4arch9wavefront6targetE0EEEvSK_.numbered_sgpr, 0
	.set _ZN7rocprim17ROCPRIM_400000_NS6detail17trampoline_kernelINS0_14default_configENS1_36segmented_radix_sort_config_selectorIdlEEZNS1_25segmented_radix_sort_implIS3_Lb0EPKdPdPKlPlN2at6native12_GLOBAL__N_18offset_tEEE10hipError_tPvRmT1_PNSt15iterator_traitsISK_E10value_typeET2_T3_PNSL_ISQ_E10value_typeET4_jRbjT5_SW_jjP12ihipStream_tbEUlT_E_NS1_11comp_targetILNS1_3genE5ELNS1_11target_archE942ELNS1_3gpuE9ELNS1_3repE0EEENS1_30default_config_static_selectorELNS0_4arch9wavefront6targetE0EEEvSK_.num_named_barrier, 0
	.set _ZN7rocprim17ROCPRIM_400000_NS6detail17trampoline_kernelINS0_14default_configENS1_36segmented_radix_sort_config_selectorIdlEEZNS1_25segmented_radix_sort_implIS3_Lb0EPKdPdPKlPlN2at6native12_GLOBAL__N_18offset_tEEE10hipError_tPvRmT1_PNSt15iterator_traitsISK_E10value_typeET2_T3_PNSL_ISQ_E10value_typeET4_jRbjT5_SW_jjP12ihipStream_tbEUlT_E_NS1_11comp_targetILNS1_3genE5ELNS1_11target_archE942ELNS1_3gpuE9ELNS1_3repE0EEENS1_30default_config_static_selectorELNS0_4arch9wavefront6targetE0EEEvSK_.private_seg_size, 0
	.set _ZN7rocprim17ROCPRIM_400000_NS6detail17trampoline_kernelINS0_14default_configENS1_36segmented_radix_sort_config_selectorIdlEEZNS1_25segmented_radix_sort_implIS3_Lb0EPKdPdPKlPlN2at6native12_GLOBAL__N_18offset_tEEE10hipError_tPvRmT1_PNSt15iterator_traitsISK_E10value_typeET2_T3_PNSL_ISQ_E10value_typeET4_jRbjT5_SW_jjP12ihipStream_tbEUlT_E_NS1_11comp_targetILNS1_3genE5ELNS1_11target_archE942ELNS1_3gpuE9ELNS1_3repE0EEENS1_30default_config_static_selectorELNS0_4arch9wavefront6targetE0EEEvSK_.uses_vcc, 0
	.set _ZN7rocprim17ROCPRIM_400000_NS6detail17trampoline_kernelINS0_14default_configENS1_36segmented_radix_sort_config_selectorIdlEEZNS1_25segmented_radix_sort_implIS3_Lb0EPKdPdPKlPlN2at6native12_GLOBAL__N_18offset_tEEE10hipError_tPvRmT1_PNSt15iterator_traitsISK_E10value_typeET2_T3_PNSL_ISQ_E10value_typeET4_jRbjT5_SW_jjP12ihipStream_tbEUlT_E_NS1_11comp_targetILNS1_3genE5ELNS1_11target_archE942ELNS1_3gpuE9ELNS1_3repE0EEENS1_30default_config_static_selectorELNS0_4arch9wavefront6targetE0EEEvSK_.uses_flat_scratch, 0
	.set _ZN7rocprim17ROCPRIM_400000_NS6detail17trampoline_kernelINS0_14default_configENS1_36segmented_radix_sort_config_selectorIdlEEZNS1_25segmented_radix_sort_implIS3_Lb0EPKdPdPKlPlN2at6native12_GLOBAL__N_18offset_tEEE10hipError_tPvRmT1_PNSt15iterator_traitsISK_E10value_typeET2_T3_PNSL_ISQ_E10value_typeET4_jRbjT5_SW_jjP12ihipStream_tbEUlT_E_NS1_11comp_targetILNS1_3genE5ELNS1_11target_archE942ELNS1_3gpuE9ELNS1_3repE0EEENS1_30default_config_static_selectorELNS0_4arch9wavefront6targetE0EEEvSK_.has_dyn_sized_stack, 0
	.set _ZN7rocprim17ROCPRIM_400000_NS6detail17trampoline_kernelINS0_14default_configENS1_36segmented_radix_sort_config_selectorIdlEEZNS1_25segmented_radix_sort_implIS3_Lb0EPKdPdPKlPlN2at6native12_GLOBAL__N_18offset_tEEE10hipError_tPvRmT1_PNSt15iterator_traitsISK_E10value_typeET2_T3_PNSL_ISQ_E10value_typeET4_jRbjT5_SW_jjP12ihipStream_tbEUlT_E_NS1_11comp_targetILNS1_3genE5ELNS1_11target_archE942ELNS1_3gpuE9ELNS1_3repE0EEENS1_30default_config_static_selectorELNS0_4arch9wavefront6targetE0EEEvSK_.has_recursion, 0
	.set _ZN7rocprim17ROCPRIM_400000_NS6detail17trampoline_kernelINS0_14default_configENS1_36segmented_radix_sort_config_selectorIdlEEZNS1_25segmented_radix_sort_implIS3_Lb0EPKdPdPKlPlN2at6native12_GLOBAL__N_18offset_tEEE10hipError_tPvRmT1_PNSt15iterator_traitsISK_E10value_typeET2_T3_PNSL_ISQ_E10value_typeET4_jRbjT5_SW_jjP12ihipStream_tbEUlT_E_NS1_11comp_targetILNS1_3genE5ELNS1_11target_archE942ELNS1_3gpuE9ELNS1_3repE0EEENS1_30default_config_static_selectorELNS0_4arch9wavefront6targetE0EEEvSK_.has_indirect_call, 0
	.section	.AMDGPU.csdata,"",@progbits
; Kernel info:
; codeLenInByte = 0
; TotalNumSgprs: 0
; NumVgprs: 0
; ScratchSize: 0
; MemoryBound: 0
; FloatMode: 240
; IeeeMode: 1
; LDSByteSize: 0 bytes/workgroup (compile time only)
; SGPRBlocks: 0
; VGPRBlocks: 0
; NumSGPRsForWavesPerEU: 1
; NumVGPRsForWavesPerEU: 1
; Occupancy: 16
; WaveLimiterHint : 0
; COMPUTE_PGM_RSRC2:SCRATCH_EN: 0
; COMPUTE_PGM_RSRC2:USER_SGPR: 6
; COMPUTE_PGM_RSRC2:TRAP_HANDLER: 0
; COMPUTE_PGM_RSRC2:TGID_X_EN: 1
; COMPUTE_PGM_RSRC2:TGID_Y_EN: 0
; COMPUTE_PGM_RSRC2:TGID_Z_EN: 0
; COMPUTE_PGM_RSRC2:TIDIG_COMP_CNT: 0
	.section	.text._ZN7rocprim17ROCPRIM_400000_NS6detail17trampoline_kernelINS0_14default_configENS1_36segmented_radix_sort_config_selectorIdlEEZNS1_25segmented_radix_sort_implIS3_Lb0EPKdPdPKlPlN2at6native12_GLOBAL__N_18offset_tEEE10hipError_tPvRmT1_PNSt15iterator_traitsISK_E10value_typeET2_T3_PNSL_ISQ_E10value_typeET4_jRbjT5_SW_jjP12ihipStream_tbEUlT_E_NS1_11comp_targetILNS1_3genE4ELNS1_11target_archE910ELNS1_3gpuE8ELNS1_3repE0EEENS1_30default_config_static_selectorELNS0_4arch9wavefront6targetE0EEEvSK_,"axG",@progbits,_ZN7rocprim17ROCPRIM_400000_NS6detail17trampoline_kernelINS0_14default_configENS1_36segmented_radix_sort_config_selectorIdlEEZNS1_25segmented_radix_sort_implIS3_Lb0EPKdPdPKlPlN2at6native12_GLOBAL__N_18offset_tEEE10hipError_tPvRmT1_PNSt15iterator_traitsISK_E10value_typeET2_T3_PNSL_ISQ_E10value_typeET4_jRbjT5_SW_jjP12ihipStream_tbEUlT_E_NS1_11comp_targetILNS1_3genE4ELNS1_11target_archE910ELNS1_3gpuE8ELNS1_3repE0EEENS1_30default_config_static_selectorELNS0_4arch9wavefront6targetE0EEEvSK_,comdat
	.globl	_ZN7rocprim17ROCPRIM_400000_NS6detail17trampoline_kernelINS0_14default_configENS1_36segmented_radix_sort_config_selectorIdlEEZNS1_25segmented_radix_sort_implIS3_Lb0EPKdPdPKlPlN2at6native12_GLOBAL__N_18offset_tEEE10hipError_tPvRmT1_PNSt15iterator_traitsISK_E10value_typeET2_T3_PNSL_ISQ_E10value_typeET4_jRbjT5_SW_jjP12ihipStream_tbEUlT_E_NS1_11comp_targetILNS1_3genE4ELNS1_11target_archE910ELNS1_3gpuE8ELNS1_3repE0EEENS1_30default_config_static_selectorELNS0_4arch9wavefront6targetE0EEEvSK_ ; -- Begin function _ZN7rocprim17ROCPRIM_400000_NS6detail17trampoline_kernelINS0_14default_configENS1_36segmented_radix_sort_config_selectorIdlEEZNS1_25segmented_radix_sort_implIS3_Lb0EPKdPdPKlPlN2at6native12_GLOBAL__N_18offset_tEEE10hipError_tPvRmT1_PNSt15iterator_traitsISK_E10value_typeET2_T3_PNSL_ISQ_E10value_typeET4_jRbjT5_SW_jjP12ihipStream_tbEUlT_E_NS1_11comp_targetILNS1_3genE4ELNS1_11target_archE910ELNS1_3gpuE8ELNS1_3repE0EEENS1_30default_config_static_selectorELNS0_4arch9wavefront6targetE0EEEvSK_
	.p2align	8
	.type	_ZN7rocprim17ROCPRIM_400000_NS6detail17trampoline_kernelINS0_14default_configENS1_36segmented_radix_sort_config_selectorIdlEEZNS1_25segmented_radix_sort_implIS3_Lb0EPKdPdPKlPlN2at6native12_GLOBAL__N_18offset_tEEE10hipError_tPvRmT1_PNSt15iterator_traitsISK_E10value_typeET2_T3_PNSL_ISQ_E10value_typeET4_jRbjT5_SW_jjP12ihipStream_tbEUlT_E_NS1_11comp_targetILNS1_3genE4ELNS1_11target_archE910ELNS1_3gpuE8ELNS1_3repE0EEENS1_30default_config_static_selectorELNS0_4arch9wavefront6targetE0EEEvSK_,@function
_ZN7rocprim17ROCPRIM_400000_NS6detail17trampoline_kernelINS0_14default_configENS1_36segmented_radix_sort_config_selectorIdlEEZNS1_25segmented_radix_sort_implIS3_Lb0EPKdPdPKlPlN2at6native12_GLOBAL__N_18offset_tEEE10hipError_tPvRmT1_PNSt15iterator_traitsISK_E10value_typeET2_T3_PNSL_ISQ_E10value_typeET4_jRbjT5_SW_jjP12ihipStream_tbEUlT_E_NS1_11comp_targetILNS1_3genE4ELNS1_11target_archE910ELNS1_3gpuE8ELNS1_3repE0EEENS1_30default_config_static_selectorELNS0_4arch9wavefront6targetE0EEEvSK_: ; @_ZN7rocprim17ROCPRIM_400000_NS6detail17trampoline_kernelINS0_14default_configENS1_36segmented_radix_sort_config_selectorIdlEEZNS1_25segmented_radix_sort_implIS3_Lb0EPKdPdPKlPlN2at6native12_GLOBAL__N_18offset_tEEE10hipError_tPvRmT1_PNSt15iterator_traitsISK_E10value_typeET2_T3_PNSL_ISQ_E10value_typeET4_jRbjT5_SW_jjP12ihipStream_tbEUlT_E_NS1_11comp_targetILNS1_3genE4ELNS1_11target_archE910ELNS1_3gpuE8ELNS1_3repE0EEENS1_30default_config_static_selectorELNS0_4arch9wavefront6targetE0EEEvSK_
; %bb.0:
	.section	.rodata,"a",@progbits
	.p2align	6, 0x0
	.amdhsa_kernel _ZN7rocprim17ROCPRIM_400000_NS6detail17trampoline_kernelINS0_14default_configENS1_36segmented_radix_sort_config_selectorIdlEEZNS1_25segmented_radix_sort_implIS3_Lb0EPKdPdPKlPlN2at6native12_GLOBAL__N_18offset_tEEE10hipError_tPvRmT1_PNSt15iterator_traitsISK_E10value_typeET2_T3_PNSL_ISQ_E10value_typeET4_jRbjT5_SW_jjP12ihipStream_tbEUlT_E_NS1_11comp_targetILNS1_3genE4ELNS1_11target_archE910ELNS1_3gpuE8ELNS1_3repE0EEENS1_30default_config_static_selectorELNS0_4arch9wavefront6targetE0EEEvSK_
		.amdhsa_group_segment_fixed_size 0
		.amdhsa_private_segment_fixed_size 0
		.amdhsa_kernarg_size 96
		.amdhsa_user_sgpr_count 6
		.amdhsa_user_sgpr_private_segment_buffer 1
		.amdhsa_user_sgpr_dispatch_ptr 0
		.amdhsa_user_sgpr_queue_ptr 0
		.amdhsa_user_sgpr_kernarg_segment_ptr 1
		.amdhsa_user_sgpr_dispatch_id 0
		.amdhsa_user_sgpr_flat_scratch_init 0
		.amdhsa_user_sgpr_private_segment_size 0
		.amdhsa_wavefront_size32 1
		.amdhsa_uses_dynamic_stack 0
		.amdhsa_system_sgpr_private_segment_wavefront_offset 0
		.amdhsa_system_sgpr_workgroup_id_x 1
		.amdhsa_system_sgpr_workgroup_id_y 0
		.amdhsa_system_sgpr_workgroup_id_z 0
		.amdhsa_system_sgpr_workgroup_info 0
		.amdhsa_system_vgpr_workitem_id 0
		.amdhsa_next_free_vgpr 1
		.amdhsa_next_free_sgpr 1
		.amdhsa_reserve_vcc 0
		.amdhsa_reserve_flat_scratch 0
		.amdhsa_float_round_mode_32 0
		.amdhsa_float_round_mode_16_64 0
		.amdhsa_float_denorm_mode_32 3
		.amdhsa_float_denorm_mode_16_64 3
		.amdhsa_dx10_clamp 1
		.amdhsa_ieee_mode 1
		.amdhsa_fp16_overflow 0
		.amdhsa_workgroup_processor_mode 1
		.amdhsa_memory_ordered 1
		.amdhsa_forward_progress 1
		.amdhsa_shared_vgpr_count 0
		.amdhsa_exception_fp_ieee_invalid_op 0
		.amdhsa_exception_fp_denorm_src 0
		.amdhsa_exception_fp_ieee_div_zero 0
		.amdhsa_exception_fp_ieee_overflow 0
		.amdhsa_exception_fp_ieee_underflow 0
		.amdhsa_exception_fp_ieee_inexact 0
		.amdhsa_exception_int_div_zero 0
	.end_amdhsa_kernel
	.section	.text._ZN7rocprim17ROCPRIM_400000_NS6detail17trampoline_kernelINS0_14default_configENS1_36segmented_radix_sort_config_selectorIdlEEZNS1_25segmented_radix_sort_implIS3_Lb0EPKdPdPKlPlN2at6native12_GLOBAL__N_18offset_tEEE10hipError_tPvRmT1_PNSt15iterator_traitsISK_E10value_typeET2_T3_PNSL_ISQ_E10value_typeET4_jRbjT5_SW_jjP12ihipStream_tbEUlT_E_NS1_11comp_targetILNS1_3genE4ELNS1_11target_archE910ELNS1_3gpuE8ELNS1_3repE0EEENS1_30default_config_static_selectorELNS0_4arch9wavefront6targetE0EEEvSK_,"axG",@progbits,_ZN7rocprim17ROCPRIM_400000_NS6detail17trampoline_kernelINS0_14default_configENS1_36segmented_radix_sort_config_selectorIdlEEZNS1_25segmented_radix_sort_implIS3_Lb0EPKdPdPKlPlN2at6native12_GLOBAL__N_18offset_tEEE10hipError_tPvRmT1_PNSt15iterator_traitsISK_E10value_typeET2_T3_PNSL_ISQ_E10value_typeET4_jRbjT5_SW_jjP12ihipStream_tbEUlT_E_NS1_11comp_targetILNS1_3genE4ELNS1_11target_archE910ELNS1_3gpuE8ELNS1_3repE0EEENS1_30default_config_static_selectorELNS0_4arch9wavefront6targetE0EEEvSK_,comdat
.Lfunc_end1215:
	.size	_ZN7rocprim17ROCPRIM_400000_NS6detail17trampoline_kernelINS0_14default_configENS1_36segmented_radix_sort_config_selectorIdlEEZNS1_25segmented_radix_sort_implIS3_Lb0EPKdPdPKlPlN2at6native12_GLOBAL__N_18offset_tEEE10hipError_tPvRmT1_PNSt15iterator_traitsISK_E10value_typeET2_T3_PNSL_ISQ_E10value_typeET4_jRbjT5_SW_jjP12ihipStream_tbEUlT_E_NS1_11comp_targetILNS1_3genE4ELNS1_11target_archE910ELNS1_3gpuE8ELNS1_3repE0EEENS1_30default_config_static_selectorELNS0_4arch9wavefront6targetE0EEEvSK_, .Lfunc_end1215-_ZN7rocprim17ROCPRIM_400000_NS6detail17trampoline_kernelINS0_14default_configENS1_36segmented_radix_sort_config_selectorIdlEEZNS1_25segmented_radix_sort_implIS3_Lb0EPKdPdPKlPlN2at6native12_GLOBAL__N_18offset_tEEE10hipError_tPvRmT1_PNSt15iterator_traitsISK_E10value_typeET2_T3_PNSL_ISQ_E10value_typeET4_jRbjT5_SW_jjP12ihipStream_tbEUlT_E_NS1_11comp_targetILNS1_3genE4ELNS1_11target_archE910ELNS1_3gpuE8ELNS1_3repE0EEENS1_30default_config_static_selectorELNS0_4arch9wavefront6targetE0EEEvSK_
                                        ; -- End function
	.set _ZN7rocprim17ROCPRIM_400000_NS6detail17trampoline_kernelINS0_14default_configENS1_36segmented_radix_sort_config_selectorIdlEEZNS1_25segmented_radix_sort_implIS3_Lb0EPKdPdPKlPlN2at6native12_GLOBAL__N_18offset_tEEE10hipError_tPvRmT1_PNSt15iterator_traitsISK_E10value_typeET2_T3_PNSL_ISQ_E10value_typeET4_jRbjT5_SW_jjP12ihipStream_tbEUlT_E_NS1_11comp_targetILNS1_3genE4ELNS1_11target_archE910ELNS1_3gpuE8ELNS1_3repE0EEENS1_30default_config_static_selectorELNS0_4arch9wavefront6targetE0EEEvSK_.num_vgpr, 0
	.set _ZN7rocprim17ROCPRIM_400000_NS6detail17trampoline_kernelINS0_14default_configENS1_36segmented_radix_sort_config_selectorIdlEEZNS1_25segmented_radix_sort_implIS3_Lb0EPKdPdPKlPlN2at6native12_GLOBAL__N_18offset_tEEE10hipError_tPvRmT1_PNSt15iterator_traitsISK_E10value_typeET2_T3_PNSL_ISQ_E10value_typeET4_jRbjT5_SW_jjP12ihipStream_tbEUlT_E_NS1_11comp_targetILNS1_3genE4ELNS1_11target_archE910ELNS1_3gpuE8ELNS1_3repE0EEENS1_30default_config_static_selectorELNS0_4arch9wavefront6targetE0EEEvSK_.num_agpr, 0
	.set _ZN7rocprim17ROCPRIM_400000_NS6detail17trampoline_kernelINS0_14default_configENS1_36segmented_radix_sort_config_selectorIdlEEZNS1_25segmented_radix_sort_implIS3_Lb0EPKdPdPKlPlN2at6native12_GLOBAL__N_18offset_tEEE10hipError_tPvRmT1_PNSt15iterator_traitsISK_E10value_typeET2_T3_PNSL_ISQ_E10value_typeET4_jRbjT5_SW_jjP12ihipStream_tbEUlT_E_NS1_11comp_targetILNS1_3genE4ELNS1_11target_archE910ELNS1_3gpuE8ELNS1_3repE0EEENS1_30default_config_static_selectorELNS0_4arch9wavefront6targetE0EEEvSK_.numbered_sgpr, 0
	.set _ZN7rocprim17ROCPRIM_400000_NS6detail17trampoline_kernelINS0_14default_configENS1_36segmented_radix_sort_config_selectorIdlEEZNS1_25segmented_radix_sort_implIS3_Lb0EPKdPdPKlPlN2at6native12_GLOBAL__N_18offset_tEEE10hipError_tPvRmT1_PNSt15iterator_traitsISK_E10value_typeET2_T3_PNSL_ISQ_E10value_typeET4_jRbjT5_SW_jjP12ihipStream_tbEUlT_E_NS1_11comp_targetILNS1_3genE4ELNS1_11target_archE910ELNS1_3gpuE8ELNS1_3repE0EEENS1_30default_config_static_selectorELNS0_4arch9wavefront6targetE0EEEvSK_.num_named_barrier, 0
	.set _ZN7rocprim17ROCPRIM_400000_NS6detail17trampoline_kernelINS0_14default_configENS1_36segmented_radix_sort_config_selectorIdlEEZNS1_25segmented_radix_sort_implIS3_Lb0EPKdPdPKlPlN2at6native12_GLOBAL__N_18offset_tEEE10hipError_tPvRmT1_PNSt15iterator_traitsISK_E10value_typeET2_T3_PNSL_ISQ_E10value_typeET4_jRbjT5_SW_jjP12ihipStream_tbEUlT_E_NS1_11comp_targetILNS1_3genE4ELNS1_11target_archE910ELNS1_3gpuE8ELNS1_3repE0EEENS1_30default_config_static_selectorELNS0_4arch9wavefront6targetE0EEEvSK_.private_seg_size, 0
	.set _ZN7rocprim17ROCPRIM_400000_NS6detail17trampoline_kernelINS0_14default_configENS1_36segmented_radix_sort_config_selectorIdlEEZNS1_25segmented_radix_sort_implIS3_Lb0EPKdPdPKlPlN2at6native12_GLOBAL__N_18offset_tEEE10hipError_tPvRmT1_PNSt15iterator_traitsISK_E10value_typeET2_T3_PNSL_ISQ_E10value_typeET4_jRbjT5_SW_jjP12ihipStream_tbEUlT_E_NS1_11comp_targetILNS1_3genE4ELNS1_11target_archE910ELNS1_3gpuE8ELNS1_3repE0EEENS1_30default_config_static_selectorELNS0_4arch9wavefront6targetE0EEEvSK_.uses_vcc, 0
	.set _ZN7rocprim17ROCPRIM_400000_NS6detail17trampoline_kernelINS0_14default_configENS1_36segmented_radix_sort_config_selectorIdlEEZNS1_25segmented_radix_sort_implIS3_Lb0EPKdPdPKlPlN2at6native12_GLOBAL__N_18offset_tEEE10hipError_tPvRmT1_PNSt15iterator_traitsISK_E10value_typeET2_T3_PNSL_ISQ_E10value_typeET4_jRbjT5_SW_jjP12ihipStream_tbEUlT_E_NS1_11comp_targetILNS1_3genE4ELNS1_11target_archE910ELNS1_3gpuE8ELNS1_3repE0EEENS1_30default_config_static_selectorELNS0_4arch9wavefront6targetE0EEEvSK_.uses_flat_scratch, 0
	.set _ZN7rocprim17ROCPRIM_400000_NS6detail17trampoline_kernelINS0_14default_configENS1_36segmented_radix_sort_config_selectorIdlEEZNS1_25segmented_radix_sort_implIS3_Lb0EPKdPdPKlPlN2at6native12_GLOBAL__N_18offset_tEEE10hipError_tPvRmT1_PNSt15iterator_traitsISK_E10value_typeET2_T3_PNSL_ISQ_E10value_typeET4_jRbjT5_SW_jjP12ihipStream_tbEUlT_E_NS1_11comp_targetILNS1_3genE4ELNS1_11target_archE910ELNS1_3gpuE8ELNS1_3repE0EEENS1_30default_config_static_selectorELNS0_4arch9wavefront6targetE0EEEvSK_.has_dyn_sized_stack, 0
	.set _ZN7rocprim17ROCPRIM_400000_NS6detail17trampoline_kernelINS0_14default_configENS1_36segmented_radix_sort_config_selectorIdlEEZNS1_25segmented_radix_sort_implIS3_Lb0EPKdPdPKlPlN2at6native12_GLOBAL__N_18offset_tEEE10hipError_tPvRmT1_PNSt15iterator_traitsISK_E10value_typeET2_T3_PNSL_ISQ_E10value_typeET4_jRbjT5_SW_jjP12ihipStream_tbEUlT_E_NS1_11comp_targetILNS1_3genE4ELNS1_11target_archE910ELNS1_3gpuE8ELNS1_3repE0EEENS1_30default_config_static_selectorELNS0_4arch9wavefront6targetE0EEEvSK_.has_recursion, 0
	.set _ZN7rocprim17ROCPRIM_400000_NS6detail17trampoline_kernelINS0_14default_configENS1_36segmented_radix_sort_config_selectorIdlEEZNS1_25segmented_radix_sort_implIS3_Lb0EPKdPdPKlPlN2at6native12_GLOBAL__N_18offset_tEEE10hipError_tPvRmT1_PNSt15iterator_traitsISK_E10value_typeET2_T3_PNSL_ISQ_E10value_typeET4_jRbjT5_SW_jjP12ihipStream_tbEUlT_E_NS1_11comp_targetILNS1_3genE4ELNS1_11target_archE910ELNS1_3gpuE8ELNS1_3repE0EEENS1_30default_config_static_selectorELNS0_4arch9wavefront6targetE0EEEvSK_.has_indirect_call, 0
	.section	.AMDGPU.csdata,"",@progbits
; Kernel info:
; codeLenInByte = 0
; TotalNumSgprs: 0
; NumVgprs: 0
; ScratchSize: 0
; MemoryBound: 0
; FloatMode: 240
; IeeeMode: 1
; LDSByteSize: 0 bytes/workgroup (compile time only)
; SGPRBlocks: 0
; VGPRBlocks: 0
; NumSGPRsForWavesPerEU: 1
; NumVGPRsForWavesPerEU: 1
; Occupancy: 16
; WaveLimiterHint : 0
; COMPUTE_PGM_RSRC2:SCRATCH_EN: 0
; COMPUTE_PGM_RSRC2:USER_SGPR: 6
; COMPUTE_PGM_RSRC2:TRAP_HANDLER: 0
; COMPUTE_PGM_RSRC2:TGID_X_EN: 1
; COMPUTE_PGM_RSRC2:TGID_Y_EN: 0
; COMPUTE_PGM_RSRC2:TGID_Z_EN: 0
; COMPUTE_PGM_RSRC2:TIDIG_COMP_CNT: 0
	.section	.text._ZN7rocprim17ROCPRIM_400000_NS6detail17trampoline_kernelINS0_14default_configENS1_36segmented_radix_sort_config_selectorIdlEEZNS1_25segmented_radix_sort_implIS3_Lb0EPKdPdPKlPlN2at6native12_GLOBAL__N_18offset_tEEE10hipError_tPvRmT1_PNSt15iterator_traitsISK_E10value_typeET2_T3_PNSL_ISQ_E10value_typeET4_jRbjT5_SW_jjP12ihipStream_tbEUlT_E_NS1_11comp_targetILNS1_3genE3ELNS1_11target_archE908ELNS1_3gpuE7ELNS1_3repE0EEENS1_30default_config_static_selectorELNS0_4arch9wavefront6targetE0EEEvSK_,"axG",@progbits,_ZN7rocprim17ROCPRIM_400000_NS6detail17trampoline_kernelINS0_14default_configENS1_36segmented_radix_sort_config_selectorIdlEEZNS1_25segmented_radix_sort_implIS3_Lb0EPKdPdPKlPlN2at6native12_GLOBAL__N_18offset_tEEE10hipError_tPvRmT1_PNSt15iterator_traitsISK_E10value_typeET2_T3_PNSL_ISQ_E10value_typeET4_jRbjT5_SW_jjP12ihipStream_tbEUlT_E_NS1_11comp_targetILNS1_3genE3ELNS1_11target_archE908ELNS1_3gpuE7ELNS1_3repE0EEENS1_30default_config_static_selectorELNS0_4arch9wavefront6targetE0EEEvSK_,comdat
	.globl	_ZN7rocprim17ROCPRIM_400000_NS6detail17trampoline_kernelINS0_14default_configENS1_36segmented_radix_sort_config_selectorIdlEEZNS1_25segmented_radix_sort_implIS3_Lb0EPKdPdPKlPlN2at6native12_GLOBAL__N_18offset_tEEE10hipError_tPvRmT1_PNSt15iterator_traitsISK_E10value_typeET2_T3_PNSL_ISQ_E10value_typeET4_jRbjT5_SW_jjP12ihipStream_tbEUlT_E_NS1_11comp_targetILNS1_3genE3ELNS1_11target_archE908ELNS1_3gpuE7ELNS1_3repE0EEENS1_30default_config_static_selectorELNS0_4arch9wavefront6targetE0EEEvSK_ ; -- Begin function _ZN7rocprim17ROCPRIM_400000_NS6detail17trampoline_kernelINS0_14default_configENS1_36segmented_radix_sort_config_selectorIdlEEZNS1_25segmented_radix_sort_implIS3_Lb0EPKdPdPKlPlN2at6native12_GLOBAL__N_18offset_tEEE10hipError_tPvRmT1_PNSt15iterator_traitsISK_E10value_typeET2_T3_PNSL_ISQ_E10value_typeET4_jRbjT5_SW_jjP12ihipStream_tbEUlT_E_NS1_11comp_targetILNS1_3genE3ELNS1_11target_archE908ELNS1_3gpuE7ELNS1_3repE0EEENS1_30default_config_static_selectorELNS0_4arch9wavefront6targetE0EEEvSK_
	.p2align	8
	.type	_ZN7rocprim17ROCPRIM_400000_NS6detail17trampoline_kernelINS0_14default_configENS1_36segmented_radix_sort_config_selectorIdlEEZNS1_25segmented_radix_sort_implIS3_Lb0EPKdPdPKlPlN2at6native12_GLOBAL__N_18offset_tEEE10hipError_tPvRmT1_PNSt15iterator_traitsISK_E10value_typeET2_T3_PNSL_ISQ_E10value_typeET4_jRbjT5_SW_jjP12ihipStream_tbEUlT_E_NS1_11comp_targetILNS1_3genE3ELNS1_11target_archE908ELNS1_3gpuE7ELNS1_3repE0EEENS1_30default_config_static_selectorELNS0_4arch9wavefront6targetE0EEEvSK_,@function
_ZN7rocprim17ROCPRIM_400000_NS6detail17trampoline_kernelINS0_14default_configENS1_36segmented_radix_sort_config_selectorIdlEEZNS1_25segmented_radix_sort_implIS3_Lb0EPKdPdPKlPlN2at6native12_GLOBAL__N_18offset_tEEE10hipError_tPvRmT1_PNSt15iterator_traitsISK_E10value_typeET2_T3_PNSL_ISQ_E10value_typeET4_jRbjT5_SW_jjP12ihipStream_tbEUlT_E_NS1_11comp_targetILNS1_3genE3ELNS1_11target_archE908ELNS1_3gpuE7ELNS1_3repE0EEENS1_30default_config_static_selectorELNS0_4arch9wavefront6targetE0EEEvSK_: ; @_ZN7rocprim17ROCPRIM_400000_NS6detail17trampoline_kernelINS0_14default_configENS1_36segmented_radix_sort_config_selectorIdlEEZNS1_25segmented_radix_sort_implIS3_Lb0EPKdPdPKlPlN2at6native12_GLOBAL__N_18offset_tEEE10hipError_tPvRmT1_PNSt15iterator_traitsISK_E10value_typeET2_T3_PNSL_ISQ_E10value_typeET4_jRbjT5_SW_jjP12ihipStream_tbEUlT_E_NS1_11comp_targetILNS1_3genE3ELNS1_11target_archE908ELNS1_3gpuE7ELNS1_3repE0EEENS1_30default_config_static_selectorELNS0_4arch9wavefront6targetE0EEEvSK_
; %bb.0:
	.section	.rodata,"a",@progbits
	.p2align	6, 0x0
	.amdhsa_kernel _ZN7rocprim17ROCPRIM_400000_NS6detail17trampoline_kernelINS0_14default_configENS1_36segmented_radix_sort_config_selectorIdlEEZNS1_25segmented_radix_sort_implIS3_Lb0EPKdPdPKlPlN2at6native12_GLOBAL__N_18offset_tEEE10hipError_tPvRmT1_PNSt15iterator_traitsISK_E10value_typeET2_T3_PNSL_ISQ_E10value_typeET4_jRbjT5_SW_jjP12ihipStream_tbEUlT_E_NS1_11comp_targetILNS1_3genE3ELNS1_11target_archE908ELNS1_3gpuE7ELNS1_3repE0EEENS1_30default_config_static_selectorELNS0_4arch9wavefront6targetE0EEEvSK_
		.amdhsa_group_segment_fixed_size 0
		.amdhsa_private_segment_fixed_size 0
		.amdhsa_kernarg_size 96
		.amdhsa_user_sgpr_count 6
		.amdhsa_user_sgpr_private_segment_buffer 1
		.amdhsa_user_sgpr_dispatch_ptr 0
		.amdhsa_user_sgpr_queue_ptr 0
		.amdhsa_user_sgpr_kernarg_segment_ptr 1
		.amdhsa_user_sgpr_dispatch_id 0
		.amdhsa_user_sgpr_flat_scratch_init 0
		.amdhsa_user_sgpr_private_segment_size 0
		.amdhsa_wavefront_size32 1
		.amdhsa_uses_dynamic_stack 0
		.amdhsa_system_sgpr_private_segment_wavefront_offset 0
		.amdhsa_system_sgpr_workgroup_id_x 1
		.amdhsa_system_sgpr_workgroup_id_y 0
		.amdhsa_system_sgpr_workgroup_id_z 0
		.amdhsa_system_sgpr_workgroup_info 0
		.amdhsa_system_vgpr_workitem_id 0
		.amdhsa_next_free_vgpr 1
		.amdhsa_next_free_sgpr 1
		.amdhsa_reserve_vcc 0
		.amdhsa_reserve_flat_scratch 0
		.amdhsa_float_round_mode_32 0
		.amdhsa_float_round_mode_16_64 0
		.amdhsa_float_denorm_mode_32 3
		.amdhsa_float_denorm_mode_16_64 3
		.amdhsa_dx10_clamp 1
		.amdhsa_ieee_mode 1
		.amdhsa_fp16_overflow 0
		.amdhsa_workgroup_processor_mode 1
		.amdhsa_memory_ordered 1
		.amdhsa_forward_progress 1
		.amdhsa_shared_vgpr_count 0
		.amdhsa_exception_fp_ieee_invalid_op 0
		.amdhsa_exception_fp_denorm_src 0
		.amdhsa_exception_fp_ieee_div_zero 0
		.amdhsa_exception_fp_ieee_overflow 0
		.amdhsa_exception_fp_ieee_underflow 0
		.amdhsa_exception_fp_ieee_inexact 0
		.amdhsa_exception_int_div_zero 0
	.end_amdhsa_kernel
	.section	.text._ZN7rocprim17ROCPRIM_400000_NS6detail17trampoline_kernelINS0_14default_configENS1_36segmented_radix_sort_config_selectorIdlEEZNS1_25segmented_radix_sort_implIS3_Lb0EPKdPdPKlPlN2at6native12_GLOBAL__N_18offset_tEEE10hipError_tPvRmT1_PNSt15iterator_traitsISK_E10value_typeET2_T3_PNSL_ISQ_E10value_typeET4_jRbjT5_SW_jjP12ihipStream_tbEUlT_E_NS1_11comp_targetILNS1_3genE3ELNS1_11target_archE908ELNS1_3gpuE7ELNS1_3repE0EEENS1_30default_config_static_selectorELNS0_4arch9wavefront6targetE0EEEvSK_,"axG",@progbits,_ZN7rocprim17ROCPRIM_400000_NS6detail17trampoline_kernelINS0_14default_configENS1_36segmented_radix_sort_config_selectorIdlEEZNS1_25segmented_radix_sort_implIS3_Lb0EPKdPdPKlPlN2at6native12_GLOBAL__N_18offset_tEEE10hipError_tPvRmT1_PNSt15iterator_traitsISK_E10value_typeET2_T3_PNSL_ISQ_E10value_typeET4_jRbjT5_SW_jjP12ihipStream_tbEUlT_E_NS1_11comp_targetILNS1_3genE3ELNS1_11target_archE908ELNS1_3gpuE7ELNS1_3repE0EEENS1_30default_config_static_selectorELNS0_4arch9wavefront6targetE0EEEvSK_,comdat
.Lfunc_end1216:
	.size	_ZN7rocprim17ROCPRIM_400000_NS6detail17trampoline_kernelINS0_14default_configENS1_36segmented_radix_sort_config_selectorIdlEEZNS1_25segmented_radix_sort_implIS3_Lb0EPKdPdPKlPlN2at6native12_GLOBAL__N_18offset_tEEE10hipError_tPvRmT1_PNSt15iterator_traitsISK_E10value_typeET2_T3_PNSL_ISQ_E10value_typeET4_jRbjT5_SW_jjP12ihipStream_tbEUlT_E_NS1_11comp_targetILNS1_3genE3ELNS1_11target_archE908ELNS1_3gpuE7ELNS1_3repE0EEENS1_30default_config_static_selectorELNS0_4arch9wavefront6targetE0EEEvSK_, .Lfunc_end1216-_ZN7rocprim17ROCPRIM_400000_NS6detail17trampoline_kernelINS0_14default_configENS1_36segmented_radix_sort_config_selectorIdlEEZNS1_25segmented_radix_sort_implIS3_Lb0EPKdPdPKlPlN2at6native12_GLOBAL__N_18offset_tEEE10hipError_tPvRmT1_PNSt15iterator_traitsISK_E10value_typeET2_T3_PNSL_ISQ_E10value_typeET4_jRbjT5_SW_jjP12ihipStream_tbEUlT_E_NS1_11comp_targetILNS1_3genE3ELNS1_11target_archE908ELNS1_3gpuE7ELNS1_3repE0EEENS1_30default_config_static_selectorELNS0_4arch9wavefront6targetE0EEEvSK_
                                        ; -- End function
	.set _ZN7rocprim17ROCPRIM_400000_NS6detail17trampoline_kernelINS0_14default_configENS1_36segmented_radix_sort_config_selectorIdlEEZNS1_25segmented_radix_sort_implIS3_Lb0EPKdPdPKlPlN2at6native12_GLOBAL__N_18offset_tEEE10hipError_tPvRmT1_PNSt15iterator_traitsISK_E10value_typeET2_T3_PNSL_ISQ_E10value_typeET4_jRbjT5_SW_jjP12ihipStream_tbEUlT_E_NS1_11comp_targetILNS1_3genE3ELNS1_11target_archE908ELNS1_3gpuE7ELNS1_3repE0EEENS1_30default_config_static_selectorELNS0_4arch9wavefront6targetE0EEEvSK_.num_vgpr, 0
	.set _ZN7rocprim17ROCPRIM_400000_NS6detail17trampoline_kernelINS0_14default_configENS1_36segmented_radix_sort_config_selectorIdlEEZNS1_25segmented_radix_sort_implIS3_Lb0EPKdPdPKlPlN2at6native12_GLOBAL__N_18offset_tEEE10hipError_tPvRmT1_PNSt15iterator_traitsISK_E10value_typeET2_T3_PNSL_ISQ_E10value_typeET4_jRbjT5_SW_jjP12ihipStream_tbEUlT_E_NS1_11comp_targetILNS1_3genE3ELNS1_11target_archE908ELNS1_3gpuE7ELNS1_3repE0EEENS1_30default_config_static_selectorELNS0_4arch9wavefront6targetE0EEEvSK_.num_agpr, 0
	.set _ZN7rocprim17ROCPRIM_400000_NS6detail17trampoline_kernelINS0_14default_configENS1_36segmented_radix_sort_config_selectorIdlEEZNS1_25segmented_radix_sort_implIS3_Lb0EPKdPdPKlPlN2at6native12_GLOBAL__N_18offset_tEEE10hipError_tPvRmT1_PNSt15iterator_traitsISK_E10value_typeET2_T3_PNSL_ISQ_E10value_typeET4_jRbjT5_SW_jjP12ihipStream_tbEUlT_E_NS1_11comp_targetILNS1_3genE3ELNS1_11target_archE908ELNS1_3gpuE7ELNS1_3repE0EEENS1_30default_config_static_selectorELNS0_4arch9wavefront6targetE0EEEvSK_.numbered_sgpr, 0
	.set _ZN7rocprim17ROCPRIM_400000_NS6detail17trampoline_kernelINS0_14default_configENS1_36segmented_radix_sort_config_selectorIdlEEZNS1_25segmented_radix_sort_implIS3_Lb0EPKdPdPKlPlN2at6native12_GLOBAL__N_18offset_tEEE10hipError_tPvRmT1_PNSt15iterator_traitsISK_E10value_typeET2_T3_PNSL_ISQ_E10value_typeET4_jRbjT5_SW_jjP12ihipStream_tbEUlT_E_NS1_11comp_targetILNS1_3genE3ELNS1_11target_archE908ELNS1_3gpuE7ELNS1_3repE0EEENS1_30default_config_static_selectorELNS0_4arch9wavefront6targetE0EEEvSK_.num_named_barrier, 0
	.set _ZN7rocprim17ROCPRIM_400000_NS6detail17trampoline_kernelINS0_14default_configENS1_36segmented_radix_sort_config_selectorIdlEEZNS1_25segmented_radix_sort_implIS3_Lb0EPKdPdPKlPlN2at6native12_GLOBAL__N_18offset_tEEE10hipError_tPvRmT1_PNSt15iterator_traitsISK_E10value_typeET2_T3_PNSL_ISQ_E10value_typeET4_jRbjT5_SW_jjP12ihipStream_tbEUlT_E_NS1_11comp_targetILNS1_3genE3ELNS1_11target_archE908ELNS1_3gpuE7ELNS1_3repE0EEENS1_30default_config_static_selectorELNS0_4arch9wavefront6targetE0EEEvSK_.private_seg_size, 0
	.set _ZN7rocprim17ROCPRIM_400000_NS6detail17trampoline_kernelINS0_14default_configENS1_36segmented_radix_sort_config_selectorIdlEEZNS1_25segmented_radix_sort_implIS3_Lb0EPKdPdPKlPlN2at6native12_GLOBAL__N_18offset_tEEE10hipError_tPvRmT1_PNSt15iterator_traitsISK_E10value_typeET2_T3_PNSL_ISQ_E10value_typeET4_jRbjT5_SW_jjP12ihipStream_tbEUlT_E_NS1_11comp_targetILNS1_3genE3ELNS1_11target_archE908ELNS1_3gpuE7ELNS1_3repE0EEENS1_30default_config_static_selectorELNS0_4arch9wavefront6targetE0EEEvSK_.uses_vcc, 0
	.set _ZN7rocprim17ROCPRIM_400000_NS6detail17trampoline_kernelINS0_14default_configENS1_36segmented_radix_sort_config_selectorIdlEEZNS1_25segmented_radix_sort_implIS3_Lb0EPKdPdPKlPlN2at6native12_GLOBAL__N_18offset_tEEE10hipError_tPvRmT1_PNSt15iterator_traitsISK_E10value_typeET2_T3_PNSL_ISQ_E10value_typeET4_jRbjT5_SW_jjP12ihipStream_tbEUlT_E_NS1_11comp_targetILNS1_3genE3ELNS1_11target_archE908ELNS1_3gpuE7ELNS1_3repE0EEENS1_30default_config_static_selectorELNS0_4arch9wavefront6targetE0EEEvSK_.uses_flat_scratch, 0
	.set _ZN7rocprim17ROCPRIM_400000_NS6detail17trampoline_kernelINS0_14default_configENS1_36segmented_radix_sort_config_selectorIdlEEZNS1_25segmented_radix_sort_implIS3_Lb0EPKdPdPKlPlN2at6native12_GLOBAL__N_18offset_tEEE10hipError_tPvRmT1_PNSt15iterator_traitsISK_E10value_typeET2_T3_PNSL_ISQ_E10value_typeET4_jRbjT5_SW_jjP12ihipStream_tbEUlT_E_NS1_11comp_targetILNS1_3genE3ELNS1_11target_archE908ELNS1_3gpuE7ELNS1_3repE0EEENS1_30default_config_static_selectorELNS0_4arch9wavefront6targetE0EEEvSK_.has_dyn_sized_stack, 0
	.set _ZN7rocprim17ROCPRIM_400000_NS6detail17trampoline_kernelINS0_14default_configENS1_36segmented_radix_sort_config_selectorIdlEEZNS1_25segmented_radix_sort_implIS3_Lb0EPKdPdPKlPlN2at6native12_GLOBAL__N_18offset_tEEE10hipError_tPvRmT1_PNSt15iterator_traitsISK_E10value_typeET2_T3_PNSL_ISQ_E10value_typeET4_jRbjT5_SW_jjP12ihipStream_tbEUlT_E_NS1_11comp_targetILNS1_3genE3ELNS1_11target_archE908ELNS1_3gpuE7ELNS1_3repE0EEENS1_30default_config_static_selectorELNS0_4arch9wavefront6targetE0EEEvSK_.has_recursion, 0
	.set _ZN7rocprim17ROCPRIM_400000_NS6detail17trampoline_kernelINS0_14default_configENS1_36segmented_radix_sort_config_selectorIdlEEZNS1_25segmented_radix_sort_implIS3_Lb0EPKdPdPKlPlN2at6native12_GLOBAL__N_18offset_tEEE10hipError_tPvRmT1_PNSt15iterator_traitsISK_E10value_typeET2_T3_PNSL_ISQ_E10value_typeET4_jRbjT5_SW_jjP12ihipStream_tbEUlT_E_NS1_11comp_targetILNS1_3genE3ELNS1_11target_archE908ELNS1_3gpuE7ELNS1_3repE0EEENS1_30default_config_static_selectorELNS0_4arch9wavefront6targetE0EEEvSK_.has_indirect_call, 0
	.section	.AMDGPU.csdata,"",@progbits
; Kernel info:
; codeLenInByte = 0
; TotalNumSgprs: 0
; NumVgprs: 0
; ScratchSize: 0
; MemoryBound: 0
; FloatMode: 240
; IeeeMode: 1
; LDSByteSize: 0 bytes/workgroup (compile time only)
; SGPRBlocks: 0
; VGPRBlocks: 0
; NumSGPRsForWavesPerEU: 1
; NumVGPRsForWavesPerEU: 1
; Occupancy: 16
; WaveLimiterHint : 0
; COMPUTE_PGM_RSRC2:SCRATCH_EN: 0
; COMPUTE_PGM_RSRC2:USER_SGPR: 6
; COMPUTE_PGM_RSRC2:TRAP_HANDLER: 0
; COMPUTE_PGM_RSRC2:TGID_X_EN: 1
; COMPUTE_PGM_RSRC2:TGID_Y_EN: 0
; COMPUTE_PGM_RSRC2:TGID_Z_EN: 0
; COMPUTE_PGM_RSRC2:TIDIG_COMP_CNT: 0
	.section	.text._ZN7rocprim17ROCPRIM_400000_NS6detail17trampoline_kernelINS0_14default_configENS1_36segmented_radix_sort_config_selectorIdlEEZNS1_25segmented_radix_sort_implIS3_Lb0EPKdPdPKlPlN2at6native12_GLOBAL__N_18offset_tEEE10hipError_tPvRmT1_PNSt15iterator_traitsISK_E10value_typeET2_T3_PNSL_ISQ_E10value_typeET4_jRbjT5_SW_jjP12ihipStream_tbEUlT_E_NS1_11comp_targetILNS1_3genE2ELNS1_11target_archE906ELNS1_3gpuE6ELNS1_3repE0EEENS1_30default_config_static_selectorELNS0_4arch9wavefront6targetE0EEEvSK_,"axG",@progbits,_ZN7rocprim17ROCPRIM_400000_NS6detail17trampoline_kernelINS0_14default_configENS1_36segmented_radix_sort_config_selectorIdlEEZNS1_25segmented_radix_sort_implIS3_Lb0EPKdPdPKlPlN2at6native12_GLOBAL__N_18offset_tEEE10hipError_tPvRmT1_PNSt15iterator_traitsISK_E10value_typeET2_T3_PNSL_ISQ_E10value_typeET4_jRbjT5_SW_jjP12ihipStream_tbEUlT_E_NS1_11comp_targetILNS1_3genE2ELNS1_11target_archE906ELNS1_3gpuE6ELNS1_3repE0EEENS1_30default_config_static_selectorELNS0_4arch9wavefront6targetE0EEEvSK_,comdat
	.globl	_ZN7rocprim17ROCPRIM_400000_NS6detail17trampoline_kernelINS0_14default_configENS1_36segmented_radix_sort_config_selectorIdlEEZNS1_25segmented_radix_sort_implIS3_Lb0EPKdPdPKlPlN2at6native12_GLOBAL__N_18offset_tEEE10hipError_tPvRmT1_PNSt15iterator_traitsISK_E10value_typeET2_T3_PNSL_ISQ_E10value_typeET4_jRbjT5_SW_jjP12ihipStream_tbEUlT_E_NS1_11comp_targetILNS1_3genE2ELNS1_11target_archE906ELNS1_3gpuE6ELNS1_3repE0EEENS1_30default_config_static_selectorELNS0_4arch9wavefront6targetE0EEEvSK_ ; -- Begin function _ZN7rocprim17ROCPRIM_400000_NS6detail17trampoline_kernelINS0_14default_configENS1_36segmented_radix_sort_config_selectorIdlEEZNS1_25segmented_radix_sort_implIS3_Lb0EPKdPdPKlPlN2at6native12_GLOBAL__N_18offset_tEEE10hipError_tPvRmT1_PNSt15iterator_traitsISK_E10value_typeET2_T3_PNSL_ISQ_E10value_typeET4_jRbjT5_SW_jjP12ihipStream_tbEUlT_E_NS1_11comp_targetILNS1_3genE2ELNS1_11target_archE906ELNS1_3gpuE6ELNS1_3repE0EEENS1_30default_config_static_selectorELNS0_4arch9wavefront6targetE0EEEvSK_
	.p2align	8
	.type	_ZN7rocprim17ROCPRIM_400000_NS6detail17trampoline_kernelINS0_14default_configENS1_36segmented_radix_sort_config_selectorIdlEEZNS1_25segmented_radix_sort_implIS3_Lb0EPKdPdPKlPlN2at6native12_GLOBAL__N_18offset_tEEE10hipError_tPvRmT1_PNSt15iterator_traitsISK_E10value_typeET2_T3_PNSL_ISQ_E10value_typeET4_jRbjT5_SW_jjP12ihipStream_tbEUlT_E_NS1_11comp_targetILNS1_3genE2ELNS1_11target_archE906ELNS1_3gpuE6ELNS1_3repE0EEENS1_30default_config_static_selectorELNS0_4arch9wavefront6targetE0EEEvSK_,@function
_ZN7rocprim17ROCPRIM_400000_NS6detail17trampoline_kernelINS0_14default_configENS1_36segmented_radix_sort_config_selectorIdlEEZNS1_25segmented_radix_sort_implIS3_Lb0EPKdPdPKlPlN2at6native12_GLOBAL__N_18offset_tEEE10hipError_tPvRmT1_PNSt15iterator_traitsISK_E10value_typeET2_T3_PNSL_ISQ_E10value_typeET4_jRbjT5_SW_jjP12ihipStream_tbEUlT_E_NS1_11comp_targetILNS1_3genE2ELNS1_11target_archE906ELNS1_3gpuE6ELNS1_3repE0EEENS1_30default_config_static_selectorELNS0_4arch9wavefront6targetE0EEEvSK_: ; @_ZN7rocprim17ROCPRIM_400000_NS6detail17trampoline_kernelINS0_14default_configENS1_36segmented_radix_sort_config_selectorIdlEEZNS1_25segmented_radix_sort_implIS3_Lb0EPKdPdPKlPlN2at6native12_GLOBAL__N_18offset_tEEE10hipError_tPvRmT1_PNSt15iterator_traitsISK_E10value_typeET2_T3_PNSL_ISQ_E10value_typeET4_jRbjT5_SW_jjP12ihipStream_tbEUlT_E_NS1_11comp_targetILNS1_3genE2ELNS1_11target_archE906ELNS1_3gpuE6ELNS1_3repE0EEENS1_30default_config_static_selectorELNS0_4arch9wavefront6targetE0EEEvSK_
; %bb.0:
	.section	.rodata,"a",@progbits
	.p2align	6, 0x0
	.amdhsa_kernel _ZN7rocprim17ROCPRIM_400000_NS6detail17trampoline_kernelINS0_14default_configENS1_36segmented_radix_sort_config_selectorIdlEEZNS1_25segmented_radix_sort_implIS3_Lb0EPKdPdPKlPlN2at6native12_GLOBAL__N_18offset_tEEE10hipError_tPvRmT1_PNSt15iterator_traitsISK_E10value_typeET2_T3_PNSL_ISQ_E10value_typeET4_jRbjT5_SW_jjP12ihipStream_tbEUlT_E_NS1_11comp_targetILNS1_3genE2ELNS1_11target_archE906ELNS1_3gpuE6ELNS1_3repE0EEENS1_30default_config_static_selectorELNS0_4arch9wavefront6targetE0EEEvSK_
		.amdhsa_group_segment_fixed_size 0
		.amdhsa_private_segment_fixed_size 0
		.amdhsa_kernarg_size 96
		.amdhsa_user_sgpr_count 6
		.amdhsa_user_sgpr_private_segment_buffer 1
		.amdhsa_user_sgpr_dispatch_ptr 0
		.amdhsa_user_sgpr_queue_ptr 0
		.amdhsa_user_sgpr_kernarg_segment_ptr 1
		.amdhsa_user_sgpr_dispatch_id 0
		.amdhsa_user_sgpr_flat_scratch_init 0
		.amdhsa_user_sgpr_private_segment_size 0
		.amdhsa_wavefront_size32 1
		.amdhsa_uses_dynamic_stack 0
		.amdhsa_system_sgpr_private_segment_wavefront_offset 0
		.amdhsa_system_sgpr_workgroup_id_x 1
		.amdhsa_system_sgpr_workgroup_id_y 0
		.amdhsa_system_sgpr_workgroup_id_z 0
		.amdhsa_system_sgpr_workgroup_info 0
		.amdhsa_system_vgpr_workitem_id 0
		.amdhsa_next_free_vgpr 1
		.amdhsa_next_free_sgpr 1
		.amdhsa_reserve_vcc 0
		.amdhsa_reserve_flat_scratch 0
		.amdhsa_float_round_mode_32 0
		.amdhsa_float_round_mode_16_64 0
		.amdhsa_float_denorm_mode_32 3
		.amdhsa_float_denorm_mode_16_64 3
		.amdhsa_dx10_clamp 1
		.amdhsa_ieee_mode 1
		.amdhsa_fp16_overflow 0
		.amdhsa_workgroup_processor_mode 1
		.amdhsa_memory_ordered 1
		.amdhsa_forward_progress 1
		.amdhsa_shared_vgpr_count 0
		.amdhsa_exception_fp_ieee_invalid_op 0
		.amdhsa_exception_fp_denorm_src 0
		.amdhsa_exception_fp_ieee_div_zero 0
		.amdhsa_exception_fp_ieee_overflow 0
		.amdhsa_exception_fp_ieee_underflow 0
		.amdhsa_exception_fp_ieee_inexact 0
		.amdhsa_exception_int_div_zero 0
	.end_amdhsa_kernel
	.section	.text._ZN7rocprim17ROCPRIM_400000_NS6detail17trampoline_kernelINS0_14default_configENS1_36segmented_radix_sort_config_selectorIdlEEZNS1_25segmented_radix_sort_implIS3_Lb0EPKdPdPKlPlN2at6native12_GLOBAL__N_18offset_tEEE10hipError_tPvRmT1_PNSt15iterator_traitsISK_E10value_typeET2_T3_PNSL_ISQ_E10value_typeET4_jRbjT5_SW_jjP12ihipStream_tbEUlT_E_NS1_11comp_targetILNS1_3genE2ELNS1_11target_archE906ELNS1_3gpuE6ELNS1_3repE0EEENS1_30default_config_static_selectorELNS0_4arch9wavefront6targetE0EEEvSK_,"axG",@progbits,_ZN7rocprim17ROCPRIM_400000_NS6detail17trampoline_kernelINS0_14default_configENS1_36segmented_radix_sort_config_selectorIdlEEZNS1_25segmented_radix_sort_implIS3_Lb0EPKdPdPKlPlN2at6native12_GLOBAL__N_18offset_tEEE10hipError_tPvRmT1_PNSt15iterator_traitsISK_E10value_typeET2_T3_PNSL_ISQ_E10value_typeET4_jRbjT5_SW_jjP12ihipStream_tbEUlT_E_NS1_11comp_targetILNS1_3genE2ELNS1_11target_archE906ELNS1_3gpuE6ELNS1_3repE0EEENS1_30default_config_static_selectorELNS0_4arch9wavefront6targetE0EEEvSK_,comdat
.Lfunc_end1217:
	.size	_ZN7rocprim17ROCPRIM_400000_NS6detail17trampoline_kernelINS0_14default_configENS1_36segmented_radix_sort_config_selectorIdlEEZNS1_25segmented_radix_sort_implIS3_Lb0EPKdPdPKlPlN2at6native12_GLOBAL__N_18offset_tEEE10hipError_tPvRmT1_PNSt15iterator_traitsISK_E10value_typeET2_T3_PNSL_ISQ_E10value_typeET4_jRbjT5_SW_jjP12ihipStream_tbEUlT_E_NS1_11comp_targetILNS1_3genE2ELNS1_11target_archE906ELNS1_3gpuE6ELNS1_3repE0EEENS1_30default_config_static_selectorELNS0_4arch9wavefront6targetE0EEEvSK_, .Lfunc_end1217-_ZN7rocprim17ROCPRIM_400000_NS6detail17trampoline_kernelINS0_14default_configENS1_36segmented_radix_sort_config_selectorIdlEEZNS1_25segmented_radix_sort_implIS3_Lb0EPKdPdPKlPlN2at6native12_GLOBAL__N_18offset_tEEE10hipError_tPvRmT1_PNSt15iterator_traitsISK_E10value_typeET2_T3_PNSL_ISQ_E10value_typeET4_jRbjT5_SW_jjP12ihipStream_tbEUlT_E_NS1_11comp_targetILNS1_3genE2ELNS1_11target_archE906ELNS1_3gpuE6ELNS1_3repE0EEENS1_30default_config_static_selectorELNS0_4arch9wavefront6targetE0EEEvSK_
                                        ; -- End function
	.set _ZN7rocprim17ROCPRIM_400000_NS6detail17trampoline_kernelINS0_14default_configENS1_36segmented_radix_sort_config_selectorIdlEEZNS1_25segmented_radix_sort_implIS3_Lb0EPKdPdPKlPlN2at6native12_GLOBAL__N_18offset_tEEE10hipError_tPvRmT1_PNSt15iterator_traitsISK_E10value_typeET2_T3_PNSL_ISQ_E10value_typeET4_jRbjT5_SW_jjP12ihipStream_tbEUlT_E_NS1_11comp_targetILNS1_3genE2ELNS1_11target_archE906ELNS1_3gpuE6ELNS1_3repE0EEENS1_30default_config_static_selectorELNS0_4arch9wavefront6targetE0EEEvSK_.num_vgpr, 0
	.set _ZN7rocprim17ROCPRIM_400000_NS6detail17trampoline_kernelINS0_14default_configENS1_36segmented_radix_sort_config_selectorIdlEEZNS1_25segmented_radix_sort_implIS3_Lb0EPKdPdPKlPlN2at6native12_GLOBAL__N_18offset_tEEE10hipError_tPvRmT1_PNSt15iterator_traitsISK_E10value_typeET2_T3_PNSL_ISQ_E10value_typeET4_jRbjT5_SW_jjP12ihipStream_tbEUlT_E_NS1_11comp_targetILNS1_3genE2ELNS1_11target_archE906ELNS1_3gpuE6ELNS1_3repE0EEENS1_30default_config_static_selectorELNS0_4arch9wavefront6targetE0EEEvSK_.num_agpr, 0
	.set _ZN7rocprim17ROCPRIM_400000_NS6detail17trampoline_kernelINS0_14default_configENS1_36segmented_radix_sort_config_selectorIdlEEZNS1_25segmented_radix_sort_implIS3_Lb0EPKdPdPKlPlN2at6native12_GLOBAL__N_18offset_tEEE10hipError_tPvRmT1_PNSt15iterator_traitsISK_E10value_typeET2_T3_PNSL_ISQ_E10value_typeET4_jRbjT5_SW_jjP12ihipStream_tbEUlT_E_NS1_11comp_targetILNS1_3genE2ELNS1_11target_archE906ELNS1_3gpuE6ELNS1_3repE0EEENS1_30default_config_static_selectorELNS0_4arch9wavefront6targetE0EEEvSK_.numbered_sgpr, 0
	.set _ZN7rocprim17ROCPRIM_400000_NS6detail17trampoline_kernelINS0_14default_configENS1_36segmented_radix_sort_config_selectorIdlEEZNS1_25segmented_radix_sort_implIS3_Lb0EPKdPdPKlPlN2at6native12_GLOBAL__N_18offset_tEEE10hipError_tPvRmT1_PNSt15iterator_traitsISK_E10value_typeET2_T3_PNSL_ISQ_E10value_typeET4_jRbjT5_SW_jjP12ihipStream_tbEUlT_E_NS1_11comp_targetILNS1_3genE2ELNS1_11target_archE906ELNS1_3gpuE6ELNS1_3repE0EEENS1_30default_config_static_selectorELNS0_4arch9wavefront6targetE0EEEvSK_.num_named_barrier, 0
	.set _ZN7rocprim17ROCPRIM_400000_NS6detail17trampoline_kernelINS0_14default_configENS1_36segmented_radix_sort_config_selectorIdlEEZNS1_25segmented_radix_sort_implIS3_Lb0EPKdPdPKlPlN2at6native12_GLOBAL__N_18offset_tEEE10hipError_tPvRmT1_PNSt15iterator_traitsISK_E10value_typeET2_T3_PNSL_ISQ_E10value_typeET4_jRbjT5_SW_jjP12ihipStream_tbEUlT_E_NS1_11comp_targetILNS1_3genE2ELNS1_11target_archE906ELNS1_3gpuE6ELNS1_3repE0EEENS1_30default_config_static_selectorELNS0_4arch9wavefront6targetE0EEEvSK_.private_seg_size, 0
	.set _ZN7rocprim17ROCPRIM_400000_NS6detail17trampoline_kernelINS0_14default_configENS1_36segmented_radix_sort_config_selectorIdlEEZNS1_25segmented_radix_sort_implIS3_Lb0EPKdPdPKlPlN2at6native12_GLOBAL__N_18offset_tEEE10hipError_tPvRmT1_PNSt15iterator_traitsISK_E10value_typeET2_T3_PNSL_ISQ_E10value_typeET4_jRbjT5_SW_jjP12ihipStream_tbEUlT_E_NS1_11comp_targetILNS1_3genE2ELNS1_11target_archE906ELNS1_3gpuE6ELNS1_3repE0EEENS1_30default_config_static_selectorELNS0_4arch9wavefront6targetE0EEEvSK_.uses_vcc, 0
	.set _ZN7rocprim17ROCPRIM_400000_NS6detail17trampoline_kernelINS0_14default_configENS1_36segmented_radix_sort_config_selectorIdlEEZNS1_25segmented_radix_sort_implIS3_Lb0EPKdPdPKlPlN2at6native12_GLOBAL__N_18offset_tEEE10hipError_tPvRmT1_PNSt15iterator_traitsISK_E10value_typeET2_T3_PNSL_ISQ_E10value_typeET4_jRbjT5_SW_jjP12ihipStream_tbEUlT_E_NS1_11comp_targetILNS1_3genE2ELNS1_11target_archE906ELNS1_3gpuE6ELNS1_3repE0EEENS1_30default_config_static_selectorELNS0_4arch9wavefront6targetE0EEEvSK_.uses_flat_scratch, 0
	.set _ZN7rocprim17ROCPRIM_400000_NS6detail17trampoline_kernelINS0_14default_configENS1_36segmented_radix_sort_config_selectorIdlEEZNS1_25segmented_radix_sort_implIS3_Lb0EPKdPdPKlPlN2at6native12_GLOBAL__N_18offset_tEEE10hipError_tPvRmT1_PNSt15iterator_traitsISK_E10value_typeET2_T3_PNSL_ISQ_E10value_typeET4_jRbjT5_SW_jjP12ihipStream_tbEUlT_E_NS1_11comp_targetILNS1_3genE2ELNS1_11target_archE906ELNS1_3gpuE6ELNS1_3repE0EEENS1_30default_config_static_selectorELNS0_4arch9wavefront6targetE0EEEvSK_.has_dyn_sized_stack, 0
	.set _ZN7rocprim17ROCPRIM_400000_NS6detail17trampoline_kernelINS0_14default_configENS1_36segmented_radix_sort_config_selectorIdlEEZNS1_25segmented_radix_sort_implIS3_Lb0EPKdPdPKlPlN2at6native12_GLOBAL__N_18offset_tEEE10hipError_tPvRmT1_PNSt15iterator_traitsISK_E10value_typeET2_T3_PNSL_ISQ_E10value_typeET4_jRbjT5_SW_jjP12ihipStream_tbEUlT_E_NS1_11comp_targetILNS1_3genE2ELNS1_11target_archE906ELNS1_3gpuE6ELNS1_3repE0EEENS1_30default_config_static_selectorELNS0_4arch9wavefront6targetE0EEEvSK_.has_recursion, 0
	.set _ZN7rocprim17ROCPRIM_400000_NS6detail17trampoline_kernelINS0_14default_configENS1_36segmented_radix_sort_config_selectorIdlEEZNS1_25segmented_radix_sort_implIS3_Lb0EPKdPdPKlPlN2at6native12_GLOBAL__N_18offset_tEEE10hipError_tPvRmT1_PNSt15iterator_traitsISK_E10value_typeET2_T3_PNSL_ISQ_E10value_typeET4_jRbjT5_SW_jjP12ihipStream_tbEUlT_E_NS1_11comp_targetILNS1_3genE2ELNS1_11target_archE906ELNS1_3gpuE6ELNS1_3repE0EEENS1_30default_config_static_selectorELNS0_4arch9wavefront6targetE0EEEvSK_.has_indirect_call, 0
	.section	.AMDGPU.csdata,"",@progbits
; Kernel info:
; codeLenInByte = 0
; TotalNumSgprs: 0
; NumVgprs: 0
; ScratchSize: 0
; MemoryBound: 0
; FloatMode: 240
; IeeeMode: 1
; LDSByteSize: 0 bytes/workgroup (compile time only)
; SGPRBlocks: 0
; VGPRBlocks: 0
; NumSGPRsForWavesPerEU: 1
; NumVGPRsForWavesPerEU: 1
; Occupancy: 16
; WaveLimiterHint : 0
; COMPUTE_PGM_RSRC2:SCRATCH_EN: 0
; COMPUTE_PGM_RSRC2:USER_SGPR: 6
; COMPUTE_PGM_RSRC2:TRAP_HANDLER: 0
; COMPUTE_PGM_RSRC2:TGID_X_EN: 1
; COMPUTE_PGM_RSRC2:TGID_Y_EN: 0
; COMPUTE_PGM_RSRC2:TGID_Z_EN: 0
; COMPUTE_PGM_RSRC2:TIDIG_COMP_CNT: 0
	.section	.text._ZN7rocprim17ROCPRIM_400000_NS6detail17trampoline_kernelINS0_14default_configENS1_36segmented_radix_sort_config_selectorIdlEEZNS1_25segmented_radix_sort_implIS3_Lb0EPKdPdPKlPlN2at6native12_GLOBAL__N_18offset_tEEE10hipError_tPvRmT1_PNSt15iterator_traitsISK_E10value_typeET2_T3_PNSL_ISQ_E10value_typeET4_jRbjT5_SW_jjP12ihipStream_tbEUlT_E_NS1_11comp_targetILNS1_3genE10ELNS1_11target_archE1201ELNS1_3gpuE5ELNS1_3repE0EEENS1_30default_config_static_selectorELNS0_4arch9wavefront6targetE0EEEvSK_,"axG",@progbits,_ZN7rocprim17ROCPRIM_400000_NS6detail17trampoline_kernelINS0_14default_configENS1_36segmented_radix_sort_config_selectorIdlEEZNS1_25segmented_radix_sort_implIS3_Lb0EPKdPdPKlPlN2at6native12_GLOBAL__N_18offset_tEEE10hipError_tPvRmT1_PNSt15iterator_traitsISK_E10value_typeET2_T3_PNSL_ISQ_E10value_typeET4_jRbjT5_SW_jjP12ihipStream_tbEUlT_E_NS1_11comp_targetILNS1_3genE10ELNS1_11target_archE1201ELNS1_3gpuE5ELNS1_3repE0EEENS1_30default_config_static_selectorELNS0_4arch9wavefront6targetE0EEEvSK_,comdat
	.globl	_ZN7rocprim17ROCPRIM_400000_NS6detail17trampoline_kernelINS0_14default_configENS1_36segmented_radix_sort_config_selectorIdlEEZNS1_25segmented_radix_sort_implIS3_Lb0EPKdPdPKlPlN2at6native12_GLOBAL__N_18offset_tEEE10hipError_tPvRmT1_PNSt15iterator_traitsISK_E10value_typeET2_T3_PNSL_ISQ_E10value_typeET4_jRbjT5_SW_jjP12ihipStream_tbEUlT_E_NS1_11comp_targetILNS1_3genE10ELNS1_11target_archE1201ELNS1_3gpuE5ELNS1_3repE0EEENS1_30default_config_static_selectorELNS0_4arch9wavefront6targetE0EEEvSK_ ; -- Begin function _ZN7rocprim17ROCPRIM_400000_NS6detail17trampoline_kernelINS0_14default_configENS1_36segmented_radix_sort_config_selectorIdlEEZNS1_25segmented_radix_sort_implIS3_Lb0EPKdPdPKlPlN2at6native12_GLOBAL__N_18offset_tEEE10hipError_tPvRmT1_PNSt15iterator_traitsISK_E10value_typeET2_T3_PNSL_ISQ_E10value_typeET4_jRbjT5_SW_jjP12ihipStream_tbEUlT_E_NS1_11comp_targetILNS1_3genE10ELNS1_11target_archE1201ELNS1_3gpuE5ELNS1_3repE0EEENS1_30default_config_static_selectorELNS0_4arch9wavefront6targetE0EEEvSK_
	.p2align	8
	.type	_ZN7rocprim17ROCPRIM_400000_NS6detail17trampoline_kernelINS0_14default_configENS1_36segmented_radix_sort_config_selectorIdlEEZNS1_25segmented_radix_sort_implIS3_Lb0EPKdPdPKlPlN2at6native12_GLOBAL__N_18offset_tEEE10hipError_tPvRmT1_PNSt15iterator_traitsISK_E10value_typeET2_T3_PNSL_ISQ_E10value_typeET4_jRbjT5_SW_jjP12ihipStream_tbEUlT_E_NS1_11comp_targetILNS1_3genE10ELNS1_11target_archE1201ELNS1_3gpuE5ELNS1_3repE0EEENS1_30default_config_static_selectorELNS0_4arch9wavefront6targetE0EEEvSK_,@function
_ZN7rocprim17ROCPRIM_400000_NS6detail17trampoline_kernelINS0_14default_configENS1_36segmented_radix_sort_config_selectorIdlEEZNS1_25segmented_radix_sort_implIS3_Lb0EPKdPdPKlPlN2at6native12_GLOBAL__N_18offset_tEEE10hipError_tPvRmT1_PNSt15iterator_traitsISK_E10value_typeET2_T3_PNSL_ISQ_E10value_typeET4_jRbjT5_SW_jjP12ihipStream_tbEUlT_E_NS1_11comp_targetILNS1_3genE10ELNS1_11target_archE1201ELNS1_3gpuE5ELNS1_3repE0EEENS1_30default_config_static_selectorELNS0_4arch9wavefront6targetE0EEEvSK_: ; @_ZN7rocprim17ROCPRIM_400000_NS6detail17trampoline_kernelINS0_14default_configENS1_36segmented_radix_sort_config_selectorIdlEEZNS1_25segmented_radix_sort_implIS3_Lb0EPKdPdPKlPlN2at6native12_GLOBAL__N_18offset_tEEE10hipError_tPvRmT1_PNSt15iterator_traitsISK_E10value_typeET2_T3_PNSL_ISQ_E10value_typeET4_jRbjT5_SW_jjP12ihipStream_tbEUlT_E_NS1_11comp_targetILNS1_3genE10ELNS1_11target_archE1201ELNS1_3gpuE5ELNS1_3repE0EEENS1_30default_config_static_selectorELNS0_4arch9wavefront6targetE0EEEvSK_
; %bb.0:
	.section	.rodata,"a",@progbits
	.p2align	6, 0x0
	.amdhsa_kernel _ZN7rocprim17ROCPRIM_400000_NS6detail17trampoline_kernelINS0_14default_configENS1_36segmented_radix_sort_config_selectorIdlEEZNS1_25segmented_radix_sort_implIS3_Lb0EPKdPdPKlPlN2at6native12_GLOBAL__N_18offset_tEEE10hipError_tPvRmT1_PNSt15iterator_traitsISK_E10value_typeET2_T3_PNSL_ISQ_E10value_typeET4_jRbjT5_SW_jjP12ihipStream_tbEUlT_E_NS1_11comp_targetILNS1_3genE10ELNS1_11target_archE1201ELNS1_3gpuE5ELNS1_3repE0EEENS1_30default_config_static_selectorELNS0_4arch9wavefront6targetE0EEEvSK_
		.amdhsa_group_segment_fixed_size 0
		.amdhsa_private_segment_fixed_size 0
		.amdhsa_kernarg_size 96
		.amdhsa_user_sgpr_count 6
		.amdhsa_user_sgpr_private_segment_buffer 1
		.amdhsa_user_sgpr_dispatch_ptr 0
		.amdhsa_user_sgpr_queue_ptr 0
		.amdhsa_user_sgpr_kernarg_segment_ptr 1
		.amdhsa_user_sgpr_dispatch_id 0
		.amdhsa_user_sgpr_flat_scratch_init 0
		.amdhsa_user_sgpr_private_segment_size 0
		.amdhsa_wavefront_size32 1
		.amdhsa_uses_dynamic_stack 0
		.amdhsa_system_sgpr_private_segment_wavefront_offset 0
		.amdhsa_system_sgpr_workgroup_id_x 1
		.amdhsa_system_sgpr_workgroup_id_y 0
		.amdhsa_system_sgpr_workgroup_id_z 0
		.amdhsa_system_sgpr_workgroup_info 0
		.amdhsa_system_vgpr_workitem_id 0
		.amdhsa_next_free_vgpr 1
		.amdhsa_next_free_sgpr 1
		.amdhsa_reserve_vcc 0
		.amdhsa_reserve_flat_scratch 0
		.amdhsa_float_round_mode_32 0
		.amdhsa_float_round_mode_16_64 0
		.amdhsa_float_denorm_mode_32 3
		.amdhsa_float_denorm_mode_16_64 3
		.amdhsa_dx10_clamp 1
		.amdhsa_ieee_mode 1
		.amdhsa_fp16_overflow 0
		.amdhsa_workgroup_processor_mode 1
		.amdhsa_memory_ordered 1
		.amdhsa_forward_progress 1
		.amdhsa_shared_vgpr_count 0
		.amdhsa_exception_fp_ieee_invalid_op 0
		.amdhsa_exception_fp_denorm_src 0
		.amdhsa_exception_fp_ieee_div_zero 0
		.amdhsa_exception_fp_ieee_overflow 0
		.amdhsa_exception_fp_ieee_underflow 0
		.amdhsa_exception_fp_ieee_inexact 0
		.amdhsa_exception_int_div_zero 0
	.end_amdhsa_kernel
	.section	.text._ZN7rocprim17ROCPRIM_400000_NS6detail17trampoline_kernelINS0_14default_configENS1_36segmented_radix_sort_config_selectorIdlEEZNS1_25segmented_radix_sort_implIS3_Lb0EPKdPdPKlPlN2at6native12_GLOBAL__N_18offset_tEEE10hipError_tPvRmT1_PNSt15iterator_traitsISK_E10value_typeET2_T3_PNSL_ISQ_E10value_typeET4_jRbjT5_SW_jjP12ihipStream_tbEUlT_E_NS1_11comp_targetILNS1_3genE10ELNS1_11target_archE1201ELNS1_3gpuE5ELNS1_3repE0EEENS1_30default_config_static_selectorELNS0_4arch9wavefront6targetE0EEEvSK_,"axG",@progbits,_ZN7rocprim17ROCPRIM_400000_NS6detail17trampoline_kernelINS0_14default_configENS1_36segmented_radix_sort_config_selectorIdlEEZNS1_25segmented_radix_sort_implIS3_Lb0EPKdPdPKlPlN2at6native12_GLOBAL__N_18offset_tEEE10hipError_tPvRmT1_PNSt15iterator_traitsISK_E10value_typeET2_T3_PNSL_ISQ_E10value_typeET4_jRbjT5_SW_jjP12ihipStream_tbEUlT_E_NS1_11comp_targetILNS1_3genE10ELNS1_11target_archE1201ELNS1_3gpuE5ELNS1_3repE0EEENS1_30default_config_static_selectorELNS0_4arch9wavefront6targetE0EEEvSK_,comdat
.Lfunc_end1218:
	.size	_ZN7rocprim17ROCPRIM_400000_NS6detail17trampoline_kernelINS0_14default_configENS1_36segmented_radix_sort_config_selectorIdlEEZNS1_25segmented_radix_sort_implIS3_Lb0EPKdPdPKlPlN2at6native12_GLOBAL__N_18offset_tEEE10hipError_tPvRmT1_PNSt15iterator_traitsISK_E10value_typeET2_T3_PNSL_ISQ_E10value_typeET4_jRbjT5_SW_jjP12ihipStream_tbEUlT_E_NS1_11comp_targetILNS1_3genE10ELNS1_11target_archE1201ELNS1_3gpuE5ELNS1_3repE0EEENS1_30default_config_static_selectorELNS0_4arch9wavefront6targetE0EEEvSK_, .Lfunc_end1218-_ZN7rocprim17ROCPRIM_400000_NS6detail17trampoline_kernelINS0_14default_configENS1_36segmented_radix_sort_config_selectorIdlEEZNS1_25segmented_radix_sort_implIS3_Lb0EPKdPdPKlPlN2at6native12_GLOBAL__N_18offset_tEEE10hipError_tPvRmT1_PNSt15iterator_traitsISK_E10value_typeET2_T3_PNSL_ISQ_E10value_typeET4_jRbjT5_SW_jjP12ihipStream_tbEUlT_E_NS1_11comp_targetILNS1_3genE10ELNS1_11target_archE1201ELNS1_3gpuE5ELNS1_3repE0EEENS1_30default_config_static_selectorELNS0_4arch9wavefront6targetE0EEEvSK_
                                        ; -- End function
	.set _ZN7rocprim17ROCPRIM_400000_NS6detail17trampoline_kernelINS0_14default_configENS1_36segmented_radix_sort_config_selectorIdlEEZNS1_25segmented_radix_sort_implIS3_Lb0EPKdPdPKlPlN2at6native12_GLOBAL__N_18offset_tEEE10hipError_tPvRmT1_PNSt15iterator_traitsISK_E10value_typeET2_T3_PNSL_ISQ_E10value_typeET4_jRbjT5_SW_jjP12ihipStream_tbEUlT_E_NS1_11comp_targetILNS1_3genE10ELNS1_11target_archE1201ELNS1_3gpuE5ELNS1_3repE0EEENS1_30default_config_static_selectorELNS0_4arch9wavefront6targetE0EEEvSK_.num_vgpr, 0
	.set _ZN7rocprim17ROCPRIM_400000_NS6detail17trampoline_kernelINS0_14default_configENS1_36segmented_radix_sort_config_selectorIdlEEZNS1_25segmented_radix_sort_implIS3_Lb0EPKdPdPKlPlN2at6native12_GLOBAL__N_18offset_tEEE10hipError_tPvRmT1_PNSt15iterator_traitsISK_E10value_typeET2_T3_PNSL_ISQ_E10value_typeET4_jRbjT5_SW_jjP12ihipStream_tbEUlT_E_NS1_11comp_targetILNS1_3genE10ELNS1_11target_archE1201ELNS1_3gpuE5ELNS1_3repE0EEENS1_30default_config_static_selectorELNS0_4arch9wavefront6targetE0EEEvSK_.num_agpr, 0
	.set _ZN7rocprim17ROCPRIM_400000_NS6detail17trampoline_kernelINS0_14default_configENS1_36segmented_radix_sort_config_selectorIdlEEZNS1_25segmented_radix_sort_implIS3_Lb0EPKdPdPKlPlN2at6native12_GLOBAL__N_18offset_tEEE10hipError_tPvRmT1_PNSt15iterator_traitsISK_E10value_typeET2_T3_PNSL_ISQ_E10value_typeET4_jRbjT5_SW_jjP12ihipStream_tbEUlT_E_NS1_11comp_targetILNS1_3genE10ELNS1_11target_archE1201ELNS1_3gpuE5ELNS1_3repE0EEENS1_30default_config_static_selectorELNS0_4arch9wavefront6targetE0EEEvSK_.numbered_sgpr, 0
	.set _ZN7rocprim17ROCPRIM_400000_NS6detail17trampoline_kernelINS0_14default_configENS1_36segmented_radix_sort_config_selectorIdlEEZNS1_25segmented_radix_sort_implIS3_Lb0EPKdPdPKlPlN2at6native12_GLOBAL__N_18offset_tEEE10hipError_tPvRmT1_PNSt15iterator_traitsISK_E10value_typeET2_T3_PNSL_ISQ_E10value_typeET4_jRbjT5_SW_jjP12ihipStream_tbEUlT_E_NS1_11comp_targetILNS1_3genE10ELNS1_11target_archE1201ELNS1_3gpuE5ELNS1_3repE0EEENS1_30default_config_static_selectorELNS0_4arch9wavefront6targetE0EEEvSK_.num_named_barrier, 0
	.set _ZN7rocprim17ROCPRIM_400000_NS6detail17trampoline_kernelINS0_14default_configENS1_36segmented_radix_sort_config_selectorIdlEEZNS1_25segmented_radix_sort_implIS3_Lb0EPKdPdPKlPlN2at6native12_GLOBAL__N_18offset_tEEE10hipError_tPvRmT1_PNSt15iterator_traitsISK_E10value_typeET2_T3_PNSL_ISQ_E10value_typeET4_jRbjT5_SW_jjP12ihipStream_tbEUlT_E_NS1_11comp_targetILNS1_3genE10ELNS1_11target_archE1201ELNS1_3gpuE5ELNS1_3repE0EEENS1_30default_config_static_selectorELNS0_4arch9wavefront6targetE0EEEvSK_.private_seg_size, 0
	.set _ZN7rocprim17ROCPRIM_400000_NS6detail17trampoline_kernelINS0_14default_configENS1_36segmented_radix_sort_config_selectorIdlEEZNS1_25segmented_radix_sort_implIS3_Lb0EPKdPdPKlPlN2at6native12_GLOBAL__N_18offset_tEEE10hipError_tPvRmT1_PNSt15iterator_traitsISK_E10value_typeET2_T3_PNSL_ISQ_E10value_typeET4_jRbjT5_SW_jjP12ihipStream_tbEUlT_E_NS1_11comp_targetILNS1_3genE10ELNS1_11target_archE1201ELNS1_3gpuE5ELNS1_3repE0EEENS1_30default_config_static_selectorELNS0_4arch9wavefront6targetE0EEEvSK_.uses_vcc, 0
	.set _ZN7rocprim17ROCPRIM_400000_NS6detail17trampoline_kernelINS0_14default_configENS1_36segmented_radix_sort_config_selectorIdlEEZNS1_25segmented_radix_sort_implIS3_Lb0EPKdPdPKlPlN2at6native12_GLOBAL__N_18offset_tEEE10hipError_tPvRmT1_PNSt15iterator_traitsISK_E10value_typeET2_T3_PNSL_ISQ_E10value_typeET4_jRbjT5_SW_jjP12ihipStream_tbEUlT_E_NS1_11comp_targetILNS1_3genE10ELNS1_11target_archE1201ELNS1_3gpuE5ELNS1_3repE0EEENS1_30default_config_static_selectorELNS0_4arch9wavefront6targetE0EEEvSK_.uses_flat_scratch, 0
	.set _ZN7rocprim17ROCPRIM_400000_NS6detail17trampoline_kernelINS0_14default_configENS1_36segmented_radix_sort_config_selectorIdlEEZNS1_25segmented_radix_sort_implIS3_Lb0EPKdPdPKlPlN2at6native12_GLOBAL__N_18offset_tEEE10hipError_tPvRmT1_PNSt15iterator_traitsISK_E10value_typeET2_T3_PNSL_ISQ_E10value_typeET4_jRbjT5_SW_jjP12ihipStream_tbEUlT_E_NS1_11comp_targetILNS1_3genE10ELNS1_11target_archE1201ELNS1_3gpuE5ELNS1_3repE0EEENS1_30default_config_static_selectorELNS0_4arch9wavefront6targetE0EEEvSK_.has_dyn_sized_stack, 0
	.set _ZN7rocprim17ROCPRIM_400000_NS6detail17trampoline_kernelINS0_14default_configENS1_36segmented_radix_sort_config_selectorIdlEEZNS1_25segmented_radix_sort_implIS3_Lb0EPKdPdPKlPlN2at6native12_GLOBAL__N_18offset_tEEE10hipError_tPvRmT1_PNSt15iterator_traitsISK_E10value_typeET2_T3_PNSL_ISQ_E10value_typeET4_jRbjT5_SW_jjP12ihipStream_tbEUlT_E_NS1_11comp_targetILNS1_3genE10ELNS1_11target_archE1201ELNS1_3gpuE5ELNS1_3repE0EEENS1_30default_config_static_selectorELNS0_4arch9wavefront6targetE0EEEvSK_.has_recursion, 0
	.set _ZN7rocprim17ROCPRIM_400000_NS6detail17trampoline_kernelINS0_14default_configENS1_36segmented_radix_sort_config_selectorIdlEEZNS1_25segmented_radix_sort_implIS3_Lb0EPKdPdPKlPlN2at6native12_GLOBAL__N_18offset_tEEE10hipError_tPvRmT1_PNSt15iterator_traitsISK_E10value_typeET2_T3_PNSL_ISQ_E10value_typeET4_jRbjT5_SW_jjP12ihipStream_tbEUlT_E_NS1_11comp_targetILNS1_3genE10ELNS1_11target_archE1201ELNS1_3gpuE5ELNS1_3repE0EEENS1_30default_config_static_selectorELNS0_4arch9wavefront6targetE0EEEvSK_.has_indirect_call, 0
	.section	.AMDGPU.csdata,"",@progbits
; Kernel info:
; codeLenInByte = 0
; TotalNumSgprs: 0
; NumVgprs: 0
; ScratchSize: 0
; MemoryBound: 0
; FloatMode: 240
; IeeeMode: 1
; LDSByteSize: 0 bytes/workgroup (compile time only)
; SGPRBlocks: 0
; VGPRBlocks: 0
; NumSGPRsForWavesPerEU: 1
; NumVGPRsForWavesPerEU: 1
; Occupancy: 16
; WaveLimiterHint : 0
; COMPUTE_PGM_RSRC2:SCRATCH_EN: 0
; COMPUTE_PGM_RSRC2:USER_SGPR: 6
; COMPUTE_PGM_RSRC2:TRAP_HANDLER: 0
; COMPUTE_PGM_RSRC2:TGID_X_EN: 1
; COMPUTE_PGM_RSRC2:TGID_Y_EN: 0
; COMPUTE_PGM_RSRC2:TGID_Z_EN: 0
; COMPUTE_PGM_RSRC2:TIDIG_COMP_CNT: 0
	.section	.text._ZN7rocprim17ROCPRIM_400000_NS6detail17trampoline_kernelINS0_14default_configENS1_36segmented_radix_sort_config_selectorIdlEEZNS1_25segmented_radix_sort_implIS3_Lb0EPKdPdPKlPlN2at6native12_GLOBAL__N_18offset_tEEE10hipError_tPvRmT1_PNSt15iterator_traitsISK_E10value_typeET2_T3_PNSL_ISQ_E10value_typeET4_jRbjT5_SW_jjP12ihipStream_tbEUlT_E_NS1_11comp_targetILNS1_3genE10ELNS1_11target_archE1200ELNS1_3gpuE4ELNS1_3repE0EEENS1_30default_config_static_selectorELNS0_4arch9wavefront6targetE0EEEvSK_,"axG",@progbits,_ZN7rocprim17ROCPRIM_400000_NS6detail17trampoline_kernelINS0_14default_configENS1_36segmented_radix_sort_config_selectorIdlEEZNS1_25segmented_radix_sort_implIS3_Lb0EPKdPdPKlPlN2at6native12_GLOBAL__N_18offset_tEEE10hipError_tPvRmT1_PNSt15iterator_traitsISK_E10value_typeET2_T3_PNSL_ISQ_E10value_typeET4_jRbjT5_SW_jjP12ihipStream_tbEUlT_E_NS1_11comp_targetILNS1_3genE10ELNS1_11target_archE1200ELNS1_3gpuE4ELNS1_3repE0EEENS1_30default_config_static_selectorELNS0_4arch9wavefront6targetE0EEEvSK_,comdat
	.globl	_ZN7rocprim17ROCPRIM_400000_NS6detail17trampoline_kernelINS0_14default_configENS1_36segmented_radix_sort_config_selectorIdlEEZNS1_25segmented_radix_sort_implIS3_Lb0EPKdPdPKlPlN2at6native12_GLOBAL__N_18offset_tEEE10hipError_tPvRmT1_PNSt15iterator_traitsISK_E10value_typeET2_T3_PNSL_ISQ_E10value_typeET4_jRbjT5_SW_jjP12ihipStream_tbEUlT_E_NS1_11comp_targetILNS1_3genE10ELNS1_11target_archE1200ELNS1_3gpuE4ELNS1_3repE0EEENS1_30default_config_static_selectorELNS0_4arch9wavefront6targetE0EEEvSK_ ; -- Begin function _ZN7rocprim17ROCPRIM_400000_NS6detail17trampoline_kernelINS0_14default_configENS1_36segmented_radix_sort_config_selectorIdlEEZNS1_25segmented_radix_sort_implIS3_Lb0EPKdPdPKlPlN2at6native12_GLOBAL__N_18offset_tEEE10hipError_tPvRmT1_PNSt15iterator_traitsISK_E10value_typeET2_T3_PNSL_ISQ_E10value_typeET4_jRbjT5_SW_jjP12ihipStream_tbEUlT_E_NS1_11comp_targetILNS1_3genE10ELNS1_11target_archE1200ELNS1_3gpuE4ELNS1_3repE0EEENS1_30default_config_static_selectorELNS0_4arch9wavefront6targetE0EEEvSK_
	.p2align	8
	.type	_ZN7rocprim17ROCPRIM_400000_NS6detail17trampoline_kernelINS0_14default_configENS1_36segmented_radix_sort_config_selectorIdlEEZNS1_25segmented_radix_sort_implIS3_Lb0EPKdPdPKlPlN2at6native12_GLOBAL__N_18offset_tEEE10hipError_tPvRmT1_PNSt15iterator_traitsISK_E10value_typeET2_T3_PNSL_ISQ_E10value_typeET4_jRbjT5_SW_jjP12ihipStream_tbEUlT_E_NS1_11comp_targetILNS1_3genE10ELNS1_11target_archE1200ELNS1_3gpuE4ELNS1_3repE0EEENS1_30default_config_static_selectorELNS0_4arch9wavefront6targetE0EEEvSK_,@function
_ZN7rocprim17ROCPRIM_400000_NS6detail17trampoline_kernelINS0_14default_configENS1_36segmented_radix_sort_config_selectorIdlEEZNS1_25segmented_radix_sort_implIS3_Lb0EPKdPdPKlPlN2at6native12_GLOBAL__N_18offset_tEEE10hipError_tPvRmT1_PNSt15iterator_traitsISK_E10value_typeET2_T3_PNSL_ISQ_E10value_typeET4_jRbjT5_SW_jjP12ihipStream_tbEUlT_E_NS1_11comp_targetILNS1_3genE10ELNS1_11target_archE1200ELNS1_3gpuE4ELNS1_3repE0EEENS1_30default_config_static_selectorELNS0_4arch9wavefront6targetE0EEEvSK_: ; @_ZN7rocprim17ROCPRIM_400000_NS6detail17trampoline_kernelINS0_14default_configENS1_36segmented_radix_sort_config_selectorIdlEEZNS1_25segmented_radix_sort_implIS3_Lb0EPKdPdPKlPlN2at6native12_GLOBAL__N_18offset_tEEE10hipError_tPvRmT1_PNSt15iterator_traitsISK_E10value_typeET2_T3_PNSL_ISQ_E10value_typeET4_jRbjT5_SW_jjP12ihipStream_tbEUlT_E_NS1_11comp_targetILNS1_3genE10ELNS1_11target_archE1200ELNS1_3gpuE4ELNS1_3repE0EEENS1_30default_config_static_selectorELNS0_4arch9wavefront6targetE0EEEvSK_
; %bb.0:
	.section	.rodata,"a",@progbits
	.p2align	6, 0x0
	.amdhsa_kernel _ZN7rocprim17ROCPRIM_400000_NS6detail17trampoline_kernelINS0_14default_configENS1_36segmented_radix_sort_config_selectorIdlEEZNS1_25segmented_radix_sort_implIS3_Lb0EPKdPdPKlPlN2at6native12_GLOBAL__N_18offset_tEEE10hipError_tPvRmT1_PNSt15iterator_traitsISK_E10value_typeET2_T3_PNSL_ISQ_E10value_typeET4_jRbjT5_SW_jjP12ihipStream_tbEUlT_E_NS1_11comp_targetILNS1_3genE10ELNS1_11target_archE1200ELNS1_3gpuE4ELNS1_3repE0EEENS1_30default_config_static_selectorELNS0_4arch9wavefront6targetE0EEEvSK_
		.amdhsa_group_segment_fixed_size 0
		.amdhsa_private_segment_fixed_size 0
		.amdhsa_kernarg_size 96
		.amdhsa_user_sgpr_count 6
		.amdhsa_user_sgpr_private_segment_buffer 1
		.amdhsa_user_sgpr_dispatch_ptr 0
		.amdhsa_user_sgpr_queue_ptr 0
		.amdhsa_user_sgpr_kernarg_segment_ptr 1
		.amdhsa_user_sgpr_dispatch_id 0
		.amdhsa_user_sgpr_flat_scratch_init 0
		.amdhsa_user_sgpr_private_segment_size 0
		.amdhsa_wavefront_size32 1
		.amdhsa_uses_dynamic_stack 0
		.amdhsa_system_sgpr_private_segment_wavefront_offset 0
		.amdhsa_system_sgpr_workgroup_id_x 1
		.amdhsa_system_sgpr_workgroup_id_y 0
		.amdhsa_system_sgpr_workgroup_id_z 0
		.amdhsa_system_sgpr_workgroup_info 0
		.amdhsa_system_vgpr_workitem_id 0
		.amdhsa_next_free_vgpr 1
		.amdhsa_next_free_sgpr 1
		.amdhsa_reserve_vcc 0
		.amdhsa_reserve_flat_scratch 0
		.amdhsa_float_round_mode_32 0
		.amdhsa_float_round_mode_16_64 0
		.amdhsa_float_denorm_mode_32 3
		.amdhsa_float_denorm_mode_16_64 3
		.amdhsa_dx10_clamp 1
		.amdhsa_ieee_mode 1
		.amdhsa_fp16_overflow 0
		.amdhsa_workgroup_processor_mode 1
		.amdhsa_memory_ordered 1
		.amdhsa_forward_progress 1
		.amdhsa_shared_vgpr_count 0
		.amdhsa_exception_fp_ieee_invalid_op 0
		.amdhsa_exception_fp_denorm_src 0
		.amdhsa_exception_fp_ieee_div_zero 0
		.amdhsa_exception_fp_ieee_overflow 0
		.amdhsa_exception_fp_ieee_underflow 0
		.amdhsa_exception_fp_ieee_inexact 0
		.amdhsa_exception_int_div_zero 0
	.end_amdhsa_kernel
	.section	.text._ZN7rocprim17ROCPRIM_400000_NS6detail17trampoline_kernelINS0_14default_configENS1_36segmented_radix_sort_config_selectorIdlEEZNS1_25segmented_radix_sort_implIS3_Lb0EPKdPdPKlPlN2at6native12_GLOBAL__N_18offset_tEEE10hipError_tPvRmT1_PNSt15iterator_traitsISK_E10value_typeET2_T3_PNSL_ISQ_E10value_typeET4_jRbjT5_SW_jjP12ihipStream_tbEUlT_E_NS1_11comp_targetILNS1_3genE10ELNS1_11target_archE1200ELNS1_3gpuE4ELNS1_3repE0EEENS1_30default_config_static_selectorELNS0_4arch9wavefront6targetE0EEEvSK_,"axG",@progbits,_ZN7rocprim17ROCPRIM_400000_NS6detail17trampoline_kernelINS0_14default_configENS1_36segmented_radix_sort_config_selectorIdlEEZNS1_25segmented_radix_sort_implIS3_Lb0EPKdPdPKlPlN2at6native12_GLOBAL__N_18offset_tEEE10hipError_tPvRmT1_PNSt15iterator_traitsISK_E10value_typeET2_T3_PNSL_ISQ_E10value_typeET4_jRbjT5_SW_jjP12ihipStream_tbEUlT_E_NS1_11comp_targetILNS1_3genE10ELNS1_11target_archE1200ELNS1_3gpuE4ELNS1_3repE0EEENS1_30default_config_static_selectorELNS0_4arch9wavefront6targetE0EEEvSK_,comdat
.Lfunc_end1219:
	.size	_ZN7rocprim17ROCPRIM_400000_NS6detail17trampoline_kernelINS0_14default_configENS1_36segmented_radix_sort_config_selectorIdlEEZNS1_25segmented_radix_sort_implIS3_Lb0EPKdPdPKlPlN2at6native12_GLOBAL__N_18offset_tEEE10hipError_tPvRmT1_PNSt15iterator_traitsISK_E10value_typeET2_T3_PNSL_ISQ_E10value_typeET4_jRbjT5_SW_jjP12ihipStream_tbEUlT_E_NS1_11comp_targetILNS1_3genE10ELNS1_11target_archE1200ELNS1_3gpuE4ELNS1_3repE0EEENS1_30default_config_static_selectorELNS0_4arch9wavefront6targetE0EEEvSK_, .Lfunc_end1219-_ZN7rocprim17ROCPRIM_400000_NS6detail17trampoline_kernelINS0_14default_configENS1_36segmented_radix_sort_config_selectorIdlEEZNS1_25segmented_radix_sort_implIS3_Lb0EPKdPdPKlPlN2at6native12_GLOBAL__N_18offset_tEEE10hipError_tPvRmT1_PNSt15iterator_traitsISK_E10value_typeET2_T3_PNSL_ISQ_E10value_typeET4_jRbjT5_SW_jjP12ihipStream_tbEUlT_E_NS1_11comp_targetILNS1_3genE10ELNS1_11target_archE1200ELNS1_3gpuE4ELNS1_3repE0EEENS1_30default_config_static_selectorELNS0_4arch9wavefront6targetE0EEEvSK_
                                        ; -- End function
	.set _ZN7rocprim17ROCPRIM_400000_NS6detail17trampoline_kernelINS0_14default_configENS1_36segmented_radix_sort_config_selectorIdlEEZNS1_25segmented_radix_sort_implIS3_Lb0EPKdPdPKlPlN2at6native12_GLOBAL__N_18offset_tEEE10hipError_tPvRmT1_PNSt15iterator_traitsISK_E10value_typeET2_T3_PNSL_ISQ_E10value_typeET4_jRbjT5_SW_jjP12ihipStream_tbEUlT_E_NS1_11comp_targetILNS1_3genE10ELNS1_11target_archE1200ELNS1_3gpuE4ELNS1_3repE0EEENS1_30default_config_static_selectorELNS0_4arch9wavefront6targetE0EEEvSK_.num_vgpr, 0
	.set _ZN7rocprim17ROCPRIM_400000_NS6detail17trampoline_kernelINS0_14default_configENS1_36segmented_radix_sort_config_selectorIdlEEZNS1_25segmented_radix_sort_implIS3_Lb0EPKdPdPKlPlN2at6native12_GLOBAL__N_18offset_tEEE10hipError_tPvRmT1_PNSt15iterator_traitsISK_E10value_typeET2_T3_PNSL_ISQ_E10value_typeET4_jRbjT5_SW_jjP12ihipStream_tbEUlT_E_NS1_11comp_targetILNS1_3genE10ELNS1_11target_archE1200ELNS1_3gpuE4ELNS1_3repE0EEENS1_30default_config_static_selectorELNS0_4arch9wavefront6targetE0EEEvSK_.num_agpr, 0
	.set _ZN7rocprim17ROCPRIM_400000_NS6detail17trampoline_kernelINS0_14default_configENS1_36segmented_radix_sort_config_selectorIdlEEZNS1_25segmented_radix_sort_implIS3_Lb0EPKdPdPKlPlN2at6native12_GLOBAL__N_18offset_tEEE10hipError_tPvRmT1_PNSt15iterator_traitsISK_E10value_typeET2_T3_PNSL_ISQ_E10value_typeET4_jRbjT5_SW_jjP12ihipStream_tbEUlT_E_NS1_11comp_targetILNS1_3genE10ELNS1_11target_archE1200ELNS1_3gpuE4ELNS1_3repE0EEENS1_30default_config_static_selectorELNS0_4arch9wavefront6targetE0EEEvSK_.numbered_sgpr, 0
	.set _ZN7rocprim17ROCPRIM_400000_NS6detail17trampoline_kernelINS0_14default_configENS1_36segmented_radix_sort_config_selectorIdlEEZNS1_25segmented_radix_sort_implIS3_Lb0EPKdPdPKlPlN2at6native12_GLOBAL__N_18offset_tEEE10hipError_tPvRmT1_PNSt15iterator_traitsISK_E10value_typeET2_T3_PNSL_ISQ_E10value_typeET4_jRbjT5_SW_jjP12ihipStream_tbEUlT_E_NS1_11comp_targetILNS1_3genE10ELNS1_11target_archE1200ELNS1_3gpuE4ELNS1_3repE0EEENS1_30default_config_static_selectorELNS0_4arch9wavefront6targetE0EEEvSK_.num_named_barrier, 0
	.set _ZN7rocprim17ROCPRIM_400000_NS6detail17trampoline_kernelINS0_14default_configENS1_36segmented_radix_sort_config_selectorIdlEEZNS1_25segmented_radix_sort_implIS3_Lb0EPKdPdPKlPlN2at6native12_GLOBAL__N_18offset_tEEE10hipError_tPvRmT1_PNSt15iterator_traitsISK_E10value_typeET2_T3_PNSL_ISQ_E10value_typeET4_jRbjT5_SW_jjP12ihipStream_tbEUlT_E_NS1_11comp_targetILNS1_3genE10ELNS1_11target_archE1200ELNS1_3gpuE4ELNS1_3repE0EEENS1_30default_config_static_selectorELNS0_4arch9wavefront6targetE0EEEvSK_.private_seg_size, 0
	.set _ZN7rocprim17ROCPRIM_400000_NS6detail17trampoline_kernelINS0_14default_configENS1_36segmented_radix_sort_config_selectorIdlEEZNS1_25segmented_radix_sort_implIS3_Lb0EPKdPdPKlPlN2at6native12_GLOBAL__N_18offset_tEEE10hipError_tPvRmT1_PNSt15iterator_traitsISK_E10value_typeET2_T3_PNSL_ISQ_E10value_typeET4_jRbjT5_SW_jjP12ihipStream_tbEUlT_E_NS1_11comp_targetILNS1_3genE10ELNS1_11target_archE1200ELNS1_3gpuE4ELNS1_3repE0EEENS1_30default_config_static_selectorELNS0_4arch9wavefront6targetE0EEEvSK_.uses_vcc, 0
	.set _ZN7rocprim17ROCPRIM_400000_NS6detail17trampoline_kernelINS0_14default_configENS1_36segmented_radix_sort_config_selectorIdlEEZNS1_25segmented_radix_sort_implIS3_Lb0EPKdPdPKlPlN2at6native12_GLOBAL__N_18offset_tEEE10hipError_tPvRmT1_PNSt15iterator_traitsISK_E10value_typeET2_T3_PNSL_ISQ_E10value_typeET4_jRbjT5_SW_jjP12ihipStream_tbEUlT_E_NS1_11comp_targetILNS1_3genE10ELNS1_11target_archE1200ELNS1_3gpuE4ELNS1_3repE0EEENS1_30default_config_static_selectorELNS0_4arch9wavefront6targetE0EEEvSK_.uses_flat_scratch, 0
	.set _ZN7rocprim17ROCPRIM_400000_NS6detail17trampoline_kernelINS0_14default_configENS1_36segmented_radix_sort_config_selectorIdlEEZNS1_25segmented_radix_sort_implIS3_Lb0EPKdPdPKlPlN2at6native12_GLOBAL__N_18offset_tEEE10hipError_tPvRmT1_PNSt15iterator_traitsISK_E10value_typeET2_T3_PNSL_ISQ_E10value_typeET4_jRbjT5_SW_jjP12ihipStream_tbEUlT_E_NS1_11comp_targetILNS1_3genE10ELNS1_11target_archE1200ELNS1_3gpuE4ELNS1_3repE0EEENS1_30default_config_static_selectorELNS0_4arch9wavefront6targetE0EEEvSK_.has_dyn_sized_stack, 0
	.set _ZN7rocprim17ROCPRIM_400000_NS6detail17trampoline_kernelINS0_14default_configENS1_36segmented_radix_sort_config_selectorIdlEEZNS1_25segmented_radix_sort_implIS3_Lb0EPKdPdPKlPlN2at6native12_GLOBAL__N_18offset_tEEE10hipError_tPvRmT1_PNSt15iterator_traitsISK_E10value_typeET2_T3_PNSL_ISQ_E10value_typeET4_jRbjT5_SW_jjP12ihipStream_tbEUlT_E_NS1_11comp_targetILNS1_3genE10ELNS1_11target_archE1200ELNS1_3gpuE4ELNS1_3repE0EEENS1_30default_config_static_selectorELNS0_4arch9wavefront6targetE0EEEvSK_.has_recursion, 0
	.set _ZN7rocprim17ROCPRIM_400000_NS6detail17trampoline_kernelINS0_14default_configENS1_36segmented_radix_sort_config_selectorIdlEEZNS1_25segmented_radix_sort_implIS3_Lb0EPKdPdPKlPlN2at6native12_GLOBAL__N_18offset_tEEE10hipError_tPvRmT1_PNSt15iterator_traitsISK_E10value_typeET2_T3_PNSL_ISQ_E10value_typeET4_jRbjT5_SW_jjP12ihipStream_tbEUlT_E_NS1_11comp_targetILNS1_3genE10ELNS1_11target_archE1200ELNS1_3gpuE4ELNS1_3repE0EEENS1_30default_config_static_selectorELNS0_4arch9wavefront6targetE0EEEvSK_.has_indirect_call, 0
	.section	.AMDGPU.csdata,"",@progbits
; Kernel info:
; codeLenInByte = 0
; TotalNumSgprs: 0
; NumVgprs: 0
; ScratchSize: 0
; MemoryBound: 0
; FloatMode: 240
; IeeeMode: 1
; LDSByteSize: 0 bytes/workgroup (compile time only)
; SGPRBlocks: 0
; VGPRBlocks: 0
; NumSGPRsForWavesPerEU: 1
; NumVGPRsForWavesPerEU: 1
; Occupancy: 16
; WaveLimiterHint : 0
; COMPUTE_PGM_RSRC2:SCRATCH_EN: 0
; COMPUTE_PGM_RSRC2:USER_SGPR: 6
; COMPUTE_PGM_RSRC2:TRAP_HANDLER: 0
; COMPUTE_PGM_RSRC2:TGID_X_EN: 1
; COMPUTE_PGM_RSRC2:TGID_Y_EN: 0
; COMPUTE_PGM_RSRC2:TGID_Z_EN: 0
; COMPUTE_PGM_RSRC2:TIDIG_COMP_CNT: 0
	.section	.text._ZN7rocprim17ROCPRIM_400000_NS6detail17trampoline_kernelINS0_14default_configENS1_36segmented_radix_sort_config_selectorIdlEEZNS1_25segmented_radix_sort_implIS3_Lb0EPKdPdPKlPlN2at6native12_GLOBAL__N_18offset_tEEE10hipError_tPvRmT1_PNSt15iterator_traitsISK_E10value_typeET2_T3_PNSL_ISQ_E10value_typeET4_jRbjT5_SW_jjP12ihipStream_tbEUlT_E_NS1_11comp_targetILNS1_3genE9ELNS1_11target_archE1100ELNS1_3gpuE3ELNS1_3repE0EEENS1_30default_config_static_selectorELNS0_4arch9wavefront6targetE0EEEvSK_,"axG",@progbits,_ZN7rocprim17ROCPRIM_400000_NS6detail17trampoline_kernelINS0_14default_configENS1_36segmented_radix_sort_config_selectorIdlEEZNS1_25segmented_radix_sort_implIS3_Lb0EPKdPdPKlPlN2at6native12_GLOBAL__N_18offset_tEEE10hipError_tPvRmT1_PNSt15iterator_traitsISK_E10value_typeET2_T3_PNSL_ISQ_E10value_typeET4_jRbjT5_SW_jjP12ihipStream_tbEUlT_E_NS1_11comp_targetILNS1_3genE9ELNS1_11target_archE1100ELNS1_3gpuE3ELNS1_3repE0EEENS1_30default_config_static_selectorELNS0_4arch9wavefront6targetE0EEEvSK_,comdat
	.globl	_ZN7rocprim17ROCPRIM_400000_NS6detail17trampoline_kernelINS0_14default_configENS1_36segmented_radix_sort_config_selectorIdlEEZNS1_25segmented_radix_sort_implIS3_Lb0EPKdPdPKlPlN2at6native12_GLOBAL__N_18offset_tEEE10hipError_tPvRmT1_PNSt15iterator_traitsISK_E10value_typeET2_T3_PNSL_ISQ_E10value_typeET4_jRbjT5_SW_jjP12ihipStream_tbEUlT_E_NS1_11comp_targetILNS1_3genE9ELNS1_11target_archE1100ELNS1_3gpuE3ELNS1_3repE0EEENS1_30default_config_static_selectorELNS0_4arch9wavefront6targetE0EEEvSK_ ; -- Begin function _ZN7rocprim17ROCPRIM_400000_NS6detail17trampoline_kernelINS0_14default_configENS1_36segmented_radix_sort_config_selectorIdlEEZNS1_25segmented_radix_sort_implIS3_Lb0EPKdPdPKlPlN2at6native12_GLOBAL__N_18offset_tEEE10hipError_tPvRmT1_PNSt15iterator_traitsISK_E10value_typeET2_T3_PNSL_ISQ_E10value_typeET4_jRbjT5_SW_jjP12ihipStream_tbEUlT_E_NS1_11comp_targetILNS1_3genE9ELNS1_11target_archE1100ELNS1_3gpuE3ELNS1_3repE0EEENS1_30default_config_static_selectorELNS0_4arch9wavefront6targetE0EEEvSK_
	.p2align	8
	.type	_ZN7rocprim17ROCPRIM_400000_NS6detail17trampoline_kernelINS0_14default_configENS1_36segmented_radix_sort_config_selectorIdlEEZNS1_25segmented_radix_sort_implIS3_Lb0EPKdPdPKlPlN2at6native12_GLOBAL__N_18offset_tEEE10hipError_tPvRmT1_PNSt15iterator_traitsISK_E10value_typeET2_T3_PNSL_ISQ_E10value_typeET4_jRbjT5_SW_jjP12ihipStream_tbEUlT_E_NS1_11comp_targetILNS1_3genE9ELNS1_11target_archE1100ELNS1_3gpuE3ELNS1_3repE0EEENS1_30default_config_static_selectorELNS0_4arch9wavefront6targetE0EEEvSK_,@function
_ZN7rocprim17ROCPRIM_400000_NS6detail17trampoline_kernelINS0_14default_configENS1_36segmented_radix_sort_config_selectorIdlEEZNS1_25segmented_radix_sort_implIS3_Lb0EPKdPdPKlPlN2at6native12_GLOBAL__N_18offset_tEEE10hipError_tPvRmT1_PNSt15iterator_traitsISK_E10value_typeET2_T3_PNSL_ISQ_E10value_typeET4_jRbjT5_SW_jjP12ihipStream_tbEUlT_E_NS1_11comp_targetILNS1_3genE9ELNS1_11target_archE1100ELNS1_3gpuE3ELNS1_3repE0EEENS1_30default_config_static_selectorELNS0_4arch9wavefront6targetE0EEEvSK_: ; @_ZN7rocprim17ROCPRIM_400000_NS6detail17trampoline_kernelINS0_14default_configENS1_36segmented_radix_sort_config_selectorIdlEEZNS1_25segmented_radix_sort_implIS3_Lb0EPKdPdPKlPlN2at6native12_GLOBAL__N_18offset_tEEE10hipError_tPvRmT1_PNSt15iterator_traitsISK_E10value_typeET2_T3_PNSL_ISQ_E10value_typeET4_jRbjT5_SW_jjP12ihipStream_tbEUlT_E_NS1_11comp_targetILNS1_3genE9ELNS1_11target_archE1100ELNS1_3gpuE3ELNS1_3repE0EEENS1_30default_config_static_selectorELNS0_4arch9wavefront6targetE0EEEvSK_
; %bb.0:
	.section	.rodata,"a",@progbits
	.p2align	6, 0x0
	.amdhsa_kernel _ZN7rocprim17ROCPRIM_400000_NS6detail17trampoline_kernelINS0_14default_configENS1_36segmented_radix_sort_config_selectorIdlEEZNS1_25segmented_radix_sort_implIS3_Lb0EPKdPdPKlPlN2at6native12_GLOBAL__N_18offset_tEEE10hipError_tPvRmT1_PNSt15iterator_traitsISK_E10value_typeET2_T3_PNSL_ISQ_E10value_typeET4_jRbjT5_SW_jjP12ihipStream_tbEUlT_E_NS1_11comp_targetILNS1_3genE9ELNS1_11target_archE1100ELNS1_3gpuE3ELNS1_3repE0EEENS1_30default_config_static_selectorELNS0_4arch9wavefront6targetE0EEEvSK_
		.amdhsa_group_segment_fixed_size 0
		.amdhsa_private_segment_fixed_size 0
		.amdhsa_kernarg_size 96
		.amdhsa_user_sgpr_count 6
		.amdhsa_user_sgpr_private_segment_buffer 1
		.amdhsa_user_sgpr_dispatch_ptr 0
		.amdhsa_user_sgpr_queue_ptr 0
		.amdhsa_user_sgpr_kernarg_segment_ptr 1
		.amdhsa_user_sgpr_dispatch_id 0
		.amdhsa_user_sgpr_flat_scratch_init 0
		.amdhsa_user_sgpr_private_segment_size 0
		.amdhsa_wavefront_size32 1
		.amdhsa_uses_dynamic_stack 0
		.amdhsa_system_sgpr_private_segment_wavefront_offset 0
		.amdhsa_system_sgpr_workgroup_id_x 1
		.amdhsa_system_sgpr_workgroup_id_y 0
		.amdhsa_system_sgpr_workgroup_id_z 0
		.amdhsa_system_sgpr_workgroup_info 0
		.amdhsa_system_vgpr_workitem_id 0
		.amdhsa_next_free_vgpr 1
		.amdhsa_next_free_sgpr 1
		.amdhsa_reserve_vcc 0
		.amdhsa_reserve_flat_scratch 0
		.amdhsa_float_round_mode_32 0
		.amdhsa_float_round_mode_16_64 0
		.amdhsa_float_denorm_mode_32 3
		.amdhsa_float_denorm_mode_16_64 3
		.amdhsa_dx10_clamp 1
		.amdhsa_ieee_mode 1
		.amdhsa_fp16_overflow 0
		.amdhsa_workgroup_processor_mode 1
		.amdhsa_memory_ordered 1
		.amdhsa_forward_progress 1
		.amdhsa_shared_vgpr_count 0
		.amdhsa_exception_fp_ieee_invalid_op 0
		.amdhsa_exception_fp_denorm_src 0
		.amdhsa_exception_fp_ieee_div_zero 0
		.amdhsa_exception_fp_ieee_overflow 0
		.amdhsa_exception_fp_ieee_underflow 0
		.amdhsa_exception_fp_ieee_inexact 0
		.amdhsa_exception_int_div_zero 0
	.end_amdhsa_kernel
	.section	.text._ZN7rocprim17ROCPRIM_400000_NS6detail17trampoline_kernelINS0_14default_configENS1_36segmented_radix_sort_config_selectorIdlEEZNS1_25segmented_radix_sort_implIS3_Lb0EPKdPdPKlPlN2at6native12_GLOBAL__N_18offset_tEEE10hipError_tPvRmT1_PNSt15iterator_traitsISK_E10value_typeET2_T3_PNSL_ISQ_E10value_typeET4_jRbjT5_SW_jjP12ihipStream_tbEUlT_E_NS1_11comp_targetILNS1_3genE9ELNS1_11target_archE1100ELNS1_3gpuE3ELNS1_3repE0EEENS1_30default_config_static_selectorELNS0_4arch9wavefront6targetE0EEEvSK_,"axG",@progbits,_ZN7rocprim17ROCPRIM_400000_NS6detail17trampoline_kernelINS0_14default_configENS1_36segmented_radix_sort_config_selectorIdlEEZNS1_25segmented_radix_sort_implIS3_Lb0EPKdPdPKlPlN2at6native12_GLOBAL__N_18offset_tEEE10hipError_tPvRmT1_PNSt15iterator_traitsISK_E10value_typeET2_T3_PNSL_ISQ_E10value_typeET4_jRbjT5_SW_jjP12ihipStream_tbEUlT_E_NS1_11comp_targetILNS1_3genE9ELNS1_11target_archE1100ELNS1_3gpuE3ELNS1_3repE0EEENS1_30default_config_static_selectorELNS0_4arch9wavefront6targetE0EEEvSK_,comdat
.Lfunc_end1220:
	.size	_ZN7rocprim17ROCPRIM_400000_NS6detail17trampoline_kernelINS0_14default_configENS1_36segmented_radix_sort_config_selectorIdlEEZNS1_25segmented_radix_sort_implIS3_Lb0EPKdPdPKlPlN2at6native12_GLOBAL__N_18offset_tEEE10hipError_tPvRmT1_PNSt15iterator_traitsISK_E10value_typeET2_T3_PNSL_ISQ_E10value_typeET4_jRbjT5_SW_jjP12ihipStream_tbEUlT_E_NS1_11comp_targetILNS1_3genE9ELNS1_11target_archE1100ELNS1_3gpuE3ELNS1_3repE0EEENS1_30default_config_static_selectorELNS0_4arch9wavefront6targetE0EEEvSK_, .Lfunc_end1220-_ZN7rocprim17ROCPRIM_400000_NS6detail17trampoline_kernelINS0_14default_configENS1_36segmented_radix_sort_config_selectorIdlEEZNS1_25segmented_radix_sort_implIS3_Lb0EPKdPdPKlPlN2at6native12_GLOBAL__N_18offset_tEEE10hipError_tPvRmT1_PNSt15iterator_traitsISK_E10value_typeET2_T3_PNSL_ISQ_E10value_typeET4_jRbjT5_SW_jjP12ihipStream_tbEUlT_E_NS1_11comp_targetILNS1_3genE9ELNS1_11target_archE1100ELNS1_3gpuE3ELNS1_3repE0EEENS1_30default_config_static_selectorELNS0_4arch9wavefront6targetE0EEEvSK_
                                        ; -- End function
	.set _ZN7rocprim17ROCPRIM_400000_NS6detail17trampoline_kernelINS0_14default_configENS1_36segmented_radix_sort_config_selectorIdlEEZNS1_25segmented_radix_sort_implIS3_Lb0EPKdPdPKlPlN2at6native12_GLOBAL__N_18offset_tEEE10hipError_tPvRmT1_PNSt15iterator_traitsISK_E10value_typeET2_T3_PNSL_ISQ_E10value_typeET4_jRbjT5_SW_jjP12ihipStream_tbEUlT_E_NS1_11comp_targetILNS1_3genE9ELNS1_11target_archE1100ELNS1_3gpuE3ELNS1_3repE0EEENS1_30default_config_static_selectorELNS0_4arch9wavefront6targetE0EEEvSK_.num_vgpr, 0
	.set _ZN7rocprim17ROCPRIM_400000_NS6detail17trampoline_kernelINS0_14default_configENS1_36segmented_radix_sort_config_selectorIdlEEZNS1_25segmented_radix_sort_implIS3_Lb0EPKdPdPKlPlN2at6native12_GLOBAL__N_18offset_tEEE10hipError_tPvRmT1_PNSt15iterator_traitsISK_E10value_typeET2_T3_PNSL_ISQ_E10value_typeET4_jRbjT5_SW_jjP12ihipStream_tbEUlT_E_NS1_11comp_targetILNS1_3genE9ELNS1_11target_archE1100ELNS1_3gpuE3ELNS1_3repE0EEENS1_30default_config_static_selectorELNS0_4arch9wavefront6targetE0EEEvSK_.num_agpr, 0
	.set _ZN7rocprim17ROCPRIM_400000_NS6detail17trampoline_kernelINS0_14default_configENS1_36segmented_radix_sort_config_selectorIdlEEZNS1_25segmented_radix_sort_implIS3_Lb0EPKdPdPKlPlN2at6native12_GLOBAL__N_18offset_tEEE10hipError_tPvRmT1_PNSt15iterator_traitsISK_E10value_typeET2_T3_PNSL_ISQ_E10value_typeET4_jRbjT5_SW_jjP12ihipStream_tbEUlT_E_NS1_11comp_targetILNS1_3genE9ELNS1_11target_archE1100ELNS1_3gpuE3ELNS1_3repE0EEENS1_30default_config_static_selectorELNS0_4arch9wavefront6targetE0EEEvSK_.numbered_sgpr, 0
	.set _ZN7rocprim17ROCPRIM_400000_NS6detail17trampoline_kernelINS0_14default_configENS1_36segmented_radix_sort_config_selectorIdlEEZNS1_25segmented_radix_sort_implIS3_Lb0EPKdPdPKlPlN2at6native12_GLOBAL__N_18offset_tEEE10hipError_tPvRmT1_PNSt15iterator_traitsISK_E10value_typeET2_T3_PNSL_ISQ_E10value_typeET4_jRbjT5_SW_jjP12ihipStream_tbEUlT_E_NS1_11comp_targetILNS1_3genE9ELNS1_11target_archE1100ELNS1_3gpuE3ELNS1_3repE0EEENS1_30default_config_static_selectorELNS0_4arch9wavefront6targetE0EEEvSK_.num_named_barrier, 0
	.set _ZN7rocprim17ROCPRIM_400000_NS6detail17trampoline_kernelINS0_14default_configENS1_36segmented_radix_sort_config_selectorIdlEEZNS1_25segmented_radix_sort_implIS3_Lb0EPKdPdPKlPlN2at6native12_GLOBAL__N_18offset_tEEE10hipError_tPvRmT1_PNSt15iterator_traitsISK_E10value_typeET2_T3_PNSL_ISQ_E10value_typeET4_jRbjT5_SW_jjP12ihipStream_tbEUlT_E_NS1_11comp_targetILNS1_3genE9ELNS1_11target_archE1100ELNS1_3gpuE3ELNS1_3repE0EEENS1_30default_config_static_selectorELNS0_4arch9wavefront6targetE0EEEvSK_.private_seg_size, 0
	.set _ZN7rocprim17ROCPRIM_400000_NS6detail17trampoline_kernelINS0_14default_configENS1_36segmented_radix_sort_config_selectorIdlEEZNS1_25segmented_radix_sort_implIS3_Lb0EPKdPdPKlPlN2at6native12_GLOBAL__N_18offset_tEEE10hipError_tPvRmT1_PNSt15iterator_traitsISK_E10value_typeET2_T3_PNSL_ISQ_E10value_typeET4_jRbjT5_SW_jjP12ihipStream_tbEUlT_E_NS1_11comp_targetILNS1_3genE9ELNS1_11target_archE1100ELNS1_3gpuE3ELNS1_3repE0EEENS1_30default_config_static_selectorELNS0_4arch9wavefront6targetE0EEEvSK_.uses_vcc, 0
	.set _ZN7rocprim17ROCPRIM_400000_NS6detail17trampoline_kernelINS0_14default_configENS1_36segmented_radix_sort_config_selectorIdlEEZNS1_25segmented_radix_sort_implIS3_Lb0EPKdPdPKlPlN2at6native12_GLOBAL__N_18offset_tEEE10hipError_tPvRmT1_PNSt15iterator_traitsISK_E10value_typeET2_T3_PNSL_ISQ_E10value_typeET4_jRbjT5_SW_jjP12ihipStream_tbEUlT_E_NS1_11comp_targetILNS1_3genE9ELNS1_11target_archE1100ELNS1_3gpuE3ELNS1_3repE0EEENS1_30default_config_static_selectorELNS0_4arch9wavefront6targetE0EEEvSK_.uses_flat_scratch, 0
	.set _ZN7rocprim17ROCPRIM_400000_NS6detail17trampoline_kernelINS0_14default_configENS1_36segmented_radix_sort_config_selectorIdlEEZNS1_25segmented_radix_sort_implIS3_Lb0EPKdPdPKlPlN2at6native12_GLOBAL__N_18offset_tEEE10hipError_tPvRmT1_PNSt15iterator_traitsISK_E10value_typeET2_T3_PNSL_ISQ_E10value_typeET4_jRbjT5_SW_jjP12ihipStream_tbEUlT_E_NS1_11comp_targetILNS1_3genE9ELNS1_11target_archE1100ELNS1_3gpuE3ELNS1_3repE0EEENS1_30default_config_static_selectorELNS0_4arch9wavefront6targetE0EEEvSK_.has_dyn_sized_stack, 0
	.set _ZN7rocprim17ROCPRIM_400000_NS6detail17trampoline_kernelINS0_14default_configENS1_36segmented_radix_sort_config_selectorIdlEEZNS1_25segmented_radix_sort_implIS3_Lb0EPKdPdPKlPlN2at6native12_GLOBAL__N_18offset_tEEE10hipError_tPvRmT1_PNSt15iterator_traitsISK_E10value_typeET2_T3_PNSL_ISQ_E10value_typeET4_jRbjT5_SW_jjP12ihipStream_tbEUlT_E_NS1_11comp_targetILNS1_3genE9ELNS1_11target_archE1100ELNS1_3gpuE3ELNS1_3repE0EEENS1_30default_config_static_selectorELNS0_4arch9wavefront6targetE0EEEvSK_.has_recursion, 0
	.set _ZN7rocprim17ROCPRIM_400000_NS6detail17trampoline_kernelINS0_14default_configENS1_36segmented_radix_sort_config_selectorIdlEEZNS1_25segmented_radix_sort_implIS3_Lb0EPKdPdPKlPlN2at6native12_GLOBAL__N_18offset_tEEE10hipError_tPvRmT1_PNSt15iterator_traitsISK_E10value_typeET2_T3_PNSL_ISQ_E10value_typeET4_jRbjT5_SW_jjP12ihipStream_tbEUlT_E_NS1_11comp_targetILNS1_3genE9ELNS1_11target_archE1100ELNS1_3gpuE3ELNS1_3repE0EEENS1_30default_config_static_selectorELNS0_4arch9wavefront6targetE0EEEvSK_.has_indirect_call, 0
	.section	.AMDGPU.csdata,"",@progbits
; Kernel info:
; codeLenInByte = 0
; TotalNumSgprs: 0
; NumVgprs: 0
; ScratchSize: 0
; MemoryBound: 0
; FloatMode: 240
; IeeeMode: 1
; LDSByteSize: 0 bytes/workgroup (compile time only)
; SGPRBlocks: 0
; VGPRBlocks: 0
; NumSGPRsForWavesPerEU: 1
; NumVGPRsForWavesPerEU: 1
; Occupancy: 16
; WaveLimiterHint : 0
; COMPUTE_PGM_RSRC2:SCRATCH_EN: 0
; COMPUTE_PGM_RSRC2:USER_SGPR: 6
; COMPUTE_PGM_RSRC2:TRAP_HANDLER: 0
; COMPUTE_PGM_RSRC2:TGID_X_EN: 1
; COMPUTE_PGM_RSRC2:TGID_Y_EN: 0
; COMPUTE_PGM_RSRC2:TGID_Z_EN: 0
; COMPUTE_PGM_RSRC2:TIDIG_COMP_CNT: 0
	.text
	.p2align	2                               ; -- Begin function _ZN7rocprim17ROCPRIM_400000_NS6detail40segmented_radix_sort_single_block_helperIdlLj256ELj16ELb0EE4sortIPKdPdPKlPlEEbT_T0_T1_T2_jjjjRNS3_12storage_typeE
	.type	_ZN7rocprim17ROCPRIM_400000_NS6detail40segmented_radix_sort_single_block_helperIdlLj256ELj16ELb0EE4sortIPKdPdPKlPlEEbT_T0_T1_T2_jjjjRNS3_12storage_typeE,@function
_ZN7rocprim17ROCPRIM_400000_NS6detail40segmented_radix_sort_single_block_helperIdlLj256ELj16ELb0EE4sortIPKdPdPKlPlEEbT_T0_T1_T2_jjjjRNS3_12storage_typeE: ; @_ZN7rocprim17ROCPRIM_400000_NS6detail40segmented_radix_sort_single_block_helperIdlLj256ELj16ELb0EE4sortIPKdPdPKlPlEEbT_T0_T1_T2_jjjjRNS3_12storage_typeE
; %bb.0:
	s_waitcnt vmcnt(0) expcnt(0) lgkmcnt(0)
	buffer_store_dword v40, off, s[0:3], s32 offset:168 ; 4-byte Folded Spill
	buffer_store_dword v41, off, s[0:3], s32 offset:164 ; 4-byte Folded Spill
	;; [unrolled: 1-line block ×42, first 2 shown]
	buffer_store_dword v122, off, s[0:3], s32 ; 4-byte Folded Spill
	v_sub_nc_u32_e32 v119, v9, v8
	s_mov_b32 s24, exec_lo
	v_cmpx_gt_u32_e32 0x1001, v119
	s_cbranch_execz .LBB1221_372
; %bb.1:
	v_bfe_u32 v13, v31, 10, 10
	v_bfe_u32 v14, v31, 20, 10
	v_and_b32_e32 v21, 0x3ff, v31
	v_mbcnt_lo_u32_b32 v54, -1, 0
	s_mov_b32 s4, exec_lo
	v_cmpx_lt_u32_e32 0x800, v119
	s_xor_b32 s25, exec_lo, s4
	s_cbranch_execz .LBB1221_143
; %bb.2:
	s_load_dwordx2 s[4:5], s[8:9], 0x0
	v_mov_b32_e32 v9, 0
	v_lshlrev_b32_e32 v55, 3, v54
	v_lshlrev_b64 v[112:113], 3, v[8:9]
	v_add_co_u32 v0, vcc_lo, v0, v112
	v_add_co_ci_u32_e64 v1, null, v1, v113, vcc_lo
	v_add_co_u32 v0, vcc_lo, v0, v55
	v_add_co_ci_u32_e64 v1, null, 0, v1, vcc_lo
	s_waitcnt lgkmcnt(0)
	s_cmp_lt_u32 s13, s5
	s_cselect_b32 s5, 14, 20
	s_add_u32 s6, s8, s5
	s_addc_u32 s7, s9, 0
	s_cmp_lt_u32 s12, s4
	global_load_ushort v15, v9, s[6:7]
	s_cselect_b32 s4, 12, 18
	s_add_u32 s4, s8, s4
	s_addc_u32 s5, s9, 0
	global_load_ushort v16, v9, s[4:5]
	s_waitcnt vmcnt(1)
	v_mad_u32_u24 v13, v14, v15, v13
	v_bfrev_b32_e32 v14, -2
	s_waitcnt vmcnt(0)
	v_mad_u64_u32 v[114:115], null, v13, v16, v[21:22]
	v_mov_b32_e32 v13, -1
	v_lshlrev_b32_e32 v15, 4, v114
	v_and_b32_e32 v8, 0xfffffe00, v15
	v_lshlrev_b64 v[50:51], 3, v[8:9]
	v_or_b32_e32 v64, v8, v54
	v_cmp_lt_u32_e32 vcc_lo, v64, v119
	v_add_co_u32 v52, s4, v0, v50
	v_add_co_ci_u32_e64 v53, null, v1, v51, s4
	v_mov_b32_e32 v0, v13
	v_mov_b32_e32 v1, v14
	s_and_saveexec_b32 s4, vcc_lo
	s_cbranch_execz .LBB1221_4
; %bb.3:
	flat_load_dwordx2 v[0:1], v[52:53]
.LBB1221_4:
	s_or_b32 exec_lo, exec_lo, s4
	v_or_b32_e32 v8, 32, v64
	v_cmp_lt_u32_e64 s4, v8, v119
	s_and_saveexec_b32 s5, s4
	s_cbranch_execz .LBB1221_6
; %bb.5:
	flat_load_dwordx2 v[13:14], v[52:53] offset:256
.LBB1221_6:
	s_or_b32 exec_lo, exec_lo, s5
	v_or_b32_e32 v15, 64, v64
	v_bfrev_b32_e32 v9, -2
	v_mov_b32_e32 v8, -1
	v_cmp_lt_u32_e64 s5, v15, v119
	v_mov_b32_e32 v16, v9
	v_mov_b32_e32 v15, v8
	s_and_saveexec_b32 s6, s5
	s_cbranch_execz .LBB1221_8
; %bb.7:
	flat_load_dwordx2 v[15:16], v[52:53] offset:512
.LBB1221_8:
	s_or_b32 exec_lo, exec_lo, s6
	v_or_b32_e32 v17, 0x60, v64
	v_cmp_lt_u32_e64 s6, v17, v119
	s_and_saveexec_b32 s7, s6
	s_cbranch_execz .LBB1221_10
; %bb.9:
	flat_load_dwordx2 v[8:9], v[52:53] offset:768
.LBB1221_10:
	s_or_b32 exec_lo, exec_lo, s7
	v_or_b32_e32 v19, 0x80, v64
	v_bfrev_b32_e32 v18, -2
	v_mov_b32_e32 v17, -1
	v_cmp_lt_u32_e64 s7, v19, v119
	v_mov_b32_e32 v20, v18
	v_mov_b32_e32 v19, v17
	s_and_saveexec_b32 s10, s7
	s_cbranch_execz .LBB1221_12
; %bb.11:
	flat_load_dwordx2 v[19:20], v[52:53] offset:1024
.LBB1221_12:
	;; [unrolled: 20-line block ×3, first 2 shown]
	s_or_b32 exec_lo, exec_lo, s14
	v_or_b32_e32 v26, 0xe0, v64
	v_cmp_lt_u32_e64 s14, v26, v119
	s_and_saveexec_b32 s15, s14
	s_cbranch_execz .LBB1221_18
; %bb.17:
	flat_load_dwordx2 v[22:23], v[52:53] offset:1792
.LBB1221_18:
	s_or_b32 exec_lo, exec_lo, s15
	v_or_b32_e32 v28, 0x100, v64
	v_bfrev_b32_e32 v27, -2
	v_mov_b32_e32 v26, -1
	v_cmp_lt_u32_e64 s15, v28, v119
	v_mov_b32_e32 v29, v27
	v_mov_b32_e32 v28, v26
	s_and_saveexec_b32 s17, s15
	s_cbranch_execz .LBB1221_20
; %bb.19:
	v_add_co_u32 v28, s16, 0x800, v52
	v_add_co_ci_u32_e64 v29, null, 0, v53, s16
	flat_load_dwordx2 v[28:29], v[28:29]
.LBB1221_20:
	s_or_b32 exec_lo, exec_lo, s17
	v_or_b32_e32 v30, 0x120, v64
	v_cmp_lt_u32_e64 s16, v30, v119
	s_and_saveexec_b32 s18, s16
	s_cbranch_execz .LBB1221_22
; %bb.21:
	v_add_co_u32 v26, s17, 0x800, v52
	v_add_co_ci_u32_e64 v27, null, 0, v53, s17
	flat_load_dwordx2 v[26:27], v[26:27] offset:256
.LBB1221_22:
	s_or_b32 exec_lo, exec_lo, s18
	v_or_b32_e32 v32, 0x140, v64
	v_bfrev_b32_e32 v31, -2
	v_mov_b32_e32 v30, -1
	v_cmp_lt_u32_e64 s17, v32, v119
	v_mov_b32_e32 v33, v31
	v_mov_b32_e32 v32, v30
	s_and_saveexec_b32 s19, s17
	s_cbranch_execz .LBB1221_24
; %bb.23:
	v_add_co_u32 v32, s18, 0x800, v52
	v_add_co_ci_u32_e64 v33, null, 0, v53, s18
	flat_load_dwordx2 v[32:33], v[32:33] offset:512
.LBB1221_24:
	s_or_b32 exec_lo, exec_lo, s19
	v_or_b32_e32 v34, 0x160, v64
	v_cmp_lt_u32_e64 s18, v34, v119
	s_and_saveexec_b32 s20, s18
	s_cbranch_execz .LBB1221_26
; %bb.25:
	v_add_co_u32 v30, s19, 0x800, v52
	v_add_co_ci_u32_e64 v31, null, 0, v53, s19
	flat_load_dwordx2 v[30:31], v[30:31] offset:768
.LBB1221_26:
	s_or_b32 exec_lo, exec_lo, s20
	v_or_b32_e32 v36, 0x180, v64
	v_bfrev_b32_e32 v35, -2
	v_mov_b32_e32 v34, -1
	v_cmp_lt_u32_e64 s19, v36, v119
	v_mov_b32_e32 v37, v35
	v_mov_b32_e32 v36, v34
	s_and_saveexec_b32 s21, s19
	s_cbranch_execz .LBB1221_28
; %bb.27:
	v_add_co_u32 v36, s20, 0x800, v52
	v_add_co_ci_u32_e64 v37, null, 0, v53, s20
	flat_load_dwordx2 v[36:37], v[36:37] offset:1024
.LBB1221_28:
	;; [unrolled: 24-line block ×3, first 2 shown]
	s_or_b32 exec_lo, exec_lo, s23
	v_or_b32_e32 v64, 0x1e0, v64
	v_cmp_lt_u32_e64 s22, v64, v119
	s_and_saveexec_b32 s26, s22
	s_cbranch_execz .LBB1221_34
; %bb.33:
	v_add_co_u32 v38, s23, 0x800, v52
	v_add_co_ci_u32_e64 v39, null, 0, v53, s23
	flat_load_dwordx2 v[38:39], v[38:39] offset:1792
.LBB1221_34:
	s_or_b32 exec_lo, exec_lo, s26
	v_add_co_u32 v4, s23, v4, v112
	v_add_co_ci_u32_e64 v5, null, v5, v113, s23
                                        ; implicit-def: $vgpr117_vgpr118
	v_add_co_u32 v4, s23, v4, v55
	v_add_co_ci_u32_e64 v5, null, 0, v5, s23
	v_add_co_u32 v4, s23, v4, v50
	v_add_co_ci_u32_e64 v5, null, v5, v51, s23
	s_and_saveexec_b32 s23, vcc_lo
	s_cbranch_execnz .LBB1221_196
; %bb.35:
	s_or_b32 exec_lo, exec_lo, s23
                                        ; implicit-def: $vgpr130_vgpr131
	s_and_saveexec_b32 s23, s4
	s_cbranch_execnz .LBB1221_197
.LBB1221_36:
	s_or_b32 exec_lo, exec_lo, s23
                                        ; implicit-def: $vgpr134_vgpr135
	s_and_saveexec_b32 s4, s5
	s_cbranch_execnz .LBB1221_198
.LBB1221_37:
	s_or_b32 exec_lo, exec_lo, s4
                                        ; implicit-def: $vgpr128_vgpr129
	s_and_saveexec_b32 s4, s6
	s_cbranch_execnz .LBB1221_199
.LBB1221_38:
	s_or_b32 exec_lo, exec_lo, s4
                                        ; implicit-def: $vgpr132_vgpr133
	s_and_saveexec_b32 s4, s7
	s_cbranch_execnz .LBB1221_200
.LBB1221_39:
	s_or_b32 exec_lo, exec_lo, s4
                                        ; implicit-def: $vgpr144_vgpr145
	s_and_saveexec_b32 s4, s10
	s_cbranch_execnz .LBB1221_201
.LBB1221_40:
	s_or_b32 exec_lo, exec_lo, s4
                                        ; implicit-def: $vgpr146_vgpr147
	s_and_saveexec_b32 s4, s11
	s_cbranch_execnz .LBB1221_202
.LBB1221_41:
	s_or_b32 exec_lo, exec_lo, s4
                                        ; implicit-def: $vgpr148_vgpr149
	s_and_saveexec_b32 s4, s14
	s_cbranch_execnz .LBB1221_203
.LBB1221_42:
	s_or_b32 exec_lo, exec_lo, s4
                                        ; implicit-def: $vgpr150_vgpr151
	s_and_saveexec_b32 s4, s15
	s_cbranch_execnz .LBB1221_204
.LBB1221_43:
	s_or_b32 exec_lo, exec_lo, s4
                                        ; implicit-def: $vgpr160_vgpr161
	s_and_saveexec_b32 s4, s16
	s_cbranch_execnz .LBB1221_205
.LBB1221_44:
	s_or_b32 exec_lo, exec_lo, s4
                                        ; implicit-def: $vgpr162_vgpr163
	s_and_saveexec_b32 s4, s17
	s_cbranch_execnz .LBB1221_206
.LBB1221_45:
	s_or_b32 exec_lo, exec_lo, s4
                                        ; implicit-def: $vgpr164_vgpr165
	s_and_saveexec_b32 s4, s18
	s_cbranch_execnz .LBB1221_207
.LBB1221_46:
	s_or_b32 exec_lo, exec_lo, s4
                                        ; implicit-def: $vgpr166_vgpr167
	s_and_saveexec_b32 s4, s19
	s_cbranch_execnz .LBB1221_208
.LBB1221_47:
	s_or_b32 exec_lo, exec_lo, s4
                                        ; implicit-def: $vgpr176_vgpr177
	s_and_saveexec_b32 s4, s20
	s_cbranch_execnz .LBB1221_209
.LBB1221_48:
	s_or_b32 exec_lo, exec_lo, s4
                                        ; implicit-def: $vgpr180_vgpr181
	s_and_saveexec_b32 s4, s21
	s_cbranch_execnz .LBB1221_210
.LBB1221_49:
	s_or_b32 exec_lo, exec_lo, s4
                                        ; implicit-def: $vgpr196_vgpr197
	s_and_saveexec_b32 s4, s22
	s_cbranch_execz .LBB1221_51
.LBB1221_50:
	v_add_co_u32 v4, vcc_lo, 0x800, v4
	v_add_co_ci_u32_e64 v5, null, 0, v5, vcc_lo
	flat_load_dwordx2 v[196:197], v[4:5] offset:1792
.LBB1221_51:
	s_or_b32 exec_lo, exec_lo, s4
	s_waitcnt vmcnt(0) lgkmcnt(0)
	v_cmp_lt_i64_e32 vcc_lo, -1, v[0:1]
	v_ashrrev_i32_e32 v5, 31, v1
	s_getpc_b64 s[4:5]
	s_add_u32 s4, s4, _ZN7rocprim17ROCPRIM_400000_NS16block_radix_sortIdLj256ELj16ElLj1ELj1ELj8ELNS0_26block_radix_rank_algorithmE2ELNS0_18block_padding_hintE2ELNS0_4arch9wavefront6targetE0EE19radix_bits_per_passE@rel32@lo+4
	s_addc_u32 s5, s5, _ZN7rocprim17ROCPRIM_400000_NS16block_radix_sortIdLj256ELj16ElLj1ELj1ELj8ELNS0_26block_radix_rank_algorithmE2ELNS0_18block_padding_hintE2ELNS0_4arch9wavefront6targetE0EE19radix_bits_per_passE@rel32@hi+12
	v_lshrrev_b32_e32 v46, 5, v114
	s_load_dword s26, s[4:5], 0x0
	v_cmp_lt_u32_e64 s15, 31, v21
	v_cndmask_b32_e64 v4, -1, 0x80000000, vcc_lo
	v_cmp_lt_i64_e32 vcc_lo, -1, v[13:14]
	v_xor_b32_e32 v212, v5, v0
	v_ashrrev_i32_e32 v0, 31, v16
	v_cmp_eq_u32_e64 s16, 0, v21
	v_xor_b32_e32 v213, v4, v1
	v_ashrrev_i32_e32 v4, 31, v14
	v_cndmask_b32_e64 v1, -1, 0x80000000, vcc_lo
	v_cmp_lt_i64_e32 vcc_lo, -1, v[15:16]
	v_xor_b32_e32 v178, v0, v15
	v_ashrrev_i32_e32 v0, 31, v20
	v_xor_b32_e32 v182, v4, v13
	v_xor_b32_e32 v183, v1, v14
	v_ashrrev_i32_e32 v4, 31, v9
	v_cndmask_b32_e64 v50, -1, 0x80000000, vcc_lo
	v_cmp_lt_i64_e32 vcc_lo, -1, v[8:9]
	v_xor_b32_e32 v192, v0, v19
	v_ashrrev_i32_e32 v0, 31, v25
	v_xor_b32_e32 v194, v4, v8
	v_ashrrev_i32_e32 v4, 31, v18
	v_xor_b32_e32 v179, v50, v16
	v_cndmask_b32_e64 v1, -1, 0x80000000, vcc_lo
	v_cmp_lt_i64_e32 vcc_lo, -1, v[19:20]
	v_xor_b32_e32 v208, v0, v24
	v_ashrrev_i32_e32 v0, 31, v29
	v_xor_b32_e32 v198, v4, v17
	v_xor_b32_e32 v195, v1, v9
	v_ashrrev_i32_e32 v4, 31, v23
	v_cndmask_b32_e64 v5, -1, 0x80000000, vcc_lo
	v_cmp_lt_i64_e32 vcc_lo, -1, v[17:18]
	v_xor_b32_e32 v210, v0, v28
	v_ashrrev_i32_e32 v0, 31, v33
	v_xor_b32_e32 v226, v4, v22
	v_xor_b32_e32 v193, v5, v20
	v_ashrrev_i32_e32 v4, 31, v27
	v_cndmask_b32_e64 v1, -1, 0x80000000, vcc_lo
	v_cmp_lt_i64_e32 vcc_lo, -1, v[24:25]
	v_xor_b32_e32 v214, v0, v32
	v_ashrrev_i32_e32 v0, 31, v37
	v_xor_b32_e32 v228, v4, v26
	v_xor_b32_e32 v199, v1, v18
	v_ashrrev_i32_e32 v4, 31, v31
	v_cndmask_b32_e64 v5, -1, 0x80000000, vcc_lo
	v_cmp_lt_i64_e32 vcc_lo, -1, v[22:23]
	v_xor_b32_e32 v224, v0, v36
	v_ashrrev_i32_e32 v0, 31, v49
	v_xor_b32_e32 v230, v4, v30
	v_xor_b32_e32 v209, v5, v25
	v_ashrrev_i32_e32 v4, 31, v35
	v_cndmask_b32_e64 v1, -1, 0x80000000, vcc_lo
	v_cmp_lt_i64_e32 vcc_lo, -1, v[28:29]
	v_xor_b32_e32 v242, v0, v48
	v_and_b32_e32 v0, 0x3e0, v21
	v_xor_b32_e32 v240, v4, v34
	v_xor_b32_e32 v227, v1, v23
	v_ashrrev_i32_e32 v4, 31, v39
	v_cndmask_b32_e64 v5, -1, 0x80000000, vcc_lo
	v_cmp_lt_i64_e32 vcc_lo, -1, v[26:27]
	v_min_u32_e32 v0, 0xe0, v0
	v_lshl_add_u32 v57, v21, 2, v12
	v_xor_b32_e32 v244, v4, v38
	v_xor_b32_e32 v211, v5, v29
	v_and_b32_e32 v4, 16, v54
	v_cndmask_b32_e64 v1, -1, 0x80000000, vcc_lo
	v_cmp_lt_i64_e32 vcc_lo, -1, v[32:33]
	v_or_b32_e32 v0, 31, v0
	v_sub_nc_u32_e32 v91, v11, v10
	v_cmp_eq_u32_e64 s10, 0, v4
	v_xor_b32_e32 v229, v1, v27
	v_lshlrev_b32_e32 v4, 4, v21
	v_cndmask_b32_e64 v5, -1, 0x80000000, vcc_lo
	v_cmp_lt_i64_e32 vcc_lo, -1, v[30:31]
	v_cmp_eq_u32_e64 s11, v21, v0
	v_lshrrev_b32_e32 v0, 3, v21
	v_and_or_b32 v4, 0x3e00, v4, v54
	v_xor_b32_e32 v215, v5, v33
	s_mov_b32 s22, -1
	v_cndmask_b32_e64 v1, -1, 0x80000000, vcc_lo
	v_cmp_lt_i64_e32 vcc_lo, -1, v[36:37]
	v_and_b32_e32 v0, 0x7c, v0
	v_lshl_add_u32 v58, v4, 3, v12
	s_brev_b32 s23, -2
	v_xor_b32_e32 v231, v1, v31
	s_mov_b32 s27, 0
	v_cndmask_b32_e64 v5, -1, 0x80000000, vcc_lo
	v_cmp_lt_i64_e32 vcc_lo, -1, v[34:35]
	v_add_nc_u32_e32 v56, v12, v0
	v_add_nc_u32_e32 v60, 0x100, v58
	;; [unrolled: 1-line block ×3, first 2 shown]
	v_xor_b32_e32 v225, v5, v37
	v_add_nc_u32_e32 v62, 0x300, v58
	v_cndmask_b32_e64 v1, -1, 0x80000000, vcc_lo
	v_cmp_lt_i64_e32 vcc_lo, -1, v[48:49]
	v_add_nc_u32_e32 v59, -4, v56
	v_add_nc_u32_e32 v63, 0x400, v58
	v_add_nc_u32_e32 v72, 0x500, v58
	v_xor_b32_e32 v241, v1, v35
	v_add_nc_u32_e32 v73, 0x600, v58
	v_cndmask_b32_e64 v5, -1, 0x80000000, vcc_lo
	v_cmp_lt_i64_e32 vcc_lo, -1, v[38:39]
	v_add_nc_u32_e32 v74, 0x700, v58
	v_add_nc_u32_e32 v75, 0x800, v58
	;; [unrolled: 1-line block ×3, first 2 shown]
	v_xor_b32_e32 v243, v5, v49
	v_lshl_add_u32 v5, v21, 5, v12
	v_cndmask_b32_e64 v1, -1, 0x80000000, vcc_lo
	v_add_nc_u32_e32 v77, 0xa00, v58
	v_add_nc_u32_e32 v78, 0xb00, v58
	;; [unrolled: 1-line block ×11, first 2 shown]
	v_sub_co_u32 v5, s6, v54, 1
	v_xor_b32_e32 v245, v1, v39
	v_and_b32_e32 v1, 15, v54
	v_add_nc_u32_e32 v88, 0xd00, v58
	v_cmp_gt_i32_e64 s14, 0, v5
	v_add_nc_u32_e32 v89, 0xe00, v58
	v_add_nc_u32_e32 v90, 0xf00, v58
	v_cmp_eq_u32_e32 vcc_lo, 0, v1
	v_cmp_lt_u32_e64 s4, 1, v1
	v_cmp_lt_u32_e64 s5, 3, v1
	;; [unrolled: 1-line block ×3, first 2 shown]
	v_cndmask_b32_e64 v1, v5, v54, s14
	v_and_b32_e32 v5, 7, v54
	v_cmp_gt_u32_e64 s14, 8, v21
	s_waitcnt lgkmcnt(0)
	s_waitcnt_vscnt null, 0x0
	s_barrier
	v_lshlrev_b32_e32 v47, 2, v1
	v_mov_b32_e32 v1, 0
	v_cmp_eq_u32_e64 s17, 0, v5
	v_cmp_lt_u32_e64 s18, 1, v5
	v_cmp_lt_u32_e64 s19, 3, v5
	buffer_gl0_inv
	s_branch .LBB1221_53
.LBB1221_52:                            ;   in Loop: Header=BB1221_53 Depth=1
	s_or_b32 exec_lo, exec_lo, s21
	s_and_b32 s20, exec_lo, s28
	s_or_b32 s27, s20, s27
	s_andn2_b32 exec_lo, exec_lo, s27
	s_cbranch_execz .LBB1221_93
.LBB1221_53:                            ; =>This Inner Loop Header: Depth=1
	v_mov_b32_e32 v48, v212
	v_mov_b32_e32 v49, v213
	v_min_u32_e32 v0, s26, v91
	v_mov_b32_e32 v8, v130
	v_mov_b32_e32 v9, v131
	;; [unrolled: 1-line block ×3, first 2 shown]
	v_cmp_ne_u64_e64 s20, s[22:23], v[48:49]
	v_lshlrev_b32_e64 v0, v0, -1
	v_mov_b32_e32 v14, v118
	v_mov_b32_e32 v15, v128
	;; [unrolled: 1-line block ×4, first 2 shown]
	v_cndmask_b32_e64 v29, 0x80000000, v49, s20
	v_cndmask_b32_e64 v28, 0, v48, s20
	v_not_b32_e32 v130, v0
	v_mov_b32_e32 v19, v132
	v_mov_b32_e32 v17, v144
	;; [unrolled: 1-line block ×3, first 2 shown]
	v_lshrrev_b64 v[36:37], v10, v[28:29]
	v_mov_b32_e32 v24, v148
	v_mov_b32_e32 v22, v150
	;; [unrolled: 1-line block ×5, first 2 shown]
	v_and_b32_e32 v0, v36, v130
	v_mov_b32_e32 v28, v166
	v_mov_b32_e32 v115, v176
	;; [unrolled: 1-line block ×4, first 2 shown]
	v_and_b32_e32 v64, 1, v0
	v_lshlrev_b32_e32 v80, 30, v0
	v_lshlrev_b32_e32 v83, 29, v0
	;; [unrolled: 1-line block ×4, first 2 shown]
	v_add_co_u32 v81, s20, v64, -1
	v_cndmask_b32_e64 v70, 0, 1, s20
	v_not_b32_e32 v82, v80
	v_cmp_gt_i32_e64 s21, 0, v80
	v_not_b32_e32 v85, v83
	v_not_b32_e32 v96, v86
	v_cmp_ne_u32_e64 s20, 0, v70
	v_ashrrev_i32_e32 v82, 31, v82
	v_lshlrev_b32_e32 v99, 26, v0
	v_ashrrev_i32_e32 v85, 31, v85
	v_lshlrev_b32_e32 v117, 24, v0
	v_xor_b32_e32 v84, s20, v81
	v_xor_b32_e32 v87, s21, v82
	v_cmp_gt_i32_e64 s20, 0, v83
	v_mov_b32_e32 v50, v182
	v_not_b32_e32 v128, v117
	v_and_b32_e32 v84, exec_lo, v84
	v_mov_b32_e32 v54, v178
	v_xor_b32_e32 v98, s20, v85
	v_cmp_gt_i32_e64 s20, 0, v86
	v_ashrrev_i32_e32 v86, 31, v96
	v_and_b32_e32 v87, v84, v87
	v_not_b32_e32 v96, v97
	v_mov_b32_e32 v52, v194
	v_mov_b32_e32 v68, v192
	v_xor_b32_e32 v100, s20, v86
	v_and_b32_e32 v98, v87, v98
	v_cmp_gt_i32_e64 s20, 0, v97
	v_ashrrev_i32_e32 v96, 31, v96
	v_not_b32_e32 v97, v99
	v_mov_b32_e32 v66, v198
	v_and_b32_e32 v98, v98, v100
	v_lshlrev_b32_e32 v100, 25, v0
	v_xor_b32_e32 v101, s20, v96
	v_cmp_gt_i32_e64 s20, 0, v99
	v_ashrrev_i32_e32 v99, 31, v97
	v_lshl_add_u32 v0, v0, 3, v46
	v_not_b32_e32 v102, v100
	v_and_b32_e32 v101, v98, v101
	v_mov_b32_e32 v64, v208
	v_xor_b32_e32 v118, s20, v99
	v_cmp_gt_i32_e64 s20, 0, v100
	v_ashrrev_i32_e32 v100, 31, v102
	v_mov_b32_e32 v70, v226
	v_mov_b32_e32 v80, v210
	v_and_b32_e32 v118, v101, v118
	v_mov_b32_e32 v82, v228
	v_xor_b32_e32 v129, s20, v100
	v_cmp_gt_i32_e64 s20, 0, v117
	v_ashrrev_i32_e32 v117, 31, v128
	v_mov_b32_e32 v84, v214
	v_mov_b32_e32 v86, v230
	v_and_b32_e32 v118, v118, v129
	v_lshlrev_b64 v[128:129], 2, v[0:1]
	v_xor_b32_e32 v117, s20, v117
	v_mov_b32_e32 v96, v224
	v_mov_b32_e32 v98, v240
	;; [unrolled: 1-line block ×4, first 2 shown]
	v_and_b32_e32 v118, v118, v117
	v_add_co_u32 v117, null, v12, v128
	v_mov_b32_e32 v5, v135
	v_mov_b32_e32 v20, v133
	v_mbcnt_lo_u32_b32 v0, v118, 0
	v_cmp_ne_u32_e64 s21, 0, v118
	v_mov_b32_e32 v18, v145
	v_mov_b32_e32 v27, v147
	;; [unrolled: 1-line block ×3, first 2 shown]
	v_cmp_eq_u32_e64 s20, 0, v0
	v_mov_b32_e32 v23, v151
	v_mov_b32_e32 v35, v161
	;; [unrolled: 1-line block ×23, first 2 shown]
	v_add_co_u32 v117, null, v117, 32
	s_and_b32 s21, s21, s20
	ds_write_b32 v246, v1
	ds_write_b32 v247, v1
	;; [unrolled: 1-line block ×8, first 2 shown]
	s_waitcnt lgkmcnt(0)
	s_barrier
	buffer_gl0_inv
	; wave barrier
	s_and_saveexec_b32 s20, s21
; %bb.54:                               ;   in Loop: Header=BB1221_53 Depth=1
	v_bcnt_u32_b32 v118, v118, 0
	ds_write_b32 v117, v118
; %bb.55:                               ;   in Loop: Header=BB1221_53 Depth=1
	s_or_b32 exec_lo, exec_lo, s20
	v_cmp_ne_u64_e64 s20, s[22:23], v[50:51]
	; wave barrier
	v_cndmask_b32_e64 v129, 0x80000000, v51, s20
	v_cndmask_b32_e64 v128, 0, v50, s20
	v_lshrrev_b64 v[128:129], v10, v[128:129]
	v_and_b32_e32 v118, v128, v130
	v_and_b32_e32 v128, 1, v118
	v_lshlrev_b32_e32 v129, 30, v118
	v_lshlrev_b32_e32 v131, 29, v118
	;; [unrolled: 1-line block ×4, first 2 shown]
	v_add_co_u32 v128, s20, v128, -1
	v_cndmask_b32_e64 v133, 0, 1, s20
	v_not_b32_e32 v145, v129
	v_cmp_gt_i32_e64 s21, 0, v129
	v_not_b32_e32 v129, v131
	v_lshlrev_b32_e32 v135, 26, v118
	v_cmp_ne_u32_e64 s20, 0, v133
	v_ashrrev_i32_e32 v145, 31, v145
	v_lshlrev_b32_e32 v144, 25, v118
	v_ashrrev_i32_e32 v129, 31, v129
	v_lshlrev_b32_e32 v133, 24, v118
	v_xor_b32_e32 v128, s20, v128
	v_cmp_gt_i32_e64 s20, 0, v131
	v_not_b32_e32 v131, v132
	v_xor_b32_e32 v145, s21, v145
	v_cmp_gt_i32_e64 s21, 0, v132
	v_and_b32_e32 v128, exec_lo, v128
	v_not_b32_e32 v132, v134
	v_ashrrev_i32_e32 v131, 31, v131
	v_xor_b32_e32 v129, s20, v129
	v_cmp_gt_i32_e64 s20, 0, v134
	v_and_b32_e32 v128, v128, v145
	v_not_b32_e32 v134, v135
	v_ashrrev_i32_e32 v132, 31, v132
	v_xor_b32_e32 v131, s21, v131
	v_cmp_gt_i32_e64 s21, 0, v135
	v_and_b32_e32 v128, v128, v129
	;; [unrolled: 5-line block ×3, first 2 shown]
	v_not_b32_e32 v131, v133
	v_ashrrev_i32_e32 v129, 31, v129
	v_xor_b32_e32 v134, s21, v134
	v_lshl_add_u32 v118, v118, 3, v46
	v_and_b32_e32 v128, v128, v132
	v_cmp_gt_i32_e64 s21, 0, v133
	v_ashrrev_i32_e32 v131, 31, v131
	v_xor_b32_e32 v129, s20, v129
	v_lshl_add_u32 v132, v118, 2, v12
	v_and_b32_e32 v128, v128, v134
	v_xor_b32_e32 v131, s21, v131
	ds_read_b32 v118, v132 offset:32
	v_and_b32_e32 v128, v128, v129
	v_add_nc_u32_e32 v129, 32, v132
	; wave barrier
	v_and_b32_e32 v131, v128, v131
	v_mbcnt_lo_u32_b32 v128, v131, 0
	v_cmp_ne_u32_e64 s21, 0, v131
	v_cmp_eq_u32_e64 s20, 0, v128
	s_and_b32 s21, s21, s20
	s_and_saveexec_b32 s20, s21
	s_cbranch_execz .LBB1221_57
; %bb.56:                               ;   in Loop: Header=BB1221_53 Depth=1
	s_waitcnt lgkmcnt(0)
	v_bcnt_u32_b32 v131, v131, v118
	ds_write_b32 v129, v131
.LBB1221_57:                            ;   in Loop: Header=BB1221_53 Depth=1
	s_or_b32 exec_lo, exec_lo, s20
	v_cmp_ne_u64_e64 s20, s[22:23], v[54:55]
	; wave barrier
	v_cndmask_b32_e64 v132, 0x80000000, v55, s20
	v_cndmask_b32_e64 v131, 0, v54, s20
	v_lshrrev_b64 v[131:132], v10, v[131:132]
	v_and_b32_e32 v131, v131, v130
	v_and_b32_e32 v132, 1, v131
	v_lshlrev_b32_e32 v133, 30, v131
	v_lshlrev_b32_e32 v134, 29, v131
	;; [unrolled: 1-line block ×4, first 2 shown]
	v_add_co_u32 v132, s20, v132, -1
	v_cndmask_b32_e64 v144, 0, 1, s20
	v_not_b32_e32 v148, v133
	v_cmp_gt_i32_e64 s21, 0, v133
	v_not_b32_e32 v133, v134
	v_lshlrev_b32_e32 v146, 26, v131
	v_cmp_ne_u32_e64 s20, 0, v144
	v_ashrrev_i32_e32 v148, 31, v148
	v_lshlrev_b32_e32 v147, 25, v131
	v_ashrrev_i32_e32 v133, 31, v133
	v_lshlrev_b32_e32 v144, 24, v131
	v_xor_b32_e32 v132, s20, v132
	v_cmp_gt_i32_e64 s20, 0, v134
	v_not_b32_e32 v134, v135
	v_xor_b32_e32 v148, s21, v148
	v_cmp_gt_i32_e64 s21, 0, v135
	v_and_b32_e32 v132, exec_lo, v132
	v_not_b32_e32 v135, v145
	v_ashrrev_i32_e32 v134, 31, v134
	v_xor_b32_e32 v133, s20, v133
	v_cmp_gt_i32_e64 s20, 0, v145
	v_and_b32_e32 v132, v132, v148
	v_not_b32_e32 v145, v146
	v_ashrrev_i32_e32 v135, 31, v135
	v_xor_b32_e32 v134, s21, v134
	v_cmp_gt_i32_e64 s21, 0, v146
	v_and_b32_e32 v132, v132, v133
	;; [unrolled: 5-line block ×3, first 2 shown]
	v_not_b32_e32 v134, v144
	v_ashrrev_i32_e32 v133, 31, v133
	v_xor_b32_e32 v145, s21, v145
	v_lshl_add_u32 v131, v131, 3, v46
	v_and_b32_e32 v132, v132, v135
	v_cmp_gt_i32_e64 s21, 0, v144
	v_ashrrev_i32_e32 v134, 31, v134
	v_xor_b32_e32 v133, s20, v133
	v_lshl_add_u32 v135, v131, 2, v12
	v_and_b32_e32 v132, v132, v145
	v_xor_b32_e32 v134, s21, v134
	ds_read_b32 v131, v135 offset:32
	v_and_b32_e32 v132, v132, v133
	v_add_nc_u32_e32 v133, 32, v135
	; wave barrier
	v_and_b32_e32 v134, v132, v134
	v_mbcnt_lo_u32_b32 v132, v134, 0
	v_cmp_ne_u32_e64 s21, 0, v134
	v_cmp_eq_u32_e64 s20, 0, v132
	s_and_b32 s21, s21, s20
	s_and_saveexec_b32 s20, s21
	s_cbranch_execz .LBB1221_59
; %bb.58:                               ;   in Loop: Header=BB1221_53 Depth=1
	s_waitcnt lgkmcnt(0)
	v_bcnt_u32_b32 v134, v134, v131
	ds_write_b32 v133, v134
.LBB1221_59:                            ;   in Loop: Header=BB1221_53 Depth=1
	s_or_b32 exec_lo, exec_lo, s20
	v_cmp_ne_u64_e64 s20, s[22:23], v[52:53]
	; wave barrier
	v_cndmask_b32_e64 v135, 0x80000000, v53, s20
	v_cndmask_b32_e64 v134, 0, v52, s20
	v_lshrrev_b64 v[134:135], v10, v[134:135]
	v_and_b32_e32 v134, v134, v130
	v_and_b32_e32 v135, 1, v134
	v_lshlrev_b32_e32 v144, 30, v134
	v_lshlrev_b32_e32 v145, 29, v134
	v_lshlrev_b32_e32 v146, 28, v134
	v_lshlrev_b32_e32 v148, 27, v134
	v_add_co_u32 v135, s20, v135, -1
	v_cndmask_b32_e64 v147, 0, 1, s20
	v_not_b32_e32 v151, v144
	v_cmp_gt_i32_e64 s21, 0, v144
	v_not_b32_e32 v144, v145
	v_lshlrev_b32_e32 v149, 26, v134
	v_cmp_ne_u32_e64 s20, 0, v147
	v_ashrrev_i32_e32 v151, 31, v151
	v_lshlrev_b32_e32 v150, 25, v134
	v_ashrrev_i32_e32 v144, 31, v144
	v_lshlrev_b32_e32 v147, 24, v134
	v_xor_b32_e32 v135, s20, v135
	v_cmp_gt_i32_e64 s20, 0, v145
	v_not_b32_e32 v145, v146
	v_xor_b32_e32 v151, s21, v151
	v_cmp_gt_i32_e64 s21, 0, v146
	v_and_b32_e32 v135, exec_lo, v135
	v_not_b32_e32 v146, v148
	v_ashrrev_i32_e32 v145, 31, v145
	v_xor_b32_e32 v144, s20, v144
	v_cmp_gt_i32_e64 s20, 0, v148
	v_and_b32_e32 v135, v135, v151
	v_not_b32_e32 v148, v149
	v_ashrrev_i32_e32 v146, 31, v146
	v_xor_b32_e32 v145, s21, v145
	v_cmp_gt_i32_e64 s21, 0, v149
	v_and_b32_e32 v135, v135, v144
	;; [unrolled: 5-line block ×3, first 2 shown]
	v_not_b32_e32 v145, v147
	v_ashrrev_i32_e32 v144, 31, v144
	v_xor_b32_e32 v148, s21, v148
	v_lshl_add_u32 v134, v134, 3, v46
	v_and_b32_e32 v135, v135, v146
	v_cmp_gt_i32_e64 s21, 0, v147
	v_ashrrev_i32_e32 v145, 31, v145
	v_xor_b32_e32 v144, s20, v144
	v_lshl_add_u32 v146, v134, 2, v12
	v_and_b32_e32 v135, v135, v148
	v_xor_b32_e32 v145, s21, v145
	ds_read_b32 v134, v146 offset:32
	v_and_b32_e32 v135, v135, v144
	v_add_nc_u32_e32 v144, 32, v146
	; wave barrier
	v_and_b32_e32 v145, v135, v145
	v_mbcnt_lo_u32_b32 v135, v145, 0
	v_cmp_ne_u32_e64 s21, 0, v145
	v_cmp_eq_u32_e64 s20, 0, v135
	s_and_b32 s21, s21, s20
	s_and_saveexec_b32 s20, s21
	s_cbranch_execz .LBB1221_61
; %bb.60:                               ;   in Loop: Header=BB1221_53 Depth=1
	s_waitcnt lgkmcnt(0)
	v_bcnt_u32_b32 v145, v145, v134
	ds_write_b32 v144, v145
.LBB1221_61:                            ;   in Loop: Header=BB1221_53 Depth=1
	s_or_b32 exec_lo, exec_lo, s20
	v_cmp_ne_u64_e64 s20, s[22:23], v[68:69]
	; wave barrier
	v_cndmask_b32_e64 v146, 0x80000000, v69, s20
	v_cndmask_b32_e64 v145, 0, v68, s20
	v_lshrrev_b64 v[145:146], v10, v[145:146]
	v_and_b32_e32 v145, v145, v130
	v_and_b32_e32 v146, 1, v145
	v_lshlrev_b32_e32 v147, 30, v145
	v_lshlrev_b32_e32 v148, 29, v145
	;; [unrolled: 1-line block ×4, first 2 shown]
	v_add_co_u32 v146, s20, v146, -1
	v_cndmask_b32_e64 v150, 0, 1, s20
	v_not_b32_e32 v162, v147
	v_cmp_gt_i32_e64 s21, 0, v147
	v_not_b32_e32 v147, v148
	v_lshlrev_b32_e32 v160, 26, v145
	v_cmp_ne_u32_e64 s20, 0, v150
	v_ashrrev_i32_e32 v162, 31, v162
	v_lshlrev_b32_e32 v161, 25, v145
	v_ashrrev_i32_e32 v147, 31, v147
	v_lshlrev_b32_e32 v150, 24, v145
	v_xor_b32_e32 v146, s20, v146
	v_cmp_gt_i32_e64 s20, 0, v148
	v_not_b32_e32 v148, v149
	v_xor_b32_e32 v162, s21, v162
	v_cmp_gt_i32_e64 s21, 0, v149
	v_and_b32_e32 v146, exec_lo, v146
	v_not_b32_e32 v149, v151
	v_ashrrev_i32_e32 v148, 31, v148
	v_xor_b32_e32 v147, s20, v147
	v_cmp_gt_i32_e64 s20, 0, v151
	v_and_b32_e32 v146, v146, v162
	v_not_b32_e32 v151, v160
	v_ashrrev_i32_e32 v149, 31, v149
	v_xor_b32_e32 v148, s21, v148
	v_cmp_gt_i32_e64 s21, 0, v160
	v_and_b32_e32 v146, v146, v147
	;; [unrolled: 5-line block ×3, first 2 shown]
	v_not_b32_e32 v148, v150
	v_ashrrev_i32_e32 v147, 31, v147
	v_xor_b32_e32 v151, s21, v151
	v_lshl_add_u32 v145, v145, 3, v46
	v_and_b32_e32 v146, v146, v149
	v_cmp_gt_i32_e64 s21, 0, v150
	v_ashrrev_i32_e32 v148, 31, v148
	v_xor_b32_e32 v147, s20, v147
	v_lshl_add_u32 v149, v145, 2, v12
	v_and_b32_e32 v146, v146, v151
	v_xor_b32_e32 v148, s21, v148
	ds_read_b32 v145, v149 offset:32
	v_and_b32_e32 v146, v146, v147
	v_add_nc_u32_e32 v147, 32, v149
	; wave barrier
	v_and_b32_e32 v148, v146, v148
	v_mbcnt_lo_u32_b32 v146, v148, 0
	v_cmp_ne_u32_e64 s21, 0, v148
	v_cmp_eq_u32_e64 s20, 0, v146
	s_and_b32 s21, s21, s20
	s_and_saveexec_b32 s20, s21
	s_cbranch_execz .LBB1221_63
; %bb.62:                               ;   in Loop: Header=BB1221_53 Depth=1
	s_waitcnt lgkmcnt(0)
	v_bcnt_u32_b32 v148, v148, v145
	ds_write_b32 v147, v148
.LBB1221_63:                            ;   in Loop: Header=BB1221_53 Depth=1
	s_or_b32 exec_lo, exec_lo, s20
	v_cmp_ne_u64_e64 s20, s[22:23], v[66:67]
	; wave barrier
	v_cndmask_b32_e64 v149, 0x80000000, v67, s20
	v_cndmask_b32_e64 v148, 0, v66, s20
	v_lshrrev_b64 v[148:149], v10, v[148:149]
	v_and_b32_e32 v148, v148, v130
	v_and_b32_e32 v149, 1, v148
	v_lshlrev_b32_e32 v150, 30, v148
	v_lshlrev_b32_e32 v151, 29, v148
	;; [unrolled: 1-line block ×4, first 2 shown]
	v_add_co_u32 v149, s20, v149, -1
	v_cndmask_b32_e64 v161, 0, 1, s20
	v_not_b32_e32 v165, v150
	v_cmp_gt_i32_e64 s21, 0, v150
	v_not_b32_e32 v150, v151
	v_lshlrev_b32_e32 v163, 26, v148
	v_cmp_ne_u32_e64 s20, 0, v161
	v_ashrrev_i32_e32 v165, 31, v165
	v_lshlrev_b32_e32 v164, 25, v148
	v_ashrrev_i32_e32 v150, 31, v150
	v_lshlrev_b32_e32 v161, 24, v148
	v_xor_b32_e32 v149, s20, v149
	v_cmp_gt_i32_e64 s20, 0, v151
	v_not_b32_e32 v151, v160
	v_xor_b32_e32 v165, s21, v165
	v_cmp_gt_i32_e64 s21, 0, v160
	v_and_b32_e32 v149, exec_lo, v149
	v_not_b32_e32 v160, v162
	v_ashrrev_i32_e32 v151, 31, v151
	v_xor_b32_e32 v150, s20, v150
	v_cmp_gt_i32_e64 s20, 0, v162
	v_and_b32_e32 v149, v149, v165
	v_not_b32_e32 v162, v163
	v_ashrrev_i32_e32 v160, 31, v160
	v_xor_b32_e32 v151, s21, v151
	v_cmp_gt_i32_e64 s21, 0, v163
	v_and_b32_e32 v149, v149, v150
	;; [unrolled: 5-line block ×3, first 2 shown]
	v_not_b32_e32 v151, v161
	v_ashrrev_i32_e32 v150, 31, v150
	v_xor_b32_e32 v162, s21, v162
	v_lshl_add_u32 v148, v148, 3, v46
	v_and_b32_e32 v149, v149, v160
	v_cmp_gt_i32_e64 s21, 0, v161
	v_ashrrev_i32_e32 v151, 31, v151
	v_xor_b32_e32 v150, s20, v150
	v_lshl_add_u32 v160, v148, 2, v12
	v_and_b32_e32 v149, v149, v162
	v_xor_b32_e32 v151, s21, v151
	ds_read_b32 v148, v160 offset:32
	v_and_b32_e32 v149, v149, v150
	v_add_nc_u32_e32 v150, 32, v160
	; wave barrier
	v_and_b32_e32 v151, v149, v151
	v_mbcnt_lo_u32_b32 v149, v151, 0
	v_cmp_ne_u32_e64 s21, 0, v151
	v_cmp_eq_u32_e64 s20, 0, v149
	s_and_b32 s21, s21, s20
	s_and_saveexec_b32 s20, s21
	s_cbranch_execz .LBB1221_65
; %bb.64:                               ;   in Loop: Header=BB1221_53 Depth=1
	s_waitcnt lgkmcnt(0)
	v_bcnt_u32_b32 v151, v151, v148
	ds_write_b32 v150, v151
.LBB1221_65:                            ;   in Loop: Header=BB1221_53 Depth=1
	s_or_b32 exec_lo, exec_lo, s20
	v_cmp_ne_u64_e64 s20, s[22:23], v[64:65]
	; wave barrier
	v_cndmask_b32_e64 v161, 0x80000000, v65, s20
	v_cndmask_b32_e64 v160, 0, v64, s20
	v_lshrrev_b64 v[160:161], v10, v[160:161]
	v_and_b32_e32 v151, v160, v130
	v_and_b32_e32 v160, 1, v151
	v_lshlrev_b32_e32 v161, 30, v151
	v_lshlrev_b32_e32 v162, 29, v151
	;; [unrolled: 1-line block ×4, first 2 shown]
	v_add_co_u32 v160, s20, v160, -1
	v_cndmask_b32_e64 v164, 0, 1, s20
	v_not_b32_e32 v176, v161
	v_cmp_gt_i32_e64 s21, 0, v161
	v_not_b32_e32 v161, v162
	v_lshlrev_b32_e32 v166, 26, v151
	v_cmp_ne_u32_e64 s20, 0, v164
	v_ashrrev_i32_e32 v176, 31, v176
	v_lshlrev_b32_e32 v167, 25, v151
	v_ashrrev_i32_e32 v161, 31, v161
	v_lshlrev_b32_e32 v164, 24, v151
	v_xor_b32_e32 v160, s20, v160
	v_cmp_gt_i32_e64 s20, 0, v162
	v_not_b32_e32 v162, v163
	v_xor_b32_e32 v176, s21, v176
	v_cmp_gt_i32_e64 s21, 0, v163
	v_and_b32_e32 v160, exec_lo, v160
	v_not_b32_e32 v163, v165
	v_ashrrev_i32_e32 v162, 31, v162
	v_xor_b32_e32 v161, s20, v161
	v_cmp_gt_i32_e64 s20, 0, v165
	v_and_b32_e32 v160, v160, v176
	v_not_b32_e32 v165, v166
	v_ashrrev_i32_e32 v163, 31, v163
	v_xor_b32_e32 v162, s21, v162
	v_cmp_gt_i32_e64 s21, 0, v166
	v_and_b32_e32 v160, v160, v161
	;; [unrolled: 5-line block ×3, first 2 shown]
	v_not_b32_e32 v162, v164
	v_ashrrev_i32_e32 v161, 31, v161
	v_xor_b32_e32 v165, s21, v165
	v_lshl_add_u32 v151, v151, 3, v46
	v_and_b32_e32 v160, v160, v163
	v_cmp_gt_i32_e64 s21, 0, v164
	v_ashrrev_i32_e32 v162, 31, v162
	v_xor_b32_e32 v161, s20, v161
	v_lshl_add_u32 v163, v151, 2, v12
	v_and_b32_e32 v160, v160, v165
	v_xor_b32_e32 v162, s21, v162
	ds_read_b32 v151, v163 offset:32
	v_and_b32_e32 v160, v160, v161
	v_add_nc_u32_e32 v161, 32, v163
	; wave barrier
	v_and_b32_e32 v162, v160, v162
	v_mbcnt_lo_u32_b32 v160, v162, 0
	v_cmp_ne_u32_e64 s21, 0, v162
	v_cmp_eq_u32_e64 s20, 0, v160
	s_and_b32 s21, s21, s20
	s_and_saveexec_b32 s20, s21
	s_cbranch_execz .LBB1221_67
; %bb.66:                               ;   in Loop: Header=BB1221_53 Depth=1
	s_waitcnt lgkmcnt(0)
	v_bcnt_u32_b32 v162, v162, v151
	ds_write_b32 v161, v162
.LBB1221_67:                            ;   in Loop: Header=BB1221_53 Depth=1
	s_or_b32 exec_lo, exec_lo, s20
	v_cmp_ne_u64_e64 s20, s[22:23], v[70:71]
	; wave barrier
	v_cndmask_b32_e64 v163, 0x80000000, v71, s20
	v_cndmask_b32_e64 v162, 0, v70, s20
	v_lshrrev_b64 v[162:163], v10, v[162:163]
	v_and_b32_e32 v162, v162, v130
	v_and_b32_e32 v163, 1, v162
	v_lshlrev_b32_e32 v164, 30, v162
	v_lshlrev_b32_e32 v165, 29, v162
	;; [unrolled: 1-line block ×4, first 2 shown]
	v_add_co_u32 v163, s20, v163, -1
	v_cndmask_b32_e64 v167, 0, 1, s20
	v_not_b32_e32 v179, v164
	v_cmp_gt_i32_e64 s21, 0, v164
	v_not_b32_e32 v164, v165
	v_lshlrev_b32_e32 v177, 26, v162
	v_cmp_ne_u32_e64 s20, 0, v167
	v_ashrrev_i32_e32 v179, 31, v179
	v_lshlrev_b32_e32 v178, 25, v162
	v_ashrrev_i32_e32 v164, 31, v164
	v_lshlrev_b32_e32 v167, 24, v162
	v_xor_b32_e32 v163, s20, v163
	v_cmp_gt_i32_e64 s20, 0, v165
	v_not_b32_e32 v165, v166
	v_xor_b32_e32 v179, s21, v179
	v_cmp_gt_i32_e64 s21, 0, v166
	v_and_b32_e32 v163, exec_lo, v163
	v_not_b32_e32 v166, v176
	v_ashrrev_i32_e32 v165, 31, v165
	v_xor_b32_e32 v164, s20, v164
	v_cmp_gt_i32_e64 s20, 0, v176
	v_and_b32_e32 v163, v163, v179
	v_not_b32_e32 v176, v177
	v_ashrrev_i32_e32 v166, 31, v166
	v_xor_b32_e32 v165, s21, v165
	v_cmp_gt_i32_e64 s21, 0, v177
	v_and_b32_e32 v163, v163, v164
	;; [unrolled: 5-line block ×3, first 2 shown]
	v_not_b32_e32 v165, v167
	v_ashrrev_i32_e32 v164, 31, v164
	v_xor_b32_e32 v176, s21, v176
	v_lshl_add_u32 v162, v162, 3, v46
	v_and_b32_e32 v163, v163, v166
	v_cmp_gt_i32_e64 s21, 0, v167
	v_ashrrev_i32_e32 v165, 31, v165
	v_xor_b32_e32 v164, s20, v164
	v_lshl_add_u32 v166, v162, 2, v12
	v_and_b32_e32 v163, v163, v176
	v_xor_b32_e32 v165, s21, v165
	ds_read_b32 v162, v166 offset:32
	v_and_b32_e32 v163, v163, v164
	v_add_nc_u32_e32 v164, 32, v166
	; wave barrier
	v_and_b32_e32 v165, v163, v165
	v_mbcnt_lo_u32_b32 v163, v165, 0
	v_cmp_ne_u32_e64 s21, 0, v165
	v_cmp_eq_u32_e64 s20, 0, v163
	s_and_b32 s21, s21, s20
	s_and_saveexec_b32 s20, s21
	s_cbranch_execz .LBB1221_69
; %bb.68:                               ;   in Loop: Header=BB1221_53 Depth=1
	s_waitcnt lgkmcnt(0)
	v_bcnt_u32_b32 v165, v165, v162
	ds_write_b32 v164, v165
.LBB1221_69:                            ;   in Loop: Header=BB1221_53 Depth=1
	s_or_b32 exec_lo, exec_lo, s20
	v_cmp_ne_u64_e64 s20, s[22:23], v[80:81]
	; wave barrier
	v_cndmask_b32_e64 v166, 0x80000000, v81, s20
	v_cndmask_b32_e64 v165, 0, v80, s20
	v_lshrrev_b64 v[165:166], v10, v[165:166]
	v_and_b32_e32 v165, v165, v130
	v_and_b32_e32 v166, 1, v165
	v_lshlrev_b32_e32 v167, 30, v165
	v_lshlrev_b32_e32 v176, 29, v165
	;; [unrolled: 1-line block ×4, first 2 shown]
	v_add_co_u32 v166, s20, v166, -1
	v_cndmask_b32_e64 v178, 0, 1, s20
	v_not_b32_e32 v182, v167
	v_cmp_gt_i32_e64 s21, 0, v167
	v_not_b32_e32 v167, v176
	v_lshlrev_b32_e32 v180, 26, v165
	v_cmp_ne_u32_e64 s20, 0, v178
	v_ashrrev_i32_e32 v182, 31, v182
	v_lshlrev_b32_e32 v181, 25, v165
	v_ashrrev_i32_e32 v167, 31, v167
	v_lshlrev_b32_e32 v178, 24, v165
	v_xor_b32_e32 v166, s20, v166
	v_cmp_gt_i32_e64 s20, 0, v176
	v_not_b32_e32 v176, v177
	v_xor_b32_e32 v182, s21, v182
	v_cmp_gt_i32_e64 s21, 0, v177
	v_and_b32_e32 v166, exec_lo, v166
	v_not_b32_e32 v177, v179
	v_ashrrev_i32_e32 v176, 31, v176
	v_xor_b32_e32 v167, s20, v167
	v_cmp_gt_i32_e64 s20, 0, v179
	v_and_b32_e32 v166, v166, v182
	v_not_b32_e32 v179, v180
	v_ashrrev_i32_e32 v177, 31, v177
	v_xor_b32_e32 v176, s21, v176
	v_cmp_gt_i32_e64 s21, 0, v180
	v_and_b32_e32 v166, v166, v167
	;; [unrolled: 5-line block ×3, first 2 shown]
	v_not_b32_e32 v176, v178
	v_ashrrev_i32_e32 v167, 31, v167
	v_xor_b32_e32 v179, s21, v179
	v_lshl_add_u32 v165, v165, 3, v46
	v_and_b32_e32 v166, v166, v177
	v_cmp_gt_i32_e64 s21, 0, v178
	v_ashrrev_i32_e32 v176, 31, v176
	v_xor_b32_e32 v167, s20, v167
	v_lshl_add_u32 v177, v165, 2, v12
	v_and_b32_e32 v166, v166, v179
	v_xor_b32_e32 v176, s21, v176
	ds_read_b32 v165, v177 offset:32
	v_and_b32_e32 v166, v166, v167
	v_add_nc_u32_e32 v167, 32, v177
	; wave barrier
	v_and_b32_e32 v176, v166, v176
	v_mbcnt_lo_u32_b32 v166, v176, 0
	v_cmp_ne_u32_e64 s21, 0, v176
	v_cmp_eq_u32_e64 s20, 0, v166
	s_and_b32 s21, s21, s20
	s_and_saveexec_b32 s20, s21
	s_cbranch_execz .LBB1221_71
; %bb.70:                               ;   in Loop: Header=BB1221_53 Depth=1
	s_waitcnt lgkmcnt(0)
	v_bcnt_u32_b32 v176, v176, v165
	ds_write_b32 v167, v176
.LBB1221_71:                            ;   in Loop: Header=BB1221_53 Depth=1
	s_or_b32 exec_lo, exec_lo, s20
	v_cmp_ne_u64_e64 s20, s[22:23], v[82:83]
	; wave barrier
	v_cndmask_b32_e64 v177, 0x80000000, v83, s20
	v_cndmask_b32_e64 v176, 0, v82, s20
	v_lshrrev_b64 v[176:177], v10, v[176:177]
	v_and_b32_e32 v176, v176, v130
	v_and_b32_e32 v177, 1, v176
	v_lshlrev_b32_e32 v178, 30, v176
	v_lshlrev_b32_e32 v179, 29, v176
	;; [unrolled: 1-line block ×4, first 2 shown]
	v_add_co_u32 v177, s20, v177, -1
	v_cndmask_b32_e64 v181, 0, 1, s20
	v_not_b32_e32 v193, v178
	v_cmp_gt_i32_e64 s21, 0, v178
	v_not_b32_e32 v178, v179
	v_lshlrev_b32_e32 v183, 26, v176
	v_cmp_ne_u32_e64 s20, 0, v181
	v_ashrrev_i32_e32 v193, 31, v193
	v_lshlrev_b32_e32 v192, 25, v176
	v_ashrrev_i32_e32 v178, 31, v178
	v_lshlrev_b32_e32 v181, 24, v176
	v_xor_b32_e32 v177, s20, v177
	v_cmp_gt_i32_e64 s20, 0, v179
	v_not_b32_e32 v179, v180
	v_xor_b32_e32 v193, s21, v193
	v_cmp_gt_i32_e64 s21, 0, v180
	v_and_b32_e32 v177, exec_lo, v177
	v_not_b32_e32 v180, v182
	v_ashrrev_i32_e32 v179, 31, v179
	v_xor_b32_e32 v178, s20, v178
	v_cmp_gt_i32_e64 s20, 0, v182
	v_and_b32_e32 v177, v177, v193
	v_not_b32_e32 v182, v183
	v_ashrrev_i32_e32 v180, 31, v180
	v_xor_b32_e32 v179, s21, v179
	v_cmp_gt_i32_e64 s21, 0, v183
	v_and_b32_e32 v177, v177, v178
	;; [unrolled: 5-line block ×3, first 2 shown]
	v_not_b32_e32 v179, v181
	v_ashrrev_i32_e32 v178, 31, v178
	v_xor_b32_e32 v182, s21, v182
	v_lshl_add_u32 v176, v176, 3, v46
	v_and_b32_e32 v177, v177, v180
	v_cmp_gt_i32_e64 s21, 0, v181
	v_ashrrev_i32_e32 v179, 31, v179
	v_xor_b32_e32 v178, s20, v178
	v_lshl_add_u32 v180, v176, 2, v12
	v_and_b32_e32 v177, v177, v182
	v_xor_b32_e32 v179, s21, v179
	ds_read_b32 v176, v180 offset:32
	v_and_b32_e32 v177, v177, v178
	v_add_nc_u32_e32 v178, 32, v180
	; wave barrier
	v_and_b32_e32 v179, v177, v179
	v_mbcnt_lo_u32_b32 v177, v179, 0
	v_cmp_ne_u32_e64 s21, 0, v179
	v_cmp_eq_u32_e64 s20, 0, v177
	s_and_b32 s21, s21, s20
	s_and_saveexec_b32 s20, s21
	s_cbranch_execz .LBB1221_73
; %bb.72:                               ;   in Loop: Header=BB1221_53 Depth=1
	s_waitcnt lgkmcnt(0)
	v_bcnt_u32_b32 v179, v179, v176
	ds_write_b32 v178, v179
.LBB1221_73:                            ;   in Loop: Header=BB1221_53 Depth=1
	s_or_b32 exec_lo, exec_lo, s20
	v_cmp_ne_u64_e64 s20, s[22:23], v[84:85]
	; wave barrier
	v_cndmask_b32_e64 v180, 0x80000000, v85, s20
	v_cndmask_b32_e64 v179, 0, v84, s20
	v_lshrrev_b64 v[179:180], v10, v[179:180]
	v_and_b32_e32 v179, v179, v130
	v_and_b32_e32 v180, 1, v179
	v_lshlrev_b32_e32 v181, 30, v179
	v_lshlrev_b32_e32 v182, 29, v179
	;; [unrolled: 1-line block ×4, first 2 shown]
	v_add_co_u32 v180, s20, v180, -1
	v_cndmask_b32_e64 v192, 0, 1, s20
	v_not_b32_e32 v196, v181
	v_cmp_gt_i32_e64 s21, 0, v181
	v_not_b32_e32 v181, v182
	v_lshlrev_b32_e32 v194, 26, v179
	v_cmp_ne_u32_e64 s20, 0, v192
	v_ashrrev_i32_e32 v196, 31, v196
	v_lshlrev_b32_e32 v195, 25, v179
	v_ashrrev_i32_e32 v181, 31, v181
	v_lshlrev_b32_e32 v192, 24, v179
	v_xor_b32_e32 v180, s20, v180
	v_cmp_gt_i32_e64 s20, 0, v182
	v_not_b32_e32 v182, v183
	v_xor_b32_e32 v196, s21, v196
	v_cmp_gt_i32_e64 s21, 0, v183
	v_and_b32_e32 v180, exec_lo, v180
	v_not_b32_e32 v183, v193
	v_ashrrev_i32_e32 v182, 31, v182
	v_xor_b32_e32 v181, s20, v181
	v_cmp_gt_i32_e64 s20, 0, v193
	v_and_b32_e32 v180, v180, v196
	v_not_b32_e32 v193, v194
	v_ashrrev_i32_e32 v183, 31, v183
	v_xor_b32_e32 v182, s21, v182
	v_cmp_gt_i32_e64 s21, 0, v194
	v_and_b32_e32 v180, v180, v181
	;; [unrolled: 5-line block ×3, first 2 shown]
	v_not_b32_e32 v182, v192
	v_ashrrev_i32_e32 v181, 31, v181
	v_xor_b32_e32 v193, s21, v193
	v_lshl_add_u32 v179, v179, 3, v46
	v_and_b32_e32 v180, v180, v183
	v_cmp_gt_i32_e64 s21, 0, v192
	v_ashrrev_i32_e32 v182, 31, v182
	v_xor_b32_e32 v181, s20, v181
	v_lshl_add_u32 v183, v179, 2, v12
	v_and_b32_e32 v180, v180, v193
	v_xor_b32_e32 v182, s21, v182
	ds_read_b32 v179, v183 offset:32
	v_and_b32_e32 v180, v180, v181
	v_add_nc_u32_e32 v181, 32, v183
	; wave barrier
	v_and_b32_e32 v182, v180, v182
	v_mbcnt_lo_u32_b32 v180, v182, 0
	v_cmp_ne_u32_e64 s21, 0, v182
	v_cmp_eq_u32_e64 s20, 0, v180
	s_and_b32 s21, s21, s20
	s_and_saveexec_b32 s20, s21
	s_cbranch_execz .LBB1221_75
; %bb.74:                               ;   in Loop: Header=BB1221_53 Depth=1
	s_waitcnt lgkmcnt(0)
	v_bcnt_u32_b32 v182, v182, v179
	ds_write_b32 v181, v182
.LBB1221_75:                            ;   in Loop: Header=BB1221_53 Depth=1
	s_or_b32 exec_lo, exec_lo, s20
	v_cmp_ne_u64_e64 s20, s[22:23], v[86:87]
	; wave barrier
	v_cndmask_b32_e64 v183, 0x80000000, v87, s20
	v_cndmask_b32_e64 v182, 0, v86, s20
	v_lshrrev_b64 v[182:183], v10, v[182:183]
	v_and_b32_e32 v182, v182, v130
	v_and_b32_e32 v183, 1, v182
	v_lshlrev_b32_e32 v192, 30, v182
	v_lshlrev_b32_e32 v193, 29, v182
	;; [unrolled: 1-line block ×4, first 2 shown]
	v_add_co_u32 v183, s20, v183, -1
	v_cndmask_b32_e64 v195, 0, 1, s20
	v_not_b32_e32 v199, v192
	v_cmp_gt_i32_e64 s21, 0, v192
	v_not_b32_e32 v192, v193
	v_lshlrev_b32_e32 v197, 26, v182
	v_cmp_ne_u32_e64 s20, 0, v195
	v_ashrrev_i32_e32 v199, 31, v199
	v_lshlrev_b32_e32 v198, 25, v182
	v_ashrrev_i32_e32 v192, 31, v192
	v_lshlrev_b32_e32 v195, 24, v182
	v_xor_b32_e32 v183, s20, v183
	v_cmp_gt_i32_e64 s20, 0, v193
	v_not_b32_e32 v193, v194
	v_xor_b32_e32 v199, s21, v199
	v_cmp_gt_i32_e64 s21, 0, v194
	v_and_b32_e32 v183, exec_lo, v183
	v_not_b32_e32 v194, v196
	v_ashrrev_i32_e32 v193, 31, v193
	v_xor_b32_e32 v192, s20, v192
	v_cmp_gt_i32_e64 s20, 0, v196
	v_and_b32_e32 v183, v183, v199
	v_not_b32_e32 v196, v197
	v_ashrrev_i32_e32 v194, 31, v194
	v_xor_b32_e32 v193, s21, v193
	v_cmp_gt_i32_e64 s21, 0, v197
	v_and_b32_e32 v183, v183, v192
	;; [unrolled: 5-line block ×3, first 2 shown]
	v_not_b32_e32 v193, v195
	v_ashrrev_i32_e32 v192, 31, v192
	v_xor_b32_e32 v196, s21, v196
	v_lshl_add_u32 v182, v182, 3, v46
	v_and_b32_e32 v183, v183, v194
	v_cmp_gt_i32_e64 s21, 0, v195
	v_ashrrev_i32_e32 v193, 31, v193
	v_xor_b32_e32 v192, s20, v192
	v_lshl_add_u32 v194, v182, 2, v12
	v_and_b32_e32 v183, v183, v196
	v_xor_b32_e32 v193, s21, v193
	ds_read_b32 v182, v194 offset:32
	v_and_b32_e32 v183, v183, v192
	v_add_nc_u32_e32 v192, 32, v194
	; wave barrier
	v_and_b32_e32 v193, v183, v193
	v_mbcnt_lo_u32_b32 v183, v193, 0
	v_cmp_ne_u32_e64 s21, 0, v193
	v_cmp_eq_u32_e64 s20, 0, v183
	s_and_b32 s21, s21, s20
	s_and_saveexec_b32 s20, s21
	s_cbranch_execz .LBB1221_77
; %bb.76:                               ;   in Loop: Header=BB1221_53 Depth=1
	s_waitcnt lgkmcnt(0)
	v_bcnt_u32_b32 v193, v193, v182
	ds_write_b32 v192, v193
.LBB1221_77:                            ;   in Loop: Header=BB1221_53 Depth=1
	s_or_b32 exec_lo, exec_lo, s20
	v_cmp_ne_u64_e64 s20, s[22:23], v[96:97]
	; wave barrier
	v_cndmask_b32_e64 v194, 0x80000000, v97, s20
	v_cndmask_b32_e64 v193, 0, v96, s20
	v_lshrrev_b64 v[193:194], v10, v[193:194]
	v_and_b32_e32 v193, v193, v130
	v_and_b32_e32 v194, 1, v193
	v_lshlrev_b32_e32 v195, 30, v193
	v_lshlrev_b32_e32 v196, 29, v193
	;; [unrolled: 1-line block ×4, first 2 shown]
	v_add_co_u32 v194, s20, v194, -1
	v_cndmask_b32_e64 v198, 0, 1, s20
	v_not_b32_e32 v210, v195
	v_cmp_gt_i32_e64 s21, 0, v195
	v_not_b32_e32 v195, v196
	v_lshlrev_b32_e32 v208, 26, v193
	v_cmp_ne_u32_e64 s20, 0, v198
	v_ashrrev_i32_e32 v210, 31, v210
	v_lshlrev_b32_e32 v209, 25, v193
	v_ashrrev_i32_e32 v195, 31, v195
	v_lshlrev_b32_e32 v198, 24, v193
	v_xor_b32_e32 v194, s20, v194
	v_cmp_gt_i32_e64 s20, 0, v196
	v_not_b32_e32 v196, v197
	v_xor_b32_e32 v210, s21, v210
	v_cmp_gt_i32_e64 s21, 0, v197
	v_and_b32_e32 v194, exec_lo, v194
	v_not_b32_e32 v197, v199
	v_ashrrev_i32_e32 v196, 31, v196
	v_xor_b32_e32 v195, s20, v195
	v_cmp_gt_i32_e64 s20, 0, v199
	v_and_b32_e32 v194, v194, v210
	v_not_b32_e32 v199, v208
	v_ashrrev_i32_e32 v197, 31, v197
	v_xor_b32_e32 v196, s21, v196
	v_cmp_gt_i32_e64 s21, 0, v208
	v_and_b32_e32 v194, v194, v195
	;; [unrolled: 5-line block ×3, first 2 shown]
	v_not_b32_e32 v196, v198
	v_ashrrev_i32_e32 v195, 31, v195
	v_xor_b32_e32 v199, s21, v199
	v_lshl_add_u32 v193, v193, 3, v46
	v_and_b32_e32 v194, v194, v197
	v_cmp_gt_i32_e64 s21, 0, v198
	v_ashrrev_i32_e32 v196, 31, v196
	v_xor_b32_e32 v195, s20, v195
	v_lshl_add_u32 v197, v193, 2, v12
	v_and_b32_e32 v194, v194, v199
	v_xor_b32_e32 v196, s21, v196
	ds_read_b32 v193, v197 offset:32
	v_and_b32_e32 v194, v194, v195
	v_add_nc_u32_e32 v195, 32, v197
	; wave barrier
	v_and_b32_e32 v196, v194, v196
	v_mbcnt_lo_u32_b32 v194, v196, 0
	v_cmp_ne_u32_e64 s21, 0, v196
	v_cmp_eq_u32_e64 s20, 0, v194
	s_and_b32 s21, s21, s20
	s_and_saveexec_b32 s20, s21
	s_cbranch_execz .LBB1221_79
; %bb.78:                               ;   in Loop: Header=BB1221_53 Depth=1
	s_waitcnt lgkmcnt(0)
	v_bcnt_u32_b32 v196, v196, v193
	ds_write_b32 v195, v196
.LBB1221_79:                            ;   in Loop: Header=BB1221_53 Depth=1
	s_or_b32 exec_lo, exec_lo, s20
	v_cmp_ne_u64_e64 s20, s[22:23], v[98:99]
	; wave barrier
	v_cndmask_b32_e64 v197, 0x80000000, v99, s20
	v_cndmask_b32_e64 v196, 0, v98, s20
	v_lshrrev_b64 v[196:197], v10, v[196:197]
	v_and_b32_e32 v196, v196, v130
	v_and_b32_e32 v197, 1, v196
	v_lshlrev_b32_e32 v198, 30, v196
	v_lshlrev_b32_e32 v199, 29, v196
	;; [unrolled: 1-line block ×4, first 2 shown]
	v_add_co_u32 v197, s20, v197, -1
	v_cndmask_b32_e64 v209, 0, 1, s20
	v_not_b32_e32 v213, v198
	v_cmp_gt_i32_e64 s21, 0, v198
	v_not_b32_e32 v198, v199
	v_lshlrev_b32_e32 v211, 26, v196
	v_cmp_ne_u32_e64 s20, 0, v209
	v_ashrrev_i32_e32 v213, 31, v213
	v_lshlrev_b32_e32 v212, 25, v196
	v_ashrrev_i32_e32 v198, 31, v198
	v_lshlrev_b32_e32 v209, 24, v196
	v_xor_b32_e32 v197, s20, v197
	v_cmp_gt_i32_e64 s20, 0, v199
	v_not_b32_e32 v199, v208
	v_xor_b32_e32 v213, s21, v213
	v_cmp_gt_i32_e64 s21, 0, v208
	v_and_b32_e32 v197, exec_lo, v197
	v_not_b32_e32 v208, v210
	v_ashrrev_i32_e32 v199, 31, v199
	v_xor_b32_e32 v198, s20, v198
	v_cmp_gt_i32_e64 s20, 0, v210
	v_and_b32_e32 v197, v197, v213
	v_not_b32_e32 v210, v211
	v_ashrrev_i32_e32 v208, 31, v208
	v_xor_b32_e32 v199, s21, v199
	v_cmp_gt_i32_e64 s21, 0, v211
	v_and_b32_e32 v197, v197, v198
	;; [unrolled: 5-line block ×3, first 2 shown]
	v_not_b32_e32 v199, v209
	v_ashrrev_i32_e32 v198, 31, v198
	v_xor_b32_e32 v210, s21, v210
	v_lshl_add_u32 v196, v196, 3, v46
	v_and_b32_e32 v197, v197, v208
	v_cmp_gt_i32_e64 s21, 0, v209
	v_ashrrev_i32_e32 v199, 31, v199
	v_xor_b32_e32 v198, s20, v198
	v_lshl_add_u32 v208, v196, 2, v12
	v_and_b32_e32 v197, v197, v210
	v_xor_b32_e32 v199, s21, v199
	ds_read_b32 v196, v208 offset:32
	v_and_b32_e32 v197, v197, v198
	v_add_nc_u32_e32 v198, 32, v208
	; wave barrier
	v_and_b32_e32 v199, v197, v199
	v_mbcnt_lo_u32_b32 v197, v199, 0
	v_cmp_ne_u32_e64 s21, 0, v199
	v_cmp_eq_u32_e64 s20, 0, v197
	s_and_b32 s21, s21, s20
	s_and_saveexec_b32 s20, s21
	s_cbranch_execz .LBB1221_81
; %bb.80:                               ;   in Loop: Header=BB1221_53 Depth=1
	s_waitcnt lgkmcnt(0)
	v_bcnt_u32_b32 v199, v199, v196
	ds_write_b32 v198, v199
.LBB1221_81:                            ;   in Loop: Header=BB1221_53 Depth=1
	s_or_b32 exec_lo, exec_lo, s20
	v_cmp_ne_u64_e64 s20, s[22:23], v[102:103]
	; wave barrier
	v_cndmask_b32_e64 v209, 0x80000000, v103, s20
	v_cndmask_b32_e64 v208, 0, v102, s20
	v_lshrrev_b64 v[208:209], v10, v[208:209]
	v_and_b32_e32 v199, v208, v130
	v_and_b32_e32 v208, 1, v199
	v_lshlrev_b32_e32 v209, 30, v199
	v_lshlrev_b32_e32 v210, 29, v199
	;; [unrolled: 1-line block ×4, first 2 shown]
	v_add_co_u32 v208, s20, v208, -1
	v_cndmask_b32_e64 v212, 0, 1, s20
	v_not_b32_e32 v224, v209
	v_cmp_gt_i32_e64 s21, 0, v209
	v_not_b32_e32 v209, v210
	v_lshlrev_b32_e32 v214, 26, v199
	v_cmp_ne_u32_e64 s20, 0, v212
	v_ashrrev_i32_e32 v224, 31, v224
	v_lshlrev_b32_e32 v215, 25, v199
	v_ashrrev_i32_e32 v209, 31, v209
	v_lshlrev_b32_e32 v212, 24, v199
	v_xor_b32_e32 v208, s20, v208
	v_cmp_gt_i32_e64 s20, 0, v210
	v_not_b32_e32 v210, v211
	v_xor_b32_e32 v224, s21, v224
	v_cmp_gt_i32_e64 s21, 0, v211
	v_and_b32_e32 v208, exec_lo, v208
	v_not_b32_e32 v211, v213
	v_ashrrev_i32_e32 v210, 31, v210
	v_xor_b32_e32 v209, s20, v209
	v_cmp_gt_i32_e64 s20, 0, v213
	v_and_b32_e32 v208, v208, v224
	v_not_b32_e32 v213, v214
	v_ashrrev_i32_e32 v211, 31, v211
	v_xor_b32_e32 v210, s21, v210
	v_cmp_gt_i32_e64 s21, 0, v214
	v_and_b32_e32 v208, v208, v209
	;; [unrolled: 5-line block ×3, first 2 shown]
	v_not_b32_e32 v210, v212
	v_ashrrev_i32_e32 v209, 31, v209
	v_xor_b32_e32 v213, s21, v213
	v_lshl_add_u32 v199, v199, 3, v46
	v_and_b32_e32 v208, v208, v211
	v_cmp_gt_i32_e64 s21, 0, v212
	v_ashrrev_i32_e32 v210, 31, v210
	v_xor_b32_e32 v209, s20, v209
	v_lshl_add_u32 v211, v199, 2, v12
	v_and_b32_e32 v208, v208, v213
	v_xor_b32_e32 v210, s21, v210
	ds_read_b32 v199, v211 offset:32
	v_and_b32_e32 v208, v208, v209
	v_add_nc_u32_e32 v209, 32, v211
	; wave barrier
	v_and_b32_e32 v210, v208, v210
	v_mbcnt_lo_u32_b32 v208, v210, 0
	v_cmp_ne_u32_e64 s21, 0, v210
	v_cmp_eq_u32_e64 s20, 0, v208
	s_and_b32 s21, s21, s20
	s_and_saveexec_b32 s20, s21
	s_cbranch_execz .LBB1221_83
; %bb.82:                               ;   in Loop: Header=BB1221_53 Depth=1
	s_waitcnt lgkmcnt(0)
	v_bcnt_u32_b32 v210, v210, v199
	ds_write_b32 v209, v210
.LBB1221_83:                            ;   in Loop: Header=BB1221_53 Depth=1
	s_or_b32 exec_lo, exec_lo, s20
	v_cmp_ne_u64_e64 s20, s[22:23], v[100:101]
	; wave barrier
	v_cndmask_b32_e64 v211, 0x80000000, v101, s20
	v_cndmask_b32_e64 v210, 0, v100, s20
	v_lshrrev_b64 v[210:211], v10, v[210:211]
	v_and_b32_e32 v130, v210, v130
	v_and_b32_e32 v210, 1, v130
	v_lshlrev_b32_e32 v211, 30, v130
	v_lshlrev_b32_e32 v212, 29, v130
	;; [unrolled: 1-line block ×4, first 2 shown]
	v_add_co_u32 v210, s20, v210, -1
	v_cndmask_b32_e64 v214, 0, 1, s20
	v_not_b32_e32 v226, v211
	v_cmp_gt_i32_e64 s21, 0, v211
	v_not_b32_e32 v211, v212
	v_lshlrev_b32_e32 v224, 26, v130
	v_cmp_ne_u32_e64 s20, 0, v214
	v_ashrrev_i32_e32 v226, 31, v226
	v_lshlrev_b32_e32 v225, 25, v130
	v_ashrrev_i32_e32 v211, 31, v211
	v_lshlrev_b32_e32 v214, 24, v130
	v_xor_b32_e32 v210, s20, v210
	v_cmp_gt_i32_e64 s20, 0, v212
	v_not_b32_e32 v212, v213
	v_xor_b32_e32 v226, s21, v226
	v_cmp_gt_i32_e64 s21, 0, v213
	v_and_b32_e32 v210, exec_lo, v210
	v_not_b32_e32 v213, v215
	v_ashrrev_i32_e32 v212, 31, v212
	v_xor_b32_e32 v211, s20, v211
	v_cmp_gt_i32_e64 s20, 0, v215
	v_and_b32_e32 v210, v210, v226
	v_not_b32_e32 v215, v224
	v_ashrrev_i32_e32 v213, 31, v213
	v_xor_b32_e32 v212, s21, v212
	v_cmp_gt_i32_e64 s21, 0, v224
	v_and_b32_e32 v210, v210, v211
	;; [unrolled: 5-line block ×3, first 2 shown]
	v_not_b32_e32 v212, v214
	v_ashrrev_i32_e32 v211, 31, v211
	v_xor_b32_e32 v215, s21, v215
	v_lshl_add_u32 v130, v130, 3, v46
	v_and_b32_e32 v210, v210, v213
	v_cmp_gt_i32_e64 s21, 0, v214
	v_ashrrev_i32_e32 v212, 31, v212
	v_xor_b32_e32 v211, s20, v211
	v_lshl_add_u32 v213, v130, 2, v12
	v_and_b32_e32 v210, v210, v215
	v_xor_b32_e32 v212, s21, v212
	ds_read_b32 v130, v213 offset:32
	v_and_b32_e32 v210, v210, v211
	v_add_nc_u32_e32 v211, 32, v213
	; wave barrier
	v_and_b32_e32 v212, v210, v212
	v_mbcnt_lo_u32_b32 v210, v212, 0
	v_cmp_ne_u32_e64 s21, 0, v212
	v_cmp_eq_u32_e64 s20, 0, v210
	s_and_b32 s21, s21, s20
	s_and_saveexec_b32 s20, s21
	s_cbranch_execz .LBB1221_85
; %bb.84:                               ;   in Loop: Header=BB1221_53 Depth=1
	s_waitcnt lgkmcnt(0)
	v_bcnt_u32_b32 v212, v212, v130
	ds_write_b32 v211, v212
.LBB1221_85:                            ;   in Loop: Header=BB1221_53 Depth=1
	s_or_b32 exec_lo, exec_lo, s20
	; wave barrier
	s_waitcnt lgkmcnt(0)
	s_barrier
	buffer_gl0_inv
	ds_read_b32 v224, v246
	ds_read_b32 v225, v247
	;; [unrolled: 1-line block ×8, first 2 shown]
	s_waitcnt lgkmcnt(6)
	v_add_nc_u32_e32 v228, v225, v224
	s_waitcnt lgkmcnt(4)
	v_add3_u32 v228, v228, v226, v215
	s_waitcnt lgkmcnt(2)
	v_add3_u32 v228, v228, v214, v213
	;; [unrolled: 2-line block ×3, first 2 shown]
	v_mov_b32_dpp v228, v227 row_shr:1 row_mask:0xf bank_mask:0xf
	v_cndmask_b32_e64 v228, v228, 0, vcc_lo
	v_add_nc_u32_e32 v227, v228, v227
	v_mov_b32_dpp v228, v227 row_shr:2 row_mask:0xf bank_mask:0xf
	v_cndmask_b32_e64 v228, 0, v228, s4
	v_add_nc_u32_e32 v227, v227, v228
	v_mov_b32_dpp v228, v227 row_shr:4 row_mask:0xf bank_mask:0xf
	v_cndmask_b32_e64 v228, 0, v228, s5
	;; [unrolled: 3-line block ×3, first 2 shown]
	v_add_nc_u32_e32 v227, v227, v228
	ds_swizzle_b32 v228, v227 offset:swizzle(BROADCAST,32,15)
	s_waitcnt lgkmcnt(0)
	v_cndmask_b32_e64 v228, v228, 0, s10
	v_add_nc_u32_e32 v227, v227, v228
	s_and_saveexec_b32 s20, s11
; %bb.86:                               ;   in Loop: Header=BB1221_53 Depth=1
	ds_write_b32 v56, v227
; %bb.87:                               ;   in Loop: Header=BB1221_53 Depth=1
	s_or_b32 exec_lo, exec_lo, s20
	s_waitcnt lgkmcnt(0)
	s_barrier
	buffer_gl0_inv
	s_and_saveexec_b32 s20, s14
	s_cbranch_execz .LBB1221_89
; %bb.88:                               ;   in Loop: Header=BB1221_53 Depth=1
	ds_read_b32 v228, v57
	s_waitcnt lgkmcnt(0)
	v_mov_b32_dpp v229, v228 row_shr:1 row_mask:0xf bank_mask:0xf
	v_cndmask_b32_e64 v229, v229, 0, s17
	v_add_nc_u32_e32 v228, v229, v228
	v_mov_b32_dpp v229, v228 row_shr:2 row_mask:0xf bank_mask:0xf
	v_cndmask_b32_e64 v229, 0, v229, s18
	v_add_nc_u32_e32 v228, v228, v229
	;; [unrolled: 3-line block ×3, first 2 shown]
	ds_write_b32 v57, v228
.LBB1221_89:                            ;   in Loop: Header=BB1221_53 Depth=1
	s_or_b32 exec_lo, exec_lo, s20
	v_mov_b32_e32 v228, 0
	s_waitcnt lgkmcnt(0)
	s_barrier
	buffer_gl0_inv
	s_and_saveexec_b32 s20, s15
; %bb.90:                               ;   in Loop: Header=BB1221_53 Depth=1
	ds_read_b32 v228, v59
; %bb.91:                               ;   in Loop: Header=BB1221_53 Depth=1
	s_or_b32 exec_lo, exec_lo, s20
	s_waitcnt lgkmcnt(0)
	v_add_nc_u32_e32 v227, v228, v227
	v_mov_b32_e32 v229, v1
	v_mov_b32_e32 v231, v1
	;; [unrolled: 1-line block ×4, first 2 shown]
	ds_bpermute_b32 v227, v47, v227
	v_mov_b32_e32 v245, v1
	v_add_nc_u32_e32 v10, 8, v10
	s_mov_b32 s28, -1
	v_cmp_lt_u32_e64 s20, v10, v11
	s_waitcnt lgkmcnt(0)
	v_cndmask_b32_e64 v227, v227, v228, s6
	v_cndmask_b32_e64 v228, v227, 0, s16
	v_mov_b32_e32 v227, v1
	v_add_nc_u32_e32 v224, v228, v224
	v_add_nc_u32_e32 v230, v224, v225
	v_mov_b32_e32 v225, v1
	ds_write_b32 v246, v228
	ds_write_b32 v247, v224
	ds_write_b32 v40, v230
	v_add_nc_u32_e32 v226, v230, v226
	v_add_nc_u32_e32 v240, v226, v215
	v_mov_b32_e32 v215, v1
	v_add_nc_u32_e32 v214, v240, v214
	v_add_nc_u32_e32 v242, v214, v213
	v_mov_b32_e32 v213, v1
	v_add_nc_u32_e32 v212, v242, v212
	ds_write_b32 v41, v226
	ds_write_b32 v42, v240
	;; [unrolled: 1-line block ×5, first 2 shown]
	s_waitcnt lgkmcnt(0)
	s_barrier
	buffer_gl0_inv
	ds_read_b32 v117, v117
	ds_read_b32 v212, v129
	;; [unrolled: 1-line block ×16, first 2 shown]
	v_mov_b32_e32 v129, v1
	v_mov_b32_e32 v133, v1
	;; [unrolled: 1-line block ×3, first 2 shown]
	s_waitcnt lgkmcnt(0)
	v_add_nc_u32_e32 v0, v117, v0
	v_add3_u32 v214, v128, v118, v212
	v_add3_u32 v224, v132, v131, v224
	;; [unrolled: 1-line block ×8, first 2 shown]
	v_lshlrev_b64 v[144:145], 3, v[0:1]
	v_add3_u32 v128, v180, v179, v181
	v_add3_u32 v132, v183, v182, v192
	;; [unrolled: 1-line block ×5, first 2 shown]
	v_lshlrev_b64 v[128:129], 3, v[128:129]
	v_add3_u32 v134, v210, v130, v211
	v_lshlrev_b64 v[129:130], 3, v[132:133]
	v_mov_b32_e32 v132, v1
	v_add3_u32 v117, v197, v196, v198
	v_lshlrev_b64 v[160:161], 3, v[228:229]
	v_mov_b32_e32 v118, v1
	v_mov_b32_e32 v135, v1
	v_lshlrev_b64 v[161:162], 3, v[230:231]
	v_lshlrev_b64 v[162:163], 3, v[240:241]
	v_lshlrev_b64 v[148:149], 3, v[214:215]
	v_lshlrev_b64 v[163:164], 3, v[242:243]
	v_lshlrev_b64 v[149:150], 3, v[224:225]
	v_lshlrev_b64 v[164:165], 3, v[244:245]
	v_add_co_u32 v109, null, v12, v128
	v_add_co_u32 v110, null, v12, v129
	v_lshlrev_b64 v[128:129], 3, v[131:132]
	v_lshlrev_b64 v[150:151], 3, v[226:227]
	;; [unrolled: 1-line block ×3, first 2 shown]
	v_add_co_u32 v0, null, v12, v144
	v_lshlrev_b64 v[144:145], 3, v[146:147]
	v_lshlrev_b64 v[117:118], 3, v[117:118]
	;; [unrolled: 1-line block ×3, first 2 shown]
	v_add_co_u32 v92, null, v12, v148
	v_add_co_u32 v93, null, v12, v149
	v_add_co_u32 v94, null, v12, v150
	v_add_co_u32 v95, null, v12, v160
	v_add_co_u32 v104, null, v12, v161
	v_add_co_u32 v105, null, v12, v162
	v_add_co_u32 v106, null, v12, v163
	v_add_co_u32 v107, null, v12, v164
	v_add_co_u32 v108, null, v12, v165
	v_add_co_u32 v111, null, v12, v144
	v_add_co_u32 v120, null, v12, v117
	v_add_co_u32 v121, null, v12, v128
	v_add_co_u32 v122, null, v12, v129
                                        ; implicit-def: $vgpr117_vgpr118
                                        ; implicit-def: $vgpr130_vgpr131
                                        ; implicit-def: $vgpr134_vgpr135
                                        ; implicit-def: $vgpr128_vgpr129
                                        ; implicit-def: $vgpr132_vgpr133
                                        ; implicit-def: $vgpr144_vgpr145
                                        ; implicit-def: $vgpr146_vgpr147
                                        ; implicit-def: $vgpr148_vgpr149
                                        ; implicit-def: $vgpr150_vgpr151
                                        ; implicit-def: $vgpr160_vgpr161
                                        ; implicit-def: $vgpr162_vgpr163
                                        ; implicit-def: $vgpr164_vgpr165
                                        ; implicit-def: $vgpr166_vgpr167
                                        ; implicit-def: $vgpr176_vgpr177
                                        ; implicit-def: $vgpr180_vgpr181
                                        ; implicit-def: $vgpr196_vgpr197
                                        ; implicit-def: $vgpr212_vgpr213
                                        ; implicit-def: $vgpr182_vgpr183
                                        ; implicit-def: $vgpr178_vgpr179
                                        ; implicit-def: $vgpr194_vgpr195
                                        ; implicit-def: $vgpr192_vgpr193
                                        ; implicit-def: $vgpr198_vgpr199
                                        ; implicit-def: $vgpr208_vgpr209
                                        ; implicit-def: $vgpr226_vgpr227
                                        ; implicit-def: $vgpr210_vgpr211
                                        ; implicit-def: $vgpr228_vgpr229
                                        ; implicit-def: $vgpr214_vgpr215
                                        ; implicit-def: $vgpr230_vgpr231
                                        ; implicit-def: $vgpr224_vgpr225
                                        ; implicit-def: $vgpr240_vgpr241
                                        ; implicit-def: $vgpr242_vgpr243
                                        ; implicit-def: $vgpr244_vgpr245
	s_and_saveexec_b32 s21, s20
	s_cbranch_execz .LBB1221_52
; %bb.92:                               ;   in Loop: Header=BB1221_53 Depth=1
	s_barrier
	buffer_gl0_inv
	ds_write_b64 v0, v[48:49]
	ds_write_b64 v92, v[50:51]
	;; [unrolled: 1-line block ×16, first 2 shown]
	s_waitcnt lgkmcnt(0)
	s_barrier
	buffer_gl0_inv
	ds_read_b64 v[212:213], v58
	ds_read_b64 v[182:183], v60
	;; [unrolled: 1-line block ×16, first 2 shown]
	s_waitcnt lgkmcnt(0)
	s_barrier
	buffer_gl0_inv
	ds_write_b64 v0, v[13:14]
	ds_write_b64 v92, v[8:9]
	;; [unrolled: 1-line block ×16, first 2 shown]
	s_waitcnt lgkmcnt(0)
	s_barrier
	buffer_gl0_inv
	ds_read_b64 v[117:118], v58
	ds_read_b64 v[130:131], v60
	;; [unrolled: 1-line block ×16, first 2 shown]
	v_add_nc_u32_e32 v91, -8, v91
	s_xor_b32 s28, exec_lo, -1
	s_waitcnt lgkmcnt(0)
	s_barrier
	buffer_gl0_inv
	s_branch .LBB1221_52
.LBB1221_93:
	s_or_b32 exec_lo, exec_lo, s27
	v_lshl_add_u32 v1, v21, 3, v12
	s_barrier
	buffer_gl0_inv
	ds_write_b64 v0, v[48:49]
	ds_write_b64 v92, v[50:51]
	;; [unrolled: 1-line block ×16, first 2 shown]
	s_waitcnt lgkmcnt(0)
	s_barrier
	buffer_gl0_inv
	ds_read2st64_b64 v[100:103], v1 offset1:4
	ds_read2st64_b64 v[96:99], v1 offset0:8 offset1:12
	ds_read2st64_b64 v[84:87], v1 offset0:16 offset1:20
	;; [unrolled: 1-line block ×7, first 2 shown]
	s_waitcnt lgkmcnt(0)
	s_barrier
	buffer_gl0_inv
	ds_write_b64 v0, v[13:14]
	ds_write_b64 v92, v[8:9]
	;; [unrolled: 1-line block ×16, first 2 shown]
	s_waitcnt lgkmcnt(0)
	s_barrier
	buffer_gl0_inv
	ds_read2st64_b64 v[36:39], v1 offset1:4
	ds_read2st64_b64 v[32:35], v1 offset0:8 offset1:12
	ds_read2st64_b64 v[28:31], v1 offset0:16 offset1:20
	;; [unrolled: 1-line block ×7, first 2 shown]
	v_mov_b32_e32 v115, 0
	v_add_co_u32 v2, vcc_lo, v2, v112
	v_add_co_ci_u32_e64 v3, null, v3, v113, vcc_lo
	v_lshlrev_b64 v[0:1], 3, v[114:115]
	s_waitcnt lgkmcnt(0)
	s_barrier
	buffer_gl0_inv
	v_add_co_u32 v2, vcc_lo, v2, v0
	v_add_co_ci_u32_e64 v3, null, v3, v1, vcc_lo
	v_cmp_lt_u32_e32 vcc_lo, v114, v119
	s_and_saveexec_b32 s5, vcc_lo
	s_cbranch_execz .LBB1221_95
; %bb.94:
	v_cmp_lt_i64_e64 s4, -1, v[100:101]
	v_ashrrev_i32_e32 v4, 31, v101
	v_not_b32_e32 v4, v4
	v_cndmask_b32_e64 v5, 0x80000000, -1, s4
	v_xor_b32_e32 v4, v4, v100
	v_xor_b32_e32 v5, v5, v101
	flat_store_dwordx2 v[2:3], v[4:5]
.LBB1221_95:
	s_or_b32 exec_lo, exec_lo, s5
	v_add_nc_u32_e32 v4, 0x100, v114
	v_cmp_lt_u32_e64 s4, v4, v119
	s_and_saveexec_b32 s6, s4
	s_cbranch_execz .LBB1221_97
; %bb.96:
	v_cmp_lt_i64_e64 s5, -1, v[102:103]
	v_ashrrev_i32_e32 v4, 31, v103
	v_not_b32_e32 v4, v4
	v_cndmask_b32_e64 v5, 0x80000000, -1, s5
	v_add_co_u32 v100, s5, 0x800, v2
	v_add_co_ci_u32_e64 v101, null, 0, v3, s5
	v_xor_b32_e32 v5, v5, v103
	v_xor_b32_e32 v4, v4, v102
	flat_store_dwordx2 v[100:101], v[4:5]
.LBB1221_97:
	s_or_b32 exec_lo, exec_lo, s6
	v_add_nc_u32_e32 v4, 0x200, v114
	v_cmp_lt_u32_e64 s5, v4, v119
	s_and_saveexec_b32 s7, s5
	s_cbranch_execz .LBB1221_99
; %bb.98:
	v_ashrrev_i32_e32 v4, 31, v97
	v_cmp_lt_i64_e64 s6, -1, v[96:97]
	v_not_b32_e32 v4, v4
	v_cndmask_b32_e64 v5, 0x80000000, -1, s6
	v_xor_b32_e32 v4, v4, v96
	v_add_co_u32 v96, s6, 0x1000, v2
	v_xor_b32_e32 v5, v5, v97
	v_add_co_ci_u32_e64 v97, null, 0, v3, s6
	flat_store_dwordx2 v[96:97], v[4:5]
.LBB1221_99:
	s_or_b32 exec_lo, exec_lo, s7
	v_add_nc_u32_e32 v4, 0x300, v114
	v_cmp_lt_u32_e64 s6, v4, v119
	s_and_saveexec_b32 s10, s6
	s_cbranch_execz .LBB1221_101
; %bb.100:
	v_cmp_lt_i64_e64 s7, -1, v[98:99]
	v_ashrrev_i32_e32 v4, 31, v99
	v_not_b32_e32 v4, v4
	v_cndmask_b32_e64 v5, 0x80000000, -1, s7
	v_add_co_u32 v96, s7, 0x1800, v2
	v_add_co_ci_u32_e64 v97, null, 0, v3, s7
	v_xor_b32_e32 v5, v5, v99
	v_xor_b32_e32 v4, v4, v98
	flat_store_dwordx2 v[96:97], v[4:5]
.LBB1221_101:
	s_or_b32 exec_lo, exec_lo, s10
	v_add_nc_u32_e32 v4, 0x400, v114
	v_cmp_lt_u32_e64 s7, v4, v119
	s_and_saveexec_b32 s11, s7
	s_cbranch_execz .LBB1221_103
; %bb.102:
	v_ashrrev_i32_e32 v4, 31, v85
	v_cmp_lt_i64_e64 s10, -1, v[84:85]
	v_not_b32_e32 v4, v4
	v_cndmask_b32_e64 v5, 0x80000000, -1, s10
	v_xor_b32_e32 v4, v4, v84
	v_add_co_u32 v84, s10, 0x2000, v2
	v_xor_b32_e32 v5, v5, v85
	v_add_co_ci_u32_e64 v85, null, 0, v3, s10
	flat_store_dwordx2 v[84:85], v[4:5]
.LBB1221_103:
	;; [unrolled: 32-line block ×7, first 2 shown]
	s_or_b32 exec_lo, exec_lo, s23
	v_add_nc_u32_e32 v4, 0xf00, v114
	v_cmp_lt_u32_e64 s22, v4, v119
	s_and_saveexec_b32 s26, s22
	s_cbranch_execz .LBB1221_125
; %bb.124:
	v_cmp_lt_i64_e64 s23, -1, v[50:51]
	v_ashrrev_i32_e32 v4, 31, v51
	v_not_b32_e32 v4, v4
	v_cndmask_b32_e64 v5, 0x80000000, -1, s23
	v_add_co_u32 v2, s23, 0x7800, v2
	v_add_co_ci_u32_e64 v3, null, 0, v3, s23
	v_xor_b32_e32 v5, v5, v51
	v_xor_b32_e32 v4, v4, v50
	flat_store_dwordx2 v[2:3], v[4:5]
.LBB1221_125:
	s_or_b32 exec_lo, exec_lo, s26
	v_add_co_u32 v2, s23, v6, v112
	v_add_co_ci_u32_e64 v3, null, v7, v113, s23
	v_add_co_u32 v0, s23, v2, v0
	v_add_co_ci_u32_e64 v1, null, v3, v1, s23
	s_and_saveexec_b32 s23, vcc_lo
	s_cbranch_execnz .LBB1221_211
; %bb.126:
	s_or_b32 exec_lo, exec_lo, s23
	s_and_saveexec_b32 s23, s4
	s_cbranch_execnz .LBB1221_212
.LBB1221_127:
	s_or_b32 exec_lo, exec_lo, s23
	s_and_saveexec_b32 s4, s5
	s_cbranch_execnz .LBB1221_213
.LBB1221_128:
	s_or_b32 exec_lo, exec_lo, s4
	s_and_saveexec_b32 s4, s6
	s_cbranch_execnz .LBB1221_214
.LBB1221_129:
	s_or_b32 exec_lo, exec_lo, s4
	s_and_saveexec_b32 s4, s7
	s_cbranch_execnz .LBB1221_215
.LBB1221_130:
	s_or_b32 exec_lo, exec_lo, s4
	s_and_saveexec_b32 s4, s10
	s_cbranch_execnz .LBB1221_216
.LBB1221_131:
	s_or_b32 exec_lo, exec_lo, s4
	s_and_saveexec_b32 s4, s11
	s_cbranch_execnz .LBB1221_217
.LBB1221_132:
	s_or_b32 exec_lo, exec_lo, s4
	s_and_saveexec_b32 s4, s14
	s_cbranch_execnz .LBB1221_218
.LBB1221_133:
	s_or_b32 exec_lo, exec_lo, s4
	s_and_saveexec_b32 s4, s15
	s_cbranch_execnz .LBB1221_219
.LBB1221_134:
	s_or_b32 exec_lo, exec_lo, s4
	s_and_saveexec_b32 s4, s16
	s_cbranch_execnz .LBB1221_220
.LBB1221_135:
	s_or_b32 exec_lo, exec_lo, s4
	s_and_saveexec_b32 s4, s17
	s_cbranch_execnz .LBB1221_221
.LBB1221_136:
	s_or_b32 exec_lo, exec_lo, s4
	s_and_saveexec_b32 s4, s18
	s_cbranch_execnz .LBB1221_222
.LBB1221_137:
	s_or_b32 exec_lo, exec_lo, s4
	s_and_saveexec_b32 s4, s19
	s_cbranch_execnz .LBB1221_223
.LBB1221_138:
	s_or_b32 exec_lo, exec_lo, s4
	s_and_saveexec_b32 s4, s20
	s_cbranch_execnz .LBB1221_224
.LBB1221_139:
	s_or_b32 exec_lo, exec_lo, s4
	s_and_saveexec_b32 s4, s21
	s_cbranch_execnz .LBB1221_225
.LBB1221_140:
	s_or_b32 exec_lo, exec_lo, s4
	s_and_saveexec_b32 s4, s22
	s_cbranch_execz .LBB1221_142
.LBB1221_141:
	v_add_co_u32 v0, vcc_lo, 0x7800, v0
	v_add_co_ci_u32_e64 v1, null, 0, v1, vcc_lo
	flat_store_dwordx2 v[0:1], v[10:11]
.LBB1221_142:
	s_or_b32 exec_lo, exec_lo, s4
                                        ; implicit-def: $vgpr119
                                        ; implicit-def: $vgpr0
                                        ; implicit-def: $vgpr1
                                        ; implicit-def: $vgpr2
                                        ; implicit-def: $vgpr3
                                        ; implicit-def: $vgpr4
                                        ; implicit-def: $vgpr5
                                        ; implicit-def: $vgpr6
                                        ; implicit-def: $vgpr7
                                        ; implicit-def: $vgpr8
                                        ; implicit-def: $vgpr10
                                        ; implicit-def: $vgpr11
                                        ; implicit-def: $vgpr12
                                        ; implicit-def: $vgpr13
                                        ; implicit-def: $vgpr14
                                        ; implicit-def: $vgpr21
                                        ; implicit-def: $vgpr54
.LBB1221_143:
	s_andn2_saveexec_b32 s4, s25
	s_cbranch_execz .LBB1221_372
; %bb.144:
	s_mov_b32 s4, exec_lo
	v_cmpx_lt_u32_e32 0x400, v119
	s_xor_b32 s25, exec_lo, s4
	s_cbranch_execz .LBB1221_252
; %bb.145:
	s_load_dwordx2 s[4:5], s[8:9], 0x0
	v_mov_b32_e32 v9, 0
	v_lshlrev_b32_e32 v30, 3, v54
	v_lshlrev_b64 v[48:49], 3, v[8:9]
	v_add_co_u32 v0, vcc_lo, v0, v48
	v_add_co_ci_u32_e64 v1, null, v1, v49, vcc_lo
	v_add_co_u32 v0, vcc_lo, v0, v30
	v_add_co_ci_u32_e64 v1, null, 0, v1, vcc_lo
	s_waitcnt lgkmcnt(0)
	s_cmp_lt_u32 s13, s5
	s_cselect_b32 s5, 14, 20
	s_add_u32 s6, s8, s5
	s_addc_u32 s7, s9, 0
	s_cmp_lt_u32 s12, s4
	global_load_ushort v15, v9, s[6:7]
	s_cselect_b32 s4, 12, 18
	s_add_u32 s4, s8, s4
	s_addc_u32 s5, s9, 0
	global_load_ushort v16, v9, s[4:5]
	s_waitcnt vmcnt(1)
	v_mad_u32_u24 v13, v14, v15, v13
	v_bfrev_b32_e32 v14, -2
	s_waitcnt vmcnt(0)
	v_mad_u64_u32 v[50:51], null, v13, v16, v[21:22]
	v_mov_b32_e32 v13, -1
	v_lshlrev_b32_e32 v15, 3, v50
	v_and_b32_e32 v8, 0xffffff00, v15
	v_lshlrev_b64 v[26:27], 3, v[8:9]
	v_or_b32_e32 v31, v8, v54
	v_cmp_lt_u32_e32 vcc_lo, v31, v119
	v_add_co_u32 v28, s4, v0, v26
	v_add_co_ci_u32_e64 v29, null, v1, v27, s4
	v_mov_b32_e32 v0, v13
	v_mov_b32_e32 v1, v14
	s_and_saveexec_b32 s4, vcc_lo
	s_cbranch_execz .LBB1221_147
; %bb.146:
	flat_load_dwordx2 v[0:1], v[28:29]
.LBB1221_147:
	s_or_b32 exec_lo, exec_lo, s4
	v_or_b32_e32 v8, 32, v31
	v_cmp_lt_u32_e64 s4, v8, v119
	s_and_saveexec_b32 s5, s4
	s_cbranch_execz .LBB1221_149
; %bb.148:
	flat_load_dwordx2 v[13:14], v[28:29] offset:256
.LBB1221_149:
	s_or_b32 exec_lo, exec_lo, s5
	v_or_b32_e32 v15, 64, v31
	v_bfrev_b32_e32 v9, -2
	v_mov_b32_e32 v8, -1
	v_cmp_lt_u32_e64 s5, v15, v119
	v_mov_b32_e32 v16, v9
	v_mov_b32_e32 v15, v8
	s_and_saveexec_b32 s6, s5
	s_cbranch_execz .LBB1221_151
; %bb.150:
	flat_load_dwordx2 v[15:16], v[28:29] offset:512
.LBB1221_151:
	s_or_b32 exec_lo, exec_lo, s6
	v_or_b32_e32 v17, 0x60, v31
	v_cmp_lt_u32_e64 s6, v17, v119
	s_and_saveexec_b32 s7, s6
	s_cbranch_execz .LBB1221_153
; %bb.152:
	flat_load_dwordx2 v[8:9], v[28:29] offset:768
.LBB1221_153:
	s_or_b32 exec_lo, exec_lo, s7
	v_or_b32_e32 v19, 0x80, v31
	v_bfrev_b32_e32 v18, -2
	v_mov_b32_e32 v17, -1
	v_cmp_lt_u32_e64 s7, v19, v119
	v_mov_b32_e32 v20, v18
	v_mov_b32_e32 v19, v17
	s_and_saveexec_b32 s10, s7
	s_cbranch_execz .LBB1221_155
; %bb.154:
	flat_load_dwordx2 v[19:20], v[28:29] offset:1024
.LBB1221_155:
	;; [unrolled: 20-line block ×3, first 2 shown]
	s_or_b32 exec_lo, exec_lo, s14
	v_or_b32_e32 v31, 0xe0, v31
	v_cmp_lt_u32_e64 s14, v31, v119
	s_and_saveexec_b32 s15, s14
	s_cbranch_execz .LBB1221_161
; %bb.160:
	flat_load_dwordx2 v[22:23], v[28:29] offset:1792
.LBB1221_161:
	s_or_b32 exec_lo, exec_lo, s15
	v_add_co_u32 v4, s15, v4, v48
	v_add_co_ci_u32_e64 v5, null, v5, v49, s15
                                        ; implicit-def: $vgpr38_vgpr39
	v_add_co_u32 v4, s15, v4, v30
	v_add_co_ci_u32_e64 v5, null, 0, v5, s15
	v_add_co_u32 v4, s15, v4, v26
	v_add_co_ci_u32_e64 v5, null, v5, v27, s15
	s_and_saveexec_b32 s15, vcc_lo
	s_cbranch_execnz .LBB1221_285
; %bb.162:
	s_or_b32 exec_lo, exec_lo, s15
                                        ; implicit-def: $vgpr64_vgpr65
	s_and_saveexec_b32 s15, s4
	s_cbranch_execnz .LBB1221_286
.LBB1221_163:
	s_or_b32 exec_lo, exec_lo, s15
                                        ; implicit-def: $vgpr66_vgpr67
	s_and_saveexec_b32 s4, s5
	s_cbranch_execnz .LBB1221_287
.LBB1221_164:
	s_or_b32 exec_lo, exec_lo, s4
                                        ; implicit-def: $vgpr68_vgpr69
	s_and_saveexec_b32 s4, s6
	s_cbranch_execnz .LBB1221_288
.LBB1221_165:
	s_or_b32 exec_lo, exec_lo, s4
                                        ; implicit-def: $vgpr70_vgpr71
	s_and_saveexec_b32 s4, s7
	s_cbranch_execnz .LBB1221_289
.LBB1221_166:
	s_or_b32 exec_lo, exec_lo, s4
                                        ; implicit-def: $vgpr82_vgpr83
	s_and_saveexec_b32 s4, s10
	s_cbranch_execnz .LBB1221_290
.LBB1221_167:
	s_or_b32 exec_lo, exec_lo, s4
                                        ; implicit-def: $vgpr86_vgpr87
	s_and_saveexec_b32 s4, s11
	s_cbranch_execnz .LBB1221_291
.LBB1221_168:
	s_or_b32 exec_lo, exec_lo, s4
                                        ; implicit-def: $vgpr96_vgpr97
	s_and_saveexec_b32 s4, s14
	s_cbranch_execz .LBB1221_170
.LBB1221_169:
	flat_load_dwordx2 v[96:97], v[4:5] offset:1792
.LBB1221_170:
	s_or_b32 exec_lo, exec_lo, s4
	s_waitcnt vmcnt(0) lgkmcnt(0)
	v_cmp_lt_i64_e32 vcc_lo, -1, v[0:1]
	v_ashrrev_i32_e32 v5, 31, v1
	s_getpc_b64 s[4:5]
	s_add_u32 s4, s4, _ZN7rocprim17ROCPRIM_400000_NS16block_radix_sortIdLj256ELj8ElLj1ELj1ELj8ELNS0_26block_radix_rank_algorithmE2ELNS0_18block_padding_hintE2ELNS0_4arch9wavefront6targetE0EE19radix_bits_per_passE@rel32@lo+4
	s_addc_u32 s5, s5, _ZN7rocprim17ROCPRIM_400000_NS16block_radix_sortIdLj256ELj8ElLj1ELj1ELj8ELNS0_26block_radix_rank_algorithmE2ELNS0_18block_padding_hintE2ELNS0_4arch9wavefront6targetE0EE19radix_bits_per_passE@rel32@hi+12
	v_lshrrev_b32_e32 v134, 5, v50
	s_load_dword s26, s[4:5], 0x0
	v_cmp_gt_u32_e64 s14, 8, v21
	v_cndmask_b32_e64 v4, -1, 0x80000000, vcc_lo
	v_cmp_lt_i64_e32 vcc_lo, -1, v[13:14]
	v_xor_b32_e32 v114, v5, v0
	v_ashrrev_i32_e32 v0, 31, v16
	v_cmp_lt_u32_e64 s15, 31, v21
	v_xor_b32_e32 v115, v4, v1
	v_ashrrev_i32_e32 v4, 31, v14
	v_cndmask_b32_e64 v1, -1, 0x80000000, vcc_lo
	v_cmp_lt_i64_e32 vcc_lo, -1, v[15:16]
	v_xor_b32_e32 v100, v0, v15
	v_ashrrev_i32_e32 v0, 31, v20
	v_xor_b32_e32 v98, v4, v13
	v_xor_b32_e32 v99, v1, v14
	v_ashrrev_i32_e32 v4, 31, v9
	v_cndmask_b32_e64 v26, -1, 0x80000000, vcc_lo
	v_cmp_lt_i64_e32 vcc_lo, -1, v[8:9]
	v_xor_b32_e32 v112, v0, v19
	v_ashrrev_i32_e32 v0, 31, v25
	v_xor_b32_e32 v102, v4, v8
	v_ashrrev_i32_e32 v4, 31, v18
	v_sub_co_u32 v8, s6, v54, 1
	v_cndmask_b32_e64 v1, -1, 0x80000000, vcc_lo
	v_cmp_lt_i64_e32 vcc_lo, -1, v[19:20]
	v_xor_b32_e32 v80, v0, v24
	v_lshl_add_u32 v0, v21, 5, v12
	v_xor_b32_e32 v116, v4, v17
	v_xor_b32_e32 v103, v1, v9
	v_ashrrev_i32_e32 v4, 31, v23
	v_cndmask_b32_e64 v5, -1, 0x80000000, vcc_lo
	v_cmp_lt_i64_e32 vcc_lo, -1, v[17:18]
	v_add_nc_u32_e32 v55, 32, v0
	v_add_nc_u32_e32 v118, 36, v0
	;; [unrolled: 1-line block ×3, first 2 shown]
	v_xor_b32_e32 v113, v5, v20
	v_add_nc_u32_e32 v129, 44, v0
	v_cndmask_b32_e64 v1, -1, 0x80000000, vcc_lo
	v_cmp_lt_i64_e32 vcc_lo, -1, v[24:25]
	v_add_nc_u32_e32 v130, 48, v0
	v_add_nc_u32_e32 v131, 52, v0
	;; [unrolled: 1-line block ×4, first 2 shown]
	v_and_b32_e32 v0, 0x3e0, v21
	v_cndmask_b32_e64 v5, -1, 0x80000000, vcc_lo
	v_cmp_lt_i64_e32 vcc_lo, -1, v[22:23]
	v_xor_b32_e32 v117, v1, v18
	v_xor_b32_e32 v84, v4, v22
	v_and_b32_e32 v4, 15, v54
	v_min_u32_e32 v0, 0xe0, v0
	v_xor_b32_e32 v81, v5, v25
	v_cndmask_b32_e64 v1, -1, 0x80000000, vcc_lo
	v_and_b32_e32 v5, 16, v54
	v_cmp_eq_u32_e32 vcc_lo, 0, v4
	v_cmp_lt_u32_e64 s4, 1, v4
	v_cmp_lt_u32_e64 s5, 3, v4
	v_xor_b32_e32 v85, v1, v23
	v_lshlrev_b32_e32 v1, 3, v21
	v_cmp_lt_u32_e64 s7, 7, v4
	v_or_b32_e32 v0, 31, v0
	v_lshrrev_b32_e32 v4, 3, v21
	v_cmp_gt_i32_e64 s11, 0, v8
	v_cmp_eq_u32_e64 s10, 0, v5
	v_xor_b32_e32 v101, v26, v16
	v_cmp_eq_u32_e64 s16, 0, v21
	v_lshl_add_u32 v145, v21, 2, v12
	v_cndmask_b32_e64 v5, v8, v54, s11
	v_cmp_eq_u32_e64 s11, v21, v0
	v_and_b32_e32 v0, 0x7c, v4
	v_and_or_b32 v4, 0x1f00, v1, v54
	v_mov_b32_e32 v1, 0
	v_lshlrev_b32_e32 v135, 2, v5
	v_and_b32_e32 v5, 7, v54
	v_add_nc_u32_e32 v144, v12, v0
	v_lshl_add_u32 v146, v4, 3, v12
	v_sub_nc_u32_e32 v163, v11, v10
	s_mov_b32 s22, -1
	v_cmp_eq_u32_e64 s17, 0, v5
	v_cmp_lt_u32_e64 s18, 1, v5
	v_cmp_lt_u32_e64 s19, 3, v5
	v_add_nc_u32_e32 v147, -4, v144
	v_add_nc_u32_e32 v148, 0x100, v146
	v_add_nc_u32_e32 v149, 0x200, v146
	v_add_nc_u32_e32 v150, 0x300, v146
	v_add_nc_u32_e32 v151, 0x400, v146
	v_add_nc_u32_e32 v160, 0x500, v146
	v_add_nc_u32_e32 v161, 0x600, v146
	v_add_nc_u32_e32 v162, 0x700, v146
	s_brev_b32 s23, -2
	s_mov_b32 s27, 0
	s_waitcnt lgkmcnt(0)
	s_waitcnt_vscnt null, 0x0
	s_barrier
	buffer_gl0_inv
	s_branch .LBB1221_172
.LBB1221_171:                           ;   in Loop: Header=BB1221_172 Depth=1
	s_or_b32 exec_lo, exec_lo, s21
	s_and_b32 s20, exec_lo, s28
	s_or_b32 s27, s20, s27
	s_andn2_b32 exec_lo, exec_lo, s27
	s_cbranch_execz .LBB1221_226
.LBB1221_172:                           ; =>This Inner Loop Header: Depth=1
	v_mov_b32_e32 v19, v114
	v_mov_b32_e32 v20, v115
	v_min_u32_e32 v0, s26, v163
	v_mov_b32_e32 v4, v64
	v_mov_b32_e32 v5, v65
	;; [unrolled: 1-line block ×3, first 2 shown]
	v_cmp_ne_u64_e64 s20, s[22:23], v[19:20]
	v_lshlrev_b32_e64 v0, v0, -1
	v_mov_b32_e32 v9, v39
	v_mov_b32_e32 v17, v66
	;; [unrolled: 1-line block ×4, first 2 shown]
	v_cndmask_b32_e64 v23, 0x80000000, v20, s20
	v_cndmask_b32_e64 v22, 0, v19, s20
	v_not_b32_e32 v65, v0
	v_mov_b32_e32 v13, v70
	v_mov_b32_e32 v53, v82
	;; [unrolled: 1-line block ×3, first 2 shown]
	v_lshrrev_b64 v[26:27], v10, v[22:23]
	v_mov_b32_e32 v22, v96
	v_mov_b32_e32 v24, v98
	;; [unrolled: 1-line block ×5, first 2 shown]
	v_and_b32_e32 v0, v26, v65
	v_mov_b32_e32 v26, v116
	v_mov_b32_e32 v16, v69
	;; [unrolled: 1-line block ×4, first 2 shown]
	v_and_b32_e32 v34, 1, v0
	v_lshlrev_b32_e32 v35, 30, v0
	v_lshlrev_b32_e32 v36, 29, v0
	;; [unrolled: 1-line block ×4, first 2 shown]
	v_add_co_u32 v34, s20, v34, -1
	v_cndmask_b32_e64 v38, 0, 1, s20
	v_not_b32_e32 v67, v35
	v_cmp_gt_i32_e64 s21, 0, v35
	v_not_b32_e32 v35, v36
	v_lshlrev_b32_e32 v64, 26, v0
	v_cmp_ne_u32_e64 s20, 0, v38
	v_ashrrev_i32_e32 v67, 31, v67
	v_lshlrev_b32_e32 v66, 25, v0
	v_ashrrev_i32_e32 v35, 31, v35
	v_lshlrev_b32_e32 v38, 24, v0
	v_xor_b32_e32 v34, s20, v34
	v_cmp_gt_i32_e64 s20, 0, v36
	v_not_b32_e32 v36, v37
	v_xor_b32_e32 v67, s21, v67
	v_cmp_gt_i32_e64 s21, 0, v37
	v_and_b32_e32 v34, exec_lo, v34
	v_not_b32_e32 v37, v39
	v_ashrrev_i32_e32 v36, 31, v36
	v_xor_b32_e32 v35, s20, v35
	v_cmp_gt_i32_e64 s20, 0, v39
	v_and_b32_e32 v34, v34, v67
	v_not_b32_e32 v39, v64
	v_ashrrev_i32_e32 v37, 31, v37
	v_xor_b32_e32 v36, s21, v36
	v_cmp_gt_i32_e64 s21, 0, v64
	v_and_b32_e32 v34, v34, v35
	;; [unrolled: 5-line block ×4, first 2 shown]
	v_ashrrev_i32_e32 v38, 31, v64
	v_xor_b32_e32 v64, s20, v35
	v_lshl_add_u32 v0, v0, 3, v134
	v_mov_b32_e32 v36, v80
	v_and_b32_e32 v39, v34, v39
	v_xor_b32_e32 v38, s21, v38
	v_mov_b32_e32 v34, v84
	v_lshlrev_b64 v[66:67], 2, v[0:1]
	v_mov_b32_e32 v52, v87
	v_and_b32_e32 v39, v39, v64
	v_mov_b32_e32 v23, v97
	v_mov_b32_e32 v25, v99
	;; [unrolled: 1-line block ×4, first 2 shown]
	v_and_b32_e32 v39, v39, v38
	v_add_co_u32 v38, null, v12, v66
	v_mov_b32_e32 v29, v113
	v_mov_b32_e32 v27, v117
	v_mbcnt_lo_u32_b32 v0, v39, 0
	v_cmp_ne_u32_e64 s21, 0, v39
	v_mov_b32_e32 v37, v81
	v_mov_b32_e32 v35, v85
	v_add_co_u32 v38, null, v38, 32
	v_cmp_eq_u32_e64 s20, 0, v0
	ds_write_b32 v55, v1
	ds_write_b32 v118, v1
	;; [unrolled: 1-line block ×6, first 2 shown]
	s_and_b32 s21, s21, s20
	ds_write_b32 v132, v1
	ds_write_b32 v133, v1
	s_waitcnt lgkmcnt(0)
	s_barrier
	buffer_gl0_inv
	; wave barrier
	s_and_saveexec_b32 s20, s21
; %bb.173:                              ;   in Loop: Header=BB1221_172 Depth=1
	v_bcnt_u32_b32 v39, v39, 0
	ds_write_b32 v38, v39
; %bb.174:                              ;   in Loop: Header=BB1221_172 Depth=1
	s_or_b32 exec_lo, exec_lo, s20
	v_cmp_ne_u64_e64 s20, s[22:23], v[24:25]
	; wave barrier
	v_cndmask_b32_e64 v67, 0x80000000, v25, s20
	v_cndmask_b32_e64 v66, 0, v24, s20
	v_lshrrev_b64 v[66:67], v10, v[66:67]
	v_and_b32_e32 v39, v66, v65
	v_and_b32_e32 v64, 1, v39
	v_lshlrev_b32_e32 v66, 30, v39
	v_lshlrev_b32_e32 v67, 29, v39
	;; [unrolled: 1-line block ×4, first 2 shown]
	v_add_co_u32 v64, s20, v64, -1
	v_cndmask_b32_e64 v69, 0, 1, s20
	v_not_b32_e32 v81, v66
	v_cmp_gt_i32_e64 s21, 0, v66
	v_not_b32_e32 v66, v67
	v_lshlrev_b32_e32 v71, 26, v39
	v_cmp_ne_u32_e64 s20, 0, v69
	v_ashrrev_i32_e32 v81, 31, v81
	v_lshlrev_b32_e32 v80, 25, v39
	v_ashrrev_i32_e32 v66, 31, v66
	v_lshlrev_b32_e32 v69, 24, v39
	v_xor_b32_e32 v64, s20, v64
	v_cmp_gt_i32_e64 s20, 0, v67
	v_not_b32_e32 v67, v68
	v_xor_b32_e32 v81, s21, v81
	v_cmp_gt_i32_e64 s21, 0, v68
	v_and_b32_e32 v64, exec_lo, v64
	v_not_b32_e32 v68, v70
	v_ashrrev_i32_e32 v67, 31, v67
	v_xor_b32_e32 v66, s20, v66
	v_cmp_gt_i32_e64 s20, 0, v70
	v_and_b32_e32 v64, v64, v81
	v_not_b32_e32 v70, v71
	v_ashrrev_i32_e32 v68, 31, v68
	v_xor_b32_e32 v67, s21, v67
	v_cmp_gt_i32_e64 s21, 0, v71
	v_and_b32_e32 v64, v64, v66
	v_not_b32_e32 v66, v80
	v_ashrrev_i32_e32 v70, 31, v70
	v_xor_b32_e32 v68, s20, v68
	v_cmp_gt_i32_e64 s20, 0, v80
	v_and_b32_e32 v64, v64, v67
	v_not_b32_e32 v67, v69
	v_ashrrev_i32_e32 v66, 31, v66
	v_xor_b32_e32 v70, s21, v70
	v_lshl_add_u32 v39, v39, 3, v134
	v_and_b32_e32 v64, v64, v68
	v_cmp_gt_i32_e64 s21, 0, v69
	v_ashrrev_i32_e32 v67, 31, v67
	v_xor_b32_e32 v66, s20, v66
	v_lshl_add_u32 v68, v39, 2, v12
	v_and_b32_e32 v64, v64, v70
	v_xor_b32_e32 v67, s21, v67
	ds_read_b32 v39, v68 offset:32
	v_and_b32_e32 v64, v64, v66
	v_add_nc_u32_e32 v66, 32, v68
	; wave barrier
	v_and_b32_e32 v67, v64, v67
	v_mbcnt_lo_u32_b32 v64, v67, 0
	v_cmp_ne_u32_e64 s21, 0, v67
	v_cmp_eq_u32_e64 s20, 0, v64
	s_and_b32 s21, s21, s20
	s_and_saveexec_b32 s20, s21
	s_cbranch_execz .LBB1221_176
; %bb.175:                              ;   in Loop: Header=BB1221_172 Depth=1
	s_waitcnt lgkmcnt(0)
	v_bcnt_u32_b32 v67, v67, v39
	ds_write_b32 v66, v67
.LBB1221_176:                           ;   in Loop: Header=BB1221_172 Depth=1
	s_or_b32 exec_lo, exec_lo, s20
	v_cmp_ne_u64_e64 s20, s[22:23], v[32:33]
	; wave barrier
	v_cndmask_b32_e64 v68, 0x80000000, v33, s20
	v_cndmask_b32_e64 v67, 0, v32, s20
	v_lshrrev_b64 v[67:68], v10, v[67:68]
	v_and_b32_e32 v67, v67, v65
	v_and_b32_e32 v68, 1, v67
	v_lshlrev_b32_e32 v69, 30, v67
	v_lshlrev_b32_e32 v70, 29, v67
	;; [unrolled: 1-line block ×4, first 2 shown]
	v_add_co_u32 v68, s20, v68, -1
	v_cndmask_b32_e64 v80, 0, 1, s20
	v_not_b32_e32 v84, v69
	v_cmp_gt_i32_e64 s21, 0, v69
	v_not_b32_e32 v69, v70
	v_lshlrev_b32_e32 v82, 26, v67
	v_cmp_ne_u32_e64 s20, 0, v80
	v_ashrrev_i32_e32 v84, 31, v84
	v_lshlrev_b32_e32 v83, 25, v67
	v_ashrrev_i32_e32 v69, 31, v69
	v_lshlrev_b32_e32 v80, 24, v67
	v_xor_b32_e32 v68, s20, v68
	v_cmp_gt_i32_e64 s20, 0, v70
	v_not_b32_e32 v70, v71
	v_xor_b32_e32 v84, s21, v84
	v_cmp_gt_i32_e64 s21, 0, v71
	v_and_b32_e32 v68, exec_lo, v68
	v_not_b32_e32 v71, v81
	v_ashrrev_i32_e32 v70, 31, v70
	v_xor_b32_e32 v69, s20, v69
	v_cmp_gt_i32_e64 s20, 0, v81
	v_and_b32_e32 v68, v68, v84
	v_not_b32_e32 v81, v82
	v_ashrrev_i32_e32 v71, 31, v71
	v_xor_b32_e32 v70, s21, v70
	v_cmp_gt_i32_e64 s21, 0, v82
	v_and_b32_e32 v68, v68, v69
	;; [unrolled: 5-line block ×3, first 2 shown]
	v_not_b32_e32 v70, v80
	v_ashrrev_i32_e32 v69, 31, v69
	v_xor_b32_e32 v81, s21, v81
	v_lshl_add_u32 v67, v67, 3, v134
	v_and_b32_e32 v68, v68, v71
	v_cmp_gt_i32_e64 s21, 0, v80
	v_ashrrev_i32_e32 v70, 31, v70
	v_xor_b32_e32 v69, s20, v69
	v_lshl_add_u32 v71, v67, 2, v12
	v_and_b32_e32 v68, v68, v81
	v_xor_b32_e32 v70, s21, v70
	ds_read_b32 v67, v71 offset:32
	v_and_b32_e32 v68, v68, v69
	v_add_nc_u32_e32 v69, 32, v71
	; wave barrier
	v_and_b32_e32 v70, v68, v70
	v_mbcnt_lo_u32_b32 v68, v70, 0
	v_cmp_ne_u32_e64 s21, 0, v70
	v_cmp_eq_u32_e64 s20, 0, v68
	s_and_b32 s21, s21, s20
	s_and_saveexec_b32 s20, s21
	s_cbranch_execz .LBB1221_178
; %bb.177:                              ;   in Loop: Header=BB1221_172 Depth=1
	s_waitcnt lgkmcnt(0)
	v_bcnt_u32_b32 v70, v70, v67
	ds_write_b32 v69, v70
.LBB1221_178:                           ;   in Loop: Header=BB1221_172 Depth=1
	s_or_b32 exec_lo, exec_lo, s20
	v_cmp_ne_u64_e64 s20, s[22:23], v[30:31]
	; wave barrier
	v_cndmask_b32_e64 v71, 0x80000000, v31, s20
	v_cndmask_b32_e64 v70, 0, v30, s20
	v_lshrrev_b64 v[70:71], v10, v[70:71]
	v_and_b32_e32 v70, v70, v65
	v_and_b32_e32 v71, 1, v70
	v_lshlrev_b32_e32 v80, 30, v70
	v_lshlrev_b32_e32 v81, 29, v70
	;; [unrolled: 1-line block ×4, first 2 shown]
	v_add_co_u32 v71, s20, v71, -1
	v_cndmask_b32_e64 v83, 0, 1, s20
	v_not_b32_e32 v87, v80
	v_cmp_gt_i32_e64 s21, 0, v80
	v_not_b32_e32 v80, v81
	v_lshlrev_b32_e32 v85, 26, v70
	v_cmp_ne_u32_e64 s20, 0, v83
	v_ashrrev_i32_e32 v87, 31, v87
	v_lshlrev_b32_e32 v86, 25, v70
	v_ashrrev_i32_e32 v80, 31, v80
	v_lshlrev_b32_e32 v83, 24, v70
	v_xor_b32_e32 v71, s20, v71
	v_cmp_gt_i32_e64 s20, 0, v81
	v_not_b32_e32 v81, v82
	v_xor_b32_e32 v87, s21, v87
	v_cmp_gt_i32_e64 s21, 0, v82
	v_and_b32_e32 v71, exec_lo, v71
	v_not_b32_e32 v82, v84
	v_ashrrev_i32_e32 v81, 31, v81
	v_xor_b32_e32 v80, s20, v80
	v_cmp_gt_i32_e64 s20, 0, v84
	v_and_b32_e32 v71, v71, v87
	v_not_b32_e32 v84, v85
	v_ashrrev_i32_e32 v82, 31, v82
	v_xor_b32_e32 v81, s21, v81
	v_cmp_gt_i32_e64 s21, 0, v85
	v_and_b32_e32 v71, v71, v80
	;; [unrolled: 5-line block ×3, first 2 shown]
	v_not_b32_e32 v81, v83
	v_ashrrev_i32_e32 v80, 31, v80
	v_xor_b32_e32 v84, s21, v84
	v_lshl_add_u32 v70, v70, 3, v134
	v_and_b32_e32 v71, v71, v82
	v_cmp_gt_i32_e64 s21, 0, v83
	v_ashrrev_i32_e32 v81, 31, v81
	v_xor_b32_e32 v80, s20, v80
	v_lshl_add_u32 v82, v70, 2, v12
	v_and_b32_e32 v71, v71, v84
	v_xor_b32_e32 v81, s21, v81
	ds_read_b32 v70, v82 offset:32
	v_and_b32_e32 v71, v71, v80
	v_add_nc_u32_e32 v80, 32, v82
	; wave barrier
	v_and_b32_e32 v81, v71, v81
	v_mbcnt_lo_u32_b32 v71, v81, 0
	v_cmp_ne_u32_e64 s21, 0, v81
	v_cmp_eq_u32_e64 s20, 0, v71
	s_and_b32 s21, s21, s20
	s_and_saveexec_b32 s20, s21
	s_cbranch_execz .LBB1221_180
; %bb.179:                              ;   in Loop: Header=BB1221_172 Depth=1
	s_waitcnt lgkmcnt(0)
	v_bcnt_u32_b32 v81, v81, v70
	ds_write_b32 v80, v81
.LBB1221_180:                           ;   in Loop: Header=BB1221_172 Depth=1
	s_or_b32 exec_lo, exec_lo, s20
	v_cmp_ne_u64_e64 s20, s[22:23], v[28:29]
	; wave barrier
	v_cndmask_b32_e64 v82, 0x80000000, v29, s20
	v_cndmask_b32_e64 v81, 0, v28, s20
	v_lshrrev_b64 v[81:82], v10, v[81:82]
	v_and_b32_e32 v81, v81, v65
	v_and_b32_e32 v82, 1, v81
	v_lshlrev_b32_e32 v83, 30, v81
	v_lshlrev_b32_e32 v84, 29, v81
	;; [unrolled: 1-line block ×4, first 2 shown]
	v_add_co_u32 v82, s20, v82, -1
	v_cndmask_b32_e64 v86, 0, 1, s20
	v_not_b32_e32 v98, v83
	v_cmp_gt_i32_e64 s21, 0, v83
	v_not_b32_e32 v83, v84
	v_lshlrev_b32_e32 v96, 26, v81
	v_cmp_ne_u32_e64 s20, 0, v86
	v_ashrrev_i32_e32 v98, 31, v98
	v_lshlrev_b32_e32 v97, 25, v81
	v_ashrrev_i32_e32 v83, 31, v83
	v_lshlrev_b32_e32 v86, 24, v81
	v_xor_b32_e32 v82, s20, v82
	v_cmp_gt_i32_e64 s20, 0, v84
	v_not_b32_e32 v84, v85
	v_xor_b32_e32 v98, s21, v98
	v_cmp_gt_i32_e64 s21, 0, v85
	v_and_b32_e32 v82, exec_lo, v82
	v_not_b32_e32 v85, v87
	v_ashrrev_i32_e32 v84, 31, v84
	v_xor_b32_e32 v83, s20, v83
	v_cmp_gt_i32_e64 s20, 0, v87
	v_and_b32_e32 v82, v82, v98
	v_not_b32_e32 v87, v96
	v_ashrrev_i32_e32 v85, 31, v85
	v_xor_b32_e32 v84, s21, v84
	v_cmp_gt_i32_e64 s21, 0, v96
	v_and_b32_e32 v82, v82, v83
	;; [unrolled: 5-line block ×3, first 2 shown]
	v_not_b32_e32 v84, v86
	v_ashrrev_i32_e32 v83, 31, v83
	v_xor_b32_e32 v87, s21, v87
	v_lshl_add_u32 v81, v81, 3, v134
	v_and_b32_e32 v82, v82, v85
	v_cmp_gt_i32_e64 s21, 0, v86
	v_ashrrev_i32_e32 v84, 31, v84
	v_xor_b32_e32 v83, s20, v83
	v_lshl_add_u32 v85, v81, 2, v12
	v_and_b32_e32 v82, v82, v87
	v_xor_b32_e32 v84, s21, v84
	ds_read_b32 v81, v85 offset:32
	v_and_b32_e32 v82, v82, v83
	v_add_nc_u32_e32 v83, 32, v85
	; wave barrier
	v_and_b32_e32 v84, v82, v84
	v_mbcnt_lo_u32_b32 v82, v84, 0
	v_cmp_ne_u32_e64 s21, 0, v84
	v_cmp_eq_u32_e64 s20, 0, v82
	s_and_b32 s21, s21, s20
	s_and_saveexec_b32 s20, s21
	s_cbranch_execz .LBB1221_182
; %bb.181:                              ;   in Loop: Header=BB1221_172 Depth=1
	s_waitcnt lgkmcnt(0)
	v_bcnt_u32_b32 v84, v84, v81
	ds_write_b32 v83, v84
.LBB1221_182:                           ;   in Loop: Header=BB1221_172 Depth=1
	s_or_b32 exec_lo, exec_lo, s20
	v_cmp_ne_u64_e64 s20, s[22:23], v[26:27]
	; wave barrier
	v_cndmask_b32_e64 v85, 0x80000000, v27, s20
	v_cndmask_b32_e64 v84, 0, v26, s20
	v_lshrrev_b64 v[84:85], v10, v[84:85]
	v_and_b32_e32 v84, v84, v65
	v_and_b32_e32 v85, 1, v84
	v_lshlrev_b32_e32 v86, 30, v84
	v_lshlrev_b32_e32 v87, 29, v84
	;; [unrolled: 1-line block ×4, first 2 shown]
	v_add_co_u32 v85, s20, v85, -1
	v_cndmask_b32_e64 v97, 0, 1, s20
	v_not_b32_e32 v101, v86
	v_cmp_gt_i32_e64 s21, 0, v86
	v_not_b32_e32 v86, v87
	v_lshlrev_b32_e32 v99, 26, v84
	v_cmp_ne_u32_e64 s20, 0, v97
	v_ashrrev_i32_e32 v101, 31, v101
	v_lshlrev_b32_e32 v100, 25, v84
	v_ashrrev_i32_e32 v86, 31, v86
	v_lshlrev_b32_e32 v97, 24, v84
	v_xor_b32_e32 v85, s20, v85
	v_cmp_gt_i32_e64 s20, 0, v87
	v_not_b32_e32 v87, v96
	v_xor_b32_e32 v101, s21, v101
	v_cmp_gt_i32_e64 s21, 0, v96
	v_and_b32_e32 v85, exec_lo, v85
	v_not_b32_e32 v96, v98
	v_ashrrev_i32_e32 v87, 31, v87
	v_xor_b32_e32 v86, s20, v86
	v_cmp_gt_i32_e64 s20, 0, v98
	v_and_b32_e32 v85, v85, v101
	v_not_b32_e32 v98, v99
	v_ashrrev_i32_e32 v96, 31, v96
	v_xor_b32_e32 v87, s21, v87
	v_cmp_gt_i32_e64 s21, 0, v99
	v_and_b32_e32 v85, v85, v86
	v_not_b32_e32 v86, v100
	v_ashrrev_i32_e32 v98, 31, v98
	v_xor_b32_e32 v96, s20, v96
	v_cmp_gt_i32_e64 s20, 0, v100
	v_and_b32_e32 v85, v85, v87
	v_not_b32_e32 v87, v97
	v_ashrrev_i32_e32 v86, 31, v86
	v_xor_b32_e32 v98, s21, v98
	v_lshl_add_u32 v84, v84, 3, v134
	v_and_b32_e32 v85, v85, v96
	v_cmp_gt_i32_e64 s21, 0, v97
	v_ashrrev_i32_e32 v87, 31, v87
	v_xor_b32_e32 v86, s20, v86
	v_lshl_add_u32 v96, v84, 2, v12
	v_and_b32_e32 v85, v85, v98
	v_xor_b32_e32 v87, s21, v87
	ds_read_b32 v84, v96 offset:32
	v_and_b32_e32 v85, v85, v86
	v_add_nc_u32_e32 v86, 32, v96
	; wave barrier
	v_and_b32_e32 v87, v85, v87
	v_mbcnt_lo_u32_b32 v85, v87, 0
	v_cmp_ne_u32_e64 s21, 0, v87
	v_cmp_eq_u32_e64 s20, 0, v85
	s_and_b32 s21, s21, s20
	s_and_saveexec_b32 s20, s21
	s_cbranch_execz .LBB1221_184
; %bb.183:                              ;   in Loop: Header=BB1221_172 Depth=1
	s_waitcnt lgkmcnt(0)
	v_bcnt_u32_b32 v87, v87, v84
	ds_write_b32 v86, v87
.LBB1221_184:                           ;   in Loop: Header=BB1221_172 Depth=1
	s_or_b32 exec_lo, exec_lo, s20
	v_cmp_ne_u64_e64 s20, s[22:23], v[36:37]
	; wave barrier
	v_cndmask_b32_e64 v97, 0x80000000, v37, s20
	v_cndmask_b32_e64 v96, 0, v36, s20
	v_lshrrev_b64 v[96:97], v10, v[96:97]
	v_and_b32_e32 v87, v96, v65
	v_and_b32_e32 v96, 1, v87
	v_lshlrev_b32_e32 v97, 30, v87
	v_lshlrev_b32_e32 v98, 29, v87
	;; [unrolled: 1-line block ×4, first 2 shown]
	v_add_co_u32 v96, s20, v96, -1
	v_cndmask_b32_e64 v100, 0, 1, s20
	v_not_b32_e32 v112, v97
	v_cmp_gt_i32_e64 s21, 0, v97
	v_not_b32_e32 v97, v98
	v_lshlrev_b32_e32 v102, 26, v87
	v_cmp_ne_u32_e64 s20, 0, v100
	v_ashrrev_i32_e32 v112, 31, v112
	v_lshlrev_b32_e32 v103, 25, v87
	v_ashrrev_i32_e32 v97, 31, v97
	v_lshlrev_b32_e32 v100, 24, v87
	v_xor_b32_e32 v96, s20, v96
	v_cmp_gt_i32_e64 s20, 0, v98
	v_not_b32_e32 v98, v99
	v_xor_b32_e32 v112, s21, v112
	v_cmp_gt_i32_e64 s21, 0, v99
	v_and_b32_e32 v96, exec_lo, v96
	v_not_b32_e32 v99, v101
	v_ashrrev_i32_e32 v98, 31, v98
	v_xor_b32_e32 v97, s20, v97
	v_cmp_gt_i32_e64 s20, 0, v101
	v_and_b32_e32 v96, v96, v112
	v_not_b32_e32 v101, v102
	v_ashrrev_i32_e32 v99, 31, v99
	v_xor_b32_e32 v98, s21, v98
	v_cmp_gt_i32_e64 s21, 0, v102
	v_and_b32_e32 v96, v96, v97
	;; [unrolled: 5-line block ×3, first 2 shown]
	v_not_b32_e32 v98, v100
	v_ashrrev_i32_e32 v97, 31, v97
	v_xor_b32_e32 v101, s21, v101
	v_lshl_add_u32 v87, v87, 3, v134
	v_and_b32_e32 v96, v96, v99
	v_cmp_gt_i32_e64 s21, 0, v100
	v_ashrrev_i32_e32 v98, 31, v98
	v_xor_b32_e32 v97, s20, v97
	v_lshl_add_u32 v99, v87, 2, v12
	v_and_b32_e32 v96, v96, v101
	v_xor_b32_e32 v98, s21, v98
	ds_read_b32 v87, v99 offset:32
	v_and_b32_e32 v96, v96, v97
	v_add_nc_u32_e32 v97, 32, v99
	; wave barrier
	v_and_b32_e32 v98, v96, v98
	v_mbcnt_lo_u32_b32 v96, v98, 0
	v_cmp_ne_u32_e64 s21, 0, v98
	v_cmp_eq_u32_e64 s20, 0, v96
	s_and_b32 s21, s21, s20
	s_and_saveexec_b32 s20, s21
	s_cbranch_execz .LBB1221_186
; %bb.185:                              ;   in Loop: Header=BB1221_172 Depth=1
	s_waitcnt lgkmcnt(0)
	v_bcnt_u32_b32 v98, v98, v87
	ds_write_b32 v97, v98
.LBB1221_186:                           ;   in Loop: Header=BB1221_172 Depth=1
	s_or_b32 exec_lo, exec_lo, s20
	v_cmp_ne_u64_e64 s20, s[22:23], v[34:35]
	; wave barrier
	v_cndmask_b32_e64 v99, 0x80000000, v35, s20
	v_cndmask_b32_e64 v98, 0, v34, s20
	v_lshrrev_b64 v[98:99], v10, v[98:99]
	v_and_b32_e32 v65, v98, v65
	v_and_b32_e32 v98, 1, v65
	v_lshlrev_b32_e32 v99, 30, v65
	v_lshlrev_b32_e32 v100, 29, v65
	;; [unrolled: 1-line block ×4, first 2 shown]
	v_add_co_u32 v98, s20, v98, -1
	v_cndmask_b32_e64 v102, 0, 1, s20
	v_not_b32_e32 v114, v99
	v_cmp_gt_i32_e64 s21, 0, v99
	v_not_b32_e32 v99, v100
	v_lshlrev_b32_e32 v112, 26, v65
	v_cmp_ne_u32_e64 s20, 0, v102
	v_ashrrev_i32_e32 v114, 31, v114
	v_lshlrev_b32_e32 v113, 25, v65
	v_ashrrev_i32_e32 v99, 31, v99
	v_lshlrev_b32_e32 v102, 24, v65
	v_xor_b32_e32 v98, s20, v98
	v_cmp_gt_i32_e64 s20, 0, v100
	v_not_b32_e32 v100, v101
	v_xor_b32_e32 v114, s21, v114
	v_cmp_gt_i32_e64 s21, 0, v101
	v_and_b32_e32 v98, exec_lo, v98
	v_not_b32_e32 v101, v103
	v_ashrrev_i32_e32 v100, 31, v100
	v_xor_b32_e32 v99, s20, v99
	v_cmp_gt_i32_e64 s20, 0, v103
	v_and_b32_e32 v98, v98, v114
	v_not_b32_e32 v103, v112
	v_ashrrev_i32_e32 v101, 31, v101
	v_xor_b32_e32 v100, s21, v100
	v_cmp_gt_i32_e64 s21, 0, v112
	v_and_b32_e32 v98, v98, v99
	;; [unrolled: 5-line block ×3, first 2 shown]
	v_not_b32_e32 v100, v102
	v_ashrrev_i32_e32 v99, 31, v99
	v_xor_b32_e32 v103, s21, v103
	v_lshl_add_u32 v65, v65, 3, v134
	v_and_b32_e32 v98, v98, v101
	v_cmp_gt_i32_e64 s21, 0, v102
	v_ashrrev_i32_e32 v100, 31, v100
	v_xor_b32_e32 v99, s20, v99
	v_lshl_add_u32 v101, v65, 2, v12
	v_and_b32_e32 v98, v98, v103
	v_xor_b32_e32 v100, s21, v100
	ds_read_b32 v65, v101 offset:32
	v_and_b32_e32 v98, v98, v99
	v_add_nc_u32_e32 v99, 32, v101
	; wave barrier
	v_and_b32_e32 v100, v98, v100
	v_mbcnt_lo_u32_b32 v98, v100, 0
	v_cmp_ne_u32_e64 s21, 0, v100
	v_cmp_eq_u32_e64 s20, 0, v98
	s_and_b32 s21, s21, s20
	s_and_saveexec_b32 s20, s21
	s_cbranch_execz .LBB1221_188
; %bb.187:                              ;   in Loop: Header=BB1221_172 Depth=1
	s_waitcnt lgkmcnt(0)
	v_bcnt_u32_b32 v100, v100, v65
	ds_write_b32 v99, v100
.LBB1221_188:                           ;   in Loop: Header=BB1221_172 Depth=1
	s_or_b32 exec_lo, exec_lo, s20
	; wave barrier
	s_waitcnt lgkmcnt(0)
	s_barrier
	buffer_gl0_inv
	ds_read_b32 v101, v55
	ds_read_b32 v102, v118
	;; [unrolled: 1-line block ×8, first 2 shown]
	s_waitcnt lgkmcnt(6)
	v_add_nc_u32_e32 v116, v102, v101
	s_waitcnt lgkmcnt(4)
	v_add3_u32 v116, v116, v103, v112
	s_waitcnt lgkmcnt(2)
	v_add3_u32 v116, v116, v113, v114
	;; [unrolled: 2-line block ×3, first 2 shown]
	v_mov_b32_dpp v116, v115 row_shr:1 row_mask:0xf bank_mask:0xf
	v_cndmask_b32_e64 v116, v116, 0, vcc_lo
	v_add_nc_u32_e32 v115, v116, v115
	v_mov_b32_dpp v116, v115 row_shr:2 row_mask:0xf bank_mask:0xf
	v_cndmask_b32_e64 v116, 0, v116, s4
	v_add_nc_u32_e32 v115, v115, v116
	v_mov_b32_dpp v116, v115 row_shr:4 row_mask:0xf bank_mask:0xf
	v_cndmask_b32_e64 v116, 0, v116, s5
	;; [unrolled: 3-line block ×3, first 2 shown]
	v_add_nc_u32_e32 v115, v115, v116
	ds_swizzle_b32 v116, v115 offset:swizzle(BROADCAST,32,15)
	s_waitcnt lgkmcnt(0)
	v_cndmask_b32_e64 v116, v116, 0, s10
	v_add_nc_u32_e32 v115, v115, v116
	s_and_saveexec_b32 s20, s11
; %bb.189:                              ;   in Loop: Header=BB1221_172 Depth=1
	ds_write_b32 v144, v115
; %bb.190:                              ;   in Loop: Header=BB1221_172 Depth=1
	s_or_b32 exec_lo, exec_lo, s20
	s_waitcnt lgkmcnt(0)
	s_barrier
	buffer_gl0_inv
	s_and_saveexec_b32 s20, s14
	s_cbranch_execz .LBB1221_192
; %bb.191:                              ;   in Loop: Header=BB1221_172 Depth=1
	ds_read_b32 v116, v145
	s_waitcnt lgkmcnt(0)
	v_mov_b32_dpp v117, v116 row_shr:1 row_mask:0xf bank_mask:0xf
	v_cndmask_b32_e64 v117, v117, 0, s17
	v_add_nc_u32_e32 v116, v117, v116
	v_mov_b32_dpp v117, v116 row_shr:2 row_mask:0xf bank_mask:0xf
	v_cndmask_b32_e64 v117, 0, v117, s18
	v_add_nc_u32_e32 v116, v116, v117
	;; [unrolled: 3-line block ×3, first 2 shown]
	ds_write_b32 v145, v116
.LBB1221_192:                           ;   in Loop: Header=BB1221_172 Depth=1
	s_or_b32 exec_lo, exec_lo, s20
	v_mov_b32_e32 v116, 0
	s_waitcnt lgkmcnt(0)
	s_barrier
	buffer_gl0_inv
	s_and_saveexec_b32 s20, s15
; %bb.193:                              ;   in Loop: Header=BB1221_172 Depth=1
	ds_read_b32 v116, v147
; %bb.194:                              ;   in Loop: Header=BB1221_172 Depth=1
	s_or_b32 exec_lo, exec_lo, s20
	s_waitcnt lgkmcnt(0)
	v_add_nc_u32_e32 v115, v116, v115
	v_add_nc_u32_e32 v10, 8, v10
	s_mov_b32 s28, -1
	ds_bpermute_b32 v115, v135, v115
	v_cmp_lt_u32_e64 s20, v10, v11
	s_waitcnt lgkmcnt(0)
	v_cndmask_b32_e64 v115, v115, v116, s6
                                        ; implicit-def: $vgpr116_vgpr117
	v_cndmask_b32_e64 v115, v115, 0, s16
	v_add_nc_u32_e32 v101, v115, v101
	v_add_nc_u32_e32 v102, v101, v102
	ds_write_b32 v55, v115
	ds_write_b32 v118, v101
	;; [unrolled: 1-line block ×3, first 2 shown]
	v_add_nc_u32_e32 v103, v102, v103
	v_mov_b32_e32 v102, v1
	v_add_nc_u32_e32 v112, v103, v112
	v_add_nc_u32_e32 v113, v112, v113
	;; [unrolled: 1-line block ×4, first 2 shown]
	ds_write_b32 v129, v103
	ds_write_b32 v130, v112
	;; [unrolled: 1-line block ×5, first 2 shown]
	s_waitcnt lgkmcnt(0)
	s_barrier
	buffer_gl0_inv
	ds_read_b32 v38, v38
	ds_read_b32 v101, v66
	;; [unrolled: 1-line block ×8, first 2 shown]
	v_mov_b32_e32 v83, v1
	v_mov_b32_e32 v69, v1
	;; [unrolled: 1-line block ×6, first 2 shown]
	s_waitcnt lgkmcnt(0)
	v_add_nc_u32_e32 v0, v38, v0
	v_add3_u32 v99, v64, v39, v101
	v_add3_u32 v68, v68, v67, v103
	;; [unrolled: 1-line block ×7, first 2 shown]
	v_lshlrev_b64 v[67:68], 3, v[68:69]
	v_lshlrev_b64 v[80:81], 3, v[82:83]
	;; [unrolled: 1-line block ×8, first 2 shown]
	v_add_co_u32 v165, null, v12, v67
	v_add_co_u32 v0, null, v12, v38
	;; [unrolled: 1-line block ×8, first 2 shown]
                                        ; implicit-def: $vgpr38_vgpr39
                                        ; implicit-def: $vgpr64_vgpr65
                                        ; implicit-def: $vgpr66_vgpr67
                                        ; implicit-def: $vgpr68_vgpr69
                                        ; implicit-def: $vgpr70_vgpr71
                                        ; implicit-def: $vgpr82_vgpr83
                                        ; implicit-def: $vgpr86_vgpr87
                                        ; implicit-def: $vgpr96_vgpr97
                                        ; implicit-def: $vgpr114_vgpr115
                                        ; implicit-def: $vgpr98_vgpr99
                                        ; implicit-def: $vgpr100_vgpr101
                                        ; implicit-def: $vgpr102_vgpr103
                                        ; implicit-def: $vgpr112_vgpr113
                                        ; implicit-def: $vgpr80_vgpr81
                                        ; implicit-def: $vgpr84_vgpr85
	s_and_saveexec_b32 s21, s20
	s_cbranch_execz .LBB1221_171
; %bb.195:                              ;   in Loop: Header=BB1221_172 Depth=1
	s_barrier
	buffer_gl0_inv
	ds_write_b64 v0, v[19:20]
	ds_write_b64 v164, v[24:25]
	;; [unrolled: 1-line block ×8, first 2 shown]
	s_waitcnt lgkmcnt(0)
	s_barrier
	buffer_gl0_inv
	ds_read_b64 v[114:115], v146
	ds_read_b64 v[98:99], v148
	ds_read_b64 v[100:101], v149
	ds_read_b64 v[102:103], v150
	ds_read_b64 v[112:113], v151
	ds_read_b64 v[116:117], v160
	ds_read_b64 v[80:81], v161
	ds_read_b64 v[84:85], v162
	s_waitcnt lgkmcnt(0)
	s_barrier
	buffer_gl0_inv
	ds_write_b64 v0, v[8:9]
	ds_write_b64 v164, v[4:5]
	;; [unrolled: 1-line block ×8, first 2 shown]
	s_waitcnt lgkmcnt(0)
	s_barrier
	buffer_gl0_inv
	ds_read_b64 v[38:39], v146
	ds_read_b64 v[64:65], v148
	;; [unrolled: 1-line block ×8, first 2 shown]
	v_add_nc_u32_e32 v163, -8, v163
	s_xor_b32 s28, exec_lo, -1
	s_waitcnt lgkmcnt(0)
	s_barrier
	buffer_gl0_inv
	s_branch .LBB1221_171
.LBB1221_196:
	flat_load_dwordx2 v[117:118], v[4:5]
	s_or_b32 exec_lo, exec_lo, s23
                                        ; implicit-def: $vgpr130_vgpr131
	s_and_saveexec_b32 s23, s4
	s_cbranch_execz .LBB1221_36
.LBB1221_197:
	flat_load_dwordx2 v[130:131], v[4:5] offset:256
	s_or_b32 exec_lo, exec_lo, s23
                                        ; implicit-def: $vgpr134_vgpr135
	s_and_saveexec_b32 s4, s5
	s_cbranch_execz .LBB1221_37
.LBB1221_198:
	flat_load_dwordx2 v[134:135], v[4:5] offset:512
	s_or_b32 exec_lo, exec_lo, s4
                                        ; implicit-def: $vgpr128_vgpr129
	s_and_saveexec_b32 s4, s6
	s_cbranch_execz .LBB1221_38
.LBB1221_199:
	flat_load_dwordx2 v[128:129], v[4:5] offset:768
	s_or_b32 exec_lo, exec_lo, s4
                                        ; implicit-def: $vgpr132_vgpr133
	s_and_saveexec_b32 s4, s7
	s_cbranch_execz .LBB1221_39
.LBB1221_200:
	flat_load_dwordx2 v[132:133], v[4:5] offset:1024
	s_or_b32 exec_lo, exec_lo, s4
                                        ; implicit-def: $vgpr144_vgpr145
	s_and_saveexec_b32 s4, s10
	s_cbranch_execz .LBB1221_40
.LBB1221_201:
	flat_load_dwordx2 v[144:145], v[4:5] offset:1280
	s_or_b32 exec_lo, exec_lo, s4
                                        ; implicit-def: $vgpr146_vgpr147
	s_and_saveexec_b32 s4, s11
	s_cbranch_execz .LBB1221_41
.LBB1221_202:
	flat_load_dwordx2 v[146:147], v[4:5] offset:1536
	s_or_b32 exec_lo, exec_lo, s4
                                        ; implicit-def: $vgpr148_vgpr149
	s_and_saveexec_b32 s4, s14
	s_cbranch_execz .LBB1221_42
.LBB1221_203:
	flat_load_dwordx2 v[148:149], v[4:5] offset:1792
	s_or_b32 exec_lo, exec_lo, s4
                                        ; implicit-def: $vgpr150_vgpr151
	s_and_saveexec_b32 s4, s15
	s_cbranch_execz .LBB1221_43
.LBB1221_204:
	v_add_co_u32 v50, vcc_lo, 0x800, v4
	v_add_co_ci_u32_e64 v51, null, 0, v5, vcc_lo
	flat_load_dwordx2 v[150:151], v[50:51]
	s_or_b32 exec_lo, exec_lo, s4
                                        ; implicit-def: $vgpr160_vgpr161
	s_and_saveexec_b32 s4, s16
	s_cbranch_execz .LBB1221_44
.LBB1221_205:
	v_add_co_u32 v50, vcc_lo, 0x800, v4
	v_add_co_ci_u32_e64 v51, null, 0, v5, vcc_lo
	flat_load_dwordx2 v[160:161], v[50:51] offset:256
	s_or_b32 exec_lo, exec_lo, s4
                                        ; implicit-def: $vgpr162_vgpr163
	s_and_saveexec_b32 s4, s17
	s_cbranch_execz .LBB1221_45
.LBB1221_206:
	v_add_co_u32 v50, vcc_lo, 0x800, v4
	v_add_co_ci_u32_e64 v51, null, 0, v5, vcc_lo
	flat_load_dwordx2 v[162:163], v[50:51] offset:512
	s_or_b32 exec_lo, exec_lo, s4
                                        ; implicit-def: $vgpr164_vgpr165
	s_and_saveexec_b32 s4, s18
	s_cbranch_execz .LBB1221_46
.LBB1221_207:
	v_add_co_u32 v50, vcc_lo, 0x800, v4
	v_add_co_ci_u32_e64 v51, null, 0, v5, vcc_lo
	flat_load_dwordx2 v[164:165], v[50:51] offset:768
	s_or_b32 exec_lo, exec_lo, s4
                                        ; implicit-def: $vgpr166_vgpr167
	s_and_saveexec_b32 s4, s19
	s_cbranch_execz .LBB1221_47
.LBB1221_208:
	v_add_co_u32 v50, vcc_lo, 0x800, v4
	v_add_co_ci_u32_e64 v51, null, 0, v5, vcc_lo
	flat_load_dwordx2 v[166:167], v[50:51] offset:1024
	s_or_b32 exec_lo, exec_lo, s4
                                        ; implicit-def: $vgpr176_vgpr177
	s_and_saveexec_b32 s4, s20
	s_cbranch_execz .LBB1221_48
.LBB1221_209:
	v_add_co_u32 v50, vcc_lo, 0x800, v4
	v_add_co_ci_u32_e64 v51, null, 0, v5, vcc_lo
	flat_load_dwordx2 v[176:177], v[50:51] offset:1280
	s_or_b32 exec_lo, exec_lo, s4
                                        ; implicit-def: $vgpr180_vgpr181
	s_and_saveexec_b32 s4, s21
	s_cbranch_execz .LBB1221_49
.LBB1221_210:
	v_add_co_u32 v50, vcc_lo, 0x800, v4
	v_add_co_ci_u32_e64 v51, null, 0, v5, vcc_lo
	flat_load_dwordx2 v[180:181], v[50:51] offset:1536
	s_or_b32 exec_lo, exec_lo, s4
                                        ; implicit-def: $vgpr196_vgpr197
	s_and_saveexec_b32 s4, s22
	s_cbranch_execnz .LBB1221_50
	s_branch .LBB1221_51
.LBB1221_211:
	flat_store_dwordx2 v[0:1], v[36:37]
	s_or_b32 exec_lo, exec_lo, s23
	s_and_saveexec_b32 s23, s4
	s_cbranch_execz .LBB1221_127
.LBB1221_212:
	v_add_co_u32 v2, vcc_lo, 0x800, v0
	v_add_co_ci_u32_e64 v3, null, 0, v1, vcc_lo
	flat_store_dwordx2 v[2:3], v[38:39]
	s_or_b32 exec_lo, exec_lo, s23
	s_and_saveexec_b32 s4, s5
	s_cbranch_execz .LBB1221_128
.LBB1221_213:
	v_add_co_u32 v2, vcc_lo, 0x1000, v0
	v_add_co_ci_u32_e64 v3, null, 0, v1, vcc_lo
	flat_store_dwordx2 v[2:3], v[32:33]
	s_or_b32 exec_lo, exec_lo, s4
	s_and_saveexec_b32 s4, s6
	s_cbranch_execz .LBB1221_129
.LBB1221_214:
	v_add_co_u32 v2, vcc_lo, 0x1800, v0
	v_add_co_ci_u32_e64 v3, null, 0, v1, vcc_lo
	flat_store_dwordx2 v[2:3], v[34:35]
	s_or_b32 exec_lo, exec_lo, s4
	s_and_saveexec_b32 s4, s7
	s_cbranch_execz .LBB1221_130
.LBB1221_215:
	v_add_co_u32 v2, vcc_lo, 0x2000, v0
	v_add_co_ci_u32_e64 v3, null, 0, v1, vcc_lo
	flat_store_dwordx2 v[2:3], v[28:29]
	s_or_b32 exec_lo, exec_lo, s4
	s_and_saveexec_b32 s4, s10
	s_cbranch_execz .LBB1221_131
.LBB1221_216:
	v_add_co_u32 v2, vcc_lo, 0x2800, v0
	v_add_co_ci_u32_e64 v3, null, 0, v1, vcc_lo
	flat_store_dwordx2 v[2:3], v[30:31]
	s_or_b32 exec_lo, exec_lo, s4
	s_and_saveexec_b32 s4, s11
	s_cbranch_execz .LBB1221_132
.LBB1221_217:
	v_add_co_u32 v2, vcc_lo, 0x3000, v0
	v_add_co_ci_u32_e64 v3, null, 0, v1, vcc_lo
	flat_store_dwordx2 v[2:3], v[24:25]
	s_or_b32 exec_lo, exec_lo, s4
	s_and_saveexec_b32 s4, s14
	s_cbranch_execz .LBB1221_133
.LBB1221_218:
	v_add_co_u32 v2, vcc_lo, 0x3800, v0
	v_add_co_ci_u32_e64 v3, null, 0, v1, vcc_lo
	flat_store_dwordx2 v[2:3], v[26:27]
	s_or_b32 exec_lo, exec_lo, s4
	s_and_saveexec_b32 s4, s15
	s_cbranch_execz .LBB1221_134
.LBB1221_219:
	v_add_co_u32 v2, vcc_lo, 0x4000, v0
	v_add_co_ci_u32_e64 v3, null, 0, v1, vcc_lo
	flat_store_dwordx2 v[2:3], v[20:21]
	s_or_b32 exec_lo, exec_lo, s4
	s_and_saveexec_b32 s4, s16
	s_cbranch_execz .LBB1221_135
.LBB1221_220:
	v_add_co_u32 v2, vcc_lo, 0x4800, v0
	v_add_co_ci_u32_e64 v3, null, 0, v1, vcc_lo
	flat_store_dwordx2 v[2:3], v[22:23]
	s_or_b32 exec_lo, exec_lo, s4
	s_and_saveexec_b32 s4, s17
	s_cbranch_execz .LBB1221_136
.LBB1221_221:
	v_add_co_u32 v2, vcc_lo, 0x5000, v0
	v_add_co_ci_u32_e64 v3, null, 0, v1, vcc_lo
	flat_store_dwordx2 v[2:3], v[16:17]
	s_or_b32 exec_lo, exec_lo, s4
	s_and_saveexec_b32 s4, s18
	s_cbranch_execz .LBB1221_137
.LBB1221_222:
	v_add_co_u32 v2, vcc_lo, 0x5800, v0
	v_add_co_ci_u32_e64 v3, null, 0, v1, vcc_lo
	flat_store_dwordx2 v[2:3], v[18:19]
	s_or_b32 exec_lo, exec_lo, s4
	s_and_saveexec_b32 s4, s19
	s_cbranch_execz .LBB1221_138
.LBB1221_223:
	v_add_co_u32 v2, vcc_lo, 0x6000, v0
	v_add_co_ci_u32_e64 v3, null, 0, v1, vcc_lo
	flat_store_dwordx2 v[2:3], v[12:13]
	s_or_b32 exec_lo, exec_lo, s4
	s_and_saveexec_b32 s4, s20
	s_cbranch_execz .LBB1221_139
.LBB1221_224:
	v_add_co_u32 v2, vcc_lo, 0x6800, v0
	v_add_co_ci_u32_e64 v3, null, 0, v1, vcc_lo
	flat_store_dwordx2 v[2:3], v[14:15]
	s_or_b32 exec_lo, exec_lo, s4
	s_and_saveexec_b32 s4, s21
	s_cbranch_execz .LBB1221_140
.LBB1221_225:
	v_add_co_u32 v2, vcc_lo, 0x7000, v0
	v_add_co_ci_u32_e64 v3, null, 0, v1, vcc_lo
	flat_store_dwordx2 v[2:3], v[8:9]
	s_or_b32 exec_lo, exec_lo, s4
	s_and_saveexec_b32 s4, s22
	s_cbranch_execnz .LBB1221_141
	s_branch .LBB1221_142
.LBB1221_226:
	s_or_b32 exec_lo, exec_lo, s27
	v_lshl_add_u32 v1, v21, 3, v12
	s_barrier
	buffer_gl0_inv
	ds_write_b64 v0, v[19:20]
	ds_write_b64 v164, v[24:25]
	;; [unrolled: 1-line block ×8, first 2 shown]
	s_waitcnt lgkmcnt(0)
	s_barrier
	buffer_gl0_inv
	ds_read2st64_b64 v[36:39], v1 offset1:4
	ds_read2st64_b64 v[32:35], v1 offset0:8 offset1:12
	ds_read2st64_b64 v[28:31], v1 offset0:16 offset1:20
	;; [unrolled: 1-line block ×3, first 2 shown]
	s_waitcnt lgkmcnt(0)
	s_barrier
	buffer_gl0_inv
	ds_write_b64 v0, v[8:9]
	ds_write_b64 v164, v[4:5]
	;; [unrolled: 1-line block ×8, first 2 shown]
	s_waitcnt lgkmcnt(0)
	s_barrier
	buffer_gl0_inv
	ds_read2st64_b64 v[20:23], v1 offset1:4
	ds_read2st64_b64 v[16:19], v1 offset0:8 offset1:12
	ds_read2st64_b64 v[12:15], v1 offset0:16 offset1:20
	;; [unrolled: 1-line block ×3, first 2 shown]
	v_mov_b32_e32 v51, 0
	v_add_co_u32 v2, vcc_lo, v2, v48
	v_add_co_ci_u32_e64 v3, null, v3, v49, vcc_lo
	v_lshlrev_b64 v[0:1], 3, v[50:51]
	s_waitcnt lgkmcnt(0)
	s_barrier
	buffer_gl0_inv
	v_add_co_u32 v2, vcc_lo, v2, v0
	v_add_co_ci_u32_e64 v3, null, v3, v1, vcc_lo
	v_cmp_lt_u32_e32 vcc_lo, v50, v119
	s_and_saveexec_b32 s5, vcc_lo
	s_cbranch_execz .LBB1221_228
; %bb.227:
	v_cmp_lt_i64_e64 s4, -1, v[36:37]
	v_ashrrev_i32_e32 v4, 31, v37
	v_not_b32_e32 v4, v4
	v_cndmask_b32_e64 v5, 0x80000000, -1, s4
	v_xor_b32_e32 v4, v4, v36
	v_xor_b32_e32 v5, v5, v37
	flat_store_dwordx2 v[2:3], v[4:5]
.LBB1221_228:
	s_or_b32 exec_lo, exec_lo, s5
	v_add_nc_u32_e32 v4, 0x100, v50
	v_cmp_lt_u32_e64 s4, v4, v119
	s_and_saveexec_b32 s6, s4
	s_cbranch_execz .LBB1221_230
; %bb.229:
	v_cmp_lt_i64_e64 s5, -1, v[38:39]
	v_ashrrev_i32_e32 v4, 31, v39
	v_not_b32_e32 v4, v4
	v_cndmask_b32_e64 v5, 0x80000000, -1, s5
	v_add_co_u32 v36, s5, 0x800, v2
	v_add_co_ci_u32_e64 v37, null, 0, v3, s5
	v_xor_b32_e32 v5, v5, v39
	v_xor_b32_e32 v4, v4, v38
	flat_store_dwordx2 v[36:37], v[4:5]
.LBB1221_230:
	s_or_b32 exec_lo, exec_lo, s6
	v_add_nc_u32_e32 v4, 0x200, v50
	v_cmp_lt_u32_e64 s5, v4, v119
	s_and_saveexec_b32 s7, s5
	s_cbranch_execz .LBB1221_232
; %bb.231:
	v_ashrrev_i32_e32 v4, 31, v33
	v_cmp_lt_i64_e64 s6, -1, v[32:33]
	v_not_b32_e32 v4, v4
	v_cndmask_b32_e64 v5, 0x80000000, -1, s6
	v_xor_b32_e32 v4, v4, v32
	v_add_co_u32 v32, s6, 0x1000, v2
	v_xor_b32_e32 v5, v5, v33
	v_add_co_ci_u32_e64 v33, null, 0, v3, s6
	flat_store_dwordx2 v[32:33], v[4:5]
.LBB1221_232:
	s_or_b32 exec_lo, exec_lo, s7
	v_add_nc_u32_e32 v4, 0x300, v50
	v_cmp_lt_u32_e64 s6, v4, v119
	s_and_saveexec_b32 s10, s6
	s_cbranch_execz .LBB1221_234
; %bb.233:
	v_cmp_lt_i64_e64 s7, -1, v[34:35]
	v_ashrrev_i32_e32 v4, 31, v35
	v_not_b32_e32 v4, v4
	v_cndmask_b32_e64 v5, 0x80000000, -1, s7
	v_add_co_u32 v32, s7, 0x1800, v2
	v_add_co_ci_u32_e64 v33, null, 0, v3, s7
	v_xor_b32_e32 v5, v5, v35
	v_xor_b32_e32 v4, v4, v34
	flat_store_dwordx2 v[32:33], v[4:5]
.LBB1221_234:
	s_or_b32 exec_lo, exec_lo, s10
	v_add_nc_u32_e32 v4, 0x400, v50
	v_cmp_lt_u32_e64 s7, v4, v119
	s_and_saveexec_b32 s11, s7
	s_cbranch_execz .LBB1221_236
; %bb.235:
	v_ashrrev_i32_e32 v4, 31, v29
	v_cmp_lt_i64_e64 s10, -1, v[28:29]
	v_not_b32_e32 v4, v4
	v_cndmask_b32_e64 v5, 0x80000000, -1, s10
	v_xor_b32_e32 v4, v4, v28
	v_add_co_u32 v28, s10, 0x2000, v2
	v_xor_b32_e32 v5, v5, v29
	v_add_co_ci_u32_e64 v29, null, 0, v3, s10
	flat_store_dwordx2 v[28:29], v[4:5]
.LBB1221_236:
	;; [unrolled: 32-line block ×3, first 2 shown]
	s_or_b32 exec_lo, exec_lo, s15
	v_add_nc_u32_e32 v4, 0x700, v50
	v_cmp_lt_u32_e64 s14, v4, v119
	s_and_saveexec_b32 s16, s14
	s_cbranch_execz .LBB1221_242
; %bb.241:
	v_cmp_lt_i64_e64 s15, -1, v[26:27]
	v_ashrrev_i32_e32 v4, 31, v27
	v_not_b32_e32 v4, v4
	v_cndmask_b32_e64 v5, 0x80000000, -1, s15
	v_add_co_u32 v2, s15, 0x3800, v2
	v_add_co_ci_u32_e64 v3, null, 0, v3, s15
	v_xor_b32_e32 v5, v5, v27
	v_xor_b32_e32 v4, v4, v26
	flat_store_dwordx2 v[2:3], v[4:5]
.LBB1221_242:
	s_or_b32 exec_lo, exec_lo, s16
	v_add_co_u32 v2, s15, v6, v48
	v_add_co_ci_u32_e64 v3, null, v7, v49, s15
	v_add_co_u32 v0, s15, v2, v0
	v_add_co_ci_u32_e64 v1, null, v3, v1, s15
	s_and_saveexec_b32 s15, vcc_lo
	s_cbranch_execnz .LBB1221_292
; %bb.243:
	s_or_b32 exec_lo, exec_lo, s15
	s_and_saveexec_b32 s15, s4
	s_cbranch_execnz .LBB1221_293
.LBB1221_244:
	s_or_b32 exec_lo, exec_lo, s15
	s_and_saveexec_b32 s4, s5
	s_cbranch_execnz .LBB1221_294
.LBB1221_245:
	s_or_b32 exec_lo, exec_lo, s4
	s_and_saveexec_b32 s4, s6
	s_cbranch_execnz .LBB1221_295
.LBB1221_246:
	s_or_b32 exec_lo, exec_lo, s4
	s_and_saveexec_b32 s4, s7
	s_cbranch_execnz .LBB1221_296
.LBB1221_247:
	s_or_b32 exec_lo, exec_lo, s4
	s_and_saveexec_b32 s4, s10
	s_cbranch_execnz .LBB1221_297
.LBB1221_248:
	s_or_b32 exec_lo, exec_lo, s4
	s_and_saveexec_b32 s4, s11
	s_cbranch_execnz .LBB1221_298
.LBB1221_249:
	s_or_b32 exec_lo, exec_lo, s4
	s_and_saveexec_b32 s4, s14
	s_cbranch_execz .LBB1221_251
.LBB1221_250:
	v_add_co_u32 v0, vcc_lo, 0x3800, v0
	v_add_co_ci_u32_e64 v1, null, 0, v1, vcc_lo
	flat_store_dwordx2 v[0:1], v[10:11]
.LBB1221_251:
	s_or_b32 exec_lo, exec_lo, s4
                                        ; implicit-def: $vgpr119
                                        ; implicit-def: $vgpr0
                                        ; implicit-def: $vgpr1
                                        ; implicit-def: $vgpr2
                                        ; implicit-def: $vgpr3
                                        ; implicit-def: $vgpr4
                                        ; implicit-def: $vgpr5
                                        ; implicit-def: $vgpr6
                                        ; implicit-def: $vgpr7
                                        ; implicit-def: $vgpr8
                                        ; implicit-def: $vgpr10
                                        ; implicit-def: $vgpr11
                                        ; implicit-def: $vgpr12
                                        ; implicit-def: $vgpr13
                                        ; implicit-def: $vgpr14
                                        ; implicit-def: $vgpr21
                                        ; implicit-def: $vgpr54
.LBB1221_252:
	s_andn2_saveexec_b32 s4, s25
	s_cbranch_execz .LBB1221_372
; %bb.253:
	s_mov_b32 s4, exec_lo
	v_cmpx_lt_u32_e32 0x200, v119
	s_xor_b32 s25, exec_lo, s4
	s_cbranch_execz .LBB1221_313
; %bb.254:
	s_load_dwordx2 s[4:5], s[8:9], 0x0
	v_mov_b32_e32 v9, 0
	v_lshlrev_b64 v[24:25], 3, v[8:9]
	v_add_co_u32 v20, vcc_lo, v0, v24
	s_waitcnt lgkmcnt(0)
	s_cmp_lt_u32 s13, s5
	s_cselect_b32 s5, 14, 20
	s_add_u32 s6, s8, s5
	s_addc_u32 s7, s9, 0
	s_cmp_lt_u32 s12, s4
	global_load_ushort v15, v9, s[6:7]
	s_cselect_b32 s4, 12, 18
	s_add_u32 s4, s8, s4
	s_addc_u32 s5, s9, 0
	global_load_ushort v16, v9, s[4:5]
	s_waitcnt vmcnt(1)
	v_mad_u32_u24 v13, v14, v15, v13
	v_bfrev_b32_e32 v14, -2
	v_mov_b32_e32 v18, v14
	s_waitcnt vmcnt(0)
	v_mad_u64_u32 v[26:27], null, v13, v16, v[21:22]
	v_lshlrev_b32_e32 v22, 3, v54
	v_add_co_ci_u32_e64 v27, null, v1, v25, vcc_lo
	v_mov_b32_e32 v13, -1
	v_mov_b32_e32 v16, v14
	v_lshlrev_b32_e32 v8, 2, v26
	v_mov_b32_e32 v15, v13
	v_mov_b32_e32 v17, v13
	;; [unrolled: 1-line block ×3, first 2 shown]
	v_and_b32_e32 v8, 0xffffff80, v8
	v_lshlrev_b64 v[0:1], 3, v[8:9]
	v_or_b32_e32 v23, v8, v54
	v_add_co_u32 v8, vcc_lo, v20, v22
	v_add_co_ci_u32_e64 v9, null, 0, v27, vcc_lo
	v_cmp_lt_u32_e32 vcc_lo, v23, v119
	v_add_co_u32 v8, s4, v8, v0
	v_add_co_ci_u32_e64 v9, null, v9, v1, s4
	v_mov_b32_e32 v20, v14
	s_and_saveexec_b32 s4, vcc_lo
	s_cbranch_execz .LBB1221_256
; %bb.255:
	flat_load_dwordx2 v[27:28], v[8:9]
	v_mov_b32_e32 v29, v13
	v_mov_b32_e32 v30, v14
	;; [unrolled: 1-line block ×6, first 2 shown]
	s_waitcnt vmcnt(0) lgkmcnt(0)
	v_mov_b32_e32 v13, v27
	v_mov_b32_e32 v14, v28
	v_mov_b32_e32 v15, v29
	v_mov_b32_e32 v16, v30
	v_mov_b32_e32 v17, v31
	v_mov_b32_e32 v18, v32
	v_mov_b32_e32 v19, v33
	v_mov_b32_e32 v20, v34
.LBB1221_256:
	s_or_b32 exec_lo, exec_lo, s4
	v_or_b32_e32 v27, 32, v23
	v_cmp_lt_u32_e64 s4, v27, v119
	s_and_saveexec_b32 s5, s4
	s_cbranch_execz .LBB1221_258
; %bb.257:
	flat_load_dwordx2 v[15:16], v[8:9] offset:256
.LBB1221_258:
	s_or_b32 exec_lo, exec_lo, s5
	v_or_b32_e32 v27, 64, v23
	v_cmp_lt_u32_e64 s5, v27, v119
	s_and_saveexec_b32 s6, s5
	s_cbranch_execz .LBB1221_260
; %bb.259:
	flat_load_dwordx2 v[17:18], v[8:9] offset:512
.LBB1221_260:
	;; [unrolled: 8-line block ×3, first 2 shown]
	s_or_b32 exec_lo, exec_lo, s7
	v_add_co_u32 v4, s7, v4, v24
	v_add_co_ci_u32_e64 v5, null, v5, v25, s7
                                        ; implicit-def: $vgpr33_vgpr34
	v_add_co_u32 v4, s7, v4, v22
	v_add_co_ci_u32_e64 v5, null, 0, v5, s7
	v_add_co_u32 v0, s7, v4, v0
	v_add_co_ci_u32_e64 v1, null, v5, v1, s7
	s_and_saveexec_b32 s7, vcc_lo
	s_cbranch_execnz .LBB1221_337
; %bb.263:
	s_or_b32 exec_lo, exec_lo, s7
                                        ; implicit-def: $vgpr35_vgpr36
	s_and_saveexec_b32 s7, s4
	s_cbranch_execnz .LBB1221_338
.LBB1221_264:
	s_or_b32 exec_lo, exec_lo, s7
                                        ; implicit-def: $vgpr22_vgpr23
	s_and_saveexec_b32 s4, s5
	s_cbranch_execnz .LBB1221_339
.LBB1221_265:
	s_or_b32 exec_lo, exec_lo, s4
                                        ; implicit-def: $vgpr31_vgpr32
	s_and_saveexec_b32 s4, s6
	s_cbranch_execz .LBB1221_267
.LBB1221_266:
	flat_load_dwordx2 v[31:32], v[0:1] offset:768
.LBB1221_267:
	s_or_b32 exec_lo, exec_lo, s4
	v_cmp_lt_i64_e32 vcc_lo, -1, v[13:14]
	s_waitcnt vmcnt(0) lgkmcnt(0)
	v_ashrrev_i32_e32 v4, 31, v16
	v_ashrrev_i32_e32 v1, 31, v14
	s_getpc_b64 s[4:5]
	s_add_u32 s4, s4, _ZN7rocprim17ROCPRIM_400000_NS16block_radix_sortIdLj256ELj4ElLj1ELj1ELj8ELNS0_26block_radix_rank_algorithmE2ELNS0_18block_padding_hintE2ELNS0_4arch9wavefront6targetE0EE19radix_bits_per_passE@rel32@lo+4
	s_addc_u32 s5, s5, _ZN7rocprim17ROCPRIM_400000_NS16block_radix_sortIdLj256ELj4ElLj1ELj1ELj8ELNS0_26block_radix_rank_algorithmE2ELNS0_18block_padding_hintE2ELNS0_4arch9wavefront6targetE0EE19radix_bits_per_passE@rel32@hi+12
	v_and_b32_e32 v8, 7, v54
	s_load_dword s26, s[4:5], 0x0
	v_cndmask_b32_e64 v0, -1, 0x80000000, vcc_lo
	v_cmp_lt_i64_e32 vcc_lo, -1, v[15:16]
	v_xor_b32_e32 v37, v4, v15
	v_ashrrev_i32_e32 v4, 31, v20
	v_xor_b32_e32 v50, v1, v13
	v_xor_b32_e32 v51, v0, v14
	v_lshrrev_b32_e32 v70, 5, v26
	v_cndmask_b32_e64 v0, -1, 0x80000000, vcc_lo
	v_cmp_lt_i64_e32 vcc_lo, -1, v[17:18]
	v_xor_b32_e32 v52, v4, v19
	v_and_b32_e32 v4, 16, v54
	v_cmp_lt_u32_e64 s15, 31, v21
	v_xor_b32_e32 v38, v0, v16
	v_ashrrev_i32_e32 v0, 31, v18
	v_cndmask_b32_e64 v5, -1, 0x80000000, vcc_lo
	v_cmp_lt_i64_e32 vcc_lo, -1, v[19:20]
	v_cmp_eq_u32_e64 s10, 0, v4
	v_lshlrev_b32_e32 v4, 2, v21
	v_xor_b32_e32 v48, v0, v17
	v_and_b32_e32 v0, 0x3e0, v21
	v_xor_b32_e32 v49, v5, v18
	v_lshl_add_u32 v5, v21, 5, v12
	v_cndmask_b32_e64 v1, -1, 0x80000000, vcc_lo
	v_cmp_eq_u32_e64 s16, 0, v21
	v_min_u32_e32 v0, 0xe0, v0
	v_add_nc_u32_e32 v80, v12, v4
	v_add_nc_u32_e32 v39, 32, v5
	;; [unrolled: 1-line block ×9, first 2 shown]
	v_or_b32_e32 v0, 31, v0
	v_sub_co_u32 v5, s6, v54, 1
	v_xor_b32_e32 v53, v1, v20
	v_and_b32_e32 v1, 15, v54
	v_cmp_eq_u32_e64 s11, v21, v0
	v_lshrrev_b32_e32 v0, 3, v21
	v_cmp_gt_i32_e64 s14, 0, v5
	v_cmp_eq_u32_e64 s17, 0, v8
	v_cmp_eq_u32_e32 vcc_lo, 0, v1
	v_cmp_lt_u32_e64 s4, 1, v1
	v_cmp_lt_u32_e64 s5, 3, v1
	;; [unrolled: 1-line block ×3, first 2 shown]
	v_cndmask_b32_e64 v1, v5, v54, s14
	v_and_b32_e32 v0, 0x7c, v0
	v_and_or_b32 v5, 0xf80, v4, v54
	v_cmp_gt_u32_e64 s14, 8, v21
	v_cmp_lt_u32_e64 s18, 1, v8
	v_lshlrev_b32_e32 v71, 2, v1
	v_add_nc_u32_e32 v54, v12, v0
	v_lshl_add_u32 v81, v5, 3, v12
	v_mov_b32_e32 v1, 0
	v_cmp_lt_u32_e64 s19, 3, v8
	v_sub_nc_u32_e32 v86, v11, v10
	v_add_nc_u32_e32 v82, -4, v54
	v_add_nc_u32_e32 v83, 0x100, v81
	v_add_nc_u32_e32 v84, 0x200, v81
	;; [unrolled: 1-line block ×3, first 2 shown]
	s_mov_b32 s22, -1
	s_brev_b32 s23, -2
	s_mov_b32 s27, 0
	s_waitcnt lgkmcnt(0)
	s_waitcnt_vscnt null, 0x0
	s_barrier
	buffer_gl0_inv
	s_branch .LBB1221_269
.LBB1221_268:                           ;   in Loop: Header=BB1221_269 Depth=1
	s_or_b32 exec_lo, exec_lo, s21
	s_and_b32 s20, exec_lo, s28
	s_or_b32 s27, s20, s27
	s_andn2_b32 exec_lo, exec_lo, s27
	s_cbranch_execz .LBB1221_299
.LBB1221_269:                           ; =>This Inner Loop Header: Depth=1
	v_mov_b32_e32 v4, v50
	v_mov_b32_e32 v5, v51
	v_min_u32_e32 v0, s26, v86
	v_mov_b32_e32 v13, v33
	v_mov_b32_e32 v14, v34
	;; [unrolled: 1-line block ×3, first 2 shown]
	v_cmp_ne_u64_e64 s20, s[22:23], v[4:5]
	v_lshlrev_b32_e64 v0, v0, -1
	v_mov_b32_e32 v20, v38
	v_mov_b32_e32 v15, v52
	;; [unrolled: 1-line block ×4, first 2 shown]
	v_cndmask_b32_e64 v9, 0x80000000, v5, s20
	v_cndmask_b32_e64 v8, 0, v4, s20
	v_not_b32_e32 v50, v0
	v_mov_b32_e32 v18, v49
	ds_write_b32 v39, v1
	ds_write_b32 v55, v1
	;; [unrolled: 1-line block ×3, first 2 shown]
	v_lshrrev_b64 v[8:9], v10, v[8:9]
	ds_write_b32 v65, v1
	ds_write_b32 v66, v1
	;; [unrolled: 1-line block ×5, first 2 shown]
	s_waitcnt lgkmcnt(0)
	s_barrier
	v_and_b32_e32 v0, v8, v50
	v_mov_b32_e32 v8, v35
	v_mov_b32_e32 v9, v36
	buffer_gl0_inv
	v_and_b32_e32 v27, 1, v0
	v_lshlrev_b32_e32 v28, 30, v0
	v_lshlrev_b32_e32 v29, 29, v0
	;; [unrolled: 1-line block ×4, first 2 shown]
	v_add_co_u32 v27, s20, v27, -1
	v_cndmask_b32_e64 v33, 0, 1, s20
	v_not_b32_e32 v37, v28
	v_cmp_gt_i32_e64 s21, 0, v28
	v_not_b32_e32 v28, v29
	v_lshlrev_b32_e32 v35, 26, v0
	v_cmp_ne_u32_e64 s20, 0, v33
	v_ashrrev_i32_e32 v37, 31, v37
	v_lshlrev_b32_e32 v36, 25, v0
	v_ashrrev_i32_e32 v28, 31, v28
	v_lshlrev_b32_e32 v33, 24, v0
	v_xor_b32_e32 v27, s20, v27
	v_cmp_gt_i32_e64 s20, 0, v29
	v_not_b32_e32 v29, v30
	v_xor_b32_e32 v37, s21, v37
	v_cmp_gt_i32_e64 s21, 0, v30
	v_and_b32_e32 v27, exec_lo, v27
	v_not_b32_e32 v30, v34
	v_ashrrev_i32_e32 v29, 31, v29
	v_xor_b32_e32 v28, s20, v28
	v_cmp_gt_i32_e64 s20, 0, v34
	v_and_b32_e32 v27, v27, v37
	v_not_b32_e32 v34, v35
	v_ashrrev_i32_e32 v30, 31, v30
	v_xor_b32_e32 v29, s21, v29
	v_cmp_gt_i32_e64 s21, 0, v35
	v_and_b32_e32 v27, v27, v28
	;; [unrolled: 5-line block ×4, first 2 shown]
	v_mov_b32_e32 v28, v23
	v_mov_b32_e32 v27, v22
	v_ashrrev_i32_e32 v22, 31, v29
	v_xor_b32_e32 v23, s20, v35
	v_and_b32_e32 v33, v30, v34
	v_lshl_add_u32 v0, v0, 3, v70
	v_mov_b32_e32 v29, v31
	v_xor_b32_e32 v22, s21, v22
	v_mov_b32_e32 v30, v32
	v_and_b32_e32 v23, v33, v23
	v_lshlrev_b64 v[31:32], 2, v[0:1]
	; wave barrier
	v_and_b32_e32 v23, v23, v22
	v_add_co_u32 v22, null, v12, v31
	v_mbcnt_lo_u32_b32 v0, v23, 0
	v_cmp_ne_u32_e64 s21, 0, v23
	v_add_co_u32 v22, null, v22, 32
	v_cmp_eq_u32_e64 s20, 0, v0
	s_and_b32 s21, s21, s20
	s_and_saveexec_b32 s20, s21
; %bb.270:                              ;   in Loop: Header=BB1221_269 Depth=1
	v_bcnt_u32_b32 v23, v23, 0
	ds_write_b32 v22, v23
; %bb.271:                              ;   in Loop: Header=BB1221_269 Depth=1
	s_or_b32 exec_lo, exec_lo, s20
	v_cmp_ne_u64_e64 s20, s[22:23], v[19:20]
	; wave barrier
	v_cndmask_b32_e64 v32, 0x80000000, v20, s20
	v_cndmask_b32_e64 v31, 0, v19, s20
	v_lshrrev_b64 v[31:32], v10, v[31:32]
	v_and_b32_e32 v23, v31, v50
	v_and_b32_e32 v31, 1, v23
	v_lshlrev_b32_e32 v32, 30, v23
	v_lshlrev_b32_e32 v33, 29, v23
	;; [unrolled: 1-line block ×4, first 2 shown]
	v_add_co_u32 v31, s20, v31, -1
	v_cndmask_b32_e64 v35, 0, 1, s20
	v_not_b32_e32 v48, v32
	v_cmp_gt_i32_e64 s21, 0, v32
	v_not_b32_e32 v32, v33
	v_lshlrev_b32_e32 v37, 26, v23
	v_cmp_ne_u32_e64 s20, 0, v35
	v_ashrrev_i32_e32 v48, 31, v48
	v_lshlrev_b32_e32 v38, 25, v23
	v_ashrrev_i32_e32 v32, 31, v32
	v_lshlrev_b32_e32 v35, 24, v23
	v_xor_b32_e32 v31, s20, v31
	v_cmp_gt_i32_e64 s20, 0, v33
	v_not_b32_e32 v33, v34
	v_xor_b32_e32 v48, s21, v48
	v_cmp_gt_i32_e64 s21, 0, v34
	v_and_b32_e32 v31, exec_lo, v31
	v_not_b32_e32 v34, v36
	v_ashrrev_i32_e32 v33, 31, v33
	v_xor_b32_e32 v32, s20, v32
	v_cmp_gt_i32_e64 s20, 0, v36
	v_and_b32_e32 v31, v31, v48
	v_not_b32_e32 v36, v37
	v_ashrrev_i32_e32 v34, 31, v34
	v_xor_b32_e32 v33, s21, v33
	v_cmp_gt_i32_e64 s21, 0, v37
	v_and_b32_e32 v31, v31, v32
	;; [unrolled: 5-line block ×3, first 2 shown]
	v_not_b32_e32 v33, v35
	v_ashrrev_i32_e32 v32, 31, v32
	v_xor_b32_e32 v36, s21, v36
	v_lshl_add_u32 v23, v23, 3, v70
	v_and_b32_e32 v31, v31, v34
	v_cmp_gt_i32_e64 s21, 0, v35
	v_ashrrev_i32_e32 v33, 31, v33
	v_xor_b32_e32 v32, s20, v32
	v_lshl_add_u32 v34, v23, 2, v12
	v_and_b32_e32 v31, v31, v36
	v_xor_b32_e32 v33, s21, v33
	ds_read_b32 v23, v34 offset:32
	v_and_b32_e32 v31, v31, v32
	v_add_nc_u32_e32 v32, 32, v34
	; wave barrier
	v_and_b32_e32 v33, v31, v33
	v_mbcnt_lo_u32_b32 v31, v33, 0
	v_cmp_ne_u32_e64 s21, 0, v33
	v_cmp_eq_u32_e64 s20, 0, v31
	s_and_b32 s21, s21, s20
	s_and_saveexec_b32 s20, s21
	s_cbranch_execz .LBB1221_273
; %bb.272:                              ;   in Loop: Header=BB1221_269 Depth=1
	s_waitcnt lgkmcnt(0)
	v_bcnt_u32_b32 v33, v33, v23
	ds_write_b32 v32, v33
.LBB1221_273:                           ;   in Loop: Header=BB1221_269 Depth=1
	s_or_b32 exec_lo, exec_lo, s20
	v_cmp_ne_u64_e64 s20, s[22:23], v[17:18]
	; wave barrier
	v_cndmask_b32_e64 v34, 0x80000000, v18, s20
	v_cndmask_b32_e64 v33, 0, v17, s20
	v_lshrrev_b64 v[33:34], v10, v[33:34]
	v_and_b32_e32 v33, v33, v50
	v_and_b32_e32 v34, 1, v33
	v_lshlrev_b32_e32 v35, 30, v33
	v_lshlrev_b32_e32 v36, 29, v33
	;; [unrolled: 1-line block ×4, first 2 shown]
	v_add_co_u32 v34, s20, v34, -1
	v_cndmask_b32_e64 v38, 0, 1, s20
	v_not_b32_e32 v52, v35
	v_cmp_gt_i32_e64 s21, 0, v35
	v_not_b32_e32 v35, v36
	v_lshlrev_b32_e32 v49, 26, v33
	v_cmp_ne_u32_e64 s20, 0, v38
	v_ashrrev_i32_e32 v52, 31, v52
	v_lshlrev_b32_e32 v51, 25, v33
	v_ashrrev_i32_e32 v35, 31, v35
	v_lshlrev_b32_e32 v38, 24, v33
	v_xor_b32_e32 v34, s20, v34
	v_cmp_gt_i32_e64 s20, 0, v36
	v_not_b32_e32 v36, v37
	v_xor_b32_e32 v52, s21, v52
	v_cmp_gt_i32_e64 s21, 0, v37
	v_and_b32_e32 v34, exec_lo, v34
	v_not_b32_e32 v37, v48
	v_ashrrev_i32_e32 v36, 31, v36
	v_xor_b32_e32 v35, s20, v35
	v_cmp_gt_i32_e64 s20, 0, v48
	v_and_b32_e32 v34, v34, v52
	v_not_b32_e32 v48, v49
	v_ashrrev_i32_e32 v37, 31, v37
	v_xor_b32_e32 v36, s21, v36
	v_cmp_gt_i32_e64 s21, 0, v49
	v_and_b32_e32 v34, v34, v35
	;; [unrolled: 5-line block ×3, first 2 shown]
	v_not_b32_e32 v36, v38
	v_ashrrev_i32_e32 v35, 31, v35
	v_xor_b32_e32 v48, s21, v48
	v_lshl_add_u32 v33, v33, 3, v70
	v_and_b32_e32 v34, v34, v37
	v_cmp_gt_i32_e64 s21, 0, v38
	v_ashrrev_i32_e32 v36, 31, v36
	v_xor_b32_e32 v35, s20, v35
	v_lshl_add_u32 v37, v33, 2, v12
	v_and_b32_e32 v34, v34, v48
	v_xor_b32_e32 v36, s21, v36
	ds_read_b32 v33, v37 offset:32
	v_and_b32_e32 v34, v34, v35
	v_add_nc_u32_e32 v35, 32, v37
	; wave barrier
	v_and_b32_e32 v36, v34, v36
	v_mbcnt_lo_u32_b32 v34, v36, 0
	v_cmp_ne_u32_e64 s21, 0, v36
	v_cmp_eq_u32_e64 s20, 0, v34
	s_and_b32 s21, s21, s20
	s_and_saveexec_b32 s20, s21
	s_cbranch_execz .LBB1221_275
; %bb.274:                              ;   in Loop: Header=BB1221_269 Depth=1
	s_waitcnt lgkmcnt(0)
	v_bcnt_u32_b32 v36, v36, v33
	ds_write_b32 v35, v36
.LBB1221_275:                           ;   in Loop: Header=BB1221_269 Depth=1
	s_or_b32 exec_lo, exec_lo, s20
	v_cmp_ne_u64_e64 s20, s[22:23], v[15:16]
	; wave barrier
	v_cndmask_b32_e64 v37, 0x80000000, v16, s20
	v_cndmask_b32_e64 v36, 0, v15, s20
	v_lshrrev_b64 v[36:37], v10, v[36:37]
	v_and_b32_e32 v36, v36, v50
	v_and_b32_e32 v37, 1, v36
	v_lshlrev_b32_e32 v38, 30, v36
	v_lshlrev_b32_e32 v48, 29, v36
	;; [unrolled: 1-line block ×4, first 2 shown]
	v_add_co_u32 v37, s20, v37, -1
	v_cndmask_b32_e64 v50, 0, 1, s20
	v_not_b32_e32 v87, v38
	v_cmp_gt_i32_e64 s21, 0, v38
	v_not_b32_e32 v38, v48
	v_lshlrev_b32_e32 v52, 26, v36
	v_cmp_ne_u32_e64 s20, 0, v50
	v_ashrrev_i32_e32 v87, 31, v87
	v_lshlrev_b32_e32 v53, 25, v36
	v_ashrrev_i32_e32 v38, 31, v38
	v_lshlrev_b32_e32 v50, 24, v36
	v_xor_b32_e32 v37, s20, v37
	v_cmp_gt_i32_e64 s20, 0, v48
	v_not_b32_e32 v48, v49
	v_xor_b32_e32 v87, s21, v87
	v_cmp_gt_i32_e64 s21, 0, v49
	v_and_b32_e32 v37, exec_lo, v37
	v_not_b32_e32 v49, v51
	v_ashrrev_i32_e32 v48, 31, v48
	v_xor_b32_e32 v38, s20, v38
	v_cmp_gt_i32_e64 s20, 0, v51
	v_and_b32_e32 v37, v37, v87
	v_not_b32_e32 v51, v52
	v_ashrrev_i32_e32 v49, 31, v49
	v_xor_b32_e32 v48, s21, v48
	v_cmp_gt_i32_e64 s21, 0, v52
	v_and_b32_e32 v37, v37, v38
	;; [unrolled: 5-line block ×3, first 2 shown]
	v_not_b32_e32 v48, v50
	v_ashrrev_i32_e32 v38, 31, v38
	v_xor_b32_e32 v51, s21, v51
	v_lshl_add_u32 v36, v36, 3, v70
	v_and_b32_e32 v37, v37, v49
	v_cmp_gt_i32_e64 s21, 0, v50
	v_ashrrev_i32_e32 v48, 31, v48
	v_xor_b32_e32 v38, s20, v38
	v_lshl_add_u32 v49, v36, 2, v12
	v_and_b32_e32 v37, v37, v51
	v_xor_b32_e32 v48, s21, v48
	ds_read_b32 v36, v49 offset:32
	v_and_b32_e32 v37, v37, v38
	v_add_nc_u32_e32 v38, 32, v49
	; wave barrier
	v_and_b32_e32 v48, v37, v48
	v_mbcnt_lo_u32_b32 v37, v48, 0
	v_cmp_ne_u32_e64 s21, 0, v48
	v_cmp_eq_u32_e64 s20, 0, v37
	s_and_b32 s21, s21, s20
	s_and_saveexec_b32 s20, s21
	s_cbranch_execz .LBB1221_277
; %bb.276:                              ;   in Loop: Header=BB1221_269 Depth=1
	s_waitcnt lgkmcnt(0)
	v_bcnt_u32_b32 v48, v48, v36
	ds_write_b32 v38, v48
.LBB1221_277:                           ;   in Loop: Header=BB1221_269 Depth=1
	s_or_b32 exec_lo, exec_lo, s20
	; wave barrier
	s_waitcnt lgkmcnt(0)
	s_barrier
	buffer_gl0_inv
	ds_read_b32 v49, v39
	ds_read_b32 v50, v55
	;; [unrolled: 1-line block ×8, first 2 shown]
	s_waitcnt lgkmcnt(6)
	v_add_nc_u32_e32 v97, v50, v49
	s_waitcnt lgkmcnt(4)
	v_add3_u32 v97, v97, v51, v52
	s_waitcnt lgkmcnt(2)
	v_add3_u32 v97, v97, v53, v87
	s_waitcnt lgkmcnt(0)
	v_add3_u32 v96, v97, v48, v96
	v_mov_b32_dpp v97, v96 row_shr:1 row_mask:0xf bank_mask:0xf
	v_cndmask_b32_e64 v97, v97, 0, vcc_lo
	v_add_nc_u32_e32 v96, v97, v96
	v_mov_b32_dpp v97, v96 row_shr:2 row_mask:0xf bank_mask:0xf
	v_cndmask_b32_e64 v97, 0, v97, s4
	v_add_nc_u32_e32 v96, v96, v97
	v_mov_b32_dpp v97, v96 row_shr:4 row_mask:0xf bank_mask:0xf
	v_cndmask_b32_e64 v97, 0, v97, s5
	;; [unrolled: 3-line block ×3, first 2 shown]
	v_add_nc_u32_e32 v96, v96, v97
	ds_swizzle_b32 v97, v96 offset:swizzle(BROADCAST,32,15)
	s_waitcnt lgkmcnt(0)
	v_cndmask_b32_e64 v97, v97, 0, s10
	v_add_nc_u32_e32 v96, v96, v97
	s_and_saveexec_b32 s20, s11
; %bb.278:                              ;   in Loop: Header=BB1221_269 Depth=1
	ds_write_b32 v54, v96
; %bb.279:                              ;   in Loop: Header=BB1221_269 Depth=1
	s_or_b32 exec_lo, exec_lo, s20
	s_waitcnt lgkmcnt(0)
	s_barrier
	buffer_gl0_inv
	s_and_saveexec_b32 s20, s14
	s_cbranch_execz .LBB1221_281
; %bb.280:                              ;   in Loop: Header=BB1221_269 Depth=1
	ds_read_b32 v97, v80
	s_waitcnt lgkmcnt(0)
	v_mov_b32_dpp v98, v97 row_shr:1 row_mask:0xf bank_mask:0xf
	v_cndmask_b32_e64 v98, v98, 0, s17
	v_add_nc_u32_e32 v97, v98, v97
	v_mov_b32_dpp v98, v97 row_shr:2 row_mask:0xf bank_mask:0xf
	v_cndmask_b32_e64 v98, 0, v98, s18
	v_add_nc_u32_e32 v97, v97, v98
	;; [unrolled: 3-line block ×3, first 2 shown]
	ds_write_b32 v80, v97
.LBB1221_281:                           ;   in Loop: Header=BB1221_269 Depth=1
	s_or_b32 exec_lo, exec_lo, s20
	v_mov_b32_e32 v97, 0
	s_waitcnt lgkmcnt(0)
	s_barrier
	buffer_gl0_inv
	s_and_saveexec_b32 s20, s15
; %bb.282:                              ;   in Loop: Header=BB1221_269 Depth=1
	ds_read_b32 v97, v82
; %bb.283:                              ;   in Loop: Header=BB1221_269 Depth=1
	s_or_b32 exec_lo, exec_lo, s20
	s_waitcnt lgkmcnt(0)
	v_add_nc_u32_e32 v96, v97, v96
	v_add_nc_u32_e32 v10, 8, v10
	s_mov_b32 s28, -1
	s_mov_b32 s21, exec_lo
	ds_bpermute_b32 v96, v71, v96
	s_waitcnt lgkmcnt(0)
	v_cndmask_b32_e64 v96, v96, v97, s6
	v_cndmask_b32_e64 v96, v96, 0, s16
	v_add_nc_u32_e32 v49, v96, v49
	v_add_nc_u32_e32 v50, v49, v50
	ds_write_b32 v39, v96
	ds_write_b32 v55, v49
	;; [unrolled: 1-line block ×3, first 2 shown]
	v_add_nc_u32_e32 v51, v50, v51
	v_add_nc_u32_e32 v52, v51, v52
	;; [unrolled: 1-line block ×5, first 2 shown]
	ds_write_b32 v65, v51
	ds_write_b32 v66, v52
	ds_write_b32 v67, v53
	ds_write_b32 v68, v87
	ds_write_b32 v69, v48
	s_waitcnt lgkmcnt(0)
	s_barrier
	buffer_gl0_inv
	ds_read_b32 v22, v22
	ds_read_b32 v48, v32
	;; [unrolled: 1-line block ×4, first 2 shown]
	v_mov_b32_e32 v32, v1
	v_mov_b32_e32 v35, v1
	;; [unrolled: 1-line block ×3, first 2 shown]
	s_waitcnt lgkmcnt(0)
                                        ; implicit-def: $vgpr52_vgpr53
	v_add_nc_u32_e32 v0, v22, v0
	v_add3_u32 v31, v31, v23, v48
	v_add3_u32 v34, v34, v33, v49
	;; [unrolled: 1-line block ×3, first 2 shown]
                                        ; implicit-def: $vgpr48_vgpr49
                                        ; implicit-def: $vgpr50_vgpr51
	v_lshlrev_b64 v[22:23], 3, v[0:1]
	v_lshlrev_b64 v[31:32], 3, v[31:32]
	;; [unrolled: 1-line block ×4, first 2 shown]
                                        ; implicit-def: $vgpr37_vgpr38
                                        ; implicit-def: $vgpr35_vgpr36
	v_add_co_u32 v0, null, v12, v22
	v_add_co_u32 v87, null, v12, v31
	;; [unrolled: 1-line block ×4, first 2 shown]
                                        ; implicit-def: $vgpr33_vgpr34
                                        ; implicit-def: $vgpr22_vgpr23
                                        ; implicit-def: $vgpr31_vgpr32
	v_cmpx_lt_u32_e64 v10, v11
	s_cbranch_execz .LBB1221_268
; %bb.284:                              ;   in Loop: Header=BB1221_269 Depth=1
	s_barrier
	buffer_gl0_inv
	ds_write_b64 v0, v[4:5]
	ds_write_b64 v87, v[19:20]
	ds_write_b64 v96, v[17:18]
	ds_write_b64 v97, v[15:16]
	s_waitcnt lgkmcnt(0)
	s_barrier
	buffer_gl0_inv
	ds_read_b64 v[50:51], v81
	ds_read_b64 v[37:38], v83
	;; [unrolled: 1-line block ×4, first 2 shown]
	s_waitcnt lgkmcnt(0)
	s_barrier
	buffer_gl0_inv
	ds_write_b64 v0, v[13:14]
	ds_write_b64 v87, v[8:9]
	;; [unrolled: 1-line block ×4, first 2 shown]
	s_waitcnt lgkmcnt(0)
	s_barrier
	buffer_gl0_inv
	ds_read_b64 v[33:34], v81
	ds_read_b64 v[35:36], v83
	ds_read_b64 v[22:23], v84
	ds_read_b64 v[31:32], v85
	v_add_nc_u32_e32 v86, -8, v86
	s_xor_b32 s28, exec_lo, -1
	s_waitcnt lgkmcnt(0)
	s_barrier
	buffer_gl0_inv
	s_branch .LBB1221_268
.LBB1221_285:
	flat_load_dwordx2 v[38:39], v[4:5]
	s_or_b32 exec_lo, exec_lo, s15
                                        ; implicit-def: $vgpr64_vgpr65
	s_and_saveexec_b32 s15, s4
	s_cbranch_execz .LBB1221_163
.LBB1221_286:
	flat_load_dwordx2 v[64:65], v[4:5] offset:256
	s_or_b32 exec_lo, exec_lo, s15
                                        ; implicit-def: $vgpr66_vgpr67
	s_and_saveexec_b32 s4, s5
	s_cbranch_execz .LBB1221_164
.LBB1221_287:
	flat_load_dwordx2 v[66:67], v[4:5] offset:512
	s_or_b32 exec_lo, exec_lo, s4
                                        ; implicit-def: $vgpr68_vgpr69
	s_and_saveexec_b32 s4, s6
	s_cbranch_execz .LBB1221_165
.LBB1221_288:
	flat_load_dwordx2 v[68:69], v[4:5] offset:768
	s_or_b32 exec_lo, exec_lo, s4
                                        ; implicit-def: $vgpr70_vgpr71
	s_and_saveexec_b32 s4, s7
	s_cbranch_execz .LBB1221_166
.LBB1221_289:
	flat_load_dwordx2 v[70:71], v[4:5] offset:1024
	s_or_b32 exec_lo, exec_lo, s4
                                        ; implicit-def: $vgpr82_vgpr83
	s_and_saveexec_b32 s4, s10
	s_cbranch_execz .LBB1221_167
.LBB1221_290:
	flat_load_dwordx2 v[82:83], v[4:5] offset:1280
	s_or_b32 exec_lo, exec_lo, s4
                                        ; implicit-def: $vgpr86_vgpr87
	s_and_saveexec_b32 s4, s11
	s_cbranch_execz .LBB1221_168
.LBB1221_291:
	flat_load_dwordx2 v[86:87], v[4:5] offset:1536
	s_or_b32 exec_lo, exec_lo, s4
                                        ; implicit-def: $vgpr96_vgpr97
	s_and_saveexec_b32 s4, s14
	s_cbranch_execnz .LBB1221_169
	s_branch .LBB1221_170
.LBB1221_292:
	flat_store_dwordx2 v[0:1], v[20:21]
	s_or_b32 exec_lo, exec_lo, s15
	s_and_saveexec_b32 s15, s4
	s_cbranch_execz .LBB1221_244
.LBB1221_293:
	v_add_co_u32 v2, vcc_lo, 0x800, v0
	v_add_co_ci_u32_e64 v3, null, 0, v1, vcc_lo
	flat_store_dwordx2 v[2:3], v[22:23]
	s_or_b32 exec_lo, exec_lo, s15
	s_and_saveexec_b32 s4, s5
	s_cbranch_execz .LBB1221_245
.LBB1221_294:
	v_add_co_u32 v2, vcc_lo, 0x1000, v0
	v_add_co_ci_u32_e64 v3, null, 0, v1, vcc_lo
	flat_store_dwordx2 v[2:3], v[16:17]
	s_or_b32 exec_lo, exec_lo, s4
	s_and_saveexec_b32 s4, s6
	s_cbranch_execz .LBB1221_246
.LBB1221_295:
	v_add_co_u32 v2, vcc_lo, 0x1800, v0
	v_add_co_ci_u32_e64 v3, null, 0, v1, vcc_lo
	flat_store_dwordx2 v[2:3], v[18:19]
	s_or_b32 exec_lo, exec_lo, s4
	s_and_saveexec_b32 s4, s7
	s_cbranch_execz .LBB1221_247
.LBB1221_296:
	v_add_co_u32 v2, vcc_lo, 0x2000, v0
	v_add_co_ci_u32_e64 v3, null, 0, v1, vcc_lo
	flat_store_dwordx2 v[2:3], v[12:13]
	s_or_b32 exec_lo, exec_lo, s4
	s_and_saveexec_b32 s4, s10
	s_cbranch_execz .LBB1221_248
.LBB1221_297:
	v_add_co_u32 v2, vcc_lo, 0x2800, v0
	v_add_co_ci_u32_e64 v3, null, 0, v1, vcc_lo
	flat_store_dwordx2 v[2:3], v[14:15]
	s_or_b32 exec_lo, exec_lo, s4
	s_and_saveexec_b32 s4, s11
	s_cbranch_execz .LBB1221_249
.LBB1221_298:
	v_add_co_u32 v2, vcc_lo, 0x3000, v0
	v_add_co_ci_u32_e64 v3, null, 0, v1, vcc_lo
	flat_store_dwordx2 v[2:3], v[8:9]
	s_or_b32 exec_lo, exec_lo, s4
	s_and_saveexec_b32 s4, s14
	s_cbranch_execnz .LBB1221_250
	s_branch .LBB1221_251
.LBB1221_299:
	s_or_b32 exec_lo, exec_lo, s27
	v_lshl_add_u32 v1, v21, 3, v12
	s_barrier
	buffer_gl0_inv
	ds_write_b64 v0, v[4:5]
	ds_write_b64 v87, v[19:20]
	;; [unrolled: 1-line block ×4, first 2 shown]
	s_waitcnt lgkmcnt(0)
	s_barrier
	buffer_gl0_inv
	ds_read2st64_b64 v[20:23], v1 offset1:4
	ds_read2st64_b64 v[16:19], v1 offset0:8 offset1:12
	s_waitcnt lgkmcnt(0)
	s_barrier
	buffer_gl0_inv
	ds_write_b64 v0, v[13:14]
	ds_write_b64 v87, v[8:9]
	;; [unrolled: 1-line block ×4, first 2 shown]
	s_waitcnt lgkmcnt(0)
	s_barrier
	buffer_gl0_inv
	ds_read2st64_b64 v[12:15], v1 offset1:4
	ds_read2st64_b64 v[8:11], v1 offset0:8 offset1:12
	v_mov_b32_e32 v27, 0
	v_add_co_u32 v2, vcc_lo, v2, v24
	v_add_co_ci_u32_e64 v3, null, v3, v25, vcc_lo
	v_lshlrev_b64 v[0:1], 3, v[26:27]
	s_waitcnt lgkmcnt(0)
	s_barrier
	buffer_gl0_inv
	v_add_co_u32 v2, vcc_lo, v2, v0
	v_add_co_ci_u32_e64 v3, null, v3, v1, vcc_lo
	v_cmp_lt_u32_e32 vcc_lo, v26, v119
	s_and_saveexec_b32 s5, vcc_lo
	s_cbranch_execz .LBB1221_301
; %bb.300:
	v_cmp_lt_i64_e64 s4, -1, v[20:21]
	v_ashrrev_i32_e32 v4, 31, v21
	v_not_b32_e32 v4, v4
	v_cndmask_b32_e64 v5, 0x80000000, -1, s4
	v_xor_b32_e32 v4, v4, v20
	v_xor_b32_e32 v5, v5, v21
	flat_store_dwordx2 v[2:3], v[4:5]
.LBB1221_301:
	s_or_b32 exec_lo, exec_lo, s5
	v_add_nc_u32_e32 v4, 0x100, v26
	v_cmp_lt_u32_e64 s4, v4, v119
	s_and_saveexec_b32 s6, s4
	s_cbranch_execz .LBB1221_303
; %bb.302:
	v_cmp_lt_i64_e64 s5, -1, v[22:23]
	v_ashrrev_i32_e32 v4, 31, v23
	v_not_b32_e32 v4, v4
	v_cndmask_b32_e64 v5, 0x80000000, -1, s5
	v_add_co_u32 v20, s5, 0x800, v2
	v_add_co_ci_u32_e64 v21, null, 0, v3, s5
	v_xor_b32_e32 v5, v5, v23
	v_xor_b32_e32 v4, v4, v22
	flat_store_dwordx2 v[20:21], v[4:5]
.LBB1221_303:
	s_or_b32 exec_lo, exec_lo, s6
	v_add_nc_u32_e32 v4, 0x200, v26
	v_cmp_lt_u32_e64 s5, v4, v119
	s_and_saveexec_b32 s7, s5
	s_cbranch_execz .LBB1221_305
; %bb.304:
	v_ashrrev_i32_e32 v4, 31, v17
	v_cmp_lt_i64_e64 s6, -1, v[16:17]
	v_not_b32_e32 v4, v4
	v_cndmask_b32_e64 v5, 0x80000000, -1, s6
	v_xor_b32_e32 v4, v4, v16
	v_add_co_u32 v16, s6, 0x1000, v2
	v_xor_b32_e32 v5, v5, v17
	v_add_co_ci_u32_e64 v17, null, 0, v3, s6
	flat_store_dwordx2 v[16:17], v[4:5]
.LBB1221_305:
	s_or_b32 exec_lo, exec_lo, s7
	v_add_nc_u32_e32 v4, 0x300, v26
	v_cmp_lt_u32_e64 s6, v4, v119
	s_and_saveexec_b32 s10, s6
	s_cbranch_execz .LBB1221_307
; %bb.306:
	v_cmp_lt_i64_e64 s7, -1, v[18:19]
	v_ashrrev_i32_e32 v4, 31, v19
	v_not_b32_e32 v4, v4
	v_cndmask_b32_e64 v5, 0x80000000, -1, s7
	v_add_co_u32 v2, s7, 0x1800, v2
	v_add_co_ci_u32_e64 v3, null, 0, v3, s7
	v_xor_b32_e32 v5, v5, v19
	v_xor_b32_e32 v4, v4, v18
	flat_store_dwordx2 v[2:3], v[4:5]
.LBB1221_307:
	s_or_b32 exec_lo, exec_lo, s10
	v_add_co_u32 v2, s7, v6, v24
	v_add_co_ci_u32_e64 v3, null, v7, v25, s7
	v_add_co_u32 v0, s7, v2, v0
	v_add_co_ci_u32_e64 v1, null, v3, v1, s7
	s_and_saveexec_b32 s7, vcc_lo
	s_cbranch_execnz .LBB1221_340
; %bb.308:
	s_or_b32 exec_lo, exec_lo, s7
	s_and_saveexec_b32 s7, s4
	s_cbranch_execnz .LBB1221_341
.LBB1221_309:
	s_or_b32 exec_lo, exec_lo, s7
	s_and_saveexec_b32 s4, s5
	s_cbranch_execnz .LBB1221_342
.LBB1221_310:
	s_or_b32 exec_lo, exec_lo, s4
	s_and_saveexec_b32 s4, s6
	s_cbranch_execz .LBB1221_312
.LBB1221_311:
	v_add_co_u32 v0, vcc_lo, 0x1800, v0
	v_add_co_ci_u32_e64 v1, null, 0, v1, vcc_lo
	flat_store_dwordx2 v[0:1], v[10:11]
.LBB1221_312:
	s_or_b32 exec_lo, exec_lo, s4
                                        ; implicit-def: $vgpr119
                                        ; implicit-def: $vgpr0
                                        ; implicit-def: $vgpr1
                                        ; implicit-def: $vgpr2
                                        ; implicit-def: $vgpr3
                                        ; implicit-def: $vgpr4
                                        ; implicit-def: $vgpr5
                                        ; implicit-def: $vgpr6
                                        ; implicit-def: $vgpr7
                                        ; implicit-def: $vgpr8
                                        ; implicit-def: $vgpr10
                                        ; implicit-def: $vgpr11
                                        ; implicit-def: $vgpr12
                                        ; implicit-def: $vgpr13
                                        ; implicit-def: $vgpr14
                                        ; implicit-def: $vgpr21
                                        ; implicit-def: $vgpr54
.LBB1221_313:
	s_andn2_saveexec_b32 s4, s25
	s_cbranch_execz .LBB1221_372
; %bb.314:
	s_load_dwordx2 s[4:5], s[8:9], 0x0
	v_mov_b32_e32 v9, 0
	v_lshlrev_b64 v[17:18], 3, v[8:9]
	s_waitcnt lgkmcnt(0)
	s_cmp_lt_u32 s13, s5
	s_cselect_b32 s5, 14, 20
	s_add_u32 s6, s8, s5
	s_addc_u32 s7, s9, 0
	s_cmp_lt_u32 s12, s4
	global_load_ushort v15, v9, s[6:7]
	s_cselect_b32 s4, 12, 18
	s_add_u32 s4, s8, s4
	s_addc_u32 s5, s9, 0
	global_load_ushort v16, v9, s[4:5]
	s_mov_b32 s4, exec_lo
	s_waitcnt vmcnt(1)
	v_mad_u32_u24 v13, v14, v15, v13
	s_waitcnt vmcnt(0)
	v_mad_u64_u32 v[19:20], null, v13, v16, v[21:22]
	v_cmpx_lt_u32_e32 0x100, v119
	s_xor_b32 s20, exec_lo, s4
	s_cbranch_execz .LBB1221_352
; %bb.315:
	v_lshlrev_b32_e32 v8, 1, v19
	v_add_co_u32 v15, vcc_lo, v0, v17
	v_lshlrev_b32_e32 v20, 3, v54
	v_add_co_ci_u32_e64 v16, null, v1, v18, vcc_lo
	v_and_b32_e32 v8, 0xffffffc0, v8
	v_mov_b32_e32 v13, -1
	v_bfrev_b32_e32 v14, -2
	v_lshlrev_b64 v[0:1], 3, v[8:9]
	v_add_co_u32 v9, vcc_lo, v15, v20
	v_add_co_ci_u32_e64 v15, null, 0, v16, vcc_lo
	v_or_b32_e32 v22, v54, v8
	v_add_co_u32 v8, vcc_lo, v9, v0
	v_add_co_ci_u32_e64 v9, null, v15, v1, vcc_lo
	v_cmp_lt_u32_e32 vcc_lo, v22, v119
	v_mov_b32_e32 v15, v13
	v_mov_b32_e32 v16, v14
	s_and_saveexec_b32 s4, vcc_lo
	s_cbranch_execz .LBB1221_317
; %bb.316:
	flat_load_dwordx2 v[23:24], v[8:9]
	v_mov_b32_e32 v25, v13
	v_mov_b32_e32 v26, v14
	s_waitcnt vmcnt(0) lgkmcnt(0)
	v_mov_b32_e32 v13, v23
	v_mov_b32_e32 v14, v24
	;; [unrolled: 1-line block ×4, first 2 shown]
.LBB1221_317:
	s_or_b32 exec_lo, exec_lo, s4
	v_or_b32_e32 v22, 32, v22
	v_cmp_lt_u32_e64 s4, v22, v119
	s_and_saveexec_b32 s5, s4
	s_cbranch_execz .LBB1221_319
; %bb.318:
	flat_load_dwordx2 v[15:16], v[8:9] offset:256
.LBB1221_319:
	s_or_b32 exec_lo, exec_lo, s5
	v_add_co_u32 v4, s5, v4, v17
	v_add_co_ci_u32_e64 v5, null, v5, v18, s5
	v_mov_b32_e32 v28, 0
	v_add_co_u32 v4, s5, v4, v20
	v_add_co_ci_u32_e64 v5, null, 0, v5, s5
	v_mov_b32_e32 v26, 0
	v_add_co_u32 v0, s5, v4, v0
	v_mov_b32_e32 v29, 0
	v_mov_b32_e32 v27, 0
	v_add_co_ci_u32_e64 v1, null, v5, v1, s5
	s_and_saveexec_b32 s5, vcc_lo
	s_cbranch_execz .LBB1221_321
; %bb.320:
	flat_load_dwordx2 v[26:27], v[0:1]
.LBB1221_321:
	s_or_b32 exec_lo, exec_lo, s5
	s_and_saveexec_b32 s5, s4
	s_cbranch_execz .LBB1221_323
; %bb.322:
	flat_load_dwordx2 v[28:29], v[0:1] offset:256
.LBB1221_323:
	s_or_b32 exec_lo, exec_lo, s5
	v_cmp_lt_i64_e32 vcc_lo, -1, v[13:14]
	v_ashrrev_i32_e32 v1, 31, v14
	s_waitcnt vmcnt(0) lgkmcnt(0)
	v_ashrrev_i32_e32 v4, 31, v16
	v_lshl_add_u32 v5, v21, 5, v12
	s_getpc_b64 s[4:5]
	s_add_u32 s4, s4, _ZN7rocprim17ROCPRIM_400000_NS16block_radix_sortIdLj256ELj2ElLj1ELj1ELj8ELNS0_26block_radix_rank_algorithmE2ELNS0_18block_padding_hintE2ELNS0_4arch9wavefront6targetE0EE19radix_bits_per_passE@rel32@lo+4
	s_addc_u32 s5, s5, _ZN7rocprim17ROCPRIM_400000_NS16block_radix_sortIdLj256ELj2ElLj1ELj1ELj8ELNS0_26block_radix_rank_algorithmE2ELNS0_18block_padding_hintE2ELNS0_4arch9wavefront6targetE0EE19radix_bits_per_passE@rel32@hi+12
	v_lshrrev_b32_e32 v37, 5, v19
	v_cndmask_b32_e64 v0, -1, 0x80000000, vcc_lo
	v_cmp_lt_i64_e32 vcc_lo, -1, v[15:16]
	v_xor_b32_e32 v30, v1, v13
	v_xor_b32_e32 v13, v4, v15
	v_and_b32_e32 v4, 16, v54
	v_xor_b32_e32 v31, v0, v14
	s_load_dword s21, s[4:5], 0x0
	v_cndmask_b32_e64 v0, -1, 0x80000000, vcc_lo
	v_add_nc_u32_e32 v15, 32, v5
	v_add_nc_u32_e32 v20, 40, v5
	;; [unrolled: 1-line block ×4, first 2 shown]
	v_xor_b32_e32 v14, v0, v16
	v_and_b32_e32 v0, 0x3e0, v21
	v_add_nc_u32_e32 v16, 36, v5
	v_add_nc_u32_e32 v34, 52, v5
	;; [unrolled: 1-line block ×4, first 2 shown]
	v_min_u32_e32 v0, 0xe0, v0
	v_sub_co_u32 v5, s6, v54, 1
	v_cmp_eq_u32_e64 s8, 0, v4
	v_lshlrev_b32_e32 v4, 1, v21
	v_or_b32_e32 v0, 31, v0
	v_and_b32_e32 v1, 15, v54
	v_cmp_gt_i32_e64 s10, 0, v5
	v_cmp_lt_u32_e64 s11, 31, v21
	v_and_or_b32 v4, 0x7c0, v4, v54
	v_cmp_eq_u32_e64 s9, v21, v0
	v_lshrrev_b32_e32 v0, 3, v21
	v_cmp_eq_u32_e32 vcc_lo, 0, v1
	v_cmp_lt_u32_e64 s4, 1, v1
	v_cmp_lt_u32_e64 s5, 3, v1
	;; [unrolled: 1-line block ×3, first 2 shown]
	v_and_b32_e32 v0, 0x7c, v0
	v_cndmask_b32_e64 v1, v5, v54, s10
	v_and_b32_e32 v5, 7, v54
	v_lshl_add_u32 v49, v4, 3, v12
	v_cmp_gt_u32_e64 s10, 8, v21
	v_add_nc_u32_e32 v39, v12, v0
	v_lshlrev_b32_e32 v38, 2, v1
	v_cmp_eq_u32_e64 s12, 0, v21
	v_mov_b32_e32 v1, 0
	v_lshl_add_u32 v48, v21, 2, v12
	v_cmp_eq_u32_e64 s13, 0, v5
	v_cmp_lt_u32_e64 s14, 1, v5
	v_cmp_lt_u32_e64 s15, 3, v5
	v_add_nc_u32_e32 v50, -4, v39
	v_add_nc_u32_e32 v51, 0x100, v49
	v_sub_nc_u32_e32 v52, v11, v10
	s_mov_b32 s18, -1
	s_brev_b32 s19, -2
	s_mov_b32 s22, 0
	s_waitcnt lgkmcnt(0)
	s_waitcnt_vscnt null, 0x0
	s_barrier
	buffer_gl0_inv
	s_branch .LBB1221_325
.LBB1221_324:                           ;   in Loop: Header=BB1221_325 Depth=1
	s_or_b32 exec_lo, exec_lo, s17
	s_and_b32 s16, exec_lo, s23
	s_or_b32 s22, s16, s22
	s_andn2_b32 exec_lo, exec_lo, s22
	s_cbranch_execz .LBB1221_343
.LBB1221_325:                           ; =>This Inner Loop Header: Depth=1
	v_mov_b32_e32 v4, v30
	v_mov_b32_e32 v5, v31
	v_min_u32_e32 v0, s21, v52
	ds_write_b32 v15, v1
	ds_write_b32 v16, v1
	;; [unrolled: 1-line block ×5, first 2 shown]
	v_cmp_ne_u64_e64 s16, s[18:19], v[4:5]
	v_lshlrev_b32_e64 v0, v0, -1
	ds_write_b32 v34, v1
	ds_write_b32 v35, v1
	;; [unrolled: 1-line block ×3, first 2 shown]
	s_waitcnt lgkmcnt(0)
	s_barrier
	v_cndmask_b32_e64 v9, 0x80000000, v5, s16
	v_cndmask_b32_e64 v8, 0, v4, s16
	v_not_b32_e32 v30, v0
	buffer_gl0_inv
	; wave barrier
	v_lshrrev_b64 v[8:9], v10, v[8:9]
	v_and_b32_e32 v0, v8, v30
	v_mov_b32_e32 v8, v13
	v_mov_b32_e32 v9, v14
	v_and_b32_e32 v13, 1, v0
	v_lshlrev_b32_e32 v14, 30, v0
	v_lshlrev_b32_e32 v22, 29, v0
	;; [unrolled: 1-line block ×4, first 2 shown]
	v_add_co_u32 v13, s16, v13, -1
	v_cndmask_b32_e64 v24, 0, 1, s16
	v_not_b32_e32 v54, v14
	v_cmp_gt_i32_e64 s17, 0, v14
	v_not_b32_e32 v14, v22
	v_lshlrev_b32_e32 v31, 26, v0
	v_cmp_ne_u32_e64 s16, 0, v24
	v_ashrrev_i32_e32 v54, 31, v54
	v_lshlrev_b32_e32 v53, 25, v0
	v_ashrrev_i32_e32 v14, 31, v14
	v_lshlrev_b32_e32 v24, 24, v0
	v_xor_b32_e32 v13, s16, v13
	v_cmp_gt_i32_e64 s16, 0, v22
	v_not_b32_e32 v22, v23
	v_xor_b32_e32 v54, s17, v54
	v_cmp_gt_i32_e64 s17, 0, v23
	v_and_b32_e32 v13, exec_lo, v13
	v_not_b32_e32 v23, v25
	v_ashrrev_i32_e32 v22, 31, v22
	v_xor_b32_e32 v14, s16, v14
	v_cmp_gt_i32_e64 s16, 0, v25
	v_and_b32_e32 v13, v13, v54
	v_not_b32_e32 v25, v31
	v_ashrrev_i32_e32 v23, 31, v23
	v_xor_b32_e32 v22, s17, v22
	v_cmp_gt_i32_e64 s17, 0, v31
	v_and_b32_e32 v13, v13, v14
	v_not_b32_e32 v14, v53
	v_ashrrev_i32_e32 v25, 31, v25
	v_xor_b32_e32 v23, s16, v23
	v_cmp_gt_i32_e64 s16, 0, v53
	v_and_b32_e32 v13, v13, v22
	v_not_b32_e32 v31, v24
	v_ashrrev_i32_e32 v14, 31, v14
	v_xor_b32_e32 v25, s17, v25
	v_cmp_gt_i32_e64 s17, 0, v24
	v_and_b32_e32 v13, v13, v23
	v_mov_b32_e32 v22, v28
	v_mov_b32_e32 v23, v29
	v_ashrrev_i32_e32 v28, 31, v31
	v_xor_b32_e32 v14, s16, v14
	v_and_b32_e32 v13, v13, v25
	v_mov_b32_e32 v24, v26
	v_mov_b32_e32 v25, v27
	v_xor_b32_e32 v26, s17, v28
	v_lshl_add_u32 v0, v0, 3, v37
	v_and_b32_e32 v13, v13, v14
	v_and_b32_e32 v14, v13, v26
	v_lshlrev_b64 v[26:27], 2, v[0:1]
	v_mbcnt_lo_u32_b32 v0, v14, 0
	v_cmp_ne_u32_e64 s17, 0, v14
	v_add_co_u32 v13, null, v12, v26
	v_cmp_eq_u32_e64 s16, 0, v0
	v_add_co_u32 v13, null, v13, 32
	s_and_b32 s17, s17, s16
	s_and_saveexec_b32 s16, s17
; %bb.326:                              ;   in Loop: Header=BB1221_325 Depth=1
	v_bcnt_u32_b32 v14, v14, 0
	ds_write_b32 v13, v14
; %bb.327:                              ;   in Loop: Header=BB1221_325 Depth=1
	s_or_b32 exec_lo, exec_lo, s16
	v_cmp_ne_u64_e64 s16, s[18:19], v[8:9]
	; wave barrier
	v_cndmask_b32_e64 v27, 0x80000000, v9, s16
	v_cndmask_b32_e64 v26, 0, v8, s16
	v_lshrrev_b64 v[26:27], v10, v[26:27]
	v_and_b32_e32 v14, v26, v30
	v_and_b32_e32 v26, 1, v14
	v_lshlrev_b32_e32 v27, 30, v14
	v_lshlrev_b32_e32 v28, 29, v14
	;; [unrolled: 1-line block ×4, first 2 shown]
	v_add_co_u32 v26, s16, v26, -1
	v_cndmask_b32_e64 v30, 0, 1, s16
	v_not_b32_e32 v55, v27
	v_cmp_gt_i32_e64 s17, 0, v27
	v_not_b32_e32 v27, v28
	v_lshlrev_b32_e32 v53, 26, v14
	v_cmp_ne_u32_e64 s16, 0, v30
	v_ashrrev_i32_e32 v55, 31, v55
	v_lshlrev_b32_e32 v54, 25, v14
	v_ashrrev_i32_e32 v27, 31, v27
	v_lshlrev_b32_e32 v30, 24, v14
	v_xor_b32_e32 v26, s16, v26
	v_cmp_gt_i32_e64 s16, 0, v28
	v_not_b32_e32 v28, v29
	v_xor_b32_e32 v55, s17, v55
	v_cmp_gt_i32_e64 s17, 0, v29
	v_and_b32_e32 v26, exec_lo, v26
	v_not_b32_e32 v29, v31
	v_ashrrev_i32_e32 v28, 31, v28
	v_xor_b32_e32 v27, s16, v27
	v_cmp_gt_i32_e64 s16, 0, v31
	v_and_b32_e32 v26, v26, v55
	v_not_b32_e32 v31, v53
	v_ashrrev_i32_e32 v29, 31, v29
	v_xor_b32_e32 v28, s17, v28
	v_cmp_gt_i32_e64 s17, 0, v53
	v_and_b32_e32 v26, v26, v27
	;; [unrolled: 5-line block ×3, first 2 shown]
	v_not_b32_e32 v28, v30
	v_ashrrev_i32_e32 v27, 31, v27
	v_xor_b32_e32 v31, s17, v31
	v_lshl_add_u32 v14, v14, 3, v37
	v_and_b32_e32 v26, v26, v29
	v_cmp_gt_i32_e64 s17, 0, v30
	v_ashrrev_i32_e32 v28, 31, v28
	v_xor_b32_e32 v27, s16, v27
	v_lshl_add_u32 v29, v14, 2, v12
	v_and_b32_e32 v26, v26, v31
	v_xor_b32_e32 v28, s17, v28
	ds_read_b32 v14, v29 offset:32
	v_and_b32_e32 v26, v26, v27
	v_add_nc_u32_e32 v27, 32, v29
	; wave barrier
	v_and_b32_e32 v28, v26, v28
	v_mbcnt_lo_u32_b32 v26, v28, 0
	v_cmp_ne_u32_e64 s17, 0, v28
	v_cmp_eq_u32_e64 s16, 0, v26
	s_and_b32 s17, s17, s16
	s_and_saveexec_b32 s16, s17
	s_cbranch_execz .LBB1221_329
; %bb.328:                              ;   in Loop: Header=BB1221_325 Depth=1
	s_waitcnt lgkmcnt(0)
	v_bcnt_u32_b32 v28, v28, v14
	ds_write_b32 v27, v28
.LBB1221_329:                           ;   in Loop: Header=BB1221_325 Depth=1
	s_or_b32 exec_lo, exec_lo, s16
	; wave barrier
	s_waitcnt lgkmcnt(0)
	s_barrier
	buffer_gl0_inv
	ds_read_b32 v29, v15
	ds_read_b32 v30, v16
	;; [unrolled: 1-line block ×8, first 2 shown]
	s_waitcnt lgkmcnt(6)
	v_add_nc_u32_e32 v65, v30, v29
	s_waitcnt lgkmcnt(4)
	v_add3_u32 v65, v65, v31, v53
	s_waitcnt lgkmcnt(2)
	v_add3_u32 v65, v65, v54, v55
	;; [unrolled: 2-line block ×3, first 2 shown]
	v_mov_b32_dpp v65, v64 row_shr:1 row_mask:0xf bank_mask:0xf
	v_cndmask_b32_e64 v65, v65, 0, vcc_lo
	v_add_nc_u32_e32 v64, v65, v64
	v_mov_b32_dpp v65, v64 row_shr:2 row_mask:0xf bank_mask:0xf
	v_cndmask_b32_e64 v65, 0, v65, s4
	v_add_nc_u32_e32 v64, v64, v65
	v_mov_b32_dpp v65, v64 row_shr:4 row_mask:0xf bank_mask:0xf
	v_cndmask_b32_e64 v65, 0, v65, s5
	;; [unrolled: 3-line block ×3, first 2 shown]
	v_add_nc_u32_e32 v64, v64, v65
	ds_swizzle_b32 v65, v64 offset:swizzle(BROADCAST,32,15)
	s_waitcnt lgkmcnt(0)
	v_cndmask_b32_e64 v65, v65, 0, s8
	v_add_nc_u32_e32 v64, v64, v65
	s_and_saveexec_b32 s16, s9
; %bb.330:                              ;   in Loop: Header=BB1221_325 Depth=1
	ds_write_b32 v39, v64
; %bb.331:                              ;   in Loop: Header=BB1221_325 Depth=1
	s_or_b32 exec_lo, exec_lo, s16
	s_waitcnt lgkmcnt(0)
	s_barrier
	buffer_gl0_inv
	s_and_saveexec_b32 s16, s10
	s_cbranch_execz .LBB1221_333
; %bb.332:                              ;   in Loop: Header=BB1221_325 Depth=1
	ds_read_b32 v65, v48
	s_waitcnt lgkmcnt(0)
	v_mov_b32_dpp v66, v65 row_shr:1 row_mask:0xf bank_mask:0xf
	v_cndmask_b32_e64 v66, v66, 0, s13
	v_add_nc_u32_e32 v65, v66, v65
	v_mov_b32_dpp v66, v65 row_shr:2 row_mask:0xf bank_mask:0xf
	v_cndmask_b32_e64 v66, 0, v66, s14
	v_add_nc_u32_e32 v65, v65, v66
	v_mov_b32_dpp v66, v65 row_shr:4 row_mask:0xf bank_mask:0xf
	v_cndmask_b32_e64 v66, 0, v66, s15
	v_add_nc_u32_e32 v65, v65, v66
	ds_write_b32 v48, v65
.LBB1221_333:                           ;   in Loop: Header=BB1221_325 Depth=1
	s_or_b32 exec_lo, exec_lo, s16
	v_mov_b32_e32 v65, 0
	s_waitcnt lgkmcnt(0)
	s_barrier
	buffer_gl0_inv
	s_and_saveexec_b32 s16, s11
; %bb.334:                              ;   in Loop: Header=BB1221_325 Depth=1
	ds_read_b32 v65, v50
; %bb.335:                              ;   in Loop: Header=BB1221_325 Depth=1
	s_or_b32 exec_lo, exec_lo, s16
	s_waitcnt lgkmcnt(0)
	v_add_nc_u32_e32 v64, v65, v64
	v_add_nc_u32_e32 v10, 8, v10
	s_mov_b32 s23, -1
	s_mov_b32 s17, exec_lo
	ds_bpermute_b32 v64, v38, v64
	s_waitcnt lgkmcnt(0)
	v_cndmask_b32_e64 v64, v64, v65, s6
	v_cndmask_b32_e64 v64, v64, 0, s12
	v_add_nc_u32_e32 v29, v64, v29
	v_add_nc_u32_e32 v30, v29, v30
	ds_write_b32 v15, v64
	ds_write_b32 v16, v29
	;; [unrolled: 1-line block ×3, first 2 shown]
	v_add_nc_u32_e32 v31, v30, v31
	v_add_nc_u32_e32 v53, v31, v53
	;; [unrolled: 1-line block ×5, first 2 shown]
	ds_write_b32 v32, v31
	ds_write_b32 v33, v53
	;; [unrolled: 1-line block ×5, first 2 shown]
	s_waitcnt lgkmcnt(0)
	s_barrier
	buffer_gl0_inv
	ds_read_b32 v13, v13
	ds_read_b32 v28, v27
	v_mov_b32_e32 v27, v1
	s_waitcnt lgkmcnt(0)
                                        ; implicit-def: $vgpr30_vgpr31
	v_add_nc_u32_e32 v0, v13, v0
	v_add3_u32 v26, v26, v14, v28
                                        ; implicit-def: $vgpr28_vgpr29
	v_lshlrev_b64 v[13:14], 3, v[0:1]
	v_lshlrev_b64 v[26:27], 3, v[26:27]
	v_add_co_u32 v0, null, v12, v13
	v_add_co_u32 v53, null, v12, v26
                                        ; implicit-def: $vgpr13_vgpr14
                                        ; implicit-def: $vgpr26_vgpr27
	v_cmpx_lt_u32_e64 v10, v11
	s_cbranch_execz .LBB1221_324
; %bb.336:                              ;   in Loop: Header=BB1221_325 Depth=1
	s_barrier
	buffer_gl0_inv
	ds_write_b64 v0, v[4:5]
	ds_write_b64 v53, v[8:9]
	s_waitcnt lgkmcnt(0)
	s_barrier
	buffer_gl0_inv
	ds_read_b64 v[30:31], v49
	ds_read_b64 v[13:14], v51
	s_waitcnt lgkmcnt(0)
	s_barrier
	buffer_gl0_inv
	ds_write_b64 v0, v[24:25]
	ds_write_b64 v53, v[22:23]
	s_waitcnt lgkmcnt(0)
	s_barrier
	buffer_gl0_inv
	ds_read_b64 v[26:27], v49
	ds_read_b64 v[28:29], v51
	v_add_nc_u32_e32 v52, -8, v52
	s_xor_b32 s23, exec_lo, -1
	s_waitcnt lgkmcnt(0)
	s_barrier
	buffer_gl0_inv
	s_branch .LBB1221_324
.LBB1221_337:
	flat_load_dwordx2 v[33:34], v[0:1]
	s_or_b32 exec_lo, exec_lo, s7
                                        ; implicit-def: $vgpr35_vgpr36
	s_and_saveexec_b32 s7, s4
	s_cbranch_execz .LBB1221_264
.LBB1221_338:
	flat_load_dwordx2 v[35:36], v[0:1] offset:256
	s_or_b32 exec_lo, exec_lo, s7
                                        ; implicit-def: $vgpr22_vgpr23
	s_and_saveexec_b32 s4, s5
	s_cbranch_execz .LBB1221_265
.LBB1221_339:
	flat_load_dwordx2 v[22:23], v[0:1] offset:512
	s_or_b32 exec_lo, exec_lo, s4
                                        ; implicit-def: $vgpr31_vgpr32
	s_and_saveexec_b32 s4, s6
	s_cbranch_execnz .LBB1221_266
	s_branch .LBB1221_267
.LBB1221_340:
	flat_store_dwordx2 v[0:1], v[12:13]
	s_or_b32 exec_lo, exec_lo, s7
	s_and_saveexec_b32 s7, s4
	s_cbranch_execz .LBB1221_309
.LBB1221_341:
	v_add_co_u32 v2, vcc_lo, 0x800, v0
	v_add_co_ci_u32_e64 v3, null, 0, v1, vcc_lo
	flat_store_dwordx2 v[2:3], v[14:15]
	s_or_b32 exec_lo, exec_lo, s7
	s_and_saveexec_b32 s4, s5
	s_cbranch_execz .LBB1221_310
.LBB1221_342:
	v_add_co_u32 v2, vcc_lo, 0x1000, v0
	v_add_co_ci_u32_e64 v3, null, 0, v1, vcc_lo
	flat_store_dwordx2 v[2:3], v[8:9]
	s_or_b32 exec_lo, exec_lo, s4
	s_and_saveexec_b32 s4, s6
	s_cbranch_execnz .LBB1221_311
	s_branch .LBB1221_312
.LBB1221_343:
	s_or_b32 exec_lo, exec_lo, s22
	v_lshl_add_u32 v1, v21, 3, v12
	s_barrier
	buffer_gl0_inv
	ds_write_b64 v0, v[4:5]
	ds_write_b64 v53, v[8:9]
	s_waitcnt lgkmcnt(0)
	s_barrier
	buffer_gl0_inv
	ds_read2st64_b64 v[12:15], v1 offset1:4
	s_waitcnt lgkmcnt(0)
	s_barrier
	buffer_gl0_inv
	ds_write_b64 v0, v[24:25]
	ds_write_b64 v53, v[22:23]
	s_waitcnt lgkmcnt(0)
	s_barrier
	buffer_gl0_inv
	ds_read2st64_b64 v[8:11], v1 offset1:4
	v_mov_b32_e32 v20, 0
	v_add_co_u32 v2, vcc_lo, v2, v17
	v_add_co_ci_u32_e64 v3, null, v3, v18, vcc_lo
	v_lshlrev_b64 v[0:1], 3, v[19:20]
	s_waitcnt lgkmcnt(0)
	s_barrier
	buffer_gl0_inv
	v_add_co_u32 v2, vcc_lo, v2, v0
	v_add_co_ci_u32_e64 v3, null, v3, v1, vcc_lo
	v_cmp_lt_u32_e32 vcc_lo, v19, v119
	s_and_saveexec_b32 s5, vcc_lo
	s_cbranch_execz .LBB1221_345
; %bb.344:
	v_cmp_lt_i64_e64 s4, -1, v[12:13]
	v_ashrrev_i32_e32 v4, 31, v13
	v_not_b32_e32 v4, v4
	v_cndmask_b32_e64 v5, 0x80000000, -1, s4
	v_xor_b32_e32 v4, v4, v12
	v_xor_b32_e32 v5, v5, v13
	flat_store_dwordx2 v[2:3], v[4:5]
.LBB1221_345:
	s_or_b32 exec_lo, exec_lo, s5
	v_add_nc_u32_e32 v4, 0x100, v19
	v_cmp_lt_u32_e64 s4, v4, v119
	s_and_saveexec_b32 s6, s4
	s_cbranch_execz .LBB1221_347
; %bb.346:
	v_cmp_lt_i64_e64 s5, -1, v[14:15]
	v_ashrrev_i32_e32 v4, 31, v15
	v_not_b32_e32 v4, v4
	v_cndmask_b32_e64 v5, 0x80000000, -1, s5
	v_add_co_u32 v2, s5, 0x800, v2
	v_add_co_ci_u32_e64 v3, null, 0, v3, s5
	v_xor_b32_e32 v5, v5, v15
	v_xor_b32_e32 v4, v4, v14
	flat_store_dwordx2 v[2:3], v[4:5]
.LBB1221_347:
	s_or_b32 exec_lo, exec_lo, s6
	v_add_co_u32 v2, s5, v6, v17
	v_add_co_ci_u32_e64 v3, null, v7, v18, s5
	v_add_co_u32 v0, s5, v2, v0
	v_add_co_ci_u32_e64 v1, null, v3, v1, s5
	s_and_saveexec_b32 s5, vcc_lo
	s_cbranch_execz .LBB1221_349
; %bb.348:
	flat_store_dwordx2 v[0:1], v[8:9]
.LBB1221_349:
	s_or_b32 exec_lo, exec_lo, s5
	s_and_saveexec_b32 s5, s4
	s_cbranch_execz .LBB1221_351
; %bb.350:
	v_add_co_u32 v0, vcc_lo, 0x800, v0
	v_add_co_ci_u32_e64 v1, null, 0, v1, vcc_lo
	flat_store_dwordx2 v[0:1], v[10:11]
.LBB1221_351:
	s_or_b32 exec_lo, exec_lo, s5
                                        ; implicit-def: $vgpr19_vgpr20
                                        ; implicit-def: $vgpr17_vgpr18
                                        ; implicit-def: $vgpr119
                                        ; implicit-def: $vgpr0
                                        ; implicit-def: $vgpr1
                                        ; implicit-def: $vgpr2
                                        ; implicit-def: $vgpr3
                                        ; implicit-def: $vgpr4
                                        ; implicit-def: $vgpr5
                                        ; implicit-def: $vgpr6
                                        ; implicit-def: $vgpr7
                                        ; implicit-def: $vgpr10
                                        ; implicit-def: $vgpr11
                                        ; implicit-def: $vgpr12
                                        ; implicit-def: $vgpr21
                                        ; implicit-def: $vgpr54
.LBB1221_352:
	s_andn2_saveexec_b32 s4, s20
	s_cbranch_execz .LBB1221_372
; %bb.353:
	v_and_b32_e32 v15, 0xffffffe0, v19
	v_mov_b32_e32 v13, -1
	v_bfrev_b32_e32 v14, -2
	v_lshlrev_b32_e32 v20, 3, v54
	v_or_b32_e32 v8, v54, v15
	v_cmp_lt_u32_e32 vcc_lo, v8, v119
	s_and_saveexec_b32 s5, vcc_lo
	s_cbranch_execz .LBB1221_355
; %bb.354:
	v_mov_b32_e32 v16, 0
	v_add_co_u32 v8, s4, v0, v17
	v_add_co_ci_u32_e64 v9, null, v1, v18, s4
	v_lshlrev_b64 v[0:1], 3, v[15:16]
	v_add_co_u32 v8, s4, v8, v20
	v_add_co_ci_u32_e64 v9, null, 0, v9, s4
	v_add_co_u32 v0, s4, v8, v0
	v_add_co_ci_u32_e64 v1, null, v9, v1, s4
	flat_load_dwordx2 v[13:14], v[0:1]
.LBB1221_355:
	s_or_b32 exec_lo, exec_lo, s5
                                        ; implicit-def: $vgpr8_vgpr9
	s_and_saveexec_b32 s4, vcc_lo
	s_cbranch_execz .LBB1221_357
; %bb.356:
	v_mov_b32_e32 v16, 0
	v_add_co_u32 v4, vcc_lo, v4, v17
	v_add_co_ci_u32_e64 v5, null, v5, v18, vcc_lo
	v_lshlrev_b64 v[0:1], 3, v[15:16]
	v_add_co_u32 v4, vcc_lo, v4, v20
	v_add_co_ci_u32_e64 v5, null, 0, v5, vcc_lo
	v_add_co_u32 v0, vcc_lo, v4, v0
	v_add_co_ci_u32_e64 v1, null, v5, v1, vcc_lo
	flat_load_dwordx2 v[8:9], v[0:1]
.LBB1221_357:
	s_or_b32 exec_lo, exec_lo, s4
	s_waitcnt vmcnt(0) lgkmcnt(0)
	v_cmp_lt_i64_e32 vcc_lo, -1, v[13:14]
	v_lshl_add_u32 v4, v21, 5, v12
	v_ashrrev_i32_e32 v1, 31, v14
	s_getpc_b64 s[4:5]
	s_add_u32 s4, s4, _ZN7rocprim17ROCPRIM_400000_NS16block_radix_sortIdLj256ELj1ElLj1ELj1ELj8ELNS0_26block_radix_rank_algorithmE2ELNS0_18block_padding_hintE2ELNS0_4arch9wavefront6targetE0EE19radix_bits_per_passE@rel32@lo+4
	s_addc_u32 s5, s5, _ZN7rocprim17ROCPRIM_400000_NS16block_radix_sortIdLj256ELj1ElLj1ELj1ELj8ELNS0_26block_radix_rank_algorithmE2ELNS0_18block_padding_hintE2ELNS0_4arch9wavefront6targetE0EE19radix_bits_per_passE@rel32@hi+12
	v_and_b32_e32 v5, 16, v54
	s_load_dword s20, s[4:5], 0x0
	v_cndmask_b32_e64 v0, -1, 0x80000000, vcc_lo
	v_add_nc_u32_e32 v20, 32, v4
	v_add_nc_u32_e32 v22, 36, v4
	v_add_nc_u32_e32 v23, 40, v4
	v_add_nc_u32_e32 v24, 44, v4
	v_add_nc_u32_e32 v25, 48, v4
	v_add_nc_u32_e32 v26, 52, v4
	v_add_nc_u32_e32 v27, 56, v4
	v_add_nc_u32_e32 v28, 60, v4
	v_and_b32_e32 v4, 0x3e0, v21
	v_xor_b32_e32 v16, v0, v14
	v_xor_b32_e32 v15, v1, v13
	v_and_b32_e32 v0, 15, v54
	v_sub_co_u32 v13, s6, v54, 1
	v_min_u32_e32 v1, 0xe0, v4
	v_cmp_eq_u32_e64 s8, 0, v5
	v_cmp_eq_u32_e32 vcc_lo, 0, v0
	v_cmp_lt_u32_e64 s4, 1, v0
	v_cmp_lt_u32_e64 s5, 3, v0
	;; [unrolled: 1-line block ×3, first 2 shown]
	v_or_b32_e32 v0, 31, v1
	v_lshrrev_b32_e32 v1, 3, v21
	v_cmp_gt_i32_e64 s9, 0, v13
	v_lshrrev_b32_e32 v29, 5, v19
	v_cmp_gt_u32_e64 s10, 8, v21
	v_cmp_lt_u32_e64 s11, 31, v21
	v_cmp_eq_u32_e64 s12, 0, v21
	v_cndmask_b32_e64 v5, v13, v54, s9
	v_cmp_eq_u32_e64 s9, v21, v0
	v_and_b32_e32 v0, 0x7c, v1
	v_mov_b32_e32 v1, 0
	v_lshl_add_u32 v32, v21, 2, v12
	v_lshlrev_b32_e32 v30, 2, v5
	v_and_b32_e32 v5, 7, v54
	v_add_nc_u32_e32 v31, v12, v0
	v_or_b32_e32 v0, v54, v4
	v_sub_nc_u32_e32 v35, v11, v10
	s_mov_b32 s18, -1
	v_cmp_eq_u32_e64 s13, 0, v5
	v_cmp_lt_u32_e64 s14, 1, v5
	v_cmp_lt_u32_e64 s15, 3, v5
	v_add_nc_u32_e32 v33, -4, v31
	v_lshl_add_u32 v34, v0, 3, v12
	s_brev_b32 s19, -2
	s_mov_b32 s21, 0
	s_waitcnt lgkmcnt(0)
	s_waitcnt_vscnt null, 0x0
	s_barrier
	buffer_gl0_inv
	s_branch .LBB1221_359
.LBB1221_358:                           ;   in Loop: Header=BB1221_359 Depth=1
	s_or_b32 exec_lo, exec_lo, s17
	s_and_b32 s16, exec_lo, s22
	s_or_b32 s21, s16, s21
	s_andn2_b32 exec_lo, exec_lo, s21
	s_cbranch_execz .LBB1221_369
.LBB1221_359:                           ; =>This Inner Loop Header: Depth=1
	v_mov_b32_e32 v4, v15
	v_mov_b32_e32 v5, v16
	v_min_u32_e32 v0, s20, v35
	ds_write_b32 v20, v1
	ds_write_b32 v22, v1
	;; [unrolled: 1-line block ×5, first 2 shown]
	v_cmp_ne_u64_e64 s16, s[18:19], v[4:5]
	ds_write_b32 v26, v1
	ds_write_b32 v27, v1
	ds_write_b32 v28, v1
	s_waitcnt lgkmcnt(0)
	s_barrier
	buffer_gl0_inv
	v_cndmask_b32_e64 v14, 0x80000000, v5, s16
	v_cndmask_b32_e64 v13, 0, v4, s16
	; wave barrier
	v_lshrrev_b64 v[13:14], v10, v[13:14]
	v_bfe_u32 v0, v13, 0, v0
	v_and_b32_e32 v13, 1, v0
	v_lshlrev_b32_e32 v14, 30, v0
	v_lshlrev_b32_e32 v15, 29, v0
	;; [unrolled: 1-line block ×4, first 2 shown]
	v_add_co_u32 v13, s16, v13, -1
	v_cndmask_b32_e64 v36, 0, 1, s16
	v_not_b32_e32 v48, v14
	v_cmp_gt_i32_e64 s17, 0, v14
	v_not_b32_e32 v14, v15
	v_lshlrev_b32_e32 v38, 26, v0
	v_cmp_ne_u32_e64 s16, 0, v36
	v_ashrrev_i32_e32 v48, 31, v48
	v_lshlrev_b32_e32 v39, 25, v0
	v_ashrrev_i32_e32 v14, 31, v14
	v_lshlrev_b32_e32 v36, 24, v0
	v_xor_b32_e32 v13, s16, v13
	v_cmp_gt_i32_e64 s16, 0, v15
	v_not_b32_e32 v15, v16
	v_xor_b32_e32 v48, s17, v48
	v_cmp_gt_i32_e64 s17, 0, v16
	v_and_b32_e32 v13, exec_lo, v13
	v_not_b32_e32 v16, v37
	v_ashrrev_i32_e32 v15, 31, v15
	v_xor_b32_e32 v14, s16, v14
	v_cmp_gt_i32_e64 s16, 0, v37
	v_and_b32_e32 v13, v13, v48
	v_not_b32_e32 v37, v38
	v_ashrrev_i32_e32 v16, 31, v16
	v_xor_b32_e32 v15, s17, v15
	v_cmp_gt_i32_e64 s17, 0, v38
	v_and_b32_e32 v13, v13, v14
	;; [unrolled: 5-line block ×4, first 2 shown]
	v_ashrrev_i32_e32 v15, 31, v15
	v_xor_b32_e32 v16, s16, v14
	v_lshl_add_u32 v0, v0, 3, v29
	v_and_b32_e32 v36, v13, v37
	v_mov_b32_e32 v14, v9
	v_mov_b32_e32 v13, v8
	v_xor_b32_e32 v8, s17, v15
	v_and_b32_e32 v9, v36, v16
	v_lshlrev_b64 v[15:16], 2, v[0:1]
	v_and_b32_e32 v9, v9, v8
	v_add_co_u32 v8, null, v12, v15
	v_mbcnt_lo_u32_b32 v0, v9, 0
	v_cmp_ne_u32_e64 s17, 0, v9
	v_add_co_u32 v8, null, v8, 32
	v_cmp_eq_u32_e64 s16, 0, v0
	s_and_b32 s17, s17, s16
	s_and_saveexec_b32 s16, s17
; %bb.360:                              ;   in Loop: Header=BB1221_359 Depth=1
	v_bcnt_u32_b32 v9, v9, 0
	ds_write_b32 v8, v9
; %bb.361:                              ;   in Loop: Header=BB1221_359 Depth=1
	s_or_b32 exec_lo, exec_lo, s16
	; wave barrier
	s_waitcnt lgkmcnt(0)
	s_barrier
	buffer_gl0_inv
	ds_read_b32 v15, v20
	ds_read_b32 v16, v22
	;; [unrolled: 1-line block ×8, first 2 shown]
	s_waitcnt lgkmcnt(6)
	v_add_nc_u32_e32 v49, v16, v15
	s_waitcnt lgkmcnt(4)
	v_add3_u32 v49, v49, v36, v37
	s_waitcnt lgkmcnt(2)
	v_add3_u32 v49, v49, v38, v39
	;; [unrolled: 2-line block ×3, first 2 shown]
	v_mov_b32_dpp v49, v48 row_shr:1 row_mask:0xf bank_mask:0xf
	v_cndmask_b32_e64 v49, v49, 0, vcc_lo
	v_add_nc_u32_e32 v48, v49, v48
	v_mov_b32_dpp v49, v48 row_shr:2 row_mask:0xf bank_mask:0xf
	v_cndmask_b32_e64 v49, 0, v49, s4
	v_add_nc_u32_e32 v48, v48, v49
	v_mov_b32_dpp v49, v48 row_shr:4 row_mask:0xf bank_mask:0xf
	v_cndmask_b32_e64 v49, 0, v49, s5
	v_add_nc_u32_e32 v48, v48, v49
	v_mov_b32_dpp v49, v48 row_shr:8 row_mask:0xf bank_mask:0xf
	v_cndmask_b32_e64 v49, 0, v49, s7
	v_add_nc_u32_e32 v48, v48, v49
	ds_swizzle_b32 v49, v48 offset:swizzle(BROADCAST,32,15)
	s_waitcnt lgkmcnt(0)
	v_cndmask_b32_e64 v49, v49, 0, s8
	v_add_nc_u32_e32 v48, v48, v49
	s_and_saveexec_b32 s16, s9
; %bb.362:                              ;   in Loop: Header=BB1221_359 Depth=1
	ds_write_b32 v31, v48
; %bb.363:                              ;   in Loop: Header=BB1221_359 Depth=1
	s_or_b32 exec_lo, exec_lo, s16
	s_waitcnt lgkmcnt(0)
	s_barrier
	buffer_gl0_inv
	s_and_saveexec_b32 s16, s10
	s_cbranch_execz .LBB1221_365
; %bb.364:                              ;   in Loop: Header=BB1221_359 Depth=1
	ds_read_b32 v49, v32
	s_waitcnt lgkmcnt(0)
	v_mov_b32_dpp v50, v49 row_shr:1 row_mask:0xf bank_mask:0xf
	v_cndmask_b32_e64 v50, v50, 0, s13
	v_add_nc_u32_e32 v49, v50, v49
	v_mov_b32_dpp v50, v49 row_shr:2 row_mask:0xf bank_mask:0xf
	v_cndmask_b32_e64 v50, 0, v50, s14
	v_add_nc_u32_e32 v49, v49, v50
	;; [unrolled: 3-line block ×3, first 2 shown]
	ds_write_b32 v32, v49
.LBB1221_365:                           ;   in Loop: Header=BB1221_359 Depth=1
	s_or_b32 exec_lo, exec_lo, s16
	v_mov_b32_e32 v49, 0
	s_waitcnt lgkmcnt(0)
	s_barrier
	buffer_gl0_inv
	s_and_saveexec_b32 s16, s11
; %bb.366:                              ;   in Loop: Header=BB1221_359 Depth=1
	ds_read_b32 v49, v33
; %bb.367:                              ;   in Loop: Header=BB1221_359 Depth=1
	s_or_b32 exec_lo, exec_lo, s16
	s_waitcnt lgkmcnt(0)
	v_add_nc_u32_e32 v48, v49, v48
	v_add_nc_u32_e32 v10, 8, v10
	s_mov_b32 s22, -1
	s_mov_b32 s17, exec_lo
	ds_bpermute_b32 v48, v30, v48
	s_waitcnt lgkmcnt(0)
	v_cndmask_b32_e64 v48, v48, v49, s6
	v_cndmask_b32_e64 v48, v48, 0, s12
	v_add_nc_u32_e32 v15, v48, v15
	v_add_nc_u32_e32 v16, v15, v16
	ds_write_b32 v20, v48
	ds_write_b32 v22, v15
	;; [unrolled: 1-line block ×3, first 2 shown]
	v_add_nc_u32_e32 v36, v16, v36
                                        ; implicit-def: $vgpr15_vgpr16
	v_add_nc_u32_e32 v37, v36, v37
	v_add_nc_u32_e32 v38, v37, v38
	;; [unrolled: 1-line block ×4, first 2 shown]
	ds_write_b32 v24, v36
	ds_write_b32 v25, v37
	;; [unrolled: 1-line block ×5, first 2 shown]
	s_waitcnt lgkmcnt(0)
	s_barrier
	buffer_gl0_inv
	ds_read_b32 v8, v8
	s_waitcnt lgkmcnt(0)
	v_add_nc_u32_e32 v0, v8, v0
	v_lshlrev_b64 v[8:9], 3, v[0:1]
	v_add_co_u32 v36, null, v12, v8
                                        ; implicit-def: $vgpr8_vgpr9
	v_cmpx_lt_u32_e64 v10, v11
	s_cbranch_execz .LBB1221_358
; %bb.368:                              ;   in Loop: Header=BB1221_359 Depth=1
	s_barrier
	buffer_gl0_inv
	ds_write_b64 v36, v[4:5]
	s_waitcnt lgkmcnt(0)
	s_barrier
	buffer_gl0_inv
	ds_read_b64 v[15:16], v34
	s_waitcnt lgkmcnt(0)
	s_barrier
	buffer_gl0_inv
	ds_write_b64 v36, v[13:14]
	s_waitcnt lgkmcnt(0)
	s_barrier
	buffer_gl0_inv
	ds_read_b64 v[8:9], v34
	v_add_nc_u32_e32 v35, -8, v35
	s_xor_b32 s22, exec_lo, -1
	s_waitcnt lgkmcnt(0)
	s_barrier
	buffer_gl0_inv
	s_branch .LBB1221_358
.LBB1221_369:
	s_or_b32 exec_lo, exec_lo, s21
	v_lshl_add_u32 v8, v21, 3, v12
	s_barrier
	buffer_gl0_inv
	ds_write_b64 v36, v[4:5]
	s_waitcnt lgkmcnt(0)
	s_barrier
	buffer_gl0_inv
	ds_read_b64 v[0:1], v8
	s_waitcnt lgkmcnt(0)
	s_barrier
	buffer_gl0_inv
	ds_write_b64 v36, v[13:14]
	s_waitcnt lgkmcnt(0)
	s_barrier
	buffer_gl0_inv
	ds_read_b64 v[4:5], v8
	s_mov_b32 s4, exec_lo
	s_waitcnt lgkmcnt(0)
	s_barrier
	buffer_gl0_inv
	v_cmpx_lt_u32_e64 v19, v119
	s_cbranch_execz .LBB1221_371
; %bb.370:
	v_mov_b32_e32 v20, 0
	v_add_co_u32 v2, vcc_lo, v2, v17
	v_add_co_ci_u32_e64 v3, null, v3, v18, vcc_lo
	v_lshlrev_b64 v[8:9], 3, v[19:20]
	v_cmp_lt_i64_e32 vcc_lo, -1, v[0:1]
	v_ashrrev_i32_e32 v11, 31, v1
	v_cndmask_b32_e64 v10, 0x80000000, -1, vcc_lo
	v_add_co_u32 v2, vcc_lo, v2, v8
	v_add_co_ci_u32_e64 v3, null, v3, v9, vcc_lo
	v_add_co_u32 v6, vcc_lo, v6, v17
	v_not_b32_e32 v11, v11
	v_add_co_ci_u32_e64 v7, null, v7, v18, vcc_lo
	v_add_co_u32 v6, vcc_lo, v6, v8
	v_xor_b32_e32 v1, v10, v1
	v_xor_b32_e32 v0, v11, v0
	v_add_co_ci_u32_e64 v7, null, v7, v9, vcc_lo
	flat_store_dwordx2 v[2:3], v[0:1]
	flat_store_dwordx2 v[6:7], v[4:5]
.LBB1221_371:
	s_or_b32 exec_lo, exec_lo, s4
.LBB1221_372:
	s_or_b32 exec_lo, exec_lo, s24
	s_clause 0x2a
	buffer_load_dword v122, off, s[0:3], s32
	buffer_load_dword v121, off, s[0:3], s32 offset:4
	buffer_load_dword v120, off, s[0:3], s32 offset:8
	;; [unrolled: 1-line block ×42, first 2 shown]
	s_waitcnt vmcnt(0) lgkmcnt(0)
	s_setpc_b64 s[30:31]
.Lfunc_end1221:
	.size	_ZN7rocprim17ROCPRIM_400000_NS6detail40segmented_radix_sort_single_block_helperIdlLj256ELj16ELb0EE4sortIPKdPdPKlPlEEbT_T0_T1_T2_jjjjRNS3_12storage_typeE, .Lfunc_end1221-_ZN7rocprim17ROCPRIM_400000_NS6detail40segmented_radix_sort_single_block_helperIdlLj256ELj16ELb0EE4sortIPKdPdPKlPlEEbT_T0_T1_T2_jjjjRNS3_12storage_typeE
                                        ; -- End function
	.set .L_ZN7rocprim17ROCPRIM_400000_NS6detail40segmented_radix_sort_single_block_helperIdlLj256ELj16ELb0EE4sortIPKdPdPKlPlEEbT_T0_T1_T2_jjjjRNS3_12storage_typeE.num_vgpr, 248
	.set .L_ZN7rocprim17ROCPRIM_400000_NS6detail40segmented_radix_sort_single_block_helperIdlLj256ELj16ELb0EE4sortIPKdPdPKlPlEEbT_T0_T1_T2_jjjjRNS3_12storage_typeE.num_agpr, 0
	.set .L_ZN7rocprim17ROCPRIM_400000_NS6detail40segmented_radix_sort_single_block_helperIdlLj256ELj16ELb0EE4sortIPKdPdPKlPlEEbT_T0_T1_T2_jjjjRNS3_12storage_typeE.numbered_sgpr, 33
	.set .L_ZN7rocprim17ROCPRIM_400000_NS6detail40segmented_radix_sort_single_block_helperIdlLj256ELj16ELb0EE4sortIPKdPdPKlPlEEbT_T0_T1_T2_jjjjRNS3_12storage_typeE.num_named_barrier, 0
	.set .L_ZN7rocprim17ROCPRIM_400000_NS6detail40segmented_radix_sort_single_block_helperIdlLj256ELj16ELb0EE4sortIPKdPdPKlPlEEbT_T0_T1_T2_jjjjRNS3_12storage_typeE.private_seg_size, 176
	.set .L_ZN7rocprim17ROCPRIM_400000_NS6detail40segmented_radix_sort_single_block_helperIdlLj256ELj16ELb0EE4sortIPKdPdPKlPlEEbT_T0_T1_T2_jjjjRNS3_12storage_typeE.uses_vcc, 1
	.set .L_ZN7rocprim17ROCPRIM_400000_NS6detail40segmented_radix_sort_single_block_helperIdlLj256ELj16ELb0EE4sortIPKdPdPKlPlEEbT_T0_T1_T2_jjjjRNS3_12storage_typeE.uses_flat_scratch, 0
	.set .L_ZN7rocprim17ROCPRIM_400000_NS6detail40segmented_radix_sort_single_block_helperIdlLj256ELj16ELb0EE4sortIPKdPdPKlPlEEbT_T0_T1_T2_jjjjRNS3_12storage_typeE.has_dyn_sized_stack, 0
	.set .L_ZN7rocprim17ROCPRIM_400000_NS6detail40segmented_radix_sort_single_block_helperIdlLj256ELj16ELb0EE4sortIPKdPdPKlPlEEbT_T0_T1_T2_jjjjRNS3_12storage_typeE.has_recursion, 0
	.set .L_ZN7rocprim17ROCPRIM_400000_NS6detail40segmented_radix_sort_single_block_helperIdlLj256ELj16ELb0EE4sortIPKdPdPKlPlEEbT_T0_T1_T2_jjjjRNS3_12storage_typeE.has_indirect_call, 0
	.section	.AMDGPU.csdata,"",@progbits
; Function info:
; codeLenInByte = 30420
; TotalNumSgprs: 35
; NumVgprs: 248
; ScratchSize: 176
; MemoryBound: 1
	.section	.text._ZN7rocprim17ROCPRIM_400000_NS6detail17trampoline_kernelINS0_14default_configENS1_36segmented_radix_sort_config_selectorIdlEEZNS1_25segmented_radix_sort_implIS3_Lb0EPKdPdPKlPlN2at6native12_GLOBAL__N_18offset_tEEE10hipError_tPvRmT1_PNSt15iterator_traitsISK_E10value_typeET2_T3_PNSL_ISQ_E10value_typeET4_jRbjT5_SW_jjP12ihipStream_tbEUlT_E_NS1_11comp_targetILNS1_3genE8ELNS1_11target_archE1030ELNS1_3gpuE2ELNS1_3repE0EEENS1_30default_config_static_selectorELNS0_4arch9wavefront6targetE0EEEvSK_,"axG",@progbits,_ZN7rocprim17ROCPRIM_400000_NS6detail17trampoline_kernelINS0_14default_configENS1_36segmented_radix_sort_config_selectorIdlEEZNS1_25segmented_radix_sort_implIS3_Lb0EPKdPdPKlPlN2at6native12_GLOBAL__N_18offset_tEEE10hipError_tPvRmT1_PNSt15iterator_traitsISK_E10value_typeET2_T3_PNSL_ISQ_E10value_typeET4_jRbjT5_SW_jjP12ihipStream_tbEUlT_E_NS1_11comp_targetILNS1_3genE8ELNS1_11target_archE1030ELNS1_3gpuE2ELNS1_3repE0EEENS1_30default_config_static_selectorELNS0_4arch9wavefront6targetE0EEEvSK_,comdat
	.globl	_ZN7rocprim17ROCPRIM_400000_NS6detail17trampoline_kernelINS0_14default_configENS1_36segmented_radix_sort_config_selectorIdlEEZNS1_25segmented_radix_sort_implIS3_Lb0EPKdPdPKlPlN2at6native12_GLOBAL__N_18offset_tEEE10hipError_tPvRmT1_PNSt15iterator_traitsISK_E10value_typeET2_T3_PNSL_ISQ_E10value_typeET4_jRbjT5_SW_jjP12ihipStream_tbEUlT_E_NS1_11comp_targetILNS1_3genE8ELNS1_11target_archE1030ELNS1_3gpuE2ELNS1_3repE0EEENS1_30default_config_static_selectorELNS0_4arch9wavefront6targetE0EEEvSK_ ; -- Begin function _ZN7rocprim17ROCPRIM_400000_NS6detail17trampoline_kernelINS0_14default_configENS1_36segmented_radix_sort_config_selectorIdlEEZNS1_25segmented_radix_sort_implIS3_Lb0EPKdPdPKlPlN2at6native12_GLOBAL__N_18offset_tEEE10hipError_tPvRmT1_PNSt15iterator_traitsISK_E10value_typeET2_T3_PNSL_ISQ_E10value_typeET4_jRbjT5_SW_jjP12ihipStream_tbEUlT_E_NS1_11comp_targetILNS1_3genE8ELNS1_11target_archE1030ELNS1_3gpuE2ELNS1_3repE0EEENS1_30default_config_static_selectorELNS0_4arch9wavefront6targetE0EEEvSK_
	.p2align	8
	.type	_ZN7rocprim17ROCPRIM_400000_NS6detail17trampoline_kernelINS0_14default_configENS1_36segmented_radix_sort_config_selectorIdlEEZNS1_25segmented_radix_sort_implIS3_Lb0EPKdPdPKlPlN2at6native12_GLOBAL__N_18offset_tEEE10hipError_tPvRmT1_PNSt15iterator_traitsISK_E10value_typeET2_T3_PNSL_ISQ_E10value_typeET4_jRbjT5_SW_jjP12ihipStream_tbEUlT_E_NS1_11comp_targetILNS1_3genE8ELNS1_11target_archE1030ELNS1_3gpuE2ELNS1_3repE0EEENS1_30default_config_static_selectorELNS0_4arch9wavefront6targetE0EEEvSK_,@function
_ZN7rocprim17ROCPRIM_400000_NS6detail17trampoline_kernelINS0_14default_configENS1_36segmented_radix_sort_config_selectorIdlEEZNS1_25segmented_radix_sort_implIS3_Lb0EPKdPdPKlPlN2at6native12_GLOBAL__N_18offset_tEEE10hipError_tPvRmT1_PNSt15iterator_traitsISK_E10value_typeET2_T3_PNSL_ISQ_E10value_typeET4_jRbjT5_SW_jjP12ihipStream_tbEUlT_E_NS1_11comp_targetILNS1_3genE8ELNS1_11target_archE1030ELNS1_3gpuE2ELNS1_3repE0EEENS1_30default_config_static_selectorELNS0_4arch9wavefront6targetE0EEEvSK_: ; @_ZN7rocprim17ROCPRIM_400000_NS6detail17trampoline_kernelINS0_14default_configENS1_36segmented_radix_sort_config_selectorIdlEEZNS1_25segmented_radix_sort_implIS3_Lb0EPKdPdPKlPlN2at6native12_GLOBAL__N_18offset_tEEE10hipError_tPvRmT1_PNSt15iterator_traitsISK_E10value_typeET2_T3_PNSL_ISQ_E10value_typeET4_jRbjT5_SW_jjP12ihipStream_tbEUlT_E_NS1_11comp_targetILNS1_3genE8ELNS1_11target_archE1030ELNS1_3gpuE2ELNS1_3repE0EEENS1_30default_config_static_selectorELNS0_4arch9wavefront6targetE0EEEvSK_
; %bb.0:
	s_load_dwordx2 s[12:13], s[4:5], 0x38
	s_mov_b32 s29, s7
	s_mov_b32 s7, 0
	s_add_u32 s0, s0, s8
	s_addc_u32 s1, s1, 0
	s_lshl_b64 s[14:15], s[6:7], 2
	s_load_dwordx4 s[8:11], s[4:5], 0x40
	s_mov_b32 s32, 0
	s_waitcnt lgkmcnt(0)
	s_add_u32 s12, s12, s14
	s_addc_u32 s13, s13, s15
	s_load_dword s7, s[12:13], 0x0
	s_waitcnt lgkmcnt(0)
	s_add_i32 s60, s7, s9
	s_add_i32 s61, s7, s11
	s_mul_i32 s60, s60, s8
	s_mul_i32 s61, s61, s10
	s_cmp_le_u32 s61, s60
	s_cbranch_scc1 .LBB1222_1190
; %bb.1:
	s_clause 0x3
	s_load_dword s7, s[4:5], 0x30
	s_load_dwordx4 s[48:51], s[4:5], 0x20
	s_load_dwordx4 s[52:55], s[4:5], 0x50
	s_load_dwordx8 s[40:47], s[4:5], 0x0
	s_waitcnt lgkmcnt(0)
	s_bitcmp1_b32 s7, 0
	s_mov_b32 s7, -1
	s_cselect_b32 s55, -1, 0
	s_sub_i32 s62, s61, s60
	s_cmpk_lt_u32 s62, 0x1001
	s_cbranch_scc0 .LBB1222_7
; %bb.2:
	v_cndmask_b32_e64 v3, 0, 1, s55
	s_and_b32 s7, s52, 1
	v_lshlrev_b32_e32 v41, 20, v2
	v_lshlrev_b32_e32 v42, 10, v1
	v_cmp_ne_u32_e32 vcc_lo, s7, v3
	s_mov_b32 s7, -1
	s_cbranch_vccnz .LBB1222_4
; %bb.3:
	s_mov_b64 s[10:11], src_shared_base
	v_or3_b32 v31, v0, v42, v41
	v_mov_b32_e32 v40, v0
	v_mov_b32_e32 v0, s40
	;; [unrolled: 1-line block ×17, first 2 shown]
	s_add_u32 s8, s4, 0x60
	s_addc_u32 s9, s5, 0
	s_getpc_b64 s[14:15]
	s_add_u32 s14, s14, _ZN7rocprim17ROCPRIM_400000_NS6detail40segmented_radix_sort_single_block_helperIdlLj256ELj16ELb0EE4sortIPKdPdPKlPlEEbT_T0_T1_T2_jjjjRNS3_12storage_typeE@rel32@lo+4
	s_addc_u32 s15, s15, _ZN7rocprim17ROCPRIM_400000_NS6detail40segmented_radix_sort_single_block_helperIdlLj256ELj16ELb0EE4sortIPKdPdPKlPlEEbT_T0_T1_T2_jjjjRNS3_12storage_typeE@rel32@hi+12
	s_mov_b32 s12, s6
	s_mov_b32 s13, s29
	;; [unrolled: 1-line block ×3, first 2 shown]
	s_mov_b64 s[36:37], s[4:5]
	s_swappc_b64 s[30:31], s[14:15]
	v_mov_b32_e32 v1, v43
	v_mov_b32_e32 v2, v44
	;; [unrolled: 1-line block ×3, first 2 shown]
	s_mov_b64 s[4:5], s[36:37]
	s_mov_b32 s6, s34
	s_mov_b32 s7, 0
.LBB1222_4:
	s_andn2_b32 vcc_lo, exec_lo, s7
	s_cbranch_vccnz .LBB1222_6
; %bb.5:
	s_mov_b64 s[10:11], src_shared_base
	v_or3_b32 v31, v0, v42, v41
	v_mov_b32_e32 v40, v0
	v_mov_b32_e32 v0, s40
	;; [unrolled: 1-line block ×17, first 2 shown]
	s_add_u32 s8, s4, 0x60
	s_addc_u32 s9, s5, 0
	s_getpc_b64 s[14:15]
	s_add_u32 s14, s14, _ZN7rocprim17ROCPRIM_400000_NS6detail40segmented_radix_sort_single_block_helperIdlLj256ELj16ELb0EE4sortIPKdPdPKlPlEEbT_T0_T1_T2_jjjjRNS3_12storage_typeE@rel32@lo+4
	s_addc_u32 s15, s15, _ZN7rocprim17ROCPRIM_400000_NS6detail40segmented_radix_sort_single_block_helperIdlLj256ELj16ELb0EE4sortIPKdPdPKlPlEEbT_T0_T1_T2_jjjjRNS3_12storage_typeE@rel32@hi+12
	s_mov_b32 s12, s6
	s_mov_b32 s13, s29
	;; [unrolled: 1-line block ×3, first 2 shown]
	s_mov_b64 s[36:37], s[4:5]
	s_swappc_b64 s[30:31], s[14:15]
	v_mov_b32_e32 v1, v41
	v_mov_b32_e32 v2, v42
	;; [unrolled: 1-line block ×3, first 2 shown]
	s_mov_b64 s[4:5], s[36:37]
	s_mov_b32 s6, s34
.LBB1222_6:
	s_mov_b32 s7, 0
.LBB1222_7:
	s_andn2_b32 vcc_lo, exec_lo, s7
	s_cbranch_vccnz .LBB1222_1190
; %bb.8:
	s_cmp_ge_u32 s53, s54
	s_cbranch_scc1 .LBB1222_1190
; %bb.9:
	v_and_b32_e32 v6, 0xe0, v0
	v_and_b32_e32 v5, 3, v0
	v_lshlrev_b32_e32 v75, 2, v0
	v_lshlrev_b32_e32 v3, 3, v0
	v_lshrrev_b32_e32 v8, 3, v0
	v_min_u32_e32 v7, 0x60, v6
	v_lshlrev_b32_e32 v93, 2, v5
	v_mad_u32_u24 v95, v0, 12, v75
	v_or_b32_e32 v76, 0x100, v0
	v_or_b32_e32 v79, 0x200, v0
	;; [unrolled: 1-line block ×3, first 2 shown]
	v_lshlrev_b32_e32 v7, 4, v0
	v_add_nc_u32_e32 v100, v95, v75
	v_or_b32_e32 v80, 0x300, v0
	v_or_b32_e32 v81, 0x400, v0
	v_cmp_eq_u32_e64 s8, v0, v5
	v_and_b32_e32 v99, 0xe00, v7
	v_or_b32_e32 v5, 31, v6
	v_sub_nc_u32_e32 v101, v100, v7
	v_or_b32_e32 v82, 0x500, v0
	v_and_b32_e32 v94, 28, v8
	v_lshlrev_b32_e32 v6, 3, v99
	s_add_u32 s58, s4, 0x60
	v_cmp_eq_u32_e64 s4, v0, v5
	v_add_nc_u32_e32 v5, 1, v0
	v_lshl_add_u32 v103, v0, 5, v101
	v_add_co_u32 v104, s13, s50, v6
	v_add_co_ci_u32_e64 v105, null, s51, 0, s13
	v_add_co_u32 v106, s13, s44, v6
	v_add_co_ci_u32_e64 v107, null, s45, 0, s13
	;; [unrolled: 2-line block ×6, first 2 shown]
	v_add_co_u32 v117, s13, s46, v6
	v_add_co_u32 v77, s7, s44, v3
	v_add_co_ci_u32_e64 v118, null, s47, 0, s13
	v_add_co_u32 v119, s13, s40, v6
	v_mov_b32_e32 v4, 0
	v_add_co_ci_u32_e64 v78, null, s45, 0, s7
	v_or_b32_e32 v83, 0x600, v0
	v_or_b32_e32 v84, 0x700, v0
	;; [unrolled: 1-line block ×10, first 2 shown]
	v_cmp_gt_u32_e64 s7, 0x80, v0
	v_or_b32_e32 v96, 0x8200, v94
	v_cmp_gt_u32_e64 s9, 4, v0
	v_add_nc_u32_e32 v97, 0x8200, v75
	v_cmp_lt_u32_e64 s10, 31, v0
	v_add_nc_u32_e32 v98, 0x81fc, v94
	s_addc_u32 s59, s5, 0
	v_cmp_gt_u32_e64 s5, 8, v0
	v_cmp_eq_u32_e64 s11, 0, v0
	v_mul_u32_u24_e32 v102, 36, v5
	v_cmp_ne_u32_e64 s12, 0x80, v5
	v_mad_i32_i24 v108, 0xffffffe4, v0, v103
	v_add_co_ci_u32_e64 v120, null, s41, 0, s13
	v_mov_b32_e32 v121, 1
	v_lshlrev_b32_e32 v122, 3, v0
	v_lshlrev_b32_e32 v123, 3, v76
	;; [unrolled: 1-line block ×6, first 2 shown]
	v_mbcnt_lo_u32_b32 v128, -1, 0
	v_mov_b32_e32 v5, -1
	v_bfrev_b32_e32 v6, -2
	s_mov_b32 s46, -1
	s_mov_b32 s57, 0
	s_mov_b32 s52, s53
	s_brev_b32 s47, -2
	s_mov_b32 s63, s53
	s_branch .LBB1222_12
.LBB1222_10:                            ;   in Loop: Header=BB1222_12 Depth=1
	s_waitcnt lgkmcnt(0)
	s_barrier
.LBB1222_11:                            ;   in Loop: Header=BB1222_12 Depth=1
	s_add_i32 s63, s63, 7
	buffer_gl0_inv
	s_cmp_ge_u32 s63, s54
	s_cbranch_scc1 .LBB1222_1190
.LBB1222_12:                            ; =>This Loop Header: Depth=1
                                        ;     Child Loop BB1222_16 Depth 2
                                        ;     Child Loop BB1222_96 Depth 2
	;; [unrolled: 1-line block ×8, first 2 shown]
	s_sub_i32 s13, s54, s63
	s_xor_b32 s55, s55, -1
	s_min_u32 s64, s13, 7
	s_cmp_lg_u32 s63, s53
	s_mov_b32 s13, s46
	ds_write2st64_b32 v75, v4, v4 offset1:4
	s_waitcnt lgkmcnt(0)
	s_waitcnt_vscnt null, 0x0
	s_cbranch_scc0 .LBB1222_602
; %bb.13:                               ;   in Loop: Header=BB1222_12 Depth=1
	s_lshl_b32 s13, -1, s64
	s_and_b32 vcc_lo, exec_lo, s55
	s_not_b32 s65, s13
	s_mov_b32 s13, -1
	s_cbranch_vccz .LBB1222_307
; %bb.14:                               ;   in Loop: Header=BB1222_12 Depth=1
	s_mov_b32 s13, s62
	s_mov_b32 s56, s60
	s_barrier
	buffer_gl0_inv
                                        ; implicit-def: $vgpr7_vgpr8
                                        ; implicit-def: $vgpr9_vgpr10
                                        ; implicit-def: $vgpr11_vgpr12
                                        ; implicit-def: $vgpr13_vgpr14
                                        ; implicit-def: $vgpr15_vgpr16
                                        ; implicit-def: $vgpr17_vgpr18
                                        ; implicit-def: $vgpr19_vgpr20
                                        ; implicit-def: $vgpr21_vgpr22
                                        ; implicit-def: $vgpr23_vgpr24
                                        ; implicit-def: $vgpr25_vgpr26
                                        ; implicit-def: $vgpr27_vgpr28
                                        ; implicit-def: $vgpr29_vgpr30
                                        ; implicit-def: $vgpr31_vgpr32
                                        ; implicit-def: $vgpr33_vgpr34
                                        ; implicit-def: $vgpr35_vgpr36
                                        ; implicit-def: $vgpr37_vgpr38
	s_branch .LBB1222_16
.LBB1222_15:                            ;   in Loop: Header=BB1222_16 Depth=2
	s_or_b32 exec_lo, exec_lo, s14
	s_addk_i32 s13, 0xf000
	s_cmp_ge_u32 s16, s61
	s_mov_b32 s56, s16
	s_cbranch_scc1 .LBB1222_84
.LBB1222_16:                            ;   Parent Loop BB1222_12 Depth=1
                                        ; =>  This Inner Loop Header: Depth=2
	s_add_i32 s16, s56, 0x1000
	s_mov_b32 s14, -1
	s_cmp_gt_u32 s16, s61
                                        ; implicit-def: $vgpr49_vgpr50
                                        ; implicit-def: $vgpr53_vgpr54
                                        ; implicit-def: $vgpr57_vgpr58
                                        ; implicit-def: $vgpr39_vgpr40
                                        ; implicit-def: $vgpr41_vgpr42
                                        ; implicit-def: $vgpr43_vgpr44
                                        ; implicit-def: $vgpr45_vgpr46
                                        ; implicit-def: $vgpr47_vgpr48
                                        ; implicit-def: $vgpr51_vgpr52
                                        ; implicit-def: $vgpr55_vgpr56
                                        ; implicit-def: $vgpr59_vgpr60
                                        ; implicit-def: $vgpr61_vgpr62
                                        ; implicit-def: $vgpr63_vgpr64
                                        ; implicit-def: $vgpr65_vgpr66
                                        ; implicit-def: $vgpr67_vgpr68
                                        ; implicit-def: $vgpr69_vgpr70
	s_cbranch_scc1 .LBB1222_18
; %bb.17:                               ;   in Loop: Header=BB1222_16 Depth=2
	s_lshl_b64 s[14:15], s[56:57], 3
	v_add_co_u32 v49, vcc_lo, v77, s14
	v_add_co_ci_u32_e64 v50, null, s15, v78, vcc_lo
	s_mov_b32 s14, 0
	v_add_co_u32 v57, vcc_lo, v49, 0x1000
	v_add_co_ci_u32_e64 v58, null, 0, v50, vcc_lo
	v_add_co_u32 v41, vcc_lo, v49, 0x2000
	v_add_co_ci_u32_e64 v42, null, 0, v50, vcc_lo
	;; [unrolled: 2-line block ×5, first 2 shown]
	s_clause 0x7
	global_load_dwordx2 v[39:40], v[41:42], off offset:-2048
	global_load_dwordx2 v[41:42], v[41:42], off
	global_load_dwordx2 v[43:44], v[45:46], off offset:-2048
	global_load_dwordx2 v[45:46], v[45:46], off
	;; [unrolled: 2-line block ×4, first 2 shown]
	v_add_co_u32 v53, vcc_lo, v49, 0x6000
	v_add_co_ci_u32_e64 v54, null, 0, v50, vcc_lo
	v_add_co_u32 v67, vcc_lo, v49, 0x7000
	v_add_co_ci_u32_e64 v68, null, 0, v50, vcc_lo
	;; [unrolled: 2-line block ×3, first 2 shown]
	s_clause 0x7
	global_load_dwordx2 v[61:62], v[53:54], off offset:-2048
	global_load_dwordx2 v[63:64], v[53:54], off
	global_load_dwordx2 v[65:66], v[67:68], off offset:-2048
	global_load_dwordx2 v[67:68], v[67:68], off
	global_load_dwordx2 v[49:50], v[49:50], off
	global_load_dwordx2 v[53:54], v[57:58], off offset:-2048
	global_load_dwordx2 v[57:58], v[57:58], off
	global_load_dwordx2 v[69:70], v[69:70], off
.LBB1222_18:                            ;   in Loop: Header=BB1222_16 Depth=2
	s_andn2_b32 vcc_lo, exec_lo, s14
	s_movk_i32 s14, 0x1000
	s_cbranch_vccnz .LBB1222_37
; %bb.19:                               ;   in Loop: Header=BB1222_16 Depth=2
	s_lshl_b64 s[14:15], s[56:57], 3
	s_mov_b32 s17, exec_lo
	s_add_u32 s14, s44, s14
	s_addc_u32 s15, s45, s15
	v_cmpx_gt_u32_e64 s13, v0
	s_cbranch_execnz .LBB1222_69
; %bb.20:                               ;   in Loop: Header=BB1222_16 Depth=2
	s_or_b32 exec_lo, exec_lo, s17
	s_mov_b32 s17, exec_lo
	v_cmpx_gt_u32_e64 s13, v76
	s_cbranch_execnz .LBB1222_70
.LBB1222_21:                            ;   in Loop: Header=BB1222_16 Depth=2
	s_or_b32 exec_lo, exec_lo, s17
	s_mov_b32 s17, exec_lo
	v_cmpx_gt_u32_e64 s13, v79
	s_cbranch_execnz .LBB1222_71
.LBB1222_22:                            ;   in Loop: Header=BB1222_16 Depth=2
	s_or_b32 exec_lo, exec_lo, s17
	s_mov_b32 s17, exec_lo
	v_cmpx_gt_u32_e64 s13, v80
	s_cbranch_execnz .LBB1222_72
.LBB1222_23:                            ;   in Loop: Header=BB1222_16 Depth=2
	s_or_b32 exec_lo, exec_lo, s17
	s_mov_b32 s17, exec_lo
	v_cmpx_gt_u32_e64 s13, v81
	s_cbranch_execnz .LBB1222_73
.LBB1222_24:                            ;   in Loop: Header=BB1222_16 Depth=2
	s_or_b32 exec_lo, exec_lo, s17
	s_mov_b32 s17, exec_lo
	v_cmpx_gt_u32_e64 s13, v82
	s_cbranch_execnz .LBB1222_74
.LBB1222_25:                            ;   in Loop: Header=BB1222_16 Depth=2
	s_or_b32 exec_lo, exec_lo, s17
	s_mov_b32 s17, exec_lo
	v_cmpx_gt_u32_e64 s13, v83
	s_cbranch_execnz .LBB1222_75
.LBB1222_26:                            ;   in Loop: Header=BB1222_16 Depth=2
	s_or_b32 exec_lo, exec_lo, s17
	s_mov_b32 s17, exec_lo
	v_cmpx_gt_u32_e64 s13, v84
	s_cbranch_execnz .LBB1222_76
.LBB1222_27:                            ;   in Loop: Header=BB1222_16 Depth=2
	s_or_b32 exec_lo, exec_lo, s17
	s_mov_b32 s17, exec_lo
	v_cmpx_gt_u32_e64 s13, v85
	s_cbranch_execnz .LBB1222_77
.LBB1222_28:                            ;   in Loop: Header=BB1222_16 Depth=2
	s_or_b32 exec_lo, exec_lo, s17
	s_mov_b32 s17, exec_lo
	v_cmpx_gt_u32_e64 s13, v86
	s_cbranch_execnz .LBB1222_78
.LBB1222_29:                            ;   in Loop: Header=BB1222_16 Depth=2
	s_or_b32 exec_lo, exec_lo, s17
	s_mov_b32 s17, exec_lo
	v_cmpx_gt_u32_e64 s13, v87
	s_cbranch_execnz .LBB1222_79
.LBB1222_30:                            ;   in Loop: Header=BB1222_16 Depth=2
	s_or_b32 exec_lo, exec_lo, s17
	s_mov_b32 s17, exec_lo
	v_cmpx_gt_u32_e64 s13, v88
	s_cbranch_execnz .LBB1222_80
.LBB1222_31:                            ;   in Loop: Header=BB1222_16 Depth=2
	s_or_b32 exec_lo, exec_lo, s17
	s_mov_b32 s17, exec_lo
	v_cmpx_gt_u32_e64 s13, v89
	s_cbranch_execnz .LBB1222_81
.LBB1222_32:                            ;   in Loop: Header=BB1222_16 Depth=2
	s_or_b32 exec_lo, exec_lo, s17
	s_mov_b32 s17, exec_lo
	v_cmpx_gt_u32_e64 s13, v90
	s_cbranch_execnz .LBB1222_82
.LBB1222_33:                            ;   in Loop: Header=BB1222_16 Depth=2
	s_or_b32 exec_lo, exec_lo, s17
	s_mov_b32 s17, exec_lo
	v_cmpx_gt_u32_e64 s13, v91
	s_cbranch_execnz .LBB1222_83
.LBB1222_34:                            ;   in Loop: Header=BB1222_16 Depth=2
	s_or_b32 exec_lo, exec_lo, s17
	s_mov_b32 s17, exec_lo
	v_cmpx_gt_u32_e64 s13, v92
	s_cbranch_execz .LBB1222_36
.LBB1222_35:                            ;   in Loop: Header=BB1222_16 Depth=2
	v_lshlrev_b32_e32 v3, 3, v92
	global_load_dwordx2 v[7:8], v3, s[14:15]
.LBB1222_36:                            ;   in Loop: Header=BB1222_16 Depth=2
	s_or_b32 exec_lo, exec_lo, s17
	s_waitcnt vmcnt(0)
	v_mov_b32_e32 v50, v38
	v_mov_b32_e32 v54, v36
	;; [unrolled: 1-line block ×32, first 2 shown]
	s_mov_b32 s14, s13
.LBB1222_37:                            ;   in Loop: Header=BB1222_16 Depth=2
	s_waitcnt vmcnt(0)
	v_mov_b32_e32 v7, v69
	v_mov_b32_e32 v9, v67
	;; [unrolled: 1-line block ×32, first 2 shown]
	s_mov_b32 s15, exec_lo
	v_cmpx_gt_u32_e64 s14, v0
	s_cbranch_execnz .LBB1222_53
; %bb.38:                               ;   in Loop: Header=BB1222_16 Depth=2
	s_or_b32 exec_lo, exec_lo, s15
	s_mov_b32 s15, exec_lo
	v_cmpx_gt_u32_e64 s14, v76
	s_cbranch_execnz .LBB1222_54
.LBB1222_39:                            ;   in Loop: Header=BB1222_16 Depth=2
	s_or_b32 exec_lo, exec_lo, s15
	s_mov_b32 s15, exec_lo
	v_cmpx_gt_u32_e64 s14, v79
	s_cbranch_execnz .LBB1222_55
.LBB1222_40:                            ;   in Loop: Header=BB1222_16 Depth=2
	s_or_b32 exec_lo, exec_lo, s15
	s_mov_b32 s15, exec_lo
	v_cmpx_gt_u32_e64 s14, v80
	s_cbranch_execnz .LBB1222_56
.LBB1222_41:                            ;   in Loop: Header=BB1222_16 Depth=2
	s_or_b32 exec_lo, exec_lo, s15
	s_mov_b32 s15, exec_lo
	v_cmpx_gt_u32_e64 s14, v81
	s_cbranch_execnz .LBB1222_57
.LBB1222_42:                            ;   in Loop: Header=BB1222_16 Depth=2
	s_or_b32 exec_lo, exec_lo, s15
	s_mov_b32 s15, exec_lo
	v_cmpx_gt_u32_e64 s14, v82
	s_cbranch_execnz .LBB1222_58
.LBB1222_43:                            ;   in Loop: Header=BB1222_16 Depth=2
	s_or_b32 exec_lo, exec_lo, s15
	s_mov_b32 s15, exec_lo
	v_cmpx_gt_u32_e64 s14, v83
	s_cbranch_execnz .LBB1222_59
.LBB1222_44:                            ;   in Loop: Header=BB1222_16 Depth=2
	s_or_b32 exec_lo, exec_lo, s15
	s_mov_b32 s15, exec_lo
	v_cmpx_gt_u32_e64 s14, v84
	s_cbranch_execnz .LBB1222_60
.LBB1222_45:                            ;   in Loop: Header=BB1222_16 Depth=2
	s_or_b32 exec_lo, exec_lo, s15
	s_mov_b32 s15, exec_lo
	v_cmpx_gt_u32_e64 s14, v85
	s_cbranch_execnz .LBB1222_61
.LBB1222_46:                            ;   in Loop: Header=BB1222_16 Depth=2
	s_or_b32 exec_lo, exec_lo, s15
	s_mov_b32 s15, exec_lo
	v_cmpx_gt_u32_e64 s14, v86
	s_cbranch_execnz .LBB1222_62
.LBB1222_47:                            ;   in Loop: Header=BB1222_16 Depth=2
	s_or_b32 exec_lo, exec_lo, s15
	s_mov_b32 s15, exec_lo
	v_cmpx_gt_u32_e64 s14, v87
	s_cbranch_execnz .LBB1222_63
.LBB1222_48:                            ;   in Loop: Header=BB1222_16 Depth=2
	s_or_b32 exec_lo, exec_lo, s15
	s_mov_b32 s15, exec_lo
	v_cmpx_gt_u32_e64 s14, v88
	s_cbranch_execnz .LBB1222_64
.LBB1222_49:                            ;   in Loop: Header=BB1222_16 Depth=2
	s_or_b32 exec_lo, exec_lo, s15
	s_mov_b32 s15, exec_lo
	v_cmpx_gt_u32_e64 s14, v89
	s_cbranch_execnz .LBB1222_65
.LBB1222_50:                            ;   in Loop: Header=BB1222_16 Depth=2
	s_or_b32 exec_lo, exec_lo, s15
	s_mov_b32 s15, exec_lo
	v_cmpx_gt_u32_e64 s14, v90
	s_cbranch_execnz .LBB1222_66
.LBB1222_51:                            ;   in Loop: Header=BB1222_16 Depth=2
	s_or_b32 exec_lo, exec_lo, s15
	s_mov_b32 s15, exec_lo
	v_cmpx_gt_u32_e64 s14, v91
	s_cbranch_execnz .LBB1222_67
.LBB1222_52:                            ;   in Loop: Header=BB1222_16 Depth=2
	s_or_b32 exec_lo, exec_lo, s15
	v_cmp_gt_u32_e32 vcc_lo, s14, v92
	s_and_saveexec_b32 s14, vcc_lo
	s_cbranch_execz .LBB1222_15
	s_branch .LBB1222_68
.LBB1222_53:                            ;   in Loop: Header=BB1222_16 Depth=2
	v_cmp_lt_i64_e32 vcc_lo, -1, v[37:38]
	v_ashrrev_i32_e32 v39, 31, v38
	v_xor_b32_e32 v39, v39, v37
	v_cndmask_b32_e64 v3, -1, 0x80000000, vcc_lo
	v_xor_b32_e32 v40, v3, v38
	v_cmp_ne_u64_e32 vcc_lo, s[46:47], v[39:40]
	v_cndmask_b32_e32 v40, 0x80000000, v40, vcc_lo
	v_cndmask_b32_e32 v39, 0, v39, vcc_lo
	v_lshrrev_b64 v[39:40], s63, v[39:40]
	v_and_b32_e32 v3, s65, v39
	v_lshl_or_b32 v3, v3, 4, v93
	ds_add_u32 v3, v121
	s_or_b32 exec_lo, exec_lo, s15
	s_mov_b32 s15, exec_lo
	v_cmpx_gt_u32_e64 s14, v76
	s_cbranch_execz .LBB1222_39
.LBB1222_54:                            ;   in Loop: Header=BB1222_16 Depth=2
	v_cmp_lt_i64_e32 vcc_lo, -1, v[35:36]
	v_ashrrev_i32_e32 v39, 31, v36
	v_xor_b32_e32 v39, v39, v35
	v_cndmask_b32_e64 v3, -1, 0x80000000, vcc_lo
	v_xor_b32_e32 v40, v3, v36
	v_cmp_ne_u64_e32 vcc_lo, s[46:47], v[39:40]
	v_cndmask_b32_e32 v40, 0x80000000, v40, vcc_lo
	v_cndmask_b32_e32 v39, 0, v39, vcc_lo
	v_lshrrev_b64 v[39:40], s63, v[39:40]
	v_and_b32_e32 v3, s65, v39
	v_lshl_or_b32 v3, v3, 4, v93
	ds_add_u32 v3, v121
	s_or_b32 exec_lo, exec_lo, s15
	s_mov_b32 s15, exec_lo
	v_cmpx_gt_u32_e64 s14, v79
	s_cbranch_execz .LBB1222_40
.LBB1222_55:                            ;   in Loop: Header=BB1222_16 Depth=2
	v_cmp_lt_i64_e32 vcc_lo, -1, v[33:34]
	v_ashrrev_i32_e32 v39, 31, v34
	v_xor_b32_e32 v39, v39, v33
	v_cndmask_b32_e64 v3, -1, 0x80000000, vcc_lo
	v_xor_b32_e32 v40, v3, v34
	v_cmp_ne_u64_e32 vcc_lo, s[46:47], v[39:40]
	v_cndmask_b32_e32 v40, 0x80000000, v40, vcc_lo
	v_cndmask_b32_e32 v39, 0, v39, vcc_lo
	v_lshrrev_b64 v[39:40], s63, v[39:40]
	v_and_b32_e32 v3, s65, v39
	v_lshl_or_b32 v3, v3, 4, v93
	ds_add_u32 v3, v121
	s_or_b32 exec_lo, exec_lo, s15
	s_mov_b32 s15, exec_lo
	v_cmpx_gt_u32_e64 s14, v80
	s_cbranch_execz .LBB1222_41
.LBB1222_56:                            ;   in Loop: Header=BB1222_16 Depth=2
	v_cmp_lt_i64_e32 vcc_lo, -1, v[31:32]
	v_ashrrev_i32_e32 v39, 31, v32
	v_xor_b32_e32 v39, v39, v31
	v_cndmask_b32_e64 v3, -1, 0x80000000, vcc_lo
	v_xor_b32_e32 v40, v3, v32
	v_cmp_ne_u64_e32 vcc_lo, s[46:47], v[39:40]
	v_cndmask_b32_e32 v40, 0x80000000, v40, vcc_lo
	v_cndmask_b32_e32 v39, 0, v39, vcc_lo
	v_lshrrev_b64 v[39:40], s63, v[39:40]
	v_and_b32_e32 v3, s65, v39
	v_lshl_or_b32 v3, v3, 4, v93
	ds_add_u32 v3, v121
	s_or_b32 exec_lo, exec_lo, s15
	s_mov_b32 s15, exec_lo
	v_cmpx_gt_u32_e64 s14, v81
	s_cbranch_execz .LBB1222_42
.LBB1222_57:                            ;   in Loop: Header=BB1222_16 Depth=2
	v_cmp_lt_i64_e32 vcc_lo, -1, v[29:30]
	v_ashrrev_i32_e32 v39, 31, v30
	v_xor_b32_e32 v39, v39, v29
	v_cndmask_b32_e64 v3, -1, 0x80000000, vcc_lo
	v_xor_b32_e32 v40, v3, v30
	v_cmp_ne_u64_e32 vcc_lo, s[46:47], v[39:40]
	v_cndmask_b32_e32 v40, 0x80000000, v40, vcc_lo
	v_cndmask_b32_e32 v39, 0, v39, vcc_lo
	v_lshrrev_b64 v[39:40], s63, v[39:40]
	v_and_b32_e32 v3, s65, v39
	v_lshl_or_b32 v3, v3, 4, v93
	ds_add_u32 v3, v121
	s_or_b32 exec_lo, exec_lo, s15
	s_mov_b32 s15, exec_lo
	v_cmpx_gt_u32_e64 s14, v82
	s_cbranch_execz .LBB1222_43
.LBB1222_58:                            ;   in Loop: Header=BB1222_16 Depth=2
	v_cmp_lt_i64_e32 vcc_lo, -1, v[27:28]
	v_ashrrev_i32_e32 v39, 31, v28
	v_xor_b32_e32 v39, v39, v27
	v_cndmask_b32_e64 v3, -1, 0x80000000, vcc_lo
	v_xor_b32_e32 v40, v3, v28
	v_cmp_ne_u64_e32 vcc_lo, s[46:47], v[39:40]
	v_cndmask_b32_e32 v40, 0x80000000, v40, vcc_lo
	v_cndmask_b32_e32 v39, 0, v39, vcc_lo
	v_lshrrev_b64 v[39:40], s63, v[39:40]
	v_and_b32_e32 v3, s65, v39
	v_lshl_or_b32 v3, v3, 4, v93
	ds_add_u32 v3, v121
	s_or_b32 exec_lo, exec_lo, s15
	s_mov_b32 s15, exec_lo
	v_cmpx_gt_u32_e64 s14, v83
	s_cbranch_execz .LBB1222_44
.LBB1222_59:                            ;   in Loop: Header=BB1222_16 Depth=2
	v_cmp_lt_i64_e32 vcc_lo, -1, v[25:26]
	v_ashrrev_i32_e32 v39, 31, v26
	v_xor_b32_e32 v39, v39, v25
	v_cndmask_b32_e64 v3, -1, 0x80000000, vcc_lo
	v_xor_b32_e32 v40, v3, v26
	v_cmp_ne_u64_e32 vcc_lo, s[46:47], v[39:40]
	v_cndmask_b32_e32 v40, 0x80000000, v40, vcc_lo
	v_cndmask_b32_e32 v39, 0, v39, vcc_lo
	v_lshrrev_b64 v[39:40], s63, v[39:40]
	v_and_b32_e32 v3, s65, v39
	v_lshl_or_b32 v3, v3, 4, v93
	ds_add_u32 v3, v121
	s_or_b32 exec_lo, exec_lo, s15
	s_mov_b32 s15, exec_lo
	v_cmpx_gt_u32_e64 s14, v84
	s_cbranch_execz .LBB1222_45
.LBB1222_60:                            ;   in Loop: Header=BB1222_16 Depth=2
	v_cmp_lt_i64_e32 vcc_lo, -1, v[23:24]
	v_ashrrev_i32_e32 v39, 31, v24
	v_xor_b32_e32 v39, v39, v23
	v_cndmask_b32_e64 v3, -1, 0x80000000, vcc_lo
	v_xor_b32_e32 v40, v3, v24
	v_cmp_ne_u64_e32 vcc_lo, s[46:47], v[39:40]
	v_cndmask_b32_e32 v40, 0x80000000, v40, vcc_lo
	v_cndmask_b32_e32 v39, 0, v39, vcc_lo
	v_lshrrev_b64 v[39:40], s63, v[39:40]
	v_and_b32_e32 v3, s65, v39
	v_lshl_or_b32 v3, v3, 4, v93
	ds_add_u32 v3, v121
	s_or_b32 exec_lo, exec_lo, s15
	s_mov_b32 s15, exec_lo
	v_cmpx_gt_u32_e64 s14, v85
	s_cbranch_execz .LBB1222_46
.LBB1222_61:                            ;   in Loop: Header=BB1222_16 Depth=2
	v_cmp_lt_i64_e32 vcc_lo, -1, v[21:22]
	v_ashrrev_i32_e32 v39, 31, v22
	v_xor_b32_e32 v39, v39, v21
	v_cndmask_b32_e64 v3, -1, 0x80000000, vcc_lo
	v_xor_b32_e32 v40, v3, v22
	v_cmp_ne_u64_e32 vcc_lo, s[46:47], v[39:40]
	v_cndmask_b32_e32 v40, 0x80000000, v40, vcc_lo
	v_cndmask_b32_e32 v39, 0, v39, vcc_lo
	v_lshrrev_b64 v[39:40], s63, v[39:40]
	v_and_b32_e32 v3, s65, v39
	v_lshl_or_b32 v3, v3, 4, v93
	ds_add_u32 v3, v121
	s_or_b32 exec_lo, exec_lo, s15
	s_mov_b32 s15, exec_lo
	v_cmpx_gt_u32_e64 s14, v86
	s_cbranch_execz .LBB1222_47
.LBB1222_62:                            ;   in Loop: Header=BB1222_16 Depth=2
	v_cmp_lt_i64_e32 vcc_lo, -1, v[19:20]
	v_ashrrev_i32_e32 v39, 31, v20
	v_xor_b32_e32 v39, v39, v19
	v_cndmask_b32_e64 v3, -1, 0x80000000, vcc_lo
	v_xor_b32_e32 v40, v3, v20
	v_cmp_ne_u64_e32 vcc_lo, s[46:47], v[39:40]
	v_cndmask_b32_e32 v40, 0x80000000, v40, vcc_lo
	v_cndmask_b32_e32 v39, 0, v39, vcc_lo
	v_lshrrev_b64 v[39:40], s63, v[39:40]
	v_and_b32_e32 v3, s65, v39
	v_lshl_or_b32 v3, v3, 4, v93
	ds_add_u32 v3, v121
	s_or_b32 exec_lo, exec_lo, s15
	s_mov_b32 s15, exec_lo
	v_cmpx_gt_u32_e64 s14, v87
	s_cbranch_execz .LBB1222_48
.LBB1222_63:                            ;   in Loop: Header=BB1222_16 Depth=2
	v_cmp_lt_i64_e32 vcc_lo, -1, v[17:18]
	v_ashrrev_i32_e32 v39, 31, v18
	v_xor_b32_e32 v39, v39, v17
	v_cndmask_b32_e64 v3, -1, 0x80000000, vcc_lo
	v_xor_b32_e32 v40, v3, v18
	v_cmp_ne_u64_e32 vcc_lo, s[46:47], v[39:40]
	v_cndmask_b32_e32 v40, 0x80000000, v40, vcc_lo
	v_cndmask_b32_e32 v39, 0, v39, vcc_lo
	v_lshrrev_b64 v[39:40], s63, v[39:40]
	v_and_b32_e32 v3, s65, v39
	v_lshl_or_b32 v3, v3, 4, v93
	ds_add_u32 v3, v121
	s_or_b32 exec_lo, exec_lo, s15
	s_mov_b32 s15, exec_lo
	v_cmpx_gt_u32_e64 s14, v88
	s_cbranch_execz .LBB1222_49
.LBB1222_64:                            ;   in Loop: Header=BB1222_16 Depth=2
	v_cmp_lt_i64_e32 vcc_lo, -1, v[15:16]
	v_ashrrev_i32_e32 v39, 31, v16
	v_xor_b32_e32 v39, v39, v15
	v_cndmask_b32_e64 v3, -1, 0x80000000, vcc_lo
	v_xor_b32_e32 v40, v3, v16
	v_cmp_ne_u64_e32 vcc_lo, s[46:47], v[39:40]
	v_cndmask_b32_e32 v40, 0x80000000, v40, vcc_lo
	v_cndmask_b32_e32 v39, 0, v39, vcc_lo
	v_lshrrev_b64 v[39:40], s63, v[39:40]
	v_and_b32_e32 v3, s65, v39
	v_lshl_or_b32 v3, v3, 4, v93
	ds_add_u32 v3, v121
	s_or_b32 exec_lo, exec_lo, s15
	s_mov_b32 s15, exec_lo
	v_cmpx_gt_u32_e64 s14, v89
	s_cbranch_execz .LBB1222_50
.LBB1222_65:                            ;   in Loop: Header=BB1222_16 Depth=2
	v_cmp_lt_i64_e32 vcc_lo, -1, v[13:14]
	v_ashrrev_i32_e32 v39, 31, v14
	v_xor_b32_e32 v39, v39, v13
	v_cndmask_b32_e64 v3, -1, 0x80000000, vcc_lo
	v_xor_b32_e32 v40, v3, v14
	v_cmp_ne_u64_e32 vcc_lo, s[46:47], v[39:40]
	v_cndmask_b32_e32 v40, 0x80000000, v40, vcc_lo
	v_cndmask_b32_e32 v39, 0, v39, vcc_lo
	v_lshrrev_b64 v[39:40], s63, v[39:40]
	v_and_b32_e32 v3, s65, v39
	v_lshl_or_b32 v3, v3, 4, v93
	ds_add_u32 v3, v121
	s_or_b32 exec_lo, exec_lo, s15
	s_mov_b32 s15, exec_lo
	v_cmpx_gt_u32_e64 s14, v90
	s_cbranch_execz .LBB1222_51
.LBB1222_66:                            ;   in Loop: Header=BB1222_16 Depth=2
	v_cmp_lt_i64_e32 vcc_lo, -1, v[11:12]
	v_ashrrev_i32_e32 v39, 31, v12
	v_xor_b32_e32 v39, v39, v11
	v_cndmask_b32_e64 v3, -1, 0x80000000, vcc_lo
	v_xor_b32_e32 v40, v3, v12
	v_cmp_ne_u64_e32 vcc_lo, s[46:47], v[39:40]
	v_cndmask_b32_e32 v40, 0x80000000, v40, vcc_lo
	v_cndmask_b32_e32 v39, 0, v39, vcc_lo
	v_lshrrev_b64 v[39:40], s63, v[39:40]
	v_and_b32_e32 v3, s65, v39
	v_lshl_or_b32 v3, v3, 4, v93
	ds_add_u32 v3, v121
	s_or_b32 exec_lo, exec_lo, s15
	s_mov_b32 s15, exec_lo
	v_cmpx_gt_u32_e64 s14, v91
	s_cbranch_execz .LBB1222_52
.LBB1222_67:                            ;   in Loop: Header=BB1222_16 Depth=2
	v_cmp_lt_i64_e32 vcc_lo, -1, v[9:10]
	v_ashrrev_i32_e32 v39, 31, v10
	v_xor_b32_e32 v39, v39, v9
	v_cndmask_b32_e64 v3, -1, 0x80000000, vcc_lo
	v_xor_b32_e32 v40, v3, v10
	v_cmp_ne_u64_e32 vcc_lo, s[46:47], v[39:40]
	v_cndmask_b32_e32 v40, 0x80000000, v40, vcc_lo
	v_cndmask_b32_e32 v39, 0, v39, vcc_lo
	v_lshrrev_b64 v[39:40], s63, v[39:40]
	v_and_b32_e32 v3, s65, v39
	v_lshl_or_b32 v3, v3, 4, v93
	ds_add_u32 v3, v121
	s_or_b32 exec_lo, exec_lo, s15
	v_cmp_gt_u32_e32 vcc_lo, s14, v92
	s_and_saveexec_b32 s14, vcc_lo
	s_cbranch_execz .LBB1222_15
.LBB1222_68:                            ;   in Loop: Header=BB1222_16 Depth=2
	v_cmp_lt_i64_e32 vcc_lo, -1, v[7:8]
	v_ashrrev_i32_e32 v39, 31, v8
	v_xor_b32_e32 v39, v39, v7
	v_cndmask_b32_e64 v3, -1, 0x80000000, vcc_lo
	v_xor_b32_e32 v40, v3, v8
	v_cmp_ne_u64_e32 vcc_lo, s[46:47], v[39:40]
	v_cndmask_b32_e32 v40, 0x80000000, v40, vcc_lo
	v_cndmask_b32_e32 v39, 0, v39, vcc_lo
	v_lshrrev_b64 v[39:40], s63, v[39:40]
	v_and_b32_e32 v3, s65, v39
	v_lshl_or_b32 v3, v3, 4, v93
	ds_add_u32 v3, v121
	s_branch .LBB1222_15
.LBB1222_69:                            ;   in Loop: Header=BB1222_16 Depth=2
	global_load_dwordx2 v[37:38], v122, s[14:15]
	s_or_b32 exec_lo, exec_lo, s17
	s_mov_b32 s17, exec_lo
	v_cmpx_gt_u32_e64 s13, v76
	s_cbranch_execz .LBB1222_21
.LBB1222_70:                            ;   in Loop: Header=BB1222_16 Depth=2
	global_load_dwordx2 v[35:36], v123, s[14:15]
	s_or_b32 exec_lo, exec_lo, s17
	s_mov_b32 s17, exec_lo
	v_cmpx_gt_u32_e64 s13, v79
	s_cbranch_execz .LBB1222_22
.LBB1222_71:                            ;   in Loop: Header=BB1222_16 Depth=2
	global_load_dwordx2 v[33:34], v124, s[14:15]
	s_or_b32 exec_lo, exec_lo, s17
	s_mov_b32 s17, exec_lo
	v_cmpx_gt_u32_e64 s13, v80
	s_cbranch_execz .LBB1222_23
.LBB1222_72:                            ;   in Loop: Header=BB1222_16 Depth=2
	global_load_dwordx2 v[31:32], v125, s[14:15]
	s_or_b32 exec_lo, exec_lo, s17
	s_mov_b32 s17, exec_lo
	v_cmpx_gt_u32_e64 s13, v81
	s_cbranch_execz .LBB1222_24
.LBB1222_73:                            ;   in Loop: Header=BB1222_16 Depth=2
	global_load_dwordx2 v[29:30], v126, s[14:15]
	s_or_b32 exec_lo, exec_lo, s17
	s_mov_b32 s17, exec_lo
	v_cmpx_gt_u32_e64 s13, v82
	s_cbranch_execz .LBB1222_25
.LBB1222_74:                            ;   in Loop: Header=BB1222_16 Depth=2
	global_load_dwordx2 v[27:28], v127, s[14:15]
	s_or_b32 exec_lo, exec_lo, s17
	s_mov_b32 s17, exec_lo
	v_cmpx_gt_u32_e64 s13, v83
	s_cbranch_execz .LBB1222_26
.LBB1222_75:                            ;   in Loop: Header=BB1222_16 Depth=2
	v_lshlrev_b32_e32 v3, 3, v83
	global_load_dwordx2 v[25:26], v3, s[14:15]
	s_or_b32 exec_lo, exec_lo, s17
	s_mov_b32 s17, exec_lo
	v_cmpx_gt_u32_e64 s13, v84
	s_cbranch_execz .LBB1222_27
.LBB1222_76:                            ;   in Loop: Header=BB1222_16 Depth=2
	v_lshlrev_b32_e32 v3, 3, v84
	global_load_dwordx2 v[23:24], v3, s[14:15]
	s_or_b32 exec_lo, exec_lo, s17
	s_mov_b32 s17, exec_lo
	v_cmpx_gt_u32_e64 s13, v85
	s_cbranch_execz .LBB1222_28
.LBB1222_77:                            ;   in Loop: Header=BB1222_16 Depth=2
	v_lshlrev_b32_e32 v3, 3, v85
	global_load_dwordx2 v[21:22], v3, s[14:15]
	s_or_b32 exec_lo, exec_lo, s17
	s_mov_b32 s17, exec_lo
	v_cmpx_gt_u32_e64 s13, v86
	s_cbranch_execz .LBB1222_29
.LBB1222_78:                            ;   in Loop: Header=BB1222_16 Depth=2
	v_lshlrev_b32_e32 v3, 3, v86
	global_load_dwordx2 v[19:20], v3, s[14:15]
	s_or_b32 exec_lo, exec_lo, s17
	s_mov_b32 s17, exec_lo
	v_cmpx_gt_u32_e64 s13, v87
	s_cbranch_execz .LBB1222_30
.LBB1222_79:                            ;   in Loop: Header=BB1222_16 Depth=2
	v_lshlrev_b32_e32 v3, 3, v87
	global_load_dwordx2 v[17:18], v3, s[14:15]
	s_or_b32 exec_lo, exec_lo, s17
	s_mov_b32 s17, exec_lo
	v_cmpx_gt_u32_e64 s13, v88
	s_cbranch_execz .LBB1222_31
.LBB1222_80:                            ;   in Loop: Header=BB1222_16 Depth=2
	v_lshlrev_b32_e32 v3, 3, v88
	global_load_dwordx2 v[15:16], v3, s[14:15]
	s_or_b32 exec_lo, exec_lo, s17
	s_mov_b32 s17, exec_lo
	v_cmpx_gt_u32_e64 s13, v89
	s_cbranch_execz .LBB1222_32
.LBB1222_81:                            ;   in Loop: Header=BB1222_16 Depth=2
	v_lshlrev_b32_e32 v3, 3, v89
	global_load_dwordx2 v[13:14], v3, s[14:15]
	s_or_b32 exec_lo, exec_lo, s17
	s_mov_b32 s17, exec_lo
	v_cmpx_gt_u32_e64 s13, v90
	s_cbranch_execz .LBB1222_33
.LBB1222_82:                            ;   in Loop: Header=BB1222_16 Depth=2
	v_lshlrev_b32_e32 v3, 3, v90
	global_load_dwordx2 v[11:12], v3, s[14:15]
	s_or_b32 exec_lo, exec_lo, s17
	s_mov_b32 s17, exec_lo
	v_cmpx_gt_u32_e64 s13, v91
	s_cbranch_execz .LBB1222_34
.LBB1222_83:                            ;   in Loop: Header=BB1222_16 Depth=2
	v_lshlrev_b32_e32 v3, 3, v91
	global_load_dwordx2 v[9:10], v3, s[14:15]
	s_or_b32 exec_lo, exec_lo, s17
	s_mov_b32 s17, exec_lo
	v_cmpx_gt_u32_e64 s13, v92
	s_cbranch_execnz .LBB1222_35
	s_branch .LBB1222_36
.LBB1222_84:                            ;   in Loop: Header=BB1222_12 Depth=1
	v_mov_b32_e32 v3, 0
	s_waitcnt lgkmcnt(0)
	s_barrier
	buffer_gl0_inv
	s_and_saveexec_b32 s13, s7
	s_cbranch_execz .LBB1222_86
; %bb.85:                               ;   in Loop: Header=BB1222_12 Depth=1
	ds_read2_b64 v[7:10], v95 offset1:1
	s_waitcnt lgkmcnt(0)
	v_add_nc_u32_e32 v3, v8, v7
	v_add3_u32 v3, v3, v9, v10
.LBB1222_86:                            ;   in Loop: Header=BB1222_12 Depth=1
	s_or_b32 exec_lo, exec_lo, s13
	v_and_b32_e32 v7, 15, v128
	v_mov_b32_dpp v8, v3 row_shr:1 row_mask:0xf bank_mask:0xf
	v_and_b32_e32 v9, 16, v128
	v_cmp_eq_u32_e64 s13, 0, v7
	v_cmp_lt_u32_e64 s14, 1, v7
	v_cmp_lt_u32_e64 s15, 3, v7
	;; [unrolled: 1-line block ×3, first 2 shown]
	v_cmp_eq_u32_e64 s17, 0, v9
	v_cndmask_b32_e64 v8, v8, 0, s13
	v_add_nc_u32_e32 v3, v8, v3
	v_mov_b32_dpp v8, v3 row_shr:2 row_mask:0xf bank_mask:0xf
	v_cndmask_b32_e64 v8, 0, v8, s14
	v_add_nc_u32_e32 v3, v3, v8
	v_mov_b32_dpp v8, v3 row_shr:4 row_mask:0xf bank_mask:0xf
	;; [unrolled: 3-line block ×3, first 2 shown]
	v_cndmask_b32_e64 v7, 0, v8, s16
	v_bfe_i32 v8, v128, 4, 1
	v_add_nc_u32_e32 v3, v3, v7
	ds_swizzle_b32 v7, v3 offset:swizzle(BROADCAST,32,15)
	s_waitcnt lgkmcnt(0)
	v_and_b32_e32 v7, v8, v7
	v_add_nc_u32_e32 v3, v3, v7
	s_and_saveexec_b32 s18, s8
; %bb.87:                               ;   in Loop: Header=BB1222_12 Depth=1
	ds_write_b32 v96, v3
; %bb.88:                               ;   in Loop: Header=BB1222_12 Depth=1
	s_or_b32 exec_lo, exec_lo, s18
	s_waitcnt lgkmcnt(0)
	s_barrier
	buffer_gl0_inv
	s_and_saveexec_b32 s18, s9
	s_cbranch_execz .LBB1222_90
; %bb.89:                               ;   in Loop: Header=BB1222_12 Depth=1
	ds_read_b32 v7, v97
	v_and_b32_e32 v8, 3, v128
	v_cmp_ne_u32_e32 vcc_lo, 0, v8
	s_waitcnt lgkmcnt(0)
	v_mov_b32_dpp v9, v7 row_shr:1 row_mask:0xf bank_mask:0xf
	v_cndmask_b32_e32 v9, 0, v9, vcc_lo
	v_cmp_lt_u32_e32 vcc_lo, 1, v8
	v_add_nc_u32_e32 v7, v9, v7
	v_mov_b32_dpp v9, v7 row_shr:2 row_mask:0xf bank_mask:0xf
	v_cndmask_b32_e32 v8, 0, v9, vcc_lo
	v_add_nc_u32_e32 v7, v7, v8
	ds_write_b32 v97, v7
.LBB1222_90:                            ;   in Loop: Header=BB1222_12 Depth=1
	s_or_b32 exec_lo, exec_lo, s18
	v_mov_b32_e32 v7, 0
	s_waitcnt lgkmcnt(0)
	s_barrier
	buffer_gl0_inv
	s_and_saveexec_b32 s18, s10
; %bb.91:                               ;   in Loop: Header=BB1222_12 Depth=1
	ds_read_b32 v7, v98
; %bb.92:                               ;   in Loop: Header=BB1222_12 Depth=1
	s_or_b32 exec_lo, exec_lo, s18
	v_sub_co_u32 v8, s18, v128, 1
	s_waitcnt lgkmcnt(0)
	v_add_nc_u32_e32 v3, v7, v3
	s_barrier
	v_cmp_gt_i32_e32 vcc_lo, 0, v8
	buffer_gl0_inv
	v_cndmask_b32_e32 v8, v8, v128, vcc_lo
	v_lshlrev_b32_e32 v129, 2, v8
	ds_bpermute_b32 v3, v129, v3
	s_and_saveexec_b32 s19, s7
	s_cbranch_execz .LBB1222_94
; %bb.93:                               ;   in Loop: Header=BB1222_12 Depth=1
	s_waitcnt lgkmcnt(0)
	v_cndmask_b32_e64 v3, v3, v7, s18
	v_add_nc_u32_e32 v3, s60, v3
	ds_write_b32 v75, v3
.LBB1222_94:                            ;   in Loop: Header=BB1222_12 Depth=1
	s_or_b32 exec_lo, exec_lo, s19
	s_clause 0x1
	s_load_dword s19, s[58:59], 0x4
	s_load_dword s22, s[58:59], 0xc
	v_and_b32_e32 v7, 7, v128
	v_lshlrev_b32_e32 v9, 3, v128
	v_or_b32_e32 v130, v128, v99
	s_mov_b32 s66, s62
	s_mov_b32 s56, s60
                                        ; implicit-def: $vgpr11_vgpr12
                                        ; implicit-def: $vgpr13_vgpr14
                                        ; implicit-def: $vgpr15_vgpr16
                                        ; implicit-def: $vgpr19_vgpr20
                                        ; implicit-def: $vgpr23_vgpr24
                                        ; implicit-def: $vgpr27_vgpr28
                                        ; implicit-def: $vgpr17_vgpr18
                                        ; implicit-def: $vgpr21_vgpr22
                                        ; implicit-def: $vgpr25_vgpr26
                                        ; implicit-def: $vgpr29_vgpr30
                                        ; implicit-def: $vgpr31_vgpr32
                                        ; implicit-def: $vgpr33_vgpr34
                                        ; implicit-def: $vgpr35_vgpr36
                                        ; implicit-def: $vgpr37_vgpr38
                                        ; implicit-def: $vgpr151
                                        ; implicit-def: $vgpr152
                                        ; implicit-def: $vgpr153
                                        ; implicit-def: $vgpr154
                                        ; implicit-def: $vgpr155
                                        ; implicit-def: $vgpr156
                                        ; implicit-def: $vgpr157
                                        ; implicit-def: $vgpr159
                                        ; implicit-def: $vgpr160
                                        ; implicit-def: $vgpr161
                                        ; implicit-def: $vgpr162
                                        ; implicit-def: $vgpr163
                                        ; implicit-def: $vgpr164
                                        ; implicit-def: $vgpr165
                                        ; implicit-def: $vgpr166
                                        ; implicit-def: $vgpr167
                                        ; implicit-def: $vgpr158
                                        ; implicit-def: $vgpr168
	v_add_co_u32 v131, vcc_lo, v104, v9
	v_add_co_ci_u32_e64 v132, null, 0, v105, vcc_lo
	v_add_co_u32 v148, vcc_lo, v106, v9
	v_or_b32_e32 v133, 32, v130
	v_or_b32_e32 v134, 64, v130
	;; [unrolled: 1-line block ×6, first 2 shown]
	s_waitcnt lgkmcnt(0)
	s_cmp_lt_u32 s29, s19
	v_or_b32_e32 v139, 0xe0, v130
	s_cselect_b32 s19, 14, 20
	v_or_b32_e32 v140, 0x100, v130
	s_add_u32 s20, s58, s19
	s_addc_u32 s21, s59, 0
	s_and_b32 s22, s22, 0xffff
	global_load_ushort v3, v4, s[20:21]
	v_cmp_eq_u32_e64 s19, 0, v7
	v_cmp_lt_u32_e64 s20, 1, v7
	v_cmp_lt_u32_e64 s21, 3, v7
	v_or_b32_e32 v141, 0x120, v130
	v_or_b32_e32 v142, 0x140, v130
	;; [unrolled: 1-line block ×7, first 2 shown]
	v_add_co_ci_u32_e64 v149, null, 0, v107, vcc_lo
                                        ; implicit-def: $vgpr9_vgpr10
	s_waitcnt vmcnt(0)
	v_mad_u32_u24 v3, v2, v3, v1
	v_mad_u64_u32 v[7:8], null, v3, s22, v[0:1]
	v_lshrrev_b32_e32 v3, 3, v7
                                        ; implicit-def: $vgpr7_vgpr8
	v_and_b32_e32 v150, 0x1ffffffc, v3
	s_branch .LBB1222_96
.LBB1222_95:                            ;   in Loop: Header=BB1222_96 Depth=2
	s_or_b32 exec_lo, exec_lo, s22
	s_addk_i32 s66, 0xf000
	s_cmp_lt_u32 s67, s61
	s_mov_b32 s56, s67
	s_cbranch_scc0 .LBB1222_306
.LBB1222_96:                            ;   Parent Loop BB1222_12 Depth=1
                                        ; =>  This Inner Loop Header: Depth=2
	s_add_i32 s67, s56, 0x1000
	s_cmp_gt_u32 s67, s61
	s_cbranch_scc1 .LBB1222_98
; %bb.97:                               ;   in Loop: Header=BB1222_96 Depth=2
	s_lshl_b64 s[22:23], s[56:57], 3
	v_add_co_u32 v45, vcc_lo, v148, s22
	v_add_co_ci_u32_e64 v46, null, s23, v149, vcc_lo
	v_add_co_u32 v47, vcc_lo, 0x800, v45
	v_add_co_ci_u32_e64 v48, null, 0, v46, vcc_lo
	s_clause 0xe
	global_load_dwordx2 v[39:40], v[45:46], off
	global_load_dwordx2 v[41:42], v[45:46], off offset:256
	global_load_dwordx2 v[43:44], v[45:46], off offset:512
	;; [unrolled: 1-line block ×7, first 2 shown]
	global_load_dwordx2 v[69:70], v[47:48], off
	global_load_dwordx2 v[65:66], v[47:48], off offset:256
	global_load_dwordx2 v[61:62], v[47:48], off offset:512
	global_load_dwordx2 v[57:58], v[47:48], off offset:768
	global_load_dwordx2 v[53:54], v[47:48], off offset:1024
	global_load_dwordx2 v[51:52], v[47:48], off offset:1280
	global_load_dwordx2 v[45:46], v[47:48], off offset:1536
	s_mov_b32 s22, -1
	s_movk_i32 s23, 0x1000
	s_cbranch_execz .LBB1222_99
	s_branch .LBB1222_130
.LBB1222_98:                            ;   in Loop: Header=BB1222_96 Depth=2
	s_mov_b32 s22, 0
                                        ; implicit-def: $vgpr39_vgpr40
                                        ; implicit-def: $vgpr41_vgpr42
                                        ; implicit-def: $vgpr43_vgpr44
                                        ; implicit-def: $vgpr49_vgpr50
                                        ; implicit-def: $vgpr55_vgpr56
                                        ; implicit-def: $vgpr59_vgpr60
                                        ; implicit-def: $vgpr63_vgpr64
                                        ; implicit-def: $vgpr67_vgpr68
                                        ; implicit-def: $vgpr69_vgpr70
                                        ; implicit-def: $vgpr65_vgpr66
                                        ; implicit-def: $vgpr61_vgpr62
                                        ; implicit-def: $vgpr57_vgpr58
                                        ; implicit-def: $vgpr53_vgpr54
                                        ; implicit-def: $vgpr51_vgpr52
                                        ; implicit-def: $vgpr45_vgpr46
	s_movk_i32 s23, 0x1000
.LBB1222_99:                            ;   in Loop: Header=BB1222_96 Depth=2
	s_waitcnt vmcnt(13)
	v_mov_b32_e32 v41, v5
	v_mov_b32_e32 v42, v6
	s_lshl_b64 s[22:23], s[56:57], 3
	v_add_co_u32 v47, vcc_lo, v148, s22
	v_mov_b32_e32 v39, v41
	v_add_co_ci_u32_e64 v48, null, s23, v149, vcc_lo
	v_mov_b32_e32 v40, v42
	s_mov_b32 s22, exec_lo
	v_cmpx_gt_u32_e64 s66, v130
	s_cbranch_execz .LBB1222_101
; %bb.100:                              ;   in Loop: Header=BB1222_96 Depth=2
	global_load_dwordx2 v[39:40], v[47:48], off
.LBB1222_101:                           ;   in Loop: Header=BB1222_96 Depth=2
	s_or_b32 exec_lo, exec_lo, s22
	s_mov_b32 s22, exec_lo
	v_cmpx_gt_u32_e64 s66, v133
	s_cbranch_execz .LBB1222_103
; %bb.102:                              ;   in Loop: Header=BB1222_96 Depth=2
	global_load_dwordx2 v[41:42], v[47:48], off offset:256
.LBB1222_103:                           ;   in Loop: Header=BB1222_96 Depth=2
	s_or_b32 exec_lo, exec_lo, s22
	s_waitcnt vmcnt(12)
	v_mov_b32_e32 v44, v6
	v_mov_b32_e32 v43, v5
	s_mov_b32 s22, exec_lo
	v_cmpx_gt_u32_e64 s66, v134
	s_cbranch_execz .LBB1222_105
; %bb.104:                              ;   in Loop: Header=BB1222_96 Depth=2
	global_load_dwordx2 v[43:44], v[47:48], off offset:512
.LBB1222_105:                           ;   in Loop: Header=BB1222_96 Depth=2
	s_or_b32 exec_lo, exec_lo, s22
	s_waitcnt vmcnt(11)
	v_mov_b32_e32 v50, v6
	v_mov_b32_e32 v49, v5
	;; [unrolled: 10-line block ×7, first 2 shown]
	s_mov_b32 s22, exec_lo
	v_cmpx_gt_u32_e64 s66, v140
	s_cbranch_execz .LBB1222_117
; %bb.116:                              ;   in Loop: Header=BB1222_96 Depth=2
	s_waitcnt vmcnt(0)
	v_add_co_u32 v45, vcc_lo, 0x800, v47
	v_add_co_ci_u32_e64 v46, null, 0, v48, vcc_lo
	global_load_dwordx2 v[69:70], v[45:46], off
.LBB1222_117:                           ;   in Loop: Header=BB1222_96 Depth=2
	s_or_b32 exec_lo, exec_lo, s22
	s_waitcnt vmcnt(5)
	v_mov_b32_e32 v66, v6
	v_mov_b32_e32 v65, v5
	s_mov_b32 s22, exec_lo
	v_cmpx_gt_u32_e64 s66, v141
	s_cbranch_execz .LBB1222_119
; %bb.118:                              ;   in Loop: Header=BB1222_96 Depth=2
	s_waitcnt vmcnt(0)
	v_add_co_u32 v45, vcc_lo, 0x800, v47
	v_add_co_ci_u32_e64 v46, null, 0, v48, vcc_lo
	global_load_dwordx2 v[65:66], v[45:46], off offset:256
.LBB1222_119:                           ;   in Loop: Header=BB1222_96 Depth=2
	s_or_b32 exec_lo, exec_lo, s22
	s_waitcnt vmcnt(4)
	v_mov_b32_e32 v62, v6
	v_mov_b32_e32 v61, v5
	s_mov_b32 s22, exec_lo
	v_cmpx_gt_u32_e64 s66, v142
	s_cbranch_execz .LBB1222_121
; %bb.120:                              ;   in Loop: Header=BB1222_96 Depth=2
	s_waitcnt vmcnt(0)
	v_add_co_u32 v45, vcc_lo, 0x800, v47
	v_add_co_ci_u32_e64 v46, null, 0, v48, vcc_lo
	global_load_dwordx2 v[61:62], v[45:46], off offset:512
.LBB1222_121:                           ;   in Loop: Header=BB1222_96 Depth=2
	;; [unrolled: 13-line block ×5, first 2 shown]
	s_or_b32 exec_lo, exec_lo, s22
	s_waitcnt vmcnt(0)
	v_mov_b32_e32 v46, v6
	v_mov_b32_e32 v45, v5
	s_mov_b32 s22, exec_lo
	v_cmpx_gt_u32_e64 s66, v146
	s_cbranch_execz .LBB1222_129
; %bb.128:                              ;   in Loop: Header=BB1222_96 Depth=2
	v_add_co_u32 v45, vcc_lo, 0x800, v47
	v_add_co_ci_u32_e64 v46, null, 0, v48, vcc_lo
	global_load_dwordx2 v[45:46], v[45:46], off offset:1536
.LBB1222_129:                           ;   in Loop: Header=BB1222_96 Depth=2
	s_or_b32 exec_lo, exec_lo, s22
	v_cmp_gt_u32_e64 s22, s66, v147
	s_sub_i32 s23, s61, s56
.LBB1222_130:                           ;   in Loop: Header=BB1222_96 Depth=2
	v_mov_b32_e32 v48, v6
	v_mov_b32_e32 v169, s66
	;; [unrolled: 1-line block ×3, first 2 shown]
	s_and_saveexec_b32 s24, s22
	s_cbranch_execz .LBB1222_132
; %bb.131:                              ;   in Loop: Header=BB1222_96 Depth=2
	s_lshl_b64 s[26:27], s[56:57], 3
	v_mov_b32_e32 v169, s23
	v_add_co_u32 v3, vcc_lo, v148, s26
	v_add_co_ci_u32_e64 v48, null, s27, v149, vcc_lo
	v_add_co_u32 v47, vcc_lo, 0x800, v3
	v_add_co_ci_u32_e64 v48, null, 0, v48, vcc_lo
	global_load_dwordx2 v[47:48], v[47:48], off offset:1792
.LBB1222_132:                           ;   in Loop: Header=BB1222_96 Depth=2
	s_or_b32 exec_lo, exec_lo, s24
	s_waitcnt vmcnt(14)
	v_cmp_lt_i64_e32 vcc_lo, -1, v[39:40]
	v_ashrrev_i32_e32 v71, 31, v40
	ds_write2_b32 v100, v4, v4 offset0:136 offset1:137
	ds_write2_b32 v100, v4, v4 offset0:138 offset1:139
	ds_write_b32 v100, v4 offset:560
	s_waitcnt vmcnt(0) lgkmcnt(0)
	s_barrier
	v_cndmask_b32_e64 v3, -1, 0x80000000, vcc_lo
	v_xor_b32_e32 v39, v71, v39
	buffer_gl0_inv
	; wave barrier
	v_xor_b32_e32 v40, v3, v40
	v_cmp_ne_u64_e32 vcc_lo, s[46:47], v[39:40]
	v_cndmask_b32_e32 v72, 0x80000000, v40, vcc_lo
	v_cndmask_b32_e32 v71, 0, v39, vcc_lo
	v_lshrrev_b64 v[71:72], s63, v[71:72]
	v_and_b32_e32 v72, s65, v71
	v_and_b32_e32 v3, 1, v72
	v_lshlrev_b32_e32 v71, 30, v72
	v_lshlrev_b32_e32 v73, 29, v72
	;; [unrolled: 1-line block ×4, first 2 shown]
	v_add_co_u32 v3, s22, v3, -1
	v_cndmask_b32_e64 v74, 0, 1, s22
	v_not_b32_e32 v173, v71
	v_cmp_gt_i32_e64 s22, 0, v71
	v_not_b32_e32 v71, v73
	v_lshlrev_b32_e32 v172, 26, v72
	v_cmp_ne_u32_e32 vcc_lo, 0, v74
	v_ashrrev_i32_e32 v173, 31, v173
	v_lshlrev_b32_e32 v74, 25, v72
	v_ashrrev_i32_e32 v71, 31, v71
	v_mul_u32_u24_e32 v72, 36, v72
	v_xor_b32_e32 v3, vcc_lo, v3
	v_cmp_gt_i32_e32 vcc_lo, 0, v73
	v_not_b32_e32 v73, v170
	v_xor_b32_e32 v173, s22, v173
	v_cmp_gt_i32_e64 s22, 0, v170
	v_and_b32_e32 v3, exec_lo, v3
	v_not_b32_e32 v170, v171
	v_ashrrev_i32_e32 v73, 31, v73
	v_xor_b32_e32 v71, vcc_lo, v71
	v_cmp_gt_i32_e32 vcc_lo, 0, v171
	v_and_b32_e32 v3, v3, v173
	v_not_b32_e32 v171, v172
	v_ashrrev_i32_e32 v170, 31, v170
	v_xor_b32_e32 v73, s22, v73
	v_cmp_gt_i32_e64 s22, 0, v172
	v_and_b32_e32 v3, v3, v71
	v_not_b32_e32 v71, v74
	v_ashrrev_i32_e32 v171, 31, v171
	v_xor_b32_e32 v170, vcc_lo, v170
	v_cmp_gt_i32_e32 vcc_lo, 0, v74
	v_and_b32_e32 v3, v3, v73
	v_ashrrev_i32_e32 v71, 31, v71
	v_xor_b32_e32 v73, s22, v171
	v_and_b32_e32 v3, v3, v170
	v_xor_b32_e32 v71, vcc_lo, v71
	v_add_nc_u32_e32 v170, v150, v72
	v_and_b32_e32 v3, v3, v73
	v_and_b32_e32 v71, v3, v71
	v_mbcnt_lo_u32_b32 v3, v71, 0
	v_cmp_ne_u32_e64 s22, 0, v71
	v_cmp_eq_u32_e32 vcc_lo, 0, v3
	s_and_b32 s23, s22, vcc_lo
	s_and_saveexec_b32 s22, s23
; %bb.133:                              ;   in Loop: Header=BB1222_96 Depth=2
	v_bcnt_u32_b32 v71, v71, 0
	ds_write_b32 v170, v71 offset:544
; %bb.134:                              ;   in Loop: Header=BB1222_96 Depth=2
	s_or_b32 exec_lo, exec_lo, s22
	v_cmp_lt_i64_e32 vcc_lo, -1, v[41:42]
	v_ashrrev_i32_e32 v72, 31, v42
	; wave barrier
	v_xor_b32_e32 v41, v72, v41
	v_cndmask_b32_e64 v71, -1, 0x80000000, vcc_lo
	v_xor_b32_e32 v42, v71, v42
	v_cmp_ne_u64_e32 vcc_lo, s[46:47], v[41:42]
	v_cndmask_b32_e32 v72, 0x80000000, v42, vcc_lo
	v_cndmask_b32_e32 v71, 0, v41, vcc_lo
	v_lshrrev_b64 v[71:72], s63, v[71:72]
	v_and_b32_e32 v72, s65, v71
	v_and_b32_e32 v71, 1, v72
	v_lshlrev_b32_e32 v73, 30, v72
	v_lshlrev_b32_e32 v74, 29, v72
	;; [unrolled: 1-line block ×4, first 2 shown]
	v_add_co_u32 v71, s22, v71, -1
	v_cndmask_b32_e64 v171, 0, 1, s22
	v_not_b32_e32 v175, v73
	v_cmp_gt_i32_e64 s22, 0, v73
	v_not_b32_e32 v73, v74
	v_lshlrev_b32_e32 v174, 26, v72
	v_cmp_ne_u32_e32 vcc_lo, 0, v171
	v_ashrrev_i32_e32 v175, 31, v175
	v_lshlrev_b32_e32 v171, 25, v72
	v_ashrrev_i32_e32 v73, 31, v73
	v_xor_b32_e32 v71, vcc_lo, v71
	v_cmp_gt_i32_e32 vcc_lo, 0, v74
	v_not_b32_e32 v74, v172
	v_xor_b32_e32 v175, s22, v175
	v_cmp_gt_i32_e64 s22, 0, v172
	v_and_b32_e32 v71, exec_lo, v71
	v_not_b32_e32 v172, v173
	v_ashrrev_i32_e32 v74, 31, v74
	v_xor_b32_e32 v73, vcc_lo, v73
	v_cmp_gt_i32_e32 vcc_lo, 0, v173
	v_and_b32_e32 v71, v71, v175
	v_not_b32_e32 v173, v174
	v_ashrrev_i32_e32 v172, 31, v172
	v_xor_b32_e32 v74, s22, v74
	v_cmp_gt_i32_e64 s22, 0, v174
	v_and_b32_e32 v71, v71, v73
	v_not_b32_e32 v73, v171
	v_ashrrev_i32_e32 v173, 31, v173
	v_xor_b32_e32 v172, vcc_lo, v172
	v_cmp_gt_i32_e32 vcc_lo, 0, v171
	v_and_b32_e32 v71, v71, v74
	v_ashrrev_i32_e32 v73, 31, v73
	v_xor_b32_e32 v74, s22, v173
	v_mad_u32_u24 v171, v72, 36, v150
	v_mul_u32_u24_e32 v72, 36, v72
	v_and_b32_e32 v71, v71, v172
	v_xor_b32_e32 v73, vcc_lo, v73
	ds_read_b32 v171, v171 offset:544
	v_add_nc_u32_e32 v173, v150, v72
	v_and_b32_e32 v71, v71, v74
	; wave barrier
	v_and_b32_e32 v71, v71, v73
	v_mbcnt_lo_u32_b32 v172, v71, 0
	v_cmp_ne_u32_e64 s22, 0, v71
	v_cmp_eq_u32_e32 vcc_lo, 0, v172
	s_and_b32 s23, s22, vcc_lo
	s_and_saveexec_b32 s22, s23
	s_cbranch_execz .LBB1222_136
; %bb.135:                              ;   in Loop: Header=BB1222_96 Depth=2
	s_waitcnt lgkmcnt(0)
	v_bcnt_u32_b32 v71, v71, v171
	ds_write_b32 v173, v71 offset:544
.LBB1222_136:                           ;   in Loop: Header=BB1222_96 Depth=2
	s_or_b32 exec_lo, exec_lo, s22
	v_cmp_lt_i64_e32 vcc_lo, -1, v[43:44]
	v_ashrrev_i32_e32 v72, 31, v44
	; wave barrier
	v_xor_b32_e32 v43, v72, v43
	v_cndmask_b32_e64 v71, -1, 0x80000000, vcc_lo
	v_xor_b32_e32 v44, v71, v44
	v_cmp_ne_u64_e32 vcc_lo, s[46:47], v[43:44]
	v_cndmask_b32_e32 v72, 0x80000000, v44, vcc_lo
	v_cndmask_b32_e32 v71, 0, v43, vcc_lo
	v_lshrrev_b64 v[71:72], s63, v[71:72]
	v_and_b32_e32 v72, s65, v71
	v_and_b32_e32 v71, 1, v72
	v_lshlrev_b32_e32 v73, 30, v72
	v_lshlrev_b32_e32 v74, 29, v72
	;; [unrolled: 1-line block ×4, first 2 shown]
	v_add_co_u32 v71, s22, v71, -1
	v_cndmask_b32_e64 v174, 0, 1, s22
	v_not_b32_e32 v178, v73
	v_cmp_gt_i32_e64 s22, 0, v73
	v_not_b32_e32 v73, v74
	v_lshlrev_b32_e32 v177, 26, v72
	v_cmp_ne_u32_e32 vcc_lo, 0, v174
	v_ashrrev_i32_e32 v178, 31, v178
	v_lshlrev_b32_e32 v174, 25, v72
	v_ashrrev_i32_e32 v73, 31, v73
	v_xor_b32_e32 v71, vcc_lo, v71
	v_cmp_gt_i32_e32 vcc_lo, 0, v74
	v_not_b32_e32 v74, v175
	v_xor_b32_e32 v178, s22, v178
	v_cmp_gt_i32_e64 s22, 0, v175
	v_and_b32_e32 v71, exec_lo, v71
	v_not_b32_e32 v175, v176
	v_ashrrev_i32_e32 v74, 31, v74
	v_xor_b32_e32 v73, vcc_lo, v73
	v_cmp_gt_i32_e32 vcc_lo, 0, v176
	v_and_b32_e32 v71, v71, v178
	v_not_b32_e32 v176, v177
	v_ashrrev_i32_e32 v175, 31, v175
	v_xor_b32_e32 v74, s22, v74
	v_cmp_gt_i32_e64 s22, 0, v177
	v_and_b32_e32 v71, v71, v73
	v_not_b32_e32 v73, v174
	v_ashrrev_i32_e32 v176, 31, v176
	v_xor_b32_e32 v175, vcc_lo, v175
	v_cmp_gt_i32_e32 vcc_lo, 0, v174
	v_and_b32_e32 v71, v71, v74
	v_ashrrev_i32_e32 v73, 31, v73
	v_xor_b32_e32 v74, s22, v176
	v_mad_u32_u24 v174, v72, 36, v150
	v_mul_u32_u24_e32 v72, 36, v72
	v_and_b32_e32 v71, v71, v175
	v_xor_b32_e32 v73, vcc_lo, v73
	ds_read_b32 v174, v174 offset:544
	v_add_nc_u32_e32 v176, v150, v72
	v_and_b32_e32 v71, v71, v74
	; wave barrier
	v_and_b32_e32 v71, v71, v73
	v_mbcnt_lo_u32_b32 v175, v71, 0
	v_cmp_ne_u32_e64 s22, 0, v71
	v_cmp_eq_u32_e32 vcc_lo, 0, v175
	s_and_b32 s23, s22, vcc_lo
	s_and_saveexec_b32 s22, s23
	s_cbranch_execz .LBB1222_138
; %bb.137:                              ;   in Loop: Header=BB1222_96 Depth=2
	s_waitcnt lgkmcnt(0)
	v_bcnt_u32_b32 v71, v71, v174
	ds_write_b32 v176, v71 offset:544
.LBB1222_138:                           ;   in Loop: Header=BB1222_96 Depth=2
	s_or_b32 exec_lo, exec_lo, s22
	v_cmp_lt_i64_e32 vcc_lo, -1, v[49:50]
	v_ashrrev_i32_e32 v72, 31, v50
	; wave barrier
	v_xor_b32_e32 v49, v72, v49
	v_cndmask_b32_e64 v71, -1, 0x80000000, vcc_lo
	v_xor_b32_e32 v50, v71, v50
	v_cmp_ne_u64_e32 vcc_lo, s[46:47], v[49:50]
	v_cndmask_b32_e32 v72, 0x80000000, v50, vcc_lo
	v_cndmask_b32_e32 v71, 0, v49, vcc_lo
	v_lshrrev_b64 v[71:72], s63, v[71:72]
	v_and_b32_e32 v72, s65, v71
	v_and_b32_e32 v71, 1, v72
	v_lshlrev_b32_e32 v73, 30, v72
	v_lshlrev_b32_e32 v74, 29, v72
	v_lshlrev_b32_e32 v178, 28, v72
	v_lshlrev_b32_e32 v179, 27, v72
	v_add_co_u32 v71, s22, v71, -1
	v_cndmask_b32_e64 v177, 0, 1, s22
	v_not_b32_e32 v181, v73
	v_cmp_gt_i32_e64 s22, 0, v73
	v_not_b32_e32 v73, v74
	v_lshlrev_b32_e32 v180, 26, v72
	v_cmp_ne_u32_e32 vcc_lo, 0, v177
	v_ashrrev_i32_e32 v181, 31, v181
	v_lshlrev_b32_e32 v177, 25, v72
	v_ashrrev_i32_e32 v73, 31, v73
	v_xor_b32_e32 v71, vcc_lo, v71
	v_cmp_gt_i32_e32 vcc_lo, 0, v74
	v_not_b32_e32 v74, v178
	v_xor_b32_e32 v181, s22, v181
	v_cmp_gt_i32_e64 s22, 0, v178
	v_and_b32_e32 v71, exec_lo, v71
	v_not_b32_e32 v178, v179
	v_ashrrev_i32_e32 v74, 31, v74
	v_xor_b32_e32 v73, vcc_lo, v73
	v_cmp_gt_i32_e32 vcc_lo, 0, v179
	v_and_b32_e32 v71, v71, v181
	v_not_b32_e32 v179, v180
	v_ashrrev_i32_e32 v178, 31, v178
	v_xor_b32_e32 v74, s22, v74
	v_cmp_gt_i32_e64 s22, 0, v180
	v_and_b32_e32 v71, v71, v73
	v_not_b32_e32 v73, v177
	v_ashrrev_i32_e32 v179, 31, v179
	v_xor_b32_e32 v178, vcc_lo, v178
	v_cmp_gt_i32_e32 vcc_lo, 0, v177
	v_and_b32_e32 v71, v71, v74
	v_ashrrev_i32_e32 v73, 31, v73
	v_xor_b32_e32 v74, s22, v179
	v_mad_u32_u24 v177, v72, 36, v150
	v_mul_u32_u24_e32 v72, 36, v72
	v_and_b32_e32 v71, v71, v178
	v_xor_b32_e32 v73, vcc_lo, v73
	ds_read_b32 v177, v177 offset:544
	v_add_nc_u32_e32 v179, v150, v72
	v_and_b32_e32 v71, v71, v74
	; wave barrier
	v_and_b32_e32 v71, v71, v73
	v_mbcnt_lo_u32_b32 v178, v71, 0
	v_cmp_ne_u32_e64 s22, 0, v71
	v_cmp_eq_u32_e32 vcc_lo, 0, v178
	s_and_b32 s23, s22, vcc_lo
	s_and_saveexec_b32 s22, s23
	s_cbranch_execz .LBB1222_140
; %bb.139:                              ;   in Loop: Header=BB1222_96 Depth=2
	s_waitcnt lgkmcnt(0)
	v_bcnt_u32_b32 v71, v71, v177
	ds_write_b32 v179, v71 offset:544
.LBB1222_140:                           ;   in Loop: Header=BB1222_96 Depth=2
	s_or_b32 exec_lo, exec_lo, s22
	v_cmp_lt_i64_e32 vcc_lo, -1, v[55:56]
	v_ashrrev_i32_e32 v72, 31, v56
	; wave barrier
	v_xor_b32_e32 v55, v72, v55
	v_cndmask_b32_e64 v71, -1, 0x80000000, vcc_lo
	v_xor_b32_e32 v56, v71, v56
	v_cmp_ne_u64_e32 vcc_lo, s[46:47], v[55:56]
	v_cndmask_b32_e32 v72, 0x80000000, v56, vcc_lo
	v_cndmask_b32_e32 v71, 0, v55, vcc_lo
	v_lshrrev_b64 v[71:72], s63, v[71:72]
	v_and_b32_e32 v72, s65, v71
	v_and_b32_e32 v71, 1, v72
	v_lshlrev_b32_e32 v73, 30, v72
	v_lshlrev_b32_e32 v74, 29, v72
	;; [unrolled: 1-line block ×4, first 2 shown]
	v_add_co_u32 v71, s22, v71, -1
	v_cndmask_b32_e64 v180, 0, 1, s22
	v_not_b32_e32 v184, v73
	v_cmp_gt_i32_e64 s22, 0, v73
	v_not_b32_e32 v73, v74
	v_lshlrev_b32_e32 v183, 26, v72
	v_cmp_ne_u32_e32 vcc_lo, 0, v180
	v_ashrrev_i32_e32 v184, 31, v184
	v_lshlrev_b32_e32 v180, 25, v72
	v_ashrrev_i32_e32 v73, 31, v73
	v_xor_b32_e32 v71, vcc_lo, v71
	v_cmp_gt_i32_e32 vcc_lo, 0, v74
	v_not_b32_e32 v74, v181
	v_xor_b32_e32 v184, s22, v184
	v_cmp_gt_i32_e64 s22, 0, v181
	v_and_b32_e32 v71, exec_lo, v71
	v_not_b32_e32 v181, v182
	v_ashrrev_i32_e32 v74, 31, v74
	v_xor_b32_e32 v73, vcc_lo, v73
	v_cmp_gt_i32_e32 vcc_lo, 0, v182
	v_and_b32_e32 v71, v71, v184
	v_not_b32_e32 v182, v183
	v_ashrrev_i32_e32 v181, 31, v181
	v_xor_b32_e32 v74, s22, v74
	v_cmp_gt_i32_e64 s22, 0, v183
	v_and_b32_e32 v71, v71, v73
	v_not_b32_e32 v73, v180
	v_ashrrev_i32_e32 v182, 31, v182
	v_xor_b32_e32 v181, vcc_lo, v181
	v_cmp_gt_i32_e32 vcc_lo, 0, v180
	v_and_b32_e32 v71, v71, v74
	v_ashrrev_i32_e32 v73, 31, v73
	v_xor_b32_e32 v74, s22, v182
	v_mad_u32_u24 v180, v72, 36, v150
	v_mul_u32_u24_e32 v72, 36, v72
	v_and_b32_e32 v71, v71, v181
	v_xor_b32_e32 v73, vcc_lo, v73
	ds_read_b32 v180, v180 offset:544
	v_add_nc_u32_e32 v182, v150, v72
	v_and_b32_e32 v71, v71, v74
	; wave barrier
	v_and_b32_e32 v71, v71, v73
	v_mbcnt_lo_u32_b32 v181, v71, 0
	v_cmp_ne_u32_e64 s22, 0, v71
	v_cmp_eq_u32_e32 vcc_lo, 0, v181
	s_and_b32 s23, s22, vcc_lo
	s_and_saveexec_b32 s22, s23
	s_cbranch_execz .LBB1222_142
; %bb.141:                              ;   in Loop: Header=BB1222_96 Depth=2
	s_waitcnt lgkmcnt(0)
	v_bcnt_u32_b32 v71, v71, v180
	ds_write_b32 v182, v71 offset:544
.LBB1222_142:                           ;   in Loop: Header=BB1222_96 Depth=2
	s_or_b32 exec_lo, exec_lo, s22
	v_cmp_lt_i64_e32 vcc_lo, -1, v[59:60]
	v_ashrrev_i32_e32 v72, 31, v60
	; wave barrier
	v_xor_b32_e32 v59, v72, v59
	v_cndmask_b32_e64 v71, -1, 0x80000000, vcc_lo
	v_xor_b32_e32 v60, v71, v60
	v_cmp_ne_u64_e32 vcc_lo, s[46:47], v[59:60]
	v_cndmask_b32_e32 v72, 0x80000000, v60, vcc_lo
	v_cndmask_b32_e32 v71, 0, v59, vcc_lo
	v_lshrrev_b64 v[71:72], s63, v[71:72]
	v_and_b32_e32 v72, s65, v71
	v_and_b32_e32 v71, 1, v72
	v_lshlrev_b32_e32 v73, 30, v72
	v_lshlrev_b32_e32 v74, 29, v72
	;; [unrolled: 1-line block ×4, first 2 shown]
	v_add_co_u32 v71, s22, v71, -1
	v_cndmask_b32_e64 v183, 0, 1, s22
	v_not_b32_e32 v187, v73
	v_cmp_gt_i32_e64 s22, 0, v73
	v_not_b32_e32 v73, v74
	v_lshlrev_b32_e32 v186, 26, v72
	v_cmp_ne_u32_e32 vcc_lo, 0, v183
	v_ashrrev_i32_e32 v187, 31, v187
	v_lshlrev_b32_e32 v183, 25, v72
	v_ashrrev_i32_e32 v73, 31, v73
	v_xor_b32_e32 v71, vcc_lo, v71
	v_cmp_gt_i32_e32 vcc_lo, 0, v74
	v_not_b32_e32 v74, v184
	v_xor_b32_e32 v187, s22, v187
	v_cmp_gt_i32_e64 s22, 0, v184
	v_and_b32_e32 v71, exec_lo, v71
	v_not_b32_e32 v184, v185
	v_ashrrev_i32_e32 v74, 31, v74
	v_xor_b32_e32 v73, vcc_lo, v73
	v_cmp_gt_i32_e32 vcc_lo, 0, v185
	v_and_b32_e32 v71, v71, v187
	v_not_b32_e32 v185, v186
	v_ashrrev_i32_e32 v184, 31, v184
	v_xor_b32_e32 v74, s22, v74
	v_cmp_gt_i32_e64 s22, 0, v186
	v_and_b32_e32 v71, v71, v73
	v_not_b32_e32 v73, v183
	v_ashrrev_i32_e32 v185, 31, v185
	v_xor_b32_e32 v184, vcc_lo, v184
	v_cmp_gt_i32_e32 vcc_lo, 0, v183
	v_and_b32_e32 v71, v71, v74
	v_ashrrev_i32_e32 v73, 31, v73
	v_xor_b32_e32 v74, s22, v185
	v_mad_u32_u24 v183, v72, 36, v150
	v_mul_u32_u24_e32 v72, 36, v72
	v_and_b32_e32 v71, v71, v184
	v_xor_b32_e32 v73, vcc_lo, v73
	ds_read_b32 v183, v183 offset:544
	v_add_nc_u32_e32 v185, v150, v72
	v_and_b32_e32 v71, v71, v74
	; wave barrier
	v_and_b32_e32 v71, v71, v73
	v_mbcnt_lo_u32_b32 v184, v71, 0
	v_cmp_ne_u32_e64 s22, 0, v71
	v_cmp_eq_u32_e32 vcc_lo, 0, v184
	s_and_b32 s23, s22, vcc_lo
	s_and_saveexec_b32 s22, s23
	s_cbranch_execz .LBB1222_144
; %bb.143:                              ;   in Loop: Header=BB1222_96 Depth=2
	s_waitcnt lgkmcnt(0)
	v_bcnt_u32_b32 v71, v71, v183
	ds_write_b32 v185, v71 offset:544
.LBB1222_144:                           ;   in Loop: Header=BB1222_96 Depth=2
	s_or_b32 exec_lo, exec_lo, s22
	v_cmp_lt_i64_e32 vcc_lo, -1, v[63:64]
	v_ashrrev_i32_e32 v72, 31, v64
	; wave barrier
	v_xor_b32_e32 v63, v72, v63
	v_cndmask_b32_e64 v71, -1, 0x80000000, vcc_lo
	v_xor_b32_e32 v64, v71, v64
	v_cmp_ne_u64_e32 vcc_lo, s[46:47], v[63:64]
	v_cndmask_b32_e32 v72, 0x80000000, v64, vcc_lo
	v_cndmask_b32_e32 v71, 0, v63, vcc_lo
	v_lshrrev_b64 v[71:72], s63, v[71:72]
	v_and_b32_e32 v72, s65, v71
	v_and_b32_e32 v71, 1, v72
	v_lshlrev_b32_e32 v73, 30, v72
	v_lshlrev_b32_e32 v74, 29, v72
	;; [unrolled: 1-line block ×4, first 2 shown]
	v_add_co_u32 v71, s22, v71, -1
	v_cndmask_b32_e64 v186, 0, 1, s22
	v_not_b32_e32 v190, v73
	v_cmp_gt_i32_e64 s22, 0, v73
	v_not_b32_e32 v73, v74
	v_lshlrev_b32_e32 v189, 26, v72
	v_cmp_ne_u32_e32 vcc_lo, 0, v186
	v_ashrrev_i32_e32 v190, 31, v190
	v_lshlrev_b32_e32 v186, 25, v72
	v_ashrrev_i32_e32 v73, 31, v73
	v_xor_b32_e32 v71, vcc_lo, v71
	v_cmp_gt_i32_e32 vcc_lo, 0, v74
	v_not_b32_e32 v74, v187
	v_xor_b32_e32 v190, s22, v190
	v_cmp_gt_i32_e64 s22, 0, v187
	v_and_b32_e32 v71, exec_lo, v71
	v_not_b32_e32 v187, v188
	v_ashrrev_i32_e32 v74, 31, v74
	v_xor_b32_e32 v73, vcc_lo, v73
	v_cmp_gt_i32_e32 vcc_lo, 0, v188
	v_and_b32_e32 v71, v71, v190
	v_not_b32_e32 v188, v189
	v_ashrrev_i32_e32 v187, 31, v187
	v_xor_b32_e32 v74, s22, v74
	v_cmp_gt_i32_e64 s22, 0, v189
	v_and_b32_e32 v71, v71, v73
	v_not_b32_e32 v73, v186
	v_ashrrev_i32_e32 v188, 31, v188
	v_xor_b32_e32 v187, vcc_lo, v187
	v_cmp_gt_i32_e32 vcc_lo, 0, v186
	v_and_b32_e32 v71, v71, v74
	v_ashrrev_i32_e32 v73, 31, v73
	v_xor_b32_e32 v74, s22, v188
	v_mad_u32_u24 v186, v72, 36, v150
	v_mul_u32_u24_e32 v72, 36, v72
	v_and_b32_e32 v71, v71, v187
	v_xor_b32_e32 v73, vcc_lo, v73
	ds_read_b32 v186, v186 offset:544
	v_add_nc_u32_e32 v188, v150, v72
	v_and_b32_e32 v71, v71, v74
	; wave barrier
	v_and_b32_e32 v71, v71, v73
	v_mbcnt_lo_u32_b32 v187, v71, 0
	v_cmp_ne_u32_e64 s22, 0, v71
	v_cmp_eq_u32_e32 vcc_lo, 0, v187
	s_and_b32 s23, s22, vcc_lo
	s_and_saveexec_b32 s22, s23
	s_cbranch_execz .LBB1222_146
; %bb.145:                              ;   in Loop: Header=BB1222_96 Depth=2
	s_waitcnt lgkmcnt(0)
	v_bcnt_u32_b32 v71, v71, v186
	ds_write_b32 v188, v71 offset:544
.LBB1222_146:                           ;   in Loop: Header=BB1222_96 Depth=2
	s_or_b32 exec_lo, exec_lo, s22
	v_cmp_lt_i64_e32 vcc_lo, -1, v[67:68]
	v_ashrrev_i32_e32 v72, 31, v68
	; wave barrier
	v_xor_b32_e32 v67, v72, v67
	v_cndmask_b32_e64 v71, -1, 0x80000000, vcc_lo
	v_xor_b32_e32 v68, v71, v68
	v_cmp_ne_u64_e32 vcc_lo, s[46:47], v[67:68]
	v_cndmask_b32_e32 v72, 0x80000000, v68, vcc_lo
	v_cndmask_b32_e32 v71, 0, v67, vcc_lo
	v_lshrrev_b64 v[71:72], s63, v[71:72]
	v_and_b32_e32 v72, s65, v71
	v_and_b32_e32 v71, 1, v72
	v_lshlrev_b32_e32 v73, 30, v72
	v_lshlrev_b32_e32 v74, 29, v72
	;; [unrolled: 1-line block ×4, first 2 shown]
	v_add_co_u32 v71, s22, v71, -1
	v_cndmask_b32_e64 v189, 0, 1, s22
	v_not_b32_e32 v193, v73
	v_cmp_gt_i32_e64 s22, 0, v73
	v_not_b32_e32 v73, v74
	v_lshlrev_b32_e32 v192, 26, v72
	v_cmp_ne_u32_e32 vcc_lo, 0, v189
	v_ashrrev_i32_e32 v193, 31, v193
	v_lshlrev_b32_e32 v189, 25, v72
	v_ashrrev_i32_e32 v73, 31, v73
	v_xor_b32_e32 v71, vcc_lo, v71
	v_cmp_gt_i32_e32 vcc_lo, 0, v74
	v_not_b32_e32 v74, v190
	v_xor_b32_e32 v193, s22, v193
	v_cmp_gt_i32_e64 s22, 0, v190
	v_and_b32_e32 v71, exec_lo, v71
	v_not_b32_e32 v190, v191
	v_ashrrev_i32_e32 v74, 31, v74
	v_xor_b32_e32 v73, vcc_lo, v73
	v_cmp_gt_i32_e32 vcc_lo, 0, v191
	v_and_b32_e32 v71, v71, v193
	v_not_b32_e32 v191, v192
	v_ashrrev_i32_e32 v190, 31, v190
	v_xor_b32_e32 v74, s22, v74
	v_cmp_gt_i32_e64 s22, 0, v192
	v_and_b32_e32 v71, v71, v73
	v_not_b32_e32 v73, v189
	v_ashrrev_i32_e32 v191, 31, v191
	v_xor_b32_e32 v190, vcc_lo, v190
	v_cmp_gt_i32_e32 vcc_lo, 0, v189
	v_and_b32_e32 v71, v71, v74
	v_ashrrev_i32_e32 v73, 31, v73
	v_xor_b32_e32 v74, s22, v191
	v_mad_u32_u24 v189, v72, 36, v150
	v_mul_u32_u24_e32 v72, 36, v72
	v_and_b32_e32 v71, v71, v190
	v_xor_b32_e32 v73, vcc_lo, v73
	ds_read_b32 v189, v189 offset:544
	v_add_nc_u32_e32 v191, v150, v72
	v_and_b32_e32 v71, v71, v74
	; wave barrier
	v_and_b32_e32 v71, v71, v73
	v_mbcnt_lo_u32_b32 v190, v71, 0
	v_cmp_ne_u32_e64 s22, 0, v71
	v_cmp_eq_u32_e32 vcc_lo, 0, v190
	s_and_b32 s23, s22, vcc_lo
	s_and_saveexec_b32 s22, s23
	s_cbranch_execz .LBB1222_148
; %bb.147:                              ;   in Loop: Header=BB1222_96 Depth=2
	s_waitcnt lgkmcnt(0)
	v_bcnt_u32_b32 v71, v71, v189
	ds_write_b32 v191, v71 offset:544
.LBB1222_148:                           ;   in Loop: Header=BB1222_96 Depth=2
	s_or_b32 exec_lo, exec_lo, s22
	v_cmp_lt_i64_e32 vcc_lo, -1, v[69:70]
	v_ashrrev_i32_e32 v72, 31, v70
	; wave barrier
	v_xor_b32_e32 v69, v72, v69
	v_cndmask_b32_e64 v71, -1, 0x80000000, vcc_lo
	v_xor_b32_e32 v70, v71, v70
	v_cmp_ne_u64_e32 vcc_lo, s[46:47], v[69:70]
	v_cndmask_b32_e32 v72, 0x80000000, v70, vcc_lo
	v_cndmask_b32_e32 v71, 0, v69, vcc_lo
	v_lshrrev_b64 v[71:72], s63, v[71:72]
	v_and_b32_e32 v72, s65, v71
	v_and_b32_e32 v71, 1, v72
	v_lshlrev_b32_e32 v73, 30, v72
	v_lshlrev_b32_e32 v74, 29, v72
	;; [unrolled: 1-line block ×4, first 2 shown]
	v_add_co_u32 v71, s22, v71, -1
	v_cndmask_b32_e64 v192, 0, 1, s22
	v_not_b32_e32 v196, v73
	v_cmp_gt_i32_e64 s22, 0, v73
	v_not_b32_e32 v73, v74
	v_lshlrev_b32_e32 v195, 26, v72
	v_cmp_ne_u32_e32 vcc_lo, 0, v192
	v_ashrrev_i32_e32 v196, 31, v196
	v_lshlrev_b32_e32 v192, 25, v72
	v_ashrrev_i32_e32 v73, 31, v73
	v_xor_b32_e32 v71, vcc_lo, v71
	v_cmp_gt_i32_e32 vcc_lo, 0, v74
	v_not_b32_e32 v74, v193
	v_xor_b32_e32 v196, s22, v196
	v_cmp_gt_i32_e64 s22, 0, v193
	v_and_b32_e32 v71, exec_lo, v71
	v_not_b32_e32 v193, v194
	v_ashrrev_i32_e32 v74, 31, v74
	v_xor_b32_e32 v73, vcc_lo, v73
	v_cmp_gt_i32_e32 vcc_lo, 0, v194
	v_and_b32_e32 v71, v71, v196
	v_not_b32_e32 v194, v195
	v_ashrrev_i32_e32 v193, 31, v193
	v_xor_b32_e32 v74, s22, v74
	v_cmp_gt_i32_e64 s22, 0, v195
	v_and_b32_e32 v71, v71, v73
	v_not_b32_e32 v73, v192
	v_ashrrev_i32_e32 v194, 31, v194
	v_xor_b32_e32 v193, vcc_lo, v193
	v_cmp_gt_i32_e32 vcc_lo, 0, v192
	v_and_b32_e32 v71, v71, v74
	v_ashrrev_i32_e32 v73, 31, v73
	v_xor_b32_e32 v74, s22, v194
	v_mad_u32_u24 v192, v72, 36, v150
	v_mul_u32_u24_e32 v72, 36, v72
	v_and_b32_e32 v71, v71, v193
	v_xor_b32_e32 v73, vcc_lo, v73
	ds_read_b32 v192, v192 offset:544
	v_add_nc_u32_e32 v194, v150, v72
	v_and_b32_e32 v71, v71, v74
	; wave barrier
	v_and_b32_e32 v71, v71, v73
	v_mbcnt_lo_u32_b32 v193, v71, 0
	v_cmp_ne_u32_e64 s22, 0, v71
	v_cmp_eq_u32_e32 vcc_lo, 0, v193
	s_and_b32 s23, s22, vcc_lo
	s_and_saveexec_b32 s22, s23
	s_cbranch_execz .LBB1222_150
; %bb.149:                              ;   in Loop: Header=BB1222_96 Depth=2
	s_waitcnt lgkmcnt(0)
	v_bcnt_u32_b32 v71, v71, v192
	ds_write_b32 v194, v71 offset:544
.LBB1222_150:                           ;   in Loop: Header=BB1222_96 Depth=2
	s_or_b32 exec_lo, exec_lo, s22
	v_cmp_lt_i64_e32 vcc_lo, -1, v[65:66]
	v_ashrrev_i32_e32 v72, 31, v66
	; wave barrier
	v_xor_b32_e32 v65, v72, v65
	v_cndmask_b32_e64 v71, -1, 0x80000000, vcc_lo
	v_xor_b32_e32 v66, v71, v66
	v_cmp_ne_u64_e32 vcc_lo, s[46:47], v[65:66]
	v_cndmask_b32_e32 v72, 0x80000000, v66, vcc_lo
	v_cndmask_b32_e32 v71, 0, v65, vcc_lo
	v_lshrrev_b64 v[71:72], s63, v[71:72]
	v_and_b32_e32 v72, s65, v71
	v_and_b32_e32 v71, 1, v72
	v_lshlrev_b32_e32 v73, 30, v72
	v_lshlrev_b32_e32 v74, 29, v72
	;; [unrolled: 1-line block ×4, first 2 shown]
	v_add_co_u32 v71, s22, v71, -1
	v_cndmask_b32_e64 v195, 0, 1, s22
	v_not_b32_e32 v199, v73
	v_cmp_gt_i32_e64 s22, 0, v73
	v_not_b32_e32 v73, v74
	v_lshlrev_b32_e32 v198, 26, v72
	v_cmp_ne_u32_e32 vcc_lo, 0, v195
	v_ashrrev_i32_e32 v199, 31, v199
	v_lshlrev_b32_e32 v195, 25, v72
	v_ashrrev_i32_e32 v73, 31, v73
	v_xor_b32_e32 v71, vcc_lo, v71
	v_cmp_gt_i32_e32 vcc_lo, 0, v74
	v_not_b32_e32 v74, v196
	v_xor_b32_e32 v199, s22, v199
	v_cmp_gt_i32_e64 s22, 0, v196
	v_and_b32_e32 v71, exec_lo, v71
	v_not_b32_e32 v196, v197
	v_ashrrev_i32_e32 v74, 31, v74
	v_xor_b32_e32 v73, vcc_lo, v73
	v_cmp_gt_i32_e32 vcc_lo, 0, v197
	v_and_b32_e32 v71, v71, v199
	v_not_b32_e32 v197, v198
	v_ashrrev_i32_e32 v196, 31, v196
	v_xor_b32_e32 v74, s22, v74
	v_cmp_gt_i32_e64 s22, 0, v198
	v_and_b32_e32 v71, v71, v73
	v_not_b32_e32 v73, v195
	v_ashrrev_i32_e32 v197, 31, v197
	v_xor_b32_e32 v196, vcc_lo, v196
	v_cmp_gt_i32_e32 vcc_lo, 0, v195
	v_and_b32_e32 v71, v71, v74
	v_ashrrev_i32_e32 v73, 31, v73
	v_xor_b32_e32 v74, s22, v197
	v_mad_u32_u24 v195, v72, 36, v150
	v_mul_u32_u24_e32 v72, 36, v72
	v_and_b32_e32 v71, v71, v196
	v_xor_b32_e32 v73, vcc_lo, v73
	ds_read_b32 v195, v195 offset:544
	v_add_nc_u32_e32 v198, v150, v72
	v_and_b32_e32 v71, v71, v74
	; wave barrier
	v_and_b32_e32 v71, v71, v73
	v_mbcnt_lo_u32_b32 v196, v71, 0
	v_cmp_ne_u32_e64 s22, 0, v71
	v_cmp_eq_u32_e32 vcc_lo, 0, v196
	s_and_b32 s23, s22, vcc_lo
	s_and_saveexec_b32 s22, s23
	s_cbranch_execz .LBB1222_152
; %bb.151:                              ;   in Loop: Header=BB1222_96 Depth=2
	s_waitcnt lgkmcnt(0)
	v_bcnt_u32_b32 v71, v71, v195
	ds_write_b32 v198, v71 offset:544
.LBB1222_152:                           ;   in Loop: Header=BB1222_96 Depth=2
	s_or_b32 exec_lo, exec_lo, s22
	v_cmp_lt_i64_e32 vcc_lo, -1, v[61:62]
	v_ashrrev_i32_e32 v72, 31, v62
	; wave barrier
	v_xor_b32_e32 v61, v72, v61
	v_cndmask_b32_e64 v71, -1, 0x80000000, vcc_lo
	v_xor_b32_e32 v62, v71, v62
	v_cmp_ne_u64_e32 vcc_lo, s[46:47], v[61:62]
	v_cndmask_b32_e32 v72, 0x80000000, v62, vcc_lo
	v_cndmask_b32_e32 v71, 0, v61, vcc_lo
	v_lshrrev_b64 v[71:72], s63, v[71:72]
	v_and_b32_e32 v72, s65, v71
	v_and_b32_e32 v71, 1, v72
	v_lshlrev_b32_e32 v73, 30, v72
	v_lshlrev_b32_e32 v74, 29, v72
	;; [unrolled: 1-line block ×4, first 2 shown]
	v_add_co_u32 v71, s22, v71, -1
	v_cndmask_b32_e64 v197, 0, 1, s22
	v_not_b32_e32 v202, v73
	v_cmp_gt_i32_e64 s22, 0, v73
	v_not_b32_e32 v73, v74
	v_lshlrev_b32_e32 v201, 26, v72
	v_cmp_ne_u32_e32 vcc_lo, 0, v197
	v_ashrrev_i32_e32 v202, 31, v202
	v_lshlrev_b32_e32 v197, 25, v72
	v_ashrrev_i32_e32 v73, 31, v73
	v_xor_b32_e32 v71, vcc_lo, v71
	v_cmp_gt_i32_e32 vcc_lo, 0, v74
	v_not_b32_e32 v74, v199
	v_xor_b32_e32 v202, s22, v202
	v_cmp_gt_i32_e64 s22, 0, v199
	v_and_b32_e32 v71, exec_lo, v71
	v_not_b32_e32 v199, v200
	v_ashrrev_i32_e32 v74, 31, v74
	v_xor_b32_e32 v73, vcc_lo, v73
	v_cmp_gt_i32_e32 vcc_lo, 0, v200
	v_and_b32_e32 v71, v71, v202
	v_not_b32_e32 v200, v201
	v_ashrrev_i32_e32 v199, 31, v199
	v_xor_b32_e32 v74, s22, v74
	v_cmp_gt_i32_e64 s22, 0, v201
	v_and_b32_e32 v71, v71, v73
	v_not_b32_e32 v73, v197
	v_ashrrev_i32_e32 v200, 31, v200
	v_xor_b32_e32 v199, vcc_lo, v199
	v_cmp_gt_i32_e32 vcc_lo, 0, v197
	v_and_b32_e32 v71, v71, v74
	v_ashrrev_i32_e32 v73, 31, v73
	v_xor_b32_e32 v74, s22, v200
	v_mad_u32_u24 v197, v72, 36, v150
	v_mul_u32_u24_e32 v72, 36, v72
	v_and_b32_e32 v71, v71, v199
	v_xor_b32_e32 v73, vcc_lo, v73
	ds_read_b32 v197, v197 offset:544
	v_add_nc_u32_e32 v202, v150, v72
	v_and_b32_e32 v71, v71, v74
	; wave barrier
	v_and_b32_e32 v71, v71, v73
	v_mbcnt_lo_u32_b32 v199, v71, 0
	v_cmp_ne_u32_e64 s22, 0, v71
	v_cmp_eq_u32_e32 vcc_lo, 0, v199
	s_and_b32 s23, s22, vcc_lo
	s_and_saveexec_b32 s22, s23
	s_cbranch_execz .LBB1222_154
; %bb.153:                              ;   in Loop: Header=BB1222_96 Depth=2
	s_waitcnt lgkmcnt(0)
	v_bcnt_u32_b32 v71, v71, v197
	ds_write_b32 v202, v71 offset:544
.LBB1222_154:                           ;   in Loop: Header=BB1222_96 Depth=2
	s_or_b32 exec_lo, exec_lo, s22
	v_cmp_lt_i64_e32 vcc_lo, -1, v[57:58]
	v_ashrrev_i32_e32 v72, 31, v58
	; wave barrier
	v_xor_b32_e32 v57, v72, v57
	v_cndmask_b32_e64 v71, -1, 0x80000000, vcc_lo
	v_xor_b32_e32 v58, v71, v58
	v_cmp_ne_u64_e32 vcc_lo, s[46:47], v[57:58]
	v_cndmask_b32_e32 v72, 0x80000000, v58, vcc_lo
	v_cndmask_b32_e32 v71, 0, v57, vcc_lo
	v_lshrrev_b64 v[71:72], s63, v[71:72]
	v_and_b32_e32 v72, s65, v71
	v_and_b32_e32 v71, 1, v72
	v_lshlrev_b32_e32 v73, 30, v72
	v_lshlrev_b32_e32 v74, 29, v72
	;; [unrolled: 1-line block ×4, first 2 shown]
	v_add_co_u32 v71, s22, v71, -1
	v_cndmask_b32_e64 v200, 0, 1, s22
	v_not_b32_e32 v205, v73
	v_cmp_gt_i32_e64 s22, 0, v73
	v_not_b32_e32 v73, v74
	v_lshlrev_b32_e32 v204, 26, v72
	v_cmp_ne_u32_e32 vcc_lo, 0, v200
	v_ashrrev_i32_e32 v205, 31, v205
	v_lshlrev_b32_e32 v200, 25, v72
	v_ashrrev_i32_e32 v73, 31, v73
	v_xor_b32_e32 v71, vcc_lo, v71
	v_cmp_gt_i32_e32 vcc_lo, 0, v74
	v_not_b32_e32 v74, v201
	v_xor_b32_e32 v205, s22, v205
	v_cmp_gt_i32_e64 s22, 0, v201
	v_and_b32_e32 v71, exec_lo, v71
	v_not_b32_e32 v201, v203
	v_ashrrev_i32_e32 v74, 31, v74
	v_xor_b32_e32 v73, vcc_lo, v73
	v_cmp_gt_i32_e32 vcc_lo, 0, v203
	v_and_b32_e32 v71, v71, v205
	v_not_b32_e32 v203, v204
	v_ashrrev_i32_e32 v201, 31, v201
	v_xor_b32_e32 v74, s22, v74
	v_cmp_gt_i32_e64 s22, 0, v204
	v_and_b32_e32 v71, v71, v73
	v_not_b32_e32 v73, v200
	v_ashrrev_i32_e32 v203, 31, v203
	v_xor_b32_e32 v201, vcc_lo, v201
	v_cmp_gt_i32_e32 vcc_lo, 0, v200
	v_and_b32_e32 v71, v71, v74
	v_ashrrev_i32_e32 v73, 31, v73
	v_xor_b32_e32 v74, s22, v203
	v_mad_u32_u24 v200, v72, 36, v150
	v_mul_u32_u24_e32 v72, 36, v72
	v_and_b32_e32 v71, v71, v201
	v_xor_b32_e32 v73, vcc_lo, v73
	ds_read_b32 v200, v200 offset:544
	v_add_nc_u32_e32 v205, v150, v72
	v_and_b32_e32 v71, v71, v74
	; wave barrier
	v_and_b32_e32 v71, v71, v73
	v_mbcnt_lo_u32_b32 v201, v71, 0
	v_cmp_ne_u32_e64 s22, 0, v71
	v_cmp_eq_u32_e32 vcc_lo, 0, v201
	s_and_b32 s23, s22, vcc_lo
	s_and_saveexec_b32 s22, s23
	s_cbranch_execz .LBB1222_156
; %bb.155:                              ;   in Loop: Header=BB1222_96 Depth=2
	s_waitcnt lgkmcnt(0)
	v_bcnt_u32_b32 v71, v71, v200
	ds_write_b32 v205, v71 offset:544
.LBB1222_156:                           ;   in Loop: Header=BB1222_96 Depth=2
	s_or_b32 exec_lo, exec_lo, s22
	v_cmp_lt_i64_e32 vcc_lo, -1, v[53:54]
	v_ashrrev_i32_e32 v72, 31, v54
	; wave barrier
	v_xor_b32_e32 v53, v72, v53
	v_cndmask_b32_e64 v71, -1, 0x80000000, vcc_lo
	v_xor_b32_e32 v54, v71, v54
	v_cmp_ne_u64_e32 vcc_lo, s[46:47], v[53:54]
	v_cndmask_b32_e32 v72, 0x80000000, v54, vcc_lo
	v_cndmask_b32_e32 v71, 0, v53, vcc_lo
	v_lshrrev_b64 v[71:72], s63, v[71:72]
	v_and_b32_e32 v72, s65, v71
	v_and_b32_e32 v71, 1, v72
	v_lshlrev_b32_e32 v73, 30, v72
	v_lshlrev_b32_e32 v74, 29, v72
	;; [unrolled: 1-line block ×4, first 2 shown]
	v_add_co_u32 v71, s22, v71, -1
	v_cndmask_b32_e64 v203, 0, 1, s22
	v_not_b32_e32 v208, v73
	v_cmp_gt_i32_e64 s22, 0, v73
	v_not_b32_e32 v73, v74
	v_lshlrev_b32_e32 v207, 26, v72
	v_cmp_ne_u32_e32 vcc_lo, 0, v203
	v_ashrrev_i32_e32 v208, 31, v208
	v_lshlrev_b32_e32 v203, 25, v72
	v_ashrrev_i32_e32 v73, 31, v73
	v_xor_b32_e32 v71, vcc_lo, v71
	v_cmp_gt_i32_e32 vcc_lo, 0, v74
	v_not_b32_e32 v74, v204
	v_xor_b32_e32 v208, s22, v208
	v_cmp_gt_i32_e64 s22, 0, v204
	v_and_b32_e32 v71, exec_lo, v71
	v_not_b32_e32 v204, v206
	v_ashrrev_i32_e32 v74, 31, v74
	v_xor_b32_e32 v73, vcc_lo, v73
	v_cmp_gt_i32_e32 vcc_lo, 0, v206
	v_and_b32_e32 v71, v71, v208
	v_not_b32_e32 v206, v207
	v_ashrrev_i32_e32 v204, 31, v204
	v_xor_b32_e32 v74, s22, v74
	v_cmp_gt_i32_e64 s22, 0, v207
	v_and_b32_e32 v71, v71, v73
	v_not_b32_e32 v73, v203
	v_ashrrev_i32_e32 v206, 31, v206
	v_xor_b32_e32 v204, vcc_lo, v204
	v_cmp_gt_i32_e32 vcc_lo, 0, v203
	v_and_b32_e32 v71, v71, v74
	v_ashrrev_i32_e32 v73, 31, v73
	v_xor_b32_e32 v74, s22, v206
	v_mad_u32_u24 v203, v72, 36, v150
	v_mul_u32_u24_e32 v72, 36, v72
	v_and_b32_e32 v71, v71, v204
	v_xor_b32_e32 v73, vcc_lo, v73
	ds_read_b32 v203, v203 offset:544
	v_add_nc_u32_e32 v208, v150, v72
	v_and_b32_e32 v71, v71, v74
	; wave barrier
	v_and_b32_e32 v71, v71, v73
	v_mbcnt_lo_u32_b32 v204, v71, 0
	v_cmp_ne_u32_e64 s22, 0, v71
	v_cmp_eq_u32_e32 vcc_lo, 0, v204
	s_and_b32 s23, s22, vcc_lo
	s_and_saveexec_b32 s22, s23
	s_cbranch_execz .LBB1222_158
; %bb.157:                              ;   in Loop: Header=BB1222_96 Depth=2
	s_waitcnt lgkmcnt(0)
	v_bcnt_u32_b32 v71, v71, v203
	ds_write_b32 v208, v71 offset:544
.LBB1222_158:                           ;   in Loop: Header=BB1222_96 Depth=2
	s_or_b32 exec_lo, exec_lo, s22
	v_cmp_lt_i64_e32 vcc_lo, -1, v[51:52]
	v_ashrrev_i32_e32 v72, 31, v52
	; wave barrier
	v_xor_b32_e32 v51, v72, v51
	v_cndmask_b32_e64 v71, -1, 0x80000000, vcc_lo
	v_xor_b32_e32 v52, v71, v52
	v_cmp_ne_u64_e32 vcc_lo, s[46:47], v[51:52]
	v_cndmask_b32_e32 v72, 0x80000000, v52, vcc_lo
	v_cndmask_b32_e32 v71, 0, v51, vcc_lo
	v_lshrrev_b64 v[71:72], s63, v[71:72]
	v_and_b32_e32 v72, s65, v71
	v_and_b32_e32 v71, 1, v72
	v_lshlrev_b32_e32 v73, 30, v72
	v_lshlrev_b32_e32 v74, 29, v72
	;; [unrolled: 1-line block ×4, first 2 shown]
	v_add_co_u32 v71, s22, v71, -1
	v_cndmask_b32_e64 v206, 0, 1, s22
	v_not_b32_e32 v211, v73
	v_cmp_gt_i32_e64 s22, 0, v73
	v_not_b32_e32 v73, v74
	v_lshlrev_b32_e32 v210, 26, v72
	v_cmp_ne_u32_e32 vcc_lo, 0, v206
	v_ashrrev_i32_e32 v211, 31, v211
	v_lshlrev_b32_e32 v206, 25, v72
	v_ashrrev_i32_e32 v73, 31, v73
	v_xor_b32_e32 v71, vcc_lo, v71
	v_cmp_gt_i32_e32 vcc_lo, 0, v74
	v_not_b32_e32 v74, v207
	v_xor_b32_e32 v211, s22, v211
	v_cmp_gt_i32_e64 s22, 0, v207
	v_and_b32_e32 v71, exec_lo, v71
	v_not_b32_e32 v207, v209
	v_ashrrev_i32_e32 v74, 31, v74
	v_xor_b32_e32 v73, vcc_lo, v73
	v_cmp_gt_i32_e32 vcc_lo, 0, v209
	v_and_b32_e32 v71, v71, v211
	v_not_b32_e32 v209, v210
	v_ashrrev_i32_e32 v207, 31, v207
	v_xor_b32_e32 v74, s22, v74
	v_cmp_gt_i32_e64 s22, 0, v210
	v_and_b32_e32 v71, v71, v73
	v_not_b32_e32 v73, v206
	v_ashrrev_i32_e32 v209, 31, v209
	v_xor_b32_e32 v207, vcc_lo, v207
	v_cmp_gt_i32_e32 vcc_lo, 0, v206
	v_and_b32_e32 v71, v71, v74
	v_ashrrev_i32_e32 v73, 31, v73
	v_xor_b32_e32 v74, s22, v209
	v_mad_u32_u24 v206, v72, 36, v150
	v_mul_u32_u24_e32 v72, 36, v72
	v_and_b32_e32 v71, v71, v207
	v_xor_b32_e32 v73, vcc_lo, v73
	ds_read_b32 v206, v206 offset:544
	v_add_nc_u32_e32 v211, v150, v72
	v_and_b32_e32 v71, v71, v74
	; wave barrier
	v_and_b32_e32 v71, v71, v73
	v_mbcnt_lo_u32_b32 v207, v71, 0
	v_cmp_ne_u32_e64 s22, 0, v71
	v_cmp_eq_u32_e32 vcc_lo, 0, v207
	s_and_b32 s23, s22, vcc_lo
	s_and_saveexec_b32 s22, s23
	s_cbranch_execz .LBB1222_160
; %bb.159:                              ;   in Loop: Header=BB1222_96 Depth=2
	s_waitcnt lgkmcnt(0)
	v_bcnt_u32_b32 v71, v71, v206
	ds_write_b32 v211, v71 offset:544
.LBB1222_160:                           ;   in Loop: Header=BB1222_96 Depth=2
	s_or_b32 exec_lo, exec_lo, s22
	v_cmp_lt_i64_e32 vcc_lo, -1, v[45:46]
	v_ashrrev_i32_e32 v72, 31, v46
	; wave barrier
	v_xor_b32_e32 v45, v72, v45
	v_cndmask_b32_e64 v71, -1, 0x80000000, vcc_lo
	v_xor_b32_e32 v46, v71, v46
	v_cmp_ne_u64_e32 vcc_lo, s[46:47], v[45:46]
	v_cndmask_b32_e32 v72, 0x80000000, v46, vcc_lo
	v_cndmask_b32_e32 v71, 0, v45, vcc_lo
	v_lshrrev_b64 v[71:72], s63, v[71:72]
	v_and_b32_e32 v72, s65, v71
	v_and_b32_e32 v71, 1, v72
	v_lshlrev_b32_e32 v73, 30, v72
	v_lshlrev_b32_e32 v74, 29, v72
	;; [unrolled: 1-line block ×4, first 2 shown]
	v_add_co_u32 v71, s22, v71, -1
	v_cndmask_b32_e64 v209, 0, 1, s22
	v_not_b32_e32 v214, v73
	v_cmp_gt_i32_e64 s22, 0, v73
	v_not_b32_e32 v73, v74
	v_lshlrev_b32_e32 v213, 26, v72
	v_cmp_ne_u32_e32 vcc_lo, 0, v209
	v_ashrrev_i32_e32 v214, 31, v214
	v_lshlrev_b32_e32 v209, 25, v72
	v_ashrrev_i32_e32 v73, 31, v73
	v_xor_b32_e32 v71, vcc_lo, v71
	v_cmp_gt_i32_e32 vcc_lo, 0, v74
	v_not_b32_e32 v74, v210
	v_xor_b32_e32 v214, s22, v214
	v_cmp_gt_i32_e64 s22, 0, v210
	v_and_b32_e32 v71, exec_lo, v71
	v_not_b32_e32 v210, v212
	v_ashrrev_i32_e32 v74, 31, v74
	v_xor_b32_e32 v73, vcc_lo, v73
	v_cmp_gt_i32_e32 vcc_lo, 0, v212
	v_and_b32_e32 v71, v71, v214
	v_not_b32_e32 v212, v213
	v_ashrrev_i32_e32 v210, 31, v210
	v_xor_b32_e32 v74, s22, v74
	v_cmp_gt_i32_e64 s22, 0, v213
	v_and_b32_e32 v71, v71, v73
	v_not_b32_e32 v73, v209
	v_ashrrev_i32_e32 v212, 31, v212
	v_xor_b32_e32 v210, vcc_lo, v210
	v_cmp_gt_i32_e32 vcc_lo, 0, v209
	v_and_b32_e32 v71, v71, v74
	v_ashrrev_i32_e32 v73, 31, v73
	v_xor_b32_e32 v74, s22, v212
	v_mad_u32_u24 v209, v72, 36, v150
	v_mul_u32_u24_e32 v72, 36, v72
	v_and_b32_e32 v71, v71, v210
	v_xor_b32_e32 v73, vcc_lo, v73
	ds_read_b32 v209, v209 offset:544
	v_add_nc_u32_e32 v214, v150, v72
	v_and_b32_e32 v71, v71, v74
	; wave barrier
	v_and_b32_e32 v71, v71, v73
	v_mbcnt_lo_u32_b32 v210, v71, 0
	v_cmp_ne_u32_e64 s22, 0, v71
	v_cmp_eq_u32_e32 vcc_lo, 0, v210
	s_and_b32 s23, s22, vcc_lo
	s_and_saveexec_b32 s22, s23
	s_cbranch_execz .LBB1222_162
; %bb.161:                              ;   in Loop: Header=BB1222_96 Depth=2
	s_waitcnt lgkmcnt(0)
	v_bcnt_u32_b32 v71, v71, v209
	ds_write_b32 v214, v71 offset:544
.LBB1222_162:                           ;   in Loop: Header=BB1222_96 Depth=2
	s_or_b32 exec_lo, exec_lo, s22
	v_cmp_lt_i64_e32 vcc_lo, -1, v[47:48]
	v_ashrrev_i32_e32 v72, 31, v48
	; wave barrier
	v_xor_b32_e32 v47, v72, v47
	v_cndmask_b32_e64 v71, -1, 0x80000000, vcc_lo
	v_xor_b32_e32 v48, v71, v48
	v_cmp_ne_u64_e32 vcc_lo, s[46:47], v[47:48]
	v_cndmask_b32_e32 v72, 0x80000000, v48, vcc_lo
	v_cndmask_b32_e32 v71, 0, v47, vcc_lo
	v_lshrrev_b64 v[71:72], s63, v[71:72]
	v_and_b32_e32 v72, s65, v71
	v_and_b32_e32 v71, 1, v72
	v_lshlrev_b32_e32 v73, 30, v72
	v_lshlrev_b32_e32 v74, 29, v72
	;; [unrolled: 1-line block ×4, first 2 shown]
	v_add_co_u32 v71, s22, v71, -1
	v_cndmask_b32_e64 v212, 0, 1, s22
	v_not_b32_e32 v217, v73
	v_cmp_gt_i32_e64 s22, 0, v73
	v_not_b32_e32 v73, v74
	v_lshlrev_b32_e32 v216, 26, v72
	v_cmp_ne_u32_e32 vcc_lo, 0, v212
	v_ashrrev_i32_e32 v217, 31, v217
	v_lshlrev_b32_e32 v212, 25, v72
	v_ashrrev_i32_e32 v73, 31, v73
	v_xor_b32_e32 v71, vcc_lo, v71
	v_cmp_gt_i32_e32 vcc_lo, 0, v74
	v_not_b32_e32 v74, v213
	v_xor_b32_e32 v217, s22, v217
	v_cmp_gt_i32_e64 s22, 0, v213
	v_and_b32_e32 v71, exec_lo, v71
	v_not_b32_e32 v213, v215
	v_ashrrev_i32_e32 v74, 31, v74
	v_xor_b32_e32 v73, vcc_lo, v73
	v_cmp_gt_i32_e32 vcc_lo, 0, v215
	v_and_b32_e32 v71, v71, v217
	v_not_b32_e32 v215, v216
	v_ashrrev_i32_e32 v213, 31, v213
	v_xor_b32_e32 v74, s22, v74
	v_cmp_gt_i32_e64 s22, 0, v216
	v_and_b32_e32 v71, v71, v73
	v_not_b32_e32 v73, v212
	v_ashrrev_i32_e32 v215, 31, v215
	v_xor_b32_e32 v213, vcc_lo, v213
	v_cmp_gt_i32_e32 vcc_lo, 0, v212
	v_and_b32_e32 v71, v71, v74
	v_ashrrev_i32_e32 v73, 31, v73
	v_xor_b32_e32 v74, s22, v215
	v_mad_u32_u24 v212, v72, 36, v150
	v_mul_u32_u24_e32 v72, 36, v72
	v_and_b32_e32 v71, v71, v213
	v_xor_b32_e32 v73, vcc_lo, v73
	ds_read_b32 v212, v212 offset:544
	v_add_nc_u32_e32 v215, v150, v72
	v_and_b32_e32 v71, v71, v74
	; wave barrier
	v_and_b32_e32 v71, v71, v73
	v_mbcnt_lo_u32_b32 v213, v71, 0
	v_cmp_ne_u32_e64 s22, 0, v71
	v_cmp_eq_u32_e32 vcc_lo, 0, v213
	s_and_b32 s23, s22, vcc_lo
	s_and_saveexec_b32 s22, s23
	s_cbranch_execz .LBB1222_164
; %bb.163:                              ;   in Loop: Header=BB1222_96 Depth=2
	s_waitcnt lgkmcnt(0)
	v_bcnt_u32_b32 v71, v71, v212
	ds_write_b32 v215, v71 offset:544
.LBB1222_164:                           ;   in Loop: Header=BB1222_96 Depth=2
	s_or_b32 exec_lo, exec_lo, s22
	; wave barrier
	s_waitcnt lgkmcnt(0)
	s_barrier
	buffer_gl0_inv
	ds_read2_b32 v[73:74], v100 offset0:136 offset1:137
	ds_read2_b32 v[71:72], v100 offset0:138 offset1:139
	ds_read_b32 v216, v100 offset:560
	s_waitcnt lgkmcnt(1)
	v_add3_u32 v217, v74, v73, v71
	s_waitcnt lgkmcnt(0)
	v_add3_u32 v216, v217, v72, v216
	v_mov_b32_dpp v217, v216 row_shr:1 row_mask:0xf bank_mask:0xf
	v_cndmask_b32_e64 v217, v217, 0, s13
	v_add_nc_u32_e32 v216, v217, v216
	v_mov_b32_dpp v217, v216 row_shr:2 row_mask:0xf bank_mask:0xf
	v_cndmask_b32_e64 v217, 0, v217, s14
	v_add_nc_u32_e32 v216, v216, v217
	;; [unrolled: 3-line block ×4, first 2 shown]
	ds_swizzle_b32 v217, v216 offset:swizzle(BROADCAST,32,15)
	s_waitcnt lgkmcnt(0)
	v_cndmask_b32_e64 v217, v217, 0, s17
	v_add_nc_u32_e32 v216, v216, v217
	s_and_saveexec_b32 s22, s4
; %bb.165:                              ;   in Loop: Header=BB1222_96 Depth=2
	ds_write_b32 v94, v216 offset:512
; %bb.166:                              ;   in Loop: Header=BB1222_96 Depth=2
	s_or_b32 exec_lo, exec_lo, s22
	s_waitcnt lgkmcnt(0)
	s_barrier
	buffer_gl0_inv
	s_and_saveexec_b32 s22, s5
	s_cbranch_execz .LBB1222_168
; %bb.167:                              ;   in Loop: Header=BB1222_96 Depth=2
	ds_read_b32 v217, v101 offset:512
	s_waitcnt lgkmcnt(0)
	v_mov_b32_dpp v218, v217 row_shr:1 row_mask:0xf bank_mask:0xf
	v_cndmask_b32_e64 v218, v218, 0, s19
	v_add_nc_u32_e32 v217, v218, v217
	v_mov_b32_dpp v218, v217 row_shr:2 row_mask:0xf bank_mask:0xf
	v_cndmask_b32_e64 v218, 0, v218, s20
	v_add_nc_u32_e32 v217, v217, v218
	;; [unrolled: 3-line block ×3, first 2 shown]
	ds_write_b32 v101, v217 offset:512
.LBB1222_168:                           ;   in Loop: Header=BB1222_96 Depth=2
	s_or_b32 exec_lo, exec_lo, s22
	v_mov_b32_e32 v217, 0
	s_waitcnt lgkmcnt(0)
	s_barrier
	buffer_gl0_inv
	s_and_saveexec_b32 s22, s10
; %bb.169:                              ;   in Loop: Header=BB1222_96 Depth=2
	ds_read_b32 v217, v94 offset:508
; %bb.170:                              ;   in Loop: Header=BB1222_96 Depth=2
	s_or_b32 exec_lo, exec_lo, s22
	s_waitcnt lgkmcnt(0)
	v_add_nc_u32_e32 v216, v217, v216
	ds_bpermute_b32 v216, v129, v216
	s_waitcnt lgkmcnt(0)
	v_cndmask_b32_e64 v216, v216, v217, s18
	v_cndmask_b32_e64 v216, v216, 0, s11
	v_add_nc_u32_e32 v73, v216, v73
	v_add_nc_u32_e32 v74, v73, v74
	v_add_nc_u32_e32 v71, v74, v71
	v_add_nc_u32_e32 v72, v71, v72
	ds_write2_b32 v100, v216, v73 offset0:136 offset1:137
	ds_write2_b32 v100, v74, v71 offset0:138 offset1:139
	ds_write_b32 v100, v72 offset:560
	s_waitcnt lgkmcnt(0)
	s_barrier
	buffer_gl0_inv
	ds_read_b32 v71, v170 offset:544
	ds_read_b32 v219, v173 offset:544
	;; [unrolled: 1-line block ×16, first 2 shown]
	s_and_saveexec_b32 s22, s7
	s_cbranch_execz .LBB1222_174
; %bb.171:                              ;   in Loop: Header=BB1222_96 Depth=2
	ds_read_b32 v158, v103 offset:544
	v_mov_b32_e32 v168, 0x1000
	s_and_saveexec_b32 s23, s12
; %bb.172:                              ;   in Loop: Header=BB1222_96 Depth=2
	ds_read_b32 v168, v102 offset:544
; %bb.173:                              ;   in Loop: Header=BB1222_96 Depth=2
	s_or_b32 exec_lo, exec_lo, s23
	s_waitcnt lgkmcnt(0)
	v_sub_nc_u32_e32 v168, v168, v158
.LBB1222_174:                           ;   in Loop: Header=BB1222_96 Depth=2
	s_or_b32 exec_lo, exec_lo, s22
	s_waitcnt lgkmcnt(0)
	s_barrier
	buffer_gl0_inv
	s_and_saveexec_b32 s22, s7
	s_cbranch_execz .LBB1222_176
; %bb.175:                              ;   in Loop: Header=BB1222_96 Depth=2
	ds_read_b32 v194, v75
	s_waitcnt lgkmcnt(0)
	v_sub_nc_u32_e32 v194, v194, v158
	ds_write_b32 v75, v194
.LBB1222_176:                           ;   in Loop: Header=BB1222_96 Depth=2
	s_or_b32 exec_lo, exec_lo, s22
	v_lshlrev_b32_e32 v3, 3, v3
	v_lshlrev_b32_e32 v172, 3, v172
	;; [unrolled: 1-line block ×5, first 2 shown]
	v_lshl_add_u32 v71, v71, 3, v3
	v_lshlrev_b32_e32 v3, 3, v174
	v_lshlrev_b32_e32 v174, 3, v72
	;; [unrolled: 1-line block ×3, first 2 shown]
	v_add3_u32 v72, v172, v171, v194
	ds_write_b64 v71, v[39:40] offset:512
	v_lshlrev_b32_e32 v39, 3, v177
	v_lshlrev_b32_e32 v40, 3, v218
	;; [unrolled: 1-line block ×8, first 2 shown]
	ds_write_b64 v72, v[41:42] offset:512
	v_add3_u32 v41, v175, v3, v174
	v_add3_u32 v42, v178, v39, v40
	v_lshlrev_b32_e32 v3, 3, v187
	v_lshlrev_b32_e32 v39, 3, v186
	;; [unrolled: 1-line block ×3, first 2 shown]
	v_add3_u32 v73, v171, v172, v74
	v_add3_u32 v74, v177, v180, v181
	ds_write_b64 v41, v[43:44] offset:512
	ds_write_b64 v42, v[49:50] offset:512
	;; [unrolled: 1-line block ×4, first 2 shown]
	v_add3_u32 v43, v3, v39, v40
	v_lshlrev_b32_e32 v3, 3, v190
	v_lshlrev_b32_e32 v39, 3, v189
	v_lshlrev_b32_e32 v40, 3, v216
	v_lshlrev_b32_e32 v49, 3, v193
	v_lshlrev_b32_e32 v50, 3, v192
	v_lshlrev_b32_e32 v55, 3, v191
	v_lshlrev_b32_e32 v56, 3, v196
	v_lshlrev_b32_e32 v59, 3, v195
	v_lshlrev_b32_e32 v60, 3, v188
	v_lshlrev_b32_e32 v171, 3, v199
	v_lshlrev_b32_e32 v172, 3, v197
	v_lshlrev_b32_e32 v174, 3, v185
	v_add3_u32 v44, v3, v39, v40
	v_lshlrev_b32_e32 v3, 3, v201
	v_lshlrev_b32_e32 v39, 3, v200
	;; [unrolled: 1-line block ×3, first 2 shown]
	v_add3_u32 v49, v49, v50, v55
	v_add3_u32 v50, v56, v59, v60
	;; [unrolled: 1-line block ×3, first 2 shown]
	ds_write_b64 v43, v[63:64] offset:512
	ds_write_b64 v44, v[67:68] offset:512
	ds_write_b64 v49, v[69:70] offset:512
	ds_write_b64 v50, v[65:66] offset:512
	ds_write_b64 v55, v[61:62] offset:512
	v_add3_u32 v56, v3, v39, v40
	v_lshlrev_b32_e32 v3, 3, v204
	v_lshlrev_b32_e32 v39, 3, v203
	;; [unrolled: 1-line block ×12, first 2 shown]
	v_add3_u32 v59, v3, v39, v40
	v_add3_u32 v60, v60, v61, v62
	;; [unrolled: 1-line block ×3, first 2 shown]
	ds_write_b64 v56, v[57:58] offset:512
	v_add3_u32 v57, v66, v67, v68
	v_cmp_lt_u32_e32 vcc_lo, v0, v169
	ds_write_b64 v59, v[53:54] offset:512
	ds_write_b64 v60, v[51:52] offset:512
	;; [unrolled: 1-line block ×4, first 2 shown]
	s_waitcnt lgkmcnt(0)
	s_barrier
	buffer_gl0_inv
	s_and_saveexec_b32 s23, vcc_lo
	s_cbranch_execnz .LBB1222_245
; %bb.177:                              ;   in Loop: Header=BB1222_96 Depth=2
	s_or_b32 exec_lo, exec_lo, s23
	v_cmp_lt_u32_e64 s22, v76, v169
	s_and_saveexec_b32 s24, s22
	s_cbranch_execnz .LBB1222_246
.LBB1222_178:                           ;   in Loop: Header=BB1222_96 Depth=2
	s_or_b32 exec_lo, exec_lo, s24
	v_cmp_lt_u32_e64 s23, v79, v169
	s_and_saveexec_b32 s25, s23
	s_cbranch_execnz .LBB1222_247
.LBB1222_179:                           ;   in Loop: Header=BB1222_96 Depth=2
	s_or_b32 exec_lo, exec_lo, s25
	v_cmp_lt_u32_e64 s24, v80, v169
	s_and_saveexec_b32 s26, s24
	s_cbranch_execnz .LBB1222_248
.LBB1222_180:                           ;   in Loop: Header=BB1222_96 Depth=2
	s_or_b32 exec_lo, exec_lo, s26
	v_cmp_lt_u32_e64 s25, v81, v169
	s_and_saveexec_b32 s27, s25
	s_cbranch_execnz .LBB1222_249
.LBB1222_181:                           ;   in Loop: Header=BB1222_96 Depth=2
	s_or_b32 exec_lo, exec_lo, s27
	v_cmp_lt_u32_e64 s26, v82, v169
	s_and_saveexec_b32 s28, s26
	s_cbranch_execnz .LBB1222_250
.LBB1222_182:                           ;   in Loop: Header=BB1222_96 Depth=2
	s_or_b32 exec_lo, exec_lo, s28
	v_cmp_lt_u32_e64 s27, v83, v169
	s_and_saveexec_b32 s30, s27
	s_cbranch_execnz .LBB1222_251
.LBB1222_183:                           ;   in Loop: Header=BB1222_96 Depth=2
	s_or_b32 exec_lo, exec_lo, s30
	v_cmp_lt_u32_e64 s28, v84, v169
	s_and_saveexec_b32 s31, s28
	s_cbranch_execnz .LBB1222_252
.LBB1222_184:                           ;   in Loop: Header=BB1222_96 Depth=2
	s_or_b32 exec_lo, exec_lo, s31
	v_cmp_lt_u32_e64 s30, v85, v169
	s_and_saveexec_b32 s33, s30
	s_cbranch_execnz .LBB1222_253
.LBB1222_185:                           ;   in Loop: Header=BB1222_96 Depth=2
	s_or_b32 exec_lo, exec_lo, s33
	v_cmp_lt_u32_e64 s31, v86, v169
	s_and_saveexec_b32 s34, s31
	s_cbranch_execnz .LBB1222_254
.LBB1222_186:                           ;   in Loop: Header=BB1222_96 Depth=2
	s_or_b32 exec_lo, exec_lo, s34
	v_cmp_lt_u32_e64 s33, v87, v169
	s_and_saveexec_b32 s35, s33
	s_cbranch_execnz .LBB1222_255
.LBB1222_187:                           ;   in Loop: Header=BB1222_96 Depth=2
	s_or_b32 exec_lo, exec_lo, s35
	v_cmp_lt_u32_e64 s34, v88, v169
	s_and_saveexec_b32 s36, s34
	s_cbranch_execnz .LBB1222_256
.LBB1222_188:                           ;   in Loop: Header=BB1222_96 Depth=2
	s_or_b32 exec_lo, exec_lo, s36
	v_cmp_lt_u32_e64 s35, v89, v169
	s_and_saveexec_b32 s37, s35
	s_cbranch_execnz .LBB1222_257
.LBB1222_189:                           ;   in Loop: Header=BB1222_96 Depth=2
	s_or_b32 exec_lo, exec_lo, s37
	v_cmp_lt_u32_e64 s36, v90, v169
	s_and_saveexec_b32 s38, s36
	s_cbranch_execnz .LBB1222_258
.LBB1222_190:                           ;   in Loop: Header=BB1222_96 Depth=2
	s_or_b32 exec_lo, exec_lo, s38
	v_cmp_lt_u32_e64 s37, v91, v169
	s_and_saveexec_b32 s39, s37
	s_cbranch_execnz .LBB1222_259
.LBB1222_191:                           ;   in Loop: Header=BB1222_96 Depth=2
	s_or_b32 exec_lo, exec_lo, s39
	v_cmp_lt_u32_e64 s38, v92, v169
	s_and_saveexec_b32 s68, s38
	s_cbranch_execz .LBB1222_193
.LBB1222_192:                           ;   in Loop: Header=BB1222_96 Depth=2
	ds_read_b64 v[39:40], v108 offset:31232
	s_waitcnt lgkmcnt(0)
	v_cmp_ne_u64_e64 s39, s[46:47], v[39:40]
	v_cndmask_b32_e64 v46, 0x80000000, v40, s39
	v_cndmask_b32_e64 v45, 0, v39, s39
	v_cmp_lt_i64_e64 s39, -1, v[39:40]
	v_lshrrev_b64 v[45:46], s63, v[45:46]
	v_cndmask_b32_e64 v47, 0x80000000, -1, s39
	v_and_b32_e32 v3, s65, v45
	v_ashrrev_i32_e32 v45, 31, v40
	v_xor_b32_e32 v40, v47, v40
	v_lshlrev_b32_e32 v3, 2, v3
	v_not_b32_e32 v48, v45
	ds_read_b32 v3, v3
	v_xor_b32_e32 v39, v48, v39
	s_waitcnt lgkmcnt(0)
	v_add_nc_u32_e32 v3, v3, v92
	v_lshlrev_b64 v[45:46], 3, v[3:4]
	v_add_co_u32 v45, s39, s42, v45
	v_add_co_ci_u32_e64 v46, null, s43, v46, s39
	global_store_dwordx2 v[45:46], v[39:40], off
.LBB1222_193:                           ;   in Loop: Header=BB1222_96 Depth=2
	s_or_b32 exec_lo, exec_lo, s68
	s_lshl_b64 s[68:69], s[56:57], 3
	v_add_co_u32 v39, s39, v131, s68
	v_add_co_ci_u32_e64 v40, null, s69, v132, s39
	v_cmp_lt_u32_e64 s39, v130, v169
	s_and_saveexec_b32 s56, s39
	s_xor_b32 s39, exec_lo, s56
	s_cbranch_execnz .LBB1222_260
; %bb.194:                              ;   in Loop: Header=BB1222_96 Depth=2
	s_or_b32 exec_lo, exec_lo, s39
	s_mov_b32 s56, exec_lo
	v_cmpx_lt_u32_e64 v133, v169
	s_cbranch_execnz .LBB1222_261
.LBB1222_195:                           ;   in Loop: Header=BB1222_96 Depth=2
	s_or_b32 exec_lo, exec_lo, s56
	s_mov_b32 s56, exec_lo
	v_cmpx_lt_u32_e64 v134, v169
	s_cbranch_execnz .LBB1222_262
.LBB1222_196:                           ;   in Loop: Header=BB1222_96 Depth=2
	s_or_b32 exec_lo, exec_lo, s56
	s_mov_b32 s56, exec_lo
	v_cmpx_lt_u32_e64 v135, v169
	s_cbranch_execnz .LBB1222_263
.LBB1222_197:                           ;   in Loop: Header=BB1222_96 Depth=2
	s_or_b32 exec_lo, exec_lo, s56
	s_mov_b32 s56, exec_lo
	v_cmpx_lt_u32_e64 v136, v169
	s_cbranch_execnz .LBB1222_264
.LBB1222_198:                           ;   in Loop: Header=BB1222_96 Depth=2
	s_or_b32 exec_lo, exec_lo, s56
	s_mov_b32 s56, exec_lo
	v_cmpx_lt_u32_e64 v137, v169
	s_cbranch_execnz .LBB1222_265
.LBB1222_199:                           ;   in Loop: Header=BB1222_96 Depth=2
	s_or_b32 exec_lo, exec_lo, s56
	s_mov_b32 s56, exec_lo
	v_cmpx_lt_u32_e64 v138, v169
	s_cbranch_execnz .LBB1222_266
.LBB1222_200:                           ;   in Loop: Header=BB1222_96 Depth=2
	s_or_b32 exec_lo, exec_lo, s56
	s_mov_b32 s56, exec_lo
	v_cmpx_lt_u32_e64 v139, v169
	s_cbranch_execnz .LBB1222_267
.LBB1222_201:                           ;   in Loop: Header=BB1222_96 Depth=2
	s_or_b32 exec_lo, exec_lo, s56
	s_mov_b32 s56, exec_lo
	v_cmpx_lt_u32_e64 v140, v169
	s_cbranch_execnz .LBB1222_268
.LBB1222_202:                           ;   in Loop: Header=BB1222_96 Depth=2
	s_or_b32 exec_lo, exec_lo, s56
	s_mov_b32 s56, exec_lo
	v_cmpx_lt_u32_e64 v141, v169
	s_cbranch_execnz .LBB1222_269
.LBB1222_203:                           ;   in Loop: Header=BB1222_96 Depth=2
	s_or_b32 exec_lo, exec_lo, s56
	s_mov_b32 s56, exec_lo
	v_cmpx_lt_u32_e64 v142, v169
	s_cbranch_execnz .LBB1222_270
.LBB1222_204:                           ;   in Loop: Header=BB1222_96 Depth=2
	s_or_b32 exec_lo, exec_lo, s56
	s_mov_b32 s56, exec_lo
	v_cmpx_lt_u32_e64 v143, v169
	s_cbranch_execnz .LBB1222_271
.LBB1222_205:                           ;   in Loop: Header=BB1222_96 Depth=2
	s_or_b32 exec_lo, exec_lo, s56
	s_mov_b32 s56, exec_lo
	v_cmpx_lt_u32_e64 v144, v169
	s_cbranch_execnz .LBB1222_272
.LBB1222_206:                           ;   in Loop: Header=BB1222_96 Depth=2
	s_or_b32 exec_lo, exec_lo, s56
	s_mov_b32 s56, exec_lo
	v_cmpx_lt_u32_e64 v145, v169
	s_cbranch_execnz .LBB1222_273
.LBB1222_207:                           ;   in Loop: Header=BB1222_96 Depth=2
	s_or_b32 exec_lo, exec_lo, s56
	s_mov_b32 s56, exec_lo
	v_cmpx_lt_u32_e64 v146, v169
	s_cbranch_execnz .LBB1222_274
.LBB1222_208:                           ;   in Loop: Header=BB1222_96 Depth=2
	s_or_b32 exec_lo, exec_lo, s56
	s_mov_b32 s56, exec_lo
	v_cmpx_lt_u32_e64 v147, v169
	s_cbranch_execnz .LBB1222_275
.LBB1222_209:                           ;   in Loop: Header=BB1222_96 Depth=2
	s_or_b32 exec_lo, exec_lo, s56
	s_and_saveexec_b32 s56, vcc_lo
	s_cbranch_execnz .LBB1222_276
.LBB1222_210:                           ;   in Loop: Header=BB1222_96 Depth=2
	s_or_b32 exec_lo, exec_lo, s56
	s_and_saveexec_b32 s56, s22
	s_cbranch_execnz .LBB1222_277
.LBB1222_211:                           ;   in Loop: Header=BB1222_96 Depth=2
	s_or_b32 exec_lo, exec_lo, s56
	s_and_saveexec_b32 s56, s23
	s_cbranch_execnz .LBB1222_278
.LBB1222_212:                           ;   in Loop: Header=BB1222_96 Depth=2
	s_or_b32 exec_lo, exec_lo, s56
	s_and_saveexec_b32 s56, s24
	s_cbranch_execnz .LBB1222_279
.LBB1222_213:                           ;   in Loop: Header=BB1222_96 Depth=2
	s_or_b32 exec_lo, exec_lo, s56
	s_and_saveexec_b32 s56, s25
	s_cbranch_execnz .LBB1222_280
.LBB1222_214:                           ;   in Loop: Header=BB1222_96 Depth=2
	s_or_b32 exec_lo, exec_lo, s56
	s_and_saveexec_b32 s56, s26
	s_cbranch_execnz .LBB1222_281
.LBB1222_215:                           ;   in Loop: Header=BB1222_96 Depth=2
	s_or_b32 exec_lo, exec_lo, s56
	s_and_saveexec_b32 s56, s27
	s_cbranch_execnz .LBB1222_282
.LBB1222_216:                           ;   in Loop: Header=BB1222_96 Depth=2
	s_or_b32 exec_lo, exec_lo, s56
	s_and_saveexec_b32 s56, s28
	s_cbranch_execnz .LBB1222_283
.LBB1222_217:                           ;   in Loop: Header=BB1222_96 Depth=2
	s_or_b32 exec_lo, exec_lo, s56
	s_and_saveexec_b32 s56, s30
	s_cbranch_execnz .LBB1222_284
.LBB1222_218:                           ;   in Loop: Header=BB1222_96 Depth=2
	s_or_b32 exec_lo, exec_lo, s56
	s_and_saveexec_b32 s56, s31
	s_cbranch_execnz .LBB1222_285
.LBB1222_219:                           ;   in Loop: Header=BB1222_96 Depth=2
	s_or_b32 exec_lo, exec_lo, s56
	s_and_saveexec_b32 s56, s33
	s_cbranch_execnz .LBB1222_286
.LBB1222_220:                           ;   in Loop: Header=BB1222_96 Depth=2
	s_or_b32 exec_lo, exec_lo, s56
	s_and_saveexec_b32 s56, s34
	s_cbranch_execnz .LBB1222_287
.LBB1222_221:                           ;   in Loop: Header=BB1222_96 Depth=2
	s_or_b32 exec_lo, exec_lo, s56
	s_and_saveexec_b32 s56, s35
	s_cbranch_execnz .LBB1222_288
.LBB1222_222:                           ;   in Loop: Header=BB1222_96 Depth=2
	s_or_b32 exec_lo, exec_lo, s56
	s_and_saveexec_b32 s56, s36
	s_cbranch_execnz .LBB1222_289
.LBB1222_223:                           ;   in Loop: Header=BB1222_96 Depth=2
	s_or_b32 exec_lo, exec_lo, s56
	s_and_saveexec_b32 s56, s37
	s_cbranch_execnz .LBB1222_290
.LBB1222_224:                           ;   in Loop: Header=BB1222_96 Depth=2
	s_or_b32 exec_lo, exec_lo, s56
	s_and_saveexec_b32 s56, s38
	s_cbranch_execz .LBB1222_226
.LBB1222_225:                           ;   in Loop: Header=BB1222_96 Depth=2
	ds_read_b64 v[39:40], v108 offset:31232
	s_waitcnt lgkmcnt(0)
	v_cmp_ne_u64_e64 s39, s[46:47], v[39:40]
	v_cndmask_b32_e64 v40, 0x80000000, v40, s39
	v_cndmask_b32_e64 v39, 0, v39, s39
	v_lshrrev_b64 v[39:40], s63, v[39:40]
	v_and_b32_e32 v151, s65, v39
.LBB1222_226:                           ;   in Loop: Header=BB1222_96 Depth=2
	s_or_b32 exec_lo, exec_lo, s56
	s_waitcnt vmcnt(0)
	s_waitcnt_vscnt null, 0x0
	s_barrier
	buffer_gl0_inv
	ds_write_b64 v71, v[37:38] offset:512
	ds_write_b64 v72, v[35:36] offset:512
	;; [unrolled: 1-line block ×16, first 2 shown]
	s_waitcnt lgkmcnt(0)
	s_barrier
	buffer_gl0_inv
	s_and_saveexec_b32 s39, vcc_lo
	s_cbranch_execnz .LBB1222_291
; %bb.227:                              ;   in Loop: Header=BB1222_96 Depth=2
	s_or_b32 exec_lo, exec_lo, s39
	s_and_saveexec_b32 s39, s22
	s_cbranch_execnz .LBB1222_292
.LBB1222_228:                           ;   in Loop: Header=BB1222_96 Depth=2
	s_or_b32 exec_lo, exec_lo, s39
	s_and_saveexec_b32 s22, s23
	s_cbranch_execnz .LBB1222_293
.LBB1222_229:                           ;   in Loop: Header=BB1222_96 Depth=2
	s_or_b32 exec_lo, exec_lo, s22
	s_and_saveexec_b32 s22, s24
	s_cbranch_execnz .LBB1222_294
.LBB1222_230:                           ;   in Loop: Header=BB1222_96 Depth=2
	s_or_b32 exec_lo, exec_lo, s22
	s_and_saveexec_b32 s22, s25
	s_cbranch_execnz .LBB1222_295
.LBB1222_231:                           ;   in Loop: Header=BB1222_96 Depth=2
	s_or_b32 exec_lo, exec_lo, s22
	s_and_saveexec_b32 s22, s26
	s_cbranch_execnz .LBB1222_296
.LBB1222_232:                           ;   in Loop: Header=BB1222_96 Depth=2
	s_or_b32 exec_lo, exec_lo, s22
	s_and_saveexec_b32 s22, s27
	s_cbranch_execnz .LBB1222_297
.LBB1222_233:                           ;   in Loop: Header=BB1222_96 Depth=2
	s_or_b32 exec_lo, exec_lo, s22
	s_and_saveexec_b32 s22, s28
	s_cbranch_execnz .LBB1222_298
.LBB1222_234:                           ;   in Loop: Header=BB1222_96 Depth=2
	s_or_b32 exec_lo, exec_lo, s22
	s_and_saveexec_b32 s22, s30
	s_cbranch_execnz .LBB1222_299
.LBB1222_235:                           ;   in Loop: Header=BB1222_96 Depth=2
	s_or_b32 exec_lo, exec_lo, s22
	s_and_saveexec_b32 s22, s31
	s_cbranch_execnz .LBB1222_300
.LBB1222_236:                           ;   in Loop: Header=BB1222_96 Depth=2
	s_or_b32 exec_lo, exec_lo, s22
	s_and_saveexec_b32 s22, s33
	s_cbranch_execnz .LBB1222_301
.LBB1222_237:                           ;   in Loop: Header=BB1222_96 Depth=2
	s_or_b32 exec_lo, exec_lo, s22
	s_and_saveexec_b32 s22, s34
	s_cbranch_execnz .LBB1222_302
.LBB1222_238:                           ;   in Loop: Header=BB1222_96 Depth=2
	s_or_b32 exec_lo, exec_lo, s22
	s_and_saveexec_b32 s22, s35
	s_cbranch_execnz .LBB1222_303
.LBB1222_239:                           ;   in Loop: Header=BB1222_96 Depth=2
	s_or_b32 exec_lo, exec_lo, s22
	s_and_saveexec_b32 s22, s36
	s_cbranch_execnz .LBB1222_304
.LBB1222_240:                           ;   in Loop: Header=BB1222_96 Depth=2
	s_or_b32 exec_lo, exec_lo, s22
	s_and_saveexec_b32 s22, s37
	s_cbranch_execnz .LBB1222_305
.LBB1222_241:                           ;   in Loop: Header=BB1222_96 Depth=2
	s_or_b32 exec_lo, exec_lo, s22
	s_and_saveexec_b32 s22, s38
	s_cbranch_execz .LBB1222_243
.LBB1222_242:                           ;   in Loop: Header=BB1222_96 Depth=2
	v_lshlrev_b32_e32 v3, 2, v151
	ds_read_b32 v3, v3
	ds_read_b64 v[39:40], v108 offset:31232
	s_waitcnt lgkmcnt(1)
	v_add_nc_u32_e32 v3, v3, v92
	v_lshlrev_b64 v[41:42], 3, v[3:4]
	v_add_co_u32 v41, vcc_lo, s48, v41
	v_add_co_ci_u32_e64 v42, null, s49, v42, vcc_lo
	s_waitcnt lgkmcnt(0)
	global_store_dwordx2 v[41:42], v[39:40], off
.LBB1222_243:                           ;   in Loop: Header=BB1222_96 Depth=2
	s_or_b32 exec_lo, exec_lo, s22
	s_waitcnt_vscnt null, 0x0
	s_barrier
	buffer_gl0_inv
	s_and_saveexec_b32 s22, s7
	s_cbranch_execz .LBB1222_95
; %bb.244:                              ;   in Loop: Header=BB1222_96 Depth=2
	ds_read_b32 v3, v75
	s_waitcnt lgkmcnt(0)
	v_add3_u32 v3, v158, v168, v3
	ds_write_b32 v75, v3
	s_branch .LBB1222_95
.LBB1222_245:                           ;   in Loop: Header=BB1222_96 Depth=2
	ds_read_b64 v[39:40], v108 offset:512
	s_waitcnt lgkmcnt(0)
	v_cmp_ne_u64_e64 s22, s[46:47], v[39:40]
	v_cndmask_b32_e64 v46, 0x80000000, v40, s22
	v_cndmask_b32_e64 v45, 0, v39, s22
	v_cmp_lt_i64_e64 s22, -1, v[39:40]
	v_lshrrev_b64 v[45:46], s63, v[45:46]
	v_cndmask_b32_e64 v47, 0x80000000, -1, s22
	v_and_b32_e32 v3, s65, v45
	v_ashrrev_i32_e32 v45, 31, v40
	v_xor_b32_e32 v40, v47, v40
	v_lshlrev_b32_e32 v3, 2, v3
	v_not_b32_e32 v48, v45
	ds_read_b32 v3, v3
	v_xor_b32_e32 v39, v48, v39
	s_waitcnt lgkmcnt(0)
	v_add_nc_u32_e32 v3, v3, v0
	v_lshlrev_b64 v[45:46], 3, v[3:4]
	v_add_co_u32 v45, s22, s42, v45
	v_add_co_ci_u32_e64 v46, null, s43, v46, s22
	global_store_dwordx2 v[45:46], v[39:40], off
	s_or_b32 exec_lo, exec_lo, s23
	v_cmp_lt_u32_e64 s22, v76, v169
	s_and_saveexec_b32 s24, s22
	s_cbranch_execz .LBB1222_178
.LBB1222_246:                           ;   in Loop: Header=BB1222_96 Depth=2
	ds_read_b64 v[39:40], v108 offset:2560
	s_waitcnt lgkmcnt(0)
	v_cmp_ne_u64_e64 s23, s[46:47], v[39:40]
	v_cndmask_b32_e64 v46, 0x80000000, v40, s23
	v_cndmask_b32_e64 v45, 0, v39, s23
	v_cmp_lt_i64_e64 s23, -1, v[39:40]
	v_lshrrev_b64 v[45:46], s63, v[45:46]
	v_cndmask_b32_e64 v47, 0x80000000, -1, s23
	v_and_b32_e32 v3, s65, v45
	v_ashrrev_i32_e32 v45, 31, v40
	v_xor_b32_e32 v40, v47, v40
	v_lshlrev_b32_e32 v3, 2, v3
	v_not_b32_e32 v48, v45
	ds_read_b32 v3, v3
	v_xor_b32_e32 v39, v48, v39
	s_waitcnt lgkmcnt(0)
	v_add_nc_u32_e32 v3, v3, v76
	v_lshlrev_b64 v[45:46], 3, v[3:4]
	v_add_co_u32 v45, s23, s42, v45
	v_add_co_ci_u32_e64 v46, null, s43, v46, s23
	global_store_dwordx2 v[45:46], v[39:40], off
	s_or_b32 exec_lo, exec_lo, s24
	v_cmp_lt_u32_e64 s23, v79, v169
	s_and_saveexec_b32 s25, s23
	s_cbranch_execz .LBB1222_179
.LBB1222_247:                           ;   in Loop: Header=BB1222_96 Depth=2
	ds_read_b64 v[39:40], v108 offset:4608
	s_waitcnt lgkmcnt(0)
	v_cmp_ne_u64_e64 s24, s[46:47], v[39:40]
	v_cndmask_b32_e64 v46, 0x80000000, v40, s24
	v_cndmask_b32_e64 v45, 0, v39, s24
	v_cmp_lt_i64_e64 s24, -1, v[39:40]
	v_lshrrev_b64 v[45:46], s63, v[45:46]
	v_cndmask_b32_e64 v47, 0x80000000, -1, s24
	v_and_b32_e32 v3, s65, v45
	v_ashrrev_i32_e32 v45, 31, v40
	v_xor_b32_e32 v40, v47, v40
	v_lshlrev_b32_e32 v3, 2, v3
	v_not_b32_e32 v48, v45
	ds_read_b32 v3, v3
	v_xor_b32_e32 v39, v48, v39
	s_waitcnt lgkmcnt(0)
	v_add_nc_u32_e32 v3, v3, v79
	v_lshlrev_b64 v[45:46], 3, v[3:4]
	v_add_co_u32 v45, s24, s42, v45
	v_add_co_ci_u32_e64 v46, null, s43, v46, s24
	global_store_dwordx2 v[45:46], v[39:40], off
	s_or_b32 exec_lo, exec_lo, s25
	v_cmp_lt_u32_e64 s24, v80, v169
	s_and_saveexec_b32 s26, s24
	s_cbranch_execz .LBB1222_180
.LBB1222_248:                           ;   in Loop: Header=BB1222_96 Depth=2
	ds_read_b64 v[39:40], v108 offset:6656
	s_waitcnt lgkmcnt(0)
	v_cmp_ne_u64_e64 s25, s[46:47], v[39:40]
	v_cndmask_b32_e64 v46, 0x80000000, v40, s25
	v_cndmask_b32_e64 v45, 0, v39, s25
	v_cmp_lt_i64_e64 s25, -1, v[39:40]
	v_lshrrev_b64 v[45:46], s63, v[45:46]
	v_cndmask_b32_e64 v47, 0x80000000, -1, s25
	v_and_b32_e32 v3, s65, v45
	v_ashrrev_i32_e32 v45, 31, v40
	v_xor_b32_e32 v40, v47, v40
	v_lshlrev_b32_e32 v3, 2, v3
	v_not_b32_e32 v48, v45
	ds_read_b32 v3, v3
	v_xor_b32_e32 v39, v48, v39
	s_waitcnt lgkmcnt(0)
	v_add_nc_u32_e32 v3, v3, v80
	v_lshlrev_b64 v[45:46], 3, v[3:4]
	v_add_co_u32 v45, s25, s42, v45
	v_add_co_ci_u32_e64 v46, null, s43, v46, s25
	global_store_dwordx2 v[45:46], v[39:40], off
	s_or_b32 exec_lo, exec_lo, s26
	v_cmp_lt_u32_e64 s25, v81, v169
	s_and_saveexec_b32 s27, s25
	s_cbranch_execz .LBB1222_181
.LBB1222_249:                           ;   in Loop: Header=BB1222_96 Depth=2
	ds_read_b64 v[39:40], v108 offset:8704
	s_waitcnt lgkmcnt(0)
	v_cmp_ne_u64_e64 s26, s[46:47], v[39:40]
	v_cndmask_b32_e64 v46, 0x80000000, v40, s26
	v_cndmask_b32_e64 v45, 0, v39, s26
	v_cmp_lt_i64_e64 s26, -1, v[39:40]
	v_lshrrev_b64 v[45:46], s63, v[45:46]
	v_cndmask_b32_e64 v47, 0x80000000, -1, s26
	v_and_b32_e32 v3, s65, v45
	v_ashrrev_i32_e32 v45, 31, v40
	v_xor_b32_e32 v40, v47, v40
	v_lshlrev_b32_e32 v3, 2, v3
	v_not_b32_e32 v48, v45
	ds_read_b32 v3, v3
	v_xor_b32_e32 v39, v48, v39
	s_waitcnt lgkmcnt(0)
	v_add_nc_u32_e32 v3, v3, v81
	v_lshlrev_b64 v[45:46], 3, v[3:4]
	v_add_co_u32 v45, s26, s42, v45
	v_add_co_ci_u32_e64 v46, null, s43, v46, s26
	global_store_dwordx2 v[45:46], v[39:40], off
	s_or_b32 exec_lo, exec_lo, s27
	v_cmp_lt_u32_e64 s26, v82, v169
	s_and_saveexec_b32 s28, s26
	s_cbranch_execz .LBB1222_182
.LBB1222_250:                           ;   in Loop: Header=BB1222_96 Depth=2
	ds_read_b64 v[39:40], v108 offset:10752
	s_waitcnt lgkmcnt(0)
	v_cmp_ne_u64_e64 s27, s[46:47], v[39:40]
	v_cndmask_b32_e64 v46, 0x80000000, v40, s27
	v_cndmask_b32_e64 v45, 0, v39, s27
	v_cmp_lt_i64_e64 s27, -1, v[39:40]
	v_lshrrev_b64 v[45:46], s63, v[45:46]
	v_cndmask_b32_e64 v47, 0x80000000, -1, s27
	v_and_b32_e32 v3, s65, v45
	v_ashrrev_i32_e32 v45, 31, v40
	v_xor_b32_e32 v40, v47, v40
	v_lshlrev_b32_e32 v3, 2, v3
	v_not_b32_e32 v48, v45
	ds_read_b32 v3, v3
	v_xor_b32_e32 v39, v48, v39
	s_waitcnt lgkmcnt(0)
	v_add_nc_u32_e32 v3, v3, v82
	v_lshlrev_b64 v[45:46], 3, v[3:4]
	v_add_co_u32 v45, s27, s42, v45
	v_add_co_ci_u32_e64 v46, null, s43, v46, s27
	global_store_dwordx2 v[45:46], v[39:40], off
	s_or_b32 exec_lo, exec_lo, s28
	v_cmp_lt_u32_e64 s27, v83, v169
	s_and_saveexec_b32 s30, s27
	s_cbranch_execz .LBB1222_183
.LBB1222_251:                           ;   in Loop: Header=BB1222_96 Depth=2
	ds_read_b64 v[39:40], v108 offset:12800
	s_waitcnt lgkmcnt(0)
	v_cmp_ne_u64_e64 s28, s[46:47], v[39:40]
	v_cndmask_b32_e64 v46, 0x80000000, v40, s28
	v_cndmask_b32_e64 v45, 0, v39, s28
	v_cmp_lt_i64_e64 s28, -1, v[39:40]
	v_lshrrev_b64 v[45:46], s63, v[45:46]
	v_cndmask_b32_e64 v47, 0x80000000, -1, s28
	v_and_b32_e32 v3, s65, v45
	v_ashrrev_i32_e32 v45, 31, v40
	v_xor_b32_e32 v40, v47, v40
	v_lshlrev_b32_e32 v3, 2, v3
	v_not_b32_e32 v48, v45
	ds_read_b32 v3, v3
	v_xor_b32_e32 v39, v48, v39
	s_waitcnt lgkmcnt(0)
	v_add_nc_u32_e32 v3, v3, v83
	v_lshlrev_b64 v[45:46], 3, v[3:4]
	v_add_co_u32 v45, s28, s42, v45
	v_add_co_ci_u32_e64 v46, null, s43, v46, s28
	global_store_dwordx2 v[45:46], v[39:40], off
	s_or_b32 exec_lo, exec_lo, s30
	v_cmp_lt_u32_e64 s28, v84, v169
	s_and_saveexec_b32 s31, s28
	s_cbranch_execz .LBB1222_184
.LBB1222_252:                           ;   in Loop: Header=BB1222_96 Depth=2
	ds_read_b64 v[39:40], v108 offset:14848
	s_waitcnt lgkmcnt(0)
	v_cmp_ne_u64_e64 s30, s[46:47], v[39:40]
	v_cndmask_b32_e64 v46, 0x80000000, v40, s30
	v_cndmask_b32_e64 v45, 0, v39, s30
	v_cmp_lt_i64_e64 s30, -1, v[39:40]
	v_lshrrev_b64 v[45:46], s63, v[45:46]
	v_cndmask_b32_e64 v47, 0x80000000, -1, s30
	v_and_b32_e32 v3, s65, v45
	v_ashrrev_i32_e32 v45, 31, v40
	v_xor_b32_e32 v40, v47, v40
	v_lshlrev_b32_e32 v3, 2, v3
	v_not_b32_e32 v48, v45
	ds_read_b32 v3, v3
	v_xor_b32_e32 v39, v48, v39
	s_waitcnt lgkmcnt(0)
	v_add_nc_u32_e32 v3, v3, v84
	v_lshlrev_b64 v[45:46], 3, v[3:4]
	v_add_co_u32 v45, s30, s42, v45
	v_add_co_ci_u32_e64 v46, null, s43, v46, s30
	global_store_dwordx2 v[45:46], v[39:40], off
	s_or_b32 exec_lo, exec_lo, s31
	v_cmp_lt_u32_e64 s30, v85, v169
	s_and_saveexec_b32 s33, s30
	s_cbranch_execz .LBB1222_185
.LBB1222_253:                           ;   in Loop: Header=BB1222_96 Depth=2
	ds_read_b64 v[39:40], v108 offset:16896
	s_waitcnt lgkmcnt(0)
	v_cmp_ne_u64_e64 s31, s[46:47], v[39:40]
	v_cndmask_b32_e64 v46, 0x80000000, v40, s31
	v_cndmask_b32_e64 v45, 0, v39, s31
	v_cmp_lt_i64_e64 s31, -1, v[39:40]
	v_lshrrev_b64 v[45:46], s63, v[45:46]
	v_cndmask_b32_e64 v47, 0x80000000, -1, s31
	v_and_b32_e32 v3, s65, v45
	v_ashrrev_i32_e32 v45, 31, v40
	v_xor_b32_e32 v40, v47, v40
	v_lshlrev_b32_e32 v3, 2, v3
	v_not_b32_e32 v48, v45
	ds_read_b32 v3, v3
	v_xor_b32_e32 v39, v48, v39
	s_waitcnt lgkmcnt(0)
	v_add_nc_u32_e32 v3, v3, v85
	v_lshlrev_b64 v[45:46], 3, v[3:4]
	v_add_co_u32 v45, s31, s42, v45
	v_add_co_ci_u32_e64 v46, null, s43, v46, s31
	global_store_dwordx2 v[45:46], v[39:40], off
	s_or_b32 exec_lo, exec_lo, s33
	v_cmp_lt_u32_e64 s31, v86, v169
	s_and_saveexec_b32 s34, s31
	s_cbranch_execz .LBB1222_186
.LBB1222_254:                           ;   in Loop: Header=BB1222_96 Depth=2
	ds_read_b64 v[39:40], v108 offset:18944
	s_waitcnt lgkmcnt(0)
	v_cmp_ne_u64_e64 s33, s[46:47], v[39:40]
	v_cndmask_b32_e64 v46, 0x80000000, v40, s33
	v_cndmask_b32_e64 v45, 0, v39, s33
	v_cmp_lt_i64_e64 s33, -1, v[39:40]
	v_lshrrev_b64 v[45:46], s63, v[45:46]
	v_cndmask_b32_e64 v47, 0x80000000, -1, s33
	v_and_b32_e32 v3, s65, v45
	v_ashrrev_i32_e32 v45, 31, v40
	v_xor_b32_e32 v40, v47, v40
	v_lshlrev_b32_e32 v3, 2, v3
	v_not_b32_e32 v48, v45
	ds_read_b32 v3, v3
	v_xor_b32_e32 v39, v48, v39
	s_waitcnt lgkmcnt(0)
	v_add_nc_u32_e32 v3, v3, v86
	v_lshlrev_b64 v[45:46], 3, v[3:4]
	v_add_co_u32 v45, s33, s42, v45
	v_add_co_ci_u32_e64 v46, null, s43, v46, s33
	global_store_dwordx2 v[45:46], v[39:40], off
	s_or_b32 exec_lo, exec_lo, s34
	v_cmp_lt_u32_e64 s33, v87, v169
	s_and_saveexec_b32 s35, s33
	s_cbranch_execz .LBB1222_187
.LBB1222_255:                           ;   in Loop: Header=BB1222_96 Depth=2
	ds_read_b64 v[39:40], v108 offset:20992
	s_waitcnt lgkmcnt(0)
	v_cmp_ne_u64_e64 s34, s[46:47], v[39:40]
	v_cndmask_b32_e64 v46, 0x80000000, v40, s34
	v_cndmask_b32_e64 v45, 0, v39, s34
	v_cmp_lt_i64_e64 s34, -1, v[39:40]
	v_lshrrev_b64 v[45:46], s63, v[45:46]
	v_cndmask_b32_e64 v47, 0x80000000, -1, s34
	v_and_b32_e32 v3, s65, v45
	v_ashrrev_i32_e32 v45, 31, v40
	v_xor_b32_e32 v40, v47, v40
	v_lshlrev_b32_e32 v3, 2, v3
	v_not_b32_e32 v48, v45
	ds_read_b32 v3, v3
	v_xor_b32_e32 v39, v48, v39
	s_waitcnt lgkmcnt(0)
	v_add_nc_u32_e32 v3, v3, v87
	v_lshlrev_b64 v[45:46], 3, v[3:4]
	v_add_co_u32 v45, s34, s42, v45
	v_add_co_ci_u32_e64 v46, null, s43, v46, s34
	global_store_dwordx2 v[45:46], v[39:40], off
	s_or_b32 exec_lo, exec_lo, s35
	v_cmp_lt_u32_e64 s34, v88, v169
	s_and_saveexec_b32 s36, s34
	s_cbranch_execz .LBB1222_188
.LBB1222_256:                           ;   in Loop: Header=BB1222_96 Depth=2
	ds_read_b64 v[39:40], v108 offset:23040
	s_waitcnt lgkmcnt(0)
	v_cmp_ne_u64_e64 s35, s[46:47], v[39:40]
	v_cndmask_b32_e64 v46, 0x80000000, v40, s35
	v_cndmask_b32_e64 v45, 0, v39, s35
	v_cmp_lt_i64_e64 s35, -1, v[39:40]
	v_lshrrev_b64 v[45:46], s63, v[45:46]
	v_cndmask_b32_e64 v47, 0x80000000, -1, s35
	v_and_b32_e32 v3, s65, v45
	v_ashrrev_i32_e32 v45, 31, v40
	v_xor_b32_e32 v40, v47, v40
	v_lshlrev_b32_e32 v3, 2, v3
	v_not_b32_e32 v48, v45
	ds_read_b32 v3, v3
	v_xor_b32_e32 v39, v48, v39
	s_waitcnt lgkmcnt(0)
	v_add_nc_u32_e32 v3, v3, v88
	v_lshlrev_b64 v[45:46], 3, v[3:4]
	v_add_co_u32 v45, s35, s42, v45
	v_add_co_ci_u32_e64 v46, null, s43, v46, s35
	global_store_dwordx2 v[45:46], v[39:40], off
	s_or_b32 exec_lo, exec_lo, s36
	v_cmp_lt_u32_e64 s35, v89, v169
	s_and_saveexec_b32 s37, s35
	s_cbranch_execz .LBB1222_189
.LBB1222_257:                           ;   in Loop: Header=BB1222_96 Depth=2
	ds_read_b64 v[39:40], v108 offset:25088
	s_waitcnt lgkmcnt(0)
	v_cmp_ne_u64_e64 s36, s[46:47], v[39:40]
	v_cndmask_b32_e64 v46, 0x80000000, v40, s36
	v_cndmask_b32_e64 v45, 0, v39, s36
	v_cmp_lt_i64_e64 s36, -1, v[39:40]
	v_lshrrev_b64 v[45:46], s63, v[45:46]
	v_cndmask_b32_e64 v47, 0x80000000, -1, s36
	v_and_b32_e32 v3, s65, v45
	v_ashrrev_i32_e32 v45, 31, v40
	v_xor_b32_e32 v40, v47, v40
	v_lshlrev_b32_e32 v3, 2, v3
	v_not_b32_e32 v48, v45
	ds_read_b32 v3, v3
	v_xor_b32_e32 v39, v48, v39
	s_waitcnt lgkmcnt(0)
	v_add_nc_u32_e32 v3, v3, v89
	v_lshlrev_b64 v[45:46], 3, v[3:4]
	v_add_co_u32 v45, s36, s42, v45
	v_add_co_ci_u32_e64 v46, null, s43, v46, s36
	global_store_dwordx2 v[45:46], v[39:40], off
	s_or_b32 exec_lo, exec_lo, s37
	v_cmp_lt_u32_e64 s36, v90, v169
	s_and_saveexec_b32 s38, s36
	s_cbranch_execz .LBB1222_190
.LBB1222_258:                           ;   in Loop: Header=BB1222_96 Depth=2
	ds_read_b64 v[39:40], v108 offset:27136
	s_waitcnt lgkmcnt(0)
	v_cmp_ne_u64_e64 s37, s[46:47], v[39:40]
	v_cndmask_b32_e64 v46, 0x80000000, v40, s37
	v_cndmask_b32_e64 v45, 0, v39, s37
	v_cmp_lt_i64_e64 s37, -1, v[39:40]
	v_lshrrev_b64 v[45:46], s63, v[45:46]
	v_cndmask_b32_e64 v47, 0x80000000, -1, s37
	v_and_b32_e32 v3, s65, v45
	v_ashrrev_i32_e32 v45, 31, v40
	v_xor_b32_e32 v40, v47, v40
	v_lshlrev_b32_e32 v3, 2, v3
	v_not_b32_e32 v48, v45
	ds_read_b32 v3, v3
	v_xor_b32_e32 v39, v48, v39
	s_waitcnt lgkmcnt(0)
	v_add_nc_u32_e32 v3, v3, v90
	v_lshlrev_b64 v[45:46], 3, v[3:4]
	v_add_co_u32 v45, s37, s42, v45
	v_add_co_ci_u32_e64 v46, null, s43, v46, s37
	global_store_dwordx2 v[45:46], v[39:40], off
	s_or_b32 exec_lo, exec_lo, s38
	v_cmp_lt_u32_e64 s37, v91, v169
	s_and_saveexec_b32 s39, s37
	s_cbranch_execz .LBB1222_191
.LBB1222_259:                           ;   in Loop: Header=BB1222_96 Depth=2
	ds_read_b64 v[39:40], v108 offset:29184
	s_waitcnt lgkmcnt(0)
	v_cmp_ne_u64_e64 s38, s[46:47], v[39:40]
	v_cndmask_b32_e64 v46, 0x80000000, v40, s38
	v_cndmask_b32_e64 v45, 0, v39, s38
	v_cmp_lt_i64_e64 s38, -1, v[39:40]
	v_lshrrev_b64 v[45:46], s63, v[45:46]
	v_cndmask_b32_e64 v47, 0x80000000, -1, s38
	v_and_b32_e32 v3, s65, v45
	v_ashrrev_i32_e32 v45, 31, v40
	v_xor_b32_e32 v40, v47, v40
	v_lshlrev_b32_e32 v3, 2, v3
	v_not_b32_e32 v48, v45
	ds_read_b32 v3, v3
	v_xor_b32_e32 v39, v48, v39
	s_waitcnt lgkmcnt(0)
	v_add_nc_u32_e32 v3, v3, v91
	v_lshlrev_b64 v[45:46], 3, v[3:4]
	v_add_co_u32 v45, s38, s42, v45
	v_add_co_ci_u32_e64 v46, null, s43, v46, s38
	global_store_dwordx2 v[45:46], v[39:40], off
	s_or_b32 exec_lo, exec_lo, s39
	v_cmp_lt_u32_e64 s38, v92, v169
	s_and_saveexec_b32 s68, s38
	s_cbranch_execnz .LBB1222_192
	s_branch .LBB1222_193
.LBB1222_260:                           ;   in Loop: Header=BB1222_96 Depth=2
	global_load_dwordx2 v[37:38], v[39:40], off
	s_or_b32 exec_lo, exec_lo, s39
	s_mov_b32 s56, exec_lo
	v_cmpx_lt_u32_e64 v133, v169
	s_cbranch_execz .LBB1222_195
.LBB1222_261:                           ;   in Loop: Header=BB1222_96 Depth=2
	global_load_dwordx2 v[35:36], v[39:40], off offset:256
	s_or_b32 exec_lo, exec_lo, s56
	s_mov_b32 s56, exec_lo
	v_cmpx_lt_u32_e64 v134, v169
	s_cbranch_execz .LBB1222_196
.LBB1222_262:                           ;   in Loop: Header=BB1222_96 Depth=2
	global_load_dwordx2 v[33:34], v[39:40], off offset:512
	s_or_b32 exec_lo, exec_lo, s56
	s_mov_b32 s56, exec_lo
	v_cmpx_lt_u32_e64 v135, v169
	s_cbranch_execz .LBB1222_197
.LBB1222_263:                           ;   in Loop: Header=BB1222_96 Depth=2
	global_load_dwordx2 v[31:32], v[39:40], off offset:768
	s_or_b32 exec_lo, exec_lo, s56
	s_mov_b32 s56, exec_lo
	v_cmpx_lt_u32_e64 v136, v169
	s_cbranch_execz .LBB1222_198
.LBB1222_264:                           ;   in Loop: Header=BB1222_96 Depth=2
	global_load_dwordx2 v[29:30], v[39:40], off offset:1024
	s_or_b32 exec_lo, exec_lo, s56
	s_mov_b32 s56, exec_lo
	v_cmpx_lt_u32_e64 v137, v169
	s_cbranch_execz .LBB1222_199
.LBB1222_265:                           ;   in Loop: Header=BB1222_96 Depth=2
	global_load_dwordx2 v[25:26], v[39:40], off offset:1280
	s_or_b32 exec_lo, exec_lo, s56
	s_mov_b32 s56, exec_lo
	v_cmpx_lt_u32_e64 v138, v169
	s_cbranch_execz .LBB1222_200
.LBB1222_266:                           ;   in Loop: Header=BB1222_96 Depth=2
	global_load_dwordx2 v[21:22], v[39:40], off offset:1536
	s_or_b32 exec_lo, exec_lo, s56
	s_mov_b32 s56, exec_lo
	v_cmpx_lt_u32_e64 v139, v169
	s_cbranch_execz .LBB1222_201
.LBB1222_267:                           ;   in Loop: Header=BB1222_96 Depth=2
	global_load_dwordx2 v[17:18], v[39:40], off offset:1792
	s_or_b32 exec_lo, exec_lo, s56
	s_mov_b32 s56, exec_lo
	v_cmpx_lt_u32_e64 v140, v169
	s_cbranch_execz .LBB1222_202
.LBB1222_268:                           ;   in Loop: Header=BB1222_96 Depth=2
	v_add_co_u32 v27, s39, 0x800, v39
	v_add_co_ci_u32_e64 v28, null, 0, v40, s39
	global_load_dwordx2 v[27:28], v[27:28], off
	s_or_b32 exec_lo, exec_lo, s56
	s_mov_b32 s56, exec_lo
	v_cmpx_lt_u32_e64 v141, v169
	s_cbranch_execz .LBB1222_203
.LBB1222_269:                           ;   in Loop: Header=BB1222_96 Depth=2
	v_add_co_u32 v23, s39, 0x800, v39
	v_add_co_ci_u32_e64 v24, null, 0, v40, s39
	global_load_dwordx2 v[23:24], v[23:24], off offset:256
	s_or_b32 exec_lo, exec_lo, s56
	s_mov_b32 s56, exec_lo
	v_cmpx_lt_u32_e64 v142, v169
	s_cbranch_execz .LBB1222_204
.LBB1222_270:                           ;   in Loop: Header=BB1222_96 Depth=2
	v_add_co_u32 v19, s39, 0x800, v39
	v_add_co_ci_u32_e64 v20, null, 0, v40, s39
	global_load_dwordx2 v[19:20], v[19:20], off offset:512
	s_or_b32 exec_lo, exec_lo, s56
	s_mov_b32 s56, exec_lo
	v_cmpx_lt_u32_e64 v143, v169
	s_cbranch_execz .LBB1222_205
.LBB1222_271:                           ;   in Loop: Header=BB1222_96 Depth=2
	v_add_co_u32 v15, s39, 0x800, v39
	v_add_co_ci_u32_e64 v16, null, 0, v40, s39
	global_load_dwordx2 v[15:16], v[15:16], off offset:768
	s_or_b32 exec_lo, exec_lo, s56
	s_mov_b32 s56, exec_lo
	v_cmpx_lt_u32_e64 v144, v169
	s_cbranch_execz .LBB1222_206
.LBB1222_272:                           ;   in Loop: Header=BB1222_96 Depth=2
	v_add_co_u32 v13, s39, 0x800, v39
	v_add_co_ci_u32_e64 v14, null, 0, v40, s39
	global_load_dwordx2 v[13:14], v[13:14], off offset:1024
	s_or_b32 exec_lo, exec_lo, s56
	s_mov_b32 s56, exec_lo
	v_cmpx_lt_u32_e64 v145, v169
	s_cbranch_execz .LBB1222_207
.LBB1222_273:                           ;   in Loop: Header=BB1222_96 Depth=2
	v_add_co_u32 v11, s39, 0x800, v39
	v_add_co_ci_u32_e64 v12, null, 0, v40, s39
	global_load_dwordx2 v[11:12], v[11:12], off offset:1280
	s_or_b32 exec_lo, exec_lo, s56
	s_mov_b32 s56, exec_lo
	v_cmpx_lt_u32_e64 v146, v169
	s_cbranch_execz .LBB1222_208
.LBB1222_274:                           ;   in Loop: Header=BB1222_96 Depth=2
	v_add_co_u32 v9, s39, 0x800, v39
	v_add_co_ci_u32_e64 v10, null, 0, v40, s39
	global_load_dwordx2 v[9:10], v[9:10], off offset:1536
	s_or_b32 exec_lo, exec_lo, s56
	s_mov_b32 s56, exec_lo
	v_cmpx_lt_u32_e64 v147, v169
	s_cbranch_execz .LBB1222_209
.LBB1222_275:                           ;   in Loop: Header=BB1222_96 Depth=2
	v_add_co_u32 v7, s39, 0x800, v39
	v_add_co_ci_u32_e64 v8, null, 0, v40, s39
	global_load_dwordx2 v[7:8], v[7:8], off offset:1792
	s_or_b32 exec_lo, exec_lo, s56
	s_and_saveexec_b32 s56, vcc_lo
	s_cbranch_execz .LBB1222_210
.LBB1222_276:                           ;   in Loop: Header=BB1222_96 Depth=2
	ds_read_b64 v[39:40], v108 offset:512
	s_waitcnt lgkmcnt(0)
	v_cmp_ne_u64_e64 s39, s[46:47], v[39:40]
	v_cndmask_b32_e64 v40, 0x80000000, v40, s39
	v_cndmask_b32_e64 v39, 0, v39, s39
	v_lshrrev_b64 v[39:40], s63, v[39:40]
	v_and_b32_e32 v167, s65, v39
	s_or_b32 exec_lo, exec_lo, s56
	s_and_saveexec_b32 s56, s22
	s_cbranch_execz .LBB1222_211
.LBB1222_277:                           ;   in Loop: Header=BB1222_96 Depth=2
	ds_read_b64 v[39:40], v108 offset:2560
	s_waitcnt lgkmcnt(0)
	v_cmp_ne_u64_e64 s39, s[46:47], v[39:40]
	v_cndmask_b32_e64 v40, 0x80000000, v40, s39
	v_cndmask_b32_e64 v39, 0, v39, s39
	v_lshrrev_b64 v[39:40], s63, v[39:40]
	v_and_b32_e32 v166, s65, v39
	s_or_b32 exec_lo, exec_lo, s56
	s_and_saveexec_b32 s56, s23
	s_cbranch_execz .LBB1222_212
.LBB1222_278:                           ;   in Loop: Header=BB1222_96 Depth=2
	ds_read_b64 v[39:40], v108 offset:4608
	s_waitcnt lgkmcnt(0)
	v_cmp_ne_u64_e64 s39, s[46:47], v[39:40]
	v_cndmask_b32_e64 v40, 0x80000000, v40, s39
	v_cndmask_b32_e64 v39, 0, v39, s39
	v_lshrrev_b64 v[39:40], s63, v[39:40]
	v_and_b32_e32 v165, s65, v39
	s_or_b32 exec_lo, exec_lo, s56
	s_and_saveexec_b32 s56, s24
	s_cbranch_execz .LBB1222_213
.LBB1222_279:                           ;   in Loop: Header=BB1222_96 Depth=2
	ds_read_b64 v[39:40], v108 offset:6656
	s_waitcnt lgkmcnt(0)
	v_cmp_ne_u64_e64 s39, s[46:47], v[39:40]
	v_cndmask_b32_e64 v40, 0x80000000, v40, s39
	v_cndmask_b32_e64 v39, 0, v39, s39
	v_lshrrev_b64 v[39:40], s63, v[39:40]
	v_and_b32_e32 v164, s65, v39
	s_or_b32 exec_lo, exec_lo, s56
	s_and_saveexec_b32 s56, s25
	s_cbranch_execz .LBB1222_214
.LBB1222_280:                           ;   in Loop: Header=BB1222_96 Depth=2
	ds_read_b64 v[39:40], v108 offset:8704
	s_waitcnt lgkmcnt(0)
	v_cmp_ne_u64_e64 s39, s[46:47], v[39:40]
	v_cndmask_b32_e64 v40, 0x80000000, v40, s39
	v_cndmask_b32_e64 v39, 0, v39, s39
	v_lshrrev_b64 v[39:40], s63, v[39:40]
	v_and_b32_e32 v163, s65, v39
	s_or_b32 exec_lo, exec_lo, s56
	s_and_saveexec_b32 s56, s26
	s_cbranch_execz .LBB1222_215
.LBB1222_281:                           ;   in Loop: Header=BB1222_96 Depth=2
	ds_read_b64 v[39:40], v108 offset:10752
	s_waitcnt lgkmcnt(0)
	v_cmp_ne_u64_e64 s39, s[46:47], v[39:40]
	v_cndmask_b32_e64 v40, 0x80000000, v40, s39
	v_cndmask_b32_e64 v39, 0, v39, s39
	v_lshrrev_b64 v[39:40], s63, v[39:40]
	v_and_b32_e32 v162, s65, v39
	s_or_b32 exec_lo, exec_lo, s56
	s_and_saveexec_b32 s56, s27
	s_cbranch_execz .LBB1222_216
.LBB1222_282:                           ;   in Loop: Header=BB1222_96 Depth=2
	ds_read_b64 v[39:40], v108 offset:12800
	s_waitcnt lgkmcnt(0)
	v_cmp_ne_u64_e64 s39, s[46:47], v[39:40]
	v_cndmask_b32_e64 v40, 0x80000000, v40, s39
	v_cndmask_b32_e64 v39, 0, v39, s39
	v_lshrrev_b64 v[39:40], s63, v[39:40]
	v_and_b32_e32 v161, s65, v39
	s_or_b32 exec_lo, exec_lo, s56
	s_and_saveexec_b32 s56, s28
	s_cbranch_execz .LBB1222_217
.LBB1222_283:                           ;   in Loop: Header=BB1222_96 Depth=2
	ds_read_b64 v[39:40], v108 offset:14848
	s_waitcnt lgkmcnt(0)
	v_cmp_ne_u64_e64 s39, s[46:47], v[39:40]
	v_cndmask_b32_e64 v40, 0x80000000, v40, s39
	v_cndmask_b32_e64 v39, 0, v39, s39
	v_lshrrev_b64 v[39:40], s63, v[39:40]
	v_and_b32_e32 v160, s65, v39
	s_or_b32 exec_lo, exec_lo, s56
	s_and_saveexec_b32 s56, s30
	s_cbranch_execz .LBB1222_218
.LBB1222_284:                           ;   in Loop: Header=BB1222_96 Depth=2
	ds_read_b64 v[39:40], v108 offset:16896
	s_waitcnt lgkmcnt(0)
	v_cmp_ne_u64_e64 s39, s[46:47], v[39:40]
	v_cndmask_b32_e64 v40, 0x80000000, v40, s39
	v_cndmask_b32_e64 v39, 0, v39, s39
	v_lshrrev_b64 v[39:40], s63, v[39:40]
	v_and_b32_e32 v159, s65, v39
	s_or_b32 exec_lo, exec_lo, s56
	s_and_saveexec_b32 s56, s31
	s_cbranch_execz .LBB1222_219
.LBB1222_285:                           ;   in Loop: Header=BB1222_96 Depth=2
	ds_read_b64 v[39:40], v108 offset:18944
	s_waitcnt lgkmcnt(0)
	v_cmp_ne_u64_e64 s39, s[46:47], v[39:40]
	v_cndmask_b32_e64 v40, 0x80000000, v40, s39
	v_cndmask_b32_e64 v39, 0, v39, s39
	v_lshrrev_b64 v[39:40], s63, v[39:40]
	v_and_b32_e32 v157, s65, v39
	s_or_b32 exec_lo, exec_lo, s56
	s_and_saveexec_b32 s56, s33
	s_cbranch_execz .LBB1222_220
.LBB1222_286:                           ;   in Loop: Header=BB1222_96 Depth=2
	ds_read_b64 v[39:40], v108 offset:20992
	s_waitcnt lgkmcnt(0)
	v_cmp_ne_u64_e64 s39, s[46:47], v[39:40]
	v_cndmask_b32_e64 v40, 0x80000000, v40, s39
	v_cndmask_b32_e64 v39, 0, v39, s39
	v_lshrrev_b64 v[39:40], s63, v[39:40]
	v_and_b32_e32 v156, s65, v39
	s_or_b32 exec_lo, exec_lo, s56
	s_and_saveexec_b32 s56, s34
	s_cbranch_execz .LBB1222_221
.LBB1222_287:                           ;   in Loop: Header=BB1222_96 Depth=2
	ds_read_b64 v[39:40], v108 offset:23040
	s_waitcnt lgkmcnt(0)
	v_cmp_ne_u64_e64 s39, s[46:47], v[39:40]
	v_cndmask_b32_e64 v40, 0x80000000, v40, s39
	v_cndmask_b32_e64 v39, 0, v39, s39
	v_lshrrev_b64 v[39:40], s63, v[39:40]
	v_and_b32_e32 v155, s65, v39
	s_or_b32 exec_lo, exec_lo, s56
	s_and_saveexec_b32 s56, s35
	s_cbranch_execz .LBB1222_222
.LBB1222_288:                           ;   in Loop: Header=BB1222_96 Depth=2
	ds_read_b64 v[39:40], v108 offset:25088
	s_waitcnt lgkmcnt(0)
	v_cmp_ne_u64_e64 s39, s[46:47], v[39:40]
	v_cndmask_b32_e64 v40, 0x80000000, v40, s39
	v_cndmask_b32_e64 v39, 0, v39, s39
	v_lshrrev_b64 v[39:40], s63, v[39:40]
	v_and_b32_e32 v154, s65, v39
	s_or_b32 exec_lo, exec_lo, s56
	s_and_saveexec_b32 s56, s36
	s_cbranch_execz .LBB1222_223
.LBB1222_289:                           ;   in Loop: Header=BB1222_96 Depth=2
	ds_read_b64 v[39:40], v108 offset:27136
	s_waitcnt lgkmcnt(0)
	v_cmp_ne_u64_e64 s39, s[46:47], v[39:40]
	v_cndmask_b32_e64 v40, 0x80000000, v40, s39
	v_cndmask_b32_e64 v39, 0, v39, s39
	v_lshrrev_b64 v[39:40], s63, v[39:40]
	v_and_b32_e32 v153, s65, v39
	s_or_b32 exec_lo, exec_lo, s56
	s_and_saveexec_b32 s56, s37
	s_cbranch_execz .LBB1222_224
.LBB1222_290:                           ;   in Loop: Header=BB1222_96 Depth=2
	ds_read_b64 v[39:40], v108 offset:29184
	s_waitcnt lgkmcnt(0)
	v_cmp_ne_u64_e64 s39, s[46:47], v[39:40]
	v_cndmask_b32_e64 v40, 0x80000000, v40, s39
	v_cndmask_b32_e64 v39, 0, v39, s39
	v_lshrrev_b64 v[39:40], s63, v[39:40]
	v_and_b32_e32 v152, s65, v39
	s_or_b32 exec_lo, exec_lo, s56
	s_and_saveexec_b32 s56, s38
	s_cbranch_execnz .LBB1222_225
	s_branch .LBB1222_226
.LBB1222_291:                           ;   in Loop: Header=BB1222_96 Depth=2
	v_lshlrev_b32_e32 v3, 2, v167
	ds_read_b32 v3, v3
	ds_read_b64 v[39:40], v108 offset:512
	s_waitcnt lgkmcnt(1)
	v_add_nc_u32_e32 v3, v3, v0
	v_lshlrev_b64 v[41:42], 3, v[3:4]
	v_add_co_u32 v41, vcc_lo, s48, v41
	v_add_co_ci_u32_e64 v42, null, s49, v42, vcc_lo
	s_waitcnt lgkmcnt(0)
	global_store_dwordx2 v[41:42], v[39:40], off
	s_or_b32 exec_lo, exec_lo, s39
	s_and_saveexec_b32 s39, s22
	s_cbranch_execz .LBB1222_228
.LBB1222_292:                           ;   in Loop: Header=BB1222_96 Depth=2
	v_lshlrev_b32_e32 v3, 2, v166
	ds_read_b32 v3, v3
	ds_read_b64 v[39:40], v108 offset:2560
	s_waitcnt lgkmcnt(1)
	v_add_nc_u32_e32 v3, v3, v76
	v_lshlrev_b64 v[41:42], 3, v[3:4]
	v_add_co_u32 v41, vcc_lo, s48, v41
	v_add_co_ci_u32_e64 v42, null, s49, v42, vcc_lo
	s_waitcnt lgkmcnt(0)
	global_store_dwordx2 v[41:42], v[39:40], off
	s_or_b32 exec_lo, exec_lo, s39
	s_and_saveexec_b32 s22, s23
	s_cbranch_execz .LBB1222_229
.LBB1222_293:                           ;   in Loop: Header=BB1222_96 Depth=2
	v_lshlrev_b32_e32 v3, 2, v165
	ds_read_b32 v3, v3
	ds_read_b64 v[39:40], v108 offset:4608
	s_waitcnt lgkmcnt(1)
	v_add_nc_u32_e32 v3, v3, v79
	v_lshlrev_b64 v[41:42], 3, v[3:4]
	v_add_co_u32 v41, vcc_lo, s48, v41
	v_add_co_ci_u32_e64 v42, null, s49, v42, vcc_lo
	s_waitcnt lgkmcnt(0)
	global_store_dwordx2 v[41:42], v[39:40], off
	s_or_b32 exec_lo, exec_lo, s22
	s_and_saveexec_b32 s22, s24
	s_cbranch_execz .LBB1222_230
.LBB1222_294:                           ;   in Loop: Header=BB1222_96 Depth=2
	v_lshlrev_b32_e32 v3, 2, v164
	ds_read_b32 v3, v3
	ds_read_b64 v[39:40], v108 offset:6656
	s_waitcnt lgkmcnt(1)
	v_add_nc_u32_e32 v3, v3, v80
	v_lshlrev_b64 v[41:42], 3, v[3:4]
	v_add_co_u32 v41, vcc_lo, s48, v41
	v_add_co_ci_u32_e64 v42, null, s49, v42, vcc_lo
	s_waitcnt lgkmcnt(0)
	global_store_dwordx2 v[41:42], v[39:40], off
	s_or_b32 exec_lo, exec_lo, s22
	s_and_saveexec_b32 s22, s25
	s_cbranch_execz .LBB1222_231
.LBB1222_295:                           ;   in Loop: Header=BB1222_96 Depth=2
	v_lshlrev_b32_e32 v3, 2, v163
	ds_read_b32 v3, v3
	ds_read_b64 v[39:40], v108 offset:8704
	s_waitcnt lgkmcnt(1)
	v_add_nc_u32_e32 v3, v3, v81
	v_lshlrev_b64 v[41:42], 3, v[3:4]
	v_add_co_u32 v41, vcc_lo, s48, v41
	v_add_co_ci_u32_e64 v42, null, s49, v42, vcc_lo
	s_waitcnt lgkmcnt(0)
	global_store_dwordx2 v[41:42], v[39:40], off
	s_or_b32 exec_lo, exec_lo, s22
	s_and_saveexec_b32 s22, s26
	s_cbranch_execz .LBB1222_232
.LBB1222_296:                           ;   in Loop: Header=BB1222_96 Depth=2
	v_lshlrev_b32_e32 v3, 2, v162
	ds_read_b32 v3, v3
	ds_read_b64 v[39:40], v108 offset:10752
	s_waitcnt lgkmcnt(1)
	v_add_nc_u32_e32 v3, v3, v82
	v_lshlrev_b64 v[41:42], 3, v[3:4]
	v_add_co_u32 v41, vcc_lo, s48, v41
	v_add_co_ci_u32_e64 v42, null, s49, v42, vcc_lo
	s_waitcnt lgkmcnt(0)
	global_store_dwordx2 v[41:42], v[39:40], off
	s_or_b32 exec_lo, exec_lo, s22
	s_and_saveexec_b32 s22, s27
	s_cbranch_execz .LBB1222_233
.LBB1222_297:                           ;   in Loop: Header=BB1222_96 Depth=2
	v_lshlrev_b32_e32 v3, 2, v161
	ds_read_b32 v3, v3
	ds_read_b64 v[39:40], v108 offset:12800
	s_waitcnt lgkmcnt(1)
	v_add_nc_u32_e32 v3, v3, v83
	v_lshlrev_b64 v[41:42], 3, v[3:4]
	v_add_co_u32 v41, vcc_lo, s48, v41
	v_add_co_ci_u32_e64 v42, null, s49, v42, vcc_lo
	s_waitcnt lgkmcnt(0)
	global_store_dwordx2 v[41:42], v[39:40], off
	s_or_b32 exec_lo, exec_lo, s22
	s_and_saveexec_b32 s22, s28
	s_cbranch_execz .LBB1222_234
.LBB1222_298:                           ;   in Loop: Header=BB1222_96 Depth=2
	v_lshlrev_b32_e32 v3, 2, v160
	ds_read_b32 v3, v3
	ds_read_b64 v[39:40], v108 offset:14848
	s_waitcnt lgkmcnt(1)
	v_add_nc_u32_e32 v3, v3, v84
	v_lshlrev_b64 v[41:42], 3, v[3:4]
	v_add_co_u32 v41, vcc_lo, s48, v41
	v_add_co_ci_u32_e64 v42, null, s49, v42, vcc_lo
	s_waitcnt lgkmcnt(0)
	global_store_dwordx2 v[41:42], v[39:40], off
	s_or_b32 exec_lo, exec_lo, s22
	s_and_saveexec_b32 s22, s30
	s_cbranch_execz .LBB1222_235
.LBB1222_299:                           ;   in Loop: Header=BB1222_96 Depth=2
	v_lshlrev_b32_e32 v3, 2, v159
	ds_read_b32 v3, v3
	ds_read_b64 v[39:40], v108 offset:16896
	s_waitcnt lgkmcnt(1)
	v_add_nc_u32_e32 v3, v3, v85
	v_lshlrev_b64 v[41:42], 3, v[3:4]
	v_add_co_u32 v41, vcc_lo, s48, v41
	v_add_co_ci_u32_e64 v42, null, s49, v42, vcc_lo
	s_waitcnt lgkmcnt(0)
	global_store_dwordx2 v[41:42], v[39:40], off
	s_or_b32 exec_lo, exec_lo, s22
	s_and_saveexec_b32 s22, s31
	s_cbranch_execz .LBB1222_236
.LBB1222_300:                           ;   in Loop: Header=BB1222_96 Depth=2
	v_lshlrev_b32_e32 v3, 2, v157
	ds_read_b32 v3, v3
	ds_read_b64 v[39:40], v108 offset:18944
	s_waitcnt lgkmcnt(1)
	v_add_nc_u32_e32 v3, v3, v86
	v_lshlrev_b64 v[41:42], 3, v[3:4]
	v_add_co_u32 v41, vcc_lo, s48, v41
	v_add_co_ci_u32_e64 v42, null, s49, v42, vcc_lo
	s_waitcnt lgkmcnt(0)
	global_store_dwordx2 v[41:42], v[39:40], off
	s_or_b32 exec_lo, exec_lo, s22
	s_and_saveexec_b32 s22, s33
	s_cbranch_execz .LBB1222_237
.LBB1222_301:                           ;   in Loop: Header=BB1222_96 Depth=2
	v_lshlrev_b32_e32 v3, 2, v156
	ds_read_b32 v3, v3
	ds_read_b64 v[39:40], v108 offset:20992
	s_waitcnt lgkmcnt(1)
	v_add_nc_u32_e32 v3, v3, v87
	v_lshlrev_b64 v[41:42], 3, v[3:4]
	v_add_co_u32 v41, vcc_lo, s48, v41
	v_add_co_ci_u32_e64 v42, null, s49, v42, vcc_lo
	s_waitcnt lgkmcnt(0)
	global_store_dwordx2 v[41:42], v[39:40], off
	s_or_b32 exec_lo, exec_lo, s22
	s_and_saveexec_b32 s22, s34
	s_cbranch_execz .LBB1222_238
.LBB1222_302:                           ;   in Loop: Header=BB1222_96 Depth=2
	v_lshlrev_b32_e32 v3, 2, v155
	ds_read_b32 v3, v3
	ds_read_b64 v[39:40], v108 offset:23040
	s_waitcnt lgkmcnt(1)
	v_add_nc_u32_e32 v3, v3, v88
	v_lshlrev_b64 v[41:42], 3, v[3:4]
	v_add_co_u32 v41, vcc_lo, s48, v41
	v_add_co_ci_u32_e64 v42, null, s49, v42, vcc_lo
	s_waitcnt lgkmcnt(0)
	global_store_dwordx2 v[41:42], v[39:40], off
	s_or_b32 exec_lo, exec_lo, s22
	s_and_saveexec_b32 s22, s35
	s_cbranch_execz .LBB1222_239
.LBB1222_303:                           ;   in Loop: Header=BB1222_96 Depth=2
	v_lshlrev_b32_e32 v3, 2, v154
	ds_read_b32 v3, v3
	ds_read_b64 v[39:40], v108 offset:25088
	s_waitcnt lgkmcnt(1)
	v_add_nc_u32_e32 v3, v3, v89
	v_lshlrev_b64 v[41:42], 3, v[3:4]
	v_add_co_u32 v41, vcc_lo, s48, v41
	v_add_co_ci_u32_e64 v42, null, s49, v42, vcc_lo
	s_waitcnt lgkmcnt(0)
	global_store_dwordx2 v[41:42], v[39:40], off
	s_or_b32 exec_lo, exec_lo, s22
	s_and_saveexec_b32 s22, s36
	s_cbranch_execz .LBB1222_240
.LBB1222_304:                           ;   in Loop: Header=BB1222_96 Depth=2
	v_lshlrev_b32_e32 v3, 2, v153
	ds_read_b32 v3, v3
	ds_read_b64 v[39:40], v108 offset:27136
	s_waitcnt lgkmcnt(1)
	v_add_nc_u32_e32 v3, v3, v90
	v_lshlrev_b64 v[41:42], 3, v[3:4]
	v_add_co_u32 v41, vcc_lo, s48, v41
	v_add_co_ci_u32_e64 v42, null, s49, v42, vcc_lo
	s_waitcnt lgkmcnt(0)
	global_store_dwordx2 v[41:42], v[39:40], off
	s_or_b32 exec_lo, exec_lo, s22
	s_and_saveexec_b32 s22, s37
	s_cbranch_execz .LBB1222_241
.LBB1222_305:                           ;   in Loop: Header=BB1222_96 Depth=2
	v_lshlrev_b32_e32 v3, 2, v152
	ds_read_b32 v3, v3
	ds_read_b64 v[39:40], v108 offset:29184
	s_waitcnt lgkmcnt(1)
	v_add_nc_u32_e32 v3, v3, v91
	v_lshlrev_b64 v[41:42], 3, v[3:4]
	v_add_co_u32 v41, vcc_lo, s48, v41
	v_add_co_ci_u32_e64 v42, null, s49, v42, vcc_lo
	s_waitcnt lgkmcnt(0)
	global_store_dwordx2 v[41:42], v[39:40], off
	s_or_b32 exec_lo, exec_lo, s22
	s_and_saveexec_b32 s22, s38
	s_cbranch_execnz .LBB1222_242
	s_branch .LBB1222_243
.LBB1222_306:                           ;   in Loop: Header=BB1222_12 Depth=1
	s_waitcnt lgkmcnt(0)
	s_mov_b32 s13, 0
	s_barrier
.LBB1222_307:                           ;   in Loop: Header=BB1222_12 Depth=1
	s_and_b32 vcc_lo, exec_lo, s13
	s_cbranch_vccz .LBB1222_601
; %bb.308:                              ;   in Loop: Header=BB1222_12 Depth=1
	s_mov_b32 s13, s62
	s_mov_b32 s56, s60
	s_barrier
	buffer_gl0_inv
                                        ; implicit-def: $vgpr7_vgpr8
                                        ; implicit-def: $vgpr9_vgpr10
                                        ; implicit-def: $vgpr11_vgpr12
                                        ; implicit-def: $vgpr13_vgpr14
                                        ; implicit-def: $vgpr15_vgpr16
                                        ; implicit-def: $vgpr17_vgpr18
                                        ; implicit-def: $vgpr19_vgpr20
                                        ; implicit-def: $vgpr21_vgpr22
                                        ; implicit-def: $vgpr23_vgpr24
                                        ; implicit-def: $vgpr25_vgpr26
                                        ; implicit-def: $vgpr27_vgpr28
                                        ; implicit-def: $vgpr29_vgpr30
                                        ; implicit-def: $vgpr31_vgpr32
                                        ; implicit-def: $vgpr33_vgpr34
                                        ; implicit-def: $vgpr35_vgpr36
                                        ; implicit-def: $vgpr37_vgpr38
	s_branch .LBB1222_310
.LBB1222_309:                           ;   in Loop: Header=BB1222_310 Depth=2
	s_or_b32 exec_lo, exec_lo, s14
	s_addk_i32 s13, 0xf000
	s_cmp_ge_u32 s16, s61
	s_mov_b32 s56, s16
	s_cbranch_scc1 .LBB1222_378
.LBB1222_310:                           ;   Parent Loop BB1222_12 Depth=1
                                        ; =>  This Inner Loop Header: Depth=2
	s_add_i32 s16, s56, 0x1000
	s_mov_b32 s14, -1
	s_cmp_gt_u32 s16, s61
                                        ; implicit-def: $vgpr49_vgpr50
                                        ; implicit-def: $vgpr53_vgpr54
                                        ; implicit-def: $vgpr57_vgpr58
                                        ; implicit-def: $vgpr39_vgpr40
                                        ; implicit-def: $vgpr41_vgpr42
                                        ; implicit-def: $vgpr43_vgpr44
                                        ; implicit-def: $vgpr45_vgpr46
                                        ; implicit-def: $vgpr47_vgpr48
                                        ; implicit-def: $vgpr51_vgpr52
                                        ; implicit-def: $vgpr55_vgpr56
                                        ; implicit-def: $vgpr59_vgpr60
                                        ; implicit-def: $vgpr61_vgpr62
                                        ; implicit-def: $vgpr63_vgpr64
                                        ; implicit-def: $vgpr65_vgpr66
                                        ; implicit-def: $vgpr67_vgpr68
                                        ; implicit-def: $vgpr69_vgpr70
	s_cbranch_scc1 .LBB1222_312
; %bb.311:                              ;   in Loop: Header=BB1222_310 Depth=2
	s_lshl_b64 s[14:15], s[56:57], 3
	v_add_co_u32 v49, vcc_lo, v109, s14
	v_add_co_ci_u32_e64 v50, null, s15, v110, vcc_lo
	s_mov_b32 s14, 0
	v_add_co_u32 v57, vcc_lo, v49, 0x1000
	v_add_co_ci_u32_e64 v58, null, 0, v50, vcc_lo
	v_add_co_u32 v41, vcc_lo, v49, 0x2000
	v_add_co_ci_u32_e64 v42, null, 0, v50, vcc_lo
	;; [unrolled: 2-line block ×5, first 2 shown]
	s_clause 0x7
	global_load_dwordx2 v[39:40], v[41:42], off offset:-2048
	global_load_dwordx2 v[41:42], v[41:42], off
	global_load_dwordx2 v[43:44], v[45:46], off offset:-2048
	global_load_dwordx2 v[45:46], v[45:46], off
	;; [unrolled: 2-line block ×4, first 2 shown]
	v_add_co_u32 v53, vcc_lo, v49, 0x6000
	v_add_co_ci_u32_e64 v54, null, 0, v50, vcc_lo
	v_add_co_u32 v67, vcc_lo, v49, 0x7000
	v_add_co_ci_u32_e64 v68, null, 0, v50, vcc_lo
	;; [unrolled: 2-line block ×3, first 2 shown]
	s_clause 0x7
	global_load_dwordx2 v[61:62], v[53:54], off offset:-2048
	global_load_dwordx2 v[63:64], v[53:54], off
	global_load_dwordx2 v[65:66], v[67:68], off offset:-2048
	global_load_dwordx2 v[67:68], v[67:68], off
	global_load_dwordx2 v[49:50], v[49:50], off
	global_load_dwordx2 v[53:54], v[57:58], off offset:-2048
	global_load_dwordx2 v[57:58], v[57:58], off
	global_load_dwordx2 v[69:70], v[69:70], off
.LBB1222_312:                           ;   in Loop: Header=BB1222_310 Depth=2
	s_andn2_b32 vcc_lo, exec_lo, s14
	s_movk_i32 s14, 0x1000
	s_cbranch_vccnz .LBB1222_331
; %bb.313:                              ;   in Loop: Header=BB1222_310 Depth=2
	s_lshl_b64 s[14:15], s[56:57], 3
	s_mov_b32 s17, exec_lo
	s_add_u32 s14, s42, s14
	s_addc_u32 s15, s43, s15
	v_cmpx_gt_u32_e64 s13, v0
	s_cbranch_execnz .LBB1222_363
; %bb.314:                              ;   in Loop: Header=BB1222_310 Depth=2
	s_or_b32 exec_lo, exec_lo, s17
	s_mov_b32 s17, exec_lo
	v_cmpx_gt_u32_e64 s13, v76
	s_cbranch_execnz .LBB1222_364
.LBB1222_315:                           ;   in Loop: Header=BB1222_310 Depth=2
	s_or_b32 exec_lo, exec_lo, s17
	s_mov_b32 s17, exec_lo
	v_cmpx_gt_u32_e64 s13, v79
	s_cbranch_execnz .LBB1222_365
.LBB1222_316:                           ;   in Loop: Header=BB1222_310 Depth=2
	s_or_b32 exec_lo, exec_lo, s17
	s_mov_b32 s17, exec_lo
	v_cmpx_gt_u32_e64 s13, v80
	s_cbranch_execnz .LBB1222_366
.LBB1222_317:                           ;   in Loop: Header=BB1222_310 Depth=2
	s_or_b32 exec_lo, exec_lo, s17
	s_mov_b32 s17, exec_lo
	v_cmpx_gt_u32_e64 s13, v81
	s_cbranch_execnz .LBB1222_367
.LBB1222_318:                           ;   in Loop: Header=BB1222_310 Depth=2
	s_or_b32 exec_lo, exec_lo, s17
	s_mov_b32 s17, exec_lo
	v_cmpx_gt_u32_e64 s13, v82
	s_cbranch_execnz .LBB1222_368
.LBB1222_319:                           ;   in Loop: Header=BB1222_310 Depth=2
	s_or_b32 exec_lo, exec_lo, s17
	s_mov_b32 s17, exec_lo
	v_cmpx_gt_u32_e64 s13, v83
	s_cbranch_execnz .LBB1222_369
.LBB1222_320:                           ;   in Loop: Header=BB1222_310 Depth=2
	s_or_b32 exec_lo, exec_lo, s17
	s_mov_b32 s17, exec_lo
	v_cmpx_gt_u32_e64 s13, v84
	s_cbranch_execnz .LBB1222_370
.LBB1222_321:                           ;   in Loop: Header=BB1222_310 Depth=2
	s_or_b32 exec_lo, exec_lo, s17
	s_mov_b32 s17, exec_lo
	v_cmpx_gt_u32_e64 s13, v85
	s_cbranch_execnz .LBB1222_371
.LBB1222_322:                           ;   in Loop: Header=BB1222_310 Depth=2
	s_or_b32 exec_lo, exec_lo, s17
	s_mov_b32 s17, exec_lo
	v_cmpx_gt_u32_e64 s13, v86
	s_cbranch_execnz .LBB1222_372
.LBB1222_323:                           ;   in Loop: Header=BB1222_310 Depth=2
	s_or_b32 exec_lo, exec_lo, s17
	s_mov_b32 s17, exec_lo
	v_cmpx_gt_u32_e64 s13, v87
	s_cbranch_execnz .LBB1222_373
.LBB1222_324:                           ;   in Loop: Header=BB1222_310 Depth=2
	s_or_b32 exec_lo, exec_lo, s17
	s_mov_b32 s17, exec_lo
	v_cmpx_gt_u32_e64 s13, v88
	s_cbranch_execnz .LBB1222_374
.LBB1222_325:                           ;   in Loop: Header=BB1222_310 Depth=2
	s_or_b32 exec_lo, exec_lo, s17
	s_mov_b32 s17, exec_lo
	v_cmpx_gt_u32_e64 s13, v89
	s_cbranch_execnz .LBB1222_375
.LBB1222_326:                           ;   in Loop: Header=BB1222_310 Depth=2
	s_or_b32 exec_lo, exec_lo, s17
	s_mov_b32 s17, exec_lo
	v_cmpx_gt_u32_e64 s13, v90
	s_cbranch_execnz .LBB1222_376
.LBB1222_327:                           ;   in Loop: Header=BB1222_310 Depth=2
	s_or_b32 exec_lo, exec_lo, s17
	s_mov_b32 s17, exec_lo
	v_cmpx_gt_u32_e64 s13, v91
	s_cbranch_execnz .LBB1222_377
.LBB1222_328:                           ;   in Loop: Header=BB1222_310 Depth=2
	s_or_b32 exec_lo, exec_lo, s17
	s_mov_b32 s17, exec_lo
	v_cmpx_gt_u32_e64 s13, v92
	s_cbranch_execz .LBB1222_330
.LBB1222_329:                           ;   in Loop: Header=BB1222_310 Depth=2
	v_lshlrev_b32_e32 v3, 3, v92
	global_load_dwordx2 v[7:8], v3, s[14:15]
.LBB1222_330:                           ;   in Loop: Header=BB1222_310 Depth=2
	s_or_b32 exec_lo, exec_lo, s17
	s_waitcnt vmcnt(0)
	v_mov_b32_e32 v50, v38
	v_mov_b32_e32 v54, v36
	;; [unrolled: 1-line block ×32, first 2 shown]
	s_mov_b32 s14, s13
.LBB1222_331:                           ;   in Loop: Header=BB1222_310 Depth=2
	s_waitcnt vmcnt(0)
	v_mov_b32_e32 v7, v69
	v_mov_b32_e32 v9, v67
	;; [unrolled: 1-line block ×32, first 2 shown]
	s_mov_b32 s15, exec_lo
	v_cmpx_gt_u32_e64 s14, v0
	s_cbranch_execnz .LBB1222_347
; %bb.332:                              ;   in Loop: Header=BB1222_310 Depth=2
	s_or_b32 exec_lo, exec_lo, s15
	s_mov_b32 s15, exec_lo
	v_cmpx_gt_u32_e64 s14, v76
	s_cbranch_execnz .LBB1222_348
.LBB1222_333:                           ;   in Loop: Header=BB1222_310 Depth=2
	s_or_b32 exec_lo, exec_lo, s15
	s_mov_b32 s15, exec_lo
	v_cmpx_gt_u32_e64 s14, v79
	s_cbranch_execnz .LBB1222_349
.LBB1222_334:                           ;   in Loop: Header=BB1222_310 Depth=2
	s_or_b32 exec_lo, exec_lo, s15
	s_mov_b32 s15, exec_lo
	v_cmpx_gt_u32_e64 s14, v80
	s_cbranch_execnz .LBB1222_350
.LBB1222_335:                           ;   in Loop: Header=BB1222_310 Depth=2
	s_or_b32 exec_lo, exec_lo, s15
	s_mov_b32 s15, exec_lo
	v_cmpx_gt_u32_e64 s14, v81
	s_cbranch_execnz .LBB1222_351
.LBB1222_336:                           ;   in Loop: Header=BB1222_310 Depth=2
	s_or_b32 exec_lo, exec_lo, s15
	s_mov_b32 s15, exec_lo
	v_cmpx_gt_u32_e64 s14, v82
	s_cbranch_execnz .LBB1222_352
.LBB1222_337:                           ;   in Loop: Header=BB1222_310 Depth=2
	s_or_b32 exec_lo, exec_lo, s15
	s_mov_b32 s15, exec_lo
	v_cmpx_gt_u32_e64 s14, v83
	s_cbranch_execnz .LBB1222_353
.LBB1222_338:                           ;   in Loop: Header=BB1222_310 Depth=2
	s_or_b32 exec_lo, exec_lo, s15
	s_mov_b32 s15, exec_lo
	v_cmpx_gt_u32_e64 s14, v84
	s_cbranch_execnz .LBB1222_354
.LBB1222_339:                           ;   in Loop: Header=BB1222_310 Depth=2
	s_or_b32 exec_lo, exec_lo, s15
	s_mov_b32 s15, exec_lo
	v_cmpx_gt_u32_e64 s14, v85
	s_cbranch_execnz .LBB1222_355
.LBB1222_340:                           ;   in Loop: Header=BB1222_310 Depth=2
	s_or_b32 exec_lo, exec_lo, s15
	s_mov_b32 s15, exec_lo
	v_cmpx_gt_u32_e64 s14, v86
	s_cbranch_execnz .LBB1222_356
.LBB1222_341:                           ;   in Loop: Header=BB1222_310 Depth=2
	s_or_b32 exec_lo, exec_lo, s15
	s_mov_b32 s15, exec_lo
	v_cmpx_gt_u32_e64 s14, v87
	s_cbranch_execnz .LBB1222_357
.LBB1222_342:                           ;   in Loop: Header=BB1222_310 Depth=2
	s_or_b32 exec_lo, exec_lo, s15
	s_mov_b32 s15, exec_lo
	v_cmpx_gt_u32_e64 s14, v88
	s_cbranch_execnz .LBB1222_358
.LBB1222_343:                           ;   in Loop: Header=BB1222_310 Depth=2
	s_or_b32 exec_lo, exec_lo, s15
	s_mov_b32 s15, exec_lo
	v_cmpx_gt_u32_e64 s14, v89
	s_cbranch_execnz .LBB1222_359
.LBB1222_344:                           ;   in Loop: Header=BB1222_310 Depth=2
	s_or_b32 exec_lo, exec_lo, s15
	s_mov_b32 s15, exec_lo
	v_cmpx_gt_u32_e64 s14, v90
	s_cbranch_execnz .LBB1222_360
.LBB1222_345:                           ;   in Loop: Header=BB1222_310 Depth=2
	s_or_b32 exec_lo, exec_lo, s15
	s_mov_b32 s15, exec_lo
	v_cmpx_gt_u32_e64 s14, v91
	s_cbranch_execnz .LBB1222_361
.LBB1222_346:                           ;   in Loop: Header=BB1222_310 Depth=2
	s_or_b32 exec_lo, exec_lo, s15
	v_cmp_gt_u32_e32 vcc_lo, s14, v92
	s_and_saveexec_b32 s14, vcc_lo
	s_cbranch_execz .LBB1222_309
	s_branch .LBB1222_362
.LBB1222_347:                           ;   in Loop: Header=BB1222_310 Depth=2
	v_cmp_lt_i64_e32 vcc_lo, -1, v[37:38]
	v_ashrrev_i32_e32 v39, 31, v38
	v_xor_b32_e32 v39, v39, v37
	v_cndmask_b32_e64 v3, -1, 0x80000000, vcc_lo
	v_xor_b32_e32 v40, v3, v38
	v_cmp_ne_u64_e32 vcc_lo, s[46:47], v[39:40]
	v_cndmask_b32_e32 v40, 0x80000000, v40, vcc_lo
	v_cndmask_b32_e32 v39, 0, v39, vcc_lo
	v_lshrrev_b64 v[39:40], s63, v[39:40]
	v_and_b32_e32 v3, s65, v39
	v_lshl_or_b32 v3, v3, 4, v93
	ds_add_u32 v3, v121
	s_or_b32 exec_lo, exec_lo, s15
	s_mov_b32 s15, exec_lo
	v_cmpx_gt_u32_e64 s14, v76
	s_cbranch_execz .LBB1222_333
.LBB1222_348:                           ;   in Loop: Header=BB1222_310 Depth=2
	v_cmp_lt_i64_e32 vcc_lo, -1, v[35:36]
	v_ashrrev_i32_e32 v39, 31, v36
	v_xor_b32_e32 v39, v39, v35
	v_cndmask_b32_e64 v3, -1, 0x80000000, vcc_lo
	v_xor_b32_e32 v40, v3, v36
	v_cmp_ne_u64_e32 vcc_lo, s[46:47], v[39:40]
	v_cndmask_b32_e32 v40, 0x80000000, v40, vcc_lo
	v_cndmask_b32_e32 v39, 0, v39, vcc_lo
	v_lshrrev_b64 v[39:40], s63, v[39:40]
	v_and_b32_e32 v3, s65, v39
	v_lshl_or_b32 v3, v3, 4, v93
	ds_add_u32 v3, v121
	s_or_b32 exec_lo, exec_lo, s15
	s_mov_b32 s15, exec_lo
	v_cmpx_gt_u32_e64 s14, v79
	s_cbranch_execz .LBB1222_334
.LBB1222_349:                           ;   in Loop: Header=BB1222_310 Depth=2
	v_cmp_lt_i64_e32 vcc_lo, -1, v[33:34]
	v_ashrrev_i32_e32 v39, 31, v34
	v_xor_b32_e32 v39, v39, v33
	v_cndmask_b32_e64 v3, -1, 0x80000000, vcc_lo
	v_xor_b32_e32 v40, v3, v34
	v_cmp_ne_u64_e32 vcc_lo, s[46:47], v[39:40]
	v_cndmask_b32_e32 v40, 0x80000000, v40, vcc_lo
	v_cndmask_b32_e32 v39, 0, v39, vcc_lo
	v_lshrrev_b64 v[39:40], s63, v[39:40]
	v_and_b32_e32 v3, s65, v39
	v_lshl_or_b32 v3, v3, 4, v93
	ds_add_u32 v3, v121
	s_or_b32 exec_lo, exec_lo, s15
	s_mov_b32 s15, exec_lo
	v_cmpx_gt_u32_e64 s14, v80
	s_cbranch_execz .LBB1222_335
.LBB1222_350:                           ;   in Loop: Header=BB1222_310 Depth=2
	v_cmp_lt_i64_e32 vcc_lo, -1, v[31:32]
	v_ashrrev_i32_e32 v39, 31, v32
	v_xor_b32_e32 v39, v39, v31
	v_cndmask_b32_e64 v3, -1, 0x80000000, vcc_lo
	v_xor_b32_e32 v40, v3, v32
	v_cmp_ne_u64_e32 vcc_lo, s[46:47], v[39:40]
	v_cndmask_b32_e32 v40, 0x80000000, v40, vcc_lo
	v_cndmask_b32_e32 v39, 0, v39, vcc_lo
	v_lshrrev_b64 v[39:40], s63, v[39:40]
	v_and_b32_e32 v3, s65, v39
	v_lshl_or_b32 v3, v3, 4, v93
	ds_add_u32 v3, v121
	s_or_b32 exec_lo, exec_lo, s15
	s_mov_b32 s15, exec_lo
	v_cmpx_gt_u32_e64 s14, v81
	s_cbranch_execz .LBB1222_336
.LBB1222_351:                           ;   in Loop: Header=BB1222_310 Depth=2
	v_cmp_lt_i64_e32 vcc_lo, -1, v[29:30]
	v_ashrrev_i32_e32 v39, 31, v30
	v_xor_b32_e32 v39, v39, v29
	v_cndmask_b32_e64 v3, -1, 0x80000000, vcc_lo
	v_xor_b32_e32 v40, v3, v30
	v_cmp_ne_u64_e32 vcc_lo, s[46:47], v[39:40]
	v_cndmask_b32_e32 v40, 0x80000000, v40, vcc_lo
	v_cndmask_b32_e32 v39, 0, v39, vcc_lo
	v_lshrrev_b64 v[39:40], s63, v[39:40]
	v_and_b32_e32 v3, s65, v39
	v_lshl_or_b32 v3, v3, 4, v93
	ds_add_u32 v3, v121
	s_or_b32 exec_lo, exec_lo, s15
	s_mov_b32 s15, exec_lo
	v_cmpx_gt_u32_e64 s14, v82
	s_cbranch_execz .LBB1222_337
.LBB1222_352:                           ;   in Loop: Header=BB1222_310 Depth=2
	v_cmp_lt_i64_e32 vcc_lo, -1, v[27:28]
	v_ashrrev_i32_e32 v39, 31, v28
	v_xor_b32_e32 v39, v39, v27
	v_cndmask_b32_e64 v3, -1, 0x80000000, vcc_lo
	v_xor_b32_e32 v40, v3, v28
	v_cmp_ne_u64_e32 vcc_lo, s[46:47], v[39:40]
	v_cndmask_b32_e32 v40, 0x80000000, v40, vcc_lo
	v_cndmask_b32_e32 v39, 0, v39, vcc_lo
	v_lshrrev_b64 v[39:40], s63, v[39:40]
	v_and_b32_e32 v3, s65, v39
	v_lshl_or_b32 v3, v3, 4, v93
	ds_add_u32 v3, v121
	s_or_b32 exec_lo, exec_lo, s15
	s_mov_b32 s15, exec_lo
	v_cmpx_gt_u32_e64 s14, v83
	s_cbranch_execz .LBB1222_338
.LBB1222_353:                           ;   in Loop: Header=BB1222_310 Depth=2
	v_cmp_lt_i64_e32 vcc_lo, -1, v[25:26]
	v_ashrrev_i32_e32 v39, 31, v26
	v_xor_b32_e32 v39, v39, v25
	v_cndmask_b32_e64 v3, -1, 0x80000000, vcc_lo
	v_xor_b32_e32 v40, v3, v26
	v_cmp_ne_u64_e32 vcc_lo, s[46:47], v[39:40]
	v_cndmask_b32_e32 v40, 0x80000000, v40, vcc_lo
	v_cndmask_b32_e32 v39, 0, v39, vcc_lo
	v_lshrrev_b64 v[39:40], s63, v[39:40]
	v_and_b32_e32 v3, s65, v39
	v_lshl_or_b32 v3, v3, 4, v93
	ds_add_u32 v3, v121
	s_or_b32 exec_lo, exec_lo, s15
	s_mov_b32 s15, exec_lo
	v_cmpx_gt_u32_e64 s14, v84
	s_cbranch_execz .LBB1222_339
.LBB1222_354:                           ;   in Loop: Header=BB1222_310 Depth=2
	v_cmp_lt_i64_e32 vcc_lo, -1, v[23:24]
	v_ashrrev_i32_e32 v39, 31, v24
	v_xor_b32_e32 v39, v39, v23
	v_cndmask_b32_e64 v3, -1, 0x80000000, vcc_lo
	v_xor_b32_e32 v40, v3, v24
	v_cmp_ne_u64_e32 vcc_lo, s[46:47], v[39:40]
	v_cndmask_b32_e32 v40, 0x80000000, v40, vcc_lo
	v_cndmask_b32_e32 v39, 0, v39, vcc_lo
	v_lshrrev_b64 v[39:40], s63, v[39:40]
	v_and_b32_e32 v3, s65, v39
	v_lshl_or_b32 v3, v3, 4, v93
	ds_add_u32 v3, v121
	s_or_b32 exec_lo, exec_lo, s15
	s_mov_b32 s15, exec_lo
	v_cmpx_gt_u32_e64 s14, v85
	s_cbranch_execz .LBB1222_340
.LBB1222_355:                           ;   in Loop: Header=BB1222_310 Depth=2
	v_cmp_lt_i64_e32 vcc_lo, -1, v[21:22]
	v_ashrrev_i32_e32 v39, 31, v22
	v_xor_b32_e32 v39, v39, v21
	v_cndmask_b32_e64 v3, -1, 0x80000000, vcc_lo
	v_xor_b32_e32 v40, v3, v22
	v_cmp_ne_u64_e32 vcc_lo, s[46:47], v[39:40]
	v_cndmask_b32_e32 v40, 0x80000000, v40, vcc_lo
	v_cndmask_b32_e32 v39, 0, v39, vcc_lo
	v_lshrrev_b64 v[39:40], s63, v[39:40]
	v_and_b32_e32 v3, s65, v39
	v_lshl_or_b32 v3, v3, 4, v93
	ds_add_u32 v3, v121
	s_or_b32 exec_lo, exec_lo, s15
	s_mov_b32 s15, exec_lo
	v_cmpx_gt_u32_e64 s14, v86
	s_cbranch_execz .LBB1222_341
.LBB1222_356:                           ;   in Loop: Header=BB1222_310 Depth=2
	v_cmp_lt_i64_e32 vcc_lo, -1, v[19:20]
	v_ashrrev_i32_e32 v39, 31, v20
	v_xor_b32_e32 v39, v39, v19
	v_cndmask_b32_e64 v3, -1, 0x80000000, vcc_lo
	v_xor_b32_e32 v40, v3, v20
	v_cmp_ne_u64_e32 vcc_lo, s[46:47], v[39:40]
	v_cndmask_b32_e32 v40, 0x80000000, v40, vcc_lo
	v_cndmask_b32_e32 v39, 0, v39, vcc_lo
	v_lshrrev_b64 v[39:40], s63, v[39:40]
	v_and_b32_e32 v3, s65, v39
	v_lshl_or_b32 v3, v3, 4, v93
	ds_add_u32 v3, v121
	s_or_b32 exec_lo, exec_lo, s15
	s_mov_b32 s15, exec_lo
	v_cmpx_gt_u32_e64 s14, v87
	s_cbranch_execz .LBB1222_342
.LBB1222_357:                           ;   in Loop: Header=BB1222_310 Depth=2
	v_cmp_lt_i64_e32 vcc_lo, -1, v[17:18]
	v_ashrrev_i32_e32 v39, 31, v18
	v_xor_b32_e32 v39, v39, v17
	v_cndmask_b32_e64 v3, -1, 0x80000000, vcc_lo
	v_xor_b32_e32 v40, v3, v18
	v_cmp_ne_u64_e32 vcc_lo, s[46:47], v[39:40]
	v_cndmask_b32_e32 v40, 0x80000000, v40, vcc_lo
	v_cndmask_b32_e32 v39, 0, v39, vcc_lo
	v_lshrrev_b64 v[39:40], s63, v[39:40]
	v_and_b32_e32 v3, s65, v39
	v_lshl_or_b32 v3, v3, 4, v93
	ds_add_u32 v3, v121
	s_or_b32 exec_lo, exec_lo, s15
	s_mov_b32 s15, exec_lo
	v_cmpx_gt_u32_e64 s14, v88
	s_cbranch_execz .LBB1222_343
.LBB1222_358:                           ;   in Loop: Header=BB1222_310 Depth=2
	v_cmp_lt_i64_e32 vcc_lo, -1, v[15:16]
	v_ashrrev_i32_e32 v39, 31, v16
	v_xor_b32_e32 v39, v39, v15
	v_cndmask_b32_e64 v3, -1, 0x80000000, vcc_lo
	v_xor_b32_e32 v40, v3, v16
	v_cmp_ne_u64_e32 vcc_lo, s[46:47], v[39:40]
	v_cndmask_b32_e32 v40, 0x80000000, v40, vcc_lo
	v_cndmask_b32_e32 v39, 0, v39, vcc_lo
	v_lshrrev_b64 v[39:40], s63, v[39:40]
	v_and_b32_e32 v3, s65, v39
	v_lshl_or_b32 v3, v3, 4, v93
	ds_add_u32 v3, v121
	s_or_b32 exec_lo, exec_lo, s15
	s_mov_b32 s15, exec_lo
	v_cmpx_gt_u32_e64 s14, v89
	s_cbranch_execz .LBB1222_344
.LBB1222_359:                           ;   in Loop: Header=BB1222_310 Depth=2
	v_cmp_lt_i64_e32 vcc_lo, -1, v[13:14]
	v_ashrrev_i32_e32 v39, 31, v14
	v_xor_b32_e32 v39, v39, v13
	v_cndmask_b32_e64 v3, -1, 0x80000000, vcc_lo
	v_xor_b32_e32 v40, v3, v14
	v_cmp_ne_u64_e32 vcc_lo, s[46:47], v[39:40]
	v_cndmask_b32_e32 v40, 0x80000000, v40, vcc_lo
	v_cndmask_b32_e32 v39, 0, v39, vcc_lo
	v_lshrrev_b64 v[39:40], s63, v[39:40]
	v_and_b32_e32 v3, s65, v39
	v_lshl_or_b32 v3, v3, 4, v93
	ds_add_u32 v3, v121
	s_or_b32 exec_lo, exec_lo, s15
	s_mov_b32 s15, exec_lo
	v_cmpx_gt_u32_e64 s14, v90
	s_cbranch_execz .LBB1222_345
.LBB1222_360:                           ;   in Loop: Header=BB1222_310 Depth=2
	v_cmp_lt_i64_e32 vcc_lo, -1, v[11:12]
	v_ashrrev_i32_e32 v39, 31, v12
	v_xor_b32_e32 v39, v39, v11
	v_cndmask_b32_e64 v3, -1, 0x80000000, vcc_lo
	v_xor_b32_e32 v40, v3, v12
	v_cmp_ne_u64_e32 vcc_lo, s[46:47], v[39:40]
	v_cndmask_b32_e32 v40, 0x80000000, v40, vcc_lo
	v_cndmask_b32_e32 v39, 0, v39, vcc_lo
	v_lshrrev_b64 v[39:40], s63, v[39:40]
	v_and_b32_e32 v3, s65, v39
	v_lshl_or_b32 v3, v3, 4, v93
	ds_add_u32 v3, v121
	s_or_b32 exec_lo, exec_lo, s15
	s_mov_b32 s15, exec_lo
	v_cmpx_gt_u32_e64 s14, v91
	s_cbranch_execz .LBB1222_346
.LBB1222_361:                           ;   in Loop: Header=BB1222_310 Depth=2
	v_cmp_lt_i64_e32 vcc_lo, -1, v[9:10]
	v_ashrrev_i32_e32 v39, 31, v10
	v_xor_b32_e32 v39, v39, v9
	v_cndmask_b32_e64 v3, -1, 0x80000000, vcc_lo
	v_xor_b32_e32 v40, v3, v10
	v_cmp_ne_u64_e32 vcc_lo, s[46:47], v[39:40]
	v_cndmask_b32_e32 v40, 0x80000000, v40, vcc_lo
	v_cndmask_b32_e32 v39, 0, v39, vcc_lo
	v_lshrrev_b64 v[39:40], s63, v[39:40]
	v_and_b32_e32 v3, s65, v39
	v_lshl_or_b32 v3, v3, 4, v93
	ds_add_u32 v3, v121
	s_or_b32 exec_lo, exec_lo, s15
	v_cmp_gt_u32_e32 vcc_lo, s14, v92
	s_and_saveexec_b32 s14, vcc_lo
	s_cbranch_execz .LBB1222_309
.LBB1222_362:                           ;   in Loop: Header=BB1222_310 Depth=2
	v_cmp_lt_i64_e32 vcc_lo, -1, v[7:8]
	v_ashrrev_i32_e32 v39, 31, v8
	v_xor_b32_e32 v39, v39, v7
	v_cndmask_b32_e64 v3, -1, 0x80000000, vcc_lo
	v_xor_b32_e32 v40, v3, v8
	v_cmp_ne_u64_e32 vcc_lo, s[46:47], v[39:40]
	v_cndmask_b32_e32 v40, 0x80000000, v40, vcc_lo
	v_cndmask_b32_e32 v39, 0, v39, vcc_lo
	v_lshrrev_b64 v[39:40], s63, v[39:40]
	v_and_b32_e32 v3, s65, v39
	v_lshl_or_b32 v3, v3, 4, v93
	ds_add_u32 v3, v121
	s_branch .LBB1222_309
.LBB1222_363:                           ;   in Loop: Header=BB1222_310 Depth=2
	global_load_dwordx2 v[37:38], v122, s[14:15]
	s_or_b32 exec_lo, exec_lo, s17
	s_mov_b32 s17, exec_lo
	v_cmpx_gt_u32_e64 s13, v76
	s_cbranch_execz .LBB1222_315
.LBB1222_364:                           ;   in Loop: Header=BB1222_310 Depth=2
	global_load_dwordx2 v[35:36], v123, s[14:15]
	s_or_b32 exec_lo, exec_lo, s17
	s_mov_b32 s17, exec_lo
	v_cmpx_gt_u32_e64 s13, v79
	s_cbranch_execz .LBB1222_316
.LBB1222_365:                           ;   in Loop: Header=BB1222_310 Depth=2
	global_load_dwordx2 v[33:34], v124, s[14:15]
	s_or_b32 exec_lo, exec_lo, s17
	s_mov_b32 s17, exec_lo
	v_cmpx_gt_u32_e64 s13, v80
	s_cbranch_execz .LBB1222_317
.LBB1222_366:                           ;   in Loop: Header=BB1222_310 Depth=2
	global_load_dwordx2 v[31:32], v125, s[14:15]
	s_or_b32 exec_lo, exec_lo, s17
	s_mov_b32 s17, exec_lo
	v_cmpx_gt_u32_e64 s13, v81
	s_cbranch_execz .LBB1222_318
.LBB1222_367:                           ;   in Loop: Header=BB1222_310 Depth=2
	global_load_dwordx2 v[29:30], v126, s[14:15]
	s_or_b32 exec_lo, exec_lo, s17
	s_mov_b32 s17, exec_lo
	v_cmpx_gt_u32_e64 s13, v82
	s_cbranch_execz .LBB1222_319
.LBB1222_368:                           ;   in Loop: Header=BB1222_310 Depth=2
	global_load_dwordx2 v[27:28], v127, s[14:15]
	s_or_b32 exec_lo, exec_lo, s17
	s_mov_b32 s17, exec_lo
	v_cmpx_gt_u32_e64 s13, v83
	s_cbranch_execz .LBB1222_320
.LBB1222_369:                           ;   in Loop: Header=BB1222_310 Depth=2
	v_lshlrev_b32_e32 v3, 3, v83
	global_load_dwordx2 v[25:26], v3, s[14:15]
	s_or_b32 exec_lo, exec_lo, s17
	s_mov_b32 s17, exec_lo
	v_cmpx_gt_u32_e64 s13, v84
	s_cbranch_execz .LBB1222_321
.LBB1222_370:                           ;   in Loop: Header=BB1222_310 Depth=2
	v_lshlrev_b32_e32 v3, 3, v84
	global_load_dwordx2 v[23:24], v3, s[14:15]
	s_or_b32 exec_lo, exec_lo, s17
	s_mov_b32 s17, exec_lo
	v_cmpx_gt_u32_e64 s13, v85
	s_cbranch_execz .LBB1222_322
.LBB1222_371:                           ;   in Loop: Header=BB1222_310 Depth=2
	v_lshlrev_b32_e32 v3, 3, v85
	global_load_dwordx2 v[21:22], v3, s[14:15]
	s_or_b32 exec_lo, exec_lo, s17
	s_mov_b32 s17, exec_lo
	v_cmpx_gt_u32_e64 s13, v86
	s_cbranch_execz .LBB1222_323
.LBB1222_372:                           ;   in Loop: Header=BB1222_310 Depth=2
	v_lshlrev_b32_e32 v3, 3, v86
	global_load_dwordx2 v[19:20], v3, s[14:15]
	s_or_b32 exec_lo, exec_lo, s17
	s_mov_b32 s17, exec_lo
	v_cmpx_gt_u32_e64 s13, v87
	s_cbranch_execz .LBB1222_324
.LBB1222_373:                           ;   in Loop: Header=BB1222_310 Depth=2
	v_lshlrev_b32_e32 v3, 3, v87
	global_load_dwordx2 v[17:18], v3, s[14:15]
	s_or_b32 exec_lo, exec_lo, s17
	s_mov_b32 s17, exec_lo
	v_cmpx_gt_u32_e64 s13, v88
	s_cbranch_execz .LBB1222_325
.LBB1222_374:                           ;   in Loop: Header=BB1222_310 Depth=2
	v_lshlrev_b32_e32 v3, 3, v88
	global_load_dwordx2 v[15:16], v3, s[14:15]
	s_or_b32 exec_lo, exec_lo, s17
	s_mov_b32 s17, exec_lo
	v_cmpx_gt_u32_e64 s13, v89
	s_cbranch_execz .LBB1222_326
.LBB1222_375:                           ;   in Loop: Header=BB1222_310 Depth=2
	v_lshlrev_b32_e32 v3, 3, v89
	global_load_dwordx2 v[13:14], v3, s[14:15]
	s_or_b32 exec_lo, exec_lo, s17
	s_mov_b32 s17, exec_lo
	v_cmpx_gt_u32_e64 s13, v90
	s_cbranch_execz .LBB1222_327
.LBB1222_376:                           ;   in Loop: Header=BB1222_310 Depth=2
	v_lshlrev_b32_e32 v3, 3, v90
	global_load_dwordx2 v[11:12], v3, s[14:15]
	s_or_b32 exec_lo, exec_lo, s17
	s_mov_b32 s17, exec_lo
	v_cmpx_gt_u32_e64 s13, v91
	s_cbranch_execz .LBB1222_328
.LBB1222_377:                           ;   in Loop: Header=BB1222_310 Depth=2
	v_lshlrev_b32_e32 v3, 3, v91
	global_load_dwordx2 v[9:10], v3, s[14:15]
	s_or_b32 exec_lo, exec_lo, s17
	s_mov_b32 s17, exec_lo
	v_cmpx_gt_u32_e64 s13, v92
	s_cbranch_execnz .LBB1222_329
	s_branch .LBB1222_330
.LBB1222_378:                           ;   in Loop: Header=BB1222_12 Depth=1
	v_mov_b32_e32 v3, 0
	s_waitcnt lgkmcnt(0)
	s_barrier
	buffer_gl0_inv
	s_and_saveexec_b32 s13, s7
	s_cbranch_execz .LBB1222_380
; %bb.379:                              ;   in Loop: Header=BB1222_12 Depth=1
	ds_read2_b64 v[7:10], v95 offset1:1
	s_waitcnt lgkmcnt(0)
	v_add_nc_u32_e32 v3, v8, v7
	v_add3_u32 v3, v3, v9, v10
.LBB1222_380:                           ;   in Loop: Header=BB1222_12 Depth=1
	s_or_b32 exec_lo, exec_lo, s13
	v_and_b32_e32 v7, 15, v128
	v_mov_b32_dpp v8, v3 row_shr:1 row_mask:0xf bank_mask:0xf
	v_and_b32_e32 v9, 16, v128
	v_cmp_eq_u32_e64 s13, 0, v7
	v_cmp_lt_u32_e64 s14, 1, v7
	v_cmp_lt_u32_e64 s15, 3, v7
	v_cmp_lt_u32_e64 s16, 7, v7
	v_cmp_eq_u32_e64 s17, 0, v9
	v_cndmask_b32_e64 v8, v8, 0, s13
	v_add_nc_u32_e32 v3, v8, v3
	v_mov_b32_dpp v8, v3 row_shr:2 row_mask:0xf bank_mask:0xf
	v_cndmask_b32_e64 v8, 0, v8, s14
	v_add_nc_u32_e32 v3, v3, v8
	v_mov_b32_dpp v8, v3 row_shr:4 row_mask:0xf bank_mask:0xf
	;; [unrolled: 3-line block ×3, first 2 shown]
	v_cndmask_b32_e64 v7, 0, v8, s16
	v_bfe_i32 v8, v128, 4, 1
	v_add_nc_u32_e32 v3, v3, v7
	ds_swizzle_b32 v7, v3 offset:swizzle(BROADCAST,32,15)
	s_waitcnt lgkmcnt(0)
	v_and_b32_e32 v7, v8, v7
	v_add_nc_u32_e32 v3, v3, v7
	s_and_saveexec_b32 s18, s8
; %bb.381:                              ;   in Loop: Header=BB1222_12 Depth=1
	ds_write_b32 v96, v3
; %bb.382:                              ;   in Loop: Header=BB1222_12 Depth=1
	s_or_b32 exec_lo, exec_lo, s18
	s_waitcnt lgkmcnt(0)
	s_barrier
	buffer_gl0_inv
	s_and_saveexec_b32 s18, s9
	s_cbranch_execz .LBB1222_384
; %bb.383:                              ;   in Loop: Header=BB1222_12 Depth=1
	ds_read_b32 v7, v97
	v_and_b32_e32 v8, 3, v128
	v_cmp_ne_u32_e32 vcc_lo, 0, v8
	s_waitcnt lgkmcnt(0)
	v_mov_b32_dpp v9, v7 row_shr:1 row_mask:0xf bank_mask:0xf
	v_cndmask_b32_e32 v9, 0, v9, vcc_lo
	v_cmp_lt_u32_e32 vcc_lo, 1, v8
	v_add_nc_u32_e32 v7, v9, v7
	v_mov_b32_dpp v9, v7 row_shr:2 row_mask:0xf bank_mask:0xf
	v_cndmask_b32_e32 v8, 0, v9, vcc_lo
	v_add_nc_u32_e32 v7, v7, v8
	ds_write_b32 v97, v7
.LBB1222_384:                           ;   in Loop: Header=BB1222_12 Depth=1
	s_or_b32 exec_lo, exec_lo, s18
	v_mov_b32_e32 v7, 0
	s_waitcnt lgkmcnt(0)
	s_barrier
	buffer_gl0_inv
	s_and_saveexec_b32 s18, s10
; %bb.385:                              ;   in Loop: Header=BB1222_12 Depth=1
	ds_read_b32 v7, v98
; %bb.386:                              ;   in Loop: Header=BB1222_12 Depth=1
	s_or_b32 exec_lo, exec_lo, s18
	v_sub_co_u32 v8, s18, v128, 1
	s_waitcnt lgkmcnt(0)
	v_add_nc_u32_e32 v3, v7, v3
	s_barrier
	v_cmp_gt_i32_e32 vcc_lo, 0, v8
	buffer_gl0_inv
	v_cndmask_b32_e32 v8, v8, v128, vcc_lo
	v_lshlrev_b32_e32 v129, 2, v8
	ds_bpermute_b32 v3, v129, v3
	s_and_saveexec_b32 s19, s7
	s_cbranch_execz .LBB1222_388
; %bb.387:                              ;   in Loop: Header=BB1222_12 Depth=1
	s_waitcnt lgkmcnt(0)
	v_cndmask_b32_e64 v3, v3, v7, s18
	v_add_nc_u32_e32 v3, s60, v3
	ds_write_b32 v75, v3
.LBB1222_388:                           ;   in Loop: Header=BB1222_12 Depth=1
	s_or_b32 exec_lo, exec_lo, s19
	s_load_dwordx2 s[20:21], s[58:59], 0x0
	v_and_b32_e32 v8, 7, v128
	v_lshlrev_b32_e32 v9, 3, v128
	v_or_b32_e32 v130, v128, v99
	s_mov_b32 s66, s62
	s_mov_b32 s56, s60
                                        ; implicit-def: $vgpr11_vgpr12
                                        ; implicit-def: $vgpr13_vgpr14
                                        ; implicit-def: $vgpr15_vgpr16
                                        ; implicit-def: $vgpr19_vgpr20
                                        ; implicit-def: $vgpr23_vgpr24
                                        ; implicit-def: $vgpr27_vgpr28
                                        ; implicit-def: $vgpr17_vgpr18
                                        ; implicit-def: $vgpr21_vgpr22
                                        ; implicit-def: $vgpr25_vgpr26
                                        ; implicit-def: $vgpr29_vgpr30
                                        ; implicit-def: $vgpr31_vgpr32
                                        ; implicit-def: $vgpr33_vgpr34
                                        ; implicit-def: $vgpr35_vgpr36
                                        ; implicit-def: $vgpr37_vgpr38
                                        ; implicit-def: $vgpr151
                                        ; implicit-def: $vgpr152
                                        ; implicit-def: $vgpr153
                                        ; implicit-def: $vgpr154
                                        ; implicit-def: $vgpr155
                                        ; implicit-def: $vgpr156
                                        ; implicit-def: $vgpr157
                                        ; implicit-def: $vgpr159
                                        ; implicit-def: $vgpr160
                                        ; implicit-def: $vgpr161
                                        ; implicit-def: $vgpr162
                                        ; implicit-def: $vgpr163
                                        ; implicit-def: $vgpr164
                                        ; implicit-def: $vgpr165
                                        ; implicit-def: $vgpr166
                                        ; implicit-def: $vgpr167
                                        ; implicit-def: $vgpr158
                                        ; implicit-def: $vgpr168
	v_add_co_u32 v131, vcc_lo, v111, v9
	v_add_co_ci_u32_e64 v132, null, 0, v112, vcc_lo
	v_add_co_u32 v148, vcc_lo, v113, v9
	v_or_b32_e32 v133, 32, v130
	v_or_b32_e32 v134, 64, v130
	;; [unrolled: 1-line block ×7, first 2 shown]
	s_waitcnt lgkmcnt(0)
	s_cmp_lt_u32 s29, s21
	v_or_b32_e32 v140, 0x100, v130
	s_cselect_b32 s19, 14, 20
	v_or_b32_e32 v141, 0x120, v130
	s_add_u32 s22, s58, s19
	s_addc_u32 s23, s59, 0
	s_cmp_lt_u32 s6, s20
	global_load_ushort v3, v4, s[22:23]
	s_cselect_b32 s19, 12, 18
	v_or_b32_e32 v142, 0x140, v130
	s_add_u32 s20, s58, s19
	s_addc_u32 s21, s59, 0
	v_cmp_eq_u32_e64 s19, 0, v8
	global_load_ushort v7, v4, s[20:21]
	v_cmp_lt_u32_e64 s20, 1, v8
	v_cmp_lt_u32_e64 s21, 3, v8
	v_or_b32_e32 v143, 0x160, v130
	v_or_b32_e32 v144, 0x180, v130
	;; [unrolled: 1-line block ×5, first 2 shown]
	v_add_co_ci_u32_e64 v149, null, 0, v114, vcc_lo
                                        ; implicit-def: $vgpr9_vgpr10
	s_waitcnt vmcnt(1)
	v_mad_u32_u24 v3, v2, v3, v1
	s_waitcnt vmcnt(0)
	v_mad_u64_u32 v[7:8], null, v3, v7, v[0:1]
	v_lshrrev_b32_e32 v3, 3, v7
                                        ; implicit-def: $vgpr7_vgpr8
	v_and_b32_e32 v150, 0x1ffffffc, v3
	s_branch .LBB1222_390
.LBB1222_389:                           ;   in Loop: Header=BB1222_390 Depth=2
	s_or_b32 exec_lo, exec_lo, s22
	s_addk_i32 s66, 0xf000
	s_cmp_lt_u32 s67, s61
	s_mov_b32 s56, s67
	s_cbranch_scc0 .LBB1222_600
.LBB1222_390:                           ;   Parent Loop BB1222_12 Depth=1
                                        ; =>  This Inner Loop Header: Depth=2
	s_add_i32 s67, s56, 0x1000
	s_cmp_gt_u32 s67, s61
	s_cbranch_scc1 .LBB1222_392
; %bb.391:                              ;   in Loop: Header=BB1222_390 Depth=2
	s_lshl_b64 s[22:23], s[56:57], 3
	v_add_co_u32 v45, vcc_lo, v148, s22
	v_add_co_ci_u32_e64 v46, null, s23, v149, vcc_lo
	v_add_co_u32 v47, vcc_lo, 0x800, v45
	v_add_co_ci_u32_e64 v48, null, 0, v46, vcc_lo
	s_clause 0xe
	global_load_dwordx2 v[39:40], v[45:46], off
	global_load_dwordx2 v[41:42], v[45:46], off offset:256
	global_load_dwordx2 v[43:44], v[45:46], off offset:512
	;; [unrolled: 1-line block ×7, first 2 shown]
	global_load_dwordx2 v[69:70], v[47:48], off
	global_load_dwordx2 v[65:66], v[47:48], off offset:256
	global_load_dwordx2 v[61:62], v[47:48], off offset:512
	;; [unrolled: 1-line block ×6, first 2 shown]
	s_mov_b32 s22, -1
	s_movk_i32 s23, 0x1000
	s_cbranch_execz .LBB1222_393
	s_branch .LBB1222_424
.LBB1222_392:                           ;   in Loop: Header=BB1222_390 Depth=2
	s_mov_b32 s22, 0
                                        ; implicit-def: $vgpr39_vgpr40
                                        ; implicit-def: $vgpr41_vgpr42
                                        ; implicit-def: $vgpr43_vgpr44
                                        ; implicit-def: $vgpr49_vgpr50
                                        ; implicit-def: $vgpr55_vgpr56
                                        ; implicit-def: $vgpr59_vgpr60
                                        ; implicit-def: $vgpr63_vgpr64
                                        ; implicit-def: $vgpr67_vgpr68
                                        ; implicit-def: $vgpr69_vgpr70
                                        ; implicit-def: $vgpr65_vgpr66
                                        ; implicit-def: $vgpr61_vgpr62
                                        ; implicit-def: $vgpr57_vgpr58
                                        ; implicit-def: $vgpr53_vgpr54
                                        ; implicit-def: $vgpr51_vgpr52
                                        ; implicit-def: $vgpr45_vgpr46
	s_movk_i32 s23, 0x1000
.LBB1222_393:                           ;   in Loop: Header=BB1222_390 Depth=2
	s_waitcnt vmcnt(13)
	v_mov_b32_e32 v41, v5
	v_mov_b32_e32 v42, v6
	s_lshl_b64 s[22:23], s[56:57], 3
	v_add_co_u32 v47, vcc_lo, v148, s22
	v_mov_b32_e32 v39, v41
	v_add_co_ci_u32_e64 v48, null, s23, v149, vcc_lo
	v_mov_b32_e32 v40, v42
	s_mov_b32 s22, exec_lo
	v_cmpx_gt_u32_e64 s66, v130
	s_cbranch_execz .LBB1222_395
; %bb.394:                              ;   in Loop: Header=BB1222_390 Depth=2
	global_load_dwordx2 v[39:40], v[47:48], off
.LBB1222_395:                           ;   in Loop: Header=BB1222_390 Depth=2
	s_or_b32 exec_lo, exec_lo, s22
	s_mov_b32 s22, exec_lo
	v_cmpx_gt_u32_e64 s66, v133
	s_cbranch_execz .LBB1222_397
; %bb.396:                              ;   in Loop: Header=BB1222_390 Depth=2
	global_load_dwordx2 v[41:42], v[47:48], off offset:256
.LBB1222_397:                           ;   in Loop: Header=BB1222_390 Depth=2
	s_or_b32 exec_lo, exec_lo, s22
	s_waitcnt vmcnt(12)
	v_mov_b32_e32 v44, v6
	v_mov_b32_e32 v43, v5
	s_mov_b32 s22, exec_lo
	v_cmpx_gt_u32_e64 s66, v134
	s_cbranch_execz .LBB1222_399
; %bb.398:                              ;   in Loop: Header=BB1222_390 Depth=2
	global_load_dwordx2 v[43:44], v[47:48], off offset:512
.LBB1222_399:                           ;   in Loop: Header=BB1222_390 Depth=2
	s_or_b32 exec_lo, exec_lo, s22
	s_waitcnt vmcnt(11)
	v_mov_b32_e32 v50, v6
	v_mov_b32_e32 v49, v5
	;; [unrolled: 10-line block ×7, first 2 shown]
	s_mov_b32 s22, exec_lo
	v_cmpx_gt_u32_e64 s66, v140
	s_cbranch_execz .LBB1222_411
; %bb.410:                              ;   in Loop: Header=BB1222_390 Depth=2
	s_waitcnt vmcnt(0)
	v_add_co_u32 v45, vcc_lo, 0x800, v47
	v_add_co_ci_u32_e64 v46, null, 0, v48, vcc_lo
	global_load_dwordx2 v[69:70], v[45:46], off
.LBB1222_411:                           ;   in Loop: Header=BB1222_390 Depth=2
	s_or_b32 exec_lo, exec_lo, s22
	s_waitcnt vmcnt(5)
	v_mov_b32_e32 v66, v6
	v_mov_b32_e32 v65, v5
	s_mov_b32 s22, exec_lo
	v_cmpx_gt_u32_e64 s66, v141
	s_cbranch_execz .LBB1222_413
; %bb.412:                              ;   in Loop: Header=BB1222_390 Depth=2
	s_waitcnt vmcnt(0)
	v_add_co_u32 v45, vcc_lo, 0x800, v47
	v_add_co_ci_u32_e64 v46, null, 0, v48, vcc_lo
	global_load_dwordx2 v[65:66], v[45:46], off offset:256
.LBB1222_413:                           ;   in Loop: Header=BB1222_390 Depth=2
	s_or_b32 exec_lo, exec_lo, s22
	s_waitcnt vmcnt(4)
	v_mov_b32_e32 v62, v6
	v_mov_b32_e32 v61, v5
	s_mov_b32 s22, exec_lo
	v_cmpx_gt_u32_e64 s66, v142
	s_cbranch_execz .LBB1222_415
; %bb.414:                              ;   in Loop: Header=BB1222_390 Depth=2
	s_waitcnt vmcnt(0)
	v_add_co_u32 v45, vcc_lo, 0x800, v47
	v_add_co_ci_u32_e64 v46, null, 0, v48, vcc_lo
	global_load_dwordx2 v[61:62], v[45:46], off offset:512
.LBB1222_415:                           ;   in Loop: Header=BB1222_390 Depth=2
	s_or_b32 exec_lo, exec_lo, s22
	s_waitcnt vmcnt(3)
	v_mov_b32_e32 v58, v6
	v_mov_b32_e32 v57, v5
	s_mov_b32 s22, exec_lo
	v_cmpx_gt_u32_e64 s66, v143
	s_cbranch_execz .LBB1222_417
; %bb.416:                              ;   in Loop: Header=BB1222_390 Depth=2
	s_waitcnt vmcnt(0)
	v_add_co_u32 v45, vcc_lo, 0x800, v47
	v_add_co_ci_u32_e64 v46, null, 0, v48, vcc_lo
	global_load_dwordx2 v[57:58], v[45:46], off offset:768
.LBB1222_417:                           ;   in Loop: Header=BB1222_390 Depth=2
	s_or_b32 exec_lo, exec_lo, s22
	s_waitcnt vmcnt(2)
	v_mov_b32_e32 v54, v6
	v_mov_b32_e32 v53, v5
	s_mov_b32 s22, exec_lo
	v_cmpx_gt_u32_e64 s66, v144
	s_cbranch_execz .LBB1222_419
; %bb.418:                              ;   in Loop: Header=BB1222_390 Depth=2
	s_waitcnt vmcnt(0)
	v_add_co_u32 v45, vcc_lo, 0x800, v47
	v_add_co_ci_u32_e64 v46, null, 0, v48, vcc_lo
	global_load_dwordx2 v[53:54], v[45:46], off offset:1024
.LBB1222_419:                           ;   in Loop: Header=BB1222_390 Depth=2
	s_or_b32 exec_lo, exec_lo, s22
	s_waitcnt vmcnt(1)
	v_mov_b32_e32 v52, v6
	v_mov_b32_e32 v51, v5
	s_mov_b32 s22, exec_lo
	v_cmpx_gt_u32_e64 s66, v145
	s_cbranch_execz .LBB1222_421
; %bb.420:                              ;   in Loop: Header=BB1222_390 Depth=2
	s_waitcnt vmcnt(0)
	v_add_co_u32 v45, vcc_lo, 0x800, v47
	v_add_co_ci_u32_e64 v46, null, 0, v48, vcc_lo
	global_load_dwordx2 v[51:52], v[45:46], off offset:1280
.LBB1222_421:                           ;   in Loop: Header=BB1222_390 Depth=2
	s_or_b32 exec_lo, exec_lo, s22
	s_waitcnt vmcnt(0)
	v_mov_b32_e32 v46, v6
	v_mov_b32_e32 v45, v5
	s_mov_b32 s22, exec_lo
	v_cmpx_gt_u32_e64 s66, v146
	s_cbranch_execz .LBB1222_423
; %bb.422:                              ;   in Loop: Header=BB1222_390 Depth=2
	v_add_co_u32 v45, vcc_lo, 0x800, v47
	v_add_co_ci_u32_e64 v46, null, 0, v48, vcc_lo
	global_load_dwordx2 v[45:46], v[45:46], off offset:1536
.LBB1222_423:                           ;   in Loop: Header=BB1222_390 Depth=2
	s_or_b32 exec_lo, exec_lo, s22
	v_cmp_gt_u32_e64 s22, s66, v147
	s_sub_i32 s23, s61, s56
.LBB1222_424:                           ;   in Loop: Header=BB1222_390 Depth=2
	v_mov_b32_e32 v48, v6
	v_mov_b32_e32 v169, s66
	;; [unrolled: 1-line block ×3, first 2 shown]
	s_and_saveexec_b32 s24, s22
	s_cbranch_execz .LBB1222_426
; %bb.425:                              ;   in Loop: Header=BB1222_390 Depth=2
	s_lshl_b64 s[26:27], s[56:57], 3
	v_mov_b32_e32 v169, s23
	v_add_co_u32 v3, vcc_lo, v148, s26
	v_add_co_ci_u32_e64 v48, null, s27, v149, vcc_lo
	v_add_co_u32 v47, vcc_lo, 0x800, v3
	v_add_co_ci_u32_e64 v48, null, 0, v48, vcc_lo
	global_load_dwordx2 v[47:48], v[47:48], off offset:1792
.LBB1222_426:                           ;   in Loop: Header=BB1222_390 Depth=2
	s_or_b32 exec_lo, exec_lo, s24
	s_waitcnt vmcnt(14)
	v_cmp_lt_i64_e32 vcc_lo, -1, v[39:40]
	v_ashrrev_i32_e32 v71, 31, v40
	ds_write2_b32 v100, v4, v4 offset0:136 offset1:137
	ds_write2_b32 v100, v4, v4 offset0:138 offset1:139
	ds_write_b32 v100, v4 offset:560
	s_waitcnt vmcnt(0) lgkmcnt(0)
	s_barrier
	v_cndmask_b32_e64 v3, -1, 0x80000000, vcc_lo
	v_xor_b32_e32 v39, v71, v39
	buffer_gl0_inv
	; wave barrier
	v_xor_b32_e32 v40, v3, v40
	v_cmp_ne_u64_e32 vcc_lo, s[46:47], v[39:40]
	v_cndmask_b32_e32 v72, 0x80000000, v40, vcc_lo
	v_cndmask_b32_e32 v71, 0, v39, vcc_lo
	v_lshrrev_b64 v[71:72], s63, v[71:72]
	v_and_b32_e32 v72, s65, v71
	v_and_b32_e32 v3, 1, v72
	v_lshlrev_b32_e32 v71, 30, v72
	v_lshlrev_b32_e32 v73, 29, v72
	;; [unrolled: 1-line block ×4, first 2 shown]
	v_add_co_u32 v3, s22, v3, -1
	v_cndmask_b32_e64 v74, 0, 1, s22
	v_not_b32_e32 v173, v71
	v_cmp_gt_i32_e64 s22, 0, v71
	v_not_b32_e32 v71, v73
	v_lshlrev_b32_e32 v172, 26, v72
	v_cmp_ne_u32_e32 vcc_lo, 0, v74
	v_ashrrev_i32_e32 v173, 31, v173
	v_lshlrev_b32_e32 v74, 25, v72
	v_ashrrev_i32_e32 v71, 31, v71
	v_mul_u32_u24_e32 v72, 36, v72
	v_xor_b32_e32 v3, vcc_lo, v3
	v_cmp_gt_i32_e32 vcc_lo, 0, v73
	v_not_b32_e32 v73, v170
	v_xor_b32_e32 v173, s22, v173
	v_cmp_gt_i32_e64 s22, 0, v170
	v_and_b32_e32 v3, exec_lo, v3
	v_not_b32_e32 v170, v171
	v_ashrrev_i32_e32 v73, 31, v73
	v_xor_b32_e32 v71, vcc_lo, v71
	v_cmp_gt_i32_e32 vcc_lo, 0, v171
	v_and_b32_e32 v3, v3, v173
	v_not_b32_e32 v171, v172
	v_ashrrev_i32_e32 v170, 31, v170
	v_xor_b32_e32 v73, s22, v73
	v_cmp_gt_i32_e64 s22, 0, v172
	v_and_b32_e32 v3, v3, v71
	v_not_b32_e32 v71, v74
	v_ashrrev_i32_e32 v171, 31, v171
	v_xor_b32_e32 v170, vcc_lo, v170
	v_cmp_gt_i32_e32 vcc_lo, 0, v74
	v_and_b32_e32 v3, v3, v73
	v_ashrrev_i32_e32 v71, 31, v71
	v_xor_b32_e32 v73, s22, v171
	v_and_b32_e32 v3, v3, v170
	v_xor_b32_e32 v71, vcc_lo, v71
	v_add_nc_u32_e32 v170, v150, v72
	v_and_b32_e32 v3, v3, v73
	v_and_b32_e32 v71, v3, v71
	v_mbcnt_lo_u32_b32 v3, v71, 0
	v_cmp_ne_u32_e64 s22, 0, v71
	v_cmp_eq_u32_e32 vcc_lo, 0, v3
	s_and_b32 s23, s22, vcc_lo
	s_and_saveexec_b32 s22, s23
; %bb.427:                              ;   in Loop: Header=BB1222_390 Depth=2
	v_bcnt_u32_b32 v71, v71, 0
	ds_write_b32 v170, v71 offset:544
; %bb.428:                              ;   in Loop: Header=BB1222_390 Depth=2
	s_or_b32 exec_lo, exec_lo, s22
	v_cmp_lt_i64_e32 vcc_lo, -1, v[41:42]
	v_ashrrev_i32_e32 v72, 31, v42
	; wave barrier
	v_xor_b32_e32 v41, v72, v41
	v_cndmask_b32_e64 v71, -1, 0x80000000, vcc_lo
	v_xor_b32_e32 v42, v71, v42
	v_cmp_ne_u64_e32 vcc_lo, s[46:47], v[41:42]
	v_cndmask_b32_e32 v72, 0x80000000, v42, vcc_lo
	v_cndmask_b32_e32 v71, 0, v41, vcc_lo
	v_lshrrev_b64 v[71:72], s63, v[71:72]
	v_and_b32_e32 v72, s65, v71
	v_and_b32_e32 v71, 1, v72
	v_lshlrev_b32_e32 v73, 30, v72
	v_lshlrev_b32_e32 v74, 29, v72
	;; [unrolled: 1-line block ×4, first 2 shown]
	v_add_co_u32 v71, s22, v71, -1
	v_cndmask_b32_e64 v171, 0, 1, s22
	v_not_b32_e32 v175, v73
	v_cmp_gt_i32_e64 s22, 0, v73
	v_not_b32_e32 v73, v74
	v_lshlrev_b32_e32 v174, 26, v72
	v_cmp_ne_u32_e32 vcc_lo, 0, v171
	v_ashrrev_i32_e32 v175, 31, v175
	v_lshlrev_b32_e32 v171, 25, v72
	v_ashrrev_i32_e32 v73, 31, v73
	v_xor_b32_e32 v71, vcc_lo, v71
	v_cmp_gt_i32_e32 vcc_lo, 0, v74
	v_not_b32_e32 v74, v172
	v_xor_b32_e32 v175, s22, v175
	v_cmp_gt_i32_e64 s22, 0, v172
	v_and_b32_e32 v71, exec_lo, v71
	v_not_b32_e32 v172, v173
	v_ashrrev_i32_e32 v74, 31, v74
	v_xor_b32_e32 v73, vcc_lo, v73
	v_cmp_gt_i32_e32 vcc_lo, 0, v173
	v_and_b32_e32 v71, v71, v175
	v_not_b32_e32 v173, v174
	v_ashrrev_i32_e32 v172, 31, v172
	v_xor_b32_e32 v74, s22, v74
	v_cmp_gt_i32_e64 s22, 0, v174
	v_and_b32_e32 v71, v71, v73
	v_not_b32_e32 v73, v171
	v_ashrrev_i32_e32 v173, 31, v173
	v_xor_b32_e32 v172, vcc_lo, v172
	v_cmp_gt_i32_e32 vcc_lo, 0, v171
	v_and_b32_e32 v71, v71, v74
	v_ashrrev_i32_e32 v73, 31, v73
	v_xor_b32_e32 v74, s22, v173
	v_mad_u32_u24 v171, v72, 36, v150
	v_mul_u32_u24_e32 v72, 36, v72
	v_and_b32_e32 v71, v71, v172
	v_xor_b32_e32 v73, vcc_lo, v73
	ds_read_b32 v171, v171 offset:544
	v_add_nc_u32_e32 v173, v150, v72
	v_and_b32_e32 v71, v71, v74
	; wave barrier
	v_and_b32_e32 v71, v71, v73
	v_mbcnt_lo_u32_b32 v172, v71, 0
	v_cmp_ne_u32_e64 s22, 0, v71
	v_cmp_eq_u32_e32 vcc_lo, 0, v172
	s_and_b32 s23, s22, vcc_lo
	s_and_saveexec_b32 s22, s23
	s_cbranch_execz .LBB1222_430
; %bb.429:                              ;   in Loop: Header=BB1222_390 Depth=2
	s_waitcnt lgkmcnt(0)
	v_bcnt_u32_b32 v71, v71, v171
	ds_write_b32 v173, v71 offset:544
.LBB1222_430:                           ;   in Loop: Header=BB1222_390 Depth=2
	s_or_b32 exec_lo, exec_lo, s22
	v_cmp_lt_i64_e32 vcc_lo, -1, v[43:44]
	v_ashrrev_i32_e32 v72, 31, v44
	; wave barrier
	v_xor_b32_e32 v43, v72, v43
	v_cndmask_b32_e64 v71, -1, 0x80000000, vcc_lo
	v_xor_b32_e32 v44, v71, v44
	v_cmp_ne_u64_e32 vcc_lo, s[46:47], v[43:44]
	v_cndmask_b32_e32 v72, 0x80000000, v44, vcc_lo
	v_cndmask_b32_e32 v71, 0, v43, vcc_lo
	v_lshrrev_b64 v[71:72], s63, v[71:72]
	v_and_b32_e32 v72, s65, v71
	v_and_b32_e32 v71, 1, v72
	v_lshlrev_b32_e32 v73, 30, v72
	v_lshlrev_b32_e32 v74, 29, v72
	;; [unrolled: 1-line block ×4, first 2 shown]
	v_add_co_u32 v71, s22, v71, -1
	v_cndmask_b32_e64 v174, 0, 1, s22
	v_not_b32_e32 v178, v73
	v_cmp_gt_i32_e64 s22, 0, v73
	v_not_b32_e32 v73, v74
	v_lshlrev_b32_e32 v177, 26, v72
	v_cmp_ne_u32_e32 vcc_lo, 0, v174
	v_ashrrev_i32_e32 v178, 31, v178
	v_lshlrev_b32_e32 v174, 25, v72
	v_ashrrev_i32_e32 v73, 31, v73
	v_xor_b32_e32 v71, vcc_lo, v71
	v_cmp_gt_i32_e32 vcc_lo, 0, v74
	v_not_b32_e32 v74, v175
	v_xor_b32_e32 v178, s22, v178
	v_cmp_gt_i32_e64 s22, 0, v175
	v_and_b32_e32 v71, exec_lo, v71
	v_not_b32_e32 v175, v176
	v_ashrrev_i32_e32 v74, 31, v74
	v_xor_b32_e32 v73, vcc_lo, v73
	v_cmp_gt_i32_e32 vcc_lo, 0, v176
	v_and_b32_e32 v71, v71, v178
	v_not_b32_e32 v176, v177
	v_ashrrev_i32_e32 v175, 31, v175
	v_xor_b32_e32 v74, s22, v74
	v_cmp_gt_i32_e64 s22, 0, v177
	v_and_b32_e32 v71, v71, v73
	v_not_b32_e32 v73, v174
	v_ashrrev_i32_e32 v176, 31, v176
	v_xor_b32_e32 v175, vcc_lo, v175
	v_cmp_gt_i32_e32 vcc_lo, 0, v174
	v_and_b32_e32 v71, v71, v74
	v_ashrrev_i32_e32 v73, 31, v73
	v_xor_b32_e32 v74, s22, v176
	v_mad_u32_u24 v174, v72, 36, v150
	v_mul_u32_u24_e32 v72, 36, v72
	v_and_b32_e32 v71, v71, v175
	v_xor_b32_e32 v73, vcc_lo, v73
	ds_read_b32 v174, v174 offset:544
	v_add_nc_u32_e32 v176, v150, v72
	v_and_b32_e32 v71, v71, v74
	; wave barrier
	v_and_b32_e32 v71, v71, v73
	v_mbcnt_lo_u32_b32 v175, v71, 0
	v_cmp_ne_u32_e64 s22, 0, v71
	v_cmp_eq_u32_e32 vcc_lo, 0, v175
	s_and_b32 s23, s22, vcc_lo
	s_and_saveexec_b32 s22, s23
	s_cbranch_execz .LBB1222_432
; %bb.431:                              ;   in Loop: Header=BB1222_390 Depth=2
	s_waitcnt lgkmcnt(0)
	v_bcnt_u32_b32 v71, v71, v174
	ds_write_b32 v176, v71 offset:544
.LBB1222_432:                           ;   in Loop: Header=BB1222_390 Depth=2
	s_or_b32 exec_lo, exec_lo, s22
	v_cmp_lt_i64_e32 vcc_lo, -1, v[49:50]
	v_ashrrev_i32_e32 v72, 31, v50
	; wave barrier
	v_xor_b32_e32 v49, v72, v49
	v_cndmask_b32_e64 v71, -1, 0x80000000, vcc_lo
	v_xor_b32_e32 v50, v71, v50
	v_cmp_ne_u64_e32 vcc_lo, s[46:47], v[49:50]
	v_cndmask_b32_e32 v72, 0x80000000, v50, vcc_lo
	v_cndmask_b32_e32 v71, 0, v49, vcc_lo
	v_lshrrev_b64 v[71:72], s63, v[71:72]
	v_and_b32_e32 v72, s65, v71
	v_and_b32_e32 v71, 1, v72
	v_lshlrev_b32_e32 v73, 30, v72
	v_lshlrev_b32_e32 v74, 29, v72
	;; [unrolled: 1-line block ×4, first 2 shown]
	v_add_co_u32 v71, s22, v71, -1
	v_cndmask_b32_e64 v177, 0, 1, s22
	v_not_b32_e32 v181, v73
	v_cmp_gt_i32_e64 s22, 0, v73
	v_not_b32_e32 v73, v74
	v_lshlrev_b32_e32 v180, 26, v72
	v_cmp_ne_u32_e32 vcc_lo, 0, v177
	v_ashrrev_i32_e32 v181, 31, v181
	v_lshlrev_b32_e32 v177, 25, v72
	v_ashrrev_i32_e32 v73, 31, v73
	v_xor_b32_e32 v71, vcc_lo, v71
	v_cmp_gt_i32_e32 vcc_lo, 0, v74
	v_not_b32_e32 v74, v178
	v_xor_b32_e32 v181, s22, v181
	v_cmp_gt_i32_e64 s22, 0, v178
	v_and_b32_e32 v71, exec_lo, v71
	v_not_b32_e32 v178, v179
	v_ashrrev_i32_e32 v74, 31, v74
	v_xor_b32_e32 v73, vcc_lo, v73
	v_cmp_gt_i32_e32 vcc_lo, 0, v179
	v_and_b32_e32 v71, v71, v181
	v_not_b32_e32 v179, v180
	v_ashrrev_i32_e32 v178, 31, v178
	v_xor_b32_e32 v74, s22, v74
	v_cmp_gt_i32_e64 s22, 0, v180
	v_and_b32_e32 v71, v71, v73
	v_not_b32_e32 v73, v177
	v_ashrrev_i32_e32 v179, 31, v179
	v_xor_b32_e32 v178, vcc_lo, v178
	v_cmp_gt_i32_e32 vcc_lo, 0, v177
	v_and_b32_e32 v71, v71, v74
	v_ashrrev_i32_e32 v73, 31, v73
	v_xor_b32_e32 v74, s22, v179
	v_mad_u32_u24 v177, v72, 36, v150
	v_mul_u32_u24_e32 v72, 36, v72
	v_and_b32_e32 v71, v71, v178
	v_xor_b32_e32 v73, vcc_lo, v73
	ds_read_b32 v177, v177 offset:544
	v_add_nc_u32_e32 v179, v150, v72
	v_and_b32_e32 v71, v71, v74
	; wave barrier
	v_and_b32_e32 v71, v71, v73
	v_mbcnt_lo_u32_b32 v178, v71, 0
	v_cmp_ne_u32_e64 s22, 0, v71
	v_cmp_eq_u32_e32 vcc_lo, 0, v178
	s_and_b32 s23, s22, vcc_lo
	s_and_saveexec_b32 s22, s23
	s_cbranch_execz .LBB1222_434
; %bb.433:                              ;   in Loop: Header=BB1222_390 Depth=2
	s_waitcnt lgkmcnt(0)
	v_bcnt_u32_b32 v71, v71, v177
	ds_write_b32 v179, v71 offset:544
.LBB1222_434:                           ;   in Loop: Header=BB1222_390 Depth=2
	s_or_b32 exec_lo, exec_lo, s22
	v_cmp_lt_i64_e32 vcc_lo, -1, v[55:56]
	v_ashrrev_i32_e32 v72, 31, v56
	; wave barrier
	v_xor_b32_e32 v55, v72, v55
	v_cndmask_b32_e64 v71, -1, 0x80000000, vcc_lo
	v_xor_b32_e32 v56, v71, v56
	v_cmp_ne_u64_e32 vcc_lo, s[46:47], v[55:56]
	v_cndmask_b32_e32 v72, 0x80000000, v56, vcc_lo
	v_cndmask_b32_e32 v71, 0, v55, vcc_lo
	v_lshrrev_b64 v[71:72], s63, v[71:72]
	v_and_b32_e32 v72, s65, v71
	v_and_b32_e32 v71, 1, v72
	v_lshlrev_b32_e32 v73, 30, v72
	v_lshlrev_b32_e32 v74, 29, v72
	;; [unrolled: 1-line block ×4, first 2 shown]
	v_add_co_u32 v71, s22, v71, -1
	v_cndmask_b32_e64 v180, 0, 1, s22
	v_not_b32_e32 v184, v73
	v_cmp_gt_i32_e64 s22, 0, v73
	v_not_b32_e32 v73, v74
	v_lshlrev_b32_e32 v183, 26, v72
	v_cmp_ne_u32_e32 vcc_lo, 0, v180
	v_ashrrev_i32_e32 v184, 31, v184
	v_lshlrev_b32_e32 v180, 25, v72
	v_ashrrev_i32_e32 v73, 31, v73
	v_xor_b32_e32 v71, vcc_lo, v71
	v_cmp_gt_i32_e32 vcc_lo, 0, v74
	v_not_b32_e32 v74, v181
	v_xor_b32_e32 v184, s22, v184
	v_cmp_gt_i32_e64 s22, 0, v181
	v_and_b32_e32 v71, exec_lo, v71
	v_not_b32_e32 v181, v182
	v_ashrrev_i32_e32 v74, 31, v74
	v_xor_b32_e32 v73, vcc_lo, v73
	v_cmp_gt_i32_e32 vcc_lo, 0, v182
	v_and_b32_e32 v71, v71, v184
	v_not_b32_e32 v182, v183
	v_ashrrev_i32_e32 v181, 31, v181
	v_xor_b32_e32 v74, s22, v74
	v_cmp_gt_i32_e64 s22, 0, v183
	v_and_b32_e32 v71, v71, v73
	v_not_b32_e32 v73, v180
	v_ashrrev_i32_e32 v182, 31, v182
	v_xor_b32_e32 v181, vcc_lo, v181
	v_cmp_gt_i32_e32 vcc_lo, 0, v180
	v_and_b32_e32 v71, v71, v74
	v_ashrrev_i32_e32 v73, 31, v73
	v_xor_b32_e32 v74, s22, v182
	v_mad_u32_u24 v180, v72, 36, v150
	v_mul_u32_u24_e32 v72, 36, v72
	v_and_b32_e32 v71, v71, v181
	v_xor_b32_e32 v73, vcc_lo, v73
	ds_read_b32 v180, v180 offset:544
	v_add_nc_u32_e32 v182, v150, v72
	v_and_b32_e32 v71, v71, v74
	; wave barrier
	v_and_b32_e32 v71, v71, v73
	v_mbcnt_lo_u32_b32 v181, v71, 0
	v_cmp_ne_u32_e64 s22, 0, v71
	v_cmp_eq_u32_e32 vcc_lo, 0, v181
	s_and_b32 s23, s22, vcc_lo
	s_and_saveexec_b32 s22, s23
	s_cbranch_execz .LBB1222_436
; %bb.435:                              ;   in Loop: Header=BB1222_390 Depth=2
	s_waitcnt lgkmcnt(0)
	v_bcnt_u32_b32 v71, v71, v180
	ds_write_b32 v182, v71 offset:544
.LBB1222_436:                           ;   in Loop: Header=BB1222_390 Depth=2
	s_or_b32 exec_lo, exec_lo, s22
	v_cmp_lt_i64_e32 vcc_lo, -1, v[59:60]
	v_ashrrev_i32_e32 v72, 31, v60
	; wave barrier
	v_xor_b32_e32 v59, v72, v59
	v_cndmask_b32_e64 v71, -1, 0x80000000, vcc_lo
	v_xor_b32_e32 v60, v71, v60
	v_cmp_ne_u64_e32 vcc_lo, s[46:47], v[59:60]
	v_cndmask_b32_e32 v72, 0x80000000, v60, vcc_lo
	v_cndmask_b32_e32 v71, 0, v59, vcc_lo
	v_lshrrev_b64 v[71:72], s63, v[71:72]
	v_and_b32_e32 v72, s65, v71
	v_and_b32_e32 v71, 1, v72
	v_lshlrev_b32_e32 v73, 30, v72
	v_lshlrev_b32_e32 v74, 29, v72
	;; [unrolled: 1-line block ×4, first 2 shown]
	v_add_co_u32 v71, s22, v71, -1
	v_cndmask_b32_e64 v183, 0, 1, s22
	v_not_b32_e32 v187, v73
	v_cmp_gt_i32_e64 s22, 0, v73
	v_not_b32_e32 v73, v74
	v_lshlrev_b32_e32 v186, 26, v72
	v_cmp_ne_u32_e32 vcc_lo, 0, v183
	v_ashrrev_i32_e32 v187, 31, v187
	v_lshlrev_b32_e32 v183, 25, v72
	v_ashrrev_i32_e32 v73, 31, v73
	v_xor_b32_e32 v71, vcc_lo, v71
	v_cmp_gt_i32_e32 vcc_lo, 0, v74
	v_not_b32_e32 v74, v184
	v_xor_b32_e32 v187, s22, v187
	v_cmp_gt_i32_e64 s22, 0, v184
	v_and_b32_e32 v71, exec_lo, v71
	v_not_b32_e32 v184, v185
	v_ashrrev_i32_e32 v74, 31, v74
	v_xor_b32_e32 v73, vcc_lo, v73
	v_cmp_gt_i32_e32 vcc_lo, 0, v185
	v_and_b32_e32 v71, v71, v187
	v_not_b32_e32 v185, v186
	v_ashrrev_i32_e32 v184, 31, v184
	v_xor_b32_e32 v74, s22, v74
	v_cmp_gt_i32_e64 s22, 0, v186
	v_and_b32_e32 v71, v71, v73
	v_not_b32_e32 v73, v183
	v_ashrrev_i32_e32 v185, 31, v185
	v_xor_b32_e32 v184, vcc_lo, v184
	v_cmp_gt_i32_e32 vcc_lo, 0, v183
	v_and_b32_e32 v71, v71, v74
	v_ashrrev_i32_e32 v73, 31, v73
	v_xor_b32_e32 v74, s22, v185
	v_mad_u32_u24 v183, v72, 36, v150
	v_mul_u32_u24_e32 v72, 36, v72
	v_and_b32_e32 v71, v71, v184
	v_xor_b32_e32 v73, vcc_lo, v73
	ds_read_b32 v183, v183 offset:544
	v_add_nc_u32_e32 v185, v150, v72
	v_and_b32_e32 v71, v71, v74
	; wave barrier
	v_and_b32_e32 v71, v71, v73
	v_mbcnt_lo_u32_b32 v184, v71, 0
	v_cmp_ne_u32_e64 s22, 0, v71
	v_cmp_eq_u32_e32 vcc_lo, 0, v184
	s_and_b32 s23, s22, vcc_lo
	s_and_saveexec_b32 s22, s23
	s_cbranch_execz .LBB1222_438
; %bb.437:                              ;   in Loop: Header=BB1222_390 Depth=2
	s_waitcnt lgkmcnt(0)
	v_bcnt_u32_b32 v71, v71, v183
	ds_write_b32 v185, v71 offset:544
.LBB1222_438:                           ;   in Loop: Header=BB1222_390 Depth=2
	s_or_b32 exec_lo, exec_lo, s22
	v_cmp_lt_i64_e32 vcc_lo, -1, v[63:64]
	v_ashrrev_i32_e32 v72, 31, v64
	; wave barrier
	v_xor_b32_e32 v63, v72, v63
	v_cndmask_b32_e64 v71, -1, 0x80000000, vcc_lo
	v_xor_b32_e32 v64, v71, v64
	v_cmp_ne_u64_e32 vcc_lo, s[46:47], v[63:64]
	v_cndmask_b32_e32 v72, 0x80000000, v64, vcc_lo
	v_cndmask_b32_e32 v71, 0, v63, vcc_lo
	v_lshrrev_b64 v[71:72], s63, v[71:72]
	v_and_b32_e32 v72, s65, v71
	v_and_b32_e32 v71, 1, v72
	v_lshlrev_b32_e32 v73, 30, v72
	v_lshlrev_b32_e32 v74, 29, v72
	;; [unrolled: 1-line block ×4, first 2 shown]
	v_add_co_u32 v71, s22, v71, -1
	v_cndmask_b32_e64 v186, 0, 1, s22
	v_not_b32_e32 v190, v73
	v_cmp_gt_i32_e64 s22, 0, v73
	v_not_b32_e32 v73, v74
	v_lshlrev_b32_e32 v189, 26, v72
	v_cmp_ne_u32_e32 vcc_lo, 0, v186
	v_ashrrev_i32_e32 v190, 31, v190
	v_lshlrev_b32_e32 v186, 25, v72
	v_ashrrev_i32_e32 v73, 31, v73
	v_xor_b32_e32 v71, vcc_lo, v71
	v_cmp_gt_i32_e32 vcc_lo, 0, v74
	v_not_b32_e32 v74, v187
	v_xor_b32_e32 v190, s22, v190
	v_cmp_gt_i32_e64 s22, 0, v187
	v_and_b32_e32 v71, exec_lo, v71
	v_not_b32_e32 v187, v188
	v_ashrrev_i32_e32 v74, 31, v74
	v_xor_b32_e32 v73, vcc_lo, v73
	v_cmp_gt_i32_e32 vcc_lo, 0, v188
	v_and_b32_e32 v71, v71, v190
	v_not_b32_e32 v188, v189
	v_ashrrev_i32_e32 v187, 31, v187
	v_xor_b32_e32 v74, s22, v74
	v_cmp_gt_i32_e64 s22, 0, v189
	v_and_b32_e32 v71, v71, v73
	v_not_b32_e32 v73, v186
	v_ashrrev_i32_e32 v188, 31, v188
	v_xor_b32_e32 v187, vcc_lo, v187
	v_cmp_gt_i32_e32 vcc_lo, 0, v186
	v_and_b32_e32 v71, v71, v74
	v_ashrrev_i32_e32 v73, 31, v73
	v_xor_b32_e32 v74, s22, v188
	v_mad_u32_u24 v186, v72, 36, v150
	v_mul_u32_u24_e32 v72, 36, v72
	v_and_b32_e32 v71, v71, v187
	v_xor_b32_e32 v73, vcc_lo, v73
	ds_read_b32 v186, v186 offset:544
	v_add_nc_u32_e32 v188, v150, v72
	v_and_b32_e32 v71, v71, v74
	; wave barrier
	v_and_b32_e32 v71, v71, v73
	v_mbcnt_lo_u32_b32 v187, v71, 0
	v_cmp_ne_u32_e64 s22, 0, v71
	v_cmp_eq_u32_e32 vcc_lo, 0, v187
	s_and_b32 s23, s22, vcc_lo
	s_and_saveexec_b32 s22, s23
	s_cbranch_execz .LBB1222_440
; %bb.439:                              ;   in Loop: Header=BB1222_390 Depth=2
	s_waitcnt lgkmcnt(0)
	v_bcnt_u32_b32 v71, v71, v186
	ds_write_b32 v188, v71 offset:544
.LBB1222_440:                           ;   in Loop: Header=BB1222_390 Depth=2
	s_or_b32 exec_lo, exec_lo, s22
	v_cmp_lt_i64_e32 vcc_lo, -1, v[67:68]
	v_ashrrev_i32_e32 v72, 31, v68
	; wave barrier
	v_xor_b32_e32 v67, v72, v67
	v_cndmask_b32_e64 v71, -1, 0x80000000, vcc_lo
	v_xor_b32_e32 v68, v71, v68
	v_cmp_ne_u64_e32 vcc_lo, s[46:47], v[67:68]
	v_cndmask_b32_e32 v72, 0x80000000, v68, vcc_lo
	v_cndmask_b32_e32 v71, 0, v67, vcc_lo
	v_lshrrev_b64 v[71:72], s63, v[71:72]
	v_and_b32_e32 v72, s65, v71
	v_and_b32_e32 v71, 1, v72
	v_lshlrev_b32_e32 v73, 30, v72
	v_lshlrev_b32_e32 v74, 29, v72
	;; [unrolled: 1-line block ×4, first 2 shown]
	v_add_co_u32 v71, s22, v71, -1
	v_cndmask_b32_e64 v189, 0, 1, s22
	v_not_b32_e32 v193, v73
	v_cmp_gt_i32_e64 s22, 0, v73
	v_not_b32_e32 v73, v74
	v_lshlrev_b32_e32 v192, 26, v72
	v_cmp_ne_u32_e32 vcc_lo, 0, v189
	v_ashrrev_i32_e32 v193, 31, v193
	v_lshlrev_b32_e32 v189, 25, v72
	v_ashrrev_i32_e32 v73, 31, v73
	v_xor_b32_e32 v71, vcc_lo, v71
	v_cmp_gt_i32_e32 vcc_lo, 0, v74
	v_not_b32_e32 v74, v190
	v_xor_b32_e32 v193, s22, v193
	v_cmp_gt_i32_e64 s22, 0, v190
	v_and_b32_e32 v71, exec_lo, v71
	v_not_b32_e32 v190, v191
	v_ashrrev_i32_e32 v74, 31, v74
	v_xor_b32_e32 v73, vcc_lo, v73
	v_cmp_gt_i32_e32 vcc_lo, 0, v191
	v_and_b32_e32 v71, v71, v193
	v_not_b32_e32 v191, v192
	v_ashrrev_i32_e32 v190, 31, v190
	v_xor_b32_e32 v74, s22, v74
	v_cmp_gt_i32_e64 s22, 0, v192
	v_and_b32_e32 v71, v71, v73
	v_not_b32_e32 v73, v189
	v_ashrrev_i32_e32 v191, 31, v191
	v_xor_b32_e32 v190, vcc_lo, v190
	v_cmp_gt_i32_e32 vcc_lo, 0, v189
	v_and_b32_e32 v71, v71, v74
	v_ashrrev_i32_e32 v73, 31, v73
	v_xor_b32_e32 v74, s22, v191
	v_mad_u32_u24 v189, v72, 36, v150
	v_mul_u32_u24_e32 v72, 36, v72
	v_and_b32_e32 v71, v71, v190
	v_xor_b32_e32 v73, vcc_lo, v73
	ds_read_b32 v189, v189 offset:544
	v_add_nc_u32_e32 v191, v150, v72
	v_and_b32_e32 v71, v71, v74
	; wave barrier
	v_and_b32_e32 v71, v71, v73
	v_mbcnt_lo_u32_b32 v190, v71, 0
	v_cmp_ne_u32_e64 s22, 0, v71
	v_cmp_eq_u32_e32 vcc_lo, 0, v190
	s_and_b32 s23, s22, vcc_lo
	s_and_saveexec_b32 s22, s23
	s_cbranch_execz .LBB1222_442
; %bb.441:                              ;   in Loop: Header=BB1222_390 Depth=2
	s_waitcnt lgkmcnt(0)
	v_bcnt_u32_b32 v71, v71, v189
	ds_write_b32 v191, v71 offset:544
.LBB1222_442:                           ;   in Loop: Header=BB1222_390 Depth=2
	s_or_b32 exec_lo, exec_lo, s22
	v_cmp_lt_i64_e32 vcc_lo, -1, v[69:70]
	v_ashrrev_i32_e32 v72, 31, v70
	; wave barrier
	v_xor_b32_e32 v69, v72, v69
	v_cndmask_b32_e64 v71, -1, 0x80000000, vcc_lo
	v_xor_b32_e32 v70, v71, v70
	v_cmp_ne_u64_e32 vcc_lo, s[46:47], v[69:70]
	v_cndmask_b32_e32 v72, 0x80000000, v70, vcc_lo
	v_cndmask_b32_e32 v71, 0, v69, vcc_lo
	v_lshrrev_b64 v[71:72], s63, v[71:72]
	v_and_b32_e32 v72, s65, v71
	v_and_b32_e32 v71, 1, v72
	v_lshlrev_b32_e32 v73, 30, v72
	v_lshlrev_b32_e32 v74, 29, v72
	;; [unrolled: 1-line block ×4, first 2 shown]
	v_add_co_u32 v71, s22, v71, -1
	v_cndmask_b32_e64 v192, 0, 1, s22
	v_not_b32_e32 v196, v73
	v_cmp_gt_i32_e64 s22, 0, v73
	v_not_b32_e32 v73, v74
	v_lshlrev_b32_e32 v195, 26, v72
	v_cmp_ne_u32_e32 vcc_lo, 0, v192
	v_ashrrev_i32_e32 v196, 31, v196
	v_lshlrev_b32_e32 v192, 25, v72
	v_ashrrev_i32_e32 v73, 31, v73
	v_xor_b32_e32 v71, vcc_lo, v71
	v_cmp_gt_i32_e32 vcc_lo, 0, v74
	v_not_b32_e32 v74, v193
	v_xor_b32_e32 v196, s22, v196
	v_cmp_gt_i32_e64 s22, 0, v193
	v_and_b32_e32 v71, exec_lo, v71
	v_not_b32_e32 v193, v194
	v_ashrrev_i32_e32 v74, 31, v74
	v_xor_b32_e32 v73, vcc_lo, v73
	v_cmp_gt_i32_e32 vcc_lo, 0, v194
	v_and_b32_e32 v71, v71, v196
	v_not_b32_e32 v194, v195
	v_ashrrev_i32_e32 v193, 31, v193
	v_xor_b32_e32 v74, s22, v74
	v_cmp_gt_i32_e64 s22, 0, v195
	v_and_b32_e32 v71, v71, v73
	v_not_b32_e32 v73, v192
	v_ashrrev_i32_e32 v194, 31, v194
	v_xor_b32_e32 v193, vcc_lo, v193
	v_cmp_gt_i32_e32 vcc_lo, 0, v192
	v_and_b32_e32 v71, v71, v74
	v_ashrrev_i32_e32 v73, 31, v73
	v_xor_b32_e32 v74, s22, v194
	v_mad_u32_u24 v192, v72, 36, v150
	v_mul_u32_u24_e32 v72, 36, v72
	v_and_b32_e32 v71, v71, v193
	v_xor_b32_e32 v73, vcc_lo, v73
	ds_read_b32 v192, v192 offset:544
	v_add_nc_u32_e32 v194, v150, v72
	v_and_b32_e32 v71, v71, v74
	; wave barrier
	v_and_b32_e32 v71, v71, v73
	v_mbcnt_lo_u32_b32 v193, v71, 0
	v_cmp_ne_u32_e64 s22, 0, v71
	v_cmp_eq_u32_e32 vcc_lo, 0, v193
	s_and_b32 s23, s22, vcc_lo
	s_and_saveexec_b32 s22, s23
	s_cbranch_execz .LBB1222_444
; %bb.443:                              ;   in Loop: Header=BB1222_390 Depth=2
	s_waitcnt lgkmcnt(0)
	v_bcnt_u32_b32 v71, v71, v192
	ds_write_b32 v194, v71 offset:544
.LBB1222_444:                           ;   in Loop: Header=BB1222_390 Depth=2
	s_or_b32 exec_lo, exec_lo, s22
	v_cmp_lt_i64_e32 vcc_lo, -1, v[65:66]
	v_ashrrev_i32_e32 v72, 31, v66
	; wave barrier
	v_xor_b32_e32 v65, v72, v65
	v_cndmask_b32_e64 v71, -1, 0x80000000, vcc_lo
	v_xor_b32_e32 v66, v71, v66
	v_cmp_ne_u64_e32 vcc_lo, s[46:47], v[65:66]
	v_cndmask_b32_e32 v72, 0x80000000, v66, vcc_lo
	v_cndmask_b32_e32 v71, 0, v65, vcc_lo
	v_lshrrev_b64 v[71:72], s63, v[71:72]
	v_and_b32_e32 v72, s65, v71
	v_and_b32_e32 v71, 1, v72
	v_lshlrev_b32_e32 v73, 30, v72
	v_lshlrev_b32_e32 v74, 29, v72
	;; [unrolled: 1-line block ×4, first 2 shown]
	v_add_co_u32 v71, s22, v71, -1
	v_cndmask_b32_e64 v195, 0, 1, s22
	v_not_b32_e32 v199, v73
	v_cmp_gt_i32_e64 s22, 0, v73
	v_not_b32_e32 v73, v74
	v_lshlrev_b32_e32 v198, 26, v72
	v_cmp_ne_u32_e32 vcc_lo, 0, v195
	v_ashrrev_i32_e32 v199, 31, v199
	v_lshlrev_b32_e32 v195, 25, v72
	v_ashrrev_i32_e32 v73, 31, v73
	v_xor_b32_e32 v71, vcc_lo, v71
	v_cmp_gt_i32_e32 vcc_lo, 0, v74
	v_not_b32_e32 v74, v196
	v_xor_b32_e32 v199, s22, v199
	v_cmp_gt_i32_e64 s22, 0, v196
	v_and_b32_e32 v71, exec_lo, v71
	v_not_b32_e32 v196, v197
	v_ashrrev_i32_e32 v74, 31, v74
	v_xor_b32_e32 v73, vcc_lo, v73
	v_cmp_gt_i32_e32 vcc_lo, 0, v197
	v_and_b32_e32 v71, v71, v199
	v_not_b32_e32 v197, v198
	v_ashrrev_i32_e32 v196, 31, v196
	v_xor_b32_e32 v74, s22, v74
	v_cmp_gt_i32_e64 s22, 0, v198
	v_and_b32_e32 v71, v71, v73
	v_not_b32_e32 v73, v195
	v_ashrrev_i32_e32 v197, 31, v197
	v_xor_b32_e32 v196, vcc_lo, v196
	v_cmp_gt_i32_e32 vcc_lo, 0, v195
	v_and_b32_e32 v71, v71, v74
	v_ashrrev_i32_e32 v73, 31, v73
	v_xor_b32_e32 v74, s22, v197
	v_mad_u32_u24 v195, v72, 36, v150
	v_mul_u32_u24_e32 v72, 36, v72
	v_and_b32_e32 v71, v71, v196
	v_xor_b32_e32 v73, vcc_lo, v73
	ds_read_b32 v195, v195 offset:544
	v_add_nc_u32_e32 v198, v150, v72
	v_and_b32_e32 v71, v71, v74
	; wave barrier
	v_and_b32_e32 v71, v71, v73
	v_mbcnt_lo_u32_b32 v196, v71, 0
	v_cmp_ne_u32_e64 s22, 0, v71
	v_cmp_eq_u32_e32 vcc_lo, 0, v196
	s_and_b32 s23, s22, vcc_lo
	s_and_saveexec_b32 s22, s23
	s_cbranch_execz .LBB1222_446
; %bb.445:                              ;   in Loop: Header=BB1222_390 Depth=2
	s_waitcnt lgkmcnt(0)
	v_bcnt_u32_b32 v71, v71, v195
	ds_write_b32 v198, v71 offset:544
.LBB1222_446:                           ;   in Loop: Header=BB1222_390 Depth=2
	s_or_b32 exec_lo, exec_lo, s22
	v_cmp_lt_i64_e32 vcc_lo, -1, v[61:62]
	v_ashrrev_i32_e32 v72, 31, v62
	; wave barrier
	v_xor_b32_e32 v61, v72, v61
	v_cndmask_b32_e64 v71, -1, 0x80000000, vcc_lo
	v_xor_b32_e32 v62, v71, v62
	v_cmp_ne_u64_e32 vcc_lo, s[46:47], v[61:62]
	v_cndmask_b32_e32 v72, 0x80000000, v62, vcc_lo
	v_cndmask_b32_e32 v71, 0, v61, vcc_lo
	v_lshrrev_b64 v[71:72], s63, v[71:72]
	v_and_b32_e32 v72, s65, v71
	v_and_b32_e32 v71, 1, v72
	v_lshlrev_b32_e32 v73, 30, v72
	v_lshlrev_b32_e32 v74, 29, v72
	;; [unrolled: 1-line block ×4, first 2 shown]
	v_add_co_u32 v71, s22, v71, -1
	v_cndmask_b32_e64 v197, 0, 1, s22
	v_not_b32_e32 v202, v73
	v_cmp_gt_i32_e64 s22, 0, v73
	v_not_b32_e32 v73, v74
	v_lshlrev_b32_e32 v201, 26, v72
	v_cmp_ne_u32_e32 vcc_lo, 0, v197
	v_ashrrev_i32_e32 v202, 31, v202
	v_lshlrev_b32_e32 v197, 25, v72
	v_ashrrev_i32_e32 v73, 31, v73
	v_xor_b32_e32 v71, vcc_lo, v71
	v_cmp_gt_i32_e32 vcc_lo, 0, v74
	v_not_b32_e32 v74, v199
	v_xor_b32_e32 v202, s22, v202
	v_cmp_gt_i32_e64 s22, 0, v199
	v_and_b32_e32 v71, exec_lo, v71
	v_not_b32_e32 v199, v200
	v_ashrrev_i32_e32 v74, 31, v74
	v_xor_b32_e32 v73, vcc_lo, v73
	v_cmp_gt_i32_e32 vcc_lo, 0, v200
	v_and_b32_e32 v71, v71, v202
	v_not_b32_e32 v200, v201
	v_ashrrev_i32_e32 v199, 31, v199
	v_xor_b32_e32 v74, s22, v74
	v_cmp_gt_i32_e64 s22, 0, v201
	v_and_b32_e32 v71, v71, v73
	v_not_b32_e32 v73, v197
	v_ashrrev_i32_e32 v200, 31, v200
	v_xor_b32_e32 v199, vcc_lo, v199
	v_cmp_gt_i32_e32 vcc_lo, 0, v197
	v_and_b32_e32 v71, v71, v74
	v_ashrrev_i32_e32 v73, 31, v73
	v_xor_b32_e32 v74, s22, v200
	v_mad_u32_u24 v197, v72, 36, v150
	v_mul_u32_u24_e32 v72, 36, v72
	v_and_b32_e32 v71, v71, v199
	v_xor_b32_e32 v73, vcc_lo, v73
	ds_read_b32 v197, v197 offset:544
	v_add_nc_u32_e32 v202, v150, v72
	v_and_b32_e32 v71, v71, v74
	; wave barrier
	v_and_b32_e32 v71, v71, v73
	v_mbcnt_lo_u32_b32 v199, v71, 0
	v_cmp_ne_u32_e64 s22, 0, v71
	v_cmp_eq_u32_e32 vcc_lo, 0, v199
	s_and_b32 s23, s22, vcc_lo
	s_and_saveexec_b32 s22, s23
	s_cbranch_execz .LBB1222_448
; %bb.447:                              ;   in Loop: Header=BB1222_390 Depth=2
	s_waitcnt lgkmcnt(0)
	v_bcnt_u32_b32 v71, v71, v197
	ds_write_b32 v202, v71 offset:544
.LBB1222_448:                           ;   in Loop: Header=BB1222_390 Depth=2
	s_or_b32 exec_lo, exec_lo, s22
	v_cmp_lt_i64_e32 vcc_lo, -1, v[57:58]
	v_ashrrev_i32_e32 v72, 31, v58
	; wave barrier
	v_xor_b32_e32 v57, v72, v57
	v_cndmask_b32_e64 v71, -1, 0x80000000, vcc_lo
	v_xor_b32_e32 v58, v71, v58
	v_cmp_ne_u64_e32 vcc_lo, s[46:47], v[57:58]
	v_cndmask_b32_e32 v72, 0x80000000, v58, vcc_lo
	v_cndmask_b32_e32 v71, 0, v57, vcc_lo
	v_lshrrev_b64 v[71:72], s63, v[71:72]
	v_and_b32_e32 v72, s65, v71
	v_and_b32_e32 v71, 1, v72
	v_lshlrev_b32_e32 v73, 30, v72
	v_lshlrev_b32_e32 v74, 29, v72
	;; [unrolled: 1-line block ×4, first 2 shown]
	v_add_co_u32 v71, s22, v71, -1
	v_cndmask_b32_e64 v200, 0, 1, s22
	v_not_b32_e32 v205, v73
	v_cmp_gt_i32_e64 s22, 0, v73
	v_not_b32_e32 v73, v74
	v_lshlrev_b32_e32 v204, 26, v72
	v_cmp_ne_u32_e32 vcc_lo, 0, v200
	v_ashrrev_i32_e32 v205, 31, v205
	v_lshlrev_b32_e32 v200, 25, v72
	v_ashrrev_i32_e32 v73, 31, v73
	v_xor_b32_e32 v71, vcc_lo, v71
	v_cmp_gt_i32_e32 vcc_lo, 0, v74
	v_not_b32_e32 v74, v201
	v_xor_b32_e32 v205, s22, v205
	v_cmp_gt_i32_e64 s22, 0, v201
	v_and_b32_e32 v71, exec_lo, v71
	v_not_b32_e32 v201, v203
	v_ashrrev_i32_e32 v74, 31, v74
	v_xor_b32_e32 v73, vcc_lo, v73
	v_cmp_gt_i32_e32 vcc_lo, 0, v203
	v_and_b32_e32 v71, v71, v205
	v_not_b32_e32 v203, v204
	v_ashrrev_i32_e32 v201, 31, v201
	v_xor_b32_e32 v74, s22, v74
	v_cmp_gt_i32_e64 s22, 0, v204
	v_and_b32_e32 v71, v71, v73
	v_not_b32_e32 v73, v200
	v_ashrrev_i32_e32 v203, 31, v203
	v_xor_b32_e32 v201, vcc_lo, v201
	v_cmp_gt_i32_e32 vcc_lo, 0, v200
	v_and_b32_e32 v71, v71, v74
	v_ashrrev_i32_e32 v73, 31, v73
	v_xor_b32_e32 v74, s22, v203
	v_mad_u32_u24 v200, v72, 36, v150
	v_mul_u32_u24_e32 v72, 36, v72
	v_and_b32_e32 v71, v71, v201
	v_xor_b32_e32 v73, vcc_lo, v73
	ds_read_b32 v200, v200 offset:544
	v_add_nc_u32_e32 v205, v150, v72
	v_and_b32_e32 v71, v71, v74
	; wave barrier
	v_and_b32_e32 v71, v71, v73
	v_mbcnt_lo_u32_b32 v201, v71, 0
	v_cmp_ne_u32_e64 s22, 0, v71
	v_cmp_eq_u32_e32 vcc_lo, 0, v201
	s_and_b32 s23, s22, vcc_lo
	s_and_saveexec_b32 s22, s23
	s_cbranch_execz .LBB1222_450
; %bb.449:                              ;   in Loop: Header=BB1222_390 Depth=2
	s_waitcnt lgkmcnt(0)
	v_bcnt_u32_b32 v71, v71, v200
	ds_write_b32 v205, v71 offset:544
.LBB1222_450:                           ;   in Loop: Header=BB1222_390 Depth=2
	s_or_b32 exec_lo, exec_lo, s22
	v_cmp_lt_i64_e32 vcc_lo, -1, v[53:54]
	v_ashrrev_i32_e32 v72, 31, v54
	; wave barrier
	v_xor_b32_e32 v53, v72, v53
	v_cndmask_b32_e64 v71, -1, 0x80000000, vcc_lo
	v_xor_b32_e32 v54, v71, v54
	v_cmp_ne_u64_e32 vcc_lo, s[46:47], v[53:54]
	v_cndmask_b32_e32 v72, 0x80000000, v54, vcc_lo
	v_cndmask_b32_e32 v71, 0, v53, vcc_lo
	v_lshrrev_b64 v[71:72], s63, v[71:72]
	v_and_b32_e32 v72, s65, v71
	v_and_b32_e32 v71, 1, v72
	v_lshlrev_b32_e32 v73, 30, v72
	v_lshlrev_b32_e32 v74, 29, v72
	;; [unrolled: 1-line block ×4, first 2 shown]
	v_add_co_u32 v71, s22, v71, -1
	v_cndmask_b32_e64 v203, 0, 1, s22
	v_not_b32_e32 v208, v73
	v_cmp_gt_i32_e64 s22, 0, v73
	v_not_b32_e32 v73, v74
	v_lshlrev_b32_e32 v207, 26, v72
	v_cmp_ne_u32_e32 vcc_lo, 0, v203
	v_ashrrev_i32_e32 v208, 31, v208
	v_lshlrev_b32_e32 v203, 25, v72
	v_ashrrev_i32_e32 v73, 31, v73
	v_xor_b32_e32 v71, vcc_lo, v71
	v_cmp_gt_i32_e32 vcc_lo, 0, v74
	v_not_b32_e32 v74, v204
	v_xor_b32_e32 v208, s22, v208
	v_cmp_gt_i32_e64 s22, 0, v204
	v_and_b32_e32 v71, exec_lo, v71
	v_not_b32_e32 v204, v206
	v_ashrrev_i32_e32 v74, 31, v74
	v_xor_b32_e32 v73, vcc_lo, v73
	v_cmp_gt_i32_e32 vcc_lo, 0, v206
	v_and_b32_e32 v71, v71, v208
	v_not_b32_e32 v206, v207
	v_ashrrev_i32_e32 v204, 31, v204
	v_xor_b32_e32 v74, s22, v74
	v_cmp_gt_i32_e64 s22, 0, v207
	v_and_b32_e32 v71, v71, v73
	v_not_b32_e32 v73, v203
	v_ashrrev_i32_e32 v206, 31, v206
	v_xor_b32_e32 v204, vcc_lo, v204
	v_cmp_gt_i32_e32 vcc_lo, 0, v203
	v_and_b32_e32 v71, v71, v74
	v_ashrrev_i32_e32 v73, 31, v73
	v_xor_b32_e32 v74, s22, v206
	v_mad_u32_u24 v203, v72, 36, v150
	v_mul_u32_u24_e32 v72, 36, v72
	v_and_b32_e32 v71, v71, v204
	v_xor_b32_e32 v73, vcc_lo, v73
	ds_read_b32 v203, v203 offset:544
	v_add_nc_u32_e32 v208, v150, v72
	v_and_b32_e32 v71, v71, v74
	; wave barrier
	v_and_b32_e32 v71, v71, v73
	v_mbcnt_lo_u32_b32 v204, v71, 0
	v_cmp_ne_u32_e64 s22, 0, v71
	v_cmp_eq_u32_e32 vcc_lo, 0, v204
	s_and_b32 s23, s22, vcc_lo
	s_and_saveexec_b32 s22, s23
	s_cbranch_execz .LBB1222_452
; %bb.451:                              ;   in Loop: Header=BB1222_390 Depth=2
	s_waitcnt lgkmcnt(0)
	v_bcnt_u32_b32 v71, v71, v203
	ds_write_b32 v208, v71 offset:544
.LBB1222_452:                           ;   in Loop: Header=BB1222_390 Depth=2
	s_or_b32 exec_lo, exec_lo, s22
	v_cmp_lt_i64_e32 vcc_lo, -1, v[51:52]
	v_ashrrev_i32_e32 v72, 31, v52
	; wave barrier
	v_xor_b32_e32 v51, v72, v51
	v_cndmask_b32_e64 v71, -1, 0x80000000, vcc_lo
	v_xor_b32_e32 v52, v71, v52
	v_cmp_ne_u64_e32 vcc_lo, s[46:47], v[51:52]
	v_cndmask_b32_e32 v72, 0x80000000, v52, vcc_lo
	v_cndmask_b32_e32 v71, 0, v51, vcc_lo
	v_lshrrev_b64 v[71:72], s63, v[71:72]
	v_and_b32_e32 v72, s65, v71
	v_and_b32_e32 v71, 1, v72
	v_lshlrev_b32_e32 v73, 30, v72
	v_lshlrev_b32_e32 v74, 29, v72
	;; [unrolled: 1-line block ×4, first 2 shown]
	v_add_co_u32 v71, s22, v71, -1
	v_cndmask_b32_e64 v206, 0, 1, s22
	v_not_b32_e32 v211, v73
	v_cmp_gt_i32_e64 s22, 0, v73
	v_not_b32_e32 v73, v74
	v_lshlrev_b32_e32 v210, 26, v72
	v_cmp_ne_u32_e32 vcc_lo, 0, v206
	v_ashrrev_i32_e32 v211, 31, v211
	v_lshlrev_b32_e32 v206, 25, v72
	v_ashrrev_i32_e32 v73, 31, v73
	v_xor_b32_e32 v71, vcc_lo, v71
	v_cmp_gt_i32_e32 vcc_lo, 0, v74
	v_not_b32_e32 v74, v207
	v_xor_b32_e32 v211, s22, v211
	v_cmp_gt_i32_e64 s22, 0, v207
	v_and_b32_e32 v71, exec_lo, v71
	v_not_b32_e32 v207, v209
	v_ashrrev_i32_e32 v74, 31, v74
	v_xor_b32_e32 v73, vcc_lo, v73
	v_cmp_gt_i32_e32 vcc_lo, 0, v209
	v_and_b32_e32 v71, v71, v211
	v_not_b32_e32 v209, v210
	v_ashrrev_i32_e32 v207, 31, v207
	v_xor_b32_e32 v74, s22, v74
	v_cmp_gt_i32_e64 s22, 0, v210
	v_and_b32_e32 v71, v71, v73
	v_not_b32_e32 v73, v206
	v_ashrrev_i32_e32 v209, 31, v209
	v_xor_b32_e32 v207, vcc_lo, v207
	v_cmp_gt_i32_e32 vcc_lo, 0, v206
	v_and_b32_e32 v71, v71, v74
	v_ashrrev_i32_e32 v73, 31, v73
	v_xor_b32_e32 v74, s22, v209
	v_mad_u32_u24 v206, v72, 36, v150
	v_mul_u32_u24_e32 v72, 36, v72
	v_and_b32_e32 v71, v71, v207
	v_xor_b32_e32 v73, vcc_lo, v73
	ds_read_b32 v206, v206 offset:544
	v_add_nc_u32_e32 v211, v150, v72
	v_and_b32_e32 v71, v71, v74
	; wave barrier
	v_and_b32_e32 v71, v71, v73
	v_mbcnt_lo_u32_b32 v207, v71, 0
	v_cmp_ne_u32_e64 s22, 0, v71
	v_cmp_eq_u32_e32 vcc_lo, 0, v207
	s_and_b32 s23, s22, vcc_lo
	s_and_saveexec_b32 s22, s23
	s_cbranch_execz .LBB1222_454
; %bb.453:                              ;   in Loop: Header=BB1222_390 Depth=2
	s_waitcnt lgkmcnt(0)
	v_bcnt_u32_b32 v71, v71, v206
	ds_write_b32 v211, v71 offset:544
.LBB1222_454:                           ;   in Loop: Header=BB1222_390 Depth=2
	s_or_b32 exec_lo, exec_lo, s22
	v_cmp_lt_i64_e32 vcc_lo, -1, v[45:46]
	v_ashrrev_i32_e32 v72, 31, v46
	; wave barrier
	v_xor_b32_e32 v45, v72, v45
	v_cndmask_b32_e64 v71, -1, 0x80000000, vcc_lo
	v_xor_b32_e32 v46, v71, v46
	v_cmp_ne_u64_e32 vcc_lo, s[46:47], v[45:46]
	v_cndmask_b32_e32 v72, 0x80000000, v46, vcc_lo
	v_cndmask_b32_e32 v71, 0, v45, vcc_lo
	v_lshrrev_b64 v[71:72], s63, v[71:72]
	v_and_b32_e32 v72, s65, v71
	v_and_b32_e32 v71, 1, v72
	v_lshlrev_b32_e32 v73, 30, v72
	v_lshlrev_b32_e32 v74, 29, v72
	;; [unrolled: 1-line block ×4, first 2 shown]
	v_add_co_u32 v71, s22, v71, -1
	v_cndmask_b32_e64 v209, 0, 1, s22
	v_not_b32_e32 v214, v73
	v_cmp_gt_i32_e64 s22, 0, v73
	v_not_b32_e32 v73, v74
	v_lshlrev_b32_e32 v213, 26, v72
	v_cmp_ne_u32_e32 vcc_lo, 0, v209
	v_ashrrev_i32_e32 v214, 31, v214
	v_lshlrev_b32_e32 v209, 25, v72
	v_ashrrev_i32_e32 v73, 31, v73
	v_xor_b32_e32 v71, vcc_lo, v71
	v_cmp_gt_i32_e32 vcc_lo, 0, v74
	v_not_b32_e32 v74, v210
	v_xor_b32_e32 v214, s22, v214
	v_cmp_gt_i32_e64 s22, 0, v210
	v_and_b32_e32 v71, exec_lo, v71
	v_not_b32_e32 v210, v212
	v_ashrrev_i32_e32 v74, 31, v74
	v_xor_b32_e32 v73, vcc_lo, v73
	v_cmp_gt_i32_e32 vcc_lo, 0, v212
	v_and_b32_e32 v71, v71, v214
	v_not_b32_e32 v212, v213
	v_ashrrev_i32_e32 v210, 31, v210
	v_xor_b32_e32 v74, s22, v74
	v_cmp_gt_i32_e64 s22, 0, v213
	v_and_b32_e32 v71, v71, v73
	v_not_b32_e32 v73, v209
	v_ashrrev_i32_e32 v212, 31, v212
	v_xor_b32_e32 v210, vcc_lo, v210
	v_cmp_gt_i32_e32 vcc_lo, 0, v209
	v_and_b32_e32 v71, v71, v74
	v_ashrrev_i32_e32 v73, 31, v73
	v_xor_b32_e32 v74, s22, v212
	v_mad_u32_u24 v209, v72, 36, v150
	v_mul_u32_u24_e32 v72, 36, v72
	v_and_b32_e32 v71, v71, v210
	v_xor_b32_e32 v73, vcc_lo, v73
	ds_read_b32 v209, v209 offset:544
	v_add_nc_u32_e32 v214, v150, v72
	v_and_b32_e32 v71, v71, v74
	; wave barrier
	v_and_b32_e32 v71, v71, v73
	v_mbcnt_lo_u32_b32 v210, v71, 0
	v_cmp_ne_u32_e64 s22, 0, v71
	v_cmp_eq_u32_e32 vcc_lo, 0, v210
	s_and_b32 s23, s22, vcc_lo
	s_and_saveexec_b32 s22, s23
	s_cbranch_execz .LBB1222_456
; %bb.455:                              ;   in Loop: Header=BB1222_390 Depth=2
	s_waitcnt lgkmcnt(0)
	v_bcnt_u32_b32 v71, v71, v209
	ds_write_b32 v214, v71 offset:544
.LBB1222_456:                           ;   in Loop: Header=BB1222_390 Depth=2
	s_or_b32 exec_lo, exec_lo, s22
	v_cmp_lt_i64_e32 vcc_lo, -1, v[47:48]
	v_ashrrev_i32_e32 v72, 31, v48
	; wave barrier
	v_xor_b32_e32 v47, v72, v47
	v_cndmask_b32_e64 v71, -1, 0x80000000, vcc_lo
	v_xor_b32_e32 v48, v71, v48
	v_cmp_ne_u64_e32 vcc_lo, s[46:47], v[47:48]
	v_cndmask_b32_e32 v72, 0x80000000, v48, vcc_lo
	v_cndmask_b32_e32 v71, 0, v47, vcc_lo
	v_lshrrev_b64 v[71:72], s63, v[71:72]
	v_and_b32_e32 v72, s65, v71
	v_and_b32_e32 v71, 1, v72
	v_lshlrev_b32_e32 v73, 30, v72
	v_lshlrev_b32_e32 v74, 29, v72
	;; [unrolled: 1-line block ×4, first 2 shown]
	v_add_co_u32 v71, s22, v71, -1
	v_cndmask_b32_e64 v212, 0, 1, s22
	v_not_b32_e32 v217, v73
	v_cmp_gt_i32_e64 s22, 0, v73
	v_not_b32_e32 v73, v74
	v_lshlrev_b32_e32 v216, 26, v72
	v_cmp_ne_u32_e32 vcc_lo, 0, v212
	v_ashrrev_i32_e32 v217, 31, v217
	v_lshlrev_b32_e32 v212, 25, v72
	v_ashrrev_i32_e32 v73, 31, v73
	v_xor_b32_e32 v71, vcc_lo, v71
	v_cmp_gt_i32_e32 vcc_lo, 0, v74
	v_not_b32_e32 v74, v213
	v_xor_b32_e32 v217, s22, v217
	v_cmp_gt_i32_e64 s22, 0, v213
	v_and_b32_e32 v71, exec_lo, v71
	v_not_b32_e32 v213, v215
	v_ashrrev_i32_e32 v74, 31, v74
	v_xor_b32_e32 v73, vcc_lo, v73
	v_cmp_gt_i32_e32 vcc_lo, 0, v215
	v_and_b32_e32 v71, v71, v217
	v_not_b32_e32 v215, v216
	v_ashrrev_i32_e32 v213, 31, v213
	v_xor_b32_e32 v74, s22, v74
	v_cmp_gt_i32_e64 s22, 0, v216
	v_and_b32_e32 v71, v71, v73
	v_not_b32_e32 v73, v212
	v_ashrrev_i32_e32 v215, 31, v215
	v_xor_b32_e32 v213, vcc_lo, v213
	v_cmp_gt_i32_e32 vcc_lo, 0, v212
	v_and_b32_e32 v71, v71, v74
	v_ashrrev_i32_e32 v73, 31, v73
	v_xor_b32_e32 v74, s22, v215
	v_mad_u32_u24 v212, v72, 36, v150
	v_mul_u32_u24_e32 v72, 36, v72
	v_and_b32_e32 v71, v71, v213
	v_xor_b32_e32 v73, vcc_lo, v73
	ds_read_b32 v212, v212 offset:544
	v_add_nc_u32_e32 v215, v150, v72
	v_and_b32_e32 v71, v71, v74
	; wave barrier
	v_and_b32_e32 v71, v71, v73
	v_mbcnt_lo_u32_b32 v213, v71, 0
	v_cmp_ne_u32_e64 s22, 0, v71
	v_cmp_eq_u32_e32 vcc_lo, 0, v213
	s_and_b32 s23, s22, vcc_lo
	s_and_saveexec_b32 s22, s23
	s_cbranch_execz .LBB1222_458
; %bb.457:                              ;   in Loop: Header=BB1222_390 Depth=2
	s_waitcnt lgkmcnt(0)
	v_bcnt_u32_b32 v71, v71, v212
	ds_write_b32 v215, v71 offset:544
.LBB1222_458:                           ;   in Loop: Header=BB1222_390 Depth=2
	s_or_b32 exec_lo, exec_lo, s22
	; wave barrier
	s_waitcnt lgkmcnt(0)
	s_barrier
	buffer_gl0_inv
	ds_read2_b32 v[73:74], v100 offset0:136 offset1:137
	ds_read2_b32 v[71:72], v100 offset0:138 offset1:139
	ds_read_b32 v216, v100 offset:560
	s_waitcnt lgkmcnt(1)
	v_add3_u32 v217, v74, v73, v71
	s_waitcnt lgkmcnt(0)
	v_add3_u32 v216, v217, v72, v216
	v_mov_b32_dpp v217, v216 row_shr:1 row_mask:0xf bank_mask:0xf
	v_cndmask_b32_e64 v217, v217, 0, s13
	v_add_nc_u32_e32 v216, v217, v216
	v_mov_b32_dpp v217, v216 row_shr:2 row_mask:0xf bank_mask:0xf
	v_cndmask_b32_e64 v217, 0, v217, s14
	v_add_nc_u32_e32 v216, v216, v217
	;; [unrolled: 3-line block ×4, first 2 shown]
	ds_swizzle_b32 v217, v216 offset:swizzle(BROADCAST,32,15)
	s_waitcnt lgkmcnt(0)
	v_cndmask_b32_e64 v217, v217, 0, s17
	v_add_nc_u32_e32 v216, v216, v217
	s_and_saveexec_b32 s22, s4
; %bb.459:                              ;   in Loop: Header=BB1222_390 Depth=2
	ds_write_b32 v94, v216 offset:512
; %bb.460:                              ;   in Loop: Header=BB1222_390 Depth=2
	s_or_b32 exec_lo, exec_lo, s22
	s_waitcnt lgkmcnt(0)
	s_barrier
	buffer_gl0_inv
	s_and_saveexec_b32 s22, s5
	s_cbranch_execz .LBB1222_462
; %bb.461:                              ;   in Loop: Header=BB1222_390 Depth=2
	ds_read_b32 v217, v101 offset:512
	s_waitcnt lgkmcnt(0)
	v_mov_b32_dpp v218, v217 row_shr:1 row_mask:0xf bank_mask:0xf
	v_cndmask_b32_e64 v218, v218, 0, s19
	v_add_nc_u32_e32 v217, v218, v217
	v_mov_b32_dpp v218, v217 row_shr:2 row_mask:0xf bank_mask:0xf
	v_cndmask_b32_e64 v218, 0, v218, s20
	v_add_nc_u32_e32 v217, v217, v218
	;; [unrolled: 3-line block ×3, first 2 shown]
	ds_write_b32 v101, v217 offset:512
.LBB1222_462:                           ;   in Loop: Header=BB1222_390 Depth=2
	s_or_b32 exec_lo, exec_lo, s22
	v_mov_b32_e32 v217, 0
	s_waitcnt lgkmcnt(0)
	s_barrier
	buffer_gl0_inv
	s_and_saveexec_b32 s22, s10
; %bb.463:                              ;   in Loop: Header=BB1222_390 Depth=2
	ds_read_b32 v217, v94 offset:508
; %bb.464:                              ;   in Loop: Header=BB1222_390 Depth=2
	s_or_b32 exec_lo, exec_lo, s22
	s_waitcnt lgkmcnt(0)
	v_add_nc_u32_e32 v216, v217, v216
	ds_bpermute_b32 v216, v129, v216
	s_waitcnt lgkmcnt(0)
	v_cndmask_b32_e64 v216, v216, v217, s18
	v_cndmask_b32_e64 v216, v216, 0, s11
	v_add_nc_u32_e32 v73, v216, v73
	v_add_nc_u32_e32 v74, v73, v74
	;; [unrolled: 1-line block ×4, first 2 shown]
	ds_write2_b32 v100, v216, v73 offset0:136 offset1:137
	ds_write2_b32 v100, v74, v71 offset0:138 offset1:139
	ds_write_b32 v100, v72 offset:560
	s_waitcnt lgkmcnt(0)
	s_barrier
	buffer_gl0_inv
	ds_read_b32 v71, v170 offset:544
	ds_read_b32 v219, v173 offset:544
	;; [unrolled: 1-line block ×16, first 2 shown]
	s_and_saveexec_b32 s22, s7
	s_cbranch_execz .LBB1222_468
; %bb.465:                              ;   in Loop: Header=BB1222_390 Depth=2
	ds_read_b32 v158, v103 offset:544
	v_mov_b32_e32 v168, 0x1000
	s_and_saveexec_b32 s23, s12
; %bb.466:                              ;   in Loop: Header=BB1222_390 Depth=2
	ds_read_b32 v168, v102 offset:544
; %bb.467:                              ;   in Loop: Header=BB1222_390 Depth=2
	s_or_b32 exec_lo, exec_lo, s23
	s_waitcnt lgkmcnt(0)
	v_sub_nc_u32_e32 v168, v168, v158
.LBB1222_468:                           ;   in Loop: Header=BB1222_390 Depth=2
	s_or_b32 exec_lo, exec_lo, s22
	s_waitcnt lgkmcnt(0)
	s_barrier
	buffer_gl0_inv
	s_and_saveexec_b32 s22, s7
	s_cbranch_execz .LBB1222_470
; %bb.469:                              ;   in Loop: Header=BB1222_390 Depth=2
	ds_read_b32 v194, v75
	s_waitcnt lgkmcnt(0)
	v_sub_nc_u32_e32 v194, v194, v158
	ds_write_b32 v75, v194
.LBB1222_470:                           ;   in Loop: Header=BB1222_390 Depth=2
	s_or_b32 exec_lo, exec_lo, s22
	v_lshlrev_b32_e32 v3, 3, v3
	v_lshlrev_b32_e32 v172, 3, v172
	v_lshlrev_b32_e32 v171, 3, v171
	v_lshlrev_b32_e32 v194, 3, v219
	v_lshlrev_b32_e32 v175, 3, v175
	v_lshl_add_u32 v71, v71, 3, v3
	v_lshlrev_b32_e32 v3, 3, v174
	v_lshlrev_b32_e32 v174, 3, v72
	;; [unrolled: 1-line block ×3, first 2 shown]
	v_add3_u32 v72, v172, v171, v194
	ds_write_b64 v71, v[39:40] offset:512
	v_lshlrev_b32_e32 v39, 3, v177
	v_lshlrev_b32_e32 v40, 3, v218
	;; [unrolled: 1-line block ×8, first 2 shown]
	ds_write_b64 v72, v[41:42] offset:512
	v_add3_u32 v41, v175, v3, v174
	v_add3_u32 v42, v178, v39, v40
	v_lshlrev_b32_e32 v3, 3, v187
	v_lshlrev_b32_e32 v39, 3, v186
	;; [unrolled: 1-line block ×3, first 2 shown]
	v_add3_u32 v73, v171, v172, v74
	v_add3_u32 v74, v177, v180, v181
	ds_write_b64 v41, v[43:44] offset:512
	ds_write_b64 v42, v[49:50] offset:512
	;; [unrolled: 1-line block ×4, first 2 shown]
	v_add3_u32 v43, v3, v39, v40
	v_lshlrev_b32_e32 v3, 3, v190
	v_lshlrev_b32_e32 v39, 3, v189
	;; [unrolled: 1-line block ×12, first 2 shown]
	v_add3_u32 v44, v3, v39, v40
	v_lshlrev_b32_e32 v3, 3, v201
	v_lshlrev_b32_e32 v39, 3, v200
	;; [unrolled: 1-line block ×3, first 2 shown]
	v_add3_u32 v49, v49, v50, v55
	v_add3_u32 v50, v56, v59, v60
	;; [unrolled: 1-line block ×3, first 2 shown]
	ds_write_b64 v43, v[63:64] offset:512
	ds_write_b64 v44, v[67:68] offset:512
	;; [unrolled: 1-line block ×5, first 2 shown]
	v_add3_u32 v56, v3, v39, v40
	v_lshlrev_b32_e32 v3, 3, v204
	v_lshlrev_b32_e32 v39, 3, v203
	;; [unrolled: 1-line block ×12, first 2 shown]
	v_add3_u32 v59, v3, v39, v40
	v_add3_u32 v60, v60, v61, v62
	;; [unrolled: 1-line block ×3, first 2 shown]
	ds_write_b64 v56, v[57:58] offset:512
	v_add3_u32 v57, v66, v67, v68
	v_cmp_lt_u32_e32 vcc_lo, v0, v169
	ds_write_b64 v59, v[53:54] offset:512
	ds_write_b64 v60, v[51:52] offset:512
	;; [unrolled: 1-line block ×4, first 2 shown]
	s_waitcnt lgkmcnt(0)
	s_barrier
	buffer_gl0_inv
	s_and_saveexec_b32 s23, vcc_lo
	s_cbranch_execnz .LBB1222_539
; %bb.471:                              ;   in Loop: Header=BB1222_390 Depth=2
	s_or_b32 exec_lo, exec_lo, s23
	v_cmp_lt_u32_e64 s22, v76, v169
	s_and_saveexec_b32 s24, s22
	s_cbranch_execnz .LBB1222_540
.LBB1222_472:                           ;   in Loop: Header=BB1222_390 Depth=2
	s_or_b32 exec_lo, exec_lo, s24
	v_cmp_lt_u32_e64 s23, v79, v169
	s_and_saveexec_b32 s25, s23
	s_cbranch_execnz .LBB1222_541
.LBB1222_473:                           ;   in Loop: Header=BB1222_390 Depth=2
	s_or_b32 exec_lo, exec_lo, s25
	v_cmp_lt_u32_e64 s24, v80, v169
	s_and_saveexec_b32 s26, s24
	s_cbranch_execnz .LBB1222_542
.LBB1222_474:                           ;   in Loop: Header=BB1222_390 Depth=2
	s_or_b32 exec_lo, exec_lo, s26
	v_cmp_lt_u32_e64 s25, v81, v169
	s_and_saveexec_b32 s27, s25
	s_cbranch_execnz .LBB1222_543
.LBB1222_475:                           ;   in Loop: Header=BB1222_390 Depth=2
	s_or_b32 exec_lo, exec_lo, s27
	v_cmp_lt_u32_e64 s26, v82, v169
	s_and_saveexec_b32 s28, s26
	s_cbranch_execnz .LBB1222_544
.LBB1222_476:                           ;   in Loop: Header=BB1222_390 Depth=2
	s_or_b32 exec_lo, exec_lo, s28
	v_cmp_lt_u32_e64 s27, v83, v169
	s_and_saveexec_b32 s30, s27
	s_cbranch_execnz .LBB1222_545
.LBB1222_477:                           ;   in Loop: Header=BB1222_390 Depth=2
	s_or_b32 exec_lo, exec_lo, s30
	v_cmp_lt_u32_e64 s28, v84, v169
	s_and_saveexec_b32 s31, s28
	s_cbranch_execnz .LBB1222_546
.LBB1222_478:                           ;   in Loop: Header=BB1222_390 Depth=2
	s_or_b32 exec_lo, exec_lo, s31
	v_cmp_lt_u32_e64 s30, v85, v169
	s_and_saveexec_b32 s33, s30
	s_cbranch_execnz .LBB1222_547
.LBB1222_479:                           ;   in Loop: Header=BB1222_390 Depth=2
	s_or_b32 exec_lo, exec_lo, s33
	v_cmp_lt_u32_e64 s31, v86, v169
	s_and_saveexec_b32 s34, s31
	s_cbranch_execnz .LBB1222_548
.LBB1222_480:                           ;   in Loop: Header=BB1222_390 Depth=2
	s_or_b32 exec_lo, exec_lo, s34
	v_cmp_lt_u32_e64 s33, v87, v169
	s_and_saveexec_b32 s35, s33
	s_cbranch_execnz .LBB1222_549
.LBB1222_481:                           ;   in Loop: Header=BB1222_390 Depth=2
	s_or_b32 exec_lo, exec_lo, s35
	v_cmp_lt_u32_e64 s34, v88, v169
	s_and_saveexec_b32 s36, s34
	s_cbranch_execnz .LBB1222_550
.LBB1222_482:                           ;   in Loop: Header=BB1222_390 Depth=2
	s_or_b32 exec_lo, exec_lo, s36
	v_cmp_lt_u32_e64 s35, v89, v169
	s_and_saveexec_b32 s37, s35
	s_cbranch_execnz .LBB1222_551
.LBB1222_483:                           ;   in Loop: Header=BB1222_390 Depth=2
	s_or_b32 exec_lo, exec_lo, s37
	v_cmp_lt_u32_e64 s36, v90, v169
	s_and_saveexec_b32 s38, s36
	s_cbranch_execnz .LBB1222_552
.LBB1222_484:                           ;   in Loop: Header=BB1222_390 Depth=2
	s_or_b32 exec_lo, exec_lo, s38
	v_cmp_lt_u32_e64 s37, v91, v169
	s_and_saveexec_b32 s39, s37
	s_cbranch_execnz .LBB1222_553
.LBB1222_485:                           ;   in Loop: Header=BB1222_390 Depth=2
	s_or_b32 exec_lo, exec_lo, s39
	v_cmp_lt_u32_e64 s38, v92, v169
	s_and_saveexec_b32 s68, s38
	s_cbranch_execz .LBB1222_487
.LBB1222_486:                           ;   in Loop: Header=BB1222_390 Depth=2
	ds_read_b64 v[39:40], v108 offset:31232
	s_waitcnt lgkmcnt(0)
	v_cmp_ne_u64_e64 s39, s[46:47], v[39:40]
	v_cndmask_b32_e64 v46, 0x80000000, v40, s39
	v_cndmask_b32_e64 v45, 0, v39, s39
	v_cmp_lt_i64_e64 s39, -1, v[39:40]
	v_lshrrev_b64 v[45:46], s63, v[45:46]
	v_cndmask_b32_e64 v47, 0x80000000, -1, s39
	v_and_b32_e32 v3, s65, v45
	v_ashrrev_i32_e32 v45, 31, v40
	v_xor_b32_e32 v40, v47, v40
	v_lshlrev_b32_e32 v3, 2, v3
	v_not_b32_e32 v48, v45
	ds_read_b32 v3, v3
	v_xor_b32_e32 v39, v48, v39
	s_waitcnt lgkmcnt(0)
	v_add_nc_u32_e32 v3, v3, v92
	v_lshlrev_b64 v[45:46], 3, v[3:4]
	v_add_co_u32 v45, s39, s44, v45
	v_add_co_ci_u32_e64 v46, null, s45, v46, s39
	global_store_dwordx2 v[45:46], v[39:40], off
.LBB1222_487:                           ;   in Loop: Header=BB1222_390 Depth=2
	s_or_b32 exec_lo, exec_lo, s68
	s_lshl_b64 s[68:69], s[56:57], 3
	v_add_co_u32 v39, s39, v131, s68
	v_add_co_ci_u32_e64 v40, null, s69, v132, s39
	v_cmp_lt_u32_e64 s39, v130, v169
	s_and_saveexec_b32 s56, s39
	s_xor_b32 s39, exec_lo, s56
	s_cbranch_execnz .LBB1222_554
; %bb.488:                              ;   in Loop: Header=BB1222_390 Depth=2
	s_or_b32 exec_lo, exec_lo, s39
	s_mov_b32 s56, exec_lo
	v_cmpx_lt_u32_e64 v133, v169
	s_cbranch_execnz .LBB1222_555
.LBB1222_489:                           ;   in Loop: Header=BB1222_390 Depth=2
	s_or_b32 exec_lo, exec_lo, s56
	s_mov_b32 s56, exec_lo
	v_cmpx_lt_u32_e64 v134, v169
	s_cbranch_execnz .LBB1222_556
.LBB1222_490:                           ;   in Loop: Header=BB1222_390 Depth=2
	s_or_b32 exec_lo, exec_lo, s56
	s_mov_b32 s56, exec_lo
	v_cmpx_lt_u32_e64 v135, v169
	s_cbranch_execnz .LBB1222_557
.LBB1222_491:                           ;   in Loop: Header=BB1222_390 Depth=2
	s_or_b32 exec_lo, exec_lo, s56
	s_mov_b32 s56, exec_lo
	v_cmpx_lt_u32_e64 v136, v169
	s_cbranch_execnz .LBB1222_558
.LBB1222_492:                           ;   in Loop: Header=BB1222_390 Depth=2
	s_or_b32 exec_lo, exec_lo, s56
	s_mov_b32 s56, exec_lo
	v_cmpx_lt_u32_e64 v137, v169
	s_cbranch_execnz .LBB1222_559
.LBB1222_493:                           ;   in Loop: Header=BB1222_390 Depth=2
	s_or_b32 exec_lo, exec_lo, s56
	s_mov_b32 s56, exec_lo
	v_cmpx_lt_u32_e64 v138, v169
	s_cbranch_execnz .LBB1222_560
.LBB1222_494:                           ;   in Loop: Header=BB1222_390 Depth=2
	s_or_b32 exec_lo, exec_lo, s56
	s_mov_b32 s56, exec_lo
	v_cmpx_lt_u32_e64 v139, v169
	s_cbranch_execnz .LBB1222_561
.LBB1222_495:                           ;   in Loop: Header=BB1222_390 Depth=2
	s_or_b32 exec_lo, exec_lo, s56
	s_mov_b32 s56, exec_lo
	v_cmpx_lt_u32_e64 v140, v169
	s_cbranch_execnz .LBB1222_562
.LBB1222_496:                           ;   in Loop: Header=BB1222_390 Depth=2
	s_or_b32 exec_lo, exec_lo, s56
	s_mov_b32 s56, exec_lo
	v_cmpx_lt_u32_e64 v141, v169
	s_cbranch_execnz .LBB1222_563
.LBB1222_497:                           ;   in Loop: Header=BB1222_390 Depth=2
	s_or_b32 exec_lo, exec_lo, s56
	s_mov_b32 s56, exec_lo
	v_cmpx_lt_u32_e64 v142, v169
	s_cbranch_execnz .LBB1222_564
.LBB1222_498:                           ;   in Loop: Header=BB1222_390 Depth=2
	s_or_b32 exec_lo, exec_lo, s56
	s_mov_b32 s56, exec_lo
	v_cmpx_lt_u32_e64 v143, v169
	s_cbranch_execnz .LBB1222_565
.LBB1222_499:                           ;   in Loop: Header=BB1222_390 Depth=2
	s_or_b32 exec_lo, exec_lo, s56
	s_mov_b32 s56, exec_lo
	v_cmpx_lt_u32_e64 v144, v169
	s_cbranch_execnz .LBB1222_566
.LBB1222_500:                           ;   in Loop: Header=BB1222_390 Depth=2
	s_or_b32 exec_lo, exec_lo, s56
	s_mov_b32 s56, exec_lo
	v_cmpx_lt_u32_e64 v145, v169
	s_cbranch_execnz .LBB1222_567
.LBB1222_501:                           ;   in Loop: Header=BB1222_390 Depth=2
	s_or_b32 exec_lo, exec_lo, s56
	s_mov_b32 s56, exec_lo
	v_cmpx_lt_u32_e64 v146, v169
	s_cbranch_execnz .LBB1222_568
.LBB1222_502:                           ;   in Loop: Header=BB1222_390 Depth=2
	s_or_b32 exec_lo, exec_lo, s56
	s_mov_b32 s56, exec_lo
	v_cmpx_lt_u32_e64 v147, v169
	s_cbranch_execnz .LBB1222_569
.LBB1222_503:                           ;   in Loop: Header=BB1222_390 Depth=2
	s_or_b32 exec_lo, exec_lo, s56
	s_and_saveexec_b32 s56, vcc_lo
	s_cbranch_execnz .LBB1222_570
.LBB1222_504:                           ;   in Loop: Header=BB1222_390 Depth=2
	s_or_b32 exec_lo, exec_lo, s56
	s_and_saveexec_b32 s56, s22
	s_cbranch_execnz .LBB1222_571
.LBB1222_505:                           ;   in Loop: Header=BB1222_390 Depth=2
	s_or_b32 exec_lo, exec_lo, s56
	s_and_saveexec_b32 s56, s23
	s_cbranch_execnz .LBB1222_572
.LBB1222_506:                           ;   in Loop: Header=BB1222_390 Depth=2
	s_or_b32 exec_lo, exec_lo, s56
	s_and_saveexec_b32 s56, s24
	s_cbranch_execnz .LBB1222_573
.LBB1222_507:                           ;   in Loop: Header=BB1222_390 Depth=2
	s_or_b32 exec_lo, exec_lo, s56
	s_and_saveexec_b32 s56, s25
	s_cbranch_execnz .LBB1222_574
.LBB1222_508:                           ;   in Loop: Header=BB1222_390 Depth=2
	s_or_b32 exec_lo, exec_lo, s56
	s_and_saveexec_b32 s56, s26
	s_cbranch_execnz .LBB1222_575
.LBB1222_509:                           ;   in Loop: Header=BB1222_390 Depth=2
	s_or_b32 exec_lo, exec_lo, s56
	s_and_saveexec_b32 s56, s27
	s_cbranch_execnz .LBB1222_576
.LBB1222_510:                           ;   in Loop: Header=BB1222_390 Depth=2
	s_or_b32 exec_lo, exec_lo, s56
	s_and_saveexec_b32 s56, s28
	s_cbranch_execnz .LBB1222_577
.LBB1222_511:                           ;   in Loop: Header=BB1222_390 Depth=2
	s_or_b32 exec_lo, exec_lo, s56
	s_and_saveexec_b32 s56, s30
	s_cbranch_execnz .LBB1222_578
.LBB1222_512:                           ;   in Loop: Header=BB1222_390 Depth=2
	s_or_b32 exec_lo, exec_lo, s56
	s_and_saveexec_b32 s56, s31
	s_cbranch_execnz .LBB1222_579
.LBB1222_513:                           ;   in Loop: Header=BB1222_390 Depth=2
	s_or_b32 exec_lo, exec_lo, s56
	s_and_saveexec_b32 s56, s33
	s_cbranch_execnz .LBB1222_580
.LBB1222_514:                           ;   in Loop: Header=BB1222_390 Depth=2
	s_or_b32 exec_lo, exec_lo, s56
	s_and_saveexec_b32 s56, s34
	s_cbranch_execnz .LBB1222_581
.LBB1222_515:                           ;   in Loop: Header=BB1222_390 Depth=2
	s_or_b32 exec_lo, exec_lo, s56
	s_and_saveexec_b32 s56, s35
	s_cbranch_execnz .LBB1222_582
.LBB1222_516:                           ;   in Loop: Header=BB1222_390 Depth=2
	s_or_b32 exec_lo, exec_lo, s56
	s_and_saveexec_b32 s56, s36
	s_cbranch_execnz .LBB1222_583
.LBB1222_517:                           ;   in Loop: Header=BB1222_390 Depth=2
	s_or_b32 exec_lo, exec_lo, s56
	s_and_saveexec_b32 s56, s37
	s_cbranch_execnz .LBB1222_584
.LBB1222_518:                           ;   in Loop: Header=BB1222_390 Depth=2
	s_or_b32 exec_lo, exec_lo, s56
	s_and_saveexec_b32 s56, s38
	s_cbranch_execz .LBB1222_520
.LBB1222_519:                           ;   in Loop: Header=BB1222_390 Depth=2
	ds_read_b64 v[39:40], v108 offset:31232
	s_waitcnt lgkmcnt(0)
	v_cmp_ne_u64_e64 s39, s[46:47], v[39:40]
	v_cndmask_b32_e64 v40, 0x80000000, v40, s39
	v_cndmask_b32_e64 v39, 0, v39, s39
	v_lshrrev_b64 v[39:40], s63, v[39:40]
	v_and_b32_e32 v151, s65, v39
.LBB1222_520:                           ;   in Loop: Header=BB1222_390 Depth=2
	s_or_b32 exec_lo, exec_lo, s56
	s_waitcnt vmcnt(0)
	s_waitcnt_vscnt null, 0x0
	s_barrier
	buffer_gl0_inv
	ds_write_b64 v71, v[37:38] offset:512
	ds_write_b64 v72, v[35:36] offset:512
	;; [unrolled: 1-line block ×16, first 2 shown]
	s_waitcnt lgkmcnt(0)
	s_barrier
	buffer_gl0_inv
	s_and_saveexec_b32 s39, vcc_lo
	s_cbranch_execnz .LBB1222_585
; %bb.521:                              ;   in Loop: Header=BB1222_390 Depth=2
	s_or_b32 exec_lo, exec_lo, s39
	s_and_saveexec_b32 s39, s22
	s_cbranch_execnz .LBB1222_586
.LBB1222_522:                           ;   in Loop: Header=BB1222_390 Depth=2
	s_or_b32 exec_lo, exec_lo, s39
	s_and_saveexec_b32 s22, s23
	s_cbranch_execnz .LBB1222_587
.LBB1222_523:                           ;   in Loop: Header=BB1222_390 Depth=2
	s_or_b32 exec_lo, exec_lo, s22
	s_and_saveexec_b32 s22, s24
	s_cbranch_execnz .LBB1222_588
.LBB1222_524:                           ;   in Loop: Header=BB1222_390 Depth=2
	s_or_b32 exec_lo, exec_lo, s22
	s_and_saveexec_b32 s22, s25
	s_cbranch_execnz .LBB1222_589
.LBB1222_525:                           ;   in Loop: Header=BB1222_390 Depth=2
	s_or_b32 exec_lo, exec_lo, s22
	s_and_saveexec_b32 s22, s26
	s_cbranch_execnz .LBB1222_590
.LBB1222_526:                           ;   in Loop: Header=BB1222_390 Depth=2
	s_or_b32 exec_lo, exec_lo, s22
	s_and_saveexec_b32 s22, s27
	s_cbranch_execnz .LBB1222_591
.LBB1222_527:                           ;   in Loop: Header=BB1222_390 Depth=2
	s_or_b32 exec_lo, exec_lo, s22
	s_and_saveexec_b32 s22, s28
	s_cbranch_execnz .LBB1222_592
.LBB1222_528:                           ;   in Loop: Header=BB1222_390 Depth=2
	s_or_b32 exec_lo, exec_lo, s22
	s_and_saveexec_b32 s22, s30
	s_cbranch_execnz .LBB1222_593
.LBB1222_529:                           ;   in Loop: Header=BB1222_390 Depth=2
	s_or_b32 exec_lo, exec_lo, s22
	s_and_saveexec_b32 s22, s31
	s_cbranch_execnz .LBB1222_594
.LBB1222_530:                           ;   in Loop: Header=BB1222_390 Depth=2
	s_or_b32 exec_lo, exec_lo, s22
	s_and_saveexec_b32 s22, s33
	s_cbranch_execnz .LBB1222_595
.LBB1222_531:                           ;   in Loop: Header=BB1222_390 Depth=2
	s_or_b32 exec_lo, exec_lo, s22
	s_and_saveexec_b32 s22, s34
	s_cbranch_execnz .LBB1222_596
.LBB1222_532:                           ;   in Loop: Header=BB1222_390 Depth=2
	s_or_b32 exec_lo, exec_lo, s22
	s_and_saveexec_b32 s22, s35
	s_cbranch_execnz .LBB1222_597
.LBB1222_533:                           ;   in Loop: Header=BB1222_390 Depth=2
	s_or_b32 exec_lo, exec_lo, s22
	s_and_saveexec_b32 s22, s36
	s_cbranch_execnz .LBB1222_598
.LBB1222_534:                           ;   in Loop: Header=BB1222_390 Depth=2
	s_or_b32 exec_lo, exec_lo, s22
	s_and_saveexec_b32 s22, s37
	s_cbranch_execnz .LBB1222_599
.LBB1222_535:                           ;   in Loop: Header=BB1222_390 Depth=2
	s_or_b32 exec_lo, exec_lo, s22
	s_and_saveexec_b32 s22, s38
	s_cbranch_execz .LBB1222_537
.LBB1222_536:                           ;   in Loop: Header=BB1222_390 Depth=2
	v_lshlrev_b32_e32 v3, 2, v151
	ds_read_b32 v3, v3
	ds_read_b64 v[39:40], v108 offset:31232
	s_waitcnt lgkmcnt(1)
	v_add_nc_u32_e32 v3, v3, v92
	v_lshlrev_b64 v[41:42], 3, v[3:4]
	v_add_co_u32 v41, vcc_lo, s50, v41
	v_add_co_ci_u32_e64 v42, null, s51, v42, vcc_lo
	s_waitcnt lgkmcnt(0)
	global_store_dwordx2 v[41:42], v[39:40], off
.LBB1222_537:                           ;   in Loop: Header=BB1222_390 Depth=2
	s_or_b32 exec_lo, exec_lo, s22
	s_waitcnt_vscnt null, 0x0
	s_barrier
	buffer_gl0_inv
	s_and_saveexec_b32 s22, s7
	s_cbranch_execz .LBB1222_389
; %bb.538:                              ;   in Loop: Header=BB1222_390 Depth=2
	ds_read_b32 v3, v75
	s_waitcnt lgkmcnt(0)
	v_add3_u32 v3, v158, v168, v3
	ds_write_b32 v75, v3
	s_branch .LBB1222_389
.LBB1222_539:                           ;   in Loop: Header=BB1222_390 Depth=2
	ds_read_b64 v[39:40], v108 offset:512
	s_waitcnt lgkmcnt(0)
	v_cmp_ne_u64_e64 s22, s[46:47], v[39:40]
	v_cndmask_b32_e64 v46, 0x80000000, v40, s22
	v_cndmask_b32_e64 v45, 0, v39, s22
	v_cmp_lt_i64_e64 s22, -1, v[39:40]
	v_lshrrev_b64 v[45:46], s63, v[45:46]
	v_cndmask_b32_e64 v47, 0x80000000, -1, s22
	v_and_b32_e32 v3, s65, v45
	v_ashrrev_i32_e32 v45, 31, v40
	v_xor_b32_e32 v40, v47, v40
	v_lshlrev_b32_e32 v3, 2, v3
	v_not_b32_e32 v48, v45
	ds_read_b32 v3, v3
	v_xor_b32_e32 v39, v48, v39
	s_waitcnt lgkmcnt(0)
	v_add_nc_u32_e32 v3, v3, v0
	v_lshlrev_b64 v[45:46], 3, v[3:4]
	v_add_co_u32 v45, s22, s44, v45
	v_add_co_ci_u32_e64 v46, null, s45, v46, s22
	global_store_dwordx2 v[45:46], v[39:40], off
	s_or_b32 exec_lo, exec_lo, s23
	v_cmp_lt_u32_e64 s22, v76, v169
	s_and_saveexec_b32 s24, s22
	s_cbranch_execz .LBB1222_472
.LBB1222_540:                           ;   in Loop: Header=BB1222_390 Depth=2
	ds_read_b64 v[39:40], v108 offset:2560
	s_waitcnt lgkmcnt(0)
	v_cmp_ne_u64_e64 s23, s[46:47], v[39:40]
	v_cndmask_b32_e64 v46, 0x80000000, v40, s23
	v_cndmask_b32_e64 v45, 0, v39, s23
	v_cmp_lt_i64_e64 s23, -1, v[39:40]
	v_lshrrev_b64 v[45:46], s63, v[45:46]
	v_cndmask_b32_e64 v47, 0x80000000, -1, s23
	v_and_b32_e32 v3, s65, v45
	v_ashrrev_i32_e32 v45, 31, v40
	v_xor_b32_e32 v40, v47, v40
	v_lshlrev_b32_e32 v3, 2, v3
	v_not_b32_e32 v48, v45
	ds_read_b32 v3, v3
	v_xor_b32_e32 v39, v48, v39
	s_waitcnt lgkmcnt(0)
	v_add_nc_u32_e32 v3, v3, v76
	v_lshlrev_b64 v[45:46], 3, v[3:4]
	v_add_co_u32 v45, s23, s44, v45
	v_add_co_ci_u32_e64 v46, null, s45, v46, s23
	global_store_dwordx2 v[45:46], v[39:40], off
	s_or_b32 exec_lo, exec_lo, s24
	v_cmp_lt_u32_e64 s23, v79, v169
	s_and_saveexec_b32 s25, s23
	s_cbranch_execz .LBB1222_473
.LBB1222_541:                           ;   in Loop: Header=BB1222_390 Depth=2
	ds_read_b64 v[39:40], v108 offset:4608
	s_waitcnt lgkmcnt(0)
	v_cmp_ne_u64_e64 s24, s[46:47], v[39:40]
	v_cndmask_b32_e64 v46, 0x80000000, v40, s24
	v_cndmask_b32_e64 v45, 0, v39, s24
	v_cmp_lt_i64_e64 s24, -1, v[39:40]
	v_lshrrev_b64 v[45:46], s63, v[45:46]
	v_cndmask_b32_e64 v47, 0x80000000, -1, s24
	v_and_b32_e32 v3, s65, v45
	v_ashrrev_i32_e32 v45, 31, v40
	v_xor_b32_e32 v40, v47, v40
	v_lshlrev_b32_e32 v3, 2, v3
	v_not_b32_e32 v48, v45
	ds_read_b32 v3, v3
	v_xor_b32_e32 v39, v48, v39
	s_waitcnt lgkmcnt(0)
	v_add_nc_u32_e32 v3, v3, v79
	v_lshlrev_b64 v[45:46], 3, v[3:4]
	v_add_co_u32 v45, s24, s44, v45
	v_add_co_ci_u32_e64 v46, null, s45, v46, s24
	global_store_dwordx2 v[45:46], v[39:40], off
	s_or_b32 exec_lo, exec_lo, s25
	v_cmp_lt_u32_e64 s24, v80, v169
	s_and_saveexec_b32 s26, s24
	s_cbranch_execz .LBB1222_474
.LBB1222_542:                           ;   in Loop: Header=BB1222_390 Depth=2
	ds_read_b64 v[39:40], v108 offset:6656
	s_waitcnt lgkmcnt(0)
	v_cmp_ne_u64_e64 s25, s[46:47], v[39:40]
	v_cndmask_b32_e64 v46, 0x80000000, v40, s25
	v_cndmask_b32_e64 v45, 0, v39, s25
	v_cmp_lt_i64_e64 s25, -1, v[39:40]
	v_lshrrev_b64 v[45:46], s63, v[45:46]
	v_cndmask_b32_e64 v47, 0x80000000, -1, s25
	v_and_b32_e32 v3, s65, v45
	v_ashrrev_i32_e32 v45, 31, v40
	v_xor_b32_e32 v40, v47, v40
	v_lshlrev_b32_e32 v3, 2, v3
	v_not_b32_e32 v48, v45
	ds_read_b32 v3, v3
	v_xor_b32_e32 v39, v48, v39
	s_waitcnt lgkmcnt(0)
	v_add_nc_u32_e32 v3, v3, v80
	v_lshlrev_b64 v[45:46], 3, v[3:4]
	v_add_co_u32 v45, s25, s44, v45
	v_add_co_ci_u32_e64 v46, null, s45, v46, s25
	global_store_dwordx2 v[45:46], v[39:40], off
	s_or_b32 exec_lo, exec_lo, s26
	v_cmp_lt_u32_e64 s25, v81, v169
	s_and_saveexec_b32 s27, s25
	s_cbranch_execz .LBB1222_475
.LBB1222_543:                           ;   in Loop: Header=BB1222_390 Depth=2
	ds_read_b64 v[39:40], v108 offset:8704
	s_waitcnt lgkmcnt(0)
	v_cmp_ne_u64_e64 s26, s[46:47], v[39:40]
	v_cndmask_b32_e64 v46, 0x80000000, v40, s26
	v_cndmask_b32_e64 v45, 0, v39, s26
	v_cmp_lt_i64_e64 s26, -1, v[39:40]
	v_lshrrev_b64 v[45:46], s63, v[45:46]
	v_cndmask_b32_e64 v47, 0x80000000, -1, s26
	v_and_b32_e32 v3, s65, v45
	v_ashrrev_i32_e32 v45, 31, v40
	v_xor_b32_e32 v40, v47, v40
	v_lshlrev_b32_e32 v3, 2, v3
	v_not_b32_e32 v48, v45
	ds_read_b32 v3, v3
	v_xor_b32_e32 v39, v48, v39
	s_waitcnt lgkmcnt(0)
	v_add_nc_u32_e32 v3, v3, v81
	v_lshlrev_b64 v[45:46], 3, v[3:4]
	v_add_co_u32 v45, s26, s44, v45
	v_add_co_ci_u32_e64 v46, null, s45, v46, s26
	global_store_dwordx2 v[45:46], v[39:40], off
	s_or_b32 exec_lo, exec_lo, s27
	v_cmp_lt_u32_e64 s26, v82, v169
	s_and_saveexec_b32 s28, s26
	s_cbranch_execz .LBB1222_476
.LBB1222_544:                           ;   in Loop: Header=BB1222_390 Depth=2
	ds_read_b64 v[39:40], v108 offset:10752
	s_waitcnt lgkmcnt(0)
	v_cmp_ne_u64_e64 s27, s[46:47], v[39:40]
	v_cndmask_b32_e64 v46, 0x80000000, v40, s27
	v_cndmask_b32_e64 v45, 0, v39, s27
	v_cmp_lt_i64_e64 s27, -1, v[39:40]
	v_lshrrev_b64 v[45:46], s63, v[45:46]
	v_cndmask_b32_e64 v47, 0x80000000, -1, s27
	v_and_b32_e32 v3, s65, v45
	v_ashrrev_i32_e32 v45, 31, v40
	v_xor_b32_e32 v40, v47, v40
	v_lshlrev_b32_e32 v3, 2, v3
	v_not_b32_e32 v48, v45
	ds_read_b32 v3, v3
	v_xor_b32_e32 v39, v48, v39
	s_waitcnt lgkmcnt(0)
	v_add_nc_u32_e32 v3, v3, v82
	v_lshlrev_b64 v[45:46], 3, v[3:4]
	v_add_co_u32 v45, s27, s44, v45
	v_add_co_ci_u32_e64 v46, null, s45, v46, s27
	global_store_dwordx2 v[45:46], v[39:40], off
	s_or_b32 exec_lo, exec_lo, s28
	v_cmp_lt_u32_e64 s27, v83, v169
	s_and_saveexec_b32 s30, s27
	s_cbranch_execz .LBB1222_477
.LBB1222_545:                           ;   in Loop: Header=BB1222_390 Depth=2
	ds_read_b64 v[39:40], v108 offset:12800
	s_waitcnt lgkmcnt(0)
	v_cmp_ne_u64_e64 s28, s[46:47], v[39:40]
	v_cndmask_b32_e64 v46, 0x80000000, v40, s28
	v_cndmask_b32_e64 v45, 0, v39, s28
	v_cmp_lt_i64_e64 s28, -1, v[39:40]
	v_lshrrev_b64 v[45:46], s63, v[45:46]
	v_cndmask_b32_e64 v47, 0x80000000, -1, s28
	v_and_b32_e32 v3, s65, v45
	v_ashrrev_i32_e32 v45, 31, v40
	v_xor_b32_e32 v40, v47, v40
	v_lshlrev_b32_e32 v3, 2, v3
	v_not_b32_e32 v48, v45
	ds_read_b32 v3, v3
	v_xor_b32_e32 v39, v48, v39
	s_waitcnt lgkmcnt(0)
	v_add_nc_u32_e32 v3, v3, v83
	v_lshlrev_b64 v[45:46], 3, v[3:4]
	v_add_co_u32 v45, s28, s44, v45
	v_add_co_ci_u32_e64 v46, null, s45, v46, s28
	global_store_dwordx2 v[45:46], v[39:40], off
	s_or_b32 exec_lo, exec_lo, s30
	v_cmp_lt_u32_e64 s28, v84, v169
	s_and_saveexec_b32 s31, s28
	s_cbranch_execz .LBB1222_478
.LBB1222_546:                           ;   in Loop: Header=BB1222_390 Depth=2
	ds_read_b64 v[39:40], v108 offset:14848
	s_waitcnt lgkmcnt(0)
	v_cmp_ne_u64_e64 s30, s[46:47], v[39:40]
	v_cndmask_b32_e64 v46, 0x80000000, v40, s30
	v_cndmask_b32_e64 v45, 0, v39, s30
	v_cmp_lt_i64_e64 s30, -1, v[39:40]
	v_lshrrev_b64 v[45:46], s63, v[45:46]
	v_cndmask_b32_e64 v47, 0x80000000, -1, s30
	v_and_b32_e32 v3, s65, v45
	v_ashrrev_i32_e32 v45, 31, v40
	v_xor_b32_e32 v40, v47, v40
	v_lshlrev_b32_e32 v3, 2, v3
	v_not_b32_e32 v48, v45
	ds_read_b32 v3, v3
	v_xor_b32_e32 v39, v48, v39
	s_waitcnt lgkmcnt(0)
	v_add_nc_u32_e32 v3, v3, v84
	v_lshlrev_b64 v[45:46], 3, v[3:4]
	v_add_co_u32 v45, s30, s44, v45
	v_add_co_ci_u32_e64 v46, null, s45, v46, s30
	global_store_dwordx2 v[45:46], v[39:40], off
	s_or_b32 exec_lo, exec_lo, s31
	v_cmp_lt_u32_e64 s30, v85, v169
	s_and_saveexec_b32 s33, s30
	s_cbranch_execz .LBB1222_479
.LBB1222_547:                           ;   in Loop: Header=BB1222_390 Depth=2
	ds_read_b64 v[39:40], v108 offset:16896
	s_waitcnt lgkmcnt(0)
	v_cmp_ne_u64_e64 s31, s[46:47], v[39:40]
	v_cndmask_b32_e64 v46, 0x80000000, v40, s31
	v_cndmask_b32_e64 v45, 0, v39, s31
	v_cmp_lt_i64_e64 s31, -1, v[39:40]
	v_lshrrev_b64 v[45:46], s63, v[45:46]
	v_cndmask_b32_e64 v47, 0x80000000, -1, s31
	v_and_b32_e32 v3, s65, v45
	v_ashrrev_i32_e32 v45, 31, v40
	v_xor_b32_e32 v40, v47, v40
	v_lshlrev_b32_e32 v3, 2, v3
	v_not_b32_e32 v48, v45
	ds_read_b32 v3, v3
	v_xor_b32_e32 v39, v48, v39
	s_waitcnt lgkmcnt(0)
	v_add_nc_u32_e32 v3, v3, v85
	v_lshlrev_b64 v[45:46], 3, v[3:4]
	v_add_co_u32 v45, s31, s44, v45
	v_add_co_ci_u32_e64 v46, null, s45, v46, s31
	global_store_dwordx2 v[45:46], v[39:40], off
	s_or_b32 exec_lo, exec_lo, s33
	v_cmp_lt_u32_e64 s31, v86, v169
	s_and_saveexec_b32 s34, s31
	s_cbranch_execz .LBB1222_480
.LBB1222_548:                           ;   in Loop: Header=BB1222_390 Depth=2
	ds_read_b64 v[39:40], v108 offset:18944
	s_waitcnt lgkmcnt(0)
	v_cmp_ne_u64_e64 s33, s[46:47], v[39:40]
	v_cndmask_b32_e64 v46, 0x80000000, v40, s33
	v_cndmask_b32_e64 v45, 0, v39, s33
	v_cmp_lt_i64_e64 s33, -1, v[39:40]
	v_lshrrev_b64 v[45:46], s63, v[45:46]
	v_cndmask_b32_e64 v47, 0x80000000, -1, s33
	v_and_b32_e32 v3, s65, v45
	v_ashrrev_i32_e32 v45, 31, v40
	v_xor_b32_e32 v40, v47, v40
	v_lshlrev_b32_e32 v3, 2, v3
	v_not_b32_e32 v48, v45
	ds_read_b32 v3, v3
	v_xor_b32_e32 v39, v48, v39
	s_waitcnt lgkmcnt(0)
	v_add_nc_u32_e32 v3, v3, v86
	v_lshlrev_b64 v[45:46], 3, v[3:4]
	v_add_co_u32 v45, s33, s44, v45
	v_add_co_ci_u32_e64 v46, null, s45, v46, s33
	global_store_dwordx2 v[45:46], v[39:40], off
	s_or_b32 exec_lo, exec_lo, s34
	v_cmp_lt_u32_e64 s33, v87, v169
	s_and_saveexec_b32 s35, s33
	s_cbranch_execz .LBB1222_481
.LBB1222_549:                           ;   in Loop: Header=BB1222_390 Depth=2
	ds_read_b64 v[39:40], v108 offset:20992
	s_waitcnt lgkmcnt(0)
	v_cmp_ne_u64_e64 s34, s[46:47], v[39:40]
	v_cndmask_b32_e64 v46, 0x80000000, v40, s34
	v_cndmask_b32_e64 v45, 0, v39, s34
	v_cmp_lt_i64_e64 s34, -1, v[39:40]
	v_lshrrev_b64 v[45:46], s63, v[45:46]
	v_cndmask_b32_e64 v47, 0x80000000, -1, s34
	v_and_b32_e32 v3, s65, v45
	v_ashrrev_i32_e32 v45, 31, v40
	v_xor_b32_e32 v40, v47, v40
	v_lshlrev_b32_e32 v3, 2, v3
	v_not_b32_e32 v48, v45
	ds_read_b32 v3, v3
	v_xor_b32_e32 v39, v48, v39
	s_waitcnt lgkmcnt(0)
	v_add_nc_u32_e32 v3, v3, v87
	v_lshlrev_b64 v[45:46], 3, v[3:4]
	v_add_co_u32 v45, s34, s44, v45
	v_add_co_ci_u32_e64 v46, null, s45, v46, s34
	global_store_dwordx2 v[45:46], v[39:40], off
	s_or_b32 exec_lo, exec_lo, s35
	v_cmp_lt_u32_e64 s34, v88, v169
	s_and_saveexec_b32 s36, s34
	s_cbranch_execz .LBB1222_482
.LBB1222_550:                           ;   in Loop: Header=BB1222_390 Depth=2
	ds_read_b64 v[39:40], v108 offset:23040
	s_waitcnt lgkmcnt(0)
	v_cmp_ne_u64_e64 s35, s[46:47], v[39:40]
	v_cndmask_b32_e64 v46, 0x80000000, v40, s35
	v_cndmask_b32_e64 v45, 0, v39, s35
	v_cmp_lt_i64_e64 s35, -1, v[39:40]
	v_lshrrev_b64 v[45:46], s63, v[45:46]
	v_cndmask_b32_e64 v47, 0x80000000, -1, s35
	v_and_b32_e32 v3, s65, v45
	v_ashrrev_i32_e32 v45, 31, v40
	v_xor_b32_e32 v40, v47, v40
	v_lshlrev_b32_e32 v3, 2, v3
	v_not_b32_e32 v48, v45
	ds_read_b32 v3, v3
	v_xor_b32_e32 v39, v48, v39
	s_waitcnt lgkmcnt(0)
	v_add_nc_u32_e32 v3, v3, v88
	v_lshlrev_b64 v[45:46], 3, v[3:4]
	v_add_co_u32 v45, s35, s44, v45
	v_add_co_ci_u32_e64 v46, null, s45, v46, s35
	global_store_dwordx2 v[45:46], v[39:40], off
	s_or_b32 exec_lo, exec_lo, s36
	v_cmp_lt_u32_e64 s35, v89, v169
	s_and_saveexec_b32 s37, s35
	s_cbranch_execz .LBB1222_483
.LBB1222_551:                           ;   in Loop: Header=BB1222_390 Depth=2
	ds_read_b64 v[39:40], v108 offset:25088
	s_waitcnt lgkmcnt(0)
	v_cmp_ne_u64_e64 s36, s[46:47], v[39:40]
	v_cndmask_b32_e64 v46, 0x80000000, v40, s36
	v_cndmask_b32_e64 v45, 0, v39, s36
	v_cmp_lt_i64_e64 s36, -1, v[39:40]
	v_lshrrev_b64 v[45:46], s63, v[45:46]
	v_cndmask_b32_e64 v47, 0x80000000, -1, s36
	v_and_b32_e32 v3, s65, v45
	v_ashrrev_i32_e32 v45, 31, v40
	v_xor_b32_e32 v40, v47, v40
	v_lshlrev_b32_e32 v3, 2, v3
	v_not_b32_e32 v48, v45
	ds_read_b32 v3, v3
	v_xor_b32_e32 v39, v48, v39
	s_waitcnt lgkmcnt(0)
	v_add_nc_u32_e32 v3, v3, v89
	v_lshlrev_b64 v[45:46], 3, v[3:4]
	v_add_co_u32 v45, s36, s44, v45
	v_add_co_ci_u32_e64 v46, null, s45, v46, s36
	global_store_dwordx2 v[45:46], v[39:40], off
	s_or_b32 exec_lo, exec_lo, s37
	v_cmp_lt_u32_e64 s36, v90, v169
	s_and_saveexec_b32 s38, s36
	s_cbranch_execz .LBB1222_484
.LBB1222_552:                           ;   in Loop: Header=BB1222_390 Depth=2
	ds_read_b64 v[39:40], v108 offset:27136
	s_waitcnt lgkmcnt(0)
	v_cmp_ne_u64_e64 s37, s[46:47], v[39:40]
	v_cndmask_b32_e64 v46, 0x80000000, v40, s37
	v_cndmask_b32_e64 v45, 0, v39, s37
	v_cmp_lt_i64_e64 s37, -1, v[39:40]
	v_lshrrev_b64 v[45:46], s63, v[45:46]
	v_cndmask_b32_e64 v47, 0x80000000, -1, s37
	v_and_b32_e32 v3, s65, v45
	v_ashrrev_i32_e32 v45, 31, v40
	v_xor_b32_e32 v40, v47, v40
	v_lshlrev_b32_e32 v3, 2, v3
	v_not_b32_e32 v48, v45
	ds_read_b32 v3, v3
	v_xor_b32_e32 v39, v48, v39
	s_waitcnt lgkmcnt(0)
	v_add_nc_u32_e32 v3, v3, v90
	v_lshlrev_b64 v[45:46], 3, v[3:4]
	v_add_co_u32 v45, s37, s44, v45
	v_add_co_ci_u32_e64 v46, null, s45, v46, s37
	global_store_dwordx2 v[45:46], v[39:40], off
	s_or_b32 exec_lo, exec_lo, s38
	v_cmp_lt_u32_e64 s37, v91, v169
	s_and_saveexec_b32 s39, s37
	s_cbranch_execz .LBB1222_485
.LBB1222_553:                           ;   in Loop: Header=BB1222_390 Depth=2
	ds_read_b64 v[39:40], v108 offset:29184
	s_waitcnt lgkmcnt(0)
	v_cmp_ne_u64_e64 s38, s[46:47], v[39:40]
	v_cndmask_b32_e64 v46, 0x80000000, v40, s38
	v_cndmask_b32_e64 v45, 0, v39, s38
	v_cmp_lt_i64_e64 s38, -1, v[39:40]
	v_lshrrev_b64 v[45:46], s63, v[45:46]
	v_cndmask_b32_e64 v47, 0x80000000, -1, s38
	v_and_b32_e32 v3, s65, v45
	v_ashrrev_i32_e32 v45, 31, v40
	v_xor_b32_e32 v40, v47, v40
	v_lshlrev_b32_e32 v3, 2, v3
	v_not_b32_e32 v48, v45
	ds_read_b32 v3, v3
	v_xor_b32_e32 v39, v48, v39
	s_waitcnt lgkmcnt(0)
	v_add_nc_u32_e32 v3, v3, v91
	v_lshlrev_b64 v[45:46], 3, v[3:4]
	v_add_co_u32 v45, s38, s44, v45
	v_add_co_ci_u32_e64 v46, null, s45, v46, s38
	global_store_dwordx2 v[45:46], v[39:40], off
	s_or_b32 exec_lo, exec_lo, s39
	v_cmp_lt_u32_e64 s38, v92, v169
	s_and_saveexec_b32 s68, s38
	s_cbranch_execnz .LBB1222_486
	s_branch .LBB1222_487
.LBB1222_554:                           ;   in Loop: Header=BB1222_390 Depth=2
	global_load_dwordx2 v[37:38], v[39:40], off
	s_or_b32 exec_lo, exec_lo, s39
	s_mov_b32 s56, exec_lo
	v_cmpx_lt_u32_e64 v133, v169
	s_cbranch_execz .LBB1222_489
.LBB1222_555:                           ;   in Loop: Header=BB1222_390 Depth=2
	global_load_dwordx2 v[35:36], v[39:40], off offset:256
	s_or_b32 exec_lo, exec_lo, s56
	s_mov_b32 s56, exec_lo
	v_cmpx_lt_u32_e64 v134, v169
	s_cbranch_execz .LBB1222_490
.LBB1222_556:                           ;   in Loop: Header=BB1222_390 Depth=2
	global_load_dwordx2 v[33:34], v[39:40], off offset:512
	s_or_b32 exec_lo, exec_lo, s56
	s_mov_b32 s56, exec_lo
	v_cmpx_lt_u32_e64 v135, v169
	s_cbranch_execz .LBB1222_491
.LBB1222_557:                           ;   in Loop: Header=BB1222_390 Depth=2
	global_load_dwordx2 v[31:32], v[39:40], off offset:768
	s_or_b32 exec_lo, exec_lo, s56
	s_mov_b32 s56, exec_lo
	v_cmpx_lt_u32_e64 v136, v169
	s_cbranch_execz .LBB1222_492
.LBB1222_558:                           ;   in Loop: Header=BB1222_390 Depth=2
	global_load_dwordx2 v[29:30], v[39:40], off offset:1024
	s_or_b32 exec_lo, exec_lo, s56
	s_mov_b32 s56, exec_lo
	v_cmpx_lt_u32_e64 v137, v169
	s_cbranch_execz .LBB1222_493
.LBB1222_559:                           ;   in Loop: Header=BB1222_390 Depth=2
	global_load_dwordx2 v[25:26], v[39:40], off offset:1280
	s_or_b32 exec_lo, exec_lo, s56
	s_mov_b32 s56, exec_lo
	v_cmpx_lt_u32_e64 v138, v169
	s_cbranch_execz .LBB1222_494
.LBB1222_560:                           ;   in Loop: Header=BB1222_390 Depth=2
	global_load_dwordx2 v[21:22], v[39:40], off offset:1536
	s_or_b32 exec_lo, exec_lo, s56
	s_mov_b32 s56, exec_lo
	v_cmpx_lt_u32_e64 v139, v169
	s_cbranch_execz .LBB1222_495
.LBB1222_561:                           ;   in Loop: Header=BB1222_390 Depth=2
	global_load_dwordx2 v[17:18], v[39:40], off offset:1792
	s_or_b32 exec_lo, exec_lo, s56
	s_mov_b32 s56, exec_lo
	v_cmpx_lt_u32_e64 v140, v169
	s_cbranch_execz .LBB1222_496
.LBB1222_562:                           ;   in Loop: Header=BB1222_390 Depth=2
	v_add_co_u32 v27, s39, 0x800, v39
	v_add_co_ci_u32_e64 v28, null, 0, v40, s39
	global_load_dwordx2 v[27:28], v[27:28], off
	s_or_b32 exec_lo, exec_lo, s56
	s_mov_b32 s56, exec_lo
	v_cmpx_lt_u32_e64 v141, v169
	s_cbranch_execz .LBB1222_497
.LBB1222_563:                           ;   in Loop: Header=BB1222_390 Depth=2
	v_add_co_u32 v23, s39, 0x800, v39
	v_add_co_ci_u32_e64 v24, null, 0, v40, s39
	global_load_dwordx2 v[23:24], v[23:24], off offset:256
	s_or_b32 exec_lo, exec_lo, s56
	s_mov_b32 s56, exec_lo
	v_cmpx_lt_u32_e64 v142, v169
	s_cbranch_execz .LBB1222_498
.LBB1222_564:                           ;   in Loop: Header=BB1222_390 Depth=2
	v_add_co_u32 v19, s39, 0x800, v39
	v_add_co_ci_u32_e64 v20, null, 0, v40, s39
	global_load_dwordx2 v[19:20], v[19:20], off offset:512
	s_or_b32 exec_lo, exec_lo, s56
	s_mov_b32 s56, exec_lo
	v_cmpx_lt_u32_e64 v143, v169
	s_cbranch_execz .LBB1222_499
.LBB1222_565:                           ;   in Loop: Header=BB1222_390 Depth=2
	v_add_co_u32 v15, s39, 0x800, v39
	v_add_co_ci_u32_e64 v16, null, 0, v40, s39
	global_load_dwordx2 v[15:16], v[15:16], off offset:768
	s_or_b32 exec_lo, exec_lo, s56
	s_mov_b32 s56, exec_lo
	v_cmpx_lt_u32_e64 v144, v169
	s_cbranch_execz .LBB1222_500
.LBB1222_566:                           ;   in Loop: Header=BB1222_390 Depth=2
	v_add_co_u32 v13, s39, 0x800, v39
	v_add_co_ci_u32_e64 v14, null, 0, v40, s39
	global_load_dwordx2 v[13:14], v[13:14], off offset:1024
	s_or_b32 exec_lo, exec_lo, s56
	s_mov_b32 s56, exec_lo
	v_cmpx_lt_u32_e64 v145, v169
	s_cbranch_execz .LBB1222_501
.LBB1222_567:                           ;   in Loop: Header=BB1222_390 Depth=2
	v_add_co_u32 v11, s39, 0x800, v39
	v_add_co_ci_u32_e64 v12, null, 0, v40, s39
	global_load_dwordx2 v[11:12], v[11:12], off offset:1280
	s_or_b32 exec_lo, exec_lo, s56
	s_mov_b32 s56, exec_lo
	v_cmpx_lt_u32_e64 v146, v169
	s_cbranch_execz .LBB1222_502
.LBB1222_568:                           ;   in Loop: Header=BB1222_390 Depth=2
	v_add_co_u32 v9, s39, 0x800, v39
	v_add_co_ci_u32_e64 v10, null, 0, v40, s39
	global_load_dwordx2 v[9:10], v[9:10], off offset:1536
	s_or_b32 exec_lo, exec_lo, s56
	s_mov_b32 s56, exec_lo
	v_cmpx_lt_u32_e64 v147, v169
	s_cbranch_execz .LBB1222_503
.LBB1222_569:                           ;   in Loop: Header=BB1222_390 Depth=2
	v_add_co_u32 v7, s39, 0x800, v39
	v_add_co_ci_u32_e64 v8, null, 0, v40, s39
	global_load_dwordx2 v[7:8], v[7:8], off offset:1792
	s_or_b32 exec_lo, exec_lo, s56
	s_and_saveexec_b32 s56, vcc_lo
	s_cbranch_execz .LBB1222_504
.LBB1222_570:                           ;   in Loop: Header=BB1222_390 Depth=2
	ds_read_b64 v[39:40], v108 offset:512
	s_waitcnt lgkmcnt(0)
	v_cmp_ne_u64_e64 s39, s[46:47], v[39:40]
	v_cndmask_b32_e64 v40, 0x80000000, v40, s39
	v_cndmask_b32_e64 v39, 0, v39, s39
	v_lshrrev_b64 v[39:40], s63, v[39:40]
	v_and_b32_e32 v167, s65, v39
	s_or_b32 exec_lo, exec_lo, s56
	s_and_saveexec_b32 s56, s22
	s_cbranch_execz .LBB1222_505
.LBB1222_571:                           ;   in Loop: Header=BB1222_390 Depth=2
	ds_read_b64 v[39:40], v108 offset:2560
	s_waitcnt lgkmcnt(0)
	v_cmp_ne_u64_e64 s39, s[46:47], v[39:40]
	v_cndmask_b32_e64 v40, 0x80000000, v40, s39
	v_cndmask_b32_e64 v39, 0, v39, s39
	v_lshrrev_b64 v[39:40], s63, v[39:40]
	v_and_b32_e32 v166, s65, v39
	s_or_b32 exec_lo, exec_lo, s56
	s_and_saveexec_b32 s56, s23
	s_cbranch_execz .LBB1222_506
.LBB1222_572:                           ;   in Loop: Header=BB1222_390 Depth=2
	ds_read_b64 v[39:40], v108 offset:4608
	s_waitcnt lgkmcnt(0)
	v_cmp_ne_u64_e64 s39, s[46:47], v[39:40]
	v_cndmask_b32_e64 v40, 0x80000000, v40, s39
	v_cndmask_b32_e64 v39, 0, v39, s39
	v_lshrrev_b64 v[39:40], s63, v[39:40]
	v_and_b32_e32 v165, s65, v39
	s_or_b32 exec_lo, exec_lo, s56
	s_and_saveexec_b32 s56, s24
	s_cbranch_execz .LBB1222_507
.LBB1222_573:                           ;   in Loop: Header=BB1222_390 Depth=2
	ds_read_b64 v[39:40], v108 offset:6656
	s_waitcnt lgkmcnt(0)
	v_cmp_ne_u64_e64 s39, s[46:47], v[39:40]
	v_cndmask_b32_e64 v40, 0x80000000, v40, s39
	v_cndmask_b32_e64 v39, 0, v39, s39
	v_lshrrev_b64 v[39:40], s63, v[39:40]
	v_and_b32_e32 v164, s65, v39
	s_or_b32 exec_lo, exec_lo, s56
	s_and_saveexec_b32 s56, s25
	s_cbranch_execz .LBB1222_508
.LBB1222_574:                           ;   in Loop: Header=BB1222_390 Depth=2
	ds_read_b64 v[39:40], v108 offset:8704
	s_waitcnt lgkmcnt(0)
	v_cmp_ne_u64_e64 s39, s[46:47], v[39:40]
	v_cndmask_b32_e64 v40, 0x80000000, v40, s39
	v_cndmask_b32_e64 v39, 0, v39, s39
	v_lshrrev_b64 v[39:40], s63, v[39:40]
	v_and_b32_e32 v163, s65, v39
	s_or_b32 exec_lo, exec_lo, s56
	s_and_saveexec_b32 s56, s26
	s_cbranch_execz .LBB1222_509
.LBB1222_575:                           ;   in Loop: Header=BB1222_390 Depth=2
	ds_read_b64 v[39:40], v108 offset:10752
	s_waitcnt lgkmcnt(0)
	v_cmp_ne_u64_e64 s39, s[46:47], v[39:40]
	v_cndmask_b32_e64 v40, 0x80000000, v40, s39
	v_cndmask_b32_e64 v39, 0, v39, s39
	v_lshrrev_b64 v[39:40], s63, v[39:40]
	v_and_b32_e32 v162, s65, v39
	s_or_b32 exec_lo, exec_lo, s56
	s_and_saveexec_b32 s56, s27
	s_cbranch_execz .LBB1222_510
.LBB1222_576:                           ;   in Loop: Header=BB1222_390 Depth=2
	ds_read_b64 v[39:40], v108 offset:12800
	s_waitcnt lgkmcnt(0)
	v_cmp_ne_u64_e64 s39, s[46:47], v[39:40]
	v_cndmask_b32_e64 v40, 0x80000000, v40, s39
	v_cndmask_b32_e64 v39, 0, v39, s39
	v_lshrrev_b64 v[39:40], s63, v[39:40]
	v_and_b32_e32 v161, s65, v39
	s_or_b32 exec_lo, exec_lo, s56
	s_and_saveexec_b32 s56, s28
	s_cbranch_execz .LBB1222_511
.LBB1222_577:                           ;   in Loop: Header=BB1222_390 Depth=2
	ds_read_b64 v[39:40], v108 offset:14848
	s_waitcnt lgkmcnt(0)
	v_cmp_ne_u64_e64 s39, s[46:47], v[39:40]
	v_cndmask_b32_e64 v40, 0x80000000, v40, s39
	v_cndmask_b32_e64 v39, 0, v39, s39
	v_lshrrev_b64 v[39:40], s63, v[39:40]
	v_and_b32_e32 v160, s65, v39
	s_or_b32 exec_lo, exec_lo, s56
	s_and_saveexec_b32 s56, s30
	s_cbranch_execz .LBB1222_512
.LBB1222_578:                           ;   in Loop: Header=BB1222_390 Depth=2
	ds_read_b64 v[39:40], v108 offset:16896
	s_waitcnt lgkmcnt(0)
	v_cmp_ne_u64_e64 s39, s[46:47], v[39:40]
	v_cndmask_b32_e64 v40, 0x80000000, v40, s39
	v_cndmask_b32_e64 v39, 0, v39, s39
	v_lshrrev_b64 v[39:40], s63, v[39:40]
	v_and_b32_e32 v159, s65, v39
	s_or_b32 exec_lo, exec_lo, s56
	s_and_saveexec_b32 s56, s31
	s_cbranch_execz .LBB1222_513
.LBB1222_579:                           ;   in Loop: Header=BB1222_390 Depth=2
	ds_read_b64 v[39:40], v108 offset:18944
	s_waitcnt lgkmcnt(0)
	v_cmp_ne_u64_e64 s39, s[46:47], v[39:40]
	v_cndmask_b32_e64 v40, 0x80000000, v40, s39
	v_cndmask_b32_e64 v39, 0, v39, s39
	v_lshrrev_b64 v[39:40], s63, v[39:40]
	v_and_b32_e32 v157, s65, v39
	s_or_b32 exec_lo, exec_lo, s56
	s_and_saveexec_b32 s56, s33
	s_cbranch_execz .LBB1222_514
.LBB1222_580:                           ;   in Loop: Header=BB1222_390 Depth=2
	ds_read_b64 v[39:40], v108 offset:20992
	s_waitcnt lgkmcnt(0)
	v_cmp_ne_u64_e64 s39, s[46:47], v[39:40]
	v_cndmask_b32_e64 v40, 0x80000000, v40, s39
	v_cndmask_b32_e64 v39, 0, v39, s39
	v_lshrrev_b64 v[39:40], s63, v[39:40]
	v_and_b32_e32 v156, s65, v39
	s_or_b32 exec_lo, exec_lo, s56
	s_and_saveexec_b32 s56, s34
	s_cbranch_execz .LBB1222_515
.LBB1222_581:                           ;   in Loop: Header=BB1222_390 Depth=2
	ds_read_b64 v[39:40], v108 offset:23040
	s_waitcnt lgkmcnt(0)
	v_cmp_ne_u64_e64 s39, s[46:47], v[39:40]
	v_cndmask_b32_e64 v40, 0x80000000, v40, s39
	v_cndmask_b32_e64 v39, 0, v39, s39
	v_lshrrev_b64 v[39:40], s63, v[39:40]
	v_and_b32_e32 v155, s65, v39
	s_or_b32 exec_lo, exec_lo, s56
	s_and_saveexec_b32 s56, s35
	s_cbranch_execz .LBB1222_516
.LBB1222_582:                           ;   in Loop: Header=BB1222_390 Depth=2
	ds_read_b64 v[39:40], v108 offset:25088
	s_waitcnt lgkmcnt(0)
	v_cmp_ne_u64_e64 s39, s[46:47], v[39:40]
	v_cndmask_b32_e64 v40, 0x80000000, v40, s39
	v_cndmask_b32_e64 v39, 0, v39, s39
	v_lshrrev_b64 v[39:40], s63, v[39:40]
	v_and_b32_e32 v154, s65, v39
	s_or_b32 exec_lo, exec_lo, s56
	s_and_saveexec_b32 s56, s36
	s_cbranch_execz .LBB1222_517
.LBB1222_583:                           ;   in Loop: Header=BB1222_390 Depth=2
	ds_read_b64 v[39:40], v108 offset:27136
	s_waitcnt lgkmcnt(0)
	v_cmp_ne_u64_e64 s39, s[46:47], v[39:40]
	v_cndmask_b32_e64 v40, 0x80000000, v40, s39
	v_cndmask_b32_e64 v39, 0, v39, s39
	v_lshrrev_b64 v[39:40], s63, v[39:40]
	v_and_b32_e32 v153, s65, v39
	s_or_b32 exec_lo, exec_lo, s56
	s_and_saveexec_b32 s56, s37
	s_cbranch_execz .LBB1222_518
.LBB1222_584:                           ;   in Loop: Header=BB1222_390 Depth=2
	ds_read_b64 v[39:40], v108 offset:29184
	s_waitcnt lgkmcnt(0)
	v_cmp_ne_u64_e64 s39, s[46:47], v[39:40]
	v_cndmask_b32_e64 v40, 0x80000000, v40, s39
	v_cndmask_b32_e64 v39, 0, v39, s39
	v_lshrrev_b64 v[39:40], s63, v[39:40]
	v_and_b32_e32 v152, s65, v39
	s_or_b32 exec_lo, exec_lo, s56
	s_and_saveexec_b32 s56, s38
	s_cbranch_execnz .LBB1222_519
	s_branch .LBB1222_520
.LBB1222_585:                           ;   in Loop: Header=BB1222_390 Depth=2
	v_lshlrev_b32_e32 v3, 2, v167
	ds_read_b32 v3, v3
	ds_read_b64 v[39:40], v108 offset:512
	s_waitcnt lgkmcnt(1)
	v_add_nc_u32_e32 v3, v3, v0
	v_lshlrev_b64 v[41:42], 3, v[3:4]
	v_add_co_u32 v41, vcc_lo, s50, v41
	v_add_co_ci_u32_e64 v42, null, s51, v42, vcc_lo
	s_waitcnt lgkmcnt(0)
	global_store_dwordx2 v[41:42], v[39:40], off
	s_or_b32 exec_lo, exec_lo, s39
	s_and_saveexec_b32 s39, s22
	s_cbranch_execz .LBB1222_522
.LBB1222_586:                           ;   in Loop: Header=BB1222_390 Depth=2
	v_lshlrev_b32_e32 v3, 2, v166
	ds_read_b32 v3, v3
	ds_read_b64 v[39:40], v108 offset:2560
	s_waitcnt lgkmcnt(1)
	v_add_nc_u32_e32 v3, v3, v76
	v_lshlrev_b64 v[41:42], 3, v[3:4]
	v_add_co_u32 v41, vcc_lo, s50, v41
	v_add_co_ci_u32_e64 v42, null, s51, v42, vcc_lo
	s_waitcnt lgkmcnt(0)
	global_store_dwordx2 v[41:42], v[39:40], off
	s_or_b32 exec_lo, exec_lo, s39
	s_and_saveexec_b32 s22, s23
	s_cbranch_execz .LBB1222_523
.LBB1222_587:                           ;   in Loop: Header=BB1222_390 Depth=2
	v_lshlrev_b32_e32 v3, 2, v165
	ds_read_b32 v3, v3
	ds_read_b64 v[39:40], v108 offset:4608
	s_waitcnt lgkmcnt(1)
	v_add_nc_u32_e32 v3, v3, v79
	v_lshlrev_b64 v[41:42], 3, v[3:4]
	v_add_co_u32 v41, vcc_lo, s50, v41
	v_add_co_ci_u32_e64 v42, null, s51, v42, vcc_lo
	s_waitcnt lgkmcnt(0)
	global_store_dwordx2 v[41:42], v[39:40], off
	s_or_b32 exec_lo, exec_lo, s22
	s_and_saveexec_b32 s22, s24
	s_cbranch_execz .LBB1222_524
.LBB1222_588:                           ;   in Loop: Header=BB1222_390 Depth=2
	v_lshlrev_b32_e32 v3, 2, v164
	ds_read_b32 v3, v3
	ds_read_b64 v[39:40], v108 offset:6656
	s_waitcnt lgkmcnt(1)
	v_add_nc_u32_e32 v3, v3, v80
	v_lshlrev_b64 v[41:42], 3, v[3:4]
	v_add_co_u32 v41, vcc_lo, s50, v41
	v_add_co_ci_u32_e64 v42, null, s51, v42, vcc_lo
	s_waitcnt lgkmcnt(0)
	global_store_dwordx2 v[41:42], v[39:40], off
	s_or_b32 exec_lo, exec_lo, s22
	s_and_saveexec_b32 s22, s25
	s_cbranch_execz .LBB1222_525
.LBB1222_589:                           ;   in Loop: Header=BB1222_390 Depth=2
	v_lshlrev_b32_e32 v3, 2, v163
	ds_read_b32 v3, v3
	ds_read_b64 v[39:40], v108 offset:8704
	s_waitcnt lgkmcnt(1)
	v_add_nc_u32_e32 v3, v3, v81
	v_lshlrev_b64 v[41:42], 3, v[3:4]
	v_add_co_u32 v41, vcc_lo, s50, v41
	v_add_co_ci_u32_e64 v42, null, s51, v42, vcc_lo
	s_waitcnt lgkmcnt(0)
	global_store_dwordx2 v[41:42], v[39:40], off
	s_or_b32 exec_lo, exec_lo, s22
	s_and_saveexec_b32 s22, s26
	s_cbranch_execz .LBB1222_526
.LBB1222_590:                           ;   in Loop: Header=BB1222_390 Depth=2
	v_lshlrev_b32_e32 v3, 2, v162
	ds_read_b32 v3, v3
	ds_read_b64 v[39:40], v108 offset:10752
	s_waitcnt lgkmcnt(1)
	v_add_nc_u32_e32 v3, v3, v82
	v_lshlrev_b64 v[41:42], 3, v[3:4]
	v_add_co_u32 v41, vcc_lo, s50, v41
	v_add_co_ci_u32_e64 v42, null, s51, v42, vcc_lo
	s_waitcnt lgkmcnt(0)
	global_store_dwordx2 v[41:42], v[39:40], off
	s_or_b32 exec_lo, exec_lo, s22
	s_and_saveexec_b32 s22, s27
	s_cbranch_execz .LBB1222_527
.LBB1222_591:                           ;   in Loop: Header=BB1222_390 Depth=2
	v_lshlrev_b32_e32 v3, 2, v161
	ds_read_b32 v3, v3
	ds_read_b64 v[39:40], v108 offset:12800
	s_waitcnt lgkmcnt(1)
	v_add_nc_u32_e32 v3, v3, v83
	v_lshlrev_b64 v[41:42], 3, v[3:4]
	v_add_co_u32 v41, vcc_lo, s50, v41
	v_add_co_ci_u32_e64 v42, null, s51, v42, vcc_lo
	s_waitcnt lgkmcnt(0)
	global_store_dwordx2 v[41:42], v[39:40], off
	s_or_b32 exec_lo, exec_lo, s22
	s_and_saveexec_b32 s22, s28
	s_cbranch_execz .LBB1222_528
.LBB1222_592:                           ;   in Loop: Header=BB1222_390 Depth=2
	v_lshlrev_b32_e32 v3, 2, v160
	ds_read_b32 v3, v3
	ds_read_b64 v[39:40], v108 offset:14848
	s_waitcnt lgkmcnt(1)
	v_add_nc_u32_e32 v3, v3, v84
	v_lshlrev_b64 v[41:42], 3, v[3:4]
	v_add_co_u32 v41, vcc_lo, s50, v41
	v_add_co_ci_u32_e64 v42, null, s51, v42, vcc_lo
	s_waitcnt lgkmcnt(0)
	global_store_dwordx2 v[41:42], v[39:40], off
	s_or_b32 exec_lo, exec_lo, s22
	s_and_saveexec_b32 s22, s30
	s_cbranch_execz .LBB1222_529
.LBB1222_593:                           ;   in Loop: Header=BB1222_390 Depth=2
	v_lshlrev_b32_e32 v3, 2, v159
	ds_read_b32 v3, v3
	ds_read_b64 v[39:40], v108 offset:16896
	s_waitcnt lgkmcnt(1)
	v_add_nc_u32_e32 v3, v3, v85
	v_lshlrev_b64 v[41:42], 3, v[3:4]
	v_add_co_u32 v41, vcc_lo, s50, v41
	v_add_co_ci_u32_e64 v42, null, s51, v42, vcc_lo
	s_waitcnt lgkmcnt(0)
	global_store_dwordx2 v[41:42], v[39:40], off
	s_or_b32 exec_lo, exec_lo, s22
	s_and_saveexec_b32 s22, s31
	s_cbranch_execz .LBB1222_530
.LBB1222_594:                           ;   in Loop: Header=BB1222_390 Depth=2
	v_lshlrev_b32_e32 v3, 2, v157
	ds_read_b32 v3, v3
	ds_read_b64 v[39:40], v108 offset:18944
	s_waitcnt lgkmcnt(1)
	v_add_nc_u32_e32 v3, v3, v86
	v_lshlrev_b64 v[41:42], 3, v[3:4]
	v_add_co_u32 v41, vcc_lo, s50, v41
	v_add_co_ci_u32_e64 v42, null, s51, v42, vcc_lo
	s_waitcnt lgkmcnt(0)
	global_store_dwordx2 v[41:42], v[39:40], off
	s_or_b32 exec_lo, exec_lo, s22
	s_and_saveexec_b32 s22, s33
	s_cbranch_execz .LBB1222_531
.LBB1222_595:                           ;   in Loop: Header=BB1222_390 Depth=2
	v_lshlrev_b32_e32 v3, 2, v156
	ds_read_b32 v3, v3
	ds_read_b64 v[39:40], v108 offset:20992
	s_waitcnt lgkmcnt(1)
	v_add_nc_u32_e32 v3, v3, v87
	v_lshlrev_b64 v[41:42], 3, v[3:4]
	v_add_co_u32 v41, vcc_lo, s50, v41
	v_add_co_ci_u32_e64 v42, null, s51, v42, vcc_lo
	s_waitcnt lgkmcnt(0)
	global_store_dwordx2 v[41:42], v[39:40], off
	s_or_b32 exec_lo, exec_lo, s22
	s_and_saveexec_b32 s22, s34
	s_cbranch_execz .LBB1222_532
.LBB1222_596:                           ;   in Loop: Header=BB1222_390 Depth=2
	v_lshlrev_b32_e32 v3, 2, v155
	ds_read_b32 v3, v3
	ds_read_b64 v[39:40], v108 offset:23040
	s_waitcnt lgkmcnt(1)
	v_add_nc_u32_e32 v3, v3, v88
	v_lshlrev_b64 v[41:42], 3, v[3:4]
	v_add_co_u32 v41, vcc_lo, s50, v41
	v_add_co_ci_u32_e64 v42, null, s51, v42, vcc_lo
	s_waitcnt lgkmcnt(0)
	global_store_dwordx2 v[41:42], v[39:40], off
	s_or_b32 exec_lo, exec_lo, s22
	s_and_saveexec_b32 s22, s35
	s_cbranch_execz .LBB1222_533
.LBB1222_597:                           ;   in Loop: Header=BB1222_390 Depth=2
	v_lshlrev_b32_e32 v3, 2, v154
	ds_read_b32 v3, v3
	ds_read_b64 v[39:40], v108 offset:25088
	s_waitcnt lgkmcnt(1)
	v_add_nc_u32_e32 v3, v3, v89
	v_lshlrev_b64 v[41:42], 3, v[3:4]
	v_add_co_u32 v41, vcc_lo, s50, v41
	v_add_co_ci_u32_e64 v42, null, s51, v42, vcc_lo
	s_waitcnt lgkmcnt(0)
	global_store_dwordx2 v[41:42], v[39:40], off
	s_or_b32 exec_lo, exec_lo, s22
	s_and_saveexec_b32 s22, s36
	s_cbranch_execz .LBB1222_534
.LBB1222_598:                           ;   in Loop: Header=BB1222_390 Depth=2
	v_lshlrev_b32_e32 v3, 2, v153
	ds_read_b32 v3, v3
	ds_read_b64 v[39:40], v108 offset:27136
	s_waitcnt lgkmcnt(1)
	v_add_nc_u32_e32 v3, v3, v90
	v_lshlrev_b64 v[41:42], 3, v[3:4]
	v_add_co_u32 v41, vcc_lo, s50, v41
	v_add_co_ci_u32_e64 v42, null, s51, v42, vcc_lo
	s_waitcnt lgkmcnt(0)
	global_store_dwordx2 v[41:42], v[39:40], off
	s_or_b32 exec_lo, exec_lo, s22
	s_and_saveexec_b32 s22, s37
	s_cbranch_execz .LBB1222_535
.LBB1222_599:                           ;   in Loop: Header=BB1222_390 Depth=2
	v_lshlrev_b32_e32 v3, 2, v152
	ds_read_b32 v3, v3
	ds_read_b64 v[39:40], v108 offset:29184
	s_waitcnt lgkmcnt(1)
	v_add_nc_u32_e32 v3, v3, v91
	v_lshlrev_b64 v[41:42], 3, v[3:4]
	v_add_co_u32 v41, vcc_lo, s50, v41
	v_add_co_ci_u32_e64 v42, null, s51, v42, vcc_lo
	s_waitcnt lgkmcnt(0)
	global_store_dwordx2 v[41:42], v[39:40], off
	s_or_b32 exec_lo, exec_lo, s22
	s_and_saveexec_b32 s22, s38
	s_cbranch_execnz .LBB1222_536
	s_branch .LBB1222_537
.LBB1222_600:                           ;   in Loop: Header=BB1222_12 Depth=1
	s_waitcnt lgkmcnt(0)
	s_barrier
.LBB1222_601:                           ;   in Loop: Header=BB1222_12 Depth=1
	s_mov_b32 s13, 0
.LBB1222_602:                           ;   in Loop: Header=BB1222_12 Depth=1
	s_andn2_b32 vcc_lo, exec_lo, s13
	s_cbranch_vccnz .LBB1222_11
; %bb.603:                              ;   in Loop: Header=BB1222_12 Depth=1
	s_lshl_b32 s13, -1, s64
	s_and_b32 vcc_lo, exec_lo, s55
	s_not_b32 s64, s13
	s_mov_b32 s13, -1
	s_cbranch_vccz .LBB1222_897
; %bb.604:                              ;   in Loop: Header=BB1222_12 Depth=1
	s_mov_b32 s13, s62
	s_mov_b32 s56, s60
	s_barrier
	buffer_gl0_inv
                                        ; implicit-def: $vgpr7_vgpr8
                                        ; implicit-def: $vgpr9_vgpr10
                                        ; implicit-def: $vgpr11_vgpr12
                                        ; implicit-def: $vgpr13_vgpr14
                                        ; implicit-def: $vgpr15_vgpr16
                                        ; implicit-def: $vgpr17_vgpr18
                                        ; implicit-def: $vgpr19_vgpr20
                                        ; implicit-def: $vgpr21_vgpr22
                                        ; implicit-def: $vgpr23_vgpr24
                                        ; implicit-def: $vgpr25_vgpr26
                                        ; implicit-def: $vgpr27_vgpr28
                                        ; implicit-def: $vgpr29_vgpr30
                                        ; implicit-def: $vgpr31_vgpr32
                                        ; implicit-def: $vgpr33_vgpr34
                                        ; implicit-def: $vgpr35_vgpr36
                                        ; implicit-def: $vgpr37_vgpr38
	s_branch .LBB1222_606
.LBB1222_605:                           ;   in Loop: Header=BB1222_606 Depth=2
	s_or_b32 exec_lo, exec_lo, s14
	s_addk_i32 s13, 0xf000
	s_cmp_ge_u32 s16, s61
	s_mov_b32 s56, s16
	s_cbranch_scc1 .LBB1222_674
.LBB1222_606:                           ;   Parent Loop BB1222_12 Depth=1
                                        ; =>  This Inner Loop Header: Depth=2
	s_add_i32 s16, s56, 0x1000
	s_mov_b32 s14, -1
	s_cmp_gt_u32 s16, s61
                                        ; implicit-def: $vgpr49_vgpr50
                                        ; implicit-def: $vgpr53_vgpr54
                                        ; implicit-def: $vgpr57_vgpr58
                                        ; implicit-def: $vgpr39_vgpr40
                                        ; implicit-def: $vgpr41_vgpr42
                                        ; implicit-def: $vgpr43_vgpr44
                                        ; implicit-def: $vgpr45_vgpr46
                                        ; implicit-def: $vgpr47_vgpr48
                                        ; implicit-def: $vgpr51_vgpr52
                                        ; implicit-def: $vgpr55_vgpr56
                                        ; implicit-def: $vgpr59_vgpr60
                                        ; implicit-def: $vgpr61_vgpr62
                                        ; implicit-def: $vgpr63_vgpr64
                                        ; implicit-def: $vgpr65_vgpr66
                                        ; implicit-def: $vgpr67_vgpr68
                                        ; implicit-def: $vgpr69_vgpr70
	s_cbranch_scc1 .LBB1222_608
; %bb.607:                              ;   in Loop: Header=BB1222_606 Depth=2
	s_lshl_b64 s[14:15], s[56:57], 3
	v_add_co_u32 v49, vcc_lo, v115, s14
	v_add_co_ci_u32_e64 v50, null, s15, v116, vcc_lo
	s_mov_b32 s14, 0
	v_add_co_u32 v57, vcc_lo, v49, 0x1000
	v_add_co_ci_u32_e64 v58, null, 0, v50, vcc_lo
	v_add_co_u32 v41, vcc_lo, v49, 0x2000
	v_add_co_ci_u32_e64 v42, null, 0, v50, vcc_lo
	;; [unrolled: 2-line block ×5, first 2 shown]
	s_clause 0x7
	global_load_dwordx2 v[39:40], v[41:42], off offset:-2048
	global_load_dwordx2 v[41:42], v[41:42], off
	global_load_dwordx2 v[43:44], v[45:46], off offset:-2048
	global_load_dwordx2 v[45:46], v[45:46], off
	;; [unrolled: 2-line block ×4, first 2 shown]
	v_add_co_u32 v53, vcc_lo, v49, 0x6000
	v_add_co_ci_u32_e64 v54, null, 0, v50, vcc_lo
	v_add_co_u32 v67, vcc_lo, v49, 0x7000
	v_add_co_ci_u32_e64 v68, null, 0, v50, vcc_lo
	;; [unrolled: 2-line block ×3, first 2 shown]
	s_clause 0x7
	global_load_dwordx2 v[61:62], v[53:54], off offset:-2048
	global_load_dwordx2 v[63:64], v[53:54], off
	global_load_dwordx2 v[65:66], v[67:68], off offset:-2048
	global_load_dwordx2 v[67:68], v[67:68], off
	global_load_dwordx2 v[49:50], v[49:50], off
	global_load_dwordx2 v[53:54], v[57:58], off offset:-2048
	global_load_dwordx2 v[57:58], v[57:58], off
	global_load_dwordx2 v[69:70], v[69:70], off
.LBB1222_608:                           ;   in Loop: Header=BB1222_606 Depth=2
	s_andn2_b32 vcc_lo, exec_lo, s14
	s_movk_i32 s14, 0x1000
	s_cbranch_vccnz .LBB1222_627
; %bb.609:                              ;   in Loop: Header=BB1222_606 Depth=2
	s_lshl_b64 s[14:15], s[56:57], 3
	s_mov_b32 s17, exec_lo
	s_add_u32 s14, s40, s14
	s_addc_u32 s15, s41, s15
	v_cmpx_gt_u32_e64 s13, v0
	s_cbranch_execnz .LBB1222_659
; %bb.610:                              ;   in Loop: Header=BB1222_606 Depth=2
	s_or_b32 exec_lo, exec_lo, s17
	s_mov_b32 s17, exec_lo
	v_cmpx_gt_u32_e64 s13, v76
	s_cbranch_execnz .LBB1222_660
.LBB1222_611:                           ;   in Loop: Header=BB1222_606 Depth=2
	s_or_b32 exec_lo, exec_lo, s17
	s_mov_b32 s17, exec_lo
	v_cmpx_gt_u32_e64 s13, v79
	s_cbranch_execnz .LBB1222_661
.LBB1222_612:                           ;   in Loop: Header=BB1222_606 Depth=2
	s_or_b32 exec_lo, exec_lo, s17
	s_mov_b32 s17, exec_lo
	v_cmpx_gt_u32_e64 s13, v80
	s_cbranch_execnz .LBB1222_662
.LBB1222_613:                           ;   in Loop: Header=BB1222_606 Depth=2
	s_or_b32 exec_lo, exec_lo, s17
	s_mov_b32 s17, exec_lo
	v_cmpx_gt_u32_e64 s13, v81
	s_cbranch_execnz .LBB1222_663
.LBB1222_614:                           ;   in Loop: Header=BB1222_606 Depth=2
	s_or_b32 exec_lo, exec_lo, s17
	s_mov_b32 s17, exec_lo
	v_cmpx_gt_u32_e64 s13, v82
	s_cbranch_execnz .LBB1222_664
.LBB1222_615:                           ;   in Loop: Header=BB1222_606 Depth=2
	s_or_b32 exec_lo, exec_lo, s17
	s_mov_b32 s17, exec_lo
	v_cmpx_gt_u32_e64 s13, v83
	s_cbranch_execnz .LBB1222_665
.LBB1222_616:                           ;   in Loop: Header=BB1222_606 Depth=2
	s_or_b32 exec_lo, exec_lo, s17
	s_mov_b32 s17, exec_lo
	v_cmpx_gt_u32_e64 s13, v84
	s_cbranch_execnz .LBB1222_666
.LBB1222_617:                           ;   in Loop: Header=BB1222_606 Depth=2
	s_or_b32 exec_lo, exec_lo, s17
	s_mov_b32 s17, exec_lo
	v_cmpx_gt_u32_e64 s13, v85
	s_cbranch_execnz .LBB1222_667
.LBB1222_618:                           ;   in Loop: Header=BB1222_606 Depth=2
	s_or_b32 exec_lo, exec_lo, s17
	s_mov_b32 s17, exec_lo
	v_cmpx_gt_u32_e64 s13, v86
	s_cbranch_execnz .LBB1222_668
.LBB1222_619:                           ;   in Loop: Header=BB1222_606 Depth=2
	s_or_b32 exec_lo, exec_lo, s17
	s_mov_b32 s17, exec_lo
	v_cmpx_gt_u32_e64 s13, v87
	s_cbranch_execnz .LBB1222_669
.LBB1222_620:                           ;   in Loop: Header=BB1222_606 Depth=2
	s_or_b32 exec_lo, exec_lo, s17
	s_mov_b32 s17, exec_lo
	v_cmpx_gt_u32_e64 s13, v88
	s_cbranch_execnz .LBB1222_670
.LBB1222_621:                           ;   in Loop: Header=BB1222_606 Depth=2
	s_or_b32 exec_lo, exec_lo, s17
	s_mov_b32 s17, exec_lo
	v_cmpx_gt_u32_e64 s13, v89
	s_cbranch_execnz .LBB1222_671
.LBB1222_622:                           ;   in Loop: Header=BB1222_606 Depth=2
	s_or_b32 exec_lo, exec_lo, s17
	s_mov_b32 s17, exec_lo
	v_cmpx_gt_u32_e64 s13, v90
	s_cbranch_execnz .LBB1222_672
.LBB1222_623:                           ;   in Loop: Header=BB1222_606 Depth=2
	s_or_b32 exec_lo, exec_lo, s17
	s_mov_b32 s17, exec_lo
	v_cmpx_gt_u32_e64 s13, v91
	s_cbranch_execnz .LBB1222_673
.LBB1222_624:                           ;   in Loop: Header=BB1222_606 Depth=2
	s_or_b32 exec_lo, exec_lo, s17
	s_mov_b32 s17, exec_lo
	v_cmpx_gt_u32_e64 s13, v92
	s_cbranch_execz .LBB1222_626
.LBB1222_625:                           ;   in Loop: Header=BB1222_606 Depth=2
	v_lshlrev_b32_e32 v3, 3, v92
	global_load_dwordx2 v[7:8], v3, s[14:15]
.LBB1222_626:                           ;   in Loop: Header=BB1222_606 Depth=2
	s_or_b32 exec_lo, exec_lo, s17
	s_waitcnt vmcnt(0)
	v_mov_b32_e32 v50, v38
	v_mov_b32_e32 v54, v36
	;; [unrolled: 1-line block ×32, first 2 shown]
	s_mov_b32 s14, s13
.LBB1222_627:                           ;   in Loop: Header=BB1222_606 Depth=2
	s_waitcnt vmcnt(0)
	v_mov_b32_e32 v7, v69
	v_mov_b32_e32 v9, v67
	v_mov_b32_e32 v11, v65
	v_mov_b32_e32 v13, v63
	v_mov_b32_e32 v15, v61
	v_mov_b32_e32 v17, v59
	v_mov_b32_e32 v19, v55
	v_mov_b32_e32 v21, v51
	v_mov_b32_e32 v23, v47
	v_mov_b32_e32 v25, v45
	v_mov_b32_e32 v27, v43
	v_mov_b32_e32 v29, v41
	v_mov_b32_e32 v31, v39
	v_mov_b32_e32 v33, v57
	v_mov_b32_e32 v35, v53
	v_mov_b32_e32 v37, v49
	v_mov_b32_e32 v8, v70
	v_mov_b32_e32 v10, v68
	v_mov_b32_e32 v12, v66
	v_mov_b32_e32 v14, v64
	v_mov_b32_e32 v16, v62
	v_mov_b32_e32 v18, v60
	v_mov_b32_e32 v20, v56
	v_mov_b32_e32 v22, v52
	v_mov_b32_e32 v24, v48
	v_mov_b32_e32 v26, v46
	v_mov_b32_e32 v28, v44
	v_mov_b32_e32 v30, v42
	v_mov_b32_e32 v32, v40
	v_mov_b32_e32 v34, v58
	v_mov_b32_e32 v36, v54
	v_mov_b32_e32 v38, v50
	s_mov_b32 s15, exec_lo
	v_cmpx_gt_u32_e64 s14, v0
	s_cbranch_execnz .LBB1222_643
; %bb.628:                              ;   in Loop: Header=BB1222_606 Depth=2
	s_or_b32 exec_lo, exec_lo, s15
	s_mov_b32 s15, exec_lo
	v_cmpx_gt_u32_e64 s14, v76
	s_cbranch_execnz .LBB1222_644
.LBB1222_629:                           ;   in Loop: Header=BB1222_606 Depth=2
	s_or_b32 exec_lo, exec_lo, s15
	s_mov_b32 s15, exec_lo
	v_cmpx_gt_u32_e64 s14, v79
	s_cbranch_execnz .LBB1222_645
.LBB1222_630:                           ;   in Loop: Header=BB1222_606 Depth=2
	s_or_b32 exec_lo, exec_lo, s15
	s_mov_b32 s15, exec_lo
	v_cmpx_gt_u32_e64 s14, v80
	s_cbranch_execnz .LBB1222_646
.LBB1222_631:                           ;   in Loop: Header=BB1222_606 Depth=2
	s_or_b32 exec_lo, exec_lo, s15
	s_mov_b32 s15, exec_lo
	v_cmpx_gt_u32_e64 s14, v81
	s_cbranch_execnz .LBB1222_647
.LBB1222_632:                           ;   in Loop: Header=BB1222_606 Depth=2
	s_or_b32 exec_lo, exec_lo, s15
	s_mov_b32 s15, exec_lo
	v_cmpx_gt_u32_e64 s14, v82
	s_cbranch_execnz .LBB1222_648
.LBB1222_633:                           ;   in Loop: Header=BB1222_606 Depth=2
	s_or_b32 exec_lo, exec_lo, s15
	s_mov_b32 s15, exec_lo
	v_cmpx_gt_u32_e64 s14, v83
	s_cbranch_execnz .LBB1222_649
.LBB1222_634:                           ;   in Loop: Header=BB1222_606 Depth=2
	s_or_b32 exec_lo, exec_lo, s15
	s_mov_b32 s15, exec_lo
	v_cmpx_gt_u32_e64 s14, v84
	s_cbranch_execnz .LBB1222_650
.LBB1222_635:                           ;   in Loop: Header=BB1222_606 Depth=2
	s_or_b32 exec_lo, exec_lo, s15
	s_mov_b32 s15, exec_lo
	v_cmpx_gt_u32_e64 s14, v85
	s_cbranch_execnz .LBB1222_651
.LBB1222_636:                           ;   in Loop: Header=BB1222_606 Depth=2
	s_or_b32 exec_lo, exec_lo, s15
	s_mov_b32 s15, exec_lo
	v_cmpx_gt_u32_e64 s14, v86
	s_cbranch_execnz .LBB1222_652
.LBB1222_637:                           ;   in Loop: Header=BB1222_606 Depth=2
	s_or_b32 exec_lo, exec_lo, s15
	s_mov_b32 s15, exec_lo
	v_cmpx_gt_u32_e64 s14, v87
	s_cbranch_execnz .LBB1222_653
.LBB1222_638:                           ;   in Loop: Header=BB1222_606 Depth=2
	s_or_b32 exec_lo, exec_lo, s15
	s_mov_b32 s15, exec_lo
	v_cmpx_gt_u32_e64 s14, v88
	s_cbranch_execnz .LBB1222_654
.LBB1222_639:                           ;   in Loop: Header=BB1222_606 Depth=2
	s_or_b32 exec_lo, exec_lo, s15
	s_mov_b32 s15, exec_lo
	v_cmpx_gt_u32_e64 s14, v89
	s_cbranch_execnz .LBB1222_655
.LBB1222_640:                           ;   in Loop: Header=BB1222_606 Depth=2
	s_or_b32 exec_lo, exec_lo, s15
	s_mov_b32 s15, exec_lo
	v_cmpx_gt_u32_e64 s14, v90
	s_cbranch_execnz .LBB1222_656
.LBB1222_641:                           ;   in Loop: Header=BB1222_606 Depth=2
	s_or_b32 exec_lo, exec_lo, s15
	s_mov_b32 s15, exec_lo
	v_cmpx_gt_u32_e64 s14, v91
	s_cbranch_execnz .LBB1222_657
.LBB1222_642:                           ;   in Loop: Header=BB1222_606 Depth=2
	s_or_b32 exec_lo, exec_lo, s15
	v_cmp_gt_u32_e32 vcc_lo, s14, v92
	s_and_saveexec_b32 s14, vcc_lo
	s_cbranch_execz .LBB1222_605
	s_branch .LBB1222_658
.LBB1222_643:                           ;   in Loop: Header=BB1222_606 Depth=2
	v_cmp_lt_i64_e32 vcc_lo, -1, v[37:38]
	v_ashrrev_i32_e32 v39, 31, v38
	v_xor_b32_e32 v39, v39, v37
	v_cndmask_b32_e64 v3, -1, 0x80000000, vcc_lo
	v_xor_b32_e32 v40, v3, v38
	v_cmp_ne_u64_e32 vcc_lo, s[46:47], v[39:40]
	v_cndmask_b32_e32 v40, 0x80000000, v40, vcc_lo
	v_cndmask_b32_e32 v39, 0, v39, vcc_lo
	v_lshrrev_b64 v[39:40], s52, v[39:40]
	v_and_b32_e32 v3, s64, v39
	v_lshl_or_b32 v3, v3, 4, v93
	ds_add_u32 v3, v121
	s_or_b32 exec_lo, exec_lo, s15
	s_mov_b32 s15, exec_lo
	v_cmpx_gt_u32_e64 s14, v76
	s_cbranch_execz .LBB1222_629
.LBB1222_644:                           ;   in Loop: Header=BB1222_606 Depth=2
	v_cmp_lt_i64_e32 vcc_lo, -1, v[35:36]
	v_ashrrev_i32_e32 v39, 31, v36
	v_xor_b32_e32 v39, v39, v35
	v_cndmask_b32_e64 v3, -1, 0x80000000, vcc_lo
	v_xor_b32_e32 v40, v3, v36
	v_cmp_ne_u64_e32 vcc_lo, s[46:47], v[39:40]
	v_cndmask_b32_e32 v40, 0x80000000, v40, vcc_lo
	v_cndmask_b32_e32 v39, 0, v39, vcc_lo
	v_lshrrev_b64 v[39:40], s52, v[39:40]
	v_and_b32_e32 v3, s64, v39
	v_lshl_or_b32 v3, v3, 4, v93
	ds_add_u32 v3, v121
	s_or_b32 exec_lo, exec_lo, s15
	s_mov_b32 s15, exec_lo
	v_cmpx_gt_u32_e64 s14, v79
	s_cbranch_execz .LBB1222_630
.LBB1222_645:                           ;   in Loop: Header=BB1222_606 Depth=2
	v_cmp_lt_i64_e32 vcc_lo, -1, v[33:34]
	v_ashrrev_i32_e32 v39, 31, v34
	v_xor_b32_e32 v39, v39, v33
	v_cndmask_b32_e64 v3, -1, 0x80000000, vcc_lo
	v_xor_b32_e32 v40, v3, v34
	v_cmp_ne_u64_e32 vcc_lo, s[46:47], v[39:40]
	v_cndmask_b32_e32 v40, 0x80000000, v40, vcc_lo
	v_cndmask_b32_e32 v39, 0, v39, vcc_lo
	v_lshrrev_b64 v[39:40], s52, v[39:40]
	v_and_b32_e32 v3, s64, v39
	v_lshl_or_b32 v3, v3, 4, v93
	ds_add_u32 v3, v121
	s_or_b32 exec_lo, exec_lo, s15
	s_mov_b32 s15, exec_lo
	v_cmpx_gt_u32_e64 s14, v80
	s_cbranch_execz .LBB1222_631
.LBB1222_646:                           ;   in Loop: Header=BB1222_606 Depth=2
	v_cmp_lt_i64_e32 vcc_lo, -1, v[31:32]
	v_ashrrev_i32_e32 v39, 31, v32
	v_xor_b32_e32 v39, v39, v31
	v_cndmask_b32_e64 v3, -1, 0x80000000, vcc_lo
	v_xor_b32_e32 v40, v3, v32
	v_cmp_ne_u64_e32 vcc_lo, s[46:47], v[39:40]
	v_cndmask_b32_e32 v40, 0x80000000, v40, vcc_lo
	v_cndmask_b32_e32 v39, 0, v39, vcc_lo
	v_lshrrev_b64 v[39:40], s52, v[39:40]
	v_and_b32_e32 v3, s64, v39
	v_lshl_or_b32 v3, v3, 4, v93
	ds_add_u32 v3, v121
	s_or_b32 exec_lo, exec_lo, s15
	s_mov_b32 s15, exec_lo
	v_cmpx_gt_u32_e64 s14, v81
	s_cbranch_execz .LBB1222_632
.LBB1222_647:                           ;   in Loop: Header=BB1222_606 Depth=2
	v_cmp_lt_i64_e32 vcc_lo, -1, v[29:30]
	v_ashrrev_i32_e32 v39, 31, v30
	v_xor_b32_e32 v39, v39, v29
	v_cndmask_b32_e64 v3, -1, 0x80000000, vcc_lo
	v_xor_b32_e32 v40, v3, v30
	v_cmp_ne_u64_e32 vcc_lo, s[46:47], v[39:40]
	v_cndmask_b32_e32 v40, 0x80000000, v40, vcc_lo
	v_cndmask_b32_e32 v39, 0, v39, vcc_lo
	v_lshrrev_b64 v[39:40], s52, v[39:40]
	v_and_b32_e32 v3, s64, v39
	v_lshl_or_b32 v3, v3, 4, v93
	ds_add_u32 v3, v121
	s_or_b32 exec_lo, exec_lo, s15
	s_mov_b32 s15, exec_lo
	v_cmpx_gt_u32_e64 s14, v82
	s_cbranch_execz .LBB1222_633
.LBB1222_648:                           ;   in Loop: Header=BB1222_606 Depth=2
	v_cmp_lt_i64_e32 vcc_lo, -1, v[27:28]
	v_ashrrev_i32_e32 v39, 31, v28
	v_xor_b32_e32 v39, v39, v27
	v_cndmask_b32_e64 v3, -1, 0x80000000, vcc_lo
	v_xor_b32_e32 v40, v3, v28
	v_cmp_ne_u64_e32 vcc_lo, s[46:47], v[39:40]
	v_cndmask_b32_e32 v40, 0x80000000, v40, vcc_lo
	v_cndmask_b32_e32 v39, 0, v39, vcc_lo
	v_lshrrev_b64 v[39:40], s52, v[39:40]
	v_and_b32_e32 v3, s64, v39
	v_lshl_or_b32 v3, v3, 4, v93
	ds_add_u32 v3, v121
	s_or_b32 exec_lo, exec_lo, s15
	s_mov_b32 s15, exec_lo
	v_cmpx_gt_u32_e64 s14, v83
	s_cbranch_execz .LBB1222_634
.LBB1222_649:                           ;   in Loop: Header=BB1222_606 Depth=2
	v_cmp_lt_i64_e32 vcc_lo, -1, v[25:26]
	v_ashrrev_i32_e32 v39, 31, v26
	v_xor_b32_e32 v39, v39, v25
	v_cndmask_b32_e64 v3, -1, 0x80000000, vcc_lo
	v_xor_b32_e32 v40, v3, v26
	v_cmp_ne_u64_e32 vcc_lo, s[46:47], v[39:40]
	v_cndmask_b32_e32 v40, 0x80000000, v40, vcc_lo
	v_cndmask_b32_e32 v39, 0, v39, vcc_lo
	v_lshrrev_b64 v[39:40], s52, v[39:40]
	v_and_b32_e32 v3, s64, v39
	v_lshl_or_b32 v3, v3, 4, v93
	ds_add_u32 v3, v121
	s_or_b32 exec_lo, exec_lo, s15
	s_mov_b32 s15, exec_lo
	v_cmpx_gt_u32_e64 s14, v84
	s_cbranch_execz .LBB1222_635
.LBB1222_650:                           ;   in Loop: Header=BB1222_606 Depth=2
	v_cmp_lt_i64_e32 vcc_lo, -1, v[23:24]
	v_ashrrev_i32_e32 v39, 31, v24
	v_xor_b32_e32 v39, v39, v23
	v_cndmask_b32_e64 v3, -1, 0x80000000, vcc_lo
	v_xor_b32_e32 v40, v3, v24
	v_cmp_ne_u64_e32 vcc_lo, s[46:47], v[39:40]
	v_cndmask_b32_e32 v40, 0x80000000, v40, vcc_lo
	v_cndmask_b32_e32 v39, 0, v39, vcc_lo
	v_lshrrev_b64 v[39:40], s52, v[39:40]
	v_and_b32_e32 v3, s64, v39
	v_lshl_or_b32 v3, v3, 4, v93
	ds_add_u32 v3, v121
	s_or_b32 exec_lo, exec_lo, s15
	s_mov_b32 s15, exec_lo
	v_cmpx_gt_u32_e64 s14, v85
	s_cbranch_execz .LBB1222_636
.LBB1222_651:                           ;   in Loop: Header=BB1222_606 Depth=2
	v_cmp_lt_i64_e32 vcc_lo, -1, v[21:22]
	v_ashrrev_i32_e32 v39, 31, v22
	v_xor_b32_e32 v39, v39, v21
	v_cndmask_b32_e64 v3, -1, 0x80000000, vcc_lo
	v_xor_b32_e32 v40, v3, v22
	v_cmp_ne_u64_e32 vcc_lo, s[46:47], v[39:40]
	v_cndmask_b32_e32 v40, 0x80000000, v40, vcc_lo
	v_cndmask_b32_e32 v39, 0, v39, vcc_lo
	v_lshrrev_b64 v[39:40], s52, v[39:40]
	v_and_b32_e32 v3, s64, v39
	v_lshl_or_b32 v3, v3, 4, v93
	ds_add_u32 v3, v121
	s_or_b32 exec_lo, exec_lo, s15
	s_mov_b32 s15, exec_lo
	v_cmpx_gt_u32_e64 s14, v86
	s_cbranch_execz .LBB1222_637
.LBB1222_652:                           ;   in Loop: Header=BB1222_606 Depth=2
	v_cmp_lt_i64_e32 vcc_lo, -1, v[19:20]
	v_ashrrev_i32_e32 v39, 31, v20
	v_xor_b32_e32 v39, v39, v19
	v_cndmask_b32_e64 v3, -1, 0x80000000, vcc_lo
	v_xor_b32_e32 v40, v3, v20
	v_cmp_ne_u64_e32 vcc_lo, s[46:47], v[39:40]
	v_cndmask_b32_e32 v40, 0x80000000, v40, vcc_lo
	v_cndmask_b32_e32 v39, 0, v39, vcc_lo
	v_lshrrev_b64 v[39:40], s52, v[39:40]
	v_and_b32_e32 v3, s64, v39
	v_lshl_or_b32 v3, v3, 4, v93
	ds_add_u32 v3, v121
	s_or_b32 exec_lo, exec_lo, s15
	s_mov_b32 s15, exec_lo
	v_cmpx_gt_u32_e64 s14, v87
	s_cbranch_execz .LBB1222_638
.LBB1222_653:                           ;   in Loop: Header=BB1222_606 Depth=2
	v_cmp_lt_i64_e32 vcc_lo, -1, v[17:18]
	v_ashrrev_i32_e32 v39, 31, v18
	v_xor_b32_e32 v39, v39, v17
	v_cndmask_b32_e64 v3, -1, 0x80000000, vcc_lo
	v_xor_b32_e32 v40, v3, v18
	v_cmp_ne_u64_e32 vcc_lo, s[46:47], v[39:40]
	v_cndmask_b32_e32 v40, 0x80000000, v40, vcc_lo
	v_cndmask_b32_e32 v39, 0, v39, vcc_lo
	v_lshrrev_b64 v[39:40], s52, v[39:40]
	v_and_b32_e32 v3, s64, v39
	v_lshl_or_b32 v3, v3, 4, v93
	ds_add_u32 v3, v121
	s_or_b32 exec_lo, exec_lo, s15
	s_mov_b32 s15, exec_lo
	v_cmpx_gt_u32_e64 s14, v88
	s_cbranch_execz .LBB1222_639
.LBB1222_654:                           ;   in Loop: Header=BB1222_606 Depth=2
	v_cmp_lt_i64_e32 vcc_lo, -1, v[15:16]
	v_ashrrev_i32_e32 v39, 31, v16
	v_xor_b32_e32 v39, v39, v15
	v_cndmask_b32_e64 v3, -1, 0x80000000, vcc_lo
	v_xor_b32_e32 v40, v3, v16
	v_cmp_ne_u64_e32 vcc_lo, s[46:47], v[39:40]
	v_cndmask_b32_e32 v40, 0x80000000, v40, vcc_lo
	v_cndmask_b32_e32 v39, 0, v39, vcc_lo
	v_lshrrev_b64 v[39:40], s52, v[39:40]
	v_and_b32_e32 v3, s64, v39
	v_lshl_or_b32 v3, v3, 4, v93
	ds_add_u32 v3, v121
	s_or_b32 exec_lo, exec_lo, s15
	s_mov_b32 s15, exec_lo
	v_cmpx_gt_u32_e64 s14, v89
	s_cbranch_execz .LBB1222_640
.LBB1222_655:                           ;   in Loop: Header=BB1222_606 Depth=2
	v_cmp_lt_i64_e32 vcc_lo, -1, v[13:14]
	v_ashrrev_i32_e32 v39, 31, v14
	v_xor_b32_e32 v39, v39, v13
	v_cndmask_b32_e64 v3, -1, 0x80000000, vcc_lo
	v_xor_b32_e32 v40, v3, v14
	v_cmp_ne_u64_e32 vcc_lo, s[46:47], v[39:40]
	v_cndmask_b32_e32 v40, 0x80000000, v40, vcc_lo
	v_cndmask_b32_e32 v39, 0, v39, vcc_lo
	v_lshrrev_b64 v[39:40], s52, v[39:40]
	v_and_b32_e32 v3, s64, v39
	v_lshl_or_b32 v3, v3, 4, v93
	ds_add_u32 v3, v121
	s_or_b32 exec_lo, exec_lo, s15
	s_mov_b32 s15, exec_lo
	v_cmpx_gt_u32_e64 s14, v90
	s_cbranch_execz .LBB1222_641
.LBB1222_656:                           ;   in Loop: Header=BB1222_606 Depth=2
	v_cmp_lt_i64_e32 vcc_lo, -1, v[11:12]
	v_ashrrev_i32_e32 v39, 31, v12
	v_xor_b32_e32 v39, v39, v11
	v_cndmask_b32_e64 v3, -1, 0x80000000, vcc_lo
	v_xor_b32_e32 v40, v3, v12
	v_cmp_ne_u64_e32 vcc_lo, s[46:47], v[39:40]
	v_cndmask_b32_e32 v40, 0x80000000, v40, vcc_lo
	v_cndmask_b32_e32 v39, 0, v39, vcc_lo
	v_lshrrev_b64 v[39:40], s52, v[39:40]
	v_and_b32_e32 v3, s64, v39
	v_lshl_or_b32 v3, v3, 4, v93
	ds_add_u32 v3, v121
	s_or_b32 exec_lo, exec_lo, s15
	s_mov_b32 s15, exec_lo
	v_cmpx_gt_u32_e64 s14, v91
	s_cbranch_execz .LBB1222_642
.LBB1222_657:                           ;   in Loop: Header=BB1222_606 Depth=2
	v_cmp_lt_i64_e32 vcc_lo, -1, v[9:10]
	v_ashrrev_i32_e32 v39, 31, v10
	v_xor_b32_e32 v39, v39, v9
	v_cndmask_b32_e64 v3, -1, 0x80000000, vcc_lo
	v_xor_b32_e32 v40, v3, v10
	v_cmp_ne_u64_e32 vcc_lo, s[46:47], v[39:40]
	v_cndmask_b32_e32 v40, 0x80000000, v40, vcc_lo
	v_cndmask_b32_e32 v39, 0, v39, vcc_lo
	v_lshrrev_b64 v[39:40], s52, v[39:40]
	v_and_b32_e32 v3, s64, v39
	v_lshl_or_b32 v3, v3, 4, v93
	ds_add_u32 v3, v121
	s_or_b32 exec_lo, exec_lo, s15
	v_cmp_gt_u32_e32 vcc_lo, s14, v92
	s_and_saveexec_b32 s14, vcc_lo
	s_cbranch_execz .LBB1222_605
.LBB1222_658:                           ;   in Loop: Header=BB1222_606 Depth=2
	v_cmp_lt_i64_e32 vcc_lo, -1, v[7:8]
	v_ashrrev_i32_e32 v39, 31, v8
	v_xor_b32_e32 v39, v39, v7
	v_cndmask_b32_e64 v3, -1, 0x80000000, vcc_lo
	v_xor_b32_e32 v40, v3, v8
	v_cmp_ne_u64_e32 vcc_lo, s[46:47], v[39:40]
	v_cndmask_b32_e32 v40, 0x80000000, v40, vcc_lo
	v_cndmask_b32_e32 v39, 0, v39, vcc_lo
	v_lshrrev_b64 v[39:40], s52, v[39:40]
	v_and_b32_e32 v3, s64, v39
	v_lshl_or_b32 v3, v3, 4, v93
	ds_add_u32 v3, v121
	s_branch .LBB1222_605
.LBB1222_659:                           ;   in Loop: Header=BB1222_606 Depth=2
	global_load_dwordx2 v[37:38], v122, s[14:15]
	s_or_b32 exec_lo, exec_lo, s17
	s_mov_b32 s17, exec_lo
	v_cmpx_gt_u32_e64 s13, v76
	s_cbranch_execz .LBB1222_611
.LBB1222_660:                           ;   in Loop: Header=BB1222_606 Depth=2
	global_load_dwordx2 v[35:36], v123, s[14:15]
	s_or_b32 exec_lo, exec_lo, s17
	s_mov_b32 s17, exec_lo
	v_cmpx_gt_u32_e64 s13, v79
	s_cbranch_execz .LBB1222_612
.LBB1222_661:                           ;   in Loop: Header=BB1222_606 Depth=2
	global_load_dwordx2 v[33:34], v124, s[14:15]
	s_or_b32 exec_lo, exec_lo, s17
	s_mov_b32 s17, exec_lo
	v_cmpx_gt_u32_e64 s13, v80
	s_cbranch_execz .LBB1222_613
.LBB1222_662:                           ;   in Loop: Header=BB1222_606 Depth=2
	global_load_dwordx2 v[31:32], v125, s[14:15]
	s_or_b32 exec_lo, exec_lo, s17
	s_mov_b32 s17, exec_lo
	v_cmpx_gt_u32_e64 s13, v81
	s_cbranch_execz .LBB1222_614
.LBB1222_663:                           ;   in Loop: Header=BB1222_606 Depth=2
	global_load_dwordx2 v[29:30], v126, s[14:15]
	s_or_b32 exec_lo, exec_lo, s17
	s_mov_b32 s17, exec_lo
	v_cmpx_gt_u32_e64 s13, v82
	s_cbranch_execz .LBB1222_615
.LBB1222_664:                           ;   in Loop: Header=BB1222_606 Depth=2
	global_load_dwordx2 v[27:28], v127, s[14:15]
	s_or_b32 exec_lo, exec_lo, s17
	s_mov_b32 s17, exec_lo
	v_cmpx_gt_u32_e64 s13, v83
	s_cbranch_execz .LBB1222_616
.LBB1222_665:                           ;   in Loop: Header=BB1222_606 Depth=2
	v_lshlrev_b32_e32 v3, 3, v83
	global_load_dwordx2 v[25:26], v3, s[14:15]
	s_or_b32 exec_lo, exec_lo, s17
	s_mov_b32 s17, exec_lo
	v_cmpx_gt_u32_e64 s13, v84
	s_cbranch_execz .LBB1222_617
.LBB1222_666:                           ;   in Loop: Header=BB1222_606 Depth=2
	v_lshlrev_b32_e32 v3, 3, v84
	global_load_dwordx2 v[23:24], v3, s[14:15]
	s_or_b32 exec_lo, exec_lo, s17
	s_mov_b32 s17, exec_lo
	v_cmpx_gt_u32_e64 s13, v85
	s_cbranch_execz .LBB1222_618
.LBB1222_667:                           ;   in Loop: Header=BB1222_606 Depth=2
	v_lshlrev_b32_e32 v3, 3, v85
	global_load_dwordx2 v[21:22], v3, s[14:15]
	s_or_b32 exec_lo, exec_lo, s17
	s_mov_b32 s17, exec_lo
	v_cmpx_gt_u32_e64 s13, v86
	s_cbranch_execz .LBB1222_619
.LBB1222_668:                           ;   in Loop: Header=BB1222_606 Depth=2
	v_lshlrev_b32_e32 v3, 3, v86
	global_load_dwordx2 v[19:20], v3, s[14:15]
	s_or_b32 exec_lo, exec_lo, s17
	s_mov_b32 s17, exec_lo
	v_cmpx_gt_u32_e64 s13, v87
	s_cbranch_execz .LBB1222_620
.LBB1222_669:                           ;   in Loop: Header=BB1222_606 Depth=2
	v_lshlrev_b32_e32 v3, 3, v87
	global_load_dwordx2 v[17:18], v3, s[14:15]
	s_or_b32 exec_lo, exec_lo, s17
	s_mov_b32 s17, exec_lo
	v_cmpx_gt_u32_e64 s13, v88
	s_cbranch_execz .LBB1222_621
.LBB1222_670:                           ;   in Loop: Header=BB1222_606 Depth=2
	v_lshlrev_b32_e32 v3, 3, v88
	global_load_dwordx2 v[15:16], v3, s[14:15]
	s_or_b32 exec_lo, exec_lo, s17
	s_mov_b32 s17, exec_lo
	v_cmpx_gt_u32_e64 s13, v89
	s_cbranch_execz .LBB1222_622
.LBB1222_671:                           ;   in Loop: Header=BB1222_606 Depth=2
	v_lshlrev_b32_e32 v3, 3, v89
	global_load_dwordx2 v[13:14], v3, s[14:15]
	s_or_b32 exec_lo, exec_lo, s17
	s_mov_b32 s17, exec_lo
	v_cmpx_gt_u32_e64 s13, v90
	s_cbranch_execz .LBB1222_623
.LBB1222_672:                           ;   in Loop: Header=BB1222_606 Depth=2
	v_lshlrev_b32_e32 v3, 3, v90
	global_load_dwordx2 v[11:12], v3, s[14:15]
	s_or_b32 exec_lo, exec_lo, s17
	s_mov_b32 s17, exec_lo
	v_cmpx_gt_u32_e64 s13, v91
	s_cbranch_execz .LBB1222_624
.LBB1222_673:                           ;   in Loop: Header=BB1222_606 Depth=2
	v_lshlrev_b32_e32 v3, 3, v91
	global_load_dwordx2 v[9:10], v3, s[14:15]
	s_or_b32 exec_lo, exec_lo, s17
	s_mov_b32 s17, exec_lo
	v_cmpx_gt_u32_e64 s13, v92
	s_cbranch_execnz .LBB1222_625
	s_branch .LBB1222_626
.LBB1222_674:                           ;   in Loop: Header=BB1222_12 Depth=1
	v_mov_b32_e32 v3, 0
	s_waitcnt lgkmcnt(0)
	s_barrier
	buffer_gl0_inv
	s_and_saveexec_b32 s13, s7
	s_cbranch_execz .LBB1222_676
; %bb.675:                              ;   in Loop: Header=BB1222_12 Depth=1
	ds_read2_b64 v[7:10], v95 offset1:1
	s_waitcnt lgkmcnt(0)
	v_add_nc_u32_e32 v3, v8, v7
	v_add3_u32 v3, v3, v9, v10
.LBB1222_676:                           ;   in Loop: Header=BB1222_12 Depth=1
	s_or_b32 exec_lo, exec_lo, s13
	v_and_b32_e32 v7, 15, v128
	v_mov_b32_dpp v8, v3 row_shr:1 row_mask:0xf bank_mask:0xf
	v_and_b32_e32 v9, 16, v128
	v_cmp_eq_u32_e64 s13, 0, v7
	v_cmp_lt_u32_e64 s14, 1, v7
	v_cmp_lt_u32_e64 s15, 3, v7
	;; [unrolled: 1-line block ×3, first 2 shown]
	v_cmp_eq_u32_e64 s17, 0, v9
	v_cndmask_b32_e64 v8, v8, 0, s13
	v_add_nc_u32_e32 v3, v8, v3
	v_mov_b32_dpp v8, v3 row_shr:2 row_mask:0xf bank_mask:0xf
	v_cndmask_b32_e64 v8, 0, v8, s14
	v_add_nc_u32_e32 v3, v3, v8
	v_mov_b32_dpp v8, v3 row_shr:4 row_mask:0xf bank_mask:0xf
	;; [unrolled: 3-line block ×3, first 2 shown]
	v_cndmask_b32_e64 v7, 0, v8, s16
	v_bfe_i32 v8, v128, 4, 1
	v_add_nc_u32_e32 v3, v3, v7
	ds_swizzle_b32 v7, v3 offset:swizzle(BROADCAST,32,15)
	s_waitcnt lgkmcnt(0)
	v_and_b32_e32 v7, v8, v7
	v_add_nc_u32_e32 v3, v3, v7
	s_and_saveexec_b32 s18, s8
; %bb.677:                              ;   in Loop: Header=BB1222_12 Depth=1
	ds_write_b32 v96, v3
; %bb.678:                              ;   in Loop: Header=BB1222_12 Depth=1
	s_or_b32 exec_lo, exec_lo, s18
	s_waitcnt lgkmcnt(0)
	s_barrier
	buffer_gl0_inv
	s_and_saveexec_b32 s18, s9
	s_cbranch_execz .LBB1222_680
; %bb.679:                              ;   in Loop: Header=BB1222_12 Depth=1
	ds_read_b32 v7, v97
	v_and_b32_e32 v8, 3, v128
	v_cmp_ne_u32_e32 vcc_lo, 0, v8
	s_waitcnt lgkmcnt(0)
	v_mov_b32_dpp v9, v7 row_shr:1 row_mask:0xf bank_mask:0xf
	v_cndmask_b32_e32 v9, 0, v9, vcc_lo
	v_cmp_lt_u32_e32 vcc_lo, 1, v8
	v_add_nc_u32_e32 v7, v9, v7
	v_mov_b32_dpp v9, v7 row_shr:2 row_mask:0xf bank_mask:0xf
	v_cndmask_b32_e32 v8, 0, v9, vcc_lo
	v_add_nc_u32_e32 v7, v7, v8
	ds_write_b32 v97, v7
.LBB1222_680:                           ;   in Loop: Header=BB1222_12 Depth=1
	s_or_b32 exec_lo, exec_lo, s18
	v_mov_b32_e32 v7, 0
	s_waitcnt lgkmcnt(0)
	s_barrier
	buffer_gl0_inv
	s_and_saveexec_b32 s18, s10
; %bb.681:                              ;   in Loop: Header=BB1222_12 Depth=1
	ds_read_b32 v7, v98
; %bb.682:                              ;   in Loop: Header=BB1222_12 Depth=1
	s_or_b32 exec_lo, exec_lo, s18
	v_sub_co_u32 v8, s18, v128, 1
	s_waitcnt lgkmcnt(0)
	v_add_nc_u32_e32 v3, v7, v3
	s_barrier
	v_cmp_gt_i32_e32 vcc_lo, 0, v8
	buffer_gl0_inv
	v_cndmask_b32_e32 v8, v8, v128, vcc_lo
	v_lshlrev_b32_e32 v129, 2, v8
	ds_bpermute_b32 v3, v129, v3
	s_and_saveexec_b32 s19, s7
	s_cbranch_execz .LBB1222_684
; %bb.683:                              ;   in Loop: Header=BB1222_12 Depth=1
	s_waitcnt lgkmcnt(0)
	v_cndmask_b32_e64 v3, v3, v7, s18
	v_add_nc_u32_e32 v3, s60, v3
	ds_write_b32 v75, v3
.LBB1222_684:                           ;   in Loop: Header=BB1222_12 Depth=1
	s_or_b32 exec_lo, exec_lo, s19
	s_load_dwordx2 s[20:21], s[58:59], 0x0
	v_and_b32_e32 v8, 7, v128
	v_lshlrev_b32_e32 v9, 3, v128
	v_or_b32_e32 v130, v128, v99
	s_mov_b32 s65, s62
	s_mov_b32 s56, s60
                                        ; implicit-def: $vgpr11_vgpr12
                                        ; implicit-def: $vgpr13_vgpr14
                                        ; implicit-def: $vgpr15_vgpr16
                                        ; implicit-def: $vgpr19_vgpr20
                                        ; implicit-def: $vgpr23_vgpr24
                                        ; implicit-def: $vgpr27_vgpr28
                                        ; implicit-def: $vgpr17_vgpr18
                                        ; implicit-def: $vgpr21_vgpr22
                                        ; implicit-def: $vgpr25_vgpr26
                                        ; implicit-def: $vgpr29_vgpr30
                                        ; implicit-def: $vgpr31_vgpr32
                                        ; implicit-def: $vgpr33_vgpr34
                                        ; implicit-def: $vgpr35_vgpr36
                                        ; implicit-def: $vgpr37_vgpr38
                                        ; implicit-def: $vgpr151
                                        ; implicit-def: $vgpr152
                                        ; implicit-def: $vgpr153
                                        ; implicit-def: $vgpr154
                                        ; implicit-def: $vgpr155
                                        ; implicit-def: $vgpr156
                                        ; implicit-def: $vgpr157
                                        ; implicit-def: $vgpr159
                                        ; implicit-def: $vgpr160
                                        ; implicit-def: $vgpr161
                                        ; implicit-def: $vgpr162
                                        ; implicit-def: $vgpr163
                                        ; implicit-def: $vgpr164
                                        ; implicit-def: $vgpr165
                                        ; implicit-def: $vgpr166
                                        ; implicit-def: $vgpr167
                                        ; implicit-def: $vgpr158
                                        ; implicit-def: $vgpr168
	v_add_co_u32 v131, vcc_lo, v117, v9
	v_add_co_ci_u32_e64 v132, null, 0, v118, vcc_lo
	v_add_co_u32 v148, vcc_lo, v119, v9
	v_or_b32_e32 v133, 32, v130
	v_or_b32_e32 v134, 64, v130
	;; [unrolled: 1-line block ×7, first 2 shown]
	s_waitcnt lgkmcnt(0)
	s_cmp_lt_u32 s29, s21
	v_or_b32_e32 v140, 0x100, v130
	s_cselect_b32 s19, 14, 20
	v_or_b32_e32 v141, 0x120, v130
	s_add_u32 s22, s58, s19
	s_addc_u32 s23, s59, 0
	s_cmp_lt_u32 s6, s20
	global_load_ushort v3, v4, s[22:23]
	s_cselect_b32 s19, 12, 18
	v_or_b32_e32 v142, 0x140, v130
	s_add_u32 s20, s58, s19
	s_addc_u32 s21, s59, 0
	v_cmp_eq_u32_e64 s19, 0, v8
	global_load_ushort v7, v4, s[20:21]
	v_cmp_lt_u32_e64 s20, 1, v8
	v_cmp_lt_u32_e64 s21, 3, v8
	v_or_b32_e32 v143, 0x160, v130
	v_or_b32_e32 v144, 0x180, v130
	v_or_b32_e32 v145, 0x1a0, v130
	v_or_b32_e32 v146, 0x1c0, v130
	v_or_b32_e32 v147, 0x1e0, v130
	v_add_co_ci_u32_e64 v149, null, 0, v120, vcc_lo
                                        ; implicit-def: $vgpr9_vgpr10
	s_waitcnt vmcnt(1)
	v_mad_u32_u24 v3, v2, v3, v1
	s_waitcnt vmcnt(0)
	v_mad_u64_u32 v[7:8], null, v3, v7, v[0:1]
	v_lshrrev_b32_e32 v3, 3, v7
                                        ; implicit-def: $vgpr7_vgpr8
	v_and_b32_e32 v150, 0x1ffffffc, v3
	s_branch .LBB1222_686
.LBB1222_685:                           ;   in Loop: Header=BB1222_686 Depth=2
	s_or_b32 exec_lo, exec_lo, s22
	s_addk_i32 s65, 0xf000
	s_cmp_lt_u32 s66, s61
	s_mov_b32 s56, s66
	s_cbranch_scc0 .LBB1222_896
.LBB1222_686:                           ;   Parent Loop BB1222_12 Depth=1
                                        ; =>  This Inner Loop Header: Depth=2
	s_add_i32 s66, s56, 0x1000
	s_cmp_gt_u32 s66, s61
	s_cbranch_scc1 .LBB1222_688
; %bb.687:                              ;   in Loop: Header=BB1222_686 Depth=2
	s_lshl_b64 s[22:23], s[56:57], 3
	v_add_co_u32 v45, vcc_lo, v148, s22
	v_add_co_ci_u32_e64 v46, null, s23, v149, vcc_lo
	v_add_co_u32 v47, vcc_lo, 0x800, v45
	v_add_co_ci_u32_e64 v48, null, 0, v46, vcc_lo
	s_clause 0xe
	global_load_dwordx2 v[39:40], v[45:46], off
	global_load_dwordx2 v[41:42], v[45:46], off offset:256
	global_load_dwordx2 v[43:44], v[45:46], off offset:512
	;; [unrolled: 1-line block ×7, first 2 shown]
	global_load_dwordx2 v[69:70], v[47:48], off
	global_load_dwordx2 v[65:66], v[47:48], off offset:256
	global_load_dwordx2 v[61:62], v[47:48], off offset:512
	;; [unrolled: 1-line block ×6, first 2 shown]
	s_mov_b32 s22, -1
	s_movk_i32 s23, 0x1000
	s_cbranch_execz .LBB1222_689
	s_branch .LBB1222_720
.LBB1222_688:                           ;   in Loop: Header=BB1222_686 Depth=2
	s_mov_b32 s22, 0
                                        ; implicit-def: $vgpr39_vgpr40
                                        ; implicit-def: $vgpr41_vgpr42
                                        ; implicit-def: $vgpr43_vgpr44
                                        ; implicit-def: $vgpr49_vgpr50
                                        ; implicit-def: $vgpr55_vgpr56
                                        ; implicit-def: $vgpr59_vgpr60
                                        ; implicit-def: $vgpr63_vgpr64
                                        ; implicit-def: $vgpr67_vgpr68
                                        ; implicit-def: $vgpr69_vgpr70
                                        ; implicit-def: $vgpr65_vgpr66
                                        ; implicit-def: $vgpr61_vgpr62
                                        ; implicit-def: $vgpr57_vgpr58
                                        ; implicit-def: $vgpr53_vgpr54
                                        ; implicit-def: $vgpr51_vgpr52
                                        ; implicit-def: $vgpr45_vgpr46
	s_movk_i32 s23, 0x1000
.LBB1222_689:                           ;   in Loop: Header=BB1222_686 Depth=2
	s_waitcnt vmcnt(13)
	v_mov_b32_e32 v41, v5
	v_mov_b32_e32 v42, v6
	s_lshl_b64 s[22:23], s[56:57], 3
	v_add_co_u32 v47, vcc_lo, v148, s22
	v_mov_b32_e32 v39, v41
	v_add_co_ci_u32_e64 v48, null, s23, v149, vcc_lo
	v_mov_b32_e32 v40, v42
	s_mov_b32 s22, exec_lo
	v_cmpx_gt_u32_e64 s65, v130
	s_cbranch_execz .LBB1222_691
; %bb.690:                              ;   in Loop: Header=BB1222_686 Depth=2
	global_load_dwordx2 v[39:40], v[47:48], off
.LBB1222_691:                           ;   in Loop: Header=BB1222_686 Depth=2
	s_or_b32 exec_lo, exec_lo, s22
	s_mov_b32 s22, exec_lo
	v_cmpx_gt_u32_e64 s65, v133
	s_cbranch_execz .LBB1222_693
; %bb.692:                              ;   in Loop: Header=BB1222_686 Depth=2
	global_load_dwordx2 v[41:42], v[47:48], off offset:256
.LBB1222_693:                           ;   in Loop: Header=BB1222_686 Depth=2
	s_or_b32 exec_lo, exec_lo, s22
	s_waitcnt vmcnt(12)
	v_mov_b32_e32 v44, v6
	v_mov_b32_e32 v43, v5
	s_mov_b32 s22, exec_lo
	v_cmpx_gt_u32_e64 s65, v134
	s_cbranch_execz .LBB1222_695
; %bb.694:                              ;   in Loop: Header=BB1222_686 Depth=2
	global_load_dwordx2 v[43:44], v[47:48], off offset:512
.LBB1222_695:                           ;   in Loop: Header=BB1222_686 Depth=2
	s_or_b32 exec_lo, exec_lo, s22
	s_waitcnt vmcnt(11)
	v_mov_b32_e32 v50, v6
	v_mov_b32_e32 v49, v5
	;; [unrolled: 10-line block ×7, first 2 shown]
	s_mov_b32 s22, exec_lo
	v_cmpx_gt_u32_e64 s65, v140
	s_cbranch_execz .LBB1222_707
; %bb.706:                              ;   in Loop: Header=BB1222_686 Depth=2
	s_waitcnt vmcnt(0)
	v_add_co_u32 v45, vcc_lo, 0x800, v47
	v_add_co_ci_u32_e64 v46, null, 0, v48, vcc_lo
	global_load_dwordx2 v[69:70], v[45:46], off
.LBB1222_707:                           ;   in Loop: Header=BB1222_686 Depth=2
	s_or_b32 exec_lo, exec_lo, s22
	s_waitcnt vmcnt(5)
	v_mov_b32_e32 v66, v6
	v_mov_b32_e32 v65, v5
	s_mov_b32 s22, exec_lo
	v_cmpx_gt_u32_e64 s65, v141
	s_cbranch_execz .LBB1222_709
; %bb.708:                              ;   in Loop: Header=BB1222_686 Depth=2
	s_waitcnt vmcnt(0)
	v_add_co_u32 v45, vcc_lo, 0x800, v47
	v_add_co_ci_u32_e64 v46, null, 0, v48, vcc_lo
	global_load_dwordx2 v[65:66], v[45:46], off offset:256
.LBB1222_709:                           ;   in Loop: Header=BB1222_686 Depth=2
	s_or_b32 exec_lo, exec_lo, s22
	s_waitcnt vmcnt(4)
	v_mov_b32_e32 v62, v6
	v_mov_b32_e32 v61, v5
	s_mov_b32 s22, exec_lo
	v_cmpx_gt_u32_e64 s65, v142
	s_cbranch_execz .LBB1222_711
; %bb.710:                              ;   in Loop: Header=BB1222_686 Depth=2
	s_waitcnt vmcnt(0)
	v_add_co_u32 v45, vcc_lo, 0x800, v47
	v_add_co_ci_u32_e64 v46, null, 0, v48, vcc_lo
	global_load_dwordx2 v[61:62], v[45:46], off offset:512
.LBB1222_711:                           ;   in Loop: Header=BB1222_686 Depth=2
	;; [unrolled: 13-line block ×5, first 2 shown]
	s_or_b32 exec_lo, exec_lo, s22
	s_waitcnt vmcnt(0)
	v_mov_b32_e32 v46, v6
	v_mov_b32_e32 v45, v5
	s_mov_b32 s22, exec_lo
	v_cmpx_gt_u32_e64 s65, v146
	s_cbranch_execz .LBB1222_719
; %bb.718:                              ;   in Loop: Header=BB1222_686 Depth=2
	v_add_co_u32 v45, vcc_lo, 0x800, v47
	v_add_co_ci_u32_e64 v46, null, 0, v48, vcc_lo
	global_load_dwordx2 v[45:46], v[45:46], off offset:1536
.LBB1222_719:                           ;   in Loop: Header=BB1222_686 Depth=2
	s_or_b32 exec_lo, exec_lo, s22
	v_cmp_gt_u32_e64 s22, s65, v147
	s_sub_i32 s23, s61, s56
.LBB1222_720:                           ;   in Loop: Header=BB1222_686 Depth=2
	v_mov_b32_e32 v48, v6
	v_mov_b32_e32 v169, s65
	;; [unrolled: 1-line block ×3, first 2 shown]
	s_and_saveexec_b32 s24, s22
	s_cbranch_execz .LBB1222_722
; %bb.721:                              ;   in Loop: Header=BB1222_686 Depth=2
	s_lshl_b64 s[26:27], s[56:57], 3
	v_mov_b32_e32 v169, s23
	v_add_co_u32 v3, vcc_lo, v148, s26
	v_add_co_ci_u32_e64 v48, null, s27, v149, vcc_lo
	v_add_co_u32 v47, vcc_lo, 0x800, v3
	v_add_co_ci_u32_e64 v48, null, 0, v48, vcc_lo
	global_load_dwordx2 v[47:48], v[47:48], off offset:1792
.LBB1222_722:                           ;   in Loop: Header=BB1222_686 Depth=2
	s_or_b32 exec_lo, exec_lo, s24
	s_waitcnt vmcnt(14)
	v_cmp_lt_i64_e32 vcc_lo, -1, v[39:40]
	v_ashrrev_i32_e32 v71, 31, v40
	ds_write2_b32 v100, v4, v4 offset0:136 offset1:137
	ds_write2_b32 v100, v4, v4 offset0:138 offset1:139
	ds_write_b32 v100, v4 offset:560
	s_waitcnt vmcnt(0) lgkmcnt(0)
	s_barrier
	v_cndmask_b32_e64 v3, -1, 0x80000000, vcc_lo
	v_xor_b32_e32 v39, v71, v39
	buffer_gl0_inv
	; wave barrier
	v_xor_b32_e32 v40, v3, v40
	v_cmp_ne_u64_e32 vcc_lo, s[46:47], v[39:40]
	v_cndmask_b32_e32 v72, 0x80000000, v40, vcc_lo
	v_cndmask_b32_e32 v71, 0, v39, vcc_lo
	v_lshrrev_b64 v[71:72], s52, v[71:72]
	v_and_b32_e32 v72, s64, v71
	v_and_b32_e32 v3, 1, v72
	v_lshlrev_b32_e32 v71, 30, v72
	v_lshlrev_b32_e32 v73, 29, v72
	v_lshlrev_b32_e32 v170, 28, v72
	v_lshlrev_b32_e32 v171, 27, v72
	v_add_co_u32 v3, s22, v3, -1
	v_cndmask_b32_e64 v74, 0, 1, s22
	v_not_b32_e32 v173, v71
	v_cmp_gt_i32_e64 s22, 0, v71
	v_not_b32_e32 v71, v73
	v_lshlrev_b32_e32 v172, 26, v72
	v_cmp_ne_u32_e32 vcc_lo, 0, v74
	v_ashrrev_i32_e32 v173, 31, v173
	v_lshlrev_b32_e32 v74, 25, v72
	v_ashrrev_i32_e32 v71, 31, v71
	v_mul_u32_u24_e32 v72, 36, v72
	v_xor_b32_e32 v3, vcc_lo, v3
	v_cmp_gt_i32_e32 vcc_lo, 0, v73
	v_not_b32_e32 v73, v170
	v_xor_b32_e32 v173, s22, v173
	v_cmp_gt_i32_e64 s22, 0, v170
	v_and_b32_e32 v3, exec_lo, v3
	v_not_b32_e32 v170, v171
	v_ashrrev_i32_e32 v73, 31, v73
	v_xor_b32_e32 v71, vcc_lo, v71
	v_cmp_gt_i32_e32 vcc_lo, 0, v171
	v_and_b32_e32 v3, v3, v173
	v_not_b32_e32 v171, v172
	v_ashrrev_i32_e32 v170, 31, v170
	v_xor_b32_e32 v73, s22, v73
	v_cmp_gt_i32_e64 s22, 0, v172
	v_and_b32_e32 v3, v3, v71
	v_not_b32_e32 v71, v74
	v_ashrrev_i32_e32 v171, 31, v171
	v_xor_b32_e32 v170, vcc_lo, v170
	v_cmp_gt_i32_e32 vcc_lo, 0, v74
	v_and_b32_e32 v3, v3, v73
	v_ashrrev_i32_e32 v71, 31, v71
	v_xor_b32_e32 v73, s22, v171
	v_and_b32_e32 v3, v3, v170
	v_xor_b32_e32 v71, vcc_lo, v71
	v_add_nc_u32_e32 v170, v150, v72
	v_and_b32_e32 v3, v3, v73
	v_and_b32_e32 v71, v3, v71
	v_mbcnt_lo_u32_b32 v3, v71, 0
	v_cmp_ne_u32_e64 s22, 0, v71
	v_cmp_eq_u32_e32 vcc_lo, 0, v3
	s_and_b32 s23, s22, vcc_lo
	s_and_saveexec_b32 s22, s23
; %bb.723:                              ;   in Loop: Header=BB1222_686 Depth=2
	v_bcnt_u32_b32 v71, v71, 0
	ds_write_b32 v170, v71 offset:544
; %bb.724:                              ;   in Loop: Header=BB1222_686 Depth=2
	s_or_b32 exec_lo, exec_lo, s22
	v_cmp_lt_i64_e32 vcc_lo, -1, v[41:42]
	v_ashrrev_i32_e32 v72, 31, v42
	; wave barrier
	v_xor_b32_e32 v41, v72, v41
	v_cndmask_b32_e64 v71, -1, 0x80000000, vcc_lo
	v_xor_b32_e32 v42, v71, v42
	v_cmp_ne_u64_e32 vcc_lo, s[46:47], v[41:42]
	v_cndmask_b32_e32 v72, 0x80000000, v42, vcc_lo
	v_cndmask_b32_e32 v71, 0, v41, vcc_lo
	v_lshrrev_b64 v[71:72], s52, v[71:72]
	v_and_b32_e32 v72, s64, v71
	v_and_b32_e32 v71, 1, v72
	v_lshlrev_b32_e32 v73, 30, v72
	v_lshlrev_b32_e32 v74, 29, v72
	;; [unrolled: 1-line block ×4, first 2 shown]
	v_add_co_u32 v71, s22, v71, -1
	v_cndmask_b32_e64 v171, 0, 1, s22
	v_not_b32_e32 v175, v73
	v_cmp_gt_i32_e64 s22, 0, v73
	v_not_b32_e32 v73, v74
	v_lshlrev_b32_e32 v174, 26, v72
	v_cmp_ne_u32_e32 vcc_lo, 0, v171
	v_ashrrev_i32_e32 v175, 31, v175
	v_lshlrev_b32_e32 v171, 25, v72
	v_ashrrev_i32_e32 v73, 31, v73
	v_xor_b32_e32 v71, vcc_lo, v71
	v_cmp_gt_i32_e32 vcc_lo, 0, v74
	v_not_b32_e32 v74, v172
	v_xor_b32_e32 v175, s22, v175
	v_cmp_gt_i32_e64 s22, 0, v172
	v_and_b32_e32 v71, exec_lo, v71
	v_not_b32_e32 v172, v173
	v_ashrrev_i32_e32 v74, 31, v74
	v_xor_b32_e32 v73, vcc_lo, v73
	v_cmp_gt_i32_e32 vcc_lo, 0, v173
	v_and_b32_e32 v71, v71, v175
	v_not_b32_e32 v173, v174
	v_ashrrev_i32_e32 v172, 31, v172
	v_xor_b32_e32 v74, s22, v74
	v_cmp_gt_i32_e64 s22, 0, v174
	v_and_b32_e32 v71, v71, v73
	v_not_b32_e32 v73, v171
	v_ashrrev_i32_e32 v173, 31, v173
	v_xor_b32_e32 v172, vcc_lo, v172
	v_cmp_gt_i32_e32 vcc_lo, 0, v171
	v_and_b32_e32 v71, v71, v74
	v_ashrrev_i32_e32 v73, 31, v73
	v_xor_b32_e32 v74, s22, v173
	v_mad_u32_u24 v171, v72, 36, v150
	v_mul_u32_u24_e32 v72, 36, v72
	v_and_b32_e32 v71, v71, v172
	v_xor_b32_e32 v73, vcc_lo, v73
	ds_read_b32 v171, v171 offset:544
	v_add_nc_u32_e32 v173, v150, v72
	v_and_b32_e32 v71, v71, v74
	; wave barrier
	v_and_b32_e32 v71, v71, v73
	v_mbcnt_lo_u32_b32 v172, v71, 0
	v_cmp_ne_u32_e64 s22, 0, v71
	v_cmp_eq_u32_e32 vcc_lo, 0, v172
	s_and_b32 s23, s22, vcc_lo
	s_and_saveexec_b32 s22, s23
	s_cbranch_execz .LBB1222_726
; %bb.725:                              ;   in Loop: Header=BB1222_686 Depth=2
	s_waitcnt lgkmcnt(0)
	v_bcnt_u32_b32 v71, v71, v171
	ds_write_b32 v173, v71 offset:544
.LBB1222_726:                           ;   in Loop: Header=BB1222_686 Depth=2
	s_or_b32 exec_lo, exec_lo, s22
	v_cmp_lt_i64_e32 vcc_lo, -1, v[43:44]
	v_ashrrev_i32_e32 v72, 31, v44
	; wave barrier
	v_xor_b32_e32 v43, v72, v43
	v_cndmask_b32_e64 v71, -1, 0x80000000, vcc_lo
	v_xor_b32_e32 v44, v71, v44
	v_cmp_ne_u64_e32 vcc_lo, s[46:47], v[43:44]
	v_cndmask_b32_e32 v72, 0x80000000, v44, vcc_lo
	v_cndmask_b32_e32 v71, 0, v43, vcc_lo
	v_lshrrev_b64 v[71:72], s52, v[71:72]
	v_and_b32_e32 v72, s64, v71
	v_and_b32_e32 v71, 1, v72
	v_lshlrev_b32_e32 v73, 30, v72
	v_lshlrev_b32_e32 v74, 29, v72
	v_lshlrev_b32_e32 v175, 28, v72
	v_lshlrev_b32_e32 v176, 27, v72
	v_add_co_u32 v71, s22, v71, -1
	v_cndmask_b32_e64 v174, 0, 1, s22
	v_not_b32_e32 v178, v73
	v_cmp_gt_i32_e64 s22, 0, v73
	v_not_b32_e32 v73, v74
	v_lshlrev_b32_e32 v177, 26, v72
	v_cmp_ne_u32_e32 vcc_lo, 0, v174
	v_ashrrev_i32_e32 v178, 31, v178
	v_lshlrev_b32_e32 v174, 25, v72
	v_ashrrev_i32_e32 v73, 31, v73
	v_xor_b32_e32 v71, vcc_lo, v71
	v_cmp_gt_i32_e32 vcc_lo, 0, v74
	v_not_b32_e32 v74, v175
	v_xor_b32_e32 v178, s22, v178
	v_cmp_gt_i32_e64 s22, 0, v175
	v_and_b32_e32 v71, exec_lo, v71
	v_not_b32_e32 v175, v176
	v_ashrrev_i32_e32 v74, 31, v74
	v_xor_b32_e32 v73, vcc_lo, v73
	v_cmp_gt_i32_e32 vcc_lo, 0, v176
	v_and_b32_e32 v71, v71, v178
	v_not_b32_e32 v176, v177
	v_ashrrev_i32_e32 v175, 31, v175
	v_xor_b32_e32 v74, s22, v74
	v_cmp_gt_i32_e64 s22, 0, v177
	v_and_b32_e32 v71, v71, v73
	v_not_b32_e32 v73, v174
	v_ashrrev_i32_e32 v176, 31, v176
	v_xor_b32_e32 v175, vcc_lo, v175
	v_cmp_gt_i32_e32 vcc_lo, 0, v174
	v_and_b32_e32 v71, v71, v74
	v_ashrrev_i32_e32 v73, 31, v73
	v_xor_b32_e32 v74, s22, v176
	v_mad_u32_u24 v174, v72, 36, v150
	v_mul_u32_u24_e32 v72, 36, v72
	v_and_b32_e32 v71, v71, v175
	v_xor_b32_e32 v73, vcc_lo, v73
	ds_read_b32 v174, v174 offset:544
	v_add_nc_u32_e32 v176, v150, v72
	v_and_b32_e32 v71, v71, v74
	; wave barrier
	v_and_b32_e32 v71, v71, v73
	v_mbcnt_lo_u32_b32 v175, v71, 0
	v_cmp_ne_u32_e64 s22, 0, v71
	v_cmp_eq_u32_e32 vcc_lo, 0, v175
	s_and_b32 s23, s22, vcc_lo
	s_and_saveexec_b32 s22, s23
	s_cbranch_execz .LBB1222_728
; %bb.727:                              ;   in Loop: Header=BB1222_686 Depth=2
	s_waitcnt lgkmcnt(0)
	v_bcnt_u32_b32 v71, v71, v174
	ds_write_b32 v176, v71 offset:544
.LBB1222_728:                           ;   in Loop: Header=BB1222_686 Depth=2
	s_or_b32 exec_lo, exec_lo, s22
	v_cmp_lt_i64_e32 vcc_lo, -1, v[49:50]
	v_ashrrev_i32_e32 v72, 31, v50
	; wave barrier
	v_xor_b32_e32 v49, v72, v49
	v_cndmask_b32_e64 v71, -1, 0x80000000, vcc_lo
	v_xor_b32_e32 v50, v71, v50
	v_cmp_ne_u64_e32 vcc_lo, s[46:47], v[49:50]
	v_cndmask_b32_e32 v72, 0x80000000, v50, vcc_lo
	v_cndmask_b32_e32 v71, 0, v49, vcc_lo
	v_lshrrev_b64 v[71:72], s52, v[71:72]
	v_and_b32_e32 v72, s64, v71
	v_and_b32_e32 v71, 1, v72
	v_lshlrev_b32_e32 v73, 30, v72
	v_lshlrev_b32_e32 v74, 29, v72
	;; [unrolled: 1-line block ×4, first 2 shown]
	v_add_co_u32 v71, s22, v71, -1
	v_cndmask_b32_e64 v177, 0, 1, s22
	v_not_b32_e32 v181, v73
	v_cmp_gt_i32_e64 s22, 0, v73
	v_not_b32_e32 v73, v74
	v_lshlrev_b32_e32 v180, 26, v72
	v_cmp_ne_u32_e32 vcc_lo, 0, v177
	v_ashrrev_i32_e32 v181, 31, v181
	v_lshlrev_b32_e32 v177, 25, v72
	v_ashrrev_i32_e32 v73, 31, v73
	v_xor_b32_e32 v71, vcc_lo, v71
	v_cmp_gt_i32_e32 vcc_lo, 0, v74
	v_not_b32_e32 v74, v178
	v_xor_b32_e32 v181, s22, v181
	v_cmp_gt_i32_e64 s22, 0, v178
	v_and_b32_e32 v71, exec_lo, v71
	v_not_b32_e32 v178, v179
	v_ashrrev_i32_e32 v74, 31, v74
	v_xor_b32_e32 v73, vcc_lo, v73
	v_cmp_gt_i32_e32 vcc_lo, 0, v179
	v_and_b32_e32 v71, v71, v181
	v_not_b32_e32 v179, v180
	v_ashrrev_i32_e32 v178, 31, v178
	v_xor_b32_e32 v74, s22, v74
	v_cmp_gt_i32_e64 s22, 0, v180
	v_and_b32_e32 v71, v71, v73
	v_not_b32_e32 v73, v177
	v_ashrrev_i32_e32 v179, 31, v179
	v_xor_b32_e32 v178, vcc_lo, v178
	v_cmp_gt_i32_e32 vcc_lo, 0, v177
	v_and_b32_e32 v71, v71, v74
	v_ashrrev_i32_e32 v73, 31, v73
	v_xor_b32_e32 v74, s22, v179
	v_mad_u32_u24 v177, v72, 36, v150
	v_mul_u32_u24_e32 v72, 36, v72
	v_and_b32_e32 v71, v71, v178
	v_xor_b32_e32 v73, vcc_lo, v73
	ds_read_b32 v177, v177 offset:544
	v_add_nc_u32_e32 v179, v150, v72
	v_and_b32_e32 v71, v71, v74
	; wave barrier
	v_and_b32_e32 v71, v71, v73
	v_mbcnt_lo_u32_b32 v178, v71, 0
	v_cmp_ne_u32_e64 s22, 0, v71
	v_cmp_eq_u32_e32 vcc_lo, 0, v178
	s_and_b32 s23, s22, vcc_lo
	s_and_saveexec_b32 s22, s23
	s_cbranch_execz .LBB1222_730
; %bb.729:                              ;   in Loop: Header=BB1222_686 Depth=2
	s_waitcnt lgkmcnt(0)
	v_bcnt_u32_b32 v71, v71, v177
	ds_write_b32 v179, v71 offset:544
.LBB1222_730:                           ;   in Loop: Header=BB1222_686 Depth=2
	s_or_b32 exec_lo, exec_lo, s22
	v_cmp_lt_i64_e32 vcc_lo, -1, v[55:56]
	v_ashrrev_i32_e32 v72, 31, v56
	; wave barrier
	v_xor_b32_e32 v55, v72, v55
	v_cndmask_b32_e64 v71, -1, 0x80000000, vcc_lo
	v_xor_b32_e32 v56, v71, v56
	v_cmp_ne_u64_e32 vcc_lo, s[46:47], v[55:56]
	v_cndmask_b32_e32 v72, 0x80000000, v56, vcc_lo
	v_cndmask_b32_e32 v71, 0, v55, vcc_lo
	v_lshrrev_b64 v[71:72], s52, v[71:72]
	v_and_b32_e32 v72, s64, v71
	v_and_b32_e32 v71, 1, v72
	v_lshlrev_b32_e32 v73, 30, v72
	v_lshlrev_b32_e32 v74, 29, v72
	;; [unrolled: 1-line block ×4, first 2 shown]
	v_add_co_u32 v71, s22, v71, -1
	v_cndmask_b32_e64 v180, 0, 1, s22
	v_not_b32_e32 v184, v73
	v_cmp_gt_i32_e64 s22, 0, v73
	v_not_b32_e32 v73, v74
	v_lshlrev_b32_e32 v183, 26, v72
	v_cmp_ne_u32_e32 vcc_lo, 0, v180
	v_ashrrev_i32_e32 v184, 31, v184
	v_lshlrev_b32_e32 v180, 25, v72
	v_ashrrev_i32_e32 v73, 31, v73
	v_xor_b32_e32 v71, vcc_lo, v71
	v_cmp_gt_i32_e32 vcc_lo, 0, v74
	v_not_b32_e32 v74, v181
	v_xor_b32_e32 v184, s22, v184
	v_cmp_gt_i32_e64 s22, 0, v181
	v_and_b32_e32 v71, exec_lo, v71
	v_not_b32_e32 v181, v182
	v_ashrrev_i32_e32 v74, 31, v74
	v_xor_b32_e32 v73, vcc_lo, v73
	v_cmp_gt_i32_e32 vcc_lo, 0, v182
	v_and_b32_e32 v71, v71, v184
	v_not_b32_e32 v182, v183
	v_ashrrev_i32_e32 v181, 31, v181
	v_xor_b32_e32 v74, s22, v74
	v_cmp_gt_i32_e64 s22, 0, v183
	v_and_b32_e32 v71, v71, v73
	v_not_b32_e32 v73, v180
	v_ashrrev_i32_e32 v182, 31, v182
	v_xor_b32_e32 v181, vcc_lo, v181
	v_cmp_gt_i32_e32 vcc_lo, 0, v180
	v_and_b32_e32 v71, v71, v74
	v_ashrrev_i32_e32 v73, 31, v73
	v_xor_b32_e32 v74, s22, v182
	v_mad_u32_u24 v180, v72, 36, v150
	v_mul_u32_u24_e32 v72, 36, v72
	v_and_b32_e32 v71, v71, v181
	v_xor_b32_e32 v73, vcc_lo, v73
	ds_read_b32 v180, v180 offset:544
	v_add_nc_u32_e32 v182, v150, v72
	v_and_b32_e32 v71, v71, v74
	; wave barrier
	v_and_b32_e32 v71, v71, v73
	v_mbcnt_lo_u32_b32 v181, v71, 0
	v_cmp_ne_u32_e64 s22, 0, v71
	v_cmp_eq_u32_e32 vcc_lo, 0, v181
	s_and_b32 s23, s22, vcc_lo
	s_and_saveexec_b32 s22, s23
	s_cbranch_execz .LBB1222_732
; %bb.731:                              ;   in Loop: Header=BB1222_686 Depth=2
	s_waitcnt lgkmcnt(0)
	v_bcnt_u32_b32 v71, v71, v180
	ds_write_b32 v182, v71 offset:544
.LBB1222_732:                           ;   in Loop: Header=BB1222_686 Depth=2
	s_or_b32 exec_lo, exec_lo, s22
	v_cmp_lt_i64_e32 vcc_lo, -1, v[59:60]
	v_ashrrev_i32_e32 v72, 31, v60
	; wave barrier
	v_xor_b32_e32 v59, v72, v59
	v_cndmask_b32_e64 v71, -1, 0x80000000, vcc_lo
	v_xor_b32_e32 v60, v71, v60
	v_cmp_ne_u64_e32 vcc_lo, s[46:47], v[59:60]
	v_cndmask_b32_e32 v72, 0x80000000, v60, vcc_lo
	v_cndmask_b32_e32 v71, 0, v59, vcc_lo
	v_lshrrev_b64 v[71:72], s52, v[71:72]
	v_and_b32_e32 v72, s64, v71
	v_and_b32_e32 v71, 1, v72
	v_lshlrev_b32_e32 v73, 30, v72
	v_lshlrev_b32_e32 v74, 29, v72
	;; [unrolled: 1-line block ×4, first 2 shown]
	v_add_co_u32 v71, s22, v71, -1
	v_cndmask_b32_e64 v183, 0, 1, s22
	v_not_b32_e32 v187, v73
	v_cmp_gt_i32_e64 s22, 0, v73
	v_not_b32_e32 v73, v74
	v_lshlrev_b32_e32 v186, 26, v72
	v_cmp_ne_u32_e32 vcc_lo, 0, v183
	v_ashrrev_i32_e32 v187, 31, v187
	v_lshlrev_b32_e32 v183, 25, v72
	v_ashrrev_i32_e32 v73, 31, v73
	v_xor_b32_e32 v71, vcc_lo, v71
	v_cmp_gt_i32_e32 vcc_lo, 0, v74
	v_not_b32_e32 v74, v184
	v_xor_b32_e32 v187, s22, v187
	v_cmp_gt_i32_e64 s22, 0, v184
	v_and_b32_e32 v71, exec_lo, v71
	v_not_b32_e32 v184, v185
	v_ashrrev_i32_e32 v74, 31, v74
	v_xor_b32_e32 v73, vcc_lo, v73
	v_cmp_gt_i32_e32 vcc_lo, 0, v185
	v_and_b32_e32 v71, v71, v187
	v_not_b32_e32 v185, v186
	v_ashrrev_i32_e32 v184, 31, v184
	v_xor_b32_e32 v74, s22, v74
	v_cmp_gt_i32_e64 s22, 0, v186
	v_and_b32_e32 v71, v71, v73
	v_not_b32_e32 v73, v183
	v_ashrrev_i32_e32 v185, 31, v185
	v_xor_b32_e32 v184, vcc_lo, v184
	v_cmp_gt_i32_e32 vcc_lo, 0, v183
	v_and_b32_e32 v71, v71, v74
	v_ashrrev_i32_e32 v73, 31, v73
	v_xor_b32_e32 v74, s22, v185
	v_mad_u32_u24 v183, v72, 36, v150
	v_mul_u32_u24_e32 v72, 36, v72
	v_and_b32_e32 v71, v71, v184
	v_xor_b32_e32 v73, vcc_lo, v73
	ds_read_b32 v183, v183 offset:544
	v_add_nc_u32_e32 v185, v150, v72
	v_and_b32_e32 v71, v71, v74
	; wave barrier
	v_and_b32_e32 v71, v71, v73
	v_mbcnt_lo_u32_b32 v184, v71, 0
	v_cmp_ne_u32_e64 s22, 0, v71
	v_cmp_eq_u32_e32 vcc_lo, 0, v184
	s_and_b32 s23, s22, vcc_lo
	s_and_saveexec_b32 s22, s23
	s_cbranch_execz .LBB1222_734
; %bb.733:                              ;   in Loop: Header=BB1222_686 Depth=2
	s_waitcnt lgkmcnt(0)
	v_bcnt_u32_b32 v71, v71, v183
	ds_write_b32 v185, v71 offset:544
.LBB1222_734:                           ;   in Loop: Header=BB1222_686 Depth=2
	s_or_b32 exec_lo, exec_lo, s22
	v_cmp_lt_i64_e32 vcc_lo, -1, v[63:64]
	v_ashrrev_i32_e32 v72, 31, v64
	; wave barrier
	v_xor_b32_e32 v63, v72, v63
	v_cndmask_b32_e64 v71, -1, 0x80000000, vcc_lo
	v_xor_b32_e32 v64, v71, v64
	v_cmp_ne_u64_e32 vcc_lo, s[46:47], v[63:64]
	v_cndmask_b32_e32 v72, 0x80000000, v64, vcc_lo
	v_cndmask_b32_e32 v71, 0, v63, vcc_lo
	v_lshrrev_b64 v[71:72], s52, v[71:72]
	v_and_b32_e32 v72, s64, v71
	v_and_b32_e32 v71, 1, v72
	v_lshlrev_b32_e32 v73, 30, v72
	v_lshlrev_b32_e32 v74, 29, v72
	;; [unrolled: 1-line block ×4, first 2 shown]
	v_add_co_u32 v71, s22, v71, -1
	v_cndmask_b32_e64 v186, 0, 1, s22
	v_not_b32_e32 v190, v73
	v_cmp_gt_i32_e64 s22, 0, v73
	v_not_b32_e32 v73, v74
	v_lshlrev_b32_e32 v189, 26, v72
	v_cmp_ne_u32_e32 vcc_lo, 0, v186
	v_ashrrev_i32_e32 v190, 31, v190
	v_lshlrev_b32_e32 v186, 25, v72
	v_ashrrev_i32_e32 v73, 31, v73
	v_xor_b32_e32 v71, vcc_lo, v71
	v_cmp_gt_i32_e32 vcc_lo, 0, v74
	v_not_b32_e32 v74, v187
	v_xor_b32_e32 v190, s22, v190
	v_cmp_gt_i32_e64 s22, 0, v187
	v_and_b32_e32 v71, exec_lo, v71
	v_not_b32_e32 v187, v188
	v_ashrrev_i32_e32 v74, 31, v74
	v_xor_b32_e32 v73, vcc_lo, v73
	v_cmp_gt_i32_e32 vcc_lo, 0, v188
	v_and_b32_e32 v71, v71, v190
	v_not_b32_e32 v188, v189
	v_ashrrev_i32_e32 v187, 31, v187
	v_xor_b32_e32 v74, s22, v74
	v_cmp_gt_i32_e64 s22, 0, v189
	v_and_b32_e32 v71, v71, v73
	v_not_b32_e32 v73, v186
	v_ashrrev_i32_e32 v188, 31, v188
	v_xor_b32_e32 v187, vcc_lo, v187
	v_cmp_gt_i32_e32 vcc_lo, 0, v186
	v_and_b32_e32 v71, v71, v74
	v_ashrrev_i32_e32 v73, 31, v73
	v_xor_b32_e32 v74, s22, v188
	v_mad_u32_u24 v186, v72, 36, v150
	v_mul_u32_u24_e32 v72, 36, v72
	v_and_b32_e32 v71, v71, v187
	v_xor_b32_e32 v73, vcc_lo, v73
	ds_read_b32 v186, v186 offset:544
	v_add_nc_u32_e32 v188, v150, v72
	v_and_b32_e32 v71, v71, v74
	; wave barrier
	v_and_b32_e32 v71, v71, v73
	v_mbcnt_lo_u32_b32 v187, v71, 0
	v_cmp_ne_u32_e64 s22, 0, v71
	v_cmp_eq_u32_e32 vcc_lo, 0, v187
	s_and_b32 s23, s22, vcc_lo
	s_and_saveexec_b32 s22, s23
	s_cbranch_execz .LBB1222_736
; %bb.735:                              ;   in Loop: Header=BB1222_686 Depth=2
	s_waitcnt lgkmcnt(0)
	v_bcnt_u32_b32 v71, v71, v186
	ds_write_b32 v188, v71 offset:544
.LBB1222_736:                           ;   in Loop: Header=BB1222_686 Depth=2
	s_or_b32 exec_lo, exec_lo, s22
	v_cmp_lt_i64_e32 vcc_lo, -1, v[67:68]
	v_ashrrev_i32_e32 v72, 31, v68
	; wave barrier
	v_xor_b32_e32 v67, v72, v67
	v_cndmask_b32_e64 v71, -1, 0x80000000, vcc_lo
	v_xor_b32_e32 v68, v71, v68
	v_cmp_ne_u64_e32 vcc_lo, s[46:47], v[67:68]
	v_cndmask_b32_e32 v72, 0x80000000, v68, vcc_lo
	v_cndmask_b32_e32 v71, 0, v67, vcc_lo
	v_lshrrev_b64 v[71:72], s52, v[71:72]
	v_and_b32_e32 v72, s64, v71
	v_and_b32_e32 v71, 1, v72
	v_lshlrev_b32_e32 v73, 30, v72
	v_lshlrev_b32_e32 v74, 29, v72
	;; [unrolled: 1-line block ×4, first 2 shown]
	v_add_co_u32 v71, s22, v71, -1
	v_cndmask_b32_e64 v189, 0, 1, s22
	v_not_b32_e32 v193, v73
	v_cmp_gt_i32_e64 s22, 0, v73
	v_not_b32_e32 v73, v74
	v_lshlrev_b32_e32 v192, 26, v72
	v_cmp_ne_u32_e32 vcc_lo, 0, v189
	v_ashrrev_i32_e32 v193, 31, v193
	v_lshlrev_b32_e32 v189, 25, v72
	v_ashrrev_i32_e32 v73, 31, v73
	v_xor_b32_e32 v71, vcc_lo, v71
	v_cmp_gt_i32_e32 vcc_lo, 0, v74
	v_not_b32_e32 v74, v190
	v_xor_b32_e32 v193, s22, v193
	v_cmp_gt_i32_e64 s22, 0, v190
	v_and_b32_e32 v71, exec_lo, v71
	v_not_b32_e32 v190, v191
	v_ashrrev_i32_e32 v74, 31, v74
	v_xor_b32_e32 v73, vcc_lo, v73
	v_cmp_gt_i32_e32 vcc_lo, 0, v191
	v_and_b32_e32 v71, v71, v193
	v_not_b32_e32 v191, v192
	v_ashrrev_i32_e32 v190, 31, v190
	v_xor_b32_e32 v74, s22, v74
	v_cmp_gt_i32_e64 s22, 0, v192
	v_and_b32_e32 v71, v71, v73
	v_not_b32_e32 v73, v189
	v_ashrrev_i32_e32 v191, 31, v191
	v_xor_b32_e32 v190, vcc_lo, v190
	v_cmp_gt_i32_e32 vcc_lo, 0, v189
	v_and_b32_e32 v71, v71, v74
	v_ashrrev_i32_e32 v73, 31, v73
	v_xor_b32_e32 v74, s22, v191
	v_mad_u32_u24 v189, v72, 36, v150
	v_mul_u32_u24_e32 v72, 36, v72
	v_and_b32_e32 v71, v71, v190
	v_xor_b32_e32 v73, vcc_lo, v73
	ds_read_b32 v189, v189 offset:544
	v_add_nc_u32_e32 v191, v150, v72
	v_and_b32_e32 v71, v71, v74
	; wave barrier
	v_and_b32_e32 v71, v71, v73
	v_mbcnt_lo_u32_b32 v190, v71, 0
	v_cmp_ne_u32_e64 s22, 0, v71
	v_cmp_eq_u32_e32 vcc_lo, 0, v190
	s_and_b32 s23, s22, vcc_lo
	s_and_saveexec_b32 s22, s23
	s_cbranch_execz .LBB1222_738
; %bb.737:                              ;   in Loop: Header=BB1222_686 Depth=2
	s_waitcnt lgkmcnt(0)
	v_bcnt_u32_b32 v71, v71, v189
	ds_write_b32 v191, v71 offset:544
.LBB1222_738:                           ;   in Loop: Header=BB1222_686 Depth=2
	s_or_b32 exec_lo, exec_lo, s22
	v_cmp_lt_i64_e32 vcc_lo, -1, v[69:70]
	v_ashrrev_i32_e32 v72, 31, v70
	; wave barrier
	v_xor_b32_e32 v69, v72, v69
	v_cndmask_b32_e64 v71, -1, 0x80000000, vcc_lo
	v_xor_b32_e32 v70, v71, v70
	v_cmp_ne_u64_e32 vcc_lo, s[46:47], v[69:70]
	v_cndmask_b32_e32 v72, 0x80000000, v70, vcc_lo
	v_cndmask_b32_e32 v71, 0, v69, vcc_lo
	v_lshrrev_b64 v[71:72], s52, v[71:72]
	v_and_b32_e32 v72, s64, v71
	v_and_b32_e32 v71, 1, v72
	v_lshlrev_b32_e32 v73, 30, v72
	v_lshlrev_b32_e32 v74, 29, v72
	;; [unrolled: 1-line block ×4, first 2 shown]
	v_add_co_u32 v71, s22, v71, -1
	v_cndmask_b32_e64 v192, 0, 1, s22
	v_not_b32_e32 v196, v73
	v_cmp_gt_i32_e64 s22, 0, v73
	v_not_b32_e32 v73, v74
	v_lshlrev_b32_e32 v195, 26, v72
	v_cmp_ne_u32_e32 vcc_lo, 0, v192
	v_ashrrev_i32_e32 v196, 31, v196
	v_lshlrev_b32_e32 v192, 25, v72
	v_ashrrev_i32_e32 v73, 31, v73
	v_xor_b32_e32 v71, vcc_lo, v71
	v_cmp_gt_i32_e32 vcc_lo, 0, v74
	v_not_b32_e32 v74, v193
	v_xor_b32_e32 v196, s22, v196
	v_cmp_gt_i32_e64 s22, 0, v193
	v_and_b32_e32 v71, exec_lo, v71
	v_not_b32_e32 v193, v194
	v_ashrrev_i32_e32 v74, 31, v74
	v_xor_b32_e32 v73, vcc_lo, v73
	v_cmp_gt_i32_e32 vcc_lo, 0, v194
	v_and_b32_e32 v71, v71, v196
	v_not_b32_e32 v194, v195
	v_ashrrev_i32_e32 v193, 31, v193
	v_xor_b32_e32 v74, s22, v74
	v_cmp_gt_i32_e64 s22, 0, v195
	v_and_b32_e32 v71, v71, v73
	v_not_b32_e32 v73, v192
	v_ashrrev_i32_e32 v194, 31, v194
	v_xor_b32_e32 v193, vcc_lo, v193
	v_cmp_gt_i32_e32 vcc_lo, 0, v192
	v_and_b32_e32 v71, v71, v74
	v_ashrrev_i32_e32 v73, 31, v73
	v_xor_b32_e32 v74, s22, v194
	v_mad_u32_u24 v192, v72, 36, v150
	v_mul_u32_u24_e32 v72, 36, v72
	v_and_b32_e32 v71, v71, v193
	v_xor_b32_e32 v73, vcc_lo, v73
	ds_read_b32 v192, v192 offset:544
	v_add_nc_u32_e32 v194, v150, v72
	v_and_b32_e32 v71, v71, v74
	; wave barrier
	v_and_b32_e32 v71, v71, v73
	v_mbcnt_lo_u32_b32 v193, v71, 0
	v_cmp_ne_u32_e64 s22, 0, v71
	v_cmp_eq_u32_e32 vcc_lo, 0, v193
	s_and_b32 s23, s22, vcc_lo
	s_and_saveexec_b32 s22, s23
	s_cbranch_execz .LBB1222_740
; %bb.739:                              ;   in Loop: Header=BB1222_686 Depth=2
	s_waitcnt lgkmcnt(0)
	v_bcnt_u32_b32 v71, v71, v192
	ds_write_b32 v194, v71 offset:544
.LBB1222_740:                           ;   in Loop: Header=BB1222_686 Depth=2
	s_or_b32 exec_lo, exec_lo, s22
	v_cmp_lt_i64_e32 vcc_lo, -1, v[65:66]
	v_ashrrev_i32_e32 v72, 31, v66
	; wave barrier
	v_xor_b32_e32 v65, v72, v65
	v_cndmask_b32_e64 v71, -1, 0x80000000, vcc_lo
	v_xor_b32_e32 v66, v71, v66
	v_cmp_ne_u64_e32 vcc_lo, s[46:47], v[65:66]
	v_cndmask_b32_e32 v72, 0x80000000, v66, vcc_lo
	v_cndmask_b32_e32 v71, 0, v65, vcc_lo
	v_lshrrev_b64 v[71:72], s52, v[71:72]
	v_and_b32_e32 v72, s64, v71
	v_and_b32_e32 v71, 1, v72
	v_lshlrev_b32_e32 v73, 30, v72
	v_lshlrev_b32_e32 v74, 29, v72
	;; [unrolled: 1-line block ×4, first 2 shown]
	v_add_co_u32 v71, s22, v71, -1
	v_cndmask_b32_e64 v195, 0, 1, s22
	v_not_b32_e32 v199, v73
	v_cmp_gt_i32_e64 s22, 0, v73
	v_not_b32_e32 v73, v74
	v_lshlrev_b32_e32 v198, 26, v72
	v_cmp_ne_u32_e32 vcc_lo, 0, v195
	v_ashrrev_i32_e32 v199, 31, v199
	v_lshlrev_b32_e32 v195, 25, v72
	v_ashrrev_i32_e32 v73, 31, v73
	v_xor_b32_e32 v71, vcc_lo, v71
	v_cmp_gt_i32_e32 vcc_lo, 0, v74
	v_not_b32_e32 v74, v196
	v_xor_b32_e32 v199, s22, v199
	v_cmp_gt_i32_e64 s22, 0, v196
	v_and_b32_e32 v71, exec_lo, v71
	v_not_b32_e32 v196, v197
	v_ashrrev_i32_e32 v74, 31, v74
	v_xor_b32_e32 v73, vcc_lo, v73
	v_cmp_gt_i32_e32 vcc_lo, 0, v197
	v_and_b32_e32 v71, v71, v199
	v_not_b32_e32 v197, v198
	v_ashrrev_i32_e32 v196, 31, v196
	v_xor_b32_e32 v74, s22, v74
	v_cmp_gt_i32_e64 s22, 0, v198
	v_and_b32_e32 v71, v71, v73
	v_not_b32_e32 v73, v195
	v_ashrrev_i32_e32 v197, 31, v197
	v_xor_b32_e32 v196, vcc_lo, v196
	v_cmp_gt_i32_e32 vcc_lo, 0, v195
	v_and_b32_e32 v71, v71, v74
	v_ashrrev_i32_e32 v73, 31, v73
	v_xor_b32_e32 v74, s22, v197
	v_mad_u32_u24 v195, v72, 36, v150
	v_mul_u32_u24_e32 v72, 36, v72
	v_and_b32_e32 v71, v71, v196
	v_xor_b32_e32 v73, vcc_lo, v73
	ds_read_b32 v195, v195 offset:544
	v_add_nc_u32_e32 v198, v150, v72
	v_and_b32_e32 v71, v71, v74
	; wave barrier
	v_and_b32_e32 v71, v71, v73
	v_mbcnt_lo_u32_b32 v196, v71, 0
	v_cmp_ne_u32_e64 s22, 0, v71
	v_cmp_eq_u32_e32 vcc_lo, 0, v196
	s_and_b32 s23, s22, vcc_lo
	s_and_saveexec_b32 s22, s23
	s_cbranch_execz .LBB1222_742
; %bb.741:                              ;   in Loop: Header=BB1222_686 Depth=2
	s_waitcnt lgkmcnt(0)
	v_bcnt_u32_b32 v71, v71, v195
	ds_write_b32 v198, v71 offset:544
.LBB1222_742:                           ;   in Loop: Header=BB1222_686 Depth=2
	s_or_b32 exec_lo, exec_lo, s22
	v_cmp_lt_i64_e32 vcc_lo, -1, v[61:62]
	v_ashrrev_i32_e32 v72, 31, v62
	; wave barrier
	v_xor_b32_e32 v61, v72, v61
	v_cndmask_b32_e64 v71, -1, 0x80000000, vcc_lo
	v_xor_b32_e32 v62, v71, v62
	v_cmp_ne_u64_e32 vcc_lo, s[46:47], v[61:62]
	v_cndmask_b32_e32 v72, 0x80000000, v62, vcc_lo
	v_cndmask_b32_e32 v71, 0, v61, vcc_lo
	v_lshrrev_b64 v[71:72], s52, v[71:72]
	v_and_b32_e32 v72, s64, v71
	v_and_b32_e32 v71, 1, v72
	v_lshlrev_b32_e32 v73, 30, v72
	v_lshlrev_b32_e32 v74, 29, v72
	v_lshlrev_b32_e32 v199, 28, v72
	v_lshlrev_b32_e32 v200, 27, v72
	v_add_co_u32 v71, s22, v71, -1
	v_cndmask_b32_e64 v197, 0, 1, s22
	v_not_b32_e32 v202, v73
	v_cmp_gt_i32_e64 s22, 0, v73
	v_not_b32_e32 v73, v74
	v_lshlrev_b32_e32 v201, 26, v72
	v_cmp_ne_u32_e32 vcc_lo, 0, v197
	v_ashrrev_i32_e32 v202, 31, v202
	v_lshlrev_b32_e32 v197, 25, v72
	v_ashrrev_i32_e32 v73, 31, v73
	v_xor_b32_e32 v71, vcc_lo, v71
	v_cmp_gt_i32_e32 vcc_lo, 0, v74
	v_not_b32_e32 v74, v199
	v_xor_b32_e32 v202, s22, v202
	v_cmp_gt_i32_e64 s22, 0, v199
	v_and_b32_e32 v71, exec_lo, v71
	v_not_b32_e32 v199, v200
	v_ashrrev_i32_e32 v74, 31, v74
	v_xor_b32_e32 v73, vcc_lo, v73
	v_cmp_gt_i32_e32 vcc_lo, 0, v200
	v_and_b32_e32 v71, v71, v202
	v_not_b32_e32 v200, v201
	v_ashrrev_i32_e32 v199, 31, v199
	v_xor_b32_e32 v74, s22, v74
	v_cmp_gt_i32_e64 s22, 0, v201
	v_and_b32_e32 v71, v71, v73
	v_not_b32_e32 v73, v197
	v_ashrrev_i32_e32 v200, 31, v200
	v_xor_b32_e32 v199, vcc_lo, v199
	v_cmp_gt_i32_e32 vcc_lo, 0, v197
	v_and_b32_e32 v71, v71, v74
	v_ashrrev_i32_e32 v73, 31, v73
	v_xor_b32_e32 v74, s22, v200
	v_mad_u32_u24 v197, v72, 36, v150
	v_mul_u32_u24_e32 v72, 36, v72
	v_and_b32_e32 v71, v71, v199
	v_xor_b32_e32 v73, vcc_lo, v73
	ds_read_b32 v197, v197 offset:544
	v_add_nc_u32_e32 v202, v150, v72
	v_and_b32_e32 v71, v71, v74
	; wave barrier
	v_and_b32_e32 v71, v71, v73
	v_mbcnt_lo_u32_b32 v199, v71, 0
	v_cmp_ne_u32_e64 s22, 0, v71
	v_cmp_eq_u32_e32 vcc_lo, 0, v199
	s_and_b32 s23, s22, vcc_lo
	s_and_saveexec_b32 s22, s23
	s_cbranch_execz .LBB1222_744
; %bb.743:                              ;   in Loop: Header=BB1222_686 Depth=2
	s_waitcnt lgkmcnt(0)
	v_bcnt_u32_b32 v71, v71, v197
	ds_write_b32 v202, v71 offset:544
.LBB1222_744:                           ;   in Loop: Header=BB1222_686 Depth=2
	s_or_b32 exec_lo, exec_lo, s22
	v_cmp_lt_i64_e32 vcc_lo, -1, v[57:58]
	v_ashrrev_i32_e32 v72, 31, v58
	; wave barrier
	v_xor_b32_e32 v57, v72, v57
	v_cndmask_b32_e64 v71, -1, 0x80000000, vcc_lo
	v_xor_b32_e32 v58, v71, v58
	v_cmp_ne_u64_e32 vcc_lo, s[46:47], v[57:58]
	v_cndmask_b32_e32 v72, 0x80000000, v58, vcc_lo
	v_cndmask_b32_e32 v71, 0, v57, vcc_lo
	v_lshrrev_b64 v[71:72], s52, v[71:72]
	v_and_b32_e32 v72, s64, v71
	v_and_b32_e32 v71, 1, v72
	v_lshlrev_b32_e32 v73, 30, v72
	v_lshlrev_b32_e32 v74, 29, v72
	;; [unrolled: 1-line block ×4, first 2 shown]
	v_add_co_u32 v71, s22, v71, -1
	v_cndmask_b32_e64 v200, 0, 1, s22
	v_not_b32_e32 v205, v73
	v_cmp_gt_i32_e64 s22, 0, v73
	v_not_b32_e32 v73, v74
	v_lshlrev_b32_e32 v204, 26, v72
	v_cmp_ne_u32_e32 vcc_lo, 0, v200
	v_ashrrev_i32_e32 v205, 31, v205
	v_lshlrev_b32_e32 v200, 25, v72
	v_ashrrev_i32_e32 v73, 31, v73
	v_xor_b32_e32 v71, vcc_lo, v71
	v_cmp_gt_i32_e32 vcc_lo, 0, v74
	v_not_b32_e32 v74, v201
	v_xor_b32_e32 v205, s22, v205
	v_cmp_gt_i32_e64 s22, 0, v201
	v_and_b32_e32 v71, exec_lo, v71
	v_not_b32_e32 v201, v203
	v_ashrrev_i32_e32 v74, 31, v74
	v_xor_b32_e32 v73, vcc_lo, v73
	v_cmp_gt_i32_e32 vcc_lo, 0, v203
	v_and_b32_e32 v71, v71, v205
	v_not_b32_e32 v203, v204
	v_ashrrev_i32_e32 v201, 31, v201
	v_xor_b32_e32 v74, s22, v74
	v_cmp_gt_i32_e64 s22, 0, v204
	v_and_b32_e32 v71, v71, v73
	v_not_b32_e32 v73, v200
	v_ashrrev_i32_e32 v203, 31, v203
	v_xor_b32_e32 v201, vcc_lo, v201
	v_cmp_gt_i32_e32 vcc_lo, 0, v200
	v_and_b32_e32 v71, v71, v74
	v_ashrrev_i32_e32 v73, 31, v73
	v_xor_b32_e32 v74, s22, v203
	v_mad_u32_u24 v200, v72, 36, v150
	v_mul_u32_u24_e32 v72, 36, v72
	v_and_b32_e32 v71, v71, v201
	v_xor_b32_e32 v73, vcc_lo, v73
	ds_read_b32 v200, v200 offset:544
	v_add_nc_u32_e32 v205, v150, v72
	v_and_b32_e32 v71, v71, v74
	; wave barrier
	v_and_b32_e32 v71, v71, v73
	v_mbcnt_lo_u32_b32 v201, v71, 0
	v_cmp_ne_u32_e64 s22, 0, v71
	v_cmp_eq_u32_e32 vcc_lo, 0, v201
	s_and_b32 s23, s22, vcc_lo
	s_and_saveexec_b32 s22, s23
	s_cbranch_execz .LBB1222_746
; %bb.745:                              ;   in Loop: Header=BB1222_686 Depth=2
	s_waitcnt lgkmcnt(0)
	v_bcnt_u32_b32 v71, v71, v200
	ds_write_b32 v205, v71 offset:544
.LBB1222_746:                           ;   in Loop: Header=BB1222_686 Depth=2
	s_or_b32 exec_lo, exec_lo, s22
	v_cmp_lt_i64_e32 vcc_lo, -1, v[53:54]
	v_ashrrev_i32_e32 v72, 31, v54
	; wave barrier
	v_xor_b32_e32 v53, v72, v53
	v_cndmask_b32_e64 v71, -1, 0x80000000, vcc_lo
	v_xor_b32_e32 v54, v71, v54
	v_cmp_ne_u64_e32 vcc_lo, s[46:47], v[53:54]
	v_cndmask_b32_e32 v72, 0x80000000, v54, vcc_lo
	v_cndmask_b32_e32 v71, 0, v53, vcc_lo
	v_lshrrev_b64 v[71:72], s52, v[71:72]
	v_and_b32_e32 v72, s64, v71
	v_and_b32_e32 v71, 1, v72
	v_lshlrev_b32_e32 v73, 30, v72
	v_lshlrev_b32_e32 v74, 29, v72
	;; [unrolled: 1-line block ×4, first 2 shown]
	v_add_co_u32 v71, s22, v71, -1
	v_cndmask_b32_e64 v203, 0, 1, s22
	v_not_b32_e32 v208, v73
	v_cmp_gt_i32_e64 s22, 0, v73
	v_not_b32_e32 v73, v74
	v_lshlrev_b32_e32 v207, 26, v72
	v_cmp_ne_u32_e32 vcc_lo, 0, v203
	v_ashrrev_i32_e32 v208, 31, v208
	v_lshlrev_b32_e32 v203, 25, v72
	v_ashrrev_i32_e32 v73, 31, v73
	v_xor_b32_e32 v71, vcc_lo, v71
	v_cmp_gt_i32_e32 vcc_lo, 0, v74
	v_not_b32_e32 v74, v204
	v_xor_b32_e32 v208, s22, v208
	v_cmp_gt_i32_e64 s22, 0, v204
	v_and_b32_e32 v71, exec_lo, v71
	v_not_b32_e32 v204, v206
	v_ashrrev_i32_e32 v74, 31, v74
	v_xor_b32_e32 v73, vcc_lo, v73
	v_cmp_gt_i32_e32 vcc_lo, 0, v206
	v_and_b32_e32 v71, v71, v208
	v_not_b32_e32 v206, v207
	v_ashrrev_i32_e32 v204, 31, v204
	v_xor_b32_e32 v74, s22, v74
	v_cmp_gt_i32_e64 s22, 0, v207
	v_and_b32_e32 v71, v71, v73
	v_not_b32_e32 v73, v203
	v_ashrrev_i32_e32 v206, 31, v206
	v_xor_b32_e32 v204, vcc_lo, v204
	v_cmp_gt_i32_e32 vcc_lo, 0, v203
	v_and_b32_e32 v71, v71, v74
	v_ashrrev_i32_e32 v73, 31, v73
	v_xor_b32_e32 v74, s22, v206
	v_mad_u32_u24 v203, v72, 36, v150
	v_mul_u32_u24_e32 v72, 36, v72
	v_and_b32_e32 v71, v71, v204
	v_xor_b32_e32 v73, vcc_lo, v73
	ds_read_b32 v203, v203 offset:544
	v_add_nc_u32_e32 v208, v150, v72
	v_and_b32_e32 v71, v71, v74
	; wave barrier
	v_and_b32_e32 v71, v71, v73
	v_mbcnt_lo_u32_b32 v204, v71, 0
	v_cmp_ne_u32_e64 s22, 0, v71
	v_cmp_eq_u32_e32 vcc_lo, 0, v204
	s_and_b32 s23, s22, vcc_lo
	s_and_saveexec_b32 s22, s23
	s_cbranch_execz .LBB1222_748
; %bb.747:                              ;   in Loop: Header=BB1222_686 Depth=2
	s_waitcnt lgkmcnt(0)
	v_bcnt_u32_b32 v71, v71, v203
	ds_write_b32 v208, v71 offset:544
.LBB1222_748:                           ;   in Loop: Header=BB1222_686 Depth=2
	s_or_b32 exec_lo, exec_lo, s22
	v_cmp_lt_i64_e32 vcc_lo, -1, v[51:52]
	v_ashrrev_i32_e32 v72, 31, v52
	; wave barrier
	v_xor_b32_e32 v51, v72, v51
	v_cndmask_b32_e64 v71, -1, 0x80000000, vcc_lo
	v_xor_b32_e32 v52, v71, v52
	v_cmp_ne_u64_e32 vcc_lo, s[46:47], v[51:52]
	v_cndmask_b32_e32 v72, 0x80000000, v52, vcc_lo
	v_cndmask_b32_e32 v71, 0, v51, vcc_lo
	v_lshrrev_b64 v[71:72], s52, v[71:72]
	v_and_b32_e32 v72, s64, v71
	v_and_b32_e32 v71, 1, v72
	v_lshlrev_b32_e32 v73, 30, v72
	v_lshlrev_b32_e32 v74, 29, v72
	;; [unrolled: 1-line block ×4, first 2 shown]
	v_add_co_u32 v71, s22, v71, -1
	v_cndmask_b32_e64 v206, 0, 1, s22
	v_not_b32_e32 v211, v73
	v_cmp_gt_i32_e64 s22, 0, v73
	v_not_b32_e32 v73, v74
	v_lshlrev_b32_e32 v210, 26, v72
	v_cmp_ne_u32_e32 vcc_lo, 0, v206
	v_ashrrev_i32_e32 v211, 31, v211
	v_lshlrev_b32_e32 v206, 25, v72
	v_ashrrev_i32_e32 v73, 31, v73
	v_xor_b32_e32 v71, vcc_lo, v71
	v_cmp_gt_i32_e32 vcc_lo, 0, v74
	v_not_b32_e32 v74, v207
	v_xor_b32_e32 v211, s22, v211
	v_cmp_gt_i32_e64 s22, 0, v207
	v_and_b32_e32 v71, exec_lo, v71
	v_not_b32_e32 v207, v209
	v_ashrrev_i32_e32 v74, 31, v74
	v_xor_b32_e32 v73, vcc_lo, v73
	v_cmp_gt_i32_e32 vcc_lo, 0, v209
	v_and_b32_e32 v71, v71, v211
	v_not_b32_e32 v209, v210
	v_ashrrev_i32_e32 v207, 31, v207
	v_xor_b32_e32 v74, s22, v74
	v_cmp_gt_i32_e64 s22, 0, v210
	v_and_b32_e32 v71, v71, v73
	v_not_b32_e32 v73, v206
	v_ashrrev_i32_e32 v209, 31, v209
	v_xor_b32_e32 v207, vcc_lo, v207
	v_cmp_gt_i32_e32 vcc_lo, 0, v206
	v_and_b32_e32 v71, v71, v74
	v_ashrrev_i32_e32 v73, 31, v73
	v_xor_b32_e32 v74, s22, v209
	v_mad_u32_u24 v206, v72, 36, v150
	v_mul_u32_u24_e32 v72, 36, v72
	v_and_b32_e32 v71, v71, v207
	v_xor_b32_e32 v73, vcc_lo, v73
	ds_read_b32 v206, v206 offset:544
	v_add_nc_u32_e32 v211, v150, v72
	v_and_b32_e32 v71, v71, v74
	; wave barrier
	v_and_b32_e32 v71, v71, v73
	v_mbcnt_lo_u32_b32 v207, v71, 0
	v_cmp_ne_u32_e64 s22, 0, v71
	v_cmp_eq_u32_e32 vcc_lo, 0, v207
	s_and_b32 s23, s22, vcc_lo
	s_and_saveexec_b32 s22, s23
	s_cbranch_execz .LBB1222_750
; %bb.749:                              ;   in Loop: Header=BB1222_686 Depth=2
	s_waitcnt lgkmcnt(0)
	v_bcnt_u32_b32 v71, v71, v206
	ds_write_b32 v211, v71 offset:544
.LBB1222_750:                           ;   in Loop: Header=BB1222_686 Depth=2
	s_or_b32 exec_lo, exec_lo, s22
	v_cmp_lt_i64_e32 vcc_lo, -1, v[45:46]
	v_ashrrev_i32_e32 v72, 31, v46
	; wave barrier
	v_xor_b32_e32 v45, v72, v45
	v_cndmask_b32_e64 v71, -1, 0x80000000, vcc_lo
	v_xor_b32_e32 v46, v71, v46
	v_cmp_ne_u64_e32 vcc_lo, s[46:47], v[45:46]
	v_cndmask_b32_e32 v72, 0x80000000, v46, vcc_lo
	v_cndmask_b32_e32 v71, 0, v45, vcc_lo
	v_lshrrev_b64 v[71:72], s52, v[71:72]
	v_and_b32_e32 v72, s64, v71
	v_and_b32_e32 v71, 1, v72
	v_lshlrev_b32_e32 v73, 30, v72
	v_lshlrev_b32_e32 v74, 29, v72
	;; [unrolled: 1-line block ×4, first 2 shown]
	v_add_co_u32 v71, s22, v71, -1
	v_cndmask_b32_e64 v209, 0, 1, s22
	v_not_b32_e32 v214, v73
	v_cmp_gt_i32_e64 s22, 0, v73
	v_not_b32_e32 v73, v74
	v_lshlrev_b32_e32 v213, 26, v72
	v_cmp_ne_u32_e32 vcc_lo, 0, v209
	v_ashrrev_i32_e32 v214, 31, v214
	v_lshlrev_b32_e32 v209, 25, v72
	v_ashrrev_i32_e32 v73, 31, v73
	v_xor_b32_e32 v71, vcc_lo, v71
	v_cmp_gt_i32_e32 vcc_lo, 0, v74
	v_not_b32_e32 v74, v210
	v_xor_b32_e32 v214, s22, v214
	v_cmp_gt_i32_e64 s22, 0, v210
	v_and_b32_e32 v71, exec_lo, v71
	v_not_b32_e32 v210, v212
	v_ashrrev_i32_e32 v74, 31, v74
	v_xor_b32_e32 v73, vcc_lo, v73
	v_cmp_gt_i32_e32 vcc_lo, 0, v212
	v_and_b32_e32 v71, v71, v214
	v_not_b32_e32 v212, v213
	v_ashrrev_i32_e32 v210, 31, v210
	v_xor_b32_e32 v74, s22, v74
	v_cmp_gt_i32_e64 s22, 0, v213
	v_and_b32_e32 v71, v71, v73
	v_not_b32_e32 v73, v209
	v_ashrrev_i32_e32 v212, 31, v212
	v_xor_b32_e32 v210, vcc_lo, v210
	v_cmp_gt_i32_e32 vcc_lo, 0, v209
	v_and_b32_e32 v71, v71, v74
	v_ashrrev_i32_e32 v73, 31, v73
	v_xor_b32_e32 v74, s22, v212
	v_mad_u32_u24 v209, v72, 36, v150
	v_mul_u32_u24_e32 v72, 36, v72
	v_and_b32_e32 v71, v71, v210
	v_xor_b32_e32 v73, vcc_lo, v73
	ds_read_b32 v209, v209 offset:544
	v_add_nc_u32_e32 v214, v150, v72
	v_and_b32_e32 v71, v71, v74
	; wave barrier
	v_and_b32_e32 v71, v71, v73
	v_mbcnt_lo_u32_b32 v210, v71, 0
	v_cmp_ne_u32_e64 s22, 0, v71
	v_cmp_eq_u32_e32 vcc_lo, 0, v210
	s_and_b32 s23, s22, vcc_lo
	s_and_saveexec_b32 s22, s23
	s_cbranch_execz .LBB1222_752
; %bb.751:                              ;   in Loop: Header=BB1222_686 Depth=2
	s_waitcnt lgkmcnt(0)
	v_bcnt_u32_b32 v71, v71, v209
	ds_write_b32 v214, v71 offset:544
.LBB1222_752:                           ;   in Loop: Header=BB1222_686 Depth=2
	s_or_b32 exec_lo, exec_lo, s22
	v_cmp_lt_i64_e32 vcc_lo, -1, v[47:48]
	v_ashrrev_i32_e32 v72, 31, v48
	; wave barrier
	v_xor_b32_e32 v47, v72, v47
	v_cndmask_b32_e64 v71, -1, 0x80000000, vcc_lo
	v_xor_b32_e32 v48, v71, v48
	v_cmp_ne_u64_e32 vcc_lo, s[46:47], v[47:48]
	v_cndmask_b32_e32 v72, 0x80000000, v48, vcc_lo
	v_cndmask_b32_e32 v71, 0, v47, vcc_lo
	v_lshrrev_b64 v[71:72], s52, v[71:72]
	v_and_b32_e32 v72, s64, v71
	v_and_b32_e32 v71, 1, v72
	v_lshlrev_b32_e32 v73, 30, v72
	v_lshlrev_b32_e32 v74, 29, v72
	;; [unrolled: 1-line block ×4, first 2 shown]
	v_add_co_u32 v71, s22, v71, -1
	v_cndmask_b32_e64 v212, 0, 1, s22
	v_not_b32_e32 v217, v73
	v_cmp_gt_i32_e64 s22, 0, v73
	v_not_b32_e32 v73, v74
	v_lshlrev_b32_e32 v216, 26, v72
	v_cmp_ne_u32_e32 vcc_lo, 0, v212
	v_ashrrev_i32_e32 v217, 31, v217
	v_lshlrev_b32_e32 v212, 25, v72
	v_ashrrev_i32_e32 v73, 31, v73
	v_xor_b32_e32 v71, vcc_lo, v71
	v_cmp_gt_i32_e32 vcc_lo, 0, v74
	v_not_b32_e32 v74, v213
	v_xor_b32_e32 v217, s22, v217
	v_cmp_gt_i32_e64 s22, 0, v213
	v_and_b32_e32 v71, exec_lo, v71
	v_not_b32_e32 v213, v215
	v_ashrrev_i32_e32 v74, 31, v74
	v_xor_b32_e32 v73, vcc_lo, v73
	v_cmp_gt_i32_e32 vcc_lo, 0, v215
	v_and_b32_e32 v71, v71, v217
	v_not_b32_e32 v215, v216
	v_ashrrev_i32_e32 v213, 31, v213
	v_xor_b32_e32 v74, s22, v74
	v_cmp_gt_i32_e64 s22, 0, v216
	v_and_b32_e32 v71, v71, v73
	v_not_b32_e32 v73, v212
	v_ashrrev_i32_e32 v215, 31, v215
	v_xor_b32_e32 v213, vcc_lo, v213
	v_cmp_gt_i32_e32 vcc_lo, 0, v212
	v_and_b32_e32 v71, v71, v74
	v_ashrrev_i32_e32 v73, 31, v73
	v_xor_b32_e32 v74, s22, v215
	v_mad_u32_u24 v212, v72, 36, v150
	v_mul_u32_u24_e32 v72, 36, v72
	v_and_b32_e32 v71, v71, v213
	v_xor_b32_e32 v73, vcc_lo, v73
	ds_read_b32 v212, v212 offset:544
	v_add_nc_u32_e32 v215, v150, v72
	v_and_b32_e32 v71, v71, v74
	; wave barrier
	v_and_b32_e32 v71, v71, v73
	v_mbcnt_lo_u32_b32 v213, v71, 0
	v_cmp_ne_u32_e64 s22, 0, v71
	v_cmp_eq_u32_e32 vcc_lo, 0, v213
	s_and_b32 s23, s22, vcc_lo
	s_and_saveexec_b32 s22, s23
	s_cbranch_execz .LBB1222_754
; %bb.753:                              ;   in Loop: Header=BB1222_686 Depth=2
	s_waitcnt lgkmcnt(0)
	v_bcnt_u32_b32 v71, v71, v212
	ds_write_b32 v215, v71 offset:544
.LBB1222_754:                           ;   in Loop: Header=BB1222_686 Depth=2
	s_or_b32 exec_lo, exec_lo, s22
	; wave barrier
	s_waitcnt lgkmcnt(0)
	s_barrier
	buffer_gl0_inv
	ds_read2_b32 v[73:74], v100 offset0:136 offset1:137
	ds_read2_b32 v[71:72], v100 offset0:138 offset1:139
	ds_read_b32 v216, v100 offset:560
	s_waitcnt lgkmcnt(1)
	v_add3_u32 v217, v74, v73, v71
	s_waitcnt lgkmcnt(0)
	v_add3_u32 v216, v217, v72, v216
	v_mov_b32_dpp v217, v216 row_shr:1 row_mask:0xf bank_mask:0xf
	v_cndmask_b32_e64 v217, v217, 0, s13
	v_add_nc_u32_e32 v216, v217, v216
	v_mov_b32_dpp v217, v216 row_shr:2 row_mask:0xf bank_mask:0xf
	v_cndmask_b32_e64 v217, 0, v217, s14
	v_add_nc_u32_e32 v216, v216, v217
	;; [unrolled: 3-line block ×4, first 2 shown]
	ds_swizzle_b32 v217, v216 offset:swizzle(BROADCAST,32,15)
	s_waitcnt lgkmcnt(0)
	v_cndmask_b32_e64 v217, v217, 0, s17
	v_add_nc_u32_e32 v216, v216, v217
	s_and_saveexec_b32 s22, s4
; %bb.755:                              ;   in Loop: Header=BB1222_686 Depth=2
	ds_write_b32 v94, v216 offset:512
; %bb.756:                              ;   in Loop: Header=BB1222_686 Depth=2
	s_or_b32 exec_lo, exec_lo, s22
	s_waitcnt lgkmcnt(0)
	s_barrier
	buffer_gl0_inv
	s_and_saveexec_b32 s22, s5
	s_cbranch_execz .LBB1222_758
; %bb.757:                              ;   in Loop: Header=BB1222_686 Depth=2
	ds_read_b32 v217, v101 offset:512
	s_waitcnt lgkmcnt(0)
	v_mov_b32_dpp v218, v217 row_shr:1 row_mask:0xf bank_mask:0xf
	v_cndmask_b32_e64 v218, v218, 0, s19
	v_add_nc_u32_e32 v217, v218, v217
	v_mov_b32_dpp v218, v217 row_shr:2 row_mask:0xf bank_mask:0xf
	v_cndmask_b32_e64 v218, 0, v218, s20
	v_add_nc_u32_e32 v217, v217, v218
	;; [unrolled: 3-line block ×3, first 2 shown]
	ds_write_b32 v101, v217 offset:512
.LBB1222_758:                           ;   in Loop: Header=BB1222_686 Depth=2
	s_or_b32 exec_lo, exec_lo, s22
	v_mov_b32_e32 v217, 0
	s_waitcnt lgkmcnt(0)
	s_barrier
	buffer_gl0_inv
	s_and_saveexec_b32 s22, s10
; %bb.759:                              ;   in Loop: Header=BB1222_686 Depth=2
	ds_read_b32 v217, v94 offset:508
; %bb.760:                              ;   in Loop: Header=BB1222_686 Depth=2
	s_or_b32 exec_lo, exec_lo, s22
	s_waitcnt lgkmcnt(0)
	v_add_nc_u32_e32 v216, v217, v216
	ds_bpermute_b32 v216, v129, v216
	s_waitcnt lgkmcnt(0)
	v_cndmask_b32_e64 v216, v216, v217, s18
	v_cndmask_b32_e64 v216, v216, 0, s11
	v_add_nc_u32_e32 v73, v216, v73
	v_add_nc_u32_e32 v74, v73, v74
	;; [unrolled: 1-line block ×4, first 2 shown]
	ds_write2_b32 v100, v216, v73 offset0:136 offset1:137
	ds_write2_b32 v100, v74, v71 offset0:138 offset1:139
	ds_write_b32 v100, v72 offset:560
	s_waitcnt lgkmcnt(0)
	s_barrier
	buffer_gl0_inv
	ds_read_b32 v71, v170 offset:544
	ds_read_b32 v219, v173 offset:544
	;; [unrolled: 1-line block ×16, first 2 shown]
	s_and_saveexec_b32 s22, s7
	s_cbranch_execz .LBB1222_764
; %bb.761:                              ;   in Loop: Header=BB1222_686 Depth=2
	ds_read_b32 v158, v103 offset:544
	v_mov_b32_e32 v168, 0x1000
	s_and_saveexec_b32 s23, s12
; %bb.762:                              ;   in Loop: Header=BB1222_686 Depth=2
	ds_read_b32 v168, v102 offset:544
; %bb.763:                              ;   in Loop: Header=BB1222_686 Depth=2
	s_or_b32 exec_lo, exec_lo, s23
	s_waitcnt lgkmcnt(0)
	v_sub_nc_u32_e32 v168, v168, v158
.LBB1222_764:                           ;   in Loop: Header=BB1222_686 Depth=2
	s_or_b32 exec_lo, exec_lo, s22
	s_waitcnt lgkmcnt(0)
	s_barrier
	buffer_gl0_inv
	s_and_saveexec_b32 s22, s7
	s_cbranch_execz .LBB1222_766
; %bb.765:                              ;   in Loop: Header=BB1222_686 Depth=2
	ds_read_b32 v194, v75
	s_waitcnt lgkmcnt(0)
	v_sub_nc_u32_e32 v194, v194, v158
	ds_write_b32 v75, v194
.LBB1222_766:                           ;   in Loop: Header=BB1222_686 Depth=2
	s_or_b32 exec_lo, exec_lo, s22
	v_lshlrev_b32_e32 v3, 3, v3
	v_lshlrev_b32_e32 v172, 3, v172
	;; [unrolled: 1-line block ×5, first 2 shown]
	v_lshl_add_u32 v71, v71, 3, v3
	v_lshlrev_b32_e32 v3, 3, v174
	v_lshlrev_b32_e32 v174, 3, v72
	;; [unrolled: 1-line block ×3, first 2 shown]
	v_add3_u32 v72, v172, v171, v194
	ds_write_b64 v71, v[39:40] offset:512
	v_lshlrev_b32_e32 v39, 3, v177
	v_lshlrev_b32_e32 v40, 3, v218
	v_lshlrev_b32_e32 v171, 3, v181
	v_lshlrev_b32_e32 v172, 3, v180
	v_lshlrev_b32_e32 v74, 3, v74
	v_lshlrev_b32_e32 v177, 3, v184
	v_lshlrev_b32_e32 v180, 3, v183
	v_lshlrev_b32_e32 v181, 3, v73
	ds_write_b64 v72, v[41:42] offset:512
	v_add3_u32 v41, v175, v3, v174
	v_add3_u32 v42, v178, v39, v40
	v_lshlrev_b32_e32 v3, 3, v187
	v_lshlrev_b32_e32 v39, 3, v186
	;; [unrolled: 1-line block ×3, first 2 shown]
	v_add3_u32 v73, v171, v172, v74
	v_add3_u32 v74, v177, v180, v181
	ds_write_b64 v41, v[43:44] offset:512
	ds_write_b64 v42, v[49:50] offset:512
	;; [unrolled: 1-line block ×4, first 2 shown]
	v_add3_u32 v43, v3, v39, v40
	v_lshlrev_b32_e32 v3, 3, v190
	v_lshlrev_b32_e32 v39, 3, v189
	;; [unrolled: 1-line block ×12, first 2 shown]
	v_add3_u32 v44, v3, v39, v40
	v_lshlrev_b32_e32 v3, 3, v201
	v_lshlrev_b32_e32 v39, 3, v200
	;; [unrolled: 1-line block ×3, first 2 shown]
	v_add3_u32 v49, v49, v50, v55
	v_add3_u32 v50, v56, v59, v60
	;; [unrolled: 1-line block ×3, first 2 shown]
	ds_write_b64 v43, v[63:64] offset:512
	ds_write_b64 v44, v[67:68] offset:512
	;; [unrolled: 1-line block ×5, first 2 shown]
	v_add3_u32 v56, v3, v39, v40
	v_lshlrev_b32_e32 v3, 3, v204
	v_lshlrev_b32_e32 v39, 3, v203
	;; [unrolled: 1-line block ×12, first 2 shown]
	v_add3_u32 v59, v3, v39, v40
	v_add3_u32 v60, v60, v61, v62
	;; [unrolled: 1-line block ×3, first 2 shown]
	ds_write_b64 v56, v[57:58] offset:512
	v_add3_u32 v57, v66, v67, v68
	v_cmp_lt_u32_e32 vcc_lo, v0, v169
	ds_write_b64 v59, v[53:54] offset:512
	ds_write_b64 v60, v[51:52] offset:512
	;; [unrolled: 1-line block ×4, first 2 shown]
	s_waitcnt lgkmcnt(0)
	s_barrier
	buffer_gl0_inv
	s_and_saveexec_b32 s23, vcc_lo
	s_cbranch_execnz .LBB1222_835
; %bb.767:                              ;   in Loop: Header=BB1222_686 Depth=2
	s_or_b32 exec_lo, exec_lo, s23
	v_cmp_lt_u32_e64 s22, v76, v169
	s_and_saveexec_b32 s24, s22
	s_cbranch_execnz .LBB1222_836
.LBB1222_768:                           ;   in Loop: Header=BB1222_686 Depth=2
	s_or_b32 exec_lo, exec_lo, s24
	v_cmp_lt_u32_e64 s23, v79, v169
	s_and_saveexec_b32 s25, s23
	s_cbranch_execnz .LBB1222_837
.LBB1222_769:                           ;   in Loop: Header=BB1222_686 Depth=2
	s_or_b32 exec_lo, exec_lo, s25
	v_cmp_lt_u32_e64 s24, v80, v169
	s_and_saveexec_b32 s26, s24
	s_cbranch_execnz .LBB1222_838
.LBB1222_770:                           ;   in Loop: Header=BB1222_686 Depth=2
	s_or_b32 exec_lo, exec_lo, s26
	v_cmp_lt_u32_e64 s25, v81, v169
	s_and_saveexec_b32 s27, s25
	s_cbranch_execnz .LBB1222_839
.LBB1222_771:                           ;   in Loop: Header=BB1222_686 Depth=2
	s_or_b32 exec_lo, exec_lo, s27
	v_cmp_lt_u32_e64 s26, v82, v169
	s_and_saveexec_b32 s28, s26
	s_cbranch_execnz .LBB1222_840
.LBB1222_772:                           ;   in Loop: Header=BB1222_686 Depth=2
	s_or_b32 exec_lo, exec_lo, s28
	v_cmp_lt_u32_e64 s27, v83, v169
	s_and_saveexec_b32 s30, s27
	s_cbranch_execnz .LBB1222_841
.LBB1222_773:                           ;   in Loop: Header=BB1222_686 Depth=2
	s_or_b32 exec_lo, exec_lo, s30
	v_cmp_lt_u32_e64 s28, v84, v169
	s_and_saveexec_b32 s31, s28
	s_cbranch_execnz .LBB1222_842
.LBB1222_774:                           ;   in Loop: Header=BB1222_686 Depth=2
	s_or_b32 exec_lo, exec_lo, s31
	v_cmp_lt_u32_e64 s30, v85, v169
	s_and_saveexec_b32 s33, s30
	s_cbranch_execnz .LBB1222_843
.LBB1222_775:                           ;   in Loop: Header=BB1222_686 Depth=2
	s_or_b32 exec_lo, exec_lo, s33
	v_cmp_lt_u32_e64 s31, v86, v169
	s_and_saveexec_b32 s34, s31
	s_cbranch_execnz .LBB1222_844
.LBB1222_776:                           ;   in Loop: Header=BB1222_686 Depth=2
	s_or_b32 exec_lo, exec_lo, s34
	v_cmp_lt_u32_e64 s33, v87, v169
	s_and_saveexec_b32 s35, s33
	s_cbranch_execnz .LBB1222_845
.LBB1222_777:                           ;   in Loop: Header=BB1222_686 Depth=2
	s_or_b32 exec_lo, exec_lo, s35
	v_cmp_lt_u32_e64 s34, v88, v169
	s_and_saveexec_b32 s36, s34
	s_cbranch_execnz .LBB1222_846
.LBB1222_778:                           ;   in Loop: Header=BB1222_686 Depth=2
	s_or_b32 exec_lo, exec_lo, s36
	v_cmp_lt_u32_e64 s35, v89, v169
	s_and_saveexec_b32 s37, s35
	s_cbranch_execnz .LBB1222_847
.LBB1222_779:                           ;   in Loop: Header=BB1222_686 Depth=2
	s_or_b32 exec_lo, exec_lo, s37
	v_cmp_lt_u32_e64 s36, v90, v169
	s_and_saveexec_b32 s38, s36
	s_cbranch_execnz .LBB1222_848
.LBB1222_780:                           ;   in Loop: Header=BB1222_686 Depth=2
	s_or_b32 exec_lo, exec_lo, s38
	v_cmp_lt_u32_e64 s37, v91, v169
	s_and_saveexec_b32 s39, s37
	s_cbranch_execnz .LBB1222_849
.LBB1222_781:                           ;   in Loop: Header=BB1222_686 Depth=2
	s_or_b32 exec_lo, exec_lo, s39
	v_cmp_lt_u32_e64 s38, v92, v169
	s_and_saveexec_b32 s67, s38
	s_cbranch_execz .LBB1222_783
.LBB1222_782:                           ;   in Loop: Header=BB1222_686 Depth=2
	ds_read_b64 v[39:40], v108 offset:31232
	s_waitcnt lgkmcnt(0)
	v_cmp_ne_u64_e64 s39, s[46:47], v[39:40]
	v_cndmask_b32_e64 v46, 0x80000000, v40, s39
	v_cndmask_b32_e64 v45, 0, v39, s39
	v_cmp_lt_i64_e64 s39, -1, v[39:40]
	v_lshrrev_b64 v[45:46], s52, v[45:46]
	v_cndmask_b32_e64 v47, 0x80000000, -1, s39
	v_and_b32_e32 v3, s64, v45
	v_ashrrev_i32_e32 v45, 31, v40
	v_xor_b32_e32 v40, v47, v40
	v_lshlrev_b32_e32 v3, 2, v3
	v_not_b32_e32 v48, v45
	ds_read_b32 v3, v3
	v_xor_b32_e32 v39, v48, v39
	s_waitcnt lgkmcnt(0)
	v_add_nc_u32_e32 v3, v3, v92
	v_lshlrev_b64 v[45:46], 3, v[3:4]
	v_add_co_u32 v45, s39, s42, v45
	v_add_co_ci_u32_e64 v46, null, s43, v46, s39
	global_store_dwordx2 v[45:46], v[39:40], off
.LBB1222_783:                           ;   in Loop: Header=BB1222_686 Depth=2
	s_or_b32 exec_lo, exec_lo, s67
	s_lshl_b64 s[68:69], s[56:57], 3
	v_add_co_u32 v39, s39, v131, s68
	v_add_co_ci_u32_e64 v40, null, s69, v132, s39
	v_cmp_lt_u32_e64 s39, v130, v169
	s_and_saveexec_b32 s56, s39
	s_xor_b32 s39, exec_lo, s56
	s_cbranch_execnz .LBB1222_850
; %bb.784:                              ;   in Loop: Header=BB1222_686 Depth=2
	s_or_b32 exec_lo, exec_lo, s39
	s_mov_b32 s56, exec_lo
	v_cmpx_lt_u32_e64 v133, v169
	s_cbranch_execnz .LBB1222_851
.LBB1222_785:                           ;   in Loop: Header=BB1222_686 Depth=2
	s_or_b32 exec_lo, exec_lo, s56
	s_mov_b32 s56, exec_lo
	v_cmpx_lt_u32_e64 v134, v169
	s_cbranch_execnz .LBB1222_852
.LBB1222_786:                           ;   in Loop: Header=BB1222_686 Depth=2
	s_or_b32 exec_lo, exec_lo, s56
	s_mov_b32 s56, exec_lo
	v_cmpx_lt_u32_e64 v135, v169
	s_cbranch_execnz .LBB1222_853
.LBB1222_787:                           ;   in Loop: Header=BB1222_686 Depth=2
	s_or_b32 exec_lo, exec_lo, s56
	s_mov_b32 s56, exec_lo
	v_cmpx_lt_u32_e64 v136, v169
	s_cbranch_execnz .LBB1222_854
.LBB1222_788:                           ;   in Loop: Header=BB1222_686 Depth=2
	s_or_b32 exec_lo, exec_lo, s56
	s_mov_b32 s56, exec_lo
	v_cmpx_lt_u32_e64 v137, v169
	s_cbranch_execnz .LBB1222_855
.LBB1222_789:                           ;   in Loop: Header=BB1222_686 Depth=2
	s_or_b32 exec_lo, exec_lo, s56
	s_mov_b32 s56, exec_lo
	v_cmpx_lt_u32_e64 v138, v169
	s_cbranch_execnz .LBB1222_856
.LBB1222_790:                           ;   in Loop: Header=BB1222_686 Depth=2
	s_or_b32 exec_lo, exec_lo, s56
	s_mov_b32 s56, exec_lo
	v_cmpx_lt_u32_e64 v139, v169
	s_cbranch_execnz .LBB1222_857
.LBB1222_791:                           ;   in Loop: Header=BB1222_686 Depth=2
	s_or_b32 exec_lo, exec_lo, s56
	s_mov_b32 s56, exec_lo
	v_cmpx_lt_u32_e64 v140, v169
	s_cbranch_execnz .LBB1222_858
.LBB1222_792:                           ;   in Loop: Header=BB1222_686 Depth=2
	s_or_b32 exec_lo, exec_lo, s56
	s_mov_b32 s56, exec_lo
	v_cmpx_lt_u32_e64 v141, v169
	s_cbranch_execnz .LBB1222_859
.LBB1222_793:                           ;   in Loop: Header=BB1222_686 Depth=2
	s_or_b32 exec_lo, exec_lo, s56
	s_mov_b32 s56, exec_lo
	v_cmpx_lt_u32_e64 v142, v169
	s_cbranch_execnz .LBB1222_860
.LBB1222_794:                           ;   in Loop: Header=BB1222_686 Depth=2
	s_or_b32 exec_lo, exec_lo, s56
	s_mov_b32 s56, exec_lo
	v_cmpx_lt_u32_e64 v143, v169
	s_cbranch_execnz .LBB1222_861
.LBB1222_795:                           ;   in Loop: Header=BB1222_686 Depth=2
	s_or_b32 exec_lo, exec_lo, s56
	s_mov_b32 s56, exec_lo
	v_cmpx_lt_u32_e64 v144, v169
	s_cbranch_execnz .LBB1222_862
.LBB1222_796:                           ;   in Loop: Header=BB1222_686 Depth=2
	s_or_b32 exec_lo, exec_lo, s56
	s_mov_b32 s56, exec_lo
	v_cmpx_lt_u32_e64 v145, v169
	s_cbranch_execnz .LBB1222_863
.LBB1222_797:                           ;   in Loop: Header=BB1222_686 Depth=2
	s_or_b32 exec_lo, exec_lo, s56
	s_mov_b32 s56, exec_lo
	v_cmpx_lt_u32_e64 v146, v169
	s_cbranch_execnz .LBB1222_864
.LBB1222_798:                           ;   in Loop: Header=BB1222_686 Depth=2
	s_or_b32 exec_lo, exec_lo, s56
	s_mov_b32 s56, exec_lo
	v_cmpx_lt_u32_e64 v147, v169
	s_cbranch_execnz .LBB1222_865
.LBB1222_799:                           ;   in Loop: Header=BB1222_686 Depth=2
	s_or_b32 exec_lo, exec_lo, s56
	s_and_saveexec_b32 s56, vcc_lo
	s_cbranch_execnz .LBB1222_866
.LBB1222_800:                           ;   in Loop: Header=BB1222_686 Depth=2
	s_or_b32 exec_lo, exec_lo, s56
	s_and_saveexec_b32 s56, s22
	s_cbranch_execnz .LBB1222_867
.LBB1222_801:                           ;   in Loop: Header=BB1222_686 Depth=2
	s_or_b32 exec_lo, exec_lo, s56
	s_and_saveexec_b32 s56, s23
	s_cbranch_execnz .LBB1222_868
.LBB1222_802:                           ;   in Loop: Header=BB1222_686 Depth=2
	s_or_b32 exec_lo, exec_lo, s56
	s_and_saveexec_b32 s56, s24
	s_cbranch_execnz .LBB1222_869
.LBB1222_803:                           ;   in Loop: Header=BB1222_686 Depth=2
	s_or_b32 exec_lo, exec_lo, s56
	s_and_saveexec_b32 s56, s25
	s_cbranch_execnz .LBB1222_870
.LBB1222_804:                           ;   in Loop: Header=BB1222_686 Depth=2
	s_or_b32 exec_lo, exec_lo, s56
	s_and_saveexec_b32 s56, s26
	s_cbranch_execnz .LBB1222_871
.LBB1222_805:                           ;   in Loop: Header=BB1222_686 Depth=2
	s_or_b32 exec_lo, exec_lo, s56
	s_and_saveexec_b32 s56, s27
	s_cbranch_execnz .LBB1222_872
.LBB1222_806:                           ;   in Loop: Header=BB1222_686 Depth=2
	s_or_b32 exec_lo, exec_lo, s56
	s_and_saveexec_b32 s56, s28
	s_cbranch_execnz .LBB1222_873
.LBB1222_807:                           ;   in Loop: Header=BB1222_686 Depth=2
	s_or_b32 exec_lo, exec_lo, s56
	s_and_saveexec_b32 s56, s30
	s_cbranch_execnz .LBB1222_874
.LBB1222_808:                           ;   in Loop: Header=BB1222_686 Depth=2
	s_or_b32 exec_lo, exec_lo, s56
	s_and_saveexec_b32 s56, s31
	s_cbranch_execnz .LBB1222_875
.LBB1222_809:                           ;   in Loop: Header=BB1222_686 Depth=2
	s_or_b32 exec_lo, exec_lo, s56
	s_and_saveexec_b32 s56, s33
	s_cbranch_execnz .LBB1222_876
.LBB1222_810:                           ;   in Loop: Header=BB1222_686 Depth=2
	s_or_b32 exec_lo, exec_lo, s56
	s_and_saveexec_b32 s56, s34
	s_cbranch_execnz .LBB1222_877
.LBB1222_811:                           ;   in Loop: Header=BB1222_686 Depth=2
	s_or_b32 exec_lo, exec_lo, s56
	s_and_saveexec_b32 s56, s35
	s_cbranch_execnz .LBB1222_878
.LBB1222_812:                           ;   in Loop: Header=BB1222_686 Depth=2
	s_or_b32 exec_lo, exec_lo, s56
	s_and_saveexec_b32 s56, s36
	s_cbranch_execnz .LBB1222_879
.LBB1222_813:                           ;   in Loop: Header=BB1222_686 Depth=2
	s_or_b32 exec_lo, exec_lo, s56
	s_and_saveexec_b32 s56, s37
	s_cbranch_execnz .LBB1222_880
.LBB1222_814:                           ;   in Loop: Header=BB1222_686 Depth=2
	s_or_b32 exec_lo, exec_lo, s56
	s_and_saveexec_b32 s56, s38
	s_cbranch_execz .LBB1222_816
.LBB1222_815:                           ;   in Loop: Header=BB1222_686 Depth=2
	ds_read_b64 v[39:40], v108 offset:31232
	s_waitcnt lgkmcnt(0)
	v_cmp_ne_u64_e64 s39, s[46:47], v[39:40]
	v_cndmask_b32_e64 v40, 0x80000000, v40, s39
	v_cndmask_b32_e64 v39, 0, v39, s39
	v_lshrrev_b64 v[39:40], s52, v[39:40]
	v_and_b32_e32 v151, s64, v39
.LBB1222_816:                           ;   in Loop: Header=BB1222_686 Depth=2
	s_or_b32 exec_lo, exec_lo, s56
	s_waitcnt vmcnt(0)
	s_waitcnt_vscnt null, 0x0
	s_barrier
	buffer_gl0_inv
	ds_write_b64 v71, v[37:38] offset:512
	ds_write_b64 v72, v[35:36] offset:512
	ds_write_b64 v41, v[33:34] offset:512
	ds_write_b64 v42, v[31:32] offset:512
	ds_write_b64 v73, v[29:30] offset:512
	ds_write_b64 v74, v[25:26] offset:512
	ds_write_b64 v43, v[21:22] offset:512
	ds_write_b64 v44, v[17:18] offset:512
	ds_write_b64 v49, v[27:28] offset:512
	ds_write_b64 v50, v[23:24] offset:512
	ds_write_b64 v55, v[19:20] offset:512
	ds_write_b64 v56, v[15:16] offset:512
	ds_write_b64 v59, v[13:14] offset:512
	ds_write_b64 v60, v[11:12] offset:512
	ds_write_b64 v61, v[9:10] offset:512
	ds_write_b64 v57, v[7:8] offset:512
	s_waitcnt lgkmcnt(0)
	s_barrier
	buffer_gl0_inv
	s_and_saveexec_b32 s39, vcc_lo
	s_cbranch_execnz .LBB1222_881
; %bb.817:                              ;   in Loop: Header=BB1222_686 Depth=2
	s_or_b32 exec_lo, exec_lo, s39
	s_and_saveexec_b32 s39, s22
	s_cbranch_execnz .LBB1222_882
.LBB1222_818:                           ;   in Loop: Header=BB1222_686 Depth=2
	s_or_b32 exec_lo, exec_lo, s39
	s_and_saveexec_b32 s22, s23
	s_cbranch_execnz .LBB1222_883
.LBB1222_819:                           ;   in Loop: Header=BB1222_686 Depth=2
	s_or_b32 exec_lo, exec_lo, s22
	s_and_saveexec_b32 s22, s24
	s_cbranch_execnz .LBB1222_884
.LBB1222_820:                           ;   in Loop: Header=BB1222_686 Depth=2
	s_or_b32 exec_lo, exec_lo, s22
	s_and_saveexec_b32 s22, s25
	s_cbranch_execnz .LBB1222_885
.LBB1222_821:                           ;   in Loop: Header=BB1222_686 Depth=2
	s_or_b32 exec_lo, exec_lo, s22
	s_and_saveexec_b32 s22, s26
	s_cbranch_execnz .LBB1222_886
.LBB1222_822:                           ;   in Loop: Header=BB1222_686 Depth=2
	s_or_b32 exec_lo, exec_lo, s22
	s_and_saveexec_b32 s22, s27
	s_cbranch_execnz .LBB1222_887
.LBB1222_823:                           ;   in Loop: Header=BB1222_686 Depth=2
	s_or_b32 exec_lo, exec_lo, s22
	s_and_saveexec_b32 s22, s28
	s_cbranch_execnz .LBB1222_888
.LBB1222_824:                           ;   in Loop: Header=BB1222_686 Depth=2
	s_or_b32 exec_lo, exec_lo, s22
	s_and_saveexec_b32 s22, s30
	s_cbranch_execnz .LBB1222_889
.LBB1222_825:                           ;   in Loop: Header=BB1222_686 Depth=2
	s_or_b32 exec_lo, exec_lo, s22
	s_and_saveexec_b32 s22, s31
	s_cbranch_execnz .LBB1222_890
.LBB1222_826:                           ;   in Loop: Header=BB1222_686 Depth=2
	s_or_b32 exec_lo, exec_lo, s22
	s_and_saveexec_b32 s22, s33
	s_cbranch_execnz .LBB1222_891
.LBB1222_827:                           ;   in Loop: Header=BB1222_686 Depth=2
	s_or_b32 exec_lo, exec_lo, s22
	s_and_saveexec_b32 s22, s34
	s_cbranch_execnz .LBB1222_892
.LBB1222_828:                           ;   in Loop: Header=BB1222_686 Depth=2
	s_or_b32 exec_lo, exec_lo, s22
	s_and_saveexec_b32 s22, s35
	s_cbranch_execnz .LBB1222_893
.LBB1222_829:                           ;   in Loop: Header=BB1222_686 Depth=2
	s_or_b32 exec_lo, exec_lo, s22
	s_and_saveexec_b32 s22, s36
	s_cbranch_execnz .LBB1222_894
.LBB1222_830:                           ;   in Loop: Header=BB1222_686 Depth=2
	s_or_b32 exec_lo, exec_lo, s22
	s_and_saveexec_b32 s22, s37
	s_cbranch_execnz .LBB1222_895
.LBB1222_831:                           ;   in Loop: Header=BB1222_686 Depth=2
	s_or_b32 exec_lo, exec_lo, s22
	s_and_saveexec_b32 s22, s38
	s_cbranch_execz .LBB1222_833
.LBB1222_832:                           ;   in Loop: Header=BB1222_686 Depth=2
	v_lshlrev_b32_e32 v3, 2, v151
	ds_read_b32 v3, v3
	ds_read_b64 v[39:40], v108 offset:31232
	s_waitcnt lgkmcnt(1)
	v_add_nc_u32_e32 v3, v3, v92
	v_lshlrev_b64 v[41:42], 3, v[3:4]
	v_add_co_u32 v41, vcc_lo, s48, v41
	v_add_co_ci_u32_e64 v42, null, s49, v42, vcc_lo
	s_waitcnt lgkmcnt(0)
	global_store_dwordx2 v[41:42], v[39:40], off
.LBB1222_833:                           ;   in Loop: Header=BB1222_686 Depth=2
	s_or_b32 exec_lo, exec_lo, s22
	s_waitcnt_vscnt null, 0x0
	s_barrier
	buffer_gl0_inv
	s_and_saveexec_b32 s22, s7
	s_cbranch_execz .LBB1222_685
; %bb.834:                              ;   in Loop: Header=BB1222_686 Depth=2
	ds_read_b32 v3, v75
	s_waitcnt lgkmcnt(0)
	v_add3_u32 v3, v158, v168, v3
	ds_write_b32 v75, v3
	s_branch .LBB1222_685
.LBB1222_835:                           ;   in Loop: Header=BB1222_686 Depth=2
	ds_read_b64 v[39:40], v108 offset:512
	s_waitcnt lgkmcnt(0)
	v_cmp_ne_u64_e64 s22, s[46:47], v[39:40]
	v_cndmask_b32_e64 v46, 0x80000000, v40, s22
	v_cndmask_b32_e64 v45, 0, v39, s22
	v_cmp_lt_i64_e64 s22, -1, v[39:40]
	v_lshrrev_b64 v[45:46], s52, v[45:46]
	v_cndmask_b32_e64 v47, 0x80000000, -1, s22
	v_and_b32_e32 v3, s64, v45
	v_ashrrev_i32_e32 v45, 31, v40
	v_xor_b32_e32 v40, v47, v40
	v_lshlrev_b32_e32 v3, 2, v3
	v_not_b32_e32 v48, v45
	ds_read_b32 v3, v3
	v_xor_b32_e32 v39, v48, v39
	s_waitcnt lgkmcnt(0)
	v_add_nc_u32_e32 v3, v3, v0
	v_lshlrev_b64 v[45:46], 3, v[3:4]
	v_add_co_u32 v45, s22, s42, v45
	v_add_co_ci_u32_e64 v46, null, s43, v46, s22
	global_store_dwordx2 v[45:46], v[39:40], off
	s_or_b32 exec_lo, exec_lo, s23
	v_cmp_lt_u32_e64 s22, v76, v169
	s_and_saveexec_b32 s24, s22
	s_cbranch_execz .LBB1222_768
.LBB1222_836:                           ;   in Loop: Header=BB1222_686 Depth=2
	ds_read_b64 v[39:40], v108 offset:2560
	s_waitcnt lgkmcnt(0)
	v_cmp_ne_u64_e64 s23, s[46:47], v[39:40]
	v_cndmask_b32_e64 v46, 0x80000000, v40, s23
	v_cndmask_b32_e64 v45, 0, v39, s23
	v_cmp_lt_i64_e64 s23, -1, v[39:40]
	v_lshrrev_b64 v[45:46], s52, v[45:46]
	v_cndmask_b32_e64 v47, 0x80000000, -1, s23
	v_and_b32_e32 v3, s64, v45
	v_ashrrev_i32_e32 v45, 31, v40
	v_xor_b32_e32 v40, v47, v40
	v_lshlrev_b32_e32 v3, 2, v3
	v_not_b32_e32 v48, v45
	ds_read_b32 v3, v3
	v_xor_b32_e32 v39, v48, v39
	s_waitcnt lgkmcnt(0)
	v_add_nc_u32_e32 v3, v3, v76
	v_lshlrev_b64 v[45:46], 3, v[3:4]
	v_add_co_u32 v45, s23, s42, v45
	v_add_co_ci_u32_e64 v46, null, s43, v46, s23
	global_store_dwordx2 v[45:46], v[39:40], off
	s_or_b32 exec_lo, exec_lo, s24
	v_cmp_lt_u32_e64 s23, v79, v169
	s_and_saveexec_b32 s25, s23
	s_cbranch_execz .LBB1222_769
.LBB1222_837:                           ;   in Loop: Header=BB1222_686 Depth=2
	ds_read_b64 v[39:40], v108 offset:4608
	s_waitcnt lgkmcnt(0)
	v_cmp_ne_u64_e64 s24, s[46:47], v[39:40]
	v_cndmask_b32_e64 v46, 0x80000000, v40, s24
	v_cndmask_b32_e64 v45, 0, v39, s24
	v_cmp_lt_i64_e64 s24, -1, v[39:40]
	v_lshrrev_b64 v[45:46], s52, v[45:46]
	v_cndmask_b32_e64 v47, 0x80000000, -1, s24
	v_and_b32_e32 v3, s64, v45
	v_ashrrev_i32_e32 v45, 31, v40
	v_xor_b32_e32 v40, v47, v40
	v_lshlrev_b32_e32 v3, 2, v3
	v_not_b32_e32 v48, v45
	ds_read_b32 v3, v3
	v_xor_b32_e32 v39, v48, v39
	s_waitcnt lgkmcnt(0)
	v_add_nc_u32_e32 v3, v3, v79
	v_lshlrev_b64 v[45:46], 3, v[3:4]
	v_add_co_u32 v45, s24, s42, v45
	v_add_co_ci_u32_e64 v46, null, s43, v46, s24
	global_store_dwordx2 v[45:46], v[39:40], off
	s_or_b32 exec_lo, exec_lo, s25
	v_cmp_lt_u32_e64 s24, v80, v169
	s_and_saveexec_b32 s26, s24
	s_cbranch_execz .LBB1222_770
.LBB1222_838:                           ;   in Loop: Header=BB1222_686 Depth=2
	ds_read_b64 v[39:40], v108 offset:6656
	s_waitcnt lgkmcnt(0)
	v_cmp_ne_u64_e64 s25, s[46:47], v[39:40]
	v_cndmask_b32_e64 v46, 0x80000000, v40, s25
	v_cndmask_b32_e64 v45, 0, v39, s25
	v_cmp_lt_i64_e64 s25, -1, v[39:40]
	v_lshrrev_b64 v[45:46], s52, v[45:46]
	v_cndmask_b32_e64 v47, 0x80000000, -1, s25
	v_and_b32_e32 v3, s64, v45
	v_ashrrev_i32_e32 v45, 31, v40
	v_xor_b32_e32 v40, v47, v40
	v_lshlrev_b32_e32 v3, 2, v3
	v_not_b32_e32 v48, v45
	ds_read_b32 v3, v3
	v_xor_b32_e32 v39, v48, v39
	s_waitcnt lgkmcnt(0)
	v_add_nc_u32_e32 v3, v3, v80
	v_lshlrev_b64 v[45:46], 3, v[3:4]
	v_add_co_u32 v45, s25, s42, v45
	v_add_co_ci_u32_e64 v46, null, s43, v46, s25
	global_store_dwordx2 v[45:46], v[39:40], off
	s_or_b32 exec_lo, exec_lo, s26
	v_cmp_lt_u32_e64 s25, v81, v169
	s_and_saveexec_b32 s27, s25
	s_cbranch_execz .LBB1222_771
.LBB1222_839:                           ;   in Loop: Header=BB1222_686 Depth=2
	ds_read_b64 v[39:40], v108 offset:8704
	s_waitcnt lgkmcnt(0)
	v_cmp_ne_u64_e64 s26, s[46:47], v[39:40]
	v_cndmask_b32_e64 v46, 0x80000000, v40, s26
	v_cndmask_b32_e64 v45, 0, v39, s26
	v_cmp_lt_i64_e64 s26, -1, v[39:40]
	v_lshrrev_b64 v[45:46], s52, v[45:46]
	v_cndmask_b32_e64 v47, 0x80000000, -1, s26
	v_and_b32_e32 v3, s64, v45
	v_ashrrev_i32_e32 v45, 31, v40
	v_xor_b32_e32 v40, v47, v40
	v_lshlrev_b32_e32 v3, 2, v3
	v_not_b32_e32 v48, v45
	ds_read_b32 v3, v3
	v_xor_b32_e32 v39, v48, v39
	s_waitcnt lgkmcnt(0)
	v_add_nc_u32_e32 v3, v3, v81
	v_lshlrev_b64 v[45:46], 3, v[3:4]
	v_add_co_u32 v45, s26, s42, v45
	v_add_co_ci_u32_e64 v46, null, s43, v46, s26
	global_store_dwordx2 v[45:46], v[39:40], off
	s_or_b32 exec_lo, exec_lo, s27
	v_cmp_lt_u32_e64 s26, v82, v169
	s_and_saveexec_b32 s28, s26
	s_cbranch_execz .LBB1222_772
.LBB1222_840:                           ;   in Loop: Header=BB1222_686 Depth=2
	ds_read_b64 v[39:40], v108 offset:10752
	s_waitcnt lgkmcnt(0)
	v_cmp_ne_u64_e64 s27, s[46:47], v[39:40]
	v_cndmask_b32_e64 v46, 0x80000000, v40, s27
	v_cndmask_b32_e64 v45, 0, v39, s27
	v_cmp_lt_i64_e64 s27, -1, v[39:40]
	v_lshrrev_b64 v[45:46], s52, v[45:46]
	v_cndmask_b32_e64 v47, 0x80000000, -1, s27
	v_and_b32_e32 v3, s64, v45
	v_ashrrev_i32_e32 v45, 31, v40
	v_xor_b32_e32 v40, v47, v40
	v_lshlrev_b32_e32 v3, 2, v3
	v_not_b32_e32 v48, v45
	ds_read_b32 v3, v3
	v_xor_b32_e32 v39, v48, v39
	s_waitcnt lgkmcnt(0)
	v_add_nc_u32_e32 v3, v3, v82
	v_lshlrev_b64 v[45:46], 3, v[3:4]
	v_add_co_u32 v45, s27, s42, v45
	v_add_co_ci_u32_e64 v46, null, s43, v46, s27
	global_store_dwordx2 v[45:46], v[39:40], off
	s_or_b32 exec_lo, exec_lo, s28
	v_cmp_lt_u32_e64 s27, v83, v169
	s_and_saveexec_b32 s30, s27
	s_cbranch_execz .LBB1222_773
.LBB1222_841:                           ;   in Loop: Header=BB1222_686 Depth=2
	ds_read_b64 v[39:40], v108 offset:12800
	s_waitcnt lgkmcnt(0)
	v_cmp_ne_u64_e64 s28, s[46:47], v[39:40]
	v_cndmask_b32_e64 v46, 0x80000000, v40, s28
	v_cndmask_b32_e64 v45, 0, v39, s28
	v_cmp_lt_i64_e64 s28, -1, v[39:40]
	v_lshrrev_b64 v[45:46], s52, v[45:46]
	v_cndmask_b32_e64 v47, 0x80000000, -1, s28
	v_and_b32_e32 v3, s64, v45
	v_ashrrev_i32_e32 v45, 31, v40
	v_xor_b32_e32 v40, v47, v40
	v_lshlrev_b32_e32 v3, 2, v3
	v_not_b32_e32 v48, v45
	ds_read_b32 v3, v3
	v_xor_b32_e32 v39, v48, v39
	s_waitcnt lgkmcnt(0)
	v_add_nc_u32_e32 v3, v3, v83
	v_lshlrev_b64 v[45:46], 3, v[3:4]
	v_add_co_u32 v45, s28, s42, v45
	v_add_co_ci_u32_e64 v46, null, s43, v46, s28
	global_store_dwordx2 v[45:46], v[39:40], off
	s_or_b32 exec_lo, exec_lo, s30
	v_cmp_lt_u32_e64 s28, v84, v169
	s_and_saveexec_b32 s31, s28
	s_cbranch_execz .LBB1222_774
.LBB1222_842:                           ;   in Loop: Header=BB1222_686 Depth=2
	ds_read_b64 v[39:40], v108 offset:14848
	s_waitcnt lgkmcnt(0)
	v_cmp_ne_u64_e64 s30, s[46:47], v[39:40]
	v_cndmask_b32_e64 v46, 0x80000000, v40, s30
	v_cndmask_b32_e64 v45, 0, v39, s30
	v_cmp_lt_i64_e64 s30, -1, v[39:40]
	v_lshrrev_b64 v[45:46], s52, v[45:46]
	v_cndmask_b32_e64 v47, 0x80000000, -1, s30
	v_and_b32_e32 v3, s64, v45
	v_ashrrev_i32_e32 v45, 31, v40
	v_xor_b32_e32 v40, v47, v40
	v_lshlrev_b32_e32 v3, 2, v3
	v_not_b32_e32 v48, v45
	ds_read_b32 v3, v3
	v_xor_b32_e32 v39, v48, v39
	s_waitcnt lgkmcnt(0)
	v_add_nc_u32_e32 v3, v3, v84
	v_lshlrev_b64 v[45:46], 3, v[3:4]
	v_add_co_u32 v45, s30, s42, v45
	v_add_co_ci_u32_e64 v46, null, s43, v46, s30
	global_store_dwordx2 v[45:46], v[39:40], off
	s_or_b32 exec_lo, exec_lo, s31
	v_cmp_lt_u32_e64 s30, v85, v169
	s_and_saveexec_b32 s33, s30
	s_cbranch_execz .LBB1222_775
.LBB1222_843:                           ;   in Loop: Header=BB1222_686 Depth=2
	ds_read_b64 v[39:40], v108 offset:16896
	s_waitcnt lgkmcnt(0)
	v_cmp_ne_u64_e64 s31, s[46:47], v[39:40]
	v_cndmask_b32_e64 v46, 0x80000000, v40, s31
	v_cndmask_b32_e64 v45, 0, v39, s31
	v_cmp_lt_i64_e64 s31, -1, v[39:40]
	v_lshrrev_b64 v[45:46], s52, v[45:46]
	v_cndmask_b32_e64 v47, 0x80000000, -1, s31
	v_and_b32_e32 v3, s64, v45
	v_ashrrev_i32_e32 v45, 31, v40
	v_xor_b32_e32 v40, v47, v40
	v_lshlrev_b32_e32 v3, 2, v3
	v_not_b32_e32 v48, v45
	ds_read_b32 v3, v3
	v_xor_b32_e32 v39, v48, v39
	s_waitcnt lgkmcnt(0)
	v_add_nc_u32_e32 v3, v3, v85
	v_lshlrev_b64 v[45:46], 3, v[3:4]
	v_add_co_u32 v45, s31, s42, v45
	v_add_co_ci_u32_e64 v46, null, s43, v46, s31
	global_store_dwordx2 v[45:46], v[39:40], off
	s_or_b32 exec_lo, exec_lo, s33
	v_cmp_lt_u32_e64 s31, v86, v169
	s_and_saveexec_b32 s34, s31
	s_cbranch_execz .LBB1222_776
.LBB1222_844:                           ;   in Loop: Header=BB1222_686 Depth=2
	ds_read_b64 v[39:40], v108 offset:18944
	s_waitcnt lgkmcnt(0)
	v_cmp_ne_u64_e64 s33, s[46:47], v[39:40]
	v_cndmask_b32_e64 v46, 0x80000000, v40, s33
	v_cndmask_b32_e64 v45, 0, v39, s33
	v_cmp_lt_i64_e64 s33, -1, v[39:40]
	v_lshrrev_b64 v[45:46], s52, v[45:46]
	v_cndmask_b32_e64 v47, 0x80000000, -1, s33
	v_and_b32_e32 v3, s64, v45
	v_ashrrev_i32_e32 v45, 31, v40
	v_xor_b32_e32 v40, v47, v40
	v_lshlrev_b32_e32 v3, 2, v3
	v_not_b32_e32 v48, v45
	ds_read_b32 v3, v3
	v_xor_b32_e32 v39, v48, v39
	s_waitcnt lgkmcnt(0)
	v_add_nc_u32_e32 v3, v3, v86
	v_lshlrev_b64 v[45:46], 3, v[3:4]
	v_add_co_u32 v45, s33, s42, v45
	v_add_co_ci_u32_e64 v46, null, s43, v46, s33
	global_store_dwordx2 v[45:46], v[39:40], off
	s_or_b32 exec_lo, exec_lo, s34
	v_cmp_lt_u32_e64 s33, v87, v169
	s_and_saveexec_b32 s35, s33
	s_cbranch_execz .LBB1222_777
.LBB1222_845:                           ;   in Loop: Header=BB1222_686 Depth=2
	ds_read_b64 v[39:40], v108 offset:20992
	s_waitcnt lgkmcnt(0)
	v_cmp_ne_u64_e64 s34, s[46:47], v[39:40]
	v_cndmask_b32_e64 v46, 0x80000000, v40, s34
	v_cndmask_b32_e64 v45, 0, v39, s34
	v_cmp_lt_i64_e64 s34, -1, v[39:40]
	v_lshrrev_b64 v[45:46], s52, v[45:46]
	v_cndmask_b32_e64 v47, 0x80000000, -1, s34
	v_and_b32_e32 v3, s64, v45
	v_ashrrev_i32_e32 v45, 31, v40
	v_xor_b32_e32 v40, v47, v40
	v_lshlrev_b32_e32 v3, 2, v3
	v_not_b32_e32 v48, v45
	ds_read_b32 v3, v3
	v_xor_b32_e32 v39, v48, v39
	s_waitcnt lgkmcnt(0)
	v_add_nc_u32_e32 v3, v3, v87
	v_lshlrev_b64 v[45:46], 3, v[3:4]
	v_add_co_u32 v45, s34, s42, v45
	v_add_co_ci_u32_e64 v46, null, s43, v46, s34
	global_store_dwordx2 v[45:46], v[39:40], off
	s_or_b32 exec_lo, exec_lo, s35
	v_cmp_lt_u32_e64 s34, v88, v169
	s_and_saveexec_b32 s36, s34
	s_cbranch_execz .LBB1222_778
.LBB1222_846:                           ;   in Loop: Header=BB1222_686 Depth=2
	ds_read_b64 v[39:40], v108 offset:23040
	s_waitcnt lgkmcnt(0)
	v_cmp_ne_u64_e64 s35, s[46:47], v[39:40]
	v_cndmask_b32_e64 v46, 0x80000000, v40, s35
	v_cndmask_b32_e64 v45, 0, v39, s35
	v_cmp_lt_i64_e64 s35, -1, v[39:40]
	v_lshrrev_b64 v[45:46], s52, v[45:46]
	v_cndmask_b32_e64 v47, 0x80000000, -1, s35
	v_and_b32_e32 v3, s64, v45
	v_ashrrev_i32_e32 v45, 31, v40
	v_xor_b32_e32 v40, v47, v40
	v_lshlrev_b32_e32 v3, 2, v3
	v_not_b32_e32 v48, v45
	ds_read_b32 v3, v3
	v_xor_b32_e32 v39, v48, v39
	s_waitcnt lgkmcnt(0)
	v_add_nc_u32_e32 v3, v3, v88
	v_lshlrev_b64 v[45:46], 3, v[3:4]
	v_add_co_u32 v45, s35, s42, v45
	v_add_co_ci_u32_e64 v46, null, s43, v46, s35
	global_store_dwordx2 v[45:46], v[39:40], off
	s_or_b32 exec_lo, exec_lo, s36
	v_cmp_lt_u32_e64 s35, v89, v169
	s_and_saveexec_b32 s37, s35
	s_cbranch_execz .LBB1222_779
.LBB1222_847:                           ;   in Loop: Header=BB1222_686 Depth=2
	ds_read_b64 v[39:40], v108 offset:25088
	s_waitcnt lgkmcnt(0)
	v_cmp_ne_u64_e64 s36, s[46:47], v[39:40]
	v_cndmask_b32_e64 v46, 0x80000000, v40, s36
	v_cndmask_b32_e64 v45, 0, v39, s36
	v_cmp_lt_i64_e64 s36, -1, v[39:40]
	v_lshrrev_b64 v[45:46], s52, v[45:46]
	v_cndmask_b32_e64 v47, 0x80000000, -1, s36
	v_and_b32_e32 v3, s64, v45
	v_ashrrev_i32_e32 v45, 31, v40
	v_xor_b32_e32 v40, v47, v40
	v_lshlrev_b32_e32 v3, 2, v3
	v_not_b32_e32 v48, v45
	ds_read_b32 v3, v3
	v_xor_b32_e32 v39, v48, v39
	s_waitcnt lgkmcnt(0)
	v_add_nc_u32_e32 v3, v3, v89
	v_lshlrev_b64 v[45:46], 3, v[3:4]
	v_add_co_u32 v45, s36, s42, v45
	v_add_co_ci_u32_e64 v46, null, s43, v46, s36
	global_store_dwordx2 v[45:46], v[39:40], off
	s_or_b32 exec_lo, exec_lo, s37
	v_cmp_lt_u32_e64 s36, v90, v169
	s_and_saveexec_b32 s38, s36
	s_cbranch_execz .LBB1222_780
.LBB1222_848:                           ;   in Loop: Header=BB1222_686 Depth=2
	ds_read_b64 v[39:40], v108 offset:27136
	s_waitcnt lgkmcnt(0)
	v_cmp_ne_u64_e64 s37, s[46:47], v[39:40]
	v_cndmask_b32_e64 v46, 0x80000000, v40, s37
	v_cndmask_b32_e64 v45, 0, v39, s37
	v_cmp_lt_i64_e64 s37, -1, v[39:40]
	v_lshrrev_b64 v[45:46], s52, v[45:46]
	v_cndmask_b32_e64 v47, 0x80000000, -1, s37
	v_and_b32_e32 v3, s64, v45
	v_ashrrev_i32_e32 v45, 31, v40
	v_xor_b32_e32 v40, v47, v40
	v_lshlrev_b32_e32 v3, 2, v3
	v_not_b32_e32 v48, v45
	ds_read_b32 v3, v3
	v_xor_b32_e32 v39, v48, v39
	s_waitcnt lgkmcnt(0)
	v_add_nc_u32_e32 v3, v3, v90
	v_lshlrev_b64 v[45:46], 3, v[3:4]
	v_add_co_u32 v45, s37, s42, v45
	v_add_co_ci_u32_e64 v46, null, s43, v46, s37
	global_store_dwordx2 v[45:46], v[39:40], off
	s_or_b32 exec_lo, exec_lo, s38
	v_cmp_lt_u32_e64 s37, v91, v169
	s_and_saveexec_b32 s39, s37
	s_cbranch_execz .LBB1222_781
.LBB1222_849:                           ;   in Loop: Header=BB1222_686 Depth=2
	ds_read_b64 v[39:40], v108 offset:29184
	s_waitcnt lgkmcnt(0)
	v_cmp_ne_u64_e64 s38, s[46:47], v[39:40]
	v_cndmask_b32_e64 v46, 0x80000000, v40, s38
	v_cndmask_b32_e64 v45, 0, v39, s38
	v_cmp_lt_i64_e64 s38, -1, v[39:40]
	v_lshrrev_b64 v[45:46], s52, v[45:46]
	v_cndmask_b32_e64 v47, 0x80000000, -1, s38
	v_and_b32_e32 v3, s64, v45
	v_ashrrev_i32_e32 v45, 31, v40
	v_xor_b32_e32 v40, v47, v40
	v_lshlrev_b32_e32 v3, 2, v3
	v_not_b32_e32 v48, v45
	ds_read_b32 v3, v3
	v_xor_b32_e32 v39, v48, v39
	s_waitcnt lgkmcnt(0)
	v_add_nc_u32_e32 v3, v3, v91
	v_lshlrev_b64 v[45:46], 3, v[3:4]
	v_add_co_u32 v45, s38, s42, v45
	v_add_co_ci_u32_e64 v46, null, s43, v46, s38
	global_store_dwordx2 v[45:46], v[39:40], off
	s_or_b32 exec_lo, exec_lo, s39
	v_cmp_lt_u32_e64 s38, v92, v169
	s_and_saveexec_b32 s67, s38
	s_cbranch_execnz .LBB1222_782
	s_branch .LBB1222_783
.LBB1222_850:                           ;   in Loop: Header=BB1222_686 Depth=2
	global_load_dwordx2 v[37:38], v[39:40], off
	s_or_b32 exec_lo, exec_lo, s39
	s_mov_b32 s56, exec_lo
	v_cmpx_lt_u32_e64 v133, v169
	s_cbranch_execz .LBB1222_785
.LBB1222_851:                           ;   in Loop: Header=BB1222_686 Depth=2
	global_load_dwordx2 v[35:36], v[39:40], off offset:256
	s_or_b32 exec_lo, exec_lo, s56
	s_mov_b32 s56, exec_lo
	v_cmpx_lt_u32_e64 v134, v169
	s_cbranch_execz .LBB1222_786
.LBB1222_852:                           ;   in Loop: Header=BB1222_686 Depth=2
	global_load_dwordx2 v[33:34], v[39:40], off offset:512
	s_or_b32 exec_lo, exec_lo, s56
	s_mov_b32 s56, exec_lo
	v_cmpx_lt_u32_e64 v135, v169
	s_cbranch_execz .LBB1222_787
.LBB1222_853:                           ;   in Loop: Header=BB1222_686 Depth=2
	global_load_dwordx2 v[31:32], v[39:40], off offset:768
	s_or_b32 exec_lo, exec_lo, s56
	s_mov_b32 s56, exec_lo
	v_cmpx_lt_u32_e64 v136, v169
	s_cbranch_execz .LBB1222_788
.LBB1222_854:                           ;   in Loop: Header=BB1222_686 Depth=2
	global_load_dwordx2 v[29:30], v[39:40], off offset:1024
	s_or_b32 exec_lo, exec_lo, s56
	s_mov_b32 s56, exec_lo
	v_cmpx_lt_u32_e64 v137, v169
	s_cbranch_execz .LBB1222_789
.LBB1222_855:                           ;   in Loop: Header=BB1222_686 Depth=2
	global_load_dwordx2 v[25:26], v[39:40], off offset:1280
	s_or_b32 exec_lo, exec_lo, s56
	s_mov_b32 s56, exec_lo
	v_cmpx_lt_u32_e64 v138, v169
	s_cbranch_execz .LBB1222_790
.LBB1222_856:                           ;   in Loop: Header=BB1222_686 Depth=2
	global_load_dwordx2 v[21:22], v[39:40], off offset:1536
	s_or_b32 exec_lo, exec_lo, s56
	s_mov_b32 s56, exec_lo
	v_cmpx_lt_u32_e64 v139, v169
	s_cbranch_execz .LBB1222_791
.LBB1222_857:                           ;   in Loop: Header=BB1222_686 Depth=2
	global_load_dwordx2 v[17:18], v[39:40], off offset:1792
	s_or_b32 exec_lo, exec_lo, s56
	s_mov_b32 s56, exec_lo
	v_cmpx_lt_u32_e64 v140, v169
	s_cbranch_execz .LBB1222_792
.LBB1222_858:                           ;   in Loop: Header=BB1222_686 Depth=2
	v_add_co_u32 v27, s39, 0x800, v39
	v_add_co_ci_u32_e64 v28, null, 0, v40, s39
	global_load_dwordx2 v[27:28], v[27:28], off
	s_or_b32 exec_lo, exec_lo, s56
	s_mov_b32 s56, exec_lo
	v_cmpx_lt_u32_e64 v141, v169
	s_cbranch_execz .LBB1222_793
.LBB1222_859:                           ;   in Loop: Header=BB1222_686 Depth=2
	v_add_co_u32 v23, s39, 0x800, v39
	v_add_co_ci_u32_e64 v24, null, 0, v40, s39
	global_load_dwordx2 v[23:24], v[23:24], off offset:256
	s_or_b32 exec_lo, exec_lo, s56
	s_mov_b32 s56, exec_lo
	v_cmpx_lt_u32_e64 v142, v169
	s_cbranch_execz .LBB1222_794
.LBB1222_860:                           ;   in Loop: Header=BB1222_686 Depth=2
	v_add_co_u32 v19, s39, 0x800, v39
	v_add_co_ci_u32_e64 v20, null, 0, v40, s39
	global_load_dwordx2 v[19:20], v[19:20], off offset:512
	s_or_b32 exec_lo, exec_lo, s56
	s_mov_b32 s56, exec_lo
	v_cmpx_lt_u32_e64 v143, v169
	s_cbranch_execz .LBB1222_795
.LBB1222_861:                           ;   in Loop: Header=BB1222_686 Depth=2
	v_add_co_u32 v15, s39, 0x800, v39
	v_add_co_ci_u32_e64 v16, null, 0, v40, s39
	global_load_dwordx2 v[15:16], v[15:16], off offset:768
	s_or_b32 exec_lo, exec_lo, s56
	s_mov_b32 s56, exec_lo
	v_cmpx_lt_u32_e64 v144, v169
	s_cbranch_execz .LBB1222_796
.LBB1222_862:                           ;   in Loop: Header=BB1222_686 Depth=2
	v_add_co_u32 v13, s39, 0x800, v39
	v_add_co_ci_u32_e64 v14, null, 0, v40, s39
	global_load_dwordx2 v[13:14], v[13:14], off offset:1024
	s_or_b32 exec_lo, exec_lo, s56
	s_mov_b32 s56, exec_lo
	v_cmpx_lt_u32_e64 v145, v169
	s_cbranch_execz .LBB1222_797
.LBB1222_863:                           ;   in Loop: Header=BB1222_686 Depth=2
	v_add_co_u32 v11, s39, 0x800, v39
	v_add_co_ci_u32_e64 v12, null, 0, v40, s39
	global_load_dwordx2 v[11:12], v[11:12], off offset:1280
	s_or_b32 exec_lo, exec_lo, s56
	s_mov_b32 s56, exec_lo
	v_cmpx_lt_u32_e64 v146, v169
	s_cbranch_execz .LBB1222_798
.LBB1222_864:                           ;   in Loop: Header=BB1222_686 Depth=2
	v_add_co_u32 v9, s39, 0x800, v39
	v_add_co_ci_u32_e64 v10, null, 0, v40, s39
	global_load_dwordx2 v[9:10], v[9:10], off offset:1536
	s_or_b32 exec_lo, exec_lo, s56
	s_mov_b32 s56, exec_lo
	v_cmpx_lt_u32_e64 v147, v169
	s_cbranch_execz .LBB1222_799
.LBB1222_865:                           ;   in Loop: Header=BB1222_686 Depth=2
	v_add_co_u32 v7, s39, 0x800, v39
	v_add_co_ci_u32_e64 v8, null, 0, v40, s39
	global_load_dwordx2 v[7:8], v[7:8], off offset:1792
	s_or_b32 exec_lo, exec_lo, s56
	s_and_saveexec_b32 s56, vcc_lo
	s_cbranch_execz .LBB1222_800
.LBB1222_866:                           ;   in Loop: Header=BB1222_686 Depth=2
	ds_read_b64 v[39:40], v108 offset:512
	s_waitcnt lgkmcnt(0)
	v_cmp_ne_u64_e64 s39, s[46:47], v[39:40]
	v_cndmask_b32_e64 v40, 0x80000000, v40, s39
	v_cndmask_b32_e64 v39, 0, v39, s39
	v_lshrrev_b64 v[39:40], s52, v[39:40]
	v_and_b32_e32 v167, s64, v39
	s_or_b32 exec_lo, exec_lo, s56
	s_and_saveexec_b32 s56, s22
	s_cbranch_execz .LBB1222_801
.LBB1222_867:                           ;   in Loop: Header=BB1222_686 Depth=2
	ds_read_b64 v[39:40], v108 offset:2560
	s_waitcnt lgkmcnt(0)
	v_cmp_ne_u64_e64 s39, s[46:47], v[39:40]
	v_cndmask_b32_e64 v40, 0x80000000, v40, s39
	v_cndmask_b32_e64 v39, 0, v39, s39
	v_lshrrev_b64 v[39:40], s52, v[39:40]
	v_and_b32_e32 v166, s64, v39
	s_or_b32 exec_lo, exec_lo, s56
	s_and_saveexec_b32 s56, s23
	s_cbranch_execz .LBB1222_802
.LBB1222_868:                           ;   in Loop: Header=BB1222_686 Depth=2
	ds_read_b64 v[39:40], v108 offset:4608
	s_waitcnt lgkmcnt(0)
	v_cmp_ne_u64_e64 s39, s[46:47], v[39:40]
	v_cndmask_b32_e64 v40, 0x80000000, v40, s39
	v_cndmask_b32_e64 v39, 0, v39, s39
	v_lshrrev_b64 v[39:40], s52, v[39:40]
	v_and_b32_e32 v165, s64, v39
	s_or_b32 exec_lo, exec_lo, s56
	s_and_saveexec_b32 s56, s24
	s_cbranch_execz .LBB1222_803
.LBB1222_869:                           ;   in Loop: Header=BB1222_686 Depth=2
	ds_read_b64 v[39:40], v108 offset:6656
	s_waitcnt lgkmcnt(0)
	v_cmp_ne_u64_e64 s39, s[46:47], v[39:40]
	v_cndmask_b32_e64 v40, 0x80000000, v40, s39
	v_cndmask_b32_e64 v39, 0, v39, s39
	v_lshrrev_b64 v[39:40], s52, v[39:40]
	v_and_b32_e32 v164, s64, v39
	s_or_b32 exec_lo, exec_lo, s56
	s_and_saveexec_b32 s56, s25
	s_cbranch_execz .LBB1222_804
.LBB1222_870:                           ;   in Loop: Header=BB1222_686 Depth=2
	ds_read_b64 v[39:40], v108 offset:8704
	s_waitcnt lgkmcnt(0)
	v_cmp_ne_u64_e64 s39, s[46:47], v[39:40]
	v_cndmask_b32_e64 v40, 0x80000000, v40, s39
	v_cndmask_b32_e64 v39, 0, v39, s39
	v_lshrrev_b64 v[39:40], s52, v[39:40]
	v_and_b32_e32 v163, s64, v39
	s_or_b32 exec_lo, exec_lo, s56
	s_and_saveexec_b32 s56, s26
	s_cbranch_execz .LBB1222_805
.LBB1222_871:                           ;   in Loop: Header=BB1222_686 Depth=2
	ds_read_b64 v[39:40], v108 offset:10752
	s_waitcnt lgkmcnt(0)
	v_cmp_ne_u64_e64 s39, s[46:47], v[39:40]
	v_cndmask_b32_e64 v40, 0x80000000, v40, s39
	v_cndmask_b32_e64 v39, 0, v39, s39
	v_lshrrev_b64 v[39:40], s52, v[39:40]
	v_and_b32_e32 v162, s64, v39
	s_or_b32 exec_lo, exec_lo, s56
	s_and_saveexec_b32 s56, s27
	s_cbranch_execz .LBB1222_806
.LBB1222_872:                           ;   in Loop: Header=BB1222_686 Depth=2
	ds_read_b64 v[39:40], v108 offset:12800
	s_waitcnt lgkmcnt(0)
	v_cmp_ne_u64_e64 s39, s[46:47], v[39:40]
	v_cndmask_b32_e64 v40, 0x80000000, v40, s39
	v_cndmask_b32_e64 v39, 0, v39, s39
	v_lshrrev_b64 v[39:40], s52, v[39:40]
	v_and_b32_e32 v161, s64, v39
	s_or_b32 exec_lo, exec_lo, s56
	s_and_saveexec_b32 s56, s28
	s_cbranch_execz .LBB1222_807
.LBB1222_873:                           ;   in Loop: Header=BB1222_686 Depth=2
	ds_read_b64 v[39:40], v108 offset:14848
	s_waitcnt lgkmcnt(0)
	v_cmp_ne_u64_e64 s39, s[46:47], v[39:40]
	v_cndmask_b32_e64 v40, 0x80000000, v40, s39
	v_cndmask_b32_e64 v39, 0, v39, s39
	v_lshrrev_b64 v[39:40], s52, v[39:40]
	v_and_b32_e32 v160, s64, v39
	s_or_b32 exec_lo, exec_lo, s56
	s_and_saveexec_b32 s56, s30
	s_cbranch_execz .LBB1222_808
.LBB1222_874:                           ;   in Loop: Header=BB1222_686 Depth=2
	ds_read_b64 v[39:40], v108 offset:16896
	s_waitcnt lgkmcnt(0)
	v_cmp_ne_u64_e64 s39, s[46:47], v[39:40]
	v_cndmask_b32_e64 v40, 0x80000000, v40, s39
	v_cndmask_b32_e64 v39, 0, v39, s39
	v_lshrrev_b64 v[39:40], s52, v[39:40]
	v_and_b32_e32 v159, s64, v39
	s_or_b32 exec_lo, exec_lo, s56
	s_and_saveexec_b32 s56, s31
	s_cbranch_execz .LBB1222_809
.LBB1222_875:                           ;   in Loop: Header=BB1222_686 Depth=2
	ds_read_b64 v[39:40], v108 offset:18944
	s_waitcnt lgkmcnt(0)
	v_cmp_ne_u64_e64 s39, s[46:47], v[39:40]
	v_cndmask_b32_e64 v40, 0x80000000, v40, s39
	v_cndmask_b32_e64 v39, 0, v39, s39
	v_lshrrev_b64 v[39:40], s52, v[39:40]
	v_and_b32_e32 v157, s64, v39
	s_or_b32 exec_lo, exec_lo, s56
	s_and_saveexec_b32 s56, s33
	s_cbranch_execz .LBB1222_810
.LBB1222_876:                           ;   in Loop: Header=BB1222_686 Depth=2
	ds_read_b64 v[39:40], v108 offset:20992
	s_waitcnt lgkmcnt(0)
	v_cmp_ne_u64_e64 s39, s[46:47], v[39:40]
	v_cndmask_b32_e64 v40, 0x80000000, v40, s39
	v_cndmask_b32_e64 v39, 0, v39, s39
	v_lshrrev_b64 v[39:40], s52, v[39:40]
	v_and_b32_e32 v156, s64, v39
	s_or_b32 exec_lo, exec_lo, s56
	s_and_saveexec_b32 s56, s34
	s_cbranch_execz .LBB1222_811
.LBB1222_877:                           ;   in Loop: Header=BB1222_686 Depth=2
	ds_read_b64 v[39:40], v108 offset:23040
	s_waitcnt lgkmcnt(0)
	v_cmp_ne_u64_e64 s39, s[46:47], v[39:40]
	v_cndmask_b32_e64 v40, 0x80000000, v40, s39
	v_cndmask_b32_e64 v39, 0, v39, s39
	v_lshrrev_b64 v[39:40], s52, v[39:40]
	v_and_b32_e32 v155, s64, v39
	s_or_b32 exec_lo, exec_lo, s56
	s_and_saveexec_b32 s56, s35
	s_cbranch_execz .LBB1222_812
.LBB1222_878:                           ;   in Loop: Header=BB1222_686 Depth=2
	ds_read_b64 v[39:40], v108 offset:25088
	s_waitcnt lgkmcnt(0)
	v_cmp_ne_u64_e64 s39, s[46:47], v[39:40]
	v_cndmask_b32_e64 v40, 0x80000000, v40, s39
	v_cndmask_b32_e64 v39, 0, v39, s39
	v_lshrrev_b64 v[39:40], s52, v[39:40]
	v_and_b32_e32 v154, s64, v39
	s_or_b32 exec_lo, exec_lo, s56
	s_and_saveexec_b32 s56, s36
	s_cbranch_execz .LBB1222_813
.LBB1222_879:                           ;   in Loop: Header=BB1222_686 Depth=2
	ds_read_b64 v[39:40], v108 offset:27136
	s_waitcnt lgkmcnt(0)
	v_cmp_ne_u64_e64 s39, s[46:47], v[39:40]
	v_cndmask_b32_e64 v40, 0x80000000, v40, s39
	v_cndmask_b32_e64 v39, 0, v39, s39
	v_lshrrev_b64 v[39:40], s52, v[39:40]
	v_and_b32_e32 v153, s64, v39
	s_or_b32 exec_lo, exec_lo, s56
	s_and_saveexec_b32 s56, s37
	s_cbranch_execz .LBB1222_814
.LBB1222_880:                           ;   in Loop: Header=BB1222_686 Depth=2
	ds_read_b64 v[39:40], v108 offset:29184
	s_waitcnt lgkmcnt(0)
	v_cmp_ne_u64_e64 s39, s[46:47], v[39:40]
	v_cndmask_b32_e64 v40, 0x80000000, v40, s39
	v_cndmask_b32_e64 v39, 0, v39, s39
	v_lshrrev_b64 v[39:40], s52, v[39:40]
	v_and_b32_e32 v152, s64, v39
	s_or_b32 exec_lo, exec_lo, s56
	s_and_saveexec_b32 s56, s38
	s_cbranch_execnz .LBB1222_815
	s_branch .LBB1222_816
.LBB1222_881:                           ;   in Loop: Header=BB1222_686 Depth=2
	v_lshlrev_b32_e32 v3, 2, v167
	ds_read_b32 v3, v3
	ds_read_b64 v[39:40], v108 offset:512
	s_waitcnt lgkmcnt(1)
	v_add_nc_u32_e32 v3, v3, v0
	v_lshlrev_b64 v[41:42], 3, v[3:4]
	v_add_co_u32 v41, vcc_lo, s48, v41
	v_add_co_ci_u32_e64 v42, null, s49, v42, vcc_lo
	s_waitcnt lgkmcnt(0)
	global_store_dwordx2 v[41:42], v[39:40], off
	s_or_b32 exec_lo, exec_lo, s39
	s_and_saveexec_b32 s39, s22
	s_cbranch_execz .LBB1222_818
.LBB1222_882:                           ;   in Loop: Header=BB1222_686 Depth=2
	v_lshlrev_b32_e32 v3, 2, v166
	ds_read_b32 v3, v3
	ds_read_b64 v[39:40], v108 offset:2560
	s_waitcnt lgkmcnt(1)
	v_add_nc_u32_e32 v3, v3, v76
	v_lshlrev_b64 v[41:42], 3, v[3:4]
	v_add_co_u32 v41, vcc_lo, s48, v41
	v_add_co_ci_u32_e64 v42, null, s49, v42, vcc_lo
	s_waitcnt lgkmcnt(0)
	global_store_dwordx2 v[41:42], v[39:40], off
	s_or_b32 exec_lo, exec_lo, s39
	s_and_saveexec_b32 s22, s23
	s_cbranch_execz .LBB1222_819
.LBB1222_883:                           ;   in Loop: Header=BB1222_686 Depth=2
	v_lshlrev_b32_e32 v3, 2, v165
	ds_read_b32 v3, v3
	ds_read_b64 v[39:40], v108 offset:4608
	s_waitcnt lgkmcnt(1)
	v_add_nc_u32_e32 v3, v3, v79
	v_lshlrev_b64 v[41:42], 3, v[3:4]
	v_add_co_u32 v41, vcc_lo, s48, v41
	v_add_co_ci_u32_e64 v42, null, s49, v42, vcc_lo
	s_waitcnt lgkmcnt(0)
	global_store_dwordx2 v[41:42], v[39:40], off
	s_or_b32 exec_lo, exec_lo, s22
	s_and_saveexec_b32 s22, s24
	s_cbranch_execz .LBB1222_820
.LBB1222_884:                           ;   in Loop: Header=BB1222_686 Depth=2
	v_lshlrev_b32_e32 v3, 2, v164
	ds_read_b32 v3, v3
	ds_read_b64 v[39:40], v108 offset:6656
	s_waitcnt lgkmcnt(1)
	v_add_nc_u32_e32 v3, v3, v80
	v_lshlrev_b64 v[41:42], 3, v[3:4]
	v_add_co_u32 v41, vcc_lo, s48, v41
	v_add_co_ci_u32_e64 v42, null, s49, v42, vcc_lo
	s_waitcnt lgkmcnt(0)
	global_store_dwordx2 v[41:42], v[39:40], off
	s_or_b32 exec_lo, exec_lo, s22
	s_and_saveexec_b32 s22, s25
	s_cbranch_execz .LBB1222_821
.LBB1222_885:                           ;   in Loop: Header=BB1222_686 Depth=2
	v_lshlrev_b32_e32 v3, 2, v163
	ds_read_b32 v3, v3
	ds_read_b64 v[39:40], v108 offset:8704
	s_waitcnt lgkmcnt(1)
	v_add_nc_u32_e32 v3, v3, v81
	v_lshlrev_b64 v[41:42], 3, v[3:4]
	v_add_co_u32 v41, vcc_lo, s48, v41
	v_add_co_ci_u32_e64 v42, null, s49, v42, vcc_lo
	s_waitcnt lgkmcnt(0)
	global_store_dwordx2 v[41:42], v[39:40], off
	s_or_b32 exec_lo, exec_lo, s22
	s_and_saveexec_b32 s22, s26
	s_cbranch_execz .LBB1222_822
.LBB1222_886:                           ;   in Loop: Header=BB1222_686 Depth=2
	v_lshlrev_b32_e32 v3, 2, v162
	ds_read_b32 v3, v3
	ds_read_b64 v[39:40], v108 offset:10752
	s_waitcnt lgkmcnt(1)
	v_add_nc_u32_e32 v3, v3, v82
	v_lshlrev_b64 v[41:42], 3, v[3:4]
	v_add_co_u32 v41, vcc_lo, s48, v41
	v_add_co_ci_u32_e64 v42, null, s49, v42, vcc_lo
	s_waitcnt lgkmcnt(0)
	global_store_dwordx2 v[41:42], v[39:40], off
	s_or_b32 exec_lo, exec_lo, s22
	s_and_saveexec_b32 s22, s27
	s_cbranch_execz .LBB1222_823
.LBB1222_887:                           ;   in Loop: Header=BB1222_686 Depth=2
	v_lshlrev_b32_e32 v3, 2, v161
	ds_read_b32 v3, v3
	ds_read_b64 v[39:40], v108 offset:12800
	s_waitcnt lgkmcnt(1)
	v_add_nc_u32_e32 v3, v3, v83
	v_lshlrev_b64 v[41:42], 3, v[3:4]
	v_add_co_u32 v41, vcc_lo, s48, v41
	v_add_co_ci_u32_e64 v42, null, s49, v42, vcc_lo
	s_waitcnt lgkmcnt(0)
	global_store_dwordx2 v[41:42], v[39:40], off
	s_or_b32 exec_lo, exec_lo, s22
	s_and_saveexec_b32 s22, s28
	s_cbranch_execz .LBB1222_824
.LBB1222_888:                           ;   in Loop: Header=BB1222_686 Depth=2
	v_lshlrev_b32_e32 v3, 2, v160
	ds_read_b32 v3, v3
	ds_read_b64 v[39:40], v108 offset:14848
	s_waitcnt lgkmcnt(1)
	v_add_nc_u32_e32 v3, v3, v84
	v_lshlrev_b64 v[41:42], 3, v[3:4]
	v_add_co_u32 v41, vcc_lo, s48, v41
	v_add_co_ci_u32_e64 v42, null, s49, v42, vcc_lo
	s_waitcnt lgkmcnt(0)
	global_store_dwordx2 v[41:42], v[39:40], off
	s_or_b32 exec_lo, exec_lo, s22
	s_and_saveexec_b32 s22, s30
	s_cbranch_execz .LBB1222_825
.LBB1222_889:                           ;   in Loop: Header=BB1222_686 Depth=2
	v_lshlrev_b32_e32 v3, 2, v159
	ds_read_b32 v3, v3
	ds_read_b64 v[39:40], v108 offset:16896
	s_waitcnt lgkmcnt(1)
	v_add_nc_u32_e32 v3, v3, v85
	v_lshlrev_b64 v[41:42], 3, v[3:4]
	v_add_co_u32 v41, vcc_lo, s48, v41
	v_add_co_ci_u32_e64 v42, null, s49, v42, vcc_lo
	s_waitcnt lgkmcnt(0)
	global_store_dwordx2 v[41:42], v[39:40], off
	s_or_b32 exec_lo, exec_lo, s22
	s_and_saveexec_b32 s22, s31
	s_cbranch_execz .LBB1222_826
.LBB1222_890:                           ;   in Loop: Header=BB1222_686 Depth=2
	v_lshlrev_b32_e32 v3, 2, v157
	ds_read_b32 v3, v3
	ds_read_b64 v[39:40], v108 offset:18944
	s_waitcnt lgkmcnt(1)
	v_add_nc_u32_e32 v3, v3, v86
	v_lshlrev_b64 v[41:42], 3, v[3:4]
	v_add_co_u32 v41, vcc_lo, s48, v41
	v_add_co_ci_u32_e64 v42, null, s49, v42, vcc_lo
	s_waitcnt lgkmcnt(0)
	global_store_dwordx2 v[41:42], v[39:40], off
	s_or_b32 exec_lo, exec_lo, s22
	s_and_saveexec_b32 s22, s33
	s_cbranch_execz .LBB1222_827
.LBB1222_891:                           ;   in Loop: Header=BB1222_686 Depth=2
	v_lshlrev_b32_e32 v3, 2, v156
	ds_read_b32 v3, v3
	ds_read_b64 v[39:40], v108 offset:20992
	s_waitcnt lgkmcnt(1)
	v_add_nc_u32_e32 v3, v3, v87
	v_lshlrev_b64 v[41:42], 3, v[3:4]
	v_add_co_u32 v41, vcc_lo, s48, v41
	v_add_co_ci_u32_e64 v42, null, s49, v42, vcc_lo
	s_waitcnt lgkmcnt(0)
	global_store_dwordx2 v[41:42], v[39:40], off
	s_or_b32 exec_lo, exec_lo, s22
	s_and_saveexec_b32 s22, s34
	s_cbranch_execz .LBB1222_828
.LBB1222_892:                           ;   in Loop: Header=BB1222_686 Depth=2
	v_lshlrev_b32_e32 v3, 2, v155
	ds_read_b32 v3, v3
	ds_read_b64 v[39:40], v108 offset:23040
	s_waitcnt lgkmcnt(1)
	v_add_nc_u32_e32 v3, v3, v88
	v_lshlrev_b64 v[41:42], 3, v[3:4]
	v_add_co_u32 v41, vcc_lo, s48, v41
	v_add_co_ci_u32_e64 v42, null, s49, v42, vcc_lo
	s_waitcnt lgkmcnt(0)
	global_store_dwordx2 v[41:42], v[39:40], off
	s_or_b32 exec_lo, exec_lo, s22
	s_and_saveexec_b32 s22, s35
	s_cbranch_execz .LBB1222_829
.LBB1222_893:                           ;   in Loop: Header=BB1222_686 Depth=2
	v_lshlrev_b32_e32 v3, 2, v154
	ds_read_b32 v3, v3
	ds_read_b64 v[39:40], v108 offset:25088
	s_waitcnt lgkmcnt(1)
	v_add_nc_u32_e32 v3, v3, v89
	v_lshlrev_b64 v[41:42], 3, v[3:4]
	v_add_co_u32 v41, vcc_lo, s48, v41
	v_add_co_ci_u32_e64 v42, null, s49, v42, vcc_lo
	s_waitcnt lgkmcnt(0)
	global_store_dwordx2 v[41:42], v[39:40], off
	s_or_b32 exec_lo, exec_lo, s22
	s_and_saveexec_b32 s22, s36
	s_cbranch_execz .LBB1222_830
.LBB1222_894:                           ;   in Loop: Header=BB1222_686 Depth=2
	v_lshlrev_b32_e32 v3, 2, v153
	ds_read_b32 v3, v3
	ds_read_b64 v[39:40], v108 offset:27136
	s_waitcnt lgkmcnt(1)
	v_add_nc_u32_e32 v3, v3, v90
	v_lshlrev_b64 v[41:42], 3, v[3:4]
	v_add_co_u32 v41, vcc_lo, s48, v41
	v_add_co_ci_u32_e64 v42, null, s49, v42, vcc_lo
	s_waitcnt lgkmcnt(0)
	global_store_dwordx2 v[41:42], v[39:40], off
	s_or_b32 exec_lo, exec_lo, s22
	s_and_saveexec_b32 s22, s37
	s_cbranch_execz .LBB1222_831
.LBB1222_895:                           ;   in Loop: Header=BB1222_686 Depth=2
	v_lshlrev_b32_e32 v3, 2, v152
	ds_read_b32 v3, v3
	ds_read_b64 v[39:40], v108 offset:29184
	s_waitcnt lgkmcnt(1)
	v_add_nc_u32_e32 v3, v3, v91
	v_lshlrev_b64 v[41:42], 3, v[3:4]
	v_add_co_u32 v41, vcc_lo, s48, v41
	v_add_co_ci_u32_e64 v42, null, s49, v42, vcc_lo
	s_waitcnt lgkmcnt(0)
	global_store_dwordx2 v[41:42], v[39:40], off
	s_or_b32 exec_lo, exec_lo, s22
	s_and_saveexec_b32 s22, s38
	s_cbranch_execnz .LBB1222_832
	s_branch .LBB1222_833
.LBB1222_896:                           ;   in Loop: Header=BB1222_12 Depth=1
	s_waitcnt lgkmcnt(0)
	s_mov_b32 s13, 0
	s_barrier
.LBB1222_897:                           ;   in Loop: Header=BB1222_12 Depth=1
	s_and_b32 vcc_lo, exec_lo, s13
	s_cbranch_vccz .LBB1222_11
; %bb.898:                              ;   in Loop: Header=BB1222_12 Depth=1
	s_mov_b32 s13, s62
	s_mov_b32 s56, s60
	s_barrier
	buffer_gl0_inv
                                        ; implicit-def: $vgpr7_vgpr8
                                        ; implicit-def: $vgpr9_vgpr10
                                        ; implicit-def: $vgpr11_vgpr12
                                        ; implicit-def: $vgpr13_vgpr14
                                        ; implicit-def: $vgpr15_vgpr16
                                        ; implicit-def: $vgpr17_vgpr18
                                        ; implicit-def: $vgpr19_vgpr20
                                        ; implicit-def: $vgpr21_vgpr22
                                        ; implicit-def: $vgpr23_vgpr24
                                        ; implicit-def: $vgpr25_vgpr26
                                        ; implicit-def: $vgpr27_vgpr28
                                        ; implicit-def: $vgpr29_vgpr30
                                        ; implicit-def: $vgpr31_vgpr32
                                        ; implicit-def: $vgpr33_vgpr34
                                        ; implicit-def: $vgpr35_vgpr36
                                        ; implicit-def: $vgpr37_vgpr38
	s_branch .LBB1222_900
.LBB1222_899:                           ;   in Loop: Header=BB1222_900 Depth=2
	s_or_b32 exec_lo, exec_lo, s14
	s_addk_i32 s13, 0xf000
	s_cmp_ge_u32 s16, s61
	s_mov_b32 s56, s16
	s_cbranch_scc1 .LBB1222_968
.LBB1222_900:                           ;   Parent Loop BB1222_12 Depth=1
                                        ; =>  This Inner Loop Header: Depth=2
	s_add_i32 s16, s56, 0x1000
	s_mov_b32 s14, -1
	s_cmp_gt_u32 s16, s61
                                        ; implicit-def: $vgpr49_vgpr50
                                        ; implicit-def: $vgpr53_vgpr54
                                        ; implicit-def: $vgpr57_vgpr58
                                        ; implicit-def: $vgpr39_vgpr40
                                        ; implicit-def: $vgpr41_vgpr42
                                        ; implicit-def: $vgpr43_vgpr44
                                        ; implicit-def: $vgpr45_vgpr46
                                        ; implicit-def: $vgpr47_vgpr48
                                        ; implicit-def: $vgpr51_vgpr52
                                        ; implicit-def: $vgpr55_vgpr56
                                        ; implicit-def: $vgpr59_vgpr60
                                        ; implicit-def: $vgpr61_vgpr62
                                        ; implicit-def: $vgpr63_vgpr64
                                        ; implicit-def: $vgpr65_vgpr66
                                        ; implicit-def: $vgpr67_vgpr68
                                        ; implicit-def: $vgpr69_vgpr70
	s_cbranch_scc1 .LBB1222_902
; %bb.901:                              ;   in Loop: Header=BB1222_900 Depth=2
	s_lshl_b64 s[14:15], s[56:57], 3
	v_add_co_u32 v49, vcc_lo, v115, s14
	v_add_co_ci_u32_e64 v50, null, s15, v116, vcc_lo
	s_mov_b32 s14, 0
	v_add_co_u32 v57, vcc_lo, v49, 0x1000
	v_add_co_ci_u32_e64 v58, null, 0, v50, vcc_lo
	v_add_co_u32 v41, vcc_lo, v49, 0x2000
	v_add_co_ci_u32_e64 v42, null, 0, v50, vcc_lo
	;; [unrolled: 2-line block ×5, first 2 shown]
	s_clause 0x7
	global_load_dwordx2 v[39:40], v[41:42], off offset:-2048
	global_load_dwordx2 v[41:42], v[41:42], off
	global_load_dwordx2 v[43:44], v[45:46], off offset:-2048
	global_load_dwordx2 v[45:46], v[45:46], off
	;; [unrolled: 2-line block ×4, first 2 shown]
	v_add_co_u32 v53, vcc_lo, v49, 0x6000
	v_add_co_ci_u32_e64 v54, null, 0, v50, vcc_lo
	v_add_co_u32 v67, vcc_lo, v49, 0x7000
	v_add_co_ci_u32_e64 v68, null, 0, v50, vcc_lo
	;; [unrolled: 2-line block ×3, first 2 shown]
	s_clause 0x7
	global_load_dwordx2 v[61:62], v[53:54], off offset:-2048
	global_load_dwordx2 v[63:64], v[53:54], off
	global_load_dwordx2 v[65:66], v[67:68], off offset:-2048
	global_load_dwordx2 v[67:68], v[67:68], off
	global_load_dwordx2 v[49:50], v[49:50], off
	global_load_dwordx2 v[53:54], v[57:58], off offset:-2048
	global_load_dwordx2 v[57:58], v[57:58], off
	global_load_dwordx2 v[69:70], v[69:70], off
.LBB1222_902:                           ;   in Loop: Header=BB1222_900 Depth=2
	s_andn2_b32 vcc_lo, exec_lo, s14
	s_movk_i32 s14, 0x1000
	s_cbranch_vccnz .LBB1222_921
; %bb.903:                              ;   in Loop: Header=BB1222_900 Depth=2
	s_lshl_b64 s[14:15], s[56:57], 3
	s_mov_b32 s17, exec_lo
	s_add_u32 s14, s40, s14
	s_addc_u32 s15, s41, s15
	v_cmpx_gt_u32_e64 s13, v0
	s_cbranch_execnz .LBB1222_953
; %bb.904:                              ;   in Loop: Header=BB1222_900 Depth=2
	s_or_b32 exec_lo, exec_lo, s17
	s_mov_b32 s17, exec_lo
	v_cmpx_gt_u32_e64 s13, v76
	s_cbranch_execnz .LBB1222_954
.LBB1222_905:                           ;   in Loop: Header=BB1222_900 Depth=2
	s_or_b32 exec_lo, exec_lo, s17
	s_mov_b32 s17, exec_lo
	v_cmpx_gt_u32_e64 s13, v79
	s_cbranch_execnz .LBB1222_955
.LBB1222_906:                           ;   in Loop: Header=BB1222_900 Depth=2
	s_or_b32 exec_lo, exec_lo, s17
	s_mov_b32 s17, exec_lo
	v_cmpx_gt_u32_e64 s13, v80
	s_cbranch_execnz .LBB1222_956
.LBB1222_907:                           ;   in Loop: Header=BB1222_900 Depth=2
	s_or_b32 exec_lo, exec_lo, s17
	s_mov_b32 s17, exec_lo
	v_cmpx_gt_u32_e64 s13, v81
	s_cbranch_execnz .LBB1222_957
.LBB1222_908:                           ;   in Loop: Header=BB1222_900 Depth=2
	s_or_b32 exec_lo, exec_lo, s17
	s_mov_b32 s17, exec_lo
	v_cmpx_gt_u32_e64 s13, v82
	s_cbranch_execnz .LBB1222_958
.LBB1222_909:                           ;   in Loop: Header=BB1222_900 Depth=2
	s_or_b32 exec_lo, exec_lo, s17
	s_mov_b32 s17, exec_lo
	v_cmpx_gt_u32_e64 s13, v83
	s_cbranch_execnz .LBB1222_959
.LBB1222_910:                           ;   in Loop: Header=BB1222_900 Depth=2
	s_or_b32 exec_lo, exec_lo, s17
	s_mov_b32 s17, exec_lo
	v_cmpx_gt_u32_e64 s13, v84
	s_cbranch_execnz .LBB1222_960
.LBB1222_911:                           ;   in Loop: Header=BB1222_900 Depth=2
	s_or_b32 exec_lo, exec_lo, s17
	s_mov_b32 s17, exec_lo
	v_cmpx_gt_u32_e64 s13, v85
	s_cbranch_execnz .LBB1222_961
.LBB1222_912:                           ;   in Loop: Header=BB1222_900 Depth=2
	s_or_b32 exec_lo, exec_lo, s17
	s_mov_b32 s17, exec_lo
	v_cmpx_gt_u32_e64 s13, v86
	s_cbranch_execnz .LBB1222_962
.LBB1222_913:                           ;   in Loop: Header=BB1222_900 Depth=2
	s_or_b32 exec_lo, exec_lo, s17
	s_mov_b32 s17, exec_lo
	v_cmpx_gt_u32_e64 s13, v87
	s_cbranch_execnz .LBB1222_963
.LBB1222_914:                           ;   in Loop: Header=BB1222_900 Depth=2
	s_or_b32 exec_lo, exec_lo, s17
	s_mov_b32 s17, exec_lo
	v_cmpx_gt_u32_e64 s13, v88
	s_cbranch_execnz .LBB1222_964
.LBB1222_915:                           ;   in Loop: Header=BB1222_900 Depth=2
	s_or_b32 exec_lo, exec_lo, s17
	s_mov_b32 s17, exec_lo
	v_cmpx_gt_u32_e64 s13, v89
	s_cbranch_execnz .LBB1222_965
.LBB1222_916:                           ;   in Loop: Header=BB1222_900 Depth=2
	s_or_b32 exec_lo, exec_lo, s17
	s_mov_b32 s17, exec_lo
	v_cmpx_gt_u32_e64 s13, v90
	s_cbranch_execnz .LBB1222_966
.LBB1222_917:                           ;   in Loop: Header=BB1222_900 Depth=2
	s_or_b32 exec_lo, exec_lo, s17
	s_mov_b32 s17, exec_lo
	v_cmpx_gt_u32_e64 s13, v91
	s_cbranch_execnz .LBB1222_967
.LBB1222_918:                           ;   in Loop: Header=BB1222_900 Depth=2
	s_or_b32 exec_lo, exec_lo, s17
	s_mov_b32 s17, exec_lo
	v_cmpx_gt_u32_e64 s13, v92
	s_cbranch_execz .LBB1222_920
.LBB1222_919:                           ;   in Loop: Header=BB1222_900 Depth=2
	v_lshlrev_b32_e32 v3, 3, v92
	global_load_dwordx2 v[7:8], v3, s[14:15]
.LBB1222_920:                           ;   in Loop: Header=BB1222_900 Depth=2
	s_or_b32 exec_lo, exec_lo, s17
	s_waitcnt vmcnt(0)
	v_mov_b32_e32 v50, v38
	v_mov_b32_e32 v54, v36
	;; [unrolled: 1-line block ×32, first 2 shown]
	s_mov_b32 s14, s13
.LBB1222_921:                           ;   in Loop: Header=BB1222_900 Depth=2
	s_waitcnt vmcnt(0)
	v_mov_b32_e32 v7, v69
	v_mov_b32_e32 v9, v67
	;; [unrolled: 1-line block ×32, first 2 shown]
	s_mov_b32 s15, exec_lo
	v_cmpx_gt_u32_e64 s14, v0
	s_cbranch_execnz .LBB1222_937
; %bb.922:                              ;   in Loop: Header=BB1222_900 Depth=2
	s_or_b32 exec_lo, exec_lo, s15
	s_mov_b32 s15, exec_lo
	v_cmpx_gt_u32_e64 s14, v76
	s_cbranch_execnz .LBB1222_938
.LBB1222_923:                           ;   in Loop: Header=BB1222_900 Depth=2
	s_or_b32 exec_lo, exec_lo, s15
	s_mov_b32 s15, exec_lo
	v_cmpx_gt_u32_e64 s14, v79
	s_cbranch_execnz .LBB1222_939
.LBB1222_924:                           ;   in Loop: Header=BB1222_900 Depth=2
	s_or_b32 exec_lo, exec_lo, s15
	s_mov_b32 s15, exec_lo
	v_cmpx_gt_u32_e64 s14, v80
	s_cbranch_execnz .LBB1222_940
.LBB1222_925:                           ;   in Loop: Header=BB1222_900 Depth=2
	s_or_b32 exec_lo, exec_lo, s15
	s_mov_b32 s15, exec_lo
	v_cmpx_gt_u32_e64 s14, v81
	s_cbranch_execnz .LBB1222_941
.LBB1222_926:                           ;   in Loop: Header=BB1222_900 Depth=2
	s_or_b32 exec_lo, exec_lo, s15
	s_mov_b32 s15, exec_lo
	v_cmpx_gt_u32_e64 s14, v82
	s_cbranch_execnz .LBB1222_942
.LBB1222_927:                           ;   in Loop: Header=BB1222_900 Depth=2
	s_or_b32 exec_lo, exec_lo, s15
	s_mov_b32 s15, exec_lo
	v_cmpx_gt_u32_e64 s14, v83
	s_cbranch_execnz .LBB1222_943
.LBB1222_928:                           ;   in Loop: Header=BB1222_900 Depth=2
	s_or_b32 exec_lo, exec_lo, s15
	s_mov_b32 s15, exec_lo
	v_cmpx_gt_u32_e64 s14, v84
	s_cbranch_execnz .LBB1222_944
.LBB1222_929:                           ;   in Loop: Header=BB1222_900 Depth=2
	s_or_b32 exec_lo, exec_lo, s15
	s_mov_b32 s15, exec_lo
	v_cmpx_gt_u32_e64 s14, v85
	s_cbranch_execnz .LBB1222_945
.LBB1222_930:                           ;   in Loop: Header=BB1222_900 Depth=2
	s_or_b32 exec_lo, exec_lo, s15
	s_mov_b32 s15, exec_lo
	v_cmpx_gt_u32_e64 s14, v86
	s_cbranch_execnz .LBB1222_946
.LBB1222_931:                           ;   in Loop: Header=BB1222_900 Depth=2
	s_or_b32 exec_lo, exec_lo, s15
	s_mov_b32 s15, exec_lo
	v_cmpx_gt_u32_e64 s14, v87
	s_cbranch_execnz .LBB1222_947
.LBB1222_932:                           ;   in Loop: Header=BB1222_900 Depth=2
	s_or_b32 exec_lo, exec_lo, s15
	s_mov_b32 s15, exec_lo
	v_cmpx_gt_u32_e64 s14, v88
	s_cbranch_execnz .LBB1222_948
.LBB1222_933:                           ;   in Loop: Header=BB1222_900 Depth=2
	s_or_b32 exec_lo, exec_lo, s15
	s_mov_b32 s15, exec_lo
	v_cmpx_gt_u32_e64 s14, v89
	s_cbranch_execnz .LBB1222_949
.LBB1222_934:                           ;   in Loop: Header=BB1222_900 Depth=2
	s_or_b32 exec_lo, exec_lo, s15
	s_mov_b32 s15, exec_lo
	v_cmpx_gt_u32_e64 s14, v90
	s_cbranch_execnz .LBB1222_950
.LBB1222_935:                           ;   in Loop: Header=BB1222_900 Depth=2
	s_or_b32 exec_lo, exec_lo, s15
	s_mov_b32 s15, exec_lo
	v_cmpx_gt_u32_e64 s14, v91
	s_cbranch_execnz .LBB1222_951
.LBB1222_936:                           ;   in Loop: Header=BB1222_900 Depth=2
	s_or_b32 exec_lo, exec_lo, s15
	v_cmp_gt_u32_e32 vcc_lo, s14, v92
	s_and_saveexec_b32 s14, vcc_lo
	s_cbranch_execz .LBB1222_899
	s_branch .LBB1222_952
.LBB1222_937:                           ;   in Loop: Header=BB1222_900 Depth=2
	v_cmp_lt_i64_e32 vcc_lo, -1, v[37:38]
	v_ashrrev_i32_e32 v39, 31, v38
	v_xor_b32_e32 v39, v39, v37
	v_cndmask_b32_e64 v3, -1, 0x80000000, vcc_lo
	v_xor_b32_e32 v40, v3, v38
	v_cmp_ne_u64_e32 vcc_lo, s[46:47], v[39:40]
	v_cndmask_b32_e32 v40, 0x80000000, v40, vcc_lo
	v_cndmask_b32_e32 v39, 0, v39, vcc_lo
	v_lshrrev_b64 v[39:40], s52, v[39:40]
	v_and_b32_e32 v3, s64, v39
	v_lshl_or_b32 v3, v3, 4, v93
	ds_add_u32 v3, v121
	s_or_b32 exec_lo, exec_lo, s15
	s_mov_b32 s15, exec_lo
	v_cmpx_gt_u32_e64 s14, v76
	s_cbranch_execz .LBB1222_923
.LBB1222_938:                           ;   in Loop: Header=BB1222_900 Depth=2
	v_cmp_lt_i64_e32 vcc_lo, -1, v[35:36]
	v_ashrrev_i32_e32 v39, 31, v36
	v_xor_b32_e32 v39, v39, v35
	v_cndmask_b32_e64 v3, -1, 0x80000000, vcc_lo
	v_xor_b32_e32 v40, v3, v36
	v_cmp_ne_u64_e32 vcc_lo, s[46:47], v[39:40]
	v_cndmask_b32_e32 v40, 0x80000000, v40, vcc_lo
	v_cndmask_b32_e32 v39, 0, v39, vcc_lo
	v_lshrrev_b64 v[39:40], s52, v[39:40]
	v_and_b32_e32 v3, s64, v39
	v_lshl_or_b32 v3, v3, 4, v93
	ds_add_u32 v3, v121
	s_or_b32 exec_lo, exec_lo, s15
	s_mov_b32 s15, exec_lo
	v_cmpx_gt_u32_e64 s14, v79
	s_cbranch_execz .LBB1222_924
.LBB1222_939:                           ;   in Loop: Header=BB1222_900 Depth=2
	v_cmp_lt_i64_e32 vcc_lo, -1, v[33:34]
	v_ashrrev_i32_e32 v39, 31, v34
	v_xor_b32_e32 v39, v39, v33
	v_cndmask_b32_e64 v3, -1, 0x80000000, vcc_lo
	v_xor_b32_e32 v40, v3, v34
	v_cmp_ne_u64_e32 vcc_lo, s[46:47], v[39:40]
	v_cndmask_b32_e32 v40, 0x80000000, v40, vcc_lo
	v_cndmask_b32_e32 v39, 0, v39, vcc_lo
	v_lshrrev_b64 v[39:40], s52, v[39:40]
	v_and_b32_e32 v3, s64, v39
	v_lshl_or_b32 v3, v3, 4, v93
	ds_add_u32 v3, v121
	s_or_b32 exec_lo, exec_lo, s15
	s_mov_b32 s15, exec_lo
	v_cmpx_gt_u32_e64 s14, v80
	s_cbranch_execz .LBB1222_925
.LBB1222_940:                           ;   in Loop: Header=BB1222_900 Depth=2
	v_cmp_lt_i64_e32 vcc_lo, -1, v[31:32]
	v_ashrrev_i32_e32 v39, 31, v32
	v_xor_b32_e32 v39, v39, v31
	v_cndmask_b32_e64 v3, -1, 0x80000000, vcc_lo
	v_xor_b32_e32 v40, v3, v32
	v_cmp_ne_u64_e32 vcc_lo, s[46:47], v[39:40]
	v_cndmask_b32_e32 v40, 0x80000000, v40, vcc_lo
	v_cndmask_b32_e32 v39, 0, v39, vcc_lo
	v_lshrrev_b64 v[39:40], s52, v[39:40]
	v_and_b32_e32 v3, s64, v39
	v_lshl_or_b32 v3, v3, 4, v93
	ds_add_u32 v3, v121
	s_or_b32 exec_lo, exec_lo, s15
	s_mov_b32 s15, exec_lo
	v_cmpx_gt_u32_e64 s14, v81
	s_cbranch_execz .LBB1222_926
.LBB1222_941:                           ;   in Loop: Header=BB1222_900 Depth=2
	v_cmp_lt_i64_e32 vcc_lo, -1, v[29:30]
	v_ashrrev_i32_e32 v39, 31, v30
	v_xor_b32_e32 v39, v39, v29
	v_cndmask_b32_e64 v3, -1, 0x80000000, vcc_lo
	v_xor_b32_e32 v40, v3, v30
	v_cmp_ne_u64_e32 vcc_lo, s[46:47], v[39:40]
	v_cndmask_b32_e32 v40, 0x80000000, v40, vcc_lo
	v_cndmask_b32_e32 v39, 0, v39, vcc_lo
	v_lshrrev_b64 v[39:40], s52, v[39:40]
	v_and_b32_e32 v3, s64, v39
	v_lshl_or_b32 v3, v3, 4, v93
	ds_add_u32 v3, v121
	s_or_b32 exec_lo, exec_lo, s15
	s_mov_b32 s15, exec_lo
	v_cmpx_gt_u32_e64 s14, v82
	s_cbranch_execz .LBB1222_927
.LBB1222_942:                           ;   in Loop: Header=BB1222_900 Depth=2
	v_cmp_lt_i64_e32 vcc_lo, -1, v[27:28]
	v_ashrrev_i32_e32 v39, 31, v28
	v_xor_b32_e32 v39, v39, v27
	v_cndmask_b32_e64 v3, -1, 0x80000000, vcc_lo
	v_xor_b32_e32 v40, v3, v28
	v_cmp_ne_u64_e32 vcc_lo, s[46:47], v[39:40]
	v_cndmask_b32_e32 v40, 0x80000000, v40, vcc_lo
	v_cndmask_b32_e32 v39, 0, v39, vcc_lo
	v_lshrrev_b64 v[39:40], s52, v[39:40]
	v_and_b32_e32 v3, s64, v39
	v_lshl_or_b32 v3, v3, 4, v93
	ds_add_u32 v3, v121
	s_or_b32 exec_lo, exec_lo, s15
	s_mov_b32 s15, exec_lo
	v_cmpx_gt_u32_e64 s14, v83
	s_cbranch_execz .LBB1222_928
.LBB1222_943:                           ;   in Loop: Header=BB1222_900 Depth=2
	v_cmp_lt_i64_e32 vcc_lo, -1, v[25:26]
	v_ashrrev_i32_e32 v39, 31, v26
	v_xor_b32_e32 v39, v39, v25
	v_cndmask_b32_e64 v3, -1, 0x80000000, vcc_lo
	v_xor_b32_e32 v40, v3, v26
	v_cmp_ne_u64_e32 vcc_lo, s[46:47], v[39:40]
	v_cndmask_b32_e32 v40, 0x80000000, v40, vcc_lo
	v_cndmask_b32_e32 v39, 0, v39, vcc_lo
	v_lshrrev_b64 v[39:40], s52, v[39:40]
	v_and_b32_e32 v3, s64, v39
	v_lshl_or_b32 v3, v3, 4, v93
	ds_add_u32 v3, v121
	s_or_b32 exec_lo, exec_lo, s15
	s_mov_b32 s15, exec_lo
	v_cmpx_gt_u32_e64 s14, v84
	s_cbranch_execz .LBB1222_929
.LBB1222_944:                           ;   in Loop: Header=BB1222_900 Depth=2
	v_cmp_lt_i64_e32 vcc_lo, -1, v[23:24]
	v_ashrrev_i32_e32 v39, 31, v24
	v_xor_b32_e32 v39, v39, v23
	v_cndmask_b32_e64 v3, -1, 0x80000000, vcc_lo
	v_xor_b32_e32 v40, v3, v24
	v_cmp_ne_u64_e32 vcc_lo, s[46:47], v[39:40]
	v_cndmask_b32_e32 v40, 0x80000000, v40, vcc_lo
	v_cndmask_b32_e32 v39, 0, v39, vcc_lo
	v_lshrrev_b64 v[39:40], s52, v[39:40]
	v_and_b32_e32 v3, s64, v39
	v_lshl_or_b32 v3, v3, 4, v93
	ds_add_u32 v3, v121
	s_or_b32 exec_lo, exec_lo, s15
	s_mov_b32 s15, exec_lo
	v_cmpx_gt_u32_e64 s14, v85
	s_cbranch_execz .LBB1222_930
.LBB1222_945:                           ;   in Loop: Header=BB1222_900 Depth=2
	v_cmp_lt_i64_e32 vcc_lo, -1, v[21:22]
	v_ashrrev_i32_e32 v39, 31, v22
	v_xor_b32_e32 v39, v39, v21
	v_cndmask_b32_e64 v3, -1, 0x80000000, vcc_lo
	v_xor_b32_e32 v40, v3, v22
	v_cmp_ne_u64_e32 vcc_lo, s[46:47], v[39:40]
	v_cndmask_b32_e32 v40, 0x80000000, v40, vcc_lo
	v_cndmask_b32_e32 v39, 0, v39, vcc_lo
	v_lshrrev_b64 v[39:40], s52, v[39:40]
	v_and_b32_e32 v3, s64, v39
	v_lshl_or_b32 v3, v3, 4, v93
	ds_add_u32 v3, v121
	s_or_b32 exec_lo, exec_lo, s15
	s_mov_b32 s15, exec_lo
	v_cmpx_gt_u32_e64 s14, v86
	s_cbranch_execz .LBB1222_931
.LBB1222_946:                           ;   in Loop: Header=BB1222_900 Depth=2
	v_cmp_lt_i64_e32 vcc_lo, -1, v[19:20]
	v_ashrrev_i32_e32 v39, 31, v20
	v_xor_b32_e32 v39, v39, v19
	v_cndmask_b32_e64 v3, -1, 0x80000000, vcc_lo
	v_xor_b32_e32 v40, v3, v20
	v_cmp_ne_u64_e32 vcc_lo, s[46:47], v[39:40]
	v_cndmask_b32_e32 v40, 0x80000000, v40, vcc_lo
	v_cndmask_b32_e32 v39, 0, v39, vcc_lo
	v_lshrrev_b64 v[39:40], s52, v[39:40]
	v_and_b32_e32 v3, s64, v39
	v_lshl_or_b32 v3, v3, 4, v93
	ds_add_u32 v3, v121
	s_or_b32 exec_lo, exec_lo, s15
	s_mov_b32 s15, exec_lo
	v_cmpx_gt_u32_e64 s14, v87
	s_cbranch_execz .LBB1222_932
.LBB1222_947:                           ;   in Loop: Header=BB1222_900 Depth=2
	v_cmp_lt_i64_e32 vcc_lo, -1, v[17:18]
	v_ashrrev_i32_e32 v39, 31, v18
	v_xor_b32_e32 v39, v39, v17
	v_cndmask_b32_e64 v3, -1, 0x80000000, vcc_lo
	v_xor_b32_e32 v40, v3, v18
	v_cmp_ne_u64_e32 vcc_lo, s[46:47], v[39:40]
	v_cndmask_b32_e32 v40, 0x80000000, v40, vcc_lo
	v_cndmask_b32_e32 v39, 0, v39, vcc_lo
	v_lshrrev_b64 v[39:40], s52, v[39:40]
	v_and_b32_e32 v3, s64, v39
	v_lshl_or_b32 v3, v3, 4, v93
	ds_add_u32 v3, v121
	s_or_b32 exec_lo, exec_lo, s15
	s_mov_b32 s15, exec_lo
	v_cmpx_gt_u32_e64 s14, v88
	s_cbranch_execz .LBB1222_933
.LBB1222_948:                           ;   in Loop: Header=BB1222_900 Depth=2
	v_cmp_lt_i64_e32 vcc_lo, -1, v[15:16]
	v_ashrrev_i32_e32 v39, 31, v16
	v_xor_b32_e32 v39, v39, v15
	v_cndmask_b32_e64 v3, -1, 0x80000000, vcc_lo
	v_xor_b32_e32 v40, v3, v16
	v_cmp_ne_u64_e32 vcc_lo, s[46:47], v[39:40]
	v_cndmask_b32_e32 v40, 0x80000000, v40, vcc_lo
	v_cndmask_b32_e32 v39, 0, v39, vcc_lo
	v_lshrrev_b64 v[39:40], s52, v[39:40]
	v_and_b32_e32 v3, s64, v39
	v_lshl_or_b32 v3, v3, 4, v93
	ds_add_u32 v3, v121
	s_or_b32 exec_lo, exec_lo, s15
	s_mov_b32 s15, exec_lo
	v_cmpx_gt_u32_e64 s14, v89
	s_cbranch_execz .LBB1222_934
.LBB1222_949:                           ;   in Loop: Header=BB1222_900 Depth=2
	v_cmp_lt_i64_e32 vcc_lo, -1, v[13:14]
	v_ashrrev_i32_e32 v39, 31, v14
	v_xor_b32_e32 v39, v39, v13
	v_cndmask_b32_e64 v3, -1, 0x80000000, vcc_lo
	v_xor_b32_e32 v40, v3, v14
	v_cmp_ne_u64_e32 vcc_lo, s[46:47], v[39:40]
	v_cndmask_b32_e32 v40, 0x80000000, v40, vcc_lo
	v_cndmask_b32_e32 v39, 0, v39, vcc_lo
	v_lshrrev_b64 v[39:40], s52, v[39:40]
	v_and_b32_e32 v3, s64, v39
	v_lshl_or_b32 v3, v3, 4, v93
	ds_add_u32 v3, v121
	s_or_b32 exec_lo, exec_lo, s15
	s_mov_b32 s15, exec_lo
	v_cmpx_gt_u32_e64 s14, v90
	s_cbranch_execz .LBB1222_935
.LBB1222_950:                           ;   in Loop: Header=BB1222_900 Depth=2
	v_cmp_lt_i64_e32 vcc_lo, -1, v[11:12]
	v_ashrrev_i32_e32 v39, 31, v12
	v_xor_b32_e32 v39, v39, v11
	v_cndmask_b32_e64 v3, -1, 0x80000000, vcc_lo
	v_xor_b32_e32 v40, v3, v12
	v_cmp_ne_u64_e32 vcc_lo, s[46:47], v[39:40]
	v_cndmask_b32_e32 v40, 0x80000000, v40, vcc_lo
	v_cndmask_b32_e32 v39, 0, v39, vcc_lo
	v_lshrrev_b64 v[39:40], s52, v[39:40]
	v_and_b32_e32 v3, s64, v39
	v_lshl_or_b32 v3, v3, 4, v93
	ds_add_u32 v3, v121
	s_or_b32 exec_lo, exec_lo, s15
	s_mov_b32 s15, exec_lo
	v_cmpx_gt_u32_e64 s14, v91
	s_cbranch_execz .LBB1222_936
.LBB1222_951:                           ;   in Loop: Header=BB1222_900 Depth=2
	v_cmp_lt_i64_e32 vcc_lo, -1, v[9:10]
	v_ashrrev_i32_e32 v39, 31, v10
	v_xor_b32_e32 v39, v39, v9
	v_cndmask_b32_e64 v3, -1, 0x80000000, vcc_lo
	v_xor_b32_e32 v40, v3, v10
	v_cmp_ne_u64_e32 vcc_lo, s[46:47], v[39:40]
	v_cndmask_b32_e32 v40, 0x80000000, v40, vcc_lo
	v_cndmask_b32_e32 v39, 0, v39, vcc_lo
	v_lshrrev_b64 v[39:40], s52, v[39:40]
	v_and_b32_e32 v3, s64, v39
	v_lshl_or_b32 v3, v3, 4, v93
	ds_add_u32 v3, v121
	s_or_b32 exec_lo, exec_lo, s15
	v_cmp_gt_u32_e32 vcc_lo, s14, v92
	s_and_saveexec_b32 s14, vcc_lo
	s_cbranch_execz .LBB1222_899
.LBB1222_952:                           ;   in Loop: Header=BB1222_900 Depth=2
	v_cmp_lt_i64_e32 vcc_lo, -1, v[7:8]
	v_ashrrev_i32_e32 v39, 31, v8
	v_xor_b32_e32 v39, v39, v7
	v_cndmask_b32_e64 v3, -1, 0x80000000, vcc_lo
	v_xor_b32_e32 v40, v3, v8
	v_cmp_ne_u64_e32 vcc_lo, s[46:47], v[39:40]
	v_cndmask_b32_e32 v40, 0x80000000, v40, vcc_lo
	v_cndmask_b32_e32 v39, 0, v39, vcc_lo
	v_lshrrev_b64 v[39:40], s52, v[39:40]
	v_and_b32_e32 v3, s64, v39
	v_lshl_or_b32 v3, v3, 4, v93
	ds_add_u32 v3, v121
	s_branch .LBB1222_899
.LBB1222_953:                           ;   in Loop: Header=BB1222_900 Depth=2
	global_load_dwordx2 v[37:38], v122, s[14:15]
	s_or_b32 exec_lo, exec_lo, s17
	s_mov_b32 s17, exec_lo
	v_cmpx_gt_u32_e64 s13, v76
	s_cbranch_execz .LBB1222_905
.LBB1222_954:                           ;   in Loop: Header=BB1222_900 Depth=2
	global_load_dwordx2 v[35:36], v123, s[14:15]
	s_or_b32 exec_lo, exec_lo, s17
	s_mov_b32 s17, exec_lo
	v_cmpx_gt_u32_e64 s13, v79
	s_cbranch_execz .LBB1222_906
.LBB1222_955:                           ;   in Loop: Header=BB1222_900 Depth=2
	global_load_dwordx2 v[33:34], v124, s[14:15]
	s_or_b32 exec_lo, exec_lo, s17
	s_mov_b32 s17, exec_lo
	v_cmpx_gt_u32_e64 s13, v80
	s_cbranch_execz .LBB1222_907
.LBB1222_956:                           ;   in Loop: Header=BB1222_900 Depth=2
	global_load_dwordx2 v[31:32], v125, s[14:15]
	s_or_b32 exec_lo, exec_lo, s17
	s_mov_b32 s17, exec_lo
	v_cmpx_gt_u32_e64 s13, v81
	s_cbranch_execz .LBB1222_908
.LBB1222_957:                           ;   in Loop: Header=BB1222_900 Depth=2
	global_load_dwordx2 v[29:30], v126, s[14:15]
	s_or_b32 exec_lo, exec_lo, s17
	s_mov_b32 s17, exec_lo
	v_cmpx_gt_u32_e64 s13, v82
	s_cbranch_execz .LBB1222_909
.LBB1222_958:                           ;   in Loop: Header=BB1222_900 Depth=2
	global_load_dwordx2 v[27:28], v127, s[14:15]
	s_or_b32 exec_lo, exec_lo, s17
	s_mov_b32 s17, exec_lo
	v_cmpx_gt_u32_e64 s13, v83
	s_cbranch_execz .LBB1222_910
.LBB1222_959:                           ;   in Loop: Header=BB1222_900 Depth=2
	v_lshlrev_b32_e32 v3, 3, v83
	global_load_dwordx2 v[25:26], v3, s[14:15]
	s_or_b32 exec_lo, exec_lo, s17
	s_mov_b32 s17, exec_lo
	v_cmpx_gt_u32_e64 s13, v84
	s_cbranch_execz .LBB1222_911
.LBB1222_960:                           ;   in Loop: Header=BB1222_900 Depth=2
	v_lshlrev_b32_e32 v3, 3, v84
	global_load_dwordx2 v[23:24], v3, s[14:15]
	s_or_b32 exec_lo, exec_lo, s17
	s_mov_b32 s17, exec_lo
	v_cmpx_gt_u32_e64 s13, v85
	s_cbranch_execz .LBB1222_912
.LBB1222_961:                           ;   in Loop: Header=BB1222_900 Depth=2
	v_lshlrev_b32_e32 v3, 3, v85
	global_load_dwordx2 v[21:22], v3, s[14:15]
	s_or_b32 exec_lo, exec_lo, s17
	s_mov_b32 s17, exec_lo
	v_cmpx_gt_u32_e64 s13, v86
	s_cbranch_execz .LBB1222_913
.LBB1222_962:                           ;   in Loop: Header=BB1222_900 Depth=2
	v_lshlrev_b32_e32 v3, 3, v86
	global_load_dwordx2 v[19:20], v3, s[14:15]
	s_or_b32 exec_lo, exec_lo, s17
	s_mov_b32 s17, exec_lo
	v_cmpx_gt_u32_e64 s13, v87
	s_cbranch_execz .LBB1222_914
.LBB1222_963:                           ;   in Loop: Header=BB1222_900 Depth=2
	v_lshlrev_b32_e32 v3, 3, v87
	global_load_dwordx2 v[17:18], v3, s[14:15]
	s_or_b32 exec_lo, exec_lo, s17
	s_mov_b32 s17, exec_lo
	v_cmpx_gt_u32_e64 s13, v88
	s_cbranch_execz .LBB1222_915
.LBB1222_964:                           ;   in Loop: Header=BB1222_900 Depth=2
	v_lshlrev_b32_e32 v3, 3, v88
	global_load_dwordx2 v[15:16], v3, s[14:15]
	s_or_b32 exec_lo, exec_lo, s17
	s_mov_b32 s17, exec_lo
	v_cmpx_gt_u32_e64 s13, v89
	s_cbranch_execz .LBB1222_916
.LBB1222_965:                           ;   in Loop: Header=BB1222_900 Depth=2
	v_lshlrev_b32_e32 v3, 3, v89
	global_load_dwordx2 v[13:14], v3, s[14:15]
	s_or_b32 exec_lo, exec_lo, s17
	s_mov_b32 s17, exec_lo
	v_cmpx_gt_u32_e64 s13, v90
	s_cbranch_execz .LBB1222_917
.LBB1222_966:                           ;   in Loop: Header=BB1222_900 Depth=2
	v_lshlrev_b32_e32 v3, 3, v90
	global_load_dwordx2 v[11:12], v3, s[14:15]
	s_or_b32 exec_lo, exec_lo, s17
	s_mov_b32 s17, exec_lo
	v_cmpx_gt_u32_e64 s13, v91
	s_cbranch_execz .LBB1222_918
.LBB1222_967:                           ;   in Loop: Header=BB1222_900 Depth=2
	v_lshlrev_b32_e32 v3, 3, v91
	global_load_dwordx2 v[9:10], v3, s[14:15]
	s_or_b32 exec_lo, exec_lo, s17
	s_mov_b32 s17, exec_lo
	v_cmpx_gt_u32_e64 s13, v92
	s_cbranch_execnz .LBB1222_919
	s_branch .LBB1222_920
.LBB1222_968:                           ;   in Loop: Header=BB1222_12 Depth=1
	v_mov_b32_e32 v3, 0
	s_waitcnt lgkmcnt(0)
	s_barrier
	buffer_gl0_inv
	s_and_saveexec_b32 s13, s7
	s_cbranch_execz .LBB1222_970
; %bb.969:                              ;   in Loop: Header=BB1222_12 Depth=1
	ds_read2_b64 v[7:10], v95 offset1:1
	s_waitcnt lgkmcnt(0)
	v_add_nc_u32_e32 v3, v8, v7
	v_add3_u32 v3, v3, v9, v10
.LBB1222_970:                           ;   in Loop: Header=BB1222_12 Depth=1
	s_or_b32 exec_lo, exec_lo, s13
	v_and_b32_e32 v7, 15, v128
	v_mov_b32_dpp v8, v3 row_shr:1 row_mask:0xf bank_mask:0xf
	v_and_b32_e32 v9, 16, v128
	v_cmp_eq_u32_e64 s13, 0, v7
	v_cmp_lt_u32_e64 s14, 1, v7
	v_cmp_lt_u32_e64 s15, 3, v7
	;; [unrolled: 1-line block ×3, first 2 shown]
	v_cmp_eq_u32_e64 s17, 0, v9
	v_cndmask_b32_e64 v8, v8, 0, s13
	v_add_nc_u32_e32 v3, v8, v3
	v_mov_b32_dpp v8, v3 row_shr:2 row_mask:0xf bank_mask:0xf
	v_cndmask_b32_e64 v8, 0, v8, s14
	v_add_nc_u32_e32 v3, v3, v8
	v_mov_b32_dpp v8, v3 row_shr:4 row_mask:0xf bank_mask:0xf
	;; [unrolled: 3-line block ×3, first 2 shown]
	v_cndmask_b32_e64 v7, 0, v8, s16
	v_bfe_i32 v8, v128, 4, 1
	v_add_nc_u32_e32 v3, v3, v7
	ds_swizzle_b32 v7, v3 offset:swizzle(BROADCAST,32,15)
	s_waitcnt lgkmcnt(0)
	v_and_b32_e32 v7, v8, v7
	v_add_nc_u32_e32 v3, v3, v7
	s_and_saveexec_b32 s18, s8
; %bb.971:                              ;   in Loop: Header=BB1222_12 Depth=1
	ds_write_b32 v96, v3
; %bb.972:                              ;   in Loop: Header=BB1222_12 Depth=1
	s_or_b32 exec_lo, exec_lo, s18
	s_waitcnt lgkmcnt(0)
	s_barrier
	buffer_gl0_inv
	s_and_saveexec_b32 s18, s9
	s_cbranch_execz .LBB1222_974
; %bb.973:                              ;   in Loop: Header=BB1222_12 Depth=1
	ds_read_b32 v7, v97
	v_and_b32_e32 v8, 3, v128
	v_cmp_ne_u32_e32 vcc_lo, 0, v8
	s_waitcnt lgkmcnt(0)
	v_mov_b32_dpp v9, v7 row_shr:1 row_mask:0xf bank_mask:0xf
	v_cndmask_b32_e32 v9, 0, v9, vcc_lo
	v_cmp_lt_u32_e32 vcc_lo, 1, v8
	v_add_nc_u32_e32 v7, v9, v7
	v_mov_b32_dpp v9, v7 row_shr:2 row_mask:0xf bank_mask:0xf
	v_cndmask_b32_e32 v8, 0, v9, vcc_lo
	v_add_nc_u32_e32 v7, v7, v8
	ds_write_b32 v97, v7
.LBB1222_974:                           ;   in Loop: Header=BB1222_12 Depth=1
	s_or_b32 exec_lo, exec_lo, s18
	v_mov_b32_e32 v7, 0
	s_waitcnt lgkmcnt(0)
	s_barrier
	buffer_gl0_inv
	s_and_saveexec_b32 s18, s10
; %bb.975:                              ;   in Loop: Header=BB1222_12 Depth=1
	ds_read_b32 v7, v98
; %bb.976:                              ;   in Loop: Header=BB1222_12 Depth=1
	s_or_b32 exec_lo, exec_lo, s18
	v_sub_co_u32 v8, s18, v128, 1
	s_waitcnt lgkmcnt(0)
	v_add_nc_u32_e32 v3, v7, v3
	s_barrier
	v_cmp_gt_i32_e32 vcc_lo, 0, v8
	buffer_gl0_inv
	v_cndmask_b32_e32 v8, v8, v128, vcc_lo
	v_lshlrev_b32_e32 v129, 2, v8
	ds_bpermute_b32 v3, v129, v3
	s_and_saveexec_b32 s19, s7
	s_cbranch_execz .LBB1222_978
; %bb.977:                              ;   in Loop: Header=BB1222_12 Depth=1
	s_waitcnt lgkmcnt(0)
	v_cndmask_b32_e64 v3, v3, v7, s18
	v_add_nc_u32_e32 v3, s60, v3
	ds_write_b32 v75, v3
.LBB1222_978:                           ;   in Loop: Header=BB1222_12 Depth=1
	s_or_b32 exec_lo, exec_lo, s19
	s_load_dwordx2 s[20:21], s[58:59], 0x0
	v_and_b32_e32 v8, 7, v128
	v_lshlrev_b32_e32 v9, 3, v128
	v_or_b32_e32 v130, v128, v99
	s_mov_b32 s65, s62
	s_mov_b32 s56, s60
                                        ; implicit-def: $vgpr11_vgpr12
                                        ; implicit-def: $vgpr13_vgpr14
                                        ; implicit-def: $vgpr15_vgpr16
                                        ; implicit-def: $vgpr19_vgpr20
                                        ; implicit-def: $vgpr23_vgpr24
                                        ; implicit-def: $vgpr27_vgpr28
                                        ; implicit-def: $vgpr17_vgpr18
                                        ; implicit-def: $vgpr21_vgpr22
                                        ; implicit-def: $vgpr25_vgpr26
                                        ; implicit-def: $vgpr29_vgpr30
                                        ; implicit-def: $vgpr31_vgpr32
                                        ; implicit-def: $vgpr33_vgpr34
                                        ; implicit-def: $vgpr35_vgpr36
                                        ; implicit-def: $vgpr37_vgpr38
                                        ; implicit-def: $vgpr151
                                        ; implicit-def: $vgpr152
                                        ; implicit-def: $vgpr153
                                        ; implicit-def: $vgpr154
                                        ; implicit-def: $vgpr155
                                        ; implicit-def: $vgpr156
                                        ; implicit-def: $vgpr157
                                        ; implicit-def: $vgpr159
                                        ; implicit-def: $vgpr160
                                        ; implicit-def: $vgpr161
                                        ; implicit-def: $vgpr162
                                        ; implicit-def: $vgpr163
                                        ; implicit-def: $vgpr164
                                        ; implicit-def: $vgpr165
                                        ; implicit-def: $vgpr166
                                        ; implicit-def: $vgpr167
                                        ; implicit-def: $vgpr158
                                        ; implicit-def: $vgpr168
	v_add_co_u32 v131, vcc_lo, v117, v9
	v_add_co_ci_u32_e64 v132, null, 0, v118, vcc_lo
	v_add_co_u32 v148, vcc_lo, v119, v9
	v_or_b32_e32 v133, 32, v130
	v_or_b32_e32 v134, 64, v130
	;; [unrolled: 1-line block ×7, first 2 shown]
	s_waitcnt lgkmcnt(0)
	s_cmp_lt_u32 s29, s21
	v_or_b32_e32 v140, 0x100, v130
	s_cselect_b32 s19, 14, 20
	v_or_b32_e32 v141, 0x120, v130
	s_add_u32 s22, s58, s19
	s_addc_u32 s23, s59, 0
	s_cmp_lt_u32 s6, s20
	global_load_ushort v3, v4, s[22:23]
	s_cselect_b32 s19, 12, 18
	v_or_b32_e32 v142, 0x140, v130
	s_add_u32 s20, s58, s19
	s_addc_u32 s21, s59, 0
	v_cmp_eq_u32_e64 s19, 0, v8
	global_load_ushort v7, v4, s[20:21]
	v_cmp_lt_u32_e64 s20, 1, v8
	v_cmp_lt_u32_e64 s21, 3, v8
	v_or_b32_e32 v143, 0x160, v130
	v_or_b32_e32 v144, 0x180, v130
	;; [unrolled: 1-line block ×5, first 2 shown]
	v_add_co_ci_u32_e64 v149, null, 0, v120, vcc_lo
                                        ; implicit-def: $vgpr9_vgpr10
	s_waitcnt vmcnt(1)
	v_mad_u32_u24 v3, v2, v3, v1
	s_waitcnt vmcnt(0)
	v_mad_u64_u32 v[7:8], null, v3, v7, v[0:1]
	v_lshrrev_b32_e32 v3, 3, v7
                                        ; implicit-def: $vgpr7_vgpr8
	v_and_b32_e32 v150, 0x1ffffffc, v3
	s_branch .LBB1222_980
.LBB1222_979:                           ;   in Loop: Header=BB1222_980 Depth=2
	s_or_b32 exec_lo, exec_lo, s22
	s_addk_i32 s65, 0xf000
	s_cmp_lt_u32 s66, s61
	s_mov_b32 s56, s66
	s_cbranch_scc0 .LBB1222_10
.LBB1222_980:                           ;   Parent Loop BB1222_12 Depth=1
                                        ; =>  This Inner Loop Header: Depth=2
	s_add_i32 s66, s56, 0x1000
	s_cmp_gt_u32 s66, s61
	s_cbranch_scc1 .LBB1222_982
; %bb.981:                              ;   in Loop: Header=BB1222_980 Depth=2
	s_lshl_b64 s[22:23], s[56:57], 3
	v_add_co_u32 v45, vcc_lo, v148, s22
	v_add_co_ci_u32_e64 v46, null, s23, v149, vcc_lo
	v_add_co_u32 v47, vcc_lo, 0x800, v45
	v_add_co_ci_u32_e64 v48, null, 0, v46, vcc_lo
	s_clause 0xe
	global_load_dwordx2 v[39:40], v[45:46], off
	global_load_dwordx2 v[41:42], v[45:46], off offset:256
	global_load_dwordx2 v[43:44], v[45:46], off offset:512
	;; [unrolled: 1-line block ×7, first 2 shown]
	global_load_dwordx2 v[69:70], v[47:48], off
	global_load_dwordx2 v[65:66], v[47:48], off offset:256
	global_load_dwordx2 v[61:62], v[47:48], off offset:512
	;; [unrolled: 1-line block ×6, first 2 shown]
	s_mov_b32 s22, -1
	s_movk_i32 s23, 0x1000
	s_cbranch_execz .LBB1222_983
	s_branch .LBB1222_1014
.LBB1222_982:                           ;   in Loop: Header=BB1222_980 Depth=2
	s_mov_b32 s22, 0
                                        ; implicit-def: $vgpr39_vgpr40
                                        ; implicit-def: $vgpr41_vgpr42
                                        ; implicit-def: $vgpr43_vgpr44
                                        ; implicit-def: $vgpr49_vgpr50
                                        ; implicit-def: $vgpr55_vgpr56
                                        ; implicit-def: $vgpr59_vgpr60
                                        ; implicit-def: $vgpr63_vgpr64
                                        ; implicit-def: $vgpr67_vgpr68
                                        ; implicit-def: $vgpr69_vgpr70
                                        ; implicit-def: $vgpr65_vgpr66
                                        ; implicit-def: $vgpr61_vgpr62
                                        ; implicit-def: $vgpr57_vgpr58
                                        ; implicit-def: $vgpr53_vgpr54
                                        ; implicit-def: $vgpr51_vgpr52
                                        ; implicit-def: $vgpr45_vgpr46
	s_movk_i32 s23, 0x1000
.LBB1222_983:                           ;   in Loop: Header=BB1222_980 Depth=2
	s_waitcnt vmcnt(13)
	v_mov_b32_e32 v41, v5
	v_mov_b32_e32 v42, v6
	s_lshl_b64 s[22:23], s[56:57], 3
	v_add_co_u32 v47, vcc_lo, v148, s22
	v_mov_b32_e32 v39, v41
	v_add_co_ci_u32_e64 v48, null, s23, v149, vcc_lo
	v_mov_b32_e32 v40, v42
	s_mov_b32 s22, exec_lo
	v_cmpx_gt_u32_e64 s65, v130
	s_cbranch_execz .LBB1222_985
; %bb.984:                              ;   in Loop: Header=BB1222_980 Depth=2
	global_load_dwordx2 v[39:40], v[47:48], off
.LBB1222_985:                           ;   in Loop: Header=BB1222_980 Depth=2
	s_or_b32 exec_lo, exec_lo, s22
	s_mov_b32 s22, exec_lo
	v_cmpx_gt_u32_e64 s65, v133
	s_cbranch_execz .LBB1222_987
; %bb.986:                              ;   in Loop: Header=BB1222_980 Depth=2
	global_load_dwordx2 v[41:42], v[47:48], off offset:256
.LBB1222_987:                           ;   in Loop: Header=BB1222_980 Depth=2
	s_or_b32 exec_lo, exec_lo, s22
	s_waitcnt vmcnt(12)
	v_mov_b32_e32 v44, v6
	v_mov_b32_e32 v43, v5
	s_mov_b32 s22, exec_lo
	v_cmpx_gt_u32_e64 s65, v134
	s_cbranch_execz .LBB1222_989
; %bb.988:                              ;   in Loop: Header=BB1222_980 Depth=2
	global_load_dwordx2 v[43:44], v[47:48], off offset:512
.LBB1222_989:                           ;   in Loop: Header=BB1222_980 Depth=2
	s_or_b32 exec_lo, exec_lo, s22
	s_waitcnt vmcnt(11)
	v_mov_b32_e32 v50, v6
	v_mov_b32_e32 v49, v5
	;; [unrolled: 10-line block ×7, first 2 shown]
	s_mov_b32 s22, exec_lo
	v_cmpx_gt_u32_e64 s65, v140
	s_cbranch_execz .LBB1222_1001
; %bb.1000:                             ;   in Loop: Header=BB1222_980 Depth=2
	s_waitcnt vmcnt(0)
	v_add_co_u32 v45, vcc_lo, 0x800, v47
	v_add_co_ci_u32_e64 v46, null, 0, v48, vcc_lo
	global_load_dwordx2 v[69:70], v[45:46], off
.LBB1222_1001:                          ;   in Loop: Header=BB1222_980 Depth=2
	s_or_b32 exec_lo, exec_lo, s22
	s_waitcnt vmcnt(5)
	v_mov_b32_e32 v66, v6
	v_mov_b32_e32 v65, v5
	s_mov_b32 s22, exec_lo
	v_cmpx_gt_u32_e64 s65, v141
	s_cbranch_execz .LBB1222_1003
; %bb.1002:                             ;   in Loop: Header=BB1222_980 Depth=2
	s_waitcnt vmcnt(0)
	v_add_co_u32 v45, vcc_lo, 0x800, v47
	v_add_co_ci_u32_e64 v46, null, 0, v48, vcc_lo
	global_load_dwordx2 v[65:66], v[45:46], off offset:256
.LBB1222_1003:                          ;   in Loop: Header=BB1222_980 Depth=2
	s_or_b32 exec_lo, exec_lo, s22
	s_waitcnt vmcnt(4)
	v_mov_b32_e32 v62, v6
	v_mov_b32_e32 v61, v5
	s_mov_b32 s22, exec_lo
	v_cmpx_gt_u32_e64 s65, v142
	s_cbranch_execz .LBB1222_1005
; %bb.1004:                             ;   in Loop: Header=BB1222_980 Depth=2
	s_waitcnt vmcnt(0)
	v_add_co_u32 v45, vcc_lo, 0x800, v47
	v_add_co_ci_u32_e64 v46, null, 0, v48, vcc_lo
	global_load_dwordx2 v[61:62], v[45:46], off offset:512
.LBB1222_1005:                          ;   in Loop: Header=BB1222_980 Depth=2
	;; [unrolled: 13-line block ×5, first 2 shown]
	s_or_b32 exec_lo, exec_lo, s22
	s_waitcnt vmcnt(0)
	v_mov_b32_e32 v46, v6
	v_mov_b32_e32 v45, v5
	s_mov_b32 s22, exec_lo
	v_cmpx_gt_u32_e64 s65, v146
	s_cbranch_execz .LBB1222_1013
; %bb.1012:                             ;   in Loop: Header=BB1222_980 Depth=2
	v_add_co_u32 v45, vcc_lo, 0x800, v47
	v_add_co_ci_u32_e64 v46, null, 0, v48, vcc_lo
	global_load_dwordx2 v[45:46], v[45:46], off offset:1536
.LBB1222_1013:                          ;   in Loop: Header=BB1222_980 Depth=2
	s_or_b32 exec_lo, exec_lo, s22
	v_cmp_gt_u32_e64 s22, s65, v147
	s_sub_i32 s23, s61, s56
.LBB1222_1014:                          ;   in Loop: Header=BB1222_980 Depth=2
	v_mov_b32_e32 v48, v6
	v_mov_b32_e32 v169, s65
	;; [unrolled: 1-line block ×3, first 2 shown]
	s_and_saveexec_b32 s24, s22
	s_cbranch_execz .LBB1222_1016
; %bb.1015:                             ;   in Loop: Header=BB1222_980 Depth=2
	s_lshl_b64 s[26:27], s[56:57], 3
	v_mov_b32_e32 v169, s23
	v_add_co_u32 v3, vcc_lo, v148, s26
	v_add_co_ci_u32_e64 v48, null, s27, v149, vcc_lo
	v_add_co_u32 v47, vcc_lo, 0x800, v3
	v_add_co_ci_u32_e64 v48, null, 0, v48, vcc_lo
	global_load_dwordx2 v[47:48], v[47:48], off offset:1792
.LBB1222_1016:                          ;   in Loop: Header=BB1222_980 Depth=2
	s_or_b32 exec_lo, exec_lo, s24
	s_waitcnt vmcnt(14)
	v_cmp_lt_i64_e32 vcc_lo, -1, v[39:40]
	v_ashrrev_i32_e32 v71, 31, v40
	ds_write2_b32 v100, v4, v4 offset0:136 offset1:137
	ds_write2_b32 v100, v4, v4 offset0:138 offset1:139
	ds_write_b32 v100, v4 offset:560
	s_waitcnt vmcnt(0) lgkmcnt(0)
	s_barrier
	v_cndmask_b32_e64 v3, -1, 0x80000000, vcc_lo
	v_xor_b32_e32 v39, v71, v39
	buffer_gl0_inv
	; wave barrier
	v_xor_b32_e32 v40, v3, v40
	v_cmp_ne_u64_e32 vcc_lo, s[46:47], v[39:40]
	v_cndmask_b32_e32 v72, 0x80000000, v40, vcc_lo
	v_cndmask_b32_e32 v71, 0, v39, vcc_lo
	v_lshrrev_b64 v[71:72], s52, v[71:72]
	v_and_b32_e32 v72, s64, v71
	v_and_b32_e32 v3, 1, v72
	v_lshlrev_b32_e32 v71, 30, v72
	v_lshlrev_b32_e32 v73, 29, v72
	v_lshlrev_b32_e32 v170, 28, v72
	v_lshlrev_b32_e32 v171, 27, v72
	v_add_co_u32 v3, s22, v3, -1
	v_cndmask_b32_e64 v74, 0, 1, s22
	v_not_b32_e32 v173, v71
	v_cmp_gt_i32_e64 s22, 0, v71
	v_not_b32_e32 v71, v73
	v_lshlrev_b32_e32 v172, 26, v72
	v_cmp_ne_u32_e32 vcc_lo, 0, v74
	v_ashrrev_i32_e32 v173, 31, v173
	v_lshlrev_b32_e32 v74, 25, v72
	v_ashrrev_i32_e32 v71, 31, v71
	v_mul_u32_u24_e32 v72, 36, v72
	v_xor_b32_e32 v3, vcc_lo, v3
	v_cmp_gt_i32_e32 vcc_lo, 0, v73
	v_not_b32_e32 v73, v170
	v_xor_b32_e32 v173, s22, v173
	v_cmp_gt_i32_e64 s22, 0, v170
	v_and_b32_e32 v3, exec_lo, v3
	v_not_b32_e32 v170, v171
	v_ashrrev_i32_e32 v73, 31, v73
	v_xor_b32_e32 v71, vcc_lo, v71
	v_cmp_gt_i32_e32 vcc_lo, 0, v171
	v_and_b32_e32 v3, v3, v173
	v_not_b32_e32 v171, v172
	v_ashrrev_i32_e32 v170, 31, v170
	v_xor_b32_e32 v73, s22, v73
	v_cmp_gt_i32_e64 s22, 0, v172
	v_and_b32_e32 v3, v3, v71
	v_not_b32_e32 v71, v74
	v_ashrrev_i32_e32 v171, 31, v171
	v_xor_b32_e32 v170, vcc_lo, v170
	v_cmp_gt_i32_e32 vcc_lo, 0, v74
	v_and_b32_e32 v3, v3, v73
	v_ashrrev_i32_e32 v71, 31, v71
	v_xor_b32_e32 v73, s22, v171
	v_and_b32_e32 v3, v3, v170
	v_xor_b32_e32 v71, vcc_lo, v71
	v_add_nc_u32_e32 v170, v150, v72
	v_and_b32_e32 v3, v3, v73
	v_and_b32_e32 v71, v3, v71
	v_mbcnt_lo_u32_b32 v3, v71, 0
	v_cmp_ne_u32_e64 s22, 0, v71
	v_cmp_eq_u32_e32 vcc_lo, 0, v3
	s_and_b32 s23, s22, vcc_lo
	s_and_saveexec_b32 s22, s23
; %bb.1017:                             ;   in Loop: Header=BB1222_980 Depth=2
	v_bcnt_u32_b32 v71, v71, 0
	ds_write_b32 v170, v71 offset:544
; %bb.1018:                             ;   in Loop: Header=BB1222_980 Depth=2
	s_or_b32 exec_lo, exec_lo, s22
	v_cmp_lt_i64_e32 vcc_lo, -1, v[41:42]
	v_ashrrev_i32_e32 v72, 31, v42
	; wave barrier
	v_xor_b32_e32 v41, v72, v41
	v_cndmask_b32_e64 v71, -1, 0x80000000, vcc_lo
	v_xor_b32_e32 v42, v71, v42
	v_cmp_ne_u64_e32 vcc_lo, s[46:47], v[41:42]
	v_cndmask_b32_e32 v72, 0x80000000, v42, vcc_lo
	v_cndmask_b32_e32 v71, 0, v41, vcc_lo
	v_lshrrev_b64 v[71:72], s52, v[71:72]
	v_and_b32_e32 v72, s64, v71
	v_and_b32_e32 v71, 1, v72
	v_lshlrev_b32_e32 v73, 30, v72
	v_lshlrev_b32_e32 v74, 29, v72
	v_lshlrev_b32_e32 v172, 28, v72
	v_lshlrev_b32_e32 v173, 27, v72
	v_add_co_u32 v71, s22, v71, -1
	v_cndmask_b32_e64 v171, 0, 1, s22
	v_not_b32_e32 v175, v73
	v_cmp_gt_i32_e64 s22, 0, v73
	v_not_b32_e32 v73, v74
	v_lshlrev_b32_e32 v174, 26, v72
	v_cmp_ne_u32_e32 vcc_lo, 0, v171
	v_ashrrev_i32_e32 v175, 31, v175
	v_lshlrev_b32_e32 v171, 25, v72
	v_ashrrev_i32_e32 v73, 31, v73
	v_xor_b32_e32 v71, vcc_lo, v71
	v_cmp_gt_i32_e32 vcc_lo, 0, v74
	v_not_b32_e32 v74, v172
	v_xor_b32_e32 v175, s22, v175
	v_cmp_gt_i32_e64 s22, 0, v172
	v_and_b32_e32 v71, exec_lo, v71
	v_not_b32_e32 v172, v173
	v_ashrrev_i32_e32 v74, 31, v74
	v_xor_b32_e32 v73, vcc_lo, v73
	v_cmp_gt_i32_e32 vcc_lo, 0, v173
	v_and_b32_e32 v71, v71, v175
	v_not_b32_e32 v173, v174
	v_ashrrev_i32_e32 v172, 31, v172
	v_xor_b32_e32 v74, s22, v74
	v_cmp_gt_i32_e64 s22, 0, v174
	v_and_b32_e32 v71, v71, v73
	v_not_b32_e32 v73, v171
	v_ashrrev_i32_e32 v173, 31, v173
	v_xor_b32_e32 v172, vcc_lo, v172
	v_cmp_gt_i32_e32 vcc_lo, 0, v171
	v_and_b32_e32 v71, v71, v74
	v_ashrrev_i32_e32 v73, 31, v73
	v_xor_b32_e32 v74, s22, v173
	v_mad_u32_u24 v171, v72, 36, v150
	v_mul_u32_u24_e32 v72, 36, v72
	v_and_b32_e32 v71, v71, v172
	v_xor_b32_e32 v73, vcc_lo, v73
	ds_read_b32 v171, v171 offset:544
	v_add_nc_u32_e32 v173, v150, v72
	v_and_b32_e32 v71, v71, v74
	; wave barrier
	v_and_b32_e32 v71, v71, v73
	v_mbcnt_lo_u32_b32 v172, v71, 0
	v_cmp_ne_u32_e64 s22, 0, v71
	v_cmp_eq_u32_e32 vcc_lo, 0, v172
	s_and_b32 s23, s22, vcc_lo
	s_and_saveexec_b32 s22, s23
	s_cbranch_execz .LBB1222_1020
; %bb.1019:                             ;   in Loop: Header=BB1222_980 Depth=2
	s_waitcnt lgkmcnt(0)
	v_bcnt_u32_b32 v71, v71, v171
	ds_write_b32 v173, v71 offset:544
.LBB1222_1020:                          ;   in Loop: Header=BB1222_980 Depth=2
	s_or_b32 exec_lo, exec_lo, s22
	v_cmp_lt_i64_e32 vcc_lo, -1, v[43:44]
	v_ashrrev_i32_e32 v72, 31, v44
	; wave barrier
	v_xor_b32_e32 v43, v72, v43
	v_cndmask_b32_e64 v71, -1, 0x80000000, vcc_lo
	v_xor_b32_e32 v44, v71, v44
	v_cmp_ne_u64_e32 vcc_lo, s[46:47], v[43:44]
	v_cndmask_b32_e32 v72, 0x80000000, v44, vcc_lo
	v_cndmask_b32_e32 v71, 0, v43, vcc_lo
	v_lshrrev_b64 v[71:72], s52, v[71:72]
	v_and_b32_e32 v72, s64, v71
	v_and_b32_e32 v71, 1, v72
	v_lshlrev_b32_e32 v73, 30, v72
	v_lshlrev_b32_e32 v74, 29, v72
	;; [unrolled: 1-line block ×4, first 2 shown]
	v_add_co_u32 v71, s22, v71, -1
	v_cndmask_b32_e64 v174, 0, 1, s22
	v_not_b32_e32 v178, v73
	v_cmp_gt_i32_e64 s22, 0, v73
	v_not_b32_e32 v73, v74
	v_lshlrev_b32_e32 v177, 26, v72
	v_cmp_ne_u32_e32 vcc_lo, 0, v174
	v_ashrrev_i32_e32 v178, 31, v178
	v_lshlrev_b32_e32 v174, 25, v72
	v_ashrrev_i32_e32 v73, 31, v73
	v_xor_b32_e32 v71, vcc_lo, v71
	v_cmp_gt_i32_e32 vcc_lo, 0, v74
	v_not_b32_e32 v74, v175
	v_xor_b32_e32 v178, s22, v178
	v_cmp_gt_i32_e64 s22, 0, v175
	v_and_b32_e32 v71, exec_lo, v71
	v_not_b32_e32 v175, v176
	v_ashrrev_i32_e32 v74, 31, v74
	v_xor_b32_e32 v73, vcc_lo, v73
	v_cmp_gt_i32_e32 vcc_lo, 0, v176
	v_and_b32_e32 v71, v71, v178
	v_not_b32_e32 v176, v177
	v_ashrrev_i32_e32 v175, 31, v175
	v_xor_b32_e32 v74, s22, v74
	v_cmp_gt_i32_e64 s22, 0, v177
	v_and_b32_e32 v71, v71, v73
	v_not_b32_e32 v73, v174
	v_ashrrev_i32_e32 v176, 31, v176
	v_xor_b32_e32 v175, vcc_lo, v175
	v_cmp_gt_i32_e32 vcc_lo, 0, v174
	v_and_b32_e32 v71, v71, v74
	v_ashrrev_i32_e32 v73, 31, v73
	v_xor_b32_e32 v74, s22, v176
	v_mad_u32_u24 v174, v72, 36, v150
	v_mul_u32_u24_e32 v72, 36, v72
	v_and_b32_e32 v71, v71, v175
	v_xor_b32_e32 v73, vcc_lo, v73
	ds_read_b32 v174, v174 offset:544
	v_add_nc_u32_e32 v176, v150, v72
	v_and_b32_e32 v71, v71, v74
	; wave barrier
	v_and_b32_e32 v71, v71, v73
	v_mbcnt_lo_u32_b32 v175, v71, 0
	v_cmp_ne_u32_e64 s22, 0, v71
	v_cmp_eq_u32_e32 vcc_lo, 0, v175
	s_and_b32 s23, s22, vcc_lo
	s_and_saveexec_b32 s22, s23
	s_cbranch_execz .LBB1222_1022
; %bb.1021:                             ;   in Loop: Header=BB1222_980 Depth=2
	s_waitcnt lgkmcnt(0)
	v_bcnt_u32_b32 v71, v71, v174
	ds_write_b32 v176, v71 offset:544
.LBB1222_1022:                          ;   in Loop: Header=BB1222_980 Depth=2
	s_or_b32 exec_lo, exec_lo, s22
	v_cmp_lt_i64_e32 vcc_lo, -1, v[49:50]
	v_ashrrev_i32_e32 v72, 31, v50
	; wave barrier
	v_xor_b32_e32 v49, v72, v49
	v_cndmask_b32_e64 v71, -1, 0x80000000, vcc_lo
	v_xor_b32_e32 v50, v71, v50
	v_cmp_ne_u64_e32 vcc_lo, s[46:47], v[49:50]
	v_cndmask_b32_e32 v72, 0x80000000, v50, vcc_lo
	v_cndmask_b32_e32 v71, 0, v49, vcc_lo
	v_lshrrev_b64 v[71:72], s52, v[71:72]
	v_and_b32_e32 v72, s64, v71
	v_and_b32_e32 v71, 1, v72
	v_lshlrev_b32_e32 v73, 30, v72
	v_lshlrev_b32_e32 v74, 29, v72
	;; [unrolled: 1-line block ×4, first 2 shown]
	v_add_co_u32 v71, s22, v71, -1
	v_cndmask_b32_e64 v177, 0, 1, s22
	v_not_b32_e32 v181, v73
	v_cmp_gt_i32_e64 s22, 0, v73
	v_not_b32_e32 v73, v74
	v_lshlrev_b32_e32 v180, 26, v72
	v_cmp_ne_u32_e32 vcc_lo, 0, v177
	v_ashrrev_i32_e32 v181, 31, v181
	v_lshlrev_b32_e32 v177, 25, v72
	v_ashrrev_i32_e32 v73, 31, v73
	v_xor_b32_e32 v71, vcc_lo, v71
	v_cmp_gt_i32_e32 vcc_lo, 0, v74
	v_not_b32_e32 v74, v178
	v_xor_b32_e32 v181, s22, v181
	v_cmp_gt_i32_e64 s22, 0, v178
	v_and_b32_e32 v71, exec_lo, v71
	v_not_b32_e32 v178, v179
	v_ashrrev_i32_e32 v74, 31, v74
	v_xor_b32_e32 v73, vcc_lo, v73
	v_cmp_gt_i32_e32 vcc_lo, 0, v179
	v_and_b32_e32 v71, v71, v181
	v_not_b32_e32 v179, v180
	v_ashrrev_i32_e32 v178, 31, v178
	v_xor_b32_e32 v74, s22, v74
	v_cmp_gt_i32_e64 s22, 0, v180
	v_and_b32_e32 v71, v71, v73
	v_not_b32_e32 v73, v177
	v_ashrrev_i32_e32 v179, 31, v179
	v_xor_b32_e32 v178, vcc_lo, v178
	v_cmp_gt_i32_e32 vcc_lo, 0, v177
	v_and_b32_e32 v71, v71, v74
	v_ashrrev_i32_e32 v73, 31, v73
	v_xor_b32_e32 v74, s22, v179
	v_mad_u32_u24 v177, v72, 36, v150
	v_mul_u32_u24_e32 v72, 36, v72
	v_and_b32_e32 v71, v71, v178
	v_xor_b32_e32 v73, vcc_lo, v73
	ds_read_b32 v177, v177 offset:544
	v_add_nc_u32_e32 v179, v150, v72
	v_and_b32_e32 v71, v71, v74
	; wave barrier
	v_and_b32_e32 v71, v71, v73
	v_mbcnt_lo_u32_b32 v178, v71, 0
	v_cmp_ne_u32_e64 s22, 0, v71
	v_cmp_eq_u32_e32 vcc_lo, 0, v178
	s_and_b32 s23, s22, vcc_lo
	s_and_saveexec_b32 s22, s23
	s_cbranch_execz .LBB1222_1024
; %bb.1023:                             ;   in Loop: Header=BB1222_980 Depth=2
	s_waitcnt lgkmcnt(0)
	v_bcnt_u32_b32 v71, v71, v177
	ds_write_b32 v179, v71 offset:544
.LBB1222_1024:                          ;   in Loop: Header=BB1222_980 Depth=2
	s_or_b32 exec_lo, exec_lo, s22
	v_cmp_lt_i64_e32 vcc_lo, -1, v[55:56]
	v_ashrrev_i32_e32 v72, 31, v56
	; wave barrier
	v_xor_b32_e32 v55, v72, v55
	v_cndmask_b32_e64 v71, -1, 0x80000000, vcc_lo
	v_xor_b32_e32 v56, v71, v56
	v_cmp_ne_u64_e32 vcc_lo, s[46:47], v[55:56]
	v_cndmask_b32_e32 v72, 0x80000000, v56, vcc_lo
	v_cndmask_b32_e32 v71, 0, v55, vcc_lo
	v_lshrrev_b64 v[71:72], s52, v[71:72]
	v_and_b32_e32 v72, s64, v71
	v_and_b32_e32 v71, 1, v72
	v_lshlrev_b32_e32 v73, 30, v72
	v_lshlrev_b32_e32 v74, 29, v72
	;; [unrolled: 1-line block ×4, first 2 shown]
	v_add_co_u32 v71, s22, v71, -1
	v_cndmask_b32_e64 v180, 0, 1, s22
	v_not_b32_e32 v184, v73
	v_cmp_gt_i32_e64 s22, 0, v73
	v_not_b32_e32 v73, v74
	v_lshlrev_b32_e32 v183, 26, v72
	v_cmp_ne_u32_e32 vcc_lo, 0, v180
	v_ashrrev_i32_e32 v184, 31, v184
	v_lshlrev_b32_e32 v180, 25, v72
	v_ashrrev_i32_e32 v73, 31, v73
	v_xor_b32_e32 v71, vcc_lo, v71
	v_cmp_gt_i32_e32 vcc_lo, 0, v74
	v_not_b32_e32 v74, v181
	v_xor_b32_e32 v184, s22, v184
	v_cmp_gt_i32_e64 s22, 0, v181
	v_and_b32_e32 v71, exec_lo, v71
	v_not_b32_e32 v181, v182
	v_ashrrev_i32_e32 v74, 31, v74
	v_xor_b32_e32 v73, vcc_lo, v73
	v_cmp_gt_i32_e32 vcc_lo, 0, v182
	v_and_b32_e32 v71, v71, v184
	v_not_b32_e32 v182, v183
	v_ashrrev_i32_e32 v181, 31, v181
	v_xor_b32_e32 v74, s22, v74
	v_cmp_gt_i32_e64 s22, 0, v183
	v_and_b32_e32 v71, v71, v73
	v_not_b32_e32 v73, v180
	v_ashrrev_i32_e32 v182, 31, v182
	v_xor_b32_e32 v181, vcc_lo, v181
	v_cmp_gt_i32_e32 vcc_lo, 0, v180
	v_and_b32_e32 v71, v71, v74
	v_ashrrev_i32_e32 v73, 31, v73
	v_xor_b32_e32 v74, s22, v182
	v_mad_u32_u24 v180, v72, 36, v150
	v_mul_u32_u24_e32 v72, 36, v72
	v_and_b32_e32 v71, v71, v181
	v_xor_b32_e32 v73, vcc_lo, v73
	ds_read_b32 v180, v180 offset:544
	v_add_nc_u32_e32 v182, v150, v72
	v_and_b32_e32 v71, v71, v74
	; wave barrier
	v_and_b32_e32 v71, v71, v73
	v_mbcnt_lo_u32_b32 v181, v71, 0
	v_cmp_ne_u32_e64 s22, 0, v71
	v_cmp_eq_u32_e32 vcc_lo, 0, v181
	s_and_b32 s23, s22, vcc_lo
	s_and_saveexec_b32 s22, s23
	s_cbranch_execz .LBB1222_1026
; %bb.1025:                             ;   in Loop: Header=BB1222_980 Depth=2
	s_waitcnt lgkmcnt(0)
	v_bcnt_u32_b32 v71, v71, v180
	ds_write_b32 v182, v71 offset:544
.LBB1222_1026:                          ;   in Loop: Header=BB1222_980 Depth=2
	s_or_b32 exec_lo, exec_lo, s22
	v_cmp_lt_i64_e32 vcc_lo, -1, v[59:60]
	v_ashrrev_i32_e32 v72, 31, v60
	; wave barrier
	v_xor_b32_e32 v59, v72, v59
	v_cndmask_b32_e64 v71, -1, 0x80000000, vcc_lo
	v_xor_b32_e32 v60, v71, v60
	v_cmp_ne_u64_e32 vcc_lo, s[46:47], v[59:60]
	v_cndmask_b32_e32 v72, 0x80000000, v60, vcc_lo
	v_cndmask_b32_e32 v71, 0, v59, vcc_lo
	v_lshrrev_b64 v[71:72], s52, v[71:72]
	v_and_b32_e32 v72, s64, v71
	v_and_b32_e32 v71, 1, v72
	v_lshlrev_b32_e32 v73, 30, v72
	v_lshlrev_b32_e32 v74, 29, v72
	;; [unrolled: 1-line block ×4, first 2 shown]
	v_add_co_u32 v71, s22, v71, -1
	v_cndmask_b32_e64 v183, 0, 1, s22
	v_not_b32_e32 v187, v73
	v_cmp_gt_i32_e64 s22, 0, v73
	v_not_b32_e32 v73, v74
	v_lshlrev_b32_e32 v186, 26, v72
	v_cmp_ne_u32_e32 vcc_lo, 0, v183
	v_ashrrev_i32_e32 v187, 31, v187
	v_lshlrev_b32_e32 v183, 25, v72
	v_ashrrev_i32_e32 v73, 31, v73
	v_xor_b32_e32 v71, vcc_lo, v71
	v_cmp_gt_i32_e32 vcc_lo, 0, v74
	v_not_b32_e32 v74, v184
	v_xor_b32_e32 v187, s22, v187
	v_cmp_gt_i32_e64 s22, 0, v184
	v_and_b32_e32 v71, exec_lo, v71
	v_not_b32_e32 v184, v185
	v_ashrrev_i32_e32 v74, 31, v74
	v_xor_b32_e32 v73, vcc_lo, v73
	v_cmp_gt_i32_e32 vcc_lo, 0, v185
	v_and_b32_e32 v71, v71, v187
	v_not_b32_e32 v185, v186
	v_ashrrev_i32_e32 v184, 31, v184
	v_xor_b32_e32 v74, s22, v74
	v_cmp_gt_i32_e64 s22, 0, v186
	v_and_b32_e32 v71, v71, v73
	v_not_b32_e32 v73, v183
	v_ashrrev_i32_e32 v185, 31, v185
	v_xor_b32_e32 v184, vcc_lo, v184
	v_cmp_gt_i32_e32 vcc_lo, 0, v183
	v_and_b32_e32 v71, v71, v74
	v_ashrrev_i32_e32 v73, 31, v73
	v_xor_b32_e32 v74, s22, v185
	v_mad_u32_u24 v183, v72, 36, v150
	v_mul_u32_u24_e32 v72, 36, v72
	v_and_b32_e32 v71, v71, v184
	v_xor_b32_e32 v73, vcc_lo, v73
	ds_read_b32 v183, v183 offset:544
	v_add_nc_u32_e32 v185, v150, v72
	v_and_b32_e32 v71, v71, v74
	; wave barrier
	v_and_b32_e32 v71, v71, v73
	v_mbcnt_lo_u32_b32 v184, v71, 0
	v_cmp_ne_u32_e64 s22, 0, v71
	v_cmp_eq_u32_e32 vcc_lo, 0, v184
	s_and_b32 s23, s22, vcc_lo
	s_and_saveexec_b32 s22, s23
	s_cbranch_execz .LBB1222_1028
; %bb.1027:                             ;   in Loop: Header=BB1222_980 Depth=2
	s_waitcnt lgkmcnt(0)
	v_bcnt_u32_b32 v71, v71, v183
	ds_write_b32 v185, v71 offset:544
.LBB1222_1028:                          ;   in Loop: Header=BB1222_980 Depth=2
	s_or_b32 exec_lo, exec_lo, s22
	v_cmp_lt_i64_e32 vcc_lo, -1, v[63:64]
	v_ashrrev_i32_e32 v72, 31, v64
	; wave barrier
	v_xor_b32_e32 v63, v72, v63
	v_cndmask_b32_e64 v71, -1, 0x80000000, vcc_lo
	v_xor_b32_e32 v64, v71, v64
	v_cmp_ne_u64_e32 vcc_lo, s[46:47], v[63:64]
	v_cndmask_b32_e32 v72, 0x80000000, v64, vcc_lo
	v_cndmask_b32_e32 v71, 0, v63, vcc_lo
	v_lshrrev_b64 v[71:72], s52, v[71:72]
	v_and_b32_e32 v72, s64, v71
	v_and_b32_e32 v71, 1, v72
	v_lshlrev_b32_e32 v73, 30, v72
	v_lshlrev_b32_e32 v74, 29, v72
	;; [unrolled: 1-line block ×4, first 2 shown]
	v_add_co_u32 v71, s22, v71, -1
	v_cndmask_b32_e64 v186, 0, 1, s22
	v_not_b32_e32 v190, v73
	v_cmp_gt_i32_e64 s22, 0, v73
	v_not_b32_e32 v73, v74
	v_lshlrev_b32_e32 v189, 26, v72
	v_cmp_ne_u32_e32 vcc_lo, 0, v186
	v_ashrrev_i32_e32 v190, 31, v190
	v_lshlrev_b32_e32 v186, 25, v72
	v_ashrrev_i32_e32 v73, 31, v73
	v_xor_b32_e32 v71, vcc_lo, v71
	v_cmp_gt_i32_e32 vcc_lo, 0, v74
	v_not_b32_e32 v74, v187
	v_xor_b32_e32 v190, s22, v190
	v_cmp_gt_i32_e64 s22, 0, v187
	v_and_b32_e32 v71, exec_lo, v71
	v_not_b32_e32 v187, v188
	v_ashrrev_i32_e32 v74, 31, v74
	v_xor_b32_e32 v73, vcc_lo, v73
	v_cmp_gt_i32_e32 vcc_lo, 0, v188
	v_and_b32_e32 v71, v71, v190
	v_not_b32_e32 v188, v189
	v_ashrrev_i32_e32 v187, 31, v187
	v_xor_b32_e32 v74, s22, v74
	v_cmp_gt_i32_e64 s22, 0, v189
	v_and_b32_e32 v71, v71, v73
	v_not_b32_e32 v73, v186
	v_ashrrev_i32_e32 v188, 31, v188
	v_xor_b32_e32 v187, vcc_lo, v187
	v_cmp_gt_i32_e32 vcc_lo, 0, v186
	v_and_b32_e32 v71, v71, v74
	v_ashrrev_i32_e32 v73, 31, v73
	v_xor_b32_e32 v74, s22, v188
	v_mad_u32_u24 v186, v72, 36, v150
	v_mul_u32_u24_e32 v72, 36, v72
	v_and_b32_e32 v71, v71, v187
	v_xor_b32_e32 v73, vcc_lo, v73
	ds_read_b32 v186, v186 offset:544
	v_add_nc_u32_e32 v188, v150, v72
	v_and_b32_e32 v71, v71, v74
	; wave barrier
	v_and_b32_e32 v71, v71, v73
	v_mbcnt_lo_u32_b32 v187, v71, 0
	v_cmp_ne_u32_e64 s22, 0, v71
	v_cmp_eq_u32_e32 vcc_lo, 0, v187
	s_and_b32 s23, s22, vcc_lo
	s_and_saveexec_b32 s22, s23
	s_cbranch_execz .LBB1222_1030
; %bb.1029:                             ;   in Loop: Header=BB1222_980 Depth=2
	s_waitcnt lgkmcnt(0)
	v_bcnt_u32_b32 v71, v71, v186
	ds_write_b32 v188, v71 offset:544
.LBB1222_1030:                          ;   in Loop: Header=BB1222_980 Depth=2
	s_or_b32 exec_lo, exec_lo, s22
	v_cmp_lt_i64_e32 vcc_lo, -1, v[67:68]
	v_ashrrev_i32_e32 v72, 31, v68
	; wave barrier
	v_xor_b32_e32 v67, v72, v67
	v_cndmask_b32_e64 v71, -1, 0x80000000, vcc_lo
	v_xor_b32_e32 v68, v71, v68
	v_cmp_ne_u64_e32 vcc_lo, s[46:47], v[67:68]
	v_cndmask_b32_e32 v72, 0x80000000, v68, vcc_lo
	v_cndmask_b32_e32 v71, 0, v67, vcc_lo
	v_lshrrev_b64 v[71:72], s52, v[71:72]
	v_and_b32_e32 v72, s64, v71
	v_and_b32_e32 v71, 1, v72
	v_lshlrev_b32_e32 v73, 30, v72
	v_lshlrev_b32_e32 v74, 29, v72
	;; [unrolled: 1-line block ×4, first 2 shown]
	v_add_co_u32 v71, s22, v71, -1
	v_cndmask_b32_e64 v189, 0, 1, s22
	v_not_b32_e32 v193, v73
	v_cmp_gt_i32_e64 s22, 0, v73
	v_not_b32_e32 v73, v74
	v_lshlrev_b32_e32 v192, 26, v72
	v_cmp_ne_u32_e32 vcc_lo, 0, v189
	v_ashrrev_i32_e32 v193, 31, v193
	v_lshlrev_b32_e32 v189, 25, v72
	v_ashrrev_i32_e32 v73, 31, v73
	v_xor_b32_e32 v71, vcc_lo, v71
	v_cmp_gt_i32_e32 vcc_lo, 0, v74
	v_not_b32_e32 v74, v190
	v_xor_b32_e32 v193, s22, v193
	v_cmp_gt_i32_e64 s22, 0, v190
	v_and_b32_e32 v71, exec_lo, v71
	v_not_b32_e32 v190, v191
	v_ashrrev_i32_e32 v74, 31, v74
	v_xor_b32_e32 v73, vcc_lo, v73
	v_cmp_gt_i32_e32 vcc_lo, 0, v191
	v_and_b32_e32 v71, v71, v193
	v_not_b32_e32 v191, v192
	v_ashrrev_i32_e32 v190, 31, v190
	v_xor_b32_e32 v74, s22, v74
	v_cmp_gt_i32_e64 s22, 0, v192
	v_and_b32_e32 v71, v71, v73
	v_not_b32_e32 v73, v189
	v_ashrrev_i32_e32 v191, 31, v191
	v_xor_b32_e32 v190, vcc_lo, v190
	v_cmp_gt_i32_e32 vcc_lo, 0, v189
	v_and_b32_e32 v71, v71, v74
	v_ashrrev_i32_e32 v73, 31, v73
	v_xor_b32_e32 v74, s22, v191
	v_mad_u32_u24 v189, v72, 36, v150
	v_mul_u32_u24_e32 v72, 36, v72
	v_and_b32_e32 v71, v71, v190
	v_xor_b32_e32 v73, vcc_lo, v73
	ds_read_b32 v189, v189 offset:544
	v_add_nc_u32_e32 v191, v150, v72
	v_and_b32_e32 v71, v71, v74
	; wave barrier
	v_and_b32_e32 v71, v71, v73
	v_mbcnt_lo_u32_b32 v190, v71, 0
	v_cmp_ne_u32_e64 s22, 0, v71
	v_cmp_eq_u32_e32 vcc_lo, 0, v190
	s_and_b32 s23, s22, vcc_lo
	s_and_saveexec_b32 s22, s23
	s_cbranch_execz .LBB1222_1032
; %bb.1031:                             ;   in Loop: Header=BB1222_980 Depth=2
	s_waitcnt lgkmcnt(0)
	v_bcnt_u32_b32 v71, v71, v189
	ds_write_b32 v191, v71 offset:544
.LBB1222_1032:                          ;   in Loop: Header=BB1222_980 Depth=2
	s_or_b32 exec_lo, exec_lo, s22
	v_cmp_lt_i64_e32 vcc_lo, -1, v[69:70]
	v_ashrrev_i32_e32 v72, 31, v70
	; wave barrier
	v_xor_b32_e32 v69, v72, v69
	v_cndmask_b32_e64 v71, -1, 0x80000000, vcc_lo
	v_xor_b32_e32 v70, v71, v70
	v_cmp_ne_u64_e32 vcc_lo, s[46:47], v[69:70]
	v_cndmask_b32_e32 v72, 0x80000000, v70, vcc_lo
	v_cndmask_b32_e32 v71, 0, v69, vcc_lo
	v_lshrrev_b64 v[71:72], s52, v[71:72]
	v_and_b32_e32 v72, s64, v71
	v_and_b32_e32 v71, 1, v72
	v_lshlrev_b32_e32 v73, 30, v72
	v_lshlrev_b32_e32 v74, 29, v72
	v_lshlrev_b32_e32 v193, 28, v72
	v_lshlrev_b32_e32 v194, 27, v72
	v_add_co_u32 v71, s22, v71, -1
	v_cndmask_b32_e64 v192, 0, 1, s22
	v_not_b32_e32 v196, v73
	v_cmp_gt_i32_e64 s22, 0, v73
	v_not_b32_e32 v73, v74
	v_lshlrev_b32_e32 v195, 26, v72
	v_cmp_ne_u32_e32 vcc_lo, 0, v192
	v_ashrrev_i32_e32 v196, 31, v196
	v_lshlrev_b32_e32 v192, 25, v72
	v_ashrrev_i32_e32 v73, 31, v73
	v_xor_b32_e32 v71, vcc_lo, v71
	v_cmp_gt_i32_e32 vcc_lo, 0, v74
	v_not_b32_e32 v74, v193
	v_xor_b32_e32 v196, s22, v196
	v_cmp_gt_i32_e64 s22, 0, v193
	v_and_b32_e32 v71, exec_lo, v71
	v_not_b32_e32 v193, v194
	v_ashrrev_i32_e32 v74, 31, v74
	v_xor_b32_e32 v73, vcc_lo, v73
	v_cmp_gt_i32_e32 vcc_lo, 0, v194
	v_and_b32_e32 v71, v71, v196
	v_not_b32_e32 v194, v195
	v_ashrrev_i32_e32 v193, 31, v193
	v_xor_b32_e32 v74, s22, v74
	v_cmp_gt_i32_e64 s22, 0, v195
	v_and_b32_e32 v71, v71, v73
	v_not_b32_e32 v73, v192
	v_ashrrev_i32_e32 v194, 31, v194
	v_xor_b32_e32 v193, vcc_lo, v193
	v_cmp_gt_i32_e32 vcc_lo, 0, v192
	v_and_b32_e32 v71, v71, v74
	v_ashrrev_i32_e32 v73, 31, v73
	v_xor_b32_e32 v74, s22, v194
	v_mad_u32_u24 v192, v72, 36, v150
	v_mul_u32_u24_e32 v72, 36, v72
	v_and_b32_e32 v71, v71, v193
	v_xor_b32_e32 v73, vcc_lo, v73
	ds_read_b32 v192, v192 offset:544
	v_add_nc_u32_e32 v194, v150, v72
	v_and_b32_e32 v71, v71, v74
	; wave barrier
	v_and_b32_e32 v71, v71, v73
	v_mbcnt_lo_u32_b32 v193, v71, 0
	v_cmp_ne_u32_e64 s22, 0, v71
	v_cmp_eq_u32_e32 vcc_lo, 0, v193
	s_and_b32 s23, s22, vcc_lo
	s_and_saveexec_b32 s22, s23
	s_cbranch_execz .LBB1222_1034
; %bb.1033:                             ;   in Loop: Header=BB1222_980 Depth=2
	s_waitcnt lgkmcnt(0)
	v_bcnt_u32_b32 v71, v71, v192
	ds_write_b32 v194, v71 offset:544
.LBB1222_1034:                          ;   in Loop: Header=BB1222_980 Depth=2
	s_or_b32 exec_lo, exec_lo, s22
	v_cmp_lt_i64_e32 vcc_lo, -1, v[65:66]
	v_ashrrev_i32_e32 v72, 31, v66
	; wave barrier
	v_xor_b32_e32 v65, v72, v65
	v_cndmask_b32_e64 v71, -1, 0x80000000, vcc_lo
	v_xor_b32_e32 v66, v71, v66
	v_cmp_ne_u64_e32 vcc_lo, s[46:47], v[65:66]
	v_cndmask_b32_e32 v72, 0x80000000, v66, vcc_lo
	v_cndmask_b32_e32 v71, 0, v65, vcc_lo
	v_lshrrev_b64 v[71:72], s52, v[71:72]
	v_and_b32_e32 v72, s64, v71
	v_and_b32_e32 v71, 1, v72
	v_lshlrev_b32_e32 v73, 30, v72
	v_lshlrev_b32_e32 v74, 29, v72
	;; [unrolled: 1-line block ×4, first 2 shown]
	v_add_co_u32 v71, s22, v71, -1
	v_cndmask_b32_e64 v195, 0, 1, s22
	v_not_b32_e32 v199, v73
	v_cmp_gt_i32_e64 s22, 0, v73
	v_not_b32_e32 v73, v74
	v_lshlrev_b32_e32 v198, 26, v72
	v_cmp_ne_u32_e32 vcc_lo, 0, v195
	v_ashrrev_i32_e32 v199, 31, v199
	v_lshlrev_b32_e32 v195, 25, v72
	v_ashrrev_i32_e32 v73, 31, v73
	v_xor_b32_e32 v71, vcc_lo, v71
	v_cmp_gt_i32_e32 vcc_lo, 0, v74
	v_not_b32_e32 v74, v196
	v_xor_b32_e32 v199, s22, v199
	v_cmp_gt_i32_e64 s22, 0, v196
	v_and_b32_e32 v71, exec_lo, v71
	v_not_b32_e32 v196, v197
	v_ashrrev_i32_e32 v74, 31, v74
	v_xor_b32_e32 v73, vcc_lo, v73
	v_cmp_gt_i32_e32 vcc_lo, 0, v197
	v_and_b32_e32 v71, v71, v199
	v_not_b32_e32 v197, v198
	v_ashrrev_i32_e32 v196, 31, v196
	v_xor_b32_e32 v74, s22, v74
	v_cmp_gt_i32_e64 s22, 0, v198
	v_and_b32_e32 v71, v71, v73
	v_not_b32_e32 v73, v195
	v_ashrrev_i32_e32 v197, 31, v197
	v_xor_b32_e32 v196, vcc_lo, v196
	v_cmp_gt_i32_e32 vcc_lo, 0, v195
	v_and_b32_e32 v71, v71, v74
	v_ashrrev_i32_e32 v73, 31, v73
	v_xor_b32_e32 v74, s22, v197
	v_mad_u32_u24 v195, v72, 36, v150
	v_mul_u32_u24_e32 v72, 36, v72
	v_and_b32_e32 v71, v71, v196
	v_xor_b32_e32 v73, vcc_lo, v73
	ds_read_b32 v195, v195 offset:544
	v_add_nc_u32_e32 v198, v150, v72
	v_and_b32_e32 v71, v71, v74
	; wave barrier
	v_and_b32_e32 v71, v71, v73
	v_mbcnt_lo_u32_b32 v196, v71, 0
	v_cmp_ne_u32_e64 s22, 0, v71
	v_cmp_eq_u32_e32 vcc_lo, 0, v196
	s_and_b32 s23, s22, vcc_lo
	s_and_saveexec_b32 s22, s23
	s_cbranch_execz .LBB1222_1036
; %bb.1035:                             ;   in Loop: Header=BB1222_980 Depth=2
	s_waitcnt lgkmcnt(0)
	v_bcnt_u32_b32 v71, v71, v195
	ds_write_b32 v198, v71 offset:544
.LBB1222_1036:                          ;   in Loop: Header=BB1222_980 Depth=2
	s_or_b32 exec_lo, exec_lo, s22
	v_cmp_lt_i64_e32 vcc_lo, -1, v[61:62]
	v_ashrrev_i32_e32 v72, 31, v62
	; wave barrier
	v_xor_b32_e32 v61, v72, v61
	v_cndmask_b32_e64 v71, -1, 0x80000000, vcc_lo
	v_xor_b32_e32 v62, v71, v62
	v_cmp_ne_u64_e32 vcc_lo, s[46:47], v[61:62]
	v_cndmask_b32_e32 v72, 0x80000000, v62, vcc_lo
	v_cndmask_b32_e32 v71, 0, v61, vcc_lo
	v_lshrrev_b64 v[71:72], s52, v[71:72]
	v_and_b32_e32 v72, s64, v71
	v_and_b32_e32 v71, 1, v72
	v_lshlrev_b32_e32 v73, 30, v72
	v_lshlrev_b32_e32 v74, 29, v72
	;; [unrolled: 1-line block ×4, first 2 shown]
	v_add_co_u32 v71, s22, v71, -1
	v_cndmask_b32_e64 v197, 0, 1, s22
	v_not_b32_e32 v202, v73
	v_cmp_gt_i32_e64 s22, 0, v73
	v_not_b32_e32 v73, v74
	v_lshlrev_b32_e32 v201, 26, v72
	v_cmp_ne_u32_e32 vcc_lo, 0, v197
	v_ashrrev_i32_e32 v202, 31, v202
	v_lshlrev_b32_e32 v197, 25, v72
	v_ashrrev_i32_e32 v73, 31, v73
	v_xor_b32_e32 v71, vcc_lo, v71
	v_cmp_gt_i32_e32 vcc_lo, 0, v74
	v_not_b32_e32 v74, v199
	v_xor_b32_e32 v202, s22, v202
	v_cmp_gt_i32_e64 s22, 0, v199
	v_and_b32_e32 v71, exec_lo, v71
	v_not_b32_e32 v199, v200
	v_ashrrev_i32_e32 v74, 31, v74
	v_xor_b32_e32 v73, vcc_lo, v73
	v_cmp_gt_i32_e32 vcc_lo, 0, v200
	v_and_b32_e32 v71, v71, v202
	v_not_b32_e32 v200, v201
	v_ashrrev_i32_e32 v199, 31, v199
	v_xor_b32_e32 v74, s22, v74
	v_cmp_gt_i32_e64 s22, 0, v201
	v_and_b32_e32 v71, v71, v73
	v_not_b32_e32 v73, v197
	v_ashrrev_i32_e32 v200, 31, v200
	v_xor_b32_e32 v199, vcc_lo, v199
	v_cmp_gt_i32_e32 vcc_lo, 0, v197
	v_and_b32_e32 v71, v71, v74
	v_ashrrev_i32_e32 v73, 31, v73
	v_xor_b32_e32 v74, s22, v200
	v_mad_u32_u24 v197, v72, 36, v150
	v_mul_u32_u24_e32 v72, 36, v72
	v_and_b32_e32 v71, v71, v199
	v_xor_b32_e32 v73, vcc_lo, v73
	ds_read_b32 v197, v197 offset:544
	v_add_nc_u32_e32 v202, v150, v72
	v_and_b32_e32 v71, v71, v74
	; wave barrier
	v_and_b32_e32 v71, v71, v73
	v_mbcnt_lo_u32_b32 v199, v71, 0
	v_cmp_ne_u32_e64 s22, 0, v71
	v_cmp_eq_u32_e32 vcc_lo, 0, v199
	s_and_b32 s23, s22, vcc_lo
	s_and_saveexec_b32 s22, s23
	s_cbranch_execz .LBB1222_1038
; %bb.1037:                             ;   in Loop: Header=BB1222_980 Depth=2
	s_waitcnt lgkmcnt(0)
	v_bcnt_u32_b32 v71, v71, v197
	ds_write_b32 v202, v71 offset:544
.LBB1222_1038:                          ;   in Loop: Header=BB1222_980 Depth=2
	s_or_b32 exec_lo, exec_lo, s22
	v_cmp_lt_i64_e32 vcc_lo, -1, v[57:58]
	v_ashrrev_i32_e32 v72, 31, v58
	; wave barrier
	v_xor_b32_e32 v57, v72, v57
	v_cndmask_b32_e64 v71, -1, 0x80000000, vcc_lo
	v_xor_b32_e32 v58, v71, v58
	v_cmp_ne_u64_e32 vcc_lo, s[46:47], v[57:58]
	v_cndmask_b32_e32 v72, 0x80000000, v58, vcc_lo
	v_cndmask_b32_e32 v71, 0, v57, vcc_lo
	v_lshrrev_b64 v[71:72], s52, v[71:72]
	v_and_b32_e32 v72, s64, v71
	v_and_b32_e32 v71, 1, v72
	v_lshlrev_b32_e32 v73, 30, v72
	v_lshlrev_b32_e32 v74, 29, v72
	;; [unrolled: 1-line block ×4, first 2 shown]
	v_add_co_u32 v71, s22, v71, -1
	v_cndmask_b32_e64 v200, 0, 1, s22
	v_not_b32_e32 v205, v73
	v_cmp_gt_i32_e64 s22, 0, v73
	v_not_b32_e32 v73, v74
	v_lshlrev_b32_e32 v204, 26, v72
	v_cmp_ne_u32_e32 vcc_lo, 0, v200
	v_ashrrev_i32_e32 v205, 31, v205
	v_lshlrev_b32_e32 v200, 25, v72
	v_ashrrev_i32_e32 v73, 31, v73
	v_xor_b32_e32 v71, vcc_lo, v71
	v_cmp_gt_i32_e32 vcc_lo, 0, v74
	v_not_b32_e32 v74, v201
	v_xor_b32_e32 v205, s22, v205
	v_cmp_gt_i32_e64 s22, 0, v201
	v_and_b32_e32 v71, exec_lo, v71
	v_not_b32_e32 v201, v203
	v_ashrrev_i32_e32 v74, 31, v74
	v_xor_b32_e32 v73, vcc_lo, v73
	v_cmp_gt_i32_e32 vcc_lo, 0, v203
	v_and_b32_e32 v71, v71, v205
	v_not_b32_e32 v203, v204
	v_ashrrev_i32_e32 v201, 31, v201
	v_xor_b32_e32 v74, s22, v74
	v_cmp_gt_i32_e64 s22, 0, v204
	v_and_b32_e32 v71, v71, v73
	v_not_b32_e32 v73, v200
	v_ashrrev_i32_e32 v203, 31, v203
	v_xor_b32_e32 v201, vcc_lo, v201
	v_cmp_gt_i32_e32 vcc_lo, 0, v200
	v_and_b32_e32 v71, v71, v74
	v_ashrrev_i32_e32 v73, 31, v73
	v_xor_b32_e32 v74, s22, v203
	v_mad_u32_u24 v200, v72, 36, v150
	v_mul_u32_u24_e32 v72, 36, v72
	v_and_b32_e32 v71, v71, v201
	v_xor_b32_e32 v73, vcc_lo, v73
	ds_read_b32 v200, v200 offset:544
	v_add_nc_u32_e32 v205, v150, v72
	v_and_b32_e32 v71, v71, v74
	; wave barrier
	v_and_b32_e32 v71, v71, v73
	v_mbcnt_lo_u32_b32 v201, v71, 0
	v_cmp_ne_u32_e64 s22, 0, v71
	v_cmp_eq_u32_e32 vcc_lo, 0, v201
	s_and_b32 s23, s22, vcc_lo
	s_and_saveexec_b32 s22, s23
	s_cbranch_execz .LBB1222_1040
; %bb.1039:                             ;   in Loop: Header=BB1222_980 Depth=2
	s_waitcnt lgkmcnt(0)
	v_bcnt_u32_b32 v71, v71, v200
	ds_write_b32 v205, v71 offset:544
.LBB1222_1040:                          ;   in Loop: Header=BB1222_980 Depth=2
	s_or_b32 exec_lo, exec_lo, s22
	v_cmp_lt_i64_e32 vcc_lo, -1, v[53:54]
	v_ashrrev_i32_e32 v72, 31, v54
	; wave barrier
	v_xor_b32_e32 v53, v72, v53
	v_cndmask_b32_e64 v71, -1, 0x80000000, vcc_lo
	v_xor_b32_e32 v54, v71, v54
	v_cmp_ne_u64_e32 vcc_lo, s[46:47], v[53:54]
	v_cndmask_b32_e32 v72, 0x80000000, v54, vcc_lo
	v_cndmask_b32_e32 v71, 0, v53, vcc_lo
	v_lshrrev_b64 v[71:72], s52, v[71:72]
	v_and_b32_e32 v72, s64, v71
	v_and_b32_e32 v71, 1, v72
	v_lshlrev_b32_e32 v73, 30, v72
	v_lshlrev_b32_e32 v74, 29, v72
	;; [unrolled: 1-line block ×4, first 2 shown]
	v_add_co_u32 v71, s22, v71, -1
	v_cndmask_b32_e64 v203, 0, 1, s22
	v_not_b32_e32 v208, v73
	v_cmp_gt_i32_e64 s22, 0, v73
	v_not_b32_e32 v73, v74
	v_lshlrev_b32_e32 v207, 26, v72
	v_cmp_ne_u32_e32 vcc_lo, 0, v203
	v_ashrrev_i32_e32 v208, 31, v208
	v_lshlrev_b32_e32 v203, 25, v72
	v_ashrrev_i32_e32 v73, 31, v73
	v_xor_b32_e32 v71, vcc_lo, v71
	v_cmp_gt_i32_e32 vcc_lo, 0, v74
	v_not_b32_e32 v74, v204
	v_xor_b32_e32 v208, s22, v208
	v_cmp_gt_i32_e64 s22, 0, v204
	v_and_b32_e32 v71, exec_lo, v71
	v_not_b32_e32 v204, v206
	v_ashrrev_i32_e32 v74, 31, v74
	v_xor_b32_e32 v73, vcc_lo, v73
	v_cmp_gt_i32_e32 vcc_lo, 0, v206
	v_and_b32_e32 v71, v71, v208
	v_not_b32_e32 v206, v207
	v_ashrrev_i32_e32 v204, 31, v204
	v_xor_b32_e32 v74, s22, v74
	v_cmp_gt_i32_e64 s22, 0, v207
	v_and_b32_e32 v71, v71, v73
	v_not_b32_e32 v73, v203
	v_ashrrev_i32_e32 v206, 31, v206
	v_xor_b32_e32 v204, vcc_lo, v204
	v_cmp_gt_i32_e32 vcc_lo, 0, v203
	v_and_b32_e32 v71, v71, v74
	v_ashrrev_i32_e32 v73, 31, v73
	v_xor_b32_e32 v74, s22, v206
	v_mad_u32_u24 v203, v72, 36, v150
	v_mul_u32_u24_e32 v72, 36, v72
	v_and_b32_e32 v71, v71, v204
	v_xor_b32_e32 v73, vcc_lo, v73
	ds_read_b32 v203, v203 offset:544
	v_add_nc_u32_e32 v208, v150, v72
	v_and_b32_e32 v71, v71, v74
	; wave barrier
	v_and_b32_e32 v71, v71, v73
	v_mbcnt_lo_u32_b32 v204, v71, 0
	v_cmp_ne_u32_e64 s22, 0, v71
	v_cmp_eq_u32_e32 vcc_lo, 0, v204
	s_and_b32 s23, s22, vcc_lo
	s_and_saveexec_b32 s22, s23
	s_cbranch_execz .LBB1222_1042
; %bb.1041:                             ;   in Loop: Header=BB1222_980 Depth=2
	s_waitcnt lgkmcnt(0)
	v_bcnt_u32_b32 v71, v71, v203
	ds_write_b32 v208, v71 offset:544
.LBB1222_1042:                          ;   in Loop: Header=BB1222_980 Depth=2
	s_or_b32 exec_lo, exec_lo, s22
	v_cmp_lt_i64_e32 vcc_lo, -1, v[51:52]
	v_ashrrev_i32_e32 v72, 31, v52
	; wave barrier
	v_xor_b32_e32 v51, v72, v51
	v_cndmask_b32_e64 v71, -1, 0x80000000, vcc_lo
	v_xor_b32_e32 v52, v71, v52
	v_cmp_ne_u64_e32 vcc_lo, s[46:47], v[51:52]
	v_cndmask_b32_e32 v72, 0x80000000, v52, vcc_lo
	v_cndmask_b32_e32 v71, 0, v51, vcc_lo
	v_lshrrev_b64 v[71:72], s52, v[71:72]
	v_and_b32_e32 v72, s64, v71
	v_and_b32_e32 v71, 1, v72
	v_lshlrev_b32_e32 v73, 30, v72
	v_lshlrev_b32_e32 v74, 29, v72
	;; [unrolled: 1-line block ×4, first 2 shown]
	v_add_co_u32 v71, s22, v71, -1
	v_cndmask_b32_e64 v206, 0, 1, s22
	v_not_b32_e32 v211, v73
	v_cmp_gt_i32_e64 s22, 0, v73
	v_not_b32_e32 v73, v74
	v_lshlrev_b32_e32 v210, 26, v72
	v_cmp_ne_u32_e32 vcc_lo, 0, v206
	v_ashrrev_i32_e32 v211, 31, v211
	v_lshlrev_b32_e32 v206, 25, v72
	v_ashrrev_i32_e32 v73, 31, v73
	v_xor_b32_e32 v71, vcc_lo, v71
	v_cmp_gt_i32_e32 vcc_lo, 0, v74
	v_not_b32_e32 v74, v207
	v_xor_b32_e32 v211, s22, v211
	v_cmp_gt_i32_e64 s22, 0, v207
	v_and_b32_e32 v71, exec_lo, v71
	v_not_b32_e32 v207, v209
	v_ashrrev_i32_e32 v74, 31, v74
	v_xor_b32_e32 v73, vcc_lo, v73
	v_cmp_gt_i32_e32 vcc_lo, 0, v209
	v_and_b32_e32 v71, v71, v211
	v_not_b32_e32 v209, v210
	v_ashrrev_i32_e32 v207, 31, v207
	v_xor_b32_e32 v74, s22, v74
	v_cmp_gt_i32_e64 s22, 0, v210
	v_and_b32_e32 v71, v71, v73
	v_not_b32_e32 v73, v206
	v_ashrrev_i32_e32 v209, 31, v209
	v_xor_b32_e32 v207, vcc_lo, v207
	v_cmp_gt_i32_e32 vcc_lo, 0, v206
	v_and_b32_e32 v71, v71, v74
	v_ashrrev_i32_e32 v73, 31, v73
	v_xor_b32_e32 v74, s22, v209
	v_mad_u32_u24 v206, v72, 36, v150
	v_mul_u32_u24_e32 v72, 36, v72
	v_and_b32_e32 v71, v71, v207
	v_xor_b32_e32 v73, vcc_lo, v73
	ds_read_b32 v206, v206 offset:544
	v_add_nc_u32_e32 v211, v150, v72
	v_and_b32_e32 v71, v71, v74
	; wave barrier
	v_and_b32_e32 v71, v71, v73
	v_mbcnt_lo_u32_b32 v207, v71, 0
	v_cmp_ne_u32_e64 s22, 0, v71
	v_cmp_eq_u32_e32 vcc_lo, 0, v207
	s_and_b32 s23, s22, vcc_lo
	s_and_saveexec_b32 s22, s23
	s_cbranch_execz .LBB1222_1044
; %bb.1043:                             ;   in Loop: Header=BB1222_980 Depth=2
	s_waitcnt lgkmcnt(0)
	v_bcnt_u32_b32 v71, v71, v206
	ds_write_b32 v211, v71 offset:544
.LBB1222_1044:                          ;   in Loop: Header=BB1222_980 Depth=2
	s_or_b32 exec_lo, exec_lo, s22
	v_cmp_lt_i64_e32 vcc_lo, -1, v[45:46]
	v_ashrrev_i32_e32 v72, 31, v46
	; wave barrier
	v_xor_b32_e32 v45, v72, v45
	v_cndmask_b32_e64 v71, -1, 0x80000000, vcc_lo
	v_xor_b32_e32 v46, v71, v46
	v_cmp_ne_u64_e32 vcc_lo, s[46:47], v[45:46]
	v_cndmask_b32_e32 v72, 0x80000000, v46, vcc_lo
	v_cndmask_b32_e32 v71, 0, v45, vcc_lo
	v_lshrrev_b64 v[71:72], s52, v[71:72]
	v_and_b32_e32 v72, s64, v71
	v_and_b32_e32 v71, 1, v72
	v_lshlrev_b32_e32 v73, 30, v72
	v_lshlrev_b32_e32 v74, 29, v72
	;; [unrolled: 1-line block ×4, first 2 shown]
	v_add_co_u32 v71, s22, v71, -1
	v_cndmask_b32_e64 v209, 0, 1, s22
	v_not_b32_e32 v214, v73
	v_cmp_gt_i32_e64 s22, 0, v73
	v_not_b32_e32 v73, v74
	v_lshlrev_b32_e32 v213, 26, v72
	v_cmp_ne_u32_e32 vcc_lo, 0, v209
	v_ashrrev_i32_e32 v214, 31, v214
	v_lshlrev_b32_e32 v209, 25, v72
	v_ashrrev_i32_e32 v73, 31, v73
	v_xor_b32_e32 v71, vcc_lo, v71
	v_cmp_gt_i32_e32 vcc_lo, 0, v74
	v_not_b32_e32 v74, v210
	v_xor_b32_e32 v214, s22, v214
	v_cmp_gt_i32_e64 s22, 0, v210
	v_and_b32_e32 v71, exec_lo, v71
	v_not_b32_e32 v210, v212
	v_ashrrev_i32_e32 v74, 31, v74
	v_xor_b32_e32 v73, vcc_lo, v73
	v_cmp_gt_i32_e32 vcc_lo, 0, v212
	v_and_b32_e32 v71, v71, v214
	v_not_b32_e32 v212, v213
	v_ashrrev_i32_e32 v210, 31, v210
	v_xor_b32_e32 v74, s22, v74
	v_cmp_gt_i32_e64 s22, 0, v213
	v_and_b32_e32 v71, v71, v73
	v_not_b32_e32 v73, v209
	v_ashrrev_i32_e32 v212, 31, v212
	v_xor_b32_e32 v210, vcc_lo, v210
	v_cmp_gt_i32_e32 vcc_lo, 0, v209
	v_and_b32_e32 v71, v71, v74
	v_ashrrev_i32_e32 v73, 31, v73
	v_xor_b32_e32 v74, s22, v212
	v_mad_u32_u24 v209, v72, 36, v150
	v_mul_u32_u24_e32 v72, 36, v72
	v_and_b32_e32 v71, v71, v210
	v_xor_b32_e32 v73, vcc_lo, v73
	ds_read_b32 v209, v209 offset:544
	v_add_nc_u32_e32 v214, v150, v72
	v_and_b32_e32 v71, v71, v74
	; wave barrier
	v_and_b32_e32 v71, v71, v73
	v_mbcnt_lo_u32_b32 v210, v71, 0
	v_cmp_ne_u32_e64 s22, 0, v71
	v_cmp_eq_u32_e32 vcc_lo, 0, v210
	s_and_b32 s23, s22, vcc_lo
	s_and_saveexec_b32 s22, s23
	s_cbranch_execz .LBB1222_1046
; %bb.1045:                             ;   in Loop: Header=BB1222_980 Depth=2
	s_waitcnt lgkmcnt(0)
	v_bcnt_u32_b32 v71, v71, v209
	ds_write_b32 v214, v71 offset:544
.LBB1222_1046:                          ;   in Loop: Header=BB1222_980 Depth=2
	s_or_b32 exec_lo, exec_lo, s22
	v_cmp_lt_i64_e32 vcc_lo, -1, v[47:48]
	v_ashrrev_i32_e32 v72, 31, v48
	; wave barrier
	v_xor_b32_e32 v47, v72, v47
	v_cndmask_b32_e64 v71, -1, 0x80000000, vcc_lo
	v_xor_b32_e32 v48, v71, v48
	v_cmp_ne_u64_e32 vcc_lo, s[46:47], v[47:48]
	v_cndmask_b32_e32 v72, 0x80000000, v48, vcc_lo
	v_cndmask_b32_e32 v71, 0, v47, vcc_lo
	v_lshrrev_b64 v[71:72], s52, v[71:72]
	v_and_b32_e32 v72, s64, v71
	v_and_b32_e32 v71, 1, v72
	v_lshlrev_b32_e32 v73, 30, v72
	v_lshlrev_b32_e32 v74, 29, v72
	;; [unrolled: 1-line block ×4, first 2 shown]
	v_add_co_u32 v71, s22, v71, -1
	v_cndmask_b32_e64 v212, 0, 1, s22
	v_not_b32_e32 v217, v73
	v_cmp_gt_i32_e64 s22, 0, v73
	v_not_b32_e32 v73, v74
	v_lshlrev_b32_e32 v216, 26, v72
	v_cmp_ne_u32_e32 vcc_lo, 0, v212
	v_ashrrev_i32_e32 v217, 31, v217
	v_lshlrev_b32_e32 v212, 25, v72
	v_ashrrev_i32_e32 v73, 31, v73
	v_xor_b32_e32 v71, vcc_lo, v71
	v_cmp_gt_i32_e32 vcc_lo, 0, v74
	v_not_b32_e32 v74, v213
	v_xor_b32_e32 v217, s22, v217
	v_cmp_gt_i32_e64 s22, 0, v213
	v_and_b32_e32 v71, exec_lo, v71
	v_not_b32_e32 v213, v215
	v_ashrrev_i32_e32 v74, 31, v74
	v_xor_b32_e32 v73, vcc_lo, v73
	v_cmp_gt_i32_e32 vcc_lo, 0, v215
	v_and_b32_e32 v71, v71, v217
	v_not_b32_e32 v215, v216
	v_ashrrev_i32_e32 v213, 31, v213
	v_xor_b32_e32 v74, s22, v74
	v_cmp_gt_i32_e64 s22, 0, v216
	v_and_b32_e32 v71, v71, v73
	v_not_b32_e32 v73, v212
	v_ashrrev_i32_e32 v215, 31, v215
	v_xor_b32_e32 v213, vcc_lo, v213
	v_cmp_gt_i32_e32 vcc_lo, 0, v212
	v_and_b32_e32 v71, v71, v74
	v_ashrrev_i32_e32 v73, 31, v73
	v_xor_b32_e32 v74, s22, v215
	v_mad_u32_u24 v212, v72, 36, v150
	v_mul_u32_u24_e32 v72, 36, v72
	v_and_b32_e32 v71, v71, v213
	v_xor_b32_e32 v73, vcc_lo, v73
	ds_read_b32 v212, v212 offset:544
	v_add_nc_u32_e32 v215, v150, v72
	v_and_b32_e32 v71, v71, v74
	; wave barrier
	v_and_b32_e32 v71, v71, v73
	v_mbcnt_lo_u32_b32 v213, v71, 0
	v_cmp_ne_u32_e64 s22, 0, v71
	v_cmp_eq_u32_e32 vcc_lo, 0, v213
	s_and_b32 s23, s22, vcc_lo
	s_and_saveexec_b32 s22, s23
	s_cbranch_execz .LBB1222_1048
; %bb.1047:                             ;   in Loop: Header=BB1222_980 Depth=2
	s_waitcnt lgkmcnt(0)
	v_bcnt_u32_b32 v71, v71, v212
	ds_write_b32 v215, v71 offset:544
.LBB1222_1048:                          ;   in Loop: Header=BB1222_980 Depth=2
	s_or_b32 exec_lo, exec_lo, s22
	; wave barrier
	s_waitcnt lgkmcnt(0)
	s_barrier
	buffer_gl0_inv
	ds_read2_b32 v[73:74], v100 offset0:136 offset1:137
	ds_read2_b32 v[71:72], v100 offset0:138 offset1:139
	ds_read_b32 v216, v100 offset:560
	s_waitcnt lgkmcnt(1)
	v_add3_u32 v217, v74, v73, v71
	s_waitcnt lgkmcnt(0)
	v_add3_u32 v216, v217, v72, v216
	v_mov_b32_dpp v217, v216 row_shr:1 row_mask:0xf bank_mask:0xf
	v_cndmask_b32_e64 v217, v217, 0, s13
	v_add_nc_u32_e32 v216, v217, v216
	v_mov_b32_dpp v217, v216 row_shr:2 row_mask:0xf bank_mask:0xf
	v_cndmask_b32_e64 v217, 0, v217, s14
	v_add_nc_u32_e32 v216, v216, v217
	;; [unrolled: 3-line block ×4, first 2 shown]
	ds_swizzle_b32 v217, v216 offset:swizzle(BROADCAST,32,15)
	s_waitcnt lgkmcnt(0)
	v_cndmask_b32_e64 v217, v217, 0, s17
	v_add_nc_u32_e32 v216, v216, v217
	s_and_saveexec_b32 s22, s4
; %bb.1049:                             ;   in Loop: Header=BB1222_980 Depth=2
	ds_write_b32 v94, v216 offset:512
; %bb.1050:                             ;   in Loop: Header=BB1222_980 Depth=2
	s_or_b32 exec_lo, exec_lo, s22
	s_waitcnt lgkmcnt(0)
	s_barrier
	buffer_gl0_inv
	s_and_saveexec_b32 s22, s5
	s_cbranch_execz .LBB1222_1052
; %bb.1051:                             ;   in Loop: Header=BB1222_980 Depth=2
	ds_read_b32 v217, v101 offset:512
	s_waitcnt lgkmcnt(0)
	v_mov_b32_dpp v218, v217 row_shr:1 row_mask:0xf bank_mask:0xf
	v_cndmask_b32_e64 v218, v218, 0, s19
	v_add_nc_u32_e32 v217, v218, v217
	v_mov_b32_dpp v218, v217 row_shr:2 row_mask:0xf bank_mask:0xf
	v_cndmask_b32_e64 v218, 0, v218, s20
	v_add_nc_u32_e32 v217, v217, v218
	;; [unrolled: 3-line block ×3, first 2 shown]
	ds_write_b32 v101, v217 offset:512
.LBB1222_1052:                          ;   in Loop: Header=BB1222_980 Depth=2
	s_or_b32 exec_lo, exec_lo, s22
	v_mov_b32_e32 v217, 0
	s_waitcnt lgkmcnt(0)
	s_barrier
	buffer_gl0_inv
	s_and_saveexec_b32 s22, s10
; %bb.1053:                             ;   in Loop: Header=BB1222_980 Depth=2
	ds_read_b32 v217, v94 offset:508
; %bb.1054:                             ;   in Loop: Header=BB1222_980 Depth=2
	s_or_b32 exec_lo, exec_lo, s22
	s_waitcnt lgkmcnt(0)
	v_add_nc_u32_e32 v216, v217, v216
	ds_bpermute_b32 v216, v129, v216
	s_waitcnt lgkmcnt(0)
	v_cndmask_b32_e64 v216, v216, v217, s18
	v_cndmask_b32_e64 v216, v216, 0, s11
	v_add_nc_u32_e32 v73, v216, v73
	v_add_nc_u32_e32 v74, v73, v74
	;; [unrolled: 1-line block ×4, first 2 shown]
	ds_write2_b32 v100, v216, v73 offset0:136 offset1:137
	ds_write2_b32 v100, v74, v71 offset0:138 offset1:139
	ds_write_b32 v100, v72 offset:560
	s_waitcnt lgkmcnt(0)
	s_barrier
	buffer_gl0_inv
	ds_read_b32 v71, v170 offset:544
	ds_read_b32 v219, v173 offset:544
	ds_read_b32 v72, v176 offset:544
	ds_read_b32 v218, v179 offset:544
	ds_read_b32 v74, v182 offset:544
	ds_read_b32 v73, v185 offset:544
	ds_read_b32 v217, v188 offset:544
	ds_read_b32 v216, v191 offset:544
	ds_read_b32 v191, v194 offset:544
	ds_read_b32 v188, v198 offset:544
	ds_read_b32 v185, v202 offset:544
	ds_read_b32 v182, v205 offset:544
	ds_read_b32 v179, v208 offset:544
	ds_read_b32 v176, v211 offset:544
	ds_read_b32 v173, v214 offset:544
	ds_read_b32 v170, v215 offset:544
	s_and_saveexec_b32 s22, s7
	s_cbranch_execz .LBB1222_1058
; %bb.1055:                             ;   in Loop: Header=BB1222_980 Depth=2
	ds_read_b32 v158, v103 offset:544
	v_mov_b32_e32 v168, 0x1000
	s_and_saveexec_b32 s23, s12
; %bb.1056:                             ;   in Loop: Header=BB1222_980 Depth=2
	ds_read_b32 v168, v102 offset:544
; %bb.1057:                             ;   in Loop: Header=BB1222_980 Depth=2
	s_or_b32 exec_lo, exec_lo, s23
	s_waitcnt lgkmcnt(0)
	v_sub_nc_u32_e32 v168, v168, v158
.LBB1222_1058:                          ;   in Loop: Header=BB1222_980 Depth=2
	s_or_b32 exec_lo, exec_lo, s22
	s_waitcnt lgkmcnt(0)
	s_barrier
	buffer_gl0_inv
	s_and_saveexec_b32 s22, s7
	s_cbranch_execz .LBB1222_1060
; %bb.1059:                             ;   in Loop: Header=BB1222_980 Depth=2
	ds_read_b32 v194, v75
	s_waitcnt lgkmcnt(0)
	v_sub_nc_u32_e32 v194, v194, v158
	ds_write_b32 v75, v194
.LBB1222_1060:                          ;   in Loop: Header=BB1222_980 Depth=2
	s_or_b32 exec_lo, exec_lo, s22
	v_lshlrev_b32_e32 v3, 3, v3
	v_lshlrev_b32_e32 v172, 3, v172
	;; [unrolled: 1-line block ×5, first 2 shown]
	v_lshl_add_u32 v71, v71, 3, v3
	v_lshlrev_b32_e32 v3, 3, v174
	v_lshlrev_b32_e32 v174, 3, v72
	;; [unrolled: 1-line block ×3, first 2 shown]
	v_add3_u32 v72, v172, v171, v194
	ds_write_b64 v71, v[39:40] offset:512
	v_lshlrev_b32_e32 v39, 3, v177
	v_lshlrev_b32_e32 v40, 3, v218
	v_lshlrev_b32_e32 v171, 3, v181
	v_lshlrev_b32_e32 v172, 3, v180
	v_lshlrev_b32_e32 v74, 3, v74
	v_lshlrev_b32_e32 v177, 3, v184
	v_lshlrev_b32_e32 v180, 3, v183
	v_lshlrev_b32_e32 v181, 3, v73
	ds_write_b64 v72, v[41:42] offset:512
	v_add3_u32 v41, v175, v3, v174
	v_add3_u32 v42, v178, v39, v40
	v_lshlrev_b32_e32 v3, 3, v187
	v_lshlrev_b32_e32 v39, 3, v186
	;; [unrolled: 1-line block ×3, first 2 shown]
	v_add3_u32 v73, v171, v172, v74
	v_add3_u32 v74, v177, v180, v181
	ds_write_b64 v41, v[43:44] offset:512
	ds_write_b64 v42, v[49:50] offset:512
	;; [unrolled: 1-line block ×4, first 2 shown]
	v_add3_u32 v43, v3, v39, v40
	v_lshlrev_b32_e32 v3, 3, v190
	v_lshlrev_b32_e32 v39, 3, v189
	;; [unrolled: 1-line block ×12, first 2 shown]
	v_add3_u32 v44, v3, v39, v40
	v_lshlrev_b32_e32 v3, 3, v201
	v_lshlrev_b32_e32 v39, 3, v200
	;; [unrolled: 1-line block ×3, first 2 shown]
	v_add3_u32 v49, v49, v50, v55
	v_add3_u32 v50, v56, v59, v60
	;; [unrolled: 1-line block ×3, first 2 shown]
	ds_write_b64 v43, v[63:64] offset:512
	ds_write_b64 v44, v[67:68] offset:512
	;; [unrolled: 1-line block ×5, first 2 shown]
	v_add3_u32 v56, v3, v39, v40
	v_lshlrev_b32_e32 v3, 3, v204
	v_lshlrev_b32_e32 v39, 3, v203
	v_lshlrev_b32_e32 v40, 3, v179
	v_lshlrev_b32_e32 v60, 3, v207
	v_lshlrev_b32_e32 v61, 3, v206
	v_lshlrev_b32_e32 v62, 3, v176
	v_lshlrev_b32_e32 v63, 3, v210
	v_lshlrev_b32_e32 v64, 3, v209
	v_lshlrev_b32_e32 v65, 3, v173
	v_lshlrev_b32_e32 v66, 3, v213
	v_lshlrev_b32_e32 v67, 3, v212
	v_lshlrev_b32_e32 v68, 3, v170
	v_add3_u32 v59, v3, v39, v40
	v_add3_u32 v60, v60, v61, v62
	;; [unrolled: 1-line block ×3, first 2 shown]
	ds_write_b64 v56, v[57:58] offset:512
	v_add3_u32 v57, v66, v67, v68
	v_cmp_lt_u32_e32 vcc_lo, v0, v169
	ds_write_b64 v59, v[53:54] offset:512
	ds_write_b64 v60, v[51:52] offset:512
	;; [unrolled: 1-line block ×4, first 2 shown]
	s_waitcnt lgkmcnt(0)
	s_barrier
	buffer_gl0_inv
	s_and_saveexec_b32 s23, vcc_lo
	s_cbranch_execnz .LBB1222_1129
; %bb.1061:                             ;   in Loop: Header=BB1222_980 Depth=2
	s_or_b32 exec_lo, exec_lo, s23
	v_cmp_lt_u32_e64 s22, v76, v169
	s_and_saveexec_b32 s24, s22
	s_cbranch_execnz .LBB1222_1130
.LBB1222_1062:                          ;   in Loop: Header=BB1222_980 Depth=2
	s_or_b32 exec_lo, exec_lo, s24
	v_cmp_lt_u32_e64 s23, v79, v169
	s_and_saveexec_b32 s25, s23
	s_cbranch_execnz .LBB1222_1131
.LBB1222_1063:                          ;   in Loop: Header=BB1222_980 Depth=2
	s_or_b32 exec_lo, exec_lo, s25
	v_cmp_lt_u32_e64 s24, v80, v169
	s_and_saveexec_b32 s26, s24
	s_cbranch_execnz .LBB1222_1132
.LBB1222_1064:                          ;   in Loop: Header=BB1222_980 Depth=2
	s_or_b32 exec_lo, exec_lo, s26
	v_cmp_lt_u32_e64 s25, v81, v169
	s_and_saveexec_b32 s27, s25
	s_cbranch_execnz .LBB1222_1133
.LBB1222_1065:                          ;   in Loop: Header=BB1222_980 Depth=2
	s_or_b32 exec_lo, exec_lo, s27
	v_cmp_lt_u32_e64 s26, v82, v169
	s_and_saveexec_b32 s28, s26
	s_cbranch_execnz .LBB1222_1134
.LBB1222_1066:                          ;   in Loop: Header=BB1222_980 Depth=2
	s_or_b32 exec_lo, exec_lo, s28
	v_cmp_lt_u32_e64 s27, v83, v169
	s_and_saveexec_b32 s30, s27
	s_cbranch_execnz .LBB1222_1135
.LBB1222_1067:                          ;   in Loop: Header=BB1222_980 Depth=2
	s_or_b32 exec_lo, exec_lo, s30
	v_cmp_lt_u32_e64 s28, v84, v169
	s_and_saveexec_b32 s31, s28
	s_cbranch_execnz .LBB1222_1136
.LBB1222_1068:                          ;   in Loop: Header=BB1222_980 Depth=2
	s_or_b32 exec_lo, exec_lo, s31
	v_cmp_lt_u32_e64 s30, v85, v169
	s_and_saveexec_b32 s33, s30
	s_cbranch_execnz .LBB1222_1137
.LBB1222_1069:                          ;   in Loop: Header=BB1222_980 Depth=2
	s_or_b32 exec_lo, exec_lo, s33
	v_cmp_lt_u32_e64 s31, v86, v169
	s_and_saveexec_b32 s34, s31
	s_cbranch_execnz .LBB1222_1138
.LBB1222_1070:                          ;   in Loop: Header=BB1222_980 Depth=2
	s_or_b32 exec_lo, exec_lo, s34
	v_cmp_lt_u32_e64 s33, v87, v169
	s_and_saveexec_b32 s35, s33
	s_cbranch_execnz .LBB1222_1139
.LBB1222_1071:                          ;   in Loop: Header=BB1222_980 Depth=2
	s_or_b32 exec_lo, exec_lo, s35
	v_cmp_lt_u32_e64 s34, v88, v169
	s_and_saveexec_b32 s36, s34
	s_cbranch_execnz .LBB1222_1140
.LBB1222_1072:                          ;   in Loop: Header=BB1222_980 Depth=2
	s_or_b32 exec_lo, exec_lo, s36
	v_cmp_lt_u32_e64 s35, v89, v169
	s_and_saveexec_b32 s37, s35
	s_cbranch_execnz .LBB1222_1141
.LBB1222_1073:                          ;   in Loop: Header=BB1222_980 Depth=2
	s_or_b32 exec_lo, exec_lo, s37
	v_cmp_lt_u32_e64 s36, v90, v169
	s_and_saveexec_b32 s38, s36
	s_cbranch_execnz .LBB1222_1142
.LBB1222_1074:                          ;   in Loop: Header=BB1222_980 Depth=2
	s_or_b32 exec_lo, exec_lo, s38
	v_cmp_lt_u32_e64 s37, v91, v169
	s_and_saveexec_b32 s39, s37
	s_cbranch_execnz .LBB1222_1143
.LBB1222_1075:                          ;   in Loop: Header=BB1222_980 Depth=2
	s_or_b32 exec_lo, exec_lo, s39
	v_cmp_lt_u32_e64 s38, v92, v169
	s_and_saveexec_b32 s67, s38
	s_cbranch_execz .LBB1222_1077
.LBB1222_1076:                          ;   in Loop: Header=BB1222_980 Depth=2
	ds_read_b64 v[39:40], v108 offset:31232
	s_waitcnt lgkmcnt(0)
	v_cmp_ne_u64_e64 s39, s[46:47], v[39:40]
	v_cndmask_b32_e64 v46, 0x80000000, v40, s39
	v_cndmask_b32_e64 v45, 0, v39, s39
	v_cmp_lt_i64_e64 s39, -1, v[39:40]
	v_lshrrev_b64 v[45:46], s52, v[45:46]
	v_cndmask_b32_e64 v47, 0x80000000, -1, s39
	v_and_b32_e32 v3, s64, v45
	v_ashrrev_i32_e32 v45, 31, v40
	v_xor_b32_e32 v40, v47, v40
	v_lshlrev_b32_e32 v3, 2, v3
	v_not_b32_e32 v48, v45
	ds_read_b32 v3, v3
	v_xor_b32_e32 v39, v48, v39
	s_waitcnt lgkmcnt(0)
	v_add_nc_u32_e32 v3, v3, v92
	v_lshlrev_b64 v[45:46], 3, v[3:4]
	v_add_co_u32 v45, s39, s44, v45
	v_add_co_ci_u32_e64 v46, null, s45, v46, s39
	global_store_dwordx2 v[45:46], v[39:40], off
.LBB1222_1077:                          ;   in Loop: Header=BB1222_980 Depth=2
	s_or_b32 exec_lo, exec_lo, s67
	s_lshl_b64 s[68:69], s[56:57], 3
	v_add_co_u32 v39, s39, v131, s68
	v_add_co_ci_u32_e64 v40, null, s69, v132, s39
	v_cmp_lt_u32_e64 s39, v130, v169
	s_and_saveexec_b32 s56, s39
	s_xor_b32 s39, exec_lo, s56
	s_cbranch_execnz .LBB1222_1144
; %bb.1078:                             ;   in Loop: Header=BB1222_980 Depth=2
	s_or_b32 exec_lo, exec_lo, s39
	s_mov_b32 s56, exec_lo
	v_cmpx_lt_u32_e64 v133, v169
	s_cbranch_execnz .LBB1222_1145
.LBB1222_1079:                          ;   in Loop: Header=BB1222_980 Depth=2
	s_or_b32 exec_lo, exec_lo, s56
	s_mov_b32 s56, exec_lo
	v_cmpx_lt_u32_e64 v134, v169
	s_cbranch_execnz .LBB1222_1146
.LBB1222_1080:                          ;   in Loop: Header=BB1222_980 Depth=2
	s_or_b32 exec_lo, exec_lo, s56
	s_mov_b32 s56, exec_lo
	v_cmpx_lt_u32_e64 v135, v169
	s_cbranch_execnz .LBB1222_1147
.LBB1222_1081:                          ;   in Loop: Header=BB1222_980 Depth=2
	s_or_b32 exec_lo, exec_lo, s56
	s_mov_b32 s56, exec_lo
	v_cmpx_lt_u32_e64 v136, v169
	s_cbranch_execnz .LBB1222_1148
.LBB1222_1082:                          ;   in Loop: Header=BB1222_980 Depth=2
	s_or_b32 exec_lo, exec_lo, s56
	s_mov_b32 s56, exec_lo
	v_cmpx_lt_u32_e64 v137, v169
	s_cbranch_execnz .LBB1222_1149
.LBB1222_1083:                          ;   in Loop: Header=BB1222_980 Depth=2
	s_or_b32 exec_lo, exec_lo, s56
	s_mov_b32 s56, exec_lo
	v_cmpx_lt_u32_e64 v138, v169
	s_cbranch_execnz .LBB1222_1150
.LBB1222_1084:                          ;   in Loop: Header=BB1222_980 Depth=2
	s_or_b32 exec_lo, exec_lo, s56
	s_mov_b32 s56, exec_lo
	v_cmpx_lt_u32_e64 v139, v169
	s_cbranch_execnz .LBB1222_1151
.LBB1222_1085:                          ;   in Loop: Header=BB1222_980 Depth=2
	s_or_b32 exec_lo, exec_lo, s56
	s_mov_b32 s56, exec_lo
	v_cmpx_lt_u32_e64 v140, v169
	s_cbranch_execnz .LBB1222_1152
.LBB1222_1086:                          ;   in Loop: Header=BB1222_980 Depth=2
	s_or_b32 exec_lo, exec_lo, s56
	s_mov_b32 s56, exec_lo
	v_cmpx_lt_u32_e64 v141, v169
	s_cbranch_execnz .LBB1222_1153
.LBB1222_1087:                          ;   in Loop: Header=BB1222_980 Depth=2
	s_or_b32 exec_lo, exec_lo, s56
	s_mov_b32 s56, exec_lo
	v_cmpx_lt_u32_e64 v142, v169
	s_cbranch_execnz .LBB1222_1154
.LBB1222_1088:                          ;   in Loop: Header=BB1222_980 Depth=2
	s_or_b32 exec_lo, exec_lo, s56
	s_mov_b32 s56, exec_lo
	v_cmpx_lt_u32_e64 v143, v169
	s_cbranch_execnz .LBB1222_1155
.LBB1222_1089:                          ;   in Loop: Header=BB1222_980 Depth=2
	s_or_b32 exec_lo, exec_lo, s56
	s_mov_b32 s56, exec_lo
	v_cmpx_lt_u32_e64 v144, v169
	s_cbranch_execnz .LBB1222_1156
.LBB1222_1090:                          ;   in Loop: Header=BB1222_980 Depth=2
	s_or_b32 exec_lo, exec_lo, s56
	s_mov_b32 s56, exec_lo
	v_cmpx_lt_u32_e64 v145, v169
	s_cbranch_execnz .LBB1222_1157
.LBB1222_1091:                          ;   in Loop: Header=BB1222_980 Depth=2
	s_or_b32 exec_lo, exec_lo, s56
	s_mov_b32 s56, exec_lo
	v_cmpx_lt_u32_e64 v146, v169
	s_cbranch_execnz .LBB1222_1158
.LBB1222_1092:                          ;   in Loop: Header=BB1222_980 Depth=2
	s_or_b32 exec_lo, exec_lo, s56
	s_mov_b32 s56, exec_lo
	v_cmpx_lt_u32_e64 v147, v169
	s_cbranch_execnz .LBB1222_1159
.LBB1222_1093:                          ;   in Loop: Header=BB1222_980 Depth=2
	s_or_b32 exec_lo, exec_lo, s56
	s_and_saveexec_b32 s56, vcc_lo
	s_cbranch_execnz .LBB1222_1160
.LBB1222_1094:                          ;   in Loop: Header=BB1222_980 Depth=2
	s_or_b32 exec_lo, exec_lo, s56
	s_and_saveexec_b32 s56, s22
	s_cbranch_execnz .LBB1222_1161
.LBB1222_1095:                          ;   in Loop: Header=BB1222_980 Depth=2
	s_or_b32 exec_lo, exec_lo, s56
	s_and_saveexec_b32 s56, s23
	s_cbranch_execnz .LBB1222_1162
.LBB1222_1096:                          ;   in Loop: Header=BB1222_980 Depth=2
	s_or_b32 exec_lo, exec_lo, s56
	s_and_saveexec_b32 s56, s24
	s_cbranch_execnz .LBB1222_1163
.LBB1222_1097:                          ;   in Loop: Header=BB1222_980 Depth=2
	s_or_b32 exec_lo, exec_lo, s56
	s_and_saveexec_b32 s56, s25
	s_cbranch_execnz .LBB1222_1164
.LBB1222_1098:                          ;   in Loop: Header=BB1222_980 Depth=2
	s_or_b32 exec_lo, exec_lo, s56
	s_and_saveexec_b32 s56, s26
	s_cbranch_execnz .LBB1222_1165
.LBB1222_1099:                          ;   in Loop: Header=BB1222_980 Depth=2
	s_or_b32 exec_lo, exec_lo, s56
	s_and_saveexec_b32 s56, s27
	s_cbranch_execnz .LBB1222_1166
.LBB1222_1100:                          ;   in Loop: Header=BB1222_980 Depth=2
	s_or_b32 exec_lo, exec_lo, s56
	s_and_saveexec_b32 s56, s28
	s_cbranch_execnz .LBB1222_1167
.LBB1222_1101:                          ;   in Loop: Header=BB1222_980 Depth=2
	s_or_b32 exec_lo, exec_lo, s56
	s_and_saveexec_b32 s56, s30
	s_cbranch_execnz .LBB1222_1168
.LBB1222_1102:                          ;   in Loop: Header=BB1222_980 Depth=2
	s_or_b32 exec_lo, exec_lo, s56
	s_and_saveexec_b32 s56, s31
	s_cbranch_execnz .LBB1222_1169
.LBB1222_1103:                          ;   in Loop: Header=BB1222_980 Depth=2
	s_or_b32 exec_lo, exec_lo, s56
	s_and_saveexec_b32 s56, s33
	s_cbranch_execnz .LBB1222_1170
.LBB1222_1104:                          ;   in Loop: Header=BB1222_980 Depth=2
	s_or_b32 exec_lo, exec_lo, s56
	s_and_saveexec_b32 s56, s34
	s_cbranch_execnz .LBB1222_1171
.LBB1222_1105:                          ;   in Loop: Header=BB1222_980 Depth=2
	s_or_b32 exec_lo, exec_lo, s56
	s_and_saveexec_b32 s56, s35
	s_cbranch_execnz .LBB1222_1172
.LBB1222_1106:                          ;   in Loop: Header=BB1222_980 Depth=2
	s_or_b32 exec_lo, exec_lo, s56
	s_and_saveexec_b32 s56, s36
	s_cbranch_execnz .LBB1222_1173
.LBB1222_1107:                          ;   in Loop: Header=BB1222_980 Depth=2
	s_or_b32 exec_lo, exec_lo, s56
	s_and_saveexec_b32 s56, s37
	s_cbranch_execnz .LBB1222_1174
.LBB1222_1108:                          ;   in Loop: Header=BB1222_980 Depth=2
	s_or_b32 exec_lo, exec_lo, s56
	s_and_saveexec_b32 s56, s38
	s_cbranch_execz .LBB1222_1110
.LBB1222_1109:                          ;   in Loop: Header=BB1222_980 Depth=2
	ds_read_b64 v[39:40], v108 offset:31232
	s_waitcnt lgkmcnt(0)
	v_cmp_ne_u64_e64 s39, s[46:47], v[39:40]
	v_cndmask_b32_e64 v40, 0x80000000, v40, s39
	v_cndmask_b32_e64 v39, 0, v39, s39
	v_lshrrev_b64 v[39:40], s52, v[39:40]
	v_and_b32_e32 v151, s64, v39
.LBB1222_1110:                          ;   in Loop: Header=BB1222_980 Depth=2
	s_or_b32 exec_lo, exec_lo, s56
	s_waitcnt vmcnt(0)
	s_waitcnt_vscnt null, 0x0
	s_barrier
	buffer_gl0_inv
	ds_write_b64 v71, v[37:38] offset:512
	ds_write_b64 v72, v[35:36] offset:512
	;; [unrolled: 1-line block ×16, first 2 shown]
	s_waitcnt lgkmcnt(0)
	s_barrier
	buffer_gl0_inv
	s_and_saveexec_b32 s39, vcc_lo
	s_cbranch_execnz .LBB1222_1175
; %bb.1111:                             ;   in Loop: Header=BB1222_980 Depth=2
	s_or_b32 exec_lo, exec_lo, s39
	s_and_saveexec_b32 s39, s22
	s_cbranch_execnz .LBB1222_1176
.LBB1222_1112:                          ;   in Loop: Header=BB1222_980 Depth=2
	s_or_b32 exec_lo, exec_lo, s39
	s_and_saveexec_b32 s22, s23
	s_cbranch_execnz .LBB1222_1177
.LBB1222_1113:                          ;   in Loop: Header=BB1222_980 Depth=2
	s_or_b32 exec_lo, exec_lo, s22
	s_and_saveexec_b32 s22, s24
	s_cbranch_execnz .LBB1222_1178
.LBB1222_1114:                          ;   in Loop: Header=BB1222_980 Depth=2
	s_or_b32 exec_lo, exec_lo, s22
	s_and_saveexec_b32 s22, s25
	s_cbranch_execnz .LBB1222_1179
.LBB1222_1115:                          ;   in Loop: Header=BB1222_980 Depth=2
	s_or_b32 exec_lo, exec_lo, s22
	s_and_saveexec_b32 s22, s26
	s_cbranch_execnz .LBB1222_1180
.LBB1222_1116:                          ;   in Loop: Header=BB1222_980 Depth=2
	s_or_b32 exec_lo, exec_lo, s22
	s_and_saveexec_b32 s22, s27
	s_cbranch_execnz .LBB1222_1181
.LBB1222_1117:                          ;   in Loop: Header=BB1222_980 Depth=2
	s_or_b32 exec_lo, exec_lo, s22
	s_and_saveexec_b32 s22, s28
	s_cbranch_execnz .LBB1222_1182
.LBB1222_1118:                          ;   in Loop: Header=BB1222_980 Depth=2
	s_or_b32 exec_lo, exec_lo, s22
	s_and_saveexec_b32 s22, s30
	s_cbranch_execnz .LBB1222_1183
.LBB1222_1119:                          ;   in Loop: Header=BB1222_980 Depth=2
	s_or_b32 exec_lo, exec_lo, s22
	s_and_saveexec_b32 s22, s31
	s_cbranch_execnz .LBB1222_1184
.LBB1222_1120:                          ;   in Loop: Header=BB1222_980 Depth=2
	s_or_b32 exec_lo, exec_lo, s22
	s_and_saveexec_b32 s22, s33
	s_cbranch_execnz .LBB1222_1185
.LBB1222_1121:                          ;   in Loop: Header=BB1222_980 Depth=2
	s_or_b32 exec_lo, exec_lo, s22
	s_and_saveexec_b32 s22, s34
	s_cbranch_execnz .LBB1222_1186
.LBB1222_1122:                          ;   in Loop: Header=BB1222_980 Depth=2
	s_or_b32 exec_lo, exec_lo, s22
	s_and_saveexec_b32 s22, s35
	s_cbranch_execnz .LBB1222_1187
.LBB1222_1123:                          ;   in Loop: Header=BB1222_980 Depth=2
	s_or_b32 exec_lo, exec_lo, s22
	s_and_saveexec_b32 s22, s36
	s_cbranch_execnz .LBB1222_1188
.LBB1222_1124:                          ;   in Loop: Header=BB1222_980 Depth=2
	s_or_b32 exec_lo, exec_lo, s22
	s_and_saveexec_b32 s22, s37
	s_cbranch_execnz .LBB1222_1189
.LBB1222_1125:                          ;   in Loop: Header=BB1222_980 Depth=2
	s_or_b32 exec_lo, exec_lo, s22
	s_and_saveexec_b32 s22, s38
	s_cbranch_execz .LBB1222_1127
.LBB1222_1126:                          ;   in Loop: Header=BB1222_980 Depth=2
	v_lshlrev_b32_e32 v3, 2, v151
	ds_read_b32 v3, v3
	ds_read_b64 v[39:40], v108 offset:31232
	s_waitcnt lgkmcnt(1)
	v_add_nc_u32_e32 v3, v3, v92
	v_lshlrev_b64 v[41:42], 3, v[3:4]
	v_add_co_u32 v41, vcc_lo, s50, v41
	v_add_co_ci_u32_e64 v42, null, s51, v42, vcc_lo
	s_waitcnt lgkmcnt(0)
	global_store_dwordx2 v[41:42], v[39:40], off
.LBB1222_1127:                          ;   in Loop: Header=BB1222_980 Depth=2
	s_or_b32 exec_lo, exec_lo, s22
	s_waitcnt_vscnt null, 0x0
	s_barrier
	buffer_gl0_inv
	s_and_saveexec_b32 s22, s7
	s_cbranch_execz .LBB1222_979
; %bb.1128:                             ;   in Loop: Header=BB1222_980 Depth=2
	ds_read_b32 v3, v75
	s_waitcnt lgkmcnt(0)
	v_add3_u32 v3, v158, v168, v3
	ds_write_b32 v75, v3
	s_branch .LBB1222_979
.LBB1222_1129:                          ;   in Loop: Header=BB1222_980 Depth=2
	ds_read_b64 v[39:40], v108 offset:512
	s_waitcnt lgkmcnt(0)
	v_cmp_ne_u64_e64 s22, s[46:47], v[39:40]
	v_cndmask_b32_e64 v46, 0x80000000, v40, s22
	v_cndmask_b32_e64 v45, 0, v39, s22
	v_cmp_lt_i64_e64 s22, -1, v[39:40]
	v_lshrrev_b64 v[45:46], s52, v[45:46]
	v_cndmask_b32_e64 v47, 0x80000000, -1, s22
	v_and_b32_e32 v3, s64, v45
	v_ashrrev_i32_e32 v45, 31, v40
	v_xor_b32_e32 v40, v47, v40
	v_lshlrev_b32_e32 v3, 2, v3
	v_not_b32_e32 v48, v45
	ds_read_b32 v3, v3
	v_xor_b32_e32 v39, v48, v39
	s_waitcnt lgkmcnt(0)
	v_add_nc_u32_e32 v3, v3, v0
	v_lshlrev_b64 v[45:46], 3, v[3:4]
	v_add_co_u32 v45, s22, s44, v45
	v_add_co_ci_u32_e64 v46, null, s45, v46, s22
	global_store_dwordx2 v[45:46], v[39:40], off
	s_or_b32 exec_lo, exec_lo, s23
	v_cmp_lt_u32_e64 s22, v76, v169
	s_and_saveexec_b32 s24, s22
	s_cbranch_execz .LBB1222_1062
.LBB1222_1130:                          ;   in Loop: Header=BB1222_980 Depth=2
	ds_read_b64 v[39:40], v108 offset:2560
	s_waitcnt lgkmcnt(0)
	v_cmp_ne_u64_e64 s23, s[46:47], v[39:40]
	v_cndmask_b32_e64 v46, 0x80000000, v40, s23
	v_cndmask_b32_e64 v45, 0, v39, s23
	v_cmp_lt_i64_e64 s23, -1, v[39:40]
	v_lshrrev_b64 v[45:46], s52, v[45:46]
	v_cndmask_b32_e64 v47, 0x80000000, -1, s23
	v_and_b32_e32 v3, s64, v45
	v_ashrrev_i32_e32 v45, 31, v40
	v_xor_b32_e32 v40, v47, v40
	v_lshlrev_b32_e32 v3, 2, v3
	v_not_b32_e32 v48, v45
	ds_read_b32 v3, v3
	v_xor_b32_e32 v39, v48, v39
	s_waitcnt lgkmcnt(0)
	v_add_nc_u32_e32 v3, v3, v76
	v_lshlrev_b64 v[45:46], 3, v[3:4]
	v_add_co_u32 v45, s23, s44, v45
	v_add_co_ci_u32_e64 v46, null, s45, v46, s23
	global_store_dwordx2 v[45:46], v[39:40], off
	s_or_b32 exec_lo, exec_lo, s24
	v_cmp_lt_u32_e64 s23, v79, v169
	s_and_saveexec_b32 s25, s23
	s_cbranch_execz .LBB1222_1063
.LBB1222_1131:                          ;   in Loop: Header=BB1222_980 Depth=2
	ds_read_b64 v[39:40], v108 offset:4608
	s_waitcnt lgkmcnt(0)
	v_cmp_ne_u64_e64 s24, s[46:47], v[39:40]
	v_cndmask_b32_e64 v46, 0x80000000, v40, s24
	v_cndmask_b32_e64 v45, 0, v39, s24
	v_cmp_lt_i64_e64 s24, -1, v[39:40]
	v_lshrrev_b64 v[45:46], s52, v[45:46]
	v_cndmask_b32_e64 v47, 0x80000000, -1, s24
	v_and_b32_e32 v3, s64, v45
	v_ashrrev_i32_e32 v45, 31, v40
	v_xor_b32_e32 v40, v47, v40
	v_lshlrev_b32_e32 v3, 2, v3
	v_not_b32_e32 v48, v45
	ds_read_b32 v3, v3
	v_xor_b32_e32 v39, v48, v39
	s_waitcnt lgkmcnt(0)
	v_add_nc_u32_e32 v3, v3, v79
	v_lshlrev_b64 v[45:46], 3, v[3:4]
	v_add_co_u32 v45, s24, s44, v45
	v_add_co_ci_u32_e64 v46, null, s45, v46, s24
	global_store_dwordx2 v[45:46], v[39:40], off
	s_or_b32 exec_lo, exec_lo, s25
	v_cmp_lt_u32_e64 s24, v80, v169
	s_and_saveexec_b32 s26, s24
	s_cbranch_execz .LBB1222_1064
.LBB1222_1132:                          ;   in Loop: Header=BB1222_980 Depth=2
	ds_read_b64 v[39:40], v108 offset:6656
	s_waitcnt lgkmcnt(0)
	v_cmp_ne_u64_e64 s25, s[46:47], v[39:40]
	v_cndmask_b32_e64 v46, 0x80000000, v40, s25
	v_cndmask_b32_e64 v45, 0, v39, s25
	v_cmp_lt_i64_e64 s25, -1, v[39:40]
	v_lshrrev_b64 v[45:46], s52, v[45:46]
	v_cndmask_b32_e64 v47, 0x80000000, -1, s25
	v_and_b32_e32 v3, s64, v45
	v_ashrrev_i32_e32 v45, 31, v40
	v_xor_b32_e32 v40, v47, v40
	v_lshlrev_b32_e32 v3, 2, v3
	v_not_b32_e32 v48, v45
	ds_read_b32 v3, v3
	v_xor_b32_e32 v39, v48, v39
	s_waitcnt lgkmcnt(0)
	v_add_nc_u32_e32 v3, v3, v80
	v_lshlrev_b64 v[45:46], 3, v[3:4]
	v_add_co_u32 v45, s25, s44, v45
	v_add_co_ci_u32_e64 v46, null, s45, v46, s25
	global_store_dwordx2 v[45:46], v[39:40], off
	s_or_b32 exec_lo, exec_lo, s26
	v_cmp_lt_u32_e64 s25, v81, v169
	s_and_saveexec_b32 s27, s25
	s_cbranch_execz .LBB1222_1065
.LBB1222_1133:                          ;   in Loop: Header=BB1222_980 Depth=2
	ds_read_b64 v[39:40], v108 offset:8704
	s_waitcnt lgkmcnt(0)
	v_cmp_ne_u64_e64 s26, s[46:47], v[39:40]
	v_cndmask_b32_e64 v46, 0x80000000, v40, s26
	v_cndmask_b32_e64 v45, 0, v39, s26
	v_cmp_lt_i64_e64 s26, -1, v[39:40]
	v_lshrrev_b64 v[45:46], s52, v[45:46]
	v_cndmask_b32_e64 v47, 0x80000000, -1, s26
	v_and_b32_e32 v3, s64, v45
	v_ashrrev_i32_e32 v45, 31, v40
	v_xor_b32_e32 v40, v47, v40
	v_lshlrev_b32_e32 v3, 2, v3
	v_not_b32_e32 v48, v45
	ds_read_b32 v3, v3
	v_xor_b32_e32 v39, v48, v39
	s_waitcnt lgkmcnt(0)
	v_add_nc_u32_e32 v3, v3, v81
	v_lshlrev_b64 v[45:46], 3, v[3:4]
	v_add_co_u32 v45, s26, s44, v45
	v_add_co_ci_u32_e64 v46, null, s45, v46, s26
	global_store_dwordx2 v[45:46], v[39:40], off
	s_or_b32 exec_lo, exec_lo, s27
	v_cmp_lt_u32_e64 s26, v82, v169
	s_and_saveexec_b32 s28, s26
	s_cbranch_execz .LBB1222_1066
.LBB1222_1134:                          ;   in Loop: Header=BB1222_980 Depth=2
	ds_read_b64 v[39:40], v108 offset:10752
	s_waitcnt lgkmcnt(0)
	v_cmp_ne_u64_e64 s27, s[46:47], v[39:40]
	v_cndmask_b32_e64 v46, 0x80000000, v40, s27
	v_cndmask_b32_e64 v45, 0, v39, s27
	v_cmp_lt_i64_e64 s27, -1, v[39:40]
	v_lshrrev_b64 v[45:46], s52, v[45:46]
	v_cndmask_b32_e64 v47, 0x80000000, -1, s27
	v_and_b32_e32 v3, s64, v45
	v_ashrrev_i32_e32 v45, 31, v40
	v_xor_b32_e32 v40, v47, v40
	v_lshlrev_b32_e32 v3, 2, v3
	v_not_b32_e32 v48, v45
	ds_read_b32 v3, v3
	v_xor_b32_e32 v39, v48, v39
	s_waitcnt lgkmcnt(0)
	v_add_nc_u32_e32 v3, v3, v82
	v_lshlrev_b64 v[45:46], 3, v[3:4]
	v_add_co_u32 v45, s27, s44, v45
	v_add_co_ci_u32_e64 v46, null, s45, v46, s27
	global_store_dwordx2 v[45:46], v[39:40], off
	s_or_b32 exec_lo, exec_lo, s28
	v_cmp_lt_u32_e64 s27, v83, v169
	s_and_saveexec_b32 s30, s27
	s_cbranch_execz .LBB1222_1067
.LBB1222_1135:                          ;   in Loop: Header=BB1222_980 Depth=2
	ds_read_b64 v[39:40], v108 offset:12800
	s_waitcnt lgkmcnt(0)
	v_cmp_ne_u64_e64 s28, s[46:47], v[39:40]
	v_cndmask_b32_e64 v46, 0x80000000, v40, s28
	v_cndmask_b32_e64 v45, 0, v39, s28
	v_cmp_lt_i64_e64 s28, -1, v[39:40]
	v_lshrrev_b64 v[45:46], s52, v[45:46]
	v_cndmask_b32_e64 v47, 0x80000000, -1, s28
	v_and_b32_e32 v3, s64, v45
	v_ashrrev_i32_e32 v45, 31, v40
	v_xor_b32_e32 v40, v47, v40
	v_lshlrev_b32_e32 v3, 2, v3
	v_not_b32_e32 v48, v45
	ds_read_b32 v3, v3
	v_xor_b32_e32 v39, v48, v39
	s_waitcnt lgkmcnt(0)
	v_add_nc_u32_e32 v3, v3, v83
	v_lshlrev_b64 v[45:46], 3, v[3:4]
	v_add_co_u32 v45, s28, s44, v45
	v_add_co_ci_u32_e64 v46, null, s45, v46, s28
	global_store_dwordx2 v[45:46], v[39:40], off
	s_or_b32 exec_lo, exec_lo, s30
	v_cmp_lt_u32_e64 s28, v84, v169
	s_and_saveexec_b32 s31, s28
	s_cbranch_execz .LBB1222_1068
.LBB1222_1136:                          ;   in Loop: Header=BB1222_980 Depth=2
	ds_read_b64 v[39:40], v108 offset:14848
	s_waitcnt lgkmcnt(0)
	v_cmp_ne_u64_e64 s30, s[46:47], v[39:40]
	v_cndmask_b32_e64 v46, 0x80000000, v40, s30
	v_cndmask_b32_e64 v45, 0, v39, s30
	v_cmp_lt_i64_e64 s30, -1, v[39:40]
	v_lshrrev_b64 v[45:46], s52, v[45:46]
	v_cndmask_b32_e64 v47, 0x80000000, -1, s30
	v_and_b32_e32 v3, s64, v45
	v_ashrrev_i32_e32 v45, 31, v40
	v_xor_b32_e32 v40, v47, v40
	v_lshlrev_b32_e32 v3, 2, v3
	v_not_b32_e32 v48, v45
	ds_read_b32 v3, v3
	v_xor_b32_e32 v39, v48, v39
	s_waitcnt lgkmcnt(0)
	v_add_nc_u32_e32 v3, v3, v84
	v_lshlrev_b64 v[45:46], 3, v[3:4]
	v_add_co_u32 v45, s30, s44, v45
	v_add_co_ci_u32_e64 v46, null, s45, v46, s30
	global_store_dwordx2 v[45:46], v[39:40], off
	s_or_b32 exec_lo, exec_lo, s31
	v_cmp_lt_u32_e64 s30, v85, v169
	s_and_saveexec_b32 s33, s30
	s_cbranch_execz .LBB1222_1069
.LBB1222_1137:                          ;   in Loop: Header=BB1222_980 Depth=2
	ds_read_b64 v[39:40], v108 offset:16896
	s_waitcnt lgkmcnt(0)
	v_cmp_ne_u64_e64 s31, s[46:47], v[39:40]
	v_cndmask_b32_e64 v46, 0x80000000, v40, s31
	v_cndmask_b32_e64 v45, 0, v39, s31
	v_cmp_lt_i64_e64 s31, -1, v[39:40]
	v_lshrrev_b64 v[45:46], s52, v[45:46]
	v_cndmask_b32_e64 v47, 0x80000000, -1, s31
	v_and_b32_e32 v3, s64, v45
	v_ashrrev_i32_e32 v45, 31, v40
	v_xor_b32_e32 v40, v47, v40
	v_lshlrev_b32_e32 v3, 2, v3
	v_not_b32_e32 v48, v45
	ds_read_b32 v3, v3
	v_xor_b32_e32 v39, v48, v39
	s_waitcnt lgkmcnt(0)
	v_add_nc_u32_e32 v3, v3, v85
	v_lshlrev_b64 v[45:46], 3, v[3:4]
	v_add_co_u32 v45, s31, s44, v45
	v_add_co_ci_u32_e64 v46, null, s45, v46, s31
	global_store_dwordx2 v[45:46], v[39:40], off
	s_or_b32 exec_lo, exec_lo, s33
	v_cmp_lt_u32_e64 s31, v86, v169
	s_and_saveexec_b32 s34, s31
	s_cbranch_execz .LBB1222_1070
.LBB1222_1138:                          ;   in Loop: Header=BB1222_980 Depth=2
	ds_read_b64 v[39:40], v108 offset:18944
	s_waitcnt lgkmcnt(0)
	v_cmp_ne_u64_e64 s33, s[46:47], v[39:40]
	v_cndmask_b32_e64 v46, 0x80000000, v40, s33
	v_cndmask_b32_e64 v45, 0, v39, s33
	v_cmp_lt_i64_e64 s33, -1, v[39:40]
	v_lshrrev_b64 v[45:46], s52, v[45:46]
	v_cndmask_b32_e64 v47, 0x80000000, -1, s33
	v_and_b32_e32 v3, s64, v45
	v_ashrrev_i32_e32 v45, 31, v40
	v_xor_b32_e32 v40, v47, v40
	v_lshlrev_b32_e32 v3, 2, v3
	v_not_b32_e32 v48, v45
	ds_read_b32 v3, v3
	v_xor_b32_e32 v39, v48, v39
	s_waitcnt lgkmcnt(0)
	v_add_nc_u32_e32 v3, v3, v86
	v_lshlrev_b64 v[45:46], 3, v[3:4]
	v_add_co_u32 v45, s33, s44, v45
	v_add_co_ci_u32_e64 v46, null, s45, v46, s33
	global_store_dwordx2 v[45:46], v[39:40], off
	s_or_b32 exec_lo, exec_lo, s34
	v_cmp_lt_u32_e64 s33, v87, v169
	s_and_saveexec_b32 s35, s33
	s_cbranch_execz .LBB1222_1071
.LBB1222_1139:                          ;   in Loop: Header=BB1222_980 Depth=2
	ds_read_b64 v[39:40], v108 offset:20992
	s_waitcnt lgkmcnt(0)
	v_cmp_ne_u64_e64 s34, s[46:47], v[39:40]
	v_cndmask_b32_e64 v46, 0x80000000, v40, s34
	v_cndmask_b32_e64 v45, 0, v39, s34
	v_cmp_lt_i64_e64 s34, -1, v[39:40]
	v_lshrrev_b64 v[45:46], s52, v[45:46]
	v_cndmask_b32_e64 v47, 0x80000000, -1, s34
	v_and_b32_e32 v3, s64, v45
	v_ashrrev_i32_e32 v45, 31, v40
	v_xor_b32_e32 v40, v47, v40
	v_lshlrev_b32_e32 v3, 2, v3
	v_not_b32_e32 v48, v45
	ds_read_b32 v3, v3
	v_xor_b32_e32 v39, v48, v39
	s_waitcnt lgkmcnt(0)
	v_add_nc_u32_e32 v3, v3, v87
	v_lshlrev_b64 v[45:46], 3, v[3:4]
	v_add_co_u32 v45, s34, s44, v45
	v_add_co_ci_u32_e64 v46, null, s45, v46, s34
	global_store_dwordx2 v[45:46], v[39:40], off
	s_or_b32 exec_lo, exec_lo, s35
	v_cmp_lt_u32_e64 s34, v88, v169
	s_and_saveexec_b32 s36, s34
	s_cbranch_execz .LBB1222_1072
.LBB1222_1140:                          ;   in Loop: Header=BB1222_980 Depth=2
	ds_read_b64 v[39:40], v108 offset:23040
	s_waitcnt lgkmcnt(0)
	v_cmp_ne_u64_e64 s35, s[46:47], v[39:40]
	v_cndmask_b32_e64 v46, 0x80000000, v40, s35
	v_cndmask_b32_e64 v45, 0, v39, s35
	v_cmp_lt_i64_e64 s35, -1, v[39:40]
	v_lshrrev_b64 v[45:46], s52, v[45:46]
	v_cndmask_b32_e64 v47, 0x80000000, -1, s35
	v_and_b32_e32 v3, s64, v45
	v_ashrrev_i32_e32 v45, 31, v40
	v_xor_b32_e32 v40, v47, v40
	v_lshlrev_b32_e32 v3, 2, v3
	v_not_b32_e32 v48, v45
	ds_read_b32 v3, v3
	v_xor_b32_e32 v39, v48, v39
	s_waitcnt lgkmcnt(0)
	v_add_nc_u32_e32 v3, v3, v88
	v_lshlrev_b64 v[45:46], 3, v[3:4]
	v_add_co_u32 v45, s35, s44, v45
	v_add_co_ci_u32_e64 v46, null, s45, v46, s35
	global_store_dwordx2 v[45:46], v[39:40], off
	s_or_b32 exec_lo, exec_lo, s36
	v_cmp_lt_u32_e64 s35, v89, v169
	s_and_saveexec_b32 s37, s35
	s_cbranch_execz .LBB1222_1073
.LBB1222_1141:                          ;   in Loop: Header=BB1222_980 Depth=2
	ds_read_b64 v[39:40], v108 offset:25088
	s_waitcnt lgkmcnt(0)
	v_cmp_ne_u64_e64 s36, s[46:47], v[39:40]
	v_cndmask_b32_e64 v46, 0x80000000, v40, s36
	v_cndmask_b32_e64 v45, 0, v39, s36
	v_cmp_lt_i64_e64 s36, -1, v[39:40]
	v_lshrrev_b64 v[45:46], s52, v[45:46]
	v_cndmask_b32_e64 v47, 0x80000000, -1, s36
	v_and_b32_e32 v3, s64, v45
	v_ashrrev_i32_e32 v45, 31, v40
	v_xor_b32_e32 v40, v47, v40
	v_lshlrev_b32_e32 v3, 2, v3
	v_not_b32_e32 v48, v45
	ds_read_b32 v3, v3
	v_xor_b32_e32 v39, v48, v39
	s_waitcnt lgkmcnt(0)
	v_add_nc_u32_e32 v3, v3, v89
	v_lshlrev_b64 v[45:46], 3, v[3:4]
	v_add_co_u32 v45, s36, s44, v45
	v_add_co_ci_u32_e64 v46, null, s45, v46, s36
	global_store_dwordx2 v[45:46], v[39:40], off
	s_or_b32 exec_lo, exec_lo, s37
	v_cmp_lt_u32_e64 s36, v90, v169
	s_and_saveexec_b32 s38, s36
	s_cbranch_execz .LBB1222_1074
.LBB1222_1142:                          ;   in Loop: Header=BB1222_980 Depth=2
	ds_read_b64 v[39:40], v108 offset:27136
	s_waitcnt lgkmcnt(0)
	v_cmp_ne_u64_e64 s37, s[46:47], v[39:40]
	v_cndmask_b32_e64 v46, 0x80000000, v40, s37
	v_cndmask_b32_e64 v45, 0, v39, s37
	v_cmp_lt_i64_e64 s37, -1, v[39:40]
	v_lshrrev_b64 v[45:46], s52, v[45:46]
	v_cndmask_b32_e64 v47, 0x80000000, -1, s37
	v_and_b32_e32 v3, s64, v45
	v_ashrrev_i32_e32 v45, 31, v40
	v_xor_b32_e32 v40, v47, v40
	v_lshlrev_b32_e32 v3, 2, v3
	v_not_b32_e32 v48, v45
	ds_read_b32 v3, v3
	v_xor_b32_e32 v39, v48, v39
	s_waitcnt lgkmcnt(0)
	v_add_nc_u32_e32 v3, v3, v90
	v_lshlrev_b64 v[45:46], 3, v[3:4]
	v_add_co_u32 v45, s37, s44, v45
	v_add_co_ci_u32_e64 v46, null, s45, v46, s37
	global_store_dwordx2 v[45:46], v[39:40], off
	s_or_b32 exec_lo, exec_lo, s38
	v_cmp_lt_u32_e64 s37, v91, v169
	s_and_saveexec_b32 s39, s37
	s_cbranch_execz .LBB1222_1075
.LBB1222_1143:                          ;   in Loop: Header=BB1222_980 Depth=2
	ds_read_b64 v[39:40], v108 offset:29184
	s_waitcnt lgkmcnt(0)
	v_cmp_ne_u64_e64 s38, s[46:47], v[39:40]
	v_cndmask_b32_e64 v46, 0x80000000, v40, s38
	v_cndmask_b32_e64 v45, 0, v39, s38
	v_cmp_lt_i64_e64 s38, -1, v[39:40]
	v_lshrrev_b64 v[45:46], s52, v[45:46]
	v_cndmask_b32_e64 v47, 0x80000000, -1, s38
	v_and_b32_e32 v3, s64, v45
	v_ashrrev_i32_e32 v45, 31, v40
	v_xor_b32_e32 v40, v47, v40
	v_lshlrev_b32_e32 v3, 2, v3
	v_not_b32_e32 v48, v45
	ds_read_b32 v3, v3
	v_xor_b32_e32 v39, v48, v39
	s_waitcnt lgkmcnt(0)
	v_add_nc_u32_e32 v3, v3, v91
	v_lshlrev_b64 v[45:46], 3, v[3:4]
	v_add_co_u32 v45, s38, s44, v45
	v_add_co_ci_u32_e64 v46, null, s45, v46, s38
	global_store_dwordx2 v[45:46], v[39:40], off
	s_or_b32 exec_lo, exec_lo, s39
	v_cmp_lt_u32_e64 s38, v92, v169
	s_and_saveexec_b32 s67, s38
	s_cbranch_execnz .LBB1222_1076
	s_branch .LBB1222_1077
.LBB1222_1144:                          ;   in Loop: Header=BB1222_980 Depth=2
	global_load_dwordx2 v[37:38], v[39:40], off
	s_or_b32 exec_lo, exec_lo, s39
	s_mov_b32 s56, exec_lo
	v_cmpx_lt_u32_e64 v133, v169
	s_cbranch_execz .LBB1222_1079
.LBB1222_1145:                          ;   in Loop: Header=BB1222_980 Depth=2
	global_load_dwordx2 v[35:36], v[39:40], off offset:256
	s_or_b32 exec_lo, exec_lo, s56
	s_mov_b32 s56, exec_lo
	v_cmpx_lt_u32_e64 v134, v169
	s_cbranch_execz .LBB1222_1080
.LBB1222_1146:                          ;   in Loop: Header=BB1222_980 Depth=2
	global_load_dwordx2 v[33:34], v[39:40], off offset:512
	s_or_b32 exec_lo, exec_lo, s56
	s_mov_b32 s56, exec_lo
	v_cmpx_lt_u32_e64 v135, v169
	s_cbranch_execz .LBB1222_1081
.LBB1222_1147:                          ;   in Loop: Header=BB1222_980 Depth=2
	global_load_dwordx2 v[31:32], v[39:40], off offset:768
	s_or_b32 exec_lo, exec_lo, s56
	s_mov_b32 s56, exec_lo
	v_cmpx_lt_u32_e64 v136, v169
	s_cbranch_execz .LBB1222_1082
.LBB1222_1148:                          ;   in Loop: Header=BB1222_980 Depth=2
	global_load_dwordx2 v[29:30], v[39:40], off offset:1024
	s_or_b32 exec_lo, exec_lo, s56
	s_mov_b32 s56, exec_lo
	v_cmpx_lt_u32_e64 v137, v169
	s_cbranch_execz .LBB1222_1083
.LBB1222_1149:                          ;   in Loop: Header=BB1222_980 Depth=2
	global_load_dwordx2 v[25:26], v[39:40], off offset:1280
	s_or_b32 exec_lo, exec_lo, s56
	s_mov_b32 s56, exec_lo
	v_cmpx_lt_u32_e64 v138, v169
	s_cbranch_execz .LBB1222_1084
.LBB1222_1150:                          ;   in Loop: Header=BB1222_980 Depth=2
	global_load_dwordx2 v[21:22], v[39:40], off offset:1536
	s_or_b32 exec_lo, exec_lo, s56
	s_mov_b32 s56, exec_lo
	v_cmpx_lt_u32_e64 v139, v169
	s_cbranch_execz .LBB1222_1085
.LBB1222_1151:                          ;   in Loop: Header=BB1222_980 Depth=2
	global_load_dwordx2 v[17:18], v[39:40], off offset:1792
	s_or_b32 exec_lo, exec_lo, s56
	s_mov_b32 s56, exec_lo
	v_cmpx_lt_u32_e64 v140, v169
	s_cbranch_execz .LBB1222_1086
.LBB1222_1152:                          ;   in Loop: Header=BB1222_980 Depth=2
	v_add_co_u32 v27, s39, 0x800, v39
	v_add_co_ci_u32_e64 v28, null, 0, v40, s39
	global_load_dwordx2 v[27:28], v[27:28], off
	s_or_b32 exec_lo, exec_lo, s56
	s_mov_b32 s56, exec_lo
	v_cmpx_lt_u32_e64 v141, v169
	s_cbranch_execz .LBB1222_1087
.LBB1222_1153:                          ;   in Loop: Header=BB1222_980 Depth=2
	v_add_co_u32 v23, s39, 0x800, v39
	v_add_co_ci_u32_e64 v24, null, 0, v40, s39
	global_load_dwordx2 v[23:24], v[23:24], off offset:256
	s_or_b32 exec_lo, exec_lo, s56
	s_mov_b32 s56, exec_lo
	v_cmpx_lt_u32_e64 v142, v169
	s_cbranch_execz .LBB1222_1088
.LBB1222_1154:                          ;   in Loop: Header=BB1222_980 Depth=2
	v_add_co_u32 v19, s39, 0x800, v39
	v_add_co_ci_u32_e64 v20, null, 0, v40, s39
	global_load_dwordx2 v[19:20], v[19:20], off offset:512
	s_or_b32 exec_lo, exec_lo, s56
	s_mov_b32 s56, exec_lo
	v_cmpx_lt_u32_e64 v143, v169
	s_cbranch_execz .LBB1222_1089
.LBB1222_1155:                          ;   in Loop: Header=BB1222_980 Depth=2
	v_add_co_u32 v15, s39, 0x800, v39
	v_add_co_ci_u32_e64 v16, null, 0, v40, s39
	global_load_dwordx2 v[15:16], v[15:16], off offset:768
	s_or_b32 exec_lo, exec_lo, s56
	s_mov_b32 s56, exec_lo
	v_cmpx_lt_u32_e64 v144, v169
	s_cbranch_execz .LBB1222_1090
.LBB1222_1156:                          ;   in Loop: Header=BB1222_980 Depth=2
	v_add_co_u32 v13, s39, 0x800, v39
	v_add_co_ci_u32_e64 v14, null, 0, v40, s39
	global_load_dwordx2 v[13:14], v[13:14], off offset:1024
	s_or_b32 exec_lo, exec_lo, s56
	s_mov_b32 s56, exec_lo
	v_cmpx_lt_u32_e64 v145, v169
	s_cbranch_execz .LBB1222_1091
.LBB1222_1157:                          ;   in Loop: Header=BB1222_980 Depth=2
	v_add_co_u32 v11, s39, 0x800, v39
	v_add_co_ci_u32_e64 v12, null, 0, v40, s39
	global_load_dwordx2 v[11:12], v[11:12], off offset:1280
	s_or_b32 exec_lo, exec_lo, s56
	s_mov_b32 s56, exec_lo
	v_cmpx_lt_u32_e64 v146, v169
	s_cbranch_execz .LBB1222_1092
.LBB1222_1158:                          ;   in Loop: Header=BB1222_980 Depth=2
	v_add_co_u32 v9, s39, 0x800, v39
	v_add_co_ci_u32_e64 v10, null, 0, v40, s39
	global_load_dwordx2 v[9:10], v[9:10], off offset:1536
	s_or_b32 exec_lo, exec_lo, s56
	s_mov_b32 s56, exec_lo
	v_cmpx_lt_u32_e64 v147, v169
	s_cbranch_execz .LBB1222_1093
.LBB1222_1159:                          ;   in Loop: Header=BB1222_980 Depth=2
	v_add_co_u32 v7, s39, 0x800, v39
	v_add_co_ci_u32_e64 v8, null, 0, v40, s39
	global_load_dwordx2 v[7:8], v[7:8], off offset:1792
	s_or_b32 exec_lo, exec_lo, s56
	s_and_saveexec_b32 s56, vcc_lo
	s_cbranch_execz .LBB1222_1094
.LBB1222_1160:                          ;   in Loop: Header=BB1222_980 Depth=2
	ds_read_b64 v[39:40], v108 offset:512
	s_waitcnt lgkmcnt(0)
	v_cmp_ne_u64_e64 s39, s[46:47], v[39:40]
	v_cndmask_b32_e64 v40, 0x80000000, v40, s39
	v_cndmask_b32_e64 v39, 0, v39, s39
	v_lshrrev_b64 v[39:40], s52, v[39:40]
	v_and_b32_e32 v167, s64, v39
	s_or_b32 exec_lo, exec_lo, s56
	s_and_saveexec_b32 s56, s22
	s_cbranch_execz .LBB1222_1095
.LBB1222_1161:                          ;   in Loop: Header=BB1222_980 Depth=2
	ds_read_b64 v[39:40], v108 offset:2560
	s_waitcnt lgkmcnt(0)
	v_cmp_ne_u64_e64 s39, s[46:47], v[39:40]
	v_cndmask_b32_e64 v40, 0x80000000, v40, s39
	v_cndmask_b32_e64 v39, 0, v39, s39
	v_lshrrev_b64 v[39:40], s52, v[39:40]
	v_and_b32_e32 v166, s64, v39
	s_or_b32 exec_lo, exec_lo, s56
	s_and_saveexec_b32 s56, s23
	s_cbranch_execz .LBB1222_1096
.LBB1222_1162:                          ;   in Loop: Header=BB1222_980 Depth=2
	ds_read_b64 v[39:40], v108 offset:4608
	s_waitcnt lgkmcnt(0)
	v_cmp_ne_u64_e64 s39, s[46:47], v[39:40]
	v_cndmask_b32_e64 v40, 0x80000000, v40, s39
	v_cndmask_b32_e64 v39, 0, v39, s39
	v_lshrrev_b64 v[39:40], s52, v[39:40]
	v_and_b32_e32 v165, s64, v39
	s_or_b32 exec_lo, exec_lo, s56
	s_and_saveexec_b32 s56, s24
	s_cbranch_execz .LBB1222_1097
.LBB1222_1163:                          ;   in Loop: Header=BB1222_980 Depth=2
	ds_read_b64 v[39:40], v108 offset:6656
	s_waitcnt lgkmcnt(0)
	v_cmp_ne_u64_e64 s39, s[46:47], v[39:40]
	v_cndmask_b32_e64 v40, 0x80000000, v40, s39
	v_cndmask_b32_e64 v39, 0, v39, s39
	v_lshrrev_b64 v[39:40], s52, v[39:40]
	v_and_b32_e32 v164, s64, v39
	s_or_b32 exec_lo, exec_lo, s56
	s_and_saveexec_b32 s56, s25
	s_cbranch_execz .LBB1222_1098
.LBB1222_1164:                          ;   in Loop: Header=BB1222_980 Depth=2
	ds_read_b64 v[39:40], v108 offset:8704
	s_waitcnt lgkmcnt(0)
	v_cmp_ne_u64_e64 s39, s[46:47], v[39:40]
	v_cndmask_b32_e64 v40, 0x80000000, v40, s39
	v_cndmask_b32_e64 v39, 0, v39, s39
	v_lshrrev_b64 v[39:40], s52, v[39:40]
	v_and_b32_e32 v163, s64, v39
	s_or_b32 exec_lo, exec_lo, s56
	s_and_saveexec_b32 s56, s26
	s_cbranch_execz .LBB1222_1099
.LBB1222_1165:                          ;   in Loop: Header=BB1222_980 Depth=2
	ds_read_b64 v[39:40], v108 offset:10752
	s_waitcnt lgkmcnt(0)
	v_cmp_ne_u64_e64 s39, s[46:47], v[39:40]
	v_cndmask_b32_e64 v40, 0x80000000, v40, s39
	v_cndmask_b32_e64 v39, 0, v39, s39
	v_lshrrev_b64 v[39:40], s52, v[39:40]
	v_and_b32_e32 v162, s64, v39
	s_or_b32 exec_lo, exec_lo, s56
	s_and_saveexec_b32 s56, s27
	s_cbranch_execz .LBB1222_1100
.LBB1222_1166:                          ;   in Loop: Header=BB1222_980 Depth=2
	ds_read_b64 v[39:40], v108 offset:12800
	s_waitcnt lgkmcnt(0)
	v_cmp_ne_u64_e64 s39, s[46:47], v[39:40]
	v_cndmask_b32_e64 v40, 0x80000000, v40, s39
	v_cndmask_b32_e64 v39, 0, v39, s39
	v_lshrrev_b64 v[39:40], s52, v[39:40]
	v_and_b32_e32 v161, s64, v39
	s_or_b32 exec_lo, exec_lo, s56
	s_and_saveexec_b32 s56, s28
	s_cbranch_execz .LBB1222_1101
.LBB1222_1167:                          ;   in Loop: Header=BB1222_980 Depth=2
	ds_read_b64 v[39:40], v108 offset:14848
	s_waitcnt lgkmcnt(0)
	v_cmp_ne_u64_e64 s39, s[46:47], v[39:40]
	v_cndmask_b32_e64 v40, 0x80000000, v40, s39
	v_cndmask_b32_e64 v39, 0, v39, s39
	v_lshrrev_b64 v[39:40], s52, v[39:40]
	v_and_b32_e32 v160, s64, v39
	s_or_b32 exec_lo, exec_lo, s56
	s_and_saveexec_b32 s56, s30
	s_cbranch_execz .LBB1222_1102
.LBB1222_1168:                          ;   in Loop: Header=BB1222_980 Depth=2
	ds_read_b64 v[39:40], v108 offset:16896
	s_waitcnt lgkmcnt(0)
	v_cmp_ne_u64_e64 s39, s[46:47], v[39:40]
	v_cndmask_b32_e64 v40, 0x80000000, v40, s39
	v_cndmask_b32_e64 v39, 0, v39, s39
	v_lshrrev_b64 v[39:40], s52, v[39:40]
	v_and_b32_e32 v159, s64, v39
	s_or_b32 exec_lo, exec_lo, s56
	s_and_saveexec_b32 s56, s31
	s_cbranch_execz .LBB1222_1103
.LBB1222_1169:                          ;   in Loop: Header=BB1222_980 Depth=2
	ds_read_b64 v[39:40], v108 offset:18944
	s_waitcnt lgkmcnt(0)
	v_cmp_ne_u64_e64 s39, s[46:47], v[39:40]
	v_cndmask_b32_e64 v40, 0x80000000, v40, s39
	v_cndmask_b32_e64 v39, 0, v39, s39
	v_lshrrev_b64 v[39:40], s52, v[39:40]
	v_and_b32_e32 v157, s64, v39
	s_or_b32 exec_lo, exec_lo, s56
	s_and_saveexec_b32 s56, s33
	s_cbranch_execz .LBB1222_1104
.LBB1222_1170:                          ;   in Loop: Header=BB1222_980 Depth=2
	ds_read_b64 v[39:40], v108 offset:20992
	s_waitcnt lgkmcnt(0)
	v_cmp_ne_u64_e64 s39, s[46:47], v[39:40]
	v_cndmask_b32_e64 v40, 0x80000000, v40, s39
	v_cndmask_b32_e64 v39, 0, v39, s39
	v_lshrrev_b64 v[39:40], s52, v[39:40]
	v_and_b32_e32 v156, s64, v39
	s_or_b32 exec_lo, exec_lo, s56
	s_and_saveexec_b32 s56, s34
	s_cbranch_execz .LBB1222_1105
.LBB1222_1171:                          ;   in Loop: Header=BB1222_980 Depth=2
	ds_read_b64 v[39:40], v108 offset:23040
	s_waitcnt lgkmcnt(0)
	v_cmp_ne_u64_e64 s39, s[46:47], v[39:40]
	v_cndmask_b32_e64 v40, 0x80000000, v40, s39
	v_cndmask_b32_e64 v39, 0, v39, s39
	v_lshrrev_b64 v[39:40], s52, v[39:40]
	v_and_b32_e32 v155, s64, v39
	s_or_b32 exec_lo, exec_lo, s56
	s_and_saveexec_b32 s56, s35
	s_cbranch_execz .LBB1222_1106
.LBB1222_1172:                          ;   in Loop: Header=BB1222_980 Depth=2
	ds_read_b64 v[39:40], v108 offset:25088
	s_waitcnt lgkmcnt(0)
	v_cmp_ne_u64_e64 s39, s[46:47], v[39:40]
	v_cndmask_b32_e64 v40, 0x80000000, v40, s39
	v_cndmask_b32_e64 v39, 0, v39, s39
	v_lshrrev_b64 v[39:40], s52, v[39:40]
	v_and_b32_e32 v154, s64, v39
	s_or_b32 exec_lo, exec_lo, s56
	s_and_saveexec_b32 s56, s36
	s_cbranch_execz .LBB1222_1107
.LBB1222_1173:                          ;   in Loop: Header=BB1222_980 Depth=2
	ds_read_b64 v[39:40], v108 offset:27136
	s_waitcnt lgkmcnt(0)
	v_cmp_ne_u64_e64 s39, s[46:47], v[39:40]
	v_cndmask_b32_e64 v40, 0x80000000, v40, s39
	v_cndmask_b32_e64 v39, 0, v39, s39
	v_lshrrev_b64 v[39:40], s52, v[39:40]
	v_and_b32_e32 v153, s64, v39
	s_or_b32 exec_lo, exec_lo, s56
	s_and_saveexec_b32 s56, s37
	s_cbranch_execz .LBB1222_1108
.LBB1222_1174:                          ;   in Loop: Header=BB1222_980 Depth=2
	ds_read_b64 v[39:40], v108 offset:29184
	s_waitcnt lgkmcnt(0)
	v_cmp_ne_u64_e64 s39, s[46:47], v[39:40]
	v_cndmask_b32_e64 v40, 0x80000000, v40, s39
	v_cndmask_b32_e64 v39, 0, v39, s39
	v_lshrrev_b64 v[39:40], s52, v[39:40]
	v_and_b32_e32 v152, s64, v39
	s_or_b32 exec_lo, exec_lo, s56
	s_and_saveexec_b32 s56, s38
	s_cbranch_execnz .LBB1222_1109
	s_branch .LBB1222_1110
.LBB1222_1175:                          ;   in Loop: Header=BB1222_980 Depth=2
	v_lshlrev_b32_e32 v3, 2, v167
	ds_read_b32 v3, v3
	ds_read_b64 v[39:40], v108 offset:512
	s_waitcnt lgkmcnt(1)
	v_add_nc_u32_e32 v3, v3, v0
	v_lshlrev_b64 v[41:42], 3, v[3:4]
	v_add_co_u32 v41, vcc_lo, s50, v41
	v_add_co_ci_u32_e64 v42, null, s51, v42, vcc_lo
	s_waitcnt lgkmcnt(0)
	global_store_dwordx2 v[41:42], v[39:40], off
	s_or_b32 exec_lo, exec_lo, s39
	s_and_saveexec_b32 s39, s22
	s_cbranch_execz .LBB1222_1112
.LBB1222_1176:                          ;   in Loop: Header=BB1222_980 Depth=2
	v_lshlrev_b32_e32 v3, 2, v166
	ds_read_b32 v3, v3
	ds_read_b64 v[39:40], v108 offset:2560
	s_waitcnt lgkmcnt(1)
	v_add_nc_u32_e32 v3, v3, v76
	v_lshlrev_b64 v[41:42], 3, v[3:4]
	v_add_co_u32 v41, vcc_lo, s50, v41
	v_add_co_ci_u32_e64 v42, null, s51, v42, vcc_lo
	s_waitcnt lgkmcnt(0)
	global_store_dwordx2 v[41:42], v[39:40], off
	s_or_b32 exec_lo, exec_lo, s39
	s_and_saveexec_b32 s22, s23
	s_cbranch_execz .LBB1222_1113
.LBB1222_1177:                          ;   in Loop: Header=BB1222_980 Depth=2
	v_lshlrev_b32_e32 v3, 2, v165
	ds_read_b32 v3, v3
	ds_read_b64 v[39:40], v108 offset:4608
	s_waitcnt lgkmcnt(1)
	v_add_nc_u32_e32 v3, v3, v79
	v_lshlrev_b64 v[41:42], 3, v[3:4]
	v_add_co_u32 v41, vcc_lo, s50, v41
	v_add_co_ci_u32_e64 v42, null, s51, v42, vcc_lo
	s_waitcnt lgkmcnt(0)
	global_store_dwordx2 v[41:42], v[39:40], off
	s_or_b32 exec_lo, exec_lo, s22
	s_and_saveexec_b32 s22, s24
	s_cbranch_execz .LBB1222_1114
.LBB1222_1178:                          ;   in Loop: Header=BB1222_980 Depth=2
	v_lshlrev_b32_e32 v3, 2, v164
	ds_read_b32 v3, v3
	ds_read_b64 v[39:40], v108 offset:6656
	s_waitcnt lgkmcnt(1)
	v_add_nc_u32_e32 v3, v3, v80
	v_lshlrev_b64 v[41:42], 3, v[3:4]
	v_add_co_u32 v41, vcc_lo, s50, v41
	v_add_co_ci_u32_e64 v42, null, s51, v42, vcc_lo
	s_waitcnt lgkmcnt(0)
	global_store_dwordx2 v[41:42], v[39:40], off
	s_or_b32 exec_lo, exec_lo, s22
	s_and_saveexec_b32 s22, s25
	s_cbranch_execz .LBB1222_1115
.LBB1222_1179:                          ;   in Loop: Header=BB1222_980 Depth=2
	v_lshlrev_b32_e32 v3, 2, v163
	ds_read_b32 v3, v3
	ds_read_b64 v[39:40], v108 offset:8704
	s_waitcnt lgkmcnt(1)
	v_add_nc_u32_e32 v3, v3, v81
	v_lshlrev_b64 v[41:42], 3, v[3:4]
	v_add_co_u32 v41, vcc_lo, s50, v41
	v_add_co_ci_u32_e64 v42, null, s51, v42, vcc_lo
	s_waitcnt lgkmcnt(0)
	global_store_dwordx2 v[41:42], v[39:40], off
	s_or_b32 exec_lo, exec_lo, s22
	s_and_saveexec_b32 s22, s26
	s_cbranch_execz .LBB1222_1116
.LBB1222_1180:                          ;   in Loop: Header=BB1222_980 Depth=2
	v_lshlrev_b32_e32 v3, 2, v162
	ds_read_b32 v3, v3
	ds_read_b64 v[39:40], v108 offset:10752
	s_waitcnt lgkmcnt(1)
	v_add_nc_u32_e32 v3, v3, v82
	v_lshlrev_b64 v[41:42], 3, v[3:4]
	v_add_co_u32 v41, vcc_lo, s50, v41
	v_add_co_ci_u32_e64 v42, null, s51, v42, vcc_lo
	s_waitcnt lgkmcnt(0)
	global_store_dwordx2 v[41:42], v[39:40], off
	s_or_b32 exec_lo, exec_lo, s22
	s_and_saveexec_b32 s22, s27
	s_cbranch_execz .LBB1222_1117
.LBB1222_1181:                          ;   in Loop: Header=BB1222_980 Depth=2
	v_lshlrev_b32_e32 v3, 2, v161
	ds_read_b32 v3, v3
	ds_read_b64 v[39:40], v108 offset:12800
	s_waitcnt lgkmcnt(1)
	v_add_nc_u32_e32 v3, v3, v83
	v_lshlrev_b64 v[41:42], 3, v[3:4]
	v_add_co_u32 v41, vcc_lo, s50, v41
	v_add_co_ci_u32_e64 v42, null, s51, v42, vcc_lo
	s_waitcnt lgkmcnt(0)
	global_store_dwordx2 v[41:42], v[39:40], off
	s_or_b32 exec_lo, exec_lo, s22
	s_and_saveexec_b32 s22, s28
	s_cbranch_execz .LBB1222_1118
.LBB1222_1182:                          ;   in Loop: Header=BB1222_980 Depth=2
	v_lshlrev_b32_e32 v3, 2, v160
	ds_read_b32 v3, v3
	ds_read_b64 v[39:40], v108 offset:14848
	s_waitcnt lgkmcnt(1)
	v_add_nc_u32_e32 v3, v3, v84
	v_lshlrev_b64 v[41:42], 3, v[3:4]
	v_add_co_u32 v41, vcc_lo, s50, v41
	v_add_co_ci_u32_e64 v42, null, s51, v42, vcc_lo
	s_waitcnt lgkmcnt(0)
	global_store_dwordx2 v[41:42], v[39:40], off
	s_or_b32 exec_lo, exec_lo, s22
	s_and_saveexec_b32 s22, s30
	s_cbranch_execz .LBB1222_1119
.LBB1222_1183:                          ;   in Loop: Header=BB1222_980 Depth=2
	v_lshlrev_b32_e32 v3, 2, v159
	ds_read_b32 v3, v3
	ds_read_b64 v[39:40], v108 offset:16896
	s_waitcnt lgkmcnt(1)
	v_add_nc_u32_e32 v3, v3, v85
	v_lshlrev_b64 v[41:42], 3, v[3:4]
	v_add_co_u32 v41, vcc_lo, s50, v41
	v_add_co_ci_u32_e64 v42, null, s51, v42, vcc_lo
	s_waitcnt lgkmcnt(0)
	global_store_dwordx2 v[41:42], v[39:40], off
	s_or_b32 exec_lo, exec_lo, s22
	s_and_saveexec_b32 s22, s31
	s_cbranch_execz .LBB1222_1120
.LBB1222_1184:                          ;   in Loop: Header=BB1222_980 Depth=2
	v_lshlrev_b32_e32 v3, 2, v157
	ds_read_b32 v3, v3
	ds_read_b64 v[39:40], v108 offset:18944
	s_waitcnt lgkmcnt(1)
	v_add_nc_u32_e32 v3, v3, v86
	v_lshlrev_b64 v[41:42], 3, v[3:4]
	v_add_co_u32 v41, vcc_lo, s50, v41
	v_add_co_ci_u32_e64 v42, null, s51, v42, vcc_lo
	s_waitcnt lgkmcnt(0)
	global_store_dwordx2 v[41:42], v[39:40], off
	s_or_b32 exec_lo, exec_lo, s22
	s_and_saveexec_b32 s22, s33
	s_cbranch_execz .LBB1222_1121
.LBB1222_1185:                          ;   in Loop: Header=BB1222_980 Depth=2
	v_lshlrev_b32_e32 v3, 2, v156
	ds_read_b32 v3, v3
	ds_read_b64 v[39:40], v108 offset:20992
	s_waitcnt lgkmcnt(1)
	v_add_nc_u32_e32 v3, v3, v87
	v_lshlrev_b64 v[41:42], 3, v[3:4]
	v_add_co_u32 v41, vcc_lo, s50, v41
	v_add_co_ci_u32_e64 v42, null, s51, v42, vcc_lo
	s_waitcnt lgkmcnt(0)
	global_store_dwordx2 v[41:42], v[39:40], off
	s_or_b32 exec_lo, exec_lo, s22
	s_and_saveexec_b32 s22, s34
	s_cbranch_execz .LBB1222_1122
.LBB1222_1186:                          ;   in Loop: Header=BB1222_980 Depth=2
	v_lshlrev_b32_e32 v3, 2, v155
	ds_read_b32 v3, v3
	ds_read_b64 v[39:40], v108 offset:23040
	s_waitcnt lgkmcnt(1)
	v_add_nc_u32_e32 v3, v3, v88
	v_lshlrev_b64 v[41:42], 3, v[3:4]
	v_add_co_u32 v41, vcc_lo, s50, v41
	v_add_co_ci_u32_e64 v42, null, s51, v42, vcc_lo
	s_waitcnt lgkmcnt(0)
	global_store_dwordx2 v[41:42], v[39:40], off
	s_or_b32 exec_lo, exec_lo, s22
	s_and_saveexec_b32 s22, s35
	s_cbranch_execz .LBB1222_1123
.LBB1222_1187:                          ;   in Loop: Header=BB1222_980 Depth=2
	v_lshlrev_b32_e32 v3, 2, v154
	ds_read_b32 v3, v3
	ds_read_b64 v[39:40], v108 offset:25088
	s_waitcnt lgkmcnt(1)
	v_add_nc_u32_e32 v3, v3, v89
	v_lshlrev_b64 v[41:42], 3, v[3:4]
	v_add_co_u32 v41, vcc_lo, s50, v41
	v_add_co_ci_u32_e64 v42, null, s51, v42, vcc_lo
	s_waitcnt lgkmcnt(0)
	global_store_dwordx2 v[41:42], v[39:40], off
	s_or_b32 exec_lo, exec_lo, s22
	s_and_saveexec_b32 s22, s36
	s_cbranch_execz .LBB1222_1124
.LBB1222_1188:                          ;   in Loop: Header=BB1222_980 Depth=2
	v_lshlrev_b32_e32 v3, 2, v153
	ds_read_b32 v3, v3
	ds_read_b64 v[39:40], v108 offset:27136
	s_waitcnt lgkmcnt(1)
	v_add_nc_u32_e32 v3, v3, v90
	v_lshlrev_b64 v[41:42], 3, v[3:4]
	v_add_co_u32 v41, vcc_lo, s50, v41
	v_add_co_ci_u32_e64 v42, null, s51, v42, vcc_lo
	s_waitcnt lgkmcnt(0)
	global_store_dwordx2 v[41:42], v[39:40], off
	s_or_b32 exec_lo, exec_lo, s22
	s_and_saveexec_b32 s22, s37
	s_cbranch_execz .LBB1222_1125
.LBB1222_1189:                          ;   in Loop: Header=BB1222_980 Depth=2
	v_lshlrev_b32_e32 v3, 2, v152
	ds_read_b32 v3, v3
	ds_read_b64 v[39:40], v108 offset:29184
	s_waitcnt lgkmcnt(1)
	v_add_nc_u32_e32 v3, v3, v91
	v_lshlrev_b64 v[41:42], 3, v[3:4]
	v_add_co_u32 v41, vcc_lo, s50, v41
	v_add_co_ci_u32_e64 v42, null, s51, v42, vcc_lo
	s_waitcnt lgkmcnt(0)
	global_store_dwordx2 v[41:42], v[39:40], off
	s_or_b32 exec_lo, exec_lo, s22
	s_and_saveexec_b32 s22, s38
	s_cbranch_execnz .LBB1222_1126
	s_branch .LBB1222_1127
.LBB1222_1190:
	s_endpgm
	.section	.rodata,"a",@progbits
	.p2align	6, 0x0
	.amdhsa_kernel _ZN7rocprim17ROCPRIM_400000_NS6detail17trampoline_kernelINS0_14default_configENS1_36segmented_radix_sort_config_selectorIdlEEZNS1_25segmented_radix_sort_implIS3_Lb0EPKdPdPKlPlN2at6native12_GLOBAL__N_18offset_tEEE10hipError_tPvRmT1_PNSt15iterator_traitsISK_E10value_typeET2_T3_PNSL_ISQ_E10value_typeET4_jRbjT5_SW_jjP12ihipStream_tbEUlT_E_NS1_11comp_targetILNS1_3genE8ELNS1_11target_archE1030ELNS1_3gpuE2ELNS1_3repE0EEENS1_30default_config_static_selectorELNS0_4arch9wavefront6targetE0EEEvSK_
		.amdhsa_group_segment_fixed_size 33296
		.amdhsa_private_segment_fixed_size 176
		.amdhsa_kernarg_size 352
		.amdhsa_user_sgpr_count 6
		.amdhsa_user_sgpr_private_segment_buffer 1
		.amdhsa_user_sgpr_dispatch_ptr 0
		.amdhsa_user_sgpr_queue_ptr 0
		.amdhsa_user_sgpr_kernarg_segment_ptr 1
		.amdhsa_user_sgpr_dispatch_id 0
		.amdhsa_user_sgpr_flat_scratch_init 0
		.amdhsa_user_sgpr_private_segment_size 0
		.amdhsa_wavefront_size32 1
		.amdhsa_uses_dynamic_stack 0
		.amdhsa_system_sgpr_private_segment_wavefront_offset 1
		.amdhsa_system_sgpr_workgroup_id_x 1
		.amdhsa_system_sgpr_workgroup_id_y 1
		.amdhsa_system_sgpr_workgroup_id_z 0
		.amdhsa_system_sgpr_workgroup_info 0
		.amdhsa_system_vgpr_workitem_id 2
		.amdhsa_next_free_vgpr 248
		.amdhsa_next_free_sgpr 70
		.amdhsa_reserve_vcc 1
		.amdhsa_reserve_flat_scratch 0
		.amdhsa_float_round_mode_32 0
		.amdhsa_float_round_mode_16_64 0
		.amdhsa_float_denorm_mode_32 3
		.amdhsa_float_denorm_mode_16_64 3
		.amdhsa_dx10_clamp 1
		.amdhsa_ieee_mode 1
		.amdhsa_fp16_overflow 0
		.amdhsa_workgroup_processor_mode 1
		.amdhsa_memory_ordered 1
		.amdhsa_forward_progress 1
		.amdhsa_shared_vgpr_count 0
		.amdhsa_exception_fp_ieee_invalid_op 0
		.amdhsa_exception_fp_denorm_src 0
		.amdhsa_exception_fp_ieee_div_zero 0
		.amdhsa_exception_fp_ieee_overflow 0
		.amdhsa_exception_fp_ieee_underflow 0
		.amdhsa_exception_fp_ieee_inexact 0
		.amdhsa_exception_int_div_zero 0
	.end_amdhsa_kernel
	.section	.text._ZN7rocprim17ROCPRIM_400000_NS6detail17trampoline_kernelINS0_14default_configENS1_36segmented_radix_sort_config_selectorIdlEEZNS1_25segmented_radix_sort_implIS3_Lb0EPKdPdPKlPlN2at6native12_GLOBAL__N_18offset_tEEE10hipError_tPvRmT1_PNSt15iterator_traitsISK_E10value_typeET2_T3_PNSL_ISQ_E10value_typeET4_jRbjT5_SW_jjP12ihipStream_tbEUlT_E_NS1_11comp_targetILNS1_3genE8ELNS1_11target_archE1030ELNS1_3gpuE2ELNS1_3repE0EEENS1_30default_config_static_selectorELNS0_4arch9wavefront6targetE0EEEvSK_,"axG",@progbits,_ZN7rocprim17ROCPRIM_400000_NS6detail17trampoline_kernelINS0_14default_configENS1_36segmented_radix_sort_config_selectorIdlEEZNS1_25segmented_radix_sort_implIS3_Lb0EPKdPdPKlPlN2at6native12_GLOBAL__N_18offset_tEEE10hipError_tPvRmT1_PNSt15iterator_traitsISK_E10value_typeET2_T3_PNSL_ISQ_E10value_typeET4_jRbjT5_SW_jjP12ihipStream_tbEUlT_E_NS1_11comp_targetILNS1_3genE8ELNS1_11target_archE1030ELNS1_3gpuE2ELNS1_3repE0EEENS1_30default_config_static_selectorELNS0_4arch9wavefront6targetE0EEEvSK_,comdat
.Lfunc_end1222:
	.size	_ZN7rocprim17ROCPRIM_400000_NS6detail17trampoline_kernelINS0_14default_configENS1_36segmented_radix_sort_config_selectorIdlEEZNS1_25segmented_radix_sort_implIS3_Lb0EPKdPdPKlPlN2at6native12_GLOBAL__N_18offset_tEEE10hipError_tPvRmT1_PNSt15iterator_traitsISK_E10value_typeET2_T3_PNSL_ISQ_E10value_typeET4_jRbjT5_SW_jjP12ihipStream_tbEUlT_E_NS1_11comp_targetILNS1_3genE8ELNS1_11target_archE1030ELNS1_3gpuE2ELNS1_3repE0EEENS1_30default_config_static_selectorELNS0_4arch9wavefront6targetE0EEEvSK_, .Lfunc_end1222-_ZN7rocprim17ROCPRIM_400000_NS6detail17trampoline_kernelINS0_14default_configENS1_36segmented_radix_sort_config_selectorIdlEEZNS1_25segmented_radix_sort_implIS3_Lb0EPKdPdPKlPlN2at6native12_GLOBAL__N_18offset_tEEE10hipError_tPvRmT1_PNSt15iterator_traitsISK_E10value_typeET2_T3_PNSL_ISQ_E10value_typeET4_jRbjT5_SW_jjP12ihipStream_tbEUlT_E_NS1_11comp_targetILNS1_3genE8ELNS1_11target_archE1030ELNS1_3gpuE2ELNS1_3repE0EEENS1_30default_config_static_selectorELNS0_4arch9wavefront6targetE0EEEvSK_
                                        ; -- End function
	.set _ZN7rocprim17ROCPRIM_400000_NS6detail17trampoline_kernelINS0_14default_configENS1_36segmented_radix_sort_config_selectorIdlEEZNS1_25segmented_radix_sort_implIS3_Lb0EPKdPdPKlPlN2at6native12_GLOBAL__N_18offset_tEEE10hipError_tPvRmT1_PNSt15iterator_traitsISK_E10value_typeET2_T3_PNSL_ISQ_E10value_typeET4_jRbjT5_SW_jjP12ihipStream_tbEUlT_E_NS1_11comp_targetILNS1_3genE8ELNS1_11target_archE1030ELNS1_3gpuE2ELNS1_3repE0EEENS1_30default_config_static_selectorELNS0_4arch9wavefront6targetE0EEEvSK_.num_vgpr, max(220, .L_ZN7rocprim17ROCPRIM_400000_NS6detail40segmented_radix_sort_single_block_helperIdlLj256ELj16ELb0EE4sortIPKdPdPKlPlEEbT_T0_T1_T2_jjjjRNS3_12storage_typeE.num_vgpr)
	.set _ZN7rocprim17ROCPRIM_400000_NS6detail17trampoline_kernelINS0_14default_configENS1_36segmented_radix_sort_config_selectorIdlEEZNS1_25segmented_radix_sort_implIS3_Lb0EPKdPdPKlPlN2at6native12_GLOBAL__N_18offset_tEEE10hipError_tPvRmT1_PNSt15iterator_traitsISK_E10value_typeET2_T3_PNSL_ISQ_E10value_typeET4_jRbjT5_SW_jjP12ihipStream_tbEUlT_E_NS1_11comp_targetILNS1_3genE8ELNS1_11target_archE1030ELNS1_3gpuE2ELNS1_3repE0EEENS1_30default_config_static_selectorELNS0_4arch9wavefront6targetE0EEEvSK_.num_agpr, max(0, .L_ZN7rocprim17ROCPRIM_400000_NS6detail40segmented_radix_sort_single_block_helperIdlLj256ELj16ELb0EE4sortIPKdPdPKlPlEEbT_T0_T1_T2_jjjjRNS3_12storage_typeE.num_agpr)
	.set _ZN7rocprim17ROCPRIM_400000_NS6detail17trampoline_kernelINS0_14default_configENS1_36segmented_radix_sort_config_selectorIdlEEZNS1_25segmented_radix_sort_implIS3_Lb0EPKdPdPKlPlN2at6native12_GLOBAL__N_18offset_tEEE10hipError_tPvRmT1_PNSt15iterator_traitsISK_E10value_typeET2_T3_PNSL_ISQ_E10value_typeET4_jRbjT5_SW_jjP12ihipStream_tbEUlT_E_NS1_11comp_targetILNS1_3genE8ELNS1_11target_archE1030ELNS1_3gpuE2ELNS1_3repE0EEENS1_30default_config_static_selectorELNS0_4arch9wavefront6targetE0EEEvSK_.numbered_sgpr, max(70, .L_ZN7rocprim17ROCPRIM_400000_NS6detail40segmented_radix_sort_single_block_helperIdlLj256ELj16ELb0EE4sortIPKdPdPKlPlEEbT_T0_T1_T2_jjjjRNS3_12storage_typeE.numbered_sgpr)
	.set _ZN7rocprim17ROCPRIM_400000_NS6detail17trampoline_kernelINS0_14default_configENS1_36segmented_radix_sort_config_selectorIdlEEZNS1_25segmented_radix_sort_implIS3_Lb0EPKdPdPKlPlN2at6native12_GLOBAL__N_18offset_tEEE10hipError_tPvRmT1_PNSt15iterator_traitsISK_E10value_typeET2_T3_PNSL_ISQ_E10value_typeET4_jRbjT5_SW_jjP12ihipStream_tbEUlT_E_NS1_11comp_targetILNS1_3genE8ELNS1_11target_archE1030ELNS1_3gpuE2ELNS1_3repE0EEENS1_30default_config_static_selectorELNS0_4arch9wavefront6targetE0EEEvSK_.num_named_barrier, max(0, .L_ZN7rocprim17ROCPRIM_400000_NS6detail40segmented_radix_sort_single_block_helperIdlLj256ELj16ELb0EE4sortIPKdPdPKlPlEEbT_T0_T1_T2_jjjjRNS3_12storage_typeE.num_named_barrier)
	.set _ZN7rocprim17ROCPRIM_400000_NS6detail17trampoline_kernelINS0_14default_configENS1_36segmented_radix_sort_config_selectorIdlEEZNS1_25segmented_radix_sort_implIS3_Lb0EPKdPdPKlPlN2at6native12_GLOBAL__N_18offset_tEEE10hipError_tPvRmT1_PNSt15iterator_traitsISK_E10value_typeET2_T3_PNSL_ISQ_E10value_typeET4_jRbjT5_SW_jjP12ihipStream_tbEUlT_E_NS1_11comp_targetILNS1_3genE8ELNS1_11target_archE1030ELNS1_3gpuE2ELNS1_3repE0EEENS1_30default_config_static_selectorELNS0_4arch9wavefront6targetE0EEEvSK_.private_seg_size, 0+max(.L_ZN7rocprim17ROCPRIM_400000_NS6detail40segmented_radix_sort_single_block_helperIdlLj256ELj16ELb0EE4sortIPKdPdPKlPlEEbT_T0_T1_T2_jjjjRNS3_12storage_typeE.private_seg_size)
	.set _ZN7rocprim17ROCPRIM_400000_NS6detail17trampoline_kernelINS0_14default_configENS1_36segmented_radix_sort_config_selectorIdlEEZNS1_25segmented_radix_sort_implIS3_Lb0EPKdPdPKlPlN2at6native12_GLOBAL__N_18offset_tEEE10hipError_tPvRmT1_PNSt15iterator_traitsISK_E10value_typeET2_T3_PNSL_ISQ_E10value_typeET4_jRbjT5_SW_jjP12ihipStream_tbEUlT_E_NS1_11comp_targetILNS1_3genE8ELNS1_11target_archE1030ELNS1_3gpuE2ELNS1_3repE0EEENS1_30default_config_static_selectorELNS0_4arch9wavefront6targetE0EEEvSK_.uses_vcc, or(1, .L_ZN7rocprim17ROCPRIM_400000_NS6detail40segmented_radix_sort_single_block_helperIdlLj256ELj16ELb0EE4sortIPKdPdPKlPlEEbT_T0_T1_T2_jjjjRNS3_12storage_typeE.uses_vcc)
	.set _ZN7rocprim17ROCPRIM_400000_NS6detail17trampoline_kernelINS0_14default_configENS1_36segmented_radix_sort_config_selectorIdlEEZNS1_25segmented_radix_sort_implIS3_Lb0EPKdPdPKlPlN2at6native12_GLOBAL__N_18offset_tEEE10hipError_tPvRmT1_PNSt15iterator_traitsISK_E10value_typeET2_T3_PNSL_ISQ_E10value_typeET4_jRbjT5_SW_jjP12ihipStream_tbEUlT_E_NS1_11comp_targetILNS1_3genE8ELNS1_11target_archE1030ELNS1_3gpuE2ELNS1_3repE0EEENS1_30default_config_static_selectorELNS0_4arch9wavefront6targetE0EEEvSK_.uses_flat_scratch, or(0, .L_ZN7rocprim17ROCPRIM_400000_NS6detail40segmented_radix_sort_single_block_helperIdlLj256ELj16ELb0EE4sortIPKdPdPKlPlEEbT_T0_T1_T2_jjjjRNS3_12storage_typeE.uses_flat_scratch)
	.set _ZN7rocprim17ROCPRIM_400000_NS6detail17trampoline_kernelINS0_14default_configENS1_36segmented_radix_sort_config_selectorIdlEEZNS1_25segmented_radix_sort_implIS3_Lb0EPKdPdPKlPlN2at6native12_GLOBAL__N_18offset_tEEE10hipError_tPvRmT1_PNSt15iterator_traitsISK_E10value_typeET2_T3_PNSL_ISQ_E10value_typeET4_jRbjT5_SW_jjP12ihipStream_tbEUlT_E_NS1_11comp_targetILNS1_3genE8ELNS1_11target_archE1030ELNS1_3gpuE2ELNS1_3repE0EEENS1_30default_config_static_selectorELNS0_4arch9wavefront6targetE0EEEvSK_.has_dyn_sized_stack, or(0, .L_ZN7rocprim17ROCPRIM_400000_NS6detail40segmented_radix_sort_single_block_helperIdlLj256ELj16ELb0EE4sortIPKdPdPKlPlEEbT_T0_T1_T2_jjjjRNS3_12storage_typeE.has_dyn_sized_stack)
	.set _ZN7rocprim17ROCPRIM_400000_NS6detail17trampoline_kernelINS0_14default_configENS1_36segmented_radix_sort_config_selectorIdlEEZNS1_25segmented_radix_sort_implIS3_Lb0EPKdPdPKlPlN2at6native12_GLOBAL__N_18offset_tEEE10hipError_tPvRmT1_PNSt15iterator_traitsISK_E10value_typeET2_T3_PNSL_ISQ_E10value_typeET4_jRbjT5_SW_jjP12ihipStream_tbEUlT_E_NS1_11comp_targetILNS1_3genE8ELNS1_11target_archE1030ELNS1_3gpuE2ELNS1_3repE0EEENS1_30default_config_static_selectorELNS0_4arch9wavefront6targetE0EEEvSK_.has_recursion, or(0, .L_ZN7rocprim17ROCPRIM_400000_NS6detail40segmented_radix_sort_single_block_helperIdlLj256ELj16ELb0EE4sortIPKdPdPKlPlEEbT_T0_T1_T2_jjjjRNS3_12storage_typeE.has_recursion)
	.set _ZN7rocprim17ROCPRIM_400000_NS6detail17trampoline_kernelINS0_14default_configENS1_36segmented_radix_sort_config_selectorIdlEEZNS1_25segmented_radix_sort_implIS3_Lb0EPKdPdPKlPlN2at6native12_GLOBAL__N_18offset_tEEE10hipError_tPvRmT1_PNSt15iterator_traitsISK_E10value_typeET2_T3_PNSL_ISQ_E10value_typeET4_jRbjT5_SW_jjP12ihipStream_tbEUlT_E_NS1_11comp_targetILNS1_3genE8ELNS1_11target_archE1030ELNS1_3gpuE2ELNS1_3repE0EEENS1_30default_config_static_selectorELNS0_4arch9wavefront6targetE0EEEvSK_.has_indirect_call, or(0, .L_ZN7rocprim17ROCPRIM_400000_NS6detail40segmented_radix_sort_single_block_helperIdlLj256ELj16ELb0EE4sortIPKdPdPKlPlEEbT_T0_T1_T2_jjjjRNS3_12storage_typeE.has_indirect_call)
	.section	.AMDGPU.csdata,"",@progbits
; Kernel info:
; codeLenInByte = 73236
; TotalNumSgprs: 72
; NumVgprs: 248
; ScratchSize: 176
; MemoryBound: 0
; FloatMode: 240
; IeeeMode: 1
; LDSByteSize: 33296 bytes/workgroup (compile time only)
; SGPRBlocks: 0
; VGPRBlocks: 30
; NumSGPRsForWavesPerEU: 72
; NumVGPRsForWavesPerEU: 248
; Occupancy: 4
; WaveLimiterHint : 1
; COMPUTE_PGM_RSRC2:SCRATCH_EN: 1
; COMPUTE_PGM_RSRC2:USER_SGPR: 6
; COMPUTE_PGM_RSRC2:TRAP_HANDLER: 0
; COMPUTE_PGM_RSRC2:TGID_X_EN: 1
; COMPUTE_PGM_RSRC2:TGID_Y_EN: 1
; COMPUTE_PGM_RSRC2:TGID_Z_EN: 0
; COMPUTE_PGM_RSRC2:TIDIG_COMP_CNT: 2
	.section	.text._ZN7rocprim17ROCPRIM_400000_NS6detail17trampoline_kernelINS0_14default_configENS1_36segmented_radix_sort_config_selectorIdlEEZNS1_25segmented_radix_sort_implIS3_Lb0EPKdPdPKlPlN2at6native12_GLOBAL__N_18offset_tEEE10hipError_tPvRmT1_PNSt15iterator_traitsISK_E10value_typeET2_T3_PNSL_ISQ_E10value_typeET4_jRbjT5_SW_jjP12ihipStream_tbEUlT_E0_NS1_11comp_targetILNS1_3genE0ELNS1_11target_archE4294967295ELNS1_3gpuE0ELNS1_3repE0EEENS1_60segmented_radix_sort_warp_sort_medium_config_static_selectorELNS0_4arch9wavefront6targetE0EEEvSK_,"axG",@progbits,_ZN7rocprim17ROCPRIM_400000_NS6detail17trampoline_kernelINS0_14default_configENS1_36segmented_radix_sort_config_selectorIdlEEZNS1_25segmented_radix_sort_implIS3_Lb0EPKdPdPKlPlN2at6native12_GLOBAL__N_18offset_tEEE10hipError_tPvRmT1_PNSt15iterator_traitsISK_E10value_typeET2_T3_PNSL_ISQ_E10value_typeET4_jRbjT5_SW_jjP12ihipStream_tbEUlT_E0_NS1_11comp_targetILNS1_3genE0ELNS1_11target_archE4294967295ELNS1_3gpuE0ELNS1_3repE0EEENS1_60segmented_radix_sort_warp_sort_medium_config_static_selectorELNS0_4arch9wavefront6targetE0EEEvSK_,comdat
	.globl	_ZN7rocprim17ROCPRIM_400000_NS6detail17trampoline_kernelINS0_14default_configENS1_36segmented_radix_sort_config_selectorIdlEEZNS1_25segmented_radix_sort_implIS3_Lb0EPKdPdPKlPlN2at6native12_GLOBAL__N_18offset_tEEE10hipError_tPvRmT1_PNSt15iterator_traitsISK_E10value_typeET2_T3_PNSL_ISQ_E10value_typeET4_jRbjT5_SW_jjP12ihipStream_tbEUlT_E0_NS1_11comp_targetILNS1_3genE0ELNS1_11target_archE4294967295ELNS1_3gpuE0ELNS1_3repE0EEENS1_60segmented_radix_sort_warp_sort_medium_config_static_selectorELNS0_4arch9wavefront6targetE0EEEvSK_ ; -- Begin function _ZN7rocprim17ROCPRIM_400000_NS6detail17trampoline_kernelINS0_14default_configENS1_36segmented_radix_sort_config_selectorIdlEEZNS1_25segmented_radix_sort_implIS3_Lb0EPKdPdPKlPlN2at6native12_GLOBAL__N_18offset_tEEE10hipError_tPvRmT1_PNSt15iterator_traitsISK_E10value_typeET2_T3_PNSL_ISQ_E10value_typeET4_jRbjT5_SW_jjP12ihipStream_tbEUlT_E0_NS1_11comp_targetILNS1_3genE0ELNS1_11target_archE4294967295ELNS1_3gpuE0ELNS1_3repE0EEENS1_60segmented_radix_sort_warp_sort_medium_config_static_selectorELNS0_4arch9wavefront6targetE0EEEvSK_
	.p2align	8
	.type	_ZN7rocprim17ROCPRIM_400000_NS6detail17trampoline_kernelINS0_14default_configENS1_36segmented_radix_sort_config_selectorIdlEEZNS1_25segmented_radix_sort_implIS3_Lb0EPKdPdPKlPlN2at6native12_GLOBAL__N_18offset_tEEE10hipError_tPvRmT1_PNSt15iterator_traitsISK_E10value_typeET2_T3_PNSL_ISQ_E10value_typeET4_jRbjT5_SW_jjP12ihipStream_tbEUlT_E0_NS1_11comp_targetILNS1_3genE0ELNS1_11target_archE4294967295ELNS1_3gpuE0ELNS1_3repE0EEENS1_60segmented_radix_sort_warp_sort_medium_config_static_selectorELNS0_4arch9wavefront6targetE0EEEvSK_,@function
_ZN7rocprim17ROCPRIM_400000_NS6detail17trampoline_kernelINS0_14default_configENS1_36segmented_radix_sort_config_selectorIdlEEZNS1_25segmented_radix_sort_implIS3_Lb0EPKdPdPKlPlN2at6native12_GLOBAL__N_18offset_tEEE10hipError_tPvRmT1_PNSt15iterator_traitsISK_E10value_typeET2_T3_PNSL_ISQ_E10value_typeET4_jRbjT5_SW_jjP12ihipStream_tbEUlT_E0_NS1_11comp_targetILNS1_3genE0ELNS1_11target_archE4294967295ELNS1_3gpuE0ELNS1_3repE0EEENS1_60segmented_radix_sort_warp_sort_medium_config_static_selectorELNS0_4arch9wavefront6targetE0EEEvSK_: ; @_ZN7rocprim17ROCPRIM_400000_NS6detail17trampoline_kernelINS0_14default_configENS1_36segmented_radix_sort_config_selectorIdlEEZNS1_25segmented_radix_sort_implIS3_Lb0EPKdPdPKlPlN2at6native12_GLOBAL__N_18offset_tEEE10hipError_tPvRmT1_PNSt15iterator_traitsISK_E10value_typeET2_T3_PNSL_ISQ_E10value_typeET4_jRbjT5_SW_jjP12ihipStream_tbEUlT_E0_NS1_11comp_targetILNS1_3genE0ELNS1_11target_archE4294967295ELNS1_3gpuE0ELNS1_3repE0EEENS1_60segmented_radix_sort_warp_sort_medium_config_static_selectorELNS0_4arch9wavefront6targetE0EEEvSK_
; %bb.0:
	.section	.rodata,"a",@progbits
	.p2align	6, 0x0
	.amdhsa_kernel _ZN7rocprim17ROCPRIM_400000_NS6detail17trampoline_kernelINS0_14default_configENS1_36segmented_radix_sort_config_selectorIdlEEZNS1_25segmented_radix_sort_implIS3_Lb0EPKdPdPKlPlN2at6native12_GLOBAL__N_18offset_tEEE10hipError_tPvRmT1_PNSt15iterator_traitsISK_E10value_typeET2_T3_PNSL_ISQ_E10value_typeET4_jRbjT5_SW_jjP12ihipStream_tbEUlT_E0_NS1_11comp_targetILNS1_3genE0ELNS1_11target_archE4294967295ELNS1_3gpuE0ELNS1_3repE0EEENS1_60segmented_radix_sort_warp_sort_medium_config_static_selectorELNS0_4arch9wavefront6targetE0EEEvSK_
		.amdhsa_group_segment_fixed_size 0
		.amdhsa_private_segment_fixed_size 0
		.amdhsa_kernarg_size 88
		.amdhsa_user_sgpr_count 6
		.amdhsa_user_sgpr_private_segment_buffer 1
		.amdhsa_user_sgpr_dispatch_ptr 0
		.amdhsa_user_sgpr_queue_ptr 0
		.amdhsa_user_sgpr_kernarg_segment_ptr 1
		.amdhsa_user_sgpr_dispatch_id 0
		.amdhsa_user_sgpr_flat_scratch_init 0
		.amdhsa_user_sgpr_private_segment_size 0
		.amdhsa_wavefront_size32 1
		.amdhsa_uses_dynamic_stack 0
		.amdhsa_system_sgpr_private_segment_wavefront_offset 0
		.amdhsa_system_sgpr_workgroup_id_x 1
		.amdhsa_system_sgpr_workgroup_id_y 0
		.amdhsa_system_sgpr_workgroup_id_z 0
		.amdhsa_system_sgpr_workgroup_info 0
		.amdhsa_system_vgpr_workitem_id 0
		.amdhsa_next_free_vgpr 1
		.amdhsa_next_free_sgpr 1
		.amdhsa_reserve_vcc 0
		.amdhsa_reserve_flat_scratch 0
		.amdhsa_float_round_mode_32 0
		.amdhsa_float_round_mode_16_64 0
		.amdhsa_float_denorm_mode_32 3
		.amdhsa_float_denorm_mode_16_64 3
		.amdhsa_dx10_clamp 1
		.amdhsa_ieee_mode 1
		.amdhsa_fp16_overflow 0
		.amdhsa_workgroup_processor_mode 1
		.amdhsa_memory_ordered 1
		.amdhsa_forward_progress 1
		.amdhsa_shared_vgpr_count 0
		.amdhsa_exception_fp_ieee_invalid_op 0
		.amdhsa_exception_fp_denorm_src 0
		.amdhsa_exception_fp_ieee_div_zero 0
		.amdhsa_exception_fp_ieee_overflow 0
		.amdhsa_exception_fp_ieee_underflow 0
		.amdhsa_exception_fp_ieee_inexact 0
		.amdhsa_exception_int_div_zero 0
	.end_amdhsa_kernel
	.section	.text._ZN7rocprim17ROCPRIM_400000_NS6detail17trampoline_kernelINS0_14default_configENS1_36segmented_radix_sort_config_selectorIdlEEZNS1_25segmented_radix_sort_implIS3_Lb0EPKdPdPKlPlN2at6native12_GLOBAL__N_18offset_tEEE10hipError_tPvRmT1_PNSt15iterator_traitsISK_E10value_typeET2_T3_PNSL_ISQ_E10value_typeET4_jRbjT5_SW_jjP12ihipStream_tbEUlT_E0_NS1_11comp_targetILNS1_3genE0ELNS1_11target_archE4294967295ELNS1_3gpuE0ELNS1_3repE0EEENS1_60segmented_radix_sort_warp_sort_medium_config_static_selectorELNS0_4arch9wavefront6targetE0EEEvSK_,"axG",@progbits,_ZN7rocprim17ROCPRIM_400000_NS6detail17trampoline_kernelINS0_14default_configENS1_36segmented_radix_sort_config_selectorIdlEEZNS1_25segmented_radix_sort_implIS3_Lb0EPKdPdPKlPlN2at6native12_GLOBAL__N_18offset_tEEE10hipError_tPvRmT1_PNSt15iterator_traitsISK_E10value_typeET2_T3_PNSL_ISQ_E10value_typeET4_jRbjT5_SW_jjP12ihipStream_tbEUlT_E0_NS1_11comp_targetILNS1_3genE0ELNS1_11target_archE4294967295ELNS1_3gpuE0ELNS1_3repE0EEENS1_60segmented_radix_sort_warp_sort_medium_config_static_selectorELNS0_4arch9wavefront6targetE0EEEvSK_,comdat
.Lfunc_end1223:
	.size	_ZN7rocprim17ROCPRIM_400000_NS6detail17trampoline_kernelINS0_14default_configENS1_36segmented_radix_sort_config_selectorIdlEEZNS1_25segmented_radix_sort_implIS3_Lb0EPKdPdPKlPlN2at6native12_GLOBAL__N_18offset_tEEE10hipError_tPvRmT1_PNSt15iterator_traitsISK_E10value_typeET2_T3_PNSL_ISQ_E10value_typeET4_jRbjT5_SW_jjP12ihipStream_tbEUlT_E0_NS1_11comp_targetILNS1_3genE0ELNS1_11target_archE4294967295ELNS1_3gpuE0ELNS1_3repE0EEENS1_60segmented_radix_sort_warp_sort_medium_config_static_selectorELNS0_4arch9wavefront6targetE0EEEvSK_, .Lfunc_end1223-_ZN7rocprim17ROCPRIM_400000_NS6detail17trampoline_kernelINS0_14default_configENS1_36segmented_radix_sort_config_selectorIdlEEZNS1_25segmented_radix_sort_implIS3_Lb0EPKdPdPKlPlN2at6native12_GLOBAL__N_18offset_tEEE10hipError_tPvRmT1_PNSt15iterator_traitsISK_E10value_typeET2_T3_PNSL_ISQ_E10value_typeET4_jRbjT5_SW_jjP12ihipStream_tbEUlT_E0_NS1_11comp_targetILNS1_3genE0ELNS1_11target_archE4294967295ELNS1_3gpuE0ELNS1_3repE0EEENS1_60segmented_radix_sort_warp_sort_medium_config_static_selectorELNS0_4arch9wavefront6targetE0EEEvSK_
                                        ; -- End function
	.set _ZN7rocprim17ROCPRIM_400000_NS6detail17trampoline_kernelINS0_14default_configENS1_36segmented_radix_sort_config_selectorIdlEEZNS1_25segmented_radix_sort_implIS3_Lb0EPKdPdPKlPlN2at6native12_GLOBAL__N_18offset_tEEE10hipError_tPvRmT1_PNSt15iterator_traitsISK_E10value_typeET2_T3_PNSL_ISQ_E10value_typeET4_jRbjT5_SW_jjP12ihipStream_tbEUlT_E0_NS1_11comp_targetILNS1_3genE0ELNS1_11target_archE4294967295ELNS1_3gpuE0ELNS1_3repE0EEENS1_60segmented_radix_sort_warp_sort_medium_config_static_selectorELNS0_4arch9wavefront6targetE0EEEvSK_.num_vgpr, 0
	.set _ZN7rocprim17ROCPRIM_400000_NS6detail17trampoline_kernelINS0_14default_configENS1_36segmented_radix_sort_config_selectorIdlEEZNS1_25segmented_radix_sort_implIS3_Lb0EPKdPdPKlPlN2at6native12_GLOBAL__N_18offset_tEEE10hipError_tPvRmT1_PNSt15iterator_traitsISK_E10value_typeET2_T3_PNSL_ISQ_E10value_typeET4_jRbjT5_SW_jjP12ihipStream_tbEUlT_E0_NS1_11comp_targetILNS1_3genE0ELNS1_11target_archE4294967295ELNS1_3gpuE0ELNS1_3repE0EEENS1_60segmented_radix_sort_warp_sort_medium_config_static_selectorELNS0_4arch9wavefront6targetE0EEEvSK_.num_agpr, 0
	.set _ZN7rocprim17ROCPRIM_400000_NS6detail17trampoline_kernelINS0_14default_configENS1_36segmented_radix_sort_config_selectorIdlEEZNS1_25segmented_radix_sort_implIS3_Lb0EPKdPdPKlPlN2at6native12_GLOBAL__N_18offset_tEEE10hipError_tPvRmT1_PNSt15iterator_traitsISK_E10value_typeET2_T3_PNSL_ISQ_E10value_typeET4_jRbjT5_SW_jjP12ihipStream_tbEUlT_E0_NS1_11comp_targetILNS1_3genE0ELNS1_11target_archE4294967295ELNS1_3gpuE0ELNS1_3repE0EEENS1_60segmented_radix_sort_warp_sort_medium_config_static_selectorELNS0_4arch9wavefront6targetE0EEEvSK_.numbered_sgpr, 0
	.set _ZN7rocprim17ROCPRIM_400000_NS6detail17trampoline_kernelINS0_14default_configENS1_36segmented_radix_sort_config_selectorIdlEEZNS1_25segmented_radix_sort_implIS3_Lb0EPKdPdPKlPlN2at6native12_GLOBAL__N_18offset_tEEE10hipError_tPvRmT1_PNSt15iterator_traitsISK_E10value_typeET2_T3_PNSL_ISQ_E10value_typeET4_jRbjT5_SW_jjP12ihipStream_tbEUlT_E0_NS1_11comp_targetILNS1_3genE0ELNS1_11target_archE4294967295ELNS1_3gpuE0ELNS1_3repE0EEENS1_60segmented_radix_sort_warp_sort_medium_config_static_selectorELNS0_4arch9wavefront6targetE0EEEvSK_.num_named_barrier, 0
	.set _ZN7rocprim17ROCPRIM_400000_NS6detail17trampoline_kernelINS0_14default_configENS1_36segmented_radix_sort_config_selectorIdlEEZNS1_25segmented_radix_sort_implIS3_Lb0EPKdPdPKlPlN2at6native12_GLOBAL__N_18offset_tEEE10hipError_tPvRmT1_PNSt15iterator_traitsISK_E10value_typeET2_T3_PNSL_ISQ_E10value_typeET4_jRbjT5_SW_jjP12ihipStream_tbEUlT_E0_NS1_11comp_targetILNS1_3genE0ELNS1_11target_archE4294967295ELNS1_3gpuE0ELNS1_3repE0EEENS1_60segmented_radix_sort_warp_sort_medium_config_static_selectorELNS0_4arch9wavefront6targetE0EEEvSK_.private_seg_size, 0
	.set _ZN7rocprim17ROCPRIM_400000_NS6detail17trampoline_kernelINS0_14default_configENS1_36segmented_radix_sort_config_selectorIdlEEZNS1_25segmented_radix_sort_implIS3_Lb0EPKdPdPKlPlN2at6native12_GLOBAL__N_18offset_tEEE10hipError_tPvRmT1_PNSt15iterator_traitsISK_E10value_typeET2_T3_PNSL_ISQ_E10value_typeET4_jRbjT5_SW_jjP12ihipStream_tbEUlT_E0_NS1_11comp_targetILNS1_3genE0ELNS1_11target_archE4294967295ELNS1_3gpuE0ELNS1_3repE0EEENS1_60segmented_radix_sort_warp_sort_medium_config_static_selectorELNS0_4arch9wavefront6targetE0EEEvSK_.uses_vcc, 0
	.set _ZN7rocprim17ROCPRIM_400000_NS6detail17trampoline_kernelINS0_14default_configENS1_36segmented_radix_sort_config_selectorIdlEEZNS1_25segmented_radix_sort_implIS3_Lb0EPKdPdPKlPlN2at6native12_GLOBAL__N_18offset_tEEE10hipError_tPvRmT1_PNSt15iterator_traitsISK_E10value_typeET2_T3_PNSL_ISQ_E10value_typeET4_jRbjT5_SW_jjP12ihipStream_tbEUlT_E0_NS1_11comp_targetILNS1_3genE0ELNS1_11target_archE4294967295ELNS1_3gpuE0ELNS1_3repE0EEENS1_60segmented_radix_sort_warp_sort_medium_config_static_selectorELNS0_4arch9wavefront6targetE0EEEvSK_.uses_flat_scratch, 0
	.set _ZN7rocprim17ROCPRIM_400000_NS6detail17trampoline_kernelINS0_14default_configENS1_36segmented_radix_sort_config_selectorIdlEEZNS1_25segmented_radix_sort_implIS3_Lb0EPKdPdPKlPlN2at6native12_GLOBAL__N_18offset_tEEE10hipError_tPvRmT1_PNSt15iterator_traitsISK_E10value_typeET2_T3_PNSL_ISQ_E10value_typeET4_jRbjT5_SW_jjP12ihipStream_tbEUlT_E0_NS1_11comp_targetILNS1_3genE0ELNS1_11target_archE4294967295ELNS1_3gpuE0ELNS1_3repE0EEENS1_60segmented_radix_sort_warp_sort_medium_config_static_selectorELNS0_4arch9wavefront6targetE0EEEvSK_.has_dyn_sized_stack, 0
	.set _ZN7rocprim17ROCPRIM_400000_NS6detail17trampoline_kernelINS0_14default_configENS1_36segmented_radix_sort_config_selectorIdlEEZNS1_25segmented_radix_sort_implIS3_Lb0EPKdPdPKlPlN2at6native12_GLOBAL__N_18offset_tEEE10hipError_tPvRmT1_PNSt15iterator_traitsISK_E10value_typeET2_T3_PNSL_ISQ_E10value_typeET4_jRbjT5_SW_jjP12ihipStream_tbEUlT_E0_NS1_11comp_targetILNS1_3genE0ELNS1_11target_archE4294967295ELNS1_3gpuE0ELNS1_3repE0EEENS1_60segmented_radix_sort_warp_sort_medium_config_static_selectorELNS0_4arch9wavefront6targetE0EEEvSK_.has_recursion, 0
	.set _ZN7rocprim17ROCPRIM_400000_NS6detail17trampoline_kernelINS0_14default_configENS1_36segmented_radix_sort_config_selectorIdlEEZNS1_25segmented_radix_sort_implIS3_Lb0EPKdPdPKlPlN2at6native12_GLOBAL__N_18offset_tEEE10hipError_tPvRmT1_PNSt15iterator_traitsISK_E10value_typeET2_T3_PNSL_ISQ_E10value_typeET4_jRbjT5_SW_jjP12ihipStream_tbEUlT_E0_NS1_11comp_targetILNS1_3genE0ELNS1_11target_archE4294967295ELNS1_3gpuE0ELNS1_3repE0EEENS1_60segmented_radix_sort_warp_sort_medium_config_static_selectorELNS0_4arch9wavefront6targetE0EEEvSK_.has_indirect_call, 0
	.section	.AMDGPU.csdata,"",@progbits
; Kernel info:
; codeLenInByte = 0
; TotalNumSgprs: 0
; NumVgprs: 0
; ScratchSize: 0
; MemoryBound: 0
; FloatMode: 240
; IeeeMode: 1
; LDSByteSize: 0 bytes/workgroup (compile time only)
; SGPRBlocks: 0
; VGPRBlocks: 0
; NumSGPRsForWavesPerEU: 1
; NumVGPRsForWavesPerEU: 1
; Occupancy: 16
; WaveLimiterHint : 0
; COMPUTE_PGM_RSRC2:SCRATCH_EN: 0
; COMPUTE_PGM_RSRC2:USER_SGPR: 6
; COMPUTE_PGM_RSRC2:TRAP_HANDLER: 0
; COMPUTE_PGM_RSRC2:TGID_X_EN: 1
; COMPUTE_PGM_RSRC2:TGID_Y_EN: 0
; COMPUTE_PGM_RSRC2:TGID_Z_EN: 0
; COMPUTE_PGM_RSRC2:TIDIG_COMP_CNT: 0
	.section	.text._ZN7rocprim17ROCPRIM_400000_NS6detail17trampoline_kernelINS0_14default_configENS1_36segmented_radix_sort_config_selectorIdlEEZNS1_25segmented_radix_sort_implIS3_Lb0EPKdPdPKlPlN2at6native12_GLOBAL__N_18offset_tEEE10hipError_tPvRmT1_PNSt15iterator_traitsISK_E10value_typeET2_T3_PNSL_ISQ_E10value_typeET4_jRbjT5_SW_jjP12ihipStream_tbEUlT_E0_NS1_11comp_targetILNS1_3genE5ELNS1_11target_archE942ELNS1_3gpuE9ELNS1_3repE0EEENS1_60segmented_radix_sort_warp_sort_medium_config_static_selectorELNS0_4arch9wavefront6targetE0EEEvSK_,"axG",@progbits,_ZN7rocprim17ROCPRIM_400000_NS6detail17trampoline_kernelINS0_14default_configENS1_36segmented_radix_sort_config_selectorIdlEEZNS1_25segmented_radix_sort_implIS3_Lb0EPKdPdPKlPlN2at6native12_GLOBAL__N_18offset_tEEE10hipError_tPvRmT1_PNSt15iterator_traitsISK_E10value_typeET2_T3_PNSL_ISQ_E10value_typeET4_jRbjT5_SW_jjP12ihipStream_tbEUlT_E0_NS1_11comp_targetILNS1_3genE5ELNS1_11target_archE942ELNS1_3gpuE9ELNS1_3repE0EEENS1_60segmented_radix_sort_warp_sort_medium_config_static_selectorELNS0_4arch9wavefront6targetE0EEEvSK_,comdat
	.globl	_ZN7rocprim17ROCPRIM_400000_NS6detail17trampoline_kernelINS0_14default_configENS1_36segmented_radix_sort_config_selectorIdlEEZNS1_25segmented_radix_sort_implIS3_Lb0EPKdPdPKlPlN2at6native12_GLOBAL__N_18offset_tEEE10hipError_tPvRmT1_PNSt15iterator_traitsISK_E10value_typeET2_T3_PNSL_ISQ_E10value_typeET4_jRbjT5_SW_jjP12ihipStream_tbEUlT_E0_NS1_11comp_targetILNS1_3genE5ELNS1_11target_archE942ELNS1_3gpuE9ELNS1_3repE0EEENS1_60segmented_radix_sort_warp_sort_medium_config_static_selectorELNS0_4arch9wavefront6targetE0EEEvSK_ ; -- Begin function _ZN7rocprim17ROCPRIM_400000_NS6detail17trampoline_kernelINS0_14default_configENS1_36segmented_radix_sort_config_selectorIdlEEZNS1_25segmented_radix_sort_implIS3_Lb0EPKdPdPKlPlN2at6native12_GLOBAL__N_18offset_tEEE10hipError_tPvRmT1_PNSt15iterator_traitsISK_E10value_typeET2_T3_PNSL_ISQ_E10value_typeET4_jRbjT5_SW_jjP12ihipStream_tbEUlT_E0_NS1_11comp_targetILNS1_3genE5ELNS1_11target_archE942ELNS1_3gpuE9ELNS1_3repE0EEENS1_60segmented_radix_sort_warp_sort_medium_config_static_selectorELNS0_4arch9wavefront6targetE0EEEvSK_
	.p2align	8
	.type	_ZN7rocprim17ROCPRIM_400000_NS6detail17trampoline_kernelINS0_14default_configENS1_36segmented_radix_sort_config_selectorIdlEEZNS1_25segmented_radix_sort_implIS3_Lb0EPKdPdPKlPlN2at6native12_GLOBAL__N_18offset_tEEE10hipError_tPvRmT1_PNSt15iterator_traitsISK_E10value_typeET2_T3_PNSL_ISQ_E10value_typeET4_jRbjT5_SW_jjP12ihipStream_tbEUlT_E0_NS1_11comp_targetILNS1_3genE5ELNS1_11target_archE942ELNS1_3gpuE9ELNS1_3repE0EEENS1_60segmented_radix_sort_warp_sort_medium_config_static_selectorELNS0_4arch9wavefront6targetE0EEEvSK_,@function
_ZN7rocprim17ROCPRIM_400000_NS6detail17trampoline_kernelINS0_14default_configENS1_36segmented_radix_sort_config_selectorIdlEEZNS1_25segmented_radix_sort_implIS3_Lb0EPKdPdPKlPlN2at6native12_GLOBAL__N_18offset_tEEE10hipError_tPvRmT1_PNSt15iterator_traitsISK_E10value_typeET2_T3_PNSL_ISQ_E10value_typeET4_jRbjT5_SW_jjP12ihipStream_tbEUlT_E0_NS1_11comp_targetILNS1_3genE5ELNS1_11target_archE942ELNS1_3gpuE9ELNS1_3repE0EEENS1_60segmented_radix_sort_warp_sort_medium_config_static_selectorELNS0_4arch9wavefront6targetE0EEEvSK_: ; @_ZN7rocprim17ROCPRIM_400000_NS6detail17trampoline_kernelINS0_14default_configENS1_36segmented_radix_sort_config_selectorIdlEEZNS1_25segmented_radix_sort_implIS3_Lb0EPKdPdPKlPlN2at6native12_GLOBAL__N_18offset_tEEE10hipError_tPvRmT1_PNSt15iterator_traitsISK_E10value_typeET2_T3_PNSL_ISQ_E10value_typeET4_jRbjT5_SW_jjP12ihipStream_tbEUlT_E0_NS1_11comp_targetILNS1_3genE5ELNS1_11target_archE942ELNS1_3gpuE9ELNS1_3repE0EEENS1_60segmented_radix_sort_warp_sort_medium_config_static_selectorELNS0_4arch9wavefront6targetE0EEEvSK_
; %bb.0:
	.section	.rodata,"a",@progbits
	.p2align	6, 0x0
	.amdhsa_kernel _ZN7rocprim17ROCPRIM_400000_NS6detail17trampoline_kernelINS0_14default_configENS1_36segmented_radix_sort_config_selectorIdlEEZNS1_25segmented_radix_sort_implIS3_Lb0EPKdPdPKlPlN2at6native12_GLOBAL__N_18offset_tEEE10hipError_tPvRmT1_PNSt15iterator_traitsISK_E10value_typeET2_T3_PNSL_ISQ_E10value_typeET4_jRbjT5_SW_jjP12ihipStream_tbEUlT_E0_NS1_11comp_targetILNS1_3genE5ELNS1_11target_archE942ELNS1_3gpuE9ELNS1_3repE0EEENS1_60segmented_radix_sort_warp_sort_medium_config_static_selectorELNS0_4arch9wavefront6targetE0EEEvSK_
		.amdhsa_group_segment_fixed_size 0
		.amdhsa_private_segment_fixed_size 0
		.amdhsa_kernarg_size 88
		.amdhsa_user_sgpr_count 6
		.amdhsa_user_sgpr_private_segment_buffer 1
		.amdhsa_user_sgpr_dispatch_ptr 0
		.amdhsa_user_sgpr_queue_ptr 0
		.amdhsa_user_sgpr_kernarg_segment_ptr 1
		.amdhsa_user_sgpr_dispatch_id 0
		.amdhsa_user_sgpr_flat_scratch_init 0
		.amdhsa_user_sgpr_private_segment_size 0
		.amdhsa_wavefront_size32 1
		.amdhsa_uses_dynamic_stack 0
		.amdhsa_system_sgpr_private_segment_wavefront_offset 0
		.amdhsa_system_sgpr_workgroup_id_x 1
		.amdhsa_system_sgpr_workgroup_id_y 0
		.amdhsa_system_sgpr_workgroup_id_z 0
		.amdhsa_system_sgpr_workgroup_info 0
		.amdhsa_system_vgpr_workitem_id 0
		.amdhsa_next_free_vgpr 1
		.amdhsa_next_free_sgpr 1
		.amdhsa_reserve_vcc 0
		.amdhsa_reserve_flat_scratch 0
		.amdhsa_float_round_mode_32 0
		.amdhsa_float_round_mode_16_64 0
		.amdhsa_float_denorm_mode_32 3
		.amdhsa_float_denorm_mode_16_64 3
		.amdhsa_dx10_clamp 1
		.amdhsa_ieee_mode 1
		.amdhsa_fp16_overflow 0
		.amdhsa_workgroup_processor_mode 1
		.amdhsa_memory_ordered 1
		.amdhsa_forward_progress 1
		.amdhsa_shared_vgpr_count 0
		.amdhsa_exception_fp_ieee_invalid_op 0
		.amdhsa_exception_fp_denorm_src 0
		.amdhsa_exception_fp_ieee_div_zero 0
		.amdhsa_exception_fp_ieee_overflow 0
		.amdhsa_exception_fp_ieee_underflow 0
		.amdhsa_exception_fp_ieee_inexact 0
		.amdhsa_exception_int_div_zero 0
	.end_amdhsa_kernel
	.section	.text._ZN7rocprim17ROCPRIM_400000_NS6detail17trampoline_kernelINS0_14default_configENS1_36segmented_radix_sort_config_selectorIdlEEZNS1_25segmented_radix_sort_implIS3_Lb0EPKdPdPKlPlN2at6native12_GLOBAL__N_18offset_tEEE10hipError_tPvRmT1_PNSt15iterator_traitsISK_E10value_typeET2_T3_PNSL_ISQ_E10value_typeET4_jRbjT5_SW_jjP12ihipStream_tbEUlT_E0_NS1_11comp_targetILNS1_3genE5ELNS1_11target_archE942ELNS1_3gpuE9ELNS1_3repE0EEENS1_60segmented_radix_sort_warp_sort_medium_config_static_selectorELNS0_4arch9wavefront6targetE0EEEvSK_,"axG",@progbits,_ZN7rocprim17ROCPRIM_400000_NS6detail17trampoline_kernelINS0_14default_configENS1_36segmented_radix_sort_config_selectorIdlEEZNS1_25segmented_radix_sort_implIS3_Lb0EPKdPdPKlPlN2at6native12_GLOBAL__N_18offset_tEEE10hipError_tPvRmT1_PNSt15iterator_traitsISK_E10value_typeET2_T3_PNSL_ISQ_E10value_typeET4_jRbjT5_SW_jjP12ihipStream_tbEUlT_E0_NS1_11comp_targetILNS1_3genE5ELNS1_11target_archE942ELNS1_3gpuE9ELNS1_3repE0EEENS1_60segmented_radix_sort_warp_sort_medium_config_static_selectorELNS0_4arch9wavefront6targetE0EEEvSK_,comdat
.Lfunc_end1224:
	.size	_ZN7rocprim17ROCPRIM_400000_NS6detail17trampoline_kernelINS0_14default_configENS1_36segmented_radix_sort_config_selectorIdlEEZNS1_25segmented_radix_sort_implIS3_Lb0EPKdPdPKlPlN2at6native12_GLOBAL__N_18offset_tEEE10hipError_tPvRmT1_PNSt15iterator_traitsISK_E10value_typeET2_T3_PNSL_ISQ_E10value_typeET4_jRbjT5_SW_jjP12ihipStream_tbEUlT_E0_NS1_11comp_targetILNS1_3genE5ELNS1_11target_archE942ELNS1_3gpuE9ELNS1_3repE0EEENS1_60segmented_radix_sort_warp_sort_medium_config_static_selectorELNS0_4arch9wavefront6targetE0EEEvSK_, .Lfunc_end1224-_ZN7rocprim17ROCPRIM_400000_NS6detail17trampoline_kernelINS0_14default_configENS1_36segmented_radix_sort_config_selectorIdlEEZNS1_25segmented_radix_sort_implIS3_Lb0EPKdPdPKlPlN2at6native12_GLOBAL__N_18offset_tEEE10hipError_tPvRmT1_PNSt15iterator_traitsISK_E10value_typeET2_T3_PNSL_ISQ_E10value_typeET4_jRbjT5_SW_jjP12ihipStream_tbEUlT_E0_NS1_11comp_targetILNS1_3genE5ELNS1_11target_archE942ELNS1_3gpuE9ELNS1_3repE0EEENS1_60segmented_radix_sort_warp_sort_medium_config_static_selectorELNS0_4arch9wavefront6targetE0EEEvSK_
                                        ; -- End function
	.set _ZN7rocprim17ROCPRIM_400000_NS6detail17trampoline_kernelINS0_14default_configENS1_36segmented_radix_sort_config_selectorIdlEEZNS1_25segmented_radix_sort_implIS3_Lb0EPKdPdPKlPlN2at6native12_GLOBAL__N_18offset_tEEE10hipError_tPvRmT1_PNSt15iterator_traitsISK_E10value_typeET2_T3_PNSL_ISQ_E10value_typeET4_jRbjT5_SW_jjP12ihipStream_tbEUlT_E0_NS1_11comp_targetILNS1_3genE5ELNS1_11target_archE942ELNS1_3gpuE9ELNS1_3repE0EEENS1_60segmented_radix_sort_warp_sort_medium_config_static_selectorELNS0_4arch9wavefront6targetE0EEEvSK_.num_vgpr, 0
	.set _ZN7rocprim17ROCPRIM_400000_NS6detail17trampoline_kernelINS0_14default_configENS1_36segmented_radix_sort_config_selectorIdlEEZNS1_25segmented_radix_sort_implIS3_Lb0EPKdPdPKlPlN2at6native12_GLOBAL__N_18offset_tEEE10hipError_tPvRmT1_PNSt15iterator_traitsISK_E10value_typeET2_T3_PNSL_ISQ_E10value_typeET4_jRbjT5_SW_jjP12ihipStream_tbEUlT_E0_NS1_11comp_targetILNS1_3genE5ELNS1_11target_archE942ELNS1_3gpuE9ELNS1_3repE0EEENS1_60segmented_radix_sort_warp_sort_medium_config_static_selectorELNS0_4arch9wavefront6targetE0EEEvSK_.num_agpr, 0
	.set _ZN7rocprim17ROCPRIM_400000_NS6detail17trampoline_kernelINS0_14default_configENS1_36segmented_radix_sort_config_selectorIdlEEZNS1_25segmented_radix_sort_implIS3_Lb0EPKdPdPKlPlN2at6native12_GLOBAL__N_18offset_tEEE10hipError_tPvRmT1_PNSt15iterator_traitsISK_E10value_typeET2_T3_PNSL_ISQ_E10value_typeET4_jRbjT5_SW_jjP12ihipStream_tbEUlT_E0_NS1_11comp_targetILNS1_3genE5ELNS1_11target_archE942ELNS1_3gpuE9ELNS1_3repE0EEENS1_60segmented_radix_sort_warp_sort_medium_config_static_selectorELNS0_4arch9wavefront6targetE0EEEvSK_.numbered_sgpr, 0
	.set _ZN7rocprim17ROCPRIM_400000_NS6detail17trampoline_kernelINS0_14default_configENS1_36segmented_radix_sort_config_selectorIdlEEZNS1_25segmented_radix_sort_implIS3_Lb0EPKdPdPKlPlN2at6native12_GLOBAL__N_18offset_tEEE10hipError_tPvRmT1_PNSt15iterator_traitsISK_E10value_typeET2_T3_PNSL_ISQ_E10value_typeET4_jRbjT5_SW_jjP12ihipStream_tbEUlT_E0_NS1_11comp_targetILNS1_3genE5ELNS1_11target_archE942ELNS1_3gpuE9ELNS1_3repE0EEENS1_60segmented_radix_sort_warp_sort_medium_config_static_selectorELNS0_4arch9wavefront6targetE0EEEvSK_.num_named_barrier, 0
	.set _ZN7rocprim17ROCPRIM_400000_NS6detail17trampoline_kernelINS0_14default_configENS1_36segmented_radix_sort_config_selectorIdlEEZNS1_25segmented_radix_sort_implIS3_Lb0EPKdPdPKlPlN2at6native12_GLOBAL__N_18offset_tEEE10hipError_tPvRmT1_PNSt15iterator_traitsISK_E10value_typeET2_T3_PNSL_ISQ_E10value_typeET4_jRbjT5_SW_jjP12ihipStream_tbEUlT_E0_NS1_11comp_targetILNS1_3genE5ELNS1_11target_archE942ELNS1_3gpuE9ELNS1_3repE0EEENS1_60segmented_radix_sort_warp_sort_medium_config_static_selectorELNS0_4arch9wavefront6targetE0EEEvSK_.private_seg_size, 0
	.set _ZN7rocprim17ROCPRIM_400000_NS6detail17trampoline_kernelINS0_14default_configENS1_36segmented_radix_sort_config_selectorIdlEEZNS1_25segmented_radix_sort_implIS3_Lb0EPKdPdPKlPlN2at6native12_GLOBAL__N_18offset_tEEE10hipError_tPvRmT1_PNSt15iterator_traitsISK_E10value_typeET2_T3_PNSL_ISQ_E10value_typeET4_jRbjT5_SW_jjP12ihipStream_tbEUlT_E0_NS1_11comp_targetILNS1_3genE5ELNS1_11target_archE942ELNS1_3gpuE9ELNS1_3repE0EEENS1_60segmented_radix_sort_warp_sort_medium_config_static_selectorELNS0_4arch9wavefront6targetE0EEEvSK_.uses_vcc, 0
	.set _ZN7rocprim17ROCPRIM_400000_NS6detail17trampoline_kernelINS0_14default_configENS1_36segmented_radix_sort_config_selectorIdlEEZNS1_25segmented_radix_sort_implIS3_Lb0EPKdPdPKlPlN2at6native12_GLOBAL__N_18offset_tEEE10hipError_tPvRmT1_PNSt15iterator_traitsISK_E10value_typeET2_T3_PNSL_ISQ_E10value_typeET4_jRbjT5_SW_jjP12ihipStream_tbEUlT_E0_NS1_11comp_targetILNS1_3genE5ELNS1_11target_archE942ELNS1_3gpuE9ELNS1_3repE0EEENS1_60segmented_radix_sort_warp_sort_medium_config_static_selectorELNS0_4arch9wavefront6targetE0EEEvSK_.uses_flat_scratch, 0
	.set _ZN7rocprim17ROCPRIM_400000_NS6detail17trampoline_kernelINS0_14default_configENS1_36segmented_radix_sort_config_selectorIdlEEZNS1_25segmented_radix_sort_implIS3_Lb0EPKdPdPKlPlN2at6native12_GLOBAL__N_18offset_tEEE10hipError_tPvRmT1_PNSt15iterator_traitsISK_E10value_typeET2_T3_PNSL_ISQ_E10value_typeET4_jRbjT5_SW_jjP12ihipStream_tbEUlT_E0_NS1_11comp_targetILNS1_3genE5ELNS1_11target_archE942ELNS1_3gpuE9ELNS1_3repE0EEENS1_60segmented_radix_sort_warp_sort_medium_config_static_selectorELNS0_4arch9wavefront6targetE0EEEvSK_.has_dyn_sized_stack, 0
	.set _ZN7rocprim17ROCPRIM_400000_NS6detail17trampoline_kernelINS0_14default_configENS1_36segmented_radix_sort_config_selectorIdlEEZNS1_25segmented_radix_sort_implIS3_Lb0EPKdPdPKlPlN2at6native12_GLOBAL__N_18offset_tEEE10hipError_tPvRmT1_PNSt15iterator_traitsISK_E10value_typeET2_T3_PNSL_ISQ_E10value_typeET4_jRbjT5_SW_jjP12ihipStream_tbEUlT_E0_NS1_11comp_targetILNS1_3genE5ELNS1_11target_archE942ELNS1_3gpuE9ELNS1_3repE0EEENS1_60segmented_radix_sort_warp_sort_medium_config_static_selectorELNS0_4arch9wavefront6targetE0EEEvSK_.has_recursion, 0
	.set _ZN7rocprim17ROCPRIM_400000_NS6detail17trampoline_kernelINS0_14default_configENS1_36segmented_radix_sort_config_selectorIdlEEZNS1_25segmented_radix_sort_implIS3_Lb0EPKdPdPKlPlN2at6native12_GLOBAL__N_18offset_tEEE10hipError_tPvRmT1_PNSt15iterator_traitsISK_E10value_typeET2_T3_PNSL_ISQ_E10value_typeET4_jRbjT5_SW_jjP12ihipStream_tbEUlT_E0_NS1_11comp_targetILNS1_3genE5ELNS1_11target_archE942ELNS1_3gpuE9ELNS1_3repE0EEENS1_60segmented_radix_sort_warp_sort_medium_config_static_selectorELNS0_4arch9wavefront6targetE0EEEvSK_.has_indirect_call, 0
	.section	.AMDGPU.csdata,"",@progbits
; Kernel info:
; codeLenInByte = 0
; TotalNumSgprs: 0
; NumVgprs: 0
; ScratchSize: 0
; MemoryBound: 0
; FloatMode: 240
; IeeeMode: 1
; LDSByteSize: 0 bytes/workgroup (compile time only)
; SGPRBlocks: 0
; VGPRBlocks: 0
; NumSGPRsForWavesPerEU: 1
; NumVGPRsForWavesPerEU: 1
; Occupancy: 16
; WaveLimiterHint : 0
; COMPUTE_PGM_RSRC2:SCRATCH_EN: 0
; COMPUTE_PGM_RSRC2:USER_SGPR: 6
; COMPUTE_PGM_RSRC2:TRAP_HANDLER: 0
; COMPUTE_PGM_RSRC2:TGID_X_EN: 1
; COMPUTE_PGM_RSRC2:TGID_Y_EN: 0
; COMPUTE_PGM_RSRC2:TGID_Z_EN: 0
; COMPUTE_PGM_RSRC2:TIDIG_COMP_CNT: 0
	.section	.text._ZN7rocprim17ROCPRIM_400000_NS6detail17trampoline_kernelINS0_14default_configENS1_36segmented_radix_sort_config_selectorIdlEEZNS1_25segmented_radix_sort_implIS3_Lb0EPKdPdPKlPlN2at6native12_GLOBAL__N_18offset_tEEE10hipError_tPvRmT1_PNSt15iterator_traitsISK_E10value_typeET2_T3_PNSL_ISQ_E10value_typeET4_jRbjT5_SW_jjP12ihipStream_tbEUlT_E0_NS1_11comp_targetILNS1_3genE4ELNS1_11target_archE910ELNS1_3gpuE8ELNS1_3repE0EEENS1_60segmented_radix_sort_warp_sort_medium_config_static_selectorELNS0_4arch9wavefront6targetE0EEEvSK_,"axG",@progbits,_ZN7rocprim17ROCPRIM_400000_NS6detail17trampoline_kernelINS0_14default_configENS1_36segmented_radix_sort_config_selectorIdlEEZNS1_25segmented_radix_sort_implIS3_Lb0EPKdPdPKlPlN2at6native12_GLOBAL__N_18offset_tEEE10hipError_tPvRmT1_PNSt15iterator_traitsISK_E10value_typeET2_T3_PNSL_ISQ_E10value_typeET4_jRbjT5_SW_jjP12ihipStream_tbEUlT_E0_NS1_11comp_targetILNS1_3genE4ELNS1_11target_archE910ELNS1_3gpuE8ELNS1_3repE0EEENS1_60segmented_radix_sort_warp_sort_medium_config_static_selectorELNS0_4arch9wavefront6targetE0EEEvSK_,comdat
	.globl	_ZN7rocprim17ROCPRIM_400000_NS6detail17trampoline_kernelINS0_14default_configENS1_36segmented_radix_sort_config_selectorIdlEEZNS1_25segmented_radix_sort_implIS3_Lb0EPKdPdPKlPlN2at6native12_GLOBAL__N_18offset_tEEE10hipError_tPvRmT1_PNSt15iterator_traitsISK_E10value_typeET2_T3_PNSL_ISQ_E10value_typeET4_jRbjT5_SW_jjP12ihipStream_tbEUlT_E0_NS1_11comp_targetILNS1_3genE4ELNS1_11target_archE910ELNS1_3gpuE8ELNS1_3repE0EEENS1_60segmented_radix_sort_warp_sort_medium_config_static_selectorELNS0_4arch9wavefront6targetE0EEEvSK_ ; -- Begin function _ZN7rocprim17ROCPRIM_400000_NS6detail17trampoline_kernelINS0_14default_configENS1_36segmented_radix_sort_config_selectorIdlEEZNS1_25segmented_radix_sort_implIS3_Lb0EPKdPdPKlPlN2at6native12_GLOBAL__N_18offset_tEEE10hipError_tPvRmT1_PNSt15iterator_traitsISK_E10value_typeET2_T3_PNSL_ISQ_E10value_typeET4_jRbjT5_SW_jjP12ihipStream_tbEUlT_E0_NS1_11comp_targetILNS1_3genE4ELNS1_11target_archE910ELNS1_3gpuE8ELNS1_3repE0EEENS1_60segmented_radix_sort_warp_sort_medium_config_static_selectorELNS0_4arch9wavefront6targetE0EEEvSK_
	.p2align	8
	.type	_ZN7rocprim17ROCPRIM_400000_NS6detail17trampoline_kernelINS0_14default_configENS1_36segmented_radix_sort_config_selectorIdlEEZNS1_25segmented_radix_sort_implIS3_Lb0EPKdPdPKlPlN2at6native12_GLOBAL__N_18offset_tEEE10hipError_tPvRmT1_PNSt15iterator_traitsISK_E10value_typeET2_T3_PNSL_ISQ_E10value_typeET4_jRbjT5_SW_jjP12ihipStream_tbEUlT_E0_NS1_11comp_targetILNS1_3genE4ELNS1_11target_archE910ELNS1_3gpuE8ELNS1_3repE0EEENS1_60segmented_radix_sort_warp_sort_medium_config_static_selectorELNS0_4arch9wavefront6targetE0EEEvSK_,@function
_ZN7rocprim17ROCPRIM_400000_NS6detail17trampoline_kernelINS0_14default_configENS1_36segmented_radix_sort_config_selectorIdlEEZNS1_25segmented_radix_sort_implIS3_Lb0EPKdPdPKlPlN2at6native12_GLOBAL__N_18offset_tEEE10hipError_tPvRmT1_PNSt15iterator_traitsISK_E10value_typeET2_T3_PNSL_ISQ_E10value_typeET4_jRbjT5_SW_jjP12ihipStream_tbEUlT_E0_NS1_11comp_targetILNS1_3genE4ELNS1_11target_archE910ELNS1_3gpuE8ELNS1_3repE0EEENS1_60segmented_radix_sort_warp_sort_medium_config_static_selectorELNS0_4arch9wavefront6targetE0EEEvSK_: ; @_ZN7rocprim17ROCPRIM_400000_NS6detail17trampoline_kernelINS0_14default_configENS1_36segmented_radix_sort_config_selectorIdlEEZNS1_25segmented_radix_sort_implIS3_Lb0EPKdPdPKlPlN2at6native12_GLOBAL__N_18offset_tEEE10hipError_tPvRmT1_PNSt15iterator_traitsISK_E10value_typeET2_T3_PNSL_ISQ_E10value_typeET4_jRbjT5_SW_jjP12ihipStream_tbEUlT_E0_NS1_11comp_targetILNS1_3genE4ELNS1_11target_archE910ELNS1_3gpuE8ELNS1_3repE0EEENS1_60segmented_radix_sort_warp_sort_medium_config_static_selectorELNS0_4arch9wavefront6targetE0EEEvSK_
; %bb.0:
	.section	.rodata,"a",@progbits
	.p2align	6, 0x0
	.amdhsa_kernel _ZN7rocprim17ROCPRIM_400000_NS6detail17trampoline_kernelINS0_14default_configENS1_36segmented_radix_sort_config_selectorIdlEEZNS1_25segmented_radix_sort_implIS3_Lb0EPKdPdPKlPlN2at6native12_GLOBAL__N_18offset_tEEE10hipError_tPvRmT1_PNSt15iterator_traitsISK_E10value_typeET2_T3_PNSL_ISQ_E10value_typeET4_jRbjT5_SW_jjP12ihipStream_tbEUlT_E0_NS1_11comp_targetILNS1_3genE4ELNS1_11target_archE910ELNS1_3gpuE8ELNS1_3repE0EEENS1_60segmented_radix_sort_warp_sort_medium_config_static_selectorELNS0_4arch9wavefront6targetE0EEEvSK_
		.amdhsa_group_segment_fixed_size 0
		.amdhsa_private_segment_fixed_size 0
		.amdhsa_kernarg_size 88
		.amdhsa_user_sgpr_count 6
		.amdhsa_user_sgpr_private_segment_buffer 1
		.amdhsa_user_sgpr_dispatch_ptr 0
		.amdhsa_user_sgpr_queue_ptr 0
		.amdhsa_user_sgpr_kernarg_segment_ptr 1
		.amdhsa_user_sgpr_dispatch_id 0
		.amdhsa_user_sgpr_flat_scratch_init 0
		.amdhsa_user_sgpr_private_segment_size 0
		.amdhsa_wavefront_size32 1
		.amdhsa_uses_dynamic_stack 0
		.amdhsa_system_sgpr_private_segment_wavefront_offset 0
		.amdhsa_system_sgpr_workgroup_id_x 1
		.amdhsa_system_sgpr_workgroup_id_y 0
		.amdhsa_system_sgpr_workgroup_id_z 0
		.amdhsa_system_sgpr_workgroup_info 0
		.amdhsa_system_vgpr_workitem_id 0
		.amdhsa_next_free_vgpr 1
		.amdhsa_next_free_sgpr 1
		.amdhsa_reserve_vcc 0
		.amdhsa_reserve_flat_scratch 0
		.amdhsa_float_round_mode_32 0
		.amdhsa_float_round_mode_16_64 0
		.amdhsa_float_denorm_mode_32 3
		.amdhsa_float_denorm_mode_16_64 3
		.amdhsa_dx10_clamp 1
		.amdhsa_ieee_mode 1
		.amdhsa_fp16_overflow 0
		.amdhsa_workgroup_processor_mode 1
		.amdhsa_memory_ordered 1
		.amdhsa_forward_progress 1
		.amdhsa_shared_vgpr_count 0
		.amdhsa_exception_fp_ieee_invalid_op 0
		.amdhsa_exception_fp_denorm_src 0
		.amdhsa_exception_fp_ieee_div_zero 0
		.amdhsa_exception_fp_ieee_overflow 0
		.amdhsa_exception_fp_ieee_underflow 0
		.amdhsa_exception_fp_ieee_inexact 0
		.amdhsa_exception_int_div_zero 0
	.end_amdhsa_kernel
	.section	.text._ZN7rocprim17ROCPRIM_400000_NS6detail17trampoline_kernelINS0_14default_configENS1_36segmented_radix_sort_config_selectorIdlEEZNS1_25segmented_radix_sort_implIS3_Lb0EPKdPdPKlPlN2at6native12_GLOBAL__N_18offset_tEEE10hipError_tPvRmT1_PNSt15iterator_traitsISK_E10value_typeET2_T3_PNSL_ISQ_E10value_typeET4_jRbjT5_SW_jjP12ihipStream_tbEUlT_E0_NS1_11comp_targetILNS1_3genE4ELNS1_11target_archE910ELNS1_3gpuE8ELNS1_3repE0EEENS1_60segmented_radix_sort_warp_sort_medium_config_static_selectorELNS0_4arch9wavefront6targetE0EEEvSK_,"axG",@progbits,_ZN7rocprim17ROCPRIM_400000_NS6detail17trampoline_kernelINS0_14default_configENS1_36segmented_radix_sort_config_selectorIdlEEZNS1_25segmented_radix_sort_implIS3_Lb0EPKdPdPKlPlN2at6native12_GLOBAL__N_18offset_tEEE10hipError_tPvRmT1_PNSt15iterator_traitsISK_E10value_typeET2_T3_PNSL_ISQ_E10value_typeET4_jRbjT5_SW_jjP12ihipStream_tbEUlT_E0_NS1_11comp_targetILNS1_3genE4ELNS1_11target_archE910ELNS1_3gpuE8ELNS1_3repE0EEENS1_60segmented_radix_sort_warp_sort_medium_config_static_selectorELNS0_4arch9wavefront6targetE0EEEvSK_,comdat
.Lfunc_end1225:
	.size	_ZN7rocprim17ROCPRIM_400000_NS6detail17trampoline_kernelINS0_14default_configENS1_36segmented_radix_sort_config_selectorIdlEEZNS1_25segmented_radix_sort_implIS3_Lb0EPKdPdPKlPlN2at6native12_GLOBAL__N_18offset_tEEE10hipError_tPvRmT1_PNSt15iterator_traitsISK_E10value_typeET2_T3_PNSL_ISQ_E10value_typeET4_jRbjT5_SW_jjP12ihipStream_tbEUlT_E0_NS1_11comp_targetILNS1_3genE4ELNS1_11target_archE910ELNS1_3gpuE8ELNS1_3repE0EEENS1_60segmented_radix_sort_warp_sort_medium_config_static_selectorELNS0_4arch9wavefront6targetE0EEEvSK_, .Lfunc_end1225-_ZN7rocprim17ROCPRIM_400000_NS6detail17trampoline_kernelINS0_14default_configENS1_36segmented_radix_sort_config_selectorIdlEEZNS1_25segmented_radix_sort_implIS3_Lb0EPKdPdPKlPlN2at6native12_GLOBAL__N_18offset_tEEE10hipError_tPvRmT1_PNSt15iterator_traitsISK_E10value_typeET2_T3_PNSL_ISQ_E10value_typeET4_jRbjT5_SW_jjP12ihipStream_tbEUlT_E0_NS1_11comp_targetILNS1_3genE4ELNS1_11target_archE910ELNS1_3gpuE8ELNS1_3repE0EEENS1_60segmented_radix_sort_warp_sort_medium_config_static_selectorELNS0_4arch9wavefront6targetE0EEEvSK_
                                        ; -- End function
	.set _ZN7rocprim17ROCPRIM_400000_NS6detail17trampoline_kernelINS0_14default_configENS1_36segmented_radix_sort_config_selectorIdlEEZNS1_25segmented_radix_sort_implIS3_Lb0EPKdPdPKlPlN2at6native12_GLOBAL__N_18offset_tEEE10hipError_tPvRmT1_PNSt15iterator_traitsISK_E10value_typeET2_T3_PNSL_ISQ_E10value_typeET4_jRbjT5_SW_jjP12ihipStream_tbEUlT_E0_NS1_11comp_targetILNS1_3genE4ELNS1_11target_archE910ELNS1_3gpuE8ELNS1_3repE0EEENS1_60segmented_radix_sort_warp_sort_medium_config_static_selectorELNS0_4arch9wavefront6targetE0EEEvSK_.num_vgpr, 0
	.set _ZN7rocprim17ROCPRIM_400000_NS6detail17trampoline_kernelINS0_14default_configENS1_36segmented_radix_sort_config_selectorIdlEEZNS1_25segmented_radix_sort_implIS3_Lb0EPKdPdPKlPlN2at6native12_GLOBAL__N_18offset_tEEE10hipError_tPvRmT1_PNSt15iterator_traitsISK_E10value_typeET2_T3_PNSL_ISQ_E10value_typeET4_jRbjT5_SW_jjP12ihipStream_tbEUlT_E0_NS1_11comp_targetILNS1_3genE4ELNS1_11target_archE910ELNS1_3gpuE8ELNS1_3repE0EEENS1_60segmented_radix_sort_warp_sort_medium_config_static_selectorELNS0_4arch9wavefront6targetE0EEEvSK_.num_agpr, 0
	.set _ZN7rocprim17ROCPRIM_400000_NS6detail17trampoline_kernelINS0_14default_configENS1_36segmented_radix_sort_config_selectorIdlEEZNS1_25segmented_radix_sort_implIS3_Lb0EPKdPdPKlPlN2at6native12_GLOBAL__N_18offset_tEEE10hipError_tPvRmT1_PNSt15iterator_traitsISK_E10value_typeET2_T3_PNSL_ISQ_E10value_typeET4_jRbjT5_SW_jjP12ihipStream_tbEUlT_E0_NS1_11comp_targetILNS1_3genE4ELNS1_11target_archE910ELNS1_3gpuE8ELNS1_3repE0EEENS1_60segmented_radix_sort_warp_sort_medium_config_static_selectorELNS0_4arch9wavefront6targetE0EEEvSK_.numbered_sgpr, 0
	.set _ZN7rocprim17ROCPRIM_400000_NS6detail17trampoline_kernelINS0_14default_configENS1_36segmented_radix_sort_config_selectorIdlEEZNS1_25segmented_radix_sort_implIS3_Lb0EPKdPdPKlPlN2at6native12_GLOBAL__N_18offset_tEEE10hipError_tPvRmT1_PNSt15iterator_traitsISK_E10value_typeET2_T3_PNSL_ISQ_E10value_typeET4_jRbjT5_SW_jjP12ihipStream_tbEUlT_E0_NS1_11comp_targetILNS1_3genE4ELNS1_11target_archE910ELNS1_3gpuE8ELNS1_3repE0EEENS1_60segmented_radix_sort_warp_sort_medium_config_static_selectorELNS0_4arch9wavefront6targetE0EEEvSK_.num_named_barrier, 0
	.set _ZN7rocprim17ROCPRIM_400000_NS6detail17trampoline_kernelINS0_14default_configENS1_36segmented_radix_sort_config_selectorIdlEEZNS1_25segmented_radix_sort_implIS3_Lb0EPKdPdPKlPlN2at6native12_GLOBAL__N_18offset_tEEE10hipError_tPvRmT1_PNSt15iterator_traitsISK_E10value_typeET2_T3_PNSL_ISQ_E10value_typeET4_jRbjT5_SW_jjP12ihipStream_tbEUlT_E0_NS1_11comp_targetILNS1_3genE4ELNS1_11target_archE910ELNS1_3gpuE8ELNS1_3repE0EEENS1_60segmented_radix_sort_warp_sort_medium_config_static_selectorELNS0_4arch9wavefront6targetE0EEEvSK_.private_seg_size, 0
	.set _ZN7rocprim17ROCPRIM_400000_NS6detail17trampoline_kernelINS0_14default_configENS1_36segmented_radix_sort_config_selectorIdlEEZNS1_25segmented_radix_sort_implIS3_Lb0EPKdPdPKlPlN2at6native12_GLOBAL__N_18offset_tEEE10hipError_tPvRmT1_PNSt15iterator_traitsISK_E10value_typeET2_T3_PNSL_ISQ_E10value_typeET4_jRbjT5_SW_jjP12ihipStream_tbEUlT_E0_NS1_11comp_targetILNS1_3genE4ELNS1_11target_archE910ELNS1_3gpuE8ELNS1_3repE0EEENS1_60segmented_radix_sort_warp_sort_medium_config_static_selectorELNS0_4arch9wavefront6targetE0EEEvSK_.uses_vcc, 0
	.set _ZN7rocprim17ROCPRIM_400000_NS6detail17trampoline_kernelINS0_14default_configENS1_36segmented_radix_sort_config_selectorIdlEEZNS1_25segmented_radix_sort_implIS3_Lb0EPKdPdPKlPlN2at6native12_GLOBAL__N_18offset_tEEE10hipError_tPvRmT1_PNSt15iterator_traitsISK_E10value_typeET2_T3_PNSL_ISQ_E10value_typeET4_jRbjT5_SW_jjP12ihipStream_tbEUlT_E0_NS1_11comp_targetILNS1_3genE4ELNS1_11target_archE910ELNS1_3gpuE8ELNS1_3repE0EEENS1_60segmented_radix_sort_warp_sort_medium_config_static_selectorELNS0_4arch9wavefront6targetE0EEEvSK_.uses_flat_scratch, 0
	.set _ZN7rocprim17ROCPRIM_400000_NS6detail17trampoline_kernelINS0_14default_configENS1_36segmented_radix_sort_config_selectorIdlEEZNS1_25segmented_radix_sort_implIS3_Lb0EPKdPdPKlPlN2at6native12_GLOBAL__N_18offset_tEEE10hipError_tPvRmT1_PNSt15iterator_traitsISK_E10value_typeET2_T3_PNSL_ISQ_E10value_typeET4_jRbjT5_SW_jjP12ihipStream_tbEUlT_E0_NS1_11comp_targetILNS1_3genE4ELNS1_11target_archE910ELNS1_3gpuE8ELNS1_3repE0EEENS1_60segmented_radix_sort_warp_sort_medium_config_static_selectorELNS0_4arch9wavefront6targetE0EEEvSK_.has_dyn_sized_stack, 0
	.set _ZN7rocprim17ROCPRIM_400000_NS6detail17trampoline_kernelINS0_14default_configENS1_36segmented_radix_sort_config_selectorIdlEEZNS1_25segmented_radix_sort_implIS3_Lb0EPKdPdPKlPlN2at6native12_GLOBAL__N_18offset_tEEE10hipError_tPvRmT1_PNSt15iterator_traitsISK_E10value_typeET2_T3_PNSL_ISQ_E10value_typeET4_jRbjT5_SW_jjP12ihipStream_tbEUlT_E0_NS1_11comp_targetILNS1_3genE4ELNS1_11target_archE910ELNS1_3gpuE8ELNS1_3repE0EEENS1_60segmented_radix_sort_warp_sort_medium_config_static_selectorELNS0_4arch9wavefront6targetE0EEEvSK_.has_recursion, 0
	.set _ZN7rocprim17ROCPRIM_400000_NS6detail17trampoline_kernelINS0_14default_configENS1_36segmented_radix_sort_config_selectorIdlEEZNS1_25segmented_radix_sort_implIS3_Lb0EPKdPdPKlPlN2at6native12_GLOBAL__N_18offset_tEEE10hipError_tPvRmT1_PNSt15iterator_traitsISK_E10value_typeET2_T3_PNSL_ISQ_E10value_typeET4_jRbjT5_SW_jjP12ihipStream_tbEUlT_E0_NS1_11comp_targetILNS1_3genE4ELNS1_11target_archE910ELNS1_3gpuE8ELNS1_3repE0EEENS1_60segmented_radix_sort_warp_sort_medium_config_static_selectorELNS0_4arch9wavefront6targetE0EEEvSK_.has_indirect_call, 0
	.section	.AMDGPU.csdata,"",@progbits
; Kernel info:
; codeLenInByte = 0
; TotalNumSgprs: 0
; NumVgprs: 0
; ScratchSize: 0
; MemoryBound: 0
; FloatMode: 240
; IeeeMode: 1
; LDSByteSize: 0 bytes/workgroup (compile time only)
; SGPRBlocks: 0
; VGPRBlocks: 0
; NumSGPRsForWavesPerEU: 1
; NumVGPRsForWavesPerEU: 1
; Occupancy: 16
; WaveLimiterHint : 0
; COMPUTE_PGM_RSRC2:SCRATCH_EN: 0
; COMPUTE_PGM_RSRC2:USER_SGPR: 6
; COMPUTE_PGM_RSRC2:TRAP_HANDLER: 0
; COMPUTE_PGM_RSRC2:TGID_X_EN: 1
; COMPUTE_PGM_RSRC2:TGID_Y_EN: 0
; COMPUTE_PGM_RSRC2:TGID_Z_EN: 0
; COMPUTE_PGM_RSRC2:TIDIG_COMP_CNT: 0
	.section	.text._ZN7rocprim17ROCPRIM_400000_NS6detail17trampoline_kernelINS0_14default_configENS1_36segmented_radix_sort_config_selectorIdlEEZNS1_25segmented_radix_sort_implIS3_Lb0EPKdPdPKlPlN2at6native12_GLOBAL__N_18offset_tEEE10hipError_tPvRmT1_PNSt15iterator_traitsISK_E10value_typeET2_T3_PNSL_ISQ_E10value_typeET4_jRbjT5_SW_jjP12ihipStream_tbEUlT_E0_NS1_11comp_targetILNS1_3genE3ELNS1_11target_archE908ELNS1_3gpuE7ELNS1_3repE0EEENS1_60segmented_radix_sort_warp_sort_medium_config_static_selectorELNS0_4arch9wavefront6targetE0EEEvSK_,"axG",@progbits,_ZN7rocprim17ROCPRIM_400000_NS6detail17trampoline_kernelINS0_14default_configENS1_36segmented_radix_sort_config_selectorIdlEEZNS1_25segmented_radix_sort_implIS3_Lb0EPKdPdPKlPlN2at6native12_GLOBAL__N_18offset_tEEE10hipError_tPvRmT1_PNSt15iterator_traitsISK_E10value_typeET2_T3_PNSL_ISQ_E10value_typeET4_jRbjT5_SW_jjP12ihipStream_tbEUlT_E0_NS1_11comp_targetILNS1_3genE3ELNS1_11target_archE908ELNS1_3gpuE7ELNS1_3repE0EEENS1_60segmented_radix_sort_warp_sort_medium_config_static_selectorELNS0_4arch9wavefront6targetE0EEEvSK_,comdat
	.globl	_ZN7rocprim17ROCPRIM_400000_NS6detail17trampoline_kernelINS0_14default_configENS1_36segmented_radix_sort_config_selectorIdlEEZNS1_25segmented_radix_sort_implIS3_Lb0EPKdPdPKlPlN2at6native12_GLOBAL__N_18offset_tEEE10hipError_tPvRmT1_PNSt15iterator_traitsISK_E10value_typeET2_T3_PNSL_ISQ_E10value_typeET4_jRbjT5_SW_jjP12ihipStream_tbEUlT_E0_NS1_11comp_targetILNS1_3genE3ELNS1_11target_archE908ELNS1_3gpuE7ELNS1_3repE0EEENS1_60segmented_radix_sort_warp_sort_medium_config_static_selectorELNS0_4arch9wavefront6targetE0EEEvSK_ ; -- Begin function _ZN7rocprim17ROCPRIM_400000_NS6detail17trampoline_kernelINS0_14default_configENS1_36segmented_radix_sort_config_selectorIdlEEZNS1_25segmented_radix_sort_implIS3_Lb0EPKdPdPKlPlN2at6native12_GLOBAL__N_18offset_tEEE10hipError_tPvRmT1_PNSt15iterator_traitsISK_E10value_typeET2_T3_PNSL_ISQ_E10value_typeET4_jRbjT5_SW_jjP12ihipStream_tbEUlT_E0_NS1_11comp_targetILNS1_3genE3ELNS1_11target_archE908ELNS1_3gpuE7ELNS1_3repE0EEENS1_60segmented_radix_sort_warp_sort_medium_config_static_selectorELNS0_4arch9wavefront6targetE0EEEvSK_
	.p2align	8
	.type	_ZN7rocprim17ROCPRIM_400000_NS6detail17trampoline_kernelINS0_14default_configENS1_36segmented_radix_sort_config_selectorIdlEEZNS1_25segmented_radix_sort_implIS3_Lb0EPKdPdPKlPlN2at6native12_GLOBAL__N_18offset_tEEE10hipError_tPvRmT1_PNSt15iterator_traitsISK_E10value_typeET2_T3_PNSL_ISQ_E10value_typeET4_jRbjT5_SW_jjP12ihipStream_tbEUlT_E0_NS1_11comp_targetILNS1_3genE3ELNS1_11target_archE908ELNS1_3gpuE7ELNS1_3repE0EEENS1_60segmented_radix_sort_warp_sort_medium_config_static_selectorELNS0_4arch9wavefront6targetE0EEEvSK_,@function
_ZN7rocprim17ROCPRIM_400000_NS6detail17trampoline_kernelINS0_14default_configENS1_36segmented_radix_sort_config_selectorIdlEEZNS1_25segmented_radix_sort_implIS3_Lb0EPKdPdPKlPlN2at6native12_GLOBAL__N_18offset_tEEE10hipError_tPvRmT1_PNSt15iterator_traitsISK_E10value_typeET2_T3_PNSL_ISQ_E10value_typeET4_jRbjT5_SW_jjP12ihipStream_tbEUlT_E0_NS1_11comp_targetILNS1_3genE3ELNS1_11target_archE908ELNS1_3gpuE7ELNS1_3repE0EEENS1_60segmented_radix_sort_warp_sort_medium_config_static_selectorELNS0_4arch9wavefront6targetE0EEEvSK_: ; @_ZN7rocprim17ROCPRIM_400000_NS6detail17trampoline_kernelINS0_14default_configENS1_36segmented_radix_sort_config_selectorIdlEEZNS1_25segmented_radix_sort_implIS3_Lb0EPKdPdPKlPlN2at6native12_GLOBAL__N_18offset_tEEE10hipError_tPvRmT1_PNSt15iterator_traitsISK_E10value_typeET2_T3_PNSL_ISQ_E10value_typeET4_jRbjT5_SW_jjP12ihipStream_tbEUlT_E0_NS1_11comp_targetILNS1_3genE3ELNS1_11target_archE908ELNS1_3gpuE7ELNS1_3repE0EEENS1_60segmented_radix_sort_warp_sort_medium_config_static_selectorELNS0_4arch9wavefront6targetE0EEEvSK_
; %bb.0:
	.section	.rodata,"a",@progbits
	.p2align	6, 0x0
	.amdhsa_kernel _ZN7rocprim17ROCPRIM_400000_NS6detail17trampoline_kernelINS0_14default_configENS1_36segmented_radix_sort_config_selectorIdlEEZNS1_25segmented_radix_sort_implIS3_Lb0EPKdPdPKlPlN2at6native12_GLOBAL__N_18offset_tEEE10hipError_tPvRmT1_PNSt15iterator_traitsISK_E10value_typeET2_T3_PNSL_ISQ_E10value_typeET4_jRbjT5_SW_jjP12ihipStream_tbEUlT_E0_NS1_11comp_targetILNS1_3genE3ELNS1_11target_archE908ELNS1_3gpuE7ELNS1_3repE0EEENS1_60segmented_radix_sort_warp_sort_medium_config_static_selectorELNS0_4arch9wavefront6targetE0EEEvSK_
		.amdhsa_group_segment_fixed_size 0
		.amdhsa_private_segment_fixed_size 0
		.amdhsa_kernarg_size 88
		.amdhsa_user_sgpr_count 6
		.amdhsa_user_sgpr_private_segment_buffer 1
		.amdhsa_user_sgpr_dispatch_ptr 0
		.amdhsa_user_sgpr_queue_ptr 0
		.amdhsa_user_sgpr_kernarg_segment_ptr 1
		.amdhsa_user_sgpr_dispatch_id 0
		.amdhsa_user_sgpr_flat_scratch_init 0
		.amdhsa_user_sgpr_private_segment_size 0
		.amdhsa_wavefront_size32 1
		.amdhsa_uses_dynamic_stack 0
		.amdhsa_system_sgpr_private_segment_wavefront_offset 0
		.amdhsa_system_sgpr_workgroup_id_x 1
		.amdhsa_system_sgpr_workgroup_id_y 0
		.amdhsa_system_sgpr_workgroup_id_z 0
		.amdhsa_system_sgpr_workgroup_info 0
		.amdhsa_system_vgpr_workitem_id 0
		.amdhsa_next_free_vgpr 1
		.amdhsa_next_free_sgpr 1
		.amdhsa_reserve_vcc 0
		.amdhsa_reserve_flat_scratch 0
		.amdhsa_float_round_mode_32 0
		.amdhsa_float_round_mode_16_64 0
		.amdhsa_float_denorm_mode_32 3
		.amdhsa_float_denorm_mode_16_64 3
		.amdhsa_dx10_clamp 1
		.amdhsa_ieee_mode 1
		.amdhsa_fp16_overflow 0
		.amdhsa_workgroup_processor_mode 1
		.amdhsa_memory_ordered 1
		.amdhsa_forward_progress 1
		.amdhsa_shared_vgpr_count 0
		.amdhsa_exception_fp_ieee_invalid_op 0
		.amdhsa_exception_fp_denorm_src 0
		.amdhsa_exception_fp_ieee_div_zero 0
		.amdhsa_exception_fp_ieee_overflow 0
		.amdhsa_exception_fp_ieee_underflow 0
		.amdhsa_exception_fp_ieee_inexact 0
		.amdhsa_exception_int_div_zero 0
	.end_amdhsa_kernel
	.section	.text._ZN7rocprim17ROCPRIM_400000_NS6detail17trampoline_kernelINS0_14default_configENS1_36segmented_radix_sort_config_selectorIdlEEZNS1_25segmented_radix_sort_implIS3_Lb0EPKdPdPKlPlN2at6native12_GLOBAL__N_18offset_tEEE10hipError_tPvRmT1_PNSt15iterator_traitsISK_E10value_typeET2_T3_PNSL_ISQ_E10value_typeET4_jRbjT5_SW_jjP12ihipStream_tbEUlT_E0_NS1_11comp_targetILNS1_3genE3ELNS1_11target_archE908ELNS1_3gpuE7ELNS1_3repE0EEENS1_60segmented_radix_sort_warp_sort_medium_config_static_selectorELNS0_4arch9wavefront6targetE0EEEvSK_,"axG",@progbits,_ZN7rocprim17ROCPRIM_400000_NS6detail17trampoline_kernelINS0_14default_configENS1_36segmented_radix_sort_config_selectorIdlEEZNS1_25segmented_radix_sort_implIS3_Lb0EPKdPdPKlPlN2at6native12_GLOBAL__N_18offset_tEEE10hipError_tPvRmT1_PNSt15iterator_traitsISK_E10value_typeET2_T3_PNSL_ISQ_E10value_typeET4_jRbjT5_SW_jjP12ihipStream_tbEUlT_E0_NS1_11comp_targetILNS1_3genE3ELNS1_11target_archE908ELNS1_3gpuE7ELNS1_3repE0EEENS1_60segmented_radix_sort_warp_sort_medium_config_static_selectorELNS0_4arch9wavefront6targetE0EEEvSK_,comdat
.Lfunc_end1226:
	.size	_ZN7rocprim17ROCPRIM_400000_NS6detail17trampoline_kernelINS0_14default_configENS1_36segmented_radix_sort_config_selectorIdlEEZNS1_25segmented_radix_sort_implIS3_Lb0EPKdPdPKlPlN2at6native12_GLOBAL__N_18offset_tEEE10hipError_tPvRmT1_PNSt15iterator_traitsISK_E10value_typeET2_T3_PNSL_ISQ_E10value_typeET4_jRbjT5_SW_jjP12ihipStream_tbEUlT_E0_NS1_11comp_targetILNS1_3genE3ELNS1_11target_archE908ELNS1_3gpuE7ELNS1_3repE0EEENS1_60segmented_radix_sort_warp_sort_medium_config_static_selectorELNS0_4arch9wavefront6targetE0EEEvSK_, .Lfunc_end1226-_ZN7rocprim17ROCPRIM_400000_NS6detail17trampoline_kernelINS0_14default_configENS1_36segmented_radix_sort_config_selectorIdlEEZNS1_25segmented_radix_sort_implIS3_Lb0EPKdPdPKlPlN2at6native12_GLOBAL__N_18offset_tEEE10hipError_tPvRmT1_PNSt15iterator_traitsISK_E10value_typeET2_T3_PNSL_ISQ_E10value_typeET4_jRbjT5_SW_jjP12ihipStream_tbEUlT_E0_NS1_11comp_targetILNS1_3genE3ELNS1_11target_archE908ELNS1_3gpuE7ELNS1_3repE0EEENS1_60segmented_radix_sort_warp_sort_medium_config_static_selectorELNS0_4arch9wavefront6targetE0EEEvSK_
                                        ; -- End function
	.set _ZN7rocprim17ROCPRIM_400000_NS6detail17trampoline_kernelINS0_14default_configENS1_36segmented_radix_sort_config_selectorIdlEEZNS1_25segmented_radix_sort_implIS3_Lb0EPKdPdPKlPlN2at6native12_GLOBAL__N_18offset_tEEE10hipError_tPvRmT1_PNSt15iterator_traitsISK_E10value_typeET2_T3_PNSL_ISQ_E10value_typeET4_jRbjT5_SW_jjP12ihipStream_tbEUlT_E0_NS1_11comp_targetILNS1_3genE3ELNS1_11target_archE908ELNS1_3gpuE7ELNS1_3repE0EEENS1_60segmented_radix_sort_warp_sort_medium_config_static_selectorELNS0_4arch9wavefront6targetE0EEEvSK_.num_vgpr, 0
	.set _ZN7rocprim17ROCPRIM_400000_NS6detail17trampoline_kernelINS0_14default_configENS1_36segmented_radix_sort_config_selectorIdlEEZNS1_25segmented_radix_sort_implIS3_Lb0EPKdPdPKlPlN2at6native12_GLOBAL__N_18offset_tEEE10hipError_tPvRmT1_PNSt15iterator_traitsISK_E10value_typeET2_T3_PNSL_ISQ_E10value_typeET4_jRbjT5_SW_jjP12ihipStream_tbEUlT_E0_NS1_11comp_targetILNS1_3genE3ELNS1_11target_archE908ELNS1_3gpuE7ELNS1_3repE0EEENS1_60segmented_radix_sort_warp_sort_medium_config_static_selectorELNS0_4arch9wavefront6targetE0EEEvSK_.num_agpr, 0
	.set _ZN7rocprim17ROCPRIM_400000_NS6detail17trampoline_kernelINS0_14default_configENS1_36segmented_radix_sort_config_selectorIdlEEZNS1_25segmented_radix_sort_implIS3_Lb0EPKdPdPKlPlN2at6native12_GLOBAL__N_18offset_tEEE10hipError_tPvRmT1_PNSt15iterator_traitsISK_E10value_typeET2_T3_PNSL_ISQ_E10value_typeET4_jRbjT5_SW_jjP12ihipStream_tbEUlT_E0_NS1_11comp_targetILNS1_3genE3ELNS1_11target_archE908ELNS1_3gpuE7ELNS1_3repE0EEENS1_60segmented_radix_sort_warp_sort_medium_config_static_selectorELNS0_4arch9wavefront6targetE0EEEvSK_.numbered_sgpr, 0
	.set _ZN7rocprim17ROCPRIM_400000_NS6detail17trampoline_kernelINS0_14default_configENS1_36segmented_radix_sort_config_selectorIdlEEZNS1_25segmented_radix_sort_implIS3_Lb0EPKdPdPKlPlN2at6native12_GLOBAL__N_18offset_tEEE10hipError_tPvRmT1_PNSt15iterator_traitsISK_E10value_typeET2_T3_PNSL_ISQ_E10value_typeET4_jRbjT5_SW_jjP12ihipStream_tbEUlT_E0_NS1_11comp_targetILNS1_3genE3ELNS1_11target_archE908ELNS1_3gpuE7ELNS1_3repE0EEENS1_60segmented_radix_sort_warp_sort_medium_config_static_selectorELNS0_4arch9wavefront6targetE0EEEvSK_.num_named_barrier, 0
	.set _ZN7rocprim17ROCPRIM_400000_NS6detail17trampoline_kernelINS0_14default_configENS1_36segmented_radix_sort_config_selectorIdlEEZNS1_25segmented_radix_sort_implIS3_Lb0EPKdPdPKlPlN2at6native12_GLOBAL__N_18offset_tEEE10hipError_tPvRmT1_PNSt15iterator_traitsISK_E10value_typeET2_T3_PNSL_ISQ_E10value_typeET4_jRbjT5_SW_jjP12ihipStream_tbEUlT_E0_NS1_11comp_targetILNS1_3genE3ELNS1_11target_archE908ELNS1_3gpuE7ELNS1_3repE0EEENS1_60segmented_radix_sort_warp_sort_medium_config_static_selectorELNS0_4arch9wavefront6targetE0EEEvSK_.private_seg_size, 0
	.set _ZN7rocprim17ROCPRIM_400000_NS6detail17trampoline_kernelINS0_14default_configENS1_36segmented_radix_sort_config_selectorIdlEEZNS1_25segmented_radix_sort_implIS3_Lb0EPKdPdPKlPlN2at6native12_GLOBAL__N_18offset_tEEE10hipError_tPvRmT1_PNSt15iterator_traitsISK_E10value_typeET2_T3_PNSL_ISQ_E10value_typeET4_jRbjT5_SW_jjP12ihipStream_tbEUlT_E0_NS1_11comp_targetILNS1_3genE3ELNS1_11target_archE908ELNS1_3gpuE7ELNS1_3repE0EEENS1_60segmented_radix_sort_warp_sort_medium_config_static_selectorELNS0_4arch9wavefront6targetE0EEEvSK_.uses_vcc, 0
	.set _ZN7rocprim17ROCPRIM_400000_NS6detail17trampoline_kernelINS0_14default_configENS1_36segmented_radix_sort_config_selectorIdlEEZNS1_25segmented_radix_sort_implIS3_Lb0EPKdPdPKlPlN2at6native12_GLOBAL__N_18offset_tEEE10hipError_tPvRmT1_PNSt15iterator_traitsISK_E10value_typeET2_T3_PNSL_ISQ_E10value_typeET4_jRbjT5_SW_jjP12ihipStream_tbEUlT_E0_NS1_11comp_targetILNS1_3genE3ELNS1_11target_archE908ELNS1_3gpuE7ELNS1_3repE0EEENS1_60segmented_radix_sort_warp_sort_medium_config_static_selectorELNS0_4arch9wavefront6targetE0EEEvSK_.uses_flat_scratch, 0
	.set _ZN7rocprim17ROCPRIM_400000_NS6detail17trampoline_kernelINS0_14default_configENS1_36segmented_radix_sort_config_selectorIdlEEZNS1_25segmented_radix_sort_implIS3_Lb0EPKdPdPKlPlN2at6native12_GLOBAL__N_18offset_tEEE10hipError_tPvRmT1_PNSt15iterator_traitsISK_E10value_typeET2_T3_PNSL_ISQ_E10value_typeET4_jRbjT5_SW_jjP12ihipStream_tbEUlT_E0_NS1_11comp_targetILNS1_3genE3ELNS1_11target_archE908ELNS1_3gpuE7ELNS1_3repE0EEENS1_60segmented_radix_sort_warp_sort_medium_config_static_selectorELNS0_4arch9wavefront6targetE0EEEvSK_.has_dyn_sized_stack, 0
	.set _ZN7rocprim17ROCPRIM_400000_NS6detail17trampoline_kernelINS0_14default_configENS1_36segmented_radix_sort_config_selectorIdlEEZNS1_25segmented_radix_sort_implIS3_Lb0EPKdPdPKlPlN2at6native12_GLOBAL__N_18offset_tEEE10hipError_tPvRmT1_PNSt15iterator_traitsISK_E10value_typeET2_T3_PNSL_ISQ_E10value_typeET4_jRbjT5_SW_jjP12ihipStream_tbEUlT_E0_NS1_11comp_targetILNS1_3genE3ELNS1_11target_archE908ELNS1_3gpuE7ELNS1_3repE0EEENS1_60segmented_radix_sort_warp_sort_medium_config_static_selectorELNS0_4arch9wavefront6targetE0EEEvSK_.has_recursion, 0
	.set _ZN7rocprim17ROCPRIM_400000_NS6detail17trampoline_kernelINS0_14default_configENS1_36segmented_radix_sort_config_selectorIdlEEZNS1_25segmented_radix_sort_implIS3_Lb0EPKdPdPKlPlN2at6native12_GLOBAL__N_18offset_tEEE10hipError_tPvRmT1_PNSt15iterator_traitsISK_E10value_typeET2_T3_PNSL_ISQ_E10value_typeET4_jRbjT5_SW_jjP12ihipStream_tbEUlT_E0_NS1_11comp_targetILNS1_3genE3ELNS1_11target_archE908ELNS1_3gpuE7ELNS1_3repE0EEENS1_60segmented_radix_sort_warp_sort_medium_config_static_selectorELNS0_4arch9wavefront6targetE0EEEvSK_.has_indirect_call, 0
	.section	.AMDGPU.csdata,"",@progbits
; Kernel info:
; codeLenInByte = 0
; TotalNumSgprs: 0
; NumVgprs: 0
; ScratchSize: 0
; MemoryBound: 0
; FloatMode: 240
; IeeeMode: 1
; LDSByteSize: 0 bytes/workgroup (compile time only)
; SGPRBlocks: 0
; VGPRBlocks: 0
; NumSGPRsForWavesPerEU: 1
; NumVGPRsForWavesPerEU: 1
; Occupancy: 16
; WaveLimiterHint : 0
; COMPUTE_PGM_RSRC2:SCRATCH_EN: 0
; COMPUTE_PGM_RSRC2:USER_SGPR: 6
; COMPUTE_PGM_RSRC2:TRAP_HANDLER: 0
; COMPUTE_PGM_RSRC2:TGID_X_EN: 1
; COMPUTE_PGM_RSRC2:TGID_Y_EN: 0
; COMPUTE_PGM_RSRC2:TGID_Z_EN: 0
; COMPUTE_PGM_RSRC2:TIDIG_COMP_CNT: 0
	.section	.text._ZN7rocprim17ROCPRIM_400000_NS6detail17trampoline_kernelINS0_14default_configENS1_36segmented_radix_sort_config_selectorIdlEEZNS1_25segmented_radix_sort_implIS3_Lb0EPKdPdPKlPlN2at6native12_GLOBAL__N_18offset_tEEE10hipError_tPvRmT1_PNSt15iterator_traitsISK_E10value_typeET2_T3_PNSL_ISQ_E10value_typeET4_jRbjT5_SW_jjP12ihipStream_tbEUlT_E0_NS1_11comp_targetILNS1_3genE2ELNS1_11target_archE906ELNS1_3gpuE6ELNS1_3repE0EEENS1_60segmented_radix_sort_warp_sort_medium_config_static_selectorELNS0_4arch9wavefront6targetE0EEEvSK_,"axG",@progbits,_ZN7rocprim17ROCPRIM_400000_NS6detail17trampoline_kernelINS0_14default_configENS1_36segmented_radix_sort_config_selectorIdlEEZNS1_25segmented_radix_sort_implIS3_Lb0EPKdPdPKlPlN2at6native12_GLOBAL__N_18offset_tEEE10hipError_tPvRmT1_PNSt15iterator_traitsISK_E10value_typeET2_T3_PNSL_ISQ_E10value_typeET4_jRbjT5_SW_jjP12ihipStream_tbEUlT_E0_NS1_11comp_targetILNS1_3genE2ELNS1_11target_archE906ELNS1_3gpuE6ELNS1_3repE0EEENS1_60segmented_radix_sort_warp_sort_medium_config_static_selectorELNS0_4arch9wavefront6targetE0EEEvSK_,comdat
	.globl	_ZN7rocprim17ROCPRIM_400000_NS6detail17trampoline_kernelINS0_14default_configENS1_36segmented_radix_sort_config_selectorIdlEEZNS1_25segmented_radix_sort_implIS3_Lb0EPKdPdPKlPlN2at6native12_GLOBAL__N_18offset_tEEE10hipError_tPvRmT1_PNSt15iterator_traitsISK_E10value_typeET2_T3_PNSL_ISQ_E10value_typeET4_jRbjT5_SW_jjP12ihipStream_tbEUlT_E0_NS1_11comp_targetILNS1_3genE2ELNS1_11target_archE906ELNS1_3gpuE6ELNS1_3repE0EEENS1_60segmented_radix_sort_warp_sort_medium_config_static_selectorELNS0_4arch9wavefront6targetE0EEEvSK_ ; -- Begin function _ZN7rocprim17ROCPRIM_400000_NS6detail17trampoline_kernelINS0_14default_configENS1_36segmented_radix_sort_config_selectorIdlEEZNS1_25segmented_radix_sort_implIS3_Lb0EPKdPdPKlPlN2at6native12_GLOBAL__N_18offset_tEEE10hipError_tPvRmT1_PNSt15iterator_traitsISK_E10value_typeET2_T3_PNSL_ISQ_E10value_typeET4_jRbjT5_SW_jjP12ihipStream_tbEUlT_E0_NS1_11comp_targetILNS1_3genE2ELNS1_11target_archE906ELNS1_3gpuE6ELNS1_3repE0EEENS1_60segmented_radix_sort_warp_sort_medium_config_static_selectorELNS0_4arch9wavefront6targetE0EEEvSK_
	.p2align	8
	.type	_ZN7rocprim17ROCPRIM_400000_NS6detail17trampoline_kernelINS0_14default_configENS1_36segmented_radix_sort_config_selectorIdlEEZNS1_25segmented_radix_sort_implIS3_Lb0EPKdPdPKlPlN2at6native12_GLOBAL__N_18offset_tEEE10hipError_tPvRmT1_PNSt15iterator_traitsISK_E10value_typeET2_T3_PNSL_ISQ_E10value_typeET4_jRbjT5_SW_jjP12ihipStream_tbEUlT_E0_NS1_11comp_targetILNS1_3genE2ELNS1_11target_archE906ELNS1_3gpuE6ELNS1_3repE0EEENS1_60segmented_radix_sort_warp_sort_medium_config_static_selectorELNS0_4arch9wavefront6targetE0EEEvSK_,@function
_ZN7rocprim17ROCPRIM_400000_NS6detail17trampoline_kernelINS0_14default_configENS1_36segmented_radix_sort_config_selectorIdlEEZNS1_25segmented_radix_sort_implIS3_Lb0EPKdPdPKlPlN2at6native12_GLOBAL__N_18offset_tEEE10hipError_tPvRmT1_PNSt15iterator_traitsISK_E10value_typeET2_T3_PNSL_ISQ_E10value_typeET4_jRbjT5_SW_jjP12ihipStream_tbEUlT_E0_NS1_11comp_targetILNS1_3genE2ELNS1_11target_archE906ELNS1_3gpuE6ELNS1_3repE0EEENS1_60segmented_radix_sort_warp_sort_medium_config_static_selectorELNS0_4arch9wavefront6targetE0EEEvSK_: ; @_ZN7rocprim17ROCPRIM_400000_NS6detail17trampoline_kernelINS0_14default_configENS1_36segmented_radix_sort_config_selectorIdlEEZNS1_25segmented_radix_sort_implIS3_Lb0EPKdPdPKlPlN2at6native12_GLOBAL__N_18offset_tEEE10hipError_tPvRmT1_PNSt15iterator_traitsISK_E10value_typeET2_T3_PNSL_ISQ_E10value_typeET4_jRbjT5_SW_jjP12ihipStream_tbEUlT_E0_NS1_11comp_targetILNS1_3genE2ELNS1_11target_archE906ELNS1_3gpuE6ELNS1_3repE0EEENS1_60segmented_radix_sort_warp_sort_medium_config_static_selectorELNS0_4arch9wavefront6targetE0EEEvSK_
; %bb.0:
	.section	.rodata,"a",@progbits
	.p2align	6, 0x0
	.amdhsa_kernel _ZN7rocprim17ROCPRIM_400000_NS6detail17trampoline_kernelINS0_14default_configENS1_36segmented_radix_sort_config_selectorIdlEEZNS1_25segmented_radix_sort_implIS3_Lb0EPKdPdPKlPlN2at6native12_GLOBAL__N_18offset_tEEE10hipError_tPvRmT1_PNSt15iterator_traitsISK_E10value_typeET2_T3_PNSL_ISQ_E10value_typeET4_jRbjT5_SW_jjP12ihipStream_tbEUlT_E0_NS1_11comp_targetILNS1_3genE2ELNS1_11target_archE906ELNS1_3gpuE6ELNS1_3repE0EEENS1_60segmented_radix_sort_warp_sort_medium_config_static_selectorELNS0_4arch9wavefront6targetE0EEEvSK_
		.amdhsa_group_segment_fixed_size 0
		.amdhsa_private_segment_fixed_size 0
		.amdhsa_kernarg_size 88
		.amdhsa_user_sgpr_count 6
		.amdhsa_user_sgpr_private_segment_buffer 1
		.amdhsa_user_sgpr_dispatch_ptr 0
		.amdhsa_user_sgpr_queue_ptr 0
		.amdhsa_user_sgpr_kernarg_segment_ptr 1
		.amdhsa_user_sgpr_dispatch_id 0
		.amdhsa_user_sgpr_flat_scratch_init 0
		.amdhsa_user_sgpr_private_segment_size 0
		.amdhsa_wavefront_size32 1
		.amdhsa_uses_dynamic_stack 0
		.amdhsa_system_sgpr_private_segment_wavefront_offset 0
		.amdhsa_system_sgpr_workgroup_id_x 1
		.amdhsa_system_sgpr_workgroup_id_y 0
		.amdhsa_system_sgpr_workgroup_id_z 0
		.amdhsa_system_sgpr_workgroup_info 0
		.amdhsa_system_vgpr_workitem_id 0
		.amdhsa_next_free_vgpr 1
		.amdhsa_next_free_sgpr 1
		.amdhsa_reserve_vcc 0
		.amdhsa_reserve_flat_scratch 0
		.amdhsa_float_round_mode_32 0
		.amdhsa_float_round_mode_16_64 0
		.amdhsa_float_denorm_mode_32 3
		.amdhsa_float_denorm_mode_16_64 3
		.amdhsa_dx10_clamp 1
		.amdhsa_ieee_mode 1
		.amdhsa_fp16_overflow 0
		.amdhsa_workgroup_processor_mode 1
		.amdhsa_memory_ordered 1
		.amdhsa_forward_progress 1
		.amdhsa_shared_vgpr_count 0
		.amdhsa_exception_fp_ieee_invalid_op 0
		.amdhsa_exception_fp_denorm_src 0
		.amdhsa_exception_fp_ieee_div_zero 0
		.amdhsa_exception_fp_ieee_overflow 0
		.amdhsa_exception_fp_ieee_underflow 0
		.amdhsa_exception_fp_ieee_inexact 0
		.amdhsa_exception_int_div_zero 0
	.end_amdhsa_kernel
	.section	.text._ZN7rocprim17ROCPRIM_400000_NS6detail17trampoline_kernelINS0_14default_configENS1_36segmented_radix_sort_config_selectorIdlEEZNS1_25segmented_radix_sort_implIS3_Lb0EPKdPdPKlPlN2at6native12_GLOBAL__N_18offset_tEEE10hipError_tPvRmT1_PNSt15iterator_traitsISK_E10value_typeET2_T3_PNSL_ISQ_E10value_typeET4_jRbjT5_SW_jjP12ihipStream_tbEUlT_E0_NS1_11comp_targetILNS1_3genE2ELNS1_11target_archE906ELNS1_3gpuE6ELNS1_3repE0EEENS1_60segmented_radix_sort_warp_sort_medium_config_static_selectorELNS0_4arch9wavefront6targetE0EEEvSK_,"axG",@progbits,_ZN7rocprim17ROCPRIM_400000_NS6detail17trampoline_kernelINS0_14default_configENS1_36segmented_radix_sort_config_selectorIdlEEZNS1_25segmented_radix_sort_implIS3_Lb0EPKdPdPKlPlN2at6native12_GLOBAL__N_18offset_tEEE10hipError_tPvRmT1_PNSt15iterator_traitsISK_E10value_typeET2_T3_PNSL_ISQ_E10value_typeET4_jRbjT5_SW_jjP12ihipStream_tbEUlT_E0_NS1_11comp_targetILNS1_3genE2ELNS1_11target_archE906ELNS1_3gpuE6ELNS1_3repE0EEENS1_60segmented_radix_sort_warp_sort_medium_config_static_selectorELNS0_4arch9wavefront6targetE0EEEvSK_,comdat
.Lfunc_end1227:
	.size	_ZN7rocprim17ROCPRIM_400000_NS6detail17trampoline_kernelINS0_14default_configENS1_36segmented_radix_sort_config_selectorIdlEEZNS1_25segmented_radix_sort_implIS3_Lb0EPKdPdPKlPlN2at6native12_GLOBAL__N_18offset_tEEE10hipError_tPvRmT1_PNSt15iterator_traitsISK_E10value_typeET2_T3_PNSL_ISQ_E10value_typeET4_jRbjT5_SW_jjP12ihipStream_tbEUlT_E0_NS1_11comp_targetILNS1_3genE2ELNS1_11target_archE906ELNS1_3gpuE6ELNS1_3repE0EEENS1_60segmented_radix_sort_warp_sort_medium_config_static_selectorELNS0_4arch9wavefront6targetE0EEEvSK_, .Lfunc_end1227-_ZN7rocprim17ROCPRIM_400000_NS6detail17trampoline_kernelINS0_14default_configENS1_36segmented_radix_sort_config_selectorIdlEEZNS1_25segmented_radix_sort_implIS3_Lb0EPKdPdPKlPlN2at6native12_GLOBAL__N_18offset_tEEE10hipError_tPvRmT1_PNSt15iterator_traitsISK_E10value_typeET2_T3_PNSL_ISQ_E10value_typeET4_jRbjT5_SW_jjP12ihipStream_tbEUlT_E0_NS1_11comp_targetILNS1_3genE2ELNS1_11target_archE906ELNS1_3gpuE6ELNS1_3repE0EEENS1_60segmented_radix_sort_warp_sort_medium_config_static_selectorELNS0_4arch9wavefront6targetE0EEEvSK_
                                        ; -- End function
	.set _ZN7rocprim17ROCPRIM_400000_NS6detail17trampoline_kernelINS0_14default_configENS1_36segmented_radix_sort_config_selectorIdlEEZNS1_25segmented_radix_sort_implIS3_Lb0EPKdPdPKlPlN2at6native12_GLOBAL__N_18offset_tEEE10hipError_tPvRmT1_PNSt15iterator_traitsISK_E10value_typeET2_T3_PNSL_ISQ_E10value_typeET4_jRbjT5_SW_jjP12ihipStream_tbEUlT_E0_NS1_11comp_targetILNS1_3genE2ELNS1_11target_archE906ELNS1_3gpuE6ELNS1_3repE0EEENS1_60segmented_radix_sort_warp_sort_medium_config_static_selectorELNS0_4arch9wavefront6targetE0EEEvSK_.num_vgpr, 0
	.set _ZN7rocprim17ROCPRIM_400000_NS6detail17trampoline_kernelINS0_14default_configENS1_36segmented_radix_sort_config_selectorIdlEEZNS1_25segmented_radix_sort_implIS3_Lb0EPKdPdPKlPlN2at6native12_GLOBAL__N_18offset_tEEE10hipError_tPvRmT1_PNSt15iterator_traitsISK_E10value_typeET2_T3_PNSL_ISQ_E10value_typeET4_jRbjT5_SW_jjP12ihipStream_tbEUlT_E0_NS1_11comp_targetILNS1_3genE2ELNS1_11target_archE906ELNS1_3gpuE6ELNS1_3repE0EEENS1_60segmented_radix_sort_warp_sort_medium_config_static_selectorELNS0_4arch9wavefront6targetE0EEEvSK_.num_agpr, 0
	.set _ZN7rocprim17ROCPRIM_400000_NS6detail17trampoline_kernelINS0_14default_configENS1_36segmented_radix_sort_config_selectorIdlEEZNS1_25segmented_radix_sort_implIS3_Lb0EPKdPdPKlPlN2at6native12_GLOBAL__N_18offset_tEEE10hipError_tPvRmT1_PNSt15iterator_traitsISK_E10value_typeET2_T3_PNSL_ISQ_E10value_typeET4_jRbjT5_SW_jjP12ihipStream_tbEUlT_E0_NS1_11comp_targetILNS1_3genE2ELNS1_11target_archE906ELNS1_3gpuE6ELNS1_3repE0EEENS1_60segmented_radix_sort_warp_sort_medium_config_static_selectorELNS0_4arch9wavefront6targetE0EEEvSK_.numbered_sgpr, 0
	.set _ZN7rocprim17ROCPRIM_400000_NS6detail17trampoline_kernelINS0_14default_configENS1_36segmented_radix_sort_config_selectorIdlEEZNS1_25segmented_radix_sort_implIS3_Lb0EPKdPdPKlPlN2at6native12_GLOBAL__N_18offset_tEEE10hipError_tPvRmT1_PNSt15iterator_traitsISK_E10value_typeET2_T3_PNSL_ISQ_E10value_typeET4_jRbjT5_SW_jjP12ihipStream_tbEUlT_E0_NS1_11comp_targetILNS1_3genE2ELNS1_11target_archE906ELNS1_3gpuE6ELNS1_3repE0EEENS1_60segmented_radix_sort_warp_sort_medium_config_static_selectorELNS0_4arch9wavefront6targetE0EEEvSK_.num_named_barrier, 0
	.set _ZN7rocprim17ROCPRIM_400000_NS6detail17trampoline_kernelINS0_14default_configENS1_36segmented_radix_sort_config_selectorIdlEEZNS1_25segmented_radix_sort_implIS3_Lb0EPKdPdPKlPlN2at6native12_GLOBAL__N_18offset_tEEE10hipError_tPvRmT1_PNSt15iterator_traitsISK_E10value_typeET2_T3_PNSL_ISQ_E10value_typeET4_jRbjT5_SW_jjP12ihipStream_tbEUlT_E0_NS1_11comp_targetILNS1_3genE2ELNS1_11target_archE906ELNS1_3gpuE6ELNS1_3repE0EEENS1_60segmented_radix_sort_warp_sort_medium_config_static_selectorELNS0_4arch9wavefront6targetE0EEEvSK_.private_seg_size, 0
	.set _ZN7rocprim17ROCPRIM_400000_NS6detail17trampoline_kernelINS0_14default_configENS1_36segmented_radix_sort_config_selectorIdlEEZNS1_25segmented_radix_sort_implIS3_Lb0EPKdPdPKlPlN2at6native12_GLOBAL__N_18offset_tEEE10hipError_tPvRmT1_PNSt15iterator_traitsISK_E10value_typeET2_T3_PNSL_ISQ_E10value_typeET4_jRbjT5_SW_jjP12ihipStream_tbEUlT_E0_NS1_11comp_targetILNS1_3genE2ELNS1_11target_archE906ELNS1_3gpuE6ELNS1_3repE0EEENS1_60segmented_radix_sort_warp_sort_medium_config_static_selectorELNS0_4arch9wavefront6targetE0EEEvSK_.uses_vcc, 0
	.set _ZN7rocprim17ROCPRIM_400000_NS6detail17trampoline_kernelINS0_14default_configENS1_36segmented_radix_sort_config_selectorIdlEEZNS1_25segmented_radix_sort_implIS3_Lb0EPKdPdPKlPlN2at6native12_GLOBAL__N_18offset_tEEE10hipError_tPvRmT1_PNSt15iterator_traitsISK_E10value_typeET2_T3_PNSL_ISQ_E10value_typeET4_jRbjT5_SW_jjP12ihipStream_tbEUlT_E0_NS1_11comp_targetILNS1_3genE2ELNS1_11target_archE906ELNS1_3gpuE6ELNS1_3repE0EEENS1_60segmented_radix_sort_warp_sort_medium_config_static_selectorELNS0_4arch9wavefront6targetE0EEEvSK_.uses_flat_scratch, 0
	.set _ZN7rocprim17ROCPRIM_400000_NS6detail17trampoline_kernelINS0_14default_configENS1_36segmented_radix_sort_config_selectorIdlEEZNS1_25segmented_radix_sort_implIS3_Lb0EPKdPdPKlPlN2at6native12_GLOBAL__N_18offset_tEEE10hipError_tPvRmT1_PNSt15iterator_traitsISK_E10value_typeET2_T3_PNSL_ISQ_E10value_typeET4_jRbjT5_SW_jjP12ihipStream_tbEUlT_E0_NS1_11comp_targetILNS1_3genE2ELNS1_11target_archE906ELNS1_3gpuE6ELNS1_3repE0EEENS1_60segmented_radix_sort_warp_sort_medium_config_static_selectorELNS0_4arch9wavefront6targetE0EEEvSK_.has_dyn_sized_stack, 0
	.set _ZN7rocprim17ROCPRIM_400000_NS6detail17trampoline_kernelINS0_14default_configENS1_36segmented_radix_sort_config_selectorIdlEEZNS1_25segmented_radix_sort_implIS3_Lb0EPKdPdPKlPlN2at6native12_GLOBAL__N_18offset_tEEE10hipError_tPvRmT1_PNSt15iterator_traitsISK_E10value_typeET2_T3_PNSL_ISQ_E10value_typeET4_jRbjT5_SW_jjP12ihipStream_tbEUlT_E0_NS1_11comp_targetILNS1_3genE2ELNS1_11target_archE906ELNS1_3gpuE6ELNS1_3repE0EEENS1_60segmented_radix_sort_warp_sort_medium_config_static_selectorELNS0_4arch9wavefront6targetE0EEEvSK_.has_recursion, 0
	.set _ZN7rocprim17ROCPRIM_400000_NS6detail17trampoline_kernelINS0_14default_configENS1_36segmented_radix_sort_config_selectorIdlEEZNS1_25segmented_radix_sort_implIS3_Lb0EPKdPdPKlPlN2at6native12_GLOBAL__N_18offset_tEEE10hipError_tPvRmT1_PNSt15iterator_traitsISK_E10value_typeET2_T3_PNSL_ISQ_E10value_typeET4_jRbjT5_SW_jjP12ihipStream_tbEUlT_E0_NS1_11comp_targetILNS1_3genE2ELNS1_11target_archE906ELNS1_3gpuE6ELNS1_3repE0EEENS1_60segmented_radix_sort_warp_sort_medium_config_static_selectorELNS0_4arch9wavefront6targetE0EEEvSK_.has_indirect_call, 0
	.section	.AMDGPU.csdata,"",@progbits
; Kernel info:
; codeLenInByte = 0
; TotalNumSgprs: 0
; NumVgprs: 0
; ScratchSize: 0
; MemoryBound: 0
; FloatMode: 240
; IeeeMode: 1
; LDSByteSize: 0 bytes/workgroup (compile time only)
; SGPRBlocks: 0
; VGPRBlocks: 0
; NumSGPRsForWavesPerEU: 1
; NumVGPRsForWavesPerEU: 1
; Occupancy: 16
; WaveLimiterHint : 0
; COMPUTE_PGM_RSRC2:SCRATCH_EN: 0
; COMPUTE_PGM_RSRC2:USER_SGPR: 6
; COMPUTE_PGM_RSRC2:TRAP_HANDLER: 0
; COMPUTE_PGM_RSRC2:TGID_X_EN: 1
; COMPUTE_PGM_RSRC2:TGID_Y_EN: 0
; COMPUTE_PGM_RSRC2:TGID_Z_EN: 0
; COMPUTE_PGM_RSRC2:TIDIG_COMP_CNT: 0
	.section	.text._ZN7rocprim17ROCPRIM_400000_NS6detail17trampoline_kernelINS0_14default_configENS1_36segmented_radix_sort_config_selectorIdlEEZNS1_25segmented_radix_sort_implIS3_Lb0EPKdPdPKlPlN2at6native12_GLOBAL__N_18offset_tEEE10hipError_tPvRmT1_PNSt15iterator_traitsISK_E10value_typeET2_T3_PNSL_ISQ_E10value_typeET4_jRbjT5_SW_jjP12ihipStream_tbEUlT_E0_NS1_11comp_targetILNS1_3genE10ELNS1_11target_archE1201ELNS1_3gpuE5ELNS1_3repE0EEENS1_60segmented_radix_sort_warp_sort_medium_config_static_selectorELNS0_4arch9wavefront6targetE0EEEvSK_,"axG",@progbits,_ZN7rocprim17ROCPRIM_400000_NS6detail17trampoline_kernelINS0_14default_configENS1_36segmented_radix_sort_config_selectorIdlEEZNS1_25segmented_radix_sort_implIS3_Lb0EPKdPdPKlPlN2at6native12_GLOBAL__N_18offset_tEEE10hipError_tPvRmT1_PNSt15iterator_traitsISK_E10value_typeET2_T3_PNSL_ISQ_E10value_typeET4_jRbjT5_SW_jjP12ihipStream_tbEUlT_E0_NS1_11comp_targetILNS1_3genE10ELNS1_11target_archE1201ELNS1_3gpuE5ELNS1_3repE0EEENS1_60segmented_radix_sort_warp_sort_medium_config_static_selectorELNS0_4arch9wavefront6targetE0EEEvSK_,comdat
	.globl	_ZN7rocprim17ROCPRIM_400000_NS6detail17trampoline_kernelINS0_14default_configENS1_36segmented_radix_sort_config_selectorIdlEEZNS1_25segmented_radix_sort_implIS3_Lb0EPKdPdPKlPlN2at6native12_GLOBAL__N_18offset_tEEE10hipError_tPvRmT1_PNSt15iterator_traitsISK_E10value_typeET2_T3_PNSL_ISQ_E10value_typeET4_jRbjT5_SW_jjP12ihipStream_tbEUlT_E0_NS1_11comp_targetILNS1_3genE10ELNS1_11target_archE1201ELNS1_3gpuE5ELNS1_3repE0EEENS1_60segmented_radix_sort_warp_sort_medium_config_static_selectorELNS0_4arch9wavefront6targetE0EEEvSK_ ; -- Begin function _ZN7rocprim17ROCPRIM_400000_NS6detail17trampoline_kernelINS0_14default_configENS1_36segmented_radix_sort_config_selectorIdlEEZNS1_25segmented_radix_sort_implIS3_Lb0EPKdPdPKlPlN2at6native12_GLOBAL__N_18offset_tEEE10hipError_tPvRmT1_PNSt15iterator_traitsISK_E10value_typeET2_T3_PNSL_ISQ_E10value_typeET4_jRbjT5_SW_jjP12ihipStream_tbEUlT_E0_NS1_11comp_targetILNS1_3genE10ELNS1_11target_archE1201ELNS1_3gpuE5ELNS1_3repE0EEENS1_60segmented_radix_sort_warp_sort_medium_config_static_selectorELNS0_4arch9wavefront6targetE0EEEvSK_
	.p2align	8
	.type	_ZN7rocprim17ROCPRIM_400000_NS6detail17trampoline_kernelINS0_14default_configENS1_36segmented_radix_sort_config_selectorIdlEEZNS1_25segmented_radix_sort_implIS3_Lb0EPKdPdPKlPlN2at6native12_GLOBAL__N_18offset_tEEE10hipError_tPvRmT1_PNSt15iterator_traitsISK_E10value_typeET2_T3_PNSL_ISQ_E10value_typeET4_jRbjT5_SW_jjP12ihipStream_tbEUlT_E0_NS1_11comp_targetILNS1_3genE10ELNS1_11target_archE1201ELNS1_3gpuE5ELNS1_3repE0EEENS1_60segmented_radix_sort_warp_sort_medium_config_static_selectorELNS0_4arch9wavefront6targetE0EEEvSK_,@function
_ZN7rocprim17ROCPRIM_400000_NS6detail17trampoline_kernelINS0_14default_configENS1_36segmented_radix_sort_config_selectorIdlEEZNS1_25segmented_radix_sort_implIS3_Lb0EPKdPdPKlPlN2at6native12_GLOBAL__N_18offset_tEEE10hipError_tPvRmT1_PNSt15iterator_traitsISK_E10value_typeET2_T3_PNSL_ISQ_E10value_typeET4_jRbjT5_SW_jjP12ihipStream_tbEUlT_E0_NS1_11comp_targetILNS1_3genE10ELNS1_11target_archE1201ELNS1_3gpuE5ELNS1_3repE0EEENS1_60segmented_radix_sort_warp_sort_medium_config_static_selectorELNS0_4arch9wavefront6targetE0EEEvSK_: ; @_ZN7rocprim17ROCPRIM_400000_NS6detail17trampoline_kernelINS0_14default_configENS1_36segmented_radix_sort_config_selectorIdlEEZNS1_25segmented_radix_sort_implIS3_Lb0EPKdPdPKlPlN2at6native12_GLOBAL__N_18offset_tEEE10hipError_tPvRmT1_PNSt15iterator_traitsISK_E10value_typeET2_T3_PNSL_ISQ_E10value_typeET4_jRbjT5_SW_jjP12ihipStream_tbEUlT_E0_NS1_11comp_targetILNS1_3genE10ELNS1_11target_archE1201ELNS1_3gpuE5ELNS1_3repE0EEENS1_60segmented_radix_sort_warp_sort_medium_config_static_selectorELNS0_4arch9wavefront6targetE0EEEvSK_
; %bb.0:
	.section	.rodata,"a",@progbits
	.p2align	6, 0x0
	.amdhsa_kernel _ZN7rocprim17ROCPRIM_400000_NS6detail17trampoline_kernelINS0_14default_configENS1_36segmented_radix_sort_config_selectorIdlEEZNS1_25segmented_radix_sort_implIS3_Lb0EPKdPdPKlPlN2at6native12_GLOBAL__N_18offset_tEEE10hipError_tPvRmT1_PNSt15iterator_traitsISK_E10value_typeET2_T3_PNSL_ISQ_E10value_typeET4_jRbjT5_SW_jjP12ihipStream_tbEUlT_E0_NS1_11comp_targetILNS1_3genE10ELNS1_11target_archE1201ELNS1_3gpuE5ELNS1_3repE0EEENS1_60segmented_radix_sort_warp_sort_medium_config_static_selectorELNS0_4arch9wavefront6targetE0EEEvSK_
		.amdhsa_group_segment_fixed_size 0
		.amdhsa_private_segment_fixed_size 0
		.amdhsa_kernarg_size 88
		.amdhsa_user_sgpr_count 6
		.amdhsa_user_sgpr_private_segment_buffer 1
		.amdhsa_user_sgpr_dispatch_ptr 0
		.amdhsa_user_sgpr_queue_ptr 0
		.amdhsa_user_sgpr_kernarg_segment_ptr 1
		.amdhsa_user_sgpr_dispatch_id 0
		.amdhsa_user_sgpr_flat_scratch_init 0
		.amdhsa_user_sgpr_private_segment_size 0
		.amdhsa_wavefront_size32 1
		.amdhsa_uses_dynamic_stack 0
		.amdhsa_system_sgpr_private_segment_wavefront_offset 0
		.amdhsa_system_sgpr_workgroup_id_x 1
		.amdhsa_system_sgpr_workgroup_id_y 0
		.amdhsa_system_sgpr_workgroup_id_z 0
		.amdhsa_system_sgpr_workgroup_info 0
		.amdhsa_system_vgpr_workitem_id 0
		.amdhsa_next_free_vgpr 1
		.amdhsa_next_free_sgpr 1
		.amdhsa_reserve_vcc 0
		.amdhsa_reserve_flat_scratch 0
		.amdhsa_float_round_mode_32 0
		.amdhsa_float_round_mode_16_64 0
		.amdhsa_float_denorm_mode_32 3
		.amdhsa_float_denorm_mode_16_64 3
		.amdhsa_dx10_clamp 1
		.amdhsa_ieee_mode 1
		.amdhsa_fp16_overflow 0
		.amdhsa_workgroup_processor_mode 1
		.amdhsa_memory_ordered 1
		.amdhsa_forward_progress 1
		.amdhsa_shared_vgpr_count 0
		.amdhsa_exception_fp_ieee_invalid_op 0
		.amdhsa_exception_fp_denorm_src 0
		.amdhsa_exception_fp_ieee_div_zero 0
		.amdhsa_exception_fp_ieee_overflow 0
		.amdhsa_exception_fp_ieee_underflow 0
		.amdhsa_exception_fp_ieee_inexact 0
		.amdhsa_exception_int_div_zero 0
	.end_amdhsa_kernel
	.section	.text._ZN7rocprim17ROCPRIM_400000_NS6detail17trampoline_kernelINS0_14default_configENS1_36segmented_radix_sort_config_selectorIdlEEZNS1_25segmented_radix_sort_implIS3_Lb0EPKdPdPKlPlN2at6native12_GLOBAL__N_18offset_tEEE10hipError_tPvRmT1_PNSt15iterator_traitsISK_E10value_typeET2_T3_PNSL_ISQ_E10value_typeET4_jRbjT5_SW_jjP12ihipStream_tbEUlT_E0_NS1_11comp_targetILNS1_3genE10ELNS1_11target_archE1201ELNS1_3gpuE5ELNS1_3repE0EEENS1_60segmented_radix_sort_warp_sort_medium_config_static_selectorELNS0_4arch9wavefront6targetE0EEEvSK_,"axG",@progbits,_ZN7rocprim17ROCPRIM_400000_NS6detail17trampoline_kernelINS0_14default_configENS1_36segmented_radix_sort_config_selectorIdlEEZNS1_25segmented_radix_sort_implIS3_Lb0EPKdPdPKlPlN2at6native12_GLOBAL__N_18offset_tEEE10hipError_tPvRmT1_PNSt15iterator_traitsISK_E10value_typeET2_T3_PNSL_ISQ_E10value_typeET4_jRbjT5_SW_jjP12ihipStream_tbEUlT_E0_NS1_11comp_targetILNS1_3genE10ELNS1_11target_archE1201ELNS1_3gpuE5ELNS1_3repE0EEENS1_60segmented_radix_sort_warp_sort_medium_config_static_selectorELNS0_4arch9wavefront6targetE0EEEvSK_,comdat
.Lfunc_end1228:
	.size	_ZN7rocprim17ROCPRIM_400000_NS6detail17trampoline_kernelINS0_14default_configENS1_36segmented_radix_sort_config_selectorIdlEEZNS1_25segmented_radix_sort_implIS3_Lb0EPKdPdPKlPlN2at6native12_GLOBAL__N_18offset_tEEE10hipError_tPvRmT1_PNSt15iterator_traitsISK_E10value_typeET2_T3_PNSL_ISQ_E10value_typeET4_jRbjT5_SW_jjP12ihipStream_tbEUlT_E0_NS1_11comp_targetILNS1_3genE10ELNS1_11target_archE1201ELNS1_3gpuE5ELNS1_3repE0EEENS1_60segmented_radix_sort_warp_sort_medium_config_static_selectorELNS0_4arch9wavefront6targetE0EEEvSK_, .Lfunc_end1228-_ZN7rocprim17ROCPRIM_400000_NS6detail17trampoline_kernelINS0_14default_configENS1_36segmented_radix_sort_config_selectorIdlEEZNS1_25segmented_radix_sort_implIS3_Lb0EPKdPdPKlPlN2at6native12_GLOBAL__N_18offset_tEEE10hipError_tPvRmT1_PNSt15iterator_traitsISK_E10value_typeET2_T3_PNSL_ISQ_E10value_typeET4_jRbjT5_SW_jjP12ihipStream_tbEUlT_E0_NS1_11comp_targetILNS1_3genE10ELNS1_11target_archE1201ELNS1_3gpuE5ELNS1_3repE0EEENS1_60segmented_radix_sort_warp_sort_medium_config_static_selectorELNS0_4arch9wavefront6targetE0EEEvSK_
                                        ; -- End function
	.set _ZN7rocprim17ROCPRIM_400000_NS6detail17trampoline_kernelINS0_14default_configENS1_36segmented_radix_sort_config_selectorIdlEEZNS1_25segmented_radix_sort_implIS3_Lb0EPKdPdPKlPlN2at6native12_GLOBAL__N_18offset_tEEE10hipError_tPvRmT1_PNSt15iterator_traitsISK_E10value_typeET2_T3_PNSL_ISQ_E10value_typeET4_jRbjT5_SW_jjP12ihipStream_tbEUlT_E0_NS1_11comp_targetILNS1_3genE10ELNS1_11target_archE1201ELNS1_3gpuE5ELNS1_3repE0EEENS1_60segmented_radix_sort_warp_sort_medium_config_static_selectorELNS0_4arch9wavefront6targetE0EEEvSK_.num_vgpr, 0
	.set _ZN7rocprim17ROCPRIM_400000_NS6detail17trampoline_kernelINS0_14default_configENS1_36segmented_radix_sort_config_selectorIdlEEZNS1_25segmented_radix_sort_implIS3_Lb0EPKdPdPKlPlN2at6native12_GLOBAL__N_18offset_tEEE10hipError_tPvRmT1_PNSt15iterator_traitsISK_E10value_typeET2_T3_PNSL_ISQ_E10value_typeET4_jRbjT5_SW_jjP12ihipStream_tbEUlT_E0_NS1_11comp_targetILNS1_3genE10ELNS1_11target_archE1201ELNS1_3gpuE5ELNS1_3repE0EEENS1_60segmented_radix_sort_warp_sort_medium_config_static_selectorELNS0_4arch9wavefront6targetE0EEEvSK_.num_agpr, 0
	.set _ZN7rocprim17ROCPRIM_400000_NS6detail17trampoline_kernelINS0_14default_configENS1_36segmented_radix_sort_config_selectorIdlEEZNS1_25segmented_radix_sort_implIS3_Lb0EPKdPdPKlPlN2at6native12_GLOBAL__N_18offset_tEEE10hipError_tPvRmT1_PNSt15iterator_traitsISK_E10value_typeET2_T3_PNSL_ISQ_E10value_typeET4_jRbjT5_SW_jjP12ihipStream_tbEUlT_E0_NS1_11comp_targetILNS1_3genE10ELNS1_11target_archE1201ELNS1_3gpuE5ELNS1_3repE0EEENS1_60segmented_radix_sort_warp_sort_medium_config_static_selectorELNS0_4arch9wavefront6targetE0EEEvSK_.numbered_sgpr, 0
	.set _ZN7rocprim17ROCPRIM_400000_NS6detail17trampoline_kernelINS0_14default_configENS1_36segmented_radix_sort_config_selectorIdlEEZNS1_25segmented_radix_sort_implIS3_Lb0EPKdPdPKlPlN2at6native12_GLOBAL__N_18offset_tEEE10hipError_tPvRmT1_PNSt15iterator_traitsISK_E10value_typeET2_T3_PNSL_ISQ_E10value_typeET4_jRbjT5_SW_jjP12ihipStream_tbEUlT_E0_NS1_11comp_targetILNS1_3genE10ELNS1_11target_archE1201ELNS1_3gpuE5ELNS1_3repE0EEENS1_60segmented_radix_sort_warp_sort_medium_config_static_selectorELNS0_4arch9wavefront6targetE0EEEvSK_.num_named_barrier, 0
	.set _ZN7rocprim17ROCPRIM_400000_NS6detail17trampoline_kernelINS0_14default_configENS1_36segmented_radix_sort_config_selectorIdlEEZNS1_25segmented_radix_sort_implIS3_Lb0EPKdPdPKlPlN2at6native12_GLOBAL__N_18offset_tEEE10hipError_tPvRmT1_PNSt15iterator_traitsISK_E10value_typeET2_T3_PNSL_ISQ_E10value_typeET4_jRbjT5_SW_jjP12ihipStream_tbEUlT_E0_NS1_11comp_targetILNS1_3genE10ELNS1_11target_archE1201ELNS1_3gpuE5ELNS1_3repE0EEENS1_60segmented_radix_sort_warp_sort_medium_config_static_selectorELNS0_4arch9wavefront6targetE0EEEvSK_.private_seg_size, 0
	.set _ZN7rocprim17ROCPRIM_400000_NS6detail17trampoline_kernelINS0_14default_configENS1_36segmented_radix_sort_config_selectorIdlEEZNS1_25segmented_radix_sort_implIS3_Lb0EPKdPdPKlPlN2at6native12_GLOBAL__N_18offset_tEEE10hipError_tPvRmT1_PNSt15iterator_traitsISK_E10value_typeET2_T3_PNSL_ISQ_E10value_typeET4_jRbjT5_SW_jjP12ihipStream_tbEUlT_E0_NS1_11comp_targetILNS1_3genE10ELNS1_11target_archE1201ELNS1_3gpuE5ELNS1_3repE0EEENS1_60segmented_radix_sort_warp_sort_medium_config_static_selectorELNS0_4arch9wavefront6targetE0EEEvSK_.uses_vcc, 0
	.set _ZN7rocprim17ROCPRIM_400000_NS6detail17trampoline_kernelINS0_14default_configENS1_36segmented_radix_sort_config_selectorIdlEEZNS1_25segmented_radix_sort_implIS3_Lb0EPKdPdPKlPlN2at6native12_GLOBAL__N_18offset_tEEE10hipError_tPvRmT1_PNSt15iterator_traitsISK_E10value_typeET2_T3_PNSL_ISQ_E10value_typeET4_jRbjT5_SW_jjP12ihipStream_tbEUlT_E0_NS1_11comp_targetILNS1_3genE10ELNS1_11target_archE1201ELNS1_3gpuE5ELNS1_3repE0EEENS1_60segmented_radix_sort_warp_sort_medium_config_static_selectorELNS0_4arch9wavefront6targetE0EEEvSK_.uses_flat_scratch, 0
	.set _ZN7rocprim17ROCPRIM_400000_NS6detail17trampoline_kernelINS0_14default_configENS1_36segmented_radix_sort_config_selectorIdlEEZNS1_25segmented_radix_sort_implIS3_Lb0EPKdPdPKlPlN2at6native12_GLOBAL__N_18offset_tEEE10hipError_tPvRmT1_PNSt15iterator_traitsISK_E10value_typeET2_T3_PNSL_ISQ_E10value_typeET4_jRbjT5_SW_jjP12ihipStream_tbEUlT_E0_NS1_11comp_targetILNS1_3genE10ELNS1_11target_archE1201ELNS1_3gpuE5ELNS1_3repE0EEENS1_60segmented_radix_sort_warp_sort_medium_config_static_selectorELNS0_4arch9wavefront6targetE0EEEvSK_.has_dyn_sized_stack, 0
	.set _ZN7rocprim17ROCPRIM_400000_NS6detail17trampoline_kernelINS0_14default_configENS1_36segmented_radix_sort_config_selectorIdlEEZNS1_25segmented_radix_sort_implIS3_Lb0EPKdPdPKlPlN2at6native12_GLOBAL__N_18offset_tEEE10hipError_tPvRmT1_PNSt15iterator_traitsISK_E10value_typeET2_T3_PNSL_ISQ_E10value_typeET4_jRbjT5_SW_jjP12ihipStream_tbEUlT_E0_NS1_11comp_targetILNS1_3genE10ELNS1_11target_archE1201ELNS1_3gpuE5ELNS1_3repE0EEENS1_60segmented_radix_sort_warp_sort_medium_config_static_selectorELNS0_4arch9wavefront6targetE0EEEvSK_.has_recursion, 0
	.set _ZN7rocprim17ROCPRIM_400000_NS6detail17trampoline_kernelINS0_14default_configENS1_36segmented_radix_sort_config_selectorIdlEEZNS1_25segmented_radix_sort_implIS3_Lb0EPKdPdPKlPlN2at6native12_GLOBAL__N_18offset_tEEE10hipError_tPvRmT1_PNSt15iterator_traitsISK_E10value_typeET2_T3_PNSL_ISQ_E10value_typeET4_jRbjT5_SW_jjP12ihipStream_tbEUlT_E0_NS1_11comp_targetILNS1_3genE10ELNS1_11target_archE1201ELNS1_3gpuE5ELNS1_3repE0EEENS1_60segmented_radix_sort_warp_sort_medium_config_static_selectorELNS0_4arch9wavefront6targetE0EEEvSK_.has_indirect_call, 0
	.section	.AMDGPU.csdata,"",@progbits
; Kernel info:
; codeLenInByte = 0
; TotalNumSgprs: 0
; NumVgprs: 0
; ScratchSize: 0
; MemoryBound: 0
; FloatMode: 240
; IeeeMode: 1
; LDSByteSize: 0 bytes/workgroup (compile time only)
; SGPRBlocks: 0
; VGPRBlocks: 0
; NumSGPRsForWavesPerEU: 1
; NumVGPRsForWavesPerEU: 1
; Occupancy: 16
; WaveLimiterHint : 0
; COMPUTE_PGM_RSRC2:SCRATCH_EN: 0
; COMPUTE_PGM_RSRC2:USER_SGPR: 6
; COMPUTE_PGM_RSRC2:TRAP_HANDLER: 0
; COMPUTE_PGM_RSRC2:TGID_X_EN: 1
; COMPUTE_PGM_RSRC2:TGID_Y_EN: 0
; COMPUTE_PGM_RSRC2:TGID_Z_EN: 0
; COMPUTE_PGM_RSRC2:TIDIG_COMP_CNT: 0
	.section	.text._ZN7rocprim17ROCPRIM_400000_NS6detail17trampoline_kernelINS0_14default_configENS1_36segmented_radix_sort_config_selectorIdlEEZNS1_25segmented_radix_sort_implIS3_Lb0EPKdPdPKlPlN2at6native12_GLOBAL__N_18offset_tEEE10hipError_tPvRmT1_PNSt15iterator_traitsISK_E10value_typeET2_T3_PNSL_ISQ_E10value_typeET4_jRbjT5_SW_jjP12ihipStream_tbEUlT_E0_NS1_11comp_targetILNS1_3genE10ELNS1_11target_archE1200ELNS1_3gpuE4ELNS1_3repE0EEENS1_60segmented_radix_sort_warp_sort_medium_config_static_selectorELNS0_4arch9wavefront6targetE0EEEvSK_,"axG",@progbits,_ZN7rocprim17ROCPRIM_400000_NS6detail17trampoline_kernelINS0_14default_configENS1_36segmented_radix_sort_config_selectorIdlEEZNS1_25segmented_radix_sort_implIS3_Lb0EPKdPdPKlPlN2at6native12_GLOBAL__N_18offset_tEEE10hipError_tPvRmT1_PNSt15iterator_traitsISK_E10value_typeET2_T3_PNSL_ISQ_E10value_typeET4_jRbjT5_SW_jjP12ihipStream_tbEUlT_E0_NS1_11comp_targetILNS1_3genE10ELNS1_11target_archE1200ELNS1_3gpuE4ELNS1_3repE0EEENS1_60segmented_radix_sort_warp_sort_medium_config_static_selectorELNS0_4arch9wavefront6targetE0EEEvSK_,comdat
	.globl	_ZN7rocprim17ROCPRIM_400000_NS6detail17trampoline_kernelINS0_14default_configENS1_36segmented_radix_sort_config_selectorIdlEEZNS1_25segmented_radix_sort_implIS3_Lb0EPKdPdPKlPlN2at6native12_GLOBAL__N_18offset_tEEE10hipError_tPvRmT1_PNSt15iterator_traitsISK_E10value_typeET2_T3_PNSL_ISQ_E10value_typeET4_jRbjT5_SW_jjP12ihipStream_tbEUlT_E0_NS1_11comp_targetILNS1_3genE10ELNS1_11target_archE1200ELNS1_3gpuE4ELNS1_3repE0EEENS1_60segmented_radix_sort_warp_sort_medium_config_static_selectorELNS0_4arch9wavefront6targetE0EEEvSK_ ; -- Begin function _ZN7rocprim17ROCPRIM_400000_NS6detail17trampoline_kernelINS0_14default_configENS1_36segmented_radix_sort_config_selectorIdlEEZNS1_25segmented_radix_sort_implIS3_Lb0EPKdPdPKlPlN2at6native12_GLOBAL__N_18offset_tEEE10hipError_tPvRmT1_PNSt15iterator_traitsISK_E10value_typeET2_T3_PNSL_ISQ_E10value_typeET4_jRbjT5_SW_jjP12ihipStream_tbEUlT_E0_NS1_11comp_targetILNS1_3genE10ELNS1_11target_archE1200ELNS1_3gpuE4ELNS1_3repE0EEENS1_60segmented_radix_sort_warp_sort_medium_config_static_selectorELNS0_4arch9wavefront6targetE0EEEvSK_
	.p2align	8
	.type	_ZN7rocprim17ROCPRIM_400000_NS6detail17trampoline_kernelINS0_14default_configENS1_36segmented_radix_sort_config_selectorIdlEEZNS1_25segmented_radix_sort_implIS3_Lb0EPKdPdPKlPlN2at6native12_GLOBAL__N_18offset_tEEE10hipError_tPvRmT1_PNSt15iterator_traitsISK_E10value_typeET2_T3_PNSL_ISQ_E10value_typeET4_jRbjT5_SW_jjP12ihipStream_tbEUlT_E0_NS1_11comp_targetILNS1_3genE10ELNS1_11target_archE1200ELNS1_3gpuE4ELNS1_3repE0EEENS1_60segmented_radix_sort_warp_sort_medium_config_static_selectorELNS0_4arch9wavefront6targetE0EEEvSK_,@function
_ZN7rocprim17ROCPRIM_400000_NS6detail17trampoline_kernelINS0_14default_configENS1_36segmented_radix_sort_config_selectorIdlEEZNS1_25segmented_radix_sort_implIS3_Lb0EPKdPdPKlPlN2at6native12_GLOBAL__N_18offset_tEEE10hipError_tPvRmT1_PNSt15iterator_traitsISK_E10value_typeET2_T3_PNSL_ISQ_E10value_typeET4_jRbjT5_SW_jjP12ihipStream_tbEUlT_E0_NS1_11comp_targetILNS1_3genE10ELNS1_11target_archE1200ELNS1_3gpuE4ELNS1_3repE0EEENS1_60segmented_radix_sort_warp_sort_medium_config_static_selectorELNS0_4arch9wavefront6targetE0EEEvSK_: ; @_ZN7rocprim17ROCPRIM_400000_NS6detail17trampoline_kernelINS0_14default_configENS1_36segmented_radix_sort_config_selectorIdlEEZNS1_25segmented_radix_sort_implIS3_Lb0EPKdPdPKlPlN2at6native12_GLOBAL__N_18offset_tEEE10hipError_tPvRmT1_PNSt15iterator_traitsISK_E10value_typeET2_T3_PNSL_ISQ_E10value_typeET4_jRbjT5_SW_jjP12ihipStream_tbEUlT_E0_NS1_11comp_targetILNS1_3genE10ELNS1_11target_archE1200ELNS1_3gpuE4ELNS1_3repE0EEENS1_60segmented_radix_sort_warp_sort_medium_config_static_selectorELNS0_4arch9wavefront6targetE0EEEvSK_
; %bb.0:
	.section	.rodata,"a",@progbits
	.p2align	6, 0x0
	.amdhsa_kernel _ZN7rocprim17ROCPRIM_400000_NS6detail17trampoline_kernelINS0_14default_configENS1_36segmented_radix_sort_config_selectorIdlEEZNS1_25segmented_radix_sort_implIS3_Lb0EPKdPdPKlPlN2at6native12_GLOBAL__N_18offset_tEEE10hipError_tPvRmT1_PNSt15iterator_traitsISK_E10value_typeET2_T3_PNSL_ISQ_E10value_typeET4_jRbjT5_SW_jjP12ihipStream_tbEUlT_E0_NS1_11comp_targetILNS1_3genE10ELNS1_11target_archE1200ELNS1_3gpuE4ELNS1_3repE0EEENS1_60segmented_radix_sort_warp_sort_medium_config_static_selectorELNS0_4arch9wavefront6targetE0EEEvSK_
		.amdhsa_group_segment_fixed_size 0
		.amdhsa_private_segment_fixed_size 0
		.amdhsa_kernarg_size 88
		.amdhsa_user_sgpr_count 6
		.amdhsa_user_sgpr_private_segment_buffer 1
		.amdhsa_user_sgpr_dispatch_ptr 0
		.amdhsa_user_sgpr_queue_ptr 0
		.amdhsa_user_sgpr_kernarg_segment_ptr 1
		.amdhsa_user_sgpr_dispatch_id 0
		.amdhsa_user_sgpr_flat_scratch_init 0
		.amdhsa_user_sgpr_private_segment_size 0
		.amdhsa_wavefront_size32 1
		.amdhsa_uses_dynamic_stack 0
		.amdhsa_system_sgpr_private_segment_wavefront_offset 0
		.amdhsa_system_sgpr_workgroup_id_x 1
		.amdhsa_system_sgpr_workgroup_id_y 0
		.amdhsa_system_sgpr_workgroup_id_z 0
		.amdhsa_system_sgpr_workgroup_info 0
		.amdhsa_system_vgpr_workitem_id 0
		.amdhsa_next_free_vgpr 1
		.amdhsa_next_free_sgpr 1
		.amdhsa_reserve_vcc 0
		.amdhsa_reserve_flat_scratch 0
		.amdhsa_float_round_mode_32 0
		.amdhsa_float_round_mode_16_64 0
		.amdhsa_float_denorm_mode_32 3
		.amdhsa_float_denorm_mode_16_64 3
		.amdhsa_dx10_clamp 1
		.amdhsa_ieee_mode 1
		.amdhsa_fp16_overflow 0
		.amdhsa_workgroup_processor_mode 1
		.amdhsa_memory_ordered 1
		.amdhsa_forward_progress 1
		.amdhsa_shared_vgpr_count 0
		.amdhsa_exception_fp_ieee_invalid_op 0
		.amdhsa_exception_fp_denorm_src 0
		.amdhsa_exception_fp_ieee_div_zero 0
		.amdhsa_exception_fp_ieee_overflow 0
		.amdhsa_exception_fp_ieee_underflow 0
		.amdhsa_exception_fp_ieee_inexact 0
		.amdhsa_exception_int_div_zero 0
	.end_amdhsa_kernel
	.section	.text._ZN7rocprim17ROCPRIM_400000_NS6detail17trampoline_kernelINS0_14default_configENS1_36segmented_radix_sort_config_selectorIdlEEZNS1_25segmented_radix_sort_implIS3_Lb0EPKdPdPKlPlN2at6native12_GLOBAL__N_18offset_tEEE10hipError_tPvRmT1_PNSt15iterator_traitsISK_E10value_typeET2_T3_PNSL_ISQ_E10value_typeET4_jRbjT5_SW_jjP12ihipStream_tbEUlT_E0_NS1_11comp_targetILNS1_3genE10ELNS1_11target_archE1200ELNS1_3gpuE4ELNS1_3repE0EEENS1_60segmented_radix_sort_warp_sort_medium_config_static_selectorELNS0_4arch9wavefront6targetE0EEEvSK_,"axG",@progbits,_ZN7rocprim17ROCPRIM_400000_NS6detail17trampoline_kernelINS0_14default_configENS1_36segmented_radix_sort_config_selectorIdlEEZNS1_25segmented_radix_sort_implIS3_Lb0EPKdPdPKlPlN2at6native12_GLOBAL__N_18offset_tEEE10hipError_tPvRmT1_PNSt15iterator_traitsISK_E10value_typeET2_T3_PNSL_ISQ_E10value_typeET4_jRbjT5_SW_jjP12ihipStream_tbEUlT_E0_NS1_11comp_targetILNS1_3genE10ELNS1_11target_archE1200ELNS1_3gpuE4ELNS1_3repE0EEENS1_60segmented_radix_sort_warp_sort_medium_config_static_selectorELNS0_4arch9wavefront6targetE0EEEvSK_,comdat
.Lfunc_end1229:
	.size	_ZN7rocprim17ROCPRIM_400000_NS6detail17trampoline_kernelINS0_14default_configENS1_36segmented_radix_sort_config_selectorIdlEEZNS1_25segmented_radix_sort_implIS3_Lb0EPKdPdPKlPlN2at6native12_GLOBAL__N_18offset_tEEE10hipError_tPvRmT1_PNSt15iterator_traitsISK_E10value_typeET2_T3_PNSL_ISQ_E10value_typeET4_jRbjT5_SW_jjP12ihipStream_tbEUlT_E0_NS1_11comp_targetILNS1_3genE10ELNS1_11target_archE1200ELNS1_3gpuE4ELNS1_3repE0EEENS1_60segmented_radix_sort_warp_sort_medium_config_static_selectorELNS0_4arch9wavefront6targetE0EEEvSK_, .Lfunc_end1229-_ZN7rocprim17ROCPRIM_400000_NS6detail17trampoline_kernelINS0_14default_configENS1_36segmented_radix_sort_config_selectorIdlEEZNS1_25segmented_radix_sort_implIS3_Lb0EPKdPdPKlPlN2at6native12_GLOBAL__N_18offset_tEEE10hipError_tPvRmT1_PNSt15iterator_traitsISK_E10value_typeET2_T3_PNSL_ISQ_E10value_typeET4_jRbjT5_SW_jjP12ihipStream_tbEUlT_E0_NS1_11comp_targetILNS1_3genE10ELNS1_11target_archE1200ELNS1_3gpuE4ELNS1_3repE0EEENS1_60segmented_radix_sort_warp_sort_medium_config_static_selectorELNS0_4arch9wavefront6targetE0EEEvSK_
                                        ; -- End function
	.set _ZN7rocprim17ROCPRIM_400000_NS6detail17trampoline_kernelINS0_14default_configENS1_36segmented_radix_sort_config_selectorIdlEEZNS1_25segmented_radix_sort_implIS3_Lb0EPKdPdPKlPlN2at6native12_GLOBAL__N_18offset_tEEE10hipError_tPvRmT1_PNSt15iterator_traitsISK_E10value_typeET2_T3_PNSL_ISQ_E10value_typeET4_jRbjT5_SW_jjP12ihipStream_tbEUlT_E0_NS1_11comp_targetILNS1_3genE10ELNS1_11target_archE1200ELNS1_3gpuE4ELNS1_3repE0EEENS1_60segmented_radix_sort_warp_sort_medium_config_static_selectorELNS0_4arch9wavefront6targetE0EEEvSK_.num_vgpr, 0
	.set _ZN7rocprim17ROCPRIM_400000_NS6detail17trampoline_kernelINS0_14default_configENS1_36segmented_radix_sort_config_selectorIdlEEZNS1_25segmented_radix_sort_implIS3_Lb0EPKdPdPKlPlN2at6native12_GLOBAL__N_18offset_tEEE10hipError_tPvRmT1_PNSt15iterator_traitsISK_E10value_typeET2_T3_PNSL_ISQ_E10value_typeET4_jRbjT5_SW_jjP12ihipStream_tbEUlT_E0_NS1_11comp_targetILNS1_3genE10ELNS1_11target_archE1200ELNS1_3gpuE4ELNS1_3repE0EEENS1_60segmented_radix_sort_warp_sort_medium_config_static_selectorELNS0_4arch9wavefront6targetE0EEEvSK_.num_agpr, 0
	.set _ZN7rocprim17ROCPRIM_400000_NS6detail17trampoline_kernelINS0_14default_configENS1_36segmented_radix_sort_config_selectorIdlEEZNS1_25segmented_radix_sort_implIS3_Lb0EPKdPdPKlPlN2at6native12_GLOBAL__N_18offset_tEEE10hipError_tPvRmT1_PNSt15iterator_traitsISK_E10value_typeET2_T3_PNSL_ISQ_E10value_typeET4_jRbjT5_SW_jjP12ihipStream_tbEUlT_E0_NS1_11comp_targetILNS1_3genE10ELNS1_11target_archE1200ELNS1_3gpuE4ELNS1_3repE0EEENS1_60segmented_radix_sort_warp_sort_medium_config_static_selectorELNS0_4arch9wavefront6targetE0EEEvSK_.numbered_sgpr, 0
	.set _ZN7rocprim17ROCPRIM_400000_NS6detail17trampoline_kernelINS0_14default_configENS1_36segmented_radix_sort_config_selectorIdlEEZNS1_25segmented_radix_sort_implIS3_Lb0EPKdPdPKlPlN2at6native12_GLOBAL__N_18offset_tEEE10hipError_tPvRmT1_PNSt15iterator_traitsISK_E10value_typeET2_T3_PNSL_ISQ_E10value_typeET4_jRbjT5_SW_jjP12ihipStream_tbEUlT_E0_NS1_11comp_targetILNS1_3genE10ELNS1_11target_archE1200ELNS1_3gpuE4ELNS1_3repE0EEENS1_60segmented_radix_sort_warp_sort_medium_config_static_selectorELNS0_4arch9wavefront6targetE0EEEvSK_.num_named_barrier, 0
	.set _ZN7rocprim17ROCPRIM_400000_NS6detail17trampoline_kernelINS0_14default_configENS1_36segmented_radix_sort_config_selectorIdlEEZNS1_25segmented_radix_sort_implIS3_Lb0EPKdPdPKlPlN2at6native12_GLOBAL__N_18offset_tEEE10hipError_tPvRmT1_PNSt15iterator_traitsISK_E10value_typeET2_T3_PNSL_ISQ_E10value_typeET4_jRbjT5_SW_jjP12ihipStream_tbEUlT_E0_NS1_11comp_targetILNS1_3genE10ELNS1_11target_archE1200ELNS1_3gpuE4ELNS1_3repE0EEENS1_60segmented_radix_sort_warp_sort_medium_config_static_selectorELNS0_4arch9wavefront6targetE0EEEvSK_.private_seg_size, 0
	.set _ZN7rocprim17ROCPRIM_400000_NS6detail17trampoline_kernelINS0_14default_configENS1_36segmented_radix_sort_config_selectorIdlEEZNS1_25segmented_radix_sort_implIS3_Lb0EPKdPdPKlPlN2at6native12_GLOBAL__N_18offset_tEEE10hipError_tPvRmT1_PNSt15iterator_traitsISK_E10value_typeET2_T3_PNSL_ISQ_E10value_typeET4_jRbjT5_SW_jjP12ihipStream_tbEUlT_E0_NS1_11comp_targetILNS1_3genE10ELNS1_11target_archE1200ELNS1_3gpuE4ELNS1_3repE0EEENS1_60segmented_radix_sort_warp_sort_medium_config_static_selectorELNS0_4arch9wavefront6targetE0EEEvSK_.uses_vcc, 0
	.set _ZN7rocprim17ROCPRIM_400000_NS6detail17trampoline_kernelINS0_14default_configENS1_36segmented_radix_sort_config_selectorIdlEEZNS1_25segmented_radix_sort_implIS3_Lb0EPKdPdPKlPlN2at6native12_GLOBAL__N_18offset_tEEE10hipError_tPvRmT1_PNSt15iterator_traitsISK_E10value_typeET2_T3_PNSL_ISQ_E10value_typeET4_jRbjT5_SW_jjP12ihipStream_tbEUlT_E0_NS1_11comp_targetILNS1_3genE10ELNS1_11target_archE1200ELNS1_3gpuE4ELNS1_3repE0EEENS1_60segmented_radix_sort_warp_sort_medium_config_static_selectorELNS0_4arch9wavefront6targetE0EEEvSK_.uses_flat_scratch, 0
	.set _ZN7rocprim17ROCPRIM_400000_NS6detail17trampoline_kernelINS0_14default_configENS1_36segmented_radix_sort_config_selectorIdlEEZNS1_25segmented_radix_sort_implIS3_Lb0EPKdPdPKlPlN2at6native12_GLOBAL__N_18offset_tEEE10hipError_tPvRmT1_PNSt15iterator_traitsISK_E10value_typeET2_T3_PNSL_ISQ_E10value_typeET4_jRbjT5_SW_jjP12ihipStream_tbEUlT_E0_NS1_11comp_targetILNS1_3genE10ELNS1_11target_archE1200ELNS1_3gpuE4ELNS1_3repE0EEENS1_60segmented_radix_sort_warp_sort_medium_config_static_selectorELNS0_4arch9wavefront6targetE0EEEvSK_.has_dyn_sized_stack, 0
	.set _ZN7rocprim17ROCPRIM_400000_NS6detail17trampoline_kernelINS0_14default_configENS1_36segmented_radix_sort_config_selectorIdlEEZNS1_25segmented_radix_sort_implIS3_Lb0EPKdPdPKlPlN2at6native12_GLOBAL__N_18offset_tEEE10hipError_tPvRmT1_PNSt15iterator_traitsISK_E10value_typeET2_T3_PNSL_ISQ_E10value_typeET4_jRbjT5_SW_jjP12ihipStream_tbEUlT_E0_NS1_11comp_targetILNS1_3genE10ELNS1_11target_archE1200ELNS1_3gpuE4ELNS1_3repE0EEENS1_60segmented_radix_sort_warp_sort_medium_config_static_selectorELNS0_4arch9wavefront6targetE0EEEvSK_.has_recursion, 0
	.set _ZN7rocprim17ROCPRIM_400000_NS6detail17trampoline_kernelINS0_14default_configENS1_36segmented_radix_sort_config_selectorIdlEEZNS1_25segmented_radix_sort_implIS3_Lb0EPKdPdPKlPlN2at6native12_GLOBAL__N_18offset_tEEE10hipError_tPvRmT1_PNSt15iterator_traitsISK_E10value_typeET2_T3_PNSL_ISQ_E10value_typeET4_jRbjT5_SW_jjP12ihipStream_tbEUlT_E0_NS1_11comp_targetILNS1_3genE10ELNS1_11target_archE1200ELNS1_3gpuE4ELNS1_3repE0EEENS1_60segmented_radix_sort_warp_sort_medium_config_static_selectorELNS0_4arch9wavefront6targetE0EEEvSK_.has_indirect_call, 0
	.section	.AMDGPU.csdata,"",@progbits
; Kernel info:
; codeLenInByte = 0
; TotalNumSgprs: 0
; NumVgprs: 0
; ScratchSize: 0
; MemoryBound: 0
; FloatMode: 240
; IeeeMode: 1
; LDSByteSize: 0 bytes/workgroup (compile time only)
; SGPRBlocks: 0
; VGPRBlocks: 0
; NumSGPRsForWavesPerEU: 1
; NumVGPRsForWavesPerEU: 1
; Occupancy: 16
; WaveLimiterHint : 0
; COMPUTE_PGM_RSRC2:SCRATCH_EN: 0
; COMPUTE_PGM_RSRC2:USER_SGPR: 6
; COMPUTE_PGM_RSRC2:TRAP_HANDLER: 0
; COMPUTE_PGM_RSRC2:TGID_X_EN: 1
; COMPUTE_PGM_RSRC2:TGID_Y_EN: 0
; COMPUTE_PGM_RSRC2:TGID_Z_EN: 0
; COMPUTE_PGM_RSRC2:TIDIG_COMP_CNT: 0
	.section	.text._ZN7rocprim17ROCPRIM_400000_NS6detail17trampoline_kernelINS0_14default_configENS1_36segmented_radix_sort_config_selectorIdlEEZNS1_25segmented_radix_sort_implIS3_Lb0EPKdPdPKlPlN2at6native12_GLOBAL__N_18offset_tEEE10hipError_tPvRmT1_PNSt15iterator_traitsISK_E10value_typeET2_T3_PNSL_ISQ_E10value_typeET4_jRbjT5_SW_jjP12ihipStream_tbEUlT_E0_NS1_11comp_targetILNS1_3genE9ELNS1_11target_archE1100ELNS1_3gpuE3ELNS1_3repE0EEENS1_60segmented_radix_sort_warp_sort_medium_config_static_selectorELNS0_4arch9wavefront6targetE0EEEvSK_,"axG",@progbits,_ZN7rocprim17ROCPRIM_400000_NS6detail17trampoline_kernelINS0_14default_configENS1_36segmented_radix_sort_config_selectorIdlEEZNS1_25segmented_radix_sort_implIS3_Lb0EPKdPdPKlPlN2at6native12_GLOBAL__N_18offset_tEEE10hipError_tPvRmT1_PNSt15iterator_traitsISK_E10value_typeET2_T3_PNSL_ISQ_E10value_typeET4_jRbjT5_SW_jjP12ihipStream_tbEUlT_E0_NS1_11comp_targetILNS1_3genE9ELNS1_11target_archE1100ELNS1_3gpuE3ELNS1_3repE0EEENS1_60segmented_radix_sort_warp_sort_medium_config_static_selectorELNS0_4arch9wavefront6targetE0EEEvSK_,comdat
	.globl	_ZN7rocprim17ROCPRIM_400000_NS6detail17trampoline_kernelINS0_14default_configENS1_36segmented_radix_sort_config_selectorIdlEEZNS1_25segmented_radix_sort_implIS3_Lb0EPKdPdPKlPlN2at6native12_GLOBAL__N_18offset_tEEE10hipError_tPvRmT1_PNSt15iterator_traitsISK_E10value_typeET2_T3_PNSL_ISQ_E10value_typeET4_jRbjT5_SW_jjP12ihipStream_tbEUlT_E0_NS1_11comp_targetILNS1_3genE9ELNS1_11target_archE1100ELNS1_3gpuE3ELNS1_3repE0EEENS1_60segmented_radix_sort_warp_sort_medium_config_static_selectorELNS0_4arch9wavefront6targetE0EEEvSK_ ; -- Begin function _ZN7rocprim17ROCPRIM_400000_NS6detail17trampoline_kernelINS0_14default_configENS1_36segmented_radix_sort_config_selectorIdlEEZNS1_25segmented_radix_sort_implIS3_Lb0EPKdPdPKlPlN2at6native12_GLOBAL__N_18offset_tEEE10hipError_tPvRmT1_PNSt15iterator_traitsISK_E10value_typeET2_T3_PNSL_ISQ_E10value_typeET4_jRbjT5_SW_jjP12ihipStream_tbEUlT_E0_NS1_11comp_targetILNS1_3genE9ELNS1_11target_archE1100ELNS1_3gpuE3ELNS1_3repE0EEENS1_60segmented_radix_sort_warp_sort_medium_config_static_selectorELNS0_4arch9wavefront6targetE0EEEvSK_
	.p2align	8
	.type	_ZN7rocprim17ROCPRIM_400000_NS6detail17trampoline_kernelINS0_14default_configENS1_36segmented_radix_sort_config_selectorIdlEEZNS1_25segmented_radix_sort_implIS3_Lb0EPKdPdPKlPlN2at6native12_GLOBAL__N_18offset_tEEE10hipError_tPvRmT1_PNSt15iterator_traitsISK_E10value_typeET2_T3_PNSL_ISQ_E10value_typeET4_jRbjT5_SW_jjP12ihipStream_tbEUlT_E0_NS1_11comp_targetILNS1_3genE9ELNS1_11target_archE1100ELNS1_3gpuE3ELNS1_3repE0EEENS1_60segmented_radix_sort_warp_sort_medium_config_static_selectorELNS0_4arch9wavefront6targetE0EEEvSK_,@function
_ZN7rocprim17ROCPRIM_400000_NS6detail17trampoline_kernelINS0_14default_configENS1_36segmented_radix_sort_config_selectorIdlEEZNS1_25segmented_radix_sort_implIS3_Lb0EPKdPdPKlPlN2at6native12_GLOBAL__N_18offset_tEEE10hipError_tPvRmT1_PNSt15iterator_traitsISK_E10value_typeET2_T3_PNSL_ISQ_E10value_typeET4_jRbjT5_SW_jjP12ihipStream_tbEUlT_E0_NS1_11comp_targetILNS1_3genE9ELNS1_11target_archE1100ELNS1_3gpuE3ELNS1_3repE0EEENS1_60segmented_radix_sort_warp_sort_medium_config_static_selectorELNS0_4arch9wavefront6targetE0EEEvSK_: ; @_ZN7rocprim17ROCPRIM_400000_NS6detail17trampoline_kernelINS0_14default_configENS1_36segmented_radix_sort_config_selectorIdlEEZNS1_25segmented_radix_sort_implIS3_Lb0EPKdPdPKlPlN2at6native12_GLOBAL__N_18offset_tEEE10hipError_tPvRmT1_PNSt15iterator_traitsISK_E10value_typeET2_T3_PNSL_ISQ_E10value_typeET4_jRbjT5_SW_jjP12ihipStream_tbEUlT_E0_NS1_11comp_targetILNS1_3genE9ELNS1_11target_archE1100ELNS1_3gpuE3ELNS1_3repE0EEENS1_60segmented_radix_sort_warp_sort_medium_config_static_selectorELNS0_4arch9wavefront6targetE0EEEvSK_
; %bb.0:
	.section	.rodata,"a",@progbits
	.p2align	6, 0x0
	.amdhsa_kernel _ZN7rocprim17ROCPRIM_400000_NS6detail17trampoline_kernelINS0_14default_configENS1_36segmented_radix_sort_config_selectorIdlEEZNS1_25segmented_radix_sort_implIS3_Lb0EPKdPdPKlPlN2at6native12_GLOBAL__N_18offset_tEEE10hipError_tPvRmT1_PNSt15iterator_traitsISK_E10value_typeET2_T3_PNSL_ISQ_E10value_typeET4_jRbjT5_SW_jjP12ihipStream_tbEUlT_E0_NS1_11comp_targetILNS1_3genE9ELNS1_11target_archE1100ELNS1_3gpuE3ELNS1_3repE0EEENS1_60segmented_radix_sort_warp_sort_medium_config_static_selectorELNS0_4arch9wavefront6targetE0EEEvSK_
		.amdhsa_group_segment_fixed_size 0
		.amdhsa_private_segment_fixed_size 0
		.amdhsa_kernarg_size 88
		.amdhsa_user_sgpr_count 6
		.amdhsa_user_sgpr_private_segment_buffer 1
		.amdhsa_user_sgpr_dispatch_ptr 0
		.amdhsa_user_sgpr_queue_ptr 0
		.amdhsa_user_sgpr_kernarg_segment_ptr 1
		.amdhsa_user_sgpr_dispatch_id 0
		.amdhsa_user_sgpr_flat_scratch_init 0
		.amdhsa_user_sgpr_private_segment_size 0
		.amdhsa_wavefront_size32 1
		.amdhsa_uses_dynamic_stack 0
		.amdhsa_system_sgpr_private_segment_wavefront_offset 0
		.amdhsa_system_sgpr_workgroup_id_x 1
		.amdhsa_system_sgpr_workgroup_id_y 0
		.amdhsa_system_sgpr_workgroup_id_z 0
		.amdhsa_system_sgpr_workgroup_info 0
		.amdhsa_system_vgpr_workitem_id 0
		.amdhsa_next_free_vgpr 1
		.amdhsa_next_free_sgpr 1
		.amdhsa_reserve_vcc 0
		.amdhsa_reserve_flat_scratch 0
		.amdhsa_float_round_mode_32 0
		.amdhsa_float_round_mode_16_64 0
		.amdhsa_float_denorm_mode_32 3
		.amdhsa_float_denorm_mode_16_64 3
		.amdhsa_dx10_clamp 1
		.amdhsa_ieee_mode 1
		.amdhsa_fp16_overflow 0
		.amdhsa_workgroup_processor_mode 1
		.amdhsa_memory_ordered 1
		.amdhsa_forward_progress 1
		.amdhsa_shared_vgpr_count 0
		.amdhsa_exception_fp_ieee_invalid_op 0
		.amdhsa_exception_fp_denorm_src 0
		.amdhsa_exception_fp_ieee_div_zero 0
		.amdhsa_exception_fp_ieee_overflow 0
		.amdhsa_exception_fp_ieee_underflow 0
		.amdhsa_exception_fp_ieee_inexact 0
		.amdhsa_exception_int_div_zero 0
	.end_amdhsa_kernel
	.section	.text._ZN7rocprim17ROCPRIM_400000_NS6detail17trampoline_kernelINS0_14default_configENS1_36segmented_radix_sort_config_selectorIdlEEZNS1_25segmented_radix_sort_implIS3_Lb0EPKdPdPKlPlN2at6native12_GLOBAL__N_18offset_tEEE10hipError_tPvRmT1_PNSt15iterator_traitsISK_E10value_typeET2_T3_PNSL_ISQ_E10value_typeET4_jRbjT5_SW_jjP12ihipStream_tbEUlT_E0_NS1_11comp_targetILNS1_3genE9ELNS1_11target_archE1100ELNS1_3gpuE3ELNS1_3repE0EEENS1_60segmented_radix_sort_warp_sort_medium_config_static_selectorELNS0_4arch9wavefront6targetE0EEEvSK_,"axG",@progbits,_ZN7rocprim17ROCPRIM_400000_NS6detail17trampoline_kernelINS0_14default_configENS1_36segmented_radix_sort_config_selectorIdlEEZNS1_25segmented_radix_sort_implIS3_Lb0EPKdPdPKlPlN2at6native12_GLOBAL__N_18offset_tEEE10hipError_tPvRmT1_PNSt15iterator_traitsISK_E10value_typeET2_T3_PNSL_ISQ_E10value_typeET4_jRbjT5_SW_jjP12ihipStream_tbEUlT_E0_NS1_11comp_targetILNS1_3genE9ELNS1_11target_archE1100ELNS1_3gpuE3ELNS1_3repE0EEENS1_60segmented_radix_sort_warp_sort_medium_config_static_selectorELNS0_4arch9wavefront6targetE0EEEvSK_,comdat
.Lfunc_end1230:
	.size	_ZN7rocprim17ROCPRIM_400000_NS6detail17trampoline_kernelINS0_14default_configENS1_36segmented_radix_sort_config_selectorIdlEEZNS1_25segmented_radix_sort_implIS3_Lb0EPKdPdPKlPlN2at6native12_GLOBAL__N_18offset_tEEE10hipError_tPvRmT1_PNSt15iterator_traitsISK_E10value_typeET2_T3_PNSL_ISQ_E10value_typeET4_jRbjT5_SW_jjP12ihipStream_tbEUlT_E0_NS1_11comp_targetILNS1_3genE9ELNS1_11target_archE1100ELNS1_3gpuE3ELNS1_3repE0EEENS1_60segmented_radix_sort_warp_sort_medium_config_static_selectorELNS0_4arch9wavefront6targetE0EEEvSK_, .Lfunc_end1230-_ZN7rocprim17ROCPRIM_400000_NS6detail17trampoline_kernelINS0_14default_configENS1_36segmented_radix_sort_config_selectorIdlEEZNS1_25segmented_radix_sort_implIS3_Lb0EPKdPdPKlPlN2at6native12_GLOBAL__N_18offset_tEEE10hipError_tPvRmT1_PNSt15iterator_traitsISK_E10value_typeET2_T3_PNSL_ISQ_E10value_typeET4_jRbjT5_SW_jjP12ihipStream_tbEUlT_E0_NS1_11comp_targetILNS1_3genE9ELNS1_11target_archE1100ELNS1_3gpuE3ELNS1_3repE0EEENS1_60segmented_radix_sort_warp_sort_medium_config_static_selectorELNS0_4arch9wavefront6targetE0EEEvSK_
                                        ; -- End function
	.set _ZN7rocprim17ROCPRIM_400000_NS6detail17trampoline_kernelINS0_14default_configENS1_36segmented_radix_sort_config_selectorIdlEEZNS1_25segmented_radix_sort_implIS3_Lb0EPKdPdPKlPlN2at6native12_GLOBAL__N_18offset_tEEE10hipError_tPvRmT1_PNSt15iterator_traitsISK_E10value_typeET2_T3_PNSL_ISQ_E10value_typeET4_jRbjT5_SW_jjP12ihipStream_tbEUlT_E0_NS1_11comp_targetILNS1_3genE9ELNS1_11target_archE1100ELNS1_3gpuE3ELNS1_3repE0EEENS1_60segmented_radix_sort_warp_sort_medium_config_static_selectorELNS0_4arch9wavefront6targetE0EEEvSK_.num_vgpr, 0
	.set _ZN7rocprim17ROCPRIM_400000_NS6detail17trampoline_kernelINS0_14default_configENS1_36segmented_radix_sort_config_selectorIdlEEZNS1_25segmented_radix_sort_implIS3_Lb0EPKdPdPKlPlN2at6native12_GLOBAL__N_18offset_tEEE10hipError_tPvRmT1_PNSt15iterator_traitsISK_E10value_typeET2_T3_PNSL_ISQ_E10value_typeET4_jRbjT5_SW_jjP12ihipStream_tbEUlT_E0_NS1_11comp_targetILNS1_3genE9ELNS1_11target_archE1100ELNS1_3gpuE3ELNS1_3repE0EEENS1_60segmented_radix_sort_warp_sort_medium_config_static_selectorELNS0_4arch9wavefront6targetE0EEEvSK_.num_agpr, 0
	.set _ZN7rocprim17ROCPRIM_400000_NS6detail17trampoline_kernelINS0_14default_configENS1_36segmented_radix_sort_config_selectorIdlEEZNS1_25segmented_radix_sort_implIS3_Lb0EPKdPdPKlPlN2at6native12_GLOBAL__N_18offset_tEEE10hipError_tPvRmT1_PNSt15iterator_traitsISK_E10value_typeET2_T3_PNSL_ISQ_E10value_typeET4_jRbjT5_SW_jjP12ihipStream_tbEUlT_E0_NS1_11comp_targetILNS1_3genE9ELNS1_11target_archE1100ELNS1_3gpuE3ELNS1_3repE0EEENS1_60segmented_radix_sort_warp_sort_medium_config_static_selectorELNS0_4arch9wavefront6targetE0EEEvSK_.numbered_sgpr, 0
	.set _ZN7rocprim17ROCPRIM_400000_NS6detail17trampoline_kernelINS0_14default_configENS1_36segmented_radix_sort_config_selectorIdlEEZNS1_25segmented_radix_sort_implIS3_Lb0EPKdPdPKlPlN2at6native12_GLOBAL__N_18offset_tEEE10hipError_tPvRmT1_PNSt15iterator_traitsISK_E10value_typeET2_T3_PNSL_ISQ_E10value_typeET4_jRbjT5_SW_jjP12ihipStream_tbEUlT_E0_NS1_11comp_targetILNS1_3genE9ELNS1_11target_archE1100ELNS1_3gpuE3ELNS1_3repE0EEENS1_60segmented_radix_sort_warp_sort_medium_config_static_selectorELNS0_4arch9wavefront6targetE0EEEvSK_.num_named_barrier, 0
	.set _ZN7rocprim17ROCPRIM_400000_NS6detail17trampoline_kernelINS0_14default_configENS1_36segmented_radix_sort_config_selectorIdlEEZNS1_25segmented_radix_sort_implIS3_Lb0EPKdPdPKlPlN2at6native12_GLOBAL__N_18offset_tEEE10hipError_tPvRmT1_PNSt15iterator_traitsISK_E10value_typeET2_T3_PNSL_ISQ_E10value_typeET4_jRbjT5_SW_jjP12ihipStream_tbEUlT_E0_NS1_11comp_targetILNS1_3genE9ELNS1_11target_archE1100ELNS1_3gpuE3ELNS1_3repE0EEENS1_60segmented_radix_sort_warp_sort_medium_config_static_selectorELNS0_4arch9wavefront6targetE0EEEvSK_.private_seg_size, 0
	.set _ZN7rocprim17ROCPRIM_400000_NS6detail17trampoline_kernelINS0_14default_configENS1_36segmented_radix_sort_config_selectorIdlEEZNS1_25segmented_radix_sort_implIS3_Lb0EPKdPdPKlPlN2at6native12_GLOBAL__N_18offset_tEEE10hipError_tPvRmT1_PNSt15iterator_traitsISK_E10value_typeET2_T3_PNSL_ISQ_E10value_typeET4_jRbjT5_SW_jjP12ihipStream_tbEUlT_E0_NS1_11comp_targetILNS1_3genE9ELNS1_11target_archE1100ELNS1_3gpuE3ELNS1_3repE0EEENS1_60segmented_radix_sort_warp_sort_medium_config_static_selectorELNS0_4arch9wavefront6targetE0EEEvSK_.uses_vcc, 0
	.set _ZN7rocprim17ROCPRIM_400000_NS6detail17trampoline_kernelINS0_14default_configENS1_36segmented_radix_sort_config_selectorIdlEEZNS1_25segmented_radix_sort_implIS3_Lb0EPKdPdPKlPlN2at6native12_GLOBAL__N_18offset_tEEE10hipError_tPvRmT1_PNSt15iterator_traitsISK_E10value_typeET2_T3_PNSL_ISQ_E10value_typeET4_jRbjT5_SW_jjP12ihipStream_tbEUlT_E0_NS1_11comp_targetILNS1_3genE9ELNS1_11target_archE1100ELNS1_3gpuE3ELNS1_3repE0EEENS1_60segmented_radix_sort_warp_sort_medium_config_static_selectorELNS0_4arch9wavefront6targetE0EEEvSK_.uses_flat_scratch, 0
	.set _ZN7rocprim17ROCPRIM_400000_NS6detail17trampoline_kernelINS0_14default_configENS1_36segmented_radix_sort_config_selectorIdlEEZNS1_25segmented_radix_sort_implIS3_Lb0EPKdPdPKlPlN2at6native12_GLOBAL__N_18offset_tEEE10hipError_tPvRmT1_PNSt15iterator_traitsISK_E10value_typeET2_T3_PNSL_ISQ_E10value_typeET4_jRbjT5_SW_jjP12ihipStream_tbEUlT_E0_NS1_11comp_targetILNS1_3genE9ELNS1_11target_archE1100ELNS1_3gpuE3ELNS1_3repE0EEENS1_60segmented_radix_sort_warp_sort_medium_config_static_selectorELNS0_4arch9wavefront6targetE0EEEvSK_.has_dyn_sized_stack, 0
	.set _ZN7rocprim17ROCPRIM_400000_NS6detail17trampoline_kernelINS0_14default_configENS1_36segmented_radix_sort_config_selectorIdlEEZNS1_25segmented_radix_sort_implIS3_Lb0EPKdPdPKlPlN2at6native12_GLOBAL__N_18offset_tEEE10hipError_tPvRmT1_PNSt15iterator_traitsISK_E10value_typeET2_T3_PNSL_ISQ_E10value_typeET4_jRbjT5_SW_jjP12ihipStream_tbEUlT_E0_NS1_11comp_targetILNS1_3genE9ELNS1_11target_archE1100ELNS1_3gpuE3ELNS1_3repE0EEENS1_60segmented_radix_sort_warp_sort_medium_config_static_selectorELNS0_4arch9wavefront6targetE0EEEvSK_.has_recursion, 0
	.set _ZN7rocprim17ROCPRIM_400000_NS6detail17trampoline_kernelINS0_14default_configENS1_36segmented_radix_sort_config_selectorIdlEEZNS1_25segmented_radix_sort_implIS3_Lb0EPKdPdPKlPlN2at6native12_GLOBAL__N_18offset_tEEE10hipError_tPvRmT1_PNSt15iterator_traitsISK_E10value_typeET2_T3_PNSL_ISQ_E10value_typeET4_jRbjT5_SW_jjP12ihipStream_tbEUlT_E0_NS1_11comp_targetILNS1_3genE9ELNS1_11target_archE1100ELNS1_3gpuE3ELNS1_3repE0EEENS1_60segmented_radix_sort_warp_sort_medium_config_static_selectorELNS0_4arch9wavefront6targetE0EEEvSK_.has_indirect_call, 0
	.section	.AMDGPU.csdata,"",@progbits
; Kernel info:
; codeLenInByte = 0
; TotalNumSgprs: 0
; NumVgprs: 0
; ScratchSize: 0
; MemoryBound: 0
; FloatMode: 240
; IeeeMode: 1
; LDSByteSize: 0 bytes/workgroup (compile time only)
; SGPRBlocks: 0
; VGPRBlocks: 0
; NumSGPRsForWavesPerEU: 1
; NumVGPRsForWavesPerEU: 1
; Occupancy: 16
; WaveLimiterHint : 0
; COMPUTE_PGM_RSRC2:SCRATCH_EN: 0
; COMPUTE_PGM_RSRC2:USER_SGPR: 6
; COMPUTE_PGM_RSRC2:TRAP_HANDLER: 0
; COMPUTE_PGM_RSRC2:TGID_X_EN: 1
; COMPUTE_PGM_RSRC2:TGID_Y_EN: 0
; COMPUTE_PGM_RSRC2:TGID_Z_EN: 0
; COMPUTE_PGM_RSRC2:TIDIG_COMP_CNT: 0
	.text
	.p2align	2                               ; -- Begin function _ZN7rocprim17ROCPRIM_400000_NS6detail26segmented_warp_sort_helperINS1_20WarpSortHelperConfigILj16ELj16ELj256EEEdlLi256ELb0EvE4sortIPKdPdPKlPlEEvT_T0_T1_T2_jjjjRNS5_12storage_typeE
	.type	_ZN7rocprim17ROCPRIM_400000_NS6detail26segmented_warp_sort_helperINS1_20WarpSortHelperConfigILj16ELj16ELj256EEEdlLi256ELb0EvE4sortIPKdPdPKlPlEEvT_T0_T1_T2_jjjjRNS5_12storage_typeE,@function
_ZN7rocprim17ROCPRIM_400000_NS6detail26segmented_warp_sort_helperINS1_20WarpSortHelperConfigILj16ELj16ELj256EEEdlLi256ELb0EvE4sortIPKdPdPKlPlEEvT_T0_T1_T2_jjjjRNS5_12storage_typeE: ; @_ZN7rocprim17ROCPRIM_400000_NS6detail26segmented_warp_sort_helperINS1_20WarpSortHelperConfigILj16ELj16ELj256EEEdlLi256ELb0EvE4sortIPKdPdPKlPlEEvT_T0_T1_T2_jjjjRNS5_12storage_typeE
; %bb.0:
	s_waitcnt vmcnt(0) expcnt(0) lgkmcnt(0)
	v_mov_b32_e32 v10, v9
	v_mbcnt_lo_u32_b32 v9, -1, 0
	v_mov_b32_e32 v84, -1
	v_bfrev_b32_e32 v85, -2
	v_sub_nc_u32_e32 v13, v10, v8
	v_lshlrev_b32_e32 v167, 4, v9
	v_mov_b32_e32 v9, 0
	v_and_b32_e32 v166, 0xf0, v167
	v_lshlrev_b64 v[11:12], 3, v[8:9]
	v_mov_b32_e32 v8, v84
	v_mov_b32_e32 v9, v85
	v_lshlrev_b32_e32 v10, 3, v166
	v_add_co_u32 v0, vcc_lo, v0, v11
	v_add_co_ci_u32_e64 v1, null, v1, v12, vcc_lo
	v_add_co_u32 v0, vcc_lo, v0, v10
	v_add_co_ci_u32_e64 v1, null, 0, v1, vcc_lo
	v_cmp_lt_u32_e32 vcc_lo, v166, v13
	s_and_saveexec_b32 s4, vcc_lo
	s_cbranch_execz .LBB1231_2
; %bb.1:
	flat_load_dwordx2 v[8:9], v[0:1]
.LBB1231_2:
	s_or_b32 exec_lo, exec_lo, s4
	v_or_b32_e32 v14, 1, v166
	v_cmp_lt_u32_e64 s4, v14, v13
	s_and_saveexec_b32 s5, s4
	s_cbranch_execz .LBB1231_4
; %bb.3:
	flat_load_dwordx2 v[84:85], v[0:1] offset:8
.LBB1231_4:
	s_or_b32 exec_lo, exec_lo, s5
	v_bfrev_b32_e32 v83, -2
	v_or_b32_e32 v14, 2, v166
	v_mov_b32_e32 v82, -1
	v_mov_b32_e32 v99, v83
	v_cmp_lt_u32_e64 s5, v14, v13
	v_mov_b32_e32 v98, v82
	s_and_saveexec_b32 s6, s5
	s_cbranch_execz .LBB1231_6
; %bb.5:
	flat_load_dwordx2 v[98:99], v[0:1] offset:16
.LBB1231_6:
	s_or_b32 exec_lo, exec_lo, s6
	v_or_b32_e32 v14, 3, v166
	v_cmp_lt_u32_e64 s6, v14, v13
	s_and_saveexec_b32 s7, s6
	s_cbranch_execz .LBB1231_8
; %bb.7:
	flat_load_dwordx2 v[82:83], v[0:1] offset:24
.LBB1231_8:
	s_or_b32 exec_lo, exec_lo, s7
	v_bfrev_b32_e32 v81, -2
	v_or_b32_e32 v14, 4, v166
	v_mov_b32_e32 v80, -1
	v_mov_b32_e32 v97, v81
	v_cmp_lt_u32_e64 s7, v14, v13
	v_mov_b32_e32 v96, v80
	s_and_saveexec_b32 s10, s7
	s_cbranch_execz .LBB1231_10
; %bb.9:
	flat_load_dwordx2 v[96:97], v[0:1] offset:32
.LBB1231_10:
	;; [unrolled: 20-line block ×4, first 2 shown]
	s_or_b32 exec_lo, exec_lo, s14
	v_or_b32_e32 v14, 9, v166
	v_cmp_lt_u32_e64 s14, v14, v13
	s_and_saveexec_b32 s15, s14
	s_cbranch_execz .LBB1231_20
; %bb.19:
	flat_load_dwordx2 v[64:65], v[0:1] offset:72
.LBB1231_20:
	s_or_b32 exec_lo, exec_lo, s15
	v_mov_b32_e32 v100, -1
	v_or_b32_e32 v14, 10, v166
	v_bfrev_b32_e32 v101, -2
	v_mov_b32_e32 v54, v100
	v_cmp_lt_u32_e64 s15, v14, v13
	v_mov_b32_e32 v55, v101
	s_and_saveexec_b32 s16, s15
	s_cbranch_execz .LBB1231_22
; %bb.21:
	flat_load_dwordx2 v[54:55], v[0:1] offset:80
.LBB1231_22:
	s_or_b32 exec_lo, exec_lo, s16
	v_or_b32_e32 v14, 11, v166
	v_cmp_lt_u32_e64 s16, v14, v13
	s_and_saveexec_b32 s17, s16
	s_cbranch_execz .LBB1231_24
; %bb.23:
	flat_load_dwordx2 v[100:101], v[0:1] offset:88
.LBB1231_24:
	s_or_b32 exec_lo, exec_lo, s17
	v_bfrev_b32_e32 v49, -2
	v_or_b32_e32 v14, 12, v166
	v_mov_b32_e32 v48, -1
	v_mov_b32_e32 v53, v49
	v_cmp_lt_u32_e64 s17, v14, v13
	v_mov_b32_e32 v52, v48
	s_and_saveexec_b32 s18, s17
	s_cbranch_execz .LBB1231_26
; %bb.25:
	flat_load_dwordx2 v[52:53], v[0:1] offset:96
.LBB1231_26:
	s_or_b32 exec_lo, exec_lo, s18
	v_or_b32_e32 v14, 13, v166
	v_cmp_lt_u32_e64 s18, v14, v13
	s_and_saveexec_b32 s19, s18
	s_cbranch_execz .LBB1231_28
; %bb.27:
	flat_load_dwordx2 v[48:49], v[0:1] offset:104
.LBB1231_28:
	s_or_b32 exec_lo, exec_lo, s19
	v_bfrev_b32_e32 v16, -2
	v_or_b32_e32 v14, 14, v166
	v_mov_b32_e32 v15, -1
	v_mov_b32_e32 v67, v16
	v_cmp_lt_u32_e64 s19, v14, v13
	v_mov_b32_e32 v66, v15
	s_and_saveexec_b32 s20, s19
	s_cbranch_execz .LBB1231_30
; %bb.29:
	flat_load_dwordx2 v[66:67], v[0:1] offset:112
.LBB1231_30:
	s_or_b32 exec_lo, exec_lo, s20
	v_or_b32_e32 v14, 15, v166
	v_cmp_lt_u32_e64 s20, v14, v13
	s_and_saveexec_b32 s23, s20
	s_cbranch_execz .LBB1231_32
; %bb.31:
	flat_load_dwordx2 v[15:16], v[0:1] offset:120
.LBB1231_32:
	s_or_b32 exec_lo, exec_lo, s23
	v_add_co_u32 v0, s23, v4, v11
	v_add_co_ci_u32_e64 v1, null, v5, v12, s23
	v_add_co_u32 v112, s23, v0, v10
	v_add_co_ci_u32_e64 v113, null, 0, v1, s23
	; wave barrier
                                        ; implicit-def: $vgpr0_vgpr1
	s_and_saveexec_b32 s23, vcc_lo
	s_cbranch_execnz .LBB1231_613
; %bb.33:
	s_or_b32 exec_lo, exec_lo, s23
	s_and_saveexec_b32 s23, s4
                                        ; implicit-def: $vgpr4_vgpr5
	s_cbranch_execnz .LBB1231_614
.LBB1231_34:
	s_or_b32 exec_lo, exec_lo, s23
                                        ; implicit-def: $vgpr13_vgpr14
	s_and_saveexec_b32 s23, s5
	s_cbranch_execnz .LBB1231_615
.LBB1231_35:
	s_or_b32 exec_lo, exec_lo, s23
	s_and_saveexec_b32 s23, s6
                                        ; implicit-def: $vgpr17_vgpr18
	s_cbranch_execnz .LBB1231_616
.LBB1231_36:
	s_or_b32 exec_lo, exec_lo, s23
                                        ; implicit-def: $vgpr19_vgpr20
	s_and_saveexec_b32 s23, s7
	s_cbranch_execnz .LBB1231_617
.LBB1231_37:
	s_or_b32 exec_lo, exec_lo, s23
	s_and_saveexec_b32 s23, s10
                                        ; implicit-def: $vgpr21_vgpr22
	s_cbranch_execnz .LBB1231_618
.LBB1231_38:
	s_or_b32 exec_lo, exec_lo, s23
                                        ; implicit-def: $vgpr23_vgpr24
	s_and_saveexec_b32 s23, s11
	s_cbranch_execnz .LBB1231_619
.LBB1231_39:
	s_or_b32 exec_lo, exec_lo, s23
	s_and_saveexec_b32 s23, s21
                                        ; implicit-def: $vgpr25_vgpr26
	s_cbranch_execnz .LBB1231_620
.LBB1231_40:
	s_or_b32 exec_lo, exec_lo, s23
                                        ; implicit-def: $vgpr27_vgpr28
	s_and_saveexec_b32 s23, s22
	s_cbranch_execnz .LBB1231_621
.LBB1231_41:
	s_or_b32 exec_lo, exec_lo, s23
	s_and_saveexec_b32 s23, s14
                                        ; implicit-def: $vgpr29_vgpr30
	s_cbranch_execnz .LBB1231_622
.LBB1231_42:
	s_or_b32 exec_lo, exec_lo, s23
                                        ; implicit-def: $vgpr32_vgpr33
	s_and_saveexec_b32 s23, s15
	s_cbranch_execnz .LBB1231_623
.LBB1231_43:
	s_or_b32 exec_lo, exec_lo, s23
	s_and_saveexec_b32 s23, s16
                                        ; implicit-def: $vgpr34_vgpr35
	s_cbranch_execnz .LBB1231_624
.LBB1231_44:
	s_or_b32 exec_lo, exec_lo, s23
                                        ; implicit-def: $vgpr38_vgpr39
	s_and_saveexec_b32 s23, s17
	s_cbranch_execnz .LBB1231_625
.LBB1231_45:
	s_or_b32 exec_lo, exec_lo, s23
	s_and_saveexec_b32 s23, s18
                                        ; implicit-def: $vgpr50_vgpr51
	s_cbranch_execnz .LBB1231_626
.LBB1231_46:
	s_or_b32 exec_lo, exec_lo, s23
                                        ; implicit-def: $vgpr36_vgpr37
	s_and_saveexec_b32 s23, s19
	s_cbranch_execnz .LBB1231_627
.LBB1231_47:
	s_or_b32 exec_lo, exec_lo, s23
	s_and_saveexec_b32 s23, s20
                                        ; implicit-def: $vgpr102_vgpr103
	s_cbranch_execz .LBB1231_49
.LBB1231_48:
	flat_load_dwordx2 v[102:103], v[112:113] offset:120
.LBB1231_49:
	s_or_b32 exec_lo, exec_lo, s23
	; wave barrier
	s_load_dwordx2 s[24:25], s[8:9], 0x0
	v_mov_b32_e32 v112, 0
	v_bfe_u32 v114, v31, 10, 10
	v_bfe_u32 v115, v31, 20, 10
	v_and_b32_e32 v31, 0x3ff, v31
	s_waitcnt lgkmcnt(0)
	s_cmp_lt_u32 s13, s25
	s_cselect_b32 s13, 14, 20
	s_add_u32 s26, s8, s13
	s_addc_u32 s27, s9, 0
	s_cmp_lt_u32 s12, s24
	global_load_ushort v113, v112, s[26:27]
	s_cselect_b32 s12, 12, 18
	s_add_u32 s8, s8, s12
	s_addc_u32 s9, s9, 0
	global_load_ushort v112, v112, s[8:9]
	s_mov_b32 s9, exec_lo
	s_waitcnt vmcnt(1)
	v_mad_u32_u24 v113, v115, v113, v114
	s_waitcnt vmcnt(0)
	v_mul_lo_u32 v112, v113, v112
	v_add_lshl_u32 v160, v112, v31, 4
	v_cmpx_gt_u32_e32 0x1000, v160
	s_cbranch_execz .LBB1231_291
; %bb.50:
	v_add_f64 v[112:113], v[8:9], 0
	v_add_f64 v[114:115], v[84:85], 0
	v_ashrrev_i32_e32 v31, 31, v113
	v_ashrrev_i32_e32 v116, 31, v115
	v_or_b32_e32 v117, 0x80000000, v31
	v_or_b32_e32 v118, 0x80000000, v116
	v_xor_b32_e32 v112, v31, v112
	v_xor_b32_e32 v114, v116, v114
	;; [unrolled: 1-line block ×4, first 2 shown]
	v_cmp_gt_u64_e64 s8, v[112:113], v[114:115]
	v_mov_b32_e32 v113, v85
	v_mov_b32_e32 v115, v5
	;; [unrolled: 1-line block ×4, first 2 shown]
	s_and_saveexec_b32 s12, s8
	s_cbranch_execz .LBB1231_52
; %bb.51:
	v_mov_b32_e32 v113, v9
	v_mov_b32_e32 v115, v1
	v_mov_b32_e32 v112, v8
	v_mov_b32_e32 v8, v84
	v_mov_b32_e32 v114, v0
	v_mov_b32_e32 v0, v4
	v_mov_b32_e32 v9, v85
	v_mov_b32_e32 v1, v5
.LBB1231_52:
	s_or_b32 exec_lo, exec_lo, s12
	v_add_f64 v[4:5], v[98:99], 0
	v_add_f64 v[84:85], v[82:83], 0
	v_ashrrev_i32_e32 v31, 31, v5
	v_ashrrev_i32_e32 v116, 31, v85
	v_or_b32_e32 v117, 0x80000000, v31
	v_or_b32_e32 v118, 0x80000000, v116
	v_xor_b32_e32 v4, v31, v4
	v_xor_b32_e32 v84, v116, v84
	v_xor_b32_e32 v5, v117, v5
	v_xor_b32_e32 v85, v118, v85
	v_mov_b32_e32 v117, v18
	v_mov_b32_e32 v116, v17
	v_cmp_gt_u64_e64 s8, v[4:5], v[84:85]
	v_mov_b32_e32 v85, v83
	v_mov_b32_e32 v84, v82
	s_and_saveexec_b32 s12, s8
	s_cbranch_execz .LBB1231_54
; %bb.53:
	v_mov_b32_e32 v84, v98
	v_mov_b32_e32 v117, v14
	v_mov_b32_e32 v85, v99
	v_mov_b32_e32 v99, v83
	v_mov_b32_e32 v116, v13
	v_mov_b32_e32 v13, v17
	v_mov_b32_e32 v98, v82
	v_mov_b32_e32 v14, v18
.LBB1231_54:
	s_or_b32 exec_lo, exec_lo, s12
	v_add_f64 v[4:5], v[96:97], 0
	v_add_f64 v[17:18], v[80:81], 0
	v_ashrrev_i32_e32 v31, 31, v5
	v_ashrrev_i32_e32 v82, 31, v18
	v_or_b32_e32 v83, 0x80000000, v31
	v_or_b32_e32 v118, 0x80000000, v82
	v_xor_b32_e32 v4, v31, v4
	v_xor_b32_e32 v17, v82, v17
	v_xor_b32_e32 v5, v83, v5
	v_xor_b32_e32 v18, v118, v18
	v_mov_b32_e32 v83, v22
	v_mov_b32_e32 v82, v21
	v_cmp_gt_u64_e64 s8, v[4:5], v[17:18]
	v_mov_b32_e32 v17, v80
	v_mov_b32_e32 v18, v81
	;; [unrolled: 28-line block ×4, first 2 shown]
	s_and_saveexec_b32 s12, s8
	s_cbranch_execz .LBB1231_60
; %bb.59:
	v_mov_b32_e32 v25, v68
	v_mov_b32_e32 v71, v28
	;; [unrolled: 1-line block ×8, first 2 shown]
.LBB1231_60:
	s_or_b32 exec_lo, exec_lo, s12
	v_add_f64 v[4:5], v[54:55], 0
	v_add_f64 v[29:30], v[100:101], 0
	v_mov_b32_e32 v129, v101
	v_mov_b32_e32 v128, v100
	s_mov_b32 s12, exec_lo
	v_ashrrev_i32_e32 v31, 31, v5
	v_ashrrev_i32_e32 v64, 31, v30
	v_or_b32_e32 v65, 0x80000000, v31
	v_or_b32_e32 v118, 0x80000000, v64
	v_xor_b32_e32 v29, v64, v29
	v_xor_b32_e32 v4, v31, v4
	;; [unrolled: 1-line block ×3, first 2 shown]
	v_mov_b32_e32 v65, v35
	v_xor_b32_e32 v30, v118, v30
	v_mov_b32_e32 v64, v34
	v_cmpx_gt_u64_e64 v[4:5], v[29:30]
	s_cbranch_execz .LBB1231_62
; %bb.61:
	v_mov_b32_e32 v129, v55
	v_mov_b32_e32 v65, v33
	;; [unrolled: 1-line block ×8, first 2 shown]
.LBB1231_62:
	s_or_b32 exec_lo, exec_lo, s12
	v_add_f64 v[4:5], v[52:53], 0
	v_add_f64 v[29:30], v[48:49], 0
	v_mov_b32_e32 v119, v53
	v_mov_b32_e32 v118, v52
	v_ashrrev_i32_e32 v31, 31, v5
	v_ashrrev_i32_e32 v34, 31, v30
	v_or_b32_e32 v35, 0x80000000, v31
	v_or_b32_e32 v100, 0x80000000, v34
	v_xor_b32_e32 v4, v31, v4
	v_xor_b32_e32 v29, v34, v29
	;; [unrolled: 1-line block ×4, first 2 shown]
	v_cmp_gt_u64_e64 s8, v[4:5], v[29:30]
	v_mov_b32_e32 v29, v50
	v_mov_b32_e32 v30, v51
	s_and_saveexec_b32 s12, s8
	s_cbranch_execz .LBB1231_64
; %bb.63:
	v_mov_b32_e32 v29, v38
	v_mov_b32_e32 v119, v49
	v_mov_b32_e32 v30, v39
	v_mov_b32_e32 v38, v50
	v_mov_b32_e32 v118, v48
	v_mov_b32_e32 v48, v52
	v_mov_b32_e32 v39, v51
	v_mov_b32_e32 v49, v53
.LBB1231_64:
	s_or_b32 exec_lo, exec_lo, s12
	v_add_f64 v[4:5], v[66:67], 0
	v_add_f64 v[34:35], v[15:16], 0
	v_ashrrev_i32_e32 v31, 31, v5
	v_ashrrev_i32_e32 v50, 31, v35
	v_or_b32_e32 v51, 0x80000000, v31
	v_or_b32_e32 v52, 0x80000000, v50
	v_xor_b32_e32 v4, v31, v4
	v_xor_b32_e32 v34, v50, v34
	;; [unrolled: 1-line block ×4, first 2 shown]
	v_mov_b32_e32 v52, v66
	v_mov_b32_e32 v53, v67
	v_cmp_gt_u64_e64 s8, v[4:5], v[34:35]
	v_mov_b32_e32 v4, v102
	v_mov_b32_e32 v5, v103
	s_and_saveexec_b32 s12, s8
	s_cbranch_execz .LBB1231_66
; %bb.65:
	v_mov_b32_e32 v4, v36
	v_mov_b32_e32 v53, v16
	;; [unrolled: 1-line block ×8, first 2 shown]
.LBB1231_66:
	s_or_b32 exec_lo, exec_lo, s12
	v_add_f64 v[34:35], v[112:113], 0
	v_add_f64 v[50:51], v[98:99], 0
	v_ashrrev_i32_e32 v31, 31, v35
	v_ashrrev_i32_e32 v66, 31, v51
	v_or_b32_e32 v67, 0x80000000, v31
	v_or_b32_e32 v100, 0x80000000, v66
	v_xor_b32_e32 v34, v31, v34
	v_xor_b32_e32 v50, v66, v50
	v_xor_b32_e32 v35, v67, v35
	v_xor_b32_e32 v51, v100, v51
	v_mov_b32_e32 v67, v14
	v_mov_b32_e32 v66, v13
	v_cmp_gt_u64_e64 s8, v[34:35], v[50:51]
	v_mov_b32_e32 v34, v98
	v_mov_b32_e32 v35, v99
	s_and_saveexec_b32 s12, s8
	s_xor_b32 s8, exec_lo, s12
	s_cbranch_execz .LBB1231_68
; %bb.67:
	v_mov_b32_e32 v34, v112
	v_mov_b32_e32 v66, v114
	v_mov_b32_e32 v35, v113
	v_mov_b32_e32 v113, v99
	v_mov_b32_e32 v67, v115
	v_mov_b32_e32 v115, v14
	v_mov_b32_e32 v112, v98
	v_mov_b32_e32 v114, v13
.LBB1231_68:
	s_or_b32 exec_lo, exec_lo, s8
	v_add_f64 v[13:14], v[84:85], 0
	v_add_f64 v[50:51], v[96:97], 0
	v_ashrrev_i32_e32 v31, 31, v14
	v_ashrrev_i32_e32 v98, 31, v51
	v_or_b32_e32 v99, 0x80000000, v31
	v_or_b32_e32 v100, 0x80000000, v98
	v_xor_b32_e32 v13, v31, v13
	v_xor_b32_e32 v50, v98, v50
	v_xor_b32_e32 v14, v99, v14
	v_xor_b32_e32 v51, v100, v51
	v_mov_b32_e32 v99, v20
	v_mov_b32_e32 v98, v19
	v_cmp_gt_u64_e64 s8, v[13:14], v[50:51]
	v_mov_b32_e32 v50, v96
	v_mov_b32_e32 v51, v97
	s_and_saveexec_b32 s12, s8
	s_cbranch_execz .LBB1231_70
; %bb.69:
	v_mov_b32_e32 v50, v84
	v_mov_b32_e32 v98, v116
	v_mov_b32_e32 v51, v85
	v_mov_b32_e32 v84, v96
	v_mov_b32_e32 v99, v117
	v_mov_b32_e32 v117, v20
	v_mov_b32_e32 v85, v97
	v_mov_b32_e32 v116, v19
.LBB1231_70:
	s_or_b32 exec_lo, exec_lo, s12
	v_add_f64 v[13:14], v[17:18], 0
	v_add_f64 v[19:20], v[86:87], 0
	v_ashrrev_i32_e32 v31, 31, v14
	v_ashrrev_i32_e32 v96, 31, v20
	v_or_b32_e32 v97, 0x80000000, v31
	v_or_b32_e32 v100, 0x80000000, v96
	v_xor_b32_e32 v13, v31, v13
	v_xor_b32_e32 v19, v96, v19
	v_xor_b32_e32 v14, v97, v14
	v_xor_b32_e32 v20, v100, v20
	v_mov_b32_e32 v97, v24
	v_mov_b32_e32 v96, v23
	v_cmp_gt_u64_e64 s8, v[13:14], v[19:20]
	v_mov_b32_e32 v19, v86
	v_mov_b32_e32 v20, v87
	s_and_saveexec_b32 s12, s8
	;; [unrolled: 28-line block ×8, first 2 shown]
	s_cbranch_execz .LBB1231_84
; %bb.83:
	v_mov_b32_e32 v39, v35
	v_mov_b32_e32 v113, v67
	v_mov_b32_e32 v38, v34
	v_mov_b32_e32 v34, v84
	v_mov_b32_e32 v112, v66
	v_mov_b32_e32 v66, v116
	v_mov_b32_e32 v35, v85
	v_mov_b32_e32 v67, v117
.LBB1231_84:
	s_or_b32 exec_lo, exec_lo, s12
	v_add_f64 v[48:49], v[50:51], 0
	v_add_f64 v[84:85], v[17:18], 0
	v_ashrrev_i32_e32 v33, 31, v49
	v_ashrrev_i32_e32 v114, 31, v85
	v_or_b32_e32 v115, 0x80000000, v33
	v_or_b32_e32 v116, 0x80000000, v114
	v_xor_b32_e32 v48, v33, v48
	v_xor_b32_e32 v84, v114, v84
	v_xor_b32_e32 v49, v115, v49
	v_xor_b32_e32 v85, v116, v85
	v_cmp_gt_u64_e64 s8, v[48:49], v[84:85]
	v_mov_b32_e32 v49, v18
	v_mov_b32_e32 v85, v83
	v_mov_b32_e32 v48, v17
	v_mov_b32_e32 v84, v82
	s_and_saveexec_b32 s12, s8
	s_cbranch_execz .LBB1231_86
; %bb.85:
	v_mov_b32_e32 v48, v50
	v_mov_b32_e32 v84, v98
	v_mov_b32_e32 v49, v51
	v_mov_b32_e32 v51, v18
	v_mov_b32_e32 v85, v99
	v_mov_b32_e32 v99, v83
	v_mov_b32_e32 v50, v17
	v_mov_b32_e32 v98, v82
.LBB1231_86:
	s_or_b32 exec_lo, exec_lo, s12
	v_add_f64 v[17:18], v[19:20], 0
	v_add_f64 v[82:83], v[21:22], 0
	v_ashrrev_i32_e32 v33, 31, v18
	v_ashrrev_i32_e32 v114, 31, v83
	v_or_b32_e32 v115, 0x80000000, v33
	v_or_b32_e32 v116, 0x80000000, v114
	v_xor_b32_e32 v17, v33, v17
	v_xor_b32_e32 v82, v114, v82
	v_xor_b32_e32 v18, v115, v18
	v_xor_b32_e32 v83, v116, v83
	v_cmp_gt_u64_e64 s8, v[17:18], v[82:83]
	v_mov_b32_e32 v17, v21
	v_mov_b32_e32 v83, v81
	v_mov_b32_e32 v18, v22
	v_mov_b32_e32 v82, v80
	s_and_saveexec_b32 s12, s8
	;; [unrolled: 28-line block ×3, first 2 shown]
	s_cbranch_execz .LBB1231_90
; %bb.89:
	v_mov_b32_e32 v21, v23
	v_mov_b32_e32 v80, v86
	;; [unrolled: 1-line block ×8, first 2 shown]
.LBB1231_90:
	s_or_b32 exec_lo, exec_lo, s12
	v_add_f64 v[25:26], v[27:28], 0
	v_add_f64 v[70:71], v[13:14], 0
	v_mov_b32_e32 v129, v14
	v_mov_b32_e32 v128, v13
	v_ashrrev_i32_e32 v33, 31, v26
	v_ashrrev_i32_e32 v114, 31, v71
	v_or_b32_e32 v115, 0x80000000, v33
	v_or_b32_e32 v116, 0x80000000, v114
	v_xor_b32_e32 v25, v33, v25
	v_xor_b32_e32 v70, v114, v70
	;; [unrolled: 1-line block ×4, first 2 shown]
	v_cmp_gt_u64_e64 s8, v[25:26], v[70:71]
	v_mov_b32_e32 v71, v65
	v_mov_b32_e32 v70, v64
	s_and_saveexec_b32 s12, s8
	s_cbranch_execz .LBB1231_92
; %bb.91:
	v_mov_b32_e32 v129, v28
	v_mov_b32_e32 v71, v69
	;; [unrolled: 1-line block ×8, first 2 shown]
.LBB1231_92:
	s_or_b32 exec_lo, exec_lo, s12
	v_add_f64 v[13:14], v[118:119], 0
	v_add_f64 v[25:26], v[100:101], 0
	v_mov_b32_e32 v116, v118
	v_mov_b32_e32 v117, v119
	v_ashrrev_i32_e32 v33, 31, v14
	v_ashrrev_i32_e32 v64, 31, v26
	v_or_b32_e32 v65, 0x80000000, v33
	v_or_b32_e32 v114, 0x80000000, v64
	v_xor_b32_e32 v13, v33, v13
	v_xor_b32_e32 v25, v64, v25
	;; [unrolled: 1-line block ×4, first 2 shown]
	v_cmp_gt_u64_e64 s8, v[13:14], v[25:26]
	v_mov_b32_e32 v25, v29
	v_mov_b32_e32 v26, v30
	s_and_saveexec_b32 s12, s8
	s_cbranch_execz .LBB1231_94
; %bb.93:
	v_mov_b32_e32 v25, v54
	v_mov_b32_e32 v117, v101
	v_mov_b32_e32 v26, v55
	v_mov_b32_e32 v55, v30
	v_mov_b32_e32 v116, v100
	v_mov_b32_e32 v100, v118
	v_mov_b32_e32 v54, v29
	v_mov_b32_e32 v101, v119
.LBB1231_94:
	s_or_b32 exec_lo, exec_lo, s12
	v_add_f64 v[13:14], v[52:53], 0
	v_add_f64 v[29:30], v[15:16], 0
	v_ashrrev_i32_e32 v33, 31, v14
	v_ashrrev_i32_e32 v64, 31, v30
	v_or_b32_e32 v65, 0x80000000, v33
	v_or_b32_e32 v114, 0x80000000, v64
	v_xor_b32_e32 v13, v33, v13
	v_xor_b32_e32 v29, v64, v29
	v_xor_b32_e32 v14, v65, v14
	v_xor_b32_e32 v30, v114, v30
	v_mov_b32_e32 v65, v53
	v_mov_b32_e32 v64, v52
	v_cmp_gt_u64_e64 s8, v[13:14], v[29:30]
	v_mov_b32_e32 v14, v5
	v_mov_b32_e32 v13, v4
	s_and_saveexec_b32 s12, s8
	s_cbranch_execz .LBB1231_96
; %bb.95:
	v_mov_b32_e32 v13, v31
	v_mov_b32_e32 v65, v16
	v_mov_b32_e32 v14, v32
	v_mov_b32_e32 v32, v5
	v_mov_b32_e32 v64, v15
	v_mov_b32_e32 v15, v52
	v_mov_b32_e32 v31, v4
	v_mov_b32_e32 v16, v53
.LBB1231_96:
	s_or_b32 exec_lo, exec_lo, s12
	v_add_f64 v[4:5], v[36:37], 0
	v_add_f64 v[29:30], v[34:35], 0
	v_ashrrev_i32_e32 v33, 31, v5
	v_ashrrev_i32_e32 v52, 31, v30
	v_or_b32_e32 v53, 0x80000000, v33
	v_or_b32_e32 v114, 0x80000000, v52
	v_xor_b32_e32 v4, v33, v4
	v_xor_b32_e32 v29, v52, v29
	v_xor_b32_e32 v5, v53, v5
	v_xor_b32_e32 v30, v114, v30
	v_mov_b32_e32 v115, v67
	v_mov_b32_e32 v114, v66
	;; [unrolled: 28-line block ×13, first 2 shown]
	v_cmp_gt_u64_e64 s8, v[17:18], v[54:55]
	v_mov_b32_e32 v17, v21
	v_mov_b32_e32 v18, v22
	s_and_saveexec_b32 s12, s8
	s_cbranch_execz .LBB1231_120
; %bb.119:
	v_mov_b32_e32 v17, v19
	v_mov_b32_e32 v82, v96
	;; [unrolled: 1-line block ×8, first 2 shown]
.LBB1231_120:
	s_or_b32 exec_lo, exec_lo, s12
	v_add_f64 v[21:22], v[23:24], 0
	v_add_f64 v[54:55], v[4:5], 0
	v_mov_b32_e32 v129, v5
	v_mov_b32_e32 v128, v4
	s_mov_b32 s12, exec_lo
	v_ashrrev_i32_e32 v39, 31, v22
	v_ashrrev_i32_e32 v80, 31, v55
	v_or_b32_e32 v81, 0x80000000, v39
	v_or_b32_e32 v118, 0x80000000, v80
	v_xor_b32_e32 v54, v80, v54
	v_xor_b32_e32 v21, v39, v21
	;; [unrolled: 1-line block ×3, first 2 shown]
	v_mov_b32_e32 v81, v71
	v_xor_b32_e32 v55, v118, v55
	v_mov_b32_e32 v80, v70
	v_cmpx_gt_u64_e64 v[21:22], v[54:55]
	s_cbranch_execz .LBB1231_122
; %bb.121:
	v_mov_b32_e32 v129, v24
	v_mov_b32_e32 v80, v86
	;; [unrolled: 1-line block ×8, first 2 shown]
.LBB1231_122:
	s_or_b32 exec_lo, exec_lo, s12
	v_add_f64 v[4:5], v[116:117], 0
	v_add_f64 v[21:22], v[68:69], 0
	v_mov_b32_e32 v119, v117
	v_mov_b32_e32 v118, v116
	v_ashrrev_i32_e32 v39, 31, v5
	v_ashrrev_i32_e32 v54, 31, v22
	v_or_b32_e32 v55, 0x80000000, v39
	v_or_b32_e32 v70, 0x80000000, v54
	v_xor_b32_e32 v4, v39, v4
	v_xor_b32_e32 v21, v54, v21
	;; [unrolled: 1-line block ×4, first 2 shown]
	v_cmp_gt_u64_e64 s8, v[4:5], v[21:22]
	v_mov_b32_e32 v21, v25
	v_mov_b32_e32 v22, v26
	s_and_saveexec_b32 s12, s8
	s_cbranch_execz .LBB1231_124
; %bb.123:
	v_mov_b32_e32 v21, v52
	v_mov_b32_e32 v119, v69
	v_mov_b32_e32 v22, v53
	v_mov_b32_e32 v53, v26
	v_mov_b32_e32 v118, v68
	v_mov_b32_e32 v68, v116
	v_mov_b32_e32 v52, v25
	v_mov_b32_e32 v69, v117
.LBB1231_124:
	s_or_b32 exec_lo, exec_lo, s12
	v_add_f64 v[4:5], v[64:65], 0
	v_add_f64 v[25:26], v[15:16], 0
	v_ashrrev_i32_e32 v39, 31, v5
	v_ashrrev_i32_e32 v54, 31, v26
	v_or_b32_e32 v55, 0x80000000, v39
	v_or_b32_e32 v70, 0x80000000, v54
	v_xor_b32_e32 v4, v39, v4
	v_xor_b32_e32 v25, v54, v25
	v_xor_b32_e32 v5, v55, v5
	v_xor_b32_e32 v26, v70, v26
	v_mov_b32_e32 v71, v65
	v_mov_b32_e32 v70, v64
	v_cmp_gt_u64_e64 s8, v[4:5], v[25:26]
	v_mov_b32_e32 v4, v13
	v_mov_b32_e32 v5, v14
	s_and_saveexec_b32 s12, s8
	s_cbranch_execz .LBB1231_126
; %bb.125:
	v_mov_b32_e32 v4, v27
	v_mov_b32_e32 v71, v16
	v_mov_b32_e32 v5, v28
	v_mov_b32_e32 v28, v14
	v_mov_b32_e32 v70, v15
	v_mov_b32_e32 v15, v64
	v_mov_b32_e32 v27, v13
	v_mov_b32_e32 v16, v65
.LBB1231_126:
	s_or_b32 exec_lo, exec_lo, s12
	v_add_f64 v[13:14], v[31:32], 0
	v_add_f64 v[25:26], v[29:30], 0
	v_ashrrev_i32_e32 v39, 31, v14
	v_ashrrev_i32_e32 v54, 31, v26
	v_or_b32_e32 v55, 0x80000000, v39
	v_or_b32_e32 v64, 0x80000000, v54
	v_xor_b32_e32 v13, v39, v13
	v_xor_b32_e32 v25, v54, v25
	v_xor_b32_e32 v14, v55, v14
	v_xor_b32_e32 v26, v64, v26
	v_mov_b32_e32 v64, v114
	v_mov_b32_e32 v65, v115
	;; [unrolled: 28-line block ×13, first 2 shown]
	v_cmp_gt_u64_e64 s8, v[48:49], v[52:53]
	v_mov_b32_e32 v49, v18
	v_mov_b32_e32 v48, v17
	s_and_saveexec_b32 s12, s8
	s_cbranch_execz .LBB1231_150
; %bb.149:
	v_mov_b32_e32 v48, v50
	v_mov_b32_e32 v84, v98
	;; [unrolled: 1-line block ×8, first 2 shown]
.LBB1231_150:
	s_or_b32 exec_lo, exec_lo, s12
	v_add_f64 v[17:18], v[19:20], 0
	v_add_f64 v[52:53], v[13:14], 0
	v_mov_b32_e32 v129, v14
	v_mov_b32_e32 v128, v13
	s_mov_b32 s12, exec_lo
	v_ashrrev_i32_e32 v39, 31, v18
	v_ashrrev_i32_e32 v82, 31, v53
	v_or_b32_e32 v83, 0x80000000, v39
	v_or_b32_e32 v116, 0x80000000, v82
	v_xor_b32_e32 v52, v82, v52
	v_xor_b32_e32 v17, v39, v17
	;; [unrolled: 1-line block ×3, first 2 shown]
	v_mov_b32_e32 v83, v81
	v_xor_b32_e32 v53, v116, v53
	v_mov_b32_e32 v82, v80
	v_cmpx_gt_u64_e64 v[17:18], v[52:53]
	s_cbranch_execz .LBB1231_152
; %bb.151:
	v_mov_b32_e32 v129, v20
	v_mov_b32_e32 v82, v96
	;; [unrolled: 1-line block ×8, first 2 shown]
.LBB1231_152:
	s_or_b32 exec_lo, exec_lo, s12
	v_add_f64 v[13:14], v[118:119], 0
	v_add_f64 v[17:18], v[86:87], 0
	v_mov_b32_e32 v116, v118
	v_mov_b32_e32 v117, v119
	v_ashrrev_i32_e32 v39, 31, v14
	v_ashrrev_i32_e32 v52, 31, v18
	v_or_b32_e32 v53, 0x80000000, v39
	v_or_b32_e32 v80, 0x80000000, v52
	v_xor_b32_e32 v13, v39, v13
	v_xor_b32_e32 v17, v52, v17
	;; [unrolled: 1-line block ×4, first 2 shown]
	v_cmp_gt_u64_e64 s8, v[13:14], v[17:18]
	v_mov_b32_e32 v17, v21
	v_mov_b32_e32 v18, v22
	s_and_saveexec_b32 s12, s8
	s_cbranch_execz .LBB1231_154
; %bb.153:
	v_mov_b32_e32 v17, v54
	v_mov_b32_e32 v117, v87
	v_mov_b32_e32 v18, v55
	v_mov_b32_e32 v55, v22
	v_mov_b32_e32 v116, v86
	v_mov_b32_e32 v86, v118
	v_mov_b32_e32 v54, v21
	v_mov_b32_e32 v87, v119
.LBB1231_154:
	s_or_b32 exec_lo, exec_lo, s12
	v_add_f64 v[13:14], v[70:71], 0
	v_add_f64 v[21:22], v[15:16], 0
	v_ashrrev_i32_e32 v39, 31, v14
	v_ashrrev_i32_e32 v52, 31, v22
	v_or_b32_e32 v53, 0x80000000, v39
	v_or_b32_e32 v80, 0x80000000, v52
	v_xor_b32_e32 v13, v39, v13
	v_xor_b32_e32 v21, v52, v21
	v_xor_b32_e32 v14, v53, v14
	v_xor_b32_e32 v22, v80, v22
	v_mov_b32_e32 v81, v71
	v_mov_b32_e32 v80, v70
	v_cmp_gt_u64_e64 s8, v[13:14], v[21:22]
	v_mov_b32_e32 v14, v5
	v_mov_b32_e32 v13, v4
	s_and_saveexec_b32 s12, s8
	s_cbranch_execz .LBB1231_156
; %bb.155:
	v_mov_b32_e32 v13, v23
	v_mov_b32_e32 v81, v16
	v_mov_b32_e32 v14, v24
	v_mov_b32_e32 v24, v5
	v_mov_b32_e32 v80, v15
	v_mov_b32_e32 v15, v70
	v_mov_b32_e32 v23, v4
	v_mov_b32_e32 v16, v71
.LBB1231_156:
	s_or_b32 exec_lo, exec_lo, s12
	v_add_f64 v[4:5], v[27:28], 0
	v_add_f64 v[21:22], v[25:26], 0
	v_ashrrev_i32_e32 v39, 31, v5
	v_ashrrev_i32_e32 v52, 31, v22
	v_or_b32_e32 v53, 0x80000000, v39
	v_or_b32_e32 v70, 0x80000000, v52
	v_xor_b32_e32 v4, v39, v4
	v_xor_b32_e32 v21, v52, v21
	v_xor_b32_e32 v5, v53, v5
	v_xor_b32_e32 v22, v70, v22
	v_mov_b32_e32 v71, v65
	v_mov_b32_e32 v70, v64
	v_cmp_gt_u64_e64 s8, v[4:5], v[21:22]
	v_mov_b32_e32 v21, v25
	v_mov_b32_e32 v22, v26
	s_and_saveexec_b32 s12, s8
	s_cbranch_execz .LBB1231_158
; %bb.157:
	v_mov_b32_e32 v21, v27
	v_mov_b32_e32 v71, v69
	v_mov_b32_e32 v22, v28
	v_mov_b32_e32 v28, v26
	v_mov_b32_e32 v70, v68
	v_mov_b32_e32 v69, v65
	v_mov_b32_e32 v27, v25
	v_mov_b32_e32 v68, v64
.LBB1231_158:
	s_or_b32 exec_lo, exec_lo, s12
	v_add_f64 v[4:5], v[31:32], 0
	v_add_f64 v[25:26], v[29:30], 0
	v_ashrrev_i32_e32 v39, 31, v5
	v_ashrrev_i32_e32 v52, 31, v26
	v_or_b32_e32 v53, 0x80000000, v39
	v_or_b32_e32 v64, 0x80000000, v52
	v_xor_b32_e32 v4, v39, v4
	v_xor_b32_e32 v25, v52, v25
	v_xor_b32_e32 v5, v53, v5
	v_xor_b32_e32 v26, v64, v26
	v_mov_b32_e32 v64, v114
	v_mov_b32_e32 v65, v115
	v_cmp_gt_u64_e64 s8, v[4:5], v[25:26]
	v_mov_b32_e32 v25, v29
	v_mov_b32_e32 v26, v30
	s_and_saveexec_b32 s12, s8
	s_cbranch_execz .LBB1231_160
; %bb.159:
	v_mov_b32_e32 v25, v31
	v_mov_b32_e32 v64, v100
	v_mov_b32_e32 v26, v32
	v_mov_b32_e32 v32, v30
	v_mov_b32_e32 v65, v101
	v_mov_b32_e32 v100, v114
	v_mov_b32_e32 v31, v29
	v_mov_b32_e32 v101, v115
.LBB1231_160:
	s_or_b32 exec_lo, exec_lo, s12
	v_add_f64 v[4:5], v[35:36], 0
	v_add_f64 v[29:30], v[33:34], 0
	v_ashrrev_i32_e32 v39, 31, v5
	v_ashrrev_i32_e32 v52, 31, v30
	v_or_b32_e32 v53, 0x80000000, v39
	v_or_b32_e32 v114, 0x80000000, v52
	v_xor_b32_e32 v4, v39, v4
	v_xor_b32_e32 v29, v52, v29
	v_xor_b32_e32 v5, v53, v5
	v_xor_b32_e32 v30, v114, v30
	v_mov_b32_e32 v115, v67
	v_mov_b32_e32 v114, v66
	v_cmp_gt_u64_e64 s8, v[4:5], v[29:30]
	v_mov_b32_e32 v29, v33
	v_mov_b32_e32 v30, v34
	s_and_saveexec_b32 s12, s8
	s_cbranch_execz .LBB1231_162
; %bb.161:
	v_mov_b32_e32 v29, v35
	v_mov_b32_e32 v115, v103
	v_mov_b32_e32 v30, v36
	v_mov_b32_e32 v36, v34
	v_mov_b32_e32 v114, v102
	v_mov_b32_e32 v103, v67
	v_mov_b32_e32 v35, v33
	v_mov_b32_e32 v102, v66
.LBB1231_162:
	s_or_b32 exec_lo, exec_lo, s12
	v_add_f64 v[4:5], v[37:38], 0
	v_add_f64 v[33:34], v[50:51], 0
	v_ashrrev_i32_e32 v39, 31, v5
	v_ashrrev_i32_e32 v52, 31, v34
	v_or_b32_e32 v53, 0x80000000, v39
	v_or_b32_e32 v66, 0x80000000, v52
	v_xor_b32_e32 v4, v39, v4
	v_xor_b32_e32 v33, v52, v33
	v_xor_b32_e32 v5, v53, v5
	v_xor_b32_e32 v34, v66, v34
	v_mov_b32_e32 v66, v98
	v_mov_b32_e32 v67, v99
	v_cmp_gt_u64_e64 s8, v[4:5], v[33:34]
	v_mov_b32_e32 v33, v50
	v_mov_b32_e32 v34, v51
	s_and_saveexec_b32 s12, s8
	s_cbranch_execz .LBB1231_164
; %bb.163:
	v_mov_b32_e32 v33, v37
	v_mov_b32_e32 v66, v112
	v_mov_b32_e32 v34, v38
	v_mov_b32_e32 v37, v50
	v_mov_b32_e32 v67, v113
	v_mov_b32_e32 v113, v99
	v_mov_b32_e32 v38, v51
	v_mov_b32_e32 v112, v98
.LBB1231_164:
	s_or_b32 exec_lo, exec_lo, s12
	v_add_f64 v[4:5], v[48:49], 0
	v_add_f64 v[50:51], v[19:20], 0
	v_ashrrev_i32_e32 v39, 31, v5
	v_ashrrev_i32_e32 v52, 31, v51
	v_or_b32_e32 v53, 0x80000000, v39
	v_or_b32_e32 v98, 0x80000000, v52
	v_xor_b32_e32 v4, v39, v4
	v_xor_b32_e32 v50, v52, v50
	v_xor_b32_e32 v5, v53, v5
	v_xor_b32_e32 v51, v98, v51
	v_mov_b32_e32 v99, v97
	v_mov_b32_e32 v98, v96
	v_cmp_gt_u64_e64 s8, v[4:5], v[50:51]
	v_mov_b32_e32 v51, v20
	v_mov_b32_e32 v50, v19
	s_and_saveexec_b32 s12, s8
	s_cbranch_execz .LBB1231_166
; %bb.165:
	v_mov_b32_e32 v51, v49
	v_mov_b32_e32 v99, v85
	v_mov_b32_e32 v50, v48
	v_mov_b32_e32 v49, v20
	v_mov_b32_e32 v98, v84
	v_mov_b32_e32 v84, v96
	v_mov_b32_e32 v48, v19
	v_mov_b32_e32 v85, v97
.LBB1231_166:
	s_or_b32 exec_lo, exec_lo, s12
	v_add_f64 v[4:5], v[128:129], 0
	v_add_f64 v[19:20], v[116:117], 0
	v_ashrrev_i32_e32 v39, 31, v5
	v_ashrrev_i32_e32 v52, 31, v20
	v_or_b32_e32 v53, 0x80000000, v39
	v_or_b32_e32 v96, 0x80000000, v52
	v_xor_b32_e32 v4, v39, v4
	v_xor_b32_e32 v19, v52, v19
	v_xor_b32_e32 v5, v53, v5
	v_xor_b32_e32 v20, v96, v20
	v_mov_b32_e32 v52, v54
	v_mov_b32_e32 v53, v55
	v_cmp_gt_u64_e64 s8, v[4:5], v[19:20]
	v_mov_b32_e32 v4, v128
	v_mov_b32_e32 v5, v129
	s_and_saveexec_b32 s12, s8
	s_cbranch_execz .LBB1231_168
; %bb.167:
	v_mov_b32_e32 v4, v116
	v_mov_b32_e32 v52, v82
	v_mov_b32_e32 v5, v117
	v_mov_b32_e32 v53, v83
	v_mov_b32_e32 v83, v55
	v_mov_b32_e32 v116, v128
	v_mov_b32_e32 v82, v54
	v_mov_b32_e32 v117, v129
.LBB1231_168:
	s_or_b32 exec_lo, exec_lo, s12
	v_add_f64 v[19:20], v[86:87], 0
	v_add_f64 v[54:55], v[80:81], 0
	v_ashrrev_i32_e32 v39, 31, v20
	v_ashrrev_i32_e32 v96, 31, v55
	v_or_b32_e32 v97, 0x80000000, v39
	v_or_b32_e32 v118, 0x80000000, v96
	v_xor_b32_e32 v19, v39, v19
	v_xor_b32_e32 v54, v96, v54
	v_xor_b32_e32 v20, v97, v20
	v_xor_b32_e32 v55, v118, v55
	v_mov_b32_e32 v97, v87
	v_mov_b32_e32 v96, v86
	v_cmp_gt_u64_e64 s8, v[19:20], v[54:55]
	v_mov_b32_e32 v19, v23
	v_mov_b32_e32 v20, v24
	s_and_saveexec_b32 s12, s8
	s_cbranch_execz .LBB1231_170
; %bb.169:
	v_mov_b32_e32 v20, v18
	v_mov_b32_e32 v97, v81
	v_mov_b32_e32 v19, v17
	v_mov_b32_e32 v17, v23
	v_mov_b32_e32 v96, v80
	v_mov_b32_e32 v80, v86
	v_mov_b32_e32 v18, v24
	v_mov_b32_e32 v81, v87
.LBB1231_170:
	s_or_b32 exec_lo, exec_lo, s12
	v_add_f64 v[23:24], v[8:9], 0
	v_add_f64 v[54:55], v[27:28], 0
	v_ashrrev_i32_e32 v39, 31, v24
	v_ashrrev_i32_e32 v86, 31, v55
	v_or_b32_e32 v87, 0x80000000, v39
	v_or_b32_e32 v118, 0x80000000, v86
	v_xor_b32_e32 v23, v39, v23
	v_xor_b32_e32 v54, v86, v54
	v_xor_b32_e32 v24, v87, v24
	v_xor_b32_e32 v55, v118, v55
	v_mov_b32_e32 v87, v69
	v_mov_b32_e32 v86, v68
	v_cmp_gt_u64_e64 s8, v[23:24], v[54:55]
	v_mov_b32_e32 v23, v27
	v_mov_b32_e32 v24, v28
	s_and_saveexec_b32 s12, s8
	s_cbranch_execz .LBB1231_172
; %bb.171:
	v_mov_b32_e32 v24, v9
	v_mov_b32_e32 v87, v1
	v_mov_b32_e32 v23, v8
	v_mov_b32_e32 v8, v27
	v_mov_b32_e32 v86, v0
	v_mov_b32_e32 v0, v68
	v_mov_b32_e32 v9, v28
	v_mov_b32_e32 v1, v69
.LBB1231_172:
	s_or_b32 exec_lo, exec_lo, s12
	v_add_f64 v[27:28], v[21:22], 0
	v_add_f64 v[54:55], v[31:32], 0
	v_ashrrev_i32_e32 v39, 31, v28
	v_ashrrev_i32_e32 v68, 31, v55
	v_or_b32_e32 v69, 0x80000000, v39
	v_or_b32_e32 v118, 0x80000000, v68
	v_xor_b32_e32 v27, v39, v27
	v_xor_b32_e32 v54, v68, v54
	v_xor_b32_e32 v28, v69, v28
	v_xor_b32_e32 v55, v118, v55
	v_mov_b32_e32 v68, v100
	v_mov_b32_e32 v69, v101
	v_cmp_gt_u64_e64 s8, v[27:28], v[54:55]
	v_mov_b32_e32 v27, v31
	v_mov_b32_e32 v28, v32
	s_and_saveexec_b32 s12, s8
	s_cbranch_execz .LBB1231_174
; %bb.173:
	v_mov_b32_e32 v28, v22
	v_mov_b32_e32 v68, v70
	v_mov_b32_e32 v27, v21
	v_mov_b32_e32 v21, v31
	v_mov_b32_e32 v69, v71
	v_mov_b32_e32 v70, v100
	v_mov_b32_e32 v22, v32
	v_mov_b32_e32 v71, v101
.LBB1231_174:
	s_or_b32 exec_lo, exec_lo, s12
	v_add_f64 v[31:32], v[25:26], 0
	v_add_f64 v[54:55], v[35:36], 0
	v_ashrrev_i32_e32 v39, 31, v32
	v_ashrrev_i32_e32 v100, 31, v55
	v_or_b32_e32 v101, 0x80000000, v39
	v_or_b32_e32 v118, 0x80000000, v100
	v_xor_b32_e32 v31, v39, v31
	v_xor_b32_e32 v54, v100, v54
	v_xor_b32_e32 v32, v101, v32
	v_xor_b32_e32 v55, v118, v55
	v_mov_b32_e32 v100, v102
	v_mov_b32_e32 v101, v103
	v_cmp_gt_u64_e64 s8, v[31:32], v[54:55]
	v_mov_b32_e32 v31, v35
	v_mov_b32_e32 v32, v36
	s_and_saveexec_b32 s12, s8
	s_cbranch_execz .LBB1231_176
; %bb.175:
	v_mov_b32_e32 v32, v26
	v_mov_b32_e32 v101, v65
	v_mov_b32_e32 v31, v25
	v_mov_b32_e32 v25, v35
	v_mov_b32_e32 v100, v64
	v_mov_b32_e32 v64, v102
	v_mov_b32_e32 v26, v36
	v_mov_b32_e32 v65, v103
.LBB1231_176:
	s_or_b32 exec_lo, exec_lo, s12
	v_add_f64 v[35:36], v[29:30], 0
	v_add_f64 v[54:55], v[37:38], 0
	v_ashrrev_i32_e32 v39, 31, v36
	v_ashrrev_i32_e32 v102, 31, v55
	v_or_b32_e32 v103, 0x80000000, v39
	v_or_b32_e32 v118, 0x80000000, v102
	v_xor_b32_e32 v35, v39, v35
	v_xor_b32_e32 v54, v102, v54
	v_xor_b32_e32 v36, v103, v36
	v_xor_b32_e32 v55, v118, v55
	v_mov_b32_e32 v102, v112
	v_mov_b32_e32 v103, v113
	v_cmp_gt_u64_e64 s8, v[35:36], v[54:55]
	v_mov_b32_e32 v35, v37
	v_mov_b32_e32 v36, v38
	s_and_saveexec_b32 s12, s8
	s_cbranch_execz .LBB1231_178
; %bb.177:
	v_mov_b32_e32 v36, v30
	v_mov_b32_e32 v102, v114
	v_mov_b32_e32 v35, v29
	v_mov_b32_e32 v29, v37
	v_mov_b32_e32 v103, v115
	v_mov_b32_e32 v115, v113
	v_mov_b32_e32 v30, v38
	v_mov_b32_e32 v114, v112
.LBB1231_178:
	s_or_b32 exec_lo, exec_lo, s12
	v_add_f64 v[37:38], v[33:34], 0
	v_add_f64 v[54:55], v[48:49], 0
	v_ashrrev_i32_e32 v39, 31, v38
	v_ashrrev_i32_e32 v112, 31, v55
	v_or_b32_e32 v113, 0x80000000, v39
	v_or_b32_e32 v118, 0x80000000, v112
	v_xor_b32_e32 v37, v39, v37
	v_xor_b32_e32 v54, v112, v54
	v_xor_b32_e32 v38, v113, v38
	v_xor_b32_e32 v55, v118, v55
	v_mov_b32_e32 v113, v85
	v_mov_b32_e32 v112, v84
	v_cmp_gt_u64_e64 s8, v[37:38], v[54:55]
	v_mov_b32_e32 v37, v48
	v_mov_b32_e32 v38, v49
	s_and_saveexec_b32 s12, s8
	s_cbranch_execz .LBB1231_180
; %bb.179:
	v_mov_b32_e32 v38, v34
	v_mov_b32_e32 v113, v67
	;; [unrolled: 1-line block ×8, first 2 shown]
.LBB1231_180:
	s_or_b32 exec_lo, exec_lo, s12
	v_add_f64 v[48:49], v[50:51], 0
	v_add_f64 v[54:55], v[4:5], 0
	v_mov_b32_e32 v129, v5
	v_mov_b32_e32 v128, v4
	s_mov_b32 s12, exec_lo
	v_ashrrev_i32_e32 v39, 31, v49
	v_ashrrev_i32_e32 v84, 31, v55
	v_or_b32_e32 v85, 0x80000000, v39
	v_or_b32_e32 v118, 0x80000000, v84
	v_xor_b32_e32 v54, v84, v54
	v_xor_b32_e32 v48, v39, v48
	;; [unrolled: 1-line block ×3, first 2 shown]
	v_mov_b32_e32 v85, v83
	v_xor_b32_e32 v55, v118, v55
	v_mov_b32_e32 v84, v82
	v_cmpx_gt_u64_e64 v[48:49], v[54:55]
	s_cbranch_execz .LBB1231_182
; %bb.181:
	v_mov_b32_e32 v129, v51
	v_mov_b32_e32 v84, v98
	;; [unrolled: 1-line block ×8, first 2 shown]
.LBB1231_182:
	s_or_b32 exec_lo, exec_lo, s12
	v_add_f64 v[4:5], v[116:117], 0
	v_add_f64 v[48:49], v[96:97], 0
	v_mov_b32_e32 v119, v117
	v_mov_b32_e32 v118, v116
	v_ashrrev_i32_e32 v39, 31, v5
	v_ashrrev_i32_e32 v54, 31, v49
	v_or_b32_e32 v55, 0x80000000, v39
	v_or_b32_e32 v82, 0x80000000, v54
	v_xor_b32_e32 v4, v39, v4
	v_xor_b32_e32 v48, v54, v48
	;; [unrolled: 1-line block ×4, first 2 shown]
	v_cmp_gt_u64_e64 s8, v[4:5], v[48:49]
	v_mov_b32_e32 v49, v18
	v_mov_b32_e32 v48, v17
	s_and_saveexec_b32 s12, s8
	s_cbranch_execz .LBB1231_184
; %bb.183:
	v_mov_b32_e32 v48, v52
	v_mov_b32_e32 v119, v97
	v_mov_b32_e32 v49, v53
	v_mov_b32_e32 v53, v18
	v_mov_b32_e32 v118, v96
	v_mov_b32_e32 v96, v116
	v_mov_b32_e32 v52, v17
	v_mov_b32_e32 v97, v117
.LBB1231_184:
	s_or_b32 exec_lo, exec_lo, s12
	v_add_f64 v[4:5], v[80:81], 0
	v_add_f64 v[17:18], v[15:16], 0
	v_ashrrev_i32_e32 v39, 31, v5
	v_ashrrev_i32_e32 v54, 31, v18
	v_or_b32_e32 v55, 0x80000000, v39
	v_or_b32_e32 v82, 0x80000000, v54
	v_xor_b32_e32 v4, v39, v4
	v_xor_b32_e32 v17, v54, v17
	v_xor_b32_e32 v5, v55, v5
	v_xor_b32_e32 v18, v82, v18
	v_mov_b32_e32 v83, v81
	v_mov_b32_e32 v82, v80
	v_cmp_gt_u64_e64 s8, v[4:5], v[17:18]
	v_mov_b32_e32 v4, v13
	v_mov_b32_e32 v5, v14
	s_and_saveexec_b32 s12, s8
	s_cbranch_execz .LBB1231_186
; %bb.185:
	v_mov_b32_e32 v4, v19
	v_mov_b32_e32 v83, v16
	v_mov_b32_e32 v5, v20
	v_mov_b32_e32 v20, v14
	v_mov_b32_e32 v82, v15
	v_mov_b32_e32 v15, v80
	v_mov_b32_e32 v19, v13
	v_mov_b32_e32 v16, v81
.LBB1231_186:
	s_or_b32 exec_lo, exec_lo, s12
	v_add_f64 v[13:14], v[23:24], 0
	v_add_f64 v[17:18], v[21:22], 0
	v_ashrrev_i32_e32 v39, 31, v14
	v_ashrrev_i32_e32 v54, 31, v18
	v_or_b32_e32 v55, 0x80000000, v39
	v_or_b32_e32 v80, 0x80000000, v54
	v_xor_b32_e32 v13, v39, v13
	v_xor_b32_e32 v17, v54, v17
	v_xor_b32_e32 v14, v55, v14
	v_xor_b32_e32 v18, v80, v18
	v_mov_b32_e32 v81, v71
	v_mov_b32_e32 v80, v70
	;; [unrolled: 28-line block ×7, first 2 shown]
	v_cmp_gt_u64_e64 s8, v[13:14], v[50:51]
	v_mov_b32_e32 v13, v128
	v_mov_b32_e32 v14, v129
	s_and_saveexec_b32 s12, s8
	s_cbranch_execz .LBB1231_198
; %bb.197:
	v_mov_b32_e32 v13, v118
	v_mov_b32_e32 v54, v84
	v_mov_b32_e32 v14, v119
	v_mov_b32_e32 v55, v85
	v_mov_b32_e32 v85, v53
	v_mov_b32_e32 v118, v128
	v_mov_b32_e32 v84, v52
	v_mov_b32_e32 v119, v129
.LBB1231_198:
	s_or_b32 exec_lo, exec_lo, s12
	v_add_f64 v[50:51], v[96:97], 0
	v_add_f64 v[52:53], v[82:83], 0
	v_ashrrev_i32_e32 v39, 31, v51
	v_ashrrev_i32_e32 v98, 31, v53
	v_or_b32_e32 v99, 0x80000000, v39
	v_or_b32_e32 v116, 0x80000000, v98
	v_xor_b32_e32 v50, v39, v50
	v_xor_b32_e32 v52, v98, v52
	v_xor_b32_e32 v51, v99, v51
	v_xor_b32_e32 v53, v116, v53
	v_cmp_gt_u64_e64 s8, v[50:51], v[52:53]
	v_mov_b32_e32 v51, v20
	v_mov_b32_e32 v52, v96
	v_mov_b32_e32 v50, v19
	v_mov_b32_e32 v53, v97
	s_and_saveexec_b32 s12, s8
	s_cbranch_execz .LBB1231_200
; %bb.199:
	v_mov_b32_e32 v51, v49
	v_mov_b32_e32 v52, v82
	v_mov_b32_e32 v50, v48
	v_mov_b32_e32 v49, v20
	v_mov_b32_e32 v53, v83
	v_mov_b32_e32 v82, v96
	v_mov_b32_e32 v48, v19
	v_mov_b32_e32 v83, v97
.LBB1231_200:
	s_or_b32 exec_lo, exec_lo, s12
	v_add_f64 v[19:20], v[8:9], 0
	v_add_f64 v[96:97], v[23:24], 0
	v_ashrrev_i32_e32 v39, 31, v20
	v_ashrrev_i32_e32 v98, 31, v97
	v_or_b32_e32 v99, 0x80000000, v39
	v_or_b32_e32 v116, 0x80000000, v98
	v_xor_b32_e32 v19, v39, v19
	v_xor_b32_e32 v96, v98, v96
	v_xor_b32_e32 v20, v99, v20
	v_xor_b32_e32 v97, v116, v97
	v_cmp_gt_u64_e64 s8, v[19:20], v[96:97]
	v_mov_b32_e32 v19, v23
	v_mov_b32_e32 v97, v87
	;; [unrolled: 28-line block ×6, first 2 shown]
	v_mov_b32_e32 v36, v38
	v_mov_b32_e32 v101, v113
	s_and_saveexec_b32 s12, s8
	s_cbranch_execz .LBB1231_210
; %bb.209:
	v_mov_b32_e32 v36, v30
	v_mov_b32_e32 v100, v114
	v_mov_b32_e32 v35, v29
	v_mov_b32_e32 v29, v37
	v_mov_b32_e32 v101, v115
	v_mov_b32_e32 v115, v113
	v_mov_b32_e32 v30, v38
	v_mov_b32_e32 v114, v112
.LBB1231_210:
	s_or_b32 exec_lo, exec_lo, s12
	v_add_f64 v[37:38], v[33:34], 0
	v_add_f64 v[102:103], v[13:14], 0
	v_ashrrev_i32_e32 v39, 31, v38
	v_ashrrev_i32_e32 v112, 31, v103
	v_or_b32_e32 v113, 0x80000000, v39
	v_or_b32_e32 v116, 0x80000000, v112
	v_xor_b32_e32 v37, v39, v37
	v_xor_b32_e32 v102, v112, v102
	v_xor_b32_e32 v38, v113, v38
	v_xor_b32_e32 v103, v116, v103
	v_mov_b32_e32 v117, v14
	v_mov_b32_e32 v116, v13
	v_cmp_gt_u64_e64 s8, v[37:38], v[102:103]
	v_mov_b32_e32 v103, v85
	v_mov_b32_e32 v102, v84
	s_and_saveexec_b32 s12, s8
	s_cbranch_execz .LBB1231_212
; %bb.211:
	v_mov_b32_e32 v117, v34
	v_mov_b32_e32 v103, v67
	v_mov_b32_e32 v116, v33
	v_mov_b32_e32 v34, v14
	v_mov_b32_e32 v102, v66
	v_mov_b32_e32 v66, v84
	v_mov_b32_e32 v33, v13
	v_mov_b32_e32 v67, v85
.LBB1231_212:
	s_or_b32 exec_lo, exec_lo, s12
	v_add_f64 v[13:14], v[118:119], 0
	v_add_f64 v[37:38], v[52:53], 0
	v_ashrrev_i32_e32 v39, 31, v14
	v_ashrrev_i32_e32 v84, 31, v38
	v_or_b32_e32 v85, 0x80000000, v39
	v_or_b32_e32 v112, 0x80000000, v84
	v_xor_b32_e32 v13, v39, v13
	v_xor_b32_e32 v37, v84, v37
	v_xor_b32_e32 v14, v85, v14
	v_xor_b32_e32 v38, v112, v38
	v_mov_b32_e32 v112, v118
	v_mov_b32_e32 v113, v119
	v_cmp_gt_u64_e64 s8, v[13:14], v[37:38]
	;; [unrolled: 28-line block ×13, first 2 shown]
	v_mov_b32_e32 v23, v27
	v_mov_b32_e32 v24, v28
	s_and_saveexec_b32 s12, s8
	s_cbranch_execz .LBB1231_236
; %bb.235:
	v_mov_b32_e32 v24, v18
	v_mov_b32_e32 v87, v81
	v_mov_b32_e32 v23, v17
	v_mov_b32_e32 v17, v27
	v_mov_b32_e32 v86, v80
	v_mov_b32_e32 v81, v69
	v_mov_b32_e32 v18, v28
	v_mov_b32_e32 v80, v68
.LBB1231_236:
	s_or_b32 exec_lo, exec_lo, s12
	v_add_f64 v[19:20], v[21:22], 0
	v_add_f64 v[27:28], v[31:32], 0
	v_mov_b32_e32 v129, v99
	v_mov_b32_e32 v128, v98
	v_ashrrev_i32_e32 v39, 31, v20
	v_ashrrev_i32_e32 v54, 31, v28
	v_or_b32_e32 v55, 0x80000000, v39
	v_or_b32_e32 v68, 0x80000000, v54
	v_xor_b32_e32 v19, v39, v19
	v_xor_b32_e32 v27, v54, v27
	v_xor_b32_e32 v20, v55, v20
	v_xor_b32_e32 v28, v68, v28
	v_cmp_gt_u64_e64 s8, v[19:20], v[27:28]
	v_mov_b32_e32 v27, v31
	v_mov_b32_e32 v28, v32
	s_and_saveexec_b32 s12, s8
	s_cbranch_execz .LBB1231_238
; %bb.237:
	v_mov_b32_e32 v28, v22
	v_mov_b32_e32 v129, v71
	v_mov_b32_e32 v27, v21
	v_mov_b32_e32 v21, v31
	v_mov_b32_e32 v128, v70
	v_mov_b32_e32 v70, v98
	v_mov_b32_e32 v22, v32
	v_mov_b32_e32 v71, v99
.LBB1231_238:
	s_or_b32 exec_lo, exec_lo, s12
	v_add_f64 v[19:20], v[25:26], 0
	v_add_f64 v[31:32], v[35:36], 0
	v_mov_b32_e32 v98, v100
	v_mov_b32_e32 v99, v101
	v_ashrrev_i32_e32 v39, 31, v20
	v_ashrrev_i32_e32 v54, 31, v32
	v_or_b32_e32 v55, 0x80000000, v39
	v_or_b32_e32 v68, 0x80000000, v54
	v_xor_b32_e32 v19, v39, v19
	v_xor_b32_e32 v31, v54, v31
	v_xor_b32_e32 v20, v55, v20
	v_xor_b32_e32 v32, v68, v32
	v_cmp_gt_u64_e64 s8, v[19:20], v[31:32]
	;; [unrolled: 28-line block ×6, first 2 shown]
	v_mov_b32_e32 v39, v5
	v_mov_b32_e32 v38, v4
	s_and_saveexec_b32 s12, s8
	s_cbranch_execz .LBB1231_248
; %bb.247:
	v_mov_b32_e32 v38, v50
	v_mov_b32_e32 v135, v119
	;; [unrolled: 1-line block ×8, first 2 shown]
.LBB1231_248:
	s_or_b32 exec_lo, exec_lo, s12
	v_add_f64 v[4:5], v[52:53], 0
	v_add_f64 v[13:14], v[17:18], 0
	v_mov_b32_e32 v145, v81
	v_mov_b32_e32 v144, v80
	s_mov_b32 s12, exec_lo
	v_ashrrev_i32_e32 v37, 31, v5
	v_ashrrev_i32_e32 v66, 31, v14
	v_or_b32_e32 v67, 0x80000000, v37
	v_or_b32_e32 v68, 0x80000000, v66
	v_xor_b32_e32 v13, v66, v13
	v_xor_b32_e32 v4, v37, v4
	;; [unrolled: 1-line block ×3, first 2 shown]
	v_mov_b32_e32 v67, v18
	v_xor_b32_e32 v14, v68, v14
	v_mov_b32_e32 v66, v17
	v_cmpx_gt_u64_e64 v[4:5], v[13:14]
	s_cbranch_execz .LBB1231_250
; %bb.249:
	v_mov_b32_e32 v67, v53
	v_mov_b32_e32 v145, v97
	v_mov_b32_e32 v66, v52
	v_mov_b32_e32 v53, v18
	v_mov_b32_e32 v144, v96
	v_mov_b32_e32 v97, v81
	v_mov_b32_e32 v52, v17
	v_mov_b32_e32 v96, v80
.LBB1231_250:
	s_or_b32 exec_lo, exec_lo, s12
	v_add_f64 v[13:14], v[21:22], 0
	v_add_f64 v[4:5], v[23:24], 0
	v_mov_b32_e32 v147, v71
	v_mov_b32_e32 v146, v70
	s_mov_b32 s12, exec_lo
	v_ashrrev_i32_e32 v18, 31, v14
	v_ashrrev_i32_e32 v17, 31, v5
	v_or_b32_e32 v68, 0x80000000, v18
	v_or_b32_e32 v37, 0x80000000, v17
	v_xor_b32_e32 v4, v17, v4
	v_xor_b32_e32 v13, v18, v13
	;; [unrolled: 1-line block ×3, first 2 shown]
	v_mov_b32_e32 v69, v22
	v_xor_b32_e32 v5, v37, v5
	v_mov_b32_e32 v68, v21
	v_cmpx_gt_u64_e64 v[4:5], v[13:14]
	s_cbranch_execz .LBB1231_252
; %bb.251:
	v_mov_b32_e32 v69, v24
	v_mov_b32_e32 v147, v87
	;; [unrolled: 1-line block ×8, first 2 shown]
.LBB1231_252:
	s_or_b32 exec_lo, exec_lo, s12
	v_add_f64 v[4:5], v[27:28], 0
	v_add_f64 v[13:14], v[25:26], 0
	v_mov_b32_e32 v101, v26
	v_mov_b32_e32 v149, v65
	;; [unrolled: 1-line block ×4, first 2 shown]
	s_mov_b32 s12, exec_lo
	v_ashrrev_i32_e32 v17, 31, v5
	v_ashrrev_i32_e32 v18, 31, v14
	v_or_b32_e32 v21, 0x80000000, v17
	v_or_b32_e32 v22, 0x80000000, v18
	v_xor_b32_e32 v4, v17, v4
	v_xor_b32_e32 v13, v18, v13
	;; [unrolled: 1-line block ×4, first 2 shown]
	v_cmpx_gt_u64_e64 v[4:5], v[13:14]
	s_cbranch_execz .LBB1231_254
; %bb.253:
	v_mov_b32_e32 v101, v28
	v_mov_b32_e32 v149, v129
	;; [unrolled: 1-line block ×8, first 2 shown]
.LBB1231_254:
	s_or_b32 exec_lo, exec_lo, s12
	v_add_f64 v[4:5], v[31:32], 0
	v_add_f64 v[13:14], v[29:30], 0
	v_mov_b32_e32 v113, v30
	v_mov_b32_e32 v151, v115
	;; [unrolled: 1-line block ×4, first 2 shown]
	s_mov_b32 s12, exec_lo
	v_ashrrev_i32_e32 v17, 31, v5
	v_ashrrev_i32_e32 v18, 31, v14
	v_or_b32_e32 v21, 0x80000000, v17
	v_or_b32_e32 v22, 0x80000000, v18
	v_xor_b32_e32 v4, v17, v4
	v_xor_b32_e32 v13, v18, v13
	;; [unrolled: 1-line block ×4, first 2 shown]
	v_cmpx_gt_u64_e64 v[4:5], v[13:14]
	s_cbranch_execz .LBB1231_256
; %bb.255:
	v_mov_b32_e32 v113, v32
	v_mov_b32_e32 v151, v99
	;; [unrolled: 1-line block ×8, first 2 shown]
.LBB1231_256:
	s_or_b32 exec_lo, exec_lo, s12
	v_add_f64 v[4:5], v[35:36], 0
	v_add_f64 v[13:14], v[102:103], 0
	v_mov_b32_e32 v115, v49
	v_mov_b32_e32 v114, v48
	v_ashrrev_i32_e32 v17, 31, v5
	v_ashrrev_i32_e32 v18, 31, v14
	v_or_b32_e32 v21, 0x80000000, v17
	v_or_b32_e32 v22, 0x80000000, v18
	v_xor_b32_e32 v4, v17, v4
	v_xor_b32_e32 v13, v18, v13
	;; [unrolled: 1-line block ×4, first 2 shown]
	v_cmp_gt_u64_e64 s8, v[4:5], v[13:14]
	v_mov_b32_e32 v13, v35
	v_mov_b32_e32 v14, v36
	s_and_saveexec_b32 s12, s8
	s_cbranch_execz .LBB1231_258
; %bb.257:
	v_mov_b32_e32 v13, v102
	v_mov_b32_e32 v114, v130
	;; [unrolled: 1-line block ×8, first 2 shown]
.LBB1231_258:
	s_or_b32 exec_lo, exec_lo, s12
	v_add_f64 v[4:5], v[116:117], 0
	v_add_f64 v[17:18], v[132:133], 0
	v_mov_b32_e32 v37, v34
	v_mov_b32_e32 v48, v116
	v_mov_b32_e32 v36, v33
	v_mov_b32_e32 v49, v117
	s_mov_b32 s12, exec_lo
	v_ashrrev_i32_e32 v21, 31, v5
	v_ashrrev_i32_e32 v22, 31, v18
	v_or_b32_e32 v25, 0x80000000, v21
	v_or_b32_e32 v26, 0x80000000, v22
	v_xor_b32_e32 v4, v21, v4
	v_xor_b32_e32 v17, v22, v17
	;; [unrolled: 1-line block ×4, first 2 shown]
	v_cmpx_gt_u64_e64 v[4:5], v[17:18]
	s_cbranch_execz .LBB1231_260
; %bb.259:
	v_mov_b32_e32 v36, v54
	v_mov_b32_e32 v48, v132
	v_mov_b32_e32 v37, v55
	v_mov_b32_e32 v55, v34
	v_mov_b32_e32 v49, v133
	v_mov_b32_e32 v133, v117
	v_mov_b32_e32 v54, v33
	v_mov_b32_e32 v132, v116
.LBB1231_260:
	s_or_b32 exec_lo, exec_lo, s12
	v_add_f64 v[4:5], v[8:9], 0
	v_add_f64 v[17:18], v[50:51], 0
	v_mov_b32_e32 v85, v51
	v_mov_b32_e32 v84, v50
	v_ashrrev_i32_e32 v21, 31, v5
	v_ashrrev_i32_e32 v22, 31, v18
	v_or_b32_e32 v25, 0x80000000, v21
	v_or_b32_e32 v26, 0x80000000, v22
	v_xor_b32_e32 v4, v21, v4
	v_xor_b32_e32 v17, v22, v17
	v_xor_b32_e32 v5, v25, v5
	v_xor_b32_e32 v18, v26, v18
	v_cmp_gt_u64_e64 s8, v[4:5], v[17:18]
	v_mov_b32_e32 v4, v118
	v_mov_b32_e32 v5, v119
	s_and_saveexec_b32 s12, s8
	s_cbranch_execz .LBB1231_262
; %bb.261:
	v_mov_b32_e32 v85, v9
	v_mov_b32_e32 v5, v1
	v_mov_b32_e32 v84, v8
	v_mov_b32_e32 v8, v50
	v_mov_b32_e32 v4, v0
	v_mov_b32_e32 v0, v118
	v_mov_b32_e32 v9, v51
	v_mov_b32_e32 v1, v119
.LBB1231_262:
	s_or_b32 exec_lo, exec_lo, s12
	v_add_f64 v[17:18], v[38:39], 0
	v_add_f64 v[21:22], v[52:53], 0
	v_mov_b32_e32 v83, v53
	v_mov_b32_e32 v82, v52
	v_ashrrev_i32_e32 v25, 31, v18
	v_ashrrev_i32_e32 v26, 31, v22
	v_or_b32_e32 v29, 0x80000000, v25
	v_or_b32_e32 v30, 0x80000000, v26
	v_xor_b32_e32 v17, v25, v17
	v_xor_b32_e32 v21, v26, v21
	v_xor_b32_e32 v18, v29, v18
	v_xor_b32_e32 v22, v30, v22
	v_cmp_gt_u64_e64 s8, v[17:18], v[21:22]
	v_mov_b32_e32 v17, v96
	v_mov_b32_e32 v18, v97
	s_and_saveexec_b32 s12, s8
	;; [unrolled: 28-line block ×4, first 2 shown]
	s_cbranch_execz .LBB1231_268
; %bb.267:
	v_mov_b32_e32 v71, v69
	v_mov_b32_e32 v25, v146
	;; [unrolled: 1-line block ×8, first 2 shown]
.LBB1231_268:
	s_or_b32 exec_lo, exec_lo, s12
	v_add_f64 v[23:24], v[100:101], 0
	v_add_f64 v[27:28], v[31:32], 0
	v_mov_b32_e32 v65, v32
	v_mov_b32_e32 v64, v31
	s_mov_b32 s12, exec_lo
	v_ashrrev_i32_e32 v29, 31, v24
	v_ashrrev_i32_e32 v30, 31, v28
	v_or_b32_e32 v33, 0x80000000, v29
	v_or_b32_e32 v34, 0x80000000, v30
	v_xor_b32_e32 v23, v29, v23
	v_xor_b32_e32 v27, v30, v27
	v_mov_b32_e32 v29, v98
	v_xor_b32_e32 v24, v33, v24
	v_xor_b32_e32 v28, v34, v28
	v_mov_b32_e32 v30, v99
	v_cmpx_gt_u64_e64 v[23:24], v[27:28]
	s_cbranch_execz .LBB1231_270
; %bb.269:
	v_mov_b32_e32 v64, v100
	v_mov_b32_e32 v29, v148
	;; [unrolled: 1-line block ×8, first 2 shown]
.LBB1231_270:
	s_or_b32 exec_lo, exec_lo, s12
	v_add_f64 v[27:28], v[13:14], 0
	v_add_f64 v[23:24], v[112:113], 0
	v_mov_b32_e32 v51, v14
	v_mov_b32_e32 v50, v13
	s_mov_b32 s12, exec_lo
	v_ashrrev_i32_e32 v32, 31, v28
	v_ashrrev_i32_e32 v31, 31, v24
	v_or_b32_e32 v34, 0x80000000, v32
	v_or_b32_e32 v33, 0x80000000, v31
	v_xor_b32_e32 v23, v31, v23
	v_xor_b32_e32 v27, v32, v27
	;; [unrolled: 1-line block ×3, first 2 shown]
	v_mov_b32_e32 v34, v130
	v_xor_b32_e32 v24, v33, v24
	v_mov_b32_e32 v35, v131
	v_cmpx_gt_u64_e64 v[23:24], v[27:28]
	s_cbranch_execz .LBB1231_272
; %bb.271:
	v_mov_b32_e32 v50, v112
	v_mov_b32_e32 v34, v150
	;; [unrolled: 1-line block ×8, first 2 shown]
.LBB1231_272:
	s_or_b32 exec_lo, exec_lo, s12
	v_add_f64 v[13:14], v[102:103], 0
	v_add_f64 v[23:24], v[48:49], 0
	v_mov_b32_e32 v117, v55
	v_mov_b32_e32 v52, v102
	;; [unrolled: 1-line block ×4, first 2 shown]
	s_mov_b32 s12, exec_lo
	v_ashrrev_i32_e32 v27, 31, v14
	v_ashrrev_i32_e32 v28, 31, v24
	v_or_b32_e32 v31, 0x80000000, v27
	v_or_b32_e32 v32, 0x80000000, v28
	v_xor_b32_e32 v13, v27, v13
	v_xor_b32_e32 v23, v28, v23
	;; [unrolled: 1-line block ×4, first 2 shown]
	v_cmpx_gt_u64_e64 v[13:14], v[23:24]
	s_cbranch_execz .LBB1231_274
; %bb.273:
	v_mov_b32_e32 v117, v115
	v_mov_b32_e32 v53, v49
	;; [unrolled: 1-line block ×8, first 2 shown]
.LBB1231_274:
	s_or_b32 exec_lo, exec_lo, s12
	v_add_f64 v[13:14], v[132:133], 0
	v_add_f64 v[23:24], v[15:16], 0
	v_mov_b32_e32 v103, v20
	v_mov_b32_e32 v118, v132
	;; [unrolled: 1-line block ×4, first 2 shown]
	s_mov_b32 s12, exec_lo
	v_ashrrev_i32_e32 v27, 31, v14
	v_ashrrev_i32_e32 v28, 31, v24
	v_or_b32_e32 v31, 0x80000000, v27
	v_or_b32_e32 v32, 0x80000000, v28
	v_xor_b32_e32 v13, v27, v13
	v_xor_b32_e32 v23, v28, v23
	;; [unrolled: 1-line block ×4, first 2 shown]
	v_cmpx_gt_u64_e64 v[13:14], v[23:24]
	s_cbranch_execz .LBB1231_276
; %bb.275:
	v_mov_b32_e32 v103, v37
	v_mov_b32_e32 v119, v16
	v_mov_b32_e32 v102, v36
	v_mov_b32_e32 v37, v20
	v_mov_b32_e32 v118, v15
	v_mov_b32_e32 v15, v132
	v_mov_b32_e32 v36, v19
	v_mov_b32_e32 v16, v133
.LBB1231_276:
	s_or_b32 exec_lo, exec_lo, s12
	v_add_f64 v[13:14], v[84:85], 0
	v_add_f64 v[19:20], v[38:39], 0
	v_mov_b32_e32 v99, v39
	v_mov_b32_e32 v98, v38
	v_ashrrev_i32_e32 v23, 31, v14
	v_ashrrev_i32_e32 v24, 31, v20
	v_or_b32_e32 v27, 0x80000000, v23
	v_or_b32_e32 v28, 0x80000000, v24
	v_xor_b32_e32 v13, v23, v13
	v_xor_b32_e32 v19, v24, v19
	v_xor_b32_e32 v14, v27, v14
	v_xor_b32_e32 v20, v28, v20
	v_cmp_gt_u64_e64 s8, v[13:14], v[19:20]
	v_mov_b32_e32 v13, v134
	v_mov_b32_e32 v14, v135
	s_and_saveexec_b32 s12, s8
	s_cbranch_execz .LBB1231_278
; %bb.277:
	v_mov_b32_e32 v99, v85
	v_mov_b32_e32 v14, v5
	v_mov_b32_e32 v98, v84
	v_mov_b32_e32 v85, v39
	v_mov_b32_e32 v13, v4
	v_mov_b32_e32 v4, v134
	v_mov_b32_e32 v84, v38
	v_mov_b32_e32 v5, v135
.LBB1231_278:
	s_or_b32 exec_lo, exec_lo, s12
	v_add_f64 v[19:20], v[82:83], 0
	v_add_f64 v[23:24], v[66:67], 0
	v_mov_b32_e32 v97, v67
	v_mov_b32_e32 v96, v66
	v_ashrrev_i32_e32 v27, 31, v20
	v_ashrrev_i32_e32 v28, 31, v24
	v_or_b32_e32 v31, 0x80000000, v27
	v_or_b32_e32 v32, 0x80000000, v28
	v_xor_b32_e32 v19, v27, v19
	v_xor_b32_e32 v23, v28, v23
	v_xor_b32_e32 v20, v31, v20
	v_xor_b32_e32 v24, v32, v24
	v_cmp_gt_u64_e64 s8, v[19:20], v[23:24]
	v_mov_b32_e32 v19, v144
	v_mov_b32_e32 v20, v145
	s_and_saveexec_b32 s12, s8
	;; [unrolled: 28-line block ×4, first 2 shown]
	s_cbranch_execz .LBB1231_284
; %bb.283:
	v_mov_b32_e32 v68, v70
	v_mov_b32_e32 v28, v26
	;; [unrolled: 1-line block ×8, first 2 shown]
.LBB1231_284:
	s_or_b32 exec_lo, exec_lo, s12
	v_add_f64 v[31:32], v[64:65], 0
	v_add_f64 v[38:39], v[112:113], 0
	v_ashrrev_i32_e32 v33, 31, v32
	v_ashrrev_i32_e32 v54, 31, v39
	v_or_b32_e32 v55, 0x80000000, v33
	v_or_b32_e32 v66, 0x80000000, v54
	v_xor_b32_e32 v31, v33, v31
	v_xor_b32_e32 v38, v54, v38
	;; [unrolled: 1-line block ×4, first 2 shown]
	v_mov_b32_e32 v54, v112
	v_mov_b32_e32 v55, v113
	v_cmp_gt_u64_e64 s8, v[31:32], v[38:39]
	v_mov_b32_e32 v32, v150
	v_mov_b32_e32 v33, v151
	s_and_saveexec_b32 s12, s8
	s_cbranch_execz .LBB1231_286
; %bb.285:
	v_mov_b32_e32 v54, v64
	v_mov_b32_e32 v33, v30
	;; [unrolled: 1-line block ×8, first 2 shown]
.LBB1231_286:
	s_or_b32 exec_lo, exec_lo, s12
	v_add_f64 v[38:39], v[50:51], 0
	v_add_f64 v[66:67], v[52:53], 0
	v_ashrrev_i32_e32 v31, 31, v39
	v_ashrrev_i32_e32 v100, 31, v67
	v_or_b32_e32 v101, 0x80000000, v31
	v_or_b32_e32 v112, 0x80000000, v100
	v_xor_b32_e32 v38, v31, v38
	v_xor_b32_e32 v66, v100, v66
	;; [unrolled: 1-line block ×4, first 2 shown]
	v_mov_b32_e32 v101, v51
	v_mov_b32_e32 v100, v50
	v_cmp_gt_u64_e64 s8, v[38:39], v[66:67]
	v_mov_b32_e32 v38, v114
	v_mov_b32_e32 v39, v115
	s_and_saveexec_b32 s12, s8
	s_cbranch_execz .LBB1231_288
; %bb.287:
	v_mov_b32_e32 v101, v53
	v_mov_b32_e32 v39, v35
	;; [unrolled: 1-line block ×8, first 2 shown]
.LBB1231_288:
	s_or_b32 exec_lo, exec_lo, s12
	v_add_f64 v[50:51], v[48:49], 0
	v_add_f64 v[66:67], v[118:119], 0
	v_ashrrev_i32_e32 v31, 31, v51
	v_ashrrev_i32_e32 v112, 31, v67
	v_or_b32_e32 v113, 0x80000000, v31
	v_or_b32_e32 v114, 0x80000000, v112
	v_xor_b32_e32 v50, v31, v50
	v_xor_b32_e32 v66, v112, v66
	v_xor_b32_e32 v51, v113, v51
	v_xor_b32_e32 v67, v114, v67
	v_cmp_gt_u64_e64 s8, v[50:51], v[66:67]
	v_mov_b32_e32 v66, v118
	v_mov_b32_e32 v50, v116
	;; [unrolled: 1-line block ×4, first 2 shown]
	s_and_saveexec_b32 s12, s8
	s_cbranch_execz .LBB1231_290
; %bb.289:
	v_mov_b32_e32 v67, v49
	v_mov_b32_e32 v51, v37
	v_mov_b32_e32 v66, v48
	v_mov_b32_e32 v48, v118
	v_mov_b32_e32 v50, v36
	v_mov_b32_e32 v36, v116
	v_mov_b32_e32 v49, v119
	v_mov_b32_e32 v37, v117
.LBB1231_290:
	s_or_b32 exec_lo, exec_lo, s12
.LBB1231_291:
	s_or_b32 exec_lo, exec_lo, s9
	v_and_b32_e32 v112, 0xfffffe00, v160
	v_or_b32_e32 v113, 16, v167
	v_and_b32_e32 v114, 16, v167
	s_mov_b32 s9, exec_lo
	v_sub_nc_u32_e64 v177, 0x1000, v112 clamp
	v_lshlrev_b32_e32 v31, 3, v112
	v_min_u32_e32 v194, v177, v113
	v_and_b32_e32 v113, 0x1e0, v167
	v_lshl_or_b32 v176, v167, 3, v31
	v_min_u32_e32 v115, v177, v114
	v_add_nc_u32_e32 v112, 16, v194
	v_sub_nc_u32_e32 v114, v194, v113
	v_add_nc_u32_e32 v181, 0x8000, v176
	v_add_nc_u32_e32 v182, 0x8010, v176
	;; [unrolled: 1-line block ×3, first 2 shown]
	v_min_u32_e32 v195, v177, v112
	v_add_nc_u32_e32 v180, 0x8030, v176
	v_add_nc_u32_e32 v178, 0x8040, v176
	;; [unrolled: 1-line block ×4, first 2 shown]
	v_sub_nc_u32_e32 v112, v195, v194
	v_min_u32_e32 v116, v115, v114
	v_add_nc_u32_e32 v193, 0x8070, v176
	v_lshl_or_b32 v114, v113, 3, v31
	ds_write2_b64 v176, v[8:9], v[84:85] offset1:1
	v_sub_nc_u32_e64 v112, v115, v112 clamp
	ds_write2_b64 v176, v[98:99], v[82:83] offset0:2 offset1:3
	ds_write2_b64 v176, v[96:97], v[80:81] offset0:4 offset1:5
	ds_write2_b64 v176, v[86:87], v[70:71] offset0:6 offset1:7
	ds_write2_b64 v176, v[68:69], v[64:65] offset0:8 offset1:9
	ds_write2_b64 v181, v[0:1], v[4:5] offset1:1
	ds_write2_b64 v182, v[13:14], v[17:18] offset1:1
	;; [unrolled: 1-line block ×5, first 2 shown]
	ds_write2_b64 v176, v[54:55], v[100:101] offset0:10 offset1:11
	ds_write2_b64 v183, v[32:33], v[34:35] offset1:1
	ds_write2_b64 v176, v[52:53], v[48:49] offset0:12 offset1:13
	ds_write2_b64 v192, v[38:39], v[50:51] offset1:1
	;; [unrolled: 2-line block ×3, first 2 shown]
	; wave barrier
	v_cmpx_lt_u32_e64 v112, v116
	s_cbranch_execz .LBB1231_295
; %bb.292:
	v_lshlrev_b32_e32 v117, 3, v194
	v_lshlrev_b32_e32 v118, 3, v115
	s_mov_b32 s12, 0
	v_add3_u32 v117, v31, v117, v118
	s_inst_prefetch 0x1
	.p2align	6
.LBB1231_293:                           ; =>This Inner Loop Header: Depth=1
	v_add_nc_u32_e32 v118, v116, v112
	v_lshrrev_b32_e32 v130, 1, v118
	v_not_b32_e32 v118, v130
	v_lshl_add_u32 v119, v130, 3, v114
	v_lshl_add_u32 v128, v118, 3, v117
	ds_read_b64 v[118:119], v119
	ds_read_b64 v[128:129], v128
	s_waitcnt lgkmcnt(1)
	v_add_f64 v[118:119], v[118:119], 0
	s_waitcnt lgkmcnt(0)
	v_add_f64 v[128:129], v[128:129], 0
	v_ashrrev_i32_e32 v131, 31, v119
	v_ashrrev_i32_e32 v132, 31, v129
	v_or_b32_e32 v133, 0x80000000, v131
	v_or_b32_e32 v134, 0x80000000, v132
	v_xor_b32_e32 v118, v131, v118
	v_xor_b32_e32 v128, v132, v128
	;; [unrolled: 1-line block ×4, first 2 shown]
	v_cmp_gt_u64_e64 s8, v[118:119], v[128:129]
	v_add_nc_u32_e32 v118, 1, v130
	v_cndmask_b32_e64 v116, v116, v130, s8
	v_cndmask_b32_e64 v112, v118, v112, s8
	v_cmp_ge_u32_e64 s8, v112, v116
	s_or_b32 s12, s8, s12
	s_andn2_b32 exec_lo, exec_lo, s12
	s_cbranch_execnz .LBB1231_293
; %bb.294:
	s_inst_prefetch 0x2
	s_or_b32 exec_lo, exec_lo, s12
.LBB1231_295:
	s_or_b32 exec_lo, exec_lo, s9
	v_add_nc_u32_e32 v115, v194, v115
	v_add_nc_u32_e32 v113, v112, v113
	v_sub_nc_u32_e32 v115, v115, v112
	v_cmp_le_u32_e64 s8, v113, v194
	v_cmp_le_u32_e64 s9, v115, v195
	s_or_b32 s8, s8, s9
	s_and_saveexec_b32 s12, s8
	s_cbranch_execz .LBB1231_363
; %bb.296:
	v_cmp_ge_u32_e64 s8, v113, v194
	s_mov_b32 s13, exec_lo
                                        ; implicit-def: $vgpr8_vgpr9
	v_cmpx_lt_u32_e64 v113, v194
; %bb.297:
	v_lshl_add_u32 v0, v112, 3, v114
	ds_read_b64 v[8:9], v0
; %bb.298:
	s_or_b32 exec_lo, exec_lo, s13
	v_cmp_ge_u32_e64 s13, v115, v195
	s_mov_b32 s23, exec_lo
                                        ; implicit-def: $vgpr15_vgpr16
	v_cmpx_lt_u32_e64 v115, v195
; %bb.299:
	v_lshl_add_u32 v0, v115, 3, v31
	ds_read_b64 v[15:16], v0
; %bb.300:
	s_or_b32 exec_lo, exec_lo, s23
	s_nor_b32 s8, s8, s13
	s_and_saveexec_b32 s9, s8
	s_cbranch_execz .LBB1231_302
; %bb.301:
	s_waitcnt lgkmcnt(0)
	v_add_f64 v[0:1], v[8:9], 0
	v_add_f64 v[4:5], v[15:16], 0
	s_andn2_b32 s13, s13, exec_lo
	v_ashrrev_i32_e32 v13, 31, v1
	v_ashrrev_i32_e32 v14, 31, v5
	v_or_b32_e32 v17, 0x80000000, v13
	v_or_b32_e32 v18, 0x80000000, v14
	v_xor_b32_e32 v0, v13, v0
	v_xor_b32_e32 v4, v14, v4
	;; [unrolled: 1-line block ×4, first 2 shown]
	v_cmp_le_u64_e64 s8, v[0:1], v[4:5]
	s_and_b32 s8, s8, exec_lo
	s_or_b32 s13, s13, s8
.LBB1231_302:
	s_or_b32 exec_lo, exec_lo, s9
	v_cndmask_b32_e64 v0, v115, v113, s13
	v_cndmask_b32_e64 v1, v195, v194, s13
	s_mov_b32 s23, -1
	s_mov_b32 s9, -1
	s_mov_b32 s24, exec_lo
	v_add_nc_u32_e32 v14, 1, v0
	v_add_nc_u32_e32 v1, -1, v1
	v_lshl_add_u32 v0, v0, 3, v31
	v_cndmask_b32_e64 v13, v14, v115, s13
	v_min_u32_e32 v1, v14, v1
	v_cndmask_b32_e64 v14, v113, v14, s13
	v_lshl_add_u32 v1, v1, 3, v31
	ds_read_b64 v[4:5], v1
	ds_read_b64 v[0:1], v0 offset:32768
	s_waitcnt lgkmcnt(1)
	v_cndmask_b32_e64 v85, v5, v16, s13
	v_cndmask_b32_e64 v84, v4, v15, s13
	;; [unrolled: 1-line block ×4, first 2 shown]
	v_cmpx_lt_u32_e64 v13, v195
	s_cbranch_execz .LBB1231_306
; %bb.303:
	s_mov_b32 s25, 0
	s_mov_b32 s9, exec_lo
	v_cmpx_lt_u32_e64 v14, v194
	s_cbranch_execz .LBB1231_305
; %bb.304:
	v_add_f64 v[4:5], v[112:113], 0
	v_add_f64 v[17:18], v[84:85], 0
	v_ashrrev_i32_e32 v19, 31, v5
	v_ashrrev_i32_e32 v20, 31, v18
	v_or_b32_e32 v21, 0x80000000, v19
	v_or_b32_e32 v22, 0x80000000, v20
	v_xor_b32_e32 v4, v19, v4
	v_xor_b32_e32 v17, v20, v17
	;; [unrolled: 1-line block ×4, first 2 shown]
	v_cmp_le_u64_e64 s8, v[4:5], v[17:18]
	s_and_b32 s25, s8, exec_lo
.LBB1231_305:
	s_or_b32 exec_lo, exec_lo, s9
	s_orn2_b32 s9, s25, exec_lo
.LBB1231_306:
	s_or_b32 exec_lo, exec_lo, s24
	v_cndmask_b32_e64 v4, v13, v14, s9
	v_cndmask_b32_e64 v5, v195, v194, s9
	s_mov_b32 s24, exec_lo
	v_add_nc_u32_e32 v18, 1, v4
	v_add_nc_u32_e32 v5, -1, v5
	v_lshl_add_u32 v4, v4, 3, v31
	v_cndmask_b32_e64 v17, v18, v13, s9
	v_min_u32_e32 v5, v18, v5
	v_cndmask_b32_e64 v18, v14, v18, s9
	v_lshl_add_u32 v5, v5, 3, v31
	ds_read_b64 v[19:20], v5
	ds_read_b64 v[4:5], v4 offset:32768
	s_waitcnt lgkmcnt(1)
	v_cndmask_b32_e64 v99, v20, v85, s9
	v_cndmask_b32_e64 v98, v19, v84, s9
	;; [unrolled: 1-line block ×4, first 2 shown]
	v_cmpx_lt_u32_e64 v17, v195
	s_cbranch_execz .LBB1231_310
; %bb.307:
	s_mov_b32 s25, 0
	s_mov_b32 s23, exec_lo
	v_cmpx_lt_u32_e64 v18, v194
	s_cbranch_execz .LBB1231_309
; %bb.308:
	v_add_f64 v[13:14], v[114:115], 0
	v_add_f64 v[19:20], v[98:99], 0
	v_ashrrev_i32_e32 v21, 31, v14
	v_ashrrev_i32_e32 v22, 31, v20
	v_or_b32_e32 v23, 0x80000000, v21
	v_or_b32_e32 v24, 0x80000000, v22
	v_xor_b32_e32 v13, v21, v13
	v_xor_b32_e32 v19, v22, v19
	;; [unrolled: 1-line block ×4, first 2 shown]
	v_cmp_le_u64_e64 s8, v[13:14], v[19:20]
	s_and_b32 s25, s8, exec_lo
.LBB1231_309:
	s_or_b32 exec_lo, exec_lo, s23
	s_orn2_b32 s23, s25, exec_lo
.LBB1231_310:
	s_or_b32 exec_lo, exec_lo, s24
	v_cndmask_b32_e64 v13, v17, v18, s23
	v_cndmask_b32_e64 v14, v195, v194, s23
	s_mov_b32 s25, -1
	s_mov_b32 s24, -1
	s_mov_b32 s26, exec_lo
	v_add_nc_u32_e32 v20, 1, v13
	v_add_nc_u32_e32 v14, -1, v14
	v_lshl_add_u32 v13, v13, 3, v31
	v_cndmask_b32_e64 v19, v20, v17, s23
	v_min_u32_e32 v14, v20, v14
	v_cndmask_b32_e64 v20, v18, v20, s23
	v_lshl_add_u32 v14, v14, 3, v31
	ds_read_b64 v[21:22], v14
	ds_read_b64 v[13:14], v13 offset:32768
	s_waitcnt lgkmcnt(1)
	v_cndmask_b32_e64 v83, v22, v99, s23
	v_cndmask_b32_e64 v82, v21, v98, s23
	;; [unrolled: 1-line block ×4, first 2 shown]
	v_cmpx_lt_u32_e64 v19, v195
	s_cbranch_execz .LBB1231_314
; %bb.311:
	s_mov_b32 s27, 0
	s_mov_b32 s24, exec_lo
	v_cmpx_lt_u32_e64 v20, v194
	s_cbranch_execz .LBB1231_313
; %bb.312:
	v_add_f64 v[17:18], v[116:117], 0
	v_add_f64 v[21:22], v[82:83], 0
	v_ashrrev_i32_e32 v23, 31, v18
	v_ashrrev_i32_e32 v24, 31, v22
	v_or_b32_e32 v25, 0x80000000, v23
	v_or_b32_e32 v26, 0x80000000, v24
	v_xor_b32_e32 v17, v23, v17
	v_xor_b32_e32 v21, v24, v21
	;; [unrolled: 1-line block ×4, first 2 shown]
	v_cmp_le_u64_e64 s8, v[17:18], v[21:22]
	s_and_b32 s27, s8, exec_lo
.LBB1231_313:
	s_or_b32 exec_lo, exec_lo, s24
	s_orn2_b32 s24, s27, exec_lo
.LBB1231_314:
	s_or_b32 exec_lo, exec_lo, s26
	v_cndmask_b32_e64 v17, v19, v20, s24
	v_cndmask_b32_e64 v18, v195, v194, s24
	s_mov_b32 s26, exec_lo
	v_add_nc_u32_e32 v22, 1, v17
	v_add_nc_u32_e32 v18, -1, v18
	v_lshl_add_u32 v17, v17, 3, v31
	v_cndmask_b32_e64 v21, v22, v19, s24
	v_min_u32_e32 v18, v22, v18
	v_cndmask_b32_e64 v22, v20, v22, s24
	v_lshl_add_u32 v18, v18, 3, v31
	ds_read_b64 v[23:24], v18
	ds_read_b64 v[17:18], v17 offset:32768
	s_waitcnt lgkmcnt(1)
	v_cndmask_b32_e64 v97, v24, v83, s24
	v_cndmask_b32_e64 v96, v23, v82, s24
	;; [unrolled: 1-line block ×4, first 2 shown]
	v_cmpx_lt_u32_e64 v21, v195
	s_cbranch_execz .LBB1231_318
; %bb.315:
	s_mov_b32 s27, 0
	s_mov_b32 s25, exec_lo
	v_cmpx_lt_u32_e64 v22, v194
	s_cbranch_execz .LBB1231_317
; %bb.316:
	v_add_f64 v[19:20], v[118:119], 0
	v_add_f64 v[23:24], v[96:97], 0
	v_ashrrev_i32_e32 v25, 31, v20
	v_ashrrev_i32_e32 v26, 31, v24
	v_or_b32_e32 v27, 0x80000000, v25
	v_or_b32_e32 v28, 0x80000000, v26
	v_xor_b32_e32 v19, v25, v19
	v_xor_b32_e32 v23, v26, v23
	;; [unrolled: 1-line block ×4, first 2 shown]
	v_cmp_le_u64_e64 s8, v[19:20], v[23:24]
	s_and_b32 s27, s8, exec_lo
.LBB1231_317:
	s_or_b32 exec_lo, exec_lo, s25
	s_orn2_b32 s25, s27, exec_lo
.LBB1231_318:
	s_or_b32 exec_lo, exec_lo, s26
	v_cndmask_b32_e64 v19, v21, v22, s25
	v_cndmask_b32_e64 v20, v195, v194, s25
	s_mov_b32 s27, -1
	s_mov_b32 s26, -1
	s_mov_b32 s28, exec_lo
	v_add_nc_u32_e32 v24, 1, v19
	v_add_nc_u32_e32 v20, -1, v20
	v_lshl_add_u32 v19, v19, 3, v31
	v_cndmask_b32_e64 v23, v24, v21, s25
	v_min_u32_e32 v20, v24, v20
	v_cndmask_b32_e64 v24, v22, v24, s25
	v_lshl_add_u32 v20, v20, 3, v31
	ds_read_b64 v[25:26], v20
	ds_read_b64 v[19:20], v19 offset:32768
	s_waitcnt lgkmcnt(1)
	v_cndmask_b32_e64 v81, v26, v97, s25
	v_cndmask_b32_e64 v80, v25, v96, s25
	;; [unrolled: 1-line block ×4, first 2 shown]
	v_cmpx_lt_u32_e64 v23, v195
	s_cbranch_execz .LBB1231_322
; %bb.319:
	s_mov_b32 s29, 0
	s_mov_b32 s26, exec_lo
	v_cmpx_lt_u32_e64 v24, v194
	s_cbranch_execz .LBB1231_321
; %bb.320:
	v_add_f64 v[21:22], v[128:129], 0
	v_add_f64 v[25:26], v[80:81], 0
	v_ashrrev_i32_e32 v27, 31, v22
	v_ashrrev_i32_e32 v28, 31, v26
	v_or_b32_e32 v29, 0x80000000, v27
	v_or_b32_e32 v30, 0x80000000, v28
	v_xor_b32_e32 v21, v27, v21
	v_xor_b32_e32 v25, v28, v25
	;; [unrolled: 1-line block ×4, first 2 shown]
	v_cmp_le_u64_e64 s8, v[21:22], v[25:26]
	s_and_b32 s29, s8, exec_lo
.LBB1231_321:
	s_or_b32 exec_lo, exec_lo, s26
	s_orn2_b32 s26, s29, exec_lo
.LBB1231_322:
	s_or_b32 exec_lo, exec_lo, s28
	v_cndmask_b32_e64 v21, v23, v24, s26
	v_cndmask_b32_e64 v22, v195, v194, s26
	s_mov_b32 s28, exec_lo
	v_add_nc_u32_e32 v26, 1, v21
	v_add_nc_u32_e32 v22, -1, v22
	v_lshl_add_u32 v21, v21, 3, v31
	v_cndmask_b32_e64 v25, v26, v23, s26
	v_min_u32_e32 v22, v26, v22
	v_cndmask_b32_e64 v26, v24, v26, s26
	v_lshl_add_u32 v22, v22, 3, v31
	ds_read_b64 v[27:28], v22
	ds_read_b64 v[21:22], v21 offset:32768
	s_waitcnt lgkmcnt(1)
	v_cndmask_b32_e64 v87, v28, v81, s26
	v_cndmask_b32_e64 v86, v27, v80, s26
	;; [unrolled: 1-line block ×4, first 2 shown]
	v_cmpx_lt_u32_e64 v25, v195
	s_cbranch_execz .LBB1231_326
; %bb.323:
	s_mov_b32 s29, 0
	s_mov_b32 s27, exec_lo
	v_cmpx_lt_u32_e64 v26, v194
	s_cbranch_execz .LBB1231_325
; %bb.324:
	v_add_f64 v[23:24], v[130:131], 0
	v_add_f64 v[27:28], v[86:87], 0
	v_ashrrev_i32_e32 v29, 31, v24
	v_ashrrev_i32_e32 v30, 31, v28
	v_or_b32_e32 v32, 0x80000000, v29
	v_or_b32_e32 v33, 0x80000000, v30
	v_xor_b32_e32 v23, v29, v23
	v_xor_b32_e32 v27, v30, v27
	v_xor_b32_e32 v24, v32, v24
	v_xor_b32_e32 v28, v33, v28
	v_cmp_le_u64_e64 s8, v[23:24], v[27:28]
	s_and_b32 s29, s8, exec_lo
.LBB1231_325:
	s_or_b32 exec_lo, exec_lo, s27
	s_orn2_b32 s27, s29, exec_lo
.LBB1231_326:
	s_or_b32 exec_lo, exec_lo, s28
	v_cndmask_b32_e64 v23, v25, v26, s27
	v_cndmask_b32_e64 v24, v195, v194, s27
	s_mov_b32 s29, -1
	s_mov_b32 s28, -1
	s_mov_b32 s40, exec_lo
	v_add_nc_u32_e32 v28, 1, v23
	v_add_nc_u32_e32 v24, -1, v24
	v_lshl_add_u32 v23, v23, 3, v31
	v_cndmask_b32_e64 v27, v28, v25, s27
	v_min_u32_e32 v24, v28, v24
	v_cndmask_b32_e64 v28, v26, v28, s27
	v_lshl_add_u32 v24, v24, 3, v31
	ds_read_b64 v[29:30], v24
	ds_read_b64 v[23:24], v23 offset:32768
	s_waitcnt lgkmcnt(1)
	v_cndmask_b32_e64 v71, v30, v87, s27
	v_cndmask_b32_e64 v70, v29, v86, s27
	;; [unrolled: 1-line block ×4, first 2 shown]
	v_cmpx_lt_u32_e64 v27, v195
	s_cbranch_execz .LBB1231_330
; %bb.327:
	s_mov_b32 s41, 0
	s_mov_b32 s28, exec_lo
	v_cmpx_lt_u32_e64 v28, v194
	s_cbranch_execz .LBB1231_329
; %bb.328:
	v_add_f64 v[25:26], v[102:103], 0
	v_add_f64 v[29:30], v[70:71], 0
	v_ashrrev_i32_e32 v32, 31, v26
	v_ashrrev_i32_e32 v33, 31, v30
	v_or_b32_e32 v34, 0x80000000, v32
	v_or_b32_e32 v35, 0x80000000, v33
	v_xor_b32_e32 v25, v32, v25
	v_xor_b32_e32 v29, v33, v29
	v_xor_b32_e32 v26, v34, v26
	v_xor_b32_e32 v30, v35, v30
	v_cmp_le_u64_e64 s8, v[25:26], v[29:30]
	s_and_b32 s41, s8, exec_lo
.LBB1231_329:
	s_or_b32 exec_lo, exec_lo, s28
	s_orn2_b32 s28, s41, exec_lo
.LBB1231_330:
	s_or_b32 exec_lo, exec_lo, s40
	v_cndmask_b32_e64 v25, v27, v28, s28
	v_cndmask_b32_e64 v26, v195, v194, s28
	s_mov_b32 s40, exec_lo
	v_add_nc_u32_e32 v30, 1, v25
	v_add_nc_u32_e32 v26, -1, v26
	v_lshl_add_u32 v25, v25, 3, v31
	v_cndmask_b32_e64 v29, v30, v27, s28
	v_min_u32_e32 v26, v30, v26
	v_cndmask_b32_e64 v30, v28, v30, s28
	v_lshl_add_u32 v26, v26, 3, v31
	ds_read_b64 v[32:33], v26
	ds_read_b64 v[25:26], v25 offset:32768
	s_waitcnt lgkmcnt(1)
	v_cndmask_b32_e64 v69, v33, v71, s28
	v_cndmask_b32_e64 v68, v32, v70, s28
	;; [unrolled: 1-line block ×4, first 2 shown]
	v_cmpx_lt_u32_e64 v29, v195
	s_cbranch_execz .LBB1231_334
; %bb.331:
	s_mov_b32 s41, 0
	s_mov_b32 s29, exec_lo
	v_cmpx_lt_u32_e64 v30, v194
	s_cbranch_execz .LBB1231_333
; %bb.332:
	v_add_f64 v[27:28], v[132:133], 0
	v_add_f64 v[32:33], v[68:69], 0
	v_ashrrev_i32_e32 v34, 31, v28
	v_ashrrev_i32_e32 v35, 31, v33
	v_or_b32_e32 v36, 0x80000000, v34
	v_or_b32_e32 v37, 0x80000000, v35
	v_xor_b32_e32 v27, v34, v27
	v_xor_b32_e32 v32, v35, v32
	;; [unrolled: 1-line block ×4, first 2 shown]
	v_cmp_le_u64_e64 s8, v[27:28], v[32:33]
	s_and_b32 s41, s8, exec_lo
.LBB1231_333:
	s_or_b32 exec_lo, exec_lo, s29
	s_orn2_b32 s29, s41, exec_lo
.LBB1231_334:
	s_or_b32 exec_lo, exec_lo, s40
	v_cndmask_b32_e64 v27, v29, v30, s29
	v_cndmask_b32_e64 v28, v195, v194, s29
	s_mov_b32 s41, -1
	s_mov_b32 s40, -1
	s_mov_b32 s42, exec_lo
	v_add_nc_u32_e32 v33, 1, v27
	v_add_nc_u32_e32 v28, -1, v28
	v_lshl_add_u32 v27, v27, 3, v31
	v_cndmask_b32_e64 v32, v33, v29, s29
	v_min_u32_e32 v28, v33, v28
	v_cndmask_b32_e64 v33, v30, v33, s29
	v_lshl_add_u32 v28, v28, 3, v31
	ds_read_b64 v[34:35], v28
	ds_read_b64 v[27:28], v27 offset:32768
	s_waitcnt lgkmcnt(1)
	v_cndmask_b32_e64 v65, v35, v69, s29
	v_cndmask_b32_e64 v64, v34, v68, s29
	;; [unrolled: 1-line block ×4, first 2 shown]
	v_cmpx_lt_u32_e64 v32, v195
	s_cbranch_execz .LBB1231_338
; %bb.335:
	s_mov_b32 s43, 0
	s_mov_b32 s40, exec_lo
	v_cmpx_lt_u32_e64 v33, v194
	s_cbranch_execz .LBB1231_337
; %bb.336:
	v_add_f64 v[29:30], v[134:135], 0
	v_add_f64 v[34:35], v[64:65], 0
	v_ashrrev_i32_e32 v36, 31, v30
	v_ashrrev_i32_e32 v37, 31, v35
	v_or_b32_e32 v38, 0x80000000, v36
	v_or_b32_e32 v39, 0x80000000, v37
	v_xor_b32_e32 v29, v36, v29
	v_xor_b32_e32 v34, v37, v34
	v_xor_b32_e32 v30, v38, v30
	v_xor_b32_e32 v35, v39, v35
	v_cmp_le_u64_e64 s8, v[29:30], v[34:35]
	s_and_b32 s43, s8, exec_lo
.LBB1231_337:
	s_or_b32 exec_lo, exec_lo, s40
	s_orn2_b32 s40, s43, exec_lo
.LBB1231_338:
	s_or_b32 exec_lo, exec_lo, s42
	v_cndmask_b32_e64 v29, v32, v33, s40
	v_cndmask_b32_e64 v30, v195, v194, s40
	s_mov_b32 s42, exec_lo
	v_add_nc_u32_e32 v35, 1, v29
	v_add_nc_u32_e32 v30, -1, v30
	v_lshl_add_u32 v29, v29, 3, v31
	v_cndmask_b32_e64 v34, v35, v32, s40
	v_min_u32_e32 v30, v35, v30
	v_cndmask_b32_e64 v35, v33, v35, s40
	v_lshl_add_u32 v30, v30, 3, v31
	ds_read_b64 v[36:37], v30
	ds_read_b64 v[29:30], v29 offset:32768
	s_waitcnt lgkmcnt(1)
	v_cndmask_b32_e64 v55, v37, v65, s40
	v_cndmask_b32_e64 v54, v36, v64, s40
	;; [unrolled: 1-line block ×4, first 2 shown]
	v_cmpx_lt_u32_e64 v34, v195
	s_cbranch_execz .LBB1231_342
; %bb.339:
	s_mov_b32 s43, 0
	s_mov_b32 s41, exec_lo
	v_cmpx_lt_u32_e64 v35, v194
	s_cbranch_execz .LBB1231_341
; %bb.340:
	v_add_f64 v[32:33], v[144:145], 0
	v_add_f64 v[36:37], v[54:55], 0
	v_ashrrev_i32_e32 v38, 31, v33
	v_ashrrev_i32_e32 v39, 31, v37
	v_or_b32_e32 v48, 0x80000000, v38
	v_or_b32_e32 v49, 0x80000000, v39
	v_xor_b32_e32 v32, v38, v32
	v_xor_b32_e32 v36, v39, v36
	;; [unrolled: 1-line block ×4, first 2 shown]
	v_cmp_le_u64_e64 s8, v[32:33], v[36:37]
	s_and_b32 s43, s8, exec_lo
.LBB1231_341:
	s_or_b32 exec_lo, exec_lo, s41
	s_orn2_b32 s41, s43, exec_lo
.LBB1231_342:
	s_or_b32 exec_lo, exec_lo, s42
	v_cndmask_b32_e64 v32, v34, v35, s41
	v_cndmask_b32_e64 v33, v195, v194, s41
	s_mov_b32 s43, -1
	s_mov_b32 s42, -1
	s_mov_b32 s44, exec_lo
	v_add_nc_u32_e32 v37, 1, v32
	v_add_nc_u32_e32 v33, -1, v33
	v_lshl_add_u32 v32, v32, 3, v31
	v_cndmask_b32_e64 v36, v37, v34, s41
	v_min_u32_e32 v33, v37, v33
	v_cndmask_b32_e64 v37, v35, v37, s41
	v_lshl_add_u32 v33, v33, 3, v31
	ds_read_b64 v[38:39], v33
	ds_read_b64 v[32:33], v32 offset:32768
	s_waitcnt lgkmcnt(1)
	v_cndmask_b32_e64 v101, v39, v55, s41
	v_cndmask_b32_e64 v100, v38, v54, s41
	;; [unrolled: 1-line block ×4, first 2 shown]
	v_cmpx_lt_u32_e64 v36, v195
	s_cbranch_execz .LBB1231_346
; %bb.343:
	s_mov_b32 s45, 0
	s_mov_b32 s42, exec_lo
	v_cmpx_lt_u32_e64 v37, v194
	s_cbranch_execz .LBB1231_345
; %bb.344:
	v_add_f64 v[34:35], v[146:147], 0
	v_add_f64 v[38:39], v[100:101], 0
	v_ashrrev_i32_e32 v48, 31, v35
	v_ashrrev_i32_e32 v49, 31, v39
	v_or_b32_e32 v50, 0x80000000, v48
	v_or_b32_e32 v51, 0x80000000, v49
	v_xor_b32_e32 v34, v48, v34
	v_xor_b32_e32 v38, v49, v38
	;; [unrolled: 1-line block ×4, first 2 shown]
	v_cmp_le_u64_e64 s8, v[34:35], v[38:39]
	s_and_b32 s45, s8, exec_lo
.LBB1231_345:
	s_or_b32 exec_lo, exec_lo, s42
	s_orn2_b32 s42, s45, exec_lo
.LBB1231_346:
	s_or_b32 exec_lo, exec_lo, s44
	v_cndmask_b32_e64 v34, v36, v37, s42
	v_cndmask_b32_e64 v35, v195, v194, s42
	s_mov_b32 s44, exec_lo
	v_add_nc_u32_e32 v48, 1, v34
	v_add_nc_u32_e32 v35, -1, v35
	v_lshl_add_u32 v34, v34, 3, v31
	v_cndmask_b32_e64 v36, v48, v36, s42
	v_min_u32_e32 v35, v48, v35
	v_cndmask_b32_e64 v37, v37, v48, s42
	v_lshl_add_u32 v35, v35, 3, v31
	ds_read_b64 v[38:39], v35
	ds_read_b64 v[34:35], v34 offset:32768
	s_waitcnt lgkmcnt(1)
	v_cndmask_b32_e64 v53, v39, v101, s42
	v_cndmask_b32_e64 v52, v38, v100, s42
	;; [unrolled: 1-line block ×4, first 2 shown]
	v_cmpx_lt_u32_e64 v36, v195
	s_cbranch_execz .LBB1231_350
; %bb.347:
	s_mov_b32 s45, 0
	s_mov_b32 s43, exec_lo
	v_cmpx_lt_u32_e64 v37, v194
	s_cbranch_execz .LBB1231_349
; %bb.348:
	v_add_f64 v[38:39], v[148:149], 0
	v_add_f64 v[48:49], v[52:53], 0
	v_ashrrev_i32_e32 v50, 31, v39
	v_ashrrev_i32_e32 v51, 31, v49
	v_or_b32_e32 v66, 0x80000000, v50
	v_or_b32_e32 v67, 0x80000000, v51
	v_xor_b32_e32 v38, v50, v38
	v_xor_b32_e32 v48, v51, v48
	;; [unrolled: 1-line block ×4, first 2 shown]
	v_cmp_le_u64_e64 s8, v[38:39], v[48:49]
	s_and_b32 s45, s8, exec_lo
.LBB1231_349:
	s_or_b32 exec_lo, exec_lo, s43
	s_orn2_b32 s43, s45, exec_lo
.LBB1231_350:
	s_or_b32 exec_lo, exec_lo, s44
	v_cndmask_b32_e64 v38, v36, v37, s43
	v_cndmask_b32_e64 v39, v195, v194, s43
	s_mov_b32 s45, -1
	s_mov_b32 s44, -1
	s_mov_b32 s46, exec_lo
	v_add_nc_u32_e32 v48, 1, v38
	v_add_nc_u32_e32 v39, -1, v39
	v_lshl_add_u32 v38, v38, 3, v31
	v_cndmask_b32_e64 v36, v48, v36, s43
	v_min_u32_e32 v39, v48, v39
	v_cndmask_b32_e64 v37, v37, v48, s43
	v_lshl_add_u32 v39, v39, 3, v31
	ds_read_b64 v[50:51], v39
	ds_read_b64 v[38:39], v38 offset:32768
	s_waitcnt lgkmcnt(1)
	v_cndmask_b32_e64 v49, v51, v53, s43
	v_cndmask_b32_e64 v48, v50, v52, s43
	;; [unrolled: 1-line block ×4, first 2 shown]
	v_cmpx_lt_u32_e64 v36, v195
	s_cbranch_execz .LBB1231_354
; %bb.351:
	s_mov_b32 s47, 0
	s_mov_b32 s44, exec_lo
	v_cmpx_lt_u32_e64 v37, v194
	s_cbranch_execz .LBB1231_353
; %bb.352:
	v_add_f64 v[50:51], v[150:151], 0
	v_add_f64 v[66:67], v[48:49], 0
	v_ashrrev_i32_e32 v160, 31, v51
	v_ashrrev_i32_e32 v161, 31, v67
	v_or_b32_e32 v162, 0x80000000, v160
	v_or_b32_e32 v163, 0x80000000, v161
	v_xor_b32_e32 v50, v160, v50
	v_xor_b32_e32 v66, v161, v66
	;; [unrolled: 1-line block ×4, first 2 shown]
	v_cmp_le_u64_e64 s8, v[50:51], v[66:67]
	s_and_b32 s47, s8, exec_lo
.LBB1231_353:
	s_or_b32 exec_lo, exec_lo, s44
	s_orn2_b32 s44, s47, exec_lo
.LBB1231_354:
	s_or_b32 exec_lo, exec_lo, s46
	v_cndmask_b32_e64 v50, v36, v37, s44
	v_cndmask_b32_e64 v51, v195, v194, s44
	s_mov_b32 s46, exec_lo
	v_add_nc_u32_e32 v66, 1, v50
	v_add_nc_u32_e32 v51, -1, v51
	v_lshl_add_u32 v50, v50, 3, v31
	v_cndmask_b32_e64 v160, v66, v36, s44
	v_min_u32_e32 v51, v66, v51
	v_cndmask_b32_e64 v161, v37, v66, s44
	v_lshl_add_u32 v51, v51, 3, v31
	ds_read_b64 v[162:163], v51
	ds_read_b64 v[50:51], v50 offset:32768
	s_waitcnt lgkmcnt(1)
	v_cndmask_b32_e64 v67, v163, v49, s44
	v_cndmask_b32_e64 v66, v162, v48, s44
	;; [unrolled: 1-line block ×4, first 2 shown]
	v_cmpx_lt_u32_e64 v160, v195
	s_cbranch_execz .LBB1231_358
; %bb.355:
	s_mov_b32 s47, 0
	s_mov_b32 s45, exec_lo
	v_cmpx_lt_u32_e64 v161, v194
	s_cbranch_execz .LBB1231_357
; %bb.356:
	v_add_f64 v[36:37], v[164:165], 0
	v_add_f64 v[162:163], v[66:67], 0
	v_ashrrev_i32_e32 v196, 31, v37
	v_ashrrev_i32_e32 v197, 31, v163
	v_or_b32_e32 v198, 0x80000000, v196
	v_or_b32_e32 v199, 0x80000000, v197
	v_xor_b32_e32 v36, v196, v36
	v_xor_b32_e32 v162, v197, v162
	;; [unrolled: 1-line block ×4, first 2 shown]
	v_cmp_le_u64_e64 s8, v[36:37], v[162:163]
	s_and_b32 s47, s8, exec_lo
.LBB1231_357:
	s_or_b32 exec_lo, exec_lo, s45
	s_orn2_b32 s45, s47, exec_lo
.LBB1231_358:
	s_or_b32 exec_lo, exec_lo, s46
	v_cndmask_b32_e64 v36, v160, v161, s45
	v_cndmask_b32_e64 v37, v195, v194, s45
	s_mov_b32 s46, -1
	s_mov_b32 s47, exec_lo
	v_add_nc_u32_e32 v197, 1, v36
	v_add_nc_u32_e32 v37, -1, v37
	v_lshl_add_u32 v36, v36, 3, v31
	v_cndmask_b32_e64 v196, v197, v160, s45
	v_min_u32_e32 v37, v197, v37
	v_cndmask_b32_e64 v197, v161, v197, s45
	v_lshl_add_u32 v37, v37, 3, v31
	ds_read_b64 v[162:163], v37
	ds_read_b64 v[36:37], v36 offset:32768
	s_waitcnt lgkmcnt(1)
	v_cndmask_b32_e64 v161, v163, v67, s45
	v_cndmask_b32_e64 v160, v162, v66, s45
	;; [unrolled: 1-line block ×4, first 2 shown]
	v_cmpx_lt_u32_e64 v196, v195
	s_cbranch_execz .LBB1231_362
; %bb.359:
	s_mov_b32 s56, 0
	s_mov_b32 s46, exec_lo
	v_cmpx_lt_u32_e64 v197, v194
	s_cbranch_execz .LBB1231_361
; %bb.360:
	v_add_f64 v[194:195], v[162:163], 0
	v_add_f64 v[198:199], v[160:161], 0
	v_ashrrev_i32_e32 v208, 31, v195
	v_ashrrev_i32_e32 v209, 31, v199
	v_or_b32_e32 v210, 0x80000000, v208
	v_or_b32_e32 v211, 0x80000000, v209
	v_xor_b32_e32 v194, v208, v194
	v_xor_b32_e32 v198, v209, v198
	;; [unrolled: 1-line block ×4, first 2 shown]
	v_cmp_le_u64_e64 s8, v[194:195], v[198:199]
	s_and_b32 s56, s8, exec_lo
.LBB1231_361:
	s_or_b32 exec_lo, exec_lo, s46
	s_orn2_b32 s46, s56, exec_lo
.LBB1231_362:
	s_or_b32 exec_lo, exec_lo, s47
	v_cndmask_b32_e64 v55, v55, v145, s41
	v_cndmask_b32_e64 v145, v196, v197, s46
	;; [unrolled: 1-line block ×6, first 2 shown]
	v_lshl_add_u32 v133, v145, 3, v31
	v_cndmask_b32_e64 v66, v66, v164, s45
	v_cndmask_b32_e64 v49, v49, v151, s44
	;; [unrolled: 1-line block ×4, first 2 shown]
	ds_read_b64 v[102:103], v133 offset:32768
	v_cndmask_b32_e64 v52, v52, v148, s43
	v_cndmask_b32_e64 v101, v101, v147, s42
	;; [unrolled: 1-line block ×23, first 2 shown]
.LBB1231_363:
	s_or_b32 exec_lo, exec_lo, s12
	v_and_b32_e32 v113, 0x1c0, v167
	v_and_b32_e32 v114, 48, v167
	s_mov_b32 s9, exec_lo
	; wave barrier
	v_or_b32_e32 v112, 32, v113
	v_min_u32_e32 v115, v177, v114
	ds_write2_b64 v176, v[8:9], v[84:85] offset1:1
	ds_write2_b64 v181, v[0:1], v[4:5] offset1:1
	ds_write2_b64 v176, v[98:99], v[82:83] offset0:2 offset1:3
	ds_write2_b64 v182, v[13:14], v[17:18] offset1:1
	ds_write2_b64 v176, v[96:97], v[80:81] offset0:4 offset1:5
	;; [unrolled: 2-line block ×3, first 2 shown]
	ds_write2_b64 v180, v[23:24], v[25:26] offset1:1
	v_min_u32_e32 v194, v177, v112
	ds_write2_b64 v176, v[68:69], v[64:65] offset0:8 offset1:9
	ds_write2_b64 v178, v[27:28], v[29:30] offset1:1
	ds_write2_b64 v176, v[54:55], v[100:101] offset0:10 offset1:11
	ds_write2_b64 v183, v[32:33], v[34:35] offset1:1
	;; [unrolled: 2-line block ×3, first 2 shown]
	ds_write2_b64 v176, v[66:67], v[15:16] offset0:14 offset1:15
	s_waitcnt lgkmcnt(15)
	ds_write2_b64 v193, v[36:37], v[102:103] offset1:1
	v_add_nc_u32_e32 v112, 32, v194
	v_sub_nc_u32_e32 v114, v194, v113
	; wave barrier
	v_min_u32_e32 v195, v177, v112
	v_min_u32_e32 v116, v115, v114
	v_lshl_add_u32 v114, v113, 3, v31
	v_sub_nc_u32_e32 v112, v195, v194
	v_sub_nc_u32_e64 v112, v115, v112 clamp
	v_cmpx_lt_u32_e64 v112, v116
	s_cbranch_execz .LBB1231_367
; %bb.364:
	v_lshlrev_b32_e32 v117, 3, v194
	v_lshlrev_b32_e32 v118, 3, v115
	s_mov_b32 s12, 0
	v_add3_u32 v117, v31, v117, v118
	s_inst_prefetch 0x1
	.p2align	6
.LBB1231_365:                           ; =>This Inner Loop Header: Depth=1
	v_add_nc_u32_e32 v118, v116, v112
	v_lshrrev_b32_e32 v130, 1, v118
	v_not_b32_e32 v118, v130
	v_lshl_add_u32 v119, v130, 3, v114
	v_lshl_add_u32 v128, v118, 3, v117
	ds_read_b64 v[118:119], v119
	ds_read_b64 v[128:129], v128
	s_waitcnt lgkmcnt(1)
	v_add_f64 v[118:119], v[118:119], 0
	s_waitcnt lgkmcnt(0)
	v_add_f64 v[128:129], v[128:129], 0
	v_ashrrev_i32_e32 v131, 31, v119
	v_ashrrev_i32_e32 v132, 31, v129
	v_or_b32_e32 v133, 0x80000000, v131
	v_or_b32_e32 v134, 0x80000000, v132
	v_xor_b32_e32 v118, v131, v118
	v_xor_b32_e32 v128, v132, v128
	;; [unrolled: 1-line block ×4, first 2 shown]
	v_cmp_gt_u64_e64 s8, v[118:119], v[128:129]
	v_add_nc_u32_e32 v118, 1, v130
	v_cndmask_b32_e64 v116, v116, v130, s8
	v_cndmask_b32_e64 v112, v118, v112, s8
	v_cmp_ge_u32_e64 s8, v112, v116
	s_or_b32 s12, s8, s12
	s_andn2_b32 exec_lo, exec_lo, s12
	s_cbranch_execnz .LBB1231_365
; %bb.366:
	s_inst_prefetch 0x2
	s_or_b32 exec_lo, exec_lo, s12
.LBB1231_367:
	s_or_b32 exec_lo, exec_lo, s9
	v_add_nc_u32_e32 v115, v194, v115
	v_add_nc_u32_e32 v113, v112, v113
	v_sub_nc_u32_e32 v115, v115, v112
	v_cmp_le_u32_e64 s8, v113, v194
	v_cmp_le_u32_e64 s9, v115, v195
	s_or_b32 s8, s8, s9
	s_and_saveexec_b32 s12, s8
	s_cbranch_execz .LBB1231_435
; %bb.368:
	v_cmp_ge_u32_e64 s8, v113, v194
	s_mov_b32 s13, exec_lo
                                        ; implicit-def: $vgpr8_vgpr9
	v_cmpx_lt_u32_e64 v113, v194
; %bb.369:
	v_lshl_add_u32 v0, v112, 3, v114
	ds_read_b64 v[8:9], v0
; %bb.370:
	s_or_b32 exec_lo, exec_lo, s13
	v_cmp_ge_u32_e64 s13, v115, v195
	s_mov_b32 s23, exec_lo
                                        ; implicit-def: $vgpr15_vgpr16
	v_cmpx_lt_u32_e64 v115, v195
; %bb.371:
	v_lshl_add_u32 v0, v115, 3, v31
	ds_read_b64 v[15:16], v0
; %bb.372:
	s_or_b32 exec_lo, exec_lo, s23
	s_nor_b32 s8, s8, s13
	s_and_saveexec_b32 s9, s8
	s_cbranch_execz .LBB1231_374
; %bb.373:
	s_waitcnt lgkmcnt(0)
	v_add_f64 v[0:1], v[8:9], 0
	v_add_f64 v[4:5], v[15:16], 0
	s_andn2_b32 s13, s13, exec_lo
	v_ashrrev_i32_e32 v13, 31, v1
	v_ashrrev_i32_e32 v14, 31, v5
	v_or_b32_e32 v17, 0x80000000, v13
	v_or_b32_e32 v18, 0x80000000, v14
	v_xor_b32_e32 v0, v13, v0
	v_xor_b32_e32 v4, v14, v4
	;; [unrolled: 1-line block ×4, first 2 shown]
	v_cmp_le_u64_e64 s8, v[0:1], v[4:5]
	s_and_b32 s8, s8, exec_lo
	s_or_b32 s13, s13, s8
.LBB1231_374:
	s_or_b32 exec_lo, exec_lo, s9
	v_cndmask_b32_e64 v0, v115, v113, s13
	v_cndmask_b32_e64 v1, v195, v194, s13
	s_mov_b32 s23, -1
	s_mov_b32 s9, -1
	s_mov_b32 s24, exec_lo
	v_add_nc_u32_e32 v14, 1, v0
	v_add_nc_u32_e32 v1, -1, v1
	v_lshl_add_u32 v0, v0, 3, v31
	v_cndmask_b32_e64 v13, v14, v115, s13
	v_min_u32_e32 v1, v14, v1
	v_cndmask_b32_e64 v14, v113, v14, s13
	v_lshl_add_u32 v1, v1, 3, v31
	ds_read_b64 v[4:5], v1
	ds_read_b64 v[0:1], v0 offset:32768
	s_waitcnt lgkmcnt(1)
	v_cndmask_b32_e64 v85, v5, v16, s13
	v_cndmask_b32_e64 v84, v4, v15, s13
	;; [unrolled: 1-line block ×4, first 2 shown]
	v_cmpx_lt_u32_e64 v13, v195
	s_cbranch_execz .LBB1231_378
; %bb.375:
	s_mov_b32 s25, 0
	s_mov_b32 s9, exec_lo
	v_cmpx_lt_u32_e64 v14, v194
	s_cbranch_execz .LBB1231_377
; %bb.376:
	v_add_f64 v[4:5], v[112:113], 0
	v_add_f64 v[17:18], v[84:85], 0
	v_ashrrev_i32_e32 v19, 31, v5
	v_ashrrev_i32_e32 v20, 31, v18
	v_or_b32_e32 v21, 0x80000000, v19
	v_or_b32_e32 v22, 0x80000000, v20
	v_xor_b32_e32 v4, v19, v4
	v_xor_b32_e32 v17, v20, v17
	;; [unrolled: 1-line block ×4, first 2 shown]
	v_cmp_le_u64_e64 s8, v[4:5], v[17:18]
	s_and_b32 s25, s8, exec_lo
.LBB1231_377:
	s_or_b32 exec_lo, exec_lo, s9
	s_orn2_b32 s9, s25, exec_lo
.LBB1231_378:
	s_or_b32 exec_lo, exec_lo, s24
	v_cndmask_b32_e64 v4, v13, v14, s9
	v_cndmask_b32_e64 v5, v195, v194, s9
	s_mov_b32 s24, exec_lo
	v_add_nc_u32_e32 v18, 1, v4
	v_add_nc_u32_e32 v5, -1, v5
	v_lshl_add_u32 v4, v4, 3, v31
	v_cndmask_b32_e64 v17, v18, v13, s9
	v_min_u32_e32 v5, v18, v5
	v_cndmask_b32_e64 v18, v14, v18, s9
	v_lshl_add_u32 v5, v5, 3, v31
	ds_read_b64 v[19:20], v5
	ds_read_b64 v[4:5], v4 offset:32768
	s_waitcnt lgkmcnt(1)
	v_cndmask_b32_e64 v99, v20, v85, s9
	v_cndmask_b32_e64 v98, v19, v84, s9
	;; [unrolled: 1-line block ×4, first 2 shown]
	v_cmpx_lt_u32_e64 v17, v195
	s_cbranch_execz .LBB1231_382
; %bb.379:
	s_mov_b32 s25, 0
	s_mov_b32 s23, exec_lo
	v_cmpx_lt_u32_e64 v18, v194
	s_cbranch_execz .LBB1231_381
; %bb.380:
	v_add_f64 v[13:14], v[114:115], 0
	v_add_f64 v[19:20], v[98:99], 0
	v_ashrrev_i32_e32 v21, 31, v14
	v_ashrrev_i32_e32 v22, 31, v20
	v_or_b32_e32 v23, 0x80000000, v21
	v_or_b32_e32 v24, 0x80000000, v22
	v_xor_b32_e32 v13, v21, v13
	v_xor_b32_e32 v19, v22, v19
	;; [unrolled: 1-line block ×4, first 2 shown]
	v_cmp_le_u64_e64 s8, v[13:14], v[19:20]
	s_and_b32 s25, s8, exec_lo
.LBB1231_381:
	s_or_b32 exec_lo, exec_lo, s23
	s_orn2_b32 s23, s25, exec_lo
.LBB1231_382:
	s_or_b32 exec_lo, exec_lo, s24
	v_cndmask_b32_e64 v13, v17, v18, s23
	v_cndmask_b32_e64 v14, v195, v194, s23
	s_mov_b32 s25, -1
	s_mov_b32 s24, -1
	s_mov_b32 s26, exec_lo
	v_add_nc_u32_e32 v20, 1, v13
	v_add_nc_u32_e32 v14, -1, v14
	v_lshl_add_u32 v13, v13, 3, v31
	v_cndmask_b32_e64 v19, v20, v17, s23
	v_min_u32_e32 v14, v20, v14
	v_cndmask_b32_e64 v20, v18, v20, s23
	v_lshl_add_u32 v14, v14, 3, v31
	ds_read_b64 v[21:22], v14
	ds_read_b64 v[13:14], v13 offset:32768
	s_waitcnt lgkmcnt(1)
	v_cndmask_b32_e64 v83, v22, v99, s23
	v_cndmask_b32_e64 v82, v21, v98, s23
	;; [unrolled: 1-line block ×4, first 2 shown]
	v_cmpx_lt_u32_e64 v19, v195
	s_cbranch_execz .LBB1231_386
; %bb.383:
	s_mov_b32 s27, 0
	s_mov_b32 s24, exec_lo
	v_cmpx_lt_u32_e64 v20, v194
	s_cbranch_execz .LBB1231_385
; %bb.384:
	v_add_f64 v[17:18], v[116:117], 0
	v_add_f64 v[21:22], v[82:83], 0
	v_ashrrev_i32_e32 v23, 31, v18
	v_ashrrev_i32_e32 v24, 31, v22
	v_or_b32_e32 v25, 0x80000000, v23
	v_or_b32_e32 v26, 0x80000000, v24
	v_xor_b32_e32 v17, v23, v17
	v_xor_b32_e32 v21, v24, v21
	;; [unrolled: 1-line block ×4, first 2 shown]
	v_cmp_le_u64_e64 s8, v[17:18], v[21:22]
	s_and_b32 s27, s8, exec_lo
.LBB1231_385:
	s_or_b32 exec_lo, exec_lo, s24
	s_orn2_b32 s24, s27, exec_lo
.LBB1231_386:
	s_or_b32 exec_lo, exec_lo, s26
	v_cndmask_b32_e64 v17, v19, v20, s24
	v_cndmask_b32_e64 v18, v195, v194, s24
	s_mov_b32 s26, exec_lo
	v_add_nc_u32_e32 v22, 1, v17
	v_add_nc_u32_e32 v18, -1, v18
	v_lshl_add_u32 v17, v17, 3, v31
	v_cndmask_b32_e64 v21, v22, v19, s24
	v_min_u32_e32 v18, v22, v18
	v_cndmask_b32_e64 v22, v20, v22, s24
	v_lshl_add_u32 v18, v18, 3, v31
	ds_read_b64 v[23:24], v18
	ds_read_b64 v[17:18], v17 offset:32768
	s_waitcnt lgkmcnt(1)
	v_cndmask_b32_e64 v97, v24, v83, s24
	v_cndmask_b32_e64 v96, v23, v82, s24
	;; [unrolled: 1-line block ×4, first 2 shown]
	v_cmpx_lt_u32_e64 v21, v195
	s_cbranch_execz .LBB1231_390
; %bb.387:
	s_mov_b32 s27, 0
	s_mov_b32 s25, exec_lo
	v_cmpx_lt_u32_e64 v22, v194
	s_cbranch_execz .LBB1231_389
; %bb.388:
	v_add_f64 v[19:20], v[118:119], 0
	v_add_f64 v[23:24], v[96:97], 0
	v_ashrrev_i32_e32 v25, 31, v20
	v_ashrrev_i32_e32 v26, 31, v24
	v_or_b32_e32 v27, 0x80000000, v25
	v_or_b32_e32 v28, 0x80000000, v26
	v_xor_b32_e32 v19, v25, v19
	v_xor_b32_e32 v23, v26, v23
	;; [unrolled: 1-line block ×4, first 2 shown]
	v_cmp_le_u64_e64 s8, v[19:20], v[23:24]
	s_and_b32 s27, s8, exec_lo
.LBB1231_389:
	s_or_b32 exec_lo, exec_lo, s25
	s_orn2_b32 s25, s27, exec_lo
.LBB1231_390:
	s_or_b32 exec_lo, exec_lo, s26
	v_cndmask_b32_e64 v19, v21, v22, s25
	v_cndmask_b32_e64 v20, v195, v194, s25
	s_mov_b32 s27, -1
	s_mov_b32 s26, -1
	s_mov_b32 s28, exec_lo
	v_add_nc_u32_e32 v24, 1, v19
	v_add_nc_u32_e32 v20, -1, v20
	v_lshl_add_u32 v19, v19, 3, v31
	v_cndmask_b32_e64 v23, v24, v21, s25
	v_min_u32_e32 v20, v24, v20
	v_cndmask_b32_e64 v24, v22, v24, s25
	v_lshl_add_u32 v20, v20, 3, v31
	ds_read_b64 v[25:26], v20
	ds_read_b64 v[19:20], v19 offset:32768
	s_waitcnt lgkmcnt(1)
	v_cndmask_b32_e64 v81, v26, v97, s25
	v_cndmask_b32_e64 v80, v25, v96, s25
	v_cndmask_b32_e64 v129, v119, v26, s25
	v_cndmask_b32_e64 v128, v118, v25, s25
	v_cmpx_lt_u32_e64 v23, v195
	s_cbranch_execz .LBB1231_394
; %bb.391:
	s_mov_b32 s29, 0
	s_mov_b32 s26, exec_lo
	v_cmpx_lt_u32_e64 v24, v194
	s_cbranch_execz .LBB1231_393
; %bb.392:
	v_add_f64 v[21:22], v[128:129], 0
	v_add_f64 v[25:26], v[80:81], 0
	v_ashrrev_i32_e32 v27, 31, v22
	v_ashrrev_i32_e32 v28, 31, v26
	v_or_b32_e32 v29, 0x80000000, v27
	v_or_b32_e32 v30, 0x80000000, v28
	v_xor_b32_e32 v21, v27, v21
	v_xor_b32_e32 v25, v28, v25
	;; [unrolled: 1-line block ×4, first 2 shown]
	v_cmp_le_u64_e64 s8, v[21:22], v[25:26]
	s_and_b32 s29, s8, exec_lo
.LBB1231_393:
	s_or_b32 exec_lo, exec_lo, s26
	s_orn2_b32 s26, s29, exec_lo
.LBB1231_394:
	s_or_b32 exec_lo, exec_lo, s28
	v_cndmask_b32_e64 v21, v23, v24, s26
	v_cndmask_b32_e64 v22, v195, v194, s26
	s_mov_b32 s28, exec_lo
	v_add_nc_u32_e32 v26, 1, v21
	v_add_nc_u32_e32 v22, -1, v22
	v_lshl_add_u32 v21, v21, 3, v31
	v_cndmask_b32_e64 v25, v26, v23, s26
	v_min_u32_e32 v22, v26, v22
	v_cndmask_b32_e64 v26, v24, v26, s26
	v_lshl_add_u32 v22, v22, 3, v31
	ds_read_b64 v[27:28], v22
	ds_read_b64 v[21:22], v21 offset:32768
	s_waitcnt lgkmcnt(1)
	v_cndmask_b32_e64 v87, v28, v81, s26
	v_cndmask_b32_e64 v86, v27, v80, s26
	;; [unrolled: 1-line block ×4, first 2 shown]
	v_cmpx_lt_u32_e64 v25, v195
	s_cbranch_execz .LBB1231_398
; %bb.395:
	s_mov_b32 s29, 0
	s_mov_b32 s27, exec_lo
	v_cmpx_lt_u32_e64 v26, v194
	s_cbranch_execz .LBB1231_397
; %bb.396:
	v_add_f64 v[23:24], v[130:131], 0
	v_add_f64 v[27:28], v[86:87], 0
	v_ashrrev_i32_e32 v29, 31, v24
	v_ashrrev_i32_e32 v30, 31, v28
	v_or_b32_e32 v32, 0x80000000, v29
	v_or_b32_e32 v33, 0x80000000, v30
	v_xor_b32_e32 v23, v29, v23
	v_xor_b32_e32 v27, v30, v27
	;; [unrolled: 1-line block ×4, first 2 shown]
	v_cmp_le_u64_e64 s8, v[23:24], v[27:28]
	s_and_b32 s29, s8, exec_lo
.LBB1231_397:
	s_or_b32 exec_lo, exec_lo, s27
	s_orn2_b32 s27, s29, exec_lo
.LBB1231_398:
	s_or_b32 exec_lo, exec_lo, s28
	v_cndmask_b32_e64 v23, v25, v26, s27
	v_cndmask_b32_e64 v24, v195, v194, s27
	s_mov_b32 s29, -1
	s_mov_b32 s28, -1
	s_mov_b32 s40, exec_lo
	v_add_nc_u32_e32 v28, 1, v23
	v_add_nc_u32_e32 v24, -1, v24
	v_lshl_add_u32 v23, v23, 3, v31
	v_cndmask_b32_e64 v27, v28, v25, s27
	v_min_u32_e32 v24, v28, v24
	v_cndmask_b32_e64 v28, v26, v28, s27
	v_lshl_add_u32 v24, v24, 3, v31
	ds_read_b64 v[29:30], v24
	ds_read_b64 v[23:24], v23 offset:32768
	s_waitcnt lgkmcnt(1)
	v_cndmask_b32_e64 v71, v30, v87, s27
	v_cndmask_b32_e64 v70, v29, v86, s27
	;; [unrolled: 1-line block ×4, first 2 shown]
	v_cmpx_lt_u32_e64 v27, v195
	s_cbranch_execz .LBB1231_402
; %bb.399:
	s_mov_b32 s41, 0
	s_mov_b32 s28, exec_lo
	v_cmpx_lt_u32_e64 v28, v194
	s_cbranch_execz .LBB1231_401
; %bb.400:
	v_add_f64 v[25:26], v[102:103], 0
	v_add_f64 v[29:30], v[70:71], 0
	v_ashrrev_i32_e32 v32, 31, v26
	v_ashrrev_i32_e32 v33, 31, v30
	v_or_b32_e32 v34, 0x80000000, v32
	v_or_b32_e32 v35, 0x80000000, v33
	v_xor_b32_e32 v25, v32, v25
	v_xor_b32_e32 v29, v33, v29
	;; [unrolled: 1-line block ×4, first 2 shown]
	v_cmp_le_u64_e64 s8, v[25:26], v[29:30]
	s_and_b32 s41, s8, exec_lo
.LBB1231_401:
	s_or_b32 exec_lo, exec_lo, s28
	s_orn2_b32 s28, s41, exec_lo
.LBB1231_402:
	s_or_b32 exec_lo, exec_lo, s40
	v_cndmask_b32_e64 v25, v27, v28, s28
	v_cndmask_b32_e64 v26, v195, v194, s28
	s_mov_b32 s40, exec_lo
	v_add_nc_u32_e32 v30, 1, v25
	v_add_nc_u32_e32 v26, -1, v26
	v_lshl_add_u32 v25, v25, 3, v31
	v_cndmask_b32_e64 v29, v30, v27, s28
	v_min_u32_e32 v26, v30, v26
	v_cndmask_b32_e64 v30, v28, v30, s28
	v_lshl_add_u32 v26, v26, 3, v31
	ds_read_b64 v[32:33], v26
	ds_read_b64 v[25:26], v25 offset:32768
	s_waitcnt lgkmcnt(1)
	v_cndmask_b32_e64 v69, v33, v71, s28
	v_cndmask_b32_e64 v68, v32, v70, s28
	;; [unrolled: 1-line block ×4, first 2 shown]
	v_cmpx_lt_u32_e64 v29, v195
	s_cbranch_execz .LBB1231_406
; %bb.403:
	s_mov_b32 s41, 0
	s_mov_b32 s29, exec_lo
	v_cmpx_lt_u32_e64 v30, v194
	s_cbranch_execz .LBB1231_405
; %bb.404:
	v_add_f64 v[27:28], v[132:133], 0
	v_add_f64 v[32:33], v[68:69], 0
	v_ashrrev_i32_e32 v34, 31, v28
	v_ashrrev_i32_e32 v35, 31, v33
	v_or_b32_e32 v36, 0x80000000, v34
	v_or_b32_e32 v37, 0x80000000, v35
	v_xor_b32_e32 v27, v34, v27
	v_xor_b32_e32 v32, v35, v32
	;; [unrolled: 1-line block ×4, first 2 shown]
	v_cmp_le_u64_e64 s8, v[27:28], v[32:33]
	s_and_b32 s41, s8, exec_lo
.LBB1231_405:
	s_or_b32 exec_lo, exec_lo, s29
	s_orn2_b32 s29, s41, exec_lo
.LBB1231_406:
	s_or_b32 exec_lo, exec_lo, s40
	v_cndmask_b32_e64 v27, v29, v30, s29
	v_cndmask_b32_e64 v28, v195, v194, s29
	s_mov_b32 s41, -1
	s_mov_b32 s40, -1
	s_mov_b32 s42, exec_lo
	v_add_nc_u32_e32 v33, 1, v27
	v_add_nc_u32_e32 v28, -1, v28
	v_lshl_add_u32 v27, v27, 3, v31
	v_cndmask_b32_e64 v32, v33, v29, s29
	v_min_u32_e32 v28, v33, v28
	v_cndmask_b32_e64 v33, v30, v33, s29
	v_lshl_add_u32 v28, v28, 3, v31
	ds_read_b64 v[34:35], v28
	ds_read_b64 v[27:28], v27 offset:32768
	s_waitcnt lgkmcnt(1)
	v_cndmask_b32_e64 v65, v35, v69, s29
	v_cndmask_b32_e64 v64, v34, v68, s29
	;; [unrolled: 1-line block ×4, first 2 shown]
	v_cmpx_lt_u32_e64 v32, v195
	s_cbranch_execz .LBB1231_410
; %bb.407:
	s_mov_b32 s43, 0
	s_mov_b32 s40, exec_lo
	v_cmpx_lt_u32_e64 v33, v194
	s_cbranch_execz .LBB1231_409
; %bb.408:
	v_add_f64 v[29:30], v[134:135], 0
	v_add_f64 v[34:35], v[64:65], 0
	v_ashrrev_i32_e32 v36, 31, v30
	v_ashrrev_i32_e32 v37, 31, v35
	v_or_b32_e32 v38, 0x80000000, v36
	v_or_b32_e32 v39, 0x80000000, v37
	v_xor_b32_e32 v29, v36, v29
	v_xor_b32_e32 v34, v37, v34
	;; [unrolled: 1-line block ×4, first 2 shown]
	v_cmp_le_u64_e64 s8, v[29:30], v[34:35]
	s_and_b32 s43, s8, exec_lo
.LBB1231_409:
	s_or_b32 exec_lo, exec_lo, s40
	s_orn2_b32 s40, s43, exec_lo
.LBB1231_410:
	s_or_b32 exec_lo, exec_lo, s42
	v_cndmask_b32_e64 v29, v32, v33, s40
	v_cndmask_b32_e64 v30, v195, v194, s40
	s_mov_b32 s42, exec_lo
	v_add_nc_u32_e32 v35, 1, v29
	v_add_nc_u32_e32 v30, -1, v30
	v_lshl_add_u32 v29, v29, 3, v31
	v_cndmask_b32_e64 v34, v35, v32, s40
	v_min_u32_e32 v30, v35, v30
	v_cndmask_b32_e64 v35, v33, v35, s40
	v_lshl_add_u32 v30, v30, 3, v31
	ds_read_b64 v[36:37], v30
	ds_read_b64 v[29:30], v29 offset:32768
	s_waitcnt lgkmcnt(1)
	v_cndmask_b32_e64 v55, v37, v65, s40
	v_cndmask_b32_e64 v54, v36, v64, s40
	;; [unrolled: 1-line block ×4, first 2 shown]
	v_cmpx_lt_u32_e64 v34, v195
	s_cbranch_execz .LBB1231_414
; %bb.411:
	s_mov_b32 s43, 0
	s_mov_b32 s41, exec_lo
	v_cmpx_lt_u32_e64 v35, v194
	s_cbranch_execz .LBB1231_413
; %bb.412:
	v_add_f64 v[32:33], v[144:145], 0
	v_add_f64 v[36:37], v[54:55], 0
	v_ashrrev_i32_e32 v38, 31, v33
	v_ashrrev_i32_e32 v39, 31, v37
	v_or_b32_e32 v48, 0x80000000, v38
	v_or_b32_e32 v49, 0x80000000, v39
	v_xor_b32_e32 v32, v38, v32
	v_xor_b32_e32 v36, v39, v36
	;; [unrolled: 1-line block ×4, first 2 shown]
	v_cmp_le_u64_e64 s8, v[32:33], v[36:37]
	s_and_b32 s43, s8, exec_lo
.LBB1231_413:
	s_or_b32 exec_lo, exec_lo, s41
	s_orn2_b32 s41, s43, exec_lo
.LBB1231_414:
	s_or_b32 exec_lo, exec_lo, s42
	v_cndmask_b32_e64 v32, v34, v35, s41
	v_cndmask_b32_e64 v33, v195, v194, s41
	s_mov_b32 s43, -1
	s_mov_b32 s42, -1
	s_mov_b32 s44, exec_lo
	v_add_nc_u32_e32 v37, 1, v32
	v_add_nc_u32_e32 v33, -1, v33
	v_lshl_add_u32 v32, v32, 3, v31
	v_cndmask_b32_e64 v36, v37, v34, s41
	v_min_u32_e32 v33, v37, v33
	v_cndmask_b32_e64 v37, v35, v37, s41
	v_lshl_add_u32 v33, v33, 3, v31
	ds_read_b64 v[38:39], v33
	ds_read_b64 v[32:33], v32 offset:32768
	s_waitcnt lgkmcnt(1)
	v_cndmask_b32_e64 v101, v39, v55, s41
	v_cndmask_b32_e64 v100, v38, v54, s41
	;; [unrolled: 1-line block ×4, first 2 shown]
	v_cmpx_lt_u32_e64 v36, v195
	s_cbranch_execz .LBB1231_418
; %bb.415:
	s_mov_b32 s45, 0
	s_mov_b32 s42, exec_lo
	v_cmpx_lt_u32_e64 v37, v194
	s_cbranch_execz .LBB1231_417
; %bb.416:
	v_add_f64 v[34:35], v[146:147], 0
	v_add_f64 v[38:39], v[100:101], 0
	v_ashrrev_i32_e32 v48, 31, v35
	v_ashrrev_i32_e32 v49, 31, v39
	v_or_b32_e32 v50, 0x80000000, v48
	v_or_b32_e32 v51, 0x80000000, v49
	v_xor_b32_e32 v34, v48, v34
	v_xor_b32_e32 v38, v49, v38
	;; [unrolled: 1-line block ×4, first 2 shown]
	v_cmp_le_u64_e64 s8, v[34:35], v[38:39]
	s_and_b32 s45, s8, exec_lo
.LBB1231_417:
	s_or_b32 exec_lo, exec_lo, s42
	s_orn2_b32 s42, s45, exec_lo
.LBB1231_418:
	s_or_b32 exec_lo, exec_lo, s44
	v_cndmask_b32_e64 v34, v36, v37, s42
	v_cndmask_b32_e64 v35, v195, v194, s42
	s_mov_b32 s44, exec_lo
	v_add_nc_u32_e32 v48, 1, v34
	v_add_nc_u32_e32 v35, -1, v35
	v_lshl_add_u32 v34, v34, 3, v31
	v_cndmask_b32_e64 v36, v48, v36, s42
	v_min_u32_e32 v35, v48, v35
	v_cndmask_b32_e64 v37, v37, v48, s42
	v_lshl_add_u32 v35, v35, 3, v31
	ds_read_b64 v[38:39], v35
	ds_read_b64 v[34:35], v34 offset:32768
	s_waitcnt lgkmcnt(1)
	v_cndmask_b32_e64 v53, v39, v101, s42
	v_cndmask_b32_e64 v52, v38, v100, s42
	;; [unrolled: 1-line block ×4, first 2 shown]
	v_cmpx_lt_u32_e64 v36, v195
	s_cbranch_execz .LBB1231_422
; %bb.419:
	s_mov_b32 s45, 0
	s_mov_b32 s43, exec_lo
	v_cmpx_lt_u32_e64 v37, v194
	s_cbranch_execz .LBB1231_421
; %bb.420:
	v_add_f64 v[38:39], v[148:149], 0
	v_add_f64 v[48:49], v[52:53], 0
	v_ashrrev_i32_e32 v50, 31, v39
	v_ashrrev_i32_e32 v51, 31, v49
	v_or_b32_e32 v66, 0x80000000, v50
	v_or_b32_e32 v67, 0x80000000, v51
	v_xor_b32_e32 v38, v50, v38
	v_xor_b32_e32 v48, v51, v48
	;; [unrolled: 1-line block ×4, first 2 shown]
	v_cmp_le_u64_e64 s8, v[38:39], v[48:49]
	s_and_b32 s45, s8, exec_lo
.LBB1231_421:
	s_or_b32 exec_lo, exec_lo, s43
	s_orn2_b32 s43, s45, exec_lo
.LBB1231_422:
	s_or_b32 exec_lo, exec_lo, s44
	v_cndmask_b32_e64 v38, v36, v37, s43
	v_cndmask_b32_e64 v39, v195, v194, s43
	s_mov_b32 s45, -1
	s_mov_b32 s44, -1
	s_mov_b32 s46, exec_lo
	v_add_nc_u32_e32 v48, 1, v38
	v_add_nc_u32_e32 v39, -1, v39
	v_lshl_add_u32 v38, v38, 3, v31
	v_cndmask_b32_e64 v36, v48, v36, s43
	v_min_u32_e32 v39, v48, v39
	v_cndmask_b32_e64 v37, v37, v48, s43
	v_lshl_add_u32 v39, v39, 3, v31
	ds_read_b64 v[50:51], v39
	ds_read_b64 v[38:39], v38 offset:32768
	s_waitcnt lgkmcnt(1)
	v_cndmask_b32_e64 v49, v51, v53, s43
	v_cndmask_b32_e64 v48, v50, v52, s43
	v_cndmask_b32_e64 v151, v149, v51, s43
	v_cndmask_b32_e64 v150, v148, v50, s43
	v_cmpx_lt_u32_e64 v36, v195
	s_cbranch_execz .LBB1231_426
; %bb.423:
	s_mov_b32 s47, 0
	s_mov_b32 s44, exec_lo
	v_cmpx_lt_u32_e64 v37, v194
	s_cbranch_execz .LBB1231_425
; %bb.424:
	v_add_f64 v[50:51], v[150:151], 0
	v_add_f64 v[66:67], v[48:49], 0
	v_ashrrev_i32_e32 v160, 31, v51
	v_ashrrev_i32_e32 v161, 31, v67
	v_or_b32_e32 v162, 0x80000000, v160
	v_or_b32_e32 v163, 0x80000000, v161
	v_xor_b32_e32 v50, v160, v50
	v_xor_b32_e32 v66, v161, v66
	;; [unrolled: 1-line block ×4, first 2 shown]
	v_cmp_le_u64_e64 s8, v[50:51], v[66:67]
	s_and_b32 s47, s8, exec_lo
.LBB1231_425:
	s_or_b32 exec_lo, exec_lo, s44
	s_orn2_b32 s44, s47, exec_lo
.LBB1231_426:
	s_or_b32 exec_lo, exec_lo, s46
	v_cndmask_b32_e64 v50, v36, v37, s44
	v_cndmask_b32_e64 v51, v195, v194, s44
	s_mov_b32 s46, exec_lo
	v_add_nc_u32_e32 v66, 1, v50
	v_add_nc_u32_e32 v51, -1, v51
	v_lshl_add_u32 v50, v50, 3, v31
	v_cndmask_b32_e64 v160, v66, v36, s44
	v_min_u32_e32 v51, v66, v51
	v_cndmask_b32_e64 v161, v37, v66, s44
	v_lshl_add_u32 v51, v51, 3, v31
	ds_read_b64 v[162:163], v51
	ds_read_b64 v[50:51], v50 offset:32768
	s_waitcnt lgkmcnt(1)
	v_cndmask_b32_e64 v67, v163, v49, s44
	v_cndmask_b32_e64 v66, v162, v48, s44
	;; [unrolled: 1-line block ×4, first 2 shown]
	v_cmpx_lt_u32_e64 v160, v195
	s_cbranch_execz .LBB1231_430
; %bb.427:
	s_mov_b32 s47, 0
	s_mov_b32 s45, exec_lo
	v_cmpx_lt_u32_e64 v161, v194
	s_cbranch_execz .LBB1231_429
; %bb.428:
	v_add_f64 v[36:37], v[164:165], 0
	v_add_f64 v[162:163], v[66:67], 0
	v_ashrrev_i32_e32 v196, 31, v37
	v_ashrrev_i32_e32 v197, 31, v163
	v_or_b32_e32 v198, 0x80000000, v196
	v_or_b32_e32 v199, 0x80000000, v197
	v_xor_b32_e32 v36, v196, v36
	v_xor_b32_e32 v162, v197, v162
	;; [unrolled: 1-line block ×4, first 2 shown]
	v_cmp_le_u64_e64 s8, v[36:37], v[162:163]
	s_and_b32 s47, s8, exec_lo
.LBB1231_429:
	s_or_b32 exec_lo, exec_lo, s45
	s_orn2_b32 s45, s47, exec_lo
.LBB1231_430:
	s_or_b32 exec_lo, exec_lo, s46
	v_cndmask_b32_e64 v36, v160, v161, s45
	v_cndmask_b32_e64 v37, v195, v194, s45
	s_mov_b32 s46, -1
	s_mov_b32 s47, exec_lo
	v_add_nc_u32_e32 v197, 1, v36
	v_add_nc_u32_e32 v37, -1, v37
	v_lshl_add_u32 v36, v36, 3, v31
	v_cndmask_b32_e64 v196, v197, v160, s45
	v_min_u32_e32 v37, v197, v37
	v_cndmask_b32_e64 v197, v161, v197, s45
	v_lshl_add_u32 v37, v37, 3, v31
	ds_read_b64 v[162:163], v37
	ds_read_b64 v[36:37], v36 offset:32768
	s_waitcnt lgkmcnt(1)
	v_cndmask_b32_e64 v161, v163, v67, s45
	v_cndmask_b32_e64 v160, v162, v66, s45
	;; [unrolled: 1-line block ×4, first 2 shown]
	v_cmpx_lt_u32_e64 v196, v195
	s_cbranch_execz .LBB1231_434
; %bb.431:
	s_mov_b32 s56, 0
	s_mov_b32 s46, exec_lo
	v_cmpx_lt_u32_e64 v197, v194
	s_cbranch_execz .LBB1231_433
; %bb.432:
	v_add_f64 v[194:195], v[162:163], 0
	v_add_f64 v[198:199], v[160:161], 0
	v_ashrrev_i32_e32 v208, 31, v195
	v_ashrrev_i32_e32 v209, 31, v199
	v_or_b32_e32 v210, 0x80000000, v208
	v_or_b32_e32 v211, 0x80000000, v209
	v_xor_b32_e32 v194, v208, v194
	v_xor_b32_e32 v198, v209, v198
	;; [unrolled: 1-line block ×4, first 2 shown]
	v_cmp_le_u64_e64 s8, v[194:195], v[198:199]
	s_and_b32 s56, s8, exec_lo
.LBB1231_433:
	s_or_b32 exec_lo, exec_lo, s46
	s_orn2_b32 s46, s56, exec_lo
.LBB1231_434:
	s_or_b32 exec_lo, exec_lo, s47
	v_cndmask_b32_e64 v55, v55, v145, s41
	v_cndmask_b32_e64 v145, v196, v197, s46
	;; [unrolled: 1-line block ×6, first 2 shown]
	v_lshl_add_u32 v133, v145, 3, v31
	v_cndmask_b32_e64 v66, v66, v164, s45
	v_cndmask_b32_e64 v49, v49, v151, s44
	;; [unrolled: 1-line block ×4, first 2 shown]
	ds_read_b64 v[102:103], v133 offset:32768
	v_cndmask_b32_e64 v52, v52, v148, s43
	v_cndmask_b32_e64 v101, v101, v147, s42
	;; [unrolled: 1-line block ×23, first 2 shown]
.LBB1231_435:
	s_or_b32 exec_lo, exec_lo, s12
	v_and_b32_e32 v113, 0x180, v167
	v_and_b32_e32 v114, 0x70, v167
	s_mov_b32 s9, exec_lo
	; wave barrier
	v_or_b32_e32 v112, 64, v113
	v_min_u32_e32 v115, v177, v114
	ds_write2_b64 v176, v[8:9], v[84:85] offset1:1
	ds_write2_b64 v181, v[0:1], v[4:5] offset1:1
	ds_write2_b64 v176, v[98:99], v[82:83] offset0:2 offset1:3
	ds_write2_b64 v182, v[13:14], v[17:18] offset1:1
	ds_write2_b64 v176, v[96:97], v[80:81] offset0:4 offset1:5
	;; [unrolled: 2-line block ×3, first 2 shown]
	ds_write2_b64 v180, v[23:24], v[25:26] offset1:1
	v_min_u32_e32 v194, v177, v112
	ds_write2_b64 v176, v[68:69], v[64:65] offset0:8 offset1:9
	ds_write2_b64 v178, v[27:28], v[29:30] offset1:1
	ds_write2_b64 v176, v[54:55], v[100:101] offset0:10 offset1:11
	ds_write2_b64 v183, v[32:33], v[34:35] offset1:1
	ds_write2_b64 v176, v[52:53], v[48:49] offset0:12 offset1:13
	ds_write2_b64 v192, v[38:39], v[50:51] offset1:1
	ds_write2_b64 v176, v[66:67], v[15:16] offset0:14 offset1:15
	s_waitcnt lgkmcnt(15)
	ds_write2_b64 v193, v[36:37], v[102:103] offset1:1
	v_add_nc_u32_e32 v112, 64, v194
	v_sub_nc_u32_e32 v114, v194, v113
	; wave barrier
	v_min_u32_e32 v195, v177, v112
	v_min_u32_e32 v116, v115, v114
	v_lshl_add_u32 v114, v113, 3, v31
	v_sub_nc_u32_e32 v112, v195, v194
	v_sub_nc_u32_e64 v112, v115, v112 clamp
	v_cmpx_lt_u32_e64 v112, v116
	s_cbranch_execz .LBB1231_439
; %bb.436:
	v_lshlrev_b32_e32 v117, 3, v194
	v_lshlrev_b32_e32 v118, 3, v115
	s_mov_b32 s12, 0
	v_add3_u32 v117, v31, v117, v118
	s_inst_prefetch 0x1
	.p2align	6
.LBB1231_437:                           ; =>This Inner Loop Header: Depth=1
	v_add_nc_u32_e32 v118, v116, v112
	v_lshrrev_b32_e32 v130, 1, v118
	v_not_b32_e32 v118, v130
	v_lshl_add_u32 v119, v130, 3, v114
	v_lshl_add_u32 v128, v118, 3, v117
	ds_read_b64 v[118:119], v119
	ds_read_b64 v[128:129], v128
	s_waitcnt lgkmcnt(1)
	v_add_f64 v[118:119], v[118:119], 0
	s_waitcnt lgkmcnt(0)
	v_add_f64 v[128:129], v[128:129], 0
	v_ashrrev_i32_e32 v131, 31, v119
	v_ashrrev_i32_e32 v132, 31, v129
	v_or_b32_e32 v133, 0x80000000, v131
	v_or_b32_e32 v134, 0x80000000, v132
	v_xor_b32_e32 v118, v131, v118
	v_xor_b32_e32 v128, v132, v128
	;; [unrolled: 1-line block ×4, first 2 shown]
	v_cmp_gt_u64_e64 s8, v[118:119], v[128:129]
	v_add_nc_u32_e32 v118, 1, v130
	v_cndmask_b32_e64 v116, v116, v130, s8
	v_cndmask_b32_e64 v112, v118, v112, s8
	v_cmp_ge_u32_e64 s8, v112, v116
	s_or_b32 s12, s8, s12
	s_andn2_b32 exec_lo, exec_lo, s12
	s_cbranch_execnz .LBB1231_437
; %bb.438:
	s_inst_prefetch 0x2
	s_or_b32 exec_lo, exec_lo, s12
.LBB1231_439:
	s_or_b32 exec_lo, exec_lo, s9
	v_add_nc_u32_e32 v115, v194, v115
	v_add_nc_u32_e32 v113, v112, v113
	v_sub_nc_u32_e32 v115, v115, v112
	v_cmp_le_u32_e64 s8, v113, v194
	v_cmp_le_u32_e64 s9, v115, v195
	s_or_b32 s8, s8, s9
	s_and_saveexec_b32 s12, s8
	s_cbranch_execz .LBB1231_507
; %bb.440:
	v_cmp_ge_u32_e64 s8, v113, v194
	s_mov_b32 s13, exec_lo
                                        ; implicit-def: $vgpr8_vgpr9
	v_cmpx_lt_u32_e64 v113, v194
; %bb.441:
	v_lshl_add_u32 v0, v112, 3, v114
	ds_read_b64 v[8:9], v0
; %bb.442:
	s_or_b32 exec_lo, exec_lo, s13
	v_cmp_ge_u32_e64 s13, v115, v195
	s_mov_b32 s23, exec_lo
                                        ; implicit-def: $vgpr15_vgpr16
	v_cmpx_lt_u32_e64 v115, v195
; %bb.443:
	v_lshl_add_u32 v0, v115, 3, v31
	ds_read_b64 v[15:16], v0
; %bb.444:
	s_or_b32 exec_lo, exec_lo, s23
	s_nor_b32 s8, s8, s13
	s_and_saveexec_b32 s9, s8
	s_cbranch_execz .LBB1231_446
; %bb.445:
	s_waitcnt lgkmcnt(0)
	v_add_f64 v[0:1], v[8:9], 0
	v_add_f64 v[4:5], v[15:16], 0
	s_andn2_b32 s13, s13, exec_lo
	v_ashrrev_i32_e32 v13, 31, v1
	v_ashrrev_i32_e32 v14, 31, v5
	v_or_b32_e32 v17, 0x80000000, v13
	v_or_b32_e32 v18, 0x80000000, v14
	v_xor_b32_e32 v0, v13, v0
	v_xor_b32_e32 v4, v14, v4
	;; [unrolled: 1-line block ×4, first 2 shown]
	v_cmp_le_u64_e64 s8, v[0:1], v[4:5]
	s_and_b32 s8, s8, exec_lo
	s_or_b32 s13, s13, s8
.LBB1231_446:
	s_or_b32 exec_lo, exec_lo, s9
	v_cndmask_b32_e64 v0, v115, v113, s13
	v_cndmask_b32_e64 v1, v195, v194, s13
	s_mov_b32 s23, -1
	s_mov_b32 s9, -1
	s_mov_b32 s24, exec_lo
	v_add_nc_u32_e32 v14, 1, v0
	v_add_nc_u32_e32 v1, -1, v1
	v_lshl_add_u32 v0, v0, 3, v31
	v_cndmask_b32_e64 v13, v14, v115, s13
	v_min_u32_e32 v1, v14, v1
	v_cndmask_b32_e64 v14, v113, v14, s13
	v_lshl_add_u32 v1, v1, 3, v31
	ds_read_b64 v[4:5], v1
	ds_read_b64 v[0:1], v0 offset:32768
	s_waitcnt lgkmcnt(1)
	v_cndmask_b32_e64 v85, v5, v16, s13
	v_cndmask_b32_e64 v84, v4, v15, s13
	;; [unrolled: 1-line block ×4, first 2 shown]
	v_cmpx_lt_u32_e64 v13, v195
	s_cbranch_execz .LBB1231_450
; %bb.447:
	s_mov_b32 s25, 0
	s_mov_b32 s9, exec_lo
	v_cmpx_lt_u32_e64 v14, v194
	s_cbranch_execz .LBB1231_449
; %bb.448:
	v_add_f64 v[4:5], v[112:113], 0
	v_add_f64 v[17:18], v[84:85], 0
	v_ashrrev_i32_e32 v19, 31, v5
	v_ashrrev_i32_e32 v20, 31, v18
	v_or_b32_e32 v21, 0x80000000, v19
	v_or_b32_e32 v22, 0x80000000, v20
	v_xor_b32_e32 v4, v19, v4
	v_xor_b32_e32 v17, v20, v17
	;; [unrolled: 1-line block ×4, first 2 shown]
	v_cmp_le_u64_e64 s8, v[4:5], v[17:18]
	s_and_b32 s25, s8, exec_lo
.LBB1231_449:
	s_or_b32 exec_lo, exec_lo, s9
	s_orn2_b32 s9, s25, exec_lo
.LBB1231_450:
	s_or_b32 exec_lo, exec_lo, s24
	v_cndmask_b32_e64 v4, v13, v14, s9
	v_cndmask_b32_e64 v5, v195, v194, s9
	s_mov_b32 s24, exec_lo
	v_add_nc_u32_e32 v18, 1, v4
	v_add_nc_u32_e32 v5, -1, v5
	v_lshl_add_u32 v4, v4, 3, v31
	v_cndmask_b32_e64 v17, v18, v13, s9
	v_min_u32_e32 v5, v18, v5
	v_cndmask_b32_e64 v18, v14, v18, s9
	v_lshl_add_u32 v5, v5, 3, v31
	ds_read_b64 v[19:20], v5
	ds_read_b64 v[4:5], v4 offset:32768
	s_waitcnt lgkmcnt(1)
	v_cndmask_b32_e64 v99, v20, v85, s9
	v_cndmask_b32_e64 v98, v19, v84, s9
	;; [unrolled: 1-line block ×4, first 2 shown]
	v_cmpx_lt_u32_e64 v17, v195
	s_cbranch_execz .LBB1231_454
; %bb.451:
	s_mov_b32 s25, 0
	s_mov_b32 s23, exec_lo
	v_cmpx_lt_u32_e64 v18, v194
	s_cbranch_execz .LBB1231_453
; %bb.452:
	v_add_f64 v[13:14], v[114:115], 0
	v_add_f64 v[19:20], v[98:99], 0
	v_ashrrev_i32_e32 v21, 31, v14
	v_ashrrev_i32_e32 v22, 31, v20
	v_or_b32_e32 v23, 0x80000000, v21
	v_or_b32_e32 v24, 0x80000000, v22
	v_xor_b32_e32 v13, v21, v13
	v_xor_b32_e32 v19, v22, v19
	;; [unrolled: 1-line block ×4, first 2 shown]
	v_cmp_le_u64_e64 s8, v[13:14], v[19:20]
	s_and_b32 s25, s8, exec_lo
.LBB1231_453:
	s_or_b32 exec_lo, exec_lo, s23
	s_orn2_b32 s23, s25, exec_lo
.LBB1231_454:
	s_or_b32 exec_lo, exec_lo, s24
	v_cndmask_b32_e64 v13, v17, v18, s23
	v_cndmask_b32_e64 v14, v195, v194, s23
	s_mov_b32 s25, -1
	s_mov_b32 s24, -1
	s_mov_b32 s26, exec_lo
	v_add_nc_u32_e32 v20, 1, v13
	v_add_nc_u32_e32 v14, -1, v14
	v_lshl_add_u32 v13, v13, 3, v31
	v_cndmask_b32_e64 v19, v20, v17, s23
	v_min_u32_e32 v14, v20, v14
	v_cndmask_b32_e64 v20, v18, v20, s23
	v_lshl_add_u32 v14, v14, 3, v31
	ds_read_b64 v[21:22], v14
	ds_read_b64 v[13:14], v13 offset:32768
	s_waitcnt lgkmcnt(1)
	v_cndmask_b32_e64 v83, v22, v99, s23
	v_cndmask_b32_e64 v82, v21, v98, s23
	v_cndmask_b32_e64 v117, v115, v22, s23
	v_cndmask_b32_e64 v116, v114, v21, s23
	v_cmpx_lt_u32_e64 v19, v195
	s_cbranch_execz .LBB1231_458
; %bb.455:
	s_mov_b32 s27, 0
	s_mov_b32 s24, exec_lo
	v_cmpx_lt_u32_e64 v20, v194
	s_cbranch_execz .LBB1231_457
; %bb.456:
	v_add_f64 v[17:18], v[116:117], 0
	v_add_f64 v[21:22], v[82:83], 0
	v_ashrrev_i32_e32 v23, 31, v18
	v_ashrrev_i32_e32 v24, 31, v22
	v_or_b32_e32 v25, 0x80000000, v23
	v_or_b32_e32 v26, 0x80000000, v24
	v_xor_b32_e32 v17, v23, v17
	v_xor_b32_e32 v21, v24, v21
	v_xor_b32_e32 v18, v25, v18
	v_xor_b32_e32 v22, v26, v22
	v_cmp_le_u64_e64 s8, v[17:18], v[21:22]
	s_and_b32 s27, s8, exec_lo
.LBB1231_457:
	s_or_b32 exec_lo, exec_lo, s24
	s_orn2_b32 s24, s27, exec_lo
.LBB1231_458:
	s_or_b32 exec_lo, exec_lo, s26
	v_cndmask_b32_e64 v17, v19, v20, s24
	v_cndmask_b32_e64 v18, v195, v194, s24
	s_mov_b32 s26, exec_lo
	v_add_nc_u32_e32 v22, 1, v17
	v_add_nc_u32_e32 v18, -1, v18
	v_lshl_add_u32 v17, v17, 3, v31
	v_cndmask_b32_e64 v21, v22, v19, s24
	v_min_u32_e32 v18, v22, v18
	v_cndmask_b32_e64 v22, v20, v22, s24
	v_lshl_add_u32 v18, v18, 3, v31
	ds_read_b64 v[23:24], v18
	ds_read_b64 v[17:18], v17 offset:32768
	s_waitcnt lgkmcnt(1)
	v_cndmask_b32_e64 v97, v24, v83, s24
	v_cndmask_b32_e64 v96, v23, v82, s24
	;; [unrolled: 1-line block ×4, first 2 shown]
	v_cmpx_lt_u32_e64 v21, v195
	s_cbranch_execz .LBB1231_462
; %bb.459:
	s_mov_b32 s27, 0
	s_mov_b32 s25, exec_lo
	v_cmpx_lt_u32_e64 v22, v194
	s_cbranch_execz .LBB1231_461
; %bb.460:
	v_add_f64 v[19:20], v[118:119], 0
	v_add_f64 v[23:24], v[96:97], 0
	v_ashrrev_i32_e32 v25, 31, v20
	v_ashrrev_i32_e32 v26, 31, v24
	v_or_b32_e32 v27, 0x80000000, v25
	v_or_b32_e32 v28, 0x80000000, v26
	v_xor_b32_e32 v19, v25, v19
	v_xor_b32_e32 v23, v26, v23
	;; [unrolled: 1-line block ×4, first 2 shown]
	v_cmp_le_u64_e64 s8, v[19:20], v[23:24]
	s_and_b32 s27, s8, exec_lo
.LBB1231_461:
	s_or_b32 exec_lo, exec_lo, s25
	s_orn2_b32 s25, s27, exec_lo
.LBB1231_462:
	s_or_b32 exec_lo, exec_lo, s26
	v_cndmask_b32_e64 v19, v21, v22, s25
	v_cndmask_b32_e64 v20, v195, v194, s25
	s_mov_b32 s27, -1
	s_mov_b32 s26, -1
	s_mov_b32 s28, exec_lo
	v_add_nc_u32_e32 v24, 1, v19
	v_add_nc_u32_e32 v20, -1, v20
	v_lshl_add_u32 v19, v19, 3, v31
	v_cndmask_b32_e64 v23, v24, v21, s25
	v_min_u32_e32 v20, v24, v20
	v_cndmask_b32_e64 v24, v22, v24, s25
	v_lshl_add_u32 v20, v20, 3, v31
	ds_read_b64 v[25:26], v20
	ds_read_b64 v[19:20], v19 offset:32768
	s_waitcnt lgkmcnt(1)
	v_cndmask_b32_e64 v81, v26, v97, s25
	v_cndmask_b32_e64 v80, v25, v96, s25
	;; [unrolled: 1-line block ×4, first 2 shown]
	v_cmpx_lt_u32_e64 v23, v195
	s_cbranch_execz .LBB1231_466
; %bb.463:
	s_mov_b32 s29, 0
	s_mov_b32 s26, exec_lo
	v_cmpx_lt_u32_e64 v24, v194
	s_cbranch_execz .LBB1231_465
; %bb.464:
	v_add_f64 v[21:22], v[128:129], 0
	v_add_f64 v[25:26], v[80:81], 0
	v_ashrrev_i32_e32 v27, 31, v22
	v_ashrrev_i32_e32 v28, 31, v26
	v_or_b32_e32 v29, 0x80000000, v27
	v_or_b32_e32 v30, 0x80000000, v28
	v_xor_b32_e32 v21, v27, v21
	v_xor_b32_e32 v25, v28, v25
	;; [unrolled: 1-line block ×4, first 2 shown]
	v_cmp_le_u64_e64 s8, v[21:22], v[25:26]
	s_and_b32 s29, s8, exec_lo
.LBB1231_465:
	s_or_b32 exec_lo, exec_lo, s26
	s_orn2_b32 s26, s29, exec_lo
.LBB1231_466:
	s_or_b32 exec_lo, exec_lo, s28
	v_cndmask_b32_e64 v21, v23, v24, s26
	v_cndmask_b32_e64 v22, v195, v194, s26
	s_mov_b32 s28, exec_lo
	v_add_nc_u32_e32 v26, 1, v21
	v_add_nc_u32_e32 v22, -1, v22
	v_lshl_add_u32 v21, v21, 3, v31
	v_cndmask_b32_e64 v25, v26, v23, s26
	v_min_u32_e32 v22, v26, v22
	v_cndmask_b32_e64 v26, v24, v26, s26
	v_lshl_add_u32 v22, v22, 3, v31
	ds_read_b64 v[27:28], v22
	ds_read_b64 v[21:22], v21 offset:32768
	s_waitcnt lgkmcnt(1)
	v_cndmask_b32_e64 v87, v28, v81, s26
	v_cndmask_b32_e64 v86, v27, v80, s26
	;; [unrolled: 1-line block ×4, first 2 shown]
	v_cmpx_lt_u32_e64 v25, v195
	s_cbranch_execz .LBB1231_470
; %bb.467:
	s_mov_b32 s29, 0
	s_mov_b32 s27, exec_lo
	v_cmpx_lt_u32_e64 v26, v194
	s_cbranch_execz .LBB1231_469
; %bb.468:
	v_add_f64 v[23:24], v[130:131], 0
	v_add_f64 v[27:28], v[86:87], 0
	v_ashrrev_i32_e32 v29, 31, v24
	v_ashrrev_i32_e32 v30, 31, v28
	v_or_b32_e32 v32, 0x80000000, v29
	v_or_b32_e32 v33, 0x80000000, v30
	v_xor_b32_e32 v23, v29, v23
	v_xor_b32_e32 v27, v30, v27
	;; [unrolled: 1-line block ×4, first 2 shown]
	v_cmp_le_u64_e64 s8, v[23:24], v[27:28]
	s_and_b32 s29, s8, exec_lo
.LBB1231_469:
	s_or_b32 exec_lo, exec_lo, s27
	s_orn2_b32 s27, s29, exec_lo
.LBB1231_470:
	s_or_b32 exec_lo, exec_lo, s28
	v_cndmask_b32_e64 v23, v25, v26, s27
	v_cndmask_b32_e64 v24, v195, v194, s27
	s_mov_b32 s29, -1
	s_mov_b32 s28, -1
	s_mov_b32 s40, exec_lo
	v_add_nc_u32_e32 v28, 1, v23
	v_add_nc_u32_e32 v24, -1, v24
	v_lshl_add_u32 v23, v23, 3, v31
	v_cndmask_b32_e64 v27, v28, v25, s27
	v_min_u32_e32 v24, v28, v24
	v_cndmask_b32_e64 v28, v26, v28, s27
	v_lshl_add_u32 v24, v24, 3, v31
	ds_read_b64 v[29:30], v24
	ds_read_b64 v[23:24], v23 offset:32768
	s_waitcnt lgkmcnt(1)
	v_cndmask_b32_e64 v71, v30, v87, s27
	v_cndmask_b32_e64 v70, v29, v86, s27
	;; [unrolled: 1-line block ×4, first 2 shown]
	v_cmpx_lt_u32_e64 v27, v195
	s_cbranch_execz .LBB1231_474
; %bb.471:
	s_mov_b32 s41, 0
	s_mov_b32 s28, exec_lo
	v_cmpx_lt_u32_e64 v28, v194
	s_cbranch_execz .LBB1231_473
; %bb.472:
	v_add_f64 v[25:26], v[102:103], 0
	v_add_f64 v[29:30], v[70:71], 0
	v_ashrrev_i32_e32 v32, 31, v26
	v_ashrrev_i32_e32 v33, 31, v30
	v_or_b32_e32 v34, 0x80000000, v32
	v_or_b32_e32 v35, 0x80000000, v33
	v_xor_b32_e32 v25, v32, v25
	v_xor_b32_e32 v29, v33, v29
	;; [unrolled: 1-line block ×4, first 2 shown]
	v_cmp_le_u64_e64 s8, v[25:26], v[29:30]
	s_and_b32 s41, s8, exec_lo
.LBB1231_473:
	s_or_b32 exec_lo, exec_lo, s28
	s_orn2_b32 s28, s41, exec_lo
.LBB1231_474:
	s_or_b32 exec_lo, exec_lo, s40
	v_cndmask_b32_e64 v25, v27, v28, s28
	v_cndmask_b32_e64 v26, v195, v194, s28
	s_mov_b32 s40, exec_lo
	v_add_nc_u32_e32 v30, 1, v25
	v_add_nc_u32_e32 v26, -1, v26
	v_lshl_add_u32 v25, v25, 3, v31
	v_cndmask_b32_e64 v29, v30, v27, s28
	v_min_u32_e32 v26, v30, v26
	v_cndmask_b32_e64 v30, v28, v30, s28
	v_lshl_add_u32 v26, v26, 3, v31
	ds_read_b64 v[32:33], v26
	ds_read_b64 v[25:26], v25 offset:32768
	s_waitcnt lgkmcnt(1)
	v_cndmask_b32_e64 v69, v33, v71, s28
	v_cndmask_b32_e64 v68, v32, v70, s28
	;; [unrolled: 1-line block ×4, first 2 shown]
	v_cmpx_lt_u32_e64 v29, v195
	s_cbranch_execz .LBB1231_478
; %bb.475:
	s_mov_b32 s41, 0
	s_mov_b32 s29, exec_lo
	v_cmpx_lt_u32_e64 v30, v194
	s_cbranch_execz .LBB1231_477
; %bb.476:
	v_add_f64 v[27:28], v[132:133], 0
	v_add_f64 v[32:33], v[68:69], 0
	v_ashrrev_i32_e32 v34, 31, v28
	v_ashrrev_i32_e32 v35, 31, v33
	v_or_b32_e32 v36, 0x80000000, v34
	v_or_b32_e32 v37, 0x80000000, v35
	v_xor_b32_e32 v27, v34, v27
	v_xor_b32_e32 v32, v35, v32
	;; [unrolled: 1-line block ×4, first 2 shown]
	v_cmp_le_u64_e64 s8, v[27:28], v[32:33]
	s_and_b32 s41, s8, exec_lo
.LBB1231_477:
	s_or_b32 exec_lo, exec_lo, s29
	s_orn2_b32 s29, s41, exec_lo
.LBB1231_478:
	s_or_b32 exec_lo, exec_lo, s40
	v_cndmask_b32_e64 v27, v29, v30, s29
	v_cndmask_b32_e64 v28, v195, v194, s29
	s_mov_b32 s41, -1
	s_mov_b32 s40, -1
	s_mov_b32 s42, exec_lo
	v_add_nc_u32_e32 v33, 1, v27
	v_add_nc_u32_e32 v28, -1, v28
	v_lshl_add_u32 v27, v27, 3, v31
	v_cndmask_b32_e64 v32, v33, v29, s29
	v_min_u32_e32 v28, v33, v28
	v_cndmask_b32_e64 v33, v30, v33, s29
	v_lshl_add_u32 v28, v28, 3, v31
	ds_read_b64 v[34:35], v28
	ds_read_b64 v[27:28], v27 offset:32768
	s_waitcnt lgkmcnt(1)
	v_cndmask_b32_e64 v65, v35, v69, s29
	v_cndmask_b32_e64 v64, v34, v68, s29
	;; [unrolled: 1-line block ×4, first 2 shown]
	v_cmpx_lt_u32_e64 v32, v195
	s_cbranch_execz .LBB1231_482
; %bb.479:
	s_mov_b32 s43, 0
	s_mov_b32 s40, exec_lo
	v_cmpx_lt_u32_e64 v33, v194
	s_cbranch_execz .LBB1231_481
; %bb.480:
	v_add_f64 v[29:30], v[134:135], 0
	v_add_f64 v[34:35], v[64:65], 0
	v_ashrrev_i32_e32 v36, 31, v30
	v_ashrrev_i32_e32 v37, 31, v35
	v_or_b32_e32 v38, 0x80000000, v36
	v_or_b32_e32 v39, 0x80000000, v37
	v_xor_b32_e32 v29, v36, v29
	v_xor_b32_e32 v34, v37, v34
	;; [unrolled: 1-line block ×4, first 2 shown]
	v_cmp_le_u64_e64 s8, v[29:30], v[34:35]
	s_and_b32 s43, s8, exec_lo
.LBB1231_481:
	s_or_b32 exec_lo, exec_lo, s40
	s_orn2_b32 s40, s43, exec_lo
.LBB1231_482:
	s_or_b32 exec_lo, exec_lo, s42
	v_cndmask_b32_e64 v29, v32, v33, s40
	v_cndmask_b32_e64 v30, v195, v194, s40
	s_mov_b32 s42, exec_lo
	v_add_nc_u32_e32 v35, 1, v29
	v_add_nc_u32_e32 v30, -1, v30
	v_lshl_add_u32 v29, v29, 3, v31
	v_cndmask_b32_e64 v34, v35, v32, s40
	v_min_u32_e32 v30, v35, v30
	v_cndmask_b32_e64 v35, v33, v35, s40
	v_lshl_add_u32 v30, v30, 3, v31
	ds_read_b64 v[36:37], v30
	ds_read_b64 v[29:30], v29 offset:32768
	s_waitcnt lgkmcnt(1)
	v_cndmask_b32_e64 v55, v37, v65, s40
	v_cndmask_b32_e64 v54, v36, v64, s40
	v_cndmask_b32_e64 v145, v135, v37, s40
	v_cndmask_b32_e64 v144, v134, v36, s40
	v_cmpx_lt_u32_e64 v34, v195
	s_cbranch_execz .LBB1231_486
; %bb.483:
	s_mov_b32 s43, 0
	s_mov_b32 s41, exec_lo
	v_cmpx_lt_u32_e64 v35, v194
	s_cbranch_execz .LBB1231_485
; %bb.484:
	v_add_f64 v[32:33], v[144:145], 0
	v_add_f64 v[36:37], v[54:55], 0
	v_ashrrev_i32_e32 v38, 31, v33
	v_ashrrev_i32_e32 v39, 31, v37
	v_or_b32_e32 v48, 0x80000000, v38
	v_or_b32_e32 v49, 0x80000000, v39
	v_xor_b32_e32 v32, v38, v32
	v_xor_b32_e32 v36, v39, v36
	v_xor_b32_e32 v33, v48, v33
	v_xor_b32_e32 v37, v49, v37
	v_cmp_le_u64_e64 s8, v[32:33], v[36:37]
	s_and_b32 s43, s8, exec_lo
.LBB1231_485:
	s_or_b32 exec_lo, exec_lo, s41
	s_orn2_b32 s41, s43, exec_lo
.LBB1231_486:
	s_or_b32 exec_lo, exec_lo, s42
	v_cndmask_b32_e64 v32, v34, v35, s41
	v_cndmask_b32_e64 v33, v195, v194, s41
	s_mov_b32 s43, -1
	s_mov_b32 s42, -1
	s_mov_b32 s44, exec_lo
	v_add_nc_u32_e32 v37, 1, v32
	v_add_nc_u32_e32 v33, -1, v33
	v_lshl_add_u32 v32, v32, 3, v31
	v_cndmask_b32_e64 v36, v37, v34, s41
	v_min_u32_e32 v33, v37, v33
	v_cndmask_b32_e64 v37, v35, v37, s41
	v_lshl_add_u32 v33, v33, 3, v31
	ds_read_b64 v[38:39], v33
	ds_read_b64 v[32:33], v32 offset:32768
	s_waitcnt lgkmcnt(1)
	v_cndmask_b32_e64 v101, v39, v55, s41
	v_cndmask_b32_e64 v100, v38, v54, s41
	;; [unrolled: 1-line block ×4, first 2 shown]
	v_cmpx_lt_u32_e64 v36, v195
	s_cbranch_execz .LBB1231_490
; %bb.487:
	s_mov_b32 s45, 0
	s_mov_b32 s42, exec_lo
	v_cmpx_lt_u32_e64 v37, v194
	s_cbranch_execz .LBB1231_489
; %bb.488:
	v_add_f64 v[34:35], v[146:147], 0
	v_add_f64 v[38:39], v[100:101], 0
	v_ashrrev_i32_e32 v48, 31, v35
	v_ashrrev_i32_e32 v49, 31, v39
	v_or_b32_e32 v50, 0x80000000, v48
	v_or_b32_e32 v51, 0x80000000, v49
	v_xor_b32_e32 v34, v48, v34
	v_xor_b32_e32 v38, v49, v38
	;; [unrolled: 1-line block ×4, first 2 shown]
	v_cmp_le_u64_e64 s8, v[34:35], v[38:39]
	s_and_b32 s45, s8, exec_lo
.LBB1231_489:
	s_or_b32 exec_lo, exec_lo, s42
	s_orn2_b32 s42, s45, exec_lo
.LBB1231_490:
	s_or_b32 exec_lo, exec_lo, s44
	v_cndmask_b32_e64 v34, v36, v37, s42
	v_cndmask_b32_e64 v35, v195, v194, s42
	s_mov_b32 s44, exec_lo
	v_add_nc_u32_e32 v48, 1, v34
	v_add_nc_u32_e32 v35, -1, v35
	v_lshl_add_u32 v34, v34, 3, v31
	v_cndmask_b32_e64 v36, v48, v36, s42
	v_min_u32_e32 v35, v48, v35
	v_cndmask_b32_e64 v37, v37, v48, s42
	v_lshl_add_u32 v35, v35, 3, v31
	ds_read_b64 v[38:39], v35
	ds_read_b64 v[34:35], v34 offset:32768
	s_waitcnt lgkmcnt(1)
	v_cndmask_b32_e64 v53, v39, v101, s42
	v_cndmask_b32_e64 v52, v38, v100, s42
	;; [unrolled: 1-line block ×4, first 2 shown]
	v_cmpx_lt_u32_e64 v36, v195
	s_cbranch_execz .LBB1231_494
; %bb.491:
	s_mov_b32 s45, 0
	s_mov_b32 s43, exec_lo
	v_cmpx_lt_u32_e64 v37, v194
	s_cbranch_execz .LBB1231_493
; %bb.492:
	v_add_f64 v[38:39], v[148:149], 0
	v_add_f64 v[48:49], v[52:53], 0
	v_ashrrev_i32_e32 v50, 31, v39
	v_ashrrev_i32_e32 v51, 31, v49
	v_or_b32_e32 v66, 0x80000000, v50
	v_or_b32_e32 v67, 0x80000000, v51
	v_xor_b32_e32 v38, v50, v38
	v_xor_b32_e32 v48, v51, v48
	;; [unrolled: 1-line block ×4, first 2 shown]
	v_cmp_le_u64_e64 s8, v[38:39], v[48:49]
	s_and_b32 s45, s8, exec_lo
.LBB1231_493:
	s_or_b32 exec_lo, exec_lo, s43
	s_orn2_b32 s43, s45, exec_lo
.LBB1231_494:
	s_or_b32 exec_lo, exec_lo, s44
	v_cndmask_b32_e64 v38, v36, v37, s43
	v_cndmask_b32_e64 v39, v195, v194, s43
	s_mov_b32 s45, -1
	s_mov_b32 s44, -1
	s_mov_b32 s46, exec_lo
	v_add_nc_u32_e32 v48, 1, v38
	v_add_nc_u32_e32 v39, -1, v39
	v_lshl_add_u32 v38, v38, 3, v31
	v_cndmask_b32_e64 v36, v48, v36, s43
	v_min_u32_e32 v39, v48, v39
	v_cndmask_b32_e64 v37, v37, v48, s43
	v_lshl_add_u32 v39, v39, 3, v31
	ds_read_b64 v[50:51], v39
	ds_read_b64 v[38:39], v38 offset:32768
	s_waitcnt lgkmcnt(1)
	v_cndmask_b32_e64 v49, v51, v53, s43
	v_cndmask_b32_e64 v48, v50, v52, s43
	;; [unrolled: 1-line block ×4, first 2 shown]
	v_cmpx_lt_u32_e64 v36, v195
	s_cbranch_execz .LBB1231_498
; %bb.495:
	s_mov_b32 s47, 0
	s_mov_b32 s44, exec_lo
	v_cmpx_lt_u32_e64 v37, v194
	s_cbranch_execz .LBB1231_497
; %bb.496:
	v_add_f64 v[50:51], v[150:151], 0
	v_add_f64 v[66:67], v[48:49], 0
	v_ashrrev_i32_e32 v160, 31, v51
	v_ashrrev_i32_e32 v161, 31, v67
	v_or_b32_e32 v162, 0x80000000, v160
	v_or_b32_e32 v163, 0x80000000, v161
	v_xor_b32_e32 v50, v160, v50
	v_xor_b32_e32 v66, v161, v66
	;; [unrolled: 1-line block ×4, first 2 shown]
	v_cmp_le_u64_e64 s8, v[50:51], v[66:67]
	s_and_b32 s47, s8, exec_lo
.LBB1231_497:
	s_or_b32 exec_lo, exec_lo, s44
	s_orn2_b32 s44, s47, exec_lo
.LBB1231_498:
	s_or_b32 exec_lo, exec_lo, s46
	v_cndmask_b32_e64 v50, v36, v37, s44
	v_cndmask_b32_e64 v51, v195, v194, s44
	s_mov_b32 s46, exec_lo
	v_add_nc_u32_e32 v66, 1, v50
	v_add_nc_u32_e32 v51, -1, v51
	v_lshl_add_u32 v50, v50, 3, v31
	v_cndmask_b32_e64 v160, v66, v36, s44
	v_min_u32_e32 v51, v66, v51
	v_cndmask_b32_e64 v161, v37, v66, s44
	v_lshl_add_u32 v51, v51, 3, v31
	ds_read_b64 v[162:163], v51
	ds_read_b64 v[50:51], v50 offset:32768
	s_waitcnt lgkmcnt(1)
	v_cndmask_b32_e64 v67, v163, v49, s44
	v_cndmask_b32_e64 v66, v162, v48, s44
	;; [unrolled: 1-line block ×4, first 2 shown]
	v_cmpx_lt_u32_e64 v160, v195
	s_cbranch_execz .LBB1231_502
; %bb.499:
	s_mov_b32 s47, 0
	s_mov_b32 s45, exec_lo
	v_cmpx_lt_u32_e64 v161, v194
	s_cbranch_execz .LBB1231_501
; %bb.500:
	v_add_f64 v[36:37], v[164:165], 0
	v_add_f64 v[162:163], v[66:67], 0
	v_ashrrev_i32_e32 v196, 31, v37
	v_ashrrev_i32_e32 v197, 31, v163
	v_or_b32_e32 v198, 0x80000000, v196
	v_or_b32_e32 v199, 0x80000000, v197
	v_xor_b32_e32 v36, v196, v36
	v_xor_b32_e32 v162, v197, v162
	;; [unrolled: 1-line block ×4, first 2 shown]
	v_cmp_le_u64_e64 s8, v[36:37], v[162:163]
	s_and_b32 s47, s8, exec_lo
.LBB1231_501:
	s_or_b32 exec_lo, exec_lo, s45
	s_orn2_b32 s45, s47, exec_lo
.LBB1231_502:
	s_or_b32 exec_lo, exec_lo, s46
	v_cndmask_b32_e64 v36, v160, v161, s45
	v_cndmask_b32_e64 v37, v195, v194, s45
	s_mov_b32 s46, -1
	s_mov_b32 s47, exec_lo
	v_add_nc_u32_e32 v197, 1, v36
	v_add_nc_u32_e32 v37, -1, v37
	v_lshl_add_u32 v36, v36, 3, v31
	v_cndmask_b32_e64 v196, v197, v160, s45
	v_min_u32_e32 v37, v197, v37
	v_cndmask_b32_e64 v197, v161, v197, s45
	v_lshl_add_u32 v37, v37, 3, v31
	ds_read_b64 v[162:163], v37
	ds_read_b64 v[36:37], v36 offset:32768
	s_waitcnt lgkmcnt(1)
	v_cndmask_b32_e64 v161, v163, v67, s45
	v_cndmask_b32_e64 v160, v162, v66, s45
	;; [unrolled: 1-line block ×4, first 2 shown]
	v_cmpx_lt_u32_e64 v196, v195
	s_cbranch_execz .LBB1231_506
; %bb.503:
	s_mov_b32 s56, 0
	s_mov_b32 s46, exec_lo
	v_cmpx_lt_u32_e64 v197, v194
	s_cbranch_execz .LBB1231_505
; %bb.504:
	v_add_f64 v[194:195], v[162:163], 0
	v_add_f64 v[198:199], v[160:161], 0
	v_ashrrev_i32_e32 v208, 31, v195
	v_ashrrev_i32_e32 v209, 31, v199
	v_or_b32_e32 v210, 0x80000000, v208
	v_or_b32_e32 v211, 0x80000000, v209
	v_xor_b32_e32 v194, v208, v194
	v_xor_b32_e32 v198, v209, v198
	;; [unrolled: 1-line block ×4, first 2 shown]
	v_cmp_le_u64_e64 s8, v[194:195], v[198:199]
	s_and_b32 s56, s8, exec_lo
.LBB1231_505:
	s_or_b32 exec_lo, exec_lo, s46
	s_orn2_b32 s46, s56, exec_lo
.LBB1231_506:
	s_or_b32 exec_lo, exec_lo, s47
	v_cndmask_b32_e64 v55, v55, v145, s41
	v_cndmask_b32_e64 v145, v196, v197, s46
	;; [unrolled: 1-line block ×6, first 2 shown]
	v_lshl_add_u32 v133, v145, 3, v31
	v_cndmask_b32_e64 v66, v66, v164, s45
	v_cndmask_b32_e64 v49, v49, v151, s44
	;; [unrolled: 1-line block ×4, first 2 shown]
	ds_read_b64 v[102:103], v133 offset:32768
	v_cndmask_b32_e64 v52, v52, v148, s43
	v_cndmask_b32_e64 v101, v101, v147, s42
	;; [unrolled: 1-line block ×23, first 2 shown]
.LBB1231_507:
	s_or_b32 exec_lo, exec_lo, s12
	v_and_b32_e32 v113, 0x100, v167
	; wave barrier
	ds_write2_b64 v176, v[8:9], v[84:85] offset1:1
	ds_write2_b64 v181, v[0:1], v[4:5] offset1:1
	ds_write2_b64 v176, v[98:99], v[82:83] offset0:2 offset1:3
	ds_write2_b64 v182, v[13:14], v[17:18] offset1:1
	ds_write2_b64 v176, v[96:97], v[80:81] offset0:4 offset1:5
	v_or_b32_e32 v112, 0x80, v113
	v_min_u32_e32 v115, v177, v166
	s_mov_b32 s9, exec_lo
	ds_write2_b64 v179, v[19:20], v[21:22] offset1:1
	ds_write2_b64 v176, v[86:87], v[70:71] offset0:6 offset1:7
	ds_write2_b64 v180, v[23:24], v[25:26] offset1:1
	ds_write2_b64 v176, v[68:69], v[64:65] offset0:8 offset1:9
	;; [unrolled: 2-line block ×3, first 2 shown]
	v_min_u32_e32 v167, v177, v112
	ds_write2_b64 v183, v[32:33], v[34:35] offset1:1
	ds_write2_b64 v176, v[52:53], v[48:49] offset0:12 offset1:13
	ds_write2_b64 v192, v[38:39], v[50:51] offset1:1
	ds_write2_b64 v176, v[66:67], v[15:16] offset0:14 offset1:15
	s_waitcnt lgkmcnt(15)
	ds_write2_b64 v193, v[36:37], v[102:103] offset1:1
	; wave barrier
	v_add_nc_u32_e32 v112, 0x80, v167
	v_sub_nc_u32_e32 v114, v167, v113
	v_min_u32_e32 v181, v177, v112
	v_min_u32_e32 v116, v115, v114
	v_lshl_add_u32 v114, v113, 3, v31
	v_sub_nc_u32_e32 v112, v181, v167
	v_sub_nc_u32_e64 v112, v115, v112 clamp
	v_cmpx_lt_u32_e64 v112, v116
	s_cbranch_execz .LBB1231_511
; %bb.508:
	v_lshlrev_b32_e32 v117, 3, v167
	v_lshlrev_b32_e32 v118, 3, v115
	s_mov_b32 s12, 0
	v_add3_u32 v117, v31, v117, v118
	s_inst_prefetch 0x1
	.p2align	6
.LBB1231_509:                           ; =>This Inner Loop Header: Depth=1
	v_add_nc_u32_e32 v118, v116, v112
	v_lshrrev_b32_e32 v130, 1, v118
	v_not_b32_e32 v118, v130
	v_lshl_add_u32 v119, v130, 3, v114
	v_lshl_add_u32 v128, v118, 3, v117
	ds_read_b64 v[118:119], v119
	ds_read_b64 v[128:129], v128
	s_waitcnt lgkmcnt(1)
	v_add_f64 v[118:119], v[118:119], 0
	s_waitcnt lgkmcnt(0)
	v_add_f64 v[128:129], v[128:129], 0
	v_ashrrev_i32_e32 v131, 31, v119
	v_ashrrev_i32_e32 v132, 31, v129
	v_or_b32_e32 v133, 0x80000000, v131
	v_or_b32_e32 v134, 0x80000000, v132
	v_xor_b32_e32 v118, v131, v118
	v_xor_b32_e32 v128, v132, v128
	;; [unrolled: 1-line block ×4, first 2 shown]
	v_cmp_gt_u64_e64 s8, v[118:119], v[128:129]
	v_add_nc_u32_e32 v118, 1, v130
	v_cndmask_b32_e64 v116, v116, v130, s8
	v_cndmask_b32_e64 v112, v118, v112, s8
	v_cmp_ge_u32_e64 s8, v112, v116
	s_or_b32 s12, s8, s12
	s_andn2_b32 exec_lo, exec_lo, s12
	s_cbranch_execnz .LBB1231_509
; %bb.510:
	s_inst_prefetch 0x2
	s_or_b32 exec_lo, exec_lo, s12
.LBB1231_511:
	s_or_b32 exec_lo, exec_lo, s9
	v_add_nc_u32_e32 v115, v167, v115
	v_add_nc_u32_e32 v113, v112, v113
	v_sub_nc_u32_e32 v115, v115, v112
	v_cmp_le_u32_e64 s8, v113, v167
	v_cmp_le_u32_e64 s9, v115, v181
	s_or_b32 s8, s8, s9
	s_and_saveexec_b32 s12, s8
	s_cbranch_execz .LBB1231_579
; %bb.512:
	v_cmp_ge_u32_e64 s8, v113, v167
	s_mov_b32 s13, exec_lo
                                        ; implicit-def: $vgpr8_vgpr9
	v_cmpx_lt_u32_e64 v113, v167
; %bb.513:
	v_lshl_add_u32 v0, v112, 3, v114
	ds_read_b64 v[8:9], v0
; %bb.514:
	s_or_b32 exec_lo, exec_lo, s13
	v_cmp_ge_u32_e64 s13, v115, v181
	s_mov_b32 s23, exec_lo
                                        ; implicit-def: $vgpr15_vgpr16
	v_cmpx_lt_u32_e64 v115, v181
; %bb.515:
	v_lshl_add_u32 v0, v115, 3, v31
	ds_read_b64 v[15:16], v0
; %bb.516:
	s_or_b32 exec_lo, exec_lo, s23
	s_nor_b32 s8, s8, s13
	s_and_saveexec_b32 s9, s8
	s_cbranch_execz .LBB1231_518
; %bb.517:
	s_waitcnt lgkmcnt(0)
	v_add_f64 v[0:1], v[8:9], 0
	v_add_f64 v[4:5], v[15:16], 0
	s_andn2_b32 s13, s13, exec_lo
	v_ashrrev_i32_e32 v13, 31, v1
	v_ashrrev_i32_e32 v14, 31, v5
	v_or_b32_e32 v17, 0x80000000, v13
	v_or_b32_e32 v18, 0x80000000, v14
	v_xor_b32_e32 v0, v13, v0
	v_xor_b32_e32 v4, v14, v4
	;; [unrolled: 1-line block ×4, first 2 shown]
	v_cmp_le_u64_e64 s8, v[0:1], v[4:5]
	s_and_b32 s8, s8, exec_lo
	s_or_b32 s13, s13, s8
.LBB1231_518:
	s_or_b32 exec_lo, exec_lo, s9
	v_cndmask_b32_e64 v0, v115, v113, s13
	v_cndmask_b32_e64 v1, v181, v167, s13
	s_mov_b32 s23, -1
	s_mov_b32 s9, -1
	s_mov_b32 s24, exec_lo
	v_add_nc_u32_e32 v14, 1, v0
	v_add_nc_u32_e32 v1, -1, v1
	v_lshl_add_u32 v0, v0, 3, v31
	v_cndmask_b32_e64 v13, v14, v115, s13
	v_min_u32_e32 v1, v14, v1
	v_cndmask_b32_e64 v14, v113, v14, s13
	v_lshl_add_u32 v1, v1, 3, v31
	ds_read_b64 v[4:5], v1
	ds_read_b64 v[0:1], v0 offset:32768
	s_waitcnt lgkmcnt(1)
	v_cndmask_b32_e64 v85, v5, v16, s13
	v_cndmask_b32_e64 v84, v4, v15, s13
	;; [unrolled: 1-line block ×4, first 2 shown]
	v_cmpx_lt_u32_e64 v13, v181
	s_cbranch_execz .LBB1231_522
; %bb.519:
	s_mov_b32 s25, 0
	s_mov_b32 s9, exec_lo
	v_cmpx_lt_u32_e64 v14, v167
	s_cbranch_execz .LBB1231_521
; %bb.520:
	v_add_f64 v[4:5], v[112:113], 0
	v_add_f64 v[17:18], v[84:85], 0
	v_ashrrev_i32_e32 v19, 31, v5
	v_ashrrev_i32_e32 v20, 31, v18
	v_or_b32_e32 v21, 0x80000000, v19
	v_or_b32_e32 v22, 0x80000000, v20
	v_xor_b32_e32 v4, v19, v4
	v_xor_b32_e32 v17, v20, v17
	;; [unrolled: 1-line block ×4, first 2 shown]
	v_cmp_le_u64_e64 s8, v[4:5], v[17:18]
	s_and_b32 s25, s8, exec_lo
.LBB1231_521:
	s_or_b32 exec_lo, exec_lo, s9
	s_orn2_b32 s9, s25, exec_lo
.LBB1231_522:
	s_or_b32 exec_lo, exec_lo, s24
	v_cndmask_b32_e64 v4, v13, v14, s9
	v_cndmask_b32_e64 v5, v181, v167, s9
	s_mov_b32 s24, exec_lo
	v_add_nc_u32_e32 v18, 1, v4
	v_add_nc_u32_e32 v5, -1, v5
	v_lshl_add_u32 v4, v4, 3, v31
	v_cndmask_b32_e64 v17, v18, v13, s9
	v_min_u32_e32 v5, v18, v5
	v_cndmask_b32_e64 v18, v14, v18, s9
	v_lshl_add_u32 v5, v5, 3, v31
	ds_read_b64 v[19:20], v5
	ds_read_b64 v[4:5], v4 offset:32768
	s_waitcnt lgkmcnt(1)
	v_cndmask_b32_e64 v99, v20, v85, s9
	v_cndmask_b32_e64 v98, v19, v84, s9
	;; [unrolled: 1-line block ×4, first 2 shown]
	v_cmpx_lt_u32_e64 v17, v181
	s_cbranch_execz .LBB1231_526
; %bb.523:
	s_mov_b32 s25, 0
	s_mov_b32 s23, exec_lo
	v_cmpx_lt_u32_e64 v18, v167
	s_cbranch_execz .LBB1231_525
; %bb.524:
	v_add_f64 v[13:14], v[114:115], 0
	v_add_f64 v[19:20], v[98:99], 0
	v_ashrrev_i32_e32 v21, 31, v14
	v_ashrrev_i32_e32 v22, 31, v20
	v_or_b32_e32 v23, 0x80000000, v21
	v_or_b32_e32 v24, 0x80000000, v22
	v_xor_b32_e32 v13, v21, v13
	v_xor_b32_e32 v19, v22, v19
	;; [unrolled: 1-line block ×4, first 2 shown]
	v_cmp_le_u64_e64 s8, v[13:14], v[19:20]
	s_and_b32 s25, s8, exec_lo
.LBB1231_525:
	s_or_b32 exec_lo, exec_lo, s23
	s_orn2_b32 s23, s25, exec_lo
.LBB1231_526:
	s_or_b32 exec_lo, exec_lo, s24
	v_cndmask_b32_e64 v13, v17, v18, s23
	v_cndmask_b32_e64 v14, v181, v167, s23
	s_mov_b32 s25, -1
	s_mov_b32 s24, -1
	s_mov_b32 s26, exec_lo
	v_add_nc_u32_e32 v20, 1, v13
	v_add_nc_u32_e32 v14, -1, v14
	v_lshl_add_u32 v13, v13, 3, v31
	v_cndmask_b32_e64 v19, v20, v17, s23
	v_min_u32_e32 v14, v20, v14
	v_cndmask_b32_e64 v20, v18, v20, s23
	v_lshl_add_u32 v14, v14, 3, v31
	ds_read_b64 v[21:22], v14
	ds_read_b64 v[13:14], v13 offset:32768
	s_waitcnt lgkmcnt(1)
	v_cndmask_b32_e64 v83, v22, v99, s23
	v_cndmask_b32_e64 v82, v21, v98, s23
	;; [unrolled: 1-line block ×4, first 2 shown]
	v_cmpx_lt_u32_e64 v19, v181
	s_cbranch_execz .LBB1231_530
; %bb.527:
	s_mov_b32 s27, 0
	s_mov_b32 s24, exec_lo
	v_cmpx_lt_u32_e64 v20, v167
	s_cbranch_execz .LBB1231_529
; %bb.528:
	v_add_f64 v[17:18], v[116:117], 0
	v_add_f64 v[21:22], v[82:83], 0
	v_ashrrev_i32_e32 v23, 31, v18
	v_ashrrev_i32_e32 v24, 31, v22
	v_or_b32_e32 v25, 0x80000000, v23
	v_or_b32_e32 v26, 0x80000000, v24
	v_xor_b32_e32 v17, v23, v17
	v_xor_b32_e32 v21, v24, v21
	;; [unrolled: 1-line block ×4, first 2 shown]
	v_cmp_le_u64_e64 s8, v[17:18], v[21:22]
	s_and_b32 s27, s8, exec_lo
.LBB1231_529:
	s_or_b32 exec_lo, exec_lo, s24
	s_orn2_b32 s24, s27, exec_lo
.LBB1231_530:
	s_or_b32 exec_lo, exec_lo, s26
	v_cndmask_b32_e64 v17, v19, v20, s24
	v_cndmask_b32_e64 v18, v181, v167, s24
	s_mov_b32 s26, exec_lo
	v_add_nc_u32_e32 v22, 1, v17
	v_add_nc_u32_e32 v18, -1, v18
	v_lshl_add_u32 v17, v17, 3, v31
	v_cndmask_b32_e64 v21, v22, v19, s24
	v_min_u32_e32 v18, v22, v18
	v_cndmask_b32_e64 v22, v20, v22, s24
	v_lshl_add_u32 v18, v18, 3, v31
	ds_read_b64 v[23:24], v18
	ds_read_b64 v[17:18], v17 offset:32768
	s_waitcnt lgkmcnt(1)
	v_cndmask_b32_e64 v97, v24, v83, s24
	v_cndmask_b32_e64 v96, v23, v82, s24
	;; [unrolled: 1-line block ×4, first 2 shown]
	v_cmpx_lt_u32_e64 v21, v181
	s_cbranch_execz .LBB1231_534
; %bb.531:
	s_mov_b32 s27, 0
	s_mov_b32 s25, exec_lo
	v_cmpx_lt_u32_e64 v22, v167
	s_cbranch_execz .LBB1231_533
; %bb.532:
	v_add_f64 v[19:20], v[118:119], 0
	v_add_f64 v[23:24], v[96:97], 0
	v_ashrrev_i32_e32 v25, 31, v20
	v_ashrrev_i32_e32 v26, 31, v24
	v_or_b32_e32 v27, 0x80000000, v25
	v_or_b32_e32 v28, 0x80000000, v26
	v_xor_b32_e32 v19, v25, v19
	v_xor_b32_e32 v23, v26, v23
	;; [unrolled: 1-line block ×4, first 2 shown]
	v_cmp_le_u64_e64 s8, v[19:20], v[23:24]
	s_and_b32 s27, s8, exec_lo
.LBB1231_533:
	s_or_b32 exec_lo, exec_lo, s25
	s_orn2_b32 s25, s27, exec_lo
.LBB1231_534:
	s_or_b32 exec_lo, exec_lo, s26
	v_cndmask_b32_e64 v19, v21, v22, s25
	v_cndmask_b32_e64 v20, v181, v167, s25
	s_mov_b32 s27, -1
	s_mov_b32 s26, -1
	s_mov_b32 s28, exec_lo
	v_add_nc_u32_e32 v24, 1, v19
	v_add_nc_u32_e32 v20, -1, v20
	v_lshl_add_u32 v19, v19, 3, v31
	v_cndmask_b32_e64 v23, v24, v21, s25
	v_min_u32_e32 v20, v24, v20
	v_cndmask_b32_e64 v24, v22, v24, s25
	v_lshl_add_u32 v20, v20, 3, v31
	ds_read_b64 v[25:26], v20
	ds_read_b64 v[19:20], v19 offset:32768
	s_waitcnt lgkmcnt(1)
	v_cndmask_b32_e64 v81, v26, v97, s25
	v_cndmask_b32_e64 v80, v25, v96, s25
	;; [unrolled: 1-line block ×4, first 2 shown]
	v_cmpx_lt_u32_e64 v23, v181
	s_cbranch_execz .LBB1231_538
; %bb.535:
	s_mov_b32 s29, 0
	s_mov_b32 s26, exec_lo
	v_cmpx_lt_u32_e64 v24, v167
	s_cbranch_execz .LBB1231_537
; %bb.536:
	v_add_f64 v[21:22], v[128:129], 0
	v_add_f64 v[25:26], v[80:81], 0
	v_ashrrev_i32_e32 v27, 31, v22
	v_ashrrev_i32_e32 v28, 31, v26
	v_or_b32_e32 v29, 0x80000000, v27
	v_or_b32_e32 v30, 0x80000000, v28
	v_xor_b32_e32 v21, v27, v21
	v_xor_b32_e32 v25, v28, v25
	v_xor_b32_e32 v22, v29, v22
	v_xor_b32_e32 v26, v30, v26
	v_cmp_le_u64_e64 s8, v[21:22], v[25:26]
	s_and_b32 s29, s8, exec_lo
.LBB1231_537:
	s_or_b32 exec_lo, exec_lo, s26
	s_orn2_b32 s26, s29, exec_lo
.LBB1231_538:
	s_or_b32 exec_lo, exec_lo, s28
	v_cndmask_b32_e64 v21, v23, v24, s26
	v_cndmask_b32_e64 v22, v181, v167, s26
	s_mov_b32 s28, exec_lo
	v_add_nc_u32_e32 v26, 1, v21
	v_add_nc_u32_e32 v22, -1, v22
	v_lshl_add_u32 v21, v21, 3, v31
	v_cndmask_b32_e64 v25, v26, v23, s26
	v_min_u32_e32 v22, v26, v22
	v_cndmask_b32_e64 v26, v24, v26, s26
	v_lshl_add_u32 v22, v22, 3, v31
	ds_read_b64 v[27:28], v22
	ds_read_b64 v[21:22], v21 offset:32768
	s_waitcnt lgkmcnt(1)
	v_cndmask_b32_e64 v87, v28, v81, s26
	v_cndmask_b32_e64 v86, v27, v80, s26
	;; [unrolled: 1-line block ×4, first 2 shown]
	v_cmpx_lt_u32_e64 v25, v181
	s_cbranch_execz .LBB1231_542
; %bb.539:
	s_mov_b32 s29, 0
	s_mov_b32 s27, exec_lo
	v_cmpx_lt_u32_e64 v26, v167
	s_cbranch_execz .LBB1231_541
; %bb.540:
	v_add_f64 v[23:24], v[130:131], 0
	v_add_f64 v[27:28], v[86:87], 0
	v_ashrrev_i32_e32 v29, 31, v24
	v_ashrrev_i32_e32 v30, 31, v28
	v_or_b32_e32 v32, 0x80000000, v29
	v_or_b32_e32 v33, 0x80000000, v30
	v_xor_b32_e32 v23, v29, v23
	v_xor_b32_e32 v27, v30, v27
	;; [unrolled: 1-line block ×4, first 2 shown]
	v_cmp_le_u64_e64 s8, v[23:24], v[27:28]
	s_and_b32 s29, s8, exec_lo
.LBB1231_541:
	s_or_b32 exec_lo, exec_lo, s27
	s_orn2_b32 s27, s29, exec_lo
.LBB1231_542:
	s_or_b32 exec_lo, exec_lo, s28
	v_cndmask_b32_e64 v23, v25, v26, s27
	v_cndmask_b32_e64 v24, v181, v167, s27
	s_mov_b32 s29, -1
	s_mov_b32 s28, -1
	s_mov_b32 s40, exec_lo
	v_add_nc_u32_e32 v28, 1, v23
	v_add_nc_u32_e32 v24, -1, v24
	v_lshl_add_u32 v23, v23, 3, v31
	v_cndmask_b32_e64 v27, v28, v25, s27
	v_min_u32_e32 v24, v28, v24
	v_cndmask_b32_e64 v28, v26, v28, s27
	v_lshl_add_u32 v24, v24, 3, v31
	ds_read_b64 v[29:30], v24
	ds_read_b64 v[23:24], v23 offset:32768
	s_waitcnt lgkmcnt(1)
	v_cndmask_b32_e64 v71, v30, v87, s27
	v_cndmask_b32_e64 v70, v29, v86, s27
	;; [unrolled: 1-line block ×4, first 2 shown]
	v_cmpx_lt_u32_e64 v27, v181
	s_cbranch_execz .LBB1231_546
; %bb.543:
	s_mov_b32 s41, 0
	s_mov_b32 s28, exec_lo
	v_cmpx_lt_u32_e64 v28, v167
	s_cbranch_execz .LBB1231_545
; %bb.544:
	v_add_f64 v[25:26], v[102:103], 0
	v_add_f64 v[29:30], v[70:71], 0
	v_ashrrev_i32_e32 v32, 31, v26
	v_ashrrev_i32_e32 v33, 31, v30
	v_or_b32_e32 v34, 0x80000000, v32
	v_or_b32_e32 v35, 0x80000000, v33
	v_xor_b32_e32 v25, v32, v25
	v_xor_b32_e32 v29, v33, v29
	;; [unrolled: 1-line block ×4, first 2 shown]
	v_cmp_le_u64_e64 s8, v[25:26], v[29:30]
	s_and_b32 s41, s8, exec_lo
.LBB1231_545:
	s_or_b32 exec_lo, exec_lo, s28
	s_orn2_b32 s28, s41, exec_lo
.LBB1231_546:
	s_or_b32 exec_lo, exec_lo, s40
	v_cndmask_b32_e64 v25, v27, v28, s28
	v_cndmask_b32_e64 v26, v181, v167, s28
	s_mov_b32 s40, exec_lo
	v_add_nc_u32_e32 v30, 1, v25
	v_add_nc_u32_e32 v26, -1, v26
	v_lshl_add_u32 v25, v25, 3, v31
	v_cndmask_b32_e64 v29, v30, v27, s28
	v_min_u32_e32 v26, v30, v26
	v_cndmask_b32_e64 v30, v28, v30, s28
	v_lshl_add_u32 v26, v26, 3, v31
	ds_read_b64 v[32:33], v26
	ds_read_b64 v[25:26], v25 offset:32768
	s_waitcnt lgkmcnt(1)
	v_cndmask_b32_e64 v69, v33, v71, s28
	v_cndmask_b32_e64 v68, v32, v70, s28
	;; [unrolled: 1-line block ×4, first 2 shown]
	v_cmpx_lt_u32_e64 v29, v181
	s_cbranch_execz .LBB1231_550
; %bb.547:
	s_mov_b32 s41, 0
	s_mov_b32 s29, exec_lo
	v_cmpx_lt_u32_e64 v30, v167
	s_cbranch_execz .LBB1231_549
; %bb.548:
	v_add_f64 v[27:28], v[132:133], 0
	v_add_f64 v[32:33], v[68:69], 0
	v_ashrrev_i32_e32 v34, 31, v28
	v_ashrrev_i32_e32 v35, 31, v33
	v_or_b32_e32 v36, 0x80000000, v34
	v_or_b32_e32 v37, 0x80000000, v35
	v_xor_b32_e32 v27, v34, v27
	v_xor_b32_e32 v32, v35, v32
	;; [unrolled: 1-line block ×4, first 2 shown]
	v_cmp_le_u64_e64 s8, v[27:28], v[32:33]
	s_and_b32 s41, s8, exec_lo
.LBB1231_549:
	s_or_b32 exec_lo, exec_lo, s29
	s_orn2_b32 s29, s41, exec_lo
.LBB1231_550:
	s_or_b32 exec_lo, exec_lo, s40
	v_cndmask_b32_e64 v27, v29, v30, s29
	v_cndmask_b32_e64 v28, v181, v167, s29
	s_mov_b32 s41, -1
	s_mov_b32 s40, -1
	s_mov_b32 s42, exec_lo
	v_add_nc_u32_e32 v33, 1, v27
	v_add_nc_u32_e32 v28, -1, v28
	v_lshl_add_u32 v27, v27, 3, v31
	v_cndmask_b32_e64 v32, v33, v29, s29
	v_min_u32_e32 v28, v33, v28
	v_cndmask_b32_e64 v33, v30, v33, s29
	v_lshl_add_u32 v28, v28, 3, v31
	ds_read_b64 v[34:35], v28
	ds_read_b64 v[27:28], v27 offset:32768
	s_waitcnt lgkmcnt(1)
	v_cndmask_b32_e64 v65, v35, v69, s29
	v_cndmask_b32_e64 v64, v34, v68, s29
	;; [unrolled: 1-line block ×4, first 2 shown]
	v_cmpx_lt_u32_e64 v32, v181
	s_cbranch_execz .LBB1231_554
; %bb.551:
	s_mov_b32 s43, 0
	s_mov_b32 s40, exec_lo
	v_cmpx_lt_u32_e64 v33, v167
	s_cbranch_execz .LBB1231_553
; %bb.552:
	v_add_f64 v[29:30], v[134:135], 0
	v_add_f64 v[34:35], v[64:65], 0
	v_ashrrev_i32_e32 v36, 31, v30
	v_ashrrev_i32_e32 v37, 31, v35
	v_or_b32_e32 v38, 0x80000000, v36
	v_or_b32_e32 v39, 0x80000000, v37
	v_xor_b32_e32 v29, v36, v29
	v_xor_b32_e32 v34, v37, v34
	;; [unrolled: 1-line block ×4, first 2 shown]
	v_cmp_le_u64_e64 s8, v[29:30], v[34:35]
	s_and_b32 s43, s8, exec_lo
.LBB1231_553:
	s_or_b32 exec_lo, exec_lo, s40
	s_orn2_b32 s40, s43, exec_lo
.LBB1231_554:
	s_or_b32 exec_lo, exec_lo, s42
	v_cndmask_b32_e64 v29, v32, v33, s40
	v_cndmask_b32_e64 v30, v181, v167, s40
	s_mov_b32 s42, exec_lo
	v_add_nc_u32_e32 v35, 1, v29
	v_add_nc_u32_e32 v30, -1, v30
	v_lshl_add_u32 v29, v29, 3, v31
	v_cndmask_b32_e64 v34, v35, v32, s40
	v_min_u32_e32 v30, v35, v30
	v_cndmask_b32_e64 v35, v33, v35, s40
	v_lshl_add_u32 v30, v30, 3, v31
	ds_read_b64 v[36:37], v30
	ds_read_b64 v[29:30], v29 offset:32768
	s_waitcnt lgkmcnt(1)
	v_cndmask_b32_e64 v55, v37, v65, s40
	v_cndmask_b32_e64 v54, v36, v64, s40
	;; [unrolled: 1-line block ×4, first 2 shown]
	v_cmpx_lt_u32_e64 v34, v181
	s_cbranch_execz .LBB1231_558
; %bb.555:
	s_mov_b32 s43, 0
	s_mov_b32 s41, exec_lo
	v_cmpx_lt_u32_e64 v35, v167
	s_cbranch_execz .LBB1231_557
; %bb.556:
	v_add_f64 v[32:33], v[144:145], 0
	v_add_f64 v[36:37], v[54:55], 0
	v_ashrrev_i32_e32 v38, 31, v33
	v_ashrrev_i32_e32 v39, 31, v37
	v_or_b32_e32 v48, 0x80000000, v38
	v_or_b32_e32 v49, 0x80000000, v39
	v_xor_b32_e32 v32, v38, v32
	v_xor_b32_e32 v36, v39, v36
	;; [unrolled: 1-line block ×4, first 2 shown]
	v_cmp_le_u64_e64 s8, v[32:33], v[36:37]
	s_and_b32 s43, s8, exec_lo
.LBB1231_557:
	s_or_b32 exec_lo, exec_lo, s41
	s_orn2_b32 s41, s43, exec_lo
.LBB1231_558:
	s_or_b32 exec_lo, exec_lo, s42
	v_cndmask_b32_e64 v32, v34, v35, s41
	v_cndmask_b32_e64 v33, v181, v167, s41
	s_mov_b32 s43, -1
	s_mov_b32 s42, -1
	s_mov_b32 s44, exec_lo
	v_add_nc_u32_e32 v37, 1, v32
	v_add_nc_u32_e32 v33, -1, v33
	v_lshl_add_u32 v32, v32, 3, v31
	v_cndmask_b32_e64 v36, v37, v34, s41
	v_min_u32_e32 v33, v37, v33
	v_cndmask_b32_e64 v37, v35, v37, s41
	v_lshl_add_u32 v33, v33, 3, v31
	ds_read_b64 v[38:39], v33
	ds_read_b64 v[32:33], v32 offset:32768
	s_waitcnt lgkmcnt(1)
	v_cndmask_b32_e64 v101, v39, v55, s41
	v_cndmask_b32_e64 v100, v38, v54, s41
	;; [unrolled: 1-line block ×4, first 2 shown]
	v_cmpx_lt_u32_e64 v36, v181
	s_cbranch_execz .LBB1231_562
; %bb.559:
	s_mov_b32 s45, 0
	s_mov_b32 s42, exec_lo
	v_cmpx_lt_u32_e64 v37, v167
	s_cbranch_execz .LBB1231_561
; %bb.560:
	v_add_f64 v[34:35], v[146:147], 0
	v_add_f64 v[38:39], v[100:101], 0
	v_ashrrev_i32_e32 v48, 31, v35
	v_ashrrev_i32_e32 v49, 31, v39
	v_or_b32_e32 v50, 0x80000000, v48
	v_or_b32_e32 v51, 0x80000000, v49
	v_xor_b32_e32 v34, v48, v34
	v_xor_b32_e32 v38, v49, v38
	;; [unrolled: 1-line block ×4, first 2 shown]
	v_cmp_le_u64_e64 s8, v[34:35], v[38:39]
	s_and_b32 s45, s8, exec_lo
.LBB1231_561:
	s_or_b32 exec_lo, exec_lo, s42
	s_orn2_b32 s42, s45, exec_lo
.LBB1231_562:
	s_or_b32 exec_lo, exec_lo, s44
	v_cndmask_b32_e64 v34, v36, v37, s42
	v_cndmask_b32_e64 v35, v181, v167, s42
	s_mov_b32 s44, exec_lo
	v_add_nc_u32_e32 v48, 1, v34
	v_add_nc_u32_e32 v35, -1, v35
	v_lshl_add_u32 v34, v34, 3, v31
	v_cndmask_b32_e64 v36, v48, v36, s42
	v_min_u32_e32 v35, v48, v35
	v_cndmask_b32_e64 v37, v37, v48, s42
	v_lshl_add_u32 v35, v35, 3, v31
	ds_read_b64 v[38:39], v35
	ds_read_b64 v[34:35], v34 offset:32768
	s_waitcnt lgkmcnt(1)
	v_cndmask_b32_e64 v53, v39, v101, s42
	v_cndmask_b32_e64 v52, v38, v100, s42
	;; [unrolled: 1-line block ×4, first 2 shown]
	v_cmpx_lt_u32_e64 v36, v181
	s_cbranch_execz .LBB1231_566
; %bb.563:
	s_mov_b32 s45, 0
	s_mov_b32 s43, exec_lo
	v_cmpx_lt_u32_e64 v37, v167
	s_cbranch_execz .LBB1231_565
; %bb.564:
	v_add_f64 v[38:39], v[148:149], 0
	v_add_f64 v[48:49], v[52:53], 0
	v_ashrrev_i32_e32 v50, 31, v39
	v_ashrrev_i32_e32 v51, 31, v49
	v_or_b32_e32 v66, 0x80000000, v50
	v_or_b32_e32 v67, 0x80000000, v51
	v_xor_b32_e32 v38, v50, v38
	v_xor_b32_e32 v48, v51, v48
	;; [unrolled: 1-line block ×4, first 2 shown]
	v_cmp_le_u64_e64 s8, v[38:39], v[48:49]
	s_and_b32 s45, s8, exec_lo
.LBB1231_565:
	s_or_b32 exec_lo, exec_lo, s43
	s_orn2_b32 s43, s45, exec_lo
.LBB1231_566:
	s_or_b32 exec_lo, exec_lo, s44
	v_cndmask_b32_e64 v38, v36, v37, s43
	v_cndmask_b32_e64 v39, v181, v167, s43
	s_mov_b32 s45, -1
	s_mov_b32 s44, -1
	s_mov_b32 s46, exec_lo
	v_add_nc_u32_e32 v48, 1, v38
	v_add_nc_u32_e32 v39, -1, v39
	v_lshl_add_u32 v38, v38, 3, v31
	v_cndmask_b32_e64 v36, v48, v36, s43
	v_min_u32_e32 v39, v48, v39
	v_cndmask_b32_e64 v37, v37, v48, s43
	v_lshl_add_u32 v39, v39, 3, v31
	ds_read_b64 v[50:51], v39
	ds_read_b64 v[38:39], v38 offset:32768
	s_waitcnt lgkmcnt(1)
	v_cndmask_b32_e64 v49, v51, v53, s43
	v_cndmask_b32_e64 v48, v50, v52, s43
	;; [unrolled: 1-line block ×4, first 2 shown]
	v_cmpx_lt_u32_e64 v36, v181
	s_cbranch_execz .LBB1231_570
; %bb.567:
	s_mov_b32 s47, 0
	s_mov_b32 s44, exec_lo
	v_cmpx_lt_u32_e64 v37, v167
	s_cbranch_execz .LBB1231_569
; %bb.568:
	v_add_f64 v[50:51], v[150:151], 0
	v_add_f64 v[66:67], v[48:49], 0
	v_ashrrev_i32_e32 v160, 31, v51
	v_ashrrev_i32_e32 v161, 31, v67
	v_or_b32_e32 v162, 0x80000000, v160
	v_or_b32_e32 v163, 0x80000000, v161
	v_xor_b32_e32 v50, v160, v50
	v_xor_b32_e32 v66, v161, v66
	;; [unrolled: 1-line block ×4, first 2 shown]
	v_cmp_le_u64_e64 s8, v[50:51], v[66:67]
	s_and_b32 s47, s8, exec_lo
.LBB1231_569:
	s_or_b32 exec_lo, exec_lo, s44
	s_orn2_b32 s44, s47, exec_lo
.LBB1231_570:
	s_or_b32 exec_lo, exec_lo, s46
	v_cndmask_b32_e64 v50, v36, v37, s44
	v_cndmask_b32_e64 v51, v181, v167, s44
	s_mov_b32 s46, exec_lo
	v_add_nc_u32_e32 v66, 1, v50
	v_add_nc_u32_e32 v51, -1, v51
	v_lshl_add_u32 v50, v50, 3, v31
	v_cndmask_b32_e64 v160, v66, v36, s44
	v_min_u32_e32 v51, v66, v51
	v_cndmask_b32_e64 v161, v37, v66, s44
	v_lshl_add_u32 v51, v51, 3, v31
	ds_read_b64 v[162:163], v51
	ds_read_b64 v[50:51], v50 offset:32768
	s_waitcnt lgkmcnt(1)
	v_cndmask_b32_e64 v67, v163, v49, s44
	v_cndmask_b32_e64 v66, v162, v48, s44
	v_cndmask_b32_e64 v165, v151, v163, s44
	v_cndmask_b32_e64 v164, v150, v162, s44
	v_cmpx_lt_u32_e64 v160, v181
	s_cbranch_execz .LBB1231_574
; %bb.571:
	s_mov_b32 s47, 0
	s_mov_b32 s45, exec_lo
	v_cmpx_lt_u32_e64 v161, v167
	s_cbranch_execz .LBB1231_573
; %bb.572:
	v_add_f64 v[36:37], v[164:165], 0
	v_add_f64 v[162:163], v[66:67], 0
	v_ashrrev_i32_e32 v166, 31, v37
	v_ashrrev_i32_e32 v176, 31, v163
	v_or_b32_e32 v177, 0x80000000, v166
	v_or_b32_e32 v178, 0x80000000, v176
	v_xor_b32_e32 v36, v166, v36
	v_xor_b32_e32 v162, v176, v162
	;; [unrolled: 1-line block ×4, first 2 shown]
	v_cmp_le_u64_e64 s8, v[36:37], v[162:163]
	s_and_b32 s47, s8, exec_lo
.LBB1231_573:
	s_or_b32 exec_lo, exec_lo, s45
	s_orn2_b32 s45, s47, exec_lo
.LBB1231_574:
	s_or_b32 exec_lo, exec_lo, s46
	v_cndmask_b32_e64 v36, v160, v161, s45
	v_cndmask_b32_e64 v37, v181, v167, s45
	s_mov_b32 s46, -1
	s_mov_b32 s47, exec_lo
	v_add_nc_u32_e32 v176, 1, v36
	v_add_nc_u32_e32 v37, -1, v37
	v_lshl_add_u32 v36, v36, 3, v31
	v_cndmask_b32_e64 v166, v176, v160, s45
	v_min_u32_e32 v37, v176, v37
	v_cndmask_b32_e64 v176, v161, v176, s45
	v_lshl_add_u32 v37, v37, 3, v31
	ds_read_b64 v[162:163], v37
	ds_read_b64 v[36:37], v36 offset:32768
	s_waitcnt lgkmcnt(1)
	v_cndmask_b32_e64 v161, v163, v67, s45
	v_cndmask_b32_e64 v160, v162, v66, s45
	;; [unrolled: 1-line block ×4, first 2 shown]
	v_cmpx_lt_u32_e64 v166, v181
	s_cbranch_execz .LBB1231_578
; %bb.575:
	s_mov_b32 s56, 0
	s_mov_b32 s46, exec_lo
	v_cmpx_lt_u32_e64 v176, v167
	s_cbranch_execz .LBB1231_577
; %bb.576:
	v_add_f64 v[177:178], v[162:163], 0
	v_add_f64 v[179:180], v[160:161], 0
	v_ashrrev_i32_e32 v167, 31, v178
	v_ashrrev_i32_e32 v181, 31, v180
	v_or_b32_e32 v182, 0x80000000, v167
	v_or_b32_e32 v183, 0x80000000, v181
	v_xor_b32_e32 v177, v167, v177
	v_xor_b32_e32 v179, v181, v179
	;; [unrolled: 1-line block ×4, first 2 shown]
	v_cmp_le_u64_e64 s8, v[177:178], v[179:180]
	s_and_b32 s56, s8, exec_lo
.LBB1231_577:
	s_or_b32 exec_lo, exec_lo, s46
	s_orn2_b32 s46, s56, exec_lo
.LBB1231_578:
	s_or_b32 exec_lo, exec_lo, s47
	v_cndmask_b32_e64 v55, v55, v145, s41
	v_cndmask_b32_e64 v145, v166, v176, s46
	v_cndmask_b32_e64 v71, v71, v103, s28
	v_cndmask_b32_e64 v70, v70, v102, s28
	v_cndmask_b32_e64 v67, v67, v165, s45
	v_cndmask_b32_e64 v66, v66, v164, s45
	v_lshl_add_u32 v31, v145, 3, v31
	v_cndmask_b32_e64 v49, v49, v151, s44
	v_cndmask_b32_e64 v48, v48, v150, s44
	;; [unrolled: 1-line block ×4, first 2 shown]
	ds_read_b64 v[102:103], v31 offset:32768
	v_cndmask_b32_e64 v101, v101, v147, s42
	v_cndmask_b32_e64 v100, v100, v146, s42
	;; [unrolled: 1-line block ×23, first 2 shown]
.LBB1231_579:
	s_or_b32 exec_lo, exec_lo, s12
	v_add_co_u32 v2, s8, v2, v11
	v_add_co_ci_u32_e64 v3, null, v3, v12, s8
	v_add_co_u32 v2, s8, v2, v10
	v_add_co_ci_u32_e64 v3, null, 0, v3, s8
	; wave barrier
	s_waitcnt lgkmcnt(0)
	s_waitcnt_vscnt null, 0x0
	s_barrier
	buffer_gl0_inv
	; wave barrier
	s_and_saveexec_b32 s8, vcc_lo
	s_cbranch_execnz .LBB1231_628
; %bb.580:
	s_or_b32 exec_lo, exec_lo, s8
	s_and_saveexec_b32 s8, s4
	s_cbranch_execnz .LBB1231_629
.LBB1231_581:
	s_or_b32 exec_lo, exec_lo, s8
	s_and_saveexec_b32 s8, s5
	s_cbranch_execnz .LBB1231_630
.LBB1231_582:
	s_or_b32 exec_lo, exec_lo, s8
	s_and_saveexec_b32 s8, s6
	s_cbranch_execnz .LBB1231_631
.LBB1231_583:
	s_or_b32 exec_lo, exec_lo, s8
	s_and_saveexec_b32 s8, s7
	s_cbranch_execnz .LBB1231_632
.LBB1231_584:
	s_or_b32 exec_lo, exec_lo, s8
	s_and_saveexec_b32 s8, s10
	s_cbranch_execnz .LBB1231_633
.LBB1231_585:
	s_or_b32 exec_lo, exec_lo, s8
	s_and_saveexec_b32 s8, s11
	s_cbranch_execnz .LBB1231_634
.LBB1231_586:
	s_or_b32 exec_lo, exec_lo, s8
	s_and_saveexec_b32 s8, s21
	s_cbranch_execnz .LBB1231_635
.LBB1231_587:
	s_or_b32 exec_lo, exec_lo, s8
	s_and_saveexec_b32 s8, s22
	s_cbranch_execnz .LBB1231_636
.LBB1231_588:
	s_or_b32 exec_lo, exec_lo, s8
	s_and_saveexec_b32 s8, s14
	s_cbranch_execnz .LBB1231_637
.LBB1231_589:
	s_or_b32 exec_lo, exec_lo, s8
	s_and_saveexec_b32 s8, s15
	s_cbranch_execnz .LBB1231_638
.LBB1231_590:
	s_or_b32 exec_lo, exec_lo, s8
	s_and_saveexec_b32 s8, s16
	s_cbranch_execnz .LBB1231_639
.LBB1231_591:
	s_or_b32 exec_lo, exec_lo, s8
	s_and_saveexec_b32 s8, s17
	s_cbranch_execnz .LBB1231_640
.LBB1231_592:
	s_or_b32 exec_lo, exec_lo, s8
	s_and_saveexec_b32 s8, s18
	s_cbranch_execnz .LBB1231_641
.LBB1231_593:
	s_or_b32 exec_lo, exec_lo, s8
	s_and_saveexec_b32 s8, s19
	s_cbranch_execnz .LBB1231_642
.LBB1231_594:
	s_or_b32 exec_lo, exec_lo, s8
	s_and_saveexec_b32 s8, s20
	s_cbranch_execz .LBB1231_596
.LBB1231_595:
	flat_store_dwordx2 v[2:3], v[15:16] offset:120
.LBB1231_596:
	s_or_b32 exec_lo, exec_lo, s8
	v_add_co_u32 v2, s8, v6, v11
	v_add_co_ci_u32_e64 v3, null, v7, v12, s8
	v_add_co_u32 v2, s8, v2, v10
	v_add_co_ci_u32_e64 v3, null, 0, v3, s8
	; wave barrier
	s_and_saveexec_b32 s8, vcc_lo
	s_cbranch_execnz .LBB1231_643
; %bb.597:
	s_or_b32 exec_lo, exec_lo, s8
	s_and_saveexec_b32 s8, s4
	s_cbranch_execnz .LBB1231_644
.LBB1231_598:
	s_or_b32 exec_lo, exec_lo, s8
	s_and_saveexec_b32 s4, s5
	s_cbranch_execnz .LBB1231_645
.LBB1231_599:
	s_or_b32 exec_lo, exec_lo, s4
	s_and_saveexec_b32 s4, s6
	s_cbranch_execnz .LBB1231_646
.LBB1231_600:
	s_or_b32 exec_lo, exec_lo, s4
	s_and_saveexec_b32 s4, s7
	s_cbranch_execnz .LBB1231_647
.LBB1231_601:
	s_or_b32 exec_lo, exec_lo, s4
	s_and_saveexec_b32 s4, s10
	s_cbranch_execnz .LBB1231_648
.LBB1231_602:
	s_or_b32 exec_lo, exec_lo, s4
	s_and_saveexec_b32 s4, s11
	s_cbranch_execnz .LBB1231_649
.LBB1231_603:
	s_or_b32 exec_lo, exec_lo, s4
	s_and_saveexec_b32 s4, s21
	s_cbranch_execnz .LBB1231_650
.LBB1231_604:
	s_or_b32 exec_lo, exec_lo, s4
	s_and_saveexec_b32 s4, s22
	s_cbranch_execnz .LBB1231_651
.LBB1231_605:
	s_or_b32 exec_lo, exec_lo, s4
	s_and_saveexec_b32 s4, s14
	s_cbranch_execnz .LBB1231_652
.LBB1231_606:
	s_or_b32 exec_lo, exec_lo, s4
	s_and_saveexec_b32 s4, s15
	s_cbranch_execnz .LBB1231_653
.LBB1231_607:
	s_or_b32 exec_lo, exec_lo, s4
	s_and_saveexec_b32 s4, s16
	s_cbranch_execnz .LBB1231_654
.LBB1231_608:
	s_or_b32 exec_lo, exec_lo, s4
	s_and_saveexec_b32 s4, s17
	s_cbranch_execnz .LBB1231_655
.LBB1231_609:
	s_or_b32 exec_lo, exec_lo, s4
	s_and_saveexec_b32 s4, s18
	s_cbranch_execnz .LBB1231_656
.LBB1231_610:
	s_or_b32 exec_lo, exec_lo, s4
	s_and_saveexec_b32 s4, s19
	s_cbranch_execnz .LBB1231_657
.LBB1231_611:
	s_or_b32 exec_lo, exec_lo, s4
	s_and_saveexec_b32 s4, s20
	s_cbranch_execnz .LBB1231_658
.LBB1231_612:
	s_or_b32 exec_lo, exec_lo, s4
	s_waitcnt lgkmcnt(0)
	s_setpc_b64 s[30:31]
.LBB1231_613:
	flat_load_dwordx2 v[0:1], v[112:113]
	s_or_b32 exec_lo, exec_lo, s23
	s_and_saveexec_b32 s23, s4
                                        ; implicit-def: $vgpr4_vgpr5
	s_cbranch_execz .LBB1231_34
.LBB1231_614:
	flat_load_dwordx2 v[4:5], v[112:113] offset:8
	s_or_b32 exec_lo, exec_lo, s23
                                        ; implicit-def: $vgpr13_vgpr14
	s_and_saveexec_b32 s23, s5
	s_cbranch_execz .LBB1231_35
.LBB1231_615:
	flat_load_dwordx2 v[13:14], v[112:113] offset:16
	s_or_b32 exec_lo, exec_lo, s23
	s_and_saveexec_b32 s23, s6
                                        ; implicit-def: $vgpr17_vgpr18
	s_cbranch_execz .LBB1231_36
.LBB1231_616:
	flat_load_dwordx2 v[17:18], v[112:113] offset:24
	s_or_b32 exec_lo, exec_lo, s23
                                        ; implicit-def: $vgpr19_vgpr20
	s_and_saveexec_b32 s23, s7
	s_cbranch_execz .LBB1231_37
.LBB1231_617:
	flat_load_dwordx2 v[19:20], v[112:113] offset:32
	s_or_b32 exec_lo, exec_lo, s23
	s_and_saveexec_b32 s23, s10
                                        ; implicit-def: $vgpr21_vgpr22
	s_cbranch_execz .LBB1231_38
.LBB1231_618:
	flat_load_dwordx2 v[21:22], v[112:113] offset:40
	s_or_b32 exec_lo, exec_lo, s23
                                        ; implicit-def: $vgpr23_vgpr24
	s_and_saveexec_b32 s23, s11
	s_cbranch_execz .LBB1231_39
.LBB1231_619:
	flat_load_dwordx2 v[23:24], v[112:113] offset:48
	s_or_b32 exec_lo, exec_lo, s23
	s_and_saveexec_b32 s23, s21
                                        ; implicit-def: $vgpr25_vgpr26
	s_cbranch_execz .LBB1231_40
.LBB1231_620:
	flat_load_dwordx2 v[25:26], v[112:113] offset:56
	s_or_b32 exec_lo, exec_lo, s23
                                        ; implicit-def: $vgpr27_vgpr28
	s_and_saveexec_b32 s23, s22
	s_cbranch_execz .LBB1231_41
.LBB1231_621:
	flat_load_dwordx2 v[27:28], v[112:113] offset:64
	s_or_b32 exec_lo, exec_lo, s23
	s_and_saveexec_b32 s23, s14
                                        ; implicit-def: $vgpr29_vgpr30
	s_cbranch_execz .LBB1231_42
.LBB1231_622:
	flat_load_dwordx2 v[29:30], v[112:113] offset:72
	s_or_b32 exec_lo, exec_lo, s23
                                        ; implicit-def: $vgpr32_vgpr33
	s_and_saveexec_b32 s23, s15
	s_cbranch_execz .LBB1231_43
.LBB1231_623:
	flat_load_dwordx2 v[32:33], v[112:113] offset:80
	s_or_b32 exec_lo, exec_lo, s23
	s_and_saveexec_b32 s23, s16
                                        ; implicit-def: $vgpr34_vgpr35
	s_cbranch_execz .LBB1231_44
.LBB1231_624:
	flat_load_dwordx2 v[34:35], v[112:113] offset:88
	s_or_b32 exec_lo, exec_lo, s23
                                        ; implicit-def: $vgpr38_vgpr39
	s_and_saveexec_b32 s23, s17
	s_cbranch_execz .LBB1231_45
.LBB1231_625:
	flat_load_dwordx2 v[38:39], v[112:113] offset:96
	s_or_b32 exec_lo, exec_lo, s23
	s_and_saveexec_b32 s23, s18
                                        ; implicit-def: $vgpr50_vgpr51
	s_cbranch_execz .LBB1231_46
.LBB1231_626:
	flat_load_dwordx2 v[50:51], v[112:113] offset:104
	s_or_b32 exec_lo, exec_lo, s23
                                        ; implicit-def: $vgpr36_vgpr37
	s_and_saveexec_b32 s23, s19
	s_cbranch_execz .LBB1231_47
.LBB1231_627:
	flat_load_dwordx2 v[36:37], v[112:113] offset:112
	s_or_b32 exec_lo, exec_lo, s23
	s_and_saveexec_b32 s23, s20
                                        ; implicit-def: $vgpr102_vgpr103
	s_cbranch_execnz .LBB1231_48
	s_branch .LBB1231_49
.LBB1231_628:
	flat_store_dwordx2 v[2:3], v[8:9]
	s_or_b32 exec_lo, exec_lo, s8
	s_and_saveexec_b32 s8, s4
	s_cbranch_execz .LBB1231_581
.LBB1231_629:
	flat_store_dwordx2 v[2:3], v[84:85] offset:8
	s_or_b32 exec_lo, exec_lo, s8
	s_and_saveexec_b32 s8, s5
	s_cbranch_execz .LBB1231_582
.LBB1231_630:
	flat_store_dwordx2 v[2:3], v[98:99] offset:16
	s_or_b32 exec_lo, exec_lo, s8
	s_and_saveexec_b32 s8, s6
	s_cbranch_execz .LBB1231_583
.LBB1231_631:
	flat_store_dwordx2 v[2:3], v[82:83] offset:24
	s_or_b32 exec_lo, exec_lo, s8
	s_and_saveexec_b32 s8, s7
	s_cbranch_execz .LBB1231_584
.LBB1231_632:
	flat_store_dwordx2 v[2:3], v[96:97] offset:32
	s_or_b32 exec_lo, exec_lo, s8
	s_and_saveexec_b32 s8, s10
	s_cbranch_execz .LBB1231_585
.LBB1231_633:
	flat_store_dwordx2 v[2:3], v[80:81] offset:40
	s_or_b32 exec_lo, exec_lo, s8
	s_and_saveexec_b32 s8, s11
	s_cbranch_execz .LBB1231_586
.LBB1231_634:
	flat_store_dwordx2 v[2:3], v[86:87] offset:48
	s_or_b32 exec_lo, exec_lo, s8
	s_and_saveexec_b32 s8, s21
	s_cbranch_execz .LBB1231_587
.LBB1231_635:
	flat_store_dwordx2 v[2:3], v[70:71] offset:56
	s_or_b32 exec_lo, exec_lo, s8
	s_and_saveexec_b32 s8, s22
	s_cbranch_execz .LBB1231_588
.LBB1231_636:
	flat_store_dwordx2 v[2:3], v[68:69] offset:64
	s_or_b32 exec_lo, exec_lo, s8
	s_and_saveexec_b32 s8, s14
	s_cbranch_execz .LBB1231_589
.LBB1231_637:
	flat_store_dwordx2 v[2:3], v[64:65] offset:72
	s_or_b32 exec_lo, exec_lo, s8
	s_and_saveexec_b32 s8, s15
	s_cbranch_execz .LBB1231_590
.LBB1231_638:
	flat_store_dwordx2 v[2:3], v[54:55] offset:80
	s_or_b32 exec_lo, exec_lo, s8
	s_and_saveexec_b32 s8, s16
	s_cbranch_execz .LBB1231_591
.LBB1231_639:
	flat_store_dwordx2 v[2:3], v[100:101] offset:88
	s_or_b32 exec_lo, exec_lo, s8
	s_and_saveexec_b32 s8, s17
	s_cbranch_execz .LBB1231_592
.LBB1231_640:
	flat_store_dwordx2 v[2:3], v[52:53] offset:96
	s_or_b32 exec_lo, exec_lo, s8
	s_and_saveexec_b32 s8, s18
	s_cbranch_execz .LBB1231_593
.LBB1231_641:
	flat_store_dwordx2 v[2:3], v[48:49] offset:104
	s_or_b32 exec_lo, exec_lo, s8
	s_and_saveexec_b32 s8, s19
	s_cbranch_execz .LBB1231_594
.LBB1231_642:
	flat_store_dwordx2 v[2:3], v[66:67] offset:112
	s_or_b32 exec_lo, exec_lo, s8
	s_and_saveexec_b32 s8, s20
	s_cbranch_execnz .LBB1231_595
	s_branch .LBB1231_596
.LBB1231_643:
	flat_store_dwordx2 v[2:3], v[0:1]
	s_or_b32 exec_lo, exec_lo, s8
	s_and_saveexec_b32 s8, s4
	s_cbranch_execz .LBB1231_598
.LBB1231_644:
	flat_store_dwordx2 v[2:3], v[4:5] offset:8
	s_or_b32 exec_lo, exec_lo, s8
	s_and_saveexec_b32 s4, s5
	s_cbranch_execz .LBB1231_599
.LBB1231_645:
	flat_store_dwordx2 v[2:3], v[13:14] offset:16
	s_or_b32 exec_lo, exec_lo, s4
	s_and_saveexec_b32 s4, s6
	s_cbranch_execz .LBB1231_600
.LBB1231_646:
	flat_store_dwordx2 v[2:3], v[17:18] offset:24
	s_or_b32 exec_lo, exec_lo, s4
	s_and_saveexec_b32 s4, s7
	s_cbranch_execz .LBB1231_601
.LBB1231_647:
	flat_store_dwordx2 v[2:3], v[19:20] offset:32
	s_or_b32 exec_lo, exec_lo, s4
	s_and_saveexec_b32 s4, s10
	s_cbranch_execz .LBB1231_602
.LBB1231_648:
	flat_store_dwordx2 v[2:3], v[21:22] offset:40
	s_or_b32 exec_lo, exec_lo, s4
	s_and_saveexec_b32 s4, s11
	s_cbranch_execz .LBB1231_603
.LBB1231_649:
	flat_store_dwordx2 v[2:3], v[23:24] offset:48
	s_or_b32 exec_lo, exec_lo, s4
	s_and_saveexec_b32 s4, s21
	s_cbranch_execz .LBB1231_604
.LBB1231_650:
	flat_store_dwordx2 v[2:3], v[25:26] offset:56
	s_or_b32 exec_lo, exec_lo, s4
	s_and_saveexec_b32 s4, s22
	s_cbranch_execz .LBB1231_605
.LBB1231_651:
	flat_store_dwordx2 v[2:3], v[27:28] offset:64
	s_or_b32 exec_lo, exec_lo, s4
	s_and_saveexec_b32 s4, s14
	s_cbranch_execz .LBB1231_606
.LBB1231_652:
	flat_store_dwordx2 v[2:3], v[29:30] offset:72
	s_or_b32 exec_lo, exec_lo, s4
	s_and_saveexec_b32 s4, s15
	s_cbranch_execz .LBB1231_607
.LBB1231_653:
	flat_store_dwordx2 v[2:3], v[32:33] offset:80
	s_or_b32 exec_lo, exec_lo, s4
	s_and_saveexec_b32 s4, s16
	s_cbranch_execz .LBB1231_608
.LBB1231_654:
	flat_store_dwordx2 v[2:3], v[34:35] offset:88
	s_or_b32 exec_lo, exec_lo, s4
	s_and_saveexec_b32 s4, s17
	s_cbranch_execz .LBB1231_609
.LBB1231_655:
	flat_store_dwordx2 v[2:3], v[38:39] offset:96
	s_or_b32 exec_lo, exec_lo, s4
	s_and_saveexec_b32 s4, s18
	s_cbranch_execz .LBB1231_610
.LBB1231_656:
	flat_store_dwordx2 v[2:3], v[50:51] offset:104
	s_or_b32 exec_lo, exec_lo, s4
	s_and_saveexec_b32 s4, s19
	s_cbranch_execz .LBB1231_611
.LBB1231_657:
	flat_store_dwordx2 v[2:3], v[36:37] offset:112
	s_or_b32 exec_lo, exec_lo, s4
	s_and_saveexec_b32 s4, s20
	s_cbranch_execz .LBB1231_612
.LBB1231_658:
	flat_store_dwordx2 v[2:3], v[102:103] offset:120
	s_or_b32 exec_lo, exec_lo, s4
	s_waitcnt lgkmcnt(0)
	s_setpc_b64 s[30:31]
.Lfunc_end1231:
	.size	_ZN7rocprim17ROCPRIM_400000_NS6detail26segmented_warp_sort_helperINS1_20WarpSortHelperConfigILj16ELj16ELj256EEEdlLi256ELb0EvE4sortIPKdPdPKlPlEEvT_T0_T1_T2_jjjjRNS5_12storage_typeE, .Lfunc_end1231-_ZN7rocprim17ROCPRIM_400000_NS6detail26segmented_warp_sort_helperINS1_20WarpSortHelperConfigILj16ELj16ELj256EEEdlLi256ELb0EvE4sortIPKdPdPKlPlEEvT_T0_T1_T2_jjjjRNS5_12storage_typeE
                                        ; -- End function
	.set .L_ZN7rocprim17ROCPRIM_400000_NS6detail26segmented_warp_sort_helperINS1_20WarpSortHelperConfigILj16ELj16ELj256EEEdlLi256ELb0EvE4sortIPKdPdPKlPlEEvT_T0_T1_T2_jjjjRNS5_12storage_typeE.num_vgpr, 212
	.set .L_ZN7rocprim17ROCPRIM_400000_NS6detail26segmented_warp_sort_helperINS1_20WarpSortHelperConfigILj16ELj16ELj256EEEdlLi256ELb0EvE4sortIPKdPdPKlPlEEvT_T0_T1_T2_jjjjRNS5_12storage_typeE.num_agpr, 0
	.set .L_ZN7rocprim17ROCPRIM_400000_NS6detail26segmented_warp_sort_helperINS1_20WarpSortHelperConfigILj16ELj16ELj256EEEdlLi256ELb0EvE4sortIPKdPdPKlPlEEvT_T0_T1_T2_jjjjRNS5_12storage_typeE.numbered_sgpr, 57
	.set .L_ZN7rocprim17ROCPRIM_400000_NS6detail26segmented_warp_sort_helperINS1_20WarpSortHelperConfigILj16ELj16ELj256EEEdlLi256ELb0EvE4sortIPKdPdPKlPlEEvT_T0_T1_T2_jjjjRNS5_12storage_typeE.num_named_barrier, 0
	.set .L_ZN7rocprim17ROCPRIM_400000_NS6detail26segmented_warp_sort_helperINS1_20WarpSortHelperConfigILj16ELj16ELj256EEEdlLi256ELb0EvE4sortIPKdPdPKlPlEEvT_T0_T1_T2_jjjjRNS5_12storage_typeE.private_seg_size, 0
	.set .L_ZN7rocprim17ROCPRIM_400000_NS6detail26segmented_warp_sort_helperINS1_20WarpSortHelperConfigILj16ELj16ELj256EEEdlLi256ELb0EvE4sortIPKdPdPKlPlEEvT_T0_T1_T2_jjjjRNS5_12storage_typeE.uses_vcc, 1
	.set .L_ZN7rocprim17ROCPRIM_400000_NS6detail26segmented_warp_sort_helperINS1_20WarpSortHelperConfigILj16ELj16ELj256EEEdlLi256ELb0EvE4sortIPKdPdPKlPlEEvT_T0_T1_T2_jjjjRNS5_12storage_typeE.uses_flat_scratch, 0
	.set .L_ZN7rocprim17ROCPRIM_400000_NS6detail26segmented_warp_sort_helperINS1_20WarpSortHelperConfigILj16ELj16ELj256EEEdlLi256ELb0EvE4sortIPKdPdPKlPlEEvT_T0_T1_T2_jjjjRNS5_12storage_typeE.has_dyn_sized_stack, 0
	.set .L_ZN7rocprim17ROCPRIM_400000_NS6detail26segmented_warp_sort_helperINS1_20WarpSortHelperConfigILj16ELj16ELj256EEEdlLi256ELb0EvE4sortIPKdPdPKlPlEEvT_T0_T1_T2_jjjjRNS5_12storage_typeE.has_recursion, 0
	.set .L_ZN7rocprim17ROCPRIM_400000_NS6detail26segmented_warp_sort_helperINS1_20WarpSortHelperConfigILj16ELj16ELj256EEEdlLi256ELb0EvE4sortIPKdPdPKlPlEEvT_T0_T1_T2_jjjjRNS5_12storage_typeE.has_indirect_call, 0
	.section	.AMDGPU.csdata,"",@progbits
; Function info:
; codeLenInByte = 35128
; TotalNumSgprs: 59
; NumVgprs: 212
; ScratchSize: 0
; MemoryBound: 0
	.section	.text._ZN7rocprim17ROCPRIM_400000_NS6detail17trampoline_kernelINS0_14default_configENS1_36segmented_radix_sort_config_selectorIdlEEZNS1_25segmented_radix_sort_implIS3_Lb0EPKdPdPKlPlN2at6native12_GLOBAL__N_18offset_tEEE10hipError_tPvRmT1_PNSt15iterator_traitsISK_E10value_typeET2_T3_PNSL_ISQ_E10value_typeET4_jRbjT5_SW_jjP12ihipStream_tbEUlT_E0_NS1_11comp_targetILNS1_3genE8ELNS1_11target_archE1030ELNS1_3gpuE2ELNS1_3repE0EEENS1_60segmented_radix_sort_warp_sort_medium_config_static_selectorELNS0_4arch9wavefront6targetE0EEEvSK_,"axG",@progbits,_ZN7rocprim17ROCPRIM_400000_NS6detail17trampoline_kernelINS0_14default_configENS1_36segmented_radix_sort_config_selectorIdlEEZNS1_25segmented_radix_sort_implIS3_Lb0EPKdPdPKlPlN2at6native12_GLOBAL__N_18offset_tEEE10hipError_tPvRmT1_PNSt15iterator_traitsISK_E10value_typeET2_T3_PNSL_ISQ_E10value_typeET4_jRbjT5_SW_jjP12ihipStream_tbEUlT_E0_NS1_11comp_targetILNS1_3genE8ELNS1_11target_archE1030ELNS1_3gpuE2ELNS1_3repE0EEENS1_60segmented_radix_sort_warp_sort_medium_config_static_selectorELNS0_4arch9wavefront6targetE0EEEvSK_,comdat
	.globl	_ZN7rocprim17ROCPRIM_400000_NS6detail17trampoline_kernelINS0_14default_configENS1_36segmented_radix_sort_config_selectorIdlEEZNS1_25segmented_radix_sort_implIS3_Lb0EPKdPdPKlPlN2at6native12_GLOBAL__N_18offset_tEEE10hipError_tPvRmT1_PNSt15iterator_traitsISK_E10value_typeET2_T3_PNSL_ISQ_E10value_typeET4_jRbjT5_SW_jjP12ihipStream_tbEUlT_E0_NS1_11comp_targetILNS1_3genE8ELNS1_11target_archE1030ELNS1_3gpuE2ELNS1_3repE0EEENS1_60segmented_radix_sort_warp_sort_medium_config_static_selectorELNS0_4arch9wavefront6targetE0EEEvSK_ ; -- Begin function _ZN7rocprim17ROCPRIM_400000_NS6detail17trampoline_kernelINS0_14default_configENS1_36segmented_radix_sort_config_selectorIdlEEZNS1_25segmented_radix_sort_implIS3_Lb0EPKdPdPKlPlN2at6native12_GLOBAL__N_18offset_tEEE10hipError_tPvRmT1_PNSt15iterator_traitsISK_E10value_typeET2_T3_PNSL_ISQ_E10value_typeET4_jRbjT5_SW_jjP12ihipStream_tbEUlT_E0_NS1_11comp_targetILNS1_3genE8ELNS1_11target_archE1030ELNS1_3gpuE2ELNS1_3repE0EEENS1_60segmented_radix_sort_warp_sort_medium_config_static_selectorELNS0_4arch9wavefront6targetE0EEEvSK_
	.p2align	8
	.type	_ZN7rocprim17ROCPRIM_400000_NS6detail17trampoline_kernelINS0_14default_configENS1_36segmented_radix_sort_config_selectorIdlEEZNS1_25segmented_radix_sort_implIS3_Lb0EPKdPdPKlPlN2at6native12_GLOBAL__N_18offset_tEEE10hipError_tPvRmT1_PNSt15iterator_traitsISK_E10value_typeET2_T3_PNSL_ISQ_E10value_typeET4_jRbjT5_SW_jjP12ihipStream_tbEUlT_E0_NS1_11comp_targetILNS1_3genE8ELNS1_11target_archE1030ELNS1_3gpuE2ELNS1_3repE0EEENS1_60segmented_radix_sort_warp_sort_medium_config_static_selectorELNS0_4arch9wavefront6targetE0EEEvSK_,@function
_ZN7rocprim17ROCPRIM_400000_NS6detail17trampoline_kernelINS0_14default_configENS1_36segmented_radix_sort_config_selectorIdlEEZNS1_25segmented_radix_sort_implIS3_Lb0EPKdPdPKlPlN2at6native12_GLOBAL__N_18offset_tEEE10hipError_tPvRmT1_PNSt15iterator_traitsISK_E10value_typeET2_T3_PNSL_ISQ_E10value_typeET4_jRbjT5_SW_jjP12ihipStream_tbEUlT_E0_NS1_11comp_targetILNS1_3genE8ELNS1_11target_archE1030ELNS1_3gpuE2ELNS1_3repE0EEENS1_60segmented_radix_sort_warp_sort_medium_config_static_selectorELNS0_4arch9wavefront6targetE0EEEvSK_: ; @_ZN7rocprim17ROCPRIM_400000_NS6detail17trampoline_kernelINS0_14default_configENS1_36segmented_radix_sort_config_selectorIdlEEZNS1_25segmented_radix_sort_implIS3_Lb0EPKdPdPKlPlN2at6native12_GLOBAL__N_18offset_tEEE10hipError_tPvRmT1_PNSt15iterator_traitsISK_E10value_typeET2_T3_PNSL_ISQ_E10value_typeET4_jRbjT5_SW_jjP12ihipStream_tbEUlT_E0_NS1_11comp_targetILNS1_3genE8ELNS1_11target_archE1030ELNS1_3gpuE2ELNS1_3repE0EEENS1_60segmented_radix_sort_warp_sort_medium_config_static_selectorELNS0_4arch9wavefront6targetE0EEEvSK_
; %bb.0:
	s_add_u32 s0, s0, s8
	s_load_dword s8, s[4:5], 0x64
	s_addc_u32 s1, s1, 0
	s_mov_b32 s32, 0
	s_waitcnt lgkmcnt(0)
	s_lshr_b32 s9, s8, 16
	s_and_b32 s8, s8, 0xffff
	v_mad_u32_u24 v3, v2, s9, v1
	s_load_dword s9, s[4:5], 0x34
	v_mad_u64_u32 v[3:4], null, v3, s8, v[0:1]
	s_mov_b32 s8, exec_lo
	v_lshrrev_b32_e32 v3, 4, v3
	v_lshl_add_u32 v3, s6, 4, v3
	s_waitcnt lgkmcnt(0)
	v_cmpx_gt_u32_e64 s9, v3
	s_cbranch_execz .LBB1232_6
; %bb.1:
	s_clause 0x1
	s_load_dwordx2 s[12:13], s[4:5], 0x38
	s_load_dwordx4 s[8:11], s[4:5], 0x40
	v_mov_b32_e32 v4, 0
	v_lshlrev_b64 v[3:4], 2, v[3:4]
	s_waitcnt lgkmcnt(0)
	v_add_co_u32 v3, vcc_lo, s12, v3
	v_add_co_ci_u32_e64 v4, null, s13, v4, vcc_lo
	global_load_dword v3, v[3:4], off
	s_waitcnt vmcnt(0)
	v_add_nc_u32_e32 v4, s9, v3
	v_add_nc_u32_e32 v3, s11, v3
	v_mul_lo_u32 v40, v4, s8
	v_mul_lo_u32 v41, v3, s10
	v_cmp_gt_u32_e32 vcc_lo, v41, v40
	s_and_b32 exec_lo, exec_lo, vcc_lo
	s_cbranch_execz .LBB1232_6
; %bb.2:
	s_clause 0x2
	s_load_dword s8, s[4:5], 0x30
	s_load_dwordx4 s[36:39], s[4:5], 0x20
	s_load_dwordx8 s[48:55], s[4:5], 0x0
	v_lshlrev_b32_e32 v43, 20, v2
	v_lshlrev_b32_e32 v44, 10, v1
	s_waitcnt lgkmcnt(0)
	s_bitcmp0_b32 s8, 0
	s_mov_b32 s8, -1
	s_cbranch_scc0 .LBB1232_4
; %bb.3:
	v_or3_b32 v31, v0, v44, v43
	v_mov_b32_e32 v42, v0
	v_mov_b32_e32 v0, s48
	;; [unrolled: 1-line block ×11, first 2 shown]
	s_add_u32 s8, s4, 0x58
	s_addc_u32 s9, s5, 0
	s_getpc_b64 s[10:11]
	s_add_u32 s10, s10, _ZN7rocprim17ROCPRIM_400000_NS6detail26segmented_warp_sort_helperINS1_20WarpSortHelperConfigILj16ELj16ELj256EEEdlLi256ELb0EvE4sortIPKdPdPKlPlEEvT_T0_T1_T2_jjjjRNS5_12storage_typeE@rel32@lo+4
	s_addc_u32 s11, s11, _ZN7rocprim17ROCPRIM_400000_NS6detail26segmented_warp_sort_helperINS1_20WarpSortHelperConfigILj16ELj16ELj256EEEdlLi256ELb0EvE4sortIPKdPdPKlPlEEvT_T0_T1_T2_jjjjRNS5_12storage_typeE@rel32@hi+12
	s_mov_b32 s12, s6
	s_mov_b32 s13, s7
	s_mov_b64 s[34:35], s[4:5]
	s_mov_b32 s33, s7
	s_mov_b32 s36, s6
	s_swappc_b64 s[30:31], s[10:11]
	v_mov_b32_e32 v0, v42
	s_mov_b32 s6, s36
	s_mov_b32 s7, s33
	s_mov_b64 s[4:5], s[34:35]
	s_mov_b32 s8, 0
.LBB1232_4:
	s_andn2_b32 vcc_lo, exec_lo, s8
	s_cbranch_vccnz .LBB1232_6
; %bb.5:
	v_or3_b32 v31, v0, v44, v43
	v_mov_b32_e32 v0, s48
	v_mov_b32_e32 v1, s49
	;; [unrolled: 1-line block ×10, first 2 shown]
	s_add_u32 s8, s4, 0x58
	s_addc_u32 s9, s5, 0
	s_getpc_b64 s[4:5]
	s_add_u32 s4, s4, _ZN7rocprim17ROCPRIM_400000_NS6detail26segmented_warp_sort_helperINS1_20WarpSortHelperConfigILj16ELj16ELj256EEEdlLi256ELb0EvE4sortIPKdPdPKlPlEEvT_T0_T1_T2_jjjjRNS5_12storage_typeE@rel32@lo+4
	s_addc_u32 s5, s5, _ZN7rocprim17ROCPRIM_400000_NS6detail26segmented_warp_sort_helperINS1_20WarpSortHelperConfigILj16ELj16ELj256EEEdlLi256ELb0EvE4sortIPKdPdPKlPlEEvT_T0_T1_T2_jjjjRNS5_12storage_typeE@rel32@hi+12
	s_mov_b32 s12, s6
	s_mov_b32 s13, s7
	s_swappc_b64 s[30:31], s[4:5]
.LBB1232_6:
	s_endpgm
	.section	.rodata,"a",@progbits
	.p2align	6, 0x0
	.amdhsa_kernel _ZN7rocprim17ROCPRIM_400000_NS6detail17trampoline_kernelINS0_14default_configENS1_36segmented_radix_sort_config_selectorIdlEEZNS1_25segmented_radix_sort_implIS3_Lb0EPKdPdPKlPlN2at6native12_GLOBAL__N_18offset_tEEE10hipError_tPvRmT1_PNSt15iterator_traitsISK_E10value_typeET2_T3_PNSL_ISQ_E10value_typeET4_jRbjT5_SW_jjP12ihipStream_tbEUlT_E0_NS1_11comp_targetILNS1_3genE8ELNS1_11target_archE1030ELNS1_3gpuE2ELNS1_3repE0EEENS1_60segmented_radix_sort_warp_sort_medium_config_static_selectorELNS0_4arch9wavefront6targetE0EEEvSK_
		.amdhsa_group_segment_fixed_size 65536
		.amdhsa_private_segment_fixed_size 0
		.amdhsa_kernarg_size 344
		.amdhsa_user_sgpr_count 6
		.amdhsa_user_sgpr_private_segment_buffer 1
		.amdhsa_user_sgpr_dispatch_ptr 0
		.amdhsa_user_sgpr_queue_ptr 0
		.amdhsa_user_sgpr_kernarg_segment_ptr 1
		.amdhsa_user_sgpr_dispatch_id 0
		.amdhsa_user_sgpr_flat_scratch_init 0
		.amdhsa_user_sgpr_private_segment_size 0
		.amdhsa_wavefront_size32 1
		.amdhsa_uses_dynamic_stack 0
		.amdhsa_system_sgpr_private_segment_wavefront_offset 0
		.amdhsa_system_sgpr_workgroup_id_x 1
		.amdhsa_system_sgpr_workgroup_id_y 1
		.amdhsa_system_sgpr_workgroup_id_z 0
		.amdhsa_system_sgpr_workgroup_info 0
		.amdhsa_system_vgpr_workitem_id 2
		.amdhsa_next_free_vgpr 212
		.amdhsa_next_free_sgpr 57
		.amdhsa_reserve_vcc 1
		.amdhsa_reserve_flat_scratch 0
		.amdhsa_float_round_mode_32 0
		.amdhsa_float_round_mode_16_64 0
		.amdhsa_float_denorm_mode_32 3
		.amdhsa_float_denorm_mode_16_64 3
		.amdhsa_dx10_clamp 1
		.amdhsa_ieee_mode 1
		.amdhsa_fp16_overflow 0
		.amdhsa_workgroup_processor_mode 1
		.amdhsa_memory_ordered 1
		.amdhsa_forward_progress 1
		.amdhsa_shared_vgpr_count 0
		.amdhsa_exception_fp_ieee_invalid_op 0
		.amdhsa_exception_fp_denorm_src 0
		.amdhsa_exception_fp_ieee_div_zero 0
		.amdhsa_exception_fp_ieee_overflow 0
		.amdhsa_exception_fp_ieee_underflow 0
		.amdhsa_exception_fp_ieee_inexact 0
		.amdhsa_exception_int_div_zero 0
	.end_amdhsa_kernel
	.section	.text._ZN7rocprim17ROCPRIM_400000_NS6detail17trampoline_kernelINS0_14default_configENS1_36segmented_radix_sort_config_selectorIdlEEZNS1_25segmented_radix_sort_implIS3_Lb0EPKdPdPKlPlN2at6native12_GLOBAL__N_18offset_tEEE10hipError_tPvRmT1_PNSt15iterator_traitsISK_E10value_typeET2_T3_PNSL_ISQ_E10value_typeET4_jRbjT5_SW_jjP12ihipStream_tbEUlT_E0_NS1_11comp_targetILNS1_3genE8ELNS1_11target_archE1030ELNS1_3gpuE2ELNS1_3repE0EEENS1_60segmented_radix_sort_warp_sort_medium_config_static_selectorELNS0_4arch9wavefront6targetE0EEEvSK_,"axG",@progbits,_ZN7rocprim17ROCPRIM_400000_NS6detail17trampoline_kernelINS0_14default_configENS1_36segmented_radix_sort_config_selectorIdlEEZNS1_25segmented_radix_sort_implIS3_Lb0EPKdPdPKlPlN2at6native12_GLOBAL__N_18offset_tEEE10hipError_tPvRmT1_PNSt15iterator_traitsISK_E10value_typeET2_T3_PNSL_ISQ_E10value_typeET4_jRbjT5_SW_jjP12ihipStream_tbEUlT_E0_NS1_11comp_targetILNS1_3genE8ELNS1_11target_archE1030ELNS1_3gpuE2ELNS1_3repE0EEENS1_60segmented_radix_sort_warp_sort_medium_config_static_selectorELNS0_4arch9wavefront6targetE0EEEvSK_,comdat
.Lfunc_end1232:
	.size	_ZN7rocprim17ROCPRIM_400000_NS6detail17trampoline_kernelINS0_14default_configENS1_36segmented_radix_sort_config_selectorIdlEEZNS1_25segmented_radix_sort_implIS3_Lb0EPKdPdPKlPlN2at6native12_GLOBAL__N_18offset_tEEE10hipError_tPvRmT1_PNSt15iterator_traitsISK_E10value_typeET2_T3_PNSL_ISQ_E10value_typeET4_jRbjT5_SW_jjP12ihipStream_tbEUlT_E0_NS1_11comp_targetILNS1_3genE8ELNS1_11target_archE1030ELNS1_3gpuE2ELNS1_3repE0EEENS1_60segmented_radix_sort_warp_sort_medium_config_static_selectorELNS0_4arch9wavefront6targetE0EEEvSK_, .Lfunc_end1232-_ZN7rocprim17ROCPRIM_400000_NS6detail17trampoline_kernelINS0_14default_configENS1_36segmented_radix_sort_config_selectorIdlEEZNS1_25segmented_radix_sort_implIS3_Lb0EPKdPdPKlPlN2at6native12_GLOBAL__N_18offset_tEEE10hipError_tPvRmT1_PNSt15iterator_traitsISK_E10value_typeET2_T3_PNSL_ISQ_E10value_typeET4_jRbjT5_SW_jjP12ihipStream_tbEUlT_E0_NS1_11comp_targetILNS1_3genE8ELNS1_11target_archE1030ELNS1_3gpuE2ELNS1_3repE0EEENS1_60segmented_radix_sort_warp_sort_medium_config_static_selectorELNS0_4arch9wavefront6targetE0EEEvSK_
                                        ; -- End function
	.set _ZN7rocprim17ROCPRIM_400000_NS6detail17trampoline_kernelINS0_14default_configENS1_36segmented_radix_sort_config_selectorIdlEEZNS1_25segmented_radix_sort_implIS3_Lb0EPKdPdPKlPlN2at6native12_GLOBAL__N_18offset_tEEE10hipError_tPvRmT1_PNSt15iterator_traitsISK_E10value_typeET2_T3_PNSL_ISQ_E10value_typeET4_jRbjT5_SW_jjP12ihipStream_tbEUlT_E0_NS1_11comp_targetILNS1_3genE8ELNS1_11target_archE1030ELNS1_3gpuE2ELNS1_3repE0EEENS1_60segmented_radix_sort_warp_sort_medium_config_static_selectorELNS0_4arch9wavefront6targetE0EEEvSK_.num_vgpr, max(45, .L_ZN7rocprim17ROCPRIM_400000_NS6detail26segmented_warp_sort_helperINS1_20WarpSortHelperConfigILj16ELj16ELj256EEEdlLi256ELb0EvE4sortIPKdPdPKlPlEEvT_T0_T1_T2_jjjjRNS5_12storage_typeE.num_vgpr)
	.set _ZN7rocprim17ROCPRIM_400000_NS6detail17trampoline_kernelINS0_14default_configENS1_36segmented_radix_sort_config_selectorIdlEEZNS1_25segmented_radix_sort_implIS3_Lb0EPKdPdPKlPlN2at6native12_GLOBAL__N_18offset_tEEE10hipError_tPvRmT1_PNSt15iterator_traitsISK_E10value_typeET2_T3_PNSL_ISQ_E10value_typeET4_jRbjT5_SW_jjP12ihipStream_tbEUlT_E0_NS1_11comp_targetILNS1_3genE8ELNS1_11target_archE1030ELNS1_3gpuE2ELNS1_3repE0EEENS1_60segmented_radix_sort_warp_sort_medium_config_static_selectorELNS0_4arch9wavefront6targetE0EEEvSK_.num_agpr, max(0, .L_ZN7rocprim17ROCPRIM_400000_NS6detail26segmented_warp_sort_helperINS1_20WarpSortHelperConfigILj16ELj16ELj256EEEdlLi256ELb0EvE4sortIPKdPdPKlPlEEvT_T0_T1_T2_jjjjRNS5_12storage_typeE.num_agpr)
	.set _ZN7rocprim17ROCPRIM_400000_NS6detail17trampoline_kernelINS0_14default_configENS1_36segmented_radix_sort_config_selectorIdlEEZNS1_25segmented_radix_sort_implIS3_Lb0EPKdPdPKlPlN2at6native12_GLOBAL__N_18offset_tEEE10hipError_tPvRmT1_PNSt15iterator_traitsISK_E10value_typeET2_T3_PNSL_ISQ_E10value_typeET4_jRbjT5_SW_jjP12ihipStream_tbEUlT_E0_NS1_11comp_targetILNS1_3genE8ELNS1_11target_archE1030ELNS1_3gpuE2ELNS1_3repE0EEENS1_60segmented_radix_sort_warp_sort_medium_config_static_selectorELNS0_4arch9wavefront6targetE0EEEvSK_.numbered_sgpr, max(56, .L_ZN7rocprim17ROCPRIM_400000_NS6detail26segmented_warp_sort_helperINS1_20WarpSortHelperConfigILj16ELj16ELj256EEEdlLi256ELb0EvE4sortIPKdPdPKlPlEEvT_T0_T1_T2_jjjjRNS5_12storage_typeE.numbered_sgpr)
	.set _ZN7rocprim17ROCPRIM_400000_NS6detail17trampoline_kernelINS0_14default_configENS1_36segmented_radix_sort_config_selectorIdlEEZNS1_25segmented_radix_sort_implIS3_Lb0EPKdPdPKlPlN2at6native12_GLOBAL__N_18offset_tEEE10hipError_tPvRmT1_PNSt15iterator_traitsISK_E10value_typeET2_T3_PNSL_ISQ_E10value_typeET4_jRbjT5_SW_jjP12ihipStream_tbEUlT_E0_NS1_11comp_targetILNS1_3genE8ELNS1_11target_archE1030ELNS1_3gpuE2ELNS1_3repE0EEENS1_60segmented_radix_sort_warp_sort_medium_config_static_selectorELNS0_4arch9wavefront6targetE0EEEvSK_.num_named_barrier, max(0, .L_ZN7rocprim17ROCPRIM_400000_NS6detail26segmented_warp_sort_helperINS1_20WarpSortHelperConfigILj16ELj16ELj256EEEdlLi256ELb0EvE4sortIPKdPdPKlPlEEvT_T0_T1_T2_jjjjRNS5_12storage_typeE.num_named_barrier)
	.set _ZN7rocprim17ROCPRIM_400000_NS6detail17trampoline_kernelINS0_14default_configENS1_36segmented_radix_sort_config_selectorIdlEEZNS1_25segmented_radix_sort_implIS3_Lb0EPKdPdPKlPlN2at6native12_GLOBAL__N_18offset_tEEE10hipError_tPvRmT1_PNSt15iterator_traitsISK_E10value_typeET2_T3_PNSL_ISQ_E10value_typeET4_jRbjT5_SW_jjP12ihipStream_tbEUlT_E0_NS1_11comp_targetILNS1_3genE8ELNS1_11target_archE1030ELNS1_3gpuE2ELNS1_3repE0EEENS1_60segmented_radix_sort_warp_sort_medium_config_static_selectorELNS0_4arch9wavefront6targetE0EEEvSK_.private_seg_size, 0+max(.L_ZN7rocprim17ROCPRIM_400000_NS6detail26segmented_warp_sort_helperINS1_20WarpSortHelperConfigILj16ELj16ELj256EEEdlLi256ELb0EvE4sortIPKdPdPKlPlEEvT_T0_T1_T2_jjjjRNS5_12storage_typeE.private_seg_size)
	.set _ZN7rocprim17ROCPRIM_400000_NS6detail17trampoline_kernelINS0_14default_configENS1_36segmented_radix_sort_config_selectorIdlEEZNS1_25segmented_radix_sort_implIS3_Lb0EPKdPdPKlPlN2at6native12_GLOBAL__N_18offset_tEEE10hipError_tPvRmT1_PNSt15iterator_traitsISK_E10value_typeET2_T3_PNSL_ISQ_E10value_typeET4_jRbjT5_SW_jjP12ihipStream_tbEUlT_E0_NS1_11comp_targetILNS1_3genE8ELNS1_11target_archE1030ELNS1_3gpuE2ELNS1_3repE0EEENS1_60segmented_radix_sort_warp_sort_medium_config_static_selectorELNS0_4arch9wavefront6targetE0EEEvSK_.uses_vcc, or(1, .L_ZN7rocprim17ROCPRIM_400000_NS6detail26segmented_warp_sort_helperINS1_20WarpSortHelperConfigILj16ELj16ELj256EEEdlLi256ELb0EvE4sortIPKdPdPKlPlEEvT_T0_T1_T2_jjjjRNS5_12storage_typeE.uses_vcc)
	.set _ZN7rocprim17ROCPRIM_400000_NS6detail17trampoline_kernelINS0_14default_configENS1_36segmented_radix_sort_config_selectorIdlEEZNS1_25segmented_radix_sort_implIS3_Lb0EPKdPdPKlPlN2at6native12_GLOBAL__N_18offset_tEEE10hipError_tPvRmT1_PNSt15iterator_traitsISK_E10value_typeET2_T3_PNSL_ISQ_E10value_typeET4_jRbjT5_SW_jjP12ihipStream_tbEUlT_E0_NS1_11comp_targetILNS1_3genE8ELNS1_11target_archE1030ELNS1_3gpuE2ELNS1_3repE0EEENS1_60segmented_radix_sort_warp_sort_medium_config_static_selectorELNS0_4arch9wavefront6targetE0EEEvSK_.uses_flat_scratch, or(0, .L_ZN7rocprim17ROCPRIM_400000_NS6detail26segmented_warp_sort_helperINS1_20WarpSortHelperConfigILj16ELj16ELj256EEEdlLi256ELb0EvE4sortIPKdPdPKlPlEEvT_T0_T1_T2_jjjjRNS5_12storage_typeE.uses_flat_scratch)
	.set _ZN7rocprim17ROCPRIM_400000_NS6detail17trampoline_kernelINS0_14default_configENS1_36segmented_radix_sort_config_selectorIdlEEZNS1_25segmented_radix_sort_implIS3_Lb0EPKdPdPKlPlN2at6native12_GLOBAL__N_18offset_tEEE10hipError_tPvRmT1_PNSt15iterator_traitsISK_E10value_typeET2_T3_PNSL_ISQ_E10value_typeET4_jRbjT5_SW_jjP12ihipStream_tbEUlT_E0_NS1_11comp_targetILNS1_3genE8ELNS1_11target_archE1030ELNS1_3gpuE2ELNS1_3repE0EEENS1_60segmented_radix_sort_warp_sort_medium_config_static_selectorELNS0_4arch9wavefront6targetE0EEEvSK_.has_dyn_sized_stack, or(0, .L_ZN7rocprim17ROCPRIM_400000_NS6detail26segmented_warp_sort_helperINS1_20WarpSortHelperConfigILj16ELj16ELj256EEEdlLi256ELb0EvE4sortIPKdPdPKlPlEEvT_T0_T1_T2_jjjjRNS5_12storage_typeE.has_dyn_sized_stack)
	.set _ZN7rocprim17ROCPRIM_400000_NS6detail17trampoline_kernelINS0_14default_configENS1_36segmented_radix_sort_config_selectorIdlEEZNS1_25segmented_radix_sort_implIS3_Lb0EPKdPdPKlPlN2at6native12_GLOBAL__N_18offset_tEEE10hipError_tPvRmT1_PNSt15iterator_traitsISK_E10value_typeET2_T3_PNSL_ISQ_E10value_typeET4_jRbjT5_SW_jjP12ihipStream_tbEUlT_E0_NS1_11comp_targetILNS1_3genE8ELNS1_11target_archE1030ELNS1_3gpuE2ELNS1_3repE0EEENS1_60segmented_radix_sort_warp_sort_medium_config_static_selectorELNS0_4arch9wavefront6targetE0EEEvSK_.has_recursion, or(0, .L_ZN7rocprim17ROCPRIM_400000_NS6detail26segmented_warp_sort_helperINS1_20WarpSortHelperConfigILj16ELj16ELj256EEEdlLi256ELb0EvE4sortIPKdPdPKlPlEEvT_T0_T1_T2_jjjjRNS5_12storage_typeE.has_recursion)
	.set _ZN7rocprim17ROCPRIM_400000_NS6detail17trampoline_kernelINS0_14default_configENS1_36segmented_radix_sort_config_selectorIdlEEZNS1_25segmented_radix_sort_implIS3_Lb0EPKdPdPKlPlN2at6native12_GLOBAL__N_18offset_tEEE10hipError_tPvRmT1_PNSt15iterator_traitsISK_E10value_typeET2_T3_PNSL_ISQ_E10value_typeET4_jRbjT5_SW_jjP12ihipStream_tbEUlT_E0_NS1_11comp_targetILNS1_3genE8ELNS1_11target_archE1030ELNS1_3gpuE2ELNS1_3repE0EEENS1_60segmented_radix_sort_warp_sort_medium_config_static_selectorELNS0_4arch9wavefront6targetE0EEEvSK_.has_indirect_call, or(0, .L_ZN7rocprim17ROCPRIM_400000_NS6detail26segmented_warp_sort_helperINS1_20WarpSortHelperConfigILj16ELj16ELj256EEEdlLi256ELb0EvE4sortIPKdPdPKlPlEEvT_T0_T1_T2_jjjjRNS5_12storage_typeE.has_indirect_call)
	.section	.AMDGPU.csdata,"",@progbits
; Kernel info:
; codeLenInByte = 476
; TotalNumSgprs: 59
; NumVgprs: 212
; ScratchSize: 0
; MemoryBound: 0
; FloatMode: 240
; IeeeMode: 1
; LDSByteSize: 65536 bytes/workgroup (compile time only)
; SGPRBlocks: 0
; VGPRBlocks: 26
; NumSGPRsForWavesPerEU: 59
; NumVGPRsForWavesPerEU: 212
; Occupancy: 4
; WaveLimiterHint : 0
; COMPUTE_PGM_RSRC2:SCRATCH_EN: 0
; COMPUTE_PGM_RSRC2:USER_SGPR: 6
; COMPUTE_PGM_RSRC2:TRAP_HANDLER: 0
; COMPUTE_PGM_RSRC2:TGID_X_EN: 1
; COMPUTE_PGM_RSRC2:TGID_Y_EN: 1
; COMPUTE_PGM_RSRC2:TGID_Z_EN: 0
; COMPUTE_PGM_RSRC2:TIDIG_COMP_CNT: 2
	.section	.text._ZN7rocprim17ROCPRIM_400000_NS6detail17trampoline_kernelINS0_14default_configENS1_36segmented_radix_sort_config_selectorIdlEEZNS1_25segmented_radix_sort_implIS3_Lb0EPKdPdPKlPlN2at6native12_GLOBAL__N_18offset_tEEE10hipError_tPvRmT1_PNSt15iterator_traitsISK_E10value_typeET2_T3_PNSL_ISQ_E10value_typeET4_jRbjT5_SW_jjP12ihipStream_tbEUlT_E1_NS1_11comp_targetILNS1_3genE0ELNS1_11target_archE4294967295ELNS1_3gpuE0ELNS1_3repE0EEENS1_59segmented_radix_sort_warp_sort_small_config_static_selectorELNS0_4arch9wavefront6targetE0EEEvSK_,"axG",@progbits,_ZN7rocprim17ROCPRIM_400000_NS6detail17trampoline_kernelINS0_14default_configENS1_36segmented_radix_sort_config_selectorIdlEEZNS1_25segmented_radix_sort_implIS3_Lb0EPKdPdPKlPlN2at6native12_GLOBAL__N_18offset_tEEE10hipError_tPvRmT1_PNSt15iterator_traitsISK_E10value_typeET2_T3_PNSL_ISQ_E10value_typeET4_jRbjT5_SW_jjP12ihipStream_tbEUlT_E1_NS1_11comp_targetILNS1_3genE0ELNS1_11target_archE4294967295ELNS1_3gpuE0ELNS1_3repE0EEENS1_59segmented_radix_sort_warp_sort_small_config_static_selectorELNS0_4arch9wavefront6targetE0EEEvSK_,comdat
	.globl	_ZN7rocprim17ROCPRIM_400000_NS6detail17trampoline_kernelINS0_14default_configENS1_36segmented_radix_sort_config_selectorIdlEEZNS1_25segmented_radix_sort_implIS3_Lb0EPKdPdPKlPlN2at6native12_GLOBAL__N_18offset_tEEE10hipError_tPvRmT1_PNSt15iterator_traitsISK_E10value_typeET2_T3_PNSL_ISQ_E10value_typeET4_jRbjT5_SW_jjP12ihipStream_tbEUlT_E1_NS1_11comp_targetILNS1_3genE0ELNS1_11target_archE4294967295ELNS1_3gpuE0ELNS1_3repE0EEENS1_59segmented_radix_sort_warp_sort_small_config_static_selectorELNS0_4arch9wavefront6targetE0EEEvSK_ ; -- Begin function _ZN7rocprim17ROCPRIM_400000_NS6detail17trampoline_kernelINS0_14default_configENS1_36segmented_radix_sort_config_selectorIdlEEZNS1_25segmented_radix_sort_implIS3_Lb0EPKdPdPKlPlN2at6native12_GLOBAL__N_18offset_tEEE10hipError_tPvRmT1_PNSt15iterator_traitsISK_E10value_typeET2_T3_PNSL_ISQ_E10value_typeET4_jRbjT5_SW_jjP12ihipStream_tbEUlT_E1_NS1_11comp_targetILNS1_3genE0ELNS1_11target_archE4294967295ELNS1_3gpuE0ELNS1_3repE0EEENS1_59segmented_radix_sort_warp_sort_small_config_static_selectorELNS0_4arch9wavefront6targetE0EEEvSK_
	.p2align	8
	.type	_ZN7rocprim17ROCPRIM_400000_NS6detail17trampoline_kernelINS0_14default_configENS1_36segmented_radix_sort_config_selectorIdlEEZNS1_25segmented_radix_sort_implIS3_Lb0EPKdPdPKlPlN2at6native12_GLOBAL__N_18offset_tEEE10hipError_tPvRmT1_PNSt15iterator_traitsISK_E10value_typeET2_T3_PNSL_ISQ_E10value_typeET4_jRbjT5_SW_jjP12ihipStream_tbEUlT_E1_NS1_11comp_targetILNS1_3genE0ELNS1_11target_archE4294967295ELNS1_3gpuE0ELNS1_3repE0EEENS1_59segmented_radix_sort_warp_sort_small_config_static_selectorELNS0_4arch9wavefront6targetE0EEEvSK_,@function
_ZN7rocprim17ROCPRIM_400000_NS6detail17trampoline_kernelINS0_14default_configENS1_36segmented_radix_sort_config_selectorIdlEEZNS1_25segmented_radix_sort_implIS3_Lb0EPKdPdPKlPlN2at6native12_GLOBAL__N_18offset_tEEE10hipError_tPvRmT1_PNSt15iterator_traitsISK_E10value_typeET2_T3_PNSL_ISQ_E10value_typeET4_jRbjT5_SW_jjP12ihipStream_tbEUlT_E1_NS1_11comp_targetILNS1_3genE0ELNS1_11target_archE4294967295ELNS1_3gpuE0ELNS1_3repE0EEENS1_59segmented_radix_sort_warp_sort_small_config_static_selectorELNS0_4arch9wavefront6targetE0EEEvSK_: ; @_ZN7rocprim17ROCPRIM_400000_NS6detail17trampoline_kernelINS0_14default_configENS1_36segmented_radix_sort_config_selectorIdlEEZNS1_25segmented_radix_sort_implIS3_Lb0EPKdPdPKlPlN2at6native12_GLOBAL__N_18offset_tEEE10hipError_tPvRmT1_PNSt15iterator_traitsISK_E10value_typeET2_T3_PNSL_ISQ_E10value_typeET4_jRbjT5_SW_jjP12ihipStream_tbEUlT_E1_NS1_11comp_targetILNS1_3genE0ELNS1_11target_archE4294967295ELNS1_3gpuE0ELNS1_3repE0EEENS1_59segmented_radix_sort_warp_sort_small_config_static_selectorELNS0_4arch9wavefront6targetE0EEEvSK_
; %bb.0:
	.section	.rodata,"a",@progbits
	.p2align	6, 0x0
	.amdhsa_kernel _ZN7rocprim17ROCPRIM_400000_NS6detail17trampoline_kernelINS0_14default_configENS1_36segmented_radix_sort_config_selectorIdlEEZNS1_25segmented_radix_sort_implIS3_Lb0EPKdPdPKlPlN2at6native12_GLOBAL__N_18offset_tEEE10hipError_tPvRmT1_PNSt15iterator_traitsISK_E10value_typeET2_T3_PNSL_ISQ_E10value_typeET4_jRbjT5_SW_jjP12ihipStream_tbEUlT_E1_NS1_11comp_targetILNS1_3genE0ELNS1_11target_archE4294967295ELNS1_3gpuE0ELNS1_3repE0EEENS1_59segmented_radix_sort_warp_sort_small_config_static_selectorELNS0_4arch9wavefront6targetE0EEEvSK_
		.amdhsa_group_segment_fixed_size 0
		.amdhsa_private_segment_fixed_size 0
		.amdhsa_kernarg_size 88
		.amdhsa_user_sgpr_count 6
		.amdhsa_user_sgpr_private_segment_buffer 1
		.amdhsa_user_sgpr_dispatch_ptr 0
		.amdhsa_user_sgpr_queue_ptr 0
		.amdhsa_user_sgpr_kernarg_segment_ptr 1
		.amdhsa_user_sgpr_dispatch_id 0
		.amdhsa_user_sgpr_flat_scratch_init 0
		.amdhsa_user_sgpr_private_segment_size 0
		.amdhsa_wavefront_size32 1
		.amdhsa_uses_dynamic_stack 0
		.amdhsa_system_sgpr_private_segment_wavefront_offset 0
		.amdhsa_system_sgpr_workgroup_id_x 1
		.amdhsa_system_sgpr_workgroup_id_y 0
		.amdhsa_system_sgpr_workgroup_id_z 0
		.amdhsa_system_sgpr_workgroup_info 0
		.amdhsa_system_vgpr_workitem_id 0
		.amdhsa_next_free_vgpr 1
		.amdhsa_next_free_sgpr 1
		.amdhsa_reserve_vcc 0
		.amdhsa_reserve_flat_scratch 0
		.amdhsa_float_round_mode_32 0
		.amdhsa_float_round_mode_16_64 0
		.amdhsa_float_denorm_mode_32 3
		.amdhsa_float_denorm_mode_16_64 3
		.amdhsa_dx10_clamp 1
		.amdhsa_ieee_mode 1
		.amdhsa_fp16_overflow 0
		.amdhsa_workgroup_processor_mode 1
		.amdhsa_memory_ordered 1
		.amdhsa_forward_progress 1
		.amdhsa_shared_vgpr_count 0
		.amdhsa_exception_fp_ieee_invalid_op 0
		.amdhsa_exception_fp_denorm_src 0
		.amdhsa_exception_fp_ieee_div_zero 0
		.amdhsa_exception_fp_ieee_overflow 0
		.amdhsa_exception_fp_ieee_underflow 0
		.amdhsa_exception_fp_ieee_inexact 0
		.amdhsa_exception_int_div_zero 0
	.end_amdhsa_kernel
	.section	.text._ZN7rocprim17ROCPRIM_400000_NS6detail17trampoline_kernelINS0_14default_configENS1_36segmented_radix_sort_config_selectorIdlEEZNS1_25segmented_radix_sort_implIS3_Lb0EPKdPdPKlPlN2at6native12_GLOBAL__N_18offset_tEEE10hipError_tPvRmT1_PNSt15iterator_traitsISK_E10value_typeET2_T3_PNSL_ISQ_E10value_typeET4_jRbjT5_SW_jjP12ihipStream_tbEUlT_E1_NS1_11comp_targetILNS1_3genE0ELNS1_11target_archE4294967295ELNS1_3gpuE0ELNS1_3repE0EEENS1_59segmented_radix_sort_warp_sort_small_config_static_selectorELNS0_4arch9wavefront6targetE0EEEvSK_,"axG",@progbits,_ZN7rocprim17ROCPRIM_400000_NS6detail17trampoline_kernelINS0_14default_configENS1_36segmented_radix_sort_config_selectorIdlEEZNS1_25segmented_radix_sort_implIS3_Lb0EPKdPdPKlPlN2at6native12_GLOBAL__N_18offset_tEEE10hipError_tPvRmT1_PNSt15iterator_traitsISK_E10value_typeET2_T3_PNSL_ISQ_E10value_typeET4_jRbjT5_SW_jjP12ihipStream_tbEUlT_E1_NS1_11comp_targetILNS1_3genE0ELNS1_11target_archE4294967295ELNS1_3gpuE0ELNS1_3repE0EEENS1_59segmented_radix_sort_warp_sort_small_config_static_selectorELNS0_4arch9wavefront6targetE0EEEvSK_,comdat
.Lfunc_end1233:
	.size	_ZN7rocprim17ROCPRIM_400000_NS6detail17trampoline_kernelINS0_14default_configENS1_36segmented_radix_sort_config_selectorIdlEEZNS1_25segmented_radix_sort_implIS3_Lb0EPKdPdPKlPlN2at6native12_GLOBAL__N_18offset_tEEE10hipError_tPvRmT1_PNSt15iterator_traitsISK_E10value_typeET2_T3_PNSL_ISQ_E10value_typeET4_jRbjT5_SW_jjP12ihipStream_tbEUlT_E1_NS1_11comp_targetILNS1_3genE0ELNS1_11target_archE4294967295ELNS1_3gpuE0ELNS1_3repE0EEENS1_59segmented_radix_sort_warp_sort_small_config_static_selectorELNS0_4arch9wavefront6targetE0EEEvSK_, .Lfunc_end1233-_ZN7rocprim17ROCPRIM_400000_NS6detail17trampoline_kernelINS0_14default_configENS1_36segmented_radix_sort_config_selectorIdlEEZNS1_25segmented_radix_sort_implIS3_Lb0EPKdPdPKlPlN2at6native12_GLOBAL__N_18offset_tEEE10hipError_tPvRmT1_PNSt15iterator_traitsISK_E10value_typeET2_T3_PNSL_ISQ_E10value_typeET4_jRbjT5_SW_jjP12ihipStream_tbEUlT_E1_NS1_11comp_targetILNS1_3genE0ELNS1_11target_archE4294967295ELNS1_3gpuE0ELNS1_3repE0EEENS1_59segmented_radix_sort_warp_sort_small_config_static_selectorELNS0_4arch9wavefront6targetE0EEEvSK_
                                        ; -- End function
	.set _ZN7rocprim17ROCPRIM_400000_NS6detail17trampoline_kernelINS0_14default_configENS1_36segmented_radix_sort_config_selectorIdlEEZNS1_25segmented_radix_sort_implIS3_Lb0EPKdPdPKlPlN2at6native12_GLOBAL__N_18offset_tEEE10hipError_tPvRmT1_PNSt15iterator_traitsISK_E10value_typeET2_T3_PNSL_ISQ_E10value_typeET4_jRbjT5_SW_jjP12ihipStream_tbEUlT_E1_NS1_11comp_targetILNS1_3genE0ELNS1_11target_archE4294967295ELNS1_3gpuE0ELNS1_3repE0EEENS1_59segmented_radix_sort_warp_sort_small_config_static_selectorELNS0_4arch9wavefront6targetE0EEEvSK_.num_vgpr, 0
	.set _ZN7rocprim17ROCPRIM_400000_NS6detail17trampoline_kernelINS0_14default_configENS1_36segmented_radix_sort_config_selectorIdlEEZNS1_25segmented_radix_sort_implIS3_Lb0EPKdPdPKlPlN2at6native12_GLOBAL__N_18offset_tEEE10hipError_tPvRmT1_PNSt15iterator_traitsISK_E10value_typeET2_T3_PNSL_ISQ_E10value_typeET4_jRbjT5_SW_jjP12ihipStream_tbEUlT_E1_NS1_11comp_targetILNS1_3genE0ELNS1_11target_archE4294967295ELNS1_3gpuE0ELNS1_3repE0EEENS1_59segmented_radix_sort_warp_sort_small_config_static_selectorELNS0_4arch9wavefront6targetE0EEEvSK_.num_agpr, 0
	.set _ZN7rocprim17ROCPRIM_400000_NS6detail17trampoline_kernelINS0_14default_configENS1_36segmented_radix_sort_config_selectorIdlEEZNS1_25segmented_radix_sort_implIS3_Lb0EPKdPdPKlPlN2at6native12_GLOBAL__N_18offset_tEEE10hipError_tPvRmT1_PNSt15iterator_traitsISK_E10value_typeET2_T3_PNSL_ISQ_E10value_typeET4_jRbjT5_SW_jjP12ihipStream_tbEUlT_E1_NS1_11comp_targetILNS1_3genE0ELNS1_11target_archE4294967295ELNS1_3gpuE0ELNS1_3repE0EEENS1_59segmented_radix_sort_warp_sort_small_config_static_selectorELNS0_4arch9wavefront6targetE0EEEvSK_.numbered_sgpr, 0
	.set _ZN7rocprim17ROCPRIM_400000_NS6detail17trampoline_kernelINS0_14default_configENS1_36segmented_radix_sort_config_selectorIdlEEZNS1_25segmented_radix_sort_implIS3_Lb0EPKdPdPKlPlN2at6native12_GLOBAL__N_18offset_tEEE10hipError_tPvRmT1_PNSt15iterator_traitsISK_E10value_typeET2_T3_PNSL_ISQ_E10value_typeET4_jRbjT5_SW_jjP12ihipStream_tbEUlT_E1_NS1_11comp_targetILNS1_3genE0ELNS1_11target_archE4294967295ELNS1_3gpuE0ELNS1_3repE0EEENS1_59segmented_radix_sort_warp_sort_small_config_static_selectorELNS0_4arch9wavefront6targetE0EEEvSK_.num_named_barrier, 0
	.set _ZN7rocprim17ROCPRIM_400000_NS6detail17trampoline_kernelINS0_14default_configENS1_36segmented_radix_sort_config_selectorIdlEEZNS1_25segmented_radix_sort_implIS3_Lb0EPKdPdPKlPlN2at6native12_GLOBAL__N_18offset_tEEE10hipError_tPvRmT1_PNSt15iterator_traitsISK_E10value_typeET2_T3_PNSL_ISQ_E10value_typeET4_jRbjT5_SW_jjP12ihipStream_tbEUlT_E1_NS1_11comp_targetILNS1_3genE0ELNS1_11target_archE4294967295ELNS1_3gpuE0ELNS1_3repE0EEENS1_59segmented_radix_sort_warp_sort_small_config_static_selectorELNS0_4arch9wavefront6targetE0EEEvSK_.private_seg_size, 0
	.set _ZN7rocprim17ROCPRIM_400000_NS6detail17trampoline_kernelINS0_14default_configENS1_36segmented_radix_sort_config_selectorIdlEEZNS1_25segmented_radix_sort_implIS3_Lb0EPKdPdPKlPlN2at6native12_GLOBAL__N_18offset_tEEE10hipError_tPvRmT1_PNSt15iterator_traitsISK_E10value_typeET2_T3_PNSL_ISQ_E10value_typeET4_jRbjT5_SW_jjP12ihipStream_tbEUlT_E1_NS1_11comp_targetILNS1_3genE0ELNS1_11target_archE4294967295ELNS1_3gpuE0ELNS1_3repE0EEENS1_59segmented_radix_sort_warp_sort_small_config_static_selectorELNS0_4arch9wavefront6targetE0EEEvSK_.uses_vcc, 0
	.set _ZN7rocprim17ROCPRIM_400000_NS6detail17trampoline_kernelINS0_14default_configENS1_36segmented_radix_sort_config_selectorIdlEEZNS1_25segmented_radix_sort_implIS3_Lb0EPKdPdPKlPlN2at6native12_GLOBAL__N_18offset_tEEE10hipError_tPvRmT1_PNSt15iterator_traitsISK_E10value_typeET2_T3_PNSL_ISQ_E10value_typeET4_jRbjT5_SW_jjP12ihipStream_tbEUlT_E1_NS1_11comp_targetILNS1_3genE0ELNS1_11target_archE4294967295ELNS1_3gpuE0ELNS1_3repE0EEENS1_59segmented_radix_sort_warp_sort_small_config_static_selectorELNS0_4arch9wavefront6targetE0EEEvSK_.uses_flat_scratch, 0
	.set _ZN7rocprim17ROCPRIM_400000_NS6detail17trampoline_kernelINS0_14default_configENS1_36segmented_radix_sort_config_selectorIdlEEZNS1_25segmented_radix_sort_implIS3_Lb0EPKdPdPKlPlN2at6native12_GLOBAL__N_18offset_tEEE10hipError_tPvRmT1_PNSt15iterator_traitsISK_E10value_typeET2_T3_PNSL_ISQ_E10value_typeET4_jRbjT5_SW_jjP12ihipStream_tbEUlT_E1_NS1_11comp_targetILNS1_3genE0ELNS1_11target_archE4294967295ELNS1_3gpuE0ELNS1_3repE0EEENS1_59segmented_radix_sort_warp_sort_small_config_static_selectorELNS0_4arch9wavefront6targetE0EEEvSK_.has_dyn_sized_stack, 0
	.set _ZN7rocprim17ROCPRIM_400000_NS6detail17trampoline_kernelINS0_14default_configENS1_36segmented_radix_sort_config_selectorIdlEEZNS1_25segmented_radix_sort_implIS3_Lb0EPKdPdPKlPlN2at6native12_GLOBAL__N_18offset_tEEE10hipError_tPvRmT1_PNSt15iterator_traitsISK_E10value_typeET2_T3_PNSL_ISQ_E10value_typeET4_jRbjT5_SW_jjP12ihipStream_tbEUlT_E1_NS1_11comp_targetILNS1_3genE0ELNS1_11target_archE4294967295ELNS1_3gpuE0ELNS1_3repE0EEENS1_59segmented_radix_sort_warp_sort_small_config_static_selectorELNS0_4arch9wavefront6targetE0EEEvSK_.has_recursion, 0
	.set _ZN7rocprim17ROCPRIM_400000_NS6detail17trampoline_kernelINS0_14default_configENS1_36segmented_radix_sort_config_selectorIdlEEZNS1_25segmented_radix_sort_implIS3_Lb0EPKdPdPKlPlN2at6native12_GLOBAL__N_18offset_tEEE10hipError_tPvRmT1_PNSt15iterator_traitsISK_E10value_typeET2_T3_PNSL_ISQ_E10value_typeET4_jRbjT5_SW_jjP12ihipStream_tbEUlT_E1_NS1_11comp_targetILNS1_3genE0ELNS1_11target_archE4294967295ELNS1_3gpuE0ELNS1_3repE0EEENS1_59segmented_radix_sort_warp_sort_small_config_static_selectorELNS0_4arch9wavefront6targetE0EEEvSK_.has_indirect_call, 0
	.section	.AMDGPU.csdata,"",@progbits
; Kernel info:
; codeLenInByte = 0
; TotalNumSgprs: 0
; NumVgprs: 0
; ScratchSize: 0
; MemoryBound: 0
; FloatMode: 240
; IeeeMode: 1
; LDSByteSize: 0 bytes/workgroup (compile time only)
; SGPRBlocks: 0
; VGPRBlocks: 0
; NumSGPRsForWavesPerEU: 1
; NumVGPRsForWavesPerEU: 1
; Occupancy: 16
; WaveLimiterHint : 0
; COMPUTE_PGM_RSRC2:SCRATCH_EN: 0
; COMPUTE_PGM_RSRC2:USER_SGPR: 6
; COMPUTE_PGM_RSRC2:TRAP_HANDLER: 0
; COMPUTE_PGM_RSRC2:TGID_X_EN: 1
; COMPUTE_PGM_RSRC2:TGID_Y_EN: 0
; COMPUTE_PGM_RSRC2:TGID_Z_EN: 0
; COMPUTE_PGM_RSRC2:TIDIG_COMP_CNT: 0
	.section	.text._ZN7rocprim17ROCPRIM_400000_NS6detail17trampoline_kernelINS0_14default_configENS1_36segmented_radix_sort_config_selectorIdlEEZNS1_25segmented_radix_sort_implIS3_Lb0EPKdPdPKlPlN2at6native12_GLOBAL__N_18offset_tEEE10hipError_tPvRmT1_PNSt15iterator_traitsISK_E10value_typeET2_T3_PNSL_ISQ_E10value_typeET4_jRbjT5_SW_jjP12ihipStream_tbEUlT_E1_NS1_11comp_targetILNS1_3genE5ELNS1_11target_archE942ELNS1_3gpuE9ELNS1_3repE0EEENS1_59segmented_radix_sort_warp_sort_small_config_static_selectorELNS0_4arch9wavefront6targetE0EEEvSK_,"axG",@progbits,_ZN7rocprim17ROCPRIM_400000_NS6detail17trampoline_kernelINS0_14default_configENS1_36segmented_radix_sort_config_selectorIdlEEZNS1_25segmented_radix_sort_implIS3_Lb0EPKdPdPKlPlN2at6native12_GLOBAL__N_18offset_tEEE10hipError_tPvRmT1_PNSt15iterator_traitsISK_E10value_typeET2_T3_PNSL_ISQ_E10value_typeET4_jRbjT5_SW_jjP12ihipStream_tbEUlT_E1_NS1_11comp_targetILNS1_3genE5ELNS1_11target_archE942ELNS1_3gpuE9ELNS1_3repE0EEENS1_59segmented_radix_sort_warp_sort_small_config_static_selectorELNS0_4arch9wavefront6targetE0EEEvSK_,comdat
	.globl	_ZN7rocprim17ROCPRIM_400000_NS6detail17trampoline_kernelINS0_14default_configENS1_36segmented_radix_sort_config_selectorIdlEEZNS1_25segmented_radix_sort_implIS3_Lb0EPKdPdPKlPlN2at6native12_GLOBAL__N_18offset_tEEE10hipError_tPvRmT1_PNSt15iterator_traitsISK_E10value_typeET2_T3_PNSL_ISQ_E10value_typeET4_jRbjT5_SW_jjP12ihipStream_tbEUlT_E1_NS1_11comp_targetILNS1_3genE5ELNS1_11target_archE942ELNS1_3gpuE9ELNS1_3repE0EEENS1_59segmented_radix_sort_warp_sort_small_config_static_selectorELNS0_4arch9wavefront6targetE0EEEvSK_ ; -- Begin function _ZN7rocprim17ROCPRIM_400000_NS6detail17trampoline_kernelINS0_14default_configENS1_36segmented_radix_sort_config_selectorIdlEEZNS1_25segmented_radix_sort_implIS3_Lb0EPKdPdPKlPlN2at6native12_GLOBAL__N_18offset_tEEE10hipError_tPvRmT1_PNSt15iterator_traitsISK_E10value_typeET2_T3_PNSL_ISQ_E10value_typeET4_jRbjT5_SW_jjP12ihipStream_tbEUlT_E1_NS1_11comp_targetILNS1_3genE5ELNS1_11target_archE942ELNS1_3gpuE9ELNS1_3repE0EEENS1_59segmented_radix_sort_warp_sort_small_config_static_selectorELNS0_4arch9wavefront6targetE0EEEvSK_
	.p2align	8
	.type	_ZN7rocprim17ROCPRIM_400000_NS6detail17trampoline_kernelINS0_14default_configENS1_36segmented_radix_sort_config_selectorIdlEEZNS1_25segmented_radix_sort_implIS3_Lb0EPKdPdPKlPlN2at6native12_GLOBAL__N_18offset_tEEE10hipError_tPvRmT1_PNSt15iterator_traitsISK_E10value_typeET2_T3_PNSL_ISQ_E10value_typeET4_jRbjT5_SW_jjP12ihipStream_tbEUlT_E1_NS1_11comp_targetILNS1_3genE5ELNS1_11target_archE942ELNS1_3gpuE9ELNS1_3repE0EEENS1_59segmented_radix_sort_warp_sort_small_config_static_selectorELNS0_4arch9wavefront6targetE0EEEvSK_,@function
_ZN7rocprim17ROCPRIM_400000_NS6detail17trampoline_kernelINS0_14default_configENS1_36segmented_radix_sort_config_selectorIdlEEZNS1_25segmented_radix_sort_implIS3_Lb0EPKdPdPKlPlN2at6native12_GLOBAL__N_18offset_tEEE10hipError_tPvRmT1_PNSt15iterator_traitsISK_E10value_typeET2_T3_PNSL_ISQ_E10value_typeET4_jRbjT5_SW_jjP12ihipStream_tbEUlT_E1_NS1_11comp_targetILNS1_3genE5ELNS1_11target_archE942ELNS1_3gpuE9ELNS1_3repE0EEENS1_59segmented_radix_sort_warp_sort_small_config_static_selectorELNS0_4arch9wavefront6targetE0EEEvSK_: ; @_ZN7rocprim17ROCPRIM_400000_NS6detail17trampoline_kernelINS0_14default_configENS1_36segmented_radix_sort_config_selectorIdlEEZNS1_25segmented_radix_sort_implIS3_Lb0EPKdPdPKlPlN2at6native12_GLOBAL__N_18offset_tEEE10hipError_tPvRmT1_PNSt15iterator_traitsISK_E10value_typeET2_T3_PNSL_ISQ_E10value_typeET4_jRbjT5_SW_jjP12ihipStream_tbEUlT_E1_NS1_11comp_targetILNS1_3genE5ELNS1_11target_archE942ELNS1_3gpuE9ELNS1_3repE0EEENS1_59segmented_radix_sort_warp_sort_small_config_static_selectorELNS0_4arch9wavefront6targetE0EEEvSK_
; %bb.0:
	.section	.rodata,"a",@progbits
	.p2align	6, 0x0
	.amdhsa_kernel _ZN7rocprim17ROCPRIM_400000_NS6detail17trampoline_kernelINS0_14default_configENS1_36segmented_radix_sort_config_selectorIdlEEZNS1_25segmented_radix_sort_implIS3_Lb0EPKdPdPKlPlN2at6native12_GLOBAL__N_18offset_tEEE10hipError_tPvRmT1_PNSt15iterator_traitsISK_E10value_typeET2_T3_PNSL_ISQ_E10value_typeET4_jRbjT5_SW_jjP12ihipStream_tbEUlT_E1_NS1_11comp_targetILNS1_3genE5ELNS1_11target_archE942ELNS1_3gpuE9ELNS1_3repE0EEENS1_59segmented_radix_sort_warp_sort_small_config_static_selectorELNS0_4arch9wavefront6targetE0EEEvSK_
		.amdhsa_group_segment_fixed_size 0
		.amdhsa_private_segment_fixed_size 0
		.amdhsa_kernarg_size 88
		.amdhsa_user_sgpr_count 6
		.amdhsa_user_sgpr_private_segment_buffer 1
		.amdhsa_user_sgpr_dispatch_ptr 0
		.amdhsa_user_sgpr_queue_ptr 0
		.amdhsa_user_sgpr_kernarg_segment_ptr 1
		.amdhsa_user_sgpr_dispatch_id 0
		.amdhsa_user_sgpr_flat_scratch_init 0
		.amdhsa_user_sgpr_private_segment_size 0
		.amdhsa_wavefront_size32 1
		.amdhsa_uses_dynamic_stack 0
		.amdhsa_system_sgpr_private_segment_wavefront_offset 0
		.amdhsa_system_sgpr_workgroup_id_x 1
		.amdhsa_system_sgpr_workgroup_id_y 0
		.amdhsa_system_sgpr_workgroup_id_z 0
		.amdhsa_system_sgpr_workgroup_info 0
		.amdhsa_system_vgpr_workitem_id 0
		.amdhsa_next_free_vgpr 1
		.amdhsa_next_free_sgpr 1
		.amdhsa_reserve_vcc 0
		.amdhsa_reserve_flat_scratch 0
		.amdhsa_float_round_mode_32 0
		.amdhsa_float_round_mode_16_64 0
		.amdhsa_float_denorm_mode_32 3
		.amdhsa_float_denorm_mode_16_64 3
		.amdhsa_dx10_clamp 1
		.amdhsa_ieee_mode 1
		.amdhsa_fp16_overflow 0
		.amdhsa_workgroup_processor_mode 1
		.amdhsa_memory_ordered 1
		.amdhsa_forward_progress 1
		.amdhsa_shared_vgpr_count 0
		.amdhsa_exception_fp_ieee_invalid_op 0
		.amdhsa_exception_fp_denorm_src 0
		.amdhsa_exception_fp_ieee_div_zero 0
		.amdhsa_exception_fp_ieee_overflow 0
		.amdhsa_exception_fp_ieee_underflow 0
		.amdhsa_exception_fp_ieee_inexact 0
		.amdhsa_exception_int_div_zero 0
	.end_amdhsa_kernel
	.section	.text._ZN7rocprim17ROCPRIM_400000_NS6detail17trampoline_kernelINS0_14default_configENS1_36segmented_radix_sort_config_selectorIdlEEZNS1_25segmented_radix_sort_implIS3_Lb0EPKdPdPKlPlN2at6native12_GLOBAL__N_18offset_tEEE10hipError_tPvRmT1_PNSt15iterator_traitsISK_E10value_typeET2_T3_PNSL_ISQ_E10value_typeET4_jRbjT5_SW_jjP12ihipStream_tbEUlT_E1_NS1_11comp_targetILNS1_3genE5ELNS1_11target_archE942ELNS1_3gpuE9ELNS1_3repE0EEENS1_59segmented_radix_sort_warp_sort_small_config_static_selectorELNS0_4arch9wavefront6targetE0EEEvSK_,"axG",@progbits,_ZN7rocprim17ROCPRIM_400000_NS6detail17trampoline_kernelINS0_14default_configENS1_36segmented_radix_sort_config_selectorIdlEEZNS1_25segmented_radix_sort_implIS3_Lb0EPKdPdPKlPlN2at6native12_GLOBAL__N_18offset_tEEE10hipError_tPvRmT1_PNSt15iterator_traitsISK_E10value_typeET2_T3_PNSL_ISQ_E10value_typeET4_jRbjT5_SW_jjP12ihipStream_tbEUlT_E1_NS1_11comp_targetILNS1_3genE5ELNS1_11target_archE942ELNS1_3gpuE9ELNS1_3repE0EEENS1_59segmented_radix_sort_warp_sort_small_config_static_selectorELNS0_4arch9wavefront6targetE0EEEvSK_,comdat
.Lfunc_end1234:
	.size	_ZN7rocprim17ROCPRIM_400000_NS6detail17trampoline_kernelINS0_14default_configENS1_36segmented_radix_sort_config_selectorIdlEEZNS1_25segmented_radix_sort_implIS3_Lb0EPKdPdPKlPlN2at6native12_GLOBAL__N_18offset_tEEE10hipError_tPvRmT1_PNSt15iterator_traitsISK_E10value_typeET2_T3_PNSL_ISQ_E10value_typeET4_jRbjT5_SW_jjP12ihipStream_tbEUlT_E1_NS1_11comp_targetILNS1_3genE5ELNS1_11target_archE942ELNS1_3gpuE9ELNS1_3repE0EEENS1_59segmented_radix_sort_warp_sort_small_config_static_selectorELNS0_4arch9wavefront6targetE0EEEvSK_, .Lfunc_end1234-_ZN7rocprim17ROCPRIM_400000_NS6detail17trampoline_kernelINS0_14default_configENS1_36segmented_radix_sort_config_selectorIdlEEZNS1_25segmented_radix_sort_implIS3_Lb0EPKdPdPKlPlN2at6native12_GLOBAL__N_18offset_tEEE10hipError_tPvRmT1_PNSt15iterator_traitsISK_E10value_typeET2_T3_PNSL_ISQ_E10value_typeET4_jRbjT5_SW_jjP12ihipStream_tbEUlT_E1_NS1_11comp_targetILNS1_3genE5ELNS1_11target_archE942ELNS1_3gpuE9ELNS1_3repE0EEENS1_59segmented_radix_sort_warp_sort_small_config_static_selectorELNS0_4arch9wavefront6targetE0EEEvSK_
                                        ; -- End function
	.set _ZN7rocprim17ROCPRIM_400000_NS6detail17trampoline_kernelINS0_14default_configENS1_36segmented_radix_sort_config_selectorIdlEEZNS1_25segmented_radix_sort_implIS3_Lb0EPKdPdPKlPlN2at6native12_GLOBAL__N_18offset_tEEE10hipError_tPvRmT1_PNSt15iterator_traitsISK_E10value_typeET2_T3_PNSL_ISQ_E10value_typeET4_jRbjT5_SW_jjP12ihipStream_tbEUlT_E1_NS1_11comp_targetILNS1_3genE5ELNS1_11target_archE942ELNS1_3gpuE9ELNS1_3repE0EEENS1_59segmented_radix_sort_warp_sort_small_config_static_selectorELNS0_4arch9wavefront6targetE0EEEvSK_.num_vgpr, 0
	.set _ZN7rocprim17ROCPRIM_400000_NS6detail17trampoline_kernelINS0_14default_configENS1_36segmented_radix_sort_config_selectorIdlEEZNS1_25segmented_radix_sort_implIS3_Lb0EPKdPdPKlPlN2at6native12_GLOBAL__N_18offset_tEEE10hipError_tPvRmT1_PNSt15iterator_traitsISK_E10value_typeET2_T3_PNSL_ISQ_E10value_typeET4_jRbjT5_SW_jjP12ihipStream_tbEUlT_E1_NS1_11comp_targetILNS1_3genE5ELNS1_11target_archE942ELNS1_3gpuE9ELNS1_3repE0EEENS1_59segmented_radix_sort_warp_sort_small_config_static_selectorELNS0_4arch9wavefront6targetE0EEEvSK_.num_agpr, 0
	.set _ZN7rocprim17ROCPRIM_400000_NS6detail17trampoline_kernelINS0_14default_configENS1_36segmented_radix_sort_config_selectorIdlEEZNS1_25segmented_radix_sort_implIS3_Lb0EPKdPdPKlPlN2at6native12_GLOBAL__N_18offset_tEEE10hipError_tPvRmT1_PNSt15iterator_traitsISK_E10value_typeET2_T3_PNSL_ISQ_E10value_typeET4_jRbjT5_SW_jjP12ihipStream_tbEUlT_E1_NS1_11comp_targetILNS1_3genE5ELNS1_11target_archE942ELNS1_3gpuE9ELNS1_3repE0EEENS1_59segmented_radix_sort_warp_sort_small_config_static_selectorELNS0_4arch9wavefront6targetE0EEEvSK_.numbered_sgpr, 0
	.set _ZN7rocprim17ROCPRIM_400000_NS6detail17trampoline_kernelINS0_14default_configENS1_36segmented_radix_sort_config_selectorIdlEEZNS1_25segmented_radix_sort_implIS3_Lb0EPKdPdPKlPlN2at6native12_GLOBAL__N_18offset_tEEE10hipError_tPvRmT1_PNSt15iterator_traitsISK_E10value_typeET2_T3_PNSL_ISQ_E10value_typeET4_jRbjT5_SW_jjP12ihipStream_tbEUlT_E1_NS1_11comp_targetILNS1_3genE5ELNS1_11target_archE942ELNS1_3gpuE9ELNS1_3repE0EEENS1_59segmented_radix_sort_warp_sort_small_config_static_selectorELNS0_4arch9wavefront6targetE0EEEvSK_.num_named_barrier, 0
	.set _ZN7rocprim17ROCPRIM_400000_NS6detail17trampoline_kernelINS0_14default_configENS1_36segmented_radix_sort_config_selectorIdlEEZNS1_25segmented_radix_sort_implIS3_Lb0EPKdPdPKlPlN2at6native12_GLOBAL__N_18offset_tEEE10hipError_tPvRmT1_PNSt15iterator_traitsISK_E10value_typeET2_T3_PNSL_ISQ_E10value_typeET4_jRbjT5_SW_jjP12ihipStream_tbEUlT_E1_NS1_11comp_targetILNS1_3genE5ELNS1_11target_archE942ELNS1_3gpuE9ELNS1_3repE0EEENS1_59segmented_radix_sort_warp_sort_small_config_static_selectorELNS0_4arch9wavefront6targetE0EEEvSK_.private_seg_size, 0
	.set _ZN7rocprim17ROCPRIM_400000_NS6detail17trampoline_kernelINS0_14default_configENS1_36segmented_radix_sort_config_selectorIdlEEZNS1_25segmented_radix_sort_implIS3_Lb0EPKdPdPKlPlN2at6native12_GLOBAL__N_18offset_tEEE10hipError_tPvRmT1_PNSt15iterator_traitsISK_E10value_typeET2_T3_PNSL_ISQ_E10value_typeET4_jRbjT5_SW_jjP12ihipStream_tbEUlT_E1_NS1_11comp_targetILNS1_3genE5ELNS1_11target_archE942ELNS1_3gpuE9ELNS1_3repE0EEENS1_59segmented_radix_sort_warp_sort_small_config_static_selectorELNS0_4arch9wavefront6targetE0EEEvSK_.uses_vcc, 0
	.set _ZN7rocprim17ROCPRIM_400000_NS6detail17trampoline_kernelINS0_14default_configENS1_36segmented_radix_sort_config_selectorIdlEEZNS1_25segmented_radix_sort_implIS3_Lb0EPKdPdPKlPlN2at6native12_GLOBAL__N_18offset_tEEE10hipError_tPvRmT1_PNSt15iterator_traitsISK_E10value_typeET2_T3_PNSL_ISQ_E10value_typeET4_jRbjT5_SW_jjP12ihipStream_tbEUlT_E1_NS1_11comp_targetILNS1_3genE5ELNS1_11target_archE942ELNS1_3gpuE9ELNS1_3repE0EEENS1_59segmented_radix_sort_warp_sort_small_config_static_selectorELNS0_4arch9wavefront6targetE0EEEvSK_.uses_flat_scratch, 0
	.set _ZN7rocprim17ROCPRIM_400000_NS6detail17trampoline_kernelINS0_14default_configENS1_36segmented_radix_sort_config_selectorIdlEEZNS1_25segmented_radix_sort_implIS3_Lb0EPKdPdPKlPlN2at6native12_GLOBAL__N_18offset_tEEE10hipError_tPvRmT1_PNSt15iterator_traitsISK_E10value_typeET2_T3_PNSL_ISQ_E10value_typeET4_jRbjT5_SW_jjP12ihipStream_tbEUlT_E1_NS1_11comp_targetILNS1_3genE5ELNS1_11target_archE942ELNS1_3gpuE9ELNS1_3repE0EEENS1_59segmented_radix_sort_warp_sort_small_config_static_selectorELNS0_4arch9wavefront6targetE0EEEvSK_.has_dyn_sized_stack, 0
	.set _ZN7rocprim17ROCPRIM_400000_NS6detail17trampoline_kernelINS0_14default_configENS1_36segmented_radix_sort_config_selectorIdlEEZNS1_25segmented_radix_sort_implIS3_Lb0EPKdPdPKlPlN2at6native12_GLOBAL__N_18offset_tEEE10hipError_tPvRmT1_PNSt15iterator_traitsISK_E10value_typeET2_T3_PNSL_ISQ_E10value_typeET4_jRbjT5_SW_jjP12ihipStream_tbEUlT_E1_NS1_11comp_targetILNS1_3genE5ELNS1_11target_archE942ELNS1_3gpuE9ELNS1_3repE0EEENS1_59segmented_radix_sort_warp_sort_small_config_static_selectorELNS0_4arch9wavefront6targetE0EEEvSK_.has_recursion, 0
	.set _ZN7rocprim17ROCPRIM_400000_NS6detail17trampoline_kernelINS0_14default_configENS1_36segmented_radix_sort_config_selectorIdlEEZNS1_25segmented_radix_sort_implIS3_Lb0EPKdPdPKlPlN2at6native12_GLOBAL__N_18offset_tEEE10hipError_tPvRmT1_PNSt15iterator_traitsISK_E10value_typeET2_T3_PNSL_ISQ_E10value_typeET4_jRbjT5_SW_jjP12ihipStream_tbEUlT_E1_NS1_11comp_targetILNS1_3genE5ELNS1_11target_archE942ELNS1_3gpuE9ELNS1_3repE0EEENS1_59segmented_radix_sort_warp_sort_small_config_static_selectorELNS0_4arch9wavefront6targetE0EEEvSK_.has_indirect_call, 0
	.section	.AMDGPU.csdata,"",@progbits
; Kernel info:
; codeLenInByte = 0
; TotalNumSgprs: 0
; NumVgprs: 0
; ScratchSize: 0
; MemoryBound: 0
; FloatMode: 240
; IeeeMode: 1
; LDSByteSize: 0 bytes/workgroup (compile time only)
; SGPRBlocks: 0
; VGPRBlocks: 0
; NumSGPRsForWavesPerEU: 1
; NumVGPRsForWavesPerEU: 1
; Occupancy: 16
; WaveLimiterHint : 0
; COMPUTE_PGM_RSRC2:SCRATCH_EN: 0
; COMPUTE_PGM_RSRC2:USER_SGPR: 6
; COMPUTE_PGM_RSRC2:TRAP_HANDLER: 0
; COMPUTE_PGM_RSRC2:TGID_X_EN: 1
; COMPUTE_PGM_RSRC2:TGID_Y_EN: 0
; COMPUTE_PGM_RSRC2:TGID_Z_EN: 0
; COMPUTE_PGM_RSRC2:TIDIG_COMP_CNT: 0
	.section	.text._ZN7rocprim17ROCPRIM_400000_NS6detail17trampoline_kernelINS0_14default_configENS1_36segmented_radix_sort_config_selectorIdlEEZNS1_25segmented_radix_sort_implIS3_Lb0EPKdPdPKlPlN2at6native12_GLOBAL__N_18offset_tEEE10hipError_tPvRmT1_PNSt15iterator_traitsISK_E10value_typeET2_T3_PNSL_ISQ_E10value_typeET4_jRbjT5_SW_jjP12ihipStream_tbEUlT_E1_NS1_11comp_targetILNS1_3genE4ELNS1_11target_archE910ELNS1_3gpuE8ELNS1_3repE0EEENS1_59segmented_radix_sort_warp_sort_small_config_static_selectorELNS0_4arch9wavefront6targetE0EEEvSK_,"axG",@progbits,_ZN7rocprim17ROCPRIM_400000_NS6detail17trampoline_kernelINS0_14default_configENS1_36segmented_radix_sort_config_selectorIdlEEZNS1_25segmented_radix_sort_implIS3_Lb0EPKdPdPKlPlN2at6native12_GLOBAL__N_18offset_tEEE10hipError_tPvRmT1_PNSt15iterator_traitsISK_E10value_typeET2_T3_PNSL_ISQ_E10value_typeET4_jRbjT5_SW_jjP12ihipStream_tbEUlT_E1_NS1_11comp_targetILNS1_3genE4ELNS1_11target_archE910ELNS1_3gpuE8ELNS1_3repE0EEENS1_59segmented_radix_sort_warp_sort_small_config_static_selectorELNS0_4arch9wavefront6targetE0EEEvSK_,comdat
	.globl	_ZN7rocprim17ROCPRIM_400000_NS6detail17trampoline_kernelINS0_14default_configENS1_36segmented_radix_sort_config_selectorIdlEEZNS1_25segmented_radix_sort_implIS3_Lb0EPKdPdPKlPlN2at6native12_GLOBAL__N_18offset_tEEE10hipError_tPvRmT1_PNSt15iterator_traitsISK_E10value_typeET2_T3_PNSL_ISQ_E10value_typeET4_jRbjT5_SW_jjP12ihipStream_tbEUlT_E1_NS1_11comp_targetILNS1_3genE4ELNS1_11target_archE910ELNS1_3gpuE8ELNS1_3repE0EEENS1_59segmented_radix_sort_warp_sort_small_config_static_selectorELNS0_4arch9wavefront6targetE0EEEvSK_ ; -- Begin function _ZN7rocprim17ROCPRIM_400000_NS6detail17trampoline_kernelINS0_14default_configENS1_36segmented_radix_sort_config_selectorIdlEEZNS1_25segmented_radix_sort_implIS3_Lb0EPKdPdPKlPlN2at6native12_GLOBAL__N_18offset_tEEE10hipError_tPvRmT1_PNSt15iterator_traitsISK_E10value_typeET2_T3_PNSL_ISQ_E10value_typeET4_jRbjT5_SW_jjP12ihipStream_tbEUlT_E1_NS1_11comp_targetILNS1_3genE4ELNS1_11target_archE910ELNS1_3gpuE8ELNS1_3repE0EEENS1_59segmented_radix_sort_warp_sort_small_config_static_selectorELNS0_4arch9wavefront6targetE0EEEvSK_
	.p2align	8
	.type	_ZN7rocprim17ROCPRIM_400000_NS6detail17trampoline_kernelINS0_14default_configENS1_36segmented_radix_sort_config_selectorIdlEEZNS1_25segmented_radix_sort_implIS3_Lb0EPKdPdPKlPlN2at6native12_GLOBAL__N_18offset_tEEE10hipError_tPvRmT1_PNSt15iterator_traitsISK_E10value_typeET2_T3_PNSL_ISQ_E10value_typeET4_jRbjT5_SW_jjP12ihipStream_tbEUlT_E1_NS1_11comp_targetILNS1_3genE4ELNS1_11target_archE910ELNS1_3gpuE8ELNS1_3repE0EEENS1_59segmented_radix_sort_warp_sort_small_config_static_selectorELNS0_4arch9wavefront6targetE0EEEvSK_,@function
_ZN7rocprim17ROCPRIM_400000_NS6detail17trampoline_kernelINS0_14default_configENS1_36segmented_radix_sort_config_selectorIdlEEZNS1_25segmented_radix_sort_implIS3_Lb0EPKdPdPKlPlN2at6native12_GLOBAL__N_18offset_tEEE10hipError_tPvRmT1_PNSt15iterator_traitsISK_E10value_typeET2_T3_PNSL_ISQ_E10value_typeET4_jRbjT5_SW_jjP12ihipStream_tbEUlT_E1_NS1_11comp_targetILNS1_3genE4ELNS1_11target_archE910ELNS1_3gpuE8ELNS1_3repE0EEENS1_59segmented_radix_sort_warp_sort_small_config_static_selectorELNS0_4arch9wavefront6targetE0EEEvSK_: ; @_ZN7rocprim17ROCPRIM_400000_NS6detail17trampoline_kernelINS0_14default_configENS1_36segmented_radix_sort_config_selectorIdlEEZNS1_25segmented_radix_sort_implIS3_Lb0EPKdPdPKlPlN2at6native12_GLOBAL__N_18offset_tEEE10hipError_tPvRmT1_PNSt15iterator_traitsISK_E10value_typeET2_T3_PNSL_ISQ_E10value_typeET4_jRbjT5_SW_jjP12ihipStream_tbEUlT_E1_NS1_11comp_targetILNS1_3genE4ELNS1_11target_archE910ELNS1_3gpuE8ELNS1_3repE0EEENS1_59segmented_radix_sort_warp_sort_small_config_static_selectorELNS0_4arch9wavefront6targetE0EEEvSK_
; %bb.0:
	.section	.rodata,"a",@progbits
	.p2align	6, 0x0
	.amdhsa_kernel _ZN7rocprim17ROCPRIM_400000_NS6detail17trampoline_kernelINS0_14default_configENS1_36segmented_radix_sort_config_selectorIdlEEZNS1_25segmented_radix_sort_implIS3_Lb0EPKdPdPKlPlN2at6native12_GLOBAL__N_18offset_tEEE10hipError_tPvRmT1_PNSt15iterator_traitsISK_E10value_typeET2_T3_PNSL_ISQ_E10value_typeET4_jRbjT5_SW_jjP12ihipStream_tbEUlT_E1_NS1_11comp_targetILNS1_3genE4ELNS1_11target_archE910ELNS1_3gpuE8ELNS1_3repE0EEENS1_59segmented_radix_sort_warp_sort_small_config_static_selectorELNS0_4arch9wavefront6targetE0EEEvSK_
		.amdhsa_group_segment_fixed_size 0
		.amdhsa_private_segment_fixed_size 0
		.amdhsa_kernarg_size 88
		.amdhsa_user_sgpr_count 6
		.amdhsa_user_sgpr_private_segment_buffer 1
		.amdhsa_user_sgpr_dispatch_ptr 0
		.amdhsa_user_sgpr_queue_ptr 0
		.amdhsa_user_sgpr_kernarg_segment_ptr 1
		.amdhsa_user_sgpr_dispatch_id 0
		.amdhsa_user_sgpr_flat_scratch_init 0
		.amdhsa_user_sgpr_private_segment_size 0
		.amdhsa_wavefront_size32 1
		.amdhsa_uses_dynamic_stack 0
		.amdhsa_system_sgpr_private_segment_wavefront_offset 0
		.amdhsa_system_sgpr_workgroup_id_x 1
		.amdhsa_system_sgpr_workgroup_id_y 0
		.amdhsa_system_sgpr_workgroup_id_z 0
		.amdhsa_system_sgpr_workgroup_info 0
		.amdhsa_system_vgpr_workitem_id 0
		.amdhsa_next_free_vgpr 1
		.amdhsa_next_free_sgpr 1
		.amdhsa_reserve_vcc 0
		.amdhsa_reserve_flat_scratch 0
		.amdhsa_float_round_mode_32 0
		.amdhsa_float_round_mode_16_64 0
		.amdhsa_float_denorm_mode_32 3
		.amdhsa_float_denorm_mode_16_64 3
		.amdhsa_dx10_clamp 1
		.amdhsa_ieee_mode 1
		.amdhsa_fp16_overflow 0
		.amdhsa_workgroup_processor_mode 1
		.amdhsa_memory_ordered 1
		.amdhsa_forward_progress 1
		.amdhsa_shared_vgpr_count 0
		.amdhsa_exception_fp_ieee_invalid_op 0
		.amdhsa_exception_fp_denorm_src 0
		.amdhsa_exception_fp_ieee_div_zero 0
		.amdhsa_exception_fp_ieee_overflow 0
		.amdhsa_exception_fp_ieee_underflow 0
		.amdhsa_exception_fp_ieee_inexact 0
		.amdhsa_exception_int_div_zero 0
	.end_amdhsa_kernel
	.section	.text._ZN7rocprim17ROCPRIM_400000_NS6detail17trampoline_kernelINS0_14default_configENS1_36segmented_radix_sort_config_selectorIdlEEZNS1_25segmented_radix_sort_implIS3_Lb0EPKdPdPKlPlN2at6native12_GLOBAL__N_18offset_tEEE10hipError_tPvRmT1_PNSt15iterator_traitsISK_E10value_typeET2_T3_PNSL_ISQ_E10value_typeET4_jRbjT5_SW_jjP12ihipStream_tbEUlT_E1_NS1_11comp_targetILNS1_3genE4ELNS1_11target_archE910ELNS1_3gpuE8ELNS1_3repE0EEENS1_59segmented_radix_sort_warp_sort_small_config_static_selectorELNS0_4arch9wavefront6targetE0EEEvSK_,"axG",@progbits,_ZN7rocprim17ROCPRIM_400000_NS6detail17trampoline_kernelINS0_14default_configENS1_36segmented_radix_sort_config_selectorIdlEEZNS1_25segmented_radix_sort_implIS3_Lb0EPKdPdPKlPlN2at6native12_GLOBAL__N_18offset_tEEE10hipError_tPvRmT1_PNSt15iterator_traitsISK_E10value_typeET2_T3_PNSL_ISQ_E10value_typeET4_jRbjT5_SW_jjP12ihipStream_tbEUlT_E1_NS1_11comp_targetILNS1_3genE4ELNS1_11target_archE910ELNS1_3gpuE8ELNS1_3repE0EEENS1_59segmented_radix_sort_warp_sort_small_config_static_selectorELNS0_4arch9wavefront6targetE0EEEvSK_,comdat
.Lfunc_end1235:
	.size	_ZN7rocprim17ROCPRIM_400000_NS6detail17trampoline_kernelINS0_14default_configENS1_36segmented_radix_sort_config_selectorIdlEEZNS1_25segmented_radix_sort_implIS3_Lb0EPKdPdPKlPlN2at6native12_GLOBAL__N_18offset_tEEE10hipError_tPvRmT1_PNSt15iterator_traitsISK_E10value_typeET2_T3_PNSL_ISQ_E10value_typeET4_jRbjT5_SW_jjP12ihipStream_tbEUlT_E1_NS1_11comp_targetILNS1_3genE4ELNS1_11target_archE910ELNS1_3gpuE8ELNS1_3repE0EEENS1_59segmented_radix_sort_warp_sort_small_config_static_selectorELNS0_4arch9wavefront6targetE0EEEvSK_, .Lfunc_end1235-_ZN7rocprim17ROCPRIM_400000_NS6detail17trampoline_kernelINS0_14default_configENS1_36segmented_radix_sort_config_selectorIdlEEZNS1_25segmented_radix_sort_implIS3_Lb0EPKdPdPKlPlN2at6native12_GLOBAL__N_18offset_tEEE10hipError_tPvRmT1_PNSt15iterator_traitsISK_E10value_typeET2_T3_PNSL_ISQ_E10value_typeET4_jRbjT5_SW_jjP12ihipStream_tbEUlT_E1_NS1_11comp_targetILNS1_3genE4ELNS1_11target_archE910ELNS1_3gpuE8ELNS1_3repE0EEENS1_59segmented_radix_sort_warp_sort_small_config_static_selectorELNS0_4arch9wavefront6targetE0EEEvSK_
                                        ; -- End function
	.set _ZN7rocprim17ROCPRIM_400000_NS6detail17trampoline_kernelINS0_14default_configENS1_36segmented_radix_sort_config_selectorIdlEEZNS1_25segmented_radix_sort_implIS3_Lb0EPKdPdPKlPlN2at6native12_GLOBAL__N_18offset_tEEE10hipError_tPvRmT1_PNSt15iterator_traitsISK_E10value_typeET2_T3_PNSL_ISQ_E10value_typeET4_jRbjT5_SW_jjP12ihipStream_tbEUlT_E1_NS1_11comp_targetILNS1_3genE4ELNS1_11target_archE910ELNS1_3gpuE8ELNS1_3repE0EEENS1_59segmented_radix_sort_warp_sort_small_config_static_selectorELNS0_4arch9wavefront6targetE0EEEvSK_.num_vgpr, 0
	.set _ZN7rocprim17ROCPRIM_400000_NS6detail17trampoline_kernelINS0_14default_configENS1_36segmented_radix_sort_config_selectorIdlEEZNS1_25segmented_radix_sort_implIS3_Lb0EPKdPdPKlPlN2at6native12_GLOBAL__N_18offset_tEEE10hipError_tPvRmT1_PNSt15iterator_traitsISK_E10value_typeET2_T3_PNSL_ISQ_E10value_typeET4_jRbjT5_SW_jjP12ihipStream_tbEUlT_E1_NS1_11comp_targetILNS1_3genE4ELNS1_11target_archE910ELNS1_3gpuE8ELNS1_3repE0EEENS1_59segmented_radix_sort_warp_sort_small_config_static_selectorELNS0_4arch9wavefront6targetE0EEEvSK_.num_agpr, 0
	.set _ZN7rocprim17ROCPRIM_400000_NS6detail17trampoline_kernelINS0_14default_configENS1_36segmented_radix_sort_config_selectorIdlEEZNS1_25segmented_radix_sort_implIS3_Lb0EPKdPdPKlPlN2at6native12_GLOBAL__N_18offset_tEEE10hipError_tPvRmT1_PNSt15iterator_traitsISK_E10value_typeET2_T3_PNSL_ISQ_E10value_typeET4_jRbjT5_SW_jjP12ihipStream_tbEUlT_E1_NS1_11comp_targetILNS1_3genE4ELNS1_11target_archE910ELNS1_3gpuE8ELNS1_3repE0EEENS1_59segmented_radix_sort_warp_sort_small_config_static_selectorELNS0_4arch9wavefront6targetE0EEEvSK_.numbered_sgpr, 0
	.set _ZN7rocprim17ROCPRIM_400000_NS6detail17trampoline_kernelINS0_14default_configENS1_36segmented_radix_sort_config_selectorIdlEEZNS1_25segmented_radix_sort_implIS3_Lb0EPKdPdPKlPlN2at6native12_GLOBAL__N_18offset_tEEE10hipError_tPvRmT1_PNSt15iterator_traitsISK_E10value_typeET2_T3_PNSL_ISQ_E10value_typeET4_jRbjT5_SW_jjP12ihipStream_tbEUlT_E1_NS1_11comp_targetILNS1_3genE4ELNS1_11target_archE910ELNS1_3gpuE8ELNS1_3repE0EEENS1_59segmented_radix_sort_warp_sort_small_config_static_selectorELNS0_4arch9wavefront6targetE0EEEvSK_.num_named_barrier, 0
	.set _ZN7rocprim17ROCPRIM_400000_NS6detail17trampoline_kernelINS0_14default_configENS1_36segmented_radix_sort_config_selectorIdlEEZNS1_25segmented_radix_sort_implIS3_Lb0EPKdPdPKlPlN2at6native12_GLOBAL__N_18offset_tEEE10hipError_tPvRmT1_PNSt15iterator_traitsISK_E10value_typeET2_T3_PNSL_ISQ_E10value_typeET4_jRbjT5_SW_jjP12ihipStream_tbEUlT_E1_NS1_11comp_targetILNS1_3genE4ELNS1_11target_archE910ELNS1_3gpuE8ELNS1_3repE0EEENS1_59segmented_radix_sort_warp_sort_small_config_static_selectorELNS0_4arch9wavefront6targetE0EEEvSK_.private_seg_size, 0
	.set _ZN7rocprim17ROCPRIM_400000_NS6detail17trampoline_kernelINS0_14default_configENS1_36segmented_radix_sort_config_selectorIdlEEZNS1_25segmented_radix_sort_implIS3_Lb0EPKdPdPKlPlN2at6native12_GLOBAL__N_18offset_tEEE10hipError_tPvRmT1_PNSt15iterator_traitsISK_E10value_typeET2_T3_PNSL_ISQ_E10value_typeET4_jRbjT5_SW_jjP12ihipStream_tbEUlT_E1_NS1_11comp_targetILNS1_3genE4ELNS1_11target_archE910ELNS1_3gpuE8ELNS1_3repE0EEENS1_59segmented_radix_sort_warp_sort_small_config_static_selectorELNS0_4arch9wavefront6targetE0EEEvSK_.uses_vcc, 0
	.set _ZN7rocprim17ROCPRIM_400000_NS6detail17trampoline_kernelINS0_14default_configENS1_36segmented_radix_sort_config_selectorIdlEEZNS1_25segmented_radix_sort_implIS3_Lb0EPKdPdPKlPlN2at6native12_GLOBAL__N_18offset_tEEE10hipError_tPvRmT1_PNSt15iterator_traitsISK_E10value_typeET2_T3_PNSL_ISQ_E10value_typeET4_jRbjT5_SW_jjP12ihipStream_tbEUlT_E1_NS1_11comp_targetILNS1_3genE4ELNS1_11target_archE910ELNS1_3gpuE8ELNS1_3repE0EEENS1_59segmented_radix_sort_warp_sort_small_config_static_selectorELNS0_4arch9wavefront6targetE0EEEvSK_.uses_flat_scratch, 0
	.set _ZN7rocprim17ROCPRIM_400000_NS6detail17trampoline_kernelINS0_14default_configENS1_36segmented_radix_sort_config_selectorIdlEEZNS1_25segmented_radix_sort_implIS3_Lb0EPKdPdPKlPlN2at6native12_GLOBAL__N_18offset_tEEE10hipError_tPvRmT1_PNSt15iterator_traitsISK_E10value_typeET2_T3_PNSL_ISQ_E10value_typeET4_jRbjT5_SW_jjP12ihipStream_tbEUlT_E1_NS1_11comp_targetILNS1_3genE4ELNS1_11target_archE910ELNS1_3gpuE8ELNS1_3repE0EEENS1_59segmented_radix_sort_warp_sort_small_config_static_selectorELNS0_4arch9wavefront6targetE0EEEvSK_.has_dyn_sized_stack, 0
	.set _ZN7rocprim17ROCPRIM_400000_NS6detail17trampoline_kernelINS0_14default_configENS1_36segmented_radix_sort_config_selectorIdlEEZNS1_25segmented_radix_sort_implIS3_Lb0EPKdPdPKlPlN2at6native12_GLOBAL__N_18offset_tEEE10hipError_tPvRmT1_PNSt15iterator_traitsISK_E10value_typeET2_T3_PNSL_ISQ_E10value_typeET4_jRbjT5_SW_jjP12ihipStream_tbEUlT_E1_NS1_11comp_targetILNS1_3genE4ELNS1_11target_archE910ELNS1_3gpuE8ELNS1_3repE0EEENS1_59segmented_radix_sort_warp_sort_small_config_static_selectorELNS0_4arch9wavefront6targetE0EEEvSK_.has_recursion, 0
	.set _ZN7rocprim17ROCPRIM_400000_NS6detail17trampoline_kernelINS0_14default_configENS1_36segmented_radix_sort_config_selectorIdlEEZNS1_25segmented_radix_sort_implIS3_Lb0EPKdPdPKlPlN2at6native12_GLOBAL__N_18offset_tEEE10hipError_tPvRmT1_PNSt15iterator_traitsISK_E10value_typeET2_T3_PNSL_ISQ_E10value_typeET4_jRbjT5_SW_jjP12ihipStream_tbEUlT_E1_NS1_11comp_targetILNS1_3genE4ELNS1_11target_archE910ELNS1_3gpuE8ELNS1_3repE0EEENS1_59segmented_radix_sort_warp_sort_small_config_static_selectorELNS0_4arch9wavefront6targetE0EEEvSK_.has_indirect_call, 0
	.section	.AMDGPU.csdata,"",@progbits
; Kernel info:
; codeLenInByte = 0
; TotalNumSgprs: 0
; NumVgprs: 0
; ScratchSize: 0
; MemoryBound: 0
; FloatMode: 240
; IeeeMode: 1
; LDSByteSize: 0 bytes/workgroup (compile time only)
; SGPRBlocks: 0
; VGPRBlocks: 0
; NumSGPRsForWavesPerEU: 1
; NumVGPRsForWavesPerEU: 1
; Occupancy: 16
; WaveLimiterHint : 0
; COMPUTE_PGM_RSRC2:SCRATCH_EN: 0
; COMPUTE_PGM_RSRC2:USER_SGPR: 6
; COMPUTE_PGM_RSRC2:TRAP_HANDLER: 0
; COMPUTE_PGM_RSRC2:TGID_X_EN: 1
; COMPUTE_PGM_RSRC2:TGID_Y_EN: 0
; COMPUTE_PGM_RSRC2:TGID_Z_EN: 0
; COMPUTE_PGM_RSRC2:TIDIG_COMP_CNT: 0
	.section	.text._ZN7rocprim17ROCPRIM_400000_NS6detail17trampoline_kernelINS0_14default_configENS1_36segmented_radix_sort_config_selectorIdlEEZNS1_25segmented_radix_sort_implIS3_Lb0EPKdPdPKlPlN2at6native12_GLOBAL__N_18offset_tEEE10hipError_tPvRmT1_PNSt15iterator_traitsISK_E10value_typeET2_T3_PNSL_ISQ_E10value_typeET4_jRbjT5_SW_jjP12ihipStream_tbEUlT_E1_NS1_11comp_targetILNS1_3genE3ELNS1_11target_archE908ELNS1_3gpuE7ELNS1_3repE0EEENS1_59segmented_radix_sort_warp_sort_small_config_static_selectorELNS0_4arch9wavefront6targetE0EEEvSK_,"axG",@progbits,_ZN7rocprim17ROCPRIM_400000_NS6detail17trampoline_kernelINS0_14default_configENS1_36segmented_radix_sort_config_selectorIdlEEZNS1_25segmented_radix_sort_implIS3_Lb0EPKdPdPKlPlN2at6native12_GLOBAL__N_18offset_tEEE10hipError_tPvRmT1_PNSt15iterator_traitsISK_E10value_typeET2_T3_PNSL_ISQ_E10value_typeET4_jRbjT5_SW_jjP12ihipStream_tbEUlT_E1_NS1_11comp_targetILNS1_3genE3ELNS1_11target_archE908ELNS1_3gpuE7ELNS1_3repE0EEENS1_59segmented_radix_sort_warp_sort_small_config_static_selectorELNS0_4arch9wavefront6targetE0EEEvSK_,comdat
	.globl	_ZN7rocprim17ROCPRIM_400000_NS6detail17trampoline_kernelINS0_14default_configENS1_36segmented_radix_sort_config_selectorIdlEEZNS1_25segmented_radix_sort_implIS3_Lb0EPKdPdPKlPlN2at6native12_GLOBAL__N_18offset_tEEE10hipError_tPvRmT1_PNSt15iterator_traitsISK_E10value_typeET2_T3_PNSL_ISQ_E10value_typeET4_jRbjT5_SW_jjP12ihipStream_tbEUlT_E1_NS1_11comp_targetILNS1_3genE3ELNS1_11target_archE908ELNS1_3gpuE7ELNS1_3repE0EEENS1_59segmented_radix_sort_warp_sort_small_config_static_selectorELNS0_4arch9wavefront6targetE0EEEvSK_ ; -- Begin function _ZN7rocprim17ROCPRIM_400000_NS6detail17trampoline_kernelINS0_14default_configENS1_36segmented_radix_sort_config_selectorIdlEEZNS1_25segmented_radix_sort_implIS3_Lb0EPKdPdPKlPlN2at6native12_GLOBAL__N_18offset_tEEE10hipError_tPvRmT1_PNSt15iterator_traitsISK_E10value_typeET2_T3_PNSL_ISQ_E10value_typeET4_jRbjT5_SW_jjP12ihipStream_tbEUlT_E1_NS1_11comp_targetILNS1_3genE3ELNS1_11target_archE908ELNS1_3gpuE7ELNS1_3repE0EEENS1_59segmented_radix_sort_warp_sort_small_config_static_selectorELNS0_4arch9wavefront6targetE0EEEvSK_
	.p2align	8
	.type	_ZN7rocprim17ROCPRIM_400000_NS6detail17trampoline_kernelINS0_14default_configENS1_36segmented_radix_sort_config_selectorIdlEEZNS1_25segmented_radix_sort_implIS3_Lb0EPKdPdPKlPlN2at6native12_GLOBAL__N_18offset_tEEE10hipError_tPvRmT1_PNSt15iterator_traitsISK_E10value_typeET2_T3_PNSL_ISQ_E10value_typeET4_jRbjT5_SW_jjP12ihipStream_tbEUlT_E1_NS1_11comp_targetILNS1_3genE3ELNS1_11target_archE908ELNS1_3gpuE7ELNS1_3repE0EEENS1_59segmented_radix_sort_warp_sort_small_config_static_selectorELNS0_4arch9wavefront6targetE0EEEvSK_,@function
_ZN7rocprim17ROCPRIM_400000_NS6detail17trampoline_kernelINS0_14default_configENS1_36segmented_radix_sort_config_selectorIdlEEZNS1_25segmented_radix_sort_implIS3_Lb0EPKdPdPKlPlN2at6native12_GLOBAL__N_18offset_tEEE10hipError_tPvRmT1_PNSt15iterator_traitsISK_E10value_typeET2_T3_PNSL_ISQ_E10value_typeET4_jRbjT5_SW_jjP12ihipStream_tbEUlT_E1_NS1_11comp_targetILNS1_3genE3ELNS1_11target_archE908ELNS1_3gpuE7ELNS1_3repE0EEENS1_59segmented_radix_sort_warp_sort_small_config_static_selectorELNS0_4arch9wavefront6targetE0EEEvSK_: ; @_ZN7rocprim17ROCPRIM_400000_NS6detail17trampoline_kernelINS0_14default_configENS1_36segmented_radix_sort_config_selectorIdlEEZNS1_25segmented_radix_sort_implIS3_Lb0EPKdPdPKlPlN2at6native12_GLOBAL__N_18offset_tEEE10hipError_tPvRmT1_PNSt15iterator_traitsISK_E10value_typeET2_T3_PNSL_ISQ_E10value_typeET4_jRbjT5_SW_jjP12ihipStream_tbEUlT_E1_NS1_11comp_targetILNS1_3genE3ELNS1_11target_archE908ELNS1_3gpuE7ELNS1_3repE0EEENS1_59segmented_radix_sort_warp_sort_small_config_static_selectorELNS0_4arch9wavefront6targetE0EEEvSK_
; %bb.0:
	.section	.rodata,"a",@progbits
	.p2align	6, 0x0
	.amdhsa_kernel _ZN7rocprim17ROCPRIM_400000_NS6detail17trampoline_kernelINS0_14default_configENS1_36segmented_radix_sort_config_selectorIdlEEZNS1_25segmented_radix_sort_implIS3_Lb0EPKdPdPKlPlN2at6native12_GLOBAL__N_18offset_tEEE10hipError_tPvRmT1_PNSt15iterator_traitsISK_E10value_typeET2_T3_PNSL_ISQ_E10value_typeET4_jRbjT5_SW_jjP12ihipStream_tbEUlT_E1_NS1_11comp_targetILNS1_3genE3ELNS1_11target_archE908ELNS1_3gpuE7ELNS1_3repE0EEENS1_59segmented_radix_sort_warp_sort_small_config_static_selectorELNS0_4arch9wavefront6targetE0EEEvSK_
		.amdhsa_group_segment_fixed_size 0
		.amdhsa_private_segment_fixed_size 0
		.amdhsa_kernarg_size 88
		.amdhsa_user_sgpr_count 6
		.amdhsa_user_sgpr_private_segment_buffer 1
		.amdhsa_user_sgpr_dispatch_ptr 0
		.amdhsa_user_sgpr_queue_ptr 0
		.amdhsa_user_sgpr_kernarg_segment_ptr 1
		.amdhsa_user_sgpr_dispatch_id 0
		.amdhsa_user_sgpr_flat_scratch_init 0
		.amdhsa_user_sgpr_private_segment_size 0
		.amdhsa_wavefront_size32 1
		.amdhsa_uses_dynamic_stack 0
		.amdhsa_system_sgpr_private_segment_wavefront_offset 0
		.amdhsa_system_sgpr_workgroup_id_x 1
		.amdhsa_system_sgpr_workgroup_id_y 0
		.amdhsa_system_sgpr_workgroup_id_z 0
		.amdhsa_system_sgpr_workgroup_info 0
		.amdhsa_system_vgpr_workitem_id 0
		.amdhsa_next_free_vgpr 1
		.amdhsa_next_free_sgpr 1
		.amdhsa_reserve_vcc 0
		.amdhsa_reserve_flat_scratch 0
		.amdhsa_float_round_mode_32 0
		.amdhsa_float_round_mode_16_64 0
		.amdhsa_float_denorm_mode_32 3
		.amdhsa_float_denorm_mode_16_64 3
		.amdhsa_dx10_clamp 1
		.amdhsa_ieee_mode 1
		.amdhsa_fp16_overflow 0
		.amdhsa_workgroup_processor_mode 1
		.amdhsa_memory_ordered 1
		.amdhsa_forward_progress 1
		.amdhsa_shared_vgpr_count 0
		.amdhsa_exception_fp_ieee_invalid_op 0
		.amdhsa_exception_fp_denorm_src 0
		.amdhsa_exception_fp_ieee_div_zero 0
		.amdhsa_exception_fp_ieee_overflow 0
		.amdhsa_exception_fp_ieee_underflow 0
		.amdhsa_exception_fp_ieee_inexact 0
		.amdhsa_exception_int_div_zero 0
	.end_amdhsa_kernel
	.section	.text._ZN7rocprim17ROCPRIM_400000_NS6detail17trampoline_kernelINS0_14default_configENS1_36segmented_radix_sort_config_selectorIdlEEZNS1_25segmented_radix_sort_implIS3_Lb0EPKdPdPKlPlN2at6native12_GLOBAL__N_18offset_tEEE10hipError_tPvRmT1_PNSt15iterator_traitsISK_E10value_typeET2_T3_PNSL_ISQ_E10value_typeET4_jRbjT5_SW_jjP12ihipStream_tbEUlT_E1_NS1_11comp_targetILNS1_3genE3ELNS1_11target_archE908ELNS1_3gpuE7ELNS1_3repE0EEENS1_59segmented_radix_sort_warp_sort_small_config_static_selectorELNS0_4arch9wavefront6targetE0EEEvSK_,"axG",@progbits,_ZN7rocprim17ROCPRIM_400000_NS6detail17trampoline_kernelINS0_14default_configENS1_36segmented_radix_sort_config_selectorIdlEEZNS1_25segmented_radix_sort_implIS3_Lb0EPKdPdPKlPlN2at6native12_GLOBAL__N_18offset_tEEE10hipError_tPvRmT1_PNSt15iterator_traitsISK_E10value_typeET2_T3_PNSL_ISQ_E10value_typeET4_jRbjT5_SW_jjP12ihipStream_tbEUlT_E1_NS1_11comp_targetILNS1_3genE3ELNS1_11target_archE908ELNS1_3gpuE7ELNS1_3repE0EEENS1_59segmented_radix_sort_warp_sort_small_config_static_selectorELNS0_4arch9wavefront6targetE0EEEvSK_,comdat
.Lfunc_end1236:
	.size	_ZN7rocprim17ROCPRIM_400000_NS6detail17trampoline_kernelINS0_14default_configENS1_36segmented_radix_sort_config_selectorIdlEEZNS1_25segmented_radix_sort_implIS3_Lb0EPKdPdPKlPlN2at6native12_GLOBAL__N_18offset_tEEE10hipError_tPvRmT1_PNSt15iterator_traitsISK_E10value_typeET2_T3_PNSL_ISQ_E10value_typeET4_jRbjT5_SW_jjP12ihipStream_tbEUlT_E1_NS1_11comp_targetILNS1_3genE3ELNS1_11target_archE908ELNS1_3gpuE7ELNS1_3repE0EEENS1_59segmented_radix_sort_warp_sort_small_config_static_selectorELNS0_4arch9wavefront6targetE0EEEvSK_, .Lfunc_end1236-_ZN7rocprim17ROCPRIM_400000_NS6detail17trampoline_kernelINS0_14default_configENS1_36segmented_radix_sort_config_selectorIdlEEZNS1_25segmented_radix_sort_implIS3_Lb0EPKdPdPKlPlN2at6native12_GLOBAL__N_18offset_tEEE10hipError_tPvRmT1_PNSt15iterator_traitsISK_E10value_typeET2_T3_PNSL_ISQ_E10value_typeET4_jRbjT5_SW_jjP12ihipStream_tbEUlT_E1_NS1_11comp_targetILNS1_3genE3ELNS1_11target_archE908ELNS1_3gpuE7ELNS1_3repE0EEENS1_59segmented_radix_sort_warp_sort_small_config_static_selectorELNS0_4arch9wavefront6targetE0EEEvSK_
                                        ; -- End function
	.set _ZN7rocprim17ROCPRIM_400000_NS6detail17trampoline_kernelINS0_14default_configENS1_36segmented_radix_sort_config_selectorIdlEEZNS1_25segmented_radix_sort_implIS3_Lb0EPKdPdPKlPlN2at6native12_GLOBAL__N_18offset_tEEE10hipError_tPvRmT1_PNSt15iterator_traitsISK_E10value_typeET2_T3_PNSL_ISQ_E10value_typeET4_jRbjT5_SW_jjP12ihipStream_tbEUlT_E1_NS1_11comp_targetILNS1_3genE3ELNS1_11target_archE908ELNS1_3gpuE7ELNS1_3repE0EEENS1_59segmented_radix_sort_warp_sort_small_config_static_selectorELNS0_4arch9wavefront6targetE0EEEvSK_.num_vgpr, 0
	.set _ZN7rocprim17ROCPRIM_400000_NS6detail17trampoline_kernelINS0_14default_configENS1_36segmented_radix_sort_config_selectorIdlEEZNS1_25segmented_radix_sort_implIS3_Lb0EPKdPdPKlPlN2at6native12_GLOBAL__N_18offset_tEEE10hipError_tPvRmT1_PNSt15iterator_traitsISK_E10value_typeET2_T3_PNSL_ISQ_E10value_typeET4_jRbjT5_SW_jjP12ihipStream_tbEUlT_E1_NS1_11comp_targetILNS1_3genE3ELNS1_11target_archE908ELNS1_3gpuE7ELNS1_3repE0EEENS1_59segmented_radix_sort_warp_sort_small_config_static_selectorELNS0_4arch9wavefront6targetE0EEEvSK_.num_agpr, 0
	.set _ZN7rocprim17ROCPRIM_400000_NS6detail17trampoline_kernelINS0_14default_configENS1_36segmented_radix_sort_config_selectorIdlEEZNS1_25segmented_radix_sort_implIS3_Lb0EPKdPdPKlPlN2at6native12_GLOBAL__N_18offset_tEEE10hipError_tPvRmT1_PNSt15iterator_traitsISK_E10value_typeET2_T3_PNSL_ISQ_E10value_typeET4_jRbjT5_SW_jjP12ihipStream_tbEUlT_E1_NS1_11comp_targetILNS1_3genE3ELNS1_11target_archE908ELNS1_3gpuE7ELNS1_3repE0EEENS1_59segmented_radix_sort_warp_sort_small_config_static_selectorELNS0_4arch9wavefront6targetE0EEEvSK_.numbered_sgpr, 0
	.set _ZN7rocprim17ROCPRIM_400000_NS6detail17trampoline_kernelINS0_14default_configENS1_36segmented_radix_sort_config_selectorIdlEEZNS1_25segmented_radix_sort_implIS3_Lb0EPKdPdPKlPlN2at6native12_GLOBAL__N_18offset_tEEE10hipError_tPvRmT1_PNSt15iterator_traitsISK_E10value_typeET2_T3_PNSL_ISQ_E10value_typeET4_jRbjT5_SW_jjP12ihipStream_tbEUlT_E1_NS1_11comp_targetILNS1_3genE3ELNS1_11target_archE908ELNS1_3gpuE7ELNS1_3repE0EEENS1_59segmented_radix_sort_warp_sort_small_config_static_selectorELNS0_4arch9wavefront6targetE0EEEvSK_.num_named_barrier, 0
	.set _ZN7rocprim17ROCPRIM_400000_NS6detail17trampoline_kernelINS0_14default_configENS1_36segmented_radix_sort_config_selectorIdlEEZNS1_25segmented_radix_sort_implIS3_Lb0EPKdPdPKlPlN2at6native12_GLOBAL__N_18offset_tEEE10hipError_tPvRmT1_PNSt15iterator_traitsISK_E10value_typeET2_T3_PNSL_ISQ_E10value_typeET4_jRbjT5_SW_jjP12ihipStream_tbEUlT_E1_NS1_11comp_targetILNS1_3genE3ELNS1_11target_archE908ELNS1_3gpuE7ELNS1_3repE0EEENS1_59segmented_radix_sort_warp_sort_small_config_static_selectorELNS0_4arch9wavefront6targetE0EEEvSK_.private_seg_size, 0
	.set _ZN7rocprim17ROCPRIM_400000_NS6detail17trampoline_kernelINS0_14default_configENS1_36segmented_radix_sort_config_selectorIdlEEZNS1_25segmented_radix_sort_implIS3_Lb0EPKdPdPKlPlN2at6native12_GLOBAL__N_18offset_tEEE10hipError_tPvRmT1_PNSt15iterator_traitsISK_E10value_typeET2_T3_PNSL_ISQ_E10value_typeET4_jRbjT5_SW_jjP12ihipStream_tbEUlT_E1_NS1_11comp_targetILNS1_3genE3ELNS1_11target_archE908ELNS1_3gpuE7ELNS1_3repE0EEENS1_59segmented_radix_sort_warp_sort_small_config_static_selectorELNS0_4arch9wavefront6targetE0EEEvSK_.uses_vcc, 0
	.set _ZN7rocprim17ROCPRIM_400000_NS6detail17trampoline_kernelINS0_14default_configENS1_36segmented_radix_sort_config_selectorIdlEEZNS1_25segmented_radix_sort_implIS3_Lb0EPKdPdPKlPlN2at6native12_GLOBAL__N_18offset_tEEE10hipError_tPvRmT1_PNSt15iterator_traitsISK_E10value_typeET2_T3_PNSL_ISQ_E10value_typeET4_jRbjT5_SW_jjP12ihipStream_tbEUlT_E1_NS1_11comp_targetILNS1_3genE3ELNS1_11target_archE908ELNS1_3gpuE7ELNS1_3repE0EEENS1_59segmented_radix_sort_warp_sort_small_config_static_selectorELNS0_4arch9wavefront6targetE0EEEvSK_.uses_flat_scratch, 0
	.set _ZN7rocprim17ROCPRIM_400000_NS6detail17trampoline_kernelINS0_14default_configENS1_36segmented_radix_sort_config_selectorIdlEEZNS1_25segmented_radix_sort_implIS3_Lb0EPKdPdPKlPlN2at6native12_GLOBAL__N_18offset_tEEE10hipError_tPvRmT1_PNSt15iterator_traitsISK_E10value_typeET2_T3_PNSL_ISQ_E10value_typeET4_jRbjT5_SW_jjP12ihipStream_tbEUlT_E1_NS1_11comp_targetILNS1_3genE3ELNS1_11target_archE908ELNS1_3gpuE7ELNS1_3repE0EEENS1_59segmented_radix_sort_warp_sort_small_config_static_selectorELNS0_4arch9wavefront6targetE0EEEvSK_.has_dyn_sized_stack, 0
	.set _ZN7rocprim17ROCPRIM_400000_NS6detail17trampoline_kernelINS0_14default_configENS1_36segmented_radix_sort_config_selectorIdlEEZNS1_25segmented_radix_sort_implIS3_Lb0EPKdPdPKlPlN2at6native12_GLOBAL__N_18offset_tEEE10hipError_tPvRmT1_PNSt15iterator_traitsISK_E10value_typeET2_T3_PNSL_ISQ_E10value_typeET4_jRbjT5_SW_jjP12ihipStream_tbEUlT_E1_NS1_11comp_targetILNS1_3genE3ELNS1_11target_archE908ELNS1_3gpuE7ELNS1_3repE0EEENS1_59segmented_radix_sort_warp_sort_small_config_static_selectorELNS0_4arch9wavefront6targetE0EEEvSK_.has_recursion, 0
	.set _ZN7rocprim17ROCPRIM_400000_NS6detail17trampoline_kernelINS0_14default_configENS1_36segmented_radix_sort_config_selectorIdlEEZNS1_25segmented_radix_sort_implIS3_Lb0EPKdPdPKlPlN2at6native12_GLOBAL__N_18offset_tEEE10hipError_tPvRmT1_PNSt15iterator_traitsISK_E10value_typeET2_T3_PNSL_ISQ_E10value_typeET4_jRbjT5_SW_jjP12ihipStream_tbEUlT_E1_NS1_11comp_targetILNS1_3genE3ELNS1_11target_archE908ELNS1_3gpuE7ELNS1_3repE0EEENS1_59segmented_radix_sort_warp_sort_small_config_static_selectorELNS0_4arch9wavefront6targetE0EEEvSK_.has_indirect_call, 0
	.section	.AMDGPU.csdata,"",@progbits
; Kernel info:
; codeLenInByte = 0
; TotalNumSgprs: 0
; NumVgprs: 0
; ScratchSize: 0
; MemoryBound: 0
; FloatMode: 240
; IeeeMode: 1
; LDSByteSize: 0 bytes/workgroup (compile time only)
; SGPRBlocks: 0
; VGPRBlocks: 0
; NumSGPRsForWavesPerEU: 1
; NumVGPRsForWavesPerEU: 1
; Occupancy: 16
; WaveLimiterHint : 0
; COMPUTE_PGM_RSRC2:SCRATCH_EN: 0
; COMPUTE_PGM_RSRC2:USER_SGPR: 6
; COMPUTE_PGM_RSRC2:TRAP_HANDLER: 0
; COMPUTE_PGM_RSRC2:TGID_X_EN: 1
; COMPUTE_PGM_RSRC2:TGID_Y_EN: 0
; COMPUTE_PGM_RSRC2:TGID_Z_EN: 0
; COMPUTE_PGM_RSRC2:TIDIG_COMP_CNT: 0
	.section	.text._ZN7rocprim17ROCPRIM_400000_NS6detail17trampoline_kernelINS0_14default_configENS1_36segmented_radix_sort_config_selectorIdlEEZNS1_25segmented_radix_sort_implIS3_Lb0EPKdPdPKlPlN2at6native12_GLOBAL__N_18offset_tEEE10hipError_tPvRmT1_PNSt15iterator_traitsISK_E10value_typeET2_T3_PNSL_ISQ_E10value_typeET4_jRbjT5_SW_jjP12ihipStream_tbEUlT_E1_NS1_11comp_targetILNS1_3genE2ELNS1_11target_archE906ELNS1_3gpuE6ELNS1_3repE0EEENS1_59segmented_radix_sort_warp_sort_small_config_static_selectorELNS0_4arch9wavefront6targetE0EEEvSK_,"axG",@progbits,_ZN7rocprim17ROCPRIM_400000_NS6detail17trampoline_kernelINS0_14default_configENS1_36segmented_radix_sort_config_selectorIdlEEZNS1_25segmented_radix_sort_implIS3_Lb0EPKdPdPKlPlN2at6native12_GLOBAL__N_18offset_tEEE10hipError_tPvRmT1_PNSt15iterator_traitsISK_E10value_typeET2_T3_PNSL_ISQ_E10value_typeET4_jRbjT5_SW_jjP12ihipStream_tbEUlT_E1_NS1_11comp_targetILNS1_3genE2ELNS1_11target_archE906ELNS1_3gpuE6ELNS1_3repE0EEENS1_59segmented_radix_sort_warp_sort_small_config_static_selectorELNS0_4arch9wavefront6targetE0EEEvSK_,comdat
	.globl	_ZN7rocprim17ROCPRIM_400000_NS6detail17trampoline_kernelINS0_14default_configENS1_36segmented_radix_sort_config_selectorIdlEEZNS1_25segmented_radix_sort_implIS3_Lb0EPKdPdPKlPlN2at6native12_GLOBAL__N_18offset_tEEE10hipError_tPvRmT1_PNSt15iterator_traitsISK_E10value_typeET2_T3_PNSL_ISQ_E10value_typeET4_jRbjT5_SW_jjP12ihipStream_tbEUlT_E1_NS1_11comp_targetILNS1_3genE2ELNS1_11target_archE906ELNS1_3gpuE6ELNS1_3repE0EEENS1_59segmented_radix_sort_warp_sort_small_config_static_selectorELNS0_4arch9wavefront6targetE0EEEvSK_ ; -- Begin function _ZN7rocprim17ROCPRIM_400000_NS6detail17trampoline_kernelINS0_14default_configENS1_36segmented_radix_sort_config_selectorIdlEEZNS1_25segmented_radix_sort_implIS3_Lb0EPKdPdPKlPlN2at6native12_GLOBAL__N_18offset_tEEE10hipError_tPvRmT1_PNSt15iterator_traitsISK_E10value_typeET2_T3_PNSL_ISQ_E10value_typeET4_jRbjT5_SW_jjP12ihipStream_tbEUlT_E1_NS1_11comp_targetILNS1_3genE2ELNS1_11target_archE906ELNS1_3gpuE6ELNS1_3repE0EEENS1_59segmented_radix_sort_warp_sort_small_config_static_selectorELNS0_4arch9wavefront6targetE0EEEvSK_
	.p2align	8
	.type	_ZN7rocprim17ROCPRIM_400000_NS6detail17trampoline_kernelINS0_14default_configENS1_36segmented_radix_sort_config_selectorIdlEEZNS1_25segmented_radix_sort_implIS3_Lb0EPKdPdPKlPlN2at6native12_GLOBAL__N_18offset_tEEE10hipError_tPvRmT1_PNSt15iterator_traitsISK_E10value_typeET2_T3_PNSL_ISQ_E10value_typeET4_jRbjT5_SW_jjP12ihipStream_tbEUlT_E1_NS1_11comp_targetILNS1_3genE2ELNS1_11target_archE906ELNS1_3gpuE6ELNS1_3repE0EEENS1_59segmented_radix_sort_warp_sort_small_config_static_selectorELNS0_4arch9wavefront6targetE0EEEvSK_,@function
_ZN7rocprim17ROCPRIM_400000_NS6detail17trampoline_kernelINS0_14default_configENS1_36segmented_radix_sort_config_selectorIdlEEZNS1_25segmented_radix_sort_implIS3_Lb0EPKdPdPKlPlN2at6native12_GLOBAL__N_18offset_tEEE10hipError_tPvRmT1_PNSt15iterator_traitsISK_E10value_typeET2_T3_PNSL_ISQ_E10value_typeET4_jRbjT5_SW_jjP12ihipStream_tbEUlT_E1_NS1_11comp_targetILNS1_3genE2ELNS1_11target_archE906ELNS1_3gpuE6ELNS1_3repE0EEENS1_59segmented_radix_sort_warp_sort_small_config_static_selectorELNS0_4arch9wavefront6targetE0EEEvSK_: ; @_ZN7rocprim17ROCPRIM_400000_NS6detail17trampoline_kernelINS0_14default_configENS1_36segmented_radix_sort_config_selectorIdlEEZNS1_25segmented_radix_sort_implIS3_Lb0EPKdPdPKlPlN2at6native12_GLOBAL__N_18offset_tEEE10hipError_tPvRmT1_PNSt15iterator_traitsISK_E10value_typeET2_T3_PNSL_ISQ_E10value_typeET4_jRbjT5_SW_jjP12ihipStream_tbEUlT_E1_NS1_11comp_targetILNS1_3genE2ELNS1_11target_archE906ELNS1_3gpuE6ELNS1_3repE0EEENS1_59segmented_radix_sort_warp_sort_small_config_static_selectorELNS0_4arch9wavefront6targetE0EEEvSK_
; %bb.0:
	.section	.rodata,"a",@progbits
	.p2align	6, 0x0
	.amdhsa_kernel _ZN7rocprim17ROCPRIM_400000_NS6detail17trampoline_kernelINS0_14default_configENS1_36segmented_radix_sort_config_selectorIdlEEZNS1_25segmented_radix_sort_implIS3_Lb0EPKdPdPKlPlN2at6native12_GLOBAL__N_18offset_tEEE10hipError_tPvRmT1_PNSt15iterator_traitsISK_E10value_typeET2_T3_PNSL_ISQ_E10value_typeET4_jRbjT5_SW_jjP12ihipStream_tbEUlT_E1_NS1_11comp_targetILNS1_3genE2ELNS1_11target_archE906ELNS1_3gpuE6ELNS1_3repE0EEENS1_59segmented_radix_sort_warp_sort_small_config_static_selectorELNS0_4arch9wavefront6targetE0EEEvSK_
		.amdhsa_group_segment_fixed_size 0
		.amdhsa_private_segment_fixed_size 0
		.amdhsa_kernarg_size 88
		.amdhsa_user_sgpr_count 6
		.amdhsa_user_sgpr_private_segment_buffer 1
		.amdhsa_user_sgpr_dispatch_ptr 0
		.amdhsa_user_sgpr_queue_ptr 0
		.amdhsa_user_sgpr_kernarg_segment_ptr 1
		.amdhsa_user_sgpr_dispatch_id 0
		.amdhsa_user_sgpr_flat_scratch_init 0
		.amdhsa_user_sgpr_private_segment_size 0
		.amdhsa_wavefront_size32 1
		.amdhsa_uses_dynamic_stack 0
		.amdhsa_system_sgpr_private_segment_wavefront_offset 0
		.amdhsa_system_sgpr_workgroup_id_x 1
		.amdhsa_system_sgpr_workgroup_id_y 0
		.amdhsa_system_sgpr_workgroup_id_z 0
		.amdhsa_system_sgpr_workgroup_info 0
		.amdhsa_system_vgpr_workitem_id 0
		.amdhsa_next_free_vgpr 1
		.amdhsa_next_free_sgpr 1
		.amdhsa_reserve_vcc 0
		.amdhsa_reserve_flat_scratch 0
		.amdhsa_float_round_mode_32 0
		.amdhsa_float_round_mode_16_64 0
		.amdhsa_float_denorm_mode_32 3
		.amdhsa_float_denorm_mode_16_64 3
		.amdhsa_dx10_clamp 1
		.amdhsa_ieee_mode 1
		.amdhsa_fp16_overflow 0
		.amdhsa_workgroup_processor_mode 1
		.amdhsa_memory_ordered 1
		.amdhsa_forward_progress 1
		.amdhsa_shared_vgpr_count 0
		.amdhsa_exception_fp_ieee_invalid_op 0
		.amdhsa_exception_fp_denorm_src 0
		.amdhsa_exception_fp_ieee_div_zero 0
		.amdhsa_exception_fp_ieee_overflow 0
		.amdhsa_exception_fp_ieee_underflow 0
		.amdhsa_exception_fp_ieee_inexact 0
		.amdhsa_exception_int_div_zero 0
	.end_amdhsa_kernel
	.section	.text._ZN7rocprim17ROCPRIM_400000_NS6detail17trampoline_kernelINS0_14default_configENS1_36segmented_radix_sort_config_selectorIdlEEZNS1_25segmented_radix_sort_implIS3_Lb0EPKdPdPKlPlN2at6native12_GLOBAL__N_18offset_tEEE10hipError_tPvRmT1_PNSt15iterator_traitsISK_E10value_typeET2_T3_PNSL_ISQ_E10value_typeET4_jRbjT5_SW_jjP12ihipStream_tbEUlT_E1_NS1_11comp_targetILNS1_3genE2ELNS1_11target_archE906ELNS1_3gpuE6ELNS1_3repE0EEENS1_59segmented_radix_sort_warp_sort_small_config_static_selectorELNS0_4arch9wavefront6targetE0EEEvSK_,"axG",@progbits,_ZN7rocprim17ROCPRIM_400000_NS6detail17trampoline_kernelINS0_14default_configENS1_36segmented_radix_sort_config_selectorIdlEEZNS1_25segmented_radix_sort_implIS3_Lb0EPKdPdPKlPlN2at6native12_GLOBAL__N_18offset_tEEE10hipError_tPvRmT1_PNSt15iterator_traitsISK_E10value_typeET2_T3_PNSL_ISQ_E10value_typeET4_jRbjT5_SW_jjP12ihipStream_tbEUlT_E1_NS1_11comp_targetILNS1_3genE2ELNS1_11target_archE906ELNS1_3gpuE6ELNS1_3repE0EEENS1_59segmented_radix_sort_warp_sort_small_config_static_selectorELNS0_4arch9wavefront6targetE0EEEvSK_,comdat
.Lfunc_end1237:
	.size	_ZN7rocprim17ROCPRIM_400000_NS6detail17trampoline_kernelINS0_14default_configENS1_36segmented_radix_sort_config_selectorIdlEEZNS1_25segmented_radix_sort_implIS3_Lb0EPKdPdPKlPlN2at6native12_GLOBAL__N_18offset_tEEE10hipError_tPvRmT1_PNSt15iterator_traitsISK_E10value_typeET2_T3_PNSL_ISQ_E10value_typeET4_jRbjT5_SW_jjP12ihipStream_tbEUlT_E1_NS1_11comp_targetILNS1_3genE2ELNS1_11target_archE906ELNS1_3gpuE6ELNS1_3repE0EEENS1_59segmented_radix_sort_warp_sort_small_config_static_selectorELNS0_4arch9wavefront6targetE0EEEvSK_, .Lfunc_end1237-_ZN7rocprim17ROCPRIM_400000_NS6detail17trampoline_kernelINS0_14default_configENS1_36segmented_radix_sort_config_selectorIdlEEZNS1_25segmented_radix_sort_implIS3_Lb0EPKdPdPKlPlN2at6native12_GLOBAL__N_18offset_tEEE10hipError_tPvRmT1_PNSt15iterator_traitsISK_E10value_typeET2_T3_PNSL_ISQ_E10value_typeET4_jRbjT5_SW_jjP12ihipStream_tbEUlT_E1_NS1_11comp_targetILNS1_3genE2ELNS1_11target_archE906ELNS1_3gpuE6ELNS1_3repE0EEENS1_59segmented_radix_sort_warp_sort_small_config_static_selectorELNS0_4arch9wavefront6targetE0EEEvSK_
                                        ; -- End function
	.set _ZN7rocprim17ROCPRIM_400000_NS6detail17trampoline_kernelINS0_14default_configENS1_36segmented_radix_sort_config_selectorIdlEEZNS1_25segmented_radix_sort_implIS3_Lb0EPKdPdPKlPlN2at6native12_GLOBAL__N_18offset_tEEE10hipError_tPvRmT1_PNSt15iterator_traitsISK_E10value_typeET2_T3_PNSL_ISQ_E10value_typeET4_jRbjT5_SW_jjP12ihipStream_tbEUlT_E1_NS1_11comp_targetILNS1_3genE2ELNS1_11target_archE906ELNS1_3gpuE6ELNS1_3repE0EEENS1_59segmented_radix_sort_warp_sort_small_config_static_selectorELNS0_4arch9wavefront6targetE0EEEvSK_.num_vgpr, 0
	.set _ZN7rocprim17ROCPRIM_400000_NS6detail17trampoline_kernelINS0_14default_configENS1_36segmented_radix_sort_config_selectorIdlEEZNS1_25segmented_radix_sort_implIS3_Lb0EPKdPdPKlPlN2at6native12_GLOBAL__N_18offset_tEEE10hipError_tPvRmT1_PNSt15iterator_traitsISK_E10value_typeET2_T3_PNSL_ISQ_E10value_typeET4_jRbjT5_SW_jjP12ihipStream_tbEUlT_E1_NS1_11comp_targetILNS1_3genE2ELNS1_11target_archE906ELNS1_3gpuE6ELNS1_3repE0EEENS1_59segmented_radix_sort_warp_sort_small_config_static_selectorELNS0_4arch9wavefront6targetE0EEEvSK_.num_agpr, 0
	.set _ZN7rocprim17ROCPRIM_400000_NS6detail17trampoline_kernelINS0_14default_configENS1_36segmented_radix_sort_config_selectorIdlEEZNS1_25segmented_radix_sort_implIS3_Lb0EPKdPdPKlPlN2at6native12_GLOBAL__N_18offset_tEEE10hipError_tPvRmT1_PNSt15iterator_traitsISK_E10value_typeET2_T3_PNSL_ISQ_E10value_typeET4_jRbjT5_SW_jjP12ihipStream_tbEUlT_E1_NS1_11comp_targetILNS1_3genE2ELNS1_11target_archE906ELNS1_3gpuE6ELNS1_3repE0EEENS1_59segmented_radix_sort_warp_sort_small_config_static_selectorELNS0_4arch9wavefront6targetE0EEEvSK_.numbered_sgpr, 0
	.set _ZN7rocprim17ROCPRIM_400000_NS6detail17trampoline_kernelINS0_14default_configENS1_36segmented_radix_sort_config_selectorIdlEEZNS1_25segmented_radix_sort_implIS3_Lb0EPKdPdPKlPlN2at6native12_GLOBAL__N_18offset_tEEE10hipError_tPvRmT1_PNSt15iterator_traitsISK_E10value_typeET2_T3_PNSL_ISQ_E10value_typeET4_jRbjT5_SW_jjP12ihipStream_tbEUlT_E1_NS1_11comp_targetILNS1_3genE2ELNS1_11target_archE906ELNS1_3gpuE6ELNS1_3repE0EEENS1_59segmented_radix_sort_warp_sort_small_config_static_selectorELNS0_4arch9wavefront6targetE0EEEvSK_.num_named_barrier, 0
	.set _ZN7rocprim17ROCPRIM_400000_NS6detail17trampoline_kernelINS0_14default_configENS1_36segmented_radix_sort_config_selectorIdlEEZNS1_25segmented_radix_sort_implIS3_Lb0EPKdPdPKlPlN2at6native12_GLOBAL__N_18offset_tEEE10hipError_tPvRmT1_PNSt15iterator_traitsISK_E10value_typeET2_T3_PNSL_ISQ_E10value_typeET4_jRbjT5_SW_jjP12ihipStream_tbEUlT_E1_NS1_11comp_targetILNS1_3genE2ELNS1_11target_archE906ELNS1_3gpuE6ELNS1_3repE0EEENS1_59segmented_radix_sort_warp_sort_small_config_static_selectorELNS0_4arch9wavefront6targetE0EEEvSK_.private_seg_size, 0
	.set _ZN7rocprim17ROCPRIM_400000_NS6detail17trampoline_kernelINS0_14default_configENS1_36segmented_radix_sort_config_selectorIdlEEZNS1_25segmented_radix_sort_implIS3_Lb0EPKdPdPKlPlN2at6native12_GLOBAL__N_18offset_tEEE10hipError_tPvRmT1_PNSt15iterator_traitsISK_E10value_typeET2_T3_PNSL_ISQ_E10value_typeET4_jRbjT5_SW_jjP12ihipStream_tbEUlT_E1_NS1_11comp_targetILNS1_3genE2ELNS1_11target_archE906ELNS1_3gpuE6ELNS1_3repE0EEENS1_59segmented_radix_sort_warp_sort_small_config_static_selectorELNS0_4arch9wavefront6targetE0EEEvSK_.uses_vcc, 0
	.set _ZN7rocprim17ROCPRIM_400000_NS6detail17trampoline_kernelINS0_14default_configENS1_36segmented_radix_sort_config_selectorIdlEEZNS1_25segmented_radix_sort_implIS3_Lb0EPKdPdPKlPlN2at6native12_GLOBAL__N_18offset_tEEE10hipError_tPvRmT1_PNSt15iterator_traitsISK_E10value_typeET2_T3_PNSL_ISQ_E10value_typeET4_jRbjT5_SW_jjP12ihipStream_tbEUlT_E1_NS1_11comp_targetILNS1_3genE2ELNS1_11target_archE906ELNS1_3gpuE6ELNS1_3repE0EEENS1_59segmented_radix_sort_warp_sort_small_config_static_selectorELNS0_4arch9wavefront6targetE0EEEvSK_.uses_flat_scratch, 0
	.set _ZN7rocprim17ROCPRIM_400000_NS6detail17trampoline_kernelINS0_14default_configENS1_36segmented_radix_sort_config_selectorIdlEEZNS1_25segmented_radix_sort_implIS3_Lb0EPKdPdPKlPlN2at6native12_GLOBAL__N_18offset_tEEE10hipError_tPvRmT1_PNSt15iterator_traitsISK_E10value_typeET2_T3_PNSL_ISQ_E10value_typeET4_jRbjT5_SW_jjP12ihipStream_tbEUlT_E1_NS1_11comp_targetILNS1_3genE2ELNS1_11target_archE906ELNS1_3gpuE6ELNS1_3repE0EEENS1_59segmented_radix_sort_warp_sort_small_config_static_selectorELNS0_4arch9wavefront6targetE0EEEvSK_.has_dyn_sized_stack, 0
	.set _ZN7rocprim17ROCPRIM_400000_NS6detail17trampoline_kernelINS0_14default_configENS1_36segmented_radix_sort_config_selectorIdlEEZNS1_25segmented_radix_sort_implIS3_Lb0EPKdPdPKlPlN2at6native12_GLOBAL__N_18offset_tEEE10hipError_tPvRmT1_PNSt15iterator_traitsISK_E10value_typeET2_T3_PNSL_ISQ_E10value_typeET4_jRbjT5_SW_jjP12ihipStream_tbEUlT_E1_NS1_11comp_targetILNS1_3genE2ELNS1_11target_archE906ELNS1_3gpuE6ELNS1_3repE0EEENS1_59segmented_radix_sort_warp_sort_small_config_static_selectorELNS0_4arch9wavefront6targetE0EEEvSK_.has_recursion, 0
	.set _ZN7rocprim17ROCPRIM_400000_NS6detail17trampoline_kernelINS0_14default_configENS1_36segmented_radix_sort_config_selectorIdlEEZNS1_25segmented_radix_sort_implIS3_Lb0EPKdPdPKlPlN2at6native12_GLOBAL__N_18offset_tEEE10hipError_tPvRmT1_PNSt15iterator_traitsISK_E10value_typeET2_T3_PNSL_ISQ_E10value_typeET4_jRbjT5_SW_jjP12ihipStream_tbEUlT_E1_NS1_11comp_targetILNS1_3genE2ELNS1_11target_archE906ELNS1_3gpuE6ELNS1_3repE0EEENS1_59segmented_radix_sort_warp_sort_small_config_static_selectorELNS0_4arch9wavefront6targetE0EEEvSK_.has_indirect_call, 0
	.section	.AMDGPU.csdata,"",@progbits
; Kernel info:
; codeLenInByte = 0
; TotalNumSgprs: 0
; NumVgprs: 0
; ScratchSize: 0
; MemoryBound: 0
; FloatMode: 240
; IeeeMode: 1
; LDSByteSize: 0 bytes/workgroup (compile time only)
; SGPRBlocks: 0
; VGPRBlocks: 0
; NumSGPRsForWavesPerEU: 1
; NumVGPRsForWavesPerEU: 1
; Occupancy: 16
; WaveLimiterHint : 0
; COMPUTE_PGM_RSRC2:SCRATCH_EN: 0
; COMPUTE_PGM_RSRC2:USER_SGPR: 6
; COMPUTE_PGM_RSRC2:TRAP_HANDLER: 0
; COMPUTE_PGM_RSRC2:TGID_X_EN: 1
; COMPUTE_PGM_RSRC2:TGID_Y_EN: 0
; COMPUTE_PGM_RSRC2:TGID_Z_EN: 0
; COMPUTE_PGM_RSRC2:TIDIG_COMP_CNT: 0
	.section	.text._ZN7rocprim17ROCPRIM_400000_NS6detail17trampoline_kernelINS0_14default_configENS1_36segmented_radix_sort_config_selectorIdlEEZNS1_25segmented_radix_sort_implIS3_Lb0EPKdPdPKlPlN2at6native12_GLOBAL__N_18offset_tEEE10hipError_tPvRmT1_PNSt15iterator_traitsISK_E10value_typeET2_T3_PNSL_ISQ_E10value_typeET4_jRbjT5_SW_jjP12ihipStream_tbEUlT_E1_NS1_11comp_targetILNS1_3genE10ELNS1_11target_archE1201ELNS1_3gpuE5ELNS1_3repE0EEENS1_59segmented_radix_sort_warp_sort_small_config_static_selectorELNS0_4arch9wavefront6targetE0EEEvSK_,"axG",@progbits,_ZN7rocprim17ROCPRIM_400000_NS6detail17trampoline_kernelINS0_14default_configENS1_36segmented_radix_sort_config_selectorIdlEEZNS1_25segmented_radix_sort_implIS3_Lb0EPKdPdPKlPlN2at6native12_GLOBAL__N_18offset_tEEE10hipError_tPvRmT1_PNSt15iterator_traitsISK_E10value_typeET2_T3_PNSL_ISQ_E10value_typeET4_jRbjT5_SW_jjP12ihipStream_tbEUlT_E1_NS1_11comp_targetILNS1_3genE10ELNS1_11target_archE1201ELNS1_3gpuE5ELNS1_3repE0EEENS1_59segmented_radix_sort_warp_sort_small_config_static_selectorELNS0_4arch9wavefront6targetE0EEEvSK_,comdat
	.globl	_ZN7rocprim17ROCPRIM_400000_NS6detail17trampoline_kernelINS0_14default_configENS1_36segmented_radix_sort_config_selectorIdlEEZNS1_25segmented_radix_sort_implIS3_Lb0EPKdPdPKlPlN2at6native12_GLOBAL__N_18offset_tEEE10hipError_tPvRmT1_PNSt15iterator_traitsISK_E10value_typeET2_T3_PNSL_ISQ_E10value_typeET4_jRbjT5_SW_jjP12ihipStream_tbEUlT_E1_NS1_11comp_targetILNS1_3genE10ELNS1_11target_archE1201ELNS1_3gpuE5ELNS1_3repE0EEENS1_59segmented_radix_sort_warp_sort_small_config_static_selectorELNS0_4arch9wavefront6targetE0EEEvSK_ ; -- Begin function _ZN7rocprim17ROCPRIM_400000_NS6detail17trampoline_kernelINS0_14default_configENS1_36segmented_radix_sort_config_selectorIdlEEZNS1_25segmented_radix_sort_implIS3_Lb0EPKdPdPKlPlN2at6native12_GLOBAL__N_18offset_tEEE10hipError_tPvRmT1_PNSt15iterator_traitsISK_E10value_typeET2_T3_PNSL_ISQ_E10value_typeET4_jRbjT5_SW_jjP12ihipStream_tbEUlT_E1_NS1_11comp_targetILNS1_3genE10ELNS1_11target_archE1201ELNS1_3gpuE5ELNS1_3repE0EEENS1_59segmented_radix_sort_warp_sort_small_config_static_selectorELNS0_4arch9wavefront6targetE0EEEvSK_
	.p2align	8
	.type	_ZN7rocprim17ROCPRIM_400000_NS6detail17trampoline_kernelINS0_14default_configENS1_36segmented_radix_sort_config_selectorIdlEEZNS1_25segmented_radix_sort_implIS3_Lb0EPKdPdPKlPlN2at6native12_GLOBAL__N_18offset_tEEE10hipError_tPvRmT1_PNSt15iterator_traitsISK_E10value_typeET2_T3_PNSL_ISQ_E10value_typeET4_jRbjT5_SW_jjP12ihipStream_tbEUlT_E1_NS1_11comp_targetILNS1_3genE10ELNS1_11target_archE1201ELNS1_3gpuE5ELNS1_3repE0EEENS1_59segmented_radix_sort_warp_sort_small_config_static_selectorELNS0_4arch9wavefront6targetE0EEEvSK_,@function
_ZN7rocprim17ROCPRIM_400000_NS6detail17trampoline_kernelINS0_14default_configENS1_36segmented_radix_sort_config_selectorIdlEEZNS1_25segmented_radix_sort_implIS3_Lb0EPKdPdPKlPlN2at6native12_GLOBAL__N_18offset_tEEE10hipError_tPvRmT1_PNSt15iterator_traitsISK_E10value_typeET2_T3_PNSL_ISQ_E10value_typeET4_jRbjT5_SW_jjP12ihipStream_tbEUlT_E1_NS1_11comp_targetILNS1_3genE10ELNS1_11target_archE1201ELNS1_3gpuE5ELNS1_3repE0EEENS1_59segmented_radix_sort_warp_sort_small_config_static_selectorELNS0_4arch9wavefront6targetE0EEEvSK_: ; @_ZN7rocprim17ROCPRIM_400000_NS6detail17trampoline_kernelINS0_14default_configENS1_36segmented_radix_sort_config_selectorIdlEEZNS1_25segmented_radix_sort_implIS3_Lb0EPKdPdPKlPlN2at6native12_GLOBAL__N_18offset_tEEE10hipError_tPvRmT1_PNSt15iterator_traitsISK_E10value_typeET2_T3_PNSL_ISQ_E10value_typeET4_jRbjT5_SW_jjP12ihipStream_tbEUlT_E1_NS1_11comp_targetILNS1_3genE10ELNS1_11target_archE1201ELNS1_3gpuE5ELNS1_3repE0EEENS1_59segmented_radix_sort_warp_sort_small_config_static_selectorELNS0_4arch9wavefront6targetE0EEEvSK_
; %bb.0:
	.section	.rodata,"a",@progbits
	.p2align	6, 0x0
	.amdhsa_kernel _ZN7rocprim17ROCPRIM_400000_NS6detail17trampoline_kernelINS0_14default_configENS1_36segmented_radix_sort_config_selectorIdlEEZNS1_25segmented_radix_sort_implIS3_Lb0EPKdPdPKlPlN2at6native12_GLOBAL__N_18offset_tEEE10hipError_tPvRmT1_PNSt15iterator_traitsISK_E10value_typeET2_T3_PNSL_ISQ_E10value_typeET4_jRbjT5_SW_jjP12ihipStream_tbEUlT_E1_NS1_11comp_targetILNS1_3genE10ELNS1_11target_archE1201ELNS1_3gpuE5ELNS1_3repE0EEENS1_59segmented_radix_sort_warp_sort_small_config_static_selectorELNS0_4arch9wavefront6targetE0EEEvSK_
		.amdhsa_group_segment_fixed_size 0
		.amdhsa_private_segment_fixed_size 0
		.amdhsa_kernarg_size 88
		.amdhsa_user_sgpr_count 6
		.amdhsa_user_sgpr_private_segment_buffer 1
		.amdhsa_user_sgpr_dispatch_ptr 0
		.amdhsa_user_sgpr_queue_ptr 0
		.amdhsa_user_sgpr_kernarg_segment_ptr 1
		.amdhsa_user_sgpr_dispatch_id 0
		.amdhsa_user_sgpr_flat_scratch_init 0
		.amdhsa_user_sgpr_private_segment_size 0
		.amdhsa_wavefront_size32 1
		.amdhsa_uses_dynamic_stack 0
		.amdhsa_system_sgpr_private_segment_wavefront_offset 0
		.amdhsa_system_sgpr_workgroup_id_x 1
		.amdhsa_system_sgpr_workgroup_id_y 0
		.amdhsa_system_sgpr_workgroup_id_z 0
		.amdhsa_system_sgpr_workgroup_info 0
		.amdhsa_system_vgpr_workitem_id 0
		.amdhsa_next_free_vgpr 1
		.amdhsa_next_free_sgpr 1
		.amdhsa_reserve_vcc 0
		.amdhsa_reserve_flat_scratch 0
		.amdhsa_float_round_mode_32 0
		.amdhsa_float_round_mode_16_64 0
		.amdhsa_float_denorm_mode_32 3
		.amdhsa_float_denorm_mode_16_64 3
		.amdhsa_dx10_clamp 1
		.amdhsa_ieee_mode 1
		.amdhsa_fp16_overflow 0
		.amdhsa_workgroup_processor_mode 1
		.amdhsa_memory_ordered 1
		.amdhsa_forward_progress 1
		.amdhsa_shared_vgpr_count 0
		.amdhsa_exception_fp_ieee_invalid_op 0
		.amdhsa_exception_fp_denorm_src 0
		.amdhsa_exception_fp_ieee_div_zero 0
		.amdhsa_exception_fp_ieee_overflow 0
		.amdhsa_exception_fp_ieee_underflow 0
		.amdhsa_exception_fp_ieee_inexact 0
		.amdhsa_exception_int_div_zero 0
	.end_amdhsa_kernel
	.section	.text._ZN7rocprim17ROCPRIM_400000_NS6detail17trampoline_kernelINS0_14default_configENS1_36segmented_radix_sort_config_selectorIdlEEZNS1_25segmented_radix_sort_implIS3_Lb0EPKdPdPKlPlN2at6native12_GLOBAL__N_18offset_tEEE10hipError_tPvRmT1_PNSt15iterator_traitsISK_E10value_typeET2_T3_PNSL_ISQ_E10value_typeET4_jRbjT5_SW_jjP12ihipStream_tbEUlT_E1_NS1_11comp_targetILNS1_3genE10ELNS1_11target_archE1201ELNS1_3gpuE5ELNS1_3repE0EEENS1_59segmented_radix_sort_warp_sort_small_config_static_selectorELNS0_4arch9wavefront6targetE0EEEvSK_,"axG",@progbits,_ZN7rocprim17ROCPRIM_400000_NS6detail17trampoline_kernelINS0_14default_configENS1_36segmented_radix_sort_config_selectorIdlEEZNS1_25segmented_radix_sort_implIS3_Lb0EPKdPdPKlPlN2at6native12_GLOBAL__N_18offset_tEEE10hipError_tPvRmT1_PNSt15iterator_traitsISK_E10value_typeET2_T3_PNSL_ISQ_E10value_typeET4_jRbjT5_SW_jjP12ihipStream_tbEUlT_E1_NS1_11comp_targetILNS1_3genE10ELNS1_11target_archE1201ELNS1_3gpuE5ELNS1_3repE0EEENS1_59segmented_radix_sort_warp_sort_small_config_static_selectorELNS0_4arch9wavefront6targetE0EEEvSK_,comdat
.Lfunc_end1238:
	.size	_ZN7rocprim17ROCPRIM_400000_NS6detail17trampoline_kernelINS0_14default_configENS1_36segmented_radix_sort_config_selectorIdlEEZNS1_25segmented_radix_sort_implIS3_Lb0EPKdPdPKlPlN2at6native12_GLOBAL__N_18offset_tEEE10hipError_tPvRmT1_PNSt15iterator_traitsISK_E10value_typeET2_T3_PNSL_ISQ_E10value_typeET4_jRbjT5_SW_jjP12ihipStream_tbEUlT_E1_NS1_11comp_targetILNS1_3genE10ELNS1_11target_archE1201ELNS1_3gpuE5ELNS1_3repE0EEENS1_59segmented_radix_sort_warp_sort_small_config_static_selectorELNS0_4arch9wavefront6targetE0EEEvSK_, .Lfunc_end1238-_ZN7rocprim17ROCPRIM_400000_NS6detail17trampoline_kernelINS0_14default_configENS1_36segmented_radix_sort_config_selectorIdlEEZNS1_25segmented_radix_sort_implIS3_Lb0EPKdPdPKlPlN2at6native12_GLOBAL__N_18offset_tEEE10hipError_tPvRmT1_PNSt15iterator_traitsISK_E10value_typeET2_T3_PNSL_ISQ_E10value_typeET4_jRbjT5_SW_jjP12ihipStream_tbEUlT_E1_NS1_11comp_targetILNS1_3genE10ELNS1_11target_archE1201ELNS1_3gpuE5ELNS1_3repE0EEENS1_59segmented_radix_sort_warp_sort_small_config_static_selectorELNS0_4arch9wavefront6targetE0EEEvSK_
                                        ; -- End function
	.set _ZN7rocprim17ROCPRIM_400000_NS6detail17trampoline_kernelINS0_14default_configENS1_36segmented_radix_sort_config_selectorIdlEEZNS1_25segmented_radix_sort_implIS3_Lb0EPKdPdPKlPlN2at6native12_GLOBAL__N_18offset_tEEE10hipError_tPvRmT1_PNSt15iterator_traitsISK_E10value_typeET2_T3_PNSL_ISQ_E10value_typeET4_jRbjT5_SW_jjP12ihipStream_tbEUlT_E1_NS1_11comp_targetILNS1_3genE10ELNS1_11target_archE1201ELNS1_3gpuE5ELNS1_3repE0EEENS1_59segmented_radix_sort_warp_sort_small_config_static_selectorELNS0_4arch9wavefront6targetE0EEEvSK_.num_vgpr, 0
	.set _ZN7rocprim17ROCPRIM_400000_NS6detail17trampoline_kernelINS0_14default_configENS1_36segmented_radix_sort_config_selectorIdlEEZNS1_25segmented_radix_sort_implIS3_Lb0EPKdPdPKlPlN2at6native12_GLOBAL__N_18offset_tEEE10hipError_tPvRmT1_PNSt15iterator_traitsISK_E10value_typeET2_T3_PNSL_ISQ_E10value_typeET4_jRbjT5_SW_jjP12ihipStream_tbEUlT_E1_NS1_11comp_targetILNS1_3genE10ELNS1_11target_archE1201ELNS1_3gpuE5ELNS1_3repE0EEENS1_59segmented_radix_sort_warp_sort_small_config_static_selectorELNS0_4arch9wavefront6targetE0EEEvSK_.num_agpr, 0
	.set _ZN7rocprim17ROCPRIM_400000_NS6detail17trampoline_kernelINS0_14default_configENS1_36segmented_radix_sort_config_selectorIdlEEZNS1_25segmented_radix_sort_implIS3_Lb0EPKdPdPKlPlN2at6native12_GLOBAL__N_18offset_tEEE10hipError_tPvRmT1_PNSt15iterator_traitsISK_E10value_typeET2_T3_PNSL_ISQ_E10value_typeET4_jRbjT5_SW_jjP12ihipStream_tbEUlT_E1_NS1_11comp_targetILNS1_3genE10ELNS1_11target_archE1201ELNS1_3gpuE5ELNS1_3repE0EEENS1_59segmented_radix_sort_warp_sort_small_config_static_selectorELNS0_4arch9wavefront6targetE0EEEvSK_.numbered_sgpr, 0
	.set _ZN7rocprim17ROCPRIM_400000_NS6detail17trampoline_kernelINS0_14default_configENS1_36segmented_radix_sort_config_selectorIdlEEZNS1_25segmented_radix_sort_implIS3_Lb0EPKdPdPKlPlN2at6native12_GLOBAL__N_18offset_tEEE10hipError_tPvRmT1_PNSt15iterator_traitsISK_E10value_typeET2_T3_PNSL_ISQ_E10value_typeET4_jRbjT5_SW_jjP12ihipStream_tbEUlT_E1_NS1_11comp_targetILNS1_3genE10ELNS1_11target_archE1201ELNS1_3gpuE5ELNS1_3repE0EEENS1_59segmented_radix_sort_warp_sort_small_config_static_selectorELNS0_4arch9wavefront6targetE0EEEvSK_.num_named_barrier, 0
	.set _ZN7rocprim17ROCPRIM_400000_NS6detail17trampoline_kernelINS0_14default_configENS1_36segmented_radix_sort_config_selectorIdlEEZNS1_25segmented_radix_sort_implIS3_Lb0EPKdPdPKlPlN2at6native12_GLOBAL__N_18offset_tEEE10hipError_tPvRmT1_PNSt15iterator_traitsISK_E10value_typeET2_T3_PNSL_ISQ_E10value_typeET4_jRbjT5_SW_jjP12ihipStream_tbEUlT_E1_NS1_11comp_targetILNS1_3genE10ELNS1_11target_archE1201ELNS1_3gpuE5ELNS1_3repE0EEENS1_59segmented_radix_sort_warp_sort_small_config_static_selectorELNS0_4arch9wavefront6targetE0EEEvSK_.private_seg_size, 0
	.set _ZN7rocprim17ROCPRIM_400000_NS6detail17trampoline_kernelINS0_14default_configENS1_36segmented_radix_sort_config_selectorIdlEEZNS1_25segmented_radix_sort_implIS3_Lb0EPKdPdPKlPlN2at6native12_GLOBAL__N_18offset_tEEE10hipError_tPvRmT1_PNSt15iterator_traitsISK_E10value_typeET2_T3_PNSL_ISQ_E10value_typeET4_jRbjT5_SW_jjP12ihipStream_tbEUlT_E1_NS1_11comp_targetILNS1_3genE10ELNS1_11target_archE1201ELNS1_3gpuE5ELNS1_3repE0EEENS1_59segmented_radix_sort_warp_sort_small_config_static_selectorELNS0_4arch9wavefront6targetE0EEEvSK_.uses_vcc, 0
	.set _ZN7rocprim17ROCPRIM_400000_NS6detail17trampoline_kernelINS0_14default_configENS1_36segmented_radix_sort_config_selectorIdlEEZNS1_25segmented_radix_sort_implIS3_Lb0EPKdPdPKlPlN2at6native12_GLOBAL__N_18offset_tEEE10hipError_tPvRmT1_PNSt15iterator_traitsISK_E10value_typeET2_T3_PNSL_ISQ_E10value_typeET4_jRbjT5_SW_jjP12ihipStream_tbEUlT_E1_NS1_11comp_targetILNS1_3genE10ELNS1_11target_archE1201ELNS1_3gpuE5ELNS1_3repE0EEENS1_59segmented_radix_sort_warp_sort_small_config_static_selectorELNS0_4arch9wavefront6targetE0EEEvSK_.uses_flat_scratch, 0
	.set _ZN7rocprim17ROCPRIM_400000_NS6detail17trampoline_kernelINS0_14default_configENS1_36segmented_radix_sort_config_selectorIdlEEZNS1_25segmented_radix_sort_implIS3_Lb0EPKdPdPKlPlN2at6native12_GLOBAL__N_18offset_tEEE10hipError_tPvRmT1_PNSt15iterator_traitsISK_E10value_typeET2_T3_PNSL_ISQ_E10value_typeET4_jRbjT5_SW_jjP12ihipStream_tbEUlT_E1_NS1_11comp_targetILNS1_3genE10ELNS1_11target_archE1201ELNS1_3gpuE5ELNS1_3repE0EEENS1_59segmented_radix_sort_warp_sort_small_config_static_selectorELNS0_4arch9wavefront6targetE0EEEvSK_.has_dyn_sized_stack, 0
	.set _ZN7rocprim17ROCPRIM_400000_NS6detail17trampoline_kernelINS0_14default_configENS1_36segmented_radix_sort_config_selectorIdlEEZNS1_25segmented_radix_sort_implIS3_Lb0EPKdPdPKlPlN2at6native12_GLOBAL__N_18offset_tEEE10hipError_tPvRmT1_PNSt15iterator_traitsISK_E10value_typeET2_T3_PNSL_ISQ_E10value_typeET4_jRbjT5_SW_jjP12ihipStream_tbEUlT_E1_NS1_11comp_targetILNS1_3genE10ELNS1_11target_archE1201ELNS1_3gpuE5ELNS1_3repE0EEENS1_59segmented_radix_sort_warp_sort_small_config_static_selectorELNS0_4arch9wavefront6targetE0EEEvSK_.has_recursion, 0
	.set _ZN7rocprim17ROCPRIM_400000_NS6detail17trampoline_kernelINS0_14default_configENS1_36segmented_radix_sort_config_selectorIdlEEZNS1_25segmented_radix_sort_implIS3_Lb0EPKdPdPKlPlN2at6native12_GLOBAL__N_18offset_tEEE10hipError_tPvRmT1_PNSt15iterator_traitsISK_E10value_typeET2_T3_PNSL_ISQ_E10value_typeET4_jRbjT5_SW_jjP12ihipStream_tbEUlT_E1_NS1_11comp_targetILNS1_3genE10ELNS1_11target_archE1201ELNS1_3gpuE5ELNS1_3repE0EEENS1_59segmented_radix_sort_warp_sort_small_config_static_selectorELNS0_4arch9wavefront6targetE0EEEvSK_.has_indirect_call, 0
	.section	.AMDGPU.csdata,"",@progbits
; Kernel info:
; codeLenInByte = 0
; TotalNumSgprs: 0
; NumVgprs: 0
; ScratchSize: 0
; MemoryBound: 0
; FloatMode: 240
; IeeeMode: 1
; LDSByteSize: 0 bytes/workgroup (compile time only)
; SGPRBlocks: 0
; VGPRBlocks: 0
; NumSGPRsForWavesPerEU: 1
; NumVGPRsForWavesPerEU: 1
; Occupancy: 16
; WaveLimiterHint : 0
; COMPUTE_PGM_RSRC2:SCRATCH_EN: 0
; COMPUTE_PGM_RSRC2:USER_SGPR: 6
; COMPUTE_PGM_RSRC2:TRAP_HANDLER: 0
; COMPUTE_PGM_RSRC2:TGID_X_EN: 1
; COMPUTE_PGM_RSRC2:TGID_Y_EN: 0
; COMPUTE_PGM_RSRC2:TGID_Z_EN: 0
; COMPUTE_PGM_RSRC2:TIDIG_COMP_CNT: 0
	.section	.text._ZN7rocprim17ROCPRIM_400000_NS6detail17trampoline_kernelINS0_14default_configENS1_36segmented_radix_sort_config_selectorIdlEEZNS1_25segmented_radix_sort_implIS3_Lb0EPKdPdPKlPlN2at6native12_GLOBAL__N_18offset_tEEE10hipError_tPvRmT1_PNSt15iterator_traitsISK_E10value_typeET2_T3_PNSL_ISQ_E10value_typeET4_jRbjT5_SW_jjP12ihipStream_tbEUlT_E1_NS1_11comp_targetILNS1_3genE10ELNS1_11target_archE1200ELNS1_3gpuE4ELNS1_3repE0EEENS1_59segmented_radix_sort_warp_sort_small_config_static_selectorELNS0_4arch9wavefront6targetE0EEEvSK_,"axG",@progbits,_ZN7rocprim17ROCPRIM_400000_NS6detail17trampoline_kernelINS0_14default_configENS1_36segmented_radix_sort_config_selectorIdlEEZNS1_25segmented_radix_sort_implIS3_Lb0EPKdPdPKlPlN2at6native12_GLOBAL__N_18offset_tEEE10hipError_tPvRmT1_PNSt15iterator_traitsISK_E10value_typeET2_T3_PNSL_ISQ_E10value_typeET4_jRbjT5_SW_jjP12ihipStream_tbEUlT_E1_NS1_11comp_targetILNS1_3genE10ELNS1_11target_archE1200ELNS1_3gpuE4ELNS1_3repE0EEENS1_59segmented_radix_sort_warp_sort_small_config_static_selectorELNS0_4arch9wavefront6targetE0EEEvSK_,comdat
	.globl	_ZN7rocprim17ROCPRIM_400000_NS6detail17trampoline_kernelINS0_14default_configENS1_36segmented_radix_sort_config_selectorIdlEEZNS1_25segmented_radix_sort_implIS3_Lb0EPKdPdPKlPlN2at6native12_GLOBAL__N_18offset_tEEE10hipError_tPvRmT1_PNSt15iterator_traitsISK_E10value_typeET2_T3_PNSL_ISQ_E10value_typeET4_jRbjT5_SW_jjP12ihipStream_tbEUlT_E1_NS1_11comp_targetILNS1_3genE10ELNS1_11target_archE1200ELNS1_3gpuE4ELNS1_3repE0EEENS1_59segmented_radix_sort_warp_sort_small_config_static_selectorELNS0_4arch9wavefront6targetE0EEEvSK_ ; -- Begin function _ZN7rocprim17ROCPRIM_400000_NS6detail17trampoline_kernelINS0_14default_configENS1_36segmented_radix_sort_config_selectorIdlEEZNS1_25segmented_radix_sort_implIS3_Lb0EPKdPdPKlPlN2at6native12_GLOBAL__N_18offset_tEEE10hipError_tPvRmT1_PNSt15iterator_traitsISK_E10value_typeET2_T3_PNSL_ISQ_E10value_typeET4_jRbjT5_SW_jjP12ihipStream_tbEUlT_E1_NS1_11comp_targetILNS1_3genE10ELNS1_11target_archE1200ELNS1_3gpuE4ELNS1_3repE0EEENS1_59segmented_radix_sort_warp_sort_small_config_static_selectorELNS0_4arch9wavefront6targetE0EEEvSK_
	.p2align	8
	.type	_ZN7rocprim17ROCPRIM_400000_NS6detail17trampoline_kernelINS0_14default_configENS1_36segmented_radix_sort_config_selectorIdlEEZNS1_25segmented_radix_sort_implIS3_Lb0EPKdPdPKlPlN2at6native12_GLOBAL__N_18offset_tEEE10hipError_tPvRmT1_PNSt15iterator_traitsISK_E10value_typeET2_T3_PNSL_ISQ_E10value_typeET4_jRbjT5_SW_jjP12ihipStream_tbEUlT_E1_NS1_11comp_targetILNS1_3genE10ELNS1_11target_archE1200ELNS1_3gpuE4ELNS1_3repE0EEENS1_59segmented_radix_sort_warp_sort_small_config_static_selectorELNS0_4arch9wavefront6targetE0EEEvSK_,@function
_ZN7rocprim17ROCPRIM_400000_NS6detail17trampoline_kernelINS0_14default_configENS1_36segmented_radix_sort_config_selectorIdlEEZNS1_25segmented_radix_sort_implIS3_Lb0EPKdPdPKlPlN2at6native12_GLOBAL__N_18offset_tEEE10hipError_tPvRmT1_PNSt15iterator_traitsISK_E10value_typeET2_T3_PNSL_ISQ_E10value_typeET4_jRbjT5_SW_jjP12ihipStream_tbEUlT_E1_NS1_11comp_targetILNS1_3genE10ELNS1_11target_archE1200ELNS1_3gpuE4ELNS1_3repE0EEENS1_59segmented_radix_sort_warp_sort_small_config_static_selectorELNS0_4arch9wavefront6targetE0EEEvSK_: ; @_ZN7rocprim17ROCPRIM_400000_NS6detail17trampoline_kernelINS0_14default_configENS1_36segmented_radix_sort_config_selectorIdlEEZNS1_25segmented_radix_sort_implIS3_Lb0EPKdPdPKlPlN2at6native12_GLOBAL__N_18offset_tEEE10hipError_tPvRmT1_PNSt15iterator_traitsISK_E10value_typeET2_T3_PNSL_ISQ_E10value_typeET4_jRbjT5_SW_jjP12ihipStream_tbEUlT_E1_NS1_11comp_targetILNS1_3genE10ELNS1_11target_archE1200ELNS1_3gpuE4ELNS1_3repE0EEENS1_59segmented_radix_sort_warp_sort_small_config_static_selectorELNS0_4arch9wavefront6targetE0EEEvSK_
; %bb.0:
	.section	.rodata,"a",@progbits
	.p2align	6, 0x0
	.amdhsa_kernel _ZN7rocprim17ROCPRIM_400000_NS6detail17trampoline_kernelINS0_14default_configENS1_36segmented_radix_sort_config_selectorIdlEEZNS1_25segmented_radix_sort_implIS3_Lb0EPKdPdPKlPlN2at6native12_GLOBAL__N_18offset_tEEE10hipError_tPvRmT1_PNSt15iterator_traitsISK_E10value_typeET2_T3_PNSL_ISQ_E10value_typeET4_jRbjT5_SW_jjP12ihipStream_tbEUlT_E1_NS1_11comp_targetILNS1_3genE10ELNS1_11target_archE1200ELNS1_3gpuE4ELNS1_3repE0EEENS1_59segmented_radix_sort_warp_sort_small_config_static_selectorELNS0_4arch9wavefront6targetE0EEEvSK_
		.amdhsa_group_segment_fixed_size 0
		.amdhsa_private_segment_fixed_size 0
		.amdhsa_kernarg_size 88
		.amdhsa_user_sgpr_count 6
		.amdhsa_user_sgpr_private_segment_buffer 1
		.amdhsa_user_sgpr_dispatch_ptr 0
		.amdhsa_user_sgpr_queue_ptr 0
		.amdhsa_user_sgpr_kernarg_segment_ptr 1
		.amdhsa_user_sgpr_dispatch_id 0
		.amdhsa_user_sgpr_flat_scratch_init 0
		.amdhsa_user_sgpr_private_segment_size 0
		.amdhsa_wavefront_size32 1
		.amdhsa_uses_dynamic_stack 0
		.amdhsa_system_sgpr_private_segment_wavefront_offset 0
		.amdhsa_system_sgpr_workgroup_id_x 1
		.amdhsa_system_sgpr_workgroup_id_y 0
		.amdhsa_system_sgpr_workgroup_id_z 0
		.amdhsa_system_sgpr_workgroup_info 0
		.amdhsa_system_vgpr_workitem_id 0
		.amdhsa_next_free_vgpr 1
		.amdhsa_next_free_sgpr 1
		.amdhsa_reserve_vcc 0
		.amdhsa_reserve_flat_scratch 0
		.amdhsa_float_round_mode_32 0
		.amdhsa_float_round_mode_16_64 0
		.amdhsa_float_denorm_mode_32 3
		.amdhsa_float_denorm_mode_16_64 3
		.amdhsa_dx10_clamp 1
		.amdhsa_ieee_mode 1
		.amdhsa_fp16_overflow 0
		.amdhsa_workgroup_processor_mode 1
		.amdhsa_memory_ordered 1
		.amdhsa_forward_progress 1
		.amdhsa_shared_vgpr_count 0
		.amdhsa_exception_fp_ieee_invalid_op 0
		.amdhsa_exception_fp_denorm_src 0
		.amdhsa_exception_fp_ieee_div_zero 0
		.amdhsa_exception_fp_ieee_overflow 0
		.amdhsa_exception_fp_ieee_underflow 0
		.amdhsa_exception_fp_ieee_inexact 0
		.amdhsa_exception_int_div_zero 0
	.end_amdhsa_kernel
	.section	.text._ZN7rocprim17ROCPRIM_400000_NS6detail17trampoline_kernelINS0_14default_configENS1_36segmented_radix_sort_config_selectorIdlEEZNS1_25segmented_radix_sort_implIS3_Lb0EPKdPdPKlPlN2at6native12_GLOBAL__N_18offset_tEEE10hipError_tPvRmT1_PNSt15iterator_traitsISK_E10value_typeET2_T3_PNSL_ISQ_E10value_typeET4_jRbjT5_SW_jjP12ihipStream_tbEUlT_E1_NS1_11comp_targetILNS1_3genE10ELNS1_11target_archE1200ELNS1_3gpuE4ELNS1_3repE0EEENS1_59segmented_radix_sort_warp_sort_small_config_static_selectorELNS0_4arch9wavefront6targetE0EEEvSK_,"axG",@progbits,_ZN7rocprim17ROCPRIM_400000_NS6detail17trampoline_kernelINS0_14default_configENS1_36segmented_radix_sort_config_selectorIdlEEZNS1_25segmented_radix_sort_implIS3_Lb0EPKdPdPKlPlN2at6native12_GLOBAL__N_18offset_tEEE10hipError_tPvRmT1_PNSt15iterator_traitsISK_E10value_typeET2_T3_PNSL_ISQ_E10value_typeET4_jRbjT5_SW_jjP12ihipStream_tbEUlT_E1_NS1_11comp_targetILNS1_3genE10ELNS1_11target_archE1200ELNS1_3gpuE4ELNS1_3repE0EEENS1_59segmented_radix_sort_warp_sort_small_config_static_selectorELNS0_4arch9wavefront6targetE0EEEvSK_,comdat
.Lfunc_end1239:
	.size	_ZN7rocprim17ROCPRIM_400000_NS6detail17trampoline_kernelINS0_14default_configENS1_36segmented_radix_sort_config_selectorIdlEEZNS1_25segmented_radix_sort_implIS3_Lb0EPKdPdPKlPlN2at6native12_GLOBAL__N_18offset_tEEE10hipError_tPvRmT1_PNSt15iterator_traitsISK_E10value_typeET2_T3_PNSL_ISQ_E10value_typeET4_jRbjT5_SW_jjP12ihipStream_tbEUlT_E1_NS1_11comp_targetILNS1_3genE10ELNS1_11target_archE1200ELNS1_3gpuE4ELNS1_3repE0EEENS1_59segmented_radix_sort_warp_sort_small_config_static_selectorELNS0_4arch9wavefront6targetE0EEEvSK_, .Lfunc_end1239-_ZN7rocprim17ROCPRIM_400000_NS6detail17trampoline_kernelINS0_14default_configENS1_36segmented_radix_sort_config_selectorIdlEEZNS1_25segmented_radix_sort_implIS3_Lb0EPKdPdPKlPlN2at6native12_GLOBAL__N_18offset_tEEE10hipError_tPvRmT1_PNSt15iterator_traitsISK_E10value_typeET2_T3_PNSL_ISQ_E10value_typeET4_jRbjT5_SW_jjP12ihipStream_tbEUlT_E1_NS1_11comp_targetILNS1_3genE10ELNS1_11target_archE1200ELNS1_3gpuE4ELNS1_3repE0EEENS1_59segmented_radix_sort_warp_sort_small_config_static_selectorELNS0_4arch9wavefront6targetE0EEEvSK_
                                        ; -- End function
	.set _ZN7rocprim17ROCPRIM_400000_NS6detail17trampoline_kernelINS0_14default_configENS1_36segmented_radix_sort_config_selectorIdlEEZNS1_25segmented_radix_sort_implIS3_Lb0EPKdPdPKlPlN2at6native12_GLOBAL__N_18offset_tEEE10hipError_tPvRmT1_PNSt15iterator_traitsISK_E10value_typeET2_T3_PNSL_ISQ_E10value_typeET4_jRbjT5_SW_jjP12ihipStream_tbEUlT_E1_NS1_11comp_targetILNS1_3genE10ELNS1_11target_archE1200ELNS1_3gpuE4ELNS1_3repE0EEENS1_59segmented_radix_sort_warp_sort_small_config_static_selectorELNS0_4arch9wavefront6targetE0EEEvSK_.num_vgpr, 0
	.set _ZN7rocprim17ROCPRIM_400000_NS6detail17trampoline_kernelINS0_14default_configENS1_36segmented_radix_sort_config_selectorIdlEEZNS1_25segmented_radix_sort_implIS3_Lb0EPKdPdPKlPlN2at6native12_GLOBAL__N_18offset_tEEE10hipError_tPvRmT1_PNSt15iterator_traitsISK_E10value_typeET2_T3_PNSL_ISQ_E10value_typeET4_jRbjT5_SW_jjP12ihipStream_tbEUlT_E1_NS1_11comp_targetILNS1_3genE10ELNS1_11target_archE1200ELNS1_3gpuE4ELNS1_3repE0EEENS1_59segmented_radix_sort_warp_sort_small_config_static_selectorELNS0_4arch9wavefront6targetE0EEEvSK_.num_agpr, 0
	.set _ZN7rocprim17ROCPRIM_400000_NS6detail17trampoline_kernelINS0_14default_configENS1_36segmented_radix_sort_config_selectorIdlEEZNS1_25segmented_radix_sort_implIS3_Lb0EPKdPdPKlPlN2at6native12_GLOBAL__N_18offset_tEEE10hipError_tPvRmT1_PNSt15iterator_traitsISK_E10value_typeET2_T3_PNSL_ISQ_E10value_typeET4_jRbjT5_SW_jjP12ihipStream_tbEUlT_E1_NS1_11comp_targetILNS1_3genE10ELNS1_11target_archE1200ELNS1_3gpuE4ELNS1_3repE0EEENS1_59segmented_radix_sort_warp_sort_small_config_static_selectorELNS0_4arch9wavefront6targetE0EEEvSK_.numbered_sgpr, 0
	.set _ZN7rocprim17ROCPRIM_400000_NS6detail17trampoline_kernelINS0_14default_configENS1_36segmented_radix_sort_config_selectorIdlEEZNS1_25segmented_radix_sort_implIS3_Lb0EPKdPdPKlPlN2at6native12_GLOBAL__N_18offset_tEEE10hipError_tPvRmT1_PNSt15iterator_traitsISK_E10value_typeET2_T3_PNSL_ISQ_E10value_typeET4_jRbjT5_SW_jjP12ihipStream_tbEUlT_E1_NS1_11comp_targetILNS1_3genE10ELNS1_11target_archE1200ELNS1_3gpuE4ELNS1_3repE0EEENS1_59segmented_radix_sort_warp_sort_small_config_static_selectorELNS0_4arch9wavefront6targetE0EEEvSK_.num_named_barrier, 0
	.set _ZN7rocprim17ROCPRIM_400000_NS6detail17trampoline_kernelINS0_14default_configENS1_36segmented_radix_sort_config_selectorIdlEEZNS1_25segmented_radix_sort_implIS3_Lb0EPKdPdPKlPlN2at6native12_GLOBAL__N_18offset_tEEE10hipError_tPvRmT1_PNSt15iterator_traitsISK_E10value_typeET2_T3_PNSL_ISQ_E10value_typeET4_jRbjT5_SW_jjP12ihipStream_tbEUlT_E1_NS1_11comp_targetILNS1_3genE10ELNS1_11target_archE1200ELNS1_3gpuE4ELNS1_3repE0EEENS1_59segmented_radix_sort_warp_sort_small_config_static_selectorELNS0_4arch9wavefront6targetE0EEEvSK_.private_seg_size, 0
	.set _ZN7rocprim17ROCPRIM_400000_NS6detail17trampoline_kernelINS0_14default_configENS1_36segmented_radix_sort_config_selectorIdlEEZNS1_25segmented_radix_sort_implIS3_Lb0EPKdPdPKlPlN2at6native12_GLOBAL__N_18offset_tEEE10hipError_tPvRmT1_PNSt15iterator_traitsISK_E10value_typeET2_T3_PNSL_ISQ_E10value_typeET4_jRbjT5_SW_jjP12ihipStream_tbEUlT_E1_NS1_11comp_targetILNS1_3genE10ELNS1_11target_archE1200ELNS1_3gpuE4ELNS1_3repE0EEENS1_59segmented_radix_sort_warp_sort_small_config_static_selectorELNS0_4arch9wavefront6targetE0EEEvSK_.uses_vcc, 0
	.set _ZN7rocprim17ROCPRIM_400000_NS6detail17trampoline_kernelINS0_14default_configENS1_36segmented_radix_sort_config_selectorIdlEEZNS1_25segmented_radix_sort_implIS3_Lb0EPKdPdPKlPlN2at6native12_GLOBAL__N_18offset_tEEE10hipError_tPvRmT1_PNSt15iterator_traitsISK_E10value_typeET2_T3_PNSL_ISQ_E10value_typeET4_jRbjT5_SW_jjP12ihipStream_tbEUlT_E1_NS1_11comp_targetILNS1_3genE10ELNS1_11target_archE1200ELNS1_3gpuE4ELNS1_3repE0EEENS1_59segmented_radix_sort_warp_sort_small_config_static_selectorELNS0_4arch9wavefront6targetE0EEEvSK_.uses_flat_scratch, 0
	.set _ZN7rocprim17ROCPRIM_400000_NS6detail17trampoline_kernelINS0_14default_configENS1_36segmented_radix_sort_config_selectorIdlEEZNS1_25segmented_radix_sort_implIS3_Lb0EPKdPdPKlPlN2at6native12_GLOBAL__N_18offset_tEEE10hipError_tPvRmT1_PNSt15iterator_traitsISK_E10value_typeET2_T3_PNSL_ISQ_E10value_typeET4_jRbjT5_SW_jjP12ihipStream_tbEUlT_E1_NS1_11comp_targetILNS1_3genE10ELNS1_11target_archE1200ELNS1_3gpuE4ELNS1_3repE0EEENS1_59segmented_radix_sort_warp_sort_small_config_static_selectorELNS0_4arch9wavefront6targetE0EEEvSK_.has_dyn_sized_stack, 0
	.set _ZN7rocprim17ROCPRIM_400000_NS6detail17trampoline_kernelINS0_14default_configENS1_36segmented_radix_sort_config_selectorIdlEEZNS1_25segmented_radix_sort_implIS3_Lb0EPKdPdPKlPlN2at6native12_GLOBAL__N_18offset_tEEE10hipError_tPvRmT1_PNSt15iterator_traitsISK_E10value_typeET2_T3_PNSL_ISQ_E10value_typeET4_jRbjT5_SW_jjP12ihipStream_tbEUlT_E1_NS1_11comp_targetILNS1_3genE10ELNS1_11target_archE1200ELNS1_3gpuE4ELNS1_3repE0EEENS1_59segmented_radix_sort_warp_sort_small_config_static_selectorELNS0_4arch9wavefront6targetE0EEEvSK_.has_recursion, 0
	.set _ZN7rocprim17ROCPRIM_400000_NS6detail17trampoline_kernelINS0_14default_configENS1_36segmented_radix_sort_config_selectorIdlEEZNS1_25segmented_radix_sort_implIS3_Lb0EPKdPdPKlPlN2at6native12_GLOBAL__N_18offset_tEEE10hipError_tPvRmT1_PNSt15iterator_traitsISK_E10value_typeET2_T3_PNSL_ISQ_E10value_typeET4_jRbjT5_SW_jjP12ihipStream_tbEUlT_E1_NS1_11comp_targetILNS1_3genE10ELNS1_11target_archE1200ELNS1_3gpuE4ELNS1_3repE0EEENS1_59segmented_radix_sort_warp_sort_small_config_static_selectorELNS0_4arch9wavefront6targetE0EEEvSK_.has_indirect_call, 0
	.section	.AMDGPU.csdata,"",@progbits
; Kernel info:
; codeLenInByte = 0
; TotalNumSgprs: 0
; NumVgprs: 0
; ScratchSize: 0
; MemoryBound: 0
; FloatMode: 240
; IeeeMode: 1
; LDSByteSize: 0 bytes/workgroup (compile time only)
; SGPRBlocks: 0
; VGPRBlocks: 0
; NumSGPRsForWavesPerEU: 1
; NumVGPRsForWavesPerEU: 1
; Occupancy: 16
; WaveLimiterHint : 0
; COMPUTE_PGM_RSRC2:SCRATCH_EN: 0
; COMPUTE_PGM_RSRC2:USER_SGPR: 6
; COMPUTE_PGM_RSRC2:TRAP_HANDLER: 0
; COMPUTE_PGM_RSRC2:TGID_X_EN: 1
; COMPUTE_PGM_RSRC2:TGID_Y_EN: 0
; COMPUTE_PGM_RSRC2:TGID_Z_EN: 0
; COMPUTE_PGM_RSRC2:TIDIG_COMP_CNT: 0
	.section	.text._ZN7rocprim17ROCPRIM_400000_NS6detail17trampoline_kernelINS0_14default_configENS1_36segmented_radix_sort_config_selectorIdlEEZNS1_25segmented_radix_sort_implIS3_Lb0EPKdPdPKlPlN2at6native12_GLOBAL__N_18offset_tEEE10hipError_tPvRmT1_PNSt15iterator_traitsISK_E10value_typeET2_T3_PNSL_ISQ_E10value_typeET4_jRbjT5_SW_jjP12ihipStream_tbEUlT_E1_NS1_11comp_targetILNS1_3genE9ELNS1_11target_archE1100ELNS1_3gpuE3ELNS1_3repE0EEENS1_59segmented_radix_sort_warp_sort_small_config_static_selectorELNS0_4arch9wavefront6targetE0EEEvSK_,"axG",@progbits,_ZN7rocprim17ROCPRIM_400000_NS6detail17trampoline_kernelINS0_14default_configENS1_36segmented_radix_sort_config_selectorIdlEEZNS1_25segmented_radix_sort_implIS3_Lb0EPKdPdPKlPlN2at6native12_GLOBAL__N_18offset_tEEE10hipError_tPvRmT1_PNSt15iterator_traitsISK_E10value_typeET2_T3_PNSL_ISQ_E10value_typeET4_jRbjT5_SW_jjP12ihipStream_tbEUlT_E1_NS1_11comp_targetILNS1_3genE9ELNS1_11target_archE1100ELNS1_3gpuE3ELNS1_3repE0EEENS1_59segmented_radix_sort_warp_sort_small_config_static_selectorELNS0_4arch9wavefront6targetE0EEEvSK_,comdat
	.globl	_ZN7rocprim17ROCPRIM_400000_NS6detail17trampoline_kernelINS0_14default_configENS1_36segmented_radix_sort_config_selectorIdlEEZNS1_25segmented_radix_sort_implIS3_Lb0EPKdPdPKlPlN2at6native12_GLOBAL__N_18offset_tEEE10hipError_tPvRmT1_PNSt15iterator_traitsISK_E10value_typeET2_T3_PNSL_ISQ_E10value_typeET4_jRbjT5_SW_jjP12ihipStream_tbEUlT_E1_NS1_11comp_targetILNS1_3genE9ELNS1_11target_archE1100ELNS1_3gpuE3ELNS1_3repE0EEENS1_59segmented_radix_sort_warp_sort_small_config_static_selectorELNS0_4arch9wavefront6targetE0EEEvSK_ ; -- Begin function _ZN7rocprim17ROCPRIM_400000_NS6detail17trampoline_kernelINS0_14default_configENS1_36segmented_radix_sort_config_selectorIdlEEZNS1_25segmented_radix_sort_implIS3_Lb0EPKdPdPKlPlN2at6native12_GLOBAL__N_18offset_tEEE10hipError_tPvRmT1_PNSt15iterator_traitsISK_E10value_typeET2_T3_PNSL_ISQ_E10value_typeET4_jRbjT5_SW_jjP12ihipStream_tbEUlT_E1_NS1_11comp_targetILNS1_3genE9ELNS1_11target_archE1100ELNS1_3gpuE3ELNS1_3repE0EEENS1_59segmented_radix_sort_warp_sort_small_config_static_selectorELNS0_4arch9wavefront6targetE0EEEvSK_
	.p2align	8
	.type	_ZN7rocprim17ROCPRIM_400000_NS6detail17trampoline_kernelINS0_14default_configENS1_36segmented_radix_sort_config_selectorIdlEEZNS1_25segmented_radix_sort_implIS3_Lb0EPKdPdPKlPlN2at6native12_GLOBAL__N_18offset_tEEE10hipError_tPvRmT1_PNSt15iterator_traitsISK_E10value_typeET2_T3_PNSL_ISQ_E10value_typeET4_jRbjT5_SW_jjP12ihipStream_tbEUlT_E1_NS1_11comp_targetILNS1_3genE9ELNS1_11target_archE1100ELNS1_3gpuE3ELNS1_3repE0EEENS1_59segmented_radix_sort_warp_sort_small_config_static_selectorELNS0_4arch9wavefront6targetE0EEEvSK_,@function
_ZN7rocprim17ROCPRIM_400000_NS6detail17trampoline_kernelINS0_14default_configENS1_36segmented_radix_sort_config_selectorIdlEEZNS1_25segmented_radix_sort_implIS3_Lb0EPKdPdPKlPlN2at6native12_GLOBAL__N_18offset_tEEE10hipError_tPvRmT1_PNSt15iterator_traitsISK_E10value_typeET2_T3_PNSL_ISQ_E10value_typeET4_jRbjT5_SW_jjP12ihipStream_tbEUlT_E1_NS1_11comp_targetILNS1_3genE9ELNS1_11target_archE1100ELNS1_3gpuE3ELNS1_3repE0EEENS1_59segmented_radix_sort_warp_sort_small_config_static_selectorELNS0_4arch9wavefront6targetE0EEEvSK_: ; @_ZN7rocprim17ROCPRIM_400000_NS6detail17trampoline_kernelINS0_14default_configENS1_36segmented_radix_sort_config_selectorIdlEEZNS1_25segmented_radix_sort_implIS3_Lb0EPKdPdPKlPlN2at6native12_GLOBAL__N_18offset_tEEE10hipError_tPvRmT1_PNSt15iterator_traitsISK_E10value_typeET2_T3_PNSL_ISQ_E10value_typeET4_jRbjT5_SW_jjP12ihipStream_tbEUlT_E1_NS1_11comp_targetILNS1_3genE9ELNS1_11target_archE1100ELNS1_3gpuE3ELNS1_3repE0EEENS1_59segmented_radix_sort_warp_sort_small_config_static_selectorELNS0_4arch9wavefront6targetE0EEEvSK_
; %bb.0:
	.section	.rodata,"a",@progbits
	.p2align	6, 0x0
	.amdhsa_kernel _ZN7rocprim17ROCPRIM_400000_NS6detail17trampoline_kernelINS0_14default_configENS1_36segmented_radix_sort_config_selectorIdlEEZNS1_25segmented_radix_sort_implIS3_Lb0EPKdPdPKlPlN2at6native12_GLOBAL__N_18offset_tEEE10hipError_tPvRmT1_PNSt15iterator_traitsISK_E10value_typeET2_T3_PNSL_ISQ_E10value_typeET4_jRbjT5_SW_jjP12ihipStream_tbEUlT_E1_NS1_11comp_targetILNS1_3genE9ELNS1_11target_archE1100ELNS1_3gpuE3ELNS1_3repE0EEENS1_59segmented_radix_sort_warp_sort_small_config_static_selectorELNS0_4arch9wavefront6targetE0EEEvSK_
		.amdhsa_group_segment_fixed_size 0
		.amdhsa_private_segment_fixed_size 0
		.amdhsa_kernarg_size 88
		.amdhsa_user_sgpr_count 6
		.amdhsa_user_sgpr_private_segment_buffer 1
		.amdhsa_user_sgpr_dispatch_ptr 0
		.amdhsa_user_sgpr_queue_ptr 0
		.amdhsa_user_sgpr_kernarg_segment_ptr 1
		.amdhsa_user_sgpr_dispatch_id 0
		.amdhsa_user_sgpr_flat_scratch_init 0
		.amdhsa_user_sgpr_private_segment_size 0
		.amdhsa_wavefront_size32 1
		.amdhsa_uses_dynamic_stack 0
		.amdhsa_system_sgpr_private_segment_wavefront_offset 0
		.amdhsa_system_sgpr_workgroup_id_x 1
		.amdhsa_system_sgpr_workgroup_id_y 0
		.amdhsa_system_sgpr_workgroup_id_z 0
		.amdhsa_system_sgpr_workgroup_info 0
		.amdhsa_system_vgpr_workitem_id 0
		.amdhsa_next_free_vgpr 1
		.amdhsa_next_free_sgpr 1
		.amdhsa_reserve_vcc 0
		.amdhsa_reserve_flat_scratch 0
		.amdhsa_float_round_mode_32 0
		.amdhsa_float_round_mode_16_64 0
		.amdhsa_float_denorm_mode_32 3
		.amdhsa_float_denorm_mode_16_64 3
		.amdhsa_dx10_clamp 1
		.amdhsa_ieee_mode 1
		.amdhsa_fp16_overflow 0
		.amdhsa_workgroup_processor_mode 1
		.amdhsa_memory_ordered 1
		.amdhsa_forward_progress 1
		.amdhsa_shared_vgpr_count 0
		.amdhsa_exception_fp_ieee_invalid_op 0
		.amdhsa_exception_fp_denorm_src 0
		.amdhsa_exception_fp_ieee_div_zero 0
		.amdhsa_exception_fp_ieee_overflow 0
		.amdhsa_exception_fp_ieee_underflow 0
		.amdhsa_exception_fp_ieee_inexact 0
		.amdhsa_exception_int_div_zero 0
	.end_amdhsa_kernel
	.section	.text._ZN7rocprim17ROCPRIM_400000_NS6detail17trampoline_kernelINS0_14default_configENS1_36segmented_radix_sort_config_selectorIdlEEZNS1_25segmented_radix_sort_implIS3_Lb0EPKdPdPKlPlN2at6native12_GLOBAL__N_18offset_tEEE10hipError_tPvRmT1_PNSt15iterator_traitsISK_E10value_typeET2_T3_PNSL_ISQ_E10value_typeET4_jRbjT5_SW_jjP12ihipStream_tbEUlT_E1_NS1_11comp_targetILNS1_3genE9ELNS1_11target_archE1100ELNS1_3gpuE3ELNS1_3repE0EEENS1_59segmented_radix_sort_warp_sort_small_config_static_selectorELNS0_4arch9wavefront6targetE0EEEvSK_,"axG",@progbits,_ZN7rocprim17ROCPRIM_400000_NS6detail17trampoline_kernelINS0_14default_configENS1_36segmented_radix_sort_config_selectorIdlEEZNS1_25segmented_radix_sort_implIS3_Lb0EPKdPdPKlPlN2at6native12_GLOBAL__N_18offset_tEEE10hipError_tPvRmT1_PNSt15iterator_traitsISK_E10value_typeET2_T3_PNSL_ISQ_E10value_typeET4_jRbjT5_SW_jjP12ihipStream_tbEUlT_E1_NS1_11comp_targetILNS1_3genE9ELNS1_11target_archE1100ELNS1_3gpuE3ELNS1_3repE0EEENS1_59segmented_radix_sort_warp_sort_small_config_static_selectorELNS0_4arch9wavefront6targetE0EEEvSK_,comdat
.Lfunc_end1240:
	.size	_ZN7rocprim17ROCPRIM_400000_NS6detail17trampoline_kernelINS0_14default_configENS1_36segmented_radix_sort_config_selectorIdlEEZNS1_25segmented_radix_sort_implIS3_Lb0EPKdPdPKlPlN2at6native12_GLOBAL__N_18offset_tEEE10hipError_tPvRmT1_PNSt15iterator_traitsISK_E10value_typeET2_T3_PNSL_ISQ_E10value_typeET4_jRbjT5_SW_jjP12ihipStream_tbEUlT_E1_NS1_11comp_targetILNS1_3genE9ELNS1_11target_archE1100ELNS1_3gpuE3ELNS1_3repE0EEENS1_59segmented_radix_sort_warp_sort_small_config_static_selectorELNS0_4arch9wavefront6targetE0EEEvSK_, .Lfunc_end1240-_ZN7rocprim17ROCPRIM_400000_NS6detail17trampoline_kernelINS0_14default_configENS1_36segmented_radix_sort_config_selectorIdlEEZNS1_25segmented_radix_sort_implIS3_Lb0EPKdPdPKlPlN2at6native12_GLOBAL__N_18offset_tEEE10hipError_tPvRmT1_PNSt15iterator_traitsISK_E10value_typeET2_T3_PNSL_ISQ_E10value_typeET4_jRbjT5_SW_jjP12ihipStream_tbEUlT_E1_NS1_11comp_targetILNS1_3genE9ELNS1_11target_archE1100ELNS1_3gpuE3ELNS1_3repE0EEENS1_59segmented_radix_sort_warp_sort_small_config_static_selectorELNS0_4arch9wavefront6targetE0EEEvSK_
                                        ; -- End function
	.set _ZN7rocprim17ROCPRIM_400000_NS6detail17trampoline_kernelINS0_14default_configENS1_36segmented_radix_sort_config_selectorIdlEEZNS1_25segmented_radix_sort_implIS3_Lb0EPKdPdPKlPlN2at6native12_GLOBAL__N_18offset_tEEE10hipError_tPvRmT1_PNSt15iterator_traitsISK_E10value_typeET2_T3_PNSL_ISQ_E10value_typeET4_jRbjT5_SW_jjP12ihipStream_tbEUlT_E1_NS1_11comp_targetILNS1_3genE9ELNS1_11target_archE1100ELNS1_3gpuE3ELNS1_3repE0EEENS1_59segmented_radix_sort_warp_sort_small_config_static_selectorELNS0_4arch9wavefront6targetE0EEEvSK_.num_vgpr, 0
	.set _ZN7rocprim17ROCPRIM_400000_NS6detail17trampoline_kernelINS0_14default_configENS1_36segmented_radix_sort_config_selectorIdlEEZNS1_25segmented_radix_sort_implIS3_Lb0EPKdPdPKlPlN2at6native12_GLOBAL__N_18offset_tEEE10hipError_tPvRmT1_PNSt15iterator_traitsISK_E10value_typeET2_T3_PNSL_ISQ_E10value_typeET4_jRbjT5_SW_jjP12ihipStream_tbEUlT_E1_NS1_11comp_targetILNS1_3genE9ELNS1_11target_archE1100ELNS1_3gpuE3ELNS1_3repE0EEENS1_59segmented_radix_sort_warp_sort_small_config_static_selectorELNS0_4arch9wavefront6targetE0EEEvSK_.num_agpr, 0
	.set _ZN7rocprim17ROCPRIM_400000_NS6detail17trampoline_kernelINS0_14default_configENS1_36segmented_radix_sort_config_selectorIdlEEZNS1_25segmented_radix_sort_implIS3_Lb0EPKdPdPKlPlN2at6native12_GLOBAL__N_18offset_tEEE10hipError_tPvRmT1_PNSt15iterator_traitsISK_E10value_typeET2_T3_PNSL_ISQ_E10value_typeET4_jRbjT5_SW_jjP12ihipStream_tbEUlT_E1_NS1_11comp_targetILNS1_3genE9ELNS1_11target_archE1100ELNS1_3gpuE3ELNS1_3repE0EEENS1_59segmented_radix_sort_warp_sort_small_config_static_selectorELNS0_4arch9wavefront6targetE0EEEvSK_.numbered_sgpr, 0
	.set _ZN7rocprim17ROCPRIM_400000_NS6detail17trampoline_kernelINS0_14default_configENS1_36segmented_radix_sort_config_selectorIdlEEZNS1_25segmented_radix_sort_implIS3_Lb0EPKdPdPKlPlN2at6native12_GLOBAL__N_18offset_tEEE10hipError_tPvRmT1_PNSt15iterator_traitsISK_E10value_typeET2_T3_PNSL_ISQ_E10value_typeET4_jRbjT5_SW_jjP12ihipStream_tbEUlT_E1_NS1_11comp_targetILNS1_3genE9ELNS1_11target_archE1100ELNS1_3gpuE3ELNS1_3repE0EEENS1_59segmented_radix_sort_warp_sort_small_config_static_selectorELNS0_4arch9wavefront6targetE0EEEvSK_.num_named_barrier, 0
	.set _ZN7rocprim17ROCPRIM_400000_NS6detail17trampoline_kernelINS0_14default_configENS1_36segmented_radix_sort_config_selectorIdlEEZNS1_25segmented_radix_sort_implIS3_Lb0EPKdPdPKlPlN2at6native12_GLOBAL__N_18offset_tEEE10hipError_tPvRmT1_PNSt15iterator_traitsISK_E10value_typeET2_T3_PNSL_ISQ_E10value_typeET4_jRbjT5_SW_jjP12ihipStream_tbEUlT_E1_NS1_11comp_targetILNS1_3genE9ELNS1_11target_archE1100ELNS1_3gpuE3ELNS1_3repE0EEENS1_59segmented_radix_sort_warp_sort_small_config_static_selectorELNS0_4arch9wavefront6targetE0EEEvSK_.private_seg_size, 0
	.set _ZN7rocprim17ROCPRIM_400000_NS6detail17trampoline_kernelINS0_14default_configENS1_36segmented_radix_sort_config_selectorIdlEEZNS1_25segmented_radix_sort_implIS3_Lb0EPKdPdPKlPlN2at6native12_GLOBAL__N_18offset_tEEE10hipError_tPvRmT1_PNSt15iterator_traitsISK_E10value_typeET2_T3_PNSL_ISQ_E10value_typeET4_jRbjT5_SW_jjP12ihipStream_tbEUlT_E1_NS1_11comp_targetILNS1_3genE9ELNS1_11target_archE1100ELNS1_3gpuE3ELNS1_3repE0EEENS1_59segmented_radix_sort_warp_sort_small_config_static_selectorELNS0_4arch9wavefront6targetE0EEEvSK_.uses_vcc, 0
	.set _ZN7rocprim17ROCPRIM_400000_NS6detail17trampoline_kernelINS0_14default_configENS1_36segmented_radix_sort_config_selectorIdlEEZNS1_25segmented_radix_sort_implIS3_Lb0EPKdPdPKlPlN2at6native12_GLOBAL__N_18offset_tEEE10hipError_tPvRmT1_PNSt15iterator_traitsISK_E10value_typeET2_T3_PNSL_ISQ_E10value_typeET4_jRbjT5_SW_jjP12ihipStream_tbEUlT_E1_NS1_11comp_targetILNS1_3genE9ELNS1_11target_archE1100ELNS1_3gpuE3ELNS1_3repE0EEENS1_59segmented_radix_sort_warp_sort_small_config_static_selectorELNS0_4arch9wavefront6targetE0EEEvSK_.uses_flat_scratch, 0
	.set _ZN7rocprim17ROCPRIM_400000_NS6detail17trampoline_kernelINS0_14default_configENS1_36segmented_radix_sort_config_selectorIdlEEZNS1_25segmented_radix_sort_implIS3_Lb0EPKdPdPKlPlN2at6native12_GLOBAL__N_18offset_tEEE10hipError_tPvRmT1_PNSt15iterator_traitsISK_E10value_typeET2_T3_PNSL_ISQ_E10value_typeET4_jRbjT5_SW_jjP12ihipStream_tbEUlT_E1_NS1_11comp_targetILNS1_3genE9ELNS1_11target_archE1100ELNS1_3gpuE3ELNS1_3repE0EEENS1_59segmented_radix_sort_warp_sort_small_config_static_selectorELNS0_4arch9wavefront6targetE0EEEvSK_.has_dyn_sized_stack, 0
	.set _ZN7rocprim17ROCPRIM_400000_NS6detail17trampoline_kernelINS0_14default_configENS1_36segmented_radix_sort_config_selectorIdlEEZNS1_25segmented_radix_sort_implIS3_Lb0EPKdPdPKlPlN2at6native12_GLOBAL__N_18offset_tEEE10hipError_tPvRmT1_PNSt15iterator_traitsISK_E10value_typeET2_T3_PNSL_ISQ_E10value_typeET4_jRbjT5_SW_jjP12ihipStream_tbEUlT_E1_NS1_11comp_targetILNS1_3genE9ELNS1_11target_archE1100ELNS1_3gpuE3ELNS1_3repE0EEENS1_59segmented_radix_sort_warp_sort_small_config_static_selectorELNS0_4arch9wavefront6targetE0EEEvSK_.has_recursion, 0
	.set _ZN7rocprim17ROCPRIM_400000_NS6detail17trampoline_kernelINS0_14default_configENS1_36segmented_radix_sort_config_selectorIdlEEZNS1_25segmented_radix_sort_implIS3_Lb0EPKdPdPKlPlN2at6native12_GLOBAL__N_18offset_tEEE10hipError_tPvRmT1_PNSt15iterator_traitsISK_E10value_typeET2_T3_PNSL_ISQ_E10value_typeET4_jRbjT5_SW_jjP12ihipStream_tbEUlT_E1_NS1_11comp_targetILNS1_3genE9ELNS1_11target_archE1100ELNS1_3gpuE3ELNS1_3repE0EEENS1_59segmented_radix_sort_warp_sort_small_config_static_selectorELNS0_4arch9wavefront6targetE0EEEvSK_.has_indirect_call, 0
	.section	.AMDGPU.csdata,"",@progbits
; Kernel info:
; codeLenInByte = 0
; TotalNumSgprs: 0
; NumVgprs: 0
; ScratchSize: 0
; MemoryBound: 0
; FloatMode: 240
; IeeeMode: 1
; LDSByteSize: 0 bytes/workgroup (compile time only)
; SGPRBlocks: 0
; VGPRBlocks: 0
; NumSGPRsForWavesPerEU: 1
; NumVGPRsForWavesPerEU: 1
; Occupancy: 16
; WaveLimiterHint : 0
; COMPUTE_PGM_RSRC2:SCRATCH_EN: 0
; COMPUTE_PGM_RSRC2:USER_SGPR: 6
; COMPUTE_PGM_RSRC2:TRAP_HANDLER: 0
; COMPUTE_PGM_RSRC2:TGID_X_EN: 1
; COMPUTE_PGM_RSRC2:TGID_Y_EN: 0
; COMPUTE_PGM_RSRC2:TGID_Z_EN: 0
; COMPUTE_PGM_RSRC2:TIDIG_COMP_CNT: 0
	.text
	.p2align	2                               ; -- Begin function _ZN7rocprim17ROCPRIM_400000_NS6detail26segmented_warp_sort_helperINS1_20WarpSortHelperConfigILj8ELj8ELj256EEEdlLi256ELb0EvE4sortIPKdPdPKlPlEEvT_T0_T1_T2_jjjjRNS5_12storage_typeE
	.type	_ZN7rocprim17ROCPRIM_400000_NS6detail26segmented_warp_sort_helperINS1_20WarpSortHelperConfigILj8ELj8ELj256EEEdlLi256ELb0EvE4sortIPKdPdPKlPlEEvT_T0_T1_T2_jjjjRNS5_12storage_typeE,@function
_ZN7rocprim17ROCPRIM_400000_NS6detail26segmented_warp_sort_helperINS1_20WarpSortHelperConfigILj8ELj8ELj256EEEdlLi256ELb0EvE4sortIPKdPdPKlPlEEvT_T0_T1_T2_jjjjRNS5_12storage_typeE: ; @_ZN7rocprim17ROCPRIM_400000_NS6detail26segmented_warp_sort_helperINS1_20WarpSortHelperConfigILj8ELj8ELj256EEEdlLi256ELb0EvE4sortIPKdPdPKlPlEEvT_T0_T1_T2_jjjjRNS5_12storage_typeE
; %bb.0:
	s_waitcnt vmcnt(0) expcnt(0) lgkmcnt(0)
	v_mov_b32_e32 v11, v9
	v_mbcnt_lo_u32_b32 v9, -1, 0
	v_mov_b32_e32 v28, -1
	v_bfrev_b32_e32 v29, -2
	v_lshlrev_b32_e32 v80, 3, v9
	v_mov_b32_e32 v9, 0
	v_mov_b32_e32 v16, v28
	;; [unrolled: 1-line block ×3, first 2 shown]
	v_and_b32_e32 v71, 56, v80
	v_lshlrev_b64 v[12:13], 3, v[8:9]
	v_sub_nc_u32_e32 v8, v11, v8
	v_lshlrev_b32_e32 v70, 3, v71
	v_add_co_u32 v0, vcc_lo, v0, v12
	v_add_co_ci_u32_e64 v1, null, v1, v13, vcc_lo
	v_add_co_u32 v0, vcc_lo, v0, v70
	v_add_co_ci_u32_e64 v1, null, 0, v1, vcc_lo
	v_cmp_lt_u32_e32 vcc_lo, v71, v8
	s_and_saveexec_b32 s4, vcc_lo
	s_cbranch_execz .LBB1241_2
; %bb.1:
	flat_load_dwordx2 v[16:17], v[0:1]
.LBB1241_2:
	s_or_b32 exec_lo, exec_lo, s4
	v_or_b32_e32 v9, 1, v71
	v_cmp_lt_u32_e64 s4, v9, v8
	s_and_saveexec_b32 s5, s4
	s_cbranch_execz .LBB1241_4
; %bb.3:
	flat_load_dwordx2 v[28:29], v[0:1] offset:8
.LBB1241_4:
	s_or_b32 exec_lo, exec_lo, s5
	v_mov_b32_e32 v48, -1
	v_or_b32_e32 v9, 2, v71
	v_bfrev_b32_e32 v49, -2
	v_mov_b32_e32 v32, v48
	v_cmp_lt_u32_e64 s5, v9, v8
	v_mov_b32_e32 v33, v49
	s_and_saveexec_b32 s6, s5
	s_cbranch_execz .LBB1241_6
; %bb.5:
	flat_load_dwordx2 v[32:33], v[0:1] offset:16
.LBB1241_6:
	s_or_b32 exec_lo, exec_lo, s6
	v_or_b32_e32 v9, 3, v71
	v_cmp_lt_u32_e64 s6, v9, v8
	s_and_saveexec_b32 s7, s6
	s_cbranch_execz .LBB1241_8
; %bb.7:
	flat_load_dwordx2 v[48:49], v[0:1] offset:24
.LBB1241_8:
	s_or_b32 exec_lo, exec_lo, s7
	v_bfrev_b32_e32 v27, -2
	v_or_b32_e32 v9, 4, v71
	v_mov_b32_e32 v26, -1
	v_mov_b32_e32 v35, v27
	v_cmp_lt_u32_e64 s7, v9, v8
	v_mov_b32_e32 v34, v26
	s_and_saveexec_b32 s10, s7
	s_cbranch_execz .LBB1241_10
; %bb.9:
	flat_load_dwordx2 v[34:35], v[0:1] offset:32
.LBB1241_10:
	s_or_b32 exec_lo, exec_lo, s10
	v_or_b32_e32 v9, 5, v71
	v_cmp_lt_u32_e64 s10, v9, v8
	s_and_saveexec_b32 s11, s10
	s_cbranch_execz .LBB1241_12
; %bb.11:
	flat_load_dwordx2 v[26:27], v[0:1] offset:40
.LBB1241_12:
	s_or_b32 exec_lo, exec_lo, s11
	v_bfrev_b32_e32 v19, -2
	v_or_b32_e32 v9, 6, v71
	v_mov_b32_e32 v18, -1
	v_mov_b32_e32 v39, v19
	v_cmp_lt_u32_e64 s11, v9, v8
	v_mov_b32_e32 v38, v18
	s_and_saveexec_b32 s14, s11
	s_cbranch_execz .LBB1241_14
; %bb.13:
	flat_load_dwordx2 v[38:39], v[0:1] offset:48
.LBB1241_14:
	s_or_b32 exec_lo, exec_lo, s14
	v_or_b32_e32 v9, 7, v71
	v_cmp_lt_u32_e64 s14, v9, v8
	s_and_saveexec_b32 s15, s14
	s_cbranch_execz .LBB1241_16
; %bb.15:
	flat_load_dwordx2 v[18:19], v[0:1] offset:56
.LBB1241_16:
	s_or_b32 exec_lo, exec_lo, s15
	v_add_co_u32 v0, s15, v4, v12
	v_add_co_ci_u32_e64 v1, null, v5, v13, s15
	v_add_co_u32 v50, s15, v0, v70
	v_add_co_ci_u32_e64 v51, null, 0, v1, s15
	; wave barrier
                                        ; implicit-def: $vgpr0_vgpr1
	s_and_saveexec_b32 s15, vcc_lo
	s_cbranch_execnz .LBB1241_221
; %bb.17:
	s_or_b32 exec_lo, exec_lo, s15
                                        ; implicit-def: $vgpr4_vgpr5
	s_and_saveexec_b32 s15, s4
	s_cbranch_execnz .LBB1241_222
.LBB1241_18:
	s_or_b32 exec_lo, exec_lo, s15
                                        ; implicit-def: $vgpr8_vgpr9
	s_and_saveexec_b32 s15, s5
	s_cbranch_execnz .LBB1241_223
.LBB1241_19:
	s_or_b32 exec_lo, exec_lo, s15
                                        ; implicit-def: $vgpr14_vgpr15
	s_and_saveexec_b32 s15, s6
	s_cbranch_execnz .LBB1241_224
.LBB1241_20:
	s_or_b32 exec_lo, exec_lo, s15
                                        ; implicit-def: $vgpr20_vgpr21
	s_and_saveexec_b32 s15, s7
	s_cbranch_execnz .LBB1241_225
.LBB1241_21:
	s_or_b32 exec_lo, exec_lo, s15
                                        ; implicit-def: $vgpr24_vgpr25
	s_and_saveexec_b32 s15, s10
	s_cbranch_execnz .LBB1241_226
.LBB1241_22:
	s_or_b32 exec_lo, exec_lo, s15
                                        ; implicit-def: $vgpr22_vgpr23
	s_and_saveexec_b32 s15, s11
	s_cbranch_execnz .LBB1241_227
.LBB1241_23:
	s_or_b32 exec_lo, exec_lo, s15
                                        ; implicit-def: $vgpr36_vgpr37
	s_and_saveexec_b32 s15, s14
	s_cbranch_execz .LBB1241_25
.LBB1241_24:
	flat_load_dwordx2 v[36:37], v[50:51] offset:56
.LBB1241_25:
	s_or_b32 exec_lo, exec_lo, s15
	; wave barrier
	s_load_dwordx2 s[16:17], s[8:9], 0x0
	v_mov_b32_e32 v11, 0
	v_bfe_u32 v50, v31, 10, 10
	v_bfe_u32 v51, v31, 20, 10
	s_waitcnt lgkmcnt(0)
	s_cmp_lt_u32 s13, s17
	s_cselect_b32 s13, 14, 20
	s_add_u32 s18, s8, s13
	s_addc_u32 s19, s9, 0
	s_cmp_lt_u32 s12, s16
	global_load_ushort v30, v11, s[18:19]
	s_cselect_b32 s12, 12, 18
	s_add_u32 s8, s8, s12
	s_addc_u32 s9, s9, 0
	global_load_ushort v11, v11, s[8:9]
	s_mov_b32 s9, exec_lo
	s_waitcnt vmcnt(1)
	v_mad_u32_u24 v30, v51, v30, v50
	s_waitcnt vmcnt(0)
	v_mul_lo_u32 v11, v30, v11
	v_and_b32_e32 v30, 0x3ff, v31
	v_add_lshl_u32 v11, v11, v30, 3
	v_cmpx_gt_u32_e32 0x800, v11
	s_cbranch_execz .LBB1241_83
; %bb.26:
	v_add_f64 v[30:31], v[16:17], 0
	v_add_f64 v[50:51], v[28:29], 0
	v_ashrrev_i32_e32 v52, 31, v31
	v_ashrrev_i32_e32 v53, 31, v51
	v_or_b32_e32 v54, 0x80000000, v52
	v_or_b32_e32 v55, 0x80000000, v53
	v_xor_b32_e32 v30, v52, v30
	v_xor_b32_e32 v50, v53, v50
	;; [unrolled: 1-line block ×4, first 2 shown]
	v_cmp_gt_u64_e64 s8, v[30:31], v[50:51]
	v_mov_b32_e32 v31, v29
	v_mov_b32_e32 v51, v5
	;; [unrolled: 1-line block ×4, first 2 shown]
	s_and_saveexec_b32 s12, s8
	s_cbranch_execz .LBB1241_28
; %bb.27:
	v_mov_b32_e32 v31, v17
	v_mov_b32_e32 v51, v1
	;; [unrolled: 1-line block ×8, first 2 shown]
.LBB1241_28:
	s_or_b32 exec_lo, exec_lo, s12
	v_add_f64 v[4:5], v[32:33], 0
	v_add_f64 v[28:29], v[48:49], 0
	v_ashrrev_i32_e32 v52, 31, v5
	v_ashrrev_i32_e32 v53, 31, v29
	v_or_b32_e32 v54, 0x80000000, v52
	v_or_b32_e32 v55, 0x80000000, v53
	v_xor_b32_e32 v4, v52, v4
	v_xor_b32_e32 v28, v53, v28
	;; [unrolled: 1-line block ×4, first 2 shown]
	v_mov_b32_e32 v55, v49
	v_mov_b32_e32 v54, v48
	v_cmp_gt_u64_e64 s8, v[4:5], v[28:29]
	v_mov_b32_e32 v29, v15
	v_mov_b32_e32 v28, v14
	s_and_saveexec_b32 s12, s8
	s_cbranch_execz .LBB1241_30
; %bb.29:
	v_mov_b32_e32 v55, v33
	v_mov_b32_e32 v29, v9
	v_mov_b32_e32 v54, v32
	v_mov_b32_e32 v32, v48
	v_mov_b32_e32 v28, v8
	v_mov_b32_e32 v8, v14
	v_mov_b32_e32 v33, v49
	v_mov_b32_e32 v9, v15
.LBB1241_30:
	s_or_b32 exec_lo, exec_lo, s12
	v_add_f64 v[4:5], v[34:35], 0
	v_add_f64 v[14:15], v[26:27], 0
	v_ashrrev_i32_e32 v48, 31, v5
	v_ashrrev_i32_e32 v49, 31, v15
	v_or_b32_e32 v52, 0x80000000, v48
	v_or_b32_e32 v53, 0x80000000, v49
	v_xor_b32_e32 v4, v48, v4
	v_xor_b32_e32 v14, v49, v14
	;; [unrolled: 1-line block ×4, first 2 shown]
	v_mov_b32_e32 v53, v35
	v_mov_b32_e32 v52, v34
	v_cmp_gt_u64_e64 s8, v[4:5], v[14:15]
	v_mov_b32_e32 v14, v24
	v_mov_b32_e32 v15, v25
	s_and_saveexec_b32 s12, s8
	s_cbranch_execz .LBB1241_32
; %bb.31:
	v_mov_b32_e32 v14, v20
	v_mov_b32_e32 v53, v27
	;; [unrolled: 1-line block ×8, first 2 shown]
.LBB1241_32:
	s_or_b32 exec_lo, exec_lo, s12
	v_add_f64 v[4:5], v[38:39], 0
	v_add_f64 v[24:25], v[18:19], 0
	v_ashrrev_i32_e32 v34, 31, v5
	v_ashrrev_i32_e32 v35, 31, v25
	v_or_b32_e32 v48, 0x80000000, v34
	v_or_b32_e32 v49, 0x80000000, v35
	v_xor_b32_e32 v4, v34, v4
	v_xor_b32_e32 v24, v35, v24
	v_mov_b32_e32 v34, v38
	v_xor_b32_e32 v5, v48, v5
	v_xor_b32_e32 v25, v49, v25
	v_mov_b32_e32 v35, v39
	v_cmp_gt_u64_e64 s8, v[4:5], v[24:25]
	v_mov_b32_e32 v4, v36
	v_mov_b32_e32 v5, v37
	s_and_saveexec_b32 s12, s8
	s_cbranch_execz .LBB1241_34
; %bb.33:
	v_mov_b32_e32 v4, v22
	v_mov_b32_e32 v35, v19
	;; [unrolled: 1-line block ×8, first 2 shown]
.LBB1241_34:
	s_or_b32 exec_lo, exec_lo, s12
	v_add_f64 v[24:25], v[30:31], 0
	v_add_f64 v[36:37], v[32:33], 0
	v_ashrrev_i32_e32 v38, 31, v25
	v_ashrrev_i32_e32 v39, 31, v37
	v_or_b32_e32 v48, 0x80000000, v38
	v_or_b32_e32 v49, 0x80000000, v39
	v_xor_b32_e32 v24, v38, v24
	v_xor_b32_e32 v36, v39, v36
	;; [unrolled: 1-line block ×4, first 2 shown]
	v_cmp_gt_u64_e64 s8, v[24:25], v[36:37]
	v_mov_b32_e32 v24, v32
	v_mov_b32_e32 v37, v9
	;; [unrolled: 1-line block ×4, first 2 shown]
	s_and_saveexec_b32 s12, s8
	s_xor_b32 s8, exec_lo, s12
	s_cbranch_execz .LBB1241_36
; %bb.35:
	v_mov_b32_e32 v24, v30
	v_mov_b32_e32 v36, v50
	;; [unrolled: 1-line block ×8, first 2 shown]
.LBB1241_36:
	s_or_b32 exec_lo, exec_lo, s8
	v_add_f64 v[8:9], v[54:55], 0
	v_add_f64 v[32:33], v[52:53], 0
	v_ashrrev_i32_e32 v38, 31, v9
	v_ashrrev_i32_e32 v39, 31, v33
	v_or_b32_e32 v48, 0x80000000, v38
	v_or_b32_e32 v49, 0x80000000, v39
	v_xor_b32_e32 v8, v38, v8
	v_xor_b32_e32 v32, v39, v32
	;; [unrolled: 1-line block ×4, first 2 shown]
	v_cmp_gt_u64_e64 s8, v[8:9], v[32:33]
	v_mov_b32_e32 v8, v54
	v_mov_b32_e32 v33, v21
	;; [unrolled: 1-line block ×4, first 2 shown]
	s_and_saveexec_b32 s12, s8
	s_cbranch_execz .LBB1241_38
; %bb.37:
	v_mov_b32_e32 v8, v52
	v_mov_b32_e32 v33, v29
	;; [unrolled: 1-line block ×8, first 2 shown]
.LBB1241_38:
	s_or_b32 exec_lo, exec_lo, s12
	v_add_f64 v[20:21], v[26:27], 0
	v_add_f64 v[38:39], v[34:35], 0
	v_ashrrev_i32_e32 v48, 31, v21
	v_ashrrev_i32_e32 v49, 31, v39
	v_or_b32_e32 v54, 0x80000000, v48
	v_or_b32_e32 v55, 0x80000000, v49
	v_xor_b32_e32 v20, v48, v20
	v_xor_b32_e32 v38, v49, v38
	;; [unrolled: 1-line block ×4, first 2 shown]
	v_cmp_gt_u64_e64 s8, v[20:21], v[38:39]
	v_mov_b32_e32 v20, v22
	v_mov_b32_e32 v39, v27
	v_mov_b32_e32 v21, v23
	v_mov_b32_e32 v38, v26
	s_and_saveexec_b32 s12, s8
	s_cbranch_execz .LBB1241_40
; %bb.39:
	v_mov_b32_e32 v21, v15
	v_mov_b32_e32 v39, v35
	;; [unrolled: 1-line block ×8, first 2 shown]
.LBB1241_40:
	s_or_b32 exec_lo, exec_lo, s12
	v_add_f64 v[22:23], v[16:17], 0
	v_add_f64 v[26:27], v[30:31], 0
	v_ashrrev_i32_e32 v48, 31, v23
	v_ashrrev_i32_e32 v49, 31, v27
	v_or_b32_e32 v54, 0x80000000, v48
	v_or_b32_e32 v55, 0x80000000, v49
	v_xor_b32_e32 v22, v48, v22
	v_xor_b32_e32 v26, v49, v26
	v_mov_b32_e32 v48, v50
	v_xor_b32_e32 v23, v54, v23
	v_xor_b32_e32 v27, v55, v27
	v_mov_b32_e32 v49, v51
	v_cmp_gt_u64_e64 s8, v[22:23], v[26:27]
	v_mov_b32_e32 v22, v30
	v_mov_b32_e32 v23, v31
	s_and_saveexec_b32 s12, s8
	s_cbranch_execz .LBB1241_42
; %bb.41:
	v_mov_b32_e32 v23, v17
	v_mov_b32_e32 v49, v1
	;; [unrolled: 1-line block ×8, first 2 shown]
.LBB1241_42:
	s_or_b32 exec_lo, exec_lo, s12
	v_add_f64 v[26:27], v[24:25], 0
	v_add_f64 v[30:31], v[8:9], 0
	v_mov_b32_e32 v65, v9
	v_mov_b32_e32 v64, v8
	v_ashrrev_i32_e32 v50, 31, v27
	v_ashrrev_i32_e32 v51, 31, v31
	v_or_b32_e32 v54, 0x80000000, v50
	v_or_b32_e32 v55, 0x80000000, v51
	v_xor_b32_e32 v26, v50, v26
	v_xor_b32_e32 v30, v51, v30
	;; [unrolled: 1-line block ×4, first 2 shown]
	v_cmp_gt_u64_e64 s8, v[26:27], v[30:31]
	v_mov_b32_e32 v31, v29
	v_mov_b32_e32 v30, v28
	s_and_saveexec_b32 s12, s8
	s_cbranch_execz .LBB1241_44
; %bb.43:
	v_mov_b32_e32 v65, v25
	v_mov_b32_e32 v30, v36
	;; [unrolled: 1-line block ×8, first 2 shown]
.LBB1241_44:
	s_or_b32 exec_lo, exec_lo, s12
	v_add_f64 v[8:9], v[52:53], 0
	v_add_f64 v[26:27], v[38:39], 0
	v_mov_b32_e32 v55, v53
	v_mov_b32_e32 v54, v52
	v_ashrrev_i32_e32 v28, 31, v9
	v_ashrrev_i32_e32 v29, 31, v27
	v_or_b32_e32 v50, 0x80000000, v28
	v_or_b32_e32 v51, 0x80000000, v29
	v_xor_b32_e32 v8, v28, v8
	v_xor_b32_e32 v26, v29, v26
	;; [unrolled: 1-line block ×4, first 2 shown]
	v_cmp_gt_u64_e64 s8, v[8:9], v[26:27]
	v_mov_b32_e32 v27, v15
	v_mov_b32_e32 v26, v14
	s_and_saveexec_b32 s12, s8
	s_cbranch_execz .LBB1241_46
; %bb.45:
	v_mov_b32_e32 v26, v32
	v_mov_b32_e32 v55, v39
	;; [unrolled: 1-line block ×8, first 2 shown]
.LBB1241_46:
	s_or_b32 exec_lo, exec_lo, s12
	v_add_f64 v[8:9], v[34:35], 0
	v_add_f64 v[14:15], v[18:19], 0
	v_ashrrev_i32_e32 v28, 31, v9
	v_ashrrev_i32_e32 v29, 31, v15
	v_or_b32_e32 v50, 0x80000000, v28
	v_or_b32_e32 v51, 0x80000000, v29
	v_xor_b32_e32 v8, v28, v8
	v_xor_b32_e32 v14, v29, v14
	v_xor_b32_e32 v9, v50, v9
	v_xor_b32_e32 v15, v51, v15
	v_mov_b32_e32 v51, v35
	v_mov_b32_e32 v50, v34
	v_cmp_gt_u64_e64 s8, v[8:9], v[14:15]
	v_mov_b32_e32 v9, v5
	v_mov_b32_e32 v8, v4
	s_and_saveexec_b32 s12, s8
	s_cbranch_execz .LBB1241_48
; %bb.47:
	v_mov_b32_e32 v8, v20
	v_mov_b32_e32 v51, v19
	;; [unrolled: 1-line block ×8, first 2 shown]
.LBB1241_48:
	s_or_b32 exec_lo, exec_lo, s12
	v_add_f64 v[4:5], v[22:23], 0
	v_add_f64 v[14:15], v[24:25], 0
	v_ashrrev_i32_e32 v28, 31, v5
	v_ashrrev_i32_e32 v29, 31, v15
	v_or_b32_e32 v34, 0x80000000, v28
	v_or_b32_e32 v35, 0x80000000, v29
	v_xor_b32_e32 v4, v28, v4
	v_xor_b32_e32 v14, v29, v14
	;; [unrolled: 1-line block ×4, first 2 shown]
	v_mov_b32_e32 v34, v36
	v_mov_b32_e32 v35, v37
	v_cmp_gt_u64_e64 s8, v[4:5], v[14:15]
	v_mov_b32_e32 v4, v24
	v_mov_b32_e32 v5, v25
	s_and_saveexec_b32 s12, s8
	s_cbranch_execz .LBB1241_50
; %bb.49:
	v_mov_b32_e32 v4, v22
	v_mov_b32_e32 v34, v48
	;; [unrolled: 1-line block ×8, first 2 shown]
.LBB1241_50:
	s_or_b32 exec_lo, exec_lo, s12
	v_add_f64 v[14:15], v[64:65], 0
	v_add_f64 v[24:25], v[54:55], 0
	v_mov_b32_e32 v52, v64
	v_mov_b32_e32 v53, v65
	s_mov_b32 s12, exec_lo
	v_ashrrev_i32_e32 v28, 31, v15
	v_ashrrev_i32_e32 v29, 31, v25
	v_or_b32_e32 v36, 0x80000000, v28
	v_or_b32_e32 v37, 0x80000000, v29
	v_xor_b32_e32 v14, v28, v14
	v_xor_b32_e32 v24, v29, v24
	v_mov_b32_e32 v28, v32
	v_xor_b32_e32 v15, v36, v15
	v_xor_b32_e32 v25, v37, v25
	v_mov_b32_e32 v29, v33
	v_cmpx_gt_u64_e64 v[14:15], v[24:25]
	s_cbranch_execz .LBB1241_52
; %bb.51:
	v_mov_b32_e32 v52, v54
	v_mov_b32_e32 v28, v30
	;; [unrolled: 1-line block ×8, first 2 shown]
.LBB1241_52:
	s_or_b32 exec_lo, exec_lo, s12
	v_add_f64 v[14:15], v[38:39], 0
	v_add_f64 v[24:25], v[50:51], 0
	v_ashrrev_i32_e32 v32, 31, v15
	v_ashrrev_i32_e32 v33, 31, v25
	v_or_b32_e32 v36, 0x80000000, v32
	v_or_b32_e32 v37, 0x80000000, v33
	v_xor_b32_e32 v14, v32, v14
	v_xor_b32_e32 v24, v33, v24
	v_mov_b32_e32 v32, v38
	v_xor_b32_e32 v15, v36, v15
	v_xor_b32_e32 v25, v37, v25
	v_mov_b32_e32 v33, v39
	v_cmp_gt_u64_e64 s8, v[14:15], v[24:25]
	v_mov_b32_e32 v14, v20
	v_mov_b32_e32 v15, v21
	s_and_saveexec_b32 s12, s8
	s_cbranch_execz .LBB1241_54
; %bb.53:
	v_mov_b32_e32 v14, v26
	v_mov_b32_e32 v32, v50
	;; [unrolled: 1-line block ×8, first 2 shown]
.LBB1241_54:
	s_or_b32 exec_lo, exec_lo, s12
	v_add_f64 v[20:21], v[16:17], 0
	v_add_f64 v[24:25], v[22:23], 0
	v_ashrrev_i32_e32 v36, 31, v21
	v_ashrrev_i32_e32 v37, 31, v25
	v_or_b32_e32 v38, 0x80000000, v36
	v_or_b32_e32 v39, 0x80000000, v37
	v_xor_b32_e32 v20, v36, v20
	v_xor_b32_e32 v24, v37, v24
	v_mov_b32_e32 v36, v48
	v_xor_b32_e32 v21, v38, v21
	v_xor_b32_e32 v25, v39, v25
	v_mov_b32_e32 v37, v49
	v_cmp_gt_u64_e64 s8, v[20:21], v[24:25]
	v_mov_b32_e32 v25, v23
	v_mov_b32_e32 v24, v22
	s_and_saveexec_b32 s12, s8
	s_cbranch_execz .LBB1241_56
; %bb.55:
	v_mov_b32_e32 v25, v17
	v_mov_b32_e32 v37, v1
	;; [unrolled: 1-line block ×8, first 2 shown]
.LBB1241_56:
	s_or_b32 exec_lo, exec_lo, s12
	v_add_f64 v[20:21], v[4:5], 0
	v_add_f64 v[22:23], v[52:53], 0
	v_ashrrev_i32_e32 v38, 31, v21
	v_ashrrev_i32_e32 v39, 31, v23
	v_or_b32_e32 v48, 0x80000000, v38
	v_or_b32_e32 v49, 0x80000000, v39
	v_xor_b32_e32 v20, v38, v20
	v_xor_b32_e32 v22, v39, v22
	;; [unrolled: 1-line block ×4, first 2 shown]
	v_mov_b32_e32 v49, v31
	v_mov_b32_e32 v48, v30
	v_cmp_gt_u64_e64 s8, v[20:21], v[22:23]
	v_mov_b32_e32 v22, v52
	v_mov_b32_e32 v23, v53
	s_and_saveexec_b32 s12, s8
	s_cbranch_execz .LBB1241_58
; %bb.57:
	v_mov_b32_e32 v23, v5
	v_mov_b32_e32 v49, v35
	;; [unrolled: 1-line block ×8, first 2 shown]
.LBB1241_58:
	s_or_b32 exec_lo, exec_lo, s12
	v_add_f64 v[20:21], v[54:55], 0
	v_add_f64 v[30:31], v[32:33], 0
	v_mov_b32_e32 v65, v55
	v_mov_b32_e32 v64, v54
	v_ashrrev_i32_e32 v38, 31, v21
	v_ashrrev_i32_e32 v39, 31, v31
	v_or_b32_e32 v52, 0x80000000, v38
	v_or_b32_e32 v53, 0x80000000, v39
	v_xor_b32_e32 v20, v38, v20
	v_xor_b32_e32 v30, v39, v30
	;; [unrolled: 1-line block ×4, first 2 shown]
	v_cmp_gt_u64_e64 s8, v[20:21], v[30:31]
	v_mov_b32_e32 v31, v27
	v_mov_b32_e32 v30, v26
	s_and_saveexec_b32 s12, s8
	s_cbranch_execz .LBB1241_60
; %bb.59:
	v_mov_b32_e32 v31, v29
	v_mov_b32_e32 v65, v33
	;; [unrolled: 1-line block ×8, first 2 shown]
.LBB1241_60:
	s_or_b32 exec_lo, exec_lo, s12
	v_add_f64 v[20:21], v[50:51], 0
	v_add_f64 v[26:27], v[18:19], 0
	v_ashrrev_i32_e32 v38, 31, v21
	v_ashrrev_i32_e32 v39, 31, v27
	v_or_b32_e32 v52, 0x80000000, v38
	v_or_b32_e32 v53, 0x80000000, v39
	v_xor_b32_e32 v20, v38, v20
	v_xor_b32_e32 v26, v39, v26
	;; [unrolled: 1-line block ×4, first 2 shown]
	v_mov_b32_e32 v53, v51
	v_mov_b32_e32 v52, v50
	v_cmp_gt_u64_e64 s8, v[20:21], v[26:27]
	v_mov_b32_e32 v21, v9
	v_mov_b32_e32 v20, v8
	s_and_saveexec_b32 s12, s8
	s_cbranch_execz .LBB1241_62
; %bb.61:
	v_mov_b32_e32 v21, v15
	v_mov_b32_e32 v53, v19
	v_mov_b32_e32 v20, v14
	v_mov_b32_e32 v15, v9
	v_mov_b32_e32 v52, v18
	v_mov_b32_e32 v18, v50
	v_mov_b32_e32 v14, v8
	v_mov_b32_e32 v19, v51
.LBB1241_62:
	s_or_b32 exec_lo, exec_lo, s12
	v_add_f64 v[8:9], v[24:25], 0
	v_add_f64 v[26:27], v[4:5], 0
	v_mov_b32_e32 v55, v35
	v_mov_b32_e32 v54, v34
	s_mov_b32 s12, exec_lo
	v_ashrrev_i32_e32 v38, 31, v9
	v_ashrrev_i32_e32 v39, 31, v27
	v_or_b32_e32 v50, 0x80000000, v38
	v_or_b32_e32 v51, 0x80000000, v39
	v_xor_b32_e32 v8, v38, v8
	v_xor_b32_e32 v26, v39, v26
	v_mov_b32_e32 v39, v5
	v_xor_b32_e32 v9, v50, v9
	v_xor_b32_e32 v27, v51, v27
	v_mov_b32_e32 v38, v4
	v_cmpx_gt_u64_e64 v[8:9], v[26:27]
	s_cbranch_execz .LBB1241_64
; %bb.63:
	v_mov_b32_e32 v39, v25
	v_mov_b32_e32 v55, v37
	;; [unrolled: 1-line block ×8, first 2 shown]
.LBB1241_64:
	s_or_b32 exec_lo, exec_lo, s12
	v_add_f64 v[4:5], v[22:23], 0
	v_add_f64 v[8:9], v[64:65], 0
	v_mov_b32_e32 v51, v29
	v_mov_b32_e32 v50, v28
	v_ashrrev_i32_e32 v26, 31, v5
	v_ashrrev_i32_e32 v27, 31, v9
	v_or_b32_e32 v34, 0x80000000, v26
	v_or_b32_e32 v35, 0x80000000, v27
	v_xor_b32_e32 v4, v26, v4
	v_xor_b32_e32 v8, v27, v8
	;; [unrolled: 1-line block ×4, first 2 shown]
	v_cmp_gt_u64_e64 s8, v[4:5], v[8:9]
	v_mov_b32_e32 v8, v22
	v_mov_b32_e32 v9, v23
	s_and_saveexec_b32 s12, s8
	s_cbranch_execz .LBB1241_66
; %bb.65:
	v_mov_b32_e32 v8, v64
	v_mov_b32_e32 v51, v49
	;; [unrolled: 1-line block ×8, first 2 shown]
.LBB1241_66:
	s_or_b32 exec_lo, exec_lo, s12
	v_add_f64 v[4:5], v[32:33], 0
	v_add_f64 v[22:23], v[52:53], 0
	v_ashrrev_i32_e32 v26, 31, v5
	v_ashrrev_i32_e32 v27, 31, v23
	v_or_b32_e32 v28, 0x80000000, v26
	v_or_b32_e32 v29, 0x80000000, v27
	v_xor_b32_e32 v4, v26, v4
	v_xor_b32_e32 v22, v27, v22
	v_mov_b32_e32 v26, v32
	v_xor_b32_e32 v5, v28, v5
	v_xor_b32_e32 v23, v29, v23
	v_mov_b32_e32 v27, v33
	v_cmp_gt_u64_e64 s8, v[4:5], v[22:23]
	v_mov_b32_e32 v23, v15
	v_mov_b32_e32 v22, v14
	s_and_saveexec_b32 s12, s8
	s_cbranch_execz .LBB1241_68
; %bb.67:
	v_mov_b32_e32 v22, v30
	v_mov_b32_e32 v26, v52
	;; [unrolled: 1-line block ×8, first 2 shown]
.LBB1241_68:
	s_or_b32 exec_lo, exec_lo, s12
	v_add_f64 v[4:5], v[16:17], 0
	v_add_f64 v[14:15], v[24:25], 0
	v_ashrrev_i32_e32 v28, 31, v5
	v_ashrrev_i32_e32 v29, 31, v15
	v_or_b32_e32 v32, 0x80000000, v28
	v_or_b32_e32 v33, 0x80000000, v29
	v_xor_b32_e32 v4, v28, v4
	v_xor_b32_e32 v14, v29, v14
	v_mov_b32_e32 v29, v25
	v_xor_b32_e32 v5, v32, v5
	v_xor_b32_e32 v15, v33, v15
	v_mov_b32_e32 v28, v24
	v_cmp_gt_u64_e64 s8, v[4:5], v[14:15]
	v_mov_b32_e32 v4, v36
	v_mov_b32_e32 v5, v37
	s_and_saveexec_b32 s12, s8
	s_cbranch_execz .LBB1241_70
; %bb.69:
	v_mov_b32_e32 v29, v17
	v_mov_b32_e32 v5, v1
	;; [unrolled: 1-line block ×8, first 2 shown]
.LBB1241_70:
	s_or_b32 exec_lo, exec_lo, s12
	v_add_f64 v[14:15], v[38:39], 0
	v_add_f64 v[24:25], v[8:9], 0
	v_ashrrev_i32_e32 v32, 31, v15
	v_ashrrev_i32_e32 v33, 31, v25
	v_or_b32_e32 v34, 0x80000000, v32
	v_or_b32_e32 v35, 0x80000000, v33
	v_xor_b32_e32 v14, v32, v14
	v_xor_b32_e32 v24, v33, v24
	;; [unrolled: 1-line block ×4, first 2 shown]
	v_cmp_gt_u64_e64 s8, v[14:15], v[24:25]
	v_mov_b32_e32 v25, v9
	v_mov_b32_e32 v14, v48
	;; [unrolled: 1-line block ×4, first 2 shown]
	s_and_saveexec_b32 s12, s8
	s_cbranch_execz .LBB1241_72
; %bb.71:
	v_mov_b32_e32 v24, v38
	v_mov_b32_e32 v14, v54
	v_mov_b32_e32 v25, v39
	v_mov_b32_e32 v39, v9
	v_mov_b32_e32 v15, v55
	v_mov_b32_e32 v55, v49
	v_mov_b32_e32 v38, v8
	v_mov_b32_e32 v54, v48
.LBB1241_72:
	s_or_b32 exec_lo, exec_lo, s12
	v_add_f64 v[8:9], v[64:65], 0
	v_add_f64 v[32:33], v[26:27], 0
	v_mov_b32_e32 v67, v31
	v_mov_b32_e32 v66, v30
	s_mov_b32 s12, exec_lo
	v_ashrrev_i32_e32 v34, 31, v9
	v_ashrrev_i32_e32 v35, 31, v33
	v_or_b32_e32 v36, 0x80000000, v34
	v_or_b32_e32 v37, 0x80000000, v35
	v_xor_b32_e32 v8, v34, v8
	v_xor_b32_e32 v32, v35, v32
	v_mov_b32_e32 v34, v64
	v_xor_b32_e32 v9, v36, v9
	v_xor_b32_e32 v33, v37, v33
	v_mov_b32_e32 v35, v65
	v_cmpx_gt_u64_e64 v[8:9], v[32:33]
	s_cbranch_execz .LBB1241_74
; %bb.73:
	v_mov_b32_e32 v67, v51
	v_mov_b32_e32 v35, v27
	;; [unrolled: 1-line block ×8, first 2 shown]
.LBB1241_74:
	s_or_b32 exec_lo, exec_lo, s12
	v_add_f64 v[8:9], v[52:53], 0
	v_add_f64 v[30:31], v[18:19], 0
	v_ashrrev_i32_e32 v32, 31, v9
	v_ashrrev_i32_e32 v33, 31, v31
	v_or_b32_e32 v36, 0x80000000, v32
	v_or_b32_e32 v37, 0x80000000, v33
	v_xor_b32_e32 v8, v32, v8
	v_xor_b32_e32 v30, v33, v30
	;; [unrolled: 1-line block ×4, first 2 shown]
	v_mov_b32_e32 v37, v21
	v_mov_b32_e32 v36, v20
	v_cmp_gt_u64_e64 s8, v[8:9], v[30:31]
	v_mov_b32_e32 v30, v52
	v_mov_b32_e32 v31, v53
	s_and_saveexec_b32 s12, s8
	s_cbranch_execz .LBB1241_76
; %bb.75:
	v_mov_b32_e32 v37, v23
	v_mov_b32_e32 v31, v19
	;; [unrolled: 1-line block ×8, first 2 shown]
.LBB1241_76:
	s_or_b32 exec_lo, exec_lo, s12
	v_add_f64 v[8:9], v[28:29], 0
	v_add_f64 v[20:21], v[38:39], 0
	v_ashrrev_i32_e32 v32, 31, v9
	v_ashrrev_i32_e32 v33, 31, v21
	v_or_b32_e32 v48, 0x80000000, v32
	v_or_b32_e32 v49, 0x80000000, v33
	v_xor_b32_e32 v8, v32, v8
	v_xor_b32_e32 v20, v33, v20
	v_mov_b32_e32 v32, v38
	v_xor_b32_e32 v9, v48, v9
	v_xor_b32_e32 v21, v49, v21
	v_mov_b32_e32 v33, v39
	v_cmp_gt_u64_e64 s8, v[8:9], v[20:21]
	v_mov_b32_e32 v8, v54
	v_mov_b32_e32 v9, v55
	s_and_saveexec_b32 s12, s8
	s_cbranch_execz .LBB1241_78
; %bb.77:
	v_mov_b32_e32 v33, v29
	v_mov_b32_e32 v9, v5
	;; [unrolled: 1-line block ×8, first 2 shown]
.LBB1241_78:
	s_or_b32 exec_lo, exec_lo, s12
	v_add_f64 v[20:21], v[24:25], 0
	v_add_f64 v[38:39], v[34:35], 0
	v_ashrrev_i32_e32 v48, 31, v21
	v_ashrrev_i32_e32 v49, 31, v39
	v_or_b32_e32 v52, 0x80000000, v48
	v_or_b32_e32 v53, 0x80000000, v49
	v_xor_b32_e32 v20, v48, v20
	v_xor_b32_e32 v38, v49, v38
	v_mov_b32_e32 v49, v25
	v_xor_b32_e32 v21, v52, v21
	v_xor_b32_e32 v39, v53, v39
	v_mov_b32_e32 v48, v24
	v_cmp_gt_u64_e64 s8, v[20:21], v[38:39]
	v_mov_b32_e32 v20, v50
	v_mov_b32_e32 v21, v51
	s_and_saveexec_b32 s12, s8
	s_cbranch_execz .LBB1241_80
; %bb.79:
	v_mov_b32_e32 v49, v35
	v_mov_b32_e32 v21, v15
	;; [unrolled: 1-line block ×8, first 2 shown]
.LBB1241_80:
	s_or_b32 exec_lo, exec_lo, s12
	v_add_f64 v[24:25], v[26:27], 0
	v_add_f64 v[38:39], v[30:31], 0
	v_ashrrev_i32_e32 v50, 31, v25
	v_ashrrev_i32_e32 v51, 31, v39
	v_or_b32_e32 v52, 0x80000000, v50
	v_or_b32_e32 v53, 0x80000000, v51
	v_xor_b32_e32 v24, v50, v24
	v_xor_b32_e32 v38, v51, v38
	;; [unrolled: 1-line block ×4, first 2 shown]
	v_cmp_gt_u64_e64 s8, v[24:25], v[38:39]
	v_mov_b32_e32 v39, v31
	v_mov_b32_e32 v24, v66
	;; [unrolled: 1-line block ×4, first 2 shown]
	s_and_saveexec_b32 s12, s8
	s_cbranch_execz .LBB1241_82
; %bb.81:
	v_mov_b32_e32 v39, v27
	v_mov_b32_e32 v25, v23
	;; [unrolled: 1-line block ×8, first 2 shown]
.LBB1241_82:
	s_or_b32 exec_lo, exec_lo, s12
.LBB1241_83:
	s_or_b32 exec_lo, exec_lo, s9
	v_and_b32_e32 v30, 0xffffff00, v11
	v_mov_b32_e32 v31, 0
	v_or_b32_e32 v11, 8, v80
	s_mov_b32 s9, exec_lo
	v_sub_nc_u32_e64 v83, 0x800, v30 clamp
	v_lshlrev_b64 v[30:31], 3, v[30:31]
	v_min_u32_e32 v116, v83, v11
	v_and_b32_e32 v11, 8, v80
	v_add_co_u32 v82, null, v10, v30
	v_lshlrev_b32_e32 v30, 3, v80
	v_add_nc_u32_e32 v10, 8, v116
	v_min_u32_e32 v11, v83, v11
	v_add_co_u32 v81, null, 0x4000, v82
	v_add_nc_u32_e32 v84, v82, v30
	v_min_u32_e32 v117, v83, v10
	v_and_b32_e32 v10, 0xf0, v80
	v_add_nc_u32_e32 v85, v81, v30
	ds_write2_b64 v84, v[16:17], v[28:29] offset1:1
	ds_write2_b64 v85, v[0:1], v[4:5] offset1:1
	v_sub_nc_u32_e32 v30, v117, v116
	v_sub_nc_u32_e32 v50, v116, v10
	ds_write2_b64 v84, v[32:33], v[48:49] offset0:2 offset1:3
	ds_write2_b64 v85, v[8:9], v[14:15] offset0:2 offset1:3
	;; [unrolled: 1-line block ×6, first 2 shown]
	; wave barrier
	v_sub_nc_u32_e64 v31, v11, v30 clamp
	v_min_u32_e32 v30, v11, v50
	v_cmpx_lt_u32_e64 v31, v30
	s_cbranch_execz .LBB1241_87
; %bb.84:
	v_lshlrev_b32_e32 v50, 3, v10
	v_lshlrev_b32_e32 v51, 3, v116
	s_mov_b32 s12, 0
	v_add_co_u32 v50, null, v82, v50
	v_add_co_u32 v51, null, v82, v51
	s_inst_prefetch 0x1
	.p2align	6
.LBB1241_85:                            ; =>This Inner Loop Header: Depth=1
	v_add_nc_u32_e32 v52, v30, v31
	v_lshrrev_b32_e32 v64, 1, v52
	v_xad_u32 v52, v64, -1, v11
	v_lshl_add_u32 v53, v64, 3, v50
	v_lshl_add_u32 v54, v52, 3, v51
	ds_read_b64 v[52:53], v53
	ds_read_b64 v[54:55], v54
	s_waitcnt lgkmcnt(1)
	v_add_f64 v[52:53], v[52:53], 0
	s_waitcnt lgkmcnt(0)
	v_add_f64 v[54:55], v[54:55], 0
	v_ashrrev_i32_e32 v65, 31, v53
	v_ashrrev_i32_e32 v66, 31, v55
	v_or_b32_e32 v67, 0x80000000, v65
	v_or_b32_e32 v68, 0x80000000, v66
	v_xor_b32_e32 v52, v65, v52
	v_xor_b32_e32 v54, v66, v54
	;; [unrolled: 1-line block ×4, first 2 shown]
	v_cmp_gt_u64_e64 s8, v[52:53], v[54:55]
	v_add_nc_u32_e32 v52, 1, v64
	v_cndmask_b32_e64 v30, v30, v64, s8
	v_cndmask_b32_e64 v31, v52, v31, s8
	v_cmp_ge_u32_e64 s8, v31, v30
	s_or_b32 s12, s8, s12
	s_andn2_b32 exec_lo, exec_lo, s12
	s_cbranch_execnz .LBB1241_85
; %bb.86:
	s_inst_prefetch 0x2
	s_or_b32 exec_lo, exec_lo, s12
.LBB1241_87:
	s_or_b32 exec_lo, exec_lo, s9
	v_add_nc_u32_e32 v11, v116, v11
	v_add_nc_u32_e32 v30, v31, v10
	;; [unrolled: 1-line block ×5, first 2 shown]
	v_sub_nc_u32_e32 v31, v11, v31
	v_cmp_le_u32_e64 s8, v30, v116
	v_add_nc_u32_e32 v112, 16, v85
	v_add_nc_u32_e32 v113, 24, v84
	;; [unrolled: 1-line block ×3, first 2 shown]
	v_cmp_le_u32_e64 s9, v31, v117
	v_add_nc_u32_e32 v101, 32, v84
	v_add_nc_u32_e32 v102, 32, v85
	;; [unrolled: 1-line block ×8, first 2 shown]
	s_or_b32 s8, s8, s9
	s_and_saveexec_b32 s12, s8
	s_cbranch_execz .LBB1241_123
; %bb.88:
	v_cmp_ge_u32_e64 s8, v30, v116
	s_mov_b32 s13, exec_lo
                                        ; implicit-def: $vgpr10_vgpr11
	v_cmpx_lt_u32_e64 v30, v116
; %bb.89:
	v_lshl_add_u32 v0, v30, 3, v82
	ds_read_b64 v[10:11], v0
; %bb.90:
	s_or_b32 exec_lo, exec_lo, s13
	v_cmp_ge_u32_e64 s13, v31, v117
	s_mov_b32 s15, exec_lo
                                        ; implicit-def: $vgpr16_vgpr17
	v_cmpx_lt_u32_e64 v31, v117
; %bb.91:
	v_lshl_add_u32 v0, v31, 3, v82
	ds_read_b64 v[16:17], v0
; %bb.92:
	s_or_b32 exec_lo, exec_lo, s15
	s_nor_b32 s8, s8, s13
	s_and_saveexec_b32 s9, s8
	s_cbranch_execz .LBB1241_94
; %bb.93:
	s_waitcnt lgkmcnt(0)
	v_add_f64 v[0:1], v[10:11], 0
	v_add_f64 v[4:5], v[16:17], 0
	s_andn2_b32 s13, s13, exec_lo
	v_ashrrev_i32_e32 v8, 31, v1
	v_ashrrev_i32_e32 v9, 31, v5
	v_or_b32_e32 v14, 0x80000000, v8
	v_or_b32_e32 v15, 0x80000000, v9
	v_xor_b32_e32 v0, v8, v0
	v_xor_b32_e32 v4, v9, v4
	v_xor_b32_e32 v1, v14, v1
	v_xor_b32_e32 v5, v15, v5
	v_cmp_le_u64_e64 s8, v[0:1], v[4:5]
	s_and_b32 s8, s8, exec_lo
	s_or_b32 s13, s13, s8
.LBB1241_94:
	s_or_b32 exec_lo, exec_lo, s9
	v_cndmask_b32_e64 v0, v31, v30, s13
	v_cndmask_b32_e64 v1, v117, v116, s13
	s_mov_b32 s15, -1
	s_mov_b32 s9, -1
	s_mov_b32 s16, exec_lo
	v_add_nc_u32_e32 v9, 1, v0
	v_add_nc_u32_e32 v1, -1, v1
	v_lshl_add_u32 v0, v0, 3, v81
	v_cndmask_b32_e64 v8, v9, v31, s13
	v_min_u32_e32 v1, v9, v1
	v_cndmask_b32_e64 v9, v30, v9, s13
	v_lshl_add_u32 v1, v1, 3, v82
	ds_read_b64 v[4:5], v1
	ds_read_b64 v[0:1], v0
	s_waitcnt lgkmcnt(1)
	v_cndmask_b32_e64 v19, v5, v17, s13
	v_cndmask_b32_e64 v18, v4, v16, s13
	;; [unrolled: 1-line block ×4, first 2 shown]
	v_cmpx_lt_u32_e64 v8, v117
	s_cbranch_execz .LBB1241_98
; %bb.95:
	s_mov_b32 s17, 0
	s_mov_b32 s9, exec_lo
	v_cmpx_lt_u32_e64 v9, v116
	s_cbranch_execz .LBB1241_97
; %bb.96:
	v_add_f64 v[4:5], v[28:29], 0
	v_add_f64 v[14:15], v[18:19], 0
	v_ashrrev_i32_e32 v20, 31, v5
	v_ashrrev_i32_e32 v21, 31, v15
	v_or_b32_e32 v22, 0x80000000, v20
	v_or_b32_e32 v23, 0x80000000, v21
	v_xor_b32_e32 v4, v20, v4
	v_xor_b32_e32 v14, v21, v14
	;; [unrolled: 1-line block ×4, first 2 shown]
	v_cmp_le_u64_e64 s8, v[4:5], v[14:15]
	s_and_b32 s17, s8, exec_lo
.LBB1241_97:
	s_or_b32 exec_lo, exec_lo, s9
	s_orn2_b32 s9, s17, exec_lo
.LBB1241_98:
	s_or_b32 exec_lo, exec_lo, s16
	v_cndmask_b32_e64 v4, v8, v9, s9
	v_cndmask_b32_e64 v5, v117, v116, s9
	s_mov_b32 s16, exec_lo
	v_add_nc_u32_e32 v15, 1, v4
	v_add_nc_u32_e32 v5, -1, v5
	v_lshl_add_u32 v4, v4, 3, v81
	v_cndmask_b32_e64 v14, v15, v8, s9
	v_min_u32_e32 v5, v15, v5
	v_cndmask_b32_e64 v15, v9, v15, s9
	v_lshl_add_u32 v5, v5, 3, v82
	ds_read_b64 v[20:21], v5
	ds_read_b64 v[4:5], v4
	s_waitcnt lgkmcnt(1)
	v_cndmask_b32_e64 v31, v21, v19, s9
	v_cndmask_b32_e64 v30, v20, v18, s9
	;; [unrolled: 1-line block ×4, first 2 shown]
	v_cmpx_lt_u32_e64 v14, v117
	s_cbranch_execz .LBB1241_102
; %bb.99:
	s_mov_b32 s17, 0
	s_mov_b32 s15, exec_lo
	v_cmpx_lt_u32_e64 v15, v116
	s_cbranch_execz .LBB1241_101
; %bb.100:
	v_add_f64 v[8:9], v[32:33], 0
	v_add_f64 v[20:21], v[30:31], 0
	v_ashrrev_i32_e32 v22, 31, v9
	v_ashrrev_i32_e32 v23, 31, v21
	v_or_b32_e32 v24, 0x80000000, v22
	v_or_b32_e32 v25, 0x80000000, v23
	v_xor_b32_e32 v8, v22, v8
	v_xor_b32_e32 v20, v23, v20
	;; [unrolled: 1-line block ×4, first 2 shown]
	v_cmp_le_u64_e64 s8, v[8:9], v[20:21]
	s_and_b32 s17, s8, exec_lo
.LBB1241_101:
	s_or_b32 exec_lo, exec_lo, s15
	s_orn2_b32 s15, s17, exec_lo
.LBB1241_102:
	s_or_b32 exec_lo, exec_lo, s16
	v_cndmask_b32_e64 v8, v14, v15, s15
	v_cndmask_b32_e64 v9, v117, v116, s15
	s_mov_b32 s17, -1
	s_mov_b32 s16, -1
	s_mov_b32 s18, exec_lo
	v_add_nc_u32_e32 v21, 1, v8
	v_add_nc_u32_e32 v9, -1, v9
	v_lshl_add_u32 v8, v8, 3, v81
	v_cndmask_b32_e64 v20, v21, v14, s15
	v_min_u32_e32 v9, v21, v9
	v_cndmask_b32_e64 v21, v15, v21, s15
	v_lshl_add_u32 v9, v9, 3, v82
	ds_read_b64 v[22:23], v9
	ds_read_b64 v[8:9], v8
	s_waitcnt lgkmcnt(1)
	v_cndmask_b32_e64 v49, v23, v31, s15
	v_cndmask_b32_e64 v48, v22, v30, s15
	;; [unrolled: 1-line block ×4, first 2 shown]
	v_cmpx_lt_u32_e64 v20, v117
	s_cbranch_execz .LBB1241_106
; %bb.103:
	s_mov_b32 s19, 0
	s_mov_b32 s16, exec_lo
	v_cmpx_lt_u32_e64 v21, v116
	s_cbranch_execz .LBB1241_105
; %bb.104:
	v_add_f64 v[14:15], v[50:51], 0
	v_add_f64 v[22:23], v[48:49], 0
	v_ashrrev_i32_e32 v24, 31, v15
	v_ashrrev_i32_e32 v25, 31, v23
	v_or_b32_e32 v26, 0x80000000, v24
	v_or_b32_e32 v27, 0x80000000, v25
	v_xor_b32_e32 v14, v24, v14
	v_xor_b32_e32 v22, v25, v22
	v_xor_b32_e32 v15, v26, v15
	v_xor_b32_e32 v23, v27, v23
	v_cmp_le_u64_e64 s8, v[14:15], v[22:23]
	s_and_b32 s19, s8, exec_lo
.LBB1241_105:
	s_or_b32 exec_lo, exec_lo, s16
	s_orn2_b32 s16, s19, exec_lo
.LBB1241_106:
	s_or_b32 exec_lo, exec_lo, s18
	v_cndmask_b32_e64 v14, v20, v21, s16
	v_cndmask_b32_e64 v15, v117, v116, s16
	s_mov_b32 s18, exec_lo
	v_add_nc_u32_e32 v23, 1, v14
	v_add_nc_u32_e32 v15, -1, v15
	v_lshl_add_u32 v14, v14, 3, v81
	v_cndmask_b32_e64 v22, v23, v20, s16
	v_min_u32_e32 v15, v23, v15
	v_cndmask_b32_e64 v23, v21, v23, s16
	v_lshl_add_u32 v15, v15, 3, v82
	ds_read_b64 v[24:25], v15
	ds_read_b64 v[14:15], v14
	s_waitcnt lgkmcnt(1)
	v_cndmask_b32_e64 v35, v25, v49, s16
	v_cndmask_b32_e64 v34, v24, v48, s16
	;; [unrolled: 1-line block ×4, first 2 shown]
	v_cmpx_lt_u32_e64 v22, v117
	s_cbranch_execz .LBB1241_110
; %bb.107:
	s_mov_b32 s19, 0
	s_mov_b32 s17, exec_lo
	v_cmpx_lt_u32_e64 v23, v116
	s_cbranch_execz .LBB1241_109
; %bb.108:
	v_add_f64 v[20:21], v[52:53], 0
	v_add_f64 v[24:25], v[34:35], 0
	v_ashrrev_i32_e32 v26, 31, v21
	v_ashrrev_i32_e32 v27, 31, v25
	v_or_b32_e32 v36, 0x80000000, v26
	v_or_b32_e32 v37, 0x80000000, v27
	v_xor_b32_e32 v20, v26, v20
	v_xor_b32_e32 v24, v27, v24
	;; [unrolled: 1-line block ×4, first 2 shown]
	v_cmp_le_u64_e64 s8, v[20:21], v[24:25]
	s_and_b32 s19, s8, exec_lo
.LBB1241_109:
	s_or_b32 exec_lo, exec_lo, s17
	s_orn2_b32 s17, s19, exec_lo
.LBB1241_110:
	s_or_b32 exec_lo, exec_lo, s18
	v_cndmask_b32_e64 v20, v22, v23, s17
	v_cndmask_b32_e64 v21, v117, v116, s17
	s_mov_b32 s19, -1
	s_mov_b32 s18, -1
	s_mov_b32 s20, exec_lo
	v_add_nc_u32_e32 v26, 1, v20
	v_add_nc_u32_e32 v21, -1, v21
	v_lshl_add_u32 v20, v20, 3, v81
	v_cndmask_b32_e64 v22, v26, v22, s17
	v_min_u32_e32 v21, v26, v21
	v_cndmask_b32_e64 v23, v23, v26, s17
	v_lshl_add_u32 v21, v21, 3, v82
	ds_read_b64 v[24:25], v21
	ds_read_b64 v[20:21], v20
	s_waitcnt lgkmcnt(1)
	v_cndmask_b32_e64 v27, v25, v35, s17
	v_cndmask_b32_e64 v26, v24, v34, s17
	;; [unrolled: 1-line block ×4, first 2 shown]
	v_cmpx_lt_u32_e64 v22, v117
	s_cbranch_execz .LBB1241_114
; %bb.111:
	s_mov_b32 s21, 0
	s_mov_b32 s18, exec_lo
	v_cmpx_lt_u32_e64 v23, v116
	s_cbranch_execz .LBB1241_113
; %bb.112:
	v_add_f64 v[24:25], v[54:55], 0
	v_add_f64 v[36:37], v[26:27], 0
	v_ashrrev_i32_e32 v38, 31, v25
	v_ashrrev_i32_e32 v39, 31, v37
	v_or_b32_e32 v64, 0x80000000, v38
	v_or_b32_e32 v65, 0x80000000, v39
	v_xor_b32_e32 v24, v38, v24
	v_xor_b32_e32 v36, v39, v36
	;; [unrolled: 1-line block ×4, first 2 shown]
	v_cmp_le_u64_e64 s8, v[24:25], v[36:37]
	s_and_b32 s21, s8, exec_lo
.LBB1241_113:
	s_or_b32 exec_lo, exec_lo, s18
	s_orn2_b32 s18, s21, exec_lo
.LBB1241_114:
	s_or_b32 exec_lo, exec_lo, s20
	v_cndmask_b32_e64 v24, v22, v23, s18
	v_cndmask_b32_e64 v25, v117, v116, s18
	s_mov_b32 s20, exec_lo
	v_add_nc_u32_e32 v37, 1, v24
	v_add_nc_u32_e32 v25, -1, v25
	v_lshl_add_u32 v24, v24, 3, v81
	v_cndmask_b32_e64 v36, v37, v22, s18
	v_min_u32_e32 v25, v37, v25
	v_cndmask_b32_e64 v37, v23, v37, s18
	v_lshl_add_u32 v25, v25, 3, v82
	ds_read_b64 v[64:65], v25
	ds_read_b64 v[24:25], v24
	s_waitcnt lgkmcnt(1)
	v_cndmask_b32_e64 v39, v65, v27, s18
	v_cndmask_b32_e64 v38, v64, v26, s18
	;; [unrolled: 1-line block ×4, first 2 shown]
	v_cmpx_lt_u32_e64 v36, v117
	s_cbranch_execz .LBB1241_118
; %bb.115:
	s_mov_b32 s21, 0
	s_mov_b32 s19, exec_lo
	v_cmpx_lt_u32_e64 v37, v116
	s_cbranch_execz .LBB1241_117
; %bb.116:
	v_add_f64 v[22:23], v[64:65], 0
	v_add_f64 v[66:67], v[38:39], 0
	v_ashrrev_i32_e32 v68, 31, v23
	v_or_b32_e32 v69, 0x80000000, v68
	v_xor_b32_e32 v22, v68, v22
	v_ashrrev_i32_e32 v68, 31, v67
	v_xor_b32_e32 v23, v69, v23
	v_or_b32_e32 v69, 0x80000000, v68
	v_xor_b32_e32 v66, v68, v66
	v_xor_b32_e32 v67, v69, v67
	v_cmp_le_u64_e64 s8, v[22:23], v[66:67]
	s_and_b32 s21, s8, exec_lo
.LBB1241_117:
	s_or_b32 exec_lo, exec_lo, s19
	s_orn2_b32 s19, s21, exec_lo
.LBB1241_118:
	s_or_b32 exec_lo, exec_lo, s20
	v_cndmask_b32_e64 v22, v36, v37, s19
	v_cndmask_b32_e64 v23, v117, v116, s19
	s_mov_b32 s20, -1
	s_mov_b32 s21, exec_lo
	v_add_nc_u32_e32 v66, 1, v22
	v_add_nc_u32_e32 v23, -1, v23
	v_lshl_add_u32 v22, v22, 3, v81
	v_cndmask_b32_e64 v36, v66, v36, s19
	v_min_u32_e32 v23, v66, v23
	v_cndmask_b32_e64 v37, v37, v66, s19
	v_lshl_add_u32 v23, v23, 3, v82
	ds_read_b64 v[68:69], v23
	ds_read_b64 v[22:23], v22
	s_waitcnt lgkmcnt(1)
	v_cndmask_b32_e64 v67, v69, v39, s19
	v_cndmask_b32_e64 v66, v68, v38, s19
	;; [unrolled: 1-line block ×4, first 2 shown]
	v_cmpx_lt_u32_e64 v36, v117
	s_cbranch_execz .LBB1241_122
; %bb.119:
	s_mov_b32 s22, 0
	s_mov_b32 s20, exec_lo
	v_cmpx_lt_u32_e64 v37, v116
	s_cbranch_execz .LBB1241_121
; %bb.120:
	v_add_f64 v[116:117], v[68:69], 0
	v_add_f64 v[118:119], v[66:67], 0
	v_ashrrev_i32_e32 v128, 31, v117
	v_ashrrev_i32_e32 v129, 31, v119
	v_or_b32_e32 v130, 0x80000000, v128
	v_or_b32_e32 v131, 0x80000000, v129
	v_xor_b32_e32 v116, v128, v116
	v_xor_b32_e32 v118, v129, v118
	;; [unrolled: 1-line block ×4, first 2 shown]
	v_cmp_le_u64_e64 s8, v[116:117], v[118:119]
	s_and_b32 s22, s8, exec_lo
.LBB1241_121:
	s_or_b32 exec_lo, exec_lo, s20
	s_orn2_b32 s20, s22, exec_lo
.LBB1241_122:
	s_or_b32 exec_lo, exec_lo, s21
	v_cndmask_b32_e64 v36, v36, v37, s20
	v_cndmask_b32_e64 v39, v39, v65, s19
	;; [unrolled: 1-line block ×5, first 2 shown]
	v_lshl_add_u32 v36, v36, 3, v81
	v_cndmask_b32_e64 v35, v35, v53, s17
	v_cndmask_b32_e64 v34, v34, v52, s17
	v_cndmask_b32_e64 v49, v49, v51, s16
	v_cndmask_b32_e64 v48, v48, v50, s16
	ds_read_b64 v[36:37], v36
	v_cndmask_b32_e64 v33, v31, v33, s15
	v_cndmask_b32_e64 v32, v30, v32, s15
	;; [unrolled: 1-line block ×8, first 2 shown]
.LBB1241_123:
	s_or_b32 exec_lo, exec_lo, s12
	v_and_b32_e32 v10, 0xe0, v80
	v_and_b32_e32 v30, 24, v80
	s_mov_b32 s9, exec_lo
	; wave barrier
	v_or_b32_e32 v11, 16, v10
	ds_write_b64 v84, v[16:17]
	ds_write_b64 v85, v[0:1]
	ds_write_b64 v114, v[28:29]
	ds_write_b64 v115, v[4:5]
	ds_write_b64 v103, v[32:33]
	ds_write_b64 v112, v[8:9]
	ds_write_b64 v113, v[48:49]
	ds_write_b64 v100, v[14:15]
	ds_write_b64 v101, v[34:35]
	ds_write_b64 v102, v[20:21]
	v_min_u32_e32 v116, v83, v11
	ds_write_b64 v96, v[26:27]
	ds_write_b64 v97, v[24:25]
	ds_write_b64 v98, v[38:39]
	s_waitcnt lgkmcnt(14)
	ds_write_b64 v99, v[22:23]
	ds_write_b64 v86, v[18:19]
	s_waitcnt lgkmcnt(15)
	ds_write_b64 v87, v[36:37]
	; wave barrier
	v_add_nc_u32_e32 v11, 16, v116
	v_sub_nc_u32_e32 v50, v116, v10
	v_min_u32_e32 v117, v83, v11
	v_min_u32_e32 v11, v83, v30
	v_sub_nc_u32_e32 v30, v117, v116
	v_sub_nc_u32_e64 v31, v11, v30 clamp
	v_min_u32_e32 v30, v11, v50
	v_cmpx_lt_u32_e64 v31, v30
	s_cbranch_execz .LBB1241_127
; %bb.124:
	v_lshlrev_b32_e32 v50, 3, v10
	v_lshlrev_b32_e32 v51, 3, v116
	s_mov_b32 s12, 0
	v_add_co_u32 v50, null, v82, v50
	v_add_co_u32 v51, null, v82, v51
	s_inst_prefetch 0x1
	.p2align	6
.LBB1241_125:                           ; =>This Inner Loop Header: Depth=1
	v_add_nc_u32_e32 v52, v30, v31
	v_lshrrev_b32_e32 v64, 1, v52
	v_xad_u32 v52, v64, -1, v11
	v_lshl_add_u32 v53, v64, 3, v50
	v_lshl_add_u32 v54, v52, 3, v51
	ds_read_b64 v[52:53], v53
	ds_read_b64 v[54:55], v54
	s_waitcnt lgkmcnt(1)
	v_add_f64 v[52:53], v[52:53], 0
	s_waitcnt lgkmcnt(0)
	v_add_f64 v[54:55], v[54:55], 0
	v_ashrrev_i32_e32 v65, 31, v53
	v_ashrrev_i32_e32 v66, 31, v55
	v_or_b32_e32 v67, 0x80000000, v65
	v_or_b32_e32 v68, 0x80000000, v66
	v_xor_b32_e32 v52, v65, v52
	v_xor_b32_e32 v54, v66, v54
	;; [unrolled: 1-line block ×4, first 2 shown]
	v_cmp_gt_u64_e64 s8, v[52:53], v[54:55]
	v_add_nc_u32_e32 v52, 1, v64
	v_cndmask_b32_e64 v30, v30, v64, s8
	v_cndmask_b32_e64 v31, v52, v31, s8
	v_cmp_ge_u32_e64 s8, v31, v30
	s_or_b32 s12, s8, s12
	s_andn2_b32 exec_lo, exec_lo, s12
	s_cbranch_execnz .LBB1241_125
; %bb.126:
	s_inst_prefetch 0x2
	s_or_b32 exec_lo, exec_lo, s12
.LBB1241_127:
	s_or_b32 exec_lo, exec_lo, s9
	v_add_nc_u32_e32 v11, v116, v11
	v_add_nc_u32_e32 v30, v31, v10
	v_sub_nc_u32_e32 v31, v11, v31
	v_cmp_le_u32_e64 s8, v30, v116
	v_cmp_le_u32_e64 s9, v31, v117
	s_or_b32 s8, s8, s9
	s_and_saveexec_b32 s12, s8
	s_cbranch_execz .LBB1241_163
; %bb.128:
	v_cmp_ge_u32_e64 s8, v30, v116
	s_mov_b32 s13, exec_lo
                                        ; implicit-def: $vgpr10_vgpr11
	v_cmpx_lt_u32_e64 v30, v116
; %bb.129:
	v_lshl_add_u32 v0, v30, 3, v82
	ds_read_b64 v[10:11], v0
; %bb.130:
	s_or_b32 exec_lo, exec_lo, s13
	v_cmp_ge_u32_e64 s13, v31, v117
	s_mov_b32 s15, exec_lo
                                        ; implicit-def: $vgpr16_vgpr17
	v_cmpx_lt_u32_e64 v31, v117
; %bb.131:
	v_lshl_add_u32 v0, v31, 3, v82
	ds_read_b64 v[16:17], v0
; %bb.132:
	s_or_b32 exec_lo, exec_lo, s15
	s_nor_b32 s8, s8, s13
	s_and_saveexec_b32 s9, s8
	s_cbranch_execz .LBB1241_134
; %bb.133:
	s_waitcnt lgkmcnt(0)
	v_add_f64 v[0:1], v[10:11], 0
	v_add_f64 v[4:5], v[16:17], 0
	s_andn2_b32 s13, s13, exec_lo
	v_ashrrev_i32_e32 v8, 31, v1
	v_ashrrev_i32_e32 v9, 31, v5
	v_or_b32_e32 v14, 0x80000000, v8
	v_or_b32_e32 v15, 0x80000000, v9
	v_xor_b32_e32 v0, v8, v0
	v_xor_b32_e32 v4, v9, v4
	;; [unrolled: 1-line block ×4, first 2 shown]
	v_cmp_le_u64_e64 s8, v[0:1], v[4:5]
	s_and_b32 s8, s8, exec_lo
	s_or_b32 s13, s13, s8
.LBB1241_134:
	s_or_b32 exec_lo, exec_lo, s9
	v_cndmask_b32_e64 v0, v31, v30, s13
	v_cndmask_b32_e64 v1, v117, v116, s13
	s_mov_b32 s15, -1
	s_mov_b32 s9, -1
	s_mov_b32 s16, exec_lo
	v_add_nc_u32_e32 v9, 1, v0
	v_add_nc_u32_e32 v1, -1, v1
	v_lshl_add_u32 v0, v0, 3, v81
	v_cndmask_b32_e64 v8, v9, v31, s13
	v_min_u32_e32 v1, v9, v1
	v_cndmask_b32_e64 v9, v30, v9, s13
	v_lshl_add_u32 v1, v1, 3, v82
	ds_read_b64 v[4:5], v1
	ds_read_b64 v[0:1], v0
	s_waitcnt lgkmcnt(1)
	v_cndmask_b32_e64 v19, v5, v17, s13
	v_cndmask_b32_e64 v18, v4, v16, s13
	;; [unrolled: 1-line block ×4, first 2 shown]
	v_cmpx_lt_u32_e64 v8, v117
	s_cbranch_execz .LBB1241_138
; %bb.135:
	s_mov_b32 s17, 0
	s_mov_b32 s9, exec_lo
	v_cmpx_lt_u32_e64 v9, v116
	s_cbranch_execz .LBB1241_137
; %bb.136:
	v_add_f64 v[4:5], v[28:29], 0
	v_add_f64 v[14:15], v[18:19], 0
	v_ashrrev_i32_e32 v20, 31, v5
	v_ashrrev_i32_e32 v21, 31, v15
	v_or_b32_e32 v22, 0x80000000, v20
	v_or_b32_e32 v23, 0x80000000, v21
	v_xor_b32_e32 v4, v20, v4
	v_xor_b32_e32 v14, v21, v14
	;; [unrolled: 1-line block ×4, first 2 shown]
	v_cmp_le_u64_e64 s8, v[4:5], v[14:15]
	s_and_b32 s17, s8, exec_lo
.LBB1241_137:
	s_or_b32 exec_lo, exec_lo, s9
	s_orn2_b32 s9, s17, exec_lo
.LBB1241_138:
	s_or_b32 exec_lo, exec_lo, s16
	v_cndmask_b32_e64 v4, v8, v9, s9
	v_cndmask_b32_e64 v5, v117, v116, s9
	s_mov_b32 s16, exec_lo
	v_add_nc_u32_e32 v15, 1, v4
	v_add_nc_u32_e32 v5, -1, v5
	v_lshl_add_u32 v4, v4, 3, v81
	v_cndmask_b32_e64 v14, v15, v8, s9
	v_min_u32_e32 v5, v15, v5
	v_cndmask_b32_e64 v15, v9, v15, s9
	v_lshl_add_u32 v5, v5, 3, v82
	ds_read_b64 v[20:21], v5
	ds_read_b64 v[4:5], v4
	s_waitcnt lgkmcnt(1)
	v_cndmask_b32_e64 v31, v21, v19, s9
	v_cndmask_b32_e64 v30, v20, v18, s9
	;; [unrolled: 1-line block ×4, first 2 shown]
	v_cmpx_lt_u32_e64 v14, v117
	s_cbranch_execz .LBB1241_142
; %bb.139:
	s_mov_b32 s17, 0
	s_mov_b32 s15, exec_lo
	v_cmpx_lt_u32_e64 v15, v116
	s_cbranch_execz .LBB1241_141
; %bb.140:
	v_add_f64 v[8:9], v[32:33], 0
	v_add_f64 v[20:21], v[30:31], 0
	v_ashrrev_i32_e32 v22, 31, v9
	v_ashrrev_i32_e32 v23, 31, v21
	v_or_b32_e32 v24, 0x80000000, v22
	v_or_b32_e32 v25, 0x80000000, v23
	v_xor_b32_e32 v8, v22, v8
	v_xor_b32_e32 v20, v23, v20
	;; [unrolled: 1-line block ×4, first 2 shown]
	v_cmp_le_u64_e64 s8, v[8:9], v[20:21]
	s_and_b32 s17, s8, exec_lo
.LBB1241_141:
	s_or_b32 exec_lo, exec_lo, s15
	s_orn2_b32 s15, s17, exec_lo
.LBB1241_142:
	s_or_b32 exec_lo, exec_lo, s16
	v_cndmask_b32_e64 v8, v14, v15, s15
	v_cndmask_b32_e64 v9, v117, v116, s15
	s_mov_b32 s17, -1
	s_mov_b32 s16, -1
	s_mov_b32 s18, exec_lo
	v_add_nc_u32_e32 v21, 1, v8
	v_add_nc_u32_e32 v9, -1, v9
	v_lshl_add_u32 v8, v8, 3, v81
	v_cndmask_b32_e64 v20, v21, v14, s15
	v_min_u32_e32 v9, v21, v9
	v_cndmask_b32_e64 v21, v15, v21, s15
	v_lshl_add_u32 v9, v9, 3, v82
	ds_read_b64 v[22:23], v9
	ds_read_b64 v[8:9], v8
	s_waitcnt lgkmcnt(1)
	v_cndmask_b32_e64 v49, v23, v31, s15
	v_cndmask_b32_e64 v48, v22, v30, s15
	;; [unrolled: 1-line block ×4, first 2 shown]
	v_cmpx_lt_u32_e64 v20, v117
	s_cbranch_execz .LBB1241_146
; %bb.143:
	s_mov_b32 s19, 0
	s_mov_b32 s16, exec_lo
	v_cmpx_lt_u32_e64 v21, v116
	s_cbranch_execz .LBB1241_145
; %bb.144:
	v_add_f64 v[14:15], v[50:51], 0
	v_add_f64 v[22:23], v[48:49], 0
	v_ashrrev_i32_e32 v24, 31, v15
	v_ashrrev_i32_e32 v25, 31, v23
	v_or_b32_e32 v26, 0x80000000, v24
	v_or_b32_e32 v27, 0x80000000, v25
	v_xor_b32_e32 v14, v24, v14
	v_xor_b32_e32 v22, v25, v22
	;; [unrolled: 1-line block ×4, first 2 shown]
	v_cmp_le_u64_e64 s8, v[14:15], v[22:23]
	s_and_b32 s19, s8, exec_lo
.LBB1241_145:
	s_or_b32 exec_lo, exec_lo, s16
	s_orn2_b32 s16, s19, exec_lo
.LBB1241_146:
	s_or_b32 exec_lo, exec_lo, s18
	v_cndmask_b32_e64 v14, v20, v21, s16
	v_cndmask_b32_e64 v15, v117, v116, s16
	s_mov_b32 s18, exec_lo
	v_add_nc_u32_e32 v23, 1, v14
	v_add_nc_u32_e32 v15, -1, v15
	v_lshl_add_u32 v14, v14, 3, v81
	v_cndmask_b32_e64 v22, v23, v20, s16
	v_min_u32_e32 v15, v23, v15
	v_cndmask_b32_e64 v23, v21, v23, s16
	v_lshl_add_u32 v15, v15, 3, v82
	ds_read_b64 v[24:25], v15
	ds_read_b64 v[14:15], v14
	s_waitcnt lgkmcnt(1)
	v_cndmask_b32_e64 v35, v25, v49, s16
	v_cndmask_b32_e64 v34, v24, v48, s16
	;; [unrolled: 1-line block ×4, first 2 shown]
	v_cmpx_lt_u32_e64 v22, v117
	s_cbranch_execz .LBB1241_150
; %bb.147:
	s_mov_b32 s19, 0
	s_mov_b32 s17, exec_lo
	v_cmpx_lt_u32_e64 v23, v116
	s_cbranch_execz .LBB1241_149
; %bb.148:
	v_add_f64 v[20:21], v[52:53], 0
	v_add_f64 v[24:25], v[34:35], 0
	v_ashrrev_i32_e32 v26, 31, v21
	v_ashrrev_i32_e32 v27, 31, v25
	v_or_b32_e32 v36, 0x80000000, v26
	v_or_b32_e32 v37, 0x80000000, v27
	v_xor_b32_e32 v20, v26, v20
	v_xor_b32_e32 v24, v27, v24
	;; [unrolled: 1-line block ×4, first 2 shown]
	v_cmp_le_u64_e64 s8, v[20:21], v[24:25]
	s_and_b32 s19, s8, exec_lo
.LBB1241_149:
	s_or_b32 exec_lo, exec_lo, s17
	s_orn2_b32 s17, s19, exec_lo
.LBB1241_150:
	s_or_b32 exec_lo, exec_lo, s18
	v_cndmask_b32_e64 v20, v22, v23, s17
	v_cndmask_b32_e64 v21, v117, v116, s17
	s_mov_b32 s19, -1
	s_mov_b32 s18, -1
	s_mov_b32 s20, exec_lo
	v_add_nc_u32_e32 v26, 1, v20
	v_add_nc_u32_e32 v21, -1, v21
	v_lshl_add_u32 v20, v20, 3, v81
	v_cndmask_b32_e64 v22, v26, v22, s17
	v_min_u32_e32 v21, v26, v21
	v_cndmask_b32_e64 v23, v23, v26, s17
	v_lshl_add_u32 v21, v21, 3, v82
	ds_read_b64 v[24:25], v21
	ds_read_b64 v[20:21], v20
	s_waitcnt lgkmcnt(1)
	v_cndmask_b32_e64 v27, v25, v35, s17
	v_cndmask_b32_e64 v26, v24, v34, s17
	v_cndmask_b32_e64 v55, v53, v25, s17
	v_cndmask_b32_e64 v54, v52, v24, s17
	v_cmpx_lt_u32_e64 v22, v117
	s_cbranch_execz .LBB1241_154
; %bb.151:
	s_mov_b32 s21, 0
	s_mov_b32 s18, exec_lo
	v_cmpx_lt_u32_e64 v23, v116
	s_cbranch_execz .LBB1241_153
; %bb.152:
	v_add_f64 v[24:25], v[54:55], 0
	v_add_f64 v[36:37], v[26:27], 0
	v_ashrrev_i32_e32 v38, 31, v25
	v_ashrrev_i32_e32 v39, 31, v37
	v_or_b32_e32 v64, 0x80000000, v38
	v_or_b32_e32 v65, 0x80000000, v39
	v_xor_b32_e32 v24, v38, v24
	v_xor_b32_e32 v36, v39, v36
	;; [unrolled: 1-line block ×4, first 2 shown]
	v_cmp_le_u64_e64 s8, v[24:25], v[36:37]
	s_and_b32 s21, s8, exec_lo
.LBB1241_153:
	s_or_b32 exec_lo, exec_lo, s18
	s_orn2_b32 s18, s21, exec_lo
.LBB1241_154:
	s_or_b32 exec_lo, exec_lo, s20
	v_cndmask_b32_e64 v24, v22, v23, s18
	v_cndmask_b32_e64 v25, v117, v116, s18
	s_mov_b32 s20, exec_lo
	v_add_nc_u32_e32 v37, 1, v24
	v_add_nc_u32_e32 v25, -1, v25
	v_lshl_add_u32 v24, v24, 3, v81
	v_cndmask_b32_e64 v36, v37, v22, s18
	v_min_u32_e32 v25, v37, v25
	v_cndmask_b32_e64 v37, v23, v37, s18
	v_lshl_add_u32 v25, v25, 3, v82
	ds_read_b64 v[64:65], v25
	ds_read_b64 v[24:25], v24
	s_waitcnt lgkmcnt(1)
	v_cndmask_b32_e64 v39, v65, v27, s18
	v_cndmask_b32_e64 v38, v64, v26, s18
	;; [unrolled: 1-line block ×4, first 2 shown]
	v_cmpx_lt_u32_e64 v36, v117
	s_cbranch_execz .LBB1241_158
; %bb.155:
	s_mov_b32 s21, 0
	s_mov_b32 s19, exec_lo
	v_cmpx_lt_u32_e64 v37, v116
	s_cbranch_execz .LBB1241_157
; %bb.156:
	v_add_f64 v[22:23], v[64:65], 0
	v_add_f64 v[66:67], v[38:39], 0
	v_ashrrev_i32_e32 v68, 31, v23
	v_ashrrev_i32_e32 v69, 31, v67
	v_or_b32_e32 v118, 0x80000000, v68
	v_or_b32_e32 v119, 0x80000000, v69
	v_xor_b32_e32 v22, v68, v22
	v_xor_b32_e32 v66, v69, v66
	;; [unrolled: 1-line block ×4, first 2 shown]
	v_cmp_le_u64_e64 s8, v[22:23], v[66:67]
	s_and_b32 s21, s8, exec_lo
.LBB1241_157:
	s_or_b32 exec_lo, exec_lo, s19
	s_orn2_b32 s19, s21, exec_lo
.LBB1241_158:
	s_or_b32 exec_lo, exec_lo, s20
	v_cndmask_b32_e64 v22, v36, v37, s19
	v_cndmask_b32_e64 v23, v117, v116, s19
	s_mov_b32 s20, -1
	s_mov_b32 s21, exec_lo
	v_add_nc_u32_e32 v66, 1, v22
	v_add_nc_u32_e32 v23, -1, v23
	v_lshl_add_u32 v22, v22, 3, v81
	v_cndmask_b32_e64 v36, v66, v36, s19
	v_min_u32_e32 v23, v66, v23
	v_cndmask_b32_e64 v37, v37, v66, s19
	v_lshl_add_u32 v23, v23, 3, v82
	ds_read_b64 v[68:69], v23
	ds_read_b64 v[22:23], v22
	s_waitcnt lgkmcnt(1)
	v_cndmask_b32_e64 v67, v69, v39, s19
	v_cndmask_b32_e64 v66, v68, v38, s19
	;; [unrolled: 1-line block ×4, first 2 shown]
	v_cmpx_lt_u32_e64 v36, v117
	s_cbranch_execz .LBB1241_162
; %bb.159:
	s_mov_b32 s22, 0
	s_mov_b32 s20, exec_lo
	v_cmpx_lt_u32_e64 v37, v116
	s_cbranch_execz .LBB1241_161
; %bb.160:
	v_add_f64 v[116:117], v[68:69], 0
	v_add_f64 v[118:119], v[66:67], 0
	v_ashrrev_i32_e32 v128, 31, v117
	v_ashrrev_i32_e32 v129, 31, v119
	v_or_b32_e32 v130, 0x80000000, v128
	v_or_b32_e32 v131, 0x80000000, v129
	v_xor_b32_e32 v116, v128, v116
	v_xor_b32_e32 v118, v129, v118
	;; [unrolled: 1-line block ×4, first 2 shown]
	v_cmp_le_u64_e64 s8, v[116:117], v[118:119]
	s_and_b32 s22, s8, exec_lo
.LBB1241_161:
	s_or_b32 exec_lo, exec_lo, s20
	s_orn2_b32 s20, s22, exec_lo
.LBB1241_162:
	s_or_b32 exec_lo, exec_lo, s21
	v_cndmask_b32_e64 v36, v36, v37, s20
	v_cndmask_b32_e64 v39, v39, v65, s19
	;; [unrolled: 1-line block ×5, first 2 shown]
	v_lshl_add_u32 v36, v36, 3, v81
	v_cndmask_b32_e64 v35, v35, v53, s17
	v_cndmask_b32_e64 v34, v34, v52, s17
	;; [unrolled: 1-line block ×4, first 2 shown]
	ds_read_b64 v[36:37], v36
	v_cndmask_b32_e64 v33, v31, v33, s15
	v_cndmask_b32_e64 v32, v30, v32, s15
	;; [unrolled: 1-line block ×8, first 2 shown]
.LBB1241_163:
	s_or_b32 exec_lo, exec_lo, s12
	v_and_b32_e32 v10, 0xc0, v80
	; wave barrier
	ds_write_b64 v84, v[16:17]
	ds_write_b64 v85, v[0:1]
	;; [unrolled: 1-line block ×4, first 2 shown]
	s_mov_b32 s9, exec_lo
	v_or_b32_e32 v11, 32, v10
	ds_write_b64 v103, v[32:33]
	ds_write_b64 v112, v[8:9]
	ds_write_b64 v113, v[48:49]
	ds_write_b64 v100, v[14:15]
	ds_write_b64 v101, v[34:35]
	ds_write_b64 v102, v[20:21]
	ds_write_b64 v96, v[26:27]
	ds_write_b64 v97, v[24:25]
	ds_write_b64 v98, v[38:39]
	s_waitcnt lgkmcnt(14)
	ds_write_b64 v99, v[22:23]
	ds_write_b64 v86, v[18:19]
	s_waitcnt lgkmcnt(15)
	ds_write_b64 v87, v[36:37]
	v_min_u32_e32 v80, v83, v11
	; wave barrier
	v_add_nc_u32_e32 v11, 32, v80
	v_sub_nc_u32_e32 v50, v80, v10
	v_min_u32_e32 v84, v83, v11
	v_min_u32_e32 v11, v83, v71
	v_sub_nc_u32_e32 v30, v84, v80
	v_sub_nc_u32_e64 v31, v11, v30 clamp
	v_min_u32_e32 v30, v11, v50
	v_cmpx_lt_u32_e64 v31, v30
	s_cbranch_execz .LBB1241_167
; %bb.164:
	v_lshlrev_b32_e32 v50, 3, v10
	v_lshlrev_b32_e32 v51, 3, v80
	s_mov_b32 s12, 0
	v_add_co_u32 v50, null, v82, v50
	v_add_co_u32 v51, null, v82, v51
	s_inst_prefetch 0x1
	.p2align	6
.LBB1241_165:                           ; =>This Inner Loop Header: Depth=1
	v_add_nc_u32_e32 v52, v30, v31
	v_lshrrev_b32_e32 v64, 1, v52
	v_xad_u32 v52, v64, -1, v11
	v_lshl_add_u32 v53, v64, 3, v50
	v_lshl_add_u32 v54, v52, 3, v51
	ds_read_b64 v[52:53], v53
	ds_read_b64 v[54:55], v54
	s_waitcnt lgkmcnt(1)
	v_add_f64 v[52:53], v[52:53], 0
	s_waitcnt lgkmcnt(0)
	v_add_f64 v[54:55], v[54:55], 0
	v_ashrrev_i32_e32 v65, 31, v53
	v_ashrrev_i32_e32 v66, 31, v55
	v_or_b32_e32 v67, 0x80000000, v65
	v_or_b32_e32 v68, 0x80000000, v66
	v_xor_b32_e32 v52, v65, v52
	v_xor_b32_e32 v54, v66, v54
	;; [unrolled: 1-line block ×4, first 2 shown]
	v_cmp_gt_u64_e64 s8, v[52:53], v[54:55]
	v_add_nc_u32_e32 v52, 1, v64
	v_cndmask_b32_e64 v30, v30, v64, s8
	v_cndmask_b32_e64 v31, v52, v31, s8
	v_cmp_ge_u32_e64 s8, v31, v30
	s_or_b32 s12, s8, s12
	s_andn2_b32 exec_lo, exec_lo, s12
	s_cbranch_execnz .LBB1241_165
; %bb.166:
	s_inst_prefetch 0x2
	s_or_b32 exec_lo, exec_lo, s12
.LBB1241_167:
	s_or_b32 exec_lo, exec_lo, s9
	v_add_nc_u32_e32 v11, v80, v11
	v_add_nc_u32_e32 v30, v31, v10
	v_sub_nc_u32_e32 v31, v11, v31
	v_cmp_le_u32_e64 s8, v30, v80
	v_cmp_le_u32_e64 s9, v31, v84
	s_or_b32 s8, s8, s9
	s_and_saveexec_b32 s12, s8
	s_cbranch_execz .LBB1241_203
; %bb.168:
	v_cmp_ge_u32_e64 s8, v30, v80
	s_mov_b32 s13, exec_lo
                                        ; implicit-def: $vgpr10_vgpr11
	v_cmpx_lt_u32_e64 v30, v80
; %bb.169:
	v_lshl_add_u32 v0, v30, 3, v82
	ds_read_b64 v[10:11], v0
; %bb.170:
	s_or_b32 exec_lo, exec_lo, s13
	v_cmp_ge_u32_e64 s13, v31, v84
	s_mov_b32 s15, exec_lo
                                        ; implicit-def: $vgpr16_vgpr17
	v_cmpx_lt_u32_e64 v31, v84
; %bb.171:
	v_lshl_add_u32 v0, v31, 3, v82
	ds_read_b64 v[16:17], v0
; %bb.172:
	s_or_b32 exec_lo, exec_lo, s15
	s_nor_b32 s8, s8, s13
	s_and_saveexec_b32 s9, s8
	s_cbranch_execz .LBB1241_174
; %bb.173:
	s_waitcnt lgkmcnt(0)
	v_add_f64 v[0:1], v[10:11], 0
	v_add_f64 v[4:5], v[16:17], 0
	s_andn2_b32 s13, s13, exec_lo
	v_ashrrev_i32_e32 v8, 31, v1
	v_ashrrev_i32_e32 v9, 31, v5
	v_or_b32_e32 v14, 0x80000000, v8
	v_or_b32_e32 v15, 0x80000000, v9
	v_xor_b32_e32 v0, v8, v0
	v_xor_b32_e32 v4, v9, v4
	;; [unrolled: 1-line block ×4, first 2 shown]
	v_cmp_le_u64_e64 s8, v[0:1], v[4:5]
	s_and_b32 s8, s8, exec_lo
	s_or_b32 s13, s13, s8
.LBB1241_174:
	s_or_b32 exec_lo, exec_lo, s9
	v_cndmask_b32_e64 v0, v31, v30, s13
	v_cndmask_b32_e64 v1, v84, v80, s13
	s_mov_b32 s15, -1
	s_mov_b32 s9, -1
	s_mov_b32 s16, exec_lo
	v_add_nc_u32_e32 v9, 1, v0
	v_add_nc_u32_e32 v1, -1, v1
	v_lshl_add_u32 v0, v0, 3, v81
	v_cndmask_b32_e64 v8, v9, v31, s13
	v_min_u32_e32 v1, v9, v1
	v_cndmask_b32_e64 v9, v30, v9, s13
	v_lshl_add_u32 v1, v1, 3, v82
	ds_read_b64 v[4:5], v1
	ds_read_b64 v[0:1], v0
	s_waitcnt lgkmcnt(1)
	v_cndmask_b32_e64 v19, v5, v17, s13
	v_cndmask_b32_e64 v18, v4, v16, s13
	;; [unrolled: 1-line block ×4, first 2 shown]
	v_cmpx_lt_u32_e64 v8, v84
	s_cbranch_execz .LBB1241_178
; %bb.175:
	s_mov_b32 s17, 0
	s_mov_b32 s9, exec_lo
	v_cmpx_lt_u32_e64 v9, v80
	s_cbranch_execz .LBB1241_177
; %bb.176:
	v_add_f64 v[4:5], v[28:29], 0
	v_add_f64 v[14:15], v[18:19], 0
	v_ashrrev_i32_e32 v20, 31, v5
	v_ashrrev_i32_e32 v21, 31, v15
	v_or_b32_e32 v22, 0x80000000, v20
	v_or_b32_e32 v23, 0x80000000, v21
	v_xor_b32_e32 v4, v20, v4
	v_xor_b32_e32 v14, v21, v14
	;; [unrolled: 1-line block ×4, first 2 shown]
	v_cmp_le_u64_e64 s8, v[4:5], v[14:15]
	s_and_b32 s17, s8, exec_lo
.LBB1241_177:
	s_or_b32 exec_lo, exec_lo, s9
	s_orn2_b32 s9, s17, exec_lo
.LBB1241_178:
	s_or_b32 exec_lo, exec_lo, s16
	v_cndmask_b32_e64 v4, v8, v9, s9
	v_cndmask_b32_e64 v5, v84, v80, s9
	s_mov_b32 s16, exec_lo
	v_add_nc_u32_e32 v15, 1, v4
	v_add_nc_u32_e32 v5, -1, v5
	v_lshl_add_u32 v4, v4, 3, v81
	v_cndmask_b32_e64 v14, v15, v8, s9
	v_min_u32_e32 v5, v15, v5
	v_cndmask_b32_e64 v15, v9, v15, s9
	v_lshl_add_u32 v5, v5, 3, v82
	ds_read_b64 v[20:21], v5
	ds_read_b64 v[4:5], v4
	s_waitcnt lgkmcnt(1)
	v_cndmask_b32_e64 v31, v21, v19, s9
	v_cndmask_b32_e64 v30, v20, v18, s9
	;; [unrolled: 1-line block ×4, first 2 shown]
	v_cmpx_lt_u32_e64 v14, v84
	s_cbranch_execz .LBB1241_182
; %bb.179:
	s_mov_b32 s17, 0
	s_mov_b32 s15, exec_lo
	v_cmpx_lt_u32_e64 v15, v80
	s_cbranch_execz .LBB1241_181
; %bb.180:
	v_add_f64 v[8:9], v[32:33], 0
	v_add_f64 v[20:21], v[30:31], 0
	v_ashrrev_i32_e32 v22, 31, v9
	v_ashrrev_i32_e32 v23, 31, v21
	v_or_b32_e32 v24, 0x80000000, v22
	v_or_b32_e32 v25, 0x80000000, v23
	v_xor_b32_e32 v8, v22, v8
	v_xor_b32_e32 v20, v23, v20
	;; [unrolled: 1-line block ×4, first 2 shown]
	v_cmp_le_u64_e64 s8, v[8:9], v[20:21]
	s_and_b32 s17, s8, exec_lo
.LBB1241_181:
	s_or_b32 exec_lo, exec_lo, s15
	s_orn2_b32 s15, s17, exec_lo
.LBB1241_182:
	s_or_b32 exec_lo, exec_lo, s16
	v_cndmask_b32_e64 v8, v14, v15, s15
	v_cndmask_b32_e64 v9, v84, v80, s15
	s_mov_b32 s17, -1
	s_mov_b32 s16, -1
	s_mov_b32 s18, exec_lo
	v_add_nc_u32_e32 v21, 1, v8
	v_add_nc_u32_e32 v9, -1, v9
	v_lshl_add_u32 v8, v8, 3, v81
	v_cndmask_b32_e64 v20, v21, v14, s15
	v_min_u32_e32 v9, v21, v9
	v_cndmask_b32_e64 v21, v15, v21, s15
	v_lshl_add_u32 v9, v9, 3, v82
	ds_read_b64 v[22:23], v9
	ds_read_b64 v[8:9], v8
	s_waitcnt lgkmcnt(1)
	v_cndmask_b32_e64 v49, v23, v31, s15
	v_cndmask_b32_e64 v48, v22, v30, s15
	;; [unrolled: 1-line block ×4, first 2 shown]
	v_cmpx_lt_u32_e64 v20, v84
	s_cbranch_execz .LBB1241_186
; %bb.183:
	s_mov_b32 s19, 0
	s_mov_b32 s16, exec_lo
	v_cmpx_lt_u32_e64 v21, v80
	s_cbranch_execz .LBB1241_185
; %bb.184:
	v_add_f64 v[14:15], v[50:51], 0
	v_add_f64 v[22:23], v[48:49], 0
	v_ashrrev_i32_e32 v24, 31, v15
	v_ashrrev_i32_e32 v25, 31, v23
	v_or_b32_e32 v26, 0x80000000, v24
	v_or_b32_e32 v27, 0x80000000, v25
	v_xor_b32_e32 v14, v24, v14
	v_xor_b32_e32 v22, v25, v22
	;; [unrolled: 1-line block ×4, first 2 shown]
	v_cmp_le_u64_e64 s8, v[14:15], v[22:23]
	s_and_b32 s19, s8, exec_lo
.LBB1241_185:
	s_or_b32 exec_lo, exec_lo, s16
	s_orn2_b32 s16, s19, exec_lo
.LBB1241_186:
	s_or_b32 exec_lo, exec_lo, s18
	v_cndmask_b32_e64 v14, v20, v21, s16
	v_cndmask_b32_e64 v15, v84, v80, s16
	s_mov_b32 s18, exec_lo
	v_add_nc_u32_e32 v23, 1, v14
	v_add_nc_u32_e32 v15, -1, v15
	v_lshl_add_u32 v14, v14, 3, v81
	v_cndmask_b32_e64 v22, v23, v20, s16
	v_min_u32_e32 v15, v23, v15
	v_cndmask_b32_e64 v23, v21, v23, s16
	v_lshl_add_u32 v15, v15, 3, v82
	ds_read_b64 v[24:25], v15
	ds_read_b64 v[14:15], v14
	s_waitcnt lgkmcnt(1)
	v_cndmask_b32_e64 v35, v25, v49, s16
	v_cndmask_b32_e64 v34, v24, v48, s16
	;; [unrolled: 1-line block ×4, first 2 shown]
	v_cmpx_lt_u32_e64 v22, v84
	s_cbranch_execz .LBB1241_190
; %bb.187:
	s_mov_b32 s19, 0
	s_mov_b32 s17, exec_lo
	v_cmpx_lt_u32_e64 v23, v80
	s_cbranch_execz .LBB1241_189
; %bb.188:
	v_add_f64 v[20:21], v[52:53], 0
	v_add_f64 v[24:25], v[34:35], 0
	v_ashrrev_i32_e32 v26, 31, v21
	v_ashrrev_i32_e32 v27, 31, v25
	v_or_b32_e32 v36, 0x80000000, v26
	v_or_b32_e32 v37, 0x80000000, v27
	v_xor_b32_e32 v20, v26, v20
	v_xor_b32_e32 v24, v27, v24
	;; [unrolled: 1-line block ×4, first 2 shown]
	v_cmp_le_u64_e64 s8, v[20:21], v[24:25]
	s_and_b32 s19, s8, exec_lo
.LBB1241_189:
	s_or_b32 exec_lo, exec_lo, s17
	s_orn2_b32 s17, s19, exec_lo
.LBB1241_190:
	s_or_b32 exec_lo, exec_lo, s18
	v_cndmask_b32_e64 v20, v22, v23, s17
	v_cndmask_b32_e64 v21, v84, v80, s17
	s_mov_b32 s19, -1
	s_mov_b32 s18, -1
	s_mov_b32 s20, exec_lo
	v_add_nc_u32_e32 v26, 1, v20
	v_add_nc_u32_e32 v21, -1, v21
	v_lshl_add_u32 v20, v20, 3, v81
	v_cndmask_b32_e64 v22, v26, v22, s17
	v_min_u32_e32 v21, v26, v21
	v_cndmask_b32_e64 v23, v23, v26, s17
	v_lshl_add_u32 v21, v21, 3, v82
	ds_read_b64 v[24:25], v21
	ds_read_b64 v[20:21], v20
	s_waitcnt lgkmcnt(1)
	v_cndmask_b32_e64 v27, v25, v35, s17
	v_cndmask_b32_e64 v26, v24, v34, s17
	;; [unrolled: 1-line block ×4, first 2 shown]
	v_cmpx_lt_u32_e64 v22, v84
	s_cbranch_execz .LBB1241_194
; %bb.191:
	s_mov_b32 s21, 0
	s_mov_b32 s18, exec_lo
	v_cmpx_lt_u32_e64 v23, v80
	s_cbranch_execz .LBB1241_193
; %bb.192:
	v_add_f64 v[24:25], v[54:55], 0
	v_add_f64 v[36:37], v[26:27], 0
	v_ashrrev_i32_e32 v38, 31, v25
	v_ashrrev_i32_e32 v39, 31, v37
	v_or_b32_e32 v64, 0x80000000, v38
	v_or_b32_e32 v65, 0x80000000, v39
	v_xor_b32_e32 v24, v38, v24
	v_xor_b32_e32 v36, v39, v36
	;; [unrolled: 1-line block ×4, first 2 shown]
	v_cmp_le_u64_e64 s8, v[24:25], v[36:37]
	s_and_b32 s21, s8, exec_lo
.LBB1241_193:
	s_or_b32 exec_lo, exec_lo, s18
	s_orn2_b32 s18, s21, exec_lo
.LBB1241_194:
	s_or_b32 exec_lo, exec_lo, s20
	v_cndmask_b32_e64 v24, v22, v23, s18
	v_cndmask_b32_e64 v25, v84, v80, s18
	s_mov_b32 s20, exec_lo
	v_add_nc_u32_e32 v37, 1, v24
	v_add_nc_u32_e32 v25, -1, v25
	v_lshl_add_u32 v24, v24, 3, v81
	v_cndmask_b32_e64 v36, v37, v22, s18
	v_min_u32_e32 v25, v37, v25
	v_cndmask_b32_e64 v37, v23, v37, s18
	v_lshl_add_u32 v25, v25, 3, v82
	ds_read_b64 v[64:65], v25
	ds_read_b64 v[24:25], v24
	s_waitcnt lgkmcnt(1)
	v_cndmask_b32_e64 v39, v65, v27, s18
	v_cndmask_b32_e64 v38, v64, v26, s18
	;; [unrolled: 1-line block ×4, first 2 shown]
	v_cmpx_lt_u32_e64 v36, v84
	s_cbranch_execz .LBB1241_198
; %bb.195:
	s_mov_b32 s21, 0
	s_mov_b32 s19, exec_lo
	v_cmpx_lt_u32_e64 v37, v80
	s_cbranch_execz .LBB1241_197
; %bb.196:
	v_add_f64 v[22:23], v[64:65], 0
	v_add_f64 v[66:67], v[38:39], 0
	v_ashrrev_i32_e32 v68, 31, v23
	v_ashrrev_i32_e32 v69, 31, v67
	v_or_b32_e32 v71, 0x80000000, v68
	v_or_b32_e32 v83, 0x80000000, v69
	v_xor_b32_e32 v22, v68, v22
	v_xor_b32_e32 v66, v69, v66
	;; [unrolled: 1-line block ×4, first 2 shown]
	v_cmp_le_u64_e64 s8, v[22:23], v[66:67]
	s_and_b32 s21, s8, exec_lo
.LBB1241_197:
	s_or_b32 exec_lo, exec_lo, s19
	s_orn2_b32 s19, s21, exec_lo
.LBB1241_198:
	s_or_b32 exec_lo, exec_lo, s20
	v_cndmask_b32_e64 v22, v36, v37, s19
	v_cndmask_b32_e64 v23, v84, v80, s19
	s_mov_b32 s20, -1
	s_mov_b32 s21, exec_lo
	v_add_nc_u32_e32 v66, 1, v22
	v_add_nc_u32_e32 v23, -1, v23
	v_lshl_add_u32 v22, v22, 3, v81
	v_cndmask_b32_e64 v36, v66, v36, s19
	v_min_u32_e32 v23, v66, v23
	v_cndmask_b32_e64 v37, v37, v66, s19
	v_lshl_add_u32 v23, v23, 3, v82
	ds_read_b64 v[68:69], v23
	ds_read_b64 v[22:23], v22
	s_waitcnt lgkmcnt(1)
	v_cndmask_b32_e64 v67, v69, v39, s19
	v_cndmask_b32_e64 v66, v68, v38, s19
	;; [unrolled: 1-line block ×4, first 2 shown]
	v_cmpx_lt_u32_e64 v36, v84
	s_cbranch_execz .LBB1241_202
; %bb.199:
	s_mov_b32 s22, 0
	s_mov_b32 s20, exec_lo
	v_cmpx_lt_u32_e64 v37, v80
	s_cbranch_execz .LBB1241_201
; %bb.200:
	v_add_f64 v[82:83], v[68:69], 0
	v_add_f64 v[84:85], v[66:67], 0
	v_ashrrev_i32_e32 v71, 31, v83
	v_ashrrev_i32_e32 v80, 31, v85
	v_or_b32_e32 v86, 0x80000000, v71
	v_or_b32_e32 v87, 0x80000000, v80
	v_xor_b32_e32 v82, v71, v82
	v_xor_b32_e32 v84, v80, v84
	;; [unrolled: 1-line block ×4, first 2 shown]
	v_cmp_le_u64_e64 s8, v[82:83], v[84:85]
	s_and_b32 s22, s8, exec_lo
.LBB1241_201:
	s_or_b32 exec_lo, exec_lo, s20
	s_orn2_b32 s20, s22, exec_lo
.LBB1241_202:
	s_or_b32 exec_lo, exec_lo, s21
	v_cndmask_b32_e64 v36, v36, v37, s20
	v_cndmask_b32_e64 v39, v39, v65, s19
	;; [unrolled: 1-line block ×5, first 2 shown]
	v_lshl_add_u32 v36, v36, 3, v81
	v_cndmask_b32_e64 v35, v35, v53, s17
	v_cndmask_b32_e64 v34, v34, v52, s17
	;; [unrolled: 1-line block ×4, first 2 shown]
	ds_read_b64 v[36:37], v36
	v_cndmask_b32_e64 v33, v31, v33, s15
	v_cndmask_b32_e64 v32, v30, v32, s15
	v_cndmask_b32_e64 v29, v19, v29, s9
	v_cndmask_b32_e64 v28, v18, v28, s9
	v_cndmask_b32_e64 v17, v17, v11, s13
	v_cndmask_b32_e64 v16, v16, v10, s13
	v_cndmask_b32_e64 v19, v67, v69, s20
	v_cndmask_b32_e64 v18, v66, v68, s20
.LBB1241_203:
	s_or_b32 exec_lo, exec_lo, s12
	v_add_co_u32 v2, s8, v2, v12
	v_add_co_ci_u32_e64 v3, null, v3, v13, s8
	v_add_co_u32 v2, s8, v2, v70
	v_add_co_ci_u32_e64 v3, null, 0, v3, s8
	; wave barrier
	s_waitcnt lgkmcnt(0)
	s_waitcnt_vscnt null, 0x0
	s_barrier
	buffer_gl0_inv
	; wave barrier
	s_and_saveexec_b32 s8, vcc_lo
	s_cbranch_execnz .LBB1241_228
; %bb.204:
	s_or_b32 exec_lo, exec_lo, s8
	s_and_saveexec_b32 s8, s4
	s_cbranch_execnz .LBB1241_229
.LBB1241_205:
	s_or_b32 exec_lo, exec_lo, s8
	s_and_saveexec_b32 s8, s5
	s_cbranch_execnz .LBB1241_230
.LBB1241_206:
	s_or_b32 exec_lo, exec_lo, s8
	s_and_saveexec_b32 s8, s6
	s_cbranch_execnz .LBB1241_231
.LBB1241_207:
	s_or_b32 exec_lo, exec_lo, s8
	s_and_saveexec_b32 s8, s7
	s_cbranch_execnz .LBB1241_232
.LBB1241_208:
	s_or_b32 exec_lo, exec_lo, s8
	s_and_saveexec_b32 s8, s10
	s_cbranch_execnz .LBB1241_233
.LBB1241_209:
	s_or_b32 exec_lo, exec_lo, s8
	s_and_saveexec_b32 s8, s11
	s_cbranch_execnz .LBB1241_234
.LBB1241_210:
	s_or_b32 exec_lo, exec_lo, s8
	s_and_saveexec_b32 s8, s14
	s_cbranch_execz .LBB1241_212
.LBB1241_211:
	flat_store_dwordx2 v[2:3], v[18:19] offset:56
.LBB1241_212:
	s_or_b32 exec_lo, exec_lo, s8
	v_add_co_u32 v2, s8, v6, v12
	v_add_co_ci_u32_e64 v3, null, v7, v13, s8
	v_add_co_u32 v2, s8, v2, v70
	v_add_co_ci_u32_e64 v3, null, 0, v3, s8
	; wave barrier
	s_and_saveexec_b32 s8, vcc_lo
	s_cbranch_execnz .LBB1241_235
; %bb.213:
	s_or_b32 exec_lo, exec_lo, s8
	s_and_saveexec_b32 s8, s4
	s_cbranch_execnz .LBB1241_236
.LBB1241_214:
	s_or_b32 exec_lo, exec_lo, s8
	s_and_saveexec_b32 s4, s5
	s_cbranch_execnz .LBB1241_237
.LBB1241_215:
	s_or_b32 exec_lo, exec_lo, s4
	s_and_saveexec_b32 s4, s6
	s_cbranch_execnz .LBB1241_238
.LBB1241_216:
	s_or_b32 exec_lo, exec_lo, s4
	s_and_saveexec_b32 s4, s7
	s_cbranch_execnz .LBB1241_239
.LBB1241_217:
	s_or_b32 exec_lo, exec_lo, s4
	s_and_saveexec_b32 s4, s10
	s_cbranch_execnz .LBB1241_240
.LBB1241_218:
	s_or_b32 exec_lo, exec_lo, s4
	s_and_saveexec_b32 s4, s11
	s_cbranch_execnz .LBB1241_241
.LBB1241_219:
	s_or_b32 exec_lo, exec_lo, s4
	s_and_saveexec_b32 s4, s14
	s_cbranch_execnz .LBB1241_242
.LBB1241_220:
	s_or_b32 exec_lo, exec_lo, s4
	s_waitcnt lgkmcnt(0)
	s_setpc_b64 s[30:31]
.LBB1241_221:
	flat_load_dwordx2 v[0:1], v[50:51]
	s_or_b32 exec_lo, exec_lo, s15
                                        ; implicit-def: $vgpr4_vgpr5
	s_and_saveexec_b32 s15, s4
	s_cbranch_execz .LBB1241_18
.LBB1241_222:
	flat_load_dwordx2 v[4:5], v[50:51] offset:8
	s_or_b32 exec_lo, exec_lo, s15
                                        ; implicit-def: $vgpr8_vgpr9
	s_and_saveexec_b32 s15, s5
	s_cbranch_execz .LBB1241_19
.LBB1241_223:
	flat_load_dwordx2 v[8:9], v[50:51] offset:16
	s_or_b32 exec_lo, exec_lo, s15
                                        ; implicit-def: $vgpr14_vgpr15
	s_and_saveexec_b32 s15, s6
	s_cbranch_execz .LBB1241_20
.LBB1241_224:
	flat_load_dwordx2 v[14:15], v[50:51] offset:24
	s_or_b32 exec_lo, exec_lo, s15
                                        ; implicit-def: $vgpr20_vgpr21
	s_and_saveexec_b32 s15, s7
	s_cbranch_execz .LBB1241_21
.LBB1241_225:
	flat_load_dwordx2 v[20:21], v[50:51] offset:32
	s_or_b32 exec_lo, exec_lo, s15
                                        ; implicit-def: $vgpr24_vgpr25
	s_and_saveexec_b32 s15, s10
	s_cbranch_execz .LBB1241_22
.LBB1241_226:
	flat_load_dwordx2 v[24:25], v[50:51] offset:40
	s_or_b32 exec_lo, exec_lo, s15
                                        ; implicit-def: $vgpr22_vgpr23
	s_and_saveexec_b32 s15, s11
	s_cbranch_execz .LBB1241_23
.LBB1241_227:
	flat_load_dwordx2 v[22:23], v[50:51] offset:48
	s_or_b32 exec_lo, exec_lo, s15
                                        ; implicit-def: $vgpr36_vgpr37
	s_and_saveexec_b32 s15, s14
	s_cbranch_execnz .LBB1241_24
	s_branch .LBB1241_25
.LBB1241_228:
	flat_store_dwordx2 v[2:3], v[16:17]
	s_or_b32 exec_lo, exec_lo, s8
	s_and_saveexec_b32 s8, s4
	s_cbranch_execz .LBB1241_205
.LBB1241_229:
	flat_store_dwordx2 v[2:3], v[28:29] offset:8
	s_or_b32 exec_lo, exec_lo, s8
	s_and_saveexec_b32 s8, s5
	s_cbranch_execz .LBB1241_206
.LBB1241_230:
	flat_store_dwordx2 v[2:3], v[32:33] offset:16
	s_or_b32 exec_lo, exec_lo, s8
	s_and_saveexec_b32 s8, s6
	s_cbranch_execz .LBB1241_207
.LBB1241_231:
	flat_store_dwordx2 v[2:3], v[48:49] offset:24
	s_or_b32 exec_lo, exec_lo, s8
	s_and_saveexec_b32 s8, s7
	s_cbranch_execz .LBB1241_208
.LBB1241_232:
	flat_store_dwordx2 v[2:3], v[34:35] offset:32
	s_or_b32 exec_lo, exec_lo, s8
	s_and_saveexec_b32 s8, s10
	s_cbranch_execz .LBB1241_209
.LBB1241_233:
	flat_store_dwordx2 v[2:3], v[26:27] offset:40
	s_or_b32 exec_lo, exec_lo, s8
	s_and_saveexec_b32 s8, s11
	s_cbranch_execz .LBB1241_210
.LBB1241_234:
	flat_store_dwordx2 v[2:3], v[38:39] offset:48
	s_or_b32 exec_lo, exec_lo, s8
	s_and_saveexec_b32 s8, s14
	s_cbranch_execnz .LBB1241_211
	s_branch .LBB1241_212
.LBB1241_235:
	flat_store_dwordx2 v[2:3], v[0:1]
	s_or_b32 exec_lo, exec_lo, s8
	s_and_saveexec_b32 s8, s4
	s_cbranch_execz .LBB1241_214
.LBB1241_236:
	flat_store_dwordx2 v[2:3], v[4:5] offset:8
	s_or_b32 exec_lo, exec_lo, s8
	s_and_saveexec_b32 s4, s5
	s_cbranch_execz .LBB1241_215
.LBB1241_237:
	flat_store_dwordx2 v[2:3], v[8:9] offset:16
	s_or_b32 exec_lo, exec_lo, s4
	s_and_saveexec_b32 s4, s6
	s_cbranch_execz .LBB1241_216
.LBB1241_238:
	flat_store_dwordx2 v[2:3], v[14:15] offset:24
	s_or_b32 exec_lo, exec_lo, s4
	s_and_saveexec_b32 s4, s7
	s_cbranch_execz .LBB1241_217
.LBB1241_239:
	flat_store_dwordx2 v[2:3], v[20:21] offset:32
	s_or_b32 exec_lo, exec_lo, s4
	s_and_saveexec_b32 s4, s10
	s_cbranch_execz .LBB1241_218
.LBB1241_240:
	flat_store_dwordx2 v[2:3], v[24:25] offset:40
	s_or_b32 exec_lo, exec_lo, s4
	s_and_saveexec_b32 s4, s11
	s_cbranch_execz .LBB1241_219
.LBB1241_241:
	flat_store_dwordx2 v[2:3], v[22:23] offset:48
	s_or_b32 exec_lo, exec_lo, s4
	s_and_saveexec_b32 s4, s14
	s_cbranch_execz .LBB1241_220
.LBB1241_242:
	flat_store_dwordx2 v[2:3], v[36:37] offset:56
	s_or_b32 exec_lo, exec_lo, s4
	s_waitcnt lgkmcnt(0)
	s_setpc_b64 s[30:31]
.Lfunc_end1241:
	.size	_ZN7rocprim17ROCPRIM_400000_NS6detail26segmented_warp_sort_helperINS1_20WarpSortHelperConfigILj8ELj8ELj256EEEdlLi256ELb0EvE4sortIPKdPdPKlPlEEvT_T0_T1_T2_jjjjRNS5_12storage_typeE, .Lfunc_end1241-_ZN7rocprim17ROCPRIM_400000_NS6detail26segmented_warp_sort_helperINS1_20WarpSortHelperConfigILj8ELj8ELj256EEEdlLi256ELb0EvE4sortIPKdPdPKlPlEEvT_T0_T1_T2_jjjjRNS5_12storage_typeE
                                        ; -- End function
	.set .L_ZN7rocprim17ROCPRIM_400000_NS6detail26segmented_warp_sort_helperINS1_20WarpSortHelperConfigILj8ELj8ELj256EEEdlLi256ELb0EvE4sortIPKdPdPKlPlEEvT_T0_T1_T2_jjjjRNS5_12storage_typeE.num_vgpr, 132
	.set .L_ZN7rocprim17ROCPRIM_400000_NS6detail26segmented_warp_sort_helperINS1_20WarpSortHelperConfigILj8ELj8ELj256EEEdlLi256ELb0EvE4sortIPKdPdPKlPlEEvT_T0_T1_T2_jjjjRNS5_12storage_typeE.num_agpr, 0
	.set .L_ZN7rocprim17ROCPRIM_400000_NS6detail26segmented_warp_sort_helperINS1_20WarpSortHelperConfigILj8ELj8ELj256EEEdlLi256ELb0EvE4sortIPKdPdPKlPlEEvT_T0_T1_T2_jjjjRNS5_12storage_typeE.numbered_sgpr, 32
	.set .L_ZN7rocprim17ROCPRIM_400000_NS6detail26segmented_warp_sort_helperINS1_20WarpSortHelperConfigILj8ELj8ELj256EEEdlLi256ELb0EvE4sortIPKdPdPKlPlEEvT_T0_T1_T2_jjjjRNS5_12storage_typeE.num_named_barrier, 0
	.set .L_ZN7rocprim17ROCPRIM_400000_NS6detail26segmented_warp_sort_helperINS1_20WarpSortHelperConfigILj8ELj8ELj256EEEdlLi256ELb0EvE4sortIPKdPdPKlPlEEvT_T0_T1_T2_jjjjRNS5_12storage_typeE.private_seg_size, 0
	.set .L_ZN7rocprim17ROCPRIM_400000_NS6detail26segmented_warp_sort_helperINS1_20WarpSortHelperConfigILj8ELj8ELj256EEEdlLi256ELb0EvE4sortIPKdPdPKlPlEEvT_T0_T1_T2_jjjjRNS5_12storage_typeE.uses_vcc, 1
	.set .L_ZN7rocprim17ROCPRIM_400000_NS6detail26segmented_warp_sort_helperINS1_20WarpSortHelperConfigILj8ELj8ELj256EEEdlLi256ELb0EvE4sortIPKdPdPKlPlEEvT_T0_T1_T2_jjjjRNS5_12storage_typeE.uses_flat_scratch, 0
	.set .L_ZN7rocprim17ROCPRIM_400000_NS6detail26segmented_warp_sort_helperINS1_20WarpSortHelperConfigILj8ELj8ELj256EEEdlLi256ELb0EvE4sortIPKdPdPKlPlEEvT_T0_T1_T2_jjjjRNS5_12storage_typeE.has_dyn_sized_stack, 0
	.set .L_ZN7rocprim17ROCPRIM_400000_NS6detail26segmented_warp_sort_helperINS1_20WarpSortHelperConfigILj8ELj8ELj256EEEdlLi256ELb0EvE4sortIPKdPdPKlPlEEvT_T0_T1_T2_jjjjRNS5_12storage_typeE.has_recursion, 0
	.set .L_ZN7rocprim17ROCPRIM_400000_NS6detail26segmented_warp_sort_helperINS1_20WarpSortHelperConfigILj8ELj8ELj256EEEdlLi256ELb0EvE4sortIPKdPdPKlPlEEvT_T0_T1_T2_jjjjRNS5_12storage_typeE.has_indirect_call, 0
	.section	.AMDGPU.csdata,"",@progbits
; Function info:
; codeLenInByte = 12252
; TotalNumSgprs: 34
; NumVgprs: 132
; ScratchSize: 0
; MemoryBound: 0
	.section	.text._ZN7rocprim17ROCPRIM_400000_NS6detail17trampoline_kernelINS0_14default_configENS1_36segmented_radix_sort_config_selectorIdlEEZNS1_25segmented_radix_sort_implIS3_Lb0EPKdPdPKlPlN2at6native12_GLOBAL__N_18offset_tEEE10hipError_tPvRmT1_PNSt15iterator_traitsISK_E10value_typeET2_T3_PNSL_ISQ_E10value_typeET4_jRbjT5_SW_jjP12ihipStream_tbEUlT_E1_NS1_11comp_targetILNS1_3genE8ELNS1_11target_archE1030ELNS1_3gpuE2ELNS1_3repE0EEENS1_59segmented_radix_sort_warp_sort_small_config_static_selectorELNS0_4arch9wavefront6targetE0EEEvSK_,"axG",@progbits,_ZN7rocprim17ROCPRIM_400000_NS6detail17trampoline_kernelINS0_14default_configENS1_36segmented_radix_sort_config_selectorIdlEEZNS1_25segmented_radix_sort_implIS3_Lb0EPKdPdPKlPlN2at6native12_GLOBAL__N_18offset_tEEE10hipError_tPvRmT1_PNSt15iterator_traitsISK_E10value_typeET2_T3_PNSL_ISQ_E10value_typeET4_jRbjT5_SW_jjP12ihipStream_tbEUlT_E1_NS1_11comp_targetILNS1_3genE8ELNS1_11target_archE1030ELNS1_3gpuE2ELNS1_3repE0EEENS1_59segmented_radix_sort_warp_sort_small_config_static_selectorELNS0_4arch9wavefront6targetE0EEEvSK_,comdat
	.globl	_ZN7rocprim17ROCPRIM_400000_NS6detail17trampoline_kernelINS0_14default_configENS1_36segmented_radix_sort_config_selectorIdlEEZNS1_25segmented_radix_sort_implIS3_Lb0EPKdPdPKlPlN2at6native12_GLOBAL__N_18offset_tEEE10hipError_tPvRmT1_PNSt15iterator_traitsISK_E10value_typeET2_T3_PNSL_ISQ_E10value_typeET4_jRbjT5_SW_jjP12ihipStream_tbEUlT_E1_NS1_11comp_targetILNS1_3genE8ELNS1_11target_archE1030ELNS1_3gpuE2ELNS1_3repE0EEENS1_59segmented_radix_sort_warp_sort_small_config_static_selectorELNS0_4arch9wavefront6targetE0EEEvSK_ ; -- Begin function _ZN7rocprim17ROCPRIM_400000_NS6detail17trampoline_kernelINS0_14default_configENS1_36segmented_radix_sort_config_selectorIdlEEZNS1_25segmented_radix_sort_implIS3_Lb0EPKdPdPKlPlN2at6native12_GLOBAL__N_18offset_tEEE10hipError_tPvRmT1_PNSt15iterator_traitsISK_E10value_typeET2_T3_PNSL_ISQ_E10value_typeET4_jRbjT5_SW_jjP12ihipStream_tbEUlT_E1_NS1_11comp_targetILNS1_3genE8ELNS1_11target_archE1030ELNS1_3gpuE2ELNS1_3repE0EEENS1_59segmented_radix_sort_warp_sort_small_config_static_selectorELNS0_4arch9wavefront6targetE0EEEvSK_
	.p2align	8
	.type	_ZN7rocprim17ROCPRIM_400000_NS6detail17trampoline_kernelINS0_14default_configENS1_36segmented_radix_sort_config_selectorIdlEEZNS1_25segmented_radix_sort_implIS3_Lb0EPKdPdPKlPlN2at6native12_GLOBAL__N_18offset_tEEE10hipError_tPvRmT1_PNSt15iterator_traitsISK_E10value_typeET2_T3_PNSL_ISQ_E10value_typeET4_jRbjT5_SW_jjP12ihipStream_tbEUlT_E1_NS1_11comp_targetILNS1_3genE8ELNS1_11target_archE1030ELNS1_3gpuE2ELNS1_3repE0EEENS1_59segmented_radix_sort_warp_sort_small_config_static_selectorELNS0_4arch9wavefront6targetE0EEEvSK_,@function
_ZN7rocprim17ROCPRIM_400000_NS6detail17trampoline_kernelINS0_14default_configENS1_36segmented_radix_sort_config_selectorIdlEEZNS1_25segmented_radix_sort_implIS3_Lb0EPKdPdPKlPlN2at6native12_GLOBAL__N_18offset_tEEE10hipError_tPvRmT1_PNSt15iterator_traitsISK_E10value_typeET2_T3_PNSL_ISQ_E10value_typeET4_jRbjT5_SW_jjP12ihipStream_tbEUlT_E1_NS1_11comp_targetILNS1_3genE8ELNS1_11target_archE1030ELNS1_3gpuE2ELNS1_3repE0EEENS1_59segmented_radix_sort_warp_sort_small_config_static_selectorELNS0_4arch9wavefront6targetE0EEEvSK_: ; @_ZN7rocprim17ROCPRIM_400000_NS6detail17trampoline_kernelINS0_14default_configENS1_36segmented_radix_sort_config_selectorIdlEEZNS1_25segmented_radix_sort_implIS3_Lb0EPKdPdPKlPlN2at6native12_GLOBAL__N_18offset_tEEE10hipError_tPvRmT1_PNSt15iterator_traitsISK_E10value_typeET2_T3_PNSL_ISQ_E10value_typeET4_jRbjT5_SW_jjP12ihipStream_tbEUlT_E1_NS1_11comp_targetILNS1_3genE8ELNS1_11target_archE1030ELNS1_3gpuE2ELNS1_3repE0EEENS1_59segmented_radix_sort_warp_sort_small_config_static_selectorELNS0_4arch9wavefront6targetE0EEEvSK_
; %bb.0:
	s_add_u32 s0, s0, s8
	s_load_dword s8, s[4:5], 0x64
	s_addc_u32 s1, s1, 0
	s_mov_b32 s32, 0
	s_waitcnt lgkmcnt(0)
	s_lshr_b32 s9, s8, 16
	s_and_b32 s8, s8, 0xffff
	v_mad_u32_u24 v3, v2, s9, v1
	s_load_dword s9, s[4:5], 0x34
	v_mad_u64_u32 v[3:4], null, v3, s8, v[0:1]
	s_mov_b32 s8, exec_lo
	v_lshrrev_b32_e32 v3, 3, v3
	v_lshl_add_u32 v3, s6, 5, v3
	s_waitcnt lgkmcnt(0)
	v_cmpx_gt_u32_e64 s9, v3
	s_cbranch_execz .LBB1242_6
; %bb.1:
	s_clause 0x1
	s_load_dwordx2 s[12:13], s[4:5], 0x38
	s_load_dwordx4 s[8:11], s[4:5], 0x40
	v_mov_b32_e32 v4, 0
	v_lshlrev_b64 v[3:4], 2, v[3:4]
	s_waitcnt lgkmcnt(0)
	v_sub_co_u32 v3, vcc_lo, s12, v3
	v_sub_co_ci_u32_e64 v4, null, s13, v4, vcc_lo
	global_load_dword v3, v[3:4], off offset:-4
	s_waitcnt vmcnt(0)
	v_add_nc_u32_e32 v4, s9, v3
	v_add_nc_u32_e32 v3, s11, v3
	v_mul_lo_u32 v40, v4, s8
	v_mul_lo_u32 v41, v3, s10
	v_cmp_gt_u32_e32 vcc_lo, v41, v40
	s_and_b32 exec_lo, exec_lo, vcc_lo
	s_cbranch_execz .LBB1242_6
; %bb.2:
	s_clause 0x2
	s_load_dword s8, s[4:5], 0x30
	s_load_dwordx4 s[24:27], s[4:5], 0x20
	s_load_dwordx8 s[36:43], s[4:5], 0x0
	v_lshlrev_b32_e32 v43, 20, v2
	v_lshlrev_b32_e32 v44, 10, v1
	s_waitcnt lgkmcnt(0)
	s_bitcmp0_b32 s8, 0
	s_mov_b32 s8, -1
	s_cbranch_scc0 .LBB1242_4
; %bb.3:
	s_mov_b64 s[10:11], src_shared_base
	v_or3_b32 v31, v0, v44, v43
	v_mov_b32_e32 v42, v0
	v_mov_b32_e32 v0, s36
	;; [unrolled: 1-line block ×13, first 2 shown]
	s_add_u32 s8, s4, 0x58
	s_addc_u32 s9, s5, 0
	s_getpc_b64 s[14:15]
	s_add_u32 s14, s14, _ZN7rocprim17ROCPRIM_400000_NS6detail26segmented_warp_sort_helperINS1_20WarpSortHelperConfigILj8ELj8ELj256EEEdlLi256ELb0EvE4sortIPKdPdPKlPlEEvT_T0_T1_T2_jjjjRNS5_12storage_typeE@rel32@lo+4
	s_addc_u32 s15, s15, _ZN7rocprim17ROCPRIM_400000_NS6detail26segmented_warp_sort_helperINS1_20WarpSortHelperConfigILj8ELj8ELj256EEEdlLi256ELb0EvE4sortIPKdPdPKlPlEEvT_T0_T1_T2_jjjjRNS5_12storage_typeE@rel32@hi+12
	s_mov_b32 s12, s6
	s_mov_b32 s13, s7
	s_mov_b64 s[24:25], s[4:5]
	s_mov_b32 s23, s7
	s_mov_b32 s28, s6
	s_swappc_b64 s[30:31], s[14:15]
	v_mov_b32_e32 v0, v42
	s_mov_b32 s6, s28
	s_mov_b32 s7, s23
	s_mov_b64 s[4:5], s[24:25]
	s_mov_b32 s8, 0
.LBB1242_4:
	s_andn2_b32 vcc_lo, exec_lo, s8
	s_cbranch_vccnz .LBB1242_6
; %bb.5:
	s_mov_b64 s[10:11], src_shared_base
	v_or3_b32 v31, v0, v44, v43
	v_mov_b32_e32 v0, s36
	v_mov_b32_e32 v1, s37
	;; [unrolled: 1-line block ×12, first 2 shown]
	s_add_u32 s8, s4, 0x58
	s_addc_u32 s9, s5, 0
	s_getpc_b64 s[4:5]
	s_add_u32 s4, s4, _ZN7rocprim17ROCPRIM_400000_NS6detail26segmented_warp_sort_helperINS1_20WarpSortHelperConfigILj8ELj8ELj256EEEdlLi256ELb0EvE4sortIPKdPdPKlPlEEvT_T0_T1_T2_jjjjRNS5_12storage_typeE@rel32@lo+4
	s_addc_u32 s5, s5, _ZN7rocprim17ROCPRIM_400000_NS6detail26segmented_warp_sort_helperINS1_20WarpSortHelperConfigILj8ELj8ELj256EEEdlLi256ELb0EvE4sortIPKdPdPKlPlEEvT_T0_T1_T2_jjjjRNS5_12storage_typeE@rel32@hi+12
	s_mov_b32 s12, s6
	s_mov_b32 s13, s7
	s_swappc_b64 s[30:31], s[4:5]
.LBB1242_6:
	s_endpgm
	.section	.rodata,"a",@progbits
	.p2align	6, 0x0
	.amdhsa_kernel _ZN7rocprim17ROCPRIM_400000_NS6detail17trampoline_kernelINS0_14default_configENS1_36segmented_radix_sort_config_selectorIdlEEZNS1_25segmented_radix_sort_implIS3_Lb0EPKdPdPKlPlN2at6native12_GLOBAL__N_18offset_tEEE10hipError_tPvRmT1_PNSt15iterator_traitsISK_E10value_typeET2_T3_PNSL_ISQ_E10value_typeET4_jRbjT5_SW_jjP12ihipStream_tbEUlT_E1_NS1_11comp_targetILNS1_3genE8ELNS1_11target_archE1030ELNS1_3gpuE2ELNS1_3repE0EEENS1_59segmented_radix_sort_warp_sort_small_config_static_selectorELNS0_4arch9wavefront6targetE0EEEvSK_
		.amdhsa_group_segment_fixed_size 32768
		.amdhsa_private_segment_fixed_size 0
		.amdhsa_kernarg_size 344
		.amdhsa_user_sgpr_count 6
		.amdhsa_user_sgpr_private_segment_buffer 1
		.amdhsa_user_sgpr_dispatch_ptr 0
		.amdhsa_user_sgpr_queue_ptr 0
		.amdhsa_user_sgpr_kernarg_segment_ptr 1
		.amdhsa_user_sgpr_dispatch_id 0
		.amdhsa_user_sgpr_flat_scratch_init 0
		.amdhsa_user_sgpr_private_segment_size 0
		.amdhsa_wavefront_size32 1
		.amdhsa_uses_dynamic_stack 0
		.amdhsa_system_sgpr_private_segment_wavefront_offset 0
		.amdhsa_system_sgpr_workgroup_id_x 1
		.amdhsa_system_sgpr_workgroup_id_y 1
		.amdhsa_system_sgpr_workgroup_id_z 0
		.amdhsa_system_sgpr_workgroup_info 0
		.amdhsa_system_vgpr_workitem_id 2
		.amdhsa_next_free_vgpr 132
		.amdhsa_next_free_sgpr 44
		.amdhsa_reserve_vcc 1
		.amdhsa_reserve_flat_scratch 0
		.amdhsa_float_round_mode_32 0
		.amdhsa_float_round_mode_16_64 0
		.amdhsa_float_denorm_mode_32 3
		.amdhsa_float_denorm_mode_16_64 3
		.amdhsa_dx10_clamp 1
		.amdhsa_ieee_mode 1
		.amdhsa_fp16_overflow 0
		.amdhsa_workgroup_processor_mode 1
		.amdhsa_memory_ordered 1
		.amdhsa_forward_progress 1
		.amdhsa_shared_vgpr_count 0
		.amdhsa_exception_fp_ieee_invalid_op 0
		.amdhsa_exception_fp_denorm_src 0
		.amdhsa_exception_fp_ieee_div_zero 0
		.amdhsa_exception_fp_ieee_overflow 0
		.amdhsa_exception_fp_ieee_underflow 0
		.amdhsa_exception_fp_ieee_inexact 0
		.amdhsa_exception_int_div_zero 0
	.end_amdhsa_kernel
	.section	.text._ZN7rocprim17ROCPRIM_400000_NS6detail17trampoline_kernelINS0_14default_configENS1_36segmented_radix_sort_config_selectorIdlEEZNS1_25segmented_radix_sort_implIS3_Lb0EPKdPdPKlPlN2at6native12_GLOBAL__N_18offset_tEEE10hipError_tPvRmT1_PNSt15iterator_traitsISK_E10value_typeET2_T3_PNSL_ISQ_E10value_typeET4_jRbjT5_SW_jjP12ihipStream_tbEUlT_E1_NS1_11comp_targetILNS1_3genE8ELNS1_11target_archE1030ELNS1_3gpuE2ELNS1_3repE0EEENS1_59segmented_radix_sort_warp_sort_small_config_static_selectorELNS0_4arch9wavefront6targetE0EEEvSK_,"axG",@progbits,_ZN7rocprim17ROCPRIM_400000_NS6detail17trampoline_kernelINS0_14default_configENS1_36segmented_radix_sort_config_selectorIdlEEZNS1_25segmented_radix_sort_implIS3_Lb0EPKdPdPKlPlN2at6native12_GLOBAL__N_18offset_tEEE10hipError_tPvRmT1_PNSt15iterator_traitsISK_E10value_typeET2_T3_PNSL_ISQ_E10value_typeET4_jRbjT5_SW_jjP12ihipStream_tbEUlT_E1_NS1_11comp_targetILNS1_3genE8ELNS1_11target_archE1030ELNS1_3gpuE2ELNS1_3repE0EEENS1_59segmented_radix_sort_warp_sort_small_config_static_selectorELNS0_4arch9wavefront6targetE0EEEvSK_,comdat
.Lfunc_end1242:
	.size	_ZN7rocprim17ROCPRIM_400000_NS6detail17trampoline_kernelINS0_14default_configENS1_36segmented_radix_sort_config_selectorIdlEEZNS1_25segmented_radix_sort_implIS3_Lb0EPKdPdPKlPlN2at6native12_GLOBAL__N_18offset_tEEE10hipError_tPvRmT1_PNSt15iterator_traitsISK_E10value_typeET2_T3_PNSL_ISQ_E10value_typeET4_jRbjT5_SW_jjP12ihipStream_tbEUlT_E1_NS1_11comp_targetILNS1_3genE8ELNS1_11target_archE1030ELNS1_3gpuE2ELNS1_3repE0EEENS1_59segmented_radix_sort_warp_sort_small_config_static_selectorELNS0_4arch9wavefront6targetE0EEEvSK_, .Lfunc_end1242-_ZN7rocprim17ROCPRIM_400000_NS6detail17trampoline_kernelINS0_14default_configENS1_36segmented_radix_sort_config_selectorIdlEEZNS1_25segmented_radix_sort_implIS3_Lb0EPKdPdPKlPlN2at6native12_GLOBAL__N_18offset_tEEE10hipError_tPvRmT1_PNSt15iterator_traitsISK_E10value_typeET2_T3_PNSL_ISQ_E10value_typeET4_jRbjT5_SW_jjP12ihipStream_tbEUlT_E1_NS1_11comp_targetILNS1_3genE8ELNS1_11target_archE1030ELNS1_3gpuE2ELNS1_3repE0EEENS1_59segmented_radix_sort_warp_sort_small_config_static_selectorELNS0_4arch9wavefront6targetE0EEEvSK_
                                        ; -- End function
	.set _ZN7rocprim17ROCPRIM_400000_NS6detail17trampoline_kernelINS0_14default_configENS1_36segmented_radix_sort_config_selectorIdlEEZNS1_25segmented_radix_sort_implIS3_Lb0EPKdPdPKlPlN2at6native12_GLOBAL__N_18offset_tEEE10hipError_tPvRmT1_PNSt15iterator_traitsISK_E10value_typeET2_T3_PNSL_ISQ_E10value_typeET4_jRbjT5_SW_jjP12ihipStream_tbEUlT_E1_NS1_11comp_targetILNS1_3genE8ELNS1_11target_archE1030ELNS1_3gpuE2ELNS1_3repE0EEENS1_59segmented_radix_sort_warp_sort_small_config_static_selectorELNS0_4arch9wavefront6targetE0EEEvSK_.num_vgpr, max(45, .L_ZN7rocprim17ROCPRIM_400000_NS6detail26segmented_warp_sort_helperINS1_20WarpSortHelperConfigILj8ELj8ELj256EEEdlLi256ELb0EvE4sortIPKdPdPKlPlEEvT_T0_T1_T2_jjjjRNS5_12storage_typeE.num_vgpr)
	.set _ZN7rocprim17ROCPRIM_400000_NS6detail17trampoline_kernelINS0_14default_configENS1_36segmented_radix_sort_config_selectorIdlEEZNS1_25segmented_radix_sort_implIS3_Lb0EPKdPdPKlPlN2at6native12_GLOBAL__N_18offset_tEEE10hipError_tPvRmT1_PNSt15iterator_traitsISK_E10value_typeET2_T3_PNSL_ISQ_E10value_typeET4_jRbjT5_SW_jjP12ihipStream_tbEUlT_E1_NS1_11comp_targetILNS1_3genE8ELNS1_11target_archE1030ELNS1_3gpuE2ELNS1_3repE0EEENS1_59segmented_radix_sort_warp_sort_small_config_static_selectorELNS0_4arch9wavefront6targetE0EEEvSK_.num_agpr, max(0, .L_ZN7rocprim17ROCPRIM_400000_NS6detail26segmented_warp_sort_helperINS1_20WarpSortHelperConfigILj8ELj8ELj256EEEdlLi256ELb0EvE4sortIPKdPdPKlPlEEvT_T0_T1_T2_jjjjRNS5_12storage_typeE.num_agpr)
	.set _ZN7rocprim17ROCPRIM_400000_NS6detail17trampoline_kernelINS0_14default_configENS1_36segmented_radix_sort_config_selectorIdlEEZNS1_25segmented_radix_sort_implIS3_Lb0EPKdPdPKlPlN2at6native12_GLOBAL__N_18offset_tEEE10hipError_tPvRmT1_PNSt15iterator_traitsISK_E10value_typeET2_T3_PNSL_ISQ_E10value_typeET4_jRbjT5_SW_jjP12ihipStream_tbEUlT_E1_NS1_11comp_targetILNS1_3genE8ELNS1_11target_archE1030ELNS1_3gpuE2ELNS1_3repE0EEENS1_59segmented_radix_sort_warp_sort_small_config_static_selectorELNS0_4arch9wavefront6targetE0EEEvSK_.numbered_sgpr, max(44, .L_ZN7rocprim17ROCPRIM_400000_NS6detail26segmented_warp_sort_helperINS1_20WarpSortHelperConfigILj8ELj8ELj256EEEdlLi256ELb0EvE4sortIPKdPdPKlPlEEvT_T0_T1_T2_jjjjRNS5_12storage_typeE.numbered_sgpr)
	.set _ZN7rocprim17ROCPRIM_400000_NS6detail17trampoline_kernelINS0_14default_configENS1_36segmented_radix_sort_config_selectorIdlEEZNS1_25segmented_radix_sort_implIS3_Lb0EPKdPdPKlPlN2at6native12_GLOBAL__N_18offset_tEEE10hipError_tPvRmT1_PNSt15iterator_traitsISK_E10value_typeET2_T3_PNSL_ISQ_E10value_typeET4_jRbjT5_SW_jjP12ihipStream_tbEUlT_E1_NS1_11comp_targetILNS1_3genE8ELNS1_11target_archE1030ELNS1_3gpuE2ELNS1_3repE0EEENS1_59segmented_radix_sort_warp_sort_small_config_static_selectorELNS0_4arch9wavefront6targetE0EEEvSK_.num_named_barrier, max(0, .L_ZN7rocprim17ROCPRIM_400000_NS6detail26segmented_warp_sort_helperINS1_20WarpSortHelperConfigILj8ELj8ELj256EEEdlLi256ELb0EvE4sortIPKdPdPKlPlEEvT_T0_T1_T2_jjjjRNS5_12storage_typeE.num_named_barrier)
	.set _ZN7rocprim17ROCPRIM_400000_NS6detail17trampoline_kernelINS0_14default_configENS1_36segmented_radix_sort_config_selectorIdlEEZNS1_25segmented_radix_sort_implIS3_Lb0EPKdPdPKlPlN2at6native12_GLOBAL__N_18offset_tEEE10hipError_tPvRmT1_PNSt15iterator_traitsISK_E10value_typeET2_T3_PNSL_ISQ_E10value_typeET4_jRbjT5_SW_jjP12ihipStream_tbEUlT_E1_NS1_11comp_targetILNS1_3genE8ELNS1_11target_archE1030ELNS1_3gpuE2ELNS1_3repE0EEENS1_59segmented_radix_sort_warp_sort_small_config_static_selectorELNS0_4arch9wavefront6targetE0EEEvSK_.private_seg_size, 0+max(.L_ZN7rocprim17ROCPRIM_400000_NS6detail26segmented_warp_sort_helperINS1_20WarpSortHelperConfigILj8ELj8ELj256EEEdlLi256ELb0EvE4sortIPKdPdPKlPlEEvT_T0_T1_T2_jjjjRNS5_12storage_typeE.private_seg_size)
	.set _ZN7rocprim17ROCPRIM_400000_NS6detail17trampoline_kernelINS0_14default_configENS1_36segmented_radix_sort_config_selectorIdlEEZNS1_25segmented_radix_sort_implIS3_Lb0EPKdPdPKlPlN2at6native12_GLOBAL__N_18offset_tEEE10hipError_tPvRmT1_PNSt15iterator_traitsISK_E10value_typeET2_T3_PNSL_ISQ_E10value_typeET4_jRbjT5_SW_jjP12ihipStream_tbEUlT_E1_NS1_11comp_targetILNS1_3genE8ELNS1_11target_archE1030ELNS1_3gpuE2ELNS1_3repE0EEENS1_59segmented_radix_sort_warp_sort_small_config_static_selectorELNS0_4arch9wavefront6targetE0EEEvSK_.uses_vcc, or(1, .L_ZN7rocprim17ROCPRIM_400000_NS6detail26segmented_warp_sort_helperINS1_20WarpSortHelperConfigILj8ELj8ELj256EEEdlLi256ELb0EvE4sortIPKdPdPKlPlEEvT_T0_T1_T2_jjjjRNS5_12storage_typeE.uses_vcc)
	.set _ZN7rocprim17ROCPRIM_400000_NS6detail17trampoline_kernelINS0_14default_configENS1_36segmented_radix_sort_config_selectorIdlEEZNS1_25segmented_radix_sort_implIS3_Lb0EPKdPdPKlPlN2at6native12_GLOBAL__N_18offset_tEEE10hipError_tPvRmT1_PNSt15iterator_traitsISK_E10value_typeET2_T3_PNSL_ISQ_E10value_typeET4_jRbjT5_SW_jjP12ihipStream_tbEUlT_E1_NS1_11comp_targetILNS1_3genE8ELNS1_11target_archE1030ELNS1_3gpuE2ELNS1_3repE0EEENS1_59segmented_radix_sort_warp_sort_small_config_static_selectorELNS0_4arch9wavefront6targetE0EEEvSK_.uses_flat_scratch, or(0, .L_ZN7rocprim17ROCPRIM_400000_NS6detail26segmented_warp_sort_helperINS1_20WarpSortHelperConfigILj8ELj8ELj256EEEdlLi256ELb0EvE4sortIPKdPdPKlPlEEvT_T0_T1_T2_jjjjRNS5_12storage_typeE.uses_flat_scratch)
	.set _ZN7rocprim17ROCPRIM_400000_NS6detail17trampoline_kernelINS0_14default_configENS1_36segmented_radix_sort_config_selectorIdlEEZNS1_25segmented_radix_sort_implIS3_Lb0EPKdPdPKlPlN2at6native12_GLOBAL__N_18offset_tEEE10hipError_tPvRmT1_PNSt15iterator_traitsISK_E10value_typeET2_T3_PNSL_ISQ_E10value_typeET4_jRbjT5_SW_jjP12ihipStream_tbEUlT_E1_NS1_11comp_targetILNS1_3genE8ELNS1_11target_archE1030ELNS1_3gpuE2ELNS1_3repE0EEENS1_59segmented_radix_sort_warp_sort_small_config_static_selectorELNS0_4arch9wavefront6targetE0EEEvSK_.has_dyn_sized_stack, or(0, .L_ZN7rocprim17ROCPRIM_400000_NS6detail26segmented_warp_sort_helperINS1_20WarpSortHelperConfigILj8ELj8ELj256EEEdlLi256ELb0EvE4sortIPKdPdPKlPlEEvT_T0_T1_T2_jjjjRNS5_12storage_typeE.has_dyn_sized_stack)
	.set _ZN7rocprim17ROCPRIM_400000_NS6detail17trampoline_kernelINS0_14default_configENS1_36segmented_radix_sort_config_selectorIdlEEZNS1_25segmented_radix_sort_implIS3_Lb0EPKdPdPKlPlN2at6native12_GLOBAL__N_18offset_tEEE10hipError_tPvRmT1_PNSt15iterator_traitsISK_E10value_typeET2_T3_PNSL_ISQ_E10value_typeET4_jRbjT5_SW_jjP12ihipStream_tbEUlT_E1_NS1_11comp_targetILNS1_3genE8ELNS1_11target_archE1030ELNS1_3gpuE2ELNS1_3repE0EEENS1_59segmented_radix_sort_warp_sort_small_config_static_selectorELNS0_4arch9wavefront6targetE0EEEvSK_.has_recursion, or(0, .L_ZN7rocprim17ROCPRIM_400000_NS6detail26segmented_warp_sort_helperINS1_20WarpSortHelperConfigILj8ELj8ELj256EEEdlLi256ELb0EvE4sortIPKdPdPKlPlEEvT_T0_T1_T2_jjjjRNS5_12storage_typeE.has_recursion)
	.set _ZN7rocprim17ROCPRIM_400000_NS6detail17trampoline_kernelINS0_14default_configENS1_36segmented_radix_sort_config_selectorIdlEEZNS1_25segmented_radix_sort_implIS3_Lb0EPKdPdPKlPlN2at6native12_GLOBAL__N_18offset_tEEE10hipError_tPvRmT1_PNSt15iterator_traitsISK_E10value_typeET2_T3_PNSL_ISQ_E10value_typeET4_jRbjT5_SW_jjP12ihipStream_tbEUlT_E1_NS1_11comp_targetILNS1_3genE8ELNS1_11target_archE1030ELNS1_3gpuE2ELNS1_3repE0EEENS1_59segmented_radix_sort_warp_sort_small_config_static_selectorELNS0_4arch9wavefront6targetE0EEEvSK_.has_indirect_call, or(0, .L_ZN7rocprim17ROCPRIM_400000_NS6detail26segmented_warp_sort_helperINS1_20WarpSortHelperConfigILj8ELj8ELj256EEEdlLi256ELb0EvE4sortIPKdPdPKlPlEEvT_T0_T1_T2_jjjjRNS5_12storage_typeE.has_indirect_call)
	.section	.AMDGPU.csdata,"",@progbits
; Kernel info:
; codeLenInByte = 500
; TotalNumSgprs: 46
; NumVgprs: 132
; ScratchSize: 0
; MemoryBound: 0
; FloatMode: 240
; IeeeMode: 1
; LDSByteSize: 32768 bytes/workgroup (compile time only)
; SGPRBlocks: 0
; VGPRBlocks: 16
; NumSGPRsForWavesPerEU: 46
; NumVGPRsForWavesPerEU: 132
; Occupancy: 7
; WaveLimiterHint : 0
; COMPUTE_PGM_RSRC2:SCRATCH_EN: 0
; COMPUTE_PGM_RSRC2:USER_SGPR: 6
; COMPUTE_PGM_RSRC2:TRAP_HANDLER: 0
; COMPUTE_PGM_RSRC2:TGID_X_EN: 1
; COMPUTE_PGM_RSRC2:TGID_Y_EN: 1
; COMPUTE_PGM_RSRC2:TGID_Z_EN: 0
; COMPUTE_PGM_RSRC2:TIDIG_COMP_CNT: 2
	.section	.text._ZN7rocprim17ROCPRIM_400000_NS6detail17trampoline_kernelINS0_14default_configENS1_36segmented_radix_sort_config_selectorIdlEEZNS1_25segmented_radix_sort_implIS3_Lb0EPKdPdPKlPlN2at6native12_GLOBAL__N_18offset_tEEE10hipError_tPvRmT1_PNSt15iterator_traitsISK_E10value_typeET2_T3_PNSL_ISQ_E10value_typeET4_jRbjT5_SW_jjP12ihipStream_tbEUlT_E2_NS1_11comp_targetILNS1_3genE0ELNS1_11target_archE4294967295ELNS1_3gpuE0ELNS1_3repE0EEENS1_30default_config_static_selectorELNS0_4arch9wavefront6targetE0EEEvSK_,"axG",@progbits,_ZN7rocprim17ROCPRIM_400000_NS6detail17trampoline_kernelINS0_14default_configENS1_36segmented_radix_sort_config_selectorIdlEEZNS1_25segmented_radix_sort_implIS3_Lb0EPKdPdPKlPlN2at6native12_GLOBAL__N_18offset_tEEE10hipError_tPvRmT1_PNSt15iterator_traitsISK_E10value_typeET2_T3_PNSL_ISQ_E10value_typeET4_jRbjT5_SW_jjP12ihipStream_tbEUlT_E2_NS1_11comp_targetILNS1_3genE0ELNS1_11target_archE4294967295ELNS1_3gpuE0ELNS1_3repE0EEENS1_30default_config_static_selectorELNS0_4arch9wavefront6targetE0EEEvSK_,comdat
	.globl	_ZN7rocprim17ROCPRIM_400000_NS6detail17trampoline_kernelINS0_14default_configENS1_36segmented_radix_sort_config_selectorIdlEEZNS1_25segmented_radix_sort_implIS3_Lb0EPKdPdPKlPlN2at6native12_GLOBAL__N_18offset_tEEE10hipError_tPvRmT1_PNSt15iterator_traitsISK_E10value_typeET2_T3_PNSL_ISQ_E10value_typeET4_jRbjT5_SW_jjP12ihipStream_tbEUlT_E2_NS1_11comp_targetILNS1_3genE0ELNS1_11target_archE4294967295ELNS1_3gpuE0ELNS1_3repE0EEENS1_30default_config_static_selectorELNS0_4arch9wavefront6targetE0EEEvSK_ ; -- Begin function _ZN7rocprim17ROCPRIM_400000_NS6detail17trampoline_kernelINS0_14default_configENS1_36segmented_radix_sort_config_selectorIdlEEZNS1_25segmented_radix_sort_implIS3_Lb0EPKdPdPKlPlN2at6native12_GLOBAL__N_18offset_tEEE10hipError_tPvRmT1_PNSt15iterator_traitsISK_E10value_typeET2_T3_PNSL_ISQ_E10value_typeET4_jRbjT5_SW_jjP12ihipStream_tbEUlT_E2_NS1_11comp_targetILNS1_3genE0ELNS1_11target_archE4294967295ELNS1_3gpuE0ELNS1_3repE0EEENS1_30default_config_static_selectorELNS0_4arch9wavefront6targetE0EEEvSK_
	.p2align	8
	.type	_ZN7rocprim17ROCPRIM_400000_NS6detail17trampoline_kernelINS0_14default_configENS1_36segmented_radix_sort_config_selectorIdlEEZNS1_25segmented_radix_sort_implIS3_Lb0EPKdPdPKlPlN2at6native12_GLOBAL__N_18offset_tEEE10hipError_tPvRmT1_PNSt15iterator_traitsISK_E10value_typeET2_T3_PNSL_ISQ_E10value_typeET4_jRbjT5_SW_jjP12ihipStream_tbEUlT_E2_NS1_11comp_targetILNS1_3genE0ELNS1_11target_archE4294967295ELNS1_3gpuE0ELNS1_3repE0EEENS1_30default_config_static_selectorELNS0_4arch9wavefront6targetE0EEEvSK_,@function
_ZN7rocprim17ROCPRIM_400000_NS6detail17trampoline_kernelINS0_14default_configENS1_36segmented_radix_sort_config_selectorIdlEEZNS1_25segmented_radix_sort_implIS3_Lb0EPKdPdPKlPlN2at6native12_GLOBAL__N_18offset_tEEE10hipError_tPvRmT1_PNSt15iterator_traitsISK_E10value_typeET2_T3_PNSL_ISQ_E10value_typeET4_jRbjT5_SW_jjP12ihipStream_tbEUlT_E2_NS1_11comp_targetILNS1_3genE0ELNS1_11target_archE4294967295ELNS1_3gpuE0ELNS1_3repE0EEENS1_30default_config_static_selectorELNS0_4arch9wavefront6targetE0EEEvSK_: ; @_ZN7rocprim17ROCPRIM_400000_NS6detail17trampoline_kernelINS0_14default_configENS1_36segmented_radix_sort_config_selectorIdlEEZNS1_25segmented_radix_sort_implIS3_Lb0EPKdPdPKlPlN2at6native12_GLOBAL__N_18offset_tEEE10hipError_tPvRmT1_PNSt15iterator_traitsISK_E10value_typeET2_T3_PNSL_ISQ_E10value_typeET4_jRbjT5_SW_jjP12ihipStream_tbEUlT_E2_NS1_11comp_targetILNS1_3genE0ELNS1_11target_archE4294967295ELNS1_3gpuE0ELNS1_3repE0EEENS1_30default_config_static_selectorELNS0_4arch9wavefront6targetE0EEEvSK_
; %bb.0:
	.section	.rodata,"a",@progbits
	.p2align	6, 0x0
	.amdhsa_kernel _ZN7rocprim17ROCPRIM_400000_NS6detail17trampoline_kernelINS0_14default_configENS1_36segmented_radix_sort_config_selectorIdlEEZNS1_25segmented_radix_sort_implIS3_Lb0EPKdPdPKlPlN2at6native12_GLOBAL__N_18offset_tEEE10hipError_tPvRmT1_PNSt15iterator_traitsISK_E10value_typeET2_T3_PNSL_ISQ_E10value_typeET4_jRbjT5_SW_jjP12ihipStream_tbEUlT_E2_NS1_11comp_targetILNS1_3genE0ELNS1_11target_archE4294967295ELNS1_3gpuE0ELNS1_3repE0EEENS1_30default_config_static_selectorELNS0_4arch9wavefront6targetE0EEEvSK_
		.amdhsa_group_segment_fixed_size 0
		.amdhsa_private_segment_fixed_size 0
		.amdhsa_kernarg_size 80
		.amdhsa_user_sgpr_count 6
		.amdhsa_user_sgpr_private_segment_buffer 1
		.amdhsa_user_sgpr_dispatch_ptr 0
		.amdhsa_user_sgpr_queue_ptr 0
		.amdhsa_user_sgpr_kernarg_segment_ptr 1
		.amdhsa_user_sgpr_dispatch_id 0
		.amdhsa_user_sgpr_flat_scratch_init 0
		.amdhsa_user_sgpr_private_segment_size 0
		.amdhsa_wavefront_size32 1
		.amdhsa_uses_dynamic_stack 0
		.amdhsa_system_sgpr_private_segment_wavefront_offset 0
		.amdhsa_system_sgpr_workgroup_id_x 1
		.amdhsa_system_sgpr_workgroup_id_y 0
		.amdhsa_system_sgpr_workgroup_id_z 0
		.amdhsa_system_sgpr_workgroup_info 0
		.amdhsa_system_vgpr_workitem_id 0
		.amdhsa_next_free_vgpr 1
		.amdhsa_next_free_sgpr 1
		.amdhsa_reserve_vcc 0
		.amdhsa_reserve_flat_scratch 0
		.amdhsa_float_round_mode_32 0
		.amdhsa_float_round_mode_16_64 0
		.amdhsa_float_denorm_mode_32 3
		.amdhsa_float_denorm_mode_16_64 3
		.amdhsa_dx10_clamp 1
		.amdhsa_ieee_mode 1
		.amdhsa_fp16_overflow 0
		.amdhsa_workgroup_processor_mode 1
		.amdhsa_memory_ordered 1
		.amdhsa_forward_progress 1
		.amdhsa_shared_vgpr_count 0
		.amdhsa_exception_fp_ieee_invalid_op 0
		.amdhsa_exception_fp_denorm_src 0
		.amdhsa_exception_fp_ieee_div_zero 0
		.amdhsa_exception_fp_ieee_overflow 0
		.amdhsa_exception_fp_ieee_underflow 0
		.amdhsa_exception_fp_ieee_inexact 0
		.amdhsa_exception_int_div_zero 0
	.end_amdhsa_kernel
	.section	.text._ZN7rocprim17ROCPRIM_400000_NS6detail17trampoline_kernelINS0_14default_configENS1_36segmented_radix_sort_config_selectorIdlEEZNS1_25segmented_radix_sort_implIS3_Lb0EPKdPdPKlPlN2at6native12_GLOBAL__N_18offset_tEEE10hipError_tPvRmT1_PNSt15iterator_traitsISK_E10value_typeET2_T3_PNSL_ISQ_E10value_typeET4_jRbjT5_SW_jjP12ihipStream_tbEUlT_E2_NS1_11comp_targetILNS1_3genE0ELNS1_11target_archE4294967295ELNS1_3gpuE0ELNS1_3repE0EEENS1_30default_config_static_selectorELNS0_4arch9wavefront6targetE0EEEvSK_,"axG",@progbits,_ZN7rocprim17ROCPRIM_400000_NS6detail17trampoline_kernelINS0_14default_configENS1_36segmented_radix_sort_config_selectorIdlEEZNS1_25segmented_radix_sort_implIS3_Lb0EPKdPdPKlPlN2at6native12_GLOBAL__N_18offset_tEEE10hipError_tPvRmT1_PNSt15iterator_traitsISK_E10value_typeET2_T3_PNSL_ISQ_E10value_typeET4_jRbjT5_SW_jjP12ihipStream_tbEUlT_E2_NS1_11comp_targetILNS1_3genE0ELNS1_11target_archE4294967295ELNS1_3gpuE0ELNS1_3repE0EEENS1_30default_config_static_selectorELNS0_4arch9wavefront6targetE0EEEvSK_,comdat
.Lfunc_end1243:
	.size	_ZN7rocprim17ROCPRIM_400000_NS6detail17trampoline_kernelINS0_14default_configENS1_36segmented_radix_sort_config_selectorIdlEEZNS1_25segmented_radix_sort_implIS3_Lb0EPKdPdPKlPlN2at6native12_GLOBAL__N_18offset_tEEE10hipError_tPvRmT1_PNSt15iterator_traitsISK_E10value_typeET2_T3_PNSL_ISQ_E10value_typeET4_jRbjT5_SW_jjP12ihipStream_tbEUlT_E2_NS1_11comp_targetILNS1_3genE0ELNS1_11target_archE4294967295ELNS1_3gpuE0ELNS1_3repE0EEENS1_30default_config_static_selectorELNS0_4arch9wavefront6targetE0EEEvSK_, .Lfunc_end1243-_ZN7rocprim17ROCPRIM_400000_NS6detail17trampoline_kernelINS0_14default_configENS1_36segmented_radix_sort_config_selectorIdlEEZNS1_25segmented_radix_sort_implIS3_Lb0EPKdPdPKlPlN2at6native12_GLOBAL__N_18offset_tEEE10hipError_tPvRmT1_PNSt15iterator_traitsISK_E10value_typeET2_T3_PNSL_ISQ_E10value_typeET4_jRbjT5_SW_jjP12ihipStream_tbEUlT_E2_NS1_11comp_targetILNS1_3genE0ELNS1_11target_archE4294967295ELNS1_3gpuE0ELNS1_3repE0EEENS1_30default_config_static_selectorELNS0_4arch9wavefront6targetE0EEEvSK_
                                        ; -- End function
	.set _ZN7rocprim17ROCPRIM_400000_NS6detail17trampoline_kernelINS0_14default_configENS1_36segmented_radix_sort_config_selectorIdlEEZNS1_25segmented_radix_sort_implIS3_Lb0EPKdPdPKlPlN2at6native12_GLOBAL__N_18offset_tEEE10hipError_tPvRmT1_PNSt15iterator_traitsISK_E10value_typeET2_T3_PNSL_ISQ_E10value_typeET4_jRbjT5_SW_jjP12ihipStream_tbEUlT_E2_NS1_11comp_targetILNS1_3genE0ELNS1_11target_archE4294967295ELNS1_3gpuE0ELNS1_3repE0EEENS1_30default_config_static_selectorELNS0_4arch9wavefront6targetE0EEEvSK_.num_vgpr, 0
	.set _ZN7rocprim17ROCPRIM_400000_NS6detail17trampoline_kernelINS0_14default_configENS1_36segmented_radix_sort_config_selectorIdlEEZNS1_25segmented_radix_sort_implIS3_Lb0EPKdPdPKlPlN2at6native12_GLOBAL__N_18offset_tEEE10hipError_tPvRmT1_PNSt15iterator_traitsISK_E10value_typeET2_T3_PNSL_ISQ_E10value_typeET4_jRbjT5_SW_jjP12ihipStream_tbEUlT_E2_NS1_11comp_targetILNS1_3genE0ELNS1_11target_archE4294967295ELNS1_3gpuE0ELNS1_3repE0EEENS1_30default_config_static_selectorELNS0_4arch9wavefront6targetE0EEEvSK_.num_agpr, 0
	.set _ZN7rocprim17ROCPRIM_400000_NS6detail17trampoline_kernelINS0_14default_configENS1_36segmented_radix_sort_config_selectorIdlEEZNS1_25segmented_radix_sort_implIS3_Lb0EPKdPdPKlPlN2at6native12_GLOBAL__N_18offset_tEEE10hipError_tPvRmT1_PNSt15iterator_traitsISK_E10value_typeET2_T3_PNSL_ISQ_E10value_typeET4_jRbjT5_SW_jjP12ihipStream_tbEUlT_E2_NS1_11comp_targetILNS1_3genE0ELNS1_11target_archE4294967295ELNS1_3gpuE0ELNS1_3repE0EEENS1_30default_config_static_selectorELNS0_4arch9wavefront6targetE0EEEvSK_.numbered_sgpr, 0
	.set _ZN7rocprim17ROCPRIM_400000_NS6detail17trampoline_kernelINS0_14default_configENS1_36segmented_radix_sort_config_selectorIdlEEZNS1_25segmented_radix_sort_implIS3_Lb0EPKdPdPKlPlN2at6native12_GLOBAL__N_18offset_tEEE10hipError_tPvRmT1_PNSt15iterator_traitsISK_E10value_typeET2_T3_PNSL_ISQ_E10value_typeET4_jRbjT5_SW_jjP12ihipStream_tbEUlT_E2_NS1_11comp_targetILNS1_3genE0ELNS1_11target_archE4294967295ELNS1_3gpuE0ELNS1_3repE0EEENS1_30default_config_static_selectorELNS0_4arch9wavefront6targetE0EEEvSK_.num_named_barrier, 0
	.set _ZN7rocprim17ROCPRIM_400000_NS6detail17trampoline_kernelINS0_14default_configENS1_36segmented_radix_sort_config_selectorIdlEEZNS1_25segmented_radix_sort_implIS3_Lb0EPKdPdPKlPlN2at6native12_GLOBAL__N_18offset_tEEE10hipError_tPvRmT1_PNSt15iterator_traitsISK_E10value_typeET2_T3_PNSL_ISQ_E10value_typeET4_jRbjT5_SW_jjP12ihipStream_tbEUlT_E2_NS1_11comp_targetILNS1_3genE0ELNS1_11target_archE4294967295ELNS1_3gpuE0ELNS1_3repE0EEENS1_30default_config_static_selectorELNS0_4arch9wavefront6targetE0EEEvSK_.private_seg_size, 0
	.set _ZN7rocprim17ROCPRIM_400000_NS6detail17trampoline_kernelINS0_14default_configENS1_36segmented_radix_sort_config_selectorIdlEEZNS1_25segmented_radix_sort_implIS3_Lb0EPKdPdPKlPlN2at6native12_GLOBAL__N_18offset_tEEE10hipError_tPvRmT1_PNSt15iterator_traitsISK_E10value_typeET2_T3_PNSL_ISQ_E10value_typeET4_jRbjT5_SW_jjP12ihipStream_tbEUlT_E2_NS1_11comp_targetILNS1_3genE0ELNS1_11target_archE4294967295ELNS1_3gpuE0ELNS1_3repE0EEENS1_30default_config_static_selectorELNS0_4arch9wavefront6targetE0EEEvSK_.uses_vcc, 0
	.set _ZN7rocprim17ROCPRIM_400000_NS6detail17trampoline_kernelINS0_14default_configENS1_36segmented_radix_sort_config_selectorIdlEEZNS1_25segmented_radix_sort_implIS3_Lb0EPKdPdPKlPlN2at6native12_GLOBAL__N_18offset_tEEE10hipError_tPvRmT1_PNSt15iterator_traitsISK_E10value_typeET2_T3_PNSL_ISQ_E10value_typeET4_jRbjT5_SW_jjP12ihipStream_tbEUlT_E2_NS1_11comp_targetILNS1_3genE0ELNS1_11target_archE4294967295ELNS1_3gpuE0ELNS1_3repE0EEENS1_30default_config_static_selectorELNS0_4arch9wavefront6targetE0EEEvSK_.uses_flat_scratch, 0
	.set _ZN7rocprim17ROCPRIM_400000_NS6detail17trampoline_kernelINS0_14default_configENS1_36segmented_radix_sort_config_selectorIdlEEZNS1_25segmented_radix_sort_implIS3_Lb0EPKdPdPKlPlN2at6native12_GLOBAL__N_18offset_tEEE10hipError_tPvRmT1_PNSt15iterator_traitsISK_E10value_typeET2_T3_PNSL_ISQ_E10value_typeET4_jRbjT5_SW_jjP12ihipStream_tbEUlT_E2_NS1_11comp_targetILNS1_3genE0ELNS1_11target_archE4294967295ELNS1_3gpuE0ELNS1_3repE0EEENS1_30default_config_static_selectorELNS0_4arch9wavefront6targetE0EEEvSK_.has_dyn_sized_stack, 0
	.set _ZN7rocprim17ROCPRIM_400000_NS6detail17trampoline_kernelINS0_14default_configENS1_36segmented_radix_sort_config_selectorIdlEEZNS1_25segmented_radix_sort_implIS3_Lb0EPKdPdPKlPlN2at6native12_GLOBAL__N_18offset_tEEE10hipError_tPvRmT1_PNSt15iterator_traitsISK_E10value_typeET2_T3_PNSL_ISQ_E10value_typeET4_jRbjT5_SW_jjP12ihipStream_tbEUlT_E2_NS1_11comp_targetILNS1_3genE0ELNS1_11target_archE4294967295ELNS1_3gpuE0ELNS1_3repE0EEENS1_30default_config_static_selectorELNS0_4arch9wavefront6targetE0EEEvSK_.has_recursion, 0
	.set _ZN7rocprim17ROCPRIM_400000_NS6detail17trampoline_kernelINS0_14default_configENS1_36segmented_radix_sort_config_selectorIdlEEZNS1_25segmented_radix_sort_implIS3_Lb0EPKdPdPKlPlN2at6native12_GLOBAL__N_18offset_tEEE10hipError_tPvRmT1_PNSt15iterator_traitsISK_E10value_typeET2_T3_PNSL_ISQ_E10value_typeET4_jRbjT5_SW_jjP12ihipStream_tbEUlT_E2_NS1_11comp_targetILNS1_3genE0ELNS1_11target_archE4294967295ELNS1_3gpuE0ELNS1_3repE0EEENS1_30default_config_static_selectorELNS0_4arch9wavefront6targetE0EEEvSK_.has_indirect_call, 0
	.section	.AMDGPU.csdata,"",@progbits
; Kernel info:
; codeLenInByte = 0
; TotalNumSgprs: 0
; NumVgprs: 0
; ScratchSize: 0
; MemoryBound: 0
; FloatMode: 240
; IeeeMode: 1
; LDSByteSize: 0 bytes/workgroup (compile time only)
; SGPRBlocks: 0
; VGPRBlocks: 0
; NumSGPRsForWavesPerEU: 1
; NumVGPRsForWavesPerEU: 1
; Occupancy: 16
; WaveLimiterHint : 0
; COMPUTE_PGM_RSRC2:SCRATCH_EN: 0
; COMPUTE_PGM_RSRC2:USER_SGPR: 6
; COMPUTE_PGM_RSRC2:TRAP_HANDLER: 0
; COMPUTE_PGM_RSRC2:TGID_X_EN: 1
; COMPUTE_PGM_RSRC2:TGID_Y_EN: 0
; COMPUTE_PGM_RSRC2:TGID_Z_EN: 0
; COMPUTE_PGM_RSRC2:TIDIG_COMP_CNT: 0
	.section	.text._ZN7rocprim17ROCPRIM_400000_NS6detail17trampoline_kernelINS0_14default_configENS1_36segmented_radix_sort_config_selectorIdlEEZNS1_25segmented_radix_sort_implIS3_Lb0EPKdPdPKlPlN2at6native12_GLOBAL__N_18offset_tEEE10hipError_tPvRmT1_PNSt15iterator_traitsISK_E10value_typeET2_T3_PNSL_ISQ_E10value_typeET4_jRbjT5_SW_jjP12ihipStream_tbEUlT_E2_NS1_11comp_targetILNS1_3genE5ELNS1_11target_archE942ELNS1_3gpuE9ELNS1_3repE0EEENS1_30default_config_static_selectorELNS0_4arch9wavefront6targetE0EEEvSK_,"axG",@progbits,_ZN7rocprim17ROCPRIM_400000_NS6detail17trampoline_kernelINS0_14default_configENS1_36segmented_radix_sort_config_selectorIdlEEZNS1_25segmented_radix_sort_implIS3_Lb0EPKdPdPKlPlN2at6native12_GLOBAL__N_18offset_tEEE10hipError_tPvRmT1_PNSt15iterator_traitsISK_E10value_typeET2_T3_PNSL_ISQ_E10value_typeET4_jRbjT5_SW_jjP12ihipStream_tbEUlT_E2_NS1_11comp_targetILNS1_3genE5ELNS1_11target_archE942ELNS1_3gpuE9ELNS1_3repE0EEENS1_30default_config_static_selectorELNS0_4arch9wavefront6targetE0EEEvSK_,comdat
	.globl	_ZN7rocprim17ROCPRIM_400000_NS6detail17trampoline_kernelINS0_14default_configENS1_36segmented_radix_sort_config_selectorIdlEEZNS1_25segmented_radix_sort_implIS3_Lb0EPKdPdPKlPlN2at6native12_GLOBAL__N_18offset_tEEE10hipError_tPvRmT1_PNSt15iterator_traitsISK_E10value_typeET2_T3_PNSL_ISQ_E10value_typeET4_jRbjT5_SW_jjP12ihipStream_tbEUlT_E2_NS1_11comp_targetILNS1_3genE5ELNS1_11target_archE942ELNS1_3gpuE9ELNS1_3repE0EEENS1_30default_config_static_selectorELNS0_4arch9wavefront6targetE0EEEvSK_ ; -- Begin function _ZN7rocprim17ROCPRIM_400000_NS6detail17trampoline_kernelINS0_14default_configENS1_36segmented_radix_sort_config_selectorIdlEEZNS1_25segmented_radix_sort_implIS3_Lb0EPKdPdPKlPlN2at6native12_GLOBAL__N_18offset_tEEE10hipError_tPvRmT1_PNSt15iterator_traitsISK_E10value_typeET2_T3_PNSL_ISQ_E10value_typeET4_jRbjT5_SW_jjP12ihipStream_tbEUlT_E2_NS1_11comp_targetILNS1_3genE5ELNS1_11target_archE942ELNS1_3gpuE9ELNS1_3repE0EEENS1_30default_config_static_selectorELNS0_4arch9wavefront6targetE0EEEvSK_
	.p2align	8
	.type	_ZN7rocprim17ROCPRIM_400000_NS6detail17trampoline_kernelINS0_14default_configENS1_36segmented_radix_sort_config_selectorIdlEEZNS1_25segmented_radix_sort_implIS3_Lb0EPKdPdPKlPlN2at6native12_GLOBAL__N_18offset_tEEE10hipError_tPvRmT1_PNSt15iterator_traitsISK_E10value_typeET2_T3_PNSL_ISQ_E10value_typeET4_jRbjT5_SW_jjP12ihipStream_tbEUlT_E2_NS1_11comp_targetILNS1_3genE5ELNS1_11target_archE942ELNS1_3gpuE9ELNS1_3repE0EEENS1_30default_config_static_selectorELNS0_4arch9wavefront6targetE0EEEvSK_,@function
_ZN7rocprim17ROCPRIM_400000_NS6detail17trampoline_kernelINS0_14default_configENS1_36segmented_radix_sort_config_selectorIdlEEZNS1_25segmented_radix_sort_implIS3_Lb0EPKdPdPKlPlN2at6native12_GLOBAL__N_18offset_tEEE10hipError_tPvRmT1_PNSt15iterator_traitsISK_E10value_typeET2_T3_PNSL_ISQ_E10value_typeET4_jRbjT5_SW_jjP12ihipStream_tbEUlT_E2_NS1_11comp_targetILNS1_3genE5ELNS1_11target_archE942ELNS1_3gpuE9ELNS1_3repE0EEENS1_30default_config_static_selectorELNS0_4arch9wavefront6targetE0EEEvSK_: ; @_ZN7rocprim17ROCPRIM_400000_NS6detail17trampoline_kernelINS0_14default_configENS1_36segmented_radix_sort_config_selectorIdlEEZNS1_25segmented_radix_sort_implIS3_Lb0EPKdPdPKlPlN2at6native12_GLOBAL__N_18offset_tEEE10hipError_tPvRmT1_PNSt15iterator_traitsISK_E10value_typeET2_T3_PNSL_ISQ_E10value_typeET4_jRbjT5_SW_jjP12ihipStream_tbEUlT_E2_NS1_11comp_targetILNS1_3genE5ELNS1_11target_archE942ELNS1_3gpuE9ELNS1_3repE0EEENS1_30default_config_static_selectorELNS0_4arch9wavefront6targetE0EEEvSK_
; %bb.0:
	.section	.rodata,"a",@progbits
	.p2align	6, 0x0
	.amdhsa_kernel _ZN7rocprim17ROCPRIM_400000_NS6detail17trampoline_kernelINS0_14default_configENS1_36segmented_radix_sort_config_selectorIdlEEZNS1_25segmented_radix_sort_implIS3_Lb0EPKdPdPKlPlN2at6native12_GLOBAL__N_18offset_tEEE10hipError_tPvRmT1_PNSt15iterator_traitsISK_E10value_typeET2_T3_PNSL_ISQ_E10value_typeET4_jRbjT5_SW_jjP12ihipStream_tbEUlT_E2_NS1_11comp_targetILNS1_3genE5ELNS1_11target_archE942ELNS1_3gpuE9ELNS1_3repE0EEENS1_30default_config_static_selectorELNS0_4arch9wavefront6targetE0EEEvSK_
		.amdhsa_group_segment_fixed_size 0
		.amdhsa_private_segment_fixed_size 0
		.amdhsa_kernarg_size 80
		.amdhsa_user_sgpr_count 6
		.amdhsa_user_sgpr_private_segment_buffer 1
		.amdhsa_user_sgpr_dispatch_ptr 0
		.amdhsa_user_sgpr_queue_ptr 0
		.amdhsa_user_sgpr_kernarg_segment_ptr 1
		.amdhsa_user_sgpr_dispatch_id 0
		.amdhsa_user_sgpr_flat_scratch_init 0
		.amdhsa_user_sgpr_private_segment_size 0
		.amdhsa_wavefront_size32 1
		.amdhsa_uses_dynamic_stack 0
		.amdhsa_system_sgpr_private_segment_wavefront_offset 0
		.amdhsa_system_sgpr_workgroup_id_x 1
		.amdhsa_system_sgpr_workgroup_id_y 0
		.amdhsa_system_sgpr_workgroup_id_z 0
		.amdhsa_system_sgpr_workgroup_info 0
		.amdhsa_system_vgpr_workitem_id 0
		.amdhsa_next_free_vgpr 1
		.amdhsa_next_free_sgpr 1
		.amdhsa_reserve_vcc 0
		.amdhsa_reserve_flat_scratch 0
		.amdhsa_float_round_mode_32 0
		.amdhsa_float_round_mode_16_64 0
		.amdhsa_float_denorm_mode_32 3
		.amdhsa_float_denorm_mode_16_64 3
		.amdhsa_dx10_clamp 1
		.amdhsa_ieee_mode 1
		.amdhsa_fp16_overflow 0
		.amdhsa_workgroup_processor_mode 1
		.amdhsa_memory_ordered 1
		.amdhsa_forward_progress 1
		.amdhsa_shared_vgpr_count 0
		.amdhsa_exception_fp_ieee_invalid_op 0
		.amdhsa_exception_fp_denorm_src 0
		.amdhsa_exception_fp_ieee_div_zero 0
		.amdhsa_exception_fp_ieee_overflow 0
		.amdhsa_exception_fp_ieee_underflow 0
		.amdhsa_exception_fp_ieee_inexact 0
		.amdhsa_exception_int_div_zero 0
	.end_amdhsa_kernel
	.section	.text._ZN7rocprim17ROCPRIM_400000_NS6detail17trampoline_kernelINS0_14default_configENS1_36segmented_radix_sort_config_selectorIdlEEZNS1_25segmented_radix_sort_implIS3_Lb0EPKdPdPKlPlN2at6native12_GLOBAL__N_18offset_tEEE10hipError_tPvRmT1_PNSt15iterator_traitsISK_E10value_typeET2_T3_PNSL_ISQ_E10value_typeET4_jRbjT5_SW_jjP12ihipStream_tbEUlT_E2_NS1_11comp_targetILNS1_3genE5ELNS1_11target_archE942ELNS1_3gpuE9ELNS1_3repE0EEENS1_30default_config_static_selectorELNS0_4arch9wavefront6targetE0EEEvSK_,"axG",@progbits,_ZN7rocprim17ROCPRIM_400000_NS6detail17trampoline_kernelINS0_14default_configENS1_36segmented_radix_sort_config_selectorIdlEEZNS1_25segmented_radix_sort_implIS3_Lb0EPKdPdPKlPlN2at6native12_GLOBAL__N_18offset_tEEE10hipError_tPvRmT1_PNSt15iterator_traitsISK_E10value_typeET2_T3_PNSL_ISQ_E10value_typeET4_jRbjT5_SW_jjP12ihipStream_tbEUlT_E2_NS1_11comp_targetILNS1_3genE5ELNS1_11target_archE942ELNS1_3gpuE9ELNS1_3repE0EEENS1_30default_config_static_selectorELNS0_4arch9wavefront6targetE0EEEvSK_,comdat
.Lfunc_end1244:
	.size	_ZN7rocprim17ROCPRIM_400000_NS6detail17trampoline_kernelINS0_14default_configENS1_36segmented_radix_sort_config_selectorIdlEEZNS1_25segmented_radix_sort_implIS3_Lb0EPKdPdPKlPlN2at6native12_GLOBAL__N_18offset_tEEE10hipError_tPvRmT1_PNSt15iterator_traitsISK_E10value_typeET2_T3_PNSL_ISQ_E10value_typeET4_jRbjT5_SW_jjP12ihipStream_tbEUlT_E2_NS1_11comp_targetILNS1_3genE5ELNS1_11target_archE942ELNS1_3gpuE9ELNS1_3repE0EEENS1_30default_config_static_selectorELNS0_4arch9wavefront6targetE0EEEvSK_, .Lfunc_end1244-_ZN7rocprim17ROCPRIM_400000_NS6detail17trampoline_kernelINS0_14default_configENS1_36segmented_radix_sort_config_selectorIdlEEZNS1_25segmented_radix_sort_implIS3_Lb0EPKdPdPKlPlN2at6native12_GLOBAL__N_18offset_tEEE10hipError_tPvRmT1_PNSt15iterator_traitsISK_E10value_typeET2_T3_PNSL_ISQ_E10value_typeET4_jRbjT5_SW_jjP12ihipStream_tbEUlT_E2_NS1_11comp_targetILNS1_3genE5ELNS1_11target_archE942ELNS1_3gpuE9ELNS1_3repE0EEENS1_30default_config_static_selectorELNS0_4arch9wavefront6targetE0EEEvSK_
                                        ; -- End function
	.set _ZN7rocprim17ROCPRIM_400000_NS6detail17trampoline_kernelINS0_14default_configENS1_36segmented_radix_sort_config_selectorIdlEEZNS1_25segmented_radix_sort_implIS3_Lb0EPKdPdPKlPlN2at6native12_GLOBAL__N_18offset_tEEE10hipError_tPvRmT1_PNSt15iterator_traitsISK_E10value_typeET2_T3_PNSL_ISQ_E10value_typeET4_jRbjT5_SW_jjP12ihipStream_tbEUlT_E2_NS1_11comp_targetILNS1_3genE5ELNS1_11target_archE942ELNS1_3gpuE9ELNS1_3repE0EEENS1_30default_config_static_selectorELNS0_4arch9wavefront6targetE0EEEvSK_.num_vgpr, 0
	.set _ZN7rocprim17ROCPRIM_400000_NS6detail17trampoline_kernelINS0_14default_configENS1_36segmented_radix_sort_config_selectorIdlEEZNS1_25segmented_radix_sort_implIS3_Lb0EPKdPdPKlPlN2at6native12_GLOBAL__N_18offset_tEEE10hipError_tPvRmT1_PNSt15iterator_traitsISK_E10value_typeET2_T3_PNSL_ISQ_E10value_typeET4_jRbjT5_SW_jjP12ihipStream_tbEUlT_E2_NS1_11comp_targetILNS1_3genE5ELNS1_11target_archE942ELNS1_3gpuE9ELNS1_3repE0EEENS1_30default_config_static_selectorELNS0_4arch9wavefront6targetE0EEEvSK_.num_agpr, 0
	.set _ZN7rocprim17ROCPRIM_400000_NS6detail17trampoline_kernelINS0_14default_configENS1_36segmented_radix_sort_config_selectorIdlEEZNS1_25segmented_radix_sort_implIS3_Lb0EPKdPdPKlPlN2at6native12_GLOBAL__N_18offset_tEEE10hipError_tPvRmT1_PNSt15iterator_traitsISK_E10value_typeET2_T3_PNSL_ISQ_E10value_typeET4_jRbjT5_SW_jjP12ihipStream_tbEUlT_E2_NS1_11comp_targetILNS1_3genE5ELNS1_11target_archE942ELNS1_3gpuE9ELNS1_3repE0EEENS1_30default_config_static_selectorELNS0_4arch9wavefront6targetE0EEEvSK_.numbered_sgpr, 0
	.set _ZN7rocprim17ROCPRIM_400000_NS6detail17trampoline_kernelINS0_14default_configENS1_36segmented_radix_sort_config_selectorIdlEEZNS1_25segmented_radix_sort_implIS3_Lb0EPKdPdPKlPlN2at6native12_GLOBAL__N_18offset_tEEE10hipError_tPvRmT1_PNSt15iterator_traitsISK_E10value_typeET2_T3_PNSL_ISQ_E10value_typeET4_jRbjT5_SW_jjP12ihipStream_tbEUlT_E2_NS1_11comp_targetILNS1_3genE5ELNS1_11target_archE942ELNS1_3gpuE9ELNS1_3repE0EEENS1_30default_config_static_selectorELNS0_4arch9wavefront6targetE0EEEvSK_.num_named_barrier, 0
	.set _ZN7rocprim17ROCPRIM_400000_NS6detail17trampoline_kernelINS0_14default_configENS1_36segmented_radix_sort_config_selectorIdlEEZNS1_25segmented_radix_sort_implIS3_Lb0EPKdPdPKlPlN2at6native12_GLOBAL__N_18offset_tEEE10hipError_tPvRmT1_PNSt15iterator_traitsISK_E10value_typeET2_T3_PNSL_ISQ_E10value_typeET4_jRbjT5_SW_jjP12ihipStream_tbEUlT_E2_NS1_11comp_targetILNS1_3genE5ELNS1_11target_archE942ELNS1_3gpuE9ELNS1_3repE0EEENS1_30default_config_static_selectorELNS0_4arch9wavefront6targetE0EEEvSK_.private_seg_size, 0
	.set _ZN7rocprim17ROCPRIM_400000_NS6detail17trampoline_kernelINS0_14default_configENS1_36segmented_radix_sort_config_selectorIdlEEZNS1_25segmented_radix_sort_implIS3_Lb0EPKdPdPKlPlN2at6native12_GLOBAL__N_18offset_tEEE10hipError_tPvRmT1_PNSt15iterator_traitsISK_E10value_typeET2_T3_PNSL_ISQ_E10value_typeET4_jRbjT5_SW_jjP12ihipStream_tbEUlT_E2_NS1_11comp_targetILNS1_3genE5ELNS1_11target_archE942ELNS1_3gpuE9ELNS1_3repE0EEENS1_30default_config_static_selectorELNS0_4arch9wavefront6targetE0EEEvSK_.uses_vcc, 0
	.set _ZN7rocprim17ROCPRIM_400000_NS6detail17trampoline_kernelINS0_14default_configENS1_36segmented_radix_sort_config_selectorIdlEEZNS1_25segmented_radix_sort_implIS3_Lb0EPKdPdPKlPlN2at6native12_GLOBAL__N_18offset_tEEE10hipError_tPvRmT1_PNSt15iterator_traitsISK_E10value_typeET2_T3_PNSL_ISQ_E10value_typeET4_jRbjT5_SW_jjP12ihipStream_tbEUlT_E2_NS1_11comp_targetILNS1_3genE5ELNS1_11target_archE942ELNS1_3gpuE9ELNS1_3repE0EEENS1_30default_config_static_selectorELNS0_4arch9wavefront6targetE0EEEvSK_.uses_flat_scratch, 0
	.set _ZN7rocprim17ROCPRIM_400000_NS6detail17trampoline_kernelINS0_14default_configENS1_36segmented_radix_sort_config_selectorIdlEEZNS1_25segmented_radix_sort_implIS3_Lb0EPKdPdPKlPlN2at6native12_GLOBAL__N_18offset_tEEE10hipError_tPvRmT1_PNSt15iterator_traitsISK_E10value_typeET2_T3_PNSL_ISQ_E10value_typeET4_jRbjT5_SW_jjP12ihipStream_tbEUlT_E2_NS1_11comp_targetILNS1_3genE5ELNS1_11target_archE942ELNS1_3gpuE9ELNS1_3repE0EEENS1_30default_config_static_selectorELNS0_4arch9wavefront6targetE0EEEvSK_.has_dyn_sized_stack, 0
	.set _ZN7rocprim17ROCPRIM_400000_NS6detail17trampoline_kernelINS0_14default_configENS1_36segmented_radix_sort_config_selectorIdlEEZNS1_25segmented_radix_sort_implIS3_Lb0EPKdPdPKlPlN2at6native12_GLOBAL__N_18offset_tEEE10hipError_tPvRmT1_PNSt15iterator_traitsISK_E10value_typeET2_T3_PNSL_ISQ_E10value_typeET4_jRbjT5_SW_jjP12ihipStream_tbEUlT_E2_NS1_11comp_targetILNS1_3genE5ELNS1_11target_archE942ELNS1_3gpuE9ELNS1_3repE0EEENS1_30default_config_static_selectorELNS0_4arch9wavefront6targetE0EEEvSK_.has_recursion, 0
	.set _ZN7rocprim17ROCPRIM_400000_NS6detail17trampoline_kernelINS0_14default_configENS1_36segmented_radix_sort_config_selectorIdlEEZNS1_25segmented_radix_sort_implIS3_Lb0EPKdPdPKlPlN2at6native12_GLOBAL__N_18offset_tEEE10hipError_tPvRmT1_PNSt15iterator_traitsISK_E10value_typeET2_T3_PNSL_ISQ_E10value_typeET4_jRbjT5_SW_jjP12ihipStream_tbEUlT_E2_NS1_11comp_targetILNS1_3genE5ELNS1_11target_archE942ELNS1_3gpuE9ELNS1_3repE0EEENS1_30default_config_static_selectorELNS0_4arch9wavefront6targetE0EEEvSK_.has_indirect_call, 0
	.section	.AMDGPU.csdata,"",@progbits
; Kernel info:
; codeLenInByte = 0
; TotalNumSgprs: 0
; NumVgprs: 0
; ScratchSize: 0
; MemoryBound: 0
; FloatMode: 240
; IeeeMode: 1
; LDSByteSize: 0 bytes/workgroup (compile time only)
; SGPRBlocks: 0
; VGPRBlocks: 0
; NumSGPRsForWavesPerEU: 1
; NumVGPRsForWavesPerEU: 1
; Occupancy: 16
; WaveLimiterHint : 0
; COMPUTE_PGM_RSRC2:SCRATCH_EN: 0
; COMPUTE_PGM_RSRC2:USER_SGPR: 6
; COMPUTE_PGM_RSRC2:TRAP_HANDLER: 0
; COMPUTE_PGM_RSRC2:TGID_X_EN: 1
; COMPUTE_PGM_RSRC2:TGID_Y_EN: 0
; COMPUTE_PGM_RSRC2:TGID_Z_EN: 0
; COMPUTE_PGM_RSRC2:TIDIG_COMP_CNT: 0
	.section	.text._ZN7rocprim17ROCPRIM_400000_NS6detail17trampoline_kernelINS0_14default_configENS1_36segmented_radix_sort_config_selectorIdlEEZNS1_25segmented_radix_sort_implIS3_Lb0EPKdPdPKlPlN2at6native12_GLOBAL__N_18offset_tEEE10hipError_tPvRmT1_PNSt15iterator_traitsISK_E10value_typeET2_T3_PNSL_ISQ_E10value_typeET4_jRbjT5_SW_jjP12ihipStream_tbEUlT_E2_NS1_11comp_targetILNS1_3genE4ELNS1_11target_archE910ELNS1_3gpuE8ELNS1_3repE0EEENS1_30default_config_static_selectorELNS0_4arch9wavefront6targetE0EEEvSK_,"axG",@progbits,_ZN7rocprim17ROCPRIM_400000_NS6detail17trampoline_kernelINS0_14default_configENS1_36segmented_radix_sort_config_selectorIdlEEZNS1_25segmented_radix_sort_implIS3_Lb0EPKdPdPKlPlN2at6native12_GLOBAL__N_18offset_tEEE10hipError_tPvRmT1_PNSt15iterator_traitsISK_E10value_typeET2_T3_PNSL_ISQ_E10value_typeET4_jRbjT5_SW_jjP12ihipStream_tbEUlT_E2_NS1_11comp_targetILNS1_3genE4ELNS1_11target_archE910ELNS1_3gpuE8ELNS1_3repE0EEENS1_30default_config_static_selectorELNS0_4arch9wavefront6targetE0EEEvSK_,comdat
	.globl	_ZN7rocprim17ROCPRIM_400000_NS6detail17trampoline_kernelINS0_14default_configENS1_36segmented_radix_sort_config_selectorIdlEEZNS1_25segmented_radix_sort_implIS3_Lb0EPKdPdPKlPlN2at6native12_GLOBAL__N_18offset_tEEE10hipError_tPvRmT1_PNSt15iterator_traitsISK_E10value_typeET2_T3_PNSL_ISQ_E10value_typeET4_jRbjT5_SW_jjP12ihipStream_tbEUlT_E2_NS1_11comp_targetILNS1_3genE4ELNS1_11target_archE910ELNS1_3gpuE8ELNS1_3repE0EEENS1_30default_config_static_selectorELNS0_4arch9wavefront6targetE0EEEvSK_ ; -- Begin function _ZN7rocprim17ROCPRIM_400000_NS6detail17trampoline_kernelINS0_14default_configENS1_36segmented_radix_sort_config_selectorIdlEEZNS1_25segmented_radix_sort_implIS3_Lb0EPKdPdPKlPlN2at6native12_GLOBAL__N_18offset_tEEE10hipError_tPvRmT1_PNSt15iterator_traitsISK_E10value_typeET2_T3_PNSL_ISQ_E10value_typeET4_jRbjT5_SW_jjP12ihipStream_tbEUlT_E2_NS1_11comp_targetILNS1_3genE4ELNS1_11target_archE910ELNS1_3gpuE8ELNS1_3repE0EEENS1_30default_config_static_selectorELNS0_4arch9wavefront6targetE0EEEvSK_
	.p2align	8
	.type	_ZN7rocprim17ROCPRIM_400000_NS6detail17trampoline_kernelINS0_14default_configENS1_36segmented_radix_sort_config_selectorIdlEEZNS1_25segmented_radix_sort_implIS3_Lb0EPKdPdPKlPlN2at6native12_GLOBAL__N_18offset_tEEE10hipError_tPvRmT1_PNSt15iterator_traitsISK_E10value_typeET2_T3_PNSL_ISQ_E10value_typeET4_jRbjT5_SW_jjP12ihipStream_tbEUlT_E2_NS1_11comp_targetILNS1_3genE4ELNS1_11target_archE910ELNS1_3gpuE8ELNS1_3repE0EEENS1_30default_config_static_selectorELNS0_4arch9wavefront6targetE0EEEvSK_,@function
_ZN7rocprim17ROCPRIM_400000_NS6detail17trampoline_kernelINS0_14default_configENS1_36segmented_radix_sort_config_selectorIdlEEZNS1_25segmented_radix_sort_implIS3_Lb0EPKdPdPKlPlN2at6native12_GLOBAL__N_18offset_tEEE10hipError_tPvRmT1_PNSt15iterator_traitsISK_E10value_typeET2_T3_PNSL_ISQ_E10value_typeET4_jRbjT5_SW_jjP12ihipStream_tbEUlT_E2_NS1_11comp_targetILNS1_3genE4ELNS1_11target_archE910ELNS1_3gpuE8ELNS1_3repE0EEENS1_30default_config_static_selectorELNS0_4arch9wavefront6targetE0EEEvSK_: ; @_ZN7rocprim17ROCPRIM_400000_NS6detail17trampoline_kernelINS0_14default_configENS1_36segmented_radix_sort_config_selectorIdlEEZNS1_25segmented_radix_sort_implIS3_Lb0EPKdPdPKlPlN2at6native12_GLOBAL__N_18offset_tEEE10hipError_tPvRmT1_PNSt15iterator_traitsISK_E10value_typeET2_T3_PNSL_ISQ_E10value_typeET4_jRbjT5_SW_jjP12ihipStream_tbEUlT_E2_NS1_11comp_targetILNS1_3genE4ELNS1_11target_archE910ELNS1_3gpuE8ELNS1_3repE0EEENS1_30default_config_static_selectorELNS0_4arch9wavefront6targetE0EEEvSK_
; %bb.0:
	.section	.rodata,"a",@progbits
	.p2align	6, 0x0
	.amdhsa_kernel _ZN7rocprim17ROCPRIM_400000_NS6detail17trampoline_kernelINS0_14default_configENS1_36segmented_radix_sort_config_selectorIdlEEZNS1_25segmented_radix_sort_implIS3_Lb0EPKdPdPKlPlN2at6native12_GLOBAL__N_18offset_tEEE10hipError_tPvRmT1_PNSt15iterator_traitsISK_E10value_typeET2_T3_PNSL_ISQ_E10value_typeET4_jRbjT5_SW_jjP12ihipStream_tbEUlT_E2_NS1_11comp_targetILNS1_3genE4ELNS1_11target_archE910ELNS1_3gpuE8ELNS1_3repE0EEENS1_30default_config_static_selectorELNS0_4arch9wavefront6targetE0EEEvSK_
		.amdhsa_group_segment_fixed_size 0
		.amdhsa_private_segment_fixed_size 0
		.amdhsa_kernarg_size 80
		.amdhsa_user_sgpr_count 6
		.amdhsa_user_sgpr_private_segment_buffer 1
		.amdhsa_user_sgpr_dispatch_ptr 0
		.amdhsa_user_sgpr_queue_ptr 0
		.amdhsa_user_sgpr_kernarg_segment_ptr 1
		.amdhsa_user_sgpr_dispatch_id 0
		.amdhsa_user_sgpr_flat_scratch_init 0
		.amdhsa_user_sgpr_private_segment_size 0
		.amdhsa_wavefront_size32 1
		.amdhsa_uses_dynamic_stack 0
		.amdhsa_system_sgpr_private_segment_wavefront_offset 0
		.amdhsa_system_sgpr_workgroup_id_x 1
		.amdhsa_system_sgpr_workgroup_id_y 0
		.amdhsa_system_sgpr_workgroup_id_z 0
		.amdhsa_system_sgpr_workgroup_info 0
		.amdhsa_system_vgpr_workitem_id 0
		.amdhsa_next_free_vgpr 1
		.amdhsa_next_free_sgpr 1
		.amdhsa_reserve_vcc 0
		.amdhsa_reserve_flat_scratch 0
		.amdhsa_float_round_mode_32 0
		.amdhsa_float_round_mode_16_64 0
		.amdhsa_float_denorm_mode_32 3
		.amdhsa_float_denorm_mode_16_64 3
		.amdhsa_dx10_clamp 1
		.amdhsa_ieee_mode 1
		.amdhsa_fp16_overflow 0
		.amdhsa_workgroup_processor_mode 1
		.amdhsa_memory_ordered 1
		.amdhsa_forward_progress 1
		.amdhsa_shared_vgpr_count 0
		.amdhsa_exception_fp_ieee_invalid_op 0
		.amdhsa_exception_fp_denorm_src 0
		.amdhsa_exception_fp_ieee_div_zero 0
		.amdhsa_exception_fp_ieee_overflow 0
		.amdhsa_exception_fp_ieee_underflow 0
		.amdhsa_exception_fp_ieee_inexact 0
		.amdhsa_exception_int_div_zero 0
	.end_amdhsa_kernel
	.section	.text._ZN7rocprim17ROCPRIM_400000_NS6detail17trampoline_kernelINS0_14default_configENS1_36segmented_radix_sort_config_selectorIdlEEZNS1_25segmented_radix_sort_implIS3_Lb0EPKdPdPKlPlN2at6native12_GLOBAL__N_18offset_tEEE10hipError_tPvRmT1_PNSt15iterator_traitsISK_E10value_typeET2_T3_PNSL_ISQ_E10value_typeET4_jRbjT5_SW_jjP12ihipStream_tbEUlT_E2_NS1_11comp_targetILNS1_3genE4ELNS1_11target_archE910ELNS1_3gpuE8ELNS1_3repE0EEENS1_30default_config_static_selectorELNS0_4arch9wavefront6targetE0EEEvSK_,"axG",@progbits,_ZN7rocprim17ROCPRIM_400000_NS6detail17trampoline_kernelINS0_14default_configENS1_36segmented_radix_sort_config_selectorIdlEEZNS1_25segmented_radix_sort_implIS3_Lb0EPKdPdPKlPlN2at6native12_GLOBAL__N_18offset_tEEE10hipError_tPvRmT1_PNSt15iterator_traitsISK_E10value_typeET2_T3_PNSL_ISQ_E10value_typeET4_jRbjT5_SW_jjP12ihipStream_tbEUlT_E2_NS1_11comp_targetILNS1_3genE4ELNS1_11target_archE910ELNS1_3gpuE8ELNS1_3repE0EEENS1_30default_config_static_selectorELNS0_4arch9wavefront6targetE0EEEvSK_,comdat
.Lfunc_end1245:
	.size	_ZN7rocprim17ROCPRIM_400000_NS6detail17trampoline_kernelINS0_14default_configENS1_36segmented_radix_sort_config_selectorIdlEEZNS1_25segmented_radix_sort_implIS3_Lb0EPKdPdPKlPlN2at6native12_GLOBAL__N_18offset_tEEE10hipError_tPvRmT1_PNSt15iterator_traitsISK_E10value_typeET2_T3_PNSL_ISQ_E10value_typeET4_jRbjT5_SW_jjP12ihipStream_tbEUlT_E2_NS1_11comp_targetILNS1_3genE4ELNS1_11target_archE910ELNS1_3gpuE8ELNS1_3repE0EEENS1_30default_config_static_selectorELNS0_4arch9wavefront6targetE0EEEvSK_, .Lfunc_end1245-_ZN7rocprim17ROCPRIM_400000_NS6detail17trampoline_kernelINS0_14default_configENS1_36segmented_radix_sort_config_selectorIdlEEZNS1_25segmented_radix_sort_implIS3_Lb0EPKdPdPKlPlN2at6native12_GLOBAL__N_18offset_tEEE10hipError_tPvRmT1_PNSt15iterator_traitsISK_E10value_typeET2_T3_PNSL_ISQ_E10value_typeET4_jRbjT5_SW_jjP12ihipStream_tbEUlT_E2_NS1_11comp_targetILNS1_3genE4ELNS1_11target_archE910ELNS1_3gpuE8ELNS1_3repE0EEENS1_30default_config_static_selectorELNS0_4arch9wavefront6targetE0EEEvSK_
                                        ; -- End function
	.set _ZN7rocprim17ROCPRIM_400000_NS6detail17trampoline_kernelINS0_14default_configENS1_36segmented_radix_sort_config_selectorIdlEEZNS1_25segmented_radix_sort_implIS3_Lb0EPKdPdPKlPlN2at6native12_GLOBAL__N_18offset_tEEE10hipError_tPvRmT1_PNSt15iterator_traitsISK_E10value_typeET2_T3_PNSL_ISQ_E10value_typeET4_jRbjT5_SW_jjP12ihipStream_tbEUlT_E2_NS1_11comp_targetILNS1_3genE4ELNS1_11target_archE910ELNS1_3gpuE8ELNS1_3repE0EEENS1_30default_config_static_selectorELNS0_4arch9wavefront6targetE0EEEvSK_.num_vgpr, 0
	.set _ZN7rocprim17ROCPRIM_400000_NS6detail17trampoline_kernelINS0_14default_configENS1_36segmented_radix_sort_config_selectorIdlEEZNS1_25segmented_radix_sort_implIS3_Lb0EPKdPdPKlPlN2at6native12_GLOBAL__N_18offset_tEEE10hipError_tPvRmT1_PNSt15iterator_traitsISK_E10value_typeET2_T3_PNSL_ISQ_E10value_typeET4_jRbjT5_SW_jjP12ihipStream_tbEUlT_E2_NS1_11comp_targetILNS1_3genE4ELNS1_11target_archE910ELNS1_3gpuE8ELNS1_3repE0EEENS1_30default_config_static_selectorELNS0_4arch9wavefront6targetE0EEEvSK_.num_agpr, 0
	.set _ZN7rocprim17ROCPRIM_400000_NS6detail17trampoline_kernelINS0_14default_configENS1_36segmented_radix_sort_config_selectorIdlEEZNS1_25segmented_radix_sort_implIS3_Lb0EPKdPdPKlPlN2at6native12_GLOBAL__N_18offset_tEEE10hipError_tPvRmT1_PNSt15iterator_traitsISK_E10value_typeET2_T3_PNSL_ISQ_E10value_typeET4_jRbjT5_SW_jjP12ihipStream_tbEUlT_E2_NS1_11comp_targetILNS1_3genE4ELNS1_11target_archE910ELNS1_3gpuE8ELNS1_3repE0EEENS1_30default_config_static_selectorELNS0_4arch9wavefront6targetE0EEEvSK_.numbered_sgpr, 0
	.set _ZN7rocprim17ROCPRIM_400000_NS6detail17trampoline_kernelINS0_14default_configENS1_36segmented_radix_sort_config_selectorIdlEEZNS1_25segmented_radix_sort_implIS3_Lb0EPKdPdPKlPlN2at6native12_GLOBAL__N_18offset_tEEE10hipError_tPvRmT1_PNSt15iterator_traitsISK_E10value_typeET2_T3_PNSL_ISQ_E10value_typeET4_jRbjT5_SW_jjP12ihipStream_tbEUlT_E2_NS1_11comp_targetILNS1_3genE4ELNS1_11target_archE910ELNS1_3gpuE8ELNS1_3repE0EEENS1_30default_config_static_selectorELNS0_4arch9wavefront6targetE0EEEvSK_.num_named_barrier, 0
	.set _ZN7rocprim17ROCPRIM_400000_NS6detail17trampoline_kernelINS0_14default_configENS1_36segmented_radix_sort_config_selectorIdlEEZNS1_25segmented_radix_sort_implIS3_Lb0EPKdPdPKlPlN2at6native12_GLOBAL__N_18offset_tEEE10hipError_tPvRmT1_PNSt15iterator_traitsISK_E10value_typeET2_T3_PNSL_ISQ_E10value_typeET4_jRbjT5_SW_jjP12ihipStream_tbEUlT_E2_NS1_11comp_targetILNS1_3genE4ELNS1_11target_archE910ELNS1_3gpuE8ELNS1_3repE0EEENS1_30default_config_static_selectorELNS0_4arch9wavefront6targetE0EEEvSK_.private_seg_size, 0
	.set _ZN7rocprim17ROCPRIM_400000_NS6detail17trampoline_kernelINS0_14default_configENS1_36segmented_radix_sort_config_selectorIdlEEZNS1_25segmented_radix_sort_implIS3_Lb0EPKdPdPKlPlN2at6native12_GLOBAL__N_18offset_tEEE10hipError_tPvRmT1_PNSt15iterator_traitsISK_E10value_typeET2_T3_PNSL_ISQ_E10value_typeET4_jRbjT5_SW_jjP12ihipStream_tbEUlT_E2_NS1_11comp_targetILNS1_3genE4ELNS1_11target_archE910ELNS1_3gpuE8ELNS1_3repE0EEENS1_30default_config_static_selectorELNS0_4arch9wavefront6targetE0EEEvSK_.uses_vcc, 0
	.set _ZN7rocprim17ROCPRIM_400000_NS6detail17trampoline_kernelINS0_14default_configENS1_36segmented_radix_sort_config_selectorIdlEEZNS1_25segmented_radix_sort_implIS3_Lb0EPKdPdPKlPlN2at6native12_GLOBAL__N_18offset_tEEE10hipError_tPvRmT1_PNSt15iterator_traitsISK_E10value_typeET2_T3_PNSL_ISQ_E10value_typeET4_jRbjT5_SW_jjP12ihipStream_tbEUlT_E2_NS1_11comp_targetILNS1_3genE4ELNS1_11target_archE910ELNS1_3gpuE8ELNS1_3repE0EEENS1_30default_config_static_selectorELNS0_4arch9wavefront6targetE0EEEvSK_.uses_flat_scratch, 0
	.set _ZN7rocprim17ROCPRIM_400000_NS6detail17trampoline_kernelINS0_14default_configENS1_36segmented_radix_sort_config_selectorIdlEEZNS1_25segmented_radix_sort_implIS3_Lb0EPKdPdPKlPlN2at6native12_GLOBAL__N_18offset_tEEE10hipError_tPvRmT1_PNSt15iterator_traitsISK_E10value_typeET2_T3_PNSL_ISQ_E10value_typeET4_jRbjT5_SW_jjP12ihipStream_tbEUlT_E2_NS1_11comp_targetILNS1_3genE4ELNS1_11target_archE910ELNS1_3gpuE8ELNS1_3repE0EEENS1_30default_config_static_selectorELNS0_4arch9wavefront6targetE0EEEvSK_.has_dyn_sized_stack, 0
	.set _ZN7rocprim17ROCPRIM_400000_NS6detail17trampoline_kernelINS0_14default_configENS1_36segmented_radix_sort_config_selectorIdlEEZNS1_25segmented_radix_sort_implIS3_Lb0EPKdPdPKlPlN2at6native12_GLOBAL__N_18offset_tEEE10hipError_tPvRmT1_PNSt15iterator_traitsISK_E10value_typeET2_T3_PNSL_ISQ_E10value_typeET4_jRbjT5_SW_jjP12ihipStream_tbEUlT_E2_NS1_11comp_targetILNS1_3genE4ELNS1_11target_archE910ELNS1_3gpuE8ELNS1_3repE0EEENS1_30default_config_static_selectorELNS0_4arch9wavefront6targetE0EEEvSK_.has_recursion, 0
	.set _ZN7rocprim17ROCPRIM_400000_NS6detail17trampoline_kernelINS0_14default_configENS1_36segmented_radix_sort_config_selectorIdlEEZNS1_25segmented_radix_sort_implIS3_Lb0EPKdPdPKlPlN2at6native12_GLOBAL__N_18offset_tEEE10hipError_tPvRmT1_PNSt15iterator_traitsISK_E10value_typeET2_T3_PNSL_ISQ_E10value_typeET4_jRbjT5_SW_jjP12ihipStream_tbEUlT_E2_NS1_11comp_targetILNS1_3genE4ELNS1_11target_archE910ELNS1_3gpuE8ELNS1_3repE0EEENS1_30default_config_static_selectorELNS0_4arch9wavefront6targetE0EEEvSK_.has_indirect_call, 0
	.section	.AMDGPU.csdata,"",@progbits
; Kernel info:
; codeLenInByte = 0
; TotalNumSgprs: 0
; NumVgprs: 0
; ScratchSize: 0
; MemoryBound: 0
; FloatMode: 240
; IeeeMode: 1
; LDSByteSize: 0 bytes/workgroup (compile time only)
; SGPRBlocks: 0
; VGPRBlocks: 0
; NumSGPRsForWavesPerEU: 1
; NumVGPRsForWavesPerEU: 1
; Occupancy: 16
; WaveLimiterHint : 0
; COMPUTE_PGM_RSRC2:SCRATCH_EN: 0
; COMPUTE_PGM_RSRC2:USER_SGPR: 6
; COMPUTE_PGM_RSRC2:TRAP_HANDLER: 0
; COMPUTE_PGM_RSRC2:TGID_X_EN: 1
; COMPUTE_PGM_RSRC2:TGID_Y_EN: 0
; COMPUTE_PGM_RSRC2:TGID_Z_EN: 0
; COMPUTE_PGM_RSRC2:TIDIG_COMP_CNT: 0
	.section	.text._ZN7rocprim17ROCPRIM_400000_NS6detail17trampoline_kernelINS0_14default_configENS1_36segmented_radix_sort_config_selectorIdlEEZNS1_25segmented_radix_sort_implIS3_Lb0EPKdPdPKlPlN2at6native12_GLOBAL__N_18offset_tEEE10hipError_tPvRmT1_PNSt15iterator_traitsISK_E10value_typeET2_T3_PNSL_ISQ_E10value_typeET4_jRbjT5_SW_jjP12ihipStream_tbEUlT_E2_NS1_11comp_targetILNS1_3genE3ELNS1_11target_archE908ELNS1_3gpuE7ELNS1_3repE0EEENS1_30default_config_static_selectorELNS0_4arch9wavefront6targetE0EEEvSK_,"axG",@progbits,_ZN7rocprim17ROCPRIM_400000_NS6detail17trampoline_kernelINS0_14default_configENS1_36segmented_radix_sort_config_selectorIdlEEZNS1_25segmented_radix_sort_implIS3_Lb0EPKdPdPKlPlN2at6native12_GLOBAL__N_18offset_tEEE10hipError_tPvRmT1_PNSt15iterator_traitsISK_E10value_typeET2_T3_PNSL_ISQ_E10value_typeET4_jRbjT5_SW_jjP12ihipStream_tbEUlT_E2_NS1_11comp_targetILNS1_3genE3ELNS1_11target_archE908ELNS1_3gpuE7ELNS1_3repE0EEENS1_30default_config_static_selectorELNS0_4arch9wavefront6targetE0EEEvSK_,comdat
	.globl	_ZN7rocprim17ROCPRIM_400000_NS6detail17trampoline_kernelINS0_14default_configENS1_36segmented_radix_sort_config_selectorIdlEEZNS1_25segmented_radix_sort_implIS3_Lb0EPKdPdPKlPlN2at6native12_GLOBAL__N_18offset_tEEE10hipError_tPvRmT1_PNSt15iterator_traitsISK_E10value_typeET2_T3_PNSL_ISQ_E10value_typeET4_jRbjT5_SW_jjP12ihipStream_tbEUlT_E2_NS1_11comp_targetILNS1_3genE3ELNS1_11target_archE908ELNS1_3gpuE7ELNS1_3repE0EEENS1_30default_config_static_selectorELNS0_4arch9wavefront6targetE0EEEvSK_ ; -- Begin function _ZN7rocprim17ROCPRIM_400000_NS6detail17trampoline_kernelINS0_14default_configENS1_36segmented_radix_sort_config_selectorIdlEEZNS1_25segmented_radix_sort_implIS3_Lb0EPKdPdPKlPlN2at6native12_GLOBAL__N_18offset_tEEE10hipError_tPvRmT1_PNSt15iterator_traitsISK_E10value_typeET2_T3_PNSL_ISQ_E10value_typeET4_jRbjT5_SW_jjP12ihipStream_tbEUlT_E2_NS1_11comp_targetILNS1_3genE3ELNS1_11target_archE908ELNS1_3gpuE7ELNS1_3repE0EEENS1_30default_config_static_selectorELNS0_4arch9wavefront6targetE0EEEvSK_
	.p2align	8
	.type	_ZN7rocprim17ROCPRIM_400000_NS6detail17trampoline_kernelINS0_14default_configENS1_36segmented_radix_sort_config_selectorIdlEEZNS1_25segmented_radix_sort_implIS3_Lb0EPKdPdPKlPlN2at6native12_GLOBAL__N_18offset_tEEE10hipError_tPvRmT1_PNSt15iterator_traitsISK_E10value_typeET2_T3_PNSL_ISQ_E10value_typeET4_jRbjT5_SW_jjP12ihipStream_tbEUlT_E2_NS1_11comp_targetILNS1_3genE3ELNS1_11target_archE908ELNS1_3gpuE7ELNS1_3repE0EEENS1_30default_config_static_selectorELNS0_4arch9wavefront6targetE0EEEvSK_,@function
_ZN7rocprim17ROCPRIM_400000_NS6detail17trampoline_kernelINS0_14default_configENS1_36segmented_radix_sort_config_selectorIdlEEZNS1_25segmented_radix_sort_implIS3_Lb0EPKdPdPKlPlN2at6native12_GLOBAL__N_18offset_tEEE10hipError_tPvRmT1_PNSt15iterator_traitsISK_E10value_typeET2_T3_PNSL_ISQ_E10value_typeET4_jRbjT5_SW_jjP12ihipStream_tbEUlT_E2_NS1_11comp_targetILNS1_3genE3ELNS1_11target_archE908ELNS1_3gpuE7ELNS1_3repE0EEENS1_30default_config_static_selectorELNS0_4arch9wavefront6targetE0EEEvSK_: ; @_ZN7rocprim17ROCPRIM_400000_NS6detail17trampoline_kernelINS0_14default_configENS1_36segmented_radix_sort_config_selectorIdlEEZNS1_25segmented_radix_sort_implIS3_Lb0EPKdPdPKlPlN2at6native12_GLOBAL__N_18offset_tEEE10hipError_tPvRmT1_PNSt15iterator_traitsISK_E10value_typeET2_T3_PNSL_ISQ_E10value_typeET4_jRbjT5_SW_jjP12ihipStream_tbEUlT_E2_NS1_11comp_targetILNS1_3genE3ELNS1_11target_archE908ELNS1_3gpuE7ELNS1_3repE0EEENS1_30default_config_static_selectorELNS0_4arch9wavefront6targetE0EEEvSK_
; %bb.0:
	.section	.rodata,"a",@progbits
	.p2align	6, 0x0
	.amdhsa_kernel _ZN7rocprim17ROCPRIM_400000_NS6detail17trampoline_kernelINS0_14default_configENS1_36segmented_radix_sort_config_selectorIdlEEZNS1_25segmented_radix_sort_implIS3_Lb0EPKdPdPKlPlN2at6native12_GLOBAL__N_18offset_tEEE10hipError_tPvRmT1_PNSt15iterator_traitsISK_E10value_typeET2_T3_PNSL_ISQ_E10value_typeET4_jRbjT5_SW_jjP12ihipStream_tbEUlT_E2_NS1_11comp_targetILNS1_3genE3ELNS1_11target_archE908ELNS1_3gpuE7ELNS1_3repE0EEENS1_30default_config_static_selectorELNS0_4arch9wavefront6targetE0EEEvSK_
		.amdhsa_group_segment_fixed_size 0
		.amdhsa_private_segment_fixed_size 0
		.amdhsa_kernarg_size 80
		.amdhsa_user_sgpr_count 6
		.amdhsa_user_sgpr_private_segment_buffer 1
		.amdhsa_user_sgpr_dispatch_ptr 0
		.amdhsa_user_sgpr_queue_ptr 0
		.amdhsa_user_sgpr_kernarg_segment_ptr 1
		.amdhsa_user_sgpr_dispatch_id 0
		.amdhsa_user_sgpr_flat_scratch_init 0
		.amdhsa_user_sgpr_private_segment_size 0
		.amdhsa_wavefront_size32 1
		.amdhsa_uses_dynamic_stack 0
		.amdhsa_system_sgpr_private_segment_wavefront_offset 0
		.amdhsa_system_sgpr_workgroup_id_x 1
		.amdhsa_system_sgpr_workgroup_id_y 0
		.amdhsa_system_sgpr_workgroup_id_z 0
		.amdhsa_system_sgpr_workgroup_info 0
		.amdhsa_system_vgpr_workitem_id 0
		.amdhsa_next_free_vgpr 1
		.amdhsa_next_free_sgpr 1
		.amdhsa_reserve_vcc 0
		.amdhsa_reserve_flat_scratch 0
		.amdhsa_float_round_mode_32 0
		.amdhsa_float_round_mode_16_64 0
		.amdhsa_float_denorm_mode_32 3
		.amdhsa_float_denorm_mode_16_64 3
		.amdhsa_dx10_clamp 1
		.amdhsa_ieee_mode 1
		.amdhsa_fp16_overflow 0
		.amdhsa_workgroup_processor_mode 1
		.amdhsa_memory_ordered 1
		.amdhsa_forward_progress 1
		.amdhsa_shared_vgpr_count 0
		.amdhsa_exception_fp_ieee_invalid_op 0
		.amdhsa_exception_fp_denorm_src 0
		.amdhsa_exception_fp_ieee_div_zero 0
		.amdhsa_exception_fp_ieee_overflow 0
		.amdhsa_exception_fp_ieee_underflow 0
		.amdhsa_exception_fp_ieee_inexact 0
		.amdhsa_exception_int_div_zero 0
	.end_amdhsa_kernel
	.section	.text._ZN7rocprim17ROCPRIM_400000_NS6detail17trampoline_kernelINS0_14default_configENS1_36segmented_radix_sort_config_selectorIdlEEZNS1_25segmented_radix_sort_implIS3_Lb0EPKdPdPKlPlN2at6native12_GLOBAL__N_18offset_tEEE10hipError_tPvRmT1_PNSt15iterator_traitsISK_E10value_typeET2_T3_PNSL_ISQ_E10value_typeET4_jRbjT5_SW_jjP12ihipStream_tbEUlT_E2_NS1_11comp_targetILNS1_3genE3ELNS1_11target_archE908ELNS1_3gpuE7ELNS1_3repE0EEENS1_30default_config_static_selectorELNS0_4arch9wavefront6targetE0EEEvSK_,"axG",@progbits,_ZN7rocprim17ROCPRIM_400000_NS6detail17trampoline_kernelINS0_14default_configENS1_36segmented_radix_sort_config_selectorIdlEEZNS1_25segmented_radix_sort_implIS3_Lb0EPKdPdPKlPlN2at6native12_GLOBAL__N_18offset_tEEE10hipError_tPvRmT1_PNSt15iterator_traitsISK_E10value_typeET2_T3_PNSL_ISQ_E10value_typeET4_jRbjT5_SW_jjP12ihipStream_tbEUlT_E2_NS1_11comp_targetILNS1_3genE3ELNS1_11target_archE908ELNS1_3gpuE7ELNS1_3repE0EEENS1_30default_config_static_selectorELNS0_4arch9wavefront6targetE0EEEvSK_,comdat
.Lfunc_end1246:
	.size	_ZN7rocprim17ROCPRIM_400000_NS6detail17trampoline_kernelINS0_14default_configENS1_36segmented_radix_sort_config_selectorIdlEEZNS1_25segmented_radix_sort_implIS3_Lb0EPKdPdPKlPlN2at6native12_GLOBAL__N_18offset_tEEE10hipError_tPvRmT1_PNSt15iterator_traitsISK_E10value_typeET2_T3_PNSL_ISQ_E10value_typeET4_jRbjT5_SW_jjP12ihipStream_tbEUlT_E2_NS1_11comp_targetILNS1_3genE3ELNS1_11target_archE908ELNS1_3gpuE7ELNS1_3repE0EEENS1_30default_config_static_selectorELNS0_4arch9wavefront6targetE0EEEvSK_, .Lfunc_end1246-_ZN7rocprim17ROCPRIM_400000_NS6detail17trampoline_kernelINS0_14default_configENS1_36segmented_radix_sort_config_selectorIdlEEZNS1_25segmented_radix_sort_implIS3_Lb0EPKdPdPKlPlN2at6native12_GLOBAL__N_18offset_tEEE10hipError_tPvRmT1_PNSt15iterator_traitsISK_E10value_typeET2_T3_PNSL_ISQ_E10value_typeET4_jRbjT5_SW_jjP12ihipStream_tbEUlT_E2_NS1_11comp_targetILNS1_3genE3ELNS1_11target_archE908ELNS1_3gpuE7ELNS1_3repE0EEENS1_30default_config_static_selectorELNS0_4arch9wavefront6targetE0EEEvSK_
                                        ; -- End function
	.set _ZN7rocprim17ROCPRIM_400000_NS6detail17trampoline_kernelINS0_14default_configENS1_36segmented_radix_sort_config_selectorIdlEEZNS1_25segmented_radix_sort_implIS3_Lb0EPKdPdPKlPlN2at6native12_GLOBAL__N_18offset_tEEE10hipError_tPvRmT1_PNSt15iterator_traitsISK_E10value_typeET2_T3_PNSL_ISQ_E10value_typeET4_jRbjT5_SW_jjP12ihipStream_tbEUlT_E2_NS1_11comp_targetILNS1_3genE3ELNS1_11target_archE908ELNS1_3gpuE7ELNS1_3repE0EEENS1_30default_config_static_selectorELNS0_4arch9wavefront6targetE0EEEvSK_.num_vgpr, 0
	.set _ZN7rocprim17ROCPRIM_400000_NS6detail17trampoline_kernelINS0_14default_configENS1_36segmented_radix_sort_config_selectorIdlEEZNS1_25segmented_radix_sort_implIS3_Lb0EPKdPdPKlPlN2at6native12_GLOBAL__N_18offset_tEEE10hipError_tPvRmT1_PNSt15iterator_traitsISK_E10value_typeET2_T3_PNSL_ISQ_E10value_typeET4_jRbjT5_SW_jjP12ihipStream_tbEUlT_E2_NS1_11comp_targetILNS1_3genE3ELNS1_11target_archE908ELNS1_3gpuE7ELNS1_3repE0EEENS1_30default_config_static_selectorELNS0_4arch9wavefront6targetE0EEEvSK_.num_agpr, 0
	.set _ZN7rocprim17ROCPRIM_400000_NS6detail17trampoline_kernelINS0_14default_configENS1_36segmented_radix_sort_config_selectorIdlEEZNS1_25segmented_radix_sort_implIS3_Lb0EPKdPdPKlPlN2at6native12_GLOBAL__N_18offset_tEEE10hipError_tPvRmT1_PNSt15iterator_traitsISK_E10value_typeET2_T3_PNSL_ISQ_E10value_typeET4_jRbjT5_SW_jjP12ihipStream_tbEUlT_E2_NS1_11comp_targetILNS1_3genE3ELNS1_11target_archE908ELNS1_3gpuE7ELNS1_3repE0EEENS1_30default_config_static_selectorELNS0_4arch9wavefront6targetE0EEEvSK_.numbered_sgpr, 0
	.set _ZN7rocprim17ROCPRIM_400000_NS6detail17trampoline_kernelINS0_14default_configENS1_36segmented_radix_sort_config_selectorIdlEEZNS1_25segmented_radix_sort_implIS3_Lb0EPKdPdPKlPlN2at6native12_GLOBAL__N_18offset_tEEE10hipError_tPvRmT1_PNSt15iterator_traitsISK_E10value_typeET2_T3_PNSL_ISQ_E10value_typeET4_jRbjT5_SW_jjP12ihipStream_tbEUlT_E2_NS1_11comp_targetILNS1_3genE3ELNS1_11target_archE908ELNS1_3gpuE7ELNS1_3repE0EEENS1_30default_config_static_selectorELNS0_4arch9wavefront6targetE0EEEvSK_.num_named_barrier, 0
	.set _ZN7rocprim17ROCPRIM_400000_NS6detail17trampoline_kernelINS0_14default_configENS1_36segmented_radix_sort_config_selectorIdlEEZNS1_25segmented_radix_sort_implIS3_Lb0EPKdPdPKlPlN2at6native12_GLOBAL__N_18offset_tEEE10hipError_tPvRmT1_PNSt15iterator_traitsISK_E10value_typeET2_T3_PNSL_ISQ_E10value_typeET4_jRbjT5_SW_jjP12ihipStream_tbEUlT_E2_NS1_11comp_targetILNS1_3genE3ELNS1_11target_archE908ELNS1_3gpuE7ELNS1_3repE0EEENS1_30default_config_static_selectorELNS0_4arch9wavefront6targetE0EEEvSK_.private_seg_size, 0
	.set _ZN7rocprim17ROCPRIM_400000_NS6detail17trampoline_kernelINS0_14default_configENS1_36segmented_radix_sort_config_selectorIdlEEZNS1_25segmented_radix_sort_implIS3_Lb0EPKdPdPKlPlN2at6native12_GLOBAL__N_18offset_tEEE10hipError_tPvRmT1_PNSt15iterator_traitsISK_E10value_typeET2_T3_PNSL_ISQ_E10value_typeET4_jRbjT5_SW_jjP12ihipStream_tbEUlT_E2_NS1_11comp_targetILNS1_3genE3ELNS1_11target_archE908ELNS1_3gpuE7ELNS1_3repE0EEENS1_30default_config_static_selectorELNS0_4arch9wavefront6targetE0EEEvSK_.uses_vcc, 0
	.set _ZN7rocprim17ROCPRIM_400000_NS6detail17trampoline_kernelINS0_14default_configENS1_36segmented_radix_sort_config_selectorIdlEEZNS1_25segmented_radix_sort_implIS3_Lb0EPKdPdPKlPlN2at6native12_GLOBAL__N_18offset_tEEE10hipError_tPvRmT1_PNSt15iterator_traitsISK_E10value_typeET2_T3_PNSL_ISQ_E10value_typeET4_jRbjT5_SW_jjP12ihipStream_tbEUlT_E2_NS1_11comp_targetILNS1_3genE3ELNS1_11target_archE908ELNS1_3gpuE7ELNS1_3repE0EEENS1_30default_config_static_selectorELNS0_4arch9wavefront6targetE0EEEvSK_.uses_flat_scratch, 0
	.set _ZN7rocprim17ROCPRIM_400000_NS6detail17trampoline_kernelINS0_14default_configENS1_36segmented_radix_sort_config_selectorIdlEEZNS1_25segmented_radix_sort_implIS3_Lb0EPKdPdPKlPlN2at6native12_GLOBAL__N_18offset_tEEE10hipError_tPvRmT1_PNSt15iterator_traitsISK_E10value_typeET2_T3_PNSL_ISQ_E10value_typeET4_jRbjT5_SW_jjP12ihipStream_tbEUlT_E2_NS1_11comp_targetILNS1_3genE3ELNS1_11target_archE908ELNS1_3gpuE7ELNS1_3repE0EEENS1_30default_config_static_selectorELNS0_4arch9wavefront6targetE0EEEvSK_.has_dyn_sized_stack, 0
	.set _ZN7rocprim17ROCPRIM_400000_NS6detail17trampoline_kernelINS0_14default_configENS1_36segmented_radix_sort_config_selectorIdlEEZNS1_25segmented_radix_sort_implIS3_Lb0EPKdPdPKlPlN2at6native12_GLOBAL__N_18offset_tEEE10hipError_tPvRmT1_PNSt15iterator_traitsISK_E10value_typeET2_T3_PNSL_ISQ_E10value_typeET4_jRbjT5_SW_jjP12ihipStream_tbEUlT_E2_NS1_11comp_targetILNS1_3genE3ELNS1_11target_archE908ELNS1_3gpuE7ELNS1_3repE0EEENS1_30default_config_static_selectorELNS0_4arch9wavefront6targetE0EEEvSK_.has_recursion, 0
	.set _ZN7rocprim17ROCPRIM_400000_NS6detail17trampoline_kernelINS0_14default_configENS1_36segmented_radix_sort_config_selectorIdlEEZNS1_25segmented_radix_sort_implIS3_Lb0EPKdPdPKlPlN2at6native12_GLOBAL__N_18offset_tEEE10hipError_tPvRmT1_PNSt15iterator_traitsISK_E10value_typeET2_T3_PNSL_ISQ_E10value_typeET4_jRbjT5_SW_jjP12ihipStream_tbEUlT_E2_NS1_11comp_targetILNS1_3genE3ELNS1_11target_archE908ELNS1_3gpuE7ELNS1_3repE0EEENS1_30default_config_static_selectorELNS0_4arch9wavefront6targetE0EEEvSK_.has_indirect_call, 0
	.section	.AMDGPU.csdata,"",@progbits
; Kernel info:
; codeLenInByte = 0
; TotalNumSgprs: 0
; NumVgprs: 0
; ScratchSize: 0
; MemoryBound: 0
; FloatMode: 240
; IeeeMode: 1
; LDSByteSize: 0 bytes/workgroup (compile time only)
; SGPRBlocks: 0
; VGPRBlocks: 0
; NumSGPRsForWavesPerEU: 1
; NumVGPRsForWavesPerEU: 1
; Occupancy: 16
; WaveLimiterHint : 0
; COMPUTE_PGM_RSRC2:SCRATCH_EN: 0
; COMPUTE_PGM_RSRC2:USER_SGPR: 6
; COMPUTE_PGM_RSRC2:TRAP_HANDLER: 0
; COMPUTE_PGM_RSRC2:TGID_X_EN: 1
; COMPUTE_PGM_RSRC2:TGID_Y_EN: 0
; COMPUTE_PGM_RSRC2:TGID_Z_EN: 0
; COMPUTE_PGM_RSRC2:TIDIG_COMP_CNT: 0
	.section	.text._ZN7rocprim17ROCPRIM_400000_NS6detail17trampoline_kernelINS0_14default_configENS1_36segmented_radix_sort_config_selectorIdlEEZNS1_25segmented_radix_sort_implIS3_Lb0EPKdPdPKlPlN2at6native12_GLOBAL__N_18offset_tEEE10hipError_tPvRmT1_PNSt15iterator_traitsISK_E10value_typeET2_T3_PNSL_ISQ_E10value_typeET4_jRbjT5_SW_jjP12ihipStream_tbEUlT_E2_NS1_11comp_targetILNS1_3genE2ELNS1_11target_archE906ELNS1_3gpuE6ELNS1_3repE0EEENS1_30default_config_static_selectorELNS0_4arch9wavefront6targetE0EEEvSK_,"axG",@progbits,_ZN7rocprim17ROCPRIM_400000_NS6detail17trampoline_kernelINS0_14default_configENS1_36segmented_radix_sort_config_selectorIdlEEZNS1_25segmented_radix_sort_implIS3_Lb0EPKdPdPKlPlN2at6native12_GLOBAL__N_18offset_tEEE10hipError_tPvRmT1_PNSt15iterator_traitsISK_E10value_typeET2_T3_PNSL_ISQ_E10value_typeET4_jRbjT5_SW_jjP12ihipStream_tbEUlT_E2_NS1_11comp_targetILNS1_3genE2ELNS1_11target_archE906ELNS1_3gpuE6ELNS1_3repE0EEENS1_30default_config_static_selectorELNS0_4arch9wavefront6targetE0EEEvSK_,comdat
	.globl	_ZN7rocprim17ROCPRIM_400000_NS6detail17trampoline_kernelINS0_14default_configENS1_36segmented_radix_sort_config_selectorIdlEEZNS1_25segmented_radix_sort_implIS3_Lb0EPKdPdPKlPlN2at6native12_GLOBAL__N_18offset_tEEE10hipError_tPvRmT1_PNSt15iterator_traitsISK_E10value_typeET2_T3_PNSL_ISQ_E10value_typeET4_jRbjT5_SW_jjP12ihipStream_tbEUlT_E2_NS1_11comp_targetILNS1_3genE2ELNS1_11target_archE906ELNS1_3gpuE6ELNS1_3repE0EEENS1_30default_config_static_selectorELNS0_4arch9wavefront6targetE0EEEvSK_ ; -- Begin function _ZN7rocprim17ROCPRIM_400000_NS6detail17trampoline_kernelINS0_14default_configENS1_36segmented_radix_sort_config_selectorIdlEEZNS1_25segmented_radix_sort_implIS3_Lb0EPKdPdPKlPlN2at6native12_GLOBAL__N_18offset_tEEE10hipError_tPvRmT1_PNSt15iterator_traitsISK_E10value_typeET2_T3_PNSL_ISQ_E10value_typeET4_jRbjT5_SW_jjP12ihipStream_tbEUlT_E2_NS1_11comp_targetILNS1_3genE2ELNS1_11target_archE906ELNS1_3gpuE6ELNS1_3repE0EEENS1_30default_config_static_selectorELNS0_4arch9wavefront6targetE0EEEvSK_
	.p2align	8
	.type	_ZN7rocprim17ROCPRIM_400000_NS6detail17trampoline_kernelINS0_14default_configENS1_36segmented_radix_sort_config_selectorIdlEEZNS1_25segmented_radix_sort_implIS3_Lb0EPKdPdPKlPlN2at6native12_GLOBAL__N_18offset_tEEE10hipError_tPvRmT1_PNSt15iterator_traitsISK_E10value_typeET2_T3_PNSL_ISQ_E10value_typeET4_jRbjT5_SW_jjP12ihipStream_tbEUlT_E2_NS1_11comp_targetILNS1_3genE2ELNS1_11target_archE906ELNS1_3gpuE6ELNS1_3repE0EEENS1_30default_config_static_selectorELNS0_4arch9wavefront6targetE0EEEvSK_,@function
_ZN7rocprim17ROCPRIM_400000_NS6detail17trampoline_kernelINS0_14default_configENS1_36segmented_radix_sort_config_selectorIdlEEZNS1_25segmented_radix_sort_implIS3_Lb0EPKdPdPKlPlN2at6native12_GLOBAL__N_18offset_tEEE10hipError_tPvRmT1_PNSt15iterator_traitsISK_E10value_typeET2_T3_PNSL_ISQ_E10value_typeET4_jRbjT5_SW_jjP12ihipStream_tbEUlT_E2_NS1_11comp_targetILNS1_3genE2ELNS1_11target_archE906ELNS1_3gpuE6ELNS1_3repE0EEENS1_30default_config_static_selectorELNS0_4arch9wavefront6targetE0EEEvSK_: ; @_ZN7rocprim17ROCPRIM_400000_NS6detail17trampoline_kernelINS0_14default_configENS1_36segmented_radix_sort_config_selectorIdlEEZNS1_25segmented_radix_sort_implIS3_Lb0EPKdPdPKlPlN2at6native12_GLOBAL__N_18offset_tEEE10hipError_tPvRmT1_PNSt15iterator_traitsISK_E10value_typeET2_T3_PNSL_ISQ_E10value_typeET4_jRbjT5_SW_jjP12ihipStream_tbEUlT_E2_NS1_11comp_targetILNS1_3genE2ELNS1_11target_archE906ELNS1_3gpuE6ELNS1_3repE0EEENS1_30default_config_static_selectorELNS0_4arch9wavefront6targetE0EEEvSK_
; %bb.0:
	.section	.rodata,"a",@progbits
	.p2align	6, 0x0
	.amdhsa_kernel _ZN7rocprim17ROCPRIM_400000_NS6detail17trampoline_kernelINS0_14default_configENS1_36segmented_radix_sort_config_selectorIdlEEZNS1_25segmented_radix_sort_implIS3_Lb0EPKdPdPKlPlN2at6native12_GLOBAL__N_18offset_tEEE10hipError_tPvRmT1_PNSt15iterator_traitsISK_E10value_typeET2_T3_PNSL_ISQ_E10value_typeET4_jRbjT5_SW_jjP12ihipStream_tbEUlT_E2_NS1_11comp_targetILNS1_3genE2ELNS1_11target_archE906ELNS1_3gpuE6ELNS1_3repE0EEENS1_30default_config_static_selectorELNS0_4arch9wavefront6targetE0EEEvSK_
		.amdhsa_group_segment_fixed_size 0
		.amdhsa_private_segment_fixed_size 0
		.amdhsa_kernarg_size 80
		.amdhsa_user_sgpr_count 6
		.amdhsa_user_sgpr_private_segment_buffer 1
		.amdhsa_user_sgpr_dispatch_ptr 0
		.amdhsa_user_sgpr_queue_ptr 0
		.amdhsa_user_sgpr_kernarg_segment_ptr 1
		.amdhsa_user_sgpr_dispatch_id 0
		.amdhsa_user_sgpr_flat_scratch_init 0
		.amdhsa_user_sgpr_private_segment_size 0
		.amdhsa_wavefront_size32 1
		.amdhsa_uses_dynamic_stack 0
		.amdhsa_system_sgpr_private_segment_wavefront_offset 0
		.amdhsa_system_sgpr_workgroup_id_x 1
		.amdhsa_system_sgpr_workgroup_id_y 0
		.amdhsa_system_sgpr_workgroup_id_z 0
		.amdhsa_system_sgpr_workgroup_info 0
		.amdhsa_system_vgpr_workitem_id 0
		.amdhsa_next_free_vgpr 1
		.amdhsa_next_free_sgpr 1
		.amdhsa_reserve_vcc 0
		.amdhsa_reserve_flat_scratch 0
		.amdhsa_float_round_mode_32 0
		.amdhsa_float_round_mode_16_64 0
		.amdhsa_float_denorm_mode_32 3
		.amdhsa_float_denorm_mode_16_64 3
		.amdhsa_dx10_clamp 1
		.amdhsa_ieee_mode 1
		.amdhsa_fp16_overflow 0
		.amdhsa_workgroup_processor_mode 1
		.amdhsa_memory_ordered 1
		.amdhsa_forward_progress 1
		.amdhsa_shared_vgpr_count 0
		.amdhsa_exception_fp_ieee_invalid_op 0
		.amdhsa_exception_fp_denorm_src 0
		.amdhsa_exception_fp_ieee_div_zero 0
		.amdhsa_exception_fp_ieee_overflow 0
		.amdhsa_exception_fp_ieee_underflow 0
		.amdhsa_exception_fp_ieee_inexact 0
		.amdhsa_exception_int_div_zero 0
	.end_amdhsa_kernel
	.section	.text._ZN7rocprim17ROCPRIM_400000_NS6detail17trampoline_kernelINS0_14default_configENS1_36segmented_radix_sort_config_selectorIdlEEZNS1_25segmented_radix_sort_implIS3_Lb0EPKdPdPKlPlN2at6native12_GLOBAL__N_18offset_tEEE10hipError_tPvRmT1_PNSt15iterator_traitsISK_E10value_typeET2_T3_PNSL_ISQ_E10value_typeET4_jRbjT5_SW_jjP12ihipStream_tbEUlT_E2_NS1_11comp_targetILNS1_3genE2ELNS1_11target_archE906ELNS1_3gpuE6ELNS1_3repE0EEENS1_30default_config_static_selectorELNS0_4arch9wavefront6targetE0EEEvSK_,"axG",@progbits,_ZN7rocprim17ROCPRIM_400000_NS6detail17trampoline_kernelINS0_14default_configENS1_36segmented_radix_sort_config_selectorIdlEEZNS1_25segmented_radix_sort_implIS3_Lb0EPKdPdPKlPlN2at6native12_GLOBAL__N_18offset_tEEE10hipError_tPvRmT1_PNSt15iterator_traitsISK_E10value_typeET2_T3_PNSL_ISQ_E10value_typeET4_jRbjT5_SW_jjP12ihipStream_tbEUlT_E2_NS1_11comp_targetILNS1_3genE2ELNS1_11target_archE906ELNS1_3gpuE6ELNS1_3repE0EEENS1_30default_config_static_selectorELNS0_4arch9wavefront6targetE0EEEvSK_,comdat
.Lfunc_end1247:
	.size	_ZN7rocprim17ROCPRIM_400000_NS6detail17trampoline_kernelINS0_14default_configENS1_36segmented_radix_sort_config_selectorIdlEEZNS1_25segmented_radix_sort_implIS3_Lb0EPKdPdPKlPlN2at6native12_GLOBAL__N_18offset_tEEE10hipError_tPvRmT1_PNSt15iterator_traitsISK_E10value_typeET2_T3_PNSL_ISQ_E10value_typeET4_jRbjT5_SW_jjP12ihipStream_tbEUlT_E2_NS1_11comp_targetILNS1_3genE2ELNS1_11target_archE906ELNS1_3gpuE6ELNS1_3repE0EEENS1_30default_config_static_selectorELNS0_4arch9wavefront6targetE0EEEvSK_, .Lfunc_end1247-_ZN7rocprim17ROCPRIM_400000_NS6detail17trampoline_kernelINS0_14default_configENS1_36segmented_radix_sort_config_selectorIdlEEZNS1_25segmented_radix_sort_implIS3_Lb0EPKdPdPKlPlN2at6native12_GLOBAL__N_18offset_tEEE10hipError_tPvRmT1_PNSt15iterator_traitsISK_E10value_typeET2_T3_PNSL_ISQ_E10value_typeET4_jRbjT5_SW_jjP12ihipStream_tbEUlT_E2_NS1_11comp_targetILNS1_3genE2ELNS1_11target_archE906ELNS1_3gpuE6ELNS1_3repE0EEENS1_30default_config_static_selectorELNS0_4arch9wavefront6targetE0EEEvSK_
                                        ; -- End function
	.set _ZN7rocprim17ROCPRIM_400000_NS6detail17trampoline_kernelINS0_14default_configENS1_36segmented_radix_sort_config_selectorIdlEEZNS1_25segmented_radix_sort_implIS3_Lb0EPKdPdPKlPlN2at6native12_GLOBAL__N_18offset_tEEE10hipError_tPvRmT1_PNSt15iterator_traitsISK_E10value_typeET2_T3_PNSL_ISQ_E10value_typeET4_jRbjT5_SW_jjP12ihipStream_tbEUlT_E2_NS1_11comp_targetILNS1_3genE2ELNS1_11target_archE906ELNS1_3gpuE6ELNS1_3repE0EEENS1_30default_config_static_selectorELNS0_4arch9wavefront6targetE0EEEvSK_.num_vgpr, 0
	.set _ZN7rocprim17ROCPRIM_400000_NS6detail17trampoline_kernelINS0_14default_configENS1_36segmented_radix_sort_config_selectorIdlEEZNS1_25segmented_radix_sort_implIS3_Lb0EPKdPdPKlPlN2at6native12_GLOBAL__N_18offset_tEEE10hipError_tPvRmT1_PNSt15iterator_traitsISK_E10value_typeET2_T3_PNSL_ISQ_E10value_typeET4_jRbjT5_SW_jjP12ihipStream_tbEUlT_E2_NS1_11comp_targetILNS1_3genE2ELNS1_11target_archE906ELNS1_3gpuE6ELNS1_3repE0EEENS1_30default_config_static_selectorELNS0_4arch9wavefront6targetE0EEEvSK_.num_agpr, 0
	.set _ZN7rocprim17ROCPRIM_400000_NS6detail17trampoline_kernelINS0_14default_configENS1_36segmented_radix_sort_config_selectorIdlEEZNS1_25segmented_radix_sort_implIS3_Lb0EPKdPdPKlPlN2at6native12_GLOBAL__N_18offset_tEEE10hipError_tPvRmT1_PNSt15iterator_traitsISK_E10value_typeET2_T3_PNSL_ISQ_E10value_typeET4_jRbjT5_SW_jjP12ihipStream_tbEUlT_E2_NS1_11comp_targetILNS1_3genE2ELNS1_11target_archE906ELNS1_3gpuE6ELNS1_3repE0EEENS1_30default_config_static_selectorELNS0_4arch9wavefront6targetE0EEEvSK_.numbered_sgpr, 0
	.set _ZN7rocprim17ROCPRIM_400000_NS6detail17trampoline_kernelINS0_14default_configENS1_36segmented_radix_sort_config_selectorIdlEEZNS1_25segmented_radix_sort_implIS3_Lb0EPKdPdPKlPlN2at6native12_GLOBAL__N_18offset_tEEE10hipError_tPvRmT1_PNSt15iterator_traitsISK_E10value_typeET2_T3_PNSL_ISQ_E10value_typeET4_jRbjT5_SW_jjP12ihipStream_tbEUlT_E2_NS1_11comp_targetILNS1_3genE2ELNS1_11target_archE906ELNS1_3gpuE6ELNS1_3repE0EEENS1_30default_config_static_selectorELNS0_4arch9wavefront6targetE0EEEvSK_.num_named_barrier, 0
	.set _ZN7rocprim17ROCPRIM_400000_NS6detail17trampoline_kernelINS0_14default_configENS1_36segmented_radix_sort_config_selectorIdlEEZNS1_25segmented_radix_sort_implIS3_Lb0EPKdPdPKlPlN2at6native12_GLOBAL__N_18offset_tEEE10hipError_tPvRmT1_PNSt15iterator_traitsISK_E10value_typeET2_T3_PNSL_ISQ_E10value_typeET4_jRbjT5_SW_jjP12ihipStream_tbEUlT_E2_NS1_11comp_targetILNS1_3genE2ELNS1_11target_archE906ELNS1_3gpuE6ELNS1_3repE0EEENS1_30default_config_static_selectorELNS0_4arch9wavefront6targetE0EEEvSK_.private_seg_size, 0
	.set _ZN7rocprim17ROCPRIM_400000_NS6detail17trampoline_kernelINS0_14default_configENS1_36segmented_radix_sort_config_selectorIdlEEZNS1_25segmented_radix_sort_implIS3_Lb0EPKdPdPKlPlN2at6native12_GLOBAL__N_18offset_tEEE10hipError_tPvRmT1_PNSt15iterator_traitsISK_E10value_typeET2_T3_PNSL_ISQ_E10value_typeET4_jRbjT5_SW_jjP12ihipStream_tbEUlT_E2_NS1_11comp_targetILNS1_3genE2ELNS1_11target_archE906ELNS1_3gpuE6ELNS1_3repE0EEENS1_30default_config_static_selectorELNS0_4arch9wavefront6targetE0EEEvSK_.uses_vcc, 0
	.set _ZN7rocprim17ROCPRIM_400000_NS6detail17trampoline_kernelINS0_14default_configENS1_36segmented_radix_sort_config_selectorIdlEEZNS1_25segmented_radix_sort_implIS3_Lb0EPKdPdPKlPlN2at6native12_GLOBAL__N_18offset_tEEE10hipError_tPvRmT1_PNSt15iterator_traitsISK_E10value_typeET2_T3_PNSL_ISQ_E10value_typeET4_jRbjT5_SW_jjP12ihipStream_tbEUlT_E2_NS1_11comp_targetILNS1_3genE2ELNS1_11target_archE906ELNS1_3gpuE6ELNS1_3repE0EEENS1_30default_config_static_selectorELNS0_4arch9wavefront6targetE0EEEvSK_.uses_flat_scratch, 0
	.set _ZN7rocprim17ROCPRIM_400000_NS6detail17trampoline_kernelINS0_14default_configENS1_36segmented_radix_sort_config_selectorIdlEEZNS1_25segmented_radix_sort_implIS3_Lb0EPKdPdPKlPlN2at6native12_GLOBAL__N_18offset_tEEE10hipError_tPvRmT1_PNSt15iterator_traitsISK_E10value_typeET2_T3_PNSL_ISQ_E10value_typeET4_jRbjT5_SW_jjP12ihipStream_tbEUlT_E2_NS1_11comp_targetILNS1_3genE2ELNS1_11target_archE906ELNS1_3gpuE6ELNS1_3repE0EEENS1_30default_config_static_selectorELNS0_4arch9wavefront6targetE0EEEvSK_.has_dyn_sized_stack, 0
	.set _ZN7rocprim17ROCPRIM_400000_NS6detail17trampoline_kernelINS0_14default_configENS1_36segmented_radix_sort_config_selectorIdlEEZNS1_25segmented_radix_sort_implIS3_Lb0EPKdPdPKlPlN2at6native12_GLOBAL__N_18offset_tEEE10hipError_tPvRmT1_PNSt15iterator_traitsISK_E10value_typeET2_T3_PNSL_ISQ_E10value_typeET4_jRbjT5_SW_jjP12ihipStream_tbEUlT_E2_NS1_11comp_targetILNS1_3genE2ELNS1_11target_archE906ELNS1_3gpuE6ELNS1_3repE0EEENS1_30default_config_static_selectorELNS0_4arch9wavefront6targetE0EEEvSK_.has_recursion, 0
	.set _ZN7rocprim17ROCPRIM_400000_NS6detail17trampoline_kernelINS0_14default_configENS1_36segmented_radix_sort_config_selectorIdlEEZNS1_25segmented_radix_sort_implIS3_Lb0EPKdPdPKlPlN2at6native12_GLOBAL__N_18offset_tEEE10hipError_tPvRmT1_PNSt15iterator_traitsISK_E10value_typeET2_T3_PNSL_ISQ_E10value_typeET4_jRbjT5_SW_jjP12ihipStream_tbEUlT_E2_NS1_11comp_targetILNS1_3genE2ELNS1_11target_archE906ELNS1_3gpuE6ELNS1_3repE0EEENS1_30default_config_static_selectorELNS0_4arch9wavefront6targetE0EEEvSK_.has_indirect_call, 0
	.section	.AMDGPU.csdata,"",@progbits
; Kernel info:
; codeLenInByte = 0
; TotalNumSgprs: 0
; NumVgprs: 0
; ScratchSize: 0
; MemoryBound: 0
; FloatMode: 240
; IeeeMode: 1
; LDSByteSize: 0 bytes/workgroup (compile time only)
; SGPRBlocks: 0
; VGPRBlocks: 0
; NumSGPRsForWavesPerEU: 1
; NumVGPRsForWavesPerEU: 1
; Occupancy: 16
; WaveLimiterHint : 0
; COMPUTE_PGM_RSRC2:SCRATCH_EN: 0
; COMPUTE_PGM_RSRC2:USER_SGPR: 6
; COMPUTE_PGM_RSRC2:TRAP_HANDLER: 0
; COMPUTE_PGM_RSRC2:TGID_X_EN: 1
; COMPUTE_PGM_RSRC2:TGID_Y_EN: 0
; COMPUTE_PGM_RSRC2:TGID_Z_EN: 0
; COMPUTE_PGM_RSRC2:TIDIG_COMP_CNT: 0
	.section	.text._ZN7rocprim17ROCPRIM_400000_NS6detail17trampoline_kernelINS0_14default_configENS1_36segmented_radix_sort_config_selectorIdlEEZNS1_25segmented_radix_sort_implIS3_Lb0EPKdPdPKlPlN2at6native12_GLOBAL__N_18offset_tEEE10hipError_tPvRmT1_PNSt15iterator_traitsISK_E10value_typeET2_T3_PNSL_ISQ_E10value_typeET4_jRbjT5_SW_jjP12ihipStream_tbEUlT_E2_NS1_11comp_targetILNS1_3genE10ELNS1_11target_archE1201ELNS1_3gpuE5ELNS1_3repE0EEENS1_30default_config_static_selectorELNS0_4arch9wavefront6targetE0EEEvSK_,"axG",@progbits,_ZN7rocprim17ROCPRIM_400000_NS6detail17trampoline_kernelINS0_14default_configENS1_36segmented_radix_sort_config_selectorIdlEEZNS1_25segmented_radix_sort_implIS3_Lb0EPKdPdPKlPlN2at6native12_GLOBAL__N_18offset_tEEE10hipError_tPvRmT1_PNSt15iterator_traitsISK_E10value_typeET2_T3_PNSL_ISQ_E10value_typeET4_jRbjT5_SW_jjP12ihipStream_tbEUlT_E2_NS1_11comp_targetILNS1_3genE10ELNS1_11target_archE1201ELNS1_3gpuE5ELNS1_3repE0EEENS1_30default_config_static_selectorELNS0_4arch9wavefront6targetE0EEEvSK_,comdat
	.globl	_ZN7rocprim17ROCPRIM_400000_NS6detail17trampoline_kernelINS0_14default_configENS1_36segmented_radix_sort_config_selectorIdlEEZNS1_25segmented_radix_sort_implIS3_Lb0EPKdPdPKlPlN2at6native12_GLOBAL__N_18offset_tEEE10hipError_tPvRmT1_PNSt15iterator_traitsISK_E10value_typeET2_T3_PNSL_ISQ_E10value_typeET4_jRbjT5_SW_jjP12ihipStream_tbEUlT_E2_NS1_11comp_targetILNS1_3genE10ELNS1_11target_archE1201ELNS1_3gpuE5ELNS1_3repE0EEENS1_30default_config_static_selectorELNS0_4arch9wavefront6targetE0EEEvSK_ ; -- Begin function _ZN7rocprim17ROCPRIM_400000_NS6detail17trampoline_kernelINS0_14default_configENS1_36segmented_radix_sort_config_selectorIdlEEZNS1_25segmented_radix_sort_implIS3_Lb0EPKdPdPKlPlN2at6native12_GLOBAL__N_18offset_tEEE10hipError_tPvRmT1_PNSt15iterator_traitsISK_E10value_typeET2_T3_PNSL_ISQ_E10value_typeET4_jRbjT5_SW_jjP12ihipStream_tbEUlT_E2_NS1_11comp_targetILNS1_3genE10ELNS1_11target_archE1201ELNS1_3gpuE5ELNS1_3repE0EEENS1_30default_config_static_selectorELNS0_4arch9wavefront6targetE0EEEvSK_
	.p2align	8
	.type	_ZN7rocprim17ROCPRIM_400000_NS6detail17trampoline_kernelINS0_14default_configENS1_36segmented_radix_sort_config_selectorIdlEEZNS1_25segmented_radix_sort_implIS3_Lb0EPKdPdPKlPlN2at6native12_GLOBAL__N_18offset_tEEE10hipError_tPvRmT1_PNSt15iterator_traitsISK_E10value_typeET2_T3_PNSL_ISQ_E10value_typeET4_jRbjT5_SW_jjP12ihipStream_tbEUlT_E2_NS1_11comp_targetILNS1_3genE10ELNS1_11target_archE1201ELNS1_3gpuE5ELNS1_3repE0EEENS1_30default_config_static_selectorELNS0_4arch9wavefront6targetE0EEEvSK_,@function
_ZN7rocprim17ROCPRIM_400000_NS6detail17trampoline_kernelINS0_14default_configENS1_36segmented_radix_sort_config_selectorIdlEEZNS1_25segmented_radix_sort_implIS3_Lb0EPKdPdPKlPlN2at6native12_GLOBAL__N_18offset_tEEE10hipError_tPvRmT1_PNSt15iterator_traitsISK_E10value_typeET2_T3_PNSL_ISQ_E10value_typeET4_jRbjT5_SW_jjP12ihipStream_tbEUlT_E2_NS1_11comp_targetILNS1_3genE10ELNS1_11target_archE1201ELNS1_3gpuE5ELNS1_3repE0EEENS1_30default_config_static_selectorELNS0_4arch9wavefront6targetE0EEEvSK_: ; @_ZN7rocprim17ROCPRIM_400000_NS6detail17trampoline_kernelINS0_14default_configENS1_36segmented_radix_sort_config_selectorIdlEEZNS1_25segmented_radix_sort_implIS3_Lb0EPKdPdPKlPlN2at6native12_GLOBAL__N_18offset_tEEE10hipError_tPvRmT1_PNSt15iterator_traitsISK_E10value_typeET2_T3_PNSL_ISQ_E10value_typeET4_jRbjT5_SW_jjP12ihipStream_tbEUlT_E2_NS1_11comp_targetILNS1_3genE10ELNS1_11target_archE1201ELNS1_3gpuE5ELNS1_3repE0EEENS1_30default_config_static_selectorELNS0_4arch9wavefront6targetE0EEEvSK_
; %bb.0:
	.section	.rodata,"a",@progbits
	.p2align	6, 0x0
	.amdhsa_kernel _ZN7rocprim17ROCPRIM_400000_NS6detail17trampoline_kernelINS0_14default_configENS1_36segmented_radix_sort_config_selectorIdlEEZNS1_25segmented_radix_sort_implIS3_Lb0EPKdPdPKlPlN2at6native12_GLOBAL__N_18offset_tEEE10hipError_tPvRmT1_PNSt15iterator_traitsISK_E10value_typeET2_T3_PNSL_ISQ_E10value_typeET4_jRbjT5_SW_jjP12ihipStream_tbEUlT_E2_NS1_11comp_targetILNS1_3genE10ELNS1_11target_archE1201ELNS1_3gpuE5ELNS1_3repE0EEENS1_30default_config_static_selectorELNS0_4arch9wavefront6targetE0EEEvSK_
		.amdhsa_group_segment_fixed_size 0
		.amdhsa_private_segment_fixed_size 0
		.amdhsa_kernarg_size 80
		.amdhsa_user_sgpr_count 6
		.amdhsa_user_sgpr_private_segment_buffer 1
		.amdhsa_user_sgpr_dispatch_ptr 0
		.amdhsa_user_sgpr_queue_ptr 0
		.amdhsa_user_sgpr_kernarg_segment_ptr 1
		.amdhsa_user_sgpr_dispatch_id 0
		.amdhsa_user_sgpr_flat_scratch_init 0
		.amdhsa_user_sgpr_private_segment_size 0
		.amdhsa_wavefront_size32 1
		.amdhsa_uses_dynamic_stack 0
		.amdhsa_system_sgpr_private_segment_wavefront_offset 0
		.amdhsa_system_sgpr_workgroup_id_x 1
		.amdhsa_system_sgpr_workgroup_id_y 0
		.amdhsa_system_sgpr_workgroup_id_z 0
		.amdhsa_system_sgpr_workgroup_info 0
		.amdhsa_system_vgpr_workitem_id 0
		.amdhsa_next_free_vgpr 1
		.amdhsa_next_free_sgpr 1
		.amdhsa_reserve_vcc 0
		.amdhsa_reserve_flat_scratch 0
		.amdhsa_float_round_mode_32 0
		.amdhsa_float_round_mode_16_64 0
		.amdhsa_float_denorm_mode_32 3
		.amdhsa_float_denorm_mode_16_64 3
		.amdhsa_dx10_clamp 1
		.amdhsa_ieee_mode 1
		.amdhsa_fp16_overflow 0
		.amdhsa_workgroup_processor_mode 1
		.amdhsa_memory_ordered 1
		.amdhsa_forward_progress 1
		.amdhsa_shared_vgpr_count 0
		.amdhsa_exception_fp_ieee_invalid_op 0
		.amdhsa_exception_fp_denorm_src 0
		.amdhsa_exception_fp_ieee_div_zero 0
		.amdhsa_exception_fp_ieee_overflow 0
		.amdhsa_exception_fp_ieee_underflow 0
		.amdhsa_exception_fp_ieee_inexact 0
		.amdhsa_exception_int_div_zero 0
	.end_amdhsa_kernel
	.section	.text._ZN7rocprim17ROCPRIM_400000_NS6detail17trampoline_kernelINS0_14default_configENS1_36segmented_radix_sort_config_selectorIdlEEZNS1_25segmented_radix_sort_implIS3_Lb0EPKdPdPKlPlN2at6native12_GLOBAL__N_18offset_tEEE10hipError_tPvRmT1_PNSt15iterator_traitsISK_E10value_typeET2_T3_PNSL_ISQ_E10value_typeET4_jRbjT5_SW_jjP12ihipStream_tbEUlT_E2_NS1_11comp_targetILNS1_3genE10ELNS1_11target_archE1201ELNS1_3gpuE5ELNS1_3repE0EEENS1_30default_config_static_selectorELNS0_4arch9wavefront6targetE0EEEvSK_,"axG",@progbits,_ZN7rocprim17ROCPRIM_400000_NS6detail17trampoline_kernelINS0_14default_configENS1_36segmented_radix_sort_config_selectorIdlEEZNS1_25segmented_radix_sort_implIS3_Lb0EPKdPdPKlPlN2at6native12_GLOBAL__N_18offset_tEEE10hipError_tPvRmT1_PNSt15iterator_traitsISK_E10value_typeET2_T3_PNSL_ISQ_E10value_typeET4_jRbjT5_SW_jjP12ihipStream_tbEUlT_E2_NS1_11comp_targetILNS1_3genE10ELNS1_11target_archE1201ELNS1_3gpuE5ELNS1_3repE0EEENS1_30default_config_static_selectorELNS0_4arch9wavefront6targetE0EEEvSK_,comdat
.Lfunc_end1248:
	.size	_ZN7rocprim17ROCPRIM_400000_NS6detail17trampoline_kernelINS0_14default_configENS1_36segmented_radix_sort_config_selectorIdlEEZNS1_25segmented_radix_sort_implIS3_Lb0EPKdPdPKlPlN2at6native12_GLOBAL__N_18offset_tEEE10hipError_tPvRmT1_PNSt15iterator_traitsISK_E10value_typeET2_T3_PNSL_ISQ_E10value_typeET4_jRbjT5_SW_jjP12ihipStream_tbEUlT_E2_NS1_11comp_targetILNS1_3genE10ELNS1_11target_archE1201ELNS1_3gpuE5ELNS1_3repE0EEENS1_30default_config_static_selectorELNS0_4arch9wavefront6targetE0EEEvSK_, .Lfunc_end1248-_ZN7rocprim17ROCPRIM_400000_NS6detail17trampoline_kernelINS0_14default_configENS1_36segmented_radix_sort_config_selectorIdlEEZNS1_25segmented_radix_sort_implIS3_Lb0EPKdPdPKlPlN2at6native12_GLOBAL__N_18offset_tEEE10hipError_tPvRmT1_PNSt15iterator_traitsISK_E10value_typeET2_T3_PNSL_ISQ_E10value_typeET4_jRbjT5_SW_jjP12ihipStream_tbEUlT_E2_NS1_11comp_targetILNS1_3genE10ELNS1_11target_archE1201ELNS1_3gpuE5ELNS1_3repE0EEENS1_30default_config_static_selectorELNS0_4arch9wavefront6targetE0EEEvSK_
                                        ; -- End function
	.set _ZN7rocprim17ROCPRIM_400000_NS6detail17trampoline_kernelINS0_14default_configENS1_36segmented_radix_sort_config_selectorIdlEEZNS1_25segmented_radix_sort_implIS3_Lb0EPKdPdPKlPlN2at6native12_GLOBAL__N_18offset_tEEE10hipError_tPvRmT1_PNSt15iterator_traitsISK_E10value_typeET2_T3_PNSL_ISQ_E10value_typeET4_jRbjT5_SW_jjP12ihipStream_tbEUlT_E2_NS1_11comp_targetILNS1_3genE10ELNS1_11target_archE1201ELNS1_3gpuE5ELNS1_3repE0EEENS1_30default_config_static_selectorELNS0_4arch9wavefront6targetE0EEEvSK_.num_vgpr, 0
	.set _ZN7rocprim17ROCPRIM_400000_NS6detail17trampoline_kernelINS0_14default_configENS1_36segmented_radix_sort_config_selectorIdlEEZNS1_25segmented_radix_sort_implIS3_Lb0EPKdPdPKlPlN2at6native12_GLOBAL__N_18offset_tEEE10hipError_tPvRmT1_PNSt15iterator_traitsISK_E10value_typeET2_T3_PNSL_ISQ_E10value_typeET4_jRbjT5_SW_jjP12ihipStream_tbEUlT_E2_NS1_11comp_targetILNS1_3genE10ELNS1_11target_archE1201ELNS1_3gpuE5ELNS1_3repE0EEENS1_30default_config_static_selectorELNS0_4arch9wavefront6targetE0EEEvSK_.num_agpr, 0
	.set _ZN7rocprim17ROCPRIM_400000_NS6detail17trampoline_kernelINS0_14default_configENS1_36segmented_radix_sort_config_selectorIdlEEZNS1_25segmented_radix_sort_implIS3_Lb0EPKdPdPKlPlN2at6native12_GLOBAL__N_18offset_tEEE10hipError_tPvRmT1_PNSt15iterator_traitsISK_E10value_typeET2_T3_PNSL_ISQ_E10value_typeET4_jRbjT5_SW_jjP12ihipStream_tbEUlT_E2_NS1_11comp_targetILNS1_3genE10ELNS1_11target_archE1201ELNS1_3gpuE5ELNS1_3repE0EEENS1_30default_config_static_selectorELNS0_4arch9wavefront6targetE0EEEvSK_.numbered_sgpr, 0
	.set _ZN7rocprim17ROCPRIM_400000_NS6detail17trampoline_kernelINS0_14default_configENS1_36segmented_radix_sort_config_selectorIdlEEZNS1_25segmented_radix_sort_implIS3_Lb0EPKdPdPKlPlN2at6native12_GLOBAL__N_18offset_tEEE10hipError_tPvRmT1_PNSt15iterator_traitsISK_E10value_typeET2_T3_PNSL_ISQ_E10value_typeET4_jRbjT5_SW_jjP12ihipStream_tbEUlT_E2_NS1_11comp_targetILNS1_3genE10ELNS1_11target_archE1201ELNS1_3gpuE5ELNS1_3repE0EEENS1_30default_config_static_selectorELNS0_4arch9wavefront6targetE0EEEvSK_.num_named_barrier, 0
	.set _ZN7rocprim17ROCPRIM_400000_NS6detail17trampoline_kernelINS0_14default_configENS1_36segmented_radix_sort_config_selectorIdlEEZNS1_25segmented_radix_sort_implIS3_Lb0EPKdPdPKlPlN2at6native12_GLOBAL__N_18offset_tEEE10hipError_tPvRmT1_PNSt15iterator_traitsISK_E10value_typeET2_T3_PNSL_ISQ_E10value_typeET4_jRbjT5_SW_jjP12ihipStream_tbEUlT_E2_NS1_11comp_targetILNS1_3genE10ELNS1_11target_archE1201ELNS1_3gpuE5ELNS1_3repE0EEENS1_30default_config_static_selectorELNS0_4arch9wavefront6targetE0EEEvSK_.private_seg_size, 0
	.set _ZN7rocprim17ROCPRIM_400000_NS6detail17trampoline_kernelINS0_14default_configENS1_36segmented_radix_sort_config_selectorIdlEEZNS1_25segmented_radix_sort_implIS3_Lb0EPKdPdPKlPlN2at6native12_GLOBAL__N_18offset_tEEE10hipError_tPvRmT1_PNSt15iterator_traitsISK_E10value_typeET2_T3_PNSL_ISQ_E10value_typeET4_jRbjT5_SW_jjP12ihipStream_tbEUlT_E2_NS1_11comp_targetILNS1_3genE10ELNS1_11target_archE1201ELNS1_3gpuE5ELNS1_3repE0EEENS1_30default_config_static_selectorELNS0_4arch9wavefront6targetE0EEEvSK_.uses_vcc, 0
	.set _ZN7rocprim17ROCPRIM_400000_NS6detail17trampoline_kernelINS0_14default_configENS1_36segmented_radix_sort_config_selectorIdlEEZNS1_25segmented_radix_sort_implIS3_Lb0EPKdPdPKlPlN2at6native12_GLOBAL__N_18offset_tEEE10hipError_tPvRmT1_PNSt15iterator_traitsISK_E10value_typeET2_T3_PNSL_ISQ_E10value_typeET4_jRbjT5_SW_jjP12ihipStream_tbEUlT_E2_NS1_11comp_targetILNS1_3genE10ELNS1_11target_archE1201ELNS1_3gpuE5ELNS1_3repE0EEENS1_30default_config_static_selectorELNS0_4arch9wavefront6targetE0EEEvSK_.uses_flat_scratch, 0
	.set _ZN7rocprim17ROCPRIM_400000_NS6detail17trampoline_kernelINS0_14default_configENS1_36segmented_radix_sort_config_selectorIdlEEZNS1_25segmented_radix_sort_implIS3_Lb0EPKdPdPKlPlN2at6native12_GLOBAL__N_18offset_tEEE10hipError_tPvRmT1_PNSt15iterator_traitsISK_E10value_typeET2_T3_PNSL_ISQ_E10value_typeET4_jRbjT5_SW_jjP12ihipStream_tbEUlT_E2_NS1_11comp_targetILNS1_3genE10ELNS1_11target_archE1201ELNS1_3gpuE5ELNS1_3repE0EEENS1_30default_config_static_selectorELNS0_4arch9wavefront6targetE0EEEvSK_.has_dyn_sized_stack, 0
	.set _ZN7rocprim17ROCPRIM_400000_NS6detail17trampoline_kernelINS0_14default_configENS1_36segmented_radix_sort_config_selectorIdlEEZNS1_25segmented_radix_sort_implIS3_Lb0EPKdPdPKlPlN2at6native12_GLOBAL__N_18offset_tEEE10hipError_tPvRmT1_PNSt15iterator_traitsISK_E10value_typeET2_T3_PNSL_ISQ_E10value_typeET4_jRbjT5_SW_jjP12ihipStream_tbEUlT_E2_NS1_11comp_targetILNS1_3genE10ELNS1_11target_archE1201ELNS1_3gpuE5ELNS1_3repE0EEENS1_30default_config_static_selectorELNS0_4arch9wavefront6targetE0EEEvSK_.has_recursion, 0
	.set _ZN7rocprim17ROCPRIM_400000_NS6detail17trampoline_kernelINS0_14default_configENS1_36segmented_radix_sort_config_selectorIdlEEZNS1_25segmented_radix_sort_implIS3_Lb0EPKdPdPKlPlN2at6native12_GLOBAL__N_18offset_tEEE10hipError_tPvRmT1_PNSt15iterator_traitsISK_E10value_typeET2_T3_PNSL_ISQ_E10value_typeET4_jRbjT5_SW_jjP12ihipStream_tbEUlT_E2_NS1_11comp_targetILNS1_3genE10ELNS1_11target_archE1201ELNS1_3gpuE5ELNS1_3repE0EEENS1_30default_config_static_selectorELNS0_4arch9wavefront6targetE0EEEvSK_.has_indirect_call, 0
	.section	.AMDGPU.csdata,"",@progbits
; Kernel info:
; codeLenInByte = 0
; TotalNumSgprs: 0
; NumVgprs: 0
; ScratchSize: 0
; MemoryBound: 0
; FloatMode: 240
; IeeeMode: 1
; LDSByteSize: 0 bytes/workgroup (compile time only)
; SGPRBlocks: 0
; VGPRBlocks: 0
; NumSGPRsForWavesPerEU: 1
; NumVGPRsForWavesPerEU: 1
; Occupancy: 16
; WaveLimiterHint : 0
; COMPUTE_PGM_RSRC2:SCRATCH_EN: 0
; COMPUTE_PGM_RSRC2:USER_SGPR: 6
; COMPUTE_PGM_RSRC2:TRAP_HANDLER: 0
; COMPUTE_PGM_RSRC2:TGID_X_EN: 1
; COMPUTE_PGM_RSRC2:TGID_Y_EN: 0
; COMPUTE_PGM_RSRC2:TGID_Z_EN: 0
; COMPUTE_PGM_RSRC2:TIDIG_COMP_CNT: 0
	.section	.text._ZN7rocprim17ROCPRIM_400000_NS6detail17trampoline_kernelINS0_14default_configENS1_36segmented_radix_sort_config_selectorIdlEEZNS1_25segmented_radix_sort_implIS3_Lb0EPKdPdPKlPlN2at6native12_GLOBAL__N_18offset_tEEE10hipError_tPvRmT1_PNSt15iterator_traitsISK_E10value_typeET2_T3_PNSL_ISQ_E10value_typeET4_jRbjT5_SW_jjP12ihipStream_tbEUlT_E2_NS1_11comp_targetILNS1_3genE10ELNS1_11target_archE1200ELNS1_3gpuE4ELNS1_3repE0EEENS1_30default_config_static_selectorELNS0_4arch9wavefront6targetE0EEEvSK_,"axG",@progbits,_ZN7rocprim17ROCPRIM_400000_NS6detail17trampoline_kernelINS0_14default_configENS1_36segmented_radix_sort_config_selectorIdlEEZNS1_25segmented_radix_sort_implIS3_Lb0EPKdPdPKlPlN2at6native12_GLOBAL__N_18offset_tEEE10hipError_tPvRmT1_PNSt15iterator_traitsISK_E10value_typeET2_T3_PNSL_ISQ_E10value_typeET4_jRbjT5_SW_jjP12ihipStream_tbEUlT_E2_NS1_11comp_targetILNS1_3genE10ELNS1_11target_archE1200ELNS1_3gpuE4ELNS1_3repE0EEENS1_30default_config_static_selectorELNS0_4arch9wavefront6targetE0EEEvSK_,comdat
	.globl	_ZN7rocprim17ROCPRIM_400000_NS6detail17trampoline_kernelINS0_14default_configENS1_36segmented_radix_sort_config_selectorIdlEEZNS1_25segmented_radix_sort_implIS3_Lb0EPKdPdPKlPlN2at6native12_GLOBAL__N_18offset_tEEE10hipError_tPvRmT1_PNSt15iterator_traitsISK_E10value_typeET2_T3_PNSL_ISQ_E10value_typeET4_jRbjT5_SW_jjP12ihipStream_tbEUlT_E2_NS1_11comp_targetILNS1_3genE10ELNS1_11target_archE1200ELNS1_3gpuE4ELNS1_3repE0EEENS1_30default_config_static_selectorELNS0_4arch9wavefront6targetE0EEEvSK_ ; -- Begin function _ZN7rocprim17ROCPRIM_400000_NS6detail17trampoline_kernelINS0_14default_configENS1_36segmented_radix_sort_config_selectorIdlEEZNS1_25segmented_radix_sort_implIS3_Lb0EPKdPdPKlPlN2at6native12_GLOBAL__N_18offset_tEEE10hipError_tPvRmT1_PNSt15iterator_traitsISK_E10value_typeET2_T3_PNSL_ISQ_E10value_typeET4_jRbjT5_SW_jjP12ihipStream_tbEUlT_E2_NS1_11comp_targetILNS1_3genE10ELNS1_11target_archE1200ELNS1_3gpuE4ELNS1_3repE0EEENS1_30default_config_static_selectorELNS0_4arch9wavefront6targetE0EEEvSK_
	.p2align	8
	.type	_ZN7rocprim17ROCPRIM_400000_NS6detail17trampoline_kernelINS0_14default_configENS1_36segmented_radix_sort_config_selectorIdlEEZNS1_25segmented_radix_sort_implIS3_Lb0EPKdPdPKlPlN2at6native12_GLOBAL__N_18offset_tEEE10hipError_tPvRmT1_PNSt15iterator_traitsISK_E10value_typeET2_T3_PNSL_ISQ_E10value_typeET4_jRbjT5_SW_jjP12ihipStream_tbEUlT_E2_NS1_11comp_targetILNS1_3genE10ELNS1_11target_archE1200ELNS1_3gpuE4ELNS1_3repE0EEENS1_30default_config_static_selectorELNS0_4arch9wavefront6targetE0EEEvSK_,@function
_ZN7rocprim17ROCPRIM_400000_NS6detail17trampoline_kernelINS0_14default_configENS1_36segmented_radix_sort_config_selectorIdlEEZNS1_25segmented_radix_sort_implIS3_Lb0EPKdPdPKlPlN2at6native12_GLOBAL__N_18offset_tEEE10hipError_tPvRmT1_PNSt15iterator_traitsISK_E10value_typeET2_T3_PNSL_ISQ_E10value_typeET4_jRbjT5_SW_jjP12ihipStream_tbEUlT_E2_NS1_11comp_targetILNS1_3genE10ELNS1_11target_archE1200ELNS1_3gpuE4ELNS1_3repE0EEENS1_30default_config_static_selectorELNS0_4arch9wavefront6targetE0EEEvSK_: ; @_ZN7rocprim17ROCPRIM_400000_NS6detail17trampoline_kernelINS0_14default_configENS1_36segmented_radix_sort_config_selectorIdlEEZNS1_25segmented_radix_sort_implIS3_Lb0EPKdPdPKlPlN2at6native12_GLOBAL__N_18offset_tEEE10hipError_tPvRmT1_PNSt15iterator_traitsISK_E10value_typeET2_T3_PNSL_ISQ_E10value_typeET4_jRbjT5_SW_jjP12ihipStream_tbEUlT_E2_NS1_11comp_targetILNS1_3genE10ELNS1_11target_archE1200ELNS1_3gpuE4ELNS1_3repE0EEENS1_30default_config_static_selectorELNS0_4arch9wavefront6targetE0EEEvSK_
; %bb.0:
	.section	.rodata,"a",@progbits
	.p2align	6, 0x0
	.amdhsa_kernel _ZN7rocprim17ROCPRIM_400000_NS6detail17trampoline_kernelINS0_14default_configENS1_36segmented_radix_sort_config_selectorIdlEEZNS1_25segmented_radix_sort_implIS3_Lb0EPKdPdPKlPlN2at6native12_GLOBAL__N_18offset_tEEE10hipError_tPvRmT1_PNSt15iterator_traitsISK_E10value_typeET2_T3_PNSL_ISQ_E10value_typeET4_jRbjT5_SW_jjP12ihipStream_tbEUlT_E2_NS1_11comp_targetILNS1_3genE10ELNS1_11target_archE1200ELNS1_3gpuE4ELNS1_3repE0EEENS1_30default_config_static_selectorELNS0_4arch9wavefront6targetE0EEEvSK_
		.amdhsa_group_segment_fixed_size 0
		.amdhsa_private_segment_fixed_size 0
		.amdhsa_kernarg_size 80
		.amdhsa_user_sgpr_count 6
		.amdhsa_user_sgpr_private_segment_buffer 1
		.amdhsa_user_sgpr_dispatch_ptr 0
		.amdhsa_user_sgpr_queue_ptr 0
		.amdhsa_user_sgpr_kernarg_segment_ptr 1
		.amdhsa_user_sgpr_dispatch_id 0
		.amdhsa_user_sgpr_flat_scratch_init 0
		.amdhsa_user_sgpr_private_segment_size 0
		.amdhsa_wavefront_size32 1
		.amdhsa_uses_dynamic_stack 0
		.amdhsa_system_sgpr_private_segment_wavefront_offset 0
		.amdhsa_system_sgpr_workgroup_id_x 1
		.amdhsa_system_sgpr_workgroup_id_y 0
		.amdhsa_system_sgpr_workgroup_id_z 0
		.amdhsa_system_sgpr_workgroup_info 0
		.amdhsa_system_vgpr_workitem_id 0
		.amdhsa_next_free_vgpr 1
		.amdhsa_next_free_sgpr 1
		.amdhsa_reserve_vcc 0
		.amdhsa_reserve_flat_scratch 0
		.amdhsa_float_round_mode_32 0
		.amdhsa_float_round_mode_16_64 0
		.amdhsa_float_denorm_mode_32 3
		.amdhsa_float_denorm_mode_16_64 3
		.amdhsa_dx10_clamp 1
		.amdhsa_ieee_mode 1
		.amdhsa_fp16_overflow 0
		.amdhsa_workgroup_processor_mode 1
		.amdhsa_memory_ordered 1
		.amdhsa_forward_progress 1
		.amdhsa_shared_vgpr_count 0
		.amdhsa_exception_fp_ieee_invalid_op 0
		.amdhsa_exception_fp_denorm_src 0
		.amdhsa_exception_fp_ieee_div_zero 0
		.amdhsa_exception_fp_ieee_overflow 0
		.amdhsa_exception_fp_ieee_underflow 0
		.amdhsa_exception_fp_ieee_inexact 0
		.amdhsa_exception_int_div_zero 0
	.end_amdhsa_kernel
	.section	.text._ZN7rocprim17ROCPRIM_400000_NS6detail17trampoline_kernelINS0_14default_configENS1_36segmented_radix_sort_config_selectorIdlEEZNS1_25segmented_radix_sort_implIS3_Lb0EPKdPdPKlPlN2at6native12_GLOBAL__N_18offset_tEEE10hipError_tPvRmT1_PNSt15iterator_traitsISK_E10value_typeET2_T3_PNSL_ISQ_E10value_typeET4_jRbjT5_SW_jjP12ihipStream_tbEUlT_E2_NS1_11comp_targetILNS1_3genE10ELNS1_11target_archE1200ELNS1_3gpuE4ELNS1_3repE0EEENS1_30default_config_static_selectorELNS0_4arch9wavefront6targetE0EEEvSK_,"axG",@progbits,_ZN7rocprim17ROCPRIM_400000_NS6detail17trampoline_kernelINS0_14default_configENS1_36segmented_radix_sort_config_selectorIdlEEZNS1_25segmented_radix_sort_implIS3_Lb0EPKdPdPKlPlN2at6native12_GLOBAL__N_18offset_tEEE10hipError_tPvRmT1_PNSt15iterator_traitsISK_E10value_typeET2_T3_PNSL_ISQ_E10value_typeET4_jRbjT5_SW_jjP12ihipStream_tbEUlT_E2_NS1_11comp_targetILNS1_3genE10ELNS1_11target_archE1200ELNS1_3gpuE4ELNS1_3repE0EEENS1_30default_config_static_selectorELNS0_4arch9wavefront6targetE0EEEvSK_,comdat
.Lfunc_end1249:
	.size	_ZN7rocprim17ROCPRIM_400000_NS6detail17trampoline_kernelINS0_14default_configENS1_36segmented_radix_sort_config_selectorIdlEEZNS1_25segmented_radix_sort_implIS3_Lb0EPKdPdPKlPlN2at6native12_GLOBAL__N_18offset_tEEE10hipError_tPvRmT1_PNSt15iterator_traitsISK_E10value_typeET2_T3_PNSL_ISQ_E10value_typeET4_jRbjT5_SW_jjP12ihipStream_tbEUlT_E2_NS1_11comp_targetILNS1_3genE10ELNS1_11target_archE1200ELNS1_3gpuE4ELNS1_3repE0EEENS1_30default_config_static_selectorELNS0_4arch9wavefront6targetE0EEEvSK_, .Lfunc_end1249-_ZN7rocprim17ROCPRIM_400000_NS6detail17trampoline_kernelINS0_14default_configENS1_36segmented_radix_sort_config_selectorIdlEEZNS1_25segmented_radix_sort_implIS3_Lb0EPKdPdPKlPlN2at6native12_GLOBAL__N_18offset_tEEE10hipError_tPvRmT1_PNSt15iterator_traitsISK_E10value_typeET2_T3_PNSL_ISQ_E10value_typeET4_jRbjT5_SW_jjP12ihipStream_tbEUlT_E2_NS1_11comp_targetILNS1_3genE10ELNS1_11target_archE1200ELNS1_3gpuE4ELNS1_3repE0EEENS1_30default_config_static_selectorELNS0_4arch9wavefront6targetE0EEEvSK_
                                        ; -- End function
	.set _ZN7rocprim17ROCPRIM_400000_NS6detail17trampoline_kernelINS0_14default_configENS1_36segmented_radix_sort_config_selectorIdlEEZNS1_25segmented_radix_sort_implIS3_Lb0EPKdPdPKlPlN2at6native12_GLOBAL__N_18offset_tEEE10hipError_tPvRmT1_PNSt15iterator_traitsISK_E10value_typeET2_T3_PNSL_ISQ_E10value_typeET4_jRbjT5_SW_jjP12ihipStream_tbEUlT_E2_NS1_11comp_targetILNS1_3genE10ELNS1_11target_archE1200ELNS1_3gpuE4ELNS1_3repE0EEENS1_30default_config_static_selectorELNS0_4arch9wavefront6targetE0EEEvSK_.num_vgpr, 0
	.set _ZN7rocprim17ROCPRIM_400000_NS6detail17trampoline_kernelINS0_14default_configENS1_36segmented_radix_sort_config_selectorIdlEEZNS1_25segmented_radix_sort_implIS3_Lb0EPKdPdPKlPlN2at6native12_GLOBAL__N_18offset_tEEE10hipError_tPvRmT1_PNSt15iterator_traitsISK_E10value_typeET2_T3_PNSL_ISQ_E10value_typeET4_jRbjT5_SW_jjP12ihipStream_tbEUlT_E2_NS1_11comp_targetILNS1_3genE10ELNS1_11target_archE1200ELNS1_3gpuE4ELNS1_3repE0EEENS1_30default_config_static_selectorELNS0_4arch9wavefront6targetE0EEEvSK_.num_agpr, 0
	.set _ZN7rocprim17ROCPRIM_400000_NS6detail17trampoline_kernelINS0_14default_configENS1_36segmented_radix_sort_config_selectorIdlEEZNS1_25segmented_radix_sort_implIS3_Lb0EPKdPdPKlPlN2at6native12_GLOBAL__N_18offset_tEEE10hipError_tPvRmT1_PNSt15iterator_traitsISK_E10value_typeET2_T3_PNSL_ISQ_E10value_typeET4_jRbjT5_SW_jjP12ihipStream_tbEUlT_E2_NS1_11comp_targetILNS1_3genE10ELNS1_11target_archE1200ELNS1_3gpuE4ELNS1_3repE0EEENS1_30default_config_static_selectorELNS0_4arch9wavefront6targetE0EEEvSK_.numbered_sgpr, 0
	.set _ZN7rocprim17ROCPRIM_400000_NS6detail17trampoline_kernelINS0_14default_configENS1_36segmented_radix_sort_config_selectorIdlEEZNS1_25segmented_radix_sort_implIS3_Lb0EPKdPdPKlPlN2at6native12_GLOBAL__N_18offset_tEEE10hipError_tPvRmT1_PNSt15iterator_traitsISK_E10value_typeET2_T3_PNSL_ISQ_E10value_typeET4_jRbjT5_SW_jjP12ihipStream_tbEUlT_E2_NS1_11comp_targetILNS1_3genE10ELNS1_11target_archE1200ELNS1_3gpuE4ELNS1_3repE0EEENS1_30default_config_static_selectorELNS0_4arch9wavefront6targetE0EEEvSK_.num_named_barrier, 0
	.set _ZN7rocprim17ROCPRIM_400000_NS6detail17trampoline_kernelINS0_14default_configENS1_36segmented_radix_sort_config_selectorIdlEEZNS1_25segmented_radix_sort_implIS3_Lb0EPKdPdPKlPlN2at6native12_GLOBAL__N_18offset_tEEE10hipError_tPvRmT1_PNSt15iterator_traitsISK_E10value_typeET2_T3_PNSL_ISQ_E10value_typeET4_jRbjT5_SW_jjP12ihipStream_tbEUlT_E2_NS1_11comp_targetILNS1_3genE10ELNS1_11target_archE1200ELNS1_3gpuE4ELNS1_3repE0EEENS1_30default_config_static_selectorELNS0_4arch9wavefront6targetE0EEEvSK_.private_seg_size, 0
	.set _ZN7rocprim17ROCPRIM_400000_NS6detail17trampoline_kernelINS0_14default_configENS1_36segmented_radix_sort_config_selectorIdlEEZNS1_25segmented_radix_sort_implIS3_Lb0EPKdPdPKlPlN2at6native12_GLOBAL__N_18offset_tEEE10hipError_tPvRmT1_PNSt15iterator_traitsISK_E10value_typeET2_T3_PNSL_ISQ_E10value_typeET4_jRbjT5_SW_jjP12ihipStream_tbEUlT_E2_NS1_11comp_targetILNS1_3genE10ELNS1_11target_archE1200ELNS1_3gpuE4ELNS1_3repE0EEENS1_30default_config_static_selectorELNS0_4arch9wavefront6targetE0EEEvSK_.uses_vcc, 0
	.set _ZN7rocprim17ROCPRIM_400000_NS6detail17trampoline_kernelINS0_14default_configENS1_36segmented_radix_sort_config_selectorIdlEEZNS1_25segmented_radix_sort_implIS3_Lb0EPKdPdPKlPlN2at6native12_GLOBAL__N_18offset_tEEE10hipError_tPvRmT1_PNSt15iterator_traitsISK_E10value_typeET2_T3_PNSL_ISQ_E10value_typeET4_jRbjT5_SW_jjP12ihipStream_tbEUlT_E2_NS1_11comp_targetILNS1_3genE10ELNS1_11target_archE1200ELNS1_3gpuE4ELNS1_3repE0EEENS1_30default_config_static_selectorELNS0_4arch9wavefront6targetE0EEEvSK_.uses_flat_scratch, 0
	.set _ZN7rocprim17ROCPRIM_400000_NS6detail17trampoline_kernelINS0_14default_configENS1_36segmented_radix_sort_config_selectorIdlEEZNS1_25segmented_radix_sort_implIS3_Lb0EPKdPdPKlPlN2at6native12_GLOBAL__N_18offset_tEEE10hipError_tPvRmT1_PNSt15iterator_traitsISK_E10value_typeET2_T3_PNSL_ISQ_E10value_typeET4_jRbjT5_SW_jjP12ihipStream_tbEUlT_E2_NS1_11comp_targetILNS1_3genE10ELNS1_11target_archE1200ELNS1_3gpuE4ELNS1_3repE0EEENS1_30default_config_static_selectorELNS0_4arch9wavefront6targetE0EEEvSK_.has_dyn_sized_stack, 0
	.set _ZN7rocprim17ROCPRIM_400000_NS6detail17trampoline_kernelINS0_14default_configENS1_36segmented_radix_sort_config_selectorIdlEEZNS1_25segmented_radix_sort_implIS3_Lb0EPKdPdPKlPlN2at6native12_GLOBAL__N_18offset_tEEE10hipError_tPvRmT1_PNSt15iterator_traitsISK_E10value_typeET2_T3_PNSL_ISQ_E10value_typeET4_jRbjT5_SW_jjP12ihipStream_tbEUlT_E2_NS1_11comp_targetILNS1_3genE10ELNS1_11target_archE1200ELNS1_3gpuE4ELNS1_3repE0EEENS1_30default_config_static_selectorELNS0_4arch9wavefront6targetE0EEEvSK_.has_recursion, 0
	.set _ZN7rocprim17ROCPRIM_400000_NS6detail17trampoline_kernelINS0_14default_configENS1_36segmented_radix_sort_config_selectorIdlEEZNS1_25segmented_radix_sort_implIS3_Lb0EPKdPdPKlPlN2at6native12_GLOBAL__N_18offset_tEEE10hipError_tPvRmT1_PNSt15iterator_traitsISK_E10value_typeET2_T3_PNSL_ISQ_E10value_typeET4_jRbjT5_SW_jjP12ihipStream_tbEUlT_E2_NS1_11comp_targetILNS1_3genE10ELNS1_11target_archE1200ELNS1_3gpuE4ELNS1_3repE0EEENS1_30default_config_static_selectorELNS0_4arch9wavefront6targetE0EEEvSK_.has_indirect_call, 0
	.section	.AMDGPU.csdata,"",@progbits
; Kernel info:
; codeLenInByte = 0
; TotalNumSgprs: 0
; NumVgprs: 0
; ScratchSize: 0
; MemoryBound: 0
; FloatMode: 240
; IeeeMode: 1
; LDSByteSize: 0 bytes/workgroup (compile time only)
; SGPRBlocks: 0
; VGPRBlocks: 0
; NumSGPRsForWavesPerEU: 1
; NumVGPRsForWavesPerEU: 1
; Occupancy: 16
; WaveLimiterHint : 0
; COMPUTE_PGM_RSRC2:SCRATCH_EN: 0
; COMPUTE_PGM_RSRC2:USER_SGPR: 6
; COMPUTE_PGM_RSRC2:TRAP_HANDLER: 0
; COMPUTE_PGM_RSRC2:TGID_X_EN: 1
; COMPUTE_PGM_RSRC2:TGID_Y_EN: 0
; COMPUTE_PGM_RSRC2:TGID_Z_EN: 0
; COMPUTE_PGM_RSRC2:TIDIG_COMP_CNT: 0
	.section	.text._ZN7rocprim17ROCPRIM_400000_NS6detail17trampoline_kernelINS0_14default_configENS1_36segmented_radix_sort_config_selectorIdlEEZNS1_25segmented_radix_sort_implIS3_Lb0EPKdPdPKlPlN2at6native12_GLOBAL__N_18offset_tEEE10hipError_tPvRmT1_PNSt15iterator_traitsISK_E10value_typeET2_T3_PNSL_ISQ_E10value_typeET4_jRbjT5_SW_jjP12ihipStream_tbEUlT_E2_NS1_11comp_targetILNS1_3genE9ELNS1_11target_archE1100ELNS1_3gpuE3ELNS1_3repE0EEENS1_30default_config_static_selectorELNS0_4arch9wavefront6targetE0EEEvSK_,"axG",@progbits,_ZN7rocprim17ROCPRIM_400000_NS6detail17trampoline_kernelINS0_14default_configENS1_36segmented_radix_sort_config_selectorIdlEEZNS1_25segmented_radix_sort_implIS3_Lb0EPKdPdPKlPlN2at6native12_GLOBAL__N_18offset_tEEE10hipError_tPvRmT1_PNSt15iterator_traitsISK_E10value_typeET2_T3_PNSL_ISQ_E10value_typeET4_jRbjT5_SW_jjP12ihipStream_tbEUlT_E2_NS1_11comp_targetILNS1_3genE9ELNS1_11target_archE1100ELNS1_3gpuE3ELNS1_3repE0EEENS1_30default_config_static_selectorELNS0_4arch9wavefront6targetE0EEEvSK_,comdat
	.globl	_ZN7rocprim17ROCPRIM_400000_NS6detail17trampoline_kernelINS0_14default_configENS1_36segmented_radix_sort_config_selectorIdlEEZNS1_25segmented_radix_sort_implIS3_Lb0EPKdPdPKlPlN2at6native12_GLOBAL__N_18offset_tEEE10hipError_tPvRmT1_PNSt15iterator_traitsISK_E10value_typeET2_T3_PNSL_ISQ_E10value_typeET4_jRbjT5_SW_jjP12ihipStream_tbEUlT_E2_NS1_11comp_targetILNS1_3genE9ELNS1_11target_archE1100ELNS1_3gpuE3ELNS1_3repE0EEENS1_30default_config_static_selectorELNS0_4arch9wavefront6targetE0EEEvSK_ ; -- Begin function _ZN7rocprim17ROCPRIM_400000_NS6detail17trampoline_kernelINS0_14default_configENS1_36segmented_radix_sort_config_selectorIdlEEZNS1_25segmented_radix_sort_implIS3_Lb0EPKdPdPKlPlN2at6native12_GLOBAL__N_18offset_tEEE10hipError_tPvRmT1_PNSt15iterator_traitsISK_E10value_typeET2_T3_PNSL_ISQ_E10value_typeET4_jRbjT5_SW_jjP12ihipStream_tbEUlT_E2_NS1_11comp_targetILNS1_3genE9ELNS1_11target_archE1100ELNS1_3gpuE3ELNS1_3repE0EEENS1_30default_config_static_selectorELNS0_4arch9wavefront6targetE0EEEvSK_
	.p2align	8
	.type	_ZN7rocprim17ROCPRIM_400000_NS6detail17trampoline_kernelINS0_14default_configENS1_36segmented_radix_sort_config_selectorIdlEEZNS1_25segmented_radix_sort_implIS3_Lb0EPKdPdPKlPlN2at6native12_GLOBAL__N_18offset_tEEE10hipError_tPvRmT1_PNSt15iterator_traitsISK_E10value_typeET2_T3_PNSL_ISQ_E10value_typeET4_jRbjT5_SW_jjP12ihipStream_tbEUlT_E2_NS1_11comp_targetILNS1_3genE9ELNS1_11target_archE1100ELNS1_3gpuE3ELNS1_3repE0EEENS1_30default_config_static_selectorELNS0_4arch9wavefront6targetE0EEEvSK_,@function
_ZN7rocprim17ROCPRIM_400000_NS6detail17trampoline_kernelINS0_14default_configENS1_36segmented_radix_sort_config_selectorIdlEEZNS1_25segmented_radix_sort_implIS3_Lb0EPKdPdPKlPlN2at6native12_GLOBAL__N_18offset_tEEE10hipError_tPvRmT1_PNSt15iterator_traitsISK_E10value_typeET2_T3_PNSL_ISQ_E10value_typeET4_jRbjT5_SW_jjP12ihipStream_tbEUlT_E2_NS1_11comp_targetILNS1_3genE9ELNS1_11target_archE1100ELNS1_3gpuE3ELNS1_3repE0EEENS1_30default_config_static_selectorELNS0_4arch9wavefront6targetE0EEEvSK_: ; @_ZN7rocprim17ROCPRIM_400000_NS6detail17trampoline_kernelINS0_14default_configENS1_36segmented_radix_sort_config_selectorIdlEEZNS1_25segmented_radix_sort_implIS3_Lb0EPKdPdPKlPlN2at6native12_GLOBAL__N_18offset_tEEE10hipError_tPvRmT1_PNSt15iterator_traitsISK_E10value_typeET2_T3_PNSL_ISQ_E10value_typeET4_jRbjT5_SW_jjP12ihipStream_tbEUlT_E2_NS1_11comp_targetILNS1_3genE9ELNS1_11target_archE1100ELNS1_3gpuE3ELNS1_3repE0EEENS1_30default_config_static_selectorELNS0_4arch9wavefront6targetE0EEEvSK_
; %bb.0:
	.section	.rodata,"a",@progbits
	.p2align	6, 0x0
	.amdhsa_kernel _ZN7rocprim17ROCPRIM_400000_NS6detail17trampoline_kernelINS0_14default_configENS1_36segmented_radix_sort_config_selectorIdlEEZNS1_25segmented_radix_sort_implIS3_Lb0EPKdPdPKlPlN2at6native12_GLOBAL__N_18offset_tEEE10hipError_tPvRmT1_PNSt15iterator_traitsISK_E10value_typeET2_T3_PNSL_ISQ_E10value_typeET4_jRbjT5_SW_jjP12ihipStream_tbEUlT_E2_NS1_11comp_targetILNS1_3genE9ELNS1_11target_archE1100ELNS1_3gpuE3ELNS1_3repE0EEENS1_30default_config_static_selectorELNS0_4arch9wavefront6targetE0EEEvSK_
		.amdhsa_group_segment_fixed_size 0
		.amdhsa_private_segment_fixed_size 0
		.amdhsa_kernarg_size 80
		.amdhsa_user_sgpr_count 6
		.amdhsa_user_sgpr_private_segment_buffer 1
		.amdhsa_user_sgpr_dispatch_ptr 0
		.amdhsa_user_sgpr_queue_ptr 0
		.amdhsa_user_sgpr_kernarg_segment_ptr 1
		.amdhsa_user_sgpr_dispatch_id 0
		.amdhsa_user_sgpr_flat_scratch_init 0
		.amdhsa_user_sgpr_private_segment_size 0
		.amdhsa_wavefront_size32 1
		.amdhsa_uses_dynamic_stack 0
		.amdhsa_system_sgpr_private_segment_wavefront_offset 0
		.amdhsa_system_sgpr_workgroup_id_x 1
		.amdhsa_system_sgpr_workgroup_id_y 0
		.amdhsa_system_sgpr_workgroup_id_z 0
		.amdhsa_system_sgpr_workgroup_info 0
		.amdhsa_system_vgpr_workitem_id 0
		.amdhsa_next_free_vgpr 1
		.amdhsa_next_free_sgpr 1
		.amdhsa_reserve_vcc 0
		.amdhsa_reserve_flat_scratch 0
		.amdhsa_float_round_mode_32 0
		.amdhsa_float_round_mode_16_64 0
		.amdhsa_float_denorm_mode_32 3
		.amdhsa_float_denorm_mode_16_64 3
		.amdhsa_dx10_clamp 1
		.amdhsa_ieee_mode 1
		.amdhsa_fp16_overflow 0
		.amdhsa_workgroup_processor_mode 1
		.amdhsa_memory_ordered 1
		.amdhsa_forward_progress 1
		.amdhsa_shared_vgpr_count 0
		.amdhsa_exception_fp_ieee_invalid_op 0
		.amdhsa_exception_fp_denorm_src 0
		.amdhsa_exception_fp_ieee_div_zero 0
		.amdhsa_exception_fp_ieee_overflow 0
		.amdhsa_exception_fp_ieee_underflow 0
		.amdhsa_exception_fp_ieee_inexact 0
		.amdhsa_exception_int_div_zero 0
	.end_amdhsa_kernel
	.section	.text._ZN7rocprim17ROCPRIM_400000_NS6detail17trampoline_kernelINS0_14default_configENS1_36segmented_radix_sort_config_selectorIdlEEZNS1_25segmented_radix_sort_implIS3_Lb0EPKdPdPKlPlN2at6native12_GLOBAL__N_18offset_tEEE10hipError_tPvRmT1_PNSt15iterator_traitsISK_E10value_typeET2_T3_PNSL_ISQ_E10value_typeET4_jRbjT5_SW_jjP12ihipStream_tbEUlT_E2_NS1_11comp_targetILNS1_3genE9ELNS1_11target_archE1100ELNS1_3gpuE3ELNS1_3repE0EEENS1_30default_config_static_selectorELNS0_4arch9wavefront6targetE0EEEvSK_,"axG",@progbits,_ZN7rocprim17ROCPRIM_400000_NS6detail17trampoline_kernelINS0_14default_configENS1_36segmented_radix_sort_config_selectorIdlEEZNS1_25segmented_radix_sort_implIS3_Lb0EPKdPdPKlPlN2at6native12_GLOBAL__N_18offset_tEEE10hipError_tPvRmT1_PNSt15iterator_traitsISK_E10value_typeET2_T3_PNSL_ISQ_E10value_typeET4_jRbjT5_SW_jjP12ihipStream_tbEUlT_E2_NS1_11comp_targetILNS1_3genE9ELNS1_11target_archE1100ELNS1_3gpuE3ELNS1_3repE0EEENS1_30default_config_static_selectorELNS0_4arch9wavefront6targetE0EEEvSK_,comdat
.Lfunc_end1250:
	.size	_ZN7rocprim17ROCPRIM_400000_NS6detail17trampoline_kernelINS0_14default_configENS1_36segmented_radix_sort_config_selectorIdlEEZNS1_25segmented_radix_sort_implIS3_Lb0EPKdPdPKlPlN2at6native12_GLOBAL__N_18offset_tEEE10hipError_tPvRmT1_PNSt15iterator_traitsISK_E10value_typeET2_T3_PNSL_ISQ_E10value_typeET4_jRbjT5_SW_jjP12ihipStream_tbEUlT_E2_NS1_11comp_targetILNS1_3genE9ELNS1_11target_archE1100ELNS1_3gpuE3ELNS1_3repE0EEENS1_30default_config_static_selectorELNS0_4arch9wavefront6targetE0EEEvSK_, .Lfunc_end1250-_ZN7rocprim17ROCPRIM_400000_NS6detail17trampoline_kernelINS0_14default_configENS1_36segmented_radix_sort_config_selectorIdlEEZNS1_25segmented_radix_sort_implIS3_Lb0EPKdPdPKlPlN2at6native12_GLOBAL__N_18offset_tEEE10hipError_tPvRmT1_PNSt15iterator_traitsISK_E10value_typeET2_T3_PNSL_ISQ_E10value_typeET4_jRbjT5_SW_jjP12ihipStream_tbEUlT_E2_NS1_11comp_targetILNS1_3genE9ELNS1_11target_archE1100ELNS1_3gpuE3ELNS1_3repE0EEENS1_30default_config_static_selectorELNS0_4arch9wavefront6targetE0EEEvSK_
                                        ; -- End function
	.set _ZN7rocprim17ROCPRIM_400000_NS6detail17trampoline_kernelINS0_14default_configENS1_36segmented_radix_sort_config_selectorIdlEEZNS1_25segmented_radix_sort_implIS3_Lb0EPKdPdPKlPlN2at6native12_GLOBAL__N_18offset_tEEE10hipError_tPvRmT1_PNSt15iterator_traitsISK_E10value_typeET2_T3_PNSL_ISQ_E10value_typeET4_jRbjT5_SW_jjP12ihipStream_tbEUlT_E2_NS1_11comp_targetILNS1_3genE9ELNS1_11target_archE1100ELNS1_3gpuE3ELNS1_3repE0EEENS1_30default_config_static_selectorELNS0_4arch9wavefront6targetE0EEEvSK_.num_vgpr, 0
	.set _ZN7rocprim17ROCPRIM_400000_NS6detail17trampoline_kernelINS0_14default_configENS1_36segmented_radix_sort_config_selectorIdlEEZNS1_25segmented_radix_sort_implIS3_Lb0EPKdPdPKlPlN2at6native12_GLOBAL__N_18offset_tEEE10hipError_tPvRmT1_PNSt15iterator_traitsISK_E10value_typeET2_T3_PNSL_ISQ_E10value_typeET4_jRbjT5_SW_jjP12ihipStream_tbEUlT_E2_NS1_11comp_targetILNS1_3genE9ELNS1_11target_archE1100ELNS1_3gpuE3ELNS1_3repE0EEENS1_30default_config_static_selectorELNS0_4arch9wavefront6targetE0EEEvSK_.num_agpr, 0
	.set _ZN7rocprim17ROCPRIM_400000_NS6detail17trampoline_kernelINS0_14default_configENS1_36segmented_radix_sort_config_selectorIdlEEZNS1_25segmented_radix_sort_implIS3_Lb0EPKdPdPKlPlN2at6native12_GLOBAL__N_18offset_tEEE10hipError_tPvRmT1_PNSt15iterator_traitsISK_E10value_typeET2_T3_PNSL_ISQ_E10value_typeET4_jRbjT5_SW_jjP12ihipStream_tbEUlT_E2_NS1_11comp_targetILNS1_3genE9ELNS1_11target_archE1100ELNS1_3gpuE3ELNS1_3repE0EEENS1_30default_config_static_selectorELNS0_4arch9wavefront6targetE0EEEvSK_.numbered_sgpr, 0
	.set _ZN7rocprim17ROCPRIM_400000_NS6detail17trampoline_kernelINS0_14default_configENS1_36segmented_radix_sort_config_selectorIdlEEZNS1_25segmented_radix_sort_implIS3_Lb0EPKdPdPKlPlN2at6native12_GLOBAL__N_18offset_tEEE10hipError_tPvRmT1_PNSt15iterator_traitsISK_E10value_typeET2_T3_PNSL_ISQ_E10value_typeET4_jRbjT5_SW_jjP12ihipStream_tbEUlT_E2_NS1_11comp_targetILNS1_3genE9ELNS1_11target_archE1100ELNS1_3gpuE3ELNS1_3repE0EEENS1_30default_config_static_selectorELNS0_4arch9wavefront6targetE0EEEvSK_.num_named_barrier, 0
	.set _ZN7rocprim17ROCPRIM_400000_NS6detail17trampoline_kernelINS0_14default_configENS1_36segmented_radix_sort_config_selectorIdlEEZNS1_25segmented_radix_sort_implIS3_Lb0EPKdPdPKlPlN2at6native12_GLOBAL__N_18offset_tEEE10hipError_tPvRmT1_PNSt15iterator_traitsISK_E10value_typeET2_T3_PNSL_ISQ_E10value_typeET4_jRbjT5_SW_jjP12ihipStream_tbEUlT_E2_NS1_11comp_targetILNS1_3genE9ELNS1_11target_archE1100ELNS1_3gpuE3ELNS1_3repE0EEENS1_30default_config_static_selectorELNS0_4arch9wavefront6targetE0EEEvSK_.private_seg_size, 0
	.set _ZN7rocprim17ROCPRIM_400000_NS6detail17trampoline_kernelINS0_14default_configENS1_36segmented_radix_sort_config_selectorIdlEEZNS1_25segmented_radix_sort_implIS3_Lb0EPKdPdPKlPlN2at6native12_GLOBAL__N_18offset_tEEE10hipError_tPvRmT1_PNSt15iterator_traitsISK_E10value_typeET2_T3_PNSL_ISQ_E10value_typeET4_jRbjT5_SW_jjP12ihipStream_tbEUlT_E2_NS1_11comp_targetILNS1_3genE9ELNS1_11target_archE1100ELNS1_3gpuE3ELNS1_3repE0EEENS1_30default_config_static_selectorELNS0_4arch9wavefront6targetE0EEEvSK_.uses_vcc, 0
	.set _ZN7rocprim17ROCPRIM_400000_NS6detail17trampoline_kernelINS0_14default_configENS1_36segmented_radix_sort_config_selectorIdlEEZNS1_25segmented_radix_sort_implIS3_Lb0EPKdPdPKlPlN2at6native12_GLOBAL__N_18offset_tEEE10hipError_tPvRmT1_PNSt15iterator_traitsISK_E10value_typeET2_T3_PNSL_ISQ_E10value_typeET4_jRbjT5_SW_jjP12ihipStream_tbEUlT_E2_NS1_11comp_targetILNS1_3genE9ELNS1_11target_archE1100ELNS1_3gpuE3ELNS1_3repE0EEENS1_30default_config_static_selectorELNS0_4arch9wavefront6targetE0EEEvSK_.uses_flat_scratch, 0
	.set _ZN7rocprim17ROCPRIM_400000_NS6detail17trampoline_kernelINS0_14default_configENS1_36segmented_radix_sort_config_selectorIdlEEZNS1_25segmented_radix_sort_implIS3_Lb0EPKdPdPKlPlN2at6native12_GLOBAL__N_18offset_tEEE10hipError_tPvRmT1_PNSt15iterator_traitsISK_E10value_typeET2_T3_PNSL_ISQ_E10value_typeET4_jRbjT5_SW_jjP12ihipStream_tbEUlT_E2_NS1_11comp_targetILNS1_3genE9ELNS1_11target_archE1100ELNS1_3gpuE3ELNS1_3repE0EEENS1_30default_config_static_selectorELNS0_4arch9wavefront6targetE0EEEvSK_.has_dyn_sized_stack, 0
	.set _ZN7rocprim17ROCPRIM_400000_NS6detail17trampoline_kernelINS0_14default_configENS1_36segmented_radix_sort_config_selectorIdlEEZNS1_25segmented_radix_sort_implIS3_Lb0EPKdPdPKlPlN2at6native12_GLOBAL__N_18offset_tEEE10hipError_tPvRmT1_PNSt15iterator_traitsISK_E10value_typeET2_T3_PNSL_ISQ_E10value_typeET4_jRbjT5_SW_jjP12ihipStream_tbEUlT_E2_NS1_11comp_targetILNS1_3genE9ELNS1_11target_archE1100ELNS1_3gpuE3ELNS1_3repE0EEENS1_30default_config_static_selectorELNS0_4arch9wavefront6targetE0EEEvSK_.has_recursion, 0
	.set _ZN7rocprim17ROCPRIM_400000_NS6detail17trampoline_kernelINS0_14default_configENS1_36segmented_radix_sort_config_selectorIdlEEZNS1_25segmented_radix_sort_implIS3_Lb0EPKdPdPKlPlN2at6native12_GLOBAL__N_18offset_tEEE10hipError_tPvRmT1_PNSt15iterator_traitsISK_E10value_typeET2_T3_PNSL_ISQ_E10value_typeET4_jRbjT5_SW_jjP12ihipStream_tbEUlT_E2_NS1_11comp_targetILNS1_3genE9ELNS1_11target_archE1100ELNS1_3gpuE3ELNS1_3repE0EEENS1_30default_config_static_selectorELNS0_4arch9wavefront6targetE0EEEvSK_.has_indirect_call, 0
	.section	.AMDGPU.csdata,"",@progbits
; Kernel info:
; codeLenInByte = 0
; TotalNumSgprs: 0
; NumVgprs: 0
; ScratchSize: 0
; MemoryBound: 0
; FloatMode: 240
; IeeeMode: 1
; LDSByteSize: 0 bytes/workgroup (compile time only)
; SGPRBlocks: 0
; VGPRBlocks: 0
; NumSGPRsForWavesPerEU: 1
; NumVGPRsForWavesPerEU: 1
; Occupancy: 16
; WaveLimiterHint : 0
; COMPUTE_PGM_RSRC2:SCRATCH_EN: 0
; COMPUTE_PGM_RSRC2:USER_SGPR: 6
; COMPUTE_PGM_RSRC2:TRAP_HANDLER: 0
; COMPUTE_PGM_RSRC2:TGID_X_EN: 1
; COMPUTE_PGM_RSRC2:TGID_Y_EN: 0
; COMPUTE_PGM_RSRC2:TGID_Z_EN: 0
; COMPUTE_PGM_RSRC2:TIDIG_COMP_CNT: 0
	.section	.text._ZN7rocprim17ROCPRIM_400000_NS6detail17trampoline_kernelINS0_14default_configENS1_36segmented_radix_sort_config_selectorIdlEEZNS1_25segmented_radix_sort_implIS3_Lb0EPKdPdPKlPlN2at6native12_GLOBAL__N_18offset_tEEE10hipError_tPvRmT1_PNSt15iterator_traitsISK_E10value_typeET2_T3_PNSL_ISQ_E10value_typeET4_jRbjT5_SW_jjP12ihipStream_tbEUlT_E2_NS1_11comp_targetILNS1_3genE8ELNS1_11target_archE1030ELNS1_3gpuE2ELNS1_3repE0EEENS1_30default_config_static_selectorELNS0_4arch9wavefront6targetE0EEEvSK_,"axG",@progbits,_ZN7rocprim17ROCPRIM_400000_NS6detail17trampoline_kernelINS0_14default_configENS1_36segmented_radix_sort_config_selectorIdlEEZNS1_25segmented_radix_sort_implIS3_Lb0EPKdPdPKlPlN2at6native12_GLOBAL__N_18offset_tEEE10hipError_tPvRmT1_PNSt15iterator_traitsISK_E10value_typeET2_T3_PNSL_ISQ_E10value_typeET4_jRbjT5_SW_jjP12ihipStream_tbEUlT_E2_NS1_11comp_targetILNS1_3genE8ELNS1_11target_archE1030ELNS1_3gpuE2ELNS1_3repE0EEENS1_30default_config_static_selectorELNS0_4arch9wavefront6targetE0EEEvSK_,comdat
	.globl	_ZN7rocprim17ROCPRIM_400000_NS6detail17trampoline_kernelINS0_14default_configENS1_36segmented_radix_sort_config_selectorIdlEEZNS1_25segmented_radix_sort_implIS3_Lb0EPKdPdPKlPlN2at6native12_GLOBAL__N_18offset_tEEE10hipError_tPvRmT1_PNSt15iterator_traitsISK_E10value_typeET2_T3_PNSL_ISQ_E10value_typeET4_jRbjT5_SW_jjP12ihipStream_tbEUlT_E2_NS1_11comp_targetILNS1_3genE8ELNS1_11target_archE1030ELNS1_3gpuE2ELNS1_3repE0EEENS1_30default_config_static_selectorELNS0_4arch9wavefront6targetE0EEEvSK_ ; -- Begin function _ZN7rocprim17ROCPRIM_400000_NS6detail17trampoline_kernelINS0_14default_configENS1_36segmented_radix_sort_config_selectorIdlEEZNS1_25segmented_radix_sort_implIS3_Lb0EPKdPdPKlPlN2at6native12_GLOBAL__N_18offset_tEEE10hipError_tPvRmT1_PNSt15iterator_traitsISK_E10value_typeET2_T3_PNSL_ISQ_E10value_typeET4_jRbjT5_SW_jjP12ihipStream_tbEUlT_E2_NS1_11comp_targetILNS1_3genE8ELNS1_11target_archE1030ELNS1_3gpuE2ELNS1_3repE0EEENS1_30default_config_static_selectorELNS0_4arch9wavefront6targetE0EEEvSK_
	.p2align	8
	.type	_ZN7rocprim17ROCPRIM_400000_NS6detail17trampoline_kernelINS0_14default_configENS1_36segmented_radix_sort_config_selectorIdlEEZNS1_25segmented_radix_sort_implIS3_Lb0EPKdPdPKlPlN2at6native12_GLOBAL__N_18offset_tEEE10hipError_tPvRmT1_PNSt15iterator_traitsISK_E10value_typeET2_T3_PNSL_ISQ_E10value_typeET4_jRbjT5_SW_jjP12ihipStream_tbEUlT_E2_NS1_11comp_targetILNS1_3genE8ELNS1_11target_archE1030ELNS1_3gpuE2ELNS1_3repE0EEENS1_30default_config_static_selectorELNS0_4arch9wavefront6targetE0EEEvSK_,@function
_ZN7rocprim17ROCPRIM_400000_NS6detail17trampoline_kernelINS0_14default_configENS1_36segmented_radix_sort_config_selectorIdlEEZNS1_25segmented_radix_sort_implIS3_Lb0EPKdPdPKlPlN2at6native12_GLOBAL__N_18offset_tEEE10hipError_tPvRmT1_PNSt15iterator_traitsISK_E10value_typeET2_T3_PNSL_ISQ_E10value_typeET4_jRbjT5_SW_jjP12ihipStream_tbEUlT_E2_NS1_11comp_targetILNS1_3genE8ELNS1_11target_archE1030ELNS1_3gpuE2ELNS1_3repE0EEENS1_30default_config_static_selectorELNS0_4arch9wavefront6targetE0EEEvSK_: ; @_ZN7rocprim17ROCPRIM_400000_NS6detail17trampoline_kernelINS0_14default_configENS1_36segmented_radix_sort_config_selectorIdlEEZNS1_25segmented_radix_sort_implIS3_Lb0EPKdPdPKlPlN2at6native12_GLOBAL__N_18offset_tEEE10hipError_tPvRmT1_PNSt15iterator_traitsISK_E10value_typeET2_T3_PNSL_ISQ_E10value_typeET4_jRbjT5_SW_jjP12ihipStream_tbEUlT_E2_NS1_11comp_targetILNS1_3genE8ELNS1_11target_archE1030ELNS1_3gpuE2ELNS1_3repE0EEENS1_30default_config_static_selectorELNS0_4arch9wavefront6targetE0EEEvSK_
; %bb.0:
	s_add_u32 s0, s0, s8
	s_load_dwordx4 s[8:11], s[4:5], 0x34
	s_addc_u32 s1, s1, 0
	s_mov_b32 s32, 0
	s_waitcnt lgkmcnt(0)
	s_add_i32 s60, s9, s6
	s_add_i32 s61, s11, s6
	s_mul_i32 s60, s60, s8
	s_mul_i32 s61, s61, s10
	s_cmp_le_u32 s61, s60
	s_cbranch_scc1 .LBB1251_1198
; %bb.1:
	s_clause 0x3
	s_load_dword s8, s[4:5], 0x30
	s_load_dwordx4 s[48:51], s[4:5], 0x20
	s_load_dwordx4 s[52:55], s[4:5], 0x44
	s_load_dwordx8 s[40:47], s[4:5], 0x0
	s_waitcnt lgkmcnt(0)
	s_bitcmp1_b32 s8, 0
	s_mov_b32 s8, -1
	s_cselect_b32 s55, -1, 0
	s_sub_i32 s62, s61, s60
	s_cmpk_lt_u32 s62, 0x1001
	s_cbranch_scc0 .LBB1251_15
; %bb.2:
	s_cmpk_lt_u32 s62, 0x41
	s_cbranch_scc0 .LBB1251_9
; %bb.3:
	s_load_dword s8, s[4:5], 0x5c
	s_mov_b32 s23, exec_lo
	s_waitcnt lgkmcnt(0)
	s_lshr_b32 s9, s8, 16
	s_and_b32 s8, s8, 0xffff
	v_mad_u32_u24 v3, v2, s9, v1
	v_mad_u64_u32 v[3:4], null, v3, s8, v[0:1]
	v_cmpx_gt_u32_e32 8, v3
	s_cbranch_execz .LBB1251_8
; %bb.4:
	v_cndmask_b32_e64 v3, 0, 1, s55
	s_and_b32 s8, s52, 1
	v_cmp_ne_u32_e32 vcc_lo, s8, v3
	s_mov_b32 s8, -1
	s_cbranch_vccnz .LBB1251_6
; %bb.5:
	v_lshlrev_b32_e32 v3, 20, v2
	v_lshlrev_b32_e32 v4, 10, v1
	s_mov_b64 s[10:11], src_shared_base
	v_mov_b32_e32 v40, v0
	v_mov_b32_e32 v41, v1
	;; [unrolled: 1-line block ×3, first 2 shown]
	v_or3_b32 v31, v0, v4, v3
	v_mov_b32_e32 v0, s40
	v_mov_b32_e32 v42, v2
	;; [unrolled: 1-line block ×12, first 2 shown]
	s_add_u32 s8, s4, 0x50
	s_addc_u32 s9, s5, 0
	s_getpc_b64 s[14:15]
	s_add_u32 s14, s14, _ZN7rocprim17ROCPRIM_400000_NS6detail26segmented_warp_sort_helperINS1_20WarpSortHelperConfigILj8ELj8ELj256EEEdlLi256ELb0EvE4sortIPKdPdPKlPlEEvT_T0_T1_T2_jjjjRNS5_12storage_typeE@rel32@lo+4
	s_addc_u32 s15, s15, _ZN7rocprim17ROCPRIM_400000_NS6detail26segmented_warp_sort_helperINS1_20WarpSortHelperConfigILj8ELj8ELj256EEEdlLi256ELb0EvE4sortIPKdPdPKlPlEEvT_T0_T1_T2_jjjjRNS5_12storage_typeE@rel32@hi+12
	s_mov_b32 s12, s6
	s_mov_b32 s13, s7
	s_mov_b64 s[24:25], s[4:5]
	s_mov_b32 s26, s7
	s_mov_b32 s27, s6
	s_swappc_b64 s[30:31], s[14:15]
	v_mov_b32_e32 v1, v41
	v_mov_b32_e32 v2, v42
	;; [unrolled: 1-line block ×3, first 2 shown]
	s_mov_b32 s6, s27
	s_mov_b32 s7, s26
	s_mov_b64 s[4:5], s[24:25]
	s_mov_b32 s8, 0
.LBB1251_6:
	s_andn2_b32 vcc_lo, exec_lo, s8
	s_cbranch_vccnz .LBB1251_8
; %bb.7:
	v_lshlrev_b32_e32 v3, 20, v2
	v_lshlrev_b32_e32 v4, 10, v1
	s_mov_b64 s[10:11], src_shared_base
	v_mov_b32_e32 v40, v0
	v_mov_b32_e32 v41, v1
	;; [unrolled: 1-line block ×3, first 2 shown]
	v_or3_b32 v31, v0, v4, v3
	v_mov_b32_e32 v0, s40
	v_mov_b32_e32 v42, v2
	;; [unrolled: 1-line block ×12, first 2 shown]
	s_add_u32 s8, s4, 0x50
	s_addc_u32 s9, s5, 0
	s_getpc_b64 s[14:15]
	s_add_u32 s14, s14, _ZN7rocprim17ROCPRIM_400000_NS6detail26segmented_warp_sort_helperINS1_20WarpSortHelperConfigILj8ELj8ELj256EEEdlLi256ELb0EvE4sortIPKdPdPKlPlEEvT_T0_T1_T2_jjjjRNS5_12storage_typeE@rel32@lo+4
	s_addc_u32 s15, s15, _ZN7rocprim17ROCPRIM_400000_NS6detail26segmented_warp_sort_helperINS1_20WarpSortHelperConfigILj8ELj8ELj256EEEdlLi256ELb0EvE4sortIPKdPdPKlPlEEvT_T0_T1_T2_jjjjRNS5_12storage_typeE@rel32@hi+12
	s_mov_b32 s12, s6
	s_mov_b32 s13, s7
	s_mov_b64 s[24:25], s[4:5]
	s_mov_b32 s27, s7
	s_mov_b32 s26, s6
	s_swappc_b64 s[30:31], s[14:15]
	v_mov_b32_e32 v1, v41
	v_mov_b32_e32 v2, v42
	;; [unrolled: 1-line block ×3, first 2 shown]
	s_mov_b32 s6, s26
	s_mov_b32 s7, s27
	s_mov_b64 s[4:5], s[24:25]
.LBB1251_8:
	s_or_b32 exec_lo, exec_lo, s23
	s_mov_b32 s8, 0
.LBB1251_9:
	s_andn2_b32 vcc_lo, exec_lo, s8
	s_cbranch_vccnz .LBB1251_14
; %bb.10:
	v_cndmask_b32_e64 v3, 0, 1, s55
	s_and_b32 s8, s52, 1
	v_lshlrev_b32_e32 v41, 20, v2
	v_lshlrev_b32_e32 v42, 10, v1
	v_cmp_ne_u32_e32 vcc_lo, s8, v3
	s_mov_b32 s8, -1
	s_cbranch_vccnz .LBB1251_12
; %bb.11:
	s_mov_b64 s[10:11], src_shared_base
	v_or3_b32 v31, v0, v42, v41
	v_mov_b32_e32 v40, v0
	v_mov_b32_e32 v0, s40
	v_mov_b32_e32 v43, v1
	v_mov_b32_e32 v1, s41
	v_mov_b32_e32 v44, v2
	v_mov_b32_e32 v2, s44
	v_mov_b32_e32 v3, s45
	v_mov_b32_e32 v4, s46
	v_mov_b32_e32 v5, s47
	v_mov_b32_e32 v6, s50
	v_mov_b32_e32 v7, s51
	v_mov_b32_e32 v8, s60
	v_mov_b32_e32 v9, s61
	v_mov_b32_e32 v10, s53
	v_mov_b32_e32 v11, s54
	v_mov_b32_e32 v12, 0
	v_mov_b32_e32 v13, s11
	s_add_u32 s8, s4, 0x50
	s_addc_u32 s9, s5, 0
	s_getpc_b64 s[14:15]
	s_add_u32 s14, s14, _ZN7rocprim17ROCPRIM_400000_NS6detail40segmented_radix_sort_single_block_helperIdlLj256ELj16ELb0EE4sortIPKdPdPKlPlEEbT_T0_T1_T2_jjjjRNS3_12storage_typeE@rel32@lo+4
	s_addc_u32 s15, s15, _ZN7rocprim17ROCPRIM_400000_NS6detail40segmented_radix_sort_single_block_helperIdlLj256ELj16ELb0EE4sortIPKdPdPKlPlEEbT_T0_T1_T2_jjjjRNS3_12storage_typeE@rel32@hi+12
	s_mov_b32 s12, s6
	s_mov_b32 s13, s7
	s_mov_b64 s[34:35], s[4:5]
	s_mov_b32 s29, s7
	s_mov_b32 s33, s6
	s_swappc_b64 s[30:31], s[14:15]
	v_mov_b32_e32 v1, v43
	v_mov_b32_e32 v2, v44
	;; [unrolled: 1-line block ×3, first 2 shown]
	s_mov_b32 s6, s33
	s_mov_b32 s7, s29
	s_mov_b64 s[4:5], s[34:35]
	s_mov_b32 s8, 0
.LBB1251_12:
	s_andn2_b32 vcc_lo, exec_lo, s8
	s_cbranch_vccnz .LBB1251_14
; %bb.13:
	s_mov_b64 s[10:11], src_shared_base
	v_or3_b32 v31, v0, v42, v41
	v_mov_b32_e32 v40, v0
	v_mov_b32_e32 v0, s40
	;; [unrolled: 1-line block ×17, first 2 shown]
	s_add_u32 s8, s4, 0x50
	s_addc_u32 s9, s5, 0
	s_getpc_b64 s[14:15]
	s_add_u32 s14, s14, _ZN7rocprim17ROCPRIM_400000_NS6detail40segmented_radix_sort_single_block_helperIdlLj256ELj16ELb0EE4sortIPKdPdPKlPlEEbT_T0_T1_T2_jjjjRNS3_12storage_typeE@rel32@lo+4
	s_addc_u32 s15, s15, _ZN7rocprim17ROCPRIM_400000_NS6detail40segmented_radix_sort_single_block_helperIdlLj256ELj16ELb0EE4sortIPKdPdPKlPlEEbT_T0_T1_T2_jjjjRNS3_12storage_typeE@rel32@hi+12
	s_mov_b32 s12, s6
	s_mov_b32 s13, s7
	s_mov_b64 s[34:35], s[4:5]
	s_mov_b32 s33, s7
	s_mov_b32 s29, s6
	s_swappc_b64 s[30:31], s[14:15]
	v_mov_b32_e32 v1, v41
	v_mov_b32_e32 v2, v42
	;; [unrolled: 1-line block ×3, first 2 shown]
	s_mov_b32 s6, s29
	s_mov_b32 s7, s33
	s_mov_b64 s[4:5], s[34:35]
.LBB1251_14:
	s_mov_b32 s8, 0
.LBB1251_15:
	s_andn2_b32 vcc_lo, exec_lo, s8
	s_cbranch_vccnz .LBB1251_1198
; %bb.16:
	s_cmp_ge_u32 s53, s54
	s_cbranch_scc1 .LBB1251_1198
; %bb.17:
	v_and_b32_e32 v6, 0xe0, v0
	v_and_b32_e32 v5, 3, v0
	v_lshlrev_b32_e32 v75, 2, v0
	v_lshlrev_b32_e32 v3, 3, v0
	v_lshrrev_b32_e32 v8, 3, v0
	v_min_u32_e32 v7, 0x60, v6
	v_lshlrev_b32_e32 v93, 2, v5
	v_mad_u32_u24 v95, v0, 12, v75
	v_or_b32_e32 v76, 0x100, v0
	v_or_b32_e32 v79, 0x200, v0
	;; [unrolled: 1-line block ×3, first 2 shown]
	v_lshlrev_b32_e32 v7, 4, v0
	v_add_nc_u32_e32 v100, v95, v75
	v_or_b32_e32 v80, 0x300, v0
	v_or_b32_e32 v81, 0x400, v0
	v_cmp_eq_u32_e64 s9, v0, v5
	v_and_b32_e32 v99, 0xe00, v7
	v_or_b32_e32 v5, 31, v6
	v_sub_nc_u32_e32 v101, v100, v7
	v_or_b32_e32 v82, 0x500, v0
	v_and_b32_e32 v94, 28, v8
	v_lshlrev_b32_e32 v6, 3, v99
	s_add_u32 s58, s4, 0x50
	v_cmp_eq_u32_e64 s4, v0, v5
	v_add_nc_u32_e32 v5, 1, v0
	v_lshl_add_u32 v103, v0, 5, v101
	v_add_co_u32 v104, s14, s50, v6
	v_add_co_ci_u32_e64 v105, null, s51, 0, s14
	v_add_co_u32 v106, s14, s44, v6
	v_add_co_ci_u32_e64 v107, null, s45, 0, s14
	;; [unrolled: 2-line block ×6, first 2 shown]
	v_add_co_u32 v117, s14, s46, v6
	v_add_co_u32 v77, s8, s44, v3
	v_add_co_ci_u32_e64 v118, null, s47, 0, s14
	v_add_co_u32 v119, s14, s40, v6
	v_mov_b32_e32 v4, 0
	v_add_co_ci_u32_e64 v78, null, s45, 0, s8
	v_or_b32_e32 v83, 0x600, v0
	v_or_b32_e32 v84, 0x700, v0
	;; [unrolled: 1-line block ×10, first 2 shown]
	v_cmp_gt_u32_e64 s8, 0x80, v0
	v_or_b32_e32 v96, 0x8200, v94
	v_cmp_gt_u32_e64 s10, 4, v0
	v_add_nc_u32_e32 v97, 0x8200, v75
	v_cmp_lt_u32_e64 s11, 31, v0
	v_add_nc_u32_e32 v98, 0x81fc, v94
	s_addc_u32 s59, s5, 0
	v_cmp_gt_u32_e64 s5, 8, v0
	v_cmp_eq_u32_e64 s12, 0, v0
	v_mul_u32_u24_e32 v102, 36, v5
	v_cmp_ne_u32_e64 s13, 0x80, v5
	v_mad_i32_i24 v108, 0xffffffe4, v0, v103
	v_add_co_ci_u32_e64 v120, null, s41, 0, s14
	v_mov_b32_e32 v121, 1
	v_lshlrev_b32_e32 v122, 3, v0
	v_lshlrev_b32_e32 v123, 3, v76
	;; [unrolled: 1-line block ×6, first 2 shown]
	v_mbcnt_lo_u32_b32 v128, -1, 0
	v_mov_b32_e32 v5, -1
	v_bfrev_b32_e32 v6, -2
	s_mov_b32 s46, -1
	s_mov_b32 s57, 0
	s_mov_b32 s52, s53
	s_brev_b32 s47, -2
	s_mov_b32 s63, s53
	s_branch .LBB1251_20
.LBB1251_18:                            ;   in Loop: Header=BB1251_20 Depth=1
	s_waitcnt lgkmcnt(0)
	s_barrier
.LBB1251_19:                            ;   in Loop: Header=BB1251_20 Depth=1
	s_add_i32 s63, s63, 7
	buffer_gl0_inv
	s_cmp_ge_u32 s63, s54
	s_cbranch_scc1 .LBB1251_1198
.LBB1251_20:                            ; =>This Loop Header: Depth=1
                                        ;     Child Loop BB1251_24 Depth 2
                                        ;     Child Loop BB1251_104 Depth 2
	;; [unrolled: 1-line block ×8, first 2 shown]
	s_sub_i32 s14, s54, s63
	s_xor_b32 s55, s55, -1
	s_min_u32 s64, s14, 7
	s_cmp_lg_u32 s63, s53
	s_mov_b32 s14, s46
	ds_write2st64_b32 v75, v4, v4 offset1:4
	s_waitcnt lgkmcnt(0)
	s_waitcnt_vscnt null, 0x0
	s_cbranch_scc0 .LBB1251_610
; %bb.21:                               ;   in Loop: Header=BB1251_20 Depth=1
	s_lshl_b32 s14, -1, s64
	s_and_b32 vcc_lo, exec_lo, s55
	s_not_b32 s65, s14
	s_mov_b32 s14, -1
	s_cbranch_vccz .LBB1251_315
; %bb.22:                               ;   in Loop: Header=BB1251_20 Depth=1
	s_mov_b32 s16, s62
	s_mov_b32 s56, s60
	s_barrier
	buffer_gl0_inv
                                        ; implicit-def: $vgpr7_vgpr8
                                        ; implicit-def: $vgpr9_vgpr10
                                        ; implicit-def: $vgpr11_vgpr12
                                        ; implicit-def: $vgpr13_vgpr14
                                        ; implicit-def: $vgpr15_vgpr16
                                        ; implicit-def: $vgpr17_vgpr18
                                        ; implicit-def: $vgpr19_vgpr20
                                        ; implicit-def: $vgpr21_vgpr22
                                        ; implicit-def: $vgpr23_vgpr24
                                        ; implicit-def: $vgpr25_vgpr26
                                        ; implicit-def: $vgpr27_vgpr28
                                        ; implicit-def: $vgpr29_vgpr30
                                        ; implicit-def: $vgpr31_vgpr32
                                        ; implicit-def: $vgpr33_vgpr34
                                        ; implicit-def: $vgpr35_vgpr36
                                        ; implicit-def: $vgpr37_vgpr38
	s_branch .LBB1251_24
.LBB1251_23:                            ;   in Loop: Header=BB1251_24 Depth=2
	s_or_b32 exec_lo, exec_lo, s14
	s_addk_i32 s16, 0xf000
	s_cmp_ge_u32 s17, s61
	s_mov_b32 s56, s17
	s_cbranch_scc1 .LBB1251_92
.LBB1251_24:                            ;   Parent Loop BB1251_20 Depth=1
                                        ; =>  This Inner Loop Header: Depth=2
	s_add_i32 s17, s56, 0x1000
	s_mov_b32 s14, -1
	s_cmp_gt_u32 s17, s61
                                        ; implicit-def: $vgpr49_vgpr50
                                        ; implicit-def: $vgpr53_vgpr54
                                        ; implicit-def: $vgpr57_vgpr58
                                        ; implicit-def: $vgpr39_vgpr40
                                        ; implicit-def: $vgpr41_vgpr42
                                        ; implicit-def: $vgpr43_vgpr44
                                        ; implicit-def: $vgpr45_vgpr46
                                        ; implicit-def: $vgpr47_vgpr48
                                        ; implicit-def: $vgpr51_vgpr52
                                        ; implicit-def: $vgpr55_vgpr56
                                        ; implicit-def: $vgpr59_vgpr60
                                        ; implicit-def: $vgpr61_vgpr62
                                        ; implicit-def: $vgpr63_vgpr64
                                        ; implicit-def: $vgpr65_vgpr66
                                        ; implicit-def: $vgpr67_vgpr68
                                        ; implicit-def: $vgpr69_vgpr70
	s_cbranch_scc1 .LBB1251_26
; %bb.25:                               ;   in Loop: Header=BB1251_24 Depth=2
	s_lshl_b64 s[14:15], s[56:57], 3
	v_add_co_u32 v49, vcc_lo, v77, s14
	v_add_co_ci_u32_e64 v50, null, s15, v78, vcc_lo
	s_mov_b32 s14, 0
	v_add_co_u32 v57, vcc_lo, v49, 0x1000
	v_add_co_ci_u32_e64 v58, null, 0, v50, vcc_lo
	v_add_co_u32 v41, vcc_lo, v49, 0x2000
	v_add_co_ci_u32_e64 v42, null, 0, v50, vcc_lo
	;; [unrolled: 2-line block ×5, first 2 shown]
	s_clause 0x7
	global_load_dwordx2 v[39:40], v[41:42], off offset:-2048
	global_load_dwordx2 v[41:42], v[41:42], off
	global_load_dwordx2 v[43:44], v[45:46], off offset:-2048
	global_load_dwordx2 v[45:46], v[45:46], off
	;; [unrolled: 2-line block ×4, first 2 shown]
	v_add_co_u32 v53, vcc_lo, v49, 0x6000
	v_add_co_ci_u32_e64 v54, null, 0, v50, vcc_lo
	v_add_co_u32 v67, vcc_lo, v49, 0x7000
	v_add_co_ci_u32_e64 v68, null, 0, v50, vcc_lo
	;; [unrolled: 2-line block ×3, first 2 shown]
	s_clause 0x7
	global_load_dwordx2 v[61:62], v[53:54], off offset:-2048
	global_load_dwordx2 v[63:64], v[53:54], off
	global_load_dwordx2 v[65:66], v[67:68], off offset:-2048
	global_load_dwordx2 v[67:68], v[67:68], off
	global_load_dwordx2 v[49:50], v[49:50], off
	global_load_dwordx2 v[53:54], v[57:58], off offset:-2048
	global_load_dwordx2 v[57:58], v[57:58], off
	global_load_dwordx2 v[69:70], v[69:70], off
.LBB1251_26:                            ;   in Loop: Header=BB1251_24 Depth=2
	s_andn2_b32 vcc_lo, exec_lo, s14
	s_movk_i32 s14, 0x1000
	s_cbranch_vccnz .LBB1251_45
; %bb.27:                               ;   in Loop: Header=BB1251_24 Depth=2
	s_lshl_b64 s[14:15], s[56:57], 3
	s_mov_b32 s18, exec_lo
	s_add_u32 s14, s44, s14
	s_addc_u32 s15, s45, s15
	v_cmpx_gt_u32_e64 s16, v0
	s_cbranch_execnz .LBB1251_77
; %bb.28:                               ;   in Loop: Header=BB1251_24 Depth=2
	s_or_b32 exec_lo, exec_lo, s18
	s_mov_b32 s18, exec_lo
	v_cmpx_gt_u32_e64 s16, v76
	s_cbranch_execnz .LBB1251_78
.LBB1251_29:                            ;   in Loop: Header=BB1251_24 Depth=2
	s_or_b32 exec_lo, exec_lo, s18
	s_mov_b32 s18, exec_lo
	v_cmpx_gt_u32_e64 s16, v79
	s_cbranch_execnz .LBB1251_79
.LBB1251_30:                            ;   in Loop: Header=BB1251_24 Depth=2
	s_or_b32 exec_lo, exec_lo, s18
	s_mov_b32 s18, exec_lo
	v_cmpx_gt_u32_e64 s16, v80
	s_cbranch_execnz .LBB1251_80
.LBB1251_31:                            ;   in Loop: Header=BB1251_24 Depth=2
	s_or_b32 exec_lo, exec_lo, s18
	s_mov_b32 s18, exec_lo
	v_cmpx_gt_u32_e64 s16, v81
	s_cbranch_execnz .LBB1251_81
.LBB1251_32:                            ;   in Loop: Header=BB1251_24 Depth=2
	s_or_b32 exec_lo, exec_lo, s18
	s_mov_b32 s18, exec_lo
	v_cmpx_gt_u32_e64 s16, v82
	s_cbranch_execnz .LBB1251_82
.LBB1251_33:                            ;   in Loop: Header=BB1251_24 Depth=2
	s_or_b32 exec_lo, exec_lo, s18
	s_mov_b32 s18, exec_lo
	v_cmpx_gt_u32_e64 s16, v83
	s_cbranch_execnz .LBB1251_83
.LBB1251_34:                            ;   in Loop: Header=BB1251_24 Depth=2
	s_or_b32 exec_lo, exec_lo, s18
	s_mov_b32 s18, exec_lo
	v_cmpx_gt_u32_e64 s16, v84
	s_cbranch_execnz .LBB1251_84
.LBB1251_35:                            ;   in Loop: Header=BB1251_24 Depth=2
	s_or_b32 exec_lo, exec_lo, s18
	s_mov_b32 s18, exec_lo
	v_cmpx_gt_u32_e64 s16, v85
	s_cbranch_execnz .LBB1251_85
.LBB1251_36:                            ;   in Loop: Header=BB1251_24 Depth=2
	s_or_b32 exec_lo, exec_lo, s18
	s_mov_b32 s18, exec_lo
	v_cmpx_gt_u32_e64 s16, v86
	s_cbranch_execnz .LBB1251_86
.LBB1251_37:                            ;   in Loop: Header=BB1251_24 Depth=2
	s_or_b32 exec_lo, exec_lo, s18
	s_mov_b32 s18, exec_lo
	v_cmpx_gt_u32_e64 s16, v87
	s_cbranch_execnz .LBB1251_87
.LBB1251_38:                            ;   in Loop: Header=BB1251_24 Depth=2
	s_or_b32 exec_lo, exec_lo, s18
	s_mov_b32 s18, exec_lo
	v_cmpx_gt_u32_e64 s16, v88
	s_cbranch_execnz .LBB1251_88
.LBB1251_39:                            ;   in Loop: Header=BB1251_24 Depth=2
	s_or_b32 exec_lo, exec_lo, s18
	s_mov_b32 s18, exec_lo
	v_cmpx_gt_u32_e64 s16, v89
	s_cbranch_execnz .LBB1251_89
.LBB1251_40:                            ;   in Loop: Header=BB1251_24 Depth=2
	s_or_b32 exec_lo, exec_lo, s18
	s_mov_b32 s18, exec_lo
	v_cmpx_gt_u32_e64 s16, v90
	s_cbranch_execnz .LBB1251_90
.LBB1251_41:                            ;   in Loop: Header=BB1251_24 Depth=2
	s_or_b32 exec_lo, exec_lo, s18
	s_mov_b32 s18, exec_lo
	v_cmpx_gt_u32_e64 s16, v91
	s_cbranch_execnz .LBB1251_91
.LBB1251_42:                            ;   in Loop: Header=BB1251_24 Depth=2
	s_or_b32 exec_lo, exec_lo, s18
	s_mov_b32 s18, exec_lo
	v_cmpx_gt_u32_e64 s16, v92
	s_cbranch_execz .LBB1251_44
.LBB1251_43:                            ;   in Loop: Header=BB1251_24 Depth=2
	v_lshlrev_b32_e32 v3, 3, v92
	global_load_dwordx2 v[7:8], v3, s[14:15]
.LBB1251_44:                            ;   in Loop: Header=BB1251_24 Depth=2
	s_or_b32 exec_lo, exec_lo, s18
	s_waitcnt vmcnt(0)
	v_mov_b32_e32 v50, v38
	v_mov_b32_e32 v54, v36
	;; [unrolled: 1-line block ×32, first 2 shown]
	s_mov_b32 s14, s16
.LBB1251_45:                            ;   in Loop: Header=BB1251_24 Depth=2
	s_waitcnt vmcnt(0)
	v_mov_b32_e32 v7, v69
	v_mov_b32_e32 v9, v67
	;; [unrolled: 1-line block ×32, first 2 shown]
	s_mov_b32 s15, exec_lo
	v_cmpx_gt_u32_e64 s14, v0
	s_cbranch_execnz .LBB1251_61
; %bb.46:                               ;   in Loop: Header=BB1251_24 Depth=2
	s_or_b32 exec_lo, exec_lo, s15
	s_mov_b32 s15, exec_lo
	v_cmpx_gt_u32_e64 s14, v76
	s_cbranch_execnz .LBB1251_62
.LBB1251_47:                            ;   in Loop: Header=BB1251_24 Depth=2
	s_or_b32 exec_lo, exec_lo, s15
	s_mov_b32 s15, exec_lo
	v_cmpx_gt_u32_e64 s14, v79
	s_cbranch_execnz .LBB1251_63
.LBB1251_48:                            ;   in Loop: Header=BB1251_24 Depth=2
	s_or_b32 exec_lo, exec_lo, s15
	s_mov_b32 s15, exec_lo
	v_cmpx_gt_u32_e64 s14, v80
	s_cbranch_execnz .LBB1251_64
.LBB1251_49:                            ;   in Loop: Header=BB1251_24 Depth=2
	s_or_b32 exec_lo, exec_lo, s15
	s_mov_b32 s15, exec_lo
	v_cmpx_gt_u32_e64 s14, v81
	s_cbranch_execnz .LBB1251_65
.LBB1251_50:                            ;   in Loop: Header=BB1251_24 Depth=2
	s_or_b32 exec_lo, exec_lo, s15
	s_mov_b32 s15, exec_lo
	v_cmpx_gt_u32_e64 s14, v82
	s_cbranch_execnz .LBB1251_66
.LBB1251_51:                            ;   in Loop: Header=BB1251_24 Depth=2
	s_or_b32 exec_lo, exec_lo, s15
	s_mov_b32 s15, exec_lo
	v_cmpx_gt_u32_e64 s14, v83
	s_cbranch_execnz .LBB1251_67
.LBB1251_52:                            ;   in Loop: Header=BB1251_24 Depth=2
	s_or_b32 exec_lo, exec_lo, s15
	s_mov_b32 s15, exec_lo
	v_cmpx_gt_u32_e64 s14, v84
	s_cbranch_execnz .LBB1251_68
.LBB1251_53:                            ;   in Loop: Header=BB1251_24 Depth=2
	s_or_b32 exec_lo, exec_lo, s15
	s_mov_b32 s15, exec_lo
	v_cmpx_gt_u32_e64 s14, v85
	s_cbranch_execnz .LBB1251_69
.LBB1251_54:                            ;   in Loop: Header=BB1251_24 Depth=2
	s_or_b32 exec_lo, exec_lo, s15
	s_mov_b32 s15, exec_lo
	v_cmpx_gt_u32_e64 s14, v86
	s_cbranch_execnz .LBB1251_70
.LBB1251_55:                            ;   in Loop: Header=BB1251_24 Depth=2
	s_or_b32 exec_lo, exec_lo, s15
	s_mov_b32 s15, exec_lo
	v_cmpx_gt_u32_e64 s14, v87
	s_cbranch_execnz .LBB1251_71
.LBB1251_56:                            ;   in Loop: Header=BB1251_24 Depth=2
	s_or_b32 exec_lo, exec_lo, s15
	s_mov_b32 s15, exec_lo
	v_cmpx_gt_u32_e64 s14, v88
	s_cbranch_execnz .LBB1251_72
.LBB1251_57:                            ;   in Loop: Header=BB1251_24 Depth=2
	s_or_b32 exec_lo, exec_lo, s15
	s_mov_b32 s15, exec_lo
	v_cmpx_gt_u32_e64 s14, v89
	s_cbranch_execnz .LBB1251_73
.LBB1251_58:                            ;   in Loop: Header=BB1251_24 Depth=2
	s_or_b32 exec_lo, exec_lo, s15
	s_mov_b32 s15, exec_lo
	v_cmpx_gt_u32_e64 s14, v90
	s_cbranch_execnz .LBB1251_74
.LBB1251_59:                            ;   in Loop: Header=BB1251_24 Depth=2
	s_or_b32 exec_lo, exec_lo, s15
	s_mov_b32 s15, exec_lo
	v_cmpx_gt_u32_e64 s14, v91
	s_cbranch_execnz .LBB1251_75
.LBB1251_60:                            ;   in Loop: Header=BB1251_24 Depth=2
	s_or_b32 exec_lo, exec_lo, s15
	v_cmp_gt_u32_e32 vcc_lo, s14, v92
	s_and_saveexec_b32 s14, vcc_lo
	s_cbranch_execz .LBB1251_23
	s_branch .LBB1251_76
.LBB1251_61:                            ;   in Loop: Header=BB1251_24 Depth=2
	v_cmp_lt_i64_e32 vcc_lo, -1, v[37:38]
	v_ashrrev_i32_e32 v39, 31, v38
	v_xor_b32_e32 v39, v39, v37
	v_cndmask_b32_e64 v3, -1, 0x80000000, vcc_lo
	v_xor_b32_e32 v40, v3, v38
	v_cmp_ne_u64_e32 vcc_lo, s[46:47], v[39:40]
	v_cndmask_b32_e32 v40, 0x80000000, v40, vcc_lo
	v_cndmask_b32_e32 v39, 0, v39, vcc_lo
	v_lshrrev_b64 v[39:40], s63, v[39:40]
	v_and_b32_e32 v3, s65, v39
	v_lshl_or_b32 v3, v3, 4, v93
	ds_add_u32 v3, v121
	s_or_b32 exec_lo, exec_lo, s15
	s_mov_b32 s15, exec_lo
	v_cmpx_gt_u32_e64 s14, v76
	s_cbranch_execz .LBB1251_47
.LBB1251_62:                            ;   in Loop: Header=BB1251_24 Depth=2
	v_cmp_lt_i64_e32 vcc_lo, -1, v[35:36]
	v_ashrrev_i32_e32 v39, 31, v36
	v_xor_b32_e32 v39, v39, v35
	v_cndmask_b32_e64 v3, -1, 0x80000000, vcc_lo
	v_xor_b32_e32 v40, v3, v36
	v_cmp_ne_u64_e32 vcc_lo, s[46:47], v[39:40]
	v_cndmask_b32_e32 v40, 0x80000000, v40, vcc_lo
	v_cndmask_b32_e32 v39, 0, v39, vcc_lo
	v_lshrrev_b64 v[39:40], s63, v[39:40]
	v_and_b32_e32 v3, s65, v39
	v_lshl_or_b32 v3, v3, 4, v93
	ds_add_u32 v3, v121
	s_or_b32 exec_lo, exec_lo, s15
	s_mov_b32 s15, exec_lo
	v_cmpx_gt_u32_e64 s14, v79
	s_cbranch_execz .LBB1251_48
.LBB1251_63:                            ;   in Loop: Header=BB1251_24 Depth=2
	v_cmp_lt_i64_e32 vcc_lo, -1, v[33:34]
	v_ashrrev_i32_e32 v39, 31, v34
	v_xor_b32_e32 v39, v39, v33
	v_cndmask_b32_e64 v3, -1, 0x80000000, vcc_lo
	v_xor_b32_e32 v40, v3, v34
	v_cmp_ne_u64_e32 vcc_lo, s[46:47], v[39:40]
	v_cndmask_b32_e32 v40, 0x80000000, v40, vcc_lo
	v_cndmask_b32_e32 v39, 0, v39, vcc_lo
	v_lshrrev_b64 v[39:40], s63, v[39:40]
	v_and_b32_e32 v3, s65, v39
	v_lshl_or_b32 v3, v3, 4, v93
	ds_add_u32 v3, v121
	s_or_b32 exec_lo, exec_lo, s15
	s_mov_b32 s15, exec_lo
	v_cmpx_gt_u32_e64 s14, v80
	s_cbranch_execz .LBB1251_49
.LBB1251_64:                            ;   in Loop: Header=BB1251_24 Depth=2
	v_cmp_lt_i64_e32 vcc_lo, -1, v[31:32]
	v_ashrrev_i32_e32 v39, 31, v32
	v_xor_b32_e32 v39, v39, v31
	v_cndmask_b32_e64 v3, -1, 0x80000000, vcc_lo
	v_xor_b32_e32 v40, v3, v32
	v_cmp_ne_u64_e32 vcc_lo, s[46:47], v[39:40]
	v_cndmask_b32_e32 v40, 0x80000000, v40, vcc_lo
	v_cndmask_b32_e32 v39, 0, v39, vcc_lo
	v_lshrrev_b64 v[39:40], s63, v[39:40]
	v_and_b32_e32 v3, s65, v39
	v_lshl_or_b32 v3, v3, 4, v93
	ds_add_u32 v3, v121
	s_or_b32 exec_lo, exec_lo, s15
	s_mov_b32 s15, exec_lo
	v_cmpx_gt_u32_e64 s14, v81
	s_cbranch_execz .LBB1251_50
.LBB1251_65:                            ;   in Loop: Header=BB1251_24 Depth=2
	v_cmp_lt_i64_e32 vcc_lo, -1, v[29:30]
	v_ashrrev_i32_e32 v39, 31, v30
	v_xor_b32_e32 v39, v39, v29
	v_cndmask_b32_e64 v3, -1, 0x80000000, vcc_lo
	v_xor_b32_e32 v40, v3, v30
	v_cmp_ne_u64_e32 vcc_lo, s[46:47], v[39:40]
	v_cndmask_b32_e32 v40, 0x80000000, v40, vcc_lo
	v_cndmask_b32_e32 v39, 0, v39, vcc_lo
	v_lshrrev_b64 v[39:40], s63, v[39:40]
	v_and_b32_e32 v3, s65, v39
	v_lshl_or_b32 v3, v3, 4, v93
	ds_add_u32 v3, v121
	s_or_b32 exec_lo, exec_lo, s15
	s_mov_b32 s15, exec_lo
	v_cmpx_gt_u32_e64 s14, v82
	s_cbranch_execz .LBB1251_51
.LBB1251_66:                            ;   in Loop: Header=BB1251_24 Depth=2
	v_cmp_lt_i64_e32 vcc_lo, -1, v[27:28]
	v_ashrrev_i32_e32 v39, 31, v28
	v_xor_b32_e32 v39, v39, v27
	v_cndmask_b32_e64 v3, -1, 0x80000000, vcc_lo
	v_xor_b32_e32 v40, v3, v28
	v_cmp_ne_u64_e32 vcc_lo, s[46:47], v[39:40]
	v_cndmask_b32_e32 v40, 0x80000000, v40, vcc_lo
	v_cndmask_b32_e32 v39, 0, v39, vcc_lo
	v_lshrrev_b64 v[39:40], s63, v[39:40]
	v_and_b32_e32 v3, s65, v39
	v_lshl_or_b32 v3, v3, 4, v93
	ds_add_u32 v3, v121
	s_or_b32 exec_lo, exec_lo, s15
	s_mov_b32 s15, exec_lo
	v_cmpx_gt_u32_e64 s14, v83
	s_cbranch_execz .LBB1251_52
.LBB1251_67:                            ;   in Loop: Header=BB1251_24 Depth=2
	v_cmp_lt_i64_e32 vcc_lo, -1, v[25:26]
	v_ashrrev_i32_e32 v39, 31, v26
	v_xor_b32_e32 v39, v39, v25
	v_cndmask_b32_e64 v3, -1, 0x80000000, vcc_lo
	v_xor_b32_e32 v40, v3, v26
	v_cmp_ne_u64_e32 vcc_lo, s[46:47], v[39:40]
	v_cndmask_b32_e32 v40, 0x80000000, v40, vcc_lo
	v_cndmask_b32_e32 v39, 0, v39, vcc_lo
	v_lshrrev_b64 v[39:40], s63, v[39:40]
	v_and_b32_e32 v3, s65, v39
	v_lshl_or_b32 v3, v3, 4, v93
	ds_add_u32 v3, v121
	s_or_b32 exec_lo, exec_lo, s15
	s_mov_b32 s15, exec_lo
	v_cmpx_gt_u32_e64 s14, v84
	s_cbranch_execz .LBB1251_53
.LBB1251_68:                            ;   in Loop: Header=BB1251_24 Depth=2
	v_cmp_lt_i64_e32 vcc_lo, -1, v[23:24]
	v_ashrrev_i32_e32 v39, 31, v24
	v_xor_b32_e32 v39, v39, v23
	v_cndmask_b32_e64 v3, -1, 0x80000000, vcc_lo
	v_xor_b32_e32 v40, v3, v24
	v_cmp_ne_u64_e32 vcc_lo, s[46:47], v[39:40]
	v_cndmask_b32_e32 v40, 0x80000000, v40, vcc_lo
	v_cndmask_b32_e32 v39, 0, v39, vcc_lo
	v_lshrrev_b64 v[39:40], s63, v[39:40]
	v_and_b32_e32 v3, s65, v39
	v_lshl_or_b32 v3, v3, 4, v93
	ds_add_u32 v3, v121
	s_or_b32 exec_lo, exec_lo, s15
	s_mov_b32 s15, exec_lo
	v_cmpx_gt_u32_e64 s14, v85
	s_cbranch_execz .LBB1251_54
.LBB1251_69:                            ;   in Loop: Header=BB1251_24 Depth=2
	v_cmp_lt_i64_e32 vcc_lo, -1, v[21:22]
	v_ashrrev_i32_e32 v39, 31, v22
	v_xor_b32_e32 v39, v39, v21
	v_cndmask_b32_e64 v3, -1, 0x80000000, vcc_lo
	v_xor_b32_e32 v40, v3, v22
	v_cmp_ne_u64_e32 vcc_lo, s[46:47], v[39:40]
	v_cndmask_b32_e32 v40, 0x80000000, v40, vcc_lo
	v_cndmask_b32_e32 v39, 0, v39, vcc_lo
	v_lshrrev_b64 v[39:40], s63, v[39:40]
	v_and_b32_e32 v3, s65, v39
	v_lshl_or_b32 v3, v3, 4, v93
	ds_add_u32 v3, v121
	s_or_b32 exec_lo, exec_lo, s15
	s_mov_b32 s15, exec_lo
	v_cmpx_gt_u32_e64 s14, v86
	s_cbranch_execz .LBB1251_55
.LBB1251_70:                            ;   in Loop: Header=BB1251_24 Depth=2
	v_cmp_lt_i64_e32 vcc_lo, -1, v[19:20]
	v_ashrrev_i32_e32 v39, 31, v20
	v_xor_b32_e32 v39, v39, v19
	v_cndmask_b32_e64 v3, -1, 0x80000000, vcc_lo
	v_xor_b32_e32 v40, v3, v20
	v_cmp_ne_u64_e32 vcc_lo, s[46:47], v[39:40]
	v_cndmask_b32_e32 v40, 0x80000000, v40, vcc_lo
	v_cndmask_b32_e32 v39, 0, v39, vcc_lo
	v_lshrrev_b64 v[39:40], s63, v[39:40]
	v_and_b32_e32 v3, s65, v39
	v_lshl_or_b32 v3, v3, 4, v93
	ds_add_u32 v3, v121
	s_or_b32 exec_lo, exec_lo, s15
	s_mov_b32 s15, exec_lo
	v_cmpx_gt_u32_e64 s14, v87
	s_cbranch_execz .LBB1251_56
.LBB1251_71:                            ;   in Loop: Header=BB1251_24 Depth=2
	v_cmp_lt_i64_e32 vcc_lo, -1, v[17:18]
	v_ashrrev_i32_e32 v39, 31, v18
	v_xor_b32_e32 v39, v39, v17
	v_cndmask_b32_e64 v3, -1, 0x80000000, vcc_lo
	v_xor_b32_e32 v40, v3, v18
	v_cmp_ne_u64_e32 vcc_lo, s[46:47], v[39:40]
	v_cndmask_b32_e32 v40, 0x80000000, v40, vcc_lo
	v_cndmask_b32_e32 v39, 0, v39, vcc_lo
	v_lshrrev_b64 v[39:40], s63, v[39:40]
	v_and_b32_e32 v3, s65, v39
	v_lshl_or_b32 v3, v3, 4, v93
	ds_add_u32 v3, v121
	s_or_b32 exec_lo, exec_lo, s15
	s_mov_b32 s15, exec_lo
	v_cmpx_gt_u32_e64 s14, v88
	s_cbranch_execz .LBB1251_57
.LBB1251_72:                            ;   in Loop: Header=BB1251_24 Depth=2
	v_cmp_lt_i64_e32 vcc_lo, -1, v[15:16]
	v_ashrrev_i32_e32 v39, 31, v16
	v_xor_b32_e32 v39, v39, v15
	v_cndmask_b32_e64 v3, -1, 0x80000000, vcc_lo
	v_xor_b32_e32 v40, v3, v16
	v_cmp_ne_u64_e32 vcc_lo, s[46:47], v[39:40]
	v_cndmask_b32_e32 v40, 0x80000000, v40, vcc_lo
	v_cndmask_b32_e32 v39, 0, v39, vcc_lo
	v_lshrrev_b64 v[39:40], s63, v[39:40]
	v_and_b32_e32 v3, s65, v39
	v_lshl_or_b32 v3, v3, 4, v93
	ds_add_u32 v3, v121
	s_or_b32 exec_lo, exec_lo, s15
	s_mov_b32 s15, exec_lo
	v_cmpx_gt_u32_e64 s14, v89
	s_cbranch_execz .LBB1251_58
.LBB1251_73:                            ;   in Loop: Header=BB1251_24 Depth=2
	v_cmp_lt_i64_e32 vcc_lo, -1, v[13:14]
	v_ashrrev_i32_e32 v39, 31, v14
	v_xor_b32_e32 v39, v39, v13
	v_cndmask_b32_e64 v3, -1, 0x80000000, vcc_lo
	v_xor_b32_e32 v40, v3, v14
	v_cmp_ne_u64_e32 vcc_lo, s[46:47], v[39:40]
	v_cndmask_b32_e32 v40, 0x80000000, v40, vcc_lo
	v_cndmask_b32_e32 v39, 0, v39, vcc_lo
	v_lshrrev_b64 v[39:40], s63, v[39:40]
	v_and_b32_e32 v3, s65, v39
	v_lshl_or_b32 v3, v3, 4, v93
	ds_add_u32 v3, v121
	s_or_b32 exec_lo, exec_lo, s15
	s_mov_b32 s15, exec_lo
	v_cmpx_gt_u32_e64 s14, v90
	s_cbranch_execz .LBB1251_59
.LBB1251_74:                            ;   in Loop: Header=BB1251_24 Depth=2
	v_cmp_lt_i64_e32 vcc_lo, -1, v[11:12]
	v_ashrrev_i32_e32 v39, 31, v12
	v_xor_b32_e32 v39, v39, v11
	v_cndmask_b32_e64 v3, -1, 0x80000000, vcc_lo
	v_xor_b32_e32 v40, v3, v12
	v_cmp_ne_u64_e32 vcc_lo, s[46:47], v[39:40]
	v_cndmask_b32_e32 v40, 0x80000000, v40, vcc_lo
	v_cndmask_b32_e32 v39, 0, v39, vcc_lo
	v_lshrrev_b64 v[39:40], s63, v[39:40]
	v_and_b32_e32 v3, s65, v39
	v_lshl_or_b32 v3, v3, 4, v93
	ds_add_u32 v3, v121
	s_or_b32 exec_lo, exec_lo, s15
	s_mov_b32 s15, exec_lo
	v_cmpx_gt_u32_e64 s14, v91
	s_cbranch_execz .LBB1251_60
.LBB1251_75:                            ;   in Loop: Header=BB1251_24 Depth=2
	v_cmp_lt_i64_e32 vcc_lo, -1, v[9:10]
	v_ashrrev_i32_e32 v39, 31, v10
	v_xor_b32_e32 v39, v39, v9
	v_cndmask_b32_e64 v3, -1, 0x80000000, vcc_lo
	v_xor_b32_e32 v40, v3, v10
	v_cmp_ne_u64_e32 vcc_lo, s[46:47], v[39:40]
	v_cndmask_b32_e32 v40, 0x80000000, v40, vcc_lo
	v_cndmask_b32_e32 v39, 0, v39, vcc_lo
	v_lshrrev_b64 v[39:40], s63, v[39:40]
	v_and_b32_e32 v3, s65, v39
	v_lshl_or_b32 v3, v3, 4, v93
	ds_add_u32 v3, v121
	s_or_b32 exec_lo, exec_lo, s15
	v_cmp_gt_u32_e32 vcc_lo, s14, v92
	s_and_saveexec_b32 s14, vcc_lo
	s_cbranch_execz .LBB1251_23
.LBB1251_76:                            ;   in Loop: Header=BB1251_24 Depth=2
	v_cmp_lt_i64_e32 vcc_lo, -1, v[7:8]
	v_ashrrev_i32_e32 v39, 31, v8
	v_xor_b32_e32 v39, v39, v7
	v_cndmask_b32_e64 v3, -1, 0x80000000, vcc_lo
	v_xor_b32_e32 v40, v3, v8
	v_cmp_ne_u64_e32 vcc_lo, s[46:47], v[39:40]
	v_cndmask_b32_e32 v40, 0x80000000, v40, vcc_lo
	v_cndmask_b32_e32 v39, 0, v39, vcc_lo
	v_lshrrev_b64 v[39:40], s63, v[39:40]
	v_and_b32_e32 v3, s65, v39
	v_lshl_or_b32 v3, v3, 4, v93
	ds_add_u32 v3, v121
	s_branch .LBB1251_23
.LBB1251_77:                            ;   in Loop: Header=BB1251_24 Depth=2
	global_load_dwordx2 v[37:38], v122, s[14:15]
	s_or_b32 exec_lo, exec_lo, s18
	s_mov_b32 s18, exec_lo
	v_cmpx_gt_u32_e64 s16, v76
	s_cbranch_execz .LBB1251_29
.LBB1251_78:                            ;   in Loop: Header=BB1251_24 Depth=2
	global_load_dwordx2 v[35:36], v123, s[14:15]
	s_or_b32 exec_lo, exec_lo, s18
	s_mov_b32 s18, exec_lo
	v_cmpx_gt_u32_e64 s16, v79
	s_cbranch_execz .LBB1251_30
.LBB1251_79:                            ;   in Loop: Header=BB1251_24 Depth=2
	global_load_dwordx2 v[33:34], v124, s[14:15]
	s_or_b32 exec_lo, exec_lo, s18
	s_mov_b32 s18, exec_lo
	v_cmpx_gt_u32_e64 s16, v80
	s_cbranch_execz .LBB1251_31
.LBB1251_80:                            ;   in Loop: Header=BB1251_24 Depth=2
	global_load_dwordx2 v[31:32], v125, s[14:15]
	s_or_b32 exec_lo, exec_lo, s18
	s_mov_b32 s18, exec_lo
	v_cmpx_gt_u32_e64 s16, v81
	s_cbranch_execz .LBB1251_32
.LBB1251_81:                            ;   in Loop: Header=BB1251_24 Depth=2
	global_load_dwordx2 v[29:30], v126, s[14:15]
	s_or_b32 exec_lo, exec_lo, s18
	s_mov_b32 s18, exec_lo
	v_cmpx_gt_u32_e64 s16, v82
	s_cbranch_execz .LBB1251_33
.LBB1251_82:                            ;   in Loop: Header=BB1251_24 Depth=2
	global_load_dwordx2 v[27:28], v127, s[14:15]
	s_or_b32 exec_lo, exec_lo, s18
	s_mov_b32 s18, exec_lo
	v_cmpx_gt_u32_e64 s16, v83
	s_cbranch_execz .LBB1251_34
.LBB1251_83:                            ;   in Loop: Header=BB1251_24 Depth=2
	v_lshlrev_b32_e32 v3, 3, v83
	global_load_dwordx2 v[25:26], v3, s[14:15]
	s_or_b32 exec_lo, exec_lo, s18
	s_mov_b32 s18, exec_lo
	v_cmpx_gt_u32_e64 s16, v84
	s_cbranch_execz .LBB1251_35
.LBB1251_84:                            ;   in Loop: Header=BB1251_24 Depth=2
	v_lshlrev_b32_e32 v3, 3, v84
	global_load_dwordx2 v[23:24], v3, s[14:15]
	s_or_b32 exec_lo, exec_lo, s18
	s_mov_b32 s18, exec_lo
	v_cmpx_gt_u32_e64 s16, v85
	s_cbranch_execz .LBB1251_36
.LBB1251_85:                            ;   in Loop: Header=BB1251_24 Depth=2
	v_lshlrev_b32_e32 v3, 3, v85
	global_load_dwordx2 v[21:22], v3, s[14:15]
	s_or_b32 exec_lo, exec_lo, s18
	s_mov_b32 s18, exec_lo
	v_cmpx_gt_u32_e64 s16, v86
	s_cbranch_execz .LBB1251_37
.LBB1251_86:                            ;   in Loop: Header=BB1251_24 Depth=2
	v_lshlrev_b32_e32 v3, 3, v86
	global_load_dwordx2 v[19:20], v3, s[14:15]
	s_or_b32 exec_lo, exec_lo, s18
	s_mov_b32 s18, exec_lo
	v_cmpx_gt_u32_e64 s16, v87
	s_cbranch_execz .LBB1251_38
.LBB1251_87:                            ;   in Loop: Header=BB1251_24 Depth=2
	v_lshlrev_b32_e32 v3, 3, v87
	global_load_dwordx2 v[17:18], v3, s[14:15]
	s_or_b32 exec_lo, exec_lo, s18
	s_mov_b32 s18, exec_lo
	v_cmpx_gt_u32_e64 s16, v88
	s_cbranch_execz .LBB1251_39
.LBB1251_88:                            ;   in Loop: Header=BB1251_24 Depth=2
	v_lshlrev_b32_e32 v3, 3, v88
	global_load_dwordx2 v[15:16], v3, s[14:15]
	s_or_b32 exec_lo, exec_lo, s18
	s_mov_b32 s18, exec_lo
	v_cmpx_gt_u32_e64 s16, v89
	s_cbranch_execz .LBB1251_40
.LBB1251_89:                            ;   in Loop: Header=BB1251_24 Depth=2
	v_lshlrev_b32_e32 v3, 3, v89
	global_load_dwordx2 v[13:14], v3, s[14:15]
	s_or_b32 exec_lo, exec_lo, s18
	s_mov_b32 s18, exec_lo
	v_cmpx_gt_u32_e64 s16, v90
	s_cbranch_execz .LBB1251_41
.LBB1251_90:                            ;   in Loop: Header=BB1251_24 Depth=2
	v_lshlrev_b32_e32 v3, 3, v90
	global_load_dwordx2 v[11:12], v3, s[14:15]
	s_or_b32 exec_lo, exec_lo, s18
	s_mov_b32 s18, exec_lo
	v_cmpx_gt_u32_e64 s16, v91
	s_cbranch_execz .LBB1251_42
.LBB1251_91:                            ;   in Loop: Header=BB1251_24 Depth=2
	v_lshlrev_b32_e32 v3, 3, v91
	global_load_dwordx2 v[9:10], v3, s[14:15]
	s_or_b32 exec_lo, exec_lo, s18
	s_mov_b32 s18, exec_lo
	v_cmpx_gt_u32_e64 s16, v92
	s_cbranch_execnz .LBB1251_43
	s_branch .LBB1251_44
.LBB1251_92:                            ;   in Loop: Header=BB1251_20 Depth=1
	v_mov_b32_e32 v3, 0
	s_waitcnt lgkmcnt(0)
	s_barrier
	buffer_gl0_inv
	s_and_saveexec_b32 s14, s8
	s_cbranch_execz .LBB1251_94
; %bb.93:                               ;   in Loop: Header=BB1251_20 Depth=1
	ds_read2_b64 v[7:10], v95 offset1:1
	s_waitcnt lgkmcnt(0)
	v_add_nc_u32_e32 v3, v8, v7
	v_add3_u32 v3, v3, v9, v10
.LBB1251_94:                            ;   in Loop: Header=BB1251_20 Depth=1
	s_or_b32 exec_lo, exec_lo, s14
	v_and_b32_e32 v7, 15, v128
	v_mov_b32_dpp v8, v3 row_shr:1 row_mask:0xf bank_mask:0xf
	v_and_b32_e32 v9, 16, v128
	v_cmp_eq_u32_e64 s14, 0, v7
	v_cmp_lt_u32_e64 s15, 1, v7
	v_cmp_lt_u32_e64 s16, 3, v7
	;; [unrolled: 1-line block ×3, first 2 shown]
	v_cmp_eq_u32_e64 s18, 0, v9
	v_cndmask_b32_e64 v8, v8, 0, s14
	v_add_nc_u32_e32 v3, v8, v3
	v_mov_b32_dpp v8, v3 row_shr:2 row_mask:0xf bank_mask:0xf
	v_cndmask_b32_e64 v8, 0, v8, s15
	v_add_nc_u32_e32 v3, v3, v8
	v_mov_b32_dpp v8, v3 row_shr:4 row_mask:0xf bank_mask:0xf
	;; [unrolled: 3-line block ×3, first 2 shown]
	v_cndmask_b32_e64 v7, 0, v8, s17
	v_bfe_i32 v8, v128, 4, 1
	v_add_nc_u32_e32 v3, v3, v7
	ds_swizzle_b32 v7, v3 offset:swizzle(BROADCAST,32,15)
	s_waitcnt lgkmcnt(0)
	v_and_b32_e32 v7, v8, v7
	v_add_nc_u32_e32 v3, v3, v7
	s_and_saveexec_b32 s19, s9
; %bb.95:                               ;   in Loop: Header=BB1251_20 Depth=1
	ds_write_b32 v96, v3
; %bb.96:                               ;   in Loop: Header=BB1251_20 Depth=1
	s_or_b32 exec_lo, exec_lo, s19
	s_waitcnt lgkmcnt(0)
	s_barrier
	buffer_gl0_inv
	s_and_saveexec_b32 s19, s10
	s_cbranch_execz .LBB1251_98
; %bb.97:                               ;   in Loop: Header=BB1251_20 Depth=1
	ds_read_b32 v7, v97
	v_and_b32_e32 v8, 3, v128
	v_cmp_ne_u32_e32 vcc_lo, 0, v8
	s_waitcnt lgkmcnt(0)
	v_mov_b32_dpp v9, v7 row_shr:1 row_mask:0xf bank_mask:0xf
	v_cndmask_b32_e32 v9, 0, v9, vcc_lo
	v_cmp_lt_u32_e32 vcc_lo, 1, v8
	v_add_nc_u32_e32 v7, v9, v7
	v_mov_b32_dpp v9, v7 row_shr:2 row_mask:0xf bank_mask:0xf
	v_cndmask_b32_e32 v8, 0, v9, vcc_lo
	v_add_nc_u32_e32 v7, v7, v8
	ds_write_b32 v97, v7
.LBB1251_98:                            ;   in Loop: Header=BB1251_20 Depth=1
	s_or_b32 exec_lo, exec_lo, s19
	v_mov_b32_e32 v7, 0
	s_waitcnt lgkmcnt(0)
	s_barrier
	buffer_gl0_inv
	s_and_saveexec_b32 s19, s11
; %bb.99:                               ;   in Loop: Header=BB1251_20 Depth=1
	ds_read_b32 v7, v98
; %bb.100:                              ;   in Loop: Header=BB1251_20 Depth=1
	s_or_b32 exec_lo, exec_lo, s19
	v_sub_co_u32 v8, s19, v128, 1
	s_waitcnt lgkmcnt(0)
	v_add_nc_u32_e32 v3, v7, v3
	s_barrier
	v_cmp_gt_i32_e32 vcc_lo, 0, v8
	buffer_gl0_inv
	v_cndmask_b32_e32 v8, v8, v128, vcc_lo
	v_lshlrev_b32_e32 v129, 2, v8
	ds_bpermute_b32 v3, v129, v3
	s_and_saveexec_b32 s20, s8
	s_cbranch_execz .LBB1251_102
; %bb.101:                              ;   in Loop: Header=BB1251_20 Depth=1
	s_waitcnt lgkmcnt(0)
	v_cndmask_b32_e64 v3, v3, v7, s19
	v_add_nc_u32_e32 v3, s60, v3
	ds_write_b32 v75, v3
.LBB1251_102:                           ;   in Loop: Header=BB1251_20 Depth=1
	s_or_b32 exec_lo, exec_lo, s20
	s_clause 0x1
	s_load_dword s20, s[58:59], 0x4
	s_load_dword s23, s[58:59], 0xc
	v_and_b32_e32 v7, 7, v128
	v_lshlrev_b32_e32 v9, 3, v128
	v_or_b32_e32 v130, v128, v99
	s_mov_b32 s66, s62
	s_mov_b32 s56, s60
	v_cmp_lt_u32_e64 s22, 3, v7
	v_add_co_u32 v131, vcc_lo, v104, v9
	v_add_co_ci_u32_e64 v132, null, 0, v105, vcc_lo
	v_add_co_u32 v148, vcc_lo, v106, v9
	v_or_b32_e32 v133, 32, v130
	v_or_b32_e32 v134, 64, v130
	v_or_b32_e32 v135, 0x60, v130
	v_or_b32_e32 v136, 0x80, v130
	v_or_b32_e32 v137, 0xa0, v130
	v_or_b32_e32 v138, 0xc0, v130
	s_waitcnt lgkmcnt(0)
	s_cmp_lt_u32 s7, s20
	v_or_b32_e32 v139, 0xe0, v130
	s_cselect_b32 s20, 14, 20
	v_or_b32_e32 v140, 0x100, v130
	s_add_u32 s20, s58, s20
	s_addc_u32 s21, s59, 0
	s_and_b32 s23, s23, 0xffff
	global_load_ushort v3, v4, s[20:21]
	v_cmp_eq_u32_e64 s20, 0, v7
	v_cmp_lt_u32_e64 s21, 1, v7
	v_or_b32_e32 v141, 0x120, v130
	v_or_b32_e32 v142, 0x140, v130
	;; [unrolled: 1-line block ×7, first 2 shown]
	v_add_co_ci_u32_e64 v149, null, 0, v107, vcc_lo
                                        ; implicit-def: $vgpr9_vgpr10
                                        ; implicit-def: $vgpr11_vgpr12
                                        ; implicit-def: $vgpr13_vgpr14
                                        ; implicit-def: $vgpr15_vgpr16
                                        ; implicit-def: $vgpr19_vgpr20
                                        ; implicit-def: $vgpr23_vgpr24
                                        ; implicit-def: $vgpr27_vgpr28
                                        ; implicit-def: $vgpr17_vgpr18
                                        ; implicit-def: $vgpr21_vgpr22
                                        ; implicit-def: $vgpr25_vgpr26
                                        ; implicit-def: $vgpr29_vgpr30
                                        ; implicit-def: $vgpr31_vgpr32
                                        ; implicit-def: $vgpr33_vgpr34
                                        ; implicit-def: $vgpr35_vgpr36
                                        ; implicit-def: $vgpr37_vgpr38
                                        ; implicit-def: $vgpr151
                                        ; implicit-def: $vgpr152
                                        ; implicit-def: $vgpr153
                                        ; implicit-def: $vgpr154
                                        ; implicit-def: $vgpr155
                                        ; implicit-def: $vgpr156
                                        ; implicit-def: $vgpr157
                                        ; implicit-def: $vgpr159
                                        ; implicit-def: $vgpr160
                                        ; implicit-def: $vgpr161
                                        ; implicit-def: $vgpr162
                                        ; implicit-def: $vgpr163
                                        ; implicit-def: $vgpr164
                                        ; implicit-def: $vgpr165
                                        ; implicit-def: $vgpr166
                                        ; implicit-def: $vgpr167
                                        ; implicit-def: $vgpr158
                                        ; implicit-def: $vgpr168
	s_waitcnt vmcnt(0)
	v_mad_u32_u24 v3, v2, v3, v1
	v_mad_u64_u32 v[7:8], null, v3, s23, v[0:1]
	v_lshrrev_b32_e32 v3, 3, v7
                                        ; implicit-def: $vgpr7_vgpr8
	v_and_b32_e32 v150, 0x1ffffffc, v3
	s_branch .LBB1251_104
.LBB1251_103:                           ;   in Loop: Header=BB1251_104 Depth=2
	s_or_b32 exec_lo, exec_lo, s23
	s_addk_i32 s66, 0xf000
	s_cmp_lt_u32 s67, s61
	s_mov_b32 s56, s67
	s_cbranch_scc0 .LBB1251_314
.LBB1251_104:                           ;   Parent Loop BB1251_20 Depth=1
                                        ; =>  This Inner Loop Header: Depth=2
	s_add_i32 s67, s56, 0x1000
	s_cmp_gt_u32 s67, s61
	s_cbranch_scc1 .LBB1251_106
; %bb.105:                              ;   in Loop: Header=BB1251_104 Depth=2
	s_lshl_b64 s[24:25], s[56:57], 3
	s_mov_b32 s23, -1
	v_add_co_u32 v45, vcc_lo, v148, s24
	v_add_co_ci_u32_e64 v46, null, s25, v149, vcc_lo
	v_add_co_u32 v47, vcc_lo, 0x800, v45
	v_add_co_ci_u32_e64 v48, null, 0, v46, vcc_lo
	s_clause 0xe
	global_load_dwordx2 v[39:40], v[45:46], off
	global_load_dwordx2 v[41:42], v[45:46], off offset:256
	global_load_dwordx2 v[43:44], v[45:46], off offset:512
	;; [unrolled: 1-line block ×7, first 2 shown]
	global_load_dwordx2 v[69:70], v[47:48], off
	global_load_dwordx2 v[65:66], v[47:48], off offset:256
	global_load_dwordx2 v[61:62], v[47:48], off offset:512
	;; [unrolled: 1-line block ×6, first 2 shown]
	s_movk_i32 s24, 0x1000
	s_cbranch_execz .LBB1251_107
	s_branch .LBB1251_138
.LBB1251_106:                           ;   in Loop: Header=BB1251_104 Depth=2
	s_mov_b32 s23, 0
                                        ; implicit-def: $vgpr39_vgpr40
                                        ; implicit-def: $vgpr41_vgpr42
                                        ; implicit-def: $vgpr43_vgpr44
                                        ; implicit-def: $vgpr49_vgpr50
                                        ; implicit-def: $vgpr55_vgpr56
                                        ; implicit-def: $vgpr59_vgpr60
                                        ; implicit-def: $vgpr63_vgpr64
                                        ; implicit-def: $vgpr67_vgpr68
                                        ; implicit-def: $vgpr69_vgpr70
                                        ; implicit-def: $vgpr65_vgpr66
                                        ; implicit-def: $vgpr61_vgpr62
                                        ; implicit-def: $vgpr57_vgpr58
                                        ; implicit-def: $vgpr53_vgpr54
                                        ; implicit-def: $vgpr51_vgpr52
                                        ; implicit-def: $vgpr45_vgpr46
	s_movk_i32 s24, 0x1000
.LBB1251_107:                           ;   in Loop: Header=BB1251_104 Depth=2
	s_waitcnt vmcnt(13)
	v_mov_b32_e32 v41, v5
	v_mov_b32_e32 v42, v6
	s_lshl_b64 s[24:25], s[56:57], 3
	s_mov_b32 s23, exec_lo
	v_add_co_u32 v47, vcc_lo, v148, s24
	v_mov_b32_e32 v39, v41
	v_add_co_ci_u32_e64 v48, null, s25, v149, vcc_lo
	v_mov_b32_e32 v40, v42
	v_cmpx_gt_u32_e64 s66, v130
	s_cbranch_execz .LBB1251_109
; %bb.108:                              ;   in Loop: Header=BB1251_104 Depth=2
	global_load_dwordx2 v[39:40], v[47:48], off
.LBB1251_109:                           ;   in Loop: Header=BB1251_104 Depth=2
	s_or_b32 exec_lo, exec_lo, s23
	s_mov_b32 s23, exec_lo
	v_cmpx_gt_u32_e64 s66, v133
	s_cbranch_execz .LBB1251_111
; %bb.110:                              ;   in Loop: Header=BB1251_104 Depth=2
	global_load_dwordx2 v[41:42], v[47:48], off offset:256
.LBB1251_111:                           ;   in Loop: Header=BB1251_104 Depth=2
	s_or_b32 exec_lo, exec_lo, s23
	s_waitcnt vmcnt(12)
	v_mov_b32_e32 v44, v6
	v_mov_b32_e32 v43, v5
	s_mov_b32 s23, exec_lo
	v_cmpx_gt_u32_e64 s66, v134
	s_cbranch_execz .LBB1251_113
; %bb.112:                              ;   in Loop: Header=BB1251_104 Depth=2
	global_load_dwordx2 v[43:44], v[47:48], off offset:512
.LBB1251_113:                           ;   in Loop: Header=BB1251_104 Depth=2
	s_or_b32 exec_lo, exec_lo, s23
	s_waitcnt vmcnt(11)
	v_mov_b32_e32 v50, v6
	v_mov_b32_e32 v49, v5
	;; [unrolled: 10-line block ×7, first 2 shown]
	s_mov_b32 s23, exec_lo
	v_cmpx_gt_u32_e64 s66, v140
	s_cbranch_execz .LBB1251_125
; %bb.124:                              ;   in Loop: Header=BB1251_104 Depth=2
	s_waitcnt vmcnt(0)
	v_add_co_u32 v45, vcc_lo, 0x800, v47
	v_add_co_ci_u32_e64 v46, null, 0, v48, vcc_lo
	global_load_dwordx2 v[69:70], v[45:46], off
.LBB1251_125:                           ;   in Loop: Header=BB1251_104 Depth=2
	s_or_b32 exec_lo, exec_lo, s23
	s_waitcnt vmcnt(5)
	v_mov_b32_e32 v66, v6
	v_mov_b32_e32 v65, v5
	s_mov_b32 s23, exec_lo
	v_cmpx_gt_u32_e64 s66, v141
	s_cbranch_execz .LBB1251_127
; %bb.126:                              ;   in Loop: Header=BB1251_104 Depth=2
	s_waitcnt vmcnt(0)
	v_add_co_u32 v45, vcc_lo, 0x800, v47
	v_add_co_ci_u32_e64 v46, null, 0, v48, vcc_lo
	global_load_dwordx2 v[65:66], v[45:46], off offset:256
.LBB1251_127:                           ;   in Loop: Header=BB1251_104 Depth=2
	s_or_b32 exec_lo, exec_lo, s23
	s_waitcnt vmcnt(4)
	v_mov_b32_e32 v62, v6
	v_mov_b32_e32 v61, v5
	s_mov_b32 s23, exec_lo
	v_cmpx_gt_u32_e64 s66, v142
	s_cbranch_execz .LBB1251_129
; %bb.128:                              ;   in Loop: Header=BB1251_104 Depth=2
	s_waitcnt vmcnt(0)
	v_add_co_u32 v45, vcc_lo, 0x800, v47
	v_add_co_ci_u32_e64 v46, null, 0, v48, vcc_lo
	global_load_dwordx2 v[61:62], v[45:46], off offset:512
.LBB1251_129:                           ;   in Loop: Header=BB1251_104 Depth=2
	;; [unrolled: 13-line block ×5, first 2 shown]
	s_or_b32 exec_lo, exec_lo, s23
	s_waitcnt vmcnt(0)
	v_mov_b32_e32 v46, v6
	v_mov_b32_e32 v45, v5
	s_mov_b32 s23, exec_lo
	v_cmpx_gt_u32_e64 s66, v146
	s_cbranch_execz .LBB1251_137
; %bb.136:                              ;   in Loop: Header=BB1251_104 Depth=2
	v_add_co_u32 v45, vcc_lo, 0x800, v47
	v_add_co_ci_u32_e64 v46, null, 0, v48, vcc_lo
	global_load_dwordx2 v[45:46], v[45:46], off offset:1536
.LBB1251_137:                           ;   in Loop: Header=BB1251_104 Depth=2
	s_or_b32 exec_lo, exec_lo, s23
	v_cmp_gt_u32_e64 s23, s66, v147
	s_sub_i32 s24, s61, s56
.LBB1251_138:                           ;   in Loop: Header=BB1251_104 Depth=2
	v_mov_b32_e32 v48, v6
	v_mov_b32_e32 v169, s66
	;; [unrolled: 1-line block ×3, first 2 shown]
	s_and_saveexec_b32 s25, s23
	s_cbranch_execz .LBB1251_140
; %bb.139:                              ;   in Loop: Header=BB1251_104 Depth=2
	s_lshl_b64 s[26:27], s[56:57], 3
	v_mov_b32_e32 v169, s24
	v_add_co_u32 v3, vcc_lo, v148, s26
	v_add_co_ci_u32_e64 v48, null, s27, v149, vcc_lo
	v_add_co_u32 v47, vcc_lo, 0x800, v3
	v_add_co_ci_u32_e64 v48, null, 0, v48, vcc_lo
	global_load_dwordx2 v[47:48], v[47:48], off offset:1792
.LBB1251_140:                           ;   in Loop: Header=BB1251_104 Depth=2
	s_or_b32 exec_lo, exec_lo, s25
	s_waitcnt vmcnt(14)
	v_cmp_lt_i64_e32 vcc_lo, -1, v[39:40]
	v_ashrrev_i32_e32 v71, 31, v40
	ds_write2_b32 v100, v4, v4 offset0:136 offset1:137
	ds_write2_b32 v100, v4, v4 offset0:138 offset1:139
	ds_write_b32 v100, v4 offset:560
	s_waitcnt vmcnt(0) lgkmcnt(0)
	s_barrier
	v_cndmask_b32_e64 v3, -1, 0x80000000, vcc_lo
	v_xor_b32_e32 v39, v71, v39
	buffer_gl0_inv
	; wave barrier
	v_xor_b32_e32 v40, v3, v40
	v_cmp_ne_u64_e32 vcc_lo, s[46:47], v[39:40]
	v_cndmask_b32_e32 v72, 0x80000000, v40, vcc_lo
	v_cndmask_b32_e32 v71, 0, v39, vcc_lo
	v_lshrrev_b64 v[71:72], s63, v[71:72]
	v_and_b32_e32 v72, s65, v71
	v_and_b32_e32 v3, 1, v72
	v_lshlrev_b32_e32 v71, 30, v72
	v_lshlrev_b32_e32 v73, 29, v72
	;; [unrolled: 1-line block ×4, first 2 shown]
	v_add_co_u32 v3, s23, v3, -1
	v_cndmask_b32_e64 v74, 0, 1, s23
	v_not_b32_e32 v173, v71
	v_cmp_gt_i32_e64 s23, 0, v71
	v_not_b32_e32 v71, v73
	v_lshlrev_b32_e32 v172, 26, v72
	v_cmp_ne_u32_e32 vcc_lo, 0, v74
	v_ashrrev_i32_e32 v173, 31, v173
	v_lshlrev_b32_e32 v74, 25, v72
	v_ashrrev_i32_e32 v71, 31, v71
	v_mul_u32_u24_e32 v72, 36, v72
	v_xor_b32_e32 v3, vcc_lo, v3
	v_cmp_gt_i32_e32 vcc_lo, 0, v73
	v_not_b32_e32 v73, v170
	v_xor_b32_e32 v173, s23, v173
	v_cmp_gt_i32_e64 s23, 0, v170
	v_and_b32_e32 v3, exec_lo, v3
	v_not_b32_e32 v170, v171
	v_ashrrev_i32_e32 v73, 31, v73
	v_xor_b32_e32 v71, vcc_lo, v71
	v_cmp_gt_i32_e32 vcc_lo, 0, v171
	v_and_b32_e32 v3, v3, v173
	v_not_b32_e32 v171, v172
	v_ashrrev_i32_e32 v170, 31, v170
	v_xor_b32_e32 v73, s23, v73
	v_cmp_gt_i32_e64 s23, 0, v172
	v_and_b32_e32 v3, v3, v71
	v_not_b32_e32 v71, v74
	v_ashrrev_i32_e32 v171, 31, v171
	v_xor_b32_e32 v170, vcc_lo, v170
	v_cmp_gt_i32_e32 vcc_lo, 0, v74
	v_and_b32_e32 v3, v3, v73
	v_ashrrev_i32_e32 v71, 31, v71
	v_xor_b32_e32 v73, s23, v171
	v_and_b32_e32 v3, v3, v170
	v_xor_b32_e32 v71, vcc_lo, v71
	v_add_nc_u32_e32 v170, v150, v72
	v_and_b32_e32 v3, v3, v73
	v_and_b32_e32 v71, v3, v71
	v_mbcnt_lo_u32_b32 v3, v71, 0
	v_cmp_ne_u32_e64 s23, 0, v71
	v_cmp_eq_u32_e32 vcc_lo, 0, v3
	s_and_b32 s24, s23, vcc_lo
	s_and_saveexec_b32 s23, s24
; %bb.141:                              ;   in Loop: Header=BB1251_104 Depth=2
	v_bcnt_u32_b32 v71, v71, 0
	ds_write_b32 v170, v71 offset:544
; %bb.142:                              ;   in Loop: Header=BB1251_104 Depth=2
	s_or_b32 exec_lo, exec_lo, s23
	v_cmp_lt_i64_e32 vcc_lo, -1, v[41:42]
	v_ashrrev_i32_e32 v72, 31, v42
	; wave barrier
	v_xor_b32_e32 v41, v72, v41
	v_cndmask_b32_e64 v71, -1, 0x80000000, vcc_lo
	v_xor_b32_e32 v42, v71, v42
	v_cmp_ne_u64_e32 vcc_lo, s[46:47], v[41:42]
	v_cndmask_b32_e32 v72, 0x80000000, v42, vcc_lo
	v_cndmask_b32_e32 v71, 0, v41, vcc_lo
	v_lshrrev_b64 v[71:72], s63, v[71:72]
	v_and_b32_e32 v72, s65, v71
	v_and_b32_e32 v71, 1, v72
	v_lshlrev_b32_e32 v73, 30, v72
	v_lshlrev_b32_e32 v74, 29, v72
	;; [unrolled: 1-line block ×4, first 2 shown]
	v_add_co_u32 v71, s23, v71, -1
	v_cndmask_b32_e64 v171, 0, 1, s23
	v_not_b32_e32 v175, v73
	v_cmp_gt_i32_e64 s23, 0, v73
	v_not_b32_e32 v73, v74
	v_lshlrev_b32_e32 v174, 26, v72
	v_cmp_ne_u32_e32 vcc_lo, 0, v171
	v_ashrrev_i32_e32 v175, 31, v175
	v_lshlrev_b32_e32 v171, 25, v72
	v_ashrrev_i32_e32 v73, 31, v73
	v_xor_b32_e32 v71, vcc_lo, v71
	v_cmp_gt_i32_e32 vcc_lo, 0, v74
	v_not_b32_e32 v74, v172
	v_xor_b32_e32 v175, s23, v175
	v_cmp_gt_i32_e64 s23, 0, v172
	v_and_b32_e32 v71, exec_lo, v71
	v_not_b32_e32 v172, v173
	v_ashrrev_i32_e32 v74, 31, v74
	v_xor_b32_e32 v73, vcc_lo, v73
	v_cmp_gt_i32_e32 vcc_lo, 0, v173
	v_and_b32_e32 v71, v71, v175
	v_not_b32_e32 v173, v174
	v_ashrrev_i32_e32 v172, 31, v172
	v_xor_b32_e32 v74, s23, v74
	v_cmp_gt_i32_e64 s23, 0, v174
	v_and_b32_e32 v71, v71, v73
	v_not_b32_e32 v73, v171
	v_ashrrev_i32_e32 v173, 31, v173
	v_xor_b32_e32 v172, vcc_lo, v172
	v_cmp_gt_i32_e32 vcc_lo, 0, v171
	v_and_b32_e32 v71, v71, v74
	v_ashrrev_i32_e32 v73, 31, v73
	v_xor_b32_e32 v74, s23, v173
	v_mad_u32_u24 v171, v72, 36, v150
	v_mul_u32_u24_e32 v72, 36, v72
	v_and_b32_e32 v71, v71, v172
	v_xor_b32_e32 v73, vcc_lo, v73
	ds_read_b32 v171, v171 offset:544
	v_add_nc_u32_e32 v173, v150, v72
	v_and_b32_e32 v71, v71, v74
	; wave barrier
	v_and_b32_e32 v71, v71, v73
	v_mbcnt_lo_u32_b32 v172, v71, 0
	v_cmp_ne_u32_e64 s23, 0, v71
	v_cmp_eq_u32_e32 vcc_lo, 0, v172
	s_and_b32 s24, s23, vcc_lo
	s_and_saveexec_b32 s23, s24
	s_cbranch_execz .LBB1251_144
; %bb.143:                              ;   in Loop: Header=BB1251_104 Depth=2
	s_waitcnt lgkmcnt(0)
	v_bcnt_u32_b32 v71, v71, v171
	ds_write_b32 v173, v71 offset:544
.LBB1251_144:                           ;   in Loop: Header=BB1251_104 Depth=2
	s_or_b32 exec_lo, exec_lo, s23
	v_cmp_lt_i64_e32 vcc_lo, -1, v[43:44]
	v_ashrrev_i32_e32 v72, 31, v44
	; wave barrier
	v_xor_b32_e32 v43, v72, v43
	v_cndmask_b32_e64 v71, -1, 0x80000000, vcc_lo
	v_xor_b32_e32 v44, v71, v44
	v_cmp_ne_u64_e32 vcc_lo, s[46:47], v[43:44]
	v_cndmask_b32_e32 v72, 0x80000000, v44, vcc_lo
	v_cndmask_b32_e32 v71, 0, v43, vcc_lo
	v_lshrrev_b64 v[71:72], s63, v[71:72]
	v_and_b32_e32 v72, s65, v71
	v_and_b32_e32 v71, 1, v72
	v_lshlrev_b32_e32 v73, 30, v72
	v_lshlrev_b32_e32 v74, 29, v72
	;; [unrolled: 1-line block ×4, first 2 shown]
	v_add_co_u32 v71, s23, v71, -1
	v_cndmask_b32_e64 v174, 0, 1, s23
	v_not_b32_e32 v178, v73
	v_cmp_gt_i32_e64 s23, 0, v73
	v_not_b32_e32 v73, v74
	v_lshlrev_b32_e32 v177, 26, v72
	v_cmp_ne_u32_e32 vcc_lo, 0, v174
	v_ashrrev_i32_e32 v178, 31, v178
	v_lshlrev_b32_e32 v174, 25, v72
	v_ashrrev_i32_e32 v73, 31, v73
	v_xor_b32_e32 v71, vcc_lo, v71
	v_cmp_gt_i32_e32 vcc_lo, 0, v74
	v_not_b32_e32 v74, v175
	v_xor_b32_e32 v178, s23, v178
	v_cmp_gt_i32_e64 s23, 0, v175
	v_and_b32_e32 v71, exec_lo, v71
	v_not_b32_e32 v175, v176
	v_ashrrev_i32_e32 v74, 31, v74
	v_xor_b32_e32 v73, vcc_lo, v73
	v_cmp_gt_i32_e32 vcc_lo, 0, v176
	v_and_b32_e32 v71, v71, v178
	v_not_b32_e32 v176, v177
	v_ashrrev_i32_e32 v175, 31, v175
	v_xor_b32_e32 v74, s23, v74
	v_cmp_gt_i32_e64 s23, 0, v177
	v_and_b32_e32 v71, v71, v73
	v_not_b32_e32 v73, v174
	v_ashrrev_i32_e32 v176, 31, v176
	v_xor_b32_e32 v175, vcc_lo, v175
	v_cmp_gt_i32_e32 vcc_lo, 0, v174
	v_and_b32_e32 v71, v71, v74
	v_ashrrev_i32_e32 v73, 31, v73
	v_xor_b32_e32 v74, s23, v176
	v_mad_u32_u24 v174, v72, 36, v150
	v_mul_u32_u24_e32 v72, 36, v72
	v_and_b32_e32 v71, v71, v175
	v_xor_b32_e32 v73, vcc_lo, v73
	ds_read_b32 v174, v174 offset:544
	v_add_nc_u32_e32 v176, v150, v72
	v_and_b32_e32 v71, v71, v74
	; wave barrier
	v_and_b32_e32 v71, v71, v73
	v_mbcnt_lo_u32_b32 v175, v71, 0
	v_cmp_ne_u32_e64 s23, 0, v71
	v_cmp_eq_u32_e32 vcc_lo, 0, v175
	s_and_b32 s24, s23, vcc_lo
	s_and_saveexec_b32 s23, s24
	s_cbranch_execz .LBB1251_146
; %bb.145:                              ;   in Loop: Header=BB1251_104 Depth=2
	s_waitcnt lgkmcnt(0)
	v_bcnt_u32_b32 v71, v71, v174
	ds_write_b32 v176, v71 offset:544
.LBB1251_146:                           ;   in Loop: Header=BB1251_104 Depth=2
	s_or_b32 exec_lo, exec_lo, s23
	v_cmp_lt_i64_e32 vcc_lo, -1, v[49:50]
	v_ashrrev_i32_e32 v72, 31, v50
	; wave barrier
	v_xor_b32_e32 v49, v72, v49
	v_cndmask_b32_e64 v71, -1, 0x80000000, vcc_lo
	v_xor_b32_e32 v50, v71, v50
	v_cmp_ne_u64_e32 vcc_lo, s[46:47], v[49:50]
	v_cndmask_b32_e32 v72, 0x80000000, v50, vcc_lo
	v_cndmask_b32_e32 v71, 0, v49, vcc_lo
	v_lshrrev_b64 v[71:72], s63, v[71:72]
	v_and_b32_e32 v72, s65, v71
	v_and_b32_e32 v71, 1, v72
	v_lshlrev_b32_e32 v73, 30, v72
	v_lshlrev_b32_e32 v74, 29, v72
	;; [unrolled: 1-line block ×4, first 2 shown]
	v_add_co_u32 v71, s23, v71, -1
	v_cndmask_b32_e64 v177, 0, 1, s23
	v_not_b32_e32 v181, v73
	v_cmp_gt_i32_e64 s23, 0, v73
	v_not_b32_e32 v73, v74
	v_lshlrev_b32_e32 v180, 26, v72
	v_cmp_ne_u32_e32 vcc_lo, 0, v177
	v_ashrrev_i32_e32 v181, 31, v181
	v_lshlrev_b32_e32 v177, 25, v72
	v_ashrrev_i32_e32 v73, 31, v73
	v_xor_b32_e32 v71, vcc_lo, v71
	v_cmp_gt_i32_e32 vcc_lo, 0, v74
	v_not_b32_e32 v74, v178
	v_xor_b32_e32 v181, s23, v181
	v_cmp_gt_i32_e64 s23, 0, v178
	v_and_b32_e32 v71, exec_lo, v71
	v_not_b32_e32 v178, v179
	v_ashrrev_i32_e32 v74, 31, v74
	v_xor_b32_e32 v73, vcc_lo, v73
	v_cmp_gt_i32_e32 vcc_lo, 0, v179
	v_and_b32_e32 v71, v71, v181
	v_not_b32_e32 v179, v180
	v_ashrrev_i32_e32 v178, 31, v178
	v_xor_b32_e32 v74, s23, v74
	v_cmp_gt_i32_e64 s23, 0, v180
	v_and_b32_e32 v71, v71, v73
	v_not_b32_e32 v73, v177
	v_ashrrev_i32_e32 v179, 31, v179
	v_xor_b32_e32 v178, vcc_lo, v178
	v_cmp_gt_i32_e32 vcc_lo, 0, v177
	v_and_b32_e32 v71, v71, v74
	v_ashrrev_i32_e32 v73, 31, v73
	v_xor_b32_e32 v74, s23, v179
	v_mad_u32_u24 v177, v72, 36, v150
	v_mul_u32_u24_e32 v72, 36, v72
	v_and_b32_e32 v71, v71, v178
	v_xor_b32_e32 v73, vcc_lo, v73
	ds_read_b32 v177, v177 offset:544
	v_add_nc_u32_e32 v179, v150, v72
	v_and_b32_e32 v71, v71, v74
	; wave barrier
	v_and_b32_e32 v71, v71, v73
	v_mbcnt_lo_u32_b32 v178, v71, 0
	v_cmp_ne_u32_e64 s23, 0, v71
	v_cmp_eq_u32_e32 vcc_lo, 0, v178
	s_and_b32 s24, s23, vcc_lo
	s_and_saveexec_b32 s23, s24
	s_cbranch_execz .LBB1251_148
; %bb.147:                              ;   in Loop: Header=BB1251_104 Depth=2
	s_waitcnt lgkmcnt(0)
	v_bcnt_u32_b32 v71, v71, v177
	ds_write_b32 v179, v71 offset:544
.LBB1251_148:                           ;   in Loop: Header=BB1251_104 Depth=2
	s_or_b32 exec_lo, exec_lo, s23
	v_cmp_lt_i64_e32 vcc_lo, -1, v[55:56]
	v_ashrrev_i32_e32 v72, 31, v56
	; wave barrier
	v_xor_b32_e32 v55, v72, v55
	v_cndmask_b32_e64 v71, -1, 0x80000000, vcc_lo
	v_xor_b32_e32 v56, v71, v56
	v_cmp_ne_u64_e32 vcc_lo, s[46:47], v[55:56]
	v_cndmask_b32_e32 v72, 0x80000000, v56, vcc_lo
	v_cndmask_b32_e32 v71, 0, v55, vcc_lo
	v_lshrrev_b64 v[71:72], s63, v[71:72]
	v_and_b32_e32 v72, s65, v71
	v_and_b32_e32 v71, 1, v72
	v_lshlrev_b32_e32 v73, 30, v72
	v_lshlrev_b32_e32 v74, 29, v72
	;; [unrolled: 1-line block ×4, first 2 shown]
	v_add_co_u32 v71, s23, v71, -1
	v_cndmask_b32_e64 v180, 0, 1, s23
	v_not_b32_e32 v184, v73
	v_cmp_gt_i32_e64 s23, 0, v73
	v_not_b32_e32 v73, v74
	v_lshlrev_b32_e32 v183, 26, v72
	v_cmp_ne_u32_e32 vcc_lo, 0, v180
	v_ashrrev_i32_e32 v184, 31, v184
	v_lshlrev_b32_e32 v180, 25, v72
	v_ashrrev_i32_e32 v73, 31, v73
	v_xor_b32_e32 v71, vcc_lo, v71
	v_cmp_gt_i32_e32 vcc_lo, 0, v74
	v_not_b32_e32 v74, v181
	v_xor_b32_e32 v184, s23, v184
	v_cmp_gt_i32_e64 s23, 0, v181
	v_and_b32_e32 v71, exec_lo, v71
	v_not_b32_e32 v181, v182
	v_ashrrev_i32_e32 v74, 31, v74
	v_xor_b32_e32 v73, vcc_lo, v73
	v_cmp_gt_i32_e32 vcc_lo, 0, v182
	v_and_b32_e32 v71, v71, v184
	v_not_b32_e32 v182, v183
	v_ashrrev_i32_e32 v181, 31, v181
	v_xor_b32_e32 v74, s23, v74
	v_cmp_gt_i32_e64 s23, 0, v183
	v_and_b32_e32 v71, v71, v73
	v_not_b32_e32 v73, v180
	v_ashrrev_i32_e32 v182, 31, v182
	v_xor_b32_e32 v181, vcc_lo, v181
	v_cmp_gt_i32_e32 vcc_lo, 0, v180
	v_and_b32_e32 v71, v71, v74
	v_ashrrev_i32_e32 v73, 31, v73
	v_xor_b32_e32 v74, s23, v182
	v_mad_u32_u24 v180, v72, 36, v150
	v_mul_u32_u24_e32 v72, 36, v72
	v_and_b32_e32 v71, v71, v181
	v_xor_b32_e32 v73, vcc_lo, v73
	ds_read_b32 v180, v180 offset:544
	v_add_nc_u32_e32 v182, v150, v72
	v_and_b32_e32 v71, v71, v74
	; wave barrier
	v_and_b32_e32 v71, v71, v73
	v_mbcnt_lo_u32_b32 v181, v71, 0
	v_cmp_ne_u32_e64 s23, 0, v71
	v_cmp_eq_u32_e32 vcc_lo, 0, v181
	s_and_b32 s24, s23, vcc_lo
	s_and_saveexec_b32 s23, s24
	s_cbranch_execz .LBB1251_150
; %bb.149:                              ;   in Loop: Header=BB1251_104 Depth=2
	s_waitcnt lgkmcnt(0)
	v_bcnt_u32_b32 v71, v71, v180
	ds_write_b32 v182, v71 offset:544
.LBB1251_150:                           ;   in Loop: Header=BB1251_104 Depth=2
	s_or_b32 exec_lo, exec_lo, s23
	v_cmp_lt_i64_e32 vcc_lo, -1, v[59:60]
	v_ashrrev_i32_e32 v72, 31, v60
	; wave barrier
	v_xor_b32_e32 v59, v72, v59
	v_cndmask_b32_e64 v71, -1, 0x80000000, vcc_lo
	v_xor_b32_e32 v60, v71, v60
	v_cmp_ne_u64_e32 vcc_lo, s[46:47], v[59:60]
	v_cndmask_b32_e32 v72, 0x80000000, v60, vcc_lo
	v_cndmask_b32_e32 v71, 0, v59, vcc_lo
	v_lshrrev_b64 v[71:72], s63, v[71:72]
	v_and_b32_e32 v72, s65, v71
	v_and_b32_e32 v71, 1, v72
	v_lshlrev_b32_e32 v73, 30, v72
	v_lshlrev_b32_e32 v74, 29, v72
	;; [unrolled: 1-line block ×4, first 2 shown]
	v_add_co_u32 v71, s23, v71, -1
	v_cndmask_b32_e64 v183, 0, 1, s23
	v_not_b32_e32 v187, v73
	v_cmp_gt_i32_e64 s23, 0, v73
	v_not_b32_e32 v73, v74
	v_lshlrev_b32_e32 v186, 26, v72
	v_cmp_ne_u32_e32 vcc_lo, 0, v183
	v_ashrrev_i32_e32 v187, 31, v187
	v_lshlrev_b32_e32 v183, 25, v72
	v_ashrrev_i32_e32 v73, 31, v73
	v_xor_b32_e32 v71, vcc_lo, v71
	v_cmp_gt_i32_e32 vcc_lo, 0, v74
	v_not_b32_e32 v74, v184
	v_xor_b32_e32 v187, s23, v187
	v_cmp_gt_i32_e64 s23, 0, v184
	v_and_b32_e32 v71, exec_lo, v71
	v_not_b32_e32 v184, v185
	v_ashrrev_i32_e32 v74, 31, v74
	v_xor_b32_e32 v73, vcc_lo, v73
	v_cmp_gt_i32_e32 vcc_lo, 0, v185
	v_and_b32_e32 v71, v71, v187
	v_not_b32_e32 v185, v186
	v_ashrrev_i32_e32 v184, 31, v184
	v_xor_b32_e32 v74, s23, v74
	v_cmp_gt_i32_e64 s23, 0, v186
	v_and_b32_e32 v71, v71, v73
	v_not_b32_e32 v73, v183
	v_ashrrev_i32_e32 v185, 31, v185
	v_xor_b32_e32 v184, vcc_lo, v184
	v_cmp_gt_i32_e32 vcc_lo, 0, v183
	v_and_b32_e32 v71, v71, v74
	v_ashrrev_i32_e32 v73, 31, v73
	v_xor_b32_e32 v74, s23, v185
	v_mad_u32_u24 v183, v72, 36, v150
	v_mul_u32_u24_e32 v72, 36, v72
	v_and_b32_e32 v71, v71, v184
	v_xor_b32_e32 v73, vcc_lo, v73
	ds_read_b32 v183, v183 offset:544
	v_add_nc_u32_e32 v185, v150, v72
	v_and_b32_e32 v71, v71, v74
	; wave barrier
	v_and_b32_e32 v71, v71, v73
	v_mbcnt_lo_u32_b32 v184, v71, 0
	v_cmp_ne_u32_e64 s23, 0, v71
	v_cmp_eq_u32_e32 vcc_lo, 0, v184
	s_and_b32 s24, s23, vcc_lo
	s_and_saveexec_b32 s23, s24
	s_cbranch_execz .LBB1251_152
; %bb.151:                              ;   in Loop: Header=BB1251_104 Depth=2
	s_waitcnt lgkmcnt(0)
	v_bcnt_u32_b32 v71, v71, v183
	ds_write_b32 v185, v71 offset:544
.LBB1251_152:                           ;   in Loop: Header=BB1251_104 Depth=2
	s_or_b32 exec_lo, exec_lo, s23
	v_cmp_lt_i64_e32 vcc_lo, -1, v[63:64]
	v_ashrrev_i32_e32 v72, 31, v64
	; wave barrier
	v_xor_b32_e32 v63, v72, v63
	v_cndmask_b32_e64 v71, -1, 0x80000000, vcc_lo
	v_xor_b32_e32 v64, v71, v64
	v_cmp_ne_u64_e32 vcc_lo, s[46:47], v[63:64]
	v_cndmask_b32_e32 v72, 0x80000000, v64, vcc_lo
	v_cndmask_b32_e32 v71, 0, v63, vcc_lo
	v_lshrrev_b64 v[71:72], s63, v[71:72]
	v_and_b32_e32 v72, s65, v71
	v_and_b32_e32 v71, 1, v72
	v_lshlrev_b32_e32 v73, 30, v72
	v_lshlrev_b32_e32 v74, 29, v72
	v_lshlrev_b32_e32 v187, 28, v72
	v_lshlrev_b32_e32 v188, 27, v72
	v_add_co_u32 v71, s23, v71, -1
	v_cndmask_b32_e64 v186, 0, 1, s23
	v_not_b32_e32 v190, v73
	v_cmp_gt_i32_e64 s23, 0, v73
	v_not_b32_e32 v73, v74
	v_lshlrev_b32_e32 v189, 26, v72
	v_cmp_ne_u32_e32 vcc_lo, 0, v186
	v_ashrrev_i32_e32 v190, 31, v190
	v_lshlrev_b32_e32 v186, 25, v72
	v_ashrrev_i32_e32 v73, 31, v73
	v_xor_b32_e32 v71, vcc_lo, v71
	v_cmp_gt_i32_e32 vcc_lo, 0, v74
	v_not_b32_e32 v74, v187
	v_xor_b32_e32 v190, s23, v190
	v_cmp_gt_i32_e64 s23, 0, v187
	v_and_b32_e32 v71, exec_lo, v71
	v_not_b32_e32 v187, v188
	v_ashrrev_i32_e32 v74, 31, v74
	v_xor_b32_e32 v73, vcc_lo, v73
	v_cmp_gt_i32_e32 vcc_lo, 0, v188
	v_and_b32_e32 v71, v71, v190
	v_not_b32_e32 v188, v189
	v_ashrrev_i32_e32 v187, 31, v187
	v_xor_b32_e32 v74, s23, v74
	v_cmp_gt_i32_e64 s23, 0, v189
	v_and_b32_e32 v71, v71, v73
	v_not_b32_e32 v73, v186
	v_ashrrev_i32_e32 v188, 31, v188
	v_xor_b32_e32 v187, vcc_lo, v187
	v_cmp_gt_i32_e32 vcc_lo, 0, v186
	v_and_b32_e32 v71, v71, v74
	v_ashrrev_i32_e32 v73, 31, v73
	v_xor_b32_e32 v74, s23, v188
	v_mad_u32_u24 v186, v72, 36, v150
	v_mul_u32_u24_e32 v72, 36, v72
	v_and_b32_e32 v71, v71, v187
	v_xor_b32_e32 v73, vcc_lo, v73
	ds_read_b32 v186, v186 offset:544
	v_add_nc_u32_e32 v188, v150, v72
	v_and_b32_e32 v71, v71, v74
	; wave barrier
	v_and_b32_e32 v71, v71, v73
	v_mbcnt_lo_u32_b32 v187, v71, 0
	v_cmp_ne_u32_e64 s23, 0, v71
	v_cmp_eq_u32_e32 vcc_lo, 0, v187
	s_and_b32 s24, s23, vcc_lo
	s_and_saveexec_b32 s23, s24
	s_cbranch_execz .LBB1251_154
; %bb.153:                              ;   in Loop: Header=BB1251_104 Depth=2
	s_waitcnt lgkmcnt(0)
	v_bcnt_u32_b32 v71, v71, v186
	ds_write_b32 v188, v71 offset:544
.LBB1251_154:                           ;   in Loop: Header=BB1251_104 Depth=2
	s_or_b32 exec_lo, exec_lo, s23
	v_cmp_lt_i64_e32 vcc_lo, -1, v[67:68]
	v_ashrrev_i32_e32 v72, 31, v68
	; wave barrier
	v_xor_b32_e32 v67, v72, v67
	v_cndmask_b32_e64 v71, -1, 0x80000000, vcc_lo
	v_xor_b32_e32 v68, v71, v68
	v_cmp_ne_u64_e32 vcc_lo, s[46:47], v[67:68]
	v_cndmask_b32_e32 v72, 0x80000000, v68, vcc_lo
	v_cndmask_b32_e32 v71, 0, v67, vcc_lo
	v_lshrrev_b64 v[71:72], s63, v[71:72]
	v_and_b32_e32 v72, s65, v71
	v_and_b32_e32 v71, 1, v72
	v_lshlrev_b32_e32 v73, 30, v72
	v_lshlrev_b32_e32 v74, 29, v72
	;; [unrolled: 1-line block ×4, first 2 shown]
	v_add_co_u32 v71, s23, v71, -1
	v_cndmask_b32_e64 v189, 0, 1, s23
	v_not_b32_e32 v193, v73
	v_cmp_gt_i32_e64 s23, 0, v73
	v_not_b32_e32 v73, v74
	v_lshlrev_b32_e32 v192, 26, v72
	v_cmp_ne_u32_e32 vcc_lo, 0, v189
	v_ashrrev_i32_e32 v193, 31, v193
	v_lshlrev_b32_e32 v189, 25, v72
	v_ashrrev_i32_e32 v73, 31, v73
	v_xor_b32_e32 v71, vcc_lo, v71
	v_cmp_gt_i32_e32 vcc_lo, 0, v74
	v_not_b32_e32 v74, v190
	v_xor_b32_e32 v193, s23, v193
	v_cmp_gt_i32_e64 s23, 0, v190
	v_and_b32_e32 v71, exec_lo, v71
	v_not_b32_e32 v190, v191
	v_ashrrev_i32_e32 v74, 31, v74
	v_xor_b32_e32 v73, vcc_lo, v73
	v_cmp_gt_i32_e32 vcc_lo, 0, v191
	v_and_b32_e32 v71, v71, v193
	v_not_b32_e32 v191, v192
	v_ashrrev_i32_e32 v190, 31, v190
	v_xor_b32_e32 v74, s23, v74
	v_cmp_gt_i32_e64 s23, 0, v192
	v_and_b32_e32 v71, v71, v73
	v_not_b32_e32 v73, v189
	v_ashrrev_i32_e32 v191, 31, v191
	v_xor_b32_e32 v190, vcc_lo, v190
	v_cmp_gt_i32_e32 vcc_lo, 0, v189
	v_and_b32_e32 v71, v71, v74
	v_ashrrev_i32_e32 v73, 31, v73
	v_xor_b32_e32 v74, s23, v191
	v_mad_u32_u24 v189, v72, 36, v150
	v_mul_u32_u24_e32 v72, 36, v72
	v_and_b32_e32 v71, v71, v190
	v_xor_b32_e32 v73, vcc_lo, v73
	ds_read_b32 v189, v189 offset:544
	v_add_nc_u32_e32 v191, v150, v72
	v_and_b32_e32 v71, v71, v74
	; wave barrier
	v_and_b32_e32 v71, v71, v73
	v_mbcnt_lo_u32_b32 v190, v71, 0
	v_cmp_ne_u32_e64 s23, 0, v71
	v_cmp_eq_u32_e32 vcc_lo, 0, v190
	s_and_b32 s24, s23, vcc_lo
	s_and_saveexec_b32 s23, s24
	s_cbranch_execz .LBB1251_156
; %bb.155:                              ;   in Loop: Header=BB1251_104 Depth=2
	s_waitcnt lgkmcnt(0)
	v_bcnt_u32_b32 v71, v71, v189
	ds_write_b32 v191, v71 offset:544
.LBB1251_156:                           ;   in Loop: Header=BB1251_104 Depth=2
	s_or_b32 exec_lo, exec_lo, s23
	v_cmp_lt_i64_e32 vcc_lo, -1, v[69:70]
	v_ashrrev_i32_e32 v72, 31, v70
	; wave barrier
	v_xor_b32_e32 v69, v72, v69
	v_cndmask_b32_e64 v71, -1, 0x80000000, vcc_lo
	v_xor_b32_e32 v70, v71, v70
	v_cmp_ne_u64_e32 vcc_lo, s[46:47], v[69:70]
	v_cndmask_b32_e32 v72, 0x80000000, v70, vcc_lo
	v_cndmask_b32_e32 v71, 0, v69, vcc_lo
	v_lshrrev_b64 v[71:72], s63, v[71:72]
	v_and_b32_e32 v72, s65, v71
	v_and_b32_e32 v71, 1, v72
	v_lshlrev_b32_e32 v73, 30, v72
	v_lshlrev_b32_e32 v74, 29, v72
	;; [unrolled: 1-line block ×4, first 2 shown]
	v_add_co_u32 v71, s23, v71, -1
	v_cndmask_b32_e64 v192, 0, 1, s23
	v_not_b32_e32 v196, v73
	v_cmp_gt_i32_e64 s23, 0, v73
	v_not_b32_e32 v73, v74
	v_lshlrev_b32_e32 v195, 26, v72
	v_cmp_ne_u32_e32 vcc_lo, 0, v192
	v_ashrrev_i32_e32 v196, 31, v196
	v_lshlrev_b32_e32 v192, 25, v72
	v_ashrrev_i32_e32 v73, 31, v73
	v_xor_b32_e32 v71, vcc_lo, v71
	v_cmp_gt_i32_e32 vcc_lo, 0, v74
	v_not_b32_e32 v74, v193
	v_xor_b32_e32 v196, s23, v196
	v_cmp_gt_i32_e64 s23, 0, v193
	v_and_b32_e32 v71, exec_lo, v71
	v_not_b32_e32 v193, v194
	v_ashrrev_i32_e32 v74, 31, v74
	v_xor_b32_e32 v73, vcc_lo, v73
	v_cmp_gt_i32_e32 vcc_lo, 0, v194
	v_and_b32_e32 v71, v71, v196
	v_not_b32_e32 v194, v195
	v_ashrrev_i32_e32 v193, 31, v193
	v_xor_b32_e32 v74, s23, v74
	v_cmp_gt_i32_e64 s23, 0, v195
	v_and_b32_e32 v71, v71, v73
	v_not_b32_e32 v73, v192
	v_ashrrev_i32_e32 v194, 31, v194
	v_xor_b32_e32 v193, vcc_lo, v193
	v_cmp_gt_i32_e32 vcc_lo, 0, v192
	v_and_b32_e32 v71, v71, v74
	v_ashrrev_i32_e32 v73, 31, v73
	v_xor_b32_e32 v74, s23, v194
	v_mad_u32_u24 v192, v72, 36, v150
	v_mul_u32_u24_e32 v72, 36, v72
	v_and_b32_e32 v71, v71, v193
	v_xor_b32_e32 v73, vcc_lo, v73
	ds_read_b32 v192, v192 offset:544
	v_add_nc_u32_e32 v194, v150, v72
	v_and_b32_e32 v71, v71, v74
	; wave barrier
	v_and_b32_e32 v71, v71, v73
	v_mbcnt_lo_u32_b32 v193, v71, 0
	v_cmp_ne_u32_e64 s23, 0, v71
	v_cmp_eq_u32_e32 vcc_lo, 0, v193
	s_and_b32 s24, s23, vcc_lo
	s_and_saveexec_b32 s23, s24
	s_cbranch_execz .LBB1251_158
; %bb.157:                              ;   in Loop: Header=BB1251_104 Depth=2
	s_waitcnt lgkmcnt(0)
	v_bcnt_u32_b32 v71, v71, v192
	ds_write_b32 v194, v71 offset:544
.LBB1251_158:                           ;   in Loop: Header=BB1251_104 Depth=2
	s_or_b32 exec_lo, exec_lo, s23
	v_cmp_lt_i64_e32 vcc_lo, -1, v[65:66]
	v_ashrrev_i32_e32 v72, 31, v66
	; wave barrier
	v_xor_b32_e32 v65, v72, v65
	v_cndmask_b32_e64 v71, -1, 0x80000000, vcc_lo
	v_xor_b32_e32 v66, v71, v66
	v_cmp_ne_u64_e32 vcc_lo, s[46:47], v[65:66]
	v_cndmask_b32_e32 v72, 0x80000000, v66, vcc_lo
	v_cndmask_b32_e32 v71, 0, v65, vcc_lo
	v_lshrrev_b64 v[71:72], s63, v[71:72]
	v_and_b32_e32 v72, s65, v71
	v_and_b32_e32 v71, 1, v72
	v_lshlrev_b32_e32 v73, 30, v72
	v_lshlrev_b32_e32 v74, 29, v72
	;; [unrolled: 1-line block ×4, first 2 shown]
	v_add_co_u32 v71, s23, v71, -1
	v_cndmask_b32_e64 v195, 0, 1, s23
	v_not_b32_e32 v199, v73
	v_cmp_gt_i32_e64 s23, 0, v73
	v_not_b32_e32 v73, v74
	v_lshlrev_b32_e32 v198, 26, v72
	v_cmp_ne_u32_e32 vcc_lo, 0, v195
	v_ashrrev_i32_e32 v199, 31, v199
	v_lshlrev_b32_e32 v195, 25, v72
	v_ashrrev_i32_e32 v73, 31, v73
	v_xor_b32_e32 v71, vcc_lo, v71
	v_cmp_gt_i32_e32 vcc_lo, 0, v74
	v_not_b32_e32 v74, v196
	v_xor_b32_e32 v199, s23, v199
	v_cmp_gt_i32_e64 s23, 0, v196
	v_and_b32_e32 v71, exec_lo, v71
	v_not_b32_e32 v196, v197
	v_ashrrev_i32_e32 v74, 31, v74
	v_xor_b32_e32 v73, vcc_lo, v73
	v_cmp_gt_i32_e32 vcc_lo, 0, v197
	v_and_b32_e32 v71, v71, v199
	v_not_b32_e32 v197, v198
	v_ashrrev_i32_e32 v196, 31, v196
	v_xor_b32_e32 v74, s23, v74
	v_cmp_gt_i32_e64 s23, 0, v198
	v_and_b32_e32 v71, v71, v73
	v_not_b32_e32 v73, v195
	v_ashrrev_i32_e32 v197, 31, v197
	v_xor_b32_e32 v196, vcc_lo, v196
	v_cmp_gt_i32_e32 vcc_lo, 0, v195
	v_and_b32_e32 v71, v71, v74
	v_ashrrev_i32_e32 v73, 31, v73
	v_xor_b32_e32 v74, s23, v197
	v_mad_u32_u24 v195, v72, 36, v150
	v_mul_u32_u24_e32 v72, 36, v72
	v_and_b32_e32 v71, v71, v196
	v_xor_b32_e32 v73, vcc_lo, v73
	ds_read_b32 v195, v195 offset:544
	v_add_nc_u32_e32 v198, v150, v72
	v_and_b32_e32 v71, v71, v74
	; wave barrier
	v_and_b32_e32 v71, v71, v73
	v_mbcnt_lo_u32_b32 v196, v71, 0
	v_cmp_ne_u32_e64 s23, 0, v71
	v_cmp_eq_u32_e32 vcc_lo, 0, v196
	s_and_b32 s24, s23, vcc_lo
	s_and_saveexec_b32 s23, s24
	s_cbranch_execz .LBB1251_160
; %bb.159:                              ;   in Loop: Header=BB1251_104 Depth=2
	s_waitcnt lgkmcnt(0)
	v_bcnt_u32_b32 v71, v71, v195
	ds_write_b32 v198, v71 offset:544
.LBB1251_160:                           ;   in Loop: Header=BB1251_104 Depth=2
	s_or_b32 exec_lo, exec_lo, s23
	v_cmp_lt_i64_e32 vcc_lo, -1, v[61:62]
	v_ashrrev_i32_e32 v72, 31, v62
	; wave barrier
	v_xor_b32_e32 v61, v72, v61
	v_cndmask_b32_e64 v71, -1, 0x80000000, vcc_lo
	v_xor_b32_e32 v62, v71, v62
	v_cmp_ne_u64_e32 vcc_lo, s[46:47], v[61:62]
	v_cndmask_b32_e32 v72, 0x80000000, v62, vcc_lo
	v_cndmask_b32_e32 v71, 0, v61, vcc_lo
	v_lshrrev_b64 v[71:72], s63, v[71:72]
	v_and_b32_e32 v72, s65, v71
	v_and_b32_e32 v71, 1, v72
	v_lshlrev_b32_e32 v73, 30, v72
	v_lshlrev_b32_e32 v74, 29, v72
	;; [unrolled: 1-line block ×4, first 2 shown]
	v_add_co_u32 v71, s23, v71, -1
	v_cndmask_b32_e64 v197, 0, 1, s23
	v_not_b32_e32 v202, v73
	v_cmp_gt_i32_e64 s23, 0, v73
	v_not_b32_e32 v73, v74
	v_lshlrev_b32_e32 v201, 26, v72
	v_cmp_ne_u32_e32 vcc_lo, 0, v197
	v_ashrrev_i32_e32 v202, 31, v202
	v_lshlrev_b32_e32 v197, 25, v72
	v_ashrrev_i32_e32 v73, 31, v73
	v_xor_b32_e32 v71, vcc_lo, v71
	v_cmp_gt_i32_e32 vcc_lo, 0, v74
	v_not_b32_e32 v74, v199
	v_xor_b32_e32 v202, s23, v202
	v_cmp_gt_i32_e64 s23, 0, v199
	v_and_b32_e32 v71, exec_lo, v71
	v_not_b32_e32 v199, v200
	v_ashrrev_i32_e32 v74, 31, v74
	v_xor_b32_e32 v73, vcc_lo, v73
	v_cmp_gt_i32_e32 vcc_lo, 0, v200
	v_and_b32_e32 v71, v71, v202
	v_not_b32_e32 v200, v201
	v_ashrrev_i32_e32 v199, 31, v199
	v_xor_b32_e32 v74, s23, v74
	v_cmp_gt_i32_e64 s23, 0, v201
	v_and_b32_e32 v71, v71, v73
	v_not_b32_e32 v73, v197
	v_ashrrev_i32_e32 v200, 31, v200
	v_xor_b32_e32 v199, vcc_lo, v199
	v_cmp_gt_i32_e32 vcc_lo, 0, v197
	v_and_b32_e32 v71, v71, v74
	v_ashrrev_i32_e32 v73, 31, v73
	v_xor_b32_e32 v74, s23, v200
	v_mad_u32_u24 v197, v72, 36, v150
	v_mul_u32_u24_e32 v72, 36, v72
	v_and_b32_e32 v71, v71, v199
	v_xor_b32_e32 v73, vcc_lo, v73
	ds_read_b32 v197, v197 offset:544
	v_add_nc_u32_e32 v202, v150, v72
	v_and_b32_e32 v71, v71, v74
	; wave barrier
	v_and_b32_e32 v71, v71, v73
	v_mbcnt_lo_u32_b32 v199, v71, 0
	v_cmp_ne_u32_e64 s23, 0, v71
	v_cmp_eq_u32_e32 vcc_lo, 0, v199
	s_and_b32 s24, s23, vcc_lo
	s_and_saveexec_b32 s23, s24
	s_cbranch_execz .LBB1251_162
; %bb.161:                              ;   in Loop: Header=BB1251_104 Depth=2
	s_waitcnt lgkmcnt(0)
	v_bcnt_u32_b32 v71, v71, v197
	ds_write_b32 v202, v71 offset:544
.LBB1251_162:                           ;   in Loop: Header=BB1251_104 Depth=2
	s_or_b32 exec_lo, exec_lo, s23
	v_cmp_lt_i64_e32 vcc_lo, -1, v[57:58]
	v_ashrrev_i32_e32 v72, 31, v58
	; wave barrier
	v_xor_b32_e32 v57, v72, v57
	v_cndmask_b32_e64 v71, -1, 0x80000000, vcc_lo
	v_xor_b32_e32 v58, v71, v58
	v_cmp_ne_u64_e32 vcc_lo, s[46:47], v[57:58]
	v_cndmask_b32_e32 v72, 0x80000000, v58, vcc_lo
	v_cndmask_b32_e32 v71, 0, v57, vcc_lo
	v_lshrrev_b64 v[71:72], s63, v[71:72]
	v_and_b32_e32 v72, s65, v71
	v_and_b32_e32 v71, 1, v72
	v_lshlrev_b32_e32 v73, 30, v72
	v_lshlrev_b32_e32 v74, 29, v72
	v_lshlrev_b32_e32 v201, 28, v72
	v_lshlrev_b32_e32 v203, 27, v72
	v_add_co_u32 v71, s23, v71, -1
	v_cndmask_b32_e64 v200, 0, 1, s23
	v_not_b32_e32 v205, v73
	v_cmp_gt_i32_e64 s23, 0, v73
	v_not_b32_e32 v73, v74
	v_lshlrev_b32_e32 v204, 26, v72
	v_cmp_ne_u32_e32 vcc_lo, 0, v200
	v_ashrrev_i32_e32 v205, 31, v205
	v_lshlrev_b32_e32 v200, 25, v72
	v_ashrrev_i32_e32 v73, 31, v73
	v_xor_b32_e32 v71, vcc_lo, v71
	v_cmp_gt_i32_e32 vcc_lo, 0, v74
	v_not_b32_e32 v74, v201
	v_xor_b32_e32 v205, s23, v205
	v_cmp_gt_i32_e64 s23, 0, v201
	v_and_b32_e32 v71, exec_lo, v71
	v_not_b32_e32 v201, v203
	v_ashrrev_i32_e32 v74, 31, v74
	v_xor_b32_e32 v73, vcc_lo, v73
	v_cmp_gt_i32_e32 vcc_lo, 0, v203
	v_and_b32_e32 v71, v71, v205
	v_not_b32_e32 v203, v204
	v_ashrrev_i32_e32 v201, 31, v201
	v_xor_b32_e32 v74, s23, v74
	v_cmp_gt_i32_e64 s23, 0, v204
	v_and_b32_e32 v71, v71, v73
	v_not_b32_e32 v73, v200
	v_ashrrev_i32_e32 v203, 31, v203
	v_xor_b32_e32 v201, vcc_lo, v201
	v_cmp_gt_i32_e32 vcc_lo, 0, v200
	v_and_b32_e32 v71, v71, v74
	v_ashrrev_i32_e32 v73, 31, v73
	v_xor_b32_e32 v74, s23, v203
	v_mad_u32_u24 v200, v72, 36, v150
	v_mul_u32_u24_e32 v72, 36, v72
	v_and_b32_e32 v71, v71, v201
	v_xor_b32_e32 v73, vcc_lo, v73
	ds_read_b32 v200, v200 offset:544
	v_add_nc_u32_e32 v205, v150, v72
	v_and_b32_e32 v71, v71, v74
	; wave barrier
	v_and_b32_e32 v71, v71, v73
	v_mbcnt_lo_u32_b32 v201, v71, 0
	v_cmp_ne_u32_e64 s23, 0, v71
	v_cmp_eq_u32_e32 vcc_lo, 0, v201
	s_and_b32 s24, s23, vcc_lo
	s_and_saveexec_b32 s23, s24
	s_cbranch_execz .LBB1251_164
; %bb.163:                              ;   in Loop: Header=BB1251_104 Depth=2
	s_waitcnt lgkmcnt(0)
	v_bcnt_u32_b32 v71, v71, v200
	ds_write_b32 v205, v71 offset:544
.LBB1251_164:                           ;   in Loop: Header=BB1251_104 Depth=2
	s_or_b32 exec_lo, exec_lo, s23
	v_cmp_lt_i64_e32 vcc_lo, -1, v[53:54]
	v_ashrrev_i32_e32 v72, 31, v54
	; wave barrier
	v_xor_b32_e32 v53, v72, v53
	v_cndmask_b32_e64 v71, -1, 0x80000000, vcc_lo
	v_xor_b32_e32 v54, v71, v54
	v_cmp_ne_u64_e32 vcc_lo, s[46:47], v[53:54]
	v_cndmask_b32_e32 v72, 0x80000000, v54, vcc_lo
	v_cndmask_b32_e32 v71, 0, v53, vcc_lo
	v_lshrrev_b64 v[71:72], s63, v[71:72]
	v_and_b32_e32 v72, s65, v71
	v_and_b32_e32 v71, 1, v72
	v_lshlrev_b32_e32 v73, 30, v72
	v_lshlrev_b32_e32 v74, 29, v72
	;; [unrolled: 1-line block ×4, first 2 shown]
	v_add_co_u32 v71, s23, v71, -1
	v_cndmask_b32_e64 v203, 0, 1, s23
	v_not_b32_e32 v208, v73
	v_cmp_gt_i32_e64 s23, 0, v73
	v_not_b32_e32 v73, v74
	v_lshlrev_b32_e32 v207, 26, v72
	v_cmp_ne_u32_e32 vcc_lo, 0, v203
	v_ashrrev_i32_e32 v208, 31, v208
	v_lshlrev_b32_e32 v203, 25, v72
	v_ashrrev_i32_e32 v73, 31, v73
	v_xor_b32_e32 v71, vcc_lo, v71
	v_cmp_gt_i32_e32 vcc_lo, 0, v74
	v_not_b32_e32 v74, v204
	v_xor_b32_e32 v208, s23, v208
	v_cmp_gt_i32_e64 s23, 0, v204
	v_and_b32_e32 v71, exec_lo, v71
	v_not_b32_e32 v204, v206
	v_ashrrev_i32_e32 v74, 31, v74
	v_xor_b32_e32 v73, vcc_lo, v73
	v_cmp_gt_i32_e32 vcc_lo, 0, v206
	v_and_b32_e32 v71, v71, v208
	v_not_b32_e32 v206, v207
	v_ashrrev_i32_e32 v204, 31, v204
	v_xor_b32_e32 v74, s23, v74
	v_cmp_gt_i32_e64 s23, 0, v207
	v_and_b32_e32 v71, v71, v73
	v_not_b32_e32 v73, v203
	v_ashrrev_i32_e32 v206, 31, v206
	v_xor_b32_e32 v204, vcc_lo, v204
	v_cmp_gt_i32_e32 vcc_lo, 0, v203
	v_and_b32_e32 v71, v71, v74
	v_ashrrev_i32_e32 v73, 31, v73
	v_xor_b32_e32 v74, s23, v206
	v_mad_u32_u24 v203, v72, 36, v150
	v_mul_u32_u24_e32 v72, 36, v72
	v_and_b32_e32 v71, v71, v204
	v_xor_b32_e32 v73, vcc_lo, v73
	ds_read_b32 v203, v203 offset:544
	v_add_nc_u32_e32 v208, v150, v72
	v_and_b32_e32 v71, v71, v74
	; wave barrier
	v_and_b32_e32 v71, v71, v73
	v_mbcnt_lo_u32_b32 v204, v71, 0
	v_cmp_ne_u32_e64 s23, 0, v71
	v_cmp_eq_u32_e32 vcc_lo, 0, v204
	s_and_b32 s24, s23, vcc_lo
	s_and_saveexec_b32 s23, s24
	s_cbranch_execz .LBB1251_166
; %bb.165:                              ;   in Loop: Header=BB1251_104 Depth=2
	s_waitcnt lgkmcnt(0)
	v_bcnt_u32_b32 v71, v71, v203
	ds_write_b32 v208, v71 offset:544
.LBB1251_166:                           ;   in Loop: Header=BB1251_104 Depth=2
	s_or_b32 exec_lo, exec_lo, s23
	v_cmp_lt_i64_e32 vcc_lo, -1, v[51:52]
	v_ashrrev_i32_e32 v72, 31, v52
	; wave barrier
	v_xor_b32_e32 v51, v72, v51
	v_cndmask_b32_e64 v71, -1, 0x80000000, vcc_lo
	v_xor_b32_e32 v52, v71, v52
	v_cmp_ne_u64_e32 vcc_lo, s[46:47], v[51:52]
	v_cndmask_b32_e32 v72, 0x80000000, v52, vcc_lo
	v_cndmask_b32_e32 v71, 0, v51, vcc_lo
	v_lshrrev_b64 v[71:72], s63, v[71:72]
	v_and_b32_e32 v72, s65, v71
	v_and_b32_e32 v71, 1, v72
	v_lshlrev_b32_e32 v73, 30, v72
	v_lshlrev_b32_e32 v74, 29, v72
	;; [unrolled: 1-line block ×4, first 2 shown]
	v_add_co_u32 v71, s23, v71, -1
	v_cndmask_b32_e64 v206, 0, 1, s23
	v_not_b32_e32 v211, v73
	v_cmp_gt_i32_e64 s23, 0, v73
	v_not_b32_e32 v73, v74
	v_lshlrev_b32_e32 v210, 26, v72
	v_cmp_ne_u32_e32 vcc_lo, 0, v206
	v_ashrrev_i32_e32 v211, 31, v211
	v_lshlrev_b32_e32 v206, 25, v72
	v_ashrrev_i32_e32 v73, 31, v73
	v_xor_b32_e32 v71, vcc_lo, v71
	v_cmp_gt_i32_e32 vcc_lo, 0, v74
	v_not_b32_e32 v74, v207
	v_xor_b32_e32 v211, s23, v211
	v_cmp_gt_i32_e64 s23, 0, v207
	v_and_b32_e32 v71, exec_lo, v71
	v_not_b32_e32 v207, v209
	v_ashrrev_i32_e32 v74, 31, v74
	v_xor_b32_e32 v73, vcc_lo, v73
	v_cmp_gt_i32_e32 vcc_lo, 0, v209
	v_and_b32_e32 v71, v71, v211
	v_not_b32_e32 v209, v210
	v_ashrrev_i32_e32 v207, 31, v207
	v_xor_b32_e32 v74, s23, v74
	v_cmp_gt_i32_e64 s23, 0, v210
	v_and_b32_e32 v71, v71, v73
	v_not_b32_e32 v73, v206
	v_ashrrev_i32_e32 v209, 31, v209
	v_xor_b32_e32 v207, vcc_lo, v207
	v_cmp_gt_i32_e32 vcc_lo, 0, v206
	v_and_b32_e32 v71, v71, v74
	v_ashrrev_i32_e32 v73, 31, v73
	v_xor_b32_e32 v74, s23, v209
	v_mad_u32_u24 v206, v72, 36, v150
	v_mul_u32_u24_e32 v72, 36, v72
	v_and_b32_e32 v71, v71, v207
	v_xor_b32_e32 v73, vcc_lo, v73
	ds_read_b32 v206, v206 offset:544
	v_add_nc_u32_e32 v211, v150, v72
	v_and_b32_e32 v71, v71, v74
	; wave barrier
	v_and_b32_e32 v71, v71, v73
	v_mbcnt_lo_u32_b32 v207, v71, 0
	v_cmp_ne_u32_e64 s23, 0, v71
	v_cmp_eq_u32_e32 vcc_lo, 0, v207
	s_and_b32 s24, s23, vcc_lo
	s_and_saveexec_b32 s23, s24
	s_cbranch_execz .LBB1251_168
; %bb.167:                              ;   in Loop: Header=BB1251_104 Depth=2
	s_waitcnt lgkmcnt(0)
	v_bcnt_u32_b32 v71, v71, v206
	ds_write_b32 v211, v71 offset:544
.LBB1251_168:                           ;   in Loop: Header=BB1251_104 Depth=2
	s_or_b32 exec_lo, exec_lo, s23
	v_cmp_lt_i64_e32 vcc_lo, -1, v[45:46]
	v_ashrrev_i32_e32 v72, 31, v46
	; wave barrier
	v_xor_b32_e32 v45, v72, v45
	v_cndmask_b32_e64 v71, -1, 0x80000000, vcc_lo
	v_xor_b32_e32 v46, v71, v46
	v_cmp_ne_u64_e32 vcc_lo, s[46:47], v[45:46]
	v_cndmask_b32_e32 v72, 0x80000000, v46, vcc_lo
	v_cndmask_b32_e32 v71, 0, v45, vcc_lo
	v_lshrrev_b64 v[71:72], s63, v[71:72]
	v_and_b32_e32 v72, s65, v71
	v_and_b32_e32 v71, 1, v72
	v_lshlrev_b32_e32 v73, 30, v72
	v_lshlrev_b32_e32 v74, 29, v72
	;; [unrolled: 1-line block ×4, first 2 shown]
	v_add_co_u32 v71, s23, v71, -1
	v_cndmask_b32_e64 v209, 0, 1, s23
	v_not_b32_e32 v214, v73
	v_cmp_gt_i32_e64 s23, 0, v73
	v_not_b32_e32 v73, v74
	v_lshlrev_b32_e32 v213, 26, v72
	v_cmp_ne_u32_e32 vcc_lo, 0, v209
	v_ashrrev_i32_e32 v214, 31, v214
	v_lshlrev_b32_e32 v209, 25, v72
	v_ashrrev_i32_e32 v73, 31, v73
	v_xor_b32_e32 v71, vcc_lo, v71
	v_cmp_gt_i32_e32 vcc_lo, 0, v74
	v_not_b32_e32 v74, v210
	v_xor_b32_e32 v214, s23, v214
	v_cmp_gt_i32_e64 s23, 0, v210
	v_and_b32_e32 v71, exec_lo, v71
	v_not_b32_e32 v210, v212
	v_ashrrev_i32_e32 v74, 31, v74
	v_xor_b32_e32 v73, vcc_lo, v73
	v_cmp_gt_i32_e32 vcc_lo, 0, v212
	v_and_b32_e32 v71, v71, v214
	v_not_b32_e32 v212, v213
	v_ashrrev_i32_e32 v210, 31, v210
	v_xor_b32_e32 v74, s23, v74
	v_cmp_gt_i32_e64 s23, 0, v213
	v_and_b32_e32 v71, v71, v73
	v_not_b32_e32 v73, v209
	v_ashrrev_i32_e32 v212, 31, v212
	v_xor_b32_e32 v210, vcc_lo, v210
	v_cmp_gt_i32_e32 vcc_lo, 0, v209
	v_and_b32_e32 v71, v71, v74
	v_ashrrev_i32_e32 v73, 31, v73
	v_xor_b32_e32 v74, s23, v212
	v_mad_u32_u24 v209, v72, 36, v150
	v_mul_u32_u24_e32 v72, 36, v72
	v_and_b32_e32 v71, v71, v210
	v_xor_b32_e32 v73, vcc_lo, v73
	ds_read_b32 v209, v209 offset:544
	v_add_nc_u32_e32 v214, v150, v72
	v_and_b32_e32 v71, v71, v74
	; wave barrier
	v_and_b32_e32 v71, v71, v73
	v_mbcnt_lo_u32_b32 v210, v71, 0
	v_cmp_ne_u32_e64 s23, 0, v71
	v_cmp_eq_u32_e32 vcc_lo, 0, v210
	s_and_b32 s24, s23, vcc_lo
	s_and_saveexec_b32 s23, s24
	s_cbranch_execz .LBB1251_170
; %bb.169:                              ;   in Loop: Header=BB1251_104 Depth=2
	s_waitcnt lgkmcnt(0)
	v_bcnt_u32_b32 v71, v71, v209
	ds_write_b32 v214, v71 offset:544
.LBB1251_170:                           ;   in Loop: Header=BB1251_104 Depth=2
	s_or_b32 exec_lo, exec_lo, s23
	v_cmp_lt_i64_e32 vcc_lo, -1, v[47:48]
	v_ashrrev_i32_e32 v72, 31, v48
	; wave barrier
	v_xor_b32_e32 v47, v72, v47
	v_cndmask_b32_e64 v71, -1, 0x80000000, vcc_lo
	v_xor_b32_e32 v48, v71, v48
	v_cmp_ne_u64_e32 vcc_lo, s[46:47], v[47:48]
	v_cndmask_b32_e32 v72, 0x80000000, v48, vcc_lo
	v_cndmask_b32_e32 v71, 0, v47, vcc_lo
	v_lshrrev_b64 v[71:72], s63, v[71:72]
	v_and_b32_e32 v72, s65, v71
	v_and_b32_e32 v71, 1, v72
	v_lshlrev_b32_e32 v73, 30, v72
	v_lshlrev_b32_e32 v74, 29, v72
	;; [unrolled: 1-line block ×4, first 2 shown]
	v_add_co_u32 v71, s23, v71, -1
	v_cndmask_b32_e64 v212, 0, 1, s23
	v_not_b32_e32 v217, v73
	v_cmp_gt_i32_e64 s23, 0, v73
	v_not_b32_e32 v73, v74
	v_lshlrev_b32_e32 v216, 26, v72
	v_cmp_ne_u32_e32 vcc_lo, 0, v212
	v_ashrrev_i32_e32 v217, 31, v217
	v_lshlrev_b32_e32 v212, 25, v72
	v_ashrrev_i32_e32 v73, 31, v73
	v_xor_b32_e32 v71, vcc_lo, v71
	v_cmp_gt_i32_e32 vcc_lo, 0, v74
	v_not_b32_e32 v74, v213
	v_xor_b32_e32 v217, s23, v217
	v_cmp_gt_i32_e64 s23, 0, v213
	v_and_b32_e32 v71, exec_lo, v71
	v_not_b32_e32 v213, v215
	v_ashrrev_i32_e32 v74, 31, v74
	v_xor_b32_e32 v73, vcc_lo, v73
	v_cmp_gt_i32_e32 vcc_lo, 0, v215
	v_and_b32_e32 v71, v71, v217
	v_not_b32_e32 v215, v216
	v_ashrrev_i32_e32 v213, 31, v213
	v_xor_b32_e32 v74, s23, v74
	v_cmp_gt_i32_e64 s23, 0, v216
	v_and_b32_e32 v71, v71, v73
	v_not_b32_e32 v73, v212
	v_ashrrev_i32_e32 v215, 31, v215
	v_xor_b32_e32 v213, vcc_lo, v213
	v_cmp_gt_i32_e32 vcc_lo, 0, v212
	v_and_b32_e32 v71, v71, v74
	v_ashrrev_i32_e32 v73, 31, v73
	v_xor_b32_e32 v74, s23, v215
	v_mad_u32_u24 v212, v72, 36, v150
	v_mul_u32_u24_e32 v72, 36, v72
	v_and_b32_e32 v71, v71, v213
	v_xor_b32_e32 v73, vcc_lo, v73
	ds_read_b32 v212, v212 offset:544
	v_add_nc_u32_e32 v215, v150, v72
	v_and_b32_e32 v71, v71, v74
	; wave barrier
	v_and_b32_e32 v71, v71, v73
	v_mbcnt_lo_u32_b32 v213, v71, 0
	v_cmp_ne_u32_e64 s23, 0, v71
	v_cmp_eq_u32_e32 vcc_lo, 0, v213
	s_and_b32 s24, s23, vcc_lo
	s_and_saveexec_b32 s23, s24
	s_cbranch_execz .LBB1251_172
; %bb.171:                              ;   in Loop: Header=BB1251_104 Depth=2
	s_waitcnt lgkmcnt(0)
	v_bcnt_u32_b32 v71, v71, v212
	ds_write_b32 v215, v71 offset:544
.LBB1251_172:                           ;   in Loop: Header=BB1251_104 Depth=2
	s_or_b32 exec_lo, exec_lo, s23
	; wave barrier
	s_waitcnt lgkmcnt(0)
	s_barrier
	buffer_gl0_inv
	ds_read2_b32 v[73:74], v100 offset0:136 offset1:137
	ds_read2_b32 v[71:72], v100 offset0:138 offset1:139
	ds_read_b32 v216, v100 offset:560
	s_waitcnt lgkmcnt(1)
	v_add3_u32 v217, v74, v73, v71
	s_waitcnt lgkmcnt(0)
	v_add3_u32 v216, v217, v72, v216
	v_mov_b32_dpp v217, v216 row_shr:1 row_mask:0xf bank_mask:0xf
	v_cndmask_b32_e64 v217, v217, 0, s14
	v_add_nc_u32_e32 v216, v217, v216
	v_mov_b32_dpp v217, v216 row_shr:2 row_mask:0xf bank_mask:0xf
	v_cndmask_b32_e64 v217, 0, v217, s15
	v_add_nc_u32_e32 v216, v216, v217
	;; [unrolled: 3-line block ×4, first 2 shown]
	ds_swizzle_b32 v217, v216 offset:swizzle(BROADCAST,32,15)
	s_waitcnt lgkmcnt(0)
	v_cndmask_b32_e64 v217, v217, 0, s18
	v_add_nc_u32_e32 v216, v216, v217
	s_and_saveexec_b32 s23, s4
; %bb.173:                              ;   in Loop: Header=BB1251_104 Depth=2
	ds_write_b32 v94, v216 offset:512
; %bb.174:                              ;   in Loop: Header=BB1251_104 Depth=2
	s_or_b32 exec_lo, exec_lo, s23
	s_waitcnt lgkmcnt(0)
	s_barrier
	buffer_gl0_inv
	s_and_saveexec_b32 s23, s5
	s_cbranch_execz .LBB1251_176
; %bb.175:                              ;   in Loop: Header=BB1251_104 Depth=2
	ds_read_b32 v217, v101 offset:512
	s_waitcnt lgkmcnt(0)
	v_mov_b32_dpp v218, v217 row_shr:1 row_mask:0xf bank_mask:0xf
	v_cndmask_b32_e64 v218, v218, 0, s20
	v_add_nc_u32_e32 v217, v218, v217
	v_mov_b32_dpp v218, v217 row_shr:2 row_mask:0xf bank_mask:0xf
	v_cndmask_b32_e64 v218, 0, v218, s21
	v_add_nc_u32_e32 v217, v217, v218
	;; [unrolled: 3-line block ×3, first 2 shown]
	ds_write_b32 v101, v217 offset:512
.LBB1251_176:                           ;   in Loop: Header=BB1251_104 Depth=2
	s_or_b32 exec_lo, exec_lo, s23
	v_mov_b32_e32 v217, 0
	s_waitcnt lgkmcnt(0)
	s_barrier
	buffer_gl0_inv
	s_and_saveexec_b32 s23, s11
; %bb.177:                              ;   in Loop: Header=BB1251_104 Depth=2
	ds_read_b32 v217, v94 offset:508
; %bb.178:                              ;   in Loop: Header=BB1251_104 Depth=2
	s_or_b32 exec_lo, exec_lo, s23
	s_waitcnt lgkmcnt(0)
	v_add_nc_u32_e32 v216, v217, v216
	ds_bpermute_b32 v216, v129, v216
	s_waitcnt lgkmcnt(0)
	v_cndmask_b32_e64 v216, v216, v217, s19
	v_cndmask_b32_e64 v216, v216, 0, s12
	v_add_nc_u32_e32 v73, v216, v73
	v_add_nc_u32_e32 v74, v73, v74
	;; [unrolled: 1-line block ×4, first 2 shown]
	ds_write2_b32 v100, v216, v73 offset0:136 offset1:137
	ds_write2_b32 v100, v74, v71 offset0:138 offset1:139
	ds_write_b32 v100, v72 offset:560
	s_waitcnt lgkmcnt(0)
	s_barrier
	buffer_gl0_inv
	ds_read_b32 v71, v170 offset:544
	ds_read_b32 v219, v173 offset:544
	;; [unrolled: 1-line block ×16, first 2 shown]
	s_and_saveexec_b32 s23, s8
	s_cbranch_execz .LBB1251_182
; %bb.179:                              ;   in Loop: Header=BB1251_104 Depth=2
	ds_read_b32 v158, v103 offset:544
	v_mov_b32_e32 v168, 0x1000
	s_and_saveexec_b32 s24, s13
; %bb.180:                              ;   in Loop: Header=BB1251_104 Depth=2
	ds_read_b32 v168, v102 offset:544
; %bb.181:                              ;   in Loop: Header=BB1251_104 Depth=2
	s_or_b32 exec_lo, exec_lo, s24
	s_waitcnt lgkmcnt(0)
	v_sub_nc_u32_e32 v168, v168, v158
.LBB1251_182:                           ;   in Loop: Header=BB1251_104 Depth=2
	s_or_b32 exec_lo, exec_lo, s23
	s_waitcnt lgkmcnt(0)
	s_barrier
	buffer_gl0_inv
	s_and_saveexec_b32 s23, s8
	s_cbranch_execz .LBB1251_184
; %bb.183:                              ;   in Loop: Header=BB1251_104 Depth=2
	ds_read_b32 v194, v75
	s_waitcnt lgkmcnt(0)
	v_sub_nc_u32_e32 v194, v194, v158
	ds_write_b32 v75, v194
.LBB1251_184:                           ;   in Loop: Header=BB1251_104 Depth=2
	s_or_b32 exec_lo, exec_lo, s23
	v_lshlrev_b32_e32 v3, 3, v3
	v_lshlrev_b32_e32 v172, 3, v172
	;; [unrolled: 1-line block ×5, first 2 shown]
	v_lshl_add_u32 v71, v71, 3, v3
	v_lshlrev_b32_e32 v3, 3, v174
	v_lshlrev_b32_e32 v174, 3, v72
	;; [unrolled: 1-line block ×3, first 2 shown]
	v_add3_u32 v72, v172, v171, v194
	ds_write_b64 v71, v[39:40] offset:512
	v_lshlrev_b32_e32 v39, 3, v177
	v_lshlrev_b32_e32 v40, 3, v218
	;; [unrolled: 1-line block ×8, first 2 shown]
	ds_write_b64 v72, v[41:42] offset:512
	v_add3_u32 v41, v175, v3, v174
	v_add3_u32 v42, v178, v39, v40
	v_lshlrev_b32_e32 v3, 3, v187
	v_lshlrev_b32_e32 v39, 3, v186
	;; [unrolled: 1-line block ×3, first 2 shown]
	v_add3_u32 v73, v171, v172, v74
	v_add3_u32 v74, v177, v180, v181
	ds_write_b64 v41, v[43:44] offset:512
	ds_write_b64 v42, v[49:50] offset:512
	;; [unrolled: 1-line block ×4, first 2 shown]
	v_add3_u32 v43, v3, v39, v40
	v_lshlrev_b32_e32 v3, 3, v190
	v_lshlrev_b32_e32 v39, 3, v189
	;; [unrolled: 1-line block ×12, first 2 shown]
	v_add3_u32 v44, v3, v39, v40
	v_lshlrev_b32_e32 v3, 3, v201
	v_lshlrev_b32_e32 v39, 3, v200
	;; [unrolled: 1-line block ×3, first 2 shown]
	v_add3_u32 v49, v49, v50, v55
	v_add3_u32 v50, v56, v59, v60
	;; [unrolled: 1-line block ×3, first 2 shown]
	ds_write_b64 v43, v[63:64] offset:512
	ds_write_b64 v44, v[67:68] offset:512
	;; [unrolled: 1-line block ×5, first 2 shown]
	v_add3_u32 v56, v3, v39, v40
	v_lshlrev_b32_e32 v3, 3, v204
	v_lshlrev_b32_e32 v39, 3, v203
	v_lshlrev_b32_e32 v40, 3, v179
	v_lshlrev_b32_e32 v60, 3, v207
	v_lshlrev_b32_e32 v61, 3, v206
	v_lshlrev_b32_e32 v62, 3, v176
	v_lshlrev_b32_e32 v63, 3, v210
	v_lshlrev_b32_e32 v64, 3, v209
	v_lshlrev_b32_e32 v65, 3, v173
	v_lshlrev_b32_e32 v66, 3, v213
	v_lshlrev_b32_e32 v67, 3, v212
	v_lshlrev_b32_e32 v68, 3, v170
	v_add3_u32 v59, v3, v39, v40
	v_add3_u32 v60, v60, v61, v62
	;; [unrolled: 1-line block ×3, first 2 shown]
	ds_write_b64 v56, v[57:58] offset:512
	v_add3_u32 v57, v66, v67, v68
	v_cmp_lt_u32_e32 vcc_lo, v0, v169
	ds_write_b64 v59, v[53:54] offset:512
	ds_write_b64 v60, v[51:52] offset:512
	;; [unrolled: 1-line block ×4, first 2 shown]
	s_waitcnt lgkmcnt(0)
	s_barrier
	buffer_gl0_inv
	s_and_saveexec_b32 s24, vcc_lo
	s_cbranch_execnz .LBB1251_253
; %bb.185:                              ;   in Loop: Header=BB1251_104 Depth=2
	s_or_b32 exec_lo, exec_lo, s24
	v_cmp_lt_u32_e64 s23, v76, v169
	s_and_saveexec_b32 s25, s23
	s_cbranch_execnz .LBB1251_254
.LBB1251_186:                           ;   in Loop: Header=BB1251_104 Depth=2
	s_or_b32 exec_lo, exec_lo, s25
	v_cmp_lt_u32_e64 s24, v79, v169
	s_and_saveexec_b32 s26, s24
	s_cbranch_execnz .LBB1251_255
.LBB1251_187:                           ;   in Loop: Header=BB1251_104 Depth=2
	s_or_b32 exec_lo, exec_lo, s26
	v_cmp_lt_u32_e64 s25, v80, v169
	s_and_saveexec_b32 s27, s25
	s_cbranch_execnz .LBB1251_256
.LBB1251_188:                           ;   in Loop: Header=BB1251_104 Depth=2
	s_or_b32 exec_lo, exec_lo, s27
	v_cmp_lt_u32_e64 s26, v81, v169
	s_and_saveexec_b32 s28, s26
	s_cbranch_execnz .LBB1251_257
.LBB1251_189:                           ;   in Loop: Header=BB1251_104 Depth=2
	s_or_b32 exec_lo, exec_lo, s28
	v_cmp_lt_u32_e64 s27, v82, v169
	s_and_saveexec_b32 s29, s27
	s_cbranch_execnz .LBB1251_258
.LBB1251_190:                           ;   in Loop: Header=BB1251_104 Depth=2
	s_or_b32 exec_lo, exec_lo, s29
	v_cmp_lt_u32_e64 s28, v83, v169
	s_and_saveexec_b32 s30, s28
	s_cbranch_execnz .LBB1251_259
.LBB1251_191:                           ;   in Loop: Header=BB1251_104 Depth=2
	s_or_b32 exec_lo, exec_lo, s30
	v_cmp_lt_u32_e64 s29, v84, v169
	s_and_saveexec_b32 s31, s29
	s_cbranch_execnz .LBB1251_260
.LBB1251_192:                           ;   in Loop: Header=BB1251_104 Depth=2
	s_or_b32 exec_lo, exec_lo, s31
	v_cmp_lt_u32_e64 s30, v85, v169
	s_and_saveexec_b32 s33, s30
	s_cbranch_execnz .LBB1251_261
.LBB1251_193:                           ;   in Loop: Header=BB1251_104 Depth=2
	s_or_b32 exec_lo, exec_lo, s33
	v_cmp_lt_u32_e64 s31, v86, v169
	s_and_saveexec_b32 s34, s31
	s_cbranch_execnz .LBB1251_262
.LBB1251_194:                           ;   in Loop: Header=BB1251_104 Depth=2
	s_or_b32 exec_lo, exec_lo, s34
	v_cmp_lt_u32_e64 s33, v87, v169
	s_and_saveexec_b32 s35, s33
	s_cbranch_execnz .LBB1251_263
.LBB1251_195:                           ;   in Loop: Header=BB1251_104 Depth=2
	s_or_b32 exec_lo, exec_lo, s35
	v_cmp_lt_u32_e64 s34, v88, v169
	s_and_saveexec_b32 s36, s34
	s_cbranch_execnz .LBB1251_264
.LBB1251_196:                           ;   in Loop: Header=BB1251_104 Depth=2
	s_or_b32 exec_lo, exec_lo, s36
	v_cmp_lt_u32_e64 s35, v89, v169
	s_and_saveexec_b32 s37, s35
	s_cbranch_execnz .LBB1251_265
.LBB1251_197:                           ;   in Loop: Header=BB1251_104 Depth=2
	s_or_b32 exec_lo, exec_lo, s37
	v_cmp_lt_u32_e64 s36, v90, v169
	s_and_saveexec_b32 s38, s36
	s_cbranch_execnz .LBB1251_266
.LBB1251_198:                           ;   in Loop: Header=BB1251_104 Depth=2
	s_or_b32 exec_lo, exec_lo, s38
	v_cmp_lt_u32_e64 s37, v91, v169
	s_and_saveexec_b32 s39, s37
	s_cbranch_execnz .LBB1251_267
.LBB1251_199:                           ;   in Loop: Header=BB1251_104 Depth=2
	s_or_b32 exec_lo, exec_lo, s39
	v_cmp_lt_u32_e64 s38, v92, v169
	s_and_saveexec_b32 s68, s38
	s_cbranch_execz .LBB1251_201
.LBB1251_200:                           ;   in Loop: Header=BB1251_104 Depth=2
	ds_read_b64 v[39:40], v108 offset:31232
	s_waitcnt lgkmcnt(0)
	v_cmp_ne_u64_e64 s39, s[46:47], v[39:40]
	v_cndmask_b32_e64 v46, 0x80000000, v40, s39
	v_cndmask_b32_e64 v45, 0, v39, s39
	v_cmp_lt_i64_e64 s39, -1, v[39:40]
	v_lshrrev_b64 v[45:46], s63, v[45:46]
	v_cndmask_b32_e64 v47, 0x80000000, -1, s39
	v_and_b32_e32 v3, s65, v45
	v_ashrrev_i32_e32 v45, 31, v40
	v_xor_b32_e32 v40, v47, v40
	v_lshlrev_b32_e32 v3, 2, v3
	v_not_b32_e32 v48, v45
	ds_read_b32 v3, v3
	v_xor_b32_e32 v39, v48, v39
	s_waitcnt lgkmcnt(0)
	v_add_nc_u32_e32 v3, v3, v92
	v_lshlrev_b64 v[45:46], 3, v[3:4]
	v_add_co_u32 v45, s39, s42, v45
	v_add_co_ci_u32_e64 v46, null, s43, v46, s39
	global_store_dwordx2 v[45:46], v[39:40], off
.LBB1251_201:                           ;   in Loop: Header=BB1251_104 Depth=2
	s_or_b32 exec_lo, exec_lo, s68
	s_lshl_b64 s[68:69], s[56:57], 3
	v_add_co_u32 v39, s39, v131, s68
	v_add_co_ci_u32_e64 v40, null, s69, v132, s39
	v_cmp_lt_u32_e64 s39, v130, v169
	s_and_saveexec_b32 s56, s39
	s_xor_b32 s39, exec_lo, s56
	s_cbranch_execnz .LBB1251_268
; %bb.202:                              ;   in Loop: Header=BB1251_104 Depth=2
	s_or_b32 exec_lo, exec_lo, s39
	s_mov_b32 s56, exec_lo
	v_cmpx_lt_u32_e64 v133, v169
	s_cbranch_execnz .LBB1251_269
.LBB1251_203:                           ;   in Loop: Header=BB1251_104 Depth=2
	s_or_b32 exec_lo, exec_lo, s56
	s_mov_b32 s56, exec_lo
	v_cmpx_lt_u32_e64 v134, v169
	s_cbranch_execnz .LBB1251_270
.LBB1251_204:                           ;   in Loop: Header=BB1251_104 Depth=2
	s_or_b32 exec_lo, exec_lo, s56
	s_mov_b32 s56, exec_lo
	v_cmpx_lt_u32_e64 v135, v169
	s_cbranch_execnz .LBB1251_271
.LBB1251_205:                           ;   in Loop: Header=BB1251_104 Depth=2
	s_or_b32 exec_lo, exec_lo, s56
	s_mov_b32 s56, exec_lo
	v_cmpx_lt_u32_e64 v136, v169
	s_cbranch_execnz .LBB1251_272
.LBB1251_206:                           ;   in Loop: Header=BB1251_104 Depth=2
	s_or_b32 exec_lo, exec_lo, s56
	s_mov_b32 s56, exec_lo
	v_cmpx_lt_u32_e64 v137, v169
	s_cbranch_execnz .LBB1251_273
.LBB1251_207:                           ;   in Loop: Header=BB1251_104 Depth=2
	s_or_b32 exec_lo, exec_lo, s56
	s_mov_b32 s56, exec_lo
	v_cmpx_lt_u32_e64 v138, v169
	s_cbranch_execnz .LBB1251_274
.LBB1251_208:                           ;   in Loop: Header=BB1251_104 Depth=2
	s_or_b32 exec_lo, exec_lo, s56
	s_mov_b32 s56, exec_lo
	v_cmpx_lt_u32_e64 v139, v169
	s_cbranch_execnz .LBB1251_275
.LBB1251_209:                           ;   in Loop: Header=BB1251_104 Depth=2
	s_or_b32 exec_lo, exec_lo, s56
	s_mov_b32 s56, exec_lo
	v_cmpx_lt_u32_e64 v140, v169
	s_cbranch_execnz .LBB1251_276
.LBB1251_210:                           ;   in Loop: Header=BB1251_104 Depth=2
	s_or_b32 exec_lo, exec_lo, s56
	s_mov_b32 s56, exec_lo
	v_cmpx_lt_u32_e64 v141, v169
	s_cbranch_execnz .LBB1251_277
.LBB1251_211:                           ;   in Loop: Header=BB1251_104 Depth=2
	s_or_b32 exec_lo, exec_lo, s56
	s_mov_b32 s56, exec_lo
	v_cmpx_lt_u32_e64 v142, v169
	s_cbranch_execnz .LBB1251_278
.LBB1251_212:                           ;   in Loop: Header=BB1251_104 Depth=2
	s_or_b32 exec_lo, exec_lo, s56
	s_mov_b32 s56, exec_lo
	v_cmpx_lt_u32_e64 v143, v169
	s_cbranch_execnz .LBB1251_279
.LBB1251_213:                           ;   in Loop: Header=BB1251_104 Depth=2
	s_or_b32 exec_lo, exec_lo, s56
	s_mov_b32 s56, exec_lo
	v_cmpx_lt_u32_e64 v144, v169
	s_cbranch_execnz .LBB1251_280
.LBB1251_214:                           ;   in Loop: Header=BB1251_104 Depth=2
	s_or_b32 exec_lo, exec_lo, s56
	s_mov_b32 s56, exec_lo
	v_cmpx_lt_u32_e64 v145, v169
	s_cbranch_execnz .LBB1251_281
.LBB1251_215:                           ;   in Loop: Header=BB1251_104 Depth=2
	s_or_b32 exec_lo, exec_lo, s56
	s_mov_b32 s56, exec_lo
	v_cmpx_lt_u32_e64 v146, v169
	s_cbranch_execnz .LBB1251_282
.LBB1251_216:                           ;   in Loop: Header=BB1251_104 Depth=2
	s_or_b32 exec_lo, exec_lo, s56
	s_mov_b32 s56, exec_lo
	v_cmpx_lt_u32_e64 v147, v169
	s_cbranch_execnz .LBB1251_283
.LBB1251_217:                           ;   in Loop: Header=BB1251_104 Depth=2
	s_or_b32 exec_lo, exec_lo, s56
	s_and_saveexec_b32 s56, vcc_lo
	s_cbranch_execnz .LBB1251_284
.LBB1251_218:                           ;   in Loop: Header=BB1251_104 Depth=2
	s_or_b32 exec_lo, exec_lo, s56
	s_and_saveexec_b32 s56, s23
	s_cbranch_execnz .LBB1251_285
.LBB1251_219:                           ;   in Loop: Header=BB1251_104 Depth=2
	s_or_b32 exec_lo, exec_lo, s56
	s_and_saveexec_b32 s56, s24
	s_cbranch_execnz .LBB1251_286
.LBB1251_220:                           ;   in Loop: Header=BB1251_104 Depth=2
	s_or_b32 exec_lo, exec_lo, s56
	s_and_saveexec_b32 s56, s25
	s_cbranch_execnz .LBB1251_287
.LBB1251_221:                           ;   in Loop: Header=BB1251_104 Depth=2
	s_or_b32 exec_lo, exec_lo, s56
	s_and_saveexec_b32 s56, s26
	s_cbranch_execnz .LBB1251_288
.LBB1251_222:                           ;   in Loop: Header=BB1251_104 Depth=2
	s_or_b32 exec_lo, exec_lo, s56
	s_and_saveexec_b32 s56, s27
	s_cbranch_execnz .LBB1251_289
.LBB1251_223:                           ;   in Loop: Header=BB1251_104 Depth=2
	s_or_b32 exec_lo, exec_lo, s56
	s_and_saveexec_b32 s56, s28
	s_cbranch_execnz .LBB1251_290
.LBB1251_224:                           ;   in Loop: Header=BB1251_104 Depth=2
	s_or_b32 exec_lo, exec_lo, s56
	s_and_saveexec_b32 s56, s29
	s_cbranch_execnz .LBB1251_291
.LBB1251_225:                           ;   in Loop: Header=BB1251_104 Depth=2
	s_or_b32 exec_lo, exec_lo, s56
	s_and_saveexec_b32 s56, s30
	s_cbranch_execnz .LBB1251_292
.LBB1251_226:                           ;   in Loop: Header=BB1251_104 Depth=2
	s_or_b32 exec_lo, exec_lo, s56
	s_and_saveexec_b32 s56, s31
	s_cbranch_execnz .LBB1251_293
.LBB1251_227:                           ;   in Loop: Header=BB1251_104 Depth=2
	s_or_b32 exec_lo, exec_lo, s56
	s_and_saveexec_b32 s56, s33
	s_cbranch_execnz .LBB1251_294
.LBB1251_228:                           ;   in Loop: Header=BB1251_104 Depth=2
	s_or_b32 exec_lo, exec_lo, s56
	s_and_saveexec_b32 s56, s34
	s_cbranch_execnz .LBB1251_295
.LBB1251_229:                           ;   in Loop: Header=BB1251_104 Depth=2
	s_or_b32 exec_lo, exec_lo, s56
	s_and_saveexec_b32 s56, s35
	s_cbranch_execnz .LBB1251_296
.LBB1251_230:                           ;   in Loop: Header=BB1251_104 Depth=2
	s_or_b32 exec_lo, exec_lo, s56
	s_and_saveexec_b32 s56, s36
	s_cbranch_execnz .LBB1251_297
.LBB1251_231:                           ;   in Loop: Header=BB1251_104 Depth=2
	s_or_b32 exec_lo, exec_lo, s56
	s_and_saveexec_b32 s56, s37
	s_cbranch_execnz .LBB1251_298
.LBB1251_232:                           ;   in Loop: Header=BB1251_104 Depth=2
	s_or_b32 exec_lo, exec_lo, s56
	s_and_saveexec_b32 s56, s38
	s_cbranch_execz .LBB1251_234
.LBB1251_233:                           ;   in Loop: Header=BB1251_104 Depth=2
	ds_read_b64 v[39:40], v108 offset:31232
	s_waitcnt lgkmcnt(0)
	v_cmp_ne_u64_e64 s39, s[46:47], v[39:40]
	v_cndmask_b32_e64 v40, 0x80000000, v40, s39
	v_cndmask_b32_e64 v39, 0, v39, s39
	v_lshrrev_b64 v[39:40], s63, v[39:40]
	v_and_b32_e32 v151, s65, v39
.LBB1251_234:                           ;   in Loop: Header=BB1251_104 Depth=2
	s_or_b32 exec_lo, exec_lo, s56
	s_waitcnt vmcnt(0)
	s_waitcnt_vscnt null, 0x0
	s_barrier
	buffer_gl0_inv
	ds_write_b64 v71, v[37:38] offset:512
	ds_write_b64 v72, v[35:36] offset:512
	;; [unrolled: 1-line block ×16, first 2 shown]
	s_waitcnt lgkmcnt(0)
	s_barrier
	buffer_gl0_inv
	s_and_saveexec_b32 s39, vcc_lo
	s_cbranch_execnz .LBB1251_299
; %bb.235:                              ;   in Loop: Header=BB1251_104 Depth=2
	s_or_b32 exec_lo, exec_lo, s39
	s_and_saveexec_b32 s39, s23
	s_cbranch_execnz .LBB1251_300
.LBB1251_236:                           ;   in Loop: Header=BB1251_104 Depth=2
	s_or_b32 exec_lo, exec_lo, s39
	s_and_saveexec_b32 s23, s24
	s_cbranch_execnz .LBB1251_301
.LBB1251_237:                           ;   in Loop: Header=BB1251_104 Depth=2
	s_or_b32 exec_lo, exec_lo, s23
	s_and_saveexec_b32 s23, s25
	s_cbranch_execnz .LBB1251_302
.LBB1251_238:                           ;   in Loop: Header=BB1251_104 Depth=2
	s_or_b32 exec_lo, exec_lo, s23
	s_and_saveexec_b32 s23, s26
	s_cbranch_execnz .LBB1251_303
.LBB1251_239:                           ;   in Loop: Header=BB1251_104 Depth=2
	s_or_b32 exec_lo, exec_lo, s23
	s_and_saveexec_b32 s23, s27
	s_cbranch_execnz .LBB1251_304
.LBB1251_240:                           ;   in Loop: Header=BB1251_104 Depth=2
	s_or_b32 exec_lo, exec_lo, s23
	s_and_saveexec_b32 s23, s28
	s_cbranch_execnz .LBB1251_305
.LBB1251_241:                           ;   in Loop: Header=BB1251_104 Depth=2
	s_or_b32 exec_lo, exec_lo, s23
	s_and_saveexec_b32 s23, s29
	s_cbranch_execnz .LBB1251_306
.LBB1251_242:                           ;   in Loop: Header=BB1251_104 Depth=2
	s_or_b32 exec_lo, exec_lo, s23
	s_and_saveexec_b32 s23, s30
	s_cbranch_execnz .LBB1251_307
.LBB1251_243:                           ;   in Loop: Header=BB1251_104 Depth=2
	s_or_b32 exec_lo, exec_lo, s23
	s_and_saveexec_b32 s23, s31
	s_cbranch_execnz .LBB1251_308
.LBB1251_244:                           ;   in Loop: Header=BB1251_104 Depth=2
	s_or_b32 exec_lo, exec_lo, s23
	s_and_saveexec_b32 s23, s33
	s_cbranch_execnz .LBB1251_309
.LBB1251_245:                           ;   in Loop: Header=BB1251_104 Depth=2
	s_or_b32 exec_lo, exec_lo, s23
	s_and_saveexec_b32 s23, s34
	s_cbranch_execnz .LBB1251_310
.LBB1251_246:                           ;   in Loop: Header=BB1251_104 Depth=2
	s_or_b32 exec_lo, exec_lo, s23
	s_and_saveexec_b32 s23, s35
	s_cbranch_execnz .LBB1251_311
.LBB1251_247:                           ;   in Loop: Header=BB1251_104 Depth=2
	s_or_b32 exec_lo, exec_lo, s23
	s_and_saveexec_b32 s23, s36
	s_cbranch_execnz .LBB1251_312
.LBB1251_248:                           ;   in Loop: Header=BB1251_104 Depth=2
	s_or_b32 exec_lo, exec_lo, s23
	s_and_saveexec_b32 s23, s37
	s_cbranch_execnz .LBB1251_313
.LBB1251_249:                           ;   in Loop: Header=BB1251_104 Depth=2
	s_or_b32 exec_lo, exec_lo, s23
	s_and_saveexec_b32 s23, s38
	s_cbranch_execz .LBB1251_251
.LBB1251_250:                           ;   in Loop: Header=BB1251_104 Depth=2
	v_lshlrev_b32_e32 v3, 2, v151
	ds_read_b32 v3, v3
	ds_read_b64 v[39:40], v108 offset:31232
	s_waitcnt lgkmcnt(1)
	v_add_nc_u32_e32 v3, v3, v92
	v_lshlrev_b64 v[41:42], 3, v[3:4]
	v_add_co_u32 v41, vcc_lo, s48, v41
	v_add_co_ci_u32_e64 v42, null, s49, v42, vcc_lo
	s_waitcnt lgkmcnt(0)
	global_store_dwordx2 v[41:42], v[39:40], off
.LBB1251_251:                           ;   in Loop: Header=BB1251_104 Depth=2
	s_or_b32 exec_lo, exec_lo, s23
	s_waitcnt_vscnt null, 0x0
	s_barrier
	buffer_gl0_inv
	s_and_saveexec_b32 s23, s8
	s_cbranch_execz .LBB1251_103
; %bb.252:                              ;   in Loop: Header=BB1251_104 Depth=2
	ds_read_b32 v3, v75
	s_waitcnt lgkmcnt(0)
	v_add3_u32 v3, v158, v168, v3
	ds_write_b32 v75, v3
	s_branch .LBB1251_103
.LBB1251_253:                           ;   in Loop: Header=BB1251_104 Depth=2
	ds_read_b64 v[39:40], v108 offset:512
	s_waitcnt lgkmcnt(0)
	v_cmp_ne_u64_e64 s23, s[46:47], v[39:40]
	v_cndmask_b32_e64 v46, 0x80000000, v40, s23
	v_cndmask_b32_e64 v45, 0, v39, s23
	v_cmp_lt_i64_e64 s23, -1, v[39:40]
	v_lshrrev_b64 v[45:46], s63, v[45:46]
	v_cndmask_b32_e64 v47, 0x80000000, -1, s23
	v_and_b32_e32 v3, s65, v45
	v_ashrrev_i32_e32 v45, 31, v40
	v_xor_b32_e32 v40, v47, v40
	v_lshlrev_b32_e32 v3, 2, v3
	v_not_b32_e32 v48, v45
	ds_read_b32 v3, v3
	v_xor_b32_e32 v39, v48, v39
	s_waitcnt lgkmcnt(0)
	v_add_nc_u32_e32 v3, v3, v0
	v_lshlrev_b64 v[45:46], 3, v[3:4]
	v_add_co_u32 v45, s23, s42, v45
	v_add_co_ci_u32_e64 v46, null, s43, v46, s23
	global_store_dwordx2 v[45:46], v[39:40], off
	s_or_b32 exec_lo, exec_lo, s24
	v_cmp_lt_u32_e64 s23, v76, v169
	s_and_saveexec_b32 s25, s23
	s_cbranch_execz .LBB1251_186
.LBB1251_254:                           ;   in Loop: Header=BB1251_104 Depth=2
	ds_read_b64 v[39:40], v108 offset:2560
	s_waitcnt lgkmcnt(0)
	v_cmp_ne_u64_e64 s24, s[46:47], v[39:40]
	v_cndmask_b32_e64 v46, 0x80000000, v40, s24
	v_cndmask_b32_e64 v45, 0, v39, s24
	v_cmp_lt_i64_e64 s24, -1, v[39:40]
	v_lshrrev_b64 v[45:46], s63, v[45:46]
	v_cndmask_b32_e64 v47, 0x80000000, -1, s24
	v_and_b32_e32 v3, s65, v45
	v_ashrrev_i32_e32 v45, 31, v40
	v_xor_b32_e32 v40, v47, v40
	v_lshlrev_b32_e32 v3, 2, v3
	v_not_b32_e32 v48, v45
	ds_read_b32 v3, v3
	v_xor_b32_e32 v39, v48, v39
	s_waitcnt lgkmcnt(0)
	v_add_nc_u32_e32 v3, v3, v76
	v_lshlrev_b64 v[45:46], 3, v[3:4]
	v_add_co_u32 v45, s24, s42, v45
	v_add_co_ci_u32_e64 v46, null, s43, v46, s24
	global_store_dwordx2 v[45:46], v[39:40], off
	s_or_b32 exec_lo, exec_lo, s25
	v_cmp_lt_u32_e64 s24, v79, v169
	s_and_saveexec_b32 s26, s24
	s_cbranch_execz .LBB1251_187
.LBB1251_255:                           ;   in Loop: Header=BB1251_104 Depth=2
	ds_read_b64 v[39:40], v108 offset:4608
	s_waitcnt lgkmcnt(0)
	v_cmp_ne_u64_e64 s25, s[46:47], v[39:40]
	v_cndmask_b32_e64 v46, 0x80000000, v40, s25
	v_cndmask_b32_e64 v45, 0, v39, s25
	v_cmp_lt_i64_e64 s25, -1, v[39:40]
	v_lshrrev_b64 v[45:46], s63, v[45:46]
	v_cndmask_b32_e64 v47, 0x80000000, -1, s25
	v_and_b32_e32 v3, s65, v45
	v_ashrrev_i32_e32 v45, 31, v40
	v_xor_b32_e32 v40, v47, v40
	v_lshlrev_b32_e32 v3, 2, v3
	v_not_b32_e32 v48, v45
	ds_read_b32 v3, v3
	v_xor_b32_e32 v39, v48, v39
	s_waitcnt lgkmcnt(0)
	v_add_nc_u32_e32 v3, v3, v79
	v_lshlrev_b64 v[45:46], 3, v[3:4]
	v_add_co_u32 v45, s25, s42, v45
	v_add_co_ci_u32_e64 v46, null, s43, v46, s25
	global_store_dwordx2 v[45:46], v[39:40], off
	s_or_b32 exec_lo, exec_lo, s26
	v_cmp_lt_u32_e64 s25, v80, v169
	s_and_saveexec_b32 s27, s25
	s_cbranch_execz .LBB1251_188
.LBB1251_256:                           ;   in Loop: Header=BB1251_104 Depth=2
	ds_read_b64 v[39:40], v108 offset:6656
	s_waitcnt lgkmcnt(0)
	v_cmp_ne_u64_e64 s26, s[46:47], v[39:40]
	v_cndmask_b32_e64 v46, 0x80000000, v40, s26
	v_cndmask_b32_e64 v45, 0, v39, s26
	v_cmp_lt_i64_e64 s26, -1, v[39:40]
	v_lshrrev_b64 v[45:46], s63, v[45:46]
	v_cndmask_b32_e64 v47, 0x80000000, -1, s26
	v_and_b32_e32 v3, s65, v45
	v_ashrrev_i32_e32 v45, 31, v40
	v_xor_b32_e32 v40, v47, v40
	v_lshlrev_b32_e32 v3, 2, v3
	v_not_b32_e32 v48, v45
	ds_read_b32 v3, v3
	v_xor_b32_e32 v39, v48, v39
	s_waitcnt lgkmcnt(0)
	v_add_nc_u32_e32 v3, v3, v80
	v_lshlrev_b64 v[45:46], 3, v[3:4]
	v_add_co_u32 v45, s26, s42, v45
	v_add_co_ci_u32_e64 v46, null, s43, v46, s26
	global_store_dwordx2 v[45:46], v[39:40], off
	s_or_b32 exec_lo, exec_lo, s27
	v_cmp_lt_u32_e64 s26, v81, v169
	s_and_saveexec_b32 s28, s26
	s_cbranch_execz .LBB1251_189
.LBB1251_257:                           ;   in Loop: Header=BB1251_104 Depth=2
	ds_read_b64 v[39:40], v108 offset:8704
	s_waitcnt lgkmcnt(0)
	v_cmp_ne_u64_e64 s27, s[46:47], v[39:40]
	v_cndmask_b32_e64 v46, 0x80000000, v40, s27
	v_cndmask_b32_e64 v45, 0, v39, s27
	v_cmp_lt_i64_e64 s27, -1, v[39:40]
	v_lshrrev_b64 v[45:46], s63, v[45:46]
	v_cndmask_b32_e64 v47, 0x80000000, -1, s27
	v_and_b32_e32 v3, s65, v45
	v_ashrrev_i32_e32 v45, 31, v40
	v_xor_b32_e32 v40, v47, v40
	v_lshlrev_b32_e32 v3, 2, v3
	v_not_b32_e32 v48, v45
	ds_read_b32 v3, v3
	v_xor_b32_e32 v39, v48, v39
	s_waitcnt lgkmcnt(0)
	v_add_nc_u32_e32 v3, v3, v81
	v_lshlrev_b64 v[45:46], 3, v[3:4]
	v_add_co_u32 v45, s27, s42, v45
	v_add_co_ci_u32_e64 v46, null, s43, v46, s27
	global_store_dwordx2 v[45:46], v[39:40], off
	s_or_b32 exec_lo, exec_lo, s28
	v_cmp_lt_u32_e64 s27, v82, v169
	s_and_saveexec_b32 s29, s27
	s_cbranch_execz .LBB1251_190
.LBB1251_258:                           ;   in Loop: Header=BB1251_104 Depth=2
	ds_read_b64 v[39:40], v108 offset:10752
	s_waitcnt lgkmcnt(0)
	v_cmp_ne_u64_e64 s28, s[46:47], v[39:40]
	v_cndmask_b32_e64 v46, 0x80000000, v40, s28
	v_cndmask_b32_e64 v45, 0, v39, s28
	v_cmp_lt_i64_e64 s28, -1, v[39:40]
	v_lshrrev_b64 v[45:46], s63, v[45:46]
	v_cndmask_b32_e64 v47, 0x80000000, -1, s28
	v_and_b32_e32 v3, s65, v45
	v_ashrrev_i32_e32 v45, 31, v40
	v_xor_b32_e32 v40, v47, v40
	v_lshlrev_b32_e32 v3, 2, v3
	v_not_b32_e32 v48, v45
	ds_read_b32 v3, v3
	v_xor_b32_e32 v39, v48, v39
	s_waitcnt lgkmcnt(0)
	v_add_nc_u32_e32 v3, v3, v82
	v_lshlrev_b64 v[45:46], 3, v[3:4]
	v_add_co_u32 v45, s28, s42, v45
	v_add_co_ci_u32_e64 v46, null, s43, v46, s28
	global_store_dwordx2 v[45:46], v[39:40], off
	s_or_b32 exec_lo, exec_lo, s29
	v_cmp_lt_u32_e64 s28, v83, v169
	s_and_saveexec_b32 s30, s28
	s_cbranch_execz .LBB1251_191
.LBB1251_259:                           ;   in Loop: Header=BB1251_104 Depth=2
	ds_read_b64 v[39:40], v108 offset:12800
	s_waitcnt lgkmcnt(0)
	v_cmp_ne_u64_e64 s29, s[46:47], v[39:40]
	v_cndmask_b32_e64 v46, 0x80000000, v40, s29
	v_cndmask_b32_e64 v45, 0, v39, s29
	v_cmp_lt_i64_e64 s29, -1, v[39:40]
	v_lshrrev_b64 v[45:46], s63, v[45:46]
	v_cndmask_b32_e64 v47, 0x80000000, -1, s29
	v_and_b32_e32 v3, s65, v45
	v_ashrrev_i32_e32 v45, 31, v40
	v_xor_b32_e32 v40, v47, v40
	v_lshlrev_b32_e32 v3, 2, v3
	v_not_b32_e32 v48, v45
	ds_read_b32 v3, v3
	v_xor_b32_e32 v39, v48, v39
	s_waitcnt lgkmcnt(0)
	v_add_nc_u32_e32 v3, v3, v83
	v_lshlrev_b64 v[45:46], 3, v[3:4]
	v_add_co_u32 v45, s29, s42, v45
	v_add_co_ci_u32_e64 v46, null, s43, v46, s29
	global_store_dwordx2 v[45:46], v[39:40], off
	s_or_b32 exec_lo, exec_lo, s30
	v_cmp_lt_u32_e64 s29, v84, v169
	s_and_saveexec_b32 s31, s29
	s_cbranch_execz .LBB1251_192
.LBB1251_260:                           ;   in Loop: Header=BB1251_104 Depth=2
	ds_read_b64 v[39:40], v108 offset:14848
	s_waitcnt lgkmcnt(0)
	v_cmp_ne_u64_e64 s30, s[46:47], v[39:40]
	v_cndmask_b32_e64 v46, 0x80000000, v40, s30
	v_cndmask_b32_e64 v45, 0, v39, s30
	v_cmp_lt_i64_e64 s30, -1, v[39:40]
	v_lshrrev_b64 v[45:46], s63, v[45:46]
	v_cndmask_b32_e64 v47, 0x80000000, -1, s30
	v_and_b32_e32 v3, s65, v45
	v_ashrrev_i32_e32 v45, 31, v40
	v_xor_b32_e32 v40, v47, v40
	v_lshlrev_b32_e32 v3, 2, v3
	v_not_b32_e32 v48, v45
	ds_read_b32 v3, v3
	v_xor_b32_e32 v39, v48, v39
	s_waitcnt lgkmcnt(0)
	v_add_nc_u32_e32 v3, v3, v84
	v_lshlrev_b64 v[45:46], 3, v[3:4]
	v_add_co_u32 v45, s30, s42, v45
	v_add_co_ci_u32_e64 v46, null, s43, v46, s30
	global_store_dwordx2 v[45:46], v[39:40], off
	s_or_b32 exec_lo, exec_lo, s31
	v_cmp_lt_u32_e64 s30, v85, v169
	s_and_saveexec_b32 s33, s30
	s_cbranch_execz .LBB1251_193
.LBB1251_261:                           ;   in Loop: Header=BB1251_104 Depth=2
	ds_read_b64 v[39:40], v108 offset:16896
	s_waitcnt lgkmcnt(0)
	v_cmp_ne_u64_e64 s31, s[46:47], v[39:40]
	v_cndmask_b32_e64 v46, 0x80000000, v40, s31
	v_cndmask_b32_e64 v45, 0, v39, s31
	v_cmp_lt_i64_e64 s31, -1, v[39:40]
	v_lshrrev_b64 v[45:46], s63, v[45:46]
	v_cndmask_b32_e64 v47, 0x80000000, -1, s31
	v_and_b32_e32 v3, s65, v45
	v_ashrrev_i32_e32 v45, 31, v40
	v_xor_b32_e32 v40, v47, v40
	v_lshlrev_b32_e32 v3, 2, v3
	v_not_b32_e32 v48, v45
	ds_read_b32 v3, v3
	v_xor_b32_e32 v39, v48, v39
	s_waitcnt lgkmcnt(0)
	v_add_nc_u32_e32 v3, v3, v85
	v_lshlrev_b64 v[45:46], 3, v[3:4]
	v_add_co_u32 v45, s31, s42, v45
	v_add_co_ci_u32_e64 v46, null, s43, v46, s31
	global_store_dwordx2 v[45:46], v[39:40], off
	s_or_b32 exec_lo, exec_lo, s33
	v_cmp_lt_u32_e64 s31, v86, v169
	s_and_saveexec_b32 s34, s31
	s_cbranch_execz .LBB1251_194
.LBB1251_262:                           ;   in Loop: Header=BB1251_104 Depth=2
	ds_read_b64 v[39:40], v108 offset:18944
	s_waitcnt lgkmcnt(0)
	v_cmp_ne_u64_e64 s33, s[46:47], v[39:40]
	v_cndmask_b32_e64 v46, 0x80000000, v40, s33
	v_cndmask_b32_e64 v45, 0, v39, s33
	v_cmp_lt_i64_e64 s33, -1, v[39:40]
	v_lshrrev_b64 v[45:46], s63, v[45:46]
	v_cndmask_b32_e64 v47, 0x80000000, -1, s33
	v_and_b32_e32 v3, s65, v45
	v_ashrrev_i32_e32 v45, 31, v40
	v_xor_b32_e32 v40, v47, v40
	v_lshlrev_b32_e32 v3, 2, v3
	v_not_b32_e32 v48, v45
	ds_read_b32 v3, v3
	v_xor_b32_e32 v39, v48, v39
	s_waitcnt lgkmcnt(0)
	v_add_nc_u32_e32 v3, v3, v86
	v_lshlrev_b64 v[45:46], 3, v[3:4]
	v_add_co_u32 v45, s33, s42, v45
	v_add_co_ci_u32_e64 v46, null, s43, v46, s33
	global_store_dwordx2 v[45:46], v[39:40], off
	s_or_b32 exec_lo, exec_lo, s34
	v_cmp_lt_u32_e64 s33, v87, v169
	s_and_saveexec_b32 s35, s33
	s_cbranch_execz .LBB1251_195
.LBB1251_263:                           ;   in Loop: Header=BB1251_104 Depth=2
	ds_read_b64 v[39:40], v108 offset:20992
	s_waitcnt lgkmcnt(0)
	v_cmp_ne_u64_e64 s34, s[46:47], v[39:40]
	v_cndmask_b32_e64 v46, 0x80000000, v40, s34
	v_cndmask_b32_e64 v45, 0, v39, s34
	v_cmp_lt_i64_e64 s34, -1, v[39:40]
	v_lshrrev_b64 v[45:46], s63, v[45:46]
	v_cndmask_b32_e64 v47, 0x80000000, -1, s34
	v_and_b32_e32 v3, s65, v45
	v_ashrrev_i32_e32 v45, 31, v40
	v_xor_b32_e32 v40, v47, v40
	v_lshlrev_b32_e32 v3, 2, v3
	v_not_b32_e32 v48, v45
	ds_read_b32 v3, v3
	v_xor_b32_e32 v39, v48, v39
	s_waitcnt lgkmcnt(0)
	v_add_nc_u32_e32 v3, v3, v87
	v_lshlrev_b64 v[45:46], 3, v[3:4]
	v_add_co_u32 v45, s34, s42, v45
	v_add_co_ci_u32_e64 v46, null, s43, v46, s34
	global_store_dwordx2 v[45:46], v[39:40], off
	s_or_b32 exec_lo, exec_lo, s35
	v_cmp_lt_u32_e64 s34, v88, v169
	s_and_saveexec_b32 s36, s34
	s_cbranch_execz .LBB1251_196
.LBB1251_264:                           ;   in Loop: Header=BB1251_104 Depth=2
	ds_read_b64 v[39:40], v108 offset:23040
	s_waitcnt lgkmcnt(0)
	v_cmp_ne_u64_e64 s35, s[46:47], v[39:40]
	v_cndmask_b32_e64 v46, 0x80000000, v40, s35
	v_cndmask_b32_e64 v45, 0, v39, s35
	v_cmp_lt_i64_e64 s35, -1, v[39:40]
	v_lshrrev_b64 v[45:46], s63, v[45:46]
	v_cndmask_b32_e64 v47, 0x80000000, -1, s35
	v_and_b32_e32 v3, s65, v45
	v_ashrrev_i32_e32 v45, 31, v40
	v_xor_b32_e32 v40, v47, v40
	v_lshlrev_b32_e32 v3, 2, v3
	v_not_b32_e32 v48, v45
	ds_read_b32 v3, v3
	v_xor_b32_e32 v39, v48, v39
	s_waitcnt lgkmcnt(0)
	v_add_nc_u32_e32 v3, v3, v88
	v_lshlrev_b64 v[45:46], 3, v[3:4]
	v_add_co_u32 v45, s35, s42, v45
	v_add_co_ci_u32_e64 v46, null, s43, v46, s35
	global_store_dwordx2 v[45:46], v[39:40], off
	s_or_b32 exec_lo, exec_lo, s36
	v_cmp_lt_u32_e64 s35, v89, v169
	s_and_saveexec_b32 s37, s35
	s_cbranch_execz .LBB1251_197
.LBB1251_265:                           ;   in Loop: Header=BB1251_104 Depth=2
	ds_read_b64 v[39:40], v108 offset:25088
	s_waitcnt lgkmcnt(0)
	v_cmp_ne_u64_e64 s36, s[46:47], v[39:40]
	v_cndmask_b32_e64 v46, 0x80000000, v40, s36
	v_cndmask_b32_e64 v45, 0, v39, s36
	v_cmp_lt_i64_e64 s36, -1, v[39:40]
	v_lshrrev_b64 v[45:46], s63, v[45:46]
	v_cndmask_b32_e64 v47, 0x80000000, -1, s36
	v_and_b32_e32 v3, s65, v45
	v_ashrrev_i32_e32 v45, 31, v40
	v_xor_b32_e32 v40, v47, v40
	v_lshlrev_b32_e32 v3, 2, v3
	v_not_b32_e32 v48, v45
	ds_read_b32 v3, v3
	v_xor_b32_e32 v39, v48, v39
	s_waitcnt lgkmcnt(0)
	v_add_nc_u32_e32 v3, v3, v89
	v_lshlrev_b64 v[45:46], 3, v[3:4]
	v_add_co_u32 v45, s36, s42, v45
	v_add_co_ci_u32_e64 v46, null, s43, v46, s36
	global_store_dwordx2 v[45:46], v[39:40], off
	s_or_b32 exec_lo, exec_lo, s37
	v_cmp_lt_u32_e64 s36, v90, v169
	s_and_saveexec_b32 s38, s36
	s_cbranch_execz .LBB1251_198
.LBB1251_266:                           ;   in Loop: Header=BB1251_104 Depth=2
	ds_read_b64 v[39:40], v108 offset:27136
	s_waitcnt lgkmcnt(0)
	v_cmp_ne_u64_e64 s37, s[46:47], v[39:40]
	v_cndmask_b32_e64 v46, 0x80000000, v40, s37
	v_cndmask_b32_e64 v45, 0, v39, s37
	v_cmp_lt_i64_e64 s37, -1, v[39:40]
	v_lshrrev_b64 v[45:46], s63, v[45:46]
	v_cndmask_b32_e64 v47, 0x80000000, -1, s37
	v_and_b32_e32 v3, s65, v45
	v_ashrrev_i32_e32 v45, 31, v40
	v_xor_b32_e32 v40, v47, v40
	v_lshlrev_b32_e32 v3, 2, v3
	v_not_b32_e32 v48, v45
	ds_read_b32 v3, v3
	v_xor_b32_e32 v39, v48, v39
	s_waitcnt lgkmcnt(0)
	v_add_nc_u32_e32 v3, v3, v90
	v_lshlrev_b64 v[45:46], 3, v[3:4]
	v_add_co_u32 v45, s37, s42, v45
	v_add_co_ci_u32_e64 v46, null, s43, v46, s37
	global_store_dwordx2 v[45:46], v[39:40], off
	s_or_b32 exec_lo, exec_lo, s38
	v_cmp_lt_u32_e64 s37, v91, v169
	s_and_saveexec_b32 s39, s37
	s_cbranch_execz .LBB1251_199
.LBB1251_267:                           ;   in Loop: Header=BB1251_104 Depth=2
	ds_read_b64 v[39:40], v108 offset:29184
	s_waitcnt lgkmcnt(0)
	v_cmp_ne_u64_e64 s38, s[46:47], v[39:40]
	v_cndmask_b32_e64 v46, 0x80000000, v40, s38
	v_cndmask_b32_e64 v45, 0, v39, s38
	v_cmp_lt_i64_e64 s38, -1, v[39:40]
	v_lshrrev_b64 v[45:46], s63, v[45:46]
	v_cndmask_b32_e64 v47, 0x80000000, -1, s38
	v_and_b32_e32 v3, s65, v45
	v_ashrrev_i32_e32 v45, 31, v40
	v_xor_b32_e32 v40, v47, v40
	v_lshlrev_b32_e32 v3, 2, v3
	v_not_b32_e32 v48, v45
	ds_read_b32 v3, v3
	v_xor_b32_e32 v39, v48, v39
	s_waitcnt lgkmcnt(0)
	v_add_nc_u32_e32 v3, v3, v91
	v_lshlrev_b64 v[45:46], 3, v[3:4]
	v_add_co_u32 v45, s38, s42, v45
	v_add_co_ci_u32_e64 v46, null, s43, v46, s38
	global_store_dwordx2 v[45:46], v[39:40], off
	s_or_b32 exec_lo, exec_lo, s39
	v_cmp_lt_u32_e64 s38, v92, v169
	s_and_saveexec_b32 s68, s38
	s_cbranch_execnz .LBB1251_200
	s_branch .LBB1251_201
.LBB1251_268:                           ;   in Loop: Header=BB1251_104 Depth=2
	global_load_dwordx2 v[37:38], v[39:40], off
	s_or_b32 exec_lo, exec_lo, s39
	s_mov_b32 s56, exec_lo
	v_cmpx_lt_u32_e64 v133, v169
	s_cbranch_execz .LBB1251_203
.LBB1251_269:                           ;   in Loop: Header=BB1251_104 Depth=2
	global_load_dwordx2 v[35:36], v[39:40], off offset:256
	s_or_b32 exec_lo, exec_lo, s56
	s_mov_b32 s56, exec_lo
	v_cmpx_lt_u32_e64 v134, v169
	s_cbranch_execz .LBB1251_204
.LBB1251_270:                           ;   in Loop: Header=BB1251_104 Depth=2
	global_load_dwordx2 v[33:34], v[39:40], off offset:512
	s_or_b32 exec_lo, exec_lo, s56
	s_mov_b32 s56, exec_lo
	v_cmpx_lt_u32_e64 v135, v169
	s_cbranch_execz .LBB1251_205
.LBB1251_271:                           ;   in Loop: Header=BB1251_104 Depth=2
	global_load_dwordx2 v[31:32], v[39:40], off offset:768
	s_or_b32 exec_lo, exec_lo, s56
	s_mov_b32 s56, exec_lo
	v_cmpx_lt_u32_e64 v136, v169
	s_cbranch_execz .LBB1251_206
.LBB1251_272:                           ;   in Loop: Header=BB1251_104 Depth=2
	global_load_dwordx2 v[29:30], v[39:40], off offset:1024
	s_or_b32 exec_lo, exec_lo, s56
	s_mov_b32 s56, exec_lo
	v_cmpx_lt_u32_e64 v137, v169
	s_cbranch_execz .LBB1251_207
.LBB1251_273:                           ;   in Loop: Header=BB1251_104 Depth=2
	global_load_dwordx2 v[25:26], v[39:40], off offset:1280
	s_or_b32 exec_lo, exec_lo, s56
	s_mov_b32 s56, exec_lo
	v_cmpx_lt_u32_e64 v138, v169
	s_cbranch_execz .LBB1251_208
.LBB1251_274:                           ;   in Loop: Header=BB1251_104 Depth=2
	global_load_dwordx2 v[21:22], v[39:40], off offset:1536
	s_or_b32 exec_lo, exec_lo, s56
	s_mov_b32 s56, exec_lo
	v_cmpx_lt_u32_e64 v139, v169
	s_cbranch_execz .LBB1251_209
.LBB1251_275:                           ;   in Loop: Header=BB1251_104 Depth=2
	global_load_dwordx2 v[17:18], v[39:40], off offset:1792
	s_or_b32 exec_lo, exec_lo, s56
	s_mov_b32 s56, exec_lo
	v_cmpx_lt_u32_e64 v140, v169
	s_cbranch_execz .LBB1251_210
.LBB1251_276:                           ;   in Loop: Header=BB1251_104 Depth=2
	v_add_co_u32 v27, s39, 0x800, v39
	v_add_co_ci_u32_e64 v28, null, 0, v40, s39
	global_load_dwordx2 v[27:28], v[27:28], off
	s_or_b32 exec_lo, exec_lo, s56
	s_mov_b32 s56, exec_lo
	v_cmpx_lt_u32_e64 v141, v169
	s_cbranch_execz .LBB1251_211
.LBB1251_277:                           ;   in Loop: Header=BB1251_104 Depth=2
	v_add_co_u32 v23, s39, 0x800, v39
	v_add_co_ci_u32_e64 v24, null, 0, v40, s39
	global_load_dwordx2 v[23:24], v[23:24], off offset:256
	s_or_b32 exec_lo, exec_lo, s56
	s_mov_b32 s56, exec_lo
	v_cmpx_lt_u32_e64 v142, v169
	s_cbranch_execz .LBB1251_212
.LBB1251_278:                           ;   in Loop: Header=BB1251_104 Depth=2
	v_add_co_u32 v19, s39, 0x800, v39
	v_add_co_ci_u32_e64 v20, null, 0, v40, s39
	global_load_dwordx2 v[19:20], v[19:20], off offset:512
	s_or_b32 exec_lo, exec_lo, s56
	s_mov_b32 s56, exec_lo
	v_cmpx_lt_u32_e64 v143, v169
	s_cbranch_execz .LBB1251_213
.LBB1251_279:                           ;   in Loop: Header=BB1251_104 Depth=2
	v_add_co_u32 v15, s39, 0x800, v39
	v_add_co_ci_u32_e64 v16, null, 0, v40, s39
	global_load_dwordx2 v[15:16], v[15:16], off offset:768
	s_or_b32 exec_lo, exec_lo, s56
	s_mov_b32 s56, exec_lo
	v_cmpx_lt_u32_e64 v144, v169
	s_cbranch_execz .LBB1251_214
.LBB1251_280:                           ;   in Loop: Header=BB1251_104 Depth=2
	v_add_co_u32 v13, s39, 0x800, v39
	v_add_co_ci_u32_e64 v14, null, 0, v40, s39
	global_load_dwordx2 v[13:14], v[13:14], off offset:1024
	s_or_b32 exec_lo, exec_lo, s56
	s_mov_b32 s56, exec_lo
	v_cmpx_lt_u32_e64 v145, v169
	s_cbranch_execz .LBB1251_215
.LBB1251_281:                           ;   in Loop: Header=BB1251_104 Depth=2
	v_add_co_u32 v11, s39, 0x800, v39
	v_add_co_ci_u32_e64 v12, null, 0, v40, s39
	global_load_dwordx2 v[11:12], v[11:12], off offset:1280
	s_or_b32 exec_lo, exec_lo, s56
	s_mov_b32 s56, exec_lo
	v_cmpx_lt_u32_e64 v146, v169
	s_cbranch_execz .LBB1251_216
.LBB1251_282:                           ;   in Loop: Header=BB1251_104 Depth=2
	v_add_co_u32 v9, s39, 0x800, v39
	v_add_co_ci_u32_e64 v10, null, 0, v40, s39
	global_load_dwordx2 v[9:10], v[9:10], off offset:1536
	s_or_b32 exec_lo, exec_lo, s56
	s_mov_b32 s56, exec_lo
	v_cmpx_lt_u32_e64 v147, v169
	s_cbranch_execz .LBB1251_217
.LBB1251_283:                           ;   in Loop: Header=BB1251_104 Depth=2
	v_add_co_u32 v7, s39, 0x800, v39
	v_add_co_ci_u32_e64 v8, null, 0, v40, s39
	global_load_dwordx2 v[7:8], v[7:8], off offset:1792
	s_or_b32 exec_lo, exec_lo, s56
	s_and_saveexec_b32 s56, vcc_lo
	s_cbranch_execz .LBB1251_218
.LBB1251_284:                           ;   in Loop: Header=BB1251_104 Depth=2
	ds_read_b64 v[39:40], v108 offset:512
	s_waitcnt lgkmcnt(0)
	v_cmp_ne_u64_e64 s39, s[46:47], v[39:40]
	v_cndmask_b32_e64 v40, 0x80000000, v40, s39
	v_cndmask_b32_e64 v39, 0, v39, s39
	v_lshrrev_b64 v[39:40], s63, v[39:40]
	v_and_b32_e32 v167, s65, v39
	s_or_b32 exec_lo, exec_lo, s56
	s_and_saveexec_b32 s56, s23
	s_cbranch_execz .LBB1251_219
.LBB1251_285:                           ;   in Loop: Header=BB1251_104 Depth=2
	ds_read_b64 v[39:40], v108 offset:2560
	s_waitcnt lgkmcnt(0)
	v_cmp_ne_u64_e64 s39, s[46:47], v[39:40]
	v_cndmask_b32_e64 v40, 0x80000000, v40, s39
	v_cndmask_b32_e64 v39, 0, v39, s39
	v_lshrrev_b64 v[39:40], s63, v[39:40]
	v_and_b32_e32 v166, s65, v39
	s_or_b32 exec_lo, exec_lo, s56
	s_and_saveexec_b32 s56, s24
	s_cbranch_execz .LBB1251_220
.LBB1251_286:                           ;   in Loop: Header=BB1251_104 Depth=2
	ds_read_b64 v[39:40], v108 offset:4608
	s_waitcnt lgkmcnt(0)
	v_cmp_ne_u64_e64 s39, s[46:47], v[39:40]
	v_cndmask_b32_e64 v40, 0x80000000, v40, s39
	v_cndmask_b32_e64 v39, 0, v39, s39
	v_lshrrev_b64 v[39:40], s63, v[39:40]
	v_and_b32_e32 v165, s65, v39
	s_or_b32 exec_lo, exec_lo, s56
	s_and_saveexec_b32 s56, s25
	s_cbranch_execz .LBB1251_221
.LBB1251_287:                           ;   in Loop: Header=BB1251_104 Depth=2
	ds_read_b64 v[39:40], v108 offset:6656
	s_waitcnt lgkmcnt(0)
	v_cmp_ne_u64_e64 s39, s[46:47], v[39:40]
	v_cndmask_b32_e64 v40, 0x80000000, v40, s39
	v_cndmask_b32_e64 v39, 0, v39, s39
	v_lshrrev_b64 v[39:40], s63, v[39:40]
	v_and_b32_e32 v164, s65, v39
	s_or_b32 exec_lo, exec_lo, s56
	s_and_saveexec_b32 s56, s26
	s_cbranch_execz .LBB1251_222
.LBB1251_288:                           ;   in Loop: Header=BB1251_104 Depth=2
	ds_read_b64 v[39:40], v108 offset:8704
	s_waitcnt lgkmcnt(0)
	v_cmp_ne_u64_e64 s39, s[46:47], v[39:40]
	v_cndmask_b32_e64 v40, 0x80000000, v40, s39
	v_cndmask_b32_e64 v39, 0, v39, s39
	v_lshrrev_b64 v[39:40], s63, v[39:40]
	v_and_b32_e32 v163, s65, v39
	s_or_b32 exec_lo, exec_lo, s56
	s_and_saveexec_b32 s56, s27
	s_cbranch_execz .LBB1251_223
.LBB1251_289:                           ;   in Loop: Header=BB1251_104 Depth=2
	ds_read_b64 v[39:40], v108 offset:10752
	s_waitcnt lgkmcnt(0)
	v_cmp_ne_u64_e64 s39, s[46:47], v[39:40]
	v_cndmask_b32_e64 v40, 0x80000000, v40, s39
	v_cndmask_b32_e64 v39, 0, v39, s39
	v_lshrrev_b64 v[39:40], s63, v[39:40]
	v_and_b32_e32 v162, s65, v39
	s_or_b32 exec_lo, exec_lo, s56
	s_and_saveexec_b32 s56, s28
	s_cbranch_execz .LBB1251_224
.LBB1251_290:                           ;   in Loop: Header=BB1251_104 Depth=2
	ds_read_b64 v[39:40], v108 offset:12800
	s_waitcnt lgkmcnt(0)
	v_cmp_ne_u64_e64 s39, s[46:47], v[39:40]
	v_cndmask_b32_e64 v40, 0x80000000, v40, s39
	v_cndmask_b32_e64 v39, 0, v39, s39
	v_lshrrev_b64 v[39:40], s63, v[39:40]
	v_and_b32_e32 v161, s65, v39
	s_or_b32 exec_lo, exec_lo, s56
	s_and_saveexec_b32 s56, s29
	s_cbranch_execz .LBB1251_225
.LBB1251_291:                           ;   in Loop: Header=BB1251_104 Depth=2
	ds_read_b64 v[39:40], v108 offset:14848
	s_waitcnt lgkmcnt(0)
	v_cmp_ne_u64_e64 s39, s[46:47], v[39:40]
	v_cndmask_b32_e64 v40, 0x80000000, v40, s39
	v_cndmask_b32_e64 v39, 0, v39, s39
	v_lshrrev_b64 v[39:40], s63, v[39:40]
	v_and_b32_e32 v160, s65, v39
	s_or_b32 exec_lo, exec_lo, s56
	s_and_saveexec_b32 s56, s30
	s_cbranch_execz .LBB1251_226
.LBB1251_292:                           ;   in Loop: Header=BB1251_104 Depth=2
	ds_read_b64 v[39:40], v108 offset:16896
	s_waitcnt lgkmcnt(0)
	v_cmp_ne_u64_e64 s39, s[46:47], v[39:40]
	v_cndmask_b32_e64 v40, 0x80000000, v40, s39
	v_cndmask_b32_e64 v39, 0, v39, s39
	v_lshrrev_b64 v[39:40], s63, v[39:40]
	v_and_b32_e32 v159, s65, v39
	s_or_b32 exec_lo, exec_lo, s56
	s_and_saveexec_b32 s56, s31
	s_cbranch_execz .LBB1251_227
.LBB1251_293:                           ;   in Loop: Header=BB1251_104 Depth=2
	ds_read_b64 v[39:40], v108 offset:18944
	s_waitcnt lgkmcnt(0)
	v_cmp_ne_u64_e64 s39, s[46:47], v[39:40]
	v_cndmask_b32_e64 v40, 0x80000000, v40, s39
	v_cndmask_b32_e64 v39, 0, v39, s39
	v_lshrrev_b64 v[39:40], s63, v[39:40]
	v_and_b32_e32 v157, s65, v39
	s_or_b32 exec_lo, exec_lo, s56
	s_and_saveexec_b32 s56, s33
	s_cbranch_execz .LBB1251_228
.LBB1251_294:                           ;   in Loop: Header=BB1251_104 Depth=2
	ds_read_b64 v[39:40], v108 offset:20992
	s_waitcnt lgkmcnt(0)
	v_cmp_ne_u64_e64 s39, s[46:47], v[39:40]
	v_cndmask_b32_e64 v40, 0x80000000, v40, s39
	v_cndmask_b32_e64 v39, 0, v39, s39
	v_lshrrev_b64 v[39:40], s63, v[39:40]
	v_and_b32_e32 v156, s65, v39
	s_or_b32 exec_lo, exec_lo, s56
	s_and_saveexec_b32 s56, s34
	s_cbranch_execz .LBB1251_229
.LBB1251_295:                           ;   in Loop: Header=BB1251_104 Depth=2
	ds_read_b64 v[39:40], v108 offset:23040
	s_waitcnt lgkmcnt(0)
	v_cmp_ne_u64_e64 s39, s[46:47], v[39:40]
	v_cndmask_b32_e64 v40, 0x80000000, v40, s39
	v_cndmask_b32_e64 v39, 0, v39, s39
	v_lshrrev_b64 v[39:40], s63, v[39:40]
	v_and_b32_e32 v155, s65, v39
	s_or_b32 exec_lo, exec_lo, s56
	s_and_saveexec_b32 s56, s35
	s_cbranch_execz .LBB1251_230
.LBB1251_296:                           ;   in Loop: Header=BB1251_104 Depth=2
	ds_read_b64 v[39:40], v108 offset:25088
	s_waitcnt lgkmcnt(0)
	v_cmp_ne_u64_e64 s39, s[46:47], v[39:40]
	v_cndmask_b32_e64 v40, 0x80000000, v40, s39
	v_cndmask_b32_e64 v39, 0, v39, s39
	v_lshrrev_b64 v[39:40], s63, v[39:40]
	v_and_b32_e32 v154, s65, v39
	s_or_b32 exec_lo, exec_lo, s56
	s_and_saveexec_b32 s56, s36
	s_cbranch_execz .LBB1251_231
.LBB1251_297:                           ;   in Loop: Header=BB1251_104 Depth=2
	ds_read_b64 v[39:40], v108 offset:27136
	s_waitcnt lgkmcnt(0)
	v_cmp_ne_u64_e64 s39, s[46:47], v[39:40]
	v_cndmask_b32_e64 v40, 0x80000000, v40, s39
	v_cndmask_b32_e64 v39, 0, v39, s39
	v_lshrrev_b64 v[39:40], s63, v[39:40]
	v_and_b32_e32 v153, s65, v39
	s_or_b32 exec_lo, exec_lo, s56
	s_and_saveexec_b32 s56, s37
	s_cbranch_execz .LBB1251_232
.LBB1251_298:                           ;   in Loop: Header=BB1251_104 Depth=2
	ds_read_b64 v[39:40], v108 offset:29184
	s_waitcnt lgkmcnt(0)
	v_cmp_ne_u64_e64 s39, s[46:47], v[39:40]
	v_cndmask_b32_e64 v40, 0x80000000, v40, s39
	v_cndmask_b32_e64 v39, 0, v39, s39
	v_lshrrev_b64 v[39:40], s63, v[39:40]
	v_and_b32_e32 v152, s65, v39
	s_or_b32 exec_lo, exec_lo, s56
	s_and_saveexec_b32 s56, s38
	s_cbranch_execnz .LBB1251_233
	s_branch .LBB1251_234
.LBB1251_299:                           ;   in Loop: Header=BB1251_104 Depth=2
	v_lshlrev_b32_e32 v3, 2, v167
	ds_read_b32 v3, v3
	ds_read_b64 v[39:40], v108 offset:512
	s_waitcnt lgkmcnt(1)
	v_add_nc_u32_e32 v3, v3, v0
	v_lshlrev_b64 v[41:42], 3, v[3:4]
	v_add_co_u32 v41, vcc_lo, s48, v41
	v_add_co_ci_u32_e64 v42, null, s49, v42, vcc_lo
	s_waitcnt lgkmcnt(0)
	global_store_dwordx2 v[41:42], v[39:40], off
	s_or_b32 exec_lo, exec_lo, s39
	s_and_saveexec_b32 s39, s23
	s_cbranch_execz .LBB1251_236
.LBB1251_300:                           ;   in Loop: Header=BB1251_104 Depth=2
	v_lshlrev_b32_e32 v3, 2, v166
	ds_read_b32 v3, v3
	ds_read_b64 v[39:40], v108 offset:2560
	s_waitcnt lgkmcnt(1)
	v_add_nc_u32_e32 v3, v3, v76
	v_lshlrev_b64 v[41:42], 3, v[3:4]
	v_add_co_u32 v41, vcc_lo, s48, v41
	v_add_co_ci_u32_e64 v42, null, s49, v42, vcc_lo
	s_waitcnt lgkmcnt(0)
	global_store_dwordx2 v[41:42], v[39:40], off
	s_or_b32 exec_lo, exec_lo, s39
	s_and_saveexec_b32 s23, s24
	s_cbranch_execz .LBB1251_237
.LBB1251_301:                           ;   in Loop: Header=BB1251_104 Depth=2
	v_lshlrev_b32_e32 v3, 2, v165
	ds_read_b32 v3, v3
	ds_read_b64 v[39:40], v108 offset:4608
	s_waitcnt lgkmcnt(1)
	v_add_nc_u32_e32 v3, v3, v79
	v_lshlrev_b64 v[41:42], 3, v[3:4]
	v_add_co_u32 v41, vcc_lo, s48, v41
	v_add_co_ci_u32_e64 v42, null, s49, v42, vcc_lo
	s_waitcnt lgkmcnt(0)
	global_store_dwordx2 v[41:42], v[39:40], off
	s_or_b32 exec_lo, exec_lo, s23
	s_and_saveexec_b32 s23, s25
	s_cbranch_execz .LBB1251_238
.LBB1251_302:                           ;   in Loop: Header=BB1251_104 Depth=2
	v_lshlrev_b32_e32 v3, 2, v164
	ds_read_b32 v3, v3
	ds_read_b64 v[39:40], v108 offset:6656
	s_waitcnt lgkmcnt(1)
	v_add_nc_u32_e32 v3, v3, v80
	v_lshlrev_b64 v[41:42], 3, v[3:4]
	v_add_co_u32 v41, vcc_lo, s48, v41
	v_add_co_ci_u32_e64 v42, null, s49, v42, vcc_lo
	s_waitcnt lgkmcnt(0)
	global_store_dwordx2 v[41:42], v[39:40], off
	s_or_b32 exec_lo, exec_lo, s23
	s_and_saveexec_b32 s23, s26
	s_cbranch_execz .LBB1251_239
.LBB1251_303:                           ;   in Loop: Header=BB1251_104 Depth=2
	v_lshlrev_b32_e32 v3, 2, v163
	ds_read_b32 v3, v3
	ds_read_b64 v[39:40], v108 offset:8704
	s_waitcnt lgkmcnt(1)
	v_add_nc_u32_e32 v3, v3, v81
	v_lshlrev_b64 v[41:42], 3, v[3:4]
	v_add_co_u32 v41, vcc_lo, s48, v41
	v_add_co_ci_u32_e64 v42, null, s49, v42, vcc_lo
	s_waitcnt lgkmcnt(0)
	global_store_dwordx2 v[41:42], v[39:40], off
	s_or_b32 exec_lo, exec_lo, s23
	s_and_saveexec_b32 s23, s27
	s_cbranch_execz .LBB1251_240
.LBB1251_304:                           ;   in Loop: Header=BB1251_104 Depth=2
	v_lshlrev_b32_e32 v3, 2, v162
	ds_read_b32 v3, v3
	ds_read_b64 v[39:40], v108 offset:10752
	s_waitcnt lgkmcnt(1)
	v_add_nc_u32_e32 v3, v3, v82
	v_lshlrev_b64 v[41:42], 3, v[3:4]
	v_add_co_u32 v41, vcc_lo, s48, v41
	v_add_co_ci_u32_e64 v42, null, s49, v42, vcc_lo
	s_waitcnt lgkmcnt(0)
	global_store_dwordx2 v[41:42], v[39:40], off
	s_or_b32 exec_lo, exec_lo, s23
	s_and_saveexec_b32 s23, s28
	s_cbranch_execz .LBB1251_241
.LBB1251_305:                           ;   in Loop: Header=BB1251_104 Depth=2
	v_lshlrev_b32_e32 v3, 2, v161
	ds_read_b32 v3, v3
	ds_read_b64 v[39:40], v108 offset:12800
	s_waitcnt lgkmcnt(1)
	v_add_nc_u32_e32 v3, v3, v83
	v_lshlrev_b64 v[41:42], 3, v[3:4]
	v_add_co_u32 v41, vcc_lo, s48, v41
	v_add_co_ci_u32_e64 v42, null, s49, v42, vcc_lo
	s_waitcnt lgkmcnt(0)
	global_store_dwordx2 v[41:42], v[39:40], off
	s_or_b32 exec_lo, exec_lo, s23
	s_and_saveexec_b32 s23, s29
	s_cbranch_execz .LBB1251_242
.LBB1251_306:                           ;   in Loop: Header=BB1251_104 Depth=2
	v_lshlrev_b32_e32 v3, 2, v160
	ds_read_b32 v3, v3
	ds_read_b64 v[39:40], v108 offset:14848
	s_waitcnt lgkmcnt(1)
	v_add_nc_u32_e32 v3, v3, v84
	v_lshlrev_b64 v[41:42], 3, v[3:4]
	v_add_co_u32 v41, vcc_lo, s48, v41
	v_add_co_ci_u32_e64 v42, null, s49, v42, vcc_lo
	s_waitcnt lgkmcnt(0)
	global_store_dwordx2 v[41:42], v[39:40], off
	s_or_b32 exec_lo, exec_lo, s23
	s_and_saveexec_b32 s23, s30
	s_cbranch_execz .LBB1251_243
.LBB1251_307:                           ;   in Loop: Header=BB1251_104 Depth=2
	v_lshlrev_b32_e32 v3, 2, v159
	ds_read_b32 v3, v3
	ds_read_b64 v[39:40], v108 offset:16896
	s_waitcnt lgkmcnt(1)
	v_add_nc_u32_e32 v3, v3, v85
	v_lshlrev_b64 v[41:42], 3, v[3:4]
	v_add_co_u32 v41, vcc_lo, s48, v41
	v_add_co_ci_u32_e64 v42, null, s49, v42, vcc_lo
	s_waitcnt lgkmcnt(0)
	global_store_dwordx2 v[41:42], v[39:40], off
	s_or_b32 exec_lo, exec_lo, s23
	s_and_saveexec_b32 s23, s31
	s_cbranch_execz .LBB1251_244
.LBB1251_308:                           ;   in Loop: Header=BB1251_104 Depth=2
	v_lshlrev_b32_e32 v3, 2, v157
	ds_read_b32 v3, v3
	ds_read_b64 v[39:40], v108 offset:18944
	s_waitcnt lgkmcnt(1)
	v_add_nc_u32_e32 v3, v3, v86
	v_lshlrev_b64 v[41:42], 3, v[3:4]
	v_add_co_u32 v41, vcc_lo, s48, v41
	v_add_co_ci_u32_e64 v42, null, s49, v42, vcc_lo
	s_waitcnt lgkmcnt(0)
	global_store_dwordx2 v[41:42], v[39:40], off
	s_or_b32 exec_lo, exec_lo, s23
	s_and_saveexec_b32 s23, s33
	s_cbranch_execz .LBB1251_245
.LBB1251_309:                           ;   in Loop: Header=BB1251_104 Depth=2
	v_lshlrev_b32_e32 v3, 2, v156
	ds_read_b32 v3, v3
	ds_read_b64 v[39:40], v108 offset:20992
	s_waitcnt lgkmcnt(1)
	v_add_nc_u32_e32 v3, v3, v87
	v_lshlrev_b64 v[41:42], 3, v[3:4]
	v_add_co_u32 v41, vcc_lo, s48, v41
	v_add_co_ci_u32_e64 v42, null, s49, v42, vcc_lo
	s_waitcnt lgkmcnt(0)
	global_store_dwordx2 v[41:42], v[39:40], off
	s_or_b32 exec_lo, exec_lo, s23
	s_and_saveexec_b32 s23, s34
	s_cbranch_execz .LBB1251_246
.LBB1251_310:                           ;   in Loop: Header=BB1251_104 Depth=2
	v_lshlrev_b32_e32 v3, 2, v155
	ds_read_b32 v3, v3
	ds_read_b64 v[39:40], v108 offset:23040
	s_waitcnt lgkmcnt(1)
	v_add_nc_u32_e32 v3, v3, v88
	v_lshlrev_b64 v[41:42], 3, v[3:4]
	v_add_co_u32 v41, vcc_lo, s48, v41
	v_add_co_ci_u32_e64 v42, null, s49, v42, vcc_lo
	s_waitcnt lgkmcnt(0)
	global_store_dwordx2 v[41:42], v[39:40], off
	s_or_b32 exec_lo, exec_lo, s23
	s_and_saveexec_b32 s23, s35
	s_cbranch_execz .LBB1251_247
.LBB1251_311:                           ;   in Loop: Header=BB1251_104 Depth=2
	v_lshlrev_b32_e32 v3, 2, v154
	ds_read_b32 v3, v3
	ds_read_b64 v[39:40], v108 offset:25088
	s_waitcnt lgkmcnt(1)
	v_add_nc_u32_e32 v3, v3, v89
	v_lshlrev_b64 v[41:42], 3, v[3:4]
	v_add_co_u32 v41, vcc_lo, s48, v41
	v_add_co_ci_u32_e64 v42, null, s49, v42, vcc_lo
	s_waitcnt lgkmcnt(0)
	global_store_dwordx2 v[41:42], v[39:40], off
	s_or_b32 exec_lo, exec_lo, s23
	s_and_saveexec_b32 s23, s36
	s_cbranch_execz .LBB1251_248
.LBB1251_312:                           ;   in Loop: Header=BB1251_104 Depth=2
	v_lshlrev_b32_e32 v3, 2, v153
	ds_read_b32 v3, v3
	ds_read_b64 v[39:40], v108 offset:27136
	s_waitcnt lgkmcnt(1)
	v_add_nc_u32_e32 v3, v3, v90
	v_lshlrev_b64 v[41:42], 3, v[3:4]
	v_add_co_u32 v41, vcc_lo, s48, v41
	v_add_co_ci_u32_e64 v42, null, s49, v42, vcc_lo
	s_waitcnt lgkmcnt(0)
	global_store_dwordx2 v[41:42], v[39:40], off
	s_or_b32 exec_lo, exec_lo, s23
	s_and_saveexec_b32 s23, s37
	s_cbranch_execz .LBB1251_249
.LBB1251_313:                           ;   in Loop: Header=BB1251_104 Depth=2
	v_lshlrev_b32_e32 v3, 2, v152
	ds_read_b32 v3, v3
	ds_read_b64 v[39:40], v108 offset:29184
	s_waitcnt lgkmcnt(1)
	v_add_nc_u32_e32 v3, v3, v91
	v_lshlrev_b64 v[41:42], 3, v[3:4]
	v_add_co_u32 v41, vcc_lo, s48, v41
	v_add_co_ci_u32_e64 v42, null, s49, v42, vcc_lo
	s_waitcnt lgkmcnt(0)
	global_store_dwordx2 v[41:42], v[39:40], off
	s_or_b32 exec_lo, exec_lo, s23
	s_and_saveexec_b32 s23, s38
	s_cbranch_execnz .LBB1251_250
	s_branch .LBB1251_251
.LBB1251_314:                           ;   in Loop: Header=BB1251_20 Depth=1
	s_waitcnt lgkmcnt(0)
	s_mov_b32 s14, 0
	s_barrier
.LBB1251_315:                           ;   in Loop: Header=BB1251_20 Depth=1
	s_and_b32 vcc_lo, exec_lo, s14
	s_cbranch_vccz .LBB1251_609
; %bb.316:                              ;   in Loop: Header=BB1251_20 Depth=1
	s_mov_b32 s16, s62
	s_mov_b32 s56, s60
	s_barrier
	buffer_gl0_inv
                                        ; implicit-def: $vgpr7_vgpr8
                                        ; implicit-def: $vgpr9_vgpr10
                                        ; implicit-def: $vgpr11_vgpr12
                                        ; implicit-def: $vgpr13_vgpr14
                                        ; implicit-def: $vgpr15_vgpr16
                                        ; implicit-def: $vgpr17_vgpr18
                                        ; implicit-def: $vgpr19_vgpr20
                                        ; implicit-def: $vgpr21_vgpr22
                                        ; implicit-def: $vgpr23_vgpr24
                                        ; implicit-def: $vgpr25_vgpr26
                                        ; implicit-def: $vgpr27_vgpr28
                                        ; implicit-def: $vgpr29_vgpr30
                                        ; implicit-def: $vgpr31_vgpr32
                                        ; implicit-def: $vgpr33_vgpr34
                                        ; implicit-def: $vgpr35_vgpr36
                                        ; implicit-def: $vgpr37_vgpr38
	s_branch .LBB1251_318
.LBB1251_317:                           ;   in Loop: Header=BB1251_318 Depth=2
	s_or_b32 exec_lo, exec_lo, s14
	s_addk_i32 s16, 0xf000
	s_cmp_ge_u32 s17, s61
	s_mov_b32 s56, s17
	s_cbranch_scc1 .LBB1251_386
.LBB1251_318:                           ;   Parent Loop BB1251_20 Depth=1
                                        ; =>  This Inner Loop Header: Depth=2
	s_add_i32 s17, s56, 0x1000
	s_mov_b32 s14, -1
	s_cmp_gt_u32 s17, s61
                                        ; implicit-def: $vgpr49_vgpr50
                                        ; implicit-def: $vgpr53_vgpr54
                                        ; implicit-def: $vgpr57_vgpr58
                                        ; implicit-def: $vgpr39_vgpr40
                                        ; implicit-def: $vgpr41_vgpr42
                                        ; implicit-def: $vgpr43_vgpr44
                                        ; implicit-def: $vgpr45_vgpr46
                                        ; implicit-def: $vgpr47_vgpr48
                                        ; implicit-def: $vgpr51_vgpr52
                                        ; implicit-def: $vgpr55_vgpr56
                                        ; implicit-def: $vgpr59_vgpr60
                                        ; implicit-def: $vgpr61_vgpr62
                                        ; implicit-def: $vgpr63_vgpr64
                                        ; implicit-def: $vgpr65_vgpr66
                                        ; implicit-def: $vgpr67_vgpr68
                                        ; implicit-def: $vgpr69_vgpr70
	s_cbranch_scc1 .LBB1251_320
; %bb.319:                              ;   in Loop: Header=BB1251_318 Depth=2
	s_lshl_b64 s[14:15], s[56:57], 3
	v_add_co_u32 v49, vcc_lo, v109, s14
	v_add_co_ci_u32_e64 v50, null, s15, v110, vcc_lo
	s_mov_b32 s14, 0
	v_add_co_u32 v57, vcc_lo, v49, 0x1000
	v_add_co_ci_u32_e64 v58, null, 0, v50, vcc_lo
	v_add_co_u32 v41, vcc_lo, v49, 0x2000
	v_add_co_ci_u32_e64 v42, null, 0, v50, vcc_lo
	;; [unrolled: 2-line block ×5, first 2 shown]
	s_clause 0x7
	global_load_dwordx2 v[39:40], v[41:42], off offset:-2048
	global_load_dwordx2 v[41:42], v[41:42], off
	global_load_dwordx2 v[43:44], v[45:46], off offset:-2048
	global_load_dwordx2 v[45:46], v[45:46], off
	;; [unrolled: 2-line block ×4, first 2 shown]
	v_add_co_u32 v53, vcc_lo, v49, 0x6000
	v_add_co_ci_u32_e64 v54, null, 0, v50, vcc_lo
	v_add_co_u32 v67, vcc_lo, v49, 0x7000
	v_add_co_ci_u32_e64 v68, null, 0, v50, vcc_lo
	;; [unrolled: 2-line block ×3, first 2 shown]
	s_clause 0x7
	global_load_dwordx2 v[61:62], v[53:54], off offset:-2048
	global_load_dwordx2 v[63:64], v[53:54], off
	global_load_dwordx2 v[65:66], v[67:68], off offset:-2048
	global_load_dwordx2 v[67:68], v[67:68], off
	global_load_dwordx2 v[49:50], v[49:50], off
	global_load_dwordx2 v[53:54], v[57:58], off offset:-2048
	global_load_dwordx2 v[57:58], v[57:58], off
	global_load_dwordx2 v[69:70], v[69:70], off
.LBB1251_320:                           ;   in Loop: Header=BB1251_318 Depth=2
	s_andn2_b32 vcc_lo, exec_lo, s14
	s_movk_i32 s14, 0x1000
	s_cbranch_vccnz .LBB1251_339
; %bb.321:                              ;   in Loop: Header=BB1251_318 Depth=2
	s_lshl_b64 s[14:15], s[56:57], 3
	s_mov_b32 s18, exec_lo
	s_add_u32 s14, s42, s14
	s_addc_u32 s15, s43, s15
	v_cmpx_gt_u32_e64 s16, v0
	s_cbranch_execnz .LBB1251_371
; %bb.322:                              ;   in Loop: Header=BB1251_318 Depth=2
	s_or_b32 exec_lo, exec_lo, s18
	s_mov_b32 s18, exec_lo
	v_cmpx_gt_u32_e64 s16, v76
	s_cbranch_execnz .LBB1251_372
.LBB1251_323:                           ;   in Loop: Header=BB1251_318 Depth=2
	s_or_b32 exec_lo, exec_lo, s18
	s_mov_b32 s18, exec_lo
	v_cmpx_gt_u32_e64 s16, v79
	s_cbranch_execnz .LBB1251_373
.LBB1251_324:                           ;   in Loop: Header=BB1251_318 Depth=2
	s_or_b32 exec_lo, exec_lo, s18
	s_mov_b32 s18, exec_lo
	v_cmpx_gt_u32_e64 s16, v80
	s_cbranch_execnz .LBB1251_374
.LBB1251_325:                           ;   in Loop: Header=BB1251_318 Depth=2
	s_or_b32 exec_lo, exec_lo, s18
	s_mov_b32 s18, exec_lo
	v_cmpx_gt_u32_e64 s16, v81
	s_cbranch_execnz .LBB1251_375
.LBB1251_326:                           ;   in Loop: Header=BB1251_318 Depth=2
	s_or_b32 exec_lo, exec_lo, s18
	s_mov_b32 s18, exec_lo
	v_cmpx_gt_u32_e64 s16, v82
	s_cbranch_execnz .LBB1251_376
.LBB1251_327:                           ;   in Loop: Header=BB1251_318 Depth=2
	s_or_b32 exec_lo, exec_lo, s18
	s_mov_b32 s18, exec_lo
	v_cmpx_gt_u32_e64 s16, v83
	s_cbranch_execnz .LBB1251_377
.LBB1251_328:                           ;   in Loop: Header=BB1251_318 Depth=2
	s_or_b32 exec_lo, exec_lo, s18
	s_mov_b32 s18, exec_lo
	v_cmpx_gt_u32_e64 s16, v84
	s_cbranch_execnz .LBB1251_378
.LBB1251_329:                           ;   in Loop: Header=BB1251_318 Depth=2
	s_or_b32 exec_lo, exec_lo, s18
	s_mov_b32 s18, exec_lo
	v_cmpx_gt_u32_e64 s16, v85
	s_cbranch_execnz .LBB1251_379
.LBB1251_330:                           ;   in Loop: Header=BB1251_318 Depth=2
	s_or_b32 exec_lo, exec_lo, s18
	s_mov_b32 s18, exec_lo
	v_cmpx_gt_u32_e64 s16, v86
	s_cbranch_execnz .LBB1251_380
.LBB1251_331:                           ;   in Loop: Header=BB1251_318 Depth=2
	s_or_b32 exec_lo, exec_lo, s18
	s_mov_b32 s18, exec_lo
	v_cmpx_gt_u32_e64 s16, v87
	s_cbranch_execnz .LBB1251_381
.LBB1251_332:                           ;   in Loop: Header=BB1251_318 Depth=2
	s_or_b32 exec_lo, exec_lo, s18
	s_mov_b32 s18, exec_lo
	v_cmpx_gt_u32_e64 s16, v88
	s_cbranch_execnz .LBB1251_382
.LBB1251_333:                           ;   in Loop: Header=BB1251_318 Depth=2
	s_or_b32 exec_lo, exec_lo, s18
	s_mov_b32 s18, exec_lo
	v_cmpx_gt_u32_e64 s16, v89
	s_cbranch_execnz .LBB1251_383
.LBB1251_334:                           ;   in Loop: Header=BB1251_318 Depth=2
	s_or_b32 exec_lo, exec_lo, s18
	s_mov_b32 s18, exec_lo
	v_cmpx_gt_u32_e64 s16, v90
	s_cbranch_execnz .LBB1251_384
.LBB1251_335:                           ;   in Loop: Header=BB1251_318 Depth=2
	s_or_b32 exec_lo, exec_lo, s18
	s_mov_b32 s18, exec_lo
	v_cmpx_gt_u32_e64 s16, v91
	s_cbranch_execnz .LBB1251_385
.LBB1251_336:                           ;   in Loop: Header=BB1251_318 Depth=2
	s_or_b32 exec_lo, exec_lo, s18
	s_mov_b32 s18, exec_lo
	v_cmpx_gt_u32_e64 s16, v92
	s_cbranch_execz .LBB1251_338
.LBB1251_337:                           ;   in Loop: Header=BB1251_318 Depth=2
	v_lshlrev_b32_e32 v3, 3, v92
	global_load_dwordx2 v[7:8], v3, s[14:15]
.LBB1251_338:                           ;   in Loop: Header=BB1251_318 Depth=2
	s_or_b32 exec_lo, exec_lo, s18
	s_waitcnt vmcnt(0)
	v_mov_b32_e32 v50, v38
	v_mov_b32_e32 v54, v36
	;; [unrolled: 1-line block ×32, first 2 shown]
	s_mov_b32 s14, s16
.LBB1251_339:                           ;   in Loop: Header=BB1251_318 Depth=2
	s_waitcnt vmcnt(0)
	v_mov_b32_e32 v7, v69
	v_mov_b32_e32 v9, v67
	;; [unrolled: 1-line block ×32, first 2 shown]
	s_mov_b32 s15, exec_lo
	v_cmpx_gt_u32_e64 s14, v0
	s_cbranch_execnz .LBB1251_355
; %bb.340:                              ;   in Loop: Header=BB1251_318 Depth=2
	s_or_b32 exec_lo, exec_lo, s15
	s_mov_b32 s15, exec_lo
	v_cmpx_gt_u32_e64 s14, v76
	s_cbranch_execnz .LBB1251_356
.LBB1251_341:                           ;   in Loop: Header=BB1251_318 Depth=2
	s_or_b32 exec_lo, exec_lo, s15
	s_mov_b32 s15, exec_lo
	v_cmpx_gt_u32_e64 s14, v79
	s_cbranch_execnz .LBB1251_357
.LBB1251_342:                           ;   in Loop: Header=BB1251_318 Depth=2
	s_or_b32 exec_lo, exec_lo, s15
	s_mov_b32 s15, exec_lo
	v_cmpx_gt_u32_e64 s14, v80
	s_cbranch_execnz .LBB1251_358
.LBB1251_343:                           ;   in Loop: Header=BB1251_318 Depth=2
	s_or_b32 exec_lo, exec_lo, s15
	s_mov_b32 s15, exec_lo
	v_cmpx_gt_u32_e64 s14, v81
	s_cbranch_execnz .LBB1251_359
.LBB1251_344:                           ;   in Loop: Header=BB1251_318 Depth=2
	s_or_b32 exec_lo, exec_lo, s15
	s_mov_b32 s15, exec_lo
	v_cmpx_gt_u32_e64 s14, v82
	s_cbranch_execnz .LBB1251_360
.LBB1251_345:                           ;   in Loop: Header=BB1251_318 Depth=2
	s_or_b32 exec_lo, exec_lo, s15
	s_mov_b32 s15, exec_lo
	v_cmpx_gt_u32_e64 s14, v83
	s_cbranch_execnz .LBB1251_361
.LBB1251_346:                           ;   in Loop: Header=BB1251_318 Depth=2
	s_or_b32 exec_lo, exec_lo, s15
	s_mov_b32 s15, exec_lo
	v_cmpx_gt_u32_e64 s14, v84
	s_cbranch_execnz .LBB1251_362
.LBB1251_347:                           ;   in Loop: Header=BB1251_318 Depth=2
	s_or_b32 exec_lo, exec_lo, s15
	s_mov_b32 s15, exec_lo
	v_cmpx_gt_u32_e64 s14, v85
	s_cbranch_execnz .LBB1251_363
.LBB1251_348:                           ;   in Loop: Header=BB1251_318 Depth=2
	s_or_b32 exec_lo, exec_lo, s15
	s_mov_b32 s15, exec_lo
	v_cmpx_gt_u32_e64 s14, v86
	s_cbranch_execnz .LBB1251_364
.LBB1251_349:                           ;   in Loop: Header=BB1251_318 Depth=2
	s_or_b32 exec_lo, exec_lo, s15
	s_mov_b32 s15, exec_lo
	v_cmpx_gt_u32_e64 s14, v87
	s_cbranch_execnz .LBB1251_365
.LBB1251_350:                           ;   in Loop: Header=BB1251_318 Depth=2
	s_or_b32 exec_lo, exec_lo, s15
	s_mov_b32 s15, exec_lo
	v_cmpx_gt_u32_e64 s14, v88
	s_cbranch_execnz .LBB1251_366
.LBB1251_351:                           ;   in Loop: Header=BB1251_318 Depth=2
	s_or_b32 exec_lo, exec_lo, s15
	s_mov_b32 s15, exec_lo
	v_cmpx_gt_u32_e64 s14, v89
	s_cbranch_execnz .LBB1251_367
.LBB1251_352:                           ;   in Loop: Header=BB1251_318 Depth=2
	s_or_b32 exec_lo, exec_lo, s15
	s_mov_b32 s15, exec_lo
	v_cmpx_gt_u32_e64 s14, v90
	s_cbranch_execnz .LBB1251_368
.LBB1251_353:                           ;   in Loop: Header=BB1251_318 Depth=2
	s_or_b32 exec_lo, exec_lo, s15
	s_mov_b32 s15, exec_lo
	v_cmpx_gt_u32_e64 s14, v91
	s_cbranch_execnz .LBB1251_369
.LBB1251_354:                           ;   in Loop: Header=BB1251_318 Depth=2
	s_or_b32 exec_lo, exec_lo, s15
	v_cmp_gt_u32_e32 vcc_lo, s14, v92
	s_and_saveexec_b32 s14, vcc_lo
	s_cbranch_execz .LBB1251_317
	s_branch .LBB1251_370
.LBB1251_355:                           ;   in Loop: Header=BB1251_318 Depth=2
	v_cmp_lt_i64_e32 vcc_lo, -1, v[37:38]
	v_ashrrev_i32_e32 v39, 31, v38
	v_xor_b32_e32 v39, v39, v37
	v_cndmask_b32_e64 v3, -1, 0x80000000, vcc_lo
	v_xor_b32_e32 v40, v3, v38
	v_cmp_ne_u64_e32 vcc_lo, s[46:47], v[39:40]
	v_cndmask_b32_e32 v40, 0x80000000, v40, vcc_lo
	v_cndmask_b32_e32 v39, 0, v39, vcc_lo
	v_lshrrev_b64 v[39:40], s63, v[39:40]
	v_and_b32_e32 v3, s65, v39
	v_lshl_or_b32 v3, v3, 4, v93
	ds_add_u32 v3, v121
	s_or_b32 exec_lo, exec_lo, s15
	s_mov_b32 s15, exec_lo
	v_cmpx_gt_u32_e64 s14, v76
	s_cbranch_execz .LBB1251_341
.LBB1251_356:                           ;   in Loop: Header=BB1251_318 Depth=2
	v_cmp_lt_i64_e32 vcc_lo, -1, v[35:36]
	v_ashrrev_i32_e32 v39, 31, v36
	v_xor_b32_e32 v39, v39, v35
	v_cndmask_b32_e64 v3, -1, 0x80000000, vcc_lo
	v_xor_b32_e32 v40, v3, v36
	v_cmp_ne_u64_e32 vcc_lo, s[46:47], v[39:40]
	v_cndmask_b32_e32 v40, 0x80000000, v40, vcc_lo
	v_cndmask_b32_e32 v39, 0, v39, vcc_lo
	v_lshrrev_b64 v[39:40], s63, v[39:40]
	v_and_b32_e32 v3, s65, v39
	v_lshl_or_b32 v3, v3, 4, v93
	ds_add_u32 v3, v121
	s_or_b32 exec_lo, exec_lo, s15
	s_mov_b32 s15, exec_lo
	v_cmpx_gt_u32_e64 s14, v79
	s_cbranch_execz .LBB1251_342
.LBB1251_357:                           ;   in Loop: Header=BB1251_318 Depth=2
	v_cmp_lt_i64_e32 vcc_lo, -1, v[33:34]
	v_ashrrev_i32_e32 v39, 31, v34
	v_xor_b32_e32 v39, v39, v33
	v_cndmask_b32_e64 v3, -1, 0x80000000, vcc_lo
	v_xor_b32_e32 v40, v3, v34
	v_cmp_ne_u64_e32 vcc_lo, s[46:47], v[39:40]
	v_cndmask_b32_e32 v40, 0x80000000, v40, vcc_lo
	v_cndmask_b32_e32 v39, 0, v39, vcc_lo
	v_lshrrev_b64 v[39:40], s63, v[39:40]
	v_and_b32_e32 v3, s65, v39
	v_lshl_or_b32 v3, v3, 4, v93
	ds_add_u32 v3, v121
	s_or_b32 exec_lo, exec_lo, s15
	s_mov_b32 s15, exec_lo
	v_cmpx_gt_u32_e64 s14, v80
	s_cbranch_execz .LBB1251_343
.LBB1251_358:                           ;   in Loop: Header=BB1251_318 Depth=2
	v_cmp_lt_i64_e32 vcc_lo, -1, v[31:32]
	v_ashrrev_i32_e32 v39, 31, v32
	v_xor_b32_e32 v39, v39, v31
	v_cndmask_b32_e64 v3, -1, 0x80000000, vcc_lo
	v_xor_b32_e32 v40, v3, v32
	v_cmp_ne_u64_e32 vcc_lo, s[46:47], v[39:40]
	v_cndmask_b32_e32 v40, 0x80000000, v40, vcc_lo
	v_cndmask_b32_e32 v39, 0, v39, vcc_lo
	v_lshrrev_b64 v[39:40], s63, v[39:40]
	v_and_b32_e32 v3, s65, v39
	v_lshl_or_b32 v3, v3, 4, v93
	ds_add_u32 v3, v121
	s_or_b32 exec_lo, exec_lo, s15
	s_mov_b32 s15, exec_lo
	v_cmpx_gt_u32_e64 s14, v81
	s_cbranch_execz .LBB1251_344
.LBB1251_359:                           ;   in Loop: Header=BB1251_318 Depth=2
	v_cmp_lt_i64_e32 vcc_lo, -1, v[29:30]
	v_ashrrev_i32_e32 v39, 31, v30
	v_xor_b32_e32 v39, v39, v29
	v_cndmask_b32_e64 v3, -1, 0x80000000, vcc_lo
	v_xor_b32_e32 v40, v3, v30
	v_cmp_ne_u64_e32 vcc_lo, s[46:47], v[39:40]
	v_cndmask_b32_e32 v40, 0x80000000, v40, vcc_lo
	v_cndmask_b32_e32 v39, 0, v39, vcc_lo
	v_lshrrev_b64 v[39:40], s63, v[39:40]
	v_and_b32_e32 v3, s65, v39
	v_lshl_or_b32 v3, v3, 4, v93
	ds_add_u32 v3, v121
	s_or_b32 exec_lo, exec_lo, s15
	s_mov_b32 s15, exec_lo
	v_cmpx_gt_u32_e64 s14, v82
	s_cbranch_execz .LBB1251_345
.LBB1251_360:                           ;   in Loop: Header=BB1251_318 Depth=2
	v_cmp_lt_i64_e32 vcc_lo, -1, v[27:28]
	v_ashrrev_i32_e32 v39, 31, v28
	v_xor_b32_e32 v39, v39, v27
	v_cndmask_b32_e64 v3, -1, 0x80000000, vcc_lo
	v_xor_b32_e32 v40, v3, v28
	v_cmp_ne_u64_e32 vcc_lo, s[46:47], v[39:40]
	v_cndmask_b32_e32 v40, 0x80000000, v40, vcc_lo
	v_cndmask_b32_e32 v39, 0, v39, vcc_lo
	v_lshrrev_b64 v[39:40], s63, v[39:40]
	v_and_b32_e32 v3, s65, v39
	v_lshl_or_b32 v3, v3, 4, v93
	ds_add_u32 v3, v121
	s_or_b32 exec_lo, exec_lo, s15
	s_mov_b32 s15, exec_lo
	v_cmpx_gt_u32_e64 s14, v83
	s_cbranch_execz .LBB1251_346
.LBB1251_361:                           ;   in Loop: Header=BB1251_318 Depth=2
	v_cmp_lt_i64_e32 vcc_lo, -1, v[25:26]
	v_ashrrev_i32_e32 v39, 31, v26
	v_xor_b32_e32 v39, v39, v25
	v_cndmask_b32_e64 v3, -1, 0x80000000, vcc_lo
	v_xor_b32_e32 v40, v3, v26
	v_cmp_ne_u64_e32 vcc_lo, s[46:47], v[39:40]
	v_cndmask_b32_e32 v40, 0x80000000, v40, vcc_lo
	v_cndmask_b32_e32 v39, 0, v39, vcc_lo
	v_lshrrev_b64 v[39:40], s63, v[39:40]
	v_and_b32_e32 v3, s65, v39
	v_lshl_or_b32 v3, v3, 4, v93
	ds_add_u32 v3, v121
	s_or_b32 exec_lo, exec_lo, s15
	s_mov_b32 s15, exec_lo
	v_cmpx_gt_u32_e64 s14, v84
	s_cbranch_execz .LBB1251_347
.LBB1251_362:                           ;   in Loop: Header=BB1251_318 Depth=2
	v_cmp_lt_i64_e32 vcc_lo, -1, v[23:24]
	v_ashrrev_i32_e32 v39, 31, v24
	v_xor_b32_e32 v39, v39, v23
	v_cndmask_b32_e64 v3, -1, 0x80000000, vcc_lo
	v_xor_b32_e32 v40, v3, v24
	v_cmp_ne_u64_e32 vcc_lo, s[46:47], v[39:40]
	v_cndmask_b32_e32 v40, 0x80000000, v40, vcc_lo
	v_cndmask_b32_e32 v39, 0, v39, vcc_lo
	v_lshrrev_b64 v[39:40], s63, v[39:40]
	v_and_b32_e32 v3, s65, v39
	v_lshl_or_b32 v3, v3, 4, v93
	ds_add_u32 v3, v121
	s_or_b32 exec_lo, exec_lo, s15
	s_mov_b32 s15, exec_lo
	v_cmpx_gt_u32_e64 s14, v85
	s_cbranch_execz .LBB1251_348
.LBB1251_363:                           ;   in Loop: Header=BB1251_318 Depth=2
	v_cmp_lt_i64_e32 vcc_lo, -1, v[21:22]
	v_ashrrev_i32_e32 v39, 31, v22
	v_xor_b32_e32 v39, v39, v21
	v_cndmask_b32_e64 v3, -1, 0x80000000, vcc_lo
	v_xor_b32_e32 v40, v3, v22
	v_cmp_ne_u64_e32 vcc_lo, s[46:47], v[39:40]
	v_cndmask_b32_e32 v40, 0x80000000, v40, vcc_lo
	v_cndmask_b32_e32 v39, 0, v39, vcc_lo
	v_lshrrev_b64 v[39:40], s63, v[39:40]
	v_and_b32_e32 v3, s65, v39
	v_lshl_or_b32 v3, v3, 4, v93
	ds_add_u32 v3, v121
	s_or_b32 exec_lo, exec_lo, s15
	s_mov_b32 s15, exec_lo
	v_cmpx_gt_u32_e64 s14, v86
	s_cbranch_execz .LBB1251_349
.LBB1251_364:                           ;   in Loop: Header=BB1251_318 Depth=2
	v_cmp_lt_i64_e32 vcc_lo, -1, v[19:20]
	v_ashrrev_i32_e32 v39, 31, v20
	v_xor_b32_e32 v39, v39, v19
	v_cndmask_b32_e64 v3, -1, 0x80000000, vcc_lo
	v_xor_b32_e32 v40, v3, v20
	v_cmp_ne_u64_e32 vcc_lo, s[46:47], v[39:40]
	v_cndmask_b32_e32 v40, 0x80000000, v40, vcc_lo
	v_cndmask_b32_e32 v39, 0, v39, vcc_lo
	v_lshrrev_b64 v[39:40], s63, v[39:40]
	v_and_b32_e32 v3, s65, v39
	v_lshl_or_b32 v3, v3, 4, v93
	ds_add_u32 v3, v121
	s_or_b32 exec_lo, exec_lo, s15
	s_mov_b32 s15, exec_lo
	v_cmpx_gt_u32_e64 s14, v87
	s_cbranch_execz .LBB1251_350
.LBB1251_365:                           ;   in Loop: Header=BB1251_318 Depth=2
	v_cmp_lt_i64_e32 vcc_lo, -1, v[17:18]
	v_ashrrev_i32_e32 v39, 31, v18
	v_xor_b32_e32 v39, v39, v17
	v_cndmask_b32_e64 v3, -1, 0x80000000, vcc_lo
	v_xor_b32_e32 v40, v3, v18
	v_cmp_ne_u64_e32 vcc_lo, s[46:47], v[39:40]
	v_cndmask_b32_e32 v40, 0x80000000, v40, vcc_lo
	v_cndmask_b32_e32 v39, 0, v39, vcc_lo
	v_lshrrev_b64 v[39:40], s63, v[39:40]
	v_and_b32_e32 v3, s65, v39
	v_lshl_or_b32 v3, v3, 4, v93
	ds_add_u32 v3, v121
	s_or_b32 exec_lo, exec_lo, s15
	s_mov_b32 s15, exec_lo
	v_cmpx_gt_u32_e64 s14, v88
	s_cbranch_execz .LBB1251_351
.LBB1251_366:                           ;   in Loop: Header=BB1251_318 Depth=2
	v_cmp_lt_i64_e32 vcc_lo, -1, v[15:16]
	v_ashrrev_i32_e32 v39, 31, v16
	v_xor_b32_e32 v39, v39, v15
	v_cndmask_b32_e64 v3, -1, 0x80000000, vcc_lo
	v_xor_b32_e32 v40, v3, v16
	v_cmp_ne_u64_e32 vcc_lo, s[46:47], v[39:40]
	v_cndmask_b32_e32 v40, 0x80000000, v40, vcc_lo
	v_cndmask_b32_e32 v39, 0, v39, vcc_lo
	v_lshrrev_b64 v[39:40], s63, v[39:40]
	v_and_b32_e32 v3, s65, v39
	v_lshl_or_b32 v3, v3, 4, v93
	ds_add_u32 v3, v121
	s_or_b32 exec_lo, exec_lo, s15
	s_mov_b32 s15, exec_lo
	v_cmpx_gt_u32_e64 s14, v89
	s_cbranch_execz .LBB1251_352
.LBB1251_367:                           ;   in Loop: Header=BB1251_318 Depth=2
	v_cmp_lt_i64_e32 vcc_lo, -1, v[13:14]
	v_ashrrev_i32_e32 v39, 31, v14
	v_xor_b32_e32 v39, v39, v13
	v_cndmask_b32_e64 v3, -1, 0x80000000, vcc_lo
	v_xor_b32_e32 v40, v3, v14
	v_cmp_ne_u64_e32 vcc_lo, s[46:47], v[39:40]
	v_cndmask_b32_e32 v40, 0x80000000, v40, vcc_lo
	v_cndmask_b32_e32 v39, 0, v39, vcc_lo
	v_lshrrev_b64 v[39:40], s63, v[39:40]
	v_and_b32_e32 v3, s65, v39
	v_lshl_or_b32 v3, v3, 4, v93
	ds_add_u32 v3, v121
	s_or_b32 exec_lo, exec_lo, s15
	s_mov_b32 s15, exec_lo
	v_cmpx_gt_u32_e64 s14, v90
	s_cbranch_execz .LBB1251_353
.LBB1251_368:                           ;   in Loop: Header=BB1251_318 Depth=2
	v_cmp_lt_i64_e32 vcc_lo, -1, v[11:12]
	v_ashrrev_i32_e32 v39, 31, v12
	v_xor_b32_e32 v39, v39, v11
	v_cndmask_b32_e64 v3, -1, 0x80000000, vcc_lo
	v_xor_b32_e32 v40, v3, v12
	v_cmp_ne_u64_e32 vcc_lo, s[46:47], v[39:40]
	v_cndmask_b32_e32 v40, 0x80000000, v40, vcc_lo
	v_cndmask_b32_e32 v39, 0, v39, vcc_lo
	v_lshrrev_b64 v[39:40], s63, v[39:40]
	v_and_b32_e32 v3, s65, v39
	v_lshl_or_b32 v3, v3, 4, v93
	ds_add_u32 v3, v121
	s_or_b32 exec_lo, exec_lo, s15
	s_mov_b32 s15, exec_lo
	v_cmpx_gt_u32_e64 s14, v91
	s_cbranch_execz .LBB1251_354
.LBB1251_369:                           ;   in Loop: Header=BB1251_318 Depth=2
	v_cmp_lt_i64_e32 vcc_lo, -1, v[9:10]
	v_ashrrev_i32_e32 v39, 31, v10
	v_xor_b32_e32 v39, v39, v9
	v_cndmask_b32_e64 v3, -1, 0x80000000, vcc_lo
	v_xor_b32_e32 v40, v3, v10
	v_cmp_ne_u64_e32 vcc_lo, s[46:47], v[39:40]
	v_cndmask_b32_e32 v40, 0x80000000, v40, vcc_lo
	v_cndmask_b32_e32 v39, 0, v39, vcc_lo
	v_lshrrev_b64 v[39:40], s63, v[39:40]
	v_and_b32_e32 v3, s65, v39
	v_lshl_or_b32 v3, v3, 4, v93
	ds_add_u32 v3, v121
	s_or_b32 exec_lo, exec_lo, s15
	v_cmp_gt_u32_e32 vcc_lo, s14, v92
	s_and_saveexec_b32 s14, vcc_lo
	s_cbranch_execz .LBB1251_317
.LBB1251_370:                           ;   in Loop: Header=BB1251_318 Depth=2
	v_cmp_lt_i64_e32 vcc_lo, -1, v[7:8]
	v_ashrrev_i32_e32 v39, 31, v8
	v_xor_b32_e32 v39, v39, v7
	v_cndmask_b32_e64 v3, -1, 0x80000000, vcc_lo
	v_xor_b32_e32 v40, v3, v8
	v_cmp_ne_u64_e32 vcc_lo, s[46:47], v[39:40]
	v_cndmask_b32_e32 v40, 0x80000000, v40, vcc_lo
	v_cndmask_b32_e32 v39, 0, v39, vcc_lo
	v_lshrrev_b64 v[39:40], s63, v[39:40]
	v_and_b32_e32 v3, s65, v39
	v_lshl_or_b32 v3, v3, 4, v93
	ds_add_u32 v3, v121
	s_branch .LBB1251_317
.LBB1251_371:                           ;   in Loop: Header=BB1251_318 Depth=2
	global_load_dwordx2 v[37:38], v122, s[14:15]
	s_or_b32 exec_lo, exec_lo, s18
	s_mov_b32 s18, exec_lo
	v_cmpx_gt_u32_e64 s16, v76
	s_cbranch_execz .LBB1251_323
.LBB1251_372:                           ;   in Loop: Header=BB1251_318 Depth=2
	global_load_dwordx2 v[35:36], v123, s[14:15]
	s_or_b32 exec_lo, exec_lo, s18
	s_mov_b32 s18, exec_lo
	v_cmpx_gt_u32_e64 s16, v79
	s_cbranch_execz .LBB1251_324
.LBB1251_373:                           ;   in Loop: Header=BB1251_318 Depth=2
	global_load_dwordx2 v[33:34], v124, s[14:15]
	s_or_b32 exec_lo, exec_lo, s18
	s_mov_b32 s18, exec_lo
	v_cmpx_gt_u32_e64 s16, v80
	s_cbranch_execz .LBB1251_325
.LBB1251_374:                           ;   in Loop: Header=BB1251_318 Depth=2
	global_load_dwordx2 v[31:32], v125, s[14:15]
	s_or_b32 exec_lo, exec_lo, s18
	s_mov_b32 s18, exec_lo
	v_cmpx_gt_u32_e64 s16, v81
	s_cbranch_execz .LBB1251_326
.LBB1251_375:                           ;   in Loop: Header=BB1251_318 Depth=2
	global_load_dwordx2 v[29:30], v126, s[14:15]
	s_or_b32 exec_lo, exec_lo, s18
	s_mov_b32 s18, exec_lo
	v_cmpx_gt_u32_e64 s16, v82
	s_cbranch_execz .LBB1251_327
.LBB1251_376:                           ;   in Loop: Header=BB1251_318 Depth=2
	global_load_dwordx2 v[27:28], v127, s[14:15]
	s_or_b32 exec_lo, exec_lo, s18
	s_mov_b32 s18, exec_lo
	v_cmpx_gt_u32_e64 s16, v83
	s_cbranch_execz .LBB1251_328
.LBB1251_377:                           ;   in Loop: Header=BB1251_318 Depth=2
	v_lshlrev_b32_e32 v3, 3, v83
	global_load_dwordx2 v[25:26], v3, s[14:15]
	s_or_b32 exec_lo, exec_lo, s18
	s_mov_b32 s18, exec_lo
	v_cmpx_gt_u32_e64 s16, v84
	s_cbranch_execz .LBB1251_329
.LBB1251_378:                           ;   in Loop: Header=BB1251_318 Depth=2
	v_lshlrev_b32_e32 v3, 3, v84
	global_load_dwordx2 v[23:24], v3, s[14:15]
	s_or_b32 exec_lo, exec_lo, s18
	s_mov_b32 s18, exec_lo
	v_cmpx_gt_u32_e64 s16, v85
	s_cbranch_execz .LBB1251_330
.LBB1251_379:                           ;   in Loop: Header=BB1251_318 Depth=2
	v_lshlrev_b32_e32 v3, 3, v85
	global_load_dwordx2 v[21:22], v3, s[14:15]
	s_or_b32 exec_lo, exec_lo, s18
	s_mov_b32 s18, exec_lo
	v_cmpx_gt_u32_e64 s16, v86
	s_cbranch_execz .LBB1251_331
.LBB1251_380:                           ;   in Loop: Header=BB1251_318 Depth=2
	v_lshlrev_b32_e32 v3, 3, v86
	global_load_dwordx2 v[19:20], v3, s[14:15]
	s_or_b32 exec_lo, exec_lo, s18
	s_mov_b32 s18, exec_lo
	v_cmpx_gt_u32_e64 s16, v87
	s_cbranch_execz .LBB1251_332
.LBB1251_381:                           ;   in Loop: Header=BB1251_318 Depth=2
	v_lshlrev_b32_e32 v3, 3, v87
	global_load_dwordx2 v[17:18], v3, s[14:15]
	s_or_b32 exec_lo, exec_lo, s18
	s_mov_b32 s18, exec_lo
	v_cmpx_gt_u32_e64 s16, v88
	s_cbranch_execz .LBB1251_333
.LBB1251_382:                           ;   in Loop: Header=BB1251_318 Depth=2
	v_lshlrev_b32_e32 v3, 3, v88
	global_load_dwordx2 v[15:16], v3, s[14:15]
	s_or_b32 exec_lo, exec_lo, s18
	s_mov_b32 s18, exec_lo
	v_cmpx_gt_u32_e64 s16, v89
	s_cbranch_execz .LBB1251_334
.LBB1251_383:                           ;   in Loop: Header=BB1251_318 Depth=2
	v_lshlrev_b32_e32 v3, 3, v89
	global_load_dwordx2 v[13:14], v3, s[14:15]
	s_or_b32 exec_lo, exec_lo, s18
	s_mov_b32 s18, exec_lo
	v_cmpx_gt_u32_e64 s16, v90
	s_cbranch_execz .LBB1251_335
.LBB1251_384:                           ;   in Loop: Header=BB1251_318 Depth=2
	v_lshlrev_b32_e32 v3, 3, v90
	global_load_dwordx2 v[11:12], v3, s[14:15]
	s_or_b32 exec_lo, exec_lo, s18
	s_mov_b32 s18, exec_lo
	v_cmpx_gt_u32_e64 s16, v91
	s_cbranch_execz .LBB1251_336
.LBB1251_385:                           ;   in Loop: Header=BB1251_318 Depth=2
	v_lshlrev_b32_e32 v3, 3, v91
	global_load_dwordx2 v[9:10], v3, s[14:15]
	s_or_b32 exec_lo, exec_lo, s18
	s_mov_b32 s18, exec_lo
	v_cmpx_gt_u32_e64 s16, v92
	s_cbranch_execnz .LBB1251_337
	s_branch .LBB1251_338
.LBB1251_386:                           ;   in Loop: Header=BB1251_20 Depth=1
	v_mov_b32_e32 v3, 0
	s_waitcnt lgkmcnt(0)
	s_barrier
	buffer_gl0_inv
	s_and_saveexec_b32 s14, s8
	s_cbranch_execz .LBB1251_388
; %bb.387:                              ;   in Loop: Header=BB1251_20 Depth=1
	ds_read2_b64 v[7:10], v95 offset1:1
	s_waitcnt lgkmcnt(0)
	v_add_nc_u32_e32 v3, v8, v7
	v_add3_u32 v3, v3, v9, v10
.LBB1251_388:                           ;   in Loop: Header=BB1251_20 Depth=1
	s_or_b32 exec_lo, exec_lo, s14
	v_and_b32_e32 v7, 15, v128
	v_mov_b32_dpp v8, v3 row_shr:1 row_mask:0xf bank_mask:0xf
	v_and_b32_e32 v9, 16, v128
	v_cmp_eq_u32_e64 s14, 0, v7
	v_cmp_lt_u32_e64 s15, 1, v7
	v_cmp_lt_u32_e64 s16, 3, v7
	;; [unrolled: 1-line block ×3, first 2 shown]
	v_cmp_eq_u32_e64 s18, 0, v9
	v_cndmask_b32_e64 v8, v8, 0, s14
	v_add_nc_u32_e32 v3, v8, v3
	v_mov_b32_dpp v8, v3 row_shr:2 row_mask:0xf bank_mask:0xf
	v_cndmask_b32_e64 v8, 0, v8, s15
	v_add_nc_u32_e32 v3, v3, v8
	v_mov_b32_dpp v8, v3 row_shr:4 row_mask:0xf bank_mask:0xf
	;; [unrolled: 3-line block ×3, first 2 shown]
	v_cndmask_b32_e64 v7, 0, v8, s17
	v_bfe_i32 v8, v128, 4, 1
	v_add_nc_u32_e32 v3, v3, v7
	ds_swizzle_b32 v7, v3 offset:swizzle(BROADCAST,32,15)
	s_waitcnt lgkmcnt(0)
	v_and_b32_e32 v7, v8, v7
	v_add_nc_u32_e32 v3, v3, v7
	s_and_saveexec_b32 s19, s9
; %bb.389:                              ;   in Loop: Header=BB1251_20 Depth=1
	ds_write_b32 v96, v3
; %bb.390:                              ;   in Loop: Header=BB1251_20 Depth=1
	s_or_b32 exec_lo, exec_lo, s19
	s_waitcnt lgkmcnt(0)
	s_barrier
	buffer_gl0_inv
	s_and_saveexec_b32 s19, s10
	s_cbranch_execz .LBB1251_392
; %bb.391:                              ;   in Loop: Header=BB1251_20 Depth=1
	ds_read_b32 v7, v97
	v_and_b32_e32 v8, 3, v128
	v_cmp_ne_u32_e32 vcc_lo, 0, v8
	s_waitcnt lgkmcnt(0)
	v_mov_b32_dpp v9, v7 row_shr:1 row_mask:0xf bank_mask:0xf
	v_cndmask_b32_e32 v9, 0, v9, vcc_lo
	v_cmp_lt_u32_e32 vcc_lo, 1, v8
	v_add_nc_u32_e32 v7, v9, v7
	v_mov_b32_dpp v9, v7 row_shr:2 row_mask:0xf bank_mask:0xf
	v_cndmask_b32_e32 v8, 0, v9, vcc_lo
	v_add_nc_u32_e32 v7, v7, v8
	ds_write_b32 v97, v7
.LBB1251_392:                           ;   in Loop: Header=BB1251_20 Depth=1
	s_or_b32 exec_lo, exec_lo, s19
	v_mov_b32_e32 v7, 0
	s_waitcnt lgkmcnt(0)
	s_barrier
	buffer_gl0_inv
	s_and_saveexec_b32 s19, s11
; %bb.393:                              ;   in Loop: Header=BB1251_20 Depth=1
	ds_read_b32 v7, v98
; %bb.394:                              ;   in Loop: Header=BB1251_20 Depth=1
	s_or_b32 exec_lo, exec_lo, s19
	v_sub_co_u32 v8, s19, v128, 1
	s_waitcnt lgkmcnt(0)
	v_add_nc_u32_e32 v3, v7, v3
	s_barrier
	v_cmp_gt_i32_e32 vcc_lo, 0, v8
	buffer_gl0_inv
	v_cndmask_b32_e32 v8, v8, v128, vcc_lo
	v_lshlrev_b32_e32 v129, 2, v8
	ds_bpermute_b32 v3, v129, v3
	s_and_saveexec_b32 s20, s8
	s_cbranch_execz .LBB1251_396
; %bb.395:                              ;   in Loop: Header=BB1251_20 Depth=1
	s_waitcnt lgkmcnt(0)
	v_cndmask_b32_e64 v3, v3, v7, s19
	v_add_nc_u32_e32 v3, s60, v3
	ds_write_b32 v75, v3
.LBB1251_396:                           ;   in Loop: Header=BB1251_20 Depth=1
	s_or_b32 exec_lo, exec_lo, s20
	s_load_dwordx2 s[20:21], s[58:59], 0x0
	v_and_b32_e32 v8, 7, v128
	v_lshlrev_b32_e32 v9, 3, v128
	v_or_b32_e32 v130, v128, v99
	s_mov_b32 s66, s62
	s_mov_b32 s56, s60
                                        ; implicit-def: $vgpr11_vgpr12
                                        ; implicit-def: $vgpr13_vgpr14
                                        ; implicit-def: $vgpr15_vgpr16
                                        ; implicit-def: $vgpr19_vgpr20
                                        ; implicit-def: $vgpr23_vgpr24
                                        ; implicit-def: $vgpr27_vgpr28
                                        ; implicit-def: $vgpr17_vgpr18
                                        ; implicit-def: $vgpr21_vgpr22
                                        ; implicit-def: $vgpr25_vgpr26
                                        ; implicit-def: $vgpr29_vgpr30
                                        ; implicit-def: $vgpr31_vgpr32
                                        ; implicit-def: $vgpr33_vgpr34
                                        ; implicit-def: $vgpr35_vgpr36
                                        ; implicit-def: $vgpr37_vgpr38
                                        ; implicit-def: $vgpr151
                                        ; implicit-def: $vgpr152
                                        ; implicit-def: $vgpr153
                                        ; implicit-def: $vgpr154
                                        ; implicit-def: $vgpr155
                                        ; implicit-def: $vgpr156
                                        ; implicit-def: $vgpr157
                                        ; implicit-def: $vgpr159
                                        ; implicit-def: $vgpr160
                                        ; implicit-def: $vgpr161
                                        ; implicit-def: $vgpr162
                                        ; implicit-def: $vgpr163
                                        ; implicit-def: $vgpr164
                                        ; implicit-def: $vgpr165
                                        ; implicit-def: $vgpr166
                                        ; implicit-def: $vgpr167
                                        ; implicit-def: $vgpr158
                                        ; implicit-def: $vgpr168
	v_add_co_u32 v131, vcc_lo, v111, v9
	v_add_co_ci_u32_e64 v132, null, 0, v112, vcc_lo
	v_add_co_u32 v148, vcc_lo, v113, v9
	v_or_b32_e32 v133, 32, v130
	v_or_b32_e32 v134, 64, v130
	;; [unrolled: 1-line block ×7, first 2 shown]
	s_waitcnt lgkmcnt(0)
	s_cmp_lt_u32 s7, s21
	v_or_b32_e32 v140, 0x100, v130
	s_cselect_b32 s21, 14, 20
	v_or_b32_e32 v141, 0x120, v130
	s_add_u32 s22, s58, s21
	s_addc_u32 s23, s59, 0
	s_cmp_lt_u32 s6, s20
	global_load_ushort v3, v4, s[22:23]
	s_cselect_b32 s20, 12, 18
	v_or_b32_e32 v142, 0x140, v130
	s_add_u32 s20, s58, s20
	s_addc_u32 s21, s59, 0
	v_or_b32_e32 v143, 0x160, v130
	global_load_ushort v7, v4, s[20:21]
	v_cmp_eq_u32_e64 s20, 0, v8
	v_cmp_lt_u32_e64 s21, 1, v8
	v_cmp_lt_u32_e64 s22, 3, v8
	v_or_b32_e32 v144, 0x180, v130
	v_or_b32_e32 v145, 0x1a0, v130
	;; [unrolled: 1-line block ×4, first 2 shown]
	v_add_co_ci_u32_e64 v149, null, 0, v114, vcc_lo
                                        ; implicit-def: $vgpr9_vgpr10
	s_waitcnt vmcnt(1)
	v_mad_u32_u24 v3, v2, v3, v1
	s_waitcnt vmcnt(0)
	v_mad_u64_u32 v[7:8], null, v3, v7, v[0:1]
	v_lshrrev_b32_e32 v3, 3, v7
                                        ; implicit-def: $vgpr7_vgpr8
	v_and_b32_e32 v150, 0x1ffffffc, v3
	s_branch .LBB1251_398
.LBB1251_397:                           ;   in Loop: Header=BB1251_398 Depth=2
	s_or_b32 exec_lo, exec_lo, s23
	s_addk_i32 s66, 0xf000
	s_cmp_lt_u32 s67, s61
	s_mov_b32 s56, s67
	s_cbranch_scc0 .LBB1251_608
.LBB1251_398:                           ;   Parent Loop BB1251_20 Depth=1
                                        ; =>  This Inner Loop Header: Depth=2
	s_add_i32 s67, s56, 0x1000
	s_cmp_gt_u32 s67, s61
	s_cbranch_scc1 .LBB1251_400
; %bb.399:                              ;   in Loop: Header=BB1251_398 Depth=2
	s_lshl_b64 s[24:25], s[56:57], 3
	s_mov_b32 s23, -1
	v_add_co_u32 v45, vcc_lo, v148, s24
	v_add_co_ci_u32_e64 v46, null, s25, v149, vcc_lo
	v_add_co_u32 v47, vcc_lo, 0x800, v45
	v_add_co_ci_u32_e64 v48, null, 0, v46, vcc_lo
	s_clause 0xe
	global_load_dwordx2 v[39:40], v[45:46], off
	global_load_dwordx2 v[41:42], v[45:46], off offset:256
	global_load_dwordx2 v[43:44], v[45:46], off offset:512
	;; [unrolled: 1-line block ×7, first 2 shown]
	global_load_dwordx2 v[69:70], v[47:48], off
	global_load_dwordx2 v[65:66], v[47:48], off offset:256
	global_load_dwordx2 v[61:62], v[47:48], off offset:512
	;; [unrolled: 1-line block ×6, first 2 shown]
	s_movk_i32 s24, 0x1000
	s_cbranch_execz .LBB1251_401
	s_branch .LBB1251_432
.LBB1251_400:                           ;   in Loop: Header=BB1251_398 Depth=2
	s_mov_b32 s23, 0
                                        ; implicit-def: $vgpr39_vgpr40
                                        ; implicit-def: $vgpr41_vgpr42
                                        ; implicit-def: $vgpr43_vgpr44
                                        ; implicit-def: $vgpr49_vgpr50
                                        ; implicit-def: $vgpr55_vgpr56
                                        ; implicit-def: $vgpr59_vgpr60
                                        ; implicit-def: $vgpr63_vgpr64
                                        ; implicit-def: $vgpr67_vgpr68
                                        ; implicit-def: $vgpr69_vgpr70
                                        ; implicit-def: $vgpr65_vgpr66
                                        ; implicit-def: $vgpr61_vgpr62
                                        ; implicit-def: $vgpr57_vgpr58
                                        ; implicit-def: $vgpr53_vgpr54
                                        ; implicit-def: $vgpr51_vgpr52
                                        ; implicit-def: $vgpr45_vgpr46
	s_movk_i32 s24, 0x1000
.LBB1251_401:                           ;   in Loop: Header=BB1251_398 Depth=2
	s_waitcnt vmcnt(13)
	v_mov_b32_e32 v41, v5
	v_mov_b32_e32 v42, v6
	s_lshl_b64 s[24:25], s[56:57], 3
	s_mov_b32 s23, exec_lo
	v_add_co_u32 v47, vcc_lo, v148, s24
	v_mov_b32_e32 v39, v41
	v_add_co_ci_u32_e64 v48, null, s25, v149, vcc_lo
	v_mov_b32_e32 v40, v42
	v_cmpx_gt_u32_e64 s66, v130
	s_cbranch_execz .LBB1251_403
; %bb.402:                              ;   in Loop: Header=BB1251_398 Depth=2
	global_load_dwordx2 v[39:40], v[47:48], off
.LBB1251_403:                           ;   in Loop: Header=BB1251_398 Depth=2
	s_or_b32 exec_lo, exec_lo, s23
	s_mov_b32 s23, exec_lo
	v_cmpx_gt_u32_e64 s66, v133
	s_cbranch_execz .LBB1251_405
; %bb.404:                              ;   in Loop: Header=BB1251_398 Depth=2
	global_load_dwordx2 v[41:42], v[47:48], off offset:256
.LBB1251_405:                           ;   in Loop: Header=BB1251_398 Depth=2
	s_or_b32 exec_lo, exec_lo, s23
	s_waitcnt vmcnt(12)
	v_mov_b32_e32 v44, v6
	v_mov_b32_e32 v43, v5
	s_mov_b32 s23, exec_lo
	v_cmpx_gt_u32_e64 s66, v134
	s_cbranch_execz .LBB1251_407
; %bb.406:                              ;   in Loop: Header=BB1251_398 Depth=2
	global_load_dwordx2 v[43:44], v[47:48], off offset:512
.LBB1251_407:                           ;   in Loop: Header=BB1251_398 Depth=2
	s_or_b32 exec_lo, exec_lo, s23
	s_waitcnt vmcnt(11)
	v_mov_b32_e32 v50, v6
	v_mov_b32_e32 v49, v5
	;; [unrolled: 10-line block ×7, first 2 shown]
	s_mov_b32 s23, exec_lo
	v_cmpx_gt_u32_e64 s66, v140
	s_cbranch_execz .LBB1251_419
; %bb.418:                              ;   in Loop: Header=BB1251_398 Depth=2
	s_waitcnt vmcnt(0)
	v_add_co_u32 v45, vcc_lo, 0x800, v47
	v_add_co_ci_u32_e64 v46, null, 0, v48, vcc_lo
	global_load_dwordx2 v[69:70], v[45:46], off
.LBB1251_419:                           ;   in Loop: Header=BB1251_398 Depth=2
	s_or_b32 exec_lo, exec_lo, s23
	s_waitcnt vmcnt(5)
	v_mov_b32_e32 v66, v6
	v_mov_b32_e32 v65, v5
	s_mov_b32 s23, exec_lo
	v_cmpx_gt_u32_e64 s66, v141
	s_cbranch_execz .LBB1251_421
; %bb.420:                              ;   in Loop: Header=BB1251_398 Depth=2
	s_waitcnt vmcnt(0)
	v_add_co_u32 v45, vcc_lo, 0x800, v47
	v_add_co_ci_u32_e64 v46, null, 0, v48, vcc_lo
	global_load_dwordx2 v[65:66], v[45:46], off offset:256
.LBB1251_421:                           ;   in Loop: Header=BB1251_398 Depth=2
	s_or_b32 exec_lo, exec_lo, s23
	s_waitcnt vmcnt(4)
	v_mov_b32_e32 v62, v6
	v_mov_b32_e32 v61, v5
	s_mov_b32 s23, exec_lo
	v_cmpx_gt_u32_e64 s66, v142
	s_cbranch_execz .LBB1251_423
; %bb.422:                              ;   in Loop: Header=BB1251_398 Depth=2
	s_waitcnt vmcnt(0)
	v_add_co_u32 v45, vcc_lo, 0x800, v47
	v_add_co_ci_u32_e64 v46, null, 0, v48, vcc_lo
	global_load_dwordx2 v[61:62], v[45:46], off offset:512
.LBB1251_423:                           ;   in Loop: Header=BB1251_398 Depth=2
	;; [unrolled: 13-line block ×5, first 2 shown]
	s_or_b32 exec_lo, exec_lo, s23
	s_waitcnt vmcnt(0)
	v_mov_b32_e32 v46, v6
	v_mov_b32_e32 v45, v5
	s_mov_b32 s23, exec_lo
	v_cmpx_gt_u32_e64 s66, v146
	s_cbranch_execz .LBB1251_431
; %bb.430:                              ;   in Loop: Header=BB1251_398 Depth=2
	v_add_co_u32 v45, vcc_lo, 0x800, v47
	v_add_co_ci_u32_e64 v46, null, 0, v48, vcc_lo
	global_load_dwordx2 v[45:46], v[45:46], off offset:1536
.LBB1251_431:                           ;   in Loop: Header=BB1251_398 Depth=2
	s_or_b32 exec_lo, exec_lo, s23
	v_cmp_gt_u32_e64 s23, s66, v147
	s_sub_i32 s24, s61, s56
.LBB1251_432:                           ;   in Loop: Header=BB1251_398 Depth=2
	v_mov_b32_e32 v48, v6
	v_mov_b32_e32 v169, s66
	;; [unrolled: 1-line block ×3, first 2 shown]
	s_and_saveexec_b32 s25, s23
	s_cbranch_execz .LBB1251_434
; %bb.433:                              ;   in Loop: Header=BB1251_398 Depth=2
	s_lshl_b64 s[26:27], s[56:57], 3
	v_mov_b32_e32 v169, s24
	v_add_co_u32 v3, vcc_lo, v148, s26
	v_add_co_ci_u32_e64 v48, null, s27, v149, vcc_lo
	v_add_co_u32 v47, vcc_lo, 0x800, v3
	v_add_co_ci_u32_e64 v48, null, 0, v48, vcc_lo
	global_load_dwordx2 v[47:48], v[47:48], off offset:1792
.LBB1251_434:                           ;   in Loop: Header=BB1251_398 Depth=2
	s_or_b32 exec_lo, exec_lo, s25
	s_waitcnt vmcnt(14)
	v_cmp_lt_i64_e32 vcc_lo, -1, v[39:40]
	v_ashrrev_i32_e32 v71, 31, v40
	ds_write2_b32 v100, v4, v4 offset0:136 offset1:137
	ds_write2_b32 v100, v4, v4 offset0:138 offset1:139
	ds_write_b32 v100, v4 offset:560
	s_waitcnt vmcnt(0) lgkmcnt(0)
	s_barrier
	v_cndmask_b32_e64 v3, -1, 0x80000000, vcc_lo
	v_xor_b32_e32 v39, v71, v39
	buffer_gl0_inv
	; wave barrier
	v_xor_b32_e32 v40, v3, v40
	v_cmp_ne_u64_e32 vcc_lo, s[46:47], v[39:40]
	v_cndmask_b32_e32 v72, 0x80000000, v40, vcc_lo
	v_cndmask_b32_e32 v71, 0, v39, vcc_lo
	v_lshrrev_b64 v[71:72], s63, v[71:72]
	v_and_b32_e32 v72, s65, v71
	v_and_b32_e32 v3, 1, v72
	v_lshlrev_b32_e32 v71, 30, v72
	v_lshlrev_b32_e32 v73, 29, v72
	;; [unrolled: 1-line block ×4, first 2 shown]
	v_add_co_u32 v3, s23, v3, -1
	v_cndmask_b32_e64 v74, 0, 1, s23
	v_not_b32_e32 v173, v71
	v_cmp_gt_i32_e64 s23, 0, v71
	v_not_b32_e32 v71, v73
	v_lshlrev_b32_e32 v172, 26, v72
	v_cmp_ne_u32_e32 vcc_lo, 0, v74
	v_ashrrev_i32_e32 v173, 31, v173
	v_lshlrev_b32_e32 v74, 25, v72
	v_ashrrev_i32_e32 v71, 31, v71
	v_mul_u32_u24_e32 v72, 36, v72
	v_xor_b32_e32 v3, vcc_lo, v3
	v_cmp_gt_i32_e32 vcc_lo, 0, v73
	v_not_b32_e32 v73, v170
	v_xor_b32_e32 v173, s23, v173
	v_cmp_gt_i32_e64 s23, 0, v170
	v_and_b32_e32 v3, exec_lo, v3
	v_not_b32_e32 v170, v171
	v_ashrrev_i32_e32 v73, 31, v73
	v_xor_b32_e32 v71, vcc_lo, v71
	v_cmp_gt_i32_e32 vcc_lo, 0, v171
	v_and_b32_e32 v3, v3, v173
	v_not_b32_e32 v171, v172
	v_ashrrev_i32_e32 v170, 31, v170
	v_xor_b32_e32 v73, s23, v73
	v_cmp_gt_i32_e64 s23, 0, v172
	v_and_b32_e32 v3, v3, v71
	v_not_b32_e32 v71, v74
	v_ashrrev_i32_e32 v171, 31, v171
	v_xor_b32_e32 v170, vcc_lo, v170
	v_cmp_gt_i32_e32 vcc_lo, 0, v74
	v_and_b32_e32 v3, v3, v73
	v_ashrrev_i32_e32 v71, 31, v71
	v_xor_b32_e32 v73, s23, v171
	v_and_b32_e32 v3, v3, v170
	v_xor_b32_e32 v71, vcc_lo, v71
	v_add_nc_u32_e32 v170, v150, v72
	v_and_b32_e32 v3, v3, v73
	v_and_b32_e32 v71, v3, v71
	v_mbcnt_lo_u32_b32 v3, v71, 0
	v_cmp_ne_u32_e64 s23, 0, v71
	v_cmp_eq_u32_e32 vcc_lo, 0, v3
	s_and_b32 s24, s23, vcc_lo
	s_and_saveexec_b32 s23, s24
; %bb.435:                              ;   in Loop: Header=BB1251_398 Depth=2
	v_bcnt_u32_b32 v71, v71, 0
	ds_write_b32 v170, v71 offset:544
; %bb.436:                              ;   in Loop: Header=BB1251_398 Depth=2
	s_or_b32 exec_lo, exec_lo, s23
	v_cmp_lt_i64_e32 vcc_lo, -1, v[41:42]
	v_ashrrev_i32_e32 v72, 31, v42
	; wave barrier
	v_xor_b32_e32 v41, v72, v41
	v_cndmask_b32_e64 v71, -1, 0x80000000, vcc_lo
	v_xor_b32_e32 v42, v71, v42
	v_cmp_ne_u64_e32 vcc_lo, s[46:47], v[41:42]
	v_cndmask_b32_e32 v72, 0x80000000, v42, vcc_lo
	v_cndmask_b32_e32 v71, 0, v41, vcc_lo
	v_lshrrev_b64 v[71:72], s63, v[71:72]
	v_and_b32_e32 v72, s65, v71
	v_and_b32_e32 v71, 1, v72
	v_lshlrev_b32_e32 v73, 30, v72
	v_lshlrev_b32_e32 v74, 29, v72
	v_lshlrev_b32_e32 v172, 28, v72
	v_lshlrev_b32_e32 v173, 27, v72
	v_add_co_u32 v71, s23, v71, -1
	v_cndmask_b32_e64 v171, 0, 1, s23
	v_not_b32_e32 v175, v73
	v_cmp_gt_i32_e64 s23, 0, v73
	v_not_b32_e32 v73, v74
	v_lshlrev_b32_e32 v174, 26, v72
	v_cmp_ne_u32_e32 vcc_lo, 0, v171
	v_ashrrev_i32_e32 v175, 31, v175
	v_lshlrev_b32_e32 v171, 25, v72
	v_ashrrev_i32_e32 v73, 31, v73
	v_xor_b32_e32 v71, vcc_lo, v71
	v_cmp_gt_i32_e32 vcc_lo, 0, v74
	v_not_b32_e32 v74, v172
	v_xor_b32_e32 v175, s23, v175
	v_cmp_gt_i32_e64 s23, 0, v172
	v_and_b32_e32 v71, exec_lo, v71
	v_not_b32_e32 v172, v173
	v_ashrrev_i32_e32 v74, 31, v74
	v_xor_b32_e32 v73, vcc_lo, v73
	v_cmp_gt_i32_e32 vcc_lo, 0, v173
	v_and_b32_e32 v71, v71, v175
	v_not_b32_e32 v173, v174
	v_ashrrev_i32_e32 v172, 31, v172
	v_xor_b32_e32 v74, s23, v74
	v_cmp_gt_i32_e64 s23, 0, v174
	v_and_b32_e32 v71, v71, v73
	v_not_b32_e32 v73, v171
	v_ashrrev_i32_e32 v173, 31, v173
	v_xor_b32_e32 v172, vcc_lo, v172
	v_cmp_gt_i32_e32 vcc_lo, 0, v171
	v_and_b32_e32 v71, v71, v74
	v_ashrrev_i32_e32 v73, 31, v73
	v_xor_b32_e32 v74, s23, v173
	v_mad_u32_u24 v171, v72, 36, v150
	v_mul_u32_u24_e32 v72, 36, v72
	v_and_b32_e32 v71, v71, v172
	v_xor_b32_e32 v73, vcc_lo, v73
	ds_read_b32 v171, v171 offset:544
	v_add_nc_u32_e32 v173, v150, v72
	v_and_b32_e32 v71, v71, v74
	; wave barrier
	v_and_b32_e32 v71, v71, v73
	v_mbcnt_lo_u32_b32 v172, v71, 0
	v_cmp_ne_u32_e64 s23, 0, v71
	v_cmp_eq_u32_e32 vcc_lo, 0, v172
	s_and_b32 s24, s23, vcc_lo
	s_and_saveexec_b32 s23, s24
	s_cbranch_execz .LBB1251_438
; %bb.437:                              ;   in Loop: Header=BB1251_398 Depth=2
	s_waitcnt lgkmcnt(0)
	v_bcnt_u32_b32 v71, v71, v171
	ds_write_b32 v173, v71 offset:544
.LBB1251_438:                           ;   in Loop: Header=BB1251_398 Depth=2
	s_or_b32 exec_lo, exec_lo, s23
	v_cmp_lt_i64_e32 vcc_lo, -1, v[43:44]
	v_ashrrev_i32_e32 v72, 31, v44
	; wave barrier
	v_xor_b32_e32 v43, v72, v43
	v_cndmask_b32_e64 v71, -1, 0x80000000, vcc_lo
	v_xor_b32_e32 v44, v71, v44
	v_cmp_ne_u64_e32 vcc_lo, s[46:47], v[43:44]
	v_cndmask_b32_e32 v72, 0x80000000, v44, vcc_lo
	v_cndmask_b32_e32 v71, 0, v43, vcc_lo
	v_lshrrev_b64 v[71:72], s63, v[71:72]
	v_and_b32_e32 v72, s65, v71
	v_and_b32_e32 v71, 1, v72
	v_lshlrev_b32_e32 v73, 30, v72
	v_lshlrev_b32_e32 v74, 29, v72
	v_lshlrev_b32_e32 v175, 28, v72
	v_lshlrev_b32_e32 v176, 27, v72
	v_add_co_u32 v71, s23, v71, -1
	v_cndmask_b32_e64 v174, 0, 1, s23
	v_not_b32_e32 v178, v73
	v_cmp_gt_i32_e64 s23, 0, v73
	v_not_b32_e32 v73, v74
	v_lshlrev_b32_e32 v177, 26, v72
	v_cmp_ne_u32_e32 vcc_lo, 0, v174
	v_ashrrev_i32_e32 v178, 31, v178
	v_lshlrev_b32_e32 v174, 25, v72
	v_ashrrev_i32_e32 v73, 31, v73
	v_xor_b32_e32 v71, vcc_lo, v71
	v_cmp_gt_i32_e32 vcc_lo, 0, v74
	v_not_b32_e32 v74, v175
	v_xor_b32_e32 v178, s23, v178
	v_cmp_gt_i32_e64 s23, 0, v175
	v_and_b32_e32 v71, exec_lo, v71
	v_not_b32_e32 v175, v176
	v_ashrrev_i32_e32 v74, 31, v74
	v_xor_b32_e32 v73, vcc_lo, v73
	v_cmp_gt_i32_e32 vcc_lo, 0, v176
	v_and_b32_e32 v71, v71, v178
	v_not_b32_e32 v176, v177
	v_ashrrev_i32_e32 v175, 31, v175
	v_xor_b32_e32 v74, s23, v74
	v_cmp_gt_i32_e64 s23, 0, v177
	v_and_b32_e32 v71, v71, v73
	v_not_b32_e32 v73, v174
	v_ashrrev_i32_e32 v176, 31, v176
	v_xor_b32_e32 v175, vcc_lo, v175
	v_cmp_gt_i32_e32 vcc_lo, 0, v174
	v_and_b32_e32 v71, v71, v74
	v_ashrrev_i32_e32 v73, 31, v73
	v_xor_b32_e32 v74, s23, v176
	v_mad_u32_u24 v174, v72, 36, v150
	v_mul_u32_u24_e32 v72, 36, v72
	v_and_b32_e32 v71, v71, v175
	v_xor_b32_e32 v73, vcc_lo, v73
	ds_read_b32 v174, v174 offset:544
	v_add_nc_u32_e32 v176, v150, v72
	v_and_b32_e32 v71, v71, v74
	; wave barrier
	v_and_b32_e32 v71, v71, v73
	v_mbcnt_lo_u32_b32 v175, v71, 0
	v_cmp_ne_u32_e64 s23, 0, v71
	v_cmp_eq_u32_e32 vcc_lo, 0, v175
	s_and_b32 s24, s23, vcc_lo
	s_and_saveexec_b32 s23, s24
	s_cbranch_execz .LBB1251_440
; %bb.439:                              ;   in Loop: Header=BB1251_398 Depth=2
	s_waitcnt lgkmcnt(0)
	v_bcnt_u32_b32 v71, v71, v174
	ds_write_b32 v176, v71 offset:544
.LBB1251_440:                           ;   in Loop: Header=BB1251_398 Depth=2
	s_or_b32 exec_lo, exec_lo, s23
	v_cmp_lt_i64_e32 vcc_lo, -1, v[49:50]
	v_ashrrev_i32_e32 v72, 31, v50
	; wave barrier
	v_xor_b32_e32 v49, v72, v49
	v_cndmask_b32_e64 v71, -1, 0x80000000, vcc_lo
	v_xor_b32_e32 v50, v71, v50
	v_cmp_ne_u64_e32 vcc_lo, s[46:47], v[49:50]
	v_cndmask_b32_e32 v72, 0x80000000, v50, vcc_lo
	v_cndmask_b32_e32 v71, 0, v49, vcc_lo
	v_lshrrev_b64 v[71:72], s63, v[71:72]
	v_and_b32_e32 v72, s65, v71
	v_and_b32_e32 v71, 1, v72
	v_lshlrev_b32_e32 v73, 30, v72
	v_lshlrev_b32_e32 v74, 29, v72
	;; [unrolled: 1-line block ×4, first 2 shown]
	v_add_co_u32 v71, s23, v71, -1
	v_cndmask_b32_e64 v177, 0, 1, s23
	v_not_b32_e32 v181, v73
	v_cmp_gt_i32_e64 s23, 0, v73
	v_not_b32_e32 v73, v74
	v_lshlrev_b32_e32 v180, 26, v72
	v_cmp_ne_u32_e32 vcc_lo, 0, v177
	v_ashrrev_i32_e32 v181, 31, v181
	v_lshlrev_b32_e32 v177, 25, v72
	v_ashrrev_i32_e32 v73, 31, v73
	v_xor_b32_e32 v71, vcc_lo, v71
	v_cmp_gt_i32_e32 vcc_lo, 0, v74
	v_not_b32_e32 v74, v178
	v_xor_b32_e32 v181, s23, v181
	v_cmp_gt_i32_e64 s23, 0, v178
	v_and_b32_e32 v71, exec_lo, v71
	v_not_b32_e32 v178, v179
	v_ashrrev_i32_e32 v74, 31, v74
	v_xor_b32_e32 v73, vcc_lo, v73
	v_cmp_gt_i32_e32 vcc_lo, 0, v179
	v_and_b32_e32 v71, v71, v181
	v_not_b32_e32 v179, v180
	v_ashrrev_i32_e32 v178, 31, v178
	v_xor_b32_e32 v74, s23, v74
	v_cmp_gt_i32_e64 s23, 0, v180
	v_and_b32_e32 v71, v71, v73
	v_not_b32_e32 v73, v177
	v_ashrrev_i32_e32 v179, 31, v179
	v_xor_b32_e32 v178, vcc_lo, v178
	v_cmp_gt_i32_e32 vcc_lo, 0, v177
	v_and_b32_e32 v71, v71, v74
	v_ashrrev_i32_e32 v73, 31, v73
	v_xor_b32_e32 v74, s23, v179
	v_mad_u32_u24 v177, v72, 36, v150
	v_mul_u32_u24_e32 v72, 36, v72
	v_and_b32_e32 v71, v71, v178
	v_xor_b32_e32 v73, vcc_lo, v73
	ds_read_b32 v177, v177 offset:544
	v_add_nc_u32_e32 v179, v150, v72
	v_and_b32_e32 v71, v71, v74
	; wave barrier
	v_and_b32_e32 v71, v71, v73
	v_mbcnt_lo_u32_b32 v178, v71, 0
	v_cmp_ne_u32_e64 s23, 0, v71
	v_cmp_eq_u32_e32 vcc_lo, 0, v178
	s_and_b32 s24, s23, vcc_lo
	s_and_saveexec_b32 s23, s24
	s_cbranch_execz .LBB1251_442
; %bb.441:                              ;   in Loop: Header=BB1251_398 Depth=2
	s_waitcnt lgkmcnt(0)
	v_bcnt_u32_b32 v71, v71, v177
	ds_write_b32 v179, v71 offset:544
.LBB1251_442:                           ;   in Loop: Header=BB1251_398 Depth=2
	s_or_b32 exec_lo, exec_lo, s23
	v_cmp_lt_i64_e32 vcc_lo, -1, v[55:56]
	v_ashrrev_i32_e32 v72, 31, v56
	; wave barrier
	v_xor_b32_e32 v55, v72, v55
	v_cndmask_b32_e64 v71, -1, 0x80000000, vcc_lo
	v_xor_b32_e32 v56, v71, v56
	v_cmp_ne_u64_e32 vcc_lo, s[46:47], v[55:56]
	v_cndmask_b32_e32 v72, 0x80000000, v56, vcc_lo
	v_cndmask_b32_e32 v71, 0, v55, vcc_lo
	v_lshrrev_b64 v[71:72], s63, v[71:72]
	v_and_b32_e32 v72, s65, v71
	v_and_b32_e32 v71, 1, v72
	v_lshlrev_b32_e32 v73, 30, v72
	v_lshlrev_b32_e32 v74, 29, v72
	;; [unrolled: 1-line block ×4, first 2 shown]
	v_add_co_u32 v71, s23, v71, -1
	v_cndmask_b32_e64 v180, 0, 1, s23
	v_not_b32_e32 v184, v73
	v_cmp_gt_i32_e64 s23, 0, v73
	v_not_b32_e32 v73, v74
	v_lshlrev_b32_e32 v183, 26, v72
	v_cmp_ne_u32_e32 vcc_lo, 0, v180
	v_ashrrev_i32_e32 v184, 31, v184
	v_lshlrev_b32_e32 v180, 25, v72
	v_ashrrev_i32_e32 v73, 31, v73
	v_xor_b32_e32 v71, vcc_lo, v71
	v_cmp_gt_i32_e32 vcc_lo, 0, v74
	v_not_b32_e32 v74, v181
	v_xor_b32_e32 v184, s23, v184
	v_cmp_gt_i32_e64 s23, 0, v181
	v_and_b32_e32 v71, exec_lo, v71
	v_not_b32_e32 v181, v182
	v_ashrrev_i32_e32 v74, 31, v74
	v_xor_b32_e32 v73, vcc_lo, v73
	v_cmp_gt_i32_e32 vcc_lo, 0, v182
	v_and_b32_e32 v71, v71, v184
	v_not_b32_e32 v182, v183
	v_ashrrev_i32_e32 v181, 31, v181
	v_xor_b32_e32 v74, s23, v74
	v_cmp_gt_i32_e64 s23, 0, v183
	v_and_b32_e32 v71, v71, v73
	v_not_b32_e32 v73, v180
	v_ashrrev_i32_e32 v182, 31, v182
	v_xor_b32_e32 v181, vcc_lo, v181
	v_cmp_gt_i32_e32 vcc_lo, 0, v180
	v_and_b32_e32 v71, v71, v74
	v_ashrrev_i32_e32 v73, 31, v73
	v_xor_b32_e32 v74, s23, v182
	v_mad_u32_u24 v180, v72, 36, v150
	v_mul_u32_u24_e32 v72, 36, v72
	v_and_b32_e32 v71, v71, v181
	v_xor_b32_e32 v73, vcc_lo, v73
	ds_read_b32 v180, v180 offset:544
	v_add_nc_u32_e32 v182, v150, v72
	v_and_b32_e32 v71, v71, v74
	; wave barrier
	v_and_b32_e32 v71, v71, v73
	v_mbcnt_lo_u32_b32 v181, v71, 0
	v_cmp_ne_u32_e64 s23, 0, v71
	v_cmp_eq_u32_e32 vcc_lo, 0, v181
	s_and_b32 s24, s23, vcc_lo
	s_and_saveexec_b32 s23, s24
	s_cbranch_execz .LBB1251_444
; %bb.443:                              ;   in Loop: Header=BB1251_398 Depth=2
	s_waitcnt lgkmcnt(0)
	v_bcnt_u32_b32 v71, v71, v180
	ds_write_b32 v182, v71 offset:544
.LBB1251_444:                           ;   in Loop: Header=BB1251_398 Depth=2
	s_or_b32 exec_lo, exec_lo, s23
	v_cmp_lt_i64_e32 vcc_lo, -1, v[59:60]
	v_ashrrev_i32_e32 v72, 31, v60
	; wave barrier
	v_xor_b32_e32 v59, v72, v59
	v_cndmask_b32_e64 v71, -1, 0x80000000, vcc_lo
	v_xor_b32_e32 v60, v71, v60
	v_cmp_ne_u64_e32 vcc_lo, s[46:47], v[59:60]
	v_cndmask_b32_e32 v72, 0x80000000, v60, vcc_lo
	v_cndmask_b32_e32 v71, 0, v59, vcc_lo
	v_lshrrev_b64 v[71:72], s63, v[71:72]
	v_and_b32_e32 v72, s65, v71
	v_and_b32_e32 v71, 1, v72
	v_lshlrev_b32_e32 v73, 30, v72
	v_lshlrev_b32_e32 v74, 29, v72
	;; [unrolled: 1-line block ×4, first 2 shown]
	v_add_co_u32 v71, s23, v71, -1
	v_cndmask_b32_e64 v183, 0, 1, s23
	v_not_b32_e32 v187, v73
	v_cmp_gt_i32_e64 s23, 0, v73
	v_not_b32_e32 v73, v74
	v_lshlrev_b32_e32 v186, 26, v72
	v_cmp_ne_u32_e32 vcc_lo, 0, v183
	v_ashrrev_i32_e32 v187, 31, v187
	v_lshlrev_b32_e32 v183, 25, v72
	v_ashrrev_i32_e32 v73, 31, v73
	v_xor_b32_e32 v71, vcc_lo, v71
	v_cmp_gt_i32_e32 vcc_lo, 0, v74
	v_not_b32_e32 v74, v184
	v_xor_b32_e32 v187, s23, v187
	v_cmp_gt_i32_e64 s23, 0, v184
	v_and_b32_e32 v71, exec_lo, v71
	v_not_b32_e32 v184, v185
	v_ashrrev_i32_e32 v74, 31, v74
	v_xor_b32_e32 v73, vcc_lo, v73
	v_cmp_gt_i32_e32 vcc_lo, 0, v185
	v_and_b32_e32 v71, v71, v187
	v_not_b32_e32 v185, v186
	v_ashrrev_i32_e32 v184, 31, v184
	v_xor_b32_e32 v74, s23, v74
	v_cmp_gt_i32_e64 s23, 0, v186
	v_and_b32_e32 v71, v71, v73
	v_not_b32_e32 v73, v183
	v_ashrrev_i32_e32 v185, 31, v185
	v_xor_b32_e32 v184, vcc_lo, v184
	v_cmp_gt_i32_e32 vcc_lo, 0, v183
	v_and_b32_e32 v71, v71, v74
	v_ashrrev_i32_e32 v73, 31, v73
	v_xor_b32_e32 v74, s23, v185
	v_mad_u32_u24 v183, v72, 36, v150
	v_mul_u32_u24_e32 v72, 36, v72
	v_and_b32_e32 v71, v71, v184
	v_xor_b32_e32 v73, vcc_lo, v73
	ds_read_b32 v183, v183 offset:544
	v_add_nc_u32_e32 v185, v150, v72
	v_and_b32_e32 v71, v71, v74
	; wave barrier
	v_and_b32_e32 v71, v71, v73
	v_mbcnt_lo_u32_b32 v184, v71, 0
	v_cmp_ne_u32_e64 s23, 0, v71
	v_cmp_eq_u32_e32 vcc_lo, 0, v184
	s_and_b32 s24, s23, vcc_lo
	s_and_saveexec_b32 s23, s24
	s_cbranch_execz .LBB1251_446
; %bb.445:                              ;   in Loop: Header=BB1251_398 Depth=2
	s_waitcnt lgkmcnt(0)
	v_bcnt_u32_b32 v71, v71, v183
	ds_write_b32 v185, v71 offset:544
.LBB1251_446:                           ;   in Loop: Header=BB1251_398 Depth=2
	s_or_b32 exec_lo, exec_lo, s23
	v_cmp_lt_i64_e32 vcc_lo, -1, v[63:64]
	v_ashrrev_i32_e32 v72, 31, v64
	; wave barrier
	v_xor_b32_e32 v63, v72, v63
	v_cndmask_b32_e64 v71, -1, 0x80000000, vcc_lo
	v_xor_b32_e32 v64, v71, v64
	v_cmp_ne_u64_e32 vcc_lo, s[46:47], v[63:64]
	v_cndmask_b32_e32 v72, 0x80000000, v64, vcc_lo
	v_cndmask_b32_e32 v71, 0, v63, vcc_lo
	v_lshrrev_b64 v[71:72], s63, v[71:72]
	v_and_b32_e32 v72, s65, v71
	v_and_b32_e32 v71, 1, v72
	v_lshlrev_b32_e32 v73, 30, v72
	v_lshlrev_b32_e32 v74, 29, v72
	;; [unrolled: 1-line block ×4, first 2 shown]
	v_add_co_u32 v71, s23, v71, -1
	v_cndmask_b32_e64 v186, 0, 1, s23
	v_not_b32_e32 v190, v73
	v_cmp_gt_i32_e64 s23, 0, v73
	v_not_b32_e32 v73, v74
	v_lshlrev_b32_e32 v189, 26, v72
	v_cmp_ne_u32_e32 vcc_lo, 0, v186
	v_ashrrev_i32_e32 v190, 31, v190
	v_lshlrev_b32_e32 v186, 25, v72
	v_ashrrev_i32_e32 v73, 31, v73
	v_xor_b32_e32 v71, vcc_lo, v71
	v_cmp_gt_i32_e32 vcc_lo, 0, v74
	v_not_b32_e32 v74, v187
	v_xor_b32_e32 v190, s23, v190
	v_cmp_gt_i32_e64 s23, 0, v187
	v_and_b32_e32 v71, exec_lo, v71
	v_not_b32_e32 v187, v188
	v_ashrrev_i32_e32 v74, 31, v74
	v_xor_b32_e32 v73, vcc_lo, v73
	v_cmp_gt_i32_e32 vcc_lo, 0, v188
	v_and_b32_e32 v71, v71, v190
	v_not_b32_e32 v188, v189
	v_ashrrev_i32_e32 v187, 31, v187
	v_xor_b32_e32 v74, s23, v74
	v_cmp_gt_i32_e64 s23, 0, v189
	v_and_b32_e32 v71, v71, v73
	v_not_b32_e32 v73, v186
	v_ashrrev_i32_e32 v188, 31, v188
	v_xor_b32_e32 v187, vcc_lo, v187
	v_cmp_gt_i32_e32 vcc_lo, 0, v186
	v_and_b32_e32 v71, v71, v74
	v_ashrrev_i32_e32 v73, 31, v73
	v_xor_b32_e32 v74, s23, v188
	v_mad_u32_u24 v186, v72, 36, v150
	v_mul_u32_u24_e32 v72, 36, v72
	v_and_b32_e32 v71, v71, v187
	v_xor_b32_e32 v73, vcc_lo, v73
	ds_read_b32 v186, v186 offset:544
	v_add_nc_u32_e32 v188, v150, v72
	v_and_b32_e32 v71, v71, v74
	; wave barrier
	v_and_b32_e32 v71, v71, v73
	v_mbcnt_lo_u32_b32 v187, v71, 0
	v_cmp_ne_u32_e64 s23, 0, v71
	v_cmp_eq_u32_e32 vcc_lo, 0, v187
	s_and_b32 s24, s23, vcc_lo
	s_and_saveexec_b32 s23, s24
	s_cbranch_execz .LBB1251_448
; %bb.447:                              ;   in Loop: Header=BB1251_398 Depth=2
	s_waitcnt lgkmcnt(0)
	v_bcnt_u32_b32 v71, v71, v186
	ds_write_b32 v188, v71 offset:544
.LBB1251_448:                           ;   in Loop: Header=BB1251_398 Depth=2
	s_or_b32 exec_lo, exec_lo, s23
	v_cmp_lt_i64_e32 vcc_lo, -1, v[67:68]
	v_ashrrev_i32_e32 v72, 31, v68
	; wave barrier
	v_xor_b32_e32 v67, v72, v67
	v_cndmask_b32_e64 v71, -1, 0x80000000, vcc_lo
	v_xor_b32_e32 v68, v71, v68
	v_cmp_ne_u64_e32 vcc_lo, s[46:47], v[67:68]
	v_cndmask_b32_e32 v72, 0x80000000, v68, vcc_lo
	v_cndmask_b32_e32 v71, 0, v67, vcc_lo
	v_lshrrev_b64 v[71:72], s63, v[71:72]
	v_and_b32_e32 v72, s65, v71
	v_and_b32_e32 v71, 1, v72
	v_lshlrev_b32_e32 v73, 30, v72
	v_lshlrev_b32_e32 v74, 29, v72
	;; [unrolled: 1-line block ×4, first 2 shown]
	v_add_co_u32 v71, s23, v71, -1
	v_cndmask_b32_e64 v189, 0, 1, s23
	v_not_b32_e32 v193, v73
	v_cmp_gt_i32_e64 s23, 0, v73
	v_not_b32_e32 v73, v74
	v_lshlrev_b32_e32 v192, 26, v72
	v_cmp_ne_u32_e32 vcc_lo, 0, v189
	v_ashrrev_i32_e32 v193, 31, v193
	v_lshlrev_b32_e32 v189, 25, v72
	v_ashrrev_i32_e32 v73, 31, v73
	v_xor_b32_e32 v71, vcc_lo, v71
	v_cmp_gt_i32_e32 vcc_lo, 0, v74
	v_not_b32_e32 v74, v190
	v_xor_b32_e32 v193, s23, v193
	v_cmp_gt_i32_e64 s23, 0, v190
	v_and_b32_e32 v71, exec_lo, v71
	v_not_b32_e32 v190, v191
	v_ashrrev_i32_e32 v74, 31, v74
	v_xor_b32_e32 v73, vcc_lo, v73
	v_cmp_gt_i32_e32 vcc_lo, 0, v191
	v_and_b32_e32 v71, v71, v193
	v_not_b32_e32 v191, v192
	v_ashrrev_i32_e32 v190, 31, v190
	v_xor_b32_e32 v74, s23, v74
	v_cmp_gt_i32_e64 s23, 0, v192
	v_and_b32_e32 v71, v71, v73
	v_not_b32_e32 v73, v189
	v_ashrrev_i32_e32 v191, 31, v191
	v_xor_b32_e32 v190, vcc_lo, v190
	v_cmp_gt_i32_e32 vcc_lo, 0, v189
	v_and_b32_e32 v71, v71, v74
	v_ashrrev_i32_e32 v73, 31, v73
	v_xor_b32_e32 v74, s23, v191
	v_mad_u32_u24 v189, v72, 36, v150
	v_mul_u32_u24_e32 v72, 36, v72
	v_and_b32_e32 v71, v71, v190
	v_xor_b32_e32 v73, vcc_lo, v73
	ds_read_b32 v189, v189 offset:544
	v_add_nc_u32_e32 v191, v150, v72
	v_and_b32_e32 v71, v71, v74
	; wave barrier
	v_and_b32_e32 v71, v71, v73
	v_mbcnt_lo_u32_b32 v190, v71, 0
	v_cmp_ne_u32_e64 s23, 0, v71
	v_cmp_eq_u32_e32 vcc_lo, 0, v190
	s_and_b32 s24, s23, vcc_lo
	s_and_saveexec_b32 s23, s24
	s_cbranch_execz .LBB1251_450
; %bb.449:                              ;   in Loop: Header=BB1251_398 Depth=2
	s_waitcnt lgkmcnt(0)
	v_bcnt_u32_b32 v71, v71, v189
	ds_write_b32 v191, v71 offset:544
.LBB1251_450:                           ;   in Loop: Header=BB1251_398 Depth=2
	s_or_b32 exec_lo, exec_lo, s23
	v_cmp_lt_i64_e32 vcc_lo, -1, v[69:70]
	v_ashrrev_i32_e32 v72, 31, v70
	; wave barrier
	v_xor_b32_e32 v69, v72, v69
	v_cndmask_b32_e64 v71, -1, 0x80000000, vcc_lo
	v_xor_b32_e32 v70, v71, v70
	v_cmp_ne_u64_e32 vcc_lo, s[46:47], v[69:70]
	v_cndmask_b32_e32 v72, 0x80000000, v70, vcc_lo
	v_cndmask_b32_e32 v71, 0, v69, vcc_lo
	v_lshrrev_b64 v[71:72], s63, v[71:72]
	v_and_b32_e32 v72, s65, v71
	v_and_b32_e32 v71, 1, v72
	v_lshlrev_b32_e32 v73, 30, v72
	v_lshlrev_b32_e32 v74, 29, v72
	;; [unrolled: 1-line block ×4, first 2 shown]
	v_add_co_u32 v71, s23, v71, -1
	v_cndmask_b32_e64 v192, 0, 1, s23
	v_not_b32_e32 v196, v73
	v_cmp_gt_i32_e64 s23, 0, v73
	v_not_b32_e32 v73, v74
	v_lshlrev_b32_e32 v195, 26, v72
	v_cmp_ne_u32_e32 vcc_lo, 0, v192
	v_ashrrev_i32_e32 v196, 31, v196
	v_lshlrev_b32_e32 v192, 25, v72
	v_ashrrev_i32_e32 v73, 31, v73
	v_xor_b32_e32 v71, vcc_lo, v71
	v_cmp_gt_i32_e32 vcc_lo, 0, v74
	v_not_b32_e32 v74, v193
	v_xor_b32_e32 v196, s23, v196
	v_cmp_gt_i32_e64 s23, 0, v193
	v_and_b32_e32 v71, exec_lo, v71
	v_not_b32_e32 v193, v194
	v_ashrrev_i32_e32 v74, 31, v74
	v_xor_b32_e32 v73, vcc_lo, v73
	v_cmp_gt_i32_e32 vcc_lo, 0, v194
	v_and_b32_e32 v71, v71, v196
	v_not_b32_e32 v194, v195
	v_ashrrev_i32_e32 v193, 31, v193
	v_xor_b32_e32 v74, s23, v74
	v_cmp_gt_i32_e64 s23, 0, v195
	v_and_b32_e32 v71, v71, v73
	v_not_b32_e32 v73, v192
	v_ashrrev_i32_e32 v194, 31, v194
	v_xor_b32_e32 v193, vcc_lo, v193
	v_cmp_gt_i32_e32 vcc_lo, 0, v192
	v_and_b32_e32 v71, v71, v74
	v_ashrrev_i32_e32 v73, 31, v73
	v_xor_b32_e32 v74, s23, v194
	v_mad_u32_u24 v192, v72, 36, v150
	v_mul_u32_u24_e32 v72, 36, v72
	v_and_b32_e32 v71, v71, v193
	v_xor_b32_e32 v73, vcc_lo, v73
	ds_read_b32 v192, v192 offset:544
	v_add_nc_u32_e32 v194, v150, v72
	v_and_b32_e32 v71, v71, v74
	; wave barrier
	v_and_b32_e32 v71, v71, v73
	v_mbcnt_lo_u32_b32 v193, v71, 0
	v_cmp_ne_u32_e64 s23, 0, v71
	v_cmp_eq_u32_e32 vcc_lo, 0, v193
	s_and_b32 s24, s23, vcc_lo
	s_and_saveexec_b32 s23, s24
	s_cbranch_execz .LBB1251_452
; %bb.451:                              ;   in Loop: Header=BB1251_398 Depth=2
	s_waitcnt lgkmcnt(0)
	v_bcnt_u32_b32 v71, v71, v192
	ds_write_b32 v194, v71 offset:544
.LBB1251_452:                           ;   in Loop: Header=BB1251_398 Depth=2
	s_or_b32 exec_lo, exec_lo, s23
	v_cmp_lt_i64_e32 vcc_lo, -1, v[65:66]
	v_ashrrev_i32_e32 v72, 31, v66
	; wave barrier
	v_xor_b32_e32 v65, v72, v65
	v_cndmask_b32_e64 v71, -1, 0x80000000, vcc_lo
	v_xor_b32_e32 v66, v71, v66
	v_cmp_ne_u64_e32 vcc_lo, s[46:47], v[65:66]
	v_cndmask_b32_e32 v72, 0x80000000, v66, vcc_lo
	v_cndmask_b32_e32 v71, 0, v65, vcc_lo
	v_lshrrev_b64 v[71:72], s63, v[71:72]
	v_and_b32_e32 v72, s65, v71
	v_and_b32_e32 v71, 1, v72
	v_lshlrev_b32_e32 v73, 30, v72
	v_lshlrev_b32_e32 v74, 29, v72
	;; [unrolled: 1-line block ×4, first 2 shown]
	v_add_co_u32 v71, s23, v71, -1
	v_cndmask_b32_e64 v195, 0, 1, s23
	v_not_b32_e32 v199, v73
	v_cmp_gt_i32_e64 s23, 0, v73
	v_not_b32_e32 v73, v74
	v_lshlrev_b32_e32 v198, 26, v72
	v_cmp_ne_u32_e32 vcc_lo, 0, v195
	v_ashrrev_i32_e32 v199, 31, v199
	v_lshlrev_b32_e32 v195, 25, v72
	v_ashrrev_i32_e32 v73, 31, v73
	v_xor_b32_e32 v71, vcc_lo, v71
	v_cmp_gt_i32_e32 vcc_lo, 0, v74
	v_not_b32_e32 v74, v196
	v_xor_b32_e32 v199, s23, v199
	v_cmp_gt_i32_e64 s23, 0, v196
	v_and_b32_e32 v71, exec_lo, v71
	v_not_b32_e32 v196, v197
	v_ashrrev_i32_e32 v74, 31, v74
	v_xor_b32_e32 v73, vcc_lo, v73
	v_cmp_gt_i32_e32 vcc_lo, 0, v197
	v_and_b32_e32 v71, v71, v199
	v_not_b32_e32 v197, v198
	v_ashrrev_i32_e32 v196, 31, v196
	v_xor_b32_e32 v74, s23, v74
	v_cmp_gt_i32_e64 s23, 0, v198
	v_and_b32_e32 v71, v71, v73
	v_not_b32_e32 v73, v195
	v_ashrrev_i32_e32 v197, 31, v197
	v_xor_b32_e32 v196, vcc_lo, v196
	v_cmp_gt_i32_e32 vcc_lo, 0, v195
	v_and_b32_e32 v71, v71, v74
	v_ashrrev_i32_e32 v73, 31, v73
	v_xor_b32_e32 v74, s23, v197
	v_mad_u32_u24 v195, v72, 36, v150
	v_mul_u32_u24_e32 v72, 36, v72
	v_and_b32_e32 v71, v71, v196
	v_xor_b32_e32 v73, vcc_lo, v73
	ds_read_b32 v195, v195 offset:544
	v_add_nc_u32_e32 v198, v150, v72
	v_and_b32_e32 v71, v71, v74
	; wave barrier
	v_and_b32_e32 v71, v71, v73
	v_mbcnt_lo_u32_b32 v196, v71, 0
	v_cmp_ne_u32_e64 s23, 0, v71
	v_cmp_eq_u32_e32 vcc_lo, 0, v196
	s_and_b32 s24, s23, vcc_lo
	s_and_saveexec_b32 s23, s24
	s_cbranch_execz .LBB1251_454
; %bb.453:                              ;   in Loop: Header=BB1251_398 Depth=2
	s_waitcnt lgkmcnt(0)
	v_bcnt_u32_b32 v71, v71, v195
	ds_write_b32 v198, v71 offset:544
.LBB1251_454:                           ;   in Loop: Header=BB1251_398 Depth=2
	s_or_b32 exec_lo, exec_lo, s23
	v_cmp_lt_i64_e32 vcc_lo, -1, v[61:62]
	v_ashrrev_i32_e32 v72, 31, v62
	; wave barrier
	v_xor_b32_e32 v61, v72, v61
	v_cndmask_b32_e64 v71, -1, 0x80000000, vcc_lo
	v_xor_b32_e32 v62, v71, v62
	v_cmp_ne_u64_e32 vcc_lo, s[46:47], v[61:62]
	v_cndmask_b32_e32 v72, 0x80000000, v62, vcc_lo
	v_cndmask_b32_e32 v71, 0, v61, vcc_lo
	v_lshrrev_b64 v[71:72], s63, v[71:72]
	v_and_b32_e32 v72, s65, v71
	v_and_b32_e32 v71, 1, v72
	v_lshlrev_b32_e32 v73, 30, v72
	v_lshlrev_b32_e32 v74, 29, v72
	;; [unrolled: 1-line block ×4, first 2 shown]
	v_add_co_u32 v71, s23, v71, -1
	v_cndmask_b32_e64 v197, 0, 1, s23
	v_not_b32_e32 v202, v73
	v_cmp_gt_i32_e64 s23, 0, v73
	v_not_b32_e32 v73, v74
	v_lshlrev_b32_e32 v201, 26, v72
	v_cmp_ne_u32_e32 vcc_lo, 0, v197
	v_ashrrev_i32_e32 v202, 31, v202
	v_lshlrev_b32_e32 v197, 25, v72
	v_ashrrev_i32_e32 v73, 31, v73
	v_xor_b32_e32 v71, vcc_lo, v71
	v_cmp_gt_i32_e32 vcc_lo, 0, v74
	v_not_b32_e32 v74, v199
	v_xor_b32_e32 v202, s23, v202
	v_cmp_gt_i32_e64 s23, 0, v199
	v_and_b32_e32 v71, exec_lo, v71
	v_not_b32_e32 v199, v200
	v_ashrrev_i32_e32 v74, 31, v74
	v_xor_b32_e32 v73, vcc_lo, v73
	v_cmp_gt_i32_e32 vcc_lo, 0, v200
	v_and_b32_e32 v71, v71, v202
	v_not_b32_e32 v200, v201
	v_ashrrev_i32_e32 v199, 31, v199
	v_xor_b32_e32 v74, s23, v74
	v_cmp_gt_i32_e64 s23, 0, v201
	v_and_b32_e32 v71, v71, v73
	v_not_b32_e32 v73, v197
	v_ashrrev_i32_e32 v200, 31, v200
	v_xor_b32_e32 v199, vcc_lo, v199
	v_cmp_gt_i32_e32 vcc_lo, 0, v197
	v_and_b32_e32 v71, v71, v74
	v_ashrrev_i32_e32 v73, 31, v73
	v_xor_b32_e32 v74, s23, v200
	v_mad_u32_u24 v197, v72, 36, v150
	v_mul_u32_u24_e32 v72, 36, v72
	v_and_b32_e32 v71, v71, v199
	v_xor_b32_e32 v73, vcc_lo, v73
	ds_read_b32 v197, v197 offset:544
	v_add_nc_u32_e32 v202, v150, v72
	v_and_b32_e32 v71, v71, v74
	; wave barrier
	v_and_b32_e32 v71, v71, v73
	v_mbcnt_lo_u32_b32 v199, v71, 0
	v_cmp_ne_u32_e64 s23, 0, v71
	v_cmp_eq_u32_e32 vcc_lo, 0, v199
	s_and_b32 s24, s23, vcc_lo
	s_and_saveexec_b32 s23, s24
	s_cbranch_execz .LBB1251_456
; %bb.455:                              ;   in Loop: Header=BB1251_398 Depth=2
	s_waitcnt lgkmcnt(0)
	v_bcnt_u32_b32 v71, v71, v197
	ds_write_b32 v202, v71 offset:544
.LBB1251_456:                           ;   in Loop: Header=BB1251_398 Depth=2
	s_or_b32 exec_lo, exec_lo, s23
	v_cmp_lt_i64_e32 vcc_lo, -1, v[57:58]
	v_ashrrev_i32_e32 v72, 31, v58
	; wave barrier
	v_xor_b32_e32 v57, v72, v57
	v_cndmask_b32_e64 v71, -1, 0x80000000, vcc_lo
	v_xor_b32_e32 v58, v71, v58
	v_cmp_ne_u64_e32 vcc_lo, s[46:47], v[57:58]
	v_cndmask_b32_e32 v72, 0x80000000, v58, vcc_lo
	v_cndmask_b32_e32 v71, 0, v57, vcc_lo
	v_lshrrev_b64 v[71:72], s63, v[71:72]
	v_and_b32_e32 v72, s65, v71
	v_and_b32_e32 v71, 1, v72
	v_lshlrev_b32_e32 v73, 30, v72
	v_lshlrev_b32_e32 v74, 29, v72
	;; [unrolled: 1-line block ×4, first 2 shown]
	v_add_co_u32 v71, s23, v71, -1
	v_cndmask_b32_e64 v200, 0, 1, s23
	v_not_b32_e32 v205, v73
	v_cmp_gt_i32_e64 s23, 0, v73
	v_not_b32_e32 v73, v74
	v_lshlrev_b32_e32 v204, 26, v72
	v_cmp_ne_u32_e32 vcc_lo, 0, v200
	v_ashrrev_i32_e32 v205, 31, v205
	v_lshlrev_b32_e32 v200, 25, v72
	v_ashrrev_i32_e32 v73, 31, v73
	v_xor_b32_e32 v71, vcc_lo, v71
	v_cmp_gt_i32_e32 vcc_lo, 0, v74
	v_not_b32_e32 v74, v201
	v_xor_b32_e32 v205, s23, v205
	v_cmp_gt_i32_e64 s23, 0, v201
	v_and_b32_e32 v71, exec_lo, v71
	v_not_b32_e32 v201, v203
	v_ashrrev_i32_e32 v74, 31, v74
	v_xor_b32_e32 v73, vcc_lo, v73
	v_cmp_gt_i32_e32 vcc_lo, 0, v203
	v_and_b32_e32 v71, v71, v205
	v_not_b32_e32 v203, v204
	v_ashrrev_i32_e32 v201, 31, v201
	v_xor_b32_e32 v74, s23, v74
	v_cmp_gt_i32_e64 s23, 0, v204
	v_and_b32_e32 v71, v71, v73
	v_not_b32_e32 v73, v200
	v_ashrrev_i32_e32 v203, 31, v203
	v_xor_b32_e32 v201, vcc_lo, v201
	v_cmp_gt_i32_e32 vcc_lo, 0, v200
	v_and_b32_e32 v71, v71, v74
	v_ashrrev_i32_e32 v73, 31, v73
	v_xor_b32_e32 v74, s23, v203
	v_mad_u32_u24 v200, v72, 36, v150
	v_mul_u32_u24_e32 v72, 36, v72
	v_and_b32_e32 v71, v71, v201
	v_xor_b32_e32 v73, vcc_lo, v73
	ds_read_b32 v200, v200 offset:544
	v_add_nc_u32_e32 v205, v150, v72
	v_and_b32_e32 v71, v71, v74
	; wave barrier
	v_and_b32_e32 v71, v71, v73
	v_mbcnt_lo_u32_b32 v201, v71, 0
	v_cmp_ne_u32_e64 s23, 0, v71
	v_cmp_eq_u32_e32 vcc_lo, 0, v201
	s_and_b32 s24, s23, vcc_lo
	s_and_saveexec_b32 s23, s24
	s_cbranch_execz .LBB1251_458
; %bb.457:                              ;   in Loop: Header=BB1251_398 Depth=2
	s_waitcnt lgkmcnt(0)
	v_bcnt_u32_b32 v71, v71, v200
	ds_write_b32 v205, v71 offset:544
.LBB1251_458:                           ;   in Loop: Header=BB1251_398 Depth=2
	s_or_b32 exec_lo, exec_lo, s23
	v_cmp_lt_i64_e32 vcc_lo, -1, v[53:54]
	v_ashrrev_i32_e32 v72, 31, v54
	; wave barrier
	v_xor_b32_e32 v53, v72, v53
	v_cndmask_b32_e64 v71, -1, 0x80000000, vcc_lo
	v_xor_b32_e32 v54, v71, v54
	v_cmp_ne_u64_e32 vcc_lo, s[46:47], v[53:54]
	v_cndmask_b32_e32 v72, 0x80000000, v54, vcc_lo
	v_cndmask_b32_e32 v71, 0, v53, vcc_lo
	v_lshrrev_b64 v[71:72], s63, v[71:72]
	v_and_b32_e32 v72, s65, v71
	v_and_b32_e32 v71, 1, v72
	v_lshlrev_b32_e32 v73, 30, v72
	v_lshlrev_b32_e32 v74, 29, v72
	;; [unrolled: 1-line block ×4, first 2 shown]
	v_add_co_u32 v71, s23, v71, -1
	v_cndmask_b32_e64 v203, 0, 1, s23
	v_not_b32_e32 v208, v73
	v_cmp_gt_i32_e64 s23, 0, v73
	v_not_b32_e32 v73, v74
	v_lshlrev_b32_e32 v207, 26, v72
	v_cmp_ne_u32_e32 vcc_lo, 0, v203
	v_ashrrev_i32_e32 v208, 31, v208
	v_lshlrev_b32_e32 v203, 25, v72
	v_ashrrev_i32_e32 v73, 31, v73
	v_xor_b32_e32 v71, vcc_lo, v71
	v_cmp_gt_i32_e32 vcc_lo, 0, v74
	v_not_b32_e32 v74, v204
	v_xor_b32_e32 v208, s23, v208
	v_cmp_gt_i32_e64 s23, 0, v204
	v_and_b32_e32 v71, exec_lo, v71
	v_not_b32_e32 v204, v206
	v_ashrrev_i32_e32 v74, 31, v74
	v_xor_b32_e32 v73, vcc_lo, v73
	v_cmp_gt_i32_e32 vcc_lo, 0, v206
	v_and_b32_e32 v71, v71, v208
	v_not_b32_e32 v206, v207
	v_ashrrev_i32_e32 v204, 31, v204
	v_xor_b32_e32 v74, s23, v74
	v_cmp_gt_i32_e64 s23, 0, v207
	v_and_b32_e32 v71, v71, v73
	v_not_b32_e32 v73, v203
	v_ashrrev_i32_e32 v206, 31, v206
	v_xor_b32_e32 v204, vcc_lo, v204
	v_cmp_gt_i32_e32 vcc_lo, 0, v203
	v_and_b32_e32 v71, v71, v74
	v_ashrrev_i32_e32 v73, 31, v73
	v_xor_b32_e32 v74, s23, v206
	v_mad_u32_u24 v203, v72, 36, v150
	v_mul_u32_u24_e32 v72, 36, v72
	v_and_b32_e32 v71, v71, v204
	v_xor_b32_e32 v73, vcc_lo, v73
	ds_read_b32 v203, v203 offset:544
	v_add_nc_u32_e32 v208, v150, v72
	v_and_b32_e32 v71, v71, v74
	; wave barrier
	v_and_b32_e32 v71, v71, v73
	v_mbcnt_lo_u32_b32 v204, v71, 0
	v_cmp_ne_u32_e64 s23, 0, v71
	v_cmp_eq_u32_e32 vcc_lo, 0, v204
	s_and_b32 s24, s23, vcc_lo
	s_and_saveexec_b32 s23, s24
	s_cbranch_execz .LBB1251_460
; %bb.459:                              ;   in Loop: Header=BB1251_398 Depth=2
	s_waitcnt lgkmcnt(0)
	v_bcnt_u32_b32 v71, v71, v203
	ds_write_b32 v208, v71 offset:544
.LBB1251_460:                           ;   in Loop: Header=BB1251_398 Depth=2
	s_or_b32 exec_lo, exec_lo, s23
	v_cmp_lt_i64_e32 vcc_lo, -1, v[51:52]
	v_ashrrev_i32_e32 v72, 31, v52
	; wave barrier
	v_xor_b32_e32 v51, v72, v51
	v_cndmask_b32_e64 v71, -1, 0x80000000, vcc_lo
	v_xor_b32_e32 v52, v71, v52
	v_cmp_ne_u64_e32 vcc_lo, s[46:47], v[51:52]
	v_cndmask_b32_e32 v72, 0x80000000, v52, vcc_lo
	v_cndmask_b32_e32 v71, 0, v51, vcc_lo
	v_lshrrev_b64 v[71:72], s63, v[71:72]
	v_and_b32_e32 v72, s65, v71
	v_and_b32_e32 v71, 1, v72
	v_lshlrev_b32_e32 v73, 30, v72
	v_lshlrev_b32_e32 v74, 29, v72
	;; [unrolled: 1-line block ×4, first 2 shown]
	v_add_co_u32 v71, s23, v71, -1
	v_cndmask_b32_e64 v206, 0, 1, s23
	v_not_b32_e32 v211, v73
	v_cmp_gt_i32_e64 s23, 0, v73
	v_not_b32_e32 v73, v74
	v_lshlrev_b32_e32 v210, 26, v72
	v_cmp_ne_u32_e32 vcc_lo, 0, v206
	v_ashrrev_i32_e32 v211, 31, v211
	v_lshlrev_b32_e32 v206, 25, v72
	v_ashrrev_i32_e32 v73, 31, v73
	v_xor_b32_e32 v71, vcc_lo, v71
	v_cmp_gt_i32_e32 vcc_lo, 0, v74
	v_not_b32_e32 v74, v207
	v_xor_b32_e32 v211, s23, v211
	v_cmp_gt_i32_e64 s23, 0, v207
	v_and_b32_e32 v71, exec_lo, v71
	v_not_b32_e32 v207, v209
	v_ashrrev_i32_e32 v74, 31, v74
	v_xor_b32_e32 v73, vcc_lo, v73
	v_cmp_gt_i32_e32 vcc_lo, 0, v209
	v_and_b32_e32 v71, v71, v211
	v_not_b32_e32 v209, v210
	v_ashrrev_i32_e32 v207, 31, v207
	v_xor_b32_e32 v74, s23, v74
	v_cmp_gt_i32_e64 s23, 0, v210
	v_and_b32_e32 v71, v71, v73
	v_not_b32_e32 v73, v206
	v_ashrrev_i32_e32 v209, 31, v209
	v_xor_b32_e32 v207, vcc_lo, v207
	v_cmp_gt_i32_e32 vcc_lo, 0, v206
	v_and_b32_e32 v71, v71, v74
	v_ashrrev_i32_e32 v73, 31, v73
	v_xor_b32_e32 v74, s23, v209
	v_mad_u32_u24 v206, v72, 36, v150
	v_mul_u32_u24_e32 v72, 36, v72
	v_and_b32_e32 v71, v71, v207
	v_xor_b32_e32 v73, vcc_lo, v73
	ds_read_b32 v206, v206 offset:544
	v_add_nc_u32_e32 v211, v150, v72
	v_and_b32_e32 v71, v71, v74
	; wave barrier
	v_and_b32_e32 v71, v71, v73
	v_mbcnt_lo_u32_b32 v207, v71, 0
	v_cmp_ne_u32_e64 s23, 0, v71
	v_cmp_eq_u32_e32 vcc_lo, 0, v207
	s_and_b32 s24, s23, vcc_lo
	s_and_saveexec_b32 s23, s24
	s_cbranch_execz .LBB1251_462
; %bb.461:                              ;   in Loop: Header=BB1251_398 Depth=2
	s_waitcnt lgkmcnt(0)
	v_bcnt_u32_b32 v71, v71, v206
	ds_write_b32 v211, v71 offset:544
.LBB1251_462:                           ;   in Loop: Header=BB1251_398 Depth=2
	s_or_b32 exec_lo, exec_lo, s23
	v_cmp_lt_i64_e32 vcc_lo, -1, v[45:46]
	v_ashrrev_i32_e32 v72, 31, v46
	; wave barrier
	v_xor_b32_e32 v45, v72, v45
	v_cndmask_b32_e64 v71, -1, 0x80000000, vcc_lo
	v_xor_b32_e32 v46, v71, v46
	v_cmp_ne_u64_e32 vcc_lo, s[46:47], v[45:46]
	v_cndmask_b32_e32 v72, 0x80000000, v46, vcc_lo
	v_cndmask_b32_e32 v71, 0, v45, vcc_lo
	v_lshrrev_b64 v[71:72], s63, v[71:72]
	v_and_b32_e32 v72, s65, v71
	v_and_b32_e32 v71, 1, v72
	v_lshlrev_b32_e32 v73, 30, v72
	v_lshlrev_b32_e32 v74, 29, v72
	v_lshlrev_b32_e32 v210, 28, v72
	v_lshlrev_b32_e32 v212, 27, v72
	v_add_co_u32 v71, s23, v71, -1
	v_cndmask_b32_e64 v209, 0, 1, s23
	v_not_b32_e32 v214, v73
	v_cmp_gt_i32_e64 s23, 0, v73
	v_not_b32_e32 v73, v74
	v_lshlrev_b32_e32 v213, 26, v72
	v_cmp_ne_u32_e32 vcc_lo, 0, v209
	v_ashrrev_i32_e32 v214, 31, v214
	v_lshlrev_b32_e32 v209, 25, v72
	v_ashrrev_i32_e32 v73, 31, v73
	v_xor_b32_e32 v71, vcc_lo, v71
	v_cmp_gt_i32_e32 vcc_lo, 0, v74
	v_not_b32_e32 v74, v210
	v_xor_b32_e32 v214, s23, v214
	v_cmp_gt_i32_e64 s23, 0, v210
	v_and_b32_e32 v71, exec_lo, v71
	v_not_b32_e32 v210, v212
	v_ashrrev_i32_e32 v74, 31, v74
	v_xor_b32_e32 v73, vcc_lo, v73
	v_cmp_gt_i32_e32 vcc_lo, 0, v212
	v_and_b32_e32 v71, v71, v214
	v_not_b32_e32 v212, v213
	v_ashrrev_i32_e32 v210, 31, v210
	v_xor_b32_e32 v74, s23, v74
	v_cmp_gt_i32_e64 s23, 0, v213
	v_and_b32_e32 v71, v71, v73
	v_not_b32_e32 v73, v209
	v_ashrrev_i32_e32 v212, 31, v212
	v_xor_b32_e32 v210, vcc_lo, v210
	v_cmp_gt_i32_e32 vcc_lo, 0, v209
	v_and_b32_e32 v71, v71, v74
	v_ashrrev_i32_e32 v73, 31, v73
	v_xor_b32_e32 v74, s23, v212
	v_mad_u32_u24 v209, v72, 36, v150
	v_mul_u32_u24_e32 v72, 36, v72
	v_and_b32_e32 v71, v71, v210
	v_xor_b32_e32 v73, vcc_lo, v73
	ds_read_b32 v209, v209 offset:544
	v_add_nc_u32_e32 v214, v150, v72
	v_and_b32_e32 v71, v71, v74
	; wave barrier
	v_and_b32_e32 v71, v71, v73
	v_mbcnt_lo_u32_b32 v210, v71, 0
	v_cmp_ne_u32_e64 s23, 0, v71
	v_cmp_eq_u32_e32 vcc_lo, 0, v210
	s_and_b32 s24, s23, vcc_lo
	s_and_saveexec_b32 s23, s24
	s_cbranch_execz .LBB1251_464
; %bb.463:                              ;   in Loop: Header=BB1251_398 Depth=2
	s_waitcnt lgkmcnt(0)
	v_bcnt_u32_b32 v71, v71, v209
	ds_write_b32 v214, v71 offset:544
.LBB1251_464:                           ;   in Loop: Header=BB1251_398 Depth=2
	s_or_b32 exec_lo, exec_lo, s23
	v_cmp_lt_i64_e32 vcc_lo, -1, v[47:48]
	v_ashrrev_i32_e32 v72, 31, v48
	; wave barrier
	v_xor_b32_e32 v47, v72, v47
	v_cndmask_b32_e64 v71, -1, 0x80000000, vcc_lo
	v_xor_b32_e32 v48, v71, v48
	v_cmp_ne_u64_e32 vcc_lo, s[46:47], v[47:48]
	v_cndmask_b32_e32 v72, 0x80000000, v48, vcc_lo
	v_cndmask_b32_e32 v71, 0, v47, vcc_lo
	v_lshrrev_b64 v[71:72], s63, v[71:72]
	v_and_b32_e32 v72, s65, v71
	v_and_b32_e32 v71, 1, v72
	v_lshlrev_b32_e32 v73, 30, v72
	v_lshlrev_b32_e32 v74, 29, v72
	;; [unrolled: 1-line block ×4, first 2 shown]
	v_add_co_u32 v71, s23, v71, -1
	v_cndmask_b32_e64 v212, 0, 1, s23
	v_not_b32_e32 v217, v73
	v_cmp_gt_i32_e64 s23, 0, v73
	v_not_b32_e32 v73, v74
	v_lshlrev_b32_e32 v216, 26, v72
	v_cmp_ne_u32_e32 vcc_lo, 0, v212
	v_ashrrev_i32_e32 v217, 31, v217
	v_lshlrev_b32_e32 v212, 25, v72
	v_ashrrev_i32_e32 v73, 31, v73
	v_xor_b32_e32 v71, vcc_lo, v71
	v_cmp_gt_i32_e32 vcc_lo, 0, v74
	v_not_b32_e32 v74, v213
	v_xor_b32_e32 v217, s23, v217
	v_cmp_gt_i32_e64 s23, 0, v213
	v_and_b32_e32 v71, exec_lo, v71
	v_not_b32_e32 v213, v215
	v_ashrrev_i32_e32 v74, 31, v74
	v_xor_b32_e32 v73, vcc_lo, v73
	v_cmp_gt_i32_e32 vcc_lo, 0, v215
	v_and_b32_e32 v71, v71, v217
	v_not_b32_e32 v215, v216
	v_ashrrev_i32_e32 v213, 31, v213
	v_xor_b32_e32 v74, s23, v74
	v_cmp_gt_i32_e64 s23, 0, v216
	v_and_b32_e32 v71, v71, v73
	v_not_b32_e32 v73, v212
	v_ashrrev_i32_e32 v215, 31, v215
	v_xor_b32_e32 v213, vcc_lo, v213
	v_cmp_gt_i32_e32 vcc_lo, 0, v212
	v_and_b32_e32 v71, v71, v74
	v_ashrrev_i32_e32 v73, 31, v73
	v_xor_b32_e32 v74, s23, v215
	v_mad_u32_u24 v212, v72, 36, v150
	v_mul_u32_u24_e32 v72, 36, v72
	v_and_b32_e32 v71, v71, v213
	v_xor_b32_e32 v73, vcc_lo, v73
	ds_read_b32 v212, v212 offset:544
	v_add_nc_u32_e32 v215, v150, v72
	v_and_b32_e32 v71, v71, v74
	; wave barrier
	v_and_b32_e32 v71, v71, v73
	v_mbcnt_lo_u32_b32 v213, v71, 0
	v_cmp_ne_u32_e64 s23, 0, v71
	v_cmp_eq_u32_e32 vcc_lo, 0, v213
	s_and_b32 s24, s23, vcc_lo
	s_and_saveexec_b32 s23, s24
	s_cbranch_execz .LBB1251_466
; %bb.465:                              ;   in Loop: Header=BB1251_398 Depth=2
	s_waitcnt lgkmcnt(0)
	v_bcnt_u32_b32 v71, v71, v212
	ds_write_b32 v215, v71 offset:544
.LBB1251_466:                           ;   in Loop: Header=BB1251_398 Depth=2
	s_or_b32 exec_lo, exec_lo, s23
	; wave barrier
	s_waitcnt lgkmcnt(0)
	s_barrier
	buffer_gl0_inv
	ds_read2_b32 v[73:74], v100 offset0:136 offset1:137
	ds_read2_b32 v[71:72], v100 offset0:138 offset1:139
	ds_read_b32 v216, v100 offset:560
	s_waitcnt lgkmcnt(1)
	v_add3_u32 v217, v74, v73, v71
	s_waitcnt lgkmcnt(0)
	v_add3_u32 v216, v217, v72, v216
	v_mov_b32_dpp v217, v216 row_shr:1 row_mask:0xf bank_mask:0xf
	v_cndmask_b32_e64 v217, v217, 0, s14
	v_add_nc_u32_e32 v216, v217, v216
	v_mov_b32_dpp v217, v216 row_shr:2 row_mask:0xf bank_mask:0xf
	v_cndmask_b32_e64 v217, 0, v217, s15
	v_add_nc_u32_e32 v216, v216, v217
	;; [unrolled: 3-line block ×4, first 2 shown]
	ds_swizzle_b32 v217, v216 offset:swizzle(BROADCAST,32,15)
	s_waitcnt lgkmcnt(0)
	v_cndmask_b32_e64 v217, v217, 0, s18
	v_add_nc_u32_e32 v216, v216, v217
	s_and_saveexec_b32 s23, s4
; %bb.467:                              ;   in Loop: Header=BB1251_398 Depth=2
	ds_write_b32 v94, v216 offset:512
; %bb.468:                              ;   in Loop: Header=BB1251_398 Depth=2
	s_or_b32 exec_lo, exec_lo, s23
	s_waitcnt lgkmcnt(0)
	s_barrier
	buffer_gl0_inv
	s_and_saveexec_b32 s23, s5
	s_cbranch_execz .LBB1251_470
; %bb.469:                              ;   in Loop: Header=BB1251_398 Depth=2
	ds_read_b32 v217, v101 offset:512
	s_waitcnt lgkmcnt(0)
	v_mov_b32_dpp v218, v217 row_shr:1 row_mask:0xf bank_mask:0xf
	v_cndmask_b32_e64 v218, v218, 0, s20
	v_add_nc_u32_e32 v217, v218, v217
	v_mov_b32_dpp v218, v217 row_shr:2 row_mask:0xf bank_mask:0xf
	v_cndmask_b32_e64 v218, 0, v218, s21
	v_add_nc_u32_e32 v217, v217, v218
	;; [unrolled: 3-line block ×3, first 2 shown]
	ds_write_b32 v101, v217 offset:512
.LBB1251_470:                           ;   in Loop: Header=BB1251_398 Depth=2
	s_or_b32 exec_lo, exec_lo, s23
	v_mov_b32_e32 v217, 0
	s_waitcnt lgkmcnt(0)
	s_barrier
	buffer_gl0_inv
	s_and_saveexec_b32 s23, s11
; %bb.471:                              ;   in Loop: Header=BB1251_398 Depth=2
	ds_read_b32 v217, v94 offset:508
; %bb.472:                              ;   in Loop: Header=BB1251_398 Depth=2
	s_or_b32 exec_lo, exec_lo, s23
	s_waitcnt lgkmcnt(0)
	v_add_nc_u32_e32 v216, v217, v216
	ds_bpermute_b32 v216, v129, v216
	s_waitcnt lgkmcnt(0)
	v_cndmask_b32_e64 v216, v216, v217, s19
	v_cndmask_b32_e64 v216, v216, 0, s12
	v_add_nc_u32_e32 v73, v216, v73
	v_add_nc_u32_e32 v74, v73, v74
	;; [unrolled: 1-line block ×4, first 2 shown]
	ds_write2_b32 v100, v216, v73 offset0:136 offset1:137
	ds_write2_b32 v100, v74, v71 offset0:138 offset1:139
	ds_write_b32 v100, v72 offset:560
	s_waitcnt lgkmcnt(0)
	s_barrier
	buffer_gl0_inv
	ds_read_b32 v71, v170 offset:544
	ds_read_b32 v219, v173 offset:544
	;; [unrolled: 1-line block ×16, first 2 shown]
	s_and_saveexec_b32 s23, s8
	s_cbranch_execz .LBB1251_476
; %bb.473:                              ;   in Loop: Header=BB1251_398 Depth=2
	ds_read_b32 v158, v103 offset:544
	v_mov_b32_e32 v168, 0x1000
	s_and_saveexec_b32 s24, s13
; %bb.474:                              ;   in Loop: Header=BB1251_398 Depth=2
	ds_read_b32 v168, v102 offset:544
; %bb.475:                              ;   in Loop: Header=BB1251_398 Depth=2
	s_or_b32 exec_lo, exec_lo, s24
	s_waitcnt lgkmcnt(0)
	v_sub_nc_u32_e32 v168, v168, v158
.LBB1251_476:                           ;   in Loop: Header=BB1251_398 Depth=2
	s_or_b32 exec_lo, exec_lo, s23
	s_waitcnt lgkmcnt(0)
	s_barrier
	buffer_gl0_inv
	s_and_saveexec_b32 s23, s8
	s_cbranch_execz .LBB1251_478
; %bb.477:                              ;   in Loop: Header=BB1251_398 Depth=2
	ds_read_b32 v194, v75
	s_waitcnt lgkmcnt(0)
	v_sub_nc_u32_e32 v194, v194, v158
	ds_write_b32 v75, v194
.LBB1251_478:                           ;   in Loop: Header=BB1251_398 Depth=2
	s_or_b32 exec_lo, exec_lo, s23
	v_lshlrev_b32_e32 v3, 3, v3
	v_lshlrev_b32_e32 v172, 3, v172
	;; [unrolled: 1-line block ×5, first 2 shown]
	v_lshl_add_u32 v71, v71, 3, v3
	v_lshlrev_b32_e32 v3, 3, v174
	v_lshlrev_b32_e32 v174, 3, v72
	;; [unrolled: 1-line block ×3, first 2 shown]
	v_add3_u32 v72, v172, v171, v194
	ds_write_b64 v71, v[39:40] offset:512
	v_lshlrev_b32_e32 v39, 3, v177
	v_lshlrev_b32_e32 v40, 3, v218
	;; [unrolled: 1-line block ×8, first 2 shown]
	ds_write_b64 v72, v[41:42] offset:512
	v_add3_u32 v41, v175, v3, v174
	v_add3_u32 v42, v178, v39, v40
	v_lshlrev_b32_e32 v3, 3, v187
	v_lshlrev_b32_e32 v39, 3, v186
	v_lshlrev_b32_e32 v40, 3, v217
	v_add3_u32 v73, v171, v172, v74
	v_add3_u32 v74, v177, v180, v181
	ds_write_b64 v41, v[43:44] offset:512
	ds_write_b64 v42, v[49:50] offset:512
	;; [unrolled: 1-line block ×4, first 2 shown]
	v_add3_u32 v43, v3, v39, v40
	v_lshlrev_b32_e32 v3, 3, v190
	v_lshlrev_b32_e32 v39, 3, v189
	;; [unrolled: 1-line block ×12, first 2 shown]
	v_add3_u32 v44, v3, v39, v40
	v_lshlrev_b32_e32 v3, 3, v201
	v_lshlrev_b32_e32 v39, 3, v200
	;; [unrolled: 1-line block ×3, first 2 shown]
	v_add3_u32 v49, v49, v50, v55
	v_add3_u32 v50, v56, v59, v60
	;; [unrolled: 1-line block ×3, first 2 shown]
	ds_write_b64 v43, v[63:64] offset:512
	ds_write_b64 v44, v[67:68] offset:512
	;; [unrolled: 1-line block ×5, first 2 shown]
	v_add3_u32 v56, v3, v39, v40
	v_lshlrev_b32_e32 v3, 3, v204
	v_lshlrev_b32_e32 v39, 3, v203
	;; [unrolled: 1-line block ×12, first 2 shown]
	v_add3_u32 v59, v3, v39, v40
	v_add3_u32 v60, v60, v61, v62
	;; [unrolled: 1-line block ×3, first 2 shown]
	ds_write_b64 v56, v[57:58] offset:512
	v_add3_u32 v57, v66, v67, v68
	v_cmp_lt_u32_e32 vcc_lo, v0, v169
	ds_write_b64 v59, v[53:54] offset:512
	ds_write_b64 v60, v[51:52] offset:512
	;; [unrolled: 1-line block ×4, first 2 shown]
	s_waitcnt lgkmcnt(0)
	s_barrier
	buffer_gl0_inv
	s_and_saveexec_b32 s24, vcc_lo
	s_cbranch_execnz .LBB1251_547
; %bb.479:                              ;   in Loop: Header=BB1251_398 Depth=2
	s_or_b32 exec_lo, exec_lo, s24
	v_cmp_lt_u32_e64 s23, v76, v169
	s_and_saveexec_b32 s25, s23
	s_cbranch_execnz .LBB1251_548
.LBB1251_480:                           ;   in Loop: Header=BB1251_398 Depth=2
	s_or_b32 exec_lo, exec_lo, s25
	v_cmp_lt_u32_e64 s24, v79, v169
	s_and_saveexec_b32 s26, s24
	s_cbranch_execnz .LBB1251_549
.LBB1251_481:                           ;   in Loop: Header=BB1251_398 Depth=2
	s_or_b32 exec_lo, exec_lo, s26
	v_cmp_lt_u32_e64 s25, v80, v169
	s_and_saveexec_b32 s27, s25
	s_cbranch_execnz .LBB1251_550
.LBB1251_482:                           ;   in Loop: Header=BB1251_398 Depth=2
	s_or_b32 exec_lo, exec_lo, s27
	v_cmp_lt_u32_e64 s26, v81, v169
	s_and_saveexec_b32 s28, s26
	s_cbranch_execnz .LBB1251_551
.LBB1251_483:                           ;   in Loop: Header=BB1251_398 Depth=2
	s_or_b32 exec_lo, exec_lo, s28
	v_cmp_lt_u32_e64 s27, v82, v169
	s_and_saveexec_b32 s29, s27
	s_cbranch_execnz .LBB1251_552
.LBB1251_484:                           ;   in Loop: Header=BB1251_398 Depth=2
	s_or_b32 exec_lo, exec_lo, s29
	v_cmp_lt_u32_e64 s28, v83, v169
	s_and_saveexec_b32 s30, s28
	s_cbranch_execnz .LBB1251_553
.LBB1251_485:                           ;   in Loop: Header=BB1251_398 Depth=2
	s_or_b32 exec_lo, exec_lo, s30
	v_cmp_lt_u32_e64 s29, v84, v169
	s_and_saveexec_b32 s31, s29
	s_cbranch_execnz .LBB1251_554
.LBB1251_486:                           ;   in Loop: Header=BB1251_398 Depth=2
	s_or_b32 exec_lo, exec_lo, s31
	v_cmp_lt_u32_e64 s30, v85, v169
	s_and_saveexec_b32 s33, s30
	s_cbranch_execnz .LBB1251_555
.LBB1251_487:                           ;   in Loop: Header=BB1251_398 Depth=2
	s_or_b32 exec_lo, exec_lo, s33
	v_cmp_lt_u32_e64 s31, v86, v169
	s_and_saveexec_b32 s34, s31
	s_cbranch_execnz .LBB1251_556
.LBB1251_488:                           ;   in Loop: Header=BB1251_398 Depth=2
	s_or_b32 exec_lo, exec_lo, s34
	v_cmp_lt_u32_e64 s33, v87, v169
	s_and_saveexec_b32 s35, s33
	s_cbranch_execnz .LBB1251_557
.LBB1251_489:                           ;   in Loop: Header=BB1251_398 Depth=2
	s_or_b32 exec_lo, exec_lo, s35
	v_cmp_lt_u32_e64 s34, v88, v169
	s_and_saveexec_b32 s36, s34
	s_cbranch_execnz .LBB1251_558
.LBB1251_490:                           ;   in Loop: Header=BB1251_398 Depth=2
	s_or_b32 exec_lo, exec_lo, s36
	v_cmp_lt_u32_e64 s35, v89, v169
	s_and_saveexec_b32 s37, s35
	s_cbranch_execnz .LBB1251_559
.LBB1251_491:                           ;   in Loop: Header=BB1251_398 Depth=2
	s_or_b32 exec_lo, exec_lo, s37
	v_cmp_lt_u32_e64 s36, v90, v169
	s_and_saveexec_b32 s38, s36
	s_cbranch_execnz .LBB1251_560
.LBB1251_492:                           ;   in Loop: Header=BB1251_398 Depth=2
	s_or_b32 exec_lo, exec_lo, s38
	v_cmp_lt_u32_e64 s37, v91, v169
	s_and_saveexec_b32 s39, s37
	s_cbranch_execnz .LBB1251_561
.LBB1251_493:                           ;   in Loop: Header=BB1251_398 Depth=2
	s_or_b32 exec_lo, exec_lo, s39
	v_cmp_lt_u32_e64 s38, v92, v169
	s_and_saveexec_b32 s68, s38
	s_cbranch_execz .LBB1251_495
.LBB1251_494:                           ;   in Loop: Header=BB1251_398 Depth=2
	ds_read_b64 v[39:40], v108 offset:31232
	s_waitcnt lgkmcnt(0)
	v_cmp_ne_u64_e64 s39, s[46:47], v[39:40]
	v_cndmask_b32_e64 v46, 0x80000000, v40, s39
	v_cndmask_b32_e64 v45, 0, v39, s39
	v_cmp_lt_i64_e64 s39, -1, v[39:40]
	v_lshrrev_b64 v[45:46], s63, v[45:46]
	v_cndmask_b32_e64 v47, 0x80000000, -1, s39
	v_and_b32_e32 v3, s65, v45
	v_ashrrev_i32_e32 v45, 31, v40
	v_xor_b32_e32 v40, v47, v40
	v_lshlrev_b32_e32 v3, 2, v3
	v_not_b32_e32 v48, v45
	ds_read_b32 v3, v3
	v_xor_b32_e32 v39, v48, v39
	s_waitcnt lgkmcnt(0)
	v_add_nc_u32_e32 v3, v3, v92
	v_lshlrev_b64 v[45:46], 3, v[3:4]
	v_add_co_u32 v45, s39, s44, v45
	v_add_co_ci_u32_e64 v46, null, s45, v46, s39
	global_store_dwordx2 v[45:46], v[39:40], off
.LBB1251_495:                           ;   in Loop: Header=BB1251_398 Depth=2
	s_or_b32 exec_lo, exec_lo, s68
	s_lshl_b64 s[68:69], s[56:57], 3
	v_add_co_u32 v39, s39, v131, s68
	v_add_co_ci_u32_e64 v40, null, s69, v132, s39
	v_cmp_lt_u32_e64 s39, v130, v169
	s_and_saveexec_b32 s56, s39
	s_xor_b32 s39, exec_lo, s56
	s_cbranch_execnz .LBB1251_562
; %bb.496:                              ;   in Loop: Header=BB1251_398 Depth=2
	s_or_b32 exec_lo, exec_lo, s39
	s_mov_b32 s56, exec_lo
	v_cmpx_lt_u32_e64 v133, v169
	s_cbranch_execnz .LBB1251_563
.LBB1251_497:                           ;   in Loop: Header=BB1251_398 Depth=2
	s_or_b32 exec_lo, exec_lo, s56
	s_mov_b32 s56, exec_lo
	v_cmpx_lt_u32_e64 v134, v169
	s_cbranch_execnz .LBB1251_564
.LBB1251_498:                           ;   in Loop: Header=BB1251_398 Depth=2
	s_or_b32 exec_lo, exec_lo, s56
	s_mov_b32 s56, exec_lo
	v_cmpx_lt_u32_e64 v135, v169
	s_cbranch_execnz .LBB1251_565
.LBB1251_499:                           ;   in Loop: Header=BB1251_398 Depth=2
	s_or_b32 exec_lo, exec_lo, s56
	s_mov_b32 s56, exec_lo
	v_cmpx_lt_u32_e64 v136, v169
	s_cbranch_execnz .LBB1251_566
.LBB1251_500:                           ;   in Loop: Header=BB1251_398 Depth=2
	s_or_b32 exec_lo, exec_lo, s56
	s_mov_b32 s56, exec_lo
	v_cmpx_lt_u32_e64 v137, v169
	s_cbranch_execnz .LBB1251_567
.LBB1251_501:                           ;   in Loop: Header=BB1251_398 Depth=2
	s_or_b32 exec_lo, exec_lo, s56
	s_mov_b32 s56, exec_lo
	v_cmpx_lt_u32_e64 v138, v169
	s_cbranch_execnz .LBB1251_568
.LBB1251_502:                           ;   in Loop: Header=BB1251_398 Depth=2
	s_or_b32 exec_lo, exec_lo, s56
	s_mov_b32 s56, exec_lo
	v_cmpx_lt_u32_e64 v139, v169
	s_cbranch_execnz .LBB1251_569
.LBB1251_503:                           ;   in Loop: Header=BB1251_398 Depth=2
	s_or_b32 exec_lo, exec_lo, s56
	s_mov_b32 s56, exec_lo
	v_cmpx_lt_u32_e64 v140, v169
	s_cbranch_execnz .LBB1251_570
.LBB1251_504:                           ;   in Loop: Header=BB1251_398 Depth=2
	s_or_b32 exec_lo, exec_lo, s56
	s_mov_b32 s56, exec_lo
	v_cmpx_lt_u32_e64 v141, v169
	s_cbranch_execnz .LBB1251_571
.LBB1251_505:                           ;   in Loop: Header=BB1251_398 Depth=2
	s_or_b32 exec_lo, exec_lo, s56
	s_mov_b32 s56, exec_lo
	v_cmpx_lt_u32_e64 v142, v169
	s_cbranch_execnz .LBB1251_572
.LBB1251_506:                           ;   in Loop: Header=BB1251_398 Depth=2
	s_or_b32 exec_lo, exec_lo, s56
	s_mov_b32 s56, exec_lo
	v_cmpx_lt_u32_e64 v143, v169
	s_cbranch_execnz .LBB1251_573
.LBB1251_507:                           ;   in Loop: Header=BB1251_398 Depth=2
	s_or_b32 exec_lo, exec_lo, s56
	s_mov_b32 s56, exec_lo
	v_cmpx_lt_u32_e64 v144, v169
	s_cbranch_execnz .LBB1251_574
.LBB1251_508:                           ;   in Loop: Header=BB1251_398 Depth=2
	s_or_b32 exec_lo, exec_lo, s56
	s_mov_b32 s56, exec_lo
	v_cmpx_lt_u32_e64 v145, v169
	s_cbranch_execnz .LBB1251_575
.LBB1251_509:                           ;   in Loop: Header=BB1251_398 Depth=2
	s_or_b32 exec_lo, exec_lo, s56
	s_mov_b32 s56, exec_lo
	v_cmpx_lt_u32_e64 v146, v169
	s_cbranch_execnz .LBB1251_576
.LBB1251_510:                           ;   in Loop: Header=BB1251_398 Depth=2
	s_or_b32 exec_lo, exec_lo, s56
	s_mov_b32 s56, exec_lo
	v_cmpx_lt_u32_e64 v147, v169
	s_cbranch_execnz .LBB1251_577
.LBB1251_511:                           ;   in Loop: Header=BB1251_398 Depth=2
	s_or_b32 exec_lo, exec_lo, s56
	s_and_saveexec_b32 s56, vcc_lo
	s_cbranch_execnz .LBB1251_578
.LBB1251_512:                           ;   in Loop: Header=BB1251_398 Depth=2
	s_or_b32 exec_lo, exec_lo, s56
	s_and_saveexec_b32 s56, s23
	s_cbranch_execnz .LBB1251_579
.LBB1251_513:                           ;   in Loop: Header=BB1251_398 Depth=2
	s_or_b32 exec_lo, exec_lo, s56
	s_and_saveexec_b32 s56, s24
	s_cbranch_execnz .LBB1251_580
.LBB1251_514:                           ;   in Loop: Header=BB1251_398 Depth=2
	s_or_b32 exec_lo, exec_lo, s56
	s_and_saveexec_b32 s56, s25
	s_cbranch_execnz .LBB1251_581
.LBB1251_515:                           ;   in Loop: Header=BB1251_398 Depth=2
	s_or_b32 exec_lo, exec_lo, s56
	s_and_saveexec_b32 s56, s26
	s_cbranch_execnz .LBB1251_582
.LBB1251_516:                           ;   in Loop: Header=BB1251_398 Depth=2
	s_or_b32 exec_lo, exec_lo, s56
	s_and_saveexec_b32 s56, s27
	s_cbranch_execnz .LBB1251_583
.LBB1251_517:                           ;   in Loop: Header=BB1251_398 Depth=2
	s_or_b32 exec_lo, exec_lo, s56
	s_and_saveexec_b32 s56, s28
	s_cbranch_execnz .LBB1251_584
.LBB1251_518:                           ;   in Loop: Header=BB1251_398 Depth=2
	s_or_b32 exec_lo, exec_lo, s56
	s_and_saveexec_b32 s56, s29
	s_cbranch_execnz .LBB1251_585
.LBB1251_519:                           ;   in Loop: Header=BB1251_398 Depth=2
	s_or_b32 exec_lo, exec_lo, s56
	s_and_saveexec_b32 s56, s30
	s_cbranch_execnz .LBB1251_586
.LBB1251_520:                           ;   in Loop: Header=BB1251_398 Depth=2
	s_or_b32 exec_lo, exec_lo, s56
	s_and_saveexec_b32 s56, s31
	s_cbranch_execnz .LBB1251_587
.LBB1251_521:                           ;   in Loop: Header=BB1251_398 Depth=2
	s_or_b32 exec_lo, exec_lo, s56
	s_and_saveexec_b32 s56, s33
	s_cbranch_execnz .LBB1251_588
.LBB1251_522:                           ;   in Loop: Header=BB1251_398 Depth=2
	s_or_b32 exec_lo, exec_lo, s56
	s_and_saveexec_b32 s56, s34
	s_cbranch_execnz .LBB1251_589
.LBB1251_523:                           ;   in Loop: Header=BB1251_398 Depth=2
	s_or_b32 exec_lo, exec_lo, s56
	s_and_saveexec_b32 s56, s35
	s_cbranch_execnz .LBB1251_590
.LBB1251_524:                           ;   in Loop: Header=BB1251_398 Depth=2
	s_or_b32 exec_lo, exec_lo, s56
	s_and_saveexec_b32 s56, s36
	s_cbranch_execnz .LBB1251_591
.LBB1251_525:                           ;   in Loop: Header=BB1251_398 Depth=2
	s_or_b32 exec_lo, exec_lo, s56
	s_and_saveexec_b32 s56, s37
	s_cbranch_execnz .LBB1251_592
.LBB1251_526:                           ;   in Loop: Header=BB1251_398 Depth=2
	s_or_b32 exec_lo, exec_lo, s56
	s_and_saveexec_b32 s56, s38
	s_cbranch_execz .LBB1251_528
.LBB1251_527:                           ;   in Loop: Header=BB1251_398 Depth=2
	ds_read_b64 v[39:40], v108 offset:31232
	s_waitcnt lgkmcnt(0)
	v_cmp_ne_u64_e64 s39, s[46:47], v[39:40]
	v_cndmask_b32_e64 v40, 0x80000000, v40, s39
	v_cndmask_b32_e64 v39, 0, v39, s39
	v_lshrrev_b64 v[39:40], s63, v[39:40]
	v_and_b32_e32 v151, s65, v39
.LBB1251_528:                           ;   in Loop: Header=BB1251_398 Depth=2
	s_or_b32 exec_lo, exec_lo, s56
	s_waitcnt vmcnt(0)
	s_waitcnt_vscnt null, 0x0
	s_barrier
	buffer_gl0_inv
	ds_write_b64 v71, v[37:38] offset:512
	ds_write_b64 v72, v[35:36] offset:512
	;; [unrolled: 1-line block ×16, first 2 shown]
	s_waitcnt lgkmcnt(0)
	s_barrier
	buffer_gl0_inv
	s_and_saveexec_b32 s39, vcc_lo
	s_cbranch_execnz .LBB1251_593
; %bb.529:                              ;   in Loop: Header=BB1251_398 Depth=2
	s_or_b32 exec_lo, exec_lo, s39
	s_and_saveexec_b32 s39, s23
	s_cbranch_execnz .LBB1251_594
.LBB1251_530:                           ;   in Loop: Header=BB1251_398 Depth=2
	s_or_b32 exec_lo, exec_lo, s39
	s_and_saveexec_b32 s23, s24
	s_cbranch_execnz .LBB1251_595
.LBB1251_531:                           ;   in Loop: Header=BB1251_398 Depth=2
	s_or_b32 exec_lo, exec_lo, s23
	s_and_saveexec_b32 s23, s25
	s_cbranch_execnz .LBB1251_596
.LBB1251_532:                           ;   in Loop: Header=BB1251_398 Depth=2
	s_or_b32 exec_lo, exec_lo, s23
	s_and_saveexec_b32 s23, s26
	s_cbranch_execnz .LBB1251_597
.LBB1251_533:                           ;   in Loop: Header=BB1251_398 Depth=2
	s_or_b32 exec_lo, exec_lo, s23
	s_and_saveexec_b32 s23, s27
	s_cbranch_execnz .LBB1251_598
.LBB1251_534:                           ;   in Loop: Header=BB1251_398 Depth=2
	s_or_b32 exec_lo, exec_lo, s23
	s_and_saveexec_b32 s23, s28
	s_cbranch_execnz .LBB1251_599
.LBB1251_535:                           ;   in Loop: Header=BB1251_398 Depth=2
	s_or_b32 exec_lo, exec_lo, s23
	s_and_saveexec_b32 s23, s29
	s_cbranch_execnz .LBB1251_600
.LBB1251_536:                           ;   in Loop: Header=BB1251_398 Depth=2
	s_or_b32 exec_lo, exec_lo, s23
	s_and_saveexec_b32 s23, s30
	s_cbranch_execnz .LBB1251_601
.LBB1251_537:                           ;   in Loop: Header=BB1251_398 Depth=2
	s_or_b32 exec_lo, exec_lo, s23
	s_and_saveexec_b32 s23, s31
	s_cbranch_execnz .LBB1251_602
.LBB1251_538:                           ;   in Loop: Header=BB1251_398 Depth=2
	s_or_b32 exec_lo, exec_lo, s23
	s_and_saveexec_b32 s23, s33
	s_cbranch_execnz .LBB1251_603
.LBB1251_539:                           ;   in Loop: Header=BB1251_398 Depth=2
	s_or_b32 exec_lo, exec_lo, s23
	s_and_saveexec_b32 s23, s34
	s_cbranch_execnz .LBB1251_604
.LBB1251_540:                           ;   in Loop: Header=BB1251_398 Depth=2
	s_or_b32 exec_lo, exec_lo, s23
	s_and_saveexec_b32 s23, s35
	s_cbranch_execnz .LBB1251_605
.LBB1251_541:                           ;   in Loop: Header=BB1251_398 Depth=2
	s_or_b32 exec_lo, exec_lo, s23
	s_and_saveexec_b32 s23, s36
	s_cbranch_execnz .LBB1251_606
.LBB1251_542:                           ;   in Loop: Header=BB1251_398 Depth=2
	s_or_b32 exec_lo, exec_lo, s23
	s_and_saveexec_b32 s23, s37
	s_cbranch_execnz .LBB1251_607
.LBB1251_543:                           ;   in Loop: Header=BB1251_398 Depth=2
	s_or_b32 exec_lo, exec_lo, s23
	s_and_saveexec_b32 s23, s38
	s_cbranch_execz .LBB1251_545
.LBB1251_544:                           ;   in Loop: Header=BB1251_398 Depth=2
	v_lshlrev_b32_e32 v3, 2, v151
	ds_read_b32 v3, v3
	ds_read_b64 v[39:40], v108 offset:31232
	s_waitcnt lgkmcnt(1)
	v_add_nc_u32_e32 v3, v3, v92
	v_lshlrev_b64 v[41:42], 3, v[3:4]
	v_add_co_u32 v41, vcc_lo, s50, v41
	v_add_co_ci_u32_e64 v42, null, s51, v42, vcc_lo
	s_waitcnt lgkmcnt(0)
	global_store_dwordx2 v[41:42], v[39:40], off
.LBB1251_545:                           ;   in Loop: Header=BB1251_398 Depth=2
	s_or_b32 exec_lo, exec_lo, s23
	s_waitcnt_vscnt null, 0x0
	s_barrier
	buffer_gl0_inv
	s_and_saveexec_b32 s23, s8
	s_cbranch_execz .LBB1251_397
; %bb.546:                              ;   in Loop: Header=BB1251_398 Depth=2
	ds_read_b32 v3, v75
	s_waitcnt lgkmcnt(0)
	v_add3_u32 v3, v158, v168, v3
	ds_write_b32 v75, v3
	s_branch .LBB1251_397
.LBB1251_547:                           ;   in Loop: Header=BB1251_398 Depth=2
	ds_read_b64 v[39:40], v108 offset:512
	s_waitcnt lgkmcnt(0)
	v_cmp_ne_u64_e64 s23, s[46:47], v[39:40]
	v_cndmask_b32_e64 v46, 0x80000000, v40, s23
	v_cndmask_b32_e64 v45, 0, v39, s23
	v_cmp_lt_i64_e64 s23, -1, v[39:40]
	v_lshrrev_b64 v[45:46], s63, v[45:46]
	v_cndmask_b32_e64 v47, 0x80000000, -1, s23
	v_and_b32_e32 v3, s65, v45
	v_ashrrev_i32_e32 v45, 31, v40
	v_xor_b32_e32 v40, v47, v40
	v_lshlrev_b32_e32 v3, 2, v3
	v_not_b32_e32 v48, v45
	ds_read_b32 v3, v3
	v_xor_b32_e32 v39, v48, v39
	s_waitcnt lgkmcnt(0)
	v_add_nc_u32_e32 v3, v3, v0
	v_lshlrev_b64 v[45:46], 3, v[3:4]
	v_add_co_u32 v45, s23, s44, v45
	v_add_co_ci_u32_e64 v46, null, s45, v46, s23
	global_store_dwordx2 v[45:46], v[39:40], off
	s_or_b32 exec_lo, exec_lo, s24
	v_cmp_lt_u32_e64 s23, v76, v169
	s_and_saveexec_b32 s25, s23
	s_cbranch_execz .LBB1251_480
.LBB1251_548:                           ;   in Loop: Header=BB1251_398 Depth=2
	ds_read_b64 v[39:40], v108 offset:2560
	s_waitcnt lgkmcnt(0)
	v_cmp_ne_u64_e64 s24, s[46:47], v[39:40]
	v_cndmask_b32_e64 v46, 0x80000000, v40, s24
	v_cndmask_b32_e64 v45, 0, v39, s24
	v_cmp_lt_i64_e64 s24, -1, v[39:40]
	v_lshrrev_b64 v[45:46], s63, v[45:46]
	v_cndmask_b32_e64 v47, 0x80000000, -1, s24
	v_and_b32_e32 v3, s65, v45
	v_ashrrev_i32_e32 v45, 31, v40
	v_xor_b32_e32 v40, v47, v40
	v_lshlrev_b32_e32 v3, 2, v3
	v_not_b32_e32 v48, v45
	ds_read_b32 v3, v3
	v_xor_b32_e32 v39, v48, v39
	s_waitcnt lgkmcnt(0)
	v_add_nc_u32_e32 v3, v3, v76
	v_lshlrev_b64 v[45:46], 3, v[3:4]
	v_add_co_u32 v45, s24, s44, v45
	v_add_co_ci_u32_e64 v46, null, s45, v46, s24
	global_store_dwordx2 v[45:46], v[39:40], off
	s_or_b32 exec_lo, exec_lo, s25
	v_cmp_lt_u32_e64 s24, v79, v169
	s_and_saveexec_b32 s26, s24
	s_cbranch_execz .LBB1251_481
.LBB1251_549:                           ;   in Loop: Header=BB1251_398 Depth=2
	ds_read_b64 v[39:40], v108 offset:4608
	s_waitcnt lgkmcnt(0)
	v_cmp_ne_u64_e64 s25, s[46:47], v[39:40]
	v_cndmask_b32_e64 v46, 0x80000000, v40, s25
	v_cndmask_b32_e64 v45, 0, v39, s25
	v_cmp_lt_i64_e64 s25, -1, v[39:40]
	v_lshrrev_b64 v[45:46], s63, v[45:46]
	v_cndmask_b32_e64 v47, 0x80000000, -1, s25
	v_and_b32_e32 v3, s65, v45
	v_ashrrev_i32_e32 v45, 31, v40
	v_xor_b32_e32 v40, v47, v40
	v_lshlrev_b32_e32 v3, 2, v3
	v_not_b32_e32 v48, v45
	ds_read_b32 v3, v3
	v_xor_b32_e32 v39, v48, v39
	s_waitcnt lgkmcnt(0)
	v_add_nc_u32_e32 v3, v3, v79
	v_lshlrev_b64 v[45:46], 3, v[3:4]
	v_add_co_u32 v45, s25, s44, v45
	v_add_co_ci_u32_e64 v46, null, s45, v46, s25
	global_store_dwordx2 v[45:46], v[39:40], off
	s_or_b32 exec_lo, exec_lo, s26
	v_cmp_lt_u32_e64 s25, v80, v169
	s_and_saveexec_b32 s27, s25
	s_cbranch_execz .LBB1251_482
.LBB1251_550:                           ;   in Loop: Header=BB1251_398 Depth=2
	ds_read_b64 v[39:40], v108 offset:6656
	s_waitcnt lgkmcnt(0)
	v_cmp_ne_u64_e64 s26, s[46:47], v[39:40]
	v_cndmask_b32_e64 v46, 0x80000000, v40, s26
	v_cndmask_b32_e64 v45, 0, v39, s26
	v_cmp_lt_i64_e64 s26, -1, v[39:40]
	v_lshrrev_b64 v[45:46], s63, v[45:46]
	v_cndmask_b32_e64 v47, 0x80000000, -1, s26
	v_and_b32_e32 v3, s65, v45
	v_ashrrev_i32_e32 v45, 31, v40
	v_xor_b32_e32 v40, v47, v40
	v_lshlrev_b32_e32 v3, 2, v3
	v_not_b32_e32 v48, v45
	ds_read_b32 v3, v3
	v_xor_b32_e32 v39, v48, v39
	s_waitcnt lgkmcnt(0)
	v_add_nc_u32_e32 v3, v3, v80
	v_lshlrev_b64 v[45:46], 3, v[3:4]
	v_add_co_u32 v45, s26, s44, v45
	v_add_co_ci_u32_e64 v46, null, s45, v46, s26
	global_store_dwordx2 v[45:46], v[39:40], off
	s_or_b32 exec_lo, exec_lo, s27
	v_cmp_lt_u32_e64 s26, v81, v169
	s_and_saveexec_b32 s28, s26
	s_cbranch_execz .LBB1251_483
.LBB1251_551:                           ;   in Loop: Header=BB1251_398 Depth=2
	ds_read_b64 v[39:40], v108 offset:8704
	s_waitcnt lgkmcnt(0)
	v_cmp_ne_u64_e64 s27, s[46:47], v[39:40]
	v_cndmask_b32_e64 v46, 0x80000000, v40, s27
	v_cndmask_b32_e64 v45, 0, v39, s27
	v_cmp_lt_i64_e64 s27, -1, v[39:40]
	v_lshrrev_b64 v[45:46], s63, v[45:46]
	v_cndmask_b32_e64 v47, 0x80000000, -1, s27
	v_and_b32_e32 v3, s65, v45
	v_ashrrev_i32_e32 v45, 31, v40
	v_xor_b32_e32 v40, v47, v40
	v_lshlrev_b32_e32 v3, 2, v3
	v_not_b32_e32 v48, v45
	ds_read_b32 v3, v3
	v_xor_b32_e32 v39, v48, v39
	s_waitcnt lgkmcnt(0)
	v_add_nc_u32_e32 v3, v3, v81
	v_lshlrev_b64 v[45:46], 3, v[3:4]
	v_add_co_u32 v45, s27, s44, v45
	v_add_co_ci_u32_e64 v46, null, s45, v46, s27
	global_store_dwordx2 v[45:46], v[39:40], off
	s_or_b32 exec_lo, exec_lo, s28
	v_cmp_lt_u32_e64 s27, v82, v169
	s_and_saveexec_b32 s29, s27
	s_cbranch_execz .LBB1251_484
.LBB1251_552:                           ;   in Loop: Header=BB1251_398 Depth=2
	ds_read_b64 v[39:40], v108 offset:10752
	s_waitcnt lgkmcnt(0)
	v_cmp_ne_u64_e64 s28, s[46:47], v[39:40]
	v_cndmask_b32_e64 v46, 0x80000000, v40, s28
	v_cndmask_b32_e64 v45, 0, v39, s28
	v_cmp_lt_i64_e64 s28, -1, v[39:40]
	v_lshrrev_b64 v[45:46], s63, v[45:46]
	v_cndmask_b32_e64 v47, 0x80000000, -1, s28
	v_and_b32_e32 v3, s65, v45
	v_ashrrev_i32_e32 v45, 31, v40
	v_xor_b32_e32 v40, v47, v40
	v_lshlrev_b32_e32 v3, 2, v3
	v_not_b32_e32 v48, v45
	ds_read_b32 v3, v3
	v_xor_b32_e32 v39, v48, v39
	s_waitcnt lgkmcnt(0)
	v_add_nc_u32_e32 v3, v3, v82
	v_lshlrev_b64 v[45:46], 3, v[3:4]
	v_add_co_u32 v45, s28, s44, v45
	v_add_co_ci_u32_e64 v46, null, s45, v46, s28
	global_store_dwordx2 v[45:46], v[39:40], off
	s_or_b32 exec_lo, exec_lo, s29
	v_cmp_lt_u32_e64 s28, v83, v169
	s_and_saveexec_b32 s30, s28
	s_cbranch_execz .LBB1251_485
.LBB1251_553:                           ;   in Loop: Header=BB1251_398 Depth=2
	ds_read_b64 v[39:40], v108 offset:12800
	s_waitcnt lgkmcnt(0)
	v_cmp_ne_u64_e64 s29, s[46:47], v[39:40]
	v_cndmask_b32_e64 v46, 0x80000000, v40, s29
	v_cndmask_b32_e64 v45, 0, v39, s29
	v_cmp_lt_i64_e64 s29, -1, v[39:40]
	v_lshrrev_b64 v[45:46], s63, v[45:46]
	v_cndmask_b32_e64 v47, 0x80000000, -1, s29
	v_and_b32_e32 v3, s65, v45
	v_ashrrev_i32_e32 v45, 31, v40
	v_xor_b32_e32 v40, v47, v40
	v_lshlrev_b32_e32 v3, 2, v3
	v_not_b32_e32 v48, v45
	ds_read_b32 v3, v3
	v_xor_b32_e32 v39, v48, v39
	s_waitcnt lgkmcnt(0)
	v_add_nc_u32_e32 v3, v3, v83
	v_lshlrev_b64 v[45:46], 3, v[3:4]
	v_add_co_u32 v45, s29, s44, v45
	v_add_co_ci_u32_e64 v46, null, s45, v46, s29
	global_store_dwordx2 v[45:46], v[39:40], off
	s_or_b32 exec_lo, exec_lo, s30
	v_cmp_lt_u32_e64 s29, v84, v169
	s_and_saveexec_b32 s31, s29
	s_cbranch_execz .LBB1251_486
.LBB1251_554:                           ;   in Loop: Header=BB1251_398 Depth=2
	ds_read_b64 v[39:40], v108 offset:14848
	s_waitcnt lgkmcnt(0)
	v_cmp_ne_u64_e64 s30, s[46:47], v[39:40]
	v_cndmask_b32_e64 v46, 0x80000000, v40, s30
	v_cndmask_b32_e64 v45, 0, v39, s30
	v_cmp_lt_i64_e64 s30, -1, v[39:40]
	v_lshrrev_b64 v[45:46], s63, v[45:46]
	v_cndmask_b32_e64 v47, 0x80000000, -1, s30
	v_and_b32_e32 v3, s65, v45
	v_ashrrev_i32_e32 v45, 31, v40
	v_xor_b32_e32 v40, v47, v40
	v_lshlrev_b32_e32 v3, 2, v3
	v_not_b32_e32 v48, v45
	ds_read_b32 v3, v3
	v_xor_b32_e32 v39, v48, v39
	s_waitcnt lgkmcnt(0)
	v_add_nc_u32_e32 v3, v3, v84
	v_lshlrev_b64 v[45:46], 3, v[3:4]
	v_add_co_u32 v45, s30, s44, v45
	v_add_co_ci_u32_e64 v46, null, s45, v46, s30
	global_store_dwordx2 v[45:46], v[39:40], off
	s_or_b32 exec_lo, exec_lo, s31
	v_cmp_lt_u32_e64 s30, v85, v169
	s_and_saveexec_b32 s33, s30
	s_cbranch_execz .LBB1251_487
.LBB1251_555:                           ;   in Loop: Header=BB1251_398 Depth=2
	ds_read_b64 v[39:40], v108 offset:16896
	s_waitcnt lgkmcnt(0)
	v_cmp_ne_u64_e64 s31, s[46:47], v[39:40]
	v_cndmask_b32_e64 v46, 0x80000000, v40, s31
	v_cndmask_b32_e64 v45, 0, v39, s31
	v_cmp_lt_i64_e64 s31, -1, v[39:40]
	v_lshrrev_b64 v[45:46], s63, v[45:46]
	v_cndmask_b32_e64 v47, 0x80000000, -1, s31
	v_and_b32_e32 v3, s65, v45
	v_ashrrev_i32_e32 v45, 31, v40
	v_xor_b32_e32 v40, v47, v40
	v_lshlrev_b32_e32 v3, 2, v3
	v_not_b32_e32 v48, v45
	ds_read_b32 v3, v3
	v_xor_b32_e32 v39, v48, v39
	s_waitcnt lgkmcnt(0)
	v_add_nc_u32_e32 v3, v3, v85
	v_lshlrev_b64 v[45:46], 3, v[3:4]
	v_add_co_u32 v45, s31, s44, v45
	v_add_co_ci_u32_e64 v46, null, s45, v46, s31
	global_store_dwordx2 v[45:46], v[39:40], off
	s_or_b32 exec_lo, exec_lo, s33
	v_cmp_lt_u32_e64 s31, v86, v169
	s_and_saveexec_b32 s34, s31
	s_cbranch_execz .LBB1251_488
.LBB1251_556:                           ;   in Loop: Header=BB1251_398 Depth=2
	ds_read_b64 v[39:40], v108 offset:18944
	s_waitcnt lgkmcnt(0)
	v_cmp_ne_u64_e64 s33, s[46:47], v[39:40]
	v_cndmask_b32_e64 v46, 0x80000000, v40, s33
	v_cndmask_b32_e64 v45, 0, v39, s33
	v_cmp_lt_i64_e64 s33, -1, v[39:40]
	v_lshrrev_b64 v[45:46], s63, v[45:46]
	v_cndmask_b32_e64 v47, 0x80000000, -1, s33
	v_and_b32_e32 v3, s65, v45
	v_ashrrev_i32_e32 v45, 31, v40
	v_xor_b32_e32 v40, v47, v40
	v_lshlrev_b32_e32 v3, 2, v3
	v_not_b32_e32 v48, v45
	ds_read_b32 v3, v3
	v_xor_b32_e32 v39, v48, v39
	s_waitcnt lgkmcnt(0)
	v_add_nc_u32_e32 v3, v3, v86
	v_lshlrev_b64 v[45:46], 3, v[3:4]
	v_add_co_u32 v45, s33, s44, v45
	v_add_co_ci_u32_e64 v46, null, s45, v46, s33
	global_store_dwordx2 v[45:46], v[39:40], off
	s_or_b32 exec_lo, exec_lo, s34
	v_cmp_lt_u32_e64 s33, v87, v169
	s_and_saveexec_b32 s35, s33
	s_cbranch_execz .LBB1251_489
.LBB1251_557:                           ;   in Loop: Header=BB1251_398 Depth=2
	ds_read_b64 v[39:40], v108 offset:20992
	s_waitcnt lgkmcnt(0)
	v_cmp_ne_u64_e64 s34, s[46:47], v[39:40]
	v_cndmask_b32_e64 v46, 0x80000000, v40, s34
	v_cndmask_b32_e64 v45, 0, v39, s34
	v_cmp_lt_i64_e64 s34, -1, v[39:40]
	v_lshrrev_b64 v[45:46], s63, v[45:46]
	v_cndmask_b32_e64 v47, 0x80000000, -1, s34
	v_and_b32_e32 v3, s65, v45
	v_ashrrev_i32_e32 v45, 31, v40
	v_xor_b32_e32 v40, v47, v40
	v_lshlrev_b32_e32 v3, 2, v3
	v_not_b32_e32 v48, v45
	ds_read_b32 v3, v3
	v_xor_b32_e32 v39, v48, v39
	s_waitcnt lgkmcnt(0)
	v_add_nc_u32_e32 v3, v3, v87
	v_lshlrev_b64 v[45:46], 3, v[3:4]
	v_add_co_u32 v45, s34, s44, v45
	v_add_co_ci_u32_e64 v46, null, s45, v46, s34
	global_store_dwordx2 v[45:46], v[39:40], off
	s_or_b32 exec_lo, exec_lo, s35
	v_cmp_lt_u32_e64 s34, v88, v169
	s_and_saveexec_b32 s36, s34
	s_cbranch_execz .LBB1251_490
.LBB1251_558:                           ;   in Loop: Header=BB1251_398 Depth=2
	ds_read_b64 v[39:40], v108 offset:23040
	s_waitcnt lgkmcnt(0)
	v_cmp_ne_u64_e64 s35, s[46:47], v[39:40]
	v_cndmask_b32_e64 v46, 0x80000000, v40, s35
	v_cndmask_b32_e64 v45, 0, v39, s35
	v_cmp_lt_i64_e64 s35, -1, v[39:40]
	v_lshrrev_b64 v[45:46], s63, v[45:46]
	v_cndmask_b32_e64 v47, 0x80000000, -1, s35
	v_and_b32_e32 v3, s65, v45
	v_ashrrev_i32_e32 v45, 31, v40
	v_xor_b32_e32 v40, v47, v40
	v_lshlrev_b32_e32 v3, 2, v3
	v_not_b32_e32 v48, v45
	ds_read_b32 v3, v3
	v_xor_b32_e32 v39, v48, v39
	s_waitcnt lgkmcnt(0)
	v_add_nc_u32_e32 v3, v3, v88
	v_lshlrev_b64 v[45:46], 3, v[3:4]
	v_add_co_u32 v45, s35, s44, v45
	v_add_co_ci_u32_e64 v46, null, s45, v46, s35
	global_store_dwordx2 v[45:46], v[39:40], off
	s_or_b32 exec_lo, exec_lo, s36
	v_cmp_lt_u32_e64 s35, v89, v169
	s_and_saveexec_b32 s37, s35
	s_cbranch_execz .LBB1251_491
.LBB1251_559:                           ;   in Loop: Header=BB1251_398 Depth=2
	ds_read_b64 v[39:40], v108 offset:25088
	s_waitcnt lgkmcnt(0)
	v_cmp_ne_u64_e64 s36, s[46:47], v[39:40]
	v_cndmask_b32_e64 v46, 0x80000000, v40, s36
	v_cndmask_b32_e64 v45, 0, v39, s36
	v_cmp_lt_i64_e64 s36, -1, v[39:40]
	v_lshrrev_b64 v[45:46], s63, v[45:46]
	v_cndmask_b32_e64 v47, 0x80000000, -1, s36
	v_and_b32_e32 v3, s65, v45
	v_ashrrev_i32_e32 v45, 31, v40
	v_xor_b32_e32 v40, v47, v40
	v_lshlrev_b32_e32 v3, 2, v3
	v_not_b32_e32 v48, v45
	ds_read_b32 v3, v3
	v_xor_b32_e32 v39, v48, v39
	s_waitcnt lgkmcnt(0)
	v_add_nc_u32_e32 v3, v3, v89
	v_lshlrev_b64 v[45:46], 3, v[3:4]
	v_add_co_u32 v45, s36, s44, v45
	v_add_co_ci_u32_e64 v46, null, s45, v46, s36
	global_store_dwordx2 v[45:46], v[39:40], off
	s_or_b32 exec_lo, exec_lo, s37
	v_cmp_lt_u32_e64 s36, v90, v169
	s_and_saveexec_b32 s38, s36
	s_cbranch_execz .LBB1251_492
.LBB1251_560:                           ;   in Loop: Header=BB1251_398 Depth=2
	ds_read_b64 v[39:40], v108 offset:27136
	s_waitcnt lgkmcnt(0)
	v_cmp_ne_u64_e64 s37, s[46:47], v[39:40]
	v_cndmask_b32_e64 v46, 0x80000000, v40, s37
	v_cndmask_b32_e64 v45, 0, v39, s37
	v_cmp_lt_i64_e64 s37, -1, v[39:40]
	v_lshrrev_b64 v[45:46], s63, v[45:46]
	v_cndmask_b32_e64 v47, 0x80000000, -1, s37
	v_and_b32_e32 v3, s65, v45
	v_ashrrev_i32_e32 v45, 31, v40
	v_xor_b32_e32 v40, v47, v40
	v_lshlrev_b32_e32 v3, 2, v3
	v_not_b32_e32 v48, v45
	ds_read_b32 v3, v3
	v_xor_b32_e32 v39, v48, v39
	s_waitcnt lgkmcnt(0)
	v_add_nc_u32_e32 v3, v3, v90
	v_lshlrev_b64 v[45:46], 3, v[3:4]
	v_add_co_u32 v45, s37, s44, v45
	v_add_co_ci_u32_e64 v46, null, s45, v46, s37
	global_store_dwordx2 v[45:46], v[39:40], off
	s_or_b32 exec_lo, exec_lo, s38
	v_cmp_lt_u32_e64 s37, v91, v169
	s_and_saveexec_b32 s39, s37
	s_cbranch_execz .LBB1251_493
.LBB1251_561:                           ;   in Loop: Header=BB1251_398 Depth=2
	ds_read_b64 v[39:40], v108 offset:29184
	s_waitcnt lgkmcnt(0)
	v_cmp_ne_u64_e64 s38, s[46:47], v[39:40]
	v_cndmask_b32_e64 v46, 0x80000000, v40, s38
	v_cndmask_b32_e64 v45, 0, v39, s38
	v_cmp_lt_i64_e64 s38, -1, v[39:40]
	v_lshrrev_b64 v[45:46], s63, v[45:46]
	v_cndmask_b32_e64 v47, 0x80000000, -1, s38
	v_and_b32_e32 v3, s65, v45
	v_ashrrev_i32_e32 v45, 31, v40
	v_xor_b32_e32 v40, v47, v40
	v_lshlrev_b32_e32 v3, 2, v3
	v_not_b32_e32 v48, v45
	ds_read_b32 v3, v3
	v_xor_b32_e32 v39, v48, v39
	s_waitcnt lgkmcnt(0)
	v_add_nc_u32_e32 v3, v3, v91
	v_lshlrev_b64 v[45:46], 3, v[3:4]
	v_add_co_u32 v45, s38, s44, v45
	v_add_co_ci_u32_e64 v46, null, s45, v46, s38
	global_store_dwordx2 v[45:46], v[39:40], off
	s_or_b32 exec_lo, exec_lo, s39
	v_cmp_lt_u32_e64 s38, v92, v169
	s_and_saveexec_b32 s68, s38
	s_cbranch_execnz .LBB1251_494
	s_branch .LBB1251_495
.LBB1251_562:                           ;   in Loop: Header=BB1251_398 Depth=2
	global_load_dwordx2 v[37:38], v[39:40], off
	s_or_b32 exec_lo, exec_lo, s39
	s_mov_b32 s56, exec_lo
	v_cmpx_lt_u32_e64 v133, v169
	s_cbranch_execz .LBB1251_497
.LBB1251_563:                           ;   in Loop: Header=BB1251_398 Depth=2
	global_load_dwordx2 v[35:36], v[39:40], off offset:256
	s_or_b32 exec_lo, exec_lo, s56
	s_mov_b32 s56, exec_lo
	v_cmpx_lt_u32_e64 v134, v169
	s_cbranch_execz .LBB1251_498
.LBB1251_564:                           ;   in Loop: Header=BB1251_398 Depth=2
	global_load_dwordx2 v[33:34], v[39:40], off offset:512
	s_or_b32 exec_lo, exec_lo, s56
	s_mov_b32 s56, exec_lo
	v_cmpx_lt_u32_e64 v135, v169
	s_cbranch_execz .LBB1251_499
.LBB1251_565:                           ;   in Loop: Header=BB1251_398 Depth=2
	global_load_dwordx2 v[31:32], v[39:40], off offset:768
	s_or_b32 exec_lo, exec_lo, s56
	s_mov_b32 s56, exec_lo
	v_cmpx_lt_u32_e64 v136, v169
	s_cbranch_execz .LBB1251_500
.LBB1251_566:                           ;   in Loop: Header=BB1251_398 Depth=2
	global_load_dwordx2 v[29:30], v[39:40], off offset:1024
	s_or_b32 exec_lo, exec_lo, s56
	s_mov_b32 s56, exec_lo
	v_cmpx_lt_u32_e64 v137, v169
	s_cbranch_execz .LBB1251_501
.LBB1251_567:                           ;   in Loop: Header=BB1251_398 Depth=2
	global_load_dwordx2 v[25:26], v[39:40], off offset:1280
	s_or_b32 exec_lo, exec_lo, s56
	s_mov_b32 s56, exec_lo
	v_cmpx_lt_u32_e64 v138, v169
	s_cbranch_execz .LBB1251_502
.LBB1251_568:                           ;   in Loop: Header=BB1251_398 Depth=2
	global_load_dwordx2 v[21:22], v[39:40], off offset:1536
	s_or_b32 exec_lo, exec_lo, s56
	s_mov_b32 s56, exec_lo
	v_cmpx_lt_u32_e64 v139, v169
	s_cbranch_execz .LBB1251_503
.LBB1251_569:                           ;   in Loop: Header=BB1251_398 Depth=2
	global_load_dwordx2 v[17:18], v[39:40], off offset:1792
	s_or_b32 exec_lo, exec_lo, s56
	s_mov_b32 s56, exec_lo
	v_cmpx_lt_u32_e64 v140, v169
	s_cbranch_execz .LBB1251_504
.LBB1251_570:                           ;   in Loop: Header=BB1251_398 Depth=2
	v_add_co_u32 v27, s39, 0x800, v39
	v_add_co_ci_u32_e64 v28, null, 0, v40, s39
	global_load_dwordx2 v[27:28], v[27:28], off
	s_or_b32 exec_lo, exec_lo, s56
	s_mov_b32 s56, exec_lo
	v_cmpx_lt_u32_e64 v141, v169
	s_cbranch_execz .LBB1251_505
.LBB1251_571:                           ;   in Loop: Header=BB1251_398 Depth=2
	v_add_co_u32 v23, s39, 0x800, v39
	v_add_co_ci_u32_e64 v24, null, 0, v40, s39
	global_load_dwordx2 v[23:24], v[23:24], off offset:256
	s_or_b32 exec_lo, exec_lo, s56
	s_mov_b32 s56, exec_lo
	v_cmpx_lt_u32_e64 v142, v169
	s_cbranch_execz .LBB1251_506
.LBB1251_572:                           ;   in Loop: Header=BB1251_398 Depth=2
	v_add_co_u32 v19, s39, 0x800, v39
	v_add_co_ci_u32_e64 v20, null, 0, v40, s39
	global_load_dwordx2 v[19:20], v[19:20], off offset:512
	s_or_b32 exec_lo, exec_lo, s56
	s_mov_b32 s56, exec_lo
	v_cmpx_lt_u32_e64 v143, v169
	s_cbranch_execz .LBB1251_507
.LBB1251_573:                           ;   in Loop: Header=BB1251_398 Depth=2
	v_add_co_u32 v15, s39, 0x800, v39
	v_add_co_ci_u32_e64 v16, null, 0, v40, s39
	global_load_dwordx2 v[15:16], v[15:16], off offset:768
	s_or_b32 exec_lo, exec_lo, s56
	s_mov_b32 s56, exec_lo
	v_cmpx_lt_u32_e64 v144, v169
	s_cbranch_execz .LBB1251_508
.LBB1251_574:                           ;   in Loop: Header=BB1251_398 Depth=2
	v_add_co_u32 v13, s39, 0x800, v39
	v_add_co_ci_u32_e64 v14, null, 0, v40, s39
	global_load_dwordx2 v[13:14], v[13:14], off offset:1024
	s_or_b32 exec_lo, exec_lo, s56
	s_mov_b32 s56, exec_lo
	v_cmpx_lt_u32_e64 v145, v169
	s_cbranch_execz .LBB1251_509
.LBB1251_575:                           ;   in Loop: Header=BB1251_398 Depth=2
	v_add_co_u32 v11, s39, 0x800, v39
	v_add_co_ci_u32_e64 v12, null, 0, v40, s39
	global_load_dwordx2 v[11:12], v[11:12], off offset:1280
	s_or_b32 exec_lo, exec_lo, s56
	s_mov_b32 s56, exec_lo
	v_cmpx_lt_u32_e64 v146, v169
	s_cbranch_execz .LBB1251_510
.LBB1251_576:                           ;   in Loop: Header=BB1251_398 Depth=2
	v_add_co_u32 v9, s39, 0x800, v39
	v_add_co_ci_u32_e64 v10, null, 0, v40, s39
	global_load_dwordx2 v[9:10], v[9:10], off offset:1536
	s_or_b32 exec_lo, exec_lo, s56
	s_mov_b32 s56, exec_lo
	v_cmpx_lt_u32_e64 v147, v169
	s_cbranch_execz .LBB1251_511
.LBB1251_577:                           ;   in Loop: Header=BB1251_398 Depth=2
	v_add_co_u32 v7, s39, 0x800, v39
	v_add_co_ci_u32_e64 v8, null, 0, v40, s39
	global_load_dwordx2 v[7:8], v[7:8], off offset:1792
	s_or_b32 exec_lo, exec_lo, s56
	s_and_saveexec_b32 s56, vcc_lo
	s_cbranch_execz .LBB1251_512
.LBB1251_578:                           ;   in Loop: Header=BB1251_398 Depth=2
	ds_read_b64 v[39:40], v108 offset:512
	s_waitcnt lgkmcnt(0)
	v_cmp_ne_u64_e64 s39, s[46:47], v[39:40]
	v_cndmask_b32_e64 v40, 0x80000000, v40, s39
	v_cndmask_b32_e64 v39, 0, v39, s39
	v_lshrrev_b64 v[39:40], s63, v[39:40]
	v_and_b32_e32 v167, s65, v39
	s_or_b32 exec_lo, exec_lo, s56
	s_and_saveexec_b32 s56, s23
	s_cbranch_execz .LBB1251_513
.LBB1251_579:                           ;   in Loop: Header=BB1251_398 Depth=2
	ds_read_b64 v[39:40], v108 offset:2560
	s_waitcnt lgkmcnt(0)
	v_cmp_ne_u64_e64 s39, s[46:47], v[39:40]
	v_cndmask_b32_e64 v40, 0x80000000, v40, s39
	v_cndmask_b32_e64 v39, 0, v39, s39
	v_lshrrev_b64 v[39:40], s63, v[39:40]
	v_and_b32_e32 v166, s65, v39
	s_or_b32 exec_lo, exec_lo, s56
	s_and_saveexec_b32 s56, s24
	s_cbranch_execz .LBB1251_514
.LBB1251_580:                           ;   in Loop: Header=BB1251_398 Depth=2
	ds_read_b64 v[39:40], v108 offset:4608
	s_waitcnt lgkmcnt(0)
	v_cmp_ne_u64_e64 s39, s[46:47], v[39:40]
	v_cndmask_b32_e64 v40, 0x80000000, v40, s39
	v_cndmask_b32_e64 v39, 0, v39, s39
	v_lshrrev_b64 v[39:40], s63, v[39:40]
	v_and_b32_e32 v165, s65, v39
	s_or_b32 exec_lo, exec_lo, s56
	s_and_saveexec_b32 s56, s25
	s_cbranch_execz .LBB1251_515
.LBB1251_581:                           ;   in Loop: Header=BB1251_398 Depth=2
	ds_read_b64 v[39:40], v108 offset:6656
	s_waitcnt lgkmcnt(0)
	v_cmp_ne_u64_e64 s39, s[46:47], v[39:40]
	v_cndmask_b32_e64 v40, 0x80000000, v40, s39
	v_cndmask_b32_e64 v39, 0, v39, s39
	v_lshrrev_b64 v[39:40], s63, v[39:40]
	v_and_b32_e32 v164, s65, v39
	s_or_b32 exec_lo, exec_lo, s56
	s_and_saveexec_b32 s56, s26
	s_cbranch_execz .LBB1251_516
.LBB1251_582:                           ;   in Loop: Header=BB1251_398 Depth=2
	ds_read_b64 v[39:40], v108 offset:8704
	s_waitcnt lgkmcnt(0)
	v_cmp_ne_u64_e64 s39, s[46:47], v[39:40]
	v_cndmask_b32_e64 v40, 0x80000000, v40, s39
	v_cndmask_b32_e64 v39, 0, v39, s39
	v_lshrrev_b64 v[39:40], s63, v[39:40]
	v_and_b32_e32 v163, s65, v39
	s_or_b32 exec_lo, exec_lo, s56
	s_and_saveexec_b32 s56, s27
	s_cbranch_execz .LBB1251_517
.LBB1251_583:                           ;   in Loop: Header=BB1251_398 Depth=2
	ds_read_b64 v[39:40], v108 offset:10752
	s_waitcnt lgkmcnt(0)
	v_cmp_ne_u64_e64 s39, s[46:47], v[39:40]
	v_cndmask_b32_e64 v40, 0x80000000, v40, s39
	v_cndmask_b32_e64 v39, 0, v39, s39
	v_lshrrev_b64 v[39:40], s63, v[39:40]
	v_and_b32_e32 v162, s65, v39
	s_or_b32 exec_lo, exec_lo, s56
	s_and_saveexec_b32 s56, s28
	s_cbranch_execz .LBB1251_518
.LBB1251_584:                           ;   in Loop: Header=BB1251_398 Depth=2
	ds_read_b64 v[39:40], v108 offset:12800
	s_waitcnt lgkmcnt(0)
	v_cmp_ne_u64_e64 s39, s[46:47], v[39:40]
	v_cndmask_b32_e64 v40, 0x80000000, v40, s39
	v_cndmask_b32_e64 v39, 0, v39, s39
	v_lshrrev_b64 v[39:40], s63, v[39:40]
	v_and_b32_e32 v161, s65, v39
	s_or_b32 exec_lo, exec_lo, s56
	s_and_saveexec_b32 s56, s29
	s_cbranch_execz .LBB1251_519
.LBB1251_585:                           ;   in Loop: Header=BB1251_398 Depth=2
	ds_read_b64 v[39:40], v108 offset:14848
	s_waitcnt lgkmcnt(0)
	v_cmp_ne_u64_e64 s39, s[46:47], v[39:40]
	v_cndmask_b32_e64 v40, 0x80000000, v40, s39
	v_cndmask_b32_e64 v39, 0, v39, s39
	v_lshrrev_b64 v[39:40], s63, v[39:40]
	v_and_b32_e32 v160, s65, v39
	s_or_b32 exec_lo, exec_lo, s56
	s_and_saveexec_b32 s56, s30
	s_cbranch_execz .LBB1251_520
.LBB1251_586:                           ;   in Loop: Header=BB1251_398 Depth=2
	ds_read_b64 v[39:40], v108 offset:16896
	s_waitcnt lgkmcnt(0)
	v_cmp_ne_u64_e64 s39, s[46:47], v[39:40]
	v_cndmask_b32_e64 v40, 0x80000000, v40, s39
	v_cndmask_b32_e64 v39, 0, v39, s39
	v_lshrrev_b64 v[39:40], s63, v[39:40]
	v_and_b32_e32 v159, s65, v39
	s_or_b32 exec_lo, exec_lo, s56
	s_and_saveexec_b32 s56, s31
	s_cbranch_execz .LBB1251_521
.LBB1251_587:                           ;   in Loop: Header=BB1251_398 Depth=2
	ds_read_b64 v[39:40], v108 offset:18944
	s_waitcnt lgkmcnt(0)
	v_cmp_ne_u64_e64 s39, s[46:47], v[39:40]
	v_cndmask_b32_e64 v40, 0x80000000, v40, s39
	v_cndmask_b32_e64 v39, 0, v39, s39
	v_lshrrev_b64 v[39:40], s63, v[39:40]
	v_and_b32_e32 v157, s65, v39
	s_or_b32 exec_lo, exec_lo, s56
	s_and_saveexec_b32 s56, s33
	s_cbranch_execz .LBB1251_522
.LBB1251_588:                           ;   in Loop: Header=BB1251_398 Depth=2
	ds_read_b64 v[39:40], v108 offset:20992
	s_waitcnt lgkmcnt(0)
	v_cmp_ne_u64_e64 s39, s[46:47], v[39:40]
	v_cndmask_b32_e64 v40, 0x80000000, v40, s39
	v_cndmask_b32_e64 v39, 0, v39, s39
	v_lshrrev_b64 v[39:40], s63, v[39:40]
	v_and_b32_e32 v156, s65, v39
	s_or_b32 exec_lo, exec_lo, s56
	s_and_saveexec_b32 s56, s34
	s_cbranch_execz .LBB1251_523
.LBB1251_589:                           ;   in Loop: Header=BB1251_398 Depth=2
	ds_read_b64 v[39:40], v108 offset:23040
	s_waitcnt lgkmcnt(0)
	v_cmp_ne_u64_e64 s39, s[46:47], v[39:40]
	v_cndmask_b32_e64 v40, 0x80000000, v40, s39
	v_cndmask_b32_e64 v39, 0, v39, s39
	v_lshrrev_b64 v[39:40], s63, v[39:40]
	v_and_b32_e32 v155, s65, v39
	s_or_b32 exec_lo, exec_lo, s56
	s_and_saveexec_b32 s56, s35
	s_cbranch_execz .LBB1251_524
.LBB1251_590:                           ;   in Loop: Header=BB1251_398 Depth=2
	ds_read_b64 v[39:40], v108 offset:25088
	s_waitcnt lgkmcnt(0)
	v_cmp_ne_u64_e64 s39, s[46:47], v[39:40]
	v_cndmask_b32_e64 v40, 0x80000000, v40, s39
	v_cndmask_b32_e64 v39, 0, v39, s39
	v_lshrrev_b64 v[39:40], s63, v[39:40]
	v_and_b32_e32 v154, s65, v39
	s_or_b32 exec_lo, exec_lo, s56
	s_and_saveexec_b32 s56, s36
	s_cbranch_execz .LBB1251_525
.LBB1251_591:                           ;   in Loop: Header=BB1251_398 Depth=2
	ds_read_b64 v[39:40], v108 offset:27136
	s_waitcnt lgkmcnt(0)
	v_cmp_ne_u64_e64 s39, s[46:47], v[39:40]
	v_cndmask_b32_e64 v40, 0x80000000, v40, s39
	v_cndmask_b32_e64 v39, 0, v39, s39
	v_lshrrev_b64 v[39:40], s63, v[39:40]
	v_and_b32_e32 v153, s65, v39
	s_or_b32 exec_lo, exec_lo, s56
	s_and_saveexec_b32 s56, s37
	s_cbranch_execz .LBB1251_526
.LBB1251_592:                           ;   in Loop: Header=BB1251_398 Depth=2
	ds_read_b64 v[39:40], v108 offset:29184
	s_waitcnt lgkmcnt(0)
	v_cmp_ne_u64_e64 s39, s[46:47], v[39:40]
	v_cndmask_b32_e64 v40, 0x80000000, v40, s39
	v_cndmask_b32_e64 v39, 0, v39, s39
	v_lshrrev_b64 v[39:40], s63, v[39:40]
	v_and_b32_e32 v152, s65, v39
	s_or_b32 exec_lo, exec_lo, s56
	s_and_saveexec_b32 s56, s38
	s_cbranch_execnz .LBB1251_527
	s_branch .LBB1251_528
.LBB1251_593:                           ;   in Loop: Header=BB1251_398 Depth=2
	v_lshlrev_b32_e32 v3, 2, v167
	ds_read_b32 v3, v3
	ds_read_b64 v[39:40], v108 offset:512
	s_waitcnt lgkmcnt(1)
	v_add_nc_u32_e32 v3, v3, v0
	v_lshlrev_b64 v[41:42], 3, v[3:4]
	v_add_co_u32 v41, vcc_lo, s50, v41
	v_add_co_ci_u32_e64 v42, null, s51, v42, vcc_lo
	s_waitcnt lgkmcnt(0)
	global_store_dwordx2 v[41:42], v[39:40], off
	s_or_b32 exec_lo, exec_lo, s39
	s_and_saveexec_b32 s39, s23
	s_cbranch_execz .LBB1251_530
.LBB1251_594:                           ;   in Loop: Header=BB1251_398 Depth=2
	v_lshlrev_b32_e32 v3, 2, v166
	ds_read_b32 v3, v3
	ds_read_b64 v[39:40], v108 offset:2560
	s_waitcnt lgkmcnt(1)
	v_add_nc_u32_e32 v3, v3, v76
	v_lshlrev_b64 v[41:42], 3, v[3:4]
	v_add_co_u32 v41, vcc_lo, s50, v41
	v_add_co_ci_u32_e64 v42, null, s51, v42, vcc_lo
	s_waitcnt lgkmcnt(0)
	global_store_dwordx2 v[41:42], v[39:40], off
	s_or_b32 exec_lo, exec_lo, s39
	s_and_saveexec_b32 s23, s24
	s_cbranch_execz .LBB1251_531
.LBB1251_595:                           ;   in Loop: Header=BB1251_398 Depth=2
	v_lshlrev_b32_e32 v3, 2, v165
	ds_read_b32 v3, v3
	ds_read_b64 v[39:40], v108 offset:4608
	s_waitcnt lgkmcnt(1)
	v_add_nc_u32_e32 v3, v3, v79
	v_lshlrev_b64 v[41:42], 3, v[3:4]
	v_add_co_u32 v41, vcc_lo, s50, v41
	v_add_co_ci_u32_e64 v42, null, s51, v42, vcc_lo
	s_waitcnt lgkmcnt(0)
	global_store_dwordx2 v[41:42], v[39:40], off
	s_or_b32 exec_lo, exec_lo, s23
	s_and_saveexec_b32 s23, s25
	s_cbranch_execz .LBB1251_532
.LBB1251_596:                           ;   in Loop: Header=BB1251_398 Depth=2
	v_lshlrev_b32_e32 v3, 2, v164
	ds_read_b32 v3, v3
	ds_read_b64 v[39:40], v108 offset:6656
	s_waitcnt lgkmcnt(1)
	v_add_nc_u32_e32 v3, v3, v80
	v_lshlrev_b64 v[41:42], 3, v[3:4]
	v_add_co_u32 v41, vcc_lo, s50, v41
	v_add_co_ci_u32_e64 v42, null, s51, v42, vcc_lo
	s_waitcnt lgkmcnt(0)
	global_store_dwordx2 v[41:42], v[39:40], off
	s_or_b32 exec_lo, exec_lo, s23
	s_and_saveexec_b32 s23, s26
	s_cbranch_execz .LBB1251_533
.LBB1251_597:                           ;   in Loop: Header=BB1251_398 Depth=2
	v_lshlrev_b32_e32 v3, 2, v163
	ds_read_b32 v3, v3
	ds_read_b64 v[39:40], v108 offset:8704
	s_waitcnt lgkmcnt(1)
	v_add_nc_u32_e32 v3, v3, v81
	v_lshlrev_b64 v[41:42], 3, v[3:4]
	v_add_co_u32 v41, vcc_lo, s50, v41
	v_add_co_ci_u32_e64 v42, null, s51, v42, vcc_lo
	s_waitcnt lgkmcnt(0)
	global_store_dwordx2 v[41:42], v[39:40], off
	s_or_b32 exec_lo, exec_lo, s23
	s_and_saveexec_b32 s23, s27
	s_cbranch_execz .LBB1251_534
.LBB1251_598:                           ;   in Loop: Header=BB1251_398 Depth=2
	v_lshlrev_b32_e32 v3, 2, v162
	ds_read_b32 v3, v3
	ds_read_b64 v[39:40], v108 offset:10752
	s_waitcnt lgkmcnt(1)
	v_add_nc_u32_e32 v3, v3, v82
	v_lshlrev_b64 v[41:42], 3, v[3:4]
	v_add_co_u32 v41, vcc_lo, s50, v41
	v_add_co_ci_u32_e64 v42, null, s51, v42, vcc_lo
	s_waitcnt lgkmcnt(0)
	global_store_dwordx2 v[41:42], v[39:40], off
	s_or_b32 exec_lo, exec_lo, s23
	s_and_saveexec_b32 s23, s28
	s_cbranch_execz .LBB1251_535
.LBB1251_599:                           ;   in Loop: Header=BB1251_398 Depth=2
	v_lshlrev_b32_e32 v3, 2, v161
	ds_read_b32 v3, v3
	ds_read_b64 v[39:40], v108 offset:12800
	s_waitcnt lgkmcnt(1)
	v_add_nc_u32_e32 v3, v3, v83
	v_lshlrev_b64 v[41:42], 3, v[3:4]
	v_add_co_u32 v41, vcc_lo, s50, v41
	v_add_co_ci_u32_e64 v42, null, s51, v42, vcc_lo
	s_waitcnt lgkmcnt(0)
	global_store_dwordx2 v[41:42], v[39:40], off
	s_or_b32 exec_lo, exec_lo, s23
	s_and_saveexec_b32 s23, s29
	s_cbranch_execz .LBB1251_536
.LBB1251_600:                           ;   in Loop: Header=BB1251_398 Depth=2
	v_lshlrev_b32_e32 v3, 2, v160
	ds_read_b32 v3, v3
	ds_read_b64 v[39:40], v108 offset:14848
	s_waitcnt lgkmcnt(1)
	v_add_nc_u32_e32 v3, v3, v84
	v_lshlrev_b64 v[41:42], 3, v[3:4]
	v_add_co_u32 v41, vcc_lo, s50, v41
	v_add_co_ci_u32_e64 v42, null, s51, v42, vcc_lo
	s_waitcnt lgkmcnt(0)
	global_store_dwordx2 v[41:42], v[39:40], off
	s_or_b32 exec_lo, exec_lo, s23
	s_and_saveexec_b32 s23, s30
	s_cbranch_execz .LBB1251_537
.LBB1251_601:                           ;   in Loop: Header=BB1251_398 Depth=2
	v_lshlrev_b32_e32 v3, 2, v159
	ds_read_b32 v3, v3
	ds_read_b64 v[39:40], v108 offset:16896
	s_waitcnt lgkmcnt(1)
	v_add_nc_u32_e32 v3, v3, v85
	v_lshlrev_b64 v[41:42], 3, v[3:4]
	v_add_co_u32 v41, vcc_lo, s50, v41
	v_add_co_ci_u32_e64 v42, null, s51, v42, vcc_lo
	s_waitcnt lgkmcnt(0)
	global_store_dwordx2 v[41:42], v[39:40], off
	s_or_b32 exec_lo, exec_lo, s23
	s_and_saveexec_b32 s23, s31
	s_cbranch_execz .LBB1251_538
.LBB1251_602:                           ;   in Loop: Header=BB1251_398 Depth=2
	v_lshlrev_b32_e32 v3, 2, v157
	ds_read_b32 v3, v3
	ds_read_b64 v[39:40], v108 offset:18944
	s_waitcnt lgkmcnt(1)
	v_add_nc_u32_e32 v3, v3, v86
	v_lshlrev_b64 v[41:42], 3, v[3:4]
	v_add_co_u32 v41, vcc_lo, s50, v41
	v_add_co_ci_u32_e64 v42, null, s51, v42, vcc_lo
	s_waitcnt lgkmcnt(0)
	global_store_dwordx2 v[41:42], v[39:40], off
	s_or_b32 exec_lo, exec_lo, s23
	s_and_saveexec_b32 s23, s33
	s_cbranch_execz .LBB1251_539
.LBB1251_603:                           ;   in Loop: Header=BB1251_398 Depth=2
	v_lshlrev_b32_e32 v3, 2, v156
	ds_read_b32 v3, v3
	ds_read_b64 v[39:40], v108 offset:20992
	s_waitcnt lgkmcnt(1)
	v_add_nc_u32_e32 v3, v3, v87
	v_lshlrev_b64 v[41:42], 3, v[3:4]
	v_add_co_u32 v41, vcc_lo, s50, v41
	v_add_co_ci_u32_e64 v42, null, s51, v42, vcc_lo
	s_waitcnt lgkmcnt(0)
	global_store_dwordx2 v[41:42], v[39:40], off
	s_or_b32 exec_lo, exec_lo, s23
	s_and_saveexec_b32 s23, s34
	s_cbranch_execz .LBB1251_540
.LBB1251_604:                           ;   in Loop: Header=BB1251_398 Depth=2
	v_lshlrev_b32_e32 v3, 2, v155
	ds_read_b32 v3, v3
	ds_read_b64 v[39:40], v108 offset:23040
	s_waitcnt lgkmcnt(1)
	v_add_nc_u32_e32 v3, v3, v88
	v_lshlrev_b64 v[41:42], 3, v[3:4]
	v_add_co_u32 v41, vcc_lo, s50, v41
	v_add_co_ci_u32_e64 v42, null, s51, v42, vcc_lo
	s_waitcnt lgkmcnt(0)
	global_store_dwordx2 v[41:42], v[39:40], off
	s_or_b32 exec_lo, exec_lo, s23
	s_and_saveexec_b32 s23, s35
	s_cbranch_execz .LBB1251_541
.LBB1251_605:                           ;   in Loop: Header=BB1251_398 Depth=2
	v_lshlrev_b32_e32 v3, 2, v154
	ds_read_b32 v3, v3
	ds_read_b64 v[39:40], v108 offset:25088
	s_waitcnt lgkmcnt(1)
	v_add_nc_u32_e32 v3, v3, v89
	v_lshlrev_b64 v[41:42], 3, v[3:4]
	v_add_co_u32 v41, vcc_lo, s50, v41
	v_add_co_ci_u32_e64 v42, null, s51, v42, vcc_lo
	s_waitcnt lgkmcnt(0)
	global_store_dwordx2 v[41:42], v[39:40], off
	s_or_b32 exec_lo, exec_lo, s23
	s_and_saveexec_b32 s23, s36
	s_cbranch_execz .LBB1251_542
.LBB1251_606:                           ;   in Loop: Header=BB1251_398 Depth=2
	v_lshlrev_b32_e32 v3, 2, v153
	ds_read_b32 v3, v3
	ds_read_b64 v[39:40], v108 offset:27136
	s_waitcnt lgkmcnt(1)
	v_add_nc_u32_e32 v3, v3, v90
	v_lshlrev_b64 v[41:42], 3, v[3:4]
	v_add_co_u32 v41, vcc_lo, s50, v41
	v_add_co_ci_u32_e64 v42, null, s51, v42, vcc_lo
	s_waitcnt lgkmcnt(0)
	global_store_dwordx2 v[41:42], v[39:40], off
	s_or_b32 exec_lo, exec_lo, s23
	s_and_saveexec_b32 s23, s37
	s_cbranch_execz .LBB1251_543
.LBB1251_607:                           ;   in Loop: Header=BB1251_398 Depth=2
	v_lshlrev_b32_e32 v3, 2, v152
	ds_read_b32 v3, v3
	ds_read_b64 v[39:40], v108 offset:29184
	s_waitcnt lgkmcnt(1)
	v_add_nc_u32_e32 v3, v3, v91
	v_lshlrev_b64 v[41:42], 3, v[3:4]
	v_add_co_u32 v41, vcc_lo, s50, v41
	v_add_co_ci_u32_e64 v42, null, s51, v42, vcc_lo
	s_waitcnt lgkmcnt(0)
	global_store_dwordx2 v[41:42], v[39:40], off
	s_or_b32 exec_lo, exec_lo, s23
	s_and_saveexec_b32 s23, s38
	s_cbranch_execnz .LBB1251_544
	s_branch .LBB1251_545
.LBB1251_608:                           ;   in Loop: Header=BB1251_20 Depth=1
	s_waitcnt lgkmcnt(0)
	s_barrier
.LBB1251_609:                           ;   in Loop: Header=BB1251_20 Depth=1
	s_mov_b32 s14, 0
.LBB1251_610:                           ;   in Loop: Header=BB1251_20 Depth=1
	s_andn2_b32 vcc_lo, exec_lo, s14
	s_cbranch_vccnz .LBB1251_19
; %bb.611:                              ;   in Loop: Header=BB1251_20 Depth=1
	s_lshl_b32 s14, -1, s64
	s_and_b32 vcc_lo, exec_lo, s55
	s_not_b32 s64, s14
	s_mov_b32 s14, -1
	s_cbranch_vccz .LBB1251_905
; %bb.612:                              ;   in Loop: Header=BB1251_20 Depth=1
	s_mov_b32 s16, s62
	s_mov_b32 s56, s60
	s_barrier
	buffer_gl0_inv
                                        ; implicit-def: $vgpr7_vgpr8
                                        ; implicit-def: $vgpr9_vgpr10
                                        ; implicit-def: $vgpr11_vgpr12
                                        ; implicit-def: $vgpr13_vgpr14
                                        ; implicit-def: $vgpr15_vgpr16
                                        ; implicit-def: $vgpr17_vgpr18
                                        ; implicit-def: $vgpr19_vgpr20
                                        ; implicit-def: $vgpr21_vgpr22
                                        ; implicit-def: $vgpr23_vgpr24
                                        ; implicit-def: $vgpr25_vgpr26
                                        ; implicit-def: $vgpr27_vgpr28
                                        ; implicit-def: $vgpr29_vgpr30
                                        ; implicit-def: $vgpr31_vgpr32
                                        ; implicit-def: $vgpr33_vgpr34
                                        ; implicit-def: $vgpr35_vgpr36
                                        ; implicit-def: $vgpr37_vgpr38
	s_branch .LBB1251_614
.LBB1251_613:                           ;   in Loop: Header=BB1251_614 Depth=2
	s_or_b32 exec_lo, exec_lo, s14
	s_addk_i32 s16, 0xf000
	s_cmp_ge_u32 s17, s61
	s_mov_b32 s56, s17
	s_cbranch_scc1 .LBB1251_682
.LBB1251_614:                           ;   Parent Loop BB1251_20 Depth=1
                                        ; =>  This Inner Loop Header: Depth=2
	s_add_i32 s17, s56, 0x1000
	s_mov_b32 s14, -1
	s_cmp_gt_u32 s17, s61
                                        ; implicit-def: $vgpr49_vgpr50
                                        ; implicit-def: $vgpr53_vgpr54
                                        ; implicit-def: $vgpr57_vgpr58
                                        ; implicit-def: $vgpr39_vgpr40
                                        ; implicit-def: $vgpr41_vgpr42
                                        ; implicit-def: $vgpr43_vgpr44
                                        ; implicit-def: $vgpr45_vgpr46
                                        ; implicit-def: $vgpr47_vgpr48
                                        ; implicit-def: $vgpr51_vgpr52
                                        ; implicit-def: $vgpr55_vgpr56
                                        ; implicit-def: $vgpr59_vgpr60
                                        ; implicit-def: $vgpr61_vgpr62
                                        ; implicit-def: $vgpr63_vgpr64
                                        ; implicit-def: $vgpr65_vgpr66
                                        ; implicit-def: $vgpr67_vgpr68
                                        ; implicit-def: $vgpr69_vgpr70
	s_cbranch_scc1 .LBB1251_616
; %bb.615:                              ;   in Loop: Header=BB1251_614 Depth=2
	s_lshl_b64 s[14:15], s[56:57], 3
	v_add_co_u32 v49, vcc_lo, v115, s14
	v_add_co_ci_u32_e64 v50, null, s15, v116, vcc_lo
	s_mov_b32 s14, 0
	v_add_co_u32 v57, vcc_lo, v49, 0x1000
	v_add_co_ci_u32_e64 v58, null, 0, v50, vcc_lo
	v_add_co_u32 v41, vcc_lo, v49, 0x2000
	v_add_co_ci_u32_e64 v42, null, 0, v50, vcc_lo
	;; [unrolled: 2-line block ×5, first 2 shown]
	s_clause 0x7
	global_load_dwordx2 v[39:40], v[41:42], off offset:-2048
	global_load_dwordx2 v[41:42], v[41:42], off
	global_load_dwordx2 v[43:44], v[45:46], off offset:-2048
	global_load_dwordx2 v[45:46], v[45:46], off
	global_load_dwordx2 v[47:48], v[51:52], off offset:-2048
	global_load_dwordx2 v[51:52], v[51:52], off
	global_load_dwordx2 v[55:56], v[53:54], off offset:-2048
	global_load_dwordx2 v[59:60], v[53:54], off
	v_add_co_u32 v53, vcc_lo, v49, 0x6000
	v_add_co_ci_u32_e64 v54, null, 0, v50, vcc_lo
	v_add_co_u32 v67, vcc_lo, v49, 0x7000
	v_add_co_ci_u32_e64 v68, null, 0, v50, vcc_lo
	;; [unrolled: 2-line block ×3, first 2 shown]
	s_clause 0x7
	global_load_dwordx2 v[61:62], v[53:54], off offset:-2048
	global_load_dwordx2 v[63:64], v[53:54], off
	global_load_dwordx2 v[65:66], v[67:68], off offset:-2048
	global_load_dwordx2 v[67:68], v[67:68], off
	global_load_dwordx2 v[49:50], v[49:50], off
	global_load_dwordx2 v[53:54], v[57:58], off offset:-2048
	global_load_dwordx2 v[57:58], v[57:58], off
	global_load_dwordx2 v[69:70], v[69:70], off
.LBB1251_616:                           ;   in Loop: Header=BB1251_614 Depth=2
	s_andn2_b32 vcc_lo, exec_lo, s14
	s_movk_i32 s14, 0x1000
	s_cbranch_vccnz .LBB1251_635
; %bb.617:                              ;   in Loop: Header=BB1251_614 Depth=2
	s_lshl_b64 s[14:15], s[56:57], 3
	s_mov_b32 s18, exec_lo
	s_add_u32 s14, s40, s14
	s_addc_u32 s15, s41, s15
	v_cmpx_gt_u32_e64 s16, v0
	s_cbranch_execnz .LBB1251_667
; %bb.618:                              ;   in Loop: Header=BB1251_614 Depth=2
	s_or_b32 exec_lo, exec_lo, s18
	s_mov_b32 s18, exec_lo
	v_cmpx_gt_u32_e64 s16, v76
	s_cbranch_execnz .LBB1251_668
.LBB1251_619:                           ;   in Loop: Header=BB1251_614 Depth=2
	s_or_b32 exec_lo, exec_lo, s18
	s_mov_b32 s18, exec_lo
	v_cmpx_gt_u32_e64 s16, v79
	s_cbranch_execnz .LBB1251_669
.LBB1251_620:                           ;   in Loop: Header=BB1251_614 Depth=2
	s_or_b32 exec_lo, exec_lo, s18
	s_mov_b32 s18, exec_lo
	v_cmpx_gt_u32_e64 s16, v80
	s_cbranch_execnz .LBB1251_670
.LBB1251_621:                           ;   in Loop: Header=BB1251_614 Depth=2
	s_or_b32 exec_lo, exec_lo, s18
	s_mov_b32 s18, exec_lo
	v_cmpx_gt_u32_e64 s16, v81
	s_cbranch_execnz .LBB1251_671
.LBB1251_622:                           ;   in Loop: Header=BB1251_614 Depth=2
	s_or_b32 exec_lo, exec_lo, s18
	s_mov_b32 s18, exec_lo
	v_cmpx_gt_u32_e64 s16, v82
	s_cbranch_execnz .LBB1251_672
.LBB1251_623:                           ;   in Loop: Header=BB1251_614 Depth=2
	s_or_b32 exec_lo, exec_lo, s18
	s_mov_b32 s18, exec_lo
	v_cmpx_gt_u32_e64 s16, v83
	s_cbranch_execnz .LBB1251_673
.LBB1251_624:                           ;   in Loop: Header=BB1251_614 Depth=2
	s_or_b32 exec_lo, exec_lo, s18
	s_mov_b32 s18, exec_lo
	v_cmpx_gt_u32_e64 s16, v84
	s_cbranch_execnz .LBB1251_674
.LBB1251_625:                           ;   in Loop: Header=BB1251_614 Depth=2
	s_or_b32 exec_lo, exec_lo, s18
	s_mov_b32 s18, exec_lo
	v_cmpx_gt_u32_e64 s16, v85
	s_cbranch_execnz .LBB1251_675
.LBB1251_626:                           ;   in Loop: Header=BB1251_614 Depth=2
	s_or_b32 exec_lo, exec_lo, s18
	s_mov_b32 s18, exec_lo
	v_cmpx_gt_u32_e64 s16, v86
	s_cbranch_execnz .LBB1251_676
.LBB1251_627:                           ;   in Loop: Header=BB1251_614 Depth=2
	s_or_b32 exec_lo, exec_lo, s18
	s_mov_b32 s18, exec_lo
	v_cmpx_gt_u32_e64 s16, v87
	s_cbranch_execnz .LBB1251_677
.LBB1251_628:                           ;   in Loop: Header=BB1251_614 Depth=2
	s_or_b32 exec_lo, exec_lo, s18
	s_mov_b32 s18, exec_lo
	v_cmpx_gt_u32_e64 s16, v88
	s_cbranch_execnz .LBB1251_678
.LBB1251_629:                           ;   in Loop: Header=BB1251_614 Depth=2
	s_or_b32 exec_lo, exec_lo, s18
	s_mov_b32 s18, exec_lo
	v_cmpx_gt_u32_e64 s16, v89
	s_cbranch_execnz .LBB1251_679
.LBB1251_630:                           ;   in Loop: Header=BB1251_614 Depth=2
	s_or_b32 exec_lo, exec_lo, s18
	s_mov_b32 s18, exec_lo
	v_cmpx_gt_u32_e64 s16, v90
	s_cbranch_execnz .LBB1251_680
.LBB1251_631:                           ;   in Loop: Header=BB1251_614 Depth=2
	s_or_b32 exec_lo, exec_lo, s18
	s_mov_b32 s18, exec_lo
	v_cmpx_gt_u32_e64 s16, v91
	s_cbranch_execnz .LBB1251_681
.LBB1251_632:                           ;   in Loop: Header=BB1251_614 Depth=2
	s_or_b32 exec_lo, exec_lo, s18
	s_mov_b32 s18, exec_lo
	v_cmpx_gt_u32_e64 s16, v92
	s_cbranch_execz .LBB1251_634
.LBB1251_633:                           ;   in Loop: Header=BB1251_614 Depth=2
	v_lshlrev_b32_e32 v3, 3, v92
	global_load_dwordx2 v[7:8], v3, s[14:15]
.LBB1251_634:                           ;   in Loop: Header=BB1251_614 Depth=2
	s_or_b32 exec_lo, exec_lo, s18
	s_waitcnt vmcnt(0)
	v_mov_b32_e32 v50, v38
	v_mov_b32_e32 v54, v36
	;; [unrolled: 1-line block ×32, first 2 shown]
	s_mov_b32 s14, s16
.LBB1251_635:                           ;   in Loop: Header=BB1251_614 Depth=2
	s_waitcnt vmcnt(0)
	v_mov_b32_e32 v7, v69
	v_mov_b32_e32 v9, v67
	;; [unrolled: 1-line block ×32, first 2 shown]
	s_mov_b32 s15, exec_lo
	v_cmpx_gt_u32_e64 s14, v0
	s_cbranch_execnz .LBB1251_651
; %bb.636:                              ;   in Loop: Header=BB1251_614 Depth=2
	s_or_b32 exec_lo, exec_lo, s15
	s_mov_b32 s15, exec_lo
	v_cmpx_gt_u32_e64 s14, v76
	s_cbranch_execnz .LBB1251_652
.LBB1251_637:                           ;   in Loop: Header=BB1251_614 Depth=2
	s_or_b32 exec_lo, exec_lo, s15
	s_mov_b32 s15, exec_lo
	v_cmpx_gt_u32_e64 s14, v79
	s_cbranch_execnz .LBB1251_653
.LBB1251_638:                           ;   in Loop: Header=BB1251_614 Depth=2
	s_or_b32 exec_lo, exec_lo, s15
	s_mov_b32 s15, exec_lo
	v_cmpx_gt_u32_e64 s14, v80
	s_cbranch_execnz .LBB1251_654
.LBB1251_639:                           ;   in Loop: Header=BB1251_614 Depth=2
	s_or_b32 exec_lo, exec_lo, s15
	s_mov_b32 s15, exec_lo
	v_cmpx_gt_u32_e64 s14, v81
	s_cbranch_execnz .LBB1251_655
.LBB1251_640:                           ;   in Loop: Header=BB1251_614 Depth=2
	s_or_b32 exec_lo, exec_lo, s15
	s_mov_b32 s15, exec_lo
	v_cmpx_gt_u32_e64 s14, v82
	s_cbranch_execnz .LBB1251_656
.LBB1251_641:                           ;   in Loop: Header=BB1251_614 Depth=2
	s_or_b32 exec_lo, exec_lo, s15
	s_mov_b32 s15, exec_lo
	v_cmpx_gt_u32_e64 s14, v83
	s_cbranch_execnz .LBB1251_657
.LBB1251_642:                           ;   in Loop: Header=BB1251_614 Depth=2
	s_or_b32 exec_lo, exec_lo, s15
	s_mov_b32 s15, exec_lo
	v_cmpx_gt_u32_e64 s14, v84
	s_cbranch_execnz .LBB1251_658
.LBB1251_643:                           ;   in Loop: Header=BB1251_614 Depth=2
	s_or_b32 exec_lo, exec_lo, s15
	s_mov_b32 s15, exec_lo
	v_cmpx_gt_u32_e64 s14, v85
	s_cbranch_execnz .LBB1251_659
.LBB1251_644:                           ;   in Loop: Header=BB1251_614 Depth=2
	s_or_b32 exec_lo, exec_lo, s15
	s_mov_b32 s15, exec_lo
	v_cmpx_gt_u32_e64 s14, v86
	s_cbranch_execnz .LBB1251_660
.LBB1251_645:                           ;   in Loop: Header=BB1251_614 Depth=2
	s_or_b32 exec_lo, exec_lo, s15
	s_mov_b32 s15, exec_lo
	v_cmpx_gt_u32_e64 s14, v87
	s_cbranch_execnz .LBB1251_661
.LBB1251_646:                           ;   in Loop: Header=BB1251_614 Depth=2
	s_or_b32 exec_lo, exec_lo, s15
	s_mov_b32 s15, exec_lo
	v_cmpx_gt_u32_e64 s14, v88
	s_cbranch_execnz .LBB1251_662
.LBB1251_647:                           ;   in Loop: Header=BB1251_614 Depth=2
	s_or_b32 exec_lo, exec_lo, s15
	s_mov_b32 s15, exec_lo
	v_cmpx_gt_u32_e64 s14, v89
	s_cbranch_execnz .LBB1251_663
.LBB1251_648:                           ;   in Loop: Header=BB1251_614 Depth=2
	s_or_b32 exec_lo, exec_lo, s15
	s_mov_b32 s15, exec_lo
	v_cmpx_gt_u32_e64 s14, v90
	s_cbranch_execnz .LBB1251_664
.LBB1251_649:                           ;   in Loop: Header=BB1251_614 Depth=2
	s_or_b32 exec_lo, exec_lo, s15
	s_mov_b32 s15, exec_lo
	v_cmpx_gt_u32_e64 s14, v91
	s_cbranch_execnz .LBB1251_665
.LBB1251_650:                           ;   in Loop: Header=BB1251_614 Depth=2
	s_or_b32 exec_lo, exec_lo, s15
	v_cmp_gt_u32_e32 vcc_lo, s14, v92
	s_and_saveexec_b32 s14, vcc_lo
	s_cbranch_execz .LBB1251_613
	s_branch .LBB1251_666
.LBB1251_651:                           ;   in Loop: Header=BB1251_614 Depth=2
	v_cmp_lt_i64_e32 vcc_lo, -1, v[37:38]
	v_ashrrev_i32_e32 v39, 31, v38
	v_xor_b32_e32 v39, v39, v37
	v_cndmask_b32_e64 v3, -1, 0x80000000, vcc_lo
	v_xor_b32_e32 v40, v3, v38
	v_cmp_ne_u64_e32 vcc_lo, s[46:47], v[39:40]
	v_cndmask_b32_e32 v40, 0x80000000, v40, vcc_lo
	v_cndmask_b32_e32 v39, 0, v39, vcc_lo
	v_lshrrev_b64 v[39:40], s52, v[39:40]
	v_and_b32_e32 v3, s64, v39
	v_lshl_or_b32 v3, v3, 4, v93
	ds_add_u32 v3, v121
	s_or_b32 exec_lo, exec_lo, s15
	s_mov_b32 s15, exec_lo
	v_cmpx_gt_u32_e64 s14, v76
	s_cbranch_execz .LBB1251_637
.LBB1251_652:                           ;   in Loop: Header=BB1251_614 Depth=2
	v_cmp_lt_i64_e32 vcc_lo, -1, v[35:36]
	v_ashrrev_i32_e32 v39, 31, v36
	v_xor_b32_e32 v39, v39, v35
	v_cndmask_b32_e64 v3, -1, 0x80000000, vcc_lo
	v_xor_b32_e32 v40, v3, v36
	v_cmp_ne_u64_e32 vcc_lo, s[46:47], v[39:40]
	v_cndmask_b32_e32 v40, 0x80000000, v40, vcc_lo
	v_cndmask_b32_e32 v39, 0, v39, vcc_lo
	v_lshrrev_b64 v[39:40], s52, v[39:40]
	v_and_b32_e32 v3, s64, v39
	v_lshl_or_b32 v3, v3, 4, v93
	ds_add_u32 v3, v121
	s_or_b32 exec_lo, exec_lo, s15
	s_mov_b32 s15, exec_lo
	v_cmpx_gt_u32_e64 s14, v79
	s_cbranch_execz .LBB1251_638
.LBB1251_653:                           ;   in Loop: Header=BB1251_614 Depth=2
	v_cmp_lt_i64_e32 vcc_lo, -1, v[33:34]
	v_ashrrev_i32_e32 v39, 31, v34
	v_xor_b32_e32 v39, v39, v33
	v_cndmask_b32_e64 v3, -1, 0x80000000, vcc_lo
	v_xor_b32_e32 v40, v3, v34
	v_cmp_ne_u64_e32 vcc_lo, s[46:47], v[39:40]
	v_cndmask_b32_e32 v40, 0x80000000, v40, vcc_lo
	v_cndmask_b32_e32 v39, 0, v39, vcc_lo
	v_lshrrev_b64 v[39:40], s52, v[39:40]
	v_and_b32_e32 v3, s64, v39
	v_lshl_or_b32 v3, v3, 4, v93
	ds_add_u32 v3, v121
	s_or_b32 exec_lo, exec_lo, s15
	s_mov_b32 s15, exec_lo
	v_cmpx_gt_u32_e64 s14, v80
	s_cbranch_execz .LBB1251_639
.LBB1251_654:                           ;   in Loop: Header=BB1251_614 Depth=2
	v_cmp_lt_i64_e32 vcc_lo, -1, v[31:32]
	v_ashrrev_i32_e32 v39, 31, v32
	v_xor_b32_e32 v39, v39, v31
	v_cndmask_b32_e64 v3, -1, 0x80000000, vcc_lo
	v_xor_b32_e32 v40, v3, v32
	v_cmp_ne_u64_e32 vcc_lo, s[46:47], v[39:40]
	v_cndmask_b32_e32 v40, 0x80000000, v40, vcc_lo
	v_cndmask_b32_e32 v39, 0, v39, vcc_lo
	v_lshrrev_b64 v[39:40], s52, v[39:40]
	v_and_b32_e32 v3, s64, v39
	v_lshl_or_b32 v3, v3, 4, v93
	ds_add_u32 v3, v121
	s_or_b32 exec_lo, exec_lo, s15
	s_mov_b32 s15, exec_lo
	v_cmpx_gt_u32_e64 s14, v81
	s_cbranch_execz .LBB1251_640
.LBB1251_655:                           ;   in Loop: Header=BB1251_614 Depth=2
	v_cmp_lt_i64_e32 vcc_lo, -1, v[29:30]
	v_ashrrev_i32_e32 v39, 31, v30
	v_xor_b32_e32 v39, v39, v29
	v_cndmask_b32_e64 v3, -1, 0x80000000, vcc_lo
	v_xor_b32_e32 v40, v3, v30
	v_cmp_ne_u64_e32 vcc_lo, s[46:47], v[39:40]
	v_cndmask_b32_e32 v40, 0x80000000, v40, vcc_lo
	v_cndmask_b32_e32 v39, 0, v39, vcc_lo
	v_lshrrev_b64 v[39:40], s52, v[39:40]
	v_and_b32_e32 v3, s64, v39
	v_lshl_or_b32 v3, v3, 4, v93
	ds_add_u32 v3, v121
	s_or_b32 exec_lo, exec_lo, s15
	s_mov_b32 s15, exec_lo
	v_cmpx_gt_u32_e64 s14, v82
	s_cbranch_execz .LBB1251_641
.LBB1251_656:                           ;   in Loop: Header=BB1251_614 Depth=2
	v_cmp_lt_i64_e32 vcc_lo, -1, v[27:28]
	v_ashrrev_i32_e32 v39, 31, v28
	v_xor_b32_e32 v39, v39, v27
	v_cndmask_b32_e64 v3, -1, 0x80000000, vcc_lo
	v_xor_b32_e32 v40, v3, v28
	v_cmp_ne_u64_e32 vcc_lo, s[46:47], v[39:40]
	v_cndmask_b32_e32 v40, 0x80000000, v40, vcc_lo
	v_cndmask_b32_e32 v39, 0, v39, vcc_lo
	v_lshrrev_b64 v[39:40], s52, v[39:40]
	v_and_b32_e32 v3, s64, v39
	v_lshl_or_b32 v3, v3, 4, v93
	ds_add_u32 v3, v121
	s_or_b32 exec_lo, exec_lo, s15
	s_mov_b32 s15, exec_lo
	v_cmpx_gt_u32_e64 s14, v83
	s_cbranch_execz .LBB1251_642
.LBB1251_657:                           ;   in Loop: Header=BB1251_614 Depth=2
	v_cmp_lt_i64_e32 vcc_lo, -1, v[25:26]
	v_ashrrev_i32_e32 v39, 31, v26
	v_xor_b32_e32 v39, v39, v25
	v_cndmask_b32_e64 v3, -1, 0x80000000, vcc_lo
	v_xor_b32_e32 v40, v3, v26
	v_cmp_ne_u64_e32 vcc_lo, s[46:47], v[39:40]
	v_cndmask_b32_e32 v40, 0x80000000, v40, vcc_lo
	v_cndmask_b32_e32 v39, 0, v39, vcc_lo
	v_lshrrev_b64 v[39:40], s52, v[39:40]
	v_and_b32_e32 v3, s64, v39
	v_lshl_or_b32 v3, v3, 4, v93
	ds_add_u32 v3, v121
	s_or_b32 exec_lo, exec_lo, s15
	s_mov_b32 s15, exec_lo
	v_cmpx_gt_u32_e64 s14, v84
	s_cbranch_execz .LBB1251_643
.LBB1251_658:                           ;   in Loop: Header=BB1251_614 Depth=2
	v_cmp_lt_i64_e32 vcc_lo, -1, v[23:24]
	v_ashrrev_i32_e32 v39, 31, v24
	v_xor_b32_e32 v39, v39, v23
	v_cndmask_b32_e64 v3, -1, 0x80000000, vcc_lo
	v_xor_b32_e32 v40, v3, v24
	v_cmp_ne_u64_e32 vcc_lo, s[46:47], v[39:40]
	v_cndmask_b32_e32 v40, 0x80000000, v40, vcc_lo
	v_cndmask_b32_e32 v39, 0, v39, vcc_lo
	v_lshrrev_b64 v[39:40], s52, v[39:40]
	v_and_b32_e32 v3, s64, v39
	v_lshl_or_b32 v3, v3, 4, v93
	ds_add_u32 v3, v121
	s_or_b32 exec_lo, exec_lo, s15
	s_mov_b32 s15, exec_lo
	v_cmpx_gt_u32_e64 s14, v85
	s_cbranch_execz .LBB1251_644
.LBB1251_659:                           ;   in Loop: Header=BB1251_614 Depth=2
	v_cmp_lt_i64_e32 vcc_lo, -1, v[21:22]
	v_ashrrev_i32_e32 v39, 31, v22
	v_xor_b32_e32 v39, v39, v21
	v_cndmask_b32_e64 v3, -1, 0x80000000, vcc_lo
	v_xor_b32_e32 v40, v3, v22
	v_cmp_ne_u64_e32 vcc_lo, s[46:47], v[39:40]
	v_cndmask_b32_e32 v40, 0x80000000, v40, vcc_lo
	v_cndmask_b32_e32 v39, 0, v39, vcc_lo
	v_lshrrev_b64 v[39:40], s52, v[39:40]
	v_and_b32_e32 v3, s64, v39
	v_lshl_or_b32 v3, v3, 4, v93
	ds_add_u32 v3, v121
	s_or_b32 exec_lo, exec_lo, s15
	s_mov_b32 s15, exec_lo
	v_cmpx_gt_u32_e64 s14, v86
	s_cbranch_execz .LBB1251_645
.LBB1251_660:                           ;   in Loop: Header=BB1251_614 Depth=2
	v_cmp_lt_i64_e32 vcc_lo, -1, v[19:20]
	v_ashrrev_i32_e32 v39, 31, v20
	v_xor_b32_e32 v39, v39, v19
	v_cndmask_b32_e64 v3, -1, 0x80000000, vcc_lo
	v_xor_b32_e32 v40, v3, v20
	v_cmp_ne_u64_e32 vcc_lo, s[46:47], v[39:40]
	v_cndmask_b32_e32 v40, 0x80000000, v40, vcc_lo
	v_cndmask_b32_e32 v39, 0, v39, vcc_lo
	v_lshrrev_b64 v[39:40], s52, v[39:40]
	v_and_b32_e32 v3, s64, v39
	v_lshl_or_b32 v3, v3, 4, v93
	ds_add_u32 v3, v121
	s_or_b32 exec_lo, exec_lo, s15
	s_mov_b32 s15, exec_lo
	v_cmpx_gt_u32_e64 s14, v87
	s_cbranch_execz .LBB1251_646
.LBB1251_661:                           ;   in Loop: Header=BB1251_614 Depth=2
	v_cmp_lt_i64_e32 vcc_lo, -1, v[17:18]
	v_ashrrev_i32_e32 v39, 31, v18
	v_xor_b32_e32 v39, v39, v17
	v_cndmask_b32_e64 v3, -1, 0x80000000, vcc_lo
	v_xor_b32_e32 v40, v3, v18
	v_cmp_ne_u64_e32 vcc_lo, s[46:47], v[39:40]
	v_cndmask_b32_e32 v40, 0x80000000, v40, vcc_lo
	v_cndmask_b32_e32 v39, 0, v39, vcc_lo
	v_lshrrev_b64 v[39:40], s52, v[39:40]
	v_and_b32_e32 v3, s64, v39
	v_lshl_or_b32 v3, v3, 4, v93
	ds_add_u32 v3, v121
	s_or_b32 exec_lo, exec_lo, s15
	s_mov_b32 s15, exec_lo
	v_cmpx_gt_u32_e64 s14, v88
	s_cbranch_execz .LBB1251_647
.LBB1251_662:                           ;   in Loop: Header=BB1251_614 Depth=2
	v_cmp_lt_i64_e32 vcc_lo, -1, v[15:16]
	v_ashrrev_i32_e32 v39, 31, v16
	v_xor_b32_e32 v39, v39, v15
	v_cndmask_b32_e64 v3, -1, 0x80000000, vcc_lo
	v_xor_b32_e32 v40, v3, v16
	v_cmp_ne_u64_e32 vcc_lo, s[46:47], v[39:40]
	v_cndmask_b32_e32 v40, 0x80000000, v40, vcc_lo
	v_cndmask_b32_e32 v39, 0, v39, vcc_lo
	v_lshrrev_b64 v[39:40], s52, v[39:40]
	v_and_b32_e32 v3, s64, v39
	v_lshl_or_b32 v3, v3, 4, v93
	ds_add_u32 v3, v121
	s_or_b32 exec_lo, exec_lo, s15
	s_mov_b32 s15, exec_lo
	v_cmpx_gt_u32_e64 s14, v89
	s_cbranch_execz .LBB1251_648
.LBB1251_663:                           ;   in Loop: Header=BB1251_614 Depth=2
	v_cmp_lt_i64_e32 vcc_lo, -1, v[13:14]
	v_ashrrev_i32_e32 v39, 31, v14
	v_xor_b32_e32 v39, v39, v13
	v_cndmask_b32_e64 v3, -1, 0x80000000, vcc_lo
	v_xor_b32_e32 v40, v3, v14
	v_cmp_ne_u64_e32 vcc_lo, s[46:47], v[39:40]
	v_cndmask_b32_e32 v40, 0x80000000, v40, vcc_lo
	v_cndmask_b32_e32 v39, 0, v39, vcc_lo
	v_lshrrev_b64 v[39:40], s52, v[39:40]
	v_and_b32_e32 v3, s64, v39
	v_lshl_or_b32 v3, v3, 4, v93
	ds_add_u32 v3, v121
	s_or_b32 exec_lo, exec_lo, s15
	s_mov_b32 s15, exec_lo
	v_cmpx_gt_u32_e64 s14, v90
	s_cbranch_execz .LBB1251_649
.LBB1251_664:                           ;   in Loop: Header=BB1251_614 Depth=2
	v_cmp_lt_i64_e32 vcc_lo, -1, v[11:12]
	v_ashrrev_i32_e32 v39, 31, v12
	v_xor_b32_e32 v39, v39, v11
	v_cndmask_b32_e64 v3, -1, 0x80000000, vcc_lo
	v_xor_b32_e32 v40, v3, v12
	v_cmp_ne_u64_e32 vcc_lo, s[46:47], v[39:40]
	v_cndmask_b32_e32 v40, 0x80000000, v40, vcc_lo
	v_cndmask_b32_e32 v39, 0, v39, vcc_lo
	v_lshrrev_b64 v[39:40], s52, v[39:40]
	v_and_b32_e32 v3, s64, v39
	v_lshl_or_b32 v3, v3, 4, v93
	ds_add_u32 v3, v121
	s_or_b32 exec_lo, exec_lo, s15
	s_mov_b32 s15, exec_lo
	v_cmpx_gt_u32_e64 s14, v91
	s_cbranch_execz .LBB1251_650
.LBB1251_665:                           ;   in Loop: Header=BB1251_614 Depth=2
	v_cmp_lt_i64_e32 vcc_lo, -1, v[9:10]
	v_ashrrev_i32_e32 v39, 31, v10
	v_xor_b32_e32 v39, v39, v9
	v_cndmask_b32_e64 v3, -1, 0x80000000, vcc_lo
	v_xor_b32_e32 v40, v3, v10
	v_cmp_ne_u64_e32 vcc_lo, s[46:47], v[39:40]
	v_cndmask_b32_e32 v40, 0x80000000, v40, vcc_lo
	v_cndmask_b32_e32 v39, 0, v39, vcc_lo
	v_lshrrev_b64 v[39:40], s52, v[39:40]
	v_and_b32_e32 v3, s64, v39
	v_lshl_or_b32 v3, v3, 4, v93
	ds_add_u32 v3, v121
	s_or_b32 exec_lo, exec_lo, s15
	v_cmp_gt_u32_e32 vcc_lo, s14, v92
	s_and_saveexec_b32 s14, vcc_lo
	s_cbranch_execz .LBB1251_613
.LBB1251_666:                           ;   in Loop: Header=BB1251_614 Depth=2
	v_cmp_lt_i64_e32 vcc_lo, -1, v[7:8]
	v_ashrrev_i32_e32 v39, 31, v8
	v_xor_b32_e32 v39, v39, v7
	v_cndmask_b32_e64 v3, -1, 0x80000000, vcc_lo
	v_xor_b32_e32 v40, v3, v8
	v_cmp_ne_u64_e32 vcc_lo, s[46:47], v[39:40]
	v_cndmask_b32_e32 v40, 0x80000000, v40, vcc_lo
	v_cndmask_b32_e32 v39, 0, v39, vcc_lo
	v_lshrrev_b64 v[39:40], s52, v[39:40]
	v_and_b32_e32 v3, s64, v39
	v_lshl_or_b32 v3, v3, 4, v93
	ds_add_u32 v3, v121
	s_branch .LBB1251_613
.LBB1251_667:                           ;   in Loop: Header=BB1251_614 Depth=2
	global_load_dwordx2 v[37:38], v122, s[14:15]
	s_or_b32 exec_lo, exec_lo, s18
	s_mov_b32 s18, exec_lo
	v_cmpx_gt_u32_e64 s16, v76
	s_cbranch_execz .LBB1251_619
.LBB1251_668:                           ;   in Loop: Header=BB1251_614 Depth=2
	global_load_dwordx2 v[35:36], v123, s[14:15]
	s_or_b32 exec_lo, exec_lo, s18
	s_mov_b32 s18, exec_lo
	v_cmpx_gt_u32_e64 s16, v79
	s_cbranch_execz .LBB1251_620
.LBB1251_669:                           ;   in Loop: Header=BB1251_614 Depth=2
	global_load_dwordx2 v[33:34], v124, s[14:15]
	s_or_b32 exec_lo, exec_lo, s18
	s_mov_b32 s18, exec_lo
	v_cmpx_gt_u32_e64 s16, v80
	s_cbranch_execz .LBB1251_621
.LBB1251_670:                           ;   in Loop: Header=BB1251_614 Depth=2
	global_load_dwordx2 v[31:32], v125, s[14:15]
	s_or_b32 exec_lo, exec_lo, s18
	s_mov_b32 s18, exec_lo
	v_cmpx_gt_u32_e64 s16, v81
	s_cbranch_execz .LBB1251_622
.LBB1251_671:                           ;   in Loop: Header=BB1251_614 Depth=2
	global_load_dwordx2 v[29:30], v126, s[14:15]
	s_or_b32 exec_lo, exec_lo, s18
	s_mov_b32 s18, exec_lo
	v_cmpx_gt_u32_e64 s16, v82
	s_cbranch_execz .LBB1251_623
.LBB1251_672:                           ;   in Loop: Header=BB1251_614 Depth=2
	global_load_dwordx2 v[27:28], v127, s[14:15]
	s_or_b32 exec_lo, exec_lo, s18
	s_mov_b32 s18, exec_lo
	v_cmpx_gt_u32_e64 s16, v83
	s_cbranch_execz .LBB1251_624
.LBB1251_673:                           ;   in Loop: Header=BB1251_614 Depth=2
	v_lshlrev_b32_e32 v3, 3, v83
	global_load_dwordx2 v[25:26], v3, s[14:15]
	s_or_b32 exec_lo, exec_lo, s18
	s_mov_b32 s18, exec_lo
	v_cmpx_gt_u32_e64 s16, v84
	s_cbranch_execz .LBB1251_625
.LBB1251_674:                           ;   in Loop: Header=BB1251_614 Depth=2
	v_lshlrev_b32_e32 v3, 3, v84
	global_load_dwordx2 v[23:24], v3, s[14:15]
	s_or_b32 exec_lo, exec_lo, s18
	s_mov_b32 s18, exec_lo
	v_cmpx_gt_u32_e64 s16, v85
	s_cbranch_execz .LBB1251_626
.LBB1251_675:                           ;   in Loop: Header=BB1251_614 Depth=2
	v_lshlrev_b32_e32 v3, 3, v85
	global_load_dwordx2 v[21:22], v3, s[14:15]
	s_or_b32 exec_lo, exec_lo, s18
	s_mov_b32 s18, exec_lo
	v_cmpx_gt_u32_e64 s16, v86
	s_cbranch_execz .LBB1251_627
.LBB1251_676:                           ;   in Loop: Header=BB1251_614 Depth=2
	v_lshlrev_b32_e32 v3, 3, v86
	global_load_dwordx2 v[19:20], v3, s[14:15]
	s_or_b32 exec_lo, exec_lo, s18
	s_mov_b32 s18, exec_lo
	v_cmpx_gt_u32_e64 s16, v87
	s_cbranch_execz .LBB1251_628
.LBB1251_677:                           ;   in Loop: Header=BB1251_614 Depth=2
	v_lshlrev_b32_e32 v3, 3, v87
	global_load_dwordx2 v[17:18], v3, s[14:15]
	s_or_b32 exec_lo, exec_lo, s18
	s_mov_b32 s18, exec_lo
	v_cmpx_gt_u32_e64 s16, v88
	s_cbranch_execz .LBB1251_629
.LBB1251_678:                           ;   in Loop: Header=BB1251_614 Depth=2
	v_lshlrev_b32_e32 v3, 3, v88
	global_load_dwordx2 v[15:16], v3, s[14:15]
	s_or_b32 exec_lo, exec_lo, s18
	s_mov_b32 s18, exec_lo
	v_cmpx_gt_u32_e64 s16, v89
	s_cbranch_execz .LBB1251_630
.LBB1251_679:                           ;   in Loop: Header=BB1251_614 Depth=2
	v_lshlrev_b32_e32 v3, 3, v89
	global_load_dwordx2 v[13:14], v3, s[14:15]
	s_or_b32 exec_lo, exec_lo, s18
	s_mov_b32 s18, exec_lo
	v_cmpx_gt_u32_e64 s16, v90
	s_cbranch_execz .LBB1251_631
.LBB1251_680:                           ;   in Loop: Header=BB1251_614 Depth=2
	v_lshlrev_b32_e32 v3, 3, v90
	global_load_dwordx2 v[11:12], v3, s[14:15]
	s_or_b32 exec_lo, exec_lo, s18
	s_mov_b32 s18, exec_lo
	v_cmpx_gt_u32_e64 s16, v91
	s_cbranch_execz .LBB1251_632
.LBB1251_681:                           ;   in Loop: Header=BB1251_614 Depth=2
	v_lshlrev_b32_e32 v3, 3, v91
	global_load_dwordx2 v[9:10], v3, s[14:15]
	s_or_b32 exec_lo, exec_lo, s18
	s_mov_b32 s18, exec_lo
	v_cmpx_gt_u32_e64 s16, v92
	s_cbranch_execnz .LBB1251_633
	s_branch .LBB1251_634
.LBB1251_682:                           ;   in Loop: Header=BB1251_20 Depth=1
	v_mov_b32_e32 v3, 0
	s_waitcnt lgkmcnt(0)
	s_barrier
	buffer_gl0_inv
	s_and_saveexec_b32 s14, s8
	s_cbranch_execz .LBB1251_684
; %bb.683:                              ;   in Loop: Header=BB1251_20 Depth=1
	ds_read2_b64 v[7:10], v95 offset1:1
	s_waitcnt lgkmcnt(0)
	v_add_nc_u32_e32 v3, v8, v7
	v_add3_u32 v3, v3, v9, v10
.LBB1251_684:                           ;   in Loop: Header=BB1251_20 Depth=1
	s_or_b32 exec_lo, exec_lo, s14
	v_and_b32_e32 v7, 15, v128
	v_mov_b32_dpp v8, v3 row_shr:1 row_mask:0xf bank_mask:0xf
	v_and_b32_e32 v9, 16, v128
	v_cmp_eq_u32_e64 s14, 0, v7
	v_cmp_lt_u32_e64 s15, 1, v7
	v_cmp_lt_u32_e64 s16, 3, v7
	;; [unrolled: 1-line block ×3, first 2 shown]
	v_cmp_eq_u32_e64 s18, 0, v9
	v_cndmask_b32_e64 v8, v8, 0, s14
	v_add_nc_u32_e32 v3, v8, v3
	v_mov_b32_dpp v8, v3 row_shr:2 row_mask:0xf bank_mask:0xf
	v_cndmask_b32_e64 v8, 0, v8, s15
	v_add_nc_u32_e32 v3, v3, v8
	v_mov_b32_dpp v8, v3 row_shr:4 row_mask:0xf bank_mask:0xf
	;; [unrolled: 3-line block ×3, first 2 shown]
	v_cndmask_b32_e64 v7, 0, v8, s17
	v_bfe_i32 v8, v128, 4, 1
	v_add_nc_u32_e32 v3, v3, v7
	ds_swizzle_b32 v7, v3 offset:swizzle(BROADCAST,32,15)
	s_waitcnt lgkmcnt(0)
	v_and_b32_e32 v7, v8, v7
	v_add_nc_u32_e32 v3, v3, v7
	s_and_saveexec_b32 s19, s9
; %bb.685:                              ;   in Loop: Header=BB1251_20 Depth=1
	ds_write_b32 v96, v3
; %bb.686:                              ;   in Loop: Header=BB1251_20 Depth=1
	s_or_b32 exec_lo, exec_lo, s19
	s_waitcnt lgkmcnt(0)
	s_barrier
	buffer_gl0_inv
	s_and_saveexec_b32 s19, s10
	s_cbranch_execz .LBB1251_688
; %bb.687:                              ;   in Loop: Header=BB1251_20 Depth=1
	ds_read_b32 v7, v97
	v_and_b32_e32 v8, 3, v128
	v_cmp_ne_u32_e32 vcc_lo, 0, v8
	s_waitcnt lgkmcnt(0)
	v_mov_b32_dpp v9, v7 row_shr:1 row_mask:0xf bank_mask:0xf
	v_cndmask_b32_e32 v9, 0, v9, vcc_lo
	v_cmp_lt_u32_e32 vcc_lo, 1, v8
	v_add_nc_u32_e32 v7, v9, v7
	v_mov_b32_dpp v9, v7 row_shr:2 row_mask:0xf bank_mask:0xf
	v_cndmask_b32_e32 v8, 0, v9, vcc_lo
	v_add_nc_u32_e32 v7, v7, v8
	ds_write_b32 v97, v7
.LBB1251_688:                           ;   in Loop: Header=BB1251_20 Depth=1
	s_or_b32 exec_lo, exec_lo, s19
	v_mov_b32_e32 v7, 0
	s_waitcnt lgkmcnt(0)
	s_barrier
	buffer_gl0_inv
	s_and_saveexec_b32 s19, s11
; %bb.689:                              ;   in Loop: Header=BB1251_20 Depth=1
	ds_read_b32 v7, v98
; %bb.690:                              ;   in Loop: Header=BB1251_20 Depth=1
	s_or_b32 exec_lo, exec_lo, s19
	v_sub_co_u32 v8, s19, v128, 1
	s_waitcnt lgkmcnt(0)
	v_add_nc_u32_e32 v3, v7, v3
	s_barrier
	v_cmp_gt_i32_e32 vcc_lo, 0, v8
	buffer_gl0_inv
	v_cndmask_b32_e32 v8, v8, v128, vcc_lo
	v_lshlrev_b32_e32 v129, 2, v8
	ds_bpermute_b32 v3, v129, v3
	s_and_saveexec_b32 s20, s8
	s_cbranch_execz .LBB1251_692
; %bb.691:                              ;   in Loop: Header=BB1251_20 Depth=1
	s_waitcnt lgkmcnt(0)
	v_cndmask_b32_e64 v3, v3, v7, s19
	v_add_nc_u32_e32 v3, s60, v3
	ds_write_b32 v75, v3
.LBB1251_692:                           ;   in Loop: Header=BB1251_20 Depth=1
	s_or_b32 exec_lo, exec_lo, s20
	s_load_dwordx2 s[20:21], s[58:59], 0x0
	v_and_b32_e32 v8, 7, v128
	v_lshlrev_b32_e32 v9, 3, v128
	v_or_b32_e32 v130, v128, v99
	s_mov_b32 s65, s62
	s_mov_b32 s56, s60
                                        ; implicit-def: $vgpr11_vgpr12
                                        ; implicit-def: $vgpr13_vgpr14
                                        ; implicit-def: $vgpr15_vgpr16
                                        ; implicit-def: $vgpr19_vgpr20
                                        ; implicit-def: $vgpr23_vgpr24
                                        ; implicit-def: $vgpr27_vgpr28
                                        ; implicit-def: $vgpr17_vgpr18
                                        ; implicit-def: $vgpr21_vgpr22
                                        ; implicit-def: $vgpr25_vgpr26
                                        ; implicit-def: $vgpr29_vgpr30
                                        ; implicit-def: $vgpr31_vgpr32
                                        ; implicit-def: $vgpr33_vgpr34
                                        ; implicit-def: $vgpr35_vgpr36
                                        ; implicit-def: $vgpr37_vgpr38
                                        ; implicit-def: $vgpr151
                                        ; implicit-def: $vgpr152
                                        ; implicit-def: $vgpr153
                                        ; implicit-def: $vgpr154
                                        ; implicit-def: $vgpr155
                                        ; implicit-def: $vgpr156
                                        ; implicit-def: $vgpr157
                                        ; implicit-def: $vgpr159
                                        ; implicit-def: $vgpr160
                                        ; implicit-def: $vgpr161
                                        ; implicit-def: $vgpr162
                                        ; implicit-def: $vgpr163
                                        ; implicit-def: $vgpr164
                                        ; implicit-def: $vgpr165
                                        ; implicit-def: $vgpr166
                                        ; implicit-def: $vgpr167
                                        ; implicit-def: $vgpr158
                                        ; implicit-def: $vgpr168
	v_add_co_u32 v131, vcc_lo, v117, v9
	v_add_co_ci_u32_e64 v132, null, 0, v118, vcc_lo
	v_add_co_u32 v148, vcc_lo, v119, v9
	v_or_b32_e32 v133, 32, v130
	v_or_b32_e32 v134, 64, v130
	;; [unrolled: 1-line block ×7, first 2 shown]
	s_waitcnt lgkmcnt(0)
	s_cmp_lt_u32 s7, s21
	v_or_b32_e32 v140, 0x100, v130
	s_cselect_b32 s21, 14, 20
	v_or_b32_e32 v141, 0x120, v130
	s_add_u32 s22, s58, s21
	s_addc_u32 s23, s59, 0
	s_cmp_lt_u32 s6, s20
	global_load_ushort v3, v4, s[22:23]
	s_cselect_b32 s20, 12, 18
	v_or_b32_e32 v142, 0x140, v130
	s_add_u32 s20, s58, s20
	s_addc_u32 s21, s59, 0
	v_or_b32_e32 v143, 0x160, v130
	global_load_ushort v7, v4, s[20:21]
	v_cmp_eq_u32_e64 s20, 0, v8
	v_cmp_lt_u32_e64 s21, 1, v8
	v_cmp_lt_u32_e64 s22, 3, v8
	v_or_b32_e32 v144, 0x180, v130
	v_or_b32_e32 v145, 0x1a0, v130
	;; [unrolled: 1-line block ×4, first 2 shown]
	v_add_co_ci_u32_e64 v149, null, 0, v120, vcc_lo
                                        ; implicit-def: $vgpr9_vgpr10
	s_waitcnt vmcnt(1)
	v_mad_u32_u24 v3, v2, v3, v1
	s_waitcnt vmcnt(0)
	v_mad_u64_u32 v[7:8], null, v3, v7, v[0:1]
	v_lshrrev_b32_e32 v3, 3, v7
                                        ; implicit-def: $vgpr7_vgpr8
	v_and_b32_e32 v150, 0x1ffffffc, v3
	s_branch .LBB1251_694
.LBB1251_693:                           ;   in Loop: Header=BB1251_694 Depth=2
	s_or_b32 exec_lo, exec_lo, s23
	s_addk_i32 s65, 0xf000
	s_cmp_lt_u32 s66, s61
	s_mov_b32 s56, s66
	s_cbranch_scc0 .LBB1251_904
.LBB1251_694:                           ;   Parent Loop BB1251_20 Depth=1
                                        ; =>  This Inner Loop Header: Depth=2
	s_add_i32 s66, s56, 0x1000
	s_cmp_gt_u32 s66, s61
	s_cbranch_scc1 .LBB1251_696
; %bb.695:                              ;   in Loop: Header=BB1251_694 Depth=2
	s_lshl_b64 s[24:25], s[56:57], 3
	s_mov_b32 s23, -1
	v_add_co_u32 v45, vcc_lo, v148, s24
	v_add_co_ci_u32_e64 v46, null, s25, v149, vcc_lo
	v_add_co_u32 v47, vcc_lo, 0x800, v45
	v_add_co_ci_u32_e64 v48, null, 0, v46, vcc_lo
	s_clause 0xe
	global_load_dwordx2 v[39:40], v[45:46], off
	global_load_dwordx2 v[41:42], v[45:46], off offset:256
	global_load_dwordx2 v[43:44], v[45:46], off offset:512
	;; [unrolled: 1-line block ×7, first 2 shown]
	global_load_dwordx2 v[69:70], v[47:48], off
	global_load_dwordx2 v[65:66], v[47:48], off offset:256
	global_load_dwordx2 v[61:62], v[47:48], off offset:512
	;; [unrolled: 1-line block ×6, first 2 shown]
	s_movk_i32 s24, 0x1000
	s_cbranch_execz .LBB1251_697
	s_branch .LBB1251_728
.LBB1251_696:                           ;   in Loop: Header=BB1251_694 Depth=2
	s_mov_b32 s23, 0
                                        ; implicit-def: $vgpr39_vgpr40
                                        ; implicit-def: $vgpr41_vgpr42
                                        ; implicit-def: $vgpr43_vgpr44
                                        ; implicit-def: $vgpr49_vgpr50
                                        ; implicit-def: $vgpr55_vgpr56
                                        ; implicit-def: $vgpr59_vgpr60
                                        ; implicit-def: $vgpr63_vgpr64
                                        ; implicit-def: $vgpr67_vgpr68
                                        ; implicit-def: $vgpr69_vgpr70
                                        ; implicit-def: $vgpr65_vgpr66
                                        ; implicit-def: $vgpr61_vgpr62
                                        ; implicit-def: $vgpr57_vgpr58
                                        ; implicit-def: $vgpr53_vgpr54
                                        ; implicit-def: $vgpr51_vgpr52
                                        ; implicit-def: $vgpr45_vgpr46
	s_movk_i32 s24, 0x1000
.LBB1251_697:                           ;   in Loop: Header=BB1251_694 Depth=2
	s_waitcnt vmcnt(13)
	v_mov_b32_e32 v41, v5
	v_mov_b32_e32 v42, v6
	s_lshl_b64 s[24:25], s[56:57], 3
	s_mov_b32 s23, exec_lo
	v_add_co_u32 v47, vcc_lo, v148, s24
	v_mov_b32_e32 v39, v41
	v_add_co_ci_u32_e64 v48, null, s25, v149, vcc_lo
	v_mov_b32_e32 v40, v42
	v_cmpx_gt_u32_e64 s65, v130
	s_cbranch_execz .LBB1251_699
; %bb.698:                              ;   in Loop: Header=BB1251_694 Depth=2
	global_load_dwordx2 v[39:40], v[47:48], off
.LBB1251_699:                           ;   in Loop: Header=BB1251_694 Depth=2
	s_or_b32 exec_lo, exec_lo, s23
	s_mov_b32 s23, exec_lo
	v_cmpx_gt_u32_e64 s65, v133
	s_cbranch_execz .LBB1251_701
; %bb.700:                              ;   in Loop: Header=BB1251_694 Depth=2
	global_load_dwordx2 v[41:42], v[47:48], off offset:256
.LBB1251_701:                           ;   in Loop: Header=BB1251_694 Depth=2
	s_or_b32 exec_lo, exec_lo, s23
	s_waitcnt vmcnt(12)
	v_mov_b32_e32 v44, v6
	v_mov_b32_e32 v43, v5
	s_mov_b32 s23, exec_lo
	v_cmpx_gt_u32_e64 s65, v134
	s_cbranch_execz .LBB1251_703
; %bb.702:                              ;   in Loop: Header=BB1251_694 Depth=2
	global_load_dwordx2 v[43:44], v[47:48], off offset:512
.LBB1251_703:                           ;   in Loop: Header=BB1251_694 Depth=2
	s_or_b32 exec_lo, exec_lo, s23
	s_waitcnt vmcnt(11)
	v_mov_b32_e32 v50, v6
	v_mov_b32_e32 v49, v5
	;; [unrolled: 10-line block ×7, first 2 shown]
	s_mov_b32 s23, exec_lo
	v_cmpx_gt_u32_e64 s65, v140
	s_cbranch_execz .LBB1251_715
; %bb.714:                              ;   in Loop: Header=BB1251_694 Depth=2
	s_waitcnt vmcnt(0)
	v_add_co_u32 v45, vcc_lo, 0x800, v47
	v_add_co_ci_u32_e64 v46, null, 0, v48, vcc_lo
	global_load_dwordx2 v[69:70], v[45:46], off
.LBB1251_715:                           ;   in Loop: Header=BB1251_694 Depth=2
	s_or_b32 exec_lo, exec_lo, s23
	s_waitcnt vmcnt(5)
	v_mov_b32_e32 v66, v6
	v_mov_b32_e32 v65, v5
	s_mov_b32 s23, exec_lo
	v_cmpx_gt_u32_e64 s65, v141
	s_cbranch_execz .LBB1251_717
; %bb.716:                              ;   in Loop: Header=BB1251_694 Depth=2
	s_waitcnt vmcnt(0)
	v_add_co_u32 v45, vcc_lo, 0x800, v47
	v_add_co_ci_u32_e64 v46, null, 0, v48, vcc_lo
	global_load_dwordx2 v[65:66], v[45:46], off offset:256
.LBB1251_717:                           ;   in Loop: Header=BB1251_694 Depth=2
	s_or_b32 exec_lo, exec_lo, s23
	s_waitcnt vmcnt(4)
	v_mov_b32_e32 v62, v6
	v_mov_b32_e32 v61, v5
	s_mov_b32 s23, exec_lo
	v_cmpx_gt_u32_e64 s65, v142
	s_cbranch_execz .LBB1251_719
; %bb.718:                              ;   in Loop: Header=BB1251_694 Depth=2
	s_waitcnt vmcnt(0)
	v_add_co_u32 v45, vcc_lo, 0x800, v47
	v_add_co_ci_u32_e64 v46, null, 0, v48, vcc_lo
	global_load_dwordx2 v[61:62], v[45:46], off offset:512
.LBB1251_719:                           ;   in Loop: Header=BB1251_694 Depth=2
	;; [unrolled: 13-line block ×5, first 2 shown]
	s_or_b32 exec_lo, exec_lo, s23
	s_waitcnt vmcnt(0)
	v_mov_b32_e32 v46, v6
	v_mov_b32_e32 v45, v5
	s_mov_b32 s23, exec_lo
	v_cmpx_gt_u32_e64 s65, v146
	s_cbranch_execz .LBB1251_727
; %bb.726:                              ;   in Loop: Header=BB1251_694 Depth=2
	v_add_co_u32 v45, vcc_lo, 0x800, v47
	v_add_co_ci_u32_e64 v46, null, 0, v48, vcc_lo
	global_load_dwordx2 v[45:46], v[45:46], off offset:1536
.LBB1251_727:                           ;   in Loop: Header=BB1251_694 Depth=2
	s_or_b32 exec_lo, exec_lo, s23
	v_cmp_gt_u32_e64 s23, s65, v147
	s_sub_i32 s24, s61, s56
.LBB1251_728:                           ;   in Loop: Header=BB1251_694 Depth=2
	v_mov_b32_e32 v48, v6
	v_mov_b32_e32 v169, s65
	;; [unrolled: 1-line block ×3, first 2 shown]
	s_and_saveexec_b32 s25, s23
	s_cbranch_execz .LBB1251_730
; %bb.729:                              ;   in Loop: Header=BB1251_694 Depth=2
	s_lshl_b64 s[26:27], s[56:57], 3
	v_mov_b32_e32 v169, s24
	v_add_co_u32 v3, vcc_lo, v148, s26
	v_add_co_ci_u32_e64 v48, null, s27, v149, vcc_lo
	v_add_co_u32 v47, vcc_lo, 0x800, v3
	v_add_co_ci_u32_e64 v48, null, 0, v48, vcc_lo
	global_load_dwordx2 v[47:48], v[47:48], off offset:1792
.LBB1251_730:                           ;   in Loop: Header=BB1251_694 Depth=2
	s_or_b32 exec_lo, exec_lo, s25
	s_waitcnt vmcnt(14)
	v_cmp_lt_i64_e32 vcc_lo, -1, v[39:40]
	v_ashrrev_i32_e32 v71, 31, v40
	ds_write2_b32 v100, v4, v4 offset0:136 offset1:137
	ds_write2_b32 v100, v4, v4 offset0:138 offset1:139
	ds_write_b32 v100, v4 offset:560
	s_waitcnt vmcnt(0) lgkmcnt(0)
	s_barrier
	v_cndmask_b32_e64 v3, -1, 0x80000000, vcc_lo
	v_xor_b32_e32 v39, v71, v39
	buffer_gl0_inv
	; wave barrier
	v_xor_b32_e32 v40, v3, v40
	v_cmp_ne_u64_e32 vcc_lo, s[46:47], v[39:40]
	v_cndmask_b32_e32 v72, 0x80000000, v40, vcc_lo
	v_cndmask_b32_e32 v71, 0, v39, vcc_lo
	v_lshrrev_b64 v[71:72], s52, v[71:72]
	v_and_b32_e32 v72, s64, v71
	v_and_b32_e32 v3, 1, v72
	v_lshlrev_b32_e32 v71, 30, v72
	v_lshlrev_b32_e32 v73, 29, v72
	;; [unrolled: 1-line block ×4, first 2 shown]
	v_add_co_u32 v3, s23, v3, -1
	v_cndmask_b32_e64 v74, 0, 1, s23
	v_not_b32_e32 v173, v71
	v_cmp_gt_i32_e64 s23, 0, v71
	v_not_b32_e32 v71, v73
	v_lshlrev_b32_e32 v172, 26, v72
	v_cmp_ne_u32_e32 vcc_lo, 0, v74
	v_ashrrev_i32_e32 v173, 31, v173
	v_lshlrev_b32_e32 v74, 25, v72
	v_ashrrev_i32_e32 v71, 31, v71
	v_mul_u32_u24_e32 v72, 36, v72
	v_xor_b32_e32 v3, vcc_lo, v3
	v_cmp_gt_i32_e32 vcc_lo, 0, v73
	v_not_b32_e32 v73, v170
	v_xor_b32_e32 v173, s23, v173
	v_cmp_gt_i32_e64 s23, 0, v170
	v_and_b32_e32 v3, exec_lo, v3
	v_not_b32_e32 v170, v171
	v_ashrrev_i32_e32 v73, 31, v73
	v_xor_b32_e32 v71, vcc_lo, v71
	v_cmp_gt_i32_e32 vcc_lo, 0, v171
	v_and_b32_e32 v3, v3, v173
	v_not_b32_e32 v171, v172
	v_ashrrev_i32_e32 v170, 31, v170
	v_xor_b32_e32 v73, s23, v73
	v_cmp_gt_i32_e64 s23, 0, v172
	v_and_b32_e32 v3, v3, v71
	v_not_b32_e32 v71, v74
	v_ashrrev_i32_e32 v171, 31, v171
	v_xor_b32_e32 v170, vcc_lo, v170
	v_cmp_gt_i32_e32 vcc_lo, 0, v74
	v_and_b32_e32 v3, v3, v73
	v_ashrrev_i32_e32 v71, 31, v71
	v_xor_b32_e32 v73, s23, v171
	v_and_b32_e32 v3, v3, v170
	v_xor_b32_e32 v71, vcc_lo, v71
	v_add_nc_u32_e32 v170, v150, v72
	v_and_b32_e32 v3, v3, v73
	v_and_b32_e32 v71, v3, v71
	v_mbcnt_lo_u32_b32 v3, v71, 0
	v_cmp_ne_u32_e64 s23, 0, v71
	v_cmp_eq_u32_e32 vcc_lo, 0, v3
	s_and_b32 s24, s23, vcc_lo
	s_and_saveexec_b32 s23, s24
; %bb.731:                              ;   in Loop: Header=BB1251_694 Depth=2
	v_bcnt_u32_b32 v71, v71, 0
	ds_write_b32 v170, v71 offset:544
; %bb.732:                              ;   in Loop: Header=BB1251_694 Depth=2
	s_or_b32 exec_lo, exec_lo, s23
	v_cmp_lt_i64_e32 vcc_lo, -1, v[41:42]
	v_ashrrev_i32_e32 v72, 31, v42
	; wave barrier
	v_xor_b32_e32 v41, v72, v41
	v_cndmask_b32_e64 v71, -1, 0x80000000, vcc_lo
	v_xor_b32_e32 v42, v71, v42
	v_cmp_ne_u64_e32 vcc_lo, s[46:47], v[41:42]
	v_cndmask_b32_e32 v72, 0x80000000, v42, vcc_lo
	v_cndmask_b32_e32 v71, 0, v41, vcc_lo
	v_lshrrev_b64 v[71:72], s52, v[71:72]
	v_and_b32_e32 v72, s64, v71
	v_and_b32_e32 v71, 1, v72
	v_lshlrev_b32_e32 v73, 30, v72
	v_lshlrev_b32_e32 v74, 29, v72
	;; [unrolled: 1-line block ×4, first 2 shown]
	v_add_co_u32 v71, s23, v71, -1
	v_cndmask_b32_e64 v171, 0, 1, s23
	v_not_b32_e32 v175, v73
	v_cmp_gt_i32_e64 s23, 0, v73
	v_not_b32_e32 v73, v74
	v_lshlrev_b32_e32 v174, 26, v72
	v_cmp_ne_u32_e32 vcc_lo, 0, v171
	v_ashrrev_i32_e32 v175, 31, v175
	v_lshlrev_b32_e32 v171, 25, v72
	v_ashrrev_i32_e32 v73, 31, v73
	v_xor_b32_e32 v71, vcc_lo, v71
	v_cmp_gt_i32_e32 vcc_lo, 0, v74
	v_not_b32_e32 v74, v172
	v_xor_b32_e32 v175, s23, v175
	v_cmp_gt_i32_e64 s23, 0, v172
	v_and_b32_e32 v71, exec_lo, v71
	v_not_b32_e32 v172, v173
	v_ashrrev_i32_e32 v74, 31, v74
	v_xor_b32_e32 v73, vcc_lo, v73
	v_cmp_gt_i32_e32 vcc_lo, 0, v173
	v_and_b32_e32 v71, v71, v175
	v_not_b32_e32 v173, v174
	v_ashrrev_i32_e32 v172, 31, v172
	v_xor_b32_e32 v74, s23, v74
	v_cmp_gt_i32_e64 s23, 0, v174
	v_and_b32_e32 v71, v71, v73
	v_not_b32_e32 v73, v171
	v_ashrrev_i32_e32 v173, 31, v173
	v_xor_b32_e32 v172, vcc_lo, v172
	v_cmp_gt_i32_e32 vcc_lo, 0, v171
	v_and_b32_e32 v71, v71, v74
	v_ashrrev_i32_e32 v73, 31, v73
	v_xor_b32_e32 v74, s23, v173
	v_mad_u32_u24 v171, v72, 36, v150
	v_mul_u32_u24_e32 v72, 36, v72
	v_and_b32_e32 v71, v71, v172
	v_xor_b32_e32 v73, vcc_lo, v73
	ds_read_b32 v171, v171 offset:544
	v_add_nc_u32_e32 v173, v150, v72
	v_and_b32_e32 v71, v71, v74
	; wave barrier
	v_and_b32_e32 v71, v71, v73
	v_mbcnt_lo_u32_b32 v172, v71, 0
	v_cmp_ne_u32_e64 s23, 0, v71
	v_cmp_eq_u32_e32 vcc_lo, 0, v172
	s_and_b32 s24, s23, vcc_lo
	s_and_saveexec_b32 s23, s24
	s_cbranch_execz .LBB1251_734
; %bb.733:                              ;   in Loop: Header=BB1251_694 Depth=2
	s_waitcnt lgkmcnt(0)
	v_bcnt_u32_b32 v71, v71, v171
	ds_write_b32 v173, v71 offset:544
.LBB1251_734:                           ;   in Loop: Header=BB1251_694 Depth=2
	s_or_b32 exec_lo, exec_lo, s23
	v_cmp_lt_i64_e32 vcc_lo, -1, v[43:44]
	v_ashrrev_i32_e32 v72, 31, v44
	; wave barrier
	v_xor_b32_e32 v43, v72, v43
	v_cndmask_b32_e64 v71, -1, 0x80000000, vcc_lo
	v_xor_b32_e32 v44, v71, v44
	v_cmp_ne_u64_e32 vcc_lo, s[46:47], v[43:44]
	v_cndmask_b32_e32 v72, 0x80000000, v44, vcc_lo
	v_cndmask_b32_e32 v71, 0, v43, vcc_lo
	v_lshrrev_b64 v[71:72], s52, v[71:72]
	v_and_b32_e32 v72, s64, v71
	v_and_b32_e32 v71, 1, v72
	v_lshlrev_b32_e32 v73, 30, v72
	v_lshlrev_b32_e32 v74, 29, v72
	;; [unrolled: 1-line block ×4, first 2 shown]
	v_add_co_u32 v71, s23, v71, -1
	v_cndmask_b32_e64 v174, 0, 1, s23
	v_not_b32_e32 v178, v73
	v_cmp_gt_i32_e64 s23, 0, v73
	v_not_b32_e32 v73, v74
	v_lshlrev_b32_e32 v177, 26, v72
	v_cmp_ne_u32_e32 vcc_lo, 0, v174
	v_ashrrev_i32_e32 v178, 31, v178
	v_lshlrev_b32_e32 v174, 25, v72
	v_ashrrev_i32_e32 v73, 31, v73
	v_xor_b32_e32 v71, vcc_lo, v71
	v_cmp_gt_i32_e32 vcc_lo, 0, v74
	v_not_b32_e32 v74, v175
	v_xor_b32_e32 v178, s23, v178
	v_cmp_gt_i32_e64 s23, 0, v175
	v_and_b32_e32 v71, exec_lo, v71
	v_not_b32_e32 v175, v176
	v_ashrrev_i32_e32 v74, 31, v74
	v_xor_b32_e32 v73, vcc_lo, v73
	v_cmp_gt_i32_e32 vcc_lo, 0, v176
	v_and_b32_e32 v71, v71, v178
	v_not_b32_e32 v176, v177
	v_ashrrev_i32_e32 v175, 31, v175
	v_xor_b32_e32 v74, s23, v74
	v_cmp_gt_i32_e64 s23, 0, v177
	v_and_b32_e32 v71, v71, v73
	v_not_b32_e32 v73, v174
	v_ashrrev_i32_e32 v176, 31, v176
	v_xor_b32_e32 v175, vcc_lo, v175
	v_cmp_gt_i32_e32 vcc_lo, 0, v174
	v_and_b32_e32 v71, v71, v74
	v_ashrrev_i32_e32 v73, 31, v73
	v_xor_b32_e32 v74, s23, v176
	v_mad_u32_u24 v174, v72, 36, v150
	v_mul_u32_u24_e32 v72, 36, v72
	v_and_b32_e32 v71, v71, v175
	v_xor_b32_e32 v73, vcc_lo, v73
	ds_read_b32 v174, v174 offset:544
	v_add_nc_u32_e32 v176, v150, v72
	v_and_b32_e32 v71, v71, v74
	; wave barrier
	v_and_b32_e32 v71, v71, v73
	v_mbcnt_lo_u32_b32 v175, v71, 0
	v_cmp_ne_u32_e64 s23, 0, v71
	v_cmp_eq_u32_e32 vcc_lo, 0, v175
	s_and_b32 s24, s23, vcc_lo
	s_and_saveexec_b32 s23, s24
	s_cbranch_execz .LBB1251_736
; %bb.735:                              ;   in Loop: Header=BB1251_694 Depth=2
	s_waitcnt lgkmcnt(0)
	v_bcnt_u32_b32 v71, v71, v174
	ds_write_b32 v176, v71 offset:544
.LBB1251_736:                           ;   in Loop: Header=BB1251_694 Depth=2
	s_or_b32 exec_lo, exec_lo, s23
	v_cmp_lt_i64_e32 vcc_lo, -1, v[49:50]
	v_ashrrev_i32_e32 v72, 31, v50
	; wave barrier
	v_xor_b32_e32 v49, v72, v49
	v_cndmask_b32_e64 v71, -1, 0x80000000, vcc_lo
	v_xor_b32_e32 v50, v71, v50
	v_cmp_ne_u64_e32 vcc_lo, s[46:47], v[49:50]
	v_cndmask_b32_e32 v72, 0x80000000, v50, vcc_lo
	v_cndmask_b32_e32 v71, 0, v49, vcc_lo
	v_lshrrev_b64 v[71:72], s52, v[71:72]
	v_and_b32_e32 v72, s64, v71
	v_and_b32_e32 v71, 1, v72
	v_lshlrev_b32_e32 v73, 30, v72
	v_lshlrev_b32_e32 v74, 29, v72
	;; [unrolled: 1-line block ×4, first 2 shown]
	v_add_co_u32 v71, s23, v71, -1
	v_cndmask_b32_e64 v177, 0, 1, s23
	v_not_b32_e32 v181, v73
	v_cmp_gt_i32_e64 s23, 0, v73
	v_not_b32_e32 v73, v74
	v_lshlrev_b32_e32 v180, 26, v72
	v_cmp_ne_u32_e32 vcc_lo, 0, v177
	v_ashrrev_i32_e32 v181, 31, v181
	v_lshlrev_b32_e32 v177, 25, v72
	v_ashrrev_i32_e32 v73, 31, v73
	v_xor_b32_e32 v71, vcc_lo, v71
	v_cmp_gt_i32_e32 vcc_lo, 0, v74
	v_not_b32_e32 v74, v178
	v_xor_b32_e32 v181, s23, v181
	v_cmp_gt_i32_e64 s23, 0, v178
	v_and_b32_e32 v71, exec_lo, v71
	v_not_b32_e32 v178, v179
	v_ashrrev_i32_e32 v74, 31, v74
	v_xor_b32_e32 v73, vcc_lo, v73
	v_cmp_gt_i32_e32 vcc_lo, 0, v179
	v_and_b32_e32 v71, v71, v181
	v_not_b32_e32 v179, v180
	v_ashrrev_i32_e32 v178, 31, v178
	v_xor_b32_e32 v74, s23, v74
	v_cmp_gt_i32_e64 s23, 0, v180
	v_and_b32_e32 v71, v71, v73
	v_not_b32_e32 v73, v177
	v_ashrrev_i32_e32 v179, 31, v179
	v_xor_b32_e32 v178, vcc_lo, v178
	v_cmp_gt_i32_e32 vcc_lo, 0, v177
	v_and_b32_e32 v71, v71, v74
	v_ashrrev_i32_e32 v73, 31, v73
	v_xor_b32_e32 v74, s23, v179
	v_mad_u32_u24 v177, v72, 36, v150
	v_mul_u32_u24_e32 v72, 36, v72
	v_and_b32_e32 v71, v71, v178
	v_xor_b32_e32 v73, vcc_lo, v73
	ds_read_b32 v177, v177 offset:544
	v_add_nc_u32_e32 v179, v150, v72
	v_and_b32_e32 v71, v71, v74
	; wave barrier
	v_and_b32_e32 v71, v71, v73
	v_mbcnt_lo_u32_b32 v178, v71, 0
	v_cmp_ne_u32_e64 s23, 0, v71
	v_cmp_eq_u32_e32 vcc_lo, 0, v178
	s_and_b32 s24, s23, vcc_lo
	s_and_saveexec_b32 s23, s24
	s_cbranch_execz .LBB1251_738
; %bb.737:                              ;   in Loop: Header=BB1251_694 Depth=2
	s_waitcnt lgkmcnt(0)
	v_bcnt_u32_b32 v71, v71, v177
	ds_write_b32 v179, v71 offset:544
.LBB1251_738:                           ;   in Loop: Header=BB1251_694 Depth=2
	s_or_b32 exec_lo, exec_lo, s23
	v_cmp_lt_i64_e32 vcc_lo, -1, v[55:56]
	v_ashrrev_i32_e32 v72, 31, v56
	; wave barrier
	v_xor_b32_e32 v55, v72, v55
	v_cndmask_b32_e64 v71, -1, 0x80000000, vcc_lo
	v_xor_b32_e32 v56, v71, v56
	v_cmp_ne_u64_e32 vcc_lo, s[46:47], v[55:56]
	v_cndmask_b32_e32 v72, 0x80000000, v56, vcc_lo
	v_cndmask_b32_e32 v71, 0, v55, vcc_lo
	v_lshrrev_b64 v[71:72], s52, v[71:72]
	v_and_b32_e32 v72, s64, v71
	v_and_b32_e32 v71, 1, v72
	v_lshlrev_b32_e32 v73, 30, v72
	v_lshlrev_b32_e32 v74, 29, v72
	;; [unrolled: 1-line block ×4, first 2 shown]
	v_add_co_u32 v71, s23, v71, -1
	v_cndmask_b32_e64 v180, 0, 1, s23
	v_not_b32_e32 v184, v73
	v_cmp_gt_i32_e64 s23, 0, v73
	v_not_b32_e32 v73, v74
	v_lshlrev_b32_e32 v183, 26, v72
	v_cmp_ne_u32_e32 vcc_lo, 0, v180
	v_ashrrev_i32_e32 v184, 31, v184
	v_lshlrev_b32_e32 v180, 25, v72
	v_ashrrev_i32_e32 v73, 31, v73
	v_xor_b32_e32 v71, vcc_lo, v71
	v_cmp_gt_i32_e32 vcc_lo, 0, v74
	v_not_b32_e32 v74, v181
	v_xor_b32_e32 v184, s23, v184
	v_cmp_gt_i32_e64 s23, 0, v181
	v_and_b32_e32 v71, exec_lo, v71
	v_not_b32_e32 v181, v182
	v_ashrrev_i32_e32 v74, 31, v74
	v_xor_b32_e32 v73, vcc_lo, v73
	v_cmp_gt_i32_e32 vcc_lo, 0, v182
	v_and_b32_e32 v71, v71, v184
	v_not_b32_e32 v182, v183
	v_ashrrev_i32_e32 v181, 31, v181
	v_xor_b32_e32 v74, s23, v74
	v_cmp_gt_i32_e64 s23, 0, v183
	v_and_b32_e32 v71, v71, v73
	v_not_b32_e32 v73, v180
	v_ashrrev_i32_e32 v182, 31, v182
	v_xor_b32_e32 v181, vcc_lo, v181
	v_cmp_gt_i32_e32 vcc_lo, 0, v180
	v_and_b32_e32 v71, v71, v74
	v_ashrrev_i32_e32 v73, 31, v73
	v_xor_b32_e32 v74, s23, v182
	v_mad_u32_u24 v180, v72, 36, v150
	v_mul_u32_u24_e32 v72, 36, v72
	v_and_b32_e32 v71, v71, v181
	v_xor_b32_e32 v73, vcc_lo, v73
	ds_read_b32 v180, v180 offset:544
	v_add_nc_u32_e32 v182, v150, v72
	v_and_b32_e32 v71, v71, v74
	; wave barrier
	v_and_b32_e32 v71, v71, v73
	v_mbcnt_lo_u32_b32 v181, v71, 0
	v_cmp_ne_u32_e64 s23, 0, v71
	v_cmp_eq_u32_e32 vcc_lo, 0, v181
	s_and_b32 s24, s23, vcc_lo
	s_and_saveexec_b32 s23, s24
	s_cbranch_execz .LBB1251_740
; %bb.739:                              ;   in Loop: Header=BB1251_694 Depth=2
	s_waitcnt lgkmcnt(0)
	v_bcnt_u32_b32 v71, v71, v180
	ds_write_b32 v182, v71 offset:544
.LBB1251_740:                           ;   in Loop: Header=BB1251_694 Depth=2
	s_or_b32 exec_lo, exec_lo, s23
	v_cmp_lt_i64_e32 vcc_lo, -1, v[59:60]
	v_ashrrev_i32_e32 v72, 31, v60
	; wave barrier
	v_xor_b32_e32 v59, v72, v59
	v_cndmask_b32_e64 v71, -1, 0x80000000, vcc_lo
	v_xor_b32_e32 v60, v71, v60
	v_cmp_ne_u64_e32 vcc_lo, s[46:47], v[59:60]
	v_cndmask_b32_e32 v72, 0x80000000, v60, vcc_lo
	v_cndmask_b32_e32 v71, 0, v59, vcc_lo
	v_lshrrev_b64 v[71:72], s52, v[71:72]
	v_and_b32_e32 v72, s64, v71
	v_and_b32_e32 v71, 1, v72
	v_lshlrev_b32_e32 v73, 30, v72
	v_lshlrev_b32_e32 v74, 29, v72
	;; [unrolled: 1-line block ×4, first 2 shown]
	v_add_co_u32 v71, s23, v71, -1
	v_cndmask_b32_e64 v183, 0, 1, s23
	v_not_b32_e32 v187, v73
	v_cmp_gt_i32_e64 s23, 0, v73
	v_not_b32_e32 v73, v74
	v_lshlrev_b32_e32 v186, 26, v72
	v_cmp_ne_u32_e32 vcc_lo, 0, v183
	v_ashrrev_i32_e32 v187, 31, v187
	v_lshlrev_b32_e32 v183, 25, v72
	v_ashrrev_i32_e32 v73, 31, v73
	v_xor_b32_e32 v71, vcc_lo, v71
	v_cmp_gt_i32_e32 vcc_lo, 0, v74
	v_not_b32_e32 v74, v184
	v_xor_b32_e32 v187, s23, v187
	v_cmp_gt_i32_e64 s23, 0, v184
	v_and_b32_e32 v71, exec_lo, v71
	v_not_b32_e32 v184, v185
	v_ashrrev_i32_e32 v74, 31, v74
	v_xor_b32_e32 v73, vcc_lo, v73
	v_cmp_gt_i32_e32 vcc_lo, 0, v185
	v_and_b32_e32 v71, v71, v187
	v_not_b32_e32 v185, v186
	v_ashrrev_i32_e32 v184, 31, v184
	v_xor_b32_e32 v74, s23, v74
	v_cmp_gt_i32_e64 s23, 0, v186
	v_and_b32_e32 v71, v71, v73
	v_not_b32_e32 v73, v183
	v_ashrrev_i32_e32 v185, 31, v185
	v_xor_b32_e32 v184, vcc_lo, v184
	v_cmp_gt_i32_e32 vcc_lo, 0, v183
	v_and_b32_e32 v71, v71, v74
	v_ashrrev_i32_e32 v73, 31, v73
	v_xor_b32_e32 v74, s23, v185
	v_mad_u32_u24 v183, v72, 36, v150
	v_mul_u32_u24_e32 v72, 36, v72
	v_and_b32_e32 v71, v71, v184
	v_xor_b32_e32 v73, vcc_lo, v73
	ds_read_b32 v183, v183 offset:544
	v_add_nc_u32_e32 v185, v150, v72
	v_and_b32_e32 v71, v71, v74
	; wave barrier
	v_and_b32_e32 v71, v71, v73
	v_mbcnt_lo_u32_b32 v184, v71, 0
	v_cmp_ne_u32_e64 s23, 0, v71
	v_cmp_eq_u32_e32 vcc_lo, 0, v184
	s_and_b32 s24, s23, vcc_lo
	s_and_saveexec_b32 s23, s24
	s_cbranch_execz .LBB1251_742
; %bb.741:                              ;   in Loop: Header=BB1251_694 Depth=2
	s_waitcnt lgkmcnt(0)
	v_bcnt_u32_b32 v71, v71, v183
	ds_write_b32 v185, v71 offset:544
.LBB1251_742:                           ;   in Loop: Header=BB1251_694 Depth=2
	s_or_b32 exec_lo, exec_lo, s23
	v_cmp_lt_i64_e32 vcc_lo, -1, v[63:64]
	v_ashrrev_i32_e32 v72, 31, v64
	; wave barrier
	v_xor_b32_e32 v63, v72, v63
	v_cndmask_b32_e64 v71, -1, 0x80000000, vcc_lo
	v_xor_b32_e32 v64, v71, v64
	v_cmp_ne_u64_e32 vcc_lo, s[46:47], v[63:64]
	v_cndmask_b32_e32 v72, 0x80000000, v64, vcc_lo
	v_cndmask_b32_e32 v71, 0, v63, vcc_lo
	v_lshrrev_b64 v[71:72], s52, v[71:72]
	v_and_b32_e32 v72, s64, v71
	v_and_b32_e32 v71, 1, v72
	v_lshlrev_b32_e32 v73, 30, v72
	v_lshlrev_b32_e32 v74, 29, v72
	;; [unrolled: 1-line block ×4, first 2 shown]
	v_add_co_u32 v71, s23, v71, -1
	v_cndmask_b32_e64 v186, 0, 1, s23
	v_not_b32_e32 v190, v73
	v_cmp_gt_i32_e64 s23, 0, v73
	v_not_b32_e32 v73, v74
	v_lshlrev_b32_e32 v189, 26, v72
	v_cmp_ne_u32_e32 vcc_lo, 0, v186
	v_ashrrev_i32_e32 v190, 31, v190
	v_lshlrev_b32_e32 v186, 25, v72
	v_ashrrev_i32_e32 v73, 31, v73
	v_xor_b32_e32 v71, vcc_lo, v71
	v_cmp_gt_i32_e32 vcc_lo, 0, v74
	v_not_b32_e32 v74, v187
	v_xor_b32_e32 v190, s23, v190
	v_cmp_gt_i32_e64 s23, 0, v187
	v_and_b32_e32 v71, exec_lo, v71
	v_not_b32_e32 v187, v188
	v_ashrrev_i32_e32 v74, 31, v74
	v_xor_b32_e32 v73, vcc_lo, v73
	v_cmp_gt_i32_e32 vcc_lo, 0, v188
	v_and_b32_e32 v71, v71, v190
	v_not_b32_e32 v188, v189
	v_ashrrev_i32_e32 v187, 31, v187
	v_xor_b32_e32 v74, s23, v74
	v_cmp_gt_i32_e64 s23, 0, v189
	v_and_b32_e32 v71, v71, v73
	v_not_b32_e32 v73, v186
	v_ashrrev_i32_e32 v188, 31, v188
	v_xor_b32_e32 v187, vcc_lo, v187
	v_cmp_gt_i32_e32 vcc_lo, 0, v186
	v_and_b32_e32 v71, v71, v74
	v_ashrrev_i32_e32 v73, 31, v73
	v_xor_b32_e32 v74, s23, v188
	v_mad_u32_u24 v186, v72, 36, v150
	v_mul_u32_u24_e32 v72, 36, v72
	v_and_b32_e32 v71, v71, v187
	v_xor_b32_e32 v73, vcc_lo, v73
	ds_read_b32 v186, v186 offset:544
	v_add_nc_u32_e32 v188, v150, v72
	v_and_b32_e32 v71, v71, v74
	; wave barrier
	v_and_b32_e32 v71, v71, v73
	v_mbcnt_lo_u32_b32 v187, v71, 0
	v_cmp_ne_u32_e64 s23, 0, v71
	v_cmp_eq_u32_e32 vcc_lo, 0, v187
	s_and_b32 s24, s23, vcc_lo
	s_and_saveexec_b32 s23, s24
	s_cbranch_execz .LBB1251_744
; %bb.743:                              ;   in Loop: Header=BB1251_694 Depth=2
	s_waitcnt lgkmcnt(0)
	v_bcnt_u32_b32 v71, v71, v186
	ds_write_b32 v188, v71 offset:544
.LBB1251_744:                           ;   in Loop: Header=BB1251_694 Depth=2
	s_or_b32 exec_lo, exec_lo, s23
	v_cmp_lt_i64_e32 vcc_lo, -1, v[67:68]
	v_ashrrev_i32_e32 v72, 31, v68
	; wave barrier
	v_xor_b32_e32 v67, v72, v67
	v_cndmask_b32_e64 v71, -1, 0x80000000, vcc_lo
	v_xor_b32_e32 v68, v71, v68
	v_cmp_ne_u64_e32 vcc_lo, s[46:47], v[67:68]
	v_cndmask_b32_e32 v72, 0x80000000, v68, vcc_lo
	v_cndmask_b32_e32 v71, 0, v67, vcc_lo
	v_lshrrev_b64 v[71:72], s52, v[71:72]
	v_and_b32_e32 v72, s64, v71
	v_and_b32_e32 v71, 1, v72
	v_lshlrev_b32_e32 v73, 30, v72
	v_lshlrev_b32_e32 v74, 29, v72
	;; [unrolled: 1-line block ×4, first 2 shown]
	v_add_co_u32 v71, s23, v71, -1
	v_cndmask_b32_e64 v189, 0, 1, s23
	v_not_b32_e32 v193, v73
	v_cmp_gt_i32_e64 s23, 0, v73
	v_not_b32_e32 v73, v74
	v_lshlrev_b32_e32 v192, 26, v72
	v_cmp_ne_u32_e32 vcc_lo, 0, v189
	v_ashrrev_i32_e32 v193, 31, v193
	v_lshlrev_b32_e32 v189, 25, v72
	v_ashrrev_i32_e32 v73, 31, v73
	v_xor_b32_e32 v71, vcc_lo, v71
	v_cmp_gt_i32_e32 vcc_lo, 0, v74
	v_not_b32_e32 v74, v190
	v_xor_b32_e32 v193, s23, v193
	v_cmp_gt_i32_e64 s23, 0, v190
	v_and_b32_e32 v71, exec_lo, v71
	v_not_b32_e32 v190, v191
	v_ashrrev_i32_e32 v74, 31, v74
	v_xor_b32_e32 v73, vcc_lo, v73
	v_cmp_gt_i32_e32 vcc_lo, 0, v191
	v_and_b32_e32 v71, v71, v193
	v_not_b32_e32 v191, v192
	v_ashrrev_i32_e32 v190, 31, v190
	v_xor_b32_e32 v74, s23, v74
	v_cmp_gt_i32_e64 s23, 0, v192
	v_and_b32_e32 v71, v71, v73
	v_not_b32_e32 v73, v189
	v_ashrrev_i32_e32 v191, 31, v191
	v_xor_b32_e32 v190, vcc_lo, v190
	v_cmp_gt_i32_e32 vcc_lo, 0, v189
	v_and_b32_e32 v71, v71, v74
	v_ashrrev_i32_e32 v73, 31, v73
	v_xor_b32_e32 v74, s23, v191
	v_mad_u32_u24 v189, v72, 36, v150
	v_mul_u32_u24_e32 v72, 36, v72
	v_and_b32_e32 v71, v71, v190
	v_xor_b32_e32 v73, vcc_lo, v73
	ds_read_b32 v189, v189 offset:544
	v_add_nc_u32_e32 v191, v150, v72
	v_and_b32_e32 v71, v71, v74
	; wave barrier
	v_and_b32_e32 v71, v71, v73
	v_mbcnt_lo_u32_b32 v190, v71, 0
	v_cmp_ne_u32_e64 s23, 0, v71
	v_cmp_eq_u32_e32 vcc_lo, 0, v190
	s_and_b32 s24, s23, vcc_lo
	s_and_saveexec_b32 s23, s24
	s_cbranch_execz .LBB1251_746
; %bb.745:                              ;   in Loop: Header=BB1251_694 Depth=2
	s_waitcnt lgkmcnt(0)
	v_bcnt_u32_b32 v71, v71, v189
	ds_write_b32 v191, v71 offset:544
.LBB1251_746:                           ;   in Loop: Header=BB1251_694 Depth=2
	s_or_b32 exec_lo, exec_lo, s23
	v_cmp_lt_i64_e32 vcc_lo, -1, v[69:70]
	v_ashrrev_i32_e32 v72, 31, v70
	; wave barrier
	v_xor_b32_e32 v69, v72, v69
	v_cndmask_b32_e64 v71, -1, 0x80000000, vcc_lo
	v_xor_b32_e32 v70, v71, v70
	v_cmp_ne_u64_e32 vcc_lo, s[46:47], v[69:70]
	v_cndmask_b32_e32 v72, 0x80000000, v70, vcc_lo
	v_cndmask_b32_e32 v71, 0, v69, vcc_lo
	v_lshrrev_b64 v[71:72], s52, v[71:72]
	v_and_b32_e32 v72, s64, v71
	v_and_b32_e32 v71, 1, v72
	v_lshlrev_b32_e32 v73, 30, v72
	v_lshlrev_b32_e32 v74, 29, v72
	;; [unrolled: 1-line block ×4, first 2 shown]
	v_add_co_u32 v71, s23, v71, -1
	v_cndmask_b32_e64 v192, 0, 1, s23
	v_not_b32_e32 v196, v73
	v_cmp_gt_i32_e64 s23, 0, v73
	v_not_b32_e32 v73, v74
	v_lshlrev_b32_e32 v195, 26, v72
	v_cmp_ne_u32_e32 vcc_lo, 0, v192
	v_ashrrev_i32_e32 v196, 31, v196
	v_lshlrev_b32_e32 v192, 25, v72
	v_ashrrev_i32_e32 v73, 31, v73
	v_xor_b32_e32 v71, vcc_lo, v71
	v_cmp_gt_i32_e32 vcc_lo, 0, v74
	v_not_b32_e32 v74, v193
	v_xor_b32_e32 v196, s23, v196
	v_cmp_gt_i32_e64 s23, 0, v193
	v_and_b32_e32 v71, exec_lo, v71
	v_not_b32_e32 v193, v194
	v_ashrrev_i32_e32 v74, 31, v74
	v_xor_b32_e32 v73, vcc_lo, v73
	v_cmp_gt_i32_e32 vcc_lo, 0, v194
	v_and_b32_e32 v71, v71, v196
	v_not_b32_e32 v194, v195
	v_ashrrev_i32_e32 v193, 31, v193
	v_xor_b32_e32 v74, s23, v74
	v_cmp_gt_i32_e64 s23, 0, v195
	v_and_b32_e32 v71, v71, v73
	v_not_b32_e32 v73, v192
	v_ashrrev_i32_e32 v194, 31, v194
	v_xor_b32_e32 v193, vcc_lo, v193
	v_cmp_gt_i32_e32 vcc_lo, 0, v192
	v_and_b32_e32 v71, v71, v74
	v_ashrrev_i32_e32 v73, 31, v73
	v_xor_b32_e32 v74, s23, v194
	v_mad_u32_u24 v192, v72, 36, v150
	v_mul_u32_u24_e32 v72, 36, v72
	v_and_b32_e32 v71, v71, v193
	v_xor_b32_e32 v73, vcc_lo, v73
	ds_read_b32 v192, v192 offset:544
	v_add_nc_u32_e32 v194, v150, v72
	v_and_b32_e32 v71, v71, v74
	; wave barrier
	v_and_b32_e32 v71, v71, v73
	v_mbcnt_lo_u32_b32 v193, v71, 0
	v_cmp_ne_u32_e64 s23, 0, v71
	v_cmp_eq_u32_e32 vcc_lo, 0, v193
	s_and_b32 s24, s23, vcc_lo
	s_and_saveexec_b32 s23, s24
	s_cbranch_execz .LBB1251_748
; %bb.747:                              ;   in Loop: Header=BB1251_694 Depth=2
	s_waitcnt lgkmcnt(0)
	v_bcnt_u32_b32 v71, v71, v192
	ds_write_b32 v194, v71 offset:544
.LBB1251_748:                           ;   in Loop: Header=BB1251_694 Depth=2
	s_or_b32 exec_lo, exec_lo, s23
	v_cmp_lt_i64_e32 vcc_lo, -1, v[65:66]
	v_ashrrev_i32_e32 v72, 31, v66
	; wave barrier
	v_xor_b32_e32 v65, v72, v65
	v_cndmask_b32_e64 v71, -1, 0x80000000, vcc_lo
	v_xor_b32_e32 v66, v71, v66
	v_cmp_ne_u64_e32 vcc_lo, s[46:47], v[65:66]
	v_cndmask_b32_e32 v72, 0x80000000, v66, vcc_lo
	v_cndmask_b32_e32 v71, 0, v65, vcc_lo
	v_lshrrev_b64 v[71:72], s52, v[71:72]
	v_and_b32_e32 v72, s64, v71
	v_and_b32_e32 v71, 1, v72
	v_lshlrev_b32_e32 v73, 30, v72
	v_lshlrev_b32_e32 v74, 29, v72
	;; [unrolled: 1-line block ×4, first 2 shown]
	v_add_co_u32 v71, s23, v71, -1
	v_cndmask_b32_e64 v195, 0, 1, s23
	v_not_b32_e32 v199, v73
	v_cmp_gt_i32_e64 s23, 0, v73
	v_not_b32_e32 v73, v74
	v_lshlrev_b32_e32 v198, 26, v72
	v_cmp_ne_u32_e32 vcc_lo, 0, v195
	v_ashrrev_i32_e32 v199, 31, v199
	v_lshlrev_b32_e32 v195, 25, v72
	v_ashrrev_i32_e32 v73, 31, v73
	v_xor_b32_e32 v71, vcc_lo, v71
	v_cmp_gt_i32_e32 vcc_lo, 0, v74
	v_not_b32_e32 v74, v196
	v_xor_b32_e32 v199, s23, v199
	v_cmp_gt_i32_e64 s23, 0, v196
	v_and_b32_e32 v71, exec_lo, v71
	v_not_b32_e32 v196, v197
	v_ashrrev_i32_e32 v74, 31, v74
	v_xor_b32_e32 v73, vcc_lo, v73
	v_cmp_gt_i32_e32 vcc_lo, 0, v197
	v_and_b32_e32 v71, v71, v199
	v_not_b32_e32 v197, v198
	v_ashrrev_i32_e32 v196, 31, v196
	v_xor_b32_e32 v74, s23, v74
	v_cmp_gt_i32_e64 s23, 0, v198
	v_and_b32_e32 v71, v71, v73
	v_not_b32_e32 v73, v195
	v_ashrrev_i32_e32 v197, 31, v197
	v_xor_b32_e32 v196, vcc_lo, v196
	v_cmp_gt_i32_e32 vcc_lo, 0, v195
	v_and_b32_e32 v71, v71, v74
	v_ashrrev_i32_e32 v73, 31, v73
	v_xor_b32_e32 v74, s23, v197
	v_mad_u32_u24 v195, v72, 36, v150
	v_mul_u32_u24_e32 v72, 36, v72
	v_and_b32_e32 v71, v71, v196
	v_xor_b32_e32 v73, vcc_lo, v73
	ds_read_b32 v195, v195 offset:544
	v_add_nc_u32_e32 v198, v150, v72
	v_and_b32_e32 v71, v71, v74
	; wave barrier
	v_and_b32_e32 v71, v71, v73
	v_mbcnt_lo_u32_b32 v196, v71, 0
	v_cmp_ne_u32_e64 s23, 0, v71
	v_cmp_eq_u32_e32 vcc_lo, 0, v196
	s_and_b32 s24, s23, vcc_lo
	s_and_saveexec_b32 s23, s24
	s_cbranch_execz .LBB1251_750
; %bb.749:                              ;   in Loop: Header=BB1251_694 Depth=2
	s_waitcnt lgkmcnt(0)
	v_bcnt_u32_b32 v71, v71, v195
	ds_write_b32 v198, v71 offset:544
.LBB1251_750:                           ;   in Loop: Header=BB1251_694 Depth=2
	s_or_b32 exec_lo, exec_lo, s23
	v_cmp_lt_i64_e32 vcc_lo, -1, v[61:62]
	v_ashrrev_i32_e32 v72, 31, v62
	; wave barrier
	v_xor_b32_e32 v61, v72, v61
	v_cndmask_b32_e64 v71, -1, 0x80000000, vcc_lo
	v_xor_b32_e32 v62, v71, v62
	v_cmp_ne_u64_e32 vcc_lo, s[46:47], v[61:62]
	v_cndmask_b32_e32 v72, 0x80000000, v62, vcc_lo
	v_cndmask_b32_e32 v71, 0, v61, vcc_lo
	v_lshrrev_b64 v[71:72], s52, v[71:72]
	v_and_b32_e32 v72, s64, v71
	v_and_b32_e32 v71, 1, v72
	v_lshlrev_b32_e32 v73, 30, v72
	v_lshlrev_b32_e32 v74, 29, v72
	;; [unrolled: 1-line block ×4, first 2 shown]
	v_add_co_u32 v71, s23, v71, -1
	v_cndmask_b32_e64 v197, 0, 1, s23
	v_not_b32_e32 v202, v73
	v_cmp_gt_i32_e64 s23, 0, v73
	v_not_b32_e32 v73, v74
	v_lshlrev_b32_e32 v201, 26, v72
	v_cmp_ne_u32_e32 vcc_lo, 0, v197
	v_ashrrev_i32_e32 v202, 31, v202
	v_lshlrev_b32_e32 v197, 25, v72
	v_ashrrev_i32_e32 v73, 31, v73
	v_xor_b32_e32 v71, vcc_lo, v71
	v_cmp_gt_i32_e32 vcc_lo, 0, v74
	v_not_b32_e32 v74, v199
	v_xor_b32_e32 v202, s23, v202
	v_cmp_gt_i32_e64 s23, 0, v199
	v_and_b32_e32 v71, exec_lo, v71
	v_not_b32_e32 v199, v200
	v_ashrrev_i32_e32 v74, 31, v74
	v_xor_b32_e32 v73, vcc_lo, v73
	v_cmp_gt_i32_e32 vcc_lo, 0, v200
	v_and_b32_e32 v71, v71, v202
	v_not_b32_e32 v200, v201
	v_ashrrev_i32_e32 v199, 31, v199
	v_xor_b32_e32 v74, s23, v74
	v_cmp_gt_i32_e64 s23, 0, v201
	v_and_b32_e32 v71, v71, v73
	v_not_b32_e32 v73, v197
	v_ashrrev_i32_e32 v200, 31, v200
	v_xor_b32_e32 v199, vcc_lo, v199
	v_cmp_gt_i32_e32 vcc_lo, 0, v197
	v_and_b32_e32 v71, v71, v74
	v_ashrrev_i32_e32 v73, 31, v73
	v_xor_b32_e32 v74, s23, v200
	v_mad_u32_u24 v197, v72, 36, v150
	v_mul_u32_u24_e32 v72, 36, v72
	v_and_b32_e32 v71, v71, v199
	v_xor_b32_e32 v73, vcc_lo, v73
	ds_read_b32 v197, v197 offset:544
	v_add_nc_u32_e32 v202, v150, v72
	v_and_b32_e32 v71, v71, v74
	; wave barrier
	v_and_b32_e32 v71, v71, v73
	v_mbcnt_lo_u32_b32 v199, v71, 0
	v_cmp_ne_u32_e64 s23, 0, v71
	v_cmp_eq_u32_e32 vcc_lo, 0, v199
	s_and_b32 s24, s23, vcc_lo
	s_and_saveexec_b32 s23, s24
	s_cbranch_execz .LBB1251_752
; %bb.751:                              ;   in Loop: Header=BB1251_694 Depth=2
	s_waitcnt lgkmcnt(0)
	v_bcnt_u32_b32 v71, v71, v197
	ds_write_b32 v202, v71 offset:544
.LBB1251_752:                           ;   in Loop: Header=BB1251_694 Depth=2
	s_or_b32 exec_lo, exec_lo, s23
	v_cmp_lt_i64_e32 vcc_lo, -1, v[57:58]
	v_ashrrev_i32_e32 v72, 31, v58
	; wave barrier
	v_xor_b32_e32 v57, v72, v57
	v_cndmask_b32_e64 v71, -1, 0x80000000, vcc_lo
	v_xor_b32_e32 v58, v71, v58
	v_cmp_ne_u64_e32 vcc_lo, s[46:47], v[57:58]
	v_cndmask_b32_e32 v72, 0x80000000, v58, vcc_lo
	v_cndmask_b32_e32 v71, 0, v57, vcc_lo
	v_lshrrev_b64 v[71:72], s52, v[71:72]
	v_and_b32_e32 v72, s64, v71
	v_and_b32_e32 v71, 1, v72
	v_lshlrev_b32_e32 v73, 30, v72
	v_lshlrev_b32_e32 v74, 29, v72
	;; [unrolled: 1-line block ×4, first 2 shown]
	v_add_co_u32 v71, s23, v71, -1
	v_cndmask_b32_e64 v200, 0, 1, s23
	v_not_b32_e32 v205, v73
	v_cmp_gt_i32_e64 s23, 0, v73
	v_not_b32_e32 v73, v74
	v_lshlrev_b32_e32 v204, 26, v72
	v_cmp_ne_u32_e32 vcc_lo, 0, v200
	v_ashrrev_i32_e32 v205, 31, v205
	v_lshlrev_b32_e32 v200, 25, v72
	v_ashrrev_i32_e32 v73, 31, v73
	v_xor_b32_e32 v71, vcc_lo, v71
	v_cmp_gt_i32_e32 vcc_lo, 0, v74
	v_not_b32_e32 v74, v201
	v_xor_b32_e32 v205, s23, v205
	v_cmp_gt_i32_e64 s23, 0, v201
	v_and_b32_e32 v71, exec_lo, v71
	v_not_b32_e32 v201, v203
	v_ashrrev_i32_e32 v74, 31, v74
	v_xor_b32_e32 v73, vcc_lo, v73
	v_cmp_gt_i32_e32 vcc_lo, 0, v203
	v_and_b32_e32 v71, v71, v205
	v_not_b32_e32 v203, v204
	v_ashrrev_i32_e32 v201, 31, v201
	v_xor_b32_e32 v74, s23, v74
	v_cmp_gt_i32_e64 s23, 0, v204
	v_and_b32_e32 v71, v71, v73
	v_not_b32_e32 v73, v200
	v_ashrrev_i32_e32 v203, 31, v203
	v_xor_b32_e32 v201, vcc_lo, v201
	v_cmp_gt_i32_e32 vcc_lo, 0, v200
	v_and_b32_e32 v71, v71, v74
	v_ashrrev_i32_e32 v73, 31, v73
	v_xor_b32_e32 v74, s23, v203
	v_mad_u32_u24 v200, v72, 36, v150
	v_mul_u32_u24_e32 v72, 36, v72
	v_and_b32_e32 v71, v71, v201
	v_xor_b32_e32 v73, vcc_lo, v73
	ds_read_b32 v200, v200 offset:544
	v_add_nc_u32_e32 v205, v150, v72
	v_and_b32_e32 v71, v71, v74
	; wave barrier
	v_and_b32_e32 v71, v71, v73
	v_mbcnt_lo_u32_b32 v201, v71, 0
	v_cmp_ne_u32_e64 s23, 0, v71
	v_cmp_eq_u32_e32 vcc_lo, 0, v201
	s_and_b32 s24, s23, vcc_lo
	s_and_saveexec_b32 s23, s24
	s_cbranch_execz .LBB1251_754
; %bb.753:                              ;   in Loop: Header=BB1251_694 Depth=2
	s_waitcnt lgkmcnt(0)
	v_bcnt_u32_b32 v71, v71, v200
	ds_write_b32 v205, v71 offset:544
.LBB1251_754:                           ;   in Loop: Header=BB1251_694 Depth=2
	s_or_b32 exec_lo, exec_lo, s23
	v_cmp_lt_i64_e32 vcc_lo, -1, v[53:54]
	v_ashrrev_i32_e32 v72, 31, v54
	; wave barrier
	v_xor_b32_e32 v53, v72, v53
	v_cndmask_b32_e64 v71, -1, 0x80000000, vcc_lo
	v_xor_b32_e32 v54, v71, v54
	v_cmp_ne_u64_e32 vcc_lo, s[46:47], v[53:54]
	v_cndmask_b32_e32 v72, 0x80000000, v54, vcc_lo
	v_cndmask_b32_e32 v71, 0, v53, vcc_lo
	v_lshrrev_b64 v[71:72], s52, v[71:72]
	v_and_b32_e32 v72, s64, v71
	v_and_b32_e32 v71, 1, v72
	v_lshlrev_b32_e32 v73, 30, v72
	v_lshlrev_b32_e32 v74, 29, v72
	;; [unrolled: 1-line block ×4, first 2 shown]
	v_add_co_u32 v71, s23, v71, -1
	v_cndmask_b32_e64 v203, 0, 1, s23
	v_not_b32_e32 v208, v73
	v_cmp_gt_i32_e64 s23, 0, v73
	v_not_b32_e32 v73, v74
	v_lshlrev_b32_e32 v207, 26, v72
	v_cmp_ne_u32_e32 vcc_lo, 0, v203
	v_ashrrev_i32_e32 v208, 31, v208
	v_lshlrev_b32_e32 v203, 25, v72
	v_ashrrev_i32_e32 v73, 31, v73
	v_xor_b32_e32 v71, vcc_lo, v71
	v_cmp_gt_i32_e32 vcc_lo, 0, v74
	v_not_b32_e32 v74, v204
	v_xor_b32_e32 v208, s23, v208
	v_cmp_gt_i32_e64 s23, 0, v204
	v_and_b32_e32 v71, exec_lo, v71
	v_not_b32_e32 v204, v206
	v_ashrrev_i32_e32 v74, 31, v74
	v_xor_b32_e32 v73, vcc_lo, v73
	v_cmp_gt_i32_e32 vcc_lo, 0, v206
	v_and_b32_e32 v71, v71, v208
	v_not_b32_e32 v206, v207
	v_ashrrev_i32_e32 v204, 31, v204
	v_xor_b32_e32 v74, s23, v74
	v_cmp_gt_i32_e64 s23, 0, v207
	v_and_b32_e32 v71, v71, v73
	v_not_b32_e32 v73, v203
	v_ashrrev_i32_e32 v206, 31, v206
	v_xor_b32_e32 v204, vcc_lo, v204
	v_cmp_gt_i32_e32 vcc_lo, 0, v203
	v_and_b32_e32 v71, v71, v74
	v_ashrrev_i32_e32 v73, 31, v73
	v_xor_b32_e32 v74, s23, v206
	v_mad_u32_u24 v203, v72, 36, v150
	v_mul_u32_u24_e32 v72, 36, v72
	v_and_b32_e32 v71, v71, v204
	v_xor_b32_e32 v73, vcc_lo, v73
	ds_read_b32 v203, v203 offset:544
	v_add_nc_u32_e32 v208, v150, v72
	v_and_b32_e32 v71, v71, v74
	; wave barrier
	v_and_b32_e32 v71, v71, v73
	v_mbcnt_lo_u32_b32 v204, v71, 0
	v_cmp_ne_u32_e64 s23, 0, v71
	v_cmp_eq_u32_e32 vcc_lo, 0, v204
	s_and_b32 s24, s23, vcc_lo
	s_and_saveexec_b32 s23, s24
	s_cbranch_execz .LBB1251_756
; %bb.755:                              ;   in Loop: Header=BB1251_694 Depth=2
	s_waitcnt lgkmcnt(0)
	v_bcnt_u32_b32 v71, v71, v203
	ds_write_b32 v208, v71 offset:544
.LBB1251_756:                           ;   in Loop: Header=BB1251_694 Depth=2
	s_or_b32 exec_lo, exec_lo, s23
	v_cmp_lt_i64_e32 vcc_lo, -1, v[51:52]
	v_ashrrev_i32_e32 v72, 31, v52
	; wave barrier
	v_xor_b32_e32 v51, v72, v51
	v_cndmask_b32_e64 v71, -1, 0x80000000, vcc_lo
	v_xor_b32_e32 v52, v71, v52
	v_cmp_ne_u64_e32 vcc_lo, s[46:47], v[51:52]
	v_cndmask_b32_e32 v72, 0x80000000, v52, vcc_lo
	v_cndmask_b32_e32 v71, 0, v51, vcc_lo
	v_lshrrev_b64 v[71:72], s52, v[71:72]
	v_and_b32_e32 v72, s64, v71
	v_and_b32_e32 v71, 1, v72
	v_lshlrev_b32_e32 v73, 30, v72
	v_lshlrev_b32_e32 v74, 29, v72
	;; [unrolled: 1-line block ×4, first 2 shown]
	v_add_co_u32 v71, s23, v71, -1
	v_cndmask_b32_e64 v206, 0, 1, s23
	v_not_b32_e32 v211, v73
	v_cmp_gt_i32_e64 s23, 0, v73
	v_not_b32_e32 v73, v74
	v_lshlrev_b32_e32 v210, 26, v72
	v_cmp_ne_u32_e32 vcc_lo, 0, v206
	v_ashrrev_i32_e32 v211, 31, v211
	v_lshlrev_b32_e32 v206, 25, v72
	v_ashrrev_i32_e32 v73, 31, v73
	v_xor_b32_e32 v71, vcc_lo, v71
	v_cmp_gt_i32_e32 vcc_lo, 0, v74
	v_not_b32_e32 v74, v207
	v_xor_b32_e32 v211, s23, v211
	v_cmp_gt_i32_e64 s23, 0, v207
	v_and_b32_e32 v71, exec_lo, v71
	v_not_b32_e32 v207, v209
	v_ashrrev_i32_e32 v74, 31, v74
	v_xor_b32_e32 v73, vcc_lo, v73
	v_cmp_gt_i32_e32 vcc_lo, 0, v209
	v_and_b32_e32 v71, v71, v211
	v_not_b32_e32 v209, v210
	v_ashrrev_i32_e32 v207, 31, v207
	v_xor_b32_e32 v74, s23, v74
	v_cmp_gt_i32_e64 s23, 0, v210
	v_and_b32_e32 v71, v71, v73
	v_not_b32_e32 v73, v206
	v_ashrrev_i32_e32 v209, 31, v209
	v_xor_b32_e32 v207, vcc_lo, v207
	v_cmp_gt_i32_e32 vcc_lo, 0, v206
	v_and_b32_e32 v71, v71, v74
	v_ashrrev_i32_e32 v73, 31, v73
	v_xor_b32_e32 v74, s23, v209
	v_mad_u32_u24 v206, v72, 36, v150
	v_mul_u32_u24_e32 v72, 36, v72
	v_and_b32_e32 v71, v71, v207
	v_xor_b32_e32 v73, vcc_lo, v73
	ds_read_b32 v206, v206 offset:544
	v_add_nc_u32_e32 v211, v150, v72
	v_and_b32_e32 v71, v71, v74
	; wave barrier
	v_and_b32_e32 v71, v71, v73
	v_mbcnt_lo_u32_b32 v207, v71, 0
	v_cmp_ne_u32_e64 s23, 0, v71
	v_cmp_eq_u32_e32 vcc_lo, 0, v207
	s_and_b32 s24, s23, vcc_lo
	s_and_saveexec_b32 s23, s24
	s_cbranch_execz .LBB1251_758
; %bb.757:                              ;   in Loop: Header=BB1251_694 Depth=2
	s_waitcnt lgkmcnt(0)
	v_bcnt_u32_b32 v71, v71, v206
	ds_write_b32 v211, v71 offset:544
.LBB1251_758:                           ;   in Loop: Header=BB1251_694 Depth=2
	s_or_b32 exec_lo, exec_lo, s23
	v_cmp_lt_i64_e32 vcc_lo, -1, v[45:46]
	v_ashrrev_i32_e32 v72, 31, v46
	; wave barrier
	v_xor_b32_e32 v45, v72, v45
	v_cndmask_b32_e64 v71, -1, 0x80000000, vcc_lo
	v_xor_b32_e32 v46, v71, v46
	v_cmp_ne_u64_e32 vcc_lo, s[46:47], v[45:46]
	v_cndmask_b32_e32 v72, 0x80000000, v46, vcc_lo
	v_cndmask_b32_e32 v71, 0, v45, vcc_lo
	v_lshrrev_b64 v[71:72], s52, v[71:72]
	v_and_b32_e32 v72, s64, v71
	v_and_b32_e32 v71, 1, v72
	v_lshlrev_b32_e32 v73, 30, v72
	v_lshlrev_b32_e32 v74, 29, v72
	;; [unrolled: 1-line block ×4, first 2 shown]
	v_add_co_u32 v71, s23, v71, -1
	v_cndmask_b32_e64 v209, 0, 1, s23
	v_not_b32_e32 v214, v73
	v_cmp_gt_i32_e64 s23, 0, v73
	v_not_b32_e32 v73, v74
	v_lshlrev_b32_e32 v213, 26, v72
	v_cmp_ne_u32_e32 vcc_lo, 0, v209
	v_ashrrev_i32_e32 v214, 31, v214
	v_lshlrev_b32_e32 v209, 25, v72
	v_ashrrev_i32_e32 v73, 31, v73
	v_xor_b32_e32 v71, vcc_lo, v71
	v_cmp_gt_i32_e32 vcc_lo, 0, v74
	v_not_b32_e32 v74, v210
	v_xor_b32_e32 v214, s23, v214
	v_cmp_gt_i32_e64 s23, 0, v210
	v_and_b32_e32 v71, exec_lo, v71
	v_not_b32_e32 v210, v212
	v_ashrrev_i32_e32 v74, 31, v74
	v_xor_b32_e32 v73, vcc_lo, v73
	v_cmp_gt_i32_e32 vcc_lo, 0, v212
	v_and_b32_e32 v71, v71, v214
	v_not_b32_e32 v212, v213
	v_ashrrev_i32_e32 v210, 31, v210
	v_xor_b32_e32 v74, s23, v74
	v_cmp_gt_i32_e64 s23, 0, v213
	v_and_b32_e32 v71, v71, v73
	v_not_b32_e32 v73, v209
	v_ashrrev_i32_e32 v212, 31, v212
	v_xor_b32_e32 v210, vcc_lo, v210
	v_cmp_gt_i32_e32 vcc_lo, 0, v209
	v_and_b32_e32 v71, v71, v74
	v_ashrrev_i32_e32 v73, 31, v73
	v_xor_b32_e32 v74, s23, v212
	v_mad_u32_u24 v209, v72, 36, v150
	v_mul_u32_u24_e32 v72, 36, v72
	v_and_b32_e32 v71, v71, v210
	v_xor_b32_e32 v73, vcc_lo, v73
	ds_read_b32 v209, v209 offset:544
	v_add_nc_u32_e32 v214, v150, v72
	v_and_b32_e32 v71, v71, v74
	; wave barrier
	v_and_b32_e32 v71, v71, v73
	v_mbcnt_lo_u32_b32 v210, v71, 0
	v_cmp_ne_u32_e64 s23, 0, v71
	v_cmp_eq_u32_e32 vcc_lo, 0, v210
	s_and_b32 s24, s23, vcc_lo
	s_and_saveexec_b32 s23, s24
	s_cbranch_execz .LBB1251_760
; %bb.759:                              ;   in Loop: Header=BB1251_694 Depth=2
	s_waitcnt lgkmcnt(0)
	v_bcnt_u32_b32 v71, v71, v209
	ds_write_b32 v214, v71 offset:544
.LBB1251_760:                           ;   in Loop: Header=BB1251_694 Depth=2
	s_or_b32 exec_lo, exec_lo, s23
	v_cmp_lt_i64_e32 vcc_lo, -1, v[47:48]
	v_ashrrev_i32_e32 v72, 31, v48
	; wave barrier
	v_xor_b32_e32 v47, v72, v47
	v_cndmask_b32_e64 v71, -1, 0x80000000, vcc_lo
	v_xor_b32_e32 v48, v71, v48
	v_cmp_ne_u64_e32 vcc_lo, s[46:47], v[47:48]
	v_cndmask_b32_e32 v72, 0x80000000, v48, vcc_lo
	v_cndmask_b32_e32 v71, 0, v47, vcc_lo
	v_lshrrev_b64 v[71:72], s52, v[71:72]
	v_and_b32_e32 v72, s64, v71
	v_and_b32_e32 v71, 1, v72
	v_lshlrev_b32_e32 v73, 30, v72
	v_lshlrev_b32_e32 v74, 29, v72
	v_lshlrev_b32_e32 v213, 28, v72
	v_lshlrev_b32_e32 v215, 27, v72
	v_add_co_u32 v71, s23, v71, -1
	v_cndmask_b32_e64 v212, 0, 1, s23
	v_not_b32_e32 v217, v73
	v_cmp_gt_i32_e64 s23, 0, v73
	v_not_b32_e32 v73, v74
	v_lshlrev_b32_e32 v216, 26, v72
	v_cmp_ne_u32_e32 vcc_lo, 0, v212
	v_ashrrev_i32_e32 v217, 31, v217
	v_lshlrev_b32_e32 v212, 25, v72
	v_ashrrev_i32_e32 v73, 31, v73
	v_xor_b32_e32 v71, vcc_lo, v71
	v_cmp_gt_i32_e32 vcc_lo, 0, v74
	v_not_b32_e32 v74, v213
	v_xor_b32_e32 v217, s23, v217
	v_cmp_gt_i32_e64 s23, 0, v213
	v_and_b32_e32 v71, exec_lo, v71
	v_not_b32_e32 v213, v215
	v_ashrrev_i32_e32 v74, 31, v74
	v_xor_b32_e32 v73, vcc_lo, v73
	v_cmp_gt_i32_e32 vcc_lo, 0, v215
	v_and_b32_e32 v71, v71, v217
	v_not_b32_e32 v215, v216
	v_ashrrev_i32_e32 v213, 31, v213
	v_xor_b32_e32 v74, s23, v74
	v_cmp_gt_i32_e64 s23, 0, v216
	v_and_b32_e32 v71, v71, v73
	v_not_b32_e32 v73, v212
	v_ashrrev_i32_e32 v215, 31, v215
	v_xor_b32_e32 v213, vcc_lo, v213
	v_cmp_gt_i32_e32 vcc_lo, 0, v212
	v_and_b32_e32 v71, v71, v74
	v_ashrrev_i32_e32 v73, 31, v73
	v_xor_b32_e32 v74, s23, v215
	v_mad_u32_u24 v212, v72, 36, v150
	v_mul_u32_u24_e32 v72, 36, v72
	v_and_b32_e32 v71, v71, v213
	v_xor_b32_e32 v73, vcc_lo, v73
	ds_read_b32 v212, v212 offset:544
	v_add_nc_u32_e32 v215, v150, v72
	v_and_b32_e32 v71, v71, v74
	; wave barrier
	v_and_b32_e32 v71, v71, v73
	v_mbcnt_lo_u32_b32 v213, v71, 0
	v_cmp_ne_u32_e64 s23, 0, v71
	v_cmp_eq_u32_e32 vcc_lo, 0, v213
	s_and_b32 s24, s23, vcc_lo
	s_and_saveexec_b32 s23, s24
	s_cbranch_execz .LBB1251_762
; %bb.761:                              ;   in Loop: Header=BB1251_694 Depth=2
	s_waitcnt lgkmcnt(0)
	v_bcnt_u32_b32 v71, v71, v212
	ds_write_b32 v215, v71 offset:544
.LBB1251_762:                           ;   in Loop: Header=BB1251_694 Depth=2
	s_or_b32 exec_lo, exec_lo, s23
	; wave barrier
	s_waitcnt lgkmcnt(0)
	s_barrier
	buffer_gl0_inv
	ds_read2_b32 v[73:74], v100 offset0:136 offset1:137
	ds_read2_b32 v[71:72], v100 offset0:138 offset1:139
	ds_read_b32 v216, v100 offset:560
	s_waitcnt lgkmcnt(1)
	v_add3_u32 v217, v74, v73, v71
	s_waitcnt lgkmcnt(0)
	v_add3_u32 v216, v217, v72, v216
	v_mov_b32_dpp v217, v216 row_shr:1 row_mask:0xf bank_mask:0xf
	v_cndmask_b32_e64 v217, v217, 0, s14
	v_add_nc_u32_e32 v216, v217, v216
	v_mov_b32_dpp v217, v216 row_shr:2 row_mask:0xf bank_mask:0xf
	v_cndmask_b32_e64 v217, 0, v217, s15
	v_add_nc_u32_e32 v216, v216, v217
	;; [unrolled: 3-line block ×4, first 2 shown]
	ds_swizzle_b32 v217, v216 offset:swizzle(BROADCAST,32,15)
	s_waitcnt lgkmcnt(0)
	v_cndmask_b32_e64 v217, v217, 0, s18
	v_add_nc_u32_e32 v216, v216, v217
	s_and_saveexec_b32 s23, s4
; %bb.763:                              ;   in Loop: Header=BB1251_694 Depth=2
	ds_write_b32 v94, v216 offset:512
; %bb.764:                              ;   in Loop: Header=BB1251_694 Depth=2
	s_or_b32 exec_lo, exec_lo, s23
	s_waitcnt lgkmcnt(0)
	s_barrier
	buffer_gl0_inv
	s_and_saveexec_b32 s23, s5
	s_cbranch_execz .LBB1251_766
; %bb.765:                              ;   in Loop: Header=BB1251_694 Depth=2
	ds_read_b32 v217, v101 offset:512
	s_waitcnt lgkmcnt(0)
	v_mov_b32_dpp v218, v217 row_shr:1 row_mask:0xf bank_mask:0xf
	v_cndmask_b32_e64 v218, v218, 0, s20
	v_add_nc_u32_e32 v217, v218, v217
	v_mov_b32_dpp v218, v217 row_shr:2 row_mask:0xf bank_mask:0xf
	v_cndmask_b32_e64 v218, 0, v218, s21
	v_add_nc_u32_e32 v217, v217, v218
	;; [unrolled: 3-line block ×3, first 2 shown]
	ds_write_b32 v101, v217 offset:512
.LBB1251_766:                           ;   in Loop: Header=BB1251_694 Depth=2
	s_or_b32 exec_lo, exec_lo, s23
	v_mov_b32_e32 v217, 0
	s_waitcnt lgkmcnt(0)
	s_barrier
	buffer_gl0_inv
	s_and_saveexec_b32 s23, s11
; %bb.767:                              ;   in Loop: Header=BB1251_694 Depth=2
	ds_read_b32 v217, v94 offset:508
; %bb.768:                              ;   in Loop: Header=BB1251_694 Depth=2
	s_or_b32 exec_lo, exec_lo, s23
	s_waitcnt lgkmcnt(0)
	v_add_nc_u32_e32 v216, v217, v216
	ds_bpermute_b32 v216, v129, v216
	s_waitcnt lgkmcnt(0)
	v_cndmask_b32_e64 v216, v216, v217, s19
	v_cndmask_b32_e64 v216, v216, 0, s12
	v_add_nc_u32_e32 v73, v216, v73
	v_add_nc_u32_e32 v74, v73, v74
	v_add_nc_u32_e32 v71, v74, v71
	v_add_nc_u32_e32 v72, v71, v72
	ds_write2_b32 v100, v216, v73 offset0:136 offset1:137
	ds_write2_b32 v100, v74, v71 offset0:138 offset1:139
	ds_write_b32 v100, v72 offset:560
	s_waitcnt lgkmcnt(0)
	s_barrier
	buffer_gl0_inv
	ds_read_b32 v71, v170 offset:544
	ds_read_b32 v219, v173 offset:544
	;; [unrolled: 1-line block ×16, first 2 shown]
	s_and_saveexec_b32 s23, s8
	s_cbranch_execz .LBB1251_772
; %bb.769:                              ;   in Loop: Header=BB1251_694 Depth=2
	ds_read_b32 v158, v103 offset:544
	v_mov_b32_e32 v168, 0x1000
	s_and_saveexec_b32 s24, s13
; %bb.770:                              ;   in Loop: Header=BB1251_694 Depth=2
	ds_read_b32 v168, v102 offset:544
; %bb.771:                              ;   in Loop: Header=BB1251_694 Depth=2
	s_or_b32 exec_lo, exec_lo, s24
	s_waitcnt lgkmcnt(0)
	v_sub_nc_u32_e32 v168, v168, v158
.LBB1251_772:                           ;   in Loop: Header=BB1251_694 Depth=2
	s_or_b32 exec_lo, exec_lo, s23
	s_waitcnt lgkmcnt(0)
	s_barrier
	buffer_gl0_inv
	s_and_saveexec_b32 s23, s8
	s_cbranch_execz .LBB1251_774
; %bb.773:                              ;   in Loop: Header=BB1251_694 Depth=2
	ds_read_b32 v194, v75
	s_waitcnt lgkmcnt(0)
	v_sub_nc_u32_e32 v194, v194, v158
	ds_write_b32 v75, v194
.LBB1251_774:                           ;   in Loop: Header=BB1251_694 Depth=2
	s_or_b32 exec_lo, exec_lo, s23
	v_lshlrev_b32_e32 v3, 3, v3
	v_lshlrev_b32_e32 v172, 3, v172
	;; [unrolled: 1-line block ×5, first 2 shown]
	v_lshl_add_u32 v71, v71, 3, v3
	v_lshlrev_b32_e32 v3, 3, v174
	v_lshlrev_b32_e32 v174, 3, v72
	;; [unrolled: 1-line block ×3, first 2 shown]
	v_add3_u32 v72, v172, v171, v194
	ds_write_b64 v71, v[39:40] offset:512
	v_lshlrev_b32_e32 v39, 3, v177
	v_lshlrev_b32_e32 v40, 3, v218
	;; [unrolled: 1-line block ×8, first 2 shown]
	ds_write_b64 v72, v[41:42] offset:512
	v_add3_u32 v41, v175, v3, v174
	v_add3_u32 v42, v178, v39, v40
	v_lshlrev_b32_e32 v3, 3, v187
	v_lshlrev_b32_e32 v39, 3, v186
	;; [unrolled: 1-line block ×3, first 2 shown]
	v_add3_u32 v73, v171, v172, v74
	v_add3_u32 v74, v177, v180, v181
	ds_write_b64 v41, v[43:44] offset:512
	ds_write_b64 v42, v[49:50] offset:512
	;; [unrolled: 1-line block ×4, first 2 shown]
	v_add3_u32 v43, v3, v39, v40
	v_lshlrev_b32_e32 v3, 3, v190
	v_lshlrev_b32_e32 v39, 3, v189
	;; [unrolled: 1-line block ×12, first 2 shown]
	v_add3_u32 v44, v3, v39, v40
	v_lshlrev_b32_e32 v3, 3, v201
	v_lshlrev_b32_e32 v39, 3, v200
	;; [unrolled: 1-line block ×3, first 2 shown]
	v_add3_u32 v49, v49, v50, v55
	v_add3_u32 v50, v56, v59, v60
	;; [unrolled: 1-line block ×3, first 2 shown]
	ds_write_b64 v43, v[63:64] offset:512
	ds_write_b64 v44, v[67:68] offset:512
	ds_write_b64 v49, v[69:70] offset:512
	ds_write_b64 v50, v[65:66] offset:512
	ds_write_b64 v55, v[61:62] offset:512
	v_add3_u32 v56, v3, v39, v40
	v_lshlrev_b32_e32 v3, 3, v204
	v_lshlrev_b32_e32 v39, 3, v203
	v_lshlrev_b32_e32 v40, 3, v179
	v_lshlrev_b32_e32 v60, 3, v207
	v_lshlrev_b32_e32 v61, 3, v206
	v_lshlrev_b32_e32 v62, 3, v176
	v_lshlrev_b32_e32 v63, 3, v210
	v_lshlrev_b32_e32 v64, 3, v209
	v_lshlrev_b32_e32 v65, 3, v173
	v_lshlrev_b32_e32 v66, 3, v213
	v_lshlrev_b32_e32 v67, 3, v212
	v_lshlrev_b32_e32 v68, 3, v170
	v_add3_u32 v59, v3, v39, v40
	v_add3_u32 v60, v60, v61, v62
	;; [unrolled: 1-line block ×3, first 2 shown]
	ds_write_b64 v56, v[57:58] offset:512
	v_add3_u32 v57, v66, v67, v68
	v_cmp_lt_u32_e32 vcc_lo, v0, v169
	ds_write_b64 v59, v[53:54] offset:512
	ds_write_b64 v60, v[51:52] offset:512
	;; [unrolled: 1-line block ×4, first 2 shown]
	s_waitcnt lgkmcnt(0)
	s_barrier
	buffer_gl0_inv
	s_and_saveexec_b32 s24, vcc_lo
	s_cbranch_execnz .LBB1251_843
; %bb.775:                              ;   in Loop: Header=BB1251_694 Depth=2
	s_or_b32 exec_lo, exec_lo, s24
	v_cmp_lt_u32_e64 s23, v76, v169
	s_and_saveexec_b32 s25, s23
	s_cbranch_execnz .LBB1251_844
.LBB1251_776:                           ;   in Loop: Header=BB1251_694 Depth=2
	s_or_b32 exec_lo, exec_lo, s25
	v_cmp_lt_u32_e64 s24, v79, v169
	s_and_saveexec_b32 s26, s24
	s_cbranch_execnz .LBB1251_845
.LBB1251_777:                           ;   in Loop: Header=BB1251_694 Depth=2
	s_or_b32 exec_lo, exec_lo, s26
	v_cmp_lt_u32_e64 s25, v80, v169
	s_and_saveexec_b32 s27, s25
	s_cbranch_execnz .LBB1251_846
.LBB1251_778:                           ;   in Loop: Header=BB1251_694 Depth=2
	s_or_b32 exec_lo, exec_lo, s27
	v_cmp_lt_u32_e64 s26, v81, v169
	s_and_saveexec_b32 s28, s26
	s_cbranch_execnz .LBB1251_847
.LBB1251_779:                           ;   in Loop: Header=BB1251_694 Depth=2
	s_or_b32 exec_lo, exec_lo, s28
	v_cmp_lt_u32_e64 s27, v82, v169
	s_and_saveexec_b32 s29, s27
	s_cbranch_execnz .LBB1251_848
.LBB1251_780:                           ;   in Loop: Header=BB1251_694 Depth=2
	s_or_b32 exec_lo, exec_lo, s29
	v_cmp_lt_u32_e64 s28, v83, v169
	s_and_saveexec_b32 s30, s28
	s_cbranch_execnz .LBB1251_849
.LBB1251_781:                           ;   in Loop: Header=BB1251_694 Depth=2
	s_or_b32 exec_lo, exec_lo, s30
	v_cmp_lt_u32_e64 s29, v84, v169
	s_and_saveexec_b32 s31, s29
	s_cbranch_execnz .LBB1251_850
.LBB1251_782:                           ;   in Loop: Header=BB1251_694 Depth=2
	s_or_b32 exec_lo, exec_lo, s31
	v_cmp_lt_u32_e64 s30, v85, v169
	s_and_saveexec_b32 s33, s30
	s_cbranch_execnz .LBB1251_851
.LBB1251_783:                           ;   in Loop: Header=BB1251_694 Depth=2
	s_or_b32 exec_lo, exec_lo, s33
	v_cmp_lt_u32_e64 s31, v86, v169
	s_and_saveexec_b32 s34, s31
	s_cbranch_execnz .LBB1251_852
.LBB1251_784:                           ;   in Loop: Header=BB1251_694 Depth=2
	s_or_b32 exec_lo, exec_lo, s34
	v_cmp_lt_u32_e64 s33, v87, v169
	s_and_saveexec_b32 s35, s33
	s_cbranch_execnz .LBB1251_853
.LBB1251_785:                           ;   in Loop: Header=BB1251_694 Depth=2
	s_or_b32 exec_lo, exec_lo, s35
	v_cmp_lt_u32_e64 s34, v88, v169
	s_and_saveexec_b32 s36, s34
	s_cbranch_execnz .LBB1251_854
.LBB1251_786:                           ;   in Loop: Header=BB1251_694 Depth=2
	s_or_b32 exec_lo, exec_lo, s36
	v_cmp_lt_u32_e64 s35, v89, v169
	s_and_saveexec_b32 s37, s35
	s_cbranch_execnz .LBB1251_855
.LBB1251_787:                           ;   in Loop: Header=BB1251_694 Depth=2
	s_or_b32 exec_lo, exec_lo, s37
	v_cmp_lt_u32_e64 s36, v90, v169
	s_and_saveexec_b32 s38, s36
	s_cbranch_execnz .LBB1251_856
.LBB1251_788:                           ;   in Loop: Header=BB1251_694 Depth=2
	s_or_b32 exec_lo, exec_lo, s38
	v_cmp_lt_u32_e64 s37, v91, v169
	s_and_saveexec_b32 s39, s37
	s_cbranch_execnz .LBB1251_857
.LBB1251_789:                           ;   in Loop: Header=BB1251_694 Depth=2
	s_or_b32 exec_lo, exec_lo, s39
	v_cmp_lt_u32_e64 s38, v92, v169
	s_and_saveexec_b32 s67, s38
	s_cbranch_execz .LBB1251_791
.LBB1251_790:                           ;   in Loop: Header=BB1251_694 Depth=2
	ds_read_b64 v[39:40], v108 offset:31232
	s_waitcnt lgkmcnt(0)
	v_cmp_ne_u64_e64 s39, s[46:47], v[39:40]
	v_cndmask_b32_e64 v46, 0x80000000, v40, s39
	v_cndmask_b32_e64 v45, 0, v39, s39
	v_cmp_lt_i64_e64 s39, -1, v[39:40]
	v_lshrrev_b64 v[45:46], s52, v[45:46]
	v_cndmask_b32_e64 v47, 0x80000000, -1, s39
	v_and_b32_e32 v3, s64, v45
	v_ashrrev_i32_e32 v45, 31, v40
	v_xor_b32_e32 v40, v47, v40
	v_lshlrev_b32_e32 v3, 2, v3
	v_not_b32_e32 v48, v45
	ds_read_b32 v3, v3
	v_xor_b32_e32 v39, v48, v39
	s_waitcnt lgkmcnt(0)
	v_add_nc_u32_e32 v3, v3, v92
	v_lshlrev_b64 v[45:46], 3, v[3:4]
	v_add_co_u32 v45, s39, s42, v45
	v_add_co_ci_u32_e64 v46, null, s43, v46, s39
	global_store_dwordx2 v[45:46], v[39:40], off
.LBB1251_791:                           ;   in Loop: Header=BB1251_694 Depth=2
	s_or_b32 exec_lo, exec_lo, s67
	s_lshl_b64 s[68:69], s[56:57], 3
	v_add_co_u32 v39, s39, v131, s68
	v_add_co_ci_u32_e64 v40, null, s69, v132, s39
	v_cmp_lt_u32_e64 s39, v130, v169
	s_and_saveexec_b32 s56, s39
	s_xor_b32 s39, exec_lo, s56
	s_cbranch_execnz .LBB1251_858
; %bb.792:                              ;   in Loop: Header=BB1251_694 Depth=2
	s_or_b32 exec_lo, exec_lo, s39
	s_mov_b32 s56, exec_lo
	v_cmpx_lt_u32_e64 v133, v169
	s_cbranch_execnz .LBB1251_859
.LBB1251_793:                           ;   in Loop: Header=BB1251_694 Depth=2
	s_or_b32 exec_lo, exec_lo, s56
	s_mov_b32 s56, exec_lo
	v_cmpx_lt_u32_e64 v134, v169
	s_cbranch_execnz .LBB1251_860
.LBB1251_794:                           ;   in Loop: Header=BB1251_694 Depth=2
	s_or_b32 exec_lo, exec_lo, s56
	s_mov_b32 s56, exec_lo
	v_cmpx_lt_u32_e64 v135, v169
	s_cbranch_execnz .LBB1251_861
.LBB1251_795:                           ;   in Loop: Header=BB1251_694 Depth=2
	s_or_b32 exec_lo, exec_lo, s56
	s_mov_b32 s56, exec_lo
	v_cmpx_lt_u32_e64 v136, v169
	s_cbranch_execnz .LBB1251_862
.LBB1251_796:                           ;   in Loop: Header=BB1251_694 Depth=2
	s_or_b32 exec_lo, exec_lo, s56
	s_mov_b32 s56, exec_lo
	v_cmpx_lt_u32_e64 v137, v169
	s_cbranch_execnz .LBB1251_863
.LBB1251_797:                           ;   in Loop: Header=BB1251_694 Depth=2
	s_or_b32 exec_lo, exec_lo, s56
	s_mov_b32 s56, exec_lo
	v_cmpx_lt_u32_e64 v138, v169
	s_cbranch_execnz .LBB1251_864
.LBB1251_798:                           ;   in Loop: Header=BB1251_694 Depth=2
	s_or_b32 exec_lo, exec_lo, s56
	s_mov_b32 s56, exec_lo
	v_cmpx_lt_u32_e64 v139, v169
	s_cbranch_execnz .LBB1251_865
.LBB1251_799:                           ;   in Loop: Header=BB1251_694 Depth=2
	s_or_b32 exec_lo, exec_lo, s56
	s_mov_b32 s56, exec_lo
	v_cmpx_lt_u32_e64 v140, v169
	s_cbranch_execnz .LBB1251_866
.LBB1251_800:                           ;   in Loop: Header=BB1251_694 Depth=2
	s_or_b32 exec_lo, exec_lo, s56
	s_mov_b32 s56, exec_lo
	v_cmpx_lt_u32_e64 v141, v169
	s_cbranch_execnz .LBB1251_867
.LBB1251_801:                           ;   in Loop: Header=BB1251_694 Depth=2
	s_or_b32 exec_lo, exec_lo, s56
	s_mov_b32 s56, exec_lo
	v_cmpx_lt_u32_e64 v142, v169
	s_cbranch_execnz .LBB1251_868
.LBB1251_802:                           ;   in Loop: Header=BB1251_694 Depth=2
	s_or_b32 exec_lo, exec_lo, s56
	s_mov_b32 s56, exec_lo
	v_cmpx_lt_u32_e64 v143, v169
	s_cbranch_execnz .LBB1251_869
.LBB1251_803:                           ;   in Loop: Header=BB1251_694 Depth=2
	s_or_b32 exec_lo, exec_lo, s56
	s_mov_b32 s56, exec_lo
	v_cmpx_lt_u32_e64 v144, v169
	s_cbranch_execnz .LBB1251_870
.LBB1251_804:                           ;   in Loop: Header=BB1251_694 Depth=2
	s_or_b32 exec_lo, exec_lo, s56
	s_mov_b32 s56, exec_lo
	v_cmpx_lt_u32_e64 v145, v169
	s_cbranch_execnz .LBB1251_871
.LBB1251_805:                           ;   in Loop: Header=BB1251_694 Depth=2
	s_or_b32 exec_lo, exec_lo, s56
	s_mov_b32 s56, exec_lo
	v_cmpx_lt_u32_e64 v146, v169
	s_cbranch_execnz .LBB1251_872
.LBB1251_806:                           ;   in Loop: Header=BB1251_694 Depth=2
	s_or_b32 exec_lo, exec_lo, s56
	s_mov_b32 s56, exec_lo
	v_cmpx_lt_u32_e64 v147, v169
	s_cbranch_execnz .LBB1251_873
.LBB1251_807:                           ;   in Loop: Header=BB1251_694 Depth=2
	s_or_b32 exec_lo, exec_lo, s56
	s_and_saveexec_b32 s56, vcc_lo
	s_cbranch_execnz .LBB1251_874
.LBB1251_808:                           ;   in Loop: Header=BB1251_694 Depth=2
	s_or_b32 exec_lo, exec_lo, s56
	s_and_saveexec_b32 s56, s23
	s_cbranch_execnz .LBB1251_875
.LBB1251_809:                           ;   in Loop: Header=BB1251_694 Depth=2
	s_or_b32 exec_lo, exec_lo, s56
	s_and_saveexec_b32 s56, s24
	s_cbranch_execnz .LBB1251_876
.LBB1251_810:                           ;   in Loop: Header=BB1251_694 Depth=2
	s_or_b32 exec_lo, exec_lo, s56
	s_and_saveexec_b32 s56, s25
	s_cbranch_execnz .LBB1251_877
.LBB1251_811:                           ;   in Loop: Header=BB1251_694 Depth=2
	s_or_b32 exec_lo, exec_lo, s56
	s_and_saveexec_b32 s56, s26
	s_cbranch_execnz .LBB1251_878
.LBB1251_812:                           ;   in Loop: Header=BB1251_694 Depth=2
	s_or_b32 exec_lo, exec_lo, s56
	s_and_saveexec_b32 s56, s27
	s_cbranch_execnz .LBB1251_879
.LBB1251_813:                           ;   in Loop: Header=BB1251_694 Depth=2
	s_or_b32 exec_lo, exec_lo, s56
	s_and_saveexec_b32 s56, s28
	s_cbranch_execnz .LBB1251_880
.LBB1251_814:                           ;   in Loop: Header=BB1251_694 Depth=2
	s_or_b32 exec_lo, exec_lo, s56
	s_and_saveexec_b32 s56, s29
	s_cbranch_execnz .LBB1251_881
.LBB1251_815:                           ;   in Loop: Header=BB1251_694 Depth=2
	s_or_b32 exec_lo, exec_lo, s56
	s_and_saveexec_b32 s56, s30
	s_cbranch_execnz .LBB1251_882
.LBB1251_816:                           ;   in Loop: Header=BB1251_694 Depth=2
	s_or_b32 exec_lo, exec_lo, s56
	s_and_saveexec_b32 s56, s31
	s_cbranch_execnz .LBB1251_883
.LBB1251_817:                           ;   in Loop: Header=BB1251_694 Depth=2
	s_or_b32 exec_lo, exec_lo, s56
	s_and_saveexec_b32 s56, s33
	s_cbranch_execnz .LBB1251_884
.LBB1251_818:                           ;   in Loop: Header=BB1251_694 Depth=2
	s_or_b32 exec_lo, exec_lo, s56
	s_and_saveexec_b32 s56, s34
	s_cbranch_execnz .LBB1251_885
.LBB1251_819:                           ;   in Loop: Header=BB1251_694 Depth=2
	s_or_b32 exec_lo, exec_lo, s56
	s_and_saveexec_b32 s56, s35
	s_cbranch_execnz .LBB1251_886
.LBB1251_820:                           ;   in Loop: Header=BB1251_694 Depth=2
	s_or_b32 exec_lo, exec_lo, s56
	s_and_saveexec_b32 s56, s36
	s_cbranch_execnz .LBB1251_887
.LBB1251_821:                           ;   in Loop: Header=BB1251_694 Depth=2
	s_or_b32 exec_lo, exec_lo, s56
	s_and_saveexec_b32 s56, s37
	s_cbranch_execnz .LBB1251_888
.LBB1251_822:                           ;   in Loop: Header=BB1251_694 Depth=2
	s_or_b32 exec_lo, exec_lo, s56
	s_and_saveexec_b32 s56, s38
	s_cbranch_execz .LBB1251_824
.LBB1251_823:                           ;   in Loop: Header=BB1251_694 Depth=2
	ds_read_b64 v[39:40], v108 offset:31232
	s_waitcnt lgkmcnt(0)
	v_cmp_ne_u64_e64 s39, s[46:47], v[39:40]
	v_cndmask_b32_e64 v40, 0x80000000, v40, s39
	v_cndmask_b32_e64 v39, 0, v39, s39
	v_lshrrev_b64 v[39:40], s52, v[39:40]
	v_and_b32_e32 v151, s64, v39
.LBB1251_824:                           ;   in Loop: Header=BB1251_694 Depth=2
	s_or_b32 exec_lo, exec_lo, s56
	s_waitcnt vmcnt(0)
	s_waitcnt_vscnt null, 0x0
	s_barrier
	buffer_gl0_inv
	ds_write_b64 v71, v[37:38] offset:512
	ds_write_b64 v72, v[35:36] offset:512
	;; [unrolled: 1-line block ×16, first 2 shown]
	s_waitcnt lgkmcnt(0)
	s_barrier
	buffer_gl0_inv
	s_and_saveexec_b32 s39, vcc_lo
	s_cbranch_execnz .LBB1251_889
; %bb.825:                              ;   in Loop: Header=BB1251_694 Depth=2
	s_or_b32 exec_lo, exec_lo, s39
	s_and_saveexec_b32 s39, s23
	s_cbranch_execnz .LBB1251_890
.LBB1251_826:                           ;   in Loop: Header=BB1251_694 Depth=2
	s_or_b32 exec_lo, exec_lo, s39
	s_and_saveexec_b32 s23, s24
	s_cbranch_execnz .LBB1251_891
.LBB1251_827:                           ;   in Loop: Header=BB1251_694 Depth=2
	s_or_b32 exec_lo, exec_lo, s23
	s_and_saveexec_b32 s23, s25
	s_cbranch_execnz .LBB1251_892
.LBB1251_828:                           ;   in Loop: Header=BB1251_694 Depth=2
	s_or_b32 exec_lo, exec_lo, s23
	s_and_saveexec_b32 s23, s26
	s_cbranch_execnz .LBB1251_893
.LBB1251_829:                           ;   in Loop: Header=BB1251_694 Depth=2
	s_or_b32 exec_lo, exec_lo, s23
	s_and_saveexec_b32 s23, s27
	s_cbranch_execnz .LBB1251_894
.LBB1251_830:                           ;   in Loop: Header=BB1251_694 Depth=2
	s_or_b32 exec_lo, exec_lo, s23
	s_and_saveexec_b32 s23, s28
	s_cbranch_execnz .LBB1251_895
.LBB1251_831:                           ;   in Loop: Header=BB1251_694 Depth=2
	s_or_b32 exec_lo, exec_lo, s23
	s_and_saveexec_b32 s23, s29
	s_cbranch_execnz .LBB1251_896
.LBB1251_832:                           ;   in Loop: Header=BB1251_694 Depth=2
	s_or_b32 exec_lo, exec_lo, s23
	s_and_saveexec_b32 s23, s30
	s_cbranch_execnz .LBB1251_897
.LBB1251_833:                           ;   in Loop: Header=BB1251_694 Depth=2
	s_or_b32 exec_lo, exec_lo, s23
	s_and_saveexec_b32 s23, s31
	s_cbranch_execnz .LBB1251_898
.LBB1251_834:                           ;   in Loop: Header=BB1251_694 Depth=2
	s_or_b32 exec_lo, exec_lo, s23
	s_and_saveexec_b32 s23, s33
	s_cbranch_execnz .LBB1251_899
.LBB1251_835:                           ;   in Loop: Header=BB1251_694 Depth=2
	s_or_b32 exec_lo, exec_lo, s23
	s_and_saveexec_b32 s23, s34
	s_cbranch_execnz .LBB1251_900
.LBB1251_836:                           ;   in Loop: Header=BB1251_694 Depth=2
	s_or_b32 exec_lo, exec_lo, s23
	s_and_saveexec_b32 s23, s35
	s_cbranch_execnz .LBB1251_901
.LBB1251_837:                           ;   in Loop: Header=BB1251_694 Depth=2
	s_or_b32 exec_lo, exec_lo, s23
	s_and_saveexec_b32 s23, s36
	s_cbranch_execnz .LBB1251_902
.LBB1251_838:                           ;   in Loop: Header=BB1251_694 Depth=2
	s_or_b32 exec_lo, exec_lo, s23
	s_and_saveexec_b32 s23, s37
	s_cbranch_execnz .LBB1251_903
.LBB1251_839:                           ;   in Loop: Header=BB1251_694 Depth=2
	s_or_b32 exec_lo, exec_lo, s23
	s_and_saveexec_b32 s23, s38
	s_cbranch_execz .LBB1251_841
.LBB1251_840:                           ;   in Loop: Header=BB1251_694 Depth=2
	v_lshlrev_b32_e32 v3, 2, v151
	ds_read_b32 v3, v3
	ds_read_b64 v[39:40], v108 offset:31232
	s_waitcnt lgkmcnt(1)
	v_add_nc_u32_e32 v3, v3, v92
	v_lshlrev_b64 v[41:42], 3, v[3:4]
	v_add_co_u32 v41, vcc_lo, s48, v41
	v_add_co_ci_u32_e64 v42, null, s49, v42, vcc_lo
	s_waitcnt lgkmcnt(0)
	global_store_dwordx2 v[41:42], v[39:40], off
.LBB1251_841:                           ;   in Loop: Header=BB1251_694 Depth=2
	s_or_b32 exec_lo, exec_lo, s23
	s_waitcnt_vscnt null, 0x0
	s_barrier
	buffer_gl0_inv
	s_and_saveexec_b32 s23, s8
	s_cbranch_execz .LBB1251_693
; %bb.842:                              ;   in Loop: Header=BB1251_694 Depth=2
	ds_read_b32 v3, v75
	s_waitcnt lgkmcnt(0)
	v_add3_u32 v3, v158, v168, v3
	ds_write_b32 v75, v3
	s_branch .LBB1251_693
.LBB1251_843:                           ;   in Loop: Header=BB1251_694 Depth=2
	ds_read_b64 v[39:40], v108 offset:512
	s_waitcnt lgkmcnt(0)
	v_cmp_ne_u64_e64 s23, s[46:47], v[39:40]
	v_cndmask_b32_e64 v46, 0x80000000, v40, s23
	v_cndmask_b32_e64 v45, 0, v39, s23
	v_cmp_lt_i64_e64 s23, -1, v[39:40]
	v_lshrrev_b64 v[45:46], s52, v[45:46]
	v_cndmask_b32_e64 v47, 0x80000000, -1, s23
	v_and_b32_e32 v3, s64, v45
	v_ashrrev_i32_e32 v45, 31, v40
	v_xor_b32_e32 v40, v47, v40
	v_lshlrev_b32_e32 v3, 2, v3
	v_not_b32_e32 v48, v45
	ds_read_b32 v3, v3
	v_xor_b32_e32 v39, v48, v39
	s_waitcnt lgkmcnt(0)
	v_add_nc_u32_e32 v3, v3, v0
	v_lshlrev_b64 v[45:46], 3, v[3:4]
	v_add_co_u32 v45, s23, s42, v45
	v_add_co_ci_u32_e64 v46, null, s43, v46, s23
	global_store_dwordx2 v[45:46], v[39:40], off
	s_or_b32 exec_lo, exec_lo, s24
	v_cmp_lt_u32_e64 s23, v76, v169
	s_and_saveexec_b32 s25, s23
	s_cbranch_execz .LBB1251_776
.LBB1251_844:                           ;   in Loop: Header=BB1251_694 Depth=2
	ds_read_b64 v[39:40], v108 offset:2560
	s_waitcnt lgkmcnt(0)
	v_cmp_ne_u64_e64 s24, s[46:47], v[39:40]
	v_cndmask_b32_e64 v46, 0x80000000, v40, s24
	v_cndmask_b32_e64 v45, 0, v39, s24
	v_cmp_lt_i64_e64 s24, -1, v[39:40]
	v_lshrrev_b64 v[45:46], s52, v[45:46]
	v_cndmask_b32_e64 v47, 0x80000000, -1, s24
	v_and_b32_e32 v3, s64, v45
	v_ashrrev_i32_e32 v45, 31, v40
	v_xor_b32_e32 v40, v47, v40
	v_lshlrev_b32_e32 v3, 2, v3
	v_not_b32_e32 v48, v45
	ds_read_b32 v3, v3
	v_xor_b32_e32 v39, v48, v39
	s_waitcnt lgkmcnt(0)
	v_add_nc_u32_e32 v3, v3, v76
	v_lshlrev_b64 v[45:46], 3, v[3:4]
	v_add_co_u32 v45, s24, s42, v45
	v_add_co_ci_u32_e64 v46, null, s43, v46, s24
	global_store_dwordx2 v[45:46], v[39:40], off
	s_or_b32 exec_lo, exec_lo, s25
	v_cmp_lt_u32_e64 s24, v79, v169
	s_and_saveexec_b32 s26, s24
	s_cbranch_execz .LBB1251_777
.LBB1251_845:                           ;   in Loop: Header=BB1251_694 Depth=2
	ds_read_b64 v[39:40], v108 offset:4608
	s_waitcnt lgkmcnt(0)
	v_cmp_ne_u64_e64 s25, s[46:47], v[39:40]
	v_cndmask_b32_e64 v46, 0x80000000, v40, s25
	v_cndmask_b32_e64 v45, 0, v39, s25
	v_cmp_lt_i64_e64 s25, -1, v[39:40]
	v_lshrrev_b64 v[45:46], s52, v[45:46]
	v_cndmask_b32_e64 v47, 0x80000000, -1, s25
	v_and_b32_e32 v3, s64, v45
	v_ashrrev_i32_e32 v45, 31, v40
	v_xor_b32_e32 v40, v47, v40
	v_lshlrev_b32_e32 v3, 2, v3
	v_not_b32_e32 v48, v45
	ds_read_b32 v3, v3
	v_xor_b32_e32 v39, v48, v39
	s_waitcnt lgkmcnt(0)
	v_add_nc_u32_e32 v3, v3, v79
	v_lshlrev_b64 v[45:46], 3, v[3:4]
	v_add_co_u32 v45, s25, s42, v45
	v_add_co_ci_u32_e64 v46, null, s43, v46, s25
	global_store_dwordx2 v[45:46], v[39:40], off
	s_or_b32 exec_lo, exec_lo, s26
	v_cmp_lt_u32_e64 s25, v80, v169
	s_and_saveexec_b32 s27, s25
	s_cbranch_execz .LBB1251_778
.LBB1251_846:                           ;   in Loop: Header=BB1251_694 Depth=2
	ds_read_b64 v[39:40], v108 offset:6656
	s_waitcnt lgkmcnt(0)
	v_cmp_ne_u64_e64 s26, s[46:47], v[39:40]
	v_cndmask_b32_e64 v46, 0x80000000, v40, s26
	v_cndmask_b32_e64 v45, 0, v39, s26
	v_cmp_lt_i64_e64 s26, -1, v[39:40]
	v_lshrrev_b64 v[45:46], s52, v[45:46]
	v_cndmask_b32_e64 v47, 0x80000000, -1, s26
	v_and_b32_e32 v3, s64, v45
	v_ashrrev_i32_e32 v45, 31, v40
	v_xor_b32_e32 v40, v47, v40
	v_lshlrev_b32_e32 v3, 2, v3
	v_not_b32_e32 v48, v45
	ds_read_b32 v3, v3
	v_xor_b32_e32 v39, v48, v39
	s_waitcnt lgkmcnt(0)
	v_add_nc_u32_e32 v3, v3, v80
	v_lshlrev_b64 v[45:46], 3, v[3:4]
	v_add_co_u32 v45, s26, s42, v45
	v_add_co_ci_u32_e64 v46, null, s43, v46, s26
	global_store_dwordx2 v[45:46], v[39:40], off
	s_or_b32 exec_lo, exec_lo, s27
	v_cmp_lt_u32_e64 s26, v81, v169
	s_and_saveexec_b32 s28, s26
	s_cbranch_execz .LBB1251_779
.LBB1251_847:                           ;   in Loop: Header=BB1251_694 Depth=2
	ds_read_b64 v[39:40], v108 offset:8704
	s_waitcnt lgkmcnt(0)
	v_cmp_ne_u64_e64 s27, s[46:47], v[39:40]
	v_cndmask_b32_e64 v46, 0x80000000, v40, s27
	v_cndmask_b32_e64 v45, 0, v39, s27
	v_cmp_lt_i64_e64 s27, -1, v[39:40]
	v_lshrrev_b64 v[45:46], s52, v[45:46]
	v_cndmask_b32_e64 v47, 0x80000000, -1, s27
	v_and_b32_e32 v3, s64, v45
	v_ashrrev_i32_e32 v45, 31, v40
	v_xor_b32_e32 v40, v47, v40
	v_lshlrev_b32_e32 v3, 2, v3
	v_not_b32_e32 v48, v45
	ds_read_b32 v3, v3
	v_xor_b32_e32 v39, v48, v39
	s_waitcnt lgkmcnt(0)
	v_add_nc_u32_e32 v3, v3, v81
	v_lshlrev_b64 v[45:46], 3, v[3:4]
	v_add_co_u32 v45, s27, s42, v45
	v_add_co_ci_u32_e64 v46, null, s43, v46, s27
	global_store_dwordx2 v[45:46], v[39:40], off
	s_or_b32 exec_lo, exec_lo, s28
	v_cmp_lt_u32_e64 s27, v82, v169
	s_and_saveexec_b32 s29, s27
	s_cbranch_execz .LBB1251_780
.LBB1251_848:                           ;   in Loop: Header=BB1251_694 Depth=2
	ds_read_b64 v[39:40], v108 offset:10752
	s_waitcnt lgkmcnt(0)
	v_cmp_ne_u64_e64 s28, s[46:47], v[39:40]
	v_cndmask_b32_e64 v46, 0x80000000, v40, s28
	v_cndmask_b32_e64 v45, 0, v39, s28
	v_cmp_lt_i64_e64 s28, -1, v[39:40]
	v_lshrrev_b64 v[45:46], s52, v[45:46]
	v_cndmask_b32_e64 v47, 0x80000000, -1, s28
	v_and_b32_e32 v3, s64, v45
	v_ashrrev_i32_e32 v45, 31, v40
	v_xor_b32_e32 v40, v47, v40
	v_lshlrev_b32_e32 v3, 2, v3
	v_not_b32_e32 v48, v45
	ds_read_b32 v3, v3
	v_xor_b32_e32 v39, v48, v39
	s_waitcnt lgkmcnt(0)
	v_add_nc_u32_e32 v3, v3, v82
	v_lshlrev_b64 v[45:46], 3, v[3:4]
	v_add_co_u32 v45, s28, s42, v45
	v_add_co_ci_u32_e64 v46, null, s43, v46, s28
	global_store_dwordx2 v[45:46], v[39:40], off
	s_or_b32 exec_lo, exec_lo, s29
	v_cmp_lt_u32_e64 s28, v83, v169
	s_and_saveexec_b32 s30, s28
	s_cbranch_execz .LBB1251_781
.LBB1251_849:                           ;   in Loop: Header=BB1251_694 Depth=2
	ds_read_b64 v[39:40], v108 offset:12800
	s_waitcnt lgkmcnt(0)
	v_cmp_ne_u64_e64 s29, s[46:47], v[39:40]
	v_cndmask_b32_e64 v46, 0x80000000, v40, s29
	v_cndmask_b32_e64 v45, 0, v39, s29
	v_cmp_lt_i64_e64 s29, -1, v[39:40]
	v_lshrrev_b64 v[45:46], s52, v[45:46]
	v_cndmask_b32_e64 v47, 0x80000000, -1, s29
	v_and_b32_e32 v3, s64, v45
	v_ashrrev_i32_e32 v45, 31, v40
	v_xor_b32_e32 v40, v47, v40
	v_lshlrev_b32_e32 v3, 2, v3
	v_not_b32_e32 v48, v45
	ds_read_b32 v3, v3
	v_xor_b32_e32 v39, v48, v39
	s_waitcnt lgkmcnt(0)
	v_add_nc_u32_e32 v3, v3, v83
	v_lshlrev_b64 v[45:46], 3, v[3:4]
	v_add_co_u32 v45, s29, s42, v45
	v_add_co_ci_u32_e64 v46, null, s43, v46, s29
	global_store_dwordx2 v[45:46], v[39:40], off
	s_or_b32 exec_lo, exec_lo, s30
	v_cmp_lt_u32_e64 s29, v84, v169
	s_and_saveexec_b32 s31, s29
	s_cbranch_execz .LBB1251_782
.LBB1251_850:                           ;   in Loop: Header=BB1251_694 Depth=2
	ds_read_b64 v[39:40], v108 offset:14848
	s_waitcnt lgkmcnt(0)
	v_cmp_ne_u64_e64 s30, s[46:47], v[39:40]
	v_cndmask_b32_e64 v46, 0x80000000, v40, s30
	v_cndmask_b32_e64 v45, 0, v39, s30
	v_cmp_lt_i64_e64 s30, -1, v[39:40]
	v_lshrrev_b64 v[45:46], s52, v[45:46]
	v_cndmask_b32_e64 v47, 0x80000000, -1, s30
	v_and_b32_e32 v3, s64, v45
	v_ashrrev_i32_e32 v45, 31, v40
	v_xor_b32_e32 v40, v47, v40
	v_lshlrev_b32_e32 v3, 2, v3
	v_not_b32_e32 v48, v45
	ds_read_b32 v3, v3
	v_xor_b32_e32 v39, v48, v39
	s_waitcnt lgkmcnt(0)
	v_add_nc_u32_e32 v3, v3, v84
	v_lshlrev_b64 v[45:46], 3, v[3:4]
	v_add_co_u32 v45, s30, s42, v45
	v_add_co_ci_u32_e64 v46, null, s43, v46, s30
	global_store_dwordx2 v[45:46], v[39:40], off
	s_or_b32 exec_lo, exec_lo, s31
	v_cmp_lt_u32_e64 s30, v85, v169
	s_and_saveexec_b32 s33, s30
	s_cbranch_execz .LBB1251_783
.LBB1251_851:                           ;   in Loop: Header=BB1251_694 Depth=2
	ds_read_b64 v[39:40], v108 offset:16896
	s_waitcnt lgkmcnt(0)
	v_cmp_ne_u64_e64 s31, s[46:47], v[39:40]
	v_cndmask_b32_e64 v46, 0x80000000, v40, s31
	v_cndmask_b32_e64 v45, 0, v39, s31
	v_cmp_lt_i64_e64 s31, -1, v[39:40]
	v_lshrrev_b64 v[45:46], s52, v[45:46]
	v_cndmask_b32_e64 v47, 0x80000000, -1, s31
	v_and_b32_e32 v3, s64, v45
	v_ashrrev_i32_e32 v45, 31, v40
	v_xor_b32_e32 v40, v47, v40
	v_lshlrev_b32_e32 v3, 2, v3
	v_not_b32_e32 v48, v45
	ds_read_b32 v3, v3
	v_xor_b32_e32 v39, v48, v39
	s_waitcnt lgkmcnt(0)
	v_add_nc_u32_e32 v3, v3, v85
	v_lshlrev_b64 v[45:46], 3, v[3:4]
	v_add_co_u32 v45, s31, s42, v45
	v_add_co_ci_u32_e64 v46, null, s43, v46, s31
	global_store_dwordx2 v[45:46], v[39:40], off
	s_or_b32 exec_lo, exec_lo, s33
	v_cmp_lt_u32_e64 s31, v86, v169
	s_and_saveexec_b32 s34, s31
	s_cbranch_execz .LBB1251_784
.LBB1251_852:                           ;   in Loop: Header=BB1251_694 Depth=2
	ds_read_b64 v[39:40], v108 offset:18944
	s_waitcnt lgkmcnt(0)
	v_cmp_ne_u64_e64 s33, s[46:47], v[39:40]
	v_cndmask_b32_e64 v46, 0x80000000, v40, s33
	v_cndmask_b32_e64 v45, 0, v39, s33
	v_cmp_lt_i64_e64 s33, -1, v[39:40]
	v_lshrrev_b64 v[45:46], s52, v[45:46]
	v_cndmask_b32_e64 v47, 0x80000000, -1, s33
	v_and_b32_e32 v3, s64, v45
	v_ashrrev_i32_e32 v45, 31, v40
	v_xor_b32_e32 v40, v47, v40
	v_lshlrev_b32_e32 v3, 2, v3
	v_not_b32_e32 v48, v45
	ds_read_b32 v3, v3
	v_xor_b32_e32 v39, v48, v39
	s_waitcnt lgkmcnt(0)
	v_add_nc_u32_e32 v3, v3, v86
	v_lshlrev_b64 v[45:46], 3, v[3:4]
	v_add_co_u32 v45, s33, s42, v45
	v_add_co_ci_u32_e64 v46, null, s43, v46, s33
	global_store_dwordx2 v[45:46], v[39:40], off
	s_or_b32 exec_lo, exec_lo, s34
	v_cmp_lt_u32_e64 s33, v87, v169
	s_and_saveexec_b32 s35, s33
	s_cbranch_execz .LBB1251_785
.LBB1251_853:                           ;   in Loop: Header=BB1251_694 Depth=2
	ds_read_b64 v[39:40], v108 offset:20992
	s_waitcnt lgkmcnt(0)
	v_cmp_ne_u64_e64 s34, s[46:47], v[39:40]
	v_cndmask_b32_e64 v46, 0x80000000, v40, s34
	v_cndmask_b32_e64 v45, 0, v39, s34
	v_cmp_lt_i64_e64 s34, -1, v[39:40]
	v_lshrrev_b64 v[45:46], s52, v[45:46]
	v_cndmask_b32_e64 v47, 0x80000000, -1, s34
	v_and_b32_e32 v3, s64, v45
	v_ashrrev_i32_e32 v45, 31, v40
	v_xor_b32_e32 v40, v47, v40
	v_lshlrev_b32_e32 v3, 2, v3
	v_not_b32_e32 v48, v45
	ds_read_b32 v3, v3
	v_xor_b32_e32 v39, v48, v39
	s_waitcnt lgkmcnt(0)
	v_add_nc_u32_e32 v3, v3, v87
	v_lshlrev_b64 v[45:46], 3, v[3:4]
	v_add_co_u32 v45, s34, s42, v45
	v_add_co_ci_u32_e64 v46, null, s43, v46, s34
	global_store_dwordx2 v[45:46], v[39:40], off
	s_or_b32 exec_lo, exec_lo, s35
	v_cmp_lt_u32_e64 s34, v88, v169
	s_and_saveexec_b32 s36, s34
	s_cbranch_execz .LBB1251_786
.LBB1251_854:                           ;   in Loop: Header=BB1251_694 Depth=2
	ds_read_b64 v[39:40], v108 offset:23040
	s_waitcnt lgkmcnt(0)
	v_cmp_ne_u64_e64 s35, s[46:47], v[39:40]
	v_cndmask_b32_e64 v46, 0x80000000, v40, s35
	v_cndmask_b32_e64 v45, 0, v39, s35
	v_cmp_lt_i64_e64 s35, -1, v[39:40]
	v_lshrrev_b64 v[45:46], s52, v[45:46]
	v_cndmask_b32_e64 v47, 0x80000000, -1, s35
	v_and_b32_e32 v3, s64, v45
	v_ashrrev_i32_e32 v45, 31, v40
	v_xor_b32_e32 v40, v47, v40
	v_lshlrev_b32_e32 v3, 2, v3
	v_not_b32_e32 v48, v45
	ds_read_b32 v3, v3
	v_xor_b32_e32 v39, v48, v39
	s_waitcnt lgkmcnt(0)
	v_add_nc_u32_e32 v3, v3, v88
	v_lshlrev_b64 v[45:46], 3, v[3:4]
	v_add_co_u32 v45, s35, s42, v45
	v_add_co_ci_u32_e64 v46, null, s43, v46, s35
	global_store_dwordx2 v[45:46], v[39:40], off
	s_or_b32 exec_lo, exec_lo, s36
	v_cmp_lt_u32_e64 s35, v89, v169
	s_and_saveexec_b32 s37, s35
	s_cbranch_execz .LBB1251_787
.LBB1251_855:                           ;   in Loop: Header=BB1251_694 Depth=2
	ds_read_b64 v[39:40], v108 offset:25088
	s_waitcnt lgkmcnt(0)
	v_cmp_ne_u64_e64 s36, s[46:47], v[39:40]
	v_cndmask_b32_e64 v46, 0x80000000, v40, s36
	v_cndmask_b32_e64 v45, 0, v39, s36
	v_cmp_lt_i64_e64 s36, -1, v[39:40]
	v_lshrrev_b64 v[45:46], s52, v[45:46]
	v_cndmask_b32_e64 v47, 0x80000000, -1, s36
	v_and_b32_e32 v3, s64, v45
	v_ashrrev_i32_e32 v45, 31, v40
	v_xor_b32_e32 v40, v47, v40
	v_lshlrev_b32_e32 v3, 2, v3
	v_not_b32_e32 v48, v45
	ds_read_b32 v3, v3
	v_xor_b32_e32 v39, v48, v39
	s_waitcnt lgkmcnt(0)
	v_add_nc_u32_e32 v3, v3, v89
	v_lshlrev_b64 v[45:46], 3, v[3:4]
	v_add_co_u32 v45, s36, s42, v45
	v_add_co_ci_u32_e64 v46, null, s43, v46, s36
	global_store_dwordx2 v[45:46], v[39:40], off
	s_or_b32 exec_lo, exec_lo, s37
	v_cmp_lt_u32_e64 s36, v90, v169
	s_and_saveexec_b32 s38, s36
	s_cbranch_execz .LBB1251_788
.LBB1251_856:                           ;   in Loop: Header=BB1251_694 Depth=2
	ds_read_b64 v[39:40], v108 offset:27136
	s_waitcnt lgkmcnt(0)
	v_cmp_ne_u64_e64 s37, s[46:47], v[39:40]
	v_cndmask_b32_e64 v46, 0x80000000, v40, s37
	v_cndmask_b32_e64 v45, 0, v39, s37
	v_cmp_lt_i64_e64 s37, -1, v[39:40]
	v_lshrrev_b64 v[45:46], s52, v[45:46]
	v_cndmask_b32_e64 v47, 0x80000000, -1, s37
	v_and_b32_e32 v3, s64, v45
	v_ashrrev_i32_e32 v45, 31, v40
	v_xor_b32_e32 v40, v47, v40
	v_lshlrev_b32_e32 v3, 2, v3
	v_not_b32_e32 v48, v45
	ds_read_b32 v3, v3
	v_xor_b32_e32 v39, v48, v39
	s_waitcnt lgkmcnt(0)
	v_add_nc_u32_e32 v3, v3, v90
	v_lshlrev_b64 v[45:46], 3, v[3:4]
	v_add_co_u32 v45, s37, s42, v45
	v_add_co_ci_u32_e64 v46, null, s43, v46, s37
	global_store_dwordx2 v[45:46], v[39:40], off
	s_or_b32 exec_lo, exec_lo, s38
	v_cmp_lt_u32_e64 s37, v91, v169
	s_and_saveexec_b32 s39, s37
	s_cbranch_execz .LBB1251_789
.LBB1251_857:                           ;   in Loop: Header=BB1251_694 Depth=2
	ds_read_b64 v[39:40], v108 offset:29184
	s_waitcnt lgkmcnt(0)
	v_cmp_ne_u64_e64 s38, s[46:47], v[39:40]
	v_cndmask_b32_e64 v46, 0x80000000, v40, s38
	v_cndmask_b32_e64 v45, 0, v39, s38
	v_cmp_lt_i64_e64 s38, -1, v[39:40]
	v_lshrrev_b64 v[45:46], s52, v[45:46]
	v_cndmask_b32_e64 v47, 0x80000000, -1, s38
	v_and_b32_e32 v3, s64, v45
	v_ashrrev_i32_e32 v45, 31, v40
	v_xor_b32_e32 v40, v47, v40
	v_lshlrev_b32_e32 v3, 2, v3
	v_not_b32_e32 v48, v45
	ds_read_b32 v3, v3
	v_xor_b32_e32 v39, v48, v39
	s_waitcnt lgkmcnt(0)
	v_add_nc_u32_e32 v3, v3, v91
	v_lshlrev_b64 v[45:46], 3, v[3:4]
	v_add_co_u32 v45, s38, s42, v45
	v_add_co_ci_u32_e64 v46, null, s43, v46, s38
	global_store_dwordx2 v[45:46], v[39:40], off
	s_or_b32 exec_lo, exec_lo, s39
	v_cmp_lt_u32_e64 s38, v92, v169
	s_and_saveexec_b32 s67, s38
	s_cbranch_execnz .LBB1251_790
	s_branch .LBB1251_791
.LBB1251_858:                           ;   in Loop: Header=BB1251_694 Depth=2
	global_load_dwordx2 v[37:38], v[39:40], off
	s_or_b32 exec_lo, exec_lo, s39
	s_mov_b32 s56, exec_lo
	v_cmpx_lt_u32_e64 v133, v169
	s_cbranch_execz .LBB1251_793
.LBB1251_859:                           ;   in Loop: Header=BB1251_694 Depth=2
	global_load_dwordx2 v[35:36], v[39:40], off offset:256
	s_or_b32 exec_lo, exec_lo, s56
	s_mov_b32 s56, exec_lo
	v_cmpx_lt_u32_e64 v134, v169
	s_cbranch_execz .LBB1251_794
.LBB1251_860:                           ;   in Loop: Header=BB1251_694 Depth=2
	global_load_dwordx2 v[33:34], v[39:40], off offset:512
	s_or_b32 exec_lo, exec_lo, s56
	s_mov_b32 s56, exec_lo
	v_cmpx_lt_u32_e64 v135, v169
	s_cbranch_execz .LBB1251_795
.LBB1251_861:                           ;   in Loop: Header=BB1251_694 Depth=2
	global_load_dwordx2 v[31:32], v[39:40], off offset:768
	s_or_b32 exec_lo, exec_lo, s56
	s_mov_b32 s56, exec_lo
	v_cmpx_lt_u32_e64 v136, v169
	s_cbranch_execz .LBB1251_796
.LBB1251_862:                           ;   in Loop: Header=BB1251_694 Depth=2
	global_load_dwordx2 v[29:30], v[39:40], off offset:1024
	s_or_b32 exec_lo, exec_lo, s56
	s_mov_b32 s56, exec_lo
	v_cmpx_lt_u32_e64 v137, v169
	s_cbranch_execz .LBB1251_797
.LBB1251_863:                           ;   in Loop: Header=BB1251_694 Depth=2
	global_load_dwordx2 v[25:26], v[39:40], off offset:1280
	s_or_b32 exec_lo, exec_lo, s56
	s_mov_b32 s56, exec_lo
	v_cmpx_lt_u32_e64 v138, v169
	s_cbranch_execz .LBB1251_798
.LBB1251_864:                           ;   in Loop: Header=BB1251_694 Depth=2
	global_load_dwordx2 v[21:22], v[39:40], off offset:1536
	s_or_b32 exec_lo, exec_lo, s56
	s_mov_b32 s56, exec_lo
	v_cmpx_lt_u32_e64 v139, v169
	s_cbranch_execz .LBB1251_799
.LBB1251_865:                           ;   in Loop: Header=BB1251_694 Depth=2
	global_load_dwordx2 v[17:18], v[39:40], off offset:1792
	s_or_b32 exec_lo, exec_lo, s56
	s_mov_b32 s56, exec_lo
	v_cmpx_lt_u32_e64 v140, v169
	s_cbranch_execz .LBB1251_800
.LBB1251_866:                           ;   in Loop: Header=BB1251_694 Depth=2
	v_add_co_u32 v27, s39, 0x800, v39
	v_add_co_ci_u32_e64 v28, null, 0, v40, s39
	global_load_dwordx2 v[27:28], v[27:28], off
	s_or_b32 exec_lo, exec_lo, s56
	s_mov_b32 s56, exec_lo
	v_cmpx_lt_u32_e64 v141, v169
	s_cbranch_execz .LBB1251_801
.LBB1251_867:                           ;   in Loop: Header=BB1251_694 Depth=2
	v_add_co_u32 v23, s39, 0x800, v39
	v_add_co_ci_u32_e64 v24, null, 0, v40, s39
	global_load_dwordx2 v[23:24], v[23:24], off offset:256
	s_or_b32 exec_lo, exec_lo, s56
	s_mov_b32 s56, exec_lo
	v_cmpx_lt_u32_e64 v142, v169
	s_cbranch_execz .LBB1251_802
.LBB1251_868:                           ;   in Loop: Header=BB1251_694 Depth=2
	v_add_co_u32 v19, s39, 0x800, v39
	v_add_co_ci_u32_e64 v20, null, 0, v40, s39
	global_load_dwordx2 v[19:20], v[19:20], off offset:512
	s_or_b32 exec_lo, exec_lo, s56
	s_mov_b32 s56, exec_lo
	v_cmpx_lt_u32_e64 v143, v169
	s_cbranch_execz .LBB1251_803
.LBB1251_869:                           ;   in Loop: Header=BB1251_694 Depth=2
	v_add_co_u32 v15, s39, 0x800, v39
	v_add_co_ci_u32_e64 v16, null, 0, v40, s39
	global_load_dwordx2 v[15:16], v[15:16], off offset:768
	s_or_b32 exec_lo, exec_lo, s56
	s_mov_b32 s56, exec_lo
	v_cmpx_lt_u32_e64 v144, v169
	s_cbranch_execz .LBB1251_804
.LBB1251_870:                           ;   in Loop: Header=BB1251_694 Depth=2
	v_add_co_u32 v13, s39, 0x800, v39
	v_add_co_ci_u32_e64 v14, null, 0, v40, s39
	global_load_dwordx2 v[13:14], v[13:14], off offset:1024
	s_or_b32 exec_lo, exec_lo, s56
	s_mov_b32 s56, exec_lo
	v_cmpx_lt_u32_e64 v145, v169
	s_cbranch_execz .LBB1251_805
.LBB1251_871:                           ;   in Loop: Header=BB1251_694 Depth=2
	v_add_co_u32 v11, s39, 0x800, v39
	v_add_co_ci_u32_e64 v12, null, 0, v40, s39
	global_load_dwordx2 v[11:12], v[11:12], off offset:1280
	s_or_b32 exec_lo, exec_lo, s56
	s_mov_b32 s56, exec_lo
	v_cmpx_lt_u32_e64 v146, v169
	s_cbranch_execz .LBB1251_806
.LBB1251_872:                           ;   in Loop: Header=BB1251_694 Depth=2
	v_add_co_u32 v9, s39, 0x800, v39
	v_add_co_ci_u32_e64 v10, null, 0, v40, s39
	global_load_dwordx2 v[9:10], v[9:10], off offset:1536
	s_or_b32 exec_lo, exec_lo, s56
	s_mov_b32 s56, exec_lo
	v_cmpx_lt_u32_e64 v147, v169
	s_cbranch_execz .LBB1251_807
.LBB1251_873:                           ;   in Loop: Header=BB1251_694 Depth=2
	v_add_co_u32 v7, s39, 0x800, v39
	v_add_co_ci_u32_e64 v8, null, 0, v40, s39
	global_load_dwordx2 v[7:8], v[7:8], off offset:1792
	s_or_b32 exec_lo, exec_lo, s56
	s_and_saveexec_b32 s56, vcc_lo
	s_cbranch_execz .LBB1251_808
.LBB1251_874:                           ;   in Loop: Header=BB1251_694 Depth=2
	ds_read_b64 v[39:40], v108 offset:512
	s_waitcnt lgkmcnt(0)
	v_cmp_ne_u64_e64 s39, s[46:47], v[39:40]
	v_cndmask_b32_e64 v40, 0x80000000, v40, s39
	v_cndmask_b32_e64 v39, 0, v39, s39
	v_lshrrev_b64 v[39:40], s52, v[39:40]
	v_and_b32_e32 v167, s64, v39
	s_or_b32 exec_lo, exec_lo, s56
	s_and_saveexec_b32 s56, s23
	s_cbranch_execz .LBB1251_809
.LBB1251_875:                           ;   in Loop: Header=BB1251_694 Depth=2
	ds_read_b64 v[39:40], v108 offset:2560
	s_waitcnt lgkmcnt(0)
	v_cmp_ne_u64_e64 s39, s[46:47], v[39:40]
	v_cndmask_b32_e64 v40, 0x80000000, v40, s39
	v_cndmask_b32_e64 v39, 0, v39, s39
	v_lshrrev_b64 v[39:40], s52, v[39:40]
	v_and_b32_e32 v166, s64, v39
	s_or_b32 exec_lo, exec_lo, s56
	s_and_saveexec_b32 s56, s24
	s_cbranch_execz .LBB1251_810
.LBB1251_876:                           ;   in Loop: Header=BB1251_694 Depth=2
	ds_read_b64 v[39:40], v108 offset:4608
	s_waitcnt lgkmcnt(0)
	v_cmp_ne_u64_e64 s39, s[46:47], v[39:40]
	v_cndmask_b32_e64 v40, 0x80000000, v40, s39
	v_cndmask_b32_e64 v39, 0, v39, s39
	v_lshrrev_b64 v[39:40], s52, v[39:40]
	v_and_b32_e32 v165, s64, v39
	s_or_b32 exec_lo, exec_lo, s56
	s_and_saveexec_b32 s56, s25
	s_cbranch_execz .LBB1251_811
.LBB1251_877:                           ;   in Loop: Header=BB1251_694 Depth=2
	ds_read_b64 v[39:40], v108 offset:6656
	s_waitcnt lgkmcnt(0)
	v_cmp_ne_u64_e64 s39, s[46:47], v[39:40]
	v_cndmask_b32_e64 v40, 0x80000000, v40, s39
	v_cndmask_b32_e64 v39, 0, v39, s39
	v_lshrrev_b64 v[39:40], s52, v[39:40]
	v_and_b32_e32 v164, s64, v39
	s_or_b32 exec_lo, exec_lo, s56
	s_and_saveexec_b32 s56, s26
	s_cbranch_execz .LBB1251_812
.LBB1251_878:                           ;   in Loop: Header=BB1251_694 Depth=2
	ds_read_b64 v[39:40], v108 offset:8704
	s_waitcnt lgkmcnt(0)
	v_cmp_ne_u64_e64 s39, s[46:47], v[39:40]
	v_cndmask_b32_e64 v40, 0x80000000, v40, s39
	v_cndmask_b32_e64 v39, 0, v39, s39
	v_lshrrev_b64 v[39:40], s52, v[39:40]
	v_and_b32_e32 v163, s64, v39
	s_or_b32 exec_lo, exec_lo, s56
	s_and_saveexec_b32 s56, s27
	s_cbranch_execz .LBB1251_813
.LBB1251_879:                           ;   in Loop: Header=BB1251_694 Depth=2
	ds_read_b64 v[39:40], v108 offset:10752
	s_waitcnt lgkmcnt(0)
	v_cmp_ne_u64_e64 s39, s[46:47], v[39:40]
	v_cndmask_b32_e64 v40, 0x80000000, v40, s39
	v_cndmask_b32_e64 v39, 0, v39, s39
	v_lshrrev_b64 v[39:40], s52, v[39:40]
	v_and_b32_e32 v162, s64, v39
	s_or_b32 exec_lo, exec_lo, s56
	s_and_saveexec_b32 s56, s28
	s_cbranch_execz .LBB1251_814
.LBB1251_880:                           ;   in Loop: Header=BB1251_694 Depth=2
	ds_read_b64 v[39:40], v108 offset:12800
	s_waitcnt lgkmcnt(0)
	v_cmp_ne_u64_e64 s39, s[46:47], v[39:40]
	v_cndmask_b32_e64 v40, 0x80000000, v40, s39
	v_cndmask_b32_e64 v39, 0, v39, s39
	v_lshrrev_b64 v[39:40], s52, v[39:40]
	v_and_b32_e32 v161, s64, v39
	s_or_b32 exec_lo, exec_lo, s56
	s_and_saveexec_b32 s56, s29
	s_cbranch_execz .LBB1251_815
.LBB1251_881:                           ;   in Loop: Header=BB1251_694 Depth=2
	ds_read_b64 v[39:40], v108 offset:14848
	s_waitcnt lgkmcnt(0)
	v_cmp_ne_u64_e64 s39, s[46:47], v[39:40]
	v_cndmask_b32_e64 v40, 0x80000000, v40, s39
	v_cndmask_b32_e64 v39, 0, v39, s39
	v_lshrrev_b64 v[39:40], s52, v[39:40]
	v_and_b32_e32 v160, s64, v39
	s_or_b32 exec_lo, exec_lo, s56
	s_and_saveexec_b32 s56, s30
	s_cbranch_execz .LBB1251_816
.LBB1251_882:                           ;   in Loop: Header=BB1251_694 Depth=2
	ds_read_b64 v[39:40], v108 offset:16896
	s_waitcnt lgkmcnt(0)
	v_cmp_ne_u64_e64 s39, s[46:47], v[39:40]
	v_cndmask_b32_e64 v40, 0x80000000, v40, s39
	v_cndmask_b32_e64 v39, 0, v39, s39
	v_lshrrev_b64 v[39:40], s52, v[39:40]
	v_and_b32_e32 v159, s64, v39
	s_or_b32 exec_lo, exec_lo, s56
	s_and_saveexec_b32 s56, s31
	s_cbranch_execz .LBB1251_817
.LBB1251_883:                           ;   in Loop: Header=BB1251_694 Depth=2
	ds_read_b64 v[39:40], v108 offset:18944
	s_waitcnt lgkmcnt(0)
	v_cmp_ne_u64_e64 s39, s[46:47], v[39:40]
	v_cndmask_b32_e64 v40, 0x80000000, v40, s39
	v_cndmask_b32_e64 v39, 0, v39, s39
	v_lshrrev_b64 v[39:40], s52, v[39:40]
	v_and_b32_e32 v157, s64, v39
	s_or_b32 exec_lo, exec_lo, s56
	s_and_saveexec_b32 s56, s33
	s_cbranch_execz .LBB1251_818
.LBB1251_884:                           ;   in Loop: Header=BB1251_694 Depth=2
	ds_read_b64 v[39:40], v108 offset:20992
	s_waitcnt lgkmcnt(0)
	v_cmp_ne_u64_e64 s39, s[46:47], v[39:40]
	v_cndmask_b32_e64 v40, 0x80000000, v40, s39
	v_cndmask_b32_e64 v39, 0, v39, s39
	v_lshrrev_b64 v[39:40], s52, v[39:40]
	v_and_b32_e32 v156, s64, v39
	s_or_b32 exec_lo, exec_lo, s56
	s_and_saveexec_b32 s56, s34
	s_cbranch_execz .LBB1251_819
.LBB1251_885:                           ;   in Loop: Header=BB1251_694 Depth=2
	ds_read_b64 v[39:40], v108 offset:23040
	s_waitcnt lgkmcnt(0)
	v_cmp_ne_u64_e64 s39, s[46:47], v[39:40]
	v_cndmask_b32_e64 v40, 0x80000000, v40, s39
	v_cndmask_b32_e64 v39, 0, v39, s39
	v_lshrrev_b64 v[39:40], s52, v[39:40]
	v_and_b32_e32 v155, s64, v39
	s_or_b32 exec_lo, exec_lo, s56
	s_and_saveexec_b32 s56, s35
	s_cbranch_execz .LBB1251_820
.LBB1251_886:                           ;   in Loop: Header=BB1251_694 Depth=2
	ds_read_b64 v[39:40], v108 offset:25088
	s_waitcnt lgkmcnt(0)
	v_cmp_ne_u64_e64 s39, s[46:47], v[39:40]
	v_cndmask_b32_e64 v40, 0x80000000, v40, s39
	v_cndmask_b32_e64 v39, 0, v39, s39
	v_lshrrev_b64 v[39:40], s52, v[39:40]
	v_and_b32_e32 v154, s64, v39
	s_or_b32 exec_lo, exec_lo, s56
	s_and_saveexec_b32 s56, s36
	s_cbranch_execz .LBB1251_821
.LBB1251_887:                           ;   in Loop: Header=BB1251_694 Depth=2
	ds_read_b64 v[39:40], v108 offset:27136
	s_waitcnt lgkmcnt(0)
	v_cmp_ne_u64_e64 s39, s[46:47], v[39:40]
	v_cndmask_b32_e64 v40, 0x80000000, v40, s39
	v_cndmask_b32_e64 v39, 0, v39, s39
	v_lshrrev_b64 v[39:40], s52, v[39:40]
	v_and_b32_e32 v153, s64, v39
	s_or_b32 exec_lo, exec_lo, s56
	s_and_saveexec_b32 s56, s37
	s_cbranch_execz .LBB1251_822
.LBB1251_888:                           ;   in Loop: Header=BB1251_694 Depth=2
	ds_read_b64 v[39:40], v108 offset:29184
	s_waitcnt lgkmcnt(0)
	v_cmp_ne_u64_e64 s39, s[46:47], v[39:40]
	v_cndmask_b32_e64 v40, 0x80000000, v40, s39
	v_cndmask_b32_e64 v39, 0, v39, s39
	v_lshrrev_b64 v[39:40], s52, v[39:40]
	v_and_b32_e32 v152, s64, v39
	s_or_b32 exec_lo, exec_lo, s56
	s_and_saveexec_b32 s56, s38
	s_cbranch_execnz .LBB1251_823
	s_branch .LBB1251_824
.LBB1251_889:                           ;   in Loop: Header=BB1251_694 Depth=2
	v_lshlrev_b32_e32 v3, 2, v167
	ds_read_b32 v3, v3
	ds_read_b64 v[39:40], v108 offset:512
	s_waitcnt lgkmcnt(1)
	v_add_nc_u32_e32 v3, v3, v0
	v_lshlrev_b64 v[41:42], 3, v[3:4]
	v_add_co_u32 v41, vcc_lo, s48, v41
	v_add_co_ci_u32_e64 v42, null, s49, v42, vcc_lo
	s_waitcnt lgkmcnt(0)
	global_store_dwordx2 v[41:42], v[39:40], off
	s_or_b32 exec_lo, exec_lo, s39
	s_and_saveexec_b32 s39, s23
	s_cbranch_execz .LBB1251_826
.LBB1251_890:                           ;   in Loop: Header=BB1251_694 Depth=2
	v_lshlrev_b32_e32 v3, 2, v166
	ds_read_b32 v3, v3
	ds_read_b64 v[39:40], v108 offset:2560
	s_waitcnt lgkmcnt(1)
	v_add_nc_u32_e32 v3, v3, v76
	v_lshlrev_b64 v[41:42], 3, v[3:4]
	v_add_co_u32 v41, vcc_lo, s48, v41
	v_add_co_ci_u32_e64 v42, null, s49, v42, vcc_lo
	s_waitcnt lgkmcnt(0)
	global_store_dwordx2 v[41:42], v[39:40], off
	s_or_b32 exec_lo, exec_lo, s39
	s_and_saveexec_b32 s23, s24
	s_cbranch_execz .LBB1251_827
.LBB1251_891:                           ;   in Loop: Header=BB1251_694 Depth=2
	v_lshlrev_b32_e32 v3, 2, v165
	ds_read_b32 v3, v3
	ds_read_b64 v[39:40], v108 offset:4608
	s_waitcnt lgkmcnt(1)
	v_add_nc_u32_e32 v3, v3, v79
	v_lshlrev_b64 v[41:42], 3, v[3:4]
	v_add_co_u32 v41, vcc_lo, s48, v41
	v_add_co_ci_u32_e64 v42, null, s49, v42, vcc_lo
	s_waitcnt lgkmcnt(0)
	global_store_dwordx2 v[41:42], v[39:40], off
	s_or_b32 exec_lo, exec_lo, s23
	s_and_saveexec_b32 s23, s25
	s_cbranch_execz .LBB1251_828
.LBB1251_892:                           ;   in Loop: Header=BB1251_694 Depth=2
	v_lshlrev_b32_e32 v3, 2, v164
	ds_read_b32 v3, v3
	ds_read_b64 v[39:40], v108 offset:6656
	s_waitcnt lgkmcnt(1)
	v_add_nc_u32_e32 v3, v3, v80
	v_lshlrev_b64 v[41:42], 3, v[3:4]
	v_add_co_u32 v41, vcc_lo, s48, v41
	v_add_co_ci_u32_e64 v42, null, s49, v42, vcc_lo
	s_waitcnt lgkmcnt(0)
	global_store_dwordx2 v[41:42], v[39:40], off
	s_or_b32 exec_lo, exec_lo, s23
	s_and_saveexec_b32 s23, s26
	s_cbranch_execz .LBB1251_829
.LBB1251_893:                           ;   in Loop: Header=BB1251_694 Depth=2
	v_lshlrev_b32_e32 v3, 2, v163
	ds_read_b32 v3, v3
	ds_read_b64 v[39:40], v108 offset:8704
	s_waitcnt lgkmcnt(1)
	v_add_nc_u32_e32 v3, v3, v81
	v_lshlrev_b64 v[41:42], 3, v[3:4]
	v_add_co_u32 v41, vcc_lo, s48, v41
	v_add_co_ci_u32_e64 v42, null, s49, v42, vcc_lo
	s_waitcnt lgkmcnt(0)
	global_store_dwordx2 v[41:42], v[39:40], off
	s_or_b32 exec_lo, exec_lo, s23
	s_and_saveexec_b32 s23, s27
	s_cbranch_execz .LBB1251_830
.LBB1251_894:                           ;   in Loop: Header=BB1251_694 Depth=2
	v_lshlrev_b32_e32 v3, 2, v162
	ds_read_b32 v3, v3
	ds_read_b64 v[39:40], v108 offset:10752
	s_waitcnt lgkmcnt(1)
	v_add_nc_u32_e32 v3, v3, v82
	v_lshlrev_b64 v[41:42], 3, v[3:4]
	v_add_co_u32 v41, vcc_lo, s48, v41
	v_add_co_ci_u32_e64 v42, null, s49, v42, vcc_lo
	s_waitcnt lgkmcnt(0)
	global_store_dwordx2 v[41:42], v[39:40], off
	s_or_b32 exec_lo, exec_lo, s23
	s_and_saveexec_b32 s23, s28
	s_cbranch_execz .LBB1251_831
.LBB1251_895:                           ;   in Loop: Header=BB1251_694 Depth=2
	v_lshlrev_b32_e32 v3, 2, v161
	ds_read_b32 v3, v3
	ds_read_b64 v[39:40], v108 offset:12800
	s_waitcnt lgkmcnt(1)
	v_add_nc_u32_e32 v3, v3, v83
	v_lshlrev_b64 v[41:42], 3, v[3:4]
	v_add_co_u32 v41, vcc_lo, s48, v41
	v_add_co_ci_u32_e64 v42, null, s49, v42, vcc_lo
	s_waitcnt lgkmcnt(0)
	global_store_dwordx2 v[41:42], v[39:40], off
	s_or_b32 exec_lo, exec_lo, s23
	s_and_saveexec_b32 s23, s29
	s_cbranch_execz .LBB1251_832
.LBB1251_896:                           ;   in Loop: Header=BB1251_694 Depth=2
	v_lshlrev_b32_e32 v3, 2, v160
	ds_read_b32 v3, v3
	ds_read_b64 v[39:40], v108 offset:14848
	s_waitcnt lgkmcnt(1)
	v_add_nc_u32_e32 v3, v3, v84
	v_lshlrev_b64 v[41:42], 3, v[3:4]
	v_add_co_u32 v41, vcc_lo, s48, v41
	v_add_co_ci_u32_e64 v42, null, s49, v42, vcc_lo
	s_waitcnt lgkmcnt(0)
	global_store_dwordx2 v[41:42], v[39:40], off
	s_or_b32 exec_lo, exec_lo, s23
	s_and_saveexec_b32 s23, s30
	s_cbranch_execz .LBB1251_833
.LBB1251_897:                           ;   in Loop: Header=BB1251_694 Depth=2
	v_lshlrev_b32_e32 v3, 2, v159
	ds_read_b32 v3, v3
	ds_read_b64 v[39:40], v108 offset:16896
	s_waitcnt lgkmcnt(1)
	v_add_nc_u32_e32 v3, v3, v85
	v_lshlrev_b64 v[41:42], 3, v[3:4]
	v_add_co_u32 v41, vcc_lo, s48, v41
	v_add_co_ci_u32_e64 v42, null, s49, v42, vcc_lo
	s_waitcnt lgkmcnt(0)
	global_store_dwordx2 v[41:42], v[39:40], off
	s_or_b32 exec_lo, exec_lo, s23
	s_and_saveexec_b32 s23, s31
	s_cbranch_execz .LBB1251_834
.LBB1251_898:                           ;   in Loop: Header=BB1251_694 Depth=2
	v_lshlrev_b32_e32 v3, 2, v157
	ds_read_b32 v3, v3
	ds_read_b64 v[39:40], v108 offset:18944
	s_waitcnt lgkmcnt(1)
	v_add_nc_u32_e32 v3, v3, v86
	v_lshlrev_b64 v[41:42], 3, v[3:4]
	v_add_co_u32 v41, vcc_lo, s48, v41
	v_add_co_ci_u32_e64 v42, null, s49, v42, vcc_lo
	s_waitcnt lgkmcnt(0)
	global_store_dwordx2 v[41:42], v[39:40], off
	s_or_b32 exec_lo, exec_lo, s23
	s_and_saveexec_b32 s23, s33
	s_cbranch_execz .LBB1251_835
.LBB1251_899:                           ;   in Loop: Header=BB1251_694 Depth=2
	v_lshlrev_b32_e32 v3, 2, v156
	ds_read_b32 v3, v3
	ds_read_b64 v[39:40], v108 offset:20992
	s_waitcnt lgkmcnt(1)
	v_add_nc_u32_e32 v3, v3, v87
	v_lshlrev_b64 v[41:42], 3, v[3:4]
	v_add_co_u32 v41, vcc_lo, s48, v41
	v_add_co_ci_u32_e64 v42, null, s49, v42, vcc_lo
	s_waitcnt lgkmcnt(0)
	global_store_dwordx2 v[41:42], v[39:40], off
	s_or_b32 exec_lo, exec_lo, s23
	s_and_saveexec_b32 s23, s34
	s_cbranch_execz .LBB1251_836
.LBB1251_900:                           ;   in Loop: Header=BB1251_694 Depth=2
	v_lshlrev_b32_e32 v3, 2, v155
	ds_read_b32 v3, v3
	ds_read_b64 v[39:40], v108 offset:23040
	s_waitcnt lgkmcnt(1)
	v_add_nc_u32_e32 v3, v3, v88
	v_lshlrev_b64 v[41:42], 3, v[3:4]
	v_add_co_u32 v41, vcc_lo, s48, v41
	v_add_co_ci_u32_e64 v42, null, s49, v42, vcc_lo
	s_waitcnt lgkmcnt(0)
	global_store_dwordx2 v[41:42], v[39:40], off
	s_or_b32 exec_lo, exec_lo, s23
	s_and_saveexec_b32 s23, s35
	s_cbranch_execz .LBB1251_837
.LBB1251_901:                           ;   in Loop: Header=BB1251_694 Depth=2
	v_lshlrev_b32_e32 v3, 2, v154
	ds_read_b32 v3, v3
	ds_read_b64 v[39:40], v108 offset:25088
	s_waitcnt lgkmcnt(1)
	v_add_nc_u32_e32 v3, v3, v89
	v_lshlrev_b64 v[41:42], 3, v[3:4]
	v_add_co_u32 v41, vcc_lo, s48, v41
	v_add_co_ci_u32_e64 v42, null, s49, v42, vcc_lo
	s_waitcnt lgkmcnt(0)
	global_store_dwordx2 v[41:42], v[39:40], off
	s_or_b32 exec_lo, exec_lo, s23
	s_and_saveexec_b32 s23, s36
	s_cbranch_execz .LBB1251_838
.LBB1251_902:                           ;   in Loop: Header=BB1251_694 Depth=2
	v_lshlrev_b32_e32 v3, 2, v153
	ds_read_b32 v3, v3
	ds_read_b64 v[39:40], v108 offset:27136
	s_waitcnt lgkmcnt(1)
	v_add_nc_u32_e32 v3, v3, v90
	v_lshlrev_b64 v[41:42], 3, v[3:4]
	v_add_co_u32 v41, vcc_lo, s48, v41
	v_add_co_ci_u32_e64 v42, null, s49, v42, vcc_lo
	s_waitcnt lgkmcnt(0)
	global_store_dwordx2 v[41:42], v[39:40], off
	s_or_b32 exec_lo, exec_lo, s23
	s_and_saveexec_b32 s23, s37
	s_cbranch_execz .LBB1251_839
.LBB1251_903:                           ;   in Loop: Header=BB1251_694 Depth=2
	v_lshlrev_b32_e32 v3, 2, v152
	ds_read_b32 v3, v3
	ds_read_b64 v[39:40], v108 offset:29184
	s_waitcnt lgkmcnt(1)
	v_add_nc_u32_e32 v3, v3, v91
	v_lshlrev_b64 v[41:42], 3, v[3:4]
	v_add_co_u32 v41, vcc_lo, s48, v41
	v_add_co_ci_u32_e64 v42, null, s49, v42, vcc_lo
	s_waitcnt lgkmcnt(0)
	global_store_dwordx2 v[41:42], v[39:40], off
	s_or_b32 exec_lo, exec_lo, s23
	s_and_saveexec_b32 s23, s38
	s_cbranch_execnz .LBB1251_840
	s_branch .LBB1251_841
.LBB1251_904:                           ;   in Loop: Header=BB1251_20 Depth=1
	s_waitcnt lgkmcnt(0)
	s_mov_b32 s14, 0
	s_barrier
.LBB1251_905:                           ;   in Loop: Header=BB1251_20 Depth=1
	s_and_b32 vcc_lo, exec_lo, s14
	s_cbranch_vccz .LBB1251_19
; %bb.906:                              ;   in Loop: Header=BB1251_20 Depth=1
	s_mov_b32 s16, s62
	s_mov_b32 s56, s60
	s_barrier
	buffer_gl0_inv
                                        ; implicit-def: $vgpr7_vgpr8
                                        ; implicit-def: $vgpr9_vgpr10
                                        ; implicit-def: $vgpr11_vgpr12
                                        ; implicit-def: $vgpr13_vgpr14
                                        ; implicit-def: $vgpr15_vgpr16
                                        ; implicit-def: $vgpr17_vgpr18
                                        ; implicit-def: $vgpr19_vgpr20
                                        ; implicit-def: $vgpr21_vgpr22
                                        ; implicit-def: $vgpr23_vgpr24
                                        ; implicit-def: $vgpr25_vgpr26
                                        ; implicit-def: $vgpr27_vgpr28
                                        ; implicit-def: $vgpr29_vgpr30
                                        ; implicit-def: $vgpr31_vgpr32
                                        ; implicit-def: $vgpr33_vgpr34
                                        ; implicit-def: $vgpr35_vgpr36
                                        ; implicit-def: $vgpr37_vgpr38
	s_branch .LBB1251_908
.LBB1251_907:                           ;   in Loop: Header=BB1251_908 Depth=2
	s_or_b32 exec_lo, exec_lo, s14
	s_addk_i32 s16, 0xf000
	s_cmp_ge_u32 s17, s61
	s_mov_b32 s56, s17
	s_cbranch_scc1 .LBB1251_976
.LBB1251_908:                           ;   Parent Loop BB1251_20 Depth=1
                                        ; =>  This Inner Loop Header: Depth=2
	s_add_i32 s17, s56, 0x1000
	s_mov_b32 s14, -1
	s_cmp_gt_u32 s17, s61
                                        ; implicit-def: $vgpr49_vgpr50
                                        ; implicit-def: $vgpr53_vgpr54
                                        ; implicit-def: $vgpr57_vgpr58
                                        ; implicit-def: $vgpr39_vgpr40
                                        ; implicit-def: $vgpr41_vgpr42
                                        ; implicit-def: $vgpr43_vgpr44
                                        ; implicit-def: $vgpr45_vgpr46
                                        ; implicit-def: $vgpr47_vgpr48
                                        ; implicit-def: $vgpr51_vgpr52
                                        ; implicit-def: $vgpr55_vgpr56
                                        ; implicit-def: $vgpr59_vgpr60
                                        ; implicit-def: $vgpr61_vgpr62
                                        ; implicit-def: $vgpr63_vgpr64
                                        ; implicit-def: $vgpr65_vgpr66
                                        ; implicit-def: $vgpr67_vgpr68
                                        ; implicit-def: $vgpr69_vgpr70
	s_cbranch_scc1 .LBB1251_910
; %bb.909:                              ;   in Loop: Header=BB1251_908 Depth=2
	s_lshl_b64 s[14:15], s[56:57], 3
	v_add_co_u32 v49, vcc_lo, v115, s14
	v_add_co_ci_u32_e64 v50, null, s15, v116, vcc_lo
	s_mov_b32 s14, 0
	v_add_co_u32 v57, vcc_lo, v49, 0x1000
	v_add_co_ci_u32_e64 v58, null, 0, v50, vcc_lo
	v_add_co_u32 v41, vcc_lo, v49, 0x2000
	v_add_co_ci_u32_e64 v42, null, 0, v50, vcc_lo
	;; [unrolled: 2-line block ×5, first 2 shown]
	s_clause 0x7
	global_load_dwordx2 v[39:40], v[41:42], off offset:-2048
	global_load_dwordx2 v[41:42], v[41:42], off
	global_load_dwordx2 v[43:44], v[45:46], off offset:-2048
	global_load_dwordx2 v[45:46], v[45:46], off
	global_load_dwordx2 v[47:48], v[51:52], off offset:-2048
	global_load_dwordx2 v[51:52], v[51:52], off
	global_load_dwordx2 v[55:56], v[53:54], off offset:-2048
	global_load_dwordx2 v[59:60], v[53:54], off
	v_add_co_u32 v53, vcc_lo, v49, 0x6000
	v_add_co_ci_u32_e64 v54, null, 0, v50, vcc_lo
	v_add_co_u32 v67, vcc_lo, v49, 0x7000
	v_add_co_ci_u32_e64 v68, null, 0, v50, vcc_lo
	;; [unrolled: 2-line block ×3, first 2 shown]
	s_clause 0x7
	global_load_dwordx2 v[61:62], v[53:54], off offset:-2048
	global_load_dwordx2 v[63:64], v[53:54], off
	global_load_dwordx2 v[65:66], v[67:68], off offset:-2048
	global_load_dwordx2 v[67:68], v[67:68], off
	global_load_dwordx2 v[49:50], v[49:50], off
	global_load_dwordx2 v[53:54], v[57:58], off offset:-2048
	global_load_dwordx2 v[57:58], v[57:58], off
	global_load_dwordx2 v[69:70], v[69:70], off
.LBB1251_910:                           ;   in Loop: Header=BB1251_908 Depth=2
	s_andn2_b32 vcc_lo, exec_lo, s14
	s_movk_i32 s14, 0x1000
	s_cbranch_vccnz .LBB1251_929
; %bb.911:                              ;   in Loop: Header=BB1251_908 Depth=2
	s_lshl_b64 s[14:15], s[56:57], 3
	s_mov_b32 s18, exec_lo
	s_add_u32 s14, s40, s14
	s_addc_u32 s15, s41, s15
	v_cmpx_gt_u32_e64 s16, v0
	s_cbranch_execnz .LBB1251_961
; %bb.912:                              ;   in Loop: Header=BB1251_908 Depth=2
	s_or_b32 exec_lo, exec_lo, s18
	s_mov_b32 s18, exec_lo
	v_cmpx_gt_u32_e64 s16, v76
	s_cbranch_execnz .LBB1251_962
.LBB1251_913:                           ;   in Loop: Header=BB1251_908 Depth=2
	s_or_b32 exec_lo, exec_lo, s18
	s_mov_b32 s18, exec_lo
	v_cmpx_gt_u32_e64 s16, v79
	s_cbranch_execnz .LBB1251_963
.LBB1251_914:                           ;   in Loop: Header=BB1251_908 Depth=2
	s_or_b32 exec_lo, exec_lo, s18
	s_mov_b32 s18, exec_lo
	v_cmpx_gt_u32_e64 s16, v80
	s_cbranch_execnz .LBB1251_964
.LBB1251_915:                           ;   in Loop: Header=BB1251_908 Depth=2
	s_or_b32 exec_lo, exec_lo, s18
	s_mov_b32 s18, exec_lo
	v_cmpx_gt_u32_e64 s16, v81
	s_cbranch_execnz .LBB1251_965
.LBB1251_916:                           ;   in Loop: Header=BB1251_908 Depth=2
	s_or_b32 exec_lo, exec_lo, s18
	s_mov_b32 s18, exec_lo
	v_cmpx_gt_u32_e64 s16, v82
	s_cbranch_execnz .LBB1251_966
.LBB1251_917:                           ;   in Loop: Header=BB1251_908 Depth=2
	s_or_b32 exec_lo, exec_lo, s18
	s_mov_b32 s18, exec_lo
	v_cmpx_gt_u32_e64 s16, v83
	s_cbranch_execnz .LBB1251_967
.LBB1251_918:                           ;   in Loop: Header=BB1251_908 Depth=2
	s_or_b32 exec_lo, exec_lo, s18
	s_mov_b32 s18, exec_lo
	v_cmpx_gt_u32_e64 s16, v84
	s_cbranch_execnz .LBB1251_968
.LBB1251_919:                           ;   in Loop: Header=BB1251_908 Depth=2
	s_or_b32 exec_lo, exec_lo, s18
	s_mov_b32 s18, exec_lo
	v_cmpx_gt_u32_e64 s16, v85
	s_cbranch_execnz .LBB1251_969
.LBB1251_920:                           ;   in Loop: Header=BB1251_908 Depth=2
	s_or_b32 exec_lo, exec_lo, s18
	s_mov_b32 s18, exec_lo
	v_cmpx_gt_u32_e64 s16, v86
	s_cbranch_execnz .LBB1251_970
.LBB1251_921:                           ;   in Loop: Header=BB1251_908 Depth=2
	s_or_b32 exec_lo, exec_lo, s18
	s_mov_b32 s18, exec_lo
	v_cmpx_gt_u32_e64 s16, v87
	s_cbranch_execnz .LBB1251_971
.LBB1251_922:                           ;   in Loop: Header=BB1251_908 Depth=2
	s_or_b32 exec_lo, exec_lo, s18
	s_mov_b32 s18, exec_lo
	v_cmpx_gt_u32_e64 s16, v88
	s_cbranch_execnz .LBB1251_972
.LBB1251_923:                           ;   in Loop: Header=BB1251_908 Depth=2
	s_or_b32 exec_lo, exec_lo, s18
	s_mov_b32 s18, exec_lo
	v_cmpx_gt_u32_e64 s16, v89
	s_cbranch_execnz .LBB1251_973
.LBB1251_924:                           ;   in Loop: Header=BB1251_908 Depth=2
	s_or_b32 exec_lo, exec_lo, s18
	s_mov_b32 s18, exec_lo
	v_cmpx_gt_u32_e64 s16, v90
	s_cbranch_execnz .LBB1251_974
.LBB1251_925:                           ;   in Loop: Header=BB1251_908 Depth=2
	s_or_b32 exec_lo, exec_lo, s18
	s_mov_b32 s18, exec_lo
	v_cmpx_gt_u32_e64 s16, v91
	s_cbranch_execnz .LBB1251_975
.LBB1251_926:                           ;   in Loop: Header=BB1251_908 Depth=2
	s_or_b32 exec_lo, exec_lo, s18
	s_mov_b32 s18, exec_lo
	v_cmpx_gt_u32_e64 s16, v92
	s_cbranch_execz .LBB1251_928
.LBB1251_927:                           ;   in Loop: Header=BB1251_908 Depth=2
	v_lshlrev_b32_e32 v3, 3, v92
	global_load_dwordx2 v[7:8], v3, s[14:15]
.LBB1251_928:                           ;   in Loop: Header=BB1251_908 Depth=2
	s_or_b32 exec_lo, exec_lo, s18
	s_waitcnt vmcnt(0)
	v_mov_b32_e32 v50, v38
	v_mov_b32_e32 v54, v36
	;; [unrolled: 1-line block ×32, first 2 shown]
	s_mov_b32 s14, s16
.LBB1251_929:                           ;   in Loop: Header=BB1251_908 Depth=2
	s_waitcnt vmcnt(0)
	v_mov_b32_e32 v7, v69
	v_mov_b32_e32 v9, v67
	;; [unrolled: 1-line block ×32, first 2 shown]
	s_mov_b32 s15, exec_lo
	v_cmpx_gt_u32_e64 s14, v0
	s_cbranch_execnz .LBB1251_945
; %bb.930:                              ;   in Loop: Header=BB1251_908 Depth=2
	s_or_b32 exec_lo, exec_lo, s15
	s_mov_b32 s15, exec_lo
	v_cmpx_gt_u32_e64 s14, v76
	s_cbranch_execnz .LBB1251_946
.LBB1251_931:                           ;   in Loop: Header=BB1251_908 Depth=2
	s_or_b32 exec_lo, exec_lo, s15
	s_mov_b32 s15, exec_lo
	v_cmpx_gt_u32_e64 s14, v79
	s_cbranch_execnz .LBB1251_947
.LBB1251_932:                           ;   in Loop: Header=BB1251_908 Depth=2
	s_or_b32 exec_lo, exec_lo, s15
	s_mov_b32 s15, exec_lo
	v_cmpx_gt_u32_e64 s14, v80
	s_cbranch_execnz .LBB1251_948
.LBB1251_933:                           ;   in Loop: Header=BB1251_908 Depth=2
	s_or_b32 exec_lo, exec_lo, s15
	s_mov_b32 s15, exec_lo
	v_cmpx_gt_u32_e64 s14, v81
	s_cbranch_execnz .LBB1251_949
.LBB1251_934:                           ;   in Loop: Header=BB1251_908 Depth=2
	s_or_b32 exec_lo, exec_lo, s15
	s_mov_b32 s15, exec_lo
	v_cmpx_gt_u32_e64 s14, v82
	s_cbranch_execnz .LBB1251_950
.LBB1251_935:                           ;   in Loop: Header=BB1251_908 Depth=2
	s_or_b32 exec_lo, exec_lo, s15
	s_mov_b32 s15, exec_lo
	v_cmpx_gt_u32_e64 s14, v83
	s_cbranch_execnz .LBB1251_951
.LBB1251_936:                           ;   in Loop: Header=BB1251_908 Depth=2
	s_or_b32 exec_lo, exec_lo, s15
	s_mov_b32 s15, exec_lo
	v_cmpx_gt_u32_e64 s14, v84
	s_cbranch_execnz .LBB1251_952
.LBB1251_937:                           ;   in Loop: Header=BB1251_908 Depth=2
	s_or_b32 exec_lo, exec_lo, s15
	s_mov_b32 s15, exec_lo
	v_cmpx_gt_u32_e64 s14, v85
	s_cbranch_execnz .LBB1251_953
.LBB1251_938:                           ;   in Loop: Header=BB1251_908 Depth=2
	s_or_b32 exec_lo, exec_lo, s15
	s_mov_b32 s15, exec_lo
	v_cmpx_gt_u32_e64 s14, v86
	s_cbranch_execnz .LBB1251_954
.LBB1251_939:                           ;   in Loop: Header=BB1251_908 Depth=2
	s_or_b32 exec_lo, exec_lo, s15
	s_mov_b32 s15, exec_lo
	v_cmpx_gt_u32_e64 s14, v87
	s_cbranch_execnz .LBB1251_955
.LBB1251_940:                           ;   in Loop: Header=BB1251_908 Depth=2
	s_or_b32 exec_lo, exec_lo, s15
	s_mov_b32 s15, exec_lo
	v_cmpx_gt_u32_e64 s14, v88
	s_cbranch_execnz .LBB1251_956
.LBB1251_941:                           ;   in Loop: Header=BB1251_908 Depth=2
	s_or_b32 exec_lo, exec_lo, s15
	s_mov_b32 s15, exec_lo
	v_cmpx_gt_u32_e64 s14, v89
	s_cbranch_execnz .LBB1251_957
.LBB1251_942:                           ;   in Loop: Header=BB1251_908 Depth=2
	s_or_b32 exec_lo, exec_lo, s15
	s_mov_b32 s15, exec_lo
	v_cmpx_gt_u32_e64 s14, v90
	s_cbranch_execnz .LBB1251_958
.LBB1251_943:                           ;   in Loop: Header=BB1251_908 Depth=2
	s_or_b32 exec_lo, exec_lo, s15
	s_mov_b32 s15, exec_lo
	v_cmpx_gt_u32_e64 s14, v91
	s_cbranch_execnz .LBB1251_959
.LBB1251_944:                           ;   in Loop: Header=BB1251_908 Depth=2
	s_or_b32 exec_lo, exec_lo, s15
	v_cmp_gt_u32_e32 vcc_lo, s14, v92
	s_and_saveexec_b32 s14, vcc_lo
	s_cbranch_execz .LBB1251_907
	s_branch .LBB1251_960
.LBB1251_945:                           ;   in Loop: Header=BB1251_908 Depth=2
	v_cmp_lt_i64_e32 vcc_lo, -1, v[37:38]
	v_ashrrev_i32_e32 v39, 31, v38
	v_xor_b32_e32 v39, v39, v37
	v_cndmask_b32_e64 v3, -1, 0x80000000, vcc_lo
	v_xor_b32_e32 v40, v3, v38
	v_cmp_ne_u64_e32 vcc_lo, s[46:47], v[39:40]
	v_cndmask_b32_e32 v40, 0x80000000, v40, vcc_lo
	v_cndmask_b32_e32 v39, 0, v39, vcc_lo
	v_lshrrev_b64 v[39:40], s52, v[39:40]
	v_and_b32_e32 v3, s64, v39
	v_lshl_or_b32 v3, v3, 4, v93
	ds_add_u32 v3, v121
	s_or_b32 exec_lo, exec_lo, s15
	s_mov_b32 s15, exec_lo
	v_cmpx_gt_u32_e64 s14, v76
	s_cbranch_execz .LBB1251_931
.LBB1251_946:                           ;   in Loop: Header=BB1251_908 Depth=2
	v_cmp_lt_i64_e32 vcc_lo, -1, v[35:36]
	v_ashrrev_i32_e32 v39, 31, v36
	v_xor_b32_e32 v39, v39, v35
	v_cndmask_b32_e64 v3, -1, 0x80000000, vcc_lo
	v_xor_b32_e32 v40, v3, v36
	v_cmp_ne_u64_e32 vcc_lo, s[46:47], v[39:40]
	v_cndmask_b32_e32 v40, 0x80000000, v40, vcc_lo
	v_cndmask_b32_e32 v39, 0, v39, vcc_lo
	v_lshrrev_b64 v[39:40], s52, v[39:40]
	v_and_b32_e32 v3, s64, v39
	v_lshl_or_b32 v3, v3, 4, v93
	ds_add_u32 v3, v121
	s_or_b32 exec_lo, exec_lo, s15
	s_mov_b32 s15, exec_lo
	v_cmpx_gt_u32_e64 s14, v79
	s_cbranch_execz .LBB1251_932
.LBB1251_947:                           ;   in Loop: Header=BB1251_908 Depth=2
	v_cmp_lt_i64_e32 vcc_lo, -1, v[33:34]
	v_ashrrev_i32_e32 v39, 31, v34
	v_xor_b32_e32 v39, v39, v33
	v_cndmask_b32_e64 v3, -1, 0x80000000, vcc_lo
	v_xor_b32_e32 v40, v3, v34
	v_cmp_ne_u64_e32 vcc_lo, s[46:47], v[39:40]
	v_cndmask_b32_e32 v40, 0x80000000, v40, vcc_lo
	v_cndmask_b32_e32 v39, 0, v39, vcc_lo
	v_lshrrev_b64 v[39:40], s52, v[39:40]
	v_and_b32_e32 v3, s64, v39
	v_lshl_or_b32 v3, v3, 4, v93
	ds_add_u32 v3, v121
	s_or_b32 exec_lo, exec_lo, s15
	s_mov_b32 s15, exec_lo
	v_cmpx_gt_u32_e64 s14, v80
	s_cbranch_execz .LBB1251_933
.LBB1251_948:                           ;   in Loop: Header=BB1251_908 Depth=2
	v_cmp_lt_i64_e32 vcc_lo, -1, v[31:32]
	v_ashrrev_i32_e32 v39, 31, v32
	v_xor_b32_e32 v39, v39, v31
	v_cndmask_b32_e64 v3, -1, 0x80000000, vcc_lo
	v_xor_b32_e32 v40, v3, v32
	v_cmp_ne_u64_e32 vcc_lo, s[46:47], v[39:40]
	v_cndmask_b32_e32 v40, 0x80000000, v40, vcc_lo
	v_cndmask_b32_e32 v39, 0, v39, vcc_lo
	v_lshrrev_b64 v[39:40], s52, v[39:40]
	v_and_b32_e32 v3, s64, v39
	v_lshl_or_b32 v3, v3, 4, v93
	ds_add_u32 v3, v121
	s_or_b32 exec_lo, exec_lo, s15
	s_mov_b32 s15, exec_lo
	v_cmpx_gt_u32_e64 s14, v81
	s_cbranch_execz .LBB1251_934
.LBB1251_949:                           ;   in Loop: Header=BB1251_908 Depth=2
	v_cmp_lt_i64_e32 vcc_lo, -1, v[29:30]
	v_ashrrev_i32_e32 v39, 31, v30
	v_xor_b32_e32 v39, v39, v29
	v_cndmask_b32_e64 v3, -1, 0x80000000, vcc_lo
	v_xor_b32_e32 v40, v3, v30
	v_cmp_ne_u64_e32 vcc_lo, s[46:47], v[39:40]
	v_cndmask_b32_e32 v40, 0x80000000, v40, vcc_lo
	v_cndmask_b32_e32 v39, 0, v39, vcc_lo
	v_lshrrev_b64 v[39:40], s52, v[39:40]
	v_and_b32_e32 v3, s64, v39
	v_lshl_or_b32 v3, v3, 4, v93
	ds_add_u32 v3, v121
	s_or_b32 exec_lo, exec_lo, s15
	s_mov_b32 s15, exec_lo
	v_cmpx_gt_u32_e64 s14, v82
	s_cbranch_execz .LBB1251_935
.LBB1251_950:                           ;   in Loop: Header=BB1251_908 Depth=2
	v_cmp_lt_i64_e32 vcc_lo, -1, v[27:28]
	v_ashrrev_i32_e32 v39, 31, v28
	v_xor_b32_e32 v39, v39, v27
	v_cndmask_b32_e64 v3, -1, 0x80000000, vcc_lo
	v_xor_b32_e32 v40, v3, v28
	v_cmp_ne_u64_e32 vcc_lo, s[46:47], v[39:40]
	v_cndmask_b32_e32 v40, 0x80000000, v40, vcc_lo
	v_cndmask_b32_e32 v39, 0, v39, vcc_lo
	v_lshrrev_b64 v[39:40], s52, v[39:40]
	v_and_b32_e32 v3, s64, v39
	v_lshl_or_b32 v3, v3, 4, v93
	ds_add_u32 v3, v121
	s_or_b32 exec_lo, exec_lo, s15
	s_mov_b32 s15, exec_lo
	v_cmpx_gt_u32_e64 s14, v83
	s_cbranch_execz .LBB1251_936
.LBB1251_951:                           ;   in Loop: Header=BB1251_908 Depth=2
	v_cmp_lt_i64_e32 vcc_lo, -1, v[25:26]
	v_ashrrev_i32_e32 v39, 31, v26
	v_xor_b32_e32 v39, v39, v25
	v_cndmask_b32_e64 v3, -1, 0x80000000, vcc_lo
	v_xor_b32_e32 v40, v3, v26
	v_cmp_ne_u64_e32 vcc_lo, s[46:47], v[39:40]
	v_cndmask_b32_e32 v40, 0x80000000, v40, vcc_lo
	v_cndmask_b32_e32 v39, 0, v39, vcc_lo
	v_lshrrev_b64 v[39:40], s52, v[39:40]
	v_and_b32_e32 v3, s64, v39
	v_lshl_or_b32 v3, v3, 4, v93
	ds_add_u32 v3, v121
	s_or_b32 exec_lo, exec_lo, s15
	s_mov_b32 s15, exec_lo
	v_cmpx_gt_u32_e64 s14, v84
	s_cbranch_execz .LBB1251_937
.LBB1251_952:                           ;   in Loop: Header=BB1251_908 Depth=2
	v_cmp_lt_i64_e32 vcc_lo, -1, v[23:24]
	v_ashrrev_i32_e32 v39, 31, v24
	v_xor_b32_e32 v39, v39, v23
	v_cndmask_b32_e64 v3, -1, 0x80000000, vcc_lo
	v_xor_b32_e32 v40, v3, v24
	v_cmp_ne_u64_e32 vcc_lo, s[46:47], v[39:40]
	v_cndmask_b32_e32 v40, 0x80000000, v40, vcc_lo
	v_cndmask_b32_e32 v39, 0, v39, vcc_lo
	v_lshrrev_b64 v[39:40], s52, v[39:40]
	v_and_b32_e32 v3, s64, v39
	v_lshl_or_b32 v3, v3, 4, v93
	ds_add_u32 v3, v121
	s_or_b32 exec_lo, exec_lo, s15
	s_mov_b32 s15, exec_lo
	v_cmpx_gt_u32_e64 s14, v85
	s_cbranch_execz .LBB1251_938
.LBB1251_953:                           ;   in Loop: Header=BB1251_908 Depth=2
	v_cmp_lt_i64_e32 vcc_lo, -1, v[21:22]
	v_ashrrev_i32_e32 v39, 31, v22
	v_xor_b32_e32 v39, v39, v21
	v_cndmask_b32_e64 v3, -1, 0x80000000, vcc_lo
	v_xor_b32_e32 v40, v3, v22
	v_cmp_ne_u64_e32 vcc_lo, s[46:47], v[39:40]
	v_cndmask_b32_e32 v40, 0x80000000, v40, vcc_lo
	v_cndmask_b32_e32 v39, 0, v39, vcc_lo
	v_lshrrev_b64 v[39:40], s52, v[39:40]
	v_and_b32_e32 v3, s64, v39
	v_lshl_or_b32 v3, v3, 4, v93
	ds_add_u32 v3, v121
	s_or_b32 exec_lo, exec_lo, s15
	s_mov_b32 s15, exec_lo
	v_cmpx_gt_u32_e64 s14, v86
	s_cbranch_execz .LBB1251_939
.LBB1251_954:                           ;   in Loop: Header=BB1251_908 Depth=2
	v_cmp_lt_i64_e32 vcc_lo, -1, v[19:20]
	v_ashrrev_i32_e32 v39, 31, v20
	v_xor_b32_e32 v39, v39, v19
	v_cndmask_b32_e64 v3, -1, 0x80000000, vcc_lo
	v_xor_b32_e32 v40, v3, v20
	v_cmp_ne_u64_e32 vcc_lo, s[46:47], v[39:40]
	v_cndmask_b32_e32 v40, 0x80000000, v40, vcc_lo
	v_cndmask_b32_e32 v39, 0, v39, vcc_lo
	v_lshrrev_b64 v[39:40], s52, v[39:40]
	v_and_b32_e32 v3, s64, v39
	v_lshl_or_b32 v3, v3, 4, v93
	ds_add_u32 v3, v121
	s_or_b32 exec_lo, exec_lo, s15
	s_mov_b32 s15, exec_lo
	v_cmpx_gt_u32_e64 s14, v87
	s_cbranch_execz .LBB1251_940
.LBB1251_955:                           ;   in Loop: Header=BB1251_908 Depth=2
	v_cmp_lt_i64_e32 vcc_lo, -1, v[17:18]
	v_ashrrev_i32_e32 v39, 31, v18
	v_xor_b32_e32 v39, v39, v17
	v_cndmask_b32_e64 v3, -1, 0x80000000, vcc_lo
	v_xor_b32_e32 v40, v3, v18
	v_cmp_ne_u64_e32 vcc_lo, s[46:47], v[39:40]
	v_cndmask_b32_e32 v40, 0x80000000, v40, vcc_lo
	v_cndmask_b32_e32 v39, 0, v39, vcc_lo
	v_lshrrev_b64 v[39:40], s52, v[39:40]
	v_and_b32_e32 v3, s64, v39
	v_lshl_or_b32 v3, v3, 4, v93
	ds_add_u32 v3, v121
	s_or_b32 exec_lo, exec_lo, s15
	s_mov_b32 s15, exec_lo
	v_cmpx_gt_u32_e64 s14, v88
	s_cbranch_execz .LBB1251_941
.LBB1251_956:                           ;   in Loop: Header=BB1251_908 Depth=2
	v_cmp_lt_i64_e32 vcc_lo, -1, v[15:16]
	v_ashrrev_i32_e32 v39, 31, v16
	v_xor_b32_e32 v39, v39, v15
	v_cndmask_b32_e64 v3, -1, 0x80000000, vcc_lo
	v_xor_b32_e32 v40, v3, v16
	v_cmp_ne_u64_e32 vcc_lo, s[46:47], v[39:40]
	v_cndmask_b32_e32 v40, 0x80000000, v40, vcc_lo
	v_cndmask_b32_e32 v39, 0, v39, vcc_lo
	v_lshrrev_b64 v[39:40], s52, v[39:40]
	v_and_b32_e32 v3, s64, v39
	v_lshl_or_b32 v3, v3, 4, v93
	ds_add_u32 v3, v121
	s_or_b32 exec_lo, exec_lo, s15
	s_mov_b32 s15, exec_lo
	v_cmpx_gt_u32_e64 s14, v89
	s_cbranch_execz .LBB1251_942
.LBB1251_957:                           ;   in Loop: Header=BB1251_908 Depth=2
	v_cmp_lt_i64_e32 vcc_lo, -1, v[13:14]
	v_ashrrev_i32_e32 v39, 31, v14
	v_xor_b32_e32 v39, v39, v13
	v_cndmask_b32_e64 v3, -1, 0x80000000, vcc_lo
	v_xor_b32_e32 v40, v3, v14
	v_cmp_ne_u64_e32 vcc_lo, s[46:47], v[39:40]
	v_cndmask_b32_e32 v40, 0x80000000, v40, vcc_lo
	v_cndmask_b32_e32 v39, 0, v39, vcc_lo
	v_lshrrev_b64 v[39:40], s52, v[39:40]
	v_and_b32_e32 v3, s64, v39
	v_lshl_or_b32 v3, v3, 4, v93
	ds_add_u32 v3, v121
	s_or_b32 exec_lo, exec_lo, s15
	s_mov_b32 s15, exec_lo
	v_cmpx_gt_u32_e64 s14, v90
	s_cbranch_execz .LBB1251_943
.LBB1251_958:                           ;   in Loop: Header=BB1251_908 Depth=2
	v_cmp_lt_i64_e32 vcc_lo, -1, v[11:12]
	v_ashrrev_i32_e32 v39, 31, v12
	v_xor_b32_e32 v39, v39, v11
	v_cndmask_b32_e64 v3, -1, 0x80000000, vcc_lo
	v_xor_b32_e32 v40, v3, v12
	v_cmp_ne_u64_e32 vcc_lo, s[46:47], v[39:40]
	v_cndmask_b32_e32 v40, 0x80000000, v40, vcc_lo
	v_cndmask_b32_e32 v39, 0, v39, vcc_lo
	v_lshrrev_b64 v[39:40], s52, v[39:40]
	v_and_b32_e32 v3, s64, v39
	v_lshl_or_b32 v3, v3, 4, v93
	ds_add_u32 v3, v121
	s_or_b32 exec_lo, exec_lo, s15
	s_mov_b32 s15, exec_lo
	v_cmpx_gt_u32_e64 s14, v91
	s_cbranch_execz .LBB1251_944
.LBB1251_959:                           ;   in Loop: Header=BB1251_908 Depth=2
	v_cmp_lt_i64_e32 vcc_lo, -1, v[9:10]
	v_ashrrev_i32_e32 v39, 31, v10
	v_xor_b32_e32 v39, v39, v9
	v_cndmask_b32_e64 v3, -1, 0x80000000, vcc_lo
	v_xor_b32_e32 v40, v3, v10
	v_cmp_ne_u64_e32 vcc_lo, s[46:47], v[39:40]
	v_cndmask_b32_e32 v40, 0x80000000, v40, vcc_lo
	v_cndmask_b32_e32 v39, 0, v39, vcc_lo
	v_lshrrev_b64 v[39:40], s52, v[39:40]
	v_and_b32_e32 v3, s64, v39
	v_lshl_or_b32 v3, v3, 4, v93
	ds_add_u32 v3, v121
	s_or_b32 exec_lo, exec_lo, s15
	v_cmp_gt_u32_e32 vcc_lo, s14, v92
	s_and_saveexec_b32 s14, vcc_lo
	s_cbranch_execz .LBB1251_907
.LBB1251_960:                           ;   in Loop: Header=BB1251_908 Depth=2
	v_cmp_lt_i64_e32 vcc_lo, -1, v[7:8]
	v_ashrrev_i32_e32 v39, 31, v8
	v_xor_b32_e32 v39, v39, v7
	v_cndmask_b32_e64 v3, -1, 0x80000000, vcc_lo
	v_xor_b32_e32 v40, v3, v8
	v_cmp_ne_u64_e32 vcc_lo, s[46:47], v[39:40]
	v_cndmask_b32_e32 v40, 0x80000000, v40, vcc_lo
	v_cndmask_b32_e32 v39, 0, v39, vcc_lo
	v_lshrrev_b64 v[39:40], s52, v[39:40]
	v_and_b32_e32 v3, s64, v39
	v_lshl_or_b32 v3, v3, 4, v93
	ds_add_u32 v3, v121
	s_branch .LBB1251_907
.LBB1251_961:                           ;   in Loop: Header=BB1251_908 Depth=2
	global_load_dwordx2 v[37:38], v122, s[14:15]
	s_or_b32 exec_lo, exec_lo, s18
	s_mov_b32 s18, exec_lo
	v_cmpx_gt_u32_e64 s16, v76
	s_cbranch_execz .LBB1251_913
.LBB1251_962:                           ;   in Loop: Header=BB1251_908 Depth=2
	global_load_dwordx2 v[35:36], v123, s[14:15]
	s_or_b32 exec_lo, exec_lo, s18
	s_mov_b32 s18, exec_lo
	v_cmpx_gt_u32_e64 s16, v79
	s_cbranch_execz .LBB1251_914
.LBB1251_963:                           ;   in Loop: Header=BB1251_908 Depth=2
	global_load_dwordx2 v[33:34], v124, s[14:15]
	s_or_b32 exec_lo, exec_lo, s18
	s_mov_b32 s18, exec_lo
	v_cmpx_gt_u32_e64 s16, v80
	s_cbranch_execz .LBB1251_915
.LBB1251_964:                           ;   in Loop: Header=BB1251_908 Depth=2
	global_load_dwordx2 v[31:32], v125, s[14:15]
	s_or_b32 exec_lo, exec_lo, s18
	s_mov_b32 s18, exec_lo
	v_cmpx_gt_u32_e64 s16, v81
	s_cbranch_execz .LBB1251_916
.LBB1251_965:                           ;   in Loop: Header=BB1251_908 Depth=2
	global_load_dwordx2 v[29:30], v126, s[14:15]
	s_or_b32 exec_lo, exec_lo, s18
	s_mov_b32 s18, exec_lo
	v_cmpx_gt_u32_e64 s16, v82
	s_cbranch_execz .LBB1251_917
.LBB1251_966:                           ;   in Loop: Header=BB1251_908 Depth=2
	global_load_dwordx2 v[27:28], v127, s[14:15]
	s_or_b32 exec_lo, exec_lo, s18
	s_mov_b32 s18, exec_lo
	v_cmpx_gt_u32_e64 s16, v83
	s_cbranch_execz .LBB1251_918
.LBB1251_967:                           ;   in Loop: Header=BB1251_908 Depth=2
	v_lshlrev_b32_e32 v3, 3, v83
	global_load_dwordx2 v[25:26], v3, s[14:15]
	s_or_b32 exec_lo, exec_lo, s18
	s_mov_b32 s18, exec_lo
	v_cmpx_gt_u32_e64 s16, v84
	s_cbranch_execz .LBB1251_919
.LBB1251_968:                           ;   in Loop: Header=BB1251_908 Depth=2
	v_lshlrev_b32_e32 v3, 3, v84
	global_load_dwordx2 v[23:24], v3, s[14:15]
	s_or_b32 exec_lo, exec_lo, s18
	s_mov_b32 s18, exec_lo
	v_cmpx_gt_u32_e64 s16, v85
	s_cbranch_execz .LBB1251_920
.LBB1251_969:                           ;   in Loop: Header=BB1251_908 Depth=2
	v_lshlrev_b32_e32 v3, 3, v85
	global_load_dwordx2 v[21:22], v3, s[14:15]
	s_or_b32 exec_lo, exec_lo, s18
	s_mov_b32 s18, exec_lo
	v_cmpx_gt_u32_e64 s16, v86
	s_cbranch_execz .LBB1251_921
.LBB1251_970:                           ;   in Loop: Header=BB1251_908 Depth=2
	v_lshlrev_b32_e32 v3, 3, v86
	global_load_dwordx2 v[19:20], v3, s[14:15]
	s_or_b32 exec_lo, exec_lo, s18
	s_mov_b32 s18, exec_lo
	v_cmpx_gt_u32_e64 s16, v87
	s_cbranch_execz .LBB1251_922
.LBB1251_971:                           ;   in Loop: Header=BB1251_908 Depth=2
	v_lshlrev_b32_e32 v3, 3, v87
	global_load_dwordx2 v[17:18], v3, s[14:15]
	s_or_b32 exec_lo, exec_lo, s18
	s_mov_b32 s18, exec_lo
	v_cmpx_gt_u32_e64 s16, v88
	s_cbranch_execz .LBB1251_923
.LBB1251_972:                           ;   in Loop: Header=BB1251_908 Depth=2
	v_lshlrev_b32_e32 v3, 3, v88
	global_load_dwordx2 v[15:16], v3, s[14:15]
	s_or_b32 exec_lo, exec_lo, s18
	s_mov_b32 s18, exec_lo
	v_cmpx_gt_u32_e64 s16, v89
	s_cbranch_execz .LBB1251_924
.LBB1251_973:                           ;   in Loop: Header=BB1251_908 Depth=2
	v_lshlrev_b32_e32 v3, 3, v89
	global_load_dwordx2 v[13:14], v3, s[14:15]
	s_or_b32 exec_lo, exec_lo, s18
	s_mov_b32 s18, exec_lo
	v_cmpx_gt_u32_e64 s16, v90
	s_cbranch_execz .LBB1251_925
.LBB1251_974:                           ;   in Loop: Header=BB1251_908 Depth=2
	v_lshlrev_b32_e32 v3, 3, v90
	global_load_dwordx2 v[11:12], v3, s[14:15]
	s_or_b32 exec_lo, exec_lo, s18
	s_mov_b32 s18, exec_lo
	v_cmpx_gt_u32_e64 s16, v91
	s_cbranch_execz .LBB1251_926
.LBB1251_975:                           ;   in Loop: Header=BB1251_908 Depth=2
	v_lshlrev_b32_e32 v3, 3, v91
	global_load_dwordx2 v[9:10], v3, s[14:15]
	s_or_b32 exec_lo, exec_lo, s18
	s_mov_b32 s18, exec_lo
	v_cmpx_gt_u32_e64 s16, v92
	s_cbranch_execnz .LBB1251_927
	s_branch .LBB1251_928
.LBB1251_976:                           ;   in Loop: Header=BB1251_20 Depth=1
	v_mov_b32_e32 v3, 0
	s_waitcnt lgkmcnt(0)
	s_barrier
	buffer_gl0_inv
	s_and_saveexec_b32 s14, s8
	s_cbranch_execz .LBB1251_978
; %bb.977:                              ;   in Loop: Header=BB1251_20 Depth=1
	ds_read2_b64 v[7:10], v95 offset1:1
	s_waitcnt lgkmcnt(0)
	v_add_nc_u32_e32 v3, v8, v7
	v_add3_u32 v3, v3, v9, v10
.LBB1251_978:                           ;   in Loop: Header=BB1251_20 Depth=1
	s_or_b32 exec_lo, exec_lo, s14
	v_and_b32_e32 v7, 15, v128
	v_mov_b32_dpp v8, v3 row_shr:1 row_mask:0xf bank_mask:0xf
	v_and_b32_e32 v9, 16, v128
	v_cmp_eq_u32_e64 s14, 0, v7
	v_cmp_lt_u32_e64 s15, 1, v7
	v_cmp_lt_u32_e64 s16, 3, v7
	;; [unrolled: 1-line block ×3, first 2 shown]
	v_cmp_eq_u32_e64 s18, 0, v9
	v_cndmask_b32_e64 v8, v8, 0, s14
	v_add_nc_u32_e32 v3, v8, v3
	v_mov_b32_dpp v8, v3 row_shr:2 row_mask:0xf bank_mask:0xf
	v_cndmask_b32_e64 v8, 0, v8, s15
	v_add_nc_u32_e32 v3, v3, v8
	v_mov_b32_dpp v8, v3 row_shr:4 row_mask:0xf bank_mask:0xf
	;; [unrolled: 3-line block ×3, first 2 shown]
	v_cndmask_b32_e64 v7, 0, v8, s17
	v_bfe_i32 v8, v128, 4, 1
	v_add_nc_u32_e32 v3, v3, v7
	ds_swizzle_b32 v7, v3 offset:swizzle(BROADCAST,32,15)
	s_waitcnt lgkmcnt(0)
	v_and_b32_e32 v7, v8, v7
	v_add_nc_u32_e32 v3, v3, v7
	s_and_saveexec_b32 s19, s9
; %bb.979:                              ;   in Loop: Header=BB1251_20 Depth=1
	ds_write_b32 v96, v3
; %bb.980:                              ;   in Loop: Header=BB1251_20 Depth=1
	s_or_b32 exec_lo, exec_lo, s19
	s_waitcnt lgkmcnt(0)
	s_barrier
	buffer_gl0_inv
	s_and_saveexec_b32 s19, s10
	s_cbranch_execz .LBB1251_982
; %bb.981:                              ;   in Loop: Header=BB1251_20 Depth=1
	ds_read_b32 v7, v97
	v_and_b32_e32 v8, 3, v128
	v_cmp_ne_u32_e32 vcc_lo, 0, v8
	s_waitcnt lgkmcnt(0)
	v_mov_b32_dpp v9, v7 row_shr:1 row_mask:0xf bank_mask:0xf
	v_cndmask_b32_e32 v9, 0, v9, vcc_lo
	v_cmp_lt_u32_e32 vcc_lo, 1, v8
	v_add_nc_u32_e32 v7, v9, v7
	v_mov_b32_dpp v9, v7 row_shr:2 row_mask:0xf bank_mask:0xf
	v_cndmask_b32_e32 v8, 0, v9, vcc_lo
	v_add_nc_u32_e32 v7, v7, v8
	ds_write_b32 v97, v7
.LBB1251_982:                           ;   in Loop: Header=BB1251_20 Depth=1
	s_or_b32 exec_lo, exec_lo, s19
	v_mov_b32_e32 v7, 0
	s_waitcnt lgkmcnt(0)
	s_barrier
	buffer_gl0_inv
	s_and_saveexec_b32 s19, s11
; %bb.983:                              ;   in Loop: Header=BB1251_20 Depth=1
	ds_read_b32 v7, v98
; %bb.984:                              ;   in Loop: Header=BB1251_20 Depth=1
	s_or_b32 exec_lo, exec_lo, s19
	v_sub_co_u32 v8, s19, v128, 1
	s_waitcnt lgkmcnt(0)
	v_add_nc_u32_e32 v3, v7, v3
	s_barrier
	v_cmp_gt_i32_e32 vcc_lo, 0, v8
	buffer_gl0_inv
	v_cndmask_b32_e32 v8, v8, v128, vcc_lo
	v_lshlrev_b32_e32 v129, 2, v8
	ds_bpermute_b32 v3, v129, v3
	s_and_saveexec_b32 s20, s8
	s_cbranch_execz .LBB1251_986
; %bb.985:                              ;   in Loop: Header=BB1251_20 Depth=1
	s_waitcnt lgkmcnt(0)
	v_cndmask_b32_e64 v3, v3, v7, s19
	v_add_nc_u32_e32 v3, s60, v3
	ds_write_b32 v75, v3
.LBB1251_986:                           ;   in Loop: Header=BB1251_20 Depth=1
	s_or_b32 exec_lo, exec_lo, s20
	s_load_dwordx2 s[20:21], s[58:59], 0x0
	v_and_b32_e32 v8, 7, v128
	v_lshlrev_b32_e32 v9, 3, v128
	v_or_b32_e32 v130, v128, v99
	s_mov_b32 s65, s62
	s_mov_b32 s56, s60
                                        ; implicit-def: $vgpr11_vgpr12
                                        ; implicit-def: $vgpr13_vgpr14
                                        ; implicit-def: $vgpr15_vgpr16
                                        ; implicit-def: $vgpr19_vgpr20
                                        ; implicit-def: $vgpr23_vgpr24
                                        ; implicit-def: $vgpr27_vgpr28
                                        ; implicit-def: $vgpr17_vgpr18
                                        ; implicit-def: $vgpr21_vgpr22
                                        ; implicit-def: $vgpr25_vgpr26
                                        ; implicit-def: $vgpr29_vgpr30
                                        ; implicit-def: $vgpr31_vgpr32
                                        ; implicit-def: $vgpr33_vgpr34
                                        ; implicit-def: $vgpr35_vgpr36
                                        ; implicit-def: $vgpr37_vgpr38
                                        ; implicit-def: $vgpr151
                                        ; implicit-def: $vgpr152
                                        ; implicit-def: $vgpr153
                                        ; implicit-def: $vgpr154
                                        ; implicit-def: $vgpr155
                                        ; implicit-def: $vgpr156
                                        ; implicit-def: $vgpr157
                                        ; implicit-def: $vgpr159
                                        ; implicit-def: $vgpr160
                                        ; implicit-def: $vgpr161
                                        ; implicit-def: $vgpr162
                                        ; implicit-def: $vgpr163
                                        ; implicit-def: $vgpr164
                                        ; implicit-def: $vgpr165
                                        ; implicit-def: $vgpr166
                                        ; implicit-def: $vgpr167
                                        ; implicit-def: $vgpr158
                                        ; implicit-def: $vgpr168
	v_add_co_u32 v131, vcc_lo, v117, v9
	v_add_co_ci_u32_e64 v132, null, 0, v118, vcc_lo
	v_add_co_u32 v148, vcc_lo, v119, v9
	v_or_b32_e32 v133, 32, v130
	v_or_b32_e32 v134, 64, v130
	v_or_b32_e32 v135, 0x60, v130
	v_or_b32_e32 v136, 0x80, v130
	v_or_b32_e32 v137, 0xa0, v130
	v_or_b32_e32 v138, 0xc0, v130
	v_or_b32_e32 v139, 0xe0, v130
	s_waitcnt lgkmcnt(0)
	s_cmp_lt_u32 s7, s21
	v_or_b32_e32 v140, 0x100, v130
	s_cselect_b32 s21, 14, 20
	v_or_b32_e32 v141, 0x120, v130
	s_add_u32 s22, s58, s21
	s_addc_u32 s23, s59, 0
	s_cmp_lt_u32 s6, s20
	global_load_ushort v3, v4, s[22:23]
	s_cselect_b32 s20, 12, 18
	v_or_b32_e32 v142, 0x140, v130
	s_add_u32 s20, s58, s20
	s_addc_u32 s21, s59, 0
	v_or_b32_e32 v143, 0x160, v130
	global_load_ushort v7, v4, s[20:21]
	v_cmp_eq_u32_e64 s20, 0, v8
	v_cmp_lt_u32_e64 s21, 1, v8
	v_cmp_lt_u32_e64 s22, 3, v8
	v_or_b32_e32 v144, 0x180, v130
	v_or_b32_e32 v145, 0x1a0, v130
	;; [unrolled: 1-line block ×4, first 2 shown]
	v_add_co_ci_u32_e64 v149, null, 0, v120, vcc_lo
                                        ; implicit-def: $vgpr9_vgpr10
	s_waitcnt vmcnt(1)
	v_mad_u32_u24 v3, v2, v3, v1
	s_waitcnt vmcnt(0)
	v_mad_u64_u32 v[7:8], null, v3, v7, v[0:1]
	v_lshrrev_b32_e32 v3, 3, v7
                                        ; implicit-def: $vgpr7_vgpr8
	v_and_b32_e32 v150, 0x1ffffffc, v3
	s_branch .LBB1251_988
.LBB1251_987:                           ;   in Loop: Header=BB1251_988 Depth=2
	s_or_b32 exec_lo, exec_lo, s23
	s_addk_i32 s65, 0xf000
	s_cmp_lt_u32 s66, s61
	s_mov_b32 s56, s66
	s_cbranch_scc0 .LBB1251_18
.LBB1251_988:                           ;   Parent Loop BB1251_20 Depth=1
                                        ; =>  This Inner Loop Header: Depth=2
	s_add_i32 s66, s56, 0x1000
	s_cmp_gt_u32 s66, s61
	s_cbranch_scc1 .LBB1251_990
; %bb.989:                              ;   in Loop: Header=BB1251_988 Depth=2
	s_lshl_b64 s[24:25], s[56:57], 3
	s_mov_b32 s23, -1
	v_add_co_u32 v45, vcc_lo, v148, s24
	v_add_co_ci_u32_e64 v46, null, s25, v149, vcc_lo
	v_add_co_u32 v47, vcc_lo, 0x800, v45
	v_add_co_ci_u32_e64 v48, null, 0, v46, vcc_lo
	s_clause 0xe
	global_load_dwordx2 v[39:40], v[45:46], off
	global_load_dwordx2 v[41:42], v[45:46], off offset:256
	global_load_dwordx2 v[43:44], v[45:46], off offset:512
	;; [unrolled: 1-line block ×7, first 2 shown]
	global_load_dwordx2 v[69:70], v[47:48], off
	global_load_dwordx2 v[65:66], v[47:48], off offset:256
	global_load_dwordx2 v[61:62], v[47:48], off offset:512
	;; [unrolled: 1-line block ×6, first 2 shown]
	s_movk_i32 s24, 0x1000
	s_cbranch_execz .LBB1251_991
	s_branch .LBB1251_1022
.LBB1251_990:                           ;   in Loop: Header=BB1251_988 Depth=2
	s_mov_b32 s23, 0
                                        ; implicit-def: $vgpr39_vgpr40
                                        ; implicit-def: $vgpr41_vgpr42
                                        ; implicit-def: $vgpr43_vgpr44
                                        ; implicit-def: $vgpr49_vgpr50
                                        ; implicit-def: $vgpr55_vgpr56
                                        ; implicit-def: $vgpr59_vgpr60
                                        ; implicit-def: $vgpr63_vgpr64
                                        ; implicit-def: $vgpr67_vgpr68
                                        ; implicit-def: $vgpr69_vgpr70
                                        ; implicit-def: $vgpr65_vgpr66
                                        ; implicit-def: $vgpr61_vgpr62
                                        ; implicit-def: $vgpr57_vgpr58
                                        ; implicit-def: $vgpr53_vgpr54
                                        ; implicit-def: $vgpr51_vgpr52
                                        ; implicit-def: $vgpr45_vgpr46
	s_movk_i32 s24, 0x1000
.LBB1251_991:                           ;   in Loop: Header=BB1251_988 Depth=2
	s_waitcnt vmcnt(13)
	v_mov_b32_e32 v41, v5
	v_mov_b32_e32 v42, v6
	s_lshl_b64 s[24:25], s[56:57], 3
	s_mov_b32 s23, exec_lo
	v_add_co_u32 v47, vcc_lo, v148, s24
	v_mov_b32_e32 v39, v41
	v_add_co_ci_u32_e64 v48, null, s25, v149, vcc_lo
	v_mov_b32_e32 v40, v42
	v_cmpx_gt_u32_e64 s65, v130
	s_cbranch_execz .LBB1251_993
; %bb.992:                              ;   in Loop: Header=BB1251_988 Depth=2
	global_load_dwordx2 v[39:40], v[47:48], off
.LBB1251_993:                           ;   in Loop: Header=BB1251_988 Depth=2
	s_or_b32 exec_lo, exec_lo, s23
	s_mov_b32 s23, exec_lo
	v_cmpx_gt_u32_e64 s65, v133
	s_cbranch_execz .LBB1251_995
; %bb.994:                              ;   in Loop: Header=BB1251_988 Depth=2
	global_load_dwordx2 v[41:42], v[47:48], off offset:256
.LBB1251_995:                           ;   in Loop: Header=BB1251_988 Depth=2
	s_or_b32 exec_lo, exec_lo, s23
	s_waitcnt vmcnt(12)
	v_mov_b32_e32 v44, v6
	v_mov_b32_e32 v43, v5
	s_mov_b32 s23, exec_lo
	v_cmpx_gt_u32_e64 s65, v134
	s_cbranch_execz .LBB1251_997
; %bb.996:                              ;   in Loop: Header=BB1251_988 Depth=2
	global_load_dwordx2 v[43:44], v[47:48], off offset:512
.LBB1251_997:                           ;   in Loop: Header=BB1251_988 Depth=2
	s_or_b32 exec_lo, exec_lo, s23
	s_waitcnt vmcnt(11)
	v_mov_b32_e32 v50, v6
	v_mov_b32_e32 v49, v5
	;; [unrolled: 10-line block ×3, first 2 shown]
	s_mov_b32 s23, exec_lo
	v_cmpx_gt_u32_e64 s65, v136
	s_cbranch_execz .LBB1251_1001
; %bb.1000:                             ;   in Loop: Header=BB1251_988 Depth=2
	global_load_dwordx2 v[55:56], v[47:48], off offset:1024
.LBB1251_1001:                          ;   in Loop: Header=BB1251_988 Depth=2
	s_or_b32 exec_lo, exec_lo, s23
	s_waitcnt vmcnt(9)
	v_mov_b32_e32 v60, v6
	v_mov_b32_e32 v59, v5
	s_mov_b32 s23, exec_lo
	v_cmpx_gt_u32_e64 s65, v137
	s_cbranch_execz .LBB1251_1003
; %bb.1002:                             ;   in Loop: Header=BB1251_988 Depth=2
	global_load_dwordx2 v[59:60], v[47:48], off offset:1280
.LBB1251_1003:                          ;   in Loop: Header=BB1251_988 Depth=2
	s_or_b32 exec_lo, exec_lo, s23
	s_waitcnt vmcnt(8)
	v_mov_b32_e32 v64, v6
	v_mov_b32_e32 v63, v5
	;; [unrolled: 10-line block ×4, first 2 shown]
	s_mov_b32 s23, exec_lo
	v_cmpx_gt_u32_e64 s65, v140
	s_cbranch_execz .LBB1251_1009
; %bb.1008:                             ;   in Loop: Header=BB1251_988 Depth=2
	s_waitcnt vmcnt(0)
	v_add_co_u32 v45, vcc_lo, 0x800, v47
	v_add_co_ci_u32_e64 v46, null, 0, v48, vcc_lo
	global_load_dwordx2 v[69:70], v[45:46], off
.LBB1251_1009:                          ;   in Loop: Header=BB1251_988 Depth=2
	s_or_b32 exec_lo, exec_lo, s23
	s_waitcnt vmcnt(5)
	v_mov_b32_e32 v66, v6
	v_mov_b32_e32 v65, v5
	s_mov_b32 s23, exec_lo
	v_cmpx_gt_u32_e64 s65, v141
	s_cbranch_execz .LBB1251_1011
; %bb.1010:                             ;   in Loop: Header=BB1251_988 Depth=2
	s_waitcnt vmcnt(0)
	v_add_co_u32 v45, vcc_lo, 0x800, v47
	v_add_co_ci_u32_e64 v46, null, 0, v48, vcc_lo
	global_load_dwordx2 v[65:66], v[45:46], off offset:256
.LBB1251_1011:                          ;   in Loop: Header=BB1251_988 Depth=2
	s_or_b32 exec_lo, exec_lo, s23
	s_waitcnt vmcnt(4)
	v_mov_b32_e32 v62, v6
	v_mov_b32_e32 v61, v5
	s_mov_b32 s23, exec_lo
	v_cmpx_gt_u32_e64 s65, v142
	s_cbranch_execz .LBB1251_1013
; %bb.1012:                             ;   in Loop: Header=BB1251_988 Depth=2
	s_waitcnt vmcnt(0)
	v_add_co_u32 v45, vcc_lo, 0x800, v47
	v_add_co_ci_u32_e64 v46, null, 0, v48, vcc_lo
	global_load_dwordx2 v[61:62], v[45:46], off offset:512
.LBB1251_1013:                          ;   in Loop: Header=BB1251_988 Depth=2
	;; [unrolled: 13-line block ×5, first 2 shown]
	s_or_b32 exec_lo, exec_lo, s23
	s_waitcnt vmcnt(0)
	v_mov_b32_e32 v46, v6
	v_mov_b32_e32 v45, v5
	s_mov_b32 s23, exec_lo
	v_cmpx_gt_u32_e64 s65, v146
	s_cbranch_execz .LBB1251_1021
; %bb.1020:                             ;   in Loop: Header=BB1251_988 Depth=2
	v_add_co_u32 v45, vcc_lo, 0x800, v47
	v_add_co_ci_u32_e64 v46, null, 0, v48, vcc_lo
	global_load_dwordx2 v[45:46], v[45:46], off offset:1536
.LBB1251_1021:                          ;   in Loop: Header=BB1251_988 Depth=2
	s_or_b32 exec_lo, exec_lo, s23
	v_cmp_gt_u32_e64 s23, s65, v147
	s_sub_i32 s24, s61, s56
.LBB1251_1022:                          ;   in Loop: Header=BB1251_988 Depth=2
	v_mov_b32_e32 v48, v6
	v_mov_b32_e32 v169, s65
	;; [unrolled: 1-line block ×3, first 2 shown]
	s_and_saveexec_b32 s25, s23
	s_cbranch_execz .LBB1251_1024
; %bb.1023:                             ;   in Loop: Header=BB1251_988 Depth=2
	s_lshl_b64 s[26:27], s[56:57], 3
	v_mov_b32_e32 v169, s24
	v_add_co_u32 v3, vcc_lo, v148, s26
	v_add_co_ci_u32_e64 v48, null, s27, v149, vcc_lo
	v_add_co_u32 v47, vcc_lo, 0x800, v3
	v_add_co_ci_u32_e64 v48, null, 0, v48, vcc_lo
	global_load_dwordx2 v[47:48], v[47:48], off offset:1792
.LBB1251_1024:                          ;   in Loop: Header=BB1251_988 Depth=2
	s_or_b32 exec_lo, exec_lo, s25
	s_waitcnt vmcnt(14)
	v_cmp_lt_i64_e32 vcc_lo, -1, v[39:40]
	v_ashrrev_i32_e32 v71, 31, v40
	ds_write2_b32 v100, v4, v4 offset0:136 offset1:137
	ds_write2_b32 v100, v4, v4 offset0:138 offset1:139
	ds_write_b32 v100, v4 offset:560
	s_waitcnt vmcnt(0) lgkmcnt(0)
	s_barrier
	v_cndmask_b32_e64 v3, -1, 0x80000000, vcc_lo
	v_xor_b32_e32 v39, v71, v39
	buffer_gl0_inv
	; wave barrier
	v_xor_b32_e32 v40, v3, v40
	v_cmp_ne_u64_e32 vcc_lo, s[46:47], v[39:40]
	v_cndmask_b32_e32 v72, 0x80000000, v40, vcc_lo
	v_cndmask_b32_e32 v71, 0, v39, vcc_lo
	v_lshrrev_b64 v[71:72], s52, v[71:72]
	v_and_b32_e32 v72, s64, v71
	v_and_b32_e32 v3, 1, v72
	v_lshlrev_b32_e32 v71, 30, v72
	v_lshlrev_b32_e32 v73, 29, v72
	;; [unrolled: 1-line block ×4, first 2 shown]
	v_add_co_u32 v3, s23, v3, -1
	v_cndmask_b32_e64 v74, 0, 1, s23
	v_not_b32_e32 v173, v71
	v_cmp_gt_i32_e64 s23, 0, v71
	v_not_b32_e32 v71, v73
	v_lshlrev_b32_e32 v172, 26, v72
	v_cmp_ne_u32_e32 vcc_lo, 0, v74
	v_ashrrev_i32_e32 v173, 31, v173
	v_lshlrev_b32_e32 v74, 25, v72
	v_ashrrev_i32_e32 v71, 31, v71
	v_mul_u32_u24_e32 v72, 36, v72
	v_xor_b32_e32 v3, vcc_lo, v3
	v_cmp_gt_i32_e32 vcc_lo, 0, v73
	v_not_b32_e32 v73, v170
	v_xor_b32_e32 v173, s23, v173
	v_cmp_gt_i32_e64 s23, 0, v170
	v_and_b32_e32 v3, exec_lo, v3
	v_not_b32_e32 v170, v171
	v_ashrrev_i32_e32 v73, 31, v73
	v_xor_b32_e32 v71, vcc_lo, v71
	v_cmp_gt_i32_e32 vcc_lo, 0, v171
	v_and_b32_e32 v3, v3, v173
	v_not_b32_e32 v171, v172
	v_ashrrev_i32_e32 v170, 31, v170
	v_xor_b32_e32 v73, s23, v73
	v_cmp_gt_i32_e64 s23, 0, v172
	v_and_b32_e32 v3, v3, v71
	v_not_b32_e32 v71, v74
	v_ashrrev_i32_e32 v171, 31, v171
	v_xor_b32_e32 v170, vcc_lo, v170
	v_cmp_gt_i32_e32 vcc_lo, 0, v74
	v_and_b32_e32 v3, v3, v73
	v_ashrrev_i32_e32 v71, 31, v71
	v_xor_b32_e32 v73, s23, v171
	v_and_b32_e32 v3, v3, v170
	v_xor_b32_e32 v71, vcc_lo, v71
	v_add_nc_u32_e32 v170, v150, v72
	v_and_b32_e32 v3, v3, v73
	v_and_b32_e32 v71, v3, v71
	v_mbcnt_lo_u32_b32 v3, v71, 0
	v_cmp_ne_u32_e64 s23, 0, v71
	v_cmp_eq_u32_e32 vcc_lo, 0, v3
	s_and_b32 s24, s23, vcc_lo
	s_and_saveexec_b32 s23, s24
; %bb.1025:                             ;   in Loop: Header=BB1251_988 Depth=2
	v_bcnt_u32_b32 v71, v71, 0
	ds_write_b32 v170, v71 offset:544
; %bb.1026:                             ;   in Loop: Header=BB1251_988 Depth=2
	s_or_b32 exec_lo, exec_lo, s23
	v_cmp_lt_i64_e32 vcc_lo, -1, v[41:42]
	v_ashrrev_i32_e32 v72, 31, v42
	; wave barrier
	v_xor_b32_e32 v41, v72, v41
	v_cndmask_b32_e64 v71, -1, 0x80000000, vcc_lo
	v_xor_b32_e32 v42, v71, v42
	v_cmp_ne_u64_e32 vcc_lo, s[46:47], v[41:42]
	v_cndmask_b32_e32 v72, 0x80000000, v42, vcc_lo
	v_cndmask_b32_e32 v71, 0, v41, vcc_lo
	v_lshrrev_b64 v[71:72], s52, v[71:72]
	v_and_b32_e32 v72, s64, v71
	v_and_b32_e32 v71, 1, v72
	v_lshlrev_b32_e32 v73, 30, v72
	v_lshlrev_b32_e32 v74, 29, v72
	;; [unrolled: 1-line block ×4, first 2 shown]
	v_add_co_u32 v71, s23, v71, -1
	v_cndmask_b32_e64 v171, 0, 1, s23
	v_not_b32_e32 v175, v73
	v_cmp_gt_i32_e64 s23, 0, v73
	v_not_b32_e32 v73, v74
	v_lshlrev_b32_e32 v174, 26, v72
	v_cmp_ne_u32_e32 vcc_lo, 0, v171
	v_ashrrev_i32_e32 v175, 31, v175
	v_lshlrev_b32_e32 v171, 25, v72
	v_ashrrev_i32_e32 v73, 31, v73
	v_xor_b32_e32 v71, vcc_lo, v71
	v_cmp_gt_i32_e32 vcc_lo, 0, v74
	v_not_b32_e32 v74, v172
	v_xor_b32_e32 v175, s23, v175
	v_cmp_gt_i32_e64 s23, 0, v172
	v_and_b32_e32 v71, exec_lo, v71
	v_not_b32_e32 v172, v173
	v_ashrrev_i32_e32 v74, 31, v74
	v_xor_b32_e32 v73, vcc_lo, v73
	v_cmp_gt_i32_e32 vcc_lo, 0, v173
	v_and_b32_e32 v71, v71, v175
	v_not_b32_e32 v173, v174
	v_ashrrev_i32_e32 v172, 31, v172
	v_xor_b32_e32 v74, s23, v74
	v_cmp_gt_i32_e64 s23, 0, v174
	v_and_b32_e32 v71, v71, v73
	v_not_b32_e32 v73, v171
	v_ashrrev_i32_e32 v173, 31, v173
	v_xor_b32_e32 v172, vcc_lo, v172
	v_cmp_gt_i32_e32 vcc_lo, 0, v171
	v_and_b32_e32 v71, v71, v74
	v_ashrrev_i32_e32 v73, 31, v73
	v_xor_b32_e32 v74, s23, v173
	v_mad_u32_u24 v171, v72, 36, v150
	v_mul_u32_u24_e32 v72, 36, v72
	v_and_b32_e32 v71, v71, v172
	v_xor_b32_e32 v73, vcc_lo, v73
	ds_read_b32 v171, v171 offset:544
	v_add_nc_u32_e32 v173, v150, v72
	v_and_b32_e32 v71, v71, v74
	; wave barrier
	v_and_b32_e32 v71, v71, v73
	v_mbcnt_lo_u32_b32 v172, v71, 0
	v_cmp_ne_u32_e64 s23, 0, v71
	v_cmp_eq_u32_e32 vcc_lo, 0, v172
	s_and_b32 s24, s23, vcc_lo
	s_and_saveexec_b32 s23, s24
	s_cbranch_execz .LBB1251_1028
; %bb.1027:                             ;   in Loop: Header=BB1251_988 Depth=2
	s_waitcnt lgkmcnt(0)
	v_bcnt_u32_b32 v71, v71, v171
	ds_write_b32 v173, v71 offset:544
.LBB1251_1028:                          ;   in Loop: Header=BB1251_988 Depth=2
	s_or_b32 exec_lo, exec_lo, s23
	v_cmp_lt_i64_e32 vcc_lo, -1, v[43:44]
	v_ashrrev_i32_e32 v72, 31, v44
	; wave barrier
	v_xor_b32_e32 v43, v72, v43
	v_cndmask_b32_e64 v71, -1, 0x80000000, vcc_lo
	v_xor_b32_e32 v44, v71, v44
	v_cmp_ne_u64_e32 vcc_lo, s[46:47], v[43:44]
	v_cndmask_b32_e32 v72, 0x80000000, v44, vcc_lo
	v_cndmask_b32_e32 v71, 0, v43, vcc_lo
	v_lshrrev_b64 v[71:72], s52, v[71:72]
	v_and_b32_e32 v72, s64, v71
	v_and_b32_e32 v71, 1, v72
	v_lshlrev_b32_e32 v73, 30, v72
	v_lshlrev_b32_e32 v74, 29, v72
	;; [unrolled: 1-line block ×4, first 2 shown]
	v_add_co_u32 v71, s23, v71, -1
	v_cndmask_b32_e64 v174, 0, 1, s23
	v_not_b32_e32 v178, v73
	v_cmp_gt_i32_e64 s23, 0, v73
	v_not_b32_e32 v73, v74
	v_lshlrev_b32_e32 v177, 26, v72
	v_cmp_ne_u32_e32 vcc_lo, 0, v174
	v_ashrrev_i32_e32 v178, 31, v178
	v_lshlrev_b32_e32 v174, 25, v72
	v_ashrrev_i32_e32 v73, 31, v73
	v_xor_b32_e32 v71, vcc_lo, v71
	v_cmp_gt_i32_e32 vcc_lo, 0, v74
	v_not_b32_e32 v74, v175
	v_xor_b32_e32 v178, s23, v178
	v_cmp_gt_i32_e64 s23, 0, v175
	v_and_b32_e32 v71, exec_lo, v71
	v_not_b32_e32 v175, v176
	v_ashrrev_i32_e32 v74, 31, v74
	v_xor_b32_e32 v73, vcc_lo, v73
	v_cmp_gt_i32_e32 vcc_lo, 0, v176
	v_and_b32_e32 v71, v71, v178
	v_not_b32_e32 v176, v177
	v_ashrrev_i32_e32 v175, 31, v175
	v_xor_b32_e32 v74, s23, v74
	v_cmp_gt_i32_e64 s23, 0, v177
	v_and_b32_e32 v71, v71, v73
	v_not_b32_e32 v73, v174
	v_ashrrev_i32_e32 v176, 31, v176
	v_xor_b32_e32 v175, vcc_lo, v175
	v_cmp_gt_i32_e32 vcc_lo, 0, v174
	v_and_b32_e32 v71, v71, v74
	v_ashrrev_i32_e32 v73, 31, v73
	v_xor_b32_e32 v74, s23, v176
	v_mad_u32_u24 v174, v72, 36, v150
	v_mul_u32_u24_e32 v72, 36, v72
	v_and_b32_e32 v71, v71, v175
	v_xor_b32_e32 v73, vcc_lo, v73
	ds_read_b32 v174, v174 offset:544
	v_add_nc_u32_e32 v176, v150, v72
	v_and_b32_e32 v71, v71, v74
	; wave barrier
	v_and_b32_e32 v71, v71, v73
	v_mbcnt_lo_u32_b32 v175, v71, 0
	v_cmp_ne_u32_e64 s23, 0, v71
	v_cmp_eq_u32_e32 vcc_lo, 0, v175
	s_and_b32 s24, s23, vcc_lo
	s_and_saveexec_b32 s23, s24
	s_cbranch_execz .LBB1251_1030
; %bb.1029:                             ;   in Loop: Header=BB1251_988 Depth=2
	s_waitcnt lgkmcnt(0)
	v_bcnt_u32_b32 v71, v71, v174
	ds_write_b32 v176, v71 offset:544
.LBB1251_1030:                          ;   in Loop: Header=BB1251_988 Depth=2
	s_or_b32 exec_lo, exec_lo, s23
	v_cmp_lt_i64_e32 vcc_lo, -1, v[49:50]
	v_ashrrev_i32_e32 v72, 31, v50
	; wave barrier
	v_xor_b32_e32 v49, v72, v49
	v_cndmask_b32_e64 v71, -1, 0x80000000, vcc_lo
	v_xor_b32_e32 v50, v71, v50
	v_cmp_ne_u64_e32 vcc_lo, s[46:47], v[49:50]
	v_cndmask_b32_e32 v72, 0x80000000, v50, vcc_lo
	v_cndmask_b32_e32 v71, 0, v49, vcc_lo
	v_lshrrev_b64 v[71:72], s52, v[71:72]
	v_and_b32_e32 v72, s64, v71
	v_and_b32_e32 v71, 1, v72
	v_lshlrev_b32_e32 v73, 30, v72
	v_lshlrev_b32_e32 v74, 29, v72
	;; [unrolled: 1-line block ×4, first 2 shown]
	v_add_co_u32 v71, s23, v71, -1
	v_cndmask_b32_e64 v177, 0, 1, s23
	v_not_b32_e32 v181, v73
	v_cmp_gt_i32_e64 s23, 0, v73
	v_not_b32_e32 v73, v74
	v_lshlrev_b32_e32 v180, 26, v72
	v_cmp_ne_u32_e32 vcc_lo, 0, v177
	v_ashrrev_i32_e32 v181, 31, v181
	v_lshlrev_b32_e32 v177, 25, v72
	v_ashrrev_i32_e32 v73, 31, v73
	v_xor_b32_e32 v71, vcc_lo, v71
	v_cmp_gt_i32_e32 vcc_lo, 0, v74
	v_not_b32_e32 v74, v178
	v_xor_b32_e32 v181, s23, v181
	v_cmp_gt_i32_e64 s23, 0, v178
	v_and_b32_e32 v71, exec_lo, v71
	v_not_b32_e32 v178, v179
	v_ashrrev_i32_e32 v74, 31, v74
	v_xor_b32_e32 v73, vcc_lo, v73
	v_cmp_gt_i32_e32 vcc_lo, 0, v179
	v_and_b32_e32 v71, v71, v181
	v_not_b32_e32 v179, v180
	v_ashrrev_i32_e32 v178, 31, v178
	v_xor_b32_e32 v74, s23, v74
	v_cmp_gt_i32_e64 s23, 0, v180
	v_and_b32_e32 v71, v71, v73
	v_not_b32_e32 v73, v177
	v_ashrrev_i32_e32 v179, 31, v179
	v_xor_b32_e32 v178, vcc_lo, v178
	v_cmp_gt_i32_e32 vcc_lo, 0, v177
	v_and_b32_e32 v71, v71, v74
	v_ashrrev_i32_e32 v73, 31, v73
	v_xor_b32_e32 v74, s23, v179
	v_mad_u32_u24 v177, v72, 36, v150
	v_mul_u32_u24_e32 v72, 36, v72
	v_and_b32_e32 v71, v71, v178
	v_xor_b32_e32 v73, vcc_lo, v73
	ds_read_b32 v177, v177 offset:544
	v_add_nc_u32_e32 v179, v150, v72
	v_and_b32_e32 v71, v71, v74
	; wave barrier
	v_and_b32_e32 v71, v71, v73
	v_mbcnt_lo_u32_b32 v178, v71, 0
	v_cmp_ne_u32_e64 s23, 0, v71
	v_cmp_eq_u32_e32 vcc_lo, 0, v178
	s_and_b32 s24, s23, vcc_lo
	s_and_saveexec_b32 s23, s24
	s_cbranch_execz .LBB1251_1032
; %bb.1031:                             ;   in Loop: Header=BB1251_988 Depth=2
	s_waitcnt lgkmcnt(0)
	v_bcnt_u32_b32 v71, v71, v177
	ds_write_b32 v179, v71 offset:544
.LBB1251_1032:                          ;   in Loop: Header=BB1251_988 Depth=2
	s_or_b32 exec_lo, exec_lo, s23
	v_cmp_lt_i64_e32 vcc_lo, -1, v[55:56]
	v_ashrrev_i32_e32 v72, 31, v56
	; wave barrier
	v_xor_b32_e32 v55, v72, v55
	v_cndmask_b32_e64 v71, -1, 0x80000000, vcc_lo
	v_xor_b32_e32 v56, v71, v56
	v_cmp_ne_u64_e32 vcc_lo, s[46:47], v[55:56]
	v_cndmask_b32_e32 v72, 0x80000000, v56, vcc_lo
	v_cndmask_b32_e32 v71, 0, v55, vcc_lo
	v_lshrrev_b64 v[71:72], s52, v[71:72]
	v_and_b32_e32 v72, s64, v71
	v_and_b32_e32 v71, 1, v72
	v_lshlrev_b32_e32 v73, 30, v72
	v_lshlrev_b32_e32 v74, 29, v72
	;; [unrolled: 1-line block ×4, first 2 shown]
	v_add_co_u32 v71, s23, v71, -1
	v_cndmask_b32_e64 v180, 0, 1, s23
	v_not_b32_e32 v184, v73
	v_cmp_gt_i32_e64 s23, 0, v73
	v_not_b32_e32 v73, v74
	v_lshlrev_b32_e32 v183, 26, v72
	v_cmp_ne_u32_e32 vcc_lo, 0, v180
	v_ashrrev_i32_e32 v184, 31, v184
	v_lshlrev_b32_e32 v180, 25, v72
	v_ashrrev_i32_e32 v73, 31, v73
	v_xor_b32_e32 v71, vcc_lo, v71
	v_cmp_gt_i32_e32 vcc_lo, 0, v74
	v_not_b32_e32 v74, v181
	v_xor_b32_e32 v184, s23, v184
	v_cmp_gt_i32_e64 s23, 0, v181
	v_and_b32_e32 v71, exec_lo, v71
	v_not_b32_e32 v181, v182
	v_ashrrev_i32_e32 v74, 31, v74
	v_xor_b32_e32 v73, vcc_lo, v73
	v_cmp_gt_i32_e32 vcc_lo, 0, v182
	v_and_b32_e32 v71, v71, v184
	v_not_b32_e32 v182, v183
	v_ashrrev_i32_e32 v181, 31, v181
	v_xor_b32_e32 v74, s23, v74
	v_cmp_gt_i32_e64 s23, 0, v183
	v_and_b32_e32 v71, v71, v73
	v_not_b32_e32 v73, v180
	v_ashrrev_i32_e32 v182, 31, v182
	v_xor_b32_e32 v181, vcc_lo, v181
	v_cmp_gt_i32_e32 vcc_lo, 0, v180
	v_and_b32_e32 v71, v71, v74
	v_ashrrev_i32_e32 v73, 31, v73
	v_xor_b32_e32 v74, s23, v182
	v_mad_u32_u24 v180, v72, 36, v150
	v_mul_u32_u24_e32 v72, 36, v72
	v_and_b32_e32 v71, v71, v181
	v_xor_b32_e32 v73, vcc_lo, v73
	ds_read_b32 v180, v180 offset:544
	v_add_nc_u32_e32 v182, v150, v72
	v_and_b32_e32 v71, v71, v74
	; wave barrier
	v_and_b32_e32 v71, v71, v73
	v_mbcnt_lo_u32_b32 v181, v71, 0
	v_cmp_ne_u32_e64 s23, 0, v71
	v_cmp_eq_u32_e32 vcc_lo, 0, v181
	s_and_b32 s24, s23, vcc_lo
	s_and_saveexec_b32 s23, s24
	s_cbranch_execz .LBB1251_1034
; %bb.1033:                             ;   in Loop: Header=BB1251_988 Depth=2
	s_waitcnt lgkmcnt(0)
	v_bcnt_u32_b32 v71, v71, v180
	ds_write_b32 v182, v71 offset:544
.LBB1251_1034:                          ;   in Loop: Header=BB1251_988 Depth=2
	s_or_b32 exec_lo, exec_lo, s23
	v_cmp_lt_i64_e32 vcc_lo, -1, v[59:60]
	v_ashrrev_i32_e32 v72, 31, v60
	; wave barrier
	v_xor_b32_e32 v59, v72, v59
	v_cndmask_b32_e64 v71, -1, 0x80000000, vcc_lo
	v_xor_b32_e32 v60, v71, v60
	v_cmp_ne_u64_e32 vcc_lo, s[46:47], v[59:60]
	v_cndmask_b32_e32 v72, 0x80000000, v60, vcc_lo
	v_cndmask_b32_e32 v71, 0, v59, vcc_lo
	v_lshrrev_b64 v[71:72], s52, v[71:72]
	v_and_b32_e32 v72, s64, v71
	v_and_b32_e32 v71, 1, v72
	v_lshlrev_b32_e32 v73, 30, v72
	v_lshlrev_b32_e32 v74, 29, v72
	;; [unrolled: 1-line block ×4, first 2 shown]
	v_add_co_u32 v71, s23, v71, -1
	v_cndmask_b32_e64 v183, 0, 1, s23
	v_not_b32_e32 v187, v73
	v_cmp_gt_i32_e64 s23, 0, v73
	v_not_b32_e32 v73, v74
	v_lshlrev_b32_e32 v186, 26, v72
	v_cmp_ne_u32_e32 vcc_lo, 0, v183
	v_ashrrev_i32_e32 v187, 31, v187
	v_lshlrev_b32_e32 v183, 25, v72
	v_ashrrev_i32_e32 v73, 31, v73
	v_xor_b32_e32 v71, vcc_lo, v71
	v_cmp_gt_i32_e32 vcc_lo, 0, v74
	v_not_b32_e32 v74, v184
	v_xor_b32_e32 v187, s23, v187
	v_cmp_gt_i32_e64 s23, 0, v184
	v_and_b32_e32 v71, exec_lo, v71
	v_not_b32_e32 v184, v185
	v_ashrrev_i32_e32 v74, 31, v74
	v_xor_b32_e32 v73, vcc_lo, v73
	v_cmp_gt_i32_e32 vcc_lo, 0, v185
	v_and_b32_e32 v71, v71, v187
	v_not_b32_e32 v185, v186
	v_ashrrev_i32_e32 v184, 31, v184
	v_xor_b32_e32 v74, s23, v74
	v_cmp_gt_i32_e64 s23, 0, v186
	v_and_b32_e32 v71, v71, v73
	v_not_b32_e32 v73, v183
	v_ashrrev_i32_e32 v185, 31, v185
	v_xor_b32_e32 v184, vcc_lo, v184
	v_cmp_gt_i32_e32 vcc_lo, 0, v183
	v_and_b32_e32 v71, v71, v74
	v_ashrrev_i32_e32 v73, 31, v73
	v_xor_b32_e32 v74, s23, v185
	v_mad_u32_u24 v183, v72, 36, v150
	v_mul_u32_u24_e32 v72, 36, v72
	v_and_b32_e32 v71, v71, v184
	v_xor_b32_e32 v73, vcc_lo, v73
	ds_read_b32 v183, v183 offset:544
	v_add_nc_u32_e32 v185, v150, v72
	v_and_b32_e32 v71, v71, v74
	; wave barrier
	v_and_b32_e32 v71, v71, v73
	v_mbcnt_lo_u32_b32 v184, v71, 0
	v_cmp_ne_u32_e64 s23, 0, v71
	v_cmp_eq_u32_e32 vcc_lo, 0, v184
	s_and_b32 s24, s23, vcc_lo
	s_and_saveexec_b32 s23, s24
	s_cbranch_execz .LBB1251_1036
; %bb.1035:                             ;   in Loop: Header=BB1251_988 Depth=2
	s_waitcnt lgkmcnt(0)
	v_bcnt_u32_b32 v71, v71, v183
	ds_write_b32 v185, v71 offset:544
.LBB1251_1036:                          ;   in Loop: Header=BB1251_988 Depth=2
	s_or_b32 exec_lo, exec_lo, s23
	v_cmp_lt_i64_e32 vcc_lo, -1, v[63:64]
	v_ashrrev_i32_e32 v72, 31, v64
	; wave barrier
	v_xor_b32_e32 v63, v72, v63
	v_cndmask_b32_e64 v71, -1, 0x80000000, vcc_lo
	v_xor_b32_e32 v64, v71, v64
	v_cmp_ne_u64_e32 vcc_lo, s[46:47], v[63:64]
	v_cndmask_b32_e32 v72, 0x80000000, v64, vcc_lo
	v_cndmask_b32_e32 v71, 0, v63, vcc_lo
	v_lshrrev_b64 v[71:72], s52, v[71:72]
	v_and_b32_e32 v72, s64, v71
	v_and_b32_e32 v71, 1, v72
	v_lshlrev_b32_e32 v73, 30, v72
	v_lshlrev_b32_e32 v74, 29, v72
	;; [unrolled: 1-line block ×4, first 2 shown]
	v_add_co_u32 v71, s23, v71, -1
	v_cndmask_b32_e64 v186, 0, 1, s23
	v_not_b32_e32 v190, v73
	v_cmp_gt_i32_e64 s23, 0, v73
	v_not_b32_e32 v73, v74
	v_lshlrev_b32_e32 v189, 26, v72
	v_cmp_ne_u32_e32 vcc_lo, 0, v186
	v_ashrrev_i32_e32 v190, 31, v190
	v_lshlrev_b32_e32 v186, 25, v72
	v_ashrrev_i32_e32 v73, 31, v73
	v_xor_b32_e32 v71, vcc_lo, v71
	v_cmp_gt_i32_e32 vcc_lo, 0, v74
	v_not_b32_e32 v74, v187
	v_xor_b32_e32 v190, s23, v190
	v_cmp_gt_i32_e64 s23, 0, v187
	v_and_b32_e32 v71, exec_lo, v71
	v_not_b32_e32 v187, v188
	v_ashrrev_i32_e32 v74, 31, v74
	v_xor_b32_e32 v73, vcc_lo, v73
	v_cmp_gt_i32_e32 vcc_lo, 0, v188
	v_and_b32_e32 v71, v71, v190
	v_not_b32_e32 v188, v189
	v_ashrrev_i32_e32 v187, 31, v187
	v_xor_b32_e32 v74, s23, v74
	v_cmp_gt_i32_e64 s23, 0, v189
	v_and_b32_e32 v71, v71, v73
	v_not_b32_e32 v73, v186
	v_ashrrev_i32_e32 v188, 31, v188
	v_xor_b32_e32 v187, vcc_lo, v187
	v_cmp_gt_i32_e32 vcc_lo, 0, v186
	v_and_b32_e32 v71, v71, v74
	v_ashrrev_i32_e32 v73, 31, v73
	v_xor_b32_e32 v74, s23, v188
	v_mad_u32_u24 v186, v72, 36, v150
	v_mul_u32_u24_e32 v72, 36, v72
	v_and_b32_e32 v71, v71, v187
	v_xor_b32_e32 v73, vcc_lo, v73
	ds_read_b32 v186, v186 offset:544
	v_add_nc_u32_e32 v188, v150, v72
	v_and_b32_e32 v71, v71, v74
	; wave barrier
	v_and_b32_e32 v71, v71, v73
	v_mbcnt_lo_u32_b32 v187, v71, 0
	v_cmp_ne_u32_e64 s23, 0, v71
	v_cmp_eq_u32_e32 vcc_lo, 0, v187
	s_and_b32 s24, s23, vcc_lo
	s_and_saveexec_b32 s23, s24
	s_cbranch_execz .LBB1251_1038
; %bb.1037:                             ;   in Loop: Header=BB1251_988 Depth=2
	s_waitcnt lgkmcnt(0)
	v_bcnt_u32_b32 v71, v71, v186
	ds_write_b32 v188, v71 offset:544
.LBB1251_1038:                          ;   in Loop: Header=BB1251_988 Depth=2
	s_or_b32 exec_lo, exec_lo, s23
	v_cmp_lt_i64_e32 vcc_lo, -1, v[67:68]
	v_ashrrev_i32_e32 v72, 31, v68
	; wave barrier
	v_xor_b32_e32 v67, v72, v67
	v_cndmask_b32_e64 v71, -1, 0x80000000, vcc_lo
	v_xor_b32_e32 v68, v71, v68
	v_cmp_ne_u64_e32 vcc_lo, s[46:47], v[67:68]
	v_cndmask_b32_e32 v72, 0x80000000, v68, vcc_lo
	v_cndmask_b32_e32 v71, 0, v67, vcc_lo
	v_lshrrev_b64 v[71:72], s52, v[71:72]
	v_and_b32_e32 v72, s64, v71
	v_and_b32_e32 v71, 1, v72
	v_lshlrev_b32_e32 v73, 30, v72
	v_lshlrev_b32_e32 v74, 29, v72
	;; [unrolled: 1-line block ×4, first 2 shown]
	v_add_co_u32 v71, s23, v71, -1
	v_cndmask_b32_e64 v189, 0, 1, s23
	v_not_b32_e32 v193, v73
	v_cmp_gt_i32_e64 s23, 0, v73
	v_not_b32_e32 v73, v74
	v_lshlrev_b32_e32 v192, 26, v72
	v_cmp_ne_u32_e32 vcc_lo, 0, v189
	v_ashrrev_i32_e32 v193, 31, v193
	v_lshlrev_b32_e32 v189, 25, v72
	v_ashrrev_i32_e32 v73, 31, v73
	v_xor_b32_e32 v71, vcc_lo, v71
	v_cmp_gt_i32_e32 vcc_lo, 0, v74
	v_not_b32_e32 v74, v190
	v_xor_b32_e32 v193, s23, v193
	v_cmp_gt_i32_e64 s23, 0, v190
	v_and_b32_e32 v71, exec_lo, v71
	v_not_b32_e32 v190, v191
	v_ashrrev_i32_e32 v74, 31, v74
	v_xor_b32_e32 v73, vcc_lo, v73
	v_cmp_gt_i32_e32 vcc_lo, 0, v191
	v_and_b32_e32 v71, v71, v193
	v_not_b32_e32 v191, v192
	v_ashrrev_i32_e32 v190, 31, v190
	v_xor_b32_e32 v74, s23, v74
	v_cmp_gt_i32_e64 s23, 0, v192
	v_and_b32_e32 v71, v71, v73
	v_not_b32_e32 v73, v189
	v_ashrrev_i32_e32 v191, 31, v191
	v_xor_b32_e32 v190, vcc_lo, v190
	v_cmp_gt_i32_e32 vcc_lo, 0, v189
	v_and_b32_e32 v71, v71, v74
	v_ashrrev_i32_e32 v73, 31, v73
	v_xor_b32_e32 v74, s23, v191
	v_mad_u32_u24 v189, v72, 36, v150
	v_mul_u32_u24_e32 v72, 36, v72
	v_and_b32_e32 v71, v71, v190
	v_xor_b32_e32 v73, vcc_lo, v73
	ds_read_b32 v189, v189 offset:544
	v_add_nc_u32_e32 v191, v150, v72
	v_and_b32_e32 v71, v71, v74
	; wave barrier
	v_and_b32_e32 v71, v71, v73
	v_mbcnt_lo_u32_b32 v190, v71, 0
	v_cmp_ne_u32_e64 s23, 0, v71
	v_cmp_eq_u32_e32 vcc_lo, 0, v190
	s_and_b32 s24, s23, vcc_lo
	s_and_saveexec_b32 s23, s24
	s_cbranch_execz .LBB1251_1040
; %bb.1039:                             ;   in Loop: Header=BB1251_988 Depth=2
	s_waitcnt lgkmcnt(0)
	v_bcnt_u32_b32 v71, v71, v189
	ds_write_b32 v191, v71 offset:544
.LBB1251_1040:                          ;   in Loop: Header=BB1251_988 Depth=2
	s_or_b32 exec_lo, exec_lo, s23
	v_cmp_lt_i64_e32 vcc_lo, -1, v[69:70]
	v_ashrrev_i32_e32 v72, 31, v70
	; wave barrier
	v_xor_b32_e32 v69, v72, v69
	v_cndmask_b32_e64 v71, -1, 0x80000000, vcc_lo
	v_xor_b32_e32 v70, v71, v70
	v_cmp_ne_u64_e32 vcc_lo, s[46:47], v[69:70]
	v_cndmask_b32_e32 v72, 0x80000000, v70, vcc_lo
	v_cndmask_b32_e32 v71, 0, v69, vcc_lo
	v_lshrrev_b64 v[71:72], s52, v[71:72]
	v_and_b32_e32 v72, s64, v71
	v_and_b32_e32 v71, 1, v72
	v_lshlrev_b32_e32 v73, 30, v72
	v_lshlrev_b32_e32 v74, 29, v72
	;; [unrolled: 1-line block ×4, first 2 shown]
	v_add_co_u32 v71, s23, v71, -1
	v_cndmask_b32_e64 v192, 0, 1, s23
	v_not_b32_e32 v196, v73
	v_cmp_gt_i32_e64 s23, 0, v73
	v_not_b32_e32 v73, v74
	v_lshlrev_b32_e32 v195, 26, v72
	v_cmp_ne_u32_e32 vcc_lo, 0, v192
	v_ashrrev_i32_e32 v196, 31, v196
	v_lshlrev_b32_e32 v192, 25, v72
	v_ashrrev_i32_e32 v73, 31, v73
	v_xor_b32_e32 v71, vcc_lo, v71
	v_cmp_gt_i32_e32 vcc_lo, 0, v74
	v_not_b32_e32 v74, v193
	v_xor_b32_e32 v196, s23, v196
	v_cmp_gt_i32_e64 s23, 0, v193
	v_and_b32_e32 v71, exec_lo, v71
	v_not_b32_e32 v193, v194
	v_ashrrev_i32_e32 v74, 31, v74
	v_xor_b32_e32 v73, vcc_lo, v73
	v_cmp_gt_i32_e32 vcc_lo, 0, v194
	v_and_b32_e32 v71, v71, v196
	v_not_b32_e32 v194, v195
	v_ashrrev_i32_e32 v193, 31, v193
	v_xor_b32_e32 v74, s23, v74
	v_cmp_gt_i32_e64 s23, 0, v195
	v_and_b32_e32 v71, v71, v73
	v_not_b32_e32 v73, v192
	v_ashrrev_i32_e32 v194, 31, v194
	v_xor_b32_e32 v193, vcc_lo, v193
	v_cmp_gt_i32_e32 vcc_lo, 0, v192
	v_and_b32_e32 v71, v71, v74
	v_ashrrev_i32_e32 v73, 31, v73
	v_xor_b32_e32 v74, s23, v194
	v_mad_u32_u24 v192, v72, 36, v150
	v_mul_u32_u24_e32 v72, 36, v72
	v_and_b32_e32 v71, v71, v193
	v_xor_b32_e32 v73, vcc_lo, v73
	ds_read_b32 v192, v192 offset:544
	v_add_nc_u32_e32 v194, v150, v72
	v_and_b32_e32 v71, v71, v74
	; wave barrier
	v_and_b32_e32 v71, v71, v73
	v_mbcnt_lo_u32_b32 v193, v71, 0
	v_cmp_ne_u32_e64 s23, 0, v71
	v_cmp_eq_u32_e32 vcc_lo, 0, v193
	s_and_b32 s24, s23, vcc_lo
	s_and_saveexec_b32 s23, s24
	s_cbranch_execz .LBB1251_1042
; %bb.1041:                             ;   in Loop: Header=BB1251_988 Depth=2
	s_waitcnt lgkmcnt(0)
	v_bcnt_u32_b32 v71, v71, v192
	ds_write_b32 v194, v71 offset:544
.LBB1251_1042:                          ;   in Loop: Header=BB1251_988 Depth=2
	s_or_b32 exec_lo, exec_lo, s23
	v_cmp_lt_i64_e32 vcc_lo, -1, v[65:66]
	v_ashrrev_i32_e32 v72, 31, v66
	; wave barrier
	v_xor_b32_e32 v65, v72, v65
	v_cndmask_b32_e64 v71, -1, 0x80000000, vcc_lo
	v_xor_b32_e32 v66, v71, v66
	v_cmp_ne_u64_e32 vcc_lo, s[46:47], v[65:66]
	v_cndmask_b32_e32 v72, 0x80000000, v66, vcc_lo
	v_cndmask_b32_e32 v71, 0, v65, vcc_lo
	v_lshrrev_b64 v[71:72], s52, v[71:72]
	v_and_b32_e32 v72, s64, v71
	v_and_b32_e32 v71, 1, v72
	v_lshlrev_b32_e32 v73, 30, v72
	v_lshlrev_b32_e32 v74, 29, v72
	;; [unrolled: 1-line block ×4, first 2 shown]
	v_add_co_u32 v71, s23, v71, -1
	v_cndmask_b32_e64 v195, 0, 1, s23
	v_not_b32_e32 v199, v73
	v_cmp_gt_i32_e64 s23, 0, v73
	v_not_b32_e32 v73, v74
	v_lshlrev_b32_e32 v198, 26, v72
	v_cmp_ne_u32_e32 vcc_lo, 0, v195
	v_ashrrev_i32_e32 v199, 31, v199
	v_lshlrev_b32_e32 v195, 25, v72
	v_ashrrev_i32_e32 v73, 31, v73
	v_xor_b32_e32 v71, vcc_lo, v71
	v_cmp_gt_i32_e32 vcc_lo, 0, v74
	v_not_b32_e32 v74, v196
	v_xor_b32_e32 v199, s23, v199
	v_cmp_gt_i32_e64 s23, 0, v196
	v_and_b32_e32 v71, exec_lo, v71
	v_not_b32_e32 v196, v197
	v_ashrrev_i32_e32 v74, 31, v74
	v_xor_b32_e32 v73, vcc_lo, v73
	v_cmp_gt_i32_e32 vcc_lo, 0, v197
	v_and_b32_e32 v71, v71, v199
	v_not_b32_e32 v197, v198
	v_ashrrev_i32_e32 v196, 31, v196
	v_xor_b32_e32 v74, s23, v74
	v_cmp_gt_i32_e64 s23, 0, v198
	v_and_b32_e32 v71, v71, v73
	v_not_b32_e32 v73, v195
	v_ashrrev_i32_e32 v197, 31, v197
	v_xor_b32_e32 v196, vcc_lo, v196
	v_cmp_gt_i32_e32 vcc_lo, 0, v195
	v_and_b32_e32 v71, v71, v74
	v_ashrrev_i32_e32 v73, 31, v73
	v_xor_b32_e32 v74, s23, v197
	v_mad_u32_u24 v195, v72, 36, v150
	v_mul_u32_u24_e32 v72, 36, v72
	v_and_b32_e32 v71, v71, v196
	v_xor_b32_e32 v73, vcc_lo, v73
	ds_read_b32 v195, v195 offset:544
	v_add_nc_u32_e32 v198, v150, v72
	v_and_b32_e32 v71, v71, v74
	; wave barrier
	v_and_b32_e32 v71, v71, v73
	v_mbcnt_lo_u32_b32 v196, v71, 0
	v_cmp_ne_u32_e64 s23, 0, v71
	v_cmp_eq_u32_e32 vcc_lo, 0, v196
	s_and_b32 s24, s23, vcc_lo
	s_and_saveexec_b32 s23, s24
	s_cbranch_execz .LBB1251_1044
; %bb.1043:                             ;   in Loop: Header=BB1251_988 Depth=2
	s_waitcnt lgkmcnt(0)
	v_bcnt_u32_b32 v71, v71, v195
	ds_write_b32 v198, v71 offset:544
.LBB1251_1044:                          ;   in Loop: Header=BB1251_988 Depth=2
	s_or_b32 exec_lo, exec_lo, s23
	v_cmp_lt_i64_e32 vcc_lo, -1, v[61:62]
	v_ashrrev_i32_e32 v72, 31, v62
	; wave barrier
	v_xor_b32_e32 v61, v72, v61
	v_cndmask_b32_e64 v71, -1, 0x80000000, vcc_lo
	v_xor_b32_e32 v62, v71, v62
	v_cmp_ne_u64_e32 vcc_lo, s[46:47], v[61:62]
	v_cndmask_b32_e32 v72, 0x80000000, v62, vcc_lo
	v_cndmask_b32_e32 v71, 0, v61, vcc_lo
	v_lshrrev_b64 v[71:72], s52, v[71:72]
	v_and_b32_e32 v72, s64, v71
	v_and_b32_e32 v71, 1, v72
	v_lshlrev_b32_e32 v73, 30, v72
	v_lshlrev_b32_e32 v74, 29, v72
	;; [unrolled: 1-line block ×4, first 2 shown]
	v_add_co_u32 v71, s23, v71, -1
	v_cndmask_b32_e64 v197, 0, 1, s23
	v_not_b32_e32 v202, v73
	v_cmp_gt_i32_e64 s23, 0, v73
	v_not_b32_e32 v73, v74
	v_lshlrev_b32_e32 v201, 26, v72
	v_cmp_ne_u32_e32 vcc_lo, 0, v197
	v_ashrrev_i32_e32 v202, 31, v202
	v_lshlrev_b32_e32 v197, 25, v72
	v_ashrrev_i32_e32 v73, 31, v73
	v_xor_b32_e32 v71, vcc_lo, v71
	v_cmp_gt_i32_e32 vcc_lo, 0, v74
	v_not_b32_e32 v74, v199
	v_xor_b32_e32 v202, s23, v202
	v_cmp_gt_i32_e64 s23, 0, v199
	v_and_b32_e32 v71, exec_lo, v71
	v_not_b32_e32 v199, v200
	v_ashrrev_i32_e32 v74, 31, v74
	v_xor_b32_e32 v73, vcc_lo, v73
	v_cmp_gt_i32_e32 vcc_lo, 0, v200
	v_and_b32_e32 v71, v71, v202
	v_not_b32_e32 v200, v201
	v_ashrrev_i32_e32 v199, 31, v199
	v_xor_b32_e32 v74, s23, v74
	v_cmp_gt_i32_e64 s23, 0, v201
	v_and_b32_e32 v71, v71, v73
	v_not_b32_e32 v73, v197
	v_ashrrev_i32_e32 v200, 31, v200
	v_xor_b32_e32 v199, vcc_lo, v199
	v_cmp_gt_i32_e32 vcc_lo, 0, v197
	v_and_b32_e32 v71, v71, v74
	v_ashrrev_i32_e32 v73, 31, v73
	v_xor_b32_e32 v74, s23, v200
	v_mad_u32_u24 v197, v72, 36, v150
	v_mul_u32_u24_e32 v72, 36, v72
	v_and_b32_e32 v71, v71, v199
	v_xor_b32_e32 v73, vcc_lo, v73
	ds_read_b32 v197, v197 offset:544
	v_add_nc_u32_e32 v202, v150, v72
	v_and_b32_e32 v71, v71, v74
	; wave barrier
	v_and_b32_e32 v71, v71, v73
	v_mbcnt_lo_u32_b32 v199, v71, 0
	v_cmp_ne_u32_e64 s23, 0, v71
	v_cmp_eq_u32_e32 vcc_lo, 0, v199
	s_and_b32 s24, s23, vcc_lo
	s_and_saveexec_b32 s23, s24
	s_cbranch_execz .LBB1251_1046
; %bb.1045:                             ;   in Loop: Header=BB1251_988 Depth=2
	s_waitcnt lgkmcnt(0)
	v_bcnt_u32_b32 v71, v71, v197
	ds_write_b32 v202, v71 offset:544
.LBB1251_1046:                          ;   in Loop: Header=BB1251_988 Depth=2
	s_or_b32 exec_lo, exec_lo, s23
	v_cmp_lt_i64_e32 vcc_lo, -1, v[57:58]
	v_ashrrev_i32_e32 v72, 31, v58
	; wave barrier
	v_xor_b32_e32 v57, v72, v57
	v_cndmask_b32_e64 v71, -1, 0x80000000, vcc_lo
	v_xor_b32_e32 v58, v71, v58
	v_cmp_ne_u64_e32 vcc_lo, s[46:47], v[57:58]
	v_cndmask_b32_e32 v72, 0x80000000, v58, vcc_lo
	v_cndmask_b32_e32 v71, 0, v57, vcc_lo
	v_lshrrev_b64 v[71:72], s52, v[71:72]
	v_and_b32_e32 v72, s64, v71
	v_and_b32_e32 v71, 1, v72
	v_lshlrev_b32_e32 v73, 30, v72
	v_lshlrev_b32_e32 v74, 29, v72
	;; [unrolled: 1-line block ×4, first 2 shown]
	v_add_co_u32 v71, s23, v71, -1
	v_cndmask_b32_e64 v200, 0, 1, s23
	v_not_b32_e32 v205, v73
	v_cmp_gt_i32_e64 s23, 0, v73
	v_not_b32_e32 v73, v74
	v_lshlrev_b32_e32 v204, 26, v72
	v_cmp_ne_u32_e32 vcc_lo, 0, v200
	v_ashrrev_i32_e32 v205, 31, v205
	v_lshlrev_b32_e32 v200, 25, v72
	v_ashrrev_i32_e32 v73, 31, v73
	v_xor_b32_e32 v71, vcc_lo, v71
	v_cmp_gt_i32_e32 vcc_lo, 0, v74
	v_not_b32_e32 v74, v201
	v_xor_b32_e32 v205, s23, v205
	v_cmp_gt_i32_e64 s23, 0, v201
	v_and_b32_e32 v71, exec_lo, v71
	v_not_b32_e32 v201, v203
	v_ashrrev_i32_e32 v74, 31, v74
	v_xor_b32_e32 v73, vcc_lo, v73
	v_cmp_gt_i32_e32 vcc_lo, 0, v203
	v_and_b32_e32 v71, v71, v205
	v_not_b32_e32 v203, v204
	v_ashrrev_i32_e32 v201, 31, v201
	v_xor_b32_e32 v74, s23, v74
	v_cmp_gt_i32_e64 s23, 0, v204
	v_and_b32_e32 v71, v71, v73
	v_not_b32_e32 v73, v200
	v_ashrrev_i32_e32 v203, 31, v203
	v_xor_b32_e32 v201, vcc_lo, v201
	v_cmp_gt_i32_e32 vcc_lo, 0, v200
	v_and_b32_e32 v71, v71, v74
	v_ashrrev_i32_e32 v73, 31, v73
	v_xor_b32_e32 v74, s23, v203
	v_mad_u32_u24 v200, v72, 36, v150
	v_mul_u32_u24_e32 v72, 36, v72
	v_and_b32_e32 v71, v71, v201
	v_xor_b32_e32 v73, vcc_lo, v73
	ds_read_b32 v200, v200 offset:544
	v_add_nc_u32_e32 v205, v150, v72
	v_and_b32_e32 v71, v71, v74
	; wave barrier
	v_and_b32_e32 v71, v71, v73
	v_mbcnt_lo_u32_b32 v201, v71, 0
	v_cmp_ne_u32_e64 s23, 0, v71
	v_cmp_eq_u32_e32 vcc_lo, 0, v201
	s_and_b32 s24, s23, vcc_lo
	s_and_saveexec_b32 s23, s24
	s_cbranch_execz .LBB1251_1048
; %bb.1047:                             ;   in Loop: Header=BB1251_988 Depth=2
	s_waitcnt lgkmcnt(0)
	v_bcnt_u32_b32 v71, v71, v200
	ds_write_b32 v205, v71 offset:544
.LBB1251_1048:                          ;   in Loop: Header=BB1251_988 Depth=2
	s_or_b32 exec_lo, exec_lo, s23
	v_cmp_lt_i64_e32 vcc_lo, -1, v[53:54]
	v_ashrrev_i32_e32 v72, 31, v54
	; wave barrier
	v_xor_b32_e32 v53, v72, v53
	v_cndmask_b32_e64 v71, -1, 0x80000000, vcc_lo
	v_xor_b32_e32 v54, v71, v54
	v_cmp_ne_u64_e32 vcc_lo, s[46:47], v[53:54]
	v_cndmask_b32_e32 v72, 0x80000000, v54, vcc_lo
	v_cndmask_b32_e32 v71, 0, v53, vcc_lo
	v_lshrrev_b64 v[71:72], s52, v[71:72]
	v_and_b32_e32 v72, s64, v71
	v_and_b32_e32 v71, 1, v72
	v_lshlrev_b32_e32 v73, 30, v72
	v_lshlrev_b32_e32 v74, 29, v72
	;; [unrolled: 1-line block ×4, first 2 shown]
	v_add_co_u32 v71, s23, v71, -1
	v_cndmask_b32_e64 v203, 0, 1, s23
	v_not_b32_e32 v208, v73
	v_cmp_gt_i32_e64 s23, 0, v73
	v_not_b32_e32 v73, v74
	v_lshlrev_b32_e32 v207, 26, v72
	v_cmp_ne_u32_e32 vcc_lo, 0, v203
	v_ashrrev_i32_e32 v208, 31, v208
	v_lshlrev_b32_e32 v203, 25, v72
	v_ashrrev_i32_e32 v73, 31, v73
	v_xor_b32_e32 v71, vcc_lo, v71
	v_cmp_gt_i32_e32 vcc_lo, 0, v74
	v_not_b32_e32 v74, v204
	v_xor_b32_e32 v208, s23, v208
	v_cmp_gt_i32_e64 s23, 0, v204
	v_and_b32_e32 v71, exec_lo, v71
	v_not_b32_e32 v204, v206
	v_ashrrev_i32_e32 v74, 31, v74
	v_xor_b32_e32 v73, vcc_lo, v73
	v_cmp_gt_i32_e32 vcc_lo, 0, v206
	v_and_b32_e32 v71, v71, v208
	v_not_b32_e32 v206, v207
	v_ashrrev_i32_e32 v204, 31, v204
	v_xor_b32_e32 v74, s23, v74
	v_cmp_gt_i32_e64 s23, 0, v207
	v_and_b32_e32 v71, v71, v73
	v_not_b32_e32 v73, v203
	v_ashrrev_i32_e32 v206, 31, v206
	v_xor_b32_e32 v204, vcc_lo, v204
	v_cmp_gt_i32_e32 vcc_lo, 0, v203
	v_and_b32_e32 v71, v71, v74
	v_ashrrev_i32_e32 v73, 31, v73
	v_xor_b32_e32 v74, s23, v206
	v_mad_u32_u24 v203, v72, 36, v150
	v_mul_u32_u24_e32 v72, 36, v72
	v_and_b32_e32 v71, v71, v204
	v_xor_b32_e32 v73, vcc_lo, v73
	ds_read_b32 v203, v203 offset:544
	v_add_nc_u32_e32 v208, v150, v72
	v_and_b32_e32 v71, v71, v74
	; wave barrier
	v_and_b32_e32 v71, v71, v73
	v_mbcnt_lo_u32_b32 v204, v71, 0
	v_cmp_ne_u32_e64 s23, 0, v71
	v_cmp_eq_u32_e32 vcc_lo, 0, v204
	s_and_b32 s24, s23, vcc_lo
	s_and_saveexec_b32 s23, s24
	s_cbranch_execz .LBB1251_1050
; %bb.1049:                             ;   in Loop: Header=BB1251_988 Depth=2
	s_waitcnt lgkmcnt(0)
	v_bcnt_u32_b32 v71, v71, v203
	ds_write_b32 v208, v71 offset:544
.LBB1251_1050:                          ;   in Loop: Header=BB1251_988 Depth=2
	s_or_b32 exec_lo, exec_lo, s23
	v_cmp_lt_i64_e32 vcc_lo, -1, v[51:52]
	v_ashrrev_i32_e32 v72, 31, v52
	; wave barrier
	v_xor_b32_e32 v51, v72, v51
	v_cndmask_b32_e64 v71, -1, 0x80000000, vcc_lo
	v_xor_b32_e32 v52, v71, v52
	v_cmp_ne_u64_e32 vcc_lo, s[46:47], v[51:52]
	v_cndmask_b32_e32 v72, 0x80000000, v52, vcc_lo
	v_cndmask_b32_e32 v71, 0, v51, vcc_lo
	v_lshrrev_b64 v[71:72], s52, v[71:72]
	v_and_b32_e32 v72, s64, v71
	v_and_b32_e32 v71, 1, v72
	v_lshlrev_b32_e32 v73, 30, v72
	v_lshlrev_b32_e32 v74, 29, v72
	;; [unrolled: 1-line block ×4, first 2 shown]
	v_add_co_u32 v71, s23, v71, -1
	v_cndmask_b32_e64 v206, 0, 1, s23
	v_not_b32_e32 v211, v73
	v_cmp_gt_i32_e64 s23, 0, v73
	v_not_b32_e32 v73, v74
	v_lshlrev_b32_e32 v210, 26, v72
	v_cmp_ne_u32_e32 vcc_lo, 0, v206
	v_ashrrev_i32_e32 v211, 31, v211
	v_lshlrev_b32_e32 v206, 25, v72
	v_ashrrev_i32_e32 v73, 31, v73
	v_xor_b32_e32 v71, vcc_lo, v71
	v_cmp_gt_i32_e32 vcc_lo, 0, v74
	v_not_b32_e32 v74, v207
	v_xor_b32_e32 v211, s23, v211
	v_cmp_gt_i32_e64 s23, 0, v207
	v_and_b32_e32 v71, exec_lo, v71
	v_not_b32_e32 v207, v209
	v_ashrrev_i32_e32 v74, 31, v74
	v_xor_b32_e32 v73, vcc_lo, v73
	v_cmp_gt_i32_e32 vcc_lo, 0, v209
	v_and_b32_e32 v71, v71, v211
	v_not_b32_e32 v209, v210
	v_ashrrev_i32_e32 v207, 31, v207
	v_xor_b32_e32 v74, s23, v74
	v_cmp_gt_i32_e64 s23, 0, v210
	v_and_b32_e32 v71, v71, v73
	v_not_b32_e32 v73, v206
	v_ashrrev_i32_e32 v209, 31, v209
	v_xor_b32_e32 v207, vcc_lo, v207
	v_cmp_gt_i32_e32 vcc_lo, 0, v206
	v_and_b32_e32 v71, v71, v74
	v_ashrrev_i32_e32 v73, 31, v73
	v_xor_b32_e32 v74, s23, v209
	v_mad_u32_u24 v206, v72, 36, v150
	v_mul_u32_u24_e32 v72, 36, v72
	v_and_b32_e32 v71, v71, v207
	v_xor_b32_e32 v73, vcc_lo, v73
	ds_read_b32 v206, v206 offset:544
	v_add_nc_u32_e32 v211, v150, v72
	v_and_b32_e32 v71, v71, v74
	; wave barrier
	v_and_b32_e32 v71, v71, v73
	v_mbcnt_lo_u32_b32 v207, v71, 0
	v_cmp_ne_u32_e64 s23, 0, v71
	v_cmp_eq_u32_e32 vcc_lo, 0, v207
	s_and_b32 s24, s23, vcc_lo
	s_and_saveexec_b32 s23, s24
	s_cbranch_execz .LBB1251_1052
; %bb.1051:                             ;   in Loop: Header=BB1251_988 Depth=2
	s_waitcnt lgkmcnt(0)
	v_bcnt_u32_b32 v71, v71, v206
	ds_write_b32 v211, v71 offset:544
.LBB1251_1052:                          ;   in Loop: Header=BB1251_988 Depth=2
	s_or_b32 exec_lo, exec_lo, s23
	v_cmp_lt_i64_e32 vcc_lo, -1, v[45:46]
	v_ashrrev_i32_e32 v72, 31, v46
	; wave barrier
	v_xor_b32_e32 v45, v72, v45
	v_cndmask_b32_e64 v71, -1, 0x80000000, vcc_lo
	v_xor_b32_e32 v46, v71, v46
	v_cmp_ne_u64_e32 vcc_lo, s[46:47], v[45:46]
	v_cndmask_b32_e32 v72, 0x80000000, v46, vcc_lo
	v_cndmask_b32_e32 v71, 0, v45, vcc_lo
	v_lshrrev_b64 v[71:72], s52, v[71:72]
	v_and_b32_e32 v72, s64, v71
	v_and_b32_e32 v71, 1, v72
	v_lshlrev_b32_e32 v73, 30, v72
	v_lshlrev_b32_e32 v74, 29, v72
	;; [unrolled: 1-line block ×4, first 2 shown]
	v_add_co_u32 v71, s23, v71, -1
	v_cndmask_b32_e64 v209, 0, 1, s23
	v_not_b32_e32 v214, v73
	v_cmp_gt_i32_e64 s23, 0, v73
	v_not_b32_e32 v73, v74
	v_lshlrev_b32_e32 v213, 26, v72
	v_cmp_ne_u32_e32 vcc_lo, 0, v209
	v_ashrrev_i32_e32 v214, 31, v214
	v_lshlrev_b32_e32 v209, 25, v72
	v_ashrrev_i32_e32 v73, 31, v73
	v_xor_b32_e32 v71, vcc_lo, v71
	v_cmp_gt_i32_e32 vcc_lo, 0, v74
	v_not_b32_e32 v74, v210
	v_xor_b32_e32 v214, s23, v214
	v_cmp_gt_i32_e64 s23, 0, v210
	v_and_b32_e32 v71, exec_lo, v71
	v_not_b32_e32 v210, v212
	v_ashrrev_i32_e32 v74, 31, v74
	v_xor_b32_e32 v73, vcc_lo, v73
	v_cmp_gt_i32_e32 vcc_lo, 0, v212
	v_and_b32_e32 v71, v71, v214
	v_not_b32_e32 v212, v213
	v_ashrrev_i32_e32 v210, 31, v210
	v_xor_b32_e32 v74, s23, v74
	v_cmp_gt_i32_e64 s23, 0, v213
	v_and_b32_e32 v71, v71, v73
	v_not_b32_e32 v73, v209
	v_ashrrev_i32_e32 v212, 31, v212
	v_xor_b32_e32 v210, vcc_lo, v210
	v_cmp_gt_i32_e32 vcc_lo, 0, v209
	v_and_b32_e32 v71, v71, v74
	v_ashrrev_i32_e32 v73, 31, v73
	v_xor_b32_e32 v74, s23, v212
	v_mad_u32_u24 v209, v72, 36, v150
	v_mul_u32_u24_e32 v72, 36, v72
	v_and_b32_e32 v71, v71, v210
	v_xor_b32_e32 v73, vcc_lo, v73
	ds_read_b32 v209, v209 offset:544
	v_add_nc_u32_e32 v214, v150, v72
	v_and_b32_e32 v71, v71, v74
	; wave barrier
	v_and_b32_e32 v71, v71, v73
	v_mbcnt_lo_u32_b32 v210, v71, 0
	v_cmp_ne_u32_e64 s23, 0, v71
	v_cmp_eq_u32_e32 vcc_lo, 0, v210
	s_and_b32 s24, s23, vcc_lo
	s_and_saveexec_b32 s23, s24
	s_cbranch_execz .LBB1251_1054
; %bb.1053:                             ;   in Loop: Header=BB1251_988 Depth=2
	s_waitcnt lgkmcnt(0)
	v_bcnt_u32_b32 v71, v71, v209
	ds_write_b32 v214, v71 offset:544
.LBB1251_1054:                          ;   in Loop: Header=BB1251_988 Depth=2
	s_or_b32 exec_lo, exec_lo, s23
	v_cmp_lt_i64_e32 vcc_lo, -1, v[47:48]
	v_ashrrev_i32_e32 v72, 31, v48
	; wave barrier
	v_xor_b32_e32 v47, v72, v47
	v_cndmask_b32_e64 v71, -1, 0x80000000, vcc_lo
	v_xor_b32_e32 v48, v71, v48
	v_cmp_ne_u64_e32 vcc_lo, s[46:47], v[47:48]
	v_cndmask_b32_e32 v72, 0x80000000, v48, vcc_lo
	v_cndmask_b32_e32 v71, 0, v47, vcc_lo
	v_lshrrev_b64 v[71:72], s52, v[71:72]
	v_and_b32_e32 v72, s64, v71
	v_and_b32_e32 v71, 1, v72
	v_lshlrev_b32_e32 v73, 30, v72
	v_lshlrev_b32_e32 v74, 29, v72
	;; [unrolled: 1-line block ×4, first 2 shown]
	v_add_co_u32 v71, s23, v71, -1
	v_cndmask_b32_e64 v212, 0, 1, s23
	v_not_b32_e32 v217, v73
	v_cmp_gt_i32_e64 s23, 0, v73
	v_not_b32_e32 v73, v74
	v_lshlrev_b32_e32 v216, 26, v72
	v_cmp_ne_u32_e32 vcc_lo, 0, v212
	v_ashrrev_i32_e32 v217, 31, v217
	v_lshlrev_b32_e32 v212, 25, v72
	v_ashrrev_i32_e32 v73, 31, v73
	v_xor_b32_e32 v71, vcc_lo, v71
	v_cmp_gt_i32_e32 vcc_lo, 0, v74
	v_not_b32_e32 v74, v213
	v_xor_b32_e32 v217, s23, v217
	v_cmp_gt_i32_e64 s23, 0, v213
	v_and_b32_e32 v71, exec_lo, v71
	v_not_b32_e32 v213, v215
	v_ashrrev_i32_e32 v74, 31, v74
	v_xor_b32_e32 v73, vcc_lo, v73
	v_cmp_gt_i32_e32 vcc_lo, 0, v215
	v_and_b32_e32 v71, v71, v217
	v_not_b32_e32 v215, v216
	v_ashrrev_i32_e32 v213, 31, v213
	v_xor_b32_e32 v74, s23, v74
	v_cmp_gt_i32_e64 s23, 0, v216
	v_and_b32_e32 v71, v71, v73
	v_not_b32_e32 v73, v212
	v_ashrrev_i32_e32 v215, 31, v215
	v_xor_b32_e32 v213, vcc_lo, v213
	v_cmp_gt_i32_e32 vcc_lo, 0, v212
	v_and_b32_e32 v71, v71, v74
	v_ashrrev_i32_e32 v73, 31, v73
	v_xor_b32_e32 v74, s23, v215
	v_mad_u32_u24 v212, v72, 36, v150
	v_mul_u32_u24_e32 v72, 36, v72
	v_and_b32_e32 v71, v71, v213
	v_xor_b32_e32 v73, vcc_lo, v73
	ds_read_b32 v212, v212 offset:544
	v_add_nc_u32_e32 v215, v150, v72
	v_and_b32_e32 v71, v71, v74
	; wave barrier
	v_and_b32_e32 v71, v71, v73
	v_mbcnt_lo_u32_b32 v213, v71, 0
	v_cmp_ne_u32_e64 s23, 0, v71
	v_cmp_eq_u32_e32 vcc_lo, 0, v213
	s_and_b32 s24, s23, vcc_lo
	s_and_saveexec_b32 s23, s24
	s_cbranch_execz .LBB1251_1056
; %bb.1055:                             ;   in Loop: Header=BB1251_988 Depth=2
	s_waitcnt lgkmcnt(0)
	v_bcnt_u32_b32 v71, v71, v212
	ds_write_b32 v215, v71 offset:544
.LBB1251_1056:                          ;   in Loop: Header=BB1251_988 Depth=2
	s_or_b32 exec_lo, exec_lo, s23
	; wave barrier
	s_waitcnt lgkmcnt(0)
	s_barrier
	buffer_gl0_inv
	ds_read2_b32 v[73:74], v100 offset0:136 offset1:137
	ds_read2_b32 v[71:72], v100 offset0:138 offset1:139
	ds_read_b32 v216, v100 offset:560
	s_waitcnt lgkmcnt(1)
	v_add3_u32 v217, v74, v73, v71
	s_waitcnt lgkmcnt(0)
	v_add3_u32 v216, v217, v72, v216
	v_mov_b32_dpp v217, v216 row_shr:1 row_mask:0xf bank_mask:0xf
	v_cndmask_b32_e64 v217, v217, 0, s14
	v_add_nc_u32_e32 v216, v217, v216
	v_mov_b32_dpp v217, v216 row_shr:2 row_mask:0xf bank_mask:0xf
	v_cndmask_b32_e64 v217, 0, v217, s15
	v_add_nc_u32_e32 v216, v216, v217
	;; [unrolled: 3-line block ×4, first 2 shown]
	ds_swizzle_b32 v217, v216 offset:swizzle(BROADCAST,32,15)
	s_waitcnt lgkmcnt(0)
	v_cndmask_b32_e64 v217, v217, 0, s18
	v_add_nc_u32_e32 v216, v216, v217
	s_and_saveexec_b32 s23, s4
; %bb.1057:                             ;   in Loop: Header=BB1251_988 Depth=2
	ds_write_b32 v94, v216 offset:512
; %bb.1058:                             ;   in Loop: Header=BB1251_988 Depth=2
	s_or_b32 exec_lo, exec_lo, s23
	s_waitcnt lgkmcnt(0)
	s_barrier
	buffer_gl0_inv
	s_and_saveexec_b32 s23, s5
	s_cbranch_execz .LBB1251_1060
; %bb.1059:                             ;   in Loop: Header=BB1251_988 Depth=2
	ds_read_b32 v217, v101 offset:512
	s_waitcnt lgkmcnt(0)
	v_mov_b32_dpp v218, v217 row_shr:1 row_mask:0xf bank_mask:0xf
	v_cndmask_b32_e64 v218, v218, 0, s20
	v_add_nc_u32_e32 v217, v218, v217
	v_mov_b32_dpp v218, v217 row_shr:2 row_mask:0xf bank_mask:0xf
	v_cndmask_b32_e64 v218, 0, v218, s21
	v_add_nc_u32_e32 v217, v217, v218
	;; [unrolled: 3-line block ×3, first 2 shown]
	ds_write_b32 v101, v217 offset:512
.LBB1251_1060:                          ;   in Loop: Header=BB1251_988 Depth=2
	s_or_b32 exec_lo, exec_lo, s23
	v_mov_b32_e32 v217, 0
	s_waitcnt lgkmcnt(0)
	s_barrier
	buffer_gl0_inv
	s_and_saveexec_b32 s23, s11
; %bb.1061:                             ;   in Loop: Header=BB1251_988 Depth=2
	ds_read_b32 v217, v94 offset:508
; %bb.1062:                             ;   in Loop: Header=BB1251_988 Depth=2
	s_or_b32 exec_lo, exec_lo, s23
	s_waitcnt lgkmcnt(0)
	v_add_nc_u32_e32 v216, v217, v216
	ds_bpermute_b32 v216, v129, v216
	s_waitcnt lgkmcnt(0)
	v_cndmask_b32_e64 v216, v216, v217, s19
	v_cndmask_b32_e64 v216, v216, 0, s12
	v_add_nc_u32_e32 v73, v216, v73
	v_add_nc_u32_e32 v74, v73, v74
	;; [unrolled: 1-line block ×4, first 2 shown]
	ds_write2_b32 v100, v216, v73 offset0:136 offset1:137
	ds_write2_b32 v100, v74, v71 offset0:138 offset1:139
	ds_write_b32 v100, v72 offset:560
	s_waitcnt lgkmcnt(0)
	s_barrier
	buffer_gl0_inv
	ds_read_b32 v71, v170 offset:544
	ds_read_b32 v219, v173 offset:544
	;; [unrolled: 1-line block ×16, first 2 shown]
	s_and_saveexec_b32 s23, s8
	s_cbranch_execz .LBB1251_1066
; %bb.1063:                             ;   in Loop: Header=BB1251_988 Depth=2
	ds_read_b32 v158, v103 offset:544
	v_mov_b32_e32 v168, 0x1000
	s_and_saveexec_b32 s24, s13
; %bb.1064:                             ;   in Loop: Header=BB1251_988 Depth=2
	ds_read_b32 v168, v102 offset:544
; %bb.1065:                             ;   in Loop: Header=BB1251_988 Depth=2
	s_or_b32 exec_lo, exec_lo, s24
	s_waitcnt lgkmcnt(0)
	v_sub_nc_u32_e32 v168, v168, v158
.LBB1251_1066:                          ;   in Loop: Header=BB1251_988 Depth=2
	s_or_b32 exec_lo, exec_lo, s23
	s_waitcnt lgkmcnt(0)
	s_barrier
	buffer_gl0_inv
	s_and_saveexec_b32 s23, s8
	s_cbranch_execz .LBB1251_1068
; %bb.1067:                             ;   in Loop: Header=BB1251_988 Depth=2
	ds_read_b32 v194, v75
	s_waitcnt lgkmcnt(0)
	v_sub_nc_u32_e32 v194, v194, v158
	ds_write_b32 v75, v194
.LBB1251_1068:                          ;   in Loop: Header=BB1251_988 Depth=2
	s_or_b32 exec_lo, exec_lo, s23
	v_lshlrev_b32_e32 v3, 3, v3
	v_lshlrev_b32_e32 v172, 3, v172
	;; [unrolled: 1-line block ×5, first 2 shown]
	v_lshl_add_u32 v71, v71, 3, v3
	v_lshlrev_b32_e32 v3, 3, v174
	v_lshlrev_b32_e32 v174, 3, v72
	;; [unrolled: 1-line block ×3, first 2 shown]
	v_add3_u32 v72, v172, v171, v194
	ds_write_b64 v71, v[39:40] offset:512
	v_lshlrev_b32_e32 v39, 3, v177
	v_lshlrev_b32_e32 v40, 3, v218
	;; [unrolled: 1-line block ×8, first 2 shown]
	ds_write_b64 v72, v[41:42] offset:512
	v_add3_u32 v41, v175, v3, v174
	v_add3_u32 v42, v178, v39, v40
	v_lshlrev_b32_e32 v3, 3, v187
	v_lshlrev_b32_e32 v39, 3, v186
	;; [unrolled: 1-line block ×3, first 2 shown]
	v_add3_u32 v73, v171, v172, v74
	v_add3_u32 v74, v177, v180, v181
	ds_write_b64 v41, v[43:44] offset:512
	ds_write_b64 v42, v[49:50] offset:512
	;; [unrolled: 1-line block ×4, first 2 shown]
	v_add3_u32 v43, v3, v39, v40
	v_lshlrev_b32_e32 v3, 3, v190
	v_lshlrev_b32_e32 v39, 3, v189
	;; [unrolled: 1-line block ×12, first 2 shown]
	v_add3_u32 v44, v3, v39, v40
	v_lshlrev_b32_e32 v3, 3, v201
	v_lshlrev_b32_e32 v39, 3, v200
	;; [unrolled: 1-line block ×3, first 2 shown]
	v_add3_u32 v49, v49, v50, v55
	v_add3_u32 v50, v56, v59, v60
	;; [unrolled: 1-line block ×3, first 2 shown]
	ds_write_b64 v43, v[63:64] offset:512
	ds_write_b64 v44, v[67:68] offset:512
	;; [unrolled: 1-line block ×5, first 2 shown]
	v_add3_u32 v56, v3, v39, v40
	v_lshlrev_b32_e32 v3, 3, v204
	v_lshlrev_b32_e32 v39, 3, v203
	;; [unrolled: 1-line block ×12, first 2 shown]
	v_add3_u32 v59, v3, v39, v40
	v_add3_u32 v60, v60, v61, v62
	;; [unrolled: 1-line block ×3, first 2 shown]
	ds_write_b64 v56, v[57:58] offset:512
	v_add3_u32 v57, v66, v67, v68
	v_cmp_lt_u32_e32 vcc_lo, v0, v169
	ds_write_b64 v59, v[53:54] offset:512
	ds_write_b64 v60, v[51:52] offset:512
	;; [unrolled: 1-line block ×4, first 2 shown]
	s_waitcnt lgkmcnt(0)
	s_barrier
	buffer_gl0_inv
	s_and_saveexec_b32 s24, vcc_lo
	s_cbranch_execnz .LBB1251_1137
; %bb.1069:                             ;   in Loop: Header=BB1251_988 Depth=2
	s_or_b32 exec_lo, exec_lo, s24
	v_cmp_lt_u32_e64 s23, v76, v169
	s_and_saveexec_b32 s25, s23
	s_cbranch_execnz .LBB1251_1138
.LBB1251_1070:                          ;   in Loop: Header=BB1251_988 Depth=2
	s_or_b32 exec_lo, exec_lo, s25
	v_cmp_lt_u32_e64 s24, v79, v169
	s_and_saveexec_b32 s26, s24
	s_cbranch_execnz .LBB1251_1139
.LBB1251_1071:                          ;   in Loop: Header=BB1251_988 Depth=2
	s_or_b32 exec_lo, exec_lo, s26
	v_cmp_lt_u32_e64 s25, v80, v169
	s_and_saveexec_b32 s27, s25
	s_cbranch_execnz .LBB1251_1140
.LBB1251_1072:                          ;   in Loop: Header=BB1251_988 Depth=2
	s_or_b32 exec_lo, exec_lo, s27
	v_cmp_lt_u32_e64 s26, v81, v169
	s_and_saveexec_b32 s28, s26
	s_cbranch_execnz .LBB1251_1141
.LBB1251_1073:                          ;   in Loop: Header=BB1251_988 Depth=2
	s_or_b32 exec_lo, exec_lo, s28
	v_cmp_lt_u32_e64 s27, v82, v169
	s_and_saveexec_b32 s29, s27
	s_cbranch_execnz .LBB1251_1142
.LBB1251_1074:                          ;   in Loop: Header=BB1251_988 Depth=2
	s_or_b32 exec_lo, exec_lo, s29
	v_cmp_lt_u32_e64 s28, v83, v169
	s_and_saveexec_b32 s30, s28
	s_cbranch_execnz .LBB1251_1143
.LBB1251_1075:                          ;   in Loop: Header=BB1251_988 Depth=2
	s_or_b32 exec_lo, exec_lo, s30
	v_cmp_lt_u32_e64 s29, v84, v169
	s_and_saveexec_b32 s31, s29
	s_cbranch_execnz .LBB1251_1144
.LBB1251_1076:                          ;   in Loop: Header=BB1251_988 Depth=2
	s_or_b32 exec_lo, exec_lo, s31
	v_cmp_lt_u32_e64 s30, v85, v169
	s_and_saveexec_b32 s33, s30
	s_cbranch_execnz .LBB1251_1145
.LBB1251_1077:                          ;   in Loop: Header=BB1251_988 Depth=2
	s_or_b32 exec_lo, exec_lo, s33
	v_cmp_lt_u32_e64 s31, v86, v169
	s_and_saveexec_b32 s34, s31
	s_cbranch_execnz .LBB1251_1146
.LBB1251_1078:                          ;   in Loop: Header=BB1251_988 Depth=2
	s_or_b32 exec_lo, exec_lo, s34
	v_cmp_lt_u32_e64 s33, v87, v169
	s_and_saveexec_b32 s35, s33
	s_cbranch_execnz .LBB1251_1147
.LBB1251_1079:                          ;   in Loop: Header=BB1251_988 Depth=2
	s_or_b32 exec_lo, exec_lo, s35
	v_cmp_lt_u32_e64 s34, v88, v169
	s_and_saveexec_b32 s36, s34
	s_cbranch_execnz .LBB1251_1148
.LBB1251_1080:                          ;   in Loop: Header=BB1251_988 Depth=2
	s_or_b32 exec_lo, exec_lo, s36
	v_cmp_lt_u32_e64 s35, v89, v169
	s_and_saveexec_b32 s37, s35
	s_cbranch_execnz .LBB1251_1149
.LBB1251_1081:                          ;   in Loop: Header=BB1251_988 Depth=2
	s_or_b32 exec_lo, exec_lo, s37
	v_cmp_lt_u32_e64 s36, v90, v169
	s_and_saveexec_b32 s38, s36
	s_cbranch_execnz .LBB1251_1150
.LBB1251_1082:                          ;   in Loop: Header=BB1251_988 Depth=2
	s_or_b32 exec_lo, exec_lo, s38
	v_cmp_lt_u32_e64 s37, v91, v169
	s_and_saveexec_b32 s39, s37
	s_cbranch_execnz .LBB1251_1151
.LBB1251_1083:                          ;   in Loop: Header=BB1251_988 Depth=2
	s_or_b32 exec_lo, exec_lo, s39
	v_cmp_lt_u32_e64 s38, v92, v169
	s_and_saveexec_b32 s67, s38
	s_cbranch_execz .LBB1251_1085
.LBB1251_1084:                          ;   in Loop: Header=BB1251_988 Depth=2
	ds_read_b64 v[39:40], v108 offset:31232
	s_waitcnt lgkmcnt(0)
	v_cmp_ne_u64_e64 s39, s[46:47], v[39:40]
	v_cndmask_b32_e64 v46, 0x80000000, v40, s39
	v_cndmask_b32_e64 v45, 0, v39, s39
	v_cmp_lt_i64_e64 s39, -1, v[39:40]
	v_lshrrev_b64 v[45:46], s52, v[45:46]
	v_cndmask_b32_e64 v47, 0x80000000, -1, s39
	v_and_b32_e32 v3, s64, v45
	v_ashrrev_i32_e32 v45, 31, v40
	v_xor_b32_e32 v40, v47, v40
	v_lshlrev_b32_e32 v3, 2, v3
	v_not_b32_e32 v48, v45
	ds_read_b32 v3, v3
	v_xor_b32_e32 v39, v48, v39
	s_waitcnt lgkmcnt(0)
	v_add_nc_u32_e32 v3, v3, v92
	v_lshlrev_b64 v[45:46], 3, v[3:4]
	v_add_co_u32 v45, s39, s44, v45
	v_add_co_ci_u32_e64 v46, null, s45, v46, s39
	global_store_dwordx2 v[45:46], v[39:40], off
.LBB1251_1085:                          ;   in Loop: Header=BB1251_988 Depth=2
	s_or_b32 exec_lo, exec_lo, s67
	s_lshl_b64 s[68:69], s[56:57], 3
	v_add_co_u32 v39, s39, v131, s68
	v_add_co_ci_u32_e64 v40, null, s69, v132, s39
	v_cmp_lt_u32_e64 s39, v130, v169
	s_and_saveexec_b32 s56, s39
	s_xor_b32 s39, exec_lo, s56
	s_cbranch_execnz .LBB1251_1152
; %bb.1086:                             ;   in Loop: Header=BB1251_988 Depth=2
	s_or_b32 exec_lo, exec_lo, s39
	s_mov_b32 s56, exec_lo
	v_cmpx_lt_u32_e64 v133, v169
	s_cbranch_execnz .LBB1251_1153
.LBB1251_1087:                          ;   in Loop: Header=BB1251_988 Depth=2
	s_or_b32 exec_lo, exec_lo, s56
	s_mov_b32 s56, exec_lo
	v_cmpx_lt_u32_e64 v134, v169
	s_cbranch_execnz .LBB1251_1154
.LBB1251_1088:                          ;   in Loop: Header=BB1251_988 Depth=2
	s_or_b32 exec_lo, exec_lo, s56
	s_mov_b32 s56, exec_lo
	v_cmpx_lt_u32_e64 v135, v169
	s_cbranch_execnz .LBB1251_1155
.LBB1251_1089:                          ;   in Loop: Header=BB1251_988 Depth=2
	s_or_b32 exec_lo, exec_lo, s56
	s_mov_b32 s56, exec_lo
	v_cmpx_lt_u32_e64 v136, v169
	s_cbranch_execnz .LBB1251_1156
.LBB1251_1090:                          ;   in Loop: Header=BB1251_988 Depth=2
	s_or_b32 exec_lo, exec_lo, s56
	s_mov_b32 s56, exec_lo
	v_cmpx_lt_u32_e64 v137, v169
	s_cbranch_execnz .LBB1251_1157
.LBB1251_1091:                          ;   in Loop: Header=BB1251_988 Depth=2
	s_or_b32 exec_lo, exec_lo, s56
	s_mov_b32 s56, exec_lo
	v_cmpx_lt_u32_e64 v138, v169
	s_cbranch_execnz .LBB1251_1158
.LBB1251_1092:                          ;   in Loop: Header=BB1251_988 Depth=2
	s_or_b32 exec_lo, exec_lo, s56
	s_mov_b32 s56, exec_lo
	v_cmpx_lt_u32_e64 v139, v169
	s_cbranch_execnz .LBB1251_1159
.LBB1251_1093:                          ;   in Loop: Header=BB1251_988 Depth=2
	s_or_b32 exec_lo, exec_lo, s56
	s_mov_b32 s56, exec_lo
	v_cmpx_lt_u32_e64 v140, v169
	s_cbranch_execnz .LBB1251_1160
.LBB1251_1094:                          ;   in Loop: Header=BB1251_988 Depth=2
	s_or_b32 exec_lo, exec_lo, s56
	s_mov_b32 s56, exec_lo
	v_cmpx_lt_u32_e64 v141, v169
	s_cbranch_execnz .LBB1251_1161
.LBB1251_1095:                          ;   in Loop: Header=BB1251_988 Depth=2
	s_or_b32 exec_lo, exec_lo, s56
	s_mov_b32 s56, exec_lo
	v_cmpx_lt_u32_e64 v142, v169
	s_cbranch_execnz .LBB1251_1162
.LBB1251_1096:                          ;   in Loop: Header=BB1251_988 Depth=2
	s_or_b32 exec_lo, exec_lo, s56
	s_mov_b32 s56, exec_lo
	v_cmpx_lt_u32_e64 v143, v169
	s_cbranch_execnz .LBB1251_1163
.LBB1251_1097:                          ;   in Loop: Header=BB1251_988 Depth=2
	s_or_b32 exec_lo, exec_lo, s56
	s_mov_b32 s56, exec_lo
	v_cmpx_lt_u32_e64 v144, v169
	s_cbranch_execnz .LBB1251_1164
.LBB1251_1098:                          ;   in Loop: Header=BB1251_988 Depth=2
	s_or_b32 exec_lo, exec_lo, s56
	s_mov_b32 s56, exec_lo
	v_cmpx_lt_u32_e64 v145, v169
	s_cbranch_execnz .LBB1251_1165
.LBB1251_1099:                          ;   in Loop: Header=BB1251_988 Depth=2
	s_or_b32 exec_lo, exec_lo, s56
	s_mov_b32 s56, exec_lo
	v_cmpx_lt_u32_e64 v146, v169
	s_cbranch_execnz .LBB1251_1166
.LBB1251_1100:                          ;   in Loop: Header=BB1251_988 Depth=2
	s_or_b32 exec_lo, exec_lo, s56
	s_mov_b32 s56, exec_lo
	v_cmpx_lt_u32_e64 v147, v169
	s_cbranch_execnz .LBB1251_1167
.LBB1251_1101:                          ;   in Loop: Header=BB1251_988 Depth=2
	s_or_b32 exec_lo, exec_lo, s56
	s_and_saveexec_b32 s56, vcc_lo
	s_cbranch_execnz .LBB1251_1168
.LBB1251_1102:                          ;   in Loop: Header=BB1251_988 Depth=2
	s_or_b32 exec_lo, exec_lo, s56
	s_and_saveexec_b32 s56, s23
	s_cbranch_execnz .LBB1251_1169
.LBB1251_1103:                          ;   in Loop: Header=BB1251_988 Depth=2
	s_or_b32 exec_lo, exec_lo, s56
	s_and_saveexec_b32 s56, s24
	s_cbranch_execnz .LBB1251_1170
.LBB1251_1104:                          ;   in Loop: Header=BB1251_988 Depth=2
	s_or_b32 exec_lo, exec_lo, s56
	s_and_saveexec_b32 s56, s25
	s_cbranch_execnz .LBB1251_1171
.LBB1251_1105:                          ;   in Loop: Header=BB1251_988 Depth=2
	s_or_b32 exec_lo, exec_lo, s56
	s_and_saveexec_b32 s56, s26
	s_cbranch_execnz .LBB1251_1172
.LBB1251_1106:                          ;   in Loop: Header=BB1251_988 Depth=2
	s_or_b32 exec_lo, exec_lo, s56
	s_and_saveexec_b32 s56, s27
	s_cbranch_execnz .LBB1251_1173
.LBB1251_1107:                          ;   in Loop: Header=BB1251_988 Depth=2
	s_or_b32 exec_lo, exec_lo, s56
	s_and_saveexec_b32 s56, s28
	s_cbranch_execnz .LBB1251_1174
.LBB1251_1108:                          ;   in Loop: Header=BB1251_988 Depth=2
	s_or_b32 exec_lo, exec_lo, s56
	s_and_saveexec_b32 s56, s29
	s_cbranch_execnz .LBB1251_1175
.LBB1251_1109:                          ;   in Loop: Header=BB1251_988 Depth=2
	s_or_b32 exec_lo, exec_lo, s56
	s_and_saveexec_b32 s56, s30
	s_cbranch_execnz .LBB1251_1176
.LBB1251_1110:                          ;   in Loop: Header=BB1251_988 Depth=2
	s_or_b32 exec_lo, exec_lo, s56
	s_and_saveexec_b32 s56, s31
	s_cbranch_execnz .LBB1251_1177
.LBB1251_1111:                          ;   in Loop: Header=BB1251_988 Depth=2
	s_or_b32 exec_lo, exec_lo, s56
	s_and_saveexec_b32 s56, s33
	s_cbranch_execnz .LBB1251_1178
.LBB1251_1112:                          ;   in Loop: Header=BB1251_988 Depth=2
	s_or_b32 exec_lo, exec_lo, s56
	s_and_saveexec_b32 s56, s34
	s_cbranch_execnz .LBB1251_1179
.LBB1251_1113:                          ;   in Loop: Header=BB1251_988 Depth=2
	s_or_b32 exec_lo, exec_lo, s56
	s_and_saveexec_b32 s56, s35
	s_cbranch_execnz .LBB1251_1180
.LBB1251_1114:                          ;   in Loop: Header=BB1251_988 Depth=2
	s_or_b32 exec_lo, exec_lo, s56
	s_and_saveexec_b32 s56, s36
	s_cbranch_execnz .LBB1251_1181
.LBB1251_1115:                          ;   in Loop: Header=BB1251_988 Depth=2
	s_or_b32 exec_lo, exec_lo, s56
	s_and_saveexec_b32 s56, s37
	s_cbranch_execnz .LBB1251_1182
.LBB1251_1116:                          ;   in Loop: Header=BB1251_988 Depth=2
	s_or_b32 exec_lo, exec_lo, s56
	s_and_saveexec_b32 s56, s38
	s_cbranch_execz .LBB1251_1118
.LBB1251_1117:                          ;   in Loop: Header=BB1251_988 Depth=2
	ds_read_b64 v[39:40], v108 offset:31232
	s_waitcnt lgkmcnt(0)
	v_cmp_ne_u64_e64 s39, s[46:47], v[39:40]
	v_cndmask_b32_e64 v40, 0x80000000, v40, s39
	v_cndmask_b32_e64 v39, 0, v39, s39
	v_lshrrev_b64 v[39:40], s52, v[39:40]
	v_and_b32_e32 v151, s64, v39
.LBB1251_1118:                          ;   in Loop: Header=BB1251_988 Depth=2
	s_or_b32 exec_lo, exec_lo, s56
	s_waitcnt vmcnt(0)
	s_waitcnt_vscnt null, 0x0
	s_barrier
	buffer_gl0_inv
	ds_write_b64 v71, v[37:38] offset:512
	ds_write_b64 v72, v[35:36] offset:512
	;; [unrolled: 1-line block ×16, first 2 shown]
	s_waitcnt lgkmcnt(0)
	s_barrier
	buffer_gl0_inv
	s_and_saveexec_b32 s39, vcc_lo
	s_cbranch_execnz .LBB1251_1183
; %bb.1119:                             ;   in Loop: Header=BB1251_988 Depth=2
	s_or_b32 exec_lo, exec_lo, s39
	s_and_saveexec_b32 s39, s23
	s_cbranch_execnz .LBB1251_1184
.LBB1251_1120:                          ;   in Loop: Header=BB1251_988 Depth=2
	s_or_b32 exec_lo, exec_lo, s39
	s_and_saveexec_b32 s23, s24
	s_cbranch_execnz .LBB1251_1185
.LBB1251_1121:                          ;   in Loop: Header=BB1251_988 Depth=2
	s_or_b32 exec_lo, exec_lo, s23
	s_and_saveexec_b32 s23, s25
	s_cbranch_execnz .LBB1251_1186
.LBB1251_1122:                          ;   in Loop: Header=BB1251_988 Depth=2
	s_or_b32 exec_lo, exec_lo, s23
	s_and_saveexec_b32 s23, s26
	s_cbranch_execnz .LBB1251_1187
.LBB1251_1123:                          ;   in Loop: Header=BB1251_988 Depth=2
	s_or_b32 exec_lo, exec_lo, s23
	s_and_saveexec_b32 s23, s27
	s_cbranch_execnz .LBB1251_1188
.LBB1251_1124:                          ;   in Loop: Header=BB1251_988 Depth=2
	s_or_b32 exec_lo, exec_lo, s23
	s_and_saveexec_b32 s23, s28
	s_cbranch_execnz .LBB1251_1189
.LBB1251_1125:                          ;   in Loop: Header=BB1251_988 Depth=2
	s_or_b32 exec_lo, exec_lo, s23
	s_and_saveexec_b32 s23, s29
	s_cbranch_execnz .LBB1251_1190
.LBB1251_1126:                          ;   in Loop: Header=BB1251_988 Depth=2
	s_or_b32 exec_lo, exec_lo, s23
	s_and_saveexec_b32 s23, s30
	s_cbranch_execnz .LBB1251_1191
.LBB1251_1127:                          ;   in Loop: Header=BB1251_988 Depth=2
	s_or_b32 exec_lo, exec_lo, s23
	s_and_saveexec_b32 s23, s31
	s_cbranch_execnz .LBB1251_1192
.LBB1251_1128:                          ;   in Loop: Header=BB1251_988 Depth=2
	s_or_b32 exec_lo, exec_lo, s23
	s_and_saveexec_b32 s23, s33
	s_cbranch_execnz .LBB1251_1193
.LBB1251_1129:                          ;   in Loop: Header=BB1251_988 Depth=2
	s_or_b32 exec_lo, exec_lo, s23
	s_and_saveexec_b32 s23, s34
	s_cbranch_execnz .LBB1251_1194
.LBB1251_1130:                          ;   in Loop: Header=BB1251_988 Depth=2
	s_or_b32 exec_lo, exec_lo, s23
	s_and_saveexec_b32 s23, s35
	s_cbranch_execnz .LBB1251_1195
.LBB1251_1131:                          ;   in Loop: Header=BB1251_988 Depth=2
	s_or_b32 exec_lo, exec_lo, s23
	s_and_saveexec_b32 s23, s36
	s_cbranch_execnz .LBB1251_1196
.LBB1251_1132:                          ;   in Loop: Header=BB1251_988 Depth=2
	s_or_b32 exec_lo, exec_lo, s23
	s_and_saveexec_b32 s23, s37
	s_cbranch_execnz .LBB1251_1197
.LBB1251_1133:                          ;   in Loop: Header=BB1251_988 Depth=2
	s_or_b32 exec_lo, exec_lo, s23
	s_and_saveexec_b32 s23, s38
	s_cbranch_execz .LBB1251_1135
.LBB1251_1134:                          ;   in Loop: Header=BB1251_988 Depth=2
	v_lshlrev_b32_e32 v3, 2, v151
	ds_read_b32 v3, v3
	ds_read_b64 v[39:40], v108 offset:31232
	s_waitcnt lgkmcnt(1)
	v_add_nc_u32_e32 v3, v3, v92
	v_lshlrev_b64 v[41:42], 3, v[3:4]
	v_add_co_u32 v41, vcc_lo, s50, v41
	v_add_co_ci_u32_e64 v42, null, s51, v42, vcc_lo
	s_waitcnt lgkmcnt(0)
	global_store_dwordx2 v[41:42], v[39:40], off
.LBB1251_1135:                          ;   in Loop: Header=BB1251_988 Depth=2
	s_or_b32 exec_lo, exec_lo, s23
	s_waitcnt_vscnt null, 0x0
	s_barrier
	buffer_gl0_inv
	s_and_saveexec_b32 s23, s8
	s_cbranch_execz .LBB1251_987
; %bb.1136:                             ;   in Loop: Header=BB1251_988 Depth=2
	ds_read_b32 v3, v75
	s_waitcnt lgkmcnt(0)
	v_add3_u32 v3, v158, v168, v3
	ds_write_b32 v75, v3
	s_branch .LBB1251_987
.LBB1251_1137:                          ;   in Loop: Header=BB1251_988 Depth=2
	ds_read_b64 v[39:40], v108 offset:512
	s_waitcnt lgkmcnt(0)
	v_cmp_ne_u64_e64 s23, s[46:47], v[39:40]
	v_cndmask_b32_e64 v46, 0x80000000, v40, s23
	v_cndmask_b32_e64 v45, 0, v39, s23
	v_cmp_lt_i64_e64 s23, -1, v[39:40]
	v_lshrrev_b64 v[45:46], s52, v[45:46]
	v_cndmask_b32_e64 v47, 0x80000000, -1, s23
	v_and_b32_e32 v3, s64, v45
	v_ashrrev_i32_e32 v45, 31, v40
	v_xor_b32_e32 v40, v47, v40
	v_lshlrev_b32_e32 v3, 2, v3
	v_not_b32_e32 v48, v45
	ds_read_b32 v3, v3
	v_xor_b32_e32 v39, v48, v39
	s_waitcnt lgkmcnt(0)
	v_add_nc_u32_e32 v3, v3, v0
	v_lshlrev_b64 v[45:46], 3, v[3:4]
	v_add_co_u32 v45, s23, s44, v45
	v_add_co_ci_u32_e64 v46, null, s45, v46, s23
	global_store_dwordx2 v[45:46], v[39:40], off
	s_or_b32 exec_lo, exec_lo, s24
	v_cmp_lt_u32_e64 s23, v76, v169
	s_and_saveexec_b32 s25, s23
	s_cbranch_execz .LBB1251_1070
.LBB1251_1138:                          ;   in Loop: Header=BB1251_988 Depth=2
	ds_read_b64 v[39:40], v108 offset:2560
	s_waitcnt lgkmcnt(0)
	v_cmp_ne_u64_e64 s24, s[46:47], v[39:40]
	v_cndmask_b32_e64 v46, 0x80000000, v40, s24
	v_cndmask_b32_e64 v45, 0, v39, s24
	v_cmp_lt_i64_e64 s24, -1, v[39:40]
	v_lshrrev_b64 v[45:46], s52, v[45:46]
	v_cndmask_b32_e64 v47, 0x80000000, -1, s24
	v_and_b32_e32 v3, s64, v45
	v_ashrrev_i32_e32 v45, 31, v40
	v_xor_b32_e32 v40, v47, v40
	v_lshlrev_b32_e32 v3, 2, v3
	v_not_b32_e32 v48, v45
	ds_read_b32 v3, v3
	v_xor_b32_e32 v39, v48, v39
	s_waitcnt lgkmcnt(0)
	v_add_nc_u32_e32 v3, v3, v76
	v_lshlrev_b64 v[45:46], 3, v[3:4]
	v_add_co_u32 v45, s24, s44, v45
	v_add_co_ci_u32_e64 v46, null, s45, v46, s24
	global_store_dwordx2 v[45:46], v[39:40], off
	s_or_b32 exec_lo, exec_lo, s25
	v_cmp_lt_u32_e64 s24, v79, v169
	s_and_saveexec_b32 s26, s24
	s_cbranch_execz .LBB1251_1071
.LBB1251_1139:                          ;   in Loop: Header=BB1251_988 Depth=2
	ds_read_b64 v[39:40], v108 offset:4608
	s_waitcnt lgkmcnt(0)
	v_cmp_ne_u64_e64 s25, s[46:47], v[39:40]
	v_cndmask_b32_e64 v46, 0x80000000, v40, s25
	v_cndmask_b32_e64 v45, 0, v39, s25
	v_cmp_lt_i64_e64 s25, -1, v[39:40]
	v_lshrrev_b64 v[45:46], s52, v[45:46]
	v_cndmask_b32_e64 v47, 0x80000000, -1, s25
	v_and_b32_e32 v3, s64, v45
	v_ashrrev_i32_e32 v45, 31, v40
	v_xor_b32_e32 v40, v47, v40
	v_lshlrev_b32_e32 v3, 2, v3
	v_not_b32_e32 v48, v45
	ds_read_b32 v3, v3
	v_xor_b32_e32 v39, v48, v39
	s_waitcnt lgkmcnt(0)
	v_add_nc_u32_e32 v3, v3, v79
	v_lshlrev_b64 v[45:46], 3, v[3:4]
	v_add_co_u32 v45, s25, s44, v45
	v_add_co_ci_u32_e64 v46, null, s45, v46, s25
	global_store_dwordx2 v[45:46], v[39:40], off
	s_or_b32 exec_lo, exec_lo, s26
	v_cmp_lt_u32_e64 s25, v80, v169
	s_and_saveexec_b32 s27, s25
	s_cbranch_execz .LBB1251_1072
.LBB1251_1140:                          ;   in Loop: Header=BB1251_988 Depth=2
	ds_read_b64 v[39:40], v108 offset:6656
	s_waitcnt lgkmcnt(0)
	v_cmp_ne_u64_e64 s26, s[46:47], v[39:40]
	v_cndmask_b32_e64 v46, 0x80000000, v40, s26
	v_cndmask_b32_e64 v45, 0, v39, s26
	v_cmp_lt_i64_e64 s26, -1, v[39:40]
	v_lshrrev_b64 v[45:46], s52, v[45:46]
	v_cndmask_b32_e64 v47, 0x80000000, -1, s26
	v_and_b32_e32 v3, s64, v45
	v_ashrrev_i32_e32 v45, 31, v40
	v_xor_b32_e32 v40, v47, v40
	v_lshlrev_b32_e32 v3, 2, v3
	v_not_b32_e32 v48, v45
	ds_read_b32 v3, v3
	v_xor_b32_e32 v39, v48, v39
	s_waitcnt lgkmcnt(0)
	v_add_nc_u32_e32 v3, v3, v80
	v_lshlrev_b64 v[45:46], 3, v[3:4]
	v_add_co_u32 v45, s26, s44, v45
	v_add_co_ci_u32_e64 v46, null, s45, v46, s26
	global_store_dwordx2 v[45:46], v[39:40], off
	s_or_b32 exec_lo, exec_lo, s27
	v_cmp_lt_u32_e64 s26, v81, v169
	s_and_saveexec_b32 s28, s26
	s_cbranch_execz .LBB1251_1073
.LBB1251_1141:                          ;   in Loop: Header=BB1251_988 Depth=2
	ds_read_b64 v[39:40], v108 offset:8704
	s_waitcnt lgkmcnt(0)
	v_cmp_ne_u64_e64 s27, s[46:47], v[39:40]
	v_cndmask_b32_e64 v46, 0x80000000, v40, s27
	v_cndmask_b32_e64 v45, 0, v39, s27
	v_cmp_lt_i64_e64 s27, -1, v[39:40]
	v_lshrrev_b64 v[45:46], s52, v[45:46]
	v_cndmask_b32_e64 v47, 0x80000000, -1, s27
	v_and_b32_e32 v3, s64, v45
	v_ashrrev_i32_e32 v45, 31, v40
	v_xor_b32_e32 v40, v47, v40
	v_lshlrev_b32_e32 v3, 2, v3
	v_not_b32_e32 v48, v45
	ds_read_b32 v3, v3
	v_xor_b32_e32 v39, v48, v39
	s_waitcnt lgkmcnt(0)
	v_add_nc_u32_e32 v3, v3, v81
	v_lshlrev_b64 v[45:46], 3, v[3:4]
	v_add_co_u32 v45, s27, s44, v45
	v_add_co_ci_u32_e64 v46, null, s45, v46, s27
	global_store_dwordx2 v[45:46], v[39:40], off
	s_or_b32 exec_lo, exec_lo, s28
	v_cmp_lt_u32_e64 s27, v82, v169
	s_and_saveexec_b32 s29, s27
	s_cbranch_execz .LBB1251_1074
.LBB1251_1142:                          ;   in Loop: Header=BB1251_988 Depth=2
	ds_read_b64 v[39:40], v108 offset:10752
	s_waitcnt lgkmcnt(0)
	v_cmp_ne_u64_e64 s28, s[46:47], v[39:40]
	v_cndmask_b32_e64 v46, 0x80000000, v40, s28
	v_cndmask_b32_e64 v45, 0, v39, s28
	v_cmp_lt_i64_e64 s28, -1, v[39:40]
	v_lshrrev_b64 v[45:46], s52, v[45:46]
	v_cndmask_b32_e64 v47, 0x80000000, -1, s28
	v_and_b32_e32 v3, s64, v45
	v_ashrrev_i32_e32 v45, 31, v40
	v_xor_b32_e32 v40, v47, v40
	v_lshlrev_b32_e32 v3, 2, v3
	v_not_b32_e32 v48, v45
	ds_read_b32 v3, v3
	v_xor_b32_e32 v39, v48, v39
	s_waitcnt lgkmcnt(0)
	v_add_nc_u32_e32 v3, v3, v82
	v_lshlrev_b64 v[45:46], 3, v[3:4]
	v_add_co_u32 v45, s28, s44, v45
	v_add_co_ci_u32_e64 v46, null, s45, v46, s28
	global_store_dwordx2 v[45:46], v[39:40], off
	s_or_b32 exec_lo, exec_lo, s29
	v_cmp_lt_u32_e64 s28, v83, v169
	s_and_saveexec_b32 s30, s28
	s_cbranch_execz .LBB1251_1075
.LBB1251_1143:                          ;   in Loop: Header=BB1251_988 Depth=2
	ds_read_b64 v[39:40], v108 offset:12800
	s_waitcnt lgkmcnt(0)
	v_cmp_ne_u64_e64 s29, s[46:47], v[39:40]
	v_cndmask_b32_e64 v46, 0x80000000, v40, s29
	v_cndmask_b32_e64 v45, 0, v39, s29
	v_cmp_lt_i64_e64 s29, -1, v[39:40]
	v_lshrrev_b64 v[45:46], s52, v[45:46]
	v_cndmask_b32_e64 v47, 0x80000000, -1, s29
	v_and_b32_e32 v3, s64, v45
	v_ashrrev_i32_e32 v45, 31, v40
	v_xor_b32_e32 v40, v47, v40
	v_lshlrev_b32_e32 v3, 2, v3
	v_not_b32_e32 v48, v45
	ds_read_b32 v3, v3
	v_xor_b32_e32 v39, v48, v39
	s_waitcnt lgkmcnt(0)
	v_add_nc_u32_e32 v3, v3, v83
	v_lshlrev_b64 v[45:46], 3, v[3:4]
	v_add_co_u32 v45, s29, s44, v45
	v_add_co_ci_u32_e64 v46, null, s45, v46, s29
	global_store_dwordx2 v[45:46], v[39:40], off
	s_or_b32 exec_lo, exec_lo, s30
	v_cmp_lt_u32_e64 s29, v84, v169
	s_and_saveexec_b32 s31, s29
	s_cbranch_execz .LBB1251_1076
.LBB1251_1144:                          ;   in Loop: Header=BB1251_988 Depth=2
	ds_read_b64 v[39:40], v108 offset:14848
	s_waitcnt lgkmcnt(0)
	v_cmp_ne_u64_e64 s30, s[46:47], v[39:40]
	v_cndmask_b32_e64 v46, 0x80000000, v40, s30
	v_cndmask_b32_e64 v45, 0, v39, s30
	v_cmp_lt_i64_e64 s30, -1, v[39:40]
	v_lshrrev_b64 v[45:46], s52, v[45:46]
	v_cndmask_b32_e64 v47, 0x80000000, -1, s30
	v_and_b32_e32 v3, s64, v45
	v_ashrrev_i32_e32 v45, 31, v40
	v_xor_b32_e32 v40, v47, v40
	v_lshlrev_b32_e32 v3, 2, v3
	v_not_b32_e32 v48, v45
	ds_read_b32 v3, v3
	v_xor_b32_e32 v39, v48, v39
	s_waitcnt lgkmcnt(0)
	v_add_nc_u32_e32 v3, v3, v84
	v_lshlrev_b64 v[45:46], 3, v[3:4]
	v_add_co_u32 v45, s30, s44, v45
	v_add_co_ci_u32_e64 v46, null, s45, v46, s30
	global_store_dwordx2 v[45:46], v[39:40], off
	s_or_b32 exec_lo, exec_lo, s31
	v_cmp_lt_u32_e64 s30, v85, v169
	s_and_saveexec_b32 s33, s30
	s_cbranch_execz .LBB1251_1077
.LBB1251_1145:                          ;   in Loop: Header=BB1251_988 Depth=2
	ds_read_b64 v[39:40], v108 offset:16896
	s_waitcnt lgkmcnt(0)
	v_cmp_ne_u64_e64 s31, s[46:47], v[39:40]
	v_cndmask_b32_e64 v46, 0x80000000, v40, s31
	v_cndmask_b32_e64 v45, 0, v39, s31
	v_cmp_lt_i64_e64 s31, -1, v[39:40]
	v_lshrrev_b64 v[45:46], s52, v[45:46]
	v_cndmask_b32_e64 v47, 0x80000000, -1, s31
	v_and_b32_e32 v3, s64, v45
	v_ashrrev_i32_e32 v45, 31, v40
	v_xor_b32_e32 v40, v47, v40
	v_lshlrev_b32_e32 v3, 2, v3
	v_not_b32_e32 v48, v45
	ds_read_b32 v3, v3
	v_xor_b32_e32 v39, v48, v39
	s_waitcnt lgkmcnt(0)
	v_add_nc_u32_e32 v3, v3, v85
	v_lshlrev_b64 v[45:46], 3, v[3:4]
	v_add_co_u32 v45, s31, s44, v45
	v_add_co_ci_u32_e64 v46, null, s45, v46, s31
	global_store_dwordx2 v[45:46], v[39:40], off
	s_or_b32 exec_lo, exec_lo, s33
	v_cmp_lt_u32_e64 s31, v86, v169
	s_and_saveexec_b32 s34, s31
	s_cbranch_execz .LBB1251_1078
.LBB1251_1146:                          ;   in Loop: Header=BB1251_988 Depth=2
	ds_read_b64 v[39:40], v108 offset:18944
	s_waitcnt lgkmcnt(0)
	v_cmp_ne_u64_e64 s33, s[46:47], v[39:40]
	v_cndmask_b32_e64 v46, 0x80000000, v40, s33
	v_cndmask_b32_e64 v45, 0, v39, s33
	v_cmp_lt_i64_e64 s33, -1, v[39:40]
	v_lshrrev_b64 v[45:46], s52, v[45:46]
	v_cndmask_b32_e64 v47, 0x80000000, -1, s33
	v_and_b32_e32 v3, s64, v45
	v_ashrrev_i32_e32 v45, 31, v40
	v_xor_b32_e32 v40, v47, v40
	v_lshlrev_b32_e32 v3, 2, v3
	v_not_b32_e32 v48, v45
	ds_read_b32 v3, v3
	v_xor_b32_e32 v39, v48, v39
	s_waitcnt lgkmcnt(0)
	v_add_nc_u32_e32 v3, v3, v86
	v_lshlrev_b64 v[45:46], 3, v[3:4]
	v_add_co_u32 v45, s33, s44, v45
	v_add_co_ci_u32_e64 v46, null, s45, v46, s33
	global_store_dwordx2 v[45:46], v[39:40], off
	s_or_b32 exec_lo, exec_lo, s34
	v_cmp_lt_u32_e64 s33, v87, v169
	s_and_saveexec_b32 s35, s33
	s_cbranch_execz .LBB1251_1079
.LBB1251_1147:                          ;   in Loop: Header=BB1251_988 Depth=2
	ds_read_b64 v[39:40], v108 offset:20992
	s_waitcnt lgkmcnt(0)
	v_cmp_ne_u64_e64 s34, s[46:47], v[39:40]
	v_cndmask_b32_e64 v46, 0x80000000, v40, s34
	v_cndmask_b32_e64 v45, 0, v39, s34
	v_cmp_lt_i64_e64 s34, -1, v[39:40]
	v_lshrrev_b64 v[45:46], s52, v[45:46]
	v_cndmask_b32_e64 v47, 0x80000000, -1, s34
	v_and_b32_e32 v3, s64, v45
	v_ashrrev_i32_e32 v45, 31, v40
	v_xor_b32_e32 v40, v47, v40
	v_lshlrev_b32_e32 v3, 2, v3
	v_not_b32_e32 v48, v45
	ds_read_b32 v3, v3
	v_xor_b32_e32 v39, v48, v39
	s_waitcnt lgkmcnt(0)
	v_add_nc_u32_e32 v3, v3, v87
	v_lshlrev_b64 v[45:46], 3, v[3:4]
	v_add_co_u32 v45, s34, s44, v45
	v_add_co_ci_u32_e64 v46, null, s45, v46, s34
	global_store_dwordx2 v[45:46], v[39:40], off
	s_or_b32 exec_lo, exec_lo, s35
	v_cmp_lt_u32_e64 s34, v88, v169
	s_and_saveexec_b32 s36, s34
	s_cbranch_execz .LBB1251_1080
.LBB1251_1148:                          ;   in Loop: Header=BB1251_988 Depth=2
	ds_read_b64 v[39:40], v108 offset:23040
	s_waitcnt lgkmcnt(0)
	v_cmp_ne_u64_e64 s35, s[46:47], v[39:40]
	v_cndmask_b32_e64 v46, 0x80000000, v40, s35
	v_cndmask_b32_e64 v45, 0, v39, s35
	v_cmp_lt_i64_e64 s35, -1, v[39:40]
	v_lshrrev_b64 v[45:46], s52, v[45:46]
	v_cndmask_b32_e64 v47, 0x80000000, -1, s35
	v_and_b32_e32 v3, s64, v45
	v_ashrrev_i32_e32 v45, 31, v40
	v_xor_b32_e32 v40, v47, v40
	v_lshlrev_b32_e32 v3, 2, v3
	v_not_b32_e32 v48, v45
	ds_read_b32 v3, v3
	v_xor_b32_e32 v39, v48, v39
	s_waitcnt lgkmcnt(0)
	v_add_nc_u32_e32 v3, v3, v88
	v_lshlrev_b64 v[45:46], 3, v[3:4]
	v_add_co_u32 v45, s35, s44, v45
	v_add_co_ci_u32_e64 v46, null, s45, v46, s35
	global_store_dwordx2 v[45:46], v[39:40], off
	s_or_b32 exec_lo, exec_lo, s36
	v_cmp_lt_u32_e64 s35, v89, v169
	s_and_saveexec_b32 s37, s35
	s_cbranch_execz .LBB1251_1081
.LBB1251_1149:                          ;   in Loop: Header=BB1251_988 Depth=2
	ds_read_b64 v[39:40], v108 offset:25088
	s_waitcnt lgkmcnt(0)
	v_cmp_ne_u64_e64 s36, s[46:47], v[39:40]
	v_cndmask_b32_e64 v46, 0x80000000, v40, s36
	v_cndmask_b32_e64 v45, 0, v39, s36
	v_cmp_lt_i64_e64 s36, -1, v[39:40]
	v_lshrrev_b64 v[45:46], s52, v[45:46]
	v_cndmask_b32_e64 v47, 0x80000000, -1, s36
	v_and_b32_e32 v3, s64, v45
	v_ashrrev_i32_e32 v45, 31, v40
	v_xor_b32_e32 v40, v47, v40
	v_lshlrev_b32_e32 v3, 2, v3
	v_not_b32_e32 v48, v45
	ds_read_b32 v3, v3
	v_xor_b32_e32 v39, v48, v39
	s_waitcnt lgkmcnt(0)
	v_add_nc_u32_e32 v3, v3, v89
	v_lshlrev_b64 v[45:46], 3, v[3:4]
	v_add_co_u32 v45, s36, s44, v45
	v_add_co_ci_u32_e64 v46, null, s45, v46, s36
	global_store_dwordx2 v[45:46], v[39:40], off
	s_or_b32 exec_lo, exec_lo, s37
	v_cmp_lt_u32_e64 s36, v90, v169
	s_and_saveexec_b32 s38, s36
	s_cbranch_execz .LBB1251_1082
.LBB1251_1150:                          ;   in Loop: Header=BB1251_988 Depth=2
	ds_read_b64 v[39:40], v108 offset:27136
	s_waitcnt lgkmcnt(0)
	v_cmp_ne_u64_e64 s37, s[46:47], v[39:40]
	v_cndmask_b32_e64 v46, 0x80000000, v40, s37
	v_cndmask_b32_e64 v45, 0, v39, s37
	v_cmp_lt_i64_e64 s37, -1, v[39:40]
	v_lshrrev_b64 v[45:46], s52, v[45:46]
	v_cndmask_b32_e64 v47, 0x80000000, -1, s37
	v_and_b32_e32 v3, s64, v45
	v_ashrrev_i32_e32 v45, 31, v40
	v_xor_b32_e32 v40, v47, v40
	v_lshlrev_b32_e32 v3, 2, v3
	v_not_b32_e32 v48, v45
	ds_read_b32 v3, v3
	v_xor_b32_e32 v39, v48, v39
	s_waitcnt lgkmcnt(0)
	v_add_nc_u32_e32 v3, v3, v90
	v_lshlrev_b64 v[45:46], 3, v[3:4]
	v_add_co_u32 v45, s37, s44, v45
	v_add_co_ci_u32_e64 v46, null, s45, v46, s37
	global_store_dwordx2 v[45:46], v[39:40], off
	s_or_b32 exec_lo, exec_lo, s38
	v_cmp_lt_u32_e64 s37, v91, v169
	s_and_saveexec_b32 s39, s37
	s_cbranch_execz .LBB1251_1083
.LBB1251_1151:                          ;   in Loop: Header=BB1251_988 Depth=2
	ds_read_b64 v[39:40], v108 offset:29184
	s_waitcnt lgkmcnt(0)
	v_cmp_ne_u64_e64 s38, s[46:47], v[39:40]
	v_cndmask_b32_e64 v46, 0x80000000, v40, s38
	v_cndmask_b32_e64 v45, 0, v39, s38
	v_cmp_lt_i64_e64 s38, -1, v[39:40]
	v_lshrrev_b64 v[45:46], s52, v[45:46]
	v_cndmask_b32_e64 v47, 0x80000000, -1, s38
	v_and_b32_e32 v3, s64, v45
	v_ashrrev_i32_e32 v45, 31, v40
	v_xor_b32_e32 v40, v47, v40
	v_lshlrev_b32_e32 v3, 2, v3
	v_not_b32_e32 v48, v45
	ds_read_b32 v3, v3
	v_xor_b32_e32 v39, v48, v39
	s_waitcnt lgkmcnt(0)
	v_add_nc_u32_e32 v3, v3, v91
	v_lshlrev_b64 v[45:46], 3, v[3:4]
	v_add_co_u32 v45, s38, s44, v45
	v_add_co_ci_u32_e64 v46, null, s45, v46, s38
	global_store_dwordx2 v[45:46], v[39:40], off
	s_or_b32 exec_lo, exec_lo, s39
	v_cmp_lt_u32_e64 s38, v92, v169
	s_and_saveexec_b32 s67, s38
	s_cbranch_execnz .LBB1251_1084
	s_branch .LBB1251_1085
.LBB1251_1152:                          ;   in Loop: Header=BB1251_988 Depth=2
	global_load_dwordx2 v[37:38], v[39:40], off
	s_or_b32 exec_lo, exec_lo, s39
	s_mov_b32 s56, exec_lo
	v_cmpx_lt_u32_e64 v133, v169
	s_cbranch_execz .LBB1251_1087
.LBB1251_1153:                          ;   in Loop: Header=BB1251_988 Depth=2
	global_load_dwordx2 v[35:36], v[39:40], off offset:256
	s_or_b32 exec_lo, exec_lo, s56
	s_mov_b32 s56, exec_lo
	v_cmpx_lt_u32_e64 v134, v169
	s_cbranch_execz .LBB1251_1088
.LBB1251_1154:                          ;   in Loop: Header=BB1251_988 Depth=2
	global_load_dwordx2 v[33:34], v[39:40], off offset:512
	s_or_b32 exec_lo, exec_lo, s56
	s_mov_b32 s56, exec_lo
	v_cmpx_lt_u32_e64 v135, v169
	s_cbranch_execz .LBB1251_1089
.LBB1251_1155:                          ;   in Loop: Header=BB1251_988 Depth=2
	global_load_dwordx2 v[31:32], v[39:40], off offset:768
	s_or_b32 exec_lo, exec_lo, s56
	s_mov_b32 s56, exec_lo
	v_cmpx_lt_u32_e64 v136, v169
	s_cbranch_execz .LBB1251_1090
.LBB1251_1156:                          ;   in Loop: Header=BB1251_988 Depth=2
	global_load_dwordx2 v[29:30], v[39:40], off offset:1024
	s_or_b32 exec_lo, exec_lo, s56
	s_mov_b32 s56, exec_lo
	v_cmpx_lt_u32_e64 v137, v169
	s_cbranch_execz .LBB1251_1091
.LBB1251_1157:                          ;   in Loop: Header=BB1251_988 Depth=2
	global_load_dwordx2 v[25:26], v[39:40], off offset:1280
	s_or_b32 exec_lo, exec_lo, s56
	s_mov_b32 s56, exec_lo
	v_cmpx_lt_u32_e64 v138, v169
	s_cbranch_execz .LBB1251_1092
.LBB1251_1158:                          ;   in Loop: Header=BB1251_988 Depth=2
	global_load_dwordx2 v[21:22], v[39:40], off offset:1536
	s_or_b32 exec_lo, exec_lo, s56
	s_mov_b32 s56, exec_lo
	v_cmpx_lt_u32_e64 v139, v169
	s_cbranch_execz .LBB1251_1093
.LBB1251_1159:                          ;   in Loop: Header=BB1251_988 Depth=2
	global_load_dwordx2 v[17:18], v[39:40], off offset:1792
	s_or_b32 exec_lo, exec_lo, s56
	s_mov_b32 s56, exec_lo
	v_cmpx_lt_u32_e64 v140, v169
	s_cbranch_execz .LBB1251_1094
.LBB1251_1160:                          ;   in Loop: Header=BB1251_988 Depth=2
	v_add_co_u32 v27, s39, 0x800, v39
	v_add_co_ci_u32_e64 v28, null, 0, v40, s39
	global_load_dwordx2 v[27:28], v[27:28], off
	s_or_b32 exec_lo, exec_lo, s56
	s_mov_b32 s56, exec_lo
	v_cmpx_lt_u32_e64 v141, v169
	s_cbranch_execz .LBB1251_1095
.LBB1251_1161:                          ;   in Loop: Header=BB1251_988 Depth=2
	v_add_co_u32 v23, s39, 0x800, v39
	v_add_co_ci_u32_e64 v24, null, 0, v40, s39
	global_load_dwordx2 v[23:24], v[23:24], off offset:256
	s_or_b32 exec_lo, exec_lo, s56
	s_mov_b32 s56, exec_lo
	v_cmpx_lt_u32_e64 v142, v169
	s_cbranch_execz .LBB1251_1096
.LBB1251_1162:                          ;   in Loop: Header=BB1251_988 Depth=2
	v_add_co_u32 v19, s39, 0x800, v39
	v_add_co_ci_u32_e64 v20, null, 0, v40, s39
	global_load_dwordx2 v[19:20], v[19:20], off offset:512
	s_or_b32 exec_lo, exec_lo, s56
	s_mov_b32 s56, exec_lo
	v_cmpx_lt_u32_e64 v143, v169
	s_cbranch_execz .LBB1251_1097
.LBB1251_1163:                          ;   in Loop: Header=BB1251_988 Depth=2
	v_add_co_u32 v15, s39, 0x800, v39
	v_add_co_ci_u32_e64 v16, null, 0, v40, s39
	global_load_dwordx2 v[15:16], v[15:16], off offset:768
	s_or_b32 exec_lo, exec_lo, s56
	s_mov_b32 s56, exec_lo
	v_cmpx_lt_u32_e64 v144, v169
	s_cbranch_execz .LBB1251_1098
.LBB1251_1164:                          ;   in Loop: Header=BB1251_988 Depth=2
	v_add_co_u32 v13, s39, 0x800, v39
	v_add_co_ci_u32_e64 v14, null, 0, v40, s39
	global_load_dwordx2 v[13:14], v[13:14], off offset:1024
	s_or_b32 exec_lo, exec_lo, s56
	s_mov_b32 s56, exec_lo
	v_cmpx_lt_u32_e64 v145, v169
	s_cbranch_execz .LBB1251_1099
.LBB1251_1165:                          ;   in Loop: Header=BB1251_988 Depth=2
	v_add_co_u32 v11, s39, 0x800, v39
	v_add_co_ci_u32_e64 v12, null, 0, v40, s39
	global_load_dwordx2 v[11:12], v[11:12], off offset:1280
	s_or_b32 exec_lo, exec_lo, s56
	s_mov_b32 s56, exec_lo
	v_cmpx_lt_u32_e64 v146, v169
	s_cbranch_execz .LBB1251_1100
.LBB1251_1166:                          ;   in Loop: Header=BB1251_988 Depth=2
	v_add_co_u32 v9, s39, 0x800, v39
	v_add_co_ci_u32_e64 v10, null, 0, v40, s39
	global_load_dwordx2 v[9:10], v[9:10], off offset:1536
	s_or_b32 exec_lo, exec_lo, s56
	s_mov_b32 s56, exec_lo
	v_cmpx_lt_u32_e64 v147, v169
	s_cbranch_execz .LBB1251_1101
.LBB1251_1167:                          ;   in Loop: Header=BB1251_988 Depth=2
	v_add_co_u32 v7, s39, 0x800, v39
	v_add_co_ci_u32_e64 v8, null, 0, v40, s39
	global_load_dwordx2 v[7:8], v[7:8], off offset:1792
	s_or_b32 exec_lo, exec_lo, s56
	s_and_saveexec_b32 s56, vcc_lo
	s_cbranch_execz .LBB1251_1102
.LBB1251_1168:                          ;   in Loop: Header=BB1251_988 Depth=2
	ds_read_b64 v[39:40], v108 offset:512
	s_waitcnt lgkmcnt(0)
	v_cmp_ne_u64_e64 s39, s[46:47], v[39:40]
	v_cndmask_b32_e64 v40, 0x80000000, v40, s39
	v_cndmask_b32_e64 v39, 0, v39, s39
	v_lshrrev_b64 v[39:40], s52, v[39:40]
	v_and_b32_e32 v167, s64, v39
	s_or_b32 exec_lo, exec_lo, s56
	s_and_saveexec_b32 s56, s23
	s_cbranch_execz .LBB1251_1103
.LBB1251_1169:                          ;   in Loop: Header=BB1251_988 Depth=2
	ds_read_b64 v[39:40], v108 offset:2560
	s_waitcnt lgkmcnt(0)
	v_cmp_ne_u64_e64 s39, s[46:47], v[39:40]
	v_cndmask_b32_e64 v40, 0x80000000, v40, s39
	v_cndmask_b32_e64 v39, 0, v39, s39
	v_lshrrev_b64 v[39:40], s52, v[39:40]
	v_and_b32_e32 v166, s64, v39
	s_or_b32 exec_lo, exec_lo, s56
	s_and_saveexec_b32 s56, s24
	s_cbranch_execz .LBB1251_1104
.LBB1251_1170:                          ;   in Loop: Header=BB1251_988 Depth=2
	ds_read_b64 v[39:40], v108 offset:4608
	s_waitcnt lgkmcnt(0)
	v_cmp_ne_u64_e64 s39, s[46:47], v[39:40]
	v_cndmask_b32_e64 v40, 0x80000000, v40, s39
	v_cndmask_b32_e64 v39, 0, v39, s39
	v_lshrrev_b64 v[39:40], s52, v[39:40]
	v_and_b32_e32 v165, s64, v39
	s_or_b32 exec_lo, exec_lo, s56
	s_and_saveexec_b32 s56, s25
	s_cbranch_execz .LBB1251_1105
.LBB1251_1171:                          ;   in Loop: Header=BB1251_988 Depth=2
	ds_read_b64 v[39:40], v108 offset:6656
	s_waitcnt lgkmcnt(0)
	v_cmp_ne_u64_e64 s39, s[46:47], v[39:40]
	v_cndmask_b32_e64 v40, 0x80000000, v40, s39
	v_cndmask_b32_e64 v39, 0, v39, s39
	v_lshrrev_b64 v[39:40], s52, v[39:40]
	v_and_b32_e32 v164, s64, v39
	s_or_b32 exec_lo, exec_lo, s56
	s_and_saveexec_b32 s56, s26
	s_cbranch_execz .LBB1251_1106
.LBB1251_1172:                          ;   in Loop: Header=BB1251_988 Depth=2
	ds_read_b64 v[39:40], v108 offset:8704
	s_waitcnt lgkmcnt(0)
	v_cmp_ne_u64_e64 s39, s[46:47], v[39:40]
	v_cndmask_b32_e64 v40, 0x80000000, v40, s39
	v_cndmask_b32_e64 v39, 0, v39, s39
	v_lshrrev_b64 v[39:40], s52, v[39:40]
	v_and_b32_e32 v163, s64, v39
	s_or_b32 exec_lo, exec_lo, s56
	s_and_saveexec_b32 s56, s27
	s_cbranch_execz .LBB1251_1107
.LBB1251_1173:                          ;   in Loop: Header=BB1251_988 Depth=2
	ds_read_b64 v[39:40], v108 offset:10752
	s_waitcnt lgkmcnt(0)
	v_cmp_ne_u64_e64 s39, s[46:47], v[39:40]
	v_cndmask_b32_e64 v40, 0x80000000, v40, s39
	v_cndmask_b32_e64 v39, 0, v39, s39
	v_lshrrev_b64 v[39:40], s52, v[39:40]
	v_and_b32_e32 v162, s64, v39
	s_or_b32 exec_lo, exec_lo, s56
	s_and_saveexec_b32 s56, s28
	s_cbranch_execz .LBB1251_1108
.LBB1251_1174:                          ;   in Loop: Header=BB1251_988 Depth=2
	ds_read_b64 v[39:40], v108 offset:12800
	s_waitcnt lgkmcnt(0)
	v_cmp_ne_u64_e64 s39, s[46:47], v[39:40]
	v_cndmask_b32_e64 v40, 0x80000000, v40, s39
	v_cndmask_b32_e64 v39, 0, v39, s39
	v_lshrrev_b64 v[39:40], s52, v[39:40]
	v_and_b32_e32 v161, s64, v39
	s_or_b32 exec_lo, exec_lo, s56
	s_and_saveexec_b32 s56, s29
	s_cbranch_execz .LBB1251_1109
.LBB1251_1175:                          ;   in Loop: Header=BB1251_988 Depth=2
	ds_read_b64 v[39:40], v108 offset:14848
	s_waitcnt lgkmcnt(0)
	v_cmp_ne_u64_e64 s39, s[46:47], v[39:40]
	v_cndmask_b32_e64 v40, 0x80000000, v40, s39
	v_cndmask_b32_e64 v39, 0, v39, s39
	v_lshrrev_b64 v[39:40], s52, v[39:40]
	v_and_b32_e32 v160, s64, v39
	s_or_b32 exec_lo, exec_lo, s56
	s_and_saveexec_b32 s56, s30
	s_cbranch_execz .LBB1251_1110
.LBB1251_1176:                          ;   in Loop: Header=BB1251_988 Depth=2
	ds_read_b64 v[39:40], v108 offset:16896
	s_waitcnt lgkmcnt(0)
	v_cmp_ne_u64_e64 s39, s[46:47], v[39:40]
	v_cndmask_b32_e64 v40, 0x80000000, v40, s39
	v_cndmask_b32_e64 v39, 0, v39, s39
	v_lshrrev_b64 v[39:40], s52, v[39:40]
	v_and_b32_e32 v159, s64, v39
	s_or_b32 exec_lo, exec_lo, s56
	s_and_saveexec_b32 s56, s31
	s_cbranch_execz .LBB1251_1111
.LBB1251_1177:                          ;   in Loop: Header=BB1251_988 Depth=2
	ds_read_b64 v[39:40], v108 offset:18944
	s_waitcnt lgkmcnt(0)
	v_cmp_ne_u64_e64 s39, s[46:47], v[39:40]
	v_cndmask_b32_e64 v40, 0x80000000, v40, s39
	v_cndmask_b32_e64 v39, 0, v39, s39
	v_lshrrev_b64 v[39:40], s52, v[39:40]
	v_and_b32_e32 v157, s64, v39
	s_or_b32 exec_lo, exec_lo, s56
	s_and_saveexec_b32 s56, s33
	s_cbranch_execz .LBB1251_1112
.LBB1251_1178:                          ;   in Loop: Header=BB1251_988 Depth=2
	ds_read_b64 v[39:40], v108 offset:20992
	s_waitcnt lgkmcnt(0)
	v_cmp_ne_u64_e64 s39, s[46:47], v[39:40]
	v_cndmask_b32_e64 v40, 0x80000000, v40, s39
	v_cndmask_b32_e64 v39, 0, v39, s39
	v_lshrrev_b64 v[39:40], s52, v[39:40]
	v_and_b32_e32 v156, s64, v39
	s_or_b32 exec_lo, exec_lo, s56
	s_and_saveexec_b32 s56, s34
	s_cbranch_execz .LBB1251_1113
.LBB1251_1179:                          ;   in Loop: Header=BB1251_988 Depth=2
	ds_read_b64 v[39:40], v108 offset:23040
	s_waitcnt lgkmcnt(0)
	v_cmp_ne_u64_e64 s39, s[46:47], v[39:40]
	v_cndmask_b32_e64 v40, 0x80000000, v40, s39
	v_cndmask_b32_e64 v39, 0, v39, s39
	v_lshrrev_b64 v[39:40], s52, v[39:40]
	v_and_b32_e32 v155, s64, v39
	s_or_b32 exec_lo, exec_lo, s56
	s_and_saveexec_b32 s56, s35
	s_cbranch_execz .LBB1251_1114
.LBB1251_1180:                          ;   in Loop: Header=BB1251_988 Depth=2
	ds_read_b64 v[39:40], v108 offset:25088
	s_waitcnt lgkmcnt(0)
	v_cmp_ne_u64_e64 s39, s[46:47], v[39:40]
	v_cndmask_b32_e64 v40, 0x80000000, v40, s39
	v_cndmask_b32_e64 v39, 0, v39, s39
	v_lshrrev_b64 v[39:40], s52, v[39:40]
	v_and_b32_e32 v154, s64, v39
	s_or_b32 exec_lo, exec_lo, s56
	s_and_saveexec_b32 s56, s36
	s_cbranch_execz .LBB1251_1115
.LBB1251_1181:                          ;   in Loop: Header=BB1251_988 Depth=2
	ds_read_b64 v[39:40], v108 offset:27136
	s_waitcnt lgkmcnt(0)
	v_cmp_ne_u64_e64 s39, s[46:47], v[39:40]
	v_cndmask_b32_e64 v40, 0x80000000, v40, s39
	v_cndmask_b32_e64 v39, 0, v39, s39
	v_lshrrev_b64 v[39:40], s52, v[39:40]
	v_and_b32_e32 v153, s64, v39
	s_or_b32 exec_lo, exec_lo, s56
	s_and_saveexec_b32 s56, s37
	s_cbranch_execz .LBB1251_1116
.LBB1251_1182:                          ;   in Loop: Header=BB1251_988 Depth=2
	ds_read_b64 v[39:40], v108 offset:29184
	s_waitcnt lgkmcnt(0)
	v_cmp_ne_u64_e64 s39, s[46:47], v[39:40]
	v_cndmask_b32_e64 v40, 0x80000000, v40, s39
	v_cndmask_b32_e64 v39, 0, v39, s39
	v_lshrrev_b64 v[39:40], s52, v[39:40]
	v_and_b32_e32 v152, s64, v39
	s_or_b32 exec_lo, exec_lo, s56
	s_and_saveexec_b32 s56, s38
	s_cbranch_execnz .LBB1251_1117
	s_branch .LBB1251_1118
.LBB1251_1183:                          ;   in Loop: Header=BB1251_988 Depth=2
	v_lshlrev_b32_e32 v3, 2, v167
	ds_read_b32 v3, v3
	ds_read_b64 v[39:40], v108 offset:512
	s_waitcnt lgkmcnt(1)
	v_add_nc_u32_e32 v3, v3, v0
	v_lshlrev_b64 v[41:42], 3, v[3:4]
	v_add_co_u32 v41, vcc_lo, s50, v41
	v_add_co_ci_u32_e64 v42, null, s51, v42, vcc_lo
	s_waitcnt lgkmcnt(0)
	global_store_dwordx2 v[41:42], v[39:40], off
	s_or_b32 exec_lo, exec_lo, s39
	s_and_saveexec_b32 s39, s23
	s_cbranch_execz .LBB1251_1120
.LBB1251_1184:                          ;   in Loop: Header=BB1251_988 Depth=2
	v_lshlrev_b32_e32 v3, 2, v166
	ds_read_b32 v3, v3
	ds_read_b64 v[39:40], v108 offset:2560
	s_waitcnt lgkmcnt(1)
	v_add_nc_u32_e32 v3, v3, v76
	v_lshlrev_b64 v[41:42], 3, v[3:4]
	v_add_co_u32 v41, vcc_lo, s50, v41
	v_add_co_ci_u32_e64 v42, null, s51, v42, vcc_lo
	s_waitcnt lgkmcnt(0)
	global_store_dwordx2 v[41:42], v[39:40], off
	s_or_b32 exec_lo, exec_lo, s39
	s_and_saveexec_b32 s23, s24
	s_cbranch_execz .LBB1251_1121
.LBB1251_1185:                          ;   in Loop: Header=BB1251_988 Depth=2
	v_lshlrev_b32_e32 v3, 2, v165
	ds_read_b32 v3, v3
	ds_read_b64 v[39:40], v108 offset:4608
	s_waitcnt lgkmcnt(1)
	v_add_nc_u32_e32 v3, v3, v79
	v_lshlrev_b64 v[41:42], 3, v[3:4]
	v_add_co_u32 v41, vcc_lo, s50, v41
	v_add_co_ci_u32_e64 v42, null, s51, v42, vcc_lo
	s_waitcnt lgkmcnt(0)
	global_store_dwordx2 v[41:42], v[39:40], off
	s_or_b32 exec_lo, exec_lo, s23
	s_and_saveexec_b32 s23, s25
	s_cbranch_execz .LBB1251_1122
.LBB1251_1186:                          ;   in Loop: Header=BB1251_988 Depth=2
	v_lshlrev_b32_e32 v3, 2, v164
	ds_read_b32 v3, v3
	ds_read_b64 v[39:40], v108 offset:6656
	s_waitcnt lgkmcnt(1)
	v_add_nc_u32_e32 v3, v3, v80
	v_lshlrev_b64 v[41:42], 3, v[3:4]
	v_add_co_u32 v41, vcc_lo, s50, v41
	v_add_co_ci_u32_e64 v42, null, s51, v42, vcc_lo
	s_waitcnt lgkmcnt(0)
	global_store_dwordx2 v[41:42], v[39:40], off
	s_or_b32 exec_lo, exec_lo, s23
	s_and_saveexec_b32 s23, s26
	s_cbranch_execz .LBB1251_1123
.LBB1251_1187:                          ;   in Loop: Header=BB1251_988 Depth=2
	v_lshlrev_b32_e32 v3, 2, v163
	ds_read_b32 v3, v3
	ds_read_b64 v[39:40], v108 offset:8704
	s_waitcnt lgkmcnt(1)
	v_add_nc_u32_e32 v3, v3, v81
	v_lshlrev_b64 v[41:42], 3, v[3:4]
	v_add_co_u32 v41, vcc_lo, s50, v41
	v_add_co_ci_u32_e64 v42, null, s51, v42, vcc_lo
	s_waitcnt lgkmcnt(0)
	global_store_dwordx2 v[41:42], v[39:40], off
	s_or_b32 exec_lo, exec_lo, s23
	s_and_saveexec_b32 s23, s27
	s_cbranch_execz .LBB1251_1124
.LBB1251_1188:                          ;   in Loop: Header=BB1251_988 Depth=2
	v_lshlrev_b32_e32 v3, 2, v162
	ds_read_b32 v3, v3
	ds_read_b64 v[39:40], v108 offset:10752
	s_waitcnt lgkmcnt(1)
	v_add_nc_u32_e32 v3, v3, v82
	v_lshlrev_b64 v[41:42], 3, v[3:4]
	v_add_co_u32 v41, vcc_lo, s50, v41
	v_add_co_ci_u32_e64 v42, null, s51, v42, vcc_lo
	s_waitcnt lgkmcnt(0)
	global_store_dwordx2 v[41:42], v[39:40], off
	s_or_b32 exec_lo, exec_lo, s23
	s_and_saveexec_b32 s23, s28
	s_cbranch_execz .LBB1251_1125
.LBB1251_1189:                          ;   in Loop: Header=BB1251_988 Depth=2
	v_lshlrev_b32_e32 v3, 2, v161
	ds_read_b32 v3, v3
	ds_read_b64 v[39:40], v108 offset:12800
	s_waitcnt lgkmcnt(1)
	v_add_nc_u32_e32 v3, v3, v83
	v_lshlrev_b64 v[41:42], 3, v[3:4]
	v_add_co_u32 v41, vcc_lo, s50, v41
	v_add_co_ci_u32_e64 v42, null, s51, v42, vcc_lo
	s_waitcnt lgkmcnt(0)
	global_store_dwordx2 v[41:42], v[39:40], off
	s_or_b32 exec_lo, exec_lo, s23
	s_and_saveexec_b32 s23, s29
	s_cbranch_execz .LBB1251_1126
.LBB1251_1190:                          ;   in Loop: Header=BB1251_988 Depth=2
	v_lshlrev_b32_e32 v3, 2, v160
	ds_read_b32 v3, v3
	ds_read_b64 v[39:40], v108 offset:14848
	s_waitcnt lgkmcnt(1)
	v_add_nc_u32_e32 v3, v3, v84
	v_lshlrev_b64 v[41:42], 3, v[3:4]
	v_add_co_u32 v41, vcc_lo, s50, v41
	v_add_co_ci_u32_e64 v42, null, s51, v42, vcc_lo
	s_waitcnt lgkmcnt(0)
	global_store_dwordx2 v[41:42], v[39:40], off
	s_or_b32 exec_lo, exec_lo, s23
	s_and_saveexec_b32 s23, s30
	s_cbranch_execz .LBB1251_1127
.LBB1251_1191:                          ;   in Loop: Header=BB1251_988 Depth=2
	v_lshlrev_b32_e32 v3, 2, v159
	ds_read_b32 v3, v3
	ds_read_b64 v[39:40], v108 offset:16896
	s_waitcnt lgkmcnt(1)
	v_add_nc_u32_e32 v3, v3, v85
	v_lshlrev_b64 v[41:42], 3, v[3:4]
	v_add_co_u32 v41, vcc_lo, s50, v41
	v_add_co_ci_u32_e64 v42, null, s51, v42, vcc_lo
	s_waitcnt lgkmcnt(0)
	global_store_dwordx2 v[41:42], v[39:40], off
	s_or_b32 exec_lo, exec_lo, s23
	s_and_saveexec_b32 s23, s31
	s_cbranch_execz .LBB1251_1128
.LBB1251_1192:                          ;   in Loop: Header=BB1251_988 Depth=2
	v_lshlrev_b32_e32 v3, 2, v157
	ds_read_b32 v3, v3
	ds_read_b64 v[39:40], v108 offset:18944
	s_waitcnt lgkmcnt(1)
	v_add_nc_u32_e32 v3, v3, v86
	v_lshlrev_b64 v[41:42], 3, v[3:4]
	v_add_co_u32 v41, vcc_lo, s50, v41
	v_add_co_ci_u32_e64 v42, null, s51, v42, vcc_lo
	s_waitcnt lgkmcnt(0)
	global_store_dwordx2 v[41:42], v[39:40], off
	s_or_b32 exec_lo, exec_lo, s23
	s_and_saveexec_b32 s23, s33
	s_cbranch_execz .LBB1251_1129
.LBB1251_1193:                          ;   in Loop: Header=BB1251_988 Depth=2
	v_lshlrev_b32_e32 v3, 2, v156
	ds_read_b32 v3, v3
	ds_read_b64 v[39:40], v108 offset:20992
	s_waitcnt lgkmcnt(1)
	v_add_nc_u32_e32 v3, v3, v87
	v_lshlrev_b64 v[41:42], 3, v[3:4]
	v_add_co_u32 v41, vcc_lo, s50, v41
	v_add_co_ci_u32_e64 v42, null, s51, v42, vcc_lo
	s_waitcnt lgkmcnt(0)
	global_store_dwordx2 v[41:42], v[39:40], off
	s_or_b32 exec_lo, exec_lo, s23
	s_and_saveexec_b32 s23, s34
	s_cbranch_execz .LBB1251_1130
.LBB1251_1194:                          ;   in Loop: Header=BB1251_988 Depth=2
	v_lshlrev_b32_e32 v3, 2, v155
	ds_read_b32 v3, v3
	ds_read_b64 v[39:40], v108 offset:23040
	s_waitcnt lgkmcnt(1)
	v_add_nc_u32_e32 v3, v3, v88
	v_lshlrev_b64 v[41:42], 3, v[3:4]
	v_add_co_u32 v41, vcc_lo, s50, v41
	v_add_co_ci_u32_e64 v42, null, s51, v42, vcc_lo
	s_waitcnt lgkmcnt(0)
	global_store_dwordx2 v[41:42], v[39:40], off
	s_or_b32 exec_lo, exec_lo, s23
	s_and_saveexec_b32 s23, s35
	s_cbranch_execz .LBB1251_1131
.LBB1251_1195:                          ;   in Loop: Header=BB1251_988 Depth=2
	v_lshlrev_b32_e32 v3, 2, v154
	ds_read_b32 v3, v3
	ds_read_b64 v[39:40], v108 offset:25088
	s_waitcnt lgkmcnt(1)
	v_add_nc_u32_e32 v3, v3, v89
	v_lshlrev_b64 v[41:42], 3, v[3:4]
	v_add_co_u32 v41, vcc_lo, s50, v41
	v_add_co_ci_u32_e64 v42, null, s51, v42, vcc_lo
	s_waitcnt lgkmcnt(0)
	global_store_dwordx2 v[41:42], v[39:40], off
	s_or_b32 exec_lo, exec_lo, s23
	s_and_saveexec_b32 s23, s36
	s_cbranch_execz .LBB1251_1132
.LBB1251_1196:                          ;   in Loop: Header=BB1251_988 Depth=2
	v_lshlrev_b32_e32 v3, 2, v153
	ds_read_b32 v3, v3
	ds_read_b64 v[39:40], v108 offset:27136
	s_waitcnt lgkmcnt(1)
	v_add_nc_u32_e32 v3, v3, v90
	v_lshlrev_b64 v[41:42], 3, v[3:4]
	v_add_co_u32 v41, vcc_lo, s50, v41
	v_add_co_ci_u32_e64 v42, null, s51, v42, vcc_lo
	s_waitcnt lgkmcnt(0)
	global_store_dwordx2 v[41:42], v[39:40], off
	s_or_b32 exec_lo, exec_lo, s23
	s_and_saveexec_b32 s23, s37
	s_cbranch_execz .LBB1251_1133
.LBB1251_1197:                          ;   in Loop: Header=BB1251_988 Depth=2
	v_lshlrev_b32_e32 v3, 2, v152
	ds_read_b32 v3, v3
	ds_read_b64 v[39:40], v108 offset:29184
	s_waitcnt lgkmcnt(1)
	v_add_nc_u32_e32 v3, v3, v91
	v_lshlrev_b64 v[41:42], 3, v[3:4]
	v_add_co_u32 v41, vcc_lo, s50, v41
	v_add_co_ci_u32_e64 v42, null, s51, v42, vcc_lo
	s_waitcnt lgkmcnt(0)
	global_store_dwordx2 v[41:42], v[39:40], off
	s_or_b32 exec_lo, exec_lo, s23
	s_and_saveexec_b32 s23, s38
	s_cbranch_execnz .LBB1251_1134
	s_branch .LBB1251_1135
.LBB1251_1198:
	s_endpgm
	.section	.rodata,"a",@progbits
	.p2align	6, 0x0
	.amdhsa_kernel _ZN7rocprim17ROCPRIM_400000_NS6detail17trampoline_kernelINS0_14default_configENS1_36segmented_radix_sort_config_selectorIdlEEZNS1_25segmented_radix_sort_implIS3_Lb0EPKdPdPKlPlN2at6native12_GLOBAL__N_18offset_tEEE10hipError_tPvRmT1_PNSt15iterator_traitsISK_E10value_typeET2_T3_PNSL_ISQ_E10value_typeET4_jRbjT5_SW_jjP12ihipStream_tbEUlT_E2_NS1_11comp_targetILNS1_3genE8ELNS1_11target_archE1030ELNS1_3gpuE2ELNS1_3repE0EEENS1_30default_config_static_selectorELNS0_4arch9wavefront6targetE0EEEvSK_
		.amdhsa_group_segment_fixed_size 33296
		.amdhsa_private_segment_fixed_size 176
		.amdhsa_kernarg_size 336
		.amdhsa_user_sgpr_count 6
		.amdhsa_user_sgpr_private_segment_buffer 1
		.amdhsa_user_sgpr_dispatch_ptr 0
		.amdhsa_user_sgpr_queue_ptr 0
		.amdhsa_user_sgpr_kernarg_segment_ptr 1
		.amdhsa_user_sgpr_dispatch_id 0
		.amdhsa_user_sgpr_flat_scratch_init 0
		.amdhsa_user_sgpr_private_segment_size 0
		.amdhsa_wavefront_size32 1
		.amdhsa_uses_dynamic_stack 0
		.amdhsa_system_sgpr_private_segment_wavefront_offset 1
		.amdhsa_system_sgpr_workgroup_id_x 1
		.amdhsa_system_sgpr_workgroup_id_y 1
		.amdhsa_system_sgpr_workgroup_id_z 0
		.amdhsa_system_sgpr_workgroup_info 0
		.amdhsa_system_vgpr_workitem_id 2
		.amdhsa_next_free_vgpr 248
		.amdhsa_next_free_sgpr 70
		.amdhsa_reserve_vcc 1
		.amdhsa_reserve_flat_scratch 0
		.amdhsa_float_round_mode_32 0
		.amdhsa_float_round_mode_16_64 0
		.amdhsa_float_denorm_mode_32 3
		.amdhsa_float_denorm_mode_16_64 3
		.amdhsa_dx10_clamp 1
		.amdhsa_ieee_mode 1
		.amdhsa_fp16_overflow 0
		.amdhsa_workgroup_processor_mode 1
		.amdhsa_memory_ordered 1
		.amdhsa_forward_progress 1
		.amdhsa_shared_vgpr_count 0
		.amdhsa_exception_fp_ieee_invalid_op 0
		.amdhsa_exception_fp_denorm_src 0
		.amdhsa_exception_fp_ieee_div_zero 0
		.amdhsa_exception_fp_ieee_overflow 0
		.amdhsa_exception_fp_ieee_underflow 0
		.amdhsa_exception_fp_ieee_inexact 0
		.amdhsa_exception_int_div_zero 0
	.end_amdhsa_kernel
	.section	.text._ZN7rocprim17ROCPRIM_400000_NS6detail17trampoline_kernelINS0_14default_configENS1_36segmented_radix_sort_config_selectorIdlEEZNS1_25segmented_radix_sort_implIS3_Lb0EPKdPdPKlPlN2at6native12_GLOBAL__N_18offset_tEEE10hipError_tPvRmT1_PNSt15iterator_traitsISK_E10value_typeET2_T3_PNSL_ISQ_E10value_typeET4_jRbjT5_SW_jjP12ihipStream_tbEUlT_E2_NS1_11comp_targetILNS1_3genE8ELNS1_11target_archE1030ELNS1_3gpuE2ELNS1_3repE0EEENS1_30default_config_static_selectorELNS0_4arch9wavefront6targetE0EEEvSK_,"axG",@progbits,_ZN7rocprim17ROCPRIM_400000_NS6detail17trampoline_kernelINS0_14default_configENS1_36segmented_radix_sort_config_selectorIdlEEZNS1_25segmented_radix_sort_implIS3_Lb0EPKdPdPKlPlN2at6native12_GLOBAL__N_18offset_tEEE10hipError_tPvRmT1_PNSt15iterator_traitsISK_E10value_typeET2_T3_PNSL_ISQ_E10value_typeET4_jRbjT5_SW_jjP12ihipStream_tbEUlT_E2_NS1_11comp_targetILNS1_3genE8ELNS1_11target_archE1030ELNS1_3gpuE2ELNS1_3repE0EEENS1_30default_config_static_selectorELNS0_4arch9wavefront6targetE0EEEvSK_,comdat
.Lfunc_end1251:
	.size	_ZN7rocprim17ROCPRIM_400000_NS6detail17trampoline_kernelINS0_14default_configENS1_36segmented_radix_sort_config_selectorIdlEEZNS1_25segmented_radix_sort_implIS3_Lb0EPKdPdPKlPlN2at6native12_GLOBAL__N_18offset_tEEE10hipError_tPvRmT1_PNSt15iterator_traitsISK_E10value_typeET2_T3_PNSL_ISQ_E10value_typeET4_jRbjT5_SW_jjP12ihipStream_tbEUlT_E2_NS1_11comp_targetILNS1_3genE8ELNS1_11target_archE1030ELNS1_3gpuE2ELNS1_3repE0EEENS1_30default_config_static_selectorELNS0_4arch9wavefront6targetE0EEEvSK_, .Lfunc_end1251-_ZN7rocprim17ROCPRIM_400000_NS6detail17trampoline_kernelINS0_14default_configENS1_36segmented_radix_sort_config_selectorIdlEEZNS1_25segmented_radix_sort_implIS3_Lb0EPKdPdPKlPlN2at6native12_GLOBAL__N_18offset_tEEE10hipError_tPvRmT1_PNSt15iterator_traitsISK_E10value_typeET2_T3_PNSL_ISQ_E10value_typeET4_jRbjT5_SW_jjP12ihipStream_tbEUlT_E2_NS1_11comp_targetILNS1_3genE8ELNS1_11target_archE1030ELNS1_3gpuE2ELNS1_3repE0EEENS1_30default_config_static_selectorELNS0_4arch9wavefront6targetE0EEEvSK_
                                        ; -- End function
	.set _ZN7rocprim17ROCPRIM_400000_NS6detail17trampoline_kernelINS0_14default_configENS1_36segmented_radix_sort_config_selectorIdlEEZNS1_25segmented_radix_sort_implIS3_Lb0EPKdPdPKlPlN2at6native12_GLOBAL__N_18offset_tEEE10hipError_tPvRmT1_PNSt15iterator_traitsISK_E10value_typeET2_T3_PNSL_ISQ_E10value_typeET4_jRbjT5_SW_jjP12ihipStream_tbEUlT_E2_NS1_11comp_targetILNS1_3genE8ELNS1_11target_archE1030ELNS1_3gpuE2ELNS1_3repE0EEENS1_30default_config_static_selectorELNS0_4arch9wavefront6targetE0EEEvSK_.num_vgpr, max(220, .L_ZN7rocprim17ROCPRIM_400000_NS6detail26segmented_warp_sort_helperINS1_20WarpSortHelperConfigILj8ELj8ELj256EEEdlLi256ELb0EvE4sortIPKdPdPKlPlEEvT_T0_T1_T2_jjjjRNS5_12storage_typeE.num_vgpr, .L_ZN7rocprim17ROCPRIM_400000_NS6detail40segmented_radix_sort_single_block_helperIdlLj256ELj16ELb0EE4sortIPKdPdPKlPlEEbT_T0_T1_T2_jjjjRNS3_12storage_typeE.num_vgpr)
	.set _ZN7rocprim17ROCPRIM_400000_NS6detail17trampoline_kernelINS0_14default_configENS1_36segmented_radix_sort_config_selectorIdlEEZNS1_25segmented_radix_sort_implIS3_Lb0EPKdPdPKlPlN2at6native12_GLOBAL__N_18offset_tEEE10hipError_tPvRmT1_PNSt15iterator_traitsISK_E10value_typeET2_T3_PNSL_ISQ_E10value_typeET4_jRbjT5_SW_jjP12ihipStream_tbEUlT_E2_NS1_11comp_targetILNS1_3genE8ELNS1_11target_archE1030ELNS1_3gpuE2ELNS1_3repE0EEENS1_30default_config_static_selectorELNS0_4arch9wavefront6targetE0EEEvSK_.num_agpr, max(0, .L_ZN7rocprim17ROCPRIM_400000_NS6detail26segmented_warp_sort_helperINS1_20WarpSortHelperConfigILj8ELj8ELj256EEEdlLi256ELb0EvE4sortIPKdPdPKlPlEEvT_T0_T1_T2_jjjjRNS5_12storage_typeE.num_agpr, .L_ZN7rocprim17ROCPRIM_400000_NS6detail40segmented_radix_sort_single_block_helperIdlLj256ELj16ELb0EE4sortIPKdPdPKlPlEEbT_T0_T1_T2_jjjjRNS3_12storage_typeE.num_agpr)
	.set _ZN7rocprim17ROCPRIM_400000_NS6detail17trampoline_kernelINS0_14default_configENS1_36segmented_radix_sort_config_selectorIdlEEZNS1_25segmented_radix_sort_implIS3_Lb0EPKdPdPKlPlN2at6native12_GLOBAL__N_18offset_tEEE10hipError_tPvRmT1_PNSt15iterator_traitsISK_E10value_typeET2_T3_PNSL_ISQ_E10value_typeET4_jRbjT5_SW_jjP12ihipStream_tbEUlT_E2_NS1_11comp_targetILNS1_3genE8ELNS1_11target_archE1030ELNS1_3gpuE2ELNS1_3repE0EEENS1_30default_config_static_selectorELNS0_4arch9wavefront6targetE0EEEvSK_.numbered_sgpr, max(70, .L_ZN7rocprim17ROCPRIM_400000_NS6detail26segmented_warp_sort_helperINS1_20WarpSortHelperConfigILj8ELj8ELj256EEEdlLi256ELb0EvE4sortIPKdPdPKlPlEEvT_T0_T1_T2_jjjjRNS5_12storage_typeE.numbered_sgpr, .L_ZN7rocprim17ROCPRIM_400000_NS6detail40segmented_radix_sort_single_block_helperIdlLj256ELj16ELb0EE4sortIPKdPdPKlPlEEbT_T0_T1_T2_jjjjRNS3_12storage_typeE.numbered_sgpr)
	.set _ZN7rocprim17ROCPRIM_400000_NS6detail17trampoline_kernelINS0_14default_configENS1_36segmented_radix_sort_config_selectorIdlEEZNS1_25segmented_radix_sort_implIS3_Lb0EPKdPdPKlPlN2at6native12_GLOBAL__N_18offset_tEEE10hipError_tPvRmT1_PNSt15iterator_traitsISK_E10value_typeET2_T3_PNSL_ISQ_E10value_typeET4_jRbjT5_SW_jjP12ihipStream_tbEUlT_E2_NS1_11comp_targetILNS1_3genE8ELNS1_11target_archE1030ELNS1_3gpuE2ELNS1_3repE0EEENS1_30default_config_static_selectorELNS0_4arch9wavefront6targetE0EEEvSK_.num_named_barrier, max(0, .L_ZN7rocprim17ROCPRIM_400000_NS6detail26segmented_warp_sort_helperINS1_20WarpSortHelperConfigILj8ELj8ELj256EEEdlLi256ELb0EvE4sortIPKdPdPKlPlEEvT_T0_T1_T2_jjjjRNS5_12storage_typeE.num_named_barrier, .L_ZN7rocprim17ROCPRIM_400000_NS6detail40segmented_radix_sort_single_block_helperIdlLj256ELj16ELb0EE4sortIPKdPdPKlPlEEbT_T0_T1_T2_jjjjRNS3_12storage_typeE.num_named_barrier)
	.set _ZN7rocprim17ROCPRIM_400000_NS6detail17trampoline_kernelINS0_14default_configENS1_36segmented_radix_sort_config_selectorIdlEEZNS1_25segmented_radix_sort_implIS3_Lb0EPKdPdPKlPlN2at6native12_GLOBAL__N_18offset_tEEE10hipError_tPvRmT1_PNSt15iterator_traitsISK_E10value_typeET2_T3_PNSL_ISQ_E10value_typeET4_jRbjT5_SW_jjP12ihipStream_tbEUlT_E2_NS1_11comp_targetILNS1_3genE8ELNS1_11target_archE1030ELNS1_3gpuE2ELNS1_3repE0EEENS1_30default_config_static_selectorELNS0_4arch9wavefront6targetE0EEEvSK_.private_seg_size, 0+max(.L_ZN7rocprim17ROCPRIM_400000_NS6detail26segmented_warp_sort_helperINS1_20WarpSortHelperConfigILj8ELj8ELj256EEEdlLi256ELb0EvE4sortIPKdPdPKlPlEEvT_T0_T1_T2_jjjjRNS5_12storage_typeE.private_seg_size, .L_ZN7rocprim17ROCPRIM_400000_NS6detail40segmented_radix_sort_single_block_helperIdlLj256ELj16ELb0EE4sortIPKdPdPKlPlEEbT_T0_T1_T2_jjjjRNS3_12storage_typeE.private_seg_size)
	.set _ZN7rocprim17ROCPRIM_400000_NS6detail17trampoline_kernelINS0_14default_configENS1_36segmented_radix_sort_config_selectorIdlEEZNS1_25segmented_radix_sort_implIS3_Lb0EPKdPdPKlPlN2at6native12_GLOBAL__N_18offset_tEEE10hipError_tPvRmT1_PNSt15iterator_traitsISK_E10value_typeET2_T3_PNSL_ISQ_E10value_typeET4_jRbjT5_SW_jjP12ihipStream_tbEUlT_E2_NS1_11comp_targetILNS1_3genE8ELNS1_11target_archE1030ELNS1_3gpuE2ELNS1_3repE0EEENS1_30default_config_static_selectorELNS0_4arch9wavefront6targetE0EEEvSK_.uses_vcc, or(1, .L_ZN7rocprim17ROCPRIM_400000_NS6detail26segmented_warp_sort_helperINS1_20WarpSortHelperConfigILj8ELj8ELj256EEEdlLi256ELb0EvE4sortIPKdPdPKlPlEEvT_T0_T1_T2_jjjjRNS5_12storage_typeE.uses_vcc, .L_ZN7rocprim17ROCPRIM_400000_NS6detail40segmented_radix_sort_single_block_helperIdlLj256ELj16ELb0EE4sortIPKdPdPKlPlEEbT_T0_T1_T2_jjjjRNS3_12storage_typeE.uses_vcc)
	.set _ZN7rocprim17ROCPRIM_400000_NS6detail17trampoline_kernelINS0_14default_configENS1_36segmented_radix_sort_config_selectorIdlEEZNS1_25segmented_radix_sort_implIS3_Lb0EPKdPdPKlPlN2at6native12_GLOBAL__N_18offset_tEEE10hipError_tPvRmT1_PNSt15iterator_traitsISK_E10value_typeET2_T3_PNSL_ISQ_E10value_typeET4_jRbjT5_SW_jjP12ihipStream_tbEUlT_E2_NS1_11comp_targetILNS1_3genE8ELNS1_11target_archE1030ELNS1_3gpuE2ELNS1_3repE0EEENS1_30default_config_static_selectorELNS0_4arch9wavefront6targetE0EEEvSK_.uses_flat_scratch, or(0, .L_ZN7rocprim17ROCPRIM_400000_NS6detail26segmented_warp_sort_helperINS1_20WarpSortHelperConfigILj8ELj8ELj256EEEdlLi256ELb0EvE4sortIPKdPdPKlPlEEvT_T0_T1_T2_jjjjRNS5_12storage_typeE.uses_flat_scratch, .L_ZN7rocprim17ROCPRIM_400000_NS6detail40segmented_radix_sort_single_block_helperIdlLj256ELj16ELb0EE4sortIPKdPdPKlPlEEbT_T0_T1_T2_jjjjRNS3_12storage_typeE.uses_flat_scratch)
	.set _ZN7rocprim17ROCPRIM_400000_NS6detail17trampoline_kernelINS0_14default_configENS1_36segmented_radix_sort_config_selectorIdlEEZNS1_25segmented_radix_sort_implIS3_Lb0EPKdPdPKlPlN2at6native12_GLOBAL__N_18offset_tEEE10hipError_tPvRmT1_PNSt15iterator_traitsISK_E10value_typeET2_T3_PNSL_ISQ_E10value_typeET4_jRbjT5_SW_jjP12ihipStream_tbEUlT_E2_NS1_11comp_targetILNS1_3genE8ELNS1_11target_archE1030ELNS1_3gpuE2ELNS1_3repE0EEENS1_30default_config_static_selectorELNS0_4arch9wavefront6targetE0EEEvSK_.has_dyn_sized_stack, or(0, .L_ZN7rocprim17ROCPRIM_400000_NS6detail26segmented_warp_sort_helperINS1_20WarpSortHelperConfigILj8ELj8ELj256EEEdlLi256ELb0EvE4sortIPKdPdPKlPlEEvT_T0_T1_T2_jjjjRNS5_12storage_typeE.has_dyn_sized_stack, .L_ZN7rocprim17ROCPRIM_400000_NS6detail40segmented_radix_sort_single_block_helperIdlLj256ELj16ELb0EE4sortIPKdPdPKlPlEEbT_T0_T1_T2_jjjjRNS3_12storage_typeE.has_dyn_sized_stack)
	.set _ZN7rocprim17ROCPRIM_400000_NS6detail17trampoline_kernelINS0_14default_configENS1_36segmented_radix_sort_config_selectorIdlEEZNS1_25segmented_radix_sort_implIS3_Lb0EPKdPdPKlPlN2at6native12_GLOBAL__N_18offset_tEEE10hipError_tPvRmT1_PNSt15iterator_traitsISK_E10value_typeET2_T3_PNSL_ISQ_E10value_typeET4_jRbjT5_SW_jjP12ihipStream_tbEUlT_E2_NS1_11comp_targetILNS1_3genE8ELNS1_11target_archE1030ELNS1_3gpuE2ELNS1_3repE0EEENS1_30default_config_static_selectorELNS0_4arch9wavefront6targetE0EEEvSK_.has_recursion, or(0, .L_ZN7rocprim17ROCPRIM_400000_NS6detail26segmented_warp_sort_helperINS1_20WarpSortHelperConfigILj8ELj8ELj256EEEdlLi256ELb0EvE4sortIPKdPdPKlPlEEvT_T0_T1_T2_jjjjRNS5_12storage_typeE.has_recursion, .L_ZN7rocprim17ROCPRIM_400000_NS6detail40segmented_radix_sort_single_block_helperIdlLj256ELj16ELb0EE4sortIPKdPdPKlPlEEbT_T0_T1_T2_jjjjRNS3_12storage_typeE.has_recursion)
	.set _ZN7rocprim17ROCPRIM_400000_NS6detail17trampoline_kernelINS0_14default_configENS1_36segmented_radix_sort_config_selectorIdlEEZNS1_25segmented_radix_sort_implIS3_Lb0EPKdPdPKlPlN2at6native12_GLOBAL__N_18offset_tEEE10hipError_tPvRmT1_PNSt15iterator_traitsISK_E10value_typeET2_T3_PNSL_ISQ_E10value_typeET4_jRbjT5_SW_jjP12ihipStream_tbEUlT_E2_NS1_11comp_targetILNS1_3genE8ELNS1_11target_archE1030ELNS1_3gpuE2ELNS1_3repE0EEENS1_30default_config_static_selectorELNS0_4arch9wavefront6targetE0EEEvSK_.has_indirect_call, or(0, .L_ZN7rocprim17ROCPRIM_400000_NS6detail26segmented_warp_sort_helperINS1_20WarpSortHelperConfigILj8ELj8ELj256EEEdlLi256ELb0EvE4sortIPKdPdPKlPlEEvT_T0_T1_T2_jjjjRNS5_12storage_typeE.has_indirect_call, .L_ZN7rocprim17ROCPRIM_400000_NS6detail40segmented_radix_sort_single_block_helperIdlLj256ELj16ELb0EE4sortIPKdPdPKlPlEEbT_T0_T1_T2_jjjjRNS3_12storage_typeE.has_indirect_call)
	.section	.AMDGPU.csdata,"",@progbits
; Kernel info:
; codeLenInByte = 73644
; TotalNumSgprs: 72
; NumVgprs: 248
; ScratchSize: 176
; MemoryBound: 0
; FloatMode: 240
; IeeeMode: 1
; LDSByteSize: 33296 bytes/workgroup (compile time only)
; SGPRBlocks: 0
; VGPRBlocks: 30
; NumSGPRsForWavesPerEU: 72
; NumVGPRsForWavesPerEU: 248
; Occupancy: 4
; WaveLimiterHint : 1
; COMPUTE_PGM_RSRC2:SCRATCH_EN: 1
; COMPUTE_PGM_RSRC2:USER_SGPR: 6
; COMPUTE_PGM_RSRC2:TRAP_HANDLER: 0
; COMPUTE_PGM_RSRC2:TGID_X_EN: 1
; COMPUTE_PGM_RSRC2:TGID_Y_EN: 1
; COMPUTE_PGM_RSRC2:TGID_Z_EN: 0
; COMPUTE_PGM_RSRC2:TIDIG_COMP_CNT: 2
	.section	.text._ZN2at6native12_GLOBAL__N_123sort_postprocess_kernelIfEEvPKT_PS3_PlPK15HIP_vector_typeIiLj2EEii,"axG",@progbits,_ZN2at6native12_GLOBAL__N_123sort_postprocess_kernelIfEEvPKT_PS3_PlPK15HIP_vector_typeIiLj2EEii,comdat
	.globl	_ZN2at6native12_GLOBAL__N_123sort_postprocess_kernelIfEEvPKT_PS3_PlPK15HIP_vector_typeIiLj2EEii ; -- Begin function _ZN2at6native12_GLOBAL__N_123sort_postprocess_kernelIfEEvPKT_PS3_PlPK15HIP_vector_typeIiLj2EEii
	.p2align	8
	.type	_ZN2at6native12_GLOBAL__N_123sort_postprocess_kernelIfEEvPKT_PS3_PlPK15HIP_vector_typeIiLj2EEii,@function
_ZN2at6native12_GLOBAL__N_123sort_postprocess_kernelIfEEvPKT_PS3_PlPK15HIP_vector_typeIiLj2EEii: ; @_ZN2at6native12_GLOBAL__N_123sort_postprocess_kernelIfEEvPKT_PS3_PlPK15HIP_vector_typeIiLj2EEii
; %bb.0:
	s_clause 0x1
	s_load_dword s2, s[4:5], 0x34
	s_load_dwordx2 s[8:9], s[4:5], 0x20
	s_add_u32 s0, s4, 40
	s_addc_u32 s1, s5, 0
	s_waitcnt lgkmcnt(0)
	s_and_b32 s15, s2, 0xffff
	s_mul_i32 s13, s15, s6
	s_mul_hi_u32 s12, s15, s6
	v_add_co_u32 v1, s2, s13, v0
	v_add_co_ci_u32_e64 v2, null, s12, 0, s2
	s_mul_i32 s2, s9, s8
	s_ashr_i32 s3, s2, 31
	v_cmp_gt_i64_e32 vcc_lo, s[2:3], v[1:2]
	v_mov_b32_e32 v1, 0
	s_and_saveexec_b32 s6, vcc_lo
	s_cbranch_execz .LBB1252_3
; %bb.1:
	s_abs_i32 s14, s9
	s_load_dword s0, s[0:1], 0x0
	v_cvt_f32_u32_e32 v2, s14
	s_sub_i32 s1, 0, s14
	s_load_dwordx8 s[4:11], s[4:5], 0x0
	v_rcp_iflag_f32_e32 v2, v2
	v_mul_f32_e32 v2, 0x4f7ffffe, v2
	v_cvt_u32_f32_e32 v2, v2
	v_mul_lo_u32 v3, s1, v2
	s_waitcnt lgkmcnt(0)
	s_mul_i32 s1, s0, s15
	s_mov_b32 s15, 0
	v_mul_hi_u32 v3, v2, v3
	v_add_nc_u32_e32 v2, v2, v3
.LBB1252_2:                             ; =>This Inner Loop Header: Depth=1
	v_add_nc_u32_e32 v3, s13, v0
	v_sub_nc_u32_e32 v4, 0, v3
	v_ashrrev_i32_e32 v6, 31, v3
	v_max_i32_e32 v4, v3, v4
	v_add_nc_u32_e32 v3, v3, v6
	v_mul_hi_u32 v5, v4, v2
	v_mul_lo_u32 v5, v5, s14
	v_sub_nc_u32_e32 v4, v4, v5
	v_subrev_nc_u32_e32 v5, s14, v4
	v_cmp_le_u32_e32 vcc_lo, s14, v4
	v_cndmask_b32_e32 v4, v4, v5, vcc_lo
	v_subrev_nc_u32_e32 v5, s14, v4
	v_cmp_le_u32_e32 vcc_lo, s14, v4
	v_cndmask_b32_e32 v4, v4, v5, vcc_lo
	v_xor_b32_e32 v4, v4, v6
	v_sub_nc_u32_e32 v3, v3, v4
	v_sub_nc_u32_e32 v5, v4, v6
	v_ashrrev_i32_e32 v4, 31, v3
	v_ashrrev_i32_e32 v6, 31, v5
	v_lshlrev_b64 v[7:8], 3, v[3:4]
	v_lshlrev_b64 v[9:10], 3, v[5:6]
	v_lshlrev_b64 v[3:4], 2, v[3:4]
	v_lshlrev_b64 v[5:6], 2, v[5:6]
	v_add_co_u32 v11, vcc_lo, s10, v7
	v_add_co_ci_u32_e64 v12, null, s11, v8, vcc_lo
	v_add_co_u32 v7, s0, s8, v7
	v_add_co_u32 v11, vcc_lo, v11, v9
	v_add_co_ci_u32_e64 v12, null, v12, v10, vcc_lo
	v_add_co_u32 v15, vcc_lo, s4, v3
	v_add_co_ci_u32_e64 v16, null, s5, v4, vcc_lo
	global_load_dword v11, v[11:12], off offset:4
	v_add_co_ci_u32_e64 v8, null, s9, v8, s0
	s_waitcnt vmcnt(0)
	v_ashrrev_i32_e32 v12, 31, v11
	v_lshlrev_b64 v[13:14], 2, v[11:12]
	v_add_co_u32 v13, vcc_lo, v15, v13
	v_add_co_ci_u32_e64 v14, null, v16, v14, vcc_lo
	v_add_co_u32 v0, vcc_lo, v0, s1
	v_add_co_ci_u32_e64 v1, null, 0, v1, vcc_lo
	global_load_dword v15, v[13:14], off
	v_add_co_u32 v13, vcc_lo, s13, v0
	v_add_co_ci_u32_e64 v14, null, s12, v1, vcc_lo
	v_cmp_le_i64_e32 vcc_lo, s[2:3], v[13:14]
	v_add_co_u32 v13, s0, s6, v3
	v_add_co_ci_u32_e64 v14, null, s7, v4, s0
	v_add_co_u32 v3, s0, v7, v9
	v_add_co_ci_u32_e64 v4, null, v8, v10, s0
	;; [unrolled: 2-line block ×3, first 2 shown]
	s_or_b32 s15, vcc_lo, s15
	global_store_dwordx2 v[3:4], v[11:12], off
	s_waitcnt vmcnt(0)
	global_store_dword v[5:6], v15, off
	s_andn2_b32 exec_lo, exec_lo, s15
	s_cbranch_execnz .LBB1252_2
.LBB1252_3:
	s_endpgm
	.section	.rodata,"a",@progbits
	.p2align	6, 0x0
	.amdhsa_kernel _ZN2at6native12_GLOBAL__N_123sort_postprocess_kernelIfEEvPKT_PS3_PlPK15HIP_vector_typeIiLj2EEii
		.amdhsa_group_segment_fixed_size 0
		.amdhsa_private_segment_fixed_size 0
		.amdhsa_kernarg_size 296
		.amdhsa_user_sgpr_count 6
		.amdhsa_user_sgpr_private_segment_buffer 1
		.amdhsa_user_sgpr_dispatch_ptr 0
		.amdhsa_user_sgpr_queue_ptr 0
		.amdhsa_user_sgpr_kernarg_segment_ptr 1
		.amdhsa_user_sgpr_dispatch_id 0
		.amdhsa_user_sgpr_flat_scratch_init 0
		.amdhsa_user_sgpr_private_segment_size 0
		.amdhsa_wavefront_size32 1
		.amdhsa_uses_dynamic_stack 0
		.amdhsa_system_sgpr_private_segment_wavefront_offset 0
		.amdhsa_system_sgpr_workgroup_id_x 1
		.amdhsa_system_sgpr_workgroup_id_y 0
		.amdhsa_system_sgpr_workgroup_id_z 0
		.amdhsa_system_sgpr_workgroup_info 0
		.amdhsa_system_vgpr_workitem_id 0
		.amdhsa_next_free_vgpr 17
		.amdhsa_next_free_sgpr 16
		.amdhsa_reserve_vcc 1
		.amdhsa_reserve_flat_scratch 0
		.amdhsa_float_round_mode_32 0
		.amdhsa_float_round_mode_16_64 0
		.amdhsa_float_denorm_mode_32 3
		.amdhsa_float_denorm_mode_16_64 3
		.amdhsa_dx10_clamp 1
		.amdhsa_ieee_mode 1
		.amdhsa_fp16_overflow 0
		.amdhsa_workgroup_processor_mode 1
		.amdhsa_memory_ordered 1
		.amdhsa_forward_progress 1
		.amdhsa_shared_vgpr_count 0
		.amdhsa_exception_fp_ieee_invalid_op 0
		.amdhsa_exception_fp_denorm_src 0
		.amdhsa_exception_fp_ieee_div_zero 0
		.amdhsa_exception_fp_ieee_overflow 0
		.amdhsa_exception_fp_ieee_underflow 0
		.amdhsa_exception_fp_ieee_inexact 0
		.amdhsa_exception_int_div_zero 0
	.end_amdhsa_kernel
	.section	.text._ZN2at6native12_GLOBAL__N_123sort_postprocess_kernelIfEEvPKT_PS3_PlPK15HIP_vector_typeIiLj2EEii,"axG",@progbits,_ZN2at6native12_GLOBAL__N_123sort_postprocess_kernelIfEEvPKT_PS3_PlPK15HIP_vector_typeIiLj2EEii,comdat
.Lfunc_end1252:
	.size	_ZN2at6native12_GLOBAL__N_123sort_postprocess_kernelIfEEvPKT_PS3_PlPK15HIP_vector_typeIiLj2EEii, .Lfunc_end1252-_ZN2at6native12_GLOBAL__N_123sort_postprocess_kernelIfEEvPKT_PS3_PlPK15HIP_vector_typeIiLj2EEii
                                        ; -- End function
	.set _ZN2at6native12_GLOBAL__N_123sort_postprocess_kernelIfEEvPKT_PS3_PlPK15HIP_vector_typeIiLj2EEii.num_vgpr, 17
	.set _ZN2at6native12_GLOBAL__N_123sort_postprocess_kernelIfEEvPKT_PS3_PlPK15HIP_vector_typeIiLj2EEii.num_agpr, 0
	.set _ZN2at6native12_GLOBAL__N_123sort_postprocess_kernelIfEEvPKT_PS3_PlPK15HIP_vector_typeIiLj2EEii.numbered_sgpr, 16
	.set _ZN2at6native12_GLOBAL__N_123sort_postprocess_kernelIfEEvPKT_PS3_PlPK15HIP_vector_typeIiLj2EEii.num_named_barrier, 0
	.set _ZN2at6native12_GLOBAL__N_123sort_postprocess_kernelIfEEvPKT_PS3_PlPK15HIP_vector_typeIiLj2EEii.private_seg_size, 0
	.set _ZN2at6native12_GLOBAL__N_123sort_postprocess_kernelIfEEvPKT_PS3_PlPK15HIP_vector_typeIiLj2EEii.uses_vcc, 1
	.set _ZN2at6native12_GLOBAL__N_123sort_postprocess_kernelIfEEvPKT_PS3_PlPK15HIP_vector_typeIiLj2EEii.uses_flat_scratch, 0
	.set _ZN2at6native12_GLOBAL__N_123sort_postprocess_kernelIfEEvPKT_PS3_PlPK15HIP_vector_typeIiLj2EEii.has_dyn_sized_stack, 0
	.set _ZN2at6native12_GLOBAL__N_123sort_postprocess_kernelIfEEvPKT_PS3_PlPK15HIP_vector_typeIiLj2EEii.has_recursion, 0
	.set _ZN2at6native12_GLOBAL__N_123sort_postprocess_kernelIfEEvPKT_PS3_PlPK15HIP_vector_typeIiLj2EEii.has_indirect_call, 0
	.section	.AMDGPU.csdata,"",@progbits
; Kernel info:
; codeLenInByte = 512
; TotalNumSgprs: 18
; NumVgprs: 17
; ScratchSize: 0
; MemoryBound: 0
; FloatMode: 240
; IeeeMode: 1
; LDSByteSize: 0 bytes/workgroup (compile time only)
; SGPRBlocks: 0
; VGPRBlocks: 2
; NumSGPRsForWavesPerEU: 18
; NumVGPRsForWavesPerEU: 17
; Occupancy: 16
; WaveLimiterHint : 1
; COMPUTE_PGM_RSRC2:SCRATCH_EN: 0
; COMPUTE_PGM_RSRC2:USER_SGPR: 6
; COMPUTE_PGM_RSRC2:TRAP_HANDLER: 0
; COMPUTE_PGM_RSRC2:TGID_X_EN: 1
; COMPUTE_PGM_RSRC2:TGID_Y_EN: 0
; COMPUTE_PGM_RSRC2:TGID_Z_EN: 0
; COMPUTE_PGM_RSRC2:TIDIG_COMP_CNT: 0
	.section	.text._ZN7rocprim17ROCPRIM_400000_NS6detail17trampoline_kernelINS0_13select_configILj256ELj13ELNS0_17block_load_methodE3ELS4_3ELS4_3ELNS0_20block_scan_algorithmE0ELj4294967295EEENS1_25partition_config_selectorILNS1_17partition_subalgoE4EjNS0_10empty_typeEbEEZZNS1_14partition_implILS8_4ELb0ES6_15HIP_vector_typeIjLj2EENS0_17counting_iteratorIjlEEPS9_SG_NS0_5tupleIJPjSI_NS0_16reverse_iteratorISI_EEEEENSH_IJSG_SG_SG_EEES9_SI_JZNS1_25segmented_radix_sort_implINS0_14default_configELb1EPKfPfPKlPlN2at6native12_GLOBAL__N_18offset_tEEE10hipError_tPvRmT1_PNSt15iterator_traitsIS12_E10value_typeET2_T3_PNS13_IS18_E10value_typeET4_jRbjT5_S1E_jjP12ihipStream_tbEUljE_ZNSN_ISO_Lb1ESQ_SR_ST_SU_SY_EESZ_S10_S11_S12_S16_S17_S18_S1B_S1C_jS1D_jS1E_S1E_jjS1G_bEUljE0_EEESZ_S10_S11_S18_S1C_S1E_T6_T7_T9_mT8_S1G_bDpT10_ENKUlT_T0_E_clISt17integral_constantIbLb0EES1U_EEDaS1P_S1Q_EUlS1P_E_NS1_11comp_targetILNS1_3genE0ELNS1_11target_archE4294967295ELNS1_3gpuE0ELNS1_3repE0EEENS1_30default_config_static_selectorELNS0_4arch9wavefront6targetE0EEEvS12_,"axG",@progbits,_ZN7rocprim17ROCPRIM_400000_NS6detail17trampoline_kernelINS0_13select_configILj256ELj13ELNS0_17block_load_methodE3ELS4_3ELS4_3ELNS0_20block_scan_algorithmE0ELj4294967295EEENS1_25partition_config_selectorILNS1_17partition_subalgoE4EjNS0_10empty_typeEbEEZZNS1_14partition_implILS8_4ELb0ES6_15HIP_vector_typeIjLj2EENS0_17counting_iteratorIjlEEPS9_SG_NS0_5tupleIJPjSI_NS0_16reverse_iteratorISI_EEEEENSH_IJSG_SG_SG_EEES9_SI_JZNS1_25segmented_radix_sort_implINS0_14default_configELb1EPKfPfPKlPlN2at6native12_GLOBAL__N_18offset_tEEE10hipError_tPvRmT1_PNSt15iterator_traitsIS12_E10value_typeET2_T3_PNS13_IS18_E10value_typeET4_jRbjT5_S1E_jjP12ihipStream_tbEUljE_ZNSN_ISO_Lb1ESQ_SR_ST_SU_SY_EESZ_S10_S11_S12_S16_S17_S18_S1B_S1C_jS1D_jS1E_S1E_jjS1G_bEUljE0_EEESZ_S10_S11_S18_S1C_S1E_T6_T7_T9_mT8_S1G_bDpT10_ENKUlT_T0_E_clISt17integral_constantIbLb0EES1U_EEDaS1P_S1Q_EUlS1P_E_NS1_11comp_targetILNS1_3genE0ELNS1_11target_archE4294967295ELNS1_3gpuE0ELNS1_3repE0EEENS1_30default_config_static_selectorELNS0_4arch9wavefront6targetE0EEEvS12_,comdat
	.globl	_ZN7rocprim17ROCPRIM_400000_NS6detail17trampoline_kernelINS0_13select_configILj256ELj13ELNS0_17block_load_methodE3ELS4_3ELS4_3ELNS0_20block_scan_algorithmE0ELj4294967295EEENS1_25partition_config_selectorILNS1_17partition_subalgoE4EjNS0_10empty_typeEbEEZZNS1_14partition_implILS8_4ELb0ES6_15HIP_vector_typeIjLj2EENS0_17counting_iteratorIjlEEPS9_SG_NS0_5tupleIJPjSI_NS0_16reverse_iteratorISI_EEEEENSH_IJSG_SG_SG_EEES9_SI_JZNS1_25segmented_radix_sort_implINS0_14default_configELb1EPKfPfPKlPlN2at6native12_GLOBAL__N_18offset_tEEE10hipError_tPvRmT1_PNSt15iterator_traitsIS12_E10value_typeET2_T3_PNS13_IS18_E10value_typeET4_jRbjT5_S1E_jjP12ihipStream_tbEUljE_ZNSN_ISO_Lb1ESQ_SR_ST_SU_SY_EESZ_S10_S11_S12_S16_S17_S18_S1B_S1C_jS1D_jS1E_S1E_jjS1G_bEUljE0_EEESZ_S10_S11_S18_S1C_S1E_T6_T7_T9_mT8_S1G_bDpT10_ENKUlT_T0_E_clISt17integral_constantIbLb0EES1U_EEDaS1P_S1Q_EUlS1P_E_NS1_11comp_targetILNS1_3genE0ELNS1_11target_archE4294967295ELNS1_3gpuE0ELNS1_3repE0EEENS1_30default_config_static_selectorELNS0_4arch9wavefront6targetE0EEEvS12_ ; -- Begin function _ZN7rocprim17ROCPRIM_400000_NS6detail17trampoline_kernelINS0_13select_configILj256ELj13ELNS0_17block_load_methodE3ELS4_3ELS4_3ELNS0_20block_scan_algorithmE0ELj4294967295EEENS1_25partition_config_selectorILNS1_17partition_subalgoE4EjNS0_10empty_typeEbEEZZNS1_14partition_implILS8_4ELb0ES6_15HIP_vector_typeIjLj2EENS0_17counting_iteratorIjlEEPS9_SG_NS0_5tupleIJPjSI_NS0_16reverse_iteratorISI_EEEEENSH_IJSG_SG_SG_EEES9_SI_JZNS1_25segmented_radix_sort_implINS0_14default_configELb1EPKfPfPKlPlN2at6native12_GLOBAL__N_18offset_tEEE10hipError_tPvRmT1_PNSt15iterator_traitsIS12_E10value_typeET2_T3_PNS13_IS18_E10value_typeET4_jRbjT5_S1E_jjP12ihipStream_tbEUljE_ZNSN_ISO_Lb1ESQ_SR_ST_SU_SY_EESZ_S10_S11_S12_S16_S17_S18_S1B_S1C_jS1D_jS1E_S1E_jjS1G_bEUljE0_EEESZ_S10_S11_S18_S1C_S1E_T6_T7_T9_mT8_S1G_bDpT10_ENKUlT_T0_E_clISt17integral_constantIbLb0EES1U_EEDaS1P_S1Q_EUlS1P_E_NS1_11comp_targetILNS1_3genE0ELNS1_11target_archE4294967295ELNS1_3gpuE0ELNS1_3repE0EEENS1_30default_config_static_selectorELNS0_4arch9wavefront6targetE0EEEvS12_
	.p2align	8
	.type	_ZN7rocprim17ROCPRIM_400000_NS6detail17trampoline_kernelINS0_13select_configILj256ELj13ELNS0_17block_load_methodE3ELS4_3ELS4_3ELNS0_20block_scan_algorithmE0ELj4294967295EEENS1_25partition_config_selectorILNS1_17partition_subalgoE4EjNS0_10empty_typeEbEEZZNS1_14partition_implILS8_4ELb0ES6_15HIP_vector_typeIjLj2EENS0_17counting_iteratorIjlEEPS9_SG_NS0_5tupleIJPjSI_NS0_16reverse_iteratorISI_EEEEENSH_IJSG_SG_SG_EEES9_SI_JZNS1_25segmented_radix_sort_implINS0_14default_configELb1EPKfPfPKlPlN2at6native12_GLOBAL__N_18offset_tEEE10hipError_tPvRmT1_PNSt15iterator_traitsIS12_E10value_typeET2_T3_PNS13_IS18_E10value_typeET4_jRbjT5_S1E_jjP12ihipStream_tbEUljE_ZNSN_ISO_Lb1ESQ_SR_ST_SU_SY_EESZ_S10_S11_S12_S16_S17_S18_S1B_S1C_jS1D_jS1E_S1E_jjS1G_bEUljE0_EEESZ_S10_S11_S18_S1C_S1E_T6_T7_T9_mT8_S1G_bDpT10_ENKUlT_T0_E_clISt17integral_constantIbLb0EES1U_EEDaS1P_S1Q_EUlS1P_E_NS1_11comp_targetILNS1_3genE0ELNS1_11target_archE4294967295ELNS1_3gpuE0ELNS1_3repE0EEENS1_30default_config_static_selectorELNS0_4arch9wavefront6targetE0EEEvS12_,@function
_ZN7rocprim17ROCPRIM_400000_NS6detail17trampoline_kernelINS0_13select_configILj256ELj13ELNS0_17block_load_methodE3ELS4_3ELS4_3ELNS0_20block_scan_algorithmE0ELj4294967295EEENS1_25partition_config_selectorILNS1_17partition_subalgoE4EjNS0_10empty_typeEbEEZZNS1_14partition_implILS8_4ELb0ES6_15HIP_vector_typeIjLj2EENS0_17counting_iteratorIjlEEPS9_SG_NS0_5tupleIJPjSI_NS0_16reverse_iteratorISI_EEEEENSH_IJSG_SG_SG_EEES9_SI_JZNS1_25segmented_radix_sort_implINS0_14default_configELb1EPKfPfPKlPlN2at6native12_GLOBAL__N_18offset_tEEE10hipError_tPvRmT1_PNSt15iterator_traitsIS12_E10value_typeET2_T3_PNS13_IS18_E10value_typeET4_jRbjT5_S1E_jjP12ihipStream_tbEUljE_ZNSN_ISO_Lb1ESQ_SR_ST_SU_SY_EESZ_S10_S11_S12_S16_S17_S18_S1B_S1C_jS1D_jS1E_S1E_jjS1G_bEUljE0_EEESZ_S10_S11_S18_S1C_S1E_T6_T7_T9_mT8_S1G_bDpT10_ENKUlT_T0_E_clISt17integral_constantIbLb0EES1U_EEDaS1P_S1Q_EUlS1P_E_NS1_11comp_targetILNS1_3genE0ELNS1_11target_archE4294967295ELNS1_3gpuE0ELNS1_3repE0EEENS1_30default_config_static_selectorELNS0_4arch9wavefront6targetE0EEEvS12_: ; @_ZN7rocprim17ROCPRIM_400000_NS6detail17trampoline_kernelINS0_13select_configILj256ELj13ELNS0_17block_load_methodE3ELS4_3ELS4_3ELNS0_20block_scan_algorithmE0ELj4294967295EEENS1_25partition_config_selectorILNS1_17partition_subalgoE4EjNS0_10empty_typeEbEEZZNS1_14partition_implILS8_4ELb0ES6_15HIP_vector_typeIjLj2EENS0_17counting_iteratorIjlEEPS9_SG_NS0_5tupleIJPjSI_NS0_16reverse_iteratorISI_EEEEENSH_IJSG_SG_SG_EEES9_SI_JZNS1_25segmented_radix_sort_implINS0_14default_configELb1EPKfPfPKlPlN2at6native12_GLOBAL__N_18offset_tEEE10hipError_tPvRmT1_PNSt15iterator_traitsIS12_E10value_typeET2_T3_PNS13_IS18_E10value_typeET4_jRbjT5_S1E_jjP12ihipStream_tbEUljE_ZNSN_ISO_Lb1ESQ_SR_ST_SU_SY_EESZ_S10_S11_S12_S16_S17_S18_S1B_S1C_jS1D_jS1E_S1E_jjS1G_bEUljE0_EEESZ_S10_S11_S18_S1C_S1E_T6_T7_T9_mT8_S1G_bDpT10_ENKUlT_T0_E_clISt17integral_constantIbLb0EES1U_EEDaS1P_S1Q_EUlS1P_E_NS1_11comp_targetILNS1_3genE0ELNS1_11target_archE4294967295ELNS1_3gpuE0ELNS1_3repE0EEENS1_30default_config_static_selectorELNS0_4arch9wavefront6targetE0EEEvS12_
; %bb.0:
	.section	.rodata,"a",@progbits
	.p2align	6, 0x0
	.amdhsa_kernel _ZN7rocprim17ROCPRIM_400000_NS6detail17trampoline_kernelINS0_13select_configILj256ELj13ELNS0_17block_load_methodE3ELS4_3ELS4_3ELNS0_20block_scan_algorithmE0ELj4294967295EEENS1_25partition_config_selectorILNS1_17partition_subalgoE4EjNS0_10empty_typeEbEEZZNS1_14partition_implILS8_4ELb0ES6_15HIP_vector_typeIjLj2EENS0_17counting_iteratorIjlEEPS9_SG_NS0_5tupleIJPjSI_NS0_16reverse_iteratorISI_EEEEENSH_IJSG_SG_SG_EEES9_SI_JZNS1_25segmented_radix_sort_implINS0_14default_configELb1EPKfPfPKlPlN2at6native12_GLOBAL__N_18offset_tEEE10hipError_tPvRmT1_PNSt15iterator_traitsIS12_E10value_typeET2_T3_PNS13_IS18_E10value_typeET4_jRbjT5_S1E_jjP12ihipStream_tbEUljE_ZNSN_ISO_Lb1ESQ_SR_ST_SU_SY_EESZ_S10_S11_S12_S16_S17_S18_S1B_S1C_jS1D_jS1E_S1E_jjS1G_bEUljE0_EEESZ_S10_S11_S18_S1C_S1E_T6_T7_T9_mT8_S1G_bDpT10_ENKUlT_T0_E_clISt17integral_constantIbLb0EES1U_EEDaS1P_S1Q_EUlS1P_E_NS1_11comp_targetILNS1_3genE0ELNS1_11target_archE4294967295ELNS1_3gpuE0ELNS1_3repE0EEENS1_30default_config_static_selectorELNS0_4arch9wavefront6targetE0EEEvS12_
		.amdhsa_group_segment_fixed_size 0
		.amdhsa_private_segment_fixed_size 0
		.amdhsa_kernarg_size 176
		.amdhsa_user_sgpr_count 6
		.amdhsa_user_sgpr_private_segment_buffer 1
		.amdhsa_user_sgpr_dispatch_ptr 0
		.amdhsa_user_sgpr_queue_ptr 0
		.amdhsa_user_sgpr_kernarg_segment_ptr 1
		.amdhsa_user_sgpr_dispatch_id 0
		.amdhsa_user_sgpr_flat_scratch_init 0
		.amdhsa_user_sgpr_private_segment_size 0
		.amdhsa_wavefront_size32 1
		.amdhsa_uses_dynamic_stack 0
		.amdhsa_system_sgpr_private_segment_wavefront_offset 0
		.amdhsa_system_sgpr_workgroup_id_x 1
		.amdhsa_system_sgpr_workgroup_id_y 0
		.amdhsa_system_sgpr_workgroup_id_z 0
		.amdhsa_system_sgpr_workgroup_info 0
		.amdhsa_system_vgpr_workitem_id 0
		.amdhsa_next_free_vgpr 1
		.amdhsa_next_free_sgpr 1
		.amdhsa_reserve_vcc 0
		.amdhsa_reserve_flat_scratch 0
		.amdhsa_float_round_mode_32 0
		.amdhsa_float_round_mode_16_64 0
		.amdhsa_float_denorm_mode_32 3
		.amdhsa_float_denorm_mode_16_64 3
		.amdhsa_dx10_clamp 1
		.amdhsa_ieee_mode 1
		.amdhsa_fp16_overflow 0
		.amdhsa_workgroup_processor_mode 1
		.amdhsa_memory_ordered 1
		.amdhsa_forward_progress 1
		.amdhsa_shared_vgpr_count 0
		.amdhsa_exception_fp_ieee_invalid_op 0
		.amdhsa_exception_fp_denorm_src 0
		.amdhsa_exception_fp_ieee_div_zero 0
		.amdhsa_exception_fp_ieee_overflow 0
		.amdhsa_exception_fp_ieee_underflow 0
		.amdhsa_exception_fp_ieee_inexact 0
		.amdhsa_exception_int_div_zero 0
	.end_amdhsa_kernel
	.section	.text._ZN7rocprim17ROCPRIM_400000_NS6detail17trampoline_kernelINS0_13select_configILj256ELj13ELNS0_17block_load_methodE3ELS4_3ELS4_3ELNS0_20block_scan_algorithmE0ELj4294967295EEENS1_25partition_config_selectorILNS1_17partition_subalgoE4EjNS0_10empty_typeEbEEZZNS1_14partition_implILS8_4ELb0ES6_15HIP_vector_typeIjLj2EENS0_17counting_iteratorIjlEEPS9_SG_NS0_5tupleIJPjSI_NS0_16reverse_iteratorISI_EEEEENSH_IJSG_SG_SG_EEES9_SI_JZNS1_25segmented_radix_sort_implINS0_14default_configELb1EPKfPfPKlPlN2at6native12_GLOBAL__N_18offset_tEEE10hipError_tPvRmT1_PNSt15iterator_traitsIS12_E10value_typeET2_T3_PNS13_IS18_E10value_typeET4_jRbjT5_S1E_jjP12ihipStream_tbEUljE_ZNSN_ISO_Lb1ESQ_SR_ST_SU_SY_EESZ_S10_S11_S12_S16_S17_S18_S1B_S1C_jS1D_jS1E_S1E_jjS1G_bEUljE0_EEESZ_S10_S11_S18_S1C_S1E_T6_T7_T9_mT8_S1G_bDpT10_ENKUlT_T0_E_clISt17integral_constantIbLb0EES1U_EEDaS1P_S1Q_EUlS1P_E_NS1_11comp_targetILNS1_3genE0ELNS1_11target_archE4294967295ELNS1_3gpuE0ELNS1_3repE0EEENS1_30default_config_static_selectorELNS0_4arch9wavefront6targetE0EEEvS12_,"axG",@progbits,_ZN7rocprim17ROCPRIM_400000_NS6detail17trampoline_kernelINS0_13select_configILj256ELj13ELNS0_17block_load_methodE3ELS4_3ELS4_3ELNS0_20block_scan_algorithmE0ELj4294967295EEENS1_25partition_config_selectorILNS1_17partition_subalgoE4EjNS0_10empty_typeEbEEZZNS1_14partition_implILS8_4ELb0ES6_15HIP_vector_typeIjLj2EENS0_17counting_iteratorIjlEEPS9_SG_NS0_5tupleIJPjSI_NS0_16reverse_iteratorISI_EEEEENSH_IJSG_SG_SG_EEES9_SI_JZNS1_25segmented_radix_sort_implINS0_14default_configELb1EPKfPfPKlPlN2at6native12_GLOBAL__N_18offset_tEEE10hipError_tPvRmT1_PNSt15iterator_traitsIS12_E10value_typeET2_T3_PNS13_IS18_E10value_typeET4_jRbjT5_S1E_jjP12ihipStream_tbEUljE_ZNSN_ISO_Lb1ESQ_SR_ST_SU_SY_EESZ_S10_S11_S12_S16_S17_S18_S1B_S1C_jS1D_jS1E_S1E_jjS1G_bEUljE0_EEESZ_S10_S11_S18_S1C_S1E_T6_T7_T9_mT8_S1G_bDpT10_ENKUlT_T0_E_clISt17integral_constantIbLb0EES1U_EEDaS1P_S1Q_EUlS1P_E_NS1_11comp_targetILNS1_3genE0ELNS1_11target_archE4294967295ELNS1_3gpuE0ELNS1_3repE0EEENS1_30default_config_static_selectorELNS0_4arch9wavefront6targetE0EEEvS12_,comdat
.Lfunc_end1253:
	.size	_ZN7rocprim17ROCPRIM_400000_NS6detail17trampoline_kernelINS0_13select_configILj256ELj13ELNS0_17block_load_methodE3ELS4_3ELS4_3ELNS0_20block_scan_algorithmE0ELj4294967295EEENS1_25partition_config_selectorILNS1_17partition_subalgoE4EjNS0_10empty_typeEbEEZZNS1_14partition_implILS8_4ELb0ES6_15HIP_vector_typeIjLj2EENS0_17counting_iteratorIjlEEPS9_SG_NS0_5tupleIJPjSI_NS0_16reverse_iteratorISI_EEEEENSH_IJSG_SG_SG_EEES9_SI_JZNS1_25segmented_radix_sort_implINS0_14default_configELb1EPKfPfPKlPlN2at6native12_GLOBAL__N_18offset_tEEE10hipError_tPvRmT1_PNSt15iterator_traitsIS12_E10value_typeET2_T3_PNS13_IS18_E10value_typeET4_jRbjT5_S1E_jjP12ihipStream_tbEUljE_ZNSN_ISO_Lb1ESQ_SR_ST_SU_SY_EESZ_S10_S11_S12_S16_S17_S18_S1B_S1C_jS1D_jS1E_S1E_jjS1G_bEUljE0_EEESZ_S10_S11_S18_S1C_S1E_T6_T7_T9_mT8_S1G_bDpT10_ENKUlT_T0_E_clISt17integral_constantIbLb0EES1U_EEDaS1P_S1Q_EUlS1P_E_NS1_11comp_targetILNS1_3genE0ELNS1_11target_archE4294967295ELNS1_3gpuE0ELNS1_3repE0EEENS1_30default_config_static_selectorELNS0_4arch9wavefront6targetE0EEEvS12_, .Lfunc_end1253-_ZN7rocprim17ROCPRIM_400000_NS6detail17trampoline_kernelINS0_13select_configILj256ELj13ELNS0_17block_load_methodE3ELS4_3ELS4_3ELNS0_20block_scan_algorithmE0ELj4294967295EEENS1_25partition_config_selectorILNS1_17partition_subalgoE4EjNS0_10empty_typeEbEEZZNS1_14partition_implILS8_4ELb0ES6_15HIP_vector_typeIjLj2EENS0_17counting_iteratorIjlEEPS9_SG_NS0_5tupleIJPjSI_NS0_16reverse_iteratorISI_EEEEENSH_IJSG_SG_SG_EEES9_SI_JZNS1_25segmented_radix_sort_implINS0_14default_configELb1EPKfPfPKlPlN2at6native12_GLOBAL__N_18offset_tEEE10hipError_tPvRmT1_PNSt15iterator_traitsIS12_E10value_typeET2_T3_PNS13_IS18_E10value_typeET4_jRbjT5_S1E_jjP12ihipStream_tbEUljE_ZNSN_ISO_Lb1ESQ_SR_ST_SU_SY_EESZ_S10_S11_S12_S16_S17_S18_S1B_S1C_jS1D_jS1E_S1E_jjS1G_bEUljE0_EEESZ_S10_S11_S18_S1C_S1E_T6_T7_T9_mT8_S1G_bDpT10_ENKUlT_T0_E_clISt17integral_constantIbLb0EES1U_EEDaS1P_S1Q_EUlS1P_E_NS1_11comp_targetILNS1_3genE0ELNS1_11target_archE4294967295ELNS1_3gpuE0ELNS1_3repE0EEENS1_30default_config_static_selectorELNS0_4arch9wavefront6targetE0EEEvS12_
                                        ; -- End function
	.set _ZN7rocprim17ROCPRIM_400000_NS6detail17trampoline_kernelINS0_13select_configILj256ELj13ELNS0_17block_load_methodE3ELS4_3ELS4_3ELNS0_20block_scan_algorithmE0ELj4294967295EEENS1_25partition_config_selectorILNS1_17partition_subalgoE4EjNS0_10empty_typeEbEEZZNS1_14partition_implILS8_4ELb0ES6_15HIP_vector_typeIjLj2EENS0_17counting_iteratorIjlEEPS9_SG_NS0_5tupleIJPjSI_NS0_16reverse_iteratorISI_EEEEENSH_IJSG_SG_SG_EEES9_SI_JZNS1_25segmented_radix_sort_implINS0_14default_configELb1EPKfPfPKlPlN2at6native12_GLOBAL__N_18offset_tEEE10hipError_tPvRmT1_PNSt15iterator_traitsIS12_E10value_typeET2_T3_PNS13_IS18_E10value_typeET4_jRbjT5_S1E_jjP12ihipStream_tbEUljE_ZNSN_ISO_Lb1ESQ_SR_ST_SU_SY_EESZ_S10_S11_S12_S16_S17_S18_S1B_S1C_jS1D_jS1E_S1E_jjS1G_bEUljE0_EEESZ_S10_S11_S18_S1C_S1E_T6_T7_T9_mT8_S1G_bDpT10_ENKUlT_T0_E_clISt17integral_constantIbLb0EES1U_EEDaS1P_S1Q_EUlS1P_E_NS1_11comp_targetILNS1_3genE0ELNS1_11target_archE4294967295ELNS1_3gpuE0ELNS1_3repE0EEENS1_30default_config_static_selectorELNS0_4arch9wavefront6targetE0EEEvS12_.num_vgpr, 0
	.set _ZN7rocprim17ROCPRIM_400000_NS6detail17trampoline_kernelINS0_13select_configILj256ELj13ELNS0_17block_load_methodE3ELS4_3ELS4_3ELNS0_20block_scan_algorithmE0ELj4294967295EEENS1_25partition_config_selectorILNS1_17partition_subalgoE4EjNS0_10empty_typeEbEEZZNS1_14partition_implILS8_4ELb0ES6_15HIP_vector_typeIjLj2EENS0_17counting_iteratorIjlEEPS9_SG_NS0_5tupleIJPjSI_NS0_16reverse_iteratorISI_EEEEENSH_IJSG_SG_SG_EEES9_SI_JZNS1_25segmented_radix_sort_implINS0_14default_configELb1EPKfPfPKlPlN2at6native12_GLOBAL__N_18offset_tEEE10hipError_tPvRmT1_PNSt15iterator_traitsIS12_E10value_typeET2_T3_PNS13_IS18_E10value_typeET4_jRbjT5_S1E_jjP12ihipStream_tbEUljE_ZNSN_ISO_Lb1ESQ_SR_ST_SU_SY_EESZ_S10_S11_S12_S16_S17_S18_S1B_S1C_jS1D_jS1E_S1E_jjS1G_bEUljE0_EEESZ_S10_S11_S18_S1C_S1E_T6_T7_T9_mT8_S1G_bDpT10_ENKUlT_T0_E_clISt17integral_constantIbLb0EES1U_EEDaS1P_S1Q_EUlS1P_E_NS1_11comp_targetILNS1_3genE0ELNS1_11target_archE4294967295ELNS1_3gpuE0ELNS1_3repE0EEENS1_30default_config_static_selectorELNS0_4arch9wavefront6targetE0EEEvS12_.num_agpr, 0
	.set _ZN7rocprim17ROCPRIM_400000_NS6detail17trampoline_kernelINS0_13select_configILj256ELj13ELNS0_17block_load_methodE3ELS4_3ELS4_3ELNS0_20block_scan_algorithmE0ELj4294967295EEENS1_25partition_config_selectorILNS1_17partition_subalgoE4EjNS0_10empty_typeEbEEZZNS1_14partition_implILS8_4ELb0ES6_15HIP_vector_typeIjLj2EENS0_17counting_iteratorIjlEEPS9_SG_NS0_5tupleIJPjSI_NS0_16reverse_iteratorISI_EEEEENSH_IJSG_SG_SG_EEES9_SI_JZNS1_25segmented_radix_sort_implINS0_14default_configELb1EPKfPfPKlPlN2at6native12_GLOBAL__N_18offset_tEEE10hipError_tPvRmT1_PNSt15iterator_traitsIS12_E10value_typeET2_T3_PNS13_IS18_E10value_typeET4_jRbjT5_S1E_jjP12ihipStream_tbEUljE_ZNSN_ISO_Lb1ESQ_SR_ST_SU_SY_EESZ_S10_S11_S12_S16_S17_S18_S1B_S1C_jS1D_jS1E_S1E_jjS1G_bEUljE0_EEESZ_S10_S11_S18_S1C_S1E_T6_T7_T9_mT8_S1G_bDpT10_ENKUlT_T0_E_clISt17integral_constantIbLb0EES1U_EEDaS1P_S1Q_EUlS1P_E_NS1_11comp_targetILNS1_3genE0ELNS1_11target_archE4294967295ELNS1_3gpuE0ELNS1_3repE0EEENS1_30default_config_static_selectorELNS0_4arch9wavefront6targetE0EEEvS12_.numbered_sgpr, 0
	.set _ZN7rocprim17ROCPRIM_400000_NS6detail17trampoline_kernelINS0_13select_configILj256ELj13ELNS0_17block_load_methodE3ELS4_3ELS4_3ELNS0_20block_scan_algorithmE0ELj4294967295EEENS1_25partition_config_selectorILNS1_17partition_subalgoE4EjNS0_10empty_typeEbEEZZNS1_14partition_implILS8_4ELb0ES6_15HIP_vector_typeIjLj2EENS0_17counting_iteratorIjlEEPS9_SG_NS0_5tupleIJPjSI_NS0_16reverse_iteratorISI_EEEEENSH_IJSG_SG_SG_EEES9_SI_JZNS1_25segmented_radix_sort_implINS0_14default_configELb1EPKfPfPKlPlN2at6native12_GLOBAL__N_18offset_tEEE10hipError_tPvRmT1_PNSt15iterator_traitsIS12_E10value_typeET2_T3_PNS13_IS18_E10value_typeET4_jRbjT5_S1E_jjP12ihipStream_tbEUljE_ZNSN_ISO_Lb1ESQ_SR_ST_SU_SY_EESZ_S10_S11_S12_S16_S17_S18_S1B_S1C_jS1D_jS1E_S1E_jjS1G_bEUljE0_EEESZ_S10_S11_S18_S1C_S1E_T6_T7_T9_mT8_S1G_bDpT10_ENKUlT_T0_E_clISt17integral_constantIbLb0EES1U_EEDaS1P_S1Q_EUlS1P_E_NS1_11comp_targetILNS1_3genE0ELNS1_11target_archE4294967295ELNS1_3gpuE0ELNS1_3repE0EEENS1_30default_config_static_selectorELNS0_4arch9wavefront6targetE0EEEvS12_.num_named_barrier, 0
	.set _ZN7rocprim17ROCPRIM_400000_NS6detail17trampoline_kernelINS0_13select_configILj256ELj13ELNS0_17block_load_methodE3ELS4_3ELS4_3ELNS0_20block_scan_algorithmE0ELj4294967295EEENS1_25partition_config_selectorILNS1_17partition_subalgoE4EjNS0_10empty_typeEbEEZZNS1_14partition_implILS8_4ELb0ES6_15HIP_vector_typeIjLj2EENS0_17counting_iteratorIjlEEPS9_SG_NS0_5tupleIJPjSI_NS0_16reverse_iteratorISI_EEEEENSH_IJSG_SG_SG_EEES9_SI_JZNS1_25segmented_radix_sort_implINS0_14default_configELb1EPKfPfPKlPlN2at6native12_GLOBAL__N_18offset_tEEE10hipError_tPvRmT1_PNSt15iterator_traitsIS12_E10value_typeET2_T3_PNS13_IS18_E10value_typeET4_jRbjT5_S1E_jjP12ihipStream_tbEUljE_ZNSN_ISO_Lb1ESQ_SR_ST_SU_SY_EESZ_S10_S11_S12_S16_S17_S18_S1B_S1C_jS1D_jS1E_S1E_jjS1G_bEUljE0_EEESZ_S10_S11_S18_S1C_S1E_T6_T7_T9_mT8_S1G_bDpT10_ENKUlT_T0_E_clISt17integral_constantIbLb0EES1U_EEDaS1P_S1Q_EUlS1P_E_NS1_11comp_targetILNS1_3genE0ELNS1_11target_archE4294967295ELNS1_3gpuE0ELNS1_3repE0EEENS1_30default_config_static_selectorELNS0_4arch9wavefront6targetE0EEEvS12_.private_seg_size, 0
	.set _ZN7rocprim17ROCPRIM_400000_NS6detail17trampoline_kernelINS0_13select_configILj256ELj13ELNS0_17block_load_methodE3ELS4_3ELS4_3ELNS0_20block_scan_algorithmE0ELj4294967295EEENS1_25partition_config_selectorILNS1_17partition_subalgoE4EjNS0_10empty_typeEbEEZZNS1_14partition_implILS8_4ELb0ES6_15HIP_vector_typeIjLj2EENS0_17counting_iteratorIjlEEPS9_SG_NS0_5tupleIJPjSI_NS0_16reverse_iteratorISI_EEEEENSH_IJSG_SG_SG_EEES9_SI_JZNS1_25segmented_radix_sort_implINS0_14default_configELb1EPKfPfPKlPlN2at6native12_GLOBAL__N_18offset_tEEE10hipError_tPvRmT1_PNSt15iterator_traitsIS12_E10value_typeET2_T3_PNS13_IS18_E10value_typeET4_jRbjT5_S1E_jjP12ihipStream_tbEUljE_ZNSN_ISO_Lb1ESQ_SR_ST_SU_SY_EESZ_S10_S11_S12_S16_S17_S18_S1B_S1C_jS1D_jS1E_S1E_jjS1G_bEUljE0_EEESZ_S10_S11_S18_S1C_S1E_T6_T7_T9_mT8_S1G_bDpT10_ENKUlT_T0_E_clISt17integral_constantIbLb0EES1U_EEDaS1P_S1Q_EUlS1P_E_NS1_11comp_targetILNS1_3genE0ELNS1_11target_archE4294967295ELNS1_3gpuE0ELNS1_3repE0EEENS1_30default_config_static_selectorELNS0_4arch9wavefront6targetE0EEEvS12_.uses_vcc, 0
	.set _ZN7rocprim17ROCPRIM_400000_NS6detail17trampoline_kernelINS0_13select_configILj256ELj13ELNS0_17block_load_methodE3ELS4_3ELS4_3ELNS0_20block_scan_algorithmE0ELj4294967295EEENS1_25partition_config_selectorILNS1_17partition_subalgoE4EjNS0_10empty_typeEbEEZZNS1_14partition_implILS8_4ELb0ES6_15HIP_vector_typeIjLj2EENS0_17counting_iteratorIjlEEPS9_SG_NS0_5tupleIJPjSI_NS0_16reverse_iteratorISI_EEEEENSH_IJSG_SG_SG_EEES9_SI_JZNS1_25segmented_radix_sort_implINS0_14default_configELb1EPKfPfPKlPlN2at6native12_GLOBAL__N_18offset_tEEE10hipError_tPvRmT1_PNSt15iterator_traitsIS12_E10value_typeET2_T3_PNS13_IS18_E10value_typeET4_jRbjT5_S1E_jjP12ihipStream_tbEUljE_ZNSN_ISO_Lb1ESQ_SR_ST_SU_SY_EESZ_S10_S11_S12_S16_S17_S18_S1B_S1C_jS1D_jS1E_S1E_jjS1G_bEUljE0_EEESZ_S10_S11_S18_S1C_S1E_T6_T7_T9_mT8_S1G_bDpT10_ENKUlT_T0_E_clISt17integral_constantIbLb0EES1U_EEDaS1P_S1Q_EUlS1P_E_NS1_11comp_targetILNS1_3genE0ELNS1_11target_archE4294967295ELNS1_3gpuE0ELNS1_3repE0EEENS1_30default_config_static_selectorELNS0_4arch9wavefront6targetE0EEEvS12_.uses_flat_scratch, 0
	.set _ZN7rocprim17ROCPRIM_400000_NS6detail17trampoline_kernelINS0_13select_configILj256ELj13ELNS0_17block_load_methodE3ELS4_3ELS4_3ELNS0_20block_scan_algorithmE0ELj4294967295EEENS1_25partition_config_selectorILNS1_17partition_subalgoE4EjNS0_10empty_typeEbEEZZNS1_14partition_implILS8_4ELb0ES6_15HIP_vector_typeIjLj2EENS0_17counting_iteratorIjlEEPS9_SG_NS0_5tupleIJPjSI_NS0_16reverse_iteratorISI_EEEEENSH_IJSG_SG_SG_EEES9_SI_JZNS1_25segmented_radix_sort_implINS0_14default_configELb1EPKfPfPKlPlN2at6native12_GLOBAL__N_18offset_tEEE10hipError_tPvRmT1_PNSt15iterator_traitsIS12_E10value_typeET2_T3_PNS13_IS18_E10value_typeET4_jRbjT5_S1E_jjP12ihipStream_tbEUljE_ZNSN_ISO_Lb1ESQ_SR_ST_SU_SY_EESZ_S10_S11_S12_S16_S17_S18_S1B_S1C_jS1D_jS1E_S1E_jjS1G_bEUljE0_EEESZ_S10_S11_S18_S1C_S1E_T6_T7_T9_mT8_S1G_bDpT10_ENKUlT_T0_E_clISt17integral_constantIbLb0EES1U_EEDaS1P_S1Q_EUlS1P_E_NS1_11comp_targetILNS1_3genE0ELNS1_11target_archE4294967295ELNS1_3gpuE0ELNS1_3repE0EEENS1_30default_config_static_selectorELNS0_4arch9wavefront6targetE0EEEvS12_.has_dyn_sized_stack, 0
	.set _ZN7rocprim17ROCPRIM_400000_NS6detail17trampoline_kernelINS0_13select_configILj256ELj13ELNS0_17block_load_methodE3ELS4_3ELS4_3ELNS0_20block_scan_algorithmE0ELj4294967295EEENS1_25partition_config_selectorILNS1_17partition_subalgoE4EjNS0_10empty_typeEbEEZZNS1_14partition_implILS8_4ELb0ES6_15HIP_vector_typeIjLj2EENS0_17counting_iteratorIjlEEPS9_SG_NS0_5tupleIJPjSI_NS0_16reverse_iteratorISI_EEEEENSH_IJSG_SG_SG_EEES9_SI_JZNS1_25segmented_radix_sort_implINS0_14default_configELb1EPKfPfPKlPlN2at6native12_GLOBAL__N_18offset_tEEE10hipError_tPvRmT1_PNSt15iterator_traitsIS12_E10value_typeET2_T3_PNS13_IS18_E10value_typeET4_jRbjT5_S1E_jjP12ihipStream_tbEUljE_ZNSN_ISO_Lb1ESQ_SR_ST_SU_SY_EESZ_S10_S11_S12_S16_S17_S18_S1B_S1C_jS1D_jS1E_S1E_jjS1G_bEUljE0_EEESZ_S10_S11_S18_S1C_S1E_T6_T7_T9_mT8_S1G_bDpT10_ENKUlT_T0_E_clISt17integral_constantIbLb0EES1U_EEDaS1P_S1Q_EUlS1P_E_NS1_11comp_targetILNS1_3genE0ELNS1_11target_archE4294967295ELNS1_3gpuE0ELNS1_3repE0EEENS1_30default_config_static_selectorELNS0_4arch9wavefront6targetE0EEEvS12_.has_recursion, 0
	.set _ZN7rocprim17ROCPRIM_400000_NS6detail17trampoline_kernelINS0_13select_configILj256ELj13ELNS0_17block_load_methodE3ELS4_3ELS4_3ELNS0_20block_scan_algorithmE0ELj4294967295EEENS1_25partition_config_selectorILNS1_17partition_subalgoE4EjNS0_10empty_typeEbEEZZNS1_14partition_implILS8_4ELb0ES6_15HIP_vector_typeIjLj2EENS0_17counting_iteratorIjlEEPS9_SG_NS0_5tupleIJPjSI_NS0_16reverse_iteratorISI_EEEEENSH_IJSG_SG_SG_EEES9_SI_JZNS1_25segmented_radix_sort_implINS0_14default_configELb1EPKfPfPKlPlN2at6native12_GLOBAL__N_18offset_tEEE10hipError_tPvRmT1_PNSt15iterator_traitsIS12_E10value_typeET2_T3_PNS13_IS18_E10value_typeET4_jRbjT5_S1E_jjP12ihipStream_tbEUljE_ZNSN_ISO_Lb1ESQ_SR_ST_SU_SY_EESZ_S10_S11_S12_S16_S17_S18_S1B_S1C_jS1D_jS1E_S1E_jjS1G_bEUljE0_EEESZ_S10_S11_S18_S1C_S1E_T6_T7_T9_mT8_S1G_bDpT10_ENKUlT_T0_E_clISt17integral_constantIbLb0EES1U_EEDaS1P_S1Q_EUlS1P_E_NS1_11comp_targetILNS1_3genE0ELNS1_11target_archE4294967295ELNS1_3gpuE0ELNS1_3repE0EEENS1_30default_config_static_selectorELNS0_4arch9wavefront6targetE0EEEvS12_.has_indirect_call, 0
	.section	.AMDGPU.csdata,"",@progbits
; Kernel info:
; codeLenInByte = 0
; TotalNumSgprs: 0
; NumVgprs: 0
; ScratchSize: 0
; MemoryBound: 0
; FloatMode: 240
; IeeeMode: 1
; LDSByteSize: 0 bytes/workgroup (compile time only)
; SGPRBlocks: 0
; VGPRBlocks: 0
; NumSGPRsForWavesPerEU: 1
; NumVGPRsForWavesPerEU: 1
; Occupancy: 16
; WaveLimiterHint : 0
; COMPUTE_PGM_RSRC2:SCRATCH_EN: 0
; COMPUTE_PGM_RSRC2:USER_SGPR: 6
; COMPUTE_PGM_RSRC2:TRAP_HANDLER: 0
; COMPUTE_PGM_RSRC2:TGID_X_EN: 1
; COMPUTE_PGM_RSRC2:TGID_Y_EN: 0
; COMPUTE_PGM_RSRC2:TGID_Z_EN: 0
; COMPUTE_PGM_RSRC2:TIDIG_COMP_CNT: 0
	.section	.text._ZN7rocprim17ROCPRIM_400000_NS6detail17trampoline_kernelINS0_13select_configILj256ELj13ELNS0_17block_load_methodE3ELS4_3ELS4_3ELNS0_20block_scan_algorithmE0ELj4294967295EEENS1_25partition_config_selectorILNS1_17partition_subalgoE4EjNS0_10empty_typeEbEEZZNS1_14partition_implILS8_4ELb0ES6_15HIP_vector_typeIjLj2EENS0_17counting_iteratorIjlEEPS9_SG_NS0_5tupleIJPjSI_NS0_16reverse_iteratorISI_EEEEENSH_IJSG_SG_SG_EEES9_SI_JZNS1_25segmented_radix_sort_implINS0_14default_configELb1EPKfPfPKlPlN2at6native12_GLOBAL__N_18offset_tEEE10hipError_tPvRmT1_PNSt15iterator_traitsIS12_E10value_typeET2_T3_PNS13_IS18_E10value_typeET4_jRbjT5_S1E_jjP12ihipStream_tbEUljE_ZNSN_ISO_Lb1ESQ_SR_ST_SU_SY_EESZ_S10_S11_S12_S16_S17_S18_S1B_S1C_jS1D_jS1E_S1E_jjS1G_bEUljE0_EEESZ_S10_S11_S18_S1C_S1E_T6_T7_T9_mT8_S1G_bDpT10_ENKUlT_T0_E_clISt17integral_constantIbLb0EES1U_EEDaS1P_S1Q_EUlS1P_E_NS1_11comp_targetILNS1_3genE5ELNS1_11target_archE942ELNS1_3gpuE9ELNS1_3repE0EEENS1_30default_config_static_selectorELNS0_4arch9wavefront6targetE0EEEvS12_,"axG",@progbits,_ZN7rocprim17ROCPRIM_400000_NS6detail17trampoline_kernelINS0_13select_configILj256ELj13ELNS0_17block_load_methodE3ELS4_3ELS4_3ELNS0_20block_scan_algorithmE0ELj4294967295EEENS1_25partition_config_selectorILNS1_17partition_subalgoE4EjNS0_10empty_typeEbEEZZNS1_14partition_implILS8_4ELb0ES6_15HIP_vector_typeIjLj2EENS0_17counting_iteratorIjlEEPS9_SG_NS0_5tupleIJPjSI_NS0_16reverse_iteratorISI_EEEEENSH_IJSG_SG_SG_EEES9_SI_JZNS1_25segmented_radix_sort_implINS0_14default_configELb1EPKfPfPKlPlN2at6native12_GLOBAL__N_18offset_tEEE10hipError_tPvRmT1_PNSt15iterator_traitsIS12_E10value_typeET2_T3_PNS13_IS18_E10value_typeET4_jRbjT5_S1E_jjP12ihipStream_tbEUljE_ZNSN_ISO_Lb1ESQ_SR_ST_SU_SY_EESZ_S10_S11_S12_S16_S17_S18_S1B_S1C_jS1D_jS1E_S1E_jjS1G_bEUljE0_EEESZ_S10_S11_S18_S1C_S1E_T6_T7_T9_mT8_S1G_bDpT10_ENKUlT_T0_E_clISt17integral_constantIbLb0EES1U_EEDaS1P_S1Q_EUlS1P_E_NS1_11comp_targetILNS1_3genE5ELNS1_11target_archE942ELNS1_3gpuE9ELNS1_3repE0EEENS1_30default_config_static_selectorELNS0_4arch9wavefront6targetE0EEEvS12_,comdat
	.globl	_ZN7rocprim17ROCPRIM_400000_NS6detail17trampoline_kernelINS0_13select_configILj256ELj13ELNS0_17block_load_methodE3ELS4_3ELS4_3ELNS0_20block_scan_algorithmE0ELj4294967295EEENS1_25partition_config_selectorILNS1_17partition_subalgoE4EjNS0_10empty_typeEbEEZZNS1_14partition_implILS8_4ELb0ES6_15HIP_vector_typeIjLj2EENS0_17counting_iteratorIjlEEPS9_SG_NS0_5tupleIJPjSI_NS0_16reverse_iteratorISI_EEEEENSH_IJSG_SG_SG_EEES9_SI_JZNS1_25segmented_radix_sort_implINS0_14default_configELb1EPKfPfPKlPlN2at6native12_GLOBAL__N_18offset_tEEE10hipError_tPvRmT1_PNSt15iterator_traitsIS12_E10value_typeET2_T3_PNS13_IS18_E10value_typeET4_jRbjT5_S1E_jjP12ihipStream_tbEUljE_ZNSN_ISO_Lb1ESQ_SR_ST_SU_SY_EESZ_S10_S11_S12_S16_S17_S18_S1B_S1C_jS1D_jS1E_S1E_jjS1G_bEUljE0_EEESZ_S10_S11_S18_S1C_S1E_T6_T7_T9_mT8_S1G_bDpT10_ENKUlT_T0_E_clISt17integral_constantIbLb0EES1U_EEDaS1P_S1Q_EUlS1P_E_NS1_11comp_targetILNS1_3genE5ELNS1_11target_archE942ELNS1_3gpuE9ELNS1_3repE0EEENS1_30default_config_static_selectorELNS0_4arch9wavefront6targetE0EEEvS12_ ; -- Begin function _ZN7rocprim17ROCPRIM_400000_NS6detail17trampoline_kernelINS0_13select_configILj256ELj13ELNS0_17block_load_methodE3ELS4_3ELS4_3ELNS0_20block_scan_algorithmE0ELj4294967295EEENS1_25partition_config_selectorILNS1_17partition_subalgoE4EjNS0_10empty_typeEbEEZZNS1_14partition_implILS8_4ELb0ES6_15HIP_vector_typeIjLj2EENS0_17counting_iteratorIjlEEPS9_SG_NS0_5tupleIJPjSI_NS0_16reverse_iteratorISI_EEEEENSH_IJSG_SG_SG_EEES9_SI_JZNS1_25segmented_radix_sort_implINS0_14default_configELb1EPKfPfPKlPlN2at6native12_GLOBAL__N_18offset_tEEE10hipError_tPvRmT1_PNSt15iterator_traitsIS12_E10value_typeET2_T3_PNS13_IS18_E10value_typeET4_jRbjT5_S1E_jjP12ihipStream_tbEUljE_ZNSN_ISO_Lb1ESQ_SR_ST_SU_SY_EESZ_S10_S11_S12_S16_S17_S18_S1B_S1C_jS1D_jS1E_S1E_jjS1G_bEUljE0_EEESZ_S10_S11_S18_S1C_S1E_T6_T7_T9_mT8_S1G_bDpT10_ENKUlT_T0_E_clISt17integral_constantIbLb0EES1U_EEDaS1P_S1Q_EUlS1P_E_NS1_11comp_targetILNS1_3genE5ELNS1_11target_archE942ELNS1_3gpuE9ELNS1_3repE0EEENS1_30default_config_static_selectorELNS0_4arch9wavefront6targetE0EEEvS12_
	.p2align	8
	.type	_ZN7rocprim17ROCPRIM_400000_NS6detail17trampoline_kernelINS0_13select_configILj256ELj13ELNS0_17block_load_methodE3ELS4_3ELS4_3ELNS0_20block_scan_algorithmE0ELj4294967295EEENS1_25partition_config_selectorILNS1_17partition_subalgoE4EjNS0_10empty_typeEbEEZZNS1_14partition_implILS8_4ELb0ES6_15HIP_vector_typeIjLj2EENS0_17counting_iteratorIjlEEPS9_SG_NS0_5tupleIJPjSI_NS0_16reverse_iteratorISI_EEEEENSH_IJSG_SG_SG_EEES9_SI_JZNS1_25segmented_radix_sort_implINS0_14default_configELb1EPKfPfPKlPlN2at6native12_GLOBAL__N_18offset_tEEE10hipError_tPvRmT1_PNSt15iterator_traitsIS12_E10value_typeET2_T3_PNS13_IS18_E10value_typeET4_jRbjT5_S1E_jjP12ihipStream_tbEUljE_ZNSN_ISO_Lb1ESQ_SR_ST_SU_SY_EESZ_S10_S11_S12_S16_S17_S18_S1B_S1C_jS1D_jS1E_S1E_jjS1G_bEUljE0_EEESZ_S10_S11_S18_S1C_S1E_T6_T7_T9_mT8_S1G_bDpT10_ENKUlT_T0_E_clISt17integral_constantIbLb0EES1U_EEDaS1P_S1Q_EUlS1P_E_NS1_11comp_targetILNS1_3genE5ELNS1_11target_archE942ELNS1_3gpuE9ELNS1_3repE0EEENS1_30default_config_static_selectorELNS0_4arch9wavefront6targetE0EEEvS12_,@function
_ZN7rocprim17ROCPRIM_400000_NS6detail17trampoline_kernelINS0_13select_configILj256ELj13ELNS0_17block_load_methodE3ELS4_3ELS4_3ELNS0_20block_scan_algorithmE0ELj4294967295EEENS1_25partition_config_selectorILNS1_17partition_subalgoE4EjNS0_10empty_typeEbEEZZNS1_14partition_implILS8_4ELb0ES6_15HIP_vector_typeIjLj2EENS0_17counting_iteratorIjlEEPS9_SG_NS0_5tupleIJPjSI_NS0_16reverse_iteratorISI_EEEEENSH_IJSG_SG_SG_EEES9_SI_JZNS1_25segmented_radix_sort_implINS0_14default_configELb1EPKfPfPKlPlN2at6native12_GLOBAL__N_18offset_tEEE10hipError_tPvRmT1_PNSt15iterator_traitsIS12_E10value_typeET2_T3_PNS13_IS18_E10value_typeET4_jRbjT5_S1E_jjP12ihipStream_tbEUljE_ZNSN_ISO_Lb1ESQ_SR_ST_SU_SY_EESZ_S10_S11_S12_S16_S17_S18_S1B_S1C_jS1D_jS1E_S1E_jjS1G_bEUljE0_EEESZ_S10_S11_S18_S1C_S1E_T6_T7_T9_mT8_S1G_bDpT10_ENKUlT_T0_E_clISt17integral_constantIbLb0EES1U_EEDaS1P_S1Q_EUlS1P_E_NS1_11comp_targetILNS1_3genE5ELNS1_11target_archE942ELNS1_3gpuE9ELNS1_3repE0EEENS1_30default_config_static_selectorELNS0_4arch9wavefront6targetE0EEEvS12_: ; @_ZN7rocprim17ROCPRIM_400000_NS6detail17trampoline_kernelINS0_13select_configILj256ELj13ELNS0_17block_load_methodE3ELS4_3ELS4_3ELNS0_20block_scan_algorithmE0ELj4294967295EEENS1_25partition_config_selectorILNS1_17partition_subalgoE4EjNS0_10empty_typeEbEEZZNS1_14partition_implILS8_4ELb0ES6_15HIP_vector_typeIjLj2EENS0_17counting_iteratorIjlEEPS9_SG_NS0_5tupleIJPjSI_NS0_16reverse_iteratorISI_EEEEENSH_IJSG_SG_SG_EEES9_SI_JZNS1_25segmented_radix_sort_implINS0_14default_configELb1EPKfPfPKlPlN2at6native12_GLOBAL__N_18offset_tEEE10hipError_tPvRmT1_PNSt15iterator_traitsIS12_E10value_typeET2_T3_PNS13_IS18_E10value_typeET4_jRbjT5_S1E_jjP12ihipStream_tbEUljE_ZNSN_ISO_Lb1ESQ_SR_ST_SU_SY_EESZ_S10_S11_S12_S16_S17_S18_S1B_S1C_jS1D_jS1E_S1E_jjS1G_bEUljE0_EEESZ_S10_S11_S18_S1C_S1E_T6_T7_T9_mT8_S1G_bDpT10_ENKUlT_T0_E_clISt17integral_constantIbLb0EES1U_EEDaS1P_S1Q_EUlS1P_E_NS1_11comp_targetILNS1_3genE5ELNS1_11target_archE942ELNS1_3gpuE9ELNS1_3repE0EEENS1_30default_config_static_selectorELNS0_4arch9wavefront6targetE0EEEvS12_
; %bb.0:
	.section	.rodata,"a",@progbits
	.p2align	6, 0x0
	.amdhsa_kernel _ZN7rocprim17ROCPRIM_400000_NS6detail17trampoline_kernelINS0_13select_configILj256ELj13ELNS0_17block_load_methodE3ELS4_3ELS4_3ELNS0_20block_scan_algorithmE0ELj4294967295EEENS1_25partition_config_selectorILNS1_17partition_subalgoE4EjNS0_10empty_typeEbEEZZNS1_14partition_implILS8_4ELb0ES6_15HIP_vector_typeIjLj2EENS0_17counting_iteratorIjlEEPS9_SG_NS0_5tupleIJPjSI_NS0_16reverse_iteratorISI_EEEEENSH_IJSG_SG_SG_EEES9_SI_JZNS1_25segmented_radix_sort_implINS0_14default_configELb1EPKfPfPKlPlN2at6native12_GLOBAL__N_18offset_tEEE10hipError_tPvRmT1_PNSt15iterator_traitsIS12_E10value_typeET2_T3_PNS13_IS18_E10value_typeET4_jRbjT5_S1E_jjP12ihipStream_tbEUljE_ZNSN_ISO_Lb1ESQ_SR_ST_SU_SY_EESZ_S10_S11_S12_S16_S17_S18_S1B_S1C_jS1D_jS1E_S1E_jjS1G_bEUljE0_EEESZ_S10_S11_S18_S1C_S1E_T6_T7_T9_mT8_S1G_bDpT10_ENKUlT_T0_E_clISt17integral_constantIbLb0EES1U_EEDaS1P_S1Q_EUlS1P_E_NS1_11comp_targetILNS1_3genE5ELNS1_11target_archE942ELNS1_3gpuE9ELNS1_3repE0EEENS1_30default_config_static_selectorELNS0_4arch9wavefront6targetE0EEEvS12_
		.amdhsa_group_segment_fixed_size 0
		.amdhsa_private_segment_fixed_size 0
		.amdhsa_kernarg_size 176
		.amdhsa_user_sgpr_count 6
		.amdhsa_user_sgpr_private_segment_buffer 1
		.amdhsa_user_sgpr_dispatch_ptr 0
		.amdhsa_user_sgpr_queue_ptr 0
		.amdhsa_user_sgpr_kernarg_segment_ptr 1
		.amdhsa_user_sgpr_dispatch_id 0
		.amdhsa_user_sgpr_flat_scratch_init 0
		.amdhsa_user_sgpr_private_segment_size 0
		.amdhsa_wavefront_size32 1
		.amdhsa_uses_dynamic_stack 0
		.amdhsa_system_sgpr_private_segment_wavefront_offset 0
		.amdhsa_system_sgpr_workgroup_id_x 1
		.amdhsa_system_sgpr_workgroup_id_y 0
		.amdhsa_system_sgpr_workgroup_id_z 0
		.amdhsa_system_sgpr_workgroup_info 0
		.amdhsa_system_vgpr_workitem_id 0
		.amdhsa_next_free_vgpr 1
		.amdhsa_next_free_sgpr 1
		.amdhsa_reserve_vcc 0
		.amdhsa_reserve_flat_scratch 0
		.amdhsa_float_round_mode_32 0
		.amdhsa_float_round_mode_16_64 0
		.amdhsa_float_denorm_mode_32 3
		.amdhsa_float_denorm_mode_16_64 3
		.amdhsa_dx10_clamp 1
		.amdhsa_ieee_mode 1
		.amdhsa_fp16_overflow 0
		.amdhsa_workgroup_processor_mode 1
		.amdhsa_memory_ordered 1
		.amdhsa_forward_progress 1
		.amdhsa_shared_vgpr_count 0
		.amdhsa_exception_fp_ieee_invalid_op 0
		.amdhsa_exception_fp_denorm_src 0
		.amdhsa_exception_fp_ieee_div_zero 0
		.amdhsa_exception_fp_ieee_overflow 0
		.amdhsa_exception_fp_ieee_underflow 0
		.amdhsa_exception_fp_ieee_inexact 0
		.amdhsa_exception_int_div_zero 0
	.end_amdhsa_kernel
	.section	.text._ZN7rocprim17ROCPRIM_400000_NS6detail17trampoline_kernelINS0_13select_configILj256ELj13ELNS0_17block_load_methodE3ELS4_3ELS4_3ELNS0_20block_scan_algorithmE0ELj4294967295EEENS1_25partition_config_selectorILNS1_17partition_subalgoE4EjNS0_10empty_typeEbEEZZNS1_14partition_implILS8_4ELb0ES6_15HIP_vector_typeIjLj2EENS0_17counting_iteratorIjlEEPS9_SG_NS0_5tupleIJPjSI_NS0_16reverse_iteratorISI_EEEEENSH_IJSG_SG_SG_EEES9_SI_JZNS1_25segmented_radix_sort_implINS0_14default_configELb1EPKfPfPKlPlN2at6native12_GLOBAL__N_18offset_tEEE10hipError_tPvRmT1_PNSt15iterator_traitsIS12_E10value_typeET2_T3_PNS13_IS18_E10value_typeET4_jRbjT5_S1E_jjP12ihipStream_tbEUljE_ZNSN_ISO_Lb1ESQ_SR_ST_SU_SY_EESZ_S10_S11_S12_S16_S17_S18_S1B_S1C_jS1D_jS1E_S1E_jjS1G_bEUljE0_EEESZ_S10_S11_S18_S1C_S1E_T6_T7_T9_mT8_S1G_bDpT10_ENKUlT_T0_E_clISt17integral_constantIbLb0EES1U_EEDaS1P_S1Q_EUlS1P_E_NS1_11comp_targetILNS1_3genE5ELNS1_11target_archE942ELNS1_3gpuE9ELNS1_3repE0EEENS1_30default_config_static_selectorELNS0_4arch9wavefront6targetE0EEEvS12_,"axG",@progbits,_ZN7rocprim17ROCPRIM_400000_NS6detail17trampoline_kernelINS0_13select_configILj256ELj13ELNS0_17block_load_methodE3ELS4_3ELS4_3ELNS0_20block_scan_algorithmE0ELj4294967295EEENS1_25partition_config_selectorILNS1_17partition_subalgoE4EjNS0_10empty_typeEbEEZZNS1_14partition_implILS8_4ELb0ES6_15HIP_vector_typeIjLj2EENS0_17counting_iteratorIjlEEPS9_SG_NS0_5tupleIJPjSI_NS0_16reverse_iteratorISI_EEEEENSH_IJSG_SG_SG_EEES9_SI_JZNS1_25segmented_radix_sort_implINS0_14default_configELb1EPKfPfPKlPlN2at6native12_GLOBAL__N_18offset_tEEE10hipError_tPvRmT1_PNSt15iterator_traitsIS12_E10value_typeET2_T3_PNS13_IS18_E10value_typeET4_jRbjT5_S1E_jjP12ihipStream_tbEUljE_ZNSN_ISO_Lb1ESQ_SR_ST_SU_SY_EESZ_S10_S11_S12_S16_S17_S18_S1B_S1C_jS1D_jS1E_S1E_jjS1G_bEUljE0_EEESZ_S10_S11_S18_S1C_S1E_T6_T7_T9_mT8_S1G_bDpT10_ENKUlT_T0_E_clISt17integral_constantIbLb0EES1U_EEDaS1P_S1Q_EUlS1P_E_NS1_11comp_targetILNS1_3genE5ELNS1_11target_archE942ELNS1_3gpuE9ELNS1_3repE0EEENS1_30default_config_static_selectorELNS0_4arch9wavefront6targetE0EEEvS12_,comdat
.Lfunc_end1254:
	.size	_ZN7rocprim17ROCPRIM_400000_NS6detail17trampoline_kernelINS0_13select_configILj256ELj13ELNS0_17block_load_methodE3ELS4_3ELS4_3ELNS0_20block_scan_algorithmE0ELj4294967295EEENS1_25partition_config_selectorILNS1_17partition_subalgoE4EjNS0_10empty_typeEbEEZZNS1_14partition_implILS8_4ELb0ES6_15HIP_vector_typeIjLj2EENS0_17counting_iteratorIjlEEPS9_SG_NS0_5tupleIJPjSI_NS0_16reverse_iteratorISI_EEEEENSH_IJSG_SG_SG_EEES9_SI_JZNS1_25segmented_radix_sort_implINS0_14default_configELb1EPKfPfPKlPlN2at6native12_GLOBAL__N_18offset_tEEE10hipError_tPvRmT1_PNSt15iterator_traitsIS12_E10value_typeET2_T3_PNS13_IS18_E10value_typeET4_jRbjT5_S1E_jjP12ihipStream_tbEUljE_ZNSN_ISO_Lb1ESQ_SR_ST_SU_SY_EESZ_S10_S11_S12_S16_S17_S18_S1B_S1C_jS1D_jS1E_S1E_jjS1G_bEUljE0_EEESZ_S10_S11_S18_S1C_S1E_T6_T7_T9_mT8_S1G_bDpT10_ENKUlT_T0_E_clISt17integral_constantIbLb0EES1U_EEDaS1P_S1Q_EUlS1P_E_NS1_11comp_targetILNS1_3genE5ELNS1_11target_archE942ELNS1_3gpuE9ELNS1_3repE0EEENS1_30default_config_static_selectorELNS0_4arch9wavefront6targetE0EEEvS12_, .Lfunc_end1254-_ZN7rocprim17ROCPRIM_400000_NS6detail17trampoline_kernelINS0_13select_configILj256ELj13ELNS0_17block_load_methodE3ELS4_3ELS4_3ELNS0_20block_scan_algorithmE0ELj4294967295EEENS1_25partition_config_selectorILNS1_17partition_subalgoE4EjNS0_10empty_typeEbEEZZNS1_14partition_implILS8_4ELb0ES6_15HIP_vector_typeIjLj2EENS0_17counting_iteratorIjlEEPS9_SG_NS0_5tupleIJPjSI_NS0_16reverse_iteratorISI_EEEEENSH_IJSG_SG_SG_EEES9_SI_JZNS1_25segmented_radix_sort_implINS0_14default_configELb1EPKfPfPKlPlN2at6native12_GLOBAL__N_18offset_tEEE10hipError_tPvRmT1_PNSt15iterator_traitsIS12_E10value_typeET2_T3_PNS13_IS18_E10value_typeET4_jRbjT5_S1E_jjP12ihipStream_tbEUljE_ZNSN_ISO_Lb1ESQ_SR_ST_SU_SY_EESZ_S10_S11_S12_S16_S17_S18_S1B_S1C_jS1D_jS1E_S1E_jjS1G_bEUljE0_EEESZ_S10_S11_S18_S1C_S1E_T6_T7_T9_mT8_S1G_bDpT10_ENKUlT_T0_E_clISt17integral_constantIbLb0EES1U_EEDaS1P_S1Q_EUlS1P_E_NS1_11comp_targetILNS1_3genE5ELNS1_11target_archE942ELNS1_3gpuE9ELNS1_3repE0EEENS1_30default_config_static_selectorELNS0_4arch9wavefront6targetE0EEEvS12_
                                        ; -- End function
	.set _ZN7rocprim17ROCPRIM_400000_NS6detail17trampoline_kernelINS0_13select_configILj256ELj13ELNS0_17block_load_methodE3ELS4_3ELS4_3ELNS0_20block_scan_algorithmE0ELj4294967295EEENS1_25partition_config_selectorILNS1_17partition_subalgoE4EjNS0_10empty_typeEbEEZZNS1_14partition_implILS8_4ELb0ES6_15HIP_vector_typeIjLj2EENS0_17counting_iteratorIjlEEPS9_SG_NS0_5tupleIJPjSI_NS0_16reverse_iteratorISI_EEEEENSH_IJSG_SG_SG_EEES9_SI_JZNS1_25segmented_radix_sort_implINS0_14default_configELb1EPKfPfPKlPlN2at6native12_GLOBAL__N_18offset_tEEE10hipError_tPvRmT1_PNSt15iterator_traitsIS12_E10value_typeET2_T3_PNS13_IS18_E10value_typeET4_jRbjT5_S1E_jjP12ihipStream_tbEUljE_ZNSN_ISO_Lb1ESQ_SR_ST_SU_SY_EESZ_S10_S11_S12_S16_S17_S18_S1B_S1C_jS1D_jS1E_S1E_jjS1G_bEUljE0_EEESZ_S10_S11_S18_S1C_S1E_T6_T7_T9_mT8_S1G_bDpT10_ENKUlT_T0_E_clISt17integral_constantIbLb0EES1U_EEDaS1P_S1Q_EUlS1P_E_NS1_11comp_targetILNS1_3genE5ELNS1_11target_archE942ELNS1_3gpuE9ELNS1_3repE0EEENS1_30default_config_static_selectorELNS0_4arch9wavefront6targetE0EEEvS12_.num_vgpr, 0
	.set _ZN7rocprim17ROCPRIM_400000_NS6detail17trampoline_kernelINS0_13select_configILj256ELj13ELNS0_17block_load_methodE3ELS4_3ELS4_3ELNS0_20block_scan_algorithmE0ELj4294967295EEENS1_25partition_config_selectorILNS1_17partition_subalgoE4EjNS0_10empty_typeEbEEZZNS1_14partition_implILS8_4ELb0ES6_15HIP_vector_typeIjLj2EENS0_17counting_iteratorIjlEEPS9_SG_NS0_5tupleIJPjSI_NS0_16reverse_iteratorISI_EEEEENSH_IJSG_SG_SG_EEES9_SI_JZNS1_25segmented_radix_sort_implINS0_14default_configELb1EPKfPfPKlPlN2at6native12_GLOBAL__N_18offset_tEEE10hipError_tPvRmT1_PNSt15iterator_traitsIS12_E10value_typeET2_T3_PNS13_IS18_E10value_typeET4_jRbjT5_S1E_jjP12ihipStream_tbEUljE_ZNSN_ISO_Lb1ESQ_SR_ST_SU_SY_EESZ_S10_S11_S12_S16_S17_S18_S1B_S1C_jS1D_jS1E_S1E_jjS1G_bEUljE0_EEESZ_S10_S11_S18_S1C_S1E_T6_T7_T9_mT8_S1G_bDpT10_ENKUlT_T0_E_clISt17integral_constantIbLb0EES1U_EEDaS1P_S1Q_EUlS1P_E_NS1_11comp_targetILNS1_3genE5ELNS1_11target_archE942ELNS1_3gpuE9ELNS1_3repE0EEENS1_30default_config_static_selectorELNS0_4arch9wavefront6targetE0EEEvS12_.num_agpr, 0
	.set _ZN7rocprim17ROCPRIM_400000_NS6detail17trampoline_kernelINS0_13select_configILj256ELj13ELNS0_17block_load_methodE3ELS4_3ELS4_3ELNS0_20block_scan_algorithmE0ELj4294967295EEENS1_25partition_config_selectorILNS1_17partition_subalgoE4EjNS0_10empty_typeEbEEZZNS1_14partition_implILS8_4ELb0ES6_15HIP_vector_typeIjLj2EENS0_17counting_iteratorIjlEEPS9_SG_NS0_5tupleIJPjSI_NS0_16reverse_iteratorISI_EEEEENSH_IJSG_SG_SG_EEES9_SI_JZNS1_25segmented_radix_sort_implINS0_14default_configELb1EPKfPfPKlPlN2at6native12_GLOBAL__N_18offset_tEEE10hipError_tPvRmT1_PNSt15iterator_traitsIS12_E10value_typeET2_T3_PNS13_IS18_E10value_typeET4_jRbjT5_S1E_jjP12ihipStream_tbEUljE_ZNSN_ISO_Lb1ESQ_SR_ST_SU_SY_EESZ_S10_S11_S12_S16_S17_S18_S1B_S1C_jS1D_jS1E_S1E_jjS1G_bEUljE0_EEESZ_S10_S11_S18_S1C_S1E_T6_T7_T9_mT8_S1G_bDpT10_ENKUlT_T0_E_clISt17integral_constantIbLb0EES1U_EEDaS1P_S1Q_EUlS1P_E_NS1_11comp_targetILNS1_3genE5ELNS1_11target_archE942ELNS1_3gpuE9ELNS1_3repE0EEENS1_30default_config_static_selectorELNS0_4arch9wavefront6targetE0EEEvS12_.numbered_sgpr, 0
	.set _ZN7rocprim17ROCPRIM_400000_NS6detail17trampoline_kernelINS0_13select_configILj256ELj13ELNS0_17block_load_methodE3ELS4_3ELS4_3ELNS0_20block_scan_algorithmE0ELj4294967295EEENS1_25partition_config_selectorILNS1_17partition_subalgoE4EjNS0_10empty_typeEbEEZZNS1_14partition_implILS8_4ELb0ES6_15HIP_vector_typeIjLj2EENS0_17counting_iteratorIjlEEPS9_SG_NS0_5tupleIJPjSI_NS0_16reverse_iteratorISI_EEEEENSH_IJSG_SG_SG_EEES9_SI_JZNS1_25segmented_radix_sort_implINS0_14default_configELb1EPKfPfPKlPlN2at6native12_GLOBAL__N_18offset_tEEE10hipError_tPvRmT1_PNSt15iterator_traitsIS12_E10value_typeET2_T3_PNS13_IS18_E10value_typeET4_jRbjT5_S1E_jjP12ihipStream_tbEUljE_ZNSN_ISO_Lb1ESQ_SR_ST_SU_SY_EESZ_S10_S11_S12_S16_S17_S18_S1B_S1C_jS1D_jS1E_S1E_jjS1G_bEUljE0_EEESZ_S10_S11_S18_S1C_S1E_T6_T7_T9_mT8_S1G_bDpT10_ENKUlT_T0_E_clISt17integral_constantIbLb0EES1U_EEDaS1P_S1Q_EUlS1P_E_NS1_11comp_targetILNS1_3genE5ELNS1_11target_archE942ELNS1_3gpuE9ELNS1_3repE0EEENS1_30default_config_static_selectorELNS0_4arch9wavefront6targetE0EEEvS12_.num_named_barrier, 0
	.set _ZN7rocprim17ROCPRIM_400000_NS6detail17trampoline_kernelINS0_13select_configILj256ELj13ELNS0_17block_load_methodE3ELS4_3ELS4_3ELNS0_20block_scan_algorithmE0ELj4294967295EEENS1_25partition_config_selectorILNS1_17partition_subalgoE4EjNS0_10empty_typeEbEEZZNS1_14partition_implILS8_4ELb0ES6_15HIP_vector_typeIjLj2EENS0_17counting_iteratorIjlEEPS9_SG_NS0_5tupleIJPjSI_NS0_16reverse_iteratorISI_EEEEENSH_IJSG_SG_SG_EEES9_SI_JZNS1_25segmented_radix_sort_implINS0_14default_configELb1EPKfPfPKlPlN2at6native12_GLOBAL__N_18offset_tEEE10hipError_tPvRmT1_PNSt15iterator_traitsIS12_E10value_typeET2_T3_PNS13_IS18_E10value_typeET4_jRbjT5_S1E_jjP12ihipStream_tbEUljE_ZNSN_ISO_Lb1ESQ_SR_ST_SU_SY_EESZ_S10_S11_S12_S16_S17_S18_S1B_S1C_jS1D_jS1E_S1E_jjS1G_bEUljE0_EEESZ_S10_S11_S18_S1C_S1E_T6_T7_T9_mT8_S1G_bDpT10_ENKUlT_T0_E_clISt17integral_constantIbLb0EES1U_EEDaS1P_S1Q_EUlS1P_E_NS1_11comp_targetILNS1_3genE5ELNS1_11target_archE942ELNS1_3gpuE9ELNS1_3repE0EEENS1_30default_config_static_selectorELNS0_4arch9wavefront6targetE0EEEvS12_.private_seg_size, 0
	.set _ZN7rocprim17ROCPRIM_400000_NS6detail17trampoline_kernelINS0_13select_configILj256ELj13ELNS0_17block_load_methodE3ELS4_3ELS4_3ELNS0_20block_scan_algorithmE0ELj4294967295EEENS1_25partition_config_selectorILNS1_17partition_subalgoE4EjNS0_10empty_typeEbEEZZNS1_14partition_implILS8_4ELb0ES6_15HIP_vector_typeIjLj2EENS0_17counting_iteratorIjlEEPS9_SG_NS0_5tupleIJPjSI_NS0_16reverse_iteratorISI_EEEEENSH_IJSG_SG_SG_EEES9_SI_JZNS1_25segmented_radix_sort_implINS0_14default_configELb1EPKfPfPKlPlN2at6native12_GLOBAL__N_18offset_tEEE10hipError_tPvRmT1_PNSt15iterator_traitsIS12_E10value_typeET2_T3_PNS13_IS18_E10value_typeET4_jRbjT5_S1E_jjP12ihipStream_tbEUljE_ZNSN_ISO_Lb1ESQ_SR_ST_SU_SY_EESZ_S10_S11_S12_S16_S17_S18_S1B_S1C_jS1D_jS1E_S1E_jjS1G_bEUljE0_EEESZ_S10_S11_S18_S1C_S1E_T6_T7_T9_mT8_S1G_bDpT10_ENKUlT_T0_E_clISt17integral_constantIbLb0EES1U_EEDaS1P_S1Q_EUlS1P_E_NS1_11comp_targetILNS1_3genE5ELNS1_11target_archE942ELNS1_3gpuE9ELNS1_3repE0EEENS1_30default_config_static_selectorELNS0_4arch9wavefront6targetE0EEEvS12_.uses_vcc, 0
	.set _ZN7rocprim17ROCPRIM_400000_NS6detail17trampoline_kernelINS0_13select_configILj256ELj13ELNS0_17block_load_methodE3ELS4_3ELS4_3ELNS0_20block_scan_algorithmE0ELj4294967295EEENS1_25partition_config_selectorILNS1_17partition_subalgoE4EjNS0_10empty_typeEbEEZZNS1_14partition_implILS8_4ELb0ES6_15HIP_vector_typeIjLj2EENS0_17counting_iteratorIjlEEPS9_SG_NS0_5tupleIJPjSI_NS0_16reverse_iteratorISI_EEEEENSH_IJSG_SG_SG_EEES9_SI_JZNS1_25segmented_radix_sort_implINS0_14default_configELb1EPKfPfPKlPlN2at6native12_GLOBAL__N_18offset_tEEE10hipError_tPvRmT1_PNSt15iterator_traitsIS12_E10value_typeET2_T3_PNS13_IS18_E10value_typeET4_jRbjT5_S1E_jjP12ihipStream_tbEUljE_ZNSN_ISO_Lb1ESQ_SR_ST_SU_SY_EESZ_S10_S11_S12_S16_S17_S18_S1B_S1C_jS1D_jS1E_S1E_jjS1G_bEUljE0_EEESZ_S10_S11_S18_S1C_S1E_T6_T7_T9_mT8_S1G_bDpT10_ENKUlT_T0_E_clISt17integral_constantIbLb0EES1U_EEDaS1P_S1Q_EUlS1P_E_NS1_11comp_targetILNS1_3genE5ELNS1_11target_archE942ELNS1_3gpuE9ELNS1_3repE0EEENS1_30default_config_static_selectorELNS0_4arch9wavefront6targetE0EEEvS12_.uses_flat_scratch, 0
	.set _ZN7rocprim17ROCPRIM_400000_NS6detail17trampoline_kernelINS0_13select_configILj256ELj13ELNS0_17block_load_methodE3ELS4_3ELS4_3ELNS0_20block_scan_algorithmE0ELj4294967295EEENS1_25partition_config_selectorILNS1_17partition_subalgoE4EjNS0_10empty_typeEbEEZZNS1_14partition_implILS8_4ELb0ES6_15HIP_vector_typeIjLj2EENS0_17counting_iteratorIjlEEPS9_SG_NS0_5tupleIJPjSI_NS0_16reverse_iteratorISI_EEEEENSH_IJSG_SG_SG_EEES9_SI_JZNS1_25segmented_radix_sort_implINS0_14default_configELb1EPKfPfPKlPlN2at6native12_GLOBAL__N_18offset_tEEE10hipError_tPvRmT1_PNSt15iterator_traitsIS12_E10value_typeET2_T3_PNS13_IS18_E10value_typeET4_jRbjT5_S1E_jjP12ihipStream_tbEUljE_ZNSN_ISO_Lb1ESQ_SR_ST_SU_SY_EESZ_S10_S11_S12_S16_S17_S18_S1B_S1C_jS1D_jS1E_S1E_jjS1G_bEUljE0_EEESZ_S10_S11_S18_S1C_S1E_T6_T7_T9_mT8_S1G_bDpT10_ENKUlT_T0_E_clISt17integral_constantIbLb0EES1U_EEDaS1P_S1Q_EUlS1P_E_NS1_11comp_targetILNS1_3genE5ELNS1_11target_archE942ELNS1_3gpuE9ELNS1_3repE0EEENS1_30default_config_static_selectorELNS0_4arch9wavefront6targetE0EEEvS12_.has_dyn_sized_stack, 0
	.set _ZN7rocprim17ROCPRIM_400000_NS6detail17trampoline_kernelINS0_13select_configILj256ELj13ELNS0_17block_load_methodE3ELS4_3ELS4_3ELNS0_20block_scan_algorithmE0ELj4294967295EEENS1_25partition_config_selectorILNS1_17partition_subalgoE4EjNS0_10empty_typeEbEEZZNS1_14partition_implILS8_4ELb0ES6_15HIP_vector_typeIjLj2EENS0_17counting_iteratorIjlEEPS9_SG_NS0_5tupleIJPjSI_NS0_16reverse_iteratorISI_EEEEENSH_IJSG_SG_SG_EEES9_SI_JZNS1_25segmented_radix_sort_implINS0_14default_configELb1EPKfPfPKlPlN2at6native12_GLOBAL__N_18offset_tEEE10hipError_tPvRmT1_PNSt15iterator_traitsIS12_E10value_typeET2_T3_PNS13_IS18_E10value_typeET4_jRbjT5_S1E_jjP12ihipStream_tbEUljE_ZNSN_ISO_Lb1ESQ_SR_ST_SU_SY_EESZ_S10_S11_S12_S16_S17_S18_S1B_S1C_jS1D_jS1E_S1E_jjS1G_bEUljE0_EEESZ_S10_S11_S18_S1C_S1E_T6_T7_T9_mT8_S1G_bDpT10_ENKUlT_T0_E_clISt17integral_constantIbLb0EES1U_EEDaS1P_S1Q_EUlS1P_E_NS1_11comp_targetILNS1_3genE5ELNS1_11target_archE942ELNS1_3gpuE9ELNS1_3repE0EEENS1_30default_config_static_selectorELNS0_4arch9wavefront6targetE0EEEvS12_.has_recursion, 0
	.set _ZN7rocprim17ROCPRIM_400000_NS6detail17trampoline_kernelINS0_13select_configILj256ELj13ELNS0_17block_load_methodE3ELS4_3ELS4_3ELNS0_20block_scan_algorithmE0ELj4294967295EEENS1_25partition_config_selectorILNS1_17partition_subalgoE4EjNS0_10empty_typeEbEEZZNS1_14partition_implILS8_4ELb0ES6_15HIP_vector_typeIjLj2EENS0_17counting_iteratorIjlEEPS9_SG_NS0_5tupleIJPjSI_NS0_16reverse_iteratorISI_EEEEENSH_IJSG_SG_SG_EEES9_SI_JZNS1_25segmented_radix_sort_implINS0_14default_configELb1EPKfPfPKlPlN2at6native12_GLOBAL__N_18offset_tEEE10hipError_tPvRmT1_PNSt15iterator_traitsIS12_E10value_typeET2_T3_PNS13_IS18_E10value_typeET4_jRbjT5_S1E_jjP12ihipStream_tbEUljE_ZNSN_ISO_Lb1ESQ_SR_ST_SU_SY_EESZ_S10_S11_S12_S16_S17_S18_S1B_S1C_jS1D_jS1E_S1E_jjS1G_bEUljE0_EEESZ_S10_S11_S18_S1C_S1E_T6_T7_T9_mT8_S1G_bDpT10_ENKUlT_T0_E_clISt17integral_constantIbLb0EES1U_EEDaS1P_S1Q_EUlS1P_E_NS1_11comp_targetILNS1_3genE5ELNS1_11target_archE942ELNS1_3gpuE9ELNS1_3repE0EEENS1_30default_config_static_selectorELNS0_4arch9wavefront6targetE0EEEvS12_.has_indirect_call, 0
	.section	.AMDGPU.csdata,"",@progbits
; Kernel info:
; codeLenInByte = 0
; TotalNumSgprs: 0
; NumVgprs: 0
; ScratchSize: 0
; MemoryBound: 0
; FloatMode: 240
; IeeeMode: 1
; LDSByteSize: 0 bytes/workgroup (compile time only)
; SGPRBlocks: 0
; VGPRBlocks: 0
; NumSGPRsForWavesPerEU: 1
; NumVGPRsForWavesPerEU: 1
; Occupancy: 16
; WaveLimiterHint : 0
; COMPUTE_PGM_RSRC2:SCRATCH_EN: 0
; COMPUTE_PGM_RSRC2:USER_SGPR: 6
; COMPUTE_PGM_RSRC2:TRAP_HANDLER: 0
; COMPUTE_PGM_RSRC2:TGID_X_EN: 1
; COMPUTE_PGM_RSRC2:TGID_Y_EN: 0
; COMPUTE_PGM_RSRC2:TGID_Z_EN: 0
; COMPUTE_PGM_RSRC2:TIDIG_COMP_CNT: 0
	.section	.text._ZN7rocprim17ROCPRIM_400000_NS6detail17trampoline_kernelINS0_13select_configILj256ELj13ELNS0_17block_load_methodE3ELS4_3ELS4_3ELNS0_20block_scan_algorithmE0ELj4294967295EEENS1_25partition_config_selectorILNS1_17partition_subalgoE4EjNS0_10empty_typeEbEEZZNS1_14partition_implILS8_4ELb0ES6_15HIP_vector_typeIjLj2EENS0_17counting_iteratorIjlEEPS9_SG_NS0_5tupleIJPjSI_NS0_16reverse_iteratorISI_EEEEENSH_IJSG_SG_SG_EEES9_SI_JZNS1_25segmented_radix_sort_implINS0_14default_configELb1EPKfPfPKlPlN2at6native12_GLOBAL__N_18offset_tEEE10hipError_tPvRmT1_PNSt15iterator_traitsIS12_E10value_typeET2_T3_PNS13_IS18_E10value_typeET4_jRbjT5_S1E_jjP12ihipStream_tbEUljE_ZNSN_ISO_Lb1ESQ_SR_ST_SU_SY_EESZ_S10_S11_S12_S16_S17_S18_S1B_S1C_jS1D_jS1E_S1E_jjS1G_bEUljE0_EEESZ_S10_S11_S18_S1C_S1E_T6_T7_T9_mT8_S1G_bDpT10_ENKUlT_T0_E_clISt17integral_constantIbLb0EES1U_EEDaS1P_S1Q_EUlS1P_E_NS1_11comp_targetILNS1_3genE4ELNS1_11target_archE910ELNS1_3gpuE8ELNS1_3repE0EEENS1_30default_config_static_selectorELNS0_4arch9wavefront6targetE0EEEvS12_,"axG",@progbits,_ZN7rocprim17ROCPRIM_400000_NS6detail17trampoline_kernelINS0_13select_configILj256ELj13ELNS0_17block_load_methodE3ELS4_3ELS4_3ELNS0_20block_scan_algorithmE0ELj4294967295EEENS1_25partition_config_selectorILNS1_17partition_subalgoE4EjNS0_10empty_typeEbEEZZNS1_14partition_implILS8_4ELb0ES6_15HIP_vector_typeIjLj2EENS0_17counting_iteratorIjlEEPS9_SG_NS0_5tupleIJPjSI_NS0_16reverse_iteratorISI_EEEEENSH_IJSG_SG_SG_EEES9_SI_JZNS1_25segmented_radix_sort_implINS0_14default_configELb1EPKfPfPKlPlN2at6native12_GLOBAL__N_18offset_tEEE10hipError_tPvRmT1_PNSt15iterator_traitsIS12_E10value_typeET2_T3_PNS13_IS18_E10value_typeET4_jRbjT5_S1E_jjP12ihipStream_tbEUljE_ZNSN_ISO_Lb1ESQ_SR_ST_SU_SY_EESZ_S10_S11_S12_S16_S17_S18_S1B_S1C_jS1D_jS1E_S1E_jjS1G_bEUljE0_EEESZ_S10_S11_S18_S1C_S1E_T6_T7_T9_mT8_S1G_bDpT10_ENKUlT_T0_E_clISt17integral_constantIbLb0EES1U_EEDaS1P_S1Q_EUlS1P_E_NS1_11comp_targetILNS1_3genE4ELNS1_11target_archE910ELNS1_3gpuE8ELNS1_3repE0EEENS1_30default_config_static_selectorELNS0_4arch9wavefront6targetE0EEEvS12_,comdat
	.globl	_ZN7rocprim17ROCPRIM_400000_NS6detail17trampoline_kernelINS0_13select_configILj256ELj13ELNS0_17block_load_methodE3ELS4_3ELS4_3ELNS0_20block_scan_algorithmE0ELj4294967295EEENS1_25partition_config_selectorILNS1_17partition_subalgoE4EjNS0_10empty_typeEbEEZZNS1_14partition_implILS8_4ELb0ES6_15HIP_vector_typeIjLj2EENS0_17counting_iteratorIjlEEPS9_SG_NS0_5tupleIJPjSI_NS0_16reverse_iteratorISI_EEEEENSH_IJSG_SG_SG_EEES9_SI_JZNS1_25segmented_radix_sort_implINS0_14default_configELb1EPKfPfPKlPlN2at6native12_GLOBAL__N_18offset_tEEE10hipError_tPvRmT1_PNSt15iterator_traitsIS12_E10value_typeET2_T3_PNS13_IS18_E10value_typeET4_jRbjT5_S1E_jjP12ihipStream_tbEUljE_ZNSN_ISO_Lb1ESQ_SR_ST_SU_SY_EESZ_S10_S11_S12_S16_S17_S18_S1B_S1C_jS1D_jS1E_S1E_jjS1G_bEUljE0_EEESZ_S10_S11_S18_S1C_S1E_T6_T7_T9_mT8_S1G_bDpT10_ENKUlT_T0_E_clISt17integral_constantIbLb0EES1U_EEDaS1P_S1Q_EUlS1P_E_NS1_11comp_targetILNS1_3genE4ELNS1_11target_archE910ELNS1_3gpuE8ELNS1_3repE0EEENS1_30default_config_static_selectorELNS0_4arch9wavefront6targetE0EEEvS12_ ; -- Begin function _ZN7rocprim17ROCPRIM_400000_NS6detail17trampoline_kernelINS0_13select_configILj256ELj13ELNS0_17block_load_methodE3ELS4_3ELS4_3ELNS0_20block_scan_algorithmE0ELj4294967295EEENS1_25partition_config_selectorILNS1_17partition_subalgoE4EjNS0_10empty_typeEbEEZZNS1_14partition_implILS8_4ELb0ES6_15HIP_vector_typeIjLj2EENS0_17counting_iteratorIjlEEPS9_SG_NS0_5tupleIJPjSI_NS0_16reverse_iteratorISI_EEEEENSH_IJSG_SG_SG_EEES9_SI_JZNS1_25segmented_radix_sort_implINS0_14default_configELb1EPKfPfPKlPlN2at6native12_GLOBAL__N_18offset_tEEE10hipError_tPvRmT1_PNSt15iterator_traitsIS12_E10value_typeET2_T3_PNS13_IS18_E10value_typeET4_jRbjT5_S1E_jjP12ihipStream_tbEUljE_ZNSN_ISO_Lb1ESQ_SR_ST_SU_SY_EESZ_S10_S11_S12_S16_S17_S18_S1B_S1C_jS1D_jS1E_S1E_jjS1G_bEUljE0_EEESZ_S10_S11_S18_S1C_S1E_T6_T7_T9_mT8_S1G_bDpT10_ENKUlT_T0_E_clISt17integral_constantIbLb0EES1U_EEDaS1P_S1Q_EUlS1P_E_NS1_11comp_targetILNS1_3genE4ELNS1_11target_archE910ELNS1_3gpuE8ELNS1_3repE0EEENS1_30default_config_static_selectorELNS0_4arch9wavefront6targetE0EEEvS12_
	.p2align	8
	.type	_ZN7rocprim17ROCPRIM_400000_NS6detail17trampoline_kernelINS0_13select_configILj256ELj13ELNS0_17block_load_methodE3ELS4_3ELS4_3ELNS0_20block_scan_algorithmE0ELj4294967295EEENS1_25partition_config_selectorILNS1_17partition_subalgoE4EjNS0_10empty_typeEbEEZZNS1_14partition_implILS8_4ELb0ES6_15HIP_vector_typeIjLj2EENS0_17counting_iteratorIjlEEPS9_SG_NS0_5tupleIJPjSI_NS0_16reverse_iteratorISI_EEEEENSH_IJSG_SG_SG_EEES9_SI_JZNS1_25segmented_radix_sort_implINS0_14default_configELb1EPKfPfPKlPlN2at6native12_GLOBAL__N_18offset_tEEE10hipError_tPvRmT1_PNSt15iterator_traitsIS12_E10value_typeET2_T3_PNS13_IS18_E10value_typeET4_jRbjT5_S1E_jjP12ihipStream_tbEUljE_ZNSN_ISO_Lb1ESQ_SR_ST_SU_SY_EESZ_S10_S11_S12_S16_S17_S18_S1B_S1C_jS1D_jS1E_S1E_jjS1G_bEUljE0_EEESZ_S10_S11_S18_S1C_S1E_T6_T7_T9_mT8_S1G_bDpT10_ENKUlT_T0_E_clISt17integral_constantIbLb0EES1U_EEDaS1P_S1Q_EUlS1P_E_NS1_11comp_targetILNS1_3genE4ELNS1_11target_archE910ELNS1_3gpuE8ELNS1_3repE0EEENS1_30default_config_static_selectorELNS0_4arch9wavefront6targetE0EEEvS12_,@function
_ZN7rocprim17ROCPRIM_400000_NS6detail17trampoline_kernelINS0_13select_configILj256ELj13ELNS0_17block_load_methodE3ELS4_3ELS4_3ELNS0_20block_scan_algorithmE0ELj4294967295EEENS1_25partition_config_selectorILNS1_17partition_subalgoE4EjNS0_10empty_typeEbEEZZNS1_14partition_implILS8_4ELb0ES6_15HIP_vector_typeIjLj2EENS0_17counting_iteratorIjlEEPS9_SG_NS0_5tupleIJPjSI_NS0_16reverse_iteratorISI_EEEEENSH_IJSG_SG_SG_EEES9_SI_JZNS1_25segmented_radix_sort_implINS0_14default_configELb1EPKfPfPKlPlN2at6native12_GLOBAL__N_18offset_tEEE10hipError_tPvRmT1_PNSt15iterator_traitsIS12_E10value_typeET2_T3_PNS13_IS18_E10value_typeET4_jRbjT5_S1E_jjP12ihipStream_tbEUljE_ZNSN_ISO_Lb1ESQ_SR_ST_SU_SY_EESZ_S10_S11_S12_S16_S17_S18_S1B_S1C_jS1D_jS1E_S1E_jjS1G_bEUljE0_EEESZ_S10_S11_S18_S1C_S1E_T6_T7_T9_mT8_S1G_bDpT10_ENKUlT_T0_E_clISt17integral_constantIbLb0EES1U_EEDaS1P_S1Q_EUlS1P_E_NS1_11comp_targetILNS1_3genE4ELNS1_11target_archE910ELNS1_3gpuE8ELNS1_3repE0EEENS1_30default_config_static_selectorELNS0_4arch9wavefront6targetE0EEEvS12_: ; @_ZN7rocprim17ROCPRIM_400000_NS6detail17trampoline_kernelINS0_13select_configILj256ELj13ELNS0_17block_load_methodE3ELS4_3ELS4_3ELNS0_20block_scan_algorithmE0ELj4294967295EEENS1_25partition_config_selectorILNS1_17partition_subalgoE4EjNS0_10empty_typeEbEEZZNS1_14partition_implILS8_4ELb0ES6_15HIP_vector_typeIjLj2EENS0_17counting_iteratorIjlEEPS9_SG_NS0_5tupleIJPjSI_NS0_16reverse_iteratorISI_EEEEENSH_IJSG_SG_SG_EEES9_SI_JZNS1_25segmented_radix_sort_implINS0_14default_configELb1EPKfPfPKlPlN2at6native12_GLOBAL__N_18offset_tEEE10hipError_tPvRmT1_PNSt15iterator_traitsIS12_E10value_typeET2_T3_PNS13_IS18_E10value_typeET4_jRbjT5_S1E_jjP12ihipStream_tbEUljE_ZNSN_ISO_Lb1ESQ_SR_ST_SU_SY_EESZ_S10_S11_S12_S16_S17_S18_S1B_S1C_jS1D_jS1E_S1E_jjS1G_bEUljE0_EEESZ_S10_S11_S18_S1C_S1E_T6_T7_T9_mT8_S1G_bDpT10_ENKUlT_T0_E_clISt17integral_constantIbLb0EES1U_EEDaS1P_S1Q_EUlS1P_E_NS1_11comp_targetILNS1_3genE4ELNS1_11target_archE910ELNS1_3gpuE8ELNS1_3repE0EEENS1_30default_config_static_selectorELNS0_4arch9wavefront6targetE0EEEvS12_
; %bb.0:
	.section	.rodata,"a",@progbits
	.p2align	6, 0x0
	.amdhsa_kernel _ZN7rocprim17ROCPRIM_400000_NS6detail17trampoline_kernelINS0_13select_configILj256ELj13ELNS0_17block_load_methodE3ELS4_3ELS4_3ELNS0_20block_scan_algorithmE0ELj4294967295EEENS1_25partition_config_selectorILNS1_17partition_subalgoE4EjNS0_10empty_typeEbEEZZNS1_14partition_implILS8_4ELb0ES6_15HIP_vector_typeIjLj2EENS0_17counting_iteratorIjlEEPS9_SG_NS0_5tupleIJPjSI_NS0_16reverse_iteratorISI_EEEEENSH_IJSG_SG_SG_EEES9_SI_JZNS1_25segmented_radix_sort_implINS0_14default_configELb1EPKfPfPKlPlN2at6native12_GLOBAL__N_18offset_tEEE10hipError_tPvRmT1_PNSt15iterator_traitsIS12_E10value_typeET2_T3_PNS13_IS18_E10value_typeET4_jRbjT5_S1E_jjP12ihipStream_tbEUljE_ZNSN_ISO_Lb1ESQ_SR_ST_SU_SY_EESZ_S10_S11_S12_S16_S17_S18_S1B_S1C_jS1D_jS1E_S1E_jjS1G_bEUljE0_EEESZ_S10_S11_S18_S1C_S1E_T6_T7_T9_mT8_S1G_bDpT10_ENKUlT_T0_E_clISt17integral_constantIbLb0EES1U_EEDaS1P_S1Q_EUlS1P_E_NS1_11comp_targetILNS1_3genE4ELNS1_11target_archE910ELNS1_3gpuE8ELNS1_3repE0EEENS1_30default_config_static_selectorELNS0_4arch9wavefront6targetE0EEEvS12_
		.amdhsa_group_segment_fixed_size 0
		.amdhsa_private_segment_fixed_size 0
		.amdhsa_kernarg_size 176
		.amdhsa_user_sgpr_count 6
		.amdhsa_user_sgpr_private_segment_buffer 1
		.amdhsa_user_sgpr_dispatch_ptr 0
		.amdhsa_user_sgpr_queue_ptr 0
		.amdhsa_user_sgpr_kernarg_segment_ptr 1
		.amdhsa_user_sgpr_dispatch_id 0
		.amdhsa_user_sgpr_flat_scratch_init 0
		.amdhsa_user_sgpr_private_segment_size 0
		.amdhsa_wavefront_size32 1
		.amdhsa_uses_dynamic_stack 0
		.amdhsa_system_sgpr_private_segment_wavefront_offset 0
		.amdhsa_system_sgpr_workgroup_id_x 1
		.amdhsa_system_sgpr_workgroup_id_y 0
		.amdhsa_system_sgpr_workgroup_id_z 0
		.amdhsa_system_sgpr_workgroup_info 0
		.amdhsa_system_vgpr_workitem_id 0
		.amdhsa_next_free_vgpr 1
		.amdhsa_next_free_sgpr 1
		.amdhsa_reserve_vcc 0
		.amdhsa_reserve_flat_scratch 0
		.amdhsa_float_round_mode_32 0
		.amdhsa_float_round_mode_16_64 0
		.amdhsa_float_denorm_mode_32 3
		.amdhsa_float_denorm_mode_16_64 3
		.amdhsa_dx10_clamp 1
		.amdhsa_ieee_mode 1
		.amdhsa_fp16_overflow 0
		.amdhsa_workgroup_processor_mode 1
		.amdhsa_memory_ordered 1
		.amdhsa_forward_progress 1
		.amdhsa_shared_vgpr_count 0
		.amdhsa_exception_fp_ieee_invalid_op 0
		.amdhsa_exception_fp_denorm_src 0
		.amdhsa_exception_fp_ieee_div_zero 0
		.amdhsa_exception_fp_ieee_overflow 0
		.amdhsa_exception_fp_ieee_underflow 0
		.amdhsa_exception_fp_ieee_inexact 0
		.amdhsa_exception_int_div_zero 0
	.end_amdhsa_kernel
	.section	.text._ZN7rocprim17ROCPRIM_400000_NS6detail17trampoline_kernelINS0_13select_configILj256ELj13ELNS0_17block_load_methodE3ELS4_3ELS4_3ELNS0_20block_scan_algorithmE0ELj4294967295EEENS1_25partition_config_selectorILNS1_17partition_subalgoE4EjNS0_10empty_typeEbEEZZNS1_14partition_implILS8_4ELb0ES6_15HIP_vector_typeIjLj2EENS0_17counting_iteratorIjlEEPS9_SG_NS0_5tupleIJPjSI_NS0_16reverse_iteratorISI_EEEEENSH_IJSG_SG_SG_EEES9_SI_JZNS1_25segmented_radix_sort_implINS0_14default_configELb1EPKfPfPKlPlN2at6native12_GLOBAL__N_18offset_tEEE10hipError_tPvRmT1_PNSt15iterator_traitsIS12_E10value_typeET2_T3_PNS13_IS18_E10value_typeET4_jRbjT5_S1E_jjP12ihipStream_tbEUljE_ZNSN_ISO_Lb1ESQ_SR_ST_SU_SY_EESZ_S10_S11_S12_S16_S17_S18_S1B_S1C_jS1D_jS1E_S1E_jjS1G_bEUljE0_EEESZ_S10_S11_S18_S1C_S1E_T6_T7_T9_mT8_S1G_bDpT10_ENKUlT_T0_E_clISt17integral_constantIbLb0EES1U_EEDaS1P_S1Q_EUlS1P_E_NS1_11comp_targetILNS1_3genE4ELNS1_11target_archE910ELNS1_3gpuE8ELNS1_3repE0EEENS1_30default_config_static_selectorELNS0_4arch9wavefront6targetE0EEEvS12_,"axG",@progbits,_ZN7rocprim17ROCPRIM_400000_NS6detail17trampoline_kernelINS0_13select_configILj256ELj13ELNS0_17block_load_methodE3ELS4_3ELS4_3ELNS0_20block_scan_algorithmE0ELj4294967295EEENS1_25partition_config_selectorILNS1_17partition_subalgoE4EjNS0_10empty_typeEbEEZZNS1_14partition_implILS8_4ELb0ES6_15HIP_vector_typeIjLj2EENS0_17counting_iteratorIjlEEPS9_SG_NS0_5tupleIJPjSI_NS0_16reverse_iteratorISI_EEEEENSH_IJSG_SG_SG_EEES9_SI_JZNS1_25segmented_radix_sort_implINS0_14default_configELb1EPKfPfPKlPlN2at6native12_GLOBAL__N_18offset_tEEE10hipError_tPvRmT1_PNSt15iterator_traitsIS12_E10value_typeET2_T3_PNS13_IS18_E10value_typeET4_jRbjT5_S1E_jjP12ihipStream_tbEUljE_ZNSN_ISO_Lb1ESQ_SR_ST_SU_SY_EESZ_S10_S11_S12_S16_S17_S18_S1B_S1C_jS1D_jS1E_S1E_jjS1G_bEUljE0_EEESZ_S10_S11_S18_S1C_S1E_T6_T7_T9_mT8_S1G_bDpT10_ENKUlT_T0_E_clISt17integral_constantIbLb0EES1U_EEDaS1P_S1Q_EUlS1P_E_NS1_11comp_targetILNS1_3genE4ELNS1_11target_archE910ELNS1_3gpuE8ELNS1_3repE0EEENS1_30default_config_static_selectorELNS0_4arch9wavefront6targetE0EEEvS12_,comdat
.Lfunc_end1255:
	.size	_ZN7rocprim17ROCPRIM_400000_NS6detail17trampoline_kernelINS0_13select_configILj256ELj13ELNS0_17block_load_methodE3ELS4_3ELS4_3ELNS0_20block_scan_algorithmE0ELj4294967295EEENS1_25partition_config_selectorILNS1_17partition_subalgoE4EjNS0_10empty_typeEbEEZZNS1_14partition_implILS8_4ELb0ES6_15HIP_vector_typeIjLj2EENS0_17counting_iteratorIjlEEPS9_SG_NS0_5tupleIJPjSI_NS0_16reverse_iteratorISI_EEEEENSH_IJSG_SG_SG_EEES9_SI_JZNS1_25segmented_radix_sort_implINS0_14default_configELb1EPKfPfPKlPlN2at6native12_GLOBAL__N_18offset_tEEE10hipError_tPvRmT1_PNSt15iterator_traitsIS12_E10value_typeET2_T3_PNS13_IS18_E10value_typeET4_jRbjT5_S1E_jjP12ihipStream_tbEUljE_ZNSN_ISO_Lb1ESQ_SR_ST_SU_SY_EESZ_S10_S11_S12_S16_S17_S18_S1B_S1C_jS1D_jS1E_S1E_jjS1G_bEUljE0_EEESZ_S10_S11_S18_S1C_S1E_T6_T7_T9_mT8_S1G_bDpT10_ENKUlT_T0_E_clISt17integral_constantIbLb0EES1U_EEDaS1P_S1Q_EUlS1P_E_NS1_11comp_targetILNS1_3genE4ELNS1_11target_archE910ELNS1_3gpuE8ELNS1_3repE0EEENS1_30default_config_static_selectorELNS0_4arch9wavefront6targetE0EEEvS12_, .Lfunc_end1255-_ZN7rocprim17ROCPRIM_400000_NS6detail17trampoline_kernelINS0_13select_configILj256ELj13ELNS0_17block_load_methodE3ELS4_3ELS4_3ELNS0_20block_scan_algorithmE0ELj4294967295EEENS1_25partition_config_selectorILNS1_17partition_subalgoE4EjNS0_10empty_typeEbEEZZNS1_14partition_implILS8_4ELb0ES6_15HIP_vector_typeIjLj2EENS0_17counting_iteratorIjlEEPS9_SG_NS0_5tupleIJPjSI_NS0_16reverse_iteratorISI_EEEEENSH_IJSG_SG_SG_EEES9_SI_JZNS1_25segmented_radix_sort_implINS0_14default_configELb1EPKfPfPKlPlN2at6native12_GLOBAL__N_18offset_tEEE10hipError_tPvRmT1_PNSt15iterator_traitsIS12_E10value_typeET2_T3_PNS13_IS18_E10value_typeET4_jRbjT5_S1E_jjP12ihipStream_tbEUljE_ZNSN_ISO_Lb1ESQ_SR_ST_SU_SY_EESZ_S10_S11_S12_S16_S17_S18_S1B_S1C_jS1D_jS1E_S1E_jjS1G_bEUljE0_EEESZ_S10_S11_S18_S1C_S1E_T6_T7_T9_mT8_S1G_bDpT10_ENKUlT_T0_E_clISt17integral_constantIbLb0EES1U_EEDaS1P_S1Q_EUlS1P_E_NS1_11comp_targetILNS1_3genE4ELNS1_11target_archE910ELNS1_3gpuE8ELNS1_3repE0EEENS1_30default_config_static_selectorELNS0_4arch9wavefront6targetE0EEEvS12_
                                        ; -- End function
	.set _ZN7rocprim17ROCPRIM_400000_NS6detail17trampoline_kernelINS0_13select_configILj256ELj13ELNS0_17block_load_methodE3ELS4_3ELS4_3ELNS0_20block_scan_algorithmE0ELj4294967295EEENS1_25partition_config_selectorILNS1_17partition_subalgoE4EjNS0_10empty_typeEbEEZZNS1_14partition_implILS8_4ELb0ES6_15HIP_vector_typeIjLj2EENS0_17counting_iteratorIjlEEPS9_SG_NS0_5tupleIJPjSI_NS0_16reverse_iteratorISI_EEEEENSH_IJSG_SG_SG_EEES9_SI_JZNS1_25segmented_radix_sort_implINS0_14default_configELb1EPKfPfPKlPlN2at6native12_GLOBAL__N_18offset_tEEE10hipError_tPvRmT1_PNSt15iterator_traitsIS12_E10value_typeET2_T3_PNS13_IS18_E10value_typeET4_jRbjT5_S1E_jjP12ihipStream_tbEUljE_ZNSN_ISO_Lb1ESQ_SR_ST_SU_SY_EESZ_S10_S11_S12_S16_S17_S18_S1B_S1C_jS1D_jS1E_S1E_jjS1G_bEUljE0_EEESZ_S10_S11_S18_S1C_S1E_T6_T7_T9_mT8_S1G_bDpT10_ENKUlT_T0_E_clISt17integral_constantIbLb0EES1U_EEDaS1P_S1Q_EUlS1P_E_NS1_11comp_targetILNS1_3genE4ELNS1_11target_archE910ELNS1_3gpuE8ELNS1_3repE0EEENS1_30default_config_static_selectorELNS0_4arch9wavefront6targetE0EEEvS12_.num_vgpr, 0
	.set _ZN7rocprim17ROCPRIM_400000_NS6detail17trampoline_kernelINS0_13select_configILj256ELj13ELNS0_17block_load_methodE3ELS4_3ELS4_3ELNS0_20block_scan_algorithmE0ELj4294967295EEENS1_25partition_config_selectorILNS1_17partition_subalgoE4EjNS0_10empty_typeEbEEZZNS1_14partition_implILS8_4ELb0ES6_15HIP_vector_typeIjLj2EENS0_17counting_iteratorIjlEEPS9_SG_NS0_5tupleIJPjSI_NS0_16reverse_iteratorISI_EEEEENSH_IJSG_SG_SG_EEES9_SI_JZNS1_25segmented_radix_sort_implINS0_14default_configELb1EPKfPfPKlPlN2at6native12_GLOBAL__N_18offset_tEEE10hipError_tPvRmT1_PNSt15iterator_traitsIS12_E10value_typeET2_T3_PNS13_IS18_E10value_typeET4_jRbjT5_S1E_jjP12ihipStream_tbEUljE_ZNSN_ISO_Lb1ESQ_SR_ST_SU_SY_EESZ_S10_S11_S12_S16_S17_S18_S1B_S1C_jS1D_jS1E_S1E_jjS1G_bEUljE0_EEESZ_S10_S11_S18_S1C_S1E_T6_T7_T9_mT8_S1G_bDpT10_ENKUlT_T0_E_clISt17integral_constantIbLb0EES1U_EEDaS1P_S1Q_EUlS1P_E_NS1_11comp_targetILNS1_3genE4ELNS1_11target_archE910ELNS1_3gpuE8ELNS1_3repE0EEENS1_30default_config_static_selectorELNS0_4arch9wavefront6targetE0EEEvS12_.num_agpr, 0
	.set _ZN7rocprim17ROCPRIM_400000_NS6detail17trampoline_kernelINS0_13select_configILj256ELj13ELNS0_17block_load_methodE3ELS4_3ELS4_3ELNS0_20block_scan_algorithmE0ELj4294967295EEENS1_25partition_config_selectorILNS1_17partition_subalgoE4EjNS0_10empty_typeEbEEZZNS1_14partition_implILS8_4ELb0ES6_15HIP_vector_typeIjLj2EENS0_17counting_iteratorIjlEEPS9_SG_NS0_5tupleIJPjSI_NS0_16reverse_iteratorISI_EEEEENSH_IJSG_SG_SG_EEES9_SI_JZNS1_25segmented_radix_sort_implINS0_14default_configELb1EPKfPfPKlPlN2at6native12_GLOBAL__N_18offset_tEEE10hipError_tPvRmT1_PNSt15iterator_traitsIS12_E10value_typeET2_T3_PNS13_IS18_E10value_typeET4_jRbjT5_S1E_jjP12ihipStream_tbEUljE_ZNSN_ISO_Lb1ESQ_SR_ST_SU_SY_EESZ_S10_S11_S12_S16_S17_S18_S1B_S1C_jS1D_jS1E_S1E_jjS1G_bEUljE0_EEESZ_S10_S11_S18_S1C_S1E_T6_T7_T9_mT8_S1G_bDpT10_ENKUlT_T0_E_clISt17integral_constantIbLb0EES1U_EEDaS1P_S1Q_EUlS1P_E_NS1_11comp_targetILNS1_3genE4ELNS1_11target_archE910ELNS1_3gpuE8ELNS1_3repE0EEENS1_30default_config_static_selectorELNS0_4arch9wavefront6targetE0EEEvS12_.numbered_sgpr, 0
	.set _ZN7rocprim17ROCPRIM_400000_NS6detail17trampoline_kernelINS0_13select_configILj256ELj13ELNS0_17block_load_methodE3ELS4_3ELS4_3ELNS0_20block_scan_algorithmE0ELj4294967295EEENS1_25partition_config_selectorILNS1_17partition_subalgoE4EjNS0_10empty_typeEbEEZZNS1_14partition_implILS8_4ELb0ES6_15HIP_vector_typeIjLj2EENS0_17counting_iteratorIjlEEPS9_SG_NS0_5tupleIJPjSI_NS0_16reverse_iteratorISI_EEEEENSH_IJSG_SG_SG_EEES9_SI_JZNS1_25segmented_radix_sort_implINS0_14default_configELb1EPKfPfPKlPlN2at6native12_GLOBAL__N_18offset_tEEE10hipError_tPvRmT1_PNSt15iterator_traitsIS12_E10value_typeET2_T3_PNS13_IS18_E10value_typeET4_jRbjT5_S1E_jjP12ihipStream_tbEUljE_ZNSN_ISO_Lb1ESQ_SR_ST_SU_SY_EESZ_S10_S11_S12_S16_S17_S18_S1B_S1C_jS1D_jS1E_S1E_jjS1G_bEUljE0_EEESZ_S10_S11_S18_S1C_S1E_T6_T7_T9_mT8_S1G_bDpT10_ENKUlT_T0_E_clISt17integral_constantIbLb0EES1U_EEDaS1P_S1Q_EUlS1P_E_NS1_11comp_targetILNS1_3genE4ELNS1_11target_archE910ELNS1_3gpuE8ELNS1_3repE0EEENS1_30default_config_static_selectorELNS0_4arch9wavefront6targetE0EEEvS12_.num_named_barrier, 0
	.set _ZN7rocprim17ROCPRIM_400000_NS6detail17trampoline_kernelINS0_13select_configILj256ELj13ELNS0_17block_load_methodE3ELS4_3ELS4_3ELNS0_20block_scan_algorithmE0ELj4294967295EEENS1_25partition_config_selectorILNS1_17partition_subalgoE4EjNS0_10empty_typeEbEEZZNS1_14partition_implILS8_4ELb0ES6_15HIP_vector_typeIjLj2EENS0_17counting_iteratorIjlEEPS9_SG_NS0_5tupleIJPjSI_NS0_16reverse_iteratorISI_EEEEENSH_IJSG_SG_SG_EEES9_SI_JZNS1_25segmented_radix_sort_implINS0_14default_configELb1EPKfPfPKlPlN2at6native12_GLOBAL__N_18offset_tEEE10hipError_tPvRmT1_PNSt15iterator_traitsIS12_E10value_typeET2_T3_PNS13_IS18_E10value_typeET4_jRbjT5_S1E_jjP12ihipStream_tbEUljE_ZNSN_ISO_Lb1ESQ_SR_ST_SU_SY_EESZ_S10_S11_S12_S16_S17_S18_S1B_S1C_jS1D_jS1E_S1E_jjS1G_bEUljE0_EEESZ_S10_S11_S18_S1C_S1E_T6_T7_T9_mT8_S1G_bDpT10_ENKUlT_T0_E_clISt17integral_constantIbLb0EES1U_EEDaS1P_S1Q_EUlS1P_E_NS1_11comp_targetILNS1_3genE4ELNS1_11target_archE910ELNS1_3gpuE8ELNS1_3repE0EEENS1_30default_config_static_selectorELNS0_4arch9wavefront6targetE0EEEvS12_.private_seg_size, 0
	.set _ZN7rocprim17ROCPRIM_400000_NS6detail17trampoline_kernelINS0_13select_configILj256ELj13ELNS0_17block_load_methodE3ELS4_3ELS4_3ELNS0_20block_scan_algorithmE0ELj4294967295EEENS1_25partition_config_selectorILNS1_17partition_subalgoE4EjNS0_10empty_typeEbEEZZNS1_14partition_implILS8_4ELb0ES6_15HIP_vector_typeIjLj2EENS0_17counting_iteratorIjlEEPS9_SG_NS0_5tupleIJPjSI_NS0_16reverse_iteratorISI_EEEEENSH_IJSG_SG_SG_EEES9_SI_JZNS1_25segmented_radix_sort_implINS0_14default_configELb1EPKfPfPKlPlN2at6native12_GLOBAL__N_18offset_tEEE10hipError_tPvRmT1_PNSt15iterator_traitsIS12_E10value_typeET2_T3_PNS13_IS18_E10value_typeET4_jRbjT5_S1E_jjP12ihipStream_tbEUljE_ZNSN_ISO_Lb1ESQ_SR_ST_SU_SY_EESZ_S10_S11_S12_S16_S17_S18_S1B_S1C_jS1D_jS1E_S1E_jjS1G_bEUljE0_EEESZ_S10_S11_S18_S1C_S1E_T6_T7_T9_mT8_S1G_bDpT10_ENKUlT_T0_E_clISt17integral_constantIbLb0EES1U_EEDaS1P_S1Q_EUlS1P_E_NS1_11comp_targetILNS1_3genE4ELNS1_11target_archE910ELNS1_3gpuE8ELNS1_3repE0EEENS1_30default_config_static_selectorELNS0_4arch9wavefront6targetE0EEEvS12_.uses_vcc, 0
	.set _ZN7rocprim17ROCPRIM_400000_NS6detail17trampoline_kernelINS0_13select_configILj256ELj13ELNS0_17block_load_methodE3ELS4_3ELS4_3ELNS0_20block_scan_algorithmE0ELj4294967295EEENS1_25partition_config_selectorILNS1_17partition_subalgoE4EjNS0_10empty_typeEbEEZZNS1_14partition_implILS8_4ELb0ES6_15HIP_vector_typeIjLj2EENS0_17counting_iteratorIjlEEPS9_SG_NS0_5tupleIJPjSI_NS0_16reverse_iteratorISI_EEEEENSH_IJSG_SG_SG_EEES9_SI_JZNS1_25segmented_radix_sort_implINS0_14default_configELb1EPKfPfPKlPlN2at6native12_GLOBAL__N_18offset_tEEE10hipError_tPvRmT1_PNSt15iterator_traitsIS12_E10value_typeET2_T3_PNS13_IS18_E10value_typeET4_jRbjT5_S1E_jjP12ihipStream_tbEUljE_ZNSN_ISO_Lb1ESQ_SR_ST_SU_SY_EESZ_S10_S11_S12_S16_S17_S18_S1B_S1C_jS1D_jS1E_S1E_jjS1G_bEUljE0_EEESZ_S10_S11_S18_S1C_S1E_T6_T7_T9_mT8_S1G_bDpT10_ENKUlT_T0_E_clISt17integral_constantIbLb0EES1U_EEDaS1P_S1Q_EUlS1P_E_NS1_11comp_targetILNS1_3genE4ELNS1_11target_archE910ELNS1_3gpuE8ELNS1_3repE0EEENS1_30default_config_static_selectorELNS0_4arch9wavefront6targetE0EEEvS12_.uses_flat_scratch, 0
	.set _ZN7rocprim17ROCPRIM_400000_NS6detail17trampoline_kernelINS0_13select_configILj256ELj13ELNS0_17block_load_methodE3ELS4_3ELS4_3ELNS0_20block_scan_algorithmE0ELj4294967295EEENS1_25partition_config_selectorILNS1_17partition_subalgoE4EjNS0_10empty_typeEbEEZZNS1_14partition_implILS8_4ELb0ES6_15HIP_vector_typeIjLj2EENS0_17counting_iteratorIjlEEPS9_SG_NS0_5tupleIJPjSI_NS0_16reverse_iteratorISI_EEEEENSH_IJSG_SG_SG_EEES9_SI_JZNS1_25segmented_radix_sort_implINS0_14default_configELb1EPKfPfPKlPlN2at6native12_GLOBAL__N_18offset_tEEE10hipError_tPvRmT1_PNSt15iterator_traitsIS12_E10value_typeET2_T3_PNS13_IS18_E10value_typeET4_jRbjT5_S1E_jjP12ihipStream_tbEUljE_ZNSN_ISO_Lb1ESQ_SR_ST_SU_SY_EESZ_S10_S11_S12_S16_S17_S18_S1B_S1C_jS1D_jS1E_S1E_jjS1G_bEUljE0_EEESZ_S10_S11_S18_S1C_S1E_T6_T7_T9_mT8_S1G_bDpT10_ENKUlT_T0_E_clISt17integral_constantIbLb0EES1U_EEDaS1P_S1Q_EUlS1P_E_NS1_11comp_targetILNS1_3genE4ELNS1_11target_archE910ELNS1_3gpuE8ELNS1_3repE0EEENS1_30default_config_static_selectorELNS0_4arch9wavefront6targetE0EEEvS12_.has_dyn_sized_stack, 0
	.set _ZN7rocprim17ROCPRIM_400000_NS6detail17trampoline_kernelINS0_13select_configILj256ELj13ELNS0_17block_load_methodE3ELS4_3ELS4_3ELNS0_20block_scan_algorithmE0ELj4294967295EEENS1_25partition_config_selectorILNS1_17partition_subalgoE4EjNS0_10empty_typeEbEEZZNS1_14partition_implILS8_4ELb0ES6_15HIP_vector_typeIjLj2EENS0_17counting_iteratorIjlEEPS9_SG_NS0_5tupleIJPjSI_NS0_16reverse_iteratorISI_EEEEENSH_IJSG_SG_SG_EEES9_SI_JZNS1_25segmented_radix_sort_implINS0_14default_configELb1EPKfPfPKlPlN2at6native12_GLOBAL__N_18offset_tEEE10hipError_tPvRmT1_PNSt15iterator_traitsIS12_E10value_typeET2_T3_PNS13_IS18_E10value_typeET4_jRbjT5_S1E_jjP12ihipStream_tbEUljE_ZNSN_ISO_Lb1ESQ_SR_ST_SU_SY_EESZ_S10_S11_S12_S16_S17_S18_S1B_S1C_jS1D_jS1E_S1E_jjS1G_bEUljE0_EEESZ_S10_S11_S18_S1C_S1E_T6_T7_T9_mT8_S1G_bDpT10_ENKUlT_T0_E_clISt17integral_constantIbLb0EES1U_EEDaS1P_S1Q_EUlS1P_E_NS1_11comp_targetILNS1_3genE4ELNS1_11target_archE910ELNS1_3gpuE8ELNS1_3repE0EEENS1_30default_config_static_selectorELNS0_4arch9wavefront6targetE0EEEvS12_.has_recursion, 0
	.set _ZN7rocprim17ROCPRIM_400000_NS6detail17trampoline_kernelINS0_13select_configILj256ELj13ELNS0_17block_load_methodE3ELS4_3ELS4_3ELNS0_20block_scan_algorithmE0ELj4294967295EEENS1_25partition_config_selectorILNS1_17partition_subalgoE4EjNS0_10empty_typeEbEEZZNS1_14partition_implILS8_4ELb0ES6_15HIP_vector_typeIjLj2EENS0_17counting_iteratorIjlEEPS9_SG_NS0_5tupleIJPjSI_NS0_16reverse_iteratorISI_EEEEENSH_IJSG_SG_SG_EEES9_SI_JZNS1_25segmented_radix_sort_implINS0_14default_configELb1EPKfPfPKlPlN2at6native12_GLOBAL__N_18offset_tEEE10hipError_tPvRmT1_PNSt15iterator_traitsIS12_E10value_typeET2_T3_PNS13_IS18_E10value_typeET4_jRbjT5_S1E_jjP12ihipStream_tbEUljE_ZNSN_ISO_Lb1ESQ_SR_ST_SU_SY_EESZ_S10_S11_S12_S16_S17_S18_S1B_S1C_jS1D_jS1E_S1E_jjS1G_bEUljE0_EEESZ_S10_S11_S18_S1C_S1E_T6_T7_T9_mT8_S1G_bDpT10_ENKUlT_T0_E_clISt17integral_constantIbLb0EES1U_EEDaS1P_S1Q_EUlS1P_E_NS1_11comp_targetILNS1_3genE4ELNS1_11target_archE910ELNS1_3gpuE8ELNS1_3repE0EEENS1_30default_config_static_selectorELNS0_4arch9wavefront6targetE0EEEvS12_.has_indirect_call, 0
	.section	.AMDGPU.csdata,"",@progbits
; Kernel info:
; codeLenInByte = 0
; TotalNumSgprs: 0
; NumVgprs: 0
; ScratchSize: 0
; MemoryBound: 0
; FloatMode: 240
; IeeeMode: 1
; LDSByteSize: 0 bytes/workgroup (compile time only)
; SGPRBlocks: 0
; VGPRBlocks: 0
; NumSGPRsForWavesPerEU: 1
; NumVGPRsForWavesPerEU: 1
; Occupancy: 16
; WaveLimiterHint : 0
; COMPUTE_PGM_RSRC2:SCRATCH_EN: 0
; COMPUTE_PGM_RSRC2:USER_SGPR: 6
; COMPUTE_PGM_RSRC2:TRAP_HANDLER: 0
; COMPUTE_PGM_RSRC2:TGID_X_EN: 1
; COMPUTE_PGM_RSRC2:TGID_Y_EN: 0
; COMPUTE_PGM_RSRC2:TGID_Z_EN: 0
; COMPUTE_PGM_RSRC2:TIDIG_COMP_CNT: 0
	.section	.text._ZN7rocprim17ROCPRIM_400000_NS6detail17trampoline_kernelINS0_13select_configILj256ELj13ELNS0_17block_load_methodE3ELS4_3ELS4_3ELNS0_20block_scan_algorithmE0ELj4294967295EEENS1_25partition_config_selectorILNS1_17partition_subalgoE4EjNS0_10empty_typeEbEEZZNS1_14partition_implILS8_4ELb0ES6_15HIP_vector_typeIjLj2EENS0_17counting_iteratorIjlEEPS9_SG_NS0_5tupleIJPjSI_NS0_16reverse_iteratorISI_EEEEENSH_IJSG_SG_SG_EEES9_SI_JZNS1_25segmented_radix_sort_implINS0_14default_configELb1EPKfPfPKlPlN2at6native12_GLOBAL__N_18offset_tEEE10hipError_tPvRmT1_PNSt15iterator_traitsIS12_E10value_typeET2_T3_PNS13_IS18_E10value_typeET4_jRbjT5_S1E_jjP12ihipStream_tbEUljE_ZNSN_ISO_Lb1ESQ_SR_ST_SU_SY_EESZ_S10_S11_S12_S16_S17_S18_S1B_S1C_jS1D_jS1E_S1E_jjS1G_bEUljE0_EEESZ_S10_S11_S18_S1C_S1E_T6_T7_T9_mT8_S1G_bDpT10_ENKUlT_T0_E_clISt17integral_constantIbLb0EES1U_EEDaS1P_S1Q_EUlS1P_E_NS1_11comp_targetILNS1_3genE3ELNS1_11target_archE908ELNS1_3gpuE7ELNS1_3repE0EEENS1_30default_config_static_selectorELNS0_4arch9wavefront6targetE0EEEvS12_,"axG",@progbits,_ZN7rocprim17ROCPRIM_400000_NS6detail17trampoline_kernelINS0_13select_configILj256ELj13ELNS0_17block_load_methodE3ELS4_3ELS4_3ELNS0_20block_scan_algorithmE0ELj4294967295EEENS1_25partition_config_selectorILNS1_17partition_subalgoE4EjNS0_10empty_typeEbEEZZNS1_14partition_implILS8_4ELb0ES6_15HIP_vector_typeIjLj2EENS0_17counting_iteratorIjlEEPS9_SG_NS0_5tupleIJPjSI_NS0_16reverse_iteratorISI_EEEEENSH_IJSG_SG_SG_EEES9_SI_JZNS1_25segmented_radix_sort_implINS0_14default_configELb1EPKfPfPKlPlN2at6native12_GLOBAL__N_18offset_tEEE10hipError_tPvRmT1_PNSt15iterator_traitsIS12_E10value_typeET2_T3_PNS13_IS18_E10value_typeET4_jRbjT5_S1E_jjP12ihipStream_tbEUljE_ZNSN_ISO_Lb1ESQ_SR_ST_SU_SY_EESZ_S10_S11_S12_S16_S17_S18_S1B_S1C_jS1D_jS1E_S1E_jjS1G_bEUljE0_EEESZ_S10_S11_S18_S1C_S1E_T6_T7_T9_mT8_S1G_bDpT10_ENKUlT_T0_E_clISt17integral_constantIbLb0EES1U_EEDaS1P_S1Q_EUlS1P_E_NS1_11comp_targetILNS1_3genE3ELNS1_11target_archE908ELNS1_3gpuE7ELNS1_3repE0EEENS1_30default_config_static_selectorELNS0_4arch9wavefront6targetE0EEEvS12_,comdat
	.globl	_ZN7rocprim17ROCPRIM_400000_NS6detail17trampoline_kernelINS0_13select_configILj256ELj13ELNS0_17block_load_methodE3ELS4_3ELS4_3ELNS0_20block_scan_algorithmE0ELj4294967295EEENS1_25partition_config_selectorILNS1_17partition_subalgoE4EjNS0_10empty_typeEbEEZZNS1_14partition_implILS8_4ELb0ES6_15HIP_vector_typeIjLj2EENS0_17counting_iteratorIjlEEPS9_SG_NS0_5tupleIJPjSI_NS0_16reverse_iteratorISI_EEEEENSH_IJSG_SG_SG_EEES9_SI_JZNS1_25segmented_radix_sort_implINS0_14default_configELb1EPKfPfPKlPlN2at6native12_GLOBAL__N_18offset_tEEE10hipError_tPvRmT1_PNSt15iterator_traitsIS12_E10value_typeET2_T3_PNS13_IS18_E10value_typeET4_jRbjT5_S1E_jjP12ihipStream_tbEUljE_ZNSN_ISO_Lb1ESQ_SR_ST_SU_SY_EESZ_S10_S11_S12_S16_S17_S18_S1B_S1C_jS1D_jS1E_S1E_jjS1G_bEUljE0_EEESZ_S10_S11_S18_S1C_S1E_T6_T7_T9_mT8_S1G_bDpT10_ENKUlT_T0_E_clISt17integral_constantIbLb0EES1U_EEDaS1P_S1Q_EUlS1P_E_NS1_11comp_targetILNS1_3genE3ELNS1_11target_archE908ELNS1_3gpuE7ELNS1_3repE0EEENS1_30default_config_static_selectorELNS0_4arch9wavefront6targetE0EEEvS12_ ; -- Begin function _ZN7rocprim17ROCPRIM_400000_NS6detail17trampoline_kernelINS0_13select_configILj256ELj13ELNS0_17block_load_methodE3ELS4_3ELS4_3ELNS0_20block_scan_algorithmE0ELj4294967295EEENS1_25partition_config_selectorILNS1_17partition_subalgoE4EjNS0_10empty_typeEbEEZZNS1_14partition_implILS8_4ELb0ES6_15HIP_vector_typeIjLj2EENS0_17counting_iteratorIjlEEPS9_SG_NS0_5tupleIJPjSI_NS0_16reverse_iteratorISI_EEEEENSH_IJSG_SG_SG_EEES9_SI_JZNS1_25segmented_radix_sort_implINS0_14default_configELb1EPKfPfPKlPlN2at6native12_GLOBAL__N_18offset_tEEE10hipError_tPvRmT1_PNSt15iterator_traitsIS12_E10value_typeET2_T3_PNS13_IS18_E10value_typeET4_jRbjT5_S1E_jjP12ihipStream_tbEUljE_ZNSN_ISO_Lb1ESQ_SR_ST_SU_SY_EESZ_S10_S11_S12_S16_S17_S18_S1B_S1C_jS1D_jS1E_S1E_jjS1G_bEUljE0_EEESZ_S10_S11_S18_S1C_S1E_T6_T7_T9_mT8_S1G_bDpT10_ENKUlT_T0_E_clISt17integral_constantIbLb0EES1U_EEDaS1P_S1Q_EUlS1P_E_NS1_11comp_targetILNS1_3genE3ELNS1_11target_archE908ELNS1_3gpuE7ELNS1_3repE0EEENS1_30default_config_static_selectorELNS0_4arch9wavefront6targetE0EEEvS12_
	.p2align	8
	.type	_ZN7rocprim17ROCPRIM_400000_NS6detail17trampoline_kernelINS0_13select_configILj256ELj13ELNS0_17block_load_methodE3ELS4_3ELS4_3ELNS0_20block_scan_algorithmE0ELj4294967295EEENS1_25partition_config_selectorILNS1_17partition_subalgoE4EjNS0_10empty_typeEbEEZZNS1_14partition_implILS8_4ELb0ES6_15HIP_vector_typeIjLj2EENS0_17counting_iteratorIjlEEPS9_SG_NS0_5tupleIJPjSI_NS0_16reverse_iteratorISI_EEEEENSH_IJSG_SG_SG_EEES9_SI_JZNS1_25segmented_radix_sort_implINS0_14default_configELb1EPKfPfPKlPlN2at6native12_GLOBAL__N_18offset_tEEE10hipError_tPvRmT1_PNSt15iterator_traitsIS12_E10value_typeET2_T3_PNS13_IS18_E10value_typeET4_jRbjT5_S1E_jjP12ihipStream_tbEUljE_ZNSN_ISO_Lb1ESQ_SR_ST_SU_SY_EESZ_S10_S11_S12_S16_S17_S18_S1B_S1C_jS1D_jS1E_S1E_jjS1G_bEUljE0_EEESZ_S10_S11_S18_S1C_S1E_T6_T7_T9_mT8_S1G_bDpT10_ENKUlT_T0_E_clISt17integral_constantIbLb0EES1U_EEDaS1P_S1Q_EUlS1P_E_NS1_11comp_targetILNS1_3genE3ELNS1_11target_archE908ELNS1_3gpuE7ELNS1_3repE0EEENS1_30default_config_static_selectorELNS0_4arch9wavefront6targetE0EEEvS12_,@function
_ZN7rocprim17ROCPRIM_400000_NS6detail17trampoline_kernelINS0_13select_configILj256ELj13ELNS0_17block_load_methodE3ELS4_3ELS4_3ELNS0_20block_scan_algorithmE0ELj4294967295EEENS1_25partition_config_selectorILNS1_17partition_subalgoE4EjNS0_10empty_typeEbEEZZNS1_14partition_implILS8_4ELb0ES6_15HIP_vector_typeIjLj2EENS0_17counting_iteratorIjlEEPS9_SG_NS0_5tupleIJPjSI_NS0_16reverse_iteratorISI_EEEEENSH_IJSG_SG_SG_EEES9_SI_JZNS1_25segmented_radix_sort_implINS0_14default_configELb1EPKfPfPKlPlN2at6native12_GLOBAL__N_18offset_tEEE10hipError_tPvRmT1_PNSt15iterator_traitsIS12_E10value_typeET2_T3_PNS13_IS18_E10value_typeET4_jRbjT5_S1E_jjP12ihipStream_tbEUljE_ZNSN_ISO_Lb1ESQ_SR_ST_SU_SY_EESZ_S10_S11_S12_S16_S17_S18_S1B_S1C_jS1D_jS1E_S1E_jjS1G_bEUljE0_EEESZ_S10_S11_S18_S1C_S1E_T6_T7_T9_mT8_S1G_bDpT10_ENKUlT_T0_E_clISt17integral_constantIbLb0EES1U_EEDaS1P_S1Q_EUlS1P_E_NS1_11comp_targetILNS1_3genE3ELNS1_11target_archE908ELNS1_3gpuE7ELNS1_3repE0EEENS1_30default_config_static_selectorELNS0_4arch9wavefront6targetE0EEEvS12_: ; @_ZN7rocprim17ROCPRIM_400000_NS6detail17trampoline_kernelINS0_13select_configILj256ELj13ELNS0_17block_load_methodE3ELS4_3ELS4_3ELNS0_20block_scan_algorithmE0ELj4294967295EEENS1_25partition_config_selectorILNS1_17partition_subalgoE4EjNS0_10empty_typeEbEEZZNS1_14partition_implILS8_4ELb0ES6_15HIP_vector_typeIjLj2EENS0_17counting_iteratorIjlEEPS9_SG_NS0_5tupleIJPjSI_NS0_16reverse_iteratorISI_EEEEENSH_IJSG_SG_SG_EEES9_SI_JZNS1_25segmented_radix_sort_implINS0_14default_configELb1EPKfPfPKlPlN2at6native12_GLOBAL__N_18offset_tEEE10hipError_tPvRmT1_PNSt15iterator_traitsIS12_E10value_typeET2_T3_PNS13_IS18_E10value_typeET4_jRbjT5_S1E_jjP12ihipStream_tbEUljE_ZNSN_ISO_Lb1ESQ_SR_ST_SU_SY_EESZ_S10_S11_S12_S16_S17_S18_S1B_S1C_jS1D_jS1E_S1E_jjS1G_bEUljE0_EEESZ_S10_S11_S18_S1C_S1E_T6_T7_T9_mT8_S1G_bDpT10_ENKUlT_T0_E_clISt17integral_constantIbLb0EES1U_EEDaS1P_S1Q_EUlS1P_E_NS1_11comp_targetILNS1_3genE3ELNS1_11target_archE908ELNS1_3gpuE7ELNS1_3repE0EEENS1_30default_config_static_selectorELNS0_4arch9wavefront6targetE0EEEvS12_
; %bb.0:
	.section	.rodata,"a",@progbits
	.p2align	6, 0x0
	.amdhsa_kernel _ZN7rocprim17ROCPRIM_400000_NS6detail17trampoline_kernelINS0_13select_configILj256ELj13ELNS0_17block_load_methodE3ELS4_3ELS4_3ELNS0_20block_scan_algorithmE0ELj4294967295EEENS1_25partition_config_selectorILNS1_17partition_subalgoE4EjNS0_10empty_typeEbEEZZNS1_14partition_implILS8_4ELb0ES6_15HIP_vector_typeIjLj2EENS0_17counting_iteratorIjlEEPS9_SG_NS0_5tupleIJPjSI_NS0_16reverse_iteratorISI_EEEEENSH_IJSG_SG_SG_EEES9_SI_JZNS1_25segmented_radix_sort_implINS0_14default_configELb1EPKfPfPKlPlN2at6native12_GLOBAL__N_18offset_tEEE10hipError_tPvRmT1_PNSt15iterator_traitsIS12_E10value_typeET2_T3_PNS13_IS18_E10value_typeET4_jRbjT5_S1E_jjP12ihipStream_tbEUljE_ZNSN_ISO_Lb1ESQ_SR_ST_SU_SY_EESZ_S10_S11_S12_S16_S17_S18_S1B_S1C_jS1D_jS1E_S1E_jjS1G_bEUljE0_EEESZ_S10_S11_S18_S1C_S1E_T6_T7_T9_mT8_S1G_bDpT10_ENKUlT_T0_E_clISt17integral_constantIbLb0EES1U_EEDaS1P_S1Q_EUlS1P_E_NS1_11comp_targetILNS1_3genE3ELNS1_11target_archE908ELNS1_3gpuE7ELNS1_3repE0EEENS1_30default_config_static_selectorELNS0_4arch9wavefront6targetE0EEEvS12_
		.amdhsa_group_segment_fixed_size 0
		.amdhsa_private_segment_fixed_size 0
		.amdhsa_kernarg_size 176
		.amdhsa_user_sgpr_count 6
		.amdhsa_user_sgpr_private_segment_buffer 1
		.amdhsa_user_sgpr_dispatch_ptr 0
		.amdhsa_user_sgpr_queue_ptr 0
		.amdhsa_user_sgpr_kernarg_segment_ptr 1
		.amdhsa_user_sgpr_dispatch_id 0
		.amdhsa_user_sgpr_flat_scratch_init 0
		.amdhsa_user_sgpr_private_segment_size 0
		.amdhsa_wavefront_size32 1
		.amdhsa_uses_dynamic_stack 0
		.amdhsa_system_sgpr_private_segment_wavefront_offset 0
		.amdhsa_system_sgpr_workgroup_id_x 1
		.amdhsa_system_sgpr_workgroup_id_y 0
		.amdhsa_system_sgpr_workgroup_id_z 0
		.amdhsa_system_sgpr_workgroup_info 0
		.amdhsa_system_vgpr_workitem_id 0
		.amdhsa_next_free_vgpr 1
		.amdhsa_next_free_sgpr 1
		.amdhsa_reserve_vcc 0
		.amdhsa_reserve_flat_scratch 0
		.amdhsa_float_round_mode_32 0
		.amdhsa_float_round_mode_16_64 0
		.amdhsa_float_denorm_mode_32 3
		.amdhsa_float_denorm_mode_16_64 3
		.amdhsa_dx10_clamp 1
		.amdhsa_ieee_mode 1
		.amdhsa_fp16_overflow 0
		.amdhsa_workgroup_processor_mode 1
		.amdhsa_memory_ordered 1
		.amdhsa_forward_progress 1
		.amdhsa_shared_vgpr_count 0
		.amdhsa_exception_fp_ieee_invalid_op 0
		.amdhsa_exception_fp_denorm_src 0
		.amdhsa_exception_fp_ieee_div_zero 0
		.amdhsa_exception_fp_ieee_overflow 0
		.amdhsa_exception_fp_ieee_underflow 0
		.amdhsa_exception_fp_ieee_inexact 0
		.amdhsa_exception_int_div_zero 0
	.end_amdhsa_kernel
	.section	.text._ZN7rocprim17ROCPRIM_400000_NS6detail17trampoline_kernelINS0_13select_configILj256ELj13ELNS0_17block_load_methodE3ELS4_3ELS4_3ELNS0_20block_scan_algorithmE0ELj4294967295EEENS1_25partition_config_selectorILNS1_17partition_subalgoE4EjNS0_10empty_typeEbEEZZNS1_14partition_implILS8_4ELb0ES6_15HIP_vector_typeIjLj2EENS0_17counting_iteratorIjlEEPS9_SG_NS0_5tupleIJPjSI_NS0_16reverse_iteratorISI_EEEEENSH_IJSG_SG_SG_EEES9_SI_JZNS1_25segmented_radix_sort_implINS0_14default_configELb1EPKfPfPKlPlN2at6native12_GLOBAL__N_18offset_tEEE10hipError_tPvRmT1_PNSt15iterator_traitsIS12_E10value_typeET2_T3_PNS13_IS18_E10value_typeET4_jRbjT5_S1E_jjP12ihipStream_tbEUljE_ZNSN_ISO_Lb1ESQ_SR_ST_SU_SY_EESZ_S10_S11_S12_S16_S17_S18_S1B_S1C_jS1D_jS1E_S1E_jjS1G_bEUljE0_EEESZ_S10_S11_S18_S1C_S1E_T6_T7_T9_mT8_S1G_bDpT10_ENKUlT_T0_E_clISt17integral_constantIbLb0EES1U_EEDaS1P_S1Q_EUlS1P_E_NS1_11comp_targetILNS1_3genE3ELNS1_11target_archE908ELNS1_3gpuE7ELNS1_3repE0EEENS1_30default_config_static_selectorELNS0_4arch9wavefront6targetE0EEEvS12_,"axG",@progbits,_ZN7rocprim17ROCPRIM_400000_NS6detail17trampoline_kernelINS0_13select_configILj256ELj13ELNS0_17block_load_methodE3ELS4_3ELS4_3ELNS0_20block_scan_algorithmE0ELj4294967295EEENS1_25partition_config_selectorILNS1_17partition_subalgoE4EjNS0_10empty_typeEbEEZZNS1_14partition_implILS8_4ELb0ES6_15HIP_vector_typeIjLj2EENS0_17counting_iteratorIjlEEPS9_SG_NS0_5tupleIJPjSI_NS0_16reverse_iteratorISI_EEEEENSH_IJSG_SG_SG_EEES9_SI_JZNS1_25segmented_radix_sort_implINS0_14default_configELb1EPKfPfPKlPlN2at6native12_GLOBAL__N_18offset_tEEE10hipError_tPvRmT1_PNSt15iterator_traitsIS12_E10value_typeET2_T3_PNS13_IS18_E10value_typeET4_jRbjT5_S1E_jjP12ihipStream_tbEUljE_ZNSN_ISO_Lb1ESQ_SR_ST_SU_SY_EESZ_S10_S11_S12_S16_S17_S18_S1B_S1C_jS1D_jS1E_S1E_jjS1G_bEUljE0_EEESZ_S10_S11_S18_S1C_S1E_T6_T7_T9_mT8_S1G_bDpT10_ENKUlT_T0_E_clISt17integral_constantIbLb0EES1U_EEDaS1P_S1Q_EUlS1P_E_NS1_11comp_targetILNS1_3genE3ELNS1_11target_archE908ELNS1_3gpuE7ELNS1_3repE0EEENS1_30default_config_static_selectorELNS0_4arch9wavefront6targetE0EEEvS12_,comdat
.Lfunc_end1256:
	.size	_ZN7rocprim17ROCPRIM_400000_NS6detail17trampoline_kernelINS0_13select_configILj256ELj13ELNS0_17block_load_methodE3ELS4_3ELS4_3ELNS0_20block_scan_algorithmE0ELj4294967295EEENS1_25partition_config_selectorILNS1_17partition_subalgoE4EjNS0_10empty_typeEbEEZZNS1_14partition_implILS8_4ELb0ES6_15HIP_vector_typeIjLj2EENS0_17counting_iteratorIjlEEPS9_SG_NS0_5tupleIJPjSI_NS0_16reverse_iteratorISI_EEEEENSH_IJSG_SG_SG_EEES9_SI_JZNS1_25segmented_radix_sort_implINS0_14default_configELb1EPKfPfPKlPlN2at6native12_GLOBAL__N_18offset_tEEE10hipError_tPvRmT1_PNSt15iterator_traitsIS12_E10value_typeET2_T3_PNS13_IS18_E10value_typeET4_jRbjT5_S1E_jjP12ihipStream_tbEUljE_ZNSN_ISO_Lb1ESQ_SR_ST_SU_SY_EESZ_S10_S11_S12_S16_S17_S18_S1B_S1C_jS1D_jS1E_S1E_jjS1G_bEUljE0_EEESZ_S10_S11_S18_S1C_S1E_T6_T7_T9_mT8_S1G_bDpT10_ENKUlT_T0_E_clISt17integral_constantIbLb0EES1U_EEDaS1P_S1Q_EUlS1P_E_NS1_11comp_targetILNS1_3genE3ELNS1_11target_archE908ELNS1_3gpuE7ELNS1_3repE0EEENS1_30default_config_static_selectorELNS0_4arch9wavefront6targetE0EEEvS12_, .Lfunc_end1256-_ZN7rocprim17ROCPRIM_400000_NS6detail17trampoline_kernelINS0_13select_configILj256ELj13ELNS0_17block_load_methodE3ELS4_3ELS4_3ELNS0_20block_scan_algorithmE0ELj4294967295EEENS1_25partition_config_selectorILNS1_17partition_subalgoE4EjNS0_10empty_typeEbEEZZNS1_14partition_implILS8_4ELb0ES6_15HIP_vector_typeIjLj2EENS0_17counting_iteratorIjlEEPS9_SG_NS0_5tupleIJPjSI_NS0_16reverse_iteratorISI_EEEEENSH_IJSG_SG_SG_EEES9_SI_JZNS1_25segmented_radix_sort_implINS0_14default_configELb1EPKfPfPKlPlN2at6native12_GLOBAL__N_18offset_tEEE10hipError_tPvRmT1_PNSt15iterator_traitsIS12_E10value_typeET2_T3_PNS13_IS18_E10value_typeET4_jRbjT5_S1E_jjP12ihipStream_tbEUljE_ZNSN_ISO_Lb1ESQ_SR_ST_SU_SY_EESZ_S10_S11_S12_S16_S17_S18_S1B_S1C_jS1D_jS1E_S1E_jjS1G_bEUljE0_EEESZ_S10_S11_S18_S1C_S1E_T6_T7_T9_mT8_S1G_bDpT10_ENKUlT_T0_E_clISt17integral_constantIbLb0EES1U_EEDaS1P_S1Q_EUlS1P_E_NS1_11comp_targetILNS1_3genE3ELNS1_11target_archE908ELNS1_3gpuE7ELNS1_3repE0EEENS1_30default_config_static_selectorELNS0_4arch9wavefront6targetE0EEEvS12_
                                        ; -- End function
	.set _ZN7rocprim17ROCPRIM_400000_NS6detail17trampoline_kernelINS0_13select_configILj256ELj13ELNS0_17block_load_methodE3ELS4_3ELS4_3ELNS0_20block_scan_algorithmE0ELj4294967295EEENS1_25partition_config_selectorILNS1_17partition_subalgoE4EjNS0_10empty_typeEbEEZZNS1_14partition_implILS8_4ELb0ES6_15HIP_vector_typeIjLj2EENS0_17counting_iteratorIjlEEPS9_SG_NS0_5tupleIJPjSI_NS0_16reverse_iteratorISI_EEEEENSH_IJSG_SG_SG_EEES9_SI_JZNS1_25segmented_radix_sort_implINS0_14default_configELb1EPKfPfPKlPlN2at6native12_GLOBAL__N_18offset_tEEE10hipError_tPvRmT1_PNSt15iterator_traitsIS12_E10value_typeET2_T3_PNS13_IS18_E10value_typeET4_jRbjT5_S1E_jjP12ihipStream_tbEUljE_ZNSN_ISO_Lb1ESQ_SR_ST_SU_SY_EESZ_S10_S11_S12_S16_S17_S18_S1B_S1C_jS1D_jS1E_S1E_jjS1G_bEUljE0_EEESZ_S10_S11_S18_S1C_S1E_T6_T7_T9_mT8_S1G_bDpT10_ENKUlT_T0_E_clISt17integral_constantIbLb0EES1U_EEDaS1P_S1Q_EUlS1P_E_NS1_11comp_targetILNS1_3genE3ELNS1_11target_archE908ELNS1_3gpuE7ELNS1_3repE0EEENS1_30default_config_static_selectorELNS0_4arch9wavefront6targetE0EEEvS12_.num_vgpr, 0
	.set _ZN7rocprim17ROCPRIM_400000_NS6detail17trampoline_kernelINS0_13select_configILj256ELj13ELNS0_17block_load_methodE3ELS4_3ELS4_3ELNS0_20block_scan_algorithmE0ELj4294967295EEENS1_25partition_config_selectorILNS1_17partition_subalgoE4EjNS0_10empty_typeEbEEZZNS1_14partition_implILS8_4ELb0ES6_15HIP_vector_typeIjLj2EENS0_17counting_iteratorIjlEEPS9_SG_NS0_5tupleIJPjSI_NS0_16reverse_iteratorISI_EEEEENSH_IJSG_SG_SG_EEES9_SI_JZNS1_25segmented_radix_sort_implINS0_14default_configELb1EPKfPfPKlPlN2at6native12_GLOBAL__N_18offset_tEEE10hipError_tPvRmT1_PNSt15iterator_traitsIS12_E10value_typeET2_T3_PNS13_IS18_E10value_typeET4_jRbjT5_S1E_jjP12ihipStream_tbEUljE_ZNSN_ISO_Lb1ESQ_SR_ST_SU_SY_EESZ_S10_S11_S12_S16_S17_S18_S1B_S1C_jS1D_jS1E_S1E_jjS1G_bEUljE0_EEESZ_S10_S11_S18_S1C_S1E_T6_T7_T9_mT8_S1G_bDpT10_ENKUlT_T0_E_clISt17integral_constantIbLb0EES1U_EEDaS1P_S1Q_EUlS1P_E_NS1_11comp_targetILNS1_3genE3ELNS1_11target_archE908ELNS1_3gpuE7ELNS1_3repE0EEENS1_30default_config_static_selectorELNS0_4arch9wavefront6targetE0EEEvS12_.num_agpr, 0
	.set _ZN7rocprim17ROCPRIM_400000_NS6detail17trampoline_kernelINS0_13select_configILj256ELj13ELNS0_17block_load_methodE3ELS4_3ELS4_3ELNS0_20block_scan_algorithmE0ELj4294967295EEENS1_25partition_config_selectorILNS1_17partition_subalgoE4EjNS0_10empty_typeEbEEZZNS1_14partition_implILS8_4ELb0ES6_15HIP_vector_typeIjLj2EENS0_17counting_iteratorIjlEEPS9_SG_NS0_5tupleIJPjSI_NS0_16reverse_iteratorISI_EEEEENSH_IJSG_SG_SG_EEES9_SI_JZNS1_25segmented_radix_sort_implINS0_14default_configELb1EPKfPfPKlPlN2at6native12_GLOBAL__N_18offset_tEEE10hipError_tPvRmT1_PNSt15iterator_traitsIS12_E10value_typeET2_T3_PNS13_IS18_E10value_typeET4_jRbjT5_S1E_jjP12ihipStream_tbEUljE_ZNSN_ISO_Lb1ESQ_SR_ST_SU_SY_EESZ_S10_S11_S12_S16_S17_S18_S1B_S1C_jS1D_jS1E_S1E_jjS1G_bEUljE0_EEESZ_S10_S11_S18_S1C_S1E_T6_T7_T9_mT8_S1G_bDpT10_ENKUlT_T0_E_clISt17integral_constantIbLb0EES1U_EEDaS1P_S1Q_EUlS1P_E_NS1_11comp_targetILNS1_3genE3ELNS1_11target_archE908ELNS1_3gpuE7ELNS1_3repE0EEENS1_30default_config_static_selectorELNS0_4arch9wavefront6targetE0EEEvS12_.numbered_sgpr, 0
	.set _ZN7rocprim17ROCPRIM_400000_NS6detail17trampoline_kernelINS0_13select_configILj256ELj13ELNS0_17block_load_methodE3ELS4_3ELS4_3ELNS0_20block_scan_algorithmE0ELj4294967295EEENS1_25partition_config_selectorILNS1_17partition_subalgoE4EjNS0_10empty_typeEbEEZZNS1_14partition_implILS8_4ELb0ES6_15HIP_vector_typeIjLj2EENS0_17counting_iteratorIjlEEPS9_SG_NS0_5tupleIJPjSI_NS0_16reverse_iteratorISI_EEEEENSH_IJSG_SG_SG_EEES9_SI_JZNS1_25segmented_radix_sort_implINS0_14default_configELb1EPKfPfPKlPlN2at6native12_GLOBAL__N_18offset_tEEE10hipError_tPvRmT1_PNSt15iterator_traitsIS12_E10value_typeET2_T3_PNS13_IS18_E10value_typeET4_jRbjT5_S1E_jjP12ihipStream_tbEUljE_ZNSN_ISO_Lb1ESQ_SR_ST_SU_SY_EESZ_S10_S11_S12_S16_S17_S18_S1B_S1C_jS1D_jS1E_S1E_jjS1G_bEUljE0_EEESZ_S10_S11_S18_S1C_S1E_T6_T7_T9_mT8_S1G_bDpT10_ENKUlT_T0_E_clISt17integral_constantIbLb0EES1U_EEDaS1P_S1Q_EUlS1P_E_NS1_11comp_targetILNS1_3genE3ELNS1_11target_archE908ELNS1_3gpuE7ELNS1_3repE0EEENS1_30default_config_static_selectorELNS0_4arch9wavefront6targetE0EEEvS12_.num_named_barrier, 0
	.set _ZN7rocprim17ROCPRIM_400000_NS6detail17trampoline_kernelINS0_13select_configILj256ELj13ELNS0_17block_load_methodE3ELS4_3ELS4_3ELNS0_20block_scan_algorithmE0ELj4294967295EEENS1_25partition_config_selectorILNS1_17partition_subalgoE4EjNS0_10empty_typeEbEEZZNS1_14partition_implILS8_4ELb0ES6_15HIP_vector_typeIjLj2EENS0_17counting_iteratorIjlEEPS9_SG_NS0_5tupleIJPjSI_NS0_16reverse_iteratorISI_EEEEENSH_IJSG_SG_SG_EEES9_SI_JZNS1_25segmented_radix_sort_implINS0_14default_configELb1EPKfPfPKlPlN2at6native12_GLOBAL__N_18offset_tEEE10hipError_tPvRmT1_PNSt15iterator_traitsIS12_E10value_typeET2_T3_PNS13_IS18_E10value_typeET4_jRbjT5_S1E_jjP12ihipStream_tbEUljE_ZNSN_ISO_Lb1ESQ_SR_ST_SU_SY_EESZ_S10_S11_S12_S16_S17_S18_S1B_S1C_jS1D_jS1E_S1E_jjS1G_bEUljE0_EEESZ_S10_S11_S18_S1C_S1E_T6_T7_T9_mT8_S1G_bDpT10_ENKUlT_T0_E_clISt17integral_constantIbLb0EES1U_EEDaS1P_S1Q_EUlS1P_E_NS1_11comp_targetILNS1_3genE3ELNS1_11target_archE908ELNS1_3gpuE7ELNS1_3repE0EEENS1_30default_config_static_selectorELNS0_4arch9wavefront6targetE0EEEvS12_.private_seg_size, 0
	.set _ZN7rocprim17ROCPRIM_400000_NS6detail17trampoline_kernelINS0_13select_configILj256ELj13ELNS0_17block_load_methodE3ELS4_3ELS4_3ELNS0_20block_scan_algorithmE0ELj4294967295EEENS1_25partition_config_selectorILNS1_17partition_subalgoE4EjNS0_10empty_typeEbEEZZNS1_14partition_implILS8_4ELb0ES6_15HIP_vector_typeIjLj2EENS0_17counting_iteratorIjlEEPS9_SG_NS0_5tupleIJPjSI_NS0_16reverse_iteratorISI_EEEEENSH_IJSG_SG_SG_EEES9_SI_JZNS1_25segmented_radix_sort_implINS0_14default_configELb1EPKfPfPKlPlN2at6native12_GLOBAL__N_18offset_tEEE10hipError_tPvRmT1_PNSt15iterator_traitsIS12_E10value_typeET2_T3_PNS13_IS18_E10value_typeET4_jRbjT5_S1E_jjP12ihipStream_tbEUljE_ZNSN_ISO_Lb1ESQ_SR_ST_SU_SY_EESZ_S10_S11_S12_S16_S17_S18_S1B_S1C_jS1D_jS1E_S1E_jjS1G_bEUljE0_EEESZ_S10_S11_S18_S1C_S1E_T6_T7_T9_mT8_S1G_bDpT10_ENKUlT_T0_E_clISt17integral_constantIbLb0EES1U_EEDaS1P_S1Q_EUlS1P_E_NS1_11comp_targetILNS1_3genE3ELNS1_11target_archE908ELNS1_3gpuE7ELNS1_3repE0EEENS1_30default_config_static_selectorELNS0_4arch9wavefront6targetE0EEEvS12_.uses_vcc, 0
	.set _ZN7rocprim17ROCPRIM_400000_NS6detail17trampoline_kernelINS0_13select_configILj256ELj13ELNS0_17block_load_methodE3ELS4_3ELS4_3ELNS0_20block_scan_algorithmE0ELj4294967295EEENS1_25partition_config_selectorILNS1_17partition_subalgoE4EjNS0_10empty_typeEbEEZZNS1_14partition_implILS8_4ELb0ES6_15HIP_vector_typeIjLj2EENS0_17counting_iteratorIjlEEPS9_SG_NS0_5tupleIJPjSI_NS0_16reverse_iteratorISI_EEEEENSH_IJSG_SG_SG_EEES9_SI_JZNS1_25segmented_radix_sort_implINS0_14default_configELb1EPKfPfPKlPlN2at6native12_GLOBAL__N_18offset_tEEE10hipError_tPvRmT1_PNSt15iterator_traitsIS12_E10value_typeET2_T3_PNS13_IS18_E10value_typeET4_jRbjT5_S1E_jjP12ihipStream_tbEUljE_ZNSN_ISO_Lb1ESQ_SR_ST_SU_SY_EESZ_S10_S11_S12_S16_S17_S18_S1B_S1C_jS1D_jS1E_S1E_jjS1G_bEUljE0_EEESZ_S10_S11_S18_S1C_S1E_T6_T7_T9_mT8_S1G_bDpT10_ENKUlT_T0_E_clISt17integral_constantIbLb0EES1U_EEDaS1P_S1Q_EUlS1P_E_NS1_11comp_targetILNS1_3genE3ELNS1_11target_archE908ELNS1_3gpuE7ELNS1_3repE0EEENS1_30default_config_static_selectorELNS0_4arch9wavefront6targetE0EEEvS12_.uses_flat_scratch, 0
	.set _ZN7rocprim17ROCPRIM_400000_NS6detail17trampoline_kernelINS0_13select_configILj256ELj13ELNS0_17block_load_methodE3ELS4_3ELS4_3ELNS0_20block_scan_algorithmE0ELj4294967295EEENS1_25partition_config_selectorILNS1_17partition_subalgoE4EjNS0_10empty_typeEbEEZZNS1_14partition_implILS8_4ELb0ES6_15HIP_vector_typeIjLj2EENS0_17counting_iteratorIjlEEPS9_SG_NS0_5tupleIJPjSI_NS0_16reverse_iteratorISI_EEEEENSH_IJSG_SG_SG_EEES9_SI_JZNS1_25segmented_radix_sort_implINS0_14default_configELb1EPKfPfPKlPlN2at6native12_GLOBAL__N_18offset_tEEE10hipError_tPvRmT1_PNSt15iterator_traitsIS12_E10value_typeET2_T3_PNS13_IS18_E10value_typeET4_jRbjT5_S1E_jjP12ihipStream_tbEUljE_ZNSN_ISO_Lb1ESQ_SR_ST_SU_SY_EESZ_S10_S11_S12_S16_S17_S18_S1B_S1C_jS1D_jS1E_S1E_jjS1G_bEUljE0_EEESZ_S10_S11_S18_S1C_S1E_T6_T7_T9_mT8_S1G_bDpT10_ENKUlT_T0_E_clISt17integral_constantIbLb0EES1U_EEDaS1P_S1Q_EUlS1P_E_NS1_11comp_targetILNS1_3genE3ELNS1_11target_archE908ELNS1_3gpuE7ELNS1_3repE0EEENS1_30default_config_static_selectorELNS0_4arch9wavefront6targetE0EEEvS12_.has_dyn_sized_stack, 0
	.set _ZN7rocprim17ROCPRIM_400000_NS6detail17trampoline_kernelINS0_13select_configILj256ELj13ELNS0_17block_load_methodE3ELS4_3ELS4_3ELNS0_20block_scan_algorithmE0ELj4294967295EEENS1_25partition_config_selectorILNS1_17partition_subalgoE4EjNS0_10empty_typeEbEEZZNS1_14partition_implILS8_4ELb0ES6_15HIP_vector_typeIjLj2EENS0_17counting_iteratorIjlEEPS9_SG_NS0_5tupleIJPjSI_NS0_16reverse_iteratorISI_EEEEENSH_IJSG_SG_SG_EEES9_SI_JZNS1_25segmented_radix_sort_implINS0_14default_configELb1EPKfPfPKlPlN2at6native12_GLOBAL__N_18offset_tEEE10hipError_tPvRmT1_PNSt15iterator_traitsIS12_E10value_typeET2_T3_PNS13_IS18_E10value_typeET4_jRbjT5_S1E_jjP12ihipStream_tbEUljE_ZNSN_ISO_Lb1ESQ_SR_ST_SU_SY_EESZ_S10_S11_S12_S16_S17_S18_S1B_S1C_jS1D_jS1E_S1E_jjS1G_bEUljE0_EEESZ_S10_S11_S18_S1C_S1E_T6_T7_T9_mT8_S1G_bDpT10_ENKUlT_T0_E_clISt17integral_constantIbLb0EES1U_EEDaS1P_S1Q_EUlS1P_E_NS1_11comp_targetILNS1_3genE3ELNS1_11target_archE908ELNS1_3gpuE7ELNS1_3repE0EEENS1_30default_config_static_selectorELNS0_4arch9wavefront6targetE0EEEvS12_.has_recursion, 0
	.set _ZN7rocprim17ROCPRIM_400000_NS6detail17trampoline_kernelINS0_13select_configILj256ELj13ELNS0_17block_load_methodE3ELS4_3ELS4_3ELNS0_20block_scan_algorithmE0ELj4294967295EEENS1_25partition_config_selectorILNS1_17partition_subalgoE4EjNS0_10empty_typeEbEEZZNS1_14partition_implILS8_4ELb0ES6_15HIP_vector_typeIjLj2EENS0_17counting_iteratorIjlEEPS9_SG_NS0_5tupleIJPjSI_NS0_16reverse_iteratorISI_EEEEENSH_IJSG_SG_SG_EEES9_SI_JZNS1_25segmented_radix_sort_implINS0_14default_configELb1EPKfPfPKlPlN2at6native12_GLOBAL__N_18offset_tEEE10hipError_tPvRmT1_PNSt15iterator_traitsIS12_E10value_typeET2_T3_PNS13_IS18_E10value_typeET4_jRbjT5_S1E_jjP12ihipStream_tbEUljE_ZNSN_ISO_Lb1ESQ_SR_ST_SU_SY_EESZ_S10_S11_S12_S16_S17_S18_S1B_S1C_jS1D_jS1E_S1E_jjS1G_bEUljE0_EEESZ_S10_S11_S18_S1C_S1E_T6_T7_T9_mT8_S1G_bDpT10_ENKUlT_T0_E_clISt17integral_constantIbLb0EES1U_EEDaS1P_S1Q_EUlS1P_E_NS1_11comp_targetILNS1_3genE3ELNS1_11target_archE908ELNS1_3gpuE7ELNS1_3repE0EEENS1_30default_config_static_selectorELNS0_4arch9wavefront6targetE0EEEvS12_.has_indirect_call, 0
	.section	.AMDGPU.csdata,"",@progbits
; Kernel info:
; codeLenInByte = 0
; TotalNumSgprs: 0
; NumVgprs: 0
; ScratchSize: 0
; MemoryBound: 0
; FloatMode: 240
; IeeeMode: 1
; LDSByteSize: 0 bytes/workgroup (compile time only)
; SGPRBlocks: 0
; VGPRBlocks: 0
; NumSGPRsForWavesPerEU: 1
; NumVGPRsForWavesPerEU: 1
; Occupancy: 16
; WaveLimiterHint : 0
; COMPUTE_PGM_RSRC2:SCRATCH_EN: 0
; COMPUTE_PGM_RSRC2:USER_SGPR: 6
; COMPUTE_PGM_RSRC2:TRAP_HANDLER: 0
; COMPUTE_PGM_RSRC2:TGID_X_EN: 1
; COMPUTE_PGM_RSRC2:TGID_Y_EN: 0
; COMPUTE_PGM_RSRC2:TGID_Z_EN: 0
; COMPUTE_PGM_RSRC2:TIDIG_COMP_CNT: 0
	.section	.text._ZN7rocprim17ROCPRIM_400000_NS6detail17trampoline_kernelINS0_13select_configILj256ELj13ELNS0_17block_load_methodE3ELS4_3ELS4_3ELNS0_20block_scan_algorithmE0ELj4294967295EEENS1_25partition_config_selectorILNS1_17partition_subalgoE4EjNS0_10empty_typeEbEEZZNS1_14partition_implILS8_4ELb0ES6_15HIP_vector_typeIjLj2EENS0_17counting_iteratorIjlEEPS9_SG_NS0_5tupleIJPjSI_NS0_16reverse_iteratorISI_EEEEENSH_IJSG_SG_SG_EEES9_SI_JZNS1_25segmented_radix_sort_implINS0_14default_configELb1EPKfPfPKlPlN2at6native12_GLOBAL__N_18offset_tEEE10hipError_tPvRmT1_PNSt15iterator_traitsIS12_E10value_typeET2_T3_PNS13_IS18_E10value_typeET4_jRbjT5_S1E_jjP12ihipStream_tbEUljE_ZNSN_ISO_Lb1ESQ_SR_ST_SU_SY_EESZ_S10_S11_S12_S16_S17_S18_S1B_S1C_jS1D_jS1E_S1E_jjS1G_bEUljE0_EEESZ_S10_S11_S18_S1C_S1E_T6_T7_T9_mT8_S1G_bDpT10_ENKUlT_T0_E_clISt17integral_constantIbLb0EES1U_EEDaS1P_S1Q_EUlS1P_E_NS1_11comp_targetILNS1_3genE2ELNS1_11target_archE906ELNS1_3gpuE6ELNS1_3repE0EEENS1_30default_config_static_selectorELNS0_4arch9wavefront6targetE0EEEvS12_,"axG",@progbits,_ZN7rocprim17ROCPRIM_400000_NS6detail17trampoline_kernelINS0_13select_configILj256ELj13ELNS0_17block_load_methodE3ELS4_3ELS4_3ELNS0_20block_scan_algorithmE0ELj4294967295EEENS1_25partition_config_selectorILNS1_17partition_subalgoE4EjNS0_10empty_typeEbEEZZNS1_14partition_implILS8_4ELb0ES6_15HIP_vector_typeIjLj2EENS0_17counting_iteratorIjlEEPS9_SG_NS0_5tupleIJPjSI_NS0_16reverse_iteratorISI_EEEEENSH_IJSG_SG_SG_EEES9_SI_JZNS1_25segmented_radix_sort_implINS0_14default_configELb1EPKfPfPKlPlN2at6native12_GLOBAL__N_18offset_tEEE10hipError_tPvRmT1_PNSt15iterator_traitsIS12_E10value_typeET2_T3_PNS13_IS18_E10value_typeET4_jRbjT5_S1E_jjP12ihipStream_tbEUljE_ZNSN_ISO_Lb1ESQ_SR_ST_SU_SY_EESZ_S10_S11_S12_S16_S17_S18_S1B_S1C_jS1D_jS1E_S1E_jjS1G_bEUljE0_EEESZ_S10_S11_S18_S1C_S1E_T6_T7_T9_mT8_S1G_bDpT10_ENKUlT_T0_E_clISt17integral_constantIbLb0EES1U_EEDaS1P_S1Q_EUlS1P_E_NS1_11comp_targetILNS1_3genE2ELNS1_11target_archE906ELNS1_3gpuE6ELNS1_3repE0EEENS1_30default_config_static_selectorELNS0_4arch9wavefront6targetE0EEEvS12_,comdat
	.globl	_ZN7rocprim17ROCPRIM_400000_NS6detail17trampoline_kernelINS0_13select_configILj256ELj13ELNS0_17block_load_methodE3ELS4_3ELS4_3ELNS0_20block_scan_algorithmE0ELj4294967295EEENS1_25partition_config_selectorILNS1_17partition_subalgoE4EjNS0_10empty_typeEbEEZZNS1_14partition_implILS8_4ELb0ES6_15HIP_vector_typeIjLj2EENS0_17counting_iteratorIjlEEPS9_SG_NS0_5tupleIJPjSI_NS0_16reverse_iteratorISI_EEEEENSH_IJSG_SG_SG_EEES9_SI_JZNS1_25segmented_radix_sort_implINS0_14default_configELb1EPKfPfPKlPlN2at6native12_GLOBAL__N_18offset_tEEE10hipError_tPvRmT1_PNSt15iterator_traitsIS12_E10value_typeET2_T3_PNS13_IS18_E10value_typeET4_jRbjT5_S1E_jjP12ihipStream_tbEUljE_ZNSN_ISO_Lb1ESQ_SR_ST_SU_SY_EESZ_S10_S11_S12_S16_S17_S18_S1B_S1C_jS1D_jS1E_S1E_jjS1G_bEUljE0_EEESZ_S10_S11_S18_S1C_S1E_T6_T7_T9_mT8_S1G_bDpT10_ENKUlT_T0_E_clISt17integral_constantIbLb0EES1U_EEDaS1P_S1Q_EUlS1P_E_NS1_11comp_targetILNS1_3genE2ELNS1_11target_archE906ELNS1_3gpuE6ELNS1_3repE0EEENS1_30default_config_static_selectorELNS0_4arch9wavefront6targetE0EEEvS12_ ; -- Begin function _ZN7rocprim17ROCPRIM_400000_NS6detail17trampoline_kernelINS0_13select_configILj256ELj13ELNS0_17block_load_methodE3ELS4_3ELS4_3ELNS0_20block_scan_algorithmE0ELj4294967295EEENS1_25partition_config_selectorILNS1_17partition_subalgoE4EjNS0_10empty_typeEbEEZZNS1_14partition_implILS8_4ELb0ES6_15HIP_vector_typeIjLj2EENS0_17counting_iteratorIjlEEPS9_SG_NS0_5tupleIJPjSI_NS0_16reverse_iteratorISI_EEEEENSH_IJSG_SG_SG_EEES9_SI_JZNS1_25segmented_radix_sort_implINS0_14default_configELb1EPKfPfPKlPlN2at6native12_GLOBAL__N_18offset_tEEE10hipError_tPvRmT1_PNSt15iterator_traitsIS12_E10value_typeET2_T3_PNS13_IS18_E10value_typeET4_jRbjT5_S1E_jjP12ihipStream_tbEUljE_ZNSN_ISO_Lb1ESQ_SR_ST_SU_SY_EESZ_S10_S11_S12_S16_S17_S18_S1B_S1C_jS1D_jS1E_S1E_jjS1G_bEUljE0_EEESZ_S10_S11_S18_S1C_S1E_T6_T7_T9_mT8_S1G_bDpT10_ENKUlT_T0_E_clISt17integral_constantIbLb0EES1U_EEDaS1P_S1Q_EUlS1P_E_NS1_11comp_targetILNS1_3genE2ELNS1_11target_archE906ELNS1_3gpuE6ELNS1_3repE0EEENS1_30default_config_static_selectorELNS0_4arch9wavefront6targetE0EEEvS12_
	.p2align	8
	.type	_ZN7rocprim17ROCPRIM_400000_NS6detail17trampoline_kernelINS0_13select_configILj256ELj13ELNS0_17block_load_methodE3ELS4_3ELS4_3ELNS0_20block_scan_algorithmE0ELj4294967295EEENS1_25partition_config_selectorILNS1_17partition_subalgoE4EjNS0_10empty_typeEbEEZZNS1_14partition_implILS8_4ELb0ES6_15HIP_vector_typeIjLj2EENS0_17counting_iteratorIjlEEPS9_SG_NS0_5tupleIJPjSI_NS0_16reverse_iteratorISI_EEEEENSH_IJSG_SG_SG_EEES9_SI_JZNS1_25segmented_radix_sort_implINS0_14default_configELb1EPKfPfPKlPlN2at6native12_GLOBAL__N_18offset_tEEE10hipError_tPvRmT1_PNSt15iterator_traitsIS12_E10value_typeET2_T3_PNS13_IS18_E10value_typeET4_jRbjT5_S1E_jjP12ihipStream_tbEUljE_ZNSN_ISO_Lb1ESQ_SR_ST_SU_SY_EESZ_S10_S11_S12_S16_S17_S18_S1B_S1C_jS1D_jS1E_S1E_jjS1G_bEUljE0_EEESZ_S10_S11_S18_S1C_S1E_T6_T7_T9_mT8_S1G_bDpT10_ENKUlT_T0_E_clISt17integral_constantIbLb0EES1U_EEDaS1P_S1Q_EUlS1P_E_NS1_11comp_targetILNS1_3genE2ELNS1_11target_archE906ELNS1_3gpuE6ELNS1_3repE0EEENS1_30default_config_static_selectorELNS0_4arch9wavefront6targetE0EEEvS12_,@function
_ZN7rocprim17ROCPRIM_400000_NS6detail17trampoline_kernelINS0_13select_configILj256ELj13ELNS0_17block_load_methodE3ELS4_3ELS4_3ELNS0_20block_scan_algorithmE0ELj4294967295EEENS1_25partition_config_selectorILNS1_17partition_subalgoE4EjNS0_10empty_typeEbEEZZNS1_14partition_implILS8_4ELb0ES6_15HIP_vector_typeIjLj2EENS0_17counting_iteratorIjlEEPS9_SG_NS0_5tupleIJPjSI_NS0_16reverse_iteratorISI_EEEEENSH_IJSG_SG_SG_EEES9_SI_JZNS1_25segmented_radix_sort_implINS0_14default_configELb1EPKfPfPKlPlN2at6native12_GLOBAL__N_18offset_tEEE10hipError_tPvRmT1_PNSt15iterator_traitsIS12_E10value_typeET2_T3_PNS13_IS18_E10value_typeET4_jRbjT5_S1E_jjP12ihipStream_tbEUljE_ZNSN_ISO_Lb1ESQ_SR_ST_SU_SY_EESZ_S10_S11_S12_S16_S17_S18_S1B_S1C_jS1D_jS1E_S1E_jjS1G_bEUljE0_EEESZ_S10_S11_S18_S1C_S1E_T6_T7_T9_mT8_S1G_bDpT10_ENKUlT_T0_E_clISt17integral_constantIbLb0EES1U_EEDaS1P_S1Q_EUlS1P_E_NS1_11comp_targetILNS1_3genE2ELNS1_11target_archE906ELNS1_3gpuE6ELNS1_3repE0EEENS1_30default_config_static_selectorELNS0_4arch9wavefront6targetE0EEEvS12_: ; @_ZN7rocprim17ROCPRIM_400000_NS6detail17trampoline_kernelINS0_13select_configILj256ELj13ELNS0_17block_load_methodE3ELS4_3ELS4_3ELNS0_20block_scan_algorithmE0ELj4294967295EEENS1_25partition_config_selectorILNS1_17partition_subalgoE4EjNS0_10empty_typeEbEEZZNS1_14partition_implILS8_4ELb0ES6_15HIP_vector_typeIjLj2EENS0_17counting_iteratorIjlEEPS9_SG_NS0_5tupleIJPjSI_NS0_16reverse_iteratorISI_EEEEENSH_IJSG_SG_SG_EEES9_SI_JZNS1_25segmented_radix_sort_implINS0_14default_configELb1EPKfPfPKlPlN2at6native12_GLOBAL__N_18offset_tEEE10hipError_tPvRmT1_PNSt15iterator_traitsIS12_E10value_typeET2_T3_PNS13_IS18_E10value_typeET4_jRbjT5_S1E_jjP12ihipStream_tbEUljE_ZNSN_ISO_Lb1ESQ_SR_ST_SU_SY_EESZ_S10_S11_S12_S16_S17_S18_S1B_S1C_jS1D_jS1E_S1E_jjS1G_bEUljE0_EEESZ_S10_S11_S18_S1C_S1E_T6_T7_T9_mT8_S1G_bDpT10_ENKUlT_T0_E_clISt17integral_constantIbLb0EES1U_EEDaS1P_S1Q_EUlS1P_E_NS1_11comp_targetILNS1_3genE2ELNS1_11target_archE906ELNS1_3gpuE6ELNS1_3repE0EEENS1_30default_config_static_selectorELNS0_4arch9wavefront6targetE0EEEvS12_
; %bb.0:
	.section	.rodata,"a",@progbits
	.p2align	6, 0x0
	.amdhsa_kernel _ZN7rocprim17ROCPRIM_400000_NS6detail17trampoline_kernelINS0_13select_configILj256ELj13ELNS0_17block_load_methodE3ELS4_3ELS4_3ELNS0_20block_scan_algorithmE0ELj4294967295EEENS1_25partition_config_selectorILNS1_17partition_subalgoE4EjNS0_10empty_typeEbEEZZNS1_14partition_implILS8_4ELb0ES6_15HIP_vector_typeIjLj2EENS0_17counting_iteratorIjlEEPS9_SG_NS0_5tupleIJPjSI_NS0_16reverse_iteratorISI_EEEEENSH_IJSG_SG_SG_EEES9_SI_JZNS1_25segmented_radix_sort_implINS0_14default_configELb1EPKfPfPKlPlN2at6native12_GLOBAL__N_18offset_tEEE10hipError_tPvRmT1_PNSt15iterator_traitsIS12_E10value_typeET2_T3_PNS13_IS18_E10value_typeET4_jRbjT5_S1E_jjP12ihipStream_tbEUljE_ZNSN_ISO_Lb1ESQ_SR_ST_SU_SY_EESZ_S10_S11_S12_S16_S17_S18_S1B_S1C_jS1D_jS1E_S1E_jjS1G_bEUljE0_EEESZ_S10_S11_S18_S1C_S1E_T6_T7_T9_mT8_S1G_bDpT10_ENKUlT_T0_E_clISt17integral_constantIbLb0EES1U_EEDaS1P_S1Q_EUlS1P_E_NS1_11comp_targetILNS1_3genE2ELNS1_11target_archE906ELNS1_3gpuE6ELNS1_3repE0EEENS1_30default_config_static_selectorELNS0_4arch9wavefront6targetE0EEEvS12_
		.amdhsa_group_segment_fixed_size 0
		.amdhsa_private_segment_fixed_size 0
		.amdhsa_kernarg_size 176
		.amdhsa_user_sgpr_count 6
		.amdhsa_user_sgpr_private_segment_buffer 1
		.amdhsa_user_sgpr_dispatch_ptr 0
		.amdhsa_user_sgpr_queue_ptr 0
		.amdhsa_user_sgpr_kernarg_segment_ptr 1
		.amdhsa_user_sgpr_dispatch_id 0
		.amdhsa_user_sgpr_flat_scratch_init 0
		.amdhsa_user_sgpr_private_segment_size 0
		.amdhsa_wavefront_size32 1
		.amdhsa_uses_dynamic_stack 0
		.amdhsa_system_sgpr_private_segment_wavefront_offset 0
		.amdhsa_system_sgpr_workgroup_id_x 1
		.amdhsa_system_sgpr_workgroup_id_y 0
		.amdhsa_system_sgpr_workgroup_id_z 0
		.amdhsa_system_sgpr_workgroup_info 0
		.amdhsa_system_vgpr_workitem_id 0
		.amdhsa_next_free_vgpr 1
		.amdhsa_next_free_sgpr 1
		.amdhsa_reserve_vcc 0
		.amdhsa_reserve_flat_scratch 0
		.amdhsa_float_round_mode_32 0
		.amdhsa_float_round_mode_16_64 0
		.amdhsa_float_denorm_mode_32 3
		.amdhsa_float_denorm_mode_16_64 3
		.amdhsa_dx10_clamp 1
		.amdhsa_ieee_mode 1
		.amdhsa_fp16_overflow 0
		.amdhsa_workgroup_processor_mode 1
		.amdhsa_memory_ordered 1
		.amdhsa_forward_progress 1
		.amdhsa_shared_vgpr_count 0
		.amdhsa_exception_fp_ieee_invalid_op 0
		.amdhsa_exception_fp_denorm_src 0
		.amdhsa_exception_fp_ieee_div_zero 0
		.amdhsa_exception_fp_ieee_overflow 0
		.amdhsa_exception_fp_ieee_underflow 0
		.amdhsa_exception_fp_ieee_inexact 0
		.amdhsa_exception_int_div_zero 0
	.end_amdhsa_kernel
	.section	.text._ZN7rocprim17ROCPRIM_400000_NS6detail17trampoline_kernelINS0_13select_configILj256ELj13ELNS0_17block_load_methodE3ELS4_3ELS4_3ELNS0_20block_scan_algorithmE0ELj4294967295EEENS1_25partition_config_selectorILNS1_17partition_subalgoE4EjNS0_10empty_typeEbEEZZNS1_14partition_implILS8_4ELb0ES6_15HIP_vector_typeIjLj2EENS0_17counting_iteratorIjlEEPS9_SG_NS0_5tupleIJPjSI_NS0_16reverse_iteratorISI_EEEEENSH_IJSG_SG_SG_EEES9_SI_JZNS1_25segmented_radix_sort_implINS0_14default_configELb1EPKfPfPKlPlN2at6native12_GLOBAL__N_18offset_tEEE10hipError_tPvRmT1_PNSt15iterator_traitsIS12_E10value_typeET2_T3_PNS13_IS18_E10value_typeET4_jRbjT5_S1E_jjP12ihipStream_tbEUljE_ZNSN_ISO_Lb1ESQ_SR_ST_SU_SY_EESZ_S10_S11_S12_S16_S17_S18_S1B_S1C_jS1D_jS1E_S1E_jjS1G_bEUljE0_EEESZ_S10_S11_S18_S1C_S1E_T6_T7_T9_mT8_S1G_bDpT10_ENKUlT_T0_E_clISt17integral_constantIbLb0EES1U_EEDaS1P_S1Q_EUlS1P_E_NS1_11comp_targetILNS1_3genE2ELNS1_11target_archE906ELNS1_3gpuE6ELNS1_3repE0EEENS1_30default_config_static_selectorELNS0_4arch9wavefront6targetE0EEEvS12_,"axG",@progbits,_ZN7rocprim17ROCPRIM_400000_NS6detail17trampoline_kernelINS0_13select_configILj256ELj13ELNS0_17block_load_methodE3ELS4_3ELS4_3ELNS0_20block_scan_algorithmE0ELj4294967295EEENS1_25partition_config_selectorILNS1_17partition_subalgoE4EjNS0_10empty_typeEbEEZZNS1_14partition_implILS8_4ELb0ES6_15HIP_vector_typeIjLj2EENS0_17counting_iteratorIjlEEPS9_SG_NS0_5tupleIJPjSI_NS0_16reverse_iteratorISI_EEEEENSH_IJSG_SG_SG_EEES9_SI_JZNS1_25segmented_radix_sort_implINS0_14default_configELb1EPKfPfPKlPlN2at6native12_GLOBAL__N_18offset_tEEE10hipError_tPvRmT1_PNSt15iterator_traitsIS12_E10value_typeET2_T3_PNS13_IS18_E10value_typeET4_jRbjT5_S1E_jjP12ihipStream_tbEUljE_ZNSN_ISO_Lb1ESQ_SR_ST_SU_SY_EESZ_S10_S11_S12_S16_S17_S18_S1B_S1C_jS1D_jS1E_S1E_jjS1G_bEUljE0_EEESZ_S10_S11_S18_S1C_S1E_T6_T7_T9_mT8_S1G_bDpT10_ENKUlT_T0_E_clISt17integral_constantIbLb0EES1U_EEDaS1P_S1Q_EUlS1P_E_NS1_11comp_targetILNS1_3genE2ELNS1_11target_archE906ELNS1_3gpuE6ELNS1_3repE0EEENS1_30default_config_static_selectorELNS0_4arch9wavefront6targetE0EEEvS12_,comdat
.Lfunc_end1257:
	.size	_ZN7rocprim17ROCPRIM_400000_NS6detail17trampoline_kernelINS0_13select_configILj256ELj13ELNS0_17block_load_methodE3ELS4_3ELS4_3ELNS0_20block_scan_algorithmE0ELj4294967295EEENS1_25partition_config_selectorILNS1_17partition_subalgoE4EjNS0_10empty_typeEbEEZZNS1_14partition_implILS8_4ELb0ES6_15HIP_vector_typeIjLj2EENS0_17counting_iteratorIjlEEPS9_SG_NS0_5tupleIJPjSI_NS0_16reverse_iteratorISI_EEEEENSH_IJSG_SG_SG_EEES9_SI_JZNS1_25segmented_radix_sort_implINS0_14default_configELb1EPKfPfPKlPlN2at6native12_GLOBAL__N_18offset_tEEE10hipError_tPvRmT1_PNSt15iterator_traitsIS12_E10value_typeET2_T3_PNS13_IS18_E10value_typeET4_jRbjT5_S1E_jjP12ihipStream_tbEUljE_ZNSN_ISO_Lb1ESQ_SR_ST_SU_SY_EESZ_S10_S11_S12_S16_S17_S18_S1B_S1C_jS1D_jS1E_S1E_jjS1G_bEUljE0_EEESZ_S10_S11_S18_S1C_S1E_T6_T7_T9_mT8_S1G_bDpT10_ENKUlT_T0_E_clISt17integral_constantIbLb0EES1U_EEDaS1P_S1Q_EUlS1P_E_NS1_11comp_targetILNS1_3genE2ELNS1_11target_archE906ELNS1_3gpuE6ELNS1_3repE0EEENS1_30default_config_static_selectorELNS0_4arch9wavefront6targetE0EEEvS12_, .Lfunc_end1257-_ZN7rocprim17ROCPRIM_400000_NS6detail17trampoline_kernelINS0_13select_configILj256ELj13ELNS0_17block_load_methodE3ELS4_3ELS4_3ELNS0_20block_scan_algorithmE0ELj4294967295EEENS1_25partition_config_selectorILNS1_17partition_subalgoE4EjNS0_10empty_typeEbEEZZNS1_14partition_implILS8_4ELb0ES6_15HIP_vector_typeIjLj2EENS0_17counting_iteratorIjlEEPS9_SG_NS0_5tupleIJPjSI_NS0_16reverse_iteratorISI_EEEEENSH_IJSG_SG_SG_EEES9_SI_JZNS1_25segmented_radix_sort_implINS0_14default_configELb1EPKfPfPKlPlN2at6native12_GLOBAL__N_18offset_tEEE10hipError_tPvRmT1_PNSt15iterator_traitsIS12_E10value_typeET2_T3_PNS13_IS18_E10value_typeET4_jRbjT5_S1E_jjP12ihipStream_tbEUljE_ZNSN_ISO_Lb1ESQ_SR_ST_SU_SY_EESZ_S10_S11_S12_S16_S17_S18_S1B_S1C_jS1D_jS1E_S1E_jjS1G_bEUljE0_EEESZ_S10_S11_S18_S1C_S1E_T6_T7_T9_mT8_S1G_bDpT10_ENKUlT_T0_E_clISt17integral_constantIbLb0EES1U_EEDaS1P_S1Q_EUlS1P_E_NS1_11comp_targetILNS1_3genE2ELNS1_11target_archE906ELNS1_3gpuE6ELNS1_3repE0EEENS1_30default_config_static_selectorELNS0_4arch9wavefront6targetE0EEEvS12_
                                        ; -- End function
	.set _ZN7rocprim17ROCPRIM_400000_NS6detail17trampoline_kernelINS0_13select_configILj256ELj13ELNS0_17block_load_methodE3ELS4_3ELS4_3ELNS0_20block_scan_algorithmE0ELj4294967295EEENS1_25partition_config_selectorILNS1_17partition_subalgoE4EjNS0_10empty_typeEbEEZZNS1_14partition_implILS8_4ELb0ES6_15HIP_vector_typeIjLj2EENS0_17counting_iteratorIjlEEPS9_SG_NS0_5tupleIJPjSI_NS0_16reverse_iteratorISI_EEEEENSH_IJSG_SG_SG_EEES9_SI_JZNS1_25segmented_radix_sort_implINS0_14default_configELb1EPKfPfPKlPlN2at6native12_GLOBAL__N_18offset_tEEE10hipError_tPvRmT1_PNSt15iterator_traitsIS12_E10value_typeET2_T3_PNS13_IS18_E10value_typeET4_jRbjT5_S1E_jjP12ihipStream_tbEUljE_ZNSN_ISO_Lb1ESQ_SR_ST_SU_SY_EESZ_S10_S11_S12_S16_S17_S18_S1B_S1C_jS1D_jS1E_S1E_jjS1G_bEUljE0_EEESZ_S10_S11_S18_S1C_S1E_T6_T7_T9_mT8_S1G_bDpT10_ENKUlT_T0_E_clISt17integral_constantIbLb0EES1U_EEDaS1P_S1Q_EUlS1P_E_NS1_11comp_targetILNS1_3genE2ELNS1_11target_archE906ELNS1_3gpuE6ELNS1_3repE0EEENS1_30default_config_static_selectorELNS0_4arch9wavefront6targetE0EEEvS12_.num_vgpr, 0
	.set _ZN7rocprim17ROCPRIM_400000_NS6detail17trampoline_kernelINS0_13select_configILj256ELj13ELNS0_17block_load_methodE3ELS4_3ELS4_3ELNS0_20block_scan_algorithmE0ELj4294967295EEENS1_25partition_config_selectorILNS1_17partition_subalgoE4EjNS0_10empty_typeEbEEZZNS1_14partition_implILS8_4ELb0ES6_15HIP_vector_typeIjLj2EENS0_17counting_iteratorIjlEEPS9_SG_NS0_5tupleIJPjSI_NS0_16reverse_iteratorISI_EEEEENSH_IJSG_SG_SG_EEES9_SI_JZNS1_25segmented_radix_sort_implINS0_14default_configELb1EPKfPfPKlPlN2at6native12_GLOBAL__N_18offset_tEEE10hipError_tPvRmT1_PNSt15iterator_traitsIS12_E10value_typeET2_T3_PNS13_IS18_E10value_typeET4_jRbjT5_S1E_jjP12ihipStream_tbEUljE_ZNSN_ISO_Lb1ESQ_SR_ST_SU_SY_EESZ_S10_S11_S12_S16_S17_S18_S1B_S1C_jS1D_jS1E_S1E_jjS1G_bEUljE0_EEESZ_S10_S11_S18_S1C_S1E_T6_T7_T9_mT8_S1G_bDpT10_ENKUlT_T0_E_clISt17integral_constantIbLb0EES1U_EEDaS1P_S1Q_EUlS1P_E_NS1_11comp_targetILNS1_3genE2ELNS1_11target_archE906ELNS1_3gpuE6ELNS1_3repE0EEENS1_30default_config_static_selectorELNS0_4arch9wavefront6targetE0EEEvS12_.num_agpr, 0
	.set _ZN7rocprim17ROCPRIM_400000_NS6detail17trampoline_kernelINS0_13select_configILj256ELj13ELNS0_17block_load_methodE3ELS4_3ELS4_3ELNS0_20block_scan_algorithmE0ELj4294967295EEENS1_25partition_config_selectorILNS1_17partition_subalgoE4EjNS0_10empty_typeEbEEZZNS1_14partition_implILS8_4ELb0ES6_15HIP_vector_typeIjLj2EENS0_17counting_iteratorIjlEEPS9_SG_NS0_5tupleIJPjSI_NS0_16reverse_iteratorISI_EEEEENSH_IJSG_SG_SG_EEES9_SI_JZNS1_25segmented_radix_sort_implINS0_14default_configELb1EPKfPfPKlPlN2at6native12_GLOBAL__N_18offset_tEEE10hipError_tPvRmT1_PNSt15iterator_traitsIS12_E10value_typeET2_T3_PNS13_IS18_E10value_typeET4_jRbjT5_S1E_jjP12ihipStream_tbEUljE_ZNSN_ISO_Lb1ESQ_SR_ST_SU_SY_EESZ_S10_S11_S12_S16_S17_S18_S1B_S1C_jS1D_jS1E_S1E_jjS1G_bEUljE0_EEESZ_S10_S11_S18_S1C_S1E_T6_T7_T9_mT8_S1G_bDpT10_ENKUlT_T0_E_clISt17integral_constantIbLb0EES1U_EEDaS1P_S1Q_EUlS1P_E_NS1_11comp_targetILNS1_3genE2ELNS1_11target_archE906ELNS1_3gpuE6ELNS1_3repE0EEENS1_30default_config_static_selectorELNS0_4arch9wavefront6targetE0EEEvS12_.numbered_sgpr, 0
	.set _ZN7rocprim17ROCPRIM_400000_NS6detail17trampoline_kernelINS0_13select_configILj256ELj13ELNS0_17block_load_methodE3ELS4_3ELS4_3ELNS0_20block_scan_algorithmE0ELj4294967295EEENS1_25partition_config_selectorILNS1_17partition_subalgoE4EjNS0_10empty_typeEbEEZZNS1_14partition_implILS8_4ELb0ES6_15HIP_vector_typeIjLj2EENS0_17counting_iteratorIjlEEPS9_SG_NS0_5tupleIJPjSI_NS0_16reverse_iteratorISI_EEEEENSH_IJSG_SG_SG_EEES9_SI_JZNS1_25segmented_radix_sort_implINS0_14default_configELb1EPKfPfPKlPlN2at6native12_GLOBAL__N_18offset_tEEE10hipError_tPvRmT1_PNSt15iterator_traitsIS12_E10value_typeET2_T3_PNS13_IS18_E10value_typeET4_jRbjT5_S1E_jjP12ihipStream_tbEUljE_ZNSN_ISO_Lb1ESQ_SR_ST_SU_SY_EESZ_S10_S11_S12_S16_S17_S18_S1B_S1C_jS1D_jS1E_S1E_jjS1G_bEUljE0_EEESZ_S10_S11_S18_S1C_S1E_T6_T7_T9_mT8_S1G_bDpT10_ENKUlT_T0_E_clISt17integral_constantIbLb0EES1U_EEDaS1P_S1Q_EUlS1P_E_NS1_11comp_targetILNS1_3genE2ELNS1_11target_archE906ELNS1_3gpuE6ELNS1_3repE0EEENS1_30default_config_static_selectorELNS0_4arch9wavefront6targetE0EEEvS12_.num_named_barrier, 0
	.set _ZN7rocprim17ROCPRIM_400000_NS6detail17trampoline_kernelINS0_13select_configILj256ELj13ELNS0_17block_load_methodE3ELS4_3ELS4_3ELNS0_20block_scan_algorithmE0ELj4294967295EEENS1_25partition_config_selectorILNS1_17partition_subalgoE4EjNS0_10empty_typeEbEEZZNS1_14partition_implILS8_4ELb0ES6_15HIP_vector_typeIjLj2EENS0_17counting_iteratorIjlEEPS9_SG_NS0_5tupleIJPjSI_NS0_16reverse_iteratorISI_EEEEENSH_IJSG_SG_SG_EEES9_SI_JZNS1_25segmented_radix_sort_implINS0_14default_configELb1EPKfPfPKlPlN2at6native12_GLOBAL__N_18offset_tEEE10hipError_tPvRmT1_PNSt15iterator_traitsIS12_E10value_typeET2_T3_PNS13_IS18_E10value_typeET4_jRbjT5_S1E_jjP12ihipStream_tbEUljE_ZNSN_ISO_Lb1ESQ_SR_ST_SU_SY_EESZ_S10_S11_S12_S16_S17_S18_S1B_S1C_jS1D_jS1E_S1E_jjS1G_bEUljE0_EEESZ_S10_S11_S18_S1C_S1E_T6_T7_T9_mT8_S1G_bDpT10_ENKUlT_T0_E_clISt17integral_constantIbLb0EES1U_EEDaS1P_S1Q_EUlS1P_E_NS1_11comp_targetILNS1_3genE2ELNS1_11target_archE906ELNS1_3gpuE6ELNS1_3repE0EEENS1_30default_config_static_selectorELNS0_4arch9wavefront6targetE0EEEvS12_.private_seg_size, 0
	.set _ZN7rocprim17ROCPRIM_400000_NS6detail17trampoline_kernelINS0_13select_configILj256ELj13ELNS0_17block_load_methodE3ELS4_3ELS4_3ELNS0_20block_scan_algorithmE0ELj4294967295EEENS1_25partition_config_selectorILNS1_17partition_subalgoE4EjNS0_10empty_typeEbEEZZNS1_14partition_implILS8_4ELb0ES6_15HIP_vector_typeIjLj2EENS0_17counting_iteratorIjlEEPS9_SG_NS0_5tupleIJPjSI_NS0_16reverse_iteratorISI_EEEEENSH_IJSG_SG_SG_EEES9_SI_JZNS1_25segmented_radix_sort_implINS0_14default_configELb1EPKfPfPKlPlN2at6native12_GLOBAL__N_18offset_tEEE10hipError_tPvRmT1_PNSt15iterator_traitsIS12_E10value_typeET2_T3_PNS13_IS18_E10value_typeET4_jRbjT5_S1E_jjP12ihipStream_tbEUljE_ZNSN_ISO_Lb1ESQ_SR_ST_SU_SY_EESZ_S10_S11_S12_S16_S17_S18_S1B_S1C_jS1D_jS1E_S1E_jjS1G_bEUljE0_EEESZ_S10_S11_S18_S1C_S1E_T6_T7_T9_mT8_S1G_bDpT10_ENKUlT_T0_E_clISt17integral_constantIbLb0EES1U_EEDaS1P_S1Q_EUlS1P_E_NS1_11comp_targetILNS1_3genE2ELNS1_11target_archE906ELNS1_3gpuE6ELNS1_3repE0EEENS1_30default_config_static_selectorELNS0_4arch9wavefront6targetE0EEEvS12_.uses_vcc, 0
	.set _ZN7rocprim17ROCPRIM_400000_NS6detail17trampoline_kernelINS0_13select_configILj256ELj13ELNS0_17block_load_methodE3ELS4_3ELS4_3ELNS0_20block_scan_algorithmE0ELj4294967295EEENS1_25partition_config_selectorILNS1_17partition_subalgoE4EjNS0_10empty_typeEbEEZZNS1_14partition_implILS8_4ELb0ES6_15HIP_vector_typeIjLj2EENS0_17counting_iteratorIjlEEPS9_SG_NS0_5tupleIJPjSI_NS0_16reverse_iteratorISI_EEEEENSH_IJSG_SG_SG_EEES9_SI_JZNS1_25segmented_radix_sort_implINS0_14default_configELb1EPKfPfPKlPlN2at6native12_GLOBAL__N_18offset_tEEE10hipError_tPvRmT1_PNSt15iterator_traitsIS12_E10value_typeET2_T3_PNS13_IS18_E10value_typeET4_jRbjT5_S1E_jjP12ihipStream_tbEUljE_ZNSN_ISO_Lb1ESQ_SR_ST_SU_SY_EESZ_S10_S11_S12_S16_S17_S18_S1B_S1C_jS1D_jS1E_S1E_jjS1G_bEUljE0_EEESZ_S10_S11_S18_S1C_S1E_T6_T7_T9_mT8_S1G_bDpT10_ENKUlT_T0_E_clISt17integral_constantIbLb0EES1U_EEDaS1P_S1Q_EUlS1P_E_NS1_11comp_targetILNS1_3genE2ELNS1_11target_archE906ELNS1_3gpuE6ELNS1_3repE0EEENS1_30default_config_static_selectorELNS0_4arch9wavefront6targetE0EEEvS12_.uses_flat_scratch, 0
	.set _ZN7rocprim17ROCPRIM_400000_NS6detail17trampoline_kernelINS0_13select_configILj256ELj13ELNS0_17block_load_methodE3ELS4_3ELS4_3ELNS0_20block_scan_algorithmE0ELj4294967295EEENS1_25partition_config_selectorILNS1_17partition_subalgoE4EjNS0_10empty_typeEbEEZZNS1_14partition_implILS8_4ELb0ES6_15HIP_vector_typeIjLj2EENS0_17counting_iteratorIjlEEPS9_SG_NS0_5tupleIJPjSI_NS0_16reverse_iteratorISI_EEEEENSH_IJSG_SG_SG_EEES9_SI_JZNS1_25segmented_radix_sort_implINS0_14default_configELb1EPKfPfPKlPlN2at6native12_GLOBAL__N_18offset_tEEE10hipError_tPvRmT1_PNSt15iterator_traitsIS12_E10value_typeET2_T3_PNS13_IS18_E10value_typeET4_jRbjT5_S1E_jjP12ihipStream_tbEUljE_ZNSN_ISO_Lb1ESQ_SR_ST_SU_SY_EESZ_S10_S11_S12_S16_S17_S18_S1B_S1C_jS1D_jS1E_S1E_jjS1G_bEUljE0_EEESZ_S10_S11_S18_S1C_S1E_T6_T7_T9_mT8_S1G_bDpT10_ENKUlT_T0_E_clISt17integral_constantIbLb0EES1U_EEDaS1P_S1Q_EUlS1P_E_NS1_11comp_targetILNS1_3genE2ELNS1_11target_archE906ELNS1_3gpuE6ELNS1_3repE0EEENS1_30default_config_static_selectorELNS0_4arch9wavefront6targetE0EEEvS12_.has_dyn_sized_stack, 0
	.set _ZN7rocprim17ROCPRIM_400000_NS6detail17trampoline_kernelINS0_13select_configILj256ELj13ELNS0_17block_load_methodE3ELS4_3ELS4_3ELNS0_20block_scan_algorithmE0ELj4294967295EEENS1_25partition_config_selectorILNS1_17partition_subalgoE4EjNS0_10empty_typeEbEEZZNS1_14partition_implILS8_4ELb0ES6_15HIP_vector_typeIjLj2EENS0_17counting_iteratorIjlEEPS9_SG_NS0_5tupleIJPjSI_NS0_16reverse_iteratorISI_EEEEENSH_IJSG_SG_SG_EEES9_SI_JZNS1_25segmented_radix_sort_implINS0_14default_configELb1EPKfPfPKlPlN2at6native12_GLOBAL__N_18offset_tEEE10hipError_tPvRmT1_PNSt15iterator_traitsIS12_E10value_typeET2_T3_PNS13_IS18_E10value_typeET4_jRbjT5_S1E_jjP12ihipStream_tbEUljE_ZNSN_ISO_Lb1ESQ_SR_ST_SU_SY_EESZ_S10_S11_S12_S16_S17_S18_S1B_S1C_jS1D_jS1E_S1E_jjS1G_bEUljE0_EEESZ_S10_S11_S18_S1C_S1E_T6_T7_T9_mT8_S1G_bDpT10_ENKUlT_T0_E_clISt17integral_constantIbLb0EES1U_EEDaS1P_S1Q_EUlS1P_E_NS1_11comp_targetILNS1_3genE2ELNS1_11target_archE906ELNS1_3gpuE6ELNS1_3repE0EEENS1_30default_config_static_selectorELNS0_4arch9wavefront6targetE0EEEvS12_.has_recursion, 0
	.set _ZN7rocprim17ROCPRIM_400000_NS6detail17trampoline_kernelINS0_13select_configILj256ELj13ELNS0_17block_load_methodE3ELS4_3ELS4_3ELNS0_20block_scan_algorithmE0ELj4294967295EEENS1_25partition_config_selectorILNS1_17partition_subalgoE4EjNS0_10empty_typeEbEEZZNS1_14partition_implILS8_4ELb0ES6_15HIP_vector_typeIjLj2EENS0_17counting_iteratorIjlEEPS9_SG_NS0_5tupleIJPjSI_NS0_16reverse_iteratorISI_EEEEENSH_IJSG_SG_SG_EEES9_SI_JZNS1_25segmented_radix_sort_implINS0_14default_configELb1EPKfPfPKlPlN2at6native12_GLOBAL__N_18offset_tEEE10hipError_tPvRmT1_PNSt15iterator_traitsIS12_E10value_typeET2_T3_PNS13_IS18_E10value_typeET4_jRbjT5_S1E_jjP12ihipStream_tbEUljE_ZNSN_ISO_Lb1ESQ_SR_ST_SU_SY_EESZ_S10_S11_S12_S16_S17_S18_S1B_S1C_jS1D_jS1E_S1E_jjS1G_bEUljE0_EEESZ_S10_S11_S18_S1C_S1E_T6_T7_T9_mT8_S1G_bDpT10_ENKUlT_T0_E_clISt17integral_constantIbLb0EES1U_EEDaS1P_S1Q_EUlS1P_E_NS1_11comp_targetILNS1_3genE2ELNS1_11target_archE906ELNS1_3gpuE6ELNS1_3repE0EEENS1_30default_config_static_selectorELNS0_4arch9wavefront6targetE0EEEvS12_.has_indirect_call, 0
	.section	.AMDGPU.csdata,"",@progbits
; Kernel info:
; codeLenInByte = 0
; TotalNumSgprs: 0
; NumVgprs: 0
; ScratchSize: 0
; MemoryBound: 0
; FloatMode: 240
; IeeeMode: 1
; LDSByteSize: 0 bytes/workgroup (compile time only)
; SGPRBlocks: 0
; VGPRBlocks: 0
; NumSGPRsForWavesPerEU: 1
; NumVGPRsForWavesPerEU: 1
; Occupancy: 16
; WaveLimiterHint : 0
; COMPUTE_PGM_RSRC2:SCRATCH_EN: 0
; COMPUTE_PGM_RSRC2:USER_SGPR: 6
; COMPUTE_PGM_RSRC2:TRAP_HANDLER: 0
; COMPUTE_PGM_RSRC2:TGID_X_EN: 1
; COMPUTE_PGM_RSRC2:TGID_Y_EN: 0
; COMPUTE_PGM_RSRC2:TGID_Z_EN: 0
; COMPUTE_PGM_RSRC2:TIDIG_COMP_CNT: 0
	.section	.text._ZN7rocprim17ROCPRIM_400000_NS6detail17trampoline_kernelINS0_13select_configILj256ELj13ELNS0_17block_load_methodE3ELS4_3ELS4_3ELNS0_20block_scan_algorithmE0ELj4294967295EEENS1_25partition_config_selectorILNS1_17partition_subalgoE4EjNS0_10empty_typeEbEEZZNS1_14partition_implILS8_4ELb0ES6_15HIP_vector_typeIjLj2EENS0_17counting_iteratorIjlEEPS9_SG_NS0_5tupleIJPjSI_NS0_16reverse_iteratorISI_EEEEENSH_IJSG_SG_SG_EEES9_SI_JZNS1_25segmented_radix_sort_implINS0_14default_configELb1EPKfPfPKlPlN2at6native12_GLOBAL__N_18offset_tEEE10hipError_tPvRmT1_PNSt15iterator_traitsIS12_E10value_typeET2_T3_PNS13_IS18_E10value_typeET4_jRbjT5_S1E_jjP12ihipStream_tbEUljE_ZNSN_ISO_Lb1ESQ_SR_ST_SU_SY_EESZ_S10_S11_S12_S16_S17_S18_S1B_S1C_jS1D_jS1E_S1E_jjS1G_bEUljE0_EEESZ_S10_S11_S18_S1C_S1E_T6_T7_T9_mT8_S1G_bDpT10_ENKUlT_T0_E_clISt17integral_constantIbLb0EES1U_EEDaS1P_S1Q_EUlS1P_E_NS1_11comp_targetILNS1_3genE10ELNS1_11target_archE1200ELNS1_3gpuE4ELNS1_3repE0EEENS1_30default_config_static_selectorELNS0_4arch9wavefront6targetE0EEEvS12_,"axG",@progbits,_ZN7rocprim17ROCPRIM_400000_NS6detail17trampoline_kernelINS0_13select_configILj256ELj13ELNS0_17block_load_methodE3ELS4_3ELS4_3ELNS0_20block_scan_algorithmE0ELj4294967295EEENS1_25partition_config_selectorILNS1_17partition_subalgoE4EjNS0_10empty_typeEbEEZZNS1_14partition_implILS8_4ELb0ES6_15HIP_vector_typeIjLj2EENS0_17counting_iteratorIjlEEPS9_SG_NS0_5tupleIJPjSI_NS0_16reverse_iteratorISI_EEEEENSH_IJSG_SG_SG_EEES9_SI_JZNS1_25segmented_radix_sort_implINS0_14default_configELb1EPKfPfPKlPlN2at6native12_GLOBAL__N_18offset_tEEE10hipError_tPvRmT1_PNSt15iterator_traitsIS12_E10value_typeET2_T3_PNS13_IS18_E10value_typeET4_jRbjT5_S1E_jjP12ihipStream_tbEUljE_ZNSN_ISO_Lb1ESQ_SR_ST_SU_SY_EESZ_S10_S11_S12_S16_S17_S18_S1B_S1C_jS1D_jS1E_S1E_jjS1G_bEUljE0_EEESZ_S10_S11_S18_S1C_S1E_T6_T7_T9_mT8_S1G_bDpT10_ENKUlT_T0_E_clISt17integral_constantIbLb0EES1U_EEDaS1P_S1Q_EUlS1P_E_NS1_11comp_targetILNS1_3genE10ELNS1_11target_archE1200ELNS1_3gpuE4ELNS1_3repE0EEENS1_30default_config_static_selectorELNS0_4arch9wavefront6targetE0EEEvS12_,comdat
	.globl	_ZN7rocprim17ROCPRIM_400000_NS6detail17trampoline_kernelINS0_13select_configILj256ELj13ELNS0_17block_load_methodE3ELS4_3ELS4_3ELNS0_20block_scan_algorithmE0ELj4294967295EEENS1_25partition_config_selectorILNS1_17partition_subalgoE4EjNS0_10empty_typeEbEEZZNS1_14partition_implILS8_4ELb0ES6_15HIP_vector_typeIjLj2EENS0_17counting_iteratorIjlEEPS9_SG_NS0_5tupleIJPjSI_NS0_16reverse_iteratorISI_EEEEENSH_IJSG_SG_SG_EEES9_SI_JZNS1_25segmented_radix_sort_implINS0_14default_configELb1EPKfPfPKlPlN2at6native12_GLOBAL__N_18offset_tEEE10hipError_tPvRmT1_PNSt15iterator_traitsIS12_E10value_typeET2_T3_PNS13_IS18_E10value_typeET4_jRbjT5_S1E_jjP12ihipStream_tbEUljE_ZNSN_ISO_Lb1ESQ_SR_ST_SU_SY_EESZ_S10_S11_S12_S16_S17_S18_S1B_S1C_jS1D_jS1E_S1E_jjS1G_bEUljE0_EEESZ_S10_S11_S18_S1C_S1E_T6_T7_T9_mT8_S1G_bDpT10_ENKUlT_T0_E_clISt17integral_constantIbLb0EES1U_EEDaS1P_S1Q_EUlS1P_E_NS1_11comp_targetILNS1_3genE10ELNS1_11target_archE1200ELNS1_3gpuE4ELNS1_3repE0EEENS1_30default_config_static_selectorELNS0_4arch9wavefront6targetE0EEEvS12_ ; -- Begin function _ZN7rocprim17ROCPRIM_400000_NS6detail17trampoline_kernelINS0_13select_configILj256ELj13ELNS0_17block_load_methodE3ELS4_3ELS4_3ELNS0_20block_scan_algorithmE0ELj4294967295EEENS1_25partition_config_selectorILNS1_17partition_subalgoE4EjNS0_10empty_typeEbEEZZNS1_14partition_implILS8_4ELb0ES6_15HIP_vector_typeIjLj2EENS0_17counting_iteratorIjlEEPS9_SG_NS0_5tupleIJPjSI_NS0_16reverse_iteratorISI_EEEEENSH_IJSG_SG_SG_EEES9_SI_JZNS1_25segmented_radix_sort_implINS0_14default_configELb1EPKfPfPKlPlN2at6native12_GLOBAL__N_18offset_tEEE10hipError_tPvRmT1_PNSt15iterator_traitsIS12_E10value_typeET2_T3_PNS13_IS18_E10value_typeET4_jRbjT5_S1E_jjP12ihipStream_tbEUljE_ZNSN_ISO_Lb1ESQ_SR_ST_SU_SY_EESZ_S10_S11_S12_S16_S17_S18_S1B_S1C_jS1D_jS1E_S1E_jjS1G_bEUljE0_EEESZ_S10_S11_S18_S1C_S1E_T6_T7_T9_mT8_S1G_bDpT10_ENKUlT_T0_E_clISt17integral_constantIbLb0EES1U_EEDaS1P_S1Q_EUlS1P_E_NS1_11comp_targetILNS1_3genE10ELNS1_11target_archE1200ELNS1_3gpuE4ELNS1_3repE0EEENS1_30default_config_static_selectorELNS0_4arch9wavefront6targetE0EEEvS12_
	.p2align	8
	.type	_ZN7rocprim17ROCPRIM_400000_NS6detail17trampoline_kernelINS0_13select_configILj256ELj13ELNS0_17block_load_methodE3ELS4_3ELS4_3ELNS0_20block_scan_algorithmE0ELj4294967295EEENS1_25partition_config_selectorILNS1_17partition_subalgoE4EjNS0_10empty_typeEbEEZZNS1_14partition_implILS8_4ELb0ES6_15HIP_vector_typeIjLj2EENS0_17counting_iteratorIjlEEPS9_SG_NS0_5tupleIJPjSI_NS0_16reverse_iteratorISI_EEEEENSH_IJSG_SG_SG_EEES9_SI_JZNS1_25segmented_radix_sort_implINS0_14default_configELb1EPKfPfPKlPlN2at6native12_GLOBAL__N_18offset_tEEE10hipError_tPvRmT1_PNSt15iterator_traitsIS12_E10value_typeET2_T3_PNS13_IS18_E10value_typeET4_jRbjT5_S1E_jjP12ihipStream_tbEUljE_ZNSN_ISO_Lb1ESQ_SR_ST_SU_SY_EESZ_S10_S11_S12_S16_S17_S18_S1B_S1C_jS1D_jS1E_S1E_jjS1G_bEUljE0_EEESZ_S10_S11_S18_S1C_S1E_T6_T7_T9_mT8_S1G_bDpT10_ENKUlT_T0_E_clISt17integral_constantIbLb0EES1U_EEDaS1P_S1Q_EUlS1P_E_NS1_11comp_targetILNS1_3genE10ELNS1_11target_archE1200ELNS1_3gpuE4ELNS1_3repE0EEENS1_30default_config_static_selectorELNS0_4arch9wavefront6targetE0EEEvS12_,@function
_ZN7rocprim17ROCPRIM_400000_NS6detail17trampoline_kernelINS0_13select_configILj256ELj13ELNS0_17block_load_methodE3ELS4_3ELS4_3ELNS0_20block_scan_algorithmE0ELj4294967295EEENS1_25partition_config_selectorILNS1_17partition_subalgoE4EjNS0_10empty_typeEbEEZZNS1_14partition_implILS8_4ELb0ES6_15HIP_vector_typeIjLj2EENS0_17counting_iteratorIjlEEPS9_SG_NS0_5tupleIJPjSI_NS0_16reverse_iteratorISI_EEEEENSH_IJSG_SG_SG_EEES9_SI_JZNS1_25segmented_radix_sort_implINS0_14default_configELb1EPKfPfPKlPlN2at6native12_GLOBAL__N_18offset_tEEE10hipError_tPvRmT1_PNSt15iterator_traitsIS12_E10value_typeET2_T3_PNS13_IS18_E10value_typeET4_jRbjT5_S1E_jjP12ihipStream_tbEUljE_ZNSN_ISO_Lb1ESQ_SR_ST_SU_SY_EESZ_S10_S11_S12_S16_S17_S18_S1B_S1C_jS1D_jS1E_S1E_jjS1G_bEUljE0_EEESZ_S10_S11_S18_S1C_S1E_T6_T7_T9_mT8_S1G_bDpT10_ENKUlT_T0_E_clISt17integral_constantIbLb0EES1U_EEDaS1P_S1Q_EUlS1P_E_NS1_11comp_targetILNS1_3genE10ELNS1_11target_archE1200ELNS1_3gpuE4ELNS1_3repE0EEENS1_30default_config_static_selectorELNS0_4arch9wavefront6targetE0EEEvS12_: ; @_ZN7rocprim17ROCPRIM_400000_NS6detail17trampoline_kernelINS0_13select_configILj256ELj13ELNS0_17block_load_methodE3ELS4_3ELS4_3ELNS0_20block_scan_algorithmE0ELj4294967295EEENS1_25partition_config_selectorILNS1_17partition_subalgoE4EjNS0_10empty_typeEbEEZZNS1_14partition_implILS8_4ELb0ES6_15HIP_vector_typeIjLj2EENS0_17counting_iteratorIjlEEPS9_SG_NS0_5tupleIJPjSI_NS0_16reverse_iteratorISI_EEEEENSH_IJSG_SG_SG_EEES9_SI_JZNS1_25segmented_radix_sort_implINS0_14default_configELb1EPKfPfPKlPlN2at6native12_GLOBAL__N_18offset_tEEE10hipError_tPvRmT1_PNSt15iterator_traitsIS12_E10value_typeET2_T3_PNS13_IS18_E10value_typeET4_jRbjT5_S1E_jjP12ihipStream_tbEUljE_ZNSN_ISO_Lb1ESQ_SR_ST_SU_SY_EESZ_S10_S11_S12_S16_S17_S18_S1B_S1C_jS1D_jS1E_S1E_jjS1G_bEUljE0_EEESZ_S10_S11_S18_S1C_S1E_T6_T7_T9_mT8_S1G_bDpT10_ENKUlT_T0_E_clISt17integral_constantIbLb0EES1U_EEDaS1P_S1Q_EUlS1P_E_NS1_11comp_targetILNS1_3genE10ELNS1_11target_archE1200ELNS1_3gpuE4ELNS1_3repE0EEENS1_30default_config_static_selectorELNS0_4arch9wavefront6targetE0EEEvS12_
; %bb.0:
	.section	.rodata,"a",@progbits
	.p2align	6, 0x0
	.amdhsa_kernel _ZN7rocprim17ROCPRIM_400000_NS6detail17trampoline_kernelINS0_13select_configILj256ELj13ELNS0_17block_load_methodE3ELS4_3ELS4_3ELNS0_20block_scan_algorithmE0ELj4294967295EEENS1_25partition_config_selectorILNS1_17partition_subalgoE4EjNS0_10empty_typeEbEEZZNS1_14partition_implILS8_4ELb0ES6_15HIP_vector_typeIjLj2EENS0_17counting_iteratorIjlEEPS9_SG_NS0_5tupleIJPjSI_NS0_16reverse_iteratorISI_EEEEENSH_IJSG_SG_SG_EEES9_SI_JZNS1_25segmented_radix_sort_implINS0_14default_configELb1EPKfPfPKlPlN2at6native12_GLOBAL__N_18offset_tEEE10hipError_tPvRmT1_PNSt15iterator_traitsIS12_E10value_typeET2_T3_PNS13_IS18_E10value_typeET4_jRbjT5_S1E_jjP12ihipStream_tbEUljE_ZNSN_ISO_Lb1ESQ_SR_ST_SU_SY_EESZ_S10_S11_S12_S16_S17_S18_S1B_S1C_jS1D_jS1E_S1E_jjS1G_bEUljE0_EEESZ_S10_S11_S18_S1C_S1E_T6_T7_T9_mT8_S1G_bDpT10_ENKUlT_T0_E_clISt17integral_constantIbLb0EES1U_EEDaS1P_S1Q_EUlS1P_E_NS1_11comp_targetILNS1_3genE10ELNS1_11target_archE1200ELNS1_3gpuE4ELNS1_3repE0EEENS1_30default_config_static_selectorELNS0_4arch9wavefront6targetE0EEEvS12_
		.amdhsa_group_segment_fixed_size 0
		.amdhsa_private_segment_fixed_size 0
		.amdhsa_kernarg_size 176
		.amdhsa_user_sgpr_count 6
		.amdhsa_user_sgpr_private_segment_buffer 1
		.amdhsa_user_sgpr_dispatch_ptr 0
		.amdhsa_user_sgpr_queue_ptr 0
		.amdhsa_user_sgpr_kernarg_segment_ptr 1
		.amdhsa_user_sgpr_dispatch_id 0
		.amdhsa_user_sgpr_flat_scratch_init 0
		.amdhsa_user_sgpr_private_segment_size 0
		.amdhsa_wavefront_size32 1
		.amdhsa_uses_dynamic_stack 0
		.amdhsa_system_sgpr_private_segment_wavefront_offset 0
		.amdhsa_system_sgpr_workgroup_id_x 1
		.amdhsa_system_sgpr_workgroup_id_y 0
		.amdhsa_system_sgpr_workgroup_id_z 0
		.amdhsa_system_sgpr_workgroup_info 0
		.amdhsa_system_vgpr_workitem_id 0
		.amdhsa_next_free_vgpr 1
		.amdhsa_next_free_sgpr 1
		.amdhsa_reserve_vcc 0
		.amdhsa_reserve_flat_scratch 0
		.amdhsa_float_round_mode_32 0
		.amdhsa_float_round_mode_16_64 0
		.amdhsa_float_denorm_mode_32 3
		.amdhsa_float_denorm_mode_16_64 3
		.amdhsa_dx10_clamp 1
		.amdhsa_ieee_mode 1
		.amdhsa_fp16_overflow 0
		.amdhsa_workgroup_processor_mode 1
		.amdhsa_memory_ordered 1
		.amdhsa_forward_progress 1
		.amdhsa_shared_vgpr_count 0
		.amdhsa_exception_fp_ieee_invalid_op 0
		.amdhsa_exception_fp_denorm_src 0
		.amdhsa_exception_fp_ieee_div_zero 0
		.amdhsa_exception_fp_ieee_overflow 0
		.amdhsa_exception_fp_ieee_underflow 0
		.amdhsa_exception_fp_ieee_inexact 0
		.amdhsa_exception_int_div_zero 0
	.end_amdhsa_kernel
	.section	.text._ZN7rocprim17ROCPRIM_400000_NS6detail17trampoline_kernelINS0_13select_configILj256ELj13ELNS0_17block_load_methodE3ELS4_3ELS4_3ELNS0_20block_scan_algorithmE0ELj4294967295EEENS1_25partition_config_selectorILNS1_17partition_subalgoE4EjNS0_10empty_typeEbEEZZNS1_14partition_implILS8_4ELb0ES6_15HIP_vector_typeIjLj2EENS0_17counting_iteratorIjlEEPS9_SG_NS0_5tupleIJPjSI_NS0_16reverse_iteratorISI_EEEEENSH_IJSG_SG_SG_EEES9_SI_JZNS1_25segmented_radix_sort_implINS0_14default_configELb1EPKfPfPKlPlN2at6native12_GLOBAL__N_18offset_tEEE10hipError_tPvRmT1_PNSt15iterator_traitsIS12_E10value_typeET2_T3_PNS13_IS18_E10value_typeET4_jRbjT5_S1E_jjP12ihipStream_tbEUljE_ZNSN_ISO_Lb1ESQ_SR_ST_SU_SY_EESZ_S10_S11_S12_S16_S17_S18_S1B_S1C_jS1D_jS1E_S1E_jjS1G_bEUljE0_EEESZ_S10_S11_S18_S1C_S1E_T6_T7_T9_mT8_S1G_bDpT10_ENKUlT_T0_E_clISt17integral_constantIbLb0EES1U_EEDaS1P_S1Q_EUlS1P_E_NS1_11comp_targetILNS1_3genE10ELNS1_11target_archE1200ELNS1_3gpuE4ELNS1_3repE0EEENS1_30default_config_static_selectorELNS0_4arch9wavefront6targetE0EEEvS12_,"axG",@progbits,_ZN7rocprim17ROCPRIM_400000_NS6detail17trampoline_kernelINS0_13select_configILj256ELj13ELNS0_17block_load_methodE3ELS4_3ELS4_3ELNS0_20block_scan_algorithmE0ELj4294967295EEENS1_25partition_config_selectorILNS1_17partition_subalgoE4EjNS0_10empty_typeEbEEZZNS1_14partition_implILS8_4ELb0ES6_15HIP_vector_typeIjLj2EENS0_17counting_iteratorIjlEEPS9_SG_NS0_5tupleIJPjSI_NS0_16reverse_iteratorISI_EEEEENSH_IJSG_SG_SG_EEES9_SI_JZNS1_25segmented_radix_sort_implINS0_14default_configELb1EPKfPfPKlPlN2at6native12_GLOBAL__N_18offset_tEEE10hipError_tPvRmT1_PNSt15iterator_traitsIS12_E10value_typeET2_T3_PNS13_IS18_E10value_typeET4_jRbjT5_S1E_jjP12ihipStream_tbEUljE_ZNSN_ISO_Lb1ESQ_SR_ST_SU_SY_EESZ_S10_S11_S12_S16_S17_S18_S1B_S1C_jS1D_jS1E_S1E_jjS1G_bEUljE0_EEESZ_S10_S11_S18_S1C_S1E_T6_T7_T9_mT8_S1G_bDpT10_ENKUlT_T0_E_clISt17integral_constantIbLb0EES1U_EEDaS1P_S1Q_EUlS1P_E_NS1_11comp_targetILNS1_3genE10ELNS1_11target_archE1200ELNS1_3gpuE4ELNS1_3repE0EEENS1_30default_config_static_selectorELNS0_4arch9wavefront6targetE0EEEvS12_,comdat
.Lfunc_end1258:
	.size	_ZN7rocprim17ROCPRIM_400000_NS6detail17trampoline_kernelINS0_13select_configILj256ELj13ELNS0_17block_load_methodE3ELS4_3ELS4_3ELNS0_20block_scan_algorithmE0ELj4294967295EEENS1_25partition_config_selectorILNS1_17partition_subalgoE4EjNS0_10empty_typeEbEEZZNS1_14partition_implILS8_4ELb0ES6_15HIP_vector_typeIjLj2EENS0_17counting_iteratorIjlEEPS9_SG_NS0_5tupleIJPjSI_NS0_16reverse_iteratorISI_EEEEENSH_IJSG_SG_SG_EEES9_SI_JZNS1_25segmented_radix_sort_implINS0_14default_configELb1EPKfPfPKlPlN2at6native12_GLOBAL__N_18offset_tEEE10hipError_tPvRmT1_PNSt15iterator_traitsIS12_E10value_typeET2_T3_PNS13_IS18_E10value_typeET4_jRbjT5_S1E_jjP12ihipStream_tbEUljE_ZNSN_ISO_Lb1ESQ_SR_ST_SU_SY_EESZ_S10_S11_S12_S16_S17_S18_S1B_S1C_jS1D_jS1E_S1E_jjS1G_bEUljE0_EEESZ_S10_S11_S18_S1C_S1E_T6_T7_T9_mT8_S1G_bDpT10_ENKUlT_T0_E_clISt17integral_constantIbLb0EES1U_EEDaS1P_S1Q_EUlS1P_E_NS1_11comp_targetILNS1_3genE10ELNS1_11target_archE1200ELNS1_3gpuE4ELNS1_3repE0EEENS1_30default_config_static_selectorELNS0_4arch9wavefront6targetE0EEEvS12_, .Lfunc_end1258-_ZN7rocprim17ROCPRIM_400000_NS6detail17trampoline_kernelINS0_13select_configILj256ELj13ELNS0_17block_load_methodE3ELS4_3ELS4_3ELNS0_20block_scan_algorithmE0ELj4294967295EEENS1_25partition_config_selectorILNS1_17partition_subalgoE4EjNS0_10empty_typeEbEEZZNS1_14partition_implILS8_4ELb0ES6_15HIP_vector_typeIjLj2EENS0_17counting_iteratorIjlEEPS9_SG_NS0_5tupleIJPjSI_NS0_16reverse_iteratorISI_EEEEENSH_IJSG_SG_SG_EEES9_SI_JZNS1_25segmented_radix_sort_implINS0_14default_configELb1EPKfPfPKlPlN2at6native12_GLOBAL__N_18offset_tEEE10hipError_tPvRmT1_PNSt15iterator_traitsIS12_E10value_typeET2_T3_PNS13_IS18_E10value_typeET4_jRbjT5_S1E_jjP12ihipStream_tbEUljE_ZNSN_ISO_Lb1ESQ_SR_ST_SU_SY_EESZ_S10_S11_S12_S16_S17_S18_S1B_S1C_jS1D_jS1E_S1E_jjS1G_bEUljE0_EEESZ_S10_S11_S18_S1C_S1E_T6_T7_T9_mT8_S1G_bDpT10_ENKUlT_T0_E_clISt17integral_constantIbLb0EES1U_EEDaS1P_S1Q_EUlS1P_E_NS1_11comp_targetILNS1_3genE10ELNS1_11target_archE1200ELNS1_3gpuE4ELNS1_3repE0EEENS1_30default_config_static_selectorELNS0_4arch9wavefront6targetE0EEEvS12_
                                        ; -- End function
	.set _ZN7rocprim17ROCPRIM_400000_NS6detail17trampoline_kernelINS0_13select_configILj256ELj13ELNS0_17block_load_methodE3ELS4_3ELS4_3ELNS0_20block_scan_algorithmE0ELj4294967295EEENS1_25partition_config_selectorILNS1_17partition_subalgoE4EjNS0_10empty_typeEbEEZZNS1_14partition_implILS8_4ELb0ES6_15HIP_vector_typeIjLj2EENS0_17counting_iteratorIjlEEPS9_SG_NS0_5tupleIJPjSI_NS0_16reverse_iteratorISI_EEEEENSH_IJSG_SG_SG_EEES9_SI_JZNS1_25segmented_radix_sort_implINS0_14default_configELb1EPKfPfPKlPlN2at6native12_GLOBAL__N_18offset_tEEE10hipError_tPvRmT1_PNSt15iterator_traitsIS12_E10value_typeET2_T3_PNS13_IS18_E10value_typeET4_jRbjT5_S1E_jjP12ihipStream_tbEUljE_ZNSN_ISO_Lb1ESQ_SR_ST_SU_SY_EESZ_S10_S11_S12_S16_S17_S18_S1B_S1C_jS1D_jS1E_S1E_jjS1G_bEUljE0_EEESZ_S10_S11_S18_S1C_S1E_T6_T7_T9_mT8_S1G_bDpT10_ENKUlT_T0_E_clISt17integral_constantIbLb0EES1U_EEDaS1P_S1Q_EUlS1P_E_NS1_11comp_targetILNS1_3genE10ELNS1_11target_archE1200ELNS1_3gpuE4ELNS1_3repE0EEENS1_30default_config_static_selectorELNS0_4arch9wavefront6targetE0EEEvS12_.num_vgpr, 0
	.set _ZN7rocprim17ROCPRIM_400000_NS6detail17trampoline_kernelINS0_13select_configILj256ELj13ELNS0_17block_load_methodE3ELS4_3ELS4_3ELNS0_20block_scan_algorithmE0ELj4294967295EEENS1_25partition_config_selectorILNS1_17partition_subalgoE4EjNS0_10empty_typeEbEEZZNS1_14partition_implILS8_4ELb0ES6_15HIP_vector_typeIjLj2EENS0_17counting_iteratorIjlEEPS9_SG_NS0_5tupleIJPjSI_NS0_16reverse_iteratorISI_EEEEENSH_IJSG_SG_SG_EEES9_SI_JZNS1_25segmented_radix_sort_implINS0_14default_configELb1EPKfPfPKlPlN2at6native12_GLOBAL__N_18offset_tEEE10hipError_tPvRmT1_PNSt15iterator_traitsIS12_E10value_typeET2_T3_PNS13_IS18_E10value_typeET4_jRbjT5_S1E_jjP12ihipStream_tbEUljE_ZNSN_ISO_Lb1ESQ_SR_ST_SU_SY_EESZ_S10_S11_S12_S16_S17_S18_S1B_S1C_jS1D_jS1E_S1E_jjS1G_bEUljE0_EEESZ_S10_S11_S18_S1C_S1E_T6_T7_T9_mT8_S1G_bDpT10_ENKUlT_T0_E_clISt17integral_constantIbLb0EES1U_EEDaS1P_S1Q_EUlS1P_E_NS1_11comp_targetILNS1_3genE10ELNS1_11target_archE1200ELNS1_3gpuE4ELNS1_3repE0EEENS1_30default_config_static_selectorELNS0_4arch9wavefront6targetE0EEEvS12_.num_agpr, 0
	.set _ZN7rocprim17ROCPRIM_400000_NS6detail17trampoline_kernelINS0_13select_configILj256ELj13ELNS0_17block_load_methodE3ELS4_3ELS4_3ELNS0_20block_scan_algorithmE0ELj4294967295EEENS1_25partition_config_selectorILNS1_17partition_subalgoE4EjNS0_10empty_typeEbEEZZNS1_14partition_implILS8_4ELb0ES6_15HIP_vector_typeIjLj2EENS0_17counting_iteratorIjlEEPS9_SG_NS0_5tupleIJPjSI_NS0_16reverse_iteratorISI_EEEEENSH_IJSG_SG_SG_EEES9_SI_JZNS1_25segmented_radix_sort_implINS0_14default_configELb1EPKfPfPKlPlN2at6native12_GLOBAL__N_18offset_tEEE10hipError_tPvRmT1_PNSt15iterator_traitsIS12_E10value_typeET2_T3_PNS13_IS18_E10value_typeET4_jRbjT5_S1E_jjP12ihipStream_tbEUljE_ZNSN_ISO_Lb1ESQ_SR_ST_SU_SY_EESZ_S10_S11_S12_S16_S17_S18_S1B_S1C_jS1D_jS1E_S1E_jjS1G_bEUljE0_EEESZ_S10_S11_S18_S1C_S1E_T6_T7_T9_mT8_S1G_bDpT10_ENKUlT_T0_E_clISt17integral_constantIbLb0EES1U_EEDaS1P_S1Q_EUlS1P_E_NS1_11comp_targetILNS1_3genE10ELNS1_11target_archE1200ELNS1_3gpuE4ELNS1_3repE0EEENS1_30default_config_static_selectorELNS0_4arch9wavefront6targetE0EEEvS12_.numbered_sgpr, 0
	.set _ZN7rocprim17ROCPRIM_400000_NS6detail17trampoline_kernelINS0_13select_configILj256ELj13ELNS0_17block_load_methodE3ELS4_3ELS4_3ELNS0_20block_scan_algorithmE0ELj4294967295EEENS1_25partition_config_selectorILNS1_17partition_subalgoE4EjNS0_10empty_typeEbEEZZNS1_14partition_implILS8_4ELb0ES6_15HIP_vector_typeIjLj2EENS0_17counting_iteratorIjlEEPS9_SG_NS0_5tupleIJPjSI_NS0_16reverse_iteratorISI_EEEEENSH_IJSG_SG_SG_EEES9_SI_JZNS1_25segmented_radix_sort_implINS0_14default_configELb1EPKfPfPKlPlN2at6native12_GLOBAL__N_18offset_tEEE10hipError_tPvRmT1_PNSt15iterator_traitsIS12_E10value_typeET2_T3_PNS13_IS18_E10value_typeET4_jRbjT5_S1E_jjP12ihipStream_tbEUljE_ZNSN_ISO_Lb1ESQ_SR_ST_SU_SY_EESZ_S10_S11_S12_S16_S17_S18_S1B_S1C_jS1D_jS1E_S1E_jjS1G_bEUljE0_EEESZ_S10_S11_S18_S1C_S1E_T6_T7_T9_mT8_S1G_bDpT10_ENKUlT_T0_E_clISt17integral_constantIbLb0EES1U_EEDaS1P_S1Q_EUlS1P_E_NS1_11comp_targetILNS1_3genE10ELNS1_11target_archE1200ELNS1_3gpuE4ELNS1_3repE0EEENS1_30default_config_static_selectorELNS0_4arch9wavefront6targetE0EEEvS12_.num_named_barrier, 0
	.set _ZN7rocprim17ROCPRIM_400000_NS6detail17trampoline_kernelINS0_13select_configILj256ELj13ELNS0_17block_load_methodE3ELS4_3ELS4_3ELNS0_20block_scan_algorithmE0ELj4294967295EEENS1_25partition_config_selectorILNS1_17partition_subalgoE4EjNS0_10empty_typeEbEEZZNS1_14partition_implILS8_4ELb0ES6_15HIP_vector_typeIjLj2EENS0_17counting_iteratorIjlEEPS9_SG_NS0_5tupleIJPjSI_NS0_16reverse_iteratorISI_EEEEENSH_IJSG_SG_SG_EEES9_SI_JZNS1_25segmented_radix_sort_implINS0_14default_configELb1EPKfPfPKlPlN2at6native12_GLOBAL__N_18offset_tEEE10hipError_tPvRmT1_PNSt15iterator_traitsIS12_E10value_typeET2_T3_PNS13_IS18_E10value_typeET4_jRbjT5_S1E_jjP12ihipStream_tbEUljE_ZNSN_ISO_Lb1ESQ_SR_ST_SU_SY_EESZ_S10_S11_S12_S16_S17_S18_S1B_S1C_jS1D_jS1E_S1E_jjS1G_bEUljE0_EEESZ_S10_S11_S18_S1C_S1E_T6_T7_T9_mT8_S1G_bDpT10_ENKUlT_T0_E_clISt17integral_constantIbLb0EES1U_EEDaS1P_S1Q_EUlS1P_E_NS1_11comp_targetILNS1_3genE10ELNS1_11target_archE1200ELNS1_3gpuE4ELNS1_3repE0EEENS1_30default_config_static_selectorELNS0_4arch9wavefront6targetE0EEEvS12_.private_seg_size, 0
	.set _ZN7rocprim17ROCPRIM_400000_NS6detail17trampoline_kernelINS0_13select_configILj256ELj13ELNS0_17block_load_methodE3ELS4_3ELS4_3ELNS0_20block_scan_algorithmE0ELj4294967295EEENS1_25partition_config_selectorILNS1_17partition_subalgoE4EjNS0_10empty_typeEbEEZZNS1_14partition_implILS8_4ELb0ES6_15HIP_vector_typeIjLj2EENS0_17counting_iteratorIjlEEPS9_SG_NS0_5tupleIJPjSI_NS0_16reverse_iteratorISI_EEEEENSH_IJSG_SG_SG_EEES9_SI_JZNS1_25segmented_radix_sort_implINS0_14default_configELb1EPKfPfPKlPlN2at6native12_GLOBAL__N_18offset_tEEE10hipError_tPvRmT1_PNSt15iterator_traitsIS12_E10value_typeET2_T3_PNS13_IS18_E10value_typeET4_jRbjT5_S1E_jjP12ihipStream_tbEUljE_ZNSN_ISO_Lb1ESQ_SR_ST_SU_SY_EESZ_S10_S11_S12_S16_S17_S18_S1B_S1C_jS1D_jS1E_S1E_jjS1G_bEUljE0_EEESZ_S10_S11_S18_S1C_S1E_T6_T7_T9_mT8_S1G_bDpT10_ENKUlT_T0_E_clISt17integral_constantIbLb0EES1U_EEDaS1P_S1Q_EUlS1P_E_NS1_11comp_targetILNS1_3genE10ELNS1_11target_archE1200ELNS1_3gpuE4ELNS1_3repE0EEENS1_30default_config_static_selectorELNS0_4arch9wavefront6targetE0EEEvS12_.uses_vcc, 0
	.set _ZN7rocprim17ROCPRIM_400000_NS6detail17trampoline_kernelINS0_13select_configILj256ELj13ELNS0_17block_load_methodE3ELS4_3ELS4_3ELNS0_20block_scan_algorithmE0ELj4294967295EEENS1_25partition_config_selectorILNS1_17partition_subalgoE4EjNS0_10empty_typeEbEEZZNS1_14partition_implILS8_4ELb0ES6_15HIP_vector_typeIjLj2EENS0_17counting_iteratorIjlEEPS9_SG_NS0_5tupleIJPjSI_NS0_16reverse_iteratorISI_EEEEENSH_IJSG_SG_SG_EEES9_SI_JZNS1_25segmented_radix_sort_implINS0_14default_configELb1EPKfPfPKlPlN2at6native12_GLOBAL__N_18offset_tEEE10hipError_tPvRmT1_PNSt15iterator_traitsIS12_E10value_typeET2_T3_PNS13_IS18_E10value_typeET4_jRbjT5_S1E_jjP12ihipStream_tbEUljE_ZNSN_ISO_Lb1ESQ_SR_ST_SU_SY_EESZ_S10_S11_S12_S16_S17_S18_S1B_S1C_jS1D_jS1E_S1E_jjS1G_bEUljE0_EEESZ_S10_S11_S18_S1C_S1E_T6_T7_T9_mT8_S1G_bDpT10_ENKUlT_T0_E_clISt17integral_constantIbLb0EES1U_EEDaS1P_S1Q_EUlS1P_E_NS1_11comp_targetILNS1_3genE10ELNS1_11target_archE1200ELNS1_3gpuE4ELNS1_3repE0EEENS1_30default_config_static_selectorELNS0_4arch9wavefront6targetE0EEEvS12_.uses_flat_scratch, 0
	.set _ZN7rocprim17ROCPRIM_400000_NS6detail17trampoline_kernelINS0_13select_configILj256ELj13ELNS0_17block_load_methodE3ELS4_3ELS4_3ELNS0_20block_scan_algorithmE0ELj4294967295EEENS1_25partition_config_selectorILNS1_17partition_subalgoE4EjNS0_10empty_typeEbEEZZNS1_14partition_implILS8_4ELb0ES6_15HIP_vector_typeIjLj2EENS0_17counting_iteratorIjlEEPS9_SG_NS0_5tupleIJPjSI_NS0_16reverse_iteratorISI_EEEEENSH_IJSG_SG_SG_EEES9_SI_JZNS1_25segmented_radix_sort_implINS0_14default_configELb1EPKfPfPKlPlN2at6native12_GLOBAL__N_18offset_tEEE10hipError_tPvRmT1_PNSt15iterator_traitsIS12_E10value_typeET2_T3_PNS13_IS18_E10value_typeET4_jRbjT5_S1E_jjP12ihipStream_tbEUljE_ZNSN_ISO_Lb1ESQ_SR_ST_SU_SY_EESZ_S10_S11_S12_S16_S17_S18_S1B_S1C_jS1D_jS1E_S1E_jjS1G_bEUljE0_EEESZ_S10_S11_S18_S1C_S1E_T6_T7_T9_mT8_S1G_bDpT10_ENKUlT_T0_E_clISt17integral_constantIbLb0EES1U_EEDaS1P_S1Q_EUlS1P_E_NS1_11comp_targetILNS1_3genE10ELNS1_11target_archE1200ELNS1_3gpuE4ELNS1_3repE0EEENS1_30default_config_static_selectorELNS0_4arch9wavefront6targetE0EEEvS12_.has_dyn_sized_stack, 0
	.set _ZN7rocprim17ROCPRIM_400000_NS6detail17trampoline_kernelINS0_13select_configILj256ELj13ELNS0_17block_load_methodE3ELS4_3ELS4_3ELNS0_20block_scan_algorithmE0ELj4294967295EEENS1_25partition_config_selectorILNS1_17partition_subalgoE4EjNS0_10empty_typeEbEEZZNS1_14partition_implILS8_4ELb0ES6_15HIP_vector_typeIjLj2EENS0_17counting_iteratorIjlEEPS9_SG_NS0_5tupleIJPjSI_NS0_16reverse_iteratorISI_EEEEENSH_IJSG_SG_SG_EEES9_SI_JZNS1_25segmented_radix_sort_implINS0_14default_configELb1EPKfPfPKlPlN2at6native12_GLOBAL__N_18offset_tEEE10hipError_tPvRmT1_PNSt15iterator_traitsIS12_E10value_typeET2_T3_PNS13_IS18_E10value_typeET4_jRbjT5_S1E_jjP12ihipStream_tbEUljE_ZNSN_ISO_Lb1ESQ_SR_ST_SU_SY_EESZ_S10_S11_S12_S16_S17_S18_S1B_S1C_jS1D_jS1E_S1E_jjS1G_bEUljE0_EEESZ_S10_S11_S18_S1C_S1E_T6_T7_T9_mT8_S1G_bDpT10_ENKUlT_T0_E_clISt17integral_constantIbLb0EES1U_EEDaS1P_S1Q_EUlS1P_E_NS1_11comp_targetILNS1_3genE10ELNS1_11target_archE1200ELNS1_3gpuE4ELNS1_3repE0EEENS1_30default_config_static_selectorELNS0_4arch9wavefront6targetE0EEEvS12_.has_recursion, 0
	.set _ZN7rocprim17ROCPRIM_400000_NS6detail17trampoline_kernelINS0_13select_configILj256ELj13ELNS0_17block_load_methodE3ELS4_3ELS4_3ELNS0_20block_scan_algorithmE0ELj4294967295EEENS1_25partition_config_selectorILNS1_17partition_subalgoE4EjNS0_10empty_typeEbEEZZNS1_14partition_implILS8_4ELb0ES6_15HIP_vector_typeIjLj2EENS0_17counting_iteratorIjlEEPS9_SG_NS0_5tupleIJPjSI_NS0_16reverse_iteratorISI_EEEEENSH_IJSG_SG_SG_EEES9_SI_JZNS1_25segmented_radix_sort_implINS0_14default_configELb1EPKfPfPKlPlN2at6native12_GLOBAL__N_18offset_tEEE10hipError_tPvRmT1_PNSt15iterator_traitsIS12_E10value_typeET2_T3_PNS13_IS18_E10value_typeET4_jRbjT5_S1E_jjP12ihipStream_tbEUljE_ZNSN_ISO_Lb1ESQ_SR_ST_SU_SY_EESZ_S10_S11_S12_S16_S17_S18_S1B_S1C_jS1D_jS1E_S1E_jjS1G_bEUljE0_EEESZ_S10_S11_S18_S1C_S1E_T6_T7_T9_mT8_S1G_bDpT10_ENKUlT_T0_E_clISt17integral_constantIbLb0EES1U_EEDaS1P_S1Q_EUlS1P_E_NS1_11comp_targetILNS1_3genE10ELNS1_11target_archE1200ELNS1_3gpuE4ELNS1_3repE0EEENS1_30default_config_static_selectorELNS0_4arch9wavefront6targetE0EEEvS12_.has_indirect_call, 0
	.section	.AMDGPU.csdata,"",@progbits
; Kernel info:
; codeLenInByte = 0
; TotalNumSgprs: 0
; NumVgprs: 0
; ScratchSize: 0
; MemoryBound: 0
; FloatMode: 240
; IeeeMode: 1
; LDSByteSize: 0 bytes/workgroup (compile time only)
; SGPRBlocks: 0
; VGPRBlocks: 0
; NumSGPRsForWavesPerEU: 1
; NumVGPRsForWavesPerEU: 1
; Occupancy: 16
; WaveLimiterHint : 0
; COMPUTE_PGM_RSRC2:SCRATCH_EN: 0
; COMPUTE_PGM_RSRC2:USER_SGPR: 6
; COMPUTE_PGM_RSRC2:TRAP_HANDLER: 0
; COMPUTE_PGM_RSRC2:TGID_X_EN: 1
; COMPUTE_PGM_RSRC2:TGID_Y_EN: 0
; COMPUTE_PGM_RSRC2:TGID_Z_EN: 0
; COMPUTE_PGM_RSRC2:TIDIG_COMP_CNT: 0
	.section	.text._ZN7rocprim17ROCPRIM_400000_NS6detail17trampoline_kernelINS0_13select_configILj256ELj13ELNS0_17block_load_methodE3ELS4_3ELS4_3ELNS0_20block_scan_algorithmE0ELj4294967295EEENS1_25partition_config_selectorILNS1_17partition_subalgoE4EjNS0_10empty_typeEbEEZZNS1_14partition_implILS8_4ELb0ES6_15HIP_vector_typeIjLj2EENS0_17counting_iteratorIjlEEPS9_SG_NS0_5tupleIJPjSI_NS0_16reverse_iteratorISI_EEEEENSH_IJSG_SG_SG_EEES9_SI_JZNS1_25segmented_radix_sort_implINS0_14default_configELb1EPKfPfPKlPlN2at6native12_GLOBAL__N_18offset_tEEE10hipError_tPvRmT1_PNSt15iterator_traitsIS12_E10value_typeET2_T3_PNS13_IS18_E10value_typeET4_jRbjT5_S1E_jjP12ihipStream_tbEUljE_ZNSN_ISO_Lb1ESQ_SR_ST_SU_SY_EESZ_S10_S11_S12_S16_S17_S18_S1B_S1C_jS1D_jS1E_S1E_jjS1G_bEUljE0_EEESZ_S10_S11_S18_S1C_S1E_T6_T7_T9_mT8_S1G_bDpT10_ENKUlT_T0_E_clISt17integral_constantIbLb0EES1U_EEDaS1P_S1Q_EUlS1P_E_NS1_11comp_targetILNS1_3genE9ELNS1_11target_archE1100ELNS1_3gpuE3ELNS1_3repE0EEENS1_30default_config_static_selectorELNS0_4arch9wavefront6targetE0EEEvS12_,"axG",@progbits,_ZN7rocprim17ROCPRIM_400000_NS6detail17trampoline_kernelINS0_13select_configILj256ELj13ELNS0_17block_load_methodE3ELS4_3ELS4_3ELNS0_20block_scan_algorithmE0ELj4294967295EEENS1_25partition_config_selectorILNS1_17partition_subalgoE4EjNS0_10empty_typeEbEEZZNS1_14partition_implILS8_4ELb0ES6_15HIP_vector_typeIjLj2EENS0_17counting_iteratorIjlEEPS9_SG_NS0_5tupleIJPjSI_NS0_16reverse_iteratorISI_EEEEENSH_IJSG_SG_SG_EEES9_SI_JZNS1_25segmented_radix_sort_implINS0_14default_configELb1EPKfPfPKlPlN2at6native12_GLOBAL__N_18offset_tEEE10hipError_tPvRmT1_PNSt15iterator_traitsIS12_E10value_typeET2_T3_PNS13_IS18_E10value_typeET4_jRbjT5_S1E_jjP12ihipStream_tbEUljE_ZNSN_ISO_Lb1ESQ_SR_ST_SU_SY_EESZ_S10_S11_S12_S16_S17_S18_S1B_S1C_jS1D_jS1E_S1E_jjS1G_bEUljE0_EEESZ_S10_S11_S18_S1C_S1E_T6_T7_T9_mT8_S1G_bDpT10_ENKUlT_T0_E_clISt17integral_constantIbLb0EES1U_EEDaS1P_S1Q_EUlS1P_E_NS1_11comp_targetILNS1_3genE9ELNS1_11target_archE1100ELNS1_3gpuE3ELNS1_3repE0EEENS1_30default_config_static_selectorELNS0_4arch9wavefront6targetE0EEEvS12_,comdat
	.globl	_ZN7rocprim17ROCPRIM_400000_NS6detail17trampoline_kernelINS0_13select_configILj256ELj13ELNS0_17block_load_methodE3ELS4_3ELS4_3ELNS0_20block_scan_algorithmE0ELj4294967295EEENS1_25partition_config_selectorILNS1_17partition_subalgoE4EjNS0_10empty_typeEbEEZZNS1_14partition_implILS8_4ELb0ES6_15HIP_vector_typeIjLj2EENS0_17counting_iteratorIjlEEPS9_SG_NS0_5tupleIJPjSI_NS0_16reverse_iteratorISI_EEEEENSH_IJSG_SG_SG_EEES9_SI_JZNS1_25segmented_radix_sort_implINS0_14default_configELb1EPKfPfPKlPlN2at6native12_GLOBAL__N_18offset_tEEE10hipError_tPvRmT1_PNSt15iterator_traitsIS12_E10value_typeET2_T3_PNS13_IS18_E10value_typeET4_jRbjT5_S1E_jjP12ihipStream_tbEUljE_ZNSN_ISO_Lb1ESQ_SR_ST_SU_SY_EESZ_S10_S11_S12_S16_S17_S18_S1B_S1C_jS1D_jS1E_S1E_jjS1G_bEUljE0_EEESZ_S10_S11_S18_S1C_S1E_T6_T7_T9_mT8_S1G_bDpT10_ENKUlT_T0_E_clISt17integral_constantIbLb0EES1U_EEDaS1P_S1Q_EUlS1P_E_NS1_11comp_targetILNS1_3genE9ELNS1_11target_archE1100ELNS1_3gpuE3ELNS1_3repE0EEENS1_30default_config_static_selectorELNS0_4arch9wavefront6targetE0EEEvS12_ ; -- Begin function _ZN7rocprim17ROCPRIM_400000_NS6detail17trampoline_kernelINS0_13select_configILj256ELj13ELNS0_17block_load_methodE3ELS4_3ELS4_3ELNS0_20block_scan_algorithmE0ELj4294967295EEENS1_25partition_config_selectorILNS1_17partition_subalgoE4EjNS0_10empty_typeEbEEZZNS1_14partition_implILS8_4ELb0ES6_15HIP_vector_typeIjLj2EENS0_17counting_iteratorIjlEEPS9_SG_NS0_5tupleIJPjSI_NS0_16reverse_iteratorISI_EEEEENSH_IJSG_SG_SG_EEES9_SI_JZNS1_25segmented_radix_sort_implINS0_14default_configELb1EPKfPfPKlPlN2at6native12_GLOBAL__N_18offset_tEEE10hipError_tPvRmT1_PNSt15iterator_traitsIS12_E10value_typeET2_T3_PNS13_IS18_E10value_typeET4_jRbjT5_S1E_jjP12ihipStream_tbEUljE_ZNSN_ISO_Lb1ESQ_SR_ST_SU_SY_EESZ_S10_S11_S12_S16_S17_S18_S1B_S1C_jS1D_jS1E_S1E_jjS1G_bEUljE0_EEESZ_S10_S11_S18_S1C_S1E_T6_T7_T9_mT8_S1G_bDpT10_ENKUlT_T0_E_clISt17integral_constantIbLb0EES1U_EEDaS1P_S1Q_EUlS1P_E_NS1_11comp_targetILNS1_3genE9ELNS1_11target_archE1100ELNS1_3gpuE3ELNS1_3repE0EEENS1_30default_config_static_selectorELNS0_4arch9wavefront6targetE0EEEvS12_
	.p2align	8
	.type	_ZN7rocprim17ROCPRIM_400000_NS6detail17trampoline_kernelINS0_13select_configILj256ELj13ELNS0_17block_load_methodE3ELS4_3ELS4_3ELNS0_20block_scan_algorithmE0ELj4294967295EEENS1_25partition_config_selectorILNS1_17partition_subalgoE4EjNS0_10empty_typeEbEEZZNS1_14partition_implILS8_4ELb0ES6_15HIP_vector_typeIjLj2EENS0_17counting_iteratorIjlEEPS9_SG_NS0_5tupleIJPjSI_NS0_16reverse_iteratorISI_EEEEENSH_IJSG_SG_SG_EEES9_SI_JZNS1_25segmented_radix_sort_implINS0_14default_configELb1EPKfPfPKlPlN2at6native12_GLOBAL__N_18offset_tEEE10hipError_tPvRmT1_PNSt15iterator_traitsIS12_E10value_typeET2_T3_PNS13_IS18_E10value_typeET4_jRbjT5_S1E_jjP12ihipStream_tbEUljE_ZNSN_ISO_Lb1ESQ_SR_ST_SU_SY_EESZ_S10_S11_S12_S16_S17_S18_S1B_S1C_jS1D_jS1E_S1E_jjS1G_bEUljE0_EEESZ_S10_S11_S18_S1C_S1E_T6_T7_T9_mT8_S1G_bDpT10_ENKUlT_T0_E_clISt17integral_constantIbLb0EES1U_EEDaS1P_S1Q_EUlS1P_E_NS1_11comp_targetILNS1_3genE9ELNS1_11target_archE1100ELNS1_3gpuE3ELNS1_3repE0EEENS1_30default_config_static_selectorELNS0_4arch9wavefront6targetE0EEEvS12_,@function
_ZN7rocprim17ROCPRIM_400000_NS6detail17trampoline_kernelINS0_13select_configILj256ELj13ELNS0_17block_load_methodE3ELS4_3ELS4_3ELNS0_20block_scan_algorithmE0ELj4294967295EEENS1_25partition_config_selectorILNS1_17partition_subalgoE4EjNS0_10empty_typeEbEEZZNS1_14partition_implILS8_4ELb0ES6_15HIP_vector_typeIjLj2EENS0_17counting_iteratorIjlEEPS9_SG_NS0_5tupleIJPjSI_NS0_16reverse_iteratorISI_EEEEENSH_IJSG_SG_SG_EEES9_SI_JZNS1_25segmented_radix_sort_implINS0_14default_configELb1EPKfPfPKlPlN2at6native12_GLOBAL__N_18offset_tEEE10hipError_tPvRmT1_PNSt15iterator_traitsIS12_E10value_typeET2_T3_PNS13_IS18_E10value_typeET4_jRbjT5_S1E_jjP12ihipStream_tbEUljE_ZNSN_ISO_Lb1ESQ_SR_ST_SU_SY_EESZ_S10_S11_S12_S16_S17_S18_S1B_S1C_jS1D_jS1E_S1E_jjS1G_bEUljE0_EEESZ_S10_S11_S18_S1C_S1E_T6_T7_T9_mT8_S1G_bDpT10_ENKUlT_T0_E_clISt17integral_constantIbLb0EES1U_EEDaS1P_S1Q_EUlS1P_E_NS1_11comp_targetILNS1_3genE9ELNS1_11target_archE1100ELNS1_3gpuE3ELNS1_3repE0EEENS1_30default_config_static_selectorELNS0_4arch9wavefront6targetE0EEEvS12_: ; @_ZN7rocprim17ROCPRIM_400000_NS6detail17trampoline_kernelINS0_13select_configILj256ELj13ELNS0_17block_load_methodE3ELS4_3ELS4_3ELNS0_20block_scan_algorithmE0ELj4294967295EEENS1_25partition_config_selectorILNS1_17partition_subalgoE4EjNS0_10empty_typeEbEEZZNS1_14partition_implILS8_4ELb0ES6_15HIP_vector_typeIjLj2EENS0_17counting_iteratorIjlEEPS9_SG_NS0_5tupleIJPjSI_NS0_16reverse_iteratorISI_EEEEENSH_IJSG_SG_SG_EEES9_SI_JZNS1_25segmented_radix_sort_implINS0_14default_configELb1EPKfPfPKlPlN2at6native12_GLOBAL__N_18offset_tEEE10hipError_tPvRmT1_PNSt15iterator_traitsIS12_E10value_typeET2_T3_PNS13_IS18_E10value_typeET4_jRbjT5_S1E_jjP12ihipStream_tbEUljE_ZNSN_ISO_Lb1ESQ_SR_ST_SU_SY_EESZ_S10_S11_S12_S16_S17_S18_S1B_S1C_jS1D_jS1E_S1E_jjS1G_bEUljE0_EEESZ_S10_S11_S18_S1C_S1E_T6_T7_T9_mT8_S1G_bDpT10_ENKUlT_T0_E_clISt17integral_constantIbLb0EES1U_EEDaS1P_S1Q_EUlS1P_E_NS1_11comp_targetILNS1_3genE9ELNS1_11target_archE1100ELNS1_3gpuE3ELNS1_3repE0EEENS1_30default_config_static_selectorELNS0_4arch9wavefront6targetE0EEEvS12_
; %bb.0:
	.section	.rodata,"a",@progbits
	.p2align	6, 0x0
	.amdhsa_kernel _ZN7rocprim17ROCPRIM_400000_NS6detail17trampoline_kernelINS0_13select_configILj256ELj13ELNS0_17block_load_methodE3ELS4_3ELS4_3ELNS0_20block_scan_algorithmE0ELj4294967295EEENS1_25partition_config_selectorILNS1_17partition_subalgoE4EjNS0_10empty_typeEbEEZZNS1_14partition_implILS8_4ELb0ES6_15HIP_vector_typeIjLj2EENS0_17counting_iteratorIjlEEPS9_SG_NS0_5tupleIJPjSI_NS0_16reverse_iteratorISI_EEEEENSH_IJSG_SG_SG_EEES9_SI_JZNS1_25segmented_radix_sort_implINS0_14default_configELb1EPKfPfPKlPlN2at6native12_GLOBAL__N_18offset_tEEE10hipError_tPvRmT1_PNSt15iterator_traitsIS12_E10value_typeET2_T3_PNS13_IS18_E10value_typeET4_jRbjT5_S1E_jjP12ihipStream_tbEUljE_ZNSN_ISO_Lb1ESQ_SR_ST_SU_SY_EESZ_S10_S11_S12_S16_S17_S18_S1B_S1C_jS1D_jS1E_S1E_jjS1G_bEUljE0_EEESZ_S10_S11_S18_S1C_S1E_T6_T7_T9_mT8_S1G_bDpT10_ENKUlT_T0_E_clISt17integral_constantIbLb0EES1U_EEDaS1P_S1Q_EUlS1P_E_NS1_11comp_targetILNS1_3genE9ELNS1_11target_archE1100ELNS1_3gpuE3ELNS1_3repE0EEENS1_30default_config_static_selectorELNS0_4arch9wavefront6targetE0EEEvS12_
		.amdhsa_group_segment_fixed_size 0
		.amdhsa_private_segment_fixed_size 0
		.amdhsa_kernarg_size 176
		.amdhsa_user_sgpr_count 6
		.amdhsa_user_sgpr_private_segment_buffer 1
		.amdhsa_user_sgpr_dispatch_ptr 0
		.amdhsa_user_sgpr_queue_ptr 0
		.amdhsa_user_sgpr_kernarg_segment_ptr 1
		.amdhsa_user_sgpr_dispatch_id 0
		.amdhsa_user_sgpr_flat_scratch_init 0
		.amdhsa_user_sgpr_private_segment_size 0
		.amdhsa_wavefront_size32 1
		.amdhsa_uses_dynamic_stack 0
		.amdhsa_system_sgpr_private_segment_wavefront_offset 0
		.amdhsa_system_sgpr_workgroup_id_x 1
		.amdhsa_system_sgpr_workgroup_id_y 0
		.amdhsa_system_sgpr_workgroup_id_z 0
		.amdhsa_system_sgpr_workgroup_info 0
		.amdhsa_system_vgpr_workitem_id 0
		.amdhsa_next_free_vgpr 1
		.amdhsa_next_free_sgpr 1
		.amdhsa_reserve_vcc 0
		.amdhsa_reserve_flat_scratch 0
		.amdhsa_float_round_mode_32 0
		.amdhsa_float_round_mode_16_64 0
		.amdhsa_float_denorm_mode_32 3
		.amdhsa_float_denorm_mode_16_64 3
		.amdhsa_dx10_clamp 1
		.amdhsa_ieee_mode 1
		.amdhsa_fp16_overflow 0
		.amdhsa_workgroup_processor_mode 1
		.amdhsa_memory_ordered 1
		.amdhsa_forward_progress 1
		.amdhsa_shared_vgpr_count 0
		.amdhsa_exception_fp_ieee_invalid_op 0
		.amdhsa_exception_fp_denorm_src 0
		.amdhsa_exception_fp_ieee_div_zero 0
		.amdhsa_exception_fp_ieee_overflow 0
		.amdhsa_exception_fp_ieee_underflow 0
		.amdhsa_exception_fp_ieee_inexact 0
		.amdhsa_exception_int_div_zero 0
	.end_amdhsa_kernel
	.section	.text._ZN7rocprim17ROCPRIM_400000_NS6detail17trampoline_kernelINS0_13select_configILj256ELj13ELNS0_17block_load_methodE3ELS4_3ELS4_3ELNS0_20block_scan_algorithmE0ELj4294967295EEENS1_25partition_config_selectorILNS1_17partition_subalgoE4EjNS0_10empty_typeEbEEZZNS1_14partition_implILS8_4ELb0ES6_15HIP_vector_typeIjLj2EENS0_17counting_iteratorIjlEEPS9_SG_NS0_5tupleIJPjSI_NS0_16reverse_iteratorISI_EEEEENSH_IJSG_SG_SG_EEES9_SI_JZNS1_25segmented_radix_sort_implINS0_14default_configELb1EPKfPfPKlPlN2at6native12_GLOBAL__N_18offset_tEEE10hipError_tPvRmT1_PNSt15iterator_traitsIS12_E10value_typeET2_T3_PNS13_IS18_E10value_typeET4_jRbjT5_S1E_jjP12ihipStream_tbEUljE_ZNSN_ISO_Lb1ESQ_SR_ST_SU_SY_EESZ_S10_S11_S12_S16_S17_S18_S1B_S1C_jS1D_jS1E_S1E_jjS1G_bEUljE0_EEESZ_S10_S11_S18_S1C_S1E_T6_T7_T9_mT8_S1G_bDpT10_ENKUlT_T0_E_clISt17integral_constantIbLb0EES1U_EEDaS1P_S1Q_EUlS1P_E_NS1_11comp_targetILNS1_3genE9ELNS1_11target_archE1100ELNS1_3gpuE3ELNS1_3repE0EEENS1_30default_config_static_selectorELNS0_4arch9wavefront6targetE0EEEvS12_,"axG",@progbits,_ZN7rocprim17ROCPRIM_400000_NS6detail17trampoline_kernelINS0_13select_configILj256ELj13ELNS0_17block_load_methodE3ELS4_3ELS4_3ELNS0_20block_scan_algorithmE0ELj4294967295EEENS1_25partition_config_selectorILNS1_17partition_subalgoE4EjNS0_10empty_typeEbEEZZNS1_14partition_implILS8_4ELb0ES6_15HIP_vector_typeIjLj2EENS0_17counting_iteratorIjlEEPS9_SG_NS0_5tupleIJPjSI_NS0_16reverse_iteratorISI_EEEEENSH_IJSG_SG_SG_EEES9_SI_JZNS1_25segmented_radix_sort_implINS0_14default_configELb1EPKfPfPKlPlN2at6native12_GLOBAL__N_18offset_tEEE10hipError_tPvRmT1_PNSt15iterator_traitsIS12_E10value_typeET2_T3_PNS13_IS18_E10value_typeET4_jRbjT5_S1E_jjP12ihipStream_tbEUljE_ZNSN_ISO_Lb1ESQ_SR_ST_SU_SY_EESZ_S10_S11_S12_S16_S17_S18_S1B_S1C_jS1D_jS1E_S1E_jjS1G_bEUljE0_EEESZ_S10_S11_S18_S1C_S1E_T6_T7_T9_mT8_S1G_bDpT10_ENKUlT_T0_E_clISt17integral_constantIbLb0EES1U_EEDaS1P_S1Q_EUlS1P_E_NS1_11comp_targetILNS1_3genE9ELNS1_11target_archE1100ELNS1_3gpuE3ELNS1_3repE0EEENS1_30default_config_static_selectorELNS0_4arch9wavefront6targetE0EEEvS12_,comdat
.Lfunc_end1259:
	.size	_ZN7rocprim17ROCPRIM_400000_NS6detail17trampoline_kernelINS0_13select_configILj256ELj13ELNS0_17block_load_methodE3ELS4_3ELS4_3ELNS0_20block_scan_algorithmE0ELj4294967295EEENS1_25partition_config_selectorILNS1_17partition_subalgoE4EjNS0_10empty_typeEbEEZZNS1_14partition_implILS8_4ELb0ES6_15HIP_vector_typeIjLj2EENS0_17counting_iteratorIjlEEPS9_SG_NS0_5tupleIJPjSI_NS0_16reverse_iteratorISI_EEEEENSH_IJSG_SG_SG_EEES9_SI_JZNS1_25segmented_radix_sort_implINS0_14default_configELb1EPKfPfPKlPlN2at6native12_GLOBAL__N_18offset_tEEE10hipError_tPvRmT1_PNSt15iterator_traitsIS12_E10value_typeET2_T3_PNS13_IS18_E10value_typeET4_jRbjT5_S1E_jjP12ihipStream_tbEUljE_ZNSN_ISO_Lb1ESQ_SR_ST_SU_SY_EESZ_S10_S11_S12_S16_S17_S18_S1B_S1C_jS1D_jS1E_S1E_jjS1G_bEUljE0_EEESZ_S10_S11_S18_S1C_S1E_T6_T7_T9_mT8_S1G_bDpT10_ENKUlT_T0_E_clISt17integral_constantIbLb0EES1U_EEDaS1P_S1Q_EUlS1P_E_NS1_11comp_targetILNS1_3genE9ELNS1_11target_archE1100ELNS1_3gpuE3ELNS1_3repE0EEENS1_30default_config_static_selectorELNS0_4arch9wavefront6targetE0EEEvS12_, .Lfunc_end1259-_ZN7rocprim17ROCPRIM_400000_NS6detail17trampoline_kernelINS0_13select_configILj256ELj13ELNS0_17block_load_methodE3ELS4_3ELS4_3ELNS0_20block_scan_algorithmE0ELj4294967295EEENS1_25partition_config_selectorILNS1_17partition_subalgoE4EjNS0_10empty_typeEbEEZZNS1_14partition_implILS8_4ELb0ES6_15HIP_vector_typeIjLj2EENS0_17counting_iteratorIjlEEPS9_SG_NS0_5tupleIJPjSI_NS0_16reverse_iteratorISI_EEEEENSH_IJSG_SG_SG_EEES9_SI_JZNS1_25segmented_radix_sort_implINS0_14default_configELb1EPKfPfPKlPlN2at6native12_GLOBAL__N_18offset_tEEE10hipError_tPvRmT1_PNSt15iterator_traitsIS12_E10value_typeET2_T3_PNS13_IS18_E10value_typeET4_jRbjT5_S1E_jjP12ihipStream_tbEUljE_ZNSN_ISO_Lb1ESQ_SR_ST_SU_SY_EESZ_S10_S11_S12_S16_S17_S18_S1B_S1C_jS1D_jS1E_S1E_jjS1G_bEUljE0_EEESZ_S10_S11_S18_S1C_S1E_T6_T7_T9_mT8_S1G_bDpT10_ENKUlT_T0_E_clISt17integral_constantIbLb0EES1U_EEDaS1P_S1Q_EUlS1P_E_NS1_11comp_targetILNS1_3genE9ELNS1_11target_archE1100ELNS1_3gpuE3ELNS1_3repE0EEENS1_30default_config_static_selectorELNS0_4arch9wavefront6targetE0EEEvS12_
                                        ; -- End function
	.set _ZN7rocprim17ROCPRIM_400000_NS6detail17trampoline_kernelINS0_13select_configILj256ELj13ELNS0_17block_load_methodE3ELS4_3ELS4_3ELNS0_20block_scan_algorithmE0ELj4294967295EEENS1_25partition_config_selectorILNS1_17partition_subalgoE4EjNS0_10empty_typeEbEEZZNS1_14partition_implILS8_4ELb0ES6_15HIP_vector_typeIjLj2EENS0_17counting_iteratorIjlEEPS9_SG_NS0_5tupleIJPjSI_NS0_16reverse_iteratorISI_EEEEENSH_IJSG_SG_SG_EEES9_SI_JZNS1_25segmented_radix_sort_implINS0_14default_configELb1EPKfPfPKlPlN2at6native12_GLOBAL__N_18offset_tEEE10hipError_tPvRmT1_PNSt15iterator_traitsIS12_E10value_typeET2_T3_PNS13_IS18_E10value_typeET4_jRbjT5_S1E_jjP12ihipStream_tbEUljE_ZNSN_ISO_Lb1ESQ_SR_ST_SU_SY_EESZ_S10_S11_S12_S16_S17_S18_S1B_S1C_jS1D_jS1E_S1E_jjS1G_bEUljE0_EEESZ_S10_S11_S18_S1C_S1E_T6_T7_T9_mT8_S1G_bDpT10_ENKUlT_T0_E_clISt17integral_constantIbLb0EES1U_EEDaS1P_S1Q_EUlS1P_E_NS1_11comp_targetILNS1_3genE9ELNS1_11target_archE1100ELNS1_3gpuE3ELNS1_3repE0EEENS1_30default_config_static_selectorELNS0_4arch9wavefront6targetE0EEEvS12_.num_vgpr, 0
	.set _ZN7rocprim17ROCPRIM_400000_NS6detail17trampoline_kernelINS0_13select_configILj256ELj13ELNS0_17block_load_methodE3ELS4_3ELS4_3ELNS0_20block_scan_algorithmE0ELj4294967295EEENS1_25partition_config_selectorILNS1_17partition_subalgoE4EjNS0_10empty_typeEbEEZZNS1_14partition_implILS8_4ELb0ES6_15HIP_vector_typeIjLj2EENS0_17counting_iteratorIjlEEPS9_SG_NS0_5tupleIJPjSI_NS0_16reverse_iteratorISI_EEEEENSH_IJSG_SG_SG_EEES9_SI_JZNS1_25segmented_radix_sort_implINS0_14default_configELb1EPKfPfPKlPlN2at6native12_GLOBAL__N_18offset_tEEE10hipError_tPvRmT1_PNSt15iterator_traitsIS12_E10value_typeET2_T3_PNS13_IS18_E10value_typeET4_jRbjT5_S1E_jjP12ihipStream_tbEUljE_ZNSN_ISO_Lb1ESQ_SR_ST_SU_SY_EESZ_S10_S11_S12_S16_S17_S18_S1B_S1C_jS1D_jS1E_S1E_jjS1G_bEUljE0_EEESZ_S10_S11_S18_S1C_S1E_T6_T7_T9_mT8_S1G_bDpT10_ENKUlT_T0_E_clISt17integral_constantIbLb0EES1U_EEDaS1P_S1Q_EUlS1P_E_NS1_11comp_targetILNS1_3genE9ELNS1_11target_archE1100ELNS1_3gpuE3ELNS1_3repE0EEENS1_30default_config_static_selectorELNS0_4arch9wavefront6targetE0EEEvS12_.num_agpr, 0
	.set _ZN7rocprim17ROCPRIM_400000_NS6detail17trampoline_kernelINS0_13select_configILj256ELj13ELNS0_17block_load_methodE3ELS4_3ELS4_3ELNS0_20block_scan_algorithmE0ELj4294967295EEENS1_25partition_config_selectorILNS1_17partition_subalgoE4EjNS0_10empty_typeEbEEZZNS1_14partition_implILS8_4ELb0ES6_15HIP_vector_typeIjLj2EENS0_17counting_iteratorIjlEEPS9_SG_NS0_5tupleIJPjSI_NS0_16reverse_iteratorISI_EEEEENSH_IJSG_SG_SG_EEES9_SI_JZNS1_25segmented_radix_sort_implINS0_14default_configELb1EPKfPfPKlPlN2at6native12_GLOBAL__N_18offset_tEEE10hipError_tPvRmT1_PNSt15iterator_traitsIS12_E10value_typeET2_T3_PNS13_IS18_E10value_typeET4_jRbjT5_S1E_jjP12ihipStream_tbEUljE_ZNSN_ISO_Lb1ESQ_SR_ST_SU_SY_EESZ_S10_S11_S12_S16_S17_S18_S1B_S1C_jS1D_jS1E_S1E_jjS1G_bEUljE0_EEESZ_S10_S11_S18_S1C_S1E_T6_T7_T9_mT8_S1G_bDpT10_ENKUlT_T0_E_clISt17integral_constantIbLb0EES1U_EEDaS1P_S1Q_EUlS1P_E_NS1_11comp_targetILNS1_3genE9ELNS1_11target_archE1100ELNS1_3gpuE3ELNS1_3repE0EEENS1_30default_config_static_selectorELNS0_4arch9wavefront6targetE0EEEvS12_.numbered_sgpr, 0
	.set _ZN7rocprim17ROCPRIM_400000_NS6detail17trampoline_kernelINS0_13select_configILj256ELj13ELNS0_17block_load_methodE3ELS4_3ELS4_3ELNS0_20block_scan_algorithmE0ELj4294967295EEENS1_25partition_config_selectorILNS1_17partition_subalgoE4EjNS0_10empty_typeEbEEZZNS1_14partition_implILS8_4ELb0ES6_15HIP_vector_typeIjLj2EENS0_17counting_iteratorIjlEEPS9_SG_NS0_5tupleIJPjSI_NS0_16reverse_iteratorISI_EEEEENSH_IJSG_SG_SG_EEES9_SI_JZNS1_25segmented_radix_sort_implINS0_14default_configELb1EPKfPfPKlPlN2at6native12_GLOBAL__N_18offset_tEEE10hipError_tPvRmT1_PNSt15iterator_traitsIS12_E10value_typeET2_T3_PNS13_IS18_E10value_typeET4_jRbjT5_S1E_jjP12ihipStream_tbEUljE_ZNSN_ISO_Lb1ESQ_SR_ST_SU_SY_EESZ_S10_S11_S12_S16_S17_S18_S1B_S1C_jS1D_jS1E_S1E_jjS1G_bEUljE0_EEESZ_S10_S11_S18_S1C_S1E_T6_T7_T9_mT8_S1G_bDpT10_ENKUlT_T0_E_clISt17integral_constantIbLb0EES1U_EEDaS1P_S1Q_EUlS1P_E_NS1_11comp_targetILNS1_3genE9ELNS1_11target_archE1100ELNS1_3gpuE3ELNS1_3repE0EEENS1_30default_config_static_selectorELNS0_4arch9wavefront6targetE0EEEvS12_.num_named_barrier, 0
	.set _ZN7rocprim17ROCPRIM_400000_NS6detail17trampoline_kernelINS0_13select_configILj256ELj13ELNS0_17block_load_methodE3ELS4_3ELS4_3ELNS0_20block_scan_algorithmE0ELj4294967295EEENS1_25partition_config_selectorILNS1_17partition_subalgoE4EjNS0_10empty_typeEbEEZZNS1_14partition_implILS8_4ELb0ES6_15HIP_vector_typeIjLj2EENS0_17counting_iteratorIjlEEPS9_SG_NS0_5tupleIJPjSI_NS0_16reverse_iteratorISI_EEEEENSH_IJSG_SG_SG_EEES9_SI_JZNS1_25segmented_radix_sort_implINS0_14default_configELb1EPKfPfPKlPlN2at6native12_GLOBAL__N_18offset_tEEE10hipError_tPvRmT1_PNSt15iterator_traitsIS12_E10value_typeET2_T3_PNS13_IS18_E10value_typeET4_jRbjT5_S1E_jjP12ihipStream_tbEUljE_ZNSN_ISO_Lb1ESQ_SR_ST_SU_SY_EESZ_S10_S11_S12_S16_S17_S18_S1B_S1C_jS1D_jS1E_S1E_jjS1G_bEUljE0_EEESZ_S10_S11_S18_S1C_S1E_T6_T7_T9_mT8_S1G_bDpT10_ENKUlT_T0_E_clISt17integral_constantIbLb0EES1U_EEDaS1P_S1Q_EUlS1P_E_NS1_11comp_targetILNS1_3genE9ELNS1_11target_archE1100ELNS1_3gpuE3ELNS1_3repE0EEENS1_30default_config_static_selectorELNS0_4arch9wavefront6targetE0EEEvS12_.private_seg_size, 0
	.set _ZN7rocprim17ROCPRIM_400000_NS6detail17trampoline_kernelINS0_13select_configILj256ELj13ELNS0_17block_load_methodE3ELS4_3ELS4_3ELNS0_20block_scan_algorithmE0ELj4294967295EEENS1_25partition_config_selectorILNS1_17partition_subalgoE4EjNS0_10empty_typeEbEEZZNS1_14partition_implILS8_4ELb0ES6_15HIP_vector_typeIjLj2EENS0_17counting_iteratorIjlEEPS9_SG_NS0_5tupleIJPjSI_NS0_16reverse_iteratorISI_EEEEENSH_IJSG_SG_SG_EEES9_SI_JZNS1_25segmented_radix_sort_implINS0_14default_configELb1EPKfPfPKlPlN2at6native12_GLOBAL__N_18offset_tEEE10hipError_tPvRmT1_PNSt15iterator_traitsIS12_E10value_typeET2_T3_PNS13_IS18_E10value_typeET4_jRbjT5_S1E_jjP12ihipStream_tbEUljE_ZNSN_ISO_Lb1ESQ_SR_ST_SU_SY_EESZ_S10_S11_S12_S16_S17_S18_S1B_S1C_jS1D_jS1E_S1E_jjS1G_bEUljE0_EEESZ_S10_S11_S18_S1C_S1E_T6_T7_T9_mT8_S1G_bDpT10_ENKUlT_T0_E_clISt17integral_constantIbLb0EES1U_EEDaS1P_S1Q_EUlS1P_E_NS1_11comp_targetILNS1_3genE9ELNS1_11target_archE1100ELNS1_3gpuE3ELNS1_3repE0EEENS1_30default_config_static_selectorELNS0_4arch9wavefront6targetE0EEEvS12_.uses_vcc, 0
	.set _ZN7rocprim17ROCPRIM_400000_NS6detail17trampoline_kernelINS0_13select_configILj256ELj13ELNS0_17block_load_methodE3ELS4_3ELS4_3ELNS0_20block_scan_algorithmE0ELj4294967295EEENS1_25partition_config_selectorILNS1_17partition_subalgoE4EjNS0_10empty_typeEbEEZZNS1_14partition_implILS8_4ELb0ES6_15HIP_vector_typeIjLj2EENS0_17counting_iteratorIjlEEPS9_SG_NS0_5tupleIJPjSI_NS0_16reverse_iteratorISI_EEEEENSH_IJSG_SG_SG_EEES9_SI_JZNS1_25segmented_radix_sort_implINS0_14default_configELb1EPKfPfPKlPlN2at6native12_GLOBAL__N_18offset_tEEE10hipError_tPvRmT1_PNSt15iterator_traitsIS12_E10value_typeET2_T3_PNS13_IS18_E10value_typeET4_jRbjT5_S1E_jjP12ihipStream_tbEUljE_ZNSN_ISO_Lb1ESQ_SR_ST_SU_SY_EESZ_S10_S11_S12_S16_S17_S18_S1B_S1C_jS1D_jS1E_S1E_jjS1G_bEUljE0_EEESZ_S10_S11_S18_S1C_S1E_T6_T7_T9_mT8_S1G_bDpT10_ENKUlT_T0_E_clISt17integral_constantIbLb0EES1U_EEDaS1P_S1Q_EUlS1P_E_NS1_11comp_targetILNS1_3genE9ELNS1_11target_archE1100ELNS1_3gpuE3ELNS1_3repE0EEENS1_30default_config_static_selectorELNS0_4arch9wavefront6targetE0EEEvS12_.uses_flat_scratch, 0
	.set _ZN7rocprim17ROCPRIM_400000_NS6detail17trampoline_kernelINS0_13select_configILj256ELj13ELNS0_17block_load_methodE3ELS4_3ELS4_3ELNS0_20block_scan_algorithmE0ELj4294967295EEENS1_25partition_config_selectorILNS1_17partition_subalgoE4EjNS0_10empty_typeEbEEZZNS1_14partition_implILS8_4ELb0ES6_15HIP_vector_typeIjLj2EENS0_17counting_iteratorIjlEEPS9_SG_NS0_5tupleIJPjSI_NS0_16reverse_iteratorISI_EEEEENSH_IJSG_SG_SG_EEES9_SI_JZNS1_25segmented_radix_sort_implINS0_14default_configELb1EPKfPfPKlPlN2at6native12_GLOBAL__N_18offset_tEEE10hipError_tPvRmT1_PNSt15iterator_traitsIS12_E10value_typeET2_T3_PNS13_IS18_E10value_typeET4_jRbjT5_S1E_jjP12ihipStream_tbEUljE_ZNSN_ISO_Lb1ESQ_SR_ST_SU_SY_EESZ_S10_S11_S12_S16_S17_S18_S1B_S1C_jS1D_jS1E_S1E_jjS1G_bEUljE0_EEESZ_S10_S11_S18_S1C_S1E_T6_T7_T9_mT8_S1G_bDpT10_ENKUlT_T0_E_clISt17integral_constantIbLb0EES1U_EEDaS1P_S1Q_EUlS1P_E_NS1_11comp_targetILNS1_3genE9ELNS1_11target_archE1100ELNS1_3gpuE3ELNS1_3repE0EEENS1_30default_config_static_selectorELNS0_4arch9wavefront6targetE0EEEvS12_.has_dyn_sized_stack, 0
	.set _ZN7rocprim17ROCPRIM_400000_NS6detail17trampoline_kernelINS0_13select_configILj256ELj13ELNS0_17block_load_methodE3ELS4_3ELS4_3ELNS0_20block_scan_algorithmE0ELj4294967295EEENS1_25partition_config_selectorILNS1_17partition_subalgoE4EjNS0_10empty_typeEbEEZZNS1_14partition_implILS8_4ELb0ES6_15HIP_vector_typeIjLj2EENS0_17counting_iteratorIjlEEPS9_SG_NS0_5tupleIJPjSI_NS0_16reverse_iteratorISI_EEEEENSH_IJSG_SG_SG_EEES9_SI_JZNS1_25segmented_radix_sort_implINS0_14default_configELb1EPKfPfPKlPlN2at6native12_GLOBAL__N_18offset_tEEE10hipError_tPvRmT1_PNSt15iterator_traitsIS12_E10value_typeET2_T3_PNS13_IS18_E10value_typeET4_jRbjT5_S1E_jjP12ihipStream_tbEUljE_ZNSN_ISO_Lb1ESQ_SR_ST_SU_SY_EESZ_S10_S11_S12_S16_S17_S18_S1B_S1C_jS1D_jS1E_S1E_jjS1G_bEUljE0_EEESZ_S10_S11_S18_S1C_S1E_T6_T7_T9_mT8_S1G_bDpT10_ENKUlT_T0_E_clISt17integral_constantIbLb0EES1U_EEDaS1P_S1Q_EUlS1P_E_NS1_11comp_targetILNS1_3genE9ELNS1_11target_archE1100ELNS1_3gpuE3ELNS1_3repE0EEENS1_30default_config_static_selectorELNS0_4arch9wavefront6targetE0EEEvS12_.has_recursion, 0
	.set _ZN7rocprim17ROCPRIM_400000_NS6detail17trampoline_kernelINS0_13select_configILj256ELj13ELNS0_17block_load_methodE3ELS4_3ELS4_3ELNS0_20block_scan_algorithmE0ELj4294967295EEENS1_25partition_config_selectorILNS1_17partition_subalgoE4EjNS0_10empty_typeEbEEZZNS1_14partition_implILS8_4ELb0ES6_15HIP_vector_typeIjLj2EENS0_17counting_iteratorIjlEEPS9_SG_NS0_5tupleIJPjSI_NS0_16reverse_iteratorISI_EEEEENSH_IJSG_SG_SG_EEES9_SI_JZNS1_25segmented_radix_sort_implINS0_14default_configELb1EPKfPfPKlPlN2at6native12_GLOBAL__N_18offset_tEEE10hipError_tPvRmT1_PNSt15iterator_traitsIS12_E10value_typeET2_T3_PNS13_IS18_E10value_typeET4_jRbjT5_S1E_jjP12ihipStream_tbEUljE_ZNSN_ISO_Lb1ESQ_SR_ST_SU_SY_EESZ_S10_S11_S12_S16_S17_S18_S1B_S1C_jS1D_jS1E_S1E_jjS1G_bEUljE0_EEESZ_S10_S11_S18_S1C_S1E_T6_T7_T9_mT8_S1G_bDpT10_ENKUlT_T0_E_clISt17integral_constantIbLb0EES1U_EEDaS1P_S1Q_EUlS1P_E_NS1_11comp_targetILNS1_3genE9ELNS1_11target_archE1100ELNS1_3gpuE3ELNS1_3repE0EEENS1_30default_config_static_selectorELNS0_4arch9wavefront6targetE0EEEvS12_.has_indirect_call, 0
	.section	.AMDGPU.csdata,"",@progbits
; Kernel info:
; codeLenInByte = 0
; TotalNumSgprs: 0
; NumVgprs: 0
; ScratchSize: 0
; MemoryBound: 0
; FloatMode: 240
; IeeeMode: 1
; LDSByteSize: 0 bytes/workgroup (compile time only)
; SGPRBlocks: 0
; VGPRBlocks: 0
; NumSGPRsForWavesPerEU: 1
; NumVGPRsForWavesPerEU: 1
; Occupancy: 16
; WaveLimiterHint : 0
; COMPUTE_PGM_RSRC2:SCRATCH_EN: 0
; COMPUTE_PGM_RSRC2:USER_SGPR: 6
; COMPUTE_PGM_RSRC2:TRAP_HANDLER: 0
; COMPUTE_PGM_RSRC2:TGID_X_EN: 1
; COMPUTE_PGM_RSRC2:TGID_Y_EN: 0
; COMPUTE_PGM_RSRC2:TGID_Z_EN: 0
; COMPUTE_PGM_RSRC2:TIDIG_COMP_CNT: 0
	.section	.text._ZN7rocprim17ROCPRIM_400000_NS6detail17trampoline_kernelINS0_13select_configILj256ELj13ELNS0_17block_load_methodE3ELS4_3ELS4_3ELNS0_20block_scan_algorithmE0ELj4294967295EEENS1_25partition_config_selectorILNS1_17partition_subalgoE4EjNS0_10empty_typeEbEEZZNS1_14partition_implILS8_4ELb0ES6_15HIP_vector_typeIjLj2EENS0_17counting_iteratorIjlEEPS9_SG_NS0_5tupleIJPjSI_NS0_16reverse_iteratorISI_EEEEENSH_IJSG_SG_SG_EEES9_SI_JZNS1_25segmented_radix_sort_implINS0_14default_configELb1EPKfPfPKlPlN2at6native12_GLOBAL__N_18offset_tEEE10hipError_tPvRmT1_PNSt15iterator_traitsIS12_E10value_typeET2_T3_PNS13_IS18_E10value_typeET4_jRbjT5_S1E_jjP12ihipStream_tbEUljE_ZNSN_ISO_Lb1ESQ_SR_ST_SU_SY_EESZ_S10_S11_S12_S16_S17_S18_S1B_S1C_jS1D_jS1E_S1E_jjS1G_bEUljE0_EEESZ_S10_S11_S18_S1C_S1E_T6_T7_T9_mT8_S1G_bDpT10_ENKUlT_T0_E_clISt17integral_constantIbLb0EES1U_EEDaS1P_S1Q_EUlS1P_E_NS1_11comp_targetILNS1_3genE8ELNS1_11target_archE1030ELNS1_3gpuE2ELNS1_3repE0EEENS1_30default_config_static_selectorELNS0_4arch9wavefront6targetE0EEEvS12_,"axG",@progbits,_ZN7rocprim17ROCPRIM_400000_NS6detail17trampoline_kernelINS0_13select_configILj256ELj13ELNS0_17block_load_methodE3ELS4_3ELS4_3ELNS0_20block_scan_algorithmE0ELj4294967295EEENS1_25partition_config_selectorILNS1_17partition_subalgoE4EjNS0_10empty_typeEbEEZZNS1_14partition_implILS8_4ELb0ES6_15HIP_vector_typeIjLj2EENS0_17counting_iteratorIjlEEPS9_SG_NS0_5tupleIJPjSI_NS0_16reverse_iteratorISI_EEEEENSH_IJSG_SG_SG_EEES9_SI_JZNS1_25segmented_radix_sort_implINS0_14default_configELb1EPKfPfPKlPlN2at6native12_GLOBAL__N_18offset_tEEE10hipError_tPvRmT1_PNSt15iterator_traitsIS12_E10value_typeET2_T3_PNS13_IS18_E10value_typeET4_jRbjT5_S1E_jjP12ihipStream_tbEUljE_ZNSN_ISO_Lb1ESQ_SR_ST_SU_SY_EESZ_S10_S11_S12_S16_S17_S18_S1B_S1C_jS1D_jS1E_S1E_jjS1G_bEUljE0_EEESZ_S10_S11_S18_S1C_S1E_T6_T7_T9_mT8_S1G_bDpT10_ENKUlT_T0_E_clISt17integral_constantIbLb0EES1U_EEDaS1P_S1Q_EUlS1P_E_NS1_11comp_targetILNS1_3genE8ELNS1_11target_archE1030ELNS1_3gpuE2ELNS1_3repE0EEENS1_30default_config_static_selectorELNS0_4arch9wavefront6targetE0EEEvS12_,comdat
	.globl	_ZN7rocprim17ROCPRIM_400000_NS6detail17trampoline_kernelINS0_13select_configILj256ELj13ELNS0_17block_load_methodE3ELS4_3ELS4_3ELNS0_20block_scan_algorithmE0ELj4294967295EEENS1_25partition_config_selectorILNS1_17partition_subalgoE4EjNS0_10empty_typeEbEEZZNS1_14partition_implILS8_4ELb0ES6_15HIP_vector_typeIjLj2EENS0_17counting_iteratorIjlEEPS9_SG_NS0_5tupleIJPjSI_NS0_16reverse_iteratorISI_EEEEENSH_IJSG_SG_SG_EEES9_SI_JZNS1_25segmented_radix_sort_implINS0_14default_configELb1EPKfPfPKlPlN2at6native12_GLOBAL__N_18offset_tEEE10hipError_tPvRmT1_PNSt15iterator_traitsIS12_E10value_typeET2_T3_PNS13_IS18_E10value_typeET4_jRbjT5_S1E_jjP12ihipStream_tbEUljE_ZNSN_ISO_Lb1ESQ_SR_ST_SU_SY_EESZ_S10_S11_S12_S16_S17_S18_S1B_S1C_jS1D_jS1E_S1E_jjS1G_bEUljE0_EEESZ_S10_S11_S18_S1C_S1E_T6_T7_T9_mT8_S1G_bDpT10_ENKUlT_T0_E_clISt17integral_constantIbLb0EES1U_EEDaS1P_S1Q_EUlS1P_E_NS1_11comp_targetILNS1_3genE8ELNS1_11target_archE1030ELNS1_3gpuE2ELNS1_3repE0EEENS1_30default_config_static_selectorELNS0_4arch9wavefront6targetE0EEEvS12_ ; -- Begin function _ZN7rocprim17ROCPRIM_400000_NS6detail17trampoline_kernelINS0_13select_configILj256ELj13ELNS0_17block_load_methodE3ELS4_3ELS4_3ELNS0_20block_scan_algorithmE0ELj4294967295EEENS1_25partition_config_selectorILNS1_17partition_subalgoE4EjNS0_10empty_typeEbEEZZNS1_14partition_implILS8_4ELb0ES6_15HIP_vector_typeIjLj2EENS0_17counting_iteratorIjlEEPS9_SG_NS0_5tupleIJPjSI_NS0_16reverse_iteratorISI_EEEEENSH_IJSG_SG_SG_EEES9_SI_JZNS1_25segmented_radix_sort_implINS0_14default_configELb1EPKfPfPKlPlN2at6native12_GLOBAL__N_18offset_tEEE10hipError_tPvRmT1_PNSt15iterator_traitsIS12_E10value_typeET2_T3_PNS13_IS18_E10value_typeET4_jRbjT5_S1E_jjP12ihipStream_tbEUljE_ZNSN_ISO_Lb1ESQ_SR_ST_SU_SY_EESZ_S10_S11_S12_S16_S17_S18_S1B_S1C_jS1D_jS1E_S1E_jjS1G_bEUljE0_EEESZ_S10_S11_S18_S1C_S1E_T6_T7_T9_mT8_S1G_bDpT10_ENKUlT_T0_E_clISt17integral_constantIbLb0EES1U_EEDaS1P_S1Q_EUlS1P_E_NS1_11comp_targetILNS1_3genE8ELNS1_11target_archE1030ELNS1_3gpuE2ELNS1_3repE0EEENS1_30default_config_static_selectorELNS0_4arch9wavefront6targetE0EEEvS12_
	.p2align	8
	.type	_ZN7rocprim17ROCPRIM_400000_NS6detail17trampoline_kernelINS0_13select_configILj256ELj13ELNS0_17block_load_methodE3ELS4_3ELS4_3ELNS0_20block_scan_algorithmE0ELj4294967295EEENS1_25partition_config_selectorILNS1_17partition_subalgoE4EjNS0_10empty_typeEbEEZZNS1_14partition_implILS8_4ELb0ES6_15HIP_vector_typeIjLj2EENS0_17counting_iteratorIjlEEPS9_SG_NS0_5tupleIJPjSI_NS0_16reverse_iteratorISI_EEEEENSH_IJSG_SG_SG_EEES9_SI_JZNS1_25segmented_radix_sort_implINS0_14default_configELb1EPKfPfPKlPlN2at6native12_GLOBAL__N_18offset_tEEE10hipError_tPvRmT1_PNSt15iterator_traitsIS12_E10value_typeET2_T3_PNS13_IS18_E10value_typeET4_jRbjT5_S1E_jjP12ihipStream_tbEUljE_ZNSN_ISO_Lb1ESQ_SR_ST_SU_SY_EESZ_S10_S11_S12_S16_S17_S18_S1B_S1C_jS1D_jS1E_S1E_jjS1G_bEUljE0_EEESZ_S10_S11_S18_S1C_S1E_T6_T7_T9_mT8_S1G_bDpT10_ENKUlT_T0_E_clISt17integral_constantIbLb0EES1U_EEDaS1P_S1Q_EUlS1P_E_NS1_11comp_targetILNS1_3genE8ELNS1_11target_archE1030ELNS1_3gpuE2ELNS1_3repE0EEENS1_30default_config_static_selectorELNS0_4arch9wavefront6targetE0EEEvS12_,@function
_ZN7rocprim17ROCPRIM_400000_NS6detail17trampoline_kernelINS0_13select_configILj256ELj13ELNS0_17block_load_methodE3ELS4_3ELS4_3ELNS0_20block_scan_algorithmE0ELj4294967295EEENS1_25partition_config_selectorILNS1_17partition_subalgoE4EjNS0_10empty_typeEbEEZZNS1_14partition_implILS8_4ELb0ES6_15HIP_vector_typeIjLj2EENS0_17counting_iteratorIjlEEPS9_SG_NS0_5tupleIJPjSI_NS0_16reverse_iteratorISI_EEEEENSH_IJSG_SG_SG_EEES9_SI_JZNS1_25segmented_radix_sort_implINS0_14default_configELb1EPKfPfPKlPlN2at6native12_GLOBAL__N_18offset_tEEE10hipError_tPvRmT1_PNSt15iterator_traitsIS12_E10value_typeET2_T3_PNS13_IS18_E10value_typeET4_jRbjT5_S1E_jjP12ihipStream_tbEUljE_ZNSN_ISO_Lb1ESQ_SR_ST_SU_SY_EESZ_S10_S11_S12_S16_S17_S18_S1B_S1C_jS1D_jS1E_S1E_jjS1G_bEUljE0_EEESZ_S10_S11_S18_S1C_S1E_T6_T7_T9_mT8_S1G_bDpT10_ENKUlT_T0_E_clISt17integral_constantIbLb0EES1U_EEDaS1P_S1Q_EUlS1P_E_NS1_11comp_targetILNS1_3genE8ELNS1_11target_archE1030ELNS1_3gpuE2ELNS1_3repE0EEENS1_30default_config_static_selectorELNS0_4arch9wavefront6targetE0EEEvS12_: ; @_ZN7rocprim17ROCPRIM_400000_NS6detail17trampoline_kernelINS0_13select_configILj256ELj13ELNS0_17block_load_methodE3ELS4_3ELS4_3ELNS0_20block_scan_algorithmE0ELj4294967295EEENS1_25partition_config_selectorILNS1_17partition_subalgoE4EjNS0_10empty_typeEbEEZZNS1_14partition_implILS8_4ELb0ES6_15HIP_vector_typeIjLj2EENS0_17counting_iteratorIjlEEPS9_SG_NS0_5tupleIJPjSI_NS0_16reverse_iteratorISI_EEEEENSH_IJSG_SG_SG_EEES9_SI_JZNS1_25segmented_radix_sort_implINS0_14default_configELb1EPKfPfPKlPlN2at6native12_GLOBAL__N_18offset_tEEE10hipError_tPvRmT1_PNSt15iterator_traitsIS12_E10value_typeET2_T3_PNS13_IS18_E10value_typeET4_jRbjT5_S1E_jjP12ihipStream_tbEUljE_ZNSN_ISO_Lb1ESQ_SR_ST_SU_SY_EESZ_S10_S11_S12_S16_S17_S18_S1B_S1C_jS1D_jS1E_S1E_jjS1G_bEUljE0_EEESZ_S10_S11_S18_S1C_S1E_T6_T7_T9_mT8_S1G_bDpT10_ENKUlT_T0_E_clISt17integral_constantIbLb0EES1U_EEDaS1P_S1Q_EUlS1P_E_NS1_11comp_targetILNS1_3genE8ELNS1_11target_archE1030ELNS1_3gpuE2ELNS1_3repE0EEENS1_30default_config_static_selectorELNS0_4arch9wavefront6targetE0EEEvS12_
; %bb.0:
	s_clause 0x6
	s_load_dword s3, s[4:5], 0x80
	s_load_dwordx2 s[34:35], s[4:5], 0x10
	s_load_dwordx2 s[0:1], s[4:5], 0x68
	s_load_dword s7, s[4:5], 0x8
	s_load_dwordx4 s[24:27], s[4:5], 0x58
	s_load_dwordx2 s[40:41], s[4:5], 0xa8
	s_load_dwordx8 s[16:23], s[4:5], 0x88
	s_mul_i32 s42, s6, 0xd00
	s_waitcnt lgkmcnt(0)
	s_mul_i32 s2, s3, 0xd00
	s_add_i32 s3, s3, -1
	s_add_u32 s8, s34, s2
	s_addc_u32 s9, s35, 0
	s_load_dwordx4 s[28:31], s[26:27], 0x0
	s_cmp_eq_u32 s6, s3
	v_cmp_gt_u64_e64 s1, s[0:1], s[8:9]
	s_cselect_b32 s33, -1, 0
	s_cmp_lg_u32 s6, s3
	s_cselect_b32 s3, -1, 0
	s_add_i32 s7, s7, s42
	s_or_b32 s1, s3, s1
	s_add_i32 s7, s7, s34
	s_and_b32 vcc_lo, exec_lo, s1
	v_add_nc_u32_e32 v1, s7, v0
	s_mov_b32 s3, -1
	v_add_nc_u32_e32 v2, 0x100, v1
	v_add_nc_u32_e32 v3, 0x200, v1
	;; [unrolled: 1-line block ×12, first 2 shown]
	s_cbranch_vccz .LBB1260_2
; %bb.1:
	v_lshlrev_b32_e32 v14, 2, v0
	s_mov_b32 s3, 0
	ds_write2st64_b32 v14, v1, v2 offset1:4
	ds_write2st64_b32 v14, v3, v4 offset0:8 offset1:12
	ds_write2st64_b32 v14, v5, v6 offset0:16 offset1:20
	;; [unrolled: 1-line block ×5, first 2 shown]
	ds_write_b32 v14, v13 offset:12288
	s_waitcnt lgkmcnt(0)
	s_barrier
.LBB1260_2:
	s_andn2_b32 vcc_lo, exec_lo, s3
	s_add_i32 s2, s2, s34
	s_cbranch_vccnz .LBB1260_4
; %bb.3:
	v_lshlrev_b32_e32 v14, 2, v0
	ds_write2st64_b32 v14, v1, v2 offset1:4
	ds_write2st64_b32 v14, v3, v4 offset0:8 offset1:12
	ds_write2st64_b32 v14, v5, v6 offset0:16 offset1:20
	;; [unrolled: 1-line block ×5, first 2 shown]
	ds_write_b32 v14, v13 offset:12288
	s_waitcnt lgkmcnt(0)
	s_barrier
.LBB1260_4:
	v_mul_u32_u24_e32 v29, 13, v0
	s_clause 0x1
	s_load_dwordx4 s[36:39], s[4:5], 0x28
	s_load_dwordx2 s[26:27], s[4:5], 0x38
	s_waitcnt lgkmcnt(0)
	buffer_gl0_inv
	v_cndmask_b32_e64 v27, 0, 1, s1
	s_sub_i32 s43, s0, s2
	v_lshlrev_b32_e32 v1, 2, v29
	s_andn2_b32 vcc_lo, exec_lo, s1
	ds_read_b32 v28, v1 offset:48
	ds_read2_b32 v[9:10], v1 offset0:10 offset1:11
	ds_read2_b32 v[11:12], v1 offset0:8 offset1:9
	;; [unrolled: 1-line block ×4, first 2 shown]
	ds_read2_b32 v[19:20], v1 offset1:1
	ds_read2_b32 v[17:18], v1 offset0:2 offset1:3
	s_waitcnt lgkmcnt(0)
	s_barrier
	buffer_gl0_inv
	s_cbranch_vccnz .LBB1260_32
; %bb.5:
	v_add_nc_u32_e32 v1, s17, v19
	v_add_nc_u32_e32 v2, s19, v19
	s_mov_b32 s45, 0
	s_mov_b32 s44, 0
	s_mov_b32 s1, exec_lo
	v_mul_lo_u32 v1, v1, s16
	v_mul_lo_u32 v2, v2, s18
	v_sub_nc_u32_e32 v1, v1, v2
	v_cmp_lt_u32_e32 vcc_lo, s20, v1
	v_cmpx_ge_u32_e64 s20, v1
	s_cbranch_execz .LBB1260_7
; %bb.6:
	v_add_nc_u32_e32 v1, s22, v19
	v_add_nc_u32_e32 v2, s40, v19
	v_mul_lo_u32 v1, v1, s21
	v_mul_lo_u32 v2, v2, s23
	v_sub_nc_u32_e32 v1, v1, v2
	v_cmp_lt_u32_e64 s0, s41, v1
	s_and_b32 s44, s0, exec_lo
.LBB1260_7:
	s_or_b32 exec_lo, exec_lo, s1
	v_add_nc_u32_e32 v1, s17, v20
	v_add_nc_u32_e32 v2, s19, v20
	s_mov_b32 s2, exec_lo
	v_mul_lo_u32 v1, v1, s16
	v_mul_lo_u32 v2, v2, s18
	v_sub_nc_u32_e32 v1, v1, v2
	v_cmp_lt_u32_e64 s0, s20, v1
	v_cmpx_ge_u32_e64 s20, v1
	s_cbranch_execz .LBB1260_9
; %bb.8:
	v_add_nc_u32_e32 v1, s22, v20
	v_add_nc_u32_e32 v2, s40, v20
	v_mul_lo_u32 v1, v1, s21
	v_mul_lo_u32 v2, v2, s23
	v_sub_nc_u32_e32 v1, v1, v2
	v_cmp_lt_u32_e64 s1, s41, v1
	s_and_b32 s45, s1, exec_lo
.LBB1260_9:
	s_or_b32 exec_lo, exec_lo, s2
	v_add_nc_u32_e32 v1, s17, v17
	v_add_nc_u32_e32 v2, s19, v17
	s_mov_b32 s47, 0
	s_mov_b32 s46, 0
	s_mov_b32 s3, exec_lo
	v_mul_lo_u32 v1, v1, s16
	v_mul_lo_u32 v2, v2, s18
	v_sub_nc_u32_e32 v1, v1, v2
	v_cmp_lt_u32_e64 s1, s20, v1
	v_cmpx_ge_u32_e64 s20, v1
	s_cbranch_execz .LBB1260_11
; %bb.10:
	v_add_nc_u32_e32 v1, s22, v17
	v_add_nc_u32_e32 v2, s40, v17
	v_mul_lo_u32 v1, v1, s21
	v_mul_lo_u32 v2, v2, s23
	v_sub_nc_u32_e32 v1, v1, v2
	v_cmp_lt_u32_e64 s2, s41, v1
	s_and_b32 s46, s2, exec_lo
.LBB1260_11:
	s_or_b32 exec_lo, exec_lo, s3
	v_add_nc_u32_e32 v1, s17, v18
	v_add_nc_u32_e32 v2, s19, v18
	s_mov_b32 s7, exec_lo
	v_mul_lo_u32 v1, v1, s16
	v_mul_lo_u32 v2, v2, s18
	v_sub_nc_u32_e32 v1, v1, v2
	v_cmp_lt_u32_e64 s2, s20, v1
	v_cmpx_ge_u32_e64 s20, v1
	s_cbranch_execz .LBB1260_13
; %bb.12:
	v_add_nc_u32_e32 v1, s22, v18
	v_add_nc_u32_e32 v2, s40, v18
	v_mul_lo_u32 v1, v1, s21
	v_mul_lo_u32 v2, v2, s23
	v_sub_nc_u32_e32 v1, v1, v2
	v_cmp_lt_u32_e64 s3, s41, v1
	s_and_b32 s47, s3, exec_lo
.LBB1260_13:
	s_or_b32 exec_lo, exec_lo, s7
	v_add_nc_u32_e32 v1, s17, v15
	v_add_nc_u32_e32 v2, s19, v15
	s_mov_b32 s49, 0
	s_mov_b32 s48, 0
	s_mov_b32 s8, exec_lo
	v_mul_lo_u32 v1, v1, s16
	v_mul_lo_u32 v2, v2, s18
	v_sub_nc_u32_e32 v1, v1, v2
	v_cmp_lt_u32_e64 s3, s20, v1
	;; [unrolled: 40-line block ×6, first 2 shown]
	v_cmpx_ge_u32_e64 s20, v1
	s_cbranch_execz .LBB1260_31
; %bb.30:
	v_add_nc_u32_e32 v1, s22, v28
	v_add_nc_u32_e32 v2, s40, v28
	v_mul_lo_u32 v1, v1, s21
	v_mul_lo_u32 v2, v2, s23
	v_sub_nc_u32_e32 v1, v1, v2
	v_cmp_lt_u32_e64 s15, s41, v1
	s_and_b32 s57, s15, exec_lo
.LBB1260_31:
	s_or_b32 exec_lo, exec_lo, s58
	v_cndmask_b32_e64 v2, 0, 1, s0
	v_cndmask_b32_e64 v4, 0, 1, s2
	v_cndmask_b32_e64 v1, 0, 1, vcc_lo
	v_cndmask_b32_e64 v3, 0, 1, s1
	v_cndmask_b32_e64 v6, 0, 1, s7
	v_lshlrev_b16 v2, 8, v2
	v_lshlrev_b16 v4, 8, v4
	v_cndmask_b32_e64 v8, 0, 1, s9
	v_cndmask_b32_e64 v22, 0, 1, s11
	;; [unrolled: 1-line block ×3, first 2 shown]
	v_or_b32_e32 v1, v1, v2
	v_or_b32_sdwa v2, v3, v4 dst_sel:WORD_1 dst_unused:UNUSED_PAD src0_sel:DWORD src1_sel:DWORD
	v_cndmask_b32_e64 v3, 0, 1, s44
	v_cndmask_b32_e64 v5, 0, 1, s3
	;; [unrolled: 1-line block ×11, first 2 shown]
	v_or_b32_sdwa v30, v1, v2 dst_sel:DWORD dst_unused:UNUSED_PAD src0_sel:WORD_0 src1_sel:DWORD
	v_lshlrev_b16 v1, 8, v6
	v_lshlrev_b16 v2, 8, v8
	;; [unrolled: 1-line block ×5, first 2 shown]
	v_cndmask_b32_e64 v26, 0, 1, s53
	v_cndmask_b32_e64 v32, 0, 1, s51
	;; [unrolled: 1-line block ×5, first 2 shown]
	v_or_b32_e32 v1, v5, v1
	v_or_b32_sdwa v2, v7, v2 dst_sel:WORD_1 dst_unused:UNUSED_PAD src0_sel:DWORD src1_sel:DWORD
	v_or_b32_e32 v5, v21, v6
	v_or_b32_sdwa v6, v23, v8 dst_sel:WORD_1 dst_unused:UNUSED_PAD src0_sel:DWORD src1_sel:DWORD
	v_or_b32_e32 v3, v4, v3
	v_lshlrev_b16 v4, 8, v39
	v_lshlrev_b16 v7, 8, v36
	;; [unrolled: 1-line block ×5, first 2 shown]
	v_or_b32_sdwa v4, v40, v4 dst_sel:WORD_1 dst_unused:UNUSED_PAD src0_sel:DWORD src1_sel:DWORD
	v_or_b32_e32 v7, v38, v7
	v_or_b32_sdwa v8, v35, v8 dst_sel:WORD_1 dst_unused:UNUSED_PAD src0_sel:DWORD src1_sel:DWORD
	v_or_b32_e32 v21, v32, v21
	v_or_b32_sdwa v22, v26, v22 dst_sel:WORD_1 dst_unused:UNUSED_PAD src0_sel:DWORD src1_sel:DWORD
	v_cndmask_b32_e64 v34, 0, 1, s55
	v_cndmask_b32_e64 v37, 0, 1, s57
	v_or_b32_sdwa v32, v1, v2 dst_sel:DWORD dst_unused:UNUSED_PAD src0_sel:WORD_0 src1_sel:DWORD
	v_or_b32_sdwa v35, v5, v6 dst_sel:DWORD dst_unused:UNUSED_PAD src0_sel:WORD_0 src1_sel:DWORD
	;; [unrolled: 1-line block ×5, first 2 shown]
	s_load_dwordx2 s[4:5], s[4:5], 0x78
	s_and_b32 vcc_lo, exec_lo, s54
	s_add_i32 s7, s43, 0xd00
	s_cbranch_vccnz .LBB1260_33
	s_branch .LBB1260_110
.LBB1260_32:
                                        ; implicit-def: $vgpr37
                                        ; implicit-def: $vgpr34
                                        ; implicit-def: $vgpr33
                                        ; implicit-def: $vgpr31
                                        ; implicit-def: $vgpr36
                                        ; implicit-def: $vgpr35
                                        ; implicit-def: $vgpr32
                                        ; implicit-def: $vgpr30
	s_load_dwordx2 s[4:5], s[4:5], 0x78
	s_add_i32 s7, s43, 0xd00
	s_cbranch_execz .LBB1260_110
.LBB1260_33:
	v_mov_b32_e32 v2, 0
	v_mov_b32_e32 v1, 0
	s_mov_b32 s1, exec_lo
	v_cmpx_gt_u32_e64 s7, v29
	s_cbranch_execz .LBB1260_37
; %bb.34:
	v_add_nc_u32_e32 v1, s17, v19
	v_add_nc_u32_e32 v2, s19, v19
	s_mov_b32 s3, 0
	s_mov_b32 s2, exec_lo
	v_mul_lo_u32 v1, v1, s16
	v_mul_lo_u32 v2, v2, s18
	v_sub_nc_u32_e32 v1, v1, v2
	v_cmp_lt_u32_e32 vcc_lo, s20, v1
	v_cmpx_ge_u32_e64 s20, v1
	s_cbranch_execz .LBB1260_36
; %bb.35:
	v_add_nc_u32_e32 v1, s22, v19
	v_add_nc_u32_e32 v2, s40, v19
	v_mul_lo_u32 v1, v1, s21
	v_mul_lo_u32 v2, v2, s23
	v_sub_nc_u32_e32 v1, v1, v2
	v_cmp_lt_u32_e64 s0, s41, v1
	s_and_b32 s3, s0, exec_lo
.LBB1260_36:
	s_or_b32 exec_lo, exec_lo, s2
	v_cndmask_b32_e64 v2, 0, 1, s3
	v_cndmask_b32_e64 v1, 0, 1, vcc_lo
.LBB1260_37:
	s_or_b32 exec_lo, exec_lo, s1
	v_add_nc_u32_e32 v3, 1, v29
	v_lshlrev_b16 v21, 8, v2
	v_and_b32_e32 v6, 0xff, v1
	v_lshlrev_b16 v7, 8, 0
                                        ; implicit-def: $vgpr5
                                        ; implicit-def: $vgpr8
                                        ; implicit-def: $vgpr2
                                        ; implicit-def: $vgpr4
	v_cmp_le_u32_e32 vcc_lo, s7, v3
                                        ; implicit-def: $vgpr3
	s_and_saveexec_b32 s0, vcc_lo
	s_xor_b32 s0, exec_lo, s0
	s_cbranch_execz .LBB1260_39
; %bb.38:
	v_mov_b32_e32 v1, 8
	v_mov_b32_e32 v2, 0xff
	;; [unrolled: 1-line block ×3, first 2 shown]
	v_and_b32_e32 v4, 0xffff, v7
	v_and_b32_e32 v3, 0xffff, v7
	v_lshrrev_b32_sdwa v1, v1, v21 dst_sel:BYTE_1 dst_unused:UNUSED_PAD src0_sel:DWORD src1_sel:WORD_0
	v_and_b32_sdwa v2, v21, v2 dst_sel:DWORD dst_unused:UNUSED_PAD src0_sel:WORD_0 src1_sel:DWORD
                                        ; implicit-def: $vgpr21
	v_or_b32_e32 v1, v2, v1
	v_and_b32_e32 v2, 0xffff, v7
                                        ; implicit-def: $vgpr7
	v_and_b32_e32 v8, 0xffff, v1
                                        ; implicit-def: $vgpr1
.LBB1260_39:
	s_andn2_saveexec_b32 s1, s0
	s_cbranch_execz .LBB1260_43
; %bb.40:
	v_add_nc_u32_e32 v2, s17, v20
	v_add_nc_u32_e32 v3, s19, v20
	s_mov_b32 s2, 0
	s_mov_b32 s3, exec_lo
	v_mul_lo_u32 v2, v2, s16
	v_mul_lo_u32 v3, v3, s18
	v_sub_nc_u32_e32 v2, v2, v3
	v_cmp_lt_u32_e32 vcc_lo, s20, v2
	v_cmpx_ge_u32_e64 s20, v2
	s_cbranch_execz .LBB1260_42
; %bb.41:
	v_add_nc_u32_e32 v2, s22, v20
	v_add_nc_u32_e32 v3, s40, v20
	v_mul_lo_u32 v2, v2, s21
	v_mul_lo_u32 v3, v3, s23
	v_sub_nc_u32_e32 v2, v2, v3
	v_cmp_lt_u32_e64 s0, s41, v2
	s_and_b32 s2, s0, exec_lo
.LBB1260_42:
	s_or_b32 exec_lo, exec_lo, s3
	v_mov_b32_e32 v2, 0xff
	v_mov_b32_e32 v3, 8
	v_cndmask_b32_e64 v4, 0, 1, vcc_lo
	v_mov_b32_e32 v5, 0
	v_and_b32_sdwa v2, v21, v2 dst_sel:DWORD dst_unused:UNUSED_PAD src0_sel:WORD_0 src1_sel:DWORD
	v_lshrrev_b32_sdwa v3, v3, v21 dst_sel:BYTE_1 dst_unused:UNUSED_PAD src0_sel:DWORD src1_sel:WORD_0
	v_lshlrev_b16 v4, 8, v4
	v_or_b32_e32 v2, v2, v3
	v_cndmask_b32_e64 v3, 0, 1, s2
	v_or_b32_sdwa v1, v1, v4 dst_sel:DWORD dst_unused:UNUSED_PAD src0_sel:BYTE_0 src1_sel:DWORD
	v_and_b32_e32 v4, 0xffff, v7
	v_and_b32_e32 v8, 0xffff, v2
	v_mov_b32_e32 v2, 0
	v_and_b32_e32 v6, 0xffff, v1
	v_lshl_or_b32 v8, v3, 16, v8
	v_and_b32_e32 v3, 0xffff, v7
.LBB1260_43:
	s_or_b32 exec_lo, exec_lo, s1
	v_add_nc_u32_e32 v1, 2, v29
                                        ; implicit-def: $vgpr7
	v_cmp_le_u32_e32 vcc_lo, s7, v1
                                        ; implicit-def: $vgpr1
	s_and_saveexec_b32 s0, vcc_lo
	s_xor_b32 s0, exec_lo, s0
	s_cbranch_execz .LBB1260_45
; %bb.44:
	v_lshrrev_b32_e32 v1, 24, v6
	v_mov_b32_e32 v7, 8
	v_and_b32_e32 v21, 0xff0000, v8
	v_perm_b32 v4, v4, v4, 0x3060504
	v_perm_b32 v1, v1, v6, 0x40c0100
	v_lshrrev_b32_sdwa v6, v7, v1 dst_sel:BYTE_1 dst_unused:UNUSED_PAD src0_sel:DWORD src1_sel:DWORD
	v_or_b32_sdwa v6, v1, v6 dst_sel:DWORD dst_unused:UNUSED_PAD src0_sel:BYTE_0 src1_sel:DWORD
	v_and_b32_e32 v6, 0xffff, v6
	v_and_or_b32 v7, 0xff000000, v1, v6
	v_perm_b32 v1, v8, v21, 0x3020504
                                        ; implicit-def: $vgpr6
                                        ; implicit-def: $vgpr8
.LBB1260_45:
	s_andn2_saveexec_b32 s1, s0
	s_cbranch_execz .LBB1260_49
; %bb.46:
	v_add_nc_u32_e32 v1, s17, v17
	v_add_nc_u32_e32 v7, s19, v17
	s_mov_b32 s2, 0
	s_mov_b32 s3, exec_lo
	v_mul_lo_u32 v1, v1, s16
	v_mul_lo_u32 v7, v7, s18
	v_sub_nc_u32_e32 v1, v1, v7
	v_cmp_lt_u32_e32 vcc_lo, s20, v1
	v_cmpx_ge_u32_e64 s20, v1
	s_cbranch_execz .LBB1260_48
; %bb.47:
	v_add_nc_u32_e32 v1, s22, v17
	v_add_nc_u32_e32 v7, s40, v17
	v_mul_lo_u32 v1, v1, s21
	v_mul_lo_u32 v7, v7, s23
	v_sub_nc_u32_e32 v1, v1, v7
	v_cmp_lt_u32_e64 s0, s41, v1
	s_and_b32 s2, s0, exec_lo
.LBB1260_48:
	s_or_b32 exec_lo, exec_lo, s3
	v_mov_b32_e32 v1, 8
	v_mov_b32_e32 v7, 24
	v_cndmask_b32_e64 v22, 0, 1, s2
	v_mov_b32_e32 v23, 0xff
	v_cndmask_b32_e64 v21, 0, 1, vcc_lo
	v_lshrrev_b32_sdwa v24, v1, v6 dst_sel:BYTE_1 dst_unused:UNUSED_PAD src0_sel:DWORD src1_sel:DWORD
	v_lshrrev_b32_sdwa v7, v7, v6 dst_sel:BYTE_1 dst_unused:UNUSED_PAD src0_sel:DWORD src1_sel:DWORD
	;; [unrolled: 1-line block ×3, first 2 shown]
	v_lshlrev_b16 v22, 8, v22
	v_and_b32_sdwa v23, v8, v23 dst_sel:DWORD dst_unused:UNUSED_PAD src0_sel:WORD_1 src1_sel:DWORD
	v_or_b32_sdwa v6, v6, v24 dst_sel:DWORD dst_unused:UNUSED_PAD src0_sel:BYTE_0 src1_sel:DWORD
	v_or_b32_sdwa v7, v21, v7 dst_sel:WORD_1 dst_unused:UNUSED_PAD src0_sel:DWORD src1_sel:DWORD
	v_or_b32_sdwa v1, v8, v1 dst_sel:DWORD dst_unused:UNUSED_PAD src0_sel:BYTE_0 src1_sel:DWORD
	v_or_b32_sdwa v8, v23, v22 dst_sel:WORD_1 dst_unused:UNUSED_PAD src0_sel:DWORD src1_sel:DWORD
	v_or_b32_sdwa v7, v6, v7 dst_sel:DWORD dst_unused:UNUSED_PAD src0_sel:WORD_0 src1_sel:DWORD
	v_or_b32_sdwa v1, v1, v8 dst_sel:DWORD dst_unused:UNUSED_PAD src0_sel:WORD_0 src1_sel:DWORD
.LBB1260_49:
	s_or_b32 exec_lo, exec_lo, s1
	v_add_nc_u32_e32 v6, 3, v29
                                        ; implicit-def: $vgpr30
	v_cmp_le_u32_e32 vcc_lo, s7, v6
                                        ; implicit-def: $vgpr6
	s_and_saveexec_b32 s0, vcc_lo
	s_xor_b32 s0, exec_lo, s0
	s_cbranch_execz .LBB1260_51
; %bb.50:
	v_mov_b32_e32 v6, 24
	v_mov_b32_e32 v8, 0xff
	;; [unrolled: 1-line block ×3, first 2 shown]
	v_and_b32_e32 v22, 0xff0000, v7
	v_perm_b32 v4, v4, v4, 0x3060504
	v_lshrrev_b32_sdwa v6, v6, v5 dst_sel:BYTE_1 dst_unused:UNUSED_PAD src0_sel:DWORD src1_sel:DWORD
	v_and_b32_sdwa v8, v5, v8 dst_sel:DWORD dst_unused:UNUSED_PAD src0_sel:WORD_1 src1_sel:DWORD
	v_lshrrev_b32_sdwa v5, v21, v5 dst_sel:BYTE_1 dst_unused:UNUSED_PAD src0_sel:DWORD src1_sel:DWORD
	v_perm_b32 v30, v7, v22, 0x3020504
	v_perm_b32 v3, v3, v3, 0x3060504
                                        ; implicit-def: $vgpr7
	v_or_b32_sdwa v6, v8, v6 dst_sel:WORD_1 dst_unused:UNUSED_PAD src0_sel:DWORD src1_sel:DWORD
	v_or_b32_sdwa v6, v5, v6 dst_sel:DWORD dst_unused:UNUSED_PAD src0_sel:WORD_0 src1_sel:DWORD
                                        ; implicit-def: $vgpr5
.LBB1260_51:
	s_andn2_saveexec_b32 s1, s0
	s_cbranch_execz .LBB1260_55
; %bb.52:
	v_add_nc_u32_e32 v6, s17, v18
	v_add_nc_u32_e32 v8, s19, v18
	s_mov_b32 s2, 0
	s_mov_b32 s3, exec_lo
	v_mul_lo_u32 v6, v6, s16
	v_mul_lo_u32 v8, v8, s18
	v_sub_nc_u32_e32 v6, v6, v8
	v_cmp_lt_u32_e32 vcc_lo, s20, v6
	v_cmpx_ge_u32_e64 s20, v6
	s_cbranch_execz .LBB1260_54
; %bb.53:
	v_add_nc_u32_e32 v6, s22, v18
	v_add_nc_u32_e32 v8, s40, v18
	v_mul_lo_u32 v6, v6, s21
	v_mul_lo_u32 v8, v8, s23
	v_sub_nc_u32_e32 v6, v6, v8
	v_cmp_lt_u32_e64 s0, s41, v6
	s_and_b32 s2, s0, exec_lo
.LBB1260_54:
	s_or_b32 exec_lo, exec_lo, s3
	v_mov_b32_e32 v6, 8
	v_cndmask_b32_e64 v8, 0, 1, vcc_lo
	v_mov_b32_e32 v21, 0xff
	v_mov_b32_e32 v22, 24
	v_cndmask_b32_e64 v23, 0, 1, s2
	v_lshrrev_b32_sdwa v24, v6, v7 dst_sel:BYTE_1 dst_unused:UNUSED_PAD src0_sel:DWORD src1_sel:DWORD
	v_lshlrev_b16 v8, 8, v8
	v_and_b32_sdwa v25, v7, v21 dst_sel:DWORD dst_unused:UNUSED_PAD src0_sel:WORD_1 src1_sel:DWORD
	v_lshrrev_b32_sdwa v22, v22, v5 dst_sel:BYTE_1 dst_unused:UNUSED_PAD src0_sel:DWORD src1_sel:DWORD
	v_and_b32_sdwa v21, v5, v21 dst_sel:DWORD dst_unused:UNUSED_PAD src0_sel:WORD_1 src1_sel:DWORD
	v_lshrrev_b32_sdwa v5, v6, v5 dst_sel:BYTE_1 dst_unused:UNUSED_PAD src0_sel:DWORD src1_sel:DWORD
	v_or_b32_sdwa v6, v7, v24 dst_sel:DWORD dst_unused:UNUSED_PAD src0_sel:BYTE_0 src1_sel:DWORD
	v_or_b32_sdwa v7, v25, v8 dst_sel:WORD_1 dst_unused:UNUSED_PAD src0_sel:DWORD src1_sel:DWORD
	v_or_b32_sdwa v8, v21, v22 dst_sel:WORD_1 dst_unused:UNUSED_PAD src0_sel:DWORD src1_sel:DWORD
	v_or_b32_e32 v5, v23, v5
	v_or_b32_sdwa v30, v6, v7 dst_sel:DWORD dst_unused:UNUSED_PAD src0_sel:WORD_0 src1_sel:DWORD
	v_or_b32_sdwa v6, v5, v8 dst_sel:DWORD dst_unused:UNUSED_PAD src0_sel:WORD_0 src1_sel:DWORD
.LBB1260_55:
	s_or_b32 exec_lo, exec_lo, s1
	v_add_nc_u32_e32 v5, 4, v29
                                        ; implicit-def: $vgpr7
	v_cmp_le_u32_e32 vcc_lo, s7, v5
                                        ; implicit-def: $vgpr5
	s_and_saveexec_b32 s0, vcc_lo
	s_xor_b32 s0, exec_lo, s0
	s_cbranch_execz .LBB1260_57
; %bb.56:
	v_mov_b32_e32 v5, 24
	v_mov_b32_e32 v7, 0xff
	;; [unrolled: 1-line block ×3, first 2 shown]
	v_perm_b32 v3, v3, v3, 0x3060504
	v_lshrrev_b32_sdwa v21, v5, v4 dst_sel:BYTE_1 dst_unused:UNUSED_PAD src0_sel:DWORD src1_sel:DWORD
	v_and_b32_sdwa v22, v4, v7 dst_sel:DWORD dst_unused:UNUSED_PAD src0_sel:WORD_1 src1_sel:DWORD
	v_lshrrev_b32_sdwa v5, v5, v6 dst_sel:BYTE_1 dst_unused:UNUSED_PAD src0_sel:DWORD src1_sel:DWORD
	v_and_b32_sdwa v7, v6, v7 dst_sel:DWORD dst_unused:UNUSED_PAD src0_sel:WORD_1 src1_sel:DWORD
	v_lshrrev_b32_sdwa v4, v8, v4 dst_sel:BYTE_1 dst_unused:UNUSED_PAD src0_sel:DWORD src1_sel:DWORD
	v_or_b32_sdwa v8, v22, v21 dst_sel:WORD_1 dst_unused:UNUSED_PAD src0_sel:DWORD src1_sel:DWORD
	v_or_b32_e32 v7, v7, v5
	v_or_b32_sdwa v5, v4, v8 dst_sel:DWORD dst_unused:UNUSED_PAD src0_sel:WORD_0 src1_sel:DWORD
                                        ; implicit-def: $vgpr4
	v_perm_b32 v7, v7, v6, 0x5040c00
                                        ; implicit-def: $vgpr6
.LBB1260_57:
	s_andn2_saveexec_b32 s1, s0
	s_cbranch_execz .LBB1260_61
; %bb.58:
	v_add_nc_u32_e32 v5, s17, v15
	v_add_nc_u32_e32 v7, s19, v15
	s_mov_b32 s2, 0
	s_mov_b32 s3, exec_lo
	v_mul_lo_u32 v5, v5, s16
	v_mul_lo_u32 v7, v7, s18
	v_sub_nc_u32_e32 v5, v5, v7
	v_cmp_lt_u32_e32 vcc_lo, s20, v5
	v_cmpx_ge_u32_e64 s20, v5
	s_cbranch_execz .LBB1260_60
; %bb.59:
	v_add_nc_u32_e32 v5, s22, v15
	v_add_nc_u32_e32 v7, s40, v15
	v_mul_lo_u32 v5, v5, s21
	v_mul_lo_u32 v7, v7, s23
	v_sub_nc_u32_e32 v5, v5, v7
	v_cmp_lt_u32_e64 s0, s41, v5
	s_and_b32 s2, s0, exec_lo
.LBB1260_60:
	s_or_b32 exec_lo, exec_lo, s3
	v_mov_b32_e32 v5, 24
	v_mov_b32_e32 v7, 0xff
	;; [unrolled: 1-line block ×3, first 2 shown]
	v_cndmask_b32_e64 v21, 0, 1, s2
	v_cndmask_b32_e64 v22, 0, 1, vcc_lo
	v_lshrrev_b32_sdwa v23, v5, v4 dst_sel:BYTE_1 dst_unused:UNUSED_PAD src0_sel:DWORD src1_sel:DWORD
	v_and_b32_sdwa v24, v4, v7 dst_sel:DWORD dst_unused:UNUSED_PAD src0_sel:WORD_1 src1_sel:DWORD
	v_lshrrev_b32_sdwa v4, v8, v4 dst_sel:BYTE_1 dst_unused:UNUSED_PAD src0_sel:DWORD src1_sel:DWORD
	v_lshlrev_b16 v8, 8, v21
	v_lshrrev_b32_sdwa v5, v5, v6 dst_sel:BYTE_1 dst_unused:UNUSED_PAD src0_sel:DWORD src1_sel:DWORD
	v_and_b32_sdwa v7, v6, v7 dst_sel:DWORD dst_unused:UNUSED_PAD src0_sel:WORD_1 src1_sel:DWORD
	v_or_b32_sdwa v21, v24, v23 dst_sel:WORD_1 dst_unused:UNUSED_PAD src0_sel:DWORD src1_sel:DWORD
	v_or_b32_e32 v4, v22, v4
	v_or_b32_sdwa v6, v6, v8 dst_sel:DWORD dst_unused:UNUSED_PAD src0_sel:BYTE_0 src1_sel:DWORD
	v_or_b32_sdwa v7, v7, v5 dst_sel:WORD_1 dst_unused:UNUSED_PAD src0_sel:DWORD src1_sel:DWORD
	v_or_b32_sdwa v5, v4, v21 dst_sel:DWORD dst_unused:UNUSED_PAD src0_sel:WORD_0 src1_sel:DWORD
	v_or_b32_sdwa v7, v6, v7 dst_sel:DWORD dst_unused:UNUSED_PAD src0_sel:WORD_0 src1_sel:DWORD
.LBB1260_61:
	s_or_b32 exec_lo, exec_lo, s1
	v_add_nc_u32_e32 v4, 5, v29
                                        ; implicit-def: $vgpr6
	v_cmp_le_u32_e32 vcc_lo, s7, v4
                                        ; implicit-def: $vgpr4
	s_and_saveexec_b32 s0, vcc_lo
	s_xor_b32 s0, exec_lo, s0
	s_cbranch_execz .LBB1260_63
; %bb.62:
	v_lshrrev_b32_e32 v4, 24, v7
	v_mov_b32_e32 v6, 8
	v_mov_b32_e32 v8, 0xff
	v_perm_b32 v3, v3, v3, 0x3060504
	v_perm_b32 v4, v4, v7, 0x40c0100
	v_mov_b32_e32 v7, 24
	v_and_b32_sdwa v8, v5, v8 dst_sel:DWORD dst_unused:UNUSED_PAD src0_sel:WORD_1 src1_sel:DWORD
	v_lshrrev_b32_sdwa v6, v6, v4 dst_sel:BYTE_1 dst_unused:UNUSED_PAD src0_sel:DWORD src1_sel:DWORD
	v_lshrrev_b32_sdwa v7, v7, v5 dst_sel:BYTE_1 dst_unused:UNUSED_PAD src0_sel:DWORD src1_sel:DWORD
	v_or_b32_sdwa v6, v4, v6 dst_sel:DWORD dst_unused:UNUSED_PAD src0_sel:BYTE_0 src1_sel:DWORD
	v_or_b32_e32 v7, v8, v7
	v_and_b32_e32 v8, 0xffff, v6
	v_perm_b32 v6, v7, v5, 0x5040c00
                                        ; implicit-def: $vgpr5
                                        ; implicit-def: $vgpr7
	v_and_or_b32 v4, 0xff000000, v4, v8
.LBB1260_63:
	s_andn2_saveexec_b32 s1, s0
	s_cbranch_execz .LBB1260_67
; %bb.64:
	v_add_nc_u32_e32 v4, s17, v16
	v_add_nc_u32_e32 v6, s19, v16
	s_mov_b32 s2, 0
	s_mov_b32 s3, exec_lo
	v_mul_lo_u32 v4, v4, s16
	v_mul_lo_u32 v6, v6, s18
	v_sub_nc_u32_e32 v4, v4, v6
	v_cmp_lt_u32_e32 vcc_lo, s20, v4
	v_cmpx_ge_u32_e64 s20, v4
	s_cbranch_execz .LBB1260_66
; %bb.65:
	v_add_nc_u32_e32 v4, s22, v16
	v_add_nc_u32_e32 v6, s40, v16
	v_mul_lo_u32 v4, v4, s21
	v_mul_lo_u32 v6, v6, s23
	v_sub_nc_u32_e32 v4, v4, v6
	v_cmp_lt_u32_e64 s0, s41, v4
	s_and_b32 s2, s0, exec_lo
.LBB1260_66:
	s_or_b32 exec_lo, exec_lo, s3
	v_cndmask_b32_e64 v4, 0, 1, vcc_lo
	v_mov_b32_e32 v6, 24
	v_mov_b32_e32 v8, 0xff
	;; [unrolled: 1-line block ×3, first 2 shown]
	v_cndmask_b32_e64 v22, 0, 1, s2
	v_lshlrev_b16 v4, 8, v4
	v_lshrrev_b32_sdwa v23, v6, v5 dst_sel:BYTE_1 dst_unused:UNUSED_PAD src0_sel:DWORD src1_sel:DWORD
	v_and_b32_sdwa v8, v5, v8 dst_sel:DWORD dst_unused:UNUSED_PAD src0_sel:WORD_1 src1_sel:DWORD
	v_lshrrev_b32_sdwa v21, v21, v7 dst_sel:BYTE_1 dst_unused:UNUSED_PAD src0_sel:DWORD src1_sel:DWORD
	v_lshrrev_b32_sdwa v6, v6, v7 dst_sel:BYTE_1 dst_unused:UNUSED_PAD src0_sel:DWORD src1_sel:DWORD
	v_or_b32_sdwa v4, v5, v4 dst_sel:DWORD dst_unused:UNUSED_PAD src0_sel:BYTE_0 src1_sel:DWORD
	v_or_b32_sdwa v5, v8, v23 dst_sel:WORD_1 dst_unused:UNUSED_PAD src0_sel:DWORD src1_sel:DWORD
	v_or_b32_sdwa v7, v7, v21 dst_sel:DWORD dst_unused:UNUSED_PAD src0_sel:BYTE_0 src1_sel:DWORD
	v_or_b32_sdwa v8, v22, v6 dst_sel:WORD_1 dst_unused:UNUSED_PAD src0_sel:DWORD src1_sel:DWORD
	v_or_b32_sdwa v6, v4, v5 dst_sel:DWORD dst_unused:UNUSED_PAD src0_sel:WORD_0 src1_sel:DWORD
	v_or_b32_sdwa v4, v7, v8 dst_sel:DWORD dst_unused:UNUSED_PAD src0_sel:WORD_0 src1_sel:DWORD
.LBB1260_67:
	s_or_b32 exec_lo, exec_lo, s1
	v_add_nc_u32_e32 v5, 6, v29
                                        ; implicit-def: $vgpr31
	v_cmp_le_u32_e32 vcc_lo, s7, v5
                                        ; implicit-def: $vgpr5
	s_and_saveexec_b32 s0, vcc_lo
	s_xor_b32 s0, exec_lo, s0
	s_cbranch_execz .LBB1260_69
; %bb.68:
	v_lshrrev_b32_e32 v5, 24, v6
	v_mov_b32_e32 v7, 8
	v_perm_b32 v3, v3, v3, 0x3060504
	v_perm_b32 v5, v5, v6, 0x40c0100
	v_lshrrev_b32_sdwa v6, v7, v5 dst_sel:BYTE_1 dst_unused:UNUSED_PAD src0_sel:DWORD src1_sel:DWORD
	v_and_b32_e32 v7, 0xff0000, v4
	v_or_b32_sdwa v6, v5, v6 dst_sel:DWORD dst_unused:UNUSED_PAD src0_sel:BYTE_0 src1_sel:DWORD
	v_perm_b32 v31, v4, v7, 0x3020504
                                        ; implicit-def: $vgpr4
	v_and_b32_e32 v6, 0xffff, v6
	v_and_or_b32 v5, 0xff000000, v5, v6
                                        ; implicit-def: $vgpr6
.LBB1260_69:
	s_andn2_saveexec_b32 s1, s0
	s_cbranch_execz .LBB1260_73
; %bb.70:
	v_add_nc_u32_e32 v5, s17, v13
	v_add_nc_u32_e32 v7, s19, v13
	s_mov_b32 s2, 0
	s_mov_b32 s3, exec_lo
	v_mul_lo_u32 v5, v5, s16
	v_mul_lo_u32 v7, v7, s18
	v_sub_nc_u32_e32 v5, v5, v7
	v_cmp_lt_u32_e32 vcc_lo, s20, v5
	v_cmpx_ge_u32_e64 s20, v5
	s_cbranch_execz .LBB1260_72
; %bb.71:
	v_add_nc_u32_e32 v5, s22, v13
	v_add_nc_u32_e32 v7, s40, v13
	v_mul_lo_u32 v5, v5, s21
	v_mul_lo_u32 v7, v7, s23
	v_sub_nc_u32_e32 v5, v5, v7
	v_cmp_lt_u32_e64 s0, s41, v5
	s_and_b32 s2, s0, exec_lo
.LBB1260_72:
	s_or_b32 exec_lo, exec_lo, s3
	v_mov_b32_e32 v5, 8
	v_mov_b32_e32 v7, 24
	v_cndmask_b32_e64 v21, 0, 1, s2
	v_mov_b32_e32 v22, 0xff
	v_cndmask_b32_e64 v8, 0, 1, vcc_lo
	v_lshrrev_b32_sdwa v23, v5, v6 dst_sel:BYTE_1 dst_unused:UNUSED_PAD src0_sel:DWORD src1_sel:DWORD
	v_lshrrev_b32_sdwa v7, v7, v6 dst_sel:BYTE_1 dst_unused:UNUSED_PAD src0_sel:DWORD src1_sel:DWORD
	;; [unrolled: 1-line block ×3, first 2 shown]
	v_lshlrev_b16 v21, 8, v21
	v_and_b32_sdwa v22, v4, v22 dst_sel:DWORD dst_unused:UNUSED_PAD src0_sel:WORD_1 src1_sel:DWORD
	v_or_b32_sdwa v6, v6, v23 dst_sel:DWORD dst_unused:UNUSED_PAD src0_sel:BYTE_0 src1_sel:DWORD
	v_or_b32_sdwa v7, v8, v7 dst_sel:WORD_1 dst_unused:UNUSED_PAD src0_sel:DWORD src1_sel:DWORD
	v_or_b32_sdwa v4, v4, v5 dst_sel:DWORD dst_unused:UNUSED_PAD src0_sel:BYTE_0 src1_sel:DWORD
	v_or_b32_sdwa v8, v22, v21 dst_sel:WORD_1 dst_unused:UNUSED_PAD src0_sel:DWORD src1_sel:DWORD
	v_or_b32_sdwa v5, v6, v7 dst_sel:DWORD dst_unused:UNUSED_PAD src0_sel:WORD_0 src1_sel:DWORD
	v_or_b32_sdwa v31, v4, v8 dst_sel:DWORD dst_unused:UNUSED_PAD src0_sel:WORD_0 src1_sel:DWORD
.LBB1260_73:
	s_or_b32 exec_lo, exec_lo, s1
	v_add_nc_u32_e32 v4, 7, v29
                                        ; implicit-def: $vgpr32
	v_cmp_le_u32_e32 vcc_lo, s7, v4
                                        ; implicit-def: $vgpr4
	s_and_saveexec_b32 s0, vcc_lo
	s_xor_b32 s0, exec_lo, s0
	s_cbranch_execz .LBB1260_75
; %bb.74:
	v_mov_b32_e32 v4, 24
	v_mov_b32_e32 v6, 0xff
	;; [unrolled: 1-line block ×3, first 2 shown]
	v_lshrrev_b32_sdwa v4, v4, v3 dst_sel:BYTE_1 dst_unused:UNUSED_PAD src0_sel:DWORD src1_sel:DWORD
	v_and_b32_sdwa v6, v3, v6 dst_sel:DWORD dst_unused:UNUSED_PAD src0_sel:WORD_1 src1_sel:DWORD
	v_lshrrev_b32_sdwa v3, v7, v3 dst_sel:BYTE_1 dst_unused:UNUSED_PAD src0_sel:DWORD src1_sel:DWORD
	v_and_b32_e32 v7, 0xff0000, v5
	v_or_b32_sdwa v4, v6, v4 dst_sel:WORD_1 dst_unused:UNUSED_PAD src0_sel:DWORD src1_sel:DWORD
	v_perm_b32 v32, v5, v7, 0x3020504
                                        ; implicit-def: $vgpr5
	v_or_b32_sdwa v4, v3, v4 dst_sel:DWORD dst_unused:UNUSED_PAD src0_sel:WORD_0 src1_sel:DWORD
                                        ; implicit-def: $vgpr3
.LBB1260_75:
	s_andn2_saveexec_b32 s1, s0
	s_cbranch_execz .LBB1260_79
; %bb.76:
	v_add_nc_u32_e32 v4, s17, v14
	v_add_nc_u32_e32 v6, s19, v14
	s_mov_b32 s2, 0
	s_mov_b32 s3, exec_lo
	v_mul_lo_u32 v4, v4, s16
	v_mul_lo_u32 v6, v6, s18
	v_sub_nc_u32_e32 v4, v4, v6
	v_cmp_lt_u32_e32 vcc_lo, s20, v4
	v_cmpx_ge_u32_e64 s20, v4
	s_cbranch_execz .LBB1260_78
; %bb.77:
	v_add_nc_u32_e32 v4, s22, v14
	v_add_nc_u32_e32 v6, s40, v14
	v_mul_lo_u32 v4, v4, s21
	v_mul_lo_u32 v6, v6, s23
	v_sub_nc_u32_e32 v4, v4, v6
	v_cmp_lt_u32_e64 s0, s41, v4
	s_and_b32 s2, s0, exec_lo
.LBB1260_78:
	s_or_b32 exec_lo, exec_lo, s3
	v_mov_b32_e32 v4, 8
	v_cndmask_b32_e64 v6, 0, 1, vcc_lo
	v_mov_b32_e32 v7, 0xff
	v_mov_b32_e32 v8, 24
	v_cndmask_b32_e64 v21, 0, 1, s2
	v_lshrrev_b32_sdwa v22, v4, v5 dst_sel:BYTE_1 dst_unused:UNUSED_PAD src0_sel:DWORD src1_sel:DWORD
	v_lshlrev_b16 v6, 8, v6
	v_and_b32_sdwa v23, v5, v7 dst_sel:DWORD dst_unused:UNUSED_PAD src0_sel:WORD_1 src1_sel:DWORD
	v_lshrrev_b32_sdwa v8, v8, v3 dst_sel:BYTE_1 dst_unused:UNUSED_PAD src0_sel:DWORD src1_sel:DWORD
	v_and_b32_sdwa v7, v3, v7 dst_sel:DWORD dst_unused:UNUSED_PAD src0_sel:WORD_1 src1_sel:DWORD
	v_lshrrev_b32_sdwa v3, v4, v3 dst_sel:BYTE_1 dst_unused:UNUSED_PAD src0_sel:DWORD src1_sel:DWORD
	v_or_b32_sdwa v4, v5, v22 dst_sel:DWORD dst_unused:UNUSED_PAD src0_sel:BYTE_0 src1_sel:DWORD
	v_or_b32_sdwa v5, v23, v6 dst_sel:WORD_1 dst_unused:UNUSED_PAD src0_sel:DWORD src1_sel:DWORD
	v_or_b32_sdwa v6, v7, v8 dst_sel:WORD_1 dst_unused:UNUSED_PAD src0_sel:DWORD src1_sel:DWORD
	v_or_b32_e32 v3, v21, v3
	v_or_b32_sdwa v32, v4, v5 dst_sel:DWORD dst_unused:UNUSED_PAD src0_sel:WORD_0 src1_sel:DWORD
	v_or_b32_sdwa v4, v3, v6 dst_sel:DWORD dst_unused:UNUSED_PAD src0_sel:WORD_0 src1_sel:DWORD
.LBB1260_79:
	s_or_b32 exec_lo, exec_lo, s1
	v_add_nc_u32_e32 v3, 8, v29
                                        ; implicit-def: $vgpr5
	v_cmp_le_u32_e32 vcc_lo, s7, v3
                                        ; implicit-def: $vgpr3
	s_and_saveexec_b32 s0, vcc_lo
	s_xor_b32 s0, exec_lo, s0
	s_cbranch_execz .LBB1260_81
; %bb.80:
	v_mov_b32_e32 v3, 24
	v_mov_b32_e32 v5, 0xff
	;; [unrolled: 1-line block ×3, first 2 shown]
	v_perm_b32 v1, v1, v1, 0x3060504
	v_lshrrev_b32_sdwa v7, v3, v4 dst_sel:BYTE_1 dst_unused:UNUSED_PAD src0_sel:DWORD src1_sel:DWORD
	v_lshrrev_b32_sdwa v3, v3, v2 dst_sel:BYTE_1 dst_unused:UNUSED_PAD src0_sel:DWORD src1_sel:DWORD
	v_and_b32_sdwa v8, v2, v5 dst_sel:DWORD dst_unused:UNUSED_PAD src0_sel:WORD_1 src1_sel:DWORD
	v_and_b32_sdwa v5, v4, v5 dst_sel:DWORD dst_unused:UNUSED_PAD src0_sel:WORD_1 src1_sel:DWORD
	v_lshrrev_b32_sdwa v2, v6, v2 dst_sel:BYTE_1 dst_unused:UNUSED_PAD src0_sel:DWORD src1_sel:DWORD
	v_or_b32_sdwa v3, v8, v3 dst_sel:WORD_1 dst_unused:UNUSED_PAD src0_sel:DWORD src1_sel:DWORD
	v_or_b32_e32 v5, v5, v7
	v_or_b32_sdwa v3, v2, v3 dst_sel:DWORD dst_unused:UNUSED_PAD src0_sel:WORD_0 src1_sel:DWORD
	v_perm_b32 v5, v5, v4, 0x5040c00
                                        ; implicit-def: $vgpr2
                                        ; implicit-def: $vgpr4
.LBB1260_81:
	s_andn2_saveexec_b32 s1, s0
	s_cbranch_execz .LBB1260_85
; %bb.82:
	v_add_nc_u32_e32 v3, s17, v11
	v_add_nc_u32_e32 v5, s19, v11
	s_mov_b32 s2, 0
	s_mov_b32 s3, exec_lo
	v_mul_lo_u32 v3, v3, s16
	v_mul_lo_u32 v5, v5, s18
	v_sub_nc_u32_e32 v3, v3, v5
	v_cmp_lt_u32_e32 vcc_lo, s20, v3
	v_cmpx_ge_u32_e64 s20, v3
	s_cbranch_execz .LBB1260_84
; %bb.83:
	v_add_nc_u32_e32 v3, s22, v11
	v_add_nc_u32_e32 v5, s40, v11
	v_mul_lo_u32 v3, v3, s21
	v_mul_lo_u32 v5, v5, s23
	v_sub_nc_u32_e32 v3, v3, v5
	v_cmp_lt_u32_e64 s0, s41, v3
	s_and_b32 s2, s0, exec_lo
.LBB1260_84:
	s_or_b32 exec_lo, exec_lo, s3
	v_mov_b32_e32 v3, 24
	v_mov_b32_e32 v5, 0xff
	;; [unrolled: 1-line block ×3, first 2 shown]
	v_cndmask_b32_e64 v7, 0, 1, s2
	v_cndmask_b32_e64 v8, 0, 1, vcc_lo
	v_lshrrev_b32_sdwa v21, v3, v2 dst_sel:BYTE_1 dst_unused:UNUSED_PAD src0_sel:DWORD src1_sel:DWORD
	v_and_b32_sdwa v22, v2, v5 dst_sel:DWORD dst_unused:UNUSED_PAD src0_sel:WORD_1 src1_sel:DWORD
	v_lshrrev_b32_sdwa v2, v6, v2 dst_sel:BYTE_1 dst_unused:UNUSED_PAD src0_sel:DWORD src1_sel:DWORD
	v_lshlrev_b16 v6, 8, v7
	v_lshrrev_b32_sdwa v3, v3, v4 dst_sel:BYTE_1 dst_unused:UNUSED_PAD src0_sel:DWORD src1_sel:DWORD
	v_and_b32_sdwa v5, v4, v5 dst_sel:DWORD dst_unused:UNUSED_PAD src0_sel:WORD_1 src1_sel:DWORD
	v_or_b32_sdwa v7, v22, v21 dst_sel:WORD_1 dst_unused:UNUSED_PAD src0_sel:DWORD src1_sel:DWORD
	v_or_b32_e32 v2, v8, v2
	v_or_b32_sdwa v4, v4, v6 dst_sel:DWORD dst_unused:UNUSED_PAD src0_sel:BYTE_0 src1_sel:DWORD
	v_or_b32_sdwa v5, v5, v3 dst_sel:WORD_1 dst_unused:UNUSED_PAD src0_sel:DWORD src1_sel:DWORD
	v_or_b32_sdwa v3, v2, v7 dst_sel:DWORD dst_unused:UNUSED_PAD src0_sel:WORD_0 src1_sel:DWORD
	v_or_b32_sdwa v5, v4, v5 dst_sel:DWORD dst_unused:UNUSED_PAD src0_sel:WORD_0 src1_sel:DWORD
.LBB1260_85:
	s_or_b32 exec_lo, exec_lo, s1
	v_add_nc_u32_e32 v2, 9, v29
                                        ; implicit-def: $vgpr4
	v_cmp_le_u32_e32 vcc_lo, s7, v2
                                        ; implicit-def: $vgpr2
	s_and_saveexec_b32 s0, vcc_lo
	s_xor_b32 s0, exec_lo, s0
	s_cbranch_execz .LBB1260_87
; %bb.86:
	v_lshrrev_b32_e32 v2, 24, v5
	v_mov_b32_e32 v4, 8
	v_mov_b32_e32 v6, 0xff
	v_perm_b32 v1, v1, v1, 0x3060504
	v_perm_b32 v2, v2, v5, 0x40c0100
	v_mov_b32_e32 v5, 24
	v_and_b32_sdwa v6, v3, v6 dst_sel:DWORD dst_unused:UNUSED_PAD src0_sel:WORD_1 src1_sel:DWORD
	v_lshrrev_b32_sdwa v4, v4, v2 dst_sel:BYTE_1 dst_unused:UNUSED_PAD src0_sel:DWORD src1_sel:DWORD
	v_lshrrev_b32_sdwa v5, v5, v3 dst_sel:BYTE_1 dst_unused:UNUSED_PAD src0_sel:DWORD src1_sel:DWORD
	v_or_b32_sdwa v4, v2, v4 dst_sel:DWORD dst_unused:UNUSED_PAD src0_sel:BYTE_0 src1_sel:DWORD
	v_or_b32_e32 v5, v6, v5
	v_and_b32_e32 v6, 0xffff, v4
	v_perm_b32 v4, v5, v3, 0x5040c00
                                        ; implicit-def: $vgpr3
                                        ; implicit-def: $vgpr5
	v_and_or_b32 v2, 0xff000000, v2, v6
.LBB1260_87:
	s_andn2_saveexec_b32 s1, s0
	s_cbranch_execz .LBB1260_91
; %bb.88:
	v_add_nc_u32_e32 v2, s17, v12
	v_add_nc_u32_e32 v4, s19, v12
	s_mov_b32 s2, 0
	s_mov_b32 s3, exec_lo
	v_mul_lo_u32 v2, v2, s16
	v_mul_lo_u32 v4, v4, s18
	v_sub_nc_u32_e32 v2, v2, v4
	v_cmp_lt_u32_e32 vcc_lo, s20, v2
	v_cmpx_ge_u32_e64 s20, v2
	s_cbranch_execz .LBB1260_90
; %bb.89:
	v_add_nc_u32_e32 v2, s22, v12
	v_add_nc_u32_e32 v4, s40, v12
	v_mul_lo_u32 v2, v2, s21
	v_mul_lo_u32 v4, v4, s23
	v_sub_nc_u32_e32 v2, v2, v4
	v_cmp_lt_u32_e64 s0, s41, v2
	s_and_b32 s2, s0, exec_lo
.LBB1260_90:
	s_or_b32 exec_lo, exec_lo, s3
	v_cndmask_b32_e64 v2, 0, 1, vcc_lo
	v_mov_b32_e32 v4, 24
	v_mov_b32_e32 v6, 0xff
	;; [unrolled: 1-line block ×3, first 2 shown]
	v_cndmask_b32_e64 v8, 0, 1, s2
	v_lshlrev_b16 v2, 8, v2
	v_lshrrev_b32_sdwa v21, v4, v3 dst_sel:BYTE_1 dst_unused:UNUSED_PAD src0_sel:DWORD src1_sel:DWORD
	v_and_b32_sdwa v6, v3, v6 dst_sel:DWORD dst_unused:UNUSED_PAD src0_sel:WORD_1 src1_sel:DWORD
	v_lshrrev_b32_sdwa v7, v7, v5 dst_sel:BYTE_1 dst_unused:UNUSED_PAD src0_sel:DWORD src1_sel:DWORD
	v_lshrrev_b32_sdwa v4, v4, v5 dst_sel:BYTE_1 dst_unused:UNUSED_PAD src0_sel:DWORD src1_sel:DWORD
	v_or_b32_sdwa v2, v3, v2 dst_sel:DWORD dst_unused:UNUSED_PAD src0_sel:BYTE_0 src1_sel:DWORD
	v_or_b32_sdwa v3, v6, v21 dst_sel:WORD_1 dst_unused:UNUSED_PAD src0_sel:DWORD src1_sel:DWORD
	v_or_b32_sdwa v5, v5, v7 dst_sel:DWORD dst_unused:UNUSED_PAD src0_sel:BYTE_0 src1_sel:DWORD
	v_or_b32_sdwa v6, v8, v4 dst_sel:WORD_1 dst_unused:UNUSED_PAD src0_sel:DWORD src1_sel:DWORD
	v_or_b32_sdwa v4, v2, v3 dst_sel:DWORD dst_unused:UNUSED_PAD src0_sel:WORD_0 src1_sel:DWORD
	v_or_b32_sdwa v2, v5, v6 dst_sel:DWORD dst_unused:UNUSED_PAD src0_sel:WORD_0 src1_sel:DWORD
.LBB1260_91:
	s_or_b32 exec_lo, exec_lo, s1
	v_add_nc_u32_e32 v3, 10, v29
                                        ; implicit-def: $vgpr33
	v_cmp_le_u32_e32 vcc_lo, s7, v3
                                        ; implicit-def: $vgpr3
	s_and_saveexec_b32 s0, vcc_lo
	s_xor_b32 s0, exec_lo, s0
	s_cbranch_execz .LBB1260_93
; %bb.92:
	v_lshrrev_b32_e32 v3, 24, v4
	v_mov_b32_e32 v5, 8
	v_perm_b32 v1, v1, v1, 0x3060504
	v_perm_b32 v3, v3, v4, 0x40c0100
	v_lshrrev_b32_sdwa v4, v5, v3 dst_sel:BYTE_1 dst_unused:UNUSED_PAD src0_sel:DWORD src1_sel:DWORD
	v_and_b32_e32 v5, 0xff0000, v2
	v_or_b32_sdwa v4, v3, v4 dst_sel:DWORD dst_unused:UNUSED_PAD src0_sel:BYTE_0 src1_sel:DWORD
	v_perm_b32 v33, v2, v5, 0x3020504
                                        ; implicit-def: $vgpr2
	v_and_b32_e32 v4, 0xffff, v4
	v_and_or_b32 v3, 0xff000000, v3, v4
                                        ; implicit-def: $vgpr4
.LBB1260_93:
	s_andn2_saveexec_b32 s1, s0
	s_cbranch_execz .LBB1260_97
; %bb.94:
	v_add_nc_u32_e32 v3, s17, v9
	v_add_nc_u32_e32 v5, s19, v9
	s_mov_b32 s2, 0
	s_mov_b32 s3, exec_lo
	v_mul_lo_u32 v3, v3, s16
	v_mul_lo_u32 v5, v5, s18
	v_sub_nc_u32_e32 v3, v3, v5
	v_cmp_lt_u32_e32 vcc_lo, s20, v3
	v_cmpx_ge_u32_e64 s20, v3
	s_cbranch_execz .LBB1260_96
; %bb.95:
	v_add_nc_u32_e32 v3, s22, v9
	v_add_nc_u32_e32 v5, s40, v9
	v_mul_lo_u32 v3, v3, s21
	v_mul_lo_u32 v5, v5, s23
	v_sub_nc_u32_e32 v3, v3, v5
	v_cmp_lt_u32_e64 s0, s41, v3
	s_and_b32 s2, s0, exec_lo
.LBB1260_96:
	s_or_b32 exec_lo, exec_lo, s3
	v_mov_b32_e32 v3, 8
	v_mov_b32_e32 v5, 24
	v_cndmask_b32_e64 v7, 0, 1, s2
	v_mov_b32_e32 v8, 0xff
	v_cndmask_b32_e64 v6, 0, 1, vcc_lo
	v_lshrrev_b32_sdwa v21, v3, v4 dst_sel:BYTE_1 dst_unused:UNUSED_PAD src0_sel:DWORD src1_sel:DWORD
	v_lshrrev_b32_sdwa v5, v5, v4 dst_sel:BYTE_1 dst_unused:UNUSED_PAD src0_sel:DWORD src1_sel:DWORD
	;; [unrolled: 1-line block ×3, first 2 shown]
	v_lshlrev_b16 v7, 8, v7
	v_and_b32_sdwa v8, v2, v8 dst_sel:DWORD dst_unused:UNUSED_PAD src0_sel:WORD_1 src1_sel:DWORD
	v_or_b32_sdwa v4, v4, v21 dst_sel:DWORD dst_unused:UNUSED_PAD src0_sel:BYTE_0 src1_sel:DWORD
	v_or_b32_sdwa v5, v6, v5 dst_sel:WORD_1 dst_unused:UNUSED_PAD src0_sel:DWORD src1_sel:DWORD
	v_or_b32_sdwa v2, v2, v3 dst_sel:DWORD dst_unused:UNUSED_PAD src0_sel:BYTE_0 src1_sel:DWORD
	v_or_b32_sdwa v6, v8, v7 dst_sel:WORD_1 dst_unused:UNUSED_PAD src0_sel:DWORD src1_sel:DWORD
	v_or_b32_sdwa v3, v4, v5 dst_sel:DWORD dst_unused:UNUSED_PAD src0_sel:WORD_0 src1_sel:DWORD
	v_or_b32_sdwa v33, v2, v6 dst_sel:DWORD dst_unused:UNUSED_PAD src0_sel:WORD_0 src1_sel:DWORD
.LBB1260_97:
	s_or_b32 exec_lo, exec_lo, s1
	v_add_nc_u32_e32 v2, 11, v29
	v_mov_b32_e32 v34, 0
	s_mov_b32 s0, exec_lo
                                        ; implicit-def: $vgpr35
	v_cmpx_le_u32_e64 s7, v2
	s_xor_b32 s0, exec_lo, s0
; %bb.98:
	v_and_b32_e32 v2, 0xff0000, v3
	v_perm_b32 v1, v1, v1, 0x3060504
	v_perm_b32 v35, v3, v2, 0x3020504
                                        ; implicit-def: $vgpr3
; %bb.99:
	s_andn2_saveexec_b32 s1, s0
	s_cbranch_execz .LBB1260_103
; %bb.100:
	v_add_nc_u32_e32 v2, s17, v10
	v_add_nc_u32_e32 v4, s19, v10
	s_mov_b32 s2, 0
	s_mov_b32 s3, exec_lo
	v_mul_lo_u32 v2, v2, s16
	v_mul_lo_u32 v4, v4, s18
	v_sub_nc_u32_e32 v2, v2, v4
	v_cmp_lt_u32_e32 vcc_lo, s20, v2
	v_cmpx_ge_u32_e64 s20, v2
	s_cbranch_execz .LBB1260_102
; %bb.101:
	v_add_nc_u32_e32 v2, s22, v10
	v_add_nc_u32_e32 v4, s40, v10
	v_mul_lo_u32 v2, v2, s21
	v_mul_lo_u32 v4, v4, s23
	v_sub_nc_u32_e32 v2, v2, v4
	v_cmp_lt_u32_e64 s0, s41, v2
	s_and_b32 s2, s0, exec_lo
.LBB1260_102:
	s_or_b32 exec_lo, exec_lo, s3
	v_mov_b32_e32 v2, 8
	v_cndmask_b32_e64 v4, 0, 1, vcc_lo
	v_mov_b32_e32 v5, 0xff
	v_cndmask_b32_e64 v34, 0, 1, s2
	v_lshrrev_b32_sdwa v2, v2, v3 dst_sel:BYTE_1 dst_unused:UNUSED_PAD src0_sel:DWORD src1_sel:DWORD
	v_lshlrev_b16 v4, 8, v4
	v_and_b32_sdwa v5, v3, v5 dst_sel:DWORD dst_unused:UNUSED_PAD src0_sel:WORD_1 src1_sel:DWORD
	v_or_b32_sdwa v2, v3, v2 dst_sel:DWORD dst_unused:UNUSED_PAD src0_sel:BYTE_0 src1_sel:DWORD
	v_or_b32_sdwa v3, v5, v4 dst_sel:WORD_1 dst_unused:UNUSED_PAD src0_sel:DWORD src1_sel:DWORD
	v_or_b32_sdwa v35, v2, v3 dst_sel:DWORD dst_unused:UNUSED_PAD src0_sel:WORD_0 src1_sel:DWORD
.LBB1260_103:
	s_or_b32 exec_lo, exec_lo, s1
	v_add_nc_u32_e32 v2, 12, v29
	s_mov_b32 s0, exec_lo
                                        ; implicit-def: $vgpr36
	v_cmpx_le_u32_e64 s7, v2
	s_xor_b32 s0, exec_lo, s0
	s_cbranch_execz .LBB1260_105
; %bb.104:
	v_mov_b32_e32 v2, 24
	v_mov_b32_e32 v3, 0xff
	;; [unrolled: 1-line block ×3, first 2 shown]
	v_lshrrev_b32_sdwa v2, v2, v1 dst_sel:BYTE_1 dst_unused:UNUSED_PAD src0_sel:DWORD src1_sel:DWORD
	v_and_b32_sdwa v3, v1, v3 dst_sel:DWORD dst_unused:UNUSED_PAD src0_sel:WORD_1 src1_sel:DWORD
	v_lshrrev_b32_sdwa v1, v4, v1 dst_sel:BYTE_1 dst_unused:UNUSED_PAD src0_sel:DWORD src1_sel:DWORD
	v_or_b32_sdwa v2, v3, v2 dst_sel:WORD_1 dst_unused:UNUSED_PAD src0_sel:DWORD src1_sel:DWORD
	v_or_b32_sdwa v36, v1, v2 dst_sel:DWORD dst_unused:UNUSED_PAD src0_sel:WORD_0 src1_sel:DWORD
                                        ; implicit-def: $vgpr1
.LBB1260_105:
	s_or_saveexec_b32 s1, s0
	v_mov_b32_e32 v37, 0
	s_xor_b32 exec_lo, exec_lo, s1
	s_cbranch_execz .LBB1260_109
; %bb.106:
	v_add_nc_u32_e32 v2, s17, v28
	v_add_nc_u32_e32 v3, s19, v28
	s_mov_b32 s2, 0
	s_mov_b32 s3, exec_lo
	v_mul_lo_u32 v2, v2, s16
	v_mul_lo_u32 v3, v3, s18
	v_sub_nc_u32_e32 v2, v2, v3
	v_cmp_lt_u32_e32 vcc_lo, s20, v2
	v_cmpx_ge_u32_e64 s20, v2
	s_cbranch_execz .LBB1260_108
; %bb.107:
	v_add_nc_u32_e32 v2, s22, v28
	v_add_nc_u32_e32 v3, s40, v28
	v_mul_lo_u32 v2, v2, s21
	v_mul_lo_u32 v3, v3, s23
	v_sub_nc_u32_e32 v2, v2, v3
	v_cmp_lt_u32_e64 s0, s41, v2
	s_and_b32 s2, s0, exec_lo
.LBB1260_108:
	s_or_b32 exec_lo, exec_lo, s3
	v_mov_b32_e32 v2, 24
	v_mov_b32_e32 v3, 0xff
	;; [unrolled: 1-line block ×3, first 2 shown]
	v_cndmask_b32_e64 v5, 0, 1, vcc_lo
	v_cndmask_b32_e64 v37, 0, 1, s2
	v_lshrrev_b32_sdwa v2, v2, v1 dst_sel:BYTE_1 dst_unused:UNUSED_PAD src0_sel:DWORD src1_sel:DWORD
	v_and_b32_sdwa v3, v1, v3 dst_sel:DWORD dst_unused:UNUSED_PAD src0_sel:WORD_1 src1_sel:DWORD
	v_lshrrev_b32_sdwa v1, v4, v1 dst_sel:BYTE_1 dst_unused:UNUSED_PAD src0_sel:DWORD src1_sel:DWORD
	v_or_b32_sdwa v2, v3, v2 dst_sel:WORD_1 dst_unused:UNUSED_PAD src0_sel:DWORD src1_sel:DWORD
	v_or_b32_e32 v1, v5, v1
	v_or_b32_sdwa v36, v1, v2 dst_sel:DWORD dst_unused:UNUSED_PAD src0_sel:WORD_0 src1_sel:DWORD
.LBB1260_109:
	s_or_b32 exec_lo, exec_lo, s1
.LBB1260_110:
	v_and_b32_e32 v60, 0xff, v30
	v_bfe_u32 v61, v36, 8, 8
	v_bfe_u32 v57, v30, 8, 8
	;; [unrolled: 1-line block ×4, first 2 shown]
	v_lshrrev_b32_e32 v43, 24, v36
	v_lshrrev_b32_e32 v42, 24, v30
	v_and_b32_e32 v56, 0xff, v31
	v_and_b32_e32 v54, 0xff, v32
	v_bfe_u32 v55, v31, 8, 8
	v_add3_u32 v1, v57, v60, v59
	v_add3_u32 v2, v58, v61, v43
	v_bfe_u32 v52, v32, 8, 8
	v_bfe_u32 v53, v31, 16, 8
	;; [unrolled: 1-line block ×3, first 2 shown]
	v_lshrrev_b32_e32 v41, 24, v31
	v_add3_u32 v1, v1, v42, v54
	v_add3_u32 v2, v2, v56, v55
	v_lshrrev_b32_e32 v40, 24, v32
	v_and_b32_e32 v51, 0xff, v33
	v_and_b32_e32 v49, 0xff, v35
	v_bfe_u32 v50, v33, 8, 8
	v_add3_u32 v1, v1, v52, v46
	v_add3_u32 v2, v2, v53, v41
	v_bfe_u32 v47, v35, 8, 8
	v_bfe_u32 v48, v33, 16, 8
	;; [unrolled: 1-line block ×3, first 2 shown]
	v_lshrrev_b32_e32 v39, 24, v33
	v_add3_u32 v1, v1, v40, v49
	v_add3_u32 v2, v2, v51, v50
	v_mbcnt_lo_u32_b32 v62, -1, 0
	v_lshrrev_b32_e32 v38, 24, v35
	v_and_b32_e32 v44, 0xff, v34
	v_and_b32_e32 v3, 0xff, v36
	;; [unrolled: 1-line block ×3, first 2 shown]
	v_add3_u32 v1, v1, v47, v45
	v_add3_u32 v2, v2, v48, v39
	v_and_b32_e32 v64, 15, v62
	v_and_b32_e32 v66, 16, v62
	v_lshrrev_b32_e32 v63, 5, v0
	v_add3_u32 v67, v1, v38, v3
	v_add3_u32 v68, v2, v44, v4
	v_cmp_eq_u32_e64 s1, 0, v64
	v_cmp_lt_u32_e64 s0, 1, v64
	v_cmp_lt_u32_e64 s2, 3, v64
	v_or_b32_e32 v65, 31, v0
	s_cmp_lg_u32 s6, 0
	s_mov_b32 s3, -1
	v_cmp_lt_u32_e32 vcc_lo, 7, v64
	s_cbranch_scc0 .LBB1260_132
; %bb.111:
	v_mov_b32_dpp v1, v68 row_shr:1 row_mask:0xf bank_mask:0xf
	v_mov_b32_dpp v2, v67 row_shr:1 row_mask:0xf bank_mask:0xf
	s_mov_b32 s3, exec_lo
	v_add_nc_u32_e32 v1, v1, v68
	v_add_nc_u32_e32 v2, v2, v67
	v_cndmask_b32_e64 v1, v1, v68, s1
	v_cndmask_b32_e64 v2, v2, v67, s1
	v_mov_b32_dpp v3, v1 row_shr:2 row_mask:0xf bank_mask:0xf
	v_mov_b32_dpp v4, v2 row_shr:2 row_mask:0xf bank_mask:0xf
	v_add_nc_u32_e32 v3, v1, v3
	v_add_nc_u32_e32 v4, v2, v4
	v_cndmask_b32_e64 v1, v1, v3, s0
	v_cndmask_b32_e64 v2, v2, v4, s0
	v_mov_b32_dpp v3, v1 row_shr:4 row_mask:0xf bank_mask:0xf
	v_mov_b32_dpp v4, v2 row_shr:4 row_mask:0xf bank_mask:0xf
	v_add_nc_u32_e32 v3, v1, v3
	v_add_nc_u32_e32 v4, v2, v4
	v_cndmask_b32_e64 v1, v1, v3, s2
	v_cndmask_b32_e64 v2, v2, v4, s2
	v_mov_b32_dpp v3, v1 row_shr:8 row_mask:0xf bank_mask:0xf
	v_mov_b32_dpp v4, v2 row_shr:8 row_mask:0xf bank_mask:0xf
	v_add_nc_u32_e32 v3, v1, v3
	v_add_nc_u32_e32 v4, v2, v4
	v_cndmask_b32_e32 v1, v1, v3, vcc_lo
	v_cndmask_b32_e32 v2, v2, v4, vcc_lo
	v_cmp_eq_u32_e32 vcc_lo, 0, v66
	ds_swizzle_b32 v3, v1 offset:swizzle(BROADCAST,32,15)
	ds_swizzle_b32 v4, v2 offset:swizzle(BROADCAST,32,15)
	s_waitcnt lgkmcnt(0)
	v_add_nc_u32_e32 v3, v1, v3
	v_add_nc_u32_e32 v4, v2, v4
	v_cmpx_eq_u32_e64 v0, v65
	s_cbranch_execz .LBB1260_113
; %bb.112:
	v_lshlrev_b32_e32 v7, 3, v63
	v_cndmask_b32_e32 v6, v3, v1, vcc_lo
	v_cndmask_b32_e32 v5, v4, v2, vcc_lo
	ds_write_b64 v7, v[5:6]
.LBB1260_113:
	s_or_b32 exec_lo, exec_lo, s3
	s_mov_b32 s3, exec_lo
	s_waitcnt lgkmcnt(0)
	s_barrier
	buffer_gl0_inv
	v_cmpx_gt_u32_e32 8, v0
	s_cbranch_execz .LBB1260_115
; %bb.114:
	v_lshlrev_b32_e32 v7, 3, v0
	v_and_b32_e32 v22, 7, v62
	ds_read_b64 v[5:6], v7
	v_cmp_eq_u32_e64 s2, 0, v22
	s_waitcnt lgkmcnt(0)
	v_mov_b32_dpp v8, v5 row_shr:1 row_mask:0xf bank_mask:0xf
	v_mov_b32_dpp v21, v6 row_shr:1 row_mask:0xf bank_mask:0xf
	v_add_nc_u32_e32 v8, v8, v5
	v_add_nc_u32_e32 v21, v21, v6
	v_cndmask_b32_e64 v5, v8, v5, s2
	v_cndmask_b32_e64 v6, v21, v6, s2
	v_cmp_lt_u32_e64 s2, 1, v22
	v_mov_b32_dpp v8, v5 row_shr:2 row_mask:0xf bank_mask:0xf
	v_mov_b32_dpp v21, v6 row_shr:2 row_mask:0xf bank_mask:0xf
	v_add_nc_u32_e32 v8, v5, v8
	v_add_nc_u32_e32 v21, v6, v21
	v_cndmask_b32_e64 v5, v5, v8, s2
	v_cndmask_b32_e64 v6, v6, v21, s2
	v_cmp_lt_u32_e64 s2, 3, v22
	v_mov_b32_dpp v8, v5 row_shr:4 row_mask:0xf bank_mask:0xf
	v_mov_b32_dpp v21, v6 row_shr:4 row_mask:0xf bank_mask:0xf
	v_cndmask_b32_e64 v8, 0, v8, s2
	v_cndmask_b32_e64 v21, 0, v21, s2
	v_add_nc_u32_e32 v5, v8, v5
	v_add_nc_u32_e32 v6, v21, v6
	ds_write_b64 v7, v[5:6]
.LBB1260_115:
	s_or_b32 exec_lo, exec_lo, s3
	v_cndmask_b32_e32 v1, v3, v1, vcc_lo
	v_cndmask_b32_e32 v2, v4, v2, vcc_lo
	s_mov_b32 s3, exec_lo
	v_cmp_gt_u32_e32 vcc_lo, 32, v0
	s_waitcnt lgkmcnt(0)
	s_barrier
	buffer_gl0_inv
                                        ; implicit-def: $vgpr21
	v_cmpx_lt_u32_e32 31, v0
	s_cbranch_execz .LBB1260_117
; %bb.116:
	v_lshl_add_u32 v3, v63, 3, -8
	ds_read_b64 v[21:22], v3
	s_waitcnt lgkmcnt(0)
	v_add_nc_u32_e32 v1, v22, v1
	v_add_nc_u32_e32 v2, v21, v2
.LBB1260_117:
	s_or_b32 exec_lo, exec_lo, s3
	v_sub_co_u32 v3, s2, v62, 1
	v_cmp_gt_i32_e64 s3, 0, v3
	v_cndmask_b32_e64 v3, v3, v62, s3
	v_lshlrev_b32_e32 v3, 2, v3
	ds_bpermute_b32 v69, v3, v2
	ds_bpermute_b32 v70, v3, v1
	s_and_saveexec_b32 s3, vcc_lo
	s_cbranch_execz .LBB1260_137
; %bb.118:
	v_mov_b32_e32 v4, 0
	ds_read_b64 v[1:2], v4 offset:56
	s_and_saveexec_b32 s8, s2
	s_cbranch_execz .LBB1260_120
; %bb.119:
	s_add_i32 s10, s6, 32
	s_mov_b32 s11, 0
	v_mov_b32_e32 v3, 1
	s_lshl_b64 s[10:11], s[10:11], 4
	s_add_u32 s10, s4, s10
	s_addc_u32 s11, s5, s11
	v_mov_b32_e32 v5, s10
	v_mov_b32_e32 v6, s11
	s_waitcnt lgkmcnt(0)
	;;#ASMSTART
	global_store_dwordx4 v[5:6], v[1:4] off	
s_waitcnt vmcnt(0)
	;;#ASMEND
.LBB1260_120:
	s_or_b32 exec_lo, exec_lo, s8
	v_xad_u32 v23, v62, -1, s6
	s_mov_b32 s9, 0
	v_add_nc_u32_e32 v3, 32, v23
	v_lshlrev_b64 v[5:6], 4, v[3:4]
	v_add_co_u32 v24, vcc_lo, s4, v5
	v_add_co_ci_u32_e64 v25, null, s5, v6, vcc_lo
	;;#ASMSTART
	global_load_dwordx4 v[5:8], v[24:25] off glc dlc	
s_waitcnt vmcnt(0)
	;;#ASMEND
	v_cmp_eq_u16_sdwa s10, v7, v4 src0_sel:BYTE_0 src1_sel:DWORD
	s_and_saveexec_b32 s8, s10
	s_cbranch_execz .LBB1260_124
; %bb.121:
	v_mov_b32_e32 v3, 0
.LBB1260_122:                           ; =>This Inner Loop Header: Depth=1
	;;#ASMSTART
	global_load_dwordx4 v[5:8], v[24:25] off glc dlc	
s_waitcnt vmcnt(0)
	;;#ASMEND
	v_cmp_ne_u16_sdwa s10, v7, v3 src0_sel:BYTE_0 src1_sel:DWORD
	s_or_b32 s9, s10, s9
	s_andn2_b32 exec_lo, exec_lo, s9
	s_cbranch_execnz .LBB1260_122
; %bb.123:
	s_or_b32 exec_lo, exec_lo, s9
.LBB1260_124:
	s_or_b32 exec_lo, exec_lo, s8
	v_cmp_ne_u32_e32 vcc_lo, 31, v62
	v_mov_b32_e32 v72, 2
	v_lshlrev_b32_e64 v73, v62, -1
	v_add_nc_u32_e32 v75, 2, v62
	v_add_nc_u32_e32 v77, 4, v62
	v_add_co_ci_u32_e64 v3, null, 0, v62, vcc_lo
	v_cmp_eq_u16_sdwa s8, v7, v72 src0_sel:BYTE_0 src1_sel:DWORD
	v_cmp_gt_u32_e32 vcc_lo, 30, v62
	v_add_nc_u32_e32 v79, 8, v62
	v_lshlrev_b32_e32 v71, 2, v3
	v_lshl_or_b32 v80, v62, 2, 64
	v_and_b32_e32 v8, s8, v73
	v_cndmask_b32_e64 v24, 0, 2, vcc_lo
	v_add_nc_u32_e32 v81, 16, v62
	ds_bpermute_b32 v3, v71, v6
	ds_bpermute_b32 v4, v71, v5
	v_or_b32_e32 v8, 0x80000000, v8
	v_add_lshl_u32 v74, v24, v62, 2
	v_ffbl_b32_e32 v8, v8
	v_cmp_lt_u32_e32 vcc_lo, v62, v8
	s_waitcnt lgkmcnt(1)
	v_add_nc_u32_e32 v3, v3, v6
	s_waitcnt lgkmcnt(0)
	v_add_nc_u32_e32 v4, v4, v5
	v_cndmask_b32_e32 v3, v6, v3, vcc_lo
	v_cndmask_b32_e32 v4, v5, v4, vcc_lo
	v_cmp_gt_u32_e32 vcc_lo, 28, v62
	ds_bpermute_b32 v5, v74, v3
	ds_bpermute_b32 v6, v74, v4
	v_cndmask_b32_e64 v24, 0, 4, vcc_lo
	v_cmp_gt_u32_e32 vcc_lo, v75, v8
	v_add_lshl_u32 v76, v24, v62, 2
	s_waitcnt lgkmcnt(1)
	v_add_nc_u32_e32 v5, v3, v5
	s_waitcnt lgkmcnt(0)
	v_add_nc_u32_e32 v6, v4, v6
	v_cndmask_b32_e32 v3, v5, v3, vcc_lo
	v_cndmask_b32_e32 v4, v6, v4, vcc_lo
	v_cmp_gt_u32_e32 vcc_lo, 24, v62
	ds_bpermute_b32 v5, v76, v3
	ds_bpermute_b32 v6, v76, v4
	v_cndmask_b32_e64 v24, 0, 8, vcc_lo
	v_cmp_gt_u32_e32 vcc_lo, v77, v8
	v_add_lshl_u32 v78, v24, v62, 2
	v_mov_b32_e32 v24, 0
	s_waitcnt lgkmcnt(1)
	v_add_nc_u32_e32 v5, v3, v5
	s_waitcnt lgkmcnt(0)
	v_add_nc_u32_e32 v6, v4, v6
	v_cndmask_b32_e32 v3, v5, v3, vcc_lo
	v_cndmask_b32_e32 v4, v6, v4, vcc_lo
	v_cmp_gt_u32_e32 vcc_lo, v79, v8
	ds_bpermute_b32 v5, v78, v3
	ds_bpermute_b32 v6, v78, v4
	s_waitcnt lgkmcnt(1)
	v_add_nc_u32_e32 v5, v3, v5
	s_waitcnt lgkmcnt(0)
	v_add_nc_u32_e32 v6, v4, v6
	v_cndmask_b32_e32 v3, v5, v3, vcc_lo
	v_cndmask_b32_e32 v4, v6, v4, vcc_lo
	v_cmp_le_u32_e32 vcc_lo, v81, v8
	ds_bpermute_b32 v6, v80, v3
	ds_bpermute_b32 v5, v80, v4
	s_waitcnt lgkmcnt(1)
	v_cndmask_b32_e32 v6, 0, v6, vcc_lo
	s_waitcnt lgkmcnt(0)
	v_cndmask_b32_e32 v5, 0, v5, vcc_lo
	v_add_nc_u32_e32 v6, v6, v3
	v_add_nc_u32_e32 v5, v5, v4
	s_branch .LBB1260_128
.LBB1260_125:                           ;   in Loop: Header=BB1260_128 Depth=1
	s_or_b32 exec_lo, exec_lo, s9
.LBB1260_126:                           ;   in Loop: Header=BB1260_128 Depth=1
	s_or_b32 exec_lo, exec_lo, s8
	ds_bpermute_b32 v8, v71, v5
	ds_bpermute_b32 v25, v71, v6
	v_cmp_eq_u16_sdwa s8, v7, v72 src0_sel:BYTE_0 src1_sel:DWORD
	v_subrev_nc_u32_e32 v23, 32, v23
	v_and_or_b32 v26, s8, v73, 0x80000000
	s_mov_b32 s8, 0
	v_ffbl_b32_e32 v26, v26
	v_cmp_lt_u32_e32 vcc_lo, v62, v26
	s_waitcnt lgkmcnt(1)
	v_add_nc_u32_e32 v8, v8, v5
	s_waitcnt lgkmcnt(0)
	v_add_nc_u32_e32 v25, v25, v6
	v_cndmask_b32_e32 v5, v5, v8, vcc_lo
	v_cndmask_b32_e32 v6, v6, v25, vcc_lo
	v_cmp_gt_u32_e32 vcc_lo, v75, v26
	ds_bpermute_b32 v8, v74, v5
	ds_bpermute_b32 v25, v74, v6
	s_waitcnt lgkmcnt(1)
	v_add_nc_u32_e32 v8, v5, v8
	s_waitcnt lgkmcnt(0)
	v_add_nc_u32_e32 v25, v6, v25
	v_cndmask_b32_e32 v5, v8, v5, vcc_lo
	v_cndmask_b32_e32 v6, v25, v6, vcc_lo
	v_cmp_gt_u32_e32 vcc_lo, v77, v26
	ds_bpermute_b32 v8, v76, v5
	ds_bpermute_b32 v25, v76, v6
	;; [unrolled: 9-line block ×3, first 2 shown]
	s_waitcnt lgkmcnt(1)
	v_add_nc_u32_e32 v8, v5, v8
	s_waitcnt lgkmcnt(0)
	v_add_nc_u32_e32 v25, v6, v25
	v_cndmask_b32_e32 v5, v8, v5, vcc_lo
	v_cndmask_b32_e32 v6, v25, v6, vcc_lo
	v_cmp_le_u32_e32 vcc_lo, v81, v26
	ds_bpermute_b32 v8, v80, v5
	ds_bpermute_b32 v25, v80, v6
	s_waitcnt lgkmcnt(1)
	v_cndmask_b32_e32 v8, 0, v8, vcc_lo
	s_waitcnt lgkmcnt(0)
	v_cndmask_b32_e32 v25, 0, v25, vcc_lo
	v_add3_u32 v5, v5, v3, v8
	v_add3_u32 v6, v6, v4, v25
.LBB1260_127:                           ;   in Loop: Header=BB1260_128 Depth=1
	s_and_b32 vcc_lo, exec_lo, s8
	s_cbranch_vccnz .LBB1260_133
.LBB1260_128:                           ; =>This Loop Header: Depth=1
                                        ;     Child Loop BB1260_131 Depth 2
	v_cmp_ne_u16_sdwa s8, v7, v72 src0_sel:BYTE_0 src1_sel:DWORD
	v_mov_b32_e32 v3, v5
	v_mov_b32_e32 v4, v6
                                        ; implicit-def: $vgpr7
                                        ; implicit-def: $vgpr5_vgpr6
	s_cmp_lg_u32 s8, exec_lo
	s_mov_b32 s8, -1
	s_cbranch_scc1 .LBB1260_127
; %bb.129:                              ;   in Loop: Header=BB1260_128 Depth=1
	v_lshlrev_b64 v[5:6], 4, v[23:24]
	v_add_co_u32 v25, vcc_lo, s4, v5
	v_add_co_ci_u32_e64 v26, null, s5, v6, vcc_lo
	;;#ASMSTART
	global_load_dwordx4 v[5:8], v[25:26] off glc dlc	
s_waitcnt vmcnt(0)
	;;#ASMEND
	v_cmp_eq_u16_sdwa s9, v7, v24 src0_sel:BYTE_0 src1_sel:DWORD
	s_and_saveexec_b32 s8, s9
	s_cbranch_execz .LBB1260_126
; %bb.130:                              ;   in Loop: Header=BB1260_128 Depth=1
	s_mov_b32 s9, 0
.LBB1260_131:                           ;   Parent Loop BB1260_128 Depth=1
                                        ; =>  This Inner Loop Header: Depth=2
	;;#ASMSTART
	global_load_dwordx4 v[5:8], v[25:26] off glc dlc	
s_waitcnt vmcnt(0)
	;;#ASMEND
	v_cmp_ne_u16_sdwa s10, v7, v24 src0_sel:BYTE_0 src1_sel:DWORD
	s_or_b32 s9, s10, s9
	s_andn2_b32 exec_lo, exec_lo, s9
	s_cbranch_execnz .LBB1260_131
	s_branch .LBB1260_125
.LBB1260_132:
                                        ; implicit-def: $vgpr23
                                        ; implicit-def: $vgpr3
                                        ; implicit-def: $vgpr24
	s_and_b32 vcc_lo, exec_lo, s3
	s_cbranch_vccnz .LBB1260_138
	s_branch .LBB1260_147
.LBB1260_133:
	s_and_saveexec_b32 s8, s2
	s_cbranch_execnz .LBB1260_375
; %bb.134:
	s_or_b32 exec_lo, exec_lo, s8
	s_and_saveexec_b32 s6, s2
	s_cbranch_execnz .LBB1260_376
.LBB1260_135:
	s_or_b32 exec_lo, exec_lo, s6
	v_cmp_eq_u32_e32 vcc_lo, 0, v0
	s_and_b32 exec_lo, exec_lo, vcc_lo
.LBB1260_136:
	v_mov_b32_e32 v1, 0
	ds_write_b64 v1, v[3:4] offset:56
.LBB1260_137:
	s_or_b32 exec_lo, exec_lo, s3
	v_mov_b32_e32 v1, 0
	s_waitcnt lgkmcnt(0)
	s_barrier
	buffer_gl0_inv
	v_cndmask_b32_e64 v7, v69, v21, s2
	ds_read_b64 v[5:6], v1 offset:56
	s_waitcnt lgkmcnt(0)
	s_barrier
	buffer_gl0_inv
	ds_read_b128 v[1:4], v1 offset:13312
	v_cndmask_b32_e64 v8, v70, v22, s2
	v_cmp_eq_u32_e32 vcc_lo, 0, v0
	v_add_nc_u32_e32 v7, v5, v7
	v_add_nc_u32_e32 v8, v6, v8
	v_cndmask_b32_e32 v24, v7, v5, vcc_lo
	v_cndmask_b32_e32 v23, v8, v6, vcc_lo
	s_branch .LBB1260_147
.LBB1260_138:
	s_waitcnt lgkmcnt(0)
	v_mov_b32_dpp v1, v67 row_shr:1 row_mask:0xf bank_mask:0xf
	v_mov_b32_dpp v2, v68 row_shr:1 row_mask:0xf bank_mask:0xf
	v_cmp_lt_u32_e32 vcc_lo, 3, v64
	v_add_nc_u32_e32 v1, v1, v67
	v_add_nc_u32_e32 v2, v2, v68
	v_cndmask_b32_e64 v1, v1, v67, s1
	v_cndmask_b32_e64 v2, v2, v68, s1
	s_mov_b32 s1, exec_lo
	v_mov_b32_dpp v3, v1 row_shr:2 row_mask:0xf bank_mask:0xf
	v_mov_b32_dpp v4, v2 row_shr:2 row_mask:0xf bank_mask:0xf
	v_add_nc_u32_e32 v3, v1, v3
	v_add_nc_u32_e32 v4, v2, v4
	v_cndmask_b32_e64 v1, v1, v3, s0
	v_cndmask_b32_e64 v2, v2, v4, s0
	v_mov_b32_dpp v3, v1 row_shr:4 row_mask:0xf bank_mask:0xf
	v_mov_b32_dpp v4, v2 row_shr:4 row_mask:0xf bank_mask:0xf
	v_add_nc_u32_e32 v3, v1, v3
	v_add_nc_u32_e32 v4, v2, v4
	v_cndmask_b32_e32 v3, v1, v3, vcc_lo
	v_cndmask_b32_e32 v2, v2, v4, vcc_lo
	v_cmp_lt_u32_e32 vcc_lo, 7, v64
	v_mov_b32_dpp v1, v3 row_shr:8 row_mask:0xf bank_mask:0xf
	v_mov_b32_dpp v4, v2 row_shr:8 row_mask:0xf bank_mask:0xf
	v_add_nc_u32_e32 v5, v3, v1
	v_add_nc_u32_e32 v1, v2, v4
	v_cndmask_b32_e32 v1, v2, v1, vcc_lo
	v_cndmask_b32_e32 v2, v3, v5, vcc_lo
	v_cmp_eq_u32_e32 vcc_lo, 0, v66
	ds_swizzle_b32 v3, v1 offset:swizzle(BROADCAST,32,15)
	ds_swizzle_b32 v4, v2 offset:swizzle(BROADCAST,32,15)
	s_waitcnt lgkmcnt(1)
	v_add_nc_u32_e32 v3, v1, v3
	s_waitcnt lgkmcnt(0)
	v_add_nc_u32_e32 v4, v2, v4
	v_cmpx_eq_u32_e64 v0, v65
	s_cbranch_execz .LBB1260_140
; %bb.139:
	v_cndmask_b32_e32 v5, v4, v2, vcc_lo
	v_cndmask_b32_e32 v6, v3, v1, vcc_lo
	v_lshlrev_b32_e32 v7, 3, v63
	ds_write_b64 v7, v[5:6]
.LBB1260_140:
	s_or_b32 exec_lo, exec_lo, s1
	s_mov_b32 s1, exec_lo
	s_waitcnt lgkmcnt(0)
	s_barrier
	buffer_gl0_inv
	v_cmpx_gt_u32_e32 8, v0
	s_cbranch_execz .LBB1260_142
; %bb.141:
	v_lshlrev_b32_e32 v7, 3, v0
	v_and_b32_e32 v22, 7, v62
	ds_read_b64 v[5:6], v7
	v_cmp_eq_u32_e64 s0, 0, v22
	s_waitcnt lgkmcnt(0)
	v_mov_b32_dpp v8, v5 row_shr:1 row_mask:0xf bank_mask:0xf
	v_mov_b32_dpp v21, v6 row_shr:1 row_mask:0xf bank_mask:0xf
	v_add_nc_u32_e32 v8, v8, v5
	v_add_nc_u32_e32 v21, v21, v6
	v_cndmask_b32_e64 v5, v8, v5, s0
	v_cndmask_b32_e64 v6, v21, v6, s0
	v_cmp_lt_u32_e64 s0, 1, v22
	v_mov_b32_dpp v8, v5 row_shr:2 row_mask:0xf bank_mask:0xf
	v_mov_b32_dpp v21, v6 row_shr:2 row_mask:0xf bank_mask:0xf
	v_add_nc_u32_e32 v8, v5, v8
	v_add_nc_u32_e32 v21, v6, v21
	v_cndmask_b32_e64 v5, v5, v8, s0
	v_cndmask_b32_e64 v6, v6, v21, s0
	v_cmp_lt_u32_e64 s0, 3, v22
	v_mov_b32_dpp v8, v5 row_shr:4 row_mask:0xf bank_mask:0xf
	v_mov_b32_dpp v21, v6 row_shr:4 row_mask:0xf bank_mask:0xf
	v_cndmask_b32_e64 v8, 0, v8, s0
	v_cndmask_b32_e64 v21, 0, v21, s0
	v_add_nc_u32_e32 v5, v8, v5
	v_add_nc_u32_e32 v6, v21, v6
	ds_write_b64 v7, v[5:6]
.LBB1260_142:
	s_or_b32 exec_lo, exec_lo, s1
	v_mov_b32_e32 v7, 0
	v_mov_b32_e32 v5, 0
	;; [unrolled: 1-line block ×3, first 2 shown]
	s_mov_b32 s1, exec_lo
	s_waitcnt lgkmcnt(0)
	s_barrier
	buffer_gl0_inv
	v_cmpx_lt_u32_e32 31, v0
; %bb.143:
	v_lshl_add_u32 v5, v63, 3, -8
	ds_read_b64 v[5:6], v5
; %bb.144:
	s_or_b32 exec_lo, exec_lo, s1
	v_sub_co_u32 v8, s0, v62, 1
	v_cndmask_b32_e32 v2, v4, v2, vcc_lo
	v_cndmask_b32_e32 v1, v3, v1, vcc_lo
	v_cmp_eq_u32_e32 vcc_lo, 0, v0
	v_cmp_gt_i32_e64 s1, 0, v8
	s_waitcnt lgkmcnt(0)
	v_add_nc_u32_e32 v2, v5, v2
	v_add_nc_u32_e32 v1, v6, v1
	v_cndmask_b32_e64 v4, v8, v62, s1
	v_lshlrev_b32_e32 v3, 2, v4
	ds_bpermute_b32 v8, v3, v2
	ds_bpermute_b32 v21, v3, v1
	ds_read_b64 v[1:2], v7 offset:56
	s_and_saveexec_b32 s1, vcc_lo
	s_cbranch_execz .LBB1260_146
; %bb.145:
	s_add_u32 s2, s4, 0x200
	s_addc_u32 s3, s5, 0
	v_mov_b32_e32 v3, 2
	v_mov_b32_e32 v23, s3
	;; [unrolled: 1-line block ×4, first 2 shown]
	s_waitcnt lgkmcnt(0)
	;;#ASMSTART
	global_store_dwordx4 v[22:23], v[1:4] off	
s_waitcnt vmcnt(0)
	;;#ASMEND
.LBB1260_146:
	s_or_b32 exec_lo, exec_lo, s1
	s_waitcnt lgkmcnt(1)
	v_cndmask_b32_e64 v3, v21, v6, s0
	v_cndmask_b32_e64 v5, v8, v5, s0
	v_mov_b32_e32 v4, 0
	s_waitcnt lgkmcnt(0)
	s_barrier
	v_cndmask_b32_e64 v23, v3, 0, vcc_lo
	v_cndmask_b32_e64 v24, v5, 0, vcc_lo
	v_mov_b32_e32 v3, 0
	buffer_gl0_inv
.LBB1260_147:
	v_add_nc_u32_e32 v61, v23, v61
	v_add_nc_u32_e32 v60, v24, v60
	s_waitcnt lgkmcnt(0)
	v_sub_nc_u32_e32 v23, v23, v4
	v_lshrrev_b32_e32 v26, 8, v36
	v_lshlrev_b32_e32 v66, 1, v1
	v_add_nc_u32_e32 v58, v61, v58
	v_sub_nc_u32_e32 v61, v61, v4
	v_add_nc_u32_e32 v57, v60, v57
	v_sub_nc_u32_e32 v24, v24, v3
	v_sub_nc_u32_e32 v60, v60, v3
	v_add_nc_u32_e32 v23, v23, v1
	v_add_nc_u32_e32 v61, v61, v1
	v_and_b32_e32 v26, 1, v26
	v_mov_b32_e32 v68, 1
	v_add3_u32 v29, v66, v2, v29
	v_add_nc_u32_e32 v73, v24, v23
	v_add_nc_u32_e32 v72, v61, v60
	v_cmp_eq_u32_e32 vcc_lo, 1, v26
	v_and_b32_sdwa v71, v68, v36 dst_sel:DWORD dst_unused:UNUSED_PAD src0_sel:DWORD src1_sel:WORD_1
	v_lshrrev_b32_e32 v25, 8, v30
	v_sub_nc_u32_e32 v73, v29, v73
	v_sub_nc_u32_e32 v72, v29, v72
	v_and_b32_e32 v67, 1, v30
	v_add_nc_u32_e32 v62, v58, v43
	v_and_b32_e32 v25, 1, v25
	v_cndmask_b32_e32 v23, v73, v23, vcc_lo
	v_add_nc_u32_e32 v72, 1, v72
	v_cmp_eq_u32_e32 vcc_lo, 1, v71
	v_sub_nc_u32_e32 v58, v58, v4
	v_add_nc_u32_e32 v59, v57, v59
	v_sub_nc_u32_e32 v57, v57, v3
	v_add_co_u32 v5, s0, s28, v3
	v_cndmask_b32_e32 v26, v72, v61, vcc_lo
	v_cmp_eq_u32_e32 vcc_lo, 1, v67
	v_add_nc_u32_e32 v58, v58, v1
	v_add_co_ci_u32_e64 v6, null, s29, 0, s0
	v_sub_co_u32 v64, s0, s30, v1
	v_cndmask_b32_e32 v67, v23, v24, vcc_lo
	v_cmp_eq_u32_e32 vcc_lo, 1, v25
	v_sub_co_ci_u32_e64 v65, null, s31, 0, s0
	v_and_b32_e32 v43, 1, v43
	v_add_nc_u32_e32 v56, v62, v56
	v_cndmask_b32_e32 v25, v26, v60, vcc_lo
	v_add_nc_u32_e32 v26, v58, v57
	v_add_co_u32 v23, vcc_lo, v64, v4
	v_add_co_ci_u32_e64 v24, null, 0, v65, vcc_lo
	v_sub_nc_u32_e32 v26, v29, v26
	v_sub_nc_u32_e32 v62, v62, v4
	v_and_b32_sdwa v30, v68, v30 dst_sel:DWORD dst_unused:UNUSED_PAD src0_sel:DWORD src1_sel:WORD_1
	v_cmp_eq_u32_e32 vcc_lo, 1, v43
	v_add_nc_u32_e32 v63, v59, v42
	v_add_nc_u32_e32 v26, 2, v26
	v_sub_nc_u32_e32 v59, v59, v3
	v_add_nc_u32_e32 v62, v62, v1
	v_add_nc_u32_e32 v55, v56, v55
	v_lshlrev_b32_e32 v60, 2, v67
	v_cndmask_b32_e32 v26, v26, v58, vcc_lo
	v_cmp_eq_u32_e32 vcc_lo, 1, v30
	v_lshlrev_b32_e32 v25, 2, v25
	v_sub_nc_u32_e32 v56, v56, v4
	v_add_nc_u32_e32 v43, v59, v62
	v_sub_nc_u32_e32 v58, v63, v3
	v_cndmask_b32_e32 v26, v26, v57, vcc_lo
	ds_write_b32 v60, v19
	v_add_nc_u32_e32 v56, v56, v1
	v_sub_nc_u32_e32 v19, v29, v43
	ds_write_b32 v25, v20
	v_lshlrev_b32_e32 v25, 2, v26
	v_and_b32_e32 v26, 1, v31
	v_lshrrev_b32_e32 v22, 8, v31
	v_add_nc_u32_e32 v54, v63, v54
	v_add_nc_u32_e32 v20, v58, v56
	v_add_nc_u32_e32 v19, 3, v19
	v_and_b32_e32 v30, 1, v42
	v_sub_nc_u32_e32 v42, v55, v4
	v_cmp_eq_u32_e32 vcc_lo, 1, v26
	v_sub_nc_u32_e32 v20, v29, v20
	v_and_b32_e32 v22, 1, v22
	v_sub_nc_u32_e32 v26, v54, v3
	v_add_nc_u32_e32 v42, v42, v1
	v_cndmask_b32_e32 v19, v19, v62, vcc_lo
	v_cmp_eq_u32_e32 vcc_lo, 1, v30
	v_add_nc_u32_e32 v20, 4, v20
	v_and_b32_e32 v30, 1, v32
	v_add_nc_u32_e32 v43, v26, v42
	v_lshrrev_b32_e32 v21, 8, v32
	v_cndmask_b32_e32 v19, v19, v59, vcc_lo
	v_cmp_eq_u32_e32 vcc_lo, 1, v22
	v_add_nc_u32_e32 v53, v55, v53
	ds_write_b32 v25, v17
	v_and_b32_sdwa v25, v68, v31 dst_sel:DWORD dst_unused:UNUSED_PAD src0_sel:DWORD src1_sel:WORD_1
	v_lshlrev_b32_e32 v17, 2, v19
	v_cndmask_b32_e32 v20, v20, v56, vcc_lo
	v_sub_nc_u32_e32 v19, v29, v43
	v_cmp_eq_u32_e32 vcc_lo, 1, v30
	v_add_nc_u32_e32 v52, v54, v52
	v_add_nc_u32_e32 v69, v53, v41
	v_and_b32_e32 v21, 1, v21
	v_sub_nc_u32_e32 v22, v53, v4
	v_cndmask_b32_e32 v20, v20, v58, vcc_lo
	v_add_nc_u32_e32 v19, 5, v19
	v_cmp_eq_u32_e32 vcc_lo, 1, v25
	v_add_nc_u32_e32 v46, v52, v46
	v_sub_nc_u32_e32 v30, v52, v3
	v_sub_nc_u32_e32 v31, v69, v4
	v_add_nc_u32_e32 v22, v22, v1
	v_cndmask_b32_e32 v19, v19, v42, vcc_lo
	v_cmp_eq_u32_e32 vcc_lo, 1, v21
	v_sub_nc_u32_e32 v25, v46, v3
	v_add_nc_u32_e32 v31, v31, v1
	v_lshlrev_b32_e32 v20, 2, v20
	v_add_nc_u32_e32 v42, v30, v22
	v_cndmask_b32_e32 v19, v19, v26, vcc_lo
	ds_write_b32 v17, v18
	v_add_nc_u32_e32 v21, v25, v31
	ds_write_b32 v20, v15
	v_sub_nc_u32_e32 v17, v29, v42
	v_lshlrev_b32_e32 v15, 2, v19
	v_and_b32_e32 v19, 1, v41
	v_sub_nc_u32_e32 v18, v29, v21
	v_and_b32_e32 v21, 1, v33
	v_add_nc_u32_e32 v17, 6, v17
	v_add_nc_u32_e32 v51, v69, v51
	v_cmp_eq_u32_e32 vcc_lo, 1, v19
	v_and_b32_sdwa v20, v68, v32 dst_sel:DWORD dst_unused:UNUSED_PAD src0_sel:DWORD src1_sel:WORD_1
	v_add_nc_u32_e32 v18, 7, v18
	v_add_nc_u32_e32 v70, v46, v40
	v_sub_nc_u32_e32 v19, v51, v4
	v_cndmask_b32_e32 v17, v17, v22, vcc_lo
	v_cmp_eq_u32_e32 vcc_lo, 1, v21
	v_and_b32_e32 v22, 1, v40
	v_add_nc_u32_e32 v50, v51, v50
	v_sub_nc_u32_e32 v21, v70, v3
	v_add_nc_u32_e32 v19, v19, v1
	v_cndmask_b32_e32 v18, v18, v31, vcc_lo
	v_cmp_eq_u32_e32 vcc_lo, 1, v20
	v_lshrrev_b32_e32 v8, 8, v33
	v_add_nc_u32_e32 v49, v70, v49
	v_add_nc_u32_e32 v20, v21, v19
	ds_write_b32 v15, v16
	v_cndmask_b32_e32 v17, v17, v30, vcc_lo
	v_cmp_eq_u32_e32 vcc_lo, 1, v22
	v_sub_nc_u32_e32 v15, v50, v4
	v_add_nc_u32_e32 v48, v50, v48
	v_and_b32_e32 v8, 1, v8
	v_lshlrev_b32_e32 v16, 2, v17
	v_cndmask_b32_e32 v18, v18, v25, vcc_lo
	v_add_nc_u32_e32 v15, v15, v1
	v_add_nc_u32_e32 v47, v49, v47
	v_cmp_eq_u32_e32 vcc_lo, 1, v8
	v_lshrrev_b32_e32 v7, 8, v35
	v_lshlrev_b32_e32 v17, 2, v18
	v_sub_nc_u32_e32 v18, v29, v20
	v_sub_nc_u32_e32 v20, v49, v3
	ds_write_b32 v16, v13
	ds_write_b32 v17, v14
	v_and_b32_e32 v16, 1, v35
	v_add_nc_u32_e32 v13, 8, v18
	v_add_nc_u32_e32 v14, v20, v15
	v_sub_nc_u32_e32 v17, v48, v4
	v_add_nc_u32_e32 v74, v48, v39
	v_add_nc_u32_e32 v45, v47, v45
	v_cndmask_b32_e32 v8, v13, v19, vcc_lo
	v_sub_nc_u32_e32 v13, v29, v14
	v_sub_nc_u32_e32 v14, v47, v3
	v_add_nc_u32_e32 v17, v17, v1
	v_cmp_eq_u32_e32 vcc_lo, 1, v16
	v_and_b32_sdwa v16, v68, v33 dst_sel:DWORD dst_unused:UNUSED_PAD src0_sel:DWORD src1_sel:WORD_1
	v_add_nc_u32_e32 v44, v74, v44
	v_add_nc_u32_e32 v13, 9, v13
	v_and_b32_e32 v7, 1, v7
	v_cndmask_b32_e32 v8, v8, v21, vcc_lo
	v_add_nc_u32_e32 v18, v14, v17
	v_sub_nc_u32_e32 v19, v74, v4
	v_cmp_eq_u32_e32 vcc_lo, 1, v16
	v_add_nc_u32_e32 v61, v45, v38
	v_and_b32_e32 v25, 1, v37
	v_sub_nc_u32_e32 v16, v29, v18
	v_sub_nc_u32_e32 v18, v45, v3
	v_cndmask_b32_e32 v13, v13, v15, vcc_lo
	v_sub_nc_u32_e32 v15, v44, v4
	v_add_nc_u32_e32 v19, v19, v1
	v_cmp_eq_u32_e32 vcc_lo, 1, v7
	v_sub_nc_u32_e32 v3, v61, v3
	v_add_nc_u32_e32 v16, 10, v16
	v_add_nc_u32_e32 v15, v15, v1
	v_and_b32_sdwa v22, v68, v35 dst_sel:DWORD dst_unused:UNUSED_PAD src0_sel:DWORD src1_sel:WORD_1
	v_cndmask_b32_e32 v7, v13, v20, vcc_lo
	v_add_nc_u32_e32 v13, v18, v19
	v_and_b32_e32 v20, 1, v39
	v_add_nc_u32_e32 v21, v3, v15
	v_lshlrev_b32_e32 v8, 2, v8
	v_lshlrev_b32_e32 v7, 2, v7
	v_sub_nc_u32_e32 v13, v29, v13
	v_cmp_eq_u32_e32 vcc_lo, 1, v20
	v_and_b32_e32 v20, 1, v34
	v_add_nc_u32_e32 v13, 11, v13
	v_cndmask_b32_e32 v16, v16, v17, vcc_lo
	v_sub_nc_u32_e32 v17, v29, v21
	v_cmp_eq_u32_e32 vcc_lo, 1, v20
	v_and_b32_e32 v21, 1, v38
	v_add_nc_u32_e32 v17, 12, v17
	v_cndmask_b32_e32 v13, v13, v19, vcc_lo
	v_cmp_eq_u32_e32 vcc_lo, 1, v25
	v_and_b32_e32 v19, 1, v36
	v_cndmask_b32_e32 v15, v17, v15, vcc_lo
	v_cmp_eq_u32_e32 vcc_lo, 1, v22
	v_cndmask_b32_e32 v14, v16, v14, vcc_lo
	v_cmp_eq_u32_e32 vcc_lo, 1, v21
	v_lshlrev_b32_e32 v14, 2, v14
	v_cndmask_b32_e32 v13, v13, v18, vcc_lo
	v_cmp_eq_u32_e32 vcc_lo, 1, v19
	v_lshlrev_b32_e32 v13, 2, v13
	v_cndmask_b32_e32 v3, v15, v3, vcc_lo
	v_lshlrev_b32_e32 v3, 2, v3
	ds_write_b32 v8, v11
	ds_write_b32 v7, v12
	ds_write_b32 v14, v9
	ds_write_b32 v13, v10
	ds_write_b32 v3, v28
	v_add_co_u32 v3, s0, v2, v66
	v_add_co_ci_u32_e64 v7, null, 0, 0, s0
	s_add_u32 s0, s34, s42
	v_add_co_u32 v3, vcc_lo, v3, v23
	v_add_co_ci_u32_e64 v7, null, v7, v24, vcc_lo
	s_addc_u32 s1, s35, 0
	v_add_co_u32 v3, vcc_lo, v3, v5
	v_add_co_ci_u32_e64 v9, null, v7, v6, vcc_lo
	v_lshlrev_b64 v[7:8], 2, v[23:24]
	v_sub_co_u32 v3, vcc_lo, s0, v3
	v_sub_co_ci_u32_e64 v11, null, s1, v9, vcc_lo
	v_lshlrev_b64 v[9:10], 2, v[5:6]
	v_add_co_u32 v7, vcc_lo, s38, v7
	v_add_co_ci_u32_e64 v8, null, s39, v8, vcc_lo
	v_cmp_ne_u32_e32 vcc_lo, 1, v27
	v_add_co_u32 v9, s0, s36, v9
	v_add_nc_u32_e32 v12, v1, v2
	v_add_co_ci_u32_e64 v10, null, s37, v10, s0
	s_and_b32 vcc_lo, exec_lo, vcc_lo
	s_mov_b32 s0, -1
	s_waitcnt lgkmcnt(0)
	s_barrier
	buffer_gl0_inv
	s_cbranch_vccz .LBB1260_151
; %bb.148:
	s_and_b32 vcc_lo, exec_lo, s0
	s_cbranch_vccnz .LBB1260_256
.LBB1260_149:
	v_cmp_eq_u32_e32 vcc_lo, 0, v0
	s_and_b32 s0, vcc_lo, s33
	s_and_saveexec_b32 s1, s0
	s_cbranch_execnz .LBB1260_374
.LBB1260_150:
	s_endpgm
.LBB1260_151:
	s_mov_b32 s0, exec_lo
	v_cmpx_ge_u32_e64 v0, v1
	s_xor_b32 s0, exec_lo, s0
	s_cbranch_execz .LBB1260_157
; %bb.152:
	s_mov_b32 s1, exec_lo
	v_cmpx_ge_u32_e64 v0, v12
	s_xor_b32 s1, exec_lo, s1
	s_cbranch_execz .LBB1260_154
; %bb.153:
	v_lshlrev_b32_e32 v13, 2, v0
	ds_read_b32 v15, v13
	v_add_co_u32 v13, vcc_lo, v3, v0
	v_add_co_ci_u32_e64 v14, null, 0, v11, vcc_lo
	v_lshlrev_b64 v[13:14], 2, v[13:14]
	v_sub_co_u32 v13, vcc_lo, s26, v13
	v_sub_co_ci_u32_e64 v14, null, s27, v14, vcc_lo
	s_waitcnt lgkmcnt(0)
	global_store_dword v[13:14], v15, off offset:-4
.LBB1260_154:
	s_andn2_saveexec_b32 s1, s1
	s_cbranch_execz .LBB1260_156
; %bb.155:
	v_lshlrev_b32_e32 v13, 2, v0
	v_readfirstlane_b32 s2, v7
	v_readfirstlane_b32 s3, v8
	ds_read_b32 v14, v13
	s_waitcnt lgkmcnt(0)
	global_store_dword v13, v14, s[2:3]
.LBB1260_156:
	s_or_b32 exec_lo, exec_lo, s1
.LBB1260_157:
	s_andn2_saveexec_b32 s0, s0
	s_cbranch_execz .LBB1260_159
; %bb.158:
	v_lshlrev_b32_e32 v13, 2, v0
	v_readfirstlane_b32 s2, v9
	v_readfirstlane_b32 s3, v10
	ds_read_b32 v14, v13
	s_waitcnt lgkmcnt(0)
	global_store_dword v13, v14, s[2:3]
.LBB1260_159:
	s_or_b32 exec_lo, exec_lo, s0
	v_or_b32_e32 v13, 0x100, v0
	s_mov_b32 s0, exec_lo
	v_cmpx_ge_u32_e64 v13, v1
	s_xor_b32 s0, exec_lo, s0
	s_cbranch_execz .LBB1260_165
; %bb.160:
	s_mov_b32 s1, exec_lo
	v_cmpx_ge_u32_e64 v13, v12
	s_xor_b32 s1, exec_lo, s1
	s_cbranch_execz .LBB1260_162
; %bb.161:
	v_lshlrev_b32_e32 v13, 2, v0
	ds_read_b32 v15, v13 offset:1024
	v_add_co_u32 v13, vcc_lo, v3, v0
	v_add_co_ci_u32_e64 v14, null, 0, v11, vcc_lo
	v_lshlrev_b64 v[13:14], 2, v[13:14]
	v_sub_co_u32 v13, vcc_lo, s26, v13
	v_sub_co_ci_u32_e64 v14, null, s27, v14, vcc_lo
	s_waitcnt lgkmcnt(0)
	global_store_dword v[13:14], v15, off offset:-1028
.LBB1260_162:
	s_andn2_saveexec_b32 s1, s1
	s_cbranch_execz .LBB1260_164
; %bb.163:
	v_lshlrev_b32_e32 v13, 2, v0
	v_readfirstlane_b32 s2, v7
	v_readfirstlane_b32 s3, v8
	ds_read_b32 v14, v13 offset:1024
	s_waitcnt lgkmcnt(0)
	global_store_dword v13, v14, s[2:3] offset:1024
.LBB1260_164:
	s_or_b32 exec_lo, exec_lo, s1
.LBB1260_165:
	s_andn2_saveexec_b32 s0, s0
	s_cbranch_execz .LBB1260_167
; %bb.166:
	v_lshlrev_b32_e32 v13, 2, v0
	v_readfirstlane_b32 s2, v9
	v_readfirstlane_b32 s3, v10
	ds_read_b32 v14, v13 offset:1024
	s_waitcnt lgkmcnt(0)
	global_store_dword v13, v14, s[2:3] offset:1024
.LBB1260_167:
	s_or_b32 exec_lo, exec_lo, s0
	v_or_b32_e32 v13, 0x200, v0
	s_mov_b32 s0, exec_lo
	v_cmpx_ge_u32_e64 v13, v1
	s_xor_b32 s0, exec_lo, s0
	s_cbranch_execz .LBB1260_173
; %bb.168:
	s_mov_b32 s1, exec_lo
	v_cmpx_ge_u32_e64 v13, v12
	s_xor_b32 s1, exec_lo, s1
	s_cbranch_execz .LBB1260_170
; %bb.169:
	v_lshlrev_b32_e32 v15, 2, v0
	v_add_co_u32 v13, vcc_lo, v3, v0
	v_add_co_ci_u32_e64 v14, null, 0, v11, vcc_lo
	ds_read_b32 v15, v15 offset:2048
	v_lshlrev_b64 v[13:14], 2, v[13:14]
	v_sub_co_u32 v13, vcc_lo, s26, v13
	v_sub_co_ci_u32_e64 v14, null, s27, v14, vcc_lo
	v_add_co_u32 v13, vcc_lo, 0xfffff800, v13
	v_add_co_ci_u32_e64 v14, null, -1, v14, vcc_lo
	s_waitcnt lgkmcnt(0)
	global_store_dword v[13:14], v15, off offset:-4
                                        ; implicit-def: $vgpr13
.LBB1260_170:
	s_andn2_saveexec_b32 s1, s1
	s_cbranch_execz .LBB1260_172
; %bb.171:
	v_lshlrev_b32_e32 v14, 2, v0
	v_lshlrev_b32_e32 v13, 2, v13
	v_readfirstlane_b32 s2, v7
	v_readfirstlane_b32 s3, v8
	ds_read_b32 v14, v14 offset:2048
	s_waitcnt lgkmcnt(0)
	global_store_dword v13, v14, s[2:3]
.LBB1260_172:
	s_or_b32 exec_lo, exec_lo, s1
                                        ; implicit-def: $vgpr13
.LBB1260_173:
	s_andn2_saveexec_b32 s0, s0
	s_cbranch_execz .LBB1260_175
; %bb.174:
	v_lshlrev_b32_e32 v14, 2, v0
	v_lshlrev_b32_e32 v13, 2, v13
	v_readfirstlane_b32 s2, v9
	v_readfirstlane_b32 s3, v10
	ds_read_b32 v14, v14 offset:2048
	s_waitcnt lgkmcnt(0)
	global_store_dword v13, v14, s[2:3]
.LBB1260_175:
	s_or_b32 exec_lo, exec_lo, s0
	v_or_b32_e32 v13, 0x300, v0
	s_mov_b32 s0, exec_lo
	v_cmpx_ge_u32_e64 v13, v1
	s_xor_b32 s0, exec_lo, s0
	s_cbranch_execz .LBB1260_181
; %bb.176:
	s_mov_b32 s1, exec_lo
	v_cmpx_ge_u32_e64 v13, v12
	s_xor_b32 s1, exec_lo, s1
	s_cbranch_execz .LBB1260_178
; %bb.177:
	v_lshlrev_b32_e32 v14, 2, v0
	v_add_co_u32 v13, vcc_lo, v3, v13
	ds_read_b32 v15, v14 offset:3072
	v_add_co_ci_u32_e64 v14, null, 0, v11, vcc_lo
	v_lshlrev_b64 v[13:14], 2, v[13:14]
	v_sub_co_u32 v13, vcc_lo, s26, v13
	v_sub_co_ci_u32_e64 v14, null, s27, v14, vcc_lo
	s_waitcnt lgkmcnt(0)
	global_store_dword v[13:14], v15, off offset:-4
                                        ; implicit-def: $vgpr13
.LBB1260_178:
	s_andn2_saveexec_b32 s1, s1
	s_cbranch_execz .LBB1260_180
; %bb.179:
	v_lshlrev_b32_e32 v14, 2, v0
	v_lshlrev_b32_e32 v13, 2, v13
	v_readfirstlane_b32 s2, v7
	v_readfirstlane_b32 s3, v8
	ds_read_b32 v14, v14 offset:3072
	s_waitcnt lgkmcnt(0)
	global_store_dword v13, v14, s[2:3]
.LBB1260_180:
	s_or_b32 exec_lo, exec_lo, s1
                                        ; implicit-def: $vgpr13
.LBB1260_181:
	s_andn2_saveexec_b32 s0, s0
	s_cbranch_execz .LBB1260_183
; %bb.182:
	v_lshlrev_b32_e32 v14, 2, v0
	v_lshlrev_b32_e32 v13, 2, v13
	v_readfirstlane_b32 s2, v9
	v_readfirstlane_b32 s3, v10
	ds_read_b32 v14, v14 offset:3072
	s_waitcnt lgkmcnt(0)
	global_store_dword v13, v14, s[2:3]
.LBB1260_183:
	s_or_b32 exec_lo, exec_lo, s0
	v_or_b32_e32 v13, 0x400, v0
	s_mov_b32 s0, exec_lo
	v_cmpx_ge_u32_e64 v13, v1
	s_xor_b32 s0, exec_lo, s0
	s_cbranch_execz .LBB1260_189
; %bb.184:
	s_mov_b32 s1, exec_lo
	v_cmpx_ge_u32_e64 v13, v12
	s_xor_b32 s1, exec_lo, s1
	s_cbranch_execz .LBB1260_186
; %bb.185:
	v_lshlrev_b32_e32 v14, 2, v0
	v_add_co_u32 v13, vcc_lo, v3, v13
	ds_read_b32 v15, v14 offset:4096
	v_add_co_ci_u32_e64 v14, null, 0, v11, vcc_lo
	v_lshlrev_b64 v[13:14], 2, v[13:14]
	v_sub_co_u32 v13, vcc_lo, s26, v13
	v_sub_co_ci_u32_e64 v14, null, s27, v14, vcc_lo
	s_waitcnt lgkmcnt(0)
	global_store_dword v[13:14], v15, off offset:-4
                                        ; implicit-def: $vgpr13
.LBB1260_186:
	s_andn2_saveexec_b32 s1, s1
	s_cbranch_execz .LBB1260_188
; %bb.187:
	v_lshlrev_b32_e32 v14, 2, v0
	v_lshlrev_b32_e32 v13, 2, v13
	v_readfirstlane_b32 s2, v7
	v_readfirstlane_b32 s3, v8
	ds_read_b32 v14, v14 offset:4096
	s_waitcnt lgkmcnt(0)
	global_store_dword v13, v14, s[2:3]
.LBB1260_188:
	s_or_b32 exec_lo, exec_lo, s1
                                        ; implicit-def: $vgpr13
.LBB1260_189:
	s_andn2_saveexec_b32 s0, s0
	s_cbranch_execz .LBB1260_191
; %bb.190:
	v_lshlrev_b32_e32 v14, 2, v0
	v_lshlrev_b32_e32 v13, 2, v13
	v_readfirstlane_b32 s2, v9
	v_readfirstlane_b32 s3, v10
	ds_read_b32 v14, v14 offset:4096
	s_waitcnt lgkmcnt(0)
	global_store_dword v13, v14, s[2:3]
.LBB1260_191:
	s_or_b32 exec_lo, exec_lo, s0
	v_or_b32_e32 v13, 0x500, v0
	s_mov_b32 s0, exec_lo
	v_cmpx_ge_u32_e64 v13, v1
	s_xor_b32 s0, exec_lo, s0
	s_cbranch_execz .LBB1260_197
; %bb.192:
	s_mov_b32 s1, exec_lo
	v_cmpx_ge_u32_e64 v13, v12
	s_xor_b32 s1, exec_lo, s1
	s_cbranch_execz .LBB1260_194
; %bb.193:
	v_lshlrev_b32_e32 v14, 2, v0
	v_add_co_u32 v13, vcc_lo, v3, v13
	ds_read_b32 v15, v14 offset:5120
	v_add_co_ci_u32_e64 v14, null, 0, v11, vcc_lo
	v_lshlrev_b64 v[13:14], 2, v[13:14]
	v_sub_co_u32 v13, vcc_lo, s26, v13
	v_sub_co_ci_u32_e64 v14, null, s27, v14, vcc_lo
	s_waitcnt lgkmcnt(0)
	global_store_dword v[13:14], v15, off offset:-4
                                        ; implicit-def: $vgpr13
.LBB1260_194:
	s_andn2_saveexec_b32 s1, s1
	s_cbranch_execz .LBB1260_196
; %bb.195:
	v_lshlrev_b32_e32 v14, 2, v0
	v_lshlrev_b32_e32 v13, 2, v13
	v_readfirstlane_b32 s2, v7
	v_readfirstlane_b32 s3, v8
	ds_read_b32 v14, v14 offset:5120
	s_waitcnt lgkmcnt(0)
	global_store_dword v13, v14, s[2:3]
.LBB1260_196:
	s_or_b32 exec_lo, exec_lo, s1
                                        ; implicit-def: $vgpr13
.LBB1260_197:
	s_andn2_saveexec_b32 s0, s0
	s_cbranch_execz .LBB1260_199
; %bb.198:
	v_lshlrev_b32_e32 v14, 2, v0
	v_lshlrev_b32_e32 v13, 2, v13
	v_readfirstlane_b32 s2, v9
	v_readfirstlane_b32 s3, v10
	ds_read_b32 v14, v14 offset:5120
	s_waitcnt lgkmcnt(0)
	global_store_dword v13, v14, s[2:3]
.LBB1260_199:
	s_or_b32 exec_lo, exec_lo, s0
	v_or_b32_e32 v13, 0x600, v0
	s_mov_b32 s0, exec_lo
	v_cmpx_ge_u32_e64 v13, v1
	s_xor_b32 s0, exec_lo, s0
	s_cbranch_execz .LBB1260_205
; %bb.200:
	s_mov_b32 s1, exec_lo
	v_cmpx_ge_u32_e64 v13, v12
	s_xor_b32 s1, exec_lo, s1
	s_cbranch_execz .LBB1260_202
; %bb.201:
	v_lshlrev_b32_e32 v14, 2, v0
	v_add_co_u32 v13, vcc_lo, v3, v13
	ds_read_b32 v15, v14 offset:6144
	v_add_co_ci_u32_e64 v14, null, 0, v11, vcc_lo
	v_lshlrev_b64 v[13:14], 2, v[13:14]
	v_sub_co_u32 v13, vcc_lo, s26, v13
	v_sub_co_ci_u32_e64 v14, null, s27, v14, vcc_lo
	s_waitcnt lgkmcnt(0)
	global_store_dword v[13:14], v15, off offset:-4
                                        ; implicit-def: $vgpr13
.LBB1260_202:
	s_andn2_saveexec_b32 s1, s1
	s_cbranch_execz .LBB1260_204
; %bb.203:
	v_lshlrev_b32_e32 v14, 2, v0
	v_lshlrev_b32_e32 v13, 2, v13
	v_readfirstlane_b32 s2, v7
	v_readfirstlane_b32 s3, v8
	ds_read_b32 v14, v14 offset:6144
	s_waitcnt lgkmcnt(0)
	global_store_dword v13, v14, s[2:3]
.LBB1260_204:
	s_or_b32 exec_lo, exec_lo, s1
                                        ; implicit-def: $vgpr13
.LBB1260_205:
	s_andn2_saveexec_b32 s0, s0
	s_cbranch_execz .LBB1260_207
; %bb.206:
	v_lshlrev_b32_e32 v14, 2, v0
	v_lshlrev_b32_e32 v13, 2, v13
	v_readfirstlane_b32 s2, v9
	v_readfirstlane_b32 s3, v10
	ds_read_b32 v14, v14 offset:6144
	s_waitcnt lgkmcnt(0)
	global_store_dword v13, v14, s[2:3]
.LBB1260_207:
	s_or_b32 exec_lo, exec_lo, s0
	v_or_b32_e32 v13, 0x700, v0
	s_mov_b32 s0, exec_lo
	v_cmpx_ge_u32_e64 v13, v1
	s_xor_b32 s0, exec_lo, s0
	s_cbranch_execz .LBB1260_213
; %bb.208:
	s_mov_b32 s1, exec_lo
	v_cmpx_ge_u32_e64 v13, v12
	s_xor_b32 s1, exec_lo, s1
	s_cbranch_execz .LBB1260_210
; %bb.209:
	v_lshlrev_b32_e32 v14, 2, v0
	v_add_co_u32 v13, vcc_lo, v3, v13
	ds_read_b32 v15, v14 offset:7168
	v_add_co_ci_u32_e64 v14, null, 0, v11, vcc_lo
	v_lshlrev_b64 v[13:14], 2, v[13:14]
	v_sub_co_u32 v13, vcc_lo, s26, v13
	v_sub_co_ci_u32_e64 v14, null, s27, v14, vcc_lo
	s_waitcnt lgkmcnt(0)
	global_store_dword v[13:14], v15, off offset:-4
                                        ; implicit-def: $vgpr13
.LBB1260_210:
	s_andn2_saveexec_b32 s1, s1
	s_cbranch_execz .LBB1260_212
; %bb.211:
	v_lshlrev_b32_e32 v14, 2, v0
	v_lshlrev_b32_e32 v13, 2, v13
	v_readfirstlane_b32 s2, v7
	v_readfirstlane_b32 s3, v8
	ds_read_b32 v14, v14 offset:7168
	s_waitcnt lgkmcnt(0)
	global_store_dword v13, v14, s[2:3]
.LBB1260_212:
	s_or_b32 exec_lo, exec_lo, s1
                                        ; implicit-def: $vgpr13
.LBB1260_213:
	s_andn2_saveexec_b32 s0, s0
	s_cbranch_execz .LBB1260_215
; %bb.214:
	v_lshlrev_b32_e32 v14, 2, v0
	v_lshlrev_b32_e32 v13, 2, v13
	v_readfirstlane_b32 s2, v9
	v_readfirstlane_b32 s3, v10
	ds_read_b32 v14, v14 offset:7168
	s_waitcnt lgkmcnt(0)
	global_store_dword v13, v14, s[2:3]
.LBB1260_215:
	s_or_b32 exec_lo, exec_lo, s0
	v_or_b32_e32 v13, 0x800, v0
	s_mov_b32 s0, exec_lo
	v_cmpx_ge_u32_e64 v13, v1
	s_xor_b32 s0, exec_lo, s0
	s_cbranch_execz .LBB1260_221
; %bb.216:
	s_mov_b32 s1, exec_lo
	v_cmpx_ge_u32_e64 v13, v12
	s_xor_b32 s1, exec_lo, s1
	s_cbranch_execz .LBB1260_218
; %bb.217:
	v_lshlrev_b32_e32 v14, 2, v0
	v_add_co_u32 v13, vcc_lo, v3, v13
	ds_read_b32 v15, v14 offset:8192
	v_add_co_ci_u32_e64 v14, null, 0, v11, vcc_lo
	v_lshlrev_b64 v[13:14], 2, v[13:14]
	v_sub_co_u32 v13, vcc_lo, s26, v13
	v_sub_co_ci_u32_e64 v14, null, s27, v14, vcc_lo
	s_waitcnt lgkmcnt(0)
	global_store_dword v[13:14], v15, off offset:-4
                                        ; implicit-def: $vgpr13
.LBB1260_218:
	s_andn2_saveexec_b32 s1, s1
	s_cbranch_execz .LBB1260_220
; %bb.219:
	v_lshlrev_b32_e32 v14, 2, v0
	v_lshlrev_b32_e32 v13, 2, v13
	v_readfirstlane_b32 s2, v7
	v_readfirstlane_b32 s3, v8
	ds_read_b32 v14, v14 offset:8192
	s_waitcnt lgkmcnt(0)
	global_store_dword v13, v14, s[2:3]
.LBB1260_220:
	s_or_b32 exec_lo, exec_lo, s1
                                        ; implicit-def: $vgpr13
.LBB1260_221:
	s_andn2_saveexec_b32 s0, s0
	s_cbranch_execz .LBB1260_223
; %bb.222:
	v_lshlrev_b32_e32 v14, 2, v0
	v_lshlrev_b32_e32 v13, 2, v13
	v_readfirstlane_b32 s2, v9
	v_readfirstlane_b32 s3, v10
	ds_read_b32 v14, v14 offset:8192
	s_waitcnt lgkmcnt(0)
	global_store_dword v13, v14, s[2:3]
.LBB1260_223:
	s_or_b32 exec_lo, exec_lo, s0
	v_or_b32_e32 v13, 0x900, v0
	s_mov_b32 s0, exec_lo
	v_cmpx_ge_u32_e64 v13, v1
	s_xor_b32 s0, exec_lo, s0
	s_cbranch_execz .LBB1260_229
; %bb.224:
	s_mov_b32 s1, exec_lo
	v_cmpx_ge_u32_e64 v13, v12
	s_xor_b32 s1, exec_lo, s1
	s_cbranch_execz .LBB1260_226
; %bb.225:
	v_lshlrev_b32_e32 v14, 2, v0
	v_add_co_u32 v13, vcc_lo, v3, v13
	ds_read_b32 v15, v14 offset:9216
	v_add_co_ci_u32_e64 v14, null, 0, v11, vcc_lo
	v_lshlrev_b64 v[13:14], 2, v[13:14]
	v_sub_co_u32 v13, vcc_lo, s26, v13
	v_sub_co_ci_u32_e64 v14, null, s27, v14, vcc_lo
	s_waitcnt lgkmcnt(0)
	global_store_dword v[13:14], v15, off offset:-4
                                        ; implicit-def: $vgpr13
.LBB1260_226:
	s_andn2_saveexec_b32 s1, s1
	s_cbranch_execz .LBB1260_228
; %bb.227:
	v_lshlrev_b32_e32 v14, 2, v0
	v_lshlrev_b32_e32 v13, 2, v13
	v_readfirstlane_b32 s2, v7
	v_readfirstlane_b32 s3, v8
	ds_read_b32 v14, v14 offset:9216
	s_waitcnt lgkmcnt(0)
	global_store_dword v13, v14, s[2:3]
.LBB1260_228:
	s_or_b32 exec_lo, exec_lo, s1
                                        ; implicit-def: $vgpr13
.LBB1260_229:
	s_andn2_saveexec_b32 s0, s0
	s_cbranch_execz .LBB1260_231
; %bb.230:
	v_lshlrev_b32_e32 v14, 2, v0
	v_lshlrev_b32_e32 v13, 2, v13
	v_readfirstlane_b32 s2, v9
	v_readfirstlane_b32 s3, v10
	ds_read_b32 v14, v14 offset:9216
	s_waitcnt lgkmcnt(0)
	global_store_dword v13, v14, s[2:3]
.LBB1260_231:
	s_or_b32 exec_lo, exec_lo, s0
	v_or_b32_e32 v13, 0xa00, v0
	s_mov_b32 s0, exec_lo
	v_cmpx_ge_u32_e64 v13, v1
	s_xor_b32 s0, exec_lo, s0
	s_cbranch_execz .LBB1260_237
; %bb.232:
	s_mov_b32 s1, exec_lo
	v_cmpx_ge_u32_e64 v13, v12
	s_xor_b32 s1, exec_lo, s1
	s_cbranch_execz .LBB1260_234
; %bb.233:
	v_lshlrev_b32_e32 v14, 2, v0
	v_add_co_u32 v13, vcc_lo, v3, v13
	ds_read_b32 v15, v14 offset:10240
	v_add_co_ci_u32_e64 v14, null, 0, v11, vcc_lo
	v_lshlrev_b64 v[13:14], 2, v[13:14]
	v_sub_co_u32 v13, vcc_lo, s26, v13
	v_sub_co_ci_u32_e64 v14, null, s27, v14, vcc_lo
	s_waitcnt lgkmcnt(0)
	global_store_dword v[13:14], v15, off offset:-4
                                        ; implicit-def: $vgpr13
.LBB1260_234:
	s_andn2_saveexec_b32 s1, s1
	s_cbranch_execz .LBB1260_236
; %bb.235:
	v_lshlrev_b32_e32 v14, 2, v0
	v_lshlrev_b32_e32 v13, 2, v13
	v_readfirstlane_b32 s2, v7
	v_readfirstlane_b32 s3, v8
	ds_read_b32 v14, v14 offset:10240
	s_waitcnt lgkmcnt(0)
	global_store_dword v13, v14, s[2:3]
.LBB1260_236:
	s_or_b32 exec_lo, exec_lo, s1
                                        ; implicit-def: $vgpr13
.LBB1260_237:
	s_andn2_saveexec_b32 s0, s0
	s_cbranch_execz .LBB1260_239
; %bb.238:
	v_lshlrev_b32_e32 v14, 2, v0
	v_lshlrev_b32_e32 v13, 2, v13
	v_readfirstlane_b32 s2, v9
	v_readfirstlane_b32 s3, v10
	ds_read_b32 v14, v14 offset:10240
	s_waitcnt lgkmcnt(0)
	global_store_dword v13, v14, s[2:3]
.LBB1260_239:
	s_or_b32 exec_lo, exec_lo, s0
	v_or_b32_e32 v13, 0xb00, v0
	s_mov_b32 s0, exec_lo
	v_cmpx_ge_u32_e64 v13, v1
	s_xor_b32 s0, exec_lo, s0
	s_cbranch_execz .LBB1260_245
; %bb.240:
	s_mov_b32 s1, exec_lo
	v_cmpx_ge_u32_e64 v13, v12
	s_xor_b32 s1, exec_lo, s1
	s_cbranch_execz .LBB1260_242
; %bb.241:
	v_lshlrev_b32_e32 v14, 2, v0
	v_add_co_u32 v13, vcc_lo, v3, v13
	ds_read_b32 v15, v14 offset:11264
	v_add_co_ci_u32_e64 v14, null, 0, v11, vcc_lo
	v_lshlrev_b64 v[13:14], 2, v[13:14]
	v_sub_co_u32 v13, vcc_lo, s26, v13
	v_sub_co_ci_u32_e64 v14, null, s27, v14, vcc_lo
	s_waitcnt lgkmcnt(0)
	global_store_dword v[13:14], v15, off offset:-4
                                        ; implicit-def: $vgpr13
.LBB1260_242:
	s_andn2_saveexec_b32 s1, s1
	s_cbranch_execz .LBB1260_244
; %bb.243:
	v_lshlrev_b32_e32 v14, 2, v0
	v_lshlrev_b32_e32 v13, 2, v13
	v_readfirstlane_b32 s2, v7
	v_readfirstlane_b32 s3, v8
	ds_read_b32 v14, v14 offset:11264
	s_waitcnt lgkmcnt(0)
	global_store_dword v13, v14, s[2:3]
.LBB1260_244:
	s_or_b32 exec_lo, exec_lo, s1
                                        ; implicit-def: $vgpr13
.LBB1260_245:
	s_andn2_saveexec_b32 s0, s0
	s_cbranch_execz .LBB1260_247
; %bb.246:
	v_lshlrev_b32_e32 v14, 2, v0
	v_lshlrev_b32_e32 v13, 2, v13
	v_readfirstlane_b32 s2, v9
	v_readfirstlane_b32 s3, v10
	ds_read_b32 v14, v14 offset:11264
	s_waitcnt lgkmcnt(0)
	global_store_dword v13, v14, s[2:3]
.LBB1260_247:
	s_or_b32 exec_lo, exec_lo, s0
	v_or_b32_e32 v13, 0xc00, v0
	s_mov_b32 s0, exec_lo
	v_cmpx_ge_u32_e64 v13, v1
	s_xor_b32 s0, exec_lo, s0
	s_cbranch_execz .LBB1260_253
; %bb.248:
	s_mov_b32 s1, exec_lo
	v_cmpx_ge_u32_e64 v13, v12
	s_xor_b32 s1, exec_lo, s1
	s_cbranch_execz .LBB1260_250
; %bb.249:
	v_lshlrev_b32_e32 v14, 2, v0
	v_add_co_u32 v13, vcc_lo, v3, v13
	ds_read_b32 v15, v14 offset:12288
	v_add_co_ci_u32_e64 v14, null, 0, v11, vcc_lo
	v_lshlrev_b64 v[13:14], 2, v[13:14]
	v_sub_co_u32 v13, vcc_lo, s26, v13
	v_sub_co_ci_u32_e64 v14, null, s27, v14, vcc_lo
	s_waitcnt lgkmcnt(0)
	global_store_dword v[13:14], v15, off offset:-4
                                        ; implicit-def: $vgpr13
.LBB1260_250:
	s_andn2_saveexec_b32 s1, s1
	s_cbranch_execz .LBB1260_252
; %bb.251:
	v_lshlrev_b32_e32 v14, 2, v0
	v_lshlrev_b32_e32 v13, 2, v13
	v_readfirstlane_b32 s2, v7
	v_readfirstlane_b32 s3, v8
	ds_read_b32 v14, v14 offset:12288
	s_waitcnt lgkmcnt(0)
	global_store_dword v13, v14, s[2:3]
.LBB1260_252:
	s_or_b32 exec_lo, exec_lo, s1
                                        ; implicit-def: $vgpr13
.LBB1260_253:
	s_andn2_saveexec_b32 s0, s0
	s_cbranch_execz .LBB1260_255
; %bb.254:
	v_lshlrev_b32_e32 v14, 2, v0
	v_lshlrev_b32_e32 v13, 2, v13
	v_readfirstlane_b32 s2, v9
	v_readfirstlane_b32 s3, v10
	ds_read_b32 v14, v14 offset:12288
	s_waitcnt lgkmcnt(0)
	global_store_dword v13, v14, s[2:3]
.LBB1260_255:
	s_or_b32 exec_lo, exec_lo, s0
	s_branch .LBB1260_149
.LBB1260_256:
	s_mov_b32 s0, exec_lo
	v_cmpx_gt_u32_e64 s7, v0
	s_cbranch_execz .LBB1260_265
; %bb.257:
	s_mov_b32 s1, exec_lo
	v_cmpx_ge_u32_e64 v0, v1
	s_xor_b32 s1, exec_lo, s1
	s_cbranch_execz .LBB1260_263
; %bb.258:
	s_mov_b32 s2, exec_lo
	v_cmpx_ge_u32_e64 v0, v12
	s_xor_b32 s2, exec_lo, s2
	s_cbranch_execz .LBB1260_260
; %bb.259:
	v_lshlrev_b32_e32 v13, 2, v0
	ds_read_b32 v15, v13
	v_add_co_u32 v13, vcc_lo, v3, v0
	v_add_co_ci_u32_e64 v14, null, 0, v11, vcc_lo
	v_lshlrev_b64 v[13:14], 2, v[13:14]
	v_sub_co_u32 v13, vcc_lo, s26, v13
	v_sub_co_ci_u32_e64 v14, null, s27, v14, vcc_lo
	s_waitcnt lgkmcnt(0)
	global_store_dword v[13:14], v15, off offset:-4
.LBB1260_260:
	s_andn2_saveexec_b32 s2, s2
	s_cbranch_execz .LBB1260_262
; %bb.261:
	v_lshlrev_b32_e32 v13, 2, v0
	v_readfirstlane_b32 s4, v7
	v_readfirstlane_b32 s5, v8
	ds_read_b32 v14, v13
	s_waitcnt lgkmcnt(0)
	global_store_dword v13, v14, s[4:5]
.LBB1260_262:
	s_or_b32 exec_lo, exec_lo, s2
.LBB1260_263:
	s_andn2_saveexec_b32 s1, s1
	s_cbranch_execz .LBB1260_265
; %bb.264:
	v_lshlrev_b32_e32 v13, 2, v0
	v_readfirstlane_b32 s2, v9
	v_readfirstlane_b32 s3, v10
	ds_read_b32 v14, v13
	s_waitcnt lgkmcnt(0)
	global_store_dword v13, v14, s[2:3]
.LBB1260_265:
	s_or_b32 exec_lo, exec_lo, s0
	v_or_b32_e32 v13, 0x100, v0
	s_mov_b32 s0, exec_lo
	v_cmpx_gt_u32_e64 s7, v13
	s_cbranch_execz .LBB1260_274
; %bb.266:
	s_mov_b32 s1, exec_lo
	v_cmpx_ge_u32_e64 v13, v1
	s_xor_b32 s1, exec_lo, s1
	s_cbranch_execz .LBB1260_272
; %bb.267:
	s_mov_b32 s2, exec_lo
	v_cmpx_ge_u32_e64 v13, v12
	s_xor_b32 s2, exec_lo, s2
	s_cbranch_execz .LBB1260_269
; %bb.268:
	v_lshlrev_b32_e32 v13, 2, v0
	ds_read_b32 v15, v13 offset:1024
	v_add_co_u32 v13, vcc_lo, v3, v0
	v_add_co_ci_u32_e64 v14, null, 0, v11, vcc_lo
	v_lshlrev_b64 v[13:14], 2, v[13:14]
	v_sub_co_u32 v13, vcc_lo, s26, v13
	v_sub_co_ci_u32_e64 v14, null, s27, v14, vcc_lo
	s_waitcnt lgkmcnt(0)
	global_store_dword v[13:14], v15, off offset:-1028
.LBB1260_269:
	s_andn2_saveexec_b32 s2, s2
	s_cbranch_execz .LBB1260_271
; %bb.270:
	v_lshlrev_b32_e32 v13, 2, v0
	v_readfirstlane_b32 s4, v7
	v_readfirstlane_b32 s5, v8
	ds_read_b32 v14, v13 offset:1024
	s_waitcnt lgkmcnt(0)
	global_store_dword v13, v14, s[4:5] offset:1024
.LBB1260_271:
	s_or_b32 exec_lo, exec_lo, s2
.LBB1260_272:
	s_andn2_saveexec_b32 s1, s1
	s_cbranch_execz .LBB1260_274
; %bb.273:
	v_lshlrev_b32_e32 v13, 2, v0
	v_readfirstlane_b32 s2, v9
	v_readfirstlane_b32 s3, v10
	ds_read_b32 v14, v13 offset:1024
	s_waitcnt lgkmcnt(0)
	global_store_dword v13, v14, s[2:3] offset:1024
.LBB1260_274:
	s_or_b32 exec_lo, exec_lo, s0
	v_or_b32_e32 v13, 0x200, v0
	s_mov_b32 s0, exec_lo
	v_cmpx_gt_u32_e64 s7, v13
	s_cbranch_execz .LBB1260_283
; %bb.275:
	s_mov_b32 s1, exec_lo
	v_cmpx_ge_u32_e64 v13, v1
	s_xor_b32 s1, exec_lo, s1
	s_cbranch_execz .LBB1260_281
; %bb.276:
	s_mov_b32 s2, exec_lo
	v_cmpx_ge_u32_e64 v13, v12
	s_xor_b32 s2, exec_lo, s2
	s_cbranch_execz .LBB1260_278
; %bb.277:
	v_lshlrev_b32_e32 v15, 2, v0
	v_add_co_u32 v13, vcc_lo, v3, v0
	v_add_co_ci_u32_e64 v14, null, 0, v11, vcc_lo
	ds_read_b32 v15, v15 offset:2048
	v_lshlrev_b64 v[13:14], 2, v[13:14]
	v_sub_co_u32 v13, vcc_lo, s26, v13
	v_sub_co_ci_u32_e64 v14, null, s27, v14, vcc_lo
	v_add_co_u32 v13, vcc_lo, 0xfffff800, v13
	v_add_co_ci_u32_e64 v14, null, -1, v14, vcc_lo
	s_waitcnt lgkmcnt(0)
	global_store_dword v[13:14], v15, off offset:-4
                                        ; implicit-def: $vgpr13
.LBB1260_278:
	s_andn2_saveexec_b32 s2, s2
	s_cbranch_execz .LBB1260_280
; %bb.279:
	v_lshlrev_b32_e32 v14, 2, v0
	v_lshlrev_b32_e32 v13, 2, v13
	v_readfirstlane_b32 s4, v7
	v_readfirstlane_b32 s5, v8
	ds_read_b32 v14, v14 offset:2048
	s_waitcnt lgkmcnt(0)
	global_store_dword v13, v14, s[4:5]
.LBB1260_280:
	s_or_b32 exec_lo, exec_lo, s2
                                        ; implicit-def: $vgpr13
.LBB1260_281:
	s_andn2_saveexec_b32 s1, s1
	s_cbranch_execz .LBB1260_283
; %bb.282:
	v_lshlrev_b32_e32 v14, 2, v0
	v_lshlrev_b32_e32 v13, 2, v13
	v_readfirstlane_b32 s2, v9
	v_readfirstlane_b32 s3, v10
	ds_read_b32 v14, v14 offset:2048
	s_waitcnt lgkmcnt(0)
	global_store_dword v13, v14, s[2:3]
.LBB1260_283:
	s_or_b32 exec_lo, exec_lo, s0
	v_or_b32_e32 v13, 0x300, v0
	s_mov_b32 s0, exec_lo
	v_cmpx_gt_u32_e64 s7, v13
	s_cbranch_execz .LBB1260_292
; %bb.284:
	s_mov_b32 s1, exec_lo
	v_cmpx_ge_u32_e64 v13, v1
	s_xor_b32 s1, exec_lo, s1
	s_cbranch_execz .LBB1260_290
; %bb.285:
	s_mov_b32 s2, exec_lo
	v_cmpx_ge_u32_e64 v13, v12
	s_xor_b32 s2, exec_lo, s2
	s_cbranch_execz .LBB1260_287
; %bb.286:
	v_lshlrev_b32_e32 v14, 2, v0
	v_add_co_u32 v13, vcc_lo, v3, v13
	ds_read_b32 v15, v14 offset:3072
	v_add_co_ci_u32_e64 v14, null, 0, v11, vcc_lo
	v_lshlrev_b64 v[13:14], 2, v[13:14]
	v_sub_co_u32 v13, vcc_lo, s26, v13
	v_sub_co_ci_u32_e64 v14, null, s27, v14, vcc_lo
	s_waitcnt lgkmcnt(0)
	global_store_dword v[13:14], v15, off offset:-4
                                        ; implicit-def: $vgpr13
.LBB1260_287:
	s_andn2_saveexec_b32 s2, s2
	s_cbranch_execz .LBB1260_289
; %bb.288:
	v_lshlrev_b32_e32 v14, 2, v0
	v_lshlrev_b32_e32 v13, 2, v13
	v_readfirstlane_b32 s4, v7
	v_readfirstlane_b32 s5, v8
	ds_read_b32 v14, v14 offset:3072
	s_waitcnt lgkmcnt(0)
	global_store_dword v13, v14, s[4:5]
.LBB1260_289:
	s_or_b32 exec_lo, exec_lo, s2
                                        ; implicit-def: $vgpr13
.LBB1260_290:
	s_andn2_saveexec_b32 s1, s1
	s_cbranch_execz .LBB1260_292
; %bb.291:
	v_lshlrev_b32_e32 v14, 2, v0
	v_lshlrev_b32_e32 v13, 2, v13
	v_readfirstlane_b32 s2, v9
	v_readfirstlane_b32 s3, v10
	ds_read_b32 v14, v14 offset:3072
	s_waitcnt lgkmcnt(0)
	global_store_dword v13, v14, s[2:3]
.LBB1260_292:
	s_or_b32 exec_lo, exec_lo, s0
	v_or_b32_e32 v13, 0x400, v0
	s_mov_b32 s0, exec_lo
	v_cmpx_gt_u32_e64 s7, v13
	s_cbranch_execz .LBB1260_301
; %bb.293:
	s_mov_b32 s1, exec_lo
	v_cmpx_ge_u32_e64 v13, v1
	s_xor_b32 s1, exec_lo, s1
	s_cbranch_execz .LBB1260_299
; %bb.294:
	s_mov_b32 s2, exec_lo
	v_cmpx_ge_u32_e64 v13, v12
	s_xor_b32 s2, exec_lo, s2
	s_cbranch_execz .LBB1260_296
; %bb.295:
	v_lshlrev_b32_e32 v14, 2, v0
	v_add_co_u32 v13, vcc_lo, v3, v13
	ds_read_b32 v15, v14 offset:4096
	v_add_co_ci_u32_e64 v14, null, 0, v11, vcc_lo
	v_lshlrev_b64 v[13:14], 2, v[13:14]
	v_sub_co_u32 v13, vcc_lo, s26, v13
	v_sub_co_ci_u32_e64 v14, null, s27, v14, vcc_lo
	s_waitcnt lgkmcnt(0)
	global_store_dword v[13:14], v15, off offset:-4
                                        ; implicit-def: $vgpr13
.LBB1260_296:
	s_andn2_saveexec_b32 s2, s2
	s_cbranch_execz .LBB1260_298
; %bb.297:
	v_lshlrev_b32_e32 v14, 2, v0
	v_lshlrev_b32_e32 v13, 2, v13
	v_readfirstlane_b32 s4, v7
	v_readfirstlane_b32 s5, v8
	ds_read_b32 v14, v14 offset:4096
	s_waitcnt lgkmcnt(0)
	global_store_dword v13, v14, s[4:5]
.LBB1260_298:
	s_or_b32 exec_lo, exec_lo, s2
                                        ; implicit-def: $vgpr13
.LBB1260_299:
	s_andn2_saveexec_b32 s1, s1
	s_cbranch_execz .LBB1260_301
; %bb.300:
	v_lshlrev_b32_e32 v14, 2, v0
	v_lshlrev_b32_e32 v13, 2, v13
	v_readfirstlane_b32 s2, v9
	v_readfirstlane_b32 s3, v10
	ds_read_b32 v14, v14 offset:4096
	s_waitcnt lgkmcnt(0)
	global_store_dword v13, v14, s[2:3]
.LBB1260_301:
	;; [unrolled: 52-line block ×9, first 2 shown]
	s_or_b32 exec_lo, exec_lo, s0
	v_or_b32_e32 v13, 0xc00, v0
	s_mov_b32 s0, exec_lo
	v_cmpx_gt_u32_e64 s7, v13
	s_cbranch_execz .LBB1260_373
; %bb.365:
	s_mov_b32 s1, exec_lo
	v_cmpx_ge_u32_e64 v13, v1
	s_xor_b32 s1, exec_lo, s1
	s_cbranch_execz .LBB1260_371
; %bb.366:
	s_mov_b32 s2, exec_lo
	v_cmpx_ge_u32_e64 v13, v12
	s_xor_b32 s2, exec_lo, s2
	s_cbranch_execz .LBB1260_368
; %bb.367:
	v_lshlrev_b32_e32 v7, 2, v0
	ds_read_b32 v9, v7 offset:12288
	v_add_co_u32 v7, vcc_lo, v3, v13
	v_add_co_ci_u32_e64 v8, null, 0, v11, vcc_lo
                                        ; implicit-def: $vgpr13
	v_lshlrev_b64 v[7:8], 2, v[7:8]
	v_sub_co_u32 v7, vcc_lo, s26, v7
	v_sub_co_ci_u32_e64 v8, null, s27, v8, vcc_lo
	s_waitcnt lgkmcnt(0)
	global_store_dword v[7:8], v9, off offset:-4
                                        ; implicit-def: $vgpr7_vgpr8
.LBB1260_368:
	s_andn2_saveexec_b32 s2, s2
	s_cbranch_execz .LBB1260_370
; %bb.369:
	v_lshlrev_b32_e32 v3, 2, v0
	v_lshlrev_b32_e32 v9, 2, v13
	v_readfirstlane_b32 s4, v7
	v_readfirstlane_b32 s5, v8
	ds_read_b32 v3, v3 offset:12288
	s_waitcnt lgkmcnt(0)
	global_store_dword v9, v3, s[4:5]
.LBB1260_370:
	s_or_b32 exec_lo, exec_lo, s2
                                        ; implicit-def: $vgpr13
                                        ; implicit-def: $vgpr9_vgpr10
.LBB1260_371:
	s_andn2_saveexec_b32 s1, s1
	s_cbranch_execz .LBB1260_373
; %bb.372:
	v_lshlrev_b32_e32 v3, 2, v0
	v_lshlrev_b32_e32 v7, 2, v13
	v_readfirstlane_b32 s2, v9
	v_readfirstlane_b32 s3, v10
	ds_read_b32 v3, v3 offset:12288
	s_waitcnt lgkmcnt(0)
	global_store_dword v7, v3, s[2:3]
.LBB1260_373:
	s_or_b32 exec_lo, exec_lo, s0
	v_cmp_eq_u32_e32 vcc_lo, 0, v0
	s_and_b32 s0, vcc_lo, s33
	s_and_saveexec_b32 s1, s0
	s_cbranch_execz .LBB1260_150
.LBB1260_374:
	v_add_co_u32 v0, s0, s30, v2
	v_add_co_ci_u32_e64 v3, null, s31, 0, s0
	v_mov_b32_e32 v7, 0
	v_add_co_u32 v2, vcc_lo, v0, v4
	v_add_co_ci_u32_e64 v3, null, 0, v3, vcc_lo
	v_add_co_u32 v0, vcc_lo, v5, v1
	v_add_co_ci_u32_e64 v1, null, 0, v6, vcc_lo
	global_store_dwordx4 v7, v[0:3], s[24:25]
	s_endpgm
.LBB1260_375:
	s_add_i32 s10, s6, 32
	s_mov_b32 s11, 0
	v_add_nc_u32_e32 v6, v4, v2
	s_lshl_b64 s[10:11], s[10:11], 4
	v_add_nc_u32_e32 v5, v3, v1
	s_add_u32 s10, s4, s10
	s_addc_u32 s11, s5, s11
	v_mov_b32_e32 v7, 2
	v_mov_b32_e32 v24, s11
	;; [unrolled: 1-line block ×4, first 2 shown]
	;;#ASMSTART
	global_store_dwordx4 v[23:24], v[5:8] off	
s_waitcnt vmcnt(0)
	;;#ASMEND
	s_or_b32 exec_lo, exec_lo, s8
	s_and_saveexec_b32 s6, s2
	s_cbranch_execz .LBB1260_135
.LBB1260_376:
	v_mov_b32_e32 v5, 0
	ds_write_b128 v5, v[1:4] offset:13312
	s_or_b32 exec_lo, exec_lo, s6
	v_cmp_eq_u32_e32 vcc_lo, 0, v0
	s_and_b32 exec_lo, exec_lo, vcc_lo
	s_cbranch_execnz .LBB1260_136
	s_branch .LBB1260_137
	.section	.rodata,"a",@progbits
	.p2align	6, 0x0
	.amdhsa_kernel _ZN7rocprim17ROCPRIM_400000_NS6detail17trampoline_kernelINS0_13select_configILj256ELj13ELNS0_17block_load_methodE3ELS4_3ELS4_3ELNS0_20block_scan_algorithmE0ELj4294967295EEENS1_25partition_config_selectorILNS1_17partition_subalgoE4EjNS0_10empty_typeEbEEZZNS1_14partition_implILS8_4ELb0ES6_15HIP_vector_typeIjLj2EENS0_17counting_iteratorIjlEEPS9_SG_NS0_5tupleIJPjSI_NS0_16reverse_iteratorISI_EEEEENSH_IJSG_SG_SG_EEES9_SI_JZNS1_25segmented_radix_sort_implINS0_14default_configELb1EPKfPfPKlPlN2at6native12_GLOBAL__N_18offset_tEEE10hipError_tPvRmT1_PNSt15iterator_traitsIS12_E10value_typeET2_T3_PNS13_IS18_E10value_typeET4_jRbjT5_S1E_jjP12ihipStream_tbEUljE_ZNSN_ISO_Lb1ESQ_SR_ST_SU_SY_EESZ_S10_S11_S12_S16_S17_S18_S1B_S1C_jS1D_jS1E_S1E_jjS1G_bEUljE0_EEESZ_S10_S11_S18_S1C_S1E_T6_T7_T9_mT8_S1G_bDpT10_ENKUlT_T0_E_clISt17integral_constantIbLb0EES1U_EEDaS1P_S1Q_EUlS1P_E_NS1_11comp_targetILNS1_3genE8ELNS1_11target_archE1030ELNS1_3gpuE2ELNS1_3repE0EEENS1_30default_config_static_selectorELNS0_4arch9wavefront6targetE0EEEvS12_
		.amdhsa_group_segment_fixed_size 13328
		.amdhsa_private_segment_fixed_size 0
		.amdhsa_kernarg_size 176
		.amdhsa_user_sgpr_count 6
		.amdhsa_user_sgpr_private_segment_buffer 1
		.amdhsa_user_sgpr_dispatch_ptr 0
		.amdhsa_user_sgpr_queue_ptr 0
		.amdhsa_user_sgpr_kernarg_segment_ptr 1
		.amdhsa_user_sgpr_dispatch_id 0
		.amdhsa_user_sgpr_flat_scratch_init 0
		.amdhsa_user_sgpr_private_segment_size 0
		.amdhsa_wavefront_size32 1
		.amdhsa_uses_dynamic_stack 0
		.amdhsa_system_sgpr_private_segment_wavefront_offset 0
		.amdhsa_system_sgpr_workgroup_id_x 1
		.amdhsa_system_sgpr_workgroup_id_y 0
		.amdhsa_system_sgpr_workgroup_id_z 0
		.amdhsa_system_sgpr_workgroup_info 0
		.amdhsa_system_vgpr_workitem_id 0
		.amdhsa_next_free_vgpr 82
		.amdhsa_next_free_sgpr 59
		.amdhsa_reserve_vcc 1
		.amdhsa_reserve_flat_scratch 0
		.amdhsa_float_round_mode_32 0
		.amdhsa_float_round_mode_16_64 0
		.amdhsa_float_denorm_mode_32 3
		.amdhsa_float_denorm_mode_16_64 3
		.amdhsa_dx10_clamp 1
		.amdhsa_ieee_mode 1
		.amdhsa_fp16_overflow 0
		.amdhsa_workgroup_processor_mode 1
		.amdhsa_memory_ordered 1
		.amdhsa_forward_progress 1
		.amdhsa_shared_vgpr_count 0
		.amdhsa_exception_fp_ieee_invalid_op 0
		.amdhsa_exception_fp_denorm_src 0
		.amdhsa_exception_fp_ieee_div_zero 0
		.amdhsa_exception_fp_ieee_overflow 0
		.amdhsa_exception_fp_ieee_underflow 0
		.amdhsa_exception_fp_ieee_inexact 0
		.amdhsa_exception_int_div_zero 0
	.end_amdhsa_kernel
	.section	.text._ZN7rocprim17ROCPRIM_400000_NS6detail17trampoline_kernelINS0_13select_configILj256ELj13ELNS0_17block_load_methodE3ELS4_3ELS4_3ELNS0_20block_scan_algorithmE0ELj4294967295EEENS1_25partition_config_selectorILNS1_17partition_subalgoE4EjNS0_10empty_typeEbEEZZNS1_14partition_implILS8_4ELb0ES6_15HIP_vector_typeIjLj2EENS0_17counting_iteratorIjlEEPS9_SG_NS0_5tupleIJPjSI_NS0_16reverse_iteratorISI_EEEEENSH_IJSG_SG_SG_EEES9_SI_JZNS1_25segmented_radix_sort_implINS0_14default_configELb1EPKfPfPKlPlN2at6native12_GLOBAL__N_18offset_tEEE10hipError_tPvRmT1_PNSt15iterator_traitsIS12_E10value_typeET2_T3_PNS13_IS18_E10value_typeET4_jRbjT5_S1E_jjP12ihipStream_tbEUljE_ZNSN_ISO_Lb1ESQ_SR_ST_SU_SY_EESZ_S10_S11_S12_S16_S17_S18_S1B_S1C_jS1D_jS1E_S1E_jjS1G_bEUljE0_EEESZ_S10_S11_S18_S1C_S1E_T6_T7_T9_mT8_S1G_bDpT10_ENKUlT_T0_E_clISt17integral_constantIbLb0EES1U_EEDaS1P_S1Q_EUlS1P_E_NS1_11comp_targetILNS1_3genE8ELNS1_11target_archE1030ELNS1_3gpuE2ELNS1_3repE0EEENS1_30default_config_static_selectorELNS0_4arch9wavefront6targetE0EEEvS12_,"axG",@progbits,_ZN7rocprim17ROCPRIM_400000_NS6detail17trampoline_kernelINS0_13select_configILj256ELj13ELNS0_17block_load_methodE3ELS4_3ELS4_3ELNS0_20block_scan_algorithmE0ELj4294967295EEENS1_25partition_config_selectorILNS1_17partition_subalgoE4EjNS0_10empty_typeEbEEZZNS1_14partition_implILS8_4ELb0ES6_15HIP_vector_typeIjLj2EENS0_17counting_iteratorIjlEEPS9_SG_NS0_5tupleIJPjSI_NS0_16reverse_iteratorISI_EEEEENSH_IJSG_SG_SG_EEES9_SI_JZNS1_25segmented_radix_sort_implINS0_14default_configELb1EPKfPfPKlPlN2at6native12_GLOBAL__N_18offset_tEEE10hipError_tPvRmT1_PNSt15iterator_traitsIS12_E10value_typeET2_T3_PNS13_IS18_E10value_typeET4_jRbjT5_S1E_jjP12ihipStream_tbEUljE_ZNSN_ISO_Lb1ESQ_SR_ST_SU_SY_EESZ_S10_S11_S12_S16_S17_S18_S1B_S1C_jS1D_jS1E_S1E_jjS1G_bEUljE0_EEESZ_S10_S11_S18_S1C_S1E_T6_T7_T9_mT8_S1G_bDpT10_ENKUlT_T0_E_clISt17integral_constantIbLb0EES1U_EEDaS1P_S1Q_EUlS1P_E_NS1_11comp_targetILNS1_3genE8ELNS1_11target_archE1030ELNS1_3gpuE2ELNS1_3repE0EEENS1_30default_config_static_selectorELNS0_4arch9wavefront6targetE0EEEvS12_,comdat
.Lfunc_end1260:
	.size	_ZN7rocprim17ROCPRIM_400000_NS6detail17trampoline_kernelINS0_13select_configILj256ELj13ELNS0_17block_load_methodE3ELS4_3ELS4_3ELNS0_20block_scan_algorithmE0ELj4294967295EEENS1_25partition_config_selectorILNS1_17partition_subalgoE4EjNS0_10empty_typeEbEEZZNS1_14partition_implILS8_4ELb0ES6_15HIP_vector_typeIjLj2EENS0_17counting_iteratorIjlEEPS9_SG_NS0_5tupleIJPjSI_NS0_16reverse_iteratorISI_EEEEENSH_IJSG_SG_SG_EEES9_SI_JZNS1_25segmented_radix_sort_implINS0_14default_configELb1EPKfPfPKlPlN2at6native12_GLOBAL__N_18offset_tEEE10hipError_tPvRmT1_PNSt15iterator_traitsIS12_E10value_typeET2_T3_PNS13_IS18_E10value_typeET4_jRbjT5_S1E_jjP12ihipStream_tbEUljE_ZNSN_ISO_Lb1ESQ_SR_ST_SU_SY_EESZ_S10_S11_S12_S16_S17_S18_S1B_S1C_jS1D_jS1E_S1E_jjS1G_bEUljE0_EEESZ_S10_S11_S18_S1C_S1E_T6_T7_T9_mT8_S1G_bDpT10_ENKUlT_T0_E_clISt17integral_constantIbLb0EES1U_EEDaS1P_S1Q_EUlS1P_E_NS1_11comp_targetILNS1_3genE8ELNS1_11target_archE1030ELNS1_3gpuE2ELNS1_3repE0EEENS1_30default_config_static_selectorELNS0_4arch9wavefront6targetE0EEEvS12_, .Lfunc_end1260-_ZN7rocprim17ROCPRIM_400000_NS6detail17trampoline_kernelINS0_13select_configILj256ELj13ELNS0_17block_load_methodE3ELS4_3ELS4_3ELNS0_20block_scan_algorithmE0ELj4294967295EEENS1_25partition_config_selectorILNS1_17partition_subalgoE4EjNS0_10empty_typeEbEEZZNS1_14partition_implILS8_4ELb0ES6_15HIP_vector_typeIjLj2EENS0_17counting_iteratorIjlEEPS9_SG_NS0_5tupleIJPjSI_NS0_16reverse_iteratorISI_EEEEENSH_IJSG_SG_SG_EEES9_SI_JZNS1_25segmented_radix_sort_implINS0_14default_configELb1EPKfPfPKlPlN2at6native12_GLOBAL__N_18offset_tEEE10hipError_tPvRmT1_PNSt15iterator_traitsIS12_E10value_typeET2_T3_PNS13_IS18_E10value_typeET4_jRbjT5_S1E_jjP12ihipStream_tbEUljE_ZNSN_ISO_Lb1ESQ_SR_ST_SU_SY_EESZ_S10_S11_S12_S16_S17_S18_S1B_S1C_jS1D_jS1E_S1E_jjS1G_bEUljE0_EEESZ_S10_S11_S18_S1C_S1E_T6_T7_T9_mT8_S1G_bDpT10_ENKUlT_T0_E_clISt17integral_constantIbLb0EES1U_EEDaS1P_S1Q_EUlS1P_E_NS1_11comp_targetILNS1_3genE8ELNS1_11target_archE1030ELNS1_3gpuE2ELNS1_3repE0EEENS1_30default_config_static_selectorELNS0_4arch9wavefront6targetE0EEEvS12_
                                        ; -- End function
	.set _ZN7rocprim17ROCPRIM_400000_NS6detail17trampoline_kernelINS0_13select_configILj256ELj13ELNS0_17block_load_methodE3ELS4_3ELS4_3ELNS0_20block_scan_algorithmE0ELj4294967295EEENS1_25partition_config_selectorILNS1_17partition_subalgoE4EjNS0_10empty_typeEbEEZZNS1_14partition_implILS8_4ELb0ES6_15HIP_vector_typeIjLj2EENS0_17counting_iteratorIjlEEPS9_SG_NS0_5tupleIJPjSI_NS0_16reverse_iteratorISI_EEEEENSH_IJSG_SG_SG_EEES9_SI_JZNS1_25segmented_radix_sort_implINS0_14default_configELb1EPKfPfPKlPlN2at6native12_GLOBAL__N_18offset_tEEE10hipError_tPvRmT1_PNSt15iterator_traitsIS12_E10value_typeET2_T3_PNS13_IS18_E10value_typeET4_jRbjT5_S1E_jjP12ihipStream_tbEUljE_ZNSN_ISO_Lb1ESQ_SR_ST_SU_SY_EESZ_S10_S11_S12_S16_S17_S18_S1B_S1C_jS1D_jS1E_S1E_jjS1G_bEUljE0_EEESZ_S10_S11_S18_S1C_S1E_T6_T7_T9_mT8_S1G_bDpT10_ENKUlT_T0_E_clISt17integral_constantIbLb0EES1U_EEDaS1P_S1Q_EUlS1P_E_NS1_11comp_targetILNS1_3genE8ELNS1_11target_archE1030ELNS1_3gpuE2ELNS1_3repE0EEENS1_30default_config_static_selectorELNS0_4arch9wavefront6targetE0EEEvS12_.num_vgpr, 82
	.set _ZN7rocprim17ROCPRIM_400000_NS6detail17trampoline_kernelINS0_13select_configILj256ELj13ELNS0_17block_load_methodE3ELS4_3ELS4_3ELNS0_20block_scan_algorithmE0ELj4294967295EEENS1_25partition_config_selectorILNS1_17partition_subalgoE4EjNS0_10empty_typeEbEEZZNS1_14partition_implILS8_4ELb0ES6_15HIP_vector_typeIjLj2EENS0_17counting_iteratorIjlEEPS9_SG_NS0_5tupleIJPjSI_NS0_16reverse_iteratorISI_EEEEENSH_IJSG_SG_SG_EEES9_SI_JZNS1_25segmented_radix_sort_implINS0_14default_configELb1EPKfPfPKlPlN2at6native12_GLOBAL__N_18offset_tEEE10hipError_tPvRmT1_PNSt15iterator_traitsIS12_E10value_typeET2_T3_PNS13_IS18_E10value_typeET4_jRbjT5_S1E_jjP12ihipStream_tbEUljE_ZNSN_ISO_Lb1ESQ_SR_ST_SU_SY_EESZ_S10_S11_S12_S16_S17_S18_S1B_S1C_jS1D_jS1E_S1E_jjS1G_bEUljE0_EEESZ_S10_S11_S18_S1C_S1E_T6_T7_T9_mT8_S1G_bDpT10_ENKUlT_T0_E_clISt17integral_constantIbLb0EES1U_EEDaS1P_S1Q_EUlS1P_E_NS1_11comp_targetILNS1_3genE8ELNS1_11target_archE1030ELNS1_3gpuE2ELNS1_3repE0EEENS1_30default_config_static_selectorELNS0_4arch9wavefront6targetE0EEEvS12_.num_agpr, 0
	.set _ZN7rocprim17ROCPRIM_400000_NS6detail17trampoline_kernelINS0_13select_configILj256ELj13ELNS0_17block_load_methodE3ELS4_3ELS4_3ELNS0_20block_scan_algorithmE0ELj4294967295EEENS1_25partition_config_selectorILNS1_17partition_subalgoE4EjNS0_10empty_typeEbEEZZNS1_14partition_implILS8_4ELb0ES6_15HIP_vector_typeIjLj2EENS0_17counting_iteratorIjlEEPS9_SG_NS0_5tupleIJPjSI_NS0_16reverse_iteratorISI_EEEEENSH_IJSG_SG_SG_EEES9_SI_JZNS1_25segmented_radix_sort_implINS0_14default_configELb1EPKfPfPKlPlN2at6native12_GLOBAL__N_18offset_tEEE10hipError_tPvRmT1_PNSt15iterator_traitsIS12_E10value_typeET2_T3_PNS13_IS18_E10value_typeET4_jRbjT5_S1E_jjP12ihipStream_tbEUljE_ZNSN_ISO_Lb1ESQ_SR_ST_SU_SY_EESZ_S10_S11_S12_S16_S17_S18_S1B_S1C_jS1D_jS1E_S1E_jjS1G_bEUljE0_EEESZ_S10_S11_S18_S1C_S1E_T6_T7_T9_mT8_S1G_bDpT10_ENKUlT_T0_E_clISt17integral_constantIbLb0EES1U_EEDaS1P_S1Q_EUlS1P_E_NS1_11comp_targetILNS1_3genE8ELNS1_11target_archE1030ELNS1_3gpuE2ELNS1_3repE0EEENS1_30default_config_static_selectorELNS0_4arch9wavefront6targetE0EEEvS12_.numbered_sgpr, 59
	.set _ZN7rocprim17ROCPRIM_400000_NS6detail17trampoline_kernelINS0_13select_configILj256ELj13ELNS0_17block_load_methodE3ELS4_3ELS4_3ELNS0_20block_scan_algorithmE0ELj4294967295EEENS1_25partition_config_selectorILNS1_17partition_subalgoE4EjNS0_10empty_typeEbEEZZNS1_14partition_implILS8_4ELb0ES6_15HIP_vector_typeIjLj2EENS0_17counting_iteratorIjlEEPS9_SG_NS0_5tupleIJPjSI_NS0_16reverse_iteratorISI_EEEEENSH_IJSG_SG_SG_EEES9_SI_JZNS1_25segmented_radix_sort_implINS0_14default_configELb1EPKfPfPKlPlN2at6native12_GLOBAL__N_18offset_tEEE10hipError_tPvRmT1_PNSt15iterator_traitsIS12_E10value_typeET2_T3_PNS13_IS18_E10value_typeET4_jRbjT5_S1E_jjP12ihipStream_tbEUljE_ZNSN_ISO_Lb1ESQ_SR_ST_SU_SY_EESZ_S10_S11_S12_S16_S17_S18_S1B_S1C_jS1D_jS1E_S1E_jjS1G_bEUljE0_EEESZ_S10_S11_S18_S1C_S1E_T6_T7_T9_mT8_S1G_bDpT10_ENKUlT_T0_E_clISt17integral_constantIbLb0EES1U_EEDaS1P_S1Q_EUlS1P_E_NS1_11comp_targetILNS1_3genE8ELNS1_11target_archE1030ELNS1_3gpuE2ELNS1_3repE0EEENS1_30default_config_static_selectorELNS0_4arch9wavefront6targetE0EEEvS12_.num_named_barrier, 0
	.set _ZN7rocprim17ROCPRIM_400000_NS6detail17trampoline_kernelINS0_13select_configILj256ELj13ELNS0_17block_load_methodE3ELS4_3ELS4_3ELNS0_20block_scan_algorithmE0ELj4294967295EEENS1_25partition_config_selectorILNS1_17partition_subalgoE4EjNS0_10empty_typeEbEEZZNS1_14partition_implILS8_4ELb0ES6_15HIP_vector_typeIjLj2EENS0_17counting_iteratorIjlEEPS9_SG_NS0_5tupleIJPjSI_NS0_16reverse_iteratorISI_EEEEENSH_IJSG_SG_SG_EEES9_SI_JZNS1_25segmented_radix_sort_implINS0_14default_configELb1EPKfPfPKlPlN2at6native12_GLOBAL__N_18offset_tEEE10hipError_tPvRmT1_PNSt15iterator_traitsIS12_E10value_typeET2_T3_PNS13_IS18_E10value_typeET4_jRbjT5_S1E_jjP12ihipStream_tbEUljE_ZNSN_ISO_Lb1ESQ_SR_ST_SU_SY_EESZ_S10_S11_S12_S16_S17_S18_S1B_S1C_jS1D_jS1E_S1E_jjS1G_bEUljE0_EEESZ_S10_S11_S18_S1C_S1E_T6_T7_T9_mT8_S1G_bDpT10_ENKUlT_T0_E_clISt17integral_constantIbLb0EES1U_EEDaS1P_S1Q_EUlS1P_E_NS1_11comp_targetILNS1_3genE8ELNS1_11target_archE1030ELNS1_3gpuE2ELNS1_3repE0EEENS1_30default_config_static_selectorELNS0_4arch9wavefront6targetE0EEEvS12_.private_seg_size, 0
	.set _ZN7rocprim17ROCPRIM_400000_NS6detail17trampoline_kernelINS0_13select_configILj256ELj13ELNS0_17block_load_methodE3ELS4_3ELS4_3ELNS0_20block_scan_algorithmE0ELj4294967295EEENS1_25partition_config_selectorILNS1_17partition_subalgoE4EjNS0_10empty_typeEbEEZZNS1_14partition_implILS8_4ELb0ES6_15HIP_vector_typeIjLj2EENS0_17counting_iteratorIjlEEPS9_SG_NS0_5tupleIJPjSI_NS0_16reverse_iteratorISI_EEEEENSH_IJSG_SG_SG_EEES9_SI_JZNS1_25segmented_radix_sort_implINS0_14default_configELb1EPKfPfPKlPlN2at6native12_GLOBAL__N_18offset_tEEE10hipError_tPvRmT1_PNSt15iterator_traitsIS12_E10value_typeET2_T3_PNS13_IS18_E10value_typeET4_jRbjT5_S1E_jjP12ihipStream_tbEUljE_ZNSN_ISO_Lb1ESQ_SR_ST_SU_SY_EESZ_S10_S11_S12_S16_S17_S18_S1B_S1C_jS1D_jS1E_S1E_jjS1G_bEUljE0_EEESZ_S10_S11_S18_S1C_S1E_T6_T7_T9_mT8_S1G_bDpT10_ENKUlT_T0_E_clISt17integral_constantIbLb0EES1U_EEDaS1P_S1Q_EUlS1P_E_NS1_11comp_targetILNS1_3genE8ELNS1_11target_archE1030ELNS1_3gpuE2ELNS1_3repE0EEENS1_30default_config_static_selectorELNS0_4arch9wavefront6targetE0EEEvS12_.uses_vcc, 1
	.set _ZN7rocprim17ROCPRIM_400000_NS6detail17trampoline_kernelINS0_13select_configILj256ELj13ELNS0_17block_load_methodE3ELS4_3ELS4_3ELNS0_20block_scan_algorithmE0ELj4294967295EEENS1_25partition_config_selectorILNS1_17partition_subalgoE4EjNS0_10empty_typeEbEEZZNS1_14partition_implILS8_4ELb0ES6_15HIP_vector_typeIjLj2EENS0_17counting_iteratorIjlEEPS9_SG_NS0_5tupleIJPjSI_NS0_16reverse_iteratorISI_EEEEENSH_IJSG_SG_SG_EEES9_SI_JZNS1_25segmented_radix_sort_implINS0_14default_configELb1EPKfPfPKlPlN2at6native12_GLOBAL__N_18offset_tEEE10hipError_tPvRmT1_PNSt15iterator_traitsIS12_E10value_typeET2_T3_PNS13_IS18_E10value_typeET4_jRbjT5_S1E_jjP12ihipStream_tbEUljE_ZNSN_ISO_Lb1ESQ_SR_ST_SU_SY_EESZ_S10_S11_S12_S16_S17_S18_S1B_S1C_jS1D_jS1E_S1E_jjS1G_bEUljE0_EEESZ_S10_S11_S18_S1C_S1E_T6_T7_T9_mT8_S1G_bDpT10_ENKUlT_T0_E_clISt17integral_constantIbLb0EES1U_EEDaS1P_S1Q_EUlS1P_E_NS1_11comp_targetILNS1_3genE8ELNS1_11target_archE1030ELNS1_3gpuE2ELNS1_3repE0EEENS1_30default_config_static_selectorELNS0_4arch9wavefront6targetE0EEEvS12_.uses_flat_scratch, 0
	.set _ZN7rocprim17ROCPRIM_400000_NS6detail17trampoline_kernelINS0_13select_configILj256ELj13ELNS0_17block_load_methodE3ELS4_3ELS4_3ELNS0_20block_scan_algorithmE0ELj4294967295EEENS1_25partition_config_selectorILNS1_17partition_subalgoE4EjNS0_10empty_typeEbEEZZNS1_14partition_implILS8_4ELb0ES6_15HIP_vector_typeIjLj2EENS0_17counting_iteratorIjlEEPS9_SG_NS0_5tupleIJPjSI_NS0_16reverse_iteratorISI_EEEEENSH_IJSG_SG_SG_EEES9_SI_JZNS1_25segmented_radix_sort_implINS0_14default_configELb1EPKfPfPKlPlN2at6native12_GLOBAL__N_18offset_tEEE10hipError_tPvRmT1_PNSt15iterator_traitsIS12_E10value_typeET2_T3_PNS13_IS18_E10value_typeET4_jRbjT5_S1E_jjP12ihipStream_tbEUljE_ZNSN_ISO_Lb1ESQ_SR_ST_SU_SY_EESZ_S10_S11_S12_S16_S17_S18_S1B_S1C_jS1D_jS1E_S1E_jjS1G_bEUljE0_EEESZ_S10_S11_S18_S1C_S1E_T6_T7_T9_mT8_S1G_bDpT10_ENKUlT_T0_E_clISt17integral_constantIbLb0EES1U_EEDaS1P_S1Q_EUlS1P_E_NS1_11comp_targetILNS1_3genE8ELNS1_11target_archE1030ELNS1_3gpuE2ELNS1_3repE0EEENS1_30default_config_static_selectorELNS0_4arch9wavefront6targetE0EEEvS12_.has_dyn_sized_stack, 0
	.set _ZN7rocprim17ROCPRIM_400000_NS6detail17trampoline_kernelINS0_13select_configILj256ELj13ELNS0_17block_load_methodE3ELS4_3ELS4_3ELNS0_20block_scan_algorithmE0ELj4294967295EEENS1_25partition_config_selectorILNS1_17partition_subalgoE4EjNS0_10empty_typeEbEEZZNS1_14partition_implILS8_4ELb0ES6_15HIP_vector_typeIjLj2EENS0_17counting_iteratorIjlEEPS9_SG_NS0_5tupleIJPjSI_NS0_16reverse_iteratorISI_EEEEENSH_IJSG_SG_SG_EEES9_SI_JZNS1_25segmented_radix_sort_implINS0_14default_configELb1EPKfPfPKlPlN2at6native12_GLOBAL__N_18offset_tEEE10hipError_tPvRmT1_PNSt15iterator_traitsIS12_E10value_typeET2_T3_PNS13_IS18_E10value_typeET4_jRbjT5_S1E_jjP12ihipStream_tbEUljE_ZNSN_ISO_Lb1ESQ_SR_ST_SU_SY_EESZ_S10_S11_S12_S16_S17_S18_S1B_S1C_jS1D_jS1E_S1E_jjS1G_bEUljE0_EEESZ_S10_S11_S18_S1C_S1E_T6_T7_T9_mT8_S1G_bDpT10_ENKUlT_T0_E_clISt17integral_constantIbLb0EES1U_EEDaS1P_S1Q_EUlS1P_E_NS1_11comp_targetILNS1_3genE8ELNS1_11target_archE1030ELNS1_3gpuE2ELNS1_3repE0EEENS1_30default_config_static_selectorELNS0_4arch9wavefront6targetE0EEEvS12_.has_recursion, 0
	.set _ZN7rocprim17ROCPRIM_400000_NS6detail17trampoline_kernelINS0_13select_configILj256ELj13ELNS0_17block_load_methodE3ELS4_3ELS4_3ELNS0_20block_scan_algorithmE0ELj4294967295EEENS1_25partition_config_selectorILNS1_17partition_subalgoE4EjNS0_10empty_typeEbEEZZNS1_14partition_implILS8_4ELb0ES6_15HIP_vector_typeIjLj2EENS0_17counting_iteratorIjlEEPS9_SG_NS0_5tupleIJPjSI_NS0_16reverse_iteratorISI_EEEEENSH_IJSG_SG_SG_EEES9_SI_JZNS1_25segmented_radix_sort_implINS0_14default_configELb1EPKfPfPKlPlN2at6native12_GLOBAL__N_18offset_tEEE10hipError_tPvRmT1_PNSt15iterator_traitsIS12_E10value_typeET2_T3_PNS13_IS18_E10value_typeET4_jRbjT5_S1E_jjP12ihipStream_tbEUljE_ZNSN_ISO_Lb1ESQ_SR_ST_SU_SY_EESZ_S10_S11_S12_S16_S17_S18_S1B_S1C_jS1D_jS1E_S1E_jjS1G_bEUljE0_EEESZ_S10_S11_S18_S1C_S1E_T6_T7_T9_mT8_S1G_bDpT10_ENKUlT_T0_E_clISt17integral_constantIbLb0EES1U_EEDaS1P_S1Q_EUlS1P_E_NS1_11comp_targetILNS1_3genE8ELNS1_11target_archE1030ELNS1_3gpuE2ELNS1_3repE0EEENS1_30default_config_static_selectorELNS0_4arch9wavefront6targetE0EEEvS12_.has_indirect_call, 0
	.section	.AMDGPU.csdata,"",@progbits
; Kernel info:
; codeLenInByte = 16236
; TotalNumSgprs: 61
; NumVgprs: 82
; ScratchSize: 0
; MemoryBound: 0
; FloatMode: 240
; IeeeMode: 1
; LDSByteSize: 13328 bytes/workgroup (compile time only)
; SGPRBlocks: 0
; VGPRBlocks: 10
; NumSGPRsForWavesPerEU: 61
; NumVGPRsForWavesPerEU: 82
; Occupancy: 10
; WaveLimiterHint : 1
; COMPUTE_PGM_RSRC2:SCRATCH_EN: 0
; COMPUTE_PGM_RSRC2:USER_SGPR: 6
; COMPUTE_PGM_RSRC2:TRAP_HANDLER: 0
; COMPUTE_PGM_RSRC2:TGID_X_EN: 1
; COMPUTE_PGM_RSRC2:TGID_Y_EN: 0
; COMPUTE_PGM_RSRC2:TGID_Z_EN: 0
; COMPUTE_PGM_RSRC2:TIDIG_COMP_CNT: 0
	.section	.text._ZN7rocprim17ROCPRIM_400000_NS6detail17trampoline_kernelINS0_13select_configILj256ELj13ELNS0_17block_load_methodE3ELS4_3ELS4_3ELNS0_20block_scan_algorithmE0ELj4294967295EEENS1_25partition_config_selectorILNS1_17partition_subalgoE4EjNS0_10empty_typeEbEEZZNS1_14partition_implILS8_4ELb0ES6_15HIP_vector_typeIjLj2EENS0_17counting_iteratorIjlEEPS9_SG_NS0_5tupleIJPjSI_NS0_16reverse_iteratorISI_EEEEENSH_IJSG_SG_SG_EEES9_SI_JZNS1_25segmented_radix_sort_implINS0_14default_configELb1EPKfPfPKlPlN2at6native12_GLOBAL__N_18offset_tEEE10hipError_tPvRmT1_PNSt15iterator_traitsIS12_E10value_typeET2_T3_PNS13_IS18_E10value_typeET4_jRbjT5_S1E_jjP12ihipStream_tbEUljE_ZNSN_ISO_Lb1ESQ_SR_ST_SU_SY_EESZ_S10_S11_S12_S16_S17_S18_S1B_S1C_jS1D_jS1E_S1E_jjS1G_bEUljE0_EEESZ_S10_S11_S18_S1C_S1E_T6_T7_T9_mT8_S1G_bDpT10_ENKUlT_T0_E_clISt17integral_constantIbLb1EES1U_EEDaS1P_S1Q_EUlS1P_E_NS1_11comp_targetILNS1_3genE0ELNS1_11target_archE4294967295ELNS1_3gpuE0ELNS1_3repE0EEENS1_30default_config_static_selectorELNS0_4arch9wavefront6targetE0EEEvS12_,"axG",@progbits,_ZN7rocprim17ROCPRIM_400000_NS6detail17trampoline_kernelINS0_13select_configILj256ELj13ELNS0_17block_load_methodE3ELS4_3ELS4_3ELNS0_20block_scan_algorithmE0ELj4294967295EEENS1_25partition_config_selectorILNS1_17partition_subalgoE4EjNS0_10empty_typeEbEEZZNS1_14partition_implILS8_4ELb0ES6_15HIP_vector_typeIjLj2EENS0_17counting_iteratorIjlEEPS9_SG_NS0_5tupleIJPjSI_NS0_16reverse_iteratorISI_EEEEENSH_IJSG_SG_SG_EEES9_SI_JZNS1_25segmented_radix_sort_implINS0_14default_configELb1EPKfPfPKlPlN2at6native12_GLOBAL__N_18offset_tEEE10hipError_tPvRmT1_PNSt15iterator_traitsIS12_E10value_typeET2_T3_PNS13_IS18_E10value_typeET4_jRbjT5_S1E_jjP12ihipStream_tbEUljE_ZNSN_ISO_Lb1ESQ_SR_ST_SU_SY_EESZ_S10_S11_S12_S16_S17_S18_S1B_S1C_jS1D_jS1E_S1E_jjS1G_bEUljE0_EEESZ_S10_S11_S18_S1C_S1E_T6_T7_T9_mT8_S1G_bDpT10_ENKUlT_T0_E_clISt17integral_constantIbLb1EES1U_EEDaS1P_S1Q_EUlS1P_E_NS1_11comp_targetILNS1_3genE0ELNS1_11target_archE4294967295ELNS1_3gpuE0ELNS1_3repE0EEENS1_30default_config_static_selectorELNS0_4arch9wavefront6targetE0EEEvS12_,comdat
	.globl	_ZN7rocprim17ROCPRIM_400000_NS6detail17trampoline_kernelINS0_13select_configILj256ELj13ELNS0_17block_load_methodE3ELS4_3ELS4_3ELNS0_20block_scan_algorithmE0ELj4294967295EEENS1_25partition_config_selectorILNS1_17partition_subalgoE4EjNS0_10empty_typeEbEEZZNS1_14partition_implILS8_4ELb0ES6_15HIP_vector_typeIjLj2EENS0_17counting_iteratorIjlEEPS9_SG_NS0_5tupleIJPjSI_NS0_16reverse_iteratorISI_EEEEENSH_IJSG_SG_SG_EEES9_SI_JZNS1_25segmented_radix_sort_implINS0_14default_configELb1EPKfPfPKlPlN2at6native12_GLOBAL__N_18offset_tEEE10hipError_tPvRmT1_PNSt15iterator_traitsIS12_E10value_typeET2_T3_PNS13_IS18_E10value_typeET4_jRbjT5_S1E_jjP12ihipStream_tbEUljE_ZNSN_ISO_Lb1ESQ_SR_ST_SU_SY_EESZ_S10_S11_S12_S16_S17_S18_S1B_S1C_jS1D_jS1E_S1E_jjS1G_bEUljE0_EEESZ_S10_S11_S18_S1C_S1E_T6_T7_T9_mT8_S1G_bDpT10_ENKUlT_T0_E_clISt17integral_constantIbLb1EES1U_EEDaS1P_S1Q_EUlS1P_E_NS1_11comp_targetILNS1_3genE0ELNS1_11target_archE4294967295ELNS1_3gpuE0ELNS1_3repE0EEENS1_30default_config_static_selectorELNS0_4arch9wavefront6targetE0EEEvS12_ ; -- Begin function _ZN7rocprim17ROCPRIM_400000_NS6detail17trampoline_kernelINS0_13select_configILj256ELj13ELNS0_17block_load_methodE3ELS4_3ELS4_3ELNS0_20block_scan_algorithmE0ELj4294967295EEENS1_25partition_config_selectorILNS1_17partition_subalgoE4EjNS0_10empty_typeEbEEZZNS1_14partition_implILS8_4ELb0ES6_15HIP_vector_typeIjLj2EENS0_17counting_iteratorIjlEEPS9_SG_NS0_5tupleIJPjSI_NS0_16reverse_iteratorISI_EEEEENSH_IJSG_SG_SG_EEES9_SI_JZNS1_25segmented_radix_sort_implINS0_14default_configELb1EPKfPfPKlPlN2at6native12_GLOBAL__N_18offset_tEEE10hipError_tPvRmT1_PNSt15iterator_traitsIS12_E10value_typeET2_T3_PNS13_IS18_E10value_typeET4_jRbjT5_S1E_jjP12ihipStream_tbEUljE_ZNSN_ISO_Lb1ESQ_SR_ST_SU_SY_EESZ_S10_S11_S12_S16_S17_S18_S1B_S1C_jS1D_jS1E_S1E_jjS1G_bEUljE0_EEESZ_S10_S11_S18_S1C_S1E_T6_T7_T9_mT8_S1G_bDpT10_ENKUlT_T0_E_clISt17integral_constantIbLb1EES1U_EEDaS1P_S1Q_EUlS1P_E_NS1_11comp_targetILNS1_3genE0ELNS1_11target_archE4294967295ELNS1_3gpuE0ELNS1_3repE0EEENS1_30default_config_static_selectorELNS0_4arch9wavefront6targetE0EEEvS12_
	.p2align	8
	.type	_ZN7rocprim17ROCPRIM_400000_NS6detail17trampoline_kernelINS0_13select_configILj256ELj13ELNS0_17block_load_methodE3ELS4_3ELS4_3ELNS0_20block_scan_algorithmE0ELj4294967295EEENS1_25partition_config_selectorILNS1_17partition_subalgoE4EjNS0_10empty_typeEbEEZZNS1_14partition_implILS8_4ELb0ES6_15HIP_vector_typeIjLj2EENS0_17counting_iteratorIjlEEPS9_SG_NS0_5tupleIJPjSI_NS0_16reverse_iteratorISI_EEEEENSH_IJSG_SG_SG_EEES9_SI_JZNS1_25segmented_radix_sort_implINS0_14default_configELb1EPKfPfPKlPlN2at6native12_GLOBAL__N_18offset_tEEE10hipError_tPvRmT1_PNSt15iterator_traitsIS12_E10value_typeET2_T3_PNS13_IS18_E10value_typeET4_jRbjT5_S1E_jjP12ihipStream_tbEUljE_ZNSN_ISO_Lb1ESQ_SR_ST_SU_SY_EESZ_S10_S11_S12_S16_S17_S18_S1B_S1C_jS1D_jS1E_S1E_jjS1G_bEUljE0_EEESZ_S10_S11_S18_S1C_S1E_T6_T7_T9_mT8_S1G_bDpT10_ENKUlT_T0_E_clISt17integral_constantIbLb1EES1U_EEDaS1P_S1Q_EUlS1P_E_NS1_11comp_targetILNS1_3genE0ELNS1_11target_archE4294967295ELNS1_3gpuE0ELNS1_3repE0EEENS1_30default_config_static_selectorELNS0_4arch9wavefront6targetE0EEEvS12_,@function
_ZN7rocprim17ROCPRIM_400000_NS6detail17trampoline_kernelINS0_13select_configILj256ELj13ELNS0_17block_load_methodE3ELS4_3ELS4_3ELNS0_20block_scan_algorithmE0ELj4294967295EEENS1_25partition_config_selectorILNS1_17partition_subalgoE4EjNS0_10empty_typeEbEEZZNS1_14partition_implILS8_4ELb0ES6_15HIP_vector_typeIjLj2EENS0_17counting_iteratorIjlEEPS9_SG_NS0_5tupleIJPjSI_NS0_16reverse_iteratorISI_EEEEENSH_IJSG_SG_SG_EEES9_SI_JZNS1_25segmented_radix_sort_implINS0_14default_configELb1EPKfPfPKlPlN2at6native12_GLOBAL__N_18offset_tEEE10hipError_tPvRmT1_PNSt15iterator_traitsIS12_E10value_typeET2_T3_PNS13_IS18_E10value_typeET4_jRbjT5_S1E_jjP12ihipStream_tbEUljE_ZNSN_ISO_Lb1ESQ_SR_ST_SU_SY_EESZ_S10_S11_S12_S16_S17_S18_S1B_S1C_jS1D_jS1E_S1E_jjS1G_bEUljE0_EEESZ_S10_S11_S18_S1C_S1E_T6_T7_T9_mT8_S1G_bDpT10_ENKUlT_T0_E_clISt17integral_constantIbLb1EES1U_EEDaS1P_S1Q_EUlS1P_E_NS1_11comp_targetILNS1_3genE0ELNS1_11target_archE4294967295ELNS1_3gpuE0ELNS1_3repE0EEENS1_30default_config_static_selectorELNS0_4arch9wavefront6targetE0EEEvS12_: ; @_ZN7rocprim17ROCPRIM_400000_NS6detail17trampoline_kernelINS0_13select_configILj256ELj13ELNS0_17block_load_methodE3ELS4_3ELS4_3ELNS0_20block_scan_algorithmE0ELj4294967295EEENS1_25partition_config_selectorILNS1_17partition_subalgoE4EjNS0_10empty_typeEbEEZZNS1_14partition_implILS8_4ELb0ES6_15HIP_vector_typeIjLj2EENS0_17counting_iteratorIjlEEPS9_SG_NS0_5tupleIJPjSI_NS0_16reverse_iteratorISI_EEEEENSH_IJSG_SG_SG_EEES9_SI_JZNS1_25segmented_radix_sort_implINS0_14default_configELb1EPKfPfPKlPlN2at6native12_GLOBAL__N_18offset_tEEE10hipError_tPvRmT1_PNSt15iterator_traitsIS12_E10value_typeET2_T3_PNS13_IS18_E10value_typeET4_jRbjT5_S1E_jjP12ihipStream_tbEUljE_ZNSN_ISO_Lb1ESQ_SR_ST_SU_SY_EESZ_S10_S11_S12_S16_S17_S18_S1B_S1C_jS1D_jS1E_S1E_jjS1G_bEUljE0_EEESZ_S10_S11_S18_S1C_S1E_T6_T7_T9_mT8_S1G_bDpT10_ENKUlT_T0_E_clISt17integral_constantIbLb1EES1U_EEDaS1P_S1Q_EUlS1P_E_NS1_11comp_targetILNS1_3genE0ELNS1_11target_archE4294967295ELNS1_3gpuE0ELNS1_3repE0EEENS1_30default_config_static_selectorELNS0_4arch9wavefront6targetE0EEEvS12_
; %bb.0:
	.section	.rodata,"a",@progbits
	.p2align	6, 0x0
	.amdhsa_kernel _ZN7rocprim17ROCPRIM_400000_NS6detail17trampoline_kernelINS0_13select_configILj256ELj13ELNS0_17block_load_methodE3ELS4_3ELS4_3ELNS0_20block_scan_algorithmE0ELj4294967295EEENS1_25partition_config_selectorILNS1_17partition_subalgoE4EjNS0_10empty_typeEbEEZZNS1_14partition_implILS8_4ELb0ES6_15HIP_vector_typeIjLj2EENS0_17counting_iteratorIjlEEPS9_SG_NS0_5tupleIJPjSI_NS0_16reverse_iteratorISI_EEEEENSH_IJSG_SG_SG_EEES9_SI_JZNS1_25segmented_radix_sort_implINS0_14default_configELb1EPKfPfPKlPlN2at6native12_GLOBAL__N_18offset_tEEE10hipError_tPvRmT1_PNSt15iterator_traitsIS12_E10value_typeET2_T3_PNS13_IS18_E10value_typeET4_jRbjT5_S1E_jjP12ihipStream_tbEUljE_ZNSN_ISO_Lb1ESQ_SR_ST_SU_SY_EESZ_S10_S11_S12_S16_S17_S18_S1B_S1C_jS1D_jS1E_S1E_jjS1G_bEUljE0_EEESZ_S10_S11_S18_S1C_S1E_T6_T7_T9_mT8_S1G_bDpT10_ENKUlT_T0_E_clISt17integral_constantIbLb1EES1U_EEDaS1P_S1Q_EUlS1P_E_NS1_11comp_targetILNS1_3genE0ELNS1_11target_archE4294967295ELNS1_3gpuE0ELNS1_3repE0EEENS1_30default_config_static_selectorELNS0_4arch9wavefront6targetE0EEEvS12_
		.amdhsa_group_segment_fixed_size 0
		.amdhsa_private_segment_fixed_size 0
		.amdhsa_kernarg_size 184
		.amdhsa_user_sgpr_count 6
		.amdhsa_user_sgpr_private_segment_buffer 1
		.amdhsa_user_sgpr_dispatch_ptr 0
		.amdhsa_user_sgpr_queue_ptr 0
		.amdhsa_user_sgpr_kernarg_segment_ptr 1
		.amdhsa_user_sgpr_dispatch_id 0
		.amdhsa_user_sgpr_flat_scratch_init 0
		.amdhsa_user_sgpr_private_segment_size 0
		.amdhsa_wavefront_size32 1
		.amdhsa_uses_dynamic_stack 0
		.amdhsa_system_sgpr_private_segment_wavefront_offset 0
		.amdhsa_system_sgpr_workgroup_id_x 1
		.amdhsa_system_sgpr_workgroup_id_y 0
		.amdhsa_system_sgpr_workgroup_id_z 0
		.amdhsa_system_sgpr_workgroup_info 0
		.amdhsa_system_vgpr_workitem_id 0
		.amdhsa_next_free_vgpr 1
		.amdhsa_next_free_sgpr 1
		.amdhsa_reserve_vcc 0
		.amdhsa_reserve_flat_scratch 0
		.amdhsa_float_round_mode_32 0
		.amdhsa_float_round_mode_16_64 0
		.amdhsa_float_denorm_mode_32 3
		.amdhsa_float_denorm_mode_16_64 3
		.amdhsa_dx10_clamp 1
		.amdhsa_ieee_mode 1
		.amdhsa_fp16_overflow 0
		.amdhsa_workgroup_processor_mode 1
		.amdhsa_memory_ordered 1
		.amdhsa_forward_progress 1
		.amdhsa_shared_vgpr_count 0
		.amdhsa_exception_fp_ieee_invalid_op 0
		.amdhsa_exception_fp_denorm_src 0
		.amdhsa_exception_fp_ieee_div_zero 0
		.amdhsa_exception_fp_ieee_overflow 0
		.amdhsa_exception_fp_ieee_underflow 0
		.amdhsa_exception_fp_ieee_inexact 0
		.amdhsa_exception_int_div_zero 0
	.end_amdhsa_kernel
	.section	.text._ZN7rocprim17ROCPRIM_400000_NS6detail17trampoline_kernelINS0_13select_configILj256ELj13ELNS0_17block_load_methodE3ELS4_3ELS4_3ELNS0_20block_scan_algorithmE0ELj4294967295EEENS1_25partition_config_selectorILNS1_17partition_subalgoE4EjNS0_10empty_typeEbEEZZNS1_14partition_implILS8_4ELb0ES6_15HIP_vector_typeIjLj2EENS0_17counting_iteratorIjlEEPS9_SG_NS0_5tupleIJPjSI_NS0_16reverse_iteratorISI_EEEEENSH_IJSG_SG_SG_EEES9_SI_JZNS1_25segmented_radix_sort_implINS0_14default_configELb1EPKfPfPKlPlN2at6native12_GLOBAL__N_18offset_tEEE10hipError_tPvRmT1_PNSt15iterator_traitsIS12_E10value_typeET2_T3_PNS13_IS18_E10value_typeET4_jRbjT5_S1E_jjP12ihipStream_tbEUljE_ZNSN_ISO_Lb1ESQ_SR_ST_SU_SY_EESZ_S10_S11_S12_S16_S17_S18_S1B_S1C_jS1D_jS1E_S1E_jjS1G_bEUljE0_EEESZ_S10_S11_S18_S1C_S1E_T6_T7_T9_mT8_S1G_bDpT10_ENKUlT_T0_E_clISt17integral_constantIbLb1EES1U_EEDaS1P_S1Q_EUlS1P_E_NS1_11comp_targetILNS1_3genE0ELNS1_11target_archE4294967295ELNS1_3gpuE0ELNS1_3repE0EEENS1_30default_config_static_selectorELNS0_4arch9wavefront6targetE0EEEvS12_,"axG",@progbits,_ZN7rocprim17ROCPRIM_400000_NS6detail17trampoline_kernelINS0_13select_configILj256ELj13ELNS0_17block_load_methodE3ELS4_3ELS4_3ELNS0_20block_scan_algorithmE0ELj4294967295EEENS1_25partition_config_selectorILNS1_17partition_subalgoE4EjNS0_10empty_typeEbEEZZNS1_14partition_implILS8_4ELb0ES6_15HIP_vector_typeIjLj2EENS0_17counting_iteratorIjlEEPS9_SG_NS0_5tupleIJPjSI_NS0_16reverse_iteratorISI_EEEEENSH_IJSG_SG_SG_EEES9_SI_JZNS1_25segmented_radix_sort_implINS0_14default_configELb1EPKfPfPKlPlN2at6native12_GLOBAL__N_18offset_tEEE10hipError_tPvRmT1_PNSt15iterator_traitsIS12_E10value_typeET2_T3_PNS13_IS18_E10value_typeET4_jRbjT5_S1E_jjP12ihipStream_tbEUljE_ZNSN_ISO_Lb1ESQ_SR_ST_SU_SY_EESZ_S10_S11_S12_S16_S17_S18_S1B_S1C_jS1D_jS1E_S1E_jjS1G_bEUljE0_EEESZ_S10_S11_S18_S1C_S1E_T6_T7_T9_mT8_S1G_bDpT10_ENKUlT_T0_E_clISt17integral_constantIbLb1EES1U_EEDaS1P_S1Q_EUlS1P_E_NS1_11comp_targetILNS1_3genE0ELNS1_11target_archE4294967295ELNS1_3gpuE0ELNS1_3repE0EEENS1_30default_config_static_selectorELNS0_4arch9wavefront6targetE0EEEvS12_,comdat
.Lfunc_end1261:
	.size	_ZN7rocprim17ROCPRIM_400000_NS6detail17trampoline_kernelINS0_13select_configILj256ELj13ELNS0_17block_load_methodE3ELS4_3ELS4_3ELNS0_20block_scan_algorithmE0ELj4294967295EEENS1_25partition_config_selectorILNS1_17partition_subalgoE4EjNS0_10empty_typeEbEEZZNS1_14partition_implILS8_4ELb0ES6_15HIP_vector_typeIjLj2EENS0_17counting_iteratorIjlEEPS9_SG_NS0_5tupleIJPjSI_NS0_16reverse_iteratorISI_EEEEENSH_IJSG_SG_SG_EEES9_SI_JZNS1_25segmented_radix_sort_implINS0_14default_configELb1EPKfPfPKlPlN2at6native12_GLOBAL__N_18offset_tEEE10hipError_tPvRmT1_PNSt15iterator_traitsIS12_E10value_typeET2_T3_PNS13_IS18_E10value_typeET4_jRbjT5_S1E_jjP12ihipStream_tbEUljE_ZNSN_ISO_Lb1ESQ_SR_ST_SU_SY_EESZ_S10_S11_S12_S16_S17_S18_S1B_S1C_jS1D_jS1E_S1E_jjS1G_bEUljE0_EEESZ_S10_S11_S18_S1C_S1E_T6_T7_T9_mT8_S1G_bDpT10_ENKUlT_T0_E_clISt17integral_constantIbLb1EES1U_EEDaS1P_S1Q_EUlS1P_E_NS1_11comp_targetILNS1_3genE0ELNS1_11target_archE4294967295ELNS1_3gpuE0ELNS1_3repE0EEENS1_30default_config_static_selectorELNS0_4arch9wavefront6targetE0EEEvS12_, .Lfunc_end1261-_ZN7rocprim17ROCPRIM_400000_NS6detail17trampoline_kernelINS0_13select_configILj256ELj13ELNS0_17block_load_methodE3ELS4_3ELS4_3ELNS0_20block_scan_algorithmE0ELj4294967295EEENS1_25partition_config_selectorILNS1_17partition_subalgoE4EjNS0_10empty_typeEbEEZZNS1_14partition_implILS8_4ELb0ES6_15HIP_vector_typeIjLj2EENS0_17counting_iteratorIjlEEPS9_SG_NS0_5tupleIJPjSI_NS0_16reverse_iteratorISI_EEEEENSH_IJSG_SG_SG_EEES9_SI_JZNS1_25segmented_radix_sort_implINS0_14default_configELb1EPKfPfPKlPlN2at6native12_GLOBAL__N_18offset_tEEE10hipError_tPvRmT1_PNSt15iterator_traitsIS12_E10value_typeET2_T3_PNS13_IS18_E10value_typeET4_jRbjT5_S1E_jjP12ihipStream_tbEUljE_ZNSN_ISO_Lb1ESQ_SR_ST_SU_SY_EESZ_S10_S11_S12_S16_S17_S18_S1B_S1C_jS1D_jS1E_S1E_jjS1G_bEUljE0_EEESZ_S10_S11_S18_S1C_S1E_T6_T7_T9_mT8_S1G_bDpT10_ENKUlT_T0_E_clISt17integral_constantIbLb1EES1U_EEDaS1P_S1Q_EUlS1P_E_NS1_11comp_targetILNS1_3genE0ELNS1_11target_archE4294967295ELNS1_3gpuE0ELNS1_3repE0EEENS1_30default_config_static_selectorELNS0_4arch9wavefront6targetE0EEEvS12_
                                        ; -- End function
	.set _ZN7rocprim17ROCPRIM_400000_NS6detail17trampoline_kernelINS0_13select_configILj256ELj13ELNS0_17block_load_methodE3ELS4_3ELS4_3ELNS0_20block_scan_algorithmE0ELj4294967295EEENS1_25partition_config_selectorILNS1_17partition_subalgoE4EjNS0_10empty_typeEbEEZZNS1_14partition_implILS8_4ELb0ES6_15HIP_vector_typeIjLj2EENS0_17counting_iteratorIjlEEPS9_SG_NS0_5tupleIJPjSI_NS0_16reverse_iteratorISI_EEEEENSH_IJSG_SG_SG_EEES9_SI_JZNS1_25segmented_radix_sort_implINS0_14default_configELb1EPKfPfPKlPlN2at6native12_GLOBAL__N_18offset_tEEE10hipError_tPvRmT1_PNSt15iterator_traitsIS12_E10value_typeET2_T3_PNS13_IS18_E10value_typeET4_jRbjT5_S1E_jjP12ihipStream_tbEUljE_ZNSN_ISO_Lb1ESQ_SR_ST_SU_SY_EESZ_S10_S11_S12_S16_S17_S18_S1B_S1C_jS1D_jS1E_S1E_jjS1G_bEUljE0_EEESZ_S10_S11_S18_S1C_S1E_T6_T7_T9_mT8_S1G_bDpT10_ENKUlT_T0_E_clISt17integral_constantIbLb1EES1U_EEDaS1P_S1Q_EUlS1P_E_NS1_11comp_targetILNS1_3genE0ELNS1_11target_archE4294967295ELNS1_3gpuE0ELNS1_3repE0EEENS1_30default_config_static_selectorELNS0_4arch9wavefront6targetE0EEEvS12_.num_vgpr, 0
	.set _ZN7rocprim17ROCPRIM_400000_NS6detail17trampoline_kernelINS0_13select_configILj256ELj13ELNS0_17block_load_methodE3ELS4_3ELS4_3ELNS0_20block_scan_algorithmE0ELj4294967295EEENS1_25partition_config_selectorILNS1_17partition_subalgoE4EjNS0_10empty_typeEbEEZZNS1_14partition_implILS8_4ELb0ES6_15HIP_vector_typeIjLj2EENS0_17counting_iteratorIjlEEPS9_SG_NS0_5tupleIJPjSI_NS0_16reverse_iteratorISI_EEEEENSH_IJSG_SG_SG_EEES9_SI_JZNS1_25segmented_radix_sort_implINS0_14default_configELb1EPKfPfPKlPlN2at6native12_GLOBAL__N_18offset_tEEE10hipError_tPvRmT1_PNSt15iterator_traitsIS12_E10value_typeET2_T3_PNS13_IS18_E10value_typeET4_jRbjT5_S1E_jjP12ihipStream_tbEUljE_ZNSN_ISO_Lb1ESQ_SR_ST_SU_SY_EESZ_S10_S11_S12_S16_S17_S18_S1B_S1C_jS1D_jS1E_S1E_jjS1G_bEUljE0_EEESZ_S10_S11_S18_S1C_S1E_T6_T7_T9_mT8_S1G_bDpT10_ENKUlT_T0_E_clISt17integral_constantIbLb1EES1U_EEDaS1P_S1Q_EUlS1P_E_NS1_11comp_targetILNS1_3genE0ELNS1_11target_archE4294967295ELNS1_3gpuE0ELNS1_3repE0EEENS1_30default_config_static_selectorELNS0_4arch9wavefront6targetE0EEEvS12_.num_agpr, 0
	.set _ZN7rocprim17ROCPRIM_400000_NS6detail17trampoline_kernelINS0_13select_configILj256ELj13ELNS0_17block_load_methodE3ELS4_3ELS4_3ELNS0_20block_scan_algorithmE0ELj4294967295EEENS1_25partition_config_selectorILNS1_17partition_subalgoE4EjNS0_10empty_typeEbEEZZNS1_14partition_implILS8_4ELb0ES6_15HIP_vector_typeIjLj2EENS0_17counting_iteratorIjlEEPS9_SG_NS0_5tupleIJPjSI_NS0_16reverse_iteratorISI_EEEEENSH_IJSG_SG_SG_EEES9_SI_JZNS1_25segmented_radix_sort_implINS0_14default_configELb1EPKfPfPKlPlN2at6native12_GLOBAL__N_18offset_tEEE10hipError_tPvRmT1_PNSt15iterator_traitsIS12_E10value_typeET2_T3_PNS13_IS18_E10value_typeET4_jRbjT5_S1E_jjP12ihipStream_tbEUljE_ZNSN_ISO_Lb1ESQ_SR_ST_SU_SY_EESZ_S10_S11_S12_S16_S17_S18_S1B_S1C_jS1D_jS1E_S1E_jjS1G_bEUljE0_EEESZ_S10_S11_S18_S1C_S1E_T6_T7_T9_mT8_S1G_bDpT10_ENKUlT_T0_E_clISt17integral_constantIbLb1EES1U_EEDaS1P_S1Q_EUlS1P_E_NS1_11comp_targetILNS1_3genE0ELNS1_11target_archE4294967295ELNS1_3gpuE0ELNS1_3repE0EEENS1_30default_config_static_selectorELNS0_4arch9wavefront6targetE0EEEvS12_.numbered_sgpr, 0
	.set _ZN7rocprim17ROCPRIM_400000_NS6detail17trampoline_kernelINS0_13select_configILj256ELj13ELNS0_17block_load_methodE3ELS4_3ELS4_3ELNS0_20block_scan_algorithmE0ELj4294967295EEENS1_25partition_config_selectorILNS1_17partition_subalgoE4EjNS0_10empty_typeEbEEZZNS1_14partition_implILS8_4ELb0ES6_15HIP_vector_typeIjLj2EENS0_17counting_iteratorIjlEEPS9_SG_NS0_5tupleIJPjSI_NS0_16reverse_iteratorISI_EEEEENSH_IJSG_SG_SG_EEES9_SI_JZNS1_25segmented_radix_sort_implINS0_14default_configELb1EPKfPfPKlPlN2at6native12_GLOBAL__N_18offset_tEEE10hipError_tPvRmT1_PNSt15iterator_traitsIS12_E10value_typeET2_T3_PNS13_IS18_E10value_typeET4_jRbjT5_S1E_jjP12ihipStream_tbEUljE_ZNSN_ISO_Lb1ESQ_SR_ST_SU_SY_EESZ_S10_S11_S12_S16_S17_S18_S1B_S1C_jS1D_jS1E_S1E_jjS1G_bEUljE0_EEESZ_S10_S11_S18_S1C_S1E_T6_T7_T9_mT8_S1G_bDpT10_ENKUlT_T0_E_clISt17integral_constantIbLb1EES1U_EEDaS1P_S1Q_EUlS1P_E_NS1_11comp_targetILNS1_3genE0ELNS1_11target_archE4294967295ELNS1_3gpuE0ELNS1_3repE0EEENS1_30default_config_static_selectorELNS0_4arch9wavefront6targetE0EEEvS12_.num_named_barrier, 0
	.set _ZN7rocprim17ROCPRIM_400000_NS6detail17trampoline_kernelINS0_13select_configILj256ELj13ELNS0_17block_load_methodE3ELS4_3ELS4_3ELNS0_20block_scan_algorithmE0ELj4294967295EEENS1_25partition_config_selectorILNS1_17partition_subalgoE4EjNS0_10empty_typeEbEEZZNS1_14partition_implILS8_4ELb0ES6_15HIP_vector_typeIjLj2EENS0_17counting_iteratorIjlEEPS9_SG_NS0_5tupleIJPjSI_NS0_16reverse_iteratorISI_EEEEENSH_IJSG_SG_SG_EEES9_SI_JZNS1_25segmented_radix_sort_implINS0_14default_configELb1EPKfPfPKlPlN2at6native12_GLOBAL__N_18offset_tEEE10hipError_tPvRmT1_PNSt15iterator_traitsIS12_E10value_typeET2_T3_PNS13_IS18_E10value_typeET4_jRbjT5_S1E_jjP12ihipStream_tbEUljE_ZNSN_ISO_Lb1ESQ_SR_ST_SU_SY_EESZ_S10_S11_S12_S16_S17_S18_S1B_S1C_jS1D_jS1E_S1E_jjS1G_bEUljE0_EEESZ_S10_S11_S18_S1C_S1E_T6_T7_T9_mT8_S1G_bDpT10_ENKUlT_T0_E_clISt17integral_constantIbLb1EES1U_EEDaS1P_S1Q_EUlS1P_E_NS1_11comp_targetILNS1_3genE0ELNS1_11target_archE4294967295ELNS1_3gpuE0ELNS1_3repE0EEENS1_30default_config_static_selectorELNS0_4arch9wavefront6targetE0EEEvS12_.private_seg_size, 0
	.set _ZN7rocprim17ROCPRIM_400000_NS6detail17trampoline_kernelINS0_13select_configILj256ELj13ELNS0_17block_load_methodE3ELS4_3ELS4_3ELNS0_20block_scan_algorithmE0ELj4294967295EEENS1_25partition_config_selectorILNS1_17partition_subalgoE4EjNS0_10empty_typeEbEEZZNS1_14partition_implILS8_4ELb0ES6_15HIP_vector_typeIjLj2EENS0_17counting_iteratorIjlEEPS9_SG_NS0_5tupleIJPjSI_NS0_16reverse_iteratorISI_EEEEENSH_IJSG_SG_SG_EEES9_SI_JZNS1_25segmented_radix_sort_implINS0_14default_configELb1EPKfPfPKlPlN2at6native12_GLOBAL__N_18offset_tEEE10hipError_tPvRmT1_PNSt15iterator_traitsIS12_E10value_typeET2_T3_PNS13_IS18_E10value_typeET4_jRbjT5_S1E_jjP12ihipStream_tbEUljE_ZNSN_ISO_Lb1ESQ_SR_ST_SU_SY_EESZ_S10_S11_S12_S16_S17_S18_S1B_S1C_jS1D_jS1E_S1E_jjS1G_bEUljE0_EEESZ_S10_S11_S18_S1C_S1E_T6_T7_T9_mT8_S1G_bDpT10_ENKUlT_T0_E_clISt17integral_constantIbLb1EES1U_EEDaS1P_S1Q_EUlS1P_E_NS1_11comp_targetILNS1_3genE0ELNS1_11target_archE4294967295ELNS1_3gpuE0ELNS1_3repE0EEENS1_30default_config_static_selectorELNS0_4arch9wavefront6targetE0EEEvS12_.uses_vcc, 0
	.set _ZN7rocprim17ROCPRIM_400000_NS6detail17trampoline_kernelINS0_13select_configILj256ELj13ELNS0_17block_load_methodE3ELS4_3ELS4_3ELNS0_20block_scan_algorithmE0ELj4294967295EEENS1_25partition_config_selectorILNS1_17partition_subalgoE4EjNS0_10empty_typeEbEEZZNS1_14partition_implILS8_4ELb0ES6_15HIP_vector_typeIjLj2EENS0_17counting_iteratorIjlEEPS9_SG_NS0_5tupleIJPjSI_NS0_16reverse_iteratorISI_EEEEENSH_IJSG_SG_SG_EEES9_SI_JZNS1_25segmented_radix_sort_implINS0_14default_configELb1EPKfPfPKlPlN2at6native12_GLOBAL__N_18offset_tEEE10hipError_tPvRmT1_PNSt15iterator_traitsIS12_E10value_typeET2_T3_PNS13_IS18_E10value_typeET4_jRbjT5_S1E_jjP12ihipStream_tbEUljE_ZNSN_ISO_Lb1ESQ_SR_ST_SU_SY_EESZ_S10_S11_S12_S16_S17_S18_S1B_S1C_jS1D_jS1E_S1E_jjS1G_bEUljE0_EEESZ_S10_S11_S18_S1C_S1E_T6_T7_T9_mT8_S1G_bDpT10_ENKUlT_T0_E_clISt17integral_constantIbLb1EES1U_EEDaS1P_S1Q_EUlS1P_E_NS1_11comp_targetILNS1_3genE0ELNS1_11target_archE4294967295ELNS1_3gpuE0ELNS1_3repE0EEENS1_30default_config_static_selectorELNS0_4arch9wavefront6targetE0EEEvS12_.uses_flat_scratch, 0
	.set _ZN7rocprim17ROCPRIM_400000_NS6detail17trampoline_kernelINS0_13select_configILj256ELj13ELNS0_17block_load_methodE3ELS4_3ELS4_3ELNS0_20block_scan_algorithmE0ELj4294967295EEENS1_25partition_config_selectorILNS1_17partition_subalgoE4EjNS0_10empty_typeEbEEZZNS1_14partition_implILS8_4ELb0ES6_15HIP_vector_typeIjLj2EENS0_17counting_iteratorIjlEEPS9_SG_NS0_5tupleIJPjSI_NS0_16reverse_iteratorISI_EEEEENSH_IJSG_SG_SG_EEES9_SI_JZNS1_25segmented_radix_sort_implINS0_14default_configELb1EPKfPfPKlPlN2at6native12_GLOBAL__N_18offset_tEEE10hipError_tPvRmT1_PNSt15iterator_traitsIS12_E10value_typeET2_T3_PNS13_IS18_E10value_typeET4_jRbjT5_S1E_jjP12ihipStream_tbEUljE_ZNSN_ISO_Lb1ESQ_SR_ST_SU_SY_EESZ_S10_S11_S12_S16_S17_S18_S1B_S1C_jS1D_jS1E_S1E_jjS1G_bEUljE0_EEESZ_S10_S11_S18_S1C_S1E_T6_T7_T9_mT8_S1G_bDpT10_ENKUlT_T0_E_clISt17integral_constantIbLb1EES1U_EEDaS1P_S1Q_EUlS1P_E_NS1_11comp_targetILNS1_3genE0ELNS1_11target_archE4294967295ELNS1_3gpuE0ELNS1_3repE0EEENS1_30default_config_static_selectorELNS0_4arch9wavefront6targetE0EEEvS12_.has_dyn_sized_stack, 0
	.set _ZN7rocprim17ROCPRIM_400000_NS6detail17trampoline_kernelINS0_13select_configILj256ELj13ELNS0_17block_load_methodE3ELS4_3ELS4_3ELNS0_20block_scan_algorithmE0ELj4294967295EEENS1_25partition_config_selectorILNS1_17partition_subalgoE4EjNS0_10empty_typeEbEEZZNS1_14partition_implILS8_4ELb0ES6_15HIP_vector_typeIjLj2EENS0_17counting_iteratorIjlEEPS9_SG_NS0_5tupleIJPjSI_NS0_16reverse_iteratorISI_EEEEENSH_IJSG_SG_SG_EEES9_SI_JZNS1_25segmented_radix_sort_implINS0_14default_configELb1EPKfPfPKlPlN2at6native12_GLOBAL__N_18offset_tEEE10hipError_tPvRmT1_PNSt15iterator_traitsIS12_E10value_typeET2_T3_PNS13_IS18_E10value_typeET4_jRbjT5_S1E_jjP12ihipStream_tbEUljE_ZNSN_ISO_Lb1ESQ_SR_ST_SU_SY_EESZ_S10_S11_S12_S16_S17_S18_S1B_S1C_jS1D_jS1E_S1E_jjS1G_bEUljE0_EEESZ_S10_S11_S18_S1C_S1E_T6_T7_T9_mT8_S1G_bDpT10_ENKUlT_T0_E_clISt17integral_constantIbLb1EES1U_EEDaS1P_S1Q_EUlS1P_E_NS1_11comp_targetILNS1_3genE0ELNS1_11target_archE4294967295ELNS1_3gpuE0ELNS1_3repE0EEENS1_30default_config_static_selectorELNS0_4arch9wavefront6targetE0EEEvS12_.has_recursion, 0
	.set _ZN7rocprim17ROCPRIM_400000_NS6detail17trampoline_kernelINS0_13select_configILj256ELj13ELNS0_17block_load_methodE3ELS4_3ELS4_3ELNS0_20block_scan_algorithmE0ELj4294967295EEENS1_25partition_config_selectorILNS1_17partition_subalgoE4EjNS0_10empty_typeEbEEZZNS1_14partition_implILS8_4ELb0ES6_15HIP_vector_typeIjLj2EENS0_17counting_iteratorIjlEEPS9_SG_NS0_5tupleIJPjSI_NS0_16reverse_iteratorISI_EEEEENSH_IJSG_SG_SG_EEES9_SI_JZNS1_25segmented_radix_sort_implINS0_14default_configELb1EPKfPfPKlPlN2at6native12_GLOBAL__N_18offset_tEEE10hipError_tPvRmT1_PNSt15iterator_traitsIS12_E10value_typeET2_T3_PNS13_IS18_E10value_typeET4_jRbjT5_S1E_jjP12ihipStream_tbEUljE_ZNSN_ISO_Lb1ESQ_SR_ST_SU_SY_EESZ_S10_S11_S12_S16_S17_S18_S1B_S1C_jS1D_jS1E_S1E_jjS1G_bEUljE0_EEESZ_S10_S11_S18_S1C_S1E_T6_T7_T9_mT8_S1G_bDpT10_ENKUlT_T0_E_clISt17integral_constantIbLb1EES1U_EEDaS1P_S1Q_EUlS1P_E_NS1_11comp_targetILNS1_3genE0ELNS1_11target_archE4294967295ELNS1_3gpuE0ELNS1_3repE0EEENS1_30default_config_static_selectorELNS0_4arch9wavefront6targetE0EEEvS12_.has_indirect_call, 0
	.section	.AMDGPU.csdata,"",@progbits
; Kernel info:
; codeLenInByte = 0
; TotalNumSgprs: 0
; NumVgprs: 0
; ScratchSize: 0
; MemoryBound: 0
; FloatMode: 240
; IeeeMode: 1
; LDSByteSize: 0 bytes/workgroup (compile time only)
; SGPRBlocks: 0
; VGPRBlocks: 0
; NumSGPRsForWavesPerEU: 1
; NumVGPRsForWavesPerEU: 1
; Occupancy: 16
; WaveLimiterHint : 0
; COMPUTE_PGM_RSRC2:SCRATCH_EN: 0
; COMPUTE_PGM_RSRC2:USER_SGPR: 6
; COMPUTE_PGM_RSRC2:TRAP_HANDLER: 0
; COMPUTE_PGM_RSRC2:TGID_X_EN: 1
; COMPUTE_PGM_RSRC2:TGID_Y_EN: 0
; COMPUTE_PGM_RSRC2:TGID_Z_EN: 0
; COMPUTE_PGM_RSRC2:TIDIG_COMP_CNT: 0
	.section	.text._ZN7rocprim17ROCPRIM_400000_NS6detail17trampoline_kernelINS0_13select_configILj256ELj13ELNS0_17block_load_methodE3ELS4_3ELS4_3ELNS0_20block_scan_algorithmE0ELj4294967295EEENS1_25partition_config_selectorILNS1_17partition_subalgoE4EjNS0_10empty_typeEbEEZZNS1_14partition_implILS8_4ELb0ES6_15HIP_vector_typeIjLj2EENS0_17counting_iteratorIjlEEPS9_SG_NS0_5tupleIJPjSI_NS0_16reverse_iteratorISI_EEEEENSH_IJSG_SG_SG_EEES9_SI_JZNS1_25segmented_radix_sort_implINS0_14default_configELb1EPKfPfPKlPlN2at6native12_GLOBAL__N_18offset_tEEE10hipError_tPvRmT1_PNSt15iterator_traitsIS12_E10value_typeET2_T3_PNS13_IS18_E10value_typeET4_jRbjT5_S1E_jjP12ihipStream_tbEUljE_ZNSN_ISO_Lb1ESQ_SR_ST_SU_SY_EESZ_S10_S11_S12_S16_S17_S18_S1B_S1C_jS1D_jS1E_S1E_jjS1G_bEUljE0_EEESZ_S10_S11_S18_S1C_S1E_T6_T7_T9_mT8_S1G_bDpT10_ENKUlT_T0_E_clISt17integral_constantIbLb1EES1U_EEDaS1P_S1Q_EUlS1P_E_NS1_11comp_targetILNS1_3genE5ELNS1_11target_archE942ELNS1_3gpuE9ELNS1_3repE0EEENS1_30default_config_static_selectorELNS0_4arch9wavefront6targetE0EEEvS12_,"axG",@progbits,_ZN7rocprim17ROCPRIM_400000_NS6detail17trampoline_kernelINS0_13select_configILj256ELj13ELNS0_17block_load_methodE3ELS4_3ELS4_3ELNS0_20block_scan_algorithmE0ELj4294967295EEENS1_25partition_config_selectorILNS1_17partition_subalgoE4EjNS0_10empty_typeEbEEZZNS1_14partition_implILS8_4ELb0ES6_15HIP_vector_typeIjLj2EENS0_17counting_iteratorIjlEEPS9_SG_NS0_5tupleIJPjSI_NS0_16reverse_iteratorISI_EEEEENSH_IJSG_SG_SG_EEES9_SI_JZNS1_25segmented_radix_sort_implINS0_14default_configELb1EPKfPfPKlPlN2at6native12_GLOBAL__N_18offset_tEEE10hipError_tPvRmT1_PNSt15iterator_traitsIS12_E10value_typeET2_T3_PNS13_IS18_E10value_typeET4_jRbjT5_S1E_jjP12ihipStream_tbEUljE_ZNSN_ISO_Lb1ESQ_SR_ST_SU_SY_EESZ_S10_S11_S12_S16_S17_S18_S1B_S1C_jS1D_jS1E_S1E_jjS1G_bEUljE0_EEESZ_S10_S11_S18_S1C_S1E_T6_T7_T9_mT8_S1G_bDpT10_ENKUlT_T0_E_clISt17integral_constantIbLb1EES1U_EEDaS1P_S1Q_EUlS1P_E_NS1_11comp_targetILNS1_3genE5ELNS1_11target_archE942ELNS1_3gpuE9ELNS1_3repE0EEENS1_30default_config_static_selectorELNS0_4arch9wavefront6targetE0EEEvS12_,comdat
	.globl	_ZN7rocprim17ROCPRIM_400000_NS6detail17trampoline_kernelINS0_13select_configILj256ELj13ELNS0_17block_load_methodE3ELS4_3ELS4_3ELNS0_20block_scan_algorithmE0ELj4294967295EEENS1_25partition_config_selectorILNS1_17partition_subalgoE4EjNS0_10empty_typeEbEEZZNS1_14partition_implILS8_4ELb0ES6_15HIP_vector_typeIjLj2EENS0_17counting_iteratorIjlEEPS9_SG_NS0_5tupleIJPjSI_NS0_16reverse_iteratorISI_EEEEENSH_IJSG_SG_SG_EEES9_SI_JZNS1_25segmented_radix_sort_implINS0_14default_configELb1EPKfPfPKlPlN2at6native12_GLOBAL__N_18offset_tEEE10hipError_tPvRmT1_PNSt15iterator_traitsIS12_E10value_typeET2_T3_PNS13_IS18_E10value_typeET4_jRbjT5_S1E_jjP12ihipStream_tbEUljE_ZNSN_ISO_Lb1ESQ_SR_ST_SU_SY_EESZ_S10_S11_S12_S16_S17_S18_S1B_S1C_jS1D_jS1E_S1E_jjS1G_bEUljE0_EEESZ_S10_S11_S18_S1C_S1E_T6_T7_T9_mT8_S1G_bDpT10_ENKUlT_T0_E_clISt17integral_constantIbLb1EES1U_EEDaS1P_S1Q_EUlS1P_E_NS1_11comp_targetILNS1_3genE5ELNS1_11target_archE942ELNS1_3gpuE9ELNS1_3repE0EEENS1_30default_config_static_selectorELNS0_4arch9wavefront6targetE0EEEvS12_ ; -- Begin function _ZN7rocprim17ROCPRIM_400000_NS6detail17trampoline_kernelINS0_13select_configILj256ELj13ELNS0_17block_load_methodE3ELS4_3ELS4_3ELNS0_20block_scan_algorithmE0ELj4294967295EEENS1_25partition_config_selectorILNS1_17partition_subalgoE4EjNS0_10empty_typeEbEEZZNS1_14partition_implILS8_4ELb0ES6_15HIP_vector_typeIjLj2EENS0_17counting_iteratorIjlEEPS9_SG_NS0_5tupleIJPjSI_NS0_16reverse_iteratorISI_EEEEENSH_IJSG_SG_SG_EEES9_SI_JZNS1_25segmented_radix_sort_implINS0_14default_configELb1EPKfPfPKlPlN2at6native12_GLOBAL__N_18offset_tEEE10hipError_tPvRmT1_PNSt15iterator_traitsIS12_E10value_typeET2_T3_PNS13_IS18_E10value_typeET4_jRbjT5_S1E_jjP12ihipStream_tbEUljE_ZNSN_ISO_Lb1ESQ_SR_ST_SU_SY_EESZ_S10_S11_S12_S16_S17_S18_S1B_S1C_jS1D_jS1E_S1E_jjS1G_bEUljE0_EEESZ_S10_S11_S18_S1C_S1E_T6_T7_T9_mT8_S1G_bDpT10_ENKUlT_T0_E_clISt17integral_constantIbLb1EES1U_EEDaS1P_S1Q_EUlS1P_E_NS1_11comp_targetILNS1_3genE5ELNS1_11target_archE942ELNS1_3gpuE9ELNS1_3repE0EEENS1_30default_config_static_selectorELNS0_4arch9wavefront6targetE0EEEvS12_
	.p2align	8
	.type	_ZN7rocprim17ROCPRIM_400000_NS6detail17trampoline_kernelINS0_13select_configILj256ELj13ELNS0_17block_load_methodE3ELS4_3ELS4_3ELNS0_20block_scan_algorithmE0ELj4294967295EEENS1_25partition_config_selectorILNS1_17partition_subalgoE4EjNS0_10empty_typeEbEEZZNS1_14partition_implILS8_4ELb0ES6_15HIP_vector_typeIjLj2EENS0_17counting_iteratorIjlEEPS9_SG_NS0_5tupleIJPjSI_NS0_16reverse_iteratorISI_EEEEENSH_IJSG_SG_SG_EEES9_SI_JZNS1_25segmented_radix_sort_implINS0_14default_configELb1EPKfPfPKlPlN2at6native12_GLOBAL__N_18offset_tEEE10hipError_tPvRmT1_PNSt15iterator_traitsIS12_E10value_typeET2_T3_PNS13_IS18_E10value_typeET4_jRbjT5_S1E_jjP12ihipStream_tbEUljE_ZNSN_ISO_Lb1ESQ_SR_ST_SU_SY_EESZ_S10_S11_S12_S16_S17_S18_S1B_S1C_jS1D_jS1E_S1E_jjS1G_bEUljE0_EEESZ_S10_S11_S18_S1C_S1E_T6_T7_T9_mT8_S1G_bDpT10_ENKUlT_T0_E_clISt17integral_constantIbLb1EES1U_EEDaS1P_S1Q_EUlS1P_E_NS1_11comp_targetILNS1_3genE5ELNS1_11target_archE942ELNS1_3gpuE9ELNS1_3repE0EEENS1_30default_config_static_selectorELNS0_4arch9wavefront6targetE0EEEvS12_,@function
_ZN7rocprim17ROCPRIM_400000_NS6detail17trampoline_kernelINS0_13select_configILj256ELj13ELNS0_17block_load_methodE3ELS4_3ELS4_3ELNS0_20block_scan_algorithmE0ELj4294967295EEENS1_25partition_config_selectorILNS1_17partition_subalgoE4EjNS0_10empty_typeEbEEZZNS1_14partition_implILS8_4ELb0ES6_15HIP_vector_typeIjLj2EENS0_17counting_iteratorIjlEEPS9_SG_NS0_5tupleIJPjSI_NS0_16reverse_iteratorISI_EEEEENSH_IJSG_SG_SG_EEES9_SI_JZNS1_25segmented_radix_sort_implINS0_14default_configELb1EPKfPfPKlPlN2at6native12_GLOBAL__N_18offset_tEEE10hipError_tPvRmT1_PNSt15iterator_traitsIS12_E10value_typeET2_T3_PNS13_IS18_E10value_typeET4_jRbjT5_S1E_jjP12ihipStream_tbEUljE_ZNSN_ISO_Lb1ESQ_SR_ST_SU_SY_EESZ_S10_S11_S12_S16_S17_S18_S1B_S1C_jS1D_jS1E_S1E_jjS1G_bEUljE0_EEESZ_S10_S11_S18_S1C_S1E_T6_T7_T9_mT8_S1G_bDpT10_ENKUlT_T0_E_clISt17integral_constantIbLb1EES1U_EEDaS1P_S1Q_EUlS1P_E_NS1_11comp_targetILNS1_3genE5ELNS1_11target_archE942ELNS1_3gpuE9ELNS1_3repE0EEENS1_30default_config_static_selectorELNS0_4arch9wavefront6targetE0EEEvS12_: ; @_ZN7rocprim17ROCPRIM_400000_NS6detail17trampoline_kernelINS0_13select_configILj256ELj13ELNS0_17block_load_methodE3ELS4_3ELS4_3ELNS0_20block_scan_algorithmE0ELj4294967295EEENS1_25partition_config_selectorILNS1_17partition_subalgoE4EjNS0_10empty_typeEbEEZZNS1_14partition_implILS8_4ELb0ES6_15HIP_vector_typeIjLj2EENS0_17counting_iteratorIjlEEPS9_SG_NS0_5tupleIJPjSI_NS0_16reverse_iteratorISI_EEEEENSH_IJSG_SG_SG_EEES9_SI_JZNS1_25segmented_radix_sort_implINS0_14default_configELb1EPKfPfPKlPlN2at6native12_GLOBAL__N_18offset_tEEE10hipError_tPvRmT1_PNSt15iterator_traitsIS12_E10value_typeET2_T3_PNS13_IS18_E10value_typeET4_jRbjT5_S1E_jjP12ihipStream_tbEUljE_ZNSN_ISO_Lb1ESQ_SR_ST_SU_SY_EESZ_S10_S11_S12_S16_S17_S18_S1B_S1C_jS1D_jS1E_S1E_jjS1G_bEUljE0_EEESZ_S10_S11_S18_S1C_S1E_T6_T7_T9_mT8_S1G_bDpT10_ENKUlT_T0_E_clISt17integral_constantIbLb1EES1U_EEDaS1P_S1Q_EUlS1P_E_NS1_11comp_targetILNS1_3genE5ELNS1_11target_archE942ELNS1_3gpuE9ELNS1_3repE0EEENS1_30default_config_static_selectorELNS0_4arch9wavefront6targetE0EEEvS12_
; %bb.0:
	.section	.rodata,"a",@progbits
	.p2align	6, 0x0
	.amdhsa_kernel _ZN7rocprim17ROCPRIM_400000_NS6detail17trampoline_kernelINS0_13select_configILj256ELj13ELNS0_17block_load_methodE3ELS4_3ELS4_3ELNS0_20block_scan_algorithmE0ELj4294967295EEENS1_25partition_config_selectorILNS1_17partition_subalgoE4EjNS0_10empty_typeEbEEZZNS1_14partition_implILS8_4ELb0ES6_15HIP_vector_typeIjLj2EENS0_17counting_iteratorIjlEEPS9_SG_NS0_5tupleIJPjSI_NS0_16reverse_iteratorISI_EEEEENSH_IJSG_SG_SG_EEES9_SI_JZNS1_25segmented_radix_sort_implINS0_14default_configELb1EPKfPfPKlPlN2at6native12_GLOBAL__N_18offset_tEEE10hipError_tPvRmT1_PNSt15iterator_traitsIS12_E10value_typeET2_T3_PNS13_IS18_E10value_typeET4_jRbjT5_S1E_jjP12ihipStream_tbEUljE_ZNSN_ISO_Lb1ESQ_SR_ST_SU_SY_EESZ_S10_S11_S12_S16_S17_S18_S1B_S1C_jS1D_jS1E_S1E_jjS1G_bEUljE0_EEESZ_S10_S11_S18_S1C_S1E_T6_T7_T9_mT8_S1G_bDpT10_ENKUlT_T0_E_clISt17integral_constantIbLb1EES1U_EEDaS1P_S1Q_EUlS1P_E_NS1_11comp_targetILNS1_3genE5ELNS1_11target_archE942ELNS1_3gpuE9ELNS1_3repE0EEENS1_30default_config_static_selectorELNS0_4arch9wavefront6targetE0EEEvS12_
		.amdhsa_group_segment_fixed_size 0
		.amdhsa_private_segment_fixed_size 0
		.amdhsa_kernarg_size 184
		.amdhsa_user_sgpr_count 6
		.amdhsa_user_sgpr_private_segment_buffer 1
		.amdhsa_user_sgpr_dispatch_ptr 0
		.amdhsa_user_sgpr_queue_ptr 0
		.amdhsa_user_sgpr_kernarg_segment_ptr 1
		.amdhsa_user_sgpr_dispatch_id 0
		.amdhsa_user_sgpr_flat_scratch_init 0
		.amdhsa_user_sgpr_private_segment_size 0
		.amdhsa_wavefront_size32 1
		.amdhsa_uses_dynamic_stack 0
		.amdhsa_system_sgpr_private_segment_wavefront_offset 0
		.amdhsa_system_sgpr_workgroup_id_x 1
		.amdhsa_system_sgpr_workgroup_id_y 0
		.amdhsa_system_sgpr_workgroup_id_z 0
		.amdhsa_system_sgpr_workgroup_info 0
		.amdhsa_system_vgpr_workitem_id 0
		.amdhsa_next_free_vgpr 1
		.amdhsa_next_free_sgpr 1
		.amdhsa_reserve_vcc 0
		.amdhsa_reserve_flat_scratch 0
		.amdhsa_float_round_mode_32 0
		.amdhsa_float_round_mode_16_64 0
		.amdhsa_float_denorm_mode_32 3
		.amdhsa_float_denorm_mode_16_64 3
		.amdhsa_dx10_clamp 1
		.amdhsa_ieee_mode 1
		.amdhsa_fp16_overflow 0
		.amdhsa_workgroup_processor_mode 1
		.amdhsa_memory_ordered 1
		.amdhsa_forward_progress 1
		.amdhsa_shared_vgpr_count 0
		.amdhsa_exception_fp_ieee_invalid_op 0
		.amdhsa_exception_fp_denorm_src 0
		.amdhsa_exception_fp_ieee_div_zero 0
		.amdhsa_exception_fp_ieee_overflow 0
		.amdhsa_exception_fp_ieee_underflow 0
		.amdhsa_exception_fp_ieee_inexact 0
		.amdhsa_exception_int_div_zero 0
	.end_amdhsa_kernel
	.section	.text._ZN7rocprim17ROCPRIM_400000_NS6detail17trampoline_kernelINS0_13select_configILj256ELj13ELNS0_17block_load_methodE3ELS4_3ELS4_3ELNS0_20block_scan_algorithmE0ELj4294967295EEENS1_25partition_config_selectorILNS1_17partition_subalgoE4EjNS0_10empty_typeEbEEZZNS1_14partition_implILS8_4ELb0ES6_15HIP_vector_typeIjLj2EENS0_17counting_iteratorIjlEEPS9_SG_NS0_5tupleIJPjSI_NS0_16reverse_iteratorISI_EEEEENSH_IJSG_SG_SG_EEES9_SI_JZNS1_25segmented_radix_sort_implINS0_14default_configELb1EPKfPfPKlPlN2at6native12_GLOBAL__N_18offset_tEEE10hipError_tPvRmT1_PNSt15iterator_traitsIS12_E10value_typeET2_T3_PNS13_IS18_E10value_typeET4_jRbjT5_S1E_jjP12ihipStream_tbEUljE_ZNSN_ISO_Lb1ESQ_SR_ST_SU_SY_EESZ_S10_S11_S12_S16_S17_S18_S1B_S1C_jS1D_jS1E_S1E_jjS1G_bEUljE0_EEESZ_S10_S11_S18_S1C_S1E_T6_T7_T9_mT8_S1G_bDpT10_ENKUlT_T0_E_clISt17integral_constantIbLb1EES1U_EEDaS1P_S1Q_EUlS1P_E_NS1_11comp_targetILNS1_3genE5ELNS1_11target_archE942ELNS1_3gpuE9ELNS1_3repE0EEENS1_30default_config_static_selectorELNS0_4arch9wavefront6targetE0EEEvS12_,"axG",@progbits,_ZN7rocprim17ROCPRIM_400000_NS6detail17trampoline_kernelINS0_13select_configILj256ELj13ELNS0_17block_load_methodE3ELS4_3ELS4_3ELNS0_20block_scan_algorithmE0ELj4294967295EEENS1_25partition_config_selectorILNS1_17partition_subalgoE4EjNS0_10empty_typeEbEEZZNS1_14partition_implILS8_4ELb0ES6_15HIP_vector_typeIjLj2EENS0_17counting_iteratorIjlEEPS9_SG_NS0_5tupleIJPjSI_NS0_16reverse_iteratorISI_EEEEENSH_IJSG_SG_SG_EEES9_SI_JZNS1_25segmented_radix_sort_implINS0_14default_configELb1EPKfPfPKlPlN2at6native12_GLOBAL__N_18offset_tEEE10hipError_tPvRmT1_PNSt15iterator_traitsIS12_E10value_typeET2_T3_PNS13_IS18_E10value_typeET4_jRbjT5_S1E_jjP12ihipStream_tbEUljE_ZNSN_ISO_Lb1ESQ_SR_ST_SU_SY_EESZ_S10_S11_S12_S16_S17_S18_S1B_S1C_jS1D_jS1E_S1E_jjS1G_bEUljE0_EEESZ_S10_S11_S18_S1C_S1E_T6_T7_T9_mT8_S1G_bDpT10_ENKUlT_T0_E_clISt17integral_constantIbLb1EES1U_EEDaS1P_S1Q_EUlS1P_E_NS1_11comp_targetILNS1_3genE5ELNS1_11target_archE942ELNS1_3gpuE9ELNS1_3repE0EEENS1_30default_config_static_selectorELNS0_4arch9wavefront6targetE0EEEvS12_,comdat
.Lfunc_end1262:
	.size	_ZN7rocprim17ROCPRIM_400000_NS6detail17trampoline_kernelINS0_13select_configILj256ELj13ELNS0_17block_load_methodE3ELS4_3ELS4_3ELNS0_20block_scan_algorithmE0ELj4294967295EEENS1_25partition_config_selectorILNS1_17partition_subalgoE4EjNS0_10empty_typeEbEEZZNS1_14partition_implILS8_4ELb0ES6_15HIP_vector_typeIjLj2EENS0_17counting_iteratorIjlEEPS9_SG_NS0_5tupleIJPjSI_NS0_16reverse_iteratorISI_EEEEENSH_IJSG_SG_SG_EEES9_SI_JZNS1_25segmented_radix_sort_implINS0_14default_configELb1EPKfPfPKlPlN2at6native12_GLOBAL__N_18offset_tEEE10hipError_tPvRmT1_PNSt15iterator_traitsIS12_E10value_typeET2_T3_PNS13_IS18_E10value_typeET4_jRbjT5_S1E_jjP12ihipStream_tbEUljE_ZNSN_ISO_Lb1ESQ_SR_ST_SU_SY_EESZ_S10_S11_S12_S16_S17_S18_S1B_S1C_jS1D_jS1E_S1E_jjS1G_bEUljE0_EEESZ_S10_S11_S18_S1C_S1E_T6_T7_T9_mT8_S1G_bDpT10_ENKUlT_T0_E_clISt17integral_constantIbLb1EES1U_EEDaS1P_S1Q_EUlS1P_E_NS1_11comp_targetILNS1_3genE5ELNS1_11target_archE942ELNS1_3gpuE9ELNS1_3repE0EEENS1_30default_config_static_selectorELNS0_4arch9wavefront6targetE0EEEvS12_, .Lfunc_end1262-_ZN7rocprim17ROCPRIM_400000_NS6detail17trampoline_kernelINS0_13select_configILj256ELj13ELNS0_17block_load_methodE3ELS4_3ELS4_3ELNS0_20block_scan_algorithmE0ELj4294967295EEENS1_25partition_config_selectorILNS1_17partition_subalgoE4EjNS0_10empty_typeEbEEZZNS1_14partition_implILS8_4ELb0ES6_15HIP_vector_typeIjLj2EENS0_17counting_iteratorIjlEEPS9_SG_NS0_5tupleIJPjSI_NS0_16reverse_iteratorISI_EEEEENSH_IJSG_SG_SG_EEES9_SI_JZNS1_25segmented_radix_sort_implINS0_14default_configELb1EPKfPfPKlPlN2at6native12_GLOBAL__N_18offset_tEEE10hipError_tPvRmT1_PNSt15iterator_traitsIS12_E10value_typeET2_T3_PNS13_IS18_E10value_typeET4_jRbjT5_S1E_jjP12ihipStream_tbEUljE_ZNSN_ISO_Lb1ESQ_SR_ST_SU_SY_EESZ_S10_S11_S12_S16_S17_S18_S1B_S1C_jS1D_jS1E_S1E_jjS1G_bEUljE0_EEESZ_S10_S11_S18_S1C_S1E_T6_T7_T9_mT8_S1G_bDpT10_ENKUlT_T0_E_clISt17integral_constantIbLb1EES1U_EEDaS1P_S1Q_EUlS1P_E_NS1_11comp_targetILNS1_3genE5ELNS1_11target_archE942ELNS1_3gpuE9ELNS1_3repE0EEENS1_30default_config_static_selectorELNS0_4arch9wavefront6targetE0EEEvS12_
                                        ; -- End function
	.set _ZN7rocprim17ROCPRIM_400000_NS6detail17trampoline_kernelINS0_13select_configILj256ELj13ELNS0_17block_load_methodE3ELS4_3ELS4_3ELNS0_20block_scan_algorithmE0ELj4294967295EEENS1_25partition_config_selectorILNS1_17partition_subalgoE4EjNS0_10empty_typeEbEEZZNS1_14partition_implILS8_4ELb0ES6_15HIP_vector_typeIjLj2EENS0_17counting_iteratorIjlEEPS9_SG_NS0_5tupleIJPjSI_NS0_16reverse_iteratorISI_EEEEENSH_IJSG_SG_SG_EEES9_SI_JZNS1_25segmented_radix_sort_implINS0_14default_configELb1EPKfPfPKlPlN2at6native12_GLOBAL__N_18offset_tEEE10hipError_tPvRmT1_PNSt15iterator_traitsIS12_E10value_typeET2_T3_PNS13_IS18_E10value_typeET4_jRbjT5_S1E_jjP12ihipStream_tbEUljE_ZNSN_ISO_Lb1ESQ_SR_ST_SU_SY_EESZ_S10_S11_S12_S16_S17_S18_S1B_S1C_jS1D_jS1E_S1E_jjS1G_bEUljE0_EEESZ_S10_S11_S18_S1C_S1E_T6_T7_T9_mT8_S1G_bDpT10_ENKUlT_T0_E_clISt17integral_constantIbLb1EES1U_EEDaS1P_S1Q_EUlS1P_E_NS1_11comp_targetILNS1_3genE5ELNS1_11target_archE942ELNS1_3gpuE9ELNS1_3repE0EEENS1_30default_config_static_selectorELNS0_4arch9wavefront6targetE0EEEvS12_.num_vgpr, 0
	.set _ZN7rocprim17ROCPRIM_400000_NS6detail17trampoline_kernelINS0_13select_configILj256ELj13ELNS0_17block_load_methodE3ELS4_3ELS4_3ELNS0_20block_scan_algorithmE0ELj4294967295EEENS1_25partition_config_selectorILNS1_17partition_subalgoE4EjNS0_10empty_typeEbEEZZNS1_14partition_implILS8_4ELb0ES6_15HIP_vector_typeIjLj2EENS0_17counting_iteratorIjlEEPS9_SG_NS0_5tupleIJPjSI_NS0_16reverse_iteratorISI_EEEEENSH_IJSG_SG_SG_EEES9_SI_JZNS1_25segmented_radix_sort_implINS0_14default_configELb1EPKfPfPKlPlN2at6native12_GLOBAL__N_18offset_tEEE10hipError_tPvRmT1_PNSt15iterator_traitsIS12_E10value_typeET2_T3_PNS13_IS18_E10value_typeET4_jRbjT5_S1E_jjP12ihipStream_tbEUljE_ZNSN_ISO_Lb1ESQ_SR_ST_SU_SY_EESZ_S10_S11_S12_S16_S17_S18_S1B_S1C_jS1D_jS1E_S1E_jjS1G_bEUljE0_EEESZ_S10_S11_S18_S1C_S1E_T6_T7_T9_mT8_S1G_bDpT10_ENKUlT_T0_E_clISt17integral_constantIbLb1EES1U_EEDaS1P_S1Q_EUlS1P_E_NS1_11comp_targetILNS1_3genE5ELNS1_11target_archE942ELNS1_3gpuE9ELNS1_3repE0EEENS1_30default_config_static_selectorELNS0_4arch9wavefront6targetE0EEEvS12_.num_agpr, 0
	.set _ZN7rocprim17ROCPRIM_400000_NS6detail17trampoline_kernelINS0_13select_configILj256ELj13ELNS0_17block_load_methodE3ELS4_3ELS4_3ELNS0_20block_scan_algorithmE0ELj4294967295EEENS1_25partition_config_selectorILNS1_17partition_subalgoE4EjNS0_10empty_typeEbEEZZNS1_14partition_implILS8_4ELb0ES6_15HIP_vector_typeIjLj2EENS0_17counting_iteratorIjlEEPS9_SG_NS0_5tupleIJPjSI_NS0_16reverse_iteratorISI_EEEEENSH_IJSG_SG_SG_EEES9_SI_JZNS1_25segmented_radix_sort_implINS0_14default_configELb1EPKfPfPKlPlN2at6native12_GLOBAL__N_18offset_tEEE10hipError_tPvRmT1_PNSt15iterator_traitsIS12_E10value_typeET2_T3_PNS13_IS18_E10value_typeET4_jRbjT5_S1E_jjP12ihipStream_tbEUljE_ZNSN_ISO_Lb1ESQ_SR_ST_SU_SY_EESZ_S10_S11_S12_S16_S17_S18_S1B_S1C_jS1D_jS1E_S1E_jjS1G_bEUljE0_EEESZ_S10_S11_S18_S1C_S1E_T6_T7_T9_mT8_S1G_bDpT10_ENKUlT_T0_E_clISt17integral_constantIbLb1EES1U_EEDaS1P_S1Q_EUlS1P_E_NS1_11comp_targetILNS1_3genE5ELNS1_11target_archE942ELNS1_3gpuE9ELNS1_3repE0EEENS1_30default_config_static_selectorELNS0_4arch9wavefront6targetE0EEEvS12_.numbered_sgpr, 0
	.set _ZN7rocprim17ROCPRIM_400000_NS6detail17trampoline_kernelINS0_13select_configILj256ELj13ELNS0_17block_load_methodE3ELS4_3ELS4_3ELNS0_20block_scan_algorithmE0ELj4294967295EEENS1_25partition_config_selectorILNS1_17partition_subalgoE4EjNS0_10empty_typeEbEEZZNS1_14partition_implILS8_4ELb0ES6_15HIP_vector_typeIjLj2EENS0_17counting_iteratorIjlEEPS9_SG_NS0_5tupleIJPjSI_NS0_16reverse_iteratorISI_EEEEENSH_IJSG_SG_SG_EEES9_SI_JZNS1_25segmented_radix_sort_implINS0_14default_configELb1EPKfPfPKlPlN2at6native12_GLOBAL__N_18offset_tEEE10hipError_tPvRmT1_PNSt15iterator_traitsIS12_E10value_typeET2_T3_PNS13_IS18_E10value_typeET4_jRbjT5_S1E_jjP12ihipStream_tbEUljE_ZNSN_ISO_Lb1ESQ_SR_ST_SU_SY_EESZ_S10_S11_S12_S16_S17_S18_S1B_S1C_jS1D_jS1E_S1E_jjS1G_bEUljE0_EEESZ_S10_S11_S18_S1C_S1E_T6_T7_T9_mT8_S1G_bDpT10_ENKUlT_T0_E_clISt17integral_constantIbLb1EES1U_EEDaS1P_S1Q_EUlS1P_E_NS1_11comp_targetILNS1_3genE5ELNS1_11target_archE942ELNS1_3gpuE9ELNS1_3repE0EEENS1_30default_config_static_selectorELNS0_4arch9wavefront6targetE0EEEvS12_.num_named_barrier, 0
	.set _ZN7rocprim17ROCPRIM_400000_NS6detail17trampoline_kernelINS0_13select_configILj256ELj13ELNS0_17block_load_methodE3ELS4_3ELS4_3ELNS0_20block_scan_algorithmE0ELj4294967295EEENS1_25partition_config_selectorILNS1_17partition_subalgoE4EjNS0_10empty_typeEbEEZZNS1_14partition_implILS8_4ELb0ES6_15HIP_vector_typeIjLj2EENS0_17counting_iteratorIjlEEPS9_SG_NS0_5tupleIJPjSI_NS0_16reverse_iteratorISI_EEEEENSH_IJSG_SG_SG_EEES9_SI_JZNS1_25segmented_radix_sort_implINS0_14default_configELb1EPKfPfPKlPlN2at6native12_GLOBAL__N_18offset_tEEE10hipError_tPvRmT1_PNSt15iterator_traitsIS12_E10value_typeET2_T3_PNS13_IS18_E10value_typeET4_jRbjT5_S1E_jjP12ihipStream_tbEUljE_ZNSN_ISO_Lb1ESQ_SR_ST_SU_SY_EESZ_S10_S11_S12_S16_S17_S18_S1B_S1C_jS1D_jS1E_S1E_jjS1G_bEUljE0_EEESZ_S10_S11_S18_S1C_S1E_T6_T7_T9_mT8_S1G_bDpT10_ENKUlT_T0_E_clISt17integral_constantIbLb1EES1U_EEDaS1P_S1Q_EUlS1P_E_NS1_11comp_targetILNS1_3genE5ELNS1_11target_archE942ELNS1_3gpuE9ELNS1_3repE0EEENS1_30default_config_static_selectorELNS0_4arch9wavefront6targetE0EEEvS12_.private_seg_size, 0
	.set _ZN7rocprim17ROCPRIM_400000_NS6detail17trampoline_kernelINS0_13select_configILj256ELj13ELNS0_17block_load_methodE3ELS4_3ELS4_3ELNS0_20block_scan_algorithmE0ELj4294967295EEENS1_25partition_config_selectorILNS1_17partition_subalgoE4EjNS0_10empty_typeEbEEZZNS1_14partition_implILS8_4ELb0ES6_15HIP_vector_typeIjLj2EENS0_17counting_iteratorIjlEEPS9_SG_NS0_5tupleIJPjSI_NS0_16reverse_iteratorISI_EEEEENSH_IJSG_SG_SG_EEES9_SI_JZNS1_25segmented_radix_sort_implINS0_14default_configELb1EPKfPfPKlPlN2at6native12_GLOBAL__N_18offset_tEEE10hipError_tPvRmT1_PNSt15iterator_traitsIS12_E10value_typeET2_T3_PNS13_IS18_E10value_typeET4_jRbjT5_S1E_jjP12ihipStream_tbEUljE_ZNSN_ISO_Lb1ESQ_SR_ST_SU_SY_EESZ_S10_S11_S12_S16_S17_S18_S1B_S1C_jS1D_jS1E_S1E_jjS1G_bEUljE0_EEESZ_S10_S11_S18_S1C_S1E_T6_T7_T9_mT8_S1G_bDpT10_ENKUlT_T0_E_clISt17integral_constantIbLb1EES1U_EEDaS1P_S1Q_EUlS1P_E_NS1_11comp_targetILNS1_3genE5ELNS1_11target_archE942ELNS1_3gpuE9ELNS1_3repE0EEENS1_30default_config_static_selectorELNS0_4arch9wavefront6targetE0EEEvS12_.uses_vcc, 0
	.set _ZN7rocprim17ROCPRIM_400000_NS6detail17trampoline_kernelINS0_13select_configILj256ELj13ELNS0_17block_load_methodE3ELS4_3ELS4_3ELNS0_20block_scan_algorithmE0ELj4294967295EEENS1_25partition_config_selectorILNS1_17partition_subalgoE4EjNS0_10empty_typeEbEEZZNS1_14partition_implILS8_4ELb0ES6_15HIP_vector_typeIjLj2EENS0_17counting_iteratorIjlEEPS9_SG_NS0_5tupleIJPjSI_NS0_16reverse_iteratorISI_EEEEENSH_IJSG_SG_SG_EEES9_SI_JZNS1_25segmented_radix_sort_implINS0_14default_configELb1EPKfPfPKlPlN2at6native12_GLOBAL__N_18offset_tEEE10hipError_tPvRmT1_PNSt15iterator_traitsIS12_E10value_typeET2_T3_PNS13_IS18_E10value_typeET4_jRbjT5_S1E_jjP12ihipStream_tbEUljE_ZNSN_ISO_Lb1ESQ_SR_ST_SU_SY_EESZ_S10_S11_S12_S16_S17_S18_S1B_S1C_jS1D_jS1E_S1E_jjS1G_bEUljE0_EEESZ_S10_S11_S18_S1C_S1E_T6_T7_T9_mT8_S1G_bDpT10_ENKUlT_T0_E_clISt17integral_constantIbLb1EES1U_EEDaS1P_S1Q_EUlS1P_E_NS1_11comp_targetILNS1_3genE5ELNS1_11target_archE942ELNS1_3gpuE9ELNS1_3repE0EEENS1_30default_config_static_selectorELNS0_4arch9wavefront6targetE0EEEvS12_.uses_flat_scratch, 0
	.set _ZN7rocprim17ROCPRIM_400000_NS6detail17trampoline_kernelINS0_13select_configILj256ELj13ELNS0_17block_load_methodE3ELS4_3ELS4_3ELNS0_20block_scan_algorithmE0ELj4294967295EEENS1_25partition_config_selectorILNS1_17partition_subalgoE4EjNS0_10empty_typeEbEEZZNS1_14partition_implILS8_4ELb0ES6_15HIP_vector_typeIjLj2EENS0_17counting_iteratorIjlEEPS9_SG_NS0_5tupleIJPjSI_NS0_16reverse_iteratorISI_EEEEENSH_IJSG_SG_SG_EEES9_SI_JZNS1_25segmented_radix_sort_implINS0_14default_configELb1EPKfPfPKlPlN2at6native12_GLOBAL__N_18offset_tEEE10hipError_tPvRmT1_PNSt15iterator_traitsIS12_E10value_typeET2_T3_PNS13_IS18_E10value_typeET4_jRbjT5_S1E_jjP12ihipStream_tbEUljE_ZNSN_ISO_Lb1ESQ_SR_ST_SU_SY_EESZ_S10_S11_S12_S16_S17_S18_S1B_S1C_jS1D_jS1E_S1E_jjS1G_bEUljE0_EEESZ_S10_S11_S18_S1C_S1E_T6_T7_T9_mT8_S1G_bDpT10_ENKUlT_T0_E_clISt17integral_constantIbLb1EES1U_EEDaS1P_S1Q_EUlS1P_E_NS1_11comp_targetILNS1_3genE5ELNS1_11target_archE942ELNS1_3gpuE9ELNS1_3repE0EEENS1_30default_config_static_selectorELNS0_4arch9wavefront6targetE0EEEvS12_.has_dyn_sized_stack, 0
	.set _ZN7rocprim17ROCPRIM_400000_NS6detail17trampoline_kernelINS0_13select_configILj256ELj13ELNS0_17block_load_methodE3ELS4_3ELS4_3ELNS0_20block_scan_algorithmE0ELj4294967295EEENS1_25partition_config_selectorILNS1_17partition_subalgoE4EjNS0_10empty_typeEbEEZZNS1_14partition_implILS8_4ELb0ES6_15HIP_vector_typeIjLj2EENS0_17counting_iteratorIjlEEPS9_SG_NS0_5tupleIJPjSI_NS0_16reverse_iteratorISI_EEEEENSH_IJSG_SG_SG_EEES9_SI_JZNS1_25segmented_radix_sort_implINS0_14default_configELb1EPKfPfPKlPlN2at6native12_GLOBAL__N_18offset_tEEE10hipError_tPvRmT1_PNSt15iterator_traitsIS12_E10value_typeET2_T3_PNS13_IS18_E10value_typeET4_jRbjT5_S1E_jjP12ihipStream_tbEUljE_ZNSN_ISO_Lb1ESQ_SR_ST_SU_SY_EESZ_S10_S11_S12_S16_S17_S18_S1B_S1C_jS1D_jS1E_S1E_jjS1G_bEUljE0_EEESZ_S10_S11_S18_S1C_S1E_T6_T7_T9_mT8_S1G_bDpT10_ENKUlT_T0_E_clISt17integral_constantIbLb1EES1U_EEDaS1P_S1Q_EUlS1P_E_NS1_11comp_targetILNS1_3genE5ELNS1_11target_archE942ELNS1_3gpuE9ELNS1_3repE0EEENS1_30default_config_static_selectorELNS0_4arch9wavefront6targetE0EEEvS12_.has_recursion, 0
	.set _ZN7rocprim17ROCPRIM_400000_NS6detail17trampoline_kernelINS0_13select_configILj256ELj13ELNS0_17block_load_methodE3ELS4_3ELS4_3ELNS0_20block_scan_algorithmE0ELj4294967295EEENS1_25partition_config_selectorILNS1_17partition_subalgoE4EjNS0_10empty_typeEbEEZZNS1_14partition_implILS8_4ELb0ES6_15HIP_vector_typeIjLj2EENS0_17counting_iteratorIjlEEPS9_SG_NS0_5tupleIJPjSI_NS0_16reverse_iteratorISI_EEEEENSH_IJSG_SG_SG_EEES9_SI_JZNS1_25segmented_radix_sort_implINS0_14default_configELb1EPKfPfPKlPlN2at6native12_GLOBAL__N_18offset_tEEE10hipError_tPvRmT1_PNSt15iterator_traitsIS12_E10value_typeET2_T3_PNS13_IS18_E10value_typeET4_jRbjT5_S1E_jjP12ihipStream_tbEUljE_ZNSN_ISO_Lb1ESQ_SR_ST_SU_SY_EESZ_S10_S11_S12_S16_S17_S18_S1B_S1C_jS1D_jS1E_S1E_jjS1G_bEUljE0_EEESZ_S10_S11_S18_S1C_S1E_T6_T7_T9_mT8_S1G_bDpT10_ENKUlT_T0_E_clISt17integral_constantIbLb1EES1U_EEDaS1P_S1Q_EUlS1P_E_NS1_11comp_targetILNS1_3genE5ELNS1_11target_archE942ELNS1_3gpuE9ELNS1_3repE0EEENS1_30default_config_static_selectorELNS0_4arch9wavefront6targetE0EEEvS12_.has_indirect_call, 0
	.section	.AMDGPU.csdata,"",@progbits
; Kernel info:
; codeLenInByte = 0
; TotalNumSgprs: 0
; NumVgprs: 0
; ScratchSize: 0
; MemoryBound: 0
; FloatMode: 240
; IeeeMode: 1
; LDSByteSize: 0 bytes/workgroup (compile time only)
; SGPRBlocks: 0
; VGPRBlocks: 0
; NumSGPRsForWavesPerEU: 1
; NumVGPRsForWavesPerEU: 1
; Occupancy: 16
; WaveLimiterHint : 0
; COMPUTE_PGM_RSRC2:SCRATCH_EN: 0
; COMPUTE_PGM_RSRC2:USER_SGPR: 6
; COMPUTE_PGM_RSRC2:TRAP_HANDLER: 0
; COMPUTE_PGM_RSRC2:TGID_X_EN: 1
; COMPUTE_PGM_RSRC2:TGID_Y_EN: 0
; COMPUTE_PGM_RSRC2:TGID_Z_EN: 0
; COMPUTE_PGM_RSRC2:TIDIG_COMP_CNT: 0
	.section	.text._ZN7rocprim17ROCPRIM_400000_NS6detail17trampoline_kernelINS0_13select_configILj256ELj13ELNS0_17block_load_methodE3ELS4_3ELS4_3ELNS0_20block_scan_algorithmE0ELj4294967295EEENS1_25partition_config_selectorILNS1_17partition_subalgoE4EjNS0_10empty_typeEbEEZZNS1_14partition_implILS8_4ELb0ES6_15HIP_vector_typeIjLj2EENS0_17counting_iteratorIjlEEPS9_SG_NS0_5tupleIJPjSI_NS0_16reverse_iteratorISI_EEEEENSH_IJSG_SG_SG_EEES9_SI_JZNS1_25segmented_radix_sort_implINS0_14default_configELb1EPKfPfPKlPlN2at6native12_GLOBAL__N_18offset_tEEE10hipError_tPvRmT1_PNSt15iterator_traitsIS12_E10value_typeET2_T3_PNS13_IS18_E10value_typeET4_jRbjT5_S1E_jjP12ihipStream_tbEUljE_ZNSN_ISO_Lb1ESQ_SR_ST_SU_SY_EESZ_S10_S11_S12_S16_S17_S18_S1B_S1C_jS1D_jS1E_S1E_jjS1G_bEUljE0_EEESZ_S10_S11_S18_S1C_S1E_T6_T7_T9_mT8_S1G_bDpT10_ENKUlT_T0_E_clISt17integral_constantIbLb1EES1U_EEDaS1P_S1Q_EUlS1P_E_NS1_11comp_targetILNS1_3genE4ELNS1_11target_archE910ELNS1_3gpuE8ELNS1_3repE0EEENS1_30default_config_static_selectorELNS0_4arch9wavefront6targetE0EEEvS12_,"axG",@progbits,_ZN7rocprim17ROCPRIM_400000_NS6detail17trampoline_kernelINS0_13select_configILj256ELj13ELNS0_17block_load_methodE3ELS4_3ELS4_3ELNS0_20block_scan_algorithmE0ELj4294967295EEENS1_25partition_config_selectorILNS1_17partition_subalgoE4EjNS0_10empty_typeEbEEZZNS1_14partition_implILS8_4ELb0ES6_15HIP_vector_typeIjLj2EENS0_17counting_iteratorIjlEEPS9_SG_NS0_5tupleIJPjSI_NS0_16reverse_iteratorISI_EEEEENSH_IJSG_SG_SG_EEES9_SI_JZNS1_25segmented_radix_sort_implINS0_14default_configELb1EPKfPfPKlPlN2at6native12_GLOBAL__N_18offset_tEEE10hipError_tPvRmT1_PNSt15iterator_traitsIS12_E10value_typeET2_T3_PNS13_IS18_E10value_typeET4_jRbjT5_S1E_jjP12ihipStream_tbEUljE_ZNSN_ISO_Lb1ESQ_SR_ST_SU_SY_EESZ_S10_S11_S12_S16_S17_S18_S1B_S1C_jS1D_jS1E_S1E_jjS1G_bEUljE0_EEESZ_S10_S11_S18_S1C_S1E_T6_T7_T9_mT8_S1G_bDpT10_ENKUlT_T0_E_clISt17integral_constantIbLb1EES1U_EEDaS1P_S1Q_EUlS1P_E_NS1_11comp_targetILNS1_3genE4ELNS1_11target_archE910ELNS1_3gpuE8ELNS1_3repE0EEENS1_30default_config_static_selectorELNS0_4arch9wavefront6targetE0EEEvS12_,comdat
	.globl	_ZN7rocprim17ROCPRIM_400000_NS6detail17trampoline_kernelINS0_13select_configILj256ELj13ELNS0_17block_load_methodE3ELS4_3ELS4_3ELNS0_20block_scan_algorithmE0ELj4294967295EEENS1_25partition_config_selectorILNS1_17partition_subalgoE4EjNS0_10empty_typeEbEEZZNS1_14partition_implILS8_4ELb0ES6_15HIP_vector_typeIjLj2EENS0_17counting_iteratorIjlEEPS9_SG_NS0_5tupleIJPjSI_NS0_16reverse_iteratorISI_EEEEENSH_IJSG_SG_SG_EEES9_SI_JZNS1_25segmented_radix_sort_implINS0_14default_configELb1EPKfPfPKlPlN2at6native12_GLOBAL__N_18offset_tEEE10hipError_tPvRmT1_PNSt15iterator_traitsIS12_E10value_typeET2_T3_PNS13_IS18_E10value_typeET4_jRbjT5_S1E_jjP12ihipStream_tbEUljE_ZNSN_ISO_Lb1ESQ_SR_ST_SU_SY_EESZ_S10_S11_S12_S16_S17_S18_S1B_S1C_jS1D_jS1E_S1E_jjS1G_bEUljE0_EEESZ_S10_S11_S18_S1C_S1E_T6_T7_T9_mT8_S1G_bDpT10_ENKUlT_T0_E_clISt17integral_constantIbLb1EES1U_EEDaS1P_S1Q_EUlS1P_E_NS1_11comp_targetILNS1_3genE4ELNS1_11target_archE910ELNS1_3gpuE8ELNS1_3repE0EEENS1_30default_config_static_selectorELNS0_4arch9wavefront6targetE0EEEvS12_ ; -- Begin function _ZN7rocprim17ROCPRIM_400000_NS6detail17trampoline_kernelINS0_13select_configILj256ELj13ELNS0_17block_load_methodE3ELS4_3ELS4_3ELNS0_20block_scan_algorithmE0ELj4294967295EEENS1_25partition_config_selectorILNS1_17partition_subalgoE4EjNS0_10empty_typeEbEEZZNS1_14partition_implILS8_4ELb0ES6_15HIP_vector_typeIjLj2EENS0_17counting_iteratorIjlEEPS9_SG_NS0_5tupleIJPjSI_NS0_16reverse_iteratorISI_EEEEENSH_IJSG_SG_SG_EEES9_SI_JZNS1_25segmented_radix_sort_implINS0_14default_configELb1EPKfPfPKlPlN2at6native12_GLOBAL__N_18offset_tEEE10hipError_tPvRmT1_PNSt15iterator_traitsIS12_E10value_typeET2_T3_PNS13_IS18_E10value_typeET4_jRbjT5_S1E_jjP12ihipStream_tbEUljE_ZNSN_ISO_Lb1ESQ_SR_ST_SU_SY_EESZ_S10_S11_S12_S16_S17_S18_S1B_S1C_jS1D_jS1E_S1E_jjS1G_bEUljE0_EEESZ_S10_S11_S18_S1C_S1E_T6_T7_T9_mT8_S1G_bDpT10_ENKUlT_T0_E_clISt17integral_constantIbLb1EES1U_EEDaS1P_S1Q_EUlS1P_E_NS1_11comp_targetILNS1_3genE4ELNS1_11target_archE910ELNS1_3gpuE8ELNS1_3repE0EEENS1_30default_config_static_selectorELNS0_4arch9wavefront6targetE0EEEvS12_
	.p2align	8
	.type	_ZN7rocprim17ROCPRIM_400000_NS6detail17trampoline_kernelINS0_13select_configILj256ELj13ELNS0_17block_load_methodE3ELS4_3ELS4_3ELNS0_20block_scan_algorithmE0ELj4294967295EEENS1_25partition_config_selectorILNS1_17partition_subalgoE4EjNS0_10empty_typeEbEEZZNS1_14partition_implILS8_4ELb0ES6_15HIP_vector_typeIjLj2EENS0_17counting_iteratorIjlEEPS9_SG_NS0_5tupleIJPjSI_NS0_16reverse_iteratorISI_EEEEENSH_IJSG_SG_SG_EEES9_SI_JZNS1_25segmented_radix_sort_implINS0_14default_configELb1EPKfPfPKlPlN2at6native12_GLOBAL__N_18offset_tEEE10hipError_tPvRmT1_PNSt15iterator_traitsIS12_E10value_typeET2_T3_PNS13_IS18_E10value_typeET4_jRbjT5_S1E_jjP12ihipStream_tbEUljE_ZNSN_ISO_Lb1ESQ_SR_ST_SU_SY_EESZ_S10_S11_S12_S16_S17_S18_S1B_S1C_jS1D_jS1E_S1E_jjS1G_bEUljE0_EEESZ_S10_S11_S18_S1C_S1E_T6_T7_T9_mT8_S1G_bDpT10_ENKUlT_T0_E_clISt17integral_constantIbLb1EES1U_EEDaS1P_S1Q_EUlS1P_E_NS1_11comp_targetILNS1_3genE4ELNS1_11target_archE910ELNS1_3gpuE8ELNS1_3repE0EEENS1_30default_config_static_selectorELNS0_4arch9wavefront6targetE0EEEvS12_,@function
_ZN7rocprim17ROCPRIM_400000_NS6detail17trampoline_kernelINS0_13select_configILj256ELj13ELNS0_17block_load_methodE3ELS4_3ELS4_3ELNS0_20block_scan_algorithmE0ELj4294967295EEENS1_25partition_config_selectorILNS1_17partition_subalgoE4EjNS0_10empty_typeEbEEZZNS1_14partition_implILS8_4ELb0ES6_15HIP_vector_typeIjLj2EENS0_17counting_iteratorIjlEEPS9_SG_NS0_5tupleIJPjSI_NS0_16reverse_iteratorISI_EEEEENSH_IJSG_SG_SG_EEES9_SI_JZNS1_25segmented_radix_sort_implINS0_14default_configELb1EPKfPfPKlPlN2at6native12_GLOBAL__N_18offset_tEEE10hipError_tPvRmT1_PNSt15iterator_traitsIS12_E10value_typeET2_T3_PNS13_IS18_E10value_typeET4_jRbjT5_S1E_jjP12ihipStream_tbEUljE_ZNSN_ISO_Lb1ESQ_SR_ST_SU_SY_EESZ_S10_S11_S12_S16_S17_S18_S1B_S1C_jS1D_jS1E_S1E_jjS1G_bEUljE0_EEESZ_S10_S11_S18_S1C_S1E_T6_T7_T9_mT8_S1G_bDpT10_ENKUlT_T0_E_clISt17integral_constantIbLb1EES1U_EEDaS1P_S1Q_EUlS1P_E_NS1_11comp_targetILNS1_3genE4ELNS1_11target_archE910ELNS1_3gpuE8ELNS1_3repE0EEENS1_30default_config_static_selectorELNS0_4arch9wavefront6targetE0EEEvS12_: ; @_ZN7rocprim17ROCPRIM_400000_NS6detail17trampoline_kernelINS0_13select_configILj256ELj13ELNS0_17block_load_methodE3ELS4_3ELS4_3ELNS0_20block_scan_algorithmE0ELj4294967295EEENS1_25partition_config_selectorILNS1_17partition_subalgoE4EjNS0_10empty_typeEbEEZZNS1_14partition_implILS8_4ELb0ES6_15HIP_vector_typeIjLj2EENS0_17counting_iteratorIjlEEPS9_SG_NS0_5tupleIJPjSI_NS0_16reverse_iteratorISI_EEEEENSH_IJSG_SG_SG_EEES9_SI_JZNS1_25segmented_radix_sort_implINS0_14default_configELb1EPKfPfPKlPlN2at6native12_GLOBAL__N_18offset_tEEE10hipError_tPvRmT1_PNSt15iterator_traitsIS12_E10value_typeET2_T3_PNS13_IS18_E10value_typeET4_jRbjT5_S1E_jjP12ihipStream_tbEUljE_ZNSN_ISO_Lb1ESQ_SR_ST_SU_SY_EESZ_S10_S11_S12_S16_S17_S18_S1B_S1C_jS1D_jS1E_S1E_jjS1G_bEUljE0_EEESZ_S10_S11_S18_S1C_S1E_T6_T7_T9_mT8_S1G_bDpT10_ENKUlT_T0_E_clISt17integral_constantIbLb1EES1U_EEDaS1P_S1Q_EUlS1P_E_NS1_11comp_targetILNS1_3genE4ELNS1_11target_archE910ELNS1_3gpuE8ELNS1_3repE0EEENS1_30default_config_static_selectorELNS0_4arch9wavefront6targetE0EEEvS12_
; %bb.0:
	.section	.rodata,"a",@progbits
	.p2align	6, 0x0
	.amdhsa_kernel _ZN7rocprim17ROCPRIM_400000_NS6detail17trampoline_kernelINS0_13select_configILj256ELj13ELNS0_17block_load_methodE3ELS4_3ELS4_3ELNS0_20block_scan_algorithmE0ELj4294967295EEENS1_25partition_config_selectorILNS1_17partition_subalgoE4EjNS0_10empty_typeEbEEZZNS1_14partition_implILS8_4ELb0ES6_15HIP_vector_typeIjLj2EENS0_17counting_iteratorIjlEEPS9_SG_NS0_5tupleIJPjSI_NS0_16reverse_iteratorISI_EEEEENSH_IJSG_SG_SG_EEES9_SI_JZNS1_25segmented_radix_sort_implINS0_14default_configELb1EPKfPfPKlPlN2at6native12_GLOBAL__N_18offset_tEEE10hipError_tPvRmT1_PNSt15iterator_traitsIS12_E10value_typeET2_T3_PNS13_IS18_E10value_typeET4_jRbjT5_S1E_jjP12ihipStream_tbEUljE_ZNSN_ISO_Lb1ESQ_SR_ST_SU_SY_EESZ_S10_S11_S12_S16_S17_S18_S1B_S1C_jS1D_jS1E_S1E_jjS1G_bEUljE0_EEESZ_S10_S11_S18_S1C_S1E_T6_T7_T9_mT8_S1G_bDpT10_ENKUlT_T0_E_clISt17integral_constantIbLb1EES1U_EEDaS1P_S1Q_EUlS1P_E_NS1_11comp_targetILNS1_3genE4ELNS1_11target_archE910ELNS1_3gpuE8ELNS1_3repE0EEENS1_30default_config_static_selectorELNS0_4arch9wavefront6targetE0EEEvS12_
		.amdhsa_group_segment_fixed_size 0
		.amdhsa_private_segment_fixed_size 0
		.amdhsa_kernarg_size 184
		.amdhsa_user_sgpr_count 6
		.amdhsa_user_sgpr_private_segment_buffer 1
		.amdhsa_user_sgpr_dispatch_ptr 0
		.amdhsa_user_sgpr_queue_ptr 0
		.amdhsa_user_sgpr_kernarg_segment_ptr 1
		.amdhsa_user_sgpr_dispatch_id 0
		.amdhsa_user_sgpr_flat_scratch_init 0
		.amdhsa_user_sgpr_private_segment_size 0
		.amdhsa_wavefront_size32 1
		.amdhsa_uses_dynamic_stack 0
		.amdhsa_system_sgpr_private_segment_wavefront_offset 0
		.amdhsa_system_sgpr_workgroup_id_x 1
		.amdhsa_system_sgpr_workgroup_id_y 0
		.amdhsa_system_sgpr_workgroup_id_z 0
		.amdhsa_system_sgpr_workgroup_info 0
		.amdhsa_system_vgpr_workitem_id 0
		.amdhsa_next_free_vgpr 1
		.amdhsa_next_free_sgpr 1
		.amdhsa_reserve_vcc 0
		.amdhsa_reserve_flat_scratch 0
		.amdhsa_float_round_mode_32 0
		.amdhsa_float_round_mode_16_64 0
		.amdhsa_float_denorm_mode_32 3
		.amdhsa_float_denorm_mode_16_64 3
		.amdhsa_dx10_clamp 1
		.amdhsa_ieee_mode 1
		.amdhsa_fp16_overflow 0
		.amdhsa_workgroup_processor_mode 1
		.amdhsa_memory_ordered 1
		.amdhsa_forward_progress 1
		.amdhsa_shared_vgpr_count 0
		.amdhsa_exception_fp_ieee_invalid_op 0
		.amdhsa_exception_fp_denorm_src 0
		.amdhsa_exception_fp_ieee_div_zero 0
		.amdhsa_exception_fp_ieee_overflow 0
		.amdhsa_exception_fp_ieee_underflow 0
		.amdhsa_exception_fp_ieee_inexact 0
		.amdhsa_exception_int_div_zero 0
	.end_amdhsa_kernel
	.section	.text._ZN7rocprim17ROCPRIM_400000_NS6detail17trampoline_kernelINS0_13select_configILj256ELj13ELNS0_17block_load_methodE3ELS4_3ELS4_3ELNS0_20block_scan_algorithmE0ELj4294967295EEENS1_25partition_config_selectorILNS1_17partition_subalgoE4EjNS0_10empty_typeEbEEZZNS1_14partition_implILS8_4ELb0ES6_15HIP_vector_typeIjLj2EENS0_17counting_iteratorIjlEEPS9_SG_NS0_5tupleIJPjSI_NS0_16reverse_iteratorISI_EEEEENSH_IJSG_SG_SG_EEES9_SI_JZNS1_25segmented_radix_sort_implINS0_14default_configELb1EPKfPfPKlPlN2at6native12_GLOBAL__N_18offset_tEEE10hipError_tPvRmT1_PNSt15iterator_traitsIS12_E10value_typeET2_T3_PNS13_IS18_E10value_typeET4_jRbjT5_S1E_jjP12ihipStream_tbEUljE_ZNSN_ISO_Lb1ESQ_SR_ST_SU_SY_EESZ_S10_S11_S12_S16_S17_S18_S1B_S1C_jS1D_jS1E_S1E_jjS1G_bEUljE0_EEESZ_S10_S11_S18_S1C_S1E_T6_T7_T9_mT8_S1G_bDpT10_ENKUlT_T0_E_clISt17integral_constantIbLb1EES1U_EEDaS1P_S1Q_EUlS1P_E_NS1_11comp_targetILNS1_3genE4ELNS1_11target_archE910ELNS1_3gpuE8ELNS1_3repE0EEENS1_30default_config_static_selectorELNS0_4arch9wavefront6targetE0EEEvS12_,"axG",@progbits,_ZN7rocprim17ROCPRIM_400000_NS6detail17trampoline_kernelINS0_13select_configILj256ELj13ELNS0_17block_load_methodE3ELS4_3ELS4_3ELNS0_20block_scan_algorithmE0ELj4294967295EEENS1_25partition_config_selectorILNS1_17partition_subalgoE4EjNS0_10empty_typeEbEEZZNS1_14partition_implILS8_4ELb0ES6_15HIP_vector_typeIjLj2EENS0_17counting_iteratorIjlEEPS9_SG_NS0_5tupleIJPjSI_NS0_16reverse_iteratorISI_EEEEENSH_IJSG_SG_SG_EEES9_SI_JZNS1_25segmented_radix_sort_implINS0_14default_configELb1EPKfPfPKlPlN2at6native12_GLOBAL__N_18offset_tEEE10hipError_tPvRmT1_PNSt15iterator_traitsIS12_E10value_typeET2_T3_PNS13_IS18_E10value_typeET4_jRbjT5_S1E_jjP12ihipStream_tbEUljE_ZNSN_ISO_Lb1ESQ_SR_ST_SU_SY_EESZ_S10_S11_S12_S16_S17_S18_S1B_S1C_jS1D_jS1E_S1E_jjS1G_bEUljE0_EEESZ_S10_S11_S18_S1C_S1E_T6_T7_T9_mT8_S1G_bDpT10_ENKUlT_T0_E_clISt17integral_constantIbLb1EES1U_EEDaS1P_S1Q_EUlS1P_E_NS1_11comp_targetILNS1_3genE4ELNS1_11target_archE910ELNS1_3gpuE8ELNS1_3repE0EEENS1_30default_config_static_selectorELNS0_4arch9wavefront6targetE0EEEvS12_,comdat
.Lfunc_end1263:
	.size	_ZN7rocprim17ROCPRIM_400000_NS6detail17trampoline_kernelINS0_13select_configILj256ELj13ELNS0_17block_load_methodE3ELS4_3ELS4_3ELNS0_20block_scan_algorithmE0ELj4294967295EEENS1_25partition_config_selectorILNS1_17partition_subalgoE4EjNS0_10empty_typeEbEEZZNS1_14partition_implILS8_4ELb0ES6_15HIP_vector_typeIjLj2EENS0_17counting_iteratorIjlEEPS9_SG_NS0_5tupleIJPjSI_NS0_16reverse_iteratorISI_EEEEENSH_IJSG_SG_SG_EEES9_SI_JZNS1_25segmented_radix_sort_implINS0_14default_configELb1EPKfPfPKlPlN2at6native12_GLOBAL__N_18offset_tEEE10hipError_tPvRmT1_PNSt15iterator_traitsIS12_E10value_typeET2_T3_PNS13_IS18_E10value_typeET4_jRbjT5_S1E_jjP12ihipStream_tbEUljE_ZNSN_ISO_Lb1ESQ_SR_ST_SU_SY_EESZ_S10_S11_S12_S16_S17_S18_S1B_S1C_jS1D_jS1E_S1E_jjS1G_bEUljE0_EEESZ_S10_S11_S18_S1C_S1E_T6_T7_T9_mT8_S1G_bDpT10_ENKUlT_T0_E_clISt17integral_constantIbLb1EES1U_EEDaS1P_S1Q_EUlS1P_E_NS1_11comp_targetILNS1_3genE4ELNS1_11target_archE910ELNS1_3gpuE8ELNS1_3repE0EEENS1_30default_config_static_selectorELNS0_4arch9wavefront6targetE0EEEvS12_, .Lfunc_end1263-_ZN7rocprim17ROCPRIM_400000_NS6detail17trampoline_kernelINS0_13select_configILj256ELj13ELNS0_17block_load_methodE3ELS4_3ELS4_3ELNS0_20block_scan_algorithmE0ELj4294967295EEENS1_25partition_config_selectorILNS1_17partition_subalgoE4EjNS0_10empty_typeEbEEZZNS1_14partition_implILS8_4ELb0ES6_15HIP_vector_typeIjLj2EENS0_17counting_iteratorIjlEEPS9_SG_NS0_5tupleIJPjSI_NS0_16reverse_iteratorISI_EEEEENSH_IJSG_SG_SG_EEES9_SI_JZNS1_25segmented_radix_sort_implINS0_14default_configELb1EPKfPfPKlPlN2at6native12_GLOBAL__N_18offset_tEEE10hipError_tPvRmT1_PNSt15iterator_traitsIS12_E10value_typeET2_T3_PNS13_IS18_E10value_typeET4_jRbjT5_S1E_jjP12ihipStream_tbEUljE_ZNSN_ISO_Lb1ESQ_SR_ST_SU_SY_EESZ_S10_S11_S12_S16_S17_S18_S1B_S1C_jS1D_jS1E_S1E_jjS1G_bEUljE0_EEESZ_S10_S11_S18_S1C_S1E_T6_T7_T9_mT8_S1G_bDpT10_ENKUlT_T0_E_clISt17integral_constantIbLb1EES1U_EEDaS1P_S1Q_EUlS1P_E_NS1_11comp_targetILNS1_3genE4ELNS1_11target_archE910ELNS1_3gpuE8ELNS1_3repE0EEENS1_30default_config_static_selectorELNS0_4arch9wavefront6targetE0EEEvS12_
                                        ; -- End function
	.set _ZN7rocprim17ROCPRIM_400000_NS6detail17trampoline_kernelINS0_13select_configILj256ELj13ELNS0_17block_load_methodE3ELS4_3ELS4_3ELNS0_20block_scan_algorithmE0ELj4294967295EEENS1_25partition_config_selectorILNS1_17partition_subalgoE4EjNS0_10empty_typeEbEEZZNS1_14partition_implILS8_4ELb0ES6_15HIP_vector_typeIjLj2EENS0_17counting_iteratorIjlEEPS9_SG_NS0_5tupleIJPjSI_NS0_16reverse_iteratorISI_EEEEENSH_IJSG_SG_SG_EEES9_SI_JZNS1_25segmented_radix_sort_implINS0_14default_configELb1EPKfPfPKlPlN2at6native12_GLOBAL__N_18offset_tEEE10hipError_tPvRmT1_PNSt15iterator_traitsIS12_E10value_typeET2_T3_PNS13_IS18_E10value_typeET4_jRbjT5_S1E_jjP12ihipStream_tbEUljE_ZNSN_ISO_Lb1ESQ_SR_ST_SU_SY_EESZ_S10_S11_S12_S16_S17_S18_S1B_S1C_jS1D_jS1E_S1E_jjS1G_bEUljE0_EEESZ_S10_S11_S18_S1C_S1E_T6_T7_T9_mT8_S1G_bDpT10_ENKUlT_T0_E_clISt17integral_constantIbLb1EES1U_EEDaS1P_S1Q_EUlS1P_E_NS1_11comp_targetILNS1_3genE4ELNS1_11target_archE910ELNS1_3gpuE8ELNS1_3repE0EEENS1_30default_config_static_selectorELNS0_4arch9wavefront6targetE0EEEvS12_.num_vgpr, 0
	.set _ZN7rocprim17ROCPRIM_400000_NS6detail17trampoline_kernelINS0_13select_configILj256ELj13ELNS0_17block_load_methodE3ELS4_3ELS4_3ELNS0_20block_scan_algorithmE0ELj4294967295EEENS1_25partition_config_selectorILNS1_17partition_subalgoE4EjNS0_10empty_typeEbEEZZNS1_14partition_implILS8_4ELb0ES6_15HIP_vector_typeIjLj2EENS0_17counting_iteratorIjlEEPS9_SG_NS0_5tupleIJPjSI_NS0_16reverse_iteratorISI_EEEEENSH_IJSG_SG_SG_EEES9_SI_JZNS1_25segmented_radix_sort_implINS0_14default_configELb1EPKfPfPKlPlN2at6native12_GLOBAL__N_18offset_tEEE10hipError_tPvRmT1_PNSt15iterator_traitsIS12_E10value_typeET2_T3_PNS13_IS18_E10value_typeET4_jRbjT5_S1E_jjP12ihipStream_tbEUljE_ZNSN_ISO_Lb1ESQ_SR_ST_SU_SY_EESZ_S10_S11_S12_S16_S17_S18_S1B_S1C_jS1D_jS1E_S1E_jjS1G_bEUljE0_EEESZ_S10_S11_S18_S1C_S1E_T6_T7_T9_mT8_S1G_bDpT10_ENKUlT_T0_E_clISt17integral_constantIbLb1EES1U_EEDaS1P_S1Q_EUlS1P_E_NS1_11comp_targetILNS1_3genE4ELNS1_11target_archE910ELNS1_3gpuE8ELNS1_3repE0EEENS1_30default_config_static_selectorELNS0_4arch9wavefront6targetE0EEEvS12_.num_agpr, 0
	.set _ZN7rocprim17ROCPRIM_400000_NS6detail17trampoline_kernelINS0_13select_configILj256ELj13ELNS0_17block_load_methodE3ELS4_3ELS4_3ELNS0_20block_scan_algorithmE0ELj4294967295EEENS1_25partition_config_selectorILNS1_17partition_subalgoE4EjNS0_10empty_typeEbEEZZNS1_14partition_implILS8_4ELb0ES6_15HIP_vector_typeIjLj2EENS0_17counting_iteratorIjlEEPS9_SG_NS0_5tupleIJPjSI_NS0_16reverse_iteratorISI_EEEEENSH_IJSG_SG_SG_EEES9_SI_JZNS1_25segmented_radix_sort_implINS0_14default_configELb1EPKfPfPKlPlN2at6native12_GLOBAL__N_18offset_tEEE10hipError_tPvRmT1_PNSt15iterator_traitsIS12_E10value_typeET2_T3_PNS13_IS18_E10value_typeET4_jRbjT5_S1E_jjP12ihipStream_tbEUljE_ZNSN_ISO_Lb1ESQ_SR_ST_SU_SY_EESZ_S10_S11_S12_S16_S17_S18_S1B_S1C_jS1D_jS1E_S1E_jjS1G_bEUljE0_EEESZ_S10_S11_S18_S1C_S1E_T6_T7_T9_mT8_S1G_bDpT10_ENKUlT_T0_E_clISt17integral_constantIbLb1EES1U_EEDaS1P_S1Q_EUlS1P_E_NS1_11comp_targetILNS1_3genE4ELNS1_11target_archE910ELNS1_3gpuE8ELNS1_3repE0EEENS1_30default_config_static_selectorELNS0_4arch9wavefront6targetE0EEEvS12_.numbered_sgpr, 0
	.set _ZN7rocprim17ROCPRIM_400000_NS6detail17trampoline_kernelINS0_13select_configILj256ELj13ELNS0_17block_load_methodE3ELS4_3ELS4_3ELNS0_20block_scan_algorithmE0ELj4294967295EEENS1_25partition_config_selectorILNS1_17partition_subalgoE4EjNS0_10empty_typeEbEEZZNS1_14partition_implILS8_4ELb0ES6_15HIP_vector_typeIjLj2EENS0_17counting_iteratorIjlEEPS9_SG_NS0_5tupleIJPjSI_NS0_16reverse_iteratorISI_EEEEENSH_IJSG_SG_SG_EEES9_SI_JZNS1_25segmented_radix_sort_implINS0_14default_configELb1EPKfPfPKlPlN2at6native12_GLOBAL__N_18offset_tEEE10hipError_tPvRmT1_PNSt15iterator_traitsIS12_E10value_typeET2_T3_PNS13_IS18_E10value_typeET4_jRbjT5_S1E_jjP12ihipStream_tbEUljE_ZNSN_ISO_Lb1ESQ_SR_ST_SU_SY_EESZ_S10_S11_S12_S16_S17_S18_S1B_S1C_jS1D_jS1E_S1E_jjS1G_bEUljE0_EEESZ_S10_S11_S18_S1C_S1E_T6_T7_T9_mT8_S1G_bDpT10_ENKUlT_T0_E_clISt17integral_constantIbLb1EES1U_EEDaS1P_S1Q_EUlS1P_E_NS1_11comp_targetILNS1_3genE4ELNS1_11target_archE910ELNS1_3gpuE8ELNS1_3repE0EEENS1_30default_config_static_selectorELNS0_4arch9wavefront6targetE0EEEvS12_.num_named_barrier, 0
	.set _ZN7rocprim17ROCPRIM_400000_NS6detail17trampoline_kernelINS0_13select_configILj256ELj13ELNS0_17block_load_methodE3ELS4_3ELS4_3ELNS0_20block_scan_algorithmE0ELj4294967295EEENS1_25partition_config_selectorILNS1_17partition_subalgoE4EjNS0_10empty_typeEbEEZZNS1_14partition_implILS8_4ELb0ES6_15HIP_vector_typeIjLj2EENS0_17counting_iteratorIjlEEPS9_SG_NS0_5tupleIJPjSI_NS0_16reverse_iteratorISI_EEEEENSH_IJSG_SG_SG_EEES9_SI_JZNS1_25segmented_radix_sort_implINS0_14default_configELb1EPKfPfPKlPlN2at6native12_GLOBAL__N_18offset_tEEE10hipError_tPvRmT1_PNSt15iterator_traitsIS12_E10value_typeET2_T3_PNS13_IS18_E10value_typeET4_jRbjT5_S1E_jjP12ihipStream_tbEUljE_ZNSN_ISO_Lb1ESQ_SR_ST_SU_SY_EESZ_S10_S11_S12_S16_S17_S18_S1B_S1C_jS1D_jS1E_S1E_jjS1G_bEUljE0_EEESZ_S10_S11_S18_S1C_S1E_T6_T7_T9_mT8_S1G_bDpT10_ENKUlT_T0_E_clISt17integral_constantIbLb1EES1U_EEDaS1P_S1Q_EUlS1P_E_NS1_11comp_targetILNS1_3genE4ELNS1_11target_archE910ELNS1_3gpuE8ELNS1_3repE0EEENS1_30default_config_static_selectorELNS0_4arch9wavefront6targetE0EEEvS12_.private_seg_size, 0
	.set _ZN7rocprim17ROCPRIM_400000_NS6detail17trampoline_kernelINS0_13select_configILj256ELj13ELNS0_17block_load_methodE3ELS4_3ELS4_3ELNS0_20block_scan_algorithmE0ELj4294967295EEENS1_25partition_config_selectorILNS1_17partition_subalgoE4EjNS0_10empty_typeEbEEZZNS1_14partition_implILS8_4ELb0ES6_15HIP_vector_typeIjLj2EENS0_17counting_iteratorIjlEEPS9_SG_NS0_5tupleIJPjSI_NS0_16reverse_iteratorISI_EEEEENSH_IJSG_SG_SG_EEES9_SI_JZNS1_25segmented_radix_sort_implINS0_14default_configELb1EPKfPfPKlPlN2at6native12_GLOBAL__N_18offset_tEEE10hipError_tPvRmT1_PNSt15iterator_traitsIS12_E10value_typeET2_T3_PNS13_IS18_E10value_typeET4_jRbjT5_S1E_jjP12ihipStream_tbEUljE_ZNSN_ISO_Lb1ESQ_SR_ST_SU_SY_EESZ_S10_S11_S12_S16_S17_S18_S1B_S1C_jS1D_jS1E_S1E_jjS1G_bEUljE0_EEESZ_S10_S11_S18_S1C_S1E_T6_T7_T9_mT8_S1G_bDpT10_ENKUlT_T0_E_clISt17integral_constantIbLb1EES1U_EEDaS1P_S1Q_EUlS1P_E_NS1_11comp_targetILNS1_3genE4ELNS1_11target_archE910ELNS1_3gpuE8ELNS1_3repE0EEENS1_30default_config_static_selectorELNS0_4arch9wavefront6targetE0EEEvS12_.uses_vcc, 0
	.set _ZN7rocprim17ROCPRIM_400000_NS6detail17trampoline_kernelINS0_13select_configILj256ELj13ELNS0_17block_load_methodE3ELS4_3ELS4_3ELNS0_20block_scan_algorithmE0ELj4294967295EEENS1_25partition_config_selectorILNS1_17partition_subalgoE4EjNS0_10empty_typeEbEEZZNS1_14partition_implILS8_4ELb0ES6_15HIP_vector_typeIjLj2EENS0_17counting_iteratorIjlEEPS9_SG_NS0_5tupleIJPjSI_NS0_16reverse_iteratorISI_EEEEENSH_IJSG_SG_SG_EEES9_SI_JZNS1_25segmented_radix_sort_implINS0_14default_configELb1EPKfPfPKlPlN2at6native12_GLOBAL__N_18offset_tEEE10hipError_tPvRmT1_PNSt15iterator_traitsIS12_E10value_typeET2_T3_PNS13_IS18_E10value_typeET4_jRbjT5_S1E_jjP12ihipStream_tbEUljE_ZNSN_ISO_Lb1ESQ_SR_ST_SU_SY_EESZ_S10_S11_S12_S16_S17_S18_S1B_S1C_jS1D_jS1E_S1E_jjS1G_bEUljE0_EEESZ_S10_S11_S18_S1C_S1E_T6_T7_T9_mT8_S1G_bDpT10_ENKUlT_T0_E_clISt17integral_constantIbLb1EES1U_EEDaS1P_S1Q_EUlS1P_E_NS1_11comp_targetILNS1_3genE4ELNS1_11target_archE910ELNS1_3gpuE8ELNS1_3repE0EEENS1_30default_config_static_selectorELNS0_4arch9wavefront6targetE0EEEvS12_.uses_flat_scratch, 0
	.set _ZN7rocprim17ROCPRIM_400000_NS6detail17trampoline_kernelINS0_13select_configILj256ELj13ELNS0_17block_load_methodE3ELS4_3ELS4_3ELNS0_20block_scan_algorithmE0ELj4294967295EEENS1_25partition_config_selectorILNS1_17partition_subalgoE4EjNS0_10empty_typeEbEEZZNS1_14partition_implILS8_4ELb0ES6_15HIP_vector_typeIjLj2EENS0_17counting_iteratorIjlEEPS9_SG_NS0_5tupleIJPjSI_NS0_16reverse_iteratorISI_EEEEENSH_IJSG_SG_SG_EEES9_SI_JZNS1_25segmented_radix_sort_implINS0_14default_configELb1EPKfPfPKlPlN2at6native12_GLOBAL__N_18offset_tEEE10hipError_tPvRmT1_PNSt15iterator_traitsIS12_E10value_typeET2_T3_PNS13_IS18_E10value_typeET4_jRbjT5_S1E_jjP12ihipStream_tbEUljE_ZNSN_ISO_Lb1ESQ_SR_ST_SU_SY_EESZ_S10_S11_S12_S16_S17_S18_S1B_S1C_jS1D_jS1E_S1E_jjS1G_bEUljE0_EEESZ_S10_S11_S18_S1C_S1E_T6_T7_T9_mT8_S1G_bDpT10_ENKUlT_T0_E_clISt17integral_constantIbLb1EES1U_EEDaS1P_S1Q_EUlS1P_E_NS1_11comp_targetILNS1_3genE4ELNS1_11target_archE910ELNS1_3gpuE8ELNS1_3repE0EEENS1_30default_config_static_selectorELNS0_4arch9wavefront6targetE0EEEvS12_.has_dyn_sized_stack, 0
	.set _ZN7rocprim17ROCPRIM_400000_NS6detail17trampoline_kernelINS0_13select_configILj256ELj13ELNS0_17block_load_methodE3ELS4_3ELS4_3ELNS0_20block_scan_algorithmE0ELj4294967295EEENS1_25partition_config_selectorILNS1_17partition_subalgoE4EjNS0_10empty_typeEbEEZZNS1_14partition_implILS8_4ELb0ES6_15HIP_vector_typeIjLj2EENS0_17counting_iteratorIjlEEPS9_SG_NS0_5tupleIJPjSI_NS0_16reverse_iteratorISI_EEEEENSH_IJSG_SG_SG_EEES9_SI_JZNS1_25segmented_radix_sort_implINS0_14default_configELb1EPKfPfPKlPlN2at6native12_GLOBAL__N_18offset_tEEE10hipError_tPvRmT1_PNSt15iterator_traitsIS12_E10value_typeET2_T3_PNS13_IS18_E10value_typeET4_jRbjT5_S1E_jjP12ihipStream_tbEUljE_ZNSN_ISO_Lb1ESQ_SR_ST_SU_SY_EESZ_S10_S11_S12_S16_S17_S18_S1B_S1C_jS1D_jS1E_S1E_jjS1G_bEUljE0_EEESZ_S10_S11_S18_S1C_S1E_T6_T7_T9_mT8_S1G_bDpT10_ENKUlT_T0_E_clISt17integral_constantIbLb1EES1U_EEDaS1P_S1Q_EUlS1P_E_NS1_11comp_targetILNS1_3genE4ELNS1_11target_archE910ELNS1_3gpuE8ELNS1_3repE0EEENS1_30default_config_static_selectorELNS0_4arch9wavefront6targetE0EEEvS12_.has_recursion, 0
	.set _ZN7rocprim17ROCPRIM_400000_NS6detail17trampoline_kernelINS0_13select_configILj256ELj13ELNS0_17block_load_methodE3ELS4_3ELS4_3ELNS0_20block_scan_algorithmE0ELj4294967295EEENS1_25partition_config_selectorILNS1_17partition_subalgoE4EjNS0_10empty_typeEbEEZZNS1_14partition_implILS8_4ELb0ES6_15HIP_vector_typeIjLj2EENS0_17counting_iteratorIjlEEPS9_SG_NS0_5tupleIJPjSI_NS0_16reverse_iteratorISI_EEEEENSH_IJSG_SG_SG_EEES9_SI_JZNS1_25segmented_radix_sort_implINS0_14default_configELb1EPKfPfPKlPlN2at6native12_GLOBAL__N_18offset_tEEE10hipError_tPvRmT1_PNSt15iterator_traitsIS12_E10value_typeET2_T3_PNS13_IS18_E10value_typeET4_jRbjT5_S1E_jjP12ihipStream_tbEUljE_ZNSN_ISO_Lb1ESQ_SR_ST_SU_SY_EESZ_S10_S11_S12_S16_S17_S18_S1B_S1C_jS1D_jS1E_S1E_jjS1G_bEUljE0_EEESZ_S10_S11_S18_S1C_S1E_T6_T7_T9_mT8_S1G_bDpT10_ENKUlT_T0_E_clISt17integral_constantIbLb1EES1U_EEDaS1P_S1Q_EUlS1P_E_NS1_11comp_targetILNS1_3genE4ELNS1_11target_archE910ELNS1_3gpuE8ELNS1_3repE0EEENS1_30default_config_static_selectorELNS0_4arch9wavefront6targetE0EEEvS12_.has_indirect_call, 0
	.section	.AMDGPU.csdata,"",@progbits
; Kernel info:
; codeLenInByte = 0
; TotalNumSgprs: 0
; NumVgprs: 0
; ScratchSize: 0
; MemoryBound: 0
; FloatMode: 240
; IeeeMode: 1
; LDSByteSize: 0 bytes/workgroup (compile time only)
; SGPRBlocks: 0
; VGPRBlocks: 0
; NumSGPRsForWavesPerEU: 1
; NumVGPRsForWavesPerEU: 1
; Occupancy: 16
; WaveLimiterHint : 0
; COMPUTE_PGM_RSRC2:SCRATCH_EN: 0
; COMPUTE_PGM_RSRC2:USER_SGPR: 6
; COMPUTE_PGM_RSRC2:TRAP_HANDLER: 0
; COMPUTE_PGM_RSRC2:TGID_X_EN: 1
; COMPUTE_PGM_RSRC2:TGID_Y_EN: 0
; COMPUTE_PGM_RSRC2:TGID_Z_EN: 0
; COMPUTE_PGM_RSRC2:TIDIG_COMP_CNT: 0
	.section	.text._ZN7rocprim17ROCPRIM_400000_NS6detail17trampoline_kernelINS0_13select_configILj256ELj13ELNS0_17block_load_methodE3ELS4_3ELS4_3ELNS0_20block_scan_algorithmE0ELj4294967295EEENS1_25partition_config_selectorILNS1_17partition_subalgoE4EjNS0_10empty_typeEbEEZZNS1_14partition_implILS8_4ELb0ES6_15HIP_vector_typeIjLj2EENS0_17counting_iteratorIjlEEPS9_SG_NS0_5tupleIJPjSI_NS0_16reverse_iteratorISI_EEEEENSH_IJSG_SG_SG_EEES9_SI_JZNS1_25segmented_radix_sort_implINS0_14default_configELb1EPKfPfPKlPlN2at6native12_GLOBAL__N_18offset_tEEE10hipError_tPvRmT1_PNSt15iterator_traitsIS12_E10value_typeET2_T3_PNS13_IS18_E10value_typeET4_jRbjT5_S1E_jjP12ihipStream_tbEUljE_ZNSN_ISO_Lb1ESQ_SR_ST_SU_SY_EESZ_S10_S11_S12_S16_S17_S18_S1B_S1C_jS1D_jS1E_S1E_jjS1G_bEUljE0_EEESZ_S10_S11_S18_S1C_S1E_T6_T7_T9_mT8_S1G_bDpT10_ENKUlT_T0_E_clISt17integral_constantIbLb1EES1U_EEDaS1P_S1Q_EUlS1P_E_NS1_11comp_targetILNS1_3genE3ELNS1_11target_archE908ELNS1_3gpuE7ELNS1_3repE0EEENS1_30default_config_static_selectorELNS0_4arch9wavefront6targetE0EEEvS12_,"axG",@progbits,_ZN7rocprim17ROCPRIM_400000_NS6detail17trampoline_kernelINS0_13select_configILj256ELj13ELNS0_17block_load_methodE3ELS4_3ELS4_3ELNS0_20block_scan_algorithmE0ELj4294967295EEENS1_25partition_config_selectorILNS1_17partition_subalgoE4EjNS0_10empty_typeEbEEZZNS1_14partition_implILS8_4ELb0ES6_15HIP_vector_typeIjLj2EENS0_17counting_iteratorIjlEEPS9_SG_NS0_5tupleIJPjSI_NS0_16reverse_iteratorISI_EEEEENSH_IJSG_SG_SG_EEES9_SI_JZNS1_25segmented_radix_sort_implINS0_14default_configELb1EPKfPfPKlPlN2at6native12_GLOBAL__N_18offset_tEEE10hipError_tPvRmT1_PNSt15iterator_traitsIS12_E10value_typeET2_T3_PNS13_IS18_E10value_typeET4_jRbjT5_S1E_jjP12ihipStream_tbEUljE_ZNSN_ISO_Lb1ESQ_SR_ST_SU_SY_EESZ_S10_S11_S12_S16_S17_S18_S1B_S1C_jS1D_jS1E_S1E_jjS1G_bEUljE0_EEESZ_S10_S11_S18_S1C_S1E_T6_T7_T9_mT8_S1G_bDpT10_ENKUlT_T0_E_clISt17integral_constantIbLb1EES1U_EEDaS1P_S1Q_EUlS1P_E_NS1_11comp_targetILNS1_3genE3ELNS1_11target_archE908ELNS1_3gpuE7ELNS1_3repE0EEENS1_30default_config_static_selectorELNS0_4arch9wavefront6targetE0EEEvS12_,comdat
	.globl	_ZN7rocprim17ROCPRIM_400000_NS6detail17trampoline_kernelINS0_13select_configILj256ELj13ELNS0_17block_load_methodE3ELS4_3ELS4_3ELNS0_20block_scan_algorithmE0ELj4294967295EEENS1_25partition_config_selectorILNS1_17partition_subalgoE4EjNS0_10empty_typeEbEEZZNS1_14partition_implILS8_4ELb0ES6_15HIP_vector_typeIjLj2EENS0_17counting_iteratorIjlEEPS9_SG_NS0_5tupleIJPjSI_NS0_16reverse_iteratorISI_EEEEENSH_IJSG_SG_SG_EEES9_SI_JZNS1_25segmented_radix_sort_implINS0_14default_configELb1EPKfPfPKlPlN2at6native12_GLOBAL__N_18offset_tEEE10hipError_tPvRmT1_PNSt15iterator_traitsIS12_E10value_typeET2_T3_PNS13_IS18_E10value_typeET4_jRbjT5_S1E_jjP12ihipStream_tbEUljE_ZNSN_ISO_Lb1ESQ_SR_ST_SU_SY_EESZ_S10_S11_S12_S16_S17_S18_S1B_S1C_jS1D_jS1E_S1E_jjS1G_bEUljE0_EEESZ_S10_S11_S18_S1C_S1E_T6_T7_T9_mT8_S1G_bDpT10_ENKUlT_T0_E_clISt17integral_constantIbLb1EES1U_EEDaS1P_S1Q_EUlS1P_E_NS1_11comp_targetILNS1_3genE3ELNS1_11target_archE908ELNS1_3gpuE7ELNS1_3repE0EEENS1_30default_config_static_selectorELNS0_4arch9wavefront6targetE0EEEvS12_ ; -- Begin function _ZN7rocprim17ROCPRIM_400000_NS6detail17trampoline_kernelINS0_13select_configILj256ELj13ELNS0_17block_load_methodE3ELS4_3ELS4_3ELNS0_20block_scan_algorithmE0ELj4294967295EEENS1_25partition_config_selectorILNS1_17partition_subalgoE4EjNS0_10empty_typeEbEEZZNS1_14partition_implILS8_4ELb0ES6_15HIP_vector_typeIjLj2EENS0_17counting_iteratorIjlEEPS9_SG_NS0_5tupleIJPjSI_NS0_16reverse_iteratorISI_EEEEENSH_IJSG_SG_SG_EEES9_SI_JZNS1_25segmented_radix_sort_implINS0_14default_configELb1EPKfPfPKlPlN2at6native12_GLOBAL__N_18offset_tEEE10hipError_tPvRmT1_PNSt15iterator_traitsIS12_E10value_typeET2_T3_PNS13_IS18_E10value_typeET4_jRbjT5_S1E_jjP12ihipStream_tbEUljE_ZNSN_ISO_Lb1ESQ_SR_ST_SU_SY_EESZ_S10_S11_S12_S16_S17_S18_S1B_S1C_jS1D_jS1E_S1E_jjS1G_bEUljE0_EEESZ_S10_S11_S18_S1C_S1E_T6_T7_T9_mT8_S1G_bDpT10_ENKUlT_T0_E_clISt17integral_constantIbLb1EES1U_EEDaS1P_S1Q_EUlS1P_E_NS1_11comp_targetILNS1_3genE3ELNS1_11target_archE908ELNS1_3gpuE7ELNS1_3repE0EEENS1_30default_config_static_selectorELNS0_4arch9wavefront6targetE0EEEvS12_
	.p2align	8
	.type	_ZN7rocprim17ROCPRIM_400000_NS6detail17trampoline_kernelINS0_13select_configILj256ELj13ELNS0_17block_load_methodE3ELS4_3ELS4_3ELNS0_20block_scan_algorithmE0ELj4294967295EEENS1_25partition_config_selectorILNS1_17partition_subalgoE4EjNS0_10empty_typeEbEEZZNS1_14partition_implILS8_4ELb0ES6_15HIP_vector_typeIjLj2EENS0_17counting_iteratorIjlEEPS9_SG_NS0_5tupleIJPjSI_NS0_16reverse_iteratorISI_EEEEENSH_IJSG_SG_SG_EEES9_SI_JZNS1_25segmented_radix_sort_implINS0_14default_configELb1EPKfPfPKlPlN2at6native12_GLOBAL__N_18offset_tEEE10hipError_tPvRmT1_PNSt15iterator_traitsIS12_E10value_typeET2_T3_PNS13_IS18_E10value_typeET4_jRbjT5_S1E_jjP12ihipStream_tbEUljE_ZNSN_ISO_Lb1ESQ_SR_ST_SU_SY_EESZ_S10_S11_S12_S16_S17_S18_S1B_S1C_jS1D_jS1E_S1E_jjS1G_bEUljE0_EEESZ_S10_S11_S18_S1C_S1E_T6_T7_T9_mT8_S1G_bDpT10_ENKUlT_T0_E_clISt17integral_constantIbLb1EES1U_EEDaS1P_S1Q_EUlS1P_E_NS1_11comp_targetILNS1_3genE3ELNS1_11target_archE908ELNS1_3gpuE7ELNS1_3repE0EEENS1_30default_config_static_selectorELNS0_4arch9wavefront6targetE0EEEvS12_,@function
_ZN7rocprim17ROCPRIM_400000_NS6detail17trampoline_kernelINS0_13select_configILj256ELj13ELNS0_17block_load_methodE3ELS4_3ELS4_3ELNS0_20block_scan_algorithmE0ELj4294967295EEENS1_25partition_config_selectorILNS1_17partition_subalgoE4EjNS0_10empty_typeEbEEZZNS1_14partition_implILS8_4ELb0ES6_15HIP_vector_typeIjLj2EENS0_17counting_iteratorIjlEEPS9_SG_NS0_5tupleIJPjSI_NS0_16reverse_iteratorISI_EEEEENSH_IJSG_SG_SG_EEES9_SI_JZNS1_25segmented_radix_sort_implINS0_14default_configELb1EPKfPfPKlPlN2at6native12_GLOBAL__N_18offset_tEEE10hipError_tPvRmT1_PNSt15iterator_traitsIS12_E10value_typeET2_T3_PNS13_IS18_E10value_typeET4_jRbjT5_S1E_jjP12ihipStream_tbEUljE_ZNSN_ISO_Lb1ESQ_SR_ST_SU_SY_EESZ_S10_S11_S12_S16_S17_S18_S1B_S1C_jS1D_jS1E_S1E_jjS1G_bEUljE0_EEESZ_S10_S11_S18_S1C_S1E_T6_T7_T9_mT8_S1G_bDpT10_ENKUlT_T0_E_clISt17integral_constantIbLb1EES1U_EEDaS1P_S1Q_EUlS1P_E_NS1_11comp_targetILNS1_3genE3ELNS1_11target_archE908ELNS1_3gpuE7ELNS1_3repE0EEENS1_30default_config_static_selectorELNS0_4arch9wavefront6targetE0EEEvS12_: ; @_ZN7rocprim17ROCPRIM_400000_NS6detail17trampoline_kernelINS0_13select_configILj256ELj13ELNS0_17block_load_methodE3ELS4_3ELS4_3ELNS0_20block_scan_algorithmE0ELj4294967295EEENS1_25partition_config_selectorILNS1_17partition_subalgoE4EjNS0_10empty_typeEbEEZZNS1_14partition_implILS8_4ELb0ES6_15HIP_vector_typeIjLj2EENS0_17counting_iteratorIjlEEPS9_SG_NS0_5tupleIJPjSI_NS0_16reverse_iteratorISI_EEEEENSH_IJSG_SG_SG_EEES9_SI_JZNS1_25segmented_radix_sort_implINS0_14default_configELb1EPKfPfPKlPlN2at6native12_GLOBAL__N_18offset_tEEE10hipError_tPvRmT1_PNSt15iterator_traitsIS12_E10value_typeET2_T3_PNS13_IS18_E10value_typeET4_jRbjT5_S1E_jjP12ihipStream_tbEUljE_ZNSN_ISO_Lb1ESQ_SR_ST_SU_SY_EESZ_S10_S11_S12_S16_S17_S18_S1B_S1C_jS1D_jS1E_S1E_jjS1G_bEUljE0_EEESZ_S10_S11_S18_S1C_S1E_T6_T7_T9_mT8_S1G_bDpT10_ENKUlT_T0_E_clISt17integral_constantIbLb1EES1U_EEDaS1P_S1Q_EUlS1P_E_NS1_11comp_targetILNS1_3genE3ELNS1_11target_archE908ELNS1_3gpuE7ELNS1_3repE0EEENS1_30default_config_static_selectorELNS0_4arch9wavefront6targetE0EEEvS12_
; %bb.0:
	.section	.rodata,"a",@progbits
	.p2align	6, 0x0
	.amdhsa_kernel _ZN7rocprim17ROCPRIM_400000_NS6detail17trampoline_kernelINS0_13select_configILj256ELj13ELNS0_17block_load_methodE3ELS4_3ELS4_3ELNS0_20block_scan_algorithmE0ELj4294967295EEENS1_25partition_config_selectorILNS1_17partition_subalgoE4EjNS0_10empty_typeEbEEZZNS1_14partition_implILS8_4ELb0ES6_15HIP_vector_typeIjLj2EENS0_17counting_iteratorIjlEEPS9_SG_NS0_5tupleIJPjSI_NS0_16reverse_iteratorISI_EEEEENSH_IJSG_SG_SG_EEES9_SI_JZNS1_25segmented_radix_sort_implINS0_14default_configELb1EPKfPfPKlPlN2at6native12_GLOBAL__N_18offset_tEEE10hipError_tPvRmT1_PNSt15iterator_traitsIS12_E10value_typeET2_T3_PNS13_IS18_E10value_typeET4_jRbjT5_S1E_jjP12ihipStream_tbEUljE_ZNSN_ISO_Lb1ESQ_SR_ST_SU_SY_EESZ_S10_S11_S12_S16_S17_S18_S1B_S1C_jS1D_jS1E_S1E_jjS1G_bEUljE0_EEESZ_S10_S11_S18_S1C_S1E_T6_T7_T9_mT8_S1G_bDpT10_ENKUlT_T0_E_clISt17integral_constantIbLb1EES1U_EEDaS1P_S1Q_EUlS1P_E_NS1_11comp_targetILNS1_3genE3ELNS1_11target_archE908ELNS1_3gpuE7ELNS1_3repE0EEENS1_30default_config_static_selectorELNS0_4arch9wavefront6targetE0EEEvS12_
		.amdhsa_group_segment_fixed_size 0
		.amdhsa_private_segment_fixed_size 0
		.amdhsa_kernarg_size 184
		.amdhsa_user_sgpr_count 6
		.amdhsa_user_sgpr_private_segment_buffer 1
		.amdhsa_user_sgpr_dispatch_ptr 0
		.amdhsa_user_sgpr_queue_ptr 0
		.amdhsa_user_sgpr_kernarg_segment_ptr 1
		.amdhsa_user_sgpr_dispatch_id 0
		.amdhsa_user_sgpr_flat_scratch_init 0
		.amdhsa_user_sgpr_private_segment_size 0
		.amdhsa_wavefront_size32 1
		.amdhsa_uses_dynamic_stack 0
		.amdhsa_system_sgpr_private_segment_wavefront_offset 0
		.amdhsa_system_sgpr_workgroup_id_x 1
		.amdhsa_system_sgpr_workgroup_id_y 0
		.amdhsa_system_sgpr_workgroup_id_z 0
		.amdhsa_system_sgpr_workgroup_info 0
		.amdhsa_system_vgpr_workitem_id 0
		.amdhsa_next_free_vgpr 1
		.amdhsa_next_free_sgpr 1
		.amdhsa_reserve_vcc 0
		.amdhsa_reserve_flat_scratch 0
		.amdhsa_float_round_mode_32 0
		.amdhsa_float_round_mode_16_64 0
		.amdhsa_float_denorm_mode_32 3
		.amdhsa_float_denorm_mode_16_64 3
		.amdhsa_dx10_clamp 1
		.amdhsa_ieee_mode 1
		.amdhsa_fp16_overflow 0
		.amdhsa_workgroup_processor_mode 1
		.amdhsa_memory_ordered 1
		.amdhsa_forward_progress 1
		.amdhsa_shared_vgpr_count 0
		.amdhsa_exception_fp_ieee_invalid_op 0
		.amdhsa_exception_fp_denorm_src 0
		.amdhsa_exception_fp_ieee_div_zero 0
		.amdhsa_exception_fp_ieee_overflow 0
		.amdhsa_exception_fp_ieee_underflow 0
		.amdhsa_exception_fp_ieee_inexact 0
		.amdhsa_exception_int_div_zero 0
	.end_amdhsa_kernel
	.section	.text._ZN7rocprim17ROCPRIM_400000_NS6detail17trampoline_kernelINS0_13select_configILj256ELj13ELNS0_17block_load_methodE3ELS4_3ELS4_3ELNS0_20block_scan_algorithmE0ELj4294967295EEENS1_25partition_config_selectorILNS1_17partition_subalgoE4EjNS0_10empty_typeEbEEZZNS1_14partition_implILS8_4ELb0ES6_15HIP_vector_typeIjLj2EENS0_17counting_iteratorIjlEEPS9_SG_NS0_5tupleIJPjSI_NS0_16reverse_iteratorISI_EEEEENSH_IJSG_SG_SG_EEES9_SI_JZNS1_25segmented_radix_sort_implINS0_14default_configELb1EPKfPfPKlPlN2at6native12_GLOBAL__N_18offset_tEEE10hipError_tPvRmT1_PNSt15iterator_traitsIS12_E10value_typeET2_T3_PNS13_IS18_E10value_typeET4_jRbjT5_S1E_jjP12ihipStream_tbEUljE_ZNSN_ISO_Lb1ESQ_SR_ST_SU_SY_EESZ_S10_S11_S12_S16_S17_S18_S1B_S1C_jS1D_jS1E_S1E_jjS1G_bEUljE0_EEESZ_S10_S11_S18_S1C_S1E_T6_T7_T9_mT8_S1G_bDpT10_ENKUlT_T0_E_clISt17integral_constantIbLb1EES1U_EEDaS1P_S1Q_EUlS1P_E_NS1_11comp_targetILNS1_3genE3ELNS1_11target_archE908ELNS1_3gpuE7ELNS1_3repE0EEENS1_30default_config_static_selectorELNS0_4arch9wavefront6targetE0EEEvS12_,"axG",@progbits,_ZN7rocprim17ROCPRIM_400000_NS6detail17trampoline_kernelINS0_13select_configILj256ELj13ELNS0_17block_load_methodE3ELS4_3ELS4_3ELNS0_20block_scan_algorithmE0ELj4294967295EEENS1_25partition_config_selectorILNS1_17partition_subalgoE4EjNS0_10empty_typeEbEEZZNS1_14partition_implILS8_4ELb0ES6_15HIP_vector_typeIjLj2EENS0_17counting_iteratorIjlEEPS9_SG_NS0_5tupleIJPjSI_NS0_16reverse_iteratorISI_EEEEENSH_IJSG_SG_SG_EEES9_SI_JZNS1_25segmented_radix_sort_implINS0_14default_configELb1EPKfPfPKlPlN2at6native12_GLOBAL__N_18offset_tEEE10hipError_tPvRmT1_PNSt15iterator_traitsIS12_E10value_typeET2_T3_PNS13_IS18_E10value_typeET4_jRbjT5_S1E_jjP12ihipStream_tbEUljE_ZNSN_ISO_Lb1ESQ_SR_ST_SU_SY_EESZ_S10_S11_S12_S16_S17_S18_S1B_S1C_jS1D_jS1E_S1E_jjS1G_bEUljE0_EEESZ_S10_S11_S18_S1C_S1E_T6_T7_T9_mT8_S1G_bDpT10_ENKUlT_T0_E_clISt17integral_constantIbLb1EES1U_EEDaS1P_S1Q_EUlS1P_E_NS1_11comp_targetILNS1_3genE3ELNS1_11target_archE908ELNS1_3gpuE7ELNS1_3repE0EEENS1_30default_config_static_selectorELNS0_4arch9wavefront6targetE0EEEvS12_,comdat
.Lfunc_end1264:
	.size	_ZN7rocprim17ROCPRIM_400000_NS6detail17trampoline_kernelINS0_13select_configILj256ELj13ELNS0_17block_load_methodE3ELS4_3ELS4_3ELNS0_20block_scan_algorithmE0ELj4294967295EEENS1_25partition_config_selectorILNS1_17partition_subalgoE4EjNS0_10empty_typeEbEEZZNS1_14partition_implILS8_4ELb0ES6_15HIP_vector_typeIjLj2EENS0_17counting_iteratorIjlEEPS9_SG_NS0_5tupleIJPjSI_NS0_16reverse_iteratorISI_EEEEENSH_IJSG_SG_SG_EEES9_SI_JZNS1_25segmented_radix_sort_implINS0_14default_configELb1EPKfPfPKlPlN2at6native12_GLOBAL__N_18offset_tEEE10hipError_tPvRmT1_PNSt15iterator_traitsIS12_E10value_typeET2_T3_PNS13_IS18_E10value_typeET4_jRbjT5_S1E_jjP12ihipStream_tbEUljE_ZNSN_ISO_Lb1ESQ_SR_ST_SU_SY_EESZ_S10_S11_S12_S16_S17_S18_S1B_S1C_jS1D_jS1E_S1E_jjS1G_bEUljE0_EEESZ_S10_S11_S18_S1C_S1E_T6_T7_T9_mT8_S1G_bDpT10_ENKUlT_T0_E_clISt17integral_constantIbLb1EES1U_EEDaS1P_S1Q_EUlS1P_E_NS1_11comp_targetILNS1_3genE3ELNS1_11target_archE908ELNS1_3gpuE7ELNS1_3repE0EEENS1_30default_config_static_selectorELNS0_4arch9wavefront6targetE0EEEvS12_, .Lfunc_end1264-_ZN7rocprim17ROCPRIM_400000_NS6detail17trampoline_kernelINS0_13select_configILj256ELj13ELNS0_17block_load_methodE3ELS4_3ELS4_3ELNS0_20block_scan_algorithmE0ELj4294967295EEENS1_25partition_config_selectorILNS1_17partition_subalgoE4EjNS0_10empty_typeEbEEZZNS1_14partition_implILS8_4ELb0ES6_15HIP_vector_typeIjLj2EENS0_17counting_iteratorIjlEEPS9_SG_NS0_5tupleIJPjSI_NS0_16reverse_iteratorISI_EEEEENSH_IJSG_SG_SG_EEES9_SI_JZNS1_25segmented_radix_sort_implINS0_14default_configELb1EPKfPfPKlPlN2at6native12_GLOBAL__N_18offset_tEEE10hipError_tPvRmT1_PNSt15iterator_traitsIS12_E10value_typeET2_T3_PNS13_IS18_E10value_typeET4_jRbjT5_S1E_jjP12ihipStream_tbEUljE_ZNSN_ISO_Lb1ESQ_SR_ST_SU_SY_EESZ_S10_S11_S12_S16_S17_S18_S1B_S1C_jS1D_jS1E_S1E_jjS1G_bEUljE0_EEESZ_S10_S11_S18_S1C_S1E_T6_T7_T9_mT8_S1G_bDpT10_ENKUlT_T0_E_clISt17integral_constantIbLb1EES1U_EEDaS1P_S1Q_EUlS1P_E_NS1_11comp_targetILNS1_3genE3ELNS1_11target_archE908ELNS1_3gpuE7ELNS1_3repE0EEENS1_30default_config_static_selectorELNS0_4arch9wavefront6targetE0EEEvS12_
                                        ; -- End function
	.set _ZN7rocprim17ROCPRIM_400000_NS6detail17trampoline_kernelINS0_13select_configILj256ELj13ELNS0_17block_load_methodE3ELS4_3ELS4_3ELNS0_20block_scan_algorithmE0ELj4294967295EEENS1_25partition_config_selectorILNS1_17partition_subalgoE4EjNS0_10empty_typeEbEEZZNS1_14partition_implILS8_4ELb0ES6_15HIP_vector_typeIjLj2EENS0_17counting_iteratorIjlEEPS9_SG_NS0_5tupleIJPjSI_NS0_16reverse_iteratorISI_EEEEENSH_IJSG_SG_SG_EEES9_SI_JZNS1_25segmented_radix_sort_implINS0_14default_configELb1EPKfPfPKlPlN2at6native12_GLOBAL__N_18offset_tEEE10hipError_tPvRmT1_PNSt15iterator_traitsIS12_E10value_typeET2_T3_PNS13_IS18_E10value_typeET4_jRbjT5_S1E_jjP12ihipStream_tbEUljE_ZNSN_ISO_Lb1ESQ_SR_ST_SU_SY_EESZ_S10_S11_S12_S16_S17_S18_S1B_S1C_jS1D_jS1E_S1E_jjS1G_bEUljE0_EEESZ_S10_S11_S18_S1C_S1E_T6_T7_T9_mT8_S1G_bDpT10_ENKUlT_T0_E_clISt17integral_constantIbLb1EES1U_EEDaS1P_S1Q_EUlS1P_E_NS1_11comp_targetILNS1_3genE3ELNS1_11target_archE908ELNS1_3gpuE7ELNS1_3repE0EEENS1_30default_config_static_selectorELNS0_4arch9wavefront6targetE0EEEvS12_.num_vgpr, 0
	.set _ZN7rocprim17ROCPRIM_400000_NS6detail17trampoline_kernelINS0_13select_configILj256ELj13ELNS0_17block_load_methodE3ELS4_3ELS4_3ELNS0_20block_scan_algorithmE0ELj4294967295EEENS1_25partition_config_selectorILNS1_17partition_subalgoE4EjNS0_10empty_typeEbEEZZNS1_14partition_implILS8_4ELb0ES6_15HIP_vector_typeIjLj2EENS0_17counting_iteratorIjlEEPS9_SG_NS0_5tupleIJPjSI_NS0_16reverse_iteratorISI_EEEEENSH_IJSG_SG_SG_EEES9_SI_JZNS1_25segmented_radix_sort_implINS0_14default_configELb1EPKfPfPKlPlN2at6native12_GLOBAL__N_18offset_tEEE10hipError_tPvRmT1_PNSt15iterator_traitsIS12_E10value_typeET2_T3_PNS13_IS18_E10value_typeET4_jRbjT5_S1E_jjP12ihipStream_tbEUljE_ZNSN_ISO_Lb1ESQ_SR_ST_SU_SY_EESZ_S10_S11_S12_S16_S17_S18_S1B_S1C_jS1D_jS1E_S1E_jjS1G_bEUljE0_EEESZ_S10_S11_S18_S1C_S1E_T6_T7_T9_mT8_S1G_bDpT10_ENKUlT_T0_E_clISt17integral_constantIbLb1EES1U_EEDaS1P_S1Q_EUlS1P_E_NS1_11comp_targetILNS1_3genE3ELNS1_11target_archE908ELNS1_3gpuE7ELNS1_3repE0EEENS1_30default_config_static_selectorELNS0_4arch9wavefront6targetE0EEEvS12_.num_agpr, 0
	.set _ZN7rocprim17ROCPRIM_400000_NS6detail17trampoline_kernelINS0_13select_configILj256ELj13ELNS0_17block_load_methodE3ELS4_3ELS4_3ELNS0_20block_scan_algorithmE0ELj4294967295EEENS1_25partition_config_selectorILNS1_17partition_subalgoE4EjNS0_10empty_typeEbEEZZNS1_14partition_implILS8_4ELb0ES6_15HIP_vector_typeIjLj2EENS0_17counting_iteratorIjlEEPS9_SG_NS0_5tupleIJPjSI_NS0_16reverse_iteratorISI_EEEEENSH_IJSG_SG_SG_EEES9_SI_JZNS1_25segmented_radix_sort_implINS0_14default_configELb1EPKfPfPKlPlN2at6native12_GLOBAL__N_18offset_tEEE10hipError_tPvRmT1_PNSt15iterator_traitsIS12_E10value_typeET2_T3_PNS13_IS18_E10value_typeET4_jRbjT5_S1E_jjP12ihipStream_tbEUljE_ZNSN_ISO_Lb1ESQ_SR_ST_SU_SY_EESZ_S10_S11_S12_S16_S17_S18_S1B_S1C_jS1D_jS1E_S1E_jjS1G_bEUljE0_EEESZ_S10_S11_S18_S1C_S1E_T6_T7_T9_mT8_S1G_bDpT10_ENKUlT_T0_E_clISt17integral_constantIbLb1EES1U_EEDaS1P_S1Q_EUlS1P_E_NS1_11comp_targetILNS1_3genE3ELNS1_11target_archE908ELNS1_3gpuE7ELNS1_3repE0EEENS1_30default_config_static_selectorELNS0_4arch9wavefront6targetE0EEEvS12_.numbered_sgpr, 0
	.set _ZN7rocprim17ROCPRIM_400000_NS6detail17trampoline_kernelINS0_13select_configILj256ELj13ELNS0_17block_load_methodE3ELS4_3ELS4_3ELNS0_20block_scan_algorithmE0ELj4294967295EEENS1_25partition_config_selectorILNS1_17partition_subalgoE4EjNS0_10empty_typeEbEEZZNS1_14partition_implILS8_4ELb0ES6_15HIP_vector_typeIjLj2EENS0_17counting_iteratorIjlEEPS9_SG_NS0_5tupleIJPjSI_NS0_16reverse_iteratorISI_EEEEENSH_IJSG_SG_SG_EEES9_SI_JZNS1_25segmented_radix_sort_implINS0_14default_configELb1EPKfPfPKlPlN2at6native12_GLOBAL__N_18offset_tEEE10hipError_tPvRmT1_PNSt15iterator_traitsIS12_E10value_typeET2_T3_PNS13_IS18_E10value_typeET4_jRbjT5_S1E_jjP12ihipStream_tbEUljE_ZNSN_ISO_Lb1ESQ_SR_ST_SU_SY_EESZ_S10_S11_S12_S16_S17_S18_S1B_S1C_jS1D_jS1E_S1E_jjS1G_bEUljE0_EEESZ_S10_S11_S18_S1C_S1E_T6_T7_T9_mT8_S1G_bDpT10_ENKUlT_T0_E_clISt17integral_constantIbLb1EES1U_EEDaS1P_S1Q_EUlS1P_E_NS1_11comp_targetILNS1_3genE3ELNS1_11target_archE908ELNS1_3gpuE7ELNS1_3repE0EEENS1_30default_config_static_selectorELNS0_4arch9wavefront6targetE0EEEvS12_.num_named_barrier, 0
	.set _ZN7rocprim17ROCPRIM_400000_NS6detail17trampoline_kernelINS0_13select_configILj256ELj13ELNS0_17block_load_methodE3ELS4_3ELS4_3ELNS0_20block_scan_algorithmE0ELj4294967295EEENS1_25partition_config_selectorILNS1_17partition_subalgoE4EjNS0_10empty_typeEbEEZZNS1_14partition_implILS8_4ELb0ES6_15HIP_vector_typeIjLj2EENS0_17counting_iteratorIjlEEPS9_SG_NS0_5tupleIJPjSI_NS0_16reverse_iteratorISI_EEEEENSH_IJSG_SG_SG_EEES9_SI_JZNS1_25segmented_radix_sort_implINS0_14default_configELb1EPKfPfPKlPlN2at6native12_GLOBAL__N_18offset_tEEE10hipError_tPvRmT1_PNSt15iterator_traitsIS12_E10value_typeET2_T3_PNS13_IS18_E10value_typeET4_jRbjT5_S1E_jjP12ihipStream_tbEUljE_ZNSN_ISO_Lb1ESQ_SR_ST_SU_SY_EESZ_S10_S11_S12_S16_S17_S18_S1B_S1C_jS1D_jS1E_S1E_jjS1G_bEUljE0_EEESZ_S10_S11_S18_S1C_S1E_T6_T7_T9_mT8_S1G_bDpT10_ENKUlT_T0_E_clISt17integral_constantIbLb1EES1U_EEDaS1P_S1Q_EUlS1P_E_NS1_11comp_targetILNS1_3genE3ELNS1_11target_archE908ELNS1_3gpuE7ELNS1_3repE0EEENS1_30default_config_static_selectorELNS0_4arch9wavefront6targetE0EEEvS12_.private_seg_size, 0
	.set _ZN7rocprim17ROCPRIM_400000_NS6detail17trampoline_kernelINS0_13select_configILj256ELj13ELNS0_17block_load_methodE3ELS4_3ELS4_3ELNS0_20block_scan_algorithmE0ELj4294967295EEENS1_25partition_config_selectorILNS1_17partition_subalgoE4EjNS0_10empty_typeEbEEZZNS1_14partition_implILS8_4ELb0ES6_15HIP_vector_typeIjLj2EENS0_17counting_iteratorIjlEEPS9_SG_NS0_5tupleIJPjSI_NS0_16reverse_iteratorISI_EEEEENSH_IJSG_SG_SG_EEES9_SI_JZNS1_25segmented_radix_sort_implINS0_14default_configELb1EPKfPfPKlPlN2at6native12_GLOBAL__N_18offset_tEEE10hipError_tPvRmT1_PNSt15iterator_traitsIS12_E10value_typeET2_T3_PNS13_IS18_E10value_typeET4_jRbjT5_S1E_jjP12ihipStream_tbEUljE_ZNSN_ISO_Lb1ESQ_SR_ST_SU_SY_EESZ_S10_S11_S12_S16_S17_S18_S1B_S1C_jS1D_jS1E_S1E_jjS1G_bEUljE0_EEESZ_S10_S11_S18_S1C_S1E_T6_T7_T9_mT8_S1G_bDpT10_ENKUlT_T0_E_clISt17integral_constantIbLb1EES1U_EEDaS1P_S1Q_EUlS1P_E_NS1_11comp_targetILNS1_3genE3ELNS1_11target_archE908ELNS1_3gpuE7ELNS1_3repE0EEENS1_30default_config_static_selectorELNS0_4arch9wavefront6targetE0EEEvS12_.uses_vcc, 0
	.set _ZN7rocprim17ROCPRIM_400000_NS6detail17trampoline_kernelINS0_13select_configILj256ELj13ELNS0_17block_load_methodE3ELS4_3ELS4_3ELNS0_20block_scan_algorithmE0ELj4294967295EEENS1_25partition_config_selectorILNS1_17partition_subalgoE4EjNS0_10empty_typeEbEEZZNS1_14partition_implILS8_4ELb0ES6_15HIP_vector_typeIjLj2EENS0_17counting_iteratorIjlEEPS9_SG_NS0_5tupleIJPjSI_NS0_16reverse_iteratorISI_EEEEENSH_IJSG_SG_SG_EEES9_SI_JZNS1_25segmented_radix_sort_implINS0_14default_configELb1EPKfPfPKlPlN2at6native12_GLOBAL__N_18offset_tEEE10hipError_tPvRmT1_PNSt15iterator_traitsIS12_E10value_typeET2_T3_PNS13_IS18_E10value_typeET4_jRbjT5_S1E_jjP12ihipStream_tbEUljE_ZNSN_ISO_Lb1ESQ_SR_ST_SU_SY_EESZ_S10_S11_S12_S16_S17_S18_S1B_S1C_jS1D_jS1E_S1E_jjS1G_bEUljE0_EEESZ_S10_S11_S18_S1C_S1E_T6_T7_T9_mT8_S1G_bDpT10_ENKUlT_T0_E_clISt17integral_constantIbLb1EES1U_EEDaS1P_S1Q_EUlS1P_E_NS1_11comp_targetILNS1_3genE3ELNS1_11target_archE908ELNS1_3gpuE7ELNS1_3repE0EEENS1_30default_config_static_selectorELNS0_4arch9wavefront6targetE0EEEvS12_.uses_flat_scratch, 0
	.set _ZN7rocprim17ROCPRIM_400000_NS6detail17trampoline_kernelINS0_13select_configILj256ELj13ELNS0_17block_load_methodE3ELS4_3ELS4_3ELNS0_20block_scan_algorithmE0ELj4294967295EEENS1_25partition_config_selectorILNS1_17partition_subalgoE4EjNS0_10empty_typeEbEEZZNS1_14partition_implILS8_4ELb0ES6_15HIP_vector_typeIjLj2EENS0_17counting_iteratorIjlEEPS9_SG_NS0_5tupleIJPjSI_NS0_16reverse_iteratorISI_EEEEENSH_IJSG_SG_SG_EEES9_SI_JZNS1_25segmented_radix_sort_implINS0_14default_configELb1EPKfPfPKlPlN2at6native12_GLOBAL__N_18offset_tEEE10hipError_tPvRmT1_PNSt15iterator_traitsIS12_E10value_typeET2_T3_PNS13_IS18_E10value_typeET4_jRbjT5_S1E_jjP12ihipStream_tbEUljE_ZNSN_ISO_Lb1ESQ_SR_ST_SU_SY_EESZ_S10_S11_S12_S16_S17_S18_S1B_S1C_jS1D_jS1E_S1E_jjS1G_bEUljE0_EEESZ_S10_S11_S18_S1C_S1E_T6_T7_T9_mT8_S1G_bDpT10_ENKUlT_T0_E_clISt17integral_constantIbLb1EES1U_EEDaS1P_S1Q_EUlS1P_E_NS1_11comp_targetILNS1_3genE3ELNS1_11target_archE908ELNS1_3gpuE7ELNS1_3repE0EEENS1_30default_config_static_selectorELNS0_4arch9wavefront6targetE0EEEvS12_.has_dyn_sized_stack, 0
	.set _ZN7rocprim17ROCPRIM_400000_NS6detail17trampoline_kernelINS0_13select_configILj256ELj13ELNS0_17block_load_methodE3ELS4_3ELS4_3ELNS0_20block_scan_algorithmE0ELj4294967295EEENS1_25partition_config_selectorILNS1_17partition_subalgoE4EjNS0_10empty_typeEbEEZZNS1_14partition_implILS8_4ELb0ES6_15HIP_vector_typeIjLj2EENS0_17counting_iteratorIjlEEPS9_SG_NS0_5tupleIJPjSI_NS0_16reverse_iteratorISI_EEEEENSH_IJSG_SG_SG_EEES9_SI_JZNS1_25segmented_radix_sort_implINS0_14default_configELb1EPKfPfPKlPlN2at6native12_GLOBAL__N_18offset_tEEE10hipError_tPvRmT1_PNSt15iterator_traitsIS12_E10value_typeET2_T3_PNS13_IS18_E10value_typeET4_jRbjT5_S1E_jjP12ihipStream_tbEUljE_ZNSN_ISO_Lb1ESQ_SR_ST_SU_SY_EESZ_S10_S11_S12_S16_S17_S18_S1B_S1C_jS1D_jS1E_S1E_jjS1G_bEUljE0_EEESZ_S10_S11_S18_S1C_S1E_T6_T7_T9_mT8_S1G_bDpT10_ENKUlT_T0_E_clISt17integral_constantIbLb1EES1U_EEDaS1P_S1Q_EUlS1P_E_NS1_11comp_targetILNS1_3genE3ELNS1_11target_archE908ELNS1_3gpuE7ELNS1_3repE0EEENS1_30default_config_static_selectorELNS0_4arch9wavefront6targetE0EEEvS12_.has_recursion, 0
	.set _ZN7rocprim17ROCPRIM_400000_NS6detail17trampoline_kernelINS0_13select_configILj256ELj13ELNS0_17block_load_methodE3ELS4_3ELS4_3ELNS0_20block_scan_algorithmE0ELj4294967295EEENS1_25partition_config_selectorILNS1_17partition_subalgoE4EjNS0_10empty_typeEbEEZZNS1_14partition_implILS8_4ELb0ES6_15HIP_vector_typeIjLj2EENS0_17counting_iteratorIjlEEPS9_SG_NS0_5tupleIJPjSI_NS0_16reverse_iteratorISI_EEEEENSH_IJSG_SG_SG_EEES9_SI_JZNS1_25segmented_radix_sort_implINS0_14default_configELb1EPKfPfPKlPlN2at6native12_GLOBAL__N_18offset_tEEE10hipError_tPvRmT1_PNSt15iterator_traitsIS12_E10value_typeET2_T3_PNS13_IS18_E10value_typeET4_jRbjT5_S1E_jjP12ihipStream_tbEUljE_ZNSN_ISO_Lb1ESQ_SR_ST_SU_SY_EESZ_S10_S11_S12_S16_S17_S18_S1B_S1C_jS1D_jS1E_S1E_jjS1G_bEUljE0_EEESZ_S10_S11_S18_S1C_S1E_T6_T7_T9_mT8_S1G_bDpT10_ENKUlT_T0_E_clISt17integral_constantIbLb1EES1U_EEDaS1P_S1Q_EUlS1P_E_NS1_11comp_targetILNS1_3genE3ELNS1_11target_archE908ELNS1_3gpuE7ELNS1_3repE0EEENS1_30default_config_static_selectorELNS0_4arch9wavefront6targetE0EEEvS12_.has_indirect_call, 0
	.section	.AMDGPU.csdata,"",@progbits
; Kernel info:
; codeLenInByte = 0
; TotalNumSgprs: 0
; NumVgprs: 0
; ScratchSize: 0
; MemoryBound: 0
; FloatMode: 240
; IeeeMode: 1
; LDSByteSize: 0 bytes/workgroup (compile time only)
; SGPRBlocks: 0
; VGPRBlocks: 0
; NumSGPRsForWavesPerEU: 1
; NumVGPRsForWavesPerEU: 1
; Occupancy: 16
; WaveLimiterHint : 0
; COMPUTE_PGM_RSRC2:SCRATCH_EN: 0
; COMPUTE_PGM_RSRC2:USER_SGPR: 6
; COMPUTE_PGM_RSRC2:TRAP_HANDLER: 0
; COMPUTE_PGM_RSRC2:TGID_X_EN: 1
; COMPUTE_PGM_RSRC2:TGID_Y_EN: 0
; COMPUTE_PGM_RSRC2:TGID_Z_EN: 0
; COMPUTE_PGM_RSRC2:TIDIG_COMP_CNT: 0
	.section	.text._ZN7rocprim17ROCPRIM_400000_NS6detail17trampoline_kernelINS0_13select_configILj256ELj13ELNS0_17block_load_methodE3ELS4_3ELS4_3ELNS0_20block_scan_algorithmE0ELj4294967295EEENS1_25partition_config_selectorILNS1_17partition_subalgoE4EjNS0_10empty_typeEbEEZZNS1_14partition_implILS8_4ELb0ES6_15HIP_vector_typeIjLj2EENS0_17counting_iteratorIjlEEPS9_SG_NS0_5tupleIJPjSI_NS0_16reverse_iteratorISI_EEEEENSH_IJSG_SG_SG_EEES9_SI_JZNS1_25segmented_radix_sort_implINS0_14default_configELb1EPKfPfPKlPlN2at6native12_GLOBAL__N_18offset_tEEE10hipError_tPvRmT1_PNSt15iterator_traitsIS12_E10value_typeET2_T3_PNS13_IS18_E10value_typeET4_jRbjT5_S1E_jjP12ihipStream_tbEUljE_ZNSN_ISO_Lb1ESQ_SR_ST_SU_SY_EESZ_S10_S11_S12_S16_S17_S18_S1B_S1C_jS1D_jS1E_S1E_jjS1G_bEUljE0_EEESZ_S10_S11_S18_S1C_S1E_T6_T7_T9_mT8_S1G_bDpT10_ENKUlT_T0_E_clISt17integral_constantIbLb1EES1U_EEDaS1P_S1Q_EUlS1P_E_NS1_11comp_targetILNS1_3genE2ELNS1_11target_archE906ELNS1_3gpuE6ELNS1_3repE0EEENS1_30default_config_static_selectorELNS0_4arch9wavefront6targetE0EEEvS12_,"axG",@progbits,_ZN7rocprim17ROCPRIM_400000_NS6detail17trampoline_kernelINS0_13select_configILj256ELj13ELNS0_17block_load_methodE3ELS4_3ELS4_3ELNS0_20block_scan_algorithmE0ELj4294967295EEENS1_25partition_config_selectorILNS1_17partition_subalgoE4EjNS0_10empty_typeEbEEZZNS1_14partition_implILS8_4ELb0ES6_15HIP_vector_typeIjLj2EENS0_17counting_iteratorIjlEEPS9_SG_NS0_5tupleIJPjSI_NS0_16reverse_iteratorISI_EEEEENSH_IJSG_SG_SG_EEES9_SI_JZNS1_25segmented_radix_sort_implINS0_14default_configELb1EPKfPfPKlPlN2at6native12_GLOBAL__N_18offset_tEEE10hipError_tPvRmT1_PNSt15iterator_traitsIS12_E10value_typeET2_T3_PNS13_IS18_E10value_typeET4_jRbjT5_S1E_jjP12ihipStream_tbEUljE_ZNSN_ISO_Lb1ESQ_SR_ST_SU_SY_EESZ_S10_S11_S12_S16_S17_S18_S1B_S1C_jS1D_jS1E_S1E_jjS1G_bEUljE0_EEESZ_S10_S11_S18_S1C_S1E_T6_T7_T9_mT8_S1G_bDpT10_ENKUlT_T0_E_clISt17integral_constantIbLb1EES1U_EEDaS1P_S1Q_EUlS1P_E_NS1_11comp_targetILNS1_3genE2ELNS1_11target_archE906ELNS1_3gpuE6ELNS1_3repE0EEENS1_30default_config_static_selectorELNS0_4arch9wavefront6targetE0EEEvS12_,comdat
	.globl	_ZN7rocprim17ROCPRIM_400000_NS6detail17trampoline_kernelINS0_13select_configILj256ELj13ELNS0_17block_load_methodE3ELS4_3ELS4_3ELNS0_20block_scan_algorithmE0ELj4294967295EEENS1_25partition_config_selectorILNS1_17partition_subalgoE4EjNS0_10empty_typeEbEEZZNS1_14partition_implILS8_4ELb0ES6_15HIP_vector_typeIjLj2EENS0_17counting_iteratorIjlEEPS9_SG_NS0_5tupleIJPjSI_NS0_16reverse_iteratorISI_EEEEENSH_IJSG_SG_SG_EEES9_SI_JZNS1_25segmented_radix_sort_implINS0_14default_configELb1EPKfPfPKlPlN2at6native12_GLOBAL__N_18offset_tEEE10hipError_tPvRmT1_PNSt15iterator_traitsIS12_E10value_typeET2_T3_PNS13_IS18_E10value_typeET4_jRbjT5_S1E_jjP12ihipStream_tbEUljE_ZNSN_ISO_Lb1ESQ_SR_ST_SU_SY_EESZ_S10_S11_S12_S16_S17_S18_S1B_S1C_jS1D_jS1E_S1E_jjS1G_bEUljE0_EEESZ_S10_S11_S18_S1C_S1E_T6_T7_T9_mT8_S1G_bDpT10_ENKUlT_T0_E_clISt17integral_constantIbLb1EES1U_EEDaS1P_S1Q_EUlS1P_E_NS1_11comp_targetILNS1_3genE2ELNS1_11target_archE906ELNS1_3gpuE6ELNS1_3repE0EEENS1_30default_config_static_selectorELNS0_4arch9wavefront6targetE0EEEvS12_ ; -- Begin function _ZN7rocprim17ROCPRIM_400000_NS6detail17trampoline_kernelINS0_13select_configILj256ELj13ELNS0_17block_load_methodE3ELS4_3ELS4_3ELNS0_20block_scan_algorithmE0ELj4294967295EEENS1_25partition_config_selectorILNS1_17partition_subalgoE4EjNS0_10empty_typeEbEEZZNS1_14partition_implILS8_4ELb0ES6_15HIP_vector_typeIjLj2EENS0_17counting_iteratorIjlEEPS9_SG_NS0_5tupleIJPjSI_NS0_16reverse_iteratorISI_EEEEENSH_IJSG_SG_SG_EEES9_SI_JZNS1_25segmented_radix_sort_implINS0_14default_configELb1EPKfPfPKlPlN2at6native12_GLOBAL__N_18offset_tEEE10hipError_tPvRmT1_PNSt15iterator_traitsIS12_E10value_typeET2_T3_PNS13_IS18_E10value_typeET4_jRbjT5_S1E_jjP12ihipStream_tbEUljE_ZNSN_ISO_Lb1ESQ_SR_ST_SU_SY_EESZ_S10_S11_S12_S16_S17_S18_S1B_S1C_jS1D_jS1E_S1E_jjS1G_bEUljE0_EEESZ_S10_S11_S18_S1C_S1E_T6_T7_T9_mT8_S1G_bDpT10_ENKUlT_T0_E_clISt17integral_constantIbLb1EES1U_EEDaS1P_S1Q_EUlS1P_E_NS1_11comp_targetILNS1_3genE2ELNS1_11target_archE906ELNS1_3gpuE6ELNS1_3repE0EEENS1_30default_config_static_selectorELNS0_4arch9wavefront6targetE0EEEvS12_
	.p2align	8
	.type	_ZN7rocprim17ROCPRIM_400000_NS6detail17trampoline_kernelINS0_13select_configILj256ELj13ELNS0_17block_load_methodE3ELS4_3ELS4_3ELNS0_20block_scan_algorithmE0ELj4294967295EEENS1_25partition_config_selectorILNS1_17partition_subalgoE4EjNS0_10empty_typeEbEEZZNS1_14partition_implILS8_4ELb0ES6_15HIP_vector_typeIjLj2EENS0_17counting_iteratorIjlEEPS9_SG_NS0_5tupleIJPjSI_NS0_16reverse_iteratorISI_EEEEENSH_IJSG_SG_SG_EEES9_SI_JZNS1_25segmented_radix_sort_implINS0_14default_configELb1EPKfPfPKlPlN2at6native12_GLOBAL__N_18offset_tEEE10hipError_tPvRmT1_PNSt15iterator_traitsIS12_E10value_typeET2_T3_PNS13_IS18_E10value_typeET4_jRbjT5_S1E_jjP12ihipStream_tbEUljE_ZNSN_ISO_Lb1ESQ_SR_ST_SU_SY_EESZ_S10_S11_S12_S16_S17_S18_S1B_S1C_jS1D_jS1E_S1E_jjS1G_bEUljE0_EEESZ_S10_S11_S18_S1C_S1E_T6_T7_T9_mT8_S1G_bDpT10_ENKUlT_T0_E_clISt17integral_constantIbLb1EES1U_EEDaS1P_S1Q_EUlS1P_E_NS1_11comp_targetILNS1_3genE2ELNS1_11target_archE906ELNS1_3gpuE6ELNS1_3repE0EEENS1_30default_config_static_selectorELNS0_4arch9wavefront6targetE0EEEvS12_,@function
_ZN7rocprim17ROCPRIM_400000_NS6detail17trampoline_kernelINS0_13select_configILj256ELj13ELNS0_17block_load_methodE3ELS4_3ELS4_3ELNS0_20block_scan_algorithmE0ELj4294967295EEENS1_25partition_config_selectorILNS1_17partition_subalgoE4EjNS0_10empty_typeEbEEZZNS1_14partition_implILS8_4ELb0ES6_15HIP_vector_typeIjLj2EENS0_17counting_iteratorIjlEEPS9_SG_NS0_5tupleIJPjSI_NS0_16reverse_iteratorISI_EEEEENSH_IJSG_SG_SG_EEES9_SI_JZNS1_25segmented_radix_sort_implINS0_14default_configELb1EPKfPfPKlPlN2at6native12_GLOBAL__N_18offset_tEEE10hipError_tPvRmT1_PNSt15iterator_traitsIS12_E10value_typeET2_T3_PNS13_IS18_E10value_typeET4_jRbjT5_S1E_jjP12ihipStream_tbEUljE_ZNSN_ISO_Lb1ESQ_SR_ST_SU_SY_EESZ_S10_S11_S12_S16_S17_S18_S1B_S1C_jS1D_jS1E_S1E_jjS1G_bEUljE0_EEESZ_S10_S11_S18_S1C_S1E_T6_T7_T9_mT8_S1G_bDpT10_ENKUlT_T0_E_clISt17integral_constantIbLb1EES1U_EEDaS1P_S1Q_EUlS1P_E_NS1_11comp_targetILNS1_3genE2ELNS1_11target_archE906ELNS1_3gpuE6ELNS1_3repE0EEENS1_30default_config_static_selectorELNS0_4arch9wavefront6targetE0EEEvS12_: ; @_ZN7rocprim17ROCPRIM_400000_NS6detail17trampoline_kernelINS0_13select_configILj256ELj13ELNS0_17block_load_methodE3ELS4_3ELS4_3ELNS0_20block_scan_algorithmE0ELj4294967295EEENS1_25partition_config_selectorILNS1_17partition_subalgoE4EjNS0_10empty_typeEbEEZZNS1_14partition_implILS8_4ELb0ES6_15HIP_vector_typeIjLj2EENS0_17counting_iteratorIjlEEPS9_SG_NS0_5tupleIJPjSI_NS0_16reverse_iteratorISI_EEEEENSH_IJSG_SG_SG_EEES9_SI_JZNS1_25segmented_radix_sort_implINS0_14default_configELb1EPKfPfPKlPlN2at6native12_GLOBAL__N_18offset_tEEE10hipError_tPvRmT1_PNSt15iterator_traitsIS12_E10value_typeET2_T3_PNS13_IS18_E10value_typeET4_jRbjT5_S1E_jjP12ihipStream_tbEUljE_ZNSN_ISO_Lb1ESQ_SR_ST_SU_SY_EESZ_S10_S11_S12_S16_S17_S18_S1B_S1C_jS1D_jS1E_S1E_jjS1G_bEUljE0_EEESZ_S10_S11_S18_S1C_S1E_T6_T7_T9_mT8_S1G_bDpT10_ENKUlT_T0_E_clISt17integral_constantIbLb1EES1U_EEDaS1P_S1Q_EUlS1P_E_NS1_11comp_targetILNS1_3genE2ELNS1_11target_archE906ELNS1_3gpuE6ELNS1_3repE0EEENS1_30default_config_static_selectorELNS0_4arch9wavefront6targetE0EEEvS12_
; %bb.0:
	.section	.rodata,"a",@progbits
	.p2align	6, 0x0
	.amdhsa_kernel _ZN7rocprim17ROCPRIM_400000_NS6detail17trampoline_kernelINS0_13select_configILj256ELj13ELNS0_17block_load_methodE3ELS4_3ELS4_3ELNS0_20block_scan_algorithmE0ELj4294967295EEENS1_25partition_config_selectorILNS1_17partition_subalgoE4EjNS0_10empty_typeEbEEZZNS1_14partition_implILS8_4ELb0ES6_15HIP_vector_typeIjLj2EENS0_17counting_iteratorIjlEEPS9_SG_NS0_5tupleIJPjSI_NS0_16reverse_iteratorISI_EEEEENSH_IJSG_SG_SG_EEES9_SI_JZNS1_25segmented_radix_sort_implINS0_14default_configELb1EPKfPfPKlPlN2at6native12_GLOBAL__N_18offset_tEEE10hipError_tPvRmT1_PNSt15iterator_traitsIS12_E10value_typeET2_T3_PNS13_IS18_E10value_typeET4_jRbjT5_S1E_jjP12ihipStream_tbEUljE_ZNSN_ISO_Lb1ESQ_SR_ST_SU_SY_EESZ_S10_S11_S12_S16_S17_S18_S1B_S1C_jS1D_jS1E_S1E_jjS1G_bEUljE0_EEESZ_S10_S11_S18_S1C_S1E_T6_T7_T9_mT8_S1G_bDpT10_ENKUlT_T0_E_clISt17integral_constantIbLb1EES1U_EEDaS1P_S1Q_EUlS1P_E_NS1_11comp_targetILNS1_3genE2ELNS1_11target_archE906ELNS1_3gpuE6ELNS1_3repE0EEENS1_30default_config_static_selectorELNS0_4arch9wavefront6targetE0EEEvS12_
		.amdhsa_group_segment_fixed_size 0
		.amdhsa_private_segment_fixed_size 0
		.amdhsa_kernarg_size 184
		.amdhsa_user_sgpr_count 6
		.amdhsa_user_sgpr_private_segment_buffer 1
		.amdhsa_user_sgpr_dispatch_ptr 0
		.amdhsa_user_sgpr_queue_ptr 0
		.amdhsa_user_sgpr_kernarg_segment_ptr 1
		.amdhsa_user_sgpr_dispatch_id 0
		.amdhsa_user_sgpr_flat_scratch_init 0
		.amdhsa_user_sgpr_private_segment_size 0
		.amdhsa_wavefront_size32 1
		.amdhsa_uses_dynamic_stack 0
		.amdhsa_system_sgpr_private_segment_wavefront_offset 0
		.amdhsa_system_sgpr_workgroup_id_x 1
		.amdhsa_system_sgpr_workgroup_id_y 0
		.amdhsa_system_sgpr_workgroup_id_z 0
		.amdhsa_system_sgpr_workgroup_info 0
		.amdhsa_system_vgpr_workitem_id 0
		.amdhsa_next_free_vgpr 1
		.amdhsa_next_free_sgpr 1
		.amdhsa_reserve_vcc 0
		.amdhsa_reserve_flat_scratch 0
		.amdhsa_float_round_mode_32 0
		.amdhsa_float_round_mode_16_64 0
		.amdhsa_float_denorm_mode_32 3
		.amdhsa_float_denorm_mode_16_64 3
		.amdhsa_dx10_clamp 1
		.amdhsa_ieee_mode 1
		.amdhsa_fp16_overflow 0
		.amdhsa_workgroup_processor_mode 1
		.amdhsa_memory_ordered 1
		.amdhsa_forward_progress 1
		.amdhsa_shared_vgpr_count 0
		.amdhsa_exception_fp_ieee_invalid_op 0
		.amdhsa_exception_fp_denorm_src 0
		.amdhsa_exception_fp_ieee_div_zero 0
		.amdhsa_exception_fp_ieee_overflow 0
		.amdhsa_exception_fp_ieee_underflow 0
		.amdhsa_exception_fp_ieee_inexact 0
		.amdhsa_exception_int_div_zero 0
	.end_amdhsa_kernel
	.section	.text._ZN7rocprim17ROCPRIM_400000_NS6detail17trampoline_kernelINS0_13select_configILj256ELj13ELNS0_17block_load_methodE3ELS4_3ELS4_3ELNS0_20block_scan_algorithmE0ELj4294967295EEENS1_25partition_config_selectorILNS1_17partition_subalgoE4EjNS0_10empty_typeEbEEZZNS1_14partition_implILS8_4ELb0ES6_15HIP_vector_typeIjLj2EENS0_17counting_iteratorIjlEEPS9_SG_NS0_5tupleIJPjSI_NS0_16reverse_iteratorISI_EEEEENSH_IJSG_SG_SG_EEES9_SI_JZNS1_25segmented_radix_sort_implINS0_14default_configELb1EPKfPfPKlPlN2at6native12_GLOBAL__N_18offset_tEEE10hipError_tPvRmT1_PNSt15iterator_traitsIS12_E10value_typeET2_T3_PNS13_IS18_E10value_typeET4_jRbjT5_S1E_jjP12ihipStream_tbEUljE_ZNSN_ISO_Lb1ESQ_SR_ST_SU_SY_EESZ_S10_S11_S12_S16_S17_S18_S1B_S1C_jS1D_jS1E_S1E_jjS1G_bEUljE0_EEESZ_S10_S11_S18_S1C_S1E_T6_T7_T9_mT8_S1G_bDpT10_ENKUlT_T0_E_clISt17integral_constantIbLb1EES1U_EEDaS1P_S1Q_EUlS1P_E_NS1_11comp_targetILNS1_3genE2ELNS1_11target_archE906ELNS1_3gpuE6ELNS1_3repE0EEENS1_30default_config_static_selectorELNS0_4arch9wavefront6targetE0EEEvS12_,"axG",@progbits,_ZN7rocprim17ROCPRIM_400000_NS6detail17trampoline_kernelINS0_13select_configILj256ELj13ELNS0_17block_load_methodE3ELS4_3ELS4_3ELNS0_20block_scan_algorithmE0ELj4294967295EEENS1_25partition_config_selectorILNS1_17partition_subalgoE4EjNS0_10empty_typeEbEEZZNS1_14partition_implILS8_4ELb0ES6_15HIP_vector_typeIjLj2EENS0_17counting_iteratorIjlEEPS9_SG_NS0_5tupleIJPjSI_NS0_16reverse_iteratorISI_EEEEENSH_IJSG_SG_SG_EEES9_SI_JZNS1_25segmented_radix_sort_implINS0_14default_configELb1EPKfPfPKlPlN2at6native12_GLOBAL__N_18offset_tEEE10hipError_tPvRmT1_PNSt15iterator_traitsIS12_E10value_typeET2_T3_PNS13_IS18_E10value_typeET4_jRbjT5_S1E_jjP12ihipStream_tbEUljE_ZNSN_ISO_Lb1ESQ_SR_ST_SU_SY_EESZ_S10_S11_S12_S16_S17_S18_S1B_S1C_jS1D_jS1E_S1E_jjS1G_bEUljE0_EEESZ_S10_S11_S18_S1C_S1E_T6_T7_T9_mT8_S1G_bDpT10_ENKUlT_T0_E_clISt17integral_constantIbLb1EES1U_EEDaS1P_S1Q_EUlS1P_E_NS1_11comp_targetILNS1_3genE2ELNS1_11target_archE906ELNS1_3gpuE6ELNS1_3repE0EEENS1_30default_config_static_selectorELNS0_4arch9wavefront6targetE0EEEvS12_,comdat
.Lfunc_end1265:
	.size	_ZN7rocprim17ROCPRIM_400000_NS6detail17trampoline_kernelINS0_13select_configILj256ELj13ELNS0_17block_load_methodE3ELS4_3ELS4_3ELNS0_20block_scan_algorithmE0ELj4294967295EEENS1_25partition_config_selectorILNS1_17partition_subalgoE4EjNS0_10empty_typeEbEEZZNS1_14partition_implILS8_4ELb0ES6_15HIP_vector_typeIjLj2EENS0_17counting_iteratorIjlEEPS9_SG_NS0_5tupleIJPjSI_NS0_16reverse_iteratorISI_EEEEENSH_IJSG_SG_SG_EEES9_SI_JZNS1_25segmented_radix_sort_implINS0_14default_configELb1EPKfPfPKlPlN2at6native12_GLOBAL__N_18offset_tEEE10hipError_tPvRmT1_PNSt15iterator_traitsIS12_E10value_typeET2_T3_PNS13_IS18_E10value_typeET4_jRbjT5_S1E_jjP12ihipStream_tbEUljE_ZNSN_ISO_Lb1ESQ_SR_ST_SU_SY_EESZ_S10_S11_S12_S16_S17_S18_S1B_S1C_jS1D_jS1E_S1E_jjS1G_bEUljE0_EEESZ_S10_S11_S18_S1C_S1E_T6_T7_T9_mT8_S1G_bDpT10_ENKUlT_T0_E_clISt17integral_constantIbLb1EES1U_EEDaS1P_S1Q_EUlS1P_E_NS1_11comp_targetILNS1_3genE2ELNS1_11target_archE906ELNS1_3gpuE6ELNS1_3repE0EEENS1_30default_config_static_selectorELNS0_4arch9wavefront6targetE0EEEvS12_, .Lfunc_end1265-_ZN7rocprim17ROCPRIM_400000_NS6detail17trampoline_kernelINS0_13select_configILj256ELj13ELNS0_17block_load_methodE3ELS4_3ELS4_3ELNS0_20block_scan_algorithmE0ELj4294967295EEENS1_25partition_config_selectorILNS1_17partition_subalgoE4EjNS0_10empty_typeEbEEZZNS1_14partition_implILS8_4ELb0ES6_15HIP_vector_typeIjLj2EENS0_17counting_iteratorIjlEEPS9_SG_NS0_5tupleIJPjSI_NS0_16reverse_iteratorISI_EEEEENSH_IJSG_SG_SG_EEES9_SI_JZNS1_25segmented_radix_sort_implINS0_14default_configELb1EPKfPfPKlPlN2at6native12_GLOBAL__N_18offset_tEEE10hipError_tPvRmT1_PNSt15iterator_traitsIS12_E10value_typeET2_T3_PNS13_IS18_E10value_typeET4_jRbjT5_S1E_jjP12ihipStream_tbEUljE_ZNSN_ISO_Lb1ESQ_SR_ST_SU_SY_EESZ_S10_S11_S12_S16_S17_S18_S1B_S1C_jS1D_jS1E_S1E_jjS1G_bEUljE0_EEESZ_S10_S11_S18_S1C_S1E_T6_T7_T9_mT8_S1G_bDpT10_ENKUlT_T0_E_clISt17integral_constantIbLb1EES1U_EEDaS1P_S1Q_EUlS1P_E_NS1_11comp_targetILNS1_3genE2ELNS1_11target_archE906ELNS1_3gpuE6ELNS1_3repE0EEENS1_30default_config_static_selectorELNS0_4arch9wavefront6targetE0EEEvS12_
                                        ; -- End function
	.set _ZN7rocprim17ROCPRIM_400000_NS6detail17trampoline_kernelINS0_13select_configILj256ELj13ELNS0_17block_load_methodE3ELS4_3ELS4_3ELNS0_20block_scan_algorithmE0ELj4294967295EEENS1_25partition_config_selectorILNS1_17partition_subalgoE4EjNS0_10empty_typeEbEEZZNS1_14partition_implILS8_4ELb0ES6_15HIP_vector_typeIjLj2EENS0_17counting_iteratorIjlEEPS9_SG_NS0_5tupleIJPjSI_NS0_16reverse_iteratorISI_EEEEENSH_IJSG_SG_SG_EEES9_SI_JZNS1_25segmented_radix_sort_implINS0_14default_configELb1EPKfPfPKlPlN2at6native12_GLOBAL__N_18offset_tEEE10hipError_tPvRmT1_PNSt15iterator_traitsIS12_E10value_typeET2_T3_PNS13_IS18_E10value_typeET4_jRbjT5_S1E_jjP12ihipStream_tbEUljE_ZNSN_ISO_Lb1ESQ_SR_ST_SU_SY_EESZ_S10_S11_S12_S16_S17_S18_S1B_S1C_jS1D_jS1E_S1E_jjS1G_bEUljE0_EEESZ_S10_S11_S18_S1C_S1E_T6_T7_T9_mT8_S1G_bDpT10_ENKUlT_T0_E_clISt17integral_constantIbLb1EES1U_EEDaS1P_S1Q_EUlS1P_E_NS1_11comp_targetILNS1_3genE2ELNS1_11target_archE906ELNS1_3gpuE6ELNS1_3repE0EEENS1_30default_config_static_selectorELNS0_4arch9wavefront6targetE0EEEvS12_.num_vgpr, 0
	.set _ZN7rocprim17ROCPRIM_400000_NS6detail17trampoline_kernelINS0_13select_configILj256ELj13ELNS0_17block_load_methodE3ELS4_3ELS4_3ELNS0_20block_scan_algorithmE0ELj4294967295EEENS1_25partition_config_selectorILNS1_17partition_subalgoE4EjNS0_10empty_typeEbEEZZNS1_14partition_implILS8_4ELb0ES6_15HIP_vector_typeIjLj2EENS0_17counting_iteratorIjlEEPS9_SG_NS0_5tupleIJPjSI_NS0_16reverse_iteratorISI_EEEEENSH_IJSG_SG_SG_EEES9_SI_JZNS1_25segmented_radix_sort_implINS0_14default_configELb1EPKfPfPKlPlN2at6native12_GLOBAL__N_18offset_tEEE10hipError_tPvRmT1_PNSt15iterator_traitsIS12_E10value_typeET2_T3_PNS13_IS18_E10value_typeET4_jRbjT5_S1E_jjP12ihipStream_tbEUljE_ZNSN_ISO_Lb1ESQ_SR_ST_SU_SY_EESZ_S10_S11_S12_S16_S17_S18_S1B_S1C_jS1D_jS1E_S1E_jjS1G_bEUljE0_EEESZ_S10_S11_S18_S1C_S1E_T6_T7_T9_mT8_S1G_bDpT10_ENKUlT_T0_E_clISt17integral_constantIbLb1EES1U_EEDaS1P_S1Q_EUlS1P_E_NS1_11comp_targetILNS1_3genE2ELNS1_11target_archE906ELNS1_3gpuE6ELNS1_3repE0EEENS1_30default_config_static_selectorELNS0_4arch9wavefront6targetE0EEEvS12_.num_agpr, 0
	.set _ZN7rocprim17ROCPRIM_400000_NS6detail17trampoline_kernelINS0_13select_configILj256ELj13ELNS0_17block_load_methodE3ELS4_3ELS4_3ELNS0_20block_scan_algorithmE0ELj4294967295EEENS1_25partition_config_selectorILNS1_17partition_subalgoE4EjNS0_10empty_typeEbEEZZNS1_14partition_implILS8_4ELb0ES6_15HIP_vector_typeIjLj2EENS0_17counting_iteratorIjlEEPS9_SG_NS0_5tupleIJPjSI_NS0_16reverse_iteratorISI_EEEEENSH_IJSG_SG_SG_EEES9_SI_JZNS1_25segmented_radix_sort_implINS0_14default_configELb1EPKfPfPKlPlN2at6native12_GLOBAL__N_18offset_tEEE10hipError_tPvRmT1_PNSt15iterator_traitsIS12_E10value_typeET2_T3_PNS13_IS18_E10value_typeET4_jRbjT5_S1E_jjP12ihipStream_tbEUljE_ZNSN_ISO_Lb1ESQ_SR_ST_SU_SY_EESZ_S10_S11_S12_S16_S17_S18_S1B_S1C_jS1D_jS1E_S1E_jjS1G_bEUljE0_EEESZ_S10_S11_S18_S1C_S1E_T6_T7_T9_mT8_S1G_bDpT10_ENKUlT_T0_E_clISt17integral_constantIbLb1EES1U_EEDaS1P_S1Q_EUlS1P_E_NS1_11comp_targetILNS1_3genE2ELNS1_11target_archE906ELNS1_3gpuE6ELNS1_3repE0EEENS1_30default_config_static_selectorELNS0_4arch9wavefront6targetE0EEEvS12_.numbered_sgpr, 0
	.set _ZN7rocprim17ROCPRIM_400000_NS6detail17trampoline_kernelINS0_13select_configILj256ELj13ELNS0_17block_load_methodE3ELS4_3ELS4_3ELNS0_20block_scan_algorithmE0ELj4294967295EEENS1_25partition_config_selectorILNS1_17partition_subalgoE4EjNS0_10empty_typeEbEEZZNS1_14partition_implILS8_4ELb0ES6_15HIP_vector_typeIjLj2EENS0_17counting_iteratorIjlEEPS9_SG_NS0_5tupleIJPjSI_NS0_16reverse_iteratorISI_EEEEENSH_IJSG_SG_SG_EEES9_SI_JZNS1_25segmented_radix_sort_implINS0_14default_configELb1EPKfPfPKlPlN2at6native12_GLOBAL__N_18offset_tEEE10hipError_tPvRmT1_PNSt15iterator_traitsIS12_E10value_typeET2_T3_PNS13_IS18_E10value_typeET4_jRbjT5_S1E_jjP12ihipStream_tbEUljE_ZNSN_ISO_Lb1ESQ_SR_ST_SU_SY_EESZ_S10_S11_S12_S16_S17_S18_S1B_S1C_jS1D_jS1E_S1E_jjS1G_bEUljE0_EEESZ_S10_S11_S18_S1C_S1E_T6_T7_T9_mT8_S1G_bDpT10_ENKUlT_T0_E_clISt17integral_constantIbLb1EES1U_EEDaS1P_S1Q_EUlS1P_E_NS1_11comp_targetILNS1_3genE2ELNS1_11target_archE906ELNS1_3gpuE6ELNS1_3repE0EEENS1_30default_config_static_selectorELNS0_4arch9wavefront6targetE0EEEvS12_.num_named_barrier, 0
	.set _ZN7rocprim17ROCPRIM_400000_NS6detail17trampoline_kernelINS0_13select_configILj256ELj13ELNS0_17block_load_methodE3ELS4_3ELS4_3ELNS0_20block_scan_algorithmE0ELj4294967295EEENS1_25partition_config_selectorILNS1_17partition_subalgoE4EjNS0_10empty_typeEbEEZZNS1_14partition_implILS8_4ELb0ES6_15HIP_vector_typeIjLj2EENS0_17counting_iteratorIjlEEPS9_SG_NS0_5tupleIJPjSI_NS0_16reverse_iteratorISI_EEEEENSH_IJSG_SG_SG_EEES9_SI_JZNS1_25segmented_radix_sort_implINS0_14default_configELb1EPKfPfPKlPlN2at6native12_GLOBAL__N_18offset_tEEE10hipError_tPvRmT1_PNSt15iterator_traitsIS12_E10value_typeET2_T3_PNS13_IS18_E10value_typeET4_jRbjT5_S1E_jjP12ihipStream_tbEUljE_ZNSN_ISO_Lb1ESQ_SR_ST_SU_SY_EESZ_S10_S11_S12_S16_S17_S18_S1B_S1C_jS1D_jS1E_S1E_jjS1G_bEUljE0_EEESZ_S10_S11_S18_S1C_S1E_T6_T7_T9_mT8_S1G_bDpT10_ENKUlT_T0_E_clISt17integral_constantIbLb1EES1U_EEDaS1P_S1Q_EUlS1P_E_NS1_11comp_targetILNS1_3genE2ELNS1_11target_archE906ELNS1_3gpuE6ELNS1_3repE0EEENS1_30default_config_static_selectorELNS0_4arch9wavefront6targetE0EEEvS12_.private_seg_size, 0
	.set _ZN7rocprim17ROCPRIM_400000_NS6detail17trampoline_kernelINS0_13select_configILj256ELj13ELNS0_17block_load_methodE3ELS4_3ELS4_3ELNS0_20block_scan_algorithmE0ELj4294967295EEENS1_25partition_config_selectorILNS1_17partition_subalgoE4EjNS0_10empty_typeEbEEZZNS1_14partition_implILS8_4ELb0ES6_15HIP_vector_typeIjLj2EENS0_17counting_iteratorIjlEEPS9_SG_NS0_5tupleIJPjSI_NS0_16reverse_iteratorISI_EEEEENSH_IJSG_SG_SG_EEES9_SI_JZNS1_25segmented_radix_sort_implINS0_14default_configELb1EPKfPfPKlPlN2at6native12_GLOBAL__N_18offset_tEEE10hipError_tPvRmT1_PNSt15iterator_traitsIS12_E10value_typeET2_T3_PNS13_IS18_E10value_typeET4_jRbjT5_S1E_jjP12ihipStream_tbEUljE_ZNSN_ISO_Lb1ESQ_SR_ST_SU_SY_EESZ_S10_S11_S12_S16_S17_S18_S1B_S1C_jS1D_jS1E_S1E_jjS1G_bEUljE0_EEESZ_S10_S11_S18_S1C_S1E_T6_T7_T9_mT8_S1G_bDpT10_ENKUlT_T0_E_clISt17integral_constantIbLb1EES1U_EEDaS1P_S1Q_EUlS1P_E_NS1_11comp_targetILNS1_3genE2ELNS1_11target_archE906ELNS1_3gpuE6ELNS1_3repE0EEENS1_30default_config_static_selectorELNS0_4arch9wavefront6targetE0EEEvS12_.uses_vcc, 0
	.set _ZN7rocprim17ROCPRIM_400000_NS6detail17trampoline_kernelINS0_13select_configILj256ELj13ELNS0_17block_load_methodE3ELS4_3ELS4_3ELNS0_20block_scan_algorithmE0ELj4294967295EEENS1_25partition_config_selectorILNS1_17partition_subalgoE4EjNS0_10empty_typeEbEEZZNS1_14partition_implILS8_4ELb0ES6_15HIP_vector_typeIjLj2EENS0_17counting_iteratorIjlEEPS9_SG_NS0_5tupleIJPjSI_NS0_16reverse_iteratorISI_EEEEENSH_IJSG_SG_SG_EEES9_SI_JZNS1_25segmented_radix_sort_implINS0_14default_configELb1EPKfPfPKlPlN2at6native12_GLOBAL__N_18offset_tEEE10hipError_tPvRmT1_PNSt15iterator_traitsIS12_E10value_typeET2_T3_PNS13_IS18_E10value_typeET4_jRbjT5_S1E_jjP12ihipStream_tbEUljE_ZNSN_ISO_Lb1ESQ_SR_ST_SU_SY_EESZ_S10_S11_S12_S16_S17_S18_S1B_S1C_jS1D_jS1E_S1E_jjS1G_bEUljE0_EEESZ_S10_S11_S18_S1C_S1E_T6_T7_T9_mT8_S1G_bDpT10_ENKUlT_T0_E_clISt17integral_constantIbLb1EES1U_EEDaS1P_S1Q_EUlS1P_E_NS1_11comp_targetILNS1_3genE2ELNS1_11target_archE906ELNS1_3gpuE6ELNS1_3repE0EEENS1_30default_config_static_selectorELNS0_4arch9wavefront6targetE0EEEvS12_.uses_flat_scratch, 0
	.set _ZN7rocprim17ROCPRIM_400000_NS6detail17trampoline_kernelINS0_13select_configILj256ELj13ELNS0_17block_load_methodE3ELS4_3ELS4_3ELNS0_20block_scan_algorithmE0ELj4294967295EEENS1_25partition_config_selectorILNS1_17partition_subalgoE4EjNS0_10empty_typeEbEEZZNS1_14partition_implILS8_4ELb0ES6_15HIP_vector_typeIjLj2EENS0_17counting_iteratorIjlEEPS9_SG_NS0_5tupleIJPjSI_NS0_16reverse_iteratorISI_EEEEENSH_IJSG_SG_SG_EEES9_SI_JZNS1_25segmented_radix_sort_implINS0_14default_configELb1EPKfPfPKlPlN2at6native12_GLOBAL__N_18offset_tEEE10hipError_tPvRmT1_PNSt15iterator_traitsIS12_E10value_typeET2_T3_PNS13_IS18_E10value_typeET4_jRbjT5_S1E_jjP12ihipStream_tbEUljE_ZNSN_ISO_Lb1ESQ_SR_ST_SU_SY_EESZ_S10_S11_S12_S16_S17_S18_S1B_S1C_jS1D_jS1E_S1E_jjS1G_bEUljE0_EEESZ_S10_S11_S18_S1C_S1E_T6_T7_T9_mT8_S1G_bDpT10_ENKUlT_T0_E_clISt17integral_constantIbLb1EES1U_EEDaS1P_S1Q_EUlS1P_E_NS1_11comp_targetILNS1_3genE2ELNS1_11target_archE906ELNS1_3gpuE6ELNS1_3repE0EEENS1_30default_config_static_selectorELNS0_4arch9wavefront6targetE0EEEvS12_.has_dyn_sized_stack, 0
	.set _ZN7rocprim17ROCPRIM_400000_NS6detail17trampoline_kernelINS0_13select_configILj256ELj13ELNS0_17block_load_methodE3ELS4_3ELS4_3ELNS0_20block_scan_algorithmE0ELj4294967295EEENS1_25partition_config_selectorILNS1_17partition_subalgoE4EjNS0_10empty_typeEbEEZZNS1_14partition_implILS8_4ELb0ES6_15HIP_vector_typeIjLj2EENS0_17counting_iteratorIjlEEPS9_SG_NS0_5tupleIJPjSI_NS0_16reverse_iteratorISI_EEEEENSH_IJSG_SG_SG_EEES9_SI_JZNS1_25segmented_radix_sort_implINS0_14default_configELb1EPKfPfPKlPlN2at6native12_GLOBAL__N_18offset_tEEE10hipError_tPvRmT1_PNSt15iterator_traitsIS12_E10value_typeET2_T3_PNS13_IS18_E10value_typeET4_jRbjT5_S1E_jjP12ihipStream_tbEUljE_ZNSN_ISO_Lb1ESQ_SR_ST_SU_SY_EESZ_S10_S11_S12_S16_S17_S18_S1B_S1C_jS1D_jS1E_S1E_jjS1G_bEUljE0_EEESZ_S10_S11_S18_S1C_S1E_T6_T7_T9_mT8_S1G_bDpT10_ENKUlT_T0_E_clISt17integral_constantIbLb1EES1U_EEDaS1P_S1Q_EUlS1P_E_NS1_11comp_targetILNS1_3genE2ELNS1_11target_archE906ELNS1_3gpuE6ELNS1_3repE0EEENS1_30default_config_static_selectorELNS0_4arch9wavefront6targetE0EEEvS12_.has_recursion, 0
	.set _ZN7rocprim17ROCPRIM_400000_NS6detail17trampoline_kernelINS0_13select_configILj256ELj13ELNS0_17block_load_methodE3ELS4_3ELS4_3ELNS0_20block_scan_algorithmE0ELj4294967295EEENS1_25partition_config_selectorILNS1_17partition_subalgoE4EjNS0_10empty_typeEbEEZZNS1_14partition_implILS8_4ELb0ES6_15HIP_vector_typeIjLj2EENS0_17counting_iteratorIjlEEPS9_SG_NS0_5tupleIJPjSI_NS0_16reverse_iteratorISI_EEEEENSH_IJSG_SG_SG_EEES9_SI_JZNS1_25segmented_radix_sort_implINS0_14default_configELb1EPKfPfPKlPlN2at6native12_GLOBAL__N_18offset_tEEE10hipError_tPvRmT1_PNSt15iterator_traitsIS12_E10value_typeET2_T3_PNS13_IS18_E10value_typeET4_jRbjT5_S1E_jjP12ihipStream_tbEUljE_ZNSN_ISO_Lb1ESQ_SR_ST_SU_SY_EESZ_S10_S11_S12_S16_S17_S18_S1B_S1C_jS1D_jS1E_S1E_jjS1G_bEUljE0_EEESZ_S10_S11_S18_S1C_S1E_T6_T7_T9_mT8_S1G_bDpT10_ENKUlT_T0_E_clISt17integral_constantIbLb1EES1U_EEDaS1P_S1Q_EUlS1P_E_NS1_11comp_targetILNS1_3genE2ELNS1_11target_archE906ELNS1_3gpuE6ELNS1_3repE0EEENS1_30default_config_static_selectorELNS0_4arch9wavefront6targetE0EEEvS12_.has_indirect_call, 0
	.section	.AMDGPU.csdata,"",@progbits
; Kernel info:
; codeLenInByte = 0
; TotalNumSgprs: 0
; NumVgprs: 0
; ScratchSize: 0
; MemoryBound: 0
; FloatMode: 240
; IeeeMode: 1
; LDSByteSize: 0 bytes/workgroup (compile time only)
; SGPRBlocks: 0
; VGPRBlocks: 0
; NumSGPRsForWavesPerEU: 1
; NumVGPRsForWavesPerEU: 1
; Occupancy: 16
; WaveLimiterHint : 0
; COMPUTE_PGM_RSRC2:SCRATCH_EN: 0
; COMPUTE_PGM_RSRC2:USER_SGPR: 6
; COMPUTE_PGM_RSRC2:TRAP_HANDLER: 0
; COMPUTE_PGM_RSRC2:TGID_X_EN: 1
; COMPUTE_PGM_RSRC2:TGID_Y_EN: 0
; COMPUTE_PGM_RSRC2:TGID_Z_EN: 0
; COMPUTE_PGM_RSRC2:TIDIG_COMP_CNT: 0
	.section	.text._ZN7rocprim17ROCPRIM_400000_NS6detail17trampoline_kernelINS0_13select_configILj256ELj13ELNS0_17block_load_methodE3ELS4_3ELS4_3ELNS0_20block_scan_algorithmE0ELj4294967295EEENS1_25partition_config_selectorILNS1_17partition_subalgoE4EjNS0_10empty_typeEbEEZZNS1_14partition_implILS8_4ELb0ES6_15HIP_vector_typeIjLj2EENS0_17counting_iteratorIjlEEPS9_SG_NS0_5tupleIJPjSI_NS0_16reverse_iteratorISI_EEEEENSH_IJSG_SG_SG_EEES9_SI_JZNS1_25segmented_radix_sort_implINS0_14default_configELb1EPKfPfPKlPlN2at6native12_GLOBAL__N_18offset_tEEE10hipError_tPvRmT1_PNSt15iterator_traitsIS12_E10value_typeET2_T3_PNS13_IS18_E10value_typeET4_jRbjT5_S1E_jjP12ihipStream_tbEUljE_ZNSN_ISO_Lb1ESQ_SR_ST_SU_SY_EESZ_S10_S11_S12_S16_S17_S18_S1B_S1C_jS1D_jS1E_S1E_jjS1G_bEUljE0_EEESZ_S10_S11_S18_S1C_S1E_T6_T7_T9_mT8_S1G_bDpT10_ENKUlT_T0_E_clISt17integral_constantIbLb1EES1U_EEDaS1P_S1Q_EUlS1P_E_NS1_11comp_targetILNS1_3genE10ELNS1_11target_archE1200ELNS1_3gpuE4ELNS1_3repE0EEENS1_30default_config_static_selectorELNS0_4arch9wavefront6targetE0EEEvS12_,"axG",@progbits,_ZN7rocprim17ROCPRIM_400000_NS6detail17trampoline_kernelINS0_13select_configILj256ELj13ELNS0_17block_load_methodE3ELS4_3ELS4_3ELNS0_20block_scan_algorithmE0ELj4294967295EEENS1_25partition_config_selectorILNS1_17partition_subalgoE4EjNS0_10empty_typeEbEEZZNS1_14partition_implILS8_4ELb0ES6_15HIP_vector_typeIjLj2EENS0_17counting_iteratorIjlEEPS9_SG_NS0_5tupleIJPjSI_NS0_16reverse_iteratorISI_EEEEENSH_IJSG_SG_SG_EEES9_SI_JZNS1_25segmented_radix_sort_implINS0_14default_configELb1EPKfPfPKlPlN2at6native12_GLOBAL__N_18offset_tEEE10hipError_tPvRmT1_PNSt15iterator_traitsIS12_E10value_typeET2_T3_PNS13_IS18_E10value_typeET4_jRbjT5_S1E_jjP12ihipStream_tbEUljE_ZNSN_ISO_Lb1ESQ_SR_ST_SU_SY_EESZ_S10_S11_S12_S16_S17_S18_S1B_S1C_jS1D_jS1E_S1E_jjS1G_bEUljE0_EEESZ_S10_S11_S18_S1C_S1E_T6_T7_T9_mT8_S1G_bDpT10_ENKUlT_T0_E_clISt17integral_constantIbLb1EES1U_EEDaS1P_S1Q_EUlS1P_E_NS1_11comp_targetILNS1_3genE10ELNS1_11target_archE1200ELNS1_3gpuE4ELNS1_3repE0EEENS1_30default_config_static_selectorELNS0_4arch9wavefront6targetE0EEEvS12_,comdat
	.globl	_ZN7rocprim17ROCPRIM_400000_NS6detail17trampoline_kernelINS0_13select_configILj256ELj13ELNS0_17block_load_methodE3ELS4_3ELS4_3ELNS0_20block_scan_algorithmE0ELj4294967295EEENS1_25partition_config_selectorILNS1_17partition_subalgoE4EjNS0_10empty_typeEbEEZZNS1_14partition_implILS8_4ELb0ES6_15HIP_vector_typeIjLj2EENS0_17counting_iteratorIjlEEPS9_SG_NS0_5tupleIJPjSI_NS0_16reverse_iteratorISI_EEEEENSH_IJSG_SG_SG_EEES9_SI_JZNS1_25segmented_radix_sort_implINS0_14default_configELb1EPKfPfPKlPlN2at6native12_GLOBAL__N_18offset_tEEE10hipError_tPvRmT1_PNSt15iterator_traitsIS12_E10value_typeET2_T3_PNS13_IS18_E10value_typeET4_jRbjT5_S1E_jjP12ihipStream_tbEUljE_ZNSN_ISO_Lb1ESQ_SR_ST_SU_SY_EESZ_S10_S11_S12_S16_S17_S18_S1B_S1C_jS1D_jS1E_S1E_jjS1G_bEUljE0_EEESZ_S10_S11_S18_S1C_S1E_T6_T7_T9_mT8_S1G_bDpT10_ENKUlT_T0_E_clISt17integral_constantIbLb1EES1U_EEDaS1P_S1Q_EUlS1P_E_NS1_11comp_targetILNS1_3genE10ELNS1_11target_archE1200ELNS1_3gpuE4ELNS1_3repE0EEENS1_30default_config_static_selectorELNS0_4arch9wavefront6targetE0EEEvS12_ ; -- Begin function _ZN7rocprim17ROCPRIM_400000_NS6detail17trampoline_kernelINS0_13select_configILj256ELj13ELNS0_17block_load_methodE3ELS4_3ELS4_3ELNS0_20block_scan_algorithmE0ELj4294967295EEENS1_25partition_config_selectorILNS1_17partition_subalgoE4EjNS0_10empty_typeEbEEZZNS1_14partition_implILS8_4ELb0ES6_15HIP_vector_typeIjLj2EENS0_17counting_iteratorIjlEEPS9_SG_NS0_5tupleIJPjSI_NS0_16reverse_iteratorISI_EEEEENSH_IJSG_SG_SG_EEES9_SI_JZNS1_25segmented_radix_sort_implINS0_14default_configELb1EPKfPfPKlPlN2at6native12_GLOBAL__N_18offset_tEEE10hipError_tPvRmT1_PNSt15iterator_traitsIS12_E10value_typeET2_T3_PNS13_IS18_E10value_typeET4_jRbjT5_S1E_jjP12ihipStream_tbEUljE_ZNSN_ISO_Lb1ESQ_SR_ST_SU_SY_EESZ_S10_S11_S12_S16_S17_S18_S1B_S1C_jS1D_jS1E_S1E_jjS1G_bEUljE0_EEESZ_S10_S11_S18_S1C_S1E_T6_T7_T9_mT8_S1G_bDpT10_ENKUlT_T0_E_clISt17integral_constantIbLb1EES1U_EEDaS1P_S1Q_EUlS1P_E_NS1_11comp_targetILNS1_3genE10ELNS1_11target_archE1200ELNS1_3gpuE4ELNS1_3repE0EEENS1_30default_config_static_selectorELNS0_4arch9wavefront6targetE0EEEvS12_
	.p2align	8
	.type	_ZN7rocprim17ROCPRIM_400000_NS6detail17trampoline_kernelINS0_13select_configILj256ELj13ELNS0_17block_load_methodE3ELS4_3ELS4_3ELNS0_20block_scan_algorithmE0ELj4294967295EEENS1_25partition_config_selectorILNS1_17partition_subalgoE4EjNS0_10empty_typeEbEEZZNS1_14partition_implILS8_4ELb0ES6_15HIP_vector_typeIjLj2EENS0_17counting_iteratorIjlEEPS9_SG_NS0_5tupleIJPjSI_NS0_16reverse_iteratorISI_EEEEENSH_IJSG_SG_SG_EEES9_SI_JZNS1_25segmented_radix_sort_implINS0_14default_configELb1EPKfPfPKlPlN2at6native12_GLOBAL__N_18offset_tEEE10hipError_tPvRmT1_PNSt15iterator_traitsIS12_E10value_typeET2_T3_PNS13_IS18_E10value_typeET4_jRbjT5_S1E_jjP12ihipStream_tbEUljE_ZNSN_ISO_Lb1ESQ_SR_ST_SU_SY_EESZ_S10_S11_S12_S16_S17_S18_S1B_S1C_jS1D_jS1E_S1E_jjS1G_bEUljE0_EEESZ_S10_S11_S18_S1C_S1E_T6_T7_T9_mT8_S1G_bDpT10_ENKUlT_T0_E_clISt17integral_constantIbLb1EES1U_EEDaS1P_S1Q_EUlS1P_E_NS1_11comp_targetILNS1_3genE10ELNS1_11target_archE1200ELNS1_3gpuE4ELNS1_3repE0EEENS1_30default_config_static_selectorELNS0_4arch9wavefront6targetE0EEEvS12_,@function
_ZN7rocprim17ROCPRIM_400000_NS6detail17trampoline_kernelINS0_13select_configILj256ELj13ELNS0_17block_load_methodE3ELS4_3ELS4_3ELNS0_20block_scan_algorithmE0ELj4294967295EEENS1_25partition_config_selectorILNS1_17partition_subalgoE4EjNS0_10empty_typeEbEEZZNS1_14partition_implILS8_4ELb0ES6_15HIP_vector_typeIjLj2EENS0_17counting_iteratorIjlEEPS9_SG_NS0_5tupleIJPjSI_NS0_16reverse_iteratorISI_EEEEENSH_IJSG_SG_SG_EEES9_SI_JZNS1_25segmented_radix_sort_implINS0_14default_configELb1EPKfPfPKlPlN2at6native12_GLOBAL__N_18offset_tEEE10hipError_tPvRmT1_PNSt15iterator_traitsIS12_E10value_typeET2_T3_PNS13_IS18_E10value_typeET4_jRbjT5_S1E_jjP12ihipStream_tbEUljE_ZNSN_ISO_Lb1ESQ_SR_ST_SU_SY_EESZ_S10_S11_S12_S16_S17_S18_S1B_S1C_jS1D_jS1E_S1E_jjS1G_bEUljE0_EEESZ_S10_S11_S18_S1C_S1E_T6_T7_T9_mT8_S1G_bDpT10_ENKUlT_T0_E_clISt17integral_constantIbLb1EES1U_EEDaS1P_S1Q_EUlS1P_E_NS1_11comp_targetILNS1_3genE10ELNS1_11target_archE1200ELNS1_3gpuE4ELNS1_3repE0EEENS1_30default_config_static_selectorELNS0_4arch9wavefront6targetE0EEEvS12_: ; @_ZN7rocprim17ROCPRIM_400000_NS6detail17trampoline_kernelINS0_13select_configILj256ELj13ELNS0_17block_load_methodE3ELS4_3ELS4_3ELNS0_20block_scan_algorithmE0ELj4294967295EEENS1_25partition_config_selectorILNS1_17partition_subalgoE4EjNS0_10empty_typeEbEEZZNS1_14partition_implILS8_4ELb0ES6_15HIP_vector_typeIjLj2EENS0_17counting_iteratorIjlEEPS9_SG_NS0_5tupleIJPjSI_NS0_16reverse_iteratorISI_EEEEENSH_IJSG_SG_SG_EEES9_SI_JZNS1_25segmented_radix_sort_implINS0_14default_configELb1EPKfPfPKlPlN2at6native12_GLOBAL__N_18offset_tEEE10hipError_tPvRmT1_PNSt15iterator_traitsIS12_E10value_typeET2_T3_PNS13_IS18_E10value_typeET4_jRbjT5_S1E_jjP12ihipStream_tbEUljE_ZNSN_ISO_Lb1ESQ_SR_ST_SU_SY_EESZ_S10_S11_S12_S16_S17_S18_S1B_S1C_jS1D_jS1E_S1E_jjS1G_bEUljE0_EEESZ_S10_S11_S18_S1C_S1E_T6_T7_T9_mT8_S1G_bDpT10_ENKUlT_T0_E_clISt17integral_constantIbLb1EES1U_EEDaS1P_S1Q_EUlS1P_E_NS1_11comp_targetILNS1_3genE10ELNS1_11target_archE1200ELNS1_3gpuE4ELNS1_3repE0EEENS1_30default_config_static_selectorELNS0_4arch9wavefront6targetE0EEEvS12_
; %bb.0:
	.section	.rodata,"a",@progbits
	.p2align	6, 0x0
	.amdhsa_kernel _ZN7rocprim17ROCPRIM_400000_NS6detail17trampoline_kernelINS0_13select_configILj256ELj13ELNS0_17block_load_methodE3ELS4_3ELS4_3ELNS0_20block_scan_algorithmE0ELj4294967295EEENS1_25partition_config_selectorILNS1_17partition_subalgoE4EjNS0_10empty_typeEbEEZZNS1_14partition_implILS8_4ELb0ES6_15HIP_vector_typeIjLj2EENS0_17counting_iteratorIjlEEPS9_SG_NS0_5tupleIJPjSI_NS0_16reverse_iteratorISI_EEEEENSH_IJSG_SG_SG_EEES9_SI_JZNS1_25segmented_radix_sort_implINS0_14default_configELb1EPKfPfPKlPlN2at6native12_GLOBAL__N_18offset_tEEE10hipError_tPvRmT1_PNSt15iterator_traitsIS12_E10value_typeET2_T3_PNS13_IS18_E10value_typeET4_jRbjT5_S1E_jjP12ihipStream_tbEUljE_ZNSN_ISO_Lb1ESQ_SR_ST_SU_SY_EESZ_S10_S11_S12_S16_S17_S18_S1B_S1C_jS1D_jS1E_S1E_jjS1G_bEUljE0_EEESZ_S10_S11_S18_S1C_S1E_T6_T7_T9_mT8_S1G_bDpT10_ENKUlT_T0_E_clISt17integral_constantIbLb1EES1U_EEDaS1P_S1Q_EUlS1P_E_NS1_11comp_targetILNS1_3genE10ELNS1_11target_archE1200ELNS1_3gpuE4ELNS1_3repE0EEENS1_30default_config_static_selectorELNS0_4arch9wavefront6targetE0EEEvS12_
		.amdhsa_group_segment_fixed_size 0
		.amdhsa_private_segment_fixed_size 0
		.amdhsa_kernarg_size 184
		.amdhsa_user_sgpr_count 6
		.amdhsa_user_sgpr_private_segment_buffer 1
		.amdhsa_user_sgpr_dispatch_ptr 0
		.amdhsa_user_sgpr_queue_ptr 0
		.amdhsa_user_sgpr_kernarg_segment_ptr 1
		.amdhsa_user_sgpr_dispatch_id 0
		.amdhsa_user_sgpr_flat_scratch_init 0
		.amdhsa_user_sgpr_private_segment_size 0
		.amdhsa_wavefront_size32 1
		.amdhsa_uses_dynamic_stack 0
		.amdhsa_system_sgpr_private_segment_wavefront_offset 0
		.amdhsa_system_sgpr_workgroup_id_x 1
		.amdhsa_system_sgpr_workgroup_id_y 0
		.amdhsa_system_sgpr_workgroup_id_z 0
		.amdhsa_system_sgpr_workgroup_info 0
		.amdhsa_system_vgpr_workitem_id 0
		.amdhsa_next_free_vgpr 1
		.amdhsa_next_free_sgpr 1
		.amdhsa_reserve_vcc 0
		.amdhsa_reserve_flat_scratch 0
		.amdhsa_float_round_mode_32 0
		.amdhsa_float_round_mode_16_64 0
		.amdhsa_float_denorm_mode_32 3
		.amdhsa_float_denorm_mode_16_64 3
		.amdhsa_dx10_clamp 1
		.amdhsa_ieee_mode 1
		.amdhsa_fp16_overflow 0
		.amdhsa_workgroup_processor_mode 1
		.amdhsa_memory_ordered 1
		.amdhsa_forward_progress 1
		.amdhsa_shared_vgpr_count 0
		.amdhsa_exception_fp_ieee_invalid_op 0
		.amdhsa_exception_fp_denorm_src 0
		.amdhsa_exception_fp_ieee_div_zero 0
		.amdhsa_exception_fp_ieee_overflow 0
		.amdhsa_exception_fp_ieee_underflow 0
		.amdhsa_exception_fp_ieee_inexact 0
		.amdhsa_exception_int_div_zero 0
	.end_amdhsa_kernel
	.section	.text._ZN7rocprim17ROCPRIM_400000_NS6detail17trampoline_kernelINS0_13select_configILj256ELj13ELNS0_17block_load_methodE3ELS4_3ELS4_3ELNS0_20block_scan_algorithmE0ELj4294967295EEENS1_25partition_config_selectorILNS1_17partition_subalgoE4EjNS0_10empty_typeEbEEZZNS1_14partition_implILS8_4ELb0ES6_15HIP_vector_typeIjLj2EENS0_17counting_iteratorIjlEEPS9_SG_NS0_5tupleIJPjSI_NS0_16reverse_iteratorISI_EEEEENSH_IJSG_SG_SG_EEES9_SI_JZNS1_25segmented_radix_sort_implINS0_14default_configELb1EPKfPfPKlPlN2at6native12_GLOBAL__N_18offset_tEEE10hipError_tPvRmT1_PNSt15iterator_traitsIS12_E10value_typeET2_T3_PNS13_IS18_E10value_typeET4_jRbjT5_S1E_jjP12ihipStream_tbEUljE_ZNSN_ISO_Lb1ESQ_SR_ST_SU_SY_EESZ_S10_S11_S12_S16_S17_S18_S1B_S1C_jS1D_jS1E_S1E_jjS1G_bEUljE0_EEESZ_S10_S11_S18_S1C_S1E_T6_T7_T9_mT8_S1G_bDpT10_ENKUlT_T0_E_clISt17integral_constantIbLb1EES1U_EEDaS1P_S1Q_EUlS1P_E_NS1_11comp_targetILNS1_3genE10ELNS1_11target_archE1200ELNS1_3gpuE4ELNS1_3repE0EEENS1_30default_config_static_selectorELNS0_4arch9wavefront6targetE0EEEvS12_,"axG",@progbits,_ZN7rocprim17ROCPRIM_400000_NS6detail17trampoline_kernelINS0_13select_configILj256ELj13ELNS0_17block_load_methodE3ELS4_3ELS4_3ELNS0_20block_scan_algorithmE0ELj4294967295EEENS1_25partition_config_selectorILNS1_17partition_subalgoE4EjNS0_10empty_typeEbEEZZNS1_14partition_implILS8_4ELb0ES6_15HIP_vector_typeIjLj2EENS0_17counting_iteratorIjlEEPS9_SG_NS0_5tupleIJPjSI_NS0_16reverse_iteratorISI_EEEEENSH_IJSG_SG_SG_EEES9_SI_JZNS1_25segmented_radix_sort_implINS0_14default_configELb1EPKfPfPKlPlN2at6native12_GLOBAL__N_18offset_tEEE10hipError_tPvRmT1_PNSt15iterator_traitsIS12_E10value_typeET2_T3_PNS13_IS18_E10value_typeET4_jRbjT5_S1E_jjP12ihipStream_tbEUljE_ZNSN_ISO_Lb1ESQ_SR_ST_SU_SY_EESZ_S10_S11_S12_S16_S17_S18_S1B_S1C_jS1D_jS1E_S1E_jjS1G_bEUljE0_EEESZ_S10_S11_S18_S1C_S1E_T6_T7_T9_mT8_S1G_bDpT10_ENKUlT_T0_E_clISt17integral_constantIbLb1EES1U_EEDaS1P_S1Q_EUlS1P_E_NS1_11comp_targetILNS1_3genE10ELNS1_11target_archE1200ELNS1_3gpuE4ELNS1_3repE0EEENS1_30default_config_static_selectorELNS0_4arch9wavefront6targetE0EEEvS12_,comdat
.Lfunc_end1266:
	.size	_ZN7rocprim17ROCPRIM_400000_NS6detail17trampoline_kernelINS0_13select_configILj256ELj13ELNS0_17block_load_methodE3ELS4_3ELS4_3ELNS0_20block_scan_algorithmE0ELj4294967295EEENS1_25partition_config_selectorILNS1_17partition_subalgoE4EjNS0_10empty_typeEbEEZZNS1_14partition_implILS8_4ELb0ES6_15HIP_vector_typeIjLj2EENS0_17counting_iteratorIjlEEPS9_SG_NS0_5tupleIJPjSI_NS0_16reverse_iteratorISI_EEEEENSH_IJSG_SG_SG_EEES9_SI_JZNS1_25segmented_radix_sort_implINS0_14default_configELb1EPKfPfPKlPlN2at6native12_GLOBAL__N_18offset_tEEE10hipError_tPvRmT1_PNSt15iterator_traitsIS12_E10value_typeET2_T3_PNS13_IS18_E10value_typeET4_jRbjT5_S1E_jjP12ihipStream_tbEUljE_ZNSN_ISO_Lb1ESQ_SR_ST_SU_SY_EESZ_S10_S11_S12_S16_S17_S18_S1B_S1C_jS1D_jS1E_S1E_jjS1G_bEUljE0_EEESZ_S10_S11_S18_S1C_S1E_T6_T7_T9_mT8_S1G_bDpT10_ENKUlT_T0_E_clISt17integral_constantIbLb1EES1U_EEDaS1P_S1Q_EUlS1P_E_NS1_11comp_targetILNS1_3genE10ELNS1_11target_archE1200ELNS1_3gpuE4ELNS1_3repE0EEENS1_30default_config_static_selectorELNS0_4arch9wavefront6targetE0EEEvS12_, .Lfunc_end1266-_ZN7rocprim17ROCPRIM_400000_NS6detail17trampoline_kernelINS0_13select_configILj256ELj13ELNS0_17block_load_methodE3ELS4_3ELS4_3ELNS0_20block_scan_algorithmE0ELj4294967295EEENS1_25partition_config_selectorILNS1_17partition_subalgoE4EjNS0_10empty_typeEbEEZZNS1_14partition_implILS8_4ELb0ES6_15HIP_vector_typeIjLj2EENS0_17counting_iteratorIjlEEPS9_SG_NS0_5tupleIJPjSI_NS0_16reverse_iteratorISI_EEEEENSH_IJSG_SG_SG_EEES9_SI_JZNS1_25segmented_radix_sort_implINS0_14default_configELb1EPKfPfPKlPlN2at6native12_GLOBAL__N_18offset_tEEE10hipError_tPvRmT1_PNSt15iterator_traitsIS12_E10value_typeET2_T3_PNS13_IS18_E10value_typeET4_jRbjT5_S1E_jjP12ihipStream_tbEUljE_ZNSN_ISO_Lb1ESQ_SR_ST_SU_SY_EESZ_S10_S11_S12_S16_S17_S18_S1B_S1C_jS1D_jS1E_S1E_jjS1G_bEUljE0_EEESZ_S10_S11_S18_S1C_S1E_T6_T7_T9_mT8_S1G_bDpT10_ENKUlT_T0_E_clISt17integral_constantIbLb1EES1U_EEDaS1P_S1Q_EUlS1P_E_NS1_11comp_targetILNS1_3genE10ELNS1_11target_archE1200ELNS1_3gpuE4ELNS1_3repE0EEENS1_30default_config_static_selectorELNS0_4arch9wavefront6targetE0EEEvS12_
                                        ; -- End function
	.set _ZN7rocprim17ROCPRIM_400000_NS6detail17trampoline_kernelINS0_13select_configILj256ELj13ELNS0_17block_load_methodE3ELS4_3ELS4_3ELNS0_20block_scan_algorithmE0ELj4294967295EEENS1_25partition_config_selectorILNS1_17partition_subalgoE4EjNS0_10empty_typeEbEEZZNS1_14partition_implILS8_4ELb0ES6_15HIP_vector_typeIjLj2EENS0_17counting_iteratorIjlEEPS9_SG_NS0_5tupleIJPjSI_NS0_16reverse_iteratorISI_EEEEENSH_IJSG_SG_SG_EEES9_SI_JZNS1_25segmented_radix_sort_implINS0_14default_configELb1EPKfPfPKlPlN2at6native12_GLOBAL__N_18offset_tEEE10hipError_tPvRmT1_PNSt15iterator_traitsIS12_E10value_typeET2_T3_PNS13_IS18_E10value_typeET4_jRbjT5_S1E_jjP12ihipStream_tbEUljE_ZNSN_ISO_Lb1ESQ_SR_ST_SU_SY_EESZ_S10_S11_S12_S16_S17_S18_S1B_S1C_jS1D_jS1E_S1E_jjS1G_bEUljE0_EEESZ_S10_S11_S18_S1C_S1E_T6_T7_T9_mT8_S1G_bDpT10_ENKUlT_T0_E_clISt17integral_constantIbLb1EES1U_EEDaS1P_S1Q_EUlS1P_E_NS1_11comp_targetILNS1_3genE10ELNS1_11target_archE1200ELNS1_3gpuE4ELNS1_3repE0EEENS1_30default_config_static_selectorELNS0_4arch9wavefront6targetE0EEEvS12_.num_vgpr, 0
	.set _ZN7rocprim17ROCPRIM_400000_NS6detail17trampoline_kernelINS0_13select_configILj256ELj13ELNS0_17block_load_methodE3ELS4_3ELS4_3ELNS0_20block_scan_algorithmE0ELj4294967295EEENS1_25partition_config_selectorILNS1_17partition_subalgoE4EjNS0_10empty_typeEbEEZZNS1_14partition_implILS8_4ELb0ES6_15HIP_vector_typeIjLj2EENS0_17counting_iteratorIjlEEPS9_SG_NS0_5tupleIJPjSI_NS0_16reverse_iteratorISI_EEEEENSH_IJSG_SG_SG_EEES9_SI_JZNS1_25segmented_radix_sort_implINS0_14default_configELb1EPKfPfPKlPlN2at6native12_GLOBAL__N_18offset_tEEE10hipError_tPvRmT1_PNSt15iterator_traitsIS12_E10value_typeET2_T3_PNS13_IS18_E10value_typeET4_jRbjT5_S1E_jjP12ihipStream_tbEUljE_ZNSN_ISO_Lb1ESQ_SR_ST_SU_SY_EESZ_S10_S11_S12_S16_S17_S18_S1B_S1C_jS1D_jS1E_S1E_jjS1G_bEUljE0_EEESZ_S10_S11_S18_S1C_S1E_T6_T7_T9_mT8_S1G_bDpT10_ENKUlT_T0_E_clISt17integral_constantIbLb1EES1U_EEDaS1P_S1Q_EUlS1P_E_NS1_11comp_targetILNS1_3genE10ELNS1_11target_archE1200ELNS1_3gpuE4ELNS1_3repE0EEENS1_30default_config_static_selectorELNS0_4arch9wavefront6targetE0EEEvS12_.num_agpr, 0
	.set _ZN7rocprim17ROCPRIM_400000_NS6detail17trampoline_kernelINS0_13select_configILj256ELj13ELNS0_17block_load_methodE3ELS4_3ELS4_3ELNS0_20block_scan_algorithmE0ELj4294967295EEENS1_25partition_config_selectorILNS1_17partition_subalgoE4EjNS0_10empty_typeEbEEZZNS1_14partition_implILS8_4ELb0ES6_15HIP_vector_typeIjLj2EENS0_17counting_iteratorIjlEEPS9_SG_NS0_5tupleIJPjSI_NS0_16reverse_iteratorISI_EEEEENSH_IJSG_SG_SG_EEES9_SI_JZNS1_25segmented_radix_sort_implINS0_14default_configELb1EPKfPfPKlPlN2at6native12_GLOBAL__N_18offset_tEEE10hipError_tPvRmT1_PNSt15iterator_traitsIS12_E10value_typeET2_T3_PNS13_IS18_E10value_typeET4_jRbjT5_S1E_jjP12ihipStream_tbEUljE_ZNSN_ISO_Lb1ESQ_SR_ST_SU_SY_EESZ_S10_S11_S12_S16_S17_S18_S1B_S1C_jS1D_jS1E_S1E_jjS1G_bEUljE0_EEESZ_S10_S11_S18_S1C_S1E_T6_T7_T9_mT8_S1G_bDpT10_ENKUlT_T0_E_clISt17integral_constantIbLb1EES1U_EEDaS1P_S1Q_EUlS1P_E_NS1_11comp_targetILNS1_3genE10ELNS1_11target_archE1200ELNS1_3gpuE4ELNS1_3repE0EEENS1_30default_config_static_selectorELNS0_4arch9wavefront6targetE0EEEvS12_.numbered_sgpr, 0
	.set _ZN7rocprim17ROCPRIM_400000_NS6detail17trampoline_kernelINS0_13select_configILj256ELj13ELNS0_17block_load_methodE3ELS4_3ELS4_3ELNS0_20block_scan_algorithmE0ELj4294967295EEENS1_25partition_config_selectorILNS1_17partition_subalgoE4EjNS0_10empty_typeEbEEZZNS1_14partition_implILS8_4ELb0ES6_15HIP_vector_typeIjLj2EENS0_17counting_iteratorIjlEEPS9_SG_NS0_5tupleIJPjSI_NS0_16reverse_iteratorISI_EEEEENSH_IJSG_SG_SG_EEES9_SI_JZNS1_25segmented_radix_sort_implINS0_14default_configELb1EPKfPfPKlPlN2at6native12_GLOBAL__N_18offset_tEEE10hipError_tPvRmT1_PNSt15iterator_traitsIS12_E10value_typeET2_T3_PNS13_IS18_E10value_typeET4_jRbjT5_S1E_jjP12ihipStream_tbEUljE_ZNSN_ISO_Lb1ESQ_SR_ST_SU_SY_EESZ_S10_S11_S12_S16_S17_S18_S1B_S1C_jS1D_jS1E_S1E_jjS1G_bEUljE0_EEESZ_S10_S11_S18_S1C_S1E_T6_T7_T9_mT8_S1G_bDpT10_ENKUlT_T0_E_clISt17integral_constantIbLb1EES1U_EEDaS1P_S1Q_EUlS1P_E_NS1_11comp_targetILNS1_3genE10ELNS1_11target_archE1200ELNS1_3gpuE4ELNS1_3repE0EEENS1_30default_config_static_selectorELNS0_4arch9wavefront6targetE0EEEvS12_.num_named_barrier, 0
	.set _ZN7rocprim17ROCPRIM_400000_NS6detail17trampoline_kernelINS0_13select_configILj256ELj13ELNS0_17block_load_methodE3ELS4_3ELS4_3ELNS0_20block_scan_algorithmE0ELj4294967295EEENS1_25partition_config_selectorILNS1_17partition_subalgoE4EjNS0_10empty_typeEbEEZZNS1_14partition_implILS8_4ELb0ES6_15HIP_vector_typeIjLj2EENS0_17counting_iteratorIjlEEPS9_SG_NS0_5tupleIJPjSI_NS0_16reverse_iteratorISI_EEEEENSH_IJSG_SG_SG_EEES9_SI_JZNS1_25segmented_radix_sort_implINS0_14default_configELb1EPKfPfPKlPlN2at6native12_GLOBAL__N_18offset_tEEE10hipError_tPvRmT1_PNSt15iterator_traitsIS12_E10value_typeET2_T3_PNS13_IS18_E10value_typeET4_jRbjT5_S1E_jjP12ihipStream_tbEUljE_ZNSN_ISO_Lb1ESQ_SR_ST_SU_SY_EESZ_S10_S11_S12_S16_S17_S18_S1B_S1C_jS1D_jS1E_S1E_jjS1G_bEUljE0_EEESZ_S10_S11_S18_S1C_S1E_T6_T7_T9_mT8_S1G_bDpT10_ENKUlT_T0_E_clISt17integral_constantIbLb1EES1U_EEDaS1P_S1Q_EUlS1P_E_NS1_11comp_targetILNS1_3genE10ELNS1_11target_archE1200ELNS1_3gpuE4ELNS1_3repE0EEENS1_30default_config_static_selectorELNS0_4arch9wavefront6targetE0EEEvS12_.private_seg_size, 0
	.set _ZN7rocprim17ROCPRIM_400000_NS6detail17trampoline_kernelINS0_13select_configILj256ELj13ELNS0_17block_load_methodE3ELS4_3ELS4_3ELNS0_20block_scan_algorithmE0ELj4294967295EEENS1_25partition_config_selectorILNS1_17partition_subalgoE4EjNS0_10empty_typeEbEEZZNS1_14partition_implILS8_4ELb0ES6_15HIP_vector_typeIjLj2EENS0_17counting_iteratorIjlEEPS9_SG_NS0_5tupleIJPjSI_NS0_16reverse_iteratorISI_EEEEENSH_IJSG_SG_SG_EEES9_SI_JZNS1_25segmented_radix_sort_implINS0_14default_configELb1EPKfPfPKlPlN2at6native12_GLOBAL__N_18offset_tEEE10hipError_tPvRmT1_PNSt15iterator_traitsIS12_E10value_typeET2_T3_PNS13_IS18_E10value_typeET4_jRbjT5_S1E_jjP12ihipStream_tbEUljE_ZNSN_ISO_Lb1ESQ_SR_ST_SU_SY_EESZ_S10_S11_S12_S16_S17_S18_S1B_S1C_jS1D_jS1E_S1E_jjS1G_bEUljE0_EEESZ_S10_S11_S18_S1C_S1E_T6_T7_T9_mT8_S1G_bDpT10_ENKUlT_T0_E_clISt17integral_constantIbLb1EES1U_EEDaS1P_S1Q_EUlS1P_E_NS1_11comp_targetILNS1_3genE10ELNS1_11target_archE1200ELNS1_3gpuE4ELNS1_3repE0EEENS1_30default_config_static_selectorELNS0_4arch9wavefront6targetE0EEEvS12_.uses_vcc, 0
	.set _ZN7rocprim17ROCPRIM_400000_NS6detail17trampoline_kernelINS0_13select_configILj256ELj13ELNS0_17block_load_methodE3ELS4_3ELS4_3ELNS0_20block_scan_algorithmE0ELj4294967295EEENS1_25partition_config_selectorILNS1_17partition_subalgoE4EjNS0_10empty_typeEbEEZZNS1_14partition_implILS8_4ELb0ES6_15HIP_vector_typeIjLj2EENS0_17counting_iteratorIjlEEPS9_SG_NS0_5tupleIJPjSI_NS0_16reverse_iteratorISI_EEEEENSH_IJSG_SG_SG_EEES9_SI_JZNS1_25segmented_radix_sort_implINS0_14default_configELb1EPKfPfPKlPlN2at6native12_GLOBAL__N_18offset_tEEE10hipError_tPvRmT1_PNSt15iterator_traitsIS12_E10value_typeET2_T3_PNS13_IS18_E10value_typeET4_jRbjT5_S1E_jjP12ihipStream_tbEUljE_ZNSN_ISO_Lb1ESQ_SR_ST_SU_SY_EESZ_S10_S11_S12_S16_S17_S18_S1B_S1C_jS1D_jS1E_S1E_jjS1G_bEUljE0_EEESZ_S10_S11_S18_S1C_S1E_T6_T7_T9_mT8_S1G_bDpT10_ENKUlT_T0_E_clISt17integral_constantIbLb1EES1U_EEDaS1P_S1Q_EUlS1P_E_NS1_11comp_targetILNS1_3genE10ELNS1_11target_archE1200ELNS1_3gpuE4ELNS1_3repE0EEENS1_30default_config_static_selectorELNS0_4arch9wavefront6targetE0EEEvS12_.uses_flat_scratch, 0
	.set _ZN7rocprim17ROCPRIM_400000_NS6detail17trampoline_kernelINS0_13select_configILj256ELj13ELNS0_17block_load_methodE3ELS4_3ELS4_3ELNS0_20block_scan_algorithmE0ELj4294967295EEENS1_25partition_config_selectorILNS1_17partition_subalgoE4EjNS0_10empty_typeEbEEZZNS1_14partition_implILS8_4ELb0ES6_15HIP_vector_typeIjLj2EENS0_17counting_iteratorIjlEEPS9_SG_NS0_5tupleIJPjSI_NS0_16reverse_iteratorISI_EEEEENSH_IJSG_SG_SG_EEES9_SI_JZNS1_25segmented_radix_sort_implINS0_14default_configELb1EPKfPfPKlPlN2at6native12_GLOBAL__N_18offset_tEEE10hipError_tPvRmT1_PNSt15iterator_traitsIS12_E10value_typeET2_T3_PNS13_IS18_E10value_typeET4_jRbjT5_S1E_jjP12ihipStream_tbEUljE_ZNSN_ISO_Lb1ESQ_SR_ST_SU_SY_EESZ_S10_S11_S12_S16_S17_S18_S1B_S1C_jS1D_jS1E_S1E_jjS1G_bEUljE0_EEESZ_S10_S11_S18_S1C_S1E_T6_T7_T9_mT8_S1G_bDpT10_ENKUlT_T0_E_clISt17integral_constantIbLb1EES1U_EEDaS1P_S1Q_EUlS1P_E_NS1_11comp_targetILNS1_3genE10ELNS1_11target_archE1200ELNS1_3gpuE4ELNS1_3repE0EEENS1_30default_config_static_selectorELNS0_4arch9wavefront6targetE0EEEvS12_.has_dyn_sized_stack, 0
	.set _ZN7rocprim17ROCPRIM_400000_NS6detail17trampoline_kernelINS0_13select_configILj256ELj13ELNS0_17block_load_methodE3ELS4_3ELS4_3ELNS0_20block_scan_algorithmE0ELj4294967295EEENS1_25partition_config_selectorILNS1_17partition_subalgoE4EjNS0_10empty_typeEbEEZZNS1_14partition_implILS8_4ELb0ES6_15HIP_vector_typeIjLj2EENS0_17counting_iteratorIjlEEPS9_SG_NS0_5tupleIJPjSI_NS0_16reverse_iteratorISI_EEEEENSH_IJSG_SG_SG_EEES9_SI_JZNS1_25segmented_radix_sort_implINS0_14default_configELb1EPKfPfPKlPlN2at6native12_GLOBAL__N_18offset_tEEE10hipError_tPvRmT1_PNSt15iterator_traitsIS12_E10value_typeET2_T3_PNS13_IS18_E10value_typeET4_jRbjT5_S1E_jjP12ihipStream_tbEUljE_ZNSN_ISO_Lb1ESQ_SR_ST_SU_SY_EESZ_S10_S11_S12_S16_S17_S18_S1B_S1C_jS1D_jS1E_S1E_jjS1G_bEUljE0_EEESZ_S10_S11_S18_S1C_S1E_T6_T7_T9_mT8_S1G_bDpT10_ENKUlT_T0_E_clISt17integral_constantIbLb1EES1U_EEDaS1P_S1Q_EUlS1P_E_NS1_11comp_targetILNS1_3genE10ELNS1_11target_archE1200ELNS1_3gpuE4ELNS1_3repE0EEENS1_30default_config_static_selectorELNS0_4arch9wavefront6targetE0EEEvS12_.has_recursion, 0
	.set _ZN7rocprim17ROCPRIM_400000_NS6detail17trampoline_kernelINS0_13select_configILj256ELj13ELNS0_17block_load_methodE3ELS4_3ELS4_3ELNS0_20block_scan_algorithmE0ELj4294967295EEENS1_25partition_config_selectorILNS1_17partition_subalgoE4EjNS0_10empty_typeEbEEZZNS1_14partition_implILS8_4ELb0ES6_15HIP_vector_typeIjLj2EENS0_17counting_iteratorIjlEEPS9_SG_NS0_5tupleIJPjSI_NS0_16reverse_iteratorISI_EEEEENSH_IJSG_SG_SG_EEES9_SI_JZNS1_25segmented_radix_sort_implINS0_14default_configELb1EPKfPfPKlPlN2at6native12_GLOBAL__N_18offset_tEEE10hipError_tPvRmT1_PNSt15iterator_traitsIS12_E10value_typeET2_T3_PNS13_IS18_E10value_typeET4_jRbjT5_S1E_jjP12ihipStream_tbEUljE_ZNSN_ISO_Lb1ESQ_SR_ST_SU_SY_EESZ_S10_S11_S12_S16_S17_S18_S1B_S1C_jS1D_jS1E_S1E_jjS1G_bEUljE0_EEESZ_S10_S11_S18_S1C_S1E_T6_T7_T9_mT8_S1G_bDpT10_ENKUlT_T0_E_clISt17integral_constantIbLb1EES1U_EEDaS1P_S1Q_EUlS1P_E_NS1_11comp_targetILNS1_3genE10ELNS1_11target_archE1200ELNS1_3gpuE4ELNS1_3repE0EEENS1_30default_config_static_selectorELNS0_4arch9wavefront6targetE0EEEvS12_.has_indirect_call, 0
	.section	.AMDGPU.csdata,"",@progbits
; Kernel info:
; codeLenInByte = 0
; TotalNumSgprs: 0
; NumVgprs: 0
; ScratchSize: 0
; MemoryBound: 0
; FloatMode: 240
; IeeeMode: 1
; LDSByteSize: 0 bytes/workgroup (compile time only)
; SGPRBlocks: 0
; VGPRBlocks: 0
; NumSGPRsForWavesPerEU: 1
; NumVGPRsForWavesPerEU: 1
; Occupancy: 16
; WaveLimiterHint : 0
; COMPUTE_PGM_RSRC2:SCRATCH_EN: 0
; COMPUTE_PGM_RSRC2:USER_SGPR: 6
; COMPUTE_PGM_RSRC2:TRAP_HANDLER: 0
; COMPUTE_PGM_RSRC2:TGID_X_EN: 1
; COMPUTE_PGM_RSRC2:TGID_Y_EN: 0
; COMPUTE_PGM_RSRC2:TGID_Z_EN: 0
; COMPUTE_PGM_RSRC2:TIDIG_COMP_CNT: 0
	.section	.text._ZN7rocprim17ROCPRIM_400000_NS6detail17trampoline_kernelINS0_13select_configILj256ELj13ELNS0_17block_load_methodE3ELS4_3ELS4_3ELNS0_20block_scan_algorithmE0ELj4294967295EEENS1_25partition_config_selectorILNS1_17partition_subalgoE4EjNS0_10empty_typeEbEEZZNS1_14partition_implILS8_4ELb0ES6_15HIP_vector_typeIjLj2EENS0_17counting_iteratorIjlEEPS9_SG_NS0_5tupleIJPjSI_NS0_16reverse_iteratorISI_EEEEENSH_IJSG_SG_SG_EEES9_SI_JZNS1_25segmented_radix_sort_implINS0_14default_configELb1EPKfPfPKlPlN2at6native12_GLOBAL__N_18offset_tEEE10hipError_tPvRmT1_PNSt15iterator_traitsIS12_E10value_typeET2_T3_PNS13_IS18_E10value_typeET4_jRbjT5_S1E_jjP12ihipStream_tbEUljE_ZNSN_ISO_Lb1ESQ_SR_ST_SU_SY_EESZ_S10_S11_S12_S16_S17_S18_S1B_S1C_jS1D_jS1E_S1E_jjS1G_bEUljE0_EEESZ_S10_S11_S18_S1C_S1E_T6_T7_T9_mT8_S1G_bDpT10_ENKUlT_T0_E_clISt17integral_constantIbLb1EES1U_EEDaS1P_S1Q_EUlS1P_E_NS1_11comp_targetILNS1_3genE9ELNS1_11target_archE1100ELNS1_3gpuE3ELNS1_3repE0EEENS1_30default_config_static_selectorELNS0_4arch9wavefront6targetE0EEEvS12_,"axG",@progbits,_ZN7rocprim17ROCPRIM_400000_NS6detail17trampoline_kernelINS0_13select_configILj256ELj13ELNS0_17block_load_methodE3ELS4_3ELS4_3ELNS0_20block_scan_algorithmE0ELj4294967295EEENS1_25partition_config_selectorILNS1_17partition_subalgoE4EjNS0_10empty_typeEbEEZZNS1_14partition_implILS8_4ELb0ES6_15HIP_vector_typeIjLj2EENS0_17counting_iteratorIjlEEPS9_SG_NS0_5tupleIJPjSI_NS0_16reverse_iteratorISI_EEEEENSH_IJSG_SG_SG_EEES9_SI_JZNS1_25segmented_radix_sort_implINS0_14default_configELb1EPKfPfPKlPlN2at6native12_GLOBAL__N_18offset_tEEE10hipError_tPvRmT1_PNSt15iterator_traitsIS12_E10value_typeET2_T3_PNS13_IS18_E10value_typeET4_jRbjT5_S1E_jjP12ihipStream_tbEUljE_ZNSN_ISO_Lb1ESQ_SR_ST_SU_SY_EESZ_S10_S11_S12_S16_S17_S18_S1B_S1C_jS1D_jS1E_S1E_jjS1G_bEUljE0_EEESZ_S10_S11_S18_S1C_S1E_T6_T7_T9_mT8_S1G_bDpT10_ENKUlT_T0_E_clISt17integral_constantIbLb1EES1U_EEDaS1P_S1Q_EUlS1P_E_NS1_11comp_targetILNS1_3genE9ELNS1_11target_archE1100ELNS1_3gpuE3ELNS1_3repE0EEENS1_30default_config_static_selectorELNS0_4arch9wavefront6targetE0EEEvS12_,comdat
	.globl	_ZN7rocprim17ROCPRIM_400000_NS6detail17trampoline_kernelINS0_13select_configILj256ELj13ELNS0_17block_load_methodE3ELS4_3ELS4_3ELNS0_20block_scan_algorithmE0ELj4294967295EEENS1_25partition_config_selectorILNS1_17partition_subalgoE4EjNS0_10empty_typeEbEEZZNS1_14partition_implILS8_4ELb0ES6_15HIP_vector_typeIjLj2EENS0_17counting_iteratorIjlEEPS9_SG_NS0_5tupleIJPjSI_NS0_16reverse_iteratorISI_EEEEENSH_IJSG_SG_SG_EEES9_SI_JZNS1_25segmented_radix_sort_implINS0_14default_configELb1EPKfPfPKlPlN2at6native12_GLOBAL__N_18offset_tEEE10hipError_tPvRmT1_PNSt15iterator_traitsIS12_E10value_typeET2_T3_PNS13_IS18_E10value_typeET4_jRbjT5_S1E_jjP12ihipStream_tbEUljE_ZNSN_ISO_Lb1ESQ_SR_ST_SU_SY_EESZ_S10_S11_S12_S16_S17_S18_S1B_S1C_jS1D_jS1E_S1E_jjS1G_bEUljE0_EEESZ_S10_S11_S18_S1C_S1E_T6_T7_T9_mT8_S1G_bDpT10_ENKUlT_T0_E_clISt17integral_constantIbLb1EES1U_EEDaS1P_S1Q_EUlS1P_E_NS1_11comp_targetILNS1_3genE9ELNS1_11target_archE1100ELNS1_3gpuE3ELNS1_3repE0EEENS1_30default_config_static_selectorELNS0_4arch9wavefront6targetE0EEEvS12_ ; -- Begin function _ZN7rocprim17ROCPRIM_400000_NS6detail17trampoline_kernelINS0_13select_configILj256ELj13ELNS0_17block_load_methodE3ELS4_3ELS4_3ELNS0_20block_scan_algorithmE0ELj4294967295EEENS1_25partition_config_selectorILNS1_17partition_subalgoE4EjNS0_10empty_typeEbEEZZNS1_14partition_implILS8_4ELb0ES6_15HIP_vector_typeIjLj2EENS0_17counting_iteratorIjlEEPS9_SG_NS0_5tupleIJPjSI_NS0_16reverse_iteratorISI_EEEEENSH_IJSG_SG_SG_EEES9_SI_JZNS1_25segmented_radix_sort_implINS0_14default_configELb1EPKfPfPKlPlN2at6native12_GLOBAL__N_18offset_tEEE10hipError_tPvRmT1_PNSt15iterator_traitsIS12_E10value_typeET2_T3_PNS13_IS18_E10value_typeET4_jRbjT5_S1E_jjP12ihipStream_tbEUljE_ZNSN_ISO_Lb1ESQ_SR_ST_SU_SY_EESZ_S10_S11_S12_S16_S17_S18_S1B_S1C_jS1D_jS1E_S1E_jjS1G_bEUljE0_EEESZ_S10_S11_S18_S1C_S1E_T6_T7_T9_mT8_S1G_bDpT10_ENKUlT_T0_E_clISt17integral_constantIbLb1EES1U_EEDaS1P_S1Q_EUlS1P_E_NS1_11comp_targetILNS1_3genE9ELNS1_11target_archE1100ELNS1_3gpuE3ELNS1_3repE0EEENS1_30default_config_static_selectorELNS0_4arch9wavefront6targetE0EEEvS12_
	.p2align	8
	.type	_ZN7rocprim17ROCPRIM_400000_NS6detail17trampoline_kernelINS0_13select_configILj256ELj13ELNS0_17block_load_methodE3ELS4_3ELS4_3ELNS0_20block_scan_algorithmE0ELj4294967295EEENS1_25partition_config_selectorILNS1_17partition_subalgoE4EjNS0_10empty_typeEbEEZZNS1_14partition_implILS8_4ELb0ES6_15HIP_vector_typeIjLj2EENS0_17counting_iteratorIjlEEPS9_SG_NS0_5tupleIJPjSI_NS0_16reverse_iteratorISI_EEEEENSH_IJSG_SG_SG_EEES9_SI_JZNS1_25segmented_radix_sort_implINS0_14default_configELb1EPKfPfPKlPlN2at6native12_GLOBAL__N_18offset_tEEE10hipError_tPvRmT1_PNSt15iterator_traitsIS12_E10value_typeET2_T3_PNS13_IS18_E10value_typeET4_jRbjT5_S1E_jjP12ihipStream_tbEUljE_ZNSN_ISO_Lb1ESQ_SR_ST_SU_SY_EESZ_S10_S11_S12_S16_S17_S18_S1B_S1C_jS1D_jS1E_S1E_jjS1G_bEUljE0_EEESZ_S10_S11_S18_S1C_S1E_T6_T7_T9_mT8_S1G_bDpT10_ENKUlT_T0_E_clISt17integral_constantIbLb1EES1U_EEDaS1P_S1Q_EUlS1P_E_NS1_11comp_targetILNS1_3genE9ELNS1_11target_archE1100ELNS1_3gpuE3ELNS1_3repE0EEENS1_30default_config_static_selectorELNS0_4arch9wavefront6targetE0EEEvS12_,@function
_ZN7rocprim17ROCPRIM_400000_NS6detail17trampoline_kernelINS0_13select_configILj256ELj13ELNS0_17block_load_methodE3ELS4_3ELS4_3ELNS0_20block_scan_algorithmE0ELj4294967295EEENS1_25partition_config_selectorILNS1_17partition_subalgoE4EjNS0_10empty_typeEbEEZZNS1_14partition_implILS8_4ELb0ES6_15HIP_vector_typeIjLj2EENS0_17counting_iteratorIjlEEPS9_SG_NS0_5tupleIJPjSI_NS0_16reverse_iteratorISI_EEEEENSH_IJSG_SG_SG_EEES9_SI_JZNS1_25segmented_radix_sort_implINS0_14default_configELb1EPKfPfPKlPlN2at6native12_GLOBAL__N_18offset_tEEE10hipError_tPvRmT1_PNSt15iterator_traitsIS12_E10value_typeET2_T3_PNS13_IS18_E10value_typeET4_jRbjT5_S1E_jjP12ihipStream_tbEUljE_ZNSN_ISO_Lb1ESQ_SR_ST_SU_SY_EESZ_S10_S11_S12_S16_S17_S18_S1B_S1C_jS1D_jS1E_S1E_jjS1G_bEUljE0_EEESZ_S10_S11_S18_S1C_S1E_T6_T7_T9_mT8_S1G_bDpT10_ENKUlT_T0_E_clISt17integral_constantIbLb1EES1U_EEDaS1P_S1Q_EUlS1P_E_NS1_11comp_targetILNS1_3genE9ELNS1_11target_archE1100ELNS1_3gpuE3ELNS1_3repE0EEENS1_30default_config_static_selectorELNS0_4arch9wavefront6targetE0EEEvS12_: ; @_ZN7rocprim17ROCPRIM_400000_NS6detail17trampoline_kernelINS0_13select_configILj256ELj13ELNS0_17block_load_methodE3ELS4_3ELS4_3ELNS0_20block_scan_algorithmE0ELj4294967295EEENS1_25partition_config_selectorILNS1_17partition_subalgoE4EjNS0_10empty_typeEbEEZZNS1_14partition_implILS8_4ELb0ES6_15HIP_vector_typeIjLj2EENS0_17counting_iteratorIjlEEPS9_SG_NS0_5tupleIJPjSI_NS0_16reverse_iteratorISI_EEEEENSH_IJSG_SG_SG_EEES9_SI_JZNS1_25segmented_radix_sort_implINS0_14default_configELb1EPKfPfPKlPlN2at6native12_GLOBAL__N_18offset_tEEE10hipError_tPvRmT1_PNSt15iterator_traitsIS12_E10value_typeET2_T3_PNS13_IS18_E10value_typeET4_jRbjT5_S1E_jjP12ihipStream_tbEUljE_ZNSN_ISO_Lb1ESQ_SR_ST_SU_SY_EESZ_S10_S11_S12_S16_S17_S18_S1B_S1C_jS1D_jS1E_S1E_jjS1G_bEUljE0_EEESZ_S10_S11_S18_S1C_S1E_T6_T7_T9_mT8_S1G_bDpT10_ENKUlT_T0_E_clISt17integral_constantIbLb1EES1U_EEDaS1P_S1Q_EUlS1P_E_NS1_11comp_targetILNS1_3genE9ELNS1_11target_archE1100ELNS1_3gpuE3ELNS1_3repE0EEENS1_30default_config_static_selectorELNS0_4arch9wavefront6targetE0EEEvS12_
; %bb.0:
	.section	.rodata,"a",@progbits
	.p2align	6, 0x0
	.amdhsa_kernel _ZN7rocprim17ROCPRIM_400000_NS6detail17trampoline_kernelINS0_13select_configILj256ELj13ELNS0_17block_load_methodE3ELS4_3ELS4_3ELNS0_20block_scan_algorithmE0ELj4294967295EEENS1_25partition_config_selectorILNS1_17partition_subalgoE4EjNS0_10empty_typeEbEEZZNS1_14partition_implILS8_4ELb0ES6_15HIP_vector_typeIjLj2EENS0_17counting_iteratorIjlEEPS9_SG_NS0_5tupleIJPjSI_NS0_16reverse_iteratorISI_EEEEENSH_IJSG_SG_SG_EEES9_SI_JZNS1_25segmented_radix_sort_implINS0_14default_configELb1EPKfPfPKlPlN2at6native12_GLOBAL__N_18offset_tEEE10hipError_tPvRmT1_PNSt15iterator_traitsIS12_E10value_typeET2_T3_PNS13_IS18_E10value_typeET4_jRbjT5_S1E_jjP12ihipStream_tbEUljE_ZNSN_ISO_Lb1ESQ_SR_ST_SU_SY_EESZ_S10_S11_S12_S16_S17_S18_S1B_S1C_jS1D_jS1E_S1E_jjS1G_bEUljE0_EEESZ_S10_S11_S18_S1C_S1E_T6_T7_T9_mT8_S1G_bDpT10_ENKUlT_T0_E_clISt17integral_constantIbLb1EES1U_EEDaS1P_S1Q_EUlS1P_E_NS1_11comp_targetILNS1_3genE9ELNS1_11target_archE1100ELNS1_3gpuE3ELNS1_3repE0EEENS1_30default_config_static_selectorELNS0_4arch9wavefront6targetE0EEEvS12_
		.amdhsa_group_segment_fixed_size 0
		.amdhsa_private_segment_fixed_size 0
		.amdhsa_kernarg_size 184
		.amdhsa_user_sgpr_count 6
		.amdhsa_user_sgpr_private_segment_buffer 1
		.amdhsa_user_sgpr_dispatch_ptr 0
		.amdhsa_user_sgpr_queue_ptr 0
		.amdhsa_user_sgpr_kernarg_segment_ptr 1
		.amdhsa_user_sgpr_dispatch_id 0
		.amdhsa_user_sgpr_flat_scratch_init 0
		.amdhsa_user_sgpr_private_segment_size 0
		.amdhsa_wavefront_size32 1
		.amdhsa_uses_dynamic_stack 0
		.amdhsa_system_sgpr_private_segment_wavefront_offset 0
		.amdhsa_system_sgpr_workgroup_id_x 1
		.amdhsa_system_sgpr_workgroup_id_y 0
		.amdhsa_system_sgpr_workgroup_id_z 0
		.amdhsa_system_sgpr_workgroup_info 0
		.amdhsa_system_vgpr_workitem_id 0
		.amdhsa_next_free_vgpr 1
		.amdhsa_next_free_sgpr 1
		.amdhsa_reserve_vcc 0
		.amdhsa_reserve_flat_scratch 0
		.amdhsa_float_round_mode_32 0
		.amdhsa_float_round_mode_16_64 0
		.amdhsa_float_denorm_mode_32 3
		.amdhsa_float_denorm_mode_16_64 3
		.amdhsa_dx10_clamp 1
		.amdhsa_ieee_mode 1
		.amdhsa_fp16_overflow 0
		.amdhsa_workgroup_processor_mode 1
		.amdhsa_memory_ordered 1
		.amdhsa_forward_progress 1
		.amdhsa_shared_vgpr_count 0
		.amdhsa_exception_fp_ieee_invalid_op 0
		.amdhsa_exception_fp_denorm_src 0
		.amdhsa_exception_fp_ieee_div_zero 0
		.amdhsa_exception_fp_ieee_overflow 0
		.amdhsa_exception_fp_ieee_underflow 0
		.amdhsa_exception_fp_ieee_inexact 0
		.amdhsa_exception_int_div_zero 0
	.end_amdhsa_kernel
	.section	.text._ZN7rocprim17ROCPRIM_400000_NS6detail17trampoline_kernelINS0_13select_configILj256ELj13ELNS0_17block_load_methodE3ELS4_3ELS4_3ELNS0_20block_scan_algorithmE0ELj4294967295EEENS1_25partition_config_selectorILNS1_17partition_subalgoE4EjNS0_10empty_typeEbEEZZNS1_14partition_implILS8_4ELb0ES6_15HIP_vector_typeIjLj2EENS0_17counting_iteratorIjlEEPS9_SG_NS0_5tupleIJPjSI_NS0_16reverse_iteratorISI_EEEEENSH_IJSG_SG_SG_EEES9_SI_JZNS1_25segmented_radix_sort_implINS0_14default_configELb1EPKfPfPKlPlN2at6native12_GLOBAL__N_18offset_tEEE10hipError_tPvRmT1_PNSt15iterator_traitsIS12_E10value_typeET2_T3_PNS13_IS18_E10value_typeET4_jRbjT5_S1E_jjP12ihipStream_tbEUljE_ZNSN_ISO_Lb1ESQ_SR_ST_SU_SY_EESZ_S10_S11_S12_S16_S17_S18_S1B_S1C_jS1D_jS1E_S1E_jjS1G_bEUljE0_EEESZ_S10_S11_S18_S1C_S1E_T6_T7_T9_mT8_S1G_bDpT10_ENKUlT_T0_E_clISt17integral_constantIbLb1EES1U_EEDaS1P_S1Q_EUlS1P_E_NS1_11comp_targetILNS1_3genE9ELNS1_11target_archE1100ELNS1_3gpuE3ELNS1_3repE0EEENS1_30default_config_static_selectorELNS0_4arch9wavefront6targetE0EEEvS12_,"axG",@progbits,_ZN7rocprim17ROCPRIM_400000_NS6detail17trampoline_kernelINS0_13select_configILj256ELj13ELNS0_17block_load_methodE3ELS4_3ELS4_3ELNS0_20block_scan_algorithmE0ELj4294967295EEENS1_25partition_config_selectorILNS1_17partition_subalgoE4EjNS0_10empty_typeEbEEZZNS1_14partition_implILS8_4ELb0ES6_15HIP_vector_typeIjLj2EENS0_17counting_iteratorIjlEEPS9_SG_NS0_5tupleIJPjSI_NS0_16reverse_iteratorISI_EEEEENSH_IJSG_SG_SG_EEES9_SI_JZNS1_25segmented_radix_sort_implINS0_14default_configELb1EPKfPfPKlPlN2at6native12_GLOBAL__N_18offset_tEEE10hipError_tPvRmT1_PNSt15iterator_traitsIS12_E10value_typeET2_T3_PNS13_IS18_E10value_typeET4_jRbjT5_S1E_jjP12ihipStream_tbEUljE_ZNSN_ISO_Lb1ESQ_SR_ST_SU_SY_EESZ_S10_S11_S12_S16_S17_S18_S1B_S1C_jS1D_jS1E_S1E_jjS1G_bEUljE0_EEESZ_S10_S11_S18_S1C_S1E_T6_T7_T9_mT8_S1G_bDpT10_ENKUlT_T0_E_clISt17integral_constantIbLb1EES1U_EEDaS1P_S1Q_EUlS1P_E_NS1_11comp_targetILNS1_3genE9ELNS1_11target_archE1100ELNS1_3gpuE3ELNS1_3repE0EEENS1_30default_config_static_selectorELNS0_4arch9wavefront6targetE0EEEvS12_,comdat
.Lfunc_end1267:
	.size	_ZN7rocprim17ROCPRIM_400000_NS6detail17trampoline_kernelINS0_13select_configILj256ELj13ELNS0_17block_load_methodE3ELS4_3ELS4_3ELNS0_20block_scan_algorithmE0ELj4294967295EEENS1_25partition_config_selectorILNS1_17partition_subalgoE4EjNS0_10empty_typeEbEEZZNS1_14partition_implILS8_4ELb0ES6_15HIP_vector_typeIjLj2EENS0_17counting_iteratorIjlEEPS9_SG_NS0_5tupleIJPjSI_NS0_16reverse_iteratorISI_EEEEENSH_IJSG_SG_SG_EEES9_SI_JZNS1_25segmented_radix_sort_implINS0_14default_configELb1EPKfPfPKlPlN2at6native12_GLOBAL__N_18offset_tEEE10hipError_tPvRmT1_PNSt15iterator_traitsIS12_E10value_typeET2_T3_PNS13_IS18_E10value_typeET4_jRbjT5_S1E_jjP12ihipStream_tbEUljE_ZNSN_ISO_Lb1ESQ_SR_ST_SU_SY_EESZ_S10_S11_S12_S16_S17_S18_S1B_S1C_jS1D_jS1E_S1E_jjS1G_bEUljE0_EEESZ_S10_S11_S18_S1C_S1E_T6_T7_T9_mT8_S1G_bDpT10_ENKUlT_T0_E_clISt17integral_constantIbLb1EES1U_EEDaS1P_S1Q_EUlS1P_E_NS1_11comp_targetILNS1_3genE9ELNS1_11target_archE1100ELNS1_3gpuE3ELNS1_3repE0EEENS1_30default_config_static_selectorELNS0_4arch9wavefront6targetE0EEEvS12_, .Lfunc_end1267-_ZN7rocprim17ROCPRIM_400000_NS6detail17trampoline_kernelINS0_13select_configILj256ELj13ELNS0_17block_load_methodE3ELS4_3ELS4_3ELNS0_20block_scan_algorithmE0ELj4294967295EEENS1_25partition_config_selectorILNS1_17partition_subalgoE4EjNS0_10empty_typeEbEEZZNS1_14partition_implILS8_4ELb0ES6_15HIP_vector_typeIjLj2EENS0_17counting_iteratorIjlEEPS9_SG_NS0_5tupleIJPjSI_NS0_16reverse_iteratorISI_EEEEENSH_IJSG_SG_SG_EEES9_SI_JZNS1_25segmented_radix_sort_implINS0_14default_configELb1EPKfPfPKlPlN2at6native12_GLOBAL__N_18offset_tEEE10hipError_tPvRmT1_PNSt15iterator_traitsIS12_E10value_typeET2_T3_PNS13_IS18_E10value_typeET4_jRbjT5_S1E_jjP12ihipStream_tbEUljE_ZNSN_ISO_Lb1ESQ_SR_ST_SU_SY_EESZ_S10_S11_S12_S16_S17_S18_S1B_S1C_jS1D_jS1E_S1E_jjS1G_bEUljE0_EEESZ_S10_S11_S18_S1C_S1E_T6_T7_T9_mT8_S1G_bDpT10_ENKUlT_T0_E_clISt17integral_constantIbLb1EES1U_EEDaS1P_S1Q_EUlS1P_E_NS1_11comp_targetILNS1_3genE9ELNS1_11target_archE1100ELNS1_3gpuE3ELNS1_3repE0EEENS1_30default_config_static_selectorELNS0_4arch9wavefront6targetE0EEEvS12_
                                        ; -- End function
	.set _ZN7rocprim17ROCPRIM_400000_NS6detail17trampoline_kernelINS0_13select_configILj256ELj13ELNS0_17block_load_methodE3ELS4_3ELS4_3ELNS0_20block_scan_algorithmE0ELj4294967295EEENS1_25partition_config_selectorILNS1_17partition_subalgoE4EjNS0_10empty_typeEbEEZZNS1_14partition_implILS8_4ELb0ES6_15HIP_vector_typeIjLj2EENS0_17counting_iteratorIjlEEPS9_SG_NS0_5tupleIJPjSI_NS0_16reverse_iteratorISI_EEEEENSH_IJSG_SG_SG_EEES9_SI_JZNS1_25segmented_radix_sort_implINS0_14default_configELb1EPKfPfPKlPlN2at6native12_GLOBAL__N_18offset_tEEE10hipError_tPvRmT1_PNSt15iterator_traitsIS12_E10value_typeET2_T3_PNS13_IS18_E10value_typeET4_jRbjT5_S1E_jjP12ihipStream_tbEUljE_ZNSN_ISO_Lb1ESQ_SR_ST_SU_SY_EESZ_S10_S11_S12_S16_S17_S18_S1B_S1C_jS1D_jS1E_S1E_jjS1G_bEUljE0_EEESZ_S10_S11_S18_S1C_S1E_T6_T7_T9_mT8_S1G_bDpT10_ENKUlT_T0_E_clISt17integral_constantIbLb1EES1U_EEDaS1P_S1Q_EUlS1P_E_NS1_11comp_targetILNS1_3genE9ELNS1_11target_archE1100ELNS1_3gpuE3ELNS1_3repE0EEENS1_30default_config_static_selectorELNS0_4arch9wavefront6targetE0EEEvS12_.num_vgpr, 0
	.set _ZN7rocprim17ROCPRIM_400000_NS6detail17trampoline_kernelINS0_13select_configILj256ELj13ELNS0_17block_load_methodE3ELS4_3ELS4_3ELNS0_20block_scan_algorithmE0ELj4294967295EEENS1_25partition_config_selectorILNS1_17partition_subalgoE4EjNS0_10empty_typeEbEEZZNS1_14partition_implILS8_4ELb0ES6_15HIP_vector_typeIjLj2EENS0_17counting_iteratorIjlEEPS9_SG_NS0_5tupleIJPjSI_NS0_16reverse_iteratorISI_EEEEENSH_IJSG_SG_SG_EEES9_SI_JZNS1_25segmented_radix_sort_implINS0_14default_configELb1EPKfPfPKlPlN2at6native12_GLOBAL__N_18offset_tEEE10hipError_tPvRmT1_PNSt15iterator_traitsIS12_E10value_typeET2_T3_PNS13_IS18_E10value_typeET4_jRbjT5_S1E_jjP12ihipStream_tbEUljE_ZNSN_ISO_Lb1ESQ_SR_ST_SU_SY_EESZ_S10_S11_S12_S16_S17_S18_S1B_S1C_jS1D_jS1E_S1E_jjS1G_bEUljE0_EEESZ_S10_S11_S18_S1C_S1E_T6_T7_T9_mT8_S1G_bDpT10_ENKUlT_T0_E_clISt17integral_constantIbLb1EES1U_EEDaS1P_S1Q_EUlS1P_E_NS1_11comp_targetILNS1_3genE9ELNS1_11target_archE1100ELNS1_3gpuE3ELNS1_3repE0EEENS1_30default_config_static_selectorELNS0_4arch9wavefront6targetE0EEEvS12_.num_agpr, 0
	.set _ZN7rocprim17ROCPRIM_400000_NS6detail17trampoline_kernelINS0_13select_configILj256ELj13ELNS0_17block_load_methodE3ELS4_3ELS4_3ELNS0_20block_scan_algorithmE0ELj4294967295EEENS1_25partition_config_selectorILNS1_17partition_subalgoE4EjNS0_10empty_typeEbEEZZNS1_14partition_implILS8_4ELb0ES6_15HIP_vector_typeIjLj2EENS0_17counting_iteratorIjlEEPS9_SG_NS0_5tupleIJPjSI_NS0_16reverse_iteratorISI_EEEEENSH_IJSG_SG_SG_EEES9_SI_JZNS1_25segmented_radix_sort_implINS0_14default_configELb1EPKfPfPKlPlN2at6native12_GLOBAL__N_18offset_tEEE10hipError_tPvRmT1_PNSt15iterator_traitsIS12_E10value_typeET2_T3_PNS13_IS18_E10value_typeET4_jRbjT5_S1E_jjP12ihipStream_tbEUljE_ZNSN_ISO_Lb1ESQ_SR_ST_SU_SY_EESZ_S10_S11_S12_S16_S17_S18_S1B_S1C_jS1D_jS1E_S1E_jjS1G_bEUljE0_EEESZ_S10_S11_S18_S1C_S1E_T6_T7_T9_mT8_S1G_bDpT10_ENKUlT_T0_E_clISt17integral_constantIbLb1EES1U_EEDaS1P_S1Q_EUlS1P_E_NS1_11comp_targetILNS1_3genE9ELNS1_11target_archE1100ELNS1_3gpuE3ELNS1_3repE0EEENS1_30default_config_static_selectorELNS0_4arch9wavefront6targetE0EEEvS12_.numbered_sgpr, 0
	.set _ZN7rocprim17ROCPRIM_400000_NS6detail17trampoline_kernelINS0_13select_configILj256ELj13ELNS0_17block_load_methodE3ELS4_3ELS4_3ELNS0_20block_scan_algorithmE0ELj4294967295EEENS1_25partition_config_selectorILNS1_17partition_subalgoE4EjNS0_10empty_typeEbEEZZNS1_14partition_implILS8_4ELb0ES6_15HIP_vector_typeIjLj2EENS0_17counting_iteratorIjlEEPS9_SG_NS0_5tupleIJPjSI_NS0_16reverse_iteratorISI_EEEEENSH_IJSG_SG_SG_EEES9_SI_JZNS1_25segmented_radix_sort_implINS0_14default_configELb1EPKfPfPKlPlN2at6native12_GLOBAL__N_18offset_tEEE10hipError_tPvRmT1_PNSt15iterator_traitsIS12_E10value_typeET2_T3_PNS13_IS18_E10value_typeET4_jRbjT5_S1E_jjP12ihipStream_tbEUljE_ZNSN_ISO_Lb1ESQ_SR_ST_SU_SY_EESZ_S10_S11_S12_S16_S17_S18_S1B_S1C_jS1D_jS1E_S1E_jjS1G_bEUljE0_EEESZ_S10_S11_S18_S1C_S1E_T6_T7_T9_mT8_S1G_bDpT10_ENKUlT_T0_E_clISt17integral_constantIbLb1EES1U_EEDaS1P_S1Q_EUlS1P_E_NS1_11comp_targetILNS1_3genE9ELNS1_11target_archE1100ELNS1_3gpuE3ELNS1_3repE0EEENS1_30default_config_static_selectorELNS0_4arch9wavefront6targetE0EEEvS12_.num_named_barrier, 0
	.set _ZN7rocprim17ROCPRIM_400000_NS6detail17trampoline_kernelINS0_13select_configILj256ELj13ELNS0_17block_load_methodE3ELS4_3ELS4_3ELNS0_20block_scan_algorithmE0ELj4294967295EEENS1_25partition_config_selectorILNS1_17partition_subalgoE4EjNS0_10empty_typeEbEEZZNS1_14partition_implILS8_4ELb0ES6_15HIP_vector_typeIjLj2EENS0_17counting_iteratorIjlEEPS9_SG_NS0_5tupleIJPjSI_NS0_16reverse_iteratorISI_EEEEENSH_IJSG_SG_SG_EEES9_SI_JZNS1_25segmented_radix_sort_implINS0_14default_configELb1EPKfPfPKlPlN2at6native12_GLOBAL__N_18offset_tEEE10hipError_tPvRmT1_PNSt15iterator_traitsIS12_E10value_typeET2_T3_PNS13_IS18_E10value_typeET4_jRbjT5_S1E_jjP12ihipStream_tbEUljE_ZNSN_ISO_Lb1ESQ_SR_ST_SU_SY_EESZ_S10_S11_S12_S16_S17_S18_S1B_S1C_jS1D_jS1E_S1E_jjS1G_bEUljE0_EEESZ_S10_S11_S18_S1C_S1E_T6_T7_T9_mT8_S1G_bDpT10_ENKUlT_T0_E_clISt17integral_constantIbLb1EES1U_EEDaS1P_S1Q_EUlS1P_E_NS1_11comp_targetILNS1_3genE9ELNS1_11target_archE1100ELNS1_3gpuE3ELNS1_3repE0EEENS1_30default_config_static_selectorELNS0_4arch9wavefront6targetE0EEEvS12_.private_seg_size, 0
	.set _ZN7rocprim17ROCPRIM_400000_NS6detail17trampoline_kernelINS0_13select_configILj256ELj13ELNS0_17block_load_methodE3ELS4_3ELS4_3ELNS0_20block_scan_algorithmE0ELj4294967295EEENS1_25partition_config_selectorILNS1_17partition_subalgoE4EjNS0_10empty_typeEbEEZZNS1_14partition_implILS8_4ELb0ES6_15HIP_vector_typeIjLj2EENS0_17counting_iteratorIjlEEPS9_SG_NS0_5tupleIJPjSI_NS0_16reverse_iteratorISI_EEEEENSH_IJSG_SG_SG_EEES9_SI_JZNS1_25segmented_radix_sort_implINS0_14default_configELb1EPKfPfPKlPlN2at6native12_GLOBAL__N_18offset_tEEE10hipError_tPvRmT1_PNSt15iterator_traitsIS12_E10value_typeET2_T3_PNS13_IS18_E10value_typeET4_jRbjT5_S1E_jjP12ihipStream_tbEUljE_ZNSN_ISO_Lb1ESQ_SR_ST_SU_SY_EESZ_S10_S11_S12_S16_S17_S18_S1B_S1C_jS1D_jS1E_S1E_jjS1G_bEUljE0_EEESZ_S10_S11_S18_S1C_S1E_T6_T7_T9_mT8_S1G_bDpT10_ENKUlT_T0_E_clISt17integral_constantIbLb1EES1U_EEDaS1P_S1Q_EUlS1P_E_NS1_11comp_targetILNS1_3genE9ELNS1_11target_archE1100ELNS1_3gpuE3ELNS1_3repE0EEENS1_30default_config_static_selectorELNS0_4arch9wavefront6targetE0EEEvS12_.uses_vcc, 0
	.set _ZN7rocprim17ROCPRIM_400000_NS6detail17trampoline_kernelINS0_13select_configILj256ELj13ELNS0_17block_load_methodE3ELS4_3ELS4_3ELNS0_20block_scan_algorithmE0ELj4294967295EEENS1_25partition_config_selectorILNS1_17partition_subalgoE4EjNS0_10empty_typeEbEEZZNS1_14partition_implILS8_4ELb0ES6_15HIP_vector_typeIjLj2EENS0_17counting_iteratorIjlEEPS9_SG_NS0_5tupleIJPjSI_NS0_16reverse_iteratorISI_EEEEENSH_IJSG_SG_SG_EEES9_SI_JZNS1_25segmented_radix_sort_implINS0_14default_configELb1EPKfPfPKlPlN2at6native12_GLOBAL__N_18offset_tEEE10hipError_tPvRmT1_PNSt15iterator_traitsIS12_E10value_typeET2_T3_PNS13_IS18_E10value_typeET4_jRbjT5_S1E_jjP12ihipStream_tbEUljE_ZNSN_ISO_Lb1ESQ_SR_ST_SU_SY_EESZ_S10_S11_S12_S16_S17_S18_S1B_S1C_jS1D_jS1E_S1E_jjS1G_bEUljE0_EEESZ_S10_S11_S18_S1C_S1E_T6_T7_T9_mT8_S1G_bDpT10_ENKUlT_T0_E_clISt17integral_constantIbLb1EES1U_EEDaS1P_S1Q_EUlS1P_E_NS1_11comp_targetILNS1_3genE9ELNS1_11target_archE1100ELNS1_3gpuE3ELNS1_3repE0EEENS1_30default_config_static_selectorELNS0_4arch9wavefront6targetE0EEEvS12_.uses_flat_scratch, 0
	.set _ZN7rocprim17ROCPRIM_400000_NS6detail17trampoline_kernelINS0_13select_configILj256ELj13ELNS0_17block_load_methodE3ELS4_3ELS4_3ELNS0_20block_scan_algorithmE0ELj4294967295EEENS1_25partition_config_selectorILNS1_17partition_subalgoE4EjNS0_10empty_typeEbEEZZNS1_14partition_implILS8_4ELb0ES6_15HIP_vector_typeIjLj2EENS0_17counting_iteratorIjlEEPS9_SG_NS0_5tupleIJPjSI_NS0_16reverse_iteratorISI_EEEEENSH_IJSG_SG_SG_EEES9_SI_JZNS1_25segmented_radix_sort_implINS0_14default_configELb1EPKfPfPKlPlN2at6native12_GLOBAL__N_18offset_tEEE10hipError_tPvRmT1_PNSt15iterator_traitsIS12_E10value_typeET2_T3_PNS13_IS18_E10value_typeET4_jRbjT5_S1E_jjP12ihipStream_tbEUljE_ZNSN_ISO_Lb1ESQ_SR_ST_SU_SY_EESZ_S10_S11_S12_S16_S17_S18_S1B_S1C_jS1D_jS1E_S1E_jjS1G_bEUljE0_EEESZ_S10_S11_S18_S1C_S1E_T6_T7_T9_mT8_S1G_bDpT10_ENKUlT_T0_E_clISt17integral_constantIbLb1EES1U_EEDaS1P_S1Q_EUlS1P_E_NS1_11comp_targetILNS1_3genE9ELNS1_11target_archE1100ELNS1_3gpuE3ELNS1_3repE0EEENS1_30default_config_static_selectorELNS0_4arch9wavefront6targetE0EEEvS12_.has_dyn_sized_stack, 0
	.set _ZN7rocprim17ROCPRIM_400000_NS6detail17trampoline_kernelINS0_13select_configILj256ELj13ELNS0_17block_load_methodE3ELS4_3ELS4_3ELNS0_20block_scan_algorithmE0ELj4294967295EEENS1_25partition_config_selectorILNS1_17partition_subalgoE4EjNS0_10empty_typeEbEEZZNS1_14partition_implILS8_4ELb0ES6_15HIP_vector_typeIjLj2EENS0_17counting_iteratorIjlEEPS9_SG_NS0_5tupleIJPjSI_NS0_16reverse_iteratorISI_EEEEENSH_IJSG_SG_SG_EEES9_SI_JZNS1_25segmented_radix_sort_implINS0_14default_configELb1EPKfPfPKlPlN2at6native12_GLOBAL__N_18offset_tEEE10hipError_tPvRmT1_PNSt15iterator_traitsIS12_E10value_typeET2_T3_PNS13_IS18_E10value_typeET4_jRbjT5_S1E_jjP12ihipStream_tbEUljE_ZNSN_ISO_Lb1ESQ_SR_ST_SU_SY_EESZ_S10_S11_S12_S16_S17_S18_S1B_S1C_jS1D_jS1E_S1E_jjS1G_bEUljE0_EEESZ_S10_S11_S18_S1C_S1E_T6_T7_T9_mT8_S1G_bDpT10_ENKUlT_T0_E_clISt17integral_constantIbLb1EES1U_EEDaS1P_S1Q_EUlS1P_E_NS1_11comp_targetILNS1_3genE9ELNS1_11target_archE1100ELNS1_3gpuE3ELNS1_3repE0EEENS1_30default_config_static_selectorELNS0_4arch9wavefront6targetE0EEEvS12_.has_recursion, 0
	.set _ZN7rocprim17ROCPRIM_400000_NS6detail17trampoline_kernelINS0_13select_configILj256ELj13ELNS0_17block_load_methodE3ELS4_3ELS4_3ELNS0_20block_scan_algorithmE0ELj4294967295EEENS1_25partition_config_selectorILNS1_17partition_subalgoE4EjNS0_10empty_typeEbEEZZNS1_14partition_implILS8_4ELb0ES6_15HIP_vector_typeIjLj2EENS0_17counting_iteratorIjlEEPS9_SG_NS0_5tupleIJPjSI_NS0_16reverse_iteratorISI_EEEEENSH_IJSG_SG_SG_EEES9_SI_JZNS1_25segmented_radix_sort_implINS0_14default_configELb1EPKfPfPKlPlN2at6native12_GLOBAL__N_18offset_tEEE10hipError_tPvRmT1_PNSt15iterator_traitsIS12_E10value_typeET2_T3_PNS13_IS18_E10value_typeET4_jRbjT5_S1E_jjP12ihipStream_tbEUljE_ZNSN_ISO_Lb1ESQ_SR_ST_SU_SY_EESZ_S10_S11_S12_S16_S17_S18_S1B_S1C_jS1D_jS1E_S1E_jjS1G_bEUljE0_EEESZ_S10_S11_S18_S1C_S1E_T6_T7_T9_mT8_S1G_bDpT10_ENKUlT_T0_E_clISt17integral_constantIbLb1EES1U_EEDaS1P_S1Q_EUlS1P_E_NS1_11comp_targetILNS1_3genE9ELNS1_11target_archE1100ELNS1_3gpuE3ELNS1_3repE0EEENS1_30default_config_static_selectorELNS0_4arch9wavefront6targetE0EEEvS12_.has_indirect_call, 0
	.section	.AMDGPU.csdata,"",@progbits
; Kernel info:
; codeLenInByte = 0
; TotalNumSgprs: 0
; NumVgprs: 0
; ScratchSize: 0
; MemoryBound: 0
; FloatMode: 240
; IeeeMode: 1
; LDSByteSize: 0 bytes/workgroup (compile time only)
; SGPRBlocks: 0
; VGPRBlocks: 0
; NumSGPRsForWavesPerEU: 1
; NumVGPRsForWavesPerEU: 1
; Occupancy: 16
; WaveLimiterHint : 0
; COMPUTE_PGM_RSRC2:SCRATCH_EN: 0
; COMPUTE_PGM_RSRC2:USER_SGPR: 6
; COMPUTE_PGM_RSRC2:TRAP_HANDLER: 0
; COMPUTE_PGM_RSRC2:TGID_X_EN: 1
; COMPUTE_PGM_RSRC2:TGID_Y_EN: 0
; COMPUTE_PGM_RSRC2:TGID_Z_EN: 0
; COMPUTE_PGM_RSRC2:TIDIG_COMP_CNT: 0
	.section	.text._ZN7rocprim17ROCPRIM_400000_NS6detail17trampoline_kernelINS0_13select_configILj256ELj13ELNS0_17block_load_methodE3ELS4_3ELS4_3ELNS0_20block_scan_algorithmE0ELj4294967295EEENS1_25partition_config_selectorILNS1_17partition_subalgoE4EjNS0_10empty_typeEbEEZZNS1_14partition_implILS8_4ELb0ES6_15HIP_vector_typeIjLj2EENS0_17counting_iteratorIjlEEPS9_SG_NS0_5tupleIJPjSI_NS0_16reverse_iteratorISI_EEEEENSH_IJSG_SG_SG_EEES9_SI_JZNS1_25segmented_radix_sort_implINS0_14default_configELb1EPKfPfPKlPlN2at6native12_GLOBAL__N_18offset_tEEE10hipError_tPvRmT1_PNSt15iterator_traitsIS12_E10value_typeET2_T3_PNS13_IS18_E10value_typeET4_jRbjT5_S1E_jjP12ihipStream_tbEUljE_ZNSN_ISO_Lb1ESQ_SR_ST_SU_SY_EESZ_S10_S11_S12_S16_S17_S18_S1B_S1C_jS1D_jS1E_S1E_jjS1G_bEUljE0_EEESZ_S10_S11_S18_S1C_S1E_T6_T7_T9_mT8_S1G_bDpT10_ENKUlT_T0_E_clISt17integral_constantIbLb1EES1U_EEDaS1P_S1Q_EUlS1P_E_NS1_11comp_targetILNS1_3genE8ELNS1_11target_archE1030ELNS1_3gpuE2ELNS1_3repE0EEENS1_30default_config_static_selectorELNS0_4arch9wavefront6targetE0EEEvS12_,"axG",@progbits,_ZN7rocprim17ROCPRIM_400000_NS6detail17trampoline_kernelINS0_13select_configILj256ELj13ELNS0_17block_load_methodE3ELS4_3ELS4_3ELNS0_20block_scan_algorithmE0ELj4294967295EEENS1_25partition_config_selectorILNS1_17partition_subalgoE4EjNS0_10empty_typeEbEEZZNS1_14partition_implILS8_4ELb0ES6_15HIP_vector_typeIjLj2EENS0_17counting_iteratorIjlEEPS9_SG_NS0_5tupleIJPjSI_NS0_16reverse_iteratorISI_EEEEENSH_IJSG_SG_SG_EEES9_SI_JZNS1_25segmented_radix_sort_implINS0_14default_configELb1EPKfPfPKlPlN2at6native12_GLOBAL__N_18offset_tEEE10hipError_tPvRmT1_PNSt15iterator_traitsIS12_E10value_typeET2_T3_PNS13_IS18_E10value_typeET4_jRbjT5_S1E_jjP12ihipStream_tbEUljE_ZNSN_ISO_Lb1ESQ_SR_ST_SU_SY_EESZ_S10_S11_S12_S16_S17_S18_S1B_S1C_jS1D_jS1E_S1E_jjS1G_bEUljE0_EEESZ_S10_S11_S18_S1C_S1E_T6_T7_T9_mT8_S1G_bDpT10_ENKUlT_T0_E_clISt17integral_constantIbLb1EES1U_EEDaS1P_S1Q_EUlS1P_E_NS1_11comp_targetILNS1_3genE8ELNS1_11target_archE1030ELNS1_3gpuE2ELNS1_3repE0EEENS1_30default_config_static_selectorELNS0_4arch9wavefront6targetE0EEEvS12_,comdat
	.globl	_ZN7rocprim17ROCPRIM_400000_NS6detail17trampoline_kernelINS0_13select_configILj256ELj13ELNS0_17block_load_methodE3ELS4_3ELS4_3ELNS0_20block_scan_algorithmE0ELj4294967295EEENS1_25partition_config_selectorILNS1_17partition_subalgoE4EjNS0_10empty_typeEbEEZZNS1_14partition_implILS8_4ELb0ES6_15HIP_vector_typeIjLj2EENS0_17counting_iteratorIjlEEPS9_SG_NS0_5tupleIJPjSI_NS0_16reverse_iteratorISI_EEEEENSH_IJSG_SG_SG_EEES9_SI_JZNS1_25segmented_radix_sort_implINS0_14default_configELb1EPKfPfPKlPlN2at6native12_GLOBAL__N_18offset_tEEE10hipError_tPvRmT1_PNSt15iterator_traitsIS12_E10value_typeET2_T3_PNS13_IS18_E10value_typeET4_jRbjT5_S1E_jjP12ihipStream_tbEUljE_ZNSN_ISO_Lb1ESQ_SR_ST_SU_SY_EESZ_S10_S11_S12_S16_S17_S18_S1B_S1C_jS1D_jS1E_S1E_jjS1G_bEUljE0_EEESZ_S10_S11_S18_S1C_S1E_T6_T7_T9_mT8_S1G_bDpT10_ENKUlT_T0_E_clISt17integral_constantIbLb1EES1U_EEDaS1P_S1Q_EUlS1P_E_NS1_11comp_targetILNS1_3genE8ELNS1_11target_archE1030ELNS1_3gpuE2ELNS1_3repE0EEENS1_30default_config_static_selectorELNS0_4arch9wavefront6targetE0EEEvS12_ ; -- Begin function _ZN7rocprim17ROCPRIM_400000_NS6detail17trampoline_kernelINS0_13select_configILj256ELj13ELNS0_17block_load_methodE3ELS4_3ELS4_3ELNS0_20block_scan_algorithmE0ELj4294967295EEENS1_25partition_config_selectorILNS1_17partition_subalgoE4EjNS0_10empty_typeEbEEZZNS1_14partition_implILS8_4ELb0ES6_15HIP_vector_typeIjLj2EENS0_17counting_iteratorIjlEEPS9_SG_NS0_5tupleIJPjSI_NS0_16reverse_iteratorISI_EEEEENSH_IJSG_SG_SG_EEES9_SI_JZNS1_25segmented_radix_sort_implINS0_14default_configELb1EPKfPfPKlPlN2at6native12_GLOBAL__N_18offset_tEEE10hipError_tPvRmT1_PNSt15iterator_traitsIS12_E10value_typeET2_T3_PNS13_IS18_E10value_typeET4_jRbjT5_S1E_jjP12ihipStream_tbEUljE_ZNSN_ISO_Lb1ESQ_SR_ST_SU_SY_EESZ_S10_S11_S12_S16_S17_S18_S1B_S1C_jS1D_jS1E_S1E_jjS1G_bEUljE0_EEESZ_S10_S11_S18_S1C_S1E_T6_T7_T9_mT8_S1G_bDpT10_ENKUlT_T0_E_clISt17integral_constantIbLb1EES1U_EEDaS1P_S1Q_EUlS1P_E_NS1_11comp_targetILNS1_3genE8ELNS1_11target_archE1030ELNS1_3gpuE2ELNS1_3repE0EEENS1_30default_config_static_selectorELNS0_4arch9wavefront6targetE0EEEvS12_
	.p2align	8
	.type	_ZN7rocprim17ROCPRIM_400000_NS6detail17trampoline_kernelINS0_13select_configILj256ELj13ELNS0_17block_load_methodE3ELS4_3ELS4_3ELNS0_20block_scan_algorithmE0ELj4294967295EEENS1_25partition_config_selectorILNS1_17partition_subalgoE4EjNS0_10empty_typeEbEEZZNS1_14partition_implILS8_4ELb0ES6_15HIP_vector_typeIjLj2EENS0_17counting_iteratorIjlEEPS9_SG_NS0_5tupleIJPjSI_NS0_16reverse_iteratorISI_EEEEENSH_IJSG_SG_SG_EEES9_SI_JZNS1_25segmented_radix_sort_implINS0_14default_configELb1EPKfPfPKlPlN2at6native12_GLOBAL__N_18offset_tEEE10hipError_tPvRmT1_PNSt15iterator_traitsIS12_E10value_typeET2_T3_PNS13_IS18_E10value_typeET4_jRbjT5_S1E_jjP12ihipStream_tbEUljE_ZNSN_ISO_Lb1ESQ_SR_ST_SU_SY_EESZ_S10_S11_S12_S16_S17_S18_S1B_S1C_jS1D_jS1E_S1E_jjS1G_bEUljE0_EEESZ_S10_S11_S18_S1C_S1E_T6_T7_T9_mT8_S1G_bDpT10_ENKUlT_T0_E_clISt17integral_constantIbLb1EES1U_EEDaS1P_S1Q_EUlS1P_E_NS1_11comp_targetILNS1_3genE8ELNS1_11target_archE1030ELNS1_3gpuE2ELNS1_3repE0EEENS1_30default_config_static_selectorELNS0_4arch9wavefront6targetE0EEEvS12_,@function
_ZN7rocprim17ROCPRIM_400000_NS6detail17trampoline_kernelINS0_13select_configILj256ELj13ELNS0_17block_load_methodE3ELS4_3ELS4_3ELNS0_20block_scan_algorithmE0ELj4294967295EEENS1_25partition_config_selectorILNS1_17partition_subalgoE4EjNS0_10empty_typeEbEEZZNS1_14partition_implILS8_4ELb0ES6_15HIP_vector_typeIjLj2EENS0_17counting_iteratorIjlEEPS9_SG_NS0_5tupleIJPjSI_NS0_16reverse_iteratorISI_EEEEENSH_IJSG_SG_SG_EEES9_SI_JZNS1_25segmented_radix_sort_implINS0_14default_configELb1EPKfPfPKlPlN2at6native12_GLOBAL__N_18offset_tEEE10hipError_tPvRmT1_PNSt15iterator_traitsIS12_E10value_typeET2_T3_PNS13_IS18_E10value_typeET4_jRbjT5_S1E_jjP12ihipStream_tbEUljE_ZNSN_ISO_Lb1ESQ_SR_ST_SU_SY_EESZ_S10_S11_S12_S16_S17_S18_S1B_S1C_jS1D_jS1E_S1E_jjS1G_bEUljE0_EEESZ_S10_S11_S18_S1C_S1E_T6_T7_T9_mT8_S1G_bDpT10_ENKUlT_T0_E_clISt17integral_constantIbLb1EES1U_EEDaS1P_S1Q_EUlS1P_E_NS1_11comp_targetILNS1_3genE8ELNS1_11target_archE1030ELNS1_3gpuE2ELNS1_3repE0EEENS1_30default_config_static_selectorELNS0_4arch9wavefront6targetE0EEEvS12_: ; @_ZN7rocprim17ROCPRIM_400000_NS6detail17trampoline_kernelINS0_13select_configILj256ELj13ELNS0_17block_load_methodE3ELS4_3ELS4_3ELNS0_20block_scan_algorithmE0ELj4294967295EEENS1_25partition_config_selectorILNS1_17partition_subalgoE4EjNS0_10empty_typeEbEEZZNS1_14partition_implILS8_4ELb0ES6_15HIP_vector_typeIjLj2EENS0_17counting_iteratorIjlEEPS9_SG_NS0_5tupleIJPjSI_NS0_16reverse_iteratorISI_EEEEENSH_IJSG_SG_SG_EEES9_SI_JZNS1_25segmented_radix_sort_implINS0_14default_configELb1EPKfPfPKlPlN2at6native12_GLOBAL__N_18offset_tEEE10hipError_tPvRmT1_PNSt15iterator_traitsIS12_E10value_typeET2_T3_PNS13_IS18_E10value_typeET4_jRbjT5_S1E_jjP12ihipStream_tbEUljE_ZNSN_ISO_Lb1ESQ_SR_ST_SU_SY_EESZ_S10_S11_S12_S16_S17_S18_S1B_S1C_jS1D_jS1E_S1E_jjS1G_bEUljE0_EEESZ_S10_S11_S18_S1C_S1E_T6_T7_T9_mT8_S1G_bDpT10_ENKUlT_T0_E_clISt17integral_constantIbLb1EES1U_EEDaS1P_S1Q_EUlS1P_E_NS1_11comp_targetILNS1_3genE8ELNS1_11target_archE1030ELNS1_3gpuE2ELNS1_3repE0EEENS1_30default_config_static_selectorELNS0_4arch9wavefront6targetE0EEEvS12_
; %bb.0:
	s_endpgm
	.section	.rodata,"a",@progbits
	.p2align	6, 0x0
	.amdhsa_kernel _ZN7rocprim17ROCPRIM_400000_NS6detail17trampoline_kernelINS0_13select_configILj256ELj13ELNS0_17block_load_methodE3ELS4_3ELS4_3ELNS0_20block_scan_algorithmE0ELj4294967295EEENS1_25partition_config_selectorILNS1_17partition_subalgoE4EjNS0_10empty_typeEbEEZZNS1_14partition_implILS8_4ELb0ES6_15HIP_vector_typeIjLj2EENS0_17counting_iteratorIjlEEPS9_SG_NS0_5tupleIJPjSI_NS0_16reverse_iteratorISI_EEEEENSH_IJSG_SG_SG_EEES9_SI_JZNS1_25segmented_radix_sort_implINS0_14default_configELb1EPKfPfPKlPlN2at6native12_GLOBAL__N_18offset_tEEE10hipError_tPvRmT1_PNSt15iterator_traitsIS12_E10value_typeET2_T3_PNS13_IS18_E10value_typeET4_jRbjT5_S1E_jjP12ihipStream_tbEUljE_ZNSN_ISO_Lb1ESQ_SR_ST_SU_SY_EESZ_S10_S11_S12_S16_S17_S18_S1B_S1C_jS1D_jS1E_S1E_jjS1G_bEUljE0_EEESZ_S10_S11_S18_S1C_S1E_T6_T7_T9_mT8_S1G_bDpT10_ENKUlT_T0_E_clISt17integral_constantIbLb1EES1U_EEDaS1P_S1Q_EUlS1P_E_NS1_11comp_targetILNS1_3genE8ELNS1_11target_archE1030ELNS1_3gpuE2ELNS1_3repE0EEENS1_30default_config_static_selectorELNS0_4arch9wavefront6targetE0EEEvS12_
		.amdhsa_group_segment_fixed_size 0
		.amdhsa_private_segment_fixed_size 0
		.amdhsa_kernarg_size 184
		.amdhsa_user_sgpr_count 6
		.amdhsa_user_sgpr_private_segment_buffer 1
		.amdhsa_user_sgpr_dispatch_ptr 0
		.amdhsa_user_sgpr_queue_ptr 0
		.amdhsa_user_sgpr_kernarg_segment_ptr 1
		.amdhsa_user_sgpr_dispatch_id 0
		.amdhsa_user_sgpr_flat_scratch_init 0
		.amdhsa_user_sgpr_private_segment_size 0
		.amdhsa_wavefront_size32 1
		.amdhsa_uses_dynamic_stack 0
		.amdhsa_system_sgpr_private_segment_wavefront_offset 0
		.amdhsa_system_sgpr_workgroup_id_x 1
		.amdhsa_system_sgpr_workgroup_id_y 0
		.amdhsa_system_sgpr_workgroup_id_z 0
		.amdhsa_system_sgpr_workgroup_info 0
		.amdhsa_system_vgpr_workitem_id 0
		.amdhsa_next_free_vgpr 1
		.amdhsa_next_free_sgpr 1
		.amdhsa_reserve_vcc 0
		.amdhsa_reserve_flat_scratch 0
		.amdhsa_float_round_mode_32 0
		.amdhsa_float_round_mode_16_64 0
		.amdhsa_float_denorm_mode_32 3
		.amdhsa_float_denorm_mode_16_64 3
		.amdhsa_dx10_clamp 1
		.amdhsa_ieee_mode 1
		.amdhsa_fp16_overflow 0
		.amdhsa_workgroup_processor_mode 1
		.amdhsa_memory_ordered 1
		.amdhsa_forward_progress 1
		.amdhsa_shared_vgpr_count 0
		.amdhsa_exception_fp_ieee_invalid_op 0
		.amdhsa_exception_fp_denorm_src 0
		.amdhsa_exception_fp_ieee_div_zero 0
		.amdhsa_exception_fp_ieee_overflow 0
		.amdhsa_exception_fp_ieee_underflow 0
		.amdhsa_exception_fp_ieee_inexact 0
		.amdhsa_exception_int_div_zero 0
	.end_amdhsa_kernel
	.section	.text._ZN7rocprim17ROCPRIM_400000_NS6detail17trampoline_kernelINS0_13select_configILj256ELj13ELNS0_17block_load_methodE3ELS4_3ELS4_3ELNS0_20block_scan_algorithmE0ELj4294967295EEENS1_25partition_config_selectorILNS1_17partition_subalgoE4EjNS0_10empty_typeEbEEZZNS1_14partition_implILS8_4ELb0ES6_15HIP_vector_typeIjLj2EENS0_17counting_iteratorIjlEEPS9_SG_NS0_5tupleIJPjSI_NS0_16reverse_iteratorISI_EEEEENSH_IJSG_SG_SG_EEES9_SI_JZNS1_25segmented_radix_sort_implINS0_14default_configELb1EPKfPfPKlPlN2at6native12_GLOBAL__N_18offset_tEEE10hipError_tPvRmT1_PNSt15iterator_traitsIS12_E10value_typeET2_T3_PNS13_IS18_E10value_typeET4_jRbjT5_S1E_jjP12ihipStream_tbEUljE_ZNSN_ISO_Lb1ESQ_SR_ST_SU_SY_EESZ_S10_S11_S12_S16_S17_S18_S1B_S1C_jS1D_jS1E_S1E_jjS1G_bEUljE0_EEESZ_S10_S11_S18_S1C_S1E_T6_T7_T9_mT8_S1G_bDpT10_ENKUlT_T0_E_clISt17integral_constantIbLb1EES1U_EEDaS1P_S1Q_EUlS1P_E_NS1_11comp_targetILNS1_3genE8ELNS1_11target_archE1030ELNS1_3gpuE2ELNS1_3repE0EEENS1_30default_config_static_selectorELNS0_4arch9wavefront6targetE0EEEvS12_,"axG",@progbits,_ZN7rocprim17ROCPRIM_400000_NS6detail17trampoline_kernelINS0_13select_configILj256ELj13ELNS0_17block_load_methodE3ELS4_3ELS4_3ELNS0_20block_scan_algorithmE0ELj4294967295EEENS1_25partition_config_selectorILNS1_17partition_subalgoE4EjNS0_10empty_typeEbEEZZNS1_14partition_implILS8_4ELb0ES6_15HIP_vector_typeIjLj2EENS0_17counting_iteratorIjlEEPS9_SG_NS0_5tupleIJPjSI_NS0_16reverse_iteratorISI_EEEEENSH_IJSG_SG_SG_EEES9_SI_JZNS1_25segmented_radix_sort_implINS0_14default_configELb1EPKfPfPKlPlN2at6native12_GLOBAL__N_18offset_tEEE10hipError_tPvRmT1_PNSt15iterator_traitsIS12_E10value_typeET2_T3_PNS13_IS18_E10value_typeET4_jRbjT5_S1E_jjP12ihipStream_tbEUljE_ZNSN_ISO_Lb1ESQ_SR_ST_SU_SY_EESZ_S10_S11_S12_S16_S17_S18_S1B_S1C_jS1D_jS1E_S1E_jjS1G_bEUljE0_EEESZ_S10_S11_S18_S1C_S1E_T6_T7_T9_mT8_S1G_bDpT10_ENKUlT_T0_E_clISt17integral_constantIbLb1EES1U_EEDaS1P_S1Q_EUlS1P_E_NS1_11comp_targetILNS1_3genE8ELNS1_11target_archE1030ELNS1_3gpuE2ELNS1_3repE0EEENS1_30default_config_static_selectorELNS0_4arch9wavefront6targetE0EEEvS12_,comdat
.Lfunc_end1268:
	.size	_ZN7rocprim17ROCPRIM_400000_NS6detail17trampoline_kernelINS0_13select_configILj256ELj13ELNS0_17block_load_methodE3ELS4_3ELS4_3ELNS0_20block_scan_algorithmE0ELj4294967295EEENS1_25partition_config_selectorILNS1_17partition_subalgoE4EjNS0_10empty_typeEbEEZZNS1_14partition_implILS8_4ELb0ES6_15HIP_vector_typeIjLj2EENS0_17counting_iteratorIjlEEPS9_SG_NS0_5tupleIJPjSI_NS0_16reverse_iteratorISI_EEEEENSH_IJSG_SG_SG_EEES9_SI_JZNS1_25segmented_radix_sort_implINS0_14default_configELb1EPKfPfPKlPlN2at6native12_GLOBAL__N_18offset_tEEE10hipError_tPvRmT1_PNSt15iterator_traitsIS12_E10value_typeET2_T3_PNS13_IS18_E10value_typeET4_jRbjT5_S1E_jjP12ihipStream_tbEUljE_ZNSN_ISO_Lb1ESQ_SR_ST_SU_SY_EESZ_S10_S11_S12_S16_S17_S18_S1B_S1C_jS1D_jS1E_S1E_jjS1G_bEUljE0_EEESZ_S10_S11_S18_S1C_S1E_T6_T7_T9_mT8_S1G_bDpT10_ENKUlT_T0_E_clISt17integral_constantIbLb1EES1U_EEDaS1P_S1Q_EUlS1P_E_NS1_11comp_targetILNS1_3genE8ELNS1_11target_archE1030ELNS1_3gpuE2ELNS1_3repE0EEENS1_30default_config_static_selectorELNS0_4arch9wavefront6targetE0EEEvS12_, .Lfunc_end1268-_ZN7rocprim17ROCPRIM_400000_NS6detail17trampoline_kernelINS0_13select_configILj256ELj13ELNS0_17block_load_methodE3ELS4_3ELS4_3ELNS0_20block_scan_algorithmE0ELj4294967295EEENS1_25partition_config_selectorILNS1_17partition_subalgoE4EjNS0_10empty_typeEbEEZZNS1_14partition_implILS8_4ELb0ES6_15HIP_vector_typeIjLj2EENS0_17counting_iteratorIjlEEPS9_SG_NS0_5tupleIJPjSI_NS0_16reverse_iteratorISI_EEEEENSH_IJSG_SG_SG_EEES9_SI_JZNS1_25segmented_radix_sort_implINS0_14default_configELb1EPKfPfPKlPlN2at6native12_GLOBAL__N_18offset_tEEE10hipError_tPvRmT1_PNSt15iterator_traitsIS12_E10value_typeET2_T3_PNS13_IS18_E10value_typeET4_jRbjT5_S1E_jjP12ihipStream_tbEUljE_ZNSN_ISO_Lb1ESQ_SR_ST_SU_SY_EESZ_S10_S11_S12_S16_S17_S18_S1B_S1C_jS1D_jS1E_S1E_jjS1G_bEUljE0_EEESZ_S10_S11_S18_S1C_S1E_T6_T7_T9_mT8_S1G_bDpT10_ENKUlT_T0_E_clISt17integral_constantIbLb1EES1U_EEDaS1P_S1Q_EUlS1P_E_NS1_11comp_targetILNS1_3genE8ELNS1_11target_archE1030ELNS1_3gpuE2ELNS1_3repE0EEENS1_30default_config_static_selectorELNS0_4arch9wavefront6targetE0EEEvS12_
                                        ; -- End function
	.set _ZN7rocprim17ROCPRIM_400000_NS6detail17trampoline_kernelINS0_13select_configILj256ELj13ELNS0_17block_load_methodE3ELS4_3ELS4_3ELNS0_20block_scan_algorithmE0ELj4294967295EEENS1_25partition_config_selectorILNS1_17partition_subalgoE4EjNS0_10empty_typeEbEEZZNS1_14partition_implILS8_4ELb0ES6_15HIP_vector_typeIjLj2EENS0_17counting_iteratorIjlEEPS9_SG_NS0_5tupleIJPjSI_NS0_16reverse_iteratorISI_EEEEENSH_IJSG_SG_SG_EEES9_SI_JZNS1_25segmented_radix_sort_implINS0_14default_configELb1EPKfPfPKlPlN2at6native12_GLOBAL__N_18offset_tEEE10hipError_tPvRmT1_PNSt15iterator_traitsIS12_E10value_typeET2_T3_PNS13_IS18_E10value_typeET4_jRbjT5_S1E_jjP12ihipStream_tbEUljE_ZNSN_ISO_Lb1ESQ_SR_ST_SU_SY_EESZ_S10_S11_S12_S16_S17_S18_S1B_S1C_jS1D_jS1E_S1E_jjS1G_bEUljE0_EEESZ_S10_S11_S18_S1C_S1E_T6_T7_T9_mT8_S1G_bDpT10_ENKUlT_T0_E_clISt17integral_constantIbLb1EES1U_EEDaS1P_S1Q_EUlS1P_E_NS1_11comp_targetILNS1_3genE8ELNS1_11target_archE1030ELNS1_3gpuE2ELNS1_3repE0EEENS1_30default_config_static_selectorELNS0_4arch9wavefront6targetE0EEEvS12_.num_vgpr, 0
	.set _ZN7rocprim17ROCPRIM_400000_NS6detail17trampoline_kernelINS0_13select_configILj256ELj13ELNS0_17block_load_methodE3ELS4_3ELS4_3ELNS0_20block_scan_algorithmE0ELj4294967295EEENS1_25partition_config_selectorILNS1_17partition_subalgoE4EjNS0_10empty_typeEbEEZZNS1_14partition_implILS8_4ELb0ES6_15HIP_vector_typeIjLj2EENS0_17counting_iteratorIjlEEPS9_SG_NS0_5tupleIJPjSI_NS0_16reverse_iteratorISI_EEEEENSH_IJSG_SG_SG_EEES9_SI_JZNS1_25segmented_radix_sort_implINS0_14default_configELb1EPKfPfPKlPlN2at6native12_GLOBAL__N_18offset_tEEE10hipError_tPvRmT1_PNSt15iterator_traitsIS12_E10value_typeET2_T3_PNS13_IS18_E10value_typeET4_jRbjT5_S1E_jjP12ihipStream_tbEUljE_ZNSN_ISO_Lb1ESQ_SR_ST_SU_SY_EESZ_S10_S11_S12_S16_S17_S18_S1B_S1C_jS1D_jS1E_S1E_jjS1G_bEUljE0_EEESZ_S10_S11_S18_S1C_S1E_T6_T7_T9_mT8_S1G_bDpT10_ENKUlT_T0_E_clISt17integral_constantIbLb1EES1U_EEDaS1P_S1Q_EUlS1P_E_NS1_11comp_targetILNS1_3genE8ELNS1_11target_archE1030ELNS1_3gpuE2ELNS1_3repE0EEENS1_30default_config_static_selectorELNS0_4arch9wavefront6targetE0EEEvS12_.num_agpr, 0
	.set _ZN7rocprim17ROCPRIM_400000_NS6detail17trampoline_kernelINS0_13select_configILj256ELj13ELNS0_17block_load_methodE3ELS4_3ELS4_3ELNS0_20block_scan_algorithmE0ELj4294967295EEENS1_25partition_config_selectorILNS1_17partition_subalgoE4EjNS0_10empty_typeEbEEZZNS1_14partition_implILS8_4ELb0ES6_15HIP_vector_typeIjLj2EENS0_17counting_iteratorIjlEEPS9_SG_NS0_5tupleIJPjSI_NS0_16reverse_iteratorISI_EEEEENSH_IJSG_SG_SG_EEES9_SI_JZNS1_25segmented_radix_sort_implINS0_14default_configELb1EPKfPfPKlPlN2at6native12_GLOBAL__N_18offset_tEEE10hipError_tPvRmT1_PNSt15iterator_traitsIS12_E10value_typeET2_T3_PNS13_IS18_E10value_typeET4_jRbjT5_S1E_jjP12ihipStream_tbEUljE_ZNSN_ISO_Lb1ESQ_SR_ST_SU_SY_EESZ_S10_S11_S12_S16_S17_S18_S1B_S1C_jS1D_jS1E_S1E_jjS1G_bEUljE0_EEESZ_S10_S11_S18_S1C_S1E_T6_T7_T9_mT8_S1G_bDpT10_ENKUlT_T0_E_clISt17integral_constantIbLb1EES1U_EEDaS1P_S1Q_EUlS1P_E_NS1_11comp_targetILNS1_3genE8ELNS1_11target_archE1030ELNS1_3gpuE2ELNS1_3repE0EEENS1_30default_config_static_selectorELNS0_4arch9wavefront6targetE0EEEvS12_.numbered_sgpr, 0
	.set _ZN7rocprim17ROCPRIM_400000_NS6detail17trampoline_kernelINS0_13select_configILj256ELj13ELNS0_17block_load_methodE3ELS4_3ELS4_3ELNS0_20block_scan_algorithmE0ELj4294967295EEENS1_25partition_config_selectorILNS1_17partition_subalgoE4EjNS0_10empty_typeEbEEZZNS1_14partition_implILS8_4ELb0ES6_15HIP_vector_typeIjLj2EENS0_17counting_iteratorIjlEEPS9_SG_NS0_5tupleIJPjSI_NS0_16reverse_iteratorISI_EEEEENSH_IJSG_SG_SG_EEES9_SI_JZNS1_25segmented_radix_sort_implINS0_14default_configELb1EPKfPfPKlPlN2at6native12_GLOBAL__N_18offset_tEEE10hipError_tPvRmT1_PNSt15iterator_traitsIS12_E10value_typeET2_T3_PNS13_IS18_E10value_typeET4_jRbjT5_S1E_jjP12ihipStream_tbEUljE_ZNSN_ISO_Lb1ESQ_SR_ST_SU_SY_EESZ_S10_S11_S12_S16_S17_S18_S1B_S1C_jS1D_jS1E_S1E_jjS1G_bEUljE0_EEESZ_S10_S11_S18_S1C_S1E_T6_T7_T9_mT8_S1G_bDpT10_ENKUlT_T0_E_clISt17integral_constantIbLb1EES1U_EEDaS1P_S1Q_EUlS1P_E_NS1_11comp_targetILNS1_3genE8ELNS1_11target_archE1030ELNS1_3gpuE2ELNS1_3repE0EEENS1_30default_config_static_selectorELNS0_4arch9wavefront6targetE0EEEvS12_.num_named_barrier, 0
	.set _ZN7rocprim17ROCPRIM_400000_NS6detail17trampoline_kernelINS0_13select_configILj256ELj13ELNS0_17block_load_methodE3ELS4_3ELS4_3ELNS0_20block_scan_algorithmE0ELj4294967295EEENS1_25partition_config_selectorILNS1_17partition_subalgoE4EjNS0_10empty_typeEbEEZZNS1_14partition_implILS8_4ELb0ES6_15HIP_vector_typeIjLj2EENS0_17counting_iteratorIjlEEPS9_SG_NS0_5tupleIJPjSI_NS0_16reverse_iteratorISI_EEEEENSH_IJSG_SG_SG_EEES9_SI_JZNS1_25segmented_radix_sort_implINS0_14default_configELb1EPKfPfPKlPlN2at6native12_GLOBAL__N_18offset_tEEE10hipError_tPvRmT1_PNSt15iterator_traitsIS12_E10value_typeET2_T3_PNS13_IS18_E10value_typeET4_jRbjT5_S1E_jjP12ihipStream_tbEUljE_ZNSN_ISO_Lb1ESQ_SR_ST_SU_SY_EESZ_S10_S11_S12_S16_S17_S18_S1B_S1C_jS1D_jS1E_S1E_jjS1G_bEUljE0_EEESZ_S10_S11_S18_S1C_S1E_T6_T7_T9_mT8_S1G_bDpT10_ENKUlT_T0_E_clISt17integral_constantIbLb1EES1U_EEDaS1P_S1Q_EUlS1P_E_NS1_11comp_targetILNS1_3genE8ELNS1_11target_archE1030ELNS1_3gpuE2ELNS1_3repE0EEENS1_30default_config_static_selectorELNS0_4arch9wavefront6targetE0EEEvS12_.private_seg_size, 0
	.set _ZN7rocprim17ROCPRIM_400000_NS6detail17trampoline_kernelINS0_13select_configILj256ELj13ELNS0_17block_load_methodE3ELS4_3ELS4_3ELNS0_20block_scan_algorithmE0ELj4294967295EEENS1_25partition_config_selectorILNS1_17partition_subalgoE4EjNS0_10empty_typeEbEEZZNS1_14partition_implILS8_4ELb0ES6_15HIP_vector_typeIjLj2EENS0_17counting_iteratorIjlEEPS9_SG_NS0_5tupleIJPjSI_NS0_16reverse_iteratorISI_EEEEENSH_IJSG_SG_SG_EEES9_SI_JZNS1_25segmented_radix_sort_implINS0_14default_configELb1EPKfPfPKlPlN2at6native12_GLOBAL__N_18offset_tEEE10hipError_tPvRmT1_PNSt15iterator_traitsIS12_E10value_typeET2_T3_PNS13_IS18_E10value_typeET4_jRbjT5_S1E_jjP12ihipStream_tbEUljE_ZNSN_ISO_Lb1ESQ_SR_ST_SU_SY_EESZ_S10_S11_S12_S16_S17_S18_S1B_S1C_jS1D_jS1E_S1E_jjS1G_bEUljE0_EEESZ_S10_S11_S18_S1C_S1E_T6_T7_T9_mT8_S1G_bDpT10_ENKUlT_T0_E_clISt17integral_constantIbLb1EES1U_EEDaS1P_S1Q_EUlS1P_E_NS1_11comp_targetILNS1_3genE8ELNS1_11target_archE1030ELNS1_3gpuE2ELNS1_3repE0EEENS1_30default_config_static_selectorELNS0_4arch9wavefront6targetE0EEEvS12_.uses_vcc, 0
	.set _ZN7rocprim17ROCPRIM_400000_NS6detail17trampoline_kernelINS0_13select_configILj256ELj13ELNS0_17block_load_methodE3ELS4_3ELS4_3ELNS0_20block_scan_algorithmE0ELj4294967295EEENS1_25partition_config_selectorILNS1_17partition_subalgoE4EjNS0_10empty_typeEbEEZZNS1_14partition_implILS8_4ELb0ES6_15HIP_vector_typeIjLj2EENS0_17counting_iteratorIjlEEPS9_SG_NS0_5tupleIJPjSI_NS0_16reverse_iteratorISI_EEEEENSH_IJSG_SG_SG_EEES9_SI_JZNS1_25segmented_radix_sort_implINS0_14default_configELb1EPKfPfPKlPlN2at6native12_GLOBAL__N_18offset_tEEE10hipError_tPvRmT1_PNSt15iterator_traitsIS12_E10value_typeET2_T3_PNS13_IS18_E10value_typeET4_jRbjT5_S1E_jjP12ihipStream_tbEUljE_ZNSN_ISO_Lb1ESQ_SR_ST_SU_SY_EESZ_S10_S11_S12_S16_S17_S18_S1B_S1C_jS1D_jS1E_S1E_jjS1G_bEUljE0_EEESZ_S10_S11_S18_S1C_S1E_T6_T7_T9_mT8_S1G_bDpT10_ENKUlT_T0_E_clISt17integral_constantIbLb1EES1U_EEDaS1P_S1Q_EUlS1P_E_NS1_11comp_targetILNS1_3genE8ELNS1_11target_archE1030ELNS1_3gpuE2ELNS1_3repE0EEENS1_30default_config_static_selectorELNS0_4arch9wavefront6targetE0EEEvS12_.uses_flat_scratch, 0
	.set _ZN7rocprim17ROCPRIM_400000_NS6detail17trampoline_kernelINS0_13select_configILj256ELj13ELNS0_17block_load_methodE3ELS4_3ELS4_3ELNS0_20block_scan_algorithmE0ELj4294967295EEENS1_25partition_config_selectorILNS1_17partition_subalgoE4EjNS0_10empty_typeEbEEZZNS1_14partition_implILS8_4ELb0ES6_15HIP_vector_typeIjLj2EENS0_17counting_iteratorIjlEEPS9_SG_NS0_5tupleIJPjSI_NS0_16reverse_iteratorISI_EEEEENSH_IJSG_SG_SG_EEES9_SI_JZNS1_25segmented_radix_sort_implINS0_14default_configELb1EPKfPfPKlPlN2at6native12_GLOBAL__N_18offset_tEEE10hipError_tPvRmT1_PNSt15iterator_traitsIS12_E10value_typeET2_T3_PNS13_IS18_E10value_typeET4_jRbjT5_S1E_jjP12ihipStream_tbEUljE_ZNSN_ISO_Lb1ESQ_SR_ST_SU_SY_EESZ_S10_S11_S12_S16_S17_S18_S1B_S1C_jS1D_jS1E_S1E_jjS1G_bEUljE0_EEESZ_S10_S11_S18_S1C_S1E_T6_T7_T9_mT8_S1G_bDpT10_ENKUlT_T0_E_clISt17integral_constantIbLb1EES1U_EEDaS1P_S1Q_EUlS1P_E_NS1_11comp_targetILNS1_3genE8ELNS1_11target_archE1030ELNS1_3gpuE2ELNS1_3repE0EEENS1_30default_config_static_selectorELNS0_4arch9wavefront6targetE0EEEvS12_.has_dyn_sized_stack, 0
	.set _ZN7rocprim17ROCPRIM_400000_NS6detail17trampoline_kernelINS0_13select_configILj256ELj13ELNS0_17block_load_methodE3ELS4_3ELS4_3ELNS0_20block_scan_algorithmE0ELj4294967295EEENS1_25partition_config_selectorILNS1_17partition_subalgoE4EjNS0_10empty_typeEbEEZZNS1_14partition_implILS8_4ELb0ES6_15HIP_vector_typeIjLj2EENS0_17counting_iteratorIjlEEPS9_SG_NS0_5tupleIJPjSI_NS0_16reverse_iteratorISI_EEEEENSH_IJSG_SG_SG_EEES9_SI_JZNS1_25segmented_radix_sort_implINS0_14default_configELb1EPKfPfPKlPlN2at6native12_GLOBAL__N_18offset_tEEE10hipError_tPvRmT1_PNSt15iterator_traitsIS12_E10value_typeET2_T3_PNS13_IS18_E10value_typeET4_jRbjT5_S1E_jjP12ihipStream_tbEUljE_ZNSN_ISO_Lb1ESQ_SR_ST_SU_SY_EESZ_S10_S11_S12_S16_S17_S18_S1B_S1C_jS1D_jS1E_S1E_jjS1G_bEUljE0_EEESZ_S10_S11_S18_S1C_S1E_T6_T7_T9_mT8_S1G_bDpT10_ENKUlT_T0_E_clISt17integral_constantIbLb1EES1U_EEDaS1P_S1Q_EUlS1P_E_NS1_11comp_targetILNS1_3genE8ELNS1_11target_archE1030ELNS1_3gpuE2ELNS1_3repE0EEENS1_30default_config_static_selectorELNS0_4arch9wavefront6targetE0EEEvS12_.has_recursion, 0
	.set _ZN7rocprim17ROCPRIM_400000_NS6detail17trampoline_kernelINS0_13select_configILj256ELj13ELNS0_17block_load_methodE3ELS4_3ELS4_3ELNS0_20block_scan_algorithmE0ELj4294967295EEENS1_25partition_config_selectorILNS1_17partition_subalgoE4EjNS0_10empty_typeEbEEZZNS1_14partition_implILS8_4ELb0ES6_15HIP_vector_typeIjLj2EENS0_17counting_iteratorIjlEEPS9_SG_NS0_5tupleIJPjSI_NS0_16reverse_iteratorISI_EEEEENSH_IJSG_SG_SG_EEES9_SI_JZNS1_25segmented_radix_sort_implINS0_14default_configELb1EPKfPfPKlPlN2at6native12_GLOBAL__N_18offset_tEEE10hipError_tPvRmT1_PNSt15iterator_traitsIS12_E10value_typeET2_T3_PNS13_IS18_E10value_typeET4_jRbjT5_S1E_jjP12ihipStream_tbEUljE_ZNSN_ISO_Lb1ESQ_SR_ST_SU_SY_EESZ_S10_S11_S12_S16_S17_S18_S1B_S1C_jS1D_jS1E_S1E_jjS1G_bEUljE0_EEESZ_S10_S11_S18_S1C_S1E_T6_T7_T9_mT8_S1G_bDpT10_ENKUlT_T0_E_clISt17integral_constantIbLb1EES1U_EEDaS1P_S1Q_EUlS1P_E_NS1_11comp_targetILNS1_3genE8ELNS1_11target_archE1030ELNS1_3gpuE2ELNS1_3repE0EEENS1_30default_config_static_selectorELNS0_4arch9wavefront6targetE0EEEvS12_.has_indirect_call, 0
	.section	.AMDGPU.csdata,"",@progbits
; Kernel info:
; codeLenInByte = 4
; TotalNumSgprs: 0
; NumVgprs: 0
; ScratchSize: 0
; MemoryBound: 0
; FloatMode: 240
; IeeeMode: 1
; LDSByteSize: 0 bytes/workgroup (compile time only)
; SGPRBlocks: 0
; VGPRBlocks: 0
; NumSGPRsForWavesPerEU: 1
; NumVGPRsForWavesPerEU: 1
; Occupancy: 16
; WaveLimiterHint : 0
; COMPUTE_PGM_RSRC2:SCRATCH_EN: 0
; COMPUTE_PGM_RSRC2:USER_SGPR: 6
; COMPUTE_PGM_RSRC2:TRAP_HANDLER: 0
; COMPUTE_PGM_RSRC2:TGID_X_EN: 1
; COMPUTE_PGM_RSRC2:TGID_Y_EN: 0
; COMPUTE_PGM_RSRC2:TGID_Z_EN: 0
; COMPUTE_PGM_RSRC2:TIDIG_COMP_CNT: 0
	.section	.text._ZN7rocprim17ROCPRIM_400000_NS6detail17trampoline_kernelINS0_13select_configILj256ELj13ELNS0_17block_load_methodE3ELS4_3ELS4_3ELNS0_20block_scan_algorithmE0ELj4294967295EEENS1_25partition_config_selectorILNS1_17partition_subalgoE4EjNS0_10empty_typeEbEEZZNS1_14partition_implILS8_4ELb0ES6_15HIP_vector_typeIjLj2EENS0_17counting_iteratorIjlEEPS9_SG_NS0_5tupleIJPjSI_NS0_16reverse_iteratorISI_EEEEENSH_IJSG_SG_SG_EEES9_SI_JZNS1_25segmented_radix_sort_implINS0_14default_configELb1EPKfPfPKlPlN2at6native12_GLOBAL__N_18offset_tEEE10hipError_tPvRmT1_PNSt15iterator_traitsIS12_E10value_typeET2_T3_PNS13_IS18_E10value_typeET4_jRbjT5_S1E_jjP12ihipStream_tbEUljE_ZNSN_ISO_Lb1ESQ_SR_ST_SU_SY_EESZ_S10_S11_S12_S16_S17_S18_S1B_S1C_jS1D_jS1E_S1E_jjS1G_bEUljE0_EEESZ_S10_S11_S18_S1C_S1E_T6_T7_T9_mT8_S1G_bDpT10_ENKUlT_T0_E_clISt17integral_constantIbLb1EES1T_IbLb0EEEEDaS1P_S1Q_EUlS1P_E_NS1_11comp_targetILNS1_3genE0ELNS1_11target_archE4294967295ELNS1_3gpuE0ELNS1_3repE0EEENS1_30default_config_static_selectorELNS0_4arch9wavefront6targetE0EEEvS12_,"axG",@progbits,_ZN7rocprim17ROCPRIM_400000_NS6detail17trampoline_kernelINS0_13select_configILj256ELj13ELNS0_17block_load_methodE3ELS4_3ELS4_3ELNS0_20block_scan_algorithmE0ELj4294967295EEENS1_25partition_config_selectorILNS1_17partition_subalgoE4EjNS0_10empty_typeEbEEZZNS1_14partition_implILS8_4ELb0ES6_15HIP_vector_typeIjLj2EENS0_17counting_iteratorIjlEEPS9_SG_NS0_5tupleIJPjSI_NS0_16reverse_iteratorISI_EEEEENSH_IJSG_SG_SG_EEES9_SI_JZNS1_25segmented_radix_sort_implINS0_14default_configELb1EPKfPfPKlPlN2at6native12_GLOBAL__N_18offset_tEEE10hipError_tPvRmT1_PNSt15iterator_traitsIS12_E10value_typeET2_T3_PNS13_IS18_E10value_typeET4_jRbjT5_S1E_jjP12ihipStream_tbEUljE_ZNSN_ISO_Lb1ESQ_SR_ST_SU_SY_EESZ_S10_S11_S12_S16_S17_S18_S1B_S1C_jS1D_jS1E_S1E_jjS1G_bEUljE0_EEESZ_S10_S11_S18_S1C_S1E_T6_T7_T9_mT8_S1G_bDpT10_ENKUlT_T0_E_clISt17integral_constantIbLb1EES1T_IbLb0EEEEDaS1P_S1Q_EUlS1P_E_NS1_11comp_targetILNS1_3genE0ELNS1_11target_archE4294967295ELNS1_3gpuE0ELNS1_3repE0EEENS1_30default_config_static_selectorELNS0_4arch9wavefront6targetE0EEEvS12_,comdat
	.globl	_ZN7rocprim17ROCPRIM_400000_NS6detail17trampoline_kernelINS0_13select_configILj256ELj13ELNS0_17block_load_methodE3ELS4_3ELS4_3ELNS0_20block_scan_algorithmE0ELj4294967295EEENS1_25partition_config_selectorILNS1_17partition_subalgoE4EjNS0_10empty_typeEbEEZZNS1_14partition_implILS8_4ELb0ES6_15HIP_vector_typeIjLj2EENS0_17counting_iteratorIjlEEPS9_SG_NS0_5tupleIJPjSI_NS0_16reverse_iteratorISI_EEEEENSH_IJSG_SG_SG_EEES9_SI_JZNS1_25segmented_radix_sort_implINS0_14default_configELb1EPKfPfPKlPlN2at6native12_GLOBAL__N_18offset_tEEE10hipError_tPvRmT1_PNSt15iterator_traitsIS12_E10value_typeET2_T3_PNS13_IS18_E10value_typeET4_jRbjT5_S1E_jjP12ihipStream_tbEUljE_ZNSN_ISO_Lb1ESQ_SR_ST_SU_SY_EESZ_S10_S11_S12_S16_S17_S18_S1B_S1C_jS1D_jS1E_S1E_jjS1G_bEUljE0_EEESZ_S10_S11_S18_S1C_S1E_T6_T7_T9_mT8_S1G_bDpT10_ENKUlT_T0_E_clISt17integral_constantIbLb1EES1T_IbLb0EEEEDaS1P_S1Q_EUlS1P_E_NS1_11comp_targetILNS1_3genE0ELNS1_11target_archE4294967295ELNS1_3gpuE0ELNS1_3repE0EEENS1_30default_config_static_selectorELNS0_4arch9wavefront6targetE0EEEvS12_ ; -- Begin function _ZN7rocprim17ROCPRIM_400000_NS6detail17trampoline_kernelINS0_13select_configILj256ELj13ELNS0_17block_load_methodE3ELS4_3ELS4_3ELNS0_20block_scan_algorithmE0ELj4294967295EEENS1_25partition_config_selectorILNS1_17partition_subalgoE4EjNS0_10empty_typeEbEEZZNS1_14partition_implILS8_4ELb0ES6_15HIP_vector_typeIjLj2EENS0_17counting_iteratorIjlEEPS9_SG_NS0_5tupleIJPjSI_NS0_16reverse_iteratorISI_EEEEENSH_IJSG_SG_SG_EEES9_SI_JZNS1_25segmented_radix_sort_implINS0_14default_configELb1EPKfPfPKlPlN2at6native12_GLOBAL__N_18offset_tEEE10hipError_tPvRmT1_PNSt15iterator_traitsIS12_E10value_typeET2_T3_PNS13_IS18_E10value_typeET4_jRbjT5_S1E_jjP12ihipStream_tbEUljE_ZNSN_ISO_Lb1ESQ_SR_ST_SU_SY_EESZ_S10_S11_S12_S16_S17_S18_S1B_S1C_jS1D_jS1E_S1E_jjS1G_bEUljE0_EEESZ_S10_S11_S18_S1C_S1E_T6_T7_T9_mT8_S1G_bDpT10_ENKUlT_T0_E_clISt17integral_constantIbLb1EES1T_IbLb0EEEEDaS1P_S1Q_EUlS1P_E_NS1_11comp_targetILNS1_3genE0ELNS1_11target_archE4294967295ELNS1_3gpuE0ELNS1_3repE0EEENS1_30default_config_static_selectorELNS0_4arch9wavefront6targetE0EEEvS12_
	.p2align	8
	.type	_ZN7rocprim17ROCPRIM_400000_NS6detail17trampoline_kernelINS0_13select_configILj256ELj13ELNS0_17block_load_methodE3ELS4_3ELS4_3ELNS0_20block_scan_algorithmE0ELj4294967295EEENS1_25partition_config_selectorILNS1_17partition_subalgoE4EjNS0_10empty_typeEbEEZZNS1_14partition_implILS8_4ELb0ES6_15HIP_vector_typeIjLj2EENS0_17counting_iteratorIjlEEPS9_SG_NS0_5tupleIJPjSI_NS0_16reverse_iteratorISI_EEEEENSH_IJSG_SG_SG_EEES9_SI_JZNS1_25segmented_radix_sort_implINS0_14default_configELb1EPKfPfPKlPlN2at6native12_GLOBAL__N_18offset_tEEE10hipError_tPvRmT1_PNSt15iterator_traitsIS12_E10value_typeET2_T3_PNS13_IS18_E10value_typeET4_jRbjT5_S1E_jjP12ihipStream_tbEUljE_ZNSN_ISO_Lb1ESQ_SR_ST_SU_SY_EESZ_S10_S11_S12_S16_S17_S18_S1B_S1C_jS1D_jS1E_S1E_jjS1G_bEUljE0_EEESZ_S10_S11_S18_S1C_S1E_T6_T7_T9_mT8_S1G_bDpT10_ENKUlT_T0_E_clISt17integral_constantIbLb1EES1T_IbLb0EEEEDaS1P_S1Q_EUlS1P_E_NS1_11comp_targetILNS1_3genE0ELNS1_11target_archE4294967295ELNS1_3gpuE0ELNS1_3repE0EEENS1_30default_config_static_selectorELNS0_4arch9wavefront6targetE0EEEvS12_,@function
_ZN7rocprim17ROCPRIM_400000_NS6detail17trampoline_kernelINS0_13select_configILj256ELj13ELNS0_17block_load_methodE3ELS4_3ELS4_3ELNS0_20block_scan_algorithmE0ELj4294967295EEENS1_25partition_config_selectorILNS1_17partition_subalgoE4EjNS0_10empty_typeEbEEZZNS1_14partition_implILS8_4ELb0ES6_15HIP_vector_typeIjLj2EENS0_17counting_iteratorIjlEEPS9_SG_NS0_5tupleIJPjSI_NS0_16reverse_iteratorISI_EEEEENSH_IJSG_SG_SG_EEES9_SI_JZNS1_25segmented_radix_sort_implINS0_14default_configELb1EPKfPfPKlPlN2at6native12_GLOBAL__N_18offset_tEEE10hipError_tPvRmT1_PNSt15iterator_traitsIS12_E10value_typeET2_T3_PNS13_IS18_E10value_typeET4_jRbjT5_S1E_jjP12ihipStream_tbEUljE_ZNSN_ISO_Lb1ESQ_SR_ST_SU_SY_EESZ_S10_S11_S12_S16_S17_S18_S1B_S1C_jS1D_jS1E_S1E_jjS1G_bEUljE0_EEESZ_S10_S11_S18_S1C_S1E_T6_T7_T9_mT8_S1G_bDpT10_ENKUlT_T0_E_clISt17integral_constantIbLb1EES1T_IbLb0EEEEDaS1P_S1Q_EUlS1P_E_NS1_11comp_targetILNS1_3genE0ELNS1_11target_archE4294967295ELNS1_3gpuE0ELNS1_3repE0EEENS1_30default_config_static_selectorELNS0_4arch9wavefront6targetE0EEEvS12_: ; @_ZN7rocprim17ROCPRIM_400000_NS6detail17trampoline_kernelINS0_13select_configILj256ELj13ELNS0_17block_load_methodE3ELS4_3ELS4_3ELNS0_20block_scan_algorithmE0ELj4294967295EEENS1_25partition_config_selectorILNS1_17partition_subalgoE4EjNS0_10empty_typeEbEEZZNS1_14partition_implILS8_4ELb0ES6_15HIP_vector_typeIjLj2EENS0_17counting_iteratorIjlEEPS9_SG_NS0_5tupleIJPjSI_NS0_16reverse_iteratorISI_EEEEENSH_IJSG_SG_SG_EEES9_SI_JZNS1_25segmented_radix_sort_implINS0_14default_configELb1EPKfPfPKlPlN2at6native12_GLOBAL__N_18offset_tEEE10hipError_tPvRmT1_PNSt15iterator_traitsIS12_E10value_typeET2_T3_PNS13_IS18_E10value_typeET4_jRbjT5_S1E_jjP12ihipStream_tbEUljE_ZNSN_ISO_Lb1ESQ_SR_ST_SU_SY_EESZ_S10_S11_S12_S16_S17_S18_S1B_S1C_jS1D_jS1E_S1E_jjS1G_bEUljE0_EEESZ_S10_S11_S18_S1C_S1E_T6_T7_T9_mT8_S1G_bDpT10_ENKUlT_T0_E_clISt17integral_constantIbLb1EES1T_IbLb0EEEEDaS1P_S1Q_EUlS1P_E_NS1_11comp_targetILNS1_3genE0ELNS1_11target_archE4294967295ELNS1_3gpuE0ELNS1_3repE0EEENS1_30default_config_static_selectorELNS0_4arch9wavefront6targetE0EEEvS12_
; %bb.0:
	.section	.rodata,"a",@progbits
	.p2align	6, 0x0
	.amdhsa_kernel _ZN7rocprim17ROCPRIM_400000_NS6detail17trampoline_kernelINS0_13select_configILj256ELj13ELNS0_17block_load_methodE3ELS4_3ELS4_3ELNS0_20block_scan_algorithmE0ELj4294967295EEENS1_25partition_config_selectorILNS1_17partition_subalgoE4EjNS0_10empty_typeEbEEZZNS1_14partition_implILS8_4ELb0ES6_15HIP_vector_typeIjLj2EENS0_17counting_iteratorIjlEEPS9_SG_NS0_5tupleIJPjSI_NS0_16reverse_iteratorISI_EEEEENSH_IJSG_SG_SG_EEES9_SI_JZNS1_25segmented_radix_sort_implINS0_14default_configELb1EPKfPfPKlPlN2at6native12_GLOBAL__N_18offset_tEEE10hipError_tPvRmT1_PNSt15iterator_traitsIS12_E10value_typeET2_T3_PNS13_IS18_E10value_typeET4_jRbjT5_S1E_jjP12ihipStream_tbEUljE_ZNSN_ISO_Lb1ESQ_SR_ST_SU_SY_EESZ_S10_S11_S12_S16_S17_S18_S1B_S1C_jS1D_jS1E_S1E_jjS1G_bEUljE0_EEESZ_S10_S11_S18_S1C_S1E_T6_T7_T9_mT8_S1G_bDpT10_ENKUlT_T0_E_clISt17integral_constantIbLb1EES1T_IbLb0EEEEDaS1P_S1Q_EUlS1P_E_NS1_11comp_targetILNS1_3genE0ELNS1_11target_archE4294967295ELNS1_3gpuE0ELNS1_3repE0EEENS1_30default_config_static_selectorELNS0_4arch9wavefront6targetE0EEEvS12_
		.amdhsa_group_segment_fixed_size 0
		.amdhsa_private_segment_fixed_size 0
		.amdhsa_kernarg_size 176
		.amdhsa_user_sgpr_count 6
		.amdhsa_user_sgpr_private_segment_buffer 1
		.amdhsa_user_sgpr_dispatch_ptr 0
		.amdhsa_user_sgpr_queue_ptr 0
		.amdhsa_user_sgpr_kernarg_segment_ptr 1
		.amdhsa_user_sgpr_dispatch_id 0
		.amdhsa_user_sgpr_flat_scratch_init 0
		.amdhsa_user_sgpr_private_segment_size 0
		.amdhsa_wavefront_size32 1
		.amdhsa_uses_dynamic_stack 0
		.amdhsa_system_sgpr_private_segment_wavefront_offset 0
		.amdhsa_system_sgpr_workgroup_id_x 1
		.amdhsa_system_sgpr_workgroup_id_y 0
		.amdhsa_system_sgpr_workgroup_id_z 0
		.amdhsa_system_sgpr_workgroup_info 0
		.amdhsa_system_vgpr_workitem_id 0
		.amdhsa_next_free_vgpr 1
		.amdhsa_next_free_sgpr 1
		.amdhsa_reserve_vcc 0
		.amdhsa_reserve_flat_scratch 0
		.amdhsa_float_round_mode_32 0
		.amdhsa_float_round_mode_16_64 0
		.amdhsa_float_denorm_mode_32 3
		.amdhsa_float_denorm_mode_16_64 3
		.amdhsa_dx10_clamp 1
		.amdhsa_ieee_mode 1
		.amdhsa_fp16_overflow 0
		.amdhsa_workgroup_processor_mode 1
		.amdhsa_memory_ordered 1
		.amdhsa_forward_progress 1
		.amdhsa_shared_vgpr_count 0
		.amdhsa_exception_fp_ieee_invalid_op 0
		.amdhsa_exception_fp_denorm_src 0
		.amdhsa_exception_fp_ieee_div_zero 0
		.amdhsa_exception_fp_ieee_overflow 0
		.amdhsa_exception_fp_ieee_underflow 0
		.amdhsa_exception_fp_ieee_inexact 0
		.amdhsa_exception_int_div_zero 0
	.end_amdhsa_kernel
	.section	.text._ZN7rocprim17ROCPRIM_400000_NS6detail17trampoline_kernelINS0_13select_configILj256ELj13ELNS0_17block_load_methodE3ELS4_3ELS4_3ELNS0_20block_scan_algorithmE0ELj4294967295EEENS1_25partition_config_selectorILNS1_17partition_subalgoE4EjNS0_10empty_typeEbEEZZNS1_14partition_implILS8_4ELb0ES6_15HIP_vector_typeIjLj2EENS0_17counting_iteratorIjlEEPS9_SG_NS0_5tupleIJPjSI_NS0_16reverse_iteratorISI_EEEEENSH_IJSG_SG_SG_EEES9_SI_JZNS1_25segmented_radix_sort_implINS0_14default_configELb1EPKfPfPKlPlN2at6native12_GLOBAL__N_18offset_tEEE10hipError_tPvRmT1_PNSt15iterator_traitsIS12_E10value_typeET2_T3_PNS13_IS18_E10value_typeET4_jRbjT5_S1E_jjP12ihipStream_tbEUljE_ZNSN_ISO_Lb1ESQ_SR_ST_SU_SY_EESZ_S10_S11_S12_S16_S17_S18_S1B_S1C_jS1D_jS1E_S1E_jjS1G_bEUljE0_EEESZ_S10_S11_S18_S1C_S1E_T6_T7_T9_mT8_S1G_bDpT10_ENKUlT_T0_E_clISt17integral_constantIbLb1EES1T_IbLb0EEEEDaS1P_S1Q_EUlS1P_E_NS1_11comp_targetILNS1_3genE0ELNS1_11target_archE4294967295ELNS1_3gpuE0ELNS1_3repE0EEENS1_30default_config_static_selectorELNS0_4arch9wavefront6targetE0EEEvS12_,"axG",@progbits,_ZN7rocprim17ROCPRIM_400000_NS6detail17trampoline_kernelINS0_13select_configILj256ELj13ELNS0_17block_load_methodE3ELS4_3ELS4_3ELNS0_20block_scan_algorithmE0ELj4294967295EEENS1_25partition_config_selectorILNS1_17partition_subalgoE4EjNS0_10empty_typeEbEEZZNS1_14partition_implILS8_4ELb0ES6_15HIP_vector_typeIjLj2EENS0_17counting_iteratorIjlEEPS9_SG_NS0_5tupleIJPjSI_NS0_16reverse_iteratorISI_EEEEENSH_IJSG_SG_SG_EEES9_SI_JZNS1_25segmented_radix_sort_implINS0_14default_configELb1EPKfPfPKlPlN2at6native12_GLOBAL__N_18offset_tEEE10hipError_tPvRmT1_PNSt15iterator_traitsIS12_E10value_typeET2_T3_PNS13_IS18_E10value_typeET4_jRbjT5_S1E_jjP12ihipStream_tbEUljE_ZNSN_ISO_Lb1ESQ_SR_ST_SU_SY_EESZ_S10_S11_S12_S16_S17_S18_S1B_S1C_jS1D_jS1E_S1E_jjS1G_bEUljE0_EEESZ_S10_S11_S18_S1C_S1E_T6_T7_T9_mT8_S1G_bDpT10_ENKUlT_T0_E_clISt17integral_constantIbLb1EES1T_IbLb0EEEEDaS1P_S1Q_EUlS1P_E_NS1_11comp_targetILNS1_3genE0ELNS1_11target_archE4294967295ELNS1_3gpuE0ELNS1_3repE0EEENS1_30default_config_static_selectorELNS0_4arch9wavefront6targetE0EEEvS12_,comdat
.Lfunc_end1269:
	.size	_ZN7rocprim17ROCPRIM_400000_NS6detail17trampoline_kernelINS0_13select_configILj256ELj13ELNS0_17block_load_methodE3ELS4_3ELS4_3ELNS0_20block_scan_algorithmE0ELj4294967295EEENS1_25partition_config_selectorILNS1_17partition_subalgoE4EjNS0_10empty_typeEbEEZZNS1_14partition_implILS8_4ELb0ES6_15HIP_vector_typeIjLj2EENS0_17counting_iteratorIjlEEPS9_SG_NS0_5tupleIJPjSI_NS0_16reverse_iteratorISI_EEEEENSH_IJSG_SG_SG_EEES9_SI_JZNS1_25segmented_radix_sort_implINS0_14default_configELb1EPKfPfPKlPlN2at6native12_GLOBAL__N_18offset_tEEE10hipError_tPvRmT1_PNSt15iterator_traitsIS12_E10value_typeET2_T3_PNS13_IS18_E10value_typeET4_jRbjT5_S1E_jjP12ihipStream_tbEUljE_ZNSN_ISO_Lb1ESQ_SR_ST_SU_SY_EESZ_S10_S11_S12_S16_S17_S18_S1B_S1C_jS1D_jS1E_S1E_jjS1G_bEUljE0_EEESZ_S10_S11_S18_S1C_S1E_T6_T7_T9_mT8_S1G_bDpT10_ENKUlT_T0_E_clISt17integral_constantIbLb1EES1T_IbLb0EEEEDaS1P_S1Q_EUlS1P_E_NS1_11comp_targetILNS1_3genE0ELNS1_11target_archE4294967295ELNS1_3gpuE0ELNS1_3repE0EEENS1_30default_config_static_selectorELNS0_4arch9wavefront6targetE0EEEvS12_, .Lfunc_end1269-_ZN7rocprim17ROCPRIM_400000_NS6detail17trampoline_kernelINS0_13select_configILj256ELj13ELNS0_17block_load_methodE3ELS4_3ELS4_3ELNS0_20block_scan_algorithmE0ELj4294967295EEENS1_25partition_config_selectorILNS1_17partition_subalgoE4EjNS0_10empty_typeEbEEZZNS1_14partition_implILS8_4ELb0ES6_15HIP_vector_typeIjLj2EENS0_17counting_iteratorIjlEEPS9_SG_NS0_5tupleIJPjSI_NS0_16reverse_iteratorISI_EEEEENSH_IJSG_SG_SG_EEES9_SI_JZNS1_25segmented_radix_sort_implINS0_14default_configELb1EPKfPfPKlPlN2at6native12_GLOBAL__N_18offset_tEEE10hipError_tPvRmT1_PNSt15iterator_traitsIS12_E10value_typeET2_T3_PNS13_IS18_E10value_typeET4_jRbjT5_S1E_jjP12ihipStream_tbEUljE_ZNSN_ISO_Lb1ESQ_SR_ST_SU_SY_EESZ_S10_S11_S12_S16_S17_S18_S1B_S1C_jS1D_jS1E_S1E_jjS1G_bEUljE0_EEESZ_S10_S11_S18_S1C_S1E_T6_T7_T9_mT8_S1G_bDpT10_ENKUlT_T0_E_clISt17integral_constantIbLb1EES1T_IbLb0EEEEDaS1P_S1Q_EUlS1P_E_NS1_11comp_targetILNS1_3genE0ELNS1_11target_archE4294967295ELNS1_3gpuE0ELNS1_3repE0EEENS1_30default_config_static_selectorELNS0_4arch9wavefront6targetE0EEEvS12_
                                        ; -- End function
	.set _ZN7rocprim17ROCPRIM_400000_NS6detail17trampoline_kernelINS0_13select_configILj256ELj13ELNS0_17block_load_methodE3ELS4_3ELS4_3ELNS0_20block_scan_algorithmE0ELj4294967295EEENS1_25partition_config_selectorILNS1_17partition_subalgoE4EjNS0_10empty_typeEbEEZZNS1_14partition_implILS8_4ELb0ES6_15HIP_vector_typeIjLj2EENS0_17counting_iteratorIjlEEPS9_SG_NS0_5tupleIJPjSI_NS0_16reverse_iteratorISI_EEEEENSH_IJSG_SG_SG_EEES9_SI_JZNS1_25segmented_radix_sort_implINS0_14default_configELb1EPKfPfPKlPlN2at6native12_GLOBAL__N_18offset_tEEE10hipError_tPvRmT1_PNSt15iterator_traitsIS12_E10value_typeET2_T3_PNS13_IS18_E10value_typeET4_jRbjT5_S1E_jjP12ihipStream_tbEUljE_ZNSN_ISO_Lb1ESQ_SR_ST_SU_SY_EESZ_S10_S11_S12_S16_S17_S18_S1B_S1C_jS1D_jS1E_S1E_jjS1G_bEUljE0_EEESZ_S10_S11_S18_S1C_S1E_T6_T7_T9_mT8_S1G_bDpT10_ENKUlT_T0_E_clISt17integral_constantIbLb1EES1T_IbLb0EEEEDaS1P_S1Q_EUlS1P_E_NS1_11comp_targetILNS1_3genE0ELNS1_11target_archE4294967295ELNS1_3gpuE0ELNS1_3repE0EEENS1_30default_config_static_selectorELNS0_4arch9wavefront6targetE0EEEvS12_.num_vgpr, 0
	.set _ZN7rocprim17ROCPRIM_400000_NS6detail17trampoline_kernelINS0_13select_configILj256ELj13ELNS0_17block_load_methodE3ELS4_3ELS4_3ELNS0_20block_scan_algorithmE0ELj4294967295EEENS1_25partition_config_selectorILNS1_17partition_subalgoE4EjNS0_10empty_typeEbEEZZNS1_14partition_implILS8_4ELb0ES6_15HIP_vector_typeIjLj2EENS0_17counting_iteratorIjlEEPS9_SG_NS0_5tupleIJPjSI_NS0_16reverse_iteratorISI_EEEEENSH_IJSG_SG_SG_EEES9_SI_JZNS1_25segmented_radix_sort_implINS0_14default_configELb1EPKfPfPKlPlN2at6native12_GLOBAL__N_18offset_tEEE10hipError_tPvRmT1_PNSt15iterator_traitsIS12_E10value_typeET2_T3_PNS13_IS18_E10value_typeET4_jRbjT5_S1E_jjP12ihipStream_tbEUljE_ZNSN_ISO_Lb1ESQ_SR_ST_SU_SY_EESZ_S10_S11_S12_S16_S17_S18_S1B_S1C_jS1D_jS1E_S1E_jjS1G_bEUljE0_EEESZ_S10_S11_S18_S1C_S1E_T6_T7_T9_mT8_S1G_bDpT10_ENKUlT_T0_E_clISt17integral_constantIbLb1EES1T_IbLb0EEEEDaS1P_S1Q_EUlS1P_E_NS1_11comp_targetILNS1_3genE0ELNS1_11target_archE4294967295ELNS1_3gpuE0ELNS1_3repE0EEENS1_30default_config_static_selectorELNS0_4arch9wavefront6targetE0EEEvS12_.num_agpr, 0
	.set _ZN7rocprim17ROCPRIM_400000_NS6detail17trampoline_kernelINS0_13select_configILj256ELj13ELNS0_17block_load_methodE3ELS4_3ELS4_3ELNS0_20block_scan_algorithmE0ELj4294967295EEENS1_25partition_config_selectorILNS1_17partition_subalgoE4EjNS0_10empty_typeEbEEZZNS1_14partition_implILS8_4ELb0ES6_15HIP_vector_typeIjLj2EENS0_17counting_iteratorIjlEEPS9_SG_NS0_5tupleIJPjSI_NS0_16reverse_iteratorISI_EEEEENSH_IJSG_SG_SG_EEES9_SI_JZNS1_25segmented_radix_sort_implINS0_14default_configELb1EPKfPfPKlPlN2at6native12_GLOBAL__N_18offset_tEEE10hipError_tPvRmT1_PNSt15iterator_traitsIS12_E10value_typeET2_T3_PNS13_IS18_E10value_typeET4_jRbjT5_S1E_jjP12ihipStream_tbEUljE_ZNSN_ISO_Lb1ESQ_SR_ST_SU_SY_EESZ_S10_S11_S12_S16_S17_S18_S1B_S1C_jS1D_jS1E_S1E_jjS1G_bEUljE0_EEESZ_S10_S11_S18_S1C_S1E_T6_T7_T9_mT8_S1G_bDpT10_ENKUlT_T0_E_clISt17integral_constantIbLb1EES1T_IbLb0EEEEDaS1P_S1Q_EUlS1P_E_NS1_11comp_targetILNS1_3genE0ELNS1_11target_archE4294967295ELNS1_3gpuE0ELNS1_3repE0EEENS1_30default_config_static_selectorELNS0_4arch9wavefront6targetE0EEEvS12_.numbered_sgpr, 0
	.set _ZN7rocprim17ROCPRIM_400000_NS6detail17trampoline_kernelINS0_13select_configILj256ELj13ELNS0_17block_load_methodE3ELS4_3ELS4_3ELNS0_20block_scan_algorithmE0ELj4294967295EEENS1_25partition_config_selectorILNS1_17partition_subalgoE4EjNS0_10empty_typeEbEEZZNS1_14partition_implILS8_4ELb0ES6_15HIP_vector_typeIjLj2EENS0_17counting_iteratorIjlEEPS9_SG_NS0_5tupleIJPjSI_NS0_16reverse_iteratorISI_EEEEENSH_IJSG_SG_SG_EEES9_SI_JZNS1_25segmented_radix_sort_implINS0_14default_configELb1EPKfPfPKlPlN2at6native12_GLOBAL__N_18offset_tEEE10hipError_tPvRmT1_PNSt15iterator_traitsIS12_E10value_typeET2_T3_PNS13_IS18_E10value_typeET4_jRbjT5_S1E_jjP12ihipStream_tbEUljE_ZNSN_ISO_Lb1ESQ_SR_ST_SU_SY_EESZ_S10_S11_S12_S16_S17_S18_S1B_S1C_jS1D_jS1E_S1E_jjS1G_bEUljE0_EEESZ_S10_S11_S18_S1C_S1E_T6_T7_T9_mT8_S1G_bDpT10_ENKUlT_T0_E_clISt17integral_constantIbLb1EES1T_IbLb0EEEEDaS1P_S1Q_EUlS1P_E_NS1_11comp_targetILNS1_3genE0ELNS1_11target_archE4294967295ELNS1_3gpuE0ELNS1_3repE0EEENS1_30default_config_static_selectorELNS0_4arch9wavefront6targetE0EEEvS12_.num_named_barrier, 0
	.set _ZN7rocprim17ROCPRIM_400000_NS6detail17trampoline_kernelINS0_13select_configILj256ELj13ELNS0_17block_load_methodE3ELS4_3ELS4_3ELNS0_20block_scan_algorithmE0ELj4294967295EEENS1_25partition_config_selectorILNS1_17partition_subalgoE4EjNS0_10empty_typeEbEEZZNS1_14partition_implILS8_4ELb0ES6_15HIP_vector_typeIjLj2EENS0_17counting_iteratorIjlEEPS9_SG_NS0_5tupleIJPjSI_NS0_16reverse_iteratorISI_EEEEENSH_IJSG_SG_SG_EEES9_SI_JZNS1_25segmented_radix_sort_implINS0_14default_configELb1EPKfPfPKlPlN2at6native12_GLOBAL__N_18offset_tEEE10hipError_tPvRmT1_PNSt15iterator_traitsIS12_E10value_typeET2_T3_PNS13_IS18_E10value_typeET4_jRbjT5_S1E_jjP12ihipStream_tbEUljE_ZNSN_ISO_Lb1ESQ_SR_ST_SU_SY_EESZ_S10_S11_S12_S16_S17_S18_S1B_S1C_jS1D_jS1E_S1E_jjS1G_bEUljE0_EEESZ_S10_S11_S18_S1C_S1E_T6_T7_T9_mT8_S1G_bDpT10_ENKUlT_T0_E_clISt17integral_constantIbLb1EES1T_IbLb0EEEEDaS1P_S1Q_EUlS1P_E_NS1_11comp_targetILNS1_3genE0ELNS1_11target_archE4294967295ELNS1_3gpuE0ELNS1_3repE0EEENS1_30default_config_static_selectorELNS0_4arch9wavefront6targetE0EEEvS12_.private_seg_size, 0
	.set _ZN7rocprim17ROCPRIM_400000_NS6detail17trampoline_kernelINS0_13select_configILj256ELj13ELNS0_17block_load_methodE3ELS4_3ELS4_3ELNS0_20block_scan_algorithmE0ELj4294967295EEENS1_25partition_config_selectorILNS1_17partition_subalgoE4EjNS0_10empty_typeEbEEZZNS1_14partition_implILS8_4ELb0ES6_15HIP_vector_typeIjLj2EENS0_17counting_iteratorIjlEEPS9_SG_NS0_5tupleIJPjSI_NS0_16reverse_iteratorISI_EEEEENSH_IJSG_SG_SG_EEES9_SI_JZNS1_25segmented_radix_sort_implINS0_14default_configELb1EPKfPfPKlPlN2at6native12_GLOBAL__N_18offset_tEEE10hipError_tPvRmT1_PNSt15iterator_traitsIS12_E10value_typeET2_T3_PNS13_IS18_E10value_typeET4_jRbjT5_S1E_jjP12ihipStream_tbEUljE_ZNSN_ISO_Lb1ESQ_SR_ST_SU_SY_EESZ_S10_S11_S12_S16_S17_S18_S1B_S1C_jS1D_jS1E_S1E_jjS1G_bEUljE0_EEESZ_S10_S11_S18_S1C_S1E_T6_T7_T9_mT8_S1G_bDpT10_ENKUlT_T0_E_clISt17integral_constantIbLb1EES1T_IbLb0EEEEDaS1P_S1Q_EUlS1P_E_NS1_11comp_targetILNS1_3genE0ELNS1_11target_archE4294967295ELNS1_3gpuE0ELNS1_3repE0EEENS1_30default_config_static_selectorELNS0_4arch9wavefront6targetE0EEEvS12_.uses_vcc, 0
	.set _ZN7rocprim17ROCPRIM_400000_NS6detail17trampoline_kernelINS0_13select_configILj256ELj13ELNS0_17block_load_methodE3ELS4_3ELS4_3ELNS0_20block_scan_algorithmE0ELj4294967295EEENS1_25partition_config_selectorILNS1_17partition_subalgoE4EjNS0_10empty_typeEbEEZZNS1_14partition_implILS8_4ELb0ES6_15HIP_vector_typeIjLj2EENS0_17counting_iteratorIjlEEPS9_SG_NS0_5tupleIJPjSI_NS0_16reverse_iteratorISI_EEEEENSH_IJSG_SG_SG_EEES9_SI_JZNS1_25segmented_radix_sort_implINS0_14default_configELb1EPKfPfPKlPlN2at6native12_GLOBAL__N_18offset_tEEE10hipError_tPvRmT1_PNSt15iterator_traitsIS12_E10value_typeET2_T3_PNS13_IS18_E10value_typeET4_jRbjT5_S1E_jjP12ihipStream_tbEUljE_ZNSN_ISO_Lb1ESQ_SR_ST_SU_SY_EESZ_S10_S11_S12_S16_S17_S18_S1B_S1C_jS1D_jS1E_S1E_jjS1G_bEUljE0_EEESZ_S10_S11_S18_S1C_S1E_T6_T7_T9_mT8_S1G_bDpT10_ENKUlT_T0_E_clISt17integral_constantIbLb1EES1T_IbLb0EEEEDaS1P_S1Q_EUlS1P_E_NS1_11comp_targetILNS1_3genE0ELNS1_11target_archE4294967295ELNS1_3gpuE0ELNS1_3repE0EEENS1_30default_config_static_selectorELNS0_4arch9wavefront6targetE0EEEvS12_.uses_flat_scratch, 0
	.set _ZN7rocprim17ROCPRIM_400000_NS6detail17trampoline_kernelINS0_13select_configILj256ELj13ELNS0_17block_load_methodE3ELS4_3ELS4_3ELNS0_20block_scan_algorithmE0ELj4294967295EEENS1_25partition_config_selectorILNS1_17partition_subalgoE4EjNS0_10empty_typeEbEEZZNS1_14partition_implILS8_4ELb0ES6_15HIP_vector_typeIjLj2EENS0_17counting_iteratorIjlEEPS9_SG_NS0_5tupleIJPjSI_NS0_16reverse_iteratorISI_EEEEENSH_IJSG_SG_SG_EEES9_SI_JZNS1_25segmented_radix_sort_implINS0_14default_configELb1EPKfPfPKlPlN2at6native12_GLOBAL__N_18offset_tEEE10hipError_tPvRmT1_PNSt15iterator_traitsIS12_E10value_typeET2_T3_PNS13_IS18_E10value_typeET4_jRbjT5_S1E_jjP12ihipStream_tbEUljE_ZNSN_ISO_Lb1ESQ_SR_ST_SU_SY_EESZ_S10_S11_S12_S16_S17_S18_S1B_S1C_jS1D_jS1E_S1E_jjS1G_bEUljE0_EEESZ_S10_S11_S18_S1C_S1E_T6_T7_T9_mT8_S1G_bDpT10_ENKUlT_T0_E_clISt17integral_constantIbLb1EES1T_IbLb0EEEEDaS1P_S1Q_EUlS1P_E_NS1_11comp_targetILNS1_3genE0ELNS1_11target_archE4294967295ELNS1_3gpuE0ELNS1_3repE0EEENS1_30default_config_static_selectorELNS0_4arch9wavefront6targetE0EEEvS12_.has_dyn_sized_stack, 0
	.set _ZN7rocprim17ROCPRIM_400000_NS6detail17trampoline_kernelINS0_13select_configILj256ELj13ELNS0_17block_load_methodE3ELS4_3ELS4_3ELNS0_20block_scan_algorithmE0ELj4294967295EEENS1_25partition_config_selectorILNS1_17partition_subalgoE4EjNS0_10empty_typeEbEEZZNS1_14partition_implILS8_4ELb0ES6_15HIP_vector_typeIjLj2EENS0_17counting_iteratorIjlEEPS9_SG_NS0_5tupleIJPjSI_NS0_16reverse_iteratorISI_EEEEENSH_IJSG_SG_SG_EEES9_SI_JZNS1_25segmented_radix_sort_implINS0_14default_configELb1EPKfPfPKlPlN2at6native12_GLOBAL__N_18offset_tEEE10hipError_tPvRmT1_PNSt15iterator_traitsIS12_E10value_typeET2_T3_PNS13_IS18_E10value_typeET4_jRbjT5_S1E_jjP12ihipStream_tbEUljE_ZNSN_ISO_Lb1ESQ_SR_ST_SU_SY_EESZ_S10_S11_S12_S16_S17_S18_S1B_S1C_jS1D_jS1E_S1E_jjS1G_bEUljE0_EEESZ_S10_S11_S18_S1C_S1E_T6_T7_T9_mT8_S1G_bDpT10_ENKUlT_T0_E_clISt17integral_constantIbLb1EES1T_IbLb0EEEEDaS1P_S1Q_EUlS1P_E_NS1_11comp_targetILNS1_3genE0ELNS1_11target_archE4294967295ELNS1_3gpuE0ELNS1_3repE0EEENS1_30default_config_static_selectorELNS0_4arch9wavefront6targetE0EEEvS12_.has_recursion, 0
	.set _ZN7rocprim17ROCPRIM_400000_NS6detail17trampoline_kernelINS0_13select_configILj256ELj13ELNS0_17block_load_methodE3ELS4_3ELS4_3ELNS0_20block_scan_algorithmE0ELj4294967295EEENS1_25partition_config_selectorILNS1_17partition_subalgoE4EjNS0_10empty_typeEbEEZZNS1_14partition_implILS8_4ELb0ES6_15HIP_vector_typeIjLj2EENS0_17counting_iteratorIjlEEPS9_SG_NS0_5tupleIJPjSI_NS0_16reverse_iteratorISI_EEEEENSH_IJSG_SG_SG_EEES9_SI_JZNS1_25segmented_radix_sort_implINS0_14default_configELb1EPKfPfPKlPlN2at6native12_GLOBAL__N_18offset_tEEE10hipError_tPvRmT1_PNSt15iterator_traitsIS12_E10value_typeET2_T3_PNS13_IS18_E10value_typeET4_jRbjT5_S1E_jjP12ihipStream_tbEUljE_ZNSN_ISO_Lb1ESQ_SR_ST_SU_SY_EESZ_S10_S11_S12_S16_S17_S18_S1B_S1C_jS1D_jS1E_S1E_jjS1G_bEUljE0_EEESZ_S10_S11_S18_S1C_S1E_T6_T7_T9_mT8_S1G_bDpT10_ENKUlT_T0_E_clISt17integral_constantIbLb1EES1T_IbLb0EEEEDaS1P_S1Q_EUlS1P_E_NS1_11comp_targetILNS1_3genE0ELNS1_11target_archE4294967295ELNS1_3gpuE0ELNS1_3repE0EEENS1_30default_config_static_selectorELNS0_4arch9wavefront6targetE0EEEvS12_.has_indirect_call, 0
	.section	.AMDGPU.csdata,"",@progbits
; Kernel info:
; codeLenInByte = 0
; TotalNumSgprs: 0
; NumVgprs: 0
; ScratchSize: 0
; MemoryBound: 0
; FloatMode: 240
; IeeeMode: 1
; LDSByteSize: 0 bytes/workgroup (compile time only)
; SGPRBlocks: 0
; VGPRBlocks: 0
; NumSGPRsForWavesPerEU: 1
; NumVGPRsForWavesPerEU: 1
; Occupancy: 16
; WaveLimiterHint : 0
; COMPUTE_PGM_RSRC2:SCRATCH_EN: 0
; COMPUTE_PGM_RSRC2:USER_SGPR: 6
; COMPUTE_PGM_RSRC2:TRAP_HANDLER: 0
; COMPUTE_PGM_RSRC2:TGID_X_EN: 1
; COMPUTE_PGM_RSRC2:TGID_Y_EN: 0
; COMPUTE_PGM_RSRC2:TGID_Z_EN: 0
; COMPUTE_PGM_RSRC2:TIDIG_COMP_CNT: 0
	.section	.text._ZN7rocprim17ROCPRIM_400000_NS6detail17trampoline_kernelINS0_13select_configILj256ELj13ELNS0_17block_load_methodE3ELS4_3ELS4_3ELNS0_20block_scan_algorithmE0ELj4294967295EEENS1_25partition_config_selectorILNS1_17partition_subalgoE4EjNS0_10empty_typeEbEEZZNS1_14partition_implILS8_4ELb0ES6_15HIP_vector_typeIjLj2EENS0_17counting_iteratorIjlEEPS9_SG_NS0_5tupleIJPjSI_NS0_16reverse_iteratorISI_EEEEENSH_IJSG_SG_SG_EEES9_SI_JZNS1_25segmented_radix_sort_implINS0_14default_configELb1EPKfPfPKlPlN2at6native12_GLOBAL__N_18offset_tEEE10hipError_tPvRmT1_PNSt15iterator_traitsIS12_E10value_typeET2_T3_PNS13_IS18_E10value_typeET4_jRbjT5_S1E_jjP12ihipStream_tbEUljE_ZNSN_ISO_Lb1ESQ_SR_ST_SU_SY_EESZ_S10_S11_S12_S16_S17_S18_S1B_S1C_jS1D_jS1E_S1E_jjS1G_bEUljE0_EEESZ_S10_S11_S18_S1C_S1E_T6_T7_T9_mT8_S1G_bDpT10_ENKUlT_T0_E_clISt17integral_constantIbLb1EES1T_IbLb0EEEEDaS1P_S1Q_EUlS1P_E_NS1_11comp_targetILNS1_3genE5ELNS1_11target_archE942ELNS1_3gpuE9ELNS1_3repE0EEENS1_30default_config_static_selectorELNS0_4arch9wavefront6targetE0EEEvS12_,"axG",@progbits,_ZN7rocprim17ROCPRIM_400000_NS6detail17trampoline_kernelINS0_13select_configILj256ELj13ELNS0_17block_load_methodE3ELS4_3ELS4_3ELNS0_20block_scan_algorithmE0ELj4294967295EEENS1_25partition_config_selectorILNS1_17partition_subalgoE4EjNS0_10empty_typeEbEEZZNS1_14partition_implILS8_4ELb0ES6_15HIP_vector_typeIjLj2EENS0_17counting_iteratorIjlEEPS9_SG_NS0_5tupleIJPjSI_NS0_16reverse_iteratorISI_EEEEENSH_IJSG_SG_SG_EEES9_SI_JZNS1_25segmented_radix_sort_implINS0_14default_configELb1EPKfPfPKlPlN2at6native12_GLOBAL__N_18offset_tEEE10hipError_tPvRmT1_PNSt15iterator_traitsIS12_E10value_typeET2_T3_PNS13_IS18_E10value_typeET4_jRbjT5_S1E_jjP12ihipStream_tbEUljE_ZNSN_ISO_Lb1ESQ_SR_ST_SU_SY_EESZ_S10_S11_S12_S16_S17_S18_S1B_S1C_jS1D_jS1E_S1E_jjS1G_bEUljE0_EEESZ_S10_S11_S18_S1C_S1E_T6_T7_T9_mT8_S1G_bDpT10_ENKUlT_T0_E_clISt17integral_constantIbLb1EES1T_IbLb0EEEEDaS1P_S1Q_EUlS1P_E_NS1_11comp_targetILNS1_3genE5ELNS1_11target_archE942ELNS1_3gpuE9ELNS1_3repE0EEENS1_30default_config_static_selectorELNS0_4arch9wavefront6targetE0EEEvS12_,comdat
	.globl	_ZN7rocprim17ROCPRIM_400000_NS6detail17trampoline_kernelINS0_13select_configILj256ELj13ELNS0_17block_load_methodE3ELS4_3ELS4_3ELNS0_20block_scan_algorithmE0ELj4294967295EEENS1_25partition_config_selectorILNS1_17partition_subalgoE4EjNS0_10empty_typeEbEEZZNS1_14partition_implILS8_4ELb0ES6_15HIP_vector_typeIjLj2EENS0_17counting_iteratorIjlEEPS9_SG_NS0_5tupleIJPjSI_NS0_16reverse_iteratorISI_EEEEENSH_IJSG_SG_SG_EEES9_SI_JZNS1_25segmented_radix_sort_implINS0_14default_configELb1EPKfPfPKlPlN2at6native12_GLOBAL__N_18offset_tEEE10hipError_tPvRmT1_PNSt15iterator_traitsIS12_E10value_typeET2_T3_PNS13_IS18_E10value_typeET4_jRbjT5_S1E_jjP12ihipStream_tbEUljE_ZNSN_ISO_Lb1ESQ_SR_ST_SU_SY_EESZ_S10_S11_S12_S16_S17_S18_S1B_S1C_jS1D_jS1E_S1E_jjS1G_bEUljE0_EEESZ_S10_S11_S18_S1C_S1E_T6_T7_T9_mT8_S1G_bDpT10_ENKUlT_T0_E_clISt17integral_constantIbLb1EES1T_IbLb0EEEEDaS1P_S1Q_EUlS1P_E_NS1_11comp_targetILNS1_3genE5ELNS1_11target_archE942ELNS1_3gpuE9ELNS1_3repE0EEENS1_30default_config_static_selectorELNS0_4arch9wavefront6targetE0EEEvS12_ ; -- Begin function _ZN7rocprim17ROCPRIM_400000_NS6detail17trampoline_kernelINS0_13select_configILj256ELj13ELNS0_17block_load_methodE3ELS4_3ELS4_3ELNS0_20block_scan_algorithmE0ELj4294967295EEENS1_25partition_config_selectorILNS1_17partition_subalgoE4EjNS0_10empty_typeEbEEZZNS1_14partition_implILS8_4ELb0ES6_15HIP_vector_typeIjLj2EENS0_17counting_iteratorIjlEEPS9_SG_NS0_5tupleIJPjSI_NS0_16reverse_iteratorISI_EEEEENSH_IJSG_SG_SG_EEES9_SI_JZNS1_25segmented_radix_sort_implINS0_14default_configELb1EPKfPfPKlPlN2at6native12_GLOBAL__N_18offset_tEEE10hipError_tPvRmT1_PNSt15iterator_traitsIS12_E10value_typeET2_T3_PNS13_IS18_E10value_typeET4_jRbjT5_S1E_jjP12ihipStream_tbEUljE_ZNSN_ISO_Lb1ESQ_SR_ST_SU_SY_EESZ_S10_S11_S12_S16_S17_S18_S1B_S1C_jS1D_jS1E_S1E_jjS1G_bEUljE0_EEESZ_S10_S11_S18_S1C_S1E_T6_T7_T9_mT8_S1G_bDpT10_ENKUlT_T0_E_clISt17integral_constantIbLb1EES1T_IbLb0EEEEDaS1P_S1Q_EUlS1P_E_NS1_11comp_targetILNS1_3genE5ELNS1_11target_archE942ELNS1_3gpuE9ELNS1_3repE0EEENS1_30default_config_static_selectorELNS0_4arch9wavefront6targetE0EEEvS12_
	.p2align	8
	.type	_ZN7rocprim17ROCPRIM_400000_NS6detail17trampoline_kernelINS0_13select_configILj256ELj13ELNS0_17block_load_methodE3ELS4_3ELS4_3ELNS0_20block_scan_algorithmE0ELj4294967295EEENS1_25partition_config_selectorILNS1_17partition_subalgoE4EjNS0_10empty_typeEbEEZZNS1_14partition_implILS8_4ELb0ES6_15HIP_vector_typeIjLj2EENS0_17counting_iteratorIjlEEPS9_SG_NS0_5tupleIJPjSI_NS0_16reverse_iteratorISI_EEEEENSH_IJSG_SG_SG_EEES9_SI_JZNS1_25segmented_radix_sort_implINS0_14default_configELb1EPKfPfPKlPlN2at6native12_GLOBAL__N_18offset_tEEE10hipError_tPvRmT1_PNSt15iterator_traitsIS12_E10value_typeET2_T3_PNS13_IS18_E10value_typeET4_jRbjT5_S1E_jjP12ihipStream_tbEUljE_ZNSN_ISO_Lb1ESQ_SR_ST_SU_SY_EESZ_S10_S11_S12_S16_S17_S18_S1B_S1C_jS1D_jS1E_S1E_jjS1G_bEUljE0_EEESZ_S10_S11_S18_S1C_S1E_T6_T7_T9_mT8_S1G_bDpT10_ENKUlT_T0_E_clISt17integral_constantIbLb1EES1T_IbLb0EEEEDaS1P_S1Q_EUlS1P_E_NS1_11comp_targetILNS1_3genE5ELNS1_11target_archE942ELNS1_3gpuE9ELNS1_3repE0EEENS1_30default_config_static_selectorELNS0_4arch9wavefront6targetE0EEEvS12_,@function
_ZN7rocprim17ROCPRIM_400000_NS6detail17trampoline_kernelINS0_13select_configILj256ELj13ELNS0_17block_load_methodE3ELS4_3ELS4_3ELNS0_20block_scan_algorithmE0ELj4294967295EEENS1_25partition_config_selectorILNS1_17partition_subalgoE4EjNS0_10empty_typeEbEEZZNS1_14partition_implILS8_4ELb0ES6_15HIP_vector_typeIjLj2EENS0_17counting_iteratorIjlEEPS9_SG_NS0_5tupleIJPjSI_NS0_16reverse_iteratorISI_EEEEENSH_IJSG_SG_SG_EEES9_SI_JZNS1_25segmented_radix_sort_implINS0_14default_configELb1EPKfPfPKlPlN2at6native12_GLOBAL__N_18offset_tEEE10hipError_tPvRmT1_PNSt15iterator_traitsIS12_E10value_typeET2_T3_PNS13_IS18_E10value_typeET4_jRbjT5_S1E_jjP12ihipStream_tbEUljE_ZNSN_ISO_Lb1ESQ_SR_ST_SU_SY_EESZ_S10_S11_S12_S16_S17_S18_S1B_S1C_jS1D_jS1E_S1E_jjS1G_bEUljE0_EEESZ_S10_S11_S18_S1C_S1E_T6_T7_T9_mT8_S1G_bDpT10_ENKUlT_T0_E_clISt17integral_constantIbLb1EES1T_IbLb0EEEEDaS1P_S1Q_EUlS1P_E_NS1_11comp_targetILNS1_3genE5ELNS1_11target_archE942ELNS1_3gpuE9ELNS1_3repE0EEENS1_30default_config_static_selectorELNS0_4arch9wavefront6targetE0EEEvS12_: ; @_ZN7rocprim17ROCPRIM_400000_NS6detail17trampoline_kernelINS0_13select_configILj256ELj13ELNS0_17block_load_methodE3ELS4_3ELS4_3ELNS0_20block_scan_algorithmE0ELj4294967295EEENS1_25partition_config_selectorILNS1_17partition_subalgoE4EjNS0_10empty_typeEbEEZZNS1_14partition_implILS8_4ELb0ES6_15HIP_vector_typeIjLj2EENS0_17counting_iteratorIjlEEPS9_SG_NS0_5tupleIJPjSI_NS0_16reverse_iteratorISI_EEEEENSH_IJSG_SG_SG_EEES9_SI_JZNS1_25segmented_radix_sort_implINS0_14default_configELb1EPKfPfPKlPlN2at6native12_GLOBAL__N_18offset_tEEE10hipError_tPvRmT1_PNSt15iterator_traitsIS12_E10value_typeET2_T3_PNS13_IS18_E10value_typeET4_jRbjT5_S1E_jjP12ihipStream_tbEUljE_ZNSN_ISO_Lb1ESQ_SR_ST_SU_SY_EESZ_S10_S11_S12_S16_S17_S18_S1B_S1C_jS1D_jS1E_S1E_jjS1G_bEUljE0_EEESZ_S10_S11_S18_S1C_S1E_T6_T7_T9_mT8_S1G_bDpT10_ENKUlT_T0_E_clISt17integral_constantIbLb1EES1T_IbLb0EEEEDaS1P_S1Q_EUlS1P_E_NS1_11comp_targetILNS1_3genE5ELNS1_11target_archE942ELNS1_3gpuE9ELNS1_3repE0EEENS1_30default_config_static_selectorELNS0_4arch9wavefront6targetE0EEEvS12_
; %bb.0:
	.section	.rodata,"a",@progbits
	.p2align	6, 0x0
	.amdhsa_kernel _ZN7rocprim17ROCPRIM_400000_NS6detail17trampoline_kernelINS0_13select_configILj256ELj13ELNS0_17block_load_methodE3ELS4_3ELS4_3ELNS0_20block_scan_algorithmE0ELj4294967295EEENS1_25partition_config_selectorILNS1_17partition_subalgoE4EjNS0_10empty_typeEbEEZZNS1_14partition_implILS8_4ELb0ES6_15HIP_vector_typeIjLj2EENS0_17counting_iteratorIjlEEPS9_SG_NS0_5tupleIJPjSI_NS0_16reverse_iteratorISI_EEEEENSH_IJSG_SG_SG_EEES9_SI_JZNS1_25segmented_radix_sort_implINS0_14default_configELb1EPKfPfPKlPlN2at6native12_GLOBAL__N_18offset_tEEE10hipError_tPvRmT1_PNSt15iterator_traitsIS12_E10value_typeET2_T3_PNS13_IS18_E10value_typeET4_jRbjT5_S1E_jjP12ihipStream_tbEUljE_ZNSN_ISO_Lb1ESQ_SR_ST_SU_SY_EESZ_S10_S11_S12_S16_S17_S18_S1B_S1C_jS1D_jS1E_S1E_jjS1G_bEUljE0_EEESZ_S10_S11_S18_S1C_S1E_T6_T7_T9_mT8_S1G_bDpT10_ENKUlT_T0_E_clISt17integral_constantIbLb1EES1T_IbLb0EEEEDaS1P_S1Q_EUlS1P_E_NS1_11comp_targetILNS1_3genE5ELNS1_11target_archE942ELNS1_3gpuE9ELNS1_3repE0EEENS1_30default_config_static_selectorELNS0_4arch9wavefront6targetE0EEEvS12_
		.amdhsa_group_segment_fixed_size 0
		.amdhsa_private_segment_fixed_size 0
		.amdhsa_kernarg_size 176
		.amdhsa_user_sgpr_count 6
		.amdhsa_user_sgpr_private_segment_buffer 1
		.amdhsa_user_sgpr_dispatch_ptr 0
		.amdhsa_user_sgpr_queue_ptr 0
		.amdhsa_user_sgpr_kernarg_segment_ptr 1
		.amdhsa_user_sgpr_dispatch_id 0
		.amdhsa_user_sgpr_flat_scratch_init 0
		.amdhsa_user_sgpr_private_segment_size 0
		.amdhsa_wavefront_size32 1
		.amdhsa_uses_dynamic_stack 0
		.amdhsa_system_sgpr_private_segment_wavefront_offset 0
		.amdhsa_system_sgpr_workgroup_id_x 1
		.amdhsa_system_sgpr_workgroup_id_y 0
		.amdhsa_system_sgpr_workgroup_id_z 0
		.amdhsa_system_sgpr_workgroup_info 0
		.amdhsa_system_vgpr_workitem_id 0
		.amdhsa_next_free_vgpr 1
		.amdhsa_next_free_sgpr 1
		.amdhsa_reserve_vcc 0
		.amdhsa_reserve_flat_scratch 0
		.amdhsa_float_round_mode_32 0
		.amdhsa_float_round_mode_16_64 0
		.amdhsa_float_denorm_mode_32 3
		.amdhsa_float_denorm_mode_16_64 3
		.amdhsa_dx10_clamp 1
		.amdhsa_ieee_mode 1
		.amdhsa_fp16_overflow 0
		.amdhsa_workgroup_processor_mode 1
		.amdhsa_memory_ordered 1
		.amdhsa_forward_progress 1
		.amdhsa_shared_vgpr_count 0
		.amdhsa_exception_fp_ieee_invalid_op 0
		.amdhsa_exception_fp_denorm_src 0
		.amdhsa_exception_fp_ieee_div_zero 0
		.amdhsa_exception_fp_ieee_overflow 0
		.amdhsa_exception_fp_ieee_underflow 0
		.amdhsa_exception_fp_ieee_inexact 0
		.amdhsa_exception_int_div_zero 0
	.end_amdhsa_kernel
	.section	.text._ZN7rocprim17ROCPRIM_400000_NS6detail17trampoline_kernelINS0_13select_configILj256ELj13ELNS0_17block_load_methodE3ELS4_3ELS4_3ELNS0_20block_scan_algorithmE0ELj4294967295EEENS1_25partition_config_selectorILNS1_17partition_subalgoE4EjNS0_10empty_typeEbEEZZNS1_14partition_implILS8_4ELb0ES6_15HIP_vector_typeIjLj2EENS0_17counting_iteratorIjlEEPS9_SG_NS0_5tupleIJPjSI_NS0_16reverse_iteratorISI_EEEEENSH_IJSG_SG_SG_EEES9_SI_JZNS1_25segmented_radix_sort_implINS0_14default_configELb1EPKfPfPKlPlN2at6native12_GLOBAL__N_18offset_tEEE10hipError_tPvRmT1_PNSt15iterator_traitsIS12_E10value_typeET2_T3_PNS13_IS18_E10value_typeET4_jRbjT5_S1E_jjP12ihipStream_tbEUljE_ZNSN_ISO_Lb1ESQ_SR_ST_SU_SY_EESZ_S10_S11_S12_S16_S17_S18_S1B_S1C_jS1D_jS1E_S1E_jjS1G_bEUljE0_EEESZ_S10_S11_S18_S1C_S1E_T6_T7_T9_mT8_S1G_bDpT10_ENKUlT_T0_E_clISt17integral_constantIbLb1EES1T_IbLb0EEEEDaS1P_S1Q_EUlS1P_E_NS1_11comp_targetILNS1_3genE5ELNS1_11target_archE942ELNS1_3gpuE9ELNS1_3repE0EEENS1_30default_config_static_selectorELNS0_4arch9wavefront6targetE0EEEvS12_,"axG",@progbits,_ZN7rocprim17ROCPRIM_400000_NS6detail17trampoline_kernelINS0_13select_configILj256ELj13ELNS0_17block_load_methodE3ELS4_3ELS4_3ELNS0_20block_scan_algorithmE0ELj4294967295EEENS1_25partition_config_selectorILNS1_17partition_subalgoE4EjNS0_10empty_typeEbEEZZNS1_14partition_implILS8_4ELb0ES6_15HIP_vector_typeIjLj2EENS0_17counting_iteratorIjlEEPS9_SG_NS0_5tupleIJPjSI_NS0_16reverse_iteratorISI_EEEEENSH_IJSG_SG_SG_EEES9_SI_JZNS1_25segmented_radix_sort_implINS0_14default_configELb1EPKfPfPKlPlN2at6native12_GLOBAL__N_18offset_tEEE10hipError_tPvRmT1_PNSt15iterator_traitsIS12_E10value_typeET2_T3_PNS13_IS18_E10value_typeET4_jRbjT5_S1E_jjP12ihipStream_tbEUljE_ZNSN_ISO_Lb1ESQ_SR_ST_SU_SY_EESZ_S10_S11_S12_S16_S17_S18_S1B_S1C_jS1D_jS1E_S1E_jjS1G_bEUljE0_EEESZ_S10_S11_S18_S1C_S1E_T6_T7_T9_mT8_S1G_bDpT10_ENKUlT_T0_E_clISt17integral_constantIbLb1EES1T_IbLb0EEEEDaS1P_S1Q_EUlS1P_E_NS1_11comp_targetILNS1_3genE5ELNS1_11target_archE942ELNS1_3gpuE9ELNS1_3repE0EEENS1_30default_config_static_selectorELNS0_4arch9wavefront6targetE0EEEvS12_,comdat
.Lfunc_end1270:
	.size	_ZN7rocprim17ROCPRIM_400000_NS6detail17trampoline_kernelINS0_13select_configILj256ELj13ELNS0_17block_load_methodE3ELS4_3ELS4_3ELNS0_20block_scan_algorithmE0ELj4294967295EEENS1_25partition_config_selectorILNS1_17partition_subalgoE4EjNS0_10empty_typeEbEEZZNS1_14partition_implILS8_4ELb0ES6_15HIP_vector_typeIjLj2EENS0_17counting_iteratorIjlEEPS9_SG_NS0_5tupleIJPjSI_NS0_16reverse_iteratorISI_EEEEENSH_IJSG_SG_SG_EEES9_SI_JZNS1_25segmented_radix_sort_implINS0_14default_configELb1EPKfPfPKlPlN2at6native12_GLOBAL__N_18offset_tEEE10hipError_tPvRmT1_PNSt15iterator_traitsIS12_E10value_typeET2_T3_PNS13_IS18_E10value_typeET4_jRbjT5_S1E_jjP12ihipStream_tbEUljE_ZNSN_ISO_Lb1ESQ_SR_ST_SU_SY_EESZ_S10_S11_S12_S16_S17_S18_S1B_S1C_jS1D_jS1E_S1E_jjS1G_bEUljE0_EEESZ_S10_S11_S18_S1C_S1E_T6_T7_T9_mT8_S1G_bDpT10_ENKUlT_T0_E_clISt17integral_constantIbLb1EES1T_IbLb0EEEEDaS1P_S1Q_EUlS1P_E_NS1_11comp_targetILNS1_3genE5ELNS1_11target_archE942ELNS1_3gpuE9ELNS1_3repE0EEENS1_30default_config_static_selectorELNS0_4arch9wavefront6targetE0EEEvS12_, .Lfunc_end1270-_ZN7rocprim17ROCPRIM_400000_NS6detail17trampoline_kernelINS0_13select_configILj256ELj13ELNS0_17block_load_methodE3ELS4_3ELS4_3ELNS0_20block_scan_algorithmE0ELj4294967295EEENS1_25partition_config_selectorILNS1_17partition_subalgoE4EjNS0_10empty_typeEbEEZZNS1_14partition_implILS8_4ELb0ES6_15HIP_vector_typeIjLj2EENS0_17counting_iteratorIjlEEPS9_SG_NS0_5tupleIJPjSI_NS0_16reverse_iteratorISI_EEEEENSH_IJSG_SG_SG_EEES9_SI_JZNS1_25segmented_radix_sort_implINS0_14default_configELb1EPKfPfPKlPlN2at6native12_GLOBAL__N_18offset_tEEE10hipError_tPvRmT1_PNSt15iterator_traitsIS12_E10value_typeET2_T3_PNS13_IS18_E10value_typeET4_jRbjT5_S1E_jjP12ihipStream_tbEUljE_ZNSN_ISO_Lb1ESQ_SR_ST_SU_SY_EESZ_S10_S11_S12_S16_S17_S18_S1B_S1C_jS1D_jS1E_S1E_jjS1G_bEUljE0_EEESZ_S10_S11_S18_S1C_S1E_T6_T7_T9_mT8_S1G_bDpT10_ENKUlT_T0_E_clISt17integral_constantIbLb1EES1T_IbLb0EEEEDaS1P_S1Q_EUlS1P_E_NS1_11comp_targetILNS1_3genE5ELNS1_11target_archE942ELNS1_3gpuE9ELNS1_3repE0EEENS1_30default_config_static_selectorELNS0_4arch9wavefront6targetE0EEEvS12_
                                        ; -- End function
	.set _ZN7rocprim17ROCPRIM_400000_NS6detail17trampoline_kernelINS0_13select_configILj256ELj13ELNS0_17block_load_methodE3ELS4_3ELS4_3ELNS0_20block_scan_algorithmE0ELj4294967295EEENS1_25partition_config_selectorILNS1_17partition_subalgoE4EjNS0_10empty_typeEbEEZZNS1_14partition_implILS8_4ELb0ES6_15HIP_vector_typeIjLj2EENS0_17counting_iteratorIjlEEPS9_SG_NS0_5tupleIJPjSI_NS0_16reverse_iteratorISI_EEEEENSH_IJSG_SG_SG_EEES9_SI_JZNS1_25segmented_radix_sort_implINS0_14default_configELb1EPKfPfPKlPlN2at6native12_GLOBAL__N_18offset_tEEE10hipError_tPvRmT1_PNSt15iterator_traitsIS12_E10value_typeET2_T3_PNS13_IS18_E10value_typeET4_jRbjT5_S1E_jjP12ihipStream_tbEUljE_ZNSN_ISO_Lb1ESQ_SR_ST_SU_SY_EESZ_S10_S11_S12_S16_S17_S18_S1B_S1C_jS1D_jS1E_S1E_jjS1G_bEUljE0_EEESZ_S10_S11_S18_S1C_S1E_T6_T7_T9_mT8_S1G_bDpT10_ENKUlT_T0_E_clISt17integral_constantIbLb1EES1T_IbLb0EEEEDaS1P_S1Q_EUlS1P_E_NS1_11comp_targetILNS1_3genE5ELNS1_11target_archE942ELNS1_3gpuE9ELNS1_3repE0EEENS1_30default_config_static_selectorELNS0_4arch9wavefront6targetE0EEEvS12_.num_vgpr, 0
	.set _ZN7rocprim17ROCPRIM_400000_NS6detail17trampoline_kernelINS0_13select_configILj256ELj13ELNS0_17block_load_methodE3ELS4_3ELS4_3ELNS0_20block_scan_algorithmE0ELj4294967295EEENS1_25partition_config_selectorILNS1_17partition_subalgoE4EjNS0_10empty_typeEbEEZZNS1_14partition_implILS8_4ELb0ES6_15HIP_vector_typeIjLj2EENS0_17counting_iteratorIjlEEPS9_SG_NS0_5tupleIJPjSI_NS0_16reverse_iteratorISI_EEEEENSH_IJSG_SG_SG_EEES9_SI_JZNS1_25segmented_radix_sort_implINS0_14default_configELb1EPKfPfPKlPlN2at6native12_GLOBAL__N_18offset_tEEE10hipError_tPvRmT1_PNSt15iterator_traitsIS12_E10value_typeET2_T3_PNS13_IS18_E10value_typeET4_jRbjT5_S1E_jjP12ihipStream_tbEUljE_ZNSN_ISO_Lb1ESQ_SR_ST_SU_SY_EESZ_S10_S11_S12_S16_S17_S18_S1B_S1C_jS1D_jS1E_S1E_jjS1G_bEUljE0_EEESZ_S10_S11_S18_S1C_S1E_T6_T7_T9_mT8_S1G_bDpT10_ENKUlT_T0_E_clISt17integral_constantIbLb1EES1T_IbLb0EEEEDaS1P_S1Q_EUlS1P_E_NS1_11comp_targetILNS1_3genE5ELNS1_11target_archE942ELNS1_3gpuE9ELNS1_3repE0EEENS1_30default_config_static_selectorELNS0_4arch9wavefront6targetE0EEEvS12_.num_agpr, 0
	.set _ZN7rocprim17ROCPRIM_400000_NS6detail17trampoline_kernelINS0_13select_configILj256ELj13ELNS0_17block_load_methodE3ELS4_3ELS4_3ELNS0_20block_scan_algorithmE0ELj4294967295EEENS1_25partition_config_selectorILNS1_17partition_subalgoE4EjNS0_10empty_typeEbEEZZNS1_14partition_implILS8_4ELb0ES6_15HIP_vector_typeIjLj2EENS0_17counting_iteratorIjlEEPS9_SG_NS0_5tupleIJPjSI_NS0_16reverse_iteratorISI_EEEEENSH_IJSG_SG_SG_EEES9_SI_JZNS1_25segmented_radix_sort_implINS0_14default_configELb1EPKfPfPKlPlN2at6native12_GLOBAL__N_18offset_tEEE10hipError_tPvRmT1_PNSt15iterator_traitsIS12_E10value_typeET2_T3_PNS13_IS18_E10value_typeET4_jRbjT5_S1E_jjP12ihipStream_tbEUljE_ZNSN_ISO_Lb1ESQ_SR_ST_SU_SY_EESZ_S10_S11_S12_S16_S17_S18_S1B_S1C_jS1D_jS1E_S1E_jjS1G_bEUljE0_EEESZ_S10_S11_S18_S1C_S1E_T6_T7_T9_mT8_S1G_bDpT10_ENKUlT_T0_E_clISt17integral_constantIbLb1EES1T_IbLb0EEEEDaS1P_S1Q_EUlS1P_E_NS1_11comp_targetILNS1_3genE5ELNS1_11target_archE942ELNS1_3gpuE9ELNS1_3repE0EEENS1_30default_config_static_selectorELNS0_4arch9wavefront6targetE0EEEvS12_.numbered_sgpr, 0
	.set _ZN7rocprim17ROCPRIM_400000_NS6detail17trampoline_kernelINS0_13select_configILj256ELj13ELNS0_17block_load_methodE3ELS4_3ELS4_3ELNS0_20block_scan_algorithmE0ELj4294967295EEENS1_25partition_config_selectorILNS1_17partition_subalgoE4EjNS0_10empty_typeEbEEZZNS1_14partition_implILS8_4ELb0ES6_15HIP_vector_typeIjLj2EENS0_17counting_iteratorIjlEEPS9_SG_NS0_5tupleIJPjSI_NS0_16reverse_iteratorISI_EEEEENSH_IJSG_SG_SG_EEES9_SI_JZNS1_25segmented_radix_sort_implINS0_14default_configELb1EPKfPfPKlPlN2at6native12_GLOBAL__N_18offset_tEEE10hipError_tPvRmT1_PNSt15iterator_traitsIS12_E10value_typeET2_T3_PNS13_IS18_E10value_typeET4_jRbjT5_S1E_jjP12ihipStream_tbEUljE_ZNSN_ISO_Lb1ESQ_SR_ST_SU_SY_EESZ_S10_S11_S12_S16_S17_S18_S1B_S1C_jS1D_jS1E_S1E_jjS1G_bEUljE0_EEESZ_S10_S11_S18_S1C_S1E_T6_T7_T9_mT8_S1G_bDpT10_ENKUlT_T0_E_clISt17integral_constantIbLb1EES1T_IbLb0EEEEDaS1P_S1Q_EUlS1P_E_NS1_11comp_targetILNS1_3genE5ELNS1_11target_archE942ELNS1_3gpuE9ELNS1_3repE0EEENS1_30default_config_static_selectorELNS0_4arch9wavefront6targetE0EEEvS12_.num_named_barrier, 0
	.set _ZN7rocprim17ROCPRIM_400000_NS6detail17trampoline_kernelINS0_13select_configILj256ELj13ELNS0_17block_load_methodE3ELS4_3ELS4_3ELNS0_20block_scan_algorithmE0ELj4294967295EEENS1_25partition_config_selectorILNS1_17partition_subalgoE4EjNS0_10empty_typeEbEEZZNS1_14partition_implILS8_4ELb0ES6_15HIP_vector_typeIjLj2EENS0_17counting_iteratorIjlEEPS9_SG_NS0_5tupleIJPjSI_NS0_16reverse_iteratorISI_EEEEENSH_IJSG_SG_SG_EEES9_SI_JZNS1_25segmented_radix_sort_implINS0_14default_configELb1EPKfPfPKlPlN2at6native12_GLOBAL__N_18offset_tEEE10hipError_tPvRmT1_PNSt15iterator_traitsIS12_E10value_typeET2_T3_PNS13_IS18_E10value_typeET4_jRbjT5_S1E_jjP12ihipStream_tbEUljE_ZNSN_ISO_Lb1ESQ_SR_ST_SU_SY_EESZ_S10_S11_S12_S16_S17_S18_S1B_S1C_jS1D_jS1E_S1E_jjS1G_bEUljE0_EEESZ_S10_S11_S18_S1C_S1E_T6_T7_T9_mT8_S1G_bDpT10_ENKUlT_T0_E_clISt17integral_constantIbLb1EES1T_IbLb0EEEEDaS1P_S1Q_EUlS1P_E_NS1_11comp_targetILNS1_3genE5ELNS1_11target_archE942ELNS1_3gpuE9ELNS1_3repE0EEENS1_30default_config_static_selectorELNS0_4arch9wavefront6targetE0EEEvS12_.private_seg_size, 0
	.set _ZN7rocprim17ROCPRIM_400000_NS6detail17trampoline_kernelINS0_13select_configILj256ELj13ELNS0_17block_load_methodE3ELS4_3ELS4_3ELNS0_20block_scan_algorithmE0ELj4294967295EEENS1_25partition_config_selectorILNS1_17partition_subalgoE4EjNS0_10empty_typeEbEEZZNS1_14partition_implILS8_4ELb0ES6_15HIP_vector_typeIjLj2EENS0_17counting_iteratorIjlEEPS9_SG_NS0_5tupleIJPjSI_NS0_16reverse_iteratorISI_EEEEENSH_IJSG_SG_SG_EEES9_SI_JZNS1_25segmented_radix_sort_implINS0_14default_configELb1EPKfPfPKlPlN2at6native12_GLOBAL__N_18offset_tEEE10hipError_tPvRmT1_PNSt15iterator_traitsIS12_E10value_typeET2_T3_PNS13_IS18_E10value_typeET4_jRbjT5_S1E_jjP12ihipStream_tbEUljE_ZNSN_ISO_Lb1ESQ_SR_ST_SU_SY_EESZ_S10_S11_S12_S16_S17_S18_S1B_S1C_jS1D_jS1E_S1E_jjS1G_bEUljE0_EEESZ_S10_S11_S18_S1C_S1E_T6_T7_T9_mT8_S1G_bDpT10_ENKUlT_T0_E_clISt17integral_constantIbLb1EES1T_IbLb0EEEEDaS1P_S1Q_EUlS1P_E_NS1_11comp_targetILNS1_3genE5ELNS1_11target_archE942ELNS1_3gpuE9ELNS1_3repE0EEENS1_30default_config_static_selectorELNS0_4arch9wavefront6targetE0EEEvS12_.uses_vcc, 0
	.set _ZN7rocprim17ROCPRIM_400000_NS6detail17trampoline_kernelINS0_13select_configILj256ELj13ELNS0_17block_load_methodE3ELS4_3ELS4_3ELNS0_20block_scan_algorithmE0ELj4294967295EEENS1_25partition_config_selectorILNS1_17partition_subalgoE4EjNS0_10empty_typeEbEEZZNS1_14partition_implILS8_4ELb0ES6_15HIP_vector_typeIjLj2EENS0_17counting_iteratorIjlEEPS9_SG_NS0_5tupleIJPjSI_NS0_16reverse_iteratorISI_EEEEENSH_IJSG_SG_SG_EEES9_SI_JZNS1_25segmented_radix_sort_implINS0_14default_configELb1EPKfPfPKlPlN2at6native12_GLOBAL__N_18offset_tEEE10hipError_tPvRmT1_PNSt15iterator_traitsIS12_E10value_typeET2_T3_PNS13_IS18_E10value_typeET4_jRbjT5_S1E_jjP12ihipStream_tbEUljE_ZNSN_ISO_Lb1ESQ_SR_ST_SU_SY_EESZ_S10_S11_S12_S16_S17_S18_S1B_S1C_jS1D_jS1E_S1E_jjS1G_bEUljE0_EEESZ_S10_S11_S18_S1C_S1E_T6_T7_T9_mT8_S1G_bDpT10_ENKUlT_T0_E_clISt17integral_constantIbLb1EES1T_IbLb0EEEEDaS1P_S1Q_EUlS1P_E_NS1_11comp_targetILNS1_3genE5ELNS1_11target_archE942ELNS1_3gpuE9ELNS1_3repE0EEENS1_30default_config_static_selectorELNS0_4arch9wavefront6targetE0EEEvS12_.uses_flat_scratch, 0
	.set _ZN7rocprim17ROCPRIM_400000_NS6detail17trampoline_kernelINS0_13select_configILj256ELj13ELNS0_17block_load_methodE3ELS4_3ELS4_3ELNS0_20block_scan_algorithmE0ELj4294967295EEENS1_25partition_config_selectorILNS1_17partition_subalgoE4EjNS0_10empty_typeEbEEZZNS1_14partition_implILS8_4ELb0ES6_15HIP_vector_typeIjLj2EENS0_17counting_iteratorIjlEEPS9_SG_NS0_5tupleIJPjSI_NS0_16reverse_iteratorISI_EEEEENSH_IJSG_SG_SG_EEES9_SI_JZNS1_25segmented_radix_sort_implINS0_14default_configELb1EPKfPfPKlPlN2at6native12_GLOBAL__N_18offset_tEEE10hipError_tPvRmT1_PNSt15iterator_traitsIS12_E10value_typeET2_T3_PNS13_IS18_E10value_typeET4_jRbjT5_S1E_jjP12ihipStream_tbEUljE_ZNSN_ISO_Lb1ESQ_SR_ST_SU_SY_EESZ_S10_S11_S12_S16_S17_S18_S1B_S1C_jS1D_jS1E_S1E_jjS1G_bEUljE0_EEESZ_S10_S11_S18_S1C_S1E_T6_T7_T9_mT8_S1G_bDpT10_ENKUlT_T0_E_clISt17integral_constantIbLb1EES1T_IbLb0EEEEDaS1P_S1Q_EUlS1P_E_NS1_11comp_targetILNS1_3genE5ELNS1_11target_archE942ELNS1_3gpuE9ELNS1_3repE0EEENS1_30default_config_static_selectorELNS0_4arch9wavefront6targetE0EEEvS12_.has_dyn_sized_stack, 0
	.set _ZN7rocprim17ROCPRIM_400000_NS6detail17trampoline_kernelINS0_13select_configILj256ELj13ELNS0_17block_load_methodE3ELS4_3ELS4_3ELNS0_20block_scan_algorithmE0ELj4294967295EEENS1_25partition_config_selectorILNS1_17partition_subalgoE4EjNS0_10empty_typeEbEEZZNS1_14partition_implILS8_4ELb0ES6_15HIP_vector_typeIjLj2EENS0_17counting_iteratorIjlEEPS9_SG_NS0_5tupleIJPjSI_NS0_16reverse_iteratorISI_EEEEENSH_IJSG_SG_SG_EEES9_SI_JZNS1_25segmented_radix_sort_implINS0_14default_configELb1EPKfPfPKlPlN2at6native12_GLOBAL__N_18offset_tEEE10hipError_tPvRmT1_PNSt15iterator_traitsIS12_E10value_typeET2_T3_PNS13_IS18_E10value_typeET4_jRbjT5_S1E_jjP12ihipStream_tbEUljE_ZNSN_ISO_Lb1ESQ_SR_ST_SU_SY_EESZ_S10_S11_S12_S16_S17_S18_S1B_S1C_jS1D_jS1E_S1E_jjS1G_bEUljE0_EEESZ_S10_S11_S18_S1C_S1E_T6_T7_T9_mT8_S1G_bDpT10_ENKUlT_T0_E_clISt17integral_constantIbLb1EES1T_IbLb0EEEEDaS1P_S1Q_EUlS1P_E_NS1_11comp_targetILNS1_3genE5ELNS1_11target_archE942ELNS1_3gpuE9ELNS1_3repE0EEENS1_30default_config_static_selectorELNS0_4arch9wavefront6targetE0EEEvS12_.has_recursion, 0
	.set _ZN7rocprim17ROCPRIM_400000_NS6detail17trampoline_kernelINS0_13select_configILj256ELj13ELNS0_17block_load_methodE3ELS4_3ELS4_3ELNS0_20block_scan_algorithmE0ELj4294967295EEENS1_25partition_config_selectorILNS1_17partition_subalgoE4EjNS0_10empty_typeEbEEZZNS1_14partition_implILS8_4ELb0ES6_15HIP_vector_typeIjLj2EENS0_17counting_iteratorIjlEEPS9_SG_NS0_5tupleIJPjSI_NS0_16reverse_iteratorISI_EEEEENSH_IJSG_SG_SG_EEES9_SI_JZNS1_25segmented_radix_sort_implINS0_14default_configELb1EPKfPfPKlPlN2at6native12_GLOBAL__N_18offset_tEEE10hipError_tPvRmT1_PNSt15iterator_traitsIS12_E10value_typeET2_T3_PNS13_IS18_E10value_typeET4_jRbjT5_S1E_jjP12ihipStream_tbEUljE_ZNSN_ISO_Lb1ESQ_SR_ST_SU_SY_EESZ_S10_S11_S12_S16_S17_S18_S1B_S1C_jS1D_jS1E_S1E_jjS1G_bEUljE0_EEESZ_S10_S11_S18_S1C_S1E_T6_T7_T9_mT8_S1G_bDpT10_ENKUlT_T0_E_clISt17integral_constantIbLb1EES1T_IbLb0EEEEDaS1P_S1Q_EUlS1P_E_NS1_11comp_targetILNS1_3genE5ELNS1_11target_archE942ELNS1_3gpuE9ELNS1_3repE0EEENS1_30default_config_static_selectorELNS0_4arch9wavefront6targetE0EEEvS12_.has_indirect_call, 0
	.section	.AMDGPU.csdata,"",@progbits
; Kernel info:
; codeLenInByte = 0
; TotalNumSgprs: 0
; NumVgprs: 0
; ScratchSize: 0
; MemoryBound: 0
; FloatMode: 240
; IeeeMode: 1
; LDSByteSize: 0 bytes/workgroup (compile time only)
; SGPRBlocks: 0
; VGPRBlocks: 0
; NumSGPRsForWavesPerEU: 1
; NumVGPRsForWavesPerEU: 1
; Occupancy: 16
; WaveLimiterHint : 0
; COMPUTE_PGM_RSRC2:SCRATCH_EN: 0
; COMPUTE_PGM_RSRC2:USER_SGPR: 6
; COMPUTE_PGM_RSRC2:TRAP_HANDLER: 0
; COMPUTE_PGM_RSRC2:TGID_X_EN: 1
; COMPUTE_PGM_RSRC2:TGID_Y_EN: 0
; COMPUTE_PGM_RSRC2:TGID_Z_EN: 0
; COMPUTE_PGM_RSRC2:TIDIG_COMP_CNT: 0
	.section	.text._ZN7rocprim17ROCPRIM_400000_NS6detail17trampoline_kernelINS0_13select_configILj256ELj13ELNS0_17block_load_methodE3ELS4_3ELS4_3ELNS0_20block_scan_algorithmE0ELj4294967295EEENS1_25partition_config_selectorILNS1_17partition_subalgoE4EjNS0_10empty_typeEbEEZZNS1_14partition_implILS8_4ELb0ES6_15HIP_vector_typeIjLj2EENS0_17counting_iteratorIjlEEPS9_SG_NS0_5tupleIJPjSI_NS0_16reverse_iteratorISI_EEEEENSH_IJSG_SG_SG_EEES9_SI_JZNS1_25segmented_radix_sort_implINS0_14default_configELb1EPKfPfPKlPlN2at6native12_GLOBAL__N_18offset_tEEE10hipError_tPvRmT1_PNSt15iterator_traitsIS12_E10value_typeET2_T3_PNS13_IS18_E10value_typeET4_jRbjT5_S1E_jjP12ihipStream_tbEUljE_ZNSN_ISO_Lb1ESQ_SR_ST_SU_SY_EESZ_S10_S11_S12_S16_S17_S18_S1B_S1C_jS1D_jS1E_S1E_jjS1G_bEUljE0_EEESZ_S10_S11_S18_S1C_S1E_T6_T7_T9_mT8_S1G_bDpT10_ENKUlT_T0_E_clISt17integral_constantIbLb1EES1T_IbLb0EEEEDaS1P_S1Q_EUlS1P_E_NS1_11comp_targetILNS1_3genE4ELNS1_11target_archE910ELNS1_3gpuE8ELNS1_3repE0EEENS1_30default_config_static_selectorELNS0_4arch9wavefront6targetE0EEEvS12_,"axG",@progbits,_ZN7rocprim17ROCPRIM_400000_NS6detail17trampoline_kernelINS0_13select_configILj256ELj13ELNS0_17block_load_methodE3ELS4_3ELS4_3ELNS0_20block_scan_algorithmE0ELj4294967295EEENS1_25partition_config_selectorILNS1_17partition_subalgoE4EjNS0_10empty_typeEbEEZZNS1_14partition_implILS8_4ELb0ES6_15HIP_vector_typeIjLj2EENS0_17counting_iteratorIjlEEPS9_SG_NS0_5tupleIJPjSI_NS0_16reverse_iteratorISI_EEEEENSH_IJSG_SG_SG_EEES9_SI_JZNS1_25segmented_radix_sort_implINS0_14default_configELb1EPKfPfPKlPlN2at6native12_GLOBAL__N_18offset_tEEE10hipError_tPvRmT1_PNSt15iterator_traitsIS12_E10value_typeET2_T3_PNS13_IS18_E10value_typeET4_jRbjT5_S1E_jjP12ihipStream_tbEUljE_ZNSN_ISO_Lb1ESQ_SR_ST_SU_SY_EESZ_S10_S11_S12_S16_S17_S18_S1B_S1C_jS1D_jS1E_S1E_jjS1G_bEUljE0_EEESZ_S10_S11_S18_S1C_S1E_T6_T7_T9_mT8_S1G_bDpT10_ENKUlT_T0_E_clISt17integral_constantIbLb1EES1T_IbLb0EEEEDaS1P_S1Q_EUlS1P_E_NS1_11comp_targetILNS1_3genE4ELNS1_11target_archE910ELNS1_3gpuE8ELNS1_3repE0EEENS1_30default_config_static_selectorELNS0_4arch9wavefront6targetE0EEEvS12_,comdat
	.globl	_ZN7rocprim17ROCPRIM_400000_NS6detail17trampoline_kernelINS0_13select_configILj256ELj13ELNS0_17block_load_methodE3ELS4_3ELS4_3ELNS0_20block_scan_algorithmE0ELj4294967295EEENS1_25partition_config_selectorILNS1_17partition_subalgoE4EjNS0_10empty_typeEbEEZZNS1_14partition_implILS8_4ELb0ES6_15HIP_vector_typeIjLj2EENS0_17counting_iteratorIjlEEPS9_SG_NS0_5tupleIJPjSI_NS0_16reverse_iteratorISI_EEEEENSH_IJSG_SG_SG_EEES9_SI_JZNS1_25segmented_radix_sort_implINS0_14default_configELb1EPKfPfPKlPlN2at6native12_GLOBAL__N_18offset_tEEE10hipError_tPvRmT1_PNSt15iterator_traitsIS12_E10value_typeET2_T3_PNS13_IS18_E10value_typeET4_jRbjT5_S1E_jjP12ihipStream_tbEUljE_ZNSN_ISO_Lb1ESQ_SR_ST_SU_SY_EESZ_S10_S11_S12_S16_S17_S18_S1B_S1C_jS1D_jS1E_S1E_jjS1G_bEUljE0_EEESZ_S10_S11_S18_S1C_S1E_T6_T7_T9_mT8_S1G_bDpT10_ENKUlT_T0_E_clISt17integral_constantIbLb1EES1T_IbLb0EEEEDaS1P_S1Q_EUlS1P_E_NS1_11comp_targetILNS1_3genE4ELNS1_11target_archE910ELNS1_3gpuE8ELNS1_3repE0EEENS1_30default_config_static_selectorELNS0_4arch9wavefront6targetE0EEEvS12_ ; -- Begin function _ZN7rocprim17ROCPRIM_400000_NS6detail17trampoline_kernelINS0_13select_configILj256ELj13ELNS0_17block_load_methodE3ELS4_3ELS4_3ELNS0_20block_scan_algorithmE0ELj4294967295EEENS1_25partition_config_selectorILNS1_17partition_subalgoE4EjNS0_10empty_typeEbEEZZNS1_14partition_implILS8_4ELb0ES6_15HIP_vector_typeIjLj2EENS0_17counting_iteratorIjlEEPS9_SG_NS0_5tupleIJPjSI_NS0_16reverse_iteratorISI_EEEEENSH_IJSG_SG_SG_EEES9_SI_JZNS1_25segmented_radix_sort_implINS0_14default_configELb1EPKfPfPKlPlN2at6native12_GLOBAL__N_18offset_tEEE10hipError_tPvRmT1_PNSt15iterator_traitsIS12_E10value_typeET2_T3_PNS13_IS18_E10value_typeET4_jRbjT5_S1E_jjP12ihipStream_tbEUljE_ZNSN_ISO_Lb1ESQ_SR_ST_SU_SY_EESZ_S10_S11_S12_S16_S17_S18_S1B_S1C_jS1D_jS1E_S1E_jjS1G_bEUljE0_EEESZ_S10_S11_S18_S1C_S1E_T6_T7_T9_mT8_S1G_bDpT10_ENKUlT_T0_E_clISt17integral_constantIbLb1EES1T_IbLb0EEEEDaS1P_S1Q_EUlS1P_E_NS1_11comp_targetILNS1_3genE4ELNS1_11target_archE910ELNS1_3gpuE8ELNS1_3repE0EEENS1_30default_config_static_selectorELNS0_4arch9wavefront6targetE0EEEvS12_
	.p2align	8
	.type	_ZN7rocprim17ROCPRIM_400000_NS6detail17trampoline_kernelINS0_13select_configILj256ELj13ELNS0_17block_load_methodE3ELS4_3ELS4_3ELNS0_20block_scan_algorithmE0ELj4294967295EEENS1_25partition_config_selectorILNS1_17partition_subalgoE4EjNS0_10empty_typeEbEEZZNS1_14partition_implILS8_4ELb0ES6_15HIP_vector_typeIjLj2EENS0_17counting_iteratorIjlEEPS9_SG_NS0_5tupleIJPjSI_NS0_16reverse_iteratorISI_EEEEENSH_IJSG_SG_SG_EEES9_SI_JZNS1_25segmented_radix_sort_implINS0_14default_configELb1EPKfPfPKlPlN2at6native12_GLOBAL__N_18offset_tEEE10hipError_tPvRmT1_PNSt15iterator_traitsIS12_E10value_typeET2_T3_PNS13_IS18_E10value_typeET4_jRbjT5_S1E_jjP12ihipStream_tbEUljE_ZNSN_ISO_Lb1ESQ_SR_ST_SU_SY_EESZ_S10_S11_S12_S16_S17_S18_S1B_S1C_jS1D_jS1E_S1E_jjS1G_bEUljE0_EEESZ_S10_S11_S18_S1C_S1E_T6_T7_T9_mT8_S1G_bDpT10_ENKUlT_T0_E_clISt17integral_constantIbLb1EES1T_IbLb0EEEEDaS1P_S1Q_EUlS1P_E_NS1_11comp_targetILNS1_3genE4ELNS1_11target_archE910ELNS1_3gpuE8ELNS1_3repE0EEENS1_30default_config_static_selectorELNS0_4arch9wavefront6targetE0EEEvS12_,@function
_ZN7rocprim17ROCPRIM_400000_NS6detail17trampoline_kernelINS0_13select_configILj256ELj13ELNS0_17block_load_methodE3ELS4_3ELS4_3ELNS0_20block_scan_algorithmE0ELj4294967295EEENS1_25partition_config_selectorILNS1_17partition_subalgoE4EjNS0_10empty_typeEbEEZZNS1_14partition_implILS8_4ELb0ES6_15HIP_vector_typeIjLj2EENS0_17counting_iteratorIjlEEPS9_SG_NS0_5tupleIJPjSI_NS0_16reverse_iteratorISI_EEEEENSH_IJSG_SG_SG_EEES9_SI_JZNS1_25segmented_radix_sort_implINS0_14default_configELb1EPKfPfPKlPlN2at6native12_GLOBAL__N_18offset_tEEE10hipError_tPvRmT1_PNSt15iterator_traitsIS12_E10value_typeET2_T3_PNS13_IS18_E10value_typeET4_jRbjT5_S1E_jjP12ihipStream_tbEUljE_ZNSN_ISO_Lb1ESQ_SR_ST_SU_SY_EESZ_S10_S11_S12_S16_S17_S18_S1B_S1C_jS1D_jS1E_S1E_jjS1G_bEUljE0_EEESZ_S10_S11_S18_S1C_S1E_T6_T7_T9_mT8_S1G_bDpT10_ENKUlT_T0_E_clISt17integral_constantIbLb1EES1T_IbLb0EEEEDaS1P_S1Q_EUlS1P_E_NS1_11comp_targetILNS1_3genE4ELNS1_11target_archE910ELNS1_3gpuE8ELNS1_3repE0EEENS1_30default_config_static_selectorELNS0_4arch9wavefront6targetE0EEEvS12_: ; @_ZN7rocprim17ROCPRIM_400000_NS6detail17trampoline_kernelINS0_13select_configILj256ELj13ELNS0_17block_load_methodE3ELS4_3ELS4_3ELNS0_20block_scan_algorithmE0ELj4294967295EEENS1_25partition_config_selectorILNS1_17partition_subalgoE4EjNS0_10empty_typeEbEEZZNS1_14partition_implILS8_4ELb0ES6_15HIP_vector_typeIjLj2EENS0_17counting_iteratorIjlEEPS9_SG_NS0_5tupleIJPjSI_NS0_16reverse_iteratorISI_EEEEENSH_IJSG_SG_SG_EEES9_SI_JZNS1_25segmented_radix_sort_implINS0_14default_configELb1EPKfPfPKlPlN2at6native12_GLOBAL__N_18offset_tEEE10hipError_tPvRmT1_PNSt15iterator_traitsIS12_E10value_typeET2_T3_PNS13_IS18_E10value_typeET4_jRbjT5_S1E_jjP12ihipStream_tbEUljE_ZNSN_ISO_Lb1ESQ_SR_ST_SU_SY_EESZ_S10_S11_S12_S16_S17_S18_S1B_S1C_jS1D_jS1E_S1E_jjS1G_bEUljE0_EEESZ_S10_S11_S18_S1C_S1E_T6_T7_T9_mT8_S1G_bDpT10_ENKUlT_T0_E_clISt17integral_constantIbLb1EES1T_IbLb0EEEEDaS1P_S1Q_EUlS1P_E_NS1_11comp_targetILNS1_3genE4ELNS1_11target_archE910ELNS1_3gpuE8ELNS1_3repE0EEENS1_30default_config_static_selectorELNS0_4arch9wavefront6targetE0EEEvS12_
; %bb.0:
	.section	.rodata,"a",@progbits
	.p2align	6, 0x0
	.amdhsa_kernel _ZN7rocprim17ROCPRIM_400000_NS6detail17trampoline_kernelINS0_13select_configILj256ELj13ELNS0_17block_load_methodE3ELS4_3ELS4_3ELNS0_20block_scan_algorithmE0ELj4294967295EEENS1_25partition_config_selectorILNS1_17partition_subalgoE4EjNS0_10empty_typeEbEEZZNS1_14partition_implILS8_4ELb0ES6_15HIP_vector_typeIjLj2EENS0_17counting_iteratorIjlEEPS9_SG_NS0_5tupleIJPjSI_NS0_16reverse_iteratorISI_EEEEENSH_IJSG_SG_SG_EEES9_SI_JZNS1_25segmented_radix_sort_implINS0_14default_configELb1EPKfPfPKlPlN2at6native12_GLOBAL__N_18offset_tEEE10hipError_tPvRmT1_PNSt15iterator_traitsIS12_E10value_typeET2_T3_PNS13_IS18_E10value_typeET4_jRbjT5_S1E_jjP12ihipStream_tbEUljE_ZNSN_ISO_Lb1ESQ_SR_ST_SU_SY_EESZ_S10_S11_S12_S16_S17_S18_S1B_S1C_jS1D_jS1E_S1E_jjS1G_bEUljE0_EEESZ_S10_S11_S18_S1C_S1E_T6_T7_T9_mT8_S1G_bDpT10_ENKUlT_T0_E_clISt17integral_constantIbLb1EES1T_IbLb0EEEEDaS1P_S1Q_EUlS1P_E_NS1_11comp_targetILNS1_3genE4ELNS1_11target_archE910ELNS1_3gpuE8ELNS1_3repE0EEENS1_30default_config_static_selectorELNS0_4arch9wavefront6targetE0EEEvS12_
		.amdhsa_group_segment_fixed_size 0
		.amdhsa_private_segment_fixed_size 0
		.amdhsa_kernarg_size 176
		.amdhsa_user_sgpr_count 6
		.amdhsa_user_sgpr_private_segment_buffer 1
		.amdhsa_user_sgpr_dispatch_ptr 0
		.amdhsa_user_sgpr_queue_ptr 0
		.amdhsa_user_sgpr_kernarg_segment_ptr 1
		.amdhsa_user_sgpr_dispatch_id 0
		.amdhsa_user_sgpr_flat_scratch_init 0
		.amdhsa_user_sgpr_private_segment_size 0
		.amdhsa_wavefront_size32 1
		.amdhsa_uses_dynamic_stack 0
		.amdhsa_system_sgpr_private_segment_wavefront_offset 0
		.amdhsa_system_sgpr_workgroup_id_x 1
		.amdhsa_system_sgpr_workgroup_id_y 0
		.amdhsa_system_sgpr_workgroup_id_z 0
		.amdhsa_system_sgpr_workgroup_info 0
		.amdhsa_system_vgpr_workitem_id 0
		.amdhsa_next_free_vgpr 1
		.amdhsa_next_free_sgpr 1
		.amdhsa_reserve_vcc 0
		.amdhsa_reserve_flat_scratch 0
		.amdhsa_float_round_mode_32 0
		.amdhsa_float_round_mode_16_64 0
		.amdhsa_float_denorm_mode_32 3
		.amdhsa_float_denorm_mode_16_64 3
		.amdhsa_dx10_clamp 1
		.amdhsa_ieee_mode 1
		.amdhsa_fp16_overflow 0
		.amdhsa_workgroup_processor_mode 1
		.amdhsa_memory_ordered 1
		.amdhsa_forward_progress 1
		.amdhsa_shared_vgpr_count 0
		.amdhsa_exception_fp_ieee_invalid_op 0
		.amdhsa_exception_fp_denorm_src 0
		.amdhsa_exception_fp_ieee_div_zero 0
		.amdhsa_exception_fp_ieee_overflow 0
		.amdhsa_exception_fp_ieee_underflow 0
		.amdhsa_exception_fp_ieee_inexact 0
		.amdhsa_exception_int_div_zero 0
	.end_amdhsa_kernel
	.section	.text._ZN7rocprim17ROCPRIM_400000_NS6detail17trampoline_kernelINS0_13select_configILj256ELj13ELNS0_17block_load_methodE3ELS4_3ELS4_3ELNS0_20block_scan_algorithmE0ELj4294967295EEENS1_25partition_config_selectorILNS1_17partition_subalgoE4EjNS0_10empty_typeEbEEZZNS1_14partition_implILS8_4ELb0ES6_15HIP_vector_typeIjLj2EENS0_17counting_iteratorIjlEEPS9_SG_NS0_5tupleIJPjSI_NS0_16reverse_iteratorISI_EEEEENSH_IJSG_SG_SG_EEES9_SI_JZNS1_25segmented_radix_sort_implINS0_14default_configELb1EPKfPfPKlPlN2at6native12_GLOBAL__N_18offset_tEEE10hipError_tPvRmT1_PNSt15iterator_traitsIS12_E10value_typeET2_T3_PNS13_IS18_E10value_typeET4_jRbjT5_S1E_jjP12ihipStream_tbEUljE_ZNSN_ISO_Lb1ESQ_SR_ST_SU_SY_EESZ_S10_S11_S12_S16_S17_S18_S1B_S1C_jS1D_jS1E_S1E_jjS1G_bEUljE0_EEESZ_S10_S11_S18_S1C_S1E_T6_T7_T9_mT8_S1G_bDpT10_ENKUlT_T0_E_clISt17integral_constantIbLb1EES1T_IbLb0EEEEDaS1P_S1Q_EUlS1P_E_NS1_11comp_targetILNS1_3genE4ELNS1_11target_archE910ELNS1_3gpuE8ELNS1_3repE0EEENS1_30default_config_static_selectorELNS0_4arch9wavefront6targetE0EEEvS12_,"axG",@progbits,_ZN7rocprim17ROCPRIM_400000_NS6detail17trampoline_kernelINS0_13select_configILj256ELj13ELNS0_17block_load_methodE3ELS4_3ELS4_3ELNS0_20block_scan_algorithmE0ELj4294967295EEENS1_25partition_config_selectorILNS1_17partition_subalgoE4EjNS0_10empty_typeEbEEZZNS1_14partition_implILS8_4ELb0ES6_15HIP_vector_typeIjLj2EENS0_17counting_iteratorIjlEEPS9_SG_NS0_5tupleIJPjSI_NS0_16reverse_iteratorISI_EEEEENSH_IJSG_SG_SG_EEES9_SI_JZNS1_25segmented_radix_sort_implINS0_14default_configELb1EPKfPfPKlPlN2at6native12_GLOBAL__N_18offset_tEEE10hipError_tPvRmT1_PNSt15iterator_traitsIS12_E10value_typeET2_T3_PNS13_IS18_E10value_typeET4_jRbjT5_S1E_jjP12ihipStream_tbEUljE_ZNSN_ISO_Lb1ESQ_SR_ST_SU_SY_EESZ_S10_S11_S12_S16_S17_S18_S1B_S1C_jS1D_jS1E_S1E_jjS1G_bEUljE0_EEESZ_S10_S11_S18_S1C_S1E_T6_T7_T9_mT8_S1G_bDpT10_ENKUlT_T0_E_clISt17integral_constantIbLb1EES1T_IbLb0EEEEDaS1P_S1Q_EUlS1P_E_NS1_11comp_targetILNS1_3genE4ELNS1_11target_archE910ELNS1_3gpuE8ELNS1_3repE0EEENS1_30default_config_static_selectorELNS0_4arch9wavefront6targetE0EEEvS12_,comdat
.Lfunc_end1271:
	.size	_ZN7rocprim17ROCPRIM_400000_NS6detail17trampoline_kernelINS0_13select_configILj256ELj13ELNS0_17block_load_methodE3ELS4_3ELS4_3ELNS0_20block_scan_algorithmE0ELj4294967295EEENS1_25partition_config_selectorILNS1_17partition_subalgoE4EjNS0_10empty_typeEbEEZZNS1_14partition_implILS8_4ELb0ES6_15HIP_vector_typeIjLj2EENS0_17counting_iteratorIjlEEPS9_SG_NS0_5tupleIJPjSI_NS0_16reverse_iteratorISI_EEEEENSH_IJSG_SG_SG_EEES9_SI_JZNS1_25segmented_radix_sort_implINS0_14default_configELb1EPKfPfPKlPlN2at6native12_GLOBAL__N_18offset_tEEE10hipError_tPvRmT1_PNSt15iterator_traitsIS12_E10value_typeET2_T3_PNS13_IS18_E10value_typeET4_jRbjT5_S1E_jjP12ihipStream_tbEUljE_ZNSN_ISO_Lb1ESQ_SR_ST_SU_SY_EESZ_S10_S11_S12_S16_S17_S18_S1B_S1C_jS1D_jS1E_S1E_jjS1G_bEUljE0_EEESZ_S10_S11_S18_S1C_S1E_T6_T7_T9_mT8_S1G_bDpT10_ENKUlT_T0_E_clISt17integral_constantIbLb1EES1T_IbLb0EEEEDaS1P_S1Q_EUlS1P_E_NS1_11comp_targetILNS1_3genE4ELNS1_11target_archE910ELNS1_3gpuE8ELNS1_3repE0EEENS1_30default_config_static_selectorELNS0_4arch9wavefront6targetE0EEEvS12_, .Lfunc_end1271-_ZN7rocprim17ROCPRIM_400000_NS6detail17trampoline_kernelINS0_13select_configILj256ELj13ELNS0_17block_load_methodE3ELS4_3ELS4_3ELNS0_20block_scan_algorithmE0ELj4294967295EEENS1_25partition_config_selectorILNS1_17partition_subalgoE4EjNS0_10empty_typeEbEEZZNS1_14partition_implILS8_4ELb0ES6_15HIP_vector_typeIjLj2EENS0_17counting_iteratorIjlEEPS9_SG_NS0_5tupleIJPjSI_NS0_16reverse_iteratorISI_EEEEENSH_IJSG_SG_SG_EEES9_SI_JZNS1_25segmented_radix_sort_implINS0_14default_configELb1EPKfPfPKlPlN2at6native12_GLOBAL__N_18offset_tEEE10hipError_tPvRmT1_PNSt15iterator_traitsIS12_E10value_typeET2_T3_PNS13_IS18_E10value_typeET4_jRbjT5_S1E_jjP12ihipStream_tbEUljE_ZNSN_ISO_Lb1ESQ_SR_ST_SU_SY_EESZ_S10_S11_S12_S16_S17_S18_S1B_S1C_jS1D_jS1E_S1E_jjS1G_bEUljE0_EEESZ_S10_S11_S18_S1C_S1E_T6_T7_T9_mT8_S1G_bDpT10_ENKUlT_T0_E_clISt17integral_constantIbLb1EES1T_IbLb0EEEEDaS1P_S1Q_EUlS1P_E_NS1_11comp_targetILNS1_3genE4ELNS1_11target_archE910ELNS1_3gpuE8ELNS1_3repE0EEENS1_30default_config_static_selectorELNS0_4arch9wavefront6targetE0EEEvS12_
                                        ; -- End function
	.set _ZN7rocprim17ROCPRIM_400000_NS6detail17trampoline_kernelINS0_13select_configILj256ELj13ELNS0_17block_load_methodE3ELS4_3ELS4_3ELNS0_20block_scan_algorithmE0ELj4294967295EEENS1_25partition_config_selectorILNS1_17partition_subalgoE4EjNS0_10empty_typeEbEEZZNS1_14partition_implILS8_4ELb0ES6_15HIP_vector_typeIjLj2EENS0_17counting_iteratorIjlEEPS9_SG_NS0_5tupleIJPjSI_NS0_16reverse_iteratorISI_EEEEENSH_IJSG_SG_SG_EEES9_SI_JZNS1_25segmented_radix_sort_implINS0_14default_configELb1EPKfPfPKlPlN2at6native12_GLOBAL__N_18offset_tEEE10hipError_tPvRmT1_PNSt15iterator_traitsIS12_E10value_typeET2_T3_PNS13_IS18_E10value_typeET4_jRbjT5_S1E_jjP12ihipStream_tbEUljE_ZNSN_ISO_Lb1ESQ_SR_ST_SU_SY_EESZ_S10_S11_S12_S16_S17_S18_S1B_S1C_jS1D_jS1E_S1E_jjS1G_bEUljE0_EEESZ_S10_S11_S18_S1C_S1E_T6_T7_T9_mT8_S1G_bDpT10_ENKUlT_T0_E_clISt17integral_constantIbLb1EES1T_IbLb0EEEEDaS1P_S1Q_EUlS1P_E_NS1_11comp_targetILNS1_3genE4ELNS1_11target_archE910ELNS1_3gpuE8ELNS1_3repE0EEENS1_30default_config_static_selectorELNS0_4arch9wavefront6targetE0EEEvS12_.num_vgpr, 0
	.set _ZN7rocprim17ROCPRIM_400000_NS6detail17trampoline_kernelINS0_13select_configILj256ELj13ELNS0_17block_load_methodE3ELS4_3ELS4_3ELNS0_20block_scan_algorithmE0ELj4294967295EEENS1_25partition_config_selectorILNS1_17partition_subalgoE4EjNS0_10empty_typeEbEEZZNS1_14partition_implILS8_4ELb0ES6_15HIP_vector_typeIjLj2EENS0_17counting_iteratorIjlEEPS9_SG_NS0_5tupleIJPjSI_NS0_16reverse_iteratorISI_EEEEENSH_IJSG_SG_SG_EEES9_SI_JZNS1_25segmented_radix_sort_implINS0_14default_configELb1EPKfPfPKlPlN2at6native12_GLOBAL__N_18offset_tEEE10hipError_tPvRmT1_PNSt15iterator_traitsIS12_E10value_typeET2_T3_PNS13_IS18_E10value_typeET4_jRbjT5_S1E_jjP12ihipStream_tbEUljE_ZNSN_ISO_Lb1ESQ_SR_ST_SU_SY_EESZ_S10_S11_S12_S16_S17_S18_S1B_S1C_jS1D_jS1E_S1E_jjS1G_bEUljE0_EEESZ_S10_S11_S18_S1C_S1E_T6_T7_T9_mT8_S1G_bDpT10_ENKUlT_T0_E_clISt17integral_constantIbLb1EES1T_IbLb0EEEEDaS1P_S1Q_EUlS1P_E_NS1_11comp_targetILNS1_3genE4ELNS1_11target_archE910ELNS1_3gpuE8ELNS1_3repE0EEENS1_30default_config_static_selectorELNS0_4arch9wavefront6targetE0EEEvS12_.num_agpr, 0
	.set _ZN7rocprim17ROCPRIM_400000_NS6detail17trampoline_kernelINS0_13select_configILj256ELj13ELNS0_17block_load_methodE3ELS4_3ELS4_3ELNS0_20block_scan_algorithmE0ELj4294967295EEENS1_25partition_config_selectorILNS1_17partition_subalgoE4EjNS0_10empty_typeEbEEZZNS1_14partition_implILS8_4ELb0ES6_15HIP_vector_typeIjLj2EENS0_17counting_iteratorIjlEEPS9_SG_NS0_5tupleIJPjSI_NS0_16reverse_iteratorISI_EEEEENSH_IJSG_SG_SG_EEES9_SI_JZNS1_25segmented_radix_sort_implINS0_14default_configELb1EPKfPfPKlPlN2at6native12_GLOBAL__N_18offset_tEEE10hipError_tPvRmT1_PNSt15iterator_traitsIS12_E10value_typeET2_T3_PNS13_IS18_E10value_typeET4_jRbjT5_S1E_jjP12ihipStream_tbEUljE_ZNSN_ISO_Lb1ESQ_SR_ST_SU_SY_EESZ_S10_S11_S12_S16_S17_S18_S1B_S1C_jS1D_jS1E_S1E_jjS1G_bEUljE0_EEESZ_S10_S11_S18_S1C_S1E_T6_T7_T9_mT8_S1G_bDpT10_ENKUlT_T0_E_clISt17integral_constantIbLb1EES1T_IbLb0EEEEDaS1P_S1Q_EUlS1P_E_NS1_11comp_targetILNS1_3genE4ELNS1_11target_archE910ELNS1_3gpuE8ELNS1_3repE0EEENS1_30default_config_static_selectorELNS0_4arch9wavefront6targetE0EEEvS12_.numbered_sgpr, 0
	.set _ZN7rocprim17ROCPRIM_400000_NS6detail17trampoline_kernelINS0_13select_configILj256ELj13ELNS0_17block_load_methodE3ELS4_3ELS4_3ELNS0_20block_scan_algorithmE0ELj4294967295EEENS1_25partition_config_selectorILNS1_17partition_subalgoE4EjNS0_10empty_typeEbEEZZNS1_14partition_implILS8_4ELb0ES6_15HIP_vector_typeIjLj2EENS0_17counting_iteratorIjlEEPS9_SG_NS0_5tupleIJPjSI_NS0_16reverse_iteratorISI_EEEEENSH_IJSG_SG_SG_EEES9_SI_JZNS1_25segmented_radix_sort_implINS0_14default_configELb1EPKfPfPKlPlN2at6native12_GLOBAL__N_18offset_tEEE10hipError_tPvRmT1_PNSt15iterator_traitsIS12_E10value_typeET2_T3_PNS13_IS18_E10value_typeET4_jRbjT5_S1E_jjP12ihipStream_tbEUljE_ZNSN_ISO_Lb1ESQ_SR_ST_SU_SY_EESZ_S10_S11_S12_S16_S17_S18_S1B_S1C_jS1D_jS1E_S1E_jjS1G_bEUljE0_EEESZ_S10_S11_S18_S1C_S1E_T6_T7_T9_mT8_S1G_bDpT10_ENKUlT_T0_E_clISt17integral_constantIbLb1EES1T_IbLb0EEEEDaS1P_S1Q_EUlS1P_E_NS1_11comp_targetILNS1_3genE4ELNS1_11target_archE910ELNS1_3gpuE8ELNS1_3repE0EEENS1_30default_config_static_selectorELNS0_4arch9wavefront6targetE0EEEvS12_.num_named_barrier, 0
	.set _ZN7rocprim17ROCPRIM_400000_NS6detail17trampoline_kernelINS0_13select_configILj256ELj13ELNS0_17block_load_methodE3ELS4_3ELS4_3ELNS0_20block_scan_algorithmE0ELj4294967295EEENS1_25partition_config_selectorILNS1_17partition_subalgoE4EjNS0_10empty_typeEbEEZZNS1_14partition_implILS8_4ELb0ES6_15HIP_vector_typeIjLj2EENS0_17counting_iteratorIjlEEPS9_SG_NS0_5tupleIJPjSI_NS0_16reverse_iteratorISI_EEEEENSH_IJSG_SG_SG_EEES9_SI_JZNS1_25segmented_radix_sort_implINS0_14default_configELb1EPKfPfPKlPlN2at6native12_GLOBAL__N_18offset_tEEE10hipError_tPvRmT1_PNSt15iterator_traitsIS12_E10value_typeET2_T3_PNS13_IS18_E10value_typeET4_jRbjT5_S1E_jjP12ihipStream_tbEUljE_ZNSN_ISO_Lb1ESQ_SR_ST_SU_SY_EESZ_S10_S11_S12_S16_S17_S18_S1B_S1C_jS1D_jS1E_S1E_jjS1G_bEUljE0_EEESZ_S10_S11_S18_S1C_S1E_T6_T7_T9_mT8_S1G_bDpT10_ENKUlT_T0_E_clISt17integral_constantIbLb1EES1T_IbLb0EEEEDaS1P_S1Q_EUlS1P_E_NS1_11comp_targetILNS1_3genE4ELNS1_11target_archE910ELNS1_3gpuE8ELNS1_3repE0EEENS1_30default_config_static_selectorELNS0_4arch9wavefront6targetE0EEEvS12_.private_seg_size, 0
	.set _ZN7rocprim17ROCPRIM_400000_NS6detail17trampoline_kernelINS0_13select_configILj256ELj13ELNS0_17block_load_methodE3ELS4_3ELS4_3ELNS0_20block_scan_algorithmE0ELj4294967295EEENS1_25partition_config_selectorILNS1_17partition_subalgoE4EjNS0_10empty_typeEbEEZZNS1_14partition_implILS8_4ELb0ES6_15HIP_vector_typeIjLj2EENS0_17counting_iteratorIjlEEPS9_SG_NS0_5tupleIJPjSI_NS0_16reverse_iteratorISI_EEEEENSH_IJSG_SG_SG_EEES9_SI_JZNS1_25segmented_radix_sort_implINS0_14default_configELb1EPKfPfPKlPlN2at6native12_GLOBAL__N_18offset_tEEE10hipError_tPvRmT1_PNSt15iterator_traitsIS12_E10value_typeET2_T3_PNS13_IS18_E10value_typeET4_jRbjT5_S1E_jjP12ihipStream_tbEUljE_ZNSN_ISO_Lb1ESQ_SR_ST_SU_SY_EESZ_S10_S11_S12_S16_S17_S18_S1B_S1C_jS1D_jS1E_S1E_jjS1G_bEUljE0_EEESZ_S10_S11_S18_S1C_S1E_T6_T7_T9_mT8_S1G_bDpT10_ENKUlT_T0_E_clISt17integral_constantIbLb1EES1T_IbLb0EEEEDaS1P_S1Q_EUlS1P_E_NS1_11comp_targetILNS1_3genE4ELNS1_11target_archE910ELNS1_3gpuE8ELNS1_3repE0EEENS1_30default_config_static_selectorELNS0_4arch9wavefront6targetE0EEEvS12_.uses_vcc, 0
	.set _ZN7rocprim17ROCPRIM_400000_NS6detail17trampoline_kernelINS0_13select_configILj256ELj13ELNS0_17block_load_methodE3ELS4_3ELS4_3ELNS0_20block_scan_algorithmE0ELj4294967295EEENS1_25partition_config_selectorILNS1_17partition_subalgoE4EjNS0_10empty_typeEbEEZZNS1_14partition_implILS8_4ELb0ES6_15HIP_vector_typeIjLj2EENS0_17counting_iteratorIjlEEPS9_SG_NS0_5tupleIJPjSI_NS0_16reverse_iteratorISI_EEEEENSH_IJSG_SG_SG_EEES9_SI_JZNS1_25segmented_radix_sort_implINS0_14default_configELb1EPKfPfPKlPlN2at6native12_GLOBAL__N_18offset_tEEE10hipError_tPvRmT1_PNSt15iterator_traitsIS12_E10value_typeET2_T3_PNS13_IS18_E10value_typeET4_jRbjT5_S1E_jjP12ihipStream_tbEUljE_ZNSN_ISO_Lb1ESQ_SR_ST_SU_SY_EESZ_S10_S11_S12_S16_S17_S18_S1B_S1C_jS1D_jS1E_S1E_jjS1G_bEUljE0_EEESZ_S10_S11_S18_S1C_S1E_T6_T7_T9_mT8_S1G_bDpT10_ENKUlT_T0_E_clISt17integral_constantIbLb1EES1T_IbLb0EEEEDaS1P_S1Q_EUlS1P_E_NS1_11comp_targetILNS1_3genE4ELNS1_11target_archE910ELNS1_3gpuE8ELNS1_3repE0EEENS1_30default_config_static_selectorELNS0_4arch9wavefront6targetE0EEEvS12_.uses_flat_scratch, 0
	.set _ZN7rocprim17ROCPRIM_400000_NS6detail17trampoline_kernelINS0_13select_configILj256ELj13ELNS0_17block_load_methodE3ELS4_3ELS4_3ELNS0_20block_scan_algorithmE0ELj4294967295EEENS1_25partition_config_selectorILNS1_17partition_subalgoE4EjNS0_10empty_typeEbEEZZNS1_14partition_implILS8_4ELb0ES6_15HIP_vector_typeIjLj2EENS0_17counting_iteratorIjlEEPS9_SG_NS0_5tupleIJPjSI_NS0_16reverse_iteratorISI_EEEEENSH_IJSG_SG_SG_EEES9_SI_JZNS1_25segmented_radix_sort_implINS0_14default_configELb1EPKfPfPKlPlN2at6native12_GLOBAL__N_18offset_tEEE10hipError_tPvRmT1_PNSt15iterator_traitsIS12_E10value_typeET2_T3_PNS13_IS18_E10value_typeET4_jRbjT5_S1E_jjP12ihipStream_tbEUljE_ZNSN_ISO_Lb1ESQ_SR_ST_SU_SY_EESZ_S10_S11_S12_S16_S17_S18_S1B_S1C_jS1D_jS1E_S1E_jjS1G_bEUljE0_EEESZ_S10_S11_S18_S1C_S1E_T6_T7_T9_mT8_S1G_bDpT10_ENKUlT_T0_E_clISt17integral_constantIbLb1EES1T_IbLb0EEEEDaS1P_S1Q_EUlS1P_E_NS1_11comp_targetILNS1_3genE4ELNS1_11target_archE910ELNS1_3gpuE8ELNS1_3repE0EEENS1_30default_config_static_selectorELNS0_4arch9wavefront6targetE0EEEvS12_.has_dyn_sized_stack, 0
	.set _ZN7rocprim17ROCPRIM_400000_NS6detail17trampoline_kernelINS0_13select_configILj256ELj13ELNS0_17block_load_methodE3ELS4_3ELS4_3ELNS0_20block_scan_algorithmE0ELj4294967295EEENS1_25partition_config_selectorILNS1_17partition_subalgoE4EjNS0_10empty_typeEbEEZZNS1_14partition_implILS8_4ELb0ES6_15HIP_vector_typeIjLj2EENS0_17counting_iteratorIjlEEPS9_SG_NS0_5tupleIJPjSI_NS0_16reverse_iteratorISI_EEEEENSH_IJSG_SG_SG_EEES9_SI_JZNS1_25segmented_radix_sort_implINS0_14default_configELb1EPKfPfPKlPlN2at6native12_GLOBAL__N_18offset_tEEE10hipError_tPvRmT1_PNSt15iterator_traitsIS12_E10value_typeET2_T3_PNS13_IS18_E10value_typeET4_jRbjT5_S1E_jjP12ihipStream_tbEUljE_ZNSN_ISO_Lb1ESQ_SR_ST_SU_SY_EESZ_S10_S11_S12_S16_S17_S18_S1B_S1C_jS1D_jS1E_S1E_jjS1G_bEUljE0_EEESZ_S10_S11_S18_S1C_S1E_T6_T7_T9_mT8_S1G_bDpT10_ENKUlT_T0_E_clISt17integral_constantIbLb1EES1T_IbLb0EEEEDaS1P_S1Q_EUlS1P_E_NS1_11comp_targetILNS1_3genE4ELNS1_11target_archE910ELNS1_3gpuE8ELNS1_3repE0EEENS1_30default_config_static_selectorELNS0_4arch9wavefront6targetE0EEEvS12_.has_recursion, 0
	.set _ZN7rocprim17ROCPRIM_400000_NS6detail17trampoline_kernelINS0_13select_configILj256ELj13ELNS0_17block_load_methodE3ELS4_3ELS4_3ELNS0_20block_scan_algorithmE0ELj4294967295EEENS1_25partition_config_selectorILNS1_17partition_subalgoE4EjNS0_10empty_typeEbEEZZNS1_14partition_implILS8_4ELb0ES6_15HIP_vector_typeIjLj2EENS0_17counting_iteratorIjlEEPS9_SG_NS0_5tupleIJPjSI_NS0_16reverse_iteratorISI_EEEEENSH_IJSG_SG_SG_EEES9_SI_JZNS1_25segmented_radix_sort_implINS0_14default_configELb1EPKfPfPKlPlN2at6native12_GLOBAL__N_18offset_tEEE10hipError_tPvRmT1_PNSt15iterator_traitsIS12_E10value_typeET2_T3_PNS13_IS18_E10value_typeET4_jRbjT5_S1E_jjP12ihipStream_tbEUljE_ZNSN_ISO_Lb1ESQ_SR_ST_SU_SY_EESZ_S10_S11_S12_S16_S17_S18_S1B_S1C_jS1D_jS1E_S1E_jjS1G_bEUljE0_EEESZ_S10_S11_S18_S1C_S1E_T6_T7_T9_mT8_S1G_bDpT10_ENKUlT_T0_E_clISt17integral_constantIbLb1EES1T_IbLb0EEEEDaS1P_S1Q_EUlS1P_E_NS1_11comp_targetILNS1_3genE4ELNS1_11target_archE910ELNS1_3gpuE8ELNS1_3repE0EEENS1_30default_config_static_selectorELNS0_4arch9wavefront6targetE0EEEvS12_.has_indirect_call, 0
	.section	.AMDGPU.csdata,"",@progbits
; Kernel info:
; codeLenInByte = 0
; TotalNumSgprs: 0
; NumVgprs: 0
; ScratchSize: 0
; MemoryBound: 0
; FloatMode: 240
; IeeeMode: 1
; LDSByteSize: 0 bytes/workgroup (compile time only)
; SGPRBlocks: 0
; VGPRBlocks: 0
; NumSGPRsForWavesPerEU: 1
; NumVGPRsForWavesPerEU: 1
; Occupancy: 16
; WaveLimiterHint : 0
; COMPUTE_PGM_RSRC2:SCRATCH_EN: 0
; COMPUTE_PGM_RSRC2:USER_SGPR: 6
; COMPUTE_PGM_RSRC2:TRAP_HANDLER: 0
; COMPUTE_PGM_RSRC2:TGID_X_EN: 1
; COMPUTE_PGM_RSRC2:TGID_Y_EN: 0
; COMPUTE_PGM_RSRC2:TGID_Z_EN: 0
; COMPUTE_PGM_RSRC2:TIDIG_COMP_CNT: 0
	.section	.text._ZN7rocprim17ROCPRIM_400000_NS6detail17trampoline_kernelINS0_13select_configILj256ELj13ELNS0_17block_load_methodE3ELS4_3ELS4_3ELNS0_20block_scan_algorithmE0ELj4294967295EEENS1_25partition_config_selectorILNS1_17partition_subalgoE4EjNS0_10empty_typeEbEEZZNS1_14partition_implILS8_4ELb0ES6_15HIP_vector_typeIjLj2EENS0_17counting_iteratorIjlEEPS9_SG_NS0_5tupleIJPjSI_NS0_16reverse_iteratorISI_EEEEENSH_IJSG_SG_SG_EEES9_SI_JZNS1_25segmented_radix_sort_implINS0_14default_configELb1EPKfPfPKlPlN2at6native12_GLOBAL__N_18offset_tEEE10hipError_tPvRmT1_PNSt15iterator_traitsIS12_E10value_typeET2_T3_PNS13_IS18_E10value_typeET4_jRbjT5_S1E_jjP12ihipStream_tbEUljE_ZNSN_ISO_Lb1ESQ_SR_ST_SU_SY_EESZ_S10_S11_S12_S16_S17_S18_S1B_S1C_jS1D_jS1E_S1E_jjS1G_bEUljE0_EEESZ_S10_S11_S18_S1C_S1E_T6_T7_T9_mT8_S1G_bDpT10_ENKUlT_T0_E_clISt17integral_constantIbLb1EES1T_IbLb0EEEEDaS1P_S1Q_EUlS1P_E_NS1_11comp_targetILNS1_3genE3ELNS1_11target_archE908ELNS1_3gpuE7ELNS1_3repE0EEENS1_30default_config_static_selectorELNS0_4arch9wavefront6targetE0EEEvS12_,"axG",@progbits,_ZN7rocprim17ROCPRIM_400000_NS6detail17trampoline_kernelINS0_13select_configILj256ELj13ELNS0_17block_load_methodE3ELS4_3ELS4_3ELNS0_20block_scan_algorithmE0ELj4294967295EEENS1_25partition_config_selectorILNS1_17partition_subalgoE4EjNS0_10empty_typeEbEEZZNS1_14partition_implILS8_4ELb0ES6_15HIP_vector_typeIjLj2EENS0_17counting_iteratorIjlEEPS9_SG_NS0_5tupleIJPjSI_NS0_16reverse_iteratorISI_EEEEENSH_IJSG_SG_SG_EEES9_SI_JZNS1_25segmented_radix_sort_implINS0_14default_configELb1EPKfPfPKlPlN2at6native12_GLOBAL__N_18offset_tEEE10hipError_tPvRmT1_PNSt15iterator_traitsIS12_E10value_typeET2_T3_PNS13_IS18_E10value_typeET4_jRbjT5_S1E_jjP12ihipStream_tbEUljE_ZNSN_ISO_Lb1ESQ_SR_ST_SU_SY_EESZ_S10_S11_S12_S16_S17_S18_S1B_S1C_jS1D_jS1E_S1E_jjS1G_bEUljE0_EEESZ_S10_S11_S18_S1C_S1E_T6_T7_T9_mT8_S1G_bDpT10_ENKUlT_T0_E_clISt17integral_constantIbLb1EES1T_IbLb0EEEEDaS1P_S1Q_EUlS1P_E_NS1_11comp_targetILNS1_3genE3ELNS1_11target_archE908ELNS1_3gpuE7ELNS1_3repE0EEENS1_30default_config_static_selectorELNS0_4arch9wavefront6targetE0EEEvS12_,comdat
	.globl	_ZN7rocprim17ROCPRIM_400000_NS6detail17trampoline_kernelINS0_13select_configILj256ELj13ELNS0_17block_load_methodE3ELS4_3ELS4_3ELNS0_20block_scan_algorithmE0ELj4294967295EEENS1_25partition_config_selectorILNS1_17partition_subalgoE4EjNS0_10empty_typeEbEEZZNS1_14partition_implILS8_4ELb0ES6_15HIP_vector_typeIjLj2EENS0_17counting_iteratorIjlEEPS9_SG_NS0_5tupleIJPjSI_NS0_16reverse_iteratorISI_EEEEENSH_IJSG_SG_SG_EEES9_SI_JZNS1_25segmented_radix_sort_implINS0_14default_configELb1EPKfPfPKlPlN2at6native12_GLOBAL__N_18offset_tEEE10hipError_tPvRmT1_PNSt15iterator_traitsIS12_E10value_typeET2_T3_PNS13_IS18_E10value_typeET4_jRbjT5_S1E_jjP12ihipStream_tbEUljE_ZNSN_ISO_Lb1ESQ_SR_ST_SU_SY_EESZ_S10_S11_S12_S16_S17_S18_S1B_S1C_jS1D_jS1E_S1E_jjS1G_bEUljE0_EEESZ_S10_S11_S18_S1C_S1E_T6_T7_T9_mT8_S1G_bDpT10_ENKUlT_T0_E_clISt17integral_constantIbLb1EES1T_IbLb0EEEEDaS1P_S1Q_EUlS1P_E_NS1_11comp_targetILNS1_3genE3ELNS1_11target_archE908ELNS1_3gpuE7ELNS1_3repE0EEENS1_30default_config_static_selectorELNS0_4arch9wavefront6targetE0EEEvS12_ ; -- Begin function _ZN7rocprim17ROCPRIM_400000_NS6detail17trampoline_kernelINS0_13select_configILj256ELj13ELNS0_17block_load_methodE3ELS4_3ELS4_3ELNS0_20block_scan_algorithmE0ELj4294967295EEENS1_25partition_config_selectorILNS1_17partition_subalgoE4EjNS0_10empty_typeEbEEZZNS1_14partition_implILS8_4ELb0ES6_15HIP_vector_typeIjLj2EENS0_17counting_iteratorIjlEEPS9_SG_NS0_5tupleIJPjSI_NS0_16reverse_iteratorISI_EEEEENSH_IJSG_SG_SG_EEES9_SI_JZNS1_25segmented_radix_sort_implINS0_14default_configELb1EPKfPfPKlPlN2at6native12_GLOBAL__N_18offset_tEEE10hipError_tPvRmT1_PNSt15iterator_traitsIS12_E10value_typeET2_T3_PNS13_IS18_E10value_typeET4_jRbjT5_S1E_jjP12ihipStream_tbEUljE_ZNSN_ISO_Lb1ESQ_SR_ST_SU_SY_EESZ_S10_S11_S12_S16_S17_S18_S1B_S1C_jS1D_jS1E_S1E_jjS1G_bEUljE0_EEESZ_S10_S11_S18_S1C_S1E_T6_T7_T9_mT8_S1G_bDpT10_ENKUlT_T0_E_clISt17integral_constantIbLb1EES1T_IbLb0EEEEDaS1P_S1Q_EUlS1P_E_NS1_11comp_targetILNS1_3genE3ELNS1_11target_archE908ELNS1_3gpuE7ELNS1_3repE0EEENS1_30default_config_static_selectorELNS0_4arch9wavefront6targetE0EEEvS12_
	.p2align	8
	.type	_ZN7rocprim17ROCPRIM_400000_NS6detail17trampoline_kernelINS0_13select_configILj256ELj13ELNS0_17block_load_methodE3ELS4_3ELS4_3ELNS0_20block_scan_algorithmE0ELj4294967295EEENS1_25partition_config_selectorILNS1_17partition_subalgoE4EjNS0_10empty_typeEbEEZZNS1_14partition_implILS8_4ELb0ES6_15HIP_vector_typeIjLj2EENS0_17counting_iteratorIjlEEPS9_SG_NS0_5tupleIJPjSI_NS0_16reverse_iteratorISI_EEEEENSH_IJSG_SG_SG_EEES9_SI_JZNS1_25segmented_radix_sort_implINS0_14default_configELb1EPKfPfPKlPlN2at6native12_GLOBAL__N_18offset_tEEE10hipError_tPvRmT1_PNSt15iterator_traitsIS12_E10value_typeET2_T3_PNS13_IS18_E10value_typeET4_jRbjT5_S1E_jjP12ihipStream_tbEUljE_ZNSN_ISO_Lb1ESQ_SR_ST_SU_SY_EESZ_S10_S11_S12_S16_S17_S18_S1B_S1C_jS1D_jS1E_S1E_jjS1G_bEUljE0_EEESZ_S10_S11_S18_S1C_S1E_T6_T7_T9_mT8_S1G_bDpT10_ENKUlT_T0_E_clISt17integral_constantIbLb1EES1T_IbLb0EEEEDaS1P_S1Q_EUlS1P_E_NS1_11comp_targetILNS1_3genE3ELNS1_11target_archE908ELNS1_3gpuE7ELNS1_3repE0EEENS1_30default_config_static_selectorELNS0_4arch9wavefront6targetE0EEEvS12_,@function
_ZN7rocprim17ROCPRIM_400000_NS6detail17trampoline_kernelINS0_13select_configILj256ELj13ELNS0_17block_load_methodE3ELS4_3ELS4_3ELNS0_20block_scan_algorithmE0ELj4294967295EEENS1_25partition_config_selectorILNS1_17partition_subalgoE4EjNS0_10empty_typeEbEEZZNS1_14partition_implILS8_4ELb0ES6_15HIP_vector_typeIjLj2EENS0_17counting_iteratorIjlEEPS9_SG_NS0_5tupleIJPjSI_NS0_16reverse_iteratorISI_EEEEENSH_IJSG_SG_SG_EEES9_SI_JZNS1_25segmented_radix_sort_implINS0_14default_configELb1EPKfPfPKlPlN2at6native12_GLOBAL__N_18offset_tEEE10hipError_tPvRmT1_PNSt15iterator_traitsIS12_E10value_typeET2_T3_PNS13_IS18_E10value_typeET4_jRbjT5_S1E_jjP12ihipStream_tbEUljE_ZNSN_ISO_Lb1ESQ_SR_ST_SU_SY_EESZ_S10_S11_S12_S16_S17_S18_S1B_S1C_jS1D_jS1E_S1E_jjS1G_bEUljE0_EEESZ_S10_S11_S18_S1C_S1E_T6_T7_T9_mT8_S1G_bDpT10_ENKUlT_T0_E_clISt17integral_constantIbLb1EES1T_IbLb0EEEEDaS1P_S1Q_EUlS1P_E_NS1_11comp_targetILNS1_3genE3ELNS1_11target_archE908ELNS1_3gpuE7ELNS1_3repE0EEENS1_30default_config_static_selectorELNS0_4arch9wavefront6targetE0EEEvS12_: ; @_ZN7rocprim17ROCPRIM_400000_NS6detail17trampoline_kernelINS0_13select_configILj256ELj13ELNS0_17block_load_methodE3ELS4_3ELS4_3ELNS0_20block_scan_algorithmE0ELj4294967295EEENS1_25partition_config_selectorILNS1_17partition_subalgoE4EjNS0_10empty_typeEbEEZZNS1_14partition_implILS8_4ELb0ES6_15HIP_vector_typeIjLj2EENS0_17counting_iteratorIjlEEPS9_SG_NS0_5tupleIJPjSI_NS0_16reverse_iteratorISI_EEEEENSH_IJSG_SG_SG_EEES9_SI_JZNS1_25segmented_radix_sort_implINS0_14default_configELb1EPKfPfPKlPlN2at6native12_GLOBAL__N_18offset_tEEE10hipError_tPvRmT1_PNSt15iterator_traitsIS12_E10value_typeET2_T3_PNS13_IS18_E10value_typeET4_jRbjT5_S1E_jjP12ihipStream_tbEUljE_ZNSN_ISO_Lb1ESQ_SR_ST_SU_SY_EESZ_S10_S11_S12_S16_S17_S18_S1B_S1C_jS1D_jS1E_S1E_jjS1G_bEUljE0_EEESZ_S10_S11_S18_S1C_S1E_T6_T7_T9_mT8_S1G_bDpT10_ENKUlT_T0_E_clISt17integral_constantIbLb1EES1T_IbLb0EEEEDaS1P_S1Q_EUlS1P_E_NS1_11comp_targetILNS1_3genE3ELNS1_11target_archE908ELNS1_3gpuE7ELNS1_3repE0EEENS1_30default_config_static_selectorELNS0_4arch9wavefront6targetE0EEEvS12_
; %bb.0:
	.section	.rodata,"a",@progbits
	.p2align	6, 0x0
	.amdhsa_kernel _ZN7rocprim17ROCPRIM_400000_NS6detail17trampoline_kernelINS0_13select_configILj256ELj13ELNS0_17block_load_methodE3ELS4_3ELS4_3ELNS0_20block_scan_algorithmE0ELj4294967295EEENS1_25partition_config_selectorILNS1_17partition_subalgoE4EjNS0_10empty_typeEbEEZZNS1_14partition_implILS8_4ELb0ES6_15HIP_vector_typeIjLj2EENS0_17counting_iteratorIjlEEPS9_SG_NS0_5tupleIJPjSI_NS0_16reverse_iteratorISI_EEEEENSH_IJSG_SG_SG_EEES9_SI_JZNS1_25segmented_radix_sort_implINS0_14default_configELb1EPKfPfPKlPlN2at6native12_GLOBAL__N_18offset_tEEE10hipError_tPvRmT1_PNSt15iterator_traitsIS12_E10value_typeET2_T3_PNS13_IS18_E10value_typeET4_jRbjT5_S1E_jjP12ihipStream_tbEUljE_ZNSN_ISO_Lb1ESQ_SR_ST_SU_SY_EESZ_S10_S11_S12_S16_S17_S18_S1B_S1C_jS1D_jS1E_S1E_jjS1G_bEUljE0_EEESZ_S10_S11_S18_S1C_S1E_T6_T7_T9_mT8_S1G_bDpT10_ENKUlT_T0_E_clISt17integral_constantIbLb1EES1T_IbLb0EEEEDaS1P_S1Q_EUlS1P_E_NS1_11comp_targetILNS1_3genE3ELNS1_11target_archE908ELNS1_3gpuE7ELNS1_3repE0EEENS1_30default_config_static_selectorELNS0_4arch9wavefront6targetE0EEEvS12_
		.amdhsa_group_segment_fixed_size 0
		.amdhsa_private_segment_fixed_size 0
		.amdhsa_kernarg_size 176
		.amdhsa_user_sgpr_count 6
		.amdhsa_user_sgpr_private_segment_buffer 1
		.amdhsa_user_sgpr_dispatch_ptr 0
		.amdhsa_user_sgpr_queue_ptr 0
		.amdhsa_user_sgpr_kernarg_segment_ptr 1
		.amdhsa_user_sgpr_dispatch_id 0
		.amdhsa_user_sgpr_flat_scratch_init 0
		.amdhsa_user_sgpr_private_segment_size 0
		.amdhsa_wavefront_size32 1
		.amdhsa_uses_dynamic_stack 0
		.amdhsa_system_sgpr_private_segment_wavefront_offset 0
		.amdhsa_system_sgpr_workgroup_id_x 1
		.amdhsa_system_sgpr_workgroup_id_y 0
		.amdhsa_system_sgpr_workgroup_id_z 0
		.amdhsa_system_sgpr_workgroup_info 0
		.amdhsa_system_vgpr_workitem_id 0
		.amdhsa_next_free_vgpr 1
		.amdhsa_next_free_sgpr 1
		.amdhsa_reserve_vcc 0
		.amdhsa_reserve_flat_scratch 0
		.amdhsa_float_round_mode_32 0
		.amdhsa_float_round_mode_16_64 0
		.amdhsa_float_denorm_mode_32 3
		.amdhsa_float_denorm_mode_16_64 3
		.amdhsa_dx10_clamp 1
		.amdhsa_ieee_mode 1
		.amdhsa_fp16_overflow 0
		.amdhsa_workgroup_processor_mode 1
		.amdhsa_memory_ordered 1
		.amdhsa_forward_progress 1
		.amdhsa_shared_vgpr_count 0
		.amdhsa_exception_fp_ieee_invalid_op 0
		.amdhsa_exception_fp_denorm_src 0
		.amdhsa_exception_fp_ieee_div_zero 0
		.amdhsa_exception_fp_ieee_overflow 0
		.amdhsa_exception_fp_ieee_underflow 0
		.amdhsa_exception_fp_ieee_inexact 0
		.amdhsa_exception_int_div_zero 0
	.end_amdhsa_kernel
	.section	.text._ZN7rocprim17ROCPRIM_400000_NS6detail17trampoline_kernelINS0_13select_configILj256ELj13ELNS0_17block_load_methodE3ELS4_3ELS4_3ELNS0_20block_scan_algorithmE0ELj4294967295EEENS1_25partition_config_selectorILNS1_17partition_subalgoE4EjNS0_10empty_typeEbEEZZNS1_14partition_implILS8_4ELb0ES6_15HIP_vector_typeIjLj2EENS0_17counting_iteratorIjlEEPS9_SG_NS0_5tupleIJPjSI_NS0_16reverse_iteratorISI_EEEEENSH_IJSG_SG_SG_EEES9_SI_JZNS1_25segmented_radix_sort_implINS0_14default_configELb1EPKfPfPKlPlN2at6native12_GLOBAL__N_18offset_tEEE10hipError_tPvRmT1_PNSt15iterator_traitsIS12_E10value_typeET2_T3_PNS13_IS18_E10value_typeET4_jRbjT5_S1E_jjP12ihipStream_tbEUljE_ZNSN_ISO_Lb1ESQ_SR_ST_SU_SY_EESZ_S10_S11_S12_S16_S17_S18_S1B_S1C_jS1D_jS1E_S1E_jjS1G_bEUljE0_EEESZ_S10_S11_S18_S1C_S1E_T6_T7_T9_mT8_S1G_bDpT10_ENKUlT_T0_E_clISt17integral_constantIbLb1EES1T_IbLb0EEEEDaS1P_S1Q_EUlS1P_E_NS1_11comp_targetILNS1_3genE3ELNS1_11target_archE908ELNS1_3gpuE7ELNS1_3repE0EEENS1_30default_config_static_selectorELNS0_4arch9wavefront6targetE0EEEvS12_,"axG",@progbits,_ZN7rocprim17ROCPRIM_400000_NS6detail17trampoline_kernelINS0_13select_configILj256ELj13ELNS0_17block_load_methodE3ELS4_3ELS4_3ELNS0_20block_scan_algorithmE0ELj4294967295EEENS1_25partition_config_selectorILNS1_17partition_subalgoE4EjNS0_10empty_typeEbEEZZNS1_14partition_implILS8_4ELb0ES6_15HIP_vector_typeIjLj2EENS0_17counting_iteratorIjlEEPS9_SG_NS0_5tupleIJPjSI_NS0_16reverse_iteratorISI_EEEEENSH_IJSG_SG_SG_EEES9_SI_JZNS1_25segmented_radix_sort_implINS0_14default_configELb1EPKfPfPKlPlN2at6native12_GLOBAL__N_18offset_tEEE10hipError_tPvRmT1_PNSt15iterator_traitsIS12_E10value_typeET2_T3_PNS13_IS18_E10value_typeET4_jRbjT5_S1E_jjP12ihipStream_tbEUljE_ZNSN_ISO_Lb1ESQ_SR_ST_SU_SY_EESZ_S10_S11_S12_S16_S17_S18_S1B_S1C_jS1D_jS1E_S1E_jjS1G_bEUljE0_EEESZ_S10_S11_S18_S1C_S1E_T6_T7_T9_mT8_S1G_bDpT10_ENKUlT_T0_E_clISt17integral_constantIbLb1EES1T_IbLb0EEEEDaS1P_S1Q_EUlS1P_E_NS1_11comp_targetILNS1_3genE3ELNS1_11target_archE908ELNS1_3gpuE7ELNS1_3repE0EEENS1_30default_config_static_selectorELNS0_4arch9wavefront6targetE0EEEvS12_,comdat
.Lfunc_end1272:
	.size	_ZN7rocprim17ROCPRIM_400000_NS6detail17trampoline_kernelINS0_13select_configILj256ELj13ELNS0_17block_load_methodE3ELS4_3ELS4_3ELNS0_20block_scan_algorithmE0ELj4294967295EEENS1_25partition_config_selectorILNS1_17partition_subalgoE4EjNS0_10empty_typeEbEEZZNS1_14partition_implILS8_4ELb0ES6_15HIP_vector_typeIjLj2EENS0_17counting_iteratorIjlEEPS9_SG_NS0_5tupleIJPjSI_NS0_16reverse_iteratorISI_EEEEENSH_IJSG_SG_SG_EEES9_SI_JZNS1_25segmented_radix_sort_implINS0_14default_configELb1EPKfPfPKlPlN2at6native12_GLOBAL__N_18offset_tEEE10hipError_tPvRmT1_PNSt15iterator_traitsIS12_E10value_typeET2_T3_PNS13_IS18_E10value_typeET4_jRbjT5_S1E_jjP12ihipStream_tbEUljE_ZNSN_ISO_Lb1ESQ_SR_ST_SU_SY_EESZ_S10_S11_S12_S16_S17_S18_S1B_S1C_jS1D_jS1E_S1E_jjS1G_bEUljE0_EEESZ_S10_S11_S18_S1C_S1E_T6_T7_T9_mT8_S1G_bDpT10_ENKUlT_T0_E_clISt17integral_constantIbLb1EES1T_IbLb0EEEEDaS1P_S1Q_EUlS1P_E_NS1_11comp_targetILNS1_3genE3ELNS1_11target_archE908ELNS1_3gpuE7ELNS1_3repE0EEENS1_30default_config_static_selectorELNS0_4arch9wavefront6targetE0EEEvS12_, .Lfunc_end1272-_ZN7rocprim17ROCPRIM_400000_NS6detail17trampoline_kernelINS0_13select_configILj256ELj13ELNS0_17block_load_methodE3ELS4_3ELS4_3ELNS0_20block_scan_algorithmE0ELj4294967295EEENS1_25partition_config_selectorILNS1_17partition_subalgoE4EjNS0_10empty_typeEbEEZZNS1_14partition_implILS8_4ELb0ES6_15HIP_vector_typeIjLj2EENS0_17counting_iteratorIjlEEPS9_SG_NS0_5tupleIJPjSI_NS0_16reverse_iteratorISI_EEEEENSH_IJSG_SG_SG_EEES9_SI_JZNS1_25segmented_radix_sort_implINS0_14default_configELb1EPKfPfPKlPlN2at6native12_GLOBAL__N_18offset_tEEE10hipError_tPvRmT1_PNSt15iterator_traitsIS12_E10value_typeET2_T3_PNS13_IS18_E10value_typeET4_jRbjT5_S1E_jjP12ihipStream_tbEUljE_ZNSN_ISO_Lb1ESQ_SR_ST_SU_SY_EESZ_S10_S11_S12_S16_S17_S18_S1B_S1C_jS1D_jS1E_S1E_jjS1G_bEUljE0_EEESZ_S10_S11_S18_S1C_S1E_T6_T7_T9_mT8_S1G_bDpT10_ENKUlT_T0_E_clISt17integral_constantIbLb1EES1T_IbLb0EEEEDaS1P_S1Q_EUlS1P_E_NS1_11comp_targetILNS1_3genE3ELNS1_11target_archE908ELNS1_3gpuE7ELNS1_3repE0EEENS1_30default_config_static_selectorELNS0_4arch9wavefront6targetE0EEEvS12_
                                        ; -- End function
	.set _ZN7rocprim17ROCPRIM_400000_NS6detail17trampoline_kernelINS0_13select_configILj256ELj13ELNS0_17block_load_methodE3ELS4_3ELS4_3ELNS0_20block_scan_algorithmE0ELj4294967295EEENS1_25partition_config_selectorILNS1_17partition_subalgoE4EjNS0_10empty_typeEbEEZZNS1_14partition_implILS8_4ELb0ES6_15HIP_vector_typeIjLj2EENS0_17counting_iteratorIjlEEPS9_SG_NS0_5tupleIJPjSI_NS0_16reverse_iteratorISI_EEEEENSH_IJSG_SG_SG_EEES9_SI_JZNS1_25segmented_radix_sort_implINS0_14default_configELb1EPKfPfPKlPlN2at6native12_GLOBAL__N_18offset_tEEE10hipError_tPvRmT1_PNSt15iterator_traitsIS12_E10value_typeET2_T3_PNS13_IS18_E10value_typeET4_jRbjT5_S1E_jjP12ihipStream_tbEUljE_ZNSN_ISO_Lb1ESQ_SR_ST_SU_SY_EESZ_S10_S11_S12_S16_S17_S18_S1B_S1C_jS1D_jS1E_S1E_jjS1G_bEUljE0_EEESZ_S10_S11_S18_S1C_S1E_T6_T7_T9_mT8_S1G_bDpT10_ENKUlT_T0_E_clISt17integral_constantIbLb1EES1T_IbLb0EEEEDaS1P_S1Q_EUlS1P_E_NS1_11comp_targetILNS1_3genE3ELNS1_11target_archE908ELNS1_3gpuE7ELNS1_3repE0EEENS1_30default_config_static_selectorELNS0_4arch9wavefront6targetE0EEEvS12_.num_vgpr, 0
	.set _ZN7rocprim17ROCPRIM_400000_NS6detail17trampoline_kernelINS0_13select_configILj256ELj13ELNS0_17block_load_methodE3ELS4_3ELS4_3ELNS0_20block_scan_algorithmE0ELj4294967295EEENS1_25partition_config_selectorILNS1_17partition_subalgoE4EjNS0_10empty_typeEbEEZZNS1_14partition_implILS8_4ELb0ES6_15HIP_vector_typeIjLj2EENS0_17counting_iteratorIjlEEPS9_SG_NS0_5tupleIJPjSI_NS0_16reverse_iteratorISI_EEEEENSH_IJSG_SG_SG_EEES9_SI_JZNS1_25segmented_radix_sort_implINS0_14default_configELb1EPKfPfPKlPlN2at6native12_GLOBAL__N_18offset_tEEE10hipError_tPvRmT1_PNSt15iterator_traitsIS12_E10value_typeET2_T3_PNS13_IS18_E10value_typeET4_jRbjT5_S1E_jjP12ihipStream_tbEUljE_ZNSN_ISO_Lb1ESQ_SR_ST_SU_SY_EESZ_S10_S11_S12_S16_S17_S18_S1B_S1C_jS1D_jS1E_S1E_jjS1G_bEUljE0_EEESZ_S10_S11_S18_S1C_S1E_T6_T7_T9_mT8_S1G_bDpT10_ENKUlT_T0_E_clISt17integral_constantIbLb1EES1T_IbLb0EEEEDaS1P_S1Q_EUlS1P_E_NS1_11comp_targetILNS1_3genE3ELNS1_11target_archE908ELNS1_3gpuE7ELNS1_3repE0EEENS1_30default_config_static_selectorELNS0_4arch9wavefront6targetE0EEEvS12_.num_agpr, 0
	.set _ZN7rocprim17ROCPRIM_400000_NS6detail17trampoline_kernelINS0_13select_configILj256ELj13ELNS0_17block_load_methodE3ELS4_3ELS4_3ELNS0_20block_scan_algorithmE0ELj4294967295EEENS1_25partition_config_selectorILNS1_17partition_subalgoE4EjNS0_10empty_typeEbEEZZNS1_14partition_implILS8_4ELb0ES6_15HIP_vector_typeIjLj2EENS0_17counting_iteratorIjlEEPS9_SG_NS0_5tupleIJPjSI_NS0_16reverse_iteratorISI_EEEEENSH_IJSG_SG_SG_EEES9_SI_JZNS1_25segmented_radix_sort_implINS0_14default_configELb1EPKfPfPKlPlN2at6native12_GLOBAL__N_18offset_tEEE10hipError_tPvRmT1_PNSt15iterator_traitsIS12_E10value_typeET2_T3_PNS13_IS18_E10value_typeET4_jRbjT5_S1E_jjP12ihipStream_tbEUljE_ZNSN_ISO_Lb1ESQ_SR_ST_SU_SY_EESZ_S10_S11_S12_S16_S17_S18_S1B_S1C_jS1D_jS1E_S1E_jjS1G_bEUljE0_EEESZ_S10_S11_S18_S1C_S1E_T6_T7_T9_mT8_S1G_bDpT10_ENKUlT_T0_E_clISt17integral_constantIbLb1EES1T_IbLb0EEEEDaS1P_S1Q_EUlS1P_E_NS1_11comp_targetILNS1_3genE3ELNS1_11target_archE908ELNS1_3gpuE7ELNS1_3repE0EEENS1_30default_config_static_selectorELNS0_4arch9wavefront6targetE0EEEvS12_.numbered_sgpr, 0
	.set _ZN7rocprim17ROCPRIM_400000_NS6detail17trampoline_kernelINS0_13select_configILj256ELj13ELNS0_17block_load_methodE3ELS4_3ELS4_3ELNS0_20block_scan_algorithmE0ELj4294967295EEENS1_25partition_config_selectorILNS1_17partition_subalgoE4EjNS0_10empty_typeEbEEZZNS1_14partition_implILS8_4ELb0ES6_15HIP_vector_typeIjLj2EENS0_17counting_iteratorIjlEEPS9_SG_NS0_5tupleIJPjSI_NS0_16reverse_iteratorISI_EEEEENSH_IJSG_SG_SG_EEES9_SI_JZNS1_25segmented_radix_sort_implINS0_14default_configELb1EPKfPfPKlPlN2at6native12_GLOBAL__N_18offset_tEEE10hipError_tPvRmT1_PNSt15iterator_traitsIS12_E10value_typeET2_T3_PNS13_IS18_E10value_typeET4_jRbjT5_S1E_jjP12ihipStream_tbEUljE_ZNSN_ISO_Lb1ESQ_SR_ST_SU_SY_EESZ_S10_S11_S12_S16_S17_S18_S1B_S1C_jS1D_jS1E_S1E_jjS1G_bEUljE0_EEESZ_S10_S11_S18_S1C_S1E_T6_T7_T9_mT8_S1G_bDpT10_ENKUlT_T0_E_clISt17integral_constantIbLb1EES1T_IbLb0EEEEDaS1P_S1Q_EUlS1P_E_NS1_11comp_targetILNS1_3genE3ELNS1_11target_archE908ELNS1_3gpuE7ELNS1_3repE0EEENS1_30default_config_static_selectorELNS0_4arch9wavefront6targetE0EEEvS12_.num_named_barrier, 0
	.set _ZN7rocprim17ROCPRIM_400000_NS6detail17trampoline_kernelINS0_13select_configILj256ELj13ELNS0_17block_load_methodE3ELS4_3ELS4_3ELNS0_20block_scan_algorithmE0ELj4294967295EEENS1_25partition_config_selectorILNS1_17partition_subalgoE4EjNS0_10empty_typeEbEEZZNS1_14partition_implILS8_4ELb0ES6_15HIP_vector_typeIjLj2EENS0_17counting_iteratorIjlEEPS9_SG_NS0_5tupleIJPjSI_NS0_16reverse_iteratorISI_EEEEENSH_IJSG_SG_SG_EEES9_SI_JZNS1_25segmented_radix_sort_implINS0_14default_configELb1EPKfPfPKlPlN2at6native12_GLOBAL__N_18offset_tEEE10hipError_tPvRmT1_PNSt15iterator_traitsIS12_E10value_typeET2_T3_PNS13_IS18_E10value_typeET4_jRbjT5_S1E_jjP12ihipStream_tbEUljE_ZNSN_ISO_Lb1ESQ_SR_ST_SU_SY_EESZ_S10_S11_S12_S16_S17_S18_S1B_S1C_jS1D_jS1E_S1E_jjS1G_bEUljE0_EEESZ_S10_S11_S18_S1C_S1E_T6_T7_T9_mT8_S1G_bDpT10_ENKUlT_T0_E_clISt17integral_constantIbLb1EES1T_IbLb0EEEEDaS1P_S1Q_EUlS1P_E_NS1_11comp_targetILNS1_3genE3ELNS1_11target_archE908ELNS1_3gpuE7ELNS1_3repE0EEENS1_30default_config_static_selectorELNS0_4arch9wavefront6targetE0EEEvS12_.private_seg_size, 0
	.set _ZN7rocprim17ROCPRIM_400000_NS6detail17trampoline_kernelINS0_13select_configILj256ELj13ELNS0_17block_load_methodE3ELS4_3ELS4_3ELNS0_20block_scan_algorithmE0ELj4294967295EEENS1_25partition_config_selectorILNS1_17partition_subalgoE4EjNS0_10empty_typeEbEEZZNS1_14partition_implILS8_4ELb0ES6_15HIP_vector_typeIjLj2EENS0_17counting_iteratorIjlEEPS9_SG_NS0_5tupleIJPjSI_NS0_16reverse_iteratorISI_EEEEENSH_IJSG_SG_SG_EEES9_SI_JZNS1_25segmented_radix_sort_implINS0_14default_configELb1EPKfPfPKlPlN2at6native12_GLOBAL__N_18offset_tEEE10hipError_tPvRmT1_PNSt15iterator_traitsIS12_E10value_typeET2_T3_PNS13_IS18_E10value_typeET4_jRbjT5_S1E_jjP12ihipStream_tbEUljE_ZNSN_ISO_Lb1ESQ_SR_ST_SU_SY_EESZ_S10_S11_S12_S16_S17_S18_S1B_S1C_jS1D_jS1E_S1E_jjS1G_bEUljE0_EEESZ_S10_S11_S18_S1C_S1E_T6_T7_T9_mT8_S1G_bDpT10_ENKUlT_T0_E_clISt17integral_constantIbLb1EES1T_IbLb0EEEEDaS1P_S1Q_EUlS1P_E_NS1_11comp_targetILNS1_3genE3ELNS1_11target_archE908ELNS1_3gpuE7ELNS1_3repE0EEENS1_30default_config_static_selectorELNS0_4arch9wavefront6targetE0EEEvS12_.uses_vcc, 0
	.set _ZN7rocprim17ROCPRIM_400000_NS6detail17trampoline_kernelINS0_13select_configILj256ELj13ELNS0_17block_load_methodE3ELS4_3ELS4_3ELNS0_20block_scan_algorithmE0ELj4294967295EEENS1_25partition_config_selectorILNS1_17partition_subalgoE4EjNS0_10empty_typeEbEEZZNS1_14partition_implILS8_4ELb0ES6_15HIP_vector_typeIjLj2EENS0_17counting_iteratorIjlEEPS9_SG_NS0_5tupleIJPjSI_NS0_16reverse_iteratorISI_EEEEENSH_IJSG_SG_SG_EEES9_SI_JZNS1_25segmented_radix_sort_implINS0_14default_configELb1EPKfPfPKlPlN2at6native12_GLOBAL__N_18offset_tEEE10hipError_tPvRmT1_PNSt15iterator_traitsIS12_E10value_typeET2_T3_PNS13_IS18_E10value_typeET4_jRbjT5_S1E_jjP12ihipStream_tbEUljE_ZNSN_ISO_Lb1ESQ_SR_ST_SU_SY_EESZ_S10_S11_S12_S16_S17_S18_S1B_S1C_jS1D_jS1E_S1E_jjS1G_bEUljE0_EEESZ_S10_S11_S18_S1C_S1E_T6_T7_T9_mT8_S1G_bDpT10_ENKUlT_T0_E_clISt17integral_constantIbLb1EES1T_IbLb0EEEEDaS1P_S1Q_EUlS1P_E_NS1_11comp_targetILNS1_3genE3ELNS1_11target_archE908ELNS1_3gpuE7ELNS1_3repE0EEENS1_30default_config_static_selectorELNS0_4arch9wavefront6targetE0EEEvS12_.uses_flat_scratch, 0
	.set _ZN7rocprim17ROCPRIM_400000_NS6detail17trampoline_kernelINS0_13select_configILj256ELj13ELNS0_17block_load_methodE3ELS4_3ELS4_3ELNS0_20block_scan_algorithmE0ELj4294967295EEENS1_25partition_config_selectorILNS1_17partition_subalgoE4EjNS0_10empty_typeEbEEZZNS1_14partition_implILS8_4ELb0ES6_15HIP_vector_typeIjLj2EENS0_17counting_iteratorIjlEEPS9_SG_NS0_5tupleIJPjSI_NS0_16reverse_iteratorISI_EEEEENSH_IJSG_SG_SG_EEES9_SI_JZNS1_25segmented_radix_sort_implINS0_14default_configELb1EPKfPfPKlPlN2at6native12_GLOBAL__N_18offset_tEEE10hipError_tPvRmT1_PNSt15iterator_traitsIS12_E10value_typeET2_T3_PNS13_IS18_E10value_typeET4_jRbjT5_S1E_jjP12ihipStream_tbEUljE_ZNSN_ISO_Lb1ESQ_SR_ST_SU_SY_EESZ_S10_S11_S12_S16_S17_S18_S1B_S1C_jS1D_jS1E_S1E_jjS1G_bEUljE0_EEESZ_S10_S11_S18_S1C_S1E_T6_T7_T9_mT8_S1G_bDpT10_ENKUlT_T0_E_clISt17integral_constantIbLb1EES1T_IbLb0EEEEDaS1P_S1Q_EUlS1P_E_NS1_11comp_targetILNS1_3genE3ELNS1_11target_archE908ELNS1_3gpuE7ELNS1_3repE0EEENS1_30default_config_static_selectorELNS0_4arch9wavefront6targetE0EEEvS12_.has_dyn_sized_stack, 0
	.set _ZN7rocprim17ROCPRIM_400000_NS6detail17trampoline_kernelINS0_13select_configILj256ELj13ELNS0_17block_load_methodE3ELS4_3ELS4_3ELNS0_20block_scan_algorithmE0ELj4294967295EEENS1_25partition_config_selectorILNS1_17partition_subalgoE4EjNS0_10empty_typeEbEEZZNS1_14partition_implILS8_4ELb0ES6_15HIP_vector_typeIjLj2EENS0_17counting_iteratorIjlEEPS9_SG_NS0_5tupleIJPjSI_NS0_16reverse_iteratorISI_EEEEENSH_IJSG_SG_SG_EEES9_SI_JZNS1_25segmented_radix_sort_implINS0_14default_configELb1EPKfPfPKlPlN2at6native12_GLOBAL__N_18offset_tEEE10hipError_tPvRmT1_PNSt15iterator_traitsIS12_E10value_typeET2_T3_PNS13_IS18_E10value_typeET4_jRbjT5_S1E_jjP12ihipStream_tbEUljE_ZNSN_ISO_Lb1ESQ_SR_ST_SU_SY_EESZ_S10_S11_S12_S16_S17_S18_S1B_S1C_jS1D_jS1E_S1E_jjS1G_bEUljE0_EEESZ_S10_S11_S18_S1C_S1E_T6_T7_T9_mT8_S1G_bDpT10_ENKUlT_T0_E_clISt17integral_constantIbLb1EES1T_IbLb0EEEEDaS1P_S1Q_EUlS1P_E_NS1_11comp_targetILNS1_3genE3ELNS1_11target_archE908ELNS1_3gpuE7ELNS1_3repE0EEENS1_30default_config_static_selectorELNS0_4arch9wavefront6targetE0EEEvS12_.has_recursion, 0
	.set _ZN7rocprim17ROCPRIM_400000_NS6detail17trampoline_kernelINS0_13select_configILj256ELj13ELNS0_17block_load_methodE3ELS4_3ELS4_3ELNS0_20block_scan_algorithmE0ELj4294967295EEENS1_25partition_config_selectorILNS1_17partition_subalgoE4EjNS0_10empty_typeEbEEZZNS1_14partition_implILS8_4ELb0ES6_15HIP_vector_typeIjLj2EENS0_17counting_iteratorIjlEEPS9_SG_NS0_5tupleIJPjSI_NS0_16reverse_iteratorISI_EEEEENSH_IJSG_SG_SG_EEES9_SI_JZNS1_25segmented_radix_sort_implINS0_14default_configELb1EPKfPfPKlPlN2at6native12_GLOBAL__N_18offset_tEEE10hipError_tPvRmT1_PNSt15iterator_traitsIS12_E10value_typeET2_T3_PNS13_IS18_E10value_typeET4_jRbjT5_S1E_jjP12ihipStream_tbEUljE_ZNSN_ISO_Lb1ESQ_SR_ST_SU_SY_EESZ_S10_S11_S12_S16_S17_S18_S1B_S1C_jS1D_jS1E_S1E_jjS1G_bEUljE0_EEESZ_S10_S11_S18_S1C_S1E_T6_T7_T9_mT8_S1G_bDpT10_ENKUlT_T0_E_clISt17integral_constantIbLb1EES1T_IbLb0EEEEDaS1P_S1Q_EUlS1P_E_NS1_11comp_targetILNS1_3genE3ELNS1_11target_archE908ELNS1_3gpuE7ELNS1_3repE0EEENS1_30default_config_static_selectorELNS0_4arch9wavefront6targetE0EEEvS12_.has_indirect_call, 0
	.section	.AMDGPU.csdata,"",@progbits
; Kernel info:
; codeLenInByte = 0
; TotalNumSgprs: 0
; NumVgprs: 0
; ScratchSize: 0
; MemoryBound: 0
; FloatMode: 240
; IeeeMode: 1
; LDSByteSize: 0 bytes/workgroup (compile time only)
; SGPRBlocks: 0
; VGPRBlocks: 0
; NumSGPRsForWavesPerEU: 1
; NumVGPRsForWavesPerEU: 1
; Occupancy: 16
; WaveLimiterHint : 0
; COMPUTE_PGM_RSRC2:SCRATCH_EN: 0
; COMPUTE_PGM_RSRC2:USER_SGPR: 6
; COMPUTE_PGM_RSRC2:TRAP_HANDLER: 0
; COMPUTE_PGM_RSRC2:TGID_X_EN: 1
; COMPUTE_PGM_RSRC2:TGID_Y_EN: 0
; COMPUTE_PGM_RSRC2:TGID_Z_EN: 0
; COMPUTE_PGM_RSRC2:TIDIG_COMP_CNT: 0
	.section	.text._ZN7rocprim17ROCPRIM_400000_NS6detail17trampoline_kernelINS0_13select_configILj256ELj13ELNS0_17block_load_methodE3ELS4_3ELS4_3ELNS0_20block_scan_algorithmE0ELj4294967295EEENS1_25partition_config_selectorILNS1_17partition_subalgoE4EjNS0_10empty_typeEbEEZZNS1_14partition_implILS8_4ELb0ES6_15HIP_vector_typeIjLj2EENS0_17counting_iteratorIjlEEPS9_SG_NS0_5tupleIJPjSI_NS0_16reverse_iteratorISI_EEEEENSH_IJSG_SG_SG_EEES9_SI_JZNS1_25segmented_radix_sort_implINS0_14default_configELb1EPKfPfPKlPlN2at6native12_GLOBAL__N_18offset_tEEE10hipError_tPvRmT1_PNSt15iterator_traitsIS12_E10value_typeET2_T3_PNS13_IS18_E10value_typeET4_jRbjT5_S1E_jjP12ihipStream_tbEUljE_ZNSN_ISO_Lb1ESQ_SR_ST_SU_SY_EESZ_S10_S11_S12_S16_S17_S18_S1B_S1C_jS1D_jS1E_S1E_jjS1G_bEUljE0_EEESZ_S10_S11_S18_S1C_S1E_T6_T7_T9_mT8_S1G_bDpT10_ENKUlT_T0_E_clISt17integral_constantIbLb1EES1T_IbLb0EEEEDaS1P_S1Q_EUlS1P_E_NS1_11comp_targetILNS1_3genE2ELNS1_11target_archE906ELNS1_3gpuE6ELNS1_3repE0EEENS1_30default_config_static_selectorELNS0_4arch9wavefront6targetE0EEEvS12_,"axG",@progbits,_ZN7rocprim17ROCPRIM_400000_NS6detail17trampoline_kernelINS0_13select_configILj256ELj13ELNS0_17block_load_methodE3ELS4_3ELS4_3ELNS0_20block_scan_algorithmE0ELj4294967295EEENS1_25partition_config_selectorILNS1_17partition_subalgoE4EjNS0_10empty_typeEbEEZZNS1_14partition_implILS8_4ELb0ES6_15HIP_vector_typeIjLj2EENS0_17counting_iteratorIjlEEPS9_SG_NS0_5tupleIJPjSI_NS0_16reverse_iteratorISI_EEEEENSH_IJSG_SG_SG_EEES9_SI_JZNS1_25segmented_radix_sort_implINS0_14default_configELb1EPKfPfPKlPlN2at6native12_GLOBAL__N_18offset_tEEE10hipError_tPvRmT1_PNSt15iterator_traitsIS12_E10value_typeET2_T3_PNS13_IS18_E10value_typeET4_jRbjT5_S1E_jjP12ihipStream_tbEUljE_ZNSN_ISO_Lb1ESQ_SR_ST_SU_SY_EESZ_S10_S11_S12_S16_S17_S18_S1B_S1C_jS1D_jS1E_S1E_jjS1G_bEUljE0_EEESZ_S10_S11_S18_S1C_S1E_T6_T7_T9_mT8_S1G_bDpT10_ENKUlT_T0_E_clISt17integral_constantIbLb1EES1T_IbLb0EEEEDaS1P_S1Q_EUlS1P_E_NS1_11comp_targetILNS1_3genE2ELNS1_11target_archE906ELNS1_3gpuE6ELNS1_3repE0EEENS1_30default_config_static_selectorELNS0_4arch9wavefront6targetE0EEEvS12_,comdat
	.globl	_ZN7rocprim17ROCPRIM_400000_NS6detail17trampoline_kernelINS0_13select_configILj256ELj13ELNS0_17block_load_methodE3ELS4_3ELS4_3ELNS0_20block_scan_algorithmE0ELj4294967295EEENS1_25partition_config_selectorILNS1_17partition_subalgoE4EjNS0_10empty_typeEbEEZZNS1_14partition_implILS8_4ELb0ES6_15HIP_vector_typeIjLj2EENS0_17counting_iteratorIjlEEPS9_SG_NS0_5tupleIJPjSI_NS0_16reverse_iteratorISI_EEEEENSH_IJSG_SG_SG_EEES9_SI_JZNS1_25segmented_radix_sort_implINS0_14default_configELb1EPKfPfPKlPlN2at6native12_GLOBAL__N_18offset_tEEE10hipError_tPvRmT1_PNSt15iterator_traitsIS12_E10value_typeET2_T3_PNS13_IS18_E10value_typeET4_jRbjT5_S1E_jjP12ihipStream_tbEUljE_ZNSN_ISO_Lb1ESQ_SR_ST_SU_SY_EESZ_S10_S11_S12_S16_S17_S18_S1B_S1C_jS1D_jS1E_S1E_jjS1G_bEUljE0_EEESZ_S10_S11_S18_S1C_S1E_T6_T7_T9_mT8_S1G_bDpT10_ENKUlT_T0_E_clISt17integral_constantIbLb1EES1T_IbLb0EEEEDaS1P_S1Q_EUlS1P_E_NS1_11comp_targetILNS1_3genE2ELNS1_11target_archE906ELNS1_3gpuE6ELNS1_3repE0EEENS1_30default_config_static_selectorELNS0_4arch9wavefront6targetE0EEEvS12_ ; -- Begin function _ZN7rocprim17ROCPRIM_400000_NS6detail17trampoline_kernelINS0_13select_configILj256ELj13ELNS0_17block_load_methodE3ELS4_3ELS4_3ELNS0_20block_scan_algorithmE0ELj4294967295EEENS1_25partition_config_selectorILNS1_17partition_subalgoE4EjNS0_10empty_typeEbEEZZNS1_14partition_implILS8_4ELb0ES6_15HIP_vector_typeIjLj2EENS0_17counting_iteratorIjlEEPS9_SG_NS0_5tupleIJPjSI_NS0_16reverse_iteratorISI_EEEEENSH_IJSG_SG_SG_EEES9_SI_JZNS1_25segmented_radix_sort_implINS0_14default_configELb1EPKfPfPKlPlN2at6native12_GLOBAL__N_18offset_tEEE10hipError_tPvRmT1_PNSt15iterator_traitsIS12_E10value_typeET2_T3_PNS13_IS18_E10value_typeET4_jRbjT5_S1E_jjP12ihipStream_tbEUljE_ZNSN_ISO_Lb1ESQ_SR_ST_SU_SY_EESZ_S10_S11_S12_S16_S17_S18_S1B_S1C_jS1D_jS1E_S1E_jjS1G_bEUljE0_EEESZ_S10_S11_S18_S1C_S1E_T6_T7_T9_mT8_S1G_bDpT10_ENKUlT_T0_E_clISt17integral_constantIbLb1EES1T_IbLb0EEEEDaS1P_S1Q_EUlS1P_E_NS1_11comp_targetILNS1_3genE2ELNS1_11target_archE906ELNS1_3gpuE6ELNS1_3repE0EEENS1_30default_config_static_selectorELNS0_4arch9wavefront6targetE0EEEvS12_
	.p2align	8
	.type	_ZN7rocprim17ROCPRIM_400000_NS6detail17trampoline_kernelINS0_13select_configILj256ELj13ELNS0_17block_load_methodE3ELS4_3ELS4_3ELNS0_20block_scan_algorithmE0ELj4294967295EEENS1_25partition_config_selectorILNS1_17partition_subalgoE4EjNS0_10empty_typeEbEEZZNS1_14partition_implILS8_4ELb0ES6_15HIP_vector_typeIjLj2EENS0_17counting_iteratorIjlEEPS9_SG_NS0_5tupleIJPjSI_NS0_16reverse_iteratorISI_EEEEENSH_IJSG_SG_SG_EEES9_SI_JZNS1_25segmented_radix_sort_implINS0_14default_configELb1EPKfPfPKlPlN2at6native12_GLOBAL__N_18offset_tEEE10hipError_tPvRmT1_PNSt15iterator_traitsIS12_E10value_typeET2_T3_PNS13_IS18_E10value_typeET4_jRbjT5_S1E_jjP12ihipStream_tbEUljE_ZNSN_ISO_Lb1ESQ_SR_ST_SU_SY_EESZ_S10_S11_S12_S16_S17_S18_S1B_S1C_jS1D_jS1E_S1E_jjS1G_bEUljE0_EEESZ_S10_S11_S18_S1C_S1E_T6_T7_T9_mT8_S1G_bDpT10_ENKUlT_T0_E_clISt17integral_constantIbLb1EES1T_IbLb0EEEEDaS1P_S1Q_EUlS1P_E_NS1_11comp_targetILNS1_3genE2ELNS1_11target_archE906ELNS1_3gpuE6ELNS1_3repE0EEENS1_30default_config_static_selectorELNS0_4arch9wavefront6targetE0EEEvS12_,@function
_ZN7rocprim17ROCPRIM_400000_NS6detail17trampoline_kernelINS0_13select_configILj256ELj13ELNS0_17block_load_methodE3ELS4_3ELS4_3ELNS0_20block_scan_algorithmE0ELj4294967295EEENS1_25partition_config_selectorILNS1_17partition_subalgoE4EjNS0_10empty_typeEbEEZZNS1_14partition_implILS8_4ELb0ES6_15HIP_vector_typeIjLj2EENS0_17counting_iteratorIjlEEPS9_SG_NS0_5tupleIJPjSI_NS0_16reverse_iteratorISI_EEEEENSH_IJSG_SG_SG_EEES9_SI_JZNS1_25segmented_radix_sort_implINS0_14default_configELb1EPKfPfPKlPlN2at6native12_GLOBAL__N_18offset_tEEE10hipError_tPvRmT1_PNSt15iterator_traitsIS12_E10value_typeET2_T3_PNS13_IS18_E10value_typeET4_jRbjT5_S1E_jjP12ihipStream_tbEUljE_ZNSN_ISO_Lb1ESQ_SR_ST_SU_SY_EESZ_S10_S11_S12_S16_S17_S18_S1B_S1C_jS1D_jS1E_S1E_jjS1G_bEUljE0_EEESZ_S10_S11_S18_S1C_S1E_T6_T7_T9_mT8_S1G_bDpT10_ENKUlT_T0_E_clISt17integral_constantIbLb1EES1T_IbLb0EEEEDaS1P_S1Q_EUlS1P_E_NS1_11comp_targetILNS1_3genE2ELNS1_11target_archE906ELNS1_3gpuE6ELNS1_3repE0EEENS1_30default_config_static_selectorELNS0_4arch9wavefront6targetE0EEEvS12_: ; @_ZN7rocprim17ROCPRIM_400000_NS6detail17trampoline_kernelINS0_13select_configILj256ELj13ELNS0_17block_load_methodE3ELS4_3ELS4_3ELNS0_20block_scan_algorithmE0ELj4294967295EEENS1_25partition_config_selectorILNS1_17partition_subalgoE4EjNS0_10empty_typeEbEEZZNS1_14partition_implILS8_4ELb0ES6_15HIP_vector_typeIjLj2EENS0_17counting_iteratorIjlEEPS9_SG_NS0_5tupleIJPjSI_NS0_16reverse_iteratorISI_EEEEENSH_IJSG_SG_SG_EEES9_SI_JZNS1_25segmented_radix_sort_implINS0_14default_configELb1EPKfPfPKlPlN2at6native12_GLOBAL__N_18offset_tEEE10hipError_tPvRmT1_PNSt15iterator_traitsIS12_E10value_typeET2_T3_PNS13_IS18_E10value_typeET4_jRbjT5_S1E_jjP12ihipStream_tbEUljE_ZNSN_ISO_Lb1ESQ_SR_ST_SU_SY_EESZ_S10_S11_S12_S16_S17_S18_S1B_S1C_jS1D_jS1E_S1E_jjS1G_bEUljE0_EEESZ_S10_S11_S18_S1C_S1E_T6_T7_T9_mT8_S1G_bDpT10_ENKUlT_T0_E_clISt17integral_constantIbLb1EES1T_IbLb0EEEEDaS1P_S1Q_EUlS1P_E_NS1_11comp_targetILNS1_3genE2ELNS1_11target_archE906ELNS1_3gpuE6ELNS1_3repE0EEENS1_30default_config_static_selectorELNS0_4arch9wavefront6targetE0EEEvS12_
; %bb.0:
	.section	.rodata,"a",@progbits
	.p2align	6, 0x0
	.amdhsa_kernel _ZN7rocprim17ROCPRIM_400000_NS6detail17trampoline_kernelINS0_13select_configILj256ELj13ELNS0_17block_load_methodE3ELS4_3ELS4_3ELNS0_20block_scan_algorithmE0ELj4294967295EEENS1_25partition_config_selectorILNS1_17partition_subalgoE4EjNS0_10empty_typeEbEEZZNS1_14partition_implILS8_4ELb0ES6_15HIP_vector_typeIjLj2EENS0_17counting_iteratorIjlEEPS9_SG_NS0_5tupleIJPjSI_NS0_16reverse_iteratorISI_EEEEENSH_IJSG_SG_SG_EEES9_SI_JZNS1_25segmented_radix_sort_implINS0_14default_configELb1EPKfPfPKlPlN2at6native12_GLOBAL__N_18offset_tEEE10hipError_tPvRmT1_PNSt15iterator_traitsIS12_E10value_typeET2_T3_PNS13_IS18_E10value_typeET4_jRbjT5_S1E_jjP12ihipStream_tbEUljE_ZNSN_ISO_Lb1ESQ_SR_ST_SU_SY_EESZ_S10_S11_S12_S16_S17_S18_S1B_S1C_jS1D_jS1E_S1E_jjS1G_bEUljE0_EEESZ_S10_S11_S18_S1C_S1E_T6_T7_T9_mT8_S1G_bDpT10_ENKUlT_T0_E_clISt17integral_constantIbLb1EES1T_IbLb0EEEEDaS1P_S1Q_EUlS1P_E_NS1_11comp_targetILNS1_3genE2ELNS1_11target_archE906ELNS1_3gpuE6ELNS1_3repE0EEENS1_30default_config_static_selectorELNS0_4arch9wavefront6targetE0EEEvS12_
		.amdhsa_group_segment_fixed_size 0
		.amdhsa_private_segment_fixed_size 0
		.amdhsa_kernarg_size 176
		.amdhsa_user_sgpr_count 6
		.amdhsa_user_sgpr_private_segment_buffer 1
		.amdhsa_user_sgpr_dispatch_ptr 0
		.amdhsa_user_sgpr_queue_ptr 0
		.amdhsa_user_sgpr_kernarg_segment_ptr 1
		.amdhsa_user_sgpr_dispatch_id 0
		.amdhsa_user_sgpr_flat_scratch_init 0
		.amdhsa_user_sgpr_private_segment_size 0
		.amdhsa_wavefront_size32 1
		.amdhsa_uses_dynamic_stack 0
		.amdhsa_system_sgpr_private_segment_wavefront_offset 0
		.amdhsa_system_sgpr_workgroup_id_x 1
		.amdhsa_system_sgpr_workgroup_id_y 0
		.amdhsa_system_sgpr_workgroup_id_z 0
		.amdhsa_system_sgpr_workgroup_info 0
		.amdhsa_system_vgpr_workitem_id 0
		.amdhsa_next_free_vgpr 1
		.amdhsa_next_free_sgpr 1
		.amdhsa_reserve_vcc 0
		.amdhsa_reserve_flat_scratch 0
		.amdhsa_float_round_mode_32 0
		.amdhsa_float_round_mode_16_64 0
		.amdhsa_float_denorm_mode_32 3
		.amdhsa_float_denorm_mode_16_64 3
		.amdhsa_dx10_clamp 1
		.amdhsa_ieee_mode 1
		.amdhsa_fp16_overflow 0
		.amdhsa_workgroup_processor_mode 1
		.amdhsa_memory_ordered 1
		.amdhsa_forward_progress 1
		.amdhsa_shared_vgpr_count 0
		.amdhsa_exception_fp_ieee_invalid_op 0
		.amdhsa_exception_fp_denorm_src 0
		.amdhsa_exception_fp_ieee_div_zero 0
		.amdhsa_exception_fp_ieee_overflow 0
		.amdhsa_exception_fp_ieee_underflow 0
		.amdhsa_exception_fp_ieee_inexact 0
		.amdhsa_exception_int_div_zero 0
	.end_amdhsa_kernel
	.section	.text._ZN7rocprim17ROCPRIM_400000_NS6detail17trampoline_kernelINS0_13select_configILj256ELj13ELNS0_17block_load_methodE3ELS4_3ELS4_3ELNS0_20block_scan_algorithmE0ELj4294967295EEENS1_25partition_config_selectorILNS1_17partition_subalgoE4EjNS0_10empty_typeEbEEZZNS1_14partition_implILS8_4ELb0ES6_15HIP_vector_typeIjLj2EENS0_17counting_iteratorIjlEEPS9_SG_NS0_5tupleIJPjSI_NS0_16reverse_iteratorISI_EEEEENSH_IJSG_SG_SG_EEES9_SI_JZNS1_25segmented_radix_sort_implINS0_14default_configELb1EPKfPfPKlPlN2at6native12_GLOBAL__N_18offset_tEEE10hipError_tPvRmT1_PNSt15iterator_traitsIS12_E10value_typeET2_T3_PNS13_IS18_E10value_typeET4_jRbjT5_S1E_jjP12ihipStream_tbEUljE_ZNSN_ISO_Lb1ESQ_SR_ST_SU_SY_EESZ_S10_S11_S12_S16_S17_S18_S1B_S1C_jS1D_jS1E_S1E_jjS1G_bEUljE0_EEESZ_S10_S11_S18_S1C_S1E_T6_T7_T9_mT8_S1G_bDpT10_ENKUlT_T0_E_clISt17integral_constantIbLb1EES1T_IbLb0EEEEDaS1P_S1Q_EUlS1P_E_NS1_11comp_targetILNS1_3genE2ELNS1_11target_archE906ELNS1_3gpuE6ELNS1_3repE0EEENS1_30default_config_static_selectorELNS0_4arch9wavefront6targetE0EEEvS12_,"axG",@progbits,_ZN7rocprim17ROCPRIM_400000_NS6detail17trampoline_kernelINS0_13select_configILj256ELj13ELNS0_17block_load_methodE3ELS4_3ELS4_3ELNS0_20block_scan_algorithmE0ELj4294967295EEENS1_25partition_config_selectorILNS1_17partition_subalgoE4EjNS0_10empty_typeEbEEZZNS1_14partition_implILS8_4ELb0ES6_15HIP_vector_typeIjLj2EENS0_17counting_iteratorIjlEEPS9_SG_NS0_5tupleIJPjSI_NS0_16reverse_iteratorISI_EEEEENSH_IJSG_SG_SG_EEES9_SI_JZNS1_25segmented_radix_sort_implINS0_14default_configELb1EPKfPfPKlPlN2at6native12_GLOBAL__N_18offset_tEEE10hipError_tPvRmT1_PNSt15iterator_traitsIS12_E10value_typeET2_T3_PNS13_IS18_E10value_typeET4_jRbjT5_S1E_jjP12ihipStream_tbEUljE_ZNSN_ISO_Lb1ESQ_SR_ST_SU_SY_EESZ_S10_S11_S12_S16_S17_S18_S1B_S1C_jS1D_jS1E_S1E_jjS1G_bEUljE0_EEESZ_S10_S11_S18_S1C_S1E_T6_T7_T9_mT8_S1G_bDpT10_ENKUlT_T0_E_clISt17integral_constantIbLb1EES1T_IbLb0EEEEDaS1P_S1Q_EUlS1P_E_NS1_11comp_targetILNS1_3genE2ELNS1_11target_archE906ELNS1_3gpuE6ELNS1_3repE0EEENS1_30default_config_static_selectorELNS0_4arch9wavefront6targetE0EEEvS12_,comdat
.Lfunc_end1273:
	.size	_ZN7rocprim17ROCPRIM_400000_NS6detail17trampoline_kernelINS0_13select_configILj256ELj13ELNS0_17block_load_methodE3ELS4_3ELS4_3ELNS0_20block_scan_algorithmE0ELj4294967295EEENS1_25partition_config_selectorILNS1_17partition_subalgoE4EjNS0_10empty_typeEbEEZZNS1_14partition_implILS8_4ELb0ES6_15HIP_vector_typeIjLj2EENS0_17counting_iteratorIjlEEPS9_SG_NS0_5tupleIJPjSI_NS0_16reverse_iteratorISI_EEEEENSH_IJSG_SG_SG_EEES9_SI_JZNS1_25segmented_radix_sort_implINS0_14default_configELb1EPKfPfPKlPlN2at6native12_GLOBAL__N_18offset_tEEE10hipError_tPvRmT1_PNSt15iterator_traitsIS12_E10value_typeET2_T3_PNS13_IS18_E10value_typeET4_jRbjT5_S1E_jjP12ihipStream_tbEUljE_ZNSN_ISO_Lb1ESQ_SR_ST_SU_SY_EESZ_S10_S11_S12_S16_S17_S18_S1B_S1C_jS1D_jS1E_S1E_jjS1G_bEUljE0_EEESZ_S10_S11_S18_S1C_S1E_T6_T7_T9_mT8_S1G_bDpT10_ENKUlT_T0_E_clISt17integral_constantIbLb1EES1T_IbLb0EEEEDaS1P_S1Q_EUlS1P_E_NS1_11comp_targetILNS1_3genE2ELNS1_11target_archE906ELNS1_3gpuE6ELNS1_3repE0EEENS1_30default_config_static_selectorELNS0_4arch9wavefront6targetE0EEEvS12_, .Lfunc_end1273-_ZN7rocprim17ROCPRIM_400000_NS6detail17trampoline_kernelINS0_13select_configILj256ELj13ELNS0_17block_load_methodE3ELS4_3ELS4_3ELNS0_20block_scan_algorithmE0ELj4294967295EEENS1_25partition_config_selectorILNS1_17partition_subalgoE4EjNS0_10empty_typeEbEEZZNS1_14partition_implILS8_4ELb0ES6_15HIP_vector_typeIjLj2EENS0_17counting_iteratorIjlEEPS9_SG_NS0_5tupleIJPjSI_NS0_16reverse_iteratorISI_EEEEENSH_IJSG_SG_SG_EEES9_SI_JZNS1_25segmented_radix_sort_implINS0_14default_configELb1EPKfPfPKlPlN2at6native12_GLOBAL__N_18offset_tEEE10hipError_tPvRmT1_PNSt15iterator_traitsIS12_E10value_typeET2_T3_PNS13_IS18_E10value_typeET4_jRbjT5_S1E_jjP12ihipStream_tbEUljE_ZNSN_ISO_Lb1ESQ_SR_ST_SU_SY_EESZ_S10_S11_S12_S16_S17_S18_S1B_S1C_jS1D_jS1E_S1E_jjS1G_bEUljE0_EEESZ_S10_S11_S18_S1C_S1E_T6_T7_T9_mT8_S1G_bDpT10_ENKUlT_T0_E_clISt17integral_constantIbLb1EES1T_IbLb0EEEEDaS1P_S1Q_EUlS1P_E_NS1_11comp_targetILNS1_3genE2ELNS1_11target_archE906ELNS1_3gpuE6ELNS1_3repE0EEENS1_30default_config_static_selectorELNS0_4arch9wavefront6targetE0EEEvS12_
                                        ; -- End function
	.set _ZN7rocprim17ROCPRIM_400000_NS6detail17trampoline_kernelINS0_13select_configILj256ELj13ELNS0_17block_load_methodE3ELS4_3ELS4_3ELNS0_20block_scan_algorithmE0ELj4294967295EEENS1_25partition_config_selectorILNS1_17partition_subalgoE4EjNS0_10empty_typeEbEEZZNS1_14partition_implILS8_4ELb0ES6_15HIP_vector_typeIjLj2EENS0_17counting_iteratorIjlEEPS9_SG_NS0_5tupleIJPjSI_NS0_16reverse_iteratorISI_EEEEENSH_IJSG_SG_SG_EEES9_SI_JZNS1_25segmented_radix_sort_implINS0_14default_configELb1EPKfPfPKlPlN2at6native12_GLOBAL__N_18offset_tEEE10hipError_tPvRmT1_PNSt15iterator_traitsIS12_E10value_typeET2_T3_PNS13_IS18_E10value_typeET4_jRbjT5_S1E_jjP12ihipStream_tbEUljE_ZNSN_ISO_Lb1ESQ_SR_ST_SU_SY_EESZ_S10_S11_S12_S16_S17_S18_S1B_S1C_jS1D_jS1E_S1E_jjS1G_bEUljE0_EEESZ_S10_S11_S18_S1C_S1E_T6_T7_T9_mT8_S1G_bDpT10_ENKUlT_T0_E_clISt17integral_constantIbLb1EES1T_IbLb0EEEEDaS1P_S1Q_EUlS1P_E_NS1_11comp_targetILNS1_3genE2ELNS1_11target_archE906ELNS1_3gpuE6ELNS1_3repE0EEENS1_30default_config_static_selectorELNS0_4arch9wavefront6targetE0EEEvS12_.num_vgpr, 0
	.set _ZN7rocprim17ROCPRIM_400000_NS6detail17trampoline_kernelINS0_13select_configILj256ELj13ELNS0_17block_load_methodE3ELS4_3ELS4_3ELNS0_20block_scan_algorithmE0ELj4294967295EEENS1_25partition_config_selectorILNS1_17partition_subalgoE4EjNS0_10empty_typeEbEEZZNS1_14partition_implILS8_4ELb0ES6_15HIP_vector_typeIjLj2EENS0_17counting_iteratorIjlEEPS9_SG_NS0_5tupleIJPjSI_NS0_16reverse_iteratorISI_EEEEENSH_IJSG_SG_SG_EEES9_SI_JZNS1_25segmented_radix_sort_implINS0_14default_configELb1EPKfPfPKlPlN2at6native12_GLOBAL__N_18offset_tEEE10hipError_tPvRmT1_PNSt15iterator_traitsIS12_E10value_typeET2_T3_PNS13_IS18_E10value_typeET4_jRbjT5_S1E_jjP12ihipStream_tbEUljE_ZNSN_ISO_Lb1ESQ_SR_ST_SU_SY_EESZ_S10_S11_S12_S16_S17_S18_S1B_S1C_jS1D_jS1E_S1E_jjS1G_bEUljE0_EEESZ_S10_S11_S18_S1C_S1E_T6_T7_T9_mT8_S1G_bDpT10_ENKUlT_T0_E_clISt17integral_constantIbLb1EES1T_IbLb0EEEEDaS1P_S1Q_EUlS1P_E_NS1_11comp_targetILNS1_3genE2ELNS1_11target_archE906ELNS1_3gpuE6ELNS1_3repE0EEENS1_30default_config_static_selectorELNS0_4arch9wavefront6targetE0EEEvS12_.num_agpr, 0
	.set _ZN7rocprim17ROCPRIM_400000_NS6detail17trampoline_kernelINS0_13select_configILj256ELj13ELNS0_17block_load_methodE3ELS4_3ELS4_3ELNS0_20block_scan_algorithmE0ELj4294967295EEENS1_25partition_config_selectorILNS1_17partition_subalgoE4EjNS0_10empty_typeEbEEZZNS1_14partition_implILS8_4ELb0ES6_15HIP_vector_typeIjLj2EENS0_17counting_iteratorIjlEEPS9_SG_NS0_5tupleIJPjSI_NS0_16reverse_iteratorISI_EEEEENSH_IJSG_SG_SG_EEES9_SI_JZNS1_25segmented_radix_sort_implINS0_14default_configELb1EPKfPfPKlPlN2at6native12_GLOBAL__N_18offset_tEEE10hipError_tPvRmT1_PNSt15iterator_traitsIS12_E10value_typeET2_T3_PNS13_IS18_E10value_typeET4_jRbjT5_S1E_jjP12ihipStream_tbEUljE_ZNSN_ISO_Lb1ESQ_SR_ST_SU_SY_EESZ_S10_S11_S12_S16_S17_S18_S1B_S1C_jS1D_jS1E_S1E_jjS1G_bEUljE0_EEESZ_S10_S11_S18_S1C_S1E_T6_T7_T9_mT8_S1G_bDpT10_ENKUlT_T0_E_clISt17integral_constantIbLb1EES1T_IbLb0EEEEDaS1P_S1Q_EUlS1P_E_NS1_11comp_targetILNS1_3genE2ELNS1_11target_archE906ELNS1_3gpuE6ELNS1_3repE0EEENS1_30default_config_static_selectorELNS0_4arch9wavefront6targetE0EEEvS12_.numbered_sgpr, 0
	.set _ZN7rocprim17ROCPRIM_400000_NS6detail17trampoline_kernelINS0_13select_configILj256ELj13ELNS0_17block_load_methodE3ELS4_3ELS4_3ELNS0_20block_scan_algorithmE0ELj4294967295EEENS1_25partition_config_selectorILNS1_17partition_subalgoE4EjNS0_10empty_typeEbEEZZNS1_14partition_implILS8_4ELb0ES6_15HIP_vector_typeIjLj2EENS0_17counting_iteratorIjlEEPS9_SG_NS0_5tupleIJPjSI_NS0_16reverse_iteratorISI_EEEEENSH_IJSG_SG_SG_EEES9_SI_JZNS1_25segmented_radix_sort_implINS0_14default_configELb1EPKfPfPKlPlN2at6native12_GLOBAL__N_18offset_tEEE10hipError_tPvRmT1_PNSt15iterator_traitsIS12_E10value_typeET2_T3_PNS13_IS18_E10value_typeET4_jRbjT5_S1E_jjP12ihipStream_tbEUljE_ZNSN_ISO_Lb1ESQ_SR_ST_SU_SY_EESZ_S10_S11_S12_S16_S17_S18_S1B_S1C_jS1D_jS1E_S1E_jjS1G_bEUljE0_EEESZ_S10_S11_S18_S1C_S1E_T6_T7_T9_mT8_S1G_bDpT10_ENKUlT_T0_E_clISt17integral_constantIbLb1EES1T_IbLb0EEEEDaS1P_S1Q_EUlS1P_E_NS1_11comp_targetILNS1_3genE2ELNS1_11target_archE906ELNS1_3gpuE6ELNS1_3repE0EEENS1_30default_config_static_selectorELNS0_4arch9wavefront6targetE0EEEvS12_.num_named_barrier, 0
	.set _ZN7rocprim17ROCPRIM_400000_NS6detail17trampoline_kernelINS0_13select_configILj256ELj13ELNS0_17block_load_methodE3ELS4_3ELS4_3ELNS0_20block_scan_algorithmE0ELj4294967295EEENS1_25partition_config_selectorILNS1_17partition_subalgoE4EjNS0_10empty_typeEbEEZZNS1_14partition_implILS8_4ELb0ES6_15HIP_vector_typeIjLj2EENS0_17counting_iteratorIjlEEPS9_SG_NS0_5tupleIJPjSI_NS0_16reverse_iteratorISI_EEEEENSH_IJSG_SG_SG_EEES9_SI_JZNS1_25segmented_radix_sort_implINS0_14default_configELb1EPKfPfPKlPlN2at6native12_GLOBAL__N_18offset_tEEE10hipError_tPvRmT1_PNSt15iterator_traitsIS12_E10value_typeET2_T3_PNS13_IS18_E10value_typeET4_jRbjT5_S1E_jjP12ihipStream_tbEUljE_ZNSN_ISO_Lb1ESQ_SR_ST_SU_SY_EESZ_S10_S11_S12_S16_S17_S18_S1B_S1C_jS1D_jS1E_S1E_jjS1G_bEUljE0_EEESZ_S10_S11_S18_S1C_S1E_T6_T7_T9_mT8_S1G_bDpT10_ENKUlT_T0_E_clISt17integral_constantIbLb1EES1T_IbLb0EEEEDaS1P_S1Q_EUlS1P_E_NS1_11comp_targetILNS1_3genE2ELNS1_11target_archE906ELNS1_3gpuE6ELNS1_3repE0EEENS1_30default_config_static_selectorELNS0_4arch9wavefront6targetE0EEEvS12_.private_seg_size, 0
	.set _ZN7rocprim17ROCPRIM_400000_NS6detail17trampoline_kernelINS0_13select_configILj256ELj13ELNS0_17block_load_methodE3ELS4_3ELS4_3ELNS0_20block_scan_algorithmE0ELj4294967295EEENS1_25partition_config_selectorILNS1_17partition_subalgoE4EjNS0_10empty_typeEbEEZZNS1_14partition_implILS8_4ELb0ES6_15HIP_vector_typeIjLj2EENS0_17counting_iteratorIjlEEPS9_SG_NS0_5tupleIJPjSI_NS0_16reverse_iteratorISI_EEEEENSH_IJSG_SG_SG_EEES9_SI_JZNS1_25segmented_radix_sort_implINS0_14default_configELb1EPKfPfPKlPlN2at6native12_GLOBAL__N_18offset_tEEE10hipError_tPvRmT1_PNSt15iterator_traitsIS12_E10value_typeET2_T3_PNS13_IS18_E10value_typeET4_jRbjT5_S1E_jjP12ihipStream_tbEUljE_ZNSN_ISO_Lb1ESQ_SR_ST_SU_SY_EESZ_S10_S11_S12_S16_S17_S18_S1B_S1C_jS1D_jS1E_S1E_jjS1G_bEUljE0_EEESZ_S10_S11_S18_S1C_S1E_T6_T7_T9_mT8_S1G_bDpT10_ENKUlT_T0_E_clISt17integral_constantIbLb1EES1T_IbLb0EEEEDaS1P_S1Q_EUlS1P_E_NS1_11comp_targetILNS1_3genE2ELNS1_11target_archE906ELNS1_3gpuE6ELNS1_3repE0EEENS1_30default_config_static_selectorELNS0_4arch9wavefront6targetE0EEEvS12_.uses_vcc, 0
	.set _ZN7rocprim17ROCPRIM_400000_NS6detail17trampoline_kernelINS0_13select_configILj256ELj13ELNS0_17block_load_methodE3ELS4_3ELS4_3ELNS0_20block_scan_algorithmE0ELj4294967295EEENS1_25partition_config_selectorILNS1_17partition_subalgoE4EjNS0_10empty_typeEbEEZZNS1_14partition_implILS8_4ELb0ES6_15HIP_vector_typeIjLj2EENS0_17counting_iteratorIjlEEPS9_SG_NS0_5tupleIJPjSI_NS0_16reverse_iteratorISI_EEEEENSH_IJSG_SG_SG_EEES9_SI_JZNS1_25segmented_radix_sort_implINS0_14default_configELb1EPKfPfPKlPlN2at6native12_GLOBAL__N_18offset_tEEE10hipError_tPvRmT1_PNSt15iterator_traitsIS12_E10value_typeET2_T3_PNS13_IS18_E10value_typeET4_jRbjT5_S1E_jjP12ihipStream_tbEUljE_ZNSN_ISO_Lb1ESQ_SR_ST_SU_SY_EESZ_S10_S11_S12_S16_S17_S18_S1B_S1C_jS1D_jS1E_S1E_jjS1G_bEUljE0_EEESZ_S10_S11_S18_S1C_S1E_T6_T7_T9_mT8_S1G_bDpT10_ENKUlT_T0_E_clISt17integral_constantIbLb1EES1T_IbLb0EEEEDaS1P_S1Q_EUlS1P_E_NS1_11comp_targetILNS1_3genE2ELNS1_11target_archE906ELNS1_3gpuE6ELNS1_3repE0EEENS1_30default_config_static_selectorELNS0_4arch9wavefront6targetE0EEEvS12_.uses_flat_scratch, 0
	.set _ZN7rocprim17ROCPRIM_400000_NS6detail17trampoline_kernelINS0_13select_configILj256ELj13ELNS0_17block_load_methodE3ELS4_3ELS4_3ELNS0_20block_scan_algorithmE0ELj4294967295EEENS1_25partition_config_selectorILNS1_17partition_subalgoE4EjNS0_10empty_typeEbEEZZNS1_14partition_implILS8_4ELb0ES6_15HIP_vector_typeIjLj2EENS0_17counting_iteratorIjlEEPS9_SG_NS0_5tupleIJPjSI_NS0_16reverse_iteratorISI_EEEEENSH_IJSG_SG_SG_EEES9_SI_JZNS1_25segmented_radix_sort_implINS0_14default_configELb1EPKfPfPKlPlN2at6native12_GLOBAL__N_18offset_tEEE10hipError_tPvRmT1_PNSt15iterator_traitsIS12_E10value_typeET2_T3_PNS13_IS18_E10value_typeET4_jRbjT5_S1E_jjP12ihipStream_tbEUljE_ZNSN_ISO_Lb1ESQ_SR_ST_SU_SY_EESZ_S10_S11_S12_S16_S17_S18_S1B_S1C_jS1D_jS1E_S1E_jjS1G_bEUljE0_EEESZ_S10_S11_S18_S1C_S1E_T6_T7_T9_mT8_S1G_bDpT10_ENKUlT_T0_E_clISt17integral_constantIbLb1EES1T_IbLb0EEEEDaS1P_S1Q_EUlS1P_E_NS1_11comp_targetILNS1_3genE2ELNS1_11target_archE906ELNS1_3gpuE6ELNS1_3repE0EEENS1_30default_config_static_selectorELNS0_4arch9wavefront6targetE0EEEvS12_.has_dyn_sized_stack, 0
	.set _ZN7rocprim17ROCPRIM_400000_NS6detail17trampoline_kernelINS0_13select_configILj256ELj13ELNS0_17block_load_methodE3ELS4_3ELS4_3ELNS0_20block_scan_algorithmE0ELj4294967295EEENS1_25partition_config_selectorILNS1_17partition_subalgoE4EjNS0_10empty_typeEbEEZZNS1_14partition_implILS8_4ELb0ES6_15HIP_vector_typeIjLj2EENS0_17counting_iteratorIjlEEPS9_SG_NS0_5tupleIJPjSI_NS0_16reverse_iteratorISI_EEEEENSH_IJSG_SG_SG_EEES9_SI_JZNS1_25segmented_radix_sort_implINS0_14default_configELb1EPKfPfPKlPlN2at6native12_GLOBAL__N_18offset_tEEE10hipError_tPvRmT1_PNSt15iterator_traitsIS12_E10value_typeET2_T3_PNS13_IS18_E10value_typeET4_jRbjT5_S1E_jjP12ihipStream_tbEUljE_ZNSN_ISO_Lb1ESQ_SR_ST_SU_SY_EESZ_S10_S11_S12_S16_S17_S18_S1B_S1C_jS1D_jS1E_S1E_jjS1G_bEUljE0_EEESZ_S10_S11_S18_S1C_S1E_T6_T7_T9_mT8_S1G_bDpT10_ENKUlT_T0_E_clISt17integral_constantIbLb1EES1T_IbLb0EEEEDaS1P_S1Q_EUlS1P_E_NS1_11comp_targetILNS1_3genE2ELNS1_11target_archE906ELNS1_3gpuE6ELNS1_3repE0EEENS1_30default_config_static_selectorELNS0_4arch9wavefront6targetE0EEEvS12_.has_recursion, 0
	.set _ZN7rocprim17ROCPRIM_400000_NS6detail17trampoline_kernelINS0_13select_configILj256ELj13ELNS0_17block_load_methodE3ELS4_3ELS4_3ELNS0_20block_scan_algorithmE0ELj4294967295EEENS1_25partition_config_selectorILNS1_17partition_subalgoE4EjNS0_10empty_typeEbEEZZNS1_14partition_implILS8_4ELb0ES6_15HIP_vector_typeIjLj2EENS0_17counting_iteratorIjlEEPS9_SG_NS0_5tupleIJPjSI_NS0_16reverse_iteratorISI_EEEEENSH_IJSG_SG_SG_EEES9_SI_JZNS1_25segmented_radix_sort_implINS0_14default_configELb1EPKfPfPKlPlN2at6native12_GLOBAL__N_18offset_tEEE10hipError_tPvRmT1_PNSt15iterator_traitsIS12_E10value_typeET2_T3_PNS13_IS18_E10value_typeET4_jRbjT5_S1E_jjP12ihipStream_tbEUljE_ZNSN_ISO_Lb1ESQ_SR_ST_SU_SY_EESZ_S10_S11_S12_S16_S17_S18_S1B_S1C_jS1D_jS1E_S1E_jjS1G_bEUljE0_EEESZ_S10_S11_S18_S1C_S1E_T6_T7_T9_mT8_S1G_bDpT10_ENKUlT_T0_E_clISt17integral_constantIbLb1EES1T_IbLb0EEEEDaS1P_S1Q_EUlS1P_E_NS1_11comp_targetILNS1_3genE2ELNS1_11target_archE906ELNS1_3gpuE6ELNS1_3repE0EEENS1_30default_config_static_selectorELNS0_4arch9wavefront6targetE0EEEvS12_.has_indirect_call, 0
	.section	.AMDGPU.csdata,"",@progbits
; Kernel info:
; codeLenInByte = 0
; TotalNumSgprs: 0
; NumVgprs: 0
; ScratchSize: 0
; MemoryBound: 0
; FloatMode: 240
; IeeeMode: 1
; LDSByteSize: 0 bytes/workgroup (compile time only)
; SGPRBlocks: 0
; VGPRBlocks: 0
; NumSGPRsForWavesPerEU: 1
; NumVGPRsForWavesPerEU: 1
; Occupancy: 16
; WaveLimiterHint : 0
; COMPUTE_PGM_RSRC2:SCRATCH_EN: 0
; COMPUTE_PGM_RSRC2:USER_SGPR: 6
; COMPUTE_PGM_RSRC2:TRAP_HANDLER: 0
; COMPUTE_PGM_RSRC2:TGID_X_EN: 1
; COMPUTE_PGM_RSRC2:TGID_Y_EN: 0
; COMPUTE_PGM_RSRC2:TGID_Z_EN: 0
; COMPUTE_PGM_RSRC2:TIDIG_COMP_CNT: 0
	.section	.text._ZN7rocprim17ROCPRIM_400000_NS6detail17trampoline_kernelINS0_13select_configILj256ELj13ELNS0_17block_load_methodE3ELS4_3ELS4_3ELNS0_20block_scan_algorithmE0ELj4294967295EEENS1_25partition_config_selectorILNS1_17partition_subalgoE4EjNS0_10empty_typeEbEEZZNS1_14partition_implILS8_4ELb0ES6_15HIP_vector_typeIjLj2EENS0_17counting_iteratorIjlEEPS9_SG_NS0_5tupleIJPjSI_NS0_16reverse_iteratorISI_EEEEENSH_IJSG_SG_SG_EEES9_SI_JZNS1_25segmented_radix_sort_implINS0_14default_configELb1EPKfPfPKlPlN2at6native12_GLOBAL__N_18offset_tEEE10hipError_tPvRmT1_PNSt15iterator_traitsIS12_E10value_typeET2_T3_PNS13_IS18_E10value_typeET4_jRbjT5_S1E_jjP12ihipStream_tbEUljE_ZNSN_ISO_Lb1ESQ_SR_ST_SU_SY_EESZ_S10_S11_S12_S16_S17_S18_S1B_S1C_jS1D_jS1E_S1E_jjS1G_bEUljE0_EEESZ_S10_S11_S18_S1C_S1E_T6_T7_T9_mT8_S1G_bDpT10_ENKUlT_T0_E_clISt17integral_constantIbLb1EES1T_IbLb0EEEEDaS1P_S1Q_EUlS1P_E_NS1_11comp_targetILNS1_3genE10ELNS1_11target_archE1200ELNS1_3gpuE4ELNS1_3repE0EEENS1_30default_config_static_selectorELNS0_4arch9wavefront6targetE0EEEvS12_,"axG",@progbits,_ZN7rocprim17ROCPRIM_400000_NS6detail17trampoline_kernelINS0_13select_configILj256ELj13ELNS0_17block_load_methodE3ELS4_3ELS4_3ELNS0_20block_scan_algorithmE0ELj4294967295EEENS1_25partition_config_selectorILNS1_17partition_subalgoE4EjNS0_10empty_typeEbEEZZNS1_14partition_implILS8_4ELb0ES6_15HIP_vector_typeIjLj2EENS0_17counting_iteratorIjlEEPS9_SG_NS0_5tupleIJPjSI_NS0_16reverse_iteratorISI_EEEEENSH_IJSG_SG_SG_EEES9_SI_JZNS1_25segmented_radix_sort_implINS0_14default_configELb1EPKfPfPKlPlN2at6native12_GLOBAL__N_18offset_tEEE10hipError_tPvRmT1_PNSt15iterator_traitsIS12_E10value_typeET2_T3_PNS13_IS18_E10value_typeET4_jRbjT5_S1E_jjP12ihipStream_tbEUljE_ZNSN_ISO_Lb1ESQ_SR_ST_SU_SY_EESZ_S10_S11_S12_S16_S17_S18_S1B_S1C_jS1D_jS1E_S1E_jjS1G_bEUljE0_EEESZ_S10_S11_S18_S1C_S1E_T6_T7_T9_mT8_S1G_bDpT10_ENKUlT_T0_E_clISt17integral_constantIbLb1EES1T_IbLb0EEEEDaS1P_S1Q_EUlS1P_E_NS1_11comp_targetILNS1_3genE10ELNS1_11target_archE1200ELNS1_3gpuE4ELNS1_3repE0EEENS1_30default_config_static_selectorELNS0_4arch9wavefront6targetE0EEEvS12_,comdat
	.globl	_ZN7rocprim17ROCPRIM_400000_NS6detail17trampoline_kernelINS0_13select_configILj256ELj13ELNS0_17block_load_methodE3ELS4_3ELS4_3ELNS0_20block_scan_algorithmE0ELj4294967295EEENS1_25partition_config_selectorILNS1_17partition_subalgoE4EjNS0_10empty_typeEbEEZZNS1_14partition_implILS8_4ELb0ES6_15HIP_vector_typeIjLj2EENS0_17counting_iteratorIjlEEPS9_SG_NS0_5tupleIJPjSI_NS0_16reverse_iteratorISI_EEEEENSH_IJSG_SG_SG_EEES9_SI_JZNS1_25segmented_radix_sort_implINS0_14default_configELb1EPKfPfPKlPlN2at6native12_GLOBAL__N_18offset_tEEE10hipError_tPvRmT1_PNSt15iterator_traitsIS12_E10value_typeET2_T3_PNS13_IS18_E10value_typeET4_jRbjT5_S1E_jjP12ihipStream_tbEUljE_ZNSN_ISO_Lb1ESQ_SR_ST_SU_SY_EESZ_S10_S11_S12_S16_S17_S18_S1B_S1C_jS1D_jS1E_S1E_jjS1G_bEUljE0_EEESZ_S10_S11_S18_S1C_S1E_T6_T7_T9_mT8_S1G_bDpT10_ENKUlT_T0_E_clISt17integral_constantIbLb1EES1T_IbLb0EEEEDaS1P_S1Q_EUlS1P_E_NS1_11comp_targetILNS1_3genE10ELNS1_11target_archE1200ELNS1_3gpuE4ELNS1_3repE0EEENS1_30default_config_static_selectorELNS0_4arch9wavefront6targetE0EEEvS12_ ; -- Begin function _ZN7rocprim17ROCPRIM_400000_NS6detail17trampoline_kernelINS0_13select_configILj256ELj13ELNS0_17block_load_methodE3ELS4_3ELS4_3ELNS0_20block_scan_algorithmE0ELj4294967295EEENS1_25partition_config_selectorILNS1_17partition_subalgoE4EjNS0_10empty_typeEbEEZZNS1_14partition_implILS8_4ELb0ES6_15HIP_vector_typeIjLj2EENS0_17counting_iteratorIjlEEPS9_SG_NS0_5tupleIJPjSI_NS0_16reverse_iteratorISI_EEEEENSH_IJSG_SG_SG_EEES9_SI_JZNS1_25segmented_radix_sort_implINS0_14default_configELb1EPKfPfPKlPlN2at6native12_GLOBAL__N_18offset_tEEE10hipError_tPvRmT1_PNSt15iterator_traitsIS12_E10value_typeET2_T3_PNS13_IS18_E10value_typeET4_jRbjT5_S1E_jjP12ihipStream_tbEUljE_ZNSN_ISO_Lb1ESQ_SR_ST_SU_SY_EESZ_S10_S11_S12_S16_S17_S18_S1B_S1C_jS1D_jS1E_S1E_jjS1G_bEUljE0_EEESZ_S10_S11_S18_S1C_S1E_T6_T7_T9_mT8_S1G_bDpT10_ENKUlT_T0_E_clISt17integral_constantIbLb1EES1T_IbLb0EEEEDaS1P_S1Q_EUlS1P_E_NS1_11comp_targetILNS1_3genE10ELNS1_11target_archE1200ELNS1_3gpuE4ELNS1_3repE0EEENS1_30default_config_static_selectorELNS0_4arch9wavefront6targetE0EEEvS12_
	.p2align	8
	.type	_ZN7rocprim17ROCPRIM_400000_NS6detail17trampoline_kernelINS0_13select_configILj256ELj13ELNS0_17block_load_methodE3ELS4_3ELS4_3ELNS0_20block_scan_algorithmE0ELj4294967295EEENS1_25partition_config_selectorILNS1_17partition_subalgoE4EjNS0_10empty_typeEbEEZZNS1_14partition_implILS8_4ELb0ES6_15HIP_vector_typeIjLj2EENS0_17counting_iteratorIjlEEPS9_SG_NS0_5tupleIJPjSI_NS0_16reverse_iteratorISI_EEEEENSH_IJSG_SG_SG_EEES9_SI_JZNS1_25segmented_radix_sort_implINS0_14default_configELb1EPKfPfPKlPlN2at6native12_GLOBAL__N_18offset_tEEE10hipError_tPvRmT1_PNSt15iterator_traitsIS12_E10value_typeET2_T3_PNS13_IS18_E10value_typeET4_jRbjT5_S1E_jjP12ihipStream_tbEUljE_ZNSN_ISO_Lb1ESQ_SR_ST_SU_SY_EESZ_S10_S11_S12_S16_S17_S18_S1B_S1C_jS1D_jS1E_S1E_jjS1G_bEUljE0_EEESZ_S10_S11_S18_S1C_S1E_T6_T7_T9_mT8_S1G_bDpT10_ENKUlT_T0_E_clISt17integral_constantIbLb1EES1T_IbLb0EEEEDaS1P_S1Q_EUlS1P_E_NS1_11comp_targetILNS1_3genE10ELNS1_11target_archE1200ELNS1_3gpuE4ELNS1_3repE0EEENS1_30default_config_static_selectorELNS0_4arch9wavefront6targetE0EEEvS12_,@function
_ZN7rocprim17ROCPRIM_400000_NS6detail17trampoline_kernelINS0_13select_configILj256ELj13ELNS0_17block_load_methodE3ELS4_3ELS4_3ELNS0_20block_scan_algorithmE0ELj4294967295EEENS1_25partition_config_selectorILNS1_17partition_subalgoE4EjNS0_10empty_typeEbEEZZNS1_14partition_implILS8_4ELb0ES6_15HIP_vector_typeIjLj2EENS0_17counting_iteratorIjlEEPS9_SG_NS0_5tupleIJPjSI_NS0_16reverse_iteratorISI_EEEEENSH_IJSG_SG_SG_EEES9_SI_JZNS1_25segmented_radix_sort_implINS0_14default_configELb1EPKfPfPKlPlN2at6native12_GLOBAL__N_18offset_tEEE10hipError_tPvRmT1_PNSt15iterator_traitsIS12_E10value_typeET2_T3_PNS13_IS18_E10value_typeET4_jRbjT5_S1E_jjP12ihipStream_tbEUljE_ZNSN_ISO_Lb1ESQ_SR_ST_SU_SY_EESZ_S10_S11_S12_S16_S17_S18_S1B_S1C_jS1D_jS1E_S1E_jjS1G_bEUljE0_EEESZ_S10_S11_S18_S1C_S1E_T6_T7_T9_mT8_S1G_bDpT10_ENKUlT_T0_E_clISt17integral_constantIbLb1EES1T_IbLb0EEEEDaS1P_S1Q_EUlS1P_E_NS1_11comp_targetILNS1_3genE10ELNS1_11target_archE1200ELNS1_3gpuE4ELNS1_3repE0EEENS1_30default_config_static_selectorELNS0_4arch9wavefront6targetE0EEEvS12_: ; @_ZN7rocprim17ROCPRIM_400000_NS6detail17trampoline_kernelINS0_13select_configILj256ELj13ELNS0_17block_load_methodE3ELS4_3ELS4_3ELNS0_20block_scan_algorithmE0ELj4294967295EEENS1_25partition_config_selectorILNS1_17partition_subalgoE4EjNS0_10empty_typeEbEEZZNS1_14partition_implILS8_4ELb0ES6_15HIP_vector_typeIjLj2EENS0_17counting_iteratorIjlEEPS9_SG_NS0_5tupleIJPjSI_NS0_16reverse_iteratorISI_EEEEENSH_IJSG_SG_SG_EEES9_SI_JZNS1_25segmented_radix_sort_implINS0_14default_configELb1EPKfPfPKlPlN2at6native12_GLOBAL__N_18offset_tEEE10hipError_tPvRmT1_PNSt15iterator_traitsIS12_E10value_typeET2_T3_PNS13_IS18_E10value_typeET4_jRbjT5_S1E_jjP12ihipStream_tbEUljE_ZNSN_ISO_Lb1ESQ_SR_ST_SU_SY_EESZ_S10_S11_S12_S16_S17_S18_S1B_S1C_jS1D_jS1E_S1E_jjS1G_bEUljE0_EEESZ_S10_S11_S18_S1C_S1E_T6_T7_T9_mT8_S1G_bDpT10_ENKUlT_T0_E_clISt17integral_constantIbLb1EES1T_IbLb0EEEEDaS1P_S1Q_EUlS1P_E_NS1_11comp_targetILNS1_3genE10ELNS1_11target_archE1200ELNS1_3gpuE4ELNS1_3repE0EEENS1_30default_config_static_selectorELNS0_4arch9wavefront6targetE0EEEvS12_
; %bb.0:
	.section	.rodata,"a",@progbits
	.p2align	6, 0x0
	.amdhsa_kernel _ZN7rocprim17ROCPRIM_400000_NS6detail17trampoline_kernelINS0_13select_configILj256ELj13ELNS0_17block_load_methodE3ELS4_3ELS4_3ELNS0_20block_scan_algorithmE0ELj4294967295EEENS1_25partition_config_selectorILNS1_17partition_subalgoE4EjNS0_10empty_typeEbEEZZNS1_14partition_implILS8_4ELb0ES6_15HIP_vector_typeIjLj2EENS0_17counting_iteratorIjlEEPS9_SG_NS0_5tupleIJPjSI_NS0_16reverse_iteratorISI_EEEEENSH_IJSG_SG_SG_EEES9_SI_JZNS1_25segmented_radix_sort_implINS0_14default_configELb1EPKfPfPKlPlN2at6native12_GLOBAL__N_18offset_tEEE10hipError_tPvRmT1_PNSt15iterator_traitsIS12_E10value_typeET2_T3_PNS13_IS18_E10value_typeET4_jRbjT5_S1E_jjP12ihipStream_tbEUljE_ZNSN_ISO_Lb1ESQ_SR_ST_SU_SY_EESZ_S10_S11_S12_S16_S17_S18_S1B_S1C_jS1D_jS1E_S1E_jjS1G_bEUljE0_EEESZ_S10_S11_S18_S1C_S1E_T6_T7_T9_mT8_S1G_bDpT10_ENKUlT_T0_E_clISt17integral_constantIbLb1EES1T_IbLb0EEEEDaS1P_S1Q_EUlS1P_E_NS1_11comp_targetILNS1_3genE10ELNS1_11target_archE1200ELNS1_3gpuE4ELNS1_3repE0EEENS1_30default_config_static_selectorELNS0_4arch9wavefront6targetE0EEEvS12_
		.amdhsa_group_segment_fixed_size 0
		.amdhsa_private_segment_fixed_size 0
		.amdhsa_kernarg_size 176
		.amdhsa_user_sgpr_count 6
		.amdhsa_user_sgpr_private_segment_buffer 1
		.amdhsa_user_sgpr_dispatch_ptr 0
		.amdhsa_user_sgpr_queue_ptr 0
		.amdhsa_user_sgpr_kernarg_segment_ptr 1
		.amdhsa_user_sgpr_dispatch_id 0
		.amdhsa_user_sgpr_flat_scratch_init 0
		.amdhsa_user_sgpr_private_segment_size 0
		.amdhsa_wavefront_size32 1
		.amdhsa_uses_dynamic_stack 0
		.amdhsa_system_sgpr_private_segment_wavefront_offset 0
		.amdhsa_system_sgpr_workgroup_id_x 1
		.amdhsa_system_sgpr_workgroup_id_y 0
		.amdhsa_system_sgpr_workgroup_id_z 0
		.amdhsa_system_sgpr_workgroup_info 0
		.amdhsa_system_vgpr_workitem_id 0
		.amdhsa_next_free_vgpr 1
		.amdhsa_next_free_sgpr 1
		.amdhsa_reserve_vcc 0
		.amdhsa_reserve_flat_scratch 0
		.amdhsa_float_round_mode_32 0
		.amdhsa_float_round_mode_16_64 0
		.amdhsa_float_denorm_mode_32 3
		.amdhsa_float_denorm_mode_16_64 3
		.amdhsa_dx10_clamp 1
		.amdhsa_ieee_mode 1
		.amdhsa_fp16_overflow 0
		.amdhsa_workgroup_processor_mode 1
		.amdhsa_memory_ordered 1
		.amdhsa_forward_progress 1
		.amdhsa_shared_vgpr_count 0
		.amdhsa_exception_fp_ieee_invalid_op 0
		.amdhsa_exception_fp_denorm_src 0
		.amdhsa_exception_fp_ieee_div_zero 0
		.amdhsa_exception_fp_ieee_overflow 0
		.amdhsa_exception_fp_ieee_underflow 0
		.amdhsa_exception_fp_ieee_inexact 0
		.amdhsa_exception_int_div_zero 0
	.end_amdhsa_kernel
	.section	.text._ZN7rocprim17ROCPRIM_400000_NS6detail17trampoline_kernelINS0_13select_configILj256ELj13ELNS0_17block_load_methodE3ELS4_3ELS4_3ELNS0_20block_scan_algorithmE0ELj4294967295EEENS1_25partition_config_selectorILNS1_17partition_subalgoE4EjNS0_10empty_typeEbEEZZNS1_14partition_implILS8_4ELb0ES6_15HIP_vector_typeIjLj2EENS0_17counting_iteratorIjlEEPS9_SG_NS0_5tupleIJPjSI_NS0_16reverse_iteratorISI_EEEEENSH_IJSG_SG_SG_EEES9_SI_JZNS1_25segmented_radix_sort_implINS0_14default_configELb1EPKfPfPKlPlN2at6native12_GLOBAL__N_18offset_tEEE10hipError_tPvRmT1_PNSt15iterator_traitsIS12_E10value_typeET2_T3_PNS13_IS18_E10value_typeET4_jRbjT5_S1E_jjP12ihipStream_tbEUljE_ZNSN_ISO_Lb1ESQ_SR_ST_SU_SY_EESZ_S10_S11_S12_S16_S17_S18_S1B_S1C_jS1D_jS1E_S1E_jjS1G_bEUljE0_EEESZ_S10_S11_S18_S1C_S1E_T6_T7_T9_mT8_S1G_bDpT10_ENKUlT_T0_E_clISt17integral_constantIbLb1EES1T_IbLb0EEEEDaS1P_S1Q_EUlS1P_E_NS1_11comp_targetILNS1_3genE10ELNS1_11target_archE1200ELNS1_3gpuE4ELNS1_3repE0EEENS1_30default_config_static_selectorELNS0_4arch9wavefront6targetE0EEEvS12_,"axG",@progbits,_ZN7rocprim17ROCPRIM_400000_NS6detail17trampoline_kernelINS0_13select_configILj256ELj13ELNS0_17block_load_methodE3ELS4_3ELS4_3ELNS0_20block_scan_algorithmE0ELj4294967295EEENS1_25partition_config_selectorILNS1_17partition_subalgoE4EjNS0_10empty_typeEbEEZZNS1_14partition_implILS8_4ELb0ES6_15HIP_vector_typeIjLj2EENS0_17counting_iteratorIjlEEPS9_SG_NS0_5tupleIJPjSI_NS0_16reverse_iteratorISI_EEEEENSH_IJSG_SG_SG_EEES9_SI_JZNS1_25segmented_radix_sort_implINS0_14default_configELb1EPKfPfPKlPlN2at6native12_GLOBAL__N_18offset_tEEE10hipError_tPvRmT1_PNSt15iterator_traitsIS12_E10value_typeET2_T3_PNS13_IS18_E10value_typeET4_jRbjT5_S1E_jjP12ihipStream_tbEUljE_ZNSN_ISO_Lb1ESQ_SR_ST_SU_SY_EESZ_S10_S11_S12_S16_S17_S18_S1B_S1C_jS1D_jS1E_S1E_jjS1G_bEUljE0_EEESZ_S10_S11_S18_S1C_S1E_T6_T7_T9_mT8_S1G_bDpT10_ENKUlT_T0_E_clISt17integral_constantIbLb1EES1T_IbLb0EEEEDaS1P_S1Q_EUlS1P_E_NS1_11comp_targetILNS1_3genE10ELNS1_11target_archE1200ELNS1_3gpuE4ELNS1_3repE0EEENS1_30default_config_static_selectorELNS0_4arch9wavefront6targetE0EEEvS12_,comdat
.Lfunc_end1274:
	.size	_ZN7rocprim17ROCPRIM_400000_NS6detail17trampoline_kernelINS0_13select_configILj256ELj13ELNS0_17block_load_methodE3ELS4_3ELS4_3ELNS0_20block_scan_algorithmE0ELj4294967295EEENS1_25partition_config_selectorILNS1_17partition_subalgoE4EjNS0_10empty_typeEbEEZZNS1_14partition_implILS8_4ELb0ES6_15HIP_vector_typeIjLj2EENS0_17counting_iteratorIjlEEPS9_SG_NS0_5tupleIJPjSI_NS0_16reverse_iteratorISI_EEEEENSH_IJSG_SG_SG_EEES9_SI_JZNS1_25segmented_radix_sort_implINS0_14default_configELb1EPKfPfPKlPlN2at6native12_GLOBAL__N_18offset_tEEE10hipError_tPvRmT1_PNSt15iterator_traitsIS12_E10value_typeET2_T3_PNS13_IS18_E10value_typeET4_jRbjT5_S1E_jjP12ihipStream_tbEUljE_ZNSN_ISO_Lb1ESQ_SR_ST_SU_SY_EESZ_S10_S11_S12_S16_S17_S18_S1B_S1C_jS1D_jS1E_S1E_jjS1G_bEUljE0_EEESZ_S10_S11_S18_S1C_S1E_T6_T7_T9_mT8_S1G_bDpT10_ENKUlT_T0_E_clISt17integral_constantIbLb1EES1T_IbLb0EEEEDaS1P_S1Q_EUlS1P_E_NS1_11comp_targetILNS1_3genE10ELNS1_11target_archE1200ELNS1_3gpuE4ELNS1_3repE0EEENS1_30default_config_static_selectorELNS0_4arch9wavefront6targetE0EEEvS12_, .Lfunc_end1274-_ZN7rocprim17ROCPRIM_400000_NS6detail17trampoline_kernelINS0_13select_configILj256ELj13ELNS0_17block_load_methodE3ELS4_3ELS4_3ELNS0_20block_scan_algorithmE0ELj4294967295EEENS1_25partition_config_selectorILNS1_17partition_subalgoE4EjNS0_10empty_typeEbEEZZNS1_14partition_implILS8_4ELb0ES6_15HIP_vector_typeIjLj2EENS0_17counting_iteratorIjlEEPS9_SG_NS0_5tupleIJPjSI_NS0_16reverse_iteratorISI_EEEEENSH_IJSG_SG_SG_EEES9_SI_JZNS1_25segmented_radix_sort_implINS0_14default_configELb1EPKfPfPKlPlN2at6native12_GLOBAL__N_18offset_tEEE10hipError_tPvRmT1_PNSt15iterator_traitsIS12_E10value_typeET2_T3_PNS13_IS18_E10value_typeET4_jRbjT5_S1E_jjP12ihipStream_tbEUljE_ZNSN_ISO_Lb1ESQ_SR_ST_SU_SY_EESZ_S10_S11_S12_S16_S17_S18_S1B_S1C_jS1D_jS1E_S1E_jjS1G_bEUljE0_EEESZ_S10_S11_S18_S1C_S1E_T6_T7_T9_mT8_S1G_bDpT10_ENKUlT_T0_E_clISt17integral_constantIbLb1EES1T_IbLb0EEEEDaS1P_S1Q_EUlS1P_E_NS1_11comp_targetILNS1_3genE10ELNS1_11target_archE1200ELNS1_3gpuE4ELNS1_3repE0EEENS1_30default_config_static_selectorELNS0_4arch9wavefront6targetE0EEEvS12_
                                        ; -- End function
	.set _ZN7rocprim17ROCPRIM_400000_NS6detail17trampoline_kernelINS0_13select_configILj256ELj13ELNS0_17block_load_methodE3ELS4_3ELS4_3ELNS0_20block_scan_algorithmE0ELj4294967295EEENS1_25partition_config_selectorILNS1_17partition_subalgoE4EjNS0_10empty_typeEbEEZZNS1_14partition_implILS8_4ELb0ES6_15HIP_vector_typeIjLj2EENS0_17counting_iteratorIjlEEPS9_SG_NS0_5tupleIJPjSI_NS0_16reverse_iteratorISI_EEEEENSH_IJSG_SG_SG_EEES9_SI_JZNS1_25segmented_radix_sort_implINS0_14default_configELb1EPKfPfPKlPlN2at6native12_GLOBAL__N_18offset_tEEE10hipError_tPvRmT1_PNSt15iterator_traitsIS12_E10value_typeET2_T3_PNS13_IS18_E10value_typeET4_jRbjT5_S1E_jjP12ihipStream_tbEUljE_ZNSN_ISO_Lb1ESQ_SR_ST_SU_SY_EESZ_S10_S11_S12_S16_S17_S18_S1B_S1C_jS1D_jS1E_S1E_jjS1G_bEUljE0_EEESZ_S10_S11_S18_S1C_S1E_T6_T7_T9_mT8_S1G_bDpT10_ENKUlT_T0_E_clISt17integral_constantIbLb1EES1T_IbLb0EEEEDaS1P_S1Q_EUlS1P_E_NS1_11comp_targetILNS1_3genE10ELNS1_11target_archE1200ELNS1_3gpuE4ELNS1_3repE0EEENS1_30default_config_static_selectorELNS0_4arch9wavefront6targetE0EEEvS12_.num_vgpr, 0
	.set _ZN7rocprim17ROCPRIM_400000_NS6detail17trampoline_kernelINS0_13select_configILj256ELj13ELNS0_17block_load_methodE3ELS4_3ELS4_3ELNS0_20block_scan_algorithmE0ELj4294967295EEENS1_25partition_config_selectorILNS1_17partition_subalgoE4EjNS0_10empty_typeEbEEZZNS1_14partition_implILS8_4ELb0ES6_15HIP_vector_typeIjLj2EENS0_17counting_iteratorIjlEEPS9_SG_NS0_5tupleIJPjSI_NS0_16reverse_iteratorISI_EEEEENSH_IJSG_SG_SG_EEES9_SI_JZNS1_25segmented_radix_sort_implINS0_14default_configELb1EPKfPfPKlPlN2at6native12_GLOBAL__N_18offset_tEEE10hipError_tPvRmT1_PNSt15iterator_traitsIS12_E10value_typeET2_T3_PNS13_IS18_E10value_typeET4_jRbjT5_S1E_jjP12ihipStream_tbEUljE_ZNSN_ISO_Lb1ESQ_SR_ST_SU_SY_EESZ_S10_S11_S12_S16_S17_S18_S1B_S1C_jS1D_jS1E_S1E_jjS1G_bEUljE0_EEESZ_S10_S11_S18_S1C_S1E_T6_T7_T9_mT8_S1G_bDpT10_ENKUlT_T0_E_clISt17integral_constantIbLb1EES1T_IbLb0EEEEDaS1P_S1Q_EUlS1P_E_NS1_11comp_targetILNS1_3genE10ELNS1_11target_archE1200ELNS1_3gpuE4ELNS1_3repE0EEENS1_30default_config_static_selectorELNS0_4arch9wavefront6targetE0EEEvS12_.num_agpr, 0
	.set _ZN7rocprim17ROCPRIM_400000_NS6detail17trampoline_kernelINS0_13select_configILj256ELj13ELNS0_17block_load_methodE3ELS4_3ELS4_3ELNS0_20block_scan_algorithmE0ELj4294967295EEENS1_25partition_config_selectorILNS1_17partition_subalgoE4EjNS0_10empty_typeEbEEZZNS1_14partition_implILS8_4ELb0ES6_15HIP_vector_typeIjLj2EENS0_17counting_iteratorIjlEEPS9_SG_NS0_5tupleIJPjSI_NS0_16reverse_iteratorISI_EEEEENSH_IJSG_SG_SG_EEES9_SI_JZNS1_25segmented_radix_sort_implINS0_14default_configELb1EPKfPfPKlPlN2at6native12_GLOBAL__N_18offset_tEEE10hipError_tPvRmT1_PNSt15iterator_traitsIS12_E10value_typeET2_T3_PNS13_IS18_E10value_typeET4_jRbjT5_S1E_jjP12ihipStream_tbEUljE_ZNSN_ISO_Lb1ESQ_SR_ST_SU_SY_EESZ_S10_S11_S12_S16_S17_S18_S1B_S1C_jS1D_jS1E_S1E_jjS1G_bEUljE0_EEESZ_S10_S11_S18_S1C_S1E_T6_T7_T9_mT8_S1G_bDpT10_ENKUlT_T0_E_clISt17integral_constantIbLb1EES1T_IbLb0EEEEDaS1P_S1Q_EUlS1P_E_NS1_11comp_targetILNS1_3genE10ELNS1_11target_archE1200ELNS1_3gpuE4ELNS1_3repE0EEENS1_30default_config_static_selectorELNS0_4arch9wavefront6targetE0EEEvS12_.numbered_sgpr, 0
	.set _ZN7rocprim17ROCPRIM_400000_NS6detail17trampoline_kernelINS0_13select_configILj256ELj13ELNS0_17block_load_methodE3ELS4_3ELS4_3ELNS0_20block_scan_algorithmE0ELj4294967295EEENS1_25partition_config_selectorILNS1_17partition_subalgoE4EjNS0_10empty_typeEbEEZZNS1_14partition_implILS8_4ELb0ES6_15HIP_vector_typeIjLj2EENS0_17counting_iteratorIjlEEPS9_SG_NS0_5tupleIJPjSI_NS0_16reverse_iteratorISI_EEEEENSH_IJSG_SG_SG_EEES9_SI_JZNS1_25segmented_radix_sort_implINS0_14default_configELb1EPKfPfPKlPlN2at6native12_GLOBAL__N_18offset_tEEE10hipError_tPvRmT1_PNSt15iterator_traitsIS12_E10value_typeET2_T3_PNS13_IS18_E10value_typeET4_jRbjT5_S1E_jjP12ihipStream_tbEUljE_ZNSN_ISO_Lb1ESQ_SR_ST_SU_SY_EESZ_S10_S11_S12_S16_S17_S18_S1B_S1C_jS1D_jS1E_S1E_jjS1G_bEUljE0_EEESZ_S10_S11_S18_S1C_S1E_T6_T7_T9_mT8_S1G_bDpT10_ENKUlT_T0_E_clISt17integral_constantIbLb1EES1T_IbLb0EEEEDaS1P_S1Q_EUlS1P_E_NS1_11comp_targetILNS1_3genE10ELNS1_11target_archE1200ELNS1_3gpuE4ELNS1_3repE0EEENS1_30default_config_static_selectorELNS0_4arch9wavefront6targetE0EEEvS12_.num_named_barrier, 0
	.set _ZN7rocprim17ROCPRIM_400000_NS6detail17trampoline_kernelINS0_13select_configILj256ELj13ELNS0_17block_load_methodE3ELS4_3ELS4_3ELNS0_20block_scan_algorithmE0ELj4294967295EEENS1_25partition_config_selectorILNS1_17partition_subalgoE4EjNS0_10empty_typeEbEEZZNS1_14partition_implILS8_4ELb0ES6_15HIP_vector_typeIjLj2EENS0_17counting_iteratorIjlEEPS9_SG_NS0_5tupleIJPjSI_NS0_16reverse_iteratorISI_EEEEENSH_IJSG_SG_SG_EEES9_SI_JZNS1_25segmented_radix_sort_implINS0_14default_configELb1EPKfPfPKlPlN2at6native12_GLOBAL__N_18offset_tEEE10hipError_tPvRmT1_PNSt15iterator_traitsIS12_E10value_typeET2_T3_PNS13_IS18_E10value_typeET4_jRbjT5_S1E_jjP12ihipStream_tbEUljE_ZNSN_ISO_Lb1ESQ_SR_ST_SU_SY_EESZ_S10_S11_S12_S16_S17_S18_S1B_S1C_jS1D_jS1E_S1E_jjS1G_bEUljE0_EEESZ_S10_S11_S18_S1C_S1E_T6_T7_T9_mT8_S1G_bDpT10_ENKUlT_T0_E_clISt17integral_constantIbLb1EES1T_IbLb0EEEEDaS1P_S1Q_EUlS1P_E_NS1_11comp_targetILNS1_3genE10ELNS1_11target_archE1200ELNS1_3gpuE4ELNS1_3repE0EEENS1_30default_config_static_selectorELNS0_4arch9wavefront6targetE0EEEvS12_.private_seg_size, 0
	.set _ZN7rocprim17ROCPRIM_400000_NS6detail17trampoline_kernelINS0_13select_configILj256ELj13ELNS0_17block_load_methodE3ELS4_3ELS4_3ELNS0_20block_scan_algorithmE0ELj4294967295EEENS1_25partition_config_selectorILNS1_17partition_subalgoE4EjNS0_10empty_typeEbEEZZNS1_14partition_implILS8_4ELb0ES6_15HIP_vector_typeIjLj2EENS0_17counting_iteratorIjlEEPS9_SG_NS0_5tupleIJPjSI_NS0_16reverse_iteratorISI_EEEEENSH_IJSG_SG_SG_EEES9_SI_JZNS1_25segmented_radix_sort_implINS0_14default_configELb1EPKfPfPKlPlN2at6native12_GLOBAL__N_18offset_tEEE10hipError_tPvRmT1_PNSt15iterator_traitsIS12_E10value_typeET2_T3_PNS13_IS18_E10value_typeET4_jRbjT5_S1E_jjP12ihipStream_tbEUljE_ZNSN_ISO_Lb1ESQ_SR_ST_SU_SY_EESZ_S10_S11_S12_S16_S17_S18_S1B_S1C_jS1D_jS1E_S1E_jjS1G_bEUljE0_EEESZ_S10_S11_S18_S1C_S1E_T6_T7_T9_mT8_S1G_bDpT10_ENKUlT_T0_E_clISt17integral_constantIbLb1EES1T_IbLb0EEEEDaS1P_S1Q_EUlS1P_E_NS1_11comp_targetILNS1_3genE10ELNS1_11target_archE1200ELNS1_3gpuE4ELNS1_3repE0EEENS1_30default_config_static_selectorELNS0_4arch9wavefront6targetE0EEEvS12_.uses_vcc, 0
	.set _ZN7rocprim17ROCPRIM_400000_NS6detail17trampoline_kernelINS0_13select_configILj256ELj13ELNS0_17block_load_methodE3ELS4_3ELS4_3ELNS0_20block_scan_algorithmE0ELj4294967295EEENS1_25partition_config_selectorILNS1_17partition_subalgoE4EjNS0_10empty_typeEbEEZZNS1_14partition_implILS8_4ELb0ES6_15HIP_vector_typeIjLj2EENS0_17counting_iteratorIjlEEPS9_SG_NS0_5tupleIJPjSI_NS0_16reverse_iteratorISI_EEEEENSH_IJSG_SG_SG_EEES9_SI_JZNS1_25segmented_radix_sort_implINS0_14default_configELb1EPKfPfPKlPlN2at6native12_GLOBAL__N_18offset_tEEE10hipError_tPvRmT1_PNSt15iterator_traitsIS12_E10value_typeET2_T3_PNS13_IS18_E10value_typeET4_jRbjT5_S1E_jjP12ihipStream_tbEUljE_ZNSN_ISO_Lb1ESQ_SR_ST_SU_SY_EESZ_S10_S11_S12_S16_S17_S18_S1B_S1C_jS1D_jS1E_S1E_jjS1G_bEUljE0_EEESZ_S10_S11_S18_S1C_S1E_T6_T7_T9_mT8_S1G_bDpT10_ENKUlT_T0_E_clISt17integral_constantIbLb1EES1T_IbLb0EEEEDaS1P_S1Q_EUlS1P_E_NS1_11comp_targetILNS1_3genE10ELNS1_11target_archE1200ELNS1_3gpuE4ELNS1_3repE0EEENS1_30default_config_static_selectorELNS0_4arch9wavefront6targetE0EEEvS12_.uses_flat_scratch, 0
	.set _ZN7rocprim17ROCPRIM_400000_NS6detail17trampoline_kernelINS0_13select_configILj256ELj13ELNS0_17block_load_methodE3ELS4_3ELS4_3ELNS0_20block_scan_algorithmE0ELj4294967295EEENS1_25partition_config_selectorILNS1_17partition_subalgoE4EjNS0_10empty_typeEbEEZZNS1_14partition_implILS8_4ELb0ES6_15HIP_vector_typeIjLj2EENS0_17counting_iteratorIjlEEPS9_SG_NS0_5tupleIJPjSI_NS0_16reverse_iteratorISI_EEEEENSH_IJSG_SG_SG_EEES9_SI_JZNS1_25segmented_radix_sort_implINS0_14default_configELb1EPKfPfPKlPlN2at6native12_GLOBAL__N_18offset_tEEE10hipError_tPvRmT1_PNSt15iterator_traitsIS12_E10value_typeET2_T3_PNS13_IS18_E10value_typeET4_jRbjT5_S1E_jjP12ihipStream_tbEUljE_ZNSN_ISO_Lb1ESQ_SR_ST_SU_SY_EESZ_S10_S11_S12_S16_S17_S18_S1B_S1C_jS1D_jS1E_S1E_jjS1G_bEUljE0_EEESZ_S10_S11_S18_S1C_S1E_T6_T7_T9_mT8_S1G_bDpT10_ENKUlT_T0_E_clISt17integral_constantIbLb1EES1T_IbLb0EEEEDaS1P_S1Q_EUlS1P_E_NS1_11comp_targetILNS1_3genE10ELNS1_11target_archE1200ELNS1_3gpuE4ELNS1_3repE0EEENS1_30default_config_static_selectorELNS0_4arch9wavefront6targetE0EEEvS12_.has_dyn_sized_stack, 0
	.set _ZN7rocprim17ROCPRIM_400000_NS6detail17trampoline_kernelINS0_13select_configILj256ELj13ELNS0_17block_load_methodE3ELS4_3ELS4_3ELNS0_20block_scan_algorithmE0ELj4294967295EEENS1_25partition_config_selectorILNS1_17partition_subalgoE4EjNS0_10empty_typeEbEEZZNS1_14partition_implILS8_4ELb0ES6_15HIP_vector_typeIjLj2EENS0_17counting_iteratorIjlEEPS9_SG_NS0_5tupleIJPjSI_NS0_16reverse_iteratorISI_EEEEENSH_IJSG_SG_SG_EEES9_SI_JZNS1_25segmented_radix_sort_implINS0_14default_configELb1EPKfPfPKlPlN2at6native12_GLOBAL__N_18offset_tEEE10hipError_tPvRmT1_PNSt15iterator_traitsIS12_E10value_typeET2_T3_PNS13_IS18_E10value_typeET4_jRbjT5_S1E_jjP12ihipStream_tbEUljE_ZNSN_ISO_Lb1ESQ_SR_ST_SU_SY_EESZ_S10_S11_S12_S16_S17_S18_S1B_S1C_jS1D_jS1E_S1E_jjS1G_bEUljE0_EEESZ_S10_S11_S18_S1C_S1E_T6_T7_T9_mT8_S1G_bDpT10_ENKUlT_T0_E_clISt17integral_constantIbLb1EES1T_IbLb0EEEEDaS1P_S1Q_EUlS1P_E_NS1_11comp_targetILNS1_3genE10ELNS1_11target_archE1200ELNS1_3gpuE4ELNS1_3repE0EEENS1_30default_config_static_selectorELNS0_4arch9wavefront6targetE0EEEvS12_.has_recursion, 0
	.set _ZN7rocprim17ROCPRIM_400000_NS6detail17trampoline_kernelINS0_13select_configILj256ELj13ELNS0_17block_load_methodE3ELS4_3ELS4_3ELNS0_20block_scan_algorithmE0ELj4294967295EEENS1_25partition_config_selectorILNS1_17partition_subalgoE4EjNS0_10empty_typeEbEEZZNS1_14partition_implILS8_4ELb0ES6_15HIP_vector_typeIjLj2EENS0_17counting_iteratorIjlEEPS9_SG_NS0_5tupleIJPjSI_NS0_16reverse_iteratorISI_EEEEENSH_IJSG_SG_SG_EEES9_SI_JZNS1_25segmented_radix_sort_implINS0_14default_configELb1EPKfPfPKlPlN2at6native12_GLOBAL__N_18offset_tEEE10hipError_tPvRmT1_PNSt15iterator_traitsIS12_E10value_typeET2_T3_PNS13_IS18_E10value_typeET4_jRbjT5_S1E_jjP12ihipStream_tbEUljE_ZNSN_ISO_Lb1ESQ_SR_ST_SU_SY_EESZ_S10_S11_S12_S16_S17_S18_S1B_S1C_jS1D_jS1E_S1E_jjS1G_bEUljE0_EEESZ_S10_S11_S18_S1C_S1E_T6_T7_T9_mT8_S1G_bDpT10_ENKUlT_T0_E_clISt17integral_constantIbLb1EES1T_IbLb0EEEEDaS1P_S1Q_EUlS1P_E_NS1_11comp_targetILNS1_3genE10ELNS1_11target_archE1200ELNS1_3gpuE4ELNS1_3repE0EEENS1_30default_config_static_selectorELNS0_4arch9wavefront6targetE0EEEvS12_.has_indirect_call, 0
	.section	.AMDGPU.csdata,"",@progbits
; Kernel info:
; codeLenInByte = 0
; TotalNumSgprs: 0
; NumVgprs: 0
; ScratchSize: 0
; MemoryBound: 0
; FloatMode: 240
; IeeeMode: 1
; LDSByteSize: 0 bytes/workgroup (compile time only)
; SGPRBlocks: 0
; VGPRBlocks: 0
; NumSGPRsForWavesPerEU: 1
; NumVGPRsForWavesPerEU: 1
; Occupancy: 16
; WaveLimiterHint : 0
; COMPUTE_PGM_RSRC2:SCRATCH_EN: 0
; COMPUTE_PGM_RSRC2:USER_SGPR: 6
; COMPUTE_PGM_RSRC2:TRAP_HANDLER: 0
; COMPUTE_PGM_RSRC2:TGID_X_EN: 1
; COMPUTE_PGM_RSRC2:TGID_Y_EN: 0
; COMPUTE_PGM_RSRC2:TGID_Z_EN: 0
; COMPUTE_PGM_RSRC2:TIDIG_COMP_CNT: 0
	.section	.text._ZN7rocprim17ROCPRIM_400000_NS6detail17trampoline_kernelINS0_13select_configILj256ELj13ELNS0_17block_load_methodE3ELS4_3ELS4_3ELNS0_20block_scan_algorithmE0ELj4294967295EEENS1_25partition_config_selectorILNS1_17partition_subalgoE4EjNS0_10empty_typeEbEEZZNS1_14partition_implILS8_4ELb0ES6_15HIP_vector_typeIjLj2EENS0_17counting_iteratorIjlEEPS9_SG_NS0_5tupleIJPjSI_NS0_16reverse_iteratorISI_EEEEENSH_IJSG_SG_SG_EEES9_SI_JZNS1_25segmented_radix_sort_implINS0_14default_configELb1EPKfPfPKlPlN2at6native12_GLOBAL__N_18offset_tEEE10hipError_tPvRmT1_PNSt15iterator_traitsIS12_E10value_typeET2_T3_PNS13_IS18_E10value_typeET4_jRbjT5_S1E_jjP12ihipStream_tbEUljE_ZNSN_ISO_Lb1ESQ_SR_ST_SU_SY_EESZ_S10_S11_S12_S16_S17_S18_S1B_S1C_jS1D_jS1E_S1E_jjS1G_bEUljE0_EEESZ_S10_S11_S18_S1C_S1E_T6_T7_T9_mT8_S1G_bDpT10_ENKUlT_T0_E_clISt17integral_constantIbLb1EES1T_IbLb0EEEEDaS1P_S1Q_EUlS1P_E_NS1_11comp_targetILNS1_3genE9ELNS1_11target_archE1100ELNS1_3gpuE3ELNS1_3repE0EEENS1_30default_config_static_selectorELNS0_4arch9wavefront6targetE0EEEvS12_,"axG",@progbits,_ZN7rocprim17ROCPRIM_400000_NS6detail17trampoline_kernelINS0_13select_configILj256ELj13ELNS0_17block_load_methodE3ELS4_3ELS4_3ELNS0_20block_scan_algorithmE0ELj4294967295EEENS1_25partition_config_selectorILNS1_17partition_subalgoE4EjNS0_10empty_typeEbEEZZNS1_14partition_implILS8_4ELb0ES6_15HIP_vector_typeIjLj2EENS0_17counting_iteratorIjlEEPS9_SG_NS0_5tupleIJPjSI_NS0_16reverse_iteratorISI_EEEEENSH_IJSG_SG_SG_EEES9_SI_JZNS1_25segmented_radix_sort_implINS0_14default_configELb1EPKfPfPKlPlN2at6native12_GLOBAL__N_18offset_tEEE10hipError_tPvRmT1_PNSt15iterator_traitsIS12_E10value_typeET2_T3_PNS13_IS18_E10value_typeET4_jRbjT5_S1E_jjP12ihipStream_tbEUljE_ZNSN_ISO_Lb1ESQ_SR_ST_SU_SY_EESZ_S10_S11_S12_S16_S17_S18_S1B_S1C_jS1D_jS1E_S1E_jjS1G_bEUljE0_EEESZ_S10_S11_S18_S1C_S1E_T6_T7_T9_mT8_S1G_bDpT10_ENKUlT_T0_E_clISt17integral_constantIbLb1EES1T_IbLb0EEEEDaS1P_S1Q_EUlS1P_E_NS1_11comp_targetILNS1_3genE9ELNS1_11target_archE1100ELNS1_3gpuE3ELNS1_3repE0EEENS1_30default_config_static_selectorELNS0_4arch9wavefront6targetE0EEEvS12_,comdat
	.globl	_ZN7rocprim17ROCPRIM_400000_NS6detail17trampoline_kernelINS0_13select_configILj256ELj13ELNS0_17block_load_methodE3ELS4_3ELS4_3ELNS0_20block_scan_algorithmE0ELj4294967295EEENS1_25partition_config_selectorILNS1_17partition_subalgoE4EjNS0_10empty_typeEbEEZZNS1_14partition_implILS8_4ELb0ES6_15HIP_vector_typeIjLj2EENS0_17counting_iteratorIjlEEPS9_SG_NS0_5tupleIJPjSI_NS0_16reverse_iteratorISI_EEEEENSH_IJSG_SG_SG_EEES9_SI_JZNS1_25segmented_radix_sort_implINS0_14default_configELb1EPKfPfPKlPlN2at6native12_GLOBAL__N_18offset_tEEE10hipError_tPvRmT1_PNSt15iterator_traitsIS12_E10value_typeET2_T3_PNS13_IS18_E10value_typeET4_jRbjT5_S1E_jjP12ihipStream_tbEUljE_ZNSN_ISO_Lb1ESQ_SR_ST_SU_SY_EESZ_S10_S11_S12_S16_S17_S18_S1B_S1C_jS1D_jS1E_S1E_jjS1G_bEUljE0_EEESZ_S10_S11_S18_S1C_S1E_T6_T7_T9_mT8_S1G_bDpT10_ENKUlT_T0_E_clISt17integral_constantIbLb1EES1T_IbLb0EEEEDaS1P_S1Q_EUlS1P_E_NS1_11comp_targetILNS1_3genE9ELNS1_11target_archE1100ELNS1_3gpuE3ELNS1_3repE0EEENS1_30default_config_static_selectorELNS0_4arch9wavefront6targetE0EEEvS12_ ; -- Begin function _ZN7rocprim17ROCPRIM_400000_NS6detail17trampoline_kernelINS0_13select_configILj256ELj13ELNS0_17block_load_methodE3ELS4_3ELS4_3ELNS0_20block_scan_algorithmE0ELj4294967295EEENS1_25partition_config_selectorILNS1_17partition_subalgoE4EjNS0_10empty_typeEbEEZZNS1_14partition_implILS8_4ELb0ES6_15HIP_vector_typeIjLj2EENS0_17counting_iteratorIjlEEPS9_SG_NS0_5tupleIJPjSI_NS0_16reverse_iteratorISI_EEEEENSH_IJSG_SG_SG_EEES9_SI_JZNS1_25segmented_radix_sort_implINS0_14default_configELb1EPKfPfPKlPlN2at6native12_GLOBAL__N_18offset_tEEE10hipError_tPvRmT1_PNSt15iterator_traitsIS12_E10value_typeET2_T3_PNS13_IS18_E10value_typeET4_jRbjT5_S1E_jjP12ihipStream_tbEUljE_ZNSN_ISO_Lb1ESQ_SR_ST_SU_SY_EESZ_S10_S11_S12_S16_S17_S18_S1B_S1C_jS1D_jS1E_S1E_jjS1G_bEUljE0_EEESZ_S10_S11_S18_S1C_S1E_T6_T7_T9_mT8_S1G_bDpT10_ENKUlT_T0_E_clISt17integral_constantIbLb1EES1T_IbLb0EEEEDaS1P_S1Q_EUlS1P_E_NS1_11comp_targetILNS1_3genE9ELNS1_11target_archE1100ELNS1_3gpuE3ELNS1_3repE0EEENS1_30default_config_static_selectorELNS0_4arch9wavefront6targetE0EEEvS12_
	.p2align	8
	.type	_ZN7rocprim17ROCPRIM_400000_NS6detail17trampoline_kernelINS0_13select_configILj256ELj13ELNS0_17block_load_methodE3ELS4_3ELS4_3ELNS0_20block_scan_algorithmE0ELj4294967295EEENS1_25partition_config_selectorILNS1_17partition_subalgoE4EjNS0_10empty_typeEbEEZZNS1_14partition_implILS8_4ELb0ES6_15HIP_vector_typeIjLj2EENS0_17counting_iteratorIjlEEPS9_SG_NS0_5tupleIJPjSI_NS0_16reverse_iteratorISI_EEEEENSH_IJSG_SG_SG_EEES9_SI_JZNS1_25segmented_radix_sort_implINS0_14default_configELb1EPKfPfPKlPlN2at6native12_GLOBAL__N_18offset_tEEE10hipError_tPvRmT1_PNSt15iterator_traitsIS12_E10value_typeET2_T3_PNS13_IS18_E10value_typeET4_jRbjT5_S1E_jjP12ihipStream_tbEUljE_ZNSN_ISO_Lb1ESQ_SR_ST_SU_SY_EESZ_S10_S11_S12_S16_S17_S18_S1B_S1C_jS1D_jS1E_S1E_jjS1G_bEUljE0_EEESZ_S10_S11_S18_S1C_S1E_T6_T7_T9_mT8_S1G_bDpT10_ENKUlT_T0_E_clISt17integral_constantIbLb1EES1T_IbLb0EEEEDaS1P_S1Q_EUlS1P_E_NS1_11comp_targetILNS1_3genE9ELNS1_11target_archE1100ELNS1_3gpuE3ELNS1_3repE0EEENS1_30default_config_static_selectorELNS0_4arch9wavefront6targetE0EEEvS12_,@function
_ZN7rocprim17ROCPRIM_400000_NS6detail17trampoline_kernelINS0_13select_configILj256ELj13ELNS0_17block_load_methodE3ELS4_3ELS4_3ELNS0_20block_scan_algorithmE0ELj4294967295EEENS1_25partition_config_selectorILNS1_17partition_subalgoE4EjNS0_10empty_typeEbEEZZNS1_14partition_implILS8_4ELb0ES6_15HIP_vector_typeIjLj2EENS0_17counting_iteratorIjlEEPS9_SG_NS0_5tupleIJPjSI_NS0_16reverse_iteratorISI_EEEEENSH_IJSG_SG_SG_EEES9_SI_JZNS1_25segmented_radix_sort_implINS0_14default_configELb1EPKfPfPKlPlN2at6native12_GLOBAL__N_18offset_tEEE10hipError_tPvRmT1_PNSt15iterator_traitsIS12_E10value_typeET2_T3_PNS13_IS18_E10value_typeET4_jRbjT5_S1E_jjP12ihipStream_tbEUljE_ZNSN_ISO_Lb1ESQ_SR_ST_SU_SY_EESZ_S10_S11_S12_S16_S17_S18_S1B_S1C_jS1D_jS1E_S1E_jjS1G_bEUljE0_EEESZ_S10_S11_S18_S1C_S1E_T6_T7_T9_mT8_S1G_bDpT10_ENKUlT_T0_E_clISt17integral_constantIbLb1EES1T_IbLb0EEEEDaS1P_S1Q_EUlS1P_E_NS1_11comp_targetILNS1_3genE9ELNS1_11target_archE1100ELNS1_3gpuE3ELNS1_3repE0EEENS1_30default_config_static_selectorELNS0_4arch9wavefront6targetE0EEEvS12_: ; @_ZN7rocprim17ROCPRIM_400000_NS6detail17trampoline_kernelINS0_13select_configILj256ELj13ELNS0_17block_load_methodE3ELS4_3ELS4_3ELNS0_20block_scan_algorithmE0ELj4294967295EEENS1_25partition_config_selectorILNS1_17partition_subalgoE4EjNS0_10empty_typeEbEEZZNS1_14partition_implILS8_4ELb0ES6_15HIP_vector_typeIjLj2EENS0_17counting_iteratorIjlEEPS9_SG_NS0_5tupleIJPjSI_NS0_16reverse_iteratorISI_EEEEENSH_IJSG_SG_SG_EEES9_SI_JZNS1_25segmented_radix_sort_implINS0_14default_configELb1EPKfPfPKlPlN2at6native12_GLOBAL__N_18offset_tEEE10hipError_tPvRmT1_PNSt15iterator_traitsIS12_E10value_typeET2_T3_PNS13_IS18_E10value_typeET4_jRbjT5_S1E_jjP12ihipStream_tbEUljE_ZNSN_ISO_Lb1ESQ_SR_ST_SU_SY_EESZ_S10_S11_S12_S16_S17_S18_S1B_S1C_jS1D_jS1E_S1E_jjS1G_bEUljE0_EEESZ_S10_S11_S18_S1C_S1E_T6_T7_T9_mT8_S1G_bDpT10_ENKUlT_T0_E_clISt17integral_constantIbLb1EES1T_IbLb0EEEEDaS1P_S1Q_EUlS1P_E_NS1_11comp_targetILNS1_3genE9ELNS1_11target_archE1100ELNS1_3gpuE3ELNS1_3repE0EEENS1_30default_config_static_selectorELNS0_4arch9wavefront6targetE0EEEvS12_
; %bb.0:
	.section	.rodata,"a",@progbits
	.p2align	6, 0x0
	.amdhsa_kernel _ZN7rocprim17ROCPRIM_400000_NS6detail17trampoline_kernelINS0_13select_configILj256ELj13ELNS0_17block_load_methodE3ELS4_3ELS4_3ELNS0_20block_scan_algorithmE0ELj4294967295EEENS1_25partition_config_selectorILNS1_17partition_subalgoE4EjNS0_10empty_typeEbEEZZNS1_14partition_implILS8_4ELb0ES6_15HIP_vector_typeIjLj2EENS0_17counting_iteratorIjlEEPS9_SG_NS0_5tupleIJPjSI_NS0_16reverse_iteratorISI_EEEEENSH_IJSG_SG_SG_EEES9_SI_JZNS1_25segmented_radix_sort_implINS0_14default_configELb1EPKfPfPKlPlN2at6native12_GLOBAL__N_18offset_tEEE10hipError_tPvRmT1_PNSt15iterator_traitsIS12_E10value_typeET2_T3_PNS13_IS18_E10value_typeET4_jRbjT5_S1E_jjP12ihipStream_tbEUljE_ZNSN_ISO_Lb1ESQ_SR_ST_SU_SY_EESZ_S10_S11_S12_S16_S17_S18_S1B_S1C_jS1D_jS1E_S1E_jjS1G_bEUljE0_EEESZ_S10_S11_S18_S1C_S1E_T6_T7_T9_mT8_S1G_bDpT10_ENKUlT_T0_E_clISt17integral_constantIbLb1EES1T_IbLb0EEEEDaS1P_S1Q_EUlS1P_E_NS1_11comp_targetILNS1_3genE9ELNS1_11target_archE1100ELNS1_3gpuE3ELNS1_3repE0EEENS1_30default_config_static_selectorELNS0_4arch9wavefront6targetE0EEEvS12_
		.amdhsa_group_segment_fixed_size 0
		.amdhsa_private_segment_fixed_size 0
		.amdhsa_kernarg_size 176
		.amdhsa_user_sgpr_count 6
		.amdhsa_user_sgpr_private_segment_buffer 1
		.amdhsa_user_sgpr_dispatch_ptr 0
		.amdhsa_user_sgpr_queue_ptr 0
		.amdhsa_user_sgpr_kernarg_segment_ptr 1
		.amdhsa_user_sgpr_dispatch_id 0
		.amdhsa_user_sgpr_flat_scratch_init 0
		.amdhsa_user_sgpr_private_segment_size 0
		.amdhsa_wavefront_size32 1
		.amdhsa_uses_dynamic_stack 0
		.amdhsa_system_sgpr_private_segment_wavefront_offset 0
		.amdhsa_system_sgpr_workgroup_id_x 1
		.amdhsa_system_sgpr_workgroup_id_y 0
		.amdhsa_system_sgpr_workgroup_id_z 0
		.amdhsa_system_sgpr_workgroup_info 0
		.amdhsa_system_vgpr_workitem_id 0
		.amdhsa_next_free_vgpr 1
		.amdhsa_next_free_sgpr 1
		.amdhsa_reserve_vcc 0
		.amdhsa_reserve_flat_scratch 0
		.amdhsa_float_round_mode_32 0
		.amdhsa_float_round_mode_16_64 0
		.amdhsa_float_denorm_mode_32 3
		.amdhsa_float_denorm_mode_16_64 3
		.amdhsa_dx10_clamp 1
		.amdhsa_ieee_mode 1
		.amdhsa_fp16_overflow 0
		.amdhsa_workgroup_processor_mode 1
		.amdhsa_memory_ordered 1
		.amdhsa_forward_progress 1
		.amdhsa_shared_vgpr_count 0
		.amdhsa_exception_fp_ieee_invalid_op 0
		.amdhsa_exception_fp_denorm_src 0
		.amdhsa_exception_fp_ieee_div_zero 0
		.amdhsa_exception_fp_ieee_overflow 0
		.amdhsa_exception_fp_ieee_underflow 0
		.amdhsa_exception_fp_ieee_inexact 0
		.amdhsa_exception_int_div_zero 0
	.end_amdhsa_kernel
	.section	.text._ZN7rocprim17ROCPRIM_400000_NS6detail17trampoline_kernelINS0_13select_configILj256ELj13ELNS0_17block_load_methodE3ELS4_3ELS4_3ELNS0_20block_scan_algorithmE0ELj4294967295EEENS1_25partition_config_selectorILNS1_17partition_subalgoE4EjNS0_10empty_typeEbEEZZNS1_14partition_implILS8_4ELb0ES6_15HIP_vector_typeIjLj2EENS0_17counting_iteratorIjlEEPS9_SG_NS0_5tupleIJPjSI_NS0_16reverse_iteratorISI_EEEEENSH_IJSG_SG_SG_EEES9_SI_JZNS1_25segmented_radix_sort_implINS0_14default_configELb1EPKfPfPKlPlN2at6native12_GLOBAL__N_18offset_tEEE10hipError_tPvRmT1_PNSt15iterator_traitsIS12_E10value_typeET2_T3_PNS13_IS18_E10value_typeET4_jRbjT5_S1E_jjP12ihipStream_tbEUljE_ZNSN_ISO_Lb1ESQ_SR_ST_SU_SY_EESZ_S10_S11_S12_S16_S17_S18_S1B_S1C_jS1D_jS1E_S1E_jjS1G_bEUljE0_EEESZ_S10_S11_S18_S1C_S1E_T6_T7_T9_mT8_S1G_bDpT10_ENKUlT_T0_E_clISt17integral_constantIbLb1EES1T_IbLb0EEEEDaS1P_S1Q_EUlS1P_E_NS1_11comp_targetILNS1_3genE9ELNS1_11target_archE1100ELNS1_3gpuE3ELNS1_3repE0EEENS1_30default_config_static_selectorELNS0_4arch9wavefront6targetE0EEEvS12_,"axG",@progbits,_ZN7rocprim17ROCPRIM_400000_NS6detail17trampoline_kernelINS0_13select_configILj256ELj13ELNS0_17block_load_methodE3ELS4_3ELS4_3ELNS0_20block_scan_algorithmE0ELj4294967295EEENS1_25partition_config_selectorILNS1_17partition_subalgoE4EjNS0_10empty_typeEbEEZZNS1_14partition_implILS8_4ELb0ES6_15HIP_vector_typeIjLj2EENS0_17counting_iteratorIjlEEPS9_SG_NS0_5tupleIJPjSI_NS0_16reverse_iteratorISI_EEEEENSH_IJSG_SG_SG_EEES9_SI_JZNS1_25segmented_radix_sort_implINS0_14default_configELb1EPKfPfPKlPlN2at6native12_GLOBAL__N_18offset_tEEE10hipError_tPvRmT1_PNSt15iterator_traitsIS12_E10value_typeET2_T3_PNS13_IS18_E10value_typeET4_jRbjT5_S1E_jjP12ihipStream_tbEUljE_ZNSN_ISO_Lb1ESQ_SR_ST_SU_SY_EESZ_S10_S11_S12_S16_S17_S18_S1B_S1C_jS1D_jS1E_S1E_jjS1G_bEUljE0_EEESZ_S10_S11_S18_S1C_S1E_T6_T7_T9_mT8_S1G_bDpT10_ENKUlT_T0_E_clISt17integral_constantIbLb1EES1T_IbLb0EEEEDaS1P_S1Q_EUlS1P_E_NS1_11comp_targetILNS1_3genE9ELNS1_11target_archE1100ELNS1_3gpuE3ELNS1_3repE0EEENS1_30default_config_static_selectorELNS0_4arch9wavefront6targetE0EEEvS12_,comdat
.Lfunc_end1275:
	.size	_ZN7rocprim17ROCPRIM_400000_NS6detail17trampoline_kernelINS0_13select_configILj256ELj13ELNS0_17block_load_methodE3ELS4_3ELS4_3ELNS0_20block_scan_algorithmE0ELj4294967295EEENS1_25partition_config_selectorILNS1_17partition_subalgoE4EjNS0_10empty_typeEbEEZZNS1_14partition_implILS8_4ELb0ES6_15HIP_vector_typeIjLj2EENS0_17counting_iteratorIjlEEPS9_SG_NS0_5tupleIJPjSI_NS0_16reverse_iteratorISI_EEEEENSH_IJSG_SG_SG_EEES9_SI_JZNS1_25segmented_radix_sort_implINS0_14default_configELb1EPKfPfPKlPlN2at6native12_GLOBAL__N_18offset_tEEE10hipError_tPvRmT1_PNSt15iterator_traitsIS12_E10value_typeET2_T3_PNS13_IS18_E10value_typeET4_jRbjT5_S1E_jjP12ihipStream_tbEUljE_ZNSN_ISO_Lb1ESQ_SR_ST_SU_SY_EESZ_S10_S11_S12_S16_S17_S18_S1B_S1C_jS1D_jS1E_S1E_jjS1G_bEUljE0_EEESZ_S10_S11_S18_S1C_S1E_T6_T7_T9_mT8_S1G_bDpT10_ENKUlT_T0_E_clISt17integral_constantIbLb1EES1T_IbLb0EEEEDaS1P_S1Q_EUlS1P_E_NS1_11comp_targetILNS1_3genE9ELNS1_11target_archE1100ELNS1_3gpuE3ELNS1_3repE0EEENS1_30default_config_static_selectorELNS0_4arch9wavefront6targetE0EEEvS12_, .Lfunc_end1275-_ZN7rocprim17ROCPRIM_400000_NS6detail17trampoline_kernelINS0_13select_configILj256ELj13ELNS0_17block_load_methodE3ELS4_3ELS4_3ELNS0_20block_scan_algorithmE0ELj4294967295EEENS1_25partition_config_selectorILNS1_17partition_subalgoE4EjNS0_10empty_typeEbEEZZNS1_14partition_implILS8_4ELb0ES6_15HIP_vector_typeIjLj2EENS0_17counting_iteratorIjlEEPS9_SG_NS0_5tupleIJPjSI_NS0_16reverse_iteratorISI_EEEEENSH_IJSG_SG_SG_EEES9_SI_JZNS1_25segmented_radix_sort_implINS0_14default_configELb1EPKfPfPKlPlN2at6native12_GLOBAL__N_18offset_tEEE10hipError_tPvRmT1_PNSt15iterator_traitsIS12_E10value_typeET2_T3_PNS13_IS18_E10value_typeET4_jRbjT5_S1E_jjP12ihipStream_tbEUljE_ZNSN_ISO_Lb1ESQ_SR_ST_SU_SY_EESZ_S10_S11_S12_S16_S17_S18_S1B_S1C_jS1D_jS1E_S1E_jjS1G_bEUljE0_EEESZ_S10_S11_S18_S1C_S1E_T6_T7_T9_mT8_S1G_bDpT10_ENKUlT_T0_E_clISt17integral_constantIbLb1EES1T_IbLb0EEEEDaS1P_S1Q_EUlS1P_E_NS1_11comp_targetILNS1_3genE9ELNS1_11target_archE1100ELNS1_3gpuE3ELNS1_3repE0EEENS1_30default_config_static_selectorELNS0_4arch9wavefront6targetE0EEEvS12_
                                        ; -- End function
	.set _ZN7rocprim17ROCPRIM_400000_NS6detail17trampoline_kernelINS0_13select_configILj256ELj13ELNS0_17block_load_methodE3ELS4_3ELS4_3ELNS0_20block_scan_algorithmE0ELj4294967295EEENS1_25partition_config_selectorILNS1_17partition_subalgoE4EjNS0_10empty_typeEbEEZZNS1_14partition_implILS8_4ELb0ES6_15HIP_vector_typeIjLj2EENS0_17counting_iteratorIjlEEPS9_SG_NS0_5tupleIJPjSI_NS0_16reverse_iteratorISI_EEEEENSH_IJSG_SG_SG_EEES9_SI_JZNS1_25segmented_radix_sort_implINS0_14default_configELb1EPKfPfPKlPlN2at6native12_GLOBAL__N_18offset_tEEE10hipError_tPvRmT1_PNSt15iterator_traitsIS12_E10value_typeET2_T3_PNS13_IS18_E10value_typeET4_jRbjT5_S1E_jjP12ihipStream_tbEUljE_ZNSN_ISO_Lb1ESQ_SR_ST_SU_SY_EESZ_S10_S11_S12_S16_S17_S18_S1B_S1C_jS1D_jS1E_S1E_jjS1G_bEUljE0_EEESZ_S10_S11_S18_S1C_S1E_T6_T7_T9_mT8_S1G_bDpT10_ENKUlT_T0_E_clISt17integral_constantIbLb1EES1T_IbLb0EEEEDaS1P_S1Q_EUlS1P_E_NS1_11comp_targetILNS1_3genE9ELNS1_11target_archE1100ELNS1_3gpuE3ELNS1_3repE0EEENS1_30default_config_static_selectorELNS0_4arch9wavefront6targetE0EEEvS12_.num_vgpr, 0
	.set _ZN7rocprim17ROCPRIM_400000_NS6detail17trampoline_kernelINS0_13select_configILj256ELj13ELNS0_17block_load_methodE3ELS4_3ELS4_3ELNS0_20block_scan_algorithmE0ELj4294967295EEENS1_25partition_config_selectorILNS1_17partition_subalgoE4EjNS0_10empty_typeEbEEZZNS1_14partition_implILS8_4ELb0ES6_15HIP_vector_typeIjLj2EENS0_17counting_iteratorIjlEEPS9_SG_NS0_5tupleIJPjSI_NS0_16reverse_iteratorISI_EEEEENSH_IJSG_SG_SG_EEES9_SI_JZNS1_25segmented_radix_sort_implINS0_14default_configELb1EPKfPfPKlPlN2at6native12_GLOBAL__N_18offset_tEEE10hipError_tPvRmT1_PNSt15iterator_traitsIS12_E10value_typeET2_T3_PNS13_IS18_E10value_typeET4_jRbjT5_S1E_jjP12ihipStream_tbEUljE_ZNSN_ISO_Lb1ESQ_SR_ST_SU_SY_EESZ_S10_S11_S12_S16_S17_S18_S1B_S1C_jS1D_jS1E_S1E_jjS1G_bEUljE0_EEESZ_S10_S11_S18_S1C_S1E_T6_T7_T9_mT8_S1G_bDpT10_ENKUlT_T0_E_clISt17integral_constantIbLb1EES1T_IbLb0EEEEDaS1P_S1Q_EUlS1P_E_NS1_11comp_targetILNS1_3genE9ELNS1_11target_archE1100ELNS1_3gpuE3ELNS1_3repE0EEENS1_30default_config_static_selectorELNS0_4arch9wavefront6targetE0EEEvS12_.num_agpr, 0
	.set _ZN7rocprim17ROCPRIM_400000_NS6detail17trampoline_kernelINS0_13select_configILj256ELj13ELNS0_17block_load_methodE3ELS4_3ELS4_3ELNS0_20block_scan_algorithmE0ELj4294967295EEENS1_25partition_config_selectorILNS1_17partition_subalgoE4EjNS0_10empty_typeEbEEZZNS1_14partition_implILS8_4ELb0ES6_15HIP_vector_typeIjLj2EENS0_17counting_iteratorIjlEEPS9_SG_NS0_5tupleIJPjSI_NS0_16reverse_iteratorISI_EEEEENSH_IJSG_SG_SG_EEES9_SI_JZNS1_25segmented_radix_sort_implINS0_14default_configELb1EPKfPfPKlPlN2at6native12_GLOBAL__N_18offset_tEEE10hipError_tPvRmT1_PNSt15iterator_traitsIS12_E10value_typeET2_T3_PNS13_IS18_E10value_typeET4_jRbjT5_S1E_jjP12ihipStream_tbEUljE_ZNSN_ISO_Lb1ESQ_SR_ST_SU_SY_EESZ_S10_S11_S12_S16_S17_S18_S1B_S1C_jS1D_jS1E_S1E_jjS1G_bEUljE0_EEESZ_S10_S11_S18_S1C_S1E_T6_T7_T9_mT8_S1G_bDpT10_ENKUlT_T0_E_clISt17integral_constantIbLb1EES1T_IbLb0EEEEDaS1P_S1Q_EUlS1P_E_NS1_11comp_targetILNS1_3genE9ELNS1_11target_archE1100ELNS1_3gpuE3ELNS1_3repE0EEENS1_30default_config_static_selectorELNS0_4arch9wavefront6targetE0EEEvS12_.numbered_sgpr, 0
	.set _ZN7rocprim17ROCPRIM_400000_NS6detail17trampoline_kernelINS0_13select_configILj256ELj13ELNS0_17block_load_methodE3ELS4_3ELS4_3ELNS0_20block_scan_algorithmE0ELj4294967295EEENS1_25partition_config_selectorILNS1_17partition_subalgoE4EjNS0_10empty_typeEbEEZZNS1_14partition_implILS8_4ELb0ES6_15HIP_vector_typeIjLj2EENS0_17counting_iteratorIjlEEPS9_SG_NS0_5tupleIJPjSI_NS0_16reverse_iteratorISI_EEEEENSH_IJSG_SG_SG_EEES9_SI_JZNS1_25segmented_radix_sort_implINS0_14default_configELb1EPKfPfPKlPlN2at6native12_GLOBAL__N_18offset_tEEE10hipError_tPvRmT1_PNSt15iterator_traitsIS12_E10value_typeET2_T3_PNS13_IS18_E10value_typeET4_jRbjT5_S1E_jjP12ihipStream_tbEUljE_ZNSN_ISO_Lb1ESQ_SR_ST_SU_SY_EESZ_S10_S11_S12_S16_S17_S18_S1B_S1C_jS1D_jS1E_S1E_jjS1G_bEUljE0_EEESZ_S10_S11_S18_S1C_S1E_T6_T7_T9_mT8_S1G_bDpT10_ENKUlT_T0_E_clISt17integral_constantIbLb1EES1T_IbLb0EEEEDaS1P_S1Q_EUlS1P_E_NS1_11comp_targetILNS1_3genE9ELNS1_11target_archE1100ELNS1_3gpuE3ELNS1_3repE0EEENS1_30default_config_static_selectorELNS0_4arch9wavefront6targetE0EEEvS12_.num_named_barrier, 0
	.set _ZN7rocprim17ROCPRIM_400000_NS6detail17trampoline_kernelINS0_13select_configILj256ELj13ELNS0_17block_load_methodE3ELS4_3ELS4_3ELNS0_20block_scan_algorithmE0ELj4294967295EEENS1_25partition_config_selectorILNS1_17partition_subalgoE4EjNS0_10empty_typeEbEEZZNS1_14partition_implILS8_4ELb0ES6_15HIP_vector_typeIjLj2EENS0_17counting_iteratorIjlEEPS9_SG_NS0_5tupleIJPjSI_NS0_16reverse_iteratorISI_EEEEENSH_IJSG_SG_SG_EEES9_SI_JZNS1_25segmented_radix_sort_implINS0_14default_configELb1EPKfPfPKlPlN2at6native12_GLOBAL__N_18offset_tEEE10hipError_tPvRmT1_PNSt15iterator_traitsIS12_E10value_typeET2_T3_PNS13_IS18_E10value_typeET4_jRbjT5_S1E_jjP12ihipStream_tbEUljE_ZNSN_ISO_Lb1ESQ_SR_ST_SU_SY_EESZ_S10_S11_S12_S16_S17_S18_S1B_S1C_jS1D_jS1E_S1E_jjS1G_bEUljE0_EEESZ_S10_S11_S18_S1C_S1E_T6_T7_T9_mT8_S1G_bDpT10_ENKUlT_T0_E_clISt17integral_constantIbLb1EES1T_IbLb0EEEEDaS1P_S1Q_EUlS1P_E_NS1_11comp_targetILNS1_3genE9ELNS1_11target_archE1100ELNS1_3gpuE3ELNS1_3repE0EEENS1_30default_config_static_selectorELNS0_4arch9wavefront6targetE0EEEvS12_.private_seg_size, 0
	.set _ZN7rocprim17ROCPRIM_400000_NS6detail17trampoline_kernelINS0_13select_configILj256ELj13ELNS0_17block_load_methodE3ELS4_3ELS4_3ELNS0_20block_scan_algorithmE0ELj4294967295EEENS1_25partition_config_selectorILNS1_17partition_subalgoE4EjNS0_10empty_typeEbEEZZNS1_14partition_implILS8_4ELb0ES6_15HIP_vector_typeIjLj2EENS0_17counting_iteratorIjlEEPS9_SG_NS0_5tupleIJPjSI_NS0_16reverse_iteratorISI_EEEEENSH_IJSG_SG_SG_EEES9_SI_JZNS1_25segmented_radix_sort_implINS0_14default_configELb1EPKfPfPKlPlN2at6native12_GLOBAL__N_18offset_tEEE10hipError_tPvRmT1_PNSt15iterator_traitsIS12_E10value_typeET2_T3_PNS13_IS18_E10value_typeET4_jRbjT5_S1E_jjP12ihipStream_tbEUljE_ZNSN_ISO_Lb1ESQ_SR_ST_SU_SY_EESZ_S10_S11_S12_S16_S17_S18_S1B_S1C_jS1D_jS1E_S1E_jjS1G_bEUljE0_EEESZ_S10_S11_S18_S1C_S1E_T6_T7_T9_mT8_S1G_bDpT10_ENKUlT_T0_E_clISt17integral_constantIbLb1EES1T_IbLb0EEEEDaS1P_S1Q_EUlS1P_E_NS1_11comp_targetILNS1_3genE9ELNS1_11target_archE1100ELNS1_3gpuE3ELNS1_3repE0EEENS1_30default_config_static_selectorELNS0_4arch9wavefront6targetE0EEEvS12_.uses_vcc, 0
	.set _ZN7rocprim17ROCPRIM_400000_NS6detail17trampoline_kernelINS0_13select_configILj256ELj13ELNS0_17block_load_methodE3ELS4_3ELS4_3ELNS0_20block_scan_algorithmE0ELj4294967295EEENS1_25partition_config_selectorILNS1_17partition_subalgoE4EjNS0_10empty_typeEbEEZZNS1_14partition_implILS8_4ELb0ES6_15HIP_vector_typeIjLj2EENS0_17counting_iteratorIjlEEPS9_SG_NS0_5tupleIJPjSI_NS0_16reverse_iteratorISI_EEEEENSH_IJSG_SG_SG_EEES9_SI_JZNS1_25segmented_radix_sort_implINS0_14default_configELb1EPKfPfPKlPlN2at6native12_GLOBAL__N_18offset_tEEE10hipError_tPvRmT1_PNSt15iterator_traitsIS12_E10value_typeET2_T3_PNS13_IS18_E10value_typeET4_jRbjT5_S1E_jjP12ihipStream_tbEUljE_ZNSN_ISO_Lb1ESQ_SR_ST_SU_SY_EESZ_S10_S11_S12_S16_S17_S18_S1B_S1C_jS1D_jS1E_S1E_jjS1G_bEUljE0_EEESZ_S10_S11_S18_S1C_S1E_T6_T7_T9_mT8_S1G_bDpT10_ENKUlT_T0_E_clISt17integral_constantIbLb1EES1T_IbLb0EEEEDaS1P_S1Q_EUlS1P_E_NS1_11comp_targetILNS1_3genE9ELNS1_11target_archE1100ELNS1_3gpuE3ELNS1_3repE0EEENS1_30default_config_static_selectorELNS0_4arch9wavefront6targetE0EEEvS12_.uses_flat_scratch, 0
	.set _ZN7rocprim17ROCPRIM_400000_NS6detail17trampoline_kernelINS0_13select_configILj256ELj13ELNS0_17block_load_methodE3ELS4_3ELS4_3ELNS0_20block_scan_algorithmE0ELj4294967295EEENS1_25partition_config_selectorILNS1_17partition_subalgoE4EjNS0_10empty_typeEbEEZZNS1_14partition_implILS8_4ELb0ES6_15HIP_vector_typeIjLj2EENS0_17counting_iteratorIjlEEPS9_SG_NS0_5tupleIJPjSI_NS0_16reverse_iteratorISI_EEEEENSH_IJSG_SG_SG_EEES9_SI_JZNS1_25segmented_radix_sort_implINS0_14default_configELb1EPKfPfPKlPlN2at6native12_GLOBAL__N_18offset_tEEE10hipError_tPvRmT1_PNSt15iterator_traitsIS12_E10value_typeET2_T3_PNS13_IS18_E10value_typeET4_jRbjT5_S1E_jjP12ihipStream_tbEUljE_ZNSN_ISO_Lb1ESQ_SR_ST_SU_SY_EESZ_S10_S11_S12_S16_S17_S18_S1B_S1C_jS1D_jS1E_S1E_jjS1G_bEUljE0_EEESZ_S10_S11_S18_S1C_S1E_T6_T7_T9_mT8_S1G_bDpT10_ENKUlT_T0_E_clISt17integral_constantIbLb1EES1T_IbLb0EEEEDaS1P_S1Q_EUlS1P_E_NS1_11comp_targetILNS1_3genE9ELNS1_11target_archE1100ELNS1_3gpuE3ELNS1_3repE0EEENS1_30default_config_static_selectorELNS0_4arch9wavefront6targetE0EEEvS12_.has_dyn_sized_stack, 0
	.set _ZN7rocprim17ROCPRIM_400000_NS6detail17trampoline_kernelINS0_13select_configILj256ELj13ELNS0_17block_load_methodE3ELS4_3ELS4_3ELNS0_20block_scan_algorithmE0ELj4294967295EEENS1_25partition_config_selectorILNS1_17partition_subalgoE4EjNS0_10empty_typeEbEEZZNS1_14partition_implILS8_4ELb0ES6_15HIP_vector_typeIjLj2EENS0_17counting_iteratorIjlEEPS9_SG_NS0_5tupleIJPjSI_NS0_16reverse_iteratorISI_EEEEENSH_IJSG_SG_SG_EEES9_SI_JZNS1_25segmented_radix_sort_implINS0_14default_configELb1EPKfPfPKlPlN2at6native12_GLOBAL__N_18offset_tEEE10hipError_tPvRmT1_PNSt15iterator_traitsIS12_E10value_typeET2_T3_PNS13_IS18_E10value_typeET4_jRbjT5_S1E_jjP12ihipStream_tbEUljE_ZNSN_ISO_Lb1ESQ_SR_ST_SU_SY_EESZ_S10_S11_S12_S16_S17_S18_S1B_S1C_jS1D_jS1E_S1E_jjS1G_bEUljE0_EEESZ_S10_S11_S18_S1C_S1E_T6_T7_T9_mT8_S1G_bDpT10_ENKUlT_T0_E_clISt17integral_constantIbLb1EES1T_IbLb0EEEEDaS1P_S1Q_EUlS1P_E_NS1_11comp_targetILNS1_3genE9ELNS1_11target_archE1100ELNS1_3gpuE3ELNS1_3repE0EEENS1_30default_config_static_selectorELNS0_4arch9wavefront6targetE0EEEvS12_.has_recursion, 0
	.set _ZN7rocprim17ROCPRIM_400000_NS6detail17trampoline_kernelINS0_13select_configILj256ELj13ELNS0_17block_load_methodE3ELS4_3ELS4_3ELNS0_20block_scan_algorithmE0ELj4294967295EEENS1_25partition_config_selectorILNS1_17partition_subalgoE4EjNS0_10empty_typeEbEEZZNS1_14partition_implILS8_4ELb0ES6_15HIP_vector_typeIjLj2EENS0_17counting_iteratorIjlEEPS9_SG_NS0_5tupleIJPjSI_NS0_16reverse_iteratorISI_EEEEENSH_IJSG_SG_SG_EEES9_SI_JZNS1_25segmented_radix_sort_implINS0_14default_configELb1EPKfPfPKlPlN2at6native12_GLOBAL__N_18offset_tEEE10hipError_tPvRmT1_PNSt15iterator_traitsIS12_E10value_typeET2_T3_PNS13_IS18_E10value_typeET4_jRbjT5_S1E_jjP12ihipStream_tbEUljE_ZNSN_ISO_Lb1ESQ_SR_ST_SU_SY_EESZ_S10_S11_S12_S16_S17_S18_S1B_S1C_jS1D_jS1E_S1E_jjS1G_bEUljE0_EEESZ_S10_S11_S18_S1C_S1E_T6_T7_T9_mT8_S1G_bDpT10_ENKUlT_T0_E_clISt17integral_constantIbLb1EES1T_IbLb0EEEEDaS1P_S1Q_EUlS1P_E_NS1_11comp_targetILNS1_3genE9ELNS1_11target_archE1100ELNS1_3gpuE3ELNS1_3repE0EEENS1_30default_config_static_selectorELNS0_4arch9wavefront6targetE0EEEvS12_.has_indirect_call, 0
	.section	.AMDGPU.csdata,"",@progbits
; Kernel info:
; codeLenInByte = 0
; TotalNumSgprs: 0
; NumVgprs: 0
; ScratchSize: 0
; MemoryBound: 0
; FloatMode: 240
; IeeeMode: 1
; LDSByteSize: 0 bytes/workgroup (compile time only)
; SGPRBlocks: 0
; VGPRBlocks: 0
; NumSGPRsForWavesPerEU: 1
; NumVGPRsForWavesPerEU: 1
; Occupancy: 16
; WaveLimiterHint : 0
; COMPUTE_PGM_RSRC2:SCRATCH_EN: 0
; COMPUTE_PGM_RSRC2:USER_SGPR: 6
; COMPUTE_PGM_RSRC2:TRAP_HANDLER: 0
; COMPUTE_PGM_RSRC2:TGID_X_EN: 1
; COMPUTE_PGM_RSRC2:TGID_Y_EN: 0
; COMPUTE_PGM_RSRC2:TGID_Z_EN: 0
; COMPUTE_PGM_RSRC2:TIDIG_COMP_CNT: 0
	.section	.text._ZN7rocprim17ROCPRIM_400000_NS6detail17trampoline_kernelINS0_13select_configILj256ELj13ELNS0_17block_load_methodE3ELS4_3ELS4_3ELNS0_20block_scan_algorithmE0ELj4294967295EEENS1_25partition_config_selectorILNS1_17partition_subalgoE4EjNS0_10empty_typeEbEEZZNS1_14partition_implILS8_4ELb0ES6_15HIP_vector_typeIjLj2EENS0_17counting_iteratorIjlEEPS9_SG_NS0_5tupleIJPjSI_NS0_16reverse_iteratorISI_EEEEENSH_IJSG_SG_SG_EEES9_SI_JZNS1_25segmented_radix_sort_implINS0_14default_configELb1EPKfPfPKlPlN2at6native12_GLOBAL__N_18offset_tEEE10hipError_tPvRmT1_PNSt15iterator_traitsIS12_E10value_typeET2_T3_PNS13_IS18_E10value_typeET4_jRbjT5_S1E_jjP12ihipStream_tbEUljE_ZNSN_ISO_Lb1ESQ_SR_ST_SU_SY_EESZ_S10_S11_S12_S16_S17_S18_S1B_S1C_jS1D_jS1E_S1E_jjS1G_bEUljE0_EEESZ_S10_S11_S18_S1C_S1E_T6_T7_T9_mT8_S1G_bDpT10_ENKUlT_T0_E_clISt17integral_constantIbLb1EES1T_IbLb0EEEEDaS1P_S1Q_EUlS1P_E_NS1_11comp_targetILNS1_3genE8ELNS1_11target_archE1030ELNS1_3gpuE2ELNS1_3repE0EEENS1_30default_config_static_selectorELNS0_4arch9wavefront6targetE0EEEvS12_,"axG",@progbits,_ZN7rocprim17ROCPRIM_400000_NS6detail17trampoline_kernelINS0_13select_configILj256ELj13ELNS0_17block_load_methodE3ELS4_3ELS4_3ELNS0_20block_scan_algorithmE0ELj4294967295EEENS1_25partition_config_selectorILNS1_17partition_subalgoE4EjNS0_10empty_typeEbEEZZNS1_14partition_implILS8_4ELb0ES6_15HIP_vector_typeIjLj2EENS0_17counting_iteratorIjlEEPS9_SG_NS0_5tupleIJPjSI_NS0_16reverse_iteratorISI_EEEEENSH_IJSG_SG_SG_EEES9_SI_JZNS1_25segmented_radix_sort_implINS0_14default_configELb1EPKfPfPKlPlN2at6native12_GLOBAL__N_18offset_tEEE10hipError_tPvRmT1_PNSt15iterator_traitsIS12_E10value_typeET2_T3_PNS13_IS18_E10value_typeET4_jRbjT5_S1E_jjP12ihipStream_tbEUljE_ZNSN_ISO_Lb1ESQ_SR_ST_SU_SY_EESZ_S10_S11_S12_S16_S17_S18_S1B_S1C_jS1D_jS1E_S1E_jjS1G_bEUljE0_EEESZ_S10_S11_S18_S1C_S1E_T6_T7_T9_mT8_S1G_bDpT10_ENKUlT_T0_E_clISt17integral_constantIbLb1EES1T_IbLb0EEEEDaS1P_S1Q_EUlS1P_E_NS1_11comp_targetILNS1_3genE8ELNS1_11target_archE1030ELNS1_3gpuE2ELNS1_3repE0EEENS1_30default_config_static_selectorELNS0_4arch9wavefront6targetE0EEEvS12_,comdat
	.globl	_ZN7rocprim17ROCPRIM_400000_NS6detail17trampoline_kernelINS0_13select_configILj256ELj13ELNS0_17block_load_methodE3ELS4_3ELS4_3ELNS0_20block_scan_algorithmE0ELj4294967295EEENS1_25partition_config_selectorILNS1_17partition_subalgoE4EjNS0_10empty_typeEbEEZZNS1_14partition_implILS8_4ELb0ES6_15HIP_vector_typeIjLj2EENS0_17counting_iteratorIjlEEPS9_SG_NS0_5tupleIJPjSI_NS0_16reverse_iteratorISI_EEEEENSH_IJSG_SG_SG_EEES9_SI_JZNS1_25segmented_radix_sort_implINS0_14default_configELb1EPKfPfPKlPlN2at6native12_GLOBAL__N_18offset_tEEE10hipError_tPvRmT1_PNSt15iterator_traitsIS12_E10value_typeET2_T3_PNS13_IS18_E10value_typeET4_jRbjT5_S1E_jjP12ihipStream_tbEUljE_ZNSN_ISO_Lb1ESQ_SR_ST_SU_SY_EESZ_S10_S11_S12_S16_S17_S18_S1B_S1C_jS1D_jS1E_S1E_jjS1G_bEUljE0_EEESZ_S10_S11_S18_S1C_S1E_T6_T7_T9_mT8_S1G_bDpT10_ENKUlT_T0_E_clISt17integral_constantIbLb1EES1T_IbLb0EEEEDaS1P_S1Q_EUlS1P_E_NS1_11comp_targetILNS1_3genE8ELNS1_11target_archE1030ELNS1_3gpuE2ELNS1_3repE0EEENS1_30default_config_static_selectorELNS0_4arch9wavefront6targetE0EEEvS12_ ; -- Begin function _ZN7rocprim17ROCPRIM_400000_NS6detail17trampoline_kernelINS0_13select_configILj256ELj13ELNS0_17block_load_methodE3ELS4_3ELS4_3ELNS0_20block_scan_algorithmE0ELj4294967295EEENS1_25partition_config_selectorILNS1_17partition_subalgoE4EjNS0_10empty_typeEbEEZZNS1_14partition_implILS8_4ELb0ES6_15HIP_vector_typeIjLj2EENS0_17counting_iteratorIjlEEPS9_SG_NS0_5tupleIJPjSI_NS0_16reverse_iteratorISI_EEEEENSH_IJSG_SG_SG_EEES9_SI_JZNS1_25segmented_radix_sort_implINS0_14default_configELb1EPKfPfPKlPlN2at6native12_GLOBAL__N_18offset_tEEE10hipError_tPvRmT1_PNSt15iterator_traitsIS12_E10value_typeET2_T3_PNS13_IS18_E10value_typeET4_jRbjT5_S1E_jjP12ihipStream_tbEUljE_ZNSN_ISO_Lb1ESQ_SR_ST_SU_SY_EESZ_S10_S11_S12_S16_S17_S18_S1B_S1C_jS1D_jS1E_S1E_jjS1G_bEUljE0_EEESZ_S10_S11_S18_S1C_S1E_T6_T7_T9_mT8_S1G_bDpT10_ENKUlT_T0_E_clISt17integral_constantIbLb1EES1T_IbLb0EEEEDaS1P_S1Q_EUlS1P_E_NS1_11comp_targetILNS1_3genE8ELNS1_11target_archE1030ELNS1_3gpuE2ELNS1_3repE0EEENS1_30default_config_static_selectorELNS0_4arch9wavefront6targetE0EEEvS12_
	.p2align	8
	.type	_ZN7rocprim17ROCPRIM_400000_NS6detail17trampoline_kernelINS0_13select_configILj256ELj13ELNS0_17block_load_methodE3ELS4_3ELS4_3ELNS0_20block_scan_algorithmE0ELj4294967295EEENS1_25partition_config_selectorILNS1_17partition_subalgoE4EjNS0_10empty_typeEbEEZZNS1_14partition_implILS8_4ELb0ES6_15HIP_vector_typeIjLj2EENS0_17counting_iteratorIjlEEPS9_SG_NS0_5tupleIJPjSI_NS0_16reverse_iteratorISI_EEEEENSH_IJSG_SG_SG_EEES9_SI_JZNS1_25segmented_radix_sort_implINS0_14default_configELb1EPKfPfPKlPlN2at6native12_GLOBAL__N_18offset_tEEE10hipError_tPvRmT1_PNSt15iterator_traitsIS12_E10value_typeET2_T3_PNS13_IS18_E10value_typeET4_jRbjT5_S1E_jjP12ihipStream_tbEUljE_ZNSN_ISO_Lb1ESQ_SR_ST_SU_SY_EESZ_S10_S11_S12_S16_S17_S18_S1B_S1C_jS1D_jS1E_S1E_jjS1G_bEUljE0_EEESZ_S10_S11_S18_S1C_S1E_T6_T7_T9_mT8_S1G_bDpT10_ENKUlT_T0_E_clISt17integral_constantIbLb1EES1T_IbLb0EEEEDaS1P_S1Q_EUlS1P_E_NS1_11comp_targetILNS1_3genE8ELNS1_11target_archE1030ELNS1_3gpuE2ELNS1_3repE0EEENS1_30default_config_static_selectorELNS0_4arch9wavefront6targetE0EEEvS12_,@function
_ZN7rocprim17ROCPRIM_400000_NS6detail17trampoline_kernelINS0_13select_configILj256ELj13ELNS0_17block_load_methodE3ELS4_3ELS4_3ELNS0_20block_scan_algorithmE0ELj4294967295EEENS1_25partition_config_selectorILNS1_17partition_subalgoE4EjNS0_10empty_typeEbEEZZNS1_14partition_implILS8_4ELb0ES6_15HIP_vector_typeIjLj2EENS0_17counting_iteratorIjlEEPS9_SG_NS0_5tupleIJPjSI_NS0_16reverse_iteratorISI_EEEEENSH_IJSG_SG_SG_EEES9_SI_JZNS1_25segmented_radix_sort_implINS0_14default_configELb1EPKfPfPKlPlN2at6native12_GLOBAL__N_18offset_tEEE10hipError_tPvRmT1_PNSt15iterator_traitsIS12_E10value_typeET2_T3_PNS13_IS18_E10value_typeET4_jRbjT5_S1E_jjP12ihipStream_tbEUljE_ZNSN_ISO_Lb1ESQ_SR_ST_SU_SY_EESZ_S10_S11_S12_S16_S17_S18_S1B_S1C_jS1D_jS1E_S1E_jjS1G_bEUljE0_EEESZ_S10_S11_S18_S1C_S1E_T6_T7_T9_mT8_S1G_bDpT10_ENKUlT_T0_E_clISt17integral_constantIbLb1EES1T_IbLb0EEEEDaS1P_S1Q_EUlS1P_E_NS1_11comp_targetILNS1_3genE8ELNS1_11target_archE1030ELNS1_3gpuE2ELNS1_3repE0EEENS1_30default_config_static_selectorELNS0_4arch9wavefront6targetE0EEEvS12_: ; @_ZN7rocprim17ROCPRIM_400000_NS6detail17trampoline_kernelINS0_13select_configILj256ELj13ELNS0_17block_load_methodE3ELS4_3ELS4_3ELNS0_20block_scan_algorithmE0ELj4294967295EEENS1_25partition_config_selectorILNS1_17partition_subalgoE4EjNS0_10empty_typeEbEEZZNS1_14partition_implILS8_4ELb0ES6_15HIP_vector_typeIjLj2EENS0_17counting_iteratorIjlEEPS9_SG_NS0_5tupleIJPjSI_NS0_16reverse_iteratorISI_EEEEENSH_IJSG_SG_SG_EEES9_SI_JZNS1_25segmented_radix_sort_implINS0_14default_configELb1EPKfPfPKlPlN2at6native12_GLOBAL__N_18offset_tEEE10hipError_tPvRmT1_PNSt15iterator_traitsIS12_E10value_typeET2_T3_PNS13_IS18_E10value_typeET4_jRbjT5_S1E_jjP12ihipStream_tbEUljE_ZNSN_ISO_Lb1ESQ_SR_ST_SU_SY_EESZ_S10_S11_S12_S16_S17_S18_S1B_S1C_jS1D_jS1E_S1E_jjS1G_bEUljE0_EEESZ_S10_S11_S18_S1C_S1E_T6_T7_T9_mT8_S1G_bDpT10_ENKUlT_T0_E_clISt17integral_constantIbLb1EES1T_IbLb0EEEEDaS1P_S1Q_EUlS1P_E_NS1_11comp_targetILNS1_3genE8ELNS1_11target_archE1030ELNS1_3gpuE2ELNS1_3repE0EEENS1_30default_config_static_selectorELNS0_4arch9wavefront6targetE0EEEvS12_
; %bb.0:
	s_endpgm
	.section	.rodata,"a",@progbits
	.p2align	6, 0x0
	.amdhsa_kernel _ZN7rocprim17ROCPRIM_400000_NS6detail17trampoline_kernelINS0_13select_configILj256ELj13ELNS0_17block_load_methodE3ELS4_3ELS4_3ELNS0_20block_scan_algorithmE0ELj4294967295EEENS1_25partition_config_selectorILNS1_17partition_subalgoE4EjNS0_10empty_typeEbEEZZNS1_14partition_implILS8_4ELb0ES6_15HIP_vector_typeIjLj2EENS0_17counting_iteratorIjlEEPS9_SG_NS0_5tupleIJPjSI_NS0_16reverse_iteratorISI_EEEEENSH_IJSG_SG_SG_EEES9_SI_JZNS1_25segmented_radix_sort_implINS0_14default_configELb1EPKfPfPKlPlN2at6native12_GLOBAL__N_18offset_tEEE10hipError_tPvRmT1_PNSt15iterator_traitsIS12_E10value_typeET2_T3_PNS13_IS18_E10value_typeET4_jRbjT5_S1E_jjP12ihipStream_tbEUljE_ZNSN_ISO_Lb1ESQ_SR_ST_SU_SY_EESZ_S10_S11_S12_S16_S17_S18_S1B_S1C_jS1D_jS1E_S1E_jjS1G_bEUljE0_EEESZ_S10_S11_S18_S1C_S1E_T6_T7_T9_mT8_S1G_bDpT10_ENKUlT_T0_E_clISt17integral_constantIbLb1EES1T_IbLb0EEEEDaS1P_S1Q_EUlS1P_E_NS1_11comp_targetILNS1_3genE8ELNS1_11target_archE1030ELNS1_3gpuE2ELNS1_3repE0EEENS1_30default_config_static_selectorELNS0_4arch9wavefront6targetE0EEEvS12_
		.amdhsa_group_segment_fixed_size 0
		.amdhsa_private_segment_fixed_size 0
		.amdhsa_kernarg_size 176
		.amdhsa_user_sgpr_count 6
		.amdhsa_user_sgpr_private_segment_buffer 1
		.amdhsa_user_sgpr_dispatch_ptr 0
		.amdhsa_user_sgpr_queue_ptr 0
		.amdhsa_user_sgpr_kernarg_segment_ptr 1
		.amdhsa_user_sgpr_dispatch_id 0
		.amdhsa_user_sgpr_flat_scratch_init 0
		.amdhsa_user_sgpr_private_segment_size 0
		.amdhsa_wavefront_size32 1
		.amdhsa_uses_dynamic_stack 0
		.amdhsa_system_sgpr_private_segment_wavefront_offset 0
		.amdhsa_system_sgpr_workgroup_id_x 1
		.amdhsa_system_sgpr_workgroup_id_y 0
		.amdhsa_system_sgpr_workgroup_id_z 0
		.amdhsa_system_sgpr_workgroup_info 0
		.amdhsa_system_vgpr_workitem_id 0
		.amdhsa_next_free_vgpr 1
		.amdhsa_next_free_sgpr 1
		.amdhsa_reserve_vcc 0
		.amdhsa_reserve_flat_scratch 0
		.amdhsa_float_round_mode_32 0
		.amdhsa_float_round_mode_16_64 0
		.amdhsa_float_denorm_mode_32 3
		.amdhsa_float_denorm_mode_16_64 3
		.amdhsa_dx10_clamp 1
		.amdhsa_ieee_mode 1
		.amdhsa_fp16_overflow 0
		.amdhsa_workgroup_processor_mode 1
		.amdhsa_memory_ordered 1
		.amdhsa_forward_progress 1
		.amdhsa_shared_vgpr_count 0
		.amdhsa_exception_fp_ieee_invalid_op 0
		.amdhsa_exception_fp_denorm_src 0
		.amdhsa_exception_fp_ieee_div_zero 0
		.amdhsa_exception_fp_ieee_overflow 0
		.amdhsa_exception_fp_ieee_underflow 0
		.amdhsa_exception_fp_ieee_inexact 0
		.amdhsa_exception_int_div_zero 0
	.end_amdhsa_kernel
	.section	.text._ZN7rocprim17ROCPRIM_400000_NS6detail17trampoline_kernelINS0_13select_configILj256ELj13ELNS0_17block_load_methodE3ELS4_3ELS4_3ELNS0_20block_scan_algorithmE0ELj4294967295EEENS1_25partition_config_selectorILNS1_17partition_subalgoE4EjNS0_10empty_typeEbEEZZNS1_14partition_implILS8_4ELb0ES6_15HIP_vector_typeIjLj2EENS0_17counting_iteratorIjlEEPS9_SG_NS0_5tupleIJPjSI_NS0_16reverse_iteratorISI_EEEEENSH_IJSG_SG_SG_EEES9_SI_JZNS1_25segmented_radix_sort_implINS0_14default_configELb1EPKfPfPKlPlN2at6native12_GLOBAL__N_18offset_tEEE10hipError_tPvRmT1_PNSt15iterator_traitsIS12_E10value_typeET2_T3_PNS13_IS18_E10value_typeET4_jRbjT5_S1E_jjP12ihipStream_tbEUljE_ZNSN_ISO_Lb1ESQ_SR_ST_SU_SY_EESZ_S10_S11_S12_S16_S17_S18_S1B_S1C_jS1D_jS1E_S1E_jjS1G_bEUljE0_EEESZ_S10_S11_S18_S1C_S1E_T6_T7_T9_mT8_S1G_bDpT10_ENKUlT_T0_E_clISt17integral_constantIbLb1EES1T_IbLb0EEEEDaS1P_S1Q_EUlS1P_E_NS1_11comp_targetILNS1_3genE8ELNS1_11target_archE1030ELNS1_3gpuE2ELNS1_3repE0EEENS1_30default_config_static_selectorELNS0_4arch9wavefront6targetE0EEEvS12_,"axG",@progbits,_ZN7rocprim17ROCPRIM_400000_NS6detail17trampoline_kernelINS0_13select_configILj256ELj13ELNS0_17block_load_methodE3ELS4_3ELS4_3ELNS0_20block_scan_algorithmE0ELj4294967295EEENS1_25partition_config_selectorILNS1_17partition_subalgoE4EjNS0_10empty_typeEbEEZZNS1_14partition_implILS8_4ELb0ES6_15HIP_vector_typeIjLj2EENS0_17counting_iteratorIjlEEPS9_SG_NS0_5tupleIJPjSI_NS0_16reverse_iteratorISI_EEEEENSH_IJSG_SG_SG_EEES9_SI_JZNS1_25segmented_radix_sort_implINS0_14default_configELb1EPKfPfPKlPlN2at6native12_GLOBAL__N_18offset_tEEE10hipError_tPvRmT1_PNSt15iterator_traitsIS12_E10value_typeET2_T3_PNS13_IS18_E10value_typeET4_jRbjT5_S1E_jjP12ihipStream_tbEUljE_ZNSN_ISO_Lb1ESQ_SR_ST_SU_SY_EESZ_S10_S11_S12_S16_S17_S18_S1B_S1C_jS1D_jS1E_S1E_jjS1G_bEUljE0_EEESZ_S10_S11_S18_S1C_S1E_T6_T7_T9_mT8_S1G_bDpT10_ENKUlT_T0_E_clISt17integral_constantIbLb1EES1T_IbLb0EEEEDaS1P_S1Q_EUlS1P_E_NS1_11comp_targetILNS1_3genE8ELNS1_11target_archE1030ELNS1_3gpuE2ELNS1_3repE0EEENS1_30default_config_static_selectorELNS0_4arch9wavefront6targetE0EEEvS12_,comdat
.Lfunc_end1276:
	.size	_ZN7rocprim17ROCPRIM_400000_NS6detail17trampoline_kernelINS0_13select_configILj256ELj13ELNS0_17block_load_methodE3ELS4_3ELS4_3ELNS0_20block_scan_algorithmE0ELj4294967295EEENS1_25partition_config_selectorILNS1_17partition_subalgoE4EjNS0_10empty_typeEbEEZZNS1_14partition_implILS8_4ELb0ES6_15HIP_vector_typeIjLj2EENS0_17counting_iteratorIjlEEPS9_SG_NS0_5tupleIJPjSI_NS0_16reverse_iteratorISI_EEEEENSH_IJSG_SG_SG_EEES9_SI_JZNS1_25segmented_radix_sort_implINS0_14default_configELb1EPKfPfPKlPlN2at6native12_GLOBAL__N_18offset_tEEE10hipError_tPvRmT1_PNSt15iterator_traitsIS12_E10value_typeET2_T3_PNS13_IS18_E10value_typeET4_jRbjT5_S1E_jjP12ihipStream_tbEUljE_ZNSN_ISO_Lb1ESQ_SR_ST_SU_SY_EESZ_S10_S11_S12_S16_S17_S18_S1B_S1C_jS1D_jS1E_S1E_jjS1G_bEUljE0_EEESZ_S10_S11_S18_S1C_S1E_T6_T7_T9_mT8_S1G_bDpT10_ENKUlT_T0_E_clISt17integral_constantIbLb1EES1T_IbLb0EEEEDaS1P_S1Q_EUlS1P_E_NS1_11comp_targetILNS1_3genE8ELNS1_11target_archE1030ELNS1_3gpuE2ELNS1_3repE0EEENS1_30default_config_static_selectorELNS0_4arch9wavefront6targetE0EEEvS12_, .Lfunc_end1276-_ZN7rocprim17ROCPRIM_400000_NS6detail17trampoline_kernelINS0_13select_configILj256ELj13ELNS0_17block_load_methodE3ELS4_3ELS4_3ELNS0_20block_scan_algorithmE0ELj4294967295EEENS1_25partition_config_selectorILNS1_17partition_subalgoE4EjNS0_10empty_typeEbEEZZNS1_14partition_implILS8_4ELb0ES6_15HIP_vector_typeIjLj2EENS0_17counting_iteratorIjlEEPS9_SG_NS0_5tupleIJPjSI_NS0_16reverse_iteratorISI_EEEEENSH_IJSG_SG_SG_EEES9_SI_JZNS1_25segmented_radix_sort_implINS0_14default_configELb1EPKfPfPKlPlN2at6native12_GLOBAL__N_18offset_tEEE10hipError_tPvRmT1_PNSt15iterator_traitsIS12_E10value_typeET2_T3_PNS13_IS18_E10value_typeET4_jRbjT5_S1E_jjP12ihipStream_tbEUljE_ZNSN_ISO_Lb1ESQ_SR_ST_SU_SY_EESZ_S10_S11_S12_S16_S17_S18_S1B_S1C_jS1D_jS1E_S1E_jjS1G_bEUljE0_EEESZ_S10_S11_S18_S1C_S1E_T6_T7_T9_mT8_S1G_bDpT10_ENKUlT_T0_E_clISt17integral_constantIbLb1EES1T_IbLb0EEEEDaS1P_S1Q_EUlS1P_E_NS1_11comp_targetILNS1_3genE8ELNS1_11target_archE1030ELNS1_3gpuE2ELNS1_3repE0EEENS1_30default_config_static_selectorELNS0_4arch9wavefront6targetE0EEEvS12_
                                        ; -- End function
	.set _ZN7rocprim17ROCPRIM_400000_NS6detail17trampoline_kernelINS0_13select_configILj256ELj13ELNS0_17block_load_methodE3ELS4_3ELS4_3ELNS0_20block_scan_algorithmE0ELj4294967295EEENS1_25partition_config_selectorILNS1_17partition_subalgoE4EjNS0_10empty_typeEbEEZZNS1_14partition_implILS8_4ELb0ES6_15HIP_vector_typeIjLj2EENS0_17counting_iteratorIjlEEPS9_SG_NS0_5tupleIJPjSI_NS0_16reverse_iteratorISI_EEEEENSH_IJSG_SG_SG_EEES9_SI_JZNS1_25segmented_radix_sort_implINS0_14default_configELb1EPKfPfPKlPlN2at6native12_GLOBAL__N_18offset_tEEE10hipError_tPvRmT1_PNSt15iterator_traitsIS12_E10value_typeET2_T3_PNS13_IS18_E10value_typeET4_jRbjT5_S1E_jjP12ihipStream_tbEUljE_ZNSN_ISO_Lb1ESQ_SR_ST_SU_SY_EESZ_S10_S11_S12_S16_S17_S18_S1B_S1C_jS1D_jS1E_S1E_jjS1G_bEUljE0_EEESZ_S10_S11_S18_S1C_S1E_T6_T7_T9_mT8_S1G_bDpT10_ENKUlT_T0_E_clISt17integral_constantIbLb1EES1T_IbLb0EEEEDaS1P_S1Q_EUlS1P_E_NS1_11comp_targetILNS1_3genE8ELNS1_11target_archE1030ELNS1_3gpuE2ELNS1_3repE0EEENS1_30default_config_static_selectorELNS0_4arch9wavefront6targetE0EEEvS12_.num_vgpr, 0
	.set _ZN7rocprim17ROCPRIM_400000_NS6detail17trampoline_kernelINS0_13select_configILj256ELj13ELNS0_17block_load_methodE3ELS4_3ELS4_3ELNS0_20block_scan_algorithmE0ELj4294967295EEENS1_25partition_config_selectorILNS1_17partition_subalgoE4EjNS0_10empty_typeEbEEZZNS1_14partition_implILS8_4ELb0ES6_15HIP_vector_typeIjLj2EENS0_17counting_iteratorIjlEEPS9_SG_NS0_5tupleIJPjSI_NS0_16reverse_iteratorISI_EEEEENSH_IJSG_SG_SG_EEES9_SI_JZNS1_25segmented_radix_sort_implINS0_14default_configELb1EPKfPfPKlPlN2at6native12_GLOBAL__N_18offset_tEEE10hipError_tPvRmT1_PNSt15iterator_traitsIS12_E10value_typeET2_T3_PNS13_IS18_E10value_typeET4_jRbjT5_S1E_jjP12ihipStream_tbEUljE_ZNSN_ISO_Lb1ESQ_SR_ST_SU_SY_EESZ_S10_S11_S12_S16_S17_S18_S1B_S1C_jS1D_jS1E_S1E_jjS1G_bEUljE0_EEESZ_S10_S11_S18_S1C_S1E_T6_T7_T9_mT8_S1G_bDpT10_ENKUlT_T0_E_clISt17integral_constantIbLb1EES1T_IbLb0EEEEDaS1P_S1Q_EUlS1P_E_NS1_11comp_targetILNS1_3genE8ELNS1_11target_archE1030ELNS1_3gpuE2ELNS1_3repE0EEENS1_30default_config_static_selectorELNS0_4arch9wavefront6targetE0EEEvS12_.num_agpr, 0
	.set _ZN7rocprim17ROCPRIM_400000_NS6detail17trampoline_kernelINS0_13select_configILj256ELj13ELNS0_17block_load_methodE3ELS4_3ELS4_3ELNS0_20block_scan_algorithmE0ELj4294967295EEENS1_25partition_config_selectorILNS1_17partition_subalgoE4EjNS0_10empty_typeEbEEZZNS1_14partition_implILS8_4ELb0ES6_15HIP_vector_typeIjLj2EENS0_17counting_iteratorIjlEEPS9_SG_NS0_5tupleIJPjSI_NS0_16reverse_iteratorISI_EEEEENSH_IJSG_SG_SG_EEES9_SI_JZNS1_25segmented_radix_sort_implINS0_14default_configELb1EPKfPfPKlPlN2at6native12_GLOBAL__N_18offset_tEEE10hipError_tPvRmT1_PNSt15iterator_traitsIS12_E10value_typeET2_T3_PNS13_IS18_E10value_typeET4_jRbjT5_S1E_jjP12ihipStream_tbEUljE_ZNSN_ISO_Lb1ESQ_SR_ST_SU_SY_EESZ_S10_S11_S12_S16_S17_S18_S1B_S1C_jS1D_jS1E_S1E_jjS1G_bEUljE0_EEESZ_S10_S11_S18_S1C_S1E_T6_T7_T9_mT8_S1G_bDpT10_ENKUlT_T0_E_clISt17integral_constantIbLb1EES1T_IbLb0EEEEDaS1P_S1Q_EUlS1P_E_NS1_11comp_targetILNS1_3genE8ELNS1_11target_archE1030ELNS1_3gpuE2ELNS1_3repE0EEENS1_30default_config_static_selectorELNS0_4arch9wavefront6targetE0EEEvS12_.numbered_sgpr, 0
	.set _ZN7rocprim17ROCPRIM_400000_NS6detail17trampoline_kernelINS0_13select_configILj256ELj13ELNS0_17block_load_methodE3ELS4_3ELS4_3ELNS0_20block_scan_algorithmE0ELj4294967295EEENS1_25partition_config_selectorILNS1_17partition_subalgoE4EjNS0_10empty_typeEbEEZZNS1_14partition_implILS8_4ELb0ES6_15HIP_vector_typeIjLj2EENS0_17counting_iteratorIjlEEPS9_SG_NS0_5tupleIJPjSI_NS0_16reverse_iteratorISI_EEEEENSH_IJSG_SG_SG_EEES9_SI_JZNS1_25segmented_radix_sort_implINS0_14default_configELb1EPKfPfPKlPlN2at6native12_GLOBAL__N_18offset_tEEE10hipError_tPvRmT1_PNSt15iterator_traitsIS12_E10value_typeET2_T3_PNS13_IS18_E10value_typeET4_jRbjT5_S1E_jjP12ihipStream_tbEUljE_ZNSN_ISO_Lb1ESQ_SR_ST_SU_SY_EESZ_S10_S11_S12_S16_S17_S18_S1B_S1C_jS1D_jS1E_S1E_jjS1G_bEUljE0_EEESZ_S10_S11_S18_S1C_S1E_T6_T7_T9_mT8_S1G_bDpT10_ENKUlT_T0_E_clISt17integral_constantIbLb1EES1T_IbLb0EEEEDaS1P_S1Q_EUlS1P_E_NS1_11comp_targetILNS1_3genE8ELNS1_11target_archE1030ELNS1_3gpuE2ELNS1_3repE0EEENS1_30default_config_static_selectorELNS0_4arch9wavefront6targetE0EEEvS12_.num_named_barrier, 0
	.set _ZN7rocprim17ROCPRIM_400000_NS6detail17trampoline_kernelINS0_13select_configILj256ELj13ELNS0_17block_load_methodE3ELS4_3ELS4_3ELNS0_20block_scan_algorithmE0ELj4294967295EEENS1_25partition_config_selectorILNS1_17partition_subalgoE4EjNS0_10empty_typeEbEEZZNS1_14partition_implILS8_4ELb0ES6_15HIP_vector_typeIjLj2EENS0_17counting_iteratorIjlEEPS9_SG_NS0_5tupleIJPjSI_NS0_16reverse_iteratorISI_EEEEENSH_IJSG_SG_SG_EEES9_SI_JZNS1_25segmented_radix_sort_implINS0_14default_configELb1EPKfPfPKlPlN2at6native12_GLOBAL__N_18offset_tEEE10hipError_tPvRmT1_PNSt15iterator_traitsIS12_E10value_typeET2_T3_PNS13_IS18_E10value_typeET4_jRbjT5_S1E_jjP12ihipStream_tbEUljE_ZNSN_ISO_Lb1ESQ_SR_ST_SU_SY_EESZ_S10_S11_S12_S16_S17_S18_S1B_S1C_jS1D_jS1E_S1E_jjS1G_bEUljE0_EEESZ_S10_S11_S18_S1C_S1E_T6_T7_T9_mT8_S1G_bDpT10_ENKUlT_T0_E_clISt17integral_constantIbLb1EES1T_IbLb0EEEEDaS1P_S1Q_EUlS1P_E_NS1_11comp_targetILNS1_3genE8ELNS1_11target_archE1030ELNS1_3gpuE2ELNS1_3repE0EEENS1_30default_config_static_selectorELNS0_4arch9wavefront6targetE0EEEvS12_.private_seg_size, 0
	.set _ZN7rocprim17ROCPRIM_400000_NS6detail17trampoline_kernelINS0_13select_configILj256ELj13ELNS0_17block_load_methodE3ELS4_3ELS4_3ELNS0_20block_scan_algorithmE0ELj4294967295EEENS1_25partition_config_selectorILNS1_17partition_subalgoE4EjNS0_10empty_typeEbEEZZNS1_14partition_implILS8_4ELb0ES6_15HIP_vector_typeIjLj2EENS0_17counting_iteratorIjlEEPS9_SG_NS0_5tupleIJPjSI_NS0_16reverse_iteratorISI_EEEEENSH_IJSG_SG_SG_EEES9_SI_JZNS1_25segmented_radix_sort_implINS0_14default_configELb1EPKfPfPKlPlN2at6native12_GLOBAL__N_18offset_tEEE10hipError_tPvRmT1_PNSt15iterator_traitsIS12_E10value_typeET2_T3_PNS13_IS18_E10value_typeET4_jRbjT5_S1E_jjP12ihipStream_tbEUljE_ZNSN_ISO_Lb1ESQ_SR_ST_SU_SY_EESZ_S10_S11_S12_S16_S17_S18_S1B_S1C_jS1D_jS1E_S1E_jjS1G_bEUljE0_EEESZ_S10_S11_S18_S1C_S1E_T6_T7_T9_mT8_S1G_bDpT10_ENKUlT_T0_E_clISt17integral_constantIbLb1EES1T_IbLb0EEEEDaS1P_S1Q_EUlS1P_E_NS1_11comp_targetILNS1_3genE8ELNS1_11target_archE1030ELNS1_3gpuE2ELNS1_3repE0EEENS1_30default_config_static_selectorELNS0_4arch9wavefront6targetE0EEEvS12_.uses_vcc, 0
	.set _ZN7rocprim17ROCPRIM_400000_NS6detail17trampoline_kernelINS0_13select_configILj256ELj13ELNS0_17block_load_methodE3ELS4_3ELS4_3ELNS0_20block_scan_algorithmE0ELj4294967295EEENS1_25partition_config_selectorILNS1_17partition_subalgoE4EjNS0_10empty_typeEbEEZZNS1_14partition_implILS8_4ELb0ES6_15HIP_vector_typeIjLj2EENS0_17counting_iteratorIjlEEPS9_SG_NS0_5tupleIJPjSI_NS0_16reverse_iteratorISI_EEEEENSH_IJSG_SG_SG_EEES9_SI_JZNS1_25segmented_radix_sort_implINS0_14default_configELb1EPKfPfPKlPlN2at6native12_GLOBAL__N_18offset_tEEE10hipError_tPvRmT1_PNSt15iterator_traitsIS12_E10value_typeET2_T3_PNS13_IS18_E10value_typeET4_jRbjT5_S1E_jjP12ihipStream_tbEUljE_ZNSN_ISO_Lb1ESQ_SR_ST_SU_SY_EESZ_S10_S11_S12_S16_S17_S18_S1B_S1C_jS1D_jS1E_S1E_jjS1G_bEUljE0_EEESZ_S10_S11_S18_S1C_S1E_T6_T7_T9_mT8_S1G_bDpT10_ENKUlT_T0_E_clISt17integral_constantIbLb1EES1T_IbLb0EEEEDaS1P_S1Q_EUlS1P_E_NS1_11comp_targetILNS1_3genE8ELNS1_11target_archE1030ELNS1_3gpuE2ELNS1_3repE0EEENS1_30default_config_static_selectorELNS0_4arch9wavefront6targetE0EEEvS12_.uses_flat_scratch, 0
	.set _ZN7rocprim17ROCPRIM_400000_NS6detail17trampoline_kernelINS0_13select_configILj256ELj13ELNS0_17block_load_methodE3ELS4_3ELS4_3ELNS0_20block_scan_algorithmE0ELj4294967295EEENS1_25partition_config_selectorILNS1_17partition_subalgoE4EjNS0_10empty_typeEbEEZZNS1_14partition_implILS8_4ELb0ES6_15HIP_vector_typeIjLj2EENS0_17counting_iteratorIjlEEPS9_SG_NS0_5tupleIJPjSI_NS0_16reverse_iteratorISI_EEEEENSH_IJSG_SG_SG_EEES9_SI_JZNS1_25segmented_radix_sort_implINS0_14default_configELb1EPKfPfPKlPlN2at6native12_GLOBAL__N_18offset_tEEE10hipError_tPvRmT1_PNSt15iterator_traitsIS12_E10value_typeET2_T3_PNS13_IS18_E10value_typeET4_jRbjT5_S1E_jjP12ihipStream_tbEUljE_ZNSN_ISO_Lb1ESQ_SR_ST_SU_SY_EESZ_S10_S11_S12_S16_S17_S18_S1B_S1C_jS1D_jS1E_S1E_jjS1G_bEUljE0_EEESZ_S10_S11_S18_S1C_S1E_T6_T7_T9_mT8_S1G_bDpT10_ENKUlT_T0_E_clISt17integral_constantIbLb1EES1T_IbLb0EEEEDaS1P_S1Q_EUlS1P_E_NS1_11comp_targetILNS1_3genE8ELNS1_11target_archE1030ELNS1_3gpuE2ELNS1_3repE0EEENS1_30default_config_static_selectorELNS0_4arch9wavefront6targetE0EEEvS12_.has_dyn_sized_stack, 0
	.set _ZN7rocprim17ROCPRIM_400000_NS6detail17trampoline_kernelINS0_13select_configILj256ELj13ELNS0_17block_load_methodE3ELS4_3ELS4_3ELNS0_20block_scan_algorithmE0ELj4294967295EEENS1_25partition_config_selectorILNS1_17partition_subalgoE4EjNS0_10empty_typeEbEEZZNS1_14partition_implILS8_4ELb0ES6_15HIP_vector_typeIjLj2EENS0_17counting_iteratorIjlEEPS9_SG_NS0_5tupleIJPjSI_NS0_16reverse_iteratorISI_EEEEENSH_IJSG_SG_SG_EEES9_SI_JZNS1_25segmented_radix_sort_implINS0_14default_configELb1EPKfPfPKlPlN2at6native12_GLOBAL__N_18offset_tEEE10hipError_tPvRmT1_PNSt15iterator_traitsIS12_E10value_typeET2_T3_PNS13_IS18_E10value_typeET4_jRbjT5_S1E_jjP12ihipStream_tbEUljE_ZNSN_ISO_Lb1ESQ_SR_ST_SU_SY_EESZ_S10_S11_S12_S16_S17_S18_S1B_S1C_jS1D_jS1E_S1E_jjS1G_bEUljE0_EEESZ_S10_S11_S18_S1C_S1E_T6_T7_T9_mT8_S1G_bDpT10_ENKUlT_T0_E_clISt17integral_constantIbLb1EES1T_IbLb0EEEEDaS1P_S1Q_EUlS1P_E_NS1_11comp_targetILNS1_3genE8ELNS1_11target_archE1030ELNS1_3gpuE2ELNS1_3repE0EEENS1_30default_config_static_selectorELNS0_4arch9wavefront6targetE0EEEvS12_.has_recursion, 0
	.set _ZN7rocprim17ROCPRIM_400000_NS6detail17trampoline_kernelINS0_13select_configILj256ELj13ELNS0_17block_load_methodE3ELS4_3ELS4_3ELNS0_20block_scan_algorithmE0ELj4294967295EEENS1_25partition_config_selectorILNS1_17partition_subalgoE4EjNS0_10empty_typeEbEEZZNS1_14partition_implILS8_4ELb0ES6_15HIP_vector_typeIjLj2EENS0_17counting_iteratorIjlEEPS9_SG_NS0_5tupleIJPjSI_NS0_16reverse_iteratorISI_EEEEENSH_IJSG_SG_SG_EEES9_SI_JZNS1_25segmented_radix_sort_implINS0_14default_configELb1EPKfPfPKlPlN2at6native12_GLOBAL__N_18offset_tEEE10hipError_tPvRmT1_PNSt15iterator_traitsIS12_E10value_typeET2_T3_PNS13_IS18_E10value_typeET4_jRbjT5_S1E_jjP12ihipStream_tbEUljE_ZNSN_ISO_Lb1ESQ_SR_ST_SU_SY_EESZ_S10_S11_S12_S16_S17_S18_S1B_S1C_jS1D_jS1E_S1E_jjS1G_bEUljE0_EEESZ_S10_S11_S18_S1C_S1E_T6_T7_T9_mT8_S1G_bDpT10_ENKUlT_T0_E_clISt17integral_constantIbLb1EES1T_IbLb0EEEEDaS1P_S1Q_EUlS1P_E_NS1_11comp_targetILNS1_3genE8ELNS1_11target_archE1030ELNS1_3gpuE2ELNS1_3repE0EEENS1_30default_config_static_selectorELNS0_4arch9wavefront6targetE0EEEvS12_.has_indirect_call, 0
	.section	.AMDGPU.csdata,"",@progbits
; Kernel info:
; codeLenInByte = 4
; TotalNumSgprs: 0
; NumVgprs: 0
; ScratchSize: 0
; MemoryBound: 0
; FloatMode: 240
; IeeeMode: 1
; LDSByteSize: 0 bytes/workgroup (compile time only)
; SGPRBlocks: 0
; VGPRBlocks: 0
; NumSGPRsForWavesPerEU: 1
; NumVGPRsForWavesPerEU: 1
; Occupancy: 16
; WaveLimiterHint : 0
; COMPUTE_PGM_RSRC2:SCRATCH_EN: 0
; COMPUTE_PGM_RSRC2:USER_SGPR: 6
; COMPUTE_PGM_RSRC2:TRAP_HANDLER: 0
; COMPUTE_PGM_RSRC2:TGID_X_EN: 1
; COMPUTE_PGM_RSRC2:TGID_Y_EN: 0
; COMPUTE_PGM_RSRC2:TGID_Z_EN: 0
; COMPUTE_PGM_RSRC2:TIDIG_COMP_CNT: 0
	.section	.text._ZN7rocprim17ROCPRIM_400000_NS6detail17trampoline_kernelINS0_13select_configILj256ELj13ELNS0_17block_load_methodE3ELS4_3ELS4_3ELNS0_20block_scan_algorithmE0ELj4294967295EEENS1_25partition_config_selectorILNS1_17partition_subalgoE4EjNS0_10empty_typeEbEEZZNS1_14partition_implILS8_4ELb0ES6_15HIP_vector_typeIjLj2EENS0_17counting_iteratorIjlEEPS9_SG_NS0_5tupleIJPjSI_NS0_16reverse_iteratorISI_EEEEENSH_IJSG_SG_SG_EEES9_SI_JZNS1_25segmented_radix_sort_implINS0_14default_configELb1EPKfPfPKlPlN2at6native12_GLOBAL__N_18offset_tEEE10hipError_tPvRmT1_PNSt15iterator_traitsIS12_E10value_typeET2_T3_PNS13_IS18_E10value_typeET4_jRbjT5_S1E_jjP12ihipStream_tbEUljE_ZNSN_ISO_Lb1ESQ_SR_ST_SU_SY_EESZ_S10_S11_S12_S16_S17_S18_S1B_S1C_jS1D_jS1E_S1E_jjS1G_bEUljE0_EEESZ_S10_S11_S18_S1C_S1E_T6_T7_T9_mT8_S1G_bDpT10_ENKUlT_T0_E_clISt17integral_constantIbLb0EES1T_IbLb1EEEEDaS1P_S1Q_EUlS1P_E_NS1_11comp_targetILNS1_3genE0ELNS1_11target_archE4294967295ELNS1_3gpuE0ELNS1_3repE0EEENS1_30default_config_static_selectorELNS0_4arch9wavefront6targetE0EEEvS12_,"axG",@progbits,_ZN7rocprim17ROCPRIM_400000_NS6detail17trampoline_kernelINS0_13select_configILj256ELj13ELNS0_17block_load_methodE3ELS4_3ELS4_3ELNS0_20block_scan_algorithmE0ELj4294967295EEENS1_25partition_config_selectorILNS1_17partition_subalgoE4EjNS0_10empty_typeEbEEZZNS1_14partition_implILS8_4ELb0ES6_15HIP_vector_typeIjLj2EENS0_17counting_iteratorIjlEEPS9_SG_NS0_5tupleIJPjSI_NS0_16reverse_iteratorISI_EEEEENSH_IJSG_SG_SG_EEES9_SI_JZNS1_25segmented_radix_sort_implINS0_14default_configELb1EPKfPfPKlPlN2at6native12_GLOBAL__N_18offset_tEEE10hipError_tPvRmT1_PNSt15iterator_traitsIS12_E10value_typeET2_T3_PNS13_IS18_E10value_typeET4_jRbjT5_S1E_jjP12ihipStream_tbEUljE_ZNSN_ISO_Lb1ESQ_SR_ST_SU_SY_EESZ_S10_S11_S12_S16_S17_S18_S1B_S1C_jS1D_jS1E_S1E_jjS1G_bEUljE0_EEESZ_S10_S11_S18_S1C_S1E_T6_T7_T9_mT8_S1G_bDpT10_ENKUlT_T0_E_clISt17integral_constantIbLb0EES1T_IbLb1EEEEDaS1P_S1Q_EUlS1P_E_NS1_11comp_targetILNS1_3genE0ELNS1_11target_archE4294967295ELNS1_3gpuE0ELNS1_3repE0EEENS1_30default_config_static_selectorELNS0_4arch9wavefront6targetE0EEEvS12_,comdat
	.globl	_ZN7rocprim17ROCPRIM_400000_NS6detail17trampoline_kernelINS0_13select_configILj256ELj13ELNS0_17block_load_methodE3ELS4_3ELS4_3ELNS0_20block_scan_algorithmE0ELj4294967295EEENS1_25partition_config_selectorILNS1_17partition_subalgoE4EjNS0_10empty_typeEbEEZZNS1_14partition_implILS8_4ELb0ES6_15HIP_vector_typeIjLj2EENS0_17counting_iteratorIjlEEPS9_SG_NS0_5tupleIJPjSI_NS0_16reverse_iteratorISI_EEEEENSH_IJSG_SG_SG_EEES9_SI_JZNS1_25segmented_radix_sort_implINS0_14default_configELb1EPKfPfPKlPlN2at6native12_GLOBAL__N_18offset_tEEE10hipError_tPvRmT1_PNSt15iterator_traitsIS12_E10value_typeET2_T3_PNS13_IS18_E10value_typeET4_jRbjT5_S1E_jjP12ihipStream_tbEUljE_ZNSN_ISO_Lb1ESQ_SR_ST_SU_SY_EESZ_S10_S11_S12_S16_S17_S18_S1B_S1C_jS1D_jS1E_S1E_jjS1G_bEUljE0_EEESZ_S10_S11_S18_S1C_S1E_T6_T7_T9_mT8_S1G_bDpT10_ENKUlT_T0_E_clISt17integral_constantIbLb0EES1T_IbLb1EEEEDaS1P_S1Q_EUlS1P_E_NS1_11comp_targetILNS1_3genE0ELNS1_11target_archE4294967295ELNS1_3gpuE0ELNS1_3repE0EEENS1_30default_config_static_selectorELNS0_4arch9wavefront6targetE0EEEvS12_ ; -- Begin function _ZN7rocprim17ROCPRIM_400000_NS6detail17trampoline_kernelINS0_13select_configILj256ELj13ELNS0_17block_load_methodE3ELS4_3ELS4_3ELNS0_20block_scan_algorithmE0ELj4294967295EEENS1_25partition_config_selectorILNS1_17partition_subalgoE4EjNS0_10empty_typeEbEEZZNS1_14partition_implILS8_4ELb0ES6_15HIP_vector_typeIjLj2EENS0_17counting_iteratorIjlEEPS9_SG_NS0_5tupleIJPjSI_NS0_16reverse_iteratorISI_EEEEENSH_IJSG_SG_SG_EEES9_SI_JZNS1_25segmented_radix_sort_implINS0_14default_configELb1EPKfPfPKlPlN2at6native12_GLOBAL__N_18offset_tEEE10hipError_tPvRmT1_PNSt15iterator_traitsIS12_E10value_typeET2_T3_PNS13_IS18_E10value_typeET4_jRbjT5_S1E_jjP12ihipStream_tbEUljE_ZNSN_ISO_Lb1ESQ_SR_ST_SU_SY_EESZ_S10_S11_S12_S16_S17_S18_S1B_S1C_jS1D_jS1E_S1E_jjS1G_bEUljE0_EEESZ_S10_S11_S18_S1C_S1E_T6_T7_T9_mT8_S1G_bDpT10_ENKUlT_T0_E_clISt17integral_constantIbLb0EES1T_IbLb1EEEEDaS1P_S1Q_EUlS1P_E_NS1_11comp_targetILNS1_3genE0ELNS1_11target_archE4294967295ELNS1_3gpuE0ELNS1_3repE0EEENS1_30default_config_static_selectorELNS0_4arch9wavefront6targetE0EEEvS12_
	.p2align	8
	.type	_ZN7rocprim17ROCPRIM_400000_NS6detail17trampoline_kernelINS0_13select_configILj256ELj13ELNS0_17block_load_methodE3ELS4_3ELS4_3ELNS0_20block_scan_algorithmE0ELj4294967295EEENS1_25partition_config_selectorILNS1_17partition_subalgoE4EjNS0_10empty_typeEbEEZZNS1_14partition_implILS8_4ELb0ES6_15HIP_vector_typeIjLj2EENS0_17counting_iteratorIjlEEPS9_SG_NS0_5tupleIJPjSI_NS0_16reverse_iteratorISI_EEEEENSH_IJSG_SG_SG_EEES9_SI_JZNS1_25segmented_radix_sort_implINS0_14default_configELb1EPKfPfPKlPlN2at6native12_GLOBAL__N_18offset_tEEE10hipError_tPvRmT1_PNSt15iterator_traitsIS12_E10value_typeET2_T3_PNS13_IS18_E10value_typeET4_jRbjT5_S1E_jjP12ihipStream_tbEUljE_ZNSN_ISO_Lb1ESQ_SR_ST_SU_SY_EESZ_S10_S11_S12_S16_S17_S18_S1B_S1C_jS1D_jS1E_S1E_jjS1G_bEUljE0_EEESZ_S10_S11_S18_S1C_S1E_T6_T7_T9_mT8_S1G_bDpT10_ENKUlT_T0_E_clISt17integral_constantIbLb0EES1T_IbLb1EEEEDaS1P_S1Q_EUlS1P_E_NS1_11comp_targetILNS1_3genE0ELNS1_11target_archE4294967295ELNS1_3gpuE0ELNS1_3repE0EEENS1_30default_config_static_selectorELNS0_4arch9wavefront6targetE0EEEvS12_,@function
_ZN7rocprim17ROCPRIM_400000_NS6detail17trampoline_kernelINS0_13select_configILj256ELj13ELNS0_17block_load_methodE3ELS4_3ELS4_3ELNS0_20block_scan_algorithmE0ELj4294967295EEENS1_25partition_config_selectorILNS1_17partition_subalgoE4EjNS0_10empty_typeEbEEZZNS1_14partition_implILS8_4ELb0ES6_15HIP_vector_typeIjLj2EENS0_17counting_iteratorIjlEEPS9_SG_NS0_5tupleIJPjSI_NS0_16reverse_iteratorISI_EEEEENSH_IJSG_SG_SG_EEES9_SI_JZNS1_25segmented_radix_sort_implINS0_14default_configELb1EPKfPfPKlPlN2at6native12_GLOBAL__N_18offset_tEEE10hipError_tPvRmT1_PNSt15iterator_traitsIS12_E10value_typeET2_T3_PNS13_IS18_E10value_typeET4_jRbjT5_S1E_jjP12ihipStream_tbEUljE_ZNSN_ISO_Lb1ESQ_SR_ST_SU_SY_EESZ_S10_S11_S12_S16_S17_S18_S1B_S1C_jS1D_jS1E_S1E_jjS1G_bEUljE0_EEESZ_S10_S11_S18_S1C_S1E_T6_T7_T9_mT8_S1G_bDpT10_ENKUlT_T0_E_clISt17integral_constantIbLb0EES1T_IbLb1EEEEDaS1P_S1Q_EUlS1P_E_NS1_11comp_targetILNS1_3genE0ELNS1_11target_archE4294967295ELNS1_3gpuE0ELNS1_3repE0EEENS1_30default_config_static_selectorELNS0_4arch9wavefront6targetE0EEEvS12_: ; @_ZN7rocprim17ROCPRIM_400000_NS6detail17trampoline_kernelINS0_13select_configILj256ELj13ELNS0_17block_load_methodE3ELS4_3ELS4_3ELNS0_20block_scan_algorithmE0ELj4294967295EEENS1_25partition_config_selectorILNS1_17partition_subalgoE4EjNS0_10empty_typeEbEEZZNS1_14partition_implILS8_4ELb0ES6_15HIP_vector_typeIjLj2EENS0_17counting_iteratorIjlEEPS9_SG_NS0_5tupleIJPjSI_NS0_16reverse_iteratorISI_EEEEENSH_IJSG_SG_SG_EEES9_SI_JZNS1_25segmented_radix_sort_implINS0_14default_configELb1EPKfPfPKlPlN2at6native12_GLOBAL__N_18offset_tEEE10hipError_tPvRmT1_PNSt15iterator_traitsIS12_E10value_typeET2_T3_PNS13_IS18_E10value_typeET4_jRbjT5_S1E_jjP12ihipStream_tbEUljE_ZNSN_ISO_Lb1ESQ_SR_ST_SU_SY_EESZ_S10_S11_S12_S16_S17_S18_S1B_S1C_jS1D_jS1E_S1E_jjS1G_bEUljE0_EEESZ_S10_S11_S18_S1C_S1E_T6_T7_T9_mT8_S1G_bDpT10_ENKUlT_T0_E_clISt17integral_constantIbLb0EES1T_IbLb1EEEEDaS1P_S1Q_EUlS1P_E_NS1_11comp_targetILNS1_3genE0ELNS1_11target_archE4294967295ELNS1_3gpuE0ELNS1_3repE0EEENS1_30default_config_static_selectorELNS0_4arch9wavefront6targetE0EEEvS12_
; %bb.0:
	.section	.rodata,"a",@progbits
	.p2align	6, 0x0
	.amdhsa_kernel _ZN7rocprim17ROCPRIM_400000_NS6detail17trampoline_kernelINS0_13select_configILj256ELj13ELNS0_17block_load_methodE3ELS4_3ELS4_3ELNS0_20block_scan_algorithmE0ELj4294967295EEENS1_25partition_config_selectorILNS1_17partition_subalgoE4EjNS0_10empty_typeEbEEZZNS1_14partition_implILS8_4ELb0ES6_15HIP_vector_typeIjLj2EENS0_17counting_iteratorIjlEEPS9_SG_NS0_5tupleIJPjSI_NS0_16reverse_iteratorISI_EEEEENSH_IJSG_SG_SG_EEES9_SI_JZNS1_25segmented_radix_sort_implINS0_14default_configELb1EPKfPfPKlPlN2at6native12_GLOBAL__N_18offset_tEEE10hipError_tPvRmT1_PNSt15iterator_traitsIS12_E10value_typeET2_T3_PNS13_IS18_E10value_typeET4_jRbjT5_S1E_jjP12ihipStream_tbEUljE_ZNSN_ISO_Lb1ESQ_SR_ST_SU_SY_EESZ_S10_S11_S12_S16_S17_S18_S1B_S1C_jS1D_jS1E_S1E_jjS1G_bEUljE0_EEESZ_S10_S11_S18_S1C_S1E_T6_T7_T9_mT8_S1G_bDpT10_ENKUlT_T0_E_clISt17integral_constantIbLb0EES1T_IbLb1EEEEDaS1P_S1Q_EUlS1P_E_NS1_11comp_targetILNS1_3genE0ELNS1_11target_archE4294967295ELNS1_3gpuE0ELNS1_3repE0EEENS1_30default_config_static_selectorELNS0_4arch9wavefront6targetE0EEEvS12_
		.amdhsa_group_segment_fixed_size 0
		.amdhsa_private_segment_fixed_size 0
		.amdhsa_kernarg_size 184
		.amdhsa_user_sgpr_count 6
		.amdhsa_user_sgpr_private_segment_buffer 1
		.amdhsa_user_sgpr_dispatch_ptr 0
		.amdhsa_user_sgpr_queue_ptr 0
		.amdhsa_user_sgpr_kernarg_segment_ptr 1
		.amdhsa_user_sgpr_dispatch_id 0
		.amdhsa_user_sgpr_flat_scratch_init 0
		.amdhsa_user_sgpr_private_segment_size 0
		.amdhsa_wavefront_size32 1
		.amdhsa_uses_dynamic_stack 0
		.amdhsa_system_sgpr_private_segment_wavefront_offset 0
		.amdhsa_system_sgpr_workgroup_id_x 1
		.amdhsa_system_sgpr_workgroup_id_y 0
		.amdhsa_system_sgpr_workgroup_id_z 0
		.amdhsa_system_sgpr_workgroup_info 0
		.amdhsa_system_vgpr_workitem_id 0
		.amdhsa_next_free_vgpr 1
		.amdhsa_next_free_sgpr 1
		.amdhsa_reserve_vcc 0
		.amdhsa_reserve_flat_scratch 0
		.amdhsa_float_round_mode_32 0
		.amdhsa_float_round_mode_16_64 0
		.amdhsa_float_denorm_mode_32 3
		.amdhsa_float_denorm_mode_16_64 3
		.amdhsa_dx10_clamp 1
		.amdhsa_ieee_mode 1
		.amdhsa_fp16_overflow 0
		.amdhsa_workgroup_processor_mode 1
		.amdhsa_memory_ordered 1
		.amdhsa_forward_progress 1
		.amdhsa_shared_vgpr_count 0
		.amdhsa_exception_fp_ieee_invalid_op 0
		.amdhsa_exception_fp_denorm_src 0
		.amdhsa_exception_fp_ieee_div_zero 0
		.amdhsa_exception_fp_ieee_overflow 0
		.amdhsa_exception_fp_ieee_underflow 0
		.amdhsa_exception_fp_ieee_inexact 0
		.amdhsa_exception_int_div_zero 0
	.end_amdhsa_kernel
	.section	.text._ZN7rocprim17ROCPRIM_400000_NS6detail17trampoline_kernelINS0_13select_configILj256ELj13ELNS0_17block_load_methodE3ELS4_3ELS4_3ELNS0_20block_scan_algorithmE0ELj4294967295EEENS1_25partition_config_selectorILNS1_17partition_subalgoE4EjNS0_10empty_typeEbEEZZNS1_14partition_implILS8_4ELb0ES6_15HIP_vector_typeIjLj2EENS0_17counting_iteratorIjlEEPS9_SG_NS0_5tupleIJPjSI_NS0_16reverse_iteratorISI_EEEEENSH_IJSG_SG_SG_EEES9_SI_JZNS1_25segmented_radix_sort_implINS0_14default_configELb1EPKfPfPKlPlN2at6native12_GLOBAL__N_18offset_tEEE10hipError_tPvRmT1_PNSt15iterator_traitsIS12_E10value_typeET2_T3_PNS13_IS18_E10value_typeET4_jRbjT5_S1E_jjP12ihipStream_tbEUljE_ZNSN_ISO_Lb1ESQ_SR_ST_SU_SY_EESZ_S10_S11_S12_S16_S17_S18_S1B_S1C_jS1D_jS1E_S1E_jjS1G_bEUljE0_EEESZ_S10_S11_S18_S1C_S1E_T6_T7_T9_mT8_S1G_bDpT10_ENKUlT_T0_E_clISt17integral_constantIbLb0EES1T_IbLb1EEEEDaS1P_S1Q_EUlS1P_E_NS1_11comp_targetILNS1_3genE0ELNS1_11target_archE4294967295ELNS1_3gpuE0ELNS1_3repE0EEENS1_30default_config_static_selectorELNS0_4arch9wavefront6targetE0EEEvS12_,"axG",@progbits,_ZN7rocprim17ROCPRIM_400000_NS6detail17trampoline_kernelINS0_13select_configILj256ELj13ELNS0_17block_load_methodE3ELS4_3ELS4_3ELNS0_20block_scan_algorithmE0ELj4294967295EEENS1_25partition_config_selectorILNS1_17partition_subalgoE4EjNS0_10empty_typeEbEEZZNS1_14partition_implILS8_4ELb0ES6_15HIP_vector_typeIjLj2EENS0_17counting_iteratorIjlEEPS9_SG_NS0_5tupleIJPjSI_NS0_16reverse_iteratorISI_EEEEENSH_IJSG_SG_SG_EEES9_SI_JZNS1_25segmented_radix_sort_implINS0_14default_configELb1EPKfPfPKlPlN2at6native12_GLOBAL__N_18offset_tEEE10hipError_tPvRmT1_PNSt15iterator_traitsIS12_E10value_typeET2_T3_PNS13_IS18_E10value_typeET4_jRbjT5_S1E_jjP12ihipStream_tbEUljE_ZNSN_ISO_Lb1ESQ_SR_ST_SU_SY_EESZ_S10_S11_S12_S16_S17_S18_S1B_S1C_jS1D_jS1E_S1E_jjS1G_bEUljE0_EEESZ_S10_S11_S18_S1C_S1E_T6_T7_T9_mT8_S1G_bDpT10_ENKUlT_T0_E_clISt17integral_constantIbLb0EES1T_IbLb1EEEEDaS1P_S1Q_EUlS1P_E_NS1_11comp_targetILNS1_3genE0ELNS1_11target_archE4294967295ELNS1_3gpuE0ELNS1_3repE0EEENS1_30default_config_static_selectorELNS0_4arch9wavefront6targetE0EEEvS12_,comdat
.Lfunc_end1277:
	.size	_ZN7rocprim17ROCPRIM_400000_NS6detail17trampoline_kernelINS0_13select_configILj256ELj13ELNS0_17block_load_methodE3ELS4_3ELS4_3ELNS0_20block_scan_algorithmE0ELj4294967295EEENS1_25partition_config_selectorILNS1_17partition_subalgoE4EjNS0_10empty_typeEbEEZZNS1_14partition_implILS8_4ELb0ES6_15HIP_vector_typeIjLj2EENS0_17counting_iteratorIjlEEPS9_SG_NS0_5tupleIJPjSI_NS0_16reverse_iteratorISI_EEEEENSH_IJSG_SG_SG_EEES9_SI_JZNS1_25segmented_radix_sort_implINS0_14default_configELb1EPKfPfPKlPlN2at6native12_GLOBAL__N_18offset_tEEE10hipError_tPvRmT1_PNSt15iterator_traitsIS12_E10value_typeET2_T3_PNS13_IS18_E10value_typeET4_jRbjT5_S1E_jjP12ihipStream_tbEUljE_ZNSN_ISO_Lb1ESQ_SR_ST_SU_SY_EESZ_S10_S11_S12_S16_S17_S18_S1B_S1C_jS1D_jS1E_S1E_jjS1G_bEUljE0_EEESZ_S10_S11_S18_S1C_S1E_T6_T7_T9_mT8_S1G_bDpT10_ENKUlT_T0_E_clISt17integral_constantIbLb0EES1T_IbLb1EEEEDaS1P_S1Q_EUlS1P_E_NS1_11comp_targetILNS1_3genE0ELNS1_11target_archE4294967295ELNS1_3gpuE0ELNS1_3repE0EEENS1_30default_config_static_selectorELNS0_4arch9wavefront6targetE0EEEvS12_, .Lfunc_end1277-_ZN7rocprim17ROCPRIM_400000_NS6detail17trampoline_kernelINS0_13select_configILj256ELj13ELNS0_17block_load_methodE3ELS4_3ELS4_3ELNS0_20block_scan_algorithmE0ELj4294967295EEENS1_25partition_config_selectorILNS1_17partition_subalgoE4EjNS0_10empty_typeEbEEZZNS1_14partition_implILS8_4ELb0ES6_15HIP_vector_typeIjLj2EENS0_17counting_iteratorIjlEEPS9_SG_NS0_5tupleIJPjSI_NS0_16reverse_iteratorISI_EEEEENSH_IJSG_SG_SG_EEES9_SI_JZNS1_25segmented_radix_sort_implINS0_14default_configELb1EPKfPfPKlPlN2at6native12_GLOBAL__N_18offset_tEEE10hipError_tPvRmT1_PNSt15iterator_traitsIS12_E10value_typeET2_T3_PNS13_IS18_E10value_typeET4_jRbjT5_S1E_jjP12ihipStream_tbEUljE_ZNSN_ISO_Lb1ESQ_SR_ST_SU_SY_EESZ_S10_S11_S12_S16_S17_S18_S1B_S1C_jS1D_jS1E_S1E_jjS1G_bEUljE0_EEESZ_S10_S11_S18_S1C_S1E_T6_T7_T9_mT8_S1G_bDpT10_ENKUlT_T0_E_clISt17integral_constantIbLb0EES1T_IbLb1EEEEDaS1P_S1Q_EUlS1P_E_NS1_11comp_targetILNS1_3genE0ELNS1_11target_archE4294967295ELNS1_3gpuE0ELNS1_3repE0EEENS1_30default_config_static_selectorELNS0_4arch9wavefront6targetE0EEEvS12_
                                        ; -- End function
	.set _ZN7rocprim17ROCPRIM_400000_NS6detail17trampoline_kernelINS0_13select_configILj256ELj13ELNS0_17block_load_methodE3ELS4_3ELS4_3ELNS0_20block_scan_algorithmE0ELj4294967295EEENS1_25partition_config_selectorILNS1_17partition_subalgoE4EjNS0_10empty_typeEbEEZZNS1_14partition_implILS8_4ELb0ES6_15HIP_vector_typeIjLj2EENS0_17counting_iteratorIjlEEPS9_SG_NS0_5tupleIJPjSI_NS0_16reverse_iteratorISI_EEEEENSH_IJSG_SG_SG_EEES9_SI_JZNS1_25segmented_radix_sort_implINS0_14default_configELb1EPKfPfPKlPlN2at6native12_GLOBAL__N_18offset_tEEE10hipError_tPvRmT1_PNSt15iterator_traitsIS12_E10value_typeET2_T3_PNS13_IS18_E10value_typeET4_jRbjT5_S1E_jjP12ihipStream_tbEUljE_ZNSN_ISO_Lb1ESQ_SR_ST_SU_SY_EESZ_S10_S11_S12_S16_S17_S18_S1B_S1C_jS1D_jS1E_S1E_jjS1G_bEUljE0_EEESZ_S10_S11_S18_S1C_S1E_T6_T7_T9_mT8_S1G_bDpT10_ENKUlT_T0_E_clISt17integral_constantIbLb0EES1T_IbLb1EEEEDaS1P_S1Q_EUlS1P_E_NS1_11comp_targetILNS1_3genE0ELNS1_11target_archE4294967295ELNS1_3gpuE0ELNS1_3repE0EEENS1_30default_config_static_selectorELNS0_4arch9wavefront6targetE0EEEvS12_.num_vgpr, 0
	.set _ZN7rocprim17ROCPRIM_400000_NS6detail17trampoline_kernelINS0_13select_configILj256ELj13ELNS0_17block_load_methodE3ELS4_3ELS4_3ELNS0_20block_scan_algorithmE0ELj4294967295EEENS1_25partition_config_selectorILNS1_17partition_subalgoE4EjNS0_10empty_typeEbEEZZNS1_14partition_implILS8_4ELb0ES6_15HIP_vector_typeIjLj2EENS0_17counting_iteratorIjlEEPS9_SG_NS0_5tupleIJPjSI_NS0_16reverse_iteratorISI_EEEEENSH_IJSG_SG_SG_EEES9_SI_JZNS1_25segmented_radix_sort_implINS0_14default_configELb1EPKfPfPKlPlN2at6native12_GLOBAL__N_18offset_tEEE10hipError_tPvRmT1_PNSt15iterator_traitsIS12_E10value_typeET2_T3_PNS13_IS18_E10value_typeET4_jRbjT5_S1E_jjP12ihipStream_tbEUljE_ZNSN_ISO_Lb1ESQ_SR_ST_SU_SY_EESZ_S10_S11_S12_S16_S17_S18_S1B_S1C_jS1D_jS1E_S1E_jjS1G_bEUljE0_EEESZ_S10_S11_S18_S1C_S1E_T6_T7_T9_mT8_S1G_bDpT10_ENKUlT_T0_E_clISt17integral_constantIbLb0EES1T_IbLb1EEEEDaS1P_S1Q_EUlS1P_E_NS1_11comp_targetILNS1_3genE0ELNS1_11target_archE4294967295ELNS1_3gpuE0ELNS1_3repE0EEENS1_30default_config_static_selectorELNS0_4arch9wavefront6targetE0EEEvS12_.num_agpr, 0
	.set _ZN7rocprim17ROCPRIM_400000_NS6detail17trampoline_kernelINS0_13select_configILj256ELj13ELNS0_17block_load_methodE3ELS4_3ELS4_3ELNS0_20block_scan_algorithmE0ELj4294967295EEENS1_25partition_config_selectorILNS1_17partition_subalgoE4EjNS0_10empty_typeEbEEZZNS1_14partition_implILS8_4ELb0ES6_15HIP_vector_typeIjLj2EENS0_17counting_iteratorIjlEEPS9_SG_NS0_5tupleIJPjSI_NS0_16reverse_iteratorISI_EEEEENSH_IJSG_SG_SG_EEES9_SI_JZNS1_25segmented_radix_sort_implINS0_14default_configELb1EPKfPfPKlPlN2at6native12_GLOBAL__N_18offset_tEEE10hipError_tPvRmT1_PNSt15iterator_traitsIS12_E10value_typeET2_T3_PNS13_IS18_E10value_typeET4_jRbjT5_S1E_jjP12ihipStream_tbEUljE_ZNSN_ISO_Lb1ESQ_SR_ST_SU_SY_EESZ_S10_S11_S12_S16_S17_S18_S1B_S1C_jS1D_jS1E_S1E_jjS1G_bEUljE0_EEESZ_S10_S11_S18_S1C_S1E_T6_T7_T9_mT8_S1G_bDpT10_ENKUlT_T0_E_clISt17integral_constantIbLb0EES1T_IbLb1EEEEDaS1P_S1Q_EUlS1P_E_NS1_11comp_targetILNS1_3genE0ELNS1_11target_archE4294967295ELNS1_3gpuE0ELNS1_3repE0EEENS1_30default_config_static_selectorELNS0_4arch9wavefront6targetE0EEEvS12_.numbered_sgpr, 0
	.set _ZN7rocprim17ROCPRIM_400000_NS6detail17trampoline_kernelINS0_13select_configILj256ELj13ELNS0_17block_load_methodE3ELS4_3ELS4_3ELNS0_20block_scan_algorithmE0ELj4294967295EEENS1_25partition_config_selectorILNS1_17partition_subalgoE4EjNS0_10empty_typeEbEEZZNS1_14partition_implILS8_4ELb0ES6_15HIP_vector_typeIjLj2EENS0_17counting_iteratorIjlEEPS9_SG_NS0_5tupleIJPjSI_NS0_16reverse_iteratorISI_EEEEENSH_IJSG_SG_SG_EEES9_SI_JZNS1_25segmented_radix_sort_implINS0_14default_configELb1EPKfPfPKlPlN2at6native12_GLOBAL__N_18offset_tEEE10hipError_tPvRmT1_PNSt15iterator_traitsIS12_E10value_typeET2_T3_PNS13_IS18_E10value_typeET4_jRbjT5_S1E_jjP12ihipStream_tbEUljE_ZNSN_ISO_Lb1ESQ_SR_ST_SU_SY_EESZ_S10_S11_S12_S16_S17_S18_S1B_S1C_jS1D_jS1E_S1E_jjS1G_bEUljE0_EEESZ_S10_S11_S18_S1C_S1E_T6_T7_T9_mT8_S1G_bDpT10_ENKUlT_T0_E_clISt17integral_constantIbLb0EES1T_IbLb1EEEEDaS1P_S1Q_EUlS1P_E_NS1_11comp_targetILNS1_3genE0ELNS1_11target_archE4294967295ELNS1_3gpuE0ELNS1_3repE0EEENS1_30default_config_static_selectorELNS0_4arch9wavefront6targetE0EEEvS12_.num_named_barrier, 0
	.set _ZN7rocprim17ROCPRIM_400000_NS6detail17trampoline_kernelINS0_13select_configILj256ELj13ELNS0_17block_load_methodE3ELS4_3ELS4_3ELNS0_20block_scan_algorithmE0ELj4294967295EEENS1_25partition_config_selectorILNS1_17partition_subalgoE4EjNS0_10empty_typeEbEEZZNS1_14partition_implILS8_4ELb0ES6_15HIP_vector_typeIjLj2EENS0_17counting_iteratorIjlEEPS9_SG_NS0_5tupleIJPjSI_NS0_16reverse_iteratorISI_EEEEENSH_IJSG_SG_SG_EEES9_SI_JZNS1_25segmented_radix_sort_implINS0_14default_configELb1EPKfPfPKlPlN2at6native12_GLOBAL__N_18offset_tEEE10hipError_tPvRmT1_PNSt15iterator_traitsIS12_E10value_typeET2_T3_PNS13_IS18_E10value_typeET4_jRbjT5_S1E_jjP12ihipStream_tbEUljE_ZNSN_ISO_Lb1ESQ_SR_ST_SU_SY_EESZ_S10_S11_S12_S16_S17_S18_S1B_S1C_jS1D_jS1E_S1E_jjS1G_bEUljE0_EEESZ_S10_S11_S18_S1C_S1E_T6_T7_T9_mT8_S1G_bDpT10_ENKUlT_T0_E_clISt17integral_constantIbLb0EES1T_IbLb1EEEEDaS1P_S1Q_EUlS1P_E_NS1_11comp_targetILNS1_3genE0ELNS1_11target_archE4294967295ELNS1_3gpuE0ELNS1_3repE0EEENS1_30default_config_static_selectorELNS0_4arch9wavefront6targetE0EEEvS12_.private_seg_size, 0
	.set _ZN7rocprim17ROCPRIM_400000_NS6detail17trampoline_kernelINS0_13select_configILj256ELj13ELNS0_17block_load_methodE3ELS4_3ELS4_3ELNS0_20block_scan_algorithmE0ELj4294967295EEENS1_25partition_config_selectorILNS1_17partition_subalgoE4EjNS0_10empty_typeEbEEZZNS1_14partition_implILS8_4ELb0ES6_15HIP_vector_typeIjLj2EENS0_17counting_iteratorIjlEEPS9_SG_NS0_5tupleIJPjSI_NS0_16reverse_iteratorISI_EEEEENSH_IJSG_SG_SG_EEES9_SI_JZNS1_25segmented_radix_sort_implINS0_14default_configELb1EPKfPfPKlPlN2at6native12_GLOBAL__N_18offset_tEEE10hipError_tPvRmT1_PNSt15iterator_traitsIS12_E10value_typeET2_T3_PNS13_IS18_E10value_typeET4_jRbjT5_S1E_jjP12ihipStream_tbEUljE_ZNSN_ISO_Lb1ESQ_SR_ST_SU_SY_EESZ_S10_S11_S12_S16_S17_S18_S1B_S1C_jS1D_jS1E_S1E_jjS1G_bEUljE0_EEESZ_S10_S11_S18_S1C_S1E_T6_T7_T9_mT8_S1G_bDpT10_ENKUlT_T0_E_clISt17integral_constantIbLb0EES1T_IbLb1EEEEDaS1P_S1Q_EUlS1P_E_NS1_11comp_targetILNS1_3genE0ELNS1_11target_archE4294967295ELNS1_3gpuE0ELNS1_3repE0EEENS1_30default_config_static_selectorELNS0_4arch9wavefront6targetE0EEEvS12_.uses_vcc, 0
	.set _ZN7rocprim17ROCPRIM_400000_NS6detail17trampoline_kernelINS0_13select_configILj256ELj13ELNS0_17block_load_methodE3ELS4_3ELS4_3ELNS0_20block_scan_algorithmE0ELj4294967295EEENS1_25partition_config_selectorILNS1_17partition_subalgoE4EjNS0_10empty_typeEbEEZZNS1_14partition_implILS8_4ELb0ES6_15HIP_vector_typeIjLj2EENS0_17counting_iteratorIjlEEPS9_SG_NS0_5tupleIJPjSI_NS0_16reverse_iteratorISI_EEEEENSH_IJSG_SG_SG_EEES9_SI_JZNS1_25segmented_radix_sort_implINS0_14default_configELb1EPKfPfPKlPlN2at6native12_GLOBAL__N_18offset_tEEE10hipError_tPvRmT1_PNSt15iterator_traitsIS12_E10value_typeET2_T3_PNS13_IS18_E10value_typeET4_jRbjT5_S1E_jjP12ihipStream_tbEUljE_ZNSN_ISO_Lb1ESQ_SR_ST_SU_SY_EESZ_S10_S11_S12_S16_S17_S18_S1B_S1C_jS1D_jS1E_S1E_jjS1G_bEUljE0_EEESZ_S10_S11_S18_S1C_S1E_T6_T7_T9_mT8_S1G_bDpT10_ENKUlT_T0_E_clISt17integral_constantIbLb0EES1T_IbLb1EEEEDaS1P_S1Q_EUlS1P_E_NS1_11comp_targetILNS1_3genE0ELNS1_11target_archE4294967295ELNS1_3gpuE0ELNS1_3repE0EEENS1_30default_config_static_selectorELNS0_4arch9wavefront6targetE0EEEvS12_.uses_flat_scratch, 0
	.set _ZN7rocprim17ROCPRIM_400000_NS6detail17trampoline_kernelINS0_13select_configILj256ELj13ELNS0_17block_load_methodE3ELS4_3ELS4_3ELNS0_20block_scan_algorithmE0ELj4294967295EEENS1_25partition_config_selectorILNS1_17partition_subalgoE4EjNS0_10empty_typeEbEEZZNS1_14partition_implILS8_4ELb0ES6_15HIP_vector_typeIjLj2EENS0_17counting_iteratorIjlEEPS9_SG_NS0_5tupleIJPjSI_NS0_16reverse_iteratorISI_EEEEENSH_IJSG_SG_SG_EEES9_SI_JZNS1_25segmented_radix_sort_implINS0_14default_configELb1EPKfPfPKlPlN2at6native12_GLOBAL__N_18offset_tEEE10hipError_tPvRmT1_PNSt15iterator_traitsIS12_E10value_typeET2_T3_PNS13_IS18_E10value_typeET4_jRbjT5_S1E_jjP12ihipStream_tbEUljE_ZNSN_ISO_Lb1ESQ_SR_ST_SU_SY_EESZ_S10_S11_S12_S16_S17_S18_S1B_S1C_jS1D_jS1E_S1E_jjS1G_bEUljE0_EEESZ_S10_S11_S18_S1C_S1E_T6_T7_T9_mT8_S1G_bDpT10_ENKUlT_T0_E_clISt17integral_constantIbLb0EES1T_IbLb1EEEEDaS1P_S1Q_EUlS1P_E_NS1_11comp_targetILNS1_3genE0ELNS1_11target_archE4294967295ELNS1_3gpuE0ELNS1_3repE0EEENS1_30default_config_static_selectorELNS0_4arch9wavefront6targetE0EEEvS12_.has_dyn_sized_stack, 0
	.set _ZN7rocprim17ROCPRIM_400000_NS6detail17trampoline_kernelINS0_13select_configILj256ELj13ELNS0_17block_load_methodE3ELS4_3ELS4_3ELNS0_20block_scan_algorithmE0ELj4294967295EEENS1_25partition_config_selectorILNS1_17partition_subalgoE4EjNS0_10empty_typeEbEEZZNS1_14partition_implILS8_4ELb0ES6_15HIP_vector_typeIjLj2EENS0_17counting_iteratorIjlEEPS9_SG_NS0_5tupleIJPjSI_NS0_16reverse_iteratorISI_EEEEENSH_IJSG_SG_SG_EEES9_SI_JZNS1_25segmented_radix_sort_implINS0_14default_configELb1EPKfPfPKlPlN2at6native12_GLOBAL__N_18offset_tEEE10hipError_tPvRmT1_PNSt15iterator_traitsIS12_E10value_typeET2_T3_PNS13_IS18_E10value_typeET4_jRbjT5_S1E_jjP12ihipStream_tbEUljE_ZNSN_ISO_Lb1ESQ_SR_ST_SU_SY_EESZ_S10_S11_S12_S16_S17_S18_S1B_S1C_jS1D_jS1E_S1E_jjS1G_bEUljE0_EEESZ_S10_S11_S18_S1C_S1E_T6_T7_T9_mT8_S1G_bDpT10_ENKUlT_T0_E_clISt17integral_constantIbLb0EES1T_IbLb1EEEEDaS1P_S1Q_EUlS1P_E_NS1_11comp_targetILNS1_3genE0ELNS1_11target_archE4294967295ELNS1_3gpuE0ELNS1_3repE0EEENS1_30default_config_static_selectorELNS0_4arch9wavefront6targetE0EEEvS12_.has_recursion, 0
	.set _ZN7rocprim17ROCPRIM_400000_NS6detail17trampoline_kernelINS0_13select_configILj256ELj13ELNS0_17block_load_methodE3ELS4_3ELS4_3ELNS0_20block_scan_algorithmE0ELj4294967295EEENS1_25partition_config_selectorILNS1_17partition_subalgoE4EjNS0_10empty_typeEbEEZZNS1_14partition_implILS8_4ELb0ES6_15HIP_vector_typeIjLj2EENS0_17counting_iteratorIjlEEPS9_SG_NS0_5tupleIJPjSI_NS0_16reverse_iteratorISI_EEEEENSH_IJSG_SG_SG_EEES9_SI_JZNS1_25segmented_radix_sort_implINS0_14default_configELb1EPKfPfPKlPlN2at6native12_GLOBAL__N_18offset_tEEE10hipError_tPvRmT1_PNSt15iterator_traitsIS12_E10value_typeET2_T3_PNS13_IS18_E10value_typeET4_jRbjT5_S1E_jjP12ihipStream_tbEUljE_ZNSN_ISO_Lb1ESQ_SR_ST_SU_SY_EESZ_S10_S11_S12_S16_S17_S18_S1B_S1C_jS1D_jS1E_S1E_jjS1G_bEUljE0_EEESZ_S10_S11_S18_S1C_S1E_T6_T7_T9_mT8_S1G_bDpT10_ENKUlT_T0_E_clISt17integral_constantIbLb0EES1T_IbLb1EEEEDaS1P_S1Q_EUlS1P_E_NS1_11comp_targetILNS1_3genE0ELNS1_11target_archE4294967295ELNS1_3gpuE0ELNS1_3repE0EEENS1_30default_config_static_selectorELNS0_4arch9wavefront6targetE0EEEvS12_.has_indirect_call, 0
	.section	.AMDGPU.csdata,"",@progbits
; Kernel info:
; codeLenInByte = 0
; TotalNumSgprs: 0
; NumVgprs: 0
; ScratchSize: 0
; MemoryBound: 0
; FloatMode: 240
; IeeeMode: 1
; LDSByteSize: 0 bytes/workgroup (compile time only)
; SGPRBlocks: 0
; VGPRBlocks: 0
; NumSGPRsForWavesPerEU: 1
; NumVGPRsForWavesPerEU: 1
; Occupancy: 16
; WaveLimiterHint : 0
; COMPUTE_PGM_RSRC2:SCRATCH_EN: 0
; COMPUTE_PGM_RSRC2:USER_SGPR: 6
; COMPUTE_PGM_RSRC2:TRAP_HANDLER: 0
; COMPUTE_PGM_RSRC2:TGID_X_EN: 1
; COMPUTE_PGM_RSRC2:TGID_Y_EN: 0
; COMPUTE_PGM_RSRC2:TGID_Z_EN: 0
; COMPUTE_PGM_RSRC2:TIDIG_COMP_CNT: 0
	.section	.text._ZN7rocprim17ROCPRIM_400000_NS6detail17trampoline_kernelINS0_13select_configILj256ELj13ELNS0_17block_load_methodE3ELS4_3ELS4_3ELNS0_20block_scan_algorithmE0ELj4294967295EEENS1_25partition_config_selectorILNS1_17partition_subalgoE4EjNS0_10empty_typeEbEEZZNS1_14partition_implILS8_4ELb0ES6_15HIP_vector_typeIjLj2EENS0_17counting_iteratorIjlEEPS9_SG_NS0_5tupleIJPjSI_NS0_16reverse_iteratorISI_EEEEENSH_IJSG_SG_SG_EEES9_SI_JZNS1_25segmented_radix_sort_implINS0_14default_configELb1EPKfPfPKlPlN2at6native12_GLOBAL__N_18offset_tEEE10hipError_tPvRmT1_PNSt15iterator_traitsIS12_E10value_typeET2_T3_PNS13_IS18_E10value_typeET4_jRbjT5_S1E_jjP12ihipStream_tbEUljE_ZNSN_ISO_Lb1ESQ_SR_ST_SU_SY_EESZ_S10_S11_S12_S16_S17_S18_S1B_S1C_jS1D_jS1E_S1E_jjS1G_bEUljE0_EEESZ_S10_S11_S18_S1C_S1E_T6_T7_T9_mT8_S1G_bDpT10_ENKUlT_T0_E_clISt17integral_constantIbLb0EES1T_IbLb1EEEEDaS1P_S1Q_EUlS1P_E_NS1_11comp_targetILNS1_3genE5ELNS1_11target_archE942ELNS1_3gpuE9ELNS1_3repE0EEENS1_30default_config_static_selectorELNS0_4arch9wavefront6targetE0EEEvS12_,"axG",@progbits,_ZN7rocprim17ROCPRIM_400000_NS6detail17trampoline_kernelINS0_13select_configILj256ELj13ELNS0_17block_load_methodE3ELS4_3ELS4_3ELNS0_20block_scan_algorithmE0ELj4294967295EEENS1_25partition_config_selectorILNS1_17partition_subalgoE4EjNS0_10empty_typeEbEEZZNS1_14partition_implILS8_4ELb0ES6_15HIP_vector_typeIjLj2EENS0_17counting_iteratorIjlEEPS9_SG_NS0_5tupleIJPjSI_NS0_16reverse_iteratorISI_EEEEENSH_IJSG_SG_SG_EEES9_SI_JZNS1_25segmented_radix_sort_implINS0_14default_configELb1EPKfPfPKlPlN2at6native12_GLOBAL__N_18offset_tEEE10hipError_tPvRmT1_PNSt15iterator_traitsIS12_E10value_typeET2_T3_PNS13_IS18_E10value_typeET4_jRbjT5_S1E_jjP12ihipStream_tbEUljE_ZNSN_ISO_Lb1ESQ_SR_ST_SU_SY_EESZ_S10_S11_S12_S16_S17_S18_S1B_S1C_jS1D_jS1E_S1E_jjS1G_bEUljE0_EEESZ_S10_S11_S18_S1C_S1E_T6_T7_T9_mT8_S1G_bDpT10_ENKUlT_T0_E_clISt17integral_constantIbLb0EES1T_IbLb1EEEEDaS1P_S1Q_EUlS1P_E_NS1_11comp_targetILNS1_3genE5ELNS1_11target_archE942ELNS1_3gpuE9ELNS1_3repE0EEENS1_30default_config_static_selectorELNS0_4arch9wavefront6targetE0EEEvS12_,comdat
	.globl	_ZN7rocprim17ROCPRIM_400000_NS6detail17trampoline_kernelINS0_13select_configILj256ELj13ELNS0_17block_load_methodE3ELS4_3ELS4_3ELNS0_20block_scan_algorithmE0ELj4294967295EEENS1_25partition_config_selectorILNS1_17partition_subalgoE4EjNS0_10empty_typeEbEEZZNS1_14partition_implILS8_4ELb0ES6_15HIP_vector_typeIjLj2EENS0_17counting_iteratorIjlEEPS9_SG_NS0_5tupleIJPjSI_NS0_16reverse_iteratorISI_EEEEENSH_IJSG_SG_SG_EEES9_SI_JZNS1_25segmented_radix_sort_implINS0_14default_configELb1EPKfPfPKlPlN2at6native12_GLOBAL__N_18offset_tEEE10hipError_tPvRmT1_PNSt15iterator_traitsIS12_E10value_typeET2_T3_PNS13_IS18_E10value_typeET4_jRbjT5_S1E_jjP12ihipStream_tbEUljE_ZNSN_ISO_Lb1ESQ_SR_ST_SU_SY_EESZ_S10_S11_S12_S16_S17_S18_S1B_S1C_jS1D_jS1E_S1E_jjS1G_bEUljE0_EEESZ_S10_S11_S18_S1C_S1E_T6_T7_T9_mT8_S1G_bDpT10_ENKUlT_T0_E_clISt17integral_constantIbLb0EES1T_IbLb1EEEEDaS1P_S1Q_EUlS1P_E_NS1_11comp_targetILNS1_3genE5ELNS1_11target_archE942ELNS1_3gpuE9ELNS1_3repE0EEENS1_30default_config_static_selectorELNS0_4arch9wavefront6targetE0EEEvS12_ ; -- Begin function _ZN7rocprim17ROCPRIM_400000_NS6detail17trampoline_kernelINS0_13select_configILj256ELj13ELNS0_17block_load_methodE3ELS4_3ELS4_3ELNS0_20block_scan_algorithmE0ELj4294967295EEENS1_25partition_config_selectorILNS1_17partition_subalgoE4EjNS0_10empty_typeEbEEZZNS1_14partition_implILS8_4ELb0ES6_15HIP_vector_typeIjLj2EENS0_17counting_iteratorIjlEEPS9_SG_NS0_5tupleIJPjSI_NS0_16reverse_iteratorISI_EEEEENSH_IJSG_SG_SG_EEES9_SI_JZNS1_25segmented_radix_sort_implINS0_14default_configELb1EPKfPfPKlPlN2at6native12_GLOBAL__N_18offset_tEEE10hipError_tPvRmT1_PNSt15iterator_traitsIS12_E10value_typeET2_T3_PNS13_IS18_E10value_typeET4_jRbjT5_S1E_jjP12ihipStream_tbEUljE_ZNSN_ISO_Lb1ESQ_SR_ST_SU_SY_EESZ_S10_S11_S12_S16_S17_S18_S1B_S1C_jS1D_jS1E_S1E_jjS1G_bEUljE0_EEESZ_S10_S11_S18_S1C_S1E_T6_T7_T9_mT8_S1G_bDpT10_ENKUlT_T0_E_clISt17integral_constantIbLb0EES1T_IbLb1EEEEDaS1P_S1Q_EUlS1P_E_NS1_11comp_targetILNS1_3genE5ELNS1_11target_archE942ELNS1_3gpuE9ELNS1_3repE0EEENS1_30default_config_static_selectorELNS0_4arch9wavefront6targetE0EEEvS12_
	.p2align	8
	.type	_ZN7rocprim17ROCPRIM_400000_NS6detail17trampoline_kernelINS0_13select_configILj256ELj13ELNS0_17block_load_methodE3ELS4_3ELS4_3ELNS0_20block_scan_algorithmE0ELj4294967295EEENS1_25partition_config_selectorILNS1_17partition_subalgoE4EjNS0_10empty_typeEbEEZZNS1_14partition_implILS8_4ELb0ES6_15HIP_vector_typeIjLj2EENS0_17counting_iteratorIjlEEPS9_SG_NS0_5tupleIJPjSI_NS0_16reverse_iteratorISI_EEEEENSH_IJSG_SG_SG_EEES9_SI_JZNS1_25segmented_radix_sort_implINS0_14default_configELb1EPKfPfPKlPlN2at6native12_GLOBAL__N_18offset_tEEE10hipError_tPvRmT1_PNSt15iterator_traitsIS12_E10value_typeET2_T3_PNS13_IS18_E10value_typeET4_jRbjT5_S1E_jjP12ihipStream_tbEUljE_ZNSN_ISO_Lb1ESQ_SR_ST_SU_SY_EESZ_S10_S11_S12_S16_S17_S18_S1B_S1C_jS1D_jS1E_S1E_jjS1G_bEUljE0_EEESZ_S10_S11_S18_S1C_S1E_T6_T7_T9_mT8_S1G_bDpT10_ENKUlT_T0_E_clISt17integral_constantIbLb0EES1T_IbLb1EEEEDaS1P_S1Q_EUlS1P_E_NS1_11comp_targetILNS1_3genE5ELNS1_11target_archE942ELNS1_3gpuE9ELNS1_3repE0EEENS1_30default_config_static_selectorELNS0_4arch9wavefront6targetE0EEEvS12_,@function
_ZN7rocprim17ROCPRIM_400000_NS6detail17trampoline_kernelINS0_13select_configILj256ELj13ELNS0_17block_load_methodE3ELS4_3ELS4_3ELNS0_20block_scan_algorithmE0ELj4294967295EEENS1_25partition_config_selectorILNS1_17partition_subalgoE4EjNS0_10empty_typeEbEEZZNS1_14partition_implILS8_4ELb0ES6_15HIP_vector_typeIjLj2EENS0_17counting_iteratorIjlEEPS9_SG_NS0_5tupleIJPjSI_NS0_16reverse_iteratorISI_EEEEENSH_IJSG_SG_SG_EEES9_SI_JZNS1_25segmented_radix_sort_implINS0_14default_configELb1EPKfPfPKlPlN2at6native12_GLOBAL__N_18offset_tEEE10hipError_tPvRmT1_PNSt15iterator_traitsIS12_E10value_typeET2_T3_PNS13_IS18_E10value_typeET4_jRbjT5_S1E_jjP12ihipStream_tbEUljE_ZNSN_ISO_Lb1ESQ_SR_ST_SU_SY_EESZ_S10_S11_S12_S16_S17_S18_S1B_S1C_jS1D_jS1E_S1E_jjS1G_bEUljE0_EEESZ_S10_S11_S18_S1C_S1E_T6_T7_T9_mT8_S1G_bDpT10_ENKUlT_T0_E_clISt17integral_constantIbLb0EES1T_IbLb1EEEEDaS1P_S1Q_EUlS1P_E_NS1_11comp_targetILNS1_3genE5ELNS1_11target_archE942ELNS1_3gpuE9ELNS1_3repE0EEENS1_30default_config_static_selectorELNS0_4arch9wavefront6targetE0EEEvS12_: ; @_ZN7rocprim17ROCPRIM_400000_NS6detail17trampoline_kernelINS0_13select_configILj256ELj13ELNS0_17block_load_methodE3ELS4_3ELS4_3ELNS0_20block_scan_algorithmE0ELj4294967295EEENS1_25partition_config_selectorILNS1_17partition_subalgoE4EjNS0_10empty_typeEbEEZZNS1_14partition_implILS8_4ELb0ES6_15HIP_vector_typeIjLj2EENS0_17counting_iteratorIjlEEPS9_SG_NS0_5tupleIJPjSI_NS0_16reverse_iteratorISI_EEEEENSH_IJSG_SG_SG_EEES9_SI_JZNS1_25segmented_radix_sort_implINS0_14default_configELb1EPKfPfPKlPlN2at6native12_GLOBAL__N_18offset_tEEE10hipError_tPvRmT1_PNSt15iterator_traitsIS12_E10value_typeET2_T3_PNS13_IS18_E10value_typeET4_jRbjT5_S1E_jjP12ihipStream_tbEUljE_ZNSN_ISO_Lb1ESQ_SR_ST_SU_SY_EESZ_S10_S11_S12_S16_S17_S18_S1B_S1C_jS1D_jS1E_S1E_jjS1G_bEUljE0_EEESZ_S10_S11_S18_S1C_S1E_T6_T7_T9_mT8_S1G_bDpT10_ENKUlT_T0_E_clISt17integral_constantIbLb0EES1T_IbLb1EEEEDaS1P_S1Q_EUlS1P_E_NS1_11comp_targetILNS1_3genE5ELNS1_11target_archE942ELNS1_3gpuE9ELNS1_3repE0EEENS1_30default_config_static_selectorELNS0_4arch9wavefront6targetE0EEEvS12_
; %bb.0:
	.section	.rodata,"a",@progbits
	.p2align	6, 0x0
	.amdhsa_kernel _ZN7rocprim17ROCPRIM_400000_NS6detail17trampoline_kernelINS0_13select_configILj256ELj13ELNS0_17block_load_methodE3ELS4_3ELS4_3ELNS0_20block_scan_algorithmE0ELj4294967295EEENS1_25partition_config_selectorILNS1_17partition_subalgoE4EjNS0_10empty_typeEbEEZZNS1_14partition_implILS8_4ELb0ES6_15HIP_vector_typeIjLj2EENS0_17counting_iteratorIjlEEPS9_SG_NS0_5tupleIJPjSI_NS0_16reverse_iteratorISI_EEEEENSH_IJSG_SG_SG_EEES9_SI_JZNS1_25segmented_radix_sort_implINS0_14default_configELb1EPKfPfPKlPlN2at6native12_GLOBAL__N_18offset_tEEE10hipError_tPvRmT1_PNSt15iterator_traitsIS12_E10value_typeET2_T3_PNS13_IS18_E10value_typeET4_jRbjT5_S1E_jjP12ihipStream_tbEUljE_ZNSN_ISO_Lb1ESQ_SR_ST_SU_SY_EESZ_S10_S11_S12_S16_S17_S18_S1B_S1C_jS1D_jS1E_S1E_jjS1G_bEUljE0_EEESZ_S10_S11_S18_S1C_S1E_T6_T7_T9_mT8_S1G_bDpT10_ENKUlT_T0_E_clISt17integral_constantIbLb0EES1T_IbLb1EEEEDaS1P_S1Q_EUlS1P_E_NS1_11comp_targetILNS1_3genE5ELNS1_11target_archE942ELNS1_3gpuE9ELNS1_3repE0EEENS1_30default_config_static_selectorELNS0_4arch9wavefront6targetE0EEEvS12_
		.amdhsa_group_segment_fixed_size 0
		.amdhsa_private_segment_fixed_size 0
		.amdhsa_kernarg_size 184
		.amdhsa_user_sgpr_count 6
		.amdhsa_user_sgpr_private_segment_buffer 1
		.amdhsa_user_sgpr_dispatch_ptr 0
		.amdhsa_user_sgpr_queue_ptr 0
		.amdhsa_user_sgpr_kernarg_segment_ptr 1
		.amdhsa_user_sgpr_dispatch_id 0
		.amdhsa_user_sgpr_flat_scratch_init 0
		.amdhsa_user_sgpr_private_segment_size 0
		.amdhsa_wavefront_size32 1
		.amdhsa_uses_dynamic_stack 0
		.amdhsa_system_sgpr_private_segment_wavefront_offset 0
		.amdhsa_system_sgpr_workgroup_id_x 1
		.amdhsa_system_sgpr_workgroup_id_y 0
		.amdhsa_system_sgpr_workgroup_id_z 0
		.amdhsa_system_sgpr_workgroup_info 0
		.amdhsa_system_vgpr_workitem_id 0
		.amdhsa_next_free_vgpr 1
		.amdhsa_next_free_sgpr 1
		.amdhsa_reserve_vcc 0
		.amdhsa_reserve_flat_scratch 0
		.amdhsa_float_round_mode_32 0
		.amdhsa_float_round_mode_16_64 0
		.amdhsa_float_denorm_mode_32 3
		.amdhsa_float_denorm_mode_16_64 3
		.amdhsa_dx10_clamp 1
		.amdhsa_ieee_mode 1
		.amdhsa_fp16_overflow 0
		.amdhsa_workgroup_processor_mode 1
		.amdhsa_memory_ordered 1
		.amdhsa_forward_progress 1
		.amdhsa_shared_vgpr_count 0
		.amdhsa_exception_fp_ieee_invalid_op 0
		.amdhsa_exception_fp_denorm_src 0
		.amdhsa_exception_fp_ieee_div_zero 0
		.amdhsa_exception_fp_ieee_overflow 0
		.amdhsa_exception_fp_ieee_underflow 0
		.amdhsa_exception_fp_ieee_inexact 0
		.amdhsa_exception_int_div_zero 0
	.end_amdhsa_kernel
	.section	.text._ZN7rocprim17ROCPRIM_400000_NS6detail17trampoline_kernelINS0_13select_configILj256ELj13ELNS0_17block_load_methodE3ELS4_3ELS4_3ELNS0_20block_scan_algorithmE0ELj4294967295EEENS1_25partition_config_selectorILNS1_17partition_subalgoE4EjNS0_10empty_typeEbEEZZNS1_14partition_implILS8_4ELb0ES6_15HIP_vector_typeIjLj2EENS0_17counting_iteratorIjlEEPS9_SG_NS0_5tupleIJPjSI_NS0_16reverse_iteratorISI_EEEEENSH_IJSG_SG_SG_EEES9_SI_JZNS1_25segmented_radix_sort_implINS0_14default_configELb1EPKfPfPKlPlN2at6native12_GLOBAL__N_18offset_tEEE10hipError_tPvRmT1_PNSt15iterator_traitsIS12_E10value_typeET2_T3_PNS13_IS18_E10value_typeET4_jRbjT5_S1E_jjP12ihipStream_tbEUljE_ZNSN_ISO_Lb1ESQ_SR_ST_SU_SY_EESZ_S10_S11_S12_S16_S17_S18_S1B_S1C_jS1D_jS1E_S1E_jjS1G_bEUljE0_EEESZ_S10_S11_S18_S1C_S1E_T6_T7_T9_mT8_S1G_bDpT10_ENKUlT_T0_E_clISt17integral_constantIbLb0EES1T_IbLb1EEEEDaS1P_S1Q_EUlS1P_E_NS1_11comp_targetILNS1_3genE5ELNS1_11target_archE942ELNS1_3gpuE9ELNS1_3repE0EEENS1_30default_config_static_selectorELNS0_4arch9wavefront6targetE0EEEvS12_,"axG",@progbits,_ZN7rocprim17ROCPRIM_400000_NS6detail17trampoline_kernelINS0_13select_configILj256ELj13ELNS0_17block_load_methodE3ELS4_3ELS4_3ELNS0_20block_scan_algorithmE0ELj4294967295EEENS1_25partition_config_selectorILNS1_17partition_subalgoE4EjNS0_10empty_typeEbEEZZNS1_14partition_implILS8_4ELb0ES6_15HIP_vector_typeIjLj2EENS0_17counting_iteratorIjlEEPS9_SG_NS0_5tupleIJPjSI_NS0_16reverse_iteratorISI_EEEEENSH_IJSG_SG_SG_EEES9_SI_JZNS1_25segmented_radix_sort_implINS0_14default_configELb1EPKfPfPKlPlN2at6native12_GLOBAL__N_18offset_tEEE10hipError_tPvRmT1_PNSt15iterator_traitsIS12_E10value_typeET2_T3_PNS13_IS18_E10value_typeET4_jRbjT5_S1E_jjP12ihipStream_tbEUljE_ZNSN_ISO_Lb1ESQ_SR_ST_SU_SY_EESZ_S10_S11_S12_S16_S17_S18_S1B_S1C_jS1D_jS1E_S1E_jjS1G_bEUljE0_EEESZ_S10_S11_S18_S1C_S1E_T6_T7_T9_mT8_S1G_bDpT10_ENKUlT_T0_E_clISt17integral_constantIbLb0EES1T_IbLb1EEEEDaS1P_S1Q_EUlS1P_E_NS1_11comp_targetILNS1_3genE5ELNS1_11target_archE942ELNS1_3gpuE9ELNS1_3repE0EEENS1_30default_config_static_selectorELNS0_4arch9wavefront6targetE0EEEvS12_,comdat
.Lfunc_end1278:
	.size	_ZN7rocprim17ROCPRIM_400000_NS6detail17trampoline_kernelINS0_13select_configILj256ELj13ELNS0_17block_load_methodE3ELS4_3ELS4_3ELNS0_20block_scan_algorithmE0ELj4294967295EEENS1_25partition_config_selectorILNS1_17partition_subalgoE4EjNS0_10empty_typeEbEEZZNS1_14partition_implILS8_4ELb0ES6_15HIP_vector_typeIjLj2EENS0_17counting_iteratorIjlEEPS9_SG_NS0_5tupleIJPjSI_NS0_16reverse_iteratorISI_EEEEENSH_IJSG_SG_SG_EEES9_SI_JZNS1_25segmented_radix_sort_implINS0_14default_configELb1EPKfPfPKlPlN2at6native12_GLOBAL__N_18offset_tEEE10hipError_tPvRmT1_PNSt15iterator_traitsIS12_E10value_typeET2_T3_PNS13_IS18_E10value_typeET4_jRbjT5_S1E_jjP12ihipStream_tbEUljE_ZNSN_ISO_Lb1ESQ_SR_ST_SU_SY_EESZ_S10_S11_S12_S16_S17_S18_S1B_S1C_jS1D_jS1E_S1E_jjS1G_bEUljE0_EEESZ_S10_S11_S18_S1C_S1E_T6_T7_T9_mT8_S1G_bDpT10_ENKUlT_T0_E_clISt17integral_constantIbLb0EES1T_IbLb1EEEEDaS1P_S1Q_EUlS1P_E_NS1_11comp_targetILNS1_3genE5ELNS1_11target_archE942ELNS1_3gpuE9ELNS1_3repE0EEENS1_30default_config_static_selectorELNS0_4arch9wavefront6targetE0EEEvS12_, .Lfunc_end1278-_ZN7rocprim17ROCPRIM_400000_NS6detail17trampoline_kernelINS0_13select_configILj256ELj13ELNS0_17block_load_methodE3ELS4_3ELS4_3ELNS0_20block_scan_algorithmE0ELj4294967295EEENS1_25partition_config_selectorILNS1_17partition_subalgoE4EjNS0_10empty_typeEbEEZZNS1_14partition_implILS8_4ELb0ES6_15HIP_vector_typeIjLj2EENS0_17counting_iteratorIjlEEPS9_SG_NS0_5tupleIJPjSI_NS0_16reverse_iteratorISI_EEEEENSH_IJSG_SG_SG_EEES9_SI_JZNS1_25segmented_radix_sort_implINS0_14default_configELb1EPKfPfPKlPlN2at6native12_GLOBAL__N_18offset_tEEE10hipError_tPvRmT1_PNSt15iterator_traitsIS12_E10value_typeET2_T3_PNS13_IS18_E10value_typeET4_jRbjT5_S1E_jjP12ihipStream_tbEUljE_ZNSN_ISO_Lb1ESQ_SR_ST_SU_SY_EESZ_S10_S11_S12_S16_S17_S18_S1B_S1C_jS1D_jS1E_S1E_jjS1G_bEUljE0_EEESZ_S10_S11_S18_S1C_S1E_T6_T7_T9_mT8_S1G_bDpT10_ENKUlT_T0_E_clISt17integral_constantIbLb0EES1T_IbLb1EEEEDaS1P_S1Q_EUlS1P_E_NS1_11comp_targetILNS1_3genE5ELNS1_11target_archE942ELNS1_3gpuE9ELNS1_3repE0EEENS1_30default_config_static_selectorELNS0_4arch9wavefront6targetE0EEEvS12_
                                        ; -- End function
	.set _ZN7rocprim17ROCPRIM_400000_NS6detail17trampoline_kernelINS0_13select_configILj256ELj13ELNS0_17block_load_methodE3ELS4_3ELS4_3ELNS0_20block_scan_algorithmE0ELj4294967295EEENS1_25partition_config_selectorILNS1_17partition_subalgoE4EjNS0_10empty_typeEbEEZZNS1_14partition_implILS8_4ELb0ES6_15HIP_vector_typeIjLj2EENS0_17counting_iteratorIjlEEPS9_SG_NS0_5tupleIJPjSI_NS0_16reverse_iteratorISI_EEEEENSH_IJSG_SG_SG_EEES9_SI_JZNS1_25segmented_radix_sort_implINS0_14default_configELb1EPKfPfPKlPlN2at6native12_GLOBAL__N_18offset_tEEE10hipError_tPvRmT1_PNSt15iterator_traitsIS12_E10value_typeET2_T3_PNS13_IS18_E10value_typeET4_jRbjT5_S1E_jjP12ihipStream_tbEUljE_ZNSN_ISO_Lb1ESQ_SR_ST_SU_SY_EESZ_S10_S11_S12_S16_S17_S18_S1B_S1C_jS1D_jS1E_S1E_jjS1G_bEUljE0_EEESZ_S10_S11_S18_S1C_S1E_T6_T7_T9_mT8_S1G_bDpT10_ENKUlT_T0_E_clISt17integral_constantIbLb0EES1T_IbLb1EEEEDaS1P_S1Q_EUlS1P_E_NS1_11comp_targetILNS1_3genE5ELNS1_11target_archE942ELNS1_3gpuE9ELNS1_3repE0EEENS1_30default_config_static_selectorELNS0_4arch9wavefront6targetE0EEEvS12_.num_vgpr, 0
	.set _ZN7rocprim17ROCPRIM_400000_NS6detail17trampoline_kernelINS0_13select_configILj256ELj13ELNS0_17block_load_methodE3ELS4_3ELS4_3ELNS0_20block_scan_algorithmE0ELj4294967295EEENS1_25partition_config_selectorILNS1_17partition_subalgoE4EjNS0_10empty_typeEbEEZZNS1_14partition_implILS8_4ELb0ES6_15HIP_vector_typeIjLj2EENS0_17counting_iteratorIjlEEPS9_SG_NS0_5tupleIJPjSI_NS0_16reverse_iteratorISI_EEEEENSH_IJSG_SG_SG_EEES9_SI_JZNS1_25segmented_radix_sort_implINS0_14default_configELb1EPKfPfPKlPlN2at6native12_GLOBAL__N_18offset_tEEE10hipError_tPvRmT1_PNSt15iterator_traitsIS12_E10value_typeET2_T3_PNS13_IS18_E10value_typeET4_jRbjT5_S1E_jjP12ihipStream_tbEUljE_ZNSN_ISO_Lb1ESQ_SR_ST_SU_SY_EESZ_S10_S11_S12_S16_S17_S18_S1B_S1C_jS1D_jS1E_S1E_jjS1G_bEUljE0_EEESZ_S10_S11_S18_S1C_S1E_T6_T7_T9_mT8_S1G_bDpT10_ENKUlT_T0_E_clISt17integral_constantIbLb0EES1T_IbLb1EEEEDaS1P_S1Q_EUlS1P_E_NS1_11comp_targetILNS1_3genE5ELNS1_11target_archE942ELNS1_3gpuE9ELNS1_3repE0EEENS1_30default_config_static_selectorELNS0_4arch9wavefront6targetE0EEEvS12_.num_agpr, 0
	.set _ZN7rocprim17ROCPRIM_400000_NS6detail17trampoline_kernelINS0_13select_configILj256ELj13ELNS0_17block_load_methodE3ELS4_3ELS4_3ELNS0_20block_scan_algorithmE0ELj4294967295EEENS1_25partition_config_selectorILNS1_17partition_subalgoE4EjNS0_10empty_typeEbEEZZNS1_14partition_implILS8_4ELb0ES6_15HIP_vector_typeIjLj2EENS0_17counting_iteratorIjlEEPS9_SG_NS0_5tupleIJPjSI_NS0_16reverse_iteratorISI_EEEEENSH_IJSG_SG_SG_EEES9_SI_JZNS1_25segmented_radix_sort_implINS0_14default_configELb1EPKfPfPKlPlN2at6native12_GLOBAL__N_18offset_tEEE10hipError_tPvRmT1_PNSt15iterator_traitsIS12_E10value_typeET2_T3_PNS13_IS18_E10value_typeET4_jRbjT5_S1E_jjP12ihipStream_tbEUljE_ZNSN_ISO_Lb1ESQ_SR_ST_SU_SY_EESZ_S10_S11_S12_S16_S17_S18_S1B_S1C_jS1D_jS1E_S1E_jjS1G_bEUljE0_EEESZ_S10_S11_S18_S1C_S1E_T6_T7_T9_mT8_S1G_bDpT10_ENKUlT_T0_E_clISt17integral_constantIbLb0EES1T_IbLb1EEEEDaS1P_S1Q_EUlS1P_E_NS1_11comp_targetILNS1_3genE5ELNS1_11target_archE942ELNS1_3gpuE9ELNS1_3repE0EEENS1_30default_config_static_selectorELNS0_4arch9wavefront6targetE0EEEvS12_.numbered_sgpr, 0
	.set _ZN7rocprim17ROCPRIM_400000_NS6detail17trampoline_kernelINS0_13select_configILj256ELj13ELNS0_17block_load_methodE3ELS4_3ELS4_3ELNS0_20block_scan_algorithmE0ELj4294967295EEENS1_25partition_config_selectorILNS1_17partition_subalgoE4EjNS0_10empty_typeEbEEZZNS1_14partition_implILS8_4ELb0ES6_15HIP_vector_typeIjLj2EENS0_17counting_iteratorIjlEEPS9_SG_NS0_5tupleIJPjSI_NS0_16reverse_iteratorISI_EEEEENSH_IJSG_SG_SG_EEES9_SI_JZNS1_25segmented_radix_sort_implINS0_14default_configELb1EPKfPfPKlPlN2at6native12_GLOBAL__N_18offset_tEEE10hipError_tPvRmT1_PNSt15iterator_traitsIS12_E10value_typeET2_T3_PNS13_IS18_E10value_typeET4_jRbjT5_S1E_jjP12ihipStream_tbEUljE_ZNSN_ISO_Lb1ESQ_SR_ST_SU_SY_EESZ_S10_S11_S12_S16_S17_S18_S1B_S1C_jS1D_jS1E_S1E_jjS1G_bEUljE0_EEESZ_S10_S11_S18_S1C_S1E_T6_T7_T9_mT8_S1G_bDpT10_ENKUlT_T0_E_clISt17integral_constantIbLb0EES1T_IbLb1EEEEDaS1P_S1Q_EUlS1P_E_NS1_11comp_targetILNS1_3genE5ELNS1_11target_archE942ELNS1_3gpuE9ELNS1_3repE0EEENS1_30default_config_static_selectorELNS0_4arch9wavefront6targetE0EEEvS12_.num_named_barrier, 0
	.set _ZN7rocprim17ROCPRIM_400000_NS6detail17trampoline_kernelINS0_13select_configILj256ELj13ELNS0_17block_load_methodE3ELS4_3ELS4_3ELNS0_20block_scan_algorithmE0ELj4294967295EEENS1_25partition_config_selectorILNS1_17partition_subalgoE4EjNS0_10empty_typeEbEEZZNS1_14partition_implILS8_4ELb0ES6_15HIP_vector_typeIjLj2EENS0_17counting_iteratorIjlEEPS9_SG_NS0_5tupleIJPjSI_NS0_16reverse_iteratorISI_EEEEENSH_IJSG_SG_SG_EEES9_SI_JZNS1_25segmented_radix_sort_implINS0_14default_configELb1EPKfPfPKlPlN2at6native12_GLOBAL__N_18offset_tEEE10hipError_tPvRmT1_PNSt15iterator_traitsIS12_E10value_typeET2_T3_PNS13_IS18_E10value_typeET4_jRbjT5_S1E_jjP12ihipStream_tbEUljE_ZNSN_ISO_Lb1ESQ_SR_ST_SU_SY_EESZ_S10_S11_S12_S16_S17_S18_S1B_S1C_jS1D_jS1E_S1E_jjS1G_bEUljE0_EEESZ_S10_S11_S18_S1C_S1E_T6_T7_T9_mT8_S1G_bDpT10_ENKUlT_T0_E_clISt17integral_constantIbLb0EES1T_IbLb1EEEEDaS1P_S1Q_EUlS1P_E_NS1_11comp_targetILNS1_3genE5ELNS1_11target_archE942ELNS1_3gpuE9ELNS1_3repE0EEENS1_30default_config_static_selectorELNS0_4arch9wavefront6targetE0EEEvS12_.private_seg_size, 0
	.set _ZN7rocprim17ROCPRIM_400000_NS6detail17trampoline_kernelINS0_13select_configILj256ELj13ELNS0_17block_load_methodE3ELS4_3ELS4_3ELNS0_20block_scan_algorithmE0ELj4294967295EEENS1_25partition_config_selectorILNS1_17partition_subalgoE4EjNS0_10empty_typeEbEEZZNS1_14partition_implILS8_4ELb0ES6_15HIP_vector_typeIjLj2EENS0_17counting_iteratorIjlEEPS9_SG_NS0_5tupleIJPjSI_NS0_16reverse_iteratorISI_EEEEENSH_IJSG_SG_SG_EEES9_SI_JZNS1_25segmented_radix_sort_implINS0_14default_configELb1EPKfPfPKlPlN2at6native12_GLOBAL__N_18offset_tEEE10hipError_tPvRmT1_PNSt15iterator_traitsIS12_E10value_typeET2_T3_PNS13_IS18_E10value_typeET4_jRbjT5_S1E_jjP12ihipStream_tbEUljE_ZNSN_ISO_Lb1ESQ_SR_ST_SU_SY_EESZ_S10_S11_S12_S16_S17_S18_S1B_S1C_jS1D_jS1E_S1E_jjS1G_bEUljE0_EEESZ_S10_S11_S18_S1C_S1E_T6_T7_T9_mT8_S1G_bDpT10_ENKUlT_T0_E_clISt17integral_constantIbLb0EES1T_IbLb1EEEEDaS1P_S1Q_EUlS1P_E_NS1_11comp_targetILNS1_3genE5ELNS1_11target_archE942ELNS1_3gpuE9ELNS1_3repE0EEENS1_30default_config_static_selectorELNS0_4arch9wavefront6targetE0EEEvS12_.uses_vcc, 0
	.set _ZN7rocprim17ROCPRIM_400000_NS6detail17trampoline_kernelINS0_13select_configILj256ELj13ELNS0_17block_load_methodE3ELS4_3ELS4_3ELNS0_20block_scan_algorithmE0ELj4294967295EEENS1_25partition_config_selectorILNS1_17partition_subalgoE4EjNS0_10empty_typeEbEEZZNS1_14partition_implILS8_4ELb0ES6_15HIP_vector_typeIjLj2EENS0_17counting_iteratorIjlEEPS9_SG_NS0_5tupleIJPjSI_NS0_16reverse_iteratorISI_EEEEENSH_IJSG_SG_SG_EEES9_SI_JZNS1_25segmented_radix_sort_implINS0_14default_configELb1EPKfPfPKlPlN2at6native12_GLOBAL__N_18offset_tEEE10hipError_tPvRmT1_PNSt15iterator_traitsIS12_E10value_typeET2_T3_PNS13_IS18_E10value_typeET4_jRbjT5_S1E_jjP12ihipStream_tbEUljE_ZNSN_ISO_Lb1ESQ_SR_ST_SU_SY_EESZ_S10_S11_S12_S16_S17_S18_S1B_S1C_jS1D_jS1E_S1E_jjS1G_bEUljE0_EEESZ_S10_S11_S18_S1C_S1E_T6_T7_T9_mT8_S1G_bDpT10_ENKUlT_T0_E_clISt17integral_constantIbLb0EES1T_IbLb1EEEEDaS1P_S1Q_EUlS1P_E_NS1_11comp_targetILNS1_3genE5ELNS1_11target_archE942ELNS1_3gpuE9ELNS1_3repE0EEENS1_30default_config_static_selectorELNS0_4arch9wavefront6targetE0EEEvS12_.uses_flat_scratch, 0
	.set _ZN7rocprim17ROCPRIM_400000_NS6detail17trampoline_kernelINS0_13select_configILj256ELj13ELNS0_17block_load_methodE3ELS4_3ELS4_3ELNS0_20block_scan_algorithmE0ELj4294967295EEENS1_25partition_config_selectorILNS1_17partition_subalgoE4EjNS0_10empty_typeEbEEZZNS1_14partition_implILS8_4ELb0ES6_15HIP_vector_typeIjLj2EENS0_17counting_iteratorIjlEEPS9_SG_NS0_5tupleIJPjSI_NS0_16reverse_iteratorISI_EEEEENSH_IJSG_SG_SG_EEES9_SI_JZNS1_25segmented_radix_sort_implINS0_14default_configELb1EPKfPfPKlPlN2at6native12_GLOBAL__N_18offset_tEEE10hipError_tPvRmT1_PNSt15iterator_traitsIS12_E10value_typeET2_T3_PNS13_IS18_E10value_typeET4_jRbjT5_S1E_jjP12ihipStream_tbEUljE_ZNSN_ISO_Lb1ESQ_SR_ST_SU_SY_EESZ_S10_S11_S12_S16_S17_S18_S1B_S1C_jS1D_jS1E_S1E_jjS1G_bEUljE0_EEESZ_S10_S11_S18_S1C_S1E_T6_T7_T9_mT8_S1G_bDpT10_ENKUlT_T0_E_clISt17integral_constantIbLb0EES1T_IbLb1EEEEDaS1P_S1Q_EUlS1P_E_NS1_11comp_targetILNS1_3genE5ELNS1_11target_archE942ELNS1_3gpuE9ELNS1_3repE0EEENS1_30default_config_static_selectorELNS0_4arch9wavefront6targetE0EEEvS12_.has_dyn_sized_stack, 0
	.set _ZN7rocprim17ROCPRIM_400000_NS6detail17trampoline_kernelINS0_13select_configILj256ELj13ELNS0_17block_load_methodE3ELS4_3ELS4_3ELNS0_20block_scan_algorithmE0ELj4294967295EEENS1_25partition_config_selectorILNS1_17partition_subalgoE4EjNS0_10empty_typeEbEEZZNS1_14partition_implILS8_4ELb0ES6_15HIP_vector_typeIjLj2EENS0_17counting_iteratorIjlEEPS9_SG_NS0_5tupleIJPjSI_NS0_16reverse_iteratorISI_EEEEENSH_IJSG_SG_SG_EEES9_SI_JZNS1_25segmented_radix_sort_implINS0_14default_configELb1EPKfPfPKlPlN2at6native12_GLOBAL__N_18offset_tEEE10hipError_tPvRmT1_PNSt15iterator_traitsIS12_E10value_typeET2_T3_PNS13_IS18_E10value_typeET4_jRbjT5_S1E_jjP12ihipStream_tbEUljE_ZNSN_ISO_Lb1ESQ_SR_ST_SU_SY_EESZ_S10_S11_S12_S16_S17_S18_S1B_S1C_jS1D_jS1E_S1E_jjS1G_bEUljE0_EEESZ_S10_S11_S18_S1C_S1E_T6_T7_T9_mT8_S1G_bDpT10_ENKUlT_T0_E_clISt17integral_constantIbLb0EES1T_IbLb1EEEEDaS1P_S1Q_EUlS1P_E_NS1_11comp_targetILNS1_3genE5ELNS1_11target_archE942ELNS1_3gpuE9ELNS1_3repE0EEENS1_30default_config_static_selectorELNS0_4arch9wavefront6targetE0EEEvS12_.has_recursion, 0
	.set _ZN7rocprim17ROCPRIM_400000_NS6detail17trampoline_kernelINS0_13select_configILj256ELj13ELNS0_17block_load_methodE3ELS4_3ELS4_3ELNS0_20block_scan_algorithmE0ELj4294967295EEENS1_25partition_config_selectorILNS1_17partition_subalgoE4EjNS0_10empty_typeEbEEZZNS1_14partition_implILS8_4ELb0ES6_15HIP_vector_typeIjLj2EENS0_17counting_iteratorIjlEEPS9_SG_NS0_5tupleIJPjSI_NS0_16reverse_iteratorISI_EEEEENSH_IJSG_SG_SG_EEES9_SI_JZNS1_25segmented_radix_sort_implINS0_14default_configELb1EPKfPfPKlPlN2at6native12_GLOBAL__N_18offset_tEEE10hipError_tPvRmT1_PNSt15iterator_traitsIS12_E10value_typeET2_T3_PNS13_IS18_E10value_typeET4_jRbjT5_S1E_jjP12ihipStream_tbEUljE_ZNSN_ISO_Lb1ESQ_SR_ST_SU_SY_EESZ_S10_S11_S12_S16_S17_S18_S1B_S1C_jS1D_jS1E_S1E_jjS1G_bEUljE0_EEESZ_S10_S11_S18_S1C_S1E_T6_T7_T9_mT8_S1G_bDpT10_ENKUlT_T0_E_clISt17integral_constantIbLb0EES1T_IbLb1EEEEDaS1P_S1Q_EUlS1P_E_NS1_11comp_targetILNS1_3genE5ELNS1_11target_archE942ELNS1_3gpuE9ELNS1_3repE0EEENS1_30default_config_static_selectorELNS0_4arch9wavefront6targetE0EEEvS12_.has_indirect_call, 0
	.section	.AMDGPU.csdata,"",@progbits
; Kernel info:
; codeLenInByte = 0
; TotalNumSgprs: 0
; NumVgprs: 0
; ScratchSize: 0
; MemoryBound: 0
; FloatMode: 240
; IeeeMode: 1
; LDSByteSize: 0 bytes/workgroup (compile time only)
; SGPRBlocks: 0
; VGPRBlocks: 0
; NumSGPRsForWavesPerEU: 1
; NumVGPRsForWavesPerEU: 1
; Occupancy: 16
; WaveLimiterHint : 0
; COMPUTE_PGM_RSRC2:SCRATCH_EN: 0
; COMPUTE_PGM_RSRC2:USER_SGPR: 6
; COMPUTE_PGM_RSRC2:TRAP_HANDLER: 0
; COMPUTE_PGM_RSRC2:TGID_X_EN: 1
; COMPUTE_PGM_RSRC2:TGID_Y_EN: 0
; COMPUTE_PGM_RSRC2:TGID_Z_EN: 0
; COMPUTE_PGM_RSRC2:TIDIG_COMP_CNT: 0
	.section	.text._ZN7rocprim17ROCPRIM_400000_NS6detail17trampoline_kernelINS0_13select_configILj256ELj13ELNS0_17block_load_methodE3ELS4_3ELS4_3ELNS0_20block_scan_algorithmE0ELj4294967295EEENS1_25partition_config_selectorILNS1_17partition_subalgoE4EjNS0_10empty_typeEbEEZZNS1_14partition_implILS8_4ELb0ES6_15HIP_vector_typeIjLj2EENS0_17counting_iteratorIjlEEPS9_SG_NS0_5tupleIJPjSI_NS0_16reverse_iteratorISI_EEEEENSH_IJSG_SG_SG_EEES9_SI_JZNS1_25segmented_radix_sort_implINS0_14default_configELb1EPKfPfPKlPlN2at6native12_GLOBAL__N_18offset_tEEE10hipError_tPvRmT1_PNSt15iterator_traitsIS12_E10value_typeET2_T3_PNS13_IS18_E10value_typeET4_jRbjT5_S1E_jjP12ihipStream_tbEUljE_ZNSN_ISO_Lb1ESQ_SR_ST_SU_SY_EESZ_S10_S11_S12_S16_S17_S18_S1B_S1C_jS1D_jS1E_S1E_jjS1G_bEUljE0_EEESZ_S10_S11_S18_S1C_S1E_T6_T7_T9_mT8_S1G_bDpT10_ENKUlT_T0_E_clISt17integral_constantIbLb0EES1T_IbLb1EEEEDaS1P_S1Q_EUlS1P_E_NS1_11comp_targetILNS1_3genE4ELNS1_11target_archE910ELNS1_3gpuE8ELNS1_3repE0EEENS1_30default_config_static_selectorELNS0_4arch9wavefront6targetE0EEEvS12_,"axG",@progbits,_ZN7rocprim17ROCPRIM_400000_NS6detail17trampoline_kernelINS0_13select_configILj256ELj13ELNS0_17block_load_methodE3ELS4_3ELS4_3ELNS0_20block_scan_algorithmE0ELj4294967295EEENS1_25partition_config_selectorILNS1_17partition_subalgoE4EjNS0_10empty_typeEbEEZZNS1_14partition_implILS8_4ELb0ES6_15HIP_vector_typeIjLj2EENS0_17counting_iteratorIjlEEPS9_SG_NS0_5tupleIJPjSI_NS0_16reverse_iteratorISI_EEEEENSH_IJSG_SG_SG_EEES9_SI_JZNS1_25segmented_radix_sort_implINS0_14default_configELb1EPKfPfPKlPlN2at6native12_GLOBAL__N_18offset_tEEE10hipError_tPvRmT1_PNSt15iterator_traitsIS12_E10value_typeET2_T3_PNS13_IS18_E10value_typeET4_jRbjT5_S1E_jjP12ihipStream_tbEUljE_ZNSN_ISO_Lb1ESQ_SR_ST_SU_SY_EESZ_S10_S11_S12_S16_S17_S18_S1B_S1C_jS1D_jS1E_S1E_jjS1G_bEUljE0_EEESZ_S10_S11_S18_S1C_S1E_T6_T7_T9_mT8_S1G_bDpT10_ENKUlT_T0_E_clISt17integral_constantIbLb0EES1T_IbLb1EEEEDaS1P_S1Q_EUlS1P_E_NS1_11comp_targetILNS1_3genE4ELNS1_11target_archE910ELNS1_3gpuE8ELNS1_3repE0EEENS1_30default_config_static_selectorELNS0_4arch9wavefront6targetE0EEEvS12_,comdat
	.globl	_ZN7rocprim17ROCPRIM_400000_NS6detail17trampoline_kernelINS0_13select_configILj256ELj13ELNS0_17block_load_methodE3ELS4_3ELS4_3ELNS0_20block_scan_algorithmE0ELj4294967295EEENS1_25partition_config_selectorILNS1_17partition_subalgoE4EjNS0_10empty_typeEbEEZZNS1_14partition_implILS8_4ELb0ES6_15HIP_vector_typeIjLj2EENS0_17counting_iteratorIjlEEPS9_SG_NS0_5tupleIJPjSI_NS0_16reverse_iteratorISI_EEEEENSH_IJSG_SG_SG_EEES9_SI_JZNS1_25segmented_radix_sort_implINS0_14default_configELb1EPKfPfPKlPlN2at6native12_GLOBAL__N_18offset_tEEE10hipError_tPvRmT1_PNSt15iterator_traitsIS12_E10value_typeET2_T3_PNS13_IS18_E10value_typeET4_jRbjT5_S1E_jjP12ihipStream_tbEUljE_ZNSN_ISO_Lb1ESQ_SR_ST_SU_SY_EESZ_S10_S11_S12_S16_S17_S18_S1B_S1C_jS1D_jS1E_S1E_jjS1G_bEUljE0_EEESZ_S10_S11_S18_S1C_S1E_T6_T7_T9_mT8_S1G_bDpT10_ENKUlT_T0_E_clISt17integral_constantIbLb0EES1T_IbLb1EEEEDaS1P_S1Q_EUlS1P_E_NS1_11comp_targetILNS1_3genE4ELNS1_11target_archE910ELNS1_3gpuE8ELNS1_3repE0EEENS1_30default_config_static_selectorELNS0_4arch9wavefront6targetE0EEEvS12_ ; -- Begin function _ZN7rocprim17ROCPRIM_400000_NS6detail17trampoline_kernelINS0_13select_configILj256ELj13ELNS0_17block_load_methodE3ELS4_3ELS4_3ELNS0_20block_scan_algorithmE0ELj4294967295EEENS1_25partition_config_selectorILNS1_17partition_subalgoE4EjNS0_10empty_typeEbEEZZNS1_14partition_implILS8_4ELb0ES6_15HIP_vector_typeIjLj2EENS0_17counting_iteratorIjlEEPS9_SG_NS0_5tupleIJPjSI_NS0_16reverse_iteratorISI_EEEEENSH_IJSG_SG_SG_EEES9_SI_JZNS1_25segmented_radix_sort_implINS0_14default_configELb1EPKfPfPKlPlN2at6native12_GLOBAL__N_18offset_tEEE10hipError_tPvRmT1_PNSt15iterator_traitsIS12_E10value_typeET2_T3_PNS13_IS18_E10value_typeET4_jRbjT5_S1E_jjP12ihipStream_tbEUljE_ZNSN_ISO_Lb1ESQ_SR_ST_SU_SY_EESZ_S10_S11_S12_S16_S17_S18_S1B_S1C_jS1D_jS1E_S1E_jjS1G_bEUljE0_EEESZ_S10_S11_S18_S1C_S1E_T6_T7_T9_mT8_S1G_bDpT10_ENKUlT_T0_E_clISt17integral_constantIbLb0EES1T_IbLb1EEEEDaS1P_S1Q_EUlS1P_E_NS1_11comp_targetILNS1_3genE4ELNS1_11target_archE910ELNS1_3gpuE8ELNS1_3repE0EEENS1_30default_config_static_selectorELNS0_4arch9wavefront6targetE0EEEvS12_
	.p2align	8
	.type	_ZN7rocprim17ROCPRIM_400000_NS6detail17trampoline_kernelINS0_13select_configILj256ELj13ELNS0_17block_load_methodE3ELS4_3ELS4_3ELNS0_20block_scan_algorithmE0ELj4294967295EEENS1_25partition_config_selectorILNS1_17partition_subalgoE4EjNS0_10empty_typeEbEEZZNS1_14partition_implILS8_4ELb0ES6_15HIP_vector_typeIjLj2EENS0_17counting_iteratorIjlEEPS9_SG_NS0_5tupleIJPjSI_NS0_16reverse_iteratorISI_EEEEENSH_IJSG_SG_SG_EEES9_SI_JZNS1_25segmented_radix_sort_implINS0_14default_configELb1EPKfPfPKlPlN2at6native12_GLOBAL__N_18offset_tEEE10hipError_tPvRmT1_PNSt15iterator_traitsIS12_E10value_typeET2_T3_PNS13_IS18_E10value_typeET4_jRbjT5_S1E_jjP12ihipStream_tbEUljE_ZNSN_ISO_Lb1ESQ_SR_ST_SU_SY_EESZ_S10_S11_S12_S16_S17_S18_S1B_S1C_jS1D_jS1E_S1E_jjS1G_bEUljE0_EEESZ_S10_S11_S18_S1C_S1E_T6_T7_T9_mT8_S1G_bDpT10_ENKUlT_T0_E_clISt17integral_constantIbLb0EES1T_IbLb1EEEEDaS1P_S1Q_EUlS1P_E_NS1_11comp_targetILNS1_3genE4ELNS1_11target_archE910ELNS1_3gpuE8ELNS1_3repE0EEENS1_30default_config_static_selectorELNS0_4arch9wavefront6targetE0EEEvS12_,@function
_ZN7rocprim17ROCPRIM_400000_NS6detail17trampoline_kernelINS0_13select_configILj256ELj13ELNS0_17block_load_methodE3ELS4_3ELS4_3ELNS0_20block_scan_algorithmE0ELj4294967295EEENS1_25partition_config_selectorILNS1_17partition_subalgoE4EjNS0_10empty_typeEbEEZZNS1_14partition_implILS8_4ELb0ES6_15HIP_vector_typeIjLj2EENS0_17counting_iteratorIjlEEPS9_SG_NS0_5tupleIJPjSI_NS0_16reverse_iteratorISI_EEEEENSH_IJSG_SG_SG_EEES9_SI_JZNS1_25segmented_radix_sort_implINS0_14default_configELb1EPKfPfPKlPlN2at6native12_GLOBAL__N_18offset_tEEE10hipError_tPvRmT1_PNSt15iterator_traitsIS12_E10value_typeET2_T3_PNS13_IS18_E10value_typeET4_jRbjT5_S1E_jjP12ihipStream_tbEUljE_ZNSN_ISO_Lb1ESQ_SR_ST_SU_SY_EESZ_S10_S11_S12_S16_S17_S18_S1B_S1C_jS1D_jS1E_S1E_jjS1G_bEUljE0_EEESZ_S10_S11_S18_S1C_S1E_T6_T7_T9_mT8_S1G_bDpT10_ENKUlT_T0_E_clISt17integral_constantIbLb0EES1T_IbLb1EEEEDaS1P_S1Q_EUlS1P_E_NS1_11comp_targetILNS1_3genE4ELNS1_11target_archE910ELNS1_3gpuE8ELNS1_3repE0EEENS1_30default_config_static_selectorELNS0_4arch9wavefront6targetE0EEEvS12_: ; @_ZN7rocprim17ROCPRIM_400000_NS6detail17trampoline_kernelINS0_13select_configILj256ELj13ELNS0_17block_load_methodE3ELS4_3ELS4_3ELNS0_20block_scan_algorithmE0ELj4294967295EEENS1_25partition_config_selectorILNS1_17partition_subalgoE4EjNS0_10empty_typeEbEEZZNS1_14partition_implILS8_4ELb0ES6_15HIP_vector_typeIjLj2EENS0_17counting_iteratorIjlEEPS9_SG_NS0_5tupleIJPjSI_NS0_16reverse_iteratorISI_EEEEENSH_IJSG_SG_SG_EEES9_SI_JZNS1_25segmented_radix_sort_implINS0_14default_configELb1EPKfPfPKlPlN2at6native12_GLOBAL__N_18offset_tEEE10hipError_tPvRmT1_PNSt15iterator_traitsIS12_E10value_typeET2_T3_PNS13_IS18_E10value_typeET4_jRbjT5_S1E_jjP12ihipStream_tbEUljE_ZNSN_ISO_Lb1ESQ_SR_ST_SU_SY_EESZ_S10_S11_S12_S16_S17_S18_S1B_S1C_jS1D_jS1E_S1E_jjS1G_bEUljE0_EEESZ_S10_S11_S18_S1C_S1E_T6_T7_T9_mT8_S1G_bDpT10_ENKUlT_T0_E_clISt17integral_constantIbLb0EES1T_IbLb1EEEEDaS1P_S1Q_EUlS1P_E_NS1_11comp_targetILNS1_3genE4ELNS1_11target_archE910ELNS1_3gpuE8ELNS1_3repE0EEENS1_30default_config_static_selectorELNS0_4arch9wavefront6targetE0EEEvS12_
; %bb.0:
	.section	.rodata,"a",@progbits
	.p2align	6, 0x0
	.amdhsa_kernel _ZN7rocprim17ROCPRIM_400000_NS6detail17trampoline_kernelINS0_13select_configILj256ELj13ELNS0_17block_load_methodE3ELS4_3ELS4_3ELNS0_20block_scan_algorithmE0ELj4294967295EEENS1_25partition_config_selectorILNS1_17partition_subalgoE4EjNS0_10empty_typeEbEEZZNS1_14partition_implILS8_4ELb0ES6_15HIP_vector_typeIjLj2EENS0_17counting_iteratorIjlEEPS9_SG_NS0_5tupleIJPjSI_NS0_16reverse_iteratorISI_EEEEENSH_IJSG_SG_SG_EEES9_SI_JZNS1_25segmented_radix_sort_implINS0_14default_configELb1EPKfPfPKlPlN2at6native12_GLOBAL__N_18offset_tEEE10hipError_tPvRmT1_PNSt15iterator_traitsIS12_E10value_typeET2_T3_PNS13_IS18_E10value_typeET4_jRbjT5_S1E_jjP12ihipStream_tbEUljE_ZNSN_ISO_Lb1ESQ_SR_ST_SU_SY_EESZ_S10_S11_S12_S16_S17_S18_S1B_S1C_jS1D_jS1E_S1E_jjS1G_bEUljE0_EEESZ_S10_S11_S18_S1C_S1E_T6_T7_T9_mT8_S1G_bDpT10_ENKUlT_T0_E_clISt17integral_constantIbLb0EES1T_IbLb1EEEEDaS1P_S1Q_EUlS1P_E_NS1_11comp_targetILNS1_3genE4ELNS1_11target_archE910ELNS1_3gpuE8ELNS1_3repE0EEENS1_30default_config_static_selectorELNS0_4arch9wavefront6targetE0EEEvS12_
		.amdhsa_group_segment_fixed_size 0
		.amdhsa_private_segment_fixed_size 0
		.amdhsa_kernarg_size 184
		.amdhsa_user_sgpr_count 6
		.amdhsa_user_sgpr_private_segment_buffer 1
		.amdhsa_user_sgpr_dispatch_ptr 0
		.amdhsa_user_sgpr_queue_ptr 0
		.amdhsa_user_sgpr_kernarg_segment_ptr 1
		.amdhsa_user_sgpr_dispatch_id 0
		.amdhsa_user_sgpr_flat_scratch_init 0
		.amdhsa_user_sgpr_private_segment_size 0
		.amdhsa_wavefront_size32 1
		.amdhsa_uses_dynamic_stack 0
		.amdhsa_system_sgpr_private_segment_wavefront_offset 0
		.amdhsa_system_sgpr_workgroup_id_x 1
		.amdhsa_system_sgpr_workgroup_id_y 0
		.amdhsa_system_sgpr_workgroup_id_z 0
		.amdhsa_system_sgpr_workgroup_info 0
		.amdhsa_system_vgpr_workitem_id 0
		.amdhsa_next_free_vgpr 1
		.amdhsa_next_free_sgpr 1
		.amdhsa_reserve_vcc 0
		.amdhsa_reserve_flat_scratch 0
		.amdhsa_float_round_mode_32 0
		.amdhsa_float_round_mode_16_64 0
		.amdhsa_float_denorm_mode_32 3
		.amdhsa_float_denorm_mode_16_64 3
		.amdhsa_dx10_clamp 1
		.amdhsa_ieee_mode 1
		.amdhsa_fp16_overflow 0
		.amdhsa_workgroup_processor_mode 1
		.amdhsa_memory_ordered 1
		.amdhsa_forward_progress 1
		.amdhsa_shared_vgpr_count 0
		.amdhsa_exception_fp_ieee_invalid_op 0
		.amdhsa_exception_fp_denorm_src 0
		.amdhsa_exception_fp_ieee_div_zero 0
		.amdhsa_exception_fp_ieee_overflow 0
		.amdhsa_exception_fp_ieee_underflow 0
		.amdhsa_exception_fp_ieee_inexact 0
		.amdhsa_exception_int_div_zero 0
	.end_amdhsa_kernel
	.section	.text._ZN7rocprim17ROCPRIM_400000_NS6detail17trampoline_kernelINS0_13select_configILj256ELj13ELNS0_17block_load_methodE3ELS4_3ELS4_3ELNS0_20block_scan_algorithmE0ELj4294967295EEENS1_25partition_config_selectorILNS1_17partition_subalgoE4EjNS0_10empty_typeEbEEZZNS1_14partition_implILS8_4ELb0ES6_15HIP_vector_typeIjLj2EENS0_17counting_iteratorIjlEEPS9_SG_NS0_5tupleIJPjSI_NS0_16reverse_iteratorISI_EEEEENSH_IJSG_SG_SG_EEES9_SI_JZNS1_25segmented_radix_sort_implINS0_14default_configELb1EPKfPfPKlPlN2at6native12_GLOBAL__N_18offset_tEEE10hipError_tPvRmT1_PNSt15iterator_traitsIS12_E10value_typeET2_T3_PNS13_IS18_E10value_typeET4_jRbjT5_S1E_jjP12ihipStream_tbEUljE_ZNSN_ISO_Lb1ESQ_SR_ST_SU_SY_EESZ_S10_S11_S12_S16_S17_S18_S1B_S1C_jS1D_jS1E_S1E_jjS1G_bEUljE0_EEESZ_S10_S11_S18_S1C_S1E_T6_T7_T9_mT8_S1G_bDpT10_ENKUlT_T0_E_clISt17integral_constantIbLb0EES1T_IbLb1EEEEDaS1P_S1Q_EUlS1P_E_NS1_11comp_targetILNS1_3genE4ELNS1_11target_archE910ELNS1_3gpuE8ELNS1_3repE0EEENS1_30default_config_static_selectorELNS0_4arch9wavefront6targetE0EEEvS12_,"axG",@progbits,_ZN7rocprim17ROCPRIM_400000_NS6detail17trampoline_kernelINS0_13select_configILj256ELj13ELNS0_17block_load_methodE3ELS4_3ELS4_3ELNS0_20block_scan_algorithmE0ELj4294967295EEENS1_25partition_config_selectorILNS1_17partition_subalgoE4EjNS0_10empty_typeEbEEZZNS1_14partition_implILS8_4ELb0ES6_15HIP_vector_typeIjLj2EENS0_17counting_iteratorIjlEEPS9_SG_NS0_5tupleIJPjSI_NS0_16reverse_iteratorISI_EEEEENSH_IJSG_SG_SG_EEES9_SI_JZNS1_25segmented_radix_sort_implINS0_14default_configELb1EPKfPfPKlPlN2at6native12_GLOBAL__N_18offset_tEEE10hipError_tPvRmT1_PNSt15iterator_traitsIS12_E10value_typeET2_T3_PNS13_IS18_E10value_typeET4_jRbjT5_S1E_jjP12ihipStream_tbEUljE_ZNSN_ISO_Lb1ESQ_SR_ST_SU_SY_EESZ_S10_S11_S12_S16_S17_S18_S1B_S1C_jS1D_jS1E_S1E_jjS1G_bEUljE0_EEESZ_S10_S11_S18_S1C_S1E_T6_T7_T9_mT8_S1G_bDpT10_ENKUlT_T0_E_clISt17integral_constantIbLb0EES1T_IbLb1EEEEDaS1P_S1Q_EUlS1P_E_NS1_11comp_targetILNS1_3genE4ELNS1_11target_archE910ELNS1_3gpuE8ELNS1_3repE0EEENS1_30default_config_static_selectorELNS0_4arch9wavefront6targetE0EEEvS12_,comdat
.Lfunc_end1279:
	.size	_ZN7rocprim17ROCPRIM_400000_NS6detail17trampoline_kernelINS0_13select_configILj256ELj13ELNS0_17block_load_methodE3ELS4_3ELS4_3ELNS0_20block_scan_algorithmE0ELj4294967295EEENS1_25partition_config_selectorILNS1_17partition_subalgoE4EjNS0_10empty_typeEbEEZZNS1_14partition_implILS8_4ELb0ES6_15HIP_vector_typeIjLj2EENS0_17counting_iteratorIjlEEPS9_SG_NS0_5tupleIJPjSI_NS0_16reverse_iteratorISI_EEEEENSH_IJSG_SG_SG_EEES9_SI_JZNS1_25segmented_radix_sort_implINS0_14default_configELb1EPKfPfPKlPlN2at6native12_GLOBAL__N_18offset_tEEE10hipError_tPvRmT1_PNSt15iterator_traitsIS12_E10value_typeET2_T3_PNS13_IS18_E10value_typeET4_jRbjT5_S1E_jjP12ihipStream_tbEUljE_ZNSN_ISO_Lb1ESQ_SR_ST_SU_SY_EESZ_S10_S11_S12_S16_S17_S18_S1B_S1C_jS1D_jS1E_S1E_jjS1G_bEUljE0_EEESZ_S10_S11_S18_S1C_S1E_T6_T7_T9_mT8_S1G_bDpT10_ENKUlT_T0_E_clISt17integral_constantIbLb0EES1T_IbLb1EEEEDaS1P_S1Q_EUlS1P_E_NS1_11comp_targetILNS1_3genE4ELNS1_11target_archE910ELNS1_3gpuE8ELNS1_3repE0EEENS1_30default_config_static_selectorELNS0_4arch9wavefront6targetE0EEEvS12_, .Lfunc_end1279-_ZN7rocprim17ROCPRIM_400000_NS6detail17trampoline_kernelINS0_13select_configILj256ELj13ELNS0_17block_load_methodE3ELS4_3ELS4_3ELNS0_20block_scan_algorithmE0ELj4294967295EEENS1_25partition_config_selectorILNS1_17partition_subalgoE4EjNS0_10empty_typeEbEEZZNS1_14partition_implILS8_4ELb0ES6_15HIP_vector_typeIjLj2EENS0_17counting_iteratorIjlEEPS9_SG_NS0_5tupleIJPjSI_NS0_16reverse_iteratorISI_EEEEENSH_IJSG_SG_SG_EEES9_SI_JZNS1_25segmented_radix_sort_implINS0_14default_configELb1EPKfPfPKlPlN2at6native12_GLOBAL__N_18offset_tEEE10hipError_tPvRmT1_PNSt15iterator_traitsIS12_E10value_typeET2_T3_PNS13_IS18_E10value_typeET4_jRbjT5_S1E_jjP12ihipStream_tbEUljE_ZNSN_ISO_Lb1ESQ_SR_ST_SU_SY_EESZ_S10_S11_S12_S16_S17_S18_S1B_S1C_jS1D_jS1E_S1E_jjS1G_bEUljE0_EEESZ_S10_S11_S18_S1C_S1E_T6_T7_T9_mT8_S1G_bDpT10_ENKUlT_T0_E_clISt17integral_constantIbLb0EES1T_IbLb1EEEEDaS1P_S1Q_EUlS1P_E_NS1_11comp_targetILNS1_3genE4ELNS1_11target_archE910ELNS1_3gpuE8ELNS1_3repE0EEENS1_30default_config_static_selectorELNS0_4arch9wavefront6targetE0EEEvS12_
                                        ; -- End function
	.set _ZN7rocprim17ROCPRIM_400000_NS6detail17trampoline_kernelINS0_13select_configILj256ELj13ELNS0_17block_load_methodE3ELS4_3ELS4_3ELNS0_20block_scan_algorithmE0ELj4294967295EEENS1_25partition_config_selectorILNS1_17partition_subalgoE4EjNS0_10empty_typeEbEEZZNS1_14partition_implILS8_4ELb0ES6_15HIP_vector_typeIjLj2EENS0_17counting_iteratorIjlEEPS9_SG_NS0_5tupleIJPjSI_NS0_16reverse_iteratorISI_EEEEENSH_IJSG_SG_SG_EEES9_SI_JZNS1_25segmented_radix_sort_implINS0_14default_configELb1EPKfPfPKlPlN2at6native12_GLOBAL__N_18offset_tEEE10hipError_tPvRmT1_PNSt15iterator_traitsIS12_E10value_typeET2_T3_PNS13_IS18_E10value_typeET4_jRbjT5_S1E_jjP12ihipStream_tbEUljE_ZNSN_ISO_Lb1ESQ_SR_ST_SU_SY_EESZ_S10_S11_S12_S16_S17_S18_S1B_S1C_jS1D_jS1E_S1E_jjS1G_bEUljE0_EEESZ_S10_S11_S18_S1C_S1E_T6_T7_T9_mT8_S1G_bDpT10_ENKUlT_T0_E_clISt17integral_constantIbLb0EES1T_IbLb1EEEEDaS1P_S1Q_EUlS1P_E_NS1_11comp_targetILNS1_3genE4ELNS1_11target_archE910ELNS1_3gpuE8ELNS1_3repE0EEENS1_30default_config_static_selectorELNS0_4arch9wavefront6targetE0EEEvS12_.num_vgpr, 0
	.set _ZN7rocprim17ROCPRIM_400000_NS6detail17trampoline_kernelINS0_13select_configILj256ELj13ELNS0_17block_load_methodE3ELS4_3ELS4_3ELNS0_20block_scan_algorithmE0ELj4294967295EEENS1_25partition_config_selectorILNS1_17partition_subalgoE4EjNS0_10empty_typeEbEEZZNS1_14partition_implILS8_4ELb0ES6_15HIP_vector_typeIjLj2EENS0_17counting_iteratorIjlEEPS9_SG_NS0_5tupleIJPjSI_NS0_16reverse_iteratorISI_EEEEENSH_IJSG_SG_SG_EEES9_SI_JZNS1_25segmented_radix_sort_implINS0_14default_configELb1EPKfPfPKlPlN2at6native12_GLOBAL__N_18offset_tEEE10hipError_tPvRmT1_PNSt15iterator_traitsIS12_E10value_typeET2_T3_PNS13_IS18_E10value_typeET4_jRbjT5_S1E_jjP12ihipStream_tbEUljE_ZNSN_ISO_Lb1ESQ_SR_ST_SU_SY_EESZ_S10_S11_S12_S16_S17_S18_S1B_S1C_jS1D_jS1E_S1E_jjS1G_bEUljE0_EEESZ_S10_S11_S18_S1C_S1E_T6_T7_T9_mT8_S1G_bDpT10_ENKUlT_T0_E_clISt17integral_constantIbLb0EES1T_IbLb1EEEEDaS1P_S1Q_EUlS1P_E_NS1_11comp_targetILNS1_3genE4ELNS1_11target_archE910ELNS1_3gpuE8ELNS1_3repE0EEENS1_30default_config_static_selectorELNS0_4arch9wavefront6targetE0EEEvS12_.num_agpr, 0
	.set _ZN7rocprim17ROCPRIM_400000_NS6detail17trampoline_kernelINS0_13select_configILj256ELj13ELNS0_17block_load_methodE3ELS4_3ELS4_3ELNS0_20block_scan_algorithmE0ELj4294967295EEENS1_25partition_config_selectorILNS1_17partition_subalgoE4EjNS0_10empty_typeEbEEZZNS1_14partition_implILS8_4ELb0ES6_15HIP_vector_typeIjLj2EENS0_17counting_iteratorIjlEEPS9_SG_NS0_5tupleIJPjSI_NS0_16reverse_iteratorISI_EEEEENSH_IJSG_SG_SG_EEES9_SI_JZNS1_25segmented_radix_sort_implINS0_14default_configELb1EPKfPfPKlPlN2at6native12_GLOBAL__N_18offset_tEEE10hipError_tPvRmT1_PNSt15iterator_traitsIS12_E10value_typeET2_T3_PNS13_IS18_E10value_typeET4_jRbjT5_S1E_jjP12ihipStream_tbEUljE_ZNSN_ISO_Lb1ESQ_SR_ST_SU_SY_EESZ_S10_S11_S12_S16_S17_S18_S1B_S1C_jS1D_jS1E_S1E_jjS1G_bEUljE0_EEESZ_S10_S11_S18_S1C_S1E_T6_T7_T9_mT8_S1G_bDpT10_ENKUlT_T0_E_clISt17integral_constantIbLb0EES1T_IbLb1EEEEDaS1P_S1Q_EUlS1P_E_NS1_11comp_targetILNS1_3genE4ELNS1_11target_archE910ELNS1_3gpuE8ELNS1_3repE0EEENS1_30default_config_static_selectorELNS0_4arch9wavefront6targetE0EEEvS12_.numbered_sgpr, 0
	.set _ZN7rocprim17ROCPRIM_400000_NS6detail17trampoline_kernelINS0_13select_configILj256ELj13ELNS0_17block_load_methodE3ELS4_3ELS4_3ELNS0_20block_scan_algorithmE0ELj4294967295EEENS1_25partition_config_selectorILNS1_17partition_subalgoE4EjNS0_10empty_typeEbEEZZNS1_14partition_implILS8_4ELb0ES6_15HIP_vector_typeIjLj2EENS0_17counting_iteratorIjlEEPS9_SG_NS0_5tupleIJPjSI_NS0_16reverse_iteratorISI_EEEEENSH_IJSG_SG_SG_EEES9_SI_JZNS1_25segmented_radix_sort_implINS0_14default_configELb1EPKfPfPKlPlN2at6native12_GLOBAL__N_18offset_tEEE10hipError_tPvRmT1_PNSt15iterator_traitsIS12_E10value_typeET2_T3_PNS13_IS18_E10value_typeET4_jRbjT5_S1E_jjP12ihipStream_tbEUljE_ZNSN_ISO_Lb1ESQ_SR_ST_SU_SY_EESZ_S10_S11_S12_S16_S17_S18_S1B_S1C_jS1D_jS1E_S1E_jjS1G_bEUljE0_EEESZ_S10_S11_S18_S1C_S1E_T6_T7_T9_mT8_S1G_bDpT10_ENKUlT_T0_E_clISt17integral_constantIbLb0EES1T_IbLb1EEEEDaS1P_S1Q_EUlS1P_E_NS1_11comp_targetILNS1_3genE4ELNS1_11target_archE910ELNS1_3gpuE8ELNS1_3repE0EEENS1_30default_config_static_selectorELNS0_4arch9wavefront6targetE0EEEvS12_.num_named_barrier, 0
	.set _ZN7rocprim17ROCPRIM_400000_NS6detail17trampoline_kernelINS0_13select_configILj256ELj13ELNS0_17block_load_methodE3ELS4_3ELS4_3ELNS0_20block_scan_algorithmE0ELj4294967295EEENS1_25partition_config_selectorILNS1_17partition_subalgoE4EjNS0_10empty_typeEbEEZZNS1_14partition_implILS8_4ELb0ES6_15HIP_vector_typeIjLj2EENS0_17counting_iteratorIjlEEPS9_SG_NS0_5tupleIJPjSI_NS0_16reverse_iteratorISI_EEEEENSH_IJSG_SG_SG_EEES9_SI_JZNS1_25segmented_radix_sort_implINS0_14default_configELb1EPKfPfPKlPlN2at6native12_GLOBAL__N_18offset_tEEE10hipError_tPvRmT1_PNSt15iterator_traitsIS12_E10value_typeET2_T3_PNS13_IS18_E10value_typeET4_jRbjT5_S1E_jjP12ihipStream_tbEUljE_ZNSN_ISO_Lb1ESQ_SR_ST_SU_SY_EESZ_S10_S11_S12_S16_S17_S18_S1B_S1C_jS1D_jS1E_S1E_jjS1G_bEUljE0_EEESZ_S10_S11_S18_S1C_S1E_T6_T7_T9_mT8_S1G_bDpT10_ENKUlT_T0_E_clISt17integral_constantIbLb0EES1T_IbLb1EEEEDaS1P_S1Q_EUlS1P_E_NS1_11comp_targetILNS1_3genE4ELNS1_11target_archE910ELNS1_3gpuE8ELNS1_3repE0EEENS1_30default_config_static_selectorELNS0_4arch9wavefront6targetE0EEEvS12_.private_seg_size, 0
	.set _ZN7rocprim17ROCPRIM_400000_NS6detail17trampoline_kernelINS0_13select_configILj256ELj13ELNS0_17block_load_methodE3ELS4_3ELS4_3ELNS0_20block_scan_algorithmE0ELj4294967295EEENS1_25partition_config_selectorILNS1_17partition_subalgoE4EjNS0_10empty_typeEbEEZZNS1_14partition_implILS8_4ELb0ES6_15HIP_vector_typeIjLj2EENS0_17counting_iteratorIjlEEPS9_SG_NS0_5tupleIJPjSI_NS0_16reverse_iteratorISI_EEEEENSH_IJSG_SG_SG_EEES9_SI_JZNS1_25segmented_radix_sort_implINS0_14default_configELb1EPKfPfPKlPlN2at6native12_GLOBAL__N_18offset_tEEE10hipError_tPvRmT1_PNSt15iterator_traitsIS12_E10value_typeET2_T3_PNS13_IS18_E10value_typeET4_jRbjT5_S1E_jjP12ihipStream_tbEUljE_ZNSN_ISO_Lb1ESQ_SR_ST_SU_SY_EESZ_S10_S11_S12_S16_S17_S18_S1B_S1C_jS1D_jS1E_S1E_jjS1G_bEUljE0_EEESZ_S10_S11_S18_S1C_S1E_T6_T7_T9_mT8_S1G_bDpT10_ENKUlT_T0_E_clISt17integral_constantIbLb0EES1T_IbLb1EEEEDaS1P_S1Q_EUlS1P_E_NS1_11comp_targetILNS1_3genE4ELNS1_11target_archE910ELNS1_3gpuE8ELNS1_3repE0EEENS1_30default_config_static_selectorELNS0_4arch9wavefront6targetE0EEEvS12_.uses_vcc, 0
	.set _ZN7rocprim17ROCPRIM_400000_NS6detail17trampoline_kernelINS0_13select_configILj256ELj13ELNS0_17block_load_methodE3ELS4_3ELS4_3ELNS0_20block_scan_algorithmE0ELj4294967295EEENS1_25partition_config_selectorILNS1_17partition_subalgoE4EjNS0_10empty_typeEbEEZZNS1_14partition_implILS8_4ELb0ES6_15HIP_vector_typeIjLj2EENS0_17counting_iteratorIjlEEPS9_SG_NS0_5tupleIJPjSI_NS0_16reverse_iteratorISI_EEEEENSH_IJSG_SG_SG_EEES9_SI_JZNS1_25segmented_radix_sort_implINS0_14default_configELb1EPKfPfPKlPlN2at6native12_GLOBAL__N_18offset_tEEE10hipError_tPvRmT1_PNSt15iterator_traitsIS12_E10value_typeET2_T3_PNS13_IS18_E10value_typeET4_jRbjT5_S1E_jjP12ihipStream_tbEUljE_ZNSN_ISO_Lb1ESQ_SR_ST_SU_SY_EESZ_S10_S11_S12_S16_S17_S18_S1B_S1C_jS1D_jS1E_S1E_jjS1G_bEUljE0_EEESZ_S10_S11_S18_S1C_S1E_T6_T7_T9_mT8_S1G_bDpT10_ENKUlT_T0_E_clISt17integral_constantIbLb0EES1T_IbLb1EEEEDaS1P_S1Q_EUlS1P_E_NS1_11comp_targetILNS1_3genE4ELNS1_11target_archE910ELNS1_3gpuE8ELNS1_3repE0EEENS1_30default_config_static_selectorELNS0_4arch9wavefront6targetE0EEEvS12_.uses_flat_scratch, 0
	.set _ZN7rocprim17ROCPRIM_400000_NS6detail17trampoline_kernelINS0_13select_configILj256ELj13ELNS0_17block_load_methodE3ELS4_3ELS4_3ELNS0_20block_scan_algorithmE0ELj4294967295EEENS1_25partition_config_selectorILNS1_17partition_subalgoE4EjNS0_10empty_typeEbEEZZNS1_14partition_implILS8_4ELb0ES6_15HIP_vector_typeIjLj2EENS0_17counting_iteratorIjlEEPS9_SG_NS0_5tupleIJPjSI_NS0_16reverse_iteratorISI_EEEEENSH_IJSG_SG_SG_EEES9_SI_JZNS1_25segmented_radix_sort_implINS0_14default_configELb1EPKfPfPKlPlN2at6native12_GLOBAL__N_18offset_tEEE10hipError_tPvRmT1_PNSt15iterator_traitsIS12_E10value_typeET2_T3_PNS13_IS18_E10value_typeET4_jRbjT5_S1E_jjP12ihipStream_tbEUljE_ZNSN_ISO_Lb1ESQ_SR_ST_SU_SY_EESZ_S10_S11_S12_S16_S17_S18_S1B_S1C_jS1D_jS1E_S1E_jjS1G_bEUljE0_EEESZ_S10_S11_S18_S1C_S1E_T6_T7_T9_mT8_S1G_bDpT10_ENKUlT_T0_E_clISt17integral_constantIbLb0EES1T_IbLb1EEEEDaS1P_S1Q_EUlS1P_E_NS1_11comp_targetILNS1_3genE4ELNS1_11target_archE910ELNS1_3gpuE8ELNS1_3repE0EEENS1_30default_config_static_selectorELNS0_4arch9wavefront6targetE0EEEvS12_.has_dyn_sized_stack, 0
	.set _ZN7rocprim17ROCPRIM_400000_NS6detail17trampoline_kernelINS0_13select_configILj256ELj13ELNS0_17block_load_methodE3ELS4_3ELS4_3ELNS0_20block_scan_algorithmE0ELj4294967295EEENS1_25partition_config_selectorILNS1_17partition_subalgoE4EjNS0_10empty_typeEbEEZZNS1_14partition_implILS8_4ELb0ES6_15HIP_vector_typeIjLj2EENS0_17counting_iteratorIjlEEPS9_SG_NS0_5tupleIJPjSI_NS0_16reverse_iteratorISI_EEEEENSH_IJSG_SG_SG_EEES9_SI_JZNS1_25segmented_radix_sort_implINS0_14default_configELb1EPKfPfPKlPlN2at6native12_GLOBAL__N_18offset_tEEE10hipError_tPvRmT1_PNSt15iterator_traitsIS12_E10value_typeET2_T3_PNS13_IS18_E10value_typeET4_jRbjT5_S1E_jjP12ihipStream_tbEUljE_ZNSN_ISO_Lb1ESQ_SR_ST_SU_SY_EESZ_S10_S11_S12_S16_S17_S18_S1B_S1C_jS1D_jS1E_S1E_jjS1G_bEUljE0_EEESZ_S10_S11_S18_S1C_S1E_T6_T7_T9_mT8_S1G_bDpT10_ENKUlT_T0_E_clISt17integral_constantIbLb0EES1T_IbLb1EEEEDaS1P_S1Q_EUlS1P_E_NS1_11comp_targetILNS1_3genE4ELNS1_11target_archE910ELNS1_3gpuE8ELNS1_3repE0EEENS1_30default_config_static_selectorELNS0_4arch9wavefront6targetE0EEEvS12_.has_recursion, 0
	.set _ZN7rocprim17ROCPRIM_400000_NS6detail17trampoline_kernelINS0_13select_configILj256ELj13ELNS0_17block_load_methodE3ELS4_3ELS4_3ELNS0_20block_scan_algorithmE0ELj4294967295EEENS1_25partition_config_selectorILNS1_17partition_subalgoE4EjNS0_10empty_typeEbEEZZNS1_14partition_implILS8_4ELb0ES6_15HIP_vector_typeIjLj2EENS0_17counting_iteratorIjlEEPS9_SG_NS0_5tupleIJPjSI_NS0_16reverse_iteratorISI_EEEEENSH_IJSG_SG_SG_EEES9_SI_JZNS1_25segmented_radix_sort_implINS0_14default_configELb1EPKfPfPKlPlN2at6native12_GLOBAL__N_18offset_tEEE10hipError_tPvRmT1_PNSt15iterator_traitsIS12_E10value_typeET2_T3_PNS13_IS18_E10value_typeET4_jRbjT5_S1E_jjP12ihipStream_tbEUljE_ZNSN_ISO_Lb1ESQ_SR_ST_SU_SY_EESZ_S10_S11_S12_S16_S17_S18_S1B_S1C_jS1D_jS1E_S1E_jjS1G_bEUljE0_EEESZ_S10_S11_S18_S1C_S1E_T6_T7_T9_mT8_S1G_bDpT10_ENKUlT_T0_E_clISt17integral_constantIbLb0EES1T_IbLb1EEEEDaS1P_S1Q_EUlS1P_E_NS1_11comp_targetILNS1_3genE4ELNS1_11target_archE910ELNS1_3gpuE8ELNS1_3repE0EEENS1_30default_config_static_selectorELNS0_4arch9wavefront6targetE0EEEvS12_.has_indirect_call, 0
	.section	.AMDGPU.csdata,"",@progbits
; Kernel info:
; codeLenInByte = 0
; TotalNumSgprs: 0
; NumVgprs: 0
; ScratchSize: 0
; MemoryBound: 0
; FloatMode: 240
; IeeeMode: 1
; LDSByteSize: 0 bytes/workgroup (compile time only)
; SGPRBlocks: 0
; VGPRBlocks: 0
; NumSGPRsForWavesPerEU: 1
; NumVGPRsForWavesPerEU: 1
; Occupancy: 16
; WaveLimiterHint : 0
; COMPUTE_PGM_RSRC2:SCRATCH_EN: 0
; COMPUTE_PGM_RSRC2:USER_SGPR: 6
; COMPUTE_PGM_RSRC2:TRAP_HANDLER: 0
; COMPUTE_PGM_RSRC2:TGID_X_EN: 1
; COMPUTE_PGM_RSRC2:TGID_Y_EN: 0
; COMPUTE_PGM_RSRC2:TGID_Z_EN: 0
; COMPUTE_PGM_RSRC2:TIDIG_COMP_CNT: 0
	.section	.text._ZN7rocprim17ROCPRIM_400000_NS6detail17trampoline_kernelINS0_13select_configILj256ELj13ELNS0_17block_load_methodE3ELS4_3ELS4_3ELNS0_20block_scan_algorithmE0ELj4294967295EEENS1_25partition_config_selectorILNS1_17partition_subalgoE4EjNS0_10empty_typeEbEEZZNS1_14partition_implILS8_4ELb0ES6_15HIP_vector_typeIjLj2EENS0_17counting_iteratorIjlEEPS9_SG_NS0_5tupleIJPjSI_NS0_16reverse_iteratorISI_EEEEENSH_IJSG_SG_SG_EEES9_SI_JZNS1_25segmented_radix_sort_implINS0_14default_configELb1EPKfPfPKlPlN2at6native12_GLOBAL__N_18offset_tEEE10hipError_tPvRmT1_PNSt15iterator_traitsIS12_E10value_typeET2_T3_PNS13_IS18_E10value_typeET4_jRbjT5_S1E_jjP12ihipStream_tbEUljE_ZNSN_ISO_Lb1ESQ_SR_ST_SU_SY_EESZ_S10_S11_S12_S16_S17_S18_S1B_S1C_jS1D_jS1E_S1E_jjS1G_bEUljE0_EEESZ_S10_S11_S18_S1C_S1E_T6_T7_T9_mT8_S1G_bDpT10_ENKUlT_T0_E_clISt17integral_constantIbLb0EES1T_IbLb1EEEEDaS1P_S1Q_EUlS1P_E_NS1_11comp_targetILNS1_3genE3ELNS1_11target_archE908ELNS1_3gpuE7ELNS1_3repE0EEENS1_30default_config_static_selectorELNS0_4arch9wavefront6targetE0EEEvS12_,"axG",@progbits,_ZN7rocprim17ROCPRIM_400000_NS6detail17trampoline_kernelINS0_13select_configILj256ELj13ELNS0_17block_load_methodE3ELS4_3ELS4_3ELNS0_20block_scan_algorithmE0ELj4294967295EEENS1_25partition_config_selectorILNS1_17partition_subalgoE4EjNS0_10empty_typeEbEEZZNS1_14partition_implILS8_4ELb0ES6_15HIP_vector_typeIjLj2EENS0_17counting_iteratorIjlEEPS9_SG_NS0_5tupleIJPjSI_NS0_16reverse_iteratorISI_EEEEENSH_IJSG_SG_SG_EEES9_SI_JZNS1_25segmented_radix_sort_implINS0_14default_configELb1EPKfPfPKlPlN2at6native12_GLOBAL__N_18offset_tEEE10hipError_tPvRmT1_PNSt15iterator_traitsIS12_E10value_typeET2_T3_PNS13_IS18_E10value_typeET4_jRbjT5_S1E_jjP12ihipStream_tbEUljE_ZNSN_ISO_Lb1ESQ_SR_ST_SU_SY_EESZ_S10_S11_S12_S16_S17_S18_S1B_S1C_jS1D_jS1E_S1E_jjS1G_bEUljE0_EEESZ_S10_S11_S18_S1C_S1E_T6_T7_T9_mT8_S1G_bDpT10_ENKUlT_T0_E_clISt17integral_constantIbLb0EES1T_IbLb1EEEEDaS1P_S1Q_EUlS1P_E_NS1_11comp_targetILNS1_3genE3ELNS1_11target_archE908ELNS1_3gpuE7ELNS1_3repE0EEENS1_30default_config_static_selectorELNS0_4arch9wavefront6targetE0EEEvS12_,comdat
	.globl	_ZN7rocprim17ROCPRIM_400000_NS6detail17trampoline_kernelINS0_13select_configILj256ELj13ELNS0_17block_load_methodE3ELS4_3ELS4_3ELNS0_20block_scan_algorithmE0ELj4294967295EEENS1_25partition_config_selectorILNS1_17partition_subalgoE4EjNS0_10empty_typeEbEEZZNS1_14partition_implILS8_4ELb0ES6_15HIP_vector_typeIjLj2EENS0_17counting_iteratorIjlEEPS9_SG_NS0_5tupleIJPjSI_NS0_16reverse_iteratorISI_EEEEENSH_IJSG_SG_SG_EEES9_SI_JZNS1_25segmented_radix_sort_implINS0_14default_configELb1EPKfPfPKlPlN2at6native12_GLOBAL__N_18offset_tEEE10hipError_tPvRmT1_PNSt15iterator_traitsIS12_E10value_typeET2_T3_PNS13_IS18_E10value_typeET4_jRbjT5_S1E_jjP12ihipStream_tbEUljE_ZNSN_ISO_Lb1ESQ_SR_ST_SU_SY_EESZ_S10_S11_S12_S16_S17_S18_S1B_S1C_jS1D_jS1E_S1E_jjS1G_bEUljE0_EEESZ_S10_S11_S18_S1C_S1E_T6_T7_T9_mT8_S1G_bDpT10_ENKUlT_T0_E_clISt17integral_constantIbLb0EES1T_IbLb1EEEEDaS1P_S1Q_EUlS1P_E_NS1_11comp_targetILNS1_3genE3ELNS1_11target_archE908ELNS1_3gpuE7ELNS1_3repE0EEENS1_30default_config_static_selectorELNS0_4arch9wavefront6targetE0EEEvS12_ ; -- Begin function _ZN7rocprim17ROCPRIM_400000_NS6detail17trampoline_kernelINS0_13select_configILj256ELj13ELNS0_17block_load_methodE3ELS4_3ELS4_3ELNS0_20block_scan_algorithmE0ELj4294967295EEENS1_25partition_config_selectorILNS1_17partition_subalgoE4EjNS0_10empty_typeEbEEZZNS1_14partition_implILS8_4ELb0ES6_15HIP_vector_typeIjLj2EENS0_17counting_iteratorIjlEEPS9_SG_NS0_5tupleIJPjSI_NS0_16reverse_iteratorISI_EEEEENSH_IJSG_SG_SG_EEES9_SI_JZNS1_25segmented_radix_sort_implINS0_14default_configELb1EPKfPfPKlPlN2at6native12_GLOBAL__N_18offset_tEEE10hipError_tPvRmT1_PNSt15iterator_traitsIS12_E10value_typeET2_T3_PNS13_IS18_E10value_typeET4_jRbjT5_S1E_jjP12ihipStream_tbEUljE_ZNSN_ISO_Lb1ESQ_SR_ST_SU_SY_EESZ_S10_S11_S12_S16_S17_S18_S1B_S1C_jS1D_jS1E_S1E_jjS1G_bEUljE0_EEESZ_S10_S11_S18_S1C_S1E_T6_T7_T9_mT8_S1G_bDpT10_ENKUlT_T0_E_clISt17integral_constantIbLb0EES1T_IbLb1EEEEDaS1P_S1Q_EUlS1P_E_NS1_11comp_targetILNS1_3genE3ELNS1_11target_archE908ELNS1_3gpuE7ELNS1_3repE0EEENS1_30default_config_static_selectorELNS0_4arch9wavefront6targetE0EEEvS12_
	.p2align	8
	.type	_ZN7rocprim17ROCPRIM_400000_NS6detail17trampoline_kernelINS0_13select_configILj256ELj13ELNS0_17block_load_methodE3ELS4_3ELS4_3ELNS0_20block_scan_algorithmE0ELj4294967295EEENS1_25partition_config_selectorILNS1_17partition_subalgoE4EjNS0_10empty_typeEbEEZZNS1_14partition_implILS8_4ELb0ES6_15HIP_vector_typeIjLj2EENS0_17counting_iteratorIjlEEPS9_SG_NS0_5tupleIJPjSI_NS0_16reverse_iteratorISI_EEEEENSH_IJSG_SG_SG_EEES9_SI_JZNS1_25segmented_radix_sort_implINS0_14default_configELb1EPKfPfPKlPlN2at6native12_GLOBAL__N_18offset_tEEE10hipError_tPvRmT1_PNSt15iterator_traitsIS12_E10value_typeET2_T3_PNS13_IS18_E10value_typeET4_jRbjT5_S1E_jjP12ihipStream_tbEUljE_ZNSN_ISO_Lb1ESQ_SR_ST_SU_SY_EESZ_S10_S11_S12_S16_S17_S18_S1B_S1C_jS1D_jS1E_S1E_jjS1G_bEUljE0_EEESZ_S10_S11_S18_S1C_S1E_T6_T7_T9_mT8_S1G_bDpT10_ENKUlT_T0_E_clISt17integral_constantIbLb0EES1T_IbLb1EEEEDaS1P_S1Q_EUlS1P_E_NS1_11comp_targetILNS1_3genE3ELNS1_11target_archE908ELNS1_3gpuE7ELNS1_3repE0EEENS1_30default_config_static_selectorELNS0_4arch9wavefront6targetE0EEEvS12_,@function
_ZN7rocprim17ROCPRIM_400000_NS6detail17trampoline_kernelINS0_13select_configILj256ELj13ELNS0_17block_load_methodE3ELS4_3ELS4_3ELNS0_20block_scan_algorithmE0ELj4294967295EEENS1_25partition_config_selectorILNS1_17partition_subalgoE4EjNS0_10empty_typeEbEEZZNS1_14partition_implILS8_4ELb0ES6_15HIP_vector_typeIjLj2EENS0_17counting_iteratorIjlEEPS9_SG_NS0_5tupleIJPjSI_NS0_16reverse_iteratorISI_EEEEENSH_IJSG_SG_SG_EEES9_SI_JZNS1_25segmented_radix_sort_implINS0_14default_configELb1EPKfPfPKlPlN2at6native12_GLOBAL__N_18offset_tEEE10hipError_tPvRmT1_PNSt15iterator_traitsIS12_E10value_typeET2_T3_PNS13_IS18_E10value_typeET4_jRbjT5_S1E_jjP12ihipStream_tbEUljE_ZNSN_ISO_Lb1ESQ_SR_ST_SU_SY_EESZ_S10_S11_S12_S16_S17_S18_S1B_S1C_jS1D_jS1E_S1E_jjS1G_bEUljE0_EEESZ_S10_S11_S18_S1C_S1E_T6_T7_T9_mT8_S1G_bDpT10_ENKUlT_T0_E_clISt17integral_constantIbLb0EES1T_IbLb1EEEEDaS1P_S1Q_EUlS1P_E_NS1_11comp_targetILNS1_3genE3ELNS1_11target_archE908ELNS1_3gpuE7ELNS1_3repE0EEENS1_30default_config_static_selectorELNS0_4arch9wavefront6targetE0EEEvS12_: ; @_ZN7rocprim17ROCPRIM_400000_NS6detail17trampoline_kernelINS0_13select_configILj256ELj13ELNS0_17block_load_methodE3ELS4_3ELS4_3ELNS0_20block_scan_algorithmE0ELj4294967295EEENS1_25partition_config_selectorILNS1_17partition_subalgoE4EjNS0_10empty_typeEbEEZZNS1_14partition_implILS8_4ELb0ES6_15HIP_vector_typeIjLj2EENS0_17counting_iteratorIjlEEPS9_SG_NS0_5tupleIJPjSI_NS0_16reverse_iteratorISI_EEEEENSH_IJSG_SG_SG_EEES9_SI_JZNS1_25segmented_radix_sort_implINS0_14default_configELb1EPKfPfPKlPlN2at6native12_GLOBAL__N_18offset_tEEE10hipError_tPvRmT1_PNSt15iterator_traitsIS12_E10value_typeET2_T3_PNS13_IS18_E10value_typeET4_jRbjT5_S1E_jjP12ihipStream_tbEUljE_ZNSN_ISO_Lb1ESQ_SR_ST_SU_SY_EESZ_S10_S11_S12_S16_S17_S18_S1B_S1C_jS1D_jS1E_S1E_jjS1G_bEUljE0_EEESZ_S10_S11_S18_S1C_S1E_T6_T7_T9_mT8_S1G_bDpT10_ENKUlT_T0_E_clISt17integral_constantIbLb0EES1T_IbLb1EEEEDaS1P_S1Q_EUlS1P_E_NS1_11comp_targetILNS1_3genE3ELNS1_11target_archE908ELNS1_3gpuE7ELNS1_3repE0EEENS1_30default_config_static_selectorELNS0_4arch9wavefront6targetE0EEEvS12_
; %bb.0:
	.section	.rodata,"a",@progbits
	.p2align	6, 0x0
	.amdhsa_kernel _ZN7rocprim17ROCPRIM_400000_NS6detail17trampoline_kernelINS0_13select_configILj256ELj13ELNS0_17block_load_methodE3ELS4_3ELS4_3ELNS0_20block_scan_algorithmE0ELj4294967295EEENS1_25partition_config_selectorILNS1_17partition_subalgoE4EjNS0_10empty_typeEbEEZZNS1_14partition_implILS8_4ELb0ES6_15HIP_vector_typeIjLj2EENS0_17counting_iteratorIjlEEPS9_SG_NS0_5tupleIJPjSI_NS0_16reverse_iteratorISI_EEEEENSH_IJSG_SG_SG_EEES9_SI_JZNS1_25segmented_radix_sort_implINS0_14default_configELb1EPKfPfPKlPlN2at6native12_GLOBAL__N_18offset_tEEE10hipError_tPvRmT1_PNSt15iterator_traitsIS12_E10value_typeET2_T3_PNS13_IS18_E10value_typeET4_jRbjT5_S1E_jjP12ihipStream_tbEUljE_ZNSN_ISO_Lb1ESQ_SR_ST_SU_SY_EESZ_S10_S11_S12_S16_S17_S18_S1B_S1C_jS1D_jS1E_S1E_jjS1G_bEUljE0_EEESZ_S10_S11_S18_S1C_S1E_T6_T7_T9_mT8_S1G_bDpT10_ENKUlT_T0_E_clISt17integral_constantIbLb0EES1T_IbLb1EEEEDaS1P_S1Q_EUlS1P_E_NS1_11comp_targetILNS1_3genE3ELNS1_11target_archE908ELNS1_3gpuE7ELNS1_3repE0EEENS1_30default_config_static_selectorELNS0_4arch9wavefront6targetE0EEEvS12_
		.amdhsa_group_segment_fixed_size 0
		.amdhsa_private_segment_fixed_size 0
		.amdhsa_kernarg_size 184
		.amdhsa_user_sgpr_count 6
		.amdhsa_user_sgpr_private_segment_buffer 1
		.amdhsa_user_sgpr_dispatch_ptr 0
		.amdhsa_user_sgpr_queue_ptr 0
		.amdhsa_user_sgpr_kernarg_segment_ptr 1
		.amdhsa_user_sgpr_dispatch_id 0
		.amdhsa_user_sgpr_flat_scratch_init 0
		.amdhsa_user_sgpr_private_segment_size 0
		.amdhsa_wavefront_size32 1
		.amdhsa_uses_dynamic_stack 0
		.amdhsa_system_sgpr_private_segment_wavefront_offset 0
		.amdhsa_system_sgpr_workgroup_id_x 1
		.amdhsa_system_sgpr_workgroup_id_y 0
		.amdhsa_system_sgpr_workgroup_id_z 0
		.amdhsa_system_sgpr_workgroup_info 0
		.amdhsa_system_vgpr_workitem_id 0
		.amdhsa_next_free_vgpr 1
		.amdhsa_next_free_sgpr 1
		.amdhsa_reserve_vcc 0
		.amdhsa_reserve_flat_scratch 0
		.amdhsa_float_round_mode_32 0
		.amdhsa_float_round_mode_16_64 0
		.amdhsa_float_denorm_mode_32 3
		.amdhsa_float_denorm_mode_16_64 3
		.amdhsa_dx10_clamp 1
		.amdhsa_ieee_mode 1
		.amdhsa_fp16_overflow 0
		.amdhsa_workgroup_processor_mode 1
		.amdhsa_memory_ordered 1
		.amdhsa_forward_progress 1
		.amdhsa_shared_vgpr_count 0
		.amdhsa_exception_fp_ieee_invalid_op 0
		.amdhsa_exception_fp_denorm_src 0
		.amdhsa_exception_fp_ieee_div_zero 0
		.amdhsa_exception_fp_ieee_overflow 0
		.amdhsa_exception_fp_ieee_underflow 0
		.amdhsa_exception_fp_ieee_inexact 0
		.amdhsa_exception_int_div_zero 0
	.end_amdhsa_kernel
	.section	.text._ZN7rocprim17ROCPRIM_400000_NS6detail17trampoline_kernelINS0_13select_configILj256ELj13ELNS0_17block_load_methodE3ELS4_3ELS4_3ELNS0_20block_scan_algorithmE0ELj4294967295EEENS1_25partition_config_selectorILNS1_17partition_subalgoE4EjNS0_10empty_typeEbEEZZNS1_14partition_implILS8_4ELb0ES6_15HIP_vector_typeIjLj2EENS0_17counting_iteratorIjlEEPS9_SG_NS0_5tupleIJPjSI_NS0_16reverse_iteratorISI_EEEEENSH_IJSG_SG_SG_EEES9_SI_JZNS1_25segmented_radix_sort_implINS0_14default_configELb1EPKfPfPKlPlN2at6native12_GLOBAL__N_18offset_tEEE10hipError_tPvRmT1_PNSt15iterator_traitsIS12_E10value_typeET2_T3_PNS13_IS18_E10value_typeET4_jRbjT5_S1E_jjP12ihipStream_tbEUljE_ZNSN_ISO_Lb1ESQ_SR_ST_SU_SY_EESZ_S10_S11_S12_S16_S17_S18_S1B_S1C_jS1D_jS1E_S1E_jjS1G_bEUljE0_EEESZ_S10_S11_S18_S1C_S1E_T6_T7_T9_mT8_S1G_bDpT10_ENKUlT_T0_E_clISt17integral_constantIbLb0EES1T_IbLb1EEEEDaS1P_S1Q_EUlS1P_E_NS1_11comp_targetILNS1_3genE3ELNS1_11target_archE908ELNS1_3gpuE7ELNS1_3repE0EEENS1_30default_config_static_selectorELNS0_4arch9wavefront6targetE0EEEvS12_,"axG",@progbits,_ZN7rocprim17ROCPRIM_400000_NS6detail17trampoline_kernelINS0_13select_configILj256ELj13ELNS0_17block_load_methodE3ELS4_3ELS4_3ELNS0_20block_scan_algorithmE0ELj4294967295EEENS1_25partition_config_selectorILNS1_17partition_subalgoE4EjNS0_10empty_typeEbEEZZNS1_14partition_implILS8_4ELb0ES6_15HIP_vector_typeIjLj2EENS0_17counting_iteratorIjlEEPS9_SG_NS0_5tupleIJPjSI_NS0_16reverse_iteratorISI_EEEEENSH_IJSG_SG_SG_EEES9_SI_JZNS1_25segmented_radix_sort_implINS0_14default_configELb1EPKfPfPKlPlN2at6native12_GLOBAL__N_18offset_tEEE10hipError_tPvRmT1_PNSt15iterator_traitsIS12_E10value_typeET2_T3_PNS13_IS18_E10value_typeET4_jRbjT5_S1E_jjP12ihipStream_tbEUljE_ZNSN_ISO_Lb1ESQ_SR_ST_SU_SY_EESZ_S10_S11_S12_S16_S17_S18_S1B_S1C_jS1D_jS1E_S1E_jjS1G_bEUljE0_EEESZ_S10_S11_S18_S1C_S1E_T6_T7_T9_mT8_S1G_bDpT10_ENKUlT_T0_E_clISt17integral_constantIbLb0EES1T_IbLb1EEEEDaS1P_S1Q_EUlS1P_E_NS1_11comp_targetILNS1_3genE3ELNS1_11target_archE908ELNS1_3gpuE7ELNS1_3repE0EEENS1_30default_config_static_selectorELNS0_4arch9wavefront6targetE0EEEvS12_,comdat
.Lfunc_end1280:
	.size	_ZN7rocprim17ROCPRIM_400000_NS6detail17trampoline_kernelINS0_13select_configILj256ELj13ELNS0_17block_load_methodE3ELS4_3ELS4_3ELNS0_20block_scan_algorithmE0ELj4294967295EEENS1_25partition_config_selectorILNS1_17partition_subalgoE4EjNS0_10empty_typeEbEEZZNS1_14partition_implILS8_4ELb0ES6_15HIP_vector_typeIjLj2EENS0_17counting_iteratorIjlEEPS9_SG_NS0_5tupleIJPjSI_NS0_16reverse_iteratorISI_EEEEENSH_IJSG_SG_SG_EEES9_SI_JZNS1_25segmented_radix_sort_implINS0_14default_configELb1EPKfPfPKlPlN2at6native12_GLOBAL__N_18offset_tEEE10hipError_tPvRmT1_PNSt15iterator_traitsIS12_E10value_typeET2_T3_PNS13_IS18_E10value_typeET4_jRbjT5_S1E_jjP12ihipStream_tbEUljE_ZNSN_ISO_Lb1ESQ_SR_ST_SU_SY_EESZ_S10_S11_S12_S16_S17_S18_S1B_S1C_jS1D_jS1E_S1E_jjS1G_bEUljE0_EEESZ_S10_S11_S18_S1C_S1E_T6_T7_T9_mT8_S1G_bDpT10_ENKUlT_T0_E_clISt17integral_constantIbLb0EES1T_IbLb1EEEEDaS1P_S1Q_EUlS1P_E_NS1_11comp_targetILNS1_3genE3ELNS1_11target_archE908ELNS1_3gpuE7ELNS1_3repE0EEENS1_30default_config_static_selectorELNS0_4arch9wavefront6targetE0EEEvS12_, .Lfunc_end1280-_ZN7rocprim17ROCPRIM_400000_NS6detail17trampoline_kernelINS0_13select_configILj256ELj13ELNS0_17block_load_methodE3ELS4_3ELS4_3ELNS0_20block_scan_algorithmE0ELj4294967295EEENS1_25partition_config_selectorILNS1_17partition_subalgoE4EjNS0_10empty_typeEbEEZZNS1_14partition_implILS8_4ELb0ES6_15HIP_vector_typeIjLj2EENS0_17counting_iteratorIjlEEPS9_SG_NS0_5tupleIJPjSI_NS0_16reverse_iteratorISI_EEEEENSH_IJSG_SG_SG_EEES9_SI_JZNS1_25segmented_radix_sort_implINS0_14default_configELb1EPKfPfPKlPlN2at6native12_GLOBAL__N_18offset_tEEE10hipError_tPvRmT1_PNSt15iterator_traitsIS12_E10value_typeET2_T3_PNS13_IS18_E10value_typeET4_jRbjT5_S1E_jjP12ihipStream_tbEUljE_ZNSN_ISO_Lb1ESQ_SR_ST_SU_SY_EESZ_S10_S11_S12_S16_S17_S18_S1B_S1C_jS1D_jS1E_S1E_jjS1G_bEUljE0_EEESZ_S10_S11_S18_S1C_S1E_T6_T7_T9_mT8_S1G_bDpT10_ENKUlT_T0_E_clISt17integral_constantIbLb0EES1T_IbLb1EEEEDaS1P_S1Q_EUlS1P_E_NS1_11comp_targetILNS1_3genE3ELNS1_11target_archE908ELNS1_3gpuE7ELNS1_3repE0EEENS1_30default_config_static_selectorELNS0_4arch9wavefront6targetE0EEEvS12_
                                        ; -- End function
	.set _ZN7rocprim17ROCPRIM_400000_NS6detail17trampoline_kernelINS0_13select_configILj256ELj13ELNS0_17block_load_methodE3ELS4_3ELS4_3ELNS0_20block_scan_algorithmE0ELj4294967295EEENS1_25partition_config_selectorILNS1_17partition_subalgoE4EjNS0_10empty_typeEbEEZZNS1_14partition_implILS8_4ELb0ES6_15HIP_vector_typeIjLj2EENS0_17counting_iteratorIjlEEPS9_SG_NS0_5tupleIJPjSI_NS0_16reverse_iteratorISI_EEEEENSH_IJSG_SG_SG_EEES9_SI_JZNS1_25segmented_radix_sort_implINS0_14default_configELb1EPKfPfPKlPlN2at6native12_GLOBAL__N_18offset_tEEE10hipError_tPvRmT1_PNSt15iterator_traitsIS12_E10value_typeET2_T3_PNS13_IS18_E10value_typeET4_jRbjT5_S1E_jjP12ihipStream_tbEUljE_ZNSN_ISO_Lb1ESQ_SR_ST_SU_SY_EESZ_S10_S11_S12_S16_S17_S18_S1B_S1C_jS1D_jS1E_S1E_jjS1G_bEUljE0_EEESZ_S10_S11_S18_S1C_S1E_T6_T7_T9_mT8_S1G_bDpT10_ENKUlT_T0_E_clISt17integral_constantIbLb0EES1T_IbLb1EEEEDaS1P_S1Q_EUlS1P_E_NS1_11comp_targetILNS1_3genE3ELNS1_11target_archE908ELNS1_3gpuE7ELNS1_3repE0EEENS1_30default_config_static_selectorELNS0_4arch9wavefront6targetE0EEEvS12_.num_vgpr, 0
	.set _ZN7rocprim17ROCPRIM_400000_NS6detail17trampoline_kernelINS0_13select_configILj256ELj13ELNS0_17block_load_methodE3ELS4_3ELS4_3ELNS0_20block_scan_algorithmE0ELj4294967295EEENS1_25partition_config_selectorILNS1_17partition_subalgoE4EjNS0_10empty_typeEbEEZZNS1_14partition_implILS8_4ELb0ES6_15HIP_vector_typeIjLj2EENS0_17counting_iteratorIjlEEPS9_SG_NS0_5tupleIJPjSI_NS0_16reverse_iteratorISI_EEEEENSH_IJSG_SG_SG_EEES9_SI_JZNS1_25segmented_radix_sort_implINS0_14default_configELb1EPKfPfPKlPlN2at6native12_GLOBAL__N_18offset_tEEE10hipError_tPvRmT1_PNSt15iterator_traitsIS12_E10value_typeET2_T3_PNS13_IS18_E10value_typeET4_jRbjT5_S1E_jjP12ihipStream_tbEUljE_ZNSN_ISO_Lb1ESQ_SR_ST_SU_SY_EESZ_S10_S11_S12_S16_S17_S18_S1B_S1C_jS1D_jS1E_S1E_jjS1G_bEUljE0_EEESZ_S10_S11_S18_S1C_S1E_T6_T7_T9_mT8_S1G_bDpT10_ENKUlT_T0_E_clISt17integral_constantIbLb0EES1T_IbLb1EEEEDaS1P_S1Q_EUlS1P_E_NS1_11comp_targetILNS1_3genE3ELNS1_11target_archE908ELNS1_3gpuE7ELNS1_3repE0EEENS1_30default_config_static_selectorELNS0_4arch9wavefront6targetE0EEEvS12_.num_agpr, 0
	.set _ZN7rocprim17ROCPRIM_400000_NS6detail17trampoline_kernelINS0_13select_configILj256ELj13ELNS0_17block_load_methodE3ELS4_3ELS4_3ELNS0_20block_scan_algorithmE0ELj4294967295EEENS1_25partition_config_selectorILNS1_17partition_subalgoE4EjNS0_10empty_typeEbEEZZNS1_14partition_implILS8_4ELb0ES6_15HIP_vector_typeIjLj2EENS0_17counting_iteratorIjlEEPS9_SG_NS0_5tupleIJPjSI_NS0_16reverse_iteratorISI_EEEEENSH_IJSG_SG_SG_EEES9_SI_JZNS1_25segmented_radix_sort_implINS0_14default_configELb1EPKfPfPKlPlN2at6native12_GLOBAL__N_18offset_tEEE10hipError_tPvRmT1_PNSt15iterator_traitsIS12_E10value_typeET2_T3_PNS13_IS18_E10value_typeET4_jRbjT5_S1E_jjP12ihipStream_tbEUljE_ZNSN_ISO_Lb1ESQ_SR_ST_SU_SY_EESZ_S10_S11_S12_S16_S17_S18_S1B_S1C_jS1D_jS1E_S1E_jjS1G_bEUljE0_EEESZ_S10_S11_S18_S1C_S1E_T6_T7_T9_mT8_S1G_bDpT10_ENKUlT_T0_E_clISt17integral_constantIbLb0EES1T_IbLb1EEEEDaS1P_S1Q_EUlS1P_E_NS1_11comp_targetILNS1_3genE3ELNS1_11target_archE908ELNS1_3gpuE7ELNS1_3repE0EEENS1_30default_config_static_selectorELNS0_4arch9wavefront6targetE0EEEvS12_.numbered_sgpr, 0
	.set _ZN7rocprim17ROCPRIM_400000_NS6detail17trampoline_kernelINS0_13select_configILj256ELj13ELNS0_17block_load_methodE3ELS4_3ELS4_3ELNS0_20block_scan_algorithmE0ELj4294967295EEENS1_25partition_config_selectorILNS1_17partition_subalgoE4EjNS0_10empty_typeEbEEZZNS1_14partition_implILS8_4ELb0ES6_15HIP_vector_typeIjLj2EENS0_17counting_iteratorIjlEEPS9_SG_NS0_5tupleIJPjSI_NS0_16reverse_iteratorISI_EEEEENSH_IJSG_SG_SG_EEES9_SI_JZNS1_25segmented_radix_sort_implINS0_14default_configELb1EPKfPfPKlPlN2at6native12_GLOBAL__N_18offset_tEEE10hipError_tPvRmT1_PNSt15iterator_traitsIS12_E10value_typeET2_T3_PNS13_IS18_E10value_typeET4_jRbjT5_S1E_jjP12ihipStream_tbEUljE_ZNSN_ISO_Lb1ESQ_SR_ST_SU_SY_EESZ_S10_S11_S12_S16_S17_S18_S1B_S1C_jS1D_jS1E_S1E_jjS1G_bEUljE0_EEESZ_S10_S11_S18_S1C_S1E_T6_T7_T9_mT8_S1G_bDpT10_ENKUlT_T0_E_clISt17integral_constantIbLb0EES1T_IbLb1EEEEDaS1P_S1Q_EUlS1P_E_NS1_11comp_targetILNS1_3genE3ELNS1_11target_archE908ELNS1_3gpuE7ELNS1_3repE0EEENS1_30default_config_static_selectorELNS0_4arch9wavefront6targetE0EEEvS12_.num_named_barrier, 0
	.set _ZN7rocprim17ROCPRIM_400000_NS6detail17trampoline_kernelINS0_13select_configILj256ELj13ELNS0_17block_load_methodE3ELS4_3ELS4_3ELNS0_20block_scan_algorithmE0ELj4294967295EEENS1_25partition_config_selectorILNS1_17partition_subalgoE4EjNS0_10empty_typeEbEEZZNS1_14partition_implILS8_4ELb0ES6_15HIP_vector_typeIjLj2EENS0_17counting_iteratorIjlEEPS9_SG_NS0_5tupleIJPjSI_NS0_16reverse_iteratorISI_EEEEENSH_IJSG_SG_SG_EEES9_SI_JZNS1_25segmented_radix_sort_implINS0_14default_configELb1EPKfPfPKlPlN2at6native12_GLOBAL__N_18offset_tEEE10hipError_tPvRmT1_PNSt15iterator_traitsIS12_E10value_typeET2_T3_PNS13_IS18_E10value_typeET4_jRbjT5_S1E_jjP12ihipStream_tbEUljE_ZNSN_ISO_Lb1ESQ_SR_ST_SU_SY_EESZ_S10_S11_S12_S16_S17_S18_S1B_S1C_jS1D_jS1E_S1E_jjS1G_bEUljE0_EEESZ_S10_S11_S18_S1C_S1E_T6_T7_T9_mT8_S1G_bDpT10_ENKUlT_T0_E_clISt17integral_constantIbLb0EES1T_IbLb1EEEEDaS1P_S1Q_EUlS1P_E_NS1_11comp_targetILNS1_3genE3ELNS1_11target_archE908ELNS1_3gpuE7ELNS1_3repE0EEENS1_30default_config_static_selectorELNS0_4arch9wavefront6targetE0EEEvS12_.private_seg_size, 0
	.set _ZN7rocprim17ROCPRIM_400000_NS6detail17trampoline_kernelINS0_13select_configILj256ELj13ELNS0_17block_load_methodE3ELS4_3ELS4_3ELNS0_20block_scan_algorithmE0ELj4294967295EEENS1_25partition_config_selectorILNS1_17partition_subalgoE4EjNS0_10empty_typeEbEEZZNS1_14partition_implILS8_4ELb0ES6_15HIP_vector_typeIjLj2EENS0_17counting_iteratorIjlEEPS9_SG_NS0_5tupleIJPjSI_NS0_16reverse_iteratorISI_EEEEENSH_IJSG_SG_SG_EEES9_SI_JZNS1_25segmented_radix_sort_implINS0_14default_configELb1EPKfPfPKlPlN2at6native12_GLOBAL__N_18offset_tEEE10hipError_tPvRmT1_PNSt15iterator_traitsIS12_E10value_typeET2_T3_PNS13_IS18_E10value_typeET4_jRbjT5_S1E_jjP12ihipStream_tbEUljE_ZNSN_ISO_Lb1ESQ_SR_ST_SU_SY_EESZ_S10_S11_S12_S16_S17_S18_S1B_S1C_jS1D_jS1E_S1E_jjS1G_bEUljE0_EEESZ_S10_S11_S18_S1C_S1E_T6_T7_T9_mT8_S1G_bDpT10_ENKUlT_T0_E_clISt17integral_constantIbLb0EES1T_IbLb1EEEEDaS1P_S1Q_EUlS1P_E_NS1_11comp_targetILNS1_3genE3ELNS1_11target_archE908ELNS1_3gpuE7ELNS1_3repE0EEENS1_30default_config_static_selectorELNS0_4arch9wavefront6targetE0EEEvS12_.uses_vcc, 0
	.set _ZN7rocprim17ROCPRIM_400000_NS6detail17trampoline_kernelINS0_13select_configILj256ELj13ELNS0_17block_load_methodE3ELS4_3ELS4_3ELNS0_20block_scan_algorithmE0ELj4294967295EEENS1_25partition_config_selectorILNS1_17partition_subalgoE4EjNS0_10empty_typeEbEEZZNS1_14partition_implILS8_4ELb0ES6_15HIP_vector_typeIjLj2EENS0_17counting_iteratorIjlEEPS9_SG_NS0_5tupleIJPjSI_NS0_16reverse_iteratorISI_EEEEENSH_IJSG_SG_SG_EEES9_SI_JZNS1_25segmented_radix_sort_implINS0_14default_configELb1EPKfPfPKlPlN2at6native12_GLOBAL__N_18offset_tEEE10hipError_tPvRmT1_PNSt15iterator_traitsIS12_E10value_typeET2_T3_PNS13_IS18_E10value_typeET4_jRbjT5_S1E_jjP12ihipStream_tbEUljE_ZNSN_ISO_Lb1ESQ_SR_ST_SU_SY_EESZ_S10_S11_S12_S16_S17_S18_S1B_S1C_jS1D_jS1E_S1E_jjS1G_bEUljE0_EEESZ_S10_S11_S18_S1C_S1E_T6_T7_T9_mT8_S1G_bDpT10_ENKUlT_T0_E_clISt17integral_constantIbLb0EES1T_IbLb1EEEEDaS1P_S1Q_EUlS1P_E_NS1_11comp_targetILNS1_3genE3ELNS1_11target_archE908ELNS1_3gpuE7ELNS1_3repE0EEENS1_30default_config_static_selectorELNS0_4arch9wavefront6targetE0EEEvS12_.uses_flat_scratch, 0
	.set _ZN7rocprim17ROCPRIM_400000_NS6detail17trampoline_kernelINS0_13select_configILj256ELj13ELNS0_17block_load_methodE3ELS4_3ELS4_3ELNS0_20block_scan_algorithmE0ELj4294967295EEENS1_25partition_config_selectorILNS1_17partition_subalgoE4EjNS0_10empty_typeEbEEZZNS1_14partition_implILS8_4ELb0ES6_15HIP_vector_typeIjLj2EENS0_17counting_iteratorIjlEEPS9_SG_NS0_5tupleIJPjSI_NS0_16reverse_iteratorISI_EEEEENSH_IJSG_SG_SG_EEES9_SI_JZNS1_25segmented_radix_sort_implINS0_14default_configELb1EPKfPfPKlPlN2at6native12_GLOBAL__N_18offset_tEEE10hipError_tPvRmT1_PNSt15iterator_traitsIS12_E10value_typeET2_T3_PNS13_IS18_E10value_typeET4_jRbjT5_S1E_jjP12ihipStream_tbEUljE_ZNSN_ISO_Lb1ESQ_SR_ST_SU_SY_EESZ_S10_S11_S12_S16_S17_S18_S1B_S1C_jS1D_jS1E_S1E_jjS1G_bEUljE0_EEESZ_S10_S11_S18_S1C_S1E_T6_T7_T9_mT8_S1G_bDpT10_ENKUlT_T0_E_clISt17integral_constantIbLb0EES1T_IbLb1EEEEDaS1P_S1Q_EUlS1P_E_NS1_11comp_targetILNS1_3genE3ELNS1_11target_archE908ELNS1_3gpuE7ELNS1_3repE0EEENS1_30default_config_static_selectorELNS0_4arch9wavefront6targetE0EEEvS12_.has_dyn_sized_stack, 0
	.set _ZN7rocprim17ROCPRIM_400000_NS6detail17trampoline_kernelINS0_13select_configILj256ELj13ELNS0_17block_load_methodE3ELS4_3ELS4_3ELNS0_20block_scan_algorithmE0ELj4294967295EEENS1_25partition_config_selectorILNS1_17partition_subalgoE4EjNS0_10empty_typeEbEEZZNS1_14partition_implILS8_4ELb0ES6_15HIP_vector_typeIjLj2EENS0_17counting_iteratorIjlEEPS9_SG_NS0_5tupleIJPjSI_NS0_16reverse_iteratorISI_EEEEENSH_IJSG_SG_SG_EEES9_SI_JZNS1_25segmented_radix_sort_implINS0_14default_configELb1EPKfPfPKlPlN2at6native12_GLOBAL__N_18offset_tEEE10hipError_tPvRmT1_PNSt15iterator_traitsIS12_E10value_typeET2_T3_PNS13_IS18_E10value_typeET4_jRbjT5_S1E_jjP12ihipStream_tbEUljE_ZNSN_ISO_Lb1ESQ_SR_ST_SU_SY_EESZ_S10_S11_S12_S16_S17_S18_S1B_S1C_jS1D_jS1E_S1E_jjS1G_bEUljE0_EEESZ_S10_S11_S18_S1C_S1E_T6_T7_T9_mT8_S1G_bDpT10_ENKUlT_T0_E_clISt17integral_constantIbLb0EES1T_IbLb1EEEEDaS1P_S1Q_EUlS1P_E_NS1_11comp_targetILNS1_3genE3ELNS1_11target_archE908ELNS1_3gpuE7ELNS1_3repE0EEENS1_30default_config_static_selectorELNS0_4arch9wavefront6targetE0EEEvS12_.has_recursion, 0
	.set _ZN7rocprim17ROCPRIM_400000_NS6detail17trampoline_kernelINS0_13select_configILj256ELj13ELNS0_17block_load_methodE3ELS4_3ELS4_3ELNS0_20block_scan_algorithmE0ELj4294967295EEENS1_25partition_config_selectorILNS1_17partition_subalgoE4EjNS0_10empty_typeEbEEZZNS1_14partition_implILS8_4ELb0ES6_15HIP_vector_typeIjLj2EENS0_17counting_iteratorIjlEEPS9_SG_NS0_5tupleIJPjSI_NS0_16reverse_iteratorISI_EEEEENSH_IJSG_SG_SG_EEES9_SI_JZNS1_25segmented_radix_sort_implINS0_14default_configELb1EPKfPfPKlPlN2at6native12_GLOBAL__N_18offset_tEEE10hipError_tPvRmT1_PNSt15iterator_traitsIS12_E10value_typeET2_T3_PNS13_IS18_E10value_typeET4_jRbjT5_S1E_jjP12ihipStream_tbEUljE_ZNSN_ISO_Lb1ESQ_SR_ST_SU_SY_EESZ_S10_S11_S12_S16_S17_S18_S1B_S1C_jS1D_jS1E_S1E_jjS1G_bEUljE0_EEESZ_S10_S11_S18_S1C_S1E_T6_T7_T9_mT8_S1G_bDpT10_ENKUlT_T0_E_clISt17integral_constantIbLb0EES1T_IbLb1EEEEDaS1P_S1Q_EUlS1P_E_NS1_11comp_targetILNS1_3genE3ELNS1_11target_archE908ELNS1_3gpuE7ELNS1_3repE0EEENS1_30default_config_static_selectorELNS0_4arch9wavefront6targetE0EEEvS12_.has_indirect_call, 0
	.section	.AMDGPU.csdata,"",@progbits
; Kernel info:
; codeLenInByte = 0
; TotalNumSgprs: 0
; NumVgprs: 0
; ScratchSize: 0
; MemoryBound: 0
; FloatMode: 240
; IeeeMode: 1
; LDSByteSize: 0 bytes/workgroup (compile time only)
; SGPRBlocks: 0
; VGPRBlocks: 0
; NumSGPRsForWavesPerEU: 1
; NumVGPRsForWavesPerEU: 1
; Occupancy: 16
; WaveLimiterHint : 0
; COMPUTE_PGM_RSRC2:SCRATCH_EN: 0
; COMPUTE_PGM_RSRC2:USER_SGPR: 6
; COMPUTE_PGM_RSRC2:TRAP_HANDLER: 0
; COMPUTE_PGM_RSRC2:TGID_X_EN: 1
; COMPUTE_PGM_RSRC2:TGID_Y_EN: 0
; COMPUTE_PGM_RSRC2:TGID_Z_EN: 0
; COMPUTE_PGM_RSRC2:TIDIG_COMP_CNT: 0
	.section	.text._ZN7rocprim17ROCPRIM_400000_NS6detail17trampoline_kernelINS0_13select_configILj256ELj13ELNS0_17block_load_methodE3ELS4_3ELS4_3ELNS0_20block_scan_algorithmE0ELj4294967295EEENS1_25partition_config_selectorILNS1_17partition_subalgoE4EjNS0_10empty_typeEbEEZZNS1_14partition_implILS8_4ELb0ES6_15HIP_vector_typeIjLj2EENS0_17counting_iteratorIjlEEPS9_SG_NS0_5tupleIJPjSI_NS0_16reverse_iteratorISI_EEEEENSH_IJSG_SG_SG_EEES9_SI_JZNS1_25segmented_radix_sort_implINS0_14default_configELb1EPKfPfPKlPlN2at6native12_GLOBAL__N_18offset_tEEE10hipError_tPvRmT1_PNSt15iterator_traitsIS12_E10value_typeET2_T3_PNS13_IS18_E10value_typeET4_jRbjT5_S1E_jjP12ihipStream_tbEUljE_ZNSN_ISO_Lb1ESQ_SR_ST_SU_SY_EESZ_S10_S11_S12_S16_S17_S18_S1B_S1C_jS1D_jS1E_S1E_jjS1G_bEUljE0_EEESZ_S10_S11_S18_S1C_S1E_T6_T7_T9_mT8_S1G_bDpT10_ENKUlT_T0_E_clISt17integral_constantIbLb0EES1T_IbLb1EEEEDaS1P_S1Q_EUlS1P_E_NS1_11comp_targetILNS1_3genE2ELNS1_11target_archE906ELNS1_3gpuE6ELNS1_3repE0EEENS1_30default_config_static_selectorELNS0_4arch9wavefront6targetE0EEEvS12_,"axG",@progbits,_ZN7rocprim17ROCPRIM_400000_NS6detail17trampoline_kernelINS0_13select_configILj256ELj13ELNS0_17block_load_methodE3ELS4_3ELS4_3ELNS0_20block_scan_algorithmE0ELj4294967295EEENS1_25partition_config_selectorILNS1_17partition_subalgoE4EjNS0_10empty_typeEbEEZZNS1_14partition_implILS8_4ELb0ES6_15HIP_vector_typeIjLj2EENS0_17counting_iteratorIjlEEPS9_SG_NS0_5tupleIJPjSI_NS0_16reverse_iteratorISI_EEEEENSH_IJSG_SG_SG_EEES9_SI_JZNS1_25segmented_radix_sort_implINS0_14default_configELb1EPKfPfPKlPlN2at6native12_GLOBAL__N_18offset_tEEE10hipError_tPvRmT1_PNSt15iterator_traitsIS12_E10value_typeET2_T3_PNS13_IS18_E10value_typeET4_jRbjT5_S1E_jjP12ihipStream_tbEUljE_ZNSN_ISO_Lb1ESQ_SR_ST_SU_SY_EESZ_S10_S11_S12_S16_S17_S18_S1B_S1C_jS1D_jS1E_S1E_jjS1G_bEUljE0_EEESZ_S10_S11_S18_S1C_S1E_T6_T7_T9_mT8_S1G_bDpT10_ENKUlT_T0_E_clISt17integral_constantIbLb0EES1T_IbLb1EEEEDaS1P_S1Q_EUlS1P_E_NS1_11comp_targetILNS1_3genE2ELNS1_11target_archE906ELNS1_3gpuE6ELNS1_3repE0EEENS1_30default_config_static_selectorELNS0_4arch9wavefront6targetE0EEEvS12_,comdat
	.globl	_ZN7rocprim17ROCPRIM_400000_NS6detail17trampoline_kernelINS0_13select_configILj256ELj13ELNS0_17block_load_methodE3ELS4_3ELS4_3ELNS0_20block_scan_algorithmE0ELj4294967295EEENS1_25partition_config_selectorILNS1_17partition_subalgoE4EjNS0_10empty_typeEbEEZZNS1_14partition_implILS8_4ELb0ES6_15HIP_vector_typeIjLj2EENS0_17counting_iteratorIjlEEPS9_SG_NS0_5tupleIJPjSI_NS0_16reverse_iteratorISI_EEEEENSH_IJSG_SG_SG_EEES9_SI_JZNS1_25segmented_radix_sort_implINS0_14default_configELb1EPKfPfPKlPlN2at6native12_GLOBAL__N_18offset_tEEE10hipError_tPvRmT1_PNSt15iterator_traitsIS12_E10value_typeET2_T3_PNS13_IS18_E10value_typeET4_jRbjT5_S1E_jjP12ihipStream_tbEUljE_ZNSN_ISO_Lb1ESQ_SR_ST_SU_SY_EESZ_S10_S11_S12_S16_S17_S18_S1B_S1C_jS1D_jS1E_S1E_jjS1G_bEUljE0_EEESZ_S10_S11_S18_S1C_S1E_T6_T7_T9_mT8_S1G_bDpT10_ENKUlT_T0_E_clISt17integral_constantIbLb0EES1T_IbLb1EEEEDaS1P_S1Q_EUlS1P_E_NS1_11comp_targetILNS1_3genE2ELNS1_11target_archE906ELNS1_3gpuE6ELNS1_3repE0EEENS1_30default_config_static_selectorELNS0_4arch9wavefront6targetE0EEEvS12_ ; -- Begin function _ZN7rocprim17ROCPRIM_400000_NS6detail17trampoline_kernelINS0_13select_configILj256ELj13ELNS0_17block_load_methodE3ELS4_3ELS4_3ELNS0_20block_scan_algorithmE0ELj4294967295EEENS1_25partition_config_selectorILNS1_17partition_subalgoE4EjNS0_10empty_typeEbEEZZNS1_14partition_implILS8_4ELb0ES6_15HIP_vector_typeIjLj2EENS0_17counting_iteratorIjlEEPS9_SG_NS0_5tupleIJPjSI_NS0_16reverse_iteratorISI_EEEEENSH_IJSG_SG_SG_EEES9_SI_JZNS1_25segmented_radix_sort_implINS0_14default_configELb1EPKfPfPKlPlN2at6native12_GLOBAL__N_18offset_tEEE10hipError_tPvRmT1_PNSt15iterator_traitsIS12_E10value_typeET2_T3_PNS13_IS18_E10value_typeET4_jRbjT5_S1E_jjP12ihipStream_tbEUljE_ZNSN_ISO_Lb1ESQ_SR_ST_SU_SY_EESZ_S10_S11_S12_S16_S17_S18_S1B_S1C_jS1D_jS1E_S1E_jjS1G_bEUljE0_EEESZ_S10_S11_S18_S1C_S1E_T6_T7_T9_mT8_S1G_bDpT10_ENKUlT_T0_E_clISt17integral_constantIbLb0EES1T_IbLb1EEEEDaS1P_S1Q_EUlS1P_E_NS1_11comp_targetILNS1_3genE2ELNS1_11target_archE906ELNS1_3gpuE6ELNS1_3repE0EEENS1_30default_config_static_selectorELNS0_4arch9wavefront6targetE0EEEvS12_
	.p2align	8
	.type	_ZN7rocprim17ROCPRIM_400000_NS6detail17trampoline_kernelINS0_13select_configILj256ELj13ELNS0_17block_load_methodE3ELS4_3ELS4_3ELNS0_20block_scan_algorithmE0ELj4294967295EEENS1_25partition_config_selectorILNS1_17partition_subalgoE4EjNS0_10empty_typeEbEEZZNS1_14partition_implILS8_4ELb0ES6_15HIP_vector_typeIjLj2EENS0_17counting_iteratorIjlEEPS9_SG_NS0_5tupleIJPjSI_NS0_16reverse_iteratorISI_EEEEENSH_IJSG_SG_SG_EEES9_SI_JZNS1_25segmented_radix_sort_implINS0_14default_configELb1EPKfPfPKlPlN2at6native12_GLOBAL__N_18offset_tEEE10hipError_tPvRmT1_PNSt15iterator_traitsIS12_E10value_typeET2_T3_PNS13_IS18_E10value_typeET4_jRbjT5_S1E_jjP12ihipStream_tbEUljE_ZNSN_ISO_Lb1ESQ_SR_ST_SU_SY_EESZ_S10_S11_S12_S16_S17_S18_S1B_S1C_jS1D_jS1E_S1E_jjS1G_bEUljE0_EEESZ_S10_S11_S18_S1C_S1E_T6_T7_T9_mT8_S1G_bDpT10_ENKUlT_T0_E_clISt17integral_constantIbLb0EES1T_IbLb1EEEEDaS1P_S1Q_EUlS1P_E_NS1_11comp_targetILNS1_3genE2ELNS1_11target_archE906ELNS1_3gpuE6ELNS1_3repE0EEENS1_30default_config_static_selectorELNS0_4arch9wavefront6targetE0EEEvS12_,@function
_ZN7rocprim17ROCPRIM_400000_NS6detail17trampoline_kernelINS0_13select_configILj256ELj13ELNS0_17block_load_methodE3ELS4_3ELS4_3ELNS0_20block_scan_algorithmE0ELj4294967295EEENS1_25partition_config_selectorILNS1_17partition_subalgoE4EjNS0_10empty_typeEbEEZZNS1_14partition_implILS8_4ELb0ES6_15HIP_vector_typeIjLj2EENS0_17counting_iteratorIjlEEPS9_SG_NS0_5tupleIJPjSI_NS0_16reverse_iteratorISI_EEEEENSH_IJSG_SG_SG_EEES9_SI_JZNS1_25segmented_radix_sort_implINS0_14default_configELb1EPKfPfPKlPlN2at6native12_GLOBAL__N_18offset_tEEE10hipError_tPvRmT1_PNSt15iterator_traitsIS12_E10value_typeET2_T3_PNS13_IS18_E10value_typeET4_jRbjT5_S1E_jjP12ihipStream_tbEUljE_ZNSN_ISO_Lb1ESQ_SR_ST_SU_SY_EESZ_S10_S11_S12_S16_S17_S18_S1B_S1C_jS1D_jS1E_S1E_jjS1G_bEUljE0_EEESZ_S10_S11_S18_S1C_S1E_T6_T7_T9_mT8_S1G_bDpT10_ENKUlT_T0_E_clISt17integral_constantIbLb0EES1T_IbLb1EEEEDaS1P_S1Q_EUlS1P_E_NS1_11comp_targetILNS1_3genE2ELNS1_11target_archE906ELNS1_3gpuE6ELNS1_3repE0EEENS1_30default_config_static_selectorELNS0_4arch9wavefront6targetE0EEEvS12_: ; @_ZN7rocprim17ROCPRIM_400000_NS6detail17trampoline_kernelINS0_13select_configILj256ELj13ELNS0_17block_load_methodE3ELS4_3ELS4_3ELNS0_20block_scan_algorithmE0ELj4294967295EEENS1_25partition_config_selectorILNS1_17partition_subalgoE4EjNS0_10empty_typeEbEEZZNS1_14partition_implILS8_4ELb0ES6_15HIP_vector_typeIjLj2EENS0_17counting_iteratorIjlEEPS9_SG_NS0_5tupleIJPjSI_NS0_16reverse_iteratorISI_EEEEENSH_IJSG_SG_SG_EEES9_SI_JZNS1_25segmented_radix_sort_implINS0_14default_configELb1EPKfPfPKlPlN2at6native12_GLOBAL__N_18offset_tEEE10hipError_tPvRmT1_PNSt15iterator_traitsIS12_E10value_typeET2_T3_PNS13_IS18_E10value_typeET4_jRbjT5_S1E_jjP12ihipStream_tbEUljE_ZNSN_ISO_Lb1ESQ_SR_ST_SU_SY_EESZ_S10_S11_S12_S16_S17_S18_S1B_S1C_jS1D_jS1E_S1E_jjS1G_bEUljE0_EEESZ_S10_S11_S18_S1C_S1E_T6_T7_T9_mT8_S1G_bDpT10_ENKUlT_T0_E_clISt17integral_constantIbLb0EES1T_IbLb1EEEEDaS1P_S1Q_EUlS1P_E_NS1_11comp_targetILNS1_3genE2ELNS1_11target_archE906ELNS1_3gpuE6ELNS1_3repE0EEENS1_30default_config_static_selectorELNS0_4arch9wavefront6targetE0EEEvS12_
; %bb.0:
	.section	.rodata,"a",@progbits
	.p2align	6, 0x0
	.amdhsa_kernel _ZN7rocprim17ROCPRIM_400000_NS6detail17trampoline_kernelINS0_13select_configILj256ELj13ELNS0_17block_load_methodE3ELS4_3ELS4_3ELNS0_20block_scan_algorithmE0ELj4294967295EEENS1_25partition_config_selectorILNS1_17partition_subalgoE4EjNS0_10empty_typeEbEEZZNS1_14partition_implILS8_4ELb0ES6_15HIP_vector_typeIjLj2EENS0_17counting_iteratorIjlEEPS9_SG_NS0_5tupleIJPjSI_NS0_16reverse_iteratorISI_EEEEENSH_IJSG_SG_SG_EEES9_SI_JZNS1_25segmented_radix_sort_implINS0_14default_configELb1EPKfPfPKlPlN2at6native12_GLOBAL__N_18offset_tEEE10hipError_tPvRmT1_PNSt15iterator_traitsIS12_E10value_typeET2_T3_PNS13_IS18_E10value_typeET4_jRbjT5_S1E_jjP12ihipStream_tbEUljE_ZNSN_ISO_Lb1ESQ_SR_ST_SU_SY_EESZ_S10_S11_S12_S16_S17_S18_S1B_S1C_jS1D_jS1E_S1E_jjS1G_bEUljE0_EEESZ_S10_S11_S18_S1C_S1E_T6_T7_T9_mT8_S1G_bDpT10_ENKUlT_T0_E_clISt17integral_constantIbLb0EES1T_IbLb1EEEEDaS1P_S1Q_EUlS1P_E_NS1_11comp_targetILNS1_3genE2ELNS1_11target_archE906ELNS1_3gpuE6ELNS1_3repE0EEENS1_30default_config_static_selectorELNS0_4arch9wavefront6targetE0EEEvS12_
		.amdhsa_group_segment_fixed_size 0
		.amdhsa_private_segment_fixed_size 0
		.amdhsa_kernarg_size 184
		.amdhsa_user_sgpr_count 6
		.amdhsa_user_sgpr_private_segment_buffer 1
		.amdhsa_user_sgpr_dispatch_ptr 0
		.amdhsa_user_sgpr_queue_ptr 0
		.amdhsa_user_sgpr_kernarg_segment_ptr 1
		.amdhsa_user_sgpr_dispatch_id 0
		.amdhsa_user_sgpr_flat_scratch_init 0
		.amdhsa_user_sgpr_private_segment_size 0
		.amdhsa_wavefront_size32 1
		.amdhsa_uses_dynamic_stack 0
		.amdhsa_system_sgpr_private_segment_wavefront_offset 0
		.amdhsa_system_sgpr_workgroup_id_x 1
		.amdhsa_system_sgpr_workgroup_id_y 0
		.amdhsa_system_sgpr_workgroup_id_z 0
		.amdhsa_system_sgpr_workgroup_info 0
		.amdhsa_system_vgpr_workitem_id 0
		.amdhsa_next_free_vgpr 1
		.amdhsa_next_free_sgpr 1
		.amdhsa_reserve_vcc 0
		.amdhsa_reserve_flat_scratch 0
		.amdhsa_float_round_mode_32 0
		.amdhsa_float_round_mode_16_64 0
		.amdhsa_float_denorm_mode_32 3
		.amdhsa_float_denorm_mode_16_64 3
		.amdhsa_dx10_clamp 1
		.amdhsa_ieee_mode 1
		.amdhsa_fp16_overflow 0
		.amdhsa_workgroup_processor_mode 1
		.amdhsa_memory_ordered 1
		.amdhsa_forward_progress 1
		.amdhsa_shared_vgpr_count 0
		.amdhsa_exception_fp_ieee_invalid_op 0
		.amdhsa_exception_fp_denorm_src 0
		.amdhsa_exception_fp_ieee_div_zero 0
		.amdhsa_exception_fp_ieee_overflow 0
		.amdhsa_exception_fp_ieee_underflow 0
		.amdhsa_exception_fp_ieee_inexact 0
		.amdhsa_exception_int_div_zero 0
	.end_amdhsa_kernel
	.section	.text._ZN7rocprim17ROCPRIM_400000_NS6detail17trampoline_kernelINS0_13select_configILj256ELj13ELNS0_17block_load_methodE3ELS4_3ELS4_3ELNS0_20block_scan_algorithmE0ELj4294967295EEENS1_25partition_config_selectorILNS1_17partition_subalgoE4EjNS0_10empty_typeEbEEZZNS1_14partition_implILS8_4ELb0ES6_15HIP_vector_typeIjLj2EENS0_17counting_iteratorIjlEEPS9_SG_NS0_5tupleIJPjSI_NS0_16reverse_iteratorISI_EEEEENSH_IJSG_SG_SG_EEES9_SI_JZNS1_25segmented_radix_sort_implINS0_14default_configELb1EPKfPfPKlPlN2at6native12_GLOBAL__N_18offset_tEEE10hipError_tPvRmT1_PNSt15iterator_traitsIS12_E10value_typeET2_T3_PNS13_IS18_E10value_typeET4_jRbjT5_S1E_jjP12ihipStream_tbEUljE_ZNSN_ISO_Lb1ESQ_SR_ST_SU_SY_EESZ_S10_S11_S12_S16_S17_S18_S1B_S1C_jS1D_jS1E_S1E_jjS1G_bEUljE0_EEESZ_S10_S11_S18_S1C_S1E_T6_T7_T9_mT8_S1G_bDpT10_ENKUlT_T0_E_clISt17integral_constantIbLb0EES1T_IbLb1EEEEDaS1P_S1Q_EUlS1P_E_NS1_11comp_targetILNS1_3genE2ELNS1_11target_archE906ELNS1_3gpuE6ELNS1_3repE0EEENS1_30default_config_static_selectorELNS0_4arch9wavefront6targetE0EEEvS12_,"axG",@progbits,_ZN7rocprim17ROCPRIM_400000_NS6detail17trampoline_kernelINS0_13select_configILj256ELj13ELNS0_17block_load_methodE3ELS4_3ELS4_3ELNS0_20block_scan_algorithmE0ELj4294967295EEENS1_25partition_config_selectorILNS1_17partition_subalgoE4EjNS0_10empty_typeEbEEZZNS1_14partition_implILS8_4ELb0ES6_15HIP_vector_typeIjLj2EENS0_17counting_iteratorIjlEEPS9_SG_NS0_5tupleIJPjSI_NS0_16reverse_iteratorISI_EEEEENSH_IJSG_SG_SG_EEES9_SI_JZNS1_25segmented_radix_sort_implINS0_14default_configELb1EPKfPfPKlPlN2at6native12_GLOBAL__N_18offset_tEEE10hipError_tPvRmT1_PNSt15iterator_traitsIS12_E10value_typeET2_T3_PNS13_IS18_E10value_typeET4_jRbjT5_S1E_jjP12ihipStream_tbEUljE_ZNSN_ISO_Lb1ESQ_SR_ST_SU_SY_EESZ_S10_S11_S12_S16_S17_S18_S1B_S1C_jS1D_jS1E_S1E_jjS1G_bEUljE0_EEESZ_S10_S11_S18_S1C_S1E_T6_T7_T9_mT8_S1G_bDpT10_ENKUlT_T0_E_clISt17integral_constantIbLb0EES1T_IbLb1EEEEDaS1P_S1Q_EUlS1P_E_NS1_11comp_targetILNS1_3genE2ELNS1_11target_archE906ELNS1_3gpuE6ELNS1_3repE0EEENS1_30default_config_static_selectorELNS0_4arch9wavefront6targetE0EEEvS12_,comdat
.Lfunc_end1281:
	.size	_ZN7rocprim17ROCPRIM_400000_NS6detail17trampoline_kernelINS0_13select_configILj256ELj13ELNS0_17block_load_methodE3ELS4_3ELS4_3ELNS0_20block_scan_algorithmE0ELj4294967295EEENS1_25partition_config_selectorILNS1_17partition_subalgoE4EjNS0_10empty_typeEbEEZZNS1_14partition_implILS8_4ELb0ES6_15HIP_vector_typeIjLj2EENS0_17counting_iteratorIjlEEPS9_SG_NS0_5tupleIJPjSI_NS0_16reverse_iteratorISI_EEEEENSH_IJSG_SG_SG_EEES9_SI_JZNS1_25segmented_radix_sort_implINS0_14default_configELb1EPKfPfPKlPlN2at6native12_GLOBAL__N_18offset_tEEE10hipError_tPvRmT1_PNSt15iterator_traitsIS12_E10value_typeET2_T3_PNS13_IS18_E10value_typeET4_jRbjT5_S1E_jjP12ihipStream_tbEUljE_ZNSN_ISO_Lb1ESQ_SR_ST_SU_SY_EESZ_S10_S11_S12_S16_S17_S18_S1B_S1C_jS1D_jS1E_S1E_jjS1G_bEUljE0_EEESZ_S10_S11_S18_S1C_S1E_T6_T7_T9_mT8_S1G_bDpT10_ENKUlT_T0_E_clISt17integral_constantIbLb0EES1T_IbLb1EEEEDaS1P_S1Q_EUlS1P_E_NS1_11comp_targetILNS1_3genE2ELNS1_11target_archE906ELNS1_3gpuE6ELNS1_3repE0EEENS1_30default_config_static_selectorELNS0_4arch9wavefront6targetE0EEEvS12_, .Lfunc_end1281-_ZN7rocprim17ROCPRIM_400000_NS6detail17trampoline_kernelINS0_13select_configILj256ELj13ELNS0_17block_load_methodE3ELS4_3ELS4_3ELNS0_20block_scan_algorithmE0ELj4294967295EEENS1_25partition_config_selectorILNS1_17partition_subalgoE4EjNS0_10empty_typeEbEEZZNS1_14partition_implILS8_4ELb0ES6_15HIP_vector_typeIjLj2EENS0_17counting_iteratorIjlEEPS9_SG_NS0_5tupleIJPjSI_NS0_16reverse_iteratorISI_EEEEENSH_IJSG_SG_SG_EEES9_SI_JZNS1_25segmented_radix_sort_implINS0_14default_configELb1EPKfPfPKlPlN2at6native12_GLOBAL__N_18offset_tEEE10hipError_tPvRmT1_PNSt15iterator_traitsIS12_E10value_typeET2_T3_PNS13_IS18_E10value_typeET4_jRbjT5_S1E_jjP12ihipStream_tbEUljE_ZNSN_ISO_Lb1ESQ_SR_ST_SU_SY_EESZ_S10_S11_S12_S16_S17_S18_S1B_S1C_jS1D_jS1E_S1E_jjS1G_bEUljE0_EEESZ_S10_S11_S18_S1C_S1E_T6_T7_T9_mT8_S1G_bDpT10_ENKUlT_T0_E_clISt17integral_constantIbLb0EES1T_IbLb1EEEEDaS1P_S1Q_EUlS1P_E_NS1_11comp_targetILNS1_3genE2ELNS1_11target_archE906ELNS1_3gpuE6ELNS1_3repE0EEENS1_30default_config_static_selectorELNS0_4arch9wavefront6targetE0EEEvS12_
                                        ; -- End function
	.set _ZN7rocprim17ROCPRIM_400000_NS6detail17trampoline_kernelINS0_13select_configILj256ELj13ELNS0_17block_load_methodE3ELS4_3ELS4_3ELNS0_20block_scan_algorithmE0ELj4294967295EEENS1_25partition_config_selectorILNS1_17partition_subalgoE4EjNS0_10empty_typeEbEEZZNS1_14partition_implILS8_4ELb0ES6_15HIP_vector_typeIjLj2EENS0_17counting_iteratorIjlEEPS9_SG_NS0_5tupleIJPjSI_NS0_16reverse_iteratorISI_EEEEENSH_IJSG_SG_SG_EEES9_SI_JZNS1_25segmented_radix_sort_implINS0_14default_configELb1EPKfPfPKlPlN2at6native12_GLOBAL__N_18offset_tEEE10hipError_tPvRmT1_PNSt15iterator_traitsIS12_E10value_typeET2_T3_PNS13_IS18_E10value_typeET4_jRbjT5_S1E_jjP12ihipStream_tbEUljE_ZNSN_ISO_Lb1ESQ_SR_ST_SU_SY_EESZ_S10_S11_S12_S16_S17_S18_S1B_S1C_jS1D_jS1E_S1E_jjS1G_bEUljE0_EEESZ_S10_S11_S18_S1C_S1E_T6_T7_T9_mT8_S1G_bDpT10_ENKUlT_T0_E_clISt17integral_constantIbLb0EES1T_IbLb1EEEEDaS1P_S1Q_EUlS1P_E_NS1_11comp_targetILNS1_3genE2ELNS1_11target_archE906ELNS1_3gpuE6ELNS1_3repE0EEENS1_30default_config_static_selectorELNS0_4arch9wavefront6targetE0EEEvS12_.num_vgpr, 0
	.set _ZN7rocprim17ROCPRIM_400000_NS6detail17trampoline_kernelINS0_13select_configILj256ELj13ELNS0_17block_load_methodE3ELS4_3ELS4_3ELNS0_20block_scan_algorithmE0ELj4294967295EEENS1_25partition_config_selectorILNS1_17partition_subalgoE4EjNS0_10empty_typeEbEEZZNS1_14partition_implILS8_4ELb0ES6_15HIP_vector_typeIjLj2EENS0_17counting_iteratorIjlEEPS9_SG_NS0_5tupleIJPjSI_NS0_16reverse_iteratorISI_EEEEENSH_IJSG_SG_SG_EEES9_SI_JZNS1_25segmented_radix_sort_implINS0_14default_configELb1EPKfPfPKlPlN2at6native12_GLOBAL__N_18offset_tEEE10hipError_tPvRmT1_PNSt15iterator_traitsIS12_E10value_typeET2_T3_PNS13_IS18_E10value_typeET4_jRbjT5_S1E_jjP12ihipStream_tbEUljE_ZNSN_ISO_Lb1ESQ_SR_ST_SU_SY_EESZ_S10_S11_S12_S16_S17_S18_S1B_S1C_jS1D_jS1E_S1E_jjS1G_bEUljE0_EEESZ_S10_S11_S18_S1C_S1E_T6_T7_T9_mT8_S1G_bDpT10_ENKUlT_T0_E_clISt17integral_constantIbLb0EES1T_IbLb1EEEEDaS1P_S1Q_EUlS1P_E_NS1_11comp_targetILNS1_3genE2ELNS1_11target_archE906ELNS1_3gpuE6ELNS1_3repE0EEENS1_30default_config_static_selectorELNS0_4arch9wavefront6targetE0EEEvS12_.num_agpr, 0
	.set _ZN7rocprim17ROCPRIM_400000_NS6detail17trampoline_kernelINS0_13select_configILj256ELj13ELNS0_17block_load_methodE3ELS4_3ELS4_3ELNS0_20block_scan_algorithmE0ELj4294967295EEENS1_25partition_config_selectorILNS1_17partition_subalgoE4EjNS0_10empty_typeEbEEZZNS1_14partition_implILS8_4ELb0ES6_15HIP_vector_typeIjLj2EENS0_17counting_iteratorIjlEEPS9_SG_NS0_5tupleIJPjSI_NS0_16reverse_iteratorISI_EEEEENSH_IJSG_SG_SG_EEES9_SI_JZNS1_25segmented_radix_sort_implINS0_14default_configELb1EPKfPfPKlPlN2at6native12_GLOBAL__N_18offset_tEEE10hipError_tPvRmT1_PNSt15iterator_traitsIS12_E10value_typeET2_T3_PNS13_IS18_E10value_typeET4_jRbjT5_S1E_jjP12ihipStream_tbEUljE_ZNSN_ISO_Lb1ESQ_SR_ST_SU_SY_EESZ_S10_S11_S12_S16_S17_S18_S1B_S1C_jS1D_jS1E_S1E_jjS1G_bEUljE0_EEESZ_S10_S11_S18_S1C_S1E_T6_T7_T9_mT8_S1G_bDpT10_ENKUlT_T0_E_clISt17integral_constantIbLb0EES1T_IbLb1EEEEDaS1P_S1Q_EUlS1P_E_NS1_11comp_targetILNS1_3genE2ELNS1_11target_archE906ELNS1_3gpuE6ELNS1_3repE0EEENS1_30default_config_static_selectorELNS0_4arch9wavefront6targetE0EEEvS12_.numbered_sgpr, 0
	.set _ZN7rocprim17ROCPRIM_400000_NS6detail17trampoline_kernelINS0_13select_configILj256ELj13ELNS0_17block_load_methodE3ELS4_3ELS4_3ELNS0_20block_scan_algorithmE0ELj4294967295EEENS1_25partition_config_selectorILNS1_17partition_subalgoE4EjNS0_10empty_typeEbEEZZNS1_14partition_implILS8_4ELb0ES6_15HIP_vector_typeIjLj2EENS0_17counting_iteratorIjlEEPS9_SG_NS0_5tupleIJPjSI_NS0_16reverse_iteratorISI_EEEEENSH_IJSG_SG_SG_EEES9_SI_JZNS1_25segmented_radix_sort_implINS0_14default_configELb1EPKfPfPKlPlN2at6native12_GLOBAL__N_18offset_tEEE10hipError_tPvRmT1_PNSt15iterator_traitsIS12_E10value_typeET2_T3_PNS13_IS18_E10value_typeET4_jRbjT5_S1E_jjP12ihipStream_tbEUljE_ZNSN_ISO_Lb1ESQ_SR_ST_SU_SY_EESZ_S10_S11_S12_S16_S17_S18_S1B_S1C_jS1D_jS1E_S1E_jjS1G_bEUljE0_EEESZ_S10_S11_S18_S1C_S1E_T6_T7_T9_mT8_S1G_bDpT10_ENKUlT_T0_E_clISt17integral_constantIbLb0EES1T_IbLb1EEEEDaS1P_S1Q_EUlS1P_E_NS1_11comp_targetILNS1_3genE2ELNS1_11target_archE906ELNS1_3gpuE6ELNS1_3repE0EEENS1_30default_config_static_selectorELNS0_4arch9wavefront6targetE0EEEvS12_.num_named_barrier, 0
	.set _ZN7rocprim17ROCPRIM_400000_NS6detail17trampoline_kernelINS0_13select_configILj256ELj13ELNS0_17block_load_methodE3ELS4_3ELS4_3ELNS0_20block_scan_algorithmE0ELj4294967295EEENS1_25partition_config_selectorILNS1_17partition_subalgoE4EjNS0_10empty_typeEbEEZZNS1_14partition_implILS8_4ELb0ES6_15HIP_vector_typeIjLj2EENS0_17counting_iteratorIjlEEPS9_SG_NS0_5tupleIJPjSI_NS0_16reverse_iteratorISI_EEEEENSH_IJSG_SG_SG_EEES9_SI_JZNS1_25segmented_radix_sort_implINS0_14default_configELb1EPKfPfPKlPlN2at6native12_GLOBAL__N_18offset_tEEE10hipError_tPvRmT1_PNSt15iterator_traitsIS12_E10value_typeET2_T3_PNS13_IS18_E10value_typeET4_jRbjT5_S1E_jjP12ihipStream_tbEUljE_ZNSN_ISO_Lb1ESQ_SR_ST_SU_SY_EESZ_S10_S11_S12_S16_S17_S18_S1B_S1C_jS1D_jS1E_S1E_jjS1G_bEUljE0_EEESZ_S10_S11_S18_S1C_S1E_T6_T7_T9_mT8_S1G_bDpT10_ENKUlT_T0_E_clISt17integral_constantIbLb0EES1T_IbLb1EEEEDaS1P_S1Q_EUlS1P_E_NS1_11comp_targetILNS1_3genE2ELNS1_11target_archE906ELNS1_3gpuE6ELNS1_3repE0EEENS1_30default_config_static_selectorELNS0_4arch9wavefront6targetE0EEEvS12_.private_seg_size, 0
	.set _ZN7rocprim17ROCPRIM_400000_NS6detail17trampoline_kernelINS0_13select_configILj256ELj13ELNS0_17block_load_methodE3ELS4_3ELS4_3ELNS0_20block_scan_algorithmE0ELj4294967295EEENS1_25partition_config_selectorILNS1_17partition_subalgoE4EjNS0_10empty_typeEbEEZZNS1_14partition_implILS8_4ELb0ES6_15HIP_vector_typeIjLj2EENS0_17counting_iteratorIjlEEPS9_SG_NS0_5tupleIJPjSI_NS0_16reverse_iteratorISI_EEEEENSH_IJSG_SG_SG_EEES9_SI_JZNS1_25segmented_radix_sort_implINS0_14default_configELb1EPKfPfPKlPlN2at6native12_GLOBAL__N_18offset_tEEE10hipError_tPvRmT1_PNSt15iterator_traitsIS12_E10value_typeET2_T3_PNS13_IS18_E10value_typeET4_jRbjT5_S1E_jjP12ihipStream_tbEUljE_ZNSN_ISO_Lb1ESQ_SR_ST_SU_SY_EESZ_S10_S11_S12_S16_S17_S18_S1B_S1C_jS1D_jS1E_S1E_jjS1G_bEUljE0_EEESZ_S10_S11_S18_S1C_S1E_T6_T7_T9_mT8_S1G_bDpT10_ENKUlT_T0_E_clISt17integral_constantIbLb0EES1T_IbLb1EEEEDaS1P_S1Q_EUlS1P_E_NS1_11comp_targetILNS1_3genE2ELNS1_11target_archE906ELNS1_3gpuE6ELNS1_3repE0EEENS1_30default_config_static_selectorELNS0_4arch9wavefront6targetE0EEEvS12_.uses_vcc, 0
	.set _ZN7rocprim17ROCPRIM_400000_NS6detail17trampoline_kernelINS0_13select_configILj256ELj13ELNS0_17block_load_methodE3ELS4_3ELS4_3ELNS0_20block_scan_algorithmE0ELj4294967295EEENS1_25partition_config_selectorILNS1_17partition_subalgoE4EjNS0_10empty_typeEbEEZZNS1_14partition_implILS8_4ELb0ES6_15HIP_vector_typeIjLj2EENS0_17counting_iteratorIjlEEPS9_SG_NS0_5tupleIJPjSI_NS0_16reverse_iteratorISI_EEEEENSH_IJSG_SG_SG_EEES9_SI_JZNS1_25segmented_radix_sort_implINS0_14default_configELb1EPKfPfPKlPlN2at6native12_GLOBAL__N_18offset_tEEE10hipError_tPvRmT1_PNSt15iterator_traitsIS12_E10value_typeET2_T3_PNS13_IS18_E10value_typeET4_jRbjT5_S1E_jjP12ihipStream_tbEUljE_ZNSN_ISO_Lb1ESQ_SR_ST_SU_SY_EESZ_S10_S11_S12_S16_S17_S18_S1B_S1C_jS1D_jS1E_S1E_jjS1G_bEUljE0_EEESZ_S10_S11_S18_S1C_S1E_T6_T7_T9_mT8_S1G_bDpT10_ENKUlT_T0_E_clISt17integral_constantIbLb0EES1T_IbLb1EEEEDaS1P_S1Q_EUlS1P_E_NS1_11comp_targetILNS1_3genE2ELNS1_11target_archE906ELNS1_3gpuE6ELNS1_3repE0EEENS1_30default_config_static_selectorELNS0_4arch9wavefront6targetE0EEEvS12_.uses_flat_scratch, 0
	.set _ZN7rocprim17ROCPRIM_400000_NS6detail17trampoline_kernelINS0_13select_configILj256ELj13ELNS0_17block_load_methodE3ELS4_3ELS4_3ELNS0_20block_scan_algorithmE0ELj4294967295EEENS1_25partition_config_selectorILNS1_17partition_subalgoE4EjNS0_10empty_typeEbEEZZNS1_14partition_implILS8_4ELb0ES6_15HIP_vector_typeIjLj2EENS0_17counting_iteratorIjlEEPS9_SG_NS0_5tupleIJPjSI_NS0_16reverse_iteratorISI_EEEEENSH_IJSG_SG_SG_EEES9_SI_JZNS1_25segmented_radix_sort_implINS0_14default_configELb1EPKfPfPKlPlN2at6native12_GLOBAL__N_18offset_tEEE10hipError_tPvRmT1_PNSt15iterator_traitsIS12_E10value_typeET2_T3_PNS13_IS18_E10value_typeET4_jRbjT5_S1E_jjP12ihipStream_tbEUljE_ZNSN_ISO_Lb1ESQ_SR_ST_SU_SY_EESZ_S10_S11_S12_S16_S17_S18_S1B_S1C_jS1D_jS1E_S1E_jjS1G_bEUljE0_EEESZ_S10_S11_S18_S1C_S1E_T6_T7_T9_mT8_S1G_bDpT10_ENKUlT_T0_E_clISt17integral_constantIbLb0EES1T_IbLb1EEEEDaS1P_S1Q_EUlS1P_E_NS1_11comp_targetILNS1_3genE2ELNS1_11target_archE906ELNS1_3gpuE6ELNS1_3repE0EEENS1_30default_config_static_selectorELNS0_4arch9wavefront6targetE0EEEvS12_.has_dyn_sized_stack, 0
	.set _ZN7rocprim17ROCPRIM_400000_NS6detail17trampoline_kernelINS0_13select_configILj256ELj13ELNS0_17block_load_methodE3ELS4_3ELS4_3ELNS0_20block_scan_algorithmE0ELj4294967295EEENS1_25partition_config_selectorILNS1_17partition_subalgoE4EjNS0_10empty_typeEbEEZZNS1_14partition_implILS8_4ELb0ES6_15HIP_vector_typeIjLj2EENS0_17counting_iteratorIjlEEPS9_SG_NS0_5tupleIJPjSI_NS0_16reverse_iteratorISI_EEEEENSH_IJSG_SG_SG_EEES9_SI_JZNS1_25segmented_radix_sort_implINS0_14default_configELb1EPKfPfPKlPlN2at6native12_GLOBAL__N_18offset_tEEE10hipError_tPvRmT1_PNSt15iterator_traitsIS12_E10value_typeET2_T3_PNS13_IS18_E10value_typeET4_jRbjT5_S1E_jjP12ihipStream_tbEUljE_ZNSN_ISO_Lb1ESQ_SR_ST_SU_SY_EESZ_S10_S11_S12_S16_S17_S18_S1B_S1C_jS1D_jS1E_S1E_jjS1G_bEUljE0_EEESZ_S10_S11_S18_S1C_S1E_T6_T7_T9_mT8_S1G_bDpT10_ENKUlT_T0_E_clISt17integral_constantIbLb0EES1T_IbLb1EEEEDaS1P_S1Q_EUlS1P_E_NS1_11comp_targetILNS1_3genE2ELNS1_11target_archE906ELNS1_3gpuE6ELNS1_3repE0EEENS1_30default_config_static_selectorELNS0_4arch9wavefront6targetE0EEEvS12_.has_recursion, 0
	.set _ZN7rocprim17ROCPRIM_400000_NS6detail17trampoline_kernelINS0_13select_configILj256ELj13ELNS0_17block_load_methodE3ELS4_3ELS4_3ELNS0_20block_scan_algorithmE0ELj4294967295EEENS1_25partition_config_selectorILNS1_17partition_subalgoE4EjNS0_10empty_typeEbEEZZNS1_14partition_implILS8_4ELb0ES6_15HIP_vector_typeIjLj2EENS0_17counting_iteratorIjlEEPS9_SG_NS0_5tupleIJPjSI_NS0_16reverse_iteratorISI_EEEEENSH_IJSG_SG_SG_EEES9_SI_JZNS1_25segmented_radix_sort_implINS0_14default_configELb1EPKfPfPKlPlN2at6native12_GLOBAL__N_18offset_tEEE10hipError_tPvRmT1_PNSt15iterator_traitsIS12_E10value_typeET2_T3_PNS13_IS18_E10value_typeET4_jRbjT5_S1E_jjP12ihipStream_tbEUljE_ZNSN_ISO_Lb1ESQ_SR_ST_SU_SY_EESZ_S10_S11_S12_S16_S17_S18_S1B_S1C_jS1D_jS1E_S1E_jjS1G_bEUljE0_EEESZ_S10_S11_S18_S1C_S1E_T6_T7_T9_mT8_S1G_bDpT10_ENKUlT_T0_E_clISt17integral_constantIbLb0EES1T_IbLb1EEEEDaS1P_S1Q_EUlS1P_E_NS1_11comp_targetILNS1_3genE2ELNS1_11target_archE906ELNS1_3gpuE6ELNS1_3repE0EEENS1_30default_config_static_selectorELNS0_4arch9wavefront6targetE0EEEvS12_.has_indirect_call, 0
	.section	.AMDGPU.csdata,"",@progbits
; Kernel info:
; codeLenInByte = 0
; TotalNumSgprs: 0
; NumVgprs: 0
; ScratchSize: 0
; MemoryBound: 0
; FloatMode: 240
; IeeeMode: 1
; LDSByteSize: 0 bytes/workgroup (compile time only)
; SGPRBlocks: 0
; VGPRBlocks: 0
; NumSGPRsForWavesPerEU: 1
; NumVGPRsForWavesPerEU: 1
; Occupancy: 16
; WaveLimiterHint : 0
; COMPUTE_PGM_RSRC2:SCRATCH_EN: 0
; COMPUTE_PGM_RSRC2:USER_SGPR: 6
; COMPUTE_PGM_RSRC2:TRAP_HANDLER: 0
; COMPUTE_PGM_RSRC2:TGID_X_EN: 1
; COMPUTE_PGM_RSRC2:TGID_Y_EN: 0
; COMPUTE_PGM_RSRC2:TGID_Z_EN: 0
; COMPUTE_PGM_RSRC2:TIDIG_COMP_CNT: 0
	.section	.text._ZN7rocprim17ROCPRIM_400000_NS6detail17trampoline_kernelINS0_13select_configILj256ELj13ELNS0_17block_load_methodE3ELS4_3ELS4_3ELNS0_20block_scan_algorithmE0ELj4294967295EEENS1_25partition_config_selectorILNS1_17partition_subalgoE4EjNS0_10empty_typeEbEEZZNS1_14partition_implILS8_4ELb0ES6_15HIP_vector_typeIjLj2EENS0_17counting_iteratorIjlEEPS9_SG_NS0_5tupleIJPjSI_NS0_16reverse_iteratorISI_EEEEENSH_IJSG_SG_SG_EEES9_SI_JZNS1_25segmented_radix_sort_implINS0_14default_configELb1EPKfPfPKlPlN2at6native12_GLOBAL__N_18offset_tEEE10hipError_tPvRmT1_PNSt15iterator_traitsIS12_E10value_typeET2_T3_PNS13_IS18_E10value_typeET4_jRbjT5_S1E_jjP12ihipStream_tbEUljE_ZNSN_ISO_Lb1ESQ_SR_ST_SU_SY_EESZ_S10_S11_S12_S16_S17_S18_S1B_S1C_jS1D_jS1E_S1E_jjS1G_bEUljE0_EEESZ_S10_S11_S18_S1C_S1E_T6_T7_T9_mT8_S1G_bDpT10_ENKUlT_T0_E_clISt17integral_constantIbLb0EES1T_IbLb1EEEEDaS1P_S1Q_EUlS1P_E_NS1_11comp_targetILNS1_3genE10ELNS1_11target_archE1200ELNS1_3gpuE4ELNS1_3repE0EEENS1_30default_config_static_selectorELNS0_4arch9wavefront6targetE0EEEvS12_,"axG",@progbits,_ZN7rocprim17ROCPRIM_400000_NS6detail17trampoline_kernelINS0_13select_configILj256ELj13ELNS0_17block_load_methodE3ELS4_3ELS4_3ELNS0_20block_scan_algorithmE0ELj4294967295EEENS1_25partition_config_selectorILNS1_17partition_subalgoE4EjNS0_10empty_typeEbEEZZNS1_14partition_implILS8_4ELb0ES6_15HIP_vector_typeIjLj2EENS0_17counting_iteratorIjlEEPS9_SG_NS0_5tupleIJPjSI_NS0_16reverse_iteratorISI_EEEEENSH_IJSG_SG_SG_EEES9_SI_JZNS1_25segmented_radix_sort_implINS0_14default_configELb1EPKfPfPKlPlN2at6native12_GLOBAL__N_18offset_tEEE10hipError_tPvRmT1_PNSt15iterator_traitsIS12_E10value_typeET2_T3_PNS13_IS18_E10value_typeET4_jRbjT5_S1E_jjP12ihipStream_tbEUljE_ZNSN_ISO_Lb1ESQ_SR_ST_SU_SY_EESZ_S10_S11_S12_S16_S17_S18_S1B_S1C_jS1D_jS1E_S1E_jjS1G_bEUljE0_EEESZ_S10_S11_S18_S1C_S1E_T6_T7_T9_mT8_S1G_bDpT10_ENKUlT_T0_E_clISt17integral_constantIbLb0EES1T_IbLb1EEEEDaS1P_S1Q_EUlS1P_E_NS1_11comp_targetILNS1_3genE10ELNS1_11target_archE1200ELNS1_3gpuE4ELNS1_3repE0EEENS1_30default_config_static_selectorELNS0_4arch9wavefront6targetE0EEEvS12_,comdat
	.globl	_ZN7rocprim17ROCPRIM_400000_NS6detail17trampoline_kernelINS0_13select_configILj256ELj13ELNS0_17block_load_methodE3ELS4_3ELS4_3ELNS0_20block_scan_algorithmE0ELj4294967295EEENS1_25partition_config_selectorILNS1_17partition_subalgoE4EjNS0_10empty_typeEbEEZZNS1_14partition_implILS8_4ELb0ES6_15HIP_vector_typeIjLj2EENS0_17counting_iteratorIjlEEPS9_SG_NS0_5tupleIJPjSI_NS0_16reverse_iteratorISI_EEEEENSH_IJSG_SG_SG_EEES9_SI_JZNS1_25segmented_radix_sort_implINS0_14default_configELb1EPKfPfPKlPlN2at6native12_GLOBAL__N_18offset_tEEE10hipError_tPvRmT1_PNSt15iterator_traitsIS12_E10value_typeET2_T3_PNS13_IS18_E10value_typeET4_jRbjT5_S1E_jjP12ihipStream_tbEUljE_ZNSN_ISO_Lb1ESQ_SR_ST_SU_SY_EESZ_S10_S11_S12_S16_S17_S18_S1B_S1C_jS1D_jS1E_S1E_jjS1G_bEUljE0_EEESZ_S10_S11_S18_S1C_S1E_T6_T7_T9_mT8_S1G_bDpT10_ENKUlT_T0_E_clISt17integral_constantIbLb0EES1T_IbLb1EEEEDaS1P_S1Q_EUlS1P_E_NS1_11comp_targetILNS1_3genE10ELNS1_11target_archE1200ELNS1_3gpuE4ELNS1_3repE0EEENS1_30default_config_static_selectorELNS0_4arch9wavefront6targetE0EEEvS12_ ; -- Begin function _ZN7rocprim17ROCPRIM_400000_NS6detail17trampoline_kernelINS0_13select_configILj256ELj13ELNS0_17block_load_methodE3ELS4_3ELS4_3ELNS0_20block_scan_algorithmE0ELj4294967295EEENS1_25partition_config_selectorILNS1_17partition_subalgoE4EjNS0_10empty_typeEbEEZZNS1_14partition_implILS8_4ELb0ES6_15HIP_vector_typeIjLj2EENS0_17counting_iteratorIjlEEPS9_SG_NS0_5tupleIJPjSI_NS0_16reverse_iteratorISI_EEEEENSH_IJSG_SG_SG_EEES9_SI_JZNS1_25segmented_radix_sort_implINS0_14default_configELb1EPKfPfPKlPlN2at6native12_GLOBAL__N_18offset_tEEE10hipError_tPvRmT1_PNSt15iterator_traitsIS12_E10value_typeET2_T3_PNS13_IS18_E10value_typeET4_jRbjT5_S1E_jjP12ihipStream_tbEUljE_ZNSN_ISO_Lb1ESQ_SR_ST_SU_SY_EESZ_S10_S11_S12_S16_S17_S18_S1B_S1C_jS1D_jS1E_S1E_jjS1G_bEUljE0_EEESZ_S10_S11_S18_S1C_S1E_T6_T7_T9_mT8_S1G_bDpT10_ENKUlT_T0_E_clISt17integral_constantIbLb0EES1T_IbLb1EEEEDaS1P_S1Q_EUlS1P_E_NS1_11comp_targetILNS1_3genE10ELNS1_11target_archE1200ELNS1_3gpuE4ELNS1_3repE0EEENS1_30default_config_static_selectorELNS0_4arch9wavefront6targetE0EEEvS12_
	.p2align	8
	.type	_ZN7rocprim17ROCPRIM_400000_NS6detail17trampoline_kernelINS0_13select_configILj256ELj13ELNS0_17block_load_methodE3ELS4_3ELS4_3ELNS0_20block_scan_algorithmE0ELj4294967295EEENS1_25partition_config_selectorILNS1_17partition_subalgoE4EjNS0_10empty_typeEbEEZZNS1_14partition_implILS8_4ELb0ES6_15HIP_vector_typeIjLj2EENS0_17counting_iteratorIjlEEPS9_SG_NS0_5tupleIJPjSI_NS0_16reverse_iteratorISI_EEEEENSH_IJSG_SG_SG_EEES9_SI_JZNS1_25segmented_radix_sort_implINS0_14default_configELb1EPKfPfPKlPlN2at6native12_GLOBAL__N_18offset_tEEE10hipError_tPvRmT1_PNSt15iterator_traitsIS12_E10value_typeET2_T3_PNS13_IS18_E10value_typeET4_jRbjT5_S1E_jjP12ihipStream_tbEUljE_ZNSN_ISO_Lb1ESQ_SR_ST_SU_SY_EESZ_S10_S11_S12_S16_S17_S18_S1B_S1C_jS1D_jS1E_S1E_jjS1G_bEUljE0_EEESZ_S10_S11_S18_S1C_S1E_T6_T7_T9_mT8_S1G_bDpT10_ENKUlT_T0_E_clISt17integral_constantIbLb0EES1T_IbLb1EEEEDaS1P_S1Q_EUlS1P_E_NS1_11comp_targetILNS1_3genE10ELNS1_11target_archE1200ELNS1_3gpuE4ELNS1_3repE0EEENS1_30default_config_static_selectorELNS0_4arch9wavefront6targetE0EEEvS12_,@function
_ZN7rocprim17ROCPRIM_400000_NS6detail17trampoline_kernelINS0_13select_configILj256ELj13ELNS0_17block_load_methodE3ELS4_3ELS4_3ELNS0_20block_scan_algorithmE0ELj4294967295EEENS1_25partition_config_selectorILNS1_17partition_subalgoE4EjNS0_10empty_typeEbEEZZNS1_14partition_implILS8_4ELb0ES6_15HIP_vector_typeIjLj2EENS0_17counting_iteratorIjlEEPS9_SG_NS0_5tupleIJPjSI_NS0_16reverse_iteratorISI_EEEEENSH_IJSG_SG_SG_EEES9_SI_JZNS1_25segmented_radix_sort_implINS0_14default_configELb1EPKfPfPKlPlN2at6native12_GLOBAL__N_18offset_tEEE10hipError_tPvRmT1_PNSt15iterator_traitsIS12_E10value_typeET2_T3_PNS13_IS18_E10value_typeET4_jRbjT5_S1E_jjP12ihipStream_tbEUljE_ZNSN_ISO_Lb1ESQ_SR_ST_SU_SY_EESZ_S10_S11_S12_S16_S17_S18_S1B_S1C_jS1D_jS1E_S1E_jjS1G_bEUljE0_EEESZ_S10_S11_S18_S1C_S1E_T6_T7_T9_mT8_S1G_bDpT10_ENKUlT_T0_E_clISt17integral_constantIbLb0EES1T_IbLb1EEEEDaS1P_S1Q_EUlS1P_E_NS1_11comp_targetILNS1_3genE10ELNS1_11target_archE1200ELNS1_3gpuE4ELNS1_3repE0EEENS1_30default_config_static_selectorELNS0_4arch9wavefront6targetE0EEEvS12_: ; @_ZN7rocprim17ROCPRIM_400000_NS6detail17trampoline_kernelINS0_13select_configILj256ELj13ELNS0_17block_load_methodE3ELS4_3ELS4_3ELNS0_20block_scan_algorithmE0ELj4294967295EEENS1_25partition_config_selectorILNS1_17partition_subalgoE4EjNS0_10empty_typeEbEEZZNS1_14partition_implILS8_4ELb0ES6_15HIP_vector_typeIjLj2EENS0_17counting_iteratorIjlEEPS9_SG_NS0_5tupleIJPjSI_NS0_16reverse_iteratorISI_EEEEENSH_IJSG_SG_SG_EEES9_SI_JZNS1_25segmented_radix_sort_implINS0_14default_configELb1EPKfPfPKlPlN2at6native12_GLOBAL__N_18offset_tEEE10hipError_tPvRmT1_PNSt15iterator_traitsIS12_E10value_typeET2_T3_PNS13_IS18_E10value_typeET4_jRbjT5_S1E_jjP12ihipStream_tbEUljE_ZNSN_ISO_Lb1ESQ_SR_ST_SU_SY_EESZ_S10_S11_S12_S16_S17_S18_S1B_S1C_jS1D_jS1E_S1E_jjS1G_bEUljE0_EEESZ_S10_S11_S18_S1C_S1E_T6_T7_T9_mT8_S1G_bDpT10_ENKUlT_T0_E_clISt17integral_constantIbLb0EES1T_IbLb1EEEEDaS1P_S1Q_EUlS1P_E_NS1_11comp_targetILNS1_3genE10ELNS1_11target_archE1200ELNS1_3gpuE4ELNS1_3repE0EEENS1_30default_config_static_selectorELNS0_4arch9wavefront6targetE0EEEvS12_
; %bb.0:
	.section	.rodata,"a",@progbits
	.p2align	6, 0x0
	.amdhsa_kernel _ZN7rocprim17ROCPRIM_400000_NS6detail17trampoline_kernelINS0_13select_configILj256ELj13ELNS0_17block_load_methodE3ELS4_3ELS4_3ELNS0_20block_scan_algorithmE0ELj4294967295EEENS1_25partition_config_selectorILNS1_17partition_subalgoE4EjNS0_10empty_typeEbEEZZNS1_14partition_implILS8_4ELb0ES6_15HIP_vector_typeIjLj2EENS0_17counting_iteratorIjlEEPS9_SG_NS0_5tupleIJPjSI_NS0_16reverse_iteratorISI_EEEEENSH_IJSG_SG_SG_EEES9_SI_JZNS1_25segmented_radix_sort_implINS0_14default_configELb1EPKfPfPKlPlN2at6native12_GLOBAL__N_18offset_tEEE10hipError_tPvRmT1_PNSt15iterator_traitsIS12_E10value_typeET2_T3_PNS13_IS18_E10value_typeET4_jRbjT5_S1E_jjP12ihipStream_tbEUljE_ZNSN_ISO_Lb1ESQ_SR_ST_SU_SY_EESZ_S10_S11_S12_S16_S17_S18_S1B_S1C_jS1D_jS1E_S1E_jjS1G_bEUljE0_EEESZ_S10_S11_S18_S1C_S1E_T6_T7_T9_mT8_S1G_bDpT10_ENKUlT_T0_E_clISt17integral_constantIbLb0EES1T_IbLb1EEEEDaS1P_S1Q_EUlS1P_E_NS1_11comp_targetILNS1_3genE10ELNS1_11target_archE1200ELNS1_3gpuE4ELNS1_3repE0EEENS1_30default_config_static_selectorELNS0_4arch9wavefront6targetE0EEEvS12_
		.amdhsa_group_segment_fixed_size 0
		.amdhsa_private_segment_fixed_size 0
		.amdhsa_kernarg_size 184
		.amdhsa_user_sgpr_count 6
		.amdhsa_user_sgpr_private_segment_buffer 1
		.amdhsa_user_sgpr_dispatch_ptr 0
		.amdhsa_user_sgpr_queue_ptr 0
		.amdhsa_user_sgpr_kernarg_segment_ptr 1
		.amdhsa_user_sgpr_dispatch_id 0
		.amdhsa_user_sgpr_flat_scratch_init 0
		.amdhsa_user_sgpr_private_segment_size 0
		.amdhsa_wavefront_size32 1
		.amdhsa_uses_dynamic_stack 0
		.amdhsa_system_sgpr_private_segment_wavefront_offset 0
		.amdhsa_system_sgpr_workgroup_id_x 1
		.amdhsa_system_sgpr_workgroup_id_y 0
		.amdhsa_system_sgpr_workgroup_id_z 0
		.amdhsa_system_sgpr_workgroup_info 0
		.amdhsa_system_vgpr_workitem_id 0
		.amdhsa_next_free_vgpr 1
		.amdhsa_next_free_sgpr 1
		.amdhsa_reserve_vcc 0
		.amdhsa_reserve_flat_scratch 0
		.amdhsa_float_round_mode_32 0
		.amdhsa_float_round_mode_16_64 0
		.amdhsa_float_denorm_mode_32 3
		.amdhsa_float_denorm_mode_16_64 3
		.amdhsa_dx10_clamp 1
		.amdhsa_ieee_mode 1
		.amdhsa_fp16_overflow 0
		.amdhsa_workgroup_processor_mode 1
		.amdhsa_memory_ordered 1
		.amdhsa_forward_progress 1
		.amdhsa_shared_vgpr_count 0
		.amdhsa_exception_fp_ieee_invalid_op 0
		.amdhsa_exception_fp_denorm_src 0
		.amdhsa_exception_fp_ieee_div_zero 0
		.amdhsa_exception_fp_ieee_overflow 0
		.amdhsa_exception_fp_ieee_underflow 0
		.amdhsa_exception_fp_ieee_inexact 0
		.amdhsa_exception_int_div_zero 0
	.end_amdhsa_kernel
	.section	.text._ZN7rocprim17ROCPRIM_400000_NS6detail17trampoline_kernelINS0_13select_configILj256ELj13ELNS0_17block_load_methodE3ELS4_3ELS4_3ELNS0_20block_scan_algorithmE0ELj4294967295EEENS1_25partition_config_selectorILNS1_17partition_subalgoE4EjNS0_10empty_typeEbEEZZNS1_14partition_implILS8_4ELb0ES6_15HIP_vector_typeIjLj2EENS0_17counting_iteratorIjlEEPS9_SG_NS0_5tupleIJPjSI_NS0_16reverse_iteratorISI_EEEEENSH_IJSG_SG_SG_EEES9_SI_JZNS1_25segmented_radix_sort_implINS0_14default_configELb1EPKfPfPKlPlN2at6native12_GLOBAL__N_18offset_tEEE10hipError_tPvRmT1_PNSt15iterator_traitsIS12_E10value_typeET2_T3_PNS13_IS18_E10value_typeET4_jRbjT5_S1E_jjP12ihipStream_tbEUljE_ZNSN_ISO_Lb1ESQ_SR_ST_SU_SY_EESZ_S10_S11_S12_S16_S17_S18_S1B_S1C_jS1D_jS1E_S1E_jjS1G_bEUljE0_EEESZ_S10_S11_S18_S1C_S1E_T6_T7_T9_mT8_S1G_bDpT10_ENKUlT_T0_E_clISt17integral_constantIbLb0EES1T_IbLb1EEEEDaS1P_S1Q_EUlS1P_E_NS1_11comp_targetILNS1_3genE10ELNS1_11target_archE1200ELNS1_3gpuE4ELNS1_3repE0EEENS1_30default_config_static_selectorELNS0_4arch9wavefront6targetE0EEEvS12_,"axG",@progbits,_ZN7rocprim17ROCPRIM_400000_NS6detail17trampoline_kernelINS0_13select_configILj256ELj13ELNS0_17block_load_methodE3ELS4_3ELS4_3ELNS0_20block_scan_algorithmE0ELj4294967295EEENS1_25partition_config_selectorILNS1_17partition_subalgoE4EjNS0_10empty_typeEbEEZZNS1_14partition_implILS8_4ELb0ES6_15HIP_vector_typeIjLj2EENS0_17counting_iteratorIjlEEPS9_SG_NS0_5tupleIJPjSI_NS0_16reverse_iteratorISI_EEEEENSH_IJSG_SG_SG_EEES9_SI_JZNS1_25segmented_radix_sort_implINS0_14default_configELb1EPKfPfPKlPlN2at6native12_GLOBAL__N_18offset_tEEE10hipError_tPvRmT1_PNSt15iterator_traitsIS12_E10value_typeET2_T3_PNS13_IS18_E10value_typeET4_jRbjT5_S1E_jjP12ihipStream_tbEUljE_ZNSN_ISO_Lb1ESQ_SR_ST_SU_SY_EESZ_S10_S11_S12_S16_S17_S18_S1B_S1C_jS1D_jS1E_S1E_jjS1G_bEUljE0_EEESZ_S10_S11_S18_S1C_S1E_T6_T7_T9_mT8_S1G_bDpT10_ENKUlT_T0_E_clISt17integral_constantIbLb0EES1T_IbLb1EEEEDaS1P_S1Q_EUlS1P_E_NS1_11comp_targetILNS1_3genE10ELNS1_11target_archE1200ELNS1_3gpuE4ELNS1_3repE0EEENS1_30default_config_static_selectorELNS0_4arch9wavefront6targetE0EEEvS12_,comdat
.Lfunc_end1282:
	.size	_ZN7rocprim17ROCPRIM_400000_NS6detail17trampoline_kernelINS0_13select_configILj256ELj13ELNS0_17block_load_methodE3ELS4_3ELS4_3ELNS0_20block_scan_algorithmE0ELj4294967295EEENS1_25partition_config_selectorILNS1_17partition_subalgoE4EjNS0_10empty_typeEbEEZZNS1_14partition_implILS8_4ELb0ES6_15HIP_vector_typeIjLj2EENS0_17counting_iteratorIjlEEPS9_SG_NS0_5tupleIJPjSI_NS0_16reverse_iteratorISI_EEEEENSH_IJSG_SG_SG_EEES9_SI_JZNS1_25segmented_radix_sort_implINS0_14default_configELb1EPKfPfPKlPlN2at6native12_GLOBAL__N_18offset_tEEE10hipError_tPvRmT1_PNSt15iterator_traitsIS12_E10value_typeET2_T3_PNS13_IS18_E10value_typeET4_jRbjT5_S1E_jjP12ihipStream_tbEUljE_ZNSN_ISO_Lb1ESQ_SR_ST_SU_SY_EESZ_S10_S11_S12_S16_S17_S18_S1B_S1C_jS1D_jS1E_S1E_jjS1G_bEUljE0_EEESZ_S10_S11_S18_S1C_S1E_T6_T7_T9_mT8_S1G_bDpT10_ENKUlT_T0_E_clISt17integral_constantIbLb0EES1T_IbLb1EEEEDaS1P_S1Q_EUlS1P_E_NS1_11comp_targetILNS1_3genE10ELNS1_11target_archE1200ELNS1_3gpuE4ELNS1_3repE0EEENS1_30default_config_static_selectorELNS0_4arch9wavefront6targetE0EEEvS12_, .Lfunc_end1282-_ZN7rocprim17ROCPRIM_400000_NS6detail17trampoline_kernelINS0_13select_configILj256ELj13ELNS0_17block_load_methodE3ELS4_3ELS4_3ELNS0_20block_scan_algorithmE0ELj4294967295EEENS1_25partition_config_selectorILNS1_17partition_subalgoE4EjNS0_10empty_typeEbEEZZNS1_14partition_implILS8_4ELb0ES6_15HIP_vector_typeIjLj2EENS0_17counting_iteratorIjlEEPS9_SG_NS0_5tupleIJPjSI_NS0_16reverse_iteratorISI_EEEEENSH_IJSG_SG_SG_EEES9_SI_JZNS1_25segmented_radix_sort_implINS0_14default_configELb1EPKfPfPKlPlN2at6native12_GLOBAL__N_18offset_tEEE10hipError_tPvRmT1_PNSt15iterator_traitsIS12_E10value_typeET2_T3_PNS13_IS18_E10value_typeET4_jRbjT5_S1E_jjP12ihipStream_tbEUljE_ZNSN_ISO_Lb1ESQ_SR_ST_SU_SY_EESZ_S10_S11_S12_S16_S17_S18_S1B_S1C_jS1D_jS1E_S1E_jjS1G_bEUljE0_EEESZ_S10_S11_S18_S1C_S1E_T6_T7_T9_mT8_S1G_bDpT10_ENKUlT_T0_E_clISt17integral_constantIbLb0EES1T_IbLb1EEEEDaS1P_S1Q_EUlS1P_E_NS1_11comp_targetILNS1_3genE10ELNS1_11target_archE1200ELNS1_3gpuE4ELNS1_3repE0EEENS1_30default_config_static_selectorELNS0_4arch9wavefront6targetE0EEEvS12_
                                        ; -- End function
	.set _ZN7rocprim17ROCPRIM_400000_NS6detail17trampoline_kernelINS0_13select_configILj256ELj13ELNS0_17block_load_methodE3ELS4_3ELS4_3ELNS0_20block_scan_algorithmE0ELj4294967295EEENS1_25partition_config_selectorILNS1_17partition_subalgoE4EjNS0_10empty_typeEbEEZZNS1_14partition_implILS8_4ELb0ES6_15HIP_vector_typeIjLj2EENS0_17counting_iteratorIjlEEPS9_SG_NS0_5tupleIJPjSI_NS0_16reverse_iteratorISI_EEEEENSH_IJSG_SG_SG_EEES9_SI_JZNS1_25segmented_radix_sort_implINS0_14default_configELb1EPKfPfPKlPlN2at6native12_GLOBAL__N_18offset_tEEE10hipError_tPvRmT1_PNSt15iterator_traitsIS12_E10value_typeET2_T3_PNS13_IS18_E10value_typeET4_jRbjT5_S1E_jjP12ihipStream_tbEUljE_ZNSN_ISO_Lb1ESQ_SR_ST_SU_SY_EESZ_S10_S11_S12_S16_S17_S18_S1B_S1C_jS1D_jS1E_S1E_jjS1G_bEUljE0_EEESZ_S10_S11_S18_S1C_S1E_T6_T7_T9_mT8_S1G_bDpT10_ENKUlT_T0_E_clISt17integral_constantIbLb0EES1T_IbLb1EEEEDaS1P_S1Q_EUlS1P_E_NS1_11comp_targetILNS1_3genE10ELNS1_11target_archE1200ELNS1_3gpuE4ELNS1_3repE0EEENS1_30default_config_static_selectorELNS0_4arch9wavefront6targetE0EEEvS12_.num_vgpr, 0
	.set _ZN7rocprim17ROCPRIM_400000_NS6detail17trampoline_kernelINS0_13select_configILj256ELj13ELNS0_17block_load_methodE3ELS4_3ELS4_3ELNS0_20block_scan_algorithmE0ELj4294967295EEENS1_25partition_config_selectorILNS1_17partition_subalgoE4EjNS0_10empty_typeEbEEZZNS1_14partition_implILS8_4ELb0ES6_15HIP_vector_typeIjLj2EENS0_17counting_iteratorIjlEEPS9_SG_NS0_5tupleIJPjSI_NS0_16reverse_iteratorISI_EEEEENSH_IJSG_SG_SG_EEES9_SI_JZNS1_25segmented_radix_sort_implINS0_14default_configELb1EPKfPfPKlPlN2at6native12_GLOBAL__N_18offset_tEEE10hipError_tPvRmT1_PNSt15iterator_traitsIS12_E10value_typeET2_T3_PNS13_IS18_E10value_typeET4_jRbjT5_S1E_jjP12ihipStream_tbEUljE_ZNSN_ISO_Lb1ESQ_SR_ST_SU_SY_EESZ_S10_S11_S12_S16_S17_S18_S1B_S1C_jS1D_jS1E_S1E_jjS1G_bEUljE0_EEESZ_S10_S11_S18_S1C_S1E_T6_T7_T9_mT8_S1G_bDpT10_ENKUlT_T0_E_clISt17integral_constantIbLb0EES1T_IbLb1EEEEDaS1P_S1Q_EUlS1P_E_NS1_11comp_targetILNS1_3genE10ELNS1_11target_archE1200ELNS1_3gpuE4ELNS1_3repE0EEENS1_30default_config_static_selectorELNS0_4arch9wavefront6targetE0EEEvS12_.num_agpr, 0
	.set _ZN7rocprim17ROCPRIM_400000_NS6detail17trampoline_kernelINS0_13select_configILj256ELj13ELNS0_17block_load_methodE3ELS4_3ELS4_3ELNS0_20block_scan_algorithmE0ELj4294967295EEENS1_25partition_config_selectorILNS1_17partition_subalgoE4EjNS0_10empty_typeEbEEZZNS1_14partition_implILS8_4ELb0ES6_15HIP_vector_typeIjLj2EENS0_17counting_iteratorIjlEEPS9_SG_NS0_5tupleIJPjSI_NS0_16reverse_iteratorISI_EEEEENSH_IJSG_SG_SG_EEES9_SI_JZNS1_25segmented_radix_sort_implINS0_14default_configELb1EPKfPfPKlPlN2at6native12_GLOBAL__N_18offset_tEEE10hipError_tPvRmT1_PNSt15iterator_traitsIS12_E10value_typeET2_T3_PNS13_IS18_E10value_typeET4_jRbjT5_S1E_jjP12ihipStream_tbEUljE_ZNSN_ISO_Lb1ESQ_SR_ST_SU_SY_EESZ_S10_S11_S12_S16_S17_S18_S1B_S1C_jS1D_jS1E_S1E_jjS1G_bEUljE0_EEESZ_S10_S11_S18_S1C_S1E_T6_T7_T9_mT8_S1G_bDpT10_ENKUlT_T0_E_clISt17integral_constantIbLb0EES1T_IbLb1EEEEDaS1P_S1Q_EUlS1P_E_NS1_11comp_targetILNS1_3genE10ELNS1_11target_archE1200ELNS1_3gpuE4ELNS1_3repE0EEENS1_30default_config_static_selectorELNS0_4arch9wavefront6targetE0EEEvS12_.numbered_sgpr, 0
	.set _ZN7rocprim17ROCPRIM_400000_NS6detail17trampoline_kernelINS0_13select_configILj256ELj13ELNS0_17block_load_methodE3ELS4_3ELS4_3ELNS0_20block_scan_algorithmE0ELj4294967295EEENS1_25partition_config_selectorILNS1_17partition_subalgoE4EjNS0_10empty_typeEbEEZZNS1_14partition_implILS8_4ELb0ES6_15HIP_vector_typeIjLj2EENS0_17counting_iteratorIjlEEPS9_SG_NS0_5tupleIJPjSI_NS0_16reverse_iteratorISI_EEEEENSH_IJSG_SG_SG_EEES9_SI_JZNS1_25segmented_radix_sort_implINS0_14default_configELb1EPKfPfPKlPlN2at6native12_GLOBAL__N_18offset_tEEE10hipError_tPvRmT1_PNSt15iterator_traitsIS12_E10value_typeET2_T3_PNS13_IS18_E10value_typeET4_jRbjT5_S1E_jjP12ihipStream_tbEUljE_ZNSN_ISO_Lb1ESQ_SR_ST_SU_SY_EESZ_S10_S11_S12_S16_S17_S18_S1B_S1C_jS1D_jS1E_S1E_jjS1G_bEUljE0_EEESZ_S10_S11_S18_S1C_S1E_T6_T7_T9_mT8_S1G_bDpT10_ENKUlT_T0_E_clISt17integral_constantIbLb0EES1T_IbLb1EEEEDaS1P_S1Q_EUlS1P_E_NS1_11comp_targetILNS1_3genE10ELNS1_11target_archE1200ELNS1_3gpuE4ELNS1_3repE0EEENS1_30default_config_static_selectorELNS0_4arch9wavefront6targetE0EEEvS12_.num_named_barrier, 0
	.set _ZN7rocprim17ROCPRIM_400000_NS6detail17trampoline_kernelINS0_13select_configILj256ELj13ELNS0_17block_load_methodE3ELS4_3ELS4_3ELNS0_20block_scan_algorithmE0ELj4294967295EEENS1_25partition_config_selectorILNS1_17partition_subalgoE4EjNS0_10empty_typeEbEEZZNS1_14partition_implILS8_4ELb0ES6_15HIP_vector_typeIjLj2EENS0_17counting_iteratorIjlEEPS9_SG_NS0_5tupleIJPjSI_NS0_16reverse_iteratorISI_EEEEENSH_IJSG_SG_SG_EEES9_SI_JZNS1_25segmented_radix_sort_implINS0_14default_configELb1EPKfPfPKlPlN2at6native12_GLOBAL__N_18offset_tEEE10hipError_tPvRmT1_PNSt15iterator_traitsIS12_E10value_typeET2_T3_PNS13_IS18_E10value_typeET4_jRbjT5_S1E_jjP12ihipStream_tbEUljE_ZNSN_ISO_Lb1ESQ_SR_ST_SU_SY_EESZ_S10_S11_S12_S16_S17_S18_S1B_S1C_jS1D_jS1E_S1E_jjS1G_bEUljE0_EEESZ_S10_S11_S18_S1C_S1E_T6_T7_T9_mT8_S1G_bDpT10_ENKUlT_T0_E_clISt17integral_constantIbLb0EES1T_IbLb1EEEEDaS1P_S1Q_EUlS1P_E_NS1_11comp_targetILNS1_3genE10ELNS1_11target_archE1200ELNS1_3gpuE4ELNS1_3repE0EEENS1_30default_config_static_selectorELNS0_4arch9wavefront6targetE0EEEvS12_.private_seg_size, 0
	.set _ZN7rocprim17ROCPRIM_400000_NS6detail17trampoline_kernelINS0_13select_configILj256ELj13ELNS0_17block_load_methodE3ELS4_3ELS4_3ELNS0_20block_scan_algorithmE0ELj4294967295EEENS1_25partition_config_selectorILNS1_17partition_subalgoE4EjNS0_10empty_typeEbEEZZNS1_14partition_implILS8_4ELb0ES6_15HIP_vector_typeIjLj2EENS0_17counting_iteratorIjlEEPS9_SG_NS0_5tupleIJPjSI_NS0_16reverse_iteratorISI_EEEEENSH_IJSG_SG_SG_EEES9_SI_JZNS1_25segmented_radix_sort_implINS0_14default_configELb1EPKfPfPKlPlN2at6native12_GLOBAL__N_18offset_tEEE10hipError_tPvRmT1_PNSt15iterator_traitsIS12_E10value_typeET2_T3_PNS13_IS18_E10value_typeET4_jRbjT5_S1E_jjP12ihipStream_tbEUljE_ZNSN_ISO_Lb1ESQ_SR_ST_SU_SY_EESZ_S10_S11_S12_S16_S17_S18_S1B_S1C_jS1D_jS1E_S1E_jjS1G_bEUljE0_EEESZ_S10_S11_S18_S1C_S1E_T6_T7_T9_mT8_S1G_bDpT10_ENKUlT_T0_E_clISt17integral_constantIbLb0EES1T_IbLb1EEEEDaS1P_S1Q_EUlS1P_E_NS1_11comp_targetILNS1_3genE10ELNS1_11target_archE1200ELNS1_3gpuE4ELNS1_3repE0EEENS1_30default_config_static_selectorELNS0_4arch9wavefront6targetE0EEEvS12_.uses_vcc, 0
	.set _ZN7rocprim17ROCPRIM_400000_NS6detail17trampoline_kernelINS0_13select_configILj256ELj13ELNS0_17block_load_methodE3ELS4_3ELS4_3ELNS0_20block_scan_algorithmE0ELj4294967295EEENS1_25partition_config_selectorILNS1_17partition_subalgoE4EjNS0_10empty_typeEbEEZZNS1_14partition_implILS8_4ELb0ES6_15HIP_vector_typeIjLj2EENS0_17counting_iteratorIjlEEPS9_SG_NS0_5tupleIJPjSI_NS0_16reverse_iteratorISI_EEEEENSH_IJSG_SG_SG_EEES9_SI_JZNS1_25segmented_radix_sort_implINS0_14default_configELb1EPKfPfPKlPlN2at6native12_GLOBAL__N_18offset_tEEE10hipError_tPvRmT1_PNSt15iterator_traitsIS12_E10value_typeET2_T3_PNS13_IS18_E10value_typeET4_jRbjT5_S1E_jjP12ihipStream_tbEUljE_ZNSN_ISO_Lb1ESQ_SR_ST_SU_SY_EESZ_S10_S11_S12_S16_S17_S18_S1B_S1C_jS1D_jS1E_S1E_jjS1G_bEUljE0_EEESZ_S10_S11_S18_S1C_S1E_T6_T7_T9_mT8_S1G_bDpT10_ENKUlT_T0_E_clISt17integral_constantIbLb0EES1T_IbLb1EEEEDaS1P_S1Q_EUlS1P_E_NS1_11comp_targetILNS1_3genE10ELNS1_11target_archE1200ELNS1_3gpuE4ELNS1_3repE0EEENS1_30default_config_static_selectorELNS0_4arch9wavefront6targetE0EEEvS12_.uses_flat_scratch, 0
	.set _ZN7rocprim17ROCPRIM_400000_NS6detail17trampoline_kernelINS0_13select_configILj256ELj13ELNS0_17block_load_methodE3ELS4_3ELS4_3ELNS0_20block_scan_algorithmE0ELj4294967295EEENS1_25partition_config_selectorILNS1_17partition_subalgoE4EjNS0_10empty_typeEbEEZZNS1_14partition_implILS8_4ELb0ES6_15HIP_vector_typeIjLj2EENS0_17counting_iteratorIjlEEPS9_SG_NS0_5tupleIJPjSI_NS0_16reverse_iteratorISI_EEEEENSH_IJSG_SG_SG_EEES9_SI_JZNS1_25segmented_radix_sort_implINS0_14default_configELb1EPKfPfPKlPlN2at6native12_GLOBAL__N_18offset_tEEE10hipError_tPvRmT1_PNSt15iterator_traitsIS12_E10value_typeET2_T3_PNS13_IS18_E10value_typeET4_jRbjT5_S1E_jjP12ihipStream_tbEUljE_ZNSN_ISO_Lb1ESQ_SR_ST_SU_SY_EESZ_S10_S11_S12_S16_S17_S18_S1B_S1C_jS1D_jS1E_S1E_jjS1G_bEUljE0_EEESZ_S10_S11_S18_S1C_S1E_T6_T7_T9_mT8_S1G_bDpT10_ENKUlT_T0_E_clISt17integral_constantIbLb0EES1T_IbLb1EEEEDaS1P_S1Q_EUlS1P_E_NS1_11comp_targetILNS1_3genE10ELNS1_11target_archE1200ELNS1_3gpuE4ELNS1_3repE0EEENS1_30default_config_static_selectorELNS0_4arch9wavefront6targetE0EEEvS12_.has_dyn_sized_stack, 0
	.set _ZN7rocprim17ROCPRIM_400000_NS6detail17trampoline_kernelINS0_13select_configILj256ELj13ELNS0_17block_load_methodE3ELS4_3ELS4_3ELNS0_20block_scan_algorithmE0ELj4294967295EEENS1_25partition_config_selectorILNS1_17partition_subalgoE4EjNS0_10empty_typeEbEEZZNS1_14partition_implILS8_4ELb0ES6_15HIP_vector_typeIjLj2EENS0_17counting_iteratorIjlEEPS9_SG_NS0_5tupleIJPjSI_NS0_16reverse_iteratorISI_EEEEENSH_IJSG_SG_SG_EEES9_SI_JZNS1_25segmented_radix_sort_implINS0_14default_configELb1EPKfPfPKlPlN2at6native12_GLOBAL__N_18offset_tEEE10hipError_tPvRmT1_PNSt15iterator_traitsIS12_E10value_typeET2_T3_PNS13_IS18_E10value_typeET4_jRbjT5_S1E_jjP12ihipStream_tbEUljE_ZNSN_ISO_Lb1ESQ_SR_ST_SU_SY_EESZ_S10_S11_S12_S16_S17_S18_S1B_S1C_jS1D_jS1E_S1E_jjS1G_bEUljE0_EEESZ_S10_S11_S18_S1C_S1E_T6_T7_T9_mT8_S1G_bDpT10_ENKUlT_T0_E_clISt17integral_constantIbLb0EES1T_IbLb1EEEEDaS1P_S1Q_EUlS1P_E_NS1_11comp_targetILNS1_3genE10ELNS1_11target_archE1200ELNS1_3gpuE4ELNS1_3repE0EEENS1_30default_config_static_selectorELNS0_4arch9wavefront6targetE0EEEvS12_.has_recursion, 0
	.set _ZN7rocprim17ROCPRIM_400000_NS6detail17trampoline_kernelINS0_13select_configILj256ELj13ELNS0_17block_load_methodE3ELS4_3ELS4_3ELNS0_20block_scan_algorithmE0ELj4294967295EEENS1_25partition_config_selectorILNS1_17partition_subalgoE4EjNS0_10empty_typeEbEEZZNS1_14partition_implILS8_4ELb0ES6_15HIP_vector_typeIjLj2EENS0_17counting_iteratorIjlEEPS9_SG_NS0_5tupleIJPjSI_NS0_16reverse_iteratorISI_EEEEENSH_IJSG_SG_SG_EEES9_SI_JZNS1_25segmented_radix_sort_implINS0_14default_configELb1EPKfPfPKlPlN2at6native12_GLOBAL__N_18offset_tEEE10hipError_tPvRmT1_PNSt15iterator_traitsIS12_E10value_typeET2_T3_PNS13_IS18_E10value_typeET4_jRbjT5_S1E_jjP12ihipStream_tbEUljE_ZNSN_ISO_Lb1ESQ_SR_ST_SU_SY_EESZ_S10_S11_S12_S16_S17_S18_S1B_S1C_jS1D_jS1E_S1E_jjS1G_bEUljE0_EEESZ_S10_S11_S18_S1C_S1E_T6_T7_T9_mT8_S1G_bDpT10_ENKUlT_T0_E_clISt17integral_constantIbLb0EES1T_IbLb1EEEEDaS1P_S1Q_EUlS1P_E_NS1_11comp_targetILNS1_3genE10ELNS1_11target_archE1200ELNS1_3gpuE4ELNS1_3repE0EEENS1_30default_config_static_selectorELNS0_4arch9wavefront6targetE0EEEvS12_.has_indirect_call, 0
	.section	.AMDGPU.csdata,"",@progbits
; Kernel info:
; codeLenInByte = 0
; TotalNumSgprs: 0
; NumVgprs: 0
; ScratchSize: 0
; MemoryBound: 0
; FloatMode: 240
; IeeeMode: 1
; LDSByteSize: 0 bytes/workgroup (compile time only)
; SGPRBlocks: 0
; VGPRBlocks: 0
; NumSGPRsForWavesPerEU: 1
; NumVGPRsForWavesPerEU: 1
; Occupancy: 16
; WaveLimiterHint : 0
; COMPUTE_PGM_RSRC2:SCRATCH_EN: 0
; COMPUTE_PGM_RSRC2:USER_SGPR: 6
; COMPUTE_PGM_RSRC2:TRAP_HANDLER: 0
; COMPUTE_PGM_RSRC2:TGID_X_EN: 1
; COMPUTE_PGM_RSRC2:TGID_Y_EN: 0
; COMPUTE_PGM_RSRC2:TGID_Z_EN: 0
; COMPUTE_PGM_RSRC2:TIDIG_COMP_CNT: 0
	.section	.text._ZN7rocprim17ROCPRIM_400000_NS6detail17trampoline_kernelINS0_13select_configILj256ELj13ELNS0_17block_load_methodE3ELS4_3ELS4_3ELNS0_20block_scan_algorithmE0ELj4294967295EEENS1_25partition_config_selectorILNS1_17partition_subalgoE4EjNS0_10empty_typeEbEEZZNS1_14partition_implILS8_4ELb0ES6_15HIP_vector_typeIjLj2EENS0_17counting_iteratorIjlEEPS9_SG_NS0_5tupleIJPjSI_NS0_16reverse_iteratorISI_EEEEENSH_IJSG_SG_SG_EEES9_SI_JZNS1_25segmented_radix_sort_implINS0_14default_configELb1EPKfPfPKlPlN2at6native12_GLOBAL__N_18offset_tEEE10hipError_tPvRmT1_PNSt15iterator_traitsIS12_E10value_typeET2_T3_PNS13_IS18_E10value_typeET4_jRbjT5_S1E_jjP12ihipStream_tbEUljE_ZNSN_ISO_Lb1ESQ_SR_ST_SU_SY_EESZ_S10_S11_S12_S16_S17_S18_S1B_S1C_jS1D_jS1E_S1E_jjS1G_bEUljE0_EEESZ_S10_S11_S18_S1C_S1E_T6_T7_T9_mT8_S1G_bDpT10_ENKUlT_T0_E_clISt17integral_constantIbLb0EES1T_IbLb1EEEEDaS1P_S1Q_EUlS1P_E_NS1_11comp_targetILNS1_3genE9ELNS1_11target_archE1100ELNS1_3gpuE3ELNS1_3repE0EEENS1_30default_config_static_selectorELNS0_4arch9wavefront6targetE0EEEvS12_,"axG",@progbits,_ZN7rocprim17ROCPRIM_400000_NS6detail17trampoline_kernelINS0_13select_configILj256ELj13ELNS0_17block_load_methodE3ELS4_3ELS4_3ELNS0_20block_scan_algorithmE0ELj4294967295EEENS1_25partition_config_selectorILNS1_17partition_subalgoE4EjNS0_10empty_typeEbEEZZNS1_14partition_implILS8_4ELb0ES6_15HIP_vector_typeIjLj2EENS0_17counting_iteratorIjlEEPS9_SG_NS0_5tupleIJPjSI_NS0_16reverse_iteratorISI_EEEEENSH_IJSG_SG_SG_EEES9_SI_JZNS1_25segmented_radix_sort_implINS0_14default_configELb1EPKfPfPKlPlN2at6native12_GLOBAL__N_18offset_tEEE10hipError_tPvRmT1_PNSt15iterator_traitsIS12_E10value_typeET2_T3_PNS13_IS18_E10value_typeET4_jRbjT5_S1E_jjP12ihipStream_tbEUljE_ZNSN_ISO_Lb1ESQ_SR_ST_SU_SY_EESZ_S10_S11_S12_S16_S17_S18_S1B_S1C_jS1D_jS1E_S1E_jjS1G_bEUljE0_EEESZ_S10_S11_S18_S1C_S1E_T6_T7_T9_mT8_S1G_bDpT10_ENKUlT_T0_E_clISt17integral_constantIbLb0EES1T_IbLb1EEEEDaS1P_S1Q_EUlS1P_E_NS1_11comp_targetILNS1_3genE9ELNS1_11target_archE1100ELNS1_3gpuE3ELNS1_3repE0EEENS1_30default_config_static_selectorELNS0_4arch9wavefront6targetE0EEEvS12_,comdat
	.globl	_ZN7rocprim17ROCPRIM_400000_NS6detail17trampoline_kernelINS0_13select_configILj256ELj13ELNS0_17block_load_methodE3ELS4_3ELS4_3ELNS0_20block_scan_algorithmE0ELj4294967295EEENS1_25partition_config_selectorILNS1_17partition_subalgoE4EjNS0_10empty_typeEbEEZZNS1_14partition_implILS8_4ELb0ES6_15HIP_vector_typeIjLj2EENS0_17counting_iteratorIjlEEPS9_SG_NS0_5tupleIJPjSI_NS0_16reverse_iteratorISI_EEEEENSH_IJSG_SG_SG_EEES9_SI_JZNS1_25segmented_radix_sort_implINS0_14default_configELb1EPKfPfPKlPlN2at6native12_GLOBAL__N_18offset_tEEE10hipError_tPvRmT1_PNSt15iterator_traitsIS12_E10value_typeET2_T3_PNS13_IS18_E10value_typeET4_jRbjT5_S1E_jjP12ihipStream_tbEUljE_ZNSN_ISO_Lb1ESQ_SR_ST_SU_SY_EESZ_S10_S11_S12_S16_S17_S18_S1B_S1C_jS1D_jS1E_S1E_jjS1G_bEUljE0_EEESZ_S10_S11_S18_S1C_S1E_T6_T7_T9_mT8_S1G_bDpT10_ENKUlT_T0_E_clISt17integral_constantIbLb0EES1T_IbLb1EEEEDaS1P_S1Q_EUlS1P_E_NS1_11comp_targetILNS1_3genE9ELNS1_11target_archE1100ELNS1_3gpuE3ELNS1_3repE0EEENS1_30default_config_static_selectorELNS0_4arch9wavefront6targetE0EEEvS12_ ; -- Begin function _ZN7rocprim17ROCPRIM_400000_NS6detail17trampoline_kernelINS0_13select_configILj256ELj13ELNS0_17block_load_methodE3ELS4_3ELS4_3ELNS0_20block_scan_algorithmE0ELj4294967295EEENS1_25partition_config_selectorILNS1_17partition_subalgoE4EjNS0_10empty_typeEbEEZZNS1_14partition_implILS8_4ELb0ES6_15HIP_vector_typeIjLj2EENS0_17counting_iteratorIjlEEPS9_SG_NS0_5tupleIJPjSI_NS0_16reverse_iteratorISI_EEEEENSH_IJSG_SG_SG_EEES9_SI_JZNS1_25segmented_radix_sort_implINS0_14default_configELb1EPKfPfPKlPlN2at6native12_GLOBAL__N_18offset_tEEE10hipError_tPvRmT1_PNSt15iterator_traitsIS12_E10value_typeET2_T3_PNS13_IS18_E10value_typeET4_jRbjT5_S1E_jjP12ihipStream_tbEUljE_ZNSN_ISO_Lb1ESQ_SR_ST_SU_SY_EESZ_S10_S11_S12_S16_S17_S18_S1B_S1C_jS1D_jS1E_S1E_jjS1G_bEUljE0_EEESZ_S10_S11_S18_S1C_S1E_T6_T7_T9_mT8_S1G_bDpT10_ENKUlT_T0_E_clISt17integral_constantIbLb0EES1T_IbLb1EEEEDaS1P_S1Q_EUlS1P_E_NS1_11comp_targetILNS1_3genE9ELNS1_11target_archE1100ELNS1_3gpuE3ELNS1_3repE0EEENS1_30default_config_static_selectorELNS0_4arch9wavefront6targetE0EEEvS12_
	.p2align	8
	.type	_ZN7rocprim17ROCPRIM_400000_NS6detail17trampoline_kernelINS0_13select_configILj256ELj13ELNS0_17block_load_methodE3ELS4_3ELS4_3ELNS0_20block_scan_algorithmE0ELj4294967295EEENS1_25partition_config_selectorILNS1_17partition_subalgoE4EjNS0_10empty_typeEbEEZZNS1_14partition_implILS8_4ELb0ES6_15HIP_vector_typeIjLj2EENS0_17counting_iteratorIjlEEPS9_SG_NS0_5tupleIJPjSI_NS0_16reverse_iteratorISI_EEEEENSH_IJSG_SG_SG_EEES9_SI_JZNS1_25segmented_radix_sort_implINS0_14default_configELb1EPKfPfPKlPlN2at6native12_GLOBAL__N_18offset_tEEE10hipError_tPvRmT1_PNSt15iterator_traitsIS12_E10value_typeET2_T3_PNS13_IS18_E10value_typeET4_jRbjT5_S1E_jjP12ihipStream_tbEUljE_ZNSN_ISO_Lb1ESQ_SR_ST_SU_SY_EESZ_S10_S11_S12_S16_S17_S18_S1B_S1C_jS1D_jS1E_S1E_jjS1G_bEUljE0_EEESZ_S10_S11_S18_S1C_S1E_T6_T7_T9_mT8_S1G_bDpT10_ENKUlT_T0_E_clISt17integral_constantIbLb0EES1T_IbLb1EEEEDaS1P_S1Q_EUlS1P_E_NS1_11comp_targetILNS1_3genE9ELNS1_11target_archE1100ELNS1_3gpuE3ELNS1_3repE0EEENS1_30default_config_static_selectorELNS0_4arch9wavefront6targetE0EEEvS12_,@function
_ZN7rocprim17ROCPRIM_400000_NS6detail17trampoline_kernelINS0_13select_configILj256ELj13ELNS0_17block_load_methodE3ELS4_3ELS4_3ELNS0_20block_scan_algorithmE0ELj4294967295EEENS1_25partition_config_selectorILNS1_17partition_subalgoE4EjNS0_10empty_typeEbEEZZNS1_14partition_implILS8_4ELb0ES6_15HIP_vector_typeIjLj2EENS0_17counting_iteratorIjlEEPS9_SG_NS0_5tupleIJPjSI_NS0_16reverse_iteratorISI_EEEEENSH_IJSG_SG_SG_EEES9_SI_JZNS1_25segmented_radix_sort_implINS0_14default_configELb1EPKfPfPKlPlN2at6native12_GLOBAL__N_18offset_tEEE10hipError_tPvRmT1_PNSt15iterator_traitsIS12_E10value_typeET2_T3_PNS13_IS18_E10value_typeET4_jRbjT5_S1E_jjP12ihipStream_tbEUljE_ZNSN_ISO_Lb1ESQ_SR_ST_SU_SY_EESZ_S10_S11_S12_S16_S17_S18_S1B_S1C_jS1D_jS1E_S1E_jjS1G_bEUljE0_EEESZ_S10_S11_S18_S1C_S1E_T6_T7_T9_mT8_S1G_bDpT10_ENKUlT_T0_E_clISt17integral_constantIbLb0EES1T_IbLb1EEEEDaS1P_S1Q_EUlS1P_E_NS1_11comp_targetILNS1_3genE9ELNS1_11target_archE1100ELNS1_3gpuE3ELNS1_3repE0EEENS1_30default_config_static_selectorELNS0_4arch9wavefront6targetE0EEEvS12_: ; @_ZN7rocprim17ROCPRIM_400000_NS6detail17trampoline_kernelINS0_13select_configILj256ELj13ELNS0_17block_load_methodE3ELS4_3ELS4_3ELNS0_20block_scan_algorithmE0ELj4294967295EEENS1_25partition_config_selectorILNS1_17partition_subalgoE4EjNS0_10empty_typeEbEEZZNS1_14partition_implILS8_4ELb0ES6_15HIP_vector_typeIjLj2EENS0_17counting_iteratorIjlEEPS9_SG_NS0_5tupleIJPjSI_NS0_16reverse_iteratorISI_EEEEENSH_IJSG_SG_SG_EEES9_SI_JZNS1_25segmented_radix_sort_implINS0_14default_configELb1EPKfPfPKlPlN2at6native12_GLOBAL__N_18offset_tEEE10hipError_tPvRmT1_PNSt15iterator_traitsIS12_E10value_typeET2_T3_PNS13_IS18_E10value_typeET4_jRbjT5_S1E_jjP12ihipStream_tbEUljE_ZNSN_ISO_Lb1ESQ_SR_ST_SU_SY_EESZ_S10_S11_S12_S16_S17_S18_S1B_S1C_jS1D_jS1E_S1E_jjS1G_bEUljE0_EEESZ_S10_S11_S18_S1C_S1E_T6_T7_T9_mT8_S1G_bDpT10_ENKUlT_T0_E_clISt17integral_constantIbLb0EES1T_IbLb1EEEEDaS1P_S1Q_EUlS1P_E_NS1_11comp_targetILNS1_3genE9ELNS1_11target_archE1100ELNS1_3gpuE3ELNS1_3repE0EEENS1_30default_config_static_selectorELNS0_4arch9wavefront6targetE0EEEvS12_
; %bb.0:
	.section	.rodata,"a",@progbits
	.p2align	6, 0x0
	.amdhsa_kernel _ZN7rocprim17ROCPRIM_400000_NS6detail17trampoline_kernelINS0_13select_configILj256ELj13ELNS0_17block_load_methodE3ELS4_3ELS4_3ELNS0_20block_scan_algorithmE0ELj4294967295EEENS1_25partition_config_selectorILNS1_17partition_subalgoE4EjNS0_10empty_typeEbEEZZNS1_14partition_implILS8_4ELb0ES6_15HIP_vector_typeIjLj2EENS0_17counting_iteratorIjlEEPS9_SG_NS0_5tupleIJPjSI_NS0_16reverse_iteratorISI_EEEEENSH_IJSG_SG_SG_EEES9_SI_JZNS1_25segmented_radix_sort_implINS0_14default_configELb1EPKfPfPKlPlN2at6native12_GLOBAL__N_18offset_tEEE10hipError_tPvRmT1_PNSt15iterator_traitsIS12_E10value_typeET2_T3_PNS13_IS18_E10value_typeET4_jRbjT5_S1E_jjP12ihipStream_tbEUljE_ZNSN_ISO_Lb1ESQ_SR_ST_SU_SY_EESZ_S10_S11_S12_S16_S17_S18_S1B_S1C_jS1D_jS1E_S1E_jjS1G_bEUljE0_EEESZ_S10_S11_S18_S1C_S1E_T6_T7_T9_mT8_S1G_bDpT10_ENKUlT_T0_E_clISt17integral_constantIbLb0EES1T_IbLb1EEEEDaS1P_S1Q_EUlS1P_E_NS1_11comp_targetILNS1_3genE9ELNS1_11target_archE1100ELNS1_3gpuE3ELNS1_3repE0EEENS1_30default_config_static_selectorELNS0_4arch9wavefront6targetE0EEEvS12_
		.amdhsa_group_segment_fixed_size 0
		.amdhsa_private_segment_fixed_size 0
		.amdhsa_kernarg_size 184
		.amdhsa_user_sgpr_count 6
		.amdhsa_user_sgpr_private_segment_buffer 1
		.amdhsa_user_sgpr_dispatch_ptr 0
		.amdhsa_user_sgpr_queue_ptr 0
		.amdhsa_user_sgpr_kernarg_segment_ptr 1
		.amdhsa_user_sgpr_dispatch_id 0
		.amdhsa_user_sgpr_flat_scratch_init 0
		.amdhsa_user_sgpr_private_segment_size 0
		.amdhsa_wavefront_size32 1
		.amdhsa_uses_dynamic_stack 0
		.amdhsa_system_sgpr_private_segment_wavefront_offset 0
		.amdhsa_system_sgpr_workgroup_id_x 1
		.amdhsa_system_sgpr_workgroup_id_y 0
		.amdhsa_system_sgpr_workgroup_id_z 0
		.amdhsa_system_sgpr_workgroup_info 0
		.amdhsa_system_vgpr_workitem_id 0
		.amdhsa_next_free_vgpr 1
		.amdhsa_next_free_sgpr 1
		.amdhsa_reserve_vcc 0
		.amdhsa_reserve_flat_scratch 0
		.amdhsa_float_round_mode_32 0
		.amdhsa_float_round_mode_16_64 0
		.amdhsa_float_denorm_mode_32 3
		.amdhsa_float_denorm_mode_16_64 3
		.amdhsa_dx10_clamp 1
		.amdhsa_ieee_mode 1
		.amdhsa_fp16_overflow 0
		.amdhsa_workgroup_processor_mode 1
		.amdhsa_memory_ordered 1
		.amdhsa_forward_progress 1
		.amdhsa_shared_vgpr_count 0
		.amdhsa_exception_fp_ieee_invalid_op 0
		.amdhsa_exception_fp_denorm_src 0
		.amdhsa_exception_fp_ieee_div_zero 0
		.amdhsa_exception_fp_ieee_overflow 0
		.amdhsa_exception_fp_ieee_underflow 0
		.amdhsa_exception_fp_ieee_inexact 0
		.amdhsa_exception_int_div_zero 0
	.end_amdhsa_kernel
	.section	.text._ZN7rocprim17ROCPRIM_400000_NS6detail17trampoline_kernelINS0_13select_configILj256ELj13ELNS0_17block_load_methodE3ELS4_3ELS4_3ELNS0_20block_scan_algorithmE0ELj4294967295EEENS1_25partition_config_selectorILNS1_17partition_subalgoE4EjNS0_10empty_typeEbEEZZNS1_14partition_implILS8_4ELb0ES6_15HIP_vector_typeIjLj2EENS0_17counting_iteratorIjlEEPS9_SG_NS0_5tupleIJPjSI_NS0_16reverse_iteratorISI_EEEEENSH_IJSG_SG_SG_EEES9_SI_JZNS1_25segmented_radix_sort_implINS0_14default_configELb1EPKfPfPKlPlN2at6native12_GLOBAL__N_18offset_tEEE10hipError_tPvRmT1_PNSt15iterator_traitsIS12_E10value_typeET2_T3_PNS13_IS18_E10value_typeET4_jRbjT5_S1E_jjP12ihipStream_tbEUljE_ZNSN_ISO_Lb1ESQ_SR_ST_SU_SY_EESZ_S10_S11_S12_S16_S17_S18_S1B_S1C_jS1D_jS1E_S1E_jjS1G_bEUljE0_EEESZ_S10_S11_S18_S1C_S1E_T6_T7_T9_mT8_S1G_bDpT10_ENKUlT_T0_E_clISt17integral_constantIbLb0EES1T_IbLb1EEEEDaS1P_S1Q_EUlS1P_E_NS1_11comp_targetILNS1_3genE9ELNS1_11target_archE1100ELNS1_3gpuE3ELNS1_3repE0EEENS1_30default_config_static_selectorELNS0_4arch9wavefront6targetE0EEEvS12_,"axG",@progbits,_ZN7rocprim17ROCPRIM_400000_NS6detail17trampoline_kernelINS0_13select_configILj256ELj13ELNS0_17block_load_methodE3ELS4_3ELS4_3ELNS0_20block_scan_algorithmE0ELj4294967295EEENS1_25partition_config_selectorILNS1_17partition_subalgoE4EjNS0_10empty_typeEbEEZZNS1_14partition_implILS8_4ELb0ES6_15HIP_vector_typeIjLj2EENS0_17counting_iteratorIjlEEPS9_SG_NS0_5tupleIJPjSI_NS0_16reverse_iteratorISI_EEEEENSH_IJSG_SG_SG_EEES9_SI_JZNS1_25segmented_radix_sort_implINS0_14default_configELb1EPKfPfPKlPlN2at6native12_GLOBAL__N_18offset_tEEE10hipError_tPvRmT1_PNSt15iterator_traitsIS12_E10value_typeET2_T3_PNS13_IS18_E10value_typeET4_jRbjT5_S1E_jjP12ihipStream_tbEUljE_ZNSN_ISO_Lb1ESQ_SR_ST_SU_SY_EESZ_S10_S11_S12_S16_S17_S18_S1B_S1C_jS1D_jS1E_S1E_jjS1G_bEUljE0_EEESZ_S10_S11_S18_S1C_S1E_T6_T7_T9_mT8_S1G_bDpT10_ENKUlT_T0_E_clISt17integral_constantIbLb0EES1T_IbLb1EEEEDaS1P_S1Q_EUlS1P_E_NS1_11comp_targetILNS1_3genE9ELNS1_11target_archE1100ELNS1_3gpuE3ELNS1_3repE0EEENS1_30default_config_static_selectorELNS0_4arch9wavefront6targetE0EEEvS12_,comdat
.Lfunc_end1283:
	.size	_ZN7rocprim17ROCPRIM_400000_NS6detail17trampoline_kernelINS0_13select_configILj256ELj13ELNS0_17block_load_methodE3ELS4_3ELS4_3ELNS0_20block_scan_algorithmE0ELj4294967295EEENS1_25partition_config_selectorILNS1_17partition_subalgoE4EjNS0_10empty_typeEbEEZZNS1_14partition_implILS8_4ELb0ES6_15HIP_vector_typeIjLj2EENS0_17counting_iteratorIjlEEPS9_SG_NS0_5tupleIJPjSI_NS0_16reverse_iteratorISI_EEEEENSH_IJSG_SG_SG_EEES9_SI_JZNS1_25segmented_radix_sort_implINS0_14default_configELb1EPKfPfPKlPlN2at6native12_GLOBAL__N_18offset_tEEE10hipError_tPvRmT1_PNSt15iterator_traitsIS12_E10value_typeET2_T3_PNS13_IS18_E10value_typeET4_jRbjT5_S1E_jjP12ihipStream_tbEUljE_ZNSN_ISO_Lb1ESQ_SR_ST_SU_SY_EESZ_S10_S11_S12_S16_S17_S18_S1B_S1C_jS1D_jS1E_S1E_jjS1G_bEUljE0_EEESZ_S10_S11_S18_S1C_S1E_T6_T7_T9_mT8_S1G_bDpT10_ENKUlT_T0_E_clISt17integral_constantIbLb0EES1T_IbLb1EEEEDaS1P_S1Q_EUlS1P_E_NS1_11comp_targetILNS1_3genE9ELNS1_11target_archE1100ELNS1_3gpuE3ELNS1_3repE0EEENS1_30default_config_static_selectorELNS0_4arch9wavefront6targetE0EEEvS12_, .Lfunc_end1283-_ZN7rocprim17ROCPRIM_400000_NS6detail17trampoline_kernelINS0_13select_configILj256ELj13ELNS0_17block_load_methodE3ELS4_3ELS4_3ELNS0_20block_scan_algorithmE0ELj4294967295EEENS1_25partition_config_selectorILNS1_17partition_subalgoE4EjNS0_10empty_typeEbEEZZNS1_14partition_implILS8_4ELb0ES6_15HIP_vector_typeIjLj2EENS0_17counting_iteratorIjlEEPS9_SG_NS0_5tupleIJPjSI_NS0_16reverse_iteratorISI_EEEEENSH_IJSG_SG_SG_EEES9_SI_JZNS1_25segmented_radix_sort_implINS0_14default_configELb1EPKfPfPKlPlN2at6native12_GLOBAL__N_18offset_tEEE10hipError_tPvRmT1_PNSt15iterator_traitsIS12_E10value_typeET2_T3_PNS13_IS18_E10value_typeET4_jRbjT5_S1E_jjP12ihipStream_tbEUljE_ZNSN_ISO_Lb1ESQ_SR_ST_SU_SY_EESZ_S10_S11_S12_S16_S17_S18_S1B_S1C_jS1D_jS1E_S1E_jjS1G_bEUljE0_EEESZ_S10_S11_S18_S1C_S1E_T6_T7_T9_mT8_S1G_bDpT10_ENKUlT_T0_E_clISt17integral_constantIbLb0EES1T_IbLb1EEEEDaS1P_S1Q_EUlS1P_E_NS1_11comp_targetILNS1_3genE9ELNS1_11target_archE1100ELNS1_3gpuE3ELNS1_3repE0EEENS1_30default_config_static_selectorELNS0_4arch9wavefront6targetE0EEEvS12_
                                        ; -- End function
	.set _ZN7rocprim17ROCPRIM_400000_NS6detail17trampoline_kernelINS0_13select_configILj256ELj13ELNS0_17block_load_methodE3ELS4_3ELS4_3ELNS0_20block_scan_algorithmE0ELj4294967295EEENS1_25partition_config_selectorILNS1_17partition_subalgoE4EjNS0_10empty_typeEbEEZZNS1_14partition_implILS8_4ELb0ES6_15HIP_vector_typeIjLj2EENS0_17counting_iteratorIjlEEPS9_SG_NS0_5tupleIJPjSI_NS0_16reverse_iteratorISI_EEEEENSH_IJSG_SG_SG_EEES9_SI_JZNS1_25segmented_radix_sort_implINS0_14default_configELb1EPKfPfPKlPlN2at6native12_GLOBAL__N_18offset_tEEE10hipError_tPvRmT1_PNSt15iterator_traitsIS12_E10value_typeET2_T3_PNS13_IS18_E10value_typeET4_jRbjT5_S1E_jjP12ihipStream_tbEUljE_ZNSN_ISO_Lb1ESQ_SR_ST_SU_SY_EESZ_S10_S11_S12_S16_S17_S18_S1B_S1C_jS1D_jS1E_S1E_jjS1G_bEUljE0_EEESZ_S10_S11_S18_S1C_S1E_T6_T7_T9_mT8_S1G_bDpT10_ENKUlT_T0_E_clISt17integral_constantIbLb0EES1T_IbLb1EEEEDaS1P_S1Q_EUlS1P_E_NS1_11comp_targetILNS1_3genE9ELNS1_11target_archE1100ELNS1_3gpuE3ELNS1_3repE0EEENS1_30default_config_static_selectorELNS0_4arch9wavefront6targetE0EEEvS12_.num_vgpr, 0
	.set _ZN7rocprim17ROCPRIM_400000_NS6detail17trampoline_kernelINS0_13select_configILj256ELj13ELNS0_17block_load_methodE3ELS4_3ELS4_3ELNS0_20block_scan_algorithmE0ELj4294967295EEENS1_25partition_config_selectorILNS1_17partition_subalgoE4EjNS0_10empty_typeEbEEZZNS1_14partition_implILS8_4ELb0ES6_15HIP_vector_typeIjLj2EENS0_17counting_iteratorIjlEEPS9_SG_NS0_5tupleIJPjSI_NS0_16reverse_iteratorISI_EEEEENSH_IJSG_SG_SG_EEES9_SI_JZNS1_25segmented_radix_sort_implINS0_14default_configELb1EPKfPfPKlPlN2at6native12_GLOBAL__N_18offset_tEEE10hipError_tPvRmT1_PNSt15iterator_traitsIS12_E10value_typeET2_T3_PNS13_IS18_E10value_typeET4_jRbjT5_S1E_jjP12ihipStream_tbEUljE_ZNSN_ISO_Lb1ESQ_SR_ST_SU_SY_EESZ_S10_S11_S12_S16_S17_S18_S1B_S1C_jS1D_jS1E_S1E_jjS1G_bEUljE0_EEESZ_S10_S11_S18_S1C_S1E_T6_T7_T9_mT8_S1G_bDpT10_ENKUlT_T0_E_clISt17integral_constantIbLb0EES1T_IbLb1EEEEDaS1P_S1Q_EUlS1P_E_NS1_11comp_targetILNS1_3genE9ELNS1_11target_archE1100ELNS1_3gpuE3ELNS1_3repE0EEENS1_30default_config_static_selectorELNS0_4arch9wavefront6targetE0EEEvS12_.num_agpr, 0
	.set _ZN7rocprim17ROCPRIM_400000_NS6detail17trampoline_kernelINS0_13select_configILj256ELj13ELNS0_17block_load_methodE3ELS4_3ELS4_3ELNS0_20block_scan_algorithmE0ELj4294967295EEENS1_25partition_config_selectorILNS1_17partition_subalgoE4EjNS0_10empty_typeEbEEZZNS1_14partition_implILS8_4ELb0ES6_15HIP_vector_typeIjLj2EENS0_17counting_iteratorIjlEEPS9_SG_NS0_5tupleIJPjSI_NS0_16reverse_iteratorISI_EEEEENSH_IJSG_SG_SG_EEES9_SI_JZNS1_25segmented_radix_sort_implINS0_14default_configELb1EPKfPfPKlPlN2at6native12_GLOBAL__N_18offset_tEEE10hipError_tPvRmT1_PNSt15iterator_traitsIS12_E10value_typeET2_T3_PNS13_IS18_E10value_typeET4_jRbjT5_S1E_jjP12ihipStream_tbEUljE_ZNSN_ISO_Lb1ESQ_SR_ST_SU_SY_EESZ_S10_S11_S12_S16_S17_S18_S1B_S1C_jS1D_jS1E_S1E_jjS1G_bEUljE0_EEESZ_S10_S11_S18_S1C_S1E_T6_T7_T9_mT8_S1G_bDpT10_ENKUlT_T0_E_clISt17integral_constantIbLb0EES1T_IbLb1EEEEDaS1P_S1Q_EUlS1P_E_NS1_11comp_targetILNS1_3genE9ELNS1_11target_archE1100ELNS1_3gpuE3ELNS1_3repE0EEENS1_30default_config_static_selectorELNS0_4arch9wavefront6targetE0EEEvS12_.numbered_sgpr, 0
	.set _ZN7rocprim17ROCPRIM_400000_NS6detail17trampoline_kernelINS0_13select_configILj256ELj13ELNS0_17block_load_methodE3ELS4_3ELS4_3ELNS0_20block_scan_algorithmE0ELj4294967295EEENS1_25partition_config_selectorILNS1_17partition_subalgoE4EjNS0_10empty_typeEbEEZZNS1_14partition_implILS8_4ELb0ES6_15HIP_vector_typeIjLj2EENS0_17counting_iteratorIjlEEPS9_SG_NS0_5tupleIJPjSI_NS0_16reverse_iteratorISI_EEEEENSH_IJSG_SG_SG_EEES9_SI_JZNS1_25segmented_radix_sort_implINS0_14default_configELb1EPKfPfPKlPlN2at6native12_GLOBAL__N_18offset_tEEE10hipError_tPvRmT1_PNSt15iterator_traitsIS12_E10value_typeET2_T3_PNS13_IS18_E10value_typeET4_jRbjT5_S1E_jjP12ihipStream_tbEUljE_ZNSN_ISO_Lb1ESQ_SR_ST_SU_SY_EESZ_S10_S11_S12_S16_S17_S18_S1B_S1C_jS1D_jS1E_S1E_jjS1G_bEUljE0_EEESZ_S10_S11_S18_S1C_S1E_T6_T7_T9_mT8_S1G_bDpT10_ENKUlT_T0_E_clISt17integral_constantIbLb0EES1T_IbLb1EEEEDaS1P_S1Q_EUlS1P_E_NS1_11comp_targetILNS1_3genE9ELNS1_11target_archE1100ELNS1_3gpuE3ELNS1_3repE0EEENS1_30default_config_static_selectorELNS0_4arch9wavefront6targetE0EEEvS12_.num_named_barrier, 0
	.set _ZN7rocprim17ROCPRIM_400000_NS6detail17trampoline_kernelINS0_13select_configILj256ELj13ELNS0_17block_load_methodE3ELS4_3ELS4_3ELNS0_20block_scan_algorithmE0ELj4294967295EEENS1_25partition_config_selectorILNS1_17partition_subalgoE4EjNS0_10empty_typeEbEEZZNS1_14partition_implILS8_4ELb0ES6_15HIP_vector_typeIjLj2EENS0_17counting_iteratorIjlEEPS9_SG_NS0_5tupleIJPjSI_NS0_16reverse_iteratorISI_EEEEENSH_IJSG_SG_SG_EEES9_SI_JZNS1_25segmented_radix_sort_implINS0_14default_configELb1EPKfPfPKlPlN2at6native12_GLOBAL__N_18offset_tEEE10hipError_tPvRmT1_PNSt15iterator_traitsIS12_E10value_typeET2_T3_PNS13_IS18_E10value_typeET4_jRbjT5_S1E_jjP12ihipStream_tbEUljE_ZNSN_ISO_Lb1ESQ_SR_ST_SU_SY_EESZ_S10_S11_S12_S16_S17_S18_S1B_S1C_jS1D_jS1E_S1E_jjS1G_bEUljE0_EEESZ_S10_S11_S18_S1C_S1E_T6_T7_T9_mT8_S1G_bDpT10_ENKUlT_T0_E_clISt17integral_constantIbLb0EES1T_IbLb1EEEEDaS1P_S1Q_EUlS1P_E_NS1_11comp_targetILNS1_3genE9ELNS1_11target_archE1100ELNS1_3gpuE3ELNS1_3repE0EEENS1_30default_config_static_selectorELNS0_4arch9wavefront6targetE0EEEvS12_.private_seg_size, 0
	.set _ZN7rocprim17ROCPRIM_400000_NS6detail17trampoline_kernelINS0_13select_configILj256ELj13ELNS0_17block_load_methodE3ELS4_3ELS4_3ELNS0_20block_scan_algorithmE0ELj4294967295EEENS1_25partition_config_selectorILNS1_17partition_subalgoE4EjNS0_10empty_typeEbEEZZNS1_14partition_implILS8_4ELb0ES6_15HIP_vector_typeIjLj2EENS0_17counting_iteratorIjlEEPS9_SG_NS0_5tupleIJPjSI_NS0_16reverse_iteratorISI_EEEEENSH_IJSG_SG_SG_EEES9_SI_JZNS1_25segmented_radix_sort_implINS0_14default_configELb1EPKfPfPKlPlN2at6native12_GLOBAL__N_18offset_tEEE10hipError_tPvRmT1_PNSt15iterator_traitsIS12_E10value_typeET2_T3_PNS13_IS18_E10value_typeET4_jRbjT5_S1E_jjP12ihipStream_tbEUljE_ZNSN_ISO_Lb1ESQ_SR_ST_SU_SY_EESZ_S10_S11_S12_S16_S17_S18_S1B_S1C_jS1D_jS1E_S1E_jjS1G_bEUljE0_EEESZ_S10_S11_S18_S1C_S1E_T6_T7_T9_mT8_S1G_bDpT10_ENKUlT_T0_E_clISt17integral_constantIbLb0EES1T_IbLb1EEEEDaS1P_S1Q_EUlS1P_E_NS1_11comp_targetILNS1_3genE9ELNS1_11target_archE1100ELNS1_3gpuE3ELNS1_3repE0EEENS1_30default_config_static_selectorELNS0_4arch9wavefront6targetE0EEEvS12_.uses_vcc, 0
	.set _ZN7rocprim17ROCPRIM_400000_NS6detail17trampoline_kernelINS0_13select_configILj256ELj13ELNS0_17block_load_methodE3ELS4_3ELS4_3ELNS0_20block_scan_algorithmE0ELj4294967295EEENS1_25partition_config_selectorILNS1_17partition_subalgoE4EjNS0_10empty_typeEbEEZZNS1_14partition_implILS8_4ELb0ES6_15HIP_vector_typeIjLj2EENS0_17counting_iteratorIjlEEPS9_SG_NS0_5tupleIJPjSI_NS0_16reverse_iteratorISI_EEEEENSH_IJSG_SG_SG_EEES9_SI_JZNS1_25segmented_radix_sort_implINS0_14default_configELb1EPKfPfPKlPlN2at6native12_GLOBAL__N_18offset_tEEE10hipError_tPvRmT1_PNSt15iterator_traitsIS12_E10value_typeET2_T3_PNS13_IS18_E10value_typeET4_jRbjT5_S1E_jjP12ihipStream_tbEUljE_ZNSN_ISO_Lb1ESQ_SR_ST_SU_SY_EESZ_S10_S11_S12_S16_S17_S18_S1B_S1C_jS1D_jS1E_S1E_jjS1G_bEUljE0_EEESZ_S10_S11_S18_S1C_S1E_T6_T7_T9_mT8_S1G_bDpT10_ENKUlT_T0_E_clISt17integral_constantIbLb0EES1T_IbLb1EEEEDaS1P_S1Q_EUlS1P_E_NS1_11comp_targetILNS1_3genE9ELNS1_11target_archE1100ELNS1_3gpuE3ELNS1_3repE0EEENS1_30default_config_static_selectorELNS0_4arch9wavefront6targetE0EEEvS12_.uses_flat_scratch, 0
	.set _ZN7rocprim17ROCPRIM_400000_NS6detail17trampoline_kernelINS0_13select_configILj256ELj13ELNS0_17block_load_methodE3ELS4_3ELS4_3ELNS0_20block_scan_algorithmE0ELj4294967295EEENS1_25partition_config_selectorILNS1_17partition_subalgoE4EjNS0_10empty_typeEbEEZZNS1_14partition_implILS8_4ELb0ES6_15HIP_vector_typeIjLj2EENS0_17counting_iteratorIjlEEPS9_SG_NS0_5tupleIJPjSI_NS0_16reverse_iteratorISI_EEEEENSH_IJSG_SG_SG_EEES9_SI_JZNS1_25segmented_radix_sort_implINS0_14default_configELb1EPKfPfPKlPlN2at6native12_GLOBAL__N_18offset_tEEE10hipError_tPvRmT1_PNSt15iterator_traitsIS12_E10value_typeET2_T3_PNS13_IS18_E10value_typeET4_jRbjT5_S1E_jjP12ihipStream_tbEUljE_ZNSN_ISO_Lb1ESQ_SR_ST_SU_SY_EESZ_S10_S11_S12_S16_S17_S18_S1B_S1C_jS1D_jS1E_S1E_jjS1G_bEUljE0_EEESZ_S10_S11_S18_S1C_S1E_T6_T7_T9_mT8_S1G_bDpT10_ENKUlT_T0_E_clISt17integral_constantIbLb0EES1T_IbLb1EEEEDaS1P_S1Q_EUlS1P_E_NS1_11comp_targetILNS1_3genE9ELNS1_11target_archE1100ELNS1_3gpuE3ELNS1_3repE0EEENS1_30default_config_static_selectorELNS0_4arch9wavefront6targetE0EEEvS12_.has_dyn_sized_stack, 0
	.set _ZN7rocprim17ROCPRIM_400000_NS6detail17trampoline_kernelINS0_13select_configILj256ELj13ELNS0_17block_load_methodE3ELS4_3ELS4_3ELNS0_20block_scan_algorithmE0ELj4294967295EEENS1_25partition_config_selectorILNS1_17partition_subalgoE4EjNS0_10empty_typeEbEEZZNS1_14partition_implILS8_4ELb0ES6_15HIP_vector_typeIjLj2EENS0_17counting_iteratorIjlEEPS9_SG_NS0_5tupleIJPjSI_NS0_16reverse_iteratorISI_EEEEENSH_IJSG_SG_SG_EEES9_SI_JZNS1_25segmented_radix_sort_implINS0_14default_configELb1EPKfPfPKlPlN2at6native12_GLOBAL__N_18offset_tEEE10hipError_tPvRmT1_PNSt15iterator_traitsIS12_E10value_typeET2_T3_PNS13_IS18_E10value_typeET4_jRbjT5_S1E_jjP12ihipStream_tbEUljE_ZNSN_ISO_Lb1ESQ_SR_ST_SU_SY_EESZ_S10_S11_S12_S16_S17_S18_S1B_S1C_jS1D_jS1E_S1E_jjS1G_bEUljE0_EEESZ_S10_S11_S18_S1C_S1E_T6_T7_T9_mT8_S1G_bDpT10_ENKUlT_T0_E_clISt17integral_constantIbLb0EES1T_IbLb1EEEEDaS1P_S1Q_EUlS1P_E_NS1_11comp_targetILNS1_3genE9ELNS1_11target_archE1100ELNS1_3gpuE3ELNS1_3repE0EEENS1_30default_config_static_selectorELNS0_4arch9wavefront6targetE0EEEvS12_.has_recursion, 0
	.set _ZN7rocprim17ROCPRIM_400000_NS6detail17trampoline_kernelINS0_13select_configILj256ELj13ELNS0_17block_load_methodE3ELS4_3ELS4_3ELNS0_20block_scan_algorithmE0ELj4294967295EEENS1_25partition_config_selectorILNS1_17partition_subalgoE4EjNS0_10empty_typeEbEEZZNS1_14partition_implILS8_4ELb0ES6_15HIP_vector_typeIjLj2EENS0_17counting_iteratorIjlEEPS9_SG_NS0_5tupleIJPjSI_NS0_16reverse_iteratorISI_EEEEENSH_IJSG_SG_SG_EEES9_SI_JZNS1_25segmented_radix_sort_implINS0_14default_configELb1EPKfPfPKlPlN2at6native12_GLOBAL__N_18offset_tEEE10hipError_tPvRmT1_PNSt15iterator_traitsIS12_E10value_typeET2_T3_PNS13_IS18_E10value_typeET4_jRbjT5_S1E_jjP12ihipStream_tbEUljE_ZNSN_ISO_Lb1ESQ_SR_ST_SU_SY_EESZ_S10_S11_S12_S16_S17_S18_S1B_S1C_jS1D_jS1E_S1E_jjS1G_bEUljE0_EEESZ_S10_S11_S18_S1C_S1E_T6_T7_T9_mT8_S1G_bDpT10_ENKUlT_T0_E_clISt17integral_constantIbLb0EES1T_IbLb1EEEEDaS1P_S1Q_EUlS1P_E_NS1_11comp_targetILNS1_3genE9ELNS1_11target_archE1100ELNS1_3gpuE3ELNS1_3repE0EEENS1_30default_config_static_selectorELNS0_4arch9wavefront6targetE0EEEvS12_.has_indirect_call, 0
	.section	.AMDGPU.csdata,"",@progbits
; Kernel info:
; codeLenInByte = 0
; TotalNumSgprs: 0
; NumVgprs: 0
; ScratchSize: 0
; MemoryBound: 0
; FloatMode: 240
; IeeeMode: 1
; LDSByteSize: 0 bytes/workgroup (compile time only)
; SGPRBlocks: 0
; VGPRBlocks: 0
; NumSGPRsForWavesPerEU: 1
; NumVGPRsForWavesPerEU: 1
; Occupancy: 16
; WaveLimiterHint : 0
; COMPUTE_PGM_RSRC2:SCRATCH_EN: 0
; COMPUTE_PGM_RSRC2:USER_SGPR: 6
; COMPUTE_PGM_RSRC2:TRAP_HANDLER: 0
; COMPUTE_PGM_RSRC2:TGID_X_EN: 1
; COMPUTE_PGM_RSRC2:TGID_Y_EN: 0
; COMPUTE_PGM_RSRC2:TGID_Z_EN: 0
; COMPUTE_PGM_RSRC2:TIDIG_COMP_CNT: 0
	.section	.text._ZN7rocprim17ROCPRIM_400000_NS6detail17trampoline_kernelINS0_13select_configILj256ELj13ELNS0_17block_load_methodE3ELS4_3ELS4_3ELNS0_20block_scan_algorithmE0ELj4294967295EEENS1_25partition_config_selectorILNS1_17partition_subalgoE4EjNS0_10empty_typeEbEEZZNS1_14partition_implILS8_4ELb0ES6_15HIP_vector_typeIjLj2EENS0_17counting_iteratorIjlEEPS9_SG_NS0_5tupleIJPjSI_NS0_16reverse_iteratorISI_EEEEENSH_IJSG_SG_SG_EEES9_SI_JZNS1_25segmented_radix_sort_implINS0_14default_configELb1EPKfPfPKlPlN2at6native12_GLOBAL__N_18offset_tEEE10hipError_tPvRmT1_PNSt15iterator_traitsIS12_E10value_typeET2_T3_PNS13_IS18_E10value_typeET4_jRbjT5_S1E_jjP12ihipStream_tbEUljE_ZNSN_ISO_Lb1ESQ_SR_ST_SU_SY_EESZ_S10_S11_S12_S16_S17_S18_S1B_S1C_jS1D_jS1E_S1E_jjS1G_bEUljE0_EEESZ_S10_S11_S18_S1C_S1E_T6_T7_T9_mT8_S1G_bDpT10_ENKUlT_T0_E_clISt17integral_constantIbLb0EES1T_IbLb1EEEEDaS1P_S1Q_EUlS1P_E_NS1_11comp_targetILNS1_3genE8ELNS1_11target_archE1030ELNS1_3gpuE2ELNS1_3repE0EEENS1_30default_config_static_selectorELNS0_4arch9wavefront6targetE0EEEvS12_,"axG",@progbits,_ZN7rocprim17ROCPRIM_400000_NS6detail17trampoline_kernelINS0_13select_configILj256ELj13ELNS0_17block_load_methodE3ELS4_3ELS4_3ELNS0_20block_scan_algorithmE0ELj4294967295EEENS1_25partition_config_selectorILNS1_17partition_subalgoE4EjNS0_10empty_typeEbEEZZNS1_14partition_implILS8_4ELb0ES6_15HIP_vector_typeIjLj2EENS0_17counting_iteratorIjlEEPS9_SG_NS0_5tupleIJPjSI_NS0_16reverse_iteratorISI_EEEEENSH_IJSG_SG_SG_EEES9_SI_JZNS1_25segmented_radix_sort_implINS0_14default_configELb1EPKfPfPKlPlN2at6native12_GLOBAL__N_18offset_tEEE10hipError_tPvRmT1_PNSt15iterator_traitsIS12_E10value_typeET2_T3_PNS13_IS18_E10value_typeET4_jRbjT5_S1E_jjP12ihipStream_tbEUljE_ZNSN_ISO_Lb1ESQ_SR_ST_SU_SY_EESZ_S10_S11_S12_S16_S17_S18_S1B_S1C_jS1D_jS1E_S1E_jjS1G_bEUljE0_EEESZ_S10_S11_S18_S1C_S1E_T6_T7_T9_mT8_S1G_bDpT10_ENKUlT_T0_E_clISt17integral_constantIbLb0EES1T_IbLb1EEEEDaS1P_S1Q_EUlS1P_E_NS1_11comp_targetILNS1_3genE8ELNS1_11target_archE1030ELNS1_3gpuE2ELNS1_3repE0EEENS1_30default_config_static_selectorELNS0_4arch9wavefront6targetE0EEEvS12_,comdat
	.globl	_ZN7rocprim17ROCPRIM_400000_NS6detail17trampoline_kernelINS0_13select_configILj256ELj13ELNS0_17block_load_methodE3ELS4_3ELS4_3ELNS0_20block_scan_algorithmE0ELj4294967295EEENS1_25partition_config_selectorILNS1_17partition_subalgoE4EjNS0_10empty_typeEbEEZZNS1_14partition_implILS8_4ELb0ES6_15HIP_vector_typeIjLj2EENS0_17counting_iteratorIjlEEPS9_SG_NS0_5tupleIJPjSI_NS0_16reverse_iteratorISI_EEEEENSH_IJSG_SG_SG_EEES9_SI_JZNS1_25segmented_radix_sort_implINS0_14default_configELb1EPKfPfPKlPlN2at6native12_GLOBAL__N_18offset_tEEE10hipError_tPvRmT1_PNSt15iterator_traitsIS12_E10value_typeET2_T3_PNS13_IS18_E10value_typeET4_jRbjT5_S1E_jjP12ihipStream_tbEUljE_ZNSN_ISO_Lb1ESQ_SR_ST_SU_SY_EESZ_S10_S11_S12_S16_S17_S18_S1B_S1C_jS1D_jS1E_S1E_jjS1G_bEUljE0_EEESZ_S10_S11_S18_S1C_S1E_T6_T7_T9_mT8_S1G_bDpT10_ENKUlT_T0_E_clISt17integral_constantIbLb0EES1T_IbLb1EEEEDaS1P_S1Q_EUlS1P_E_NS1_11comp_targetILNS1_3genE8ELNS1_11target_archE1030ELNS1_3gpuE2ELNS1_3repE0EEENS1_30default_config_static_selectorELNS0_4arch9wavefront6targetE0EEEvS12_ ; -- Begin function _ZN7rocprim17ROCPRIM_400000_NS6detail17trampoline_kernelINS0_13select_configILj256ELj13ELNS0_17block_load_methodE3ELS4_3ELS4_3ELNS0_20block_scan_algorithmE0ELj4294967295EEENS1_25partition_config_selectorILNS1_17partition_subalgoE4EjNS0_10empty_typeEbEEZZNS1_14partition_implILS8_4ELb0ES6_15HIP_vector_typeIjLj2EENS0_17counting_iteratorIjlEEPS9_SG_NS0_5tupleIJPjSI_NS0_16reverse_iteratorISI_EEEEENSH_IJSG_SG_SG_EEES9_SI_JZNS1_25segmented_radix_sort_implINS0_14default_configELb1EPKfPfPKlPlN2at6native12_GLOBAL__N_18offset_tEEE10hipError_tPvRmT1_PNSt15iterator_traitsIS12_E10value_typeET2_T3_PNS13_IS18_E10value_typeET4_jRbjT5_S1E_jjP12ihipStream_tbEUljE_ZNSN_ISO_Lb1ESQ_SR_ST_SU_SY_EESZ_S10_S11_S12_S16_S17_S18_S1B_S1C_jS1D_jS1E_S1E_jjS1G_bEUljE0_EEESZ_S10_S11_S18_S1C_S1E_T6_T7_T9_mT8_S1G_bDpT10_ENKUlT_T0_E_clISt17integral_constantIbLb0EES1T_IbLb1EEEEDaS1P_S1Q_EUlS1P_E_NS1_11comp_targetILNS1_3genE8ELNS1_11target_archE1030ELNS1_3gpuE2ELNS1_3repE0EEENS1_30default_config_static_selectorELNS0_4arch9wavefront6targetE0EEEvS12_
	.p2align	8
	.type	_ZN7rocprim17ROCPRIM_400000_NS6detail17trampoline_kernelINS0_13select_configILj256ELj13ELNS0_17block_load_methodE3ELS4_3ELS4_3ELNS0_20block_scan_algorithmE0ELj4294967295EEENS1_25partition_config_selectorILNS1_17partition_subalgoE4EjNS0_10empty_typeEbEEZZNS1_14partition_implILS8_4ELb0ES6_15HIP_vector_typeIjLj2EENS0_17counting_iteratorIjlEEPS9_SG_NS0_5tupleIJPjSI_NS0_16reverse_iteratorISI_EEEEENSH_IJSG_SG_SG_EEES9_SI_JZNS1_25segmented_radix_sort_implINS0_14default_configELb1EPKfPfPKlPlN2at6native12_GLOBAL__N_18offset_tEEE10hipError_tPvRmT1_PNSt15iterator_traitsIS12_E10value_typeET2_T3_PNS13_IS18_E10value_typeET4_jRbjT5_S1E_jjP12ihipStream_tbEUljE_ZNSN_ISO_Lb1ESQ_SR_ST_SU_SY_EESZ_S10_S11_S12_S16_S17_S18_S1B_S1C_jS1D_jS1E_S1E_jjS1G_bEUljE0_EEESZ_S10_S11_S18_S1C_S1E_T6_T7_T9_mT8_S1G_bDpT10_ENKUlT_T0_E_clISt17integral_constantIbLb0EES1T_IbLb1EEEEDaS1P_S1Q_EUlS1P_E_NS1_11comp_targetILNS1_3genE8ELNS1_11target_archE1030ELNS1_3gpuE2ELNS1_3repE0EEENS1_30default_config_static_selectorELNS0_4arch9wavefront6targetE0EEEvS12_,@function
_ZN7rocprim17ROCPRIM_400000_NS6detail17trampoline_kernelINS0_13select_configILj256ELj13ELNS0_17block_load_methodE3ELS4_3ELS4_3ELNS0_20block_scan_algorithmE0ELj4294967295EEENS1_25partition_config_selectorILNS1_17partition_subalgoE4EjNS0_10empty_typeEbEEZZNS1_14partition_implILS8_4ELb0ES6_15HIP_vector_typeIjLj2EENS0_17counting_iteratorIjlEEPS9_SG_NS0_5tupleIJPjSI_NS0_16reverse_iteratorISI_EEEEENSH_IJSG_SG_SG_EEES9_SI_JZNS1_25segmented_radix_sort_implINS0_14default_configELb1EPKfPfPKlPlN2at6native12_GLOBAL__N_18offset_tEEE10hipError_tPvRmT1_PNSt15iterator_traitsIS12_E10value_typeET2_T3_PNS13_IS18_E10value_typeET4_jRbjT5_S1E_jjP12ihipStream_tbEUljE_ZNSN_ISO_Lb1ESQ_SR_ST_SU_SY_EESZ_S10_S11_S12_S16_S17_S18_S1B_S1C_jS1D_jS1E_S1E_jjS1G_bEUljE0_EEESZ_S10_S11_S18_S1C_S1E_T6_T7_T9_mT8_S1G_bDpT10_ENKUlT_T0_E_clISt17integral_constantIbLb0EES1T_IbLb1EEEEDaS1P_S1Q_EUlS1P_E_NS1_11comp_targetILNS1_3genE8ELNS1_11target_archE1030ELNS1_3gpuE2ELNS1_3repE0EEENS1_30default_config_static_selectorELNS0_4arch9wavefront6targetE0EEEvS12_: ; @_ZN7rocprim17ROCPRIM_400000_NS6detail17trampoline_kernelINS0_13select_configILj256ELj13ELNS0_17block_load_methodE3ELS4_3ELS4_3ELNS0_20block_scan_algorithmE0ELj4294967295EEENS1_25partition_config_selectorILNS1_17partition_subalgoE4EjNS0_10empty_typeEbEEZZNS1_14partition_implILS8_4ELb0ES6_15HIP_vector_typeIjLj2EENS0_17counting_iteratorIjlEEPS9_SG_NS0_5tupleIJPjSI_NS0_16reverse_iteratorISI_EEEEENSH_IJSG_SG_SG_EEES9_SI_JZNS1_25segmented_radix_sort_implINS0_14default_configELb1EPKfPfPKlPlN2at6native12_GLOBAL__N_18offset_tEEE10hipError_tPvRmT1_PNSt15iterator_traitsIS12_E10value_typeET2_T3_PNS13_IS18_E10value_typeET4_jRbjT5_S1E_jjP12ihipStream_tbEUljE_ZNSN_ISO_Lb1ESQ_SR_ST_SU_SY_EESZ_S10_S11_S12_S16_S17_S18_S1B_S1C_jS1D_jS1E_S1E_jjS1G_bEUljE0_EEESZ_S10_S11_S18_S1C_S1E_T6_T7_T9_mT8_S1G_bDpT10_ENKUlT_T0_E_clISt17integral_constantIbLb0EES1T_IbLb1EEEEDaS1P_S1Q_EUlS1P_E_NS1_11comp_targetILNS1_3genE8ELNS1_11target_archE1030ELNS1_3gpuE2ELNS1_3repE0EEENS1_30default_config_static_selectorELNS0_4arch9wavefront6targetE0EEEvS12_
; %bb.0:
	s_clause 0x7
	s_load_dwordx2 s[34:35], s[4:5], 0x10
	s_load_dwordx4 s[28:31], s[4:5], 0x28
	s_load_dwordx2 s[14:15], s[4:5], 0x38
	s_load_dwordx4 s[24:27], s[4:5], 0x58
	s_load_dwordx2 s[2:3], s[4:5], 0x68
	s_load_dwordx2 s[36:37], s[4:5], 0x78
	;; [unrolled: 1-line block ×3, first 2 shown]
	s_load_dwordx8 s[16:23], s[4:5], 0x90
	v_cmp_eq_u32_e64 s0, 0, v0
	s_and_saveexec_b32 s1, s0
	s_cbranch_execz .LBB1284_4
; %bb.1:
	s_mov_b32 s7, exec_lo
	s_mov_b32 s6, exec_lo
	v_mbcnt_lo_u32_b32 v1, s7, 0
                                        ; implicit-def: $vgpr2
	v_cmpx_eq_u32_e32 0, v1
	s_cbranch_execz .LBB1284_3
; %bb.2:
	s_load_dwordx2 s[8:9], s[4:5], 0x88
	s_bcnt1_i32_b32 s7, s7
	v_mov_b32_e32 v2, 0
	v_mov_b32_e32 v3, s7
	s_waitcnt lgkmcnt(0)
	global_atomic_add v2, v2, v3, s[8:9] glc
.LBB1284_3:
	s_or_b32 exec_lo, exec_lo, s6
	s_waitcnt vmcnt(0)
	v_readfirstlane_b32 s6, v2
	v_mov_b32_e32 v2, 0
	v_add_nc_u32_e32 v1, s6, v1
	ds_write_b32 v2, v1
.LBB1284_4:
	s_or_b32 exec_lo, exec_lo, s1
	v_mov_b32_e32 v1, 0
	s_clause 0x1
	s_load_dword s6, s[4:5], 0x8
	s_load_dword s1, s[4:5], 0x80
	s_waitcnt lgkmcnt(0)
	s_barrier
	buffer_gl0_inv
	ds_read_b32 v5, v1
	s_waitcnt lgkmcnt(0)
	s_barrier
	buffer_gl0_inv
	global_load_dwordx4 v[1:4], v1, s[26:27]
	s_add_i32 s5, s6, s34
	s_mul_i32 s4, s1, 0xd00
	s_add_i32 s1, s1, -1
	s_add_u32 s6, s34, s4
	s_addc_u32 s7, s35, 0
	v_mul_lo_u32 v31, 0xd00, v5
	v_readfirstlane_b32 s27, v5
	v_cmp_gt_u64_e64 s3, s[2:3], s[6:7]
	v_cmp_ne_u32_e32 vcc_lo, s1, v5
	s_cmp_eq_u32 s27, s1
	s_cselect_b32 s26, -1, 0
	v_add3_u32 v5, v31, s5, v0
	s_or_b32 s1, s3, vcc_lo
	s_mov_b32 s3, -1
	s_and_b32 vcc_lo, exec_lo, s1
	v_add_nc_u32_e32 v6, 0x100, v5
	v_add_nc_u32_e32 v7, 0x200, v5
	;; [unrolled: 1-line block ×12, first 2 shown]
	s_cbranch_vccz .LBB1284_6
; %bb.5:
	v_lshlrev_b32_e32 v18, 2, v0
	s_mov_b32 s3, 0
	ds_write2st64_b32 v18, v5, v6 offset1:4
	ds_write2st64_b32 v18, v7, v8 offset0:8 offset1:12
	ds_write2st64_b32 v18, v9, v10 offset0:16 offset1:20
	;; [unrolled: 1-line block ×5, first 2 shown]
	ds_write_b32 v18, v17 offset:12288
	s_waitcnt vmcnt(0) lgkmcnt(0)
	s_barrier
.LBB1284_6:
	s_andn2_b32 vcc_lo, exec_lo, s3
	s_add_i32 s4, s4, s34
	s_cbranch_vccnz .LBB1284_8
; %bb.7:
	v_lshlrev_b32_e32 v18, 2, v0
	ds_write2st64_b32 v18, v5, v6 offset1:4
	ds_write2st64_b32 v18, v7, v8 offset0:8 offset1:12
	ds_write2st64_b32 v18, v9, v10 offset0:16 offset1:20
	;; [unrolled: 1-line block ×5, first 2 shown]
	ds_write_b32 v18, v17 offset:12288
	s_waitcnt vmcnt(0) lgkmcnt(0)
	s_barrier
.LBB1284_8:
	v_mul_u32_u24_e32 v34, 13, v0
	s_waitcnt vmcnt(0)
	buffer_gl0_inv
	v_cndmask_b32_e64 v32, 0, 1, s1
	s_sub_i32 s33, s2, s4
	s_andn2_b32 vcc_lo, exec_lo, s1
	v_lshlrev_b32_e32 v5, 2, v34
	ds_read_b32 v33, v5 offset:48
	ds_read2_b32 v[13:14], v5 offset0:10 offset1:11
	ds_read2_b32 v[15:16], v5 offset0:8 offset1:9
	;; [unrolled: 1-line block ×4, first 2 shown]
	ds_read2_b32 v[23:24], v5 offset1:1
	ds_read2_b32 v[21:22], v5 offset0:2 offset1:3
	s_waitcnt lgkmcnt(0)
	s_barrier
	buffer_gl0_inv
	s_cbranch_vccnz .LBB1284_36
; %bb.9:
	v_add_nc_u32_e32 v5, s17, v23
	v_add_nc_u32_e32 v6, s19, v23
	s_mov_b32 s41, 0
	s_mov_b32 s40, 0
	s_mov_b32 s2, exec_lo
	v_mul_lo_u32 v5, v5, s16
	v_mul_lo_u32 v6, v6, s18
	v_sub_nc_u32_e32 v5, v5, v6
	v_cmp_lt_u32_e32 vcc_lo, s20, v5
	v_cmpx_ge_u32_e64 s20, v5
	s_cbranch_execz .LBB1284_11
; %bb.10:
	v_add_nc_u32_e32 v5, s22, v23
	v_add_nc_u32_e32 v6, s38, v23
	v_mul_lo_u32 v5, v5, s21
	v_mul_lo_u32 v6, v6, s23
	v_sub_nc_u32_e32 v5, v5, v6
	v_cmp_lt_u32_e64 s1, s39, v5
	s_and_b32 s40, s1, exec_lo
.LBB1284_11:
	s_or_b32 exec_lo, exec_lo, s2
	v_add_nc_u32_e32 v5, s17, v24
	v_add_nc_u32_e32 v6, s19, v24
	s_mov_b32 s3, exec_lo
	v_mul_lo_u32 v5, v5, s16
	v_mul_lo_u32 v6, v6, s18
	v_sub_nc_u32_e32 v5, v5, v6
	v_cmp_lt_u32_e64 s1, s20, v5
	v_cmpx_ge_u32_e64 s20, v5
	s_cbranch_execz .LBB1284_13
; %bb.12:
	v_add_nc_u32_e32 v5, s22, v24
	v_add_nc_u32_e32 v6, s38, v24
	v_mul_lo_u32 v5, v5, s21
	v_mul_lo_u32 v6, v6, s23
	v_sub_nc_u32_e32 v5, v5, v6
	v_cmp_lt_u32_e64 s2, s39, v5
	s_and_b32 s41, s2, exec_lo
.LBB1284_13:
	s_or_b32 exec_lo, exec_lo, s3
	v_add_nc_u32_e32 v5, s17, v21
	v_add_nc_u32_e32 v6, s19, v21
	s_mov_b32 s43, 0
	s_mov_b32 s42, 0
	s_mov_b32 s4, exec_lo
	v_mul_lo_u32 v5, v5, s16
	v_mul_lo_u32 v6, v6, s18
	v_sub_nc_u32_e32 v5, v5, v6
	v_cmp_lt_u32_e64 s2, s20, v5
	v_cmpx_ge_u32_e64 s20, v5
	s_cbranch_execz .LBB1284_15
; %bb.14:
	v_add_nc_u32_e32 v5, s22, v21
	v_add_nc_u32_e32 v6, s38, v21
	v_mul_lo_u32 v5, v5, s21
	v_mul_lo_u32 v6, v6, s23
	v_sub_nc_u32_e32 v5, v5, v6
	v_cmp_lt_u32_e64 s3, s39, v5
	s_and_b32 s42, s3, exec_lo
.LBB1284_15:
	s_or_b32 exec_lo, exec_lo, s4
	v_add_nc_u32_e32 v5, s17, v22
	v_add_nc_u32_e32 v6, s19, v22
	s_mov_b32 s5, exec_lo
	v_mul_lo_u32 v5, v5, s16
	v_mul_lo_u32 v6, v6, s18
	v_sub_nc_u32_e32 v5, v5, v6
	v_cmp_lt_u32_e64 s3, s20, v5
	v_cmpx_ge_u32_e64 s20, v5
	s_cbranch_execz .LBB1284_17
; %bb.16:
	v_add_nc_u32_e32 v5, s22, v22
	v_add_nc_u32_e32 v6, s38, v22
	v_mul_lo_u32 v5, v5, s21
	v_mul_lo_u32 v6, v6, s23
	v_sub_nc_u32_e32 v5, v5, v6
	v_cmp_lt_u32_e64 s4, s39, v5
	s_and_b32 s43, s4, exec_lo
.LBB1284_17:
	s_or_b32 exec_lo, exec_lo, s5
	v_add_nc_u32_e32 v5, s17, v19
	v_add_nc_u32_e32 v6, s19, v19
	s_mov_b32 s45, 0
	s_mov_b32 s44, 0
	s_mov_b32 s6, exec_lo
	v_mul_lo_u32 v5, v5, s16
	v_mul_lo_u32 v6, v6, s18
	v_sub_nc_u32_e32 v5, v5, v6
	v_cmp_lt_u32_e64 s4, s20, v5
	;; [unrolled: 40-line block ×6, first 2 shown]
	v_cmpx_ge_u32_e64 s20, v5
	s_cbranch_execz .LBB1284_35
; %bb.34:
	v_add_nc_u32_e32 v5, s22, v33
	v_add_nc_u32_e32 v6, s38, v33
	v_mul_lo_u32 v5, v5, s21
	v_mul_lo_u32 v6, v6, s23
	v_sub_nc_u32_e32 v5, v5, v6
	v_cmp_lt_u32_e64 s13, s39, v5
	s_and_b32 s53, s13, exec_lo
.LBB1284_35:
	s_or_b32 exec_lo, exec_lo, s54
	v_cndmask_b32_e64 v6, 0, 1, s1
	v_cndmask_b32_e64 v8, 0, 1, s3
	v_cndmask_b32_e64 v5, 0, 1, vcc_lo
	v_cndmask_b32_e64 v7, 0, 1, s2
	v_cndmask_b32_e64 v10, 0, 1, s5
	v_lshlrev_b16 v6, 8, v6
	v_lshlrev_b16 v8, 8, v8
	v_cndmask_b32_e64 v12, 0, 1, s7
	v_cndmask_b32_e64 v26, 0, 1, s9
	v_cndmask_b32_e64 v29, 0, 1, s11
	v_or_b32_e32 v5, v5, v6
	v_or_b32_sdwa v6, v7, v8 dst_sel:WORD_1 dst_unused:UNUSED_PAD src0_sel:DWORD src1_sel:DWORD
	v_cndmask_b32_e64 v7, 0, 1, s40
	v_cndmask_b32_e64 v9, 0, 1, s4
	;; [unrolled: 1-line block ×11, first 2 shown]
	v_or_b32_sdwa v35, v5, v6 dst_sel:DWORD dst_unused:UNUSED_PAD src0_sel:WORD_0 src1_sel:DWORD
	v_lshlrev_b16 v5, 8, v10
	v_lshlrev_b16 v6, 8, v12
	v_lshlrev_b16 v10, 8, v26
	v_lshlrev_b16 v12, 8, v29
	v_lshlrev_b16 v7, 8, v7
	v_cndmask_b32_e64 v30, 0, 1, s49
	v_cndmask_b32_e64 v37, 0, 1, s47
	;; [unrolled: 1-line block ×5, first 2 shown]
	v_or_b32_e32 v5, v9, v5
	v_or_b32_sdwa v6, v11, v6 dst_sel:WORD_1 dst_unused:UNUSED_PAD src0_sel:DWORD src1_sel:DWORD
	v_or_b32_e32 v9, v25, v10
	v_or_b32_sdwa v10, v27, v12 dst_sel:WORD_1 dst_unused:UNUSED_PAD src0_sel:DWORD src1_sel:DWORD
	v_or_b32_e32 v7, v8, v7
	v_lshlrev_b16 v8, 8, v44
	v_lshlrev_b16 v11, 8, v41
	;; [unrolled: 1-line block ×5, first 2 shown]
	v_or_b32_sdwa v8, v45, v8 dst_sel:WORD_1 dst_unused:UNUSED_PAD src0_sel:DWORD src1_sel:DWORD
	v_or_b32_e32 v11, v43, v11
	v_or_b32_sdwa v12, v40, v12 dst_sel:WORD_1 dst_unused:UNUSED_PAD src0_sel:DWORD src1_sel:DWORD
	v_or_b32_e32 v25, v37, v25
	v_or_b32_sdwa v26, v30, v26 dst_sel:WORD_1 dst_unused:UNUSED_PAD src0_sel:DWORD src1_sel:DWORD
	v_cndmask_b32_e64 v39, 0, 1, s51
	v_cndmask_b32_e64 v42, 0, 1, s53
	v_or_b32_sdwa v37, v5, v6 dst_sel:DWORD dst_unused:UNUSED_PAD src0_sel:WORD_0 src1_sel:DWORD
	v_or_b32_sdwa v40, v9, v10 dst_sel:DWORD dst_unused:UNUSED_PAD src0_sel:WORD_0 src1_sel:DWORD
	;; [unrolled: 1-line block ×5, first 2 shown]
	s_and_b32 vcc_lo, exec_lo, s50
	s_add_i32 s5, s33, 0xd00
	s_cbranch_vccnz .LBB1284_37
	s_branch .LBB1284_114
.LBB1284_36:
                                        ; implicit-def: $vgpr42
                                        ; implicit-def: $vgpr39
                                        ; implicit-def: $vgpr38
                                        ; implicit-def: $vgpr36
                                        ; implicit-def: $vgpr41
                                        ; implicit-def: $vgpr40
                                        ; implicit-def: $vgpr37
                                        ; implicit-def: $vgpr35
	s_add_i32 s5, s33, 0xd00
	s_cbranch_execz .LBB1284_114
.LBB1284_37:
	v_mov_b32_e32 v6, 0
	v_mov_b32_e32 v5, 0
	s_mov_b32 s2, exec_lo
	v_cmpx_gt_u32_e64 s5, v34
	s_cbranch_execz .LBB1284_41
; %bb.38:
	v_add_nc_u32_e32 v5, s17, v23
	v_add_nc_u32_e32 v6, s19, v23
	s_mov_b32 s4, 0
	s_mov_b32 s3, exec_lo
	v_mul_lo_u32 v5, v5, s16
	v_mul_lo_u32 v6, v6, s18
	v_sub_nc_u32_e32 v5, v5, v6
	v_cmp_lt_u32_e32 vcc_lo, s20, v5
	v_cmpx_ge_u32_e64 s20, v5
	s_cbranch_execz .LBB1284_40
; %bb.39:
	v_add_nc_u32_e32 v5, s22, v23
	v_add_nc_u32_e32 v6, s38, v23
	v_mul_lo_u32 v5, v5, s21
	v_mul_lo_u32 v6, v6, s23
	v_sub_nc_u32_e32 v5, v5, v6
	v_cmp_lt_u32_e64 s1, s39, v5
	s_and_b32 s4, s1, exec_lo
.LBB1284_40:
	s_or_b32 exec_lo, exec_lo, s3
	v_cndmask_b32_e64 v6, 0, 1, s4
	v_cndmask_b32_e64 v5, 0, 1, vcc_lo
.LBB1284_41:
	s_or_b32 exec_lo, exec_lo, s2
	v_add_nc_u32_e32 v7, 1, v34
	v_lshlrev_b16 v25, 8, v6
	v_and_b32_e32 v10, 0xff, v5
	v_lshlrev_b16 v11, 8, 0
                                        ; implicit-def: $vgpr9
                                        ; implicit-def: $vgpr12
                                        ; implicit-def: $vgpr6
                                        ; implicit-def: $vgpr8
	v_cmp_le_u32_e32 vcc_lo, s5, v7
                                        ; implicit-def: $vgpr7
	s_and_saveexec_b32 s1, vcc_lo
	s_xor_b32 s1, exec_lo, s1
	s_cbranch_execz .LBB1284_43
; %bb.42:
	v_mov_b32_e32 v5, 8
	v_mov_b32_e32 v6, 0xff
	;; [unrolled: 1-line block ×3, first 2 shown]
	v_and_b32_e32 v8, 0xffff, v11
	v_and_b32_e32 v7, 0xffff, v11
	v_lshrrev_b32_sdwa v5, v5, v25 dst_sel:BYTE_1 dst_unused:UNUSED_PAD src0_sel:DWORD src1_sel:WORD_0
	v_and_b32_sdwa v6, v25, v6 dst_sel:DWORD dst_unused:UNUSED_PAD src0_sel:WORD_0 src1_sel:DWORD
                                        ; implicit-def: $vgpr25
	v_or_b32_e32 v5, v6, v5
	v_and_b32_e32 v6, 0xffff, v11
                                        ; implicit-def: $vgpr11
	v_and_b32_e32 v12, 0xffff, v5
                                        ; implicit-def: $vgpr5
.LBB1284_43:
	s_andn2_saveexec_b32 s2, s1
	s_cbranch_execz .LBB1284_47
; %bb.44:
	v_add_nc_u32_e32 v6, s17, v24
	v_add_nc_u32_e32 v7, s19, v24
	s_mov_b32 s3, 0
	s_mov_b32 s4, exec_lo
	v_mul_lo_u32 v6, v6, s16
	v_mul_lo_u32 v7, v7, s18
	v_sub_nc_u32_e32 v6, v6, v7
	v_cmp_lt_u32_e32 vcc_lo, s20, v6
	v_cmpx_ge_u32_e64 s20, v6
	s_cbranch_execz .LBB1284_46
; %bb.45:
	v_add_nc_u32_e32 v6, s22, v24
	v_add_nc_u32_e32 v7, s38, v24
	v_mul_lo_u32 v6, v6, s21
	v_mul_lo_u32 v7, v7, s23
	v_sub_nc_u32_e32 v6, v6, v7
	v_cmp_lt_u32_e64 s1, s39, v6
	s_and_b32 s3, s1, exec_lo
.LBB1284_46:
	s_or_b32 exec_lo, exec_lo, s4
	v_mov_b32_e32 v6, 0xff
	v_mov_b32_e32 v7, 8
	v_cndmask_b32_e64 v8, 0, 1, vcc_lo
	v_mov_b32_e32 v9, 0
	v_and_b32_sdwa v6, v25, v6 dst_sel:DWORD dst_unused:UNUSED_PAD src0_sel:WORD_0 src1_sel:DWORD
	v_lshrrev_b32_sdwa v7, v7, v25 dst_sel:BYTE_1 dst_unused:UNUSED_PAD src0_sel:DWORD src1_sel:WORD_0
	v_lshlrev_b16 v8, 8, v8
	v_or_b32_e32 v6, v6, v7
	v_cndmask_b32_e64 v7, 0, 1, s3
	v_or_b32_sdwa v5, v5, v8 dst_sel:DWORD dst_unused:UNUSED_PAD src0_sel:BYTE_0 src1_sel:DWORD
	v_and_b32_e32 v8, 0xffff, v11
	v_and_b32_e32 v12, 0xffff, v6
	v_mov_b32_e32 v6, 0
	v_and_b32_e32 v10, 0xffff, v5
	v_lshl_or_b32 v12, v7, 16, v12
	v_and_b32_e32 v7, 0xffff, v11
.LBB1284_47:
	s_or_b32 exec_lo, exec_lo, s2
	v_add_nc_u32_e32 v5, 2, v34
                                        ; implicit-def: $vgpr11
	v_cmp_le_u32_e32 vcc_lo, s5, v5
                                        ; implicit-def: $vgpr5
	s_and_saveexec_b32 s1, vcc_lo
	s_xor_b32 s1, exec_lo, s1
	s_cbranch_execz .LBB1284_49
; %bb.48:
	v_lshrrev_b32_e32 v5, 24, v10
	v_mov_b32_e32 v11, 8
	v_and_b32_e32 v25, 0xff0000, v12
	v_perm_b32 v8, v8, v8, 0x3060504
	v_perm_b32 v5, v5, v10, 0x40c0100
	v_lshrrev_b32_sdwa v10, v11, v5 dst_sel:BYTE_1 dst_unused:UNUSED_PAD src0_sel:DWORD src1_sel:DWORD
	v_or_b32_sdwa v10, v5, v10 dst_sel:DWORD dst_unused:UNUSED_PAD src0_sel:BYTE_0 src1_sel:DWORD
	v_and_b32_e32 v10, 0xffff, v10
	v_and_or_b32 v11, 0xff000000, v5, v10
	v_perm_b32 v5, v12, v25, 0x3020504
                                        ; implicit-def: $vgpr10
                                        ; implicit-def: $vgpr12
.LBB1284_49:
	s_andn2_saveexec_b32 s2, s1
	s_cbranch_execz .LBB1284_53
; %bb.50:
	v_add_nc_u32_e32 v5, s17, v21
	v_add_nc_u32_e32 v11, s19, v21
	s_mov_b32 s3, 0
	s_mov_b32 s4, exec_lo
	v_mul_lo_u32 v5, v5, s16
	v_mul_lo_u32 v11, v11, s18
	v_sub_nc_u32_e32 v5, v5, v11
	v_cmp_lt_u32_e32 vcc_lo, s20, v5
	v_cmpx_ge_u32_e64 s20, v5
	s_cbranch_execz .LBB1284_52
; %bb.51:
	v_add_nc_u32_e32 v5, s22, v21
	v_add_nc_u32_e32 v11, s38, v21
	v_mul_lo_u32 v5, v5, s21
	v_mul_lo_u32 v11, v11, s23
	v_sub_nc_u32_e32 v5, v5, v11
	v_cmp_lt_u32_e64 s1, s39, v5
	s_and_b32 s3, s1, exec_lo
.LBB1284_52:
	s_or_b32 exec_lo, exec_lo, s4
	v_mov_b32_e32 v5, 8
	v_mov_b32_e32 v11, 24
	v_cndmask_b32_e64 v26, 0, 1, s3
	v_mov_b32_e32 v27, 0xff
	v_cndmask_b32_e64 v25, 0, 1, vcc_lo
	v_lshrrev_b32_sdwa v28, v5, v10 dst_sel:BYTE_1 dst_unused:UNUSED_PAD src0_sel:DWORD src1_sel:DWORD
	v_lshrrev_b32_sdwa v11, v11, v10 dst_sel:BYTE_1 dst_unused:UNUSED_PAD src0_sel:DWORD src1_sel:DWORD
	;; [unrolled: 1-line block ×3, first 2 shown]
	v_lshlrev_b16 v26, 8, v26
	v_and_b32_sdwa v27, v12, v27 dst_sel:DWORD dst_unused:UNUSED_PAD src0_sel:WORD_1 src1_sel:DWORD
	v_or_b32_sdwa v10, v10, v28 dst_sel:DWORD dst_unused:UNUSED_PAD src0_sel:BYTE_0 src1_sel:DWORD
	v_or_b32_sdwa v11, v25, v11 dst_sel:WORD_1 dst_unused:UNUSED_PAD src0_sel:DWORD src1_sel:DWORD
	v_or_b32_sdwa v5, v12, v5 dst_sel:DWORD dst_unused:UNUSED_PAD src0_sel:BYTE_0 src1_sel:DWORD
	v_or_b32_sdwa v12, v27, v26 dst_sel:WORD_1 dst_unused:UNUSED_PAD src0_sel:DWORD src1_sel:DWORD
	v_or_b32_sdwa v11, v10, v11 dst_sel:DWORD dst_unused:UNUSED_PAD src0_sel:WORD_0 src1_sel:DWORD
	v_or_b32_sdwa v5, v5, v12 dst_sel:DWORD dst_unused:UNUSED_PAD src0_sel:WORD_0 src1_sel:DWORD
.LBB1284_53:
	s_or_b32 exec_lo, exec_lo, s2
	v_add_nc_u32_e32 v10, 3, v34
                                        ; implicit-def: $vgpr35
	v_cmp_le_u32_e32 vcc_lo, s5, v10
                                        ; implicit-def: $vgpr10
	s_and_saveexec_b32 s1, vcc_lo
	s_xor_b32 s1, exec_lo, s1
	s_cbranch_execz .LBB1284_55
; %bb.54:
	v_mov_b32_e32 v10, 24
	v_mov_b32_e32 v12, 0xff
	;; [unrolled: 1-line block ×3, first 2 shown]
	v_and_b32_e32 v26, 0xff0000, v11
	v_perm_b32 v8, v8, v8, 0x3060504
	v_lshrrev_b32_sdwa v10, v10, v9 dst_sel:BYTE_1 dst_unused:UNUSED_PAD src0_sel:DWORD src1_sel:DWORD
	v_and_b32_sdwa v12, v9, v12 dst_sel:DWORD dst_unused:UNUSED_PAD src0_sel:WORD_1 src1_sel:DWORD
	v_lshrrev_b32_sdwa v9, v25, v9 dst_sel:BYTE_1 dst_unused:UNUSED_PAD src0_sel:DWORD src1_sel:DWORD
	v_perm_b32 v35, v11, v26, 0x3020504
	v_perm_b32 v7, v7, v7, 0x3060504
                                        ; implicit-def: $vgpr11
	v_or_b32_sdwa v10, v12, v10 dst_sel:WORD_1 dst_unused:UNUSED_PAD src0_sel:DWORD src1_sel:DWORD
	v_or_b32_sdwa v10, v9, v10 dst_sel:DWORD dst_unused:UNUSED_PAD src0_sel:WORD_0 src1_sel:DWORD
                                        ; implicit-def: $vgpr9
.LBB1284_55:
	s_andn2_saveexec_b32 s2, s1
	s_cbranch_execz .LBB1284_59
; %bb.56:
	v_add_nc_u32_e32 v10, s17, v22
	v_add_nc_u32_e32 v12, s19, v22
	s_mov_b32 s3, 0
	s_mov_b32 s4, exec_lo
	v_mul_lo_u32 v10, v10, s16
	v_mul_lo_u32 v12, v12, s18
	v_sub_nc_u32_e32 v10, v10, v12
	v_cmp_lt_u32_e32 vcc_lo, s20, v10
	v_cmpx_ge_u32_e64 s20, v10
	s_cbranch_execz .LBB1284_58
; %bb.57:
	v_add_nc_u32_e32 v10, s22, v22
	v_add_nc_u32_e32 v12, s38, v22
	v_mul_lo_u32 v10, v10, s21
	v_mul_lo_u32 v12, v12, s23
	v_sub_nc_u32_e32 v10, v10, v12
	v_cmp_lt_u32_e64 s1, s39, v10
	s_and_b32 s3, s1, exec_lo
.LBB1284_58:
	s_or_b32 exec_lo, exec_lo, s4
	v_mov_b32_e32 v10, 8
	v_cndmask_b32_e64 v12, 0, 1, vcc_lo
	v_mov_b32_e32 v25, 0xff
	v_mov_b32_e32 v26, 24
	v_cndmask_b32_e64 v27, 0, 1, s3
	v_lshrrev_b32_sdwa v28, v10, v11 dst_sel:BYTE_1 dst_unused:UNUSED_PAD src0_sel:DWORD src1_sel:DWORD
	v_lshlrev_b16 v12, 8, v12
	v_and_b32_sdwa v29, v11, v25 dst_sel:DWORD dst_unused:UNUSED_PAD src0_sel:WORD_1 src1_sel:DWORD
	v_lshrrev_b32_sdwa v26, v26, v9 dst_sel:BYTE_1 dst_unused:UNUSED_PAD src0_sel:DWORD src1_sel:DWORD
	v_and_b32_sdwa v25, v9, v25 dst_sel:DWORD dst_unused:UNUSED_PAD src0_sel:WORD_1 src1_sel:DWORD
	v_lshrrev_b32_sdwa v9, v10, v9 dst_sel:BYTE_1 dst_unused:UNUSED_PAD src0_sel:DWORD src1_sel:DWORD
	v_or_b32_sdwa v10, v11, v28 dst_sel:DWORD dst_unused:UNUSED_PAD src0_sel:BYTE_0 src1_sel:DWORD
	v_or_b32_sdwa v11, v29, v12 dst_sel:WORD_1 dst_unused:UNUSED_PAD src0_sel:DWORD src1_sel:DWORD
	v_or_b32_sdwa v12, v25, v26 dst_sel:WORD_1 dst_unused:UNUSED_PAD src0_sel:DWORD src1_sel:DWORD
	v_or_b32_e32 v9, v27, v9
	v_or_b32_sdwa v35, v10, v11 dst_sel:DWORD dst_unused:UNUSED_PAD src0_sel:WORD_0 src1_sel:DWORD
	v_or_b32_sdwa v10, v9, v12 dst_sel:DWORD dst_unused:UNUSED_PAD src0_sel:WORD_0 src1_sel:DWORD
.LBB1284_59:
	s_or_b32 exec_lo, exec_lo, s2
	v_add_nc_u32_e32 v9, 4, v34
                                        ; implicit-def: $vgpr11
	v_cmp_le_u32_e32 vcc_lo, s5, v9
                                        ; implicit-def: $vgpr9
	s_and_saveexec_b32 s1, vcc_lo
	s_xor_b32 s1, exec_lo, s1
	s_cbranch_execz .LBB1284_61
; %bb.60:
	v_mov_b32_e32 v9, 24
	v_mov_b32_e32 v11, 0xff
	;; [unrolled: 1-line block ×3, first 2 shown]
	v_perm_b32 v7, v7, v7, 0x3060504
	v_lshrrev_b32_sdwa v25, v9, v8 dst_sel:BYTE_1 dst_unused:UNUSED_PAD src0_sel:DWORD src1_sel:DWORD
	v_and_b32_sdwa v26, v8, v11 dst_sel:DWORD dst_unused:UNUSED_PAD src0_sel:WORD_1 src1_sel:DWORD
	v_lshrrev_b32_sdwa v9, v9, v10 dst_sel:BYTE_1 dst_unused:UNUSED_PAD src0_sel:DWORD src1_sel:DWORD
	v_and_b32_sdwa v11, v10, v11 dst_sel:DWORD dst_unused:UNUSED_PAD src0_sel:WORD_1 src1_sel:DWORD
	v_lshrrev_b32_sdwa v8, v12, v8 dst_sel:BYTE_1 dst_unused:UNUSED_PAD src0_sel:DWORD src1_sel:DWORD
	v_or_b32_sdwa v12, v26, v25 dst_sel:WORD_1 dst_unused:UNUSED_PAD src0_sel:DWORD src1_sel:DWORD
	v_or_b32_e32 v11, v11, v9
	v_or_b32_sdwa v9, v8, v12 dst_sel:DWORD dst_unused:UNUSED_PAD src0_sel:WORD_0 src1_sel:DWORD
                                        ; implicit-def: $vgpr8
	v_perm_b32 v11, v11, v10, 0x5040c00
                                        ; implicit-def: $vgpr10
.LBB1284_61:
	s_andn2_saveexec_b32 s2, s1
	s_cbranch_execz .LBB1284_65
; %bb.62:
	v_add_nc_u32_e32 v9, s17, v19
	v_add_nc_u32_e32 v11, s19, v19
	s_mov_b32 s3, 0
	s_mov_b32 s4, exec_lo
	v_mul_lo_u32 v9, v9, s16
	v_mul_lo_u32 v11, v11, s18
	v_sub_nc_u32_e32 v9, v9, v11
	v_cmp_lt_u32_e32 vcc_lo, s20, v9
	v_cmpx_ge_u32_e64 s20, v9
	s_cbranch_execz .LBB1284_64
; %bb.63:
	v_add_nc_u32_e32 v9, s22, v19
	v_add_nc_u32_e32 v11, s38, v19
	v_mul_lo_u32 v9, v9, s21
	v_mul_lo_u32 v11, v11, s23
	v_sub_nc_u32_e32 v9, v9, v11
	v_cmp_lt_u32_e64 s1, s39, v9
	s_and_b32 s3, s1, exec_lo
.LBB1284_64:
	s_or_b32 exec_lo, exec_lo, s4
	v_mov_b32_e32 v9, 24
	v_mov_b32_e32 v11, 0xff
	v_mov_b32_e32 v12, 8
	v_cndmask_b32_e64 v25, 0, 1, s3
	v_cndmask_b32_e64 v26, 0, 1, vcc_lo
	v_lshrrev_b32_sdwa v27, v9, v8 dst_sel:BYTE_1 dst_unused:UNUSED_PAD src0_sel:DWORD src1_sel:DWORD
	v_and_b32_sdwa v28, v8, v11 dst_sel:DWORD dst_unused:UNUSED_PAD src0_sel:WORD_1 src1_sel:DWORD
	v_lshrrev_b32_sdwa v8, v12, v8 dst_sel:BYTE_1 dst_unused:UNUSED_PAD src0_sel:DWORD src1_sel:DWORD
	v_lshlrev_b16 v12, 8, v25
	v_lshrrev_b32_sdwa v9, v9, v10 dst_sel:BYTE_1 dst_unused:UNUSED_PAD src0_sel:DWORD src1_sel:DWORD
	v_and_b32_sdwa v11, v10, v11 dst_sel:DWORD dst_unused:UNUSED_PAD src0_sel:WORD_1 src1_sel:DWORD
	v_or_b32_sdwa v25, v28, v27 dst_sel:WORD_1 dst_unused:UNUSED_PAD src0_sel:DWORD src1_sel:DWORD
	v_or_b32_e32 v8, v26, v8
	v_or_b32_sdwa v10, v10, v12 dst_sel:DWORD dst_unused:UNUSED_PAD src0_sel:BYTE_0 src1_sel:DWORD
	v_or_b32_sdwa v11, v11, v9 dst_sel:WORD_1 dst_unused:UNUSED_PAD src0_sel:DWORD src1_sel:DWORD
	v_or_b32_sdwa v9, v8, v25 dst_sel:DWORD dst_unused:UNUSED_PAD src0_sel:WORD_0 src1_sel:DWORD
	v_or_b32_sdwa v11, v10, v11 dst_sel:DWORD dst_unused:UNUSED_PAD src0_sel:WORD_0 src1_sel:DWORD
.LBB1284_65:
	s_or_b32 exec_lo, exec_lo, s2
	v_add_nc_u32_e32 v8, 5, v34
                                        ; implicit-def: $vgpr10
	v_cmp_le_u32_e32 vcc_lo, s5, v8
                                        ; implicit-def: $vgpr8
	s_and_saveexec_b32 s1, vcc_lo
	s_xor_b32 s1, exec_lo, s1
	s_cbranch_execz .LBB1284_67
; %bb.66:
	v_lshrrev_b32_e32 v8, 24, v11
	v_mov_b32_e32 v10, 8
	v_mov_b32_e32 v12, 0xff
	v_perm_b32 v7, v7, v7, 0x3060504
	v_perm_b32 v8, v8, v11, 0x40c0100
	v_mov_b32_e32 v11, 24
	v_and_b32_sdwa v12, v9, v12 dst_sel:DWORD dst_unused:UNUSED_PAD src0_sel:WORD_1 src1_sel:DWORD
	v_lshrrev_b32_sdwa v10, v10, v8 dst_sel:BYTE_1 dst_unused:UNUSED_PAD src0_sel:DWORD src1_sel:DWORD
	v_lshrrev_b32_sdwa v11, v11, v9 dst_sel:BYTE_1 dst_unused:UNUSED_PAD src0_sel:DWORD src1_sel:DWORD
	v_or_b32_sdwa v10, v8, v10 dst_sel:DWORD dst_unused:UNUSED_PAD src0_sel:BYTE_0 src1_sel:DWORD
	v_or_b32_e32 v11, v12, v11
	v_and_b32_e32 v12, 0xffff, v10
	v_perm_b32 v10, v11, v9, 0x5040c00
                                        ; implicit-def: $vgpr9
                                        ; implicit-def: $vgpr11
	v_and_or_b32 v8, 0xff000000, v8, v12
.LBB1284_67:
	s_andn2_saveexec_b32 s2, s1
	s_cbranch_execz .LBB1284_71
; %bb.68:
	v_add_nc_u32_e32 v8, s17, v20
	v_add_nc_u32_e32 v10, s19, v20
	s_mov_b32 s3, 0
	s_mov_b32 s4, exec_lo
	v_mul_lo_u32 v8, v8, s16
	v_mul_lo_u32 v10, v10, s18
	v_sub_nc_u32_e32 v8, v8, v10
	v_cmp_lt_u32_e32 vcc_lo, s20, v8
	v_cmpx_ge_u32_e64 s20, v8
	s_cbranch_execz .LBB1284_70
; %bb.69:
	v_add_nc_u32_e32 v8, s22, v20
	v_add_nc_u32_e32 v10, s38, v20
	v_mul_lo_u32 v8, v8, s21
	v_mul_lo_u32 v10, v10, s23
	v_sub_nc_u32_e32 v8, v8, v10
	v_cmp_lt_u32_e64 s1, s39, v8
	s_and_b32 s3, s1, exec_lo
.LBB1284_70:
	s_or_b32 exec_lo, exec_lo, s4
	v_cndmask_b32_e64 v8, 0, 1, vcc_lo
	v_mov_b32_e32 v10, 24
	v_mov_b32_e32 v12, 0xff
	;; [unrolled: 1-line block ×3, first 2 shown]
	v_cndmask_b32_e64 v26, 0, 1, s3
	v_lshlrev_b16 v8, 8, v8
	v_lshrrev_b32_sdwa v27, v10, v9 dst_sel:BYTE_1 dst_unused:UNUSED_PAD src0_sel:DWORD src1_sel:DWORD
	v_and_b32_sdwa v12, v9, v12 dst_sel:DWORD dst_unused:UNUSED_PAD src0_sel:WORD_1 src1_sel:DWORD
	v_lshrrev_b32_sdwa v25, v25, v11 dst_sel:BYTE_1 dst_unused:UNUSED_PAD src0_sel:DWORD src1_sel:DWORD
	v_lshrrev_b32_sdwa v10, v10, v11 dst_sel:BYTE_1 dst_unused:UNUSED_PAD src0_sel:DWORD src1_sel:DWORD
	v_or_b32_sdwa v8, v9, v8 dst_sel:DWORD dst_unused:UNUSED_PAD src0_sel:BYTE_0 src1_sel:DWORD
	v_or_b32_sdwa v9, v12, v27 dst_sel:WORD_1 dst_unused:UNUSED_PAD src0_sel:DWORD src1_sel:DWORD
	v_or_b32_sdwa v11, v11, v25 dst_sel:DWORD dst_unused:UNUSED_PAD src0_sel:BYTE_0 src1_sel:DWORD
	v_or_b32_sdwa v12, v26, v10 dst_sel:WORD_1 dst_unused:UNUSED_PAD src0_sel:DWORD src1_sel:DWORD
	v_or_b32_sdwa v10, v8, v9 dst_sel:DWORD dst_unused:UNUSED_PAD src0_sel:WORD_0 src1_sel:DWORD
	v_or_b32_sdwa v8, v11, v12 dst_sel:DWORD dst_unused:UNUSED_PAD src0_sel:WORD_0 src1_sel:DWORD
.LBB1284_71:
	s_or_b32 exec_lo, exec_lo, s2
	v_add_nc_u32_e32 v9, 6, v34
                                        ; implicit-def: $vgpr36
	v_cmp_le_u32_e32 vcc_lo, s5, v9
                                        ; implicit-def: $vgpr9
	s_and_saveexec_b32 s1, vcc_lo
	s_xor_b32 s1, exec_lo, s1
	s_cbranch_execz .LBB1284_73
; %bb.72:
	v_lshrrev_b32_e32 v9, 24, v10
	v_mov_b32_e32 v11, 8
	v_perm_b32 v7, v7, v7, 0x3060504
	v_perm_b32 v9, v9, v10, 0x40c0100
	v_lshrrev_b32_sdwa v10, v11, v9 dst_sel:BYTE_1 dst_unused:UNUSED_PAD src0_sel:DWORD src1_sel:DWORD
	v_and_b32_e32 v11, 0xff0000, v8
	v_or_b32_sdwa v10, v9, v10 dst_sel:DWORD dst_unused:UNUSED_PAD src0_sel:BYTE_0 src1_sel:DWORD
	v_perm_b32 v36, v8, v11, 0x3020504
                                        ; implicit-def: $vgpr8
	v_and_b32_e32 v10, 0xffff, v10
	v_and_or_b32 v9, 0xff000000, v9, v10
                                        ; implicit-def: $vgpr10
.LBB1284_73:
	s_andn2_saveexec_b32 s2, s1
	s_cbranch_execz .LBB1284_77
; %bb.74:
	v_add_nc_u32_e32 v9, s17, v17
	v_add_nc_u32_e32 v11, s19, v17
	s_mov_b32 s3, 0
	s_mov_b32 s4, exec_lo
	v_mul_lo_u32 v9, v9, s16
	v_mul_lo_u32 v11, v11, s18
	v_sub_nc_u32_e32 v9, v9, v11
	v_cmp_lt_u32_e32 vcc_lo, s20, v9
	v_cmpx_ge_u32_e64 s20, v9
	s_cbranch_execz .LBB1284_76
; %bb.75:
	v_add_nc_u32_e32 v9, s22, v17
	v_add_nc_u32_e32 v11, s38, v17
	v_mul_lo_u32 v9, v9, s21
	v_mul_lo_u32 v11, v11, s23
	v_sub_nc_u32_e32 v9, v9, v11
	v_cmp_lt_u32_e64 s1, s39, v9
	s_and_b32 s3, s1, exec_lo
.LBB1284_76:
	s_or_b32 exec_lo, exec_lo, s4
	v_mov_b32_e32 v9, 8
	v_mov_b32_e32 v11, 24
	v_cndmask_b32_e64 v25, 0, 1, s3
	v_mov_b32_e32 v26, 0xff
	v_cndmask_b32_e64 v12, 0, 1, vcc_lo
	v_lshrrev_b32_sdwa v27, v9, v10 dst_sel:BYTE_1 dst_unused:UNUSED_PAD src0_sel:DWORD src1_sel:DWORD
	v_lshrrev_b32_sdwa v11, v11, v10 dst_sel:BYTE_1 dst_unused:UNUSED_PAD src0_sel:DWORD src1_sel:DWORD
	;; [unrolled: 1-line block ×3, first 2 shown]
	v_lshlrev_b16 v25, 8, v25
	v_and_b32_sdwa v26, v8, v26 dst_sel:DWORD dst_unused:UNUSED_PAD src0_sel:WORD_1 src1_sel:DWORD
	v_or_b32_sdwa v10, v10, v27 dst_sel:DWORD dst_unused:UNUSED_PAD src0_sel:BYTE_0 src1_sel:DWORD
	v_or_b32_sdwa v11, v12, v11 dst_sel:WORD_1 dst_unused:UNUSED_PAD src0_sel:DWORD src1_sel:DWORD
	v_or_b32_sdwa v8, v8, v9 dst_sel:DWORD dst_unused:UNUSED_PAD src0_sel:BYTE_0 src1_sel:DWORD
	v_or_b32_sdwa v12, v26, v25 dst_sel:WORD_1 dst_unused:UNUSED_PAD src0_sel:DWORD src1_sel:DWORD
	v_or_b32_sdwa v9, v10, v11 dst_sel:DWORD dst_unused:UNUSED_PAD src0_sel:WORD_0 src1_sel:DWORD
	v_or_b32_sdwa v36, v8, v12 dst_sel:DWORD dst_unused:UNUSED_PAD src0_sel:WORD_0 src1_sel:DWORD
.LBB1284_77:
	s_or_b32 exec_lo, exec_lo, s2
	v_add_nc_u32_e32 v8, 7, v34
                                        ; implicit-def: $vgpr37
	v_cmp_le_u32_e32 vcc_lo, s5, v8
                                        ; implicit-def: $vgpr8
	s_and_saveexec_b32 s1, vcc_lo
	s_xor_b32 s1, exec_lo, s1
	s_cbranch_execz .LBB1284_79
; %bb.78:
	v_mov_b32_e32 v8, 24
	v_mov_b32_e32 v10, 0xff
	;; [unrolled: 1-line block ×3, first 2 shown]
	v_lshrrev_b32_sdwa v8, v8, v7 dst_sel:BYTE_1 dst_unused:UNUSED_PAD src0_sel:DWORD src1_sel:DWORD
	v_and_b32_sdwa v10, v7, v10 dst_sel:DWORD dst_unused:UNUSED_PAD src0_sel:WORD_1 src1_sel:DWORD
	v_lshrrev_b32_sdwa v7, v11, v7 dst_sel:BYTE_1 dst_unused:UNUSED_PAD src0_sel:DWORD src1_sel:DWORD
	v_and_b32_e32 v11, 0xff0000, v9
	v_or_b32_sdwa v8, v10, v8 dst_sel:WORD_1 dst_unused:UNUSED_PAD src0_sel:DWORD src1_sel:DWORD
	v_perm_b32 v37, v9, v11, 0x3020504
                                        ; implicit-def: $vgpr9
	v_or_b32_sdwa v8, v7, v8 dst_sel:DWORD dst_unused:UNUSED_PAD src0_sel:WORD_0 src1_sel:DWORD
                                        ; implicit-def: $vgpr7
.LBB1284_79:
	s_andn2_saveexec_b32 s2, s1
	s_cbranch_execz .LBB1284_83
; %bb.80:
	v_add_nc_u32_e32 v8, s17, v18
	v_add_nc_u32_e32 v10, s19, v18
	s_mov_b32 s3, 0
	s_mov_b32 s4, exec_lo
	v_mul_lo_u32 v8, v8, s16
	v_mul_lo_u32 v10, v10, s18
	v_sub_nc_u32_e32 v8, v8, v10
	v_cmp_lt_u32_e32 vcc_lo, s20, v8
	v_cmpx_ge_u32_e64 s20, v8
	s_cbranch_execz .LBB1284_82
; %bb.81:
	v_add_nc_u32_e32 v8, s22, v18
	v_add_nc_u32_e32 v10, s38, v18
	v_mul_lo_u32 v8, v8, s21
	v_mul_lo_u32 v10, v10, s23
	v_sub_nc_u32_e32 v8, v8, v10
	v_cmp_lt_u32_e64 s1, s39, v8
	s_and_b32 s3, s1, exec_lo
.LBB1284_82:
	s_or_b32 exec_lo, exec_lo, s4
	v_mov_b32_e32 v8, 8
	v_cndmask_b32_e64 v10, 0, 1, vcc_lo
	v_mov_b32_e32 v11, 0xff
	v_mov_b32_e32 v12, 24
	v_cndmask_b32_e64 v25, 0, 1, s3
	v_lshrrev_b32_sdwa v26, v8, v9 dst_sel:BYTE_1 dst_unused:UNUSED_PAD src0_sel:DWORD src1_sel:DWORD
	v_lshlrev_b16 v10, 8, v10
	v_and_b32_sdwa v27, v9, v11 dst_sel:DWORD dst_unused:UNUSED_PAD src0_sel:WORD_1 src1_sel:DWORD
	v_lshrrev_b32_sdwa v12, v12, v7 dst_sel:BYTE_1 dst_unused:UNUSED_PAD src0_sel:DWORD src1_sel:DWORD
	v_and_b32_sdwa v11, v7, v11 dst_sel:DWORD dst_unused:UNUSED_PAD src0_sel:WORD_1 src1_sel:DWORD
	v_lshrrev_b32_sdwa v7, v8, v7 dst_sel:BYTE_1 dst_unused:UNUSED_PAD src0_sel:DWORD src1_sel:DWORD
	v_or_b32_sdwa v8, v9, v26 dst_sel:DWORD dst_unused:UNUSED_PAD src0_sel:BYTE_0 src1_sel:DWORD
	v_or_b32_sdwa v9, v27, v10 dst_sel:WORD_1 dst_unused:UNUSED_PAD src0_sel:DWORD src1_sel:DWORD
	v_or_b32_sdwa v10, v11, v12 dst_sel:WORD_1 dst_unused:UNUSED_PAD src0_sel:DWORD src1_sel:DWORD
	v_or_b32_e32 v7, v25, v7
	v_or_b32_sdwa v37, v8, v9 dst_sel:DWORD dst_unused:UNUSED_PAD src0_sel:WORD_0 src1_sel:DWORD
	v_or_b32_sdwa v8, v7, v10 dst_sel:DWORD dst_unused:UNUSED_PAD src0_sel:WORD_0 src1_sel:DWORD
.LBB1284_83:
	s_or_b32 exec_lo, exec_lo, s2
	v_add_nc_u32_e32 v7, 8, v34
                                        ; implicit-def: $vgpr9
	v_cmp_le_u32_e32 vcc_lo, s5, v7
                                        ; implicit-def: $vgpr7
	s_and_saveexec_b32 s1, vcc_lo
	s_xor_b32 s1, exec_lo, s1
	s_cbranch_execz .LBB1284_85
; %bb.84:
	v_mov_b32_e32 v7, 24
	v_mov_b32_e32 v9, 0xff
	;; [unrolled: 1-line block ×3, first 2 shown]
	v_perm_b32 v5, v5, v5, 0x3060504
	v_lshrrev_b32_sdwa v11, v7, v8 dst_sel:BYTE_1 dst_unused:UNUSED_PAD src0_sel:DWORD src1_sel:DWORD
	v_lshrrev_b32_sdwa v7, v7, v6 dst_sel:BYTE_1 dst_unused:UNUSED_PAD src0_sel:DWORD src1_sel:DWORD
	v_and_b32_sdwa v12, v6, v9 dst_sel:DWORD dst_unused:UNUSED_PAD src0_sel:WORD_1 src1_sel:DWORD
	v_and_b32_sdwa v9, v8, v9 dst_sel:DWORD dst_unused:UNUSED_PAD src0_sel:WORD_1 src1_sel:DWORD
	v_lshrrev_b32_sdwa v6, v10, v6 dst_sel:BYTE_1 dst_unused:UNUSED_PAD src0_sel:DWORD src1_sel:DWORD
	v_or_b32_sdwa v7, v12, v7 dst_sel:WORD_1 dst_unused:UNUSED_PAD src0_sel:DWORD src1_sel:DWORD
	v_or_b32_e32 v9, v9, v11
	v_or_b32_sdwa v7, v6, v7 dst_sel:DWORD dst_unused:UNUSED_PAD src0_sel:WORD_0 src1_sel:DWORD
	v_perm_b32 v9, v9, v8, 0x5040c00
                                        ; implicit-def: $vgpr6
                                        ; implicit-def: $vgpr8
.LBB1284_85:
	s_andn2_saveexec_b32 s2, s1
	s_cbranch_execz .LBB1284_89
; %bb.86:
	v_add_nc_u32_e32 v7, s17, v15
	v_add_nc_u32_e32 v9, s19, v15
	s_mov_b32 s3, 0
	s_mov_b32 s4, exec_lo
	v_mul_lo_u32 v7, v7, s16
	v_mul_lo_u32 v9, v9, s18
	v_sub_nc_u32_e32 v7, v7, v9
	v_cmp_lt_u32_e32 vcc_lo, s20, v7
	v_cmpx_ge_u32_e64 s20, v7
	s_cbranch_execz .LBB1284_88
; %bb.87:
	v_add_nc_u32_e32 v7, s22, v15
	v_add_nc_u32_e32 v9, s38, v15
	v_mul_lo_u32 v7, v7, s21
	v_mul_lo_u32 v9, v9, s23
	v_sub_nc_u32_e32 v7, v7, v9
	v_cmp_lt_u32_e64 s1, s39, v7
	s_and_b32 s3, s1, exec_lo
.LBB1284_88:
	s_or_b32 exec_lo, exec_lo, s4
	v_mov_b32_e32 v7, 24
	v_mov_b32_e32 v9, 0xff
	;; [unrolled: 1-line block ×3, first 2 shown]
	v_cndmask_b32_e64 v11, 0, 1, s3
	v_cndmask_b32_e64 v12, 0, 1, vcc_lo
	v_lshrrev_b32_sdwa v25, v7, v6 dst_sel:BYTE_1 dst_unused:UNUSED_PAD src0_sel:DWORD src1_sel:DWORD
	v_and_b32_sdwa v26, v6, v9 dst_sel:DWORD dst_unused:UNUSED_PAD src0_sel:WORD_1 src1_sel:DWORD
	v_lshrrev_b32_sdwa v6, v10, v6 dst_sel:BYTE_1 dst_unused:UNUSED_PAD src0_sel:DWORD src1_sel:DWORD
	v_lshlrev_b16 v10, 8, v11
	v_lshrrev_b32_sdwa v7, v7, v8 dst_sel:BYTE_1 dst_unused:UNUSED_PAD src0_sel:DWORD src1_sel:DWORD
	v_and_b32_sdwa v9, v8, v9 dst_sel:DWORD dst_unused:UNUSED_PAD src0_sel:WORD_1 src1_sel:DWORD
	v_or_b32_sdwa v11, v26, v25 dst_sel:WORD_1 dst_unused:UNUSED_PAD src0_sel:DWORD src1_sel:DWORD
	v_or_b32_e32 v6, v12, v6
	v_or_b32_sdwa v8, v8, v10 dst_sel:DWORD dst_unused:UNUSED_PAD src0_sel:BYTE_0 src1_sel:DWORD
	v_or_b32_sdwa v9, v9, v7 dst_sel:WORD_1 dst_unused:UNUSED_PAD src0_sel:DWORD src1_sel:DWORD
	v_or_b32_sdwa v7, v6, v11 dst_sel:DWORD dst_unused:UNUSED_PAD src0_sel:WORD_0 src1_sel:DWORD
	v_or_b32_sdwa v9, v8, v9 dst_sel:DWORD dst_unused:UNUSED_PAD src0_sel:WORD_0 src1_sel:DWORD
.LBB1284_89:
	s_or_b32 exec_lo, exec_lo, s2
	v_add_nc_u32_e32 v6, 9, v34
                                        ; implicit-def: $vgpr8
	v_cmp_le_u32_e32 vcc_lo, s5, v6
                                        ; implicit-def: $vgpr6
	s_and_saveexec_b32 s1, vcc_lo
	s_xor_b32 s1, exec_lo, s1
	s_cbranch_execz .LBB1284_91
; %bb.90:
	v_lshrrev_b32_e32 v6, 24, v9
	v_mov_b32_e32 v8, 8
	v_mov_b32_e32 v10, 0xff
	v_perm_b32 v5, v5, v5, 0x3060504
	v_perm_b32 v6, v6, v9, 0x40c0100
	v_mov_b32_e32 v9, 24
	v_and_b32_sdwa v10, v7, v10 dst_sel:DWORD dst_unused:UNUSED_PAD src0_sel:WORD_1 src1_sel:DWORD
	v_lshrrev_b32_sdwa v8, v8, v6 dst_sel:BYTE_1 dst_unused:UNUSED_PAD src0_sel:DWORD src1_sel:DWORD
	v_lshrrev_b32_sdwa v9, v9, v7 dst_sel:BYTE_1 dst_unused:UNUSED_PAD src0_sel:DWORD src1_sel:DWORD
	v_or_b32_sdwa v8, v6, v8 dst_sel:DWORD dst_unused:UNUSED_PAD src0_sel:BYTE_0 src1_sel:DWORD
	v_or_b32_e32 v9, v10, v9
	v_and_b32_e32 v10, 0xffff, v8
	v_perm_b32 v8, v9, v7, 0x5040c00
                                        ; implicit-def: $vgpr7
                                        ; implicit-def: $vgpr9
	v_and_or_b32 v6, 0xff000000, v6, v10
.LBB1284_91:
	s_andn2_saveexec_b32 s2, s1
	s_cbranch_execz .LBB1284_95
; %bb.92:
	v_add_nc_u32_e32 v6, s17, v16
	v_add_nc_u32_e32 v8, s19, v16
	s_mov_b32 s3, 0
	s_mov_b32 s4, exec_lo
	v_mul_lo_u32 v6, v6, s16
	v_mul_lo_u32 v8, v8, s18
	v_sub_nc_u32_e32 v6, v6, v8
	v_cmp_lt_u32_e32 vcc_lo, s20, v6
	v_cmpx_ge_u32_e64 s20, v6
	s_cbranch_execz .LBB1284_94
; %bb.93:
	v_add_nc_u32_e32 v6, s22, v16
	v_add_nc_u32_e32 v8, s38, v16
	v_mul_lo_u32 v6, v6, s21
	v_mul_lo_u32 v8, v8, s23
	v_sub_nc_u32_e32 v6, v6, v8
	v_cmp_lt_u32_e64 s1, s39, v6
	s_and_b32 s3, s1, exec_lo
.LBB1284_94:
	s_or_b32 exec_lo, exec_lo, s4
	v_cndmask_b32_e64 v6, 0, 1, vcc_lo
	v_mov_b32_e32 v8, 24
	v_mov_b32_e32 v10, 0xff
	;; [unrolled: 1-line block ×3, first 2 shown]
	v_cndmask_b32_e64 v12, 0, 1, s3
	v_lshlrev_b16 v6, 8, v6
	v_lshrrev_b32_sdwa v25, v8, v7 dst_sel:BYTE_1 dst_unused:UNUSED_PAD src0_sel:DWORD src1_sel:DWORD
	v_and_b32_sdwa v10, v7, v10 dst_sel:DWORD dst_unused:UNUSED_PAD src0_sel:WORD_1 src1_sel:DWORD
	v_lshrrev_b32_sdwa v11, v11, v9 dst_sel:BYTE_1 dst_unused:UNUSED_PAD src0_sel:DWORD src1_sel:DWORD
	v_lshrrev_b32_sdwa v8, v8, v9 dst_sel:BYTE_1 dst_unused:UNUSED_PAD src0_sel:DWORD src1_sel:DWORD
	v_or_b32_sdwa v6, v7, v6 dst_sel:DWORD dst_unused:UNUSED_PAD src0_sel:BYTE_0 src1_sel:DWORD
	v_or_b32_sdwa v7, v10, v25 dst_sel:WORD_1 dst_unused:UNUSED_PAD src0_sel:DWORD src1_sel:DWORD
	v_or_b32_sdwa v9, v9, v11 dst_sel:DWORD dst_unused:UNUSED_PAD src0_sel:BYTE_0 src1_sel:DWORD
	v_or_b32_sdwa v10, v12, v8 dst_sel:WORD_1 dst_unused:UNUSED_PAD src0_sel:DWORD src1_sel:DWORD
	v_or_b32_sdwa v8, v6, v7 dst_sel:DWORD dst_unused:UNUSED_PAD src0_sel:WORD_0 src1_sel:DWORD
	v_or_b32_sdwa v6, v9, v10 dst_sel:DWORD dst_unused:UNUSED_PAD src0_sel:WORD_0 src1_sel:DWORD
.LBB1284_95:
	s_or_b32 exec_lo, exec_lo, s2
	v_add_nc_u32_e32 v7, 10, v34
                                        ; implicit-def: $vgpr38
	v_cmp_le_u32_e32 vcc_lo, s5, v7
                                        ; implicit-def: $vgpr7
	s_and_saveexec_b32 s1, vcc_lo
	s_xor_b32 s1, exec_lo, s1
	s_cbranch_execz .LBB1284_97
; %bb.96:
	v_lshrrev_b32_e32 v7, 24, v8
	v_mov_b32_e32 v9, 8
	v_perm_b32 v5, v5, v5, 0x3060504
	v_perm_b32 v7, v7, v8, 0x40c0100
	v_lshrrev_b32_sdwa v8, v9, v7 dst_sel:BYTE_1 dst_unused:UNUSED_PAD src0_sel:DWORD src1_sel:DWORD
	v_and_b32_e32 v9, 0xff0000, v6
	v_or_b32_sdwa v8, v7, v8 dst_sel:DWORD dst_unused:UNUSED_PAD src0_sel:BYTE_0 src1_sel:DWORD
	v_perm_b32 v38, v6, v9, 0x3020504
                                        ; implicit-def: $vgpr6
	v_and_b32_e32 v8, 0xffff, v8
	v_and_or_b32 v7, 0xff000000, v7, v8
                                        ; implicit-def: $vgpr8
.LBB1284_97:
	s_andn2_saveexec_b32 s2, s1
	s_cbranch_execz .LBB1284_101
; %bb.98:
	v_add_nc_u32_e32 v7, s17, v13
	v_add_nc_u32_e32 v9, s19, v13
	s_mov_b32 s3, 0
	s_mov_b32 s4, exec_lo
	v_mul_lo_u32 v7, v7, s16
	v_mul_lo_u32 v9, v9, s18
	v_sub_nc_u32_e32 v7, v7, v9
	v_cmp_lt_u32_e32 vcc_lo, s20, v7
	v_cmpx_ge_u32_e64 s20, v7
	s_cbranch_execz .LBB1284_100
; %bb.99:
	v_add_nc_u32_e32 v7, s22, v13
	v_add_nc_u32_e32 v9, s38, v13
	v_mul_lo_u32 v7, v7, s21
	v_mul_lo_u32 v9, v9, s23
	v_sub_nc_u32_e32 v7, v7, v9
	v_cmp_lt_u32_e64 s1, s39, v7
	s_and_b32 s3, s1, exec_lo
.LBB1284_100:
	s_or_b32 exec_lo, exec_lo, s4
	v_mov_b32_e32 v7, 8
	v_mov_b32_e32 v9, 24
	v_cndmask_b32_e64 v11, 0, 1, s3
	v_mov_b32_e32 v12, 0xff
	v_cndmask_b32_e64 v10, 0, 1, vcc_lo
	v_lshrrev_b32_sdwa v25, v7, v8 dst_sel:BYTE_1 dst_unused:UNUSED_PAD src0_sel:DWORD src1_sel:DWORD
	v_lshrrev_b32_sdwa v9, v9, v8 dst_sel:BYTE_1 dst_unused:UNUSED_PAD src0_sel:DWORD src1_sel:DWORD
	;; [unrolled: 1-line block ×3, first 2 shown]
	v_lshlrev_b16 v11, 8, v11
	v_and_b32_sdwa v12, v6, v12 dst_sel:DWORD dst_unused:UNUSED_PAD src0_sel:WORD_1 src1_sel:DWORD
	v_or_b32_sdwa v8, v8, v25 dst_sel:DWORD dst_unused:UNUSED_PAD src0_sel:BYTE_0 src1_sel:DWORD
	v_or_b32_sdwa v9, v10, v9 dst_sel:WORD_1 dst_unused:UNUSED_PAD src0_sel:DWORD src1_sel:DWORD
	v_or_b32_sdwa v6, v6, v7 dst_sel:DWORD dst_unused:UNUSED_PAD src0_sel:BYTE_0 src1_sel:DWORD
	v_or_b32_sdwa v10, v12, v11 dst_sel:WORD_1 dst_unused:UNUSED_PAD src0_sel:DWORD src1_sel:DWORD
	v_or_b32_sdwa v7, v8, v9 dst_sel:DWORD dst_unused:UNUSED_PAD src0_sel:WORD_0 src1_sel:DWORD
	v_or_b32_sdwa v38, v6, v10 dst_sel:DWORD dst_unused:UNUSED_PAD src0_sel:WORD_0 src1_sel:DWORD
.LBB1284_101:
	s_or_b32 exec_lo, exec_lo, s2
	v_add_nc_u32_e32 v6, 11, v34
	v_mov_b32_e32 v39, 0
	s_mov_b32 s1, exec_lo
                                        ; implicit-def: $vgpr40
	v_cmpx_le_u32_e64 s5, v6
	s_xor_b32 s1, exec_lo, s1
; %bb.102:
	v_and_b32_e32 v6, 0xff0000, v7
	v_perm_b32 v5, v5, v5, 0x3060504
	v_perm_b32 v40, v7, v6, 0x3020504
                                        ; implicit-def: $vgpr7
; %bb.103:
	s_andn2_saveexec_b32 s2, s1
	s_cbranch_execz .LBB1284_107
; %bb.104:
	v_add_nc_u32_e32 v6, s17, v14
	v_add_nc_u32_e32 v8, s19, v14
	s_mov_b32 s3, 0
	s_mov_b32 s4, exec_lo
	v_mul_lo_u32 v6, v6, s16
	v_mul_lo_u32 v8, v8, s18
	v_sub_nc_u32_e32 v6, v6, v8
	v_cmp_lt_u32_e32 vcc_lo, s20, v6
	v_cmpx_ge_u32_e64 s20, v6
	s_cbranch_execz .LBB1284_106
; %bb.105:
	v_add_nc_u32_e32 v6, s22, v14
	v_add_nc_u32_e32 v8, s38, v14
	v_mul_lo_u32 v6, v6, s21
	v_mul_lo_u32 v8, v8, s23
	v_sub_nc_u32_e32 v6, v6, v8
	v_cmp_lt_u32_e64 s1, s39, v6
	s_and_b32 s3, s1, exec_lo
.LBB1284_106:
	s_or_b32 exec_lo, exec_lo, s4
	v_mov_b32_e32 v6, 8
	v_cndmask_b32_e64 v8, 0, 1, vcc_lo
	v_mov_b32_e32 v9, 0xff
	v_cndmask_b32_e64 v39, 0, 1, s3
	v_lshrrev_b32_sdwa v6, v6, v7 dst_sel:BYTE_1 dst_unused:UNUSED_PAD src0_sel:DWORD src1_sel:DWORD
	v_lshlrev_b16 v8, 8, v8
	v_and_b32_sdwa v9, v7, v9 dst_sel:DWORD dst_unused:UNUSED_PAD src0_sel:WORD_1 src1_sel:DWORD
	v_or_b32_sdwa v6, v7, v6 dst_sel:DWORD dst_unused:UNUSED_PAD src0_sel:BYTE_0 src1_sel:DWORD
	v_or_b32_sdwa v7, v9, v8 dst_sel:WORD_1 dst_unused:UNUSED_PAD src0_sel:DWORD src1_sel:DWORD
	v_or_b32_sdwa v40, v6, v7 dst_sel:DWORD dst_unused:UNUSED_PAD src0_sel:WORD_0 src1_sel:DWORD
.LBB1284_107:
	s_or_b32 exec_lo, exec_lo, s2
	v_add_nc_u32_e32 v6, 12, v34
	s_mov_b32 s1, exec_lo
                                        ; implicit-def: $vgpr41
	v_cmpx_le_u32_e64 s5, v6
	s_xor_b32 s1, exec_lo, s1
	s_cbranch_execz .LBB1284_109
; %bb.108:
	v_mov_b32_e32 v6, 24
	v_mov_b32_e32 v7, 0xff
	;; [unrolled: 1-line block ×3, first 2 shown]
	v_lshrrev_b32_sdwa v6, v6, v5 dst_sel:BYTE_1 dst_unused:UNUSED_PAD src0_sel:DWORD src1_sel:DWORD
	v_and_b32_sdwa v7, v5, v7 dst_sel:DWORD dst_unused:UNUSED_PAD src0_sel:WORD_1 src1_sel:DWORD
	v_lshrrev_b32_sdwa v5, v8, v5 dst_sel:BYTE_1 dst_unused:UNUSED_PAD src0_sel:DWORD src1_sel:DWORD
	v_or_b32_sdwa v6, v7, v6 dst_sel:WORD_1 dst_unused:UNUSED_PAD src0_sel:DWORD src1_sel:DWORD
	v_or_b32_sdwa v41, v5, v6 dst_sel:DWORD dst_unused:UNUSED_PAD src0_sel:WORD_0 src1_sel:DWORD
                                        ; implicit-def: $vgpr5
.LBB1284_109:
	s_or_saveexec_b32 s2, s1
	v_mov_b32_e32 v42, 0
	s_xor_b32 exec_lo, exec_lo, s2
	s_cbranch_execz .LBB1284_113
; %bb.110:
	v_add_nc_u32_e32 v6, s17, v33
	v_add_nc_u32_e32 v7, s19, v33
	s_mov_b32 s3, 0
	s_mov_b32 s4, exec_lo
	v_mul_lo_u32 v6, v6, s16
	v_mul_lo_u32 v7, v7, s18
	v_sub_nc_u32_e32 v6, v6, v7
	v_cmp_lt_u32_e32 vcc_lo, s20, v6
	v_cmpx_ge_u32_e64 s20, v6
	s_cbranch_execz .LBB1284_112
; %bb.111:
	v_add_nc_u32_e32 v6, s22, v33
	v_add_nc_u32_e32 v7, s38, v33
	v_mul_lo_u32 v6, v6, s21
	v_mul_lo_u32 v7, v7, s23
	v_sub_nc_u32_e32 v6, v6, v7
	v_cmp_lt_u32_e64 s1, s39, v6
	s_and_b32 s3, s1, exec_lo
.LBB1284_112:
	s_or_b32 exec_lo, exec_lo, s4
	v_mov_b32_e32 v6, 24
	v_mov_b32_e32 v7, 0xff
	;; [unrolled: 1-line block ×3, first 2 shown]
	v_cndmask_b32_e64 v9, 0, 1, vcc_lo
	v_cndmask_b32_e64 v42, 0, 1, s3
	v_lshrrev_b32_sdwa v6, v6, v5 dst_sel:BYTE_1 dst_unused:UNUSED_PAD src0_sel:DWORD src1_sel:DWORD
	v_and_b32_sdwa v7, v5, v7 dst_sel:DWORD dst_unused:UNUSED_PAD src0_sel:WORD_1 src1_sel:DWORD
	v_lshrrev_b32_sdwa v5, v8, v5 dst_sel:BYTE_1 dst_unused:UNUSED_PAD src0_sel:DWORD src1_sel:DWORD
	v_or_b32_sdwa v6, v7, v6 dst_sel:WORD_1 dst_unused:UNUSED_PAD src0_sel:DWORD src1_sel:DWORD
	v_or_b32_e32 v5, v9, v5
	v_or_b32_sdwa v41, v5, v6 dst_sel:DWORD dst_unused:UNUSED_PAD src0_sel:WORD_0 src1_sel:DWORD
.LBB1284_113:
	s_or_b32 exec_lo, exec_lo, s2
.LBB1284_114:
	v_and_b32_e32 v65, 0xff, v35
	v_bfe_u32 v66, v41, 8, 8
	v_bfe_u32 v62, v35, 8, 8
	;; [unrolled: 1-line block ×4, first 2 shown]
	v_lshrrev_b32_e32 v48, 24, v41
	v_lshrrev_b32_e32 v47, 24, v35
	v_and_b32_e32 v61, 0xff, v36
	v_and_b32_e32 v59, 0xff, v37
	v_bfe_u32 v60, v36, 8, 8
	v_add3_u32 v5, v62, v65, v64
	v_add3_u32 v6, v63, v66, v48
	v_bfe_u32 v57, v37, 8, 8
	v_bfe_u32 v58, v36, 16, 8
	;; [unrolled: 1-line block ×3, first 2 shown]
	v_lshrrev_b32_e32 v46, 24, v36
	v_add3_u32 v5, v5, v47, v59
	v_add3_u32 v6, v6, v61, v60
	v_lshrrev_b32_e32 v45, 24, v37
	v_and_b32_e32 v56, 0xff, v38
	v_and_b32_e32 v54, 0xff, v40
	v_bfe_u32 v55, v38, 8, 8
	v_add3_u32 v5, v5, v57, v52
	v_add3_u32 v6, v6, v58, v46
	v_bfe_u32 v51, v40, 8, 8
	v_bfe_u32 v53, v38, 16, 8
	;; [unrolled: 1-line block ×3, first 2 shown]
	v_lshrrev_b32_e32 v44, 24, v38
	v_add3_u32 v5, v5, v45, v54
	v_add3_u32 v6, v6, v56, v55
	v_mbcnt_lo_u32_b32 v67, -1, 0
	v_lshrrev_b32_e32 v43, 24, v40
	v_and_b32_e32 v50, 0xff, v39
	v_and_b32_e32 v7, 0xff, v41
	;; [unrolled: 1-line block ×3, first 2 shown]
	v_add3_u32 v5, v5, v51, v49
	v_add3_u32 v6, v6, v53, v44
	v_and_b32_e32 v69, 15, v67
	v_and_b32_e32 v71, 16, v67
	v_lshrrev_b32_e32 v68, 5, v0
	v_add3_u32 v72, v5, v43, v7
	v_add3_u32 v73, v6, v50, v8
	v_cmp_eq_u32_e64 s2, 0, v69
	v_cmp_lt_u32_e64 s1, 1, v69
	v_cmp_lt_u32_e64 s3, 3, v69
	v_or_b32_e32 v70, 31, v0
	s_cmp_lg_u32 s27, 0
	s_mov_b32 s4, -1
	v_cmp_lt_u32_e32 vcc_lo, 7, v69
	s_cbranch_scc0 .LBB1284_136
; %bb.115:
	v_mov_b32_dpp v5, v73 row_shr:1 row_mask:0xf bank_mask:0xf
	v_mov_b32_dpp v6, v72 row_shr:1 row_mask:0xf bank_mask:0xf
	s_mov_b32 s4, exec_lo
	v_add_nc_u32_e32 v5, v5, v73
	v_add_nc_u32_e32 v6, v6, v72
	v_cndmask_b32_e64 v5, v5, v73, s2
	v_cndmask_b32_e64 v6, v6, v72, s2
	v_mov_b32_dpp v7, v5 row_shr:2 row_mask:0xf bank_mask:0xf
	v_mov_b32_dpp v8, v6 row_shr:2 row_mask:0xf bank_mask:0xf
	v_add_nc_u32_e32 v7, v5, v7
	v_add_nc_u32_e32 v8, v6, v8
	v_cndmask_b32_e64 v5, v5, v7, s1
	v_cndmask_b32_e64 v6, v6, v8, s1
	v_mov_b32_dpp v7, v5 row_shr:4 row_mask:0xf bank_mask:0xf
	v_mov_b32_dpp v8, v6 row_shr:4 row_mask:0xf bank_mask:0xf
	;; [unrolled: 6-line block ×3, first 2 shown]
	v_add_nc_u32_e32 v7, v5, v7
	v_add_nc_u32_e32 v8, v6, v8
	v_cndmask_b32_e32 v5, v5, v7, vcc_lo
	v_cndmask_b32_e32 v6, v6, v8, vcc_lo
	v_cmp_eq_u32_e32 vcc_lo, 0, v71
	ds_swizzle_b32 v7, v5 offset:swizzle(BROADCAST,32,15)
	ds_swizzle_b32 v8, v6 offset:swizzle(BROADCAST,32,15)
	s_waitcnt lgkmcnt(1)
	v_add_nc_u32_e32 v7, v5, v7
	s_waitcnt lgkmcnt(0)
	v_add_nc_u32_e32 v8, v6, v8
	v_cmpx_eq_u32_e64 v0, v70
	s_cbranch_execz .LBB1284_117
; %bb.116:
	v_lshlrev_b32_e32 v11, 3, v68
	v_cndmask_b32_e32 v10, v7, v5, vcc_lo
	v_cndmask_b32_e32 v9, v8, v6, vcc_lo
	ds_write_b64 v11, v[9:10]
.LBB1284_117:
	s_or_b32 exec_lo, exec_lo, s4
	s_mov_b32 s4, exec_lo
	s_waitcnt lgkmcnt(0)
	s_barrier
	buffer_gl0_inv
	v_cmpx_gt_u32_e32 8, v0
	s_cbranch_execz .LBB1284_119
; %bb.118:
	v_lshlrev_b32_e32 v11, 3, v0
	v_and_b32_e32 v26, 7, v67
	ds_read_b64 v[9:10], v11
	v_cmp_eq_u32_e64 s3, 0, v26
	s_waitcnt lgkmcnt(0)
	v_mov_b32_dpp v12, v9 row_shr:1 row_mask:0xf bank_mask:0xf
	v_mov_b32_dpp v25, v10 row_shr:1 row_mask:0xf bank_mask:0xf
	v_add_nc_u32_e32 v12, v12, v9
	v_add_nc_u32_e32 v25, v25, v10
	v_cndmask_b32_e64 v9, v12, v9, s3
	v_cndmask_b32_e64 v10, v25, v10, s3
	v_cmp_lt_u32_e64 s3, 1, v26
	v_mov_b32_dpp v12, v9 row_shr:2 row_mask:0xf bank_mask:0xf
	v_mov_b32_dpp v25, v10 row_shr:2 row_mask:0xf bank_mask:0xf
	v_add_nc_u32_e32 v12, v9, v12
	v_add_nc_u32_e32 v25, v10, v25
	v_cndmask_b32_e64 v9, v9, v12, s3
	v_cndmask_b32_e64 v10, v10, v25, s3
	v_cmp_lt_u32_e64 s3, 3, v26
	v_mov_b32_dpp v12, v9 row_shr:4 row_mask:0xf bank_mask:0xf
	v_mov_b32_dpp v25, v10 row_shr:4 row_mask:0xf bank_mask:0xf
	v_cndmask_b32_e64 v12, 0, v12, s3
	v_cndmask_b32_e64 v25, 0, v25, s3
	v_add_nc_u32_e32 v9, v12, v9
	v_add_nc_u32_e32 v10, v25, v10
	ds_write_b64 v11, v[9:10]
.LBB1284_119:
	s_or_b32 exec_lo, exec_lo, s4
	v_cndmask_b32_e32 v5, v7, v5, vcc_lo
	v_cndmask_b32_e32 v6, v8, v6, vcc_lo
	s_mov_b32 s4, exec_lo
	v_cmp_gt_u32_e32 vcc_lo, 32, v0
	s_waitcnt lgkmcnt(0)
	s_barrier
	buffer_gl0_inv
                                        ; implicit-def: $vgpr25
	v_cmpx_lt_u32_e32 31, v0
	s_cbranch_execz .LBB1284_121
; %bb.120:
	v_lshl_add_u32 v7, v68, 3, -8
	ds_read_b64 v[25:26], v7
	s_waitcnt lgkmcnt(0)
	v_add_nc_u32_e32 v5, v26, v5
	v_add_nc_u32_e32 v6, v25, v6
.LBB1284_121:
	s_or_b32 exec_lo, exec_lo, s4
	v_sub_co_u32 v7, s3, v67, 1
	v_cmp_gt_i32_e64 s4, 0, v7
	v_cndmask_b32_e64 v7, v7, v67, s4
	v_lshlrev_b32_e32 v7, 2, v7
	ds_bpermute_b32 v74, v7, v6
	ds_bpermute_b32 v75, v7, v5
	s_and_saveexec_b32 s4, vcc_lo
	s_cbranch_execz .LBB1284_141
; %bb.122:
	v_mov_b32_e32 v8, 0
	ds_read_b64 v[5:6], v8 offset:56
	s_and_saveexec_b32 s6, s3
	s_cbranch_execz .LBB1284_124
; %bb.123:
	s_add_i32 s8, s27, 32
	s_mov_b32 s9, 0
	v_mov_b32_e32 v7, 1
	s_lshl_b64 s[8:9], s[8:9], 4
	s_add_u32 s8, s36, s8
	s_addc_u32 s9, s37, s9
	v_mov_b32_e32 v10, s9
	v_mov_b32_e32 v9, s8
	s_waitcnt lgkmcnt(0)
	;;#ASMSTART
	global_store_dwordx4 v[9:10], v[5:8] off	
s_waitcnt vmcnt(0)
	;;#ASMEND
.LBB1284_124:
	s_or_b32 exec_lo, exec_lo, s6
	v_xad_u32 v27, v67, -1, s27
	s_mov_b32 s7, 0
	v_add_nc_u32_e32 v7, 32, v27
	v_lshlrev_b64 v[9:10], 4, v[7:8]
	v_add_co_u32 v28, vcc_lo, s36, v9
	v_add_co_ci_u32_e64 v29, null, s37, v10, vcc_lo
	;;#ASMSTART
	global_load_dwordx4 v[9:12], v[28:29] off glc dlc	
s_waitcnt vmcnt(0)
	;;#ASMEND
	v_cmp_eq_u16_sdwa s8, v11, v8 src0_sel:BYTE_0 src1_sel:DWORD
	s_and_saveexec_b32 s6, s8
	s_cbranch_execz .LBB1284_128
; %bb.125:
	v_mov_b32_e32 v7, 0
.LBB1284_126:                           ; =>This Inner Loop Header: Depth=1
	;;#ASMSTART
	global_load_dwordx4 v[9:12], v[28:29] off glc dlc	
s_waitcnt vmcnt(0)
	;;#ASMEND
	v_cmp_ne_u16_sdwa s8, v11, v7 src0_sel:BYTE_0 src1_sel:DWORD
	s_or_b32 s7, s8, s7
	s_andn2_b32 exec_lo, exec_lo, s7
	s_cbranch_execnz .LBB1284_126
; %bb.127:
	s_or_b32 exec_lo, exec_lo, s7
.LBB1284_128:
	s_or_b32 exec_lo, exec_lo, s6
	v_cmp_ne_u32_e32 vcc_lo, 31, v67
	v_mov_b32_e32 v77, 2
	v_lshlrev_b32_e64 v78, v67, -1
	v_add_nc_u32_e32 v80, 2, v67
	v_add_nc_u32_e32 v82, 4, v67
	v_add_co_ci_u32_e64 v7, null, 0, v67, vcc_lo
	v_cmp_eq_u16_sdwa s6, v11, v77 src0_sel:BYTE_0 src1_sel:DWORD
	v_cmp_gt_u32_e32 vcc_lo, 30, v67
	v_add_nc_u32_e32 v84, 8, v67
	v_lshlrev_b32_e32 v76, 2, v7
	v_lshl_or_b32 v85, v67, 2, 64
	v_and_b32_e32 v12, s6, v78
	v_cndmask_b32_e64 v28, 0, 2, vcc_lo
	v_add_nc_u32_e32 v86, 16, v67
	ds_bpermute_b32 v7, v76, v10
	ds_bpermute_b32 v8, v76, v9
	v_or_b32_e32 v12, 0x80000000, v12
	v_add_lshl_u32 v79, v28, v67, 2
	v_ffbl_b32_e32 v12, v12
	v_cmp_lt_u32_e32 vcc_lo, v67, v12
	s_waitcnt lgkmcnt(1)
	v_add_nc_u32_e32 v7, v7, v10
	s_waitcnt lgkmcnt(0)
	v_add_nc_u32_e32 v8, v8, v9
	v_cndmask_b32_e32 v7, v10, v7, vcc_lo
	v_cndmask_b32_e32 v8, v9, v8, vcc_lo
	v_cmp_gt_u32_e32 vcc_lo, 28, v67
	ds_bpermute_b32 v9, v79, v7
	ds_bpermute_b32 v10, v79, v8
	v_cndmask_b32_e64 v28, 0, 4, vcc_lo
	v_cmp_gt_u32_e32 vcc_lo, v80, v12
	v_add_lshl_u32 v81, v28, v67, 2
	s_waitcnt lgkmcnt(1)
	v_add_nc_u32_e32 v9, v7, v9
	s_waitcnt lgkmcnt(0)
	v_add_nc_u32_e32 v10, v8, v10
	v_cndmask_b32_e32 v7, v9, v7, vcc_lo
	v_cndmask_b32_e32 v8, v10, v8, vcc_lo
	v_cmp_gt_u32_e32 vcc_lo, 24, v67
	ds_bpermute_b32 v9, v81, v7
	ds_bpermute_b32 v10, v81, v8
	v_cndmask_b32_e64 v28, 0, 8, vcc_lo
	v_cmp_gt_u32_e32 vcc_lo, v82, v12
	v_add_lshl_u32 v83, v28, v67, 2
	v_mov_b32_e32 v28, 0
	s_waitcnt lgkmcnt(1)
	v_add_nc_u32_e32 v9, v7, v9
	s_waitcnt lgkmcnt(0)
	v_add_nc_u32_e32 v10, v8, v10
	v_cndmask_b32_e32 v7, v9, v7, vcc_lo
	v_cndmask_b32_e32 v8, v10, v8, vcc_lo
	v_cmp_gt_u32_e32 vcc_lo, v84, v12
	ds_bpermute_b32 v9, v83, v7
	ds_bpermute_b32 v10, v83, v8
	s_waitcnt lgkmcnt(1)
	v_add_nc_u32_e32 v9, v7, v9
	s_waitcnt lgkmcnt(0)
	v_add_nc_u32_e32 v10, v8, v10
	v_cndmask_b32_e32 v7, v9, v7, vcc_lo
	v_cndmask_b32_e32 v8, v10, v8, vcc_lo
	v_cmp_le_u32_e32 vcc_lo, v86, v12
	ds_bpermute_b32 v10, v85, v7
	ds_bpermute_b32 v9, v85, v8
	s_waitcnt lgkmcnt(1)
	v_cndmask_b32_e32 v10, 0, v10, vcc_lo
	s_waitcnt lgkmcnt(0)
	v_cndmask_b32_e32 v9, 0, v9, vcc_lo
	v_add_nc_u32_e32 v10, v10, v7
	v_add_nc_u32_e32 v9, v9, v8
	s_branch .LBB1284_132
.LBB1284_129:                           ;   in Loop: Header=BB1284_132 Depth=1
	s_or_b32 exec_lo, exec_lo, s7
.LBB1284_130:                           ;   in Loop: Header=BB1284_132 Depth=1
	s_or_b32 exec_lo, exec_lo, s6
	ds_bpermute_b32 v12, v76, v9
	ds_bpermute_b32 v29, v76, v10
	v_cmp_eq_u16_sdwa s6, v11, v77 src0_sel:BYTE_0 src1_sel:DWORD
	v_subrev_nc_u32_e32 v27, 32, v27
	v_and_or_b32 v30, s6, v78, 0x80000000
	s_mov_b32 s6, 0
	v_ffbl_b32_e32 v30, v30
	v_cmp_lt_u32_e32 vcc_lo, v67, v30
	s_waitcnt lgkmcnt(1)
	v_add_nc_u32_e32 v12, v12, v9
	s_waitcnt lgkmcnt(0)
	v_add_nc_u32_e32 v29, v29, v10
	v_cndmask_b32_e32 v9, v9, v12, vcc_lo
	v_cndmask_b32_e32 v10, v10, v29, vcc_lo
	v_cmp_gt_u32_e32 vcc_lo, v80, v30
	ds_bpermute_b32 v12, v79, v9
	ds_bpermute_b32 v29, v79, v10
	s_waitcnt lgkmcnt(1)
	v_add_nc_u32_e32 v12, v9, v12
	s_waitcnt lgkmcnt(0)
	v_add_nc_u32_e32 v29, v10, v29
	v_cndmask_b32_e32 v9, v12, v9, vcc_lo
	v_cndmask_b32_e32 v10, v29, v10, vcc_lo
	v_cmp_gt_u32_e32 vcc_lo, v82, v30
	ds_bpermute_b32 v12, v81, v9
	ds_bpermute_b32 v29, v81, v10
	;; [unrolled: 9-line block ×3, first 2 shown]
	s_waitcnt lgkmcnt(1)
	v_add_nc_u32_e32 v12, v9, v12
	s_waitcnt lgkmcnt(0)
	v_add_nc_u32_e32 v29, v10, v29
	v_cndmask_b32_e32 v9, v12, v9, vcc_lo
	v_cndmask_b32_e32 v10, v29, v10, vcc_lo
	v_cmp_le_u32_e32 vcc_lo, v86, v30
	ds_bpermute_b32 v12, v85, v9
	ds_bpermute_b32 v29, v85, v10
	s_waitcnt lgkmcnt(1)
	v_cndmask_b32_e32 v12, 0, v12, vcc_lo
	s_waitcnt lgkmcnt(0)
	v_cndmask_b32_e32 v29, 0, v29, vcc_lo
	v_add3_u32 v9, v9, v7, v12
	v_add3_u32 v10, v10, v8, v29
.LBB1284_131:                           ;   in Loop: Header=BB1284_132 Depth=1
	s_and_b32 vcc_lo, exec_lo, s6
	s_cbranch_vccnz .LBB1284_137
.LBB1284_132:                           ; =>This Loop Header: Depth=1
                                        ;     Child Loop BB1284_135 Depth 2
	v_cmp_ne_u16_sdwa s6, v11, v77 src0_sel:BYTE_0 src1_sel:DWORD
	v_mov_b32_e32 v7, v9
	v_mov_b32_e32 v8, v10
                                        ; implicit-def: $vgpr11
                                        ; implicit-def: $vgpr9_vgpr10
	s_cmp_lg_u32 s6, exec_lo
	s_mov_b32 s6, -1
	s_cbranch_scc1 .LBB1284_131
; %bb.133:                              ;   in Loop: Header=BB1284_132 Depth=1
	v_lshlrev_b64 v[9:10], 4, v[27:28]
	v_add_co_u32 v29, vcc_lo, s36, v9
	v_add_co_ci_u32_e64 v30, null, s37, v10, vcc_lo
	;;#ASMSTART
	global_load_dwordx4 v[9:12], v[29:30] off glc dlc	
s_waitcnt vmcnt(0)
	;;#ASMEND
	v_cmp_eq_u16_sdwa s7, v11, v28 src0_sel:BYTE_0 src1_sel:DWORD
	s_and_saveexec_b32 s6, s7
	s_cbranch_execz .LBB1284_130
; %bb.134:                              ;   in Loop: Header=BB1284_132 Depth=1
	s_mov_b32 s7, 0
.LBB1284_135:                           ;   Parent Loop BB1284_132 Depth=1
                                        ; =>  This Inner Loop Header: Depth=2
	;;#ASMSTART
	global_load_dwordx4 v[9:12], v[29:30] off glc dlc	
s_waitcnt vmcnt(0)
	;;#ASMEND
	v_cmp_ne_u16_sdwa s8, v11, v28 src0_sel:BYTE_0 src1_sel:DWORD
	s_or_b32 s7, s8, s7
	s_andn2_b32 exec_lo, exec_lo, s7
	s_cbranch_execnz .LBB1284_135
	s_branch .LBB1284_129
.LBB1284_136:
                                        ; implicit-def: $vgpr25
                                        ; implicit-def: $vgpr7
                                        ; implicit-def: $vgpr26
	s_and_b32 vcc_lo, exec_lo, s4
	s_cbranch_vccnz .LBB1284_142
	s_branch .LBB1284_151
.LBB1284_137:
	s_and_saveexec_b32 s6, s3
	s_cbranch_execnz .LBB1284_379
; %bb.138:
	s_or_b32 exec_lo, exec_lo, s6
	s_and_saveexec_b32 s6, s3
	s_cbranch_execnz .LBB1284_380
.LBB1284_139:
	s_or_b32 exec_lo, exec_lo, s6
	s_and_b32 exec_lo, exec_lo, s0
.LBB1284_140:
	v_mov_b32_e32 v5, 0
	ds_write_b64 v5, v[7:8] offset:56
.LBB1284_141:
	s_or_b32 exec_lo, exec_lo, s4
	v_mov_b32_e32 v5, 0
	s_waitcnt lgkmcnt(0)
	s_barrier
	buffer_gl0_inv
	v_cndmask_b32_e64 v11, v75, v26, s3
	ds_read_b64 v[9:10], v5 offset:56
	s_waitcnt lgkmcnt(0)
	s_barrier
	buffer_gl0_inv
	ds_read_b128 v[5:8], v5 offset:13312
	v_cndmask_b32_e64 v12, v74, v25, s3
	v_add_nc_u32_e32 v11, v10, v11
	v_add_nc_u32_e32 v12, v9, v12
	v_cndmask_b32_e64 v25, v11, v10, s0
	v_cndmask_b32_e64 v26, v12, v9, s0
	s_branch .LBB1284_151
.LBB1284_142:
	s_waitcnt lgkmcnt(0)
	v_mov_b32_dpp v5, v72 row_shr:1 row_mask:0xf bank_mask:0xf
	v_mov_b32_dpp v6, v73 row_shr:1 row_mask:0xf bank_mask:0xf
	v_cmp_lt_u32_e32 vcc_lo, 3, v69
	v_add_nc_u32_e32 v5, v5, v72
	v_add_nc_u32_e32 v6, v6, v73
	v_cndmask_b32_e64 v5, v5, v72, s2
	v_cndmask_b32_e64 v6, v6, v73, s2
	s_mov_b32 s2, exec_lo
	v_mov_b32_dpp v7, v5 row_shr:2 row_mask:0xf bank_mask:0xf
	v_mov_b32_dpp v8, v6 row_shr:2 row_mask:0xf bank_mask:0xf
	v_add_nc_u32_e32 v7, v5, v7
	v_add_nc_u32_e32 v8, v6, v8
	v_cndmask_b32_e64 v5, v5, v7, s1
	v_cndmask_b32_e64 v6, v6, v8, s1
	v_mov_b32_dpp v7, v5 row_shr:4 row_mask:0xf bank_mask:0xf
	v_mov_b32_dpp v8, v6 row_shr:4 row_mask:0xf bank_mask:0xf
	v_add_nc_u32_e32 v7, v5, v7
	v_add_nc_u32_e32 v8, v6, v8
	v_cndmask_b32_e32 v7, v5, v7, vcc_lo
	v_cndmask_b32_e32 v6, v6, v8, vcc_lo
	v_cmp_lt_u32_e32 vcc_lo, 7, v69
	v_mov_b32_dpp v5, v7 row_shr:8 row_mask:0xf bank_mask:0xf
	v_mov_b32_dpp v8, v6 row_shr:8 row_mask:0xf bank_mask:0xf
	v_add_nc_u32_e32 v9, v7, v5
	v_add_nc_u32_e32 v5, v6, v8
	v_cndmask_b32_e32 v5, v6, v5, vcc_lo
	v_cndmask_b32_e32 v6, v7, v9, vcc_lo
	v_cmp_eq_u32_e32 vcc_lo, 0, v71
	ds_swizzle_b32 v7, v5 offset:swizzle(BROADCAST,32,15)
	ds_swizzle_b32 v8, v6 offset:swizzle(BROADCAST,32,15)
	s_waitcnt lgkmcnt(1)
	v_add_nc_u32_e32 v7, v5, v7
	s_waitcnt lgkmcnt(0)
	v_add_nc_u32_e32 v8, v6, v8
	v_cmpx_eq_u32_e64 v0, v70
	s_cbranch_execz .LBB1284_144
; %bb.143:
	v_cndmask_b32_e32 v9, v8, v6, vcc_lo
	v_cndmask_b32_e32 v10, v7, v5, vcc_lo
	v_lshlrev_b32_e32 v11, 3, v68
	ds_write_b64 v11, v[9:10]
.LBB1284_144:
	s_or_b32 exec_lo, exec_lo, s2
	s_mov_b32 s2, exec_lo
	s_waitcnt lgkmcnt(0)
	s_barrier
	buffer_gl0_inv
	v_cmpx_gt_u32_e32 8, v0
	s_cbranch_execz .LBB1284_146
; %bb.145:
	v_lshlrev_b32_e32 v11, 3, v0
	v_and_b32_e32 v26, 7, v67
	ds_read_b64 v[9:10], v11
	v_cmp_eq_u32_e64 s1, 0, v26
	s_waitcnt lgkmcnt(0)
	v_mov_b32_dpp v12, v9 row_shr:1 row_mask:0xf bank_mask:0xf
	v_mov_b32_dpp v25, v10 row_shr:1 row_mask:0xf bank_mask:0xf
	v_add_nc_u32_e32 v12, v12, v9
	v_add_nc_u32_e32 v25, v25, v10
	v_cndmask_b32_e64 v9, v12, v9, s1
	v_cndmask_b32_e64 v10, v25, v10, s1
	v_cmp_lt_u32_e64 s1, 1, v26
	v_mov_b32_dpp v12, v9 row_shr:2 row_mask:0xf bank_mask:0xf
	v_mov_b32_dpp v25, v10 row_shr:2 row_mask:0xf bank_mask:0xf
	v_add_nc_u32_e32 v12, v9, v12
	v_add_nc_u32_e32 v25, v10, v25
	v_cndmask_b32_e64 v9, v9, v12, s1
	v_cndmask_b32_e64 v10, v10, v25, s1
	v_cmp_lt_u32_e64 s1, 3, v26
	v_mov_b32_dpp v12, v9 row_shr:4 row_mask:0xf bank_mask:0xf
	v_mov_b32_dpp v25, v10 row_shr:4 row_mask:0xf bank_mask:0xf
	v_cndmask_b32_e64 v12, 0, v12, s1
	v_cndmask_b32_e64 v25, 0, v25, s1
	v_add_nc_u32_e32 v9, v12, v9
	v_add_nc_u32_e32 v10, v25, v10
	ds_write_b64 v11, v[9:10]
.LBB1284_146:
	s_or_b32 exec_lo, exec_lo, s2
	v_mov_b32_e32 v11, 0
	v_mov_b32_e32 v9, 0
	;; [unrolled: 1-line block ×3, first 2 shown]
	s_mov_b32 s2, exec_lo
	s_waitcnt lgkmcnt(0)
	s_barrier
	buffer_gl0_inv
	v_cmpx_lt_u32_e32 31, v0
; %bb.147:
	v_lshl_add_u32 v9, v68, 3, -8
	ds_read_b64 v[9:10], v9
; %bb.148:
	s_or_b32 exec_lo, exec_lo, s2
	v_sub_co_u32 v12, s1, v67, 1
	v_cndmask_b32_e32 v6, v8, v6, vcc_lo
	v_cndmask_b32_e32 v5, v7, v5, vcc_lo
	v_cmp_gt_i32_e64 s2, 0, v12
	s_waitcnt lgkmcnt(0)
	v_add_nc_u32_e32 v6, v9, v6
	v_add_nc_u32_e32 v5, v10, v5
	v_cndmask_b32_e64 v8, v12, v67, s2
	v_lshlrev_b32_e32 v7, 2, v8
	ds_bpermute_b32 v12, v7, v6
	ds_bpermute_b32 v25, v7, v5
	ds_read_b64 v[5:6], v11 offset:56
	s_and_saveexec_b32 s2, s0
	s_cbranch_execz .LBB1284_150
; %bb.149:
	s_add_u32 s6, s36, 0x200
	s_addc_u32 s7, s37, 0
	v_mov_b32_e32 v7, 2
	v_mov_b32_e32 v27, s7
	;; [unrolled: 1-line block ×4, first 2 shown]
	s_waitcnt lgkmcnt(0)
	;;#ASMSTART
	global_store_dwordx4 v[26:27], v[5:8] off	
s_waitcnt vmcnt(0)
	;;#ASMEND
.LBB1284_150:
	s_or_b32 exec_lo, exec_lo, s2
	s_waitcnt lgkmcnt(1)
	v_cndmask_b32_e64 v7, v25, v10, s1
	v_cndmask_b32_e64 v9, v12, v9, s1
	v_mov_b32_e32 v8, 0
	s_waitcnt lgkmcnt(0)
	s_barrier
	v_cndmask_b32_e64 v25, v7, 0, s0
	v_cndmask_b32_e64 v26, v9, 0, s0
	v_mov_b32_e32 v7, 0
	buffer_gl0_inv
.LBB1284_151:
	v_add_nc_u32_e32 v30, v25, v66
	v_add_nc_u32_e32 v29, v26, v65
	s_waitcnt lgkmcnt(0)
	v_sub_nc_u32_e32 v25, v25, v8
	v_lshrrev_b32_e32 v28, 8, v41
	v_lshlrev_b32_e32 v69, 1, v5
	v_add_nc_u32_e32 v63, v30, v63
	v_sub_nc_u32_e32 v30, v30, v8
	v_add_nc_u32_e32 v62, v29, v62
	v_sub_nc_u32_e32 v26, v26, v7
	;; [unrolled: 2-line block ×3, first 2 shown]
	v_add_nc_u32_e32 v30, v30, v5
	v_and_b32_e32 v28, 1, v28
	v_mov_b32_e32 v71, 1
	v_add3_u32 v34, v69, v6, v34
	v_add_nc_u32_e32 v75, v26, v25
	v_add_nc_u32_e32 v76, v30, v29
	v_add_co_u32 v1, vcc_lo, v1, v7
	v_add_co_ci_u32_e64 v2, null, 0, v2, vcc_lo
	v_sub_co_u32 v67, vcc_lo, v3, v5
	v_subrev_co_ci_u32_e64 v68, null, 0, v4, vcc_lo
	v_and_b32_sdwa v74, v71, v41 dst_sel:DWORD dst_unused:UNUSED_PAD src0_sel:DWORD src1_sel:WORD_1
	v_sub_nc_u32_e32 v76, v34, v76
	v_sub_nc_u32_e32 v75, v34, v75
	v_cmp_eq_u32_e32 vcc_lo, 1, v28
	v_lshrrev_b32_e32 v27, 8, v35
	v_add_nc_u32_e32 v65, v63, v48
	v_and_b32_e32 v70, 1, v35
	v_sub_nc_u32_e32 v63, v63, v8
	v_add_nc_u32_e32 v76, 1, v76
	v_cndmask_b32_e32 v25, v75, v25, vcc_lo
	v_cmp_eq_u32_e32 vcc_lo, 1, v74
	v_add_nc_u32_e32 v64, v62, v64
	v_and_b32_e32 v27, 1, v27
	v_sub_nc_u32_e32 v62, v62, v7
	v_add_nc_u32_e32 v63, v63, v5
	v_cndmask_b32_e32 v30, v76, v30, vcc_lo
	v_cmp_eq_u32_e32 vcc_lo, 1, v70
	v_and_b32_e32 v48, 1, v48
	v_add_nc_u32_e32 v61, v65, v61
	v_add_nc_u32_e32 v74, v63, v62
	v_and_b32_sdwa v35, v71, v35 dst_sel:DWORD dst_unused:UNUSED_PAD src0_sel:DWORD src1_sel:WORD_1
	v_cndmask_b32_e32 v70, v25, v26, vcc_lo
	v_cmp_eq_u32_e32 vcc_lo, 1, v27
	v_sub_nc_u32_e32 v65, v65, v8
	v_add_nc_u32_e32 v66, v64, v47
	v_add_nc_u32_e32 v60, v61, v60
	v_sub_nc_u32_e32 v61, v61, v8
	v_cndmask_b32_e32 v27, v30, v29, vcc_lo
	v_sub_nc_u32_e32 v29, v34, v74
	v_add_co_u32 v25, vcc_lo, v67, v8
	v_add_co_ci_u32_e64 v26, null, 0, v68, vcc_lo
	v_add_nc_u32_e32 v29, 2, v29
	v_cmp_eq_u32_e32 vcc_lo, 1, v48
	v_sub_nc_u32_e32 v48, v64, v7
	v_lshlrev_b32_e32 v30, 2, v70
	v_add_nc_u32_e32 v61, v61, v5
	v_lshlrev_b32_e32 v27, 2, v27
	v_cndmask_b32_e32 v29, v29, v63, vcc_lo
	v_add_nc_u32_e32 v63, v65, v5
	v_cmp_eq_u32_e32 vcc_lo, 1, v35
	v_sub_nc_u32_e32 v35, v66, v7
	v_lshrrev_b32_e32 v12, 8, v36
	ds_write_b32 v30, v23
	ds_write_b32 v27, v24
	v_and_b32_e32 v30, 1, v36
	v_cndmask_b32_e32 v29, v29, v62, vcc_lo
	v_add_nc_u32_e32 v62, v48, v63
	v_add_nc_u32_e32 v24, v35, v61
	;; [unrolled: 1-line block ×3, first 2 shown]
	v_and_b32_e32 v12, 1, v12
	v_lshlrev_b32_e32 v23, 2, v29
	v_sub_nc_u32_e32 v27, v34, v62
	v_and_b32_e32 v29, 1, v47
	v_sub_nc_u32_e32 v47, v60, v8
	v_sub_nc_u32_e32 v24, v34, v24
	v_cmp_eq_u32_e32 vcc_lo, 1, v30
	v_add_nc_u32_e32 v27, 3, v27
	v_add_nc_u32_e32 v57, v59, v57
	v_sub_nc_u32_e32 v59, v59, v7
	v_add_nc_u32_e32 v47, v47, v5
	v_add_nc_u32_e32 v24, 4, v24
	v_cndmask_b32_e32 v27, v27, v63, vcc_lo
	v_cmp_eq_u32_e32 vcc_lo, 1, v12
	v_add_nc_u32_e32 v58, v60, v58
	v_and_b32_e32 v30, 1, v37
	v_add_nc_u32_e32 v60, v59, v47
	v_lshrrev_b32_e32 v11, 8, v37
	v_cndmask_b32_e32 v12, v24, v61, vcc_lo
	v_cmp_eq_u32_e32 vcc_lo, 1, v29
	ds_write_b32 v23, v21
	v_and_b32_sdwa v23, v71, v36 dst_sel:DWORD dst_unused:UNUSED_PAD src0_sel:DWORD src1_sel:WORD_1
	v_add_nc_u32_e32 v72, v58, v46
	v_and_b32_e32 v11, 1, v11
	v_cndmask_b32_e32 v24, v27, v48, vcc_lo
	v_sub_nc_u32_e32 v27, v34, v60
	v_cmp_eq_u32_e32 vcc_lo, 1, v30
	v_add_nc_u32_e32 v52, v57, v52
	v_sub_nc_u32_e32 v29, v72, v8
	v_lshlrev_b32_e32 v21, 2, v24
	v_add_nc_u32_e32 v24, 5, v27
	v_cndmask_b32_e32 v12, v12, v35, vcc_lo
	v_sub_nc_u32_e32 v27, v58, v8
	v_cmp_eq_u32_e32 vcc_lo, 1, v23
	v_add_nc_u32_e32 v29, v29, v5
	v_add_nc_u32_e32 v56, v72, v56
	v_lshlrev_b32_e32 v12, 2, v12
	v_add_nc_u32_e32 v27, v27, v5
	v_cndmask_b32_e32 v23, v24, v47, vcc_lo
	v_sub_nc_u32_e32 v24, v57, v7
	v_cmp_eq_u32_e32 vcc_lo, 1, v11
	ds_write_b32 v21, v22
	ds_write_b32 v12, v19
	v_and_b32_e32 v22, 1, v46
	v_and_b32_e32 v35, 1, v38
	v_add_nc_u32_e32 v30, v24, v27
	v_cndmask_b32_e32 v11, v23, v59, vcc_lo
	v_sub_nc_u32_e32 v23, v52, v7
	v_cmp_eq_u32_e32 vcc_lo, 1, v22
	v_add_nc_u32_e32 v73, v52, v45
	v_sub_nc_u32_e32 v19, v34, v30
	v_sub_nc_u32_e32 v30, v56, v8
	v_add_nc_u32_e32 v12, v23, v29
	v_and_b32_sdwa v21, v71, v37 dst_sel:DWORD dst_unused:UNUSED_PAD src0_sel:DWORD src1_sel:WORD_1
	v_sub_nc_u32_e32 v36, v73, v7
	v_add_nc_u32_e32 v19, 6, v19
	v_add_nc_u32_e32 v30, v30, v5
	v_sub_nc_u32_e32 v12, v34, v12
	v_and_b32_e32 v22, 1, v45
	v_lshrrev_b32_e32 v10, 8, v38
	v_cndmask_b32_e32 v19, v19, v27, vcc_lo
	v_cmp_eq_u32_e32 vcc_lo, 1, v35
	v_add_nc_u32_e32 v12, 7, v12
	v_add_nc_u32_e32 v55, v56, v55
	;; [unrolled: 1-line block ×4, first 2 shown]
	v_and_b32_e32 v10, 1, v10
	v_cndmask_b32_e32 v12, v12, v29, vcc_lo
	v_cmp_eq_u32_e32 vcc_lo, 1, v21
	v_sub_nc_u32_e32 v21, v34, v27
	v_add_nc_u32_e32 v53, v55, v53
	v_lshlrev_b32_e32 v11, 2, v11
	v_add_nc_u32_e32 v51, v54, v51
	v_cndmask_b32_e32 v19, v19, v24, vcc_lo
	v_cmp_eq_u32_e32 vcc_lo, 1, v22
	v_sub_nc_u32_e32 v22, v55, v8
	v_add_nc_u32_e32 v21, 8, v21
	v_sub_nc_u32_e32 v24, v54, v7
	v_lshlrev_b32_e32 v19, 2, v19
	v_cndmask_b32_e32 v12, v12, v23, vcc_lo
	v_add_nc_u32_e32 v22, v22, v5
	v_cmp_eq_u32_e32 vcc_lo, 1, v10
	v_add_nc_u32_e32 v77, v53, v44
	v_and_b32_e32 v23, 1, v40
	v_lshlrev_b32_e32 v12, 2, v12
	ds_write_b32 v11, v20
	ds_write_b32 v19, v17
	;; [unrolled: 1-line block ×3, first 2 shown]
	v_cndmask_b32_e32 v10, v21, v30, vcc_lo
	v_add_nc_u32_e32 v21, v24, v22
	v_sub_nc_u32_e32 v12, v53, v8
	v_lshrrev_b32_e32 v9, 8, v40
	v_add_nc_u32_e32 v49, v51, v49
	v_cmp_eq_u32_e32 vcc_lo, 1, v23
	v_sub_nc_u32_e32 v11, v34, v21
	v_and_b32_sdwa v17, v71, v38 dst_sel:DWORD dst_unused:UNUSED_PAD src0_sel:DWORD src1_sel:WORD_1
	v_sub_nc_u32_e32 v18, v51, v7
	v_sub_nc_u32_e32 v19, v77, v8
	v_add_nc_u32_e32 v12, v12, v5
	v_cndmask_b32_e32 v10, v10, v36, vcc_lo
	v_and_b32_e32 v9, 1, v9
	v_add_nc_u32_e32 v11, 9, v11
	v_cmp_eq_u32_e32 vcc_lo, 1, v17
	v_sub_nc_u32_e32 v17, v49, v7
	v_add_nc_u32_e32 v19, v19, v5
	v_add_nc_u32_e32 v20, v18, v12
	;; [unrolled: 1-line block ×3, first 2 shown]
	v_cndmask_b32_e32 v11, v11, v22, vcc_lo
	v_cmp_eq_u32_e32 vcc_lo, 1, v9
	v_add_nc_u32_e32 v21, v17, v19
	v_sub_nc_u32_e32 v20, v34, v20
	v_and_b32_e32 v23, 1, v44
	v_add_nc_u32_e32 v50, v49, v43
	v_cndmask_b32_e32 v9, v11, v24, vcc_lo
	v_sub_nc_u32_e32 v11, v28, v8
	v_sub_nc_u32_e32 v21, v34, v21
	v_add_nc_u32_e32 v20, 10, v20
	v_and_b32_e32 v24, 1, v39
	v_cmp_eq_u32_e32 vcc_lo, 1, v23
	v_and_b32_sdwa v22, v71, v40 dst_sel:DWORD dst_unused:UNUSED_PAD src0_sel:DWORD src1_sel:WORD_1
	v_sub_nc_u32_e32 v7, v50, v7
	v_add_nc_u32_e32 v11, v11, v5
	v_add_nc_u32_e32 v21, 11, v21
	v_cndmask_b32_e32 v12, v20, v12, vcc_lo
	v_cmp_eq_u32_e32 vcc_lo, 1, v24
	v_and_b32_e32 v20, 1, v43
	v_add_nc_u32_e32 v27, v7, v11
	v_lshlrev_b32_e32 v10, 2, v10
	v_lshlrev_b32_e32 v9, 2, v9
	v_cndmask_b32_e32 v19, v21, v19, vcc_lo
	v_cmp_eq_u32_e32 vcc_lo, 1, v22
	v_sub_nc_u32_e32 v23, v34, v27
	v_cndmask_b32_e32 v12, v12, v18, vcc_lo
	v_and_b32_e32 v18, 1, v42
	v_cmp_eq_u32_e32 vcc_lo, 1, v20
	v_add_nc_u32_e32 v21, 12, v23
	v_lshlrev_b32_e32 v12, 2, v12
	v_cndmask_b32_e32 v17, v19, v17, vcc_lo
	v_and_b32_e32 v19, 1, v41
	v_cmp_eq_u32_e32 vcc_lo, 1, v18
	v_lshlrev_b32_e32 v17, 2, v17
	ds_write_b32 v10, v15
	ds_write_b32 v9, v16
	;; [unrolled: 1-line block ×4, first 2 shown]
	v_cndmask_b32_e32 v11, v21, v11, vcc_lo
	v_cmp_eq_u32_e32 vcc_lo, 1, v19
	v_add_co_u32 v9, s1, v6, v69
	v_add_co_ci_u32_e64 v10, null, 0, 0, s1
	v_cndmask_b32_e32 v7, v11, v7, vcc_lo
	v_add_co_u32 v11, s1, s34, v31
	v_add_co_ci_u32_e64 v12, null, s35, 0, s1
	v_lshlrev_b32_e32 v7, 2, v7
	v_add_nc_u32_e32 v14, v5, v6
	ds_write_b32 v7, v33
	v_add_co_u32 v7, vcc_lo, v9, v25
	v_add_co_ci_u32_e64 v9, null, v10, v26, vcc_lo
	s_waitcnt lgkmcnt(0)
	v_add_co_u32 v7, vcc_lo, v7, v1
	v_add_co_ci_u32_e64 v13, null, v9, v2, vcc_lo
	v_lshlrev_b64 v[9:10], 2, v[25:26]
	v_sub_co_u32 v7, vcc_lo, v11, v7
	v_sub_co_ci_u32_e64 v13, null, v12, v13, vcc_lo
	v_lshlrev_b64 v[11:12], 2, v[1:2]
	v_add_co_u32 v9, vcc_lo, s30, v9
	v_add_co_ci_u32_e64 v10, null, s31, v10, vcc_lo
	v_cmp_ne_u32_e32 vcc_lo, 1, v32
	v_add_co_u32 v11, s1, s28, v11
	v_add_co_ci_u32_e64 v12, null, s29, v12, s1
	s_mov_b32 s1, -1
	s_barrier
	buffer_gl0_inv
	s_cbranch_vccz .LBB1284_155
; %bb.152:
	s_and_b32 vcc_lo, exec_lo, s1
	s_cbranch_vccnz .LBB1284_260
.LBB1284_153:
	s_and_b32 s0, s0, s26
	s_and_saveexec_b32 s1, s0
	s_cbranch_execnz .LBB1284_378
.LBB1284_154:
	s_endpgm
.LBB1284_155:
	s_mov_b32 s1, exec_lo
	v_cmpx_ge_u32_e64 v0, v5
	s_xor_b32 s1, exec_lo, s1
	s_cbranch_execz .LBB1284_161
; %bb.156:
	s_mov_b32 s2, exec_lo
	v_cmpx_ge_u32_e64 v0, v14
	s_xor_b32 s2, exec_lo, s2
	s_cbranch_execz .LBB1284_158
; %bb.157:
	v_lshlrev_b32_e32 v15, 2, v0
	ds_read_b32 v17, v15
	v_add_co_u32 v15, vcc_lo, v7, v0
	v_add_co_ci_u32_e64 v16, null, 0, v13, vcc_lo
	v_lshlrev_b64 v[15:16], 2, v[15:16]
	v_sub_co_u32 v15, vcc_lo, s14, v15
	v_sub_co_ci_u32_e64 v16, null, s15, v16, vcc_lo
	s_waitcnt lgkmcnt(0)
	global_store_dword v[15:16], v17, off offset:-4
.LBB1284_158:
	s_andn2_saveexec_b32 s2, s2
	s_cbranch_execz .LBB1284_160
; %bb.159:
	v_lshlrev_b32_e32 v15, 2, v0
	v_readfirstlane_b32 s6, v9
	v_readfirstlane_b32 s7, v10
	ds_read_b32 v16, v15
	s_waitcnt lgkmcnt(0)
	global_store_dword v15, v16, s[6:7]
.LBB1284_160:
	s_or_b32 exec_lo, exec_lo, s2
.LBB1284_161:
	s_andn2_saveexec_b32 s1, s1
	s_cbranch_execz .LBB1284_163
; %bb.162:
	v_lshlrev_b32_e32 v15, 2, v0
	v_readfirstlane_b32 s2, v11
	v_readfirstlane_b32 s3, v12
	ds_read_b32 v16, v15
	s_waitcnt lgkmcnt(0)
	global_store_dword v15, v16, s[2:3]
.LBB1284_163:
	s_or_b32 exec_lo, exec_lo, s1
	v_or_b32_e32 v15, 0x100, v0
	s_mov_b32 s1, exec_lo
	v_cmpx_ge_u32_e64 v15, v5
	s_xor_b32 s1, exec_lo, s1
	s_cbranch_execz .LBB1284_169
; %bb.164:
	s_mov_b32 s2, exec_lo
	v_cmpx_ge_u32_e64 v15, v14
	s_xor_b32 s2, exec_lo, s2
	s_cbranch_execz .LBB1284_166
; %bb.165:
	v_lshlrev_b32_e32 v15, 2, v0
	ds_read_b32 v17, v15 offset:1024
	v_add_co_u32 v15, vcc_lo, v7, v0
	v_add_co_ci_u32_e64 v16, null, 0, v13, vcc_lo
	v_lshlrev_b64 v[15:16], 2, v[15:16]
	v_sub_co_u32 v15, vcc_lo, s14, v15
	v_sub_co_ci_u32_e64 v16, null, s15, v16, vcc_lo
	s_waitcnt lgkmcnt(0)
	global_store_dword v[15:16], v17, off offset:-1028
.LBB1284_166:
	s_andn2_saveexec_b32 s2, s2
	s_cbranch_execz .LBB1284_168
; %bb.167:
	v_lshlrev_b32_e32 v15, 2, v0
	v_readfirstlane_b32 s6, v9
	v_readfirstlane_b32 s7, v10
	ds_read_b32 v16, v15 offset:1024
	s_waitcnt lgkmcnt(0)
	global_store_dword v15, v16, s[6:7] offset:1024
.LBB1284_168:
	s_or_b32 exec_lo, exec_lo, s2
.LBB1284_169:
	s_andn2_saveexec_b32 s1, s1
	s_cbranch_execz .LBB1284_171
; %bb.170:
	v_lshlrev_b32_e32 v15, 2, v0
	v_readfirstlane_b32 s2, v11
	v_readfirstlane_b32 s3, v12
	ds_read_b32 v16, v15 offset:1024
	s_waitcnt lgkmcnt(0)
	global_store_dword v15, v16, s[2:3] offset:1024
.LBB1284_171:
	s_or_b32 exec_lo, exec_lo, s1
	v_or_b32_e32 v15, 0x200, v0
	s_mov_b32 s1, exec_lo
	v_cmpx_ge_u32_e64 v15, v5
	s_xor_b32 s1, exec_lo, s1
	s_cbranch_execz .LBB1284_177
; %bb.172:
	s_mov_b32 s2, exec_lo
	v_cmpx_ge_u32_e64 v15, v14
	s_xor_b32 s2, exec_lo, s2
	s_cbranch_execz .LBB1284_174
; %bb.173:
	v_lshlrev_b32_e32 v17, 2, v0
	v_add_co_u32 v15, vcc_lo, v7, v0
	v_add_co_ci_u32_e64 v16, null, 0, v13, vcc_lo
	ds_read_b32 v17, v17 offset:2048
	v_lshlrev_b64 v[15:16], 2, v[15:16]
	v_sub_co_u32 v15, vcc_lo, s14, v15
	v_sub_co_ci_u32_e64 v16, null, s15, v16, vcc_lo
	v_add_co_u32 v15, vcc_lo, 0xfffff800, v15
	v_add_co_ci_u32_e64 v16, null, -1, v16, vcc_lo
	s_waitcnt lgkmcnt(0)
	global_store_dword v[15:16], v17, off offset:-4
                                        ; implicit-def: $vgpr15
.LBB1284_174:
	s_andn2_saveexec_b32 s2, s2
	s_cbranch_execz .LBB1284_176
; %bb.175:
	v_lshlrev_b32_e32 v16, 2, v0
	v_lshlrev_b32_e32 v15, 2, v15
	v_readfirstlane_b32 s6, v9
	v_readfirstlane_b32 s7, v10
	ds_read_b32 v16, v16 offset:2048
	s_waitcnt lgkmcnt(0)
	global_store_dword v15, v16, s[6:7]
.LBB1284_176:
	s_or_b32 exec_lo, exec_lo, s2
                                        ; implicit-def: $vgpr15
.LBB1284_177:
	s_andn2_saveexec_b32 s1, s1
	s_cbranch_execz .LBB1284_179
; %bb.178:
	v_lshlrev_b32_e32 v16, 2, v0
	v_lshlrev_b32_e32 v15, 2, v15
	v_readfirstlane_b32 s2, v11
	v_readfirstlane_b32 s3, v12
	ds_read_b32 v16, v16 offset:2048
	s_waitcnt lgkmcnt(0)
	global_store_dword v15, v16, s[2:3]
.LBB1284_179:
	s_or_b32 exec_lo, exec_lo, s1
	v_or_b32_e32 v15, 0x300, v0
	s_mov_b32 s1, exec_lo
	v_cmpx_ge_u32_e64 v15, v5
	s_xor_b32 s1, exec_lo, s1
	s_cbranch_execz .LBB1284_185
; %bb.180:
	s_mov_b32 s2, exec_lo
	v_cmpx_ge_u32_e64 v15, v14
	s_xor_b32 s2, exec_lo, s2
	s_cbranch_execz .LBB1284_182
; %bb.181:
	v_lshlrev_b32_e32 v16, 2, v0
	v_add_co_u32 v15, vcc_lo, v7, v15
	ds_read_b32 v17, v16 offset:3072
	v_add_co_ci_u32_e64 v16, null, 0, v13, vcc_lo
	v_lshlrev_b64 v[15:16], 2, v[15:16]
	v_sub_co_u32 v15, vcc_lo, s14, v15
	v_sub_co_ci_u32_e64 v16, null, s15, v16, vcc_lo
	s_waitcnt lgkmcnt(0)
	global_store_dword v[15:16], v17, off offset:-4
                                        ; implicit-def: $vgpr15
.LBB1284_182:
	s_andn2_saveexec_b32 s2, s2
	s_cbranch_execz .LBB1284_184
; %bb.183:
	v_lshlrev_b32_e32 v16, 2, v0
	v_lshlrev_b32_e32 v15, 2, v15
	v_readfirstlane_b32 s6, v9
	v_readfirstlane_b32 s7, v10
	ds_read_b32 v16, v16 offset:3072
	s_waitcnt lgkmcnt(0)
	global_store_dword v15, v16, s[6:7]
.LBB1284_184:
	s_or_b32 exec_lo, exec_lo, s2
                                        ; implicit-def: $vgpr15
.LBB1284_185:
	s_andn2_saveexec_b32 s1, s1
	s_cbranch_execz .LBB1284_187
; %bb.186:
	v_lshlrev_b32_e32 v16, 2, v0
	v_lshlrev_b32_e32 v15, 2, v15
	v_readfirstlane_b32 s2, v11
	v_readfirstlane_b32 s3, v12
	ds_read_b32 v16, v16 offset:3072
	s_waitcnt lgkmcnt(0)
	global_store_dword v15, v16, s[2:3]
.LBB1284_187:
	s_or_b32 exec_lo, exec_lo, s1
	v_or_b32_e32 v15, 0x400, v0
	s_mov_b32 s1, exec_lo
	v_cmpx_ge_u32_e64 v15, v5
	s_xor_b32 s1, exec_lo, s1
	s_cbranch_execz .LBB1284_193
; %bb.188:
	s_mov_b32 s2, exec_lo
	v_cmpx_ge_u32_e64 v15, v14
	s_xor_b32 s2, exec_lo, s2
	s_cbranch_execz .LBB1284_190
; %bb.189:
	v_lshlrev_b32_e32 v16, 2, v0
	v_add_co_u32 v15, vcc_lo, v7, v15
	ds_read_b32 v17, v16 offset:4096
	v_add_co_ci_u32_e64 v16, null, 0, v13, vcc_lo
	v_lshlrev_b64 v[15:16], 2, v[15:16]
	v_sub_co_u32 v15, vcc_lo, s14, v15
	v_sub_co_ci_u32_e64 v16, null, s15, v16, vcc_lo
	s_waitcnt lgkmcnt(0)
	global_store_dword v[15:16], v17, off offset:-4
                                        ; implicit-def: $vgpr15
.LBB1284_190:
	s_andn2_saveexec_b32 s2, s2
	s_cbranch_execz .LBB1284_192
; %bb.191:
	v_lshlrev_b32_e32 v16, 2, v0
	v_lshlrev_b32_e32 v15, 2, v15
	v_readfirstlane_b32 s6, v9
	v_readfirstlane_b32 s7, v10
	ds_read_b32 v16, v16 offset:4096
	s_waitcnt lgkmcnt(0)
	global_store_dword v15, v16, s[6:7]
.LBB1284_192:
	s_or_b32 exec_lo, exec_lo, s2
                                        ; implicit-def: $vgpr15
.LBB1284_193:
	;; [unrolled: 48-line block ×10, first 2 shown]
	s_andn2_saveexec_b32 s1, s1
	s_cbranch_execz .LBB1284_259
; %bb.258:
	v_lshlrev_b32_e32 v16, 2, v0
	v_lshlrev_b32_e32 v15, 2, v15
	v_readfirstlane_b32 s2, v11
	v_readfirstlane_b32 s3, v12
	ds_read_b32 v16, v16 offset:12288
	s_waitcnt lgkmcnt(0)
	global_store_dword v15, v16, s[2:3]
.LBB1284_259:
	s_or_b32 exec_lo, exec_lo, s1
	s_branch .LBB1284_153
.LBB1284_260:
	s_mov_b32 s1, exec_lo
	v_cmpx_gt_u32_e64 s5, v0
	s_cbranch_execz .LBB1284_269
; %bb.261:
	s_mov_b32 s2, exec_lo
	v_cmpx_ge_u32_e64 v0, v5
	s_xor_b32 s2, exec_lo, s2
	s_cbranch_execz .LBB1284_267
; %bb.262:
	s_mov_b32 s3, exec_lo
	v_cmpx_ge_u32_e64 v0, v14
	s_xor_b32 s3, exec_lo, s3
	s_cbranch_execz .LBB1284_264
; %bb.263:
	v_lshlrev_b32_e32 v15, 2, v0
	ds_read_b32 v17, v15
	v_add_co_u32 v15, vcc_lo, v7, v0
	v_add_co_ci_u32_e64 v16, null, 0, v13, vcc_lo
	v_lshlrev_b64 v[15:16], 2, v[15:16]
	v_sub_co_u32 v15, vcc_lo, s14, v15
	v_sub_co_ci_u32_e64 v16, null, s15, v16, vcc_lo
	s_waitcnt lgkmcnt(0)
	global_store_dword v[15:16], v17, off offset:-4
.LBB1284_264:
	s_andn2_saveexec_b32 s3, s3
	s_cbranch_execz .LBB1284_266
; %bb.265:
	v_lshlrev_b32_e32 v15, 2, v0
	v_readfirstlane_b32 s6, v9
	v_readfirstlane_b32 s7, v10
	ds_read_b32 v16, v15
	s_waitcnt lgkmcnt(0)
	global_store_dword v15, v16, s[6:7]
.LBB1284_266:
	s_or_b32 exec_lo, exec_lo, s3
.LBB1284_267:
	s_andn2_saveexec_b32 s2, s2
	s_cbranch_execz .LBB1284_269
; %bb.268:
	v_lshlrev_b32_e32 v15, 2, v0
	v_readfirstlane_b32 s2, v11
	v_readfirstlane_b32 s3, v12
	ds_read_b32 v16, v15
	s_waitcnt lgkmcnt(0)
	global_store_dword v15, v16, s[2:3]
.LBB1284_269:
	s_or_b32 exec_lo, exec_lo, s1
	v_or_b32_e32 v15, 0x100, v0
	s_mov_b32 s1, exec_lo
	v_cmpx_gt_u32_e64 s5, v15
	s_cbranch_execz .LBB1284_278
; %bb.270:
	s_mov_b32 s2, exec_lo
	v_cmpx_ge_u32_e64 v15, v5
	s_xor_b32 s2, exec_lo, s2
	s_cbranch_execz .LBB1284_276
; %bb.271:
	s_mov_b32 s3, exec_lo
	v_cmpx_ge_u32_e64 v15, v14
	s_xor_b32 s3, exec_lo, s3
	s_cbranch_execz .LBB1284_273
; %bb.272:
	v_lshlrev_b32_e32 v15, 2, v0
	ds_read_b32 v17, v15 offset:1024
	v_add_co_u32 v15, vcc_lo, v7, v0
	v_add_co_ci_u32_e64 v16, null, 0, v13, vcc_lo
	v_lshlrev_b64 v[15:16], 2, v[15:16]
	v_sub_co_u32 v15, vcc_lo, s14, v15
	v_sub_co_ci_u32_e64 v16, null, s15, v16, vcc_lo
	s_waitcnt lgkmcnt(0)
	global_store_dword v[15:16], v17, off offset:-1028
.LBB1284_273:
	s_andn2_saveexec_b32 s3, s3
	s_cbranch_execz .LBB1284_275
; %bb.274:
	v_lshlrev_b32_e32 v15, 2, v0
	v_readfirstlane_b32 s6, v9
	v_readfirstlane_b32 s7, v10
	ds_read_b32 v16, v15 offset:1024
	s_waitcnt lgkmcnt(0)
	global_store_dword v15, v16, s[6:7] offset:1024
.LBB1284_275:
	s_or_b32 exec_lo, exec_lo, s3
.LBB1284_276:
	s_andn2_saveexec_b32 s2, s2
	s_cbranch_execz .LBB1284_278
; %bb.277:
	v_lshlrev_b32_e32 v15, 2, v0
	v_readfirstlane_b32 s2, v11
	v_readfirstlane_b32 s3, v12
	ds_read_b32 v16, v15 offset:1024
	s_waitcnt lgkmcnt(0)
	global_store_dword v15, v16, s[2:3] offset:1024
.LBB1284_278:
	s_or_b32 exec_lo, exec_lo, s1
	v_or_b32_e32 v15, 0x200, v0
	s_mov_b32 s1, exec_lo
	v_cmpx_gt_u32_e64 s5, v15
	s_cbranch_execz .LBB1284_287
; %bb.279:
	s_mov_b32 s2, exec_lo
	v_cmpx_ge_u32_e64 v15, v5
	s_xor_b32 s2, exec_lo, s2
	s_cbranch_execz .LBB1284_285
; %bb.280:
	s_mov_b32 s3, exec_lo
	v_cmpx_ge_u32_e64 v15, v14
	s_xor_b32 s3, exec_lo, s3
	s_cbranch_execz .LBB1284_282
; %bb.281:
	v_lshlrev_b32_e32 v17, 2, v0
	v_add_co_u32 v15, vcc_lo, v7, v0
	v_add_co_ci_u32_e64 v16, null, 0, v13, vcc_lo
	ds_read_b32 v17, v17 offset:2048
	v_lshlrev_b64 v[15:16], 2, v[15:16]
	v_sub_co_u32 v15, vcc_lo, s14, v15
	v_sub_co_ci_u32_e64 v16, null, s15, v16, vcc_lo
	v_add_co_u32 v15, vcc_lo, 0xfffff800, v15
	v_add_co_ci_u32_e64 v16, null, -1, v16, vcc_lo
	s_waitcnt lgkmcnt(0)
	global_store_dword v[15:16], v17, off offset:-4
                                        ; implicit-def: $vgpr15
.LBB1284_282:
	s_andn2_saveexec_b32 s3, s3
	s_cbranch_execz .LBB1284_284
; %bb.283:
	v_lshlrev_b32_e32 v16, 2, v0
	v_lshlrev_b32_e32 v15, 2, v15
	v_readfirstlane_b32 s6, v9
	v_readfirstlane_b32 s7, v10
	ds_read_b32 v16, v16 offset:2048
	s_waitcnt lgkmcnt(0)
	global_store_dword v15, v16, s[6:7]
.LBB1284_284:
	s_or_b32 exec_lo, exec_lo, s3
                                        ; implicit-def: $vgpr15
.LBB1284_285:
	s_andn2_saveexec_b32 s2, s2
	s_cbranch_execz .LBB1284_287
; %bb.286:
	v_lshlrev_b32_e32 v16, 2, v0
	v_lshlrev_b32_e32 v15, 2, v15
	v_readfirstlane_b32 s2, v11
	v_readfirstlane_b32 s3, v12
	ds_read_b32 v16, v16 offset:2048
	s_waitcnt lgkmcnt(0)
	global_store_dword v15, v16, s[2:3]
.LBB1284_287:
	s_or_b32 exec_lo, exec_lo, s1
	v_or_b32_e32 v15, 0x300, v0
	s_mov_b32 s1, exec_lo
	v_cmpx_gt_u32_e64 s5, v15
	s_cbranch_execz .LBB1284_296
; %bb.288:
	s_mov_b32 s2, exec_lo
	v_cmpx_ge_u32_e64 v15, v5
	s_xor_b32 s2, exec_lo, s2
	s_cbranch_execz .LBB1284_294
; %bb.289:
	s_mov_b32 s3, exec_lo
	v_cmpx_ge_u32_e64 v15, v14
	s_xor_b32 s3, exec_lo, s3
	s_cbranch_execz .LBB1284_291
; %bb.290:
	v_lshlrev_b32_e32 v16, 2, v0
	v_add_co_u32 v15, vcc_lo, v7, v15
	ds_read_b32 v17, v16 offset:3072
	v_add_co_ci_u32_e64 v16, null, 0, v13, vcc_lo
	v_lshlrev_b64 v[15:16], 2, v[15:16]
	v_sub_co_u32 v15, vcc_lo, s14, v15
	v_sub_co_ci_u32_e64 v16, null, s15, v16, vcc_lo
	s_waitcnt lgkmcnt(0)
	global_store_dword v[15:16], v17, off offset:-4
                                        ; implicit-def: $vgpr15
.LBB1284_291:
	s_andn2_saveexec_b32 s3, s3
	s_cbranch_execz .LBB1284_293
; %bb.292:
	v_lshlrev_b32_e32 v16, 2, v0
	v_lshlrev_b32_e32 v15, 2, v15
	v_readfirstlane_b32 s6, v9
	v_readfirstlane_b32 s7, v10
	ds_read_b32 v16, v16 offset:3072
	s_waitcnt lgkmcnt(0)
	global_store_dword v15, v16, s[6:7]
.LBB1284_293:
	s_or_b32 exec_lo, exec_lo, s3
                                        ; implicit-def: $vgpr15
.LBB1284_294:
	s_andn2_saveexec_b32 s2, s2
	s_cbranch_execz .LBB1284_296
; %bb.295:
	v_lshlrev_b32_e32 v16, 2, v0
	v_lshlrev_b32_e32 v15, 2, v15
	v_readfirstlane_b32 s2, v11
	v_readfirstlane_b32 s3, v12
	ds_read_b32 v16, v16 offset:3072
	s_waitcnt lgkmcnt(0)
	global_store_dword v15, v16, s[2:3]
.LBB1284_296:
	s_or_b32 exec_lo, exec_lo, s1
	v_or_b32_e32 v15, 0x400, v0
	s_mov_b32 s1, exec_lo
	v_cmpx_gt_u32_e64 s5, v15
	s_cbranch_execz .LBB1284_305
; %bb.297:
	s_mov_b32 s2, exec_lo
	v_cmpx_ge_u32_e64 v15, v5
	s_xor_b32 s2, exec_lo, s2
	s_cbranch_execz .LBB1284_303
; %bb.298:
	s_mov_b32 s3, exec_lo
	v_cmpx_ge_u32_e64 v15, v14
	s_xor_b32 s3, exec_lo, s3
	s_cbranch_execz .LBB1284_300
; %bb.299:
	v_lshlrev_b32_e32 v16, 2, v0
	v_add_co_u32 v15, vcc_lo, v7, v15
	ds_read_b32 v17, v16 offset:4096
	v_add_co_ci_u32_e64 v16, null, 0, v13, vcc_lo
	v_lshlrev_b64 v[15:16], 2, v[15:16]
	v_sub_co_u32 v15, vcc_lo, s14, v15
	v_sub_co_ci_u32_e64 v16, null, s15, v16, vcc_lo
	s_waitcnt lgkmcnt(0)
	global_store_dword v[15:16], v17, off offset:-4
                                        ; implicit-def: $vgpr15
.LBB1284_300:
	s_andn2_saveexec_b32 s3, s3
	s_cbranch_execz .LBB1284_302
; %bb.301:
	v_lshlrev_b32_e32 v16, 2, v0
	v_lshlrev_b32_e32 v15, 2, v15
	v_readfirstlane_b32 s6, v9
	v_readfirstlane_b32 s7, v10
	ds_read_b32 v16, v16 offset:4096
	s_waitcnt lgkmcnt(0)
	global_store_dword v15, v16, s[6:7]
.LBB1284_302:
	s_or_b32 exec_lo, exec_lo, s3
                                        ; implicit-def: $vgpr15
.LBB1284_303:
	s_andn2_saveexec_b32 s2, s2
	s_cbranch_execz .LBB1284_305
; %bb.304:
	v_lshlrev_b32_e32 v16, 2, v0
	v_lshlrev_b32_e32 v15, 2, v15
	v_readfirstlane_b32 s2, v11
	v_readfirstlane_b32 s3, v12
	ds_read_b32 v16, v16 offset:4096
	s_waitcnt lgkmcnt(0)
	global_store_dword v15, v16, s[2:3]
.LBB1284_305:
	;; [unrolled: 52-line block ×9, first 2 shown]
	s_or_b32 exec_lo, exec_lo, s1
	v_or_b32_e32 v15, 0xc00, v0
	s_mov_b32 s1, exec_lo
	v_cmpx_gt_u32_e64 s5, v15
	s_cbranch_execz .LBB1284_377
; %bb.369:
	s_mov_b32 s2, exec_lo
	v_cmpx_ge_u32_e64 v15, v5
	s_xor_b32 s2, exec_lo, s2
	s_cbranch_execz .LBB1284_375
; %bb.370:
	s_mov_b32 s3, exec_lo
	v_cmpx_ge_u32_e64 v15, v14
	s_xor_b32 s3, exec_lo, s3
	s_cbranch_execz .LBB1284_372
; %bb.371:
	v_lshlrev_b32_e32 v0, 2, v0
	v_add_co_u32 v9, vcc_lo, v7, v15
	v_add_co_ci_u32_e64 v10, null, 0, v13, vcc_lo
	ds_read_b32 v0, v0 offset:12288
                                        ; implicit-def: $vgpr15
	v_lshlrev_b64 v[9:10], 2, v[9:10]
	v_sub_co_u32 v9, vcc_lo, s14, v9
	v_sub_co_ci_u32_e64 v10, null, s15, v10, vcc_lo
	s_waitcnt lgkmcnt(0)
	global_store_dword v[9:10], v0, off offset:-4
                                        ; implicit-def: $vgpr0
                                        ; implicit-def: $vgpr9_vgpr10
.LBB1284_372:
	s_andn2_saveexec_b32 s3, s3
	s_cbranch_execz .LBB1284_374
; %bb.373:
	v_lshlrev_b32_e32 v0, 2, v0
	v_lshlrev_b32_e32 v7, 2, v15
	v_readfirstlane_b32 s4, v9
	v_readfirstlane_b32 s5, v10
	ds_read_b32 v0, v0 offset:12288
	s_waitcnt lgkmcnt(0)
	global_store_dword v7, v0, s[4:5]
.LBB1284_374:
	s_or_b32 exec_lo, exec_lo, s3
                                        ; implicit-def: $vgpr0
                                        ; implicit-def: $vgpr15
                                        ; implicit-def: $vgpr11_vgpr12
.LBB1284_375:
	s_andn2_saveexec_b32 s2, s2
	s_cbranch_execz .LBB1284_377
; %bb.376:
	v_lshlrev_b32_e32 v0, 2, v0
	v_lshlrev_b32_e32 v7, 2, v15
	v_readfirstlane_b32 s2, v11
	v_readfirstlane_b32 s3, v12
	ds_read_b32 v0, v0 offset:12288
	s_waitcnt lgkmcnt(0)
	global_store_dword v7, v0, s[2:3]
.LBB1284_377:
	s_or_b32 exec_lo, exec_lo, s1
	s_and_b32 s0, s0, s26
	s_and_saveexec_b32 s1, s0
	s_cbranch_execz .LBB1284_154
.LBB1284_378:
	v_add_co_u32 v0, vcc_lo, v3, v6
	v_add_co_ci_u32_e64 v4, null, 0, v4, vcc_lo
	v_mov_b32_e32 v6, 0
	v_add_co_u32 v3, vcc_lo, v0, v8
	v_add_co_ci_u32_e64 v4, null, 0, v4, vcc_lo
	v_add_co_u32 v1, vcc_lo, v1, v5
	v_add_co_ci_u32_e64 v2, null, 0, v2, vcc_lo
	global_store_dwordx4 v6, v[1:4], s[24:25]
	s_endpgm
.LBB1284_379:
	s_add_i32 s8, s27, 32
	s_mov_b32 s9, 0
	v_add_nc_u32_e32 v10, v8, v6
	s_lshl_b64 s[8:9], s[8:9], 4
	v_add_nc_u32_e32 v9, v7, v5
	s_add_u32 s8, s36, s8
	s_addc_u32 s9, s37, s9
	v_mov_b32_e32 v11, 2
	v_mov_b32_e32 v28, s9
	;; [unrolled: 1-line block ×4, first 2 shown]
	;;#ASMSTART
	global_store_dwordx4 v[27:28], v[9:12] off	
s_waitcnt vmcnt(0)
	;;#ASMEND
	s_or_b32 exec_lo, exec_lo, s6
	s_and_saveexec_b32 s6, s3
	s_cbranch_execz .LBB1284_139
.LBB1284_380:
	v_mov_b32_e32 v9, 0
	ds_write_b128 v9, v[5:8] offset:13312
	s_or_b32 exec_lo, exec_lo, s6
	s_and_b32 exec_lo, exec_lo, s0
	s_cbranch_execnz .LBB1284_140
	s_branch .LBB1284_141
	.section	.rodata,"a",@progbits
	.p2align	6, 0x0
	.amdhsa_kernel _ZN7rocprim17ROCPRIM_400000_NS6detail17trampoline_kernelINS0_13select_configILj256ELj13ELNS0_17block_load_methodE3ELS4_3ELS4_3ELNS0_20block_scan_algorithmE0ELj4294967295EEENS1_25partition_config_selectorILNS1_17partition_subalgoE4EjNS0_10empty_typeEbEEZZNS1_14partition_implILS8_4ELb0ES6_15HIP_vector_typeIjLj2EENS0_17counting_iteratorIjlEEPS9_SG_NS0_5tupleIJPjSI_NS0_16reverse_iteratorISI_EEEEENSH_IJSG_SG_SG_EEES9_SI_JZNS1_25segmented_radix_sort_implINS0_14default_configELb1EPKfPfPKlPlN2at6native12_GLOBAL__N_18offset_tEEE10hipError_tPvRmT1_PNSt15iterator_traitsIS12_E10value_typeET2_T3_PNS13_IS18_E10value_typeET4_jRbjT5_S1E_jjP12ihipStream_tbEUljE_ZNSN_ISO_Lb1ESQ_SR_ST_SU_SY_EESZ_S10_S11_S12_S16_S17_S18_S1B_S1C_jS1D_jS1E_S1E_jjS1G_bEUljE0_EEESZ_S10_S11_S18_S1C_S1E_T6_T7_T9_mT8_S1G_bDpT10_ENKUlT_T0_E_clISt17integral_constantIbLb0EES1T_IbLb1EEEEDaS1P_S1Q_EUlS1P_E_NS1_11comp_targetILNS1_3genE8ELNS1_11target_archE1030ELNS1_3gpuE2ELNS1_3repE0EEENS1_30default_config_static_selectorELNS0_4arch9wavefront6targetE0EEEvS12_
		.amdhsa_group_segment_fixed_size 13328
		.amdhsa_private_segment_fixed_size 0
		.amdhsa_kernarg_size 184
		.amdhsa_user_sgpr_count 6
		.amdhsa_user_sgpr_private_segment_buffer 1
		.amdhsa_user_sgpr_dispatch_ptr 0
		.amdhsa_user_sgpr_queue_ptr 0
		.amdhsa_user_sgpr_kernarg_segment_ptr 1
		.amdhsa_user_sgpr_dispatch_id 0
		.amdhsa_user_sgpr_flat_scratch_init 0
		.amdhsa_user_sgpr_private_segment_size 0
		.amdhsa_wavefront_size32 1
		.amdhsa_uses_dynamic_stack 0
		.amdhsa_system_sgpr_private_segment_wavefront_offset 0
		.amdhsa_system_sgpr_workgroup_id_x 1
		.amdhsa_system_sgpr_workgroup_id_y 0
		.amdhsa_system_sgpr_workgroup_id_z 0
		.amdhsa_system_sgpr_workgroup_info 0
		.amdhsa_system_vgpr_workitem_id 0
		.amdhsa_next_free_vgpr 87
		.amdhsa_next_free_sgpr 55
		.amdhsa_reserve_vcc 1
		.amdhsa_reserve_flat_scratch 0
		.amdhsa_float_round_mode_32 0
		.amdhsa_float_round_mode_16_64 0
		.amdhsa_float_denorm_mode_32 3
		.amdhsa_float_denorm_mode_16_64 3
		.amdhsa_dx10_clamp 1
		.amdhsa_ieee_mode 1
		.amdhsa_fp16_overflow 0
		.amdhsa_workgroup_processor_mode 1
		.amdhsa_memory_ordered 1
		.amdhsa_forward_progress 1
		.amdhsa_shared_vgpr_count 0
		.amdhsa_exception_fp_ieee_invalid_op 0
		.amdhsa_exception_fp_denorm_src 0
		.amdhsa_exception_fp_ieee_div_zero 0
		.amdhsa_exception_fp_ieee_overflow 0
		.amdhsa_exception_fp_ieee_underflow 0
		.amdhsa_exception_fp_ieee_inexact 0
		.amdhsa_exception_int_div_zero 0
	.end_amdhsa_kernel
	.section	.text._ZN7rocprim17ROCPRIM_400000_NS6detail17trampoline_kernelINS0_13select_configILj256ELj13ELNS0_17block_load_methodE3ELS4_3ELS4_3ELNS0_20block_scan_algorithmE0ELj4294967295EEENS1_25partition_config_selectorILNS1_17partition_subalgoE4EjNS0_10empty_typeEbEEZZNS1_14partition_implILS8_4ELb0ES6_15HIP_vector_typeIjLj2EENS0_17counting_iteratorIjlEEPS9_SG_NS0_5tupleIJPjSI_NS0_16reverse_iteratorISI_EEEEENSH_IJSG_SG_SG_EEES9_SI_JZNS1_25segmented_radix_sort_implINS0_14default_configELb1EPKfPfPKlPlN2at6native12_GLOBAL__N_18offset_tEEE10hipError_tPvRmT1_PNSt15iterator_traitsIS12_E10value_typeET2_T3_PNS13_IS18_E10value_typeET4_jRbjT5_S1E_jjP12ihipStream_tbEUljE_ZNSN_ISO_Lb1ESQ_SR_ST_SU_SY_EESZ_S10_S11_S12_S16_S17_S18_S1B_S1C_jS1D_jS1E_S1E_jjS1G_bEUljE0_EEESZ_S10_S11_S18_S1C_S1E_T6_T7_T9_mT8_S1G_bDpT10_ENKUlT_T0_E_clISt17integral_constantIbLb0EES1T_IbLb1EEEEDaS1P_S1Q_EUlS1P_E_NS1_11comp_targetILNS1_3genE8ELNS1_11target_archE1030ELNS1_3gpuE2ELNS1_3repE0EEENS1_30default_config_static_selectorELNS0_4arch9wavefront6targetE0EEEvS12_,"axG",@progbits,_ZN7rocprim17ROCPRIM_400000_NS6detail17trampoline_kernelINS0_13select_configILj256ELj13ELNS0_17block_load_methodE3ELS4_3ELS4_3ELNS0_20block_scan_algorithmE0ELj4294967295EEENS1_25partition_config_selectorILNS1_17partition_subalgoE4EjNS0_10empty_typeEbEEZZNS1_14partition_implILS8_4ELb0ES6_15HIP_vector_typeIjLj2EENS0_17counting_iteratorIjlEEPS9_SG_NS0_5tupleIJPjSI_NS0_16reverse_iteratorISI_EEEEENSH_IJSG_SG_SG_EEES9_SI_JZNS1_25segmented_radix_sort_implINS0_14default_configELb1EPKfPfPKlPlN2at6native12_GLOBAL__N_18offset_tEEE10hipError_tPvRmT1_PNSt15iterator_traitsIS12_E10value_typeET2_T3_PNS13_IS18_E10value_typeET4_jRbjT5_S1E_jjP12ihipStream_tbEUljE_ZNSN_ISO_Lb1ESQ_SR_ST_SU_SY_EESZ_S10_S11_S12_S16_S17_S18_S1B_S1C_jS1D_jS1E_S1E_jjS1G_bEUljE0_EEESZ_S10_S11_S18_S1C_S1E_T6_T7_T9_mT8_S1G_bDpT10_ENKUlT_T0_E_clISt17integral_constantIbLb0EES1T_IbLb1EEEEDaS1P_S1Q_EUlS1P_E_NS1_11comp_targetILNS1_3genE8ELNS1_11target_archE1030ELNS1_3gpuE2ELNS1_3repE0EEENS1_30default_config_static_selectorELNS0_4arch9wavefront6targetE0EEEvS12_,comdat
.Lfunc_end1284:
	.size	_ZN7rocprim17ROCPRIM_400000_NS6detail17trampoline_kernelINS0_13select_configILj256ELj13ELNS0_17block_load_methodE3ELS4_3ELS4_3ELNS0_20block_scan_algorithmE0ELj4294967295EEENS1_25partition_config_selectorILNS1_17partition_subalgoE4EjNS0_10empty_typeEbEEZZNS1_14partition_implILS8_4ELb0ES6_15HIP_vector_typeIjLj2EENS0_17counting_iteratorIjlEEPS9_SG_NS0_5tupleIJPjSI_NS0_16reverse_iteratorISI_EEEEENSH_IJSG_SG_SG_EEES9_SI_JZNS1_25segmented_radix_sort_implINS0_14default_configELb1EPKfPfPKlPlN2at6native12_GLOBAL__N_18offset_tEEE10hipError_tPvRmT1_PNSt15iterator_traitsIS12_E10value_typeET2_T3_PNS13_IS18_E10value_typeET4_jRbjT5_S1E_jjP12ihipStream_tbEUljE_ZNSN_ISO_Lb1ESQ_SR_ST_SU_SY_EESZ_S10_S11_S12_S16_S17_S18_S1B_S1C_jS1D_jS1E_S1E_jjS1G_bEUljE0_EEESZ_S10_S11_S18_S1C_S1E_T6_T7_T9_mT8_S1G_bDpT10_ENKUlT_T0_E_clISt17integral_constantIbLb0EES1T_IbLb1EEEEDaS1P_S1Q_EUlS1P_E_NS1_11comp_targetILNS1_3genE8ELNS1_11target_archE1030ELNS1_3gpuE2ELNS1_3repE0EEENS1_30default_config_static_selectorELNS0_4arch9wavefront6targetE0EEEvS12_, .Lfunc_end1284-_ZN7rocprim17ROCPRIM_400000_NS6detail17trampoline_kernelINS0_13select_configILj256ELj13ELNS0_17block_load_methodE3ELS4_3ELS4_3ELNS0_20block_scan_algorithmE0ELj4294967295EEENS1_25partition_config_selectorILNS1_17partition_subalgoE4EjNS0_10empty_typeEbEEZZNS1_14partition_implILS8_4ELb0ES6_15HIP_vector_typeIjLj2EENS0_17counting_iteratorIjlEEPS9_SG_NS0_5tupleIJPjSI_NS0_16reverse_iteratorISI_EEEEENSH_IJSG_SG_SG_EEES9_SI_JZNS1_25segmented_radix_sort_implINS0_14default_configELb1EPKfPfPKlPlN2at6native12_GLOBAL__N_18offset_tEEE10hipError_tPvRmT1_PNSt15iterator_traitsIS12_E10value_typeET2_T3_PNS13_IS18_E10value_typeET4_jRbjT5_S1E_jjP12ihipStream_tbEUljE_ZNSN_ISO_Lb1ESQ_SR_ST_SU_SY_EESZ_S10_S11_S12_S16_S17_S18_S1B_S1C_jS1D_jS1E_S1E_jjS1G_bEUljE0_EEESZ_S10_S11_S18_S1C_S1E_T6_T7_T9_mT8_S1G_bDpT10_ENKUlT_T0_E_clISt17integral_constantIbLb0EES1T_IbLb1EEEEDaS1P_S1Q_EUlS1P_E_NS1_11comp_targetILNS1_3genE8ELNS1_11target_archE1030ELNS1_3gpuE2ELNS1_3repE0EEENS1_30default_config_static_selectorELNS0_4arch9wavefront6targetE0EEEvS12_
                                        ; -- End function
	.set _ZN7rocprim17ROCPRIM_400000_NS6detail17trampoline_kernelINS0_13select_configILj256ELj13ELNS0_17block_load_methodE3ELS4_3ELS4_3ELNS0_20block_scan_algorithmE0ELj4294967295EEENS1_25partition_config_selectorILNS1_17partition_subalgoE4EjNS0_10empty_typeEbEEZZNS1_14partition_implILS8_4ELb0ES6_15HIP_vector_typeIjLj2EENS0_17counting_iteratorIjlEEPS9_SG_NS0_5tupleIJPjSI_NS0_16reverse_iteratorISI_EEEEENSH_IJSG_SG_SG_EEES9_SI_JZNS1_25segmented_radix_sort_implINS0_14default_configELb1EPKfPfPKlPlN2at6native12_GLOBAL__N_18offset_tEEE10hipError_tPvRmT1_PNSt15iterator_traitsIS12_E10value_typeET2_T3_PNS13_IS18_E10value_typeET4_jRbjT5_S1E_jjP12ihipStream_tbEUljE_ZNSN_ISO_Lb1ESQ_SR_ST_SU_SY_EESZ_S10_S11_S12_S16_S17_S18_S1B_S1C_jS1D_jS1E_S1E_jjS1G_bEUljE0_EEESZ_S10_S11_S18_S1C_S1E_T6_T7_T9_mT8_S1G_bDpT10_ENKUlT_T0_E_clISt17integral_constantIbLb0EES1T_IbLb1EEEEDaS1P_S1Q_EUlS1P_E_NS1_11comp_targetILNS1_3genE8ELNS1_11target_archE1030ELNS1_3gpuE2ELNS1_3repE0EEENS1_30default_config_static_selectorELNS0_4arch9wavefront6targetE0EEEvS12_.num_vgpr, 87
	.set _ZN7rocprim17ROCPRIM_400000_NS6detail17trampoline_kernelINS0_13select_configILj256ELj13ELNS0_17block_load_methodE3ELS4_3ELS4_3ELNS0_20block_scan_algorithmE0ELj4294967295EEENS1_25partition_config_selectorILNS1_17partition_subalgoE4EjNS0_10empty_typeEbEEZZNS1_14partition_implILS8_4ELb0ES6_15HIP_vector_typeIjLj2EENS0_17counting_iteratorIjlEEPS9_SG_NS0_5tupleIJPjSI_NS0_16reverse_iteratorISI_EEEEENSH_IJSG_SG_SG_EEES9_SI_JZNS1_25segmented_radix_sort_implINS0_14default_configELb1EPKfPfPKlPlN2at6native12_GLOBAL__N_18offset_tEEE10hipError_tPvRmT1_PNSt15iterator_traitsIS12_E10value_typeET2_T3_PNS13_IS18_E10value_typeET4_jRbjT5_S1E_jjP12ihipStream_tbEUljE_ZNSN_ISO_Lb1ESQ_SR_ST_SU_SY_EESZ_S10_S11_S12_S16_S17_S18_S1B_S1C_jS1D_jS1E_S1E_jjS1G_bEUljE0_EEESZ_S10_S11_S18_S1C_S1E_T6_T7_T9_mT8_S1G_bDpT10_ENKUlT_T0_E_clISt17integral_constantIbLb0EES1T_IbLb1EEEEDaS1P_S1Q_EUlS1P_E_NS1_11comp_targetILNS1_3genE8ELNS1_11target_archE1030ELNS1_3gpuE2ELNS1_3repE0EEENS1_30default_config_static_selectorELNS0_4arch9wavefront6targetE0EEEvS12_.num_agpr, 0
	.set _ZN7rocprim17ROCPRIM_400000_NS6detail17trampoline_kernelINS0_13select_configILj256ELj13ELNS0_17block_load_methodE3ELS4_3ELS4_3ELNS0_20block_scan_algorithmE0ELj4294967295EEENS1_25partition_config_selectorILNS1_17partition_subalgoE4EjNS0_10empty_typeEbEEZZNS1_14partition_implILS8_4ELb0ES6_15HIP_vector_typeIjLj2EENS0_17counting_iteratorIjlEEPS9_SG_NS0_5tupleIJPjSI_NS0_16reverse_iteratorISI_EEEEENSH_IJSG_SG_SG_EEES9_SI_JZNS1_25segmented_radix_sort_implINS0_14default_configELb1EPKfPfPKlPlN2at6native12_GLOBAL__N_18offset_tEEE10hipError_tPvRmT1_PNSt15iterator_traitsIS12_E10value_typeET2_T3_PNS13_IS18_E10value_typeET4_jRbjT5_S1E_jjP12ihipStream_tbEUljE_ZNSN_ISO_Lb1ESQ_SR_ST_SU_SY_EESZ_S10_S11_S12_S16_S17_S18_S1B_S1C_jS1D_jS1E_S1E_jjS1G_bEUljE0_EEESZ_S10_S11_S18_S1C_S1E_T6_T7_T9_mT8_S1G_bDpT10_ENKUlT_T0_E_clISt17integral_constantIbLb0EES1T_IbLb1EEEEDaS1P_S1Q_EUlS1P_E_NS1_11comp_targetILNS1_3genE8ELNS1_11target_archE1030ELNS1_3gpuE2ELNS1_3repE0EEENS1_30default_config_static_selectorELNS0_4arch9wavefront6targetE0EEEvS12_.numbered_sgpr, 55
	.set _ZN7rocprim17ROCPRIM_400000_NS6detail17trampoline_kernelINS0_13select_configILj256ELj13ELNS0_17block_load_methodE3ELS4_3ELS4_3ELNS0_20block_scan_algorithmE0ELj4294967295EEENS1_25partition_config_selectorILNS1_17partition_subalgoE4EjNS0_10empty_typeEbEEZZNS1_14partition_implILS8_4ELb0ES6_15HIP_vector_typeIjLj2EENS0_17counting_iteratorIjlEEPS9_SG_NS0_5tupleIJPjSI_NS0_16reverse_iteratorISI_EEEEENSH_IJSG_SG_SG_EEES9_SI_JZNS1_25segmented_radix_sort_implINS0_14default_configELb1EPKfPfPKlPlN2at6native12_GLOBAL__N_18offset_tEEE10hipError_tPvRmT1_PNSt15iterator_traitsIS12_E10value_typeET2_T3_PNS13_IS18_E10value_typeET4_jRbjT5_S1E_jjP12ihipStream_tbEUljE_ZNSN_ISO_Lb1ESQ_SR_ST_SU_SY_EESZ_S10_S11_S12_S16_S17_S18_S1B_S1C_jS1D_jS1E_S1E_jjS1G_bEUljE0_EEESZ_S10_S11_S18_S1C_S1E_T6_T7_T9_mT8_S1G_bDpT10_ENKUlT_T0_E_clISt17integral_constantIbLb0EES1T_IbLb1EEEEDaS1P_S1Q_EUlS1P_E_NS1_11comp_targetILNS1_3genE8ELNS1_11target_archE1030ELNS1_3gpuE2ELNS1_3repE0EEENS1_30default_config_static_selectorELNS0_4arch9wavefront6targetE0EEEvS12_.num_named_barrier, 0
	.set _ZN7rocprim17ROCPRIM_400000_NS6detail17trampoline_kernelINS0_13select_configILj256ELj13ELNS0_17block_load_methodE3ELS4_3ELS4_3ELNS0_20block_scan_algorithmE0ELj4294967295EEENS1_25partition_config_selectorILNS1_17partition_subalgoE4EjNS0_10empty_typeEbEEZZNS1_14partition_implILS8_4ELb0ES6_15HIP_vector_typeIjLj2EENS0_17counting_iteratorIjlEEPS9_SG_NS0_5tupleIJPjSI_NS0_16reverse_iteratorISI_EEEEENSH_IJSG_SG_SG_EEES9_SI_JZNS1_25segmented_radix_sort_implINS0_14default_configELb1EPKfPfPKlPlN2at6native12_GLOBAL__N_18offset_tEEE10hipError_tPvRmT1_PNSt15iterator_traitsIS12_E10value_typeET2_T3_PNS13_IS18_E10value_typeET4_jRbjT5_S1E_jjP12ihipStream_tbEUljE_ZNSN_ISO_Lb1ESQ_SR_ST_SU_SY_EESZ_S10_S11_S12_S16_S17_S18_S1B_S1C_jS1D_jS1E_S1E_jjS1G_bEUljE0_EEESZ_S10_S11_S18_S1C_S1E_T6_T7_T9_mT8_S1G_bDpT10_ENKUlT_T0_E_clISt17integral_constantIbLb0EES1T_IbLb1EEEEDaS1P_S1Q_EUlS1P_E_NS1_11comp_targetILNS1_3genE8ELNS1_11target_archE1030ELNS1_3gpuE2ELNS1_3repE0EEENS1_30default_config_static_selectorELNS0_4arch9wavefront6targetE0EEEvS12_.private_seg_size, 0
	.set _ZN7rocprim17ROCPRIM_400000_NS6detail17trampoline_kernelINS0_13select_configILj256ELj13ELNS0_17block_load_methodE3ELS4_3ELS4_3ELNS0_20block_scan_algorithmE0ELj4294967295EEENS1_25partition_config_selectorILNS1_17partition_subalgoE4EjNS0_10empty_typeEbEEZZNS1_14partition_implILS8_4ELb0ES6_15HIP_vector_typeIjLj2EENS0_17counting_iteratorIjlEEPS9_SG_NS0_5tupleIJPjSI_NS0_16reverse_iteratorISI_EEEEENSH_IJSG_SG_SG_EEES9_SI_JZNS1_25segmented_radix_sort_implINS0_14default_configELb1EPKfPfPKlPlN2at6native12_GLOBAL__N_18offset_tEEE10hipError_tPvRmT1_PNSt15iterator_traitsIS12_E10value_typeET2_T3_PNS13_IS18_E10value_typeET4_jRbjT5_S1E_jjP12ihipStream_tbEUljE_ZNSN_ISO_Lb1ESQ_SR_ST_SU_SY_EESZ_S10_S11_S12_S16_S17_S18_S1B_S1C_jS1D_jS1E_S1E_jjS1G_bEUljE0_EEESZ_S10_S11_S18_S1C_S1E_T6_T7_T9_mT8_S1G_bDpT10_ENKUlT_T0_E_clISt17integral_constantIbLb0EES1T_IbLb1EEEEDaS1P_S1Q_EUlS1P_E_NS1_11comp_targetILNS1_3genE8ELNS1_11target_archE1030ELNS1_3gpuE2ELNS1_3repE0EEENS1_30default_config_static_selectorELNS0_4arch9wavefront6targetE0EEEvS12_.uses_vcc, 1
	.set _ZN7rocprim17ROCPRIM_400000_NS6detail17trampoline_kernelINS0_13select_configILj256ELj13ELNS0_17block_load_methodE3ELS4_3ELS4_3ELNS0_20block_scan_algorithmE0ELj4294967295EEENS1_25partition_config_selectorILNS1_17partition_subalgoE4EjNS0_10empty_typeEbEEZZNS1_14partition_implILS8_4ELb0ES6_15HIP_vector_typeIjLj2EENS0_17counting_iteratorIjlEEPS9_SG_NS0_5tupleIJPjSI_NS0_16reverse_iteratorISI_EEEEENSH_IJSG_SG_SG_EEES9_SI_JZNS1_25segmented_radix_sort_implINS0_14default_configELb1EPKfPfPKlPlN2at6native12_GLOBAL__N_18offset_tEEE10hipError_tPvRmT1_PNSt15iterator_traitsIS12_E10value_typeET2_T3_PNS13_IS18_E10value_typeET4_jRbjT5_S1E_jjP12ihipStream_tbEUljE_ZNSN_ISO_Lb1ESQ_SR_ST_SU_SY_EESZ_S10_S11_S12_S16_S17_S18_S1B_S1C_jS1D_jS1E_S1E_jjS1G_bEUljE0_EEESZ_S10_S11_S18_S1C_S1E_T6_T7_T9_mT8_S1G_bDpT10_ENKUlT_T0_E_clISt17integral_constantIbLb0EES1T_IbLb1EEEEDaS1P_S1Q_EUlS1P_E_NS1_11comp_targetILNS1_3genE8ELNS1_11target_archE1030ELNS1_3gpuE2ELNS1_3repE0EEENS1_30default_config_static_selectorELNS0_4arch9wavefront6targetE0EEEvS12_.uses_flat_scratch, 0
	.set _ZN7rocprim17ROCPRIM_400000_NS6detail17trampoline_kernelINS0_13select_configILj256ELj13ELNS0_17block_load_methodE3ELS4_3ELS4_3ELNS0_20block_scan_algorithmE0ELj4294967295EEENS1_25partition_config_selectorILNS1_17partition_subalgoE4EjNS0_10empty_typeEbEEZZNS1_14partition_implILS8_4ELb0ES6_15HIP_vector_typeIjLj2EENS0_17counting_iteratorIjlEEPS9_SG_NS0_5tupleIJPjSI_NS0_16reverse_iteratorISI_EEEEENSH_IJSG_SG_SG_EEES9_SI_JZNS1_25segmented_radix_sort_implINS0_14default_configELb1EPKfPfPKlPlN2at6native12_GLOBAL__N_18offset_tEEE10hipError_tPvRmT1_PNSt15iterator_traitsIS12_E10value_typeET2_T3_PNS13_IS18_E10value_typeET4_jRbjT5_S1E_jjP12ihipStream_tbEUljE_ZNSN_ISO_Lb1ESQ_SR_ST_SU_SY_EESZ_S10_S11_S12_S16_S17_S18_S1B_S1C_jS1D_jS1E_S1E_jjS1G_bEUljE0_EEESZ_S10_S11_S18_S1C_S1E_T6_T7_T9_mT8_S1G_bDpT10_ENKUlT_T0_E_clISt17integral_constantIbLb0EES1T_IbLb1EEEEDaS1P_S1Q_EUlS1P_E_NS1_11comp_targetILNS1_3genE8ELNS1_11target_archE1030ELNS1_3gpuE2ELNS1_3repE0EEENS1_30default_config_static_selectorELNS0_4arch9wavefront6targetE0EEEvS12_.has_dyn_sized_stack, 0
	.set _ZN7rocprim17ROCPRIM_400000_NS6detail17trampoline_kernelINS0_13select_configILj256ELj13ELNS0_17block_load_methodE3ELS4_3ELS4_3ELNS0_20block_scan_algorithmE0ELj4294967295EEENS1_25partition_config_selectorILNS1_17partition_subalgoE4EjNS0_10empty_typeEbEEZZNS1_14partition_implILS8_4ELb0ES6_15HIP_vector_typeIjLj2EENS0_17counting_iteratorIjlEEPS9_SG_NS0_5tupleIJPjSI_NS0_16reverse_iteratorISI_EEEEENSH_IJSG_SG_SG_EEES9_SI_JZNS1_25segmented_radix_sort_implINS0_14default_configELb1EPKfPfPKlPlN2at6native12_GLOBAL__N_18offset_tEEE10hipError_tPvRmT1_PNSt15iterator_traitsIS12_E10value_typeET2_T3_PNS13_IS18_E10value_typeET4_jRbjT5_S1E_jjP12ihipStream_tbEUljE_ZNSN_ISO_Lb1ESQ_SR_ST_SU_SY_EESZ_S10_S11_S12_S16_S17_S18_S1B_S1C_jS1D_jS1E_S1E_jjS1G_bEUljE0_EEESZ_S10_S11_S18_S1C_S1E_T6_T7_T9_mT8_S1G_bDpT10_ENKUlT_T0_E_clISt17integral_constantIbLb0EES1T_IbLb1EEEEDaS1P_S1Q_EUlS1P_E_NS1_11comp_targetILNS1_3genE8ELNS1_11target_archE1030ELNS1_3gpuE2ELNS1_3repE0EEENS1_30default_config_static_selectorELNS0_4arch9wavefront6targetE0EEEvS12_.has_recursion, 0
	.set _ZN7rocprim17ROCPRIM_400000_NS6detail17trampoline_kernelINS0_13select_configILj256ELj13ELNS0_17block_load_methodE3ELS4_3ELS4_3ELNS0_20block_scan_algorithmE0ELj4294967295EEENS1_25partition_config_selectorILNS1_17partition_subalgoE4EjNS0_10empty_typeEbEEZZNS1_14partition_implILS8_4ELb0ES6_15HIP_vector_typeIjLj2EENS0_17counting_iteratorIjlEEPS9_SG_NS0_5tupleIJPjSI_NS0_16reverse_iteratorISI_EEEEENSH_IJSG_SG_SG_EEES9_SI_JZNS1_25segmented_radix_sort_implINS0_14default_configELb1EPKfPfPKlPlN2at6native12_GLOBAL__N_18offset_tEEE10hipError_tPvRmT1_PNSt15iterator_traitsIS12_E10value_typeET2_T3_PNS13_IS18_E10value_typeET4_jRbjT5_S1E_jjP12ihipStream_tbEUljE_ZNSN_ISO_Lb1ESQ_SR_ST_SU_SY_EESZ_S10_S11_S12_S16_S17_S18_S1B_S1C_jS1D_jS1E_S1E_jjS1G_bEUljE0_EEESZ_S10_S11_S18_S1C_S1E_T6_T7_T9_mT8_S1G_bDpT10_ENKUlT_T0_E_clISt17integral_constantIbLb0EES1T_IbLb1EEEEDaS1P_S1Q_EUlS1P_E_NS1_11comp_targetILNS1_3genE8ELNS1_11target_archE1030ELNS1_3gpuE2ELNS1_3repE0EEENS1_30default_config_static_selectorELNS0_4arch9wavefront6targetE0EEEvS12_.has_indirect_call, 0
	.section	.AMDGPU.csdata,"",@progbits
; Kernel info:
; codeLenInByte = 16368
; TotalNumSgprs: 57
; NumVgprs: 87
; ScratchSize: 0
; MemoryBound: 0
; FloatMode: 240
; IeeeMode: 1
; LDSByteSize: 13328 bytes/workgroup (compile time only)
; SGPRBlocks: 0
; VGPRBlocks: 10
; NumSGPRsForWavesPerEU: 57
; NumVGPRsForWavesPerEU: 87
; Occupancy: 10
; WaveLimiterHint : 1
; COMPUTE_PGM_RSRC2:SCRATCH_EN: 0
; COMPUTE_PGM_RSRC2:USER_SGPR: 6
; COMPUTE_PGM_RSRC2:TRAP_HANDLER: 0
; COMPUTE_PGM_RSRC2:TGID_X_EN: 1
; COMPUTE_PGM_RSRC2:TGID_Y_EN: 0
; COMPUTE_PGM_RSRC2:TGID_Z_EN: 0
; COMPUTE_PGM_RSRC2:TIDIG_COMP_CNT: 0
	.section	.text._ZN7rocprim17ROCPRIM_400000_NS6detail17trampoline_kernelINS0_13select_configILj256ELj13ELNS0_17block_load_methodE3ELS4_3ELS4_3ELNS0_20block_scan_algorithmE0ELj4294967295EEENS1_25partition_config_selectorILNS1_17partition_subalgoE3EjNS0_10empty_typeEbEEZZNS1_14partition_implILS8_3ELb0ES6_jNS0_17counting_iteratorIjlEEPS9_SE_NS0_5tupleIJPjSE_EEENSF_IJSE_SE_EEES9_SG_JZNS1_25segmented_radix_sort_implINS0_14default_configELb1EPKfPfPKlPlN2at6native12_GLOBAL__N_18offset_tEEE10hipError_tPvRmT1_PNSt15iterator_traitsISY_E10value_typeET2_T3_PNSZ_IS14_E10value_typeET4_jRbjT5_S1A_jjP12ihipStream_tbEUljE_EEESV_SW_SX_S14_S18_S1A_T6_T7_T9_mT8_S1C_bDpT10_ENKUlT_T0_E_clISt17integral_constantIbLb0EES1P_EEDaS1K_S1L_EUlS1K_E_NS1_11comp_targetILNS1_3genE0ELNS1_11target_archE4294967295ELNS1_3gpuE0ELNS1_3repE0EEENS1_30default_config_static_selectorELNS0_4arch9wavefront6targetE0EEEvSY_,"axG",@progbits,_ZN7rocprim17ROCPRIM_400000_NS6detail17trampoline_kernelINS0_13select_configILj256ELj13ELNS0_17block_load_methodE3ELS4_3ELS4_3ELNS0_20block_scan_algorithmE0ELj4294967295EEENS1_25partition_config_selectorILNS1_17partition_subalgoE3EjNS0_10empty_typeEbEEZZNS1_14partition_implILS8_3ELb0ES6_jNS0_17counting_iteratorIjlEEPS9_SE_NS0_5tupleIJPjSE_EEENSF_IJSE_SE_EEES9_SG_JZNS1_25segmented_radix_sort_implINS0_14default_configELb1EPKfPfPKlPlN2at6native12_GLOBAL__N_18offset_tEEE10hipError_tPvRmT1_PNSt15iterator_traitsISY_E10value_typeET2_T3_PNSZ_IS14_E10value_typeET4_jRbjT5_S1A_jjP12ihipStream_tbEUljE_EEESV_SW_SX_S14_S18_S1A_T6_T7_T9_mT8_S1C_bDpT10_ENKUlT_T0_E_clISt17integral_constantIbLb0EES1P_EEDaS1K_S1L_EUlS1K_E_NS1_11comp_targetILNS1_3genE0ELNS1_11target_archE4294967295ELNS1_3gpuE0ELNS1_3repE0EEENS1_30default_config_static_selectorELNS0_4arch9wavefront6targetE0EEEvSY_,comdat
	.globl	_ZN7rocprim17ROCPRIM_400000_NS6detail17trampoline_kernelINS0_13select_configILj256ELj13ELNS0_17block_load_methodE3ELS4_3ELS4_3ELNS0_20block_scan_algorithmE0ELj4294967295EEENS1_25partition_config_selectorILNS1_17partition_subalgoE3EjNS0_10empty_typeEbEEZZNS1_14partition_implILS8_3ELb0ES6_jNS0_17counting_iteratorIjlEEPS9_SE_NS0_5tupleIJPjSE_EEENSF_IJSE_SE_EEES9_SG_JZNS1_25segmented_radix_sort_implINS0_14default_configELb1EPKfPfPKlPlN2at6native12_GLOBAL__N_18offset_tEEE10hipError_tPvRmT1_PNSt15iterator_traitsISY_E10value_typeET2_T3_PNSZ_IS14_E10value_typeET4_jRbjT5_S1A_jjP12ihipStream_tbEUljE_EEESV_SW_SX_S14_S18_S1A_T6_T7_T9_mT8_S1C_bDpT10_ENKUlT_T0_E_clISt17integral_constantIbLb0EES1P_EEDaS1K_S1L_EUlS1K_E_NS1_11comp_targetILNS1_3genE0ELNS1_11target_archE4294967295ELNS1_3gpuE0ELNS1_3repE0EEENS1_30default_config_static_selectorELNS0_4arch9wavefront6targetE0EEEvSY_ ; -- Begin function _ZN7rocprim17ROCPRIM_400000_NS6detail17trampoline_kernelINS0_13select_configILj256ELj13ELNS0_17block_load_methodE3ELS4_3ELS4_3ELNS0_20block_scan_algorithmE0ELj4294967295EEENS1_25partition_config_selectorILNS1_17partition_subalgoE3EjNS0_10empty_typeEbEEZZNS1_14partition_implILS8_3ELb0ES6_jNS0_17counting_iteratorIjlEEPS9_SE_NS0_5tupleIJPjSE_EEENSF_IJSE_SE_EEES9_SG_JZNS1_25segmented_radix_sort_implINS0_14default_configELb1EPKfPfPKlPlN2at6native12_GLOBAL__N_18offset_tEEE10hipError_tPvRmT1_PNSt15iterator_traitsISY_E10value_typeET2_T3_PNSZ_IS14_E10value_typeET4_jRbjT5_S1A_jjP12ihipStream_tbEUljE_EEESV_SW_SX_S14_S18_S1A_T6_T7_T9_mT8_S1C_bDpT10_ENKUlT_T0_E_clISt17integral_constantIbLb0EES1P_EEDaS1K_S1L_EUlS1K_E_NS1_11comp_targetILNS1_3genE0ELNS1_11target_archE4294967295ELNS1_3gpuE0ELNS1_3repE0EEENS1_30default_config_static_selectorELNS0_4arch9wavefront6targetE0EEEvSY_
	.p2align	8
	.type	_ZN7rocprim17ROCPRIM_400000_NS6detail17trampoline_kernelINS0_13select_configILj256ELj13ELNS0_17block_load_methodE3ELS4_3ELS4_3ELNS0_20block_scan_algorithmE0ELj4294967295EEENS1_25partition_config_selectorILNS1_17partition_subalgoE3EjNS0_10empty_typeEbEEZZNS1_14partition_implILS8_3ELb0ES6_jNS0_17counting_iteratorIjlEEPS9_SE_NS0_5tupleIJPjSE_EEENSF_IJSE_SE_EEES9_SG_JZNS1_25segmented_radix_sort_implINS0_14default_configELb1EPKfPfPKlPlN2at6native12_GLOBAL__N_18offset_tEEE10hipError_tPvRmT1_PNSt15iterator_traitsISY_E10value_typeET2_T3_PNSZ_IS14_E10value_typeET4_jRbjT5_S1A_jjP12ihipStream_tbEUljE_EEESV_SW_SX_S14_S18_S1A_T6_T7_T9_mT8_S1C_bDpT10_ENKUlT_T0_E_clISt17integral_constantIbLb0EES1P_EEDaS1K_S1L_EUlS1K_E_NS1_11comp_targetILNS1_3genE0ELNS1_11target_archE4294967295ELNS1_3gpuE0ELNS1_3repE0EEENS1_30default_config_static_selectorELNS0_4arch9wavefront6targetE0EEEvSY_,@function
_ZN7rocprim17ROCPRIM_400000_NS6detail17trampoline_kernelINS0_13select_configILj256ELj13ELNS0_17block_load_methodE3ELS4_3ELS4_3ELNS0_20block_scan_algorithmE0ELj4294967295EEENS1_25partition_config_selectorILNS1_17partition_subalgoE3EjNS0_10empty_typeEbEEZZNS1_14partition_implILS8_3ELb0ES6_jNS0_17counting_iteratorIjlEEPS9_SE_NS0_5tupleIJPjSE_EEENSF_IJSE_SE_EEES9_SG_JZNS1_25segmented_radix_sort_implINS0_14default_configELb1EPKfPfPKlPlN2at6native12_GLOBAL__N_18offset_tEEE10hipError_tPvRmT1_PNSt15iterator_traitsISY_E10value_typeET2_T3_PNSZ_IS14_E10value_typeET4_jRbjT5_S1A_jjP12ihipStream_tbEUljE_EEESV_SW_SX_S14_S18_S1A_T6_T7_T9_mT8_S1C_bDpT10_ENKUlT_T0_E_clISt17integral_constantIbLb0EES1P_EEDaS1K_S1L_EUlS1K_E_NS1_11comp_targetILNS1_3genE0ELNS1_11target_archE4294967295ELNS1_3gpuE0ELNS1_3repE0EEENS1_30default_config_static_selectorELNS0_4arch9wavefront6targetE0EEEvSY_: ; @_ZN7rocprim17ROCPRIM_400000_NS6detail17trampoline_kernelINS0_13select_configILj256ELj13ELNS0_17block_load_methodE3ELS4_3ELS4_3ELNS0_20block_scan_algorithmE0ELj4294967295EEENS1_25partition_config_selectorILNS1_17partition_subalgoE3EjNS0_10empty_typeEbEEZZNS1_14partition_implILS8_3ELb0ES6_jNS0_17counting_iteratorIjlEEPS9_SE_NS0_5tupleIJPjSE_EEENSF_IJSE_SE_EEES9_SG_JZNS1_25segmented_radix_sort_implINS0_14default_configELb1EPKfPfPKlPlN2at6native12_GLOBAL__N_18offset_tEEE10hipError_tPvRmT1_PNSt15iterator_traitsISY_E10value_typeET2_T3_PNSZ_IS14_E10value_typeET4_jRbjT5_S1A_jjP12ihipStream_tbEUljE_EEESV_SW_SX_S14_S18_S1A_T6_T7_T9_mT8_S1C_bDpT10_ENKUlT_T0_E_clISt17integral_constantIbLb0EES1P_EEDaS1K_S1L_EUlS1K_E_NS1_11comp_targetILNS1_3genE0ELNS1_11target_archE4294967295ELNS1_3gpuE0ELNS1_3repE0EEENS1_30default_config_static_selectorELNS0_4arch9wavefront6targetE0EEEvSY_
; %bb.0:
	.section	.rodata,"a",@progbits
	.p2align	6, 0x0
	.amdhsa_kernel _ZN7rocprim17ROCPRIM_400000_NS6detail17trampoline_kernelINS0_13select_configILj256ELj13ELNS0_17block_load_methodE3ELS4_3ELS4_3ELNS0_20block_scan_algorithmE0ELj4294967295EEENS1_25partition_config_selectorILNS1_17partition_subalgoE3EjNS0_10empty_typeEbEEZZNS1_14partition_implILS8_3ELb0ES6_jNS0_17counting_iteratorIjlEEPS9_SE_NS0_5tupleIJPjSE_EEENSF_IJSE_SE_EEES9_SG_JZNS1_25segmented_radix_sort_implINS0_14default_configELb1EPKfPfPKlPlN2at6native12_GLOBAL__N_18offset_tEEE10hipError_tPvRmT1_PNSt15iterator_traitsISY_E10value_typeET2_T3_PNSZ_IS14_E10value_typeET4_jRbjT5_S1A_jjP12ihipStream_tbEUljE_EEESV_SW_SX_S14_S18_S1A_T6_T7_T9_mT8_S1C_bDpT10_ENKUlT_T0_E_clISt17integral_constantIbLb0EES1P_EEDaS1K_S1L_EUlS1K_E_NS1_11comp_targetILNS1_3genE0ELNS1_11target_archE4294967295ELNS1_3gpuE0ELNS1_3repE0EEENS1_30default_config_static_selectorELNS0_4arch9wavefront6targetE0EEEvSY_
		.amdhsa_group_segment_fixed_size 0
		.amdhsa_private_segment_fixed_size 0
		.amdhsa_kernarg_size 144
		.amdhsa_user_sgpr_count 6
		.amdhsa_user_sgpr_private_segment_buffer 1
		.amdhsa_user_sgpr_dispatch_ptr 0
		.amdhsa_user_sgpr_queue_ptr 0
		.amdhsa_user_sgpr_kernarg_segment_ptr 1
		.amdhsa_user_sgpr_dispatch_id 0
		.amdhsa_user_sgpr_flat_scratch_init 0
		.amdhsa_user_sgpr_private_segment_size 0
		.amdhsa_wavefront_size32 1
		.amdhsa_uses_dynamic_stack 0
		.amdhsa_system_sgpr_private_segment_wavefront_offset 0
		.amdhsa_system_sgpr_workgroup_id_x 1
		.amdhsa_system_sgpr_workgroup_id_y 0
		.amdhsa_system_sgpr_workgroup_id_z 0
		.amdhsa_system_sgpr_workgroup_info 0
		.amdhsa_system_vgpr_workitem_id 0
		.amdhsa_next_free_vgpr 1
		.amdhsa_next_free_sgpr 1
		.amdhsa_reserve_vcc 0
		.amdhsa_reserve_flat_scratch 0
		.amdhsa_float_round_mode_32 0
		.amdhsa_float_round_mode_16_64 0
		.amdhsa_float_denorm_mode_32 3
		.amdhsa_float_denorm_mode_16_64 3
		.amdhsa_dx10_clamp 1
		.amdhsa_ieee_mode 1
		.amdhsa_fp16_overflow 0
		.amdhsa_workgroup_processor_mode 1
		.amdhsa_memory_ordered 1
		.amdhsa_forward_progress 1
		.amdhsa_shared_vgpr_count 0
		.amdhsa_exception_fp_ieee_invalid_op 0
		.amdhsa_exception_fp_denorm_src 0
		.amdhsa_exception_fp_ieee_div_zero 0
		.amdhsa_exception_fp_ieee_overflow 0
		.amdhsa_exception_fp_ieee_underflow 0
		.amdhsa_exception_fp_ieee_inexact 0
		.amdhsa_exception_int_div_zero 0
	.end_amdhsa_kernel
	.section	.text._ZN7rocprim17ROCPRIM_400000_NS6detail17trampoline_kernelINS0_13select_configILj256ELj13ELNS0_17block_load_methodE3ELS4_3ELS4_3ELNS0_20block_scan_algorithmE0ELj4294967295EEENS1_25partition_config_selectorILNS1_17partition_subalgoE3EjNS0_10empty_typeEbEEZZNS1_14partition_implILS8_3ELb0ES6_jNS0_17counting_iteratorIjlEEPS9_SE_NS0_5tupleIJPjSE_EEENSF_IJSE_SE_EEES9_SG_JZNS1_25segmented_radix_sort_implINS0_14default_configELb1EPKfPfPKlPlN2at6native12_GLOBAL__N_18offset_tEEE10hipError_tPvRmT1_PNSt15iterator_traitsISY_E10value_typeET2_T3_PNSZ_IS14_E10value_typeET4_jRbjT5_S1A_jjP12ihipStream_tbEUljE_EEESV_SW_SX_S14_S18_S1A_T6_T7_T9_mT8_S1C_bDpT10_ENKUlT_T0_E_clISt17integral_constantIbLb0EES1P_EEDaS1K_S1L_EUlS1K_E_NS1_11comp_targetILNS1_3genE0ELNS1_11target_archE4294967295ELNS1_3gpuE0ELNS1_3repE0EEENS1_30default_config_static_selectorELNS0_4arch9wavefront6targetE0EEEvSY_,"axG",@progbits,_ZN7rocprim17ROCPRIM_400000_NS6detail17trampoline_kernelINS0_13select_configILj256ELj13ELNS0_17block_load_methodE3ELS4_3ELS4_3ELNS0_20block_scan_algorithmE0ELj4294967295EEENS1_25partition_config_selectorILNS1_17partition_subalgoE3EjNS0_10empty_typeEbEEZZNS1_14partition_implILS8_3ELb0ES6_jNS0_17counting_iteratorIjlEEPS9_SE_NS0_5tupleIJPjSE_EEENSF_IJSE_SE_EEES9_SG_JZNS1_25segmented_radix_sort_implINS0_14default_configELb1EPKfPfPKlPlN2at6native12_GLOBAL__N_18offset_tEEE10hipError_tPvRmT1_PNSt15iterator_traitsISY_E10value_typeET2_T3_PNSZ_IS14_E10value_typeET4_jRbjT5_S1A_jjP12ihipStream_tbEUljE_EEESV_SW_SX_S14_S18_S1A_T6_T7_T9_mT8_S1C_bDpT10_ENKUlT_T0_E_clISt17integral_constantIbLb0EES1P_EEDaS1K_S1L_EUlS1K_E_NS1_11comp_targetILNS1_3genE0ELNS1_11target_archE4294967295ELNS1_3gpuE0ELNS1_3repE0EEENS1_30default_config_static_selectorELNS0_4arch9wavefront6targetE0EEEvSY_,comdat
.Lfunc_end1285:
	.size	_ZN7rocprim17ROCPRIM_400000_NS6detail17trampoline_kernelINS0_13select_configILj256ELj13ELNS0_17block_load_methodE3ELS4_3ELS4_3ELNS0_20block_scan_algorithmE0ELj4294967295EEENS1_25partition_config_selectorILNS1_17partition_subalgoE3EjNS0_10empty_typeEbEEZZNS1_14partition_implILS8_3ELb0ES6_jNS0_17counting_iteratorIjlEEPS9_SE_NS0_5tupleIJPjSE_EEENSF_IJSE_SE_EEES9_SG_JZNS1_25segmented_radix_sort_implINS0_14default_configELb1EPKfPfPKlPlN2at6native12_GLOBAL__N_18offset_tEEE10hipError_tPvRmT1_PNSt15iterator_traitsISY_E10value_typeET2_T3_PNSZ_IS14_E10value_typeET4_jRbjT5_S1A_jjP12ihipStream_tbEUljE_EEESV_SW_SX_S14_S18_S1A_T6_T7_T9_mT8_S1C_bDpT10_ENKUlT_T0_E_clISt17integral_constantIbLb0EES1P_EEDaS1K_S1L_EUlS1K_E_NS1_11comp_targetILNS1_3genE0ELNS1_11target_archE4294967295ELNS1_3gpuE0ELNS1_3repE0EEENS1_30default_config_static_selectorELNS0_4arch9wavefront6targetE0EEEvSY_, .Lfunc_end1285-_ZN7rocprim17ROCPRIM_400000_NS6detail17trampoline_kernelINS0_13select_configILj256ELj13ELNS0_17block_load_methodE3ELS4_3ELS4_3ELNS0_20block_scan_algorithmE0ELj4294967295EEENS1_25partition_config_selectorILNS1_17partition_subalgoE3EjNS0_10empty_typeEbEEZZNS1_14partition_implILS8_3ELb0ES6_jNS0_17counting_iteratorIjlEEPS9_SE_NS0_5tupleIJPjSE_EEENSF_IJSE_SE_EEES9_SG_JZNS1_25segmented_radix_sort_implINS0_14default_configELb1EPKfPfPKlPlN2at6native12_GLOBAL__N_18offset_tEEE10hipError_tPvRmT1_PNSt15iterator_traitsISY_E10value_typeET2_T3_PNSZ_IS14_E10value_typeET4_jRbjT5_S1A_jjP12ihipStream_tbEUljE_EEESV_SW_SX_S14_S18_S1A_T6_T7_T9_mT8_S1C_bDpT10_ENKUlT_T0_E_clISt17integral_constantIbLb0EES1P_EEDaS1K_S1L_EUlS1K_E_NS1_11comp_targetILNS1_3genE0ELNS1_11target_archE4294967295ELNS1_3gpuE0ELNS1_3repE0EEENS1_30default_config_static_selectorELNS0_4arch9wavefront6targetE0EEEvSY_
                                        ; -- End function
	.set _ZN7rocprim17ROCPRIM_400000_NS6detail17trampoline_kernelINS0_13select_configILj256ELj13ELNS0_17block_load_methodE3ELS4_3ELS4_3ELNS0_20block_scan_algorithmE0ELj4294967295EEENS1_25partition_config_selectorILNS1_17partition_subalgoE3EjNS0_10empty_typeEbEEZZNS1_14partition_implILS8_3ELb0ES6_jNS0_17counting_iteratorIjlEEPS9_SE_NS0_5tupleIJPjSE_EEENSF_IJSE_SE_EEES9_SG_JZNS1_25segmented_radix_sort_implINS0_14default_configELb1EPKfPfPKlPlN2at6native12_GLOBAL__N_18offset_tEEE10hipError_tPvRmT1_PNSt15iterator_traitsISY_E10value_typeET2_T3_PNSZ_IS14_E10value_typeET4_jRbjT5_S1A_jjP12ihipStream_tbEUljE_EEESV_SW_SX_S14_S18_S1A_T6_T7_T9_mT8_S1C_bDpT10_ENKUlT_T0_E_clISt17integral_constantIbLb0EES1P_EEDaS1K_S1L_EUlS1K_E_NS1_11comp_targetILNS1_3genE0ELNS1_11target_archE4294967295ELNS1_3gpuE0ELNS1_3repE0EEENS1_30default_config_static_selectorELNS0_4arch9wavefront6targetE0EEEvSY_.num_vgpr, 0
	.set _ZN7rocprim17ROCPRIM_400000_NS6detail17trampoline_kernelINS0_13select_configILj256ELj13ELNS0_17block_load_methodE3ELS4_3ELS4_3ELNS0_20block_scan_algorithmE0ELj4294967295EEENS1_25partition_config_selectorILNS1_17partition_subalgoE3EjNS0_10empty_typeEbEEZZNS1_14partition_implILS8_3ELb0ES6_jNS0_17counting_iteratorIjlEEPS9_SE_NS0_5tupleIJPjSE_EEENSF_IJSE_SE_EEES9_SG_JZNS1_25segmented_radix_sort_implINS0_14default_configELb1EPKfPfPKlPlN2at6native12_GLOBAL__N_18offset_tEEE10hipError_tPvRmT1_PNSt15iterator_traitsISY_E10value_typeET2_T3_PNSZ_IS14_E10value_typeET4_jRbjT5_S1A_jjP12ihipStream_tbEUljE_EEESV_SW_SX_S14_S18_S1A_T6_T7_T9_mT8_S1C_bDpT10_ENKUlT_T0_E_clISt17integral_constantIbLb0EES1P_EEDaS1K_S1L_EUlS1K_E_NS1_11comp_targetILNS1_3genE0ELNS1_11target_archE4294967295ELNS1_3gpuE0ELNS1_3repE0EEENS1_30default_config_static_selectorELNS0_4arch9wavefront6targetE0EEEvSY_.num_agpr, 0
	.set _ZN7rocprim17ROCPRIM_400000_NS6detail17trampoline_kernelINS0_13select_configILj256ELj13ELNS0_17block_load_methodE3ELS4_3ELS4_3ELNS0_20block_scan_algorithmE0ELj4294967295EEENS1_25partition_config_selectorILNS1_17partition_subalgoE3EjNS0_10empty_typeEbEEZZNS1_14partition_implILS8_3ELb0ES6_jNS0_17counting_iteratorIjlEEPS9_SE_NS0_5tupleIJPjSE_EEENSF_IJSE_SE_EEES9_SG_JZNS1_25segmented_radix_sort_implINS0_14default_configELb1EPKfPfPKlPlN2at6native12_GLOBAL__N_18offset_tEEE10hipError_tPvRmT1_PNSt15iterator_traitsISY_E10value_typeET2_T3_PNSZ_IS14_E10value_typeET4_jRbjT5_S1A_jjP12ihipStream_tbEUljE_EEESV_SW_SX_S14_S18_S1A_T6_T7_T9_mT8_S1C_bDpT10_ENKUlT_T0_E_clISt17integral_constantIbLb0EES1P_EEDaS1K_S1L_EUlS1K_E_NS1_11comp_targetILNS1_3genE0ELNS1_11target_archE4294967295ELNS1_3gpuE0ELNS1_3repE0EEENS1_30default_config_static_selectorELNS0_4arch9wavefront6targetE0EEEvSY_.numbered_sgpr, 0
	.set _ZN7rocprim17ROCPRIM_400000_NS6detail17trampoline_kernelINS0_13select_configILj256ELj13ELNS0_17block_load_methodE3ELS4_3ELS4_3ELNS0_20block_scan_algorithmE0ELj4294967295EEENS1_25partition_config_selectorILNS1_17partition_subalgoE3EjNS0_10empty_typeEbEEZZNS1_14partition_implILS8_3ELb0ES6_jNS0_17counting_iteratorIjlEEPS9_SE_NS0_5tupleIJPjSE_EEENSF_IJSE_SE_EEES9_SG_JZNS1_25segmented_radix_sort_implINS0_14default_configELb1EPKfPfPKlPlN2at6native12_GLOBAL__N_18offset_tEEE10hipError_tPvRmT1_PNSt15iterator_traitsISY_E10value_typeET2_T3_PNSZ_IS14_E10value_typeET4_jRbjT5_S1A_jjP12ihipStream_tbEUljE_EEESV_SW_SX_S14_S18_S1A_T6_T7_T9_mT8_S1C_bDpT10_ENKUlT_T0_E_clISt17integral_constantIbLb0EES1P_EEDaS1K_S1L_EUlS1K_E_NS1_11comp_targetILNS1_3genE0ELNS1_11target_archE4294967295ELNS1_3gpuE0ELNS1_3repE0EEENS1_30default_config_static_selectorELNS0_4arch9wavefront6targetE0EEEvSY_.num_named_barrier, 0
	.set _ZN7rocprim17ROCPRIM_400000_NS6detail17trampoline_kernelINS0_13select_configILj256ELj13ELNS0_17block_load_methodE3ELS4_3ELS4_3ELNS0_20block_scan_algorithmE0ELj4294967295EEENS1_25partition_config_selectorILNS1_17partition_subalgoE3EjNS0_10empty_typeEbEEZZNS1_14partition_implILS8_3ELb0ES6_jNS0_17counting_iteratorIjlEEPS9_SE_NS0_5tupleIJPjSE_EEENSF_IJSE_SE_EEES9_SG_JZNS1_25segmented_radix_sort_implINS0_14default_configELb1EPKfPfPKlPlN2at6native12_GLOBAL__N_18offset_tEEE10hipError_tPvRmT1_PNSt15iterator_traitsISY_E10value_typeET2_T3_PNSZ_IS14_E10value_typeET4_jRbjT5_S1A_jjP12ihipStream_tbEUljE_EEESV_SW_SX_S14_S18_S1A_T6_T7_T9_mT8_S1C_bDpT10_ENKUlT_T0_E_clISt17integral_constantIbLb0EES1P_EEDaS1K_S1L_EUlS1K_E_NS1_11comp_targetILNS1_3genE0ELNS1_11target_archE4294967295ELNS1_3gpuE0ELNS1_3repE0EEENS1_30default_config_static_selectorELNS0_4arch9wavefront6targetE0EEEvSY_.private_seg_size, 0
	.set _ZN7rocprim17ROCPRIM_400000_NS6detail17trampoline_kernelINS0_13select_configILj256ELj13ELNS0_17block_load_methodE3ELS4_3ELS4_3ELNS0_20block_scan_algorithmE0ELj4294967295EEENS1_25partition_config_selectorILNS1_17partition_subalgoE3EjNS0_10empty_typeEbEEZZNS1_14partition_implILS8_3ELb0ES6_jNS0_17counting_iteratorIjlEEPS9_SE_NS0_5tupleIJPjSE_EEENSF_IJSE_SE_EEES9_SG_JZNS1_25segmented_radix_sort_implINS0_14default_configELb1EPKfPfPKlPlN2at6native12_GLOBAL__N_18offset_tEEE10hipError_tPvRmT1_PNSt15iterator_traitsISY_E10value_typeET2_T3_PNSZ_IS14_E10value_typeET4_jRbjT5_S1A_jjP12ihipStream_tbEUljE_EEESV_SW_SX_S14_S18_S1A_T6_T7_T9_mT8_S1C_bDpT10_ENKUlT_T0_E_clISt17integral_constantIbLb0EES1P_EEDaS1K_S1L_EUlS1K_E_NS1_11comp_targetILNS1_3genE0ELNS1_11target_archE4294967295ELNS1_3gpuE0ELNS1_3repE0EEENS1_30default_config_static_selectorELNS0_4arch9wavefront6targetE0EEEvSY_.uses_vcc, 0
	.set _ZN7rocprim17ROCPRIM_400000_NS6detail17trampoline_kernelINS0_13select_configILj256ELj13ELNS0_17block_load_methodE3ELS4_3ELS4_3ELNS0_20block_scan_algorithmE0ELj4294967295EEENS1_25partition_config_selectorILNS1_17partition_subalgoE3EjNS0_10empty_typeEbEEZZNS1_14partition_implILS8_3ELb0ES6_jNS0_17counting_iteratorIjlEEPS9_SE_NS0_5tupleIJPjSE_EEENSF_IJSE_SE_EEES9_SG_JZNS1_25segmented_radix_sort_implINS0_14default_configELb1EPKfPfPKlPlN2at6native12_GLOBAL__N_18offset_tEEE10hipError_tPvRmT1_PNSt15iterator_traitsISY_E10value_typeET2_T3_PNSZ_IS14_E10value_typeET4_jRbjT5_S1A_jjP12ihipStream_tbEUljE_EEESV_SW_SX_S14_S18_S1A_T6_T7_T9_mT8_S1C_bDpT10_ENKUlT_T0_E_clISt17integral_constantIbLb0EES1P_EEDaS1K_S1L_EUlS1K_E_NS1_11comp_targetILNS1_3genE0ELNS1_11target_archE4294967295ELNS1_3gpuE0ELNS1_3repE0EEENS1_30default_config_static_selectorELNS0_4arch9wavefront6targetE0EEEvSY_.uses_flat_scratch, 0
	.set _ZN7rocprim17ROCPRIM_400000_NS6detail17trampoline_kernelINS0_13select_configILj256ELj13ELNS0_17block_load_methodE3ELS4_3ELS4_3ELNS0_20block_scan_algorithmE0ELj4294967295EEENS1_25partition_config_selectorILNS1_17partition_subalgoE3EjNS0_10empty_typeEbEEZZNS1_14partition_implILS8_3ELb0ES6_jNS0_17counting_iteratorIjlEEPS9_SE_NS0_5tupleIJPjSE_EEENSF_IJSE_SE_EEES9_SG_JZNS1_25segmented_radix_sort_implINS0_14default_configELb1EPKfPfPKlPlN2at6native12_GLOBAL__N_18offset_tEEE10hipError_tPvRmT1_PNSt15iterator_traitsISY_E10value_typeET2_T3_PNSZ_IS14_E10value_typeET4_jRbjT5_S1A_jjP12ihipStream_tbEUljE_EEESV_SW_SX_S14_S18_S1A_T6_T7_T9_mT8_S1C_bDpT10_ENKUlT_T0_E_clISt17integral_constantIbLb0EES1P_EEDaS1K_S1L_EUlS1K_E_NS1_11comp_targetILNS1_3genE0ELNS1_11target_archE4294967295ELNS1_3gpuE0ELNS1_3repE0EEENS1_30default_config_static_selectorELNS0_4arch9wavefront6targetE0EEEvSY_.has_dyn_sized_stack, 0
	.set _ZN7rocprim17ROCPRIM_400000_NS6detail17trampoline_kernelINS0_13select_configILj256ELj13ELNS0_17block_load_methodE3ELS4_3ELS4_3ELNS0_20block_scan_algorithmE0ELj4294967295EEENS1_25partition_config_selectorILNS1_17partition_subalgoE3EjNS0_10empty_typeEbEEZZNS1_14partition_implILS8_3ELb0ES6_jNS0_17counting_iteratorIjlEEPS9_SE_NS0_5tupleIJPjSE_EEENSF_IJSE_SE_EEES9_SG_JZNS1_25segmented_radix_sort_implINS0_14default_configELb1EPKfPfPKlPlN2at6native12_GLOBAL__N_18offset_tEEE10hipError_tPvRmT1_PNSt15iterator_traitsISY_E10value_typeET2_T3_PNSZ_IS14_E10value_typeET4_jRbjT5_S1A_jjP12ihipStream_tbEUljE_EEESV_SW_SX_S14_S18_S1A_T6_T7_T9_mT8_S1C_bDpT10_ENKUlT_T0_E_clISt17integral_constantIbLb0EES1P_EEDaS1K_S1L_EUlS1K_E_NS1_11comp_targetILNS1_3genE0ELNS1_11target_archE4294967295ELNS1_3gpuE0ELNS1_3repE0EEENS1_30default_config_static_selectorELNS0_4arch9wavefront6targetE0EEEvSY_.has_recursion, 0
	.set _ZN7rocprim17ROCPRIM_400000_NS6detail17trampoline_kernelINS0_13select_configILj256ELj13ELNS0_17block_load_methodE3ELS4_3ELS4_3ELNS0_20block_scan_algorithmE0ELj4294967295EEENS1_25partition_config_selectorILNS1_17partition_subalgoE3EjNS0_10empty_typeEbEEZZNS1_14partition_implILS8_3ELb0ES6_jNS0_17counting_iteratorIjlEEPS9_SE_NS0_5tupleIJPjSE_EEENSF_IJSE_SE_EEES9_SG_JZNS1_25segmented_radix_sort_implINS0_14default_configELb1EPKfPfPKlPlN2at6native12_GLOBAL__N_18offset_tEEE10hipError_tPvRmT1_PNSt15iterator_traitsISY_E10value_typeET2_T3_PNSZ_IS14_E10value_typeET4_jRbjT5_S1A_jjP12ihipStream_tbEUljE_EEESV_SW_SX_S14_S18_S1A_T6_T7_T9_mT8_S1C_bDpT10_ENKUlT_T0_E_clISt17integral_constantIbLb0EES1P_EEDaS1K_S1L_EUlS1K_E_NS1_11comp_targetILNS1_3genE0ELNS1_11target_archE4294967295ELNS1_3gpuE0ELNS1_3repE0EEENS1_30default_config_static_selectorELNS0_4arch9wavefront6targetE0EEEvSY_.has_indirect_call, 0
	.section	.AMDGPU.csdata,"",@progbits
; Kernel info:
; codeLenInByte = 0
; TotalNumSgprs: 0
; NumVgprs: 0
; ScratchSize: 0
; MemoryBound: 0
; FloatMode: 240
; IeeeMode: 1
; LDSByteSize: 0 bytes/workgroup (compile time only)
; SGPRBlocks: 0
; VGPRBlocks: 0
; NumSGPRsForWavesPerEU: 1
; NumVGPRsForWavesPerEU: 1
; Occupancy: 16
; WaveLimiterHint : 0
; COMPUTE_PGM_RSRC2:SCRATCH_EN: 0
; COMPUTE_PGM_RSRC2:USER_SGPR: 6
; COMPUTE_PGM_RSRC2:TRAP_HANDLER: 0
; COMPUTE_PGM_RSRC2:TGID_X_EN: 1
; COMPUTE_PGM_RSRC2:TGID_Y_EN: 0
; COMPUTE_PGM_RSRC2:TGID_Z_EN: 0
; COMPUTE_PGM_RSRC2:TIDIG_COMP_CNT: 0
	.section	.text._ZN7rocprim17ROCPRIM_400000_NS6detail17trampoline_kernelINS0_13select_configILj256ELj13ELNS0_17block_load_methodE3ELS4_3ELS4_3ELNS0_20block_scan_algorithmE0ELj4294967295EEENS1_25partition_config_selectorILNS1_17partition_subalgoE3EjNS0_10empty_typeEbEEZZNS1_14partition_implILS8_3ELb0ES6_jNS0_17counting_iteratorIjlEEPS9_SE_NS0_5tupleIJPjSE_EEENSF_IJSE_SE_EEES9_SG_JZNS1_25segmented_radix_sort_implINS0_14default_configELb1EPKfPfPKlPlN2at6native12_GLOBAL__N_18offset_tEEE10hipError_tPvRmT1_PNSt15iterator_traitsISY_E10value_typeET2_T3_PNSZ_IS14_E10value_typeET4_jRbjT5_S1A_jjP12ihipStream_tbEUljE_EEESV_SW_SX_S14_S18_S1A_T6_T7_T9_mT8_S1C_bDpT10_ENKUlT_T0_E_clISt17integral_constantIbLb0EES1P_EEDaS1K_S1L_EUlS1K_E_NS1_11comp_targetILNS1_3genE5ELNS1_11target_archE942ELNS1_3gpuE9ELNS1_3repE0EEENS1_30default_config_static_selectorELNS0_4arch9wavefront6targetE0EEEvSY_,"axG",@progbits,_ZN7rocprim17ROCPRIM_400000_NS6detail17trampoline_kernelINS0_13select_configILj256ELj13ELNS0_17block_load_methodE3ELS4_3ELS4_3ELNS0_20block_scan_algorithmE0ELj4294967295EEENS1_25partition_config_selectorILNS1_17partition_subalgoE3EjNS0_10empty_typeEbEEZZNS1_14partition_implILS8_3ELb0ES6_jNS0_17counting_iteratorIjlEEPS9_SE_NS0_5tupleIJPjSE_EEENSF_IJSE_SE_EEES9_SG_JZNS1_25segmented_radix_sort_implINS0_14default_configELb1EPKfPfPKlPlN2at6native12_GLOBAL__N_18offset_tEEE10hipError_tPvRmT1_PNSt15iterator_traitsISY_E10value_typeET2_T3_PNSZ_IS14_E10value_typeET4_jRbjT5_S1A_jjP12ihipStream_tbEUljE_EEESV_SW_SX_S14_S18_S1A_T6_T7_T9_mT8_S1C_bDpT10_ENKUlT_T0_E_clISt17integral_constantIbLb0EES1P_EEDaS1K_S1L_EUlS1K_E_NS1_11comp_targetILNS1_3genE5ELNS1_11target_archE942ELNS1_3gpuE9ELNS1_3repE0EEENS1_30default_config_static_selectorELNS0_4arch9wavefront6targetE0EEEvSY_,comdat
	.globl	_ZN7rocprim17ROCPRIM_400000_NS6detail17trampoline_kernelINS0_13select_configILj256ELj13ELNS0_17block_load_methodE3ELS4_3ELS4_3ELNS0_20block_scan_algorithmE0ELj4294967295EEENS1_25partition_config_selectorILNS1_17partition_subalgoE3EjNS0_10empty_typeEbEEZZNS1_14partition_implILS8_3ELb0ES6_jNS0_17counting_iteratorIjlEEPS9_SE_NS0_5tupleIJPjSE_EEENSF_IJSE_SE_EEES9_SG_JZNS1_25segmented_radix_sort_implINS0_14default_configELb1EPKfPfPKlPlN2at6native12_GLOBAL__N_18offset_tEEE10hipError_tPvRmT1_PNSt15iterator_traitsISY_E10value_typeET2_T3_PNSZ_IS14_E10value_typeET4_jRbjT5_S1A_jjP12ihipStream_tbEUljE_EEESV_SW_SX_S14_S18_S1A_T6_T7_T9_mT8_S1C_bDpT10_ENKUlT_T0_E_clISt17integral_constantIbLb0EES1P_EEDaS1K_S1L_EUlS1K_E_NS1_11comp_targetILNS1_3genE5ELNS1_11target_archE942ELNS1_3gpuE9ELNS1_3repE0EEENS1_30default_config_static_selectorELNS0_4arch9wavefront6targetE0EEEvSY_ ; -- Begin function _ZN7rocprim17ROCPRIM_400000_NS6detail17trampoline_kernelINS0_13select_configILj256ELj13ELNS0_17block_load_methodE3ELS4_3ELS4_3ELNS0_20block_scan_algorithmE0ELj4294967295EEENS1_25partition_config_selectorILNS1_17partition_subalgoE3EjNS0_10empty_typeEbEEZZNS1_14partition_implILS8_3ELb0ES6_jNS0_17counting_iteratorIjlEEPS9_SE_NS0_5tupleIJPjSE_EEENSF_IJSE_SE_EEES9_SG_JZNS1_25segmented_radix_sort_implINS0_14default_configELb1EPKfPfPKlPlN2at6native12_GLOBAL__N_18offset_tEEE10hipError_tPvRmT1_PNSt15iterator_traitsISY_E10value_typeET2_T3_PNSZ_IS14_E10value_typeET4_jRbjT5_S1A_jjP12ihipStream_tbEUljE_EEESV_SW_SX_S14_S18_S1A_T6_T7_T9_mT8_S1C_bDpT10_ENKUlT_T0_E_clISt17integral_constantIbLb0EES1P_EEDaS1K_S1L_EUlS1K_E_NS1_11comp_targetILNS1_3genE5ELNS1_11target_archE942ELNS1_3gpuE9ELNS1_3repE0EEENS1_30default_config_static_selectorELNS0_4arch9wavefront6targetE0EEEvSY_
	.p2align	8
	.type	_ZN7rocprim17ROCPRIM_400000_NS6detail17trampoline_kernelINS0_13select_configILj256ELj13ELNS0_17block_load_methodE3ELS4_3ELS4_3ELNS0_20block_scan_algorithmE0ELj4294967295EEENS1_25partition_config_selectorILNS1_17partition_subalgoE3EjNS0_10empty_typeEbEEZZNS1_14partition_implILS8_3ELb0ES6_jNS0_17counting_iteratorIjlEEPS9_SE_NS0_5tupleIJPjSE_EEENSF_IJSE_SE_EEES9_SG_JZNS1_25segmented_radix_sort_implINS0_14default_configELb1EPKfPfPKlPlN2at6native12_GLOBAL__N_18offset_tEEE10hipError_tPvRmT1_PNSt15iterator_traitsISY_E10value_typeET2_T3_PNSZ_IS14_E10value_typeET4_jRbjT5_S1A_jjP12ihipStream_tbEUljE_EEESV_SW_SX_S14_S18_S1A_T6_T7_T9_mT8_S1C_bDpT10_ENKUlT_T0_E_clISt17integral_constantIbLb0EES1P_EEDaS1K_S1L_EUlS1K_E_NS1_11comp_targetILNS1_3genE5ELNS1_11target_archE942ELNS1_3gpuE9ELNS1_3repE0EEENS1_30default_config_static_selectorELNS0_4arch9wavefront6targetE0EEEvSY_,@function
_ZN7rocprim17ROCPRIM_400000_NS6detail17trampoline_kernelINS0_13select_configILj256ELj13ELNS0_17block_load_methodE3ELS4_3ELS4_3ELNS0_20block_scan_algorithmE0ELj4294967295EEENS1_25partition_config_selectorILNS1_17partition_subalgoE3EjNS0_10empty_typeEbEEZZNS1_14partition_implILS8_3ELb0ES6_jNS0_17counting_iteratorIjlEEPS9_SE_NS0_5tupleIJPjSE_EEENSF_IJSE_SE_EEES9_SG_JZNS1_25segmented_radix_sort_implINS0_14default_configELb1EPKfPfPKlPlN2at6native12_GLOBAL__N_18offset_tEEE10hipError_tPvRmT1_PNSt15iterator_traitsISY_E10value_typeET2_T3_PNSZ_IS14_E10value_typeET4_jRbjT5_S1A_jjP12ihipStream_tbEUljE_EEESV_SW_SX_S14_S18_S1A_T6_T7_T9_mT8_S1C_bDpT10_ENKUlT_T0_E_clISt17integral_constantIbLb0EES1P_EEDaS1K_S1L_EUlS1K_E_NS1_11comp_targetILNS1_3genE5ELNS1_11target_archE942ELNS1_3gpuE9ELNS1_3repE0EEENS1_30default_config_static_selectorELNS0_4arch9wavefront6targetE0EEEvSY_: ; @_ZN7rocprim17ROCPRIM_400000_NS6detail17trampoline_kernelINS0_13select_configILj256ELj13ELNS0_17block_load_methodE3ELS4_3ELS4_3ELNS0_20block_scan_algorithmE0ELj4294967295EEENS1_25partition_config_selectorILNS1_17partition_subalgoE3EjNS0_10empty_typeEbEEZZNS1_14partition_implILS8_3ELb0ES6_jNS0_17counting_iteratorIjlEEPS9_SE_NS0_5tupleIJPjSE_EEENSF_IJSE_SE_EEES9_SG_JZNS1_25segmented_radix_sort_implINS0_14default_configELb1EPKfPfPKlPlN2at6native12_GLOBAL__N_18offset_tEEE10hipError_tPvRmT1_PNSt15iterator_traitsISY_E10value_typeET2_T3_PNSZ_IS14_E10value_typeET4_jRbjT5_S1A_jjP12ihipStream_tbEUljE_EEESV_SW_SX_S14_S18_S1A_T6_T7_T9_mT8_S1C_bDpT10_ENKUlT_T0_E_clISt17integral_constantIbLb0EES1P_EEDaS1K_S1L_EUlS1K_E_NS1_11comp_targetILNS1_3genE5ELNS1_11target_archE942ELNS1_3gpuE9ELNS1_3repE0EEENS1_30default_config_static_selectorELNS0_4arch9wavefront6targetE0EEEvSY_
; %bb.0:
	.section	.rodata,"a",@progbits
	.p2align	6, 0x0
	.amdhsa_kernel _ZN7rocprim17ROCPRIM_400000_NS6detail17trampoline_kernelINS0_13select_configILj256ELj13ELNS0_17block_load_methodE3ELS4_3ELS4_3ELNS0_20block_scan_algorithmE0ELj4294967295EEENS1_25partition_config_selectorILNS1_17partition_subalgoE3EjNS0_10empty_typeEbEEZZNS1_14partition_implILS8_3ELb0ES6_jNS0_17counting_iteratorIjlEEPS9_SE_NS0_5tupleIJPjSE_EEENSF_IJSE_SE_EEES9_SG_JZNS1_25segmented_radix_sort_implINS0_14default_configELb1EPKfPfPKlPlN2at6native12_GLOBAL__N_18offset_tEEE10hipError_tPvRmT1_PNSt15iterator_traitsISY_E10value_typeET2_T3_PNSZ_IS14_E10value_typeET4_jRbjT5_S1A_jjP12ihipStream_tbEUljE_EEESV_SW_SX_S14_S18_S1A_T6_T7_T9_mT8_S1C_bDpT10_ENKUlT_T0_E_clISt17integral_constantIbLb0EES1P_EEDaS1K_S1L_EUlS1K_E_NS1_11comp_targetILNS1_3genE5ELNS1_11target_archE942ELNS1_3gpuE9ELNS1_3repE0EEENS1_30default_config_static_selectorELNS0_4arch9wavefront6targetE0EEEvSY_
		.amdhsa_group_segment_fixed_size 0
		.amdhsa_private_segment_fixed_size 0
		.amdhsa_kernarg_size 144
		.amdhsa_user_sgpr_count 6
		.amdhsa_user_sgpr_private_segment_buffer 1
		.amdhsa_user_sgpr_dispatch_ptr 0
		.amdhsa_user_sgpr_queue_ptr 0
		.amdhsa_user_sgpr_kernarg_segment_ptr 1
		.amdhsa_user_sgpr_dispatch_id 0
		.amdhsa_user_sgpr_flat_scratch_init 0
		.amdhsa_user_sgpr_private_segment_size 0
		.amdhsa_wavefront_size32 1
		.amdhsa_uses_dynamic_stack 0
		.amdhsa_system_sgpr_private_segment_wavefront_offset 0
		.amdhsa_system_sgpr_workgroup_id_x 1
		.amdhsa_system_sgpr_workgroup_id_y 0
		.amdhsa_system_sgpr_workgroup_id_z 0
		.amdhsa_system_sgpr_workgroup_info 0
		.amdhsa_system_vgpr_workitem_id 0
		.amdhsa_next_free_vgpr 1
		.amdhsa_next_free_sgpr 1
		.amdhsa_reserve_vcc 0
		.amdhsa_reserve_flat_scratch 0
		.amdhsa_float_round_mode_32 0
		.amdhsa_float_round_mode_16_64 0
		.amdhsa_float_denorm_mode_32 3
		.amdhsa_float_denorm_mode_16_64 3
		.amdhsa_dx10_clamp 1
		.amdhsa_ieee_mode 1
		.amdhsa_fp16_overflow 0
		.amdhsa_workgroup_processor_mode 1
		.amdhsa_memory_ordered 1
		.amdhsa_forward_progress 1
		.amdhsa_shared_vgpr_count 0
		.amdhsa_exception_fp_ieee_invalid_op 0
		.amdhsa_exception_fp_denorm_src 0
		.amdhsa_exception_fp_ieee_div_zero 0
		.amdhsa_exception_fp_ieee_overflow 0
		.amdhsa_exception_fp_ieee_underflow 0
		.amdhsa_exception_fp_ieee_inexact 0
		.amdhsa_exception_int_div_zero 0
	.end_amdhsa_kernel
	.section	.text._ZN7rocprim17ROCPRIM_400000_NS6detail17trampoline_kernelINS0_13select_configILj256ELj13ELNS0_17block_load_methodE3ELS4_3ELS4_3ELNS0_20block_scan_algorithmE0ELj4294967295EEENS1_25partition_config_selectorILNS1_17partition_subalgoE3EjNS0_10empty_typeEbEEZZNS1_14partition_implILS8_3ELb0ES6_jNS0_17counting_iteratorIjlEEPS9_SE_NS0_5tupleIJPjSE_EEENSF_IJSE_SE_EEES9_SG_JZNS1_25segmented_radix_sort_implINS0_14default_configELb1EPKfPfPKlPlN2at6native12_GLOBAL__N_18offset_tEEE10hipError_tPvRmT1_PNSt15iterator_traitsISY_E10value_typeET2_T3_PNSZ_IS14_E10value_typeET4_jRbjT5_S1A_jjP12ihipStream_tbEUljE_EEESV_SW_SX_S14_S18_S1A_T6_T7_T9_mT8_S1C_bDpT10_ENKUlT_T0_E_clISt17integral_constantIbLb0EES1P_EEDaS1K_S1L_EUlS1K_E_NS1_11comp_targetILNS1_3genE5ELNS1_11target_archE942ELNS1_3gpuE9ELNS1_3repE0EEENS1_30default_config_static_selectorELNS0_4arch9wavefront6targetE0EEEvSY_,"axG",@progbits,_ZN7rocprim17ROCPRIM_400000_NS6detail17trampoline_kernelINS0_13select_configILj256ELj13ELNS0_17block_load_methodE3ELS4_3ELS4_3ELNS0_20block_scan_algorithmE0ELj4294967295EEENS1_25partition_config_selectorILNS1_17partition_subalgoE3EjNS0_10empty_typeEbEEZZNS1_14partition_implILS8_3ELb0ES6_jNS0_17counting_iteratorIjlEEPS9_SE_NS0_5tupleIJPjSE_EEENSF_IJSE_SE_EEES9_SG_JZNS1_25segmented_radix_sort_implINS0_14default_configELb1EPKfPfPKlPlN2at6native12_GLOBAL__N_18offset_tEEE10hipError_tPvRmT1_PNSt15iterator_traitsISY_E10value_typeET2_T3_PNSZ_IS14_E10value_typeET4_jRbjT5_S1A_jjP12ihipStream_tbEUljE_EEESV_SW_SX_S14_S18_S1A_T6_T7_T9_mT8_S1C_bDpT10_ENKUlT_T0_E_clISt17integral_constantIbLb0EES1P_EEDaS1K_S1L_EUlS1K_E_NS1_11comp_targetILNS1_3genE5ELNS1_11target_archE942ELNS1_3gpuE9ELNS1_3repE0EEENS1_30default_config_static_selectorELNS0_4arch9wavefront6targetE0EEEvSY_,comdat
.Lfunc_end1286:
	.size	_ZN7rocprim17ROCPRIM_400000_NS6detail17trampoline_kernelINS0_13select_configILj256ELj13ELNS0_17block_load_methodE3ELS4_3ELS4_3ELNS0_20block_scan_algorithmE0ELj4294967295EEENS1_25partition_config_selectorILNS1_17partition_subalgoE3EjNS0_10empty_typeEbEEZZNS1_14partition_implILS8_3ELb0ES6_jNS0_17counting_iteratorIjlEEPS9_SE_NS0_5tupleIJPjSE_EEENSF_IJSE_SE_EEES9_SG_JZNS1_25segmented_radix_sort_implINS0_14default_configELb1EPKfPfPKlPlN2at6native12_GLOBAL__N_18offset_tEEE10hipError_tPvRmT1_PNSt15iterator_traitsISY_E10value_typeET2_T3_PNSZ_IS14_E10value_typeET4_jRbjT5_S1A_jjP12ihipStream_tbEUljE_EEESV_SW_SX_S14_S18_S1A_T6_T7_T9_mT8_S1C_bDpT10_ENKUlT_T0_E_clISt17integral_constantIbLb0EES1P_EEDaS1K_S1L_EUlS1K_E_NS1_11comp_targetILNS1_3genE5ELNS1_11target_archE942ELNS1_3gpuE9ELNS1_3repE0EEENS1_30default_config_static_selectorELNS0_4arch9wavefront6targetE0EEEvSY_, .Lfunc_end1286-_ZN7rocprim17ROCPRIM_400000_NS6detail17trampoline_kernelINS0_13select_configILj256ELj13ELNS0_17block_load_methodE3ELS4_3ELS4_3ELNS0_20block_scan_algorithmE0ELj4294967295EEENS1_25partition_config_selectorILNS1_17partition_subalgoE3EjNS0_10empty_typeEbEEZZNS1_14partition_implILS8_3ELb0ES6_jNS0_17counting_iteratorIjlEEPS9_SE_NS0_5tupleIJPjSE_EEENSF_IJSE_SE_EEES9_SG_JZNS1_25segmented_radix_sort_implINS0_14default_configELb1EPKfPfPKlPlN2at6native12_GLOBAL__N_18offset_tEEE10hipError_tPvRmT1_PNSt15iterator_traitsISY_E10value_typeET2_T3_PNSZ_IS14_E10value_typeET4_jRbjT5_S1A_jjP12ihipStream_tbEUljE_EEESV_SW_SX_S14_S18_S1A_T6_T7_T9_mT8_S1C_bDpT10_ENKUlT_T0_E_clISt17integral_constantIbLb0EES1P_EEDaS1K_S1L_EUlS1K_E_NS1_11comp_targetILNS1_3genE5ELNS1_11target_archE942ELNS1_3gpuE9ELNS1_3repE0EEENS1_30default_config_static_selectorELNS0_4arch9wavefront6targetE0EEEvSY_
                                        ; -- End function
	.set _ZN7rocprim17ROCPRIM_400000_NS6detail17trampoline_kernelINS0_13select_configILj256ELj13ELNS0_17block_load_methodE3ELS4_3ELS4_3ELNS0_20block_scan_algorithmE0ELj4294967295EEENS1_25partition_config_selectorILNS1_17partition_subalgoE3EjNS0_10empty_typeEbEEZZNS1_14partition_implILS8_3ELb0ES6_jNS0_17counting_iteratorIjlEEPS9_SE_NS0_5tupleIJPjSE_EEENSF_IJSE_SE_EEES9_SG_JZNS1_25segmented_radix_sort_implINS0_14default_configELb1EPKfPfPKlPlN2at6native12_GLOBAL__N_18offset_tEEE10hipError_tPvRmT1_PNSt15iterator_traitsISY_E10value_typeET2_T3_PNSZ_IS14_E10value_typeET4_jRbjT5_S1A_jjP12ihipStream_tbEUljE_EEESV_SW_SX_S14_S18_S1A_T6_T7_T9_mT8_S1C_bDpT10_ENKUlT_T0_E_clISt17integral_constantIbLb0EES1P_EEDaS1K_S1L_EUlS1K_E_NS1_11comp_targetILNS1_3genE5ELNS1_11target_archE942ELNS1_3gpuE9ELNS1_3repE0EEENS1_30default_config_static_selectorELNS0_4arch9wavefront6targetE0EEEvSY_.num_vgpr, 0
	.set _ZN7rocprim17ROCPRIM_400000_NS6detail17trampoline_kernelINS0_13select_configILj256ELj13ELNS0_17block_load_methodE3ELS4_3ELS4_3ELNS0_20block_scan_algorithmE0ELj4294967295EEENS1_25partition_config_selectorILNS1_17partition_subalgoE3EjNS0_10empty_typeEbEEZZNS1_14partition_implILS8_3ELb0ES6_jNS0_17counting_iteratorIjlEEPS9_SE_NS0_5tupleIJPjSE_EEENSF_IJSE_SE_EEES9_SG_JZNS1_25segmented_radix_sort_implINS0_14default_configELb1EPKfPfPKlPlN2at6native12_GLOBAL__N_18offset_tEEE10hipError_tPvRmT1_PNSt15iterator_traitsISY_E10value_typeET2_T3_PNSZ_IS14_E10value_typeET4_jRbjT5_S1A_jjP12ihipStream_tbEUljE_EEESV_SW_SX_S14_S18_S1A_T6_T7_T9_mT8_S1C_bDpT10_ENKUlT_T0_E_clISt17integral_constantIbLb0EES1P_EEDaS1K_S1L_EUlS1K_E_NS1_11comp_targetILNS1_3genE5ELNS1_11target_archE942ELNS1_3gpuE9ELNS1_3repE0EEENS1_30default_config_static_selectorELNS0_4arch9wavefront6targetE0EEEvSY_.num_agpr, 0
	.set _ZN7rocprim17ROCPRIM_400000_NS6detail17trampoline_kernelINS0_13select_configILj256ELj13ELNS0_17block_load_methodE3ELS4_3ELS4_3ELNS0_20block_scan_algorithmE0ELj4294967295EEENS1_25partition_config_selectorILNS1_17partition_subalgoE3EjNS0_10empty_typeEbEEZZNS1_14partition_implILS8_3ELb0ES6_jNS0_17counting_iteratorIjlEEPS9_SE_NS0_5tupleIJPjSE_EEENSF_IJSE_SE_EEES9_SG_JZNS1_25segmented_radix_sort_implINS0_14default_configELb1EPKfPfPKlPlN2at6native12_GLOBAL__N_18offset_tEEE10hipError_tPvRmT1_PNSt15iterator_traitsISY_E10value_typeET2_T3_PNSZ_IS14_E10value_typeET4_jRbjT5_S1A_jjP12ihipStream_tbEUljE_EEESV_SW_SX_S14_S18_S1A_T6_T7_T9_mT8_S1C_bDpT10_ENKUlT_T0_E_clISt17integral_constantIbLb0EES1P_EEDaS1K_S1L_EUlS1K_E_NS1_11comp_targetILNS1_3genE5ELNS1_11target_archE942ELNS1_3gpuE9ELNS1_3repE0EEENS1_30default_config_static_selectorELNS0_4arch9wavefront6targetE0EEEvSY_.numbered_sgpr, 0
	.set _ZN7rocprim17ROCPRIM_400000_NS6detail17trampoline_kernelINS0_13select_configILj256ELj13ELNS0_17block_load_methodE3ELS4_3ELS4_3ELNS0_20block_scan_algorithmE0ELj4294967295EEENS1_25partition_config_selectorILNS1_17partition_subalgoE3EjNS0_10empty_typeEbEEZZNS1_14partition_implILS8_3ELb0ES6_jNS0_17counting_iteratorIjlEEPS9_SE_NS0_5tupleIJPjSE_EEENSF_IJSE_SE_EEES9_SG_JZNS1_25segmented_radix_sort_implINS0_14default_configELb1EPKfPfPKlPlN2at6native12_GLOBAL__N_18offset_tEEE10hipError_tPvRmT1_PNSt15iterator_traitsISY_E10value_typeET2_T3_PNSZ_IS14_E10value_typeET4_jRbjT5_S1A_jjP12ihipStream_tbEUljE_EEESV_SW_SX_S14_S18_S1A_T6_T7_T9_mT8_S1C_bDpT10_ENKUlT_T0_E_clISt17integral_constantIbLb0EES1P_EEDaS1K_S1L_EUlS1K_E_NS1_11comp_targetILNS1_3genE5ELNS1_11target_archE942ELNS1_3gpuE9ELNS1_3repE0EEENS1_30default_config_static_selectorELNS0_4arch9wavefront6targetE0EEEvSY_.num_named_barrier, 0
	.set _ZN7rocprim17ROCPRIM_400000_NS6detail17trampoline_kernelINS0_13select_configILj256ELj13ELNS0_17block_load_methodE3ELS4_3ELS4_3ELNS0_20block_scan_algorithmE0ELj4294967295EEENS1_25partition_config_selectorILNS1_17partition_subalgoE3EjNS0_10empty_typeEbEEZZNS1_14partition_implILS8_3ELb0ES6_jNS0_17counting_iteratorIjlEEPS9_SE_NS0_5tupleIJPjSE_EEENSF_IJSE_SE_EEES9_SG_JZNS1_25segmented_radix_sort_implINS0_14default_configELb1EPKfPfPKlPlN2at6native12_GLOBAL__N_18offset_tEEE10hipError_tPvRmT1_PNSt15iterator_traitsISY_E10value_typeET2_T3_PNSZ_IS14_E10value_typeET4_jRbjT5_S1A_jjP12ihipStream_tbEUljE_EEESV_SW_SX_S14_S18_S1A_T6_T7_T9_mT8_S1C_bDpT10_ENKUlT_T0_E_clISt17integral_constantIbLb0EES1P_EEDaS1K_S1L_EUlS1K_E_NS1_11comp_targetILNS1_3genE5ELNS1_11target_archE942ELNS1_3gpuE9ELNS1_3repE0EEENS1_30default_config_static_selectorELNS0_4arch9wavefront6targetE0EEEvSY_.private_seg_size, 0
	.set _ZN7rocprim17ROCPRIM_400000_NS6detail17trampoline_kernelINS0_13select_configILj256ELj13ELNS0_17block_load_methodE3ELS4_3ELS4_3ELNS0_20block_scan_algorithmE0ELj4294967295EEENS1_25partition_config_selectorILNS1_17partition_subalgoE3EjNS0_10empty_typeEbEEZZNS1_14partition_implILS8_3ELb0ES6_jNS0_17counting_iteratorIjlEEPS9_SE_NS0_5tupleIJPjSE_EEENSF_IJSE_SE_EEES9_SG_JZNS1_25segmented_radix_sort_implINS0_14default_configELb1EPKfPfPKlPlN2at6native12_GLOBAL__N_18offset_tEEE10hipError_tPvRmT1_PNSt15iterator_traitsISY_E10value_typeET2_T3_PNSZ_IS14_E10value_typeET4_jRbjT5_S1A_jjP12ihipStream_tbEUljE_EEESV_SW_SX_S14_S18_S1A_T6_T7_T9_mT8_S1C_bDpT10_ENKUlT_T0_E_clISt17integral_constantIbLb0EES1P_EEDaS1K_S1L_EUlS1K_E_NS1_11comp_targetILNS1_3genE5ELNS1_11target_archE942ELNS1_3gpuE9ELNS1_3repE0EEENS1_30default_config_static_selectorELNS0_4arch9wavefront6targetE0EEEvSY_.uses_vcc, 0
	.set _ZN7rocprim17ROCPRIM_400000_NS6detail17trampoline_kernelINS0_13select_configILj256ELj13ELNS0_17block_load_methodE3ELS4_3ELS4_3ELNS0_20block_scan_algorithmE0ELj4294967295EEENS1_25partition_config_selectorILNS1_17partition_subalgoE3EjNS0_10empty_typeEbEEZZNS1_14partition_implILS8_3ELb0ES6_jNS0_17counting_iteratorIjlEEPS9_SE_NS0_5tupleIJPjSE_EEENSF_IJSE_SE_EEES9_SG_JZNS1_25segmented_radix_sort_implINS0_14default_configELb1EPKfPfPKlPlN2at6native12_GLOBAL__N_18offset_tEEE10hipError_tPvRmT1_PNSt15iterator_traitsISY_E10value_typeET2_T3_PNSZ_IS14_E10value_typeET4_jRbjT5_S1A_jjP12ihipStream_tbEUljE_EEESV_SW_SX_S14_S18_S1A_T6_T7_T9_mT8_S1C_bDpT10_ENKUlT_T0_E_clISt17integral_constantIbLb0EES1P_EEDaS1K_S1L_EUlS1K_E_NS1_11comp_targetILNS1_3genE5ELNS1_11target_archE942ELNS1_3gpuE9ELNS1_3repE0EEENS1_30default_config_static_selectorELNS0_4arch9wavefront6targetE0EEEvSY_.uses_flat_scratch, 0
	.set _ZN7rocprim17ROCPRIM_400000_NS6detail17trampoline_kernelINS0_13select_configILj256ELj13ELNS0_17block_load_methodE3ELS4_3ELS4_3ELNS0_20block_scan_algorithmE0ELj4294967295EEENS1_25partition_config_selectorILNS1_17partition_subalgoE3EjNS0_10empty_typeEbEEZZNS1_14partition_implILS8_3ELb0ES6_jNS0_17counting_iteratorIjlEEPS9_SE_NS0_5tupleIJPjSE_EEENSF_IJSE_SE_EEES9_SG_JZNS1_25segmented_radix_sort_implINS0_14default_configELb1EPKfPfPKlPlN2at6native12_GLOBAL__N_18offset_tEEE10hipError_tPvRmT1_PNSt15iterator_traitsISY_E10value_typeET2_T3_PNSZ_IS14_E10value_typeET4_jRbjT5_S1A_jjP12ihipStream_tbEUljE_EEESV_SW_SX_S14_S18_S1A_T6_T7_T9_mT8_S1C_bDpT10_ENKUlT_T0_E_clISt17integral_constantIbLb0EES1P_EEDaS1K_S1L_EUlS1K_E_NS1_11comp_targetILNS1_3genE5ELNS1_11target_archE942ELNS1_3gpuE9ELNS1_3repE0EEENS1_30default_config_static_selectorELNS0_4arch9wavefront6targetE0EEEvSY_.has_dyn_sized_stack, 0
	.set _ZN7rocprim17ROCPRIM_400000_NS6detail17trampoline_kernelINS0_13select_configILj256ELj13ELNS0_17block_load_methodE3ELS4_3ELS4_3ELNS0_20block_scan_algorithmE0ELj4294967295EEENS1_25partition_config_selectorILNS1_17partition_subalgoE3EjNS0_10empty_typeEbEEZZNS1_14partition_implILS8_3ELb0ES6_jNS0_17counting_iteratorIjlEEPS9_SE_NS0_5tupleIJPjSE_EEENSF_IJSE_SE_EEES9_SG_JZNS1_25segmented_radix_sort_implINS0_14default_configELb1EPKfPfPKlPlN2at6native12_GLOBAL__N_18offset_tEEE10hipError_tPvRmT1_PNSt15iterator_traitsISY_E10value_typeET2_T3_PNSZ_IS14_E10value_typeET4_jRbjT5_S1A_jjP12ihipStream_tbEUljE_EEESV_SW_SX_S14_S18_S1A_T6_T7_T9_mT8_S1C_bDpT10_ENKUlT_T0_E_clISt17integral_constantIbLb0EES1P_EEDaS1K_S1L_EUlS1K_E_NS1_11comp_targetILNS1_3genE5ELNS1_11target_archE942ELNS1_3gpuE9ELNS1_3repE0EEENS1_30default_config_static_selectorELNS0_4arch9wavefront6targetE0EEEvSY_.has_recursion, 0
	.set _ZN7rocprim17ROCPRIM_400000_NS6detail17trampoline_kernelINS0_13select_configILj256ELj13ELNS0_17block_load_methodE3ELS4_3ELS4_3ELNS0_20block_scan_algorithmE0ELj4294967295EEENS1_25partition_config_selectorILNS1_17partition_subalgoE3EjNS0_10empty_typeEbEEZZNS1_14partition_implILS8_3ELb0ES6_jNS0_17counting_iteratorIjlEEPS9_SE_NS0_5tupleIJPjSE_EEENSF_IJSE_SE_EEES9_SG_JZNS1_25segmented_radix_sort_implINS0_14default_configELb1EPKfPfPKlPlN2at6native12_GLOBAL__N_18offset_tEEE10hipError_tPvRmT1_PNSt15iterator_traitsISY_E10value_typeET2_T3_PNSZ_IS14_E10value_typeET4_jRbjT5_S1A_jjP12ihipStream_tbEUljE_EEESV_SW_SX_S14_S18_S1A_T6_T7_T9_mT8_S1C_bDpT10_ENKUlT_T0_E_clISt17integral_constantIbLb0EES1P_EEDaS1K_S1L_EUlS1K_E_NS1_11comp_targetILNS1_3genE5ELNS1_11target_archE942ELNS1_3gpuE9ELNS1_3repE0EEENS1_30default_config_static_selectorELNS0_4arch9wavefront6targetE0EEEvSY_.has_indirect_call, 0
	.section	.AMDGPU.csdata,"",@progbits
; Kernel info:
; codeLenInByte = 0
; TotalNumSgprs: 0
; NumVgprs: 0
; ScratchSize: 0
; MemoryBound: 0
; FloatMode: 240
; IeeeMode: 1
; LDSByteSize: 0 bytes/workgroup (compile time only)
; SGPRBlocks: 0
; VGPRBlocks: 0
; NumSGPRsForWavesPerEU: 1
; NumVGPRsForWavesPerEU: 1
; Occupancy: 16
; WaveLimiterHint : 0
; COMPUTE_PGM_RSRC2:SCRATCH_EN: 0
; COMPUTE_PGM_RSRC2:USER_SGPR: 6
; COMPUTE_PGM_RSRC2:TRAP_HANDLER: 0
; COMPUTE_PGM_RSRC2:TGID_X_EN: 1
; COMPUTE_PGM_RSRC2:TGID_Y_EN: 0
; COMPUTE_PGM_RSRC2:TGID_Z_EN: 0
; COMPUTE_PGM_RSRC2:TIDIG_COMP_CNT: 0
	.section	.text._ZN7rocprim17ROCPRIM_400000_NS6detail17trampoline_kernelINS0_13select_configILj256ELj13ELNS0_17block_load_methodE3ELS4_3ELS4_3ELNS0_20block_scan_algorithmE0ELj4294967295EEENS1_25partition_config_selectorILNS1_17partition_subalgoE3EjNS0_10empty_typeEbEEZZNS1_14partition_implILS8_3ELb0ES6_jNS0_17counting_iteratorIjlEEPS9_SE_NS0_5tupleIJPjSE_EEENSF_IJSE_SE_EEES9_SG_JZNS1_25segmented_radix_sort_implINS0_14default_configELb1EPKfPfPKlPlN2at6native12_GLOBAL__N_18offset_tEEE10hipError_tPvRmT1_PNSt15iterator_traitsISY_E10value_typeET2_T3_PNSZ_IS14_E10value_typeET4_jRbjT5_S1A_jjP12ihipStream_tbEUljE_EEESV_SW_SX_S14_S18_S1A_T6_T7_T9_mT8_S1C_bDpT10_ENKUlT_T0_E_clISt17integral_constantIbLb0EES1P_EEDaS1K_S1L_EUlS1K_E_NS1_11comp_targetILNS1_3genE4ELNS1_11target_archE910ELNS1_3gpuE8ELNS1_3repE0EEENS1_30default_config_static_selectorELNS0_4arch9wavefront6targetE0EEEvSY_,"axG",@progbits,_ZN7rocprim17ROCPRIM_400000_NS6detail17trampoline_kernelINS0_13select_configILj256ELj13ELNS0_17block_load_methodE3ELS4_3ELS4_3ELNS0_20block_scan_algorithmE0ELj4294967295EEENS1_25partition_config_selectorILNS1_17partition_subalgoE3EjNS0_10empty_typeEbEEZZNS1_14partition_implILS8_3ELb0ES6_jNS0_17counting_iteratorIjlEEPS9_SE_NS0_5tupleIJPjSE_EEENSF_IJSE_SE_EEES9_SG_JZNS1_25segmented_radix_sort_implINS0_14default_configELb1EPKfPfPKlPlN2at6native12_GLOBAL__N_18offset_tEEE10hipError_tPvRmT1_PNSt15iterator_traitsISY_E10value_typeET2_T3_PNSZ_IS14_E10value_typeET4_jRbjT5_S1A_jjP12ihipStream_tbEUljE_EEESV_SW_SX_S14_S18_S1A_T6_T7_T9_mT8_S1C_bDpT10_ENKUlT_T0_E_clISt17integral_constantIbLb0EES1P_EEDaS1K_S1L_EUlS1K_E_NS1_11comp_targetILNS1_3genE4ELNS1_11target_archE910ELNS1_3gpuE8ELNS1_3repE0EEENS1_30default_config_static_selectorELNS0_4arch9wavefront6targetE0EEEvSY_,comdat
	.globl	_ZN7rocprim17ROCPRIM_400000_NS6detail17trampoline_kernelINS0_13select_configILj256ELj13ELNS0_17block_load_methodE3ELS4_3ELS4_3ELNS0_20block_scan_algorithmE0ELj4294967295EEENS1_25partition_config_selectorILNS1_17partition_subalgoE3EjNS0_10empty_typeEbEEZZNS1_14partition_implILS8_3ELb0ES6_jNS0_17counting_iteratorIjlEEPS9_SE_NS0_5tupleIJPjSE_EEENSF_IJSE_SE_EEES9_SG_JZNS1_25segmented_radix_sort_implINS0_14default_configELb1EPKfPfPKlPlN2at6native12_GLOBAL__N_18offset_tEEE10hipError_tPvRmT1_PNSt15iterator_traitsISY_E10value_typeET2_T3_PNSZ_IS14_E10value_typeET4_jRbjT5_S1A_jjP12ihipStream_tbEUljE_EEESV_SW_SX_S14_S18_S1A_T6_T7_T9_mT8_S1C_bDpT10_ENKUlT_T0_E_clISt17integral_constantIbLb0EES1P_EEDaS1K_S1L_EUlS1K_E_NS1_11comp_targetILNS1_3genE4ELNS1_11target_archE910ELNS1_3gpuE8ELNS1_3repE0EEENS1_30default_config_static_selectorELNS0_4arch9wavefront6targetE0EEEvSY_ ; -- Begin function _ZN7rocprim17ROCPRIM_400000_NS6detail17trampoline_kernelINS0_13select_configILj256ELj13ELNS0_17block_load_methodE3ELS4_3ELS4_3ELNS0_20block_scan_algorithmE0ELj4294967295EEENS1_25partition_config_selectorILNS1_17partition_subalgoE3EjNS0_10empty_typeEbEEZZNS1_14partition_implILS8_3ELb0ES6_jNS0_17counting_iteratorIjlEEPS9_SE_NS0_5tupleIJPjSE_EEENSF_IJSE_SE_EEES9_SG_JZNS1_25segmented_radix_sort_implINS0_14default_configELb1EPKfPfPKlPlN2at6native12_GLOBAL__N_18offset_tEEE10hipError_tPvRmT1_PNSt15iterator_traitsISY_E10value_typeET2_T3_PNSZ_IS14_E10value_typeET4_jRbjT5_S1A_jjP12ihipStream_tbEUljE_EEESV_SW_SX_S14_S18_S1A_T6_T7_T9_mT8_S1C_bDpT10_ENKUlT_T0_E_clISt17integral_constantIbLb0EES1P_EEDaS1K_S1L_EUlS1K_E_NS1_11comp_targetILNS1_3genE4ELNS1_11target_archE910ELNS1_3gpuE8ELNS1_3repE0EEENS1_30default_config_static_selectorELNS0_4arch9wavefront6targetE0EEEvSY_
	.p2align	8
	.type	_ZN7rocprim17ROCPRIM_400000_NS6detail17trampoline_kernelINS0_13select_configILj256ELj13ELNS0_17block_load_methodE3ELS4_3ELS4_3ELNS0_20block_scan_algorithmE0ELj4294967295EEENS1_25partition_config_selectorILNS1_17partition_subalgoE3EjNS0_10empty_typeEbEEZZNS1_14partition_implILS8_3ELb0ES6_jNS0_17counting_iteratorIjlEEPS9_SE_NS0_5tupleIJPjSE_EEENSF_IJSE_SE_EEES9_SG_JZNS1_25segmented_radix_sort_implINS0_14default_configELb1EPKfPfPKlPlN2at6native12_GLOBAL__N_18offset_tEEE10hipError_tPvRmT1_PNSt15iterator_traitsISY_E10value_typeET2_T3_PNSZ_IS14_E10value_typeET4_jRbjT5_S1A_jjP12ihipStream_tbEUljE_EEESV_SW_SX_S14_S18_S1A_T6_T7_T9_mT8_S1C_bDpT10_ENKUlT_T0_E_clISt17integral_constantIbLb0EES1P_EEDaS1K_S1L_EUlS1K_E_NS1_11comp_targetILNS1_3genE4ELNS1_11target_archE910ELNS1_3gpuE8ELNS1_3repE0EEENS1_30default_config_static_selectorELNS0_4arch9wavefront6targetE0EEEvSY_,@function
_ZN7rocprim17ROCPRIM_400000_NS6detail17trampoline_kernelINS0_13select_configILj256ELj13ELNS0_17block_load_methodE3ELS4_3ELS4_3ELNS0_20block_scan_algorithmE0ELj4294967295EEENS1_25partition_config_selectorILNS1_17partition_subalgoE3EjNS0_10empty_typeEbEEZZNS1_14partition_implILS8_3ELb0ES6_jNS0_17counting_iteratorIjlEEPS9_SE_NS0_5tupleIJPjSE_EEENSF_IJSE_SE_EEES9_SG_JZNS1_25segmented_radix_sort_implINS0_14default_configELb1EPKfPfPKlPlN2at6native12_GLOBAL__N_18offset_tEEE10hipError_tPvRmT1_PNSt15iterator_traitsISY_E10value_typeET2_T3_PNSZ_IS14_E10value_typeET4_jRbjT5_S1A_jjP12ihipStream_tbEUljE_EEESV_SW_SX_S14_S18_S1A_T6_T7_T9_mT8_S1C_bDpT10_ENKUlT_T0_E_clISt17integral_constantIbLb0EES1P_EEDaS1K_S1L_EUlS1K_E_NS1_11comp_targetILNS1_3genE4ELNS1_11target_archE910ELNS1_3gpuE8ELNS1_3repE0EEENS1_30default_config_static_selectorELNS0_4arch9wavefront6targetE0EEEvSY_: ; @_ZN7rocprim17ROCPRIM_400000_NS6detail17trampoline_kernelINS0_13select_configILj256ELj13ELNS0_17block_load_methodE3ELS4_3ELS4_3ELNS0_20block_scan_algorithmE0ELj4294967295EEENS1_25partition_config_selectorILNS1_17partition_subalgoE3EjNS0_10empty_typeEbEEZZNS1_14partition_implILS8_3ELb0ES6_jNS0_17counting_iteratorIjlEEPS9_SE_NS0_5tupleIJPjSE_EEENSF_IJSE_SE_EEES9_SG_JZNS1_25segmented_radix_sort_implINS0_14default_configELb1EPKfPfPKlPlN2at6native12_GLOBAL__N_18offset_tEEE10hipError_tPvRmT1_PNSt15iterator_traitsISY_E10value_typeET2_T3_PNSZ_IS14_E10value_typeET4_jRbjT5_S1A_jjP12ihipStream_tbEUljE_EEESV_SW_SX_S14_S18_S1A_T6_T7_T9_mT8_S1C_bDpT10_ENKUlT_T0_E_clISt17integral_constantIbLb0EES1P_EEDaS1K_S1L_EUlS1K_E_NS1_11comp_targetILNS1_3genE4ELNS1_11target_archE910ELNS1_3gpuE8ELNS1_3repE0EEENS1_30default_config_static_selectorELNS0_4arch9wavefront6targetE0EEEvSY_
; %bb.0:
	.section	.rodata,"a",@progbits
	.p2align	6, 0x0
	.amdhsa_kernel _ZN7rocprim17ROCPRIM_400000_NS6detail17trampoline_kernelINS0_13select_configILj256ELj13ELNS0_17block_load_methodE3ELS4_3ELS4_3ELNS0_20block_scan_algorithmE0ELj4294967295EEENS1_25partition_config_selectorILNS1_17partition_subalgoE3EjNS0_10empty_typeEbEEZZNS1_14partition_implILS8_3ELb0ES6_jNS0_17counting_iteratorIjlEEPS9_SE_NS0_5tupleIJPjSE_EEENSF_IJSE_SE_EEES9_SG_JZNS1_25segmented_radix_sort_implINS0_14default_configELb1EPKfPfPKlPlN2at6native12_GLOBAL__N_18offset_tEEE10hipError_tPvRmT1_PNSt15iterator_traitsISY_E10value_typeET2_T3_PNSZ_IS14_E10value_typeET4_jRbjT5_S1A_jjP12ihipStream_tbEUljE_EEESV_SW_SX_S14_S18_S1A_T6_T7_T9_mT8_S1C_bDpT10_ENKUlT_T0_E_clISt17integral_constantIbLb0EES1P_EEDaS1K_S1L_EUlS1K_E_NS1_11comp_targetILNS1_3genE4ELNS1_11target_archE910ELNS1_3gpuE8ELNS1_3repE0EEENS1_30default_config_static_selectorELNS0_4arch9wavefront6targetE0EEEvSY_
		.amdhsa_group_segment_fixed_size 0
		.amdhsa_private_segment_fixed_size 0
		.amdhsa_kernarg_size 144
		.amdhsa_user_sgpr_count 6
		.amdhsa_user_sgpr_private_segment_buffer 1
		.amdhsa_user_sgpr_dispatch_ptr 0
		.amdhsa_user_sgpr_queue_ptr 0
		.amdhsa_user_sgpr_kernarg_segment_ptr 1
		.amdhsa_user_sgpr_dispatch_id 0
		.amdhsa_user_sgpr_flat_scratch_init 0
		.amdhsa_user_sgpr_private_segment_size 0
		.amdhsa_wavefront_size32 1
		.amdhsa_uses_dynamic_stack 0
		.amdhsa_system_sgpr_private_segment_wavefront_offset 0
		.amdhsa_system_sgpr_workgroup_id_x 1
		.amdhsa_system_sgpr_workgroup_id_y 0
		.amdhsa_system_sgpr_workgroup_id_z 0
		.amdhsa_system_sgpr_workgroup_info 0
		.amdhsa_system_vgpr_workitem_id 0
		.amdhsa_next_free_vgpr 1
		.amdhsa_next_free_sgpr 1
		.amdhsa_reserve_vcc 0
		.amdhsa_reserve_flat_scratch 0
		.amdhsa_float_round_mode_32 0
		.amdhsa_float_round_mode_16_64 0
		.amdhsa_float_denorm_mode_32 3
		.amdhsa_float_denorm_mode_16_64 3
		.amdhsa_dx10_clamp 1
		.amdhsa_ieee_mode 1
		.amdhsa_fp16_overflow 0
		.amdhsa_workgroup_processor_mode 1
		.amdhsa_memory_ordered 1
		.amdhsa_forward_progress 1
		.amdhsa_shared_vgpr_count 0
		.amdhsa_exception_fp_ieee_invalid_op 0
		.amdhsa_exception_fp_denorm_src 0
		.amdhsa_exception_fp_ieee_div_zero 0
		.amdhsa_exception_fp_ieee_overflow 0
		.amdhsa_exception_fp_ieee_underflow 0
		.amdhsa_exception_fp_ieee_inexact 0
		.amdhsa_exception_int_div_zero 0
	.end_amdhsa_kernel
	.section	.text._ZN7rocprim17ROCPRIM_400000_NS6detail17trampoline_kernelINS0_13select_configILj256ELj13ELNS0_17block_load_methodE3ELS4_3ELS4_3ELNS0_20block_scan_algorithmE0ELj4294967295EEENS1_25partition_config_selectorILNS1_17partition_subalgoE3EjNS0_10empty_typeEbEEZZNS1_14partition_implILS8_3ELb0ES6_jNS0_17counting_iteratorIjlEEPS9_SE_NS0_5tupleIJPjSE_EEENSF_IJSE_SE_EEES9_SG_JZNS1_25segmented_radix_sort_implINS0_14default_configELb1EPKfPfPKlPlN2at6native12_GLOBAL__N_18offset_tEEE10hipError_tPvRmT1_PNSt15iterator_traitsISY_E10value_typeET2_T3_PNSZ_IS14_E10value_typeET4_jRbjT5_S1A_jjP12ihipStream_tbEUljE_EEESV_SW_SX_S14_S18_S1A_T6_T7_T9_mT8_S1C_bDpT10_ENKUlT_T0_E_clISt17integral_constantIbLb0EES1P_EEDaS1K_S1L_EUlS1K_E_NS1_11comp_targetILNS1_3genE4ELNS1_11target_archE910ELNS1_3gpuE8ELNS1_3repE0EEENS1_30default_config_static_selectorELNS0_4arch9wavefront6targetE0EEEvSY_,"axG",@progbits,_ZN7rocprim17ROCPRIM_400000_NS6detail17trampoline_kernelINS0_13select_configILj256ELj13ELNS0_17block_load_methodE3ELS4_3ELS4_3ELNS0_20block_scan_algorithmE0ELj4294967295EEENS1_25partition_config_selectorILNS1_17partition_subalgoE3EjNS0_10empty_typeEbEEZZNS1_14partition_implILS8_3ELb0ES6_jNS0_17counting_iteratorIjlEEPS9_SE_NS0_5tupleIJPjSE_EEENSF_IJSE_SE_EEES9_SG_JZNS1_25segmented_radix_sort_implINS0_14default_configELb1EPKfPfPKlPlN2at6native12_GLOBAL__N_18offset_tEEE10hipError_tPvRmT1_PNSt15iterator_traitsISY_E10value_typeET2_T3_PNSZ_IS14_E10value_typeET4_jRbjT5_S1A_jjP12ihipStream_tbEUljE_EEESV_SW_SX_S14_S18_S1A_T6_T7_T9_mT8_S1C_bDpT10_ENKUlT_T0_E_clISt17integral_constantIbLb0EES1P_EEDaS1K_S1L_EUlS1K_E_NS1_11comp_targetILNS1_3genE4ELNS1_11target_archE910ELNS1_3gpuE8ELNS1_3repE0EEENS1_30default_config_static_selectorELNS0_4arch9wavefront6targetE0EEEvSY_,comdat
.Lfunc_end1287:
	.size	_ZN7rocprim17ROCPRIM_400000_NS6detail17trampoline_kernelINS0_13select_configILj256ELj13ELNS0_17block_load_methodE3ELS4_3ELS4_3ELNS0_20block_scan_algorithmE0ELj4294967295EEENS1_25partition_config_selectorILNS1_17partition_subalgoE3EjNS0_10empty_typeEbEEZZNS1_14partition_implILS8_3ELb0ES6_jNS0_17counting_iteratorIjlEEPS9_SE_NS0_5tupleIJPjSE_EEENSF_IJSE_SE_EEES9_SG_JZNS1_25segmented_radix_sort_implINS0_14default_configELb1EPKfPfPKlPlN2at6native12_GLOBAL__N_18offset_tEEE10hipError_tPvRmT1_PNSt15iterator_traitsISY_E10value_typeET2_T3_PNSZ_IS14_E10value_typeET4_jRbjT5_S1A_jjP12ihipStream_tbEUljE_EEESV_SW_SX_S14_S18_S1A_T6_T7_T9_mT8_S1C_bDpT10_ENKUlT_T0_E_clISt17integral_constantIbLb0EES1P_EEDaS1K_S1L_EUlS1K_E_NS1_11comp_targetILNS1_3genE4ELNS1_11target_archE910ELNS1_3gpuE8ELNS1_3repE0EEENS1_30default_config_static_selectorELNS0_4arch9wavefront6targetE0EEEvSY_, .Lfunc_end1287-_ZN7rocprim17ROCPRIM_400000_NS6detail17trampoline_kernelINS0_13select_configILj256ELj13ELNS0_17block_load_methodE3ELS4_3ELS4_3ELNS0_20block_scan_algorithmE0ELj4294967295EEENS1_25partition_config_selectorILNS1_17partition_subalgoE3EjNS0_10empty_typeEbEEZZNS1_14partition_implILS8_3ELb0ES6_jNS0_17counting_iteratorIjlEEPS9_SE_NS0_5tupleIJPjSE_EEENSF_IJSE_SE_EEES9_SG_JZNS1_25segmented_radix_sort_implINS0_14default_configELb1EPKfPfPKlPlN2at6native12_GLOBAL__N_18offset_tEEE10hipError_tPvRmT1_PNSt15iterator_traitsISY_E10value_typeET2_T3_PNSZ_IS14_E10value_typeET4_jRbjT5_S1A_jjP12ihipStream_tbEUljE_EEESV_SW_SX_S14_S18_S1A_T6_T7_T9_mT8_S1C_bDpT10_ENKUlT_T0_E_clISt17integral_constantIbLb0EES1P_EEDaS1K_S1L_EUlS1K_E_NS1_11comp_targetILNS1_3genE4ELNS1_11target_archE910ELNS1_3gpuE8ELNS1_3repE0EEENS1_30default_config_static_selectorELNS0_4arch9wavefront6targetE0EEEvSY_
                                        ; -- End function
	.set _ZN7rocprim17ROCPRIM_400000_NS6detail17trampoline_kernelINS0_13select_configILj256ELj13ELNS0_17block_load_methodE3ELS4_3ELS4_3ELNS0_20block_scan_algorithmE0ELj4294967295EEENS1_25partition_config_selectorILNS1_17partition_subalgoE3EjNS0_10empty_typeEbEEZZNS1_14partition_implILS8_3ELb0ES6_jNS0_17counting_iteratorIjlEEPS9_SE_NS0_5tupleIJPjSE_EEENSF_IJSE_SE_EEES9_SG_JZNS1_25segmented_radix_sort_implINS0_14default_configELb1EPKfPfPKlPlN2at6native12_GLOBAL__N_18offset_tEEE10hipError_tPvRmT1_PNSt15iterator_traitsISY_E10value_typeET2_T3_PNSZ_IS14_E10value_typeET4_jRbjT5_S1A_jjP12ihipStream_tbEUljE_EEESV_SW_SX_S14_S18_S1A_T6_T7_T9_mT8_S1C_bDpT10_ENKUlT_T0_E_clISt17integral_constantIbLb0EES1P_EEDaS1K_S1L_EUlS1K_E_NS1_11comp_targetILNS1_3genE4ELNS1_11target_archE910ELNS1_3gpuE8ELNS1_3repE0EEENS1_30default_config_static_selectorELNS0_4arch9wavefront6targetE0EEEvSY_.num_vgpr, 0
	.set _ZN7rocprim17ROCPRIM_400000_NS6detail17trampoline_kernelINS0_13select_configILj256ELj13ELNS0_17block_load_methodE3ELS4_3ELS4_3ELNS0_20block_scan_algorithmE0ELj4294967295EEENS1_25partition_config_selectorILNS1_17partition_subalgoE3EjNS0_10empty_typeEbEEZZNS1_14partition_implILS8_3ELb0ES6_jNS0_17counting_iteratorIjlEEPS9_SE_NS0_5tupleIJPjSE_EEENSF_IJSE_SE_EEES9_SG_JZNS1_25segmented_radix_sort_implINS0_14default_configELb1EPKfPfPKlPlN2at6native12_GLOBAL__N_18offset_tEEE10hipError_tPvRmT1_PNSt15iterator_traitsISY_E10value_typeET2_T3_PNSZ_IS14_E10value_typeET4_jRbjT5_S1A_jjP12ihipStream_tbEUljE_EEESV_SW_SX_S14_S18_S1A_T6_T7_T9_mT8_S1C_bDpT10_ENKUlT_T0_E_clISt17integral_constantIbLb0EES1P_EEDaS1K_S1L_EUlS1K_E_NS1_11comp_targetILNS1_3genE4ELNS1_11target_archE910ELNS1_3gpuE8ELNS1_3repE0EEENS1_30default_config_static_selectorELNS0_4arch9wavefront6targetE0EEEvSY_.num_agpr, 0
	.set _ZN7rocprim17ROCPRIM_400000_NS6detail17trampoline_kernelINS0_13select_configILj256ELj13ELNS0_17block_load_methodE3ELS4_3ELS4_3ELNS0_20block_scan_algorithmE0ELj4294967295EEENS1_25partition_config_selectorILNS1_17partition_subalgoE3EjNS0_10empty_typeEbEEZZNS1_14partition_implILS8_3ELb0ES6_jNS0_17counting_iteratorIjlEEPS9_SE_NS0_5tupleIJPjSE_EEENSF_IJSE_SE_EEES9_SG_JZNS1_25segmented_radix_sort_implINS0_14default_configELb1EPKfPfPKlPlN2at6native12_GLOBAL__N_18offset_tEEE10hipError_tPvRmT1_PNSt15iterator_traitsISY_E10value_typeET2_T3_PNSZ_IS14_E10value_typeET4_jRbjT5_S1A_jjP12ihipStream_tbEUljE_EEESV_SW_SX_S14_S18_S1A_T6_T7_T9_mT8_S1C_bDpT10_ENKUlT_T0_E_clISt17integral_constantIbLb0EES1P_EEDaS1K_S1L_EUlS1K_E_NS1_11comp_targetILNS1_3genE4ELNS1_11target_archE910ELNS1_3gpuE8ELNS1_3repE0EEENS1_30default_config_static_selectorELNS0_4arch9wavefront6targetE0EEEvSY_.numbered_sgpr, 0
	.set _ZN7rocprim17ROCPRIM_400000_NS6detail17trampoline_kernelINS0_13select_configILj256ELj13ELNS0_17block_load_methodE3ELS4_3ELS4_3ELNS0_20block_scan_algorithmE0ELj4294967295EEENS1_25partition_config_selectorILNS1_17partition_subalgoE3EjNS0_10empty_typeEbEEZZNS1_14partition_implILS8_3ELb0ES6_jNS0_17counting_iteratorIjlEEPS9_SE_NS0_5tupleIJPjSE_EEENSF_IJSE_SE_EEES9_SG_JZNS1_25segmented_radix_sort_implINS0_14default_configELb1EPKfPfPKlPlN2at6native12_GLOBAL__N_18offset_tEEE10hipError_tPvRmT1_PNSt15iterator_traitsISY_E10value_typeET2_T3_PNSZ_IS14_E10value_typeET4_jRbjT5_S1A_jjP12ihipStream_tbEUljE_EEESV_SW_SX_S14_S18_S1A_T6_T7_T9_mT8_S1C_bDpT10_ENKUlT_T0_E_clISt17integral_constantIbLb0EES1P_EEDaS1K_S1L_EUlS1K_E_NS1_11comp_targetILNS1_3genE4ELNS1_11target_archE910ELNS1_3gpuE8ELNS1_3repE0EEENS1_30default_config_static_selectorELNS0_4arch9wavefront6targetE0EEEvSY_.num_named_barrier, 0
	.set _ZN7rocprim17ROCPRIM_400000_NS6detail17trampoline_kernelINS0_13select_configILj256ELj13ELNS0_17block_load_methodE3ELS4_3ELS4_3ELNS0_20block_scan_algorithmE0ELj4294967295EEENS1_25partition_config_selectorILNS1_17partition_subalgoE3EjNS0_10empty_typeEbEEZZNS1_14partition_implILS8_3ELb0ES6_jNS0_17counting_iteratorIjlEEPS9_SE_NS0_5tupleIJPjSE_EEENSF_IJSE_SE_EEES9_SG_JZNS1_25segmented_radix_sort_implINS0_14default_configELb1EPKfPfPKlPlN2at6native12_GLOBAL__N_18offset_tEEE10hipError_tPvRmT1_PNSt15iterator_traitsISY_E10value_typeET2_T3_PNSZ_IS14_E10value_typeET4_jRbjT5_S1A_jjP12ihipStream_tbEUljE_EEESV_SW_SX_S14_S18_S1A_T6_T7_T9_mT8_S1C_bDpT10_ENKUlT_T0_E_clISt17integral_constantIbLb0EES1P_EEDaS1K_S1L_EUlS1K_E_NS1_11comp_targetILNS1_3genE4ELNS1_11target_archE910ELNS1_3gpuE8ELNS1_3repE0EEENS1_30default_config_static_selectorELNS0_4arch9wavefront6targetE0EEEvSY_.private_seg_size, 0
	.set _ZN7rocprim17ROCPRIM_400000_NS6detail17trampoline_kernelINS0_13select_configILj256ELj13ELNS0_17block_load_methodE3ELS4_3ELS4_3ELNS0_20block_scan_algorithmE0ELj4294967295EEENS1_25partition_config_selectorILNS1_17partition_subalgoE3EjNS0_10empty_typeEbEEZZNS1_14partition_implILS8_3ELb0ES6_jNS0_17counting_iteratorIjlEEPS9_SE_NS0_5tupleIJPjSE_EEENSF_IJSE_SE_EEES9_SG_JZNS1_25segmented_radix_sort_implINS0_14default_configELb1EPKfPfPKlPlN2at6native12_GLOBAL__N_18offset_tEEE10hipError_tPvRmT1_PNSt15iterator_traitsISY_E10value_typeET2_T3_PNSZ_IS14_E10value_typeET4_jRbjT5_S1A_jjP12ihipStream_tbEUljE_EEESV_SW_SX_S14_S18_S1A_T6_T7_T9_mT8_S1C_bDpT10_ENKUlT_T0_E_clISt17integral_constantIbLb0EES1P_EEDaS1K_S1L_EUlS1K_E_NS1_11comp_targetILNS1_3genE4ELNS1_11target_archE910ELNS1_3gpuE8ELNS1_3repE0EEENS1_30default_config_static_selectorELNS0_4arch9wavefront6targetE0EEEvSY_.uses_vcc, 0
	.set _ZN7rocprim17ROCPRIM_400000_NS6detail17trampoline_kernelINS0_13select_configILj256ELj13ELNS0_17block_load_methodE3ELS4_3ELS4_3ELNS0_20block_scan_algorithmE0ELj4294967295EEENS1_25partition_config_selectorILNS1_17partition_subalgoE3EjNS0_10empty_typeEbEEZZNS1_14partition_implILS8_3ELb0ES6_jNS0_17counting_iteratorIjlEEPS9_SE_NS0_5tupleIJPjSE_EEENSF_IJSE_SE_EEES9_SG_JZNS1_25segmented_radix_sort_implINS0_14default_configELb1EPKfPfPKlPlN2at6native12_GLOBAL__N_18offset_tEEE10hipError_tPvRmT1_PNSt15iterator_traitsISY_E10value_typeET2_T3_PNSZ_IS14_E10value_typeET4_jRbjT5_S1A_jjP12ihipStream_tbEUljE_EEESV_SW_SX_S14_S18_S1A_T6_T7_T9_mT8_S1C_bDpT10_ENKUlT_T0_E_clISt17integral_constantIbLb0EES1P_EEDaS1K_S1L_EUlS1K_E_NS1_11comp_targetILNS1_3genE4ELNS1_11target_archE910ELNS1_3gpuE8ELNS1_3repE0EEENS1_30default_config_static_selectorELNS0_4arch9wavefront6targetE0EEEvSY_.uses_flat_scratch, 0
	.set _ZN7rocprim17ROCPRIM_400000_NS6detail17trampoline_kernelINS0_13select_configILj256ELj13ELNS0_17block_load_methodE3ELS4_3ELS4_3ELNS0_20block_scan_algorithmE0ELj4294967295EEENS1_25partition_config_selectorILNS1_17partition_subalgoE3EjNS0_10empty_typeEbEEZZNS1_14partition_implILS8_3ELb0ES6_jNS0_17counting_iteratorIjlEEPS9_SE_NS0_5tupleIJPjSE_EEENSF_IJSE_SE_EEES9_SG_JZNS1_25segmented_radix_sort_implINS0_14default_configELb1EPKfPfPKlPlN2at6native12_GLOBAL__N_18offset_tEEE10hipError_tPvRmT1_PNSt15iterator_traitsISY_E10value_typeET2_T3_PNSZ_IS14_E10value_typeET4_jRbjT5_S1A_jjP12ihipStream_tbEUljE_EEESV_SW_SX_S14_S18_S1A_T6_T7_T9_mT8_S1C_bDpT10_ENKUlT_T0_E_clISt17integral_constantIbLb0EES1P_EEDaS1K_S1L_EUlS1K_E_NS1_11comp_targetILNS1_3genE4ELNS1_11target_archE910ELNS1_3gpuE8ELNS1_3repE0EEENS1_30default_config_static_selectorELNS0_4arch9wavefront6targetE0EEEvSY_.has_dyn_sized_stack, 0
	.set _ZN7rocprim17ROCPRIM_400000_NS6detail17trampoline_kernelINS0_13select_configILj256ELj13ELNS0_17block_load_methodE3ELS4_3ELS4_3ELNS0_20block_scan_algorithmE0ELj4294967295EEENS1_25partition_config_selectorILNS1_17partition_subalgoE3EjNS0_10empty_typeEbEEZZNS1_14partition_implILS8_3ELb0ES6_jNS0_17counting_iteratorIjlEEPS9_SE_NS0_5tupleIJPjSE_EEENSF_IJSE_SE_EEES9_SG_JZNS1_25segmented_radix_sort_implINS0_14default_configELb1EPKfPfPKlPlN2at6native12_GLOBAL__N_18offset_tEEE10hipError_tPvRmT1_PNSt15iterator_traitsISY_E10value_typeET2_T3_PNSZ_IS14_E10value_typeET4_jRbjT5_S1A_jjP12ihipStream_tbEUljE_EEESV_SW_SX_S14_S18_S1A_T6_T7_T9_mT8_S1C_bDpT10_ENKUlT_T0_E_clISt17integral_constantIbLb0EES1P_EEDaS1K_S1L_EUlS1K_E_NS1_11comp_targetILNS1_3genE4ELNS1_11target_archE910ELNS1_3gpuE8ELNS1_3repE0EEENS1_30default_config_static_selectorELNS0_4arch9wavefront6targetE0EEEvSY_.has_recursion, 0
	.set _ZN7rocprim17ROCPRIM_400000_NS6detail17trampoline_kernelINS0_13select_configILj256ELj13ELNS0_17block_load_methodE3ELS4_3ELS4_3ELNS0_20block_scan_algorithmE0ELj4294967295EEENS1_25partition_config_selectorILNS1_17partition_subalgoE3EjNS0_10empty_typeEbEEZZNS1_14partition_implILS8_3ELb0ES6_jNS0_17counting_iteratorIjlEEPS9_SE_NS0_5tupleIJPjSE_EEENSF_IJSE_SE_EEES9_SG_JZNS1_25segmented_radix_sort_implINS0_14default_configELb1EPKfPfPKlPlN2at6native12_GLOBAL__N_18offset_tEEE10hipError_tPvRmT1_PNSt15iterator_traitsISY_E10value_typeET2_T3_PNSZ_IS14_E10value_typeET4_jRbjT5_S1A_jjP12ihipStream_tbEUljE_EEESV_SW_SX_S14_S18_S1A_T6_T7_T9_mT8_S1C_bDpT10_ENKUlT_T0_E_clISt17integral_constantIbLb0EES1P_EEDaS1K_S1L_EUlS1K_E_NS1_11comp_targetILNS1_3genE4ELNS1_11target_archE910ELNS1_3gpuE8ELNS1_3repE0EEENS1_30default_config_static_selectorELNS0_4arch9wavefront6targetE0EEEvSY_.has_indirect_call, 0
	.section	.AMDGPU.csdata,"",@progbits
; Kernel info:
; codeLenInByte = 0
; TotalNumSgprs: 0
; NumVgprs: 0
; ScratchSize: 0
; MemoryBound: 0
; FloatMode: 240
; IeeeMode: 1
; LDSByteSize: 0 bytes/workgroup (compile time only)
; SGPRBlocks: 0
; VGPRBlocks: 0
; NumSGPRsForWavesPerEU: 1
; NumVGPRsForWavesPerEU: 1
; Occupancy: 16
; WaveLimiterHint : 0
; COMPUTE_PGM_RSRC2:SCRATCH_EN: 0
; COMPUTE_PGM_RSRC2:USER_SGPR: 6
; COMPUTE_PGM_RSRC2:TRAP_HANDLER: 0
; COMPUTE_PGM_RSRC2:TGID_X_EN: 1
; COMPUTE_PGM_RSRC2:TGID_Y_EN: 0
; COMPUTE_PGM_RSRC2:TGID_Z_EN: 0
; COMPUTE_PGM_RSRC2:TIDIG_COMP_CNT: 0
	.section	.text._ZN7rocprim17ROCPRIM_400000_NS6detail17trampoline_kernelINS0_13select_configILj256ELj13ELNS0_17block_load_methodE3ELS4_3ELS4_3ELNS0_20block_scan_algorithmE0ELj4294967295EEENS1_25partition_config_selectorILNS1_17partition_subalgoE3EjNS0_10empty_typeEbEEZZNS1_14partition_implILS8_3ELb0ES6_jNS0_17counting_iteratorIjlEEPS9_SE_NS0_5tupleIJPjSE_EEENSF_IJSE_SE_EEES9_SG_JZNS1_25segmented_radix_sort_implINS0_14default_configELb1EPKfPfPKlPlN2at6native12_GLOBAL__N_18offset_tEEE10hipError_tPvRmT1_PNSt15iterator_traitsISY_E10value_typeET2_T3_PNSZ_IS14_E10value_typeET4_jRbjT5_S1A_jjP12ihipStream_tbEUljE_EEESV_SW_SX_S14_S18_S1A_T6_T7_T9_mT8_S1C_bDpT10_ENKUlT_T0_E_clISt17integral_constantIbLb0EES1P_EEDaS1K_S1L_EUlS1K_E_NS1_11comp_targetILNS1_3genE3ELNS1_11target_archE908ELNS1_3gpuE7ELNS1_3repE0EEENS1_30default_config_static_selectorELNS0_4arch9wavefront6targetE0EEEvSY_,"axG",@progbits,_ZN7rocprim17ROCPRIM_400000_NS6detail17trampoline_kernelINS0_13select_configILj256ELj13ELNS0_17block_load_methodE3ELS4_3ELS4_3ELNS0_20block_scan_algorithmE0ELj4294967295EEENS1_25partition_config_selectorILNS1_17partition_subalgoE3EjNS0_10empty_typeEbEEZZNS1_14partition_implILS8_3ELb0ES6_jNS0_17counting_iteratorIjlEEPS9_SE_NS0_5tupleIJPjSE_EEENSF_IJSE_SE_EEES9_SG_JZNS1_25segmented_radix_sort_implINS0_14default_configELb1EPKfPfPKlPlN2at6native12_GLOBAL__N_18offset_tEEE10hipError_tPvRmT1_PNSt15iterator_traitsISY_E10value_typeET2_T3_PNSZ_IS14_E10value_typeET4_jRbjT5_S1A_jjP12ihipStream_tbEUljE_EEESV_SW_SX_S14_S18_S1A_T6_T7_T9_mT8_S1C_bDpT10_ENKUlT_T0_E_clISt17integral_constantIbLb0EES1P_EEDaS1K_S1L_EUlS1K_E_NS1_11comp_targetILNS1_3genE3ELNS1_11target_archE908ELNS1_3gpuE7ELNS1_3repE0EEENS1_30default_config_static_selectorELNS0_4arch9wavefront6targetE0EEEvSY_,comdat
	.globl	_ZN7rocprim17ROCPRIM_400000_NS6detail17trampoline_kernelINS0_13select_configILj256ELj13ELNS0_17block_load_methodE3ELS4_3ELS4_3ELNS0_20block_scan_algorithmE0ELj4294967295EEENS1_25partition_config_selectorILNS1_17partition_subalgoE3EjNS0_10empty_typeEbEEZZNS1_14partition_implILS8_3ELb0ES6_jNS0_17counting_iteratorIjlEEPS9_SE_NS0_5tupleIJPjSE_EEENSF_IJSE_SE_EEES9_SG_JZNS1_25segmented_radix_sort_implINS0_14default_configELb1EPKfPfPKlPlN2at6native12_GLOBAL__N_18offset_tEEE10hipError_tPvRmT1_PNSt15iterator_traitsISY_E10value_typeET2_T3_PNSZ_IS14_E10value_typeET4_jRbjT5_S1A_jjP12ihipStream_tbEUljE_EEESV_SW_SX_S14_S18_S1A_T6_T7_T9_mT8_S1C_bDpT10_ENKUlT_T0_E_clISt17integral_constantIbLb0EES1P_EEDaS1K_S1L_EUlS1K_E_NS1_11comp_targetILNS1_3genE3ELNS1_11target_archE908ELNS1_3gpuE7ELNS1_3repE0EEENS1_30default_config_static_selectorELNS0_4arch9wavefront6targetE0EEEvSY_ ; -- Begin function _ZN7rocprim17ROCPRIM_400000_NS6detail17trampoline_kernelINS0_13select_configILj256ELj13ELNS0_17block_load_methodE3ELS4_3ELS4_3ELNS0_20block_scan_algorithmE0ELj4294967295EEENS1_25partition_config_selectorILNS1_17partition_subalgoE3EjNS0_10empty_typeEbEEZZNS1_14partition_implILS8_3ELb0ES6_jNS0_17counting_iteratorIjlEEPS9_SE_NS0_5tupleIJPjSE_EEENSF_IJSE_SE_EEES9_SG_JZNS1_25segmented_radix_sort_implINS0_14default_configELb1EPKfPfPKlPlN2at6native12_GLOBAL__N_18offset_tEEE10hipError_tPvRmT1_PNSt15iterator_traitsISY_E10value_typeET2_T3_PNSZ_IS14_E10value_typeET4_jRbjT5_S1A_jjP12ihipStream_tbEUljE_EEESV_SW_SX_S14_S18_S1A_T6_T7_T9_mT8_S1C_bDpT10_ENKUlT_T0_E_clISt17integral_constantIbLb0EES1P_EEDaS1K_S1L_EUlS1K_E_NS1_11comp_targetILNS1_3genE3ELNS1_11target_archE908ELNS1_3gpuE7ELNS1_3repE0EEENS1_30default_config_static_selectorELNS0_4arch9wavefront6targetE0EEEvSY_
	.p2align	8
	.type	_ZN7rocprim17ROCPRIM_400000_NS6detail17trampoline_kernelINS0_13select_configILj256ELj13ELNS0_17block_load_methodE3ELS4_3ELS4_3ELNS0_20block_scan_algorithmE0ELj4294967295EEENS1_25partition_config_selectorILNS1_17partition_subalgoE3EjNS0_10empty_typeEbEEZZNS1_14partition_implILS8_3ELb0ES6_jNS0_17counting_iteratorIjlEEPS9_SE_NS0_5tupleIJPjSE_EEENSF_IJSE_SE_EEES9_SG_JZNS1_25segmented_radix_sort_implINS0_14default_configELb1EPKfPfPKlPlN2at6native12_GLOBAL__N_18offset_tEEE10hipError_tPvRmT1_PNSt15iterator_traitsISY_E10value_typeET2_T3_PNSZ_IS14_E10value_typeET4_jRbjT5_S1A_jjP12ihipStream_tbEUljE_EEESV_SW_SX_S14_S18_S1A_T6_T7_T9_mT8_S1C_bDpT10_ENKUlT_T0_E_clISt17integral_constantIbLb0EES1P_EEDaS1K_S1L_EUlS1K_E_NS1_11comp_targetILNS1_3genE3ELNS1_11target_archE908ELNS1_3gpuE7ELNS1_3repE0EEENS1_30default_config_static_selectorELNS0_4arch9wavefront6targetE0EEEvSY_,@function
_ZN7rocprim17ROCPRIM_400000_NS6detail17trampoline_kernelINS0_13select_configILj256ELj13ELNS0_17block_load_methodE3ELS4_3ELS4_3ELNS0_20block_scan_algorithmE0ELj4294967295EEENS1_25partition_config_selectorILNS1_17partition_subalgoE3EjNS0_10empty_typeEbEEZZNS1_14partition_implILS8_3ELb0ES6_jNS0_17counting_iteratorIjlEEPS9_SE_NS0_5tupleIJPjSE_EEENSF_IJSE_SE_EEES9_SG_JZNS1_25segmented_radix_sort_implINS0_14default_configELb1EPKfPfPKlPlN2at6native12_GLOBAL__N_18offset_tEEE10hipError_tPvRmT1_PNSt15iterator_traitsISY_E10value_typeET2_T3_PNSZ_IS14_E10value_typeET4_jRbjT5_S1A_jjP12ihipStream_tbEUljE_EEESV_SW_SX_S14_S18_S1A_T6_T7_T9_mT8_S1C_bDpT10_ENKUlT_T0_E_clISt17integral_constantIbLb0EES1P_EEDaS1K_S1L_EUlS1K_E_NS1_11comp_targetILNS1_3genE3ELNS1_11target_archE908ELNS1_3gpuE7ELNS1_3repE0EEENS1_30default_config_static_selectorELNS0_4arch9wavefront6targetE0EEEvSY_: ; @_ZN7rocprim17ROCPRIM_400000_NS6detail17trampoline_kernelINS0_13select_configILj256ELj13ELNS0_17block_load_methodE3ELS4_3ELS4_3ELNS0_20block_scan_algorithmE0ELj4294967295EEENS1_25partition_config_selectorILNS1_17partition_subalgoE3EjNS0_10empty_typeEbEEZZNS1_14partition_implILS8_3ELb0ES6_jNS0_17counting_iteratorIjlEEPS9_SE_NS0_5tupleIJPjSE_EEENSF_IJSE_SE_EEES9_SG_JZNS1_25segmented_radix_sort_implINS0_14default_configELb1EPKfPfPKlPlN2at6native12_GLOBAL__N_18offset_tEEE10hipError_tPvRmT1_PNSt15iterator_traitsISY_E10value_typeET2_T3_PNSZ_IS14_E10value_typeET4_jRbjT5_S1A_jjP12ihipStream_tbEUljE_EEESV_SW_SX_S14_S18_S1A_T6_T7_T9_mT8_S1C_bDpT10_ENKUlT_T0_E_clISt17integral_constantIbLb0EES1P_EEDaS1K_S1L_EUlS1K_E_NS1_11comp_targetILNS1_3genE3ELNS1_11target_archE908ELNS1_3gpuE7ELNS1_3repE0EEENS1_30default_config_static_selectorELNS0_4arch9wavefront6targetE0EEEvSY_
; %bb.0:
	.section	.rodata,"a",@progbits
	.p2align	6, 0x0
	.amdhsa_kernel _ZN7rocprim17ROCPRIM_400000_NS6detail17trampoline_kernelINS0_13select_configILj256ELj13ELNS0_17block_load_methodE3ELS4_3ELS4_3ELNS0_20block_scan_algorithmE0ELj4294967295EEENS1_25partition_config_selectorILNS1_17partition_subalgoE3EjNS0_10empty_typeEbEEZZNS1_14partition_implILS8_3ELb0ES6_jNS0_17counting_iteratorIjlEEPS9_SE_NS0_5tupleIJPjSE_EEENSF_IJSE_SE_EEES9_SG_JZNS1_25segmented_radix_sort_implINS0_14default_configELb1EPKfPfPKlPlN2at6native12_GLOBAL__N_18offset_tEEE10hipError_tPvRmT1_PNSt15iterator_traitsISY_E10value_typeET2_T3_PNSZ_IS14_E10value_typeET4_jRbjT5_S1A_jjP12ihipStream_tbEUljE_EEESV_SW_SX_S14_S18_S1A_T6_T7_T9_mT8_S1C_bDpT10_ENKUlT_T0_E_clISt17integral_constantIbLb0EES1P_EEDaS1K_S1L_EUlS1K_E_NS1_11comp_targetILNS1_3genE3ELNS1_11target_archE908ELNS1_3gpuE7ELNS1_3repE0EEENS1_30default_config_static_selectorELNS0_4arch9wavefront6targetE0EEEvSY_
		.amdhsa_group_segment_fixed_size 0
		.amdhsa_private_segment_fixed_size 0
		.amdhsa_kernarg_size 144
		.amdhsa_user_sgpr_count 6
		.amdhsa_user_sgpr_private_segment_buffer 1
		.amdhsa_user_sgpr_dispatch_ptr 0
		.amdhsa_user_sgpr_queue_ptr 0
		.amdhsa_user_sgpr_kernarg_segment_ptr 1
		.amdhsa_user_sgpr_dispatch_id 0
		.amdhsa_user_sgpr_flat_scratch_init 0
		.amdhsa_user_sgpr_private_segment_size 0
		.amdhsa_wavefront_size32 1
		.amdhsa_uses_dynamic_stack 0
		.amdhsa_system_sgpr_private_segment_wavefront_offset 0
		.amdhsa_system_sgpr_workgroup_id_x 1
		.amdhsa_system_sgpr_workgroup_id_y 0
		.amdhsa_system_sgpr_workgroup_id_z 0
		.amdhsa_system_sgpr_workgroup_info 0
		.amdhsa_system_vgpr_workitem_id 0
		.amdhsa_next_free_vgpr 1
		.amdhsa_next_free_sgpr 1
		.amdhsa_reserve_vcc 0
		.amdhsa_reserve_flat_scratch 0
		.amdhsa_float_round_mode_32 0
		.amdhsa_float_round_mode_16_64 0
		.amdhsa_float_denorm_mode_32 3
		.amdhsa_float_denorm_mode_16_64 3
		.amdhsa_dx10_clamp 1
		.amdhsa_ieee_mode 1
		.amdhsa_fp16_overflow 0
		.amdhsa_workgroup_processor_mode 1
		.amdhsa_memory_ordered 1
		.amdhsa_forward_progress 1
		.amdhsa_shared_vgpr_count 0
		.amdhsa_exception_fp_ieee_invalid_op 0
		.amdhsa_exception_fp_denorm_src 0
		.amdhsa_exception_fp_ieee_div_zero 0
		.amdhsa_exception_fp_ieee_overflow 0
		.amdhsa_exception_fp_ieee_underflow 0
		.amdhsa_exception_fp_ieee_inexact 0
		.amdhsa_exception_int_div_zero 0
	.end_amdhsa_kernel
	.section	.text._ZN7rocprim17ROCPRIM_400000_NS6detail17trampoline_kernelINS0_13select_configILj256ELj13ELNS0_17block_load_methodE3ELS4_3ELS4_3ELNS0_20block_scan_algorithmE0ELj4294967295EEENS1_25partition_config_selectorILNS1_17partition_subalgoE3EjNS0_10empty_typeEbEEZZNS1_14partition_implILS8_3ELb0ES6_jNS0_17counting_iteratorIjlEEPS9_SE_NS0_5tupleIJPjSE_EEENSF_IJSE_SE_EEES9_SG_JZNS1_25segmented_radix_sort_implINS0_14default_configELb1EPKfPfPKlPlN2at6native12_GLOBAL__N_18offset_tEEE10hipError_tPvRmT1_PNSt15iterator_traitsISY_E10value_typeET2_T3_PNSZ_IS14_E10value_typeET4_jRbjT5_S1A_jjP12ihipStream_tbEUljE_EEESV_SW_SX_S14_S18_S1A_T6_T7_T9_mT8_S1C_bDpT10_ENKUlT_T0_E_clISt17integral_constantIbLb0EES1P_EEDaS1K_S1L_EUlS1K_E_NS1_11comp_targetILNS1_3genE3ELNS1_11target_archE908ELNS1_3gpuE7ELNS1_3repE0EEENS1_30default_config_static_selectorELNS0_4arch9wavefront6targetE0EEEvSY_,"axG",@progbits,_ZN7rocprim17ROCPRIM_400000_NS6detail17trampoline_kernelINS0_13select_configILj256ELj13ELNS0_17block_load_methodE3ELS4_3ELS4_3ELNS0_20block_scan_algorithmE0ELj4294967295EEENS1_25partition_config_selectorILNS1_17partition_subalgoE3EjNS0_10empty_typeEbEEZZNS1_14partition_implILS8_3ELb0ES6_jNS0_17counting_iteratorIjlEEPS9_SE_NS0_5tupleIJPjSE_EEENSF_IJSE_SE_EEES9_SG_JZNS1_25segmented_radix_sort_implINS0_14default_configELb1EPKfPfPKlPlN2at6native12_GLOBAL__N_18offset_tEEE10hipError_tPvRmT1_PNSt15iterator_traitsISY_E10value_typeET2_T3_PNSZ_IS14_E10value_typeET4_jRbjT5_S1A_jjP12ihipStream_tbEUljE_EEESV_SW_SX_S14_S18_S1A_T6_T7_T9_mT8_S1C_bDpT10_ENKUlT_T0_E_clISt17integral_constantIbLb0EES1P_EEDaS1K_S1L_EUlS1K_E_NS1_11comp_targetILNS1_3genE3ELNS1_11target_archE908ELNS1_3gpuE7ELNS1_3repE0EEENS1_30default_config_static_selectorELNS0_4arch9wavefront6targetE0EEEvSY_,comdat
.Lfunc_end1288:
	.size	_ZN7rocprim17ROCPRIM_400000_NS6detail17trampoline_kernelINS0_13select_configILj256ELj13ELNS0_17block_load_methodE3ELS4_3ELS4_3ELNS0_20block_scan_algorithmE0ELj4294967295EEENS1_25partition_config_selectorILNS1_17partition_subalgoE3EjNS0_10empty_typeEbEEZZNS1_14partition_implILS8_3ELb0ES6_jNS0_17counting_iteratorIjlEEPS9_SE_NS0_5tupleIJPjSE_EEENSF_IJSE_SE_EEES9_SG_JZNS1_25segmented_radix_sort_implINS0_14default_configELb1EPKfPfPKlPlN2at6native12_GLOBAL__N_18offset_tEEE10hipError_tPvRmT1_PNSt15iterator_traitsISY_E10value_typeET2_T3_PNSZ_IS14_E10value_typeET4_jRbjT5_S1A_jjP12ihipStream_tbEUljE_EEESV_SW_SX_S14_S18_S1A_T6_T7_T9_mT8_S1C_bDpT10_ENKUlT_T0_E_clISt17integral_constantIbLb0EES1P_EEDaS1K_S1L_EUlS1K_E_NS1_11comp_targetILNS1_3genE3ELNS1_11target_archE908ELNS1_3gpuE7ELNS1_3repE0EEENS1_30default_config_static_selectorELNS0_4arch9wavefront6targetE0EEEvSY_, .Lfunc_end1288-_ZN7rocprim17ROCPRIM_400000_NS6detail17trampoline_kernelINS0_13select_configILj256ELj13ELNS0_17block_load_methodE3ELS4_3ELS4_3ELNS0_20block_scan_algorithmE0ELj4294967295EEENS1_25partition_config_selectorILNS1_17partition_subalgoE3EjNS0_10empty_typeEbEEZZNS1_14partition_implILS8_3ELb0ES6_jNS0_17counting_iteratorIjlEEPS9_SE_NS0_5tupleIJPjSE_EEENSF_IJSE_SE_EEES9_SG_JZNS1_25segmented_radix_sort_implINS0_14default_configELb1EPKfPfPKlPlN2at6native12_GLOBAL__N_18offset_tEEE10hipError_tPvRmT1_PNSt15iterator_traitsISY_E10value_typeET2_T3_PNSZ_IS14_E10value_typeET4_jRbjT5_S1A_jjP12ihipStream_tbEUljE_EEESV_SW_SX_S14_S18_S1A_T6_T7_T9_mT8_S1C_bDpT10_ENKUlT_T0_E_clISt17integral_constantIbLb0EES1P_EEDaS1K_S1L_EUlS1K_E_NS1_11comp_targetILNS1_3genE3ELNS1_11target_archE908ELNS1_3gpuE7ELNS1_3repE0EEENS1_30default_config_static_selectorELNS0_4arch9wavefront6targetE0EEEvSY_
                                        ; -- End function
	.set _ZN7rocprim17ROCPRIM_400000_NS6detail17trampoline_kernelINS0_13select_configILj256ELj13ELNS0_17block_load_methodE3ELS4_3ELS4_3ELNS0_20block_scan_algorithmE0ELj4294967295EEENS1_25partition_config_selectorILNS1_17partition_subalgoE3EjNS0_10empty_typeEbEEZZNS1_14partition_implILS8_3ELb0ES6_jNS0_17counting_iteratorIjlEEPS9_SE_NS0_5tupleIJPjSE_EEENSF_IJSE_SE_EEES9_SG_JZNS1_25segmented_radix_sort_implINS0_14default_configELb1EPKfPfPKlPlN2at6native12_GLOBAL__N_18offset_tEEE10hipError_tPvRmT1_PNSt15iterator_traitsISY_E10value_typeET2_T3_PNSZ_IS14_E10value_typeET4_jRbjT5_S1A_jjP12ihipStream_tbEUljE_EEESV_SW_SX_S14_S18_S1A_T6_T7_T9_mT8_S1C_bDpT10_ENKUlT_T0_E_clISt17integral_constantIbLb0EES1P_EEDaS1K_S1L_EUlS1K_E_NS1_11comp_targetILNS1_3genE3ELNS1_11target_archE908ELNS1_3gpuE7ELNS1_3repE0EEENS1_30default_config_static_selectorELNS0_4arch9wavefront6targetE0EEEvSY_.num_vgpr, 0
	.set _ZN7rocprim17ROCPRIM_400000_NS6detail17trampoline_kernelINS0_13select_configILj256ELj13ELNS0_17block_load_methodE3ELS4_3ELS4_3ELNS0_20block_scan_algorithmE0ELj4294967295EEENS1_25partition_config_selectorILNS1_17partition_subalgoE3EjNS0_10empty_typeEbEEZZNS1_14partition_implILS8_3ELb0ES6_jNS0_17counting_iteratorIjlEEPS9_SE_NS0_5tupleIJPjSE_EEENSF_IJSE_SE_EEES9_SG_JZNS1_25segmented_radix_sort_implINS0_14default_configELb1EPKfPfPKlPlN2at6native12_GLOBAL__N_18offset_tEEE10hipError_tPvRmT1_PNSt15iterator_traitsISY_E10value_typeET2_T3_PNSZ_IS14_E10value_typeET4_jRbjT5_S1A_jjP12ihipStream_tbEUljE_EEESV_SW_SX_S14_S18_S1A_T6_T7_T9_mT8_S1C_bDpT10_ENKUlT_T0_E_clISt17integral_constantIbLb0EES1P_EEDaS1K_S1L_EUlS1K_E_NS1_11comp_targetILNS1_3genE3ELNS1_11target_archE908ELNS1_3gpuE7ELNS1_3repE0EEENS1_30default_config_static_selectorELNS0_4arch9wavefront6targetE0EEEvSY_.num_agpr, 0
	.set _ZN7rocprim17ROCPRIM_400000_NS6detail17trampoline_kernelINS0_13select_configILj256ELj13ELNS0_17block_load_methodE3ELS4_3ELS4_3ELNS0_20block_scan_algorithmE0ELj4294967295EEENS1_25partition_config_selectorILNS1_17partition_subalgoE3EjNS0_10empty_typeEbEEZZNS1_14partition_implILS8_3ELb0ES6_jNS0_17counting_iteratorIjlEEPS9_SE_NS0_5tupleIJPjSE_EEENSF_IJSE_SE_EEES9_SG_JZNS1_25segmented_radix_sort_implINS0_14default_configELb1EPKfPfPKlPlN2at6native12_GLOBAL__N_18offset_tEEE10hipError_tPvRmT1_PNSt15iterator_traitsISY_E10value_typeET2_T3_PNSZ_IS14_E10value_typeET4_jRbjT5_S1A_jjP12ihipStream_tbEUljE_EEESV_SW_SX_S14_S18_S1A_T6_T7_T9_mT8_S1C_bDpT10_ENKUlT_T0_E_clISt17integral_constantIbLb0EES1P_EEDaS1K_S1L_EUlS1K_E_NS1_11comp_targetILNS1_3genE3ELNS1_11target_archE908ELNS1_3gpuE7ELNS1_3repE0EEENS1_30default_config_static_selectorELNS0_4arch9wavefront6targetE0EEEvSY_.numbered_sgpr, 0
	.set _ZN7rocprim17ROCPRIM_400000_NS6detail17trampoline_kernelINS0_13select_configILj256ELj13ELNS0_17block_load_methodE3ELS4_3ELS4_3ELNS0_20block_scan_algorithmE0ELj4294967295EEENS1_25partition_config_selectorILNS1_17partition_subalgoE3EjNS0_10empty_typeEbEEZZNS1_14partition_implILS8_3ELb0ES6_jNS0_17counting_iteratorIjlEEPS9_SE_NS0_5tupleIJPjSE_EEENSF_IJSE_SE_EEES9_SG_JZNS1_25segmented_radix_sort_implINS0_14default_configELb1EPKfPfPKlPlN2at6native12_GLOBAL__N_18offset_tEEE10hipError_tPvRmT1_PNSt15iterator_traitsISY_E10value_typeET2_T3_PNSZ_IS14_E10value_typeET4_jRbjT5_S1A_jjP12ihipStream_tbEUljE_EEESV_SW_SX_S14_S18_S1A_T6_T7_T9_mT8_S1C_bDpT10_ENKUlT_T0_E_clISt17integral_constantIbLb0EES1P_EEDaS1K_S1L_EUlS1K_E_NS1_11comp_targetILNS1_3genE3ELNS1_11target_archE908ELNS1_3gpuE7ELNS1_3repE0EEENS1_30default_config_static_selectorELNS0_4arch9wavefront6targetE0EEEvSY_.num_named_barrier, 0
	.set _ZN7rocprim17ROCPRIM_400000_NS6detail17trampoline_kernelINS0_13select_configILj256ELj13ELNS0_17block_load_methodE3ELS4_3ELS4_3ELNS0_20block_scan_algorithmE0ELj4294967295EEENS1_25partition_config_selectorILNS1_17partition_subalgoE3EjNS0_10empty_typeEbEEZZNS1_14partition_implILS8_3ELb0ES6_jNS0_17counting_iteratorIjlEEPS9_SE_NS0_5tupleIJPjSE_EEENSF_IJSE_SE_EEES9_SG_JZNS1_25segmented_radix_sort_implINS0_14default_configELb1EPKfPfPKlPlN2at6native12_GLOBAL__N_18offset_tEEE10hipError_tPvRmT1_PNSt15iterator_traitsISY_E10value_typeET2_T3_PNSZ_IS14_E10value_typeET4_jRbjT5_S1A_jjP12ihipStream_tbEUljE_EEESV_SW_SX_S14_S18_S1A_T6_T7_T9_mT8_S1C_bDpT10_ENKUlT_T0_E_clISt17integral_constantIbLb0EES1P_EEDaS1K_S1L_EUlS1K_E_NS1_11comp_targetILNS1_3genE3ELNS1_11target_archE908ELNS1_3gpuE7ELNS1_3repE0EEENS1_30default_config_static_selectorELNS0_4arch9wavefront6targetE0EEEvSY_.private_seg_size, 0
	.set _ZN7rocprim17ROCPRIM_400000_NS6detail17trampoline_kernelINS0_13select_configILj256ELj13ELNS0_17block_load_methodE3ELS4_3ELS4_3ELNS0_20block_scan_algorithmE0ELj4294967295EEENS1_25partition_config_selectorILNS1_17partition_subalgoE3EjNS0_10empty_typeEbEEZZNS1_14partition_implILS8_3ELb0ES6_jNS0_17counting_iteratorIjlEEPS9_SE_NS0_5tupleIJPjSE_EEENSF_IJSE_SE_EEES9_SG_JZNS1_25segmented_radix_sort_implINS0_14default_configELb1EPKfPfPKlPlN2at6native12_GLOBAL__N_18offset_tEEE10hipError_tPvRmT1_PNSt15iterator_traitsISY_E10value_typeET2_T3_PNSZ_IS14_E10value_typeET4_jRbjT5_S1A_jjP12ihipStream_tbEUljE_EEESV_SW_SX_S14_S18_S1A_T6_T7_T9_mT8_S1C_bDpT10_ENKUlT_T0_E_clISt17integral_constantIbLb0EES1P_EEDaS1K_S1L_EUlS1K_E_NS1_11comp_targetILNS1_3genE3ELNS1_11target_archE908ELNS1_3gpuE7ELNS1_3repE0EEENS1_30default_config_static_selectorELNS0_4arch9wavefront6targetE0EEEvSY_.uses_vcc, 0
	.set _ZN7rocprim17ROCPRIM_400000_NS6detail17trampoline_kernelINS0_13select_configILj256ELj13ELNS0_17block_load_methodE3ELS4_3ELS4_3ELNS0_20block_scan_algorithmE0ELj4294967295EEENS1_25partition_config_selectorILNS1_17partition_subalgoE3EjNS0_10empty_typeEbEEZZNS1_14partition_implILS8_3ELb0ES6_jNS0_17counting_iteratorIjlEEPS9_SE_NS0_5tupleIJPjSE_EEENSF_IJSE_SE_EEES9_SG_JZNS1_25segmented_radix_sort_implINS0_14default_configELb1EPKfPfPKlPlN2at6native12_GLOBAL__N_18offset_tEEE10hipError_tPvRmT1_PNSt15iterator_traitsISY_E10value_typeET2_T3_PNSZ_IS14_E10value_typeET4_jRbjT5_S1A_jjP12ihipStream_tbEUljE_EEESV_SW_SX_S14_S18_S1A_T6_T7_T9_mT8_S1C_bDpT10_ENKUlT_T0_E_clISt17integral_constantIbLb0EES1P_EEDaS1K_S1L_EUlS1K_E_NS1_11comp_targetILNS1_3genE3ELNS1_11target_archE908ELNS1_3gpuE7ELNS1_3repE0EEENS1_30default_config_static_selectorELNS0_4arch9wavefront6targetE0EEEvSY_.uses_flat_scratch, 0
	.set _ZN7rocprim17ROCPRIM_400000_NS6detail17trampoline_kernelINS0_13select_configILj256ELj13ELNS0_17block_load_methodE3ELS4_3ELS4_3ELNS0_20block_scan_algorithmE0ELj4294967295EEENS1_25partition_config_selectorILNS1_17partition_subalgoE3EjNS0_10empty_typeEbEEZZNS1_14partition_implILS8_3ELb0ES6_jNS0_17counting_iteratorIjlEEPS9_SE_NS0_5tupleIJPjSE_EEENSF_IJSE_SE_EEES9_SG_JZNS1_25segmented_radix_sort_implINS0_14default_configELb1EPKfPfPKlPlN2at6native12_GLOBAL__N_18offset_tEEE10hipError_tPvRmT1_PNSt15iterator_traitsISY_E10value_typeET2_T3_PNSZ_IS14_E10value_typeET4_jRbjT5_S1A_jjP12ihipStream_tbEUljE_EEESV_SW_SX_S14_S18_S1A_T6_T7_T9_mT8_S1C_bDpT10_ENKUlT_T0_E_clISt17integral_constantIbLb0EES1P_EEDaS1K_S1L_EUlS1K_E_NS1_11comp_targetILNS1_3genE3ELNS1_11target_archE908ELNS1_3gpuE7ELNS1_3repE0EEENS1_30default_config_static_selectorELNS0_4arch9wavefront6targetE0EEEvSY_.has_dyn_sized_stack, 0
	.set _ZN7rocprim17ROCPRIM_400000_NS6detail17trampoline_kernelINS0_13select_configILj256ELj13ELNS0_17block_load_methodE3ELS4_3ELS4_3ELNS0_20block_scan_algorithmE0ELj4294967295EEENS1_25partition_config_selectorILNS1_17partition_subalgoE3EjNS0_10empty_typeEbEEZZNS1_14partition_implILS8_3ELb0ES6_jNS0_17counting_iteratorIjlEEPS9_SE_NS0_5tupleIJPjSE_EEENSF_IJSE_SE_EEES9_SG_JZNS1_25segmented_radix_sort_implINS0_14default_configELb1EPKfPfPKlPlN2at6native12_GLOBAL__N_18offset_tEEE10hipError_tPvRmT1_PNSt15iterator_traitsISY_E10value_typeET2_T3_PNSZ_IS14_E10value_typeET4_jRbjT5_S1A_jjP12ihipStream_tbEUljE_EEESV_SW_SX_S14_S18_S1A_T6_T7_T9_mT8_S1C_bDpT10_ENKUlT_T0_E_clISt17integral_constantIbLb0EES1P_EEDaS1K_S1L_EUlS1K_E_NS1_11comp_targetILNS1_3genE3ELNS1_11target_archE908ELNS1_3gpuE7ELNS1_3repE0EEENS1_30default_config_static_selectorELNS0_4arch9wavefront6targetE0EEEvSY_.has_recursion, 0
	.set _ZN7rocprim17ROCPRIM_400000_NS6detail17trampoline_kernelINS0_13select_configILj256ELj13ELNS0_17block_load_methodE3ELS4_3ELS4_3ELNS0_20block_scan_algorithmE0ELj4294967295EEENS1_25partition_config_selectorILNS1_17partition_subalgoE3EjNS0_10empty_typeEbEEZZNS1_14partition_implILS8_3ELb0ES6_jNS0_17counting_iteratorIjlEEPS9_SE_NS0_5tupleIJPjSE_EEENSF_IJSE_SE_EEES9_SG_JZNS1_25segmented_radix_sort_implINS0_14default_configELb1EPKfPfPKlPlN2at6native12_GLOBAL__N_18offset_tEEE10hipError_tPvRmT1_PNSt15iterator_traitsISY_E10value_typeET2_T3_PNSZ_IS14_E10value_typeET4_jRbjT5_S1A_jjP12ihipStream_tbEUljE_EEESV_SW_SX_S14_S18_S1A_T6_T7_T9_mT8_S1C_bDpT10_ENKUlT_T0_E_clISt17integral_constantIbLb0EES1P_EEDaS1K_S1L_EUlS1K_E_NS1_11comp_targetILNS1_3genE3ELNS1_11target_archE908ELNS1_3gpuE7ELNS1_3repE0EEENS1_30default_config_static_selectorELNS0_4arch9wavefront6targetE0EEEvSY_.has_indirect_call, 0
	.section	.AMDGPU.csdata,"",@progbits
; Kernel info:
; codeLenInByte = 0
; TotalNumSgprs: 0
; NumVgprs: 0
; ScratchSize: 0
; MemoryBound: 0
; FloatMode: 240
; IeeeMode: 1
; LDSByteSize: 0 bytes/workgroup (compile time only)
; SGPRBlocks: 0
; VGPRBlocks: 0
; NumSGPRsForWavesPerEU: 1
; NumVGPRsForWavesPerEU: 1
; Occupancy: 16
; WaveLimiterHint : 0
; COMPUTE_PGM_RSRC2:SCRATCH_EN: 0
; COMPUTE_PGM_RSRC2:USER_SGPR: 6
; COMPUTE_PGM_RSRC2:TRAP_HANDLER: 0
; COMPUTE_PGM_RSRC2:TGID_X_EN: 1
; COMPUTE_PGM_RSRC2:TGID_Y_EN: 0
; COMPUTE_PGM_RSRC2:TGID_Z_EN: 0
; COMPUTE_PGM_RSRC2:TIDIG_COMP_CNT: 0
	.section	.text._ZN7rocprim17ROCPRIM_400000_NS6detail17trampoline_kernelINS0_13select_configILj256ELj13ELNS0_17block_load_methodE3ELS4_3ELS4_3ELNS0_20block_scan_algorithmE0ELj4294967295EEENS1_25partition_config_selectorILNS1_17partition_subalgoE3EjNS0_10empty_typeEbEEZZNS1_14partition_implILS8_3ELb0ES6_jNS0_17counting_iteratorIjlEEPS9_SE_NS0_5tupleIJPjSE_EEENSF_IJSE_SE_EEES9_SG_JZNS1_25segmented_radix_sort_implINS0_14default_configELb1EPKfPfPKlPlN2at6native12_GLOBAL__N_18offset_tEEE10hipError_tPvRmT1_PNSt15iterator_traitsISY_E10value_typeET2_T3_PNSZ_IS14_E10value_typeET4_jRbjT5_S1A_jjP12ihipStream_tbEUljE_EEESV_SW_SX_S14_S18_S1A_T6_T7_T9_mT8_S1C_bDpT10_ENKUlT_T0_E_clISt17integral_constantIbLb0EES1P_EEDaS1K_S1L_EUlS1K_E_NS1_11comp_targetILNS1_3genE2ELNS1_11target_archE906ELNS1_3gpuE6ELNS1_3repE0EEENS1_30default_config_static_selectorELNS0_4arch9wavefront6targetE0EEEvSY_,"axG",@progbits,_ZN7rocprim17ROCPRIM_400000_NS6detail17trampoline_kernelINS0_13select_configILj256ELj13ELNS0_17block_load_methodE3ELS4_3ELS4_3ELNS0_20block_scan_algorithmE0ELj4294967295EEENS1_25partition_config_selectorILNS1_17partition_subalgoE3EjNS0_10empty_typeEbEEZZNS1_14partition_implILS8_3ELb0ES6_jNS0_17counting_iteratorIjlEEPS9_SE_NS0_5tupleIJPjSE_EEENSF_IJSE_SE_EEES9_SG_JZNS1_25segmented_radix_sort_implINS0_14default_configELb1EPKfPfPKlPlN2at6native12_GLOBAL__N_18offset_tEEE10hipError_tPvRmT1_PNSt15iterator_traitsISY_E10value_typeET2_T3_PNSZ_IS14_E10value_typeET4_jRbjT5_S1A_jjP12ihipStream_tbEUljE_EEESV_SW_SX_S14_S18_S1A_T6_T7_T9_mT8_S1C_bDpT10_ENKUlT_T0_E_clISt17integral_constantIbLb0EES1P_EEDaS1K_S1L_EUlS1K_E_NS1_11comp_targetILNS1_3genE2ELNS1_11target_archE906ELNS1_3gpuE6ELNS1_3repE0EEENS1_30default_config_static_selectorELNS0_4arch9wavefront6targetE0EEEvSY_,comdat
	.globl	_ZN7rocprim17ROCPRIM_400000_NS6detail17trampoline_kernelINS0_13select_configILj256ELj13ELNS0_17block_load_methodE3ELS4_3ELS4_3ELNS0_20block_scan_algorithmE0ELj4294967295EEENS1_25partition_config_selectorILNS1_17partition_subalgoE3EjNS0_10empty_typeEbEEZZNS1_14partition_implILS8_3ELb0ES6_jNS0_17counting_iteratorIjlEEPS9_SE_NS0_5tupleIJPjSE_EEENSF_IJSE_SE_EEES9_SG_JZNS1_25segmented_radix_sort_implINS0_14default_configELb1EPKfPfPKlPlN2at6native12_GLOBAL__N_18offset_tEEE10hipError_tPvRmT1_PNSt15iterator_traitsISY_E10value_typeET2_T3_PNSZ_IS14_E10value_typeET4_jRbjT5_S1A_jjP12ihipStream_tbEUljE_EEESV_SW_SX_S14_S18_S1A_T6_T7_T9_mT8_S1C_bDpT10_ENKUlT_T0_E_clISt17integral_constantIbLb0EES1P_EEDaS1K_S1L_EUlS1K_E_NS1_11comp_targetILNS1_3genE2ELNS1_11target_archE906ELNS1_3gpuE6ELNS1_3repE0EEENS1_30default_config_static_selectorELNS0_4arch9wavefront6targetE0EEEvSY_ ; -- Begin function _ZN7rocprim17ROCPRIM_400000_NS6detail17trampoline_kernelINS0_13select_configILj256ELj13ELNS0_17block_load_methodE3ELS4_3ELS4_3ELNS0_20block_scan_algorithmE0ELj4294967295EEENS1_25partition_config_selectorILNS1_17partition_subalgoE3EjNS0_10empty_typeEbEEZZNS1_14partition_implILS8_3ELb0ES6_jNS0_17counting_iteratorIjlEEPS9_SE_NS0_5tupleIJPjSE_EEENSF_IJSE_SE_EEES9_SG_JZNS1_25segmented_radix_sort_implINS0_14default_configELb1EPKfPfPKlPlN2at6native12_GLOBAL__N_18offset_tEEE10hipError_tPvRmT1_PNSt15iterator_traitsISY_E10value_typeET2_T3_PNSZ_IS14_E10value_typeET4_jRbjT5_S1A_jjP12ihipStream_tbEUljE_EEESV_SW_SX_S14_S18_S1A_T6_T7_T9_mT8_S1C_bDpT10_ENKUlT_T0_E_clISt17integral_constantIbLb0EES1P_EEDaS1K_S1L_EUlS1K_E_NS1_11comp_targetILNS1_3genE2ELNS1_11target_archE906ELNS1_3gpuE6ELNS1_3repE0EEENS1_30default_config_static_selectorELNS0_4arch9wavefront6targetE0EEEvSY_
	.p2align	8
	.type	_ZN7rocprim17ROCPRIM_400000_NS6detail17trampoline_kernelINS0_13select_configILj256ELj13ELNS0_17block_load_methodE3ELS4_3ELS4_3ELNS0_20block_scan_algorithmE0ELj4294967295EEENS1_25partition_config_selectorILNS1_17partition_subalgoE3EjNS0_10empty_typeEbEEZZNS1_14partition_implILS8_3ELb0ES6_jNS0_17counting_iteratorIjlEEPS9_SE_NS0_5tupleIJPjSE_EEENSF_IJSE_SE_EEES9_SG_JZNS1_25segmented_radix_sort_implINS0_14default_configELb1EPKfPfPKlPlN2at6native12_GLOBAL__N_18offset_tEEE10hipError_tPvRmT1_PNSt15iterator_traitsISY_E10value_typeET2_T3_PNSZ_IS14_E10value_typeET4_jRbjT5_S1A_jjP12ihipStream_tbEUljE_EEESV_SW_SX_S14_S18_S1A_T6_T7_T9_mT8_S1C_bDpT10_ENKUlT_T0_E_clISt17integral_constantIbLb0EES1P_EEDaS1K_S1L_EUlS1K_E_NS1_11comp_targetILNS1_3genE2ELNS1_11target_archE906ELNS1_3gpuE6ELNS1_3repE0EEENS1_30default_config_static_selectorELNS0_4arch9wavefront6targetE0EEEvSY_,@function
_ZN7rocprim17ROCPRIM_400000_NS6detail17trampoline_kernelINS0_13select_configILj256ELj13ELNS0_17block_load_methodE3ELS4_3ELS4_3ELNS0_20block_scan_algorithmE0ELj4294967295EEENS1_25partition_config_selectorILNS1_17partition_subalgoE3EjNS0_10empty_typeEbEEZZNS1_14partition_implILS8_3ELb0ES6_jNS0_17counting_iteratorIjlEEPS9_SE_NS0_5tupleIJPjSE_EEENSF_IJSE_SE_EEES9_SG_JZNS1_25segmented_radix_sort_implINS0_14default_configELb1EPKfPfPKlPlN2at6native12_GLOBAL__N_18offset_tEEE10hipError_tPvRmT1_PNSt15iterator_traitsISY_E10value_typeET2_T3_PNSZ_IS14_E10value_typeET4_jRbjT5_S1A_jjP12ihipStream_tbEUljE_EEESV_SW_SX_S14_S18_S1A_T6_T7_T9_mT8_S1C_bDpT10_ENKUlT_T0_E_clISt17integral_constantIbLb0EES1P_EEDaS1K_S1L_EUlS1K_E_NS1_11comp_targetILNS1_3genE2ELNS1_11target_archE906ELNS1_3gpuE6ELNS1_3repE0EEENS1_30default_config_static_selectorELNS0_4arch9wavefront6targetE0EEEvSY_: ; @_ZN7rocprim17ROCPRIM_400000_NS6detail17trampoline_kernelINS0_13select_configILj256ELj13ELNS0_17block_load_methodE3ELS4_3ELS4_3ELNS0_20block_scan_algorithmE0ELj4294967295EEENS1_25partition_config_selectorILNS1_17partition_subalgoE3EjNS0_10empty_typeEbEEZZNS1_14partition_implILS8_3ELb0ES6_jNS0_17counting_iteratorIjlEEPS9_SE_NS0_5tupleIJPjSE_EEENSF_IJSE_SE_EEES9_SG_JZNS1_25segmented_radix_sort_implINS0_14default_configELb1EPKfPfPKlPlN2at6native12_GLOBAL__N_18offset_tEEE10hipError_tPvRmT1_PNSt15iterator_traitsISY_E10value_typeET2_T3_PNSZ_IS14_E10value_typeET4_jRbjT5_S1A_jjP12ihipStream_tbEUljE_EEESV_SW_SX_S14_S18_S1A_T6_T7_T9_mT8_S1C_bDpT10_ENKUlT_T0_E_clISt17integral_constantIbLb0EES1P_EEDaS1K_S1L_EUlS1K_E_NS1_11comp_targetILNS1_3genE2ELNS1_11target_archE906ELNS1_3gpuE6ELNS1_3repE0EEENS1_30default_config_static_selectorELNS0_4arch9wavefront6targetE0EEEvSY_
; %bb.0:
	.section	.rodata,"a",@progbits
	.p2align	6, 0x0
	.amdhsa_kernel _ZN7rocprim17ROCPRIM_400000_NS6detail17trampoline_kernelINS0_13select_configILj256ELj13ELNS0_17block_load_methodE3ELS4_3ELS4_3ELNS0_20block_scan_algorithmE0ELj4294967295EEENS1_25partition_config_selectorILNS1_17partition_subalgoE3EjNS0_10empty_typeEbEEZZNS1_14partition_implILS8_3ELb0ES6_jNS0_17counting_iteratorIjlEEPS9_SE_NS0_5tupleIJPjSE_EEENSF_IJSE_SE_EEES9_SG_JZNS1_25segmented_radix_sort_implINS0_14default_configELb1EPKfPfPKlPlN2at6native12_GLOBAL__N_18offset_tEEE10hipError_tPvRmT1_PNSt15iterator_traitsISY_E10value_typeET2_T3_PNSZ_IS14_E10value_typeET4_jRbjT5_S1A_jjP12ihipStream_tbEUljE_EEESV_SW_SX_S14_S18_S1A_T6_T7_T9_mT8_S1C_bDpT10_ENKUlT_T0_E_clISt17integral_constantIbLb0EES1P_EEDaS1K_S1L_EUlS1K_E_NS1_11comp_targetILNS1_3genE2ELNS1_11target_archE906ELNS1_3gpuE6ELNS1_3repE0EEENS1_30default_config_static_selectorELNS0_4arch9wavefront6targetE0EEEvSY_
		.amdhsa_group_segment_fixed_size 0
		.amdhsa_private_segment_fixed_size 0
		.amdhsa_kernarg_size 144
		.amdhsa_user_sgpr_count 6
		.amdhsa_user_sgpr_private_segment_buffer 1
		.amdhsa_user_sgpr_dispatch_ptr 0
		.amdhsa_user_sgpr_queue_ptr 0
		.amdhsa_user_sgpr_kernarg_segment_ptr 1
		.amdhsa_user_sgpr_dispatch_id 0
		.amdhsa_user_sgpr_flat_scratch_init 0
		.amdhsa_user_sgpr_private_segment_size 0
		.amdhsa_wavefront_size32 1
		.amdhsa_uses_dynamic_stack 0
		.amdhsa_system_sgpr_private_segment_wavefront_offset 0
		.amdhsa_system_sgpr_workgroup_id_x 1
		.amdhsa_system_sgpr_workgroup_id_y 0
		.amdhsa_system_sgpr_workgroup_id_z 0
		.amdhsa_system_sgpr_workgroup_info 0
		.amdhsa_system_vgpr_workitem_id 0
		.amdhsa_next_free_vgpr 1
		.amdhsa_next_free_sgpr 1
		.amdhsa_reserve_vcc 0
		.amdhsa_reserve_flat_scratch 0
		.amdhsa_float_round_mode_32 0
		.amdhsa_float_round_mode_16_64 0
		.amdhsa_float_denorm_mode_32 3
		.amdhsa_float_denorm_mode_16_64 3
		.amdhsa_dx10_clamp 1
		.amdhsa_ieee_mode 1
		.amdhsa_fp16_overflow 0
		.amdhsa_workgroup_processor_mode 1
		.amdhsa_memory_ordered 1
		.amdhsa_forward_progress 1
		.amdhsa_shared_vgpr_count 0
		.amdhsa_exception_fp_ieee_invalid_op 0
		.amdhsa_exception_fp_denorm_src 0
		.amdhsa_exception_fp_ieee_div_zero 0
		.amdhsa_exception_fp_ieee_overflow 0
		.amdhsa_exception_fp_ieee_underflow 0
		.amdhsa_exception_fp_ieee_inexact 0
		.amdhsa_exception_int_div_zero 0
	.end_amdhsa_kernel
	.section	.text._ZN7rocprim17ROCPRIM_400000_NS6detail17trampoline_kernelINS0_13select_configILj256ELj13ELNS0_17block_load_methodE3ELS4_3ELS4_3ELNS0_20block_scan_algorithmE0ELj4294967295EEENS1_25partition_config_selectorILNS1_17partition_subalgoE3EjNS0_10empty_typeEbEEZZNS1_14partition_implILS8_3ELb0ES6_jNS0_17counting_iteratorIjlEEPS9_SE_NS0_5tupleIJPjSE_EEENSF_IJSE_SE_EEES9_SG_JZNS1_25segmented_radix_sort_implINS0_14default_configELb1EPKfPfPKlPlN2at6native12_GLOBAL__N_18offset_tEEE10hipError_tPvRmT1_PNSt15iterator_traitsISY_E10value_typeET2_T3_PNSZ_IS14_E10value_typeET4_jRbjT5_S1A_jjP12ihipStream_tbEUljE_EEESV_SW_SX_S14_S18_S1A_T6_T7_T9_mT8_S1C_bDpT10_ENKUlT_T0_E_clISt17integral_constantIbLb0EES1P_EEDaS1K_S1L_EUlS1K_E_NS1_11comp_targetILNS1_3genE2ELNS1_11target_archE906ELNS1_3gpuE6ELNS1_3repE0EEENS1_30default_config_static_selectorELNS0_4arch9wavefront6targetE0EEEvSY_,"axG",@progbits,_ZN7rocprim17ROCPRIM_400000_NS6detail17trampoline_kernelINS0_13select_configILj256ELj13ELNS0_17block_load_methodE3ELS4_3ELS4_3ELNS0_20block_scan_algorithmE0ELj4294967295EEENS1_25partition_config_selectorILNS1_17partition_subalgoE3EjNS0_10empty_typeEbEEZZNS1_14partition_implILS8_3ELb0ES6_jNS0_17counting_iteratorIjlEEPS9_SE_NS0_5tupleIJPjSE_EEENSF_IJSE_SE_EEES9_SG_JZNS1_25segmented_radix_sort_implINS0_14default_configELb1EPKfPfPKlPlN2at6native12_GLOBAL__N_18offset_tEEE10hipError_tPvRmT1_PNSt15iterator_traitsISY_E10value_typeET2_T3_PNSZ_IS14_E10value_typeET4_jRbjT5_S1A_jjP12ihipStream_tbEUljE_EEESV_SW_SX_S14_S18_S1A_T6_T7_T9_mT8_S1C_bDpT10_ENKUlT_T0_E_clISt17integral_constantIbLb0EES1P_EEDaS1K_S1L_EUlS1K_E_NS1_11comp_targetILNS1_3genE2ELNS1_11target_archE906ELNS1_3gpuE6ELNS1_3repE0EEENS1_30default_config_static_selectorELNS0_4arch9wavefront6targetE0EEEvSY_,comdat
.Lfunc_end1289:
	.size	_ZN7rocprim17ROCPRIM_400000_NS6detail17trampoline_kernelINS0_13select_configILj256ELj13ELNS0_17block_load_methodE3ELS4_3ELS4_3ELNS0_20block_scan_algorithmE0ELj4294967295EEENS1_25partition_config_selectorILNS1_17partition_subalgoE3EjNS0_10empty_typeEbEEZZNS1_14partition_implILS8_3ELb0ES6_jNS0_17counting_iteratorIjlEEPS9_SE_NS0_5tupleIJPjSE_EEENSF_IJSE_SE_EEES9_SG_JZNS1_25segmented_radix_sort_implINS0_14default_configELb1EPKfPfPKlPlN2at6native12_GLOBAL__N_18offset_tEEE10hipError_tPvRmT1_PNSt15iterator_traitsISY_E10value_typeET2_T3_PNSZ_IS14_E10value_typeET4_jRbjT5_S1A_jjP12ihipStream_tbEUljE_EEESV_SW_SX_S14_S18_S1A_T6_T7_T9_mT8_S1C_bDpT10_ENKUlT_T0_E_clISt17integral_constantIbLb0EES1P_EEDaS1K_S1L_EUlS1K_E_NS1_11comp_targetILNS1_3genE2ELNS1_11target_archE906ELNS1_3gpuE6ELNS1_3repE0EEENS1_30default_config_static_selectorELNS0_4arch9wavefront6targetE0EEEvSY_, .Lfunc_end1289-_ZN7rocprim17ROCPRIM_400000_NS6detail17trampoline_kernelINS0_13select_configILj256ELj13ELNS0_17block_load_methodE3ELS4_3ELS4_3ELNS0_20block_scan_algorithmE0ELj4294967295EEENS1_25partition_config_selectorILNS1_17partition_subalgoE3EjNS0_10empty_typeEbEEZZNS1_14partition_implILS8_3ELb0ES6_jNS0_17counting_iteratorIjlEEPS9_SE_NS0_5tupleIJPjSE_EEENSF_IJSE_SE_EEES9_SG_JZNS1_25segmented_radix_sort_implINS0_14default_configELb1EPKfPfPKlPlN2at6native12_GLOBAL__N_18offset_tEEE10hipError_tPvRmT1_PNSt15iterator_traitsISY_E10value_typeET2_T3_PNSZ_IS14_E10value_typeET4_jRbjT5_S1A_jjP12ihipStream_tbEUljE_EEESV_SW_SX_S14_S18_S1A_T6_T7_T9_mT8_S1C_bDpT10_ENKUlT_T0_E_clISt17integral_constantIbLb0EES1P_EEDaS1K_S1L_EUlS1K_E_NS1_11comp_targetILNS1_3genE2ELNS1_11target_archE906ELNS1_3gpuE6ELNS1_3repE0EEENS1_30default_config_static_selectorELNS0_4arch9wavefront6targetE0EEEvSY_
                                        ; -- End function
	.set _ZN7rocprim17ROCPRIM_400000_NS6detail17trampoline_kernelINS0_13select_configILj256ELj13ELNS0_17block_load_methodE3ELS4_3ELS4_3ELNS0_20block_scan_algorithmE0ELj4294967295EEENS1_25partition_config_selectorILNS1_17partition_subalgoE3EjNS0_10empty_typeEbEEZZNS1_14partition_implILS8_3ELb0ES6_jNS0_17counting_iteratorIjlEEPS9_SE_NS0_5tupleIJPjSE_EEENSF_IJSE_SE_EEES9_SG_JZNS1_25segmented_radix_sort_implINS0_14default_configELb1EPKfPfPKlPlN2at6native12_GLOBAL__N_18offset_tEEE10hipError_tPvRmT1_PNSt15iterator_traitsISY_E10value_typeET2_T3_PNSZ_IS14_E10value_typeET4_jRbjT5_S1A_jjP12ihipStream_tbEUljE_EEESV_SW_SX_S14_S18_S1A_T6_T7_T9_mT8_S1C_bDpT10_ENKUlT_T0_E_clISt17integral_constantIbLb0EES1P_EEDaS1K_S1L_EUlS1K_E_NS1_11comp_targetILNS1_3genE2ELNS1_11target_archE906ELNS1_3gpuE6ELNS1_3repE0EEENS1_30default_config_static_selectorELNS0_4arch9wavefront6targetE0EEEvSY_.num_vgpr, 0
	.set _ZN7rocprim17ROCPRIM_400000_NS6detail17trampoline_kernelINS0_13select_configILj256ELj13ELNS0_17block_load_methodE3ELS4_3ELS4_3ELNS0_20block_scan_algorithmE0ELj4294967295EEENS1_25partition_config_selectorILNS1_17partition_subalgoE3EjNS0_10empty_typeEbEEZZNS1_14partition_implILS8_3ELb0ES6_jNS0_17counting_iteratorIjlEEPS9_SE_NS0_5tupleIJPjSE_EEENSF_IJSE_SE_EEES9_SG_JZNS1_25segmented_radix_sort_implINS0_14default_configELb1EPKfPfPKlPlN2at6native12_GLOBAL__N_18offset_tEEE10hipError_tPvRmT1_PNSt15iterator_traitsISY_E10value_typeET2_T3_PNSZ_IS14_E10value_typeET4_jRbjT5_S1A_jjP12ihipStream_tbEUljE_EEESV_SW_SX_S14_S18_S1A_T6_T7_T9_mT8_S1C_bDpT10_ENKUlT_T0_E_clISt17integral_constantIbLb0EES1P_EEDaS1K_S1L_EUlS1K_E_NS1_11comp_targetILNS1_3genE2ELNS1_11target_archE906ELNS1_3gpuE6ELNS1_3repE0EEENS1_30default_config_static_selectorELNS0_4arch9wavefront6targetE0EEEvSY_.num_agpr, 0
	.set _ZN7rocprim17ROCPRIM_400000_NS6detail17trampoline_kernelINS0_13select_configILj256ELj13ELNS0_17block_load_methodE3ELS4_3ELS4_3ELNS0_20block_scan_algorithmE0ELj4294967295EEENS1_25partition_config_selectorILNS1_17partition_subalgoE3EjNS0_10empty_typeEbEEZZNS1_14partition_implILS8_3ELb0ES6_jNS0_17counting_iteratorIjlEEPS9_SE_NS0_5tupleIJPjSE_EEENSF_IJSE_SE_EEES9_SG_JZNS1_25segmented_radix_sort_implINS0_14default_configELb1EPKfPfPKlPlN2at6native12_GLOBAL__N_18offset_tEEE10hipError_tPvRmT1_PNSt15iterator_traitsISY_E10value_typeET2_T3_PNSZ_IS14_E10value_typeET4_jRbjT5_S1A_jjP12ihipStream_tbEUljE_EEESV_SW_SX_S14_S18_S1A_T6_T7_T9_mT8_S1C_bDpT10_ENKUlT_T0_E_clISt17integral_constantIbLb0EES1P_EEDaS1K_S1L_EUlS1K_E_NS1_11comp_targetILNS1_3genE2ELNS1_11target_archE906ELNS1_3gpuE6ELNS1_3repE0EEENS1_30default_config_static_selectorELNS0_4arch9wavefront6targetE0EEEvSY_.numbered_sgpr, 0
	.set _ZN7rocprim17ROCPRIM_400000_NS6detail17trampoline_kernelINS0_13select_configILj256ELj13ELNS0_17block_load_methodE3ELS4_3ELS4_3ELNS0_20block_scan_algorithmE0ELj4294967295EEENS1_25partition_config_selectorILNS1_17partition_subalgoE3EjNS0_10empty_typeEbEEZZNS1_14partition_implILS8_3ELb0ES6_jNS0_17counting_iteratorIjlEEPS9_SE_NS0_5tupleIJPjSE_EEENSF_IJSE_SE_EEES9_SG_JZNS1_25segmented_radix_sort_implINS0_14default_configELb1EPKfPfPKlPlN2at6native12_GLOBAL__N_18offset_tEEE10hipError_tPvRmT1_PNSt15iterator_traitsISY_E10value_typeET2_T3_PNSZ_IS14_E10value_typeET4_jRbjT5_S1A_jjP12ihipStream_tbEUljE_EEESV_SW_SX_S14_S18_S1A_T6_T7_T9_mT8_S1C_bDpT10_ENKUlT_T0_E_clISt17integral_constantIbLb0EES1P_EEDaS1K_S1L_EUlS1K_E_NS1_11comp_targetILNS1_3genE2ELNS1_11target_archE906ELNS1_3gpuE6ELNS1_3repE0EEENS1_30default_config_static_selectorELNS0_4arch9wavefront6targetE0EEEvSY_.num_named_barrier, 0
	.set _ZN7rocprim17ROCPRIM_400000_NS6detail17trampoline_kernelINS0_13select_configILj256ELj13ELNS0_17block_load_methodE3ELS4_3ELS4_3ELNS0_20block_scan_algorithmE0ELj4294967295EEENS1_25partition_config_selectorILNS1_17partition_subalgoE3EjNS0_10empty_typeEbEEZZNS1_14partition_implILS8_3ELb0ES6_jNS0_17counting_iteratorIjlEEPS9_SE_NS0_5tupleIJPjSE_EEENSF_IJSE_SE_EEES9_SG_JZNS1_25segmented_radix_sort_implINS0_14default_configELb1EPKfPfPKlPlN2at6native12_GLOBAL__N_18offset_tEEE10hipError_tPvRmT1_PNSt15iterator_traitsISY_E10value_typeET2_T3_PNSZ_IS14_E10value_typeET4_jRbjT5_S1A_jjP12ihipStream_tbEUljE_EEESV_SW_SX_S14_S18_S1A_T6_T7_T9_mT8_S1C_bDpT10_ENKUlT_T0_E_clISt17integral_constantIbLb0EES1P_EEDaS1K_S1L_EUlS1K_E_NS1_11comp_targetILNS1_3genE2ELNS1_11target_archE906ELNS1_3gpuE6ELNS1_3repE0EEENS1_30default_config_static_selectorELNS0_4arch9wavefront6targetE0EEEvSY_.private_seg_size, 0
	.set _ZN7rocprim17ROCPRIM_400000_NS6detail17trampoline_kernelINS0_13select_configILj256ELj13ELNS0_17block_load_methodE3ELS4_3ELS4_3ELNS0_20block_scan_algorithmE0ELj4294967295EEENS1_25partition_config_selectorILNS1_17partition_subalgoE3EjNS0_10empty_typeEbEEZZNS1_14partition_implILS8_3ELb0ES6_jNS0_17counting_iteratorIjlEEPS9_SE_NS0_5tupleIJPjSE_EEENSF_IJSE_SE_EEES9_SG_JZNS1_25segmented_radix_sort_implINS0_14default_configELb1EPKfPfPKlPlN2at6native12_GLOBAL__N_18offset_tEEE10hipError_tPvRmT1_PNSt15iterator_traitsISY_E10value_typeET2_T3_PNSZ_IS14_E10value_typeET4_jRbjT5_S1A_jjP12ihipStream_tbEUljE_EEESV_SW_SX_S14_S18_S1A_T6_T7_T9_mT8_S1C_bDpT10_ENKUlT_T0_E_clISt17integral_constantIbLb0EES1P_EEDaS1K_S1L_EUlS1K_E_NS1_11comp_targetILNS1_3genE2ELNS1_11target_archE906ELNS1_3gpuE6ELNS1_3repE0EEENS1_30default_config_static_selectorELNS0_4arch9wavefront6targetE0EEEvSY_.uses_vcc, 0
	.set _ZN7rocprim17ROCPRIM_400000_NS6detail17trampoline_kernelINS0_13select_configILj256ELj13ELNS0_17block_load_methodE3ELS4_3ELS4_3ELNS0_20block_scan_algorithmE0ELj4294967295EEENS1_25partition_config_selectorILNS1_17partition_subalgoE3EjNS0_10empty_typeEbEEZZNS1_14partition_implILS8_3ELb0ES6_jNS0_17counting_iteratorIjlEEPS9_SE_NS0_5tupleIJPjSE_EEENSF_IJSE_SE_EEES9_SG_JZNS1_25segmented_radix_sort_implINS0_14default_configELb1EPKfPfPKlPlN2at6native12_GLOBAL__N_18offset_tEEE10hipError_tPvRmT1_PNSt15iterator_traitsISY_E10value_typeET2_T3_PNSZ_IS14_E10value_typeET4_jRbjT5_S1A_jjP12ihipStream_tbEUljE_EEESV_SW_SX_S14_S18_S1A_T6_T7_T9_mT8_S1C_bDpT10_ENKUlT_T0_E_clISt17integral_constantIbLb0EES1P_EEDaS1K_S1L_EUlS1K_E_NS1_11comp_targetILNS1_3genE2ELNS1_11target_archE906ELNS1_3gpuE6ELNS1_3repE0EEENS1_30default_config_static_selectorELNS0_4arch9wavefront6targetE0EEEvSY_.uses_flat_scratch, 0
	.set _ZN7rocprim17ROCPRIM_400000_NS6detail17trampoline_kernelINS0_13select_configILj256ELj13ELNS0_17block_load_methodE3ELS4_3ELS4_3ELNS0_20block_scan_algorithmE0ELj4294967295EEENS1_25partition_config_selectorILNS1_17partition_subalgoE3EjNS0_10empty_typeEbEEZZNS1_14partition_implILS8_3ELb0ES6_jNS0_17counting_iteratorIjlEEPS9_SE_NS0_5tupleIJPjSE_EEENSF_IJSE_SE_EEES9_SG_JZNS1_25segmented_radix_sort_implINS0_14default_configELb1EPKfPfPKlPlN2at6native12_GLOBAL__N_18offset_tEEE10hipError_tPvRmT1_PNSt15iterator_traitsISY_E10value_typeET2_T3_PNSZ_IS14_E10value_typeET4_jRbjT5_S1A_jjP12ihipStream_tbEUljE_EEESV_SW_SX_S14_S18_S1A_T6_T7_T9_mT8_S1C_bDpT10_ENKUlT_T0_E_clISt17integral_constantIbLb0EES1P_EEDaS1K_S1L_EUlS1K_E_NS1_11comp_targetILNS1_3genE2ELNS1_11target_archE906ELNS1_3gpuE6ELNS1_3repE0EEENS1_30default_config_static_selectorELNS0_4arch9wavefront6targetE0EEEvSY_.has_dyn_sized_stack, 0
	.set _ZN7rocprim17ROCPRIM_400000_NS6detail17trampoline_kernelINS0_13select_configILj256ELj13ELNS0_17block_load_methodE3ELS4_3ELS4_3ELNS0_20block_scan_algorithmE0ELj4294967295EEENS1_25partition_config_selectorILNS1_17partition_subalgoE3EjNS0_10empty_typeEbEEZZNS1_14partition_implILS8_3ELb0ES6_jNS0_17counting_iteratorIjlEEPS9_SE_NS0_5tupleIJPjSE_EEENSF_IJSE_SE_EEES9_SG_JZNS1_25segmented_radix_sort_implINS0_14default_configELb1EPKfPfPKlPlN2at6native12_GLOBAL__N_18offset_tEEE10hipError_tPvRmT1_PNSt15iterator_traitsISY_E10value_typeET2_T3_PNSZ_IS14_E10value_typeET4_jRbjT5_S1A_jjP12ihipStream_tbEUljE_EEESV_SW_SX_S14_S18_S1A_T6_T7_T9_mT8_S1C_bDpT10_ENKUlT_T0_E_clISt17integral_constantIbLb0EES1P_EEDaS1K_S1L_EUlS1K_E_NS1_11comp_targetILNS1_3genE2ELNS1_11target_archE906ELNS1_3gpuE6ELNS1_3repE0EEENS1_30default_config_static_selectorELNS0_4arch9wavefront6targetE0EEEvSY_.has_recursion, 0
	.set _ZN7rocprim17ROCPRIM_400000_NS6detail17trampoline_kernelINS0_13select_configILj256ELj13ELNS0_17block_load_methodE3ELS4_3ELS4_3ELNS0_20block_scan_algorithmE0ELj4294967295EEENS1_25partition_config_selectorILNS1_17partition_subalgoE3EjNS0_10empty_typeEbEEZZNS1_14partition_implILS8_3ELb0ES6_jNS0_17counting_iteratorIjlEEPS9_SE_NS0_5tupleIJPjSE_EEENSF_IJSE_SE_EEES9_SG_JZNS1_25segmented_radix_sort_implINS0_14default_configELb1EPKfPfPKlPlN2at6native12_GLOBAL__N_18offset_tEEE10hipError_tPvRmT1_PNSt15iterator_traitsISY_E10value_typeET2_T3_PNSZ_IS14_E10value_typeET4_jRbjT5_S1A_jjP12ihipStream_tbEUljE_EEESV_SW_SX_S14_S18_S1A_T6_T7_T9_mT8_S1C_bDpT10_ENKUlT_T0_E_clISt17integral_constantIbLb0EES1P_EEDaS1K_S1L_EUlS1K_E_NS1_11comp_targetILNS1_3genE2ELNS1_11target_archE906ELNS1_3gpuE6ELNS1_3repE0EEENS1_30default_config_static_selectorELNS0_4arch9wavefront6targetE0EEEvSY_.has_indirect_call, 0
	.section	.AMDGPU.csdata,"",@progbits
; Kernel info:
; codeLenInByte = 0
; TotalNumSgprs: 0
; NumVgprs: 0
; ScratchSize: 0
; MemoryBound: 0
; FloatMode: 240
; IeeeMode: 1
; LDSByteSize: 0 bytes/workgroup (compile time only)
; SGPRBlocks: 0
; VGPRBlocks: 0
; NumSGPRsForWavesPerEU: 1
; NumVGPRsForWavesPerEU: 1
; Occupancy: 16
; WaveLimiterHint : 0
; COMPUTE_PGM_RSRC2:SCRATCH_EN: 0
; COMPUTE_PGM_RSRC2:USER_SGPR: 6
; COMPUTE_PGM_RSRC2:TRAP_HANDLER: 0
; COMPUTE_PGM_RSRC2:TGID_X_EN: 1
; COMPUTE_PGM_RSRC2:TGID_Y_EN: 0
; COMPUTE_PGM_RSRC2:TGID_Z_EN: 0
; COMPUTE_PGM_RSRC2:TIDIG_COMP_CNT: 0
	.section	.text._ZN7rocprim17ROCPRIM_400000_NS6detail17trampoline_kernelINS0_13select_configILj256ELj13ELNS0_17block_load_methodE3ELS4_3ELS4_3ELNS0_20block_scan_algorithmE0ELj4294967295EEENS1_25partition_config_selectorILNS1_17partition_subalgoE3EjNS0_10empty_typeEbEEZZNS1_14partition_implILS8_3ELb0ES6_jNS0_17counting_iteratorIjlEEPS9_SE_NS0_5tupleIJPjSE_EEENSF_IJSE_SE_EEES9_SG_JZNS1_25segmented_radix_sort_implINS0_14default_configELb1EPKfPfPKlPlN2at6native12_GLOBAL__N_18offset_tEEE10hipError_tPvRmT1_PNSt15iterator_traitsISY_E10value_typeET2_T3_PNSZ_IS14_E10value_typeET4_jRbjT5_S1A_jjP12ihipStream_tbEUljE_EEESV_SW_SX_S14_S18_S1A_T6_T7_T9_mT8_S1C_bDpT10_ENKUlT_T0_E_clISt17integral_constantIbLb0EES1P_EEDaS1K_S1L_EUlS1K_E_NS1_11comp_targetILNS1_3genE10ELNS1_11target_archE1200ELNS1_3gpuE4ELNS1_3repE0EEENS1_30default_config_static_selectorELNS0_4arch9wavefront6targetE0EEEvSY_,"axG",@progbits,_ZN7rocprim17ROCPRIM_400000_NS6detail17trampoline_kernelINS0_13select_configILj256ELj13ELNS0_17block_load_methodE3ELS4_3ELS4_3ELNS0_20block_scan_algorithmE0ELj4294967295EEENS1_25partition_config_selectorILNS1_17partition_subalgoE3EjNS0_10empty_typeEbEEZZNS1_14partition_implILS8_3ELb0ES6_jNS0_17counting_iteratorIjlEEPS9_SE_NS0_5tupleIJPjSE_EEENSF_IJSE_SE_EEES9_SG_JZNS1_25segmented_radix_sort_implINS0_14default_configELb1EPKfPfPKlPlN2at6native12_GLOBAL__N_18offset_tEEE10hipError_tPvRmT1_PNSt15iterator_traitsISY_E10value_typeET2_T3_PNSZ_IS14_E10value_typeET4_jRbjT5_S1A_jjP12ihipStream_tbEUljE_EEESV_SW_SX_S14_S18_S1A_T6_T7_T9_mT8_S1C_bDpT10_ENKUlT_T0_E_clISt17integral_constantIbLb0EES1P_EEDaS1K_S1L_EUlS1K_E_NS1_11comp_targetILNS1_3genE10ELNS1_11target_archE1200ELNS1_3gpuE4ELNS1_3repE0EEENS1_30default_config_static_selectorELNS0_4arch9wavefront6targetE0EEEvSY_,comdat
	.globl	_ZN7rocprim17ROCPRIM_400000_NS6detail17trampoline_kernelINS0_13select_configILj256ELj13ELNS0_17block_load_methodE3ELS4_3ELS4_3ELNS0_20block_scan_algorithmE0ELj4294967295EEENS1_25partition_config_selectorILNS1_17partition_subalgoE3EjNS0_10empty_typeEbEEZZNS1_14partition_implILS8_3ELb0ES6_jNS0_17counting_iteratorIjlEEPS9_SE_NS0_5tupleIJPjSE_EEENSF_IJSE_SE_EEES9_SG_JZNS1_25segmented_radix_sort_implINS0_14default_configELb1EPKfPfPKlPlN2at6native12_GLOBAL__N_18offset_tEEE10hipError_tPvRmT1_PNSt15iterator_traitsISY_E10value_typeET2_T3_PNSZ_IS14_E10value_typeET4_jRbjT5_S1A_jjP12ihipStream_tbEUljE_EEESV_SW_SX_S14_S18_S1A_T6_T7_T9_mT8_S1C_bDpT10_ENKUlT_T0_E_clISt17integral_constantIbLb0EES1P_EEDaS1K_S1L_EUlS1K_E_NS1_11comp_targetILNS1_3genE10ELNS1_11target_archE1200ELNS1_3gpuE4ELNS1_3repE0EEENS1_30default_config_static_selectorELNS0_4arch9wavefront6targetE0EEEvSY_ ; -- Begin function _ZN7rocprim17ROCPRIM_400000_NS6detail17trampoline_kernelINS0_13select_configILj256ELj13ELNS0_17block_load_methodE3ELS4_3ELS4_3ELNS0_20block_scan_algorithmE0ELj4294967295EEENS1_25partition_config_selectorILNS1_17partition_subalgoE3EjNS0_10empty_typeEbEEZZNS1_14partition_implILS8_3ELb0ES6_jNS0_17counting_iteratorIjlEEPS9_SE_NS0_5tupleIJPjSE_EEENSF_IJSE_SE_EEES9_SG_JZNS1_25segmented_radix_sort_implINS0_14default_configELb1EPKfPfPKlPlN2at6native12_GLOBAL__N_18offset_tEEE10hipError_tPvRmT1_PNSt15iterator_traitsISY_E10value_typeET2_T3_PNSZ_IS14_E10value_typeET4_jRbjT5_S1A_jjP12ihipStream_tbEUljE_EEESV_SW_SX_S14_S18_S1A_T6_T7_T9_mT8_S1C_bDpT10_ENKUlT_T0_E_clISt17integral_constantIbLb0EES1P_EEDaS1K_S1L_EUlS1K_E_NS1_11comp_targetILNS1_3genE10ELNS1_11target_archE1200ELNS1_3gpuE4ELNS1_3repE0EEENS1_30default_config_static_selectorELNS0_4arch9wavefront6targetE0EEEvSY_
	.p2align	8
	.type	_ZN7rocprim17ROCPRIM_400000_NS6detail17trampoline_kernelINS0_13select_configILj256ELj13ELNS0_17block_load_methodE3ELS4_3ELS4_3ELNS0_20block_scan_algorithmE0ELj4294967295EEENS1_25partition_config_selectorILNS1_17partition_subalgoE3EjNS0_10empty_typeEbEEZZNS1_14partition_implILS8_3ELb0ES6_jNS0_17counting_iteratorIjlEEPS9_SE_NS0_5tupleIJPjSE_EEENSF_IJSE_SE_EEES9_SG_JZNS1_25segmented_radix_sort_implINS0_14default_configELb1EPKfPfPKlPlN2at6native12_GLOBAL__N_18offset_tEEE10hipError_tPvRmT1_PNSt15iterator_traitsISY_E10value_typeET2_T3_PNSZ_IS14_E10value_typeET4_jRbjT5_S1A_jjP12ihipStream_tbEUljE_EEESV_SW_SX_S14_S18_S1A_T6_T7_T9_mT8_S1C_bDpT10_ENKUlT_T0_E_clISt17integral_constantIbLb0EES1P_EEDaS1K_S1L_EUlS1K_E_NS1_11comp_targetILNS1_3genE10ELNS1_11target_archE1200ELNS1_3gpuE4ELNS1_3repE0EEENS1_30default_config_static_selectorELNS0_4arch9wavefront6targetE0EEEvSY_,@function
_ZN7rocprim17ROCPRIM_400000_NS6detail17trampoline_kernelINS0_13select_configILj256ELj13ELNS0_17block_load_methodE3ELS4_3ELS4_3ELNS0_20block_scan_algorithmE0ELj4294967295EEENS1_25partition_config_selectorILNS1_17partition_subalgoE3EjNS0_10empty_typeEbEEZZNS1_14partition_implILS8_3ELb0ES6_jNS0_17counting_iteratorIjlEEPS9_SE_NS0_5tupleIJPjSE_EEENSF_IJSE_SE_EEES9_SG_JZNS1_25segmented_radix_sort_implINS0_14default_configELb1EPKfPfPKlPlN2at6native12_GLOBAL__N_18offset_tEEE10hipError_tPvRmT1_PNSt15iterator_traitsISY_E10value_typeET2_T3_PNSZ_IS14_E10value_typeET4_jRbjT5_S1A_jjP12ihipStream_tbEUljE_EEESV_SW_SX_S14_S18_S1A_T6_T7_T9_mT8_S1C_bDpT10_ENKUlT_T0_E_clISt17integral_constantIbLb0EES1P_EEDaS1K_S1L_EUlS1K_E_NS1_11comp_targetILNS1_3genE10ELNS1_11target_archE1200ELNS1_3gpuE4ELNS1_3repE0EEENS1_30default_config_static_selectorELNS0_4arch9wavefront6targetE0EEEvSY_: ; @_ZN7rocprim17ROCPRIM_400000_NS6detail17trampoline_kernelINS0_13select_configILj256ELj13ELNS0_17block_load_methodE3ELS4_3ELS4_3ELNS0_20block_scan_algorithmE0ELj4294967295EEENS1_25partition_config_selectorILNS1_17partition_subalgoE3EjNS0_10empty_typeEbEEZZNS1_14partition_implILS8_3ELb0ES6_jNS0_17counting_iteratorIjlEEPS9_SE_NS0_5tupleIJPjSE_EEENSF_IJSE_SE_EEES9_SG_JZNS1_25segmented_radix_sort_implINS0_14default_configELb1EPKfPfPKlPlN2at6native12_GLOBAL__N_18offset_tEEE10hipError_tPvRmT1_PNSt15iterator_traitsISY_E10value_typeET2_T3_PNSZ_IS14_E10value_typeET4_jRbjT5_S1A_jjP12ihipStream_tbEUljE_EEESV_SW_SX_S14_S18_S1A_T6_T7_T9_mT8_S1C_bDpT10_ENKUlT_T0_E_clISt17integral_constantIbLb0EES1P_EEDaS1K_S1L_EUlS1K_E_NS1_11comp_targetILNS1_3genE10ELNS1_11target_archE1200ELNS1_3gpuE4ELNS1_3repE0EEENS1_30default_config_static_selectorELNS0_4arch9wavefront6targetE0EEEvSY_
; %bb.0:
	.section	.rodata,"a",@progbits
	.p2align	6, 0x0
	.amdhsa_kernel _ZN7rocprim17ROCPRIM_400000_NS6detail17trampoline_kernelINS0_13select_configILj256ELj13ELNS0_17block_load_methodE3ELS4_3ELS4_3ELNS0_20block_scan_algorithmE0ELj4294967295EEENS1_25partition_config_selectorILNS1_17partition_subalgoE3EjNS0_10empty_typeEbEEZZNS1_14partition_implILS8_3ELb0ES6_jNS0_17counting_iteratorIjlEEPS9_SE_NS0_5tupleIJPjSE_EEENSF_IJSE_SE_EEES9_SG_JZNS1_25segmented_radix_sort_implINS0_14default_configELb1EPKfPfPKlPlN2at6native12_GLOBAL__N_18offset_tEEE10hipError_tPvRmT1_PNSt15iterator_traitsISY_E10value_typeET2_T3_PNSZ_IS14_E10value_typeET4_jRbjT5_S1A_jjP12ihipStream_tbEUljE_EEESV_SW_SX_S14_S18_S1A_T6_T7_T9_mT8_S1C_bDpT10_ENKUlT_T0_E_clISt17integral_constantIbLb0EES1P_EEDaS1K_S1L_EUlS1K_E_NS1_11comp_targetILNS1_3genE10ELNS1_11target_archE1200ELNS1_3gpuE4ELNS1_3repE0EEENS1_30default_config_static_selectorELNS0_4arch9wavefront6targetE0EEEvSY_
		.amdhsa_group_segment_fixed_size 0
		.amdhsa_private_segment_fixed_size 0
		.amdhsa_kernarg_size 144
		.amdhsa_user_sgpr_count 6
		.amdhsa_user_sgpr_private_segment_buffer 1
		.amdhsa_user_sgpr_dispatch_ptr 0
		.amdhsa_user_sgpr_queue_ptr 0
		.amdhsa_user_sgpr_kernarg_segment_ptr 1
		.amdhsa_user_sgpr_dispatch_id 0
		.amdhsa_user_sgpr_flat_scratch_init 0
		.amdhsa_user_sgpr_private_segment_size 0
		.amdhsa_wavefront_size32 1
		.amdhsa_uses_dynamic_stack 0
		.amdhsa_system_sgpr_private_segment_wavefront_offset 0
		.amdhsa_system_sgpr_workgroup_id_x 1
		.amdhsa_system_sgpr_workgroup_id_y 0
		.amdhsa_system_sgpr_workgroup_id_z 0
		.amdhsa_system_sgpr_workgroup_info 0
		.amdhsa_system_vgpr_workitem_id 0
		.amdhsa_next_free_vgpr 1
		.amdhsa_next_free_sgpr 1
		.amdhsa_reserve_vcc 0
		.amdhsa_reserve_flat_scratch 0
		.amdhsa_float_round_mode_32 0
		.amdhsa_float_round_mode_16_64 0
		.amdhsa_float_denorm_mode_32 3
		.amdhsa_float_denorm_mode_16_64 3
		.amdhsa_dx10_clamp 1
		.amdhsa_ieee_mode 1
		.amdhsa_fp16_overflow 0
		.amdhsa_workgroup_processor_mode 1
		.amdhsa_memory_ordered 1
		.amdhsa_forward_progress 1
		.amdhsa_shared_vgpr_count 0
		.amdhsa_exception_fp_ieee_invalid_op 0
		.amdhsa_exception_fp_denorm_src 0
		.amdhsa_exception_fp_ieee_div_zero 0
		.amdhsa_exception_fp_ieee_overflow 0
		.amdhsa_exception_fp_ieee_underflow 0
		.amdhsa_exception_fp_ieee_inexact 0
		.amdhsa_exception_int_div_zero 0
	.end_amdhsa_kernel
	.section	.text._ZN7rocprim17ROCPRIM_400000_NS6detail17trampoline_kernelINS0_13select_configILj256ELj13ELNS0_17block_load_methodE3ELS4_3ELS4_3ELNS0_20block_scan_algorithmE0ELj4294967295EEENS1_25partition_config_selectorILNS1_17partition_subalgoE3EjNS0_10empty_typeEbEEZZNS1_14partition_implILS8_3ELb0ES6_jNS0_17counting_iteratorIjlEEPS9_SE_NS0_5tupleIJPjSE_EEENSF_IJSE_SE_EEES9_SG_JZNS1_25segmented_radix_sort_implINS0_14default_configELb1EPKfPfPKlPlN2at6native12_GLOBAL__N_18offset_tEEE10hipError_tPvRmT1_PNSt15iterator_traitsISY_E10value_typeET2_T3_PNSZ_IS14_E10value_typeET4_jRbjT5_S1A_jjP12ihipStream_tbEUljE_EEESV_SW_SX_S14_S18_S1A_T6_T7_T9_mT8_S1C_bDpT10_ENKUlT_T0_E_clISt17integral_constantIbLb0EES1P_EEDaS1K_S1L_EUlS1K_E_NS1_11comp_targetILNS1_3genE10ELNS1_11target_archE1200ELNS1_3gpuE4ELNS1_3repE0EEENS1_30default_config_static_selectorELNS0_4arch9wavefront6targetE0EEEvSY_,"axG",@progbits,_ZN7rocprim17ROCPRIM_400000_NS6detail17trampoline_kernelINS0_13select_configILj256ELj13ELNS0_17block_load_methodE3ELS4_3ELS4_3ELNS0_20block_scan_algorithmE0ELj4294967295EEENS1_25partition_config_selectorILNS1_17partition_subalgoE3EjNS0_10empty_typeEbEEZZNS1_14partition_implILS8_3ELb0ES6_jNS0_17counting_iteratorIjlEEPS9_SE_NS0_5tupleIJPjSE_EEENSF_IJSE_SE_EEES9_SG_JZNS1_25segmented_radix_sort_implINS0_14default_configELb1EPKfPfPKlPlN2at6native12_GLOBAL__N_18offset_tEEE10hipError_tPvRmT1_PNSt15iterator_traitsISY_E10value_typeET2_T3_PNSZ_IS14_E10value_typeET4_jRbjT5_S1A_jjP12ihipStream_tbEUljE_EEESV_SW_SX_S14_S18_S1A_T6_T7_T9_mT8_S1C_bDpT10_ENKUlT_T0_E_clISt17integral_constantIbLb0EES1P_EEDaS1K_S1L_EUlS1K_E_NS1_11comp_targetILNS1_3genE10ELNS1_11target_archE1200ELNS1_3gpuE4ELNS1_3repE0EEENS1_30default_config_static_selectorELNS0_4arch9wavefront6targetE0EEEvSY_,comdat
.Lfunc_end1290:
	.size	_ZN7rocprim17ROCPRIM_400000_NS6detail17trampoline_kernelINS0_13select_configILj256ELj13ELNS0_17block_load_methodE3ELS4_3ELS4_3ELNS0_20block_scan_algorithmE0ELj4294967295EEENS1_25partition_config_selectorILNS1_17partition_subalgoE3EjNS0_10empty_typeEbEEZZNS1_14partition_implILS8_3ELb0ES6_jNS0_17counting_iteratorIjlEEPS9_SE_NS0_5tupleIJPjSE_EEENSF_IJSE_SE_EEES9_SG_JZNS1_25segmented_radix_sort_implINS0_14default_configELb1EPKfPfPKlPlN2at6native12_GLOBAL__N_18offset_tEEE10hipError_tPvRmT1_PNSt15iterator_traitsISY_E10value_typeET2_T3_PNSZ_IS14_E10value_typeET4_jRbjT5_S1A_jjP12ihipStream_tbEUljE_EEESV_SW_SX_S14_S18_S1A_T6_T7_T9_mT8_S1C_bDpT10_ENKUlT_T0_E_clISt17integral_constantIbLb0EES1P_EEDaS1K_S1L_EUlS1K_E_NS1_11comp_targetILNS1_3genE10ELNS1_11target_archE1200ELNS1_3gpuE4ELNS1_3repE0EEENS1_30default_config_static_selectorELNS0_4arch9wavefront6targetE0EEEvSY_, .Lfunc_end1290-_ZN7rocprim17ROCPRIM_400000_NS6detail17trampoline_kernelINS0_13select_configILj256ELj13ELNS0_17block_load_methodE3ELS4_3ELS4_3ELNS0_20block_scan_algorithmE0ELj4294967295EEENS1_25partition_config_selectorILNS1_17partition_subalgoE3EjNS0_10empty_typeEbEEZZNS1_14partition_implILS8_3ELb0ES6_jNS0_17counting_iteratorIjlEEPS9_SE_NS0_5tupleIJPjSE_EEENSF_IJSE_SE_EEES9_SG_JZNS1_25segmented_radix_sort_implINS0_14default_configELb1EPKfPfPKlPlN2at6native12_GLOBAL__N_18offset_tEEE10hipError_tPvRmT1_PNSt15iterator_traitsISY_E10value_typeET2_T3_PNSZ_IS14_E10value_typeET4_jRbjT5_S1A_jjP12ihipStream_tbEUljE_EEESV_SW_SX_S14_S18_S1A_T6_T7_T9_mT8_S1C_bDpT10_ENKUlT_T0_E_clISt17integral_constantIbLb0EES1P_EEDaS1K_S1L_EUlS1K_E_NS1_11comp_targetILNS1_3genE10ELNS1_11target_archE1200ELNS1_3gpuE4ELNS1_3repE0EEENS1_30default_config_static_selectorELNS0_4arch9wavefront6targetE0EEEvSY_
                                        ; -- End function
	.set _ZN7rocprim17ROCPRIM_400000_NS6detail17trampoline_kernelINS0_13select_configILj256ELj13ELNS0_17block_load_methodE3ELS4_3ELS4_3ELNS0_20block_scan_algorithmE0ELj4294967295EEENS1_25partition_config_selectorILNS1_17partition_subalgoE3EjNS0_10empty_typeEbEEZZNS1_14partition_implILS8_3ELb0ES6_jNS0_17counting_iteratorIjlEEPS9_SE_NS0_5tupleIJPjSE_EEENSF_IJSE_SE_EEES9_SG_JZNS1_25segmented_radix_sort_implINS0_14default_configELb1EPKfPfPKlPlN2at6native12_GLOBAL__N_18offset_tEEE10hipError_tPvRmT1_PNSt15iterator_traitsISY_E10value_typeET2_T3_PNSZ_IS14_E10value_typeET4_jRbjT5_S1A_jjP12ihipStream_tbEUljE_EEESV_SW_SX_S14_S18_S1A_T6_T7_T9_mT8_S1C_bDpT10_ENKUlT_T0_E_clISt17integral_constantIbLb0EES1P_EEDaS1K_S1L_EUlS1K_E_NS1_11comp_targetILNS1_3genE10ELNS1_11target_archE1200ELNS1_3gpuE4ELNS1_3repE0EEENS1_30default_config_static_selectorELNS0_4arch9wavefront6targetE0EEEvSY_.num_vgpr, 0
	.set _ZN7rocprim17ROCPRIM_400000_NS6detail17trampoline_kernelINS0_13select_configILj256ELj13ELNS0_17block_load_methodE3ELS4_3ELS4_3ELNS0_20block_scan_algorithmE0ELj4294967295EEENS1_25partition_config_selectorILNS1_17partition_subalgoE3EjNS0_10empty_typeEbEEZZNS1_14partition_implILS8_3ELb0ES6_jNS0_17counting_iteratorIjlEEPS9_SE_NS0_5tupleIJPjSE_EEENSF_IJSE_SE_EEES9_SG_JZNS1_25segmented_radix_sort_implINS0_14default_configELb1EPKfPfPKlPlN2at6native12_GLOBAL__N_18offset_tEEE10hipError_tPvRmT1_PNSt15iterator_traitsISY_E10value_typeET2_T3_PNSZ_IS14_E10value_typeET4_jRbjT5_S1A_jjP12ihipStream_tbEUljE_EEESV_SW_SX_S14_S18_S1A_T6_T7_T9_mT8_S1C_bDpT10_ENKUlT_T0_E_clISt17integral_constantIbLb0EES1P_EEDaS1K_S1L_EUlS1K_E_NS1_11comp_targetILNS1_3genE10ELNS1_11target_archE1200ELNS1_3gpuE4ELNS1_3repE0EEENS1_30default_config_static_selectorELNS0_4arch9wavefront6targetE0EEEvSY_.num_agpr, 0
	.set _ZN7rocprim17ROCPRIM_400000_NS6detail17trampoline_kernelINS0_13select_configILj256ELj13ELNS0_17block_load_methodE3ELS4_3ELS4_3ELNS0_20block_scan_algorithmE0ELj4294967295EEENS1_25partition_config_selectorILNS1_17partition_subalgoE3EjNS0_10empty_typeEbEEZZNS1_14partition_implILS8_3ELb0ES6_jNS0_17counting_iteratorIjlEEPS9_SE_NS0_5tupleIJPjSE_EEENSF_IJSE_SE_EEES9_SG_JZNS1_25segmented_radix_sort_implINS0_14default_configELb1EPKfPfPKlPlN2at6native12_GLOBAL__N_18offset_tEEE10hipError_tPvRmT1_PNSt15iterator_traitsISY_E10value_typeET2_T3_PNSZ_IS14_E10value_typeET4_jRbjT5_S1A_jjP12ihipStream_tbEUljE_EEESV_SW_SX_S14_S18_S1A_T6_T7_T9_mT8_S1C_bDpT10_ENKUlT_T0_E_clISt17integral_constantIbLb0EES1P_EEDaS1K_S1L_EUlS1K_E_NS1_11comp_targetILNS1_3genE10ELNS1_11target_archE1200ELNS1_3gpuE4ELNS1_3repE0EEENS1_30default_config_static_selectorELNS0_4arch9wavefront6targetE0EEEvSY_.numbered_sgpr, 0
	.set _ZN7rocprim17ROCPRIM_400000_NS6detail17trampoline_kernelINS0_13select_configILj256ELj13ELNS0_17block_load_methodE3ELS4_3ELS4_3ELNS0_20block_scan_algorithmE0ELj4294967295EEENS1_25partition_config_selectorILNS1_17partition_subalgoE3EjNS0_10empty_typeEbEEZZNS1_14partition_implILS8_3ELb0ES6_jNS0_17counting_iteratorIjlEEPS9_SE_NS0_5tupleIJPjSE_EEENSF_IJSE_SE_EEES9_SG_JZNS1_25segmented_radix_sort_implINS0_14default_configELb1EPKfPfPKlPlN2at6native12_GLOBAL__N_18offset_tEEE10hipError_tPvRmT1_PNSt15iterator_traitsISY_E10value_typeET2_T3_PNSZ_IS14_E10value_typeET4_jRbjT5_S1A_jjP12ihipStream_tbEUljE_EEESV_SW_SX_S14_S18_S1A_T6_T7_T9_mT8_S1C_bDpT10_ENKUlT_T0_E_clISt17integral_constantIbLb0EES1P_EEDaS1K_S1L_EUlS1K_E_NS1_11comp_targetILNS1_3genE10ELNS1_11target_archE1200ELNS1_3gpuE4ELNS1_3repE0EEENS1_30default_config_static_selectorELNS0_4arch9wavefront6targetE0EEEvSY_.num_named_barrier, 0
	.set _ZN7rocprim17ROCPRIM_400000_NS6detail17trampoline_kernelINS0_13select_configILj256ELj13ELNS0_17block_load_methodE3ELS4_3ELS4_3ELNS0_20block_scan_algorithmE0ELj4294967295EEENS1_25partition_config_selectorILNS1_17partition_subalgoE3EjNS0_10empty_typeEbEEZZNS1_14partition_implILS8_3ELb0ES6_jNS0_17counting_iteratorIjlEEPS9_SE_NS0_5tupleIJPjSE_EEENSF_IJSE_SE_EEES9_SG_JZNS1_25segmented_radix_sort_implINS0_14default_configELb1EPKfPfPKlPlN2at6native12_GLOBAL__N_18offset_tEEE10hipError_tPvRmT1_PNSt15iterator_traitsISY_E10value_typeET2_T3_PNSZ_IS14_E10value_typeET4_jRbjT5_S1A_jjP12ihipStream_tbEUljE_EEESV_SW_SX_S14_S18_S1A_T6_T7_T9_mT8_S1C_bDpT10_ENKUlT_T0_E_clISt17integral_constantIbLb0EES1P_EEDaS1K_S1L_EUlS1K_E_NS1_11comp_targetILNS1_3genE10ELNS1_11target_archE1200ELNS1_3gpuE4ELNS1_3repE0EEENS1_30default_config_static_selectorELNS0_4arch9wavefront6targetE0EEEvSY_.private_seg_size, 0
	.set _ZN7rocprim17ROCPRIM_400000_NS6detail17trampoline_kernelINS0_13select_configILj256ELj13ELNS0_17block_load_methodE3ELS4_3ELS4_3ELNS0_20block_scan_algorithmE0ELj4294967295EEENS1_25partition_config_selectorILNS1_17partition_subalgoE3EjNS0_10empty_typeEbEEZZNS1_14partition_implILS8_3ELb0ES6_jNS0_17counting_iteratorIjlEEPS9_SE_NS0_5tupleIJPjSE_EEENSF_IJSE_SE_EEES9_SG_JZNS1_25segmented_radix_sort_implINS0_14default_configELb1EPKfPfPKlPlN2at6native12_GLOBAL__N_18offset_tEEE10hipError_tPvRmT1_PNSt15iterator_traitsISY_E10value_typeET2_T3_PNSZ_IS14_E10value_typeET4_jRbjT5_S1A_jjP12ihipStream_tbEUljE_EEESV_SW_SX_S14_S18_S1A_T6_T7_T9_mT8_S1C_bDpT10_ENKUlT_T0_E_clISt17integral_constantIbLb0EES1P_EEDaS1K_S1L_EUlS1K_E_NS1_11comp_targetILNS1_3genE10ELNS1_11target_archE1200ELNS1_3gpuE4ELNS1_3repE0EEENS1_30default_config_static_selectorELNS0_4arch9wavefront6targetE0EEEvSY_.uses_vcc, 0
	.set _ZN7rocprim17ROCPRIM_400000_NS6detail17trampoline_kernelINS0_13select_configILj256ELj13ELNS0_17block_load_methodE3ELS4_3ELS4_3ELNS0_20block_scan_algorithmE0ELj4294967295EEENS1_25partition_config_selectorILNS1_17partition_subalgoE3EjNS0_10empty_typeEbEEZZNS1_14partition_implILS8_3ELb0ES6_jNS0_17counting_iteratorIjlEEPS9_SE_NS0_5tupleIJPjSE_EEENSF_IJSE_SE_EEES9_SG_JZNS1_25segmented_radix_sort_implINS0_14default_configELb1EPKfPfPKlPlN2at6native12_GLOBAL__N_18offset_tEEE10hipError_tPvRmT1_PNSt15iterator_traitsISY_E10value_typeET2_T3_PNSZ_IS14_E10value_typeET4_jRbjT5_S1A_jjP12ihipStream_tbEUljE_EEESV_SW_SX_S14_S18_S1A_T6_T7_T9_mT8_S1C_bDpT10_ENKUlT_T0_E_clISt17integral_constantIbLb0EES1P_EEDaS1K_S1L_EUlS1K_E_NS1_11comp_targetILNS1_3genE10ELNS1_11target_archE1200ELNS1_3gpuE4ELNS1_3repE0EEENS1_30default_config_static_selectorELNS0_4arch9wavefront6targetE0EEEvSY_.uses_flat_scratch, 0
	.set _ZN7rocprim17ROCPRIM_400000_NS6detail17trampoline_kernelINS0_13select_configILj256ELj13ELNS0_17block_load_methodE3ELS4_3ELS4_3ELNS0_20block_scan_algorithmE0ELj4294967295EEENS1_25partition_config_selectorILNS1_17partition_subalgoE3EjNS0_10empty_typeEbEEZZNS1_14partition_implILS8_3ELb0ES6_jNS0_17counting_iteratorIjlEEPS9_SE_NS0_5tupleIJPjSE_EEENSF_IJSE_SE_EEES9_SG_JZNS1_25segmented_radix_sort_implINS0_14default_configELb1EPKfPfPKlPlN2at6native12_GLOBAL__N_18offset_tEEE10hipError_tPvRmT1_PNSt15iterator_traitsISY_E10value_typeET2_T3_PNSZ_IS14_E10value_typeET4_jRbjT5_S1A_jjP12ihipStream_tbEUljE_EEESV_SW_SX_S14_S18_S1A_T6_T7_T9_mT8_S1C_bDpT10_ENKUlT_T0_E_clISt17integral_constantIbLb0EES1P_EEDaS1K_S1L_EUlS1K_E_NS1_11comp_targetILNS1_3genE10ELNS1_11target_archE1200ELNS1_3gpuE4ELNS1_3repE0EEENS1_30default_config_static_selectorELNS0_4arch9wavefront6targetE0EEEvSY_.has_dyn_sized_stack, 0
	.set _ZN7rocprim17ROCPRIM_400000_NS6detail17trampoline_kernelINS0_13select_configILj256ELj13ELNS0_17block_load_methodE3ELS4_3ELS4_3ELNS0_20block_scan_algorithmE0ELj4294967295EEENS1_25partition_config_selectorILNS1_17partition_subalgoE3EjNS0_10empty_typeEbEEZZNS1_14partition_implILS8_3ELb0ES6_jNS0_17counting_iteratorIjlEEPS9_SE_NS0_5tupleIJPjSE_EEENSF_IJSE_SE_EEES9_SG_JZNS1_25segmented_radix_sort_implINS0_14default_configELb1EPKfPfPKlPlN2at6native12_GLOBAL__N_18offset_tEEE10hipError_tPvRmT1_PNSt15iterator_traitsISY_E10value_typeET2_T3_PNSZ_IS14_E10value_typeET4_jRbjT5_S1A_jjP12ihipStream_tbEUljE_EEESV_SW_SX_S14_S18_S1A_T6_T7_T9_mT8_S1C_bDpT10_ENKUlT_T0_E_clISt17integral_constantIbLb0EES1P_EEDaS1K_S1L_EUlS1K_E_NS1_11comp_targetILNS1_3genE10ELNS1_11target_archE1200ELNS1_3gpuE4ELNS1_3repE0EEENS1_30default_config_static_selectorELNS0_4arch9wavefront6targetE0EEEvSY_.has_recursion, 0
	.set _ZN7rocprim17ROCPRIM_400000_NS6detail17trampoline_kernelINS0_13select_configILj256ELj13ELNS0_17block_load_methodE3ELS4_3ELS4_3ELNS0_20block_scan_algorithmE0ELj4294967295EEENS1_25partition_config_selectorILNS1_17partition_subalgoE3EjNS0_10empty_typeEbEEZZNS1_14partition_implILS8_3ELb0ES6_jNS0_17counting_iteratorIjlEEPS9_SE_NS0_5tupleIJPjSE_EEENSF_IJSE_SE_EEES9_SG_JZNS1_25segmented_radix_sort_implINS0_14default_configELb1EPKfPfPKlPlN2at6native12_GLOBAL__N_18offset_tEEE10hipError_tPvRmT1_PNSt15iterator_traitsISY_E10value_typeET2_T3_PNSZ_IS14_E10value_typeET4_jRbjT5_S1A_jjP12ihipStream_tbEUljE_EEESV_SW_SX_S14_S18_S1A_T6_T7_T9_mT8_S1C_bDpT10_ENKUlT_T0_E_clISt17integral_constantIbLb0EES1P_EEDaS1K_S1L_EUlS1K_E_NS1_11comp_targetILNS1_3genE10ELNS1_11target_archE1200ELNS1_3gpuE4ELNS1_3repE0EEENS1_30default_config_static_selectorELNS0_4arch9wavefront6targetE0EEEvSY_.has_indirect_call, 0
	.section	.AMDGPU.csdata,"",@progbits
; Kernel info:
; codeLenInByte = 0
; TotalNumSgprs: 0
; NumVgprs: 0
; ScratchSize: 0
; MemoryBound: 0
; FloatMode: 240
; IeeeMode: 1
; LDSByteSize: 0 bytes/workgroup (compile time only)
; SGPRBlocks: 0
; VGPRBlocks: 0
; NumSGPRsForWavesPerEU: 1
; NumVGPRsForWavesPerEU: 1
; Occupancy: 16
; WaveLimiterHint : 0
; COMPUTE_PGM_RSRC2:SCRATCH_EN: 0
; COMPUTE_PGM_RSRC2:USER_SGPR: 6
; COMPUTE_PGM_RSRC2:TRAP_HANDLER: 0
; COMPUTE_PGM_RSRC2:TGID_X_EN: 1
; COMPUTE_PGM_RSRC2:TGID_Y_EN: 0
; COMPUTE_PGM_RSRC2:TGID_Z_EN: 0
; COMPUTE_PGM_RSRC2:TIDIG_COMP_CNT: 0
	.section	.text._ZN7rocprim17ROCPRIM_400000_NS6detail17trampoline_kernelINS0_13select_configILj256ELj13ELNS0_17block_load_methodE3ELS4_3ELS4_3ELNS0_20block_scan_algorithmE0ELj4294967295EEENS1_25partition_config_selectorILNS1_17partition_subalgoE3EjNS0_10empty_typeEbEEZZNS1_14partition_implILS8_3ELb0ES6_jNS0_17counting_iteratorIjlEEPS9_SE_NS0_5tupleIJPjSE_EEENSF_IJSE_SE_EEES9_SG_JZNS1_25segmented_radix_sort_implINS0_14default_configELb1EPKfPfPKlPlN2at6native12_GLOBAL__N_18offset_tEEE10hipError_tPvRmT1_PNSt15iterator_traitsISY_E10value_typeET2_T3_PNSZ_IS14_E10value_typeET4_jRbjT5_S1A_jjP12ihipStream_tbEUljE_EEESV_SW_SX_S14_S18_S1A_T6_T7_T9_mT8_S1C_bDpT10_ENKUlT_T0_E_clISt17integral_constantIbLb0EES1P_EEDaS1K_S1L_EUlS1K_E_NS1_11comp_targetILNS1_3genE9ELNS1_11target_archE1100ELNS1_3gpuE3ELNS1_3repE0EEENS1_30default_config_static_selectorELNS0_4arch9wavefront6targetE0EEEvSY_,"axG",@progbits,_ZN7rocprim17ROCPRIM_400000_NS6detail17trampoline_kernelINS0_13select_configILj256ELj13ELNS0_17block_load_methodE3ELS4_3ELS4_3ELNS0_20block_scan_algorithmE0ELj4294967295EEENS1_25partition_config_selectorILNS1_17partition_subalgoE3EjNS0_10empty_typeEbEEZZNS1_14partition_implILS8_3ELb0ES6_jNS0_17counting_iteratorIjlEEPS9_SE_NS0_5tupleIJPjSE_EEENSF_IJSE_SE_EEES9_SG_JZNS1_25segmented_radix_sort_implINS0_14default_configELb1EPKfPfPKlPlN2at6native12_GLOBAL__N_18offset_tEEE10hipError_tPvRmT1_PNSt15iterator_traitsISY_E10value_typeET2_T3_PNSZ_IS14_E10value_typeET4_jRbjT5_S1A_jjP12ihipStream_tbEUljE_EEESV_SW_SX_S14_S18_S1A_T6_T7_T9_mT8_S1C_bDpT10_ENKUlT_T0_E_clISt17integral_constantIbLb0EES1P_EEDaS1K_S1L_EUlS1K_E_NS1_11comp_targetILNS1_3genE9ELNS1_11target_archE1100ELNS1_3gpuE3ELNS1_3repE0EEENS1_30default_config_static_selectorELNS0_4arch9wavefront6targetE0EEEvSY_,comdat
	.globl	_ZN7rocprim17ROCPRIM_400000_NS6detail17trampoline_kernelINS0_13select_configILj256ELj13ELNS0_17block_load_methodE3ELS4_3ELS4_3ELNS0_20block_scan_algorithmE0ELj4294967295EEENS1_25partition_config_selectorILNS1_17partition_subalgoE3EjNS0_10empty_typeEbEEZZNS1_14partition_implILS8_3ELb0ES6_jNS0_17counting_iteratorIjlEEPS9_SE_NS0_5tupleIJPjSE_EEENSF_IJSE_SE_EEES9_SG_JZNS1_25segmented_radix_sort_implINS0_14default_configELb1EPKfPfPKlPlN2at6native12_GLOBAL__N_18offset_tEEE10hipError_tPvRmT1_PNSt15iterator_traitsISY_E10value_typeET2_T3_PNSZ_IS14_E10value_typeET4_jRbjT5_S1A_jjP12ihipStream_tbEUljE_EEESV_SW_SX_S14_S18_S1A_T6_T7_T9_mT8_S1C_bDpT10_ENKUlT_T0_E_clISt17integral_constantIbLb0EES1P_EEDaS1K_S1L_EUlS1K_E_NS1_11comp_targetILNS1_3genE9ELNS1_11target_archE1100ELNS1_3gpuE3ELNS1_3repE0EEENS1_30default_config_static_selectorELNS0_4arch9wavefront6targetE0EEEvSY_ ; -- Begin function _ZN7rocprim17ROCPRIM_400000_NS6detail17trampoline_kernelINS0_13select_configILj256ELj13ELNS0_17block_load_methodE3ELS4_3ELS4_3ELNS0_20block_scan_algorithmE0ELj4294967295EEENS1_25partition_config_selectorILNS1_17partition_subalgoE3EjNS0_10empty_typeEbEEZZNS1_14partition_implILS8_3ELb0ES6_jNS0_17counting_iteratorIjlEEPS9_SE_NS0_5tupleIJPjSE_EEENSF_IJSE_SE_EEES9_SG_JZNS1_25segmented_radix_sort_implINS0_14default_configELb1EPKfPfPKlPlN2at6native12_GLOBAL__N_18offset_tEEE10hipError_tPvRmT1_PNSt15iterator_traitsISY_E10value_typeET2_T3_PNSZ_IS14_E10value_typeET4_jRbjT5_S1A_jjP12ihipStream_tbEUljE_EEESV_SW_SX_S14_S18_S1A_T6_T7_T9_mT8_S1C_bDpT10_ENKUlT_T0_E_clISt17integral_constantIbLb0EES1P_EEDaS1K_S1L_EUlS1K_E_NS1_11comp_targetILNS1_3genE9ELNS1_11target_archE1100ELNS1_3gpuE3ELNS1_3repE0EEENS1_30default_config_static_selectorELNS0_4arch9wavefront6targetE0EEEvSY_
	.p2align	8
	.type	_ZN7rocprim17ROCPRIM_400000_NS6detail17trampoline_kernelINS0_13select_configILj256ELj13ELNS0_17block_load_methodE3ELS4_3ELS4_3ELNS0_20block_scan_algorithmE0ELj4294967295EEENS1_25partition_config_selectorILNS1_17partition_subalgoE3EjNS0_10empty_typeEbEEZZNS1_14partition_implILS8_3ELb0ES6_jNS0_17counting_iteratorIjlEEPS9_SE_NS0_5tupleIJPjSE_EEENSF_IJSE_SE_EEES9_SG_JZNS1_25segmented_radix_sort_implINS0_14default_configELb1EPKfPfPKlPlN2at6native12_GLOBAL__N_18offset_tEEE10hipError_tPvRmT1_PNSt15iterator_traitsISY_E10value_typeET2_T3_PNSZ_IS14_E10value_typeET4_jRbjT5_S1A_jjP12ihipStream_tbEUljE_EEESV_SW_SX_S14_S18_S1A_T6_T7_T9_mT8_S1C_bDpT10_ENKUlT_T0_E_clISt17integral_constantIbLb0EES1P_EEDaS1K_S1L_EUlS1K_E_NS1_11comp_targetILNS1_3genE9ELNS1_11target_archE1100ELNS1_3gpuE3ELNS1_3repE0EEENS1_30default_config_static_selectorELNS0_4arch9wavefront6targetE0EEEvSY_,@function
_ZN7rocprim17ROCPRIM_400000_NS6detail17trampoline_kernelINS0_13select_configILj256ELj13ELNS0_17block_load_methodE3ELS4_3ELS4_3ELNS0_20block_scan_algorithmE0ELj4294967295EEENS1_25partition_config_selectorILNS1_17partition_subalgoE3EjNS0_10empty_typeEbEEZZNS1_14partition_implILS8_3ELb0ES6_jNS0_17counting_iteratorIjlEEPS9_SE_NS0_5tupleIJPjSE_EEENSF_IJSE_SE_EEES9_SG_JZNS1_25segmented_radix_sort_implINS0_14default_configELb1EPKfPfPKlPlN2at6native12_GLOBAL__N_18offset_tEEE10hipError_tPvRmT1_PNSt15iterator_traitsISY_E10value_typeET2_T3_PNSZ_IS14_E10value_typeET4_jRbjT5_S1A_jjP12ihipStream_tbEUljE_EEESV_SW_SX_S14_S18_S1A_T6_T7_T9_mT8_S1C_bDpT10_ENKUlT_T0_E_clISt17integral_constantIbLb0EES1P_EEDaS1K_S1L_EUlS1K_E_NS1_11comp_targetILNS1_3genE9ELNS1_11target_archE1100ELNS1_3gpuE3ELNS1_3repE0EEENS1_30default_config_static_selectorELNS0_4arch9wavefront6targetE0EEEvSY_: ; @_ZN7rocprim17ROCPRIM_400000_NS6detail17trampoline_kernelINS0_13select_configILj256ELj13ELNS0_17block_load_methodE3ELS4_3ELS4_3ELNS0_20block_scan_algorithmE0ELj4294967295EEENS1_25partition_config_selectorILNS1_17partition_subalgoE3EjNS0_10empty_typeEbEEZZNS1_14partition_implILS8_3ELb0ES6_jNS0_17counting_iteratorIjlEEPS9_SE_NS0_5tupleIJPjSE_EEENSF_IJSE_SE_EEES9_SG_JZNS1_25segmented_radix_sort_implINS0_14default_configELb1EPKfPfPKlPlN2at6native12_GLOBAL__N_18offset_tEEE10hipError_tPvRmT1_PNSt15iterator_traitsISY_E10value_typeET2_T3_PNSZ_IS14_E10value_typeET4_jRbjT5_S1A_jjP12ihipStream_tbEUljE_EEESV_SW_SX_S14_S18_S1A_T6_T7_T9_mT8_S1C_bDpT10_ENKUlT_T0_E_clISt17integral_constantIbLb0EES1P_EEDaS1K_S1L_EUlS1K_E_NS1_11comp_targetILNS1_3genE9ELNS1_11target_archE1100ELNS1_3gpuE3ELNS1_3repE0EEENS1_30default_config_static_selectorELNS0_4arch9wavefront6targetE0EEEvSY_
; %bb.0:
	.section	.rodata,"a",@progbits
	.p2align	6, 0x0
	.amdhsa_kernel _ZN7rocprim17ROCPRIM_400000_NS6detail17trampoline_kernelINS0_13select_configILj256ELj13ELNS0_17block_load_methodE3ELS4_3ELS4_3ELNS0_20block_scan_algorithmE0ELj4294967295EEENS1_25partition_config_selectorILNS1_17partition_subalgoE3EjNS0_10empty_typeEbEEZZNS1_14partition_implILS8_3ELb0ES6_jNS0_17counting_iteratorIjlEEPS9_SE_NS0_5tupleIJPjSE_EEENSF_IJSE_SE_EEES9_SG_JZNS1_25segmented_radix_sort_implINS0_14default_configELb1EPKfPfPKlPlN2at6native12_GLOBAL__N_18offset_tEEE10hipError_tPvRmT1_PNSt15iterator_traitsISY_E10value_typeET2_T3_PNSZ_IS14_E10value_typeET4_jRbjT5_S1A_jjP12ihipStream_tbEUljE_EEESV_SW_SX_S14_S18_S1A_T6_T7_T9_mT8_S1C_bDpT10_ENKUlT_T0_E_clISt17integral_constantIbLb0EES1P_EEDaS1K_S1L_EUlS1K_E_NS1_11comp_targetILNS1_3genE9ELNS1_11target_archE1100ELNS1_3gpuE3ELNS1_3repE0EEENS1_30default_config_static_selectorELNS0_4arch9wavefront6targetE0EEEvSY_
		.amdhsa_group_segment_fixed_size 0
		.amdhsa_private_segment_fixed_size 0
		.amdhsa_kernarg_size 144
		.amdhsa_user_sgpr_count 6
		.amdhsa_user_sgpr_private_segment_buffer 1
		.amdhsa_user_sgpr_dispatch_ptr 0
		.amdhsa_user_sgpr_queue_ptr 0
		.amdhsa_user_sgpr_kernarg_segment_ptr 1
		.amdhsa_user_sgpr_dispatch_id 0
		.amdhsa_user_sgpr_flat_scratch_init 0
		.amdhsa_user_sgpr_private_segment_size 0
		.amdhsa_wavefront_size32 1
		.amdhsa_uses_dynamic_stack 0
		.amdhsa_system_sgpr_private_segment_wavefront_offset 0
		.amdhsa_system_sgpr_workgroup_id_x 1
		.amdhsa_system_sgpr_workgroup_id_y 0
		.amdhsa_system_sgpr_workgroup_id_z 0
		.amdhsa_system_sgpr_workgroup_info 0
		.amdhsa_system_vgpr_workitem_id 0
		.amdhsa_next_free_vgpr 1
		.amdhsa_next_free_sgpr 1
		.amdhsa_reserve_vcc 0
		.amdhsa_reserve_flat_scratch 0
		.amdhsa_float_round_mode_32 0
		.amdhsa_float_round_mode_16_64 0
		.amdhsa_float_denorm_mode_32 3
		.amdhsa_float_denorm_mode_16_64 3
		.amdhsa_dx10_clamp 1
		.amdhsa_ieee_mode 1
		.amdhsa_fp16_overflow 0
		.amdhsa_workgroup_processor_mode 1
		.amdhsa_memory_ordered 1
		.amdhsa_forward_progress 1
		.amdhsa_shared_vgpr_count 0
		.amdhsa_exception_fp_ieee_invalid_op 0
		.amdhsa_exception_fp_denorm_src 0
		.amdhsa_exception_fp_ieee_div_zero 0
		.amdhsa_exception_fp_ieee_overflow 0
		.amdhsa_exception_fp_ieee_underflow 0
		.amdhsa_exception_fp_ieee_inexact 0
		.amdhsa_exception_int_div_zero 0
	.end_amdhsa_kernel
	.section	.text._ZN7rocprim17ROCPRIM_400000_NS6detail17trampoline_kernelINS0_13select_configILj256ELj13ELNS0_17block_load_methodE3ELS4_3ELS4_3ELNS0_20block_scan_algorithmE0ELj4294967295EEENS1_25partition_config_selectorILNS1_17partition_subalgoE3EjNS0_10empty_typeEbEEZZNS1_14partition_implILS8_3ELb0ES6_jNS0_17counting_iteratorIjlEEPS9_SE_NS0_5tupleIJPjSE_EEENSF_IJSE_SE_EEES9_SG_JZNS1_25segmented_radix_sort_implINS0_14default_configELb1EPKfPfPKlPlN2at6native12_GLOBAL__N_18offset_tEEE10hipError_tPvRmT1_PNSt15iterator_traitsISY_E10value_typeET2_T3_PNSZ_IS14_E10value_typeET4_jRbjT5_S1A_jjP12ihipStream_tbEUljE_EEESV_SW_SX_S14_S18_S1A_T6_T7_T9_mT8_S1C_bDpT10_ENKUlT_T0_E_clISt17integral_constantIbLb0EES1P_EEDaS1K_S1L_EUlS1K_E_NS1_11comp_targetILNS1_3genE9ELNS1_11target_archE1100ELNS1_3gpuE3ELNS1_3repE0EEENS1_30default_config_static_selectorELNS0_4arch9wavefront6targetE0EEEvSY_,"axG",@progbits,_ZN7rocprim17ROCPRIM_400000_NS6detail17trampoline_kernelINS0_13select_configILj256ELj13ELNS0_17block_load_methodE3ELS4_3ELS4_3ELNS0_20block_scan_algorithmE0ELj4294967295EEENS1_25partition_config_selectorILNS1_17partition_subalgoE3EjNS0_10empty_typeEbEEZZNS1_14partition_implILS8_3ELb0ES6_jNS0_17counting_iteratorIjlEEPS9_SE_NS0_5tupleIJPjSE_EEENSF_IJSE_SE_EEES9_SG_JZNS1_25segmented_radix_sort_implINS0_14default_configELb1EPKfPfPKlPlN2at6native12_GLOBAL__N_18offset_tEEE10hipError_tPvRmT1_PNSt15iterator_traitsISY_E10value_typeET2_T3_PNSZ_IS14_E10value_typeET4_jRbjT5_S1A_jjP12ihipStream_tbEUljE_EEESV_SW_SX_S14_S18_S1A_T6_T7_T9_mT8_S1C_bDpT10_ENKUlT_T0_E_clISt17integral_constantIbLb0EES1P_EEDaS1K_S1L_EUlS1K_E_NS1_11comp_targetILNS1_3genE9ELNS1_11target_archE1100ELNS1_3gpuE3ELNS1_3repE0EEENS1_30default_config_static_selectorELNS0_4arch9wavefront6targetE0EEEvSY_,comdat
.Lfunc_end1291:
	.size	_ZN7rocprim17ROCPRIM_400000_NS6detail17trampoline_kernelINS0_13select_configILj256ELj13ELNS0_17block_load_methodE3ELS4_3ELS4_3ELNS0_20block_scan_algorithmE0ELj4294967295EEENS1_25partition_config_selectorILNS1_17partition_subalgoE3EjNS0_10empty_typeEbEEZZNS1_14partition_implILS8_3ELb0ES6_jNS0_17counting_iteratorIjlEEPS9_SE_NS0_5tupleIJPjSE_EEENSF_IJSE_SE_EEES9_SG_JZNS1_25segmented_radix_sort_implINS0_14default_configELb1EPKfPfPKlPlN2at6native12_GLOBAL__N_18offset_tEEE10hipError_tPvRmT1_PNSt15iterator_traitsISY_E10value_typeET2_T3_PNSZ_IS14_E10value_typeET4_jRbjT5_S1A_jjP12ihipStream_tbEUljE_EEESV_SW_SX_S14_S18_S1A_T6_T7_T9_mT8_S1C_bDpT10_ENKUlT_T0_E_clISt17integral_constantIbLb0EES1P_EEDaS1K_S1L_EUlS1K_E_NS1_11comp_targetILNS1_3genE9ELNS1_11target_archE1100ELNS1_3gpuE3ELNS1_3repE0EEENS1_30default_config_static_selectorELNS0_4arch9wavefront6targetE0EEEvSY_, .Lfunc_end1291-_ZN7rocprim17ROCPRIM_400000_NS6detail17trampoline_kernelINS0_13select_configILj256ELj13ELNS0_17block_load_methodE3ELS4_3ELS4_3ELNS0_20block_scan_algorithmE0ELj4294967295EEENS1_25partition_config_selectorILNS1_17partition_subalgoE3EjNS0_10empty_typeEbEEZZNS1_14partition_implILS8_3ELb0ES6_jNS0_17counting_iteratorIjlEEPS9_SE_NS0_5tupleIJPjSE_EEENSF_IJSE_SE_EEES9_SG_JZNS1_25segmented_radix_sort_implINS0_14default_configELb1EPKfPfPKlPlN2at6native12_GLOBAL__N_18offset_tEEE10hipError_tPvRmT1_PNSt15iterator_traitsISY_E10value_typeET2_T3_PNSZ_IS14_E10value_typeET4_jRbjT5_S1A_jjP12ihipStream_tbEUljE_EEESV_SW_SX_S14_S18_S1A_T6_T7_T9_mT8_S1C_bDpT10_ENKUlT_T0_E_clISt17integral_constantIbLb0EES1P_EEDaS1K_S1L_EUlS1K_E_NS1_11comp_targetILNS1_3genE9ELNS1_11target_archE1100ELNS1_3gpuE3ELNS1_3repE0EEENS1_30default_config_static_selectorELNS0_4arch9wavefront6targetE0EEEvSY_
                                        ; -- End function
	.set _ZN7rocprim17ROCPRIM_400000_NS6detail17trampoline_kernelINS0_13select_configILj256ELj13ELNS0_17block_load_methodE3ELS4_3ELS4_3ELNS0_20block_scan_algorithmE0ELj4294967295EEENS1_25partition_config_selectorILNS1_17partition_subalgoE3EjNS0_10empty_typeEbEEZZNS1_14partition_implILS8_3ELb0ES6_jNS0_17counting_iteratorIjlEEPS9_SE_NS0_5tupleIJPjSE_EEENSF_IJSE_SE_EEES9_SG_JZNS1_25segmented_radix_sort_implINS0_14default_configELb1EPKfPfPKlPlN2at6native12_GLOBAL__N_18offset_tEEE10hipError_tPvRmT1_PNSt15iterator_traitsISY_E10value_typeET2_T3_PNSZ_IS14_E10value_typeET4_jRbjT5_S1A_jjP12ihipStream_tbEUljE_EEESV_SW_SX_S14_S18_S1A_T6_T7_T9_mT8_S1C_bDpT10_ENKUlT_T0_E_clISt17integral_constantIbLb0EES1P_EEDaS1K_S1L_EUlS1K_E_NS1_11comp_targetILNS1_3genE9ELNS1_11target_archE1100ELNS1_3gpuE3ELNS1_3repE0EEENS1_30default_config_static_selectorELNS0_4arch9wavefront6targetE0EEEvSY_.num_vgpr, 0
	.set _ZN7rocprim17ROCPRIM_400000_NS6detail17trampoline_kernelINS0_13select_configILj256ELj13ELNS0_17block_load_methodE3ELS4_3ELS4_3ELNS0_20block_scan_algorithmE0ELj4294967295EEENS1_25partition_config_selectorILNS1_17partition_subalgoE3EjNS0_10empty_typeEbEEZZNS1_14partition_implILS8_3ELb0ES6_jNS0_17counting_iteratorIjlEEPS9_SE_NS0_5tupleIJPjSE_EEENSF_IJSE_SE_EEES9_SG_JZNS1_25segmented_radix_sort_implINS0_14default_configELb1EPKfPfPKlPlN2at6native12_GLOBAL__N_18offset_tEEE10hipError_tPvRmT1_PNSt15iterator_traitsISY_E10value_typeET2_T3_PNSZ_IS14_E10value_typeET4_jRbjT5_S1A_jjP12ihipStream_tbEUljE_EEESV_SW_SX_S14_S18_S1A_T6_T7_T9_mT8_S1C_bDpT10_ENKUlT_T0_E_clISt17integral_constantIbLb0EES1P_EEDaS1K_S1L_EUlS1K_E_NS1_11comp_targetILNS1_3genE9ELNS1_11target_archE1100ELNS1_3gpuE3ELNS1_3repE0EEENS1_30default_config_static_selectorELNS0_4arch9wavefront6targetE0EEEvSY_.num_agpr, 0
	.set _ZN7rocprim17ROCPRIM_400000_NS6detail17trampoline_kernelINS0_13select_configILj256ELj13ELNS0_17block_load_methodE3ELS4_3ELS4_3ELNS0_20block_scan_algorithmE0ELj4294967295EEENS1_25partition_config_selectorILNS1_17partition_subalgoE3EjNS0_10empty_typeEbEEZZNS1_14partition_implILS8_3ELb0ES6_jNS0_17counting_iteratorIjlEEPS9_SE_NS0_5tupleIJPjSE_EEENSF_IJSE_SE_EEES9_SG_JZNS1_25segmented_radix_sort_implINS0_14default_configELb1EPKfPfPKlPlN2at6native12_GLOBAL__N_18offset_tEEE10hipError_tPvRmT1_PNSt15iterator_traitsISY_E10value_typeET2_T3_PNSZ_IS14_E10value_typeET4_jRbjT5_S1A_jjP12ihipStream_tbEUljE_EEESV_SW_SX_S14_S18_S1A_T6_T7_T9_mT8_S1C_bDpT10_ENKUlT_T0_E_clISt17integral_constantIbLb0EES1P_EEDaS1K_S1L_EUlS1K_E_NS1_11comp_targetILNS1_3genE9ELNS1_11target_archE1100ELNS1_3gpuE3ELNS1_3repE0EEENS1_30default_config_static_selectorELNS0_4arch9wavefront6targetE0EEEvSY_.numbered_sgpr, 0
	.set _ZN7rocprim17ROCPRIM_400000_NS6detail17trampoline_kernelINS0_13select_configILj256ELj13ELNS0_17block_load_methodE3ELS4_3ELS4_3ELNS0_20block_scan_algorithmE0ELj4294967295EEENS1_25partition_config_selectorILNS1_17partition_subalgoE3EjNS0_10empty_typeEbEEZZNS1_14partition_implILS8_3ELb0ES6_jNS0_17counting_iteratorIjlEEPS9_SE_NS0_5tupleIJPjSE_EEENSF_IJSE_SE_EEES9_SG_JZNS1_25segmented_radix_sort_implINS0_14default_configELb1EPKfPfPKlPlN2at6native12_GLOBAL__N_18offset_tEEE10hipError_tPvRmT1_PNSt15iterator_traitsISY_E10value_typeET2_T3_PNSZ_IS14_E10value_typeET4_jRbjT5_S1A_jjP12ihipStream_tbEUljE_EEESV_SW_SX_S14_S18_S1A_T6_T7_T9_mT8_S1C_bDpT10_ENKUlT_T0_E_clISt17integral_constantIbLb0EES1P_EEDaS1K_S1L_EUlS1K_E_NS1_11comp_targetILNS1_3genE9ELNS1_11target_archE1100ELNS1_3gpuE3ELNS1_3repE0EEENS1_30default_config_static_selectorELNS0_4arch9wavefront6targetE0EEEvSY_.num_named_barrier, 0
	.set _ZN7rocprim17ROCPRIM_400000_NS6detail17trampoline_kernelINS0_13select_configILj256ELj13ELNS0_17block_load_methodE3ELS4_3ELS4_3ELNS0_20block_scan_algorithmE0ELj4294967295EEENS1_25partition_config_selectorILNS1_17partition_subalgoE3EjNS0_10empty_typeEbEEZZNS1_14partition_implILS8_3ELb0ES6_jNS0_17counting_iteratorIjlEEPS9_SE_NS0_5tupleIJPjSE_EEENSF_IJSE_SE_EEES9_SG_JZNS1_25segmented_radix_sort_implINS0_14default_configELb1EPKfPfPKlPlN2at6native12_GLOBAL__N_18offset_tEEE10hipError_tPvRmT1_PNSt15iterator_traitsISY_E10value_typeET2_T3_PNSZ_IS14_E10value_typeET4_jRbjT5_S1A_jjP12ihipStream_tbEUljE_EEESV_SW_SX_S14_S18_S1A_T6_T7_T9_mT8_S1C_bDpT10_ENKUlT_T0_E_clISt17integral_constantIbLb0EES1P_EEDaS1K_S1L_EUlS1K_E_NS1_11comp_targetILNS1_3genE9ELNS1_11target_archE1100ELNS1_3gpuE3ELNS1_3repE0EEENS1_30default_config_static_selectorELNS0_4arch9wavefront6targetE0EEEvSY_.private_seg_size, 0
	.set _ZN7rocprim17ROCPRIM_400000_NS6detail17trampoline_kernelINS0_13select_configILj256ELj13ELNS0_17block_load_methodE3ELS4_3ELS4_3ELNS0_20block_scan_algorithmE0ELj4294967295EEENS1_25partition_config_selectorILNS1_17partition_subalgoE3EjNS0_10empty_typeEbEEZZNS1_14partition_implILS8_3ELb0ES6_jNS0_17counting_iteratorIjlEEPS9_SE_NS0_5tupleIJPjSE_EEENSF_IJSE_SE_EEES9_SG_JZNS1_25segmented_radix_sort_implINS0_14default_configELb1EPKfPfPKlPlN2at6native12_GLOBAL__N_18offset_tEEE10hipError_tPvRmT1_PNSt15iterator_traitsISY_E10value_typeET2_T3_PNSZ_IS14_E10value_typeET4_jRbjT5_S1A_jjP12ihipStream_tbEUljE_EEESV_SW_SX_S14_S18_S1A_T6_T7_T9_mT8_S1C_bDpT10_ENKUlT_T0_E_clISt17integral_constantIbLb0EES1P_EEDaS1K_S1L_EUlS1K_E_NS1_11comp_targetILNS1_3genE9ELNS1_11target_archE1100ELNS1_3gpuE3ELNS1_3repE0EEENS1_30default_config_static_selectorELNS0_4arch9wavefront6targetE0EEEvSY_.uses_vcc, 0
	.set _ZN7rocprim17ROCPRIM_400000_NS6detail17trampoline_kernelINS0_13select_configILj256ELj13ELNS0_17block_load_methodE3ELS4_3ELS4_3ELNS0_20block_scan_algorithmE0ELj4294967295EEENS1_25partition_config_selectorILNS1_17partition_subalgoE3EjNS0_10empty_typeEbEEZZNS1_14partition_implILS8_3ELb0ES6_jNS0_17counting_iteratorIjlEEPS9_SE_NS0_5tupleIJPjSE_EEENSF_IJSE_SE_EEES9_SG_JZNS1_25segmented_radix_sort_implINS0_14default_configELb1EPKfPfPKlPlN2at6native12_GLOBAL__N_18offset_tEEE10hipError_tPvRmT1_PNSt15iterator_traitsISY_E10value_typeET2_T3_PNSZ_IS14_E10value_typeET4_jRbjT5_S1A_jjP12ihipStream_tbEUljE_EEESV_SW_SX_S14_S18_S1A_T6_T7_T9_mT8_S1C_bDpT10_ENKUlT_T0_E_clISt17integral_constantIbLb0EES1P_EEDaS1K_S1L_EUlS1K_E_NS1_11comp_targetILNS1_3genE9ELNS1_11target_archE1100ELNS1_3gpuE3ELNS1_3repE0EEENS1_30default_config_static_selectorELNS0_4arch9wavefront6targetE0EEEvSY_.uses_flat_scratch, 0
	.set _ZN7rocprim17ROCPRIM_400000_NS6detail17trampoline_kernelINS0_13select_configILj256ELj13ELNS0_17block_load_methodE3ELS4_3ELS4_3ELNS0_20block_scan_algorithmE0ELj4294967295EEENS1_25partition_config_selectorILNS1_17partition_subalgoE3EjNS0_10empty_typeEbEEZZNS1_14partition_implILS8_3ELb0ES6_jNS0_17counting_iteratorIjlEEPS9_SE_NS0_5tupleIJPjSE_EEENSF_IJSE_SE_EEES9_SG_JZNS1_25segmented_radix_sort_implINS0_14default_configELb1EPKfPfPKlPlN2at6native12_GLOBAL__N_18offset_tEEE10hipError_tPvRmT1_PNSt15iterator_traitsISY_E10value_typeET2_T3_PNSZ_IS14_E10value_typeET4_jRbjT5_S1A_jjP12ihipStream_tbEUljE_EEESV_SW_SX_S14_S18_S1A_T6_T7_T9_mT8_S1C_bDpT10_ENKUlT_T0_E_clISt17integral_constantIbLb0EES1P_EEDaS1K_S1L_EUlS1K_E_NS1_11comp_targetILNS1_3genE9ELNS1_11target_archE1100ELNS1_3gpuE3ELNS1_3repE0EEENS1_30default_config_static_selectorELNS0_4arch9wavefront6targetE0EEEvSY_.has_dyn_sized_stack, 0
	.set _ZN7rocprim17ROCPRIM_400000_NS6detail17trampoline_kernelINS0_13select_configILj256ELj13ELNS0_17block_load_methodE3ELS4_3ELS4_3ELNS0_20block_scan_algorithmE0ELj4294967295EEENS1_25partition_config_selectorILNS1_17partition_subalgoE3EjNS0_10empty_typeEbEEZZNS1_14partition_implILS8_3ELb0ES6_jNS0_17counting_iteratorIjlEEPS9_SE_NS0_5tupleIJPjSE_EEENSF_IJSE_SE_EEES9_SG_JZNS1_25segmented_radix_sort_implINS0_14default_configELb1EPKfPfPKlPlN2at6native12_GLOBAL__N_18offset_tEEE10hipError_tPvRmT1_PNSt15iterator_traitsISY_E10value_typeET2_T3_PNSZ_IS14_E10value_typeET4_jRbjT5_S1A_jjP12ihipStream_tbEUljE_EEESV_SW_SX_S14_S18_S1A_T6_T7_T9_mT8_S1C_bDpT10_ENKUlT_T0_E_clISt17integral_constantIbLb0EES1P_EEDaS1K_S1L_EUlS1K_E_NS1_11comp_targetILNS1_3genE9ELNS1_11target_archE1100ELNS1_3gpuE3ELNS1_3repE0EEENS1_30default_config_static_selectorELNS0_4arch9wavefront6targetE0EEEvSY_.has_recursion, 0
	.set _ZN7rocprim17ROCPRIM_400000_NS6detail17trampoline_kernelINS0_13select_configILj256ELj13ELNS0_17block_load_methodE3ELS4_3ELS4_3ELNS0_20block_scan_algorithmE0ELj4294967295EEENS1_25partition_config_selectorILNS1_17partition_subalgoE3EjNS0_10empty_typeEbEEZZNS1_14partition_implILS8_3ELb0ES6_jNS0_17counting_iteratorIjlEEPS9_SE_NS0_5tupleIJPjSE_EEENSF_IJSE_SE_EEES9_SG_JZNS1_25segmented_radix_sort_implINS0_14default_configELb1EPKfPfPKlPlN2at6native12_GLOBAL__N_18offset_tEEE10hipError_tPvRmT1_PNSt15iterator_traitsISY_E10value_typeET2_T3_PNSZ_IS14_E10value_typeET4_jRbjT5_S1A_jjP12ihipStream_tbEUljE_EEESV_SW_SX_S14_S18_S1A_T6_T7_T9_mT8_S1C_bDpT10_ENKUlT_T0_E_clISt17integral_constantIbLb0EES1P_EEDaS1K_S1L_EUlS1K_E_NS1_11comp_targetILNS1_3genE9ELNS1_11target_archE1100ELNS1_3gpuE3ELNS1_3repE0EEENS1_30default_config_static_selectorELNS0_4arch9wavefront6targetE0EEEvSY_.has_indirect_call, 0
	.section	.AMDGPU.csdata,"",@progbits
; Kernel info:
; codeLenInByte = 0
; TotalNumSgprs: 0
; NumVgprs: 0
; ScratchSize: 0
; MemoryBound: 0
; FloatMode: 240
; IeeeMode: 1
; LDSByteSize: 0 bytes/workgroup (compile time only)
; SGPRBlocks: 0
; VGPRBlocks: 0
; NumSGPRsForWavesPerEU: 1
; NumVGPRsForWavesPerEU: 1
; Occupancy: 16
; WaveLimiterHint : 0
; COMPUTE_PGM_RSRC2:SCRATCH_EN: 0
; COMPUTE_PGM_RSRC2:USER_SGPR: 6
; COMPUTE_PGM_RSRC2:TRAP_HANDLER: 0
; COMPUTE_PGM_RSRC2:TGID_X_EN: 1
; COMPUTE_PGM_RSRC2:TGID_Y_EN: 0
; COMPUTE_PGM_RSRC2:TGID_Z_EN: 0
; COMPUTE_PGM_RSRC2:TIDIG_COMP_CNT: 0
	.section	.text._ZN7rocprim17ROCPRIM_400000_NS6detail17trampoline_kernelINS0_13select_configILj256ELj13ELNS0_17block_load_methodE3ELS4_3ELS4_3ELNS0_20block_scan_algorithmE0ELj4294967295EEENS1_25partition_config_selectorILNS1_17partition_subalgoE3EjNS0_10empty_typeEbEEZZNS1_14partition_implILS8_3ELb0ES6_jNS0_17counting_iteratorIjlEEPS9_SE_NS0_5tupleIJPjSE_EEENSF_IJSE_SE_EEES9_SG_JZNS1_25segmented_radix_sort_implINS0_14default_configELb1EPKfPfPKlPlN2at6native12_GLOBAL__N_18offset_tEEE10hipError_tPvRmT1_PNSt15iterator_traitsISY_E10value_typeET2_T3_PNSZ_IS14_E10value_typeET4_jRbjT5_S1A_jjP12ihipStream_tbEUljE_EEESV_SW_SX_S14_S18_S1A_T6_T7_T9_mT8_S1C_bDpT10_ENKUlT_T0_E_clISt17integral_constantIbLb0EES1P_EEDaS1K_S1L_EUlS1K_E_NS1_11comp_targetILNS1_3genE8ELNS1_11target_archE1030ELNS1_3gpuE2ELNS1_3repE0EEENS1_30default_config_static_selectorELNS0_4arch9wavefront6targetE0EEEvSY_,"axG",@progbits,_ZN7rocprim17ROCPRIM_400000_NS6detail17trampoline_kernelINS0_13select_configILj256ELj13ELNS0_17block_load_methodE3ELS4_3ELS4_3ELNS0_20block_scan_algorithmE0ELj4294967295EEENS1_25partition_config_selectorILNS1_17partition_subalgoE3EjNS0_10empty_typeEbEEZZNS1_14partition_implILS8_3ELb0ES6_jNS0_17counting_iteratorIjlEEPS9_SE_NS0_5tupleIJPjSE_EEENSF_IJSE_SE_EEES9_SG_JZNS1_25segmented_radix_sort_implINS0_14default_configELb1EPKfPfPKlPlN2at6native12_GLOBAL__N_18offset_tEEE10hipError_tPvRmT1_PNSt15iterator_traitsISY_E10value_typeET2_T3_PNSZ_IS14_E10value_typeET4_jRbjT5_S1A_jjP12ihipStream_tbEUljE_EEESV_SW_SX_S14_S18_S1A_T6_T7_T9_mT8_S1C_bDpT10_ENKUlT_T0_E_clISt17integral_constantIbLb0EES1P_EEDaS1K_S1L_EUlS1K_E_NS1_11comp_targetILNS1_3genE8ELNS1_11target_archE1030ELNS1_3gpuE2ELNS1_3repE0EEENS1_30default_config_static_selectorELNS0_4arch9wavefront6targetE0EEEvSY_,comdat
	.globl	_ZN7rocprim17ROCPRIM_400000_NS6detail17trampoline_kernelINS0_13select_configILj256ELj13ELNS0_17block_load_methodE3ELS4_3ELS4_3ELNS0_20block_scan_algorithmE0ELj4294967295EEENS1_25partition_config_selectorILNS1_17partition_subalgoE3EjNS0_10empty_typeEbEEZZNS1_14partition_implILS8_3ELb0ES6_jNS0_17counting_iteratorIjlEEPS9_SE_NS0_5tupleIJPjSE_EEENSF_IJSE_SE_EEES9_SG_JZNS1_25segmented_radix_sort_implINS0_14default_configELb1EPKfPfPKlPlN2at6native12_GLOBAL__N_18offset_tEEE10hipError_tPvRmT1_PNSt15iterator_traitsISY_E10value_typeET2_T3_PNSZ_IS14_E10value_typeET4_jRbjT5_S1A_jjP12ihipStream_tbEUljE_EEESV_SW_SX_S14_S18_S1A_T6_T7_T9_mT8_S1C_bDpT10_ENKUlT_T0_E_clISt17integral_constantIbLb0EES1P_EEDaS1K_S1L_EUlS1K_E_NS1_11comp_targetILNS1_3genE8ELNS1_11target_archE1030ELNS1_3gpuE2ELNS1_3repE0EEENS1_30default_config_static_selectorELNS0_4arch9wavefront6targetE0EEEvSY_ ; -- Begin function _ZN7rocprim17ROCPRIM_400000_NS6detail17trampoline_kernelINS0_13select_configILj256ELj13ELNS0_17block_load_methodE3ELS4_3ELS4_3ELNS0_20block_scan_algorithmE0ELj4294967295EEENS1_25partition_config_selectorILNS1_17partition_subalgoE3EjNS0_10empty_typeEbEEZZNS1_14partition_implILS8_3ELb0ES6_jNS0_17counting_iteratorIjlEEPS9_SE_NS0_5tupleIJPjSE_EEENSF_IJSE_SE_EEES9_SG_JZNS1_25segmented_radix_sort_implINS0_14default_configELb1EPKfPfPKlPlN2at6native12_GLOBAL__N_18offset_tEEE10hipError_tPvRmT1_PNSt15iterator_traitsISY_E10value_typeET2_T3_PNSZ_IS14_E10value_typeET4_jRbjT5_S1A_jjP12ihipStream_tbEUljE_EEESV_SW_SX_S14_S18_S1A_T6_T7_T9_mT8_S1C_bDpT10_ENKUlT_T0_E_clISt17integral_constantIbLb0EES1P_EEDaS1K_S1L_EUlS1K_E_NS1_11comp_targetILNS1_3genE8ELNS1_11target_archE1030ELNS1_3gpuE2ELNS1_3repE0EEENS1_30default_config_static_selectorELNS0_4arch9wavefront6targetE0EEEvSY_
	.p2align	8
	.type	_ZN7rocprim17ROCPRIM_400000_NS6detail17trampoline_kernelINS0_13select_configILj256ELj13ELNS0_17block_load_methodE3ELS4_3ELS4_3ELNS0_20block_scan_algorithmE0ELj4294967295EEENS1_25partition_config_selectorILNS1_17partition_subalgoE3EjNS0_10empty_typeEbEEZZNS1_14partition_implILS8_3ELb0ES6_jNS0_17counting_iteratorIjlEEPS9_SE_NS0_5tupleIJPjSE_EEENSF_IJSE_SE_EEES9_SG_JZNS1_25segmented_radix_sort_implINS0_14default_configELb1EPKfPfPKlPlN2at6native12_GLOBAL__N_18offset_tEEE10hipError_tPvRmT1_PNSt15iterator_traitsISY_E10value_typeET2_T3_PNSZ_IS14_E10value_typeET4_jRbjT5_S1A_jjP12ihipStream_tbEUljE_EEESV_SW_SX_S14_S18_S1A_T6_T7_T9_mT8_S1C_bDpT10_ENKUlT_T0_E_clISt17integral_constantIbLb0EES1P_EEDaS1K_S1L_EUlS1K_E_NS1_11comp_targetILNS1_3genE8ELNS1_11target_archE1030ELNS1_3gpuE2ELNS1_3repE0EEENS1_30default_config_static_selectorELNS0_4arch9wavefront6targetE0EEEvSY_,@function
_ZN7rocprim17ROCPRIM_400000_NS6detail17trampoline_kernelINS0_13select_configILj256ELj13ELNS0_17block_load_methodE3ELS4_3ELS4_3ELNS0_20block_scan_algorithmE0ELj4294967295EEENS1_25partition_config_selectorILNS1_17partition_subalgoE3EjNS0_10empty_typeEbEEZZNS1_14partition_implILS8_3ELb0ES6_jNS0_17counting_iteratorIjlEEPS9_SE_NS0_5tupleIJPjSE_EEENSF_IJSE_SE_EEES9_SG_JZNS1_25segmented_radix_sort_implINS0_14default_configELb1EPKfPfPKlPlN2at6native12_GLOBAL__N_18offset_tEEE10hipError_tPvRmT1_PNSt15iterator_traitsISY_E10value_typeET2_T3_PNSZ_IS14_E10value_typeET4_jRbjT5_S1A_jjP12ihipStream_tbEUljE_EEESV_SW_SX_S14_S18_S1A_T6_T7_T9_mT8_S1C_bDpT10_ENKUlT_T0_E_clISt17integral_constantIbLb0EES1P_EEDaS1K_S1L_EUlS1K_E_NS1_11comp_targetILNS1_3genE8ELNS1_11target_archE1030ELNS1_3gpuE2ELNS1_3repE0EEENS1_30default_config_static_selectorELNS0_4arch9wavefront6targetE0EEEvSY_: ; @_ZN7rocprim17ROCPRIM_400000_NS6detail17trampoline_kernelINS0_13select_configILj256ELj13ELNS0_17block_load_methodE3ELS4_3ELS4_3ELNS0_20block_scan_algorithmE0ELj4294967295EEENS1_25partition_config_selectorILNS1_17partition_subalgoE3EjNS0_10empty_typeEbEEZZNS1_14partition_implILS8_3ELb0ES6_jNS0_17counting_iteratorIjlEEPS9_SE_NS0_5tupleIJPjSE_EEENSF_IJSE_SE_EEES9_SG_JZNS1_25segmented_radix_sort_implINS0_14default_configELb1EPKfPfPKlPlN2at6native12_GLOBAL__N_18offset_tEEE10hipError_tPvRmT1_PNSt15iterator_traitsISY_E10value_typeET2_T3_PNSZ_IS14_E10value_typeET4_jRbjT5_S1A_jjP12ihipStream_tbEUljE_EEESV_SW_SX_S14_S18_S1A_T6_T7_T9_mT8_S1C_bDpT10_ENKUlT_T0_E_clISt17integral_constantIbLb0EES1P_EEDaS1K_S1L_EUlS1K_E_NS1_11comp_targetILNS1_3genE8ELNS1_11target_archE1030ELNS1_3gpuE2ELNS1_3repE0EEENS1_30default_config_static_selectorELNS0_4arch9wavefront6targetE0EEEvSY_
; %bb.0:
	s_clause 0x6
	s_load_dword s0, s[4:5], 0x70
	s_load_dwordx2 s[16:17], s[4:5], 0x10
	s_load_dwordx4 s[12:15], s[4:5], 0x48
	s_load_dwordx2 s[18:19], s[4:5], 0x58
	s_load_dword s7, s[4:5], 0x8
	s_load_dwordx4 s[8:11], s[4:5], 0x78
	s_load_dword s1, s[4:5], 0x88
	s_mul_i32 s26, s6, 0xd00
	v_lshlrev_b32_e32 v42, 2, v0
	s_waitcnt lgkmcnt(0)
	s_mul_i32 s2, s0, 0xd00
	s_add_i32 s0, s0, -1
	s_add_i32 s3, s2, s16
	s_load_dwordx2 s[20:21], s[14:15], 0x0
	s_sub_i32 s25, s18, s3
	s_addk_i32 s25, 0xd00
	s_add_u32 s2, s16, s2
	s_addc_u32 s3, s17, 0
	s_cmp_eq_u32 s6, s0
	v_cmp_gt_u64_e64 s2, s[18:19], s[2:3]
	s_cselect_b32 s24, -1, 0
	s_cmp_lg_u32 s6, s0
	s_cselect_b32 s0, -1, 0
	s_add_i32 s3, s7, s26
	s_or_b32 s2, s0, s2
	s_add_i32 s3, s3, s16
	s_and_b32 vcc_lo, exec_lo, s2
	v_add_nc_u32_e32 v1, s3, v0
	s_mov_b32 s7, -1
	s_cbranch_vccz .LBB1292_2
; %bb.1:
	v_add_nc_u32_e32 v2, 0x100, v1
	v_add_nc_u32_e32 v3, 0x200, v1
	;; [unrolled: 1-line block ×12, first 2 shown]
	ds_write2st64_b32 v42, v1, v2 offset1:4
	ds_write2st64_b32 v42, v3, v4 offset0:8 offset1:12
	ds_write2st64_b32 v42, v5, v6 offset0:16 offset1:20
	;; [unrolled: 1-line block ×5, first 2 shown]
	ds_write_b32 v42, v13 offset:12288
	s_waitcnt lgkmcnt(0)
	s_mov_b32 s7, 0
	s_barrier
.LBB1292_2:
	v_cmp_gt_u32_e64 s0, s25, v0
	v_or_b32_e32 v41, 0x100, v0
	v_or_b32_e32 v40, 0x200, v0
	;; [unrolled: 1-line block ×12, first 2 shown]
	s_andn2_b32 vcc_lo, exec_lo, s7
	s_cbranch_vccnz .LBB1292_4
; %bb.3:
	v_add_nc_u32_e32 v2, s3, v41
	v_cmp_gt_u32_e32 vcc_lo, s25, v41
	v_add_nc_u32_e32 v3, s3, v40
	v_add_nc_u32_e32 v4, s3, v39
	;; [unrolled: 1-line block ×4, first 2 shown]
	v_cndmask_b32_e32 v2, 0, v2, vcc_lo
	v_cmp_gt_u32_e32 vcc_lo, s25, v40
	v_add_nc_u32_e32 v7, s3, v36
	v_add_nc_u32_e32 v8, s3, v35
	;; [unrolled: 1-line block ×4, first 2 shown]
	v_cndmask_b32_e32 v3, 0, v3, vcc_lo
	v_cmp_gt_u32_e32 vcc_lo, s25, v39
	v_add_nc_u32_e32 v11, s3, v32
	v_add_nc_u32_e32 v12, s3, v31
	v_cndmask_b32_e64 v1, 0, v1, s0
	v_add_nc_u32_e32 v13, s3, v30
	v_cndmask_b32_e32 v4, 0, v4, vcc_lo
	v_cmp_gt_u32_e32 vcc_lo, s25, v38
	v_cndmask_b32_e32 v5, 0, v5, vcc_lo
	v_cmp_gt_u32_e32 vcc_lo, s25, v37
	;; [unrolled: 2-line block ×9, first 2 shown]
	v_cndmask_b32_e32 v13, 0, v13, vcc_lo
	ds_write2st64_b32 v42, v1, v2 offset1:4
	ds_write2st64_b32 v42, v3, v4 offset0:8 offset1:12
	ds_write2st64_b32 v42, v5, v6 offset0:16 offset1:20
	;; [unrolled: 1-line block ×5, first 2 shown]
	ds_write_b32 v42, v13 offset:12288
	s_waitcnt lgkmcnt(0)
	s_barrier
.LBB1292_4:
	v_mul_u32_u24_e32 v45, 13, v0
	s_waitcnt lgkmcnt(0)
	buffer_gl0_inv
	v_cndmask_b32_e64 v43, 0, 1, s2
	s_andn2_b32 vcc_lo, exec_lo, s2
	v_lshlrev_b32_e32 v1, 2, v45
	ds_read2_b32 v[26:27], v1 offset0:2 offset1:3
	ds_read2_b32 v[22:23], v1 offset0:6 offset1:7
	ds_read2_b32 v[24:25], v1 offset0:4 offset1:5
	ds_read2_b32 v[28:29], v1 offset1:1
	ds_read2_b32 v[18:19], v1 offset0:10 offset1:11
	ds_read_b32 v44, v1 offset:48
	ds_read2_b32 v[20:21], v1 offset0:8 offset1:9
	s_waitcnt lgkmcnt(0)
	s_barrier
	buffer_gl0_inv
	s_cbranch_vccnz .LBB1292_6
; %bb.5:
	v_add_nc_u32_e32 v1, s9, v27
	v_add_nc_u32_e32 v4, s9, v26
	;; [unrolled: 1-line block ×6, first 2 shown]
	v_mul_lo_u32 v4, v4, s8
	v_mul_lo_u32 v1, v1, s8
	;; [unrolled: 1-line block ×4, first 2 shown]
	v_add_nc_u32_e32 v3, s9, v28
	v_add_nc_u32_e32 v7, s11, v28
	v_mul_lo_u32 v2, v2, s8
	v_mul_lo_u32 v6, v6, s10
	v_add_nc_u32_e32 v10, s11, v25
	v_mul_lo_u32 v3, v3, s8
	v_mul_lo_u32 v7, v7, s10
	v_sub_nc_u32_e32 v1, v1, v5
	v_sub_nc_u32_e32 v4, v4, v8
	v_add_nc_u32_e32 v5, s9, v23
	v_add_nc_u32_e32 v8, s11, v23
	v_sub_nc_u32_e32 v2, v2, v6
	v_add_nc_u32_e32 v6, s9, v25
	v_add_nc_u32_e32 v9, s9, v22
	v_mul_lo_u32 v5, v5, s8
	v_mul_lo_u32 v8, v8, s10
	v_sub_nc_u32_e32 v3, v3, v7
	v_add_nc_u32_e32 v7, s9, v24
	v_add_nc_u32_e32 v11, s11, v22
	v_mul_lo_u32 v6, v6, s8
	v_mul_lo_u32 v10, v10, s10
	v_add_nc_u32_e32 v12, s11, v24
	v_mul_lo_u32 v9, v9, s8
	v_mul_lo_u32 v7, v7, s8
	;; [unrolled: 1-line block ×3, first 2 shown]
	v_sub_nc_u32_e32 v5, v5, v8
	v_mul_lo_u32 v8, v12, s10
	v_cmp_lt_u32_e32 vcc_lo, s1, v1
	v_sub_nc_u32_e32 v6, v6, v10
	v_add_nc_u32_e32 v10, s9, v19
	v_add_nc_u32_e32 v14, s11, v19
	;; [unrolled: 1-line block ×3, first 2 shown]
	v_cndmask_b32_e64 v1, 0, 1, vcc_lo
	v_cmp_lt_u32_e32 vcc_lo, s1, v2
	v_sub_nc_u32_e32 v7, v7, v8
	v_sub_nc_u32_e32 v8, v9, v11
	v_add_nc_u32_e32 v11, s9, v21
	v_mul_lo_u32 v10, v10, s8
	v_mul_lo_u32 v14, v14, s10
	v_cndmask_b32_e64 v2, 0, 1, vcc_lo
	v_cmp_lt_u32_e32 vcc_lo, s1, v5
	v_mul_lo_u32 v11, v11, s8
	v_mul_lo_u32 v15, v15, s10
	v_mov_b32_e32 v9, 8
	v_lshlrev_b16 v2, 8, v2
	v_cndmask_b32_e64 v5, 0, 1, vcc_lo
	v_cmp_lt_u32_e32 vcc_lo, s1, v6
	v_sub_nc_u32_e32 v10, v10, v14
	v_add_nc_u32_e32 v12, s9, v20
	v_add_nc_u32_e32 v16, s11, v20
	v_sub_nc_u32_e32 v11, v11, v15
	v_cndmask_b32_e64 v6, 0, 1, vcc_lo
	v_cmp_lt_u32_e32 vcc_lo, s1, v10
	v_lshrrev_b32_sdwa v2, v9, v2 dst_sel:BYTE_1 dst_unused:UNUSED_PAD src0_sel:DWORD src1_sel:DWORD
	v_add_nc_u32_e32 v13, s9, v18
	v_add_nc_u32_e32 v17, s11, v18
	v_mul_lo_u32 v12, v12, s8
	v_cndmask_b32_e64 v10, 0, 1, vcc_lo
	v_cmp_lt_u32_e32 vcc_lo, s1, v11
	v_mul_lo_u32 v16, v16, s10
	v_mul_lo_u32 v13, v13, s8
	;; [unrolled: 1-line block ×3, first 2 shown]
	v_add_nc_u32_e32 v14, s9, v44
	v_cndmask_b32_e64 v11, 0, 1, vcc_lo
	v_cmp_lt_u32_e32 vcc_lo, s1, v3
	v_add_nc_u32_e32 v15, s11, v44
	v_lshlrev_b16 v1, 8, v1
	v_sub_nc_u32_e32 v12, v12, v16
	v_lshlrev_b16 v11, 8, v11
	v_cndmask_b32_e64 v3, 0, 1, vcc_lo
	v_cmp_lt_u32_e32 vcc_lo, s1, v4
	v_sub_nc_u32_e32 v13, v13, v17
	v_mul_lo_u32 v14, v14, s8
	v_mul_lo_u32 v15, v15, s10
	v_or_b32_e32 v2, v3, v2
	v_cndmask_b32_e64 v3, 0, 1, vcc_lo
	v_cmp_lt_u32_e32 vcc_lo, s1, v7
	v_lshlrev_b16 v6, 8, v6
	v_lshlrev_b16 v10, 8, v10
	;; [unrolled: 1-line block ×3, first 2 shown]
	v_lshrrev_b32_sdwa v1, v9, v1 dst_sel:BYTE_1 dst_unused:UNUSED_PAD src0_sel:DWORD src1_sel:DWORD
	v_cndmask_b32_e64 v4, 0, 1, vcc_lo
	v_cmp_lt_u32_e32 vcc_lo, s1, v8
	v_lshrrev_b32_sdwa v8, v9, v11 dst_sel:BYTE_1 dst_unused:UNUSED_PAD src0_sel:DWORD src1_sel:DWORD
	v_lshrrev_b32_sdwa v6, v9, v6 dst_sel:BYTE_1 dst_unused:UNUSED_PAD src0_sel:DWORD src1_sel:DWORD
	v_sub_nc_u32_e32 v14, v14, v15
	v_lshrrev_b32_sdwa v9, v9, v10 dst_sel:BYTE_1 dst_unused:UNUSED_PAD src0_sel:DWORD src1_sel:DWORD
	v_cndmask_b32_e64 v7, 0, 1, vcc_lo
	v_cmp_lt_u32_e32 vcc_lo, s1, v12
	v_or_b32_sdwa v1, v3, v1 dst_sel:WORD_1 dst_unused:UNUSED_PAD src0_sel:DWORD src1_sel:DWORD
	v_or_b32_e32 v3, v4, v6
	v_or_b32_sdwa v4, v7, v5 dst_sel:WORD_1 dst_unused:UNUSED_PAD src0_sel:DWORD src1_sel:DWORD
	v_cndmask_b32_e64 v11, 0, 1, vcc_lo
	v_cmp_lt_u32_e32 vcc_lo, s1, v13
	v_or_b32_sdwa v50, v2, v1 dst_sel:DWORD dst_unused:UNUSED_PAD src0_sel:WORD_0 src1_sel:DWORD
	v_or_b32_sdwa v48, v3, v4 dst_sel:DWORD dst_unused:UNUSED_PAD src0_sel:WORD_0 src1_sel:DWORD
	v_or_b32_e32 v5, v11, v8
	v_cndmask_b32_e64 v10, 0, 1, vcc_lo
	v_cmp_lt_u32_e32 vcc_lo, s1, v14
	v_or_b32_sdwa v6, v10, v9 dst_sel:WORD_1 dst_unused:UNUSED_PAD src0_sel:DWORD src1_sel:DWORD
	v_cndmask_b32_e64 v46, 0, 1, vcc_lo
	v_or_b32_sdwa v47, v5, v6 dst_sel:DWORD dst_unused:UNUSED_PAD src0_sel:WORD_0 src1_sel:DWORD
	s_clause 0x1
	s_load_dwordx2 s[14:15], s[4:5], 0x28
	s_load_dwordx2 s[22:23], s[4:5], 0x68
	s_cbranch_execz .LBB1292_7
	s_branch .LBB1292_34
.LBB1292_6:
                                        ; implicit-def: $vgpr46
                                        ; implicit-def: $vgpr47
                                        ; implicit-def: $vgpr48
                                        ; implicit-def: $vgpr50
	s_clause 0x1
	s_load_dwordx2 s[14:15], s[4:5], 0x28
	s_load_dwordx2 s[22:23], s[4:5], 0x68
.LBB1292_7:
	v_mov_b32_e32 v2, 0
	v_mov_b32_e32 v1, 0
	s_mov_b32 s0, exec_lo
	v_cmpx_gt_u32_e64 s25, v45
	s_cbranch_execz .LBB1292_9
; %bb.8:
	v_add_nc_u32_e32 v1, s9, v28
	v_add_nc_u32_e32 v3, s11, v28
	v_mul_lo_u32 v1, v1, s8
	v_mul_lo_u32 v3, v3, s10
	v_sub_nc_u32_e32 v1, v1, v3
	v_cmp_lt_u32_e32 vcc_lo, s1, v1
	v_cndmask_b32_e64 v1, 0, 1, vcc_lo
.LBB1292_9:
	s_or_b32 exec_lo, exec_lo, s0
	v_add_nc_u32_e32 v3, 1, v45
	s_mov_b32 s0, exec_lo
	v_cmpx_gt_u32_e64 s25, v3
	s_cbranch_execz .LBB1292_11
; %bb.10:
	v_add_nc_u32_e32 v2, s9, v29
	v_add_nc_u32_e32 v3, s11, v29
	v_mul_lo_u32 v2, v2, s8
	v_mul_lo_u32 v3, v3, s10
	v_sub_nc_u32_e32 v2, v2, v3
	v_cmp_lt_u32_e32 vcc_lo, s1, v2
	v_cndmask_b32_e64 v2, 0, 1, vcc_lo
.LBB1292_11:
	s_or_b32 exec_lo, exec_lo, s0
	v_add_nc_u32_e32 v3, 2, v45
	v_mov_b32_e32 v4, 0
	v_cmp_gt_u32_e32 vcc_lo, s25, v3
	v_mov_b32_e32 v3, 0
	s_and_saveexec_b32 s0, vcc_lo
	s_cbranch_execz .LBB1292_13
; %bb.12:
	v_add_nc_u32_e32 v3, s9, v26
	v_add_nc_u32_e32 v5, s11, v26
	v_mul_lo_u32 v3, v3, s8
	v_mul_lo_u32 v5, v5, s10
	v_sub_nc_u32_e32 v3, v3, v5
	v_cmp_lt_u32_e32 vcc_lo, s1, v3
	v_cndmask_b32_e64 v3, 0, 1, vcc_lo
.LBB1292_13:
	s_or_b32 exec_lo, exec_lo, s0
	v_add_nc_u32_e32 v5, 3, v45
	s_mov_b32 s0, exec_lo
	v_cmpx_gt_u32_e64 s25, v5
	s_cbranch_execz .LBB1292_15
; %bb.14:
	v_add_nc_u32_e32 v4, s9, v27
	v_add_nc_u32_e32 v5, s11, v27
	v_mul_lo_u32 v4, v4, s8
	v_mul_lo_u32 v5, v5, s10
	v_sub_nc_u32_e32 v4, v4, v5
	v_cmp_lt_u32_e32 vcc_lo, s1, v4
	v_cndmask_b32_e64 v4, 0, 1, vcc_lo
.LBB1292_15:
	s_or_b32 exec_lo, exec_lo, s0
	v_add_nc_u32_e32 v5, 4, v45
	v_mov_b32_e32 v6, 0
	v_cmp_gt_u32_e32 vcc_lo, s25, v5
	v_mov_b32_e32 v5, 0
	s_and_saveexec_b32 s0, vcc_lo
	;; [unrolled: 30-line block ×5, first 2 shown]
	s_cbranch_execz .LBB1292_29
; %bb.28:
	v_add_nc_u32_e32 v11, s9, v18
	v_add_nc_u32_e32 v13, s11, v18
	v_mul_lo_u32 v11, v11, s8
	v_mul_lo_u32 v13, v13, s10
	v_sub_nc_u32_e32 v11, v11, v13
	v_cmp_lt_u32_e32 vcc_lo, s1, v11
	v_cndmask_b32_e64 v11, 0, 1, vcc_lo
.LBB1292_29:
	s_or_b32 exec_lo, exec_lo, s0
	v_add_nc_u32_e32 v13, 11, v45
	s_mov_b32 s0, exec_lo
	v_cmpx_gt_u32_e64 s25, v13
	s_cbranch_execz .LBB1292_31
; %bb.30:
	v_add_nc_u32_e32 v12, s9, v19
	v_add_nc_u32_e32 v13, s11, v19
	v_mul_lo_u32 v12, v12, s8
	v_mul_lo_u32 v13, v13, s10
	v_sub_nc_u32_e32 v12, v12, v13
	v_cmp_lt_u32_e32 vcc_lo, s1, v12
	v_cndmask_b32_e64 v12, 0, 1, vcc_lo
.LBB1292_31:
	s_or_b32 exec_lo, exec_lo, s0
	v_add_nc_u32_e32 v13, 12, v45
	v_mov_b32_e32 v46, 0
	s_mov_b32 s0, exec_lo
	v_cmpx_gt_u32_e64 s25, v13
	s_cbranch_execz .LBB1292_33
; %bb.32:
	v_add_nc_u32_e32 v13, s9, v44
	v_add_nc_u32_e32 v14, s11, v44
	v_mul_lo_u32 v13, v13, s8
	v_mul_lo_u32 v14, v14, s10
	v_sub_nc_u32_e32 v13, v13, v14
	v_cmp_lt_u32_e32 vcc_lo, s1, v13
	v_cndmask_b32_e64 v46, 0, 1, vcc_lo
.LBB1292_33:
	s_or_b32 exec_lo, exec_lo, s0
	v_lshlrev_b16 v2, 8, v2
	v_lshlrev_b16 v4, 8, v4
	;; [unrolled: 1-line block ×5, first 2 shown]
	v_or_b32_e32 v1, v1, v2
	v_lshlrev_b16 v2, 8, v12
	v_or_b32_sdwa v3, v3, v4 dst_sel:WORD_1 dst_unused:UNUSED_PAD src0_sel:DWORD src1_sel:DWORD
	v_or_b32_e32 v4, v5, v6
	v_or_b32_sdwa v5, v7, v8 dst_sel:WORD_1 dst_unused:UNUSED_PAD src0_sel:DWORD src1_sel:DWORD
	v_or_b32_e32 v6, v9, v10
	v_or_b32_sdwa v2, v11, v2 dst_sel:WORD_1 dst_unused:UNUSED_PAD src0_sel:DWORD src1_sel:DWORD
	v_or_b32_sdwa v50, v1, v3 dst_sel:DWORD dst_unused:UNUSED_PAD src0_sel:WORD_0 src1_sel:DWORD
	v_or_b32_sdwa v48, v4, v5 dst_sel:DWORD dst_unused:UNUSED_PAD src0_sel:WORD_0 src1_sel:DWORD
	;; [unrolled: 1-line block ×3, first 2 shown]
.LBB1292_34:
	v_and_b32_e32 v53, 0xff, v50
	v_bfe_u32 v54, v50, 8, 8
	v_bfe_u32 v55, v50, 16, 8
	v_lshrrev_b32_e32 v52, 24, v50
	v_and_b32_e32 v56, 0xff, v48
	v_bfe_u32 v57, v48, 8, 8
	v_bfe_u32 v58, v48, 16, 8
	v_add3_u32 v1, v54, v53, v55
	v_lshrrev_b32_e32 v51, 24, v48
	v_and_b32_e32 v59, 0xff, v47
	v_bfe_u32 v60, v47, 8, 8
	v_mbcnt_lo_u32_b32 v62, -1, 0
	v_add3_u32 v1, v1, v52, v56
	v_bfe_u32 v61, v47, 16, 8
	v_lshrrev_b32_e32 v49, 24, v47
	v_and_b32_e32 v2, 0xff, v46
	v_and_b32_e32 v3, 15, v62
	v_add3_u32 v1, v1, v57, v58
	v_or_b32_e32 v4, 31, v0
	v_and_b32_e32 v5, 16, v62
	v_lshrrev_b32_e32 v63, 5, v0
	v_cmp_eq_u32_e64 s5, 0, v3
	v_add3_u32 v1, v1, v51, v59
	v_cmp_lt_u32_e64 s4, 1, v3
	v_cmp_lt_u32_e64 s3, 3, v3
	;; [unrolled: 1-line block ×3, first 2 shown]
	v_cmp_eq_u32_e64 s1, 0, v5
	v_add3_u32 v1, v1, v60, v61
	v_cmp_eq_u32_e64 s0, v0, v4
	s_cmp_lg_u32 s6, 0
	s_mov_b32 s7, -1
	v_add3_u32 v64, v1, v49, v2
	s_cbranch_scc0 .LBB1292_56
; %bb.35:
	v_mov_b32_dpp v1, v64 row_shr:1 row_mask:0xf bank_mask:0xf
	v_cndmask_b32_e64 v1, v1, 0, s5
	v_add_nc_u32_e32 v1, v1, v64
	v_mov_b32_dpp v2, v1 row_shr:2 row_mask:0xf bank_mask:0xf
	v_cndmask_b32_e64 v2, 0, v2, s4
	v_add_nc_u32_e32 v1, v1, v2
	;; [unrolled: 3-line block ×4, first 2 shown]
	ds_swizzle_b32 v2, v1 offset:swizzle(BROADCAST,32,15)
	s_waitcnt lgkmcnt(0)
	v_cndmask_b32_e64 v2, v2, 0, s1
	v_add_nc_u32_e32 v1, v1, v2
	s_and_saveexec_b32 s7, s0
; %bb.36:
	v_lshlrev_b32_e32 v2, 2, v63
	ds_write_b32 v2, v1
; %bb.37:
	s_or_b32 exec_lo, exec_lo, s7
	s_mov_b32 s7, exec_lo
	s_waitcnt lgkmcnt(0)
	s_barrier
	buffer_gl0_inv
	v_cmpx_gt_u32_e32 8, v0
	s_cbranch_execz .LBB1292_39
; %bb.38:
	ds_read_b32 v2, v42
	v_and_b32_e32 v3, 7, v62
	v_cmp_ne_u32_e32 vcc_lo, 0, v3
	s_waitcnt lgkmcnt(0)
	v_mov_b32_dpp v4, v2 row_shr:1 row_mask:0xf bank_mask:0xf
	v_cndmask_b32_e32 v4, 0, v4, vcc_lo
	v_cmp_lt_u32_e32 vcc_lo, 1, v3
	v_add_nc_u32_e32 v2, v4, v2
	v_mov_b32_dpp v4, v2 row_shr:2 row_mask:0xf bank_mask:0xf
	v_cndmask_b32_e32 v4, 0, v4, vcc_lo
	v_cmp_lt_u32_e32 vcc_lo, 3, v3
	v_add_nc_u32_e32 v2, v2, v4
	v_mov_b32_dpp v4, v2 row_shr:4 row_mask:0xf bank_mask:0xf
	v_cndmask_b32_e32 v3, 0, v4, vcc_lo
	v_add_nc_u32_e32 v2, v2, v3
	ds_write_b32 v42, v2
.LBB1292_39:
	s_or_b32 exec_lo, exec_lo, s7
	s_mov_b32 s8, exec_lo
	v_cmp_gt_u32_e32 vcc_lo, 32, v0
	s_waitcnt lgkmcnt(0)
	s_barrier
	buffer_gl0_inv
                                        ; implicit-def: $vgpr10
	v_cmpx_lt_u32_e32 31, v0
	s_cbranch_execz .LBB1292_41
; %bb.40:
	v_lshl_add_u32 v2, v63, 2, -4
	ds_read_b32 v10, v2
	s_waitcnt lgkmcnt(0)
	v_add_nc_u32_e32 v1, v10, v1
.LBB1292_41:
	s_or_b32 exec_lo, exec_lo, s8
	v_sub_co_u32 v2, s7, v62, 1
	v_cmp_gt_i32_e64 s8, 0, v2
	v_cndmask_b32_e64 v2, v2, v62, s8
	v_lshlrev_b32_e32 v2, 2, v2
	ds_bpermute_b32 v11, v2, v1
	s_and_saveexec_b32 s8, vcc_lo
	s_cbranch_execz .LBB1292_61
; %bb.42:
	v_mov_b32_e32 v7, 0
	ds_read_b32 v1, v7 offset:28
	s_and_saveexec_b32 s9, s7
	s_cbranch_execz .LBB1292_44
; %bb.43:
	s_add_i32 s10, s6, 32
	s_mov_b32 s11, 0
	v_mov_b32_e32 v2, 1
	s_lshl_b64 s[10:11], s[10:11], 3
	s_add_u32 s10, s22, s10
	s_addc_u32 s11, s23, s11
	s_waitcnt lgkmcnt(0)
	global_store_dwordx2 v7, v[1:2], s[10:11]
.LBB1292_44:
	s_or_b32 exec_lo, exec_lo, s9
	v_xad_u32 v3, v62, -1, s6
	s_mov_b32 s10, 0
	v_add_nc_u32_e32 v6, 32, v3
	v_lshlrev_b64 v[4:5], 3, v[6:7]
	v_add_co_u32 v8, vcc_lo, s22, v4
	v_add_co_ci_u32_e64 v9, null, s23, v5, vcc_lo
	global_load_dwordx2 v[5:6], v[8:9], off glc dlc
	s_waitcnt vmcnt(0)
	v_cmp_eq_u16_sdwa s11, v6, v7 src0_sel:BYTE_0 src1_sel:DWORD
	s_and_saveexec_b32 s9, s11
	s_cbranch_execz .LBB1292_48
; %bb.45:
	v_mov_b32_e32 v2, 0
.LBB1292_46:                            ; =>This Inner Loop Header: Depth=1
	global_load_dwordx2 v[5:6], v[8:9], off glc dlc
	s_waitcnt vmcnt(0)
	v_cmp_ne_u16_sdwa s11, v6, v2 src0_sel:BYTE_0 src1_sel:DWORD
	s_or_b32 s10, s11, s10
	s_andn2_b32 exec_lo, exec_lo, s10
	s_cbranch_execnz .LBB1292_46
; %bb.47:
	s_or_b32 exec_lo, exec_lo, s10
.LBB1292_48:
	s_or_b32 exec_lo, exec_lo, s9
	v_cmp_ne_u32_e32 vcc_lo, 31, v62
	v_mov_b32_e32 v12, 2
	v_lshlrev_b32_e64 v13, v62, -1
	v_add_nc_u32_e32 v15, 2, v62
	v_add_nc_u32_e32 v17, 4, v62
	v_add_co_ci_u32_e64 v2, null, 0, v62, vcc_lo
	v_cmp_eq_u16_sdwa s9, v6, v12 src0_sel:BYTE_0 src1_sel:DWORD
	v_cmp_gt_u32_e32 vcc_lo, 30, v62
	v_add_nc_u32_e32 v66, 8, v62
	v_lshlrev_b32_e32 v9, 2, v2
	v_lshl_or_b32 v67, v62, 2, 64
	v_and_or_b32 v4, s9, v13, 0x80000000
	v_cndmask_b32_e64 v7, 0, 2, vcc_lo
	v_add_nc_u32_e32 v68, 16, v62
	ds_bpermute_b32 v2, v9, v5
	v_ffbl_b32_e32 v4, v4
	v_add_lshl_u32 v14, v7, v62, 2
	v_cmp_lt_u32_e32 vcc_lo, v62, v4
	s_waitcnt lgkmcnt(0)
	v_cndmask_b32_e32 v2, 0, v2, vcc_lo
	v_cmp_gt_u32_e32 vcc_lo, 28, v62
	v_add_nc_u32_e32 v2, v2, v5
	v_cndmask_b32_e64 v7, 0, 4, vcc_lo
	v_cmp_le_u32_e32 vcc_lo, v15, v4
	ds_bpermute_b32 v5, v14, v2
	v_add_lshl_u32 v16, v7, v62, 2
	s_waitcnt lgkmcnt(0)
	v_cndmask_b32_e32 v5, 0, v5, vcc_lo
	v_cmp_gt_u32_e32 vcc_lo, 24, v62
	v_add_nc_u32_e32 v2, v2, v5
	v_cndmask_b32_e64 v7, 0, 8, vcc_lo
	v_cmp_le_u32_e32 vcc_lo, v17, v4
	ds_bpermute_b32 v5, v16, v2
	v_add_lshl_u32 v65, v7, v62, 2
	s_waitcnt lgkmcnt(0)
	v_cndmask_b32_e32 v5, 0, v5, vcc_lo
	v_cmp_le_u32_e32 vcc_lo, v66, v4
	v_add_nc_u32_e32 v2, v2, v5
	ds_bpermute_b32 v5, v65, v2
	s_waitcnt lgkmcnt(0)
	v_cndmask_b32_e32 v5, 0, v5, vcc_lo
	v_cmp_le_u32_e32 vcc_lo, v68, v4
	v_add_nc_u32_e32 v2, v2, v5
	ds_bpermute_b32 v5, v67, v2
	s_waitcnt lgkmcnt(0)
	v_cndmask_b32_e32 v4, 0, v5, vcc_lo
	v_add_nc_u32_e32 v5, v2, v4
	v_mov_b32_e32 v4, 0
	s_branch .LBB1292_52
.LBB1292_49:                            ;   in Loop: Header=BB1292_52 Depth=1
	s_or_b32 exec_lo, exec_lo, s10
.LBB1292_50:                            ;   in Loop: Header=BB1292_52 Depth=1
	s_or_b32 exec_lo, exec_lo, s9
	ds_bpermute_b32 v7, v9, v5
	v_cmp_eq_u16_sdwa s9, v6, v12 src0_sel:BYTE_0 src1_sel:DWORD
	v_subrev_nc_u32_e32 v3, 32, v3
	v_and_or_b32 v8, s9, v13, 0x80000000
	s_mov_b32 s9, 0
	v_ffbl_b32_e32 v8, v8
	v_cmp_lt_u32_e32 vcc_lo, v62, v8
	s_waitcnt lgkmcnt(0)
	v_cndmask_b32_e32 v7, 0, v7, vcc_lo
	v_cmp_le_u32_e32 vcc_lo, v15, v8
	v_add_nc_u32_e32 v5, v7, v5
	ds_bpermute_b32 v7, v14, v5
	s_waitcnt lgkmcnt(0)
	v_cndmask_b32_e32 v7, 0, v7, vcc_lo
	v_cmp_le_u32_e32 vcc_lo, v17, v8
	v_add_nc_u32_e32 v5, v5, v7
	ds_bpermute_b32 v7, v16, v5
	;; [unrolled: 5-line block ×4, first 2 shown]
	s_waitcnt lgkmcnt(0)
	v_cndmask_b32_e32 v7, 0, v7, vcc_lo
	v_add3_u32 v5, v7, v2, v5
.LBB1292_51:                            ;   in Loop: Header=BB1292_52 Depth=1
	s_and_b32 vcc_lo, exec_lo, s9
	s_cbranch_vccnz .LBB1292_57
.LBB1292_52:                            ; =>This Loop Header: Depth=1
                                        ;     Child Loop BB1292_55 Depth 2
	v_cmp_ne_u16_sdwa s9, v6, v12 src0_sel:BYTE_0 src1_sel:DWORD
	v_mov_b32_e32 v2, v5
                                        ; implicit-def: $vgpr5
                                        ; implicit-def: $vgpr6
	s_cmp_lg_u32 s9, exec_lo
	s_mov_b32 s9, -1
	s_cbranch_scc1 .LBB1292_51
; %bb.53:                               ;   in Loop: Header=BB1292_52 Depth=1
	v_lshlrev_b64 v[5:6], 3, v[3:4]
	v_add_co_u32 v7, vcc_lo, s22, v5
	v_add_co_ci_u32_e64 v8, null, s23, v6, vcc_lo
	global_load_dwordx2 v[5:6], v[7:8], off glc dlc
	s_waitcnt vmcnt(0)
	v_cmp_eq_u16_sdwa s10, v6, v4 src0_sel:BYTE_0 src1_sel:DWORD
	s_and_saveexec_b32 s9, s10
	s_cbranch_execz .LBB1292_50
; %bb.54:                               ;   in Loop: Header=BB1292_52 Depth=1
	s_mov_b32 s10, 0
.LBB1292_55:                            ;   Parent Loop BB1292_52 Depth=1
                                        ; =>  This Inner Loop Header: Depth=2
	global_load_dwordx2 v[5:6], v[7:8], off glc dlc
	s_waitcnt vmcnt(0)
	v_cmp_ne_u16_sdwa s11, v6, v4 src0_sel:BYTE_0 src1_sel:DWORD
	s_or_b32 s10, s11, s10
	s_andn2_b32 exec_lo, exec_lo, s10
	s_cbranch_execnz .LBB1292_55
	s_branch .LBB1292_49
.LBB1292_56:
                                        ; implicit-def: $vgpr17
                                        ; implicit-def: $vgpr1_vgpr2_vgpr3_vgpr4_vgpr5_vgpr6_vgpr7_vgpr8_vgpr9_vgpr10_vgpr11_vgpr12_vgpr13_vgpr14_vgpr15_vgpr16
	s_and_b32 vcc_lo, exec_lo, s7
	s_cbranch_vccnz .LBB1292_62
	s_branch .LBB1292_71
.LBB1292_57:
	s_and_saveexec_b32 s9, s7
	s_cbranch_execz .LBB1292_59
; %bb.58:
	s_add_i32 s10, s6, 32
	s_mov_b32 s11, 0
	v_add_nc_u32_e32 v3, v2, v1
	v_mov_b32_e32 v4, 2
	s_lshl_b64 s[10:11], s[10:11], 3
	v_mov_b32_e32 v5, 0
	s_add_u32 s10, s22, s10
	s_addc_u32 s11, s23, s11
	global_store_dwordx2 v5, v[3:4], s[10:11]
	ds_write_b64 v5, v[1:2] offset:13312
.LBB1292_59:
	s_or_b32 exec_lo, exec_lo, s9
	v_cmp_eq_u32_e32 vcc_lo, 0, v0
	s_and_b32 exec_lo, exec_lo, vcc_lo
; %bb.60:
	v_mov_b32_e32 v1, 0
	ds_write_b32 v1, v2 offset:28
.LBB1292_61:
	s_or_b32 exec_lo, exec_lo, s8
	v_mov_b32_e32 v12, 0
	s_waitcnt lgkmcnt(0)
	s_waitcnt_vscnt null, 0x0
	s_barrier
	buffer_gl0_inv
	v_cndmask_b32_e64 v2, v11, v10, s7
	ds_read_b32 v1, v12 offset:28
	v_cmp_ne_u32_e32 vcc_lo, 0, v0
	s_waitcnt lgkmcnt(0)
	s_barrier
	buffer_gl0_inv
	ds_read_b64 v[16:17], v12 offset:13312
	v_cndmask_b32_e32 v2, 0, v2, vcc_lo
	v_add_nc_u32_e32 v1, v1, v2
	v_add_nc_u32_e32 v2, v1, v53
	;; [unrolled: 1-line block ×13, first 2 shown]
	s_branch .LBB1292_71
.LBB1292_62:
	v_mov_b32_dpp v1, v64 row_shr:1 row_mask:0xf bank_mask:0xf
	v_cndmask_b32_e64 v1, v1, 0, s5
	v_add_nc_u32_e32 v1, v1, v64
	v_mov_b32_dpp v2, v1 row_shr:2 row_mask:0xf bank_mask:0xf
	v_cndmask_b32_e64 v2, 0, v2, s4
	v_add_nc_u32_e32 v1, v1, v2
	;; [unrolled: 3-line block ×4, first 2 shown]
	ds_swizzle_b32 v2, v1 offset:swizzle(BROADCAST,32,15)
	s_waitcnt lgkmcnt(0)
	v_cndmask_b32_e64 v2, v2, 0, s1
	v_add_nc_u32_e32 v1, v1, v2
	s_and_saveexec_b32 s1, s0
; %bb.63:
	v_lshlrev_b32_e32 v2, 2, v63
	ds_write_b32 v2, v1
; %bb.64:
	s_or_b32 exec_lo, exec_lo, s1
	s_mov_b32 s0, exec_lo
	s_waitcnt lgkmcnt(0)
	s_barrier
	buffer_gl0_inv
	v_cmpx_gt_u32_e32 8, v0
	s_cbranch_execz .LBB1292_66
; %bb.65:
	ds_read_b32 v2, v42
	v_and_b32_e32 v3, 7, v62
	v_cmp_ne_u32_e32 vcc_lo, 0, v3
	s_waitcnt lgkmcnt(0)
	v_mov_b32_dpp v4, v2 row_shr:1 row_mask:0xf bank_mask:0xf
	v_cndmask_b32_e32 v4, 0, v4, vcc_lo
	v_cmp_lt_u32_e32 vcc_lo, 1, v3
	v_add_nc_u32_e32 v2, v4, v2
	v_mov_b32_dpp v4, v2 row_shr:2 row_mask:0xf bank_mask:0xf
	v_cndmask_b32_e32 v4, 0, v4, vcc_lo
	v_cmp_lt_u32_e32 vcc_lo, 3, v3
	v_add_nc_u32_e32 v2, v2, v4
	v_mov_b32_dpp v4, v2 row_shr:4 row_mask:0xf bank_mask:0xf
	v_cndmask_b32_e32 v3, 0, v4, vcc_lo
	v_add_nc_u32_e32 v2, v2, v3
	ds_write_b32 v42, v2
.LBB1292_66:
	s_or_b32 exec_lo, exec_lo, s0
	v_mov_b32_e32 v3, 0
	v_mov_b32_e32 v2, 0
	s_mov_b32 s0, exec_lo
	s_waitcnt lgkmcnt(0)
	s_barrier
	buffer_gl0_inv
	v_cmpx_lt_u32_e32 31, v0
; %bb.67:
	v_lshl_add_u32 v2, v63, 2, -4
	ds_read_b32 v2, v2
; %bb.68:
	s_or_b32 exec_lo, exec_lo, s0
	v_sub_co_u32 v4, vcc_lo, v62, 1
	s_waitcnt lgkmcnt(0)
	v_add_nc_u32_e32 v1, v2, v1
	ds_read_b32 v16, v3 offset:28
	v_cmp_gt_i32_e64 s0, 0, v4
	v_cndmask_b32_e64 v4, v4, v62, s0
	v_cmp_eq_u32_e64 s0, 0, v0
	v_lshlrev_b32_e32 v4, 2, v4
	ds_bpermute_b32 v1, v4, v1
	s_and_saveexec_b32 s1, s0
	s_cbranch_execz .LBB1292_70
; %bb.69:
	v_mov_b32_e32 v3, 0
	v_mov_b32_e32 v17, 2
	s_waitcnt lgkmcnt(1)
	global_store_dwordx2 v3, v[16:17], s[22:23] offset:256
.LBB1292_70:
	s_or_b32 exec_lo, exec_lo, s1
	s_waitcnt lgkmcnt(0)
	v_cndmask_b32_e32 v1, v1, v2, vcc_lo
	v_mov_b32_e32 v17, 0
	s_waitcnt_vscnt null, 0x0
	s_barrier
	buffer_gl0_inv
	v_cndmask_b32_e64 v1, v1, 0, s0
	v_add_nc_u32_e32 v2, v1, v53
	v_add_nc_u32_e32 v3, v2, v54
	;; [unrolled: 1-line block ×12, first 2 shown]
.LBB1292_71:
	s_waitcnt lgkmcnt(0)
	v_add_nc_u32_e32 v45, v16, v45
	v_sub_nc_u32_e32 v1, v1, v17
	v_and_b32_e32 v54, 1, v50
	v_lshrrev_b32_e32 v53, 8, v50
	v_sub_nc_u32_e32 v2, v2, v17
	v_sub_nc_u32_e32 v3, v3, v17
	;; [unrolled: 1-line block ×3, first 2 shown]
	v_cmp_eq_u32_e32 vcc_lo, 1, v54
	v_and_b32_e32 v53, 1, v53
	v_mov_b32_e32 v56, 1
	v_sub_nc_u32_e32 v54, v45, v2
	v_sub_nc_u32_e32 v4, v4, v17
	v_cndmask_b32_e32 v1, v55, v1, vcc_lo
	v_sub_nc_u32_e32 v55, v45, v3
	v_and_b32_sdwa v50, v56, v50 dst_sel:DWORD dst_unused:UNUSED_PAD src0_sel:DWORD src1_sel:WORD_1
	v_add_nc_u32_e32 v54, 1, v54
	v_cmp_eq_u32_e32 vcc_lo, 1, v53
	v_lshlrev_b32_e32 v1, 2, v1
	v_and_b32_e32 v52, 1, v52
	v_sub_nc_u32_e32 v57, v45, v4
	v_add_nc_u32_e32 v55, 2, v55
	v_lshrrev_b32_e32 v15, 8, v48
	ds_write_b32 v1, v28
	v_cndmask_b32_e32 v1, v54, v2, vcc_lo
	v_cmp_eq_u32_e32 vcc_lo, 1, v50
	v_add_nc_u32_e32 v57, 3, v57
	v_lshrrev_b32_e32 v14, 8, v47
	v_lshlrev_b32_e32 v1, 2, v1
	v_cndmask_b32_e32 v2, v55, v3, vcc_lo
	v_cmp_eq_u32_e32 vcc_lo, 1, v52
	ds_write_b32 v1, v29
	v_lshlrev_b32_e32 v2, 2, v2
	v_cndmask_b32_e32 v3, v57, v4, vcc_lo
	v_sub_nc_u32_e32 v4, v5, v17
	v_sub_nc_u32_e32 v5, v6, v17
	v_lshlrev_b32_e32 v3, 2, v3
	v_sub_nc_u32_e32 v1, v45, v4
	v_sub_nc_u32_e32 v6, v45, v5
	ds_write_b32 v2, v26
	ds_write_b32 v3, v27
	v_and_b32_e32 v2, 1, v48
	v_add_nc_u32_e32 v1, 4, v1
	v_add_nc_u32_e32 v3, 5, v6
	v_sub_nc_u32_e32 v6, v7, v17
	v_and_b32_e32 v7, 1, v15
	v_cmp_eq_u32_e32 vcc_lo, 1, v2
	v_sub_nc_u32_e32 v2, v8, v17
	v_and_b32_e32 v8, 1, v51
	v_add_co_u32 v15, s0, s20, v17
	v_cndmask_b32_e32 v1, v1, v4, vcc_lo
	v_sub_nc_u32_e32 v4, v45, v6
	v_cmp_eq_u32_e32 vcc_lo, 1, v7
	v_and_b32_sdwa v7, v56, v48 dst_sel:DWORD dst_unused:UNUSED_PAD src0_sel:DWORD src1_sel:WORD_1
	v_lshlrev_b32_e32 v1, 2, v1
	v_add_nc_u32_e32 v4, 6, v4
	v_cndmask_b32_e32 v3, v3, v5, vcc_lo
	v_sub_nc_u32_e32 v5, v45, v2
	v_cmp_eq_u32_e32 vcc_lo, 1, v7
	v_sub_nc_u32_e32 v7, v13, v17
	v_lshlrev_b32_e32 v3, 2, v3
	v_add_nc_u32_e32 v5, 7, v5
	v_cndmask_b32_e32 v4, v4, v6, vcc_lo
	v_cmp_eq_u32_e32 vcc_lo, 1, v8
	v_sub_nc_u32_e32 v6, v9, v17
	ds_write_b32 v1, v24
	ds_write_b32 v3, v25
	v_lshlrev_b32_e32 v3, 2, v4
	v_cndmask_b32_e32 v2, v5, v2, vcc_lo
	v_sub_nc_u32_e32 v1, v45, v6
	v_and_b32_e32 v5, 1, v47
	v_sub_nc_u32_e32 v4, v10, v17
	v_and_b32_e32 v10, 1, v49
	v_lshlrev_b32_e32 v2, 2, v2
	v_add_nc_u32_e32 v1, 8, v1
	ds_write_b32 v3, v22
	ds_write_b32 v2, v23
	v_cmp_eq_u32_e32 vcc_lo, 1, v5
	v_sub_nc_u32_e32 v3, v11, v17
	v_sub_nc_u32_e32 v2, v45, v4
	;; [unrolled: 1-line block ×3, first 2 shown]
	v_and_b32_e32 v11, 1, v46
	v_cndmask_b32_e32 v1, v1, v6, vcc_lo
	v_and_b32_e32 v6, 1, v14
	v_sub_nc_u32_e32 v8, v45, v3
	v_add_nc_u32_e32 v2, 9, v2
	v_sub_nc_u32_e32 v9, v45, v5
	v_lshlrev_b32_e32 v1, 2, v1
	v_cmp_eq_u32_e32 vcc_lo, 1, v6
	v_add_nc_u32_e32 v6, 10, v8
	v_and_b32_sdwa v8, v56, v47 dst_sel:DWORD dst_unused:UNUSED_PAD src0_sel:DWORD src1_sel:WORD_1
	v_add_nc_u32_e32 v9, 11, v9
	v_add_co_ci_u32_e64 v17, null, s21, 0, s0
	v_cndmask_b32_e32 v2, v2, v4, vcc_lo
	v_cmp_eq_u32_e32 vcc_lo, 1, v8
	v_sub_nc_u32_e32 v4, v45, v7
	v_lshlrev_b32_e32 v2, 2, v2
	v_cndmask_b32_e32 v3, v6, v3, vcc_lo
	v_cmp_eq_u32_e32 vcc_lo, 1, v10
	v_add_nc_u32_e32 v4, 12, v4
	v_lshlrev_b32_e32 v3, 2, v3
	v_cndmask_b32_e32 v5, v9, v5, vcc_lo
	v_cmp_eq_u32_e32 vcc_lo, 1, v11
	v_lshlrev_b32_e32 v5, 2, v5
	v_cndmask_b32_e32 v4, v4, v7, vcc_lo
	v_cmp_ne_u32_e32 vcc_lo, 1, v43
	v_lshlrev_b32_e32 v4, 2, v4
	ds_write_b32 v1, v20
	ds_write_b32 v2, v21
	;; [unrolled: 1-line block ×5, first 2 shown]
	s_waitcnt lgkmcnt(0)
	s_barrier
	buffer_gl0_inv
	ds_read2st64_b32 v[11:12], v42 offset1:4
	ds_read2st64_b32 v[9:10], v42 offset0:8 offset1:12
	ds_read2st64_b32 v[7:8], v42 offset0:16 offset1:20
	;; [unrolled: 1-line block ×5, first 2 shown]
	ds_read_b32 v18, v42 offset:12288
	s_cbranch_vccnz .LBB1292_125
; %bb.72:
	s_sub_u32 s0, s18, s26
	v_sub_co_u32 v13, vcc_lo, v15, s16
	s_subb_u32 s1, s19, 0
	v_add_co_u32 v19, s0, s0, v16
	v_subrev_co_ci_u32_e64 v14, null, s17, v17, vcc_lo
	v_add_co_ci_u32_e64 v20, null, s1, 0, s0
	v_add_co_u32 v19, vcc_lo, v19, v13
	s_mov_b32 s0, exec_lo
	v_add_co_ci_u32_e64 v20, null, v20, v14, vcc_lo
                                        ; implicit-def: $vgpr13_vgpr14
	v_cmpx_ge_u32_e64 v0, v16
	s_xor_b32 s0, exec_lo, s0
; %bb.73:
	v_not_b32_e32 v13, v0
	v_ashrrev_i32_e32 v14, 31, v13
	v_add_co_u32 v13, vcc_lo, v19, v13
	v_add_co_ci_u32_e64 v14, null, v20, v14, vcc_lo
; %bb.74:
	s_andn2_saveexec_b32 s0, s0
; %bb.75:
	v_add_co_u32 v13, vcc_lo, v15, v0
	v_add_co_ci_u32_e64 v14, null, 0, v17, vcc_lo
; %bb.76:
	s_or_b32 exec_lo, exec_lo, s0
	v_lshlrev_b64 v[13:14], 2, v[13:14]
	s_mov_b32 s0, exec_lo
	v_add_co_u32 v13, vcc_lo, s14, v13
	v_add_co_ci_u32_e64 v14, null, s15, v14, vcc_lo
	s_waitcnt lgkmcnt(6)
	global_store_dword v[13:14], v11, off
                                        ; implicit-def: $vgpr13_vgpr14
	v_cmpx_ge_u32_e64 v41, v16
	s_xor_b32 s0, exec_lo, s0
; %bb.77:
	v_xor_b32_e32 v13, 0xfffffeff, v0
	v_ashrrev_i32_e32 v14, 31, v13
	v_add_co_u32 v13, vcc_lo, v19, v13
	v_add_co_ci_u32_e64 v14, null, v20, v14, vcc_lo
; %bb.78:
	s_andn2_saveexec_b32 s0, s0
; %bb.79:
	v_add_co_u32 v13, vcc_lo, v15, v41
	v_add_co_ci_u32_e64 v14, null, 0, v17, vcc_lo
; %bb.80:
	s_or_b32 exec_lo, exec_lo, s0
	v_lshlrev_b64 v[13:14], 2, v[13:14]
	s_mov_b32 s0, exec_lo
	v_add_co_u32 v13, vcc_lo, s14, v13
	v_add_co_ci_u32_e64 v14, null, s15, v14, vcc_lo
	global_store_dword v[13:14], v12, off
                                        ; implicit-def: $vgpr13_vgpr14
	v_cmpx_ge_u32_e64 v40, v16
	s_xor_b32 s0, exec_lo, s0
; %bb.81:
	v_xor_b32_e32 v13, 0xfffffdff, v0
	v_ashrrev_i32_e32 v14, 31, v13
	v_add_co_u32 v13, vcc_lo, v19, v13
	v_add_co_ci_u32_e64 v14, null, v20, v14, vcc_lo
; %bb.82:
	s_andn2_saveexec_b32 s0, s0
; %bb.83:
	v_add_co_u32 v13, vcc_lo, v15, v40
	v_add_co_ci_u32_e64 v14, null, 0, v17, vcc_lo
; %bb.84:
	s_or_b32 exec_lo, exec_lo, s0
	v_lshlrev_b64 v[13:14], 2, v[13:14]
	s_mov_b32 s0, exec_lo
	v_add_co_u32 v13, vcc_lo, s14, v13
	v_add_co_ci_u32_e64 v14, null, s15, v14, vcc_lo
	s_waitcnt lgkmcnt(5)
	global_store_dword v[13:14], v9, off
                                        ; implicit-def: $vgpr13_vgpr14
	v_cmpx_ge_u32_e64 v39, v16
	s_xor_b32 s0, exec_lo, s0
; %bb.85:
	v_xor_b32_e32 v13, 0xfffffcff, v0
	v_ashrrev_i32_e32 v14, 31, v13
	v_add_co_u32 v13, vcc_lo, v19, v13
	v_add_co_ci_u32_e64 v14, null, v20, v14, vcc_lo
; %bb.86:
	s_andn2_saveexec_b32 s0, s0
; %bb.87:
	v_add_co_u32 v13, vcc_lo, v15, v39
	v_add_co_ci_u32_e64 v14, null, 0, v17, vcc_lo
; %bb.88:
	s_or_b32 exec_lo, exec_lo, s0
	v_lshlrev_b64 v[13:14], 2, v[13:14]
	s_mov_b32 s0, exec_lo
	v_add_co_u32 v13, vcc_lo, s14, v13
	v_add_co_ci_u32_e64 v14, null, s15, v14, vcc_lo
	global_store_dword v[13:14], v10, off
                                        ; implicit-def: $vgpr13_vgpr14
	v_cmpx_ge_u32_e64 v38, v16
	s_xor_b32 s0, exec_lo, s0
; %bb.89:
	v_xor_b32_e32 v13, 0xfffffbff, v0
	;; [unrolled: 41-line block ×6, first 2 shown]
	v_ashrrev_i32_e32 v14, 31, v13
	v_add_co_u32 v13, vcc_lo, v19, v13
	v_add_co_ci_u32_e64 v14, null, v20, v14, vcc_lo
; %bb.122:
	s_andn2_saveexec_b32 s0, s0
; %bb.123:
	v_add_co_u32 v13, vcc_lo, v15, v30
	v_add_co_ci_u32_e64 v14, null, 0, v17, vcc_lo
; %bb.124:
	s_or_b32 exec_lo, exec_lo, s0
	s_mov_b32 s0, -1
	s_branch .LBB1292_205
.LBB1292_125:
	s_mov_b32 s0, 0
                                        ; implicit-def: $vgpr13_vgpr14
	s_cbranch_execz .LBB1292_205
; %bb.126:
	s_add_u32 s1, s16, s26
	s_addc_u32 s2, s17, 0
	s_sub_u32 s1, s18, s1
	s_subb_u32 s2, s19, s2
	v_add_co_u32 v13, s1, s1, v16
	v_add_co_ci_u32_e64 v14, null, s2, 0, s1
	s_mov_b32 s1, exec_lo
	v_add_co_u32 v19, vcc_lo, v13, v15
	v_add_co_ci_u32_e64 v20, null, v14, v17, vcc_lo
	v_cmpx_gt_u32_e64 s25, v0
	s_cbranch_execz .LBB1292_162
; %bb.127:
	s_mov_b32 s2, exec_lo
                                        ; implicit-def: $vgpr13_vgpr14
	v_cmpx_ge_u32_e64 v0, v16
	s_xor_b32 s2, exec_lo, s2
; %bb.128:
	v_not_b32_e32 v13, v0
	v_ashrrev_i32_e32 v14, 31, v13
	v_add_co_u32 v13, vcc_lo, v19, v13
	v_add_co_ci_u32_e64 v14, null, v20, v14, vcc_lo
; %bb.129:
	s_andn2_saveexec_b32 s2, s2
; %bb.130:
	v_add_co_u32 v13, vcc_lo, v15, v0
	v_add_co_ci_u32_e64 v14, null, 0, v17, vcc_lo
; %bb.131:
	s_or_b32 exec_lo, exec_lo, s2
	v_lshlrev_b64 v[13:14], 2, v[13:14]
	v_add_co_u32 v13, vcc_lo, s14, v13
	v_add_co_ci_u32_e64 v14, null, s15, v14, vcc_lo
	s_waitcnt lgkmcnt(6)
	global_store_dword v[13:14], v11, off
	s_or_b32 exec_lo, exec_lo, s1
	s_mov_b32 s1, exec_lo
	v_cmpx_gt_u32_e64 s25, v41
	s_cbranch_execnz .LBB1292_163
.LBB1292_132:
	s_or_b32 exec_lo, exec_lo, s1
	s_mov_b32 s1, exec_lo
	v_cmpx_gt_u32_e64 s25, v40
	s_cbranch_execz .LBB1292_168
.LBB1292_133:
	s_mov_b32 s2, exec_lo
                                        ; implicit-def: $vgpr11_vgpr12
	v_cmpx_ge_u32_e64 v40, v16
	s_xor_b32 s2, exec_lo, s2
	s_cbranch_execz .LBB1292_135
; %bb.134:
	s_waitcnt lgkmcnt(6)
	v_xor_b32_e32 v11, 0xfffffdff, v0
                                        ; implicit-def: $vgpr40
	v_ashrrev_i32_e32 v12, 31, v11
	v_add_co_u32 v11, vcc_lo, v19, v11
	v_add_co_ci_u32_e64 v12, null, v20, v12, vcc_lo
.LBB1292_135:
	s_andn2_saveexec_b32 s2, s2
	s_cbranch_execz .LBB1292_137
; %bb.136:
	s_waitcnt lgkmcnt(6)
	v_add_co_u32 v11, vcc_lo, v15, v40
	v_add_co_ci_u32_e64 v12, null, 0, v17, vcc_lo
.LBB1292_137:
	s_or_b32 exec_lo, exec_lo, s2
	s_waitcnt lgkmcnt(6)
	v_lshlrev_b64 v[11:12], 2, v[11:12]
	v_add_co_u32 v11, vcc_lo, s14, v11
	v_add_co_ci_u32_e64 v12, null, s15, v12, vcc_lo
	s_waitcnt lgkmcnt(5)
	global_store_dword v[11:12], v9, off
	s_or_b32 exec_lo, exec_lo, s1
	s_mov_b32 s1, exec_lo
	v_cmpx_gt_u32_e64 s25, v39
	s_cbranch_execnz .LBB1292_169
.LBB1292_138:
	s_or_b32 exec_lo, exec_lo, s1
	s_mov_b32 s1, exec_lo
	v_cmpx_gt_u32_e64 s25, v38
	s_cbranch_execz .LBB1292_174
.LBB1292_139:
	s_mov_b32 s2, exec_lo
                                        ; implicit-def: $vgpr9_vgpr10
	v_cmpx_ge_u32_e64 v38, v16
	s_xor_b32 s2, exec_lo, s2
	s_cbranch_execz .LBB1292_141
; %bb.140:
	s_waitcnt lgkmcnt(5)
	v_xor_b32_e32 v9, 0xfffffbff, v0
                                        ; implicit-def: $vgpr38
	v_ashrrev_i32_e32 v10, 31, v9
	v_add_co_u32 v9, vcc_lo, v19, v9
	v_add_co_ci_u32_e64 v10, null, v20, v10, vcc_lo
.LBB1292_141:
	s_andn2_saveexec_b32 s2, s2
	s_cbranch_execz .LBB1292_143
; %bb.142:
	s_waitcnt lgkmcnt(5)
	v_add_co_u32 v9, vcc_lo, v15, v38
	v_add_co_ci_u32_e64 v10, null, 0, v17, vcc_lo
.LBB1292_143:
	s_or_b32 exec_lo, exec_lo, s2
	s_waitcnt lgkmcnt(5)
	v_lshlrev_b64 v[9:10], 2, v[9:10]
	v_add_co_u32 v9, vcc_lo, s14, v9
	v_add_co_ci_u32_e64 v10, null, s15, v10, vcc_lo
	s_waitcnt lgkmcnt(4)
	global_store_dword v[9:10], v7, off
	s_or_b32 exec_lo, exec_lo, s1
	s_mov_b32 s1, exec_lo
	v_cmpx_gt_u32_e64 s25, v37
	s_cbranch_execnz .LBB1292_175
.LBB1292_144:
	s_or_b32 exec_lo, exec_lo, s1
	s_mov_b32 s1, exec_lo
	v_cmpx_gt_u32_e64 s25, v36
	s_cbranch_execz .LBB1292_180
.LBB1292_145:
	s_mov_b32 s2, exec_lo
                                        ; implicit-def: $vgpr7_vgpr8
	v_cmpx_ge_u32_e64 v36, v16
	s_xor_b32 s2, exec_lo, s2
	s_cbranch_execz .LBB1292_147
; %bb.146:
	s_waitcnt lgkmcnt(4)
	v_xor_b32_e32 v7, 0xfffff9ff, v0
                                        ; implicit-def: $vgpr36
	v_ashrrev_i32_e32 v8, 31, v7
	v_add_co_u32 v7, vcc_lo, v19, v7
	v_add_co_ci_u32_e64 v8, null, v20, v8, vcc_lo
.LBB1292_147:
	s_andn2_saveexec_b32 s2, s2
	s_cbranch_execz .LBB1292_149
; %bb.148:
	s_waitcnt lgkmcnt(4)
	v_add_co_u32 v7, vcc_lo, v15, v36
	v_add_co_ci_u32_e64 v8, null, 0, v17, vcc_lo
.LBB1292_149:
	s_or_b32 exec_lo, exec_lo, s2
	s_waitcnt lgkmcnt(4)
	v_lshlrev_b64 v[7:8], 2, v[7:8]
	v_add_co_u32 v7, vcc_lo, s14, v7
	v_add_co_ci_u32_e64 v8, null, s15, v8, vcc_lo
	s_waitcnt lgkmcnt(3)
	global_store_dword v[7:8], v5, off
	s_or_b32 exec_lo, exec_lo, s1
	s_mov_b32 s1, exec_lo
	v_cmpx_gt_u32_e64 s25, v35
	s_cbranch_execnz .LBB1292_181
.LBB1292_150:
	s_or_b32 exec_lo, exec_lo, s1
	s_mov_b32 s1, exec_lo
	v_cmpx_gt_u32_e64 s25, v34
	s_cbranch_execz .LBB1292_186
.LBB1292_151:
	s_mov_b32 s2, exec_lo
                                        ; implicit-def: $vgpr5_vgpr6
	v_cmpx_ge_u32_e64 v34, v16
	s_xor_b32 s2, exec_lo, s2
	s_cbranch_execz .LBB1292_153
; %bb.152:
	s_waitcnt lgkmcnt(3)
	v_xor_b32_e32 v5, 0xfffff7ff, v0
                                        ; implicit-def: $vgpr34
	v_ashrrev_i32_e32 v6, 31, v5
	v_add_co_u32 v5, vcc_lo, v19, v5
	v_add_co_ci_u32_e64 v6, null, v20, v6, vcc_lo
.LBB1292_153:
	s_andn2_saveexec_b32 s2, s2
	s_cbranch_execz .LBB1292_155
; %bb.154:
	s_waitcnt lgkmcnt(3)
	v_add_co_u32 v5, vcc_lo, v15, v34
	v_add_co_ci_u32_e64 v6, null, 0, v17, vcc_lo
.LBB1292_155:
	s_or_b32 exec_lo, exec_lo, s2
	s_waitcnt lgkmcnt(3)
	v_lshlrev_b64 v[5:6], 2, v[5:6]
	v_add_co_u32 v5, vcc_lo, s14, v5
	v_add_co_ci_u32_e64 v6, null, s15, v6, vcc_lo
	s_waitcnt lgkmcnt(2)
	global_store_dword v[5:6], v3, off
	s_or_b32 exec_lo, exec_lo, s1
	s_mov_b32 s1, exec_lo
	v_cmpx_gt_u32_e64 s25, v33
	s_cbranch_execnz .LBB1292_187
.LBB1292_156:
	s_or_b32 exec_lo, exec_lo, s1
	s_mov_b32 s1, exec_lo
	v_cmpx_gt_u32_e64 s25, v32
	s_cbranch_execz .LBB1292_192
.LBB1292_157:
	s_mov_b32 s2, exec_lo
                                        ; implicit-def: $vgpr3_vgpr4
	v_cmpx_ge_u32_e64 v32, v16
	s_xor_b32 s2, exec_lo, s2
	s_cbranch_execz .LBB1292_159
; %bb.158:
	s_waitcnt lgkmcnt(2)
	v_xor_b32_e32 v3, 0xfffff5ff, v0
                                        ; implicit-def: $vgpr32
	v_ashrrev_i32_e32 v4, 31, v3
	v_add_co_u32 v3, vcc_lo, v19, v3
	v_add_co_ci_u32_e64 v4, null, v20, v4, vcc_lo
.LBB1292_159:
	s_andn2_saveexec_b32 s2, s2
	s_cbranch_execz .LBB1292_161
; %bb.160:
	s_waitcnt lgkmcnt(2)
	v_add_co_u32 v3, vcc_lo, v15, v32
	v_add_co_ci_u32_e64 v4, null, 0, v17, vcc_lo
.LBB1292_161:
	s_or_b32 exec_lo, exec_lo, s2
	s_waitcnt lgkmcnt(2)
	v_lshlrev_b64 v[3:4], 2, v[3:4]
	v_add_co_u32 v3, vcc_lo, s14, v3
	v_add_co_ci_u32_e64 v4, null, s15, v4, vcc_lo
	s_waitcnt lgkmcnt(1)
	global_store_dword v[3:4], v1, off
	s_or_b32 exec_lo, exec_lo, s1
	s_mov_b32 s1, exec_lo
	v_cmpx_gt_u32_e64 s25, v31
	s_cbranch_execz .LBB1292_198
	s_branch .LBB1292_193
.LBB1292_162:
	s_or_b32 exec_lo, exec_lo, s1
	s_mov_b32 s1, exec_lo
	v_cmpx_gt_u32_e64 s25, v41
	s_cbranch_execz .LBB1292_132
.LBB1292_163:
	s_mov_b32 s2, exec_lo
                                        ; implicit-def: $vgpr13_vgpr14
	v_cmpx_ge_u32_e64 v41, v16
	s_xor_b32 s2, exec_lo, s2
	s_cbranch_execz .LBB1292_165
; %bb.164:
	s_waitcnt lgkmcnt(6)
	v_xor_b32_e32 v11, 0xfffffeff, v0
                                        ; implicit-def: $vgpr41
	v_ashrrev_i32_e32 v14, 31, v11
	v_add_co_u32 v13, vcc_lo, v19, v11
	v_add_co_ci_u32_e64 v14, null, v20, v14, vcc_lo
.LBB1292_165:
	s_andn2_saveexec_b32 s2, s2
; %bb.166:
	v_add_co_u32 v13, vcc_lo, v15, v41
	v_add_co_ci_u32_e64 v14, null, 0, v17, vcc_lo
; %bb.167:
	s_or_b32 exec_lo, exec_lo, s2
	v_lshlrev_b64 v[13:14], 2, v[13:14]
	v_add_co_u32 v13, vcc_lo, s14, v13
	v_add_co_ci_u32_e64 v14, null, s15, v14, vcc_lo
	s_waitcnt lgkmcnt(6)
	global_store_dword v[13:14], v12, off
	s_or_b32 exec_lo, exec_lo, s1
	s_mov_b32 s1, exec_lo
	v_cmpx_gt_u32_e64 s25, v40
	s_cbranch_execnz .LBB1292_133
.LBB1292_168:
	s_or_b32 exec_lo, exec_lo, s1
	s_mov_b32 s1, exec_lo
	v_cmpx_gt_u32_e64 s25, v39
	s_cbranch_execz .LBB1292_138
.LBB1292_169:
	s_mov_b32 s2, exec_lo
                                        ; implicit-def: $vgpr11_vgpr12
	v_cmpx_ge_u32_e64 v39, v16
	s_xor_b32 s2, exec_lo, s2
	s_cbranch_execz .LBB1292_171
; %bb.170:
	s_waitcnt lgkmcnt(5)
	v_xor_b32_e32 v9, 0xfffffcff, v0
                                        ; implicit-def: $vgpr39
	v_ashrrev_i32_e32 v12, 31, v9
	v_add_co_u32 v11, vcc_lo, v19, v9
	v_add_co_ci_u32_e64 v12, null, v20, v12, vcc_lo
.LBB1292_171:
	s_andn2_saveexec_b32 s2, s2
	s_cbranch_execz .LBB1292_173
; %bb.172:
	s_waitcnt lgkmcnt(6)
	v_add_co_u32 v11, vcc_lo, v15, v39
	v_add_co_ci_u32_e64 v12, null, 0, v17, vcc_lo
.LBB1292_173:
	s_or_b32 exec_lo, exec_lo, s2
	s_waitcnt lgkmcnt(6)
	v_lshlrev_b64 v[11:12], 2, v[11:12]
	v_add_co_u32 v11, vcc_lo, s14, v11
	v_add_co_ci_u32_e64 v12, null, s15, v12, vcc_lo
	s_waitcnt lgkmcnt(5)
	global_store_dword v[11:12], v10, off
	s_or_b32 exec_lo, exec_lo, s1
	s_mov_b32 s1, exec_lo
	v_cmpx_gt_u32_e64 s25, v38
	s_cbranch_execnz .LBB1292_139
.LBB1292_174:
	s_or_b32 exec_lo, exec_lo, s1
	s_mov_b32 s1, exec_lo
	v_cmpx_gt_u32_e64 s25, v37
	s_cbranch_execz .LBB1292_144
.LBB1292_175:
	s_mov_b32 s2, exec_lo
                                        ; implicit-def: $vgpr9_vgpr10
	v_cmpx_ge_u32_e64 v37, v16
	s_xor_b32 s2, exec_lo, s2
	s_cbranch_execz .LBB1292_177
; %bb.176:
	s_waitcnt lgkmcnt(4)
	v_xor_b32_e32 v7, 0xfffffaff, v0
                                        ; implicit-def: $vgpr37
	v_ashrrev_i32_e32 v10, 31, v7
	v_add_co_u32 v9, vcc_lo, v19, v7
	v_add_co_ci_u32_e64 v10, null, v20, v10, vcc_lo
.LBB1292_177:
	s_andn2_saveexec_b32 s2, s2
	s_cbranch_execz .LBB1292_179
; %bb.178:
	s_waitcnt lgkmcnt(5)
	v_add_co_u32 v9, vcc_lo, v15, v37
	v_add_co_ci_u32_e64 v10, null, 0, v17, vcc_lo
.LBB1292_179:
	s_or_b32 exec_lo, exec_lo, s2
	s_waitcnt lgkmcnt(5)
	v_lshlrev_b64 v[9:10], 2, v[9:10]
	v_add_co_u32 v9, vcc_lo, s14, v9
	v_add_co_ci_u32_e64 v10, null, s15, v10, vcc_lo
	s_waitcnt lgkmcnt(4)
	global_store_dword v[9:10], v8, off
	s_or_b32 exec_lo, exec_lo, s1
	s_mov_b32 s1, exec_lo
	v_cmpx_gt_u32_e64 s25, v36
	s_cbranch_execnz .LBB1292_145
.LBB1292_180:
	s_or_b32 exec_lo, exec_lo, s1
	s_mov_b32 s1, exec_lo
	v_cmpx_gt_u32_e64 s25, v35
	s_cbranch_execz .LBB1292_150
.LBB1292_181:
	s_mov_b32 s2, exec_lo
                                        ; implicit-def: $vgpr7_vgpr8
	v_cmpx_ge_u32_e64 v35, v16
	s_xor_b32 s2, exec_lo, s2
	s_cbranch_execz .LBB1292_183
; %bb.182:
	s_waitcnt lgkmcnt(3)
	v_xor_b32_e32 v5, 0xfffff8ff, v0
                                        ; implicit-def: $vgpr35
	v_ashrrev_i32_e32 v8, 31, v5
	v_add_co_u32 v7, vcc_lo, v19, v5
	v_add_co_ci_u32_e64 v8, null, v20, v8, vcc_lo
.LBB1292_183:
	s_andn2_saveexec_b32 s2, s2
	s_cbranch_execz .LBB1292_185
; %bb.184:
	s_waitcnt lgkmcnt(4)
	v_add_co_u32 v7, vcc_lo, v15, v35
	v_add_co_ci_u32_e64 v8, null, 0, v17, vcc_lo
.LBB1292_185:
	s_or_b32 exec_lo, exec_lo, s2
	s_waitcnt lgkmcnt(4)
	v_lshlrev_b64 v[7:8], 2, v[7:8]
	v_add_co_u32 v7, vcc_lo, s14, v7
	v_add_co_ci_u32_e64 v8, null, s15, v8, vcc_lo
	s_waitcnt lgkmcnt(3)
	global_store_dword v[7:8], v6, off
	s_or_b32 exec_lo, exec_lo, s1
	s_mov_b32 s1, exec_lo
	v_cmpx_gt_u32_e64 s25, v34
	s_cbranch_execnz .LBB1292_151
.LBB1292_186:
	s_or_b32 exec_lo, exec_lo, s1
	s_mov_b32 s1, exec_lo
	v_cmpx_gt_u32_e64 s25, v33
	s_cbranch_execz .LBB1292_156
.LBB1292_187:
	s_mov_b32 s2, exec_lo
                                        ; implicit-def: $vgpr5_vgpr6
	v_cmpx_ge_u32_e64 v33, v16
	s_xor_b32 s2, exec_lo, s2
	s_cbranch_execz .LBB1292_189
; %bb.188:
	s_waitcnt lgkmcnt(2)
	v_xor_b32_e32 v3, 0xfffff6ff, v0
                                        ; implicit-def: $vgpr33
	v_ashrrev_i32_e32 v6, 31, v3
	v_add_co_u32 v5, vcc_lo, v19, v3
	v_add_co_ci_u32_e64 v6, null, v20, v6, vcc_lo
.LBB1292_189:
	s_andn2_saveexec_b32 s2, s2
	s_cbranch_execz .LBB1292_191
; %bb.190:
	s_waitcnt lgkmcnt(3)
	v_add_co_u32 v5, vcc_lo, v15, v33
	v_add_co_ci_u32_e64 v6, null, 0, v17, vcc_lo
.LBB1292_191:
	s_or_b32 exec_lo, exec_lo, s2
	s_waitcnt lgkmcnt(3)
	v_lshlrev_b64 v[5:6], 2, v[5:6]
	v_add_co_u32 v5, vcc_lo, s14, v5
	v_add_co_ci_u32_e64 v6, null, s15, v6, vcc_lo
	s_waitcnt lgkmcnt(2)
	global_store_dword v[5:6], v4, off
	s_or_b32 exec_lo, exec_lo, s1
	s_mov_b32 s1, exec_lo
	v_cmpx_gt_u32_e64 s25, v32
	s_cbranch_execnz .LBB1292_157
.LBB1292_192:
	s_or_b32 exec_lo, exec_lo, s1
	s_mov_b32 s1, exec_lo
	v_cmpx_gt_u32_e64 s25, v31
	s_cbranch_execz .LBB1292_198
.LBB1292_193:
	s_mov_b32 s2, exec_lo
                                        ; implicit-def: $vgpr3_vgpr4
	v_cmpx_ge_u32_e64 v31, v16
	s_xor_b32 s2, exec_lo, s2
	s_cbranch_execz .LBB1292_195
; %bb.194:
	s_waitcnt lgkmcnt(1)
	v_xor_b32_e32 v1, 0xfffff4ff, v0
                                        ; implicit-def: $vgpr31
	v_ashrrev_i32_e32 v4, 31, v1
	v_add_co_u32 v3, vcc_lo, v19, v1
	v_add_co_ci_u32_e64 v4, null, v20, v4, vcc_lo
.LBB1292_195:
	s_andn2_saveexec_b32 s2, s2
	s_cbranch_execz .LBB1292_197
; %bb.196:
	s_waitcnt lgkmcnt(2)
	v_add_co_u32 v3, vcc_lo, v15, v31
	v_add_co_ci_u32_e64 v4, null, 0, v17, vcc_lo
.LBB1292_197:
	s_or_b32 exec_lo, exec_lo, s2
	s_waitcnt lgkmcnt(2)
	v_lshlrev_b64 v[3:4], 2, v[3:4]
	v_add_co_u32 v3, vcc_lo, s14, v3
	v_add_co_ci_u32_e64 v4, null, s15, v4, vcc_lo
	s_waitcnt lgkmcnt(1)
	global_store_dword v[3:4], v2, off
.LBB1292_198:
	s_or_b32 exec_lo, exec_lo, s1
	s_mov_b32 s1, exec_lo
                                        ; implicit-def: $vgpr13_vgpr14
	v_cmpx_gt_u32_e64 s25, v30
	s_cbranch_execz .LBB1292_204
; %bb.199:
	s_mov_b32 s2, exec_lo
                                        ; implicit-def: $vgpr13_vgpr14
	v_cmpx_ge_u32_e64 v30, v16
	s_xor_b32 s2, exec_lo, s2
	s_cbranch_execz .LBB1292_201
; %bb.200:
	s_waitcnt lgkmcnt(1)
	v_xor_b32_e32 v1, 0xfffff3ff, v0
                                        ; implicit-def: $vgpr30
	v_ashrrev_i32_e32 v2, 31, v1
	v_add_co_u32 v13, vcc_lo, v19, v1
	v_add_co_ci_u32_e64 v14, null, v20, v2, vcc_lo
.LBB1292_201:
	s_andn2_saveexec_b32 s2, s2
; %bb.202:
	v_add_co_u32 v13, vcc_lo, v15, v30
	v_add_co_ci_u32_e64 v14, null, 0, v17, vcc_lo
; %bb.203:
	s_or_b32 exec_lo, exec_lo, s2
	s_or_b32 s0, s0, exec_lo
.LBB1292_204:
	s_or_b32 exec_lo, exec_lo, s1
.LBB1292_205:
	s_and_saveexec_b32 s1, s0
	s_cbranch_execz .LBB1292_207
; %bb.206:
	s_waitcnt lgkmcnt(1)
	v_lshlrev_b64 v[1:2], 2, v[13:14]
	v_add_co_u32 v1, vcc_lo, s14, v1
	v_add_co_ci_u32_e64 v2, null, s15, v2, vcc_lo
	s_waitcnt lgkmcnt(0)
	global_store_dword v[1:2], v18, off
.LBB1292_207:
	s_or_b32 exec_lo, exec_lo, s1
	v_cmp_eq_u32_e32 vcc_lo, 0, v0
	s_and_b32 s0, vcc_lo, s24
	s_and_saveexec_b32 s1, s0
	s_cbranch_execz .LBB1292_209
; %bb.208:
	v_add_co_u32 v0, vcc_lo, v15, v16
	s_waitcnt lgkmcnt(1)
	v_mov_b32_e32 v2, 0
	v_add_co_ci_u32_e64 v1, null, 0, v17, vcc_lo
	global_store_dwordx2 v2, v[0:1], s[12:13]
.LBB1292_209:
	s_endpgm
	.section	.rodata,"a",@progbits
	.p2align	6, 0x0
	.amdhsa_kernel _ZN7rocprim17ROCPRIM_400000_NS6detail17trampoline_kernelINS0_13select_configILj256ELj13ELNS0_17block_load_methodE3ELS4_3ELS4_3ELNS0_20block_scan_algorithmE0ELj4294967295EEENS1_25partition_config_selectorILNS1_17partition_subalgoE3EjNS0_10empty_typeEbEEZZNS1_14partition_implILS8_3ELb0ES6_jNS0_17counting_iteratorIjlEEPS9_SE_NS0_5tupleIJPjSE_EEENSF_IJSE_SE_EEES9_SG_JZNS1_25segmented_radix_sort_implINS0_14default_configELb1EPKfPfPKlPlN2at6native12_GLOBAL__N_18offset_tEEE10hipError_tPvRmT1_PNSt15iterator_traitsISY_E10value_typeET2_T3_PNSZ_IS14_E10value_typeET4_jRbjT5_S1A_jjP12ihipStream_tbEUljE_EEESV_SW_SX_S14_S18_S1A_T6_T7_T9_mT8_S1C_bDpT10_ENKUlT_T0_E_clISt17integral_constantIbLb0EES1P_EEDaS1K_S1L_EUlS1K_E_NS1_11comp_targetILNS1_3genE8ELNS1_11target_archE1030ELNS1_3gpuE2ELNS1_3repE0EEENS1_30default_config_static_selectorELNS0_4arch9wavefront6targetE0EEEvSY_
		.amdhsa_group_segment_fixed_size 13320
		.amdhsa_private_segment_fixed_size 0
		.amdhsa_kernarg_size 144
		.amdhsa_user_sgpr_count 6
		.amdhsa_user_sgpr_private_segment_buffer 1
		.amdhsa_user_sgpr_dispatch_ptr 0
		.amdhsa_user_sgpr_queue_ptr 0
		.amdhsa_user_sgpr_kernarg_segment_ptr 1
		.amdhsa_user_sgpr_dispatch_id 0
		.amdhsa_user_sgpr_flat_scratch_init 0
		.amdhsa_user_sgpr_private_segment_size 0
		.amdhsa_wavefront_size32 1
		.amdhsa_uses_dynamic_stack 0
		.amdhsa_system_sgpr_private_segment_wavefront_offset 0
		.amdhsa_system_sgpr_workgroup_id_x 1
		.amdhsa_system_sgpr_workgroup_id_y 0
		.amdhsa_system_sgpr_workgroup_id_z 0
		.amdhsa_system_sgpr_workgroup_info 0
		.amdhsa_system_vgpr_workitem_id 0
		.amdhsa_next_free_vgpr 69
		.amdhsa_next_free_sgpr 27
		.amdhsa_reserve_vcc 1
		.amdhsa_reserve_flat_scratch 0
		.amdhsa_float_round_mode_32 0
		.amdhsa_float_round_mode_16_64 0
		.amdhsa_float_denorm_mode_32 3
		.amdhsa_float_denorm_mode_16_64 3
		.amdhsa_dx10_clamp 1
		.amdhsa_ieee_mode 1
		.amdhsa_fp16_overflow 0
		.amdhsa_workgroup_processor_mode 1
		.amdhsa_memory_ordered 1
		.amdhsa_forward_progress 1
		.amdhsa_shared_vgpr_count 0
		.amdhsa_exception_fp_ieee_invalid_op 0
		.amdhsa_exception_fp_denorm_src 0
		.amdhsa_exception_fp_ieee_div_zero 0
		.amdhsa_exception_fp_ieee_overflow 0
		.amdhsa_exception_fp_ieee_underflow 0
		.amdhsa_exception_fp_ieee_inexact 0
		.amdhsa_exception_int_div_zero 0
	.end_amdhsa_kernel
	.section	.text._ZN7rocprim17ROCPRIM_400000_NS6detail17trampoline_kernelINS0_13select_configILj256ELj13ELNS0_17block_load_methodE3ELS4_3ELS4_3ELNS0_20block_scan_algorithmE0ELj4294967295EEENS1_25partition_config_selectorILNS1_17partition_subalgoE3EjNS0_10empty_typeEbEEZZNS1_14partition_implILS8_3ELb0ES6_jNS0_17counting_iteratorIjlEEPS9_SE_NS0_5tupleIJPjSE_EEENSF_IJSE_SE_EEES9_SG_JZNS1_25segmented_radix_sort_implINS0_14default_configELb1EPKfPfPKlPlN2at6native12_GLOBAL__N_18offset_tEEE10hipError_tPvRmT1_PNSt15iterator_traitsISY_E10value_typeET2_T3_PNSZ_IS14_E10value_typeET4_jRbjT5_S1A_jjP12ihipStream_tbEUljE_EEESV_SW_SX_S14_S18_S1A_T6_T7_T9_mT8_S1C_bDpT10_ENKUlT_T0_E_clISt17integral_constantIbLb0EES1P_EEDaS1K_S1L_EUlS1K_E_NS1_11comp_targetILNS1_3genE8ELNS1_11target_archE1030ELNS1_3gpuE2ELNS1_3repE0EEENS1_30default_config_static_selectorELNS0_4arch9wavefront6targetE0EEEvSY_,"axG",@progbits,_ZN7rocprim17ROCPRIM_400000_NS6detail17trampoline_kernelINS0_13select_configILj256ELj13ELNS0_17block_load_methodE3ELS4_3ELS4_3ELNS0_20block_scan_algorithmE0ELj4294967295EEENS1_25partition_config_selectorILNS1_17partition_subalgoE3EjNS0_10empty_typeEbEEZZNS1_14partition_implILS8_3ELb0ES6_jNS0_17counting_iteratorIjlEEPS9_SE_NS0_5tupleIJPjSE_EEENSF_IJSE_SE_EEES9_SG_JZNS1_25segmented_radix_sort_implINS0_14default_configELb1EPKfPfPKlPlN2at6native12_GLOBAL__N_18offset_tEEE10hipError_tPvRmT1_PNSt15iterator_traitsISY_E10value_typeET2_T3_PNSZ_IS14_E10value_typeET4_jRbjT5_S1A_jjP12ihipStream_tbEUljE_EEESV_SW_SX_S14_S18_S1A_T6_T7_T9_mT8_S1C_bDpT10_ENKUlT_T0_E_clISt17integral_constantIbLb0EES1P_EEDaS1K_S1L_EUlS1K_E_NS1_11comp_targetILNS1_3genE8ELNS1_11target_archE1030ELNS1_3gpuE2ELNS1_3repE0EEENS1_30default_config_static_selectorELNS0_4arch9wavefront6targetE0EEEvSY_,comdat
.Lfunc_end1292:
	.size	_ZN7rocprim17ROCPRIM_400000_NS6detail17trampoline_kernelINS0_13select_configILj256ELj13ELNS0_17block_load_methodE3ELS4_3ELS4_3ELNS0_20block_scan_algorithmE0ELj4294967295EEENS1_25partition_config_selectorILNS1_17partition_subalgoE3EjNS0_10empty_typeEbEEZZNS1_14partition_implILS8_3ELb0ES6_jNS0_17counting_iteratorIjlEEPS9_SE_NS0_5tupleIJPjSE_EEENSF_IJSE_SE_EEES9_SG_JZNS1_25segmented_radix_sort_implINS0_14default_configELb1EPKfPfPKlPlN2at6native12_GLOBAL__N_18offset_tEEE10hipError_tPvRmT1_PNSt15iterator_traitsISY_E10value_typeET2_T3_PNSZ_IS14_E10value_typeET4_jRbjT5_S1A_jjP12ihipStream_tbEUljE_EEESV_SW_SX_S14_S18_S1A_T6_T7_T9_mT8_S1C_bDpT10_ENKUlT_T0_E_clISt17integral_constantIbLb0EES1P_EEDaS1K_S1L_EUlS1K_E_NS1_11comp_targetILNS1_3genE8ELNS1_11target_archE1030ELNS1_3gpuE2ELNS1_3repE0EEENS1_30default_config_static_selectorELNS0_4arch9wavefront6targetE0EEEvSY_, .Lfunc_end1292-_ZN7rocprim17ROCPRIM_400000_NS6detail17trampoline_kernelINS0_13select_configILj256ELj13ELNS0_17block_load_methodE3ELS4_3ELS4_3ELNS0_20block_scan_algorithmE0ELj4294967295EEENS1_25partition_config_selectorILNS1_17partition_subalgoE3EjNS0_10empty_typeEbEEZZNS1_14partition_implILS8_3ELb0ES6_jNS0_17counting_iteratorIjlEEPS9_SE_NS0_5tupleIJPjSE_EEENSF_IJSE_SE_EEES9_SG_JZNS1_25segmented_radix_sort_implINS0_14default_configELb1EPKfPfPKlPlN2at6native12_GLOBAL__N_18offset_tEEE10hipError_tPvRmT1_PNSt15iterator_traitsISY_E10value_typeET2_T3_PNSZ_IS14_E10value_typeET4_jRbjT5_S1A_jjP12ihipStream_tbEUljE_EEESV_SW_SX_S14_S18_S1A_T6_T7_T9_mT8_S1C_bDpT10_ENKUlT_T0_E_clISt17integral_constantIbLb0EES1P_EEDaS1K_S1L_EUlS1K_E_NS1_11comp_targetILNS1_3genE8ELNS1_11target_archE1030ELNS1_3gpuE2ELNS1_3repE0EEENS1_30default_config_static_selectorELNS0_4arch9wavefront6targetE0EEEvSY_
                                        ; -- End function
	.set _ZN7rocprim17ROCPRIM_400000_NS6detail17trampoline_kernelINS0_13select_configILj256ELj13ELNS0_17block_load_methodE3ELS4_3ELS4_3ELNS0_20block_scan_algorithmE0ELj4294967295EEENS1_25partition_config_selectorILNS1_17partition_subalgoE3EjNS0_10empty_typeEbEEZZNS1_14partition_implILS8_3ELb0ES6_jNS0_17counting_iteratorIjlEEPS9_SE_NS0_5tupleIJPjSE_EEENSF_IJSE_SE_EEES9_SG_JZNS1_25segmented_radix_sort_implINS0_14default_configELb1EPKfPfPKlPlN2at6native12_GLOBAL__N_18offset_tEEE10hipError_tPvRmT1_PNSt15iterator_traitsISY_E10value_typeET2_T3_PNSZ_IS14_E10value_typeET4_jRbjT5_S1A_jjP12ihipStream_tbEUljE_EEESV_SW_SX_S14_S18_S1A_T6_T7_T9_mT8_S1C_bDpT10_ENKUlT_T0_E_clISt17integral_constantIbLb0EES1P_EEDaS1K_S1L_EUlS1K_E_NS1_11comp_targetILNS1_3genE8ELNS1_11target_archE1030ELNS1_3gpuE2ELNS1_3repE0EEENS1_30default_config_static_selectorELNS0_4arch9wavefront6targetE0EEEvSY_.num_vgpr, 69
	.set _ZN7rocprim17ROCPRIM_400000_NS6detail17trampoline_kernelINS0_13select_configILj256ELj13ELNS0_17block_load_methodE3ELS4_3ELS4_3ELNS0_20block_scan_algorithmE0ELj4294967295EEENS1_25partition_config_selectorILNS1_17partition_subalgoE3EjNS0_10empty_typeEbEEZZNS1_14partition_implILS8_3ELb0ES6_jNS0_17counting_iteratorIjlEEPS9_SE_NS0_5tupleIJPjSE_EEENSF_IJSE_SE_EEES9_SG_JZNS1_25segmented_radix_sort_implINS0_14default_configELb1EPKfPfPKlPlN2at6native12_GLOBAL__N_18offset_tEEE10hipError_tPvRmT1_PNSt15iterator_traitsISY_E10value_typeET2_T3_PNSZ_IS14_E10value_typeET4_jRbjT5_S1A_jjP12ihipStream_tbEUljE_EEESV_SW_SX_S14_S18_S1A_T6_T7_T9_mT8_S1C_bDpT10_ENKUlT_T0_E_clISt17integral_constantIbLb0EES1P_EEDaS1K_S1L_EUlS1K_E_NS1_11comp_targetILNS1_3genE8ELNS1_11target_archE1030ELNS1_3gpuE2ELNS1_3repE0EEENS1_30default_config_static_selectorELNS0_4arch9wavefront6targetE0EEEvSY_.num_agpr, 0
	.set _ZN7rocprim17ROCPRIM_400000_NS6detail17trampoline_kernelINS0_13select_configILj256ELj13ELNS0_17block_load_methodE3ELS4_3ELS4_3ELNS0_20block_scan_algorithmE0ELj4294967295EEENS1_25partition_config_selectorILNS1_17partition_subalgoE3EjNS0_10empty_typeEbEEZZNS1_14partition_implILS8_3ELb0ES6_jNS0_17counting_iteratorIjlEEPS9_SE_NS0_5tupleIJPjSE_EEENSF_IJSE_SE_EEES9_SG_JZNS1_25segmented_radix_sort_implINS0_14default_configELb1EPKfPfPKlPlN2at6native12_GLOBAL__N_18offset_tEEE10hipError_tPvRmT1_PNSt15iterator_traitsISY_E10value_typeET2_T3_PNSZ_IS14_E10value_typeET4_jRbjT5_S1A_jjP12ihipStream_tbEUljE_EEESV_SW_SX_S14_S18_S1A_T6_T7_T9_mT8_S1C_bDpT10_ENKUlT_T0_E_clISt17integral_constantIbLb0EES1P_EEDaS1K_S1L_EUlS1K_E_NS1_11comp_targetILNS1_3genE8ELNS1_11target_archE1030ELNS1_3gpuE2ELNS1_3repE0EEENS1_30default_config_static_selectorELNS0_4arch9wavefront6targetE0EEEvSY_.numbered_sgpr, 27
	.set _ZN7rocprim17ROCPRIM_400000_NS6detail17trampoline_kernelINS0_13select_configILj256ELj13ELNS0_17block_load_methodE3ELS4_3ELS4_3ELNS0_20block_scan_algorithmE0ELj4294967295EEENS1_25partition_config_selectorILNS1_17partition_subalgoE3EjNS0_10empty_typeEbEEZZNS1_14partition_implILS8_3ELb0ES6_jNS0_17counting_iteratorIjlEEPS9_SE_NS0_5tupleIJPjSE_EEENSF_IJSE_SE_EEES9_SG_JZNS1_25segmented_radix_sort_implINS0_14default_configELb1EPKfPfPKlPlN2at6native12_GLOBAL__N_18offset_tEEE10hipError_tPvRmT1_PNSt15iterator_traitsISY_E10value_typeET2_T3_PNSZ_IS14_E10value_typeET4_jRbjT5_S1A_jjP12ihipStream_tbEUljE_EEESV_SW_SX_S14_S18_S1A_T6_T7_T9_mT8_S1C_bDpT10_ENKUlT_T0_E_clISt17integral_constantIbLb0EES1P_EEDaS1K_S1L_EUlS1K_E_NS1_11comp_targetILNS1_3genE8ELNS1_11target_archE1030ELNS1_3gpuE2ELNS1_3repE0EEENS1_30default_config_static_selectorELNS0_4arch9wavefront6targetE0EEEvSY_.num_named_barrier, 0
	.set _ZN7rocprim17ROCPRIM_400000_NS6detail17trampoline_kernelINS0_13select_configILj256ELj13ELNS0_17block_load_methodE3ELS4_3ELS4_3ELNS0_20block_scan_algorithmE0ELj4294967295EEENS1_25partition_config_selectorILNS1_17partition_subalgoE3EjNS0_10empty_typeEbEEZZNS1_14partition_implILS8_3ELb0ES6_jNS0_17counting_iteratorIjlEEPS9_SE_NS0_5tupleIJPjSE_EEENSF_IJSE_SE_EEES9_SG_JZNS1_25segmented_radix_sort_implINS0_14default_configELb1EPKfPfPKlPlN2at6native12_GLOBAL__N_18offset_tEEE10hipError_tPvRmT1_PNSt15iterator_traitsISY_E10value_typeET2_T3_PNSZ_IS14_E10value_typeET4_jRbjT5_S1A_jjP12ihipStream_tbEUljE_EEESV_SW_SX_S14_S18_S1A_T6_T7_T9_mT8_S1C_bDpT10_ENKUlT_T0_E_clISt17integral_constantIbLb0EES1P_EEDaS1K_S1L_EUlS1K_E_NS1_11comp_targetILNS1_3genE8ELNS1_11target_archE1030ELNS1_3gpuE2ELNS1_3repE0EEENS1_30default_config_static_selectorELNS0_4arch9wavefront6targetE0EEEvSY_.private_seg_size, 0
	.set _ZN7rocprim17ROCPRIM_400000_NS6detail17trampoline_kernelINS0_13select_configILj256ELj13ELNS0_17block_load_methodE3ELS4_3ELS4_3ELNS0_20block_scan_algorithmE0ELj4294967295EEENS1_25partition_config_selectorILNS1_17partition_subalgoE3EjNS0_10empty_typeEbEEZZNS1_14partition_implILS8_3ELb0ES6_jNS0_17counting_iteratorIjlEEPS9_SE_NS0_5tupleIJPjSE_EEENSF_IJSE_SE_EEES9_SG_JZNS1_25segmented_radix_sort_implINS0_14default_configELb1EPKfPfPKlPlN2at6native12_GLOBAL__N_18offset_tEEE10hipError_tPvRmT1_PNSt15iterator_traitsISY_E10value_typeET2_T3_PNSZ_IS14_E10value_typeET4_jRbjT5_S1A_jjP12ihipStream_tbEUljE_EEESV_SW_SX_S14_S18_S1A_T6_T7_T9_mT8_S1C_bDpT10_ENKUlT_T0_E_clISt17integral_constantIbLb0EES1P_EEDaS1K_S1L_EUlS1K_E_NS1_11comp_targetILNS1_3genE8ELNS1_11target_archE1030ELNS1_3gpuE2ELNS1_3repE0EEENS1_30default_config_static_selectorELNS0_4arch9wavefront6targetE0EEEvSY_.uses_vcc, 1
	.set _ZN7rocprim17ROCPRIM_400000_NS6detail17trampoline_kernelINS0_13select_configILj256ELj13ELNS0_17block_load_methodE3ELS4_3ELS4_3ELNS0_20block_scan_algorithmE0ELj4294967295EEENS1_25partition_config_selectorILNS1_17partition_subalgoE3EjNS0_10empty_typeEbEEZZNS1_14partition_implILS8_3ELb0ES6_jNS0_17counting_iteratorIjlEEPS9_SE_NS0_5tupleIJPjSE_EEENSF_IJSE_SE_EEES9_SG_JZNS1_25segmented_radix_sort_implINS0_14default_configELb1EPKfPfPKlPlN2at6native12_GLOBAL__N_18offset_tEEE10hipError_tPvRmT1_PNSt15iterator_traitsISY_E10value_typeET2_T3_PNSZ_IS14_E10value_typeET4_jRbjT5_S1A_jjP12ihipStream_tbEUljE_EEESV_SW_SX_S14_S18_S1A_T6_T7_T9_mT8_S1C_bDpT10_ENKUlT_T0_E_clISt17integral_constantIbLb0EES1P_EEDaS1K_S1L_EUlS1K_E_NS1_11comp_targetILNS1_3genE8ELNS1_11target_archE1030ELNS1_3gpuE2ELNS1_3repE0EEENS1_30default_config_static_selectorELNS0_4arch9wavefront6targetE0EEEvSY_.uses_flat_scratch, 0
	.set _ZN7rocprim17ROCPRIM_400000_NS6detail17trampoline_kernelINS0_13select_configILj256ELj13ELNS0_17block_load_methodE3ELS4_3ELS4_3ELNS0_20block_scan_algorithmE0ELj4294967295EEENS1_25partition_config_selectorILNS1_17partition_subalgoE3EjNS0_10empty_typeEbEEZZNS1_14partition_implILS8_3ELb0ES6_jNS0_17counting_iteratorIjlEEPS9_SE_NS0_5tupleIJPjSE_EEENSF_IJSE_SE_EEES9_SG_JZNS1_25segmented_radix_sort_implINS0_14default_configELb1EPKfPfPKlPlN2at6native12_GLOBAL__N_18offset_tEEE10hipError_tPvRmT1_PNSt15iterator_traitsISY_E10value_typeET2_T3_PNSZ_IS14_E10value_typeET4_jRbjT5_S1A_jjP12ihipStream_tbEUljE_EEESV_SW_SX_S14_S18_S1A_T6_T7_T9_mT8_S1C_bDpT10_ENKUlT_T0_E_clISt17integral_constantIbLb0EES1P_EEDaS1K_S1L_EUlS1K_E_NS1_11comp_targetILNS1_3genE8ELNS1_11target_archE1030ELNS1_3gpuE2ELNS1_3repE0EEENS1_30default_config_static_selectorELNS0_4arch9wavefront6targetE0EEEvSY_.has_dyn_sized_stack, 0
	.set _ZN7rocprim17ROCPRIM_400000_NS6detail17trampoline_kernelINS0_13select_configILj256ELj13ELNS0_17block_load_methodE3ELS4_3ELS4_3ELNS0_20block_scan_algorithmE0ELj4294967295EEENS1_25partition_config_selectorILNS1_17partition_subalgoE3EjNS0_10empty_typeEbEEZZNS1_14partition_implILS8_3ELb0ES6_jNS0_17counting_iteratorIjlEEPS9_SE_NS0_5tupleIJPjSE_EEENSF_IJSE_SE_EEES9_SG_JZNS1_25segmented_radix_sort_implINS0_14default_configELb1EPKfPfPKlPlN2at6native12_GLOBAL__N_18offset_tEEE10hipError_tPvRmT1_PNSt15iterator_traitsISY_E10value_typeET2_T3_PNSZ_IS14_E10value_typeET4_jRbjT5_S1A_jjP12ihipStream_tbEUljE_EEESV_SW_SX_S14_S18_S1A_T6_T7_T9_mT8_S1C_bDpT10_ENKUlT_T0_E_clISt17integral_constantIbLb0EES1P_EEDaS1K_S1L_EUlS1K_E_NS1_11comp_targetILNS1_3genE8ELNS1_11target_archE1030ELNS1_3gpuE2ELNS1_3repE0EEENS1_30default_config_static_selectorELNS0_4arch9wavefront6targetE0EEEvSY_.has_recursion, 0
	.set _ZN7rocprim17ROCPRIM_400000_NS6detail17trampoline_kernelINS0_13select_configILj256ELj13ELNS0_17block_load_methodE3ELS4_3ELS4_3ELNS0_20block_scan_algorithmE0ELj4294967295EEENS1_25partition_config_selectorILNS1_17partition_subalgoE3EjNS0_10empty_typeEbEEZZNS1_14partition_implILS8_3ELb0ES6_jNS0_17counting_iteratorIjlEEPS9_SE_NS0_5tupleIJPjSE_EEENSF_IJSE_SE_EEES9_SG_JZNS1_25segmented_radix_sort_implINS0_14default_configELb1EPKfPfPKlPlN2at6native12_GLOBAL__N_18offset_tEEE10hipError_tPvRmT1_PNSt15iterator_traitsISY_E10value_typeET2_T3_PNSZ_IS14_E10value_typeET4_jRbjT5_S1A_jjP12ihipStream_tbEUljE_EEESV_SW_SX_S14_S18_S1A_T6_T7_T9_mT8_S1C_bDpT10_ENKUlT_T0_E_clISt17integral_constantIbLb0EES1P_EEDaS1K_S1L_EUlS1K_E_NS1_11comp_targetILNS1_3genE8ELNS1_11target_archE1030ELNS1_3gpuE2ELNS1_3repE0EEENS1_30default_config_static_selectorELNS0_4arch9wavefront6targetE0EEEvSY_.has_indirect_call, 0
	.section	.AMDGPU.csdata,"",@progbits
; Kernel info:
; codeLenInByte = 8564
; TotalNumSgprs: 29
; NumVgprs: 69
; ScratchSize: 0
; MemoryBound: 0
; FloatMode: 240
; IeeeMode: 1
; LDSByteSize: 13320 bytes/workgroup (compile time only)
; SGPRBlocks: 0
; VGPRBlocks: 8
; NumSGPRsForWavesPerEU: 29
; NumVGPRsForWavesPerEU: 69
; Occupancy: 12
; WaveLimiterHint : 0
; COMPUTE_PGM_RSRC2:SCRATCH_EN: 0
; COMPUTE_PGM_RSRC2:USER_SGPR: 6
; COMPUTE_PGM_RSRC2:TRAP_HANDLER: 0
; COMPUTE_PGM_RSRC2:TGID_X_EN: 1
; COMPUTE_PGM_RSRC2:TGID_Y_EN: 0
; COMPUTE_PGM_RSRC2:TGID_Z_EN: 0
; COMPUTE_PGM_RSRC2:TIDIG_COMP_CNT: 0
	.section	.text._ZN7rocprim17ROCPRIM_400000_NS6detail17trampoline_kernelINS0_13select_configILj256ELj13ELNS0_17block_load_methodE3ELS4_3ELS4_3ELNS0_20block_scan_algorithmE0ELj4294967295EEENS1_25partition_config_selectorILNS1_17partition_subalgoE3EjNS0_10empty_typeEbEEZZNS1_14partition_implILS8_3ELb0ES6_jNS0_17counting_iteratorIjlEEPS9_SE_NS0_5tupleIJPjSE_EEENSF_IJSE_SE_EEES9_SG_JZNS1_25segmented_radix_sort_implINS0_14default_configELb1EPKfPfPKlPlN2at6native12_GLOBAL__N_18offset_tEEE10hipError_tPvRmT1_PNSt15iterator_traitsISY_E10value_typeET2_T3_PNSZ_IS14_E10value_typeET4_jRbjT5_S1A_jjP12ihipStream_tbEUljE_EEESV_SW_SX_S14_S18_S1A_T6_T7_T9_mT8_S1C_bDpT10_ENKUlT_T0_E_clISt17integral_constantIbLb1EES1P_EEDaS1K_S1L_EUlS1K_E_NS1_11comp_targetILNS1_3genE0ELNS1_11target_archE4294967295ELNS1_3gpuE0ELNS1_3repE0EEENS1_30default_config_static_selectorELNS0_4arch9wavefront6targetE0EEEvSY_,"axG",@progbits,_ZN7rocprim17ROCPRIM_400000_NS6detail17trampoline_kernelINS0_13select_configILj256ELj13ELNS0_17block_load_methodE3ELS4_3ELS4_3ELNS0_20block_scan_algorithmE0ELj4294967295EEENS1_25partition_config_selectorILNS1_17partition_subalgoE3EjNS0_10empty_typeEbEEZZNS1_14partition_implILS8_3ELb0ES6_jNS0_17counting_iteratorIjlEEPS9_SE_NS0_5tupleIJPjSE_EEENSF_IJSE_SE_EEES9_SG_JZNS1_25segmented_radix_sort_implINS0_14default_configELb1EPKfPfPKlPlN2at6native12_GLOBAL__N_18offset_tEEE10hipError_tPvRmT1_PNSt15iterator_traitsISY_E10value_typeET2_T3_PNSZ_IS14_E10value_typeET4_jRbjT5_S1A_jjP12ihipStream_tbEUljE_EEESV_SW_SX_S14_S18_S1A_T6_T7_T9_mT8_S1C_bDpT10_ENKUlT_T0_E_clISt17integral_constantIbLb1EES1P_EEDaS1K_S1L_EUlS1K_E_NS1_11comp_targetILNS1_3genE0ELNS1_11target_archE4294967295ELNS1_3gpuE0ELNS1_3repE0EEENS1_30default_config_static_selectorELNS0_4arch9wavefront6targetE0EEEvSY_,comdat
	.globl	_ZN7rocprim17ROCPRIM_400000_NS6detail17trampoline_kernelINS0_13select_configILj256ELj13ELNS0_17block_load_methodE3ELS4_3ELS4_3ELNS0_20block_scan_algorithmE0ELj4294967295EEENS1_25partition_config_selectorILNS1_17partition_subalgoE3EjNS0_10empty_typeEbEEZZNS1_14partition_implILS8_3ELb0ES6_jNS0_17counting_iteratorIjlEEPS9_SE_NS0_5tupleIJPjSE_EEENSF_IJSE_SE_EEES9_SG_JZNS1_25segmented_radix_sort_implINS0_14default_configELb1EPKfPfPKlPlN2at6native12_GLOBAL__N_18offset_tEEE10hipError_tPvRmT1_PNSt15iterator_traitsISY_E10value_typeET2_T3_PNSZ_IS14_E10value_typeET4_jRbjT5_S1A_jjP12ihipStream_tbEUljE_EEESV_SW_SX_S14_S18_S1A_T6_T7_T9_mT8_S1C_bDpT10_ENKUlT_T0_E_clISt17integral_constantIbLb1EES1P_EEDaS1K_S1L_EUlS1K_E_NS1_11comp_targetILNS1_3genE0ELNS1_11target_archE4294967295ELNS1_3gpuE0ELNS1_3repE0EEENS1_30default_config_static_selectorELNS0_4arch9wavefront6targetE0EEEvSY_ ; -- Begin function _ZN7rocprim17ROCPRIM_400000_NS6detail17trampoline_kernelINS0_13select_configILj256ELj13ELNS0_17block_load_methodE3ELS4_3ELS4_3ELNS0_20block_scan_algorithmE0ELj4294967295EEENS1_25partition_config_selectorILNS1_17partition_subalgoE3EjNS0_10empty_typeEbEEZZNS1_14partition_implILS8_3ELb0ES6_jNS0_17counting_iteratorIjlEEPS9_SE_NS0_5tupleIJPjSE_EEENSF_IJSE_SE_EEES9_SG_JZNS1_25segmented_radix_sort_implINS0_14default_configELb1EPKfPfPKlPlN2at6native12_GLOBAL__N_18offset_tEEE10hipError_tPvRmT1_PNSt15iterator_traitsISY_E10value_typeET2_T3_PNSZ_IS14_E10value_typeET4_jRbjT5_S1A_jjP12ihipStream_tbEUljE_EEESV_SW_SX_S14_S18_S1A_T6_T7_T9_mT8_S1C_bDpT10_ENKUlT_T0_E_clISt17integral_constantIbLb1EES1P_EEDaS1K_S1L_EUlS1K_E_NS1_11comp_targetILNS1_3genE0ELNS1_11target_archE4294967295ELNS1_3gpuE0ELNS1_3repE0EEENS1_30default_config_static_selectorELNS0_4arch9wavefront6targetE0EEEvSY_
	.p2align	8
	.type	_ZN7rocprim17ROCPRIM_400000_NS6detail17trampoline_kernelINS0_13select_configILj256ELj13ELNS0_17block_load_methodE3ELS4_3ELS4_3ELNS0_20block_scan_algorithmE0ELj4294967295EEENS1_25partition_config_selectorILNS1_17partition_subalgoE3EjNS0_10empty_typeEbEEZZNS1_14partition_implILS8_3ELb0ES6_jNS0_17counting_iteratorIjlEEPS9_SE_NS0_5tupleIJPjSE_EEENSF_IJSE_SE_EEES9_SG_JZNS1_25segmented_radix_sort_implINS0_14default_configELb1EPKfPfPKlPlN2at6native12_GLOBAL__N_18offset_tEEE10hipError_tPvRmT1_PNSt15iterator_traitsISY_E10value_typeET2_T3_PNSZ_IS14_E10value_typeET4_jRbjT5_S1A_jjP12ihipStream_tbEUljE_EEESV_SW_SX_S14_S18_S1A_T6_T7_T9_mT8_S1C_bDpT10_ENKUlT_T0_E_clISt17integral_constantIbLb1EES1P_EEDaS1K_S1L_EUlS1K_E_NS1_11comp_targetILNS1_3genE0ELNS1_11target_archE4294967295ELNS1_3gpuE0ELNS1_3repE0EEENS1_30default_config_static_selectorELNS0_4arch9wavefront6targetE0EEEvSY_,@function
_ZN7rocprim17ROCPRIM_400000_NS6detail17trampoline_kernelINS0_13select_configILj256ELj13ELNS0_17block_load_methodE3ELS4_3ELS4_3ELNS0_20block_scan_algorithmE0ELj4294967295EEENS1_25partition_config_selectorILNS1_17partition_subalgoE3EjNS0_10empty_typeEbEEZZNS1_14partition_implILS8_3ELb0ES6_jNS0_17counting_iteratorIjlEEPS9_SE_NS0_5tupleIJPjSE_EEENSF_IJSE_SE_EEES9_SG_JZNS1_25segmented_radix_sort_implINS0_14default_configELb1EPKfPfPKlPlN2at6native12_GLOBAL__N_18offset_tEEE10hipError_tPvRmT1_PNSt15iterator_traitsISY_E10value_typeET2_T3_PNSZ_IS14_E10value_typeET4_jRbjT5_S1A_jjP12ihipStream_tbEUljE_EEESV_SW_SX_S14_S18_S1A_T6_T7_T9_mT8_S1C_bDpT10_ENKUlT_T0_E_clISt17integral_constantIbLb1EES1P_EEDaS1K_S1L_EUlS1K_E_NS1_11comp_targetILNS1_3genE0ELNS1_11target_archE4294967295ELNS1_3gpuE0ELNS1_3repE0EEENS1_30default_config_static_selectorELNS0_4arch9wavefront6targetE0EEEvSY_: ; @_ZN7rocprim17ROCPRIM_400000_NS6detail17trampoline_kernelINS0_13select_configILj256ELj13ELNS0_17block_load_methodE3ELS4_3ELS4_3ELNS0_20block_scan_algorithmE0ELj4294967295EEENS1_25partition_config_selectorILNS1_17partition_subalgoE3EjNS0_10empty_typeEbEEZZNS1_14partition_implILS8_3ELb0ES6_jNS0_17counting_iteratorIjlEEPS9_SE_NS0_5tupleIJPjSE_EEENSF_IJSE_SE_EEES9_SG_JZNS1_25segmented_radix_sort_implINS0_14default_configELb1EPKfPfPKlPlN2at6native12_GLOBAL__N_18offset_tEEE10hipError_tPvRmT1_PNSt15iterator_traitsISY_E10value_typeET2_T3_PNSZ_IS14_E10value_typeET4_jRbjT5_S1A_jjP12ihipStream_tbEUljE_EEESV_SW_SX_S14_S18_S1A_T6_T7_T9_mT8_S1C_bDpT10_ENKUlT_T0_E_clISt17integral_constantIbLb1EES1P_EEDaS1K_S1L_EUlS1K_E_NS1_11comp_targetILNS1_3genE0ELNS1_11target_archE4294967295ELNS1_3gpuE0ELNS1_3repE0EEENS1_30default_config_static_selectorELNS0_4arch9wavefront6targetE0EEEvSY_
; %bb.0:
	.section	.rodata,"a",@progbits
	.p2align	6, 0x0
	.amdhsa_kernel _ZN7rocprim17ROCPRIM_400000_NS6detail17trampoline_kernelINS0_13select_configILj256ELj13ELNS0_17block_load_methodE3ELS4_3ELS4_3ELNS0_20block_scan_algorithmE0ELj4294967295EEENS1_25partition_config_selectorILNS1_17partition_subalgoE3EjNS0_10empty_typeEbEEZZNS1_14partition_implILS8_3ELb0ES6_jNS0_17counting_iteratorIjlEEPS9_SE_NS0_5tupleIJPjSE_EEENSF_IJSE_SE_EEES9_SG_JZNS1_25segmented_radix_sort_implINS0_14default_configELb1EPKfPfPKlPlN2at6native12_GLOBAL__N_18offset_tEEE10hipError_tPvRmT1_PNSt15iterator_traitsISY_E10value_typeET2_T3_PNSZ_IS14_E10value_typeET4_jRbjT5_S1A_jjP12ihipStream_tbEUljE_EEESV_SW_SX_S14_S18_S1A_T6_T7_T9_mT8_S1C_bDpT10_ENKUlT_T0_E_clISt17integral_constantIbLb1EES1P_EEDaS1K_S1L_EUlS1K_E_NS1_11comp_targetILNS1_3genE0ELNS1_11target_archE4294967295ELNS1_3gpuE0ELNS1_3repE0EEENS1_30default_config_static_selectorELNS0_4arch9wavefront6targetE0EEEvSY_
		.amdhsa_group_segment_fixed_size 0
		.amdhsa_private_segment_fixed_size 0
		.amdhsa_kernarg_size 152
		.amdhsa_user_sgpr_count 6
		.amdhsa_user_sgpr_private_segment_buffer 1
		.amdhsa_user_sgpr_dispatch_ptr 0
		.amdhsa_user_sgpr_queue_ptr 0
		.amdhsa_user_sgpr_kernarg_segment_ptr 1
		.amdhsa_user_sgpr_dispatch_id 0
		.amdhsa_user_sgpr_flat_scratch_init 0
		.amdhsa_user_sgpr_private_segment_size 0
		.amdhsa_wavefront_size32 1
		.amdhsa_uses_dynamic_stack 0
		.amdhsa_system_sgpr_private_segment_wavefront_offset 0
		.amdhsa_system_sgpr_workgroup_id_x 1
		.amdhsa_system_sgpr_workgroup_id_y 0
		.amdhsa_system_sgpr_workgroup_id_z 0
		.amdhsa_system_sgpr_workgroup_info 0
		.amdhsa_system_vgpr_workitem_id 0
		.amdhsa_next_free_vgpr 1
		.amdhsa_next_free_sgpr 1
		.amdhsa_reserve_vcc 0
		.amdhsa_reserve_flat_scratch 0
		.amdhsa_float_round_mode_32 0
		.amdhsa_float_round_mode_16_64 0
		.amdhsa_float_denorm_mode_32 3
		.amdhsa_float_denorm_mode_16_64 3
		.amdhsa_dx10_clamp 1
		.amdhsa_ieee_mode 1
		.amdhsa_fp16_overflow 0
		.amdhsa_workgroup_processor_mode 1
		.amdhsa_memory_ordered 1
		.amdhsa_forward_progress 1
		.amdhsa_shared_vgpr_count 0
		.amdhsa_exception_fp_ieee_invalid_op 0
		.amdhsa_exception_fp_denorm_src 0
		.amdhsa_exception_fp_ieee_div_zero 0
		.amdhsa_exception_fp_ieee_overflow 0
		.amdhsa_exception_fp_ieee_underflow 0
		.amdhsa_exception_fp_ieee_inexact 0
		.amdhsa_exception_int_div_zero 0
	.end_amdhsa_kernel
	.section	.text._ZN7rocprim17ROCPRIM_400000_NS6detail17trampoline_kernelINS0_13select_configILj256ELj13ELNS0_17block_load_methodE3ELS4_3ELS4_3ELNS0_20block_scan_algorithmE0ELj4294967295EEENS1_25partition_config_selectorILNS1_17partition_subalgoE3EjNS0_10empty_typeEbEEZZNS1_14partition_implILS8_3ELb0ES6_jNS0_17counting_iteratorIjlEEPS9_SE_NS0_5tupleIJPjSE_EEENSF_IJSE_SE_EEES9_SG_JZNS1_25segmented_radix_sort_implINS0_14default_configELb1EPKfPfPKlPlN2at6native12_GLOBAL__N_18offset_tEEE10hipError_tPvRmT1_PNSt15iterator_traitsISY_E10value_typeET2_T3_PNSZ_IS14_E10value_typeET4_jRbjT5_S1A_jjP12ihipStream_tbEUljE_EEESV_SW_SX_S14_S18_S1A_T6_T7_T9_mT8_S1C_bDpT10_ENKUlT_T0_E_clISt17integral_constantIbLb1EES1P_EEDaS1K_S1L_EUlS1K_E_NS1_11comp_targetILNS1_3genE0ELNS1_11target_archE4294967295ELNS1_3gpuE0ELNS1_3repE0EEENS1_30default_config_static_selectorELNS0_4arch9wavefront6targetE0EEEvSY_,"axG",@progbits,_ZN7rocprim17ROCPRIM_400000_NS6detail17trampoline_kernelINS0_13select_configILj256ELj13ELNS0_17block_load_methodE3ELS4_3ELS4_3ELNS0_20block_scan_algorithmE0ELj4294967295EEENS1_25partition_config_selectorILNS1_17partition_subalgoE3EjNS0_10empty_typeEbEEZZNS1_14partition_implILS8_3ELb0ES6_jNS0_17counting_iteratorIjlEEPS9_SE_NS0_5tupleIJPjSE_EEENSF_IJSE_SE_EEES9_SG_JZNS1_25segmented_radix_sort_implINS0_14default_configELb1EPKfPfPKlPlN2at6native12_GLOBAL__N_18offset_tEEE10hipError_tPvRmT1_PNSt15iterator_traitsISY_E10value_typeET2_T3_PNSZ_IS14_E10value_typeET4_jRbjT5_S1A_jjP12ihipStream_tbEUljE_EEESV_SW_SX_S14_S18_S1A_T6_T7_T9_mT8_S1C_bDpT10_ENKUlT_T0_E_clISt17integral_constantIbLb1EES1P_EEDaS1K_S1L_EUlS1K_E_NS1_11comp_targetILNS1_3genE0ELNS1_11target_archE4294967295ELNS1_3gpuE0ELNS1_3repE0EEENS1_30default_config_static_selectorELNS0_4arch9wavefront6targetE0EEEvSY_,comdat
.Lfunc_end1293:
	.size	_ZN7rocprim17ROCPRIM_400000_NS6detail17trampoline_kernelINS0_13select_configILj256ELj13ELNS0_17block_load_methodE3ELS4_3ELS4_3ELNS0_20block_scan_algorithmE0ELj4294967295EEENS1_25partition_config_selectorILNS1_17partition_subalgoE3EjNS0_10empty_typeEbEEZZNS1_14partition_implILS8_3ELb0ES6_jNS0_17counting_iteratorIjlEEPS9_SE_NS0_5tupleIJPjSE_EEENSF_IJSE_SE_EEES9_SG_JZNS1_25segmented_radix_sort_implINS0_14default_configELb1EPKfPfPKlPlN2at6native12_GLOBAL__N_18offset_tEEE10hipError_tPvRmT1_PNSt15iterator_traitsISY_E10value_typeET2_T3_PNSZ_IS14_E10value_typeET4_jRbjT5_S1A_jjP12ihipStream_tbEUljE_EEESV_SW_SX_S14_S18_S1A_T6_T7_T9_mT8_S1C_bDpT10_ENKUlT_T0_E_clISt17integral_constantIbLb1EES1P_EEDaS1K_S1L_EUlS1K_E_NS1_11comp_targetILNS1_3genE0ELNS1_11target_archE4294967295ELNS1_3gpuE0ELNS1_3repE0EEENS1_30default_config_static_selectorELNS0_4arch9wavefront6targetE0EEEvSY_, .Lfunc_end1293-_ZN7rocprim17ROCPRIM_400000_NS6detail17trampoline_kernelINS0_13select_configILj256ELj13ELNS0_17block_load_methodE3ELS4_3ELS4_3ELNS0_20block_scan_algorithmE0ELj4294967295EEENS1_25partition_config_selectorILNS1_17partition_subalgoE3EjNS0_10empty_typeEbEEZZNS1_14partition_implILS8_3ELb0ES6_jNS0_17counting_iteratorIjlEEPS9_SE_NS0_5tupleIJPjSE_EEENSF_IJSE_SE_EEES9_SG_JZNS1_25segmented_radix_sort_implINS0_14default_configELb1EPKfPfPKlPlN2at6native12_GLOBAL__N_18offset_tEEE10hipError_tPvRmT1_PNSt15iterator_traitsISY_E10value_typeET2_T3_PNSZ_IS14_E10value_typeET4_jRbjT5_S1A_jjP12ihipStream_tbEUljE_EEESV_SW_SX_S14_S18_S1A_T6_T7_T9_mT8_S1C_bDpT10_ENKUlT_T0_E_clISt17integral_constantIbLb1EES1P_EEDaS1K_S1L_EUlS1K_E_NS1_11comp_targetILNS1_3genE0ELNS1_11target_archE4294967295ELNS1_3gpuE0ELNS1_3repE0EEENS1_30default_config_static_selectorELNS0_4arch9wavefront6targetE0EEEvSY_
                                        ; -- End function
	.set _ZN7rocprim17ROCPRIM_400000_NS6detail17trampoline_kernelINS0_13select_configILj256ELj13ELNS0_17block_load_methodE3ELS4_3ELS4_3ELNS0_20block_scan_algorithmE0ELj4294967295EEENS1_25partition_config_selectorILNS1_17partition_subalgoE3EjNS0_10empty_typeEbEEZZNS1_14partition_implILS8_3ELb0ES6_jNS0_17counting_iteratorIjlEEPS9_SE_NS0_5tupleIJPjSE_EEENSF_IJSE_SE_EEES9_SG_JZNS1_25segmented_radix_sort_implINS0_14default_configELb1EPKfPfPKlPlN2at6native12_GLOBAL__N_18offset_tEEE10hipError_tPvRmT1_PNSt15iterator_traitsISY_E10value_typeET2_T3_PNSZ_IS14_E10value_typeET4_jRbjT5_S1A_jjP12ihipStream_tbEUljE_EEESV_SW_SX_S14_S18_S1A_T6_T7_T9_mT8_S1C_bDpT10_ENKUlT_T0_E_clISt17integral_constantIbLb1EES1P_EEDaS1K_S1L_EUlS1K_E_NS1_11comp_targetILNS1_3genE0ELNS1_11target_archE4294967295ELNS1_3gpuE0ELNS1_3repE0EEENS1_30default_config_static_selectorELNS0_4arch9wavefront6targetE0EEEvSY_.num_vgpr, 0
	.set _ZN7rocprim17ROCPRIM_400000_NS6detail17trampoline_kernelINS0_13select_configILj256ELj13ELNS0_17block_load_methodE3ELS4_3ELS4_3ELNS0_20block_scan_algorithmE0ELj4294967295EEENS1_25partition_config_selectorILNS1_17partition_subalgoE3EjNS0_10empty_typeEbEEZZNS1_14partition_implILS8_3ELb0ES6_jNS0_17counting_iteratorIjlEEPS9_SE_NS0_5tupleIJPjSE_EEENSF_IJSE_SE_EEES9_SG_JZNS1_25segmented_radix_sort_implINS0_14default_configELb1EPKfPfPKlPlN2at6native12_GLOBAL__N_18offset_tEEE10hipError_tPvRmT1_PNSt15iterator_traitsISY_E10value_typeET2_T3_PNSZ_IS14_E10value_typeET4_jRbjT5_S1A_jjP12ihipStream_tbEUljE_EEESV_SW_SX_S14_S18_S1A_T6_T7_T9_mT8_S1C_bDpT10_ENKUlT_T0_E_clISt17integral_constantIbLb1EES1P_EEDaS1K_S1L_EUlS1K_E_NS1_11comp_targetILNS1_3genE0ELNS1_11target_archE4294967295ELNS1_3gpuE0ELNS1_3repE0EEENS1_30default_config_static_selectorELNS0_4arch9wavefront6targetE0EEEvSY_.num_agpr, 0
	.set _ZN7rocprim17ROCPRIM_400000_NS6detail17trampoline_kernelINS0_13select_configILj256ELj13ELNS0_17block_load_methodE3ELS4_3ELS4_3ELNS0_20block_scan_algorithmE0ELj4294967295EEENS1_25partition_config_selectorILNS1_17partition_subalgoE3EjNS0_10empty_typeEbEEZZNS1_14partition_implILS8_3ELb0ES6_jNS0_17counting_iteratorIjlEEPS9_SE_NS0_5tupleIJPjSE_EEENSF_IJSE_SE_EEES9_SG_JZNS1_25segmented_radix_sort_implINS0_14default_configELb1EPKfPfPKlPlN2at6native12_GLOBAL__N_18offset_tEEE10hipError_tPvRmT1_PNSt15iterator_traitsISY_E10value_typeET2_T3_PNSZ_IS14_E10value_typeET4_jRbjT5_S1A_jjP12ihipStream_tbEUljE_EEESV_SW_SX_S14_S18_S1A_T6_T7_T9_mT8_S1C_bDpT10_ENKUlT_T0_E_clISt17integral_constantIbLb1EES1P_EEDaS1K_S1L_EUlS1K_E_NS1_11comp_targetILNS1_3genE0ELNS1_11target_archE4294967295ELNS1_3gpuE0ELNS1_3repE0EEENS1_30default_config_static_selectorELNS0_4arch9wavefront6targetE0EEEvSY_.numbered_sgpr, 0
	.set _ZN7rocprim17ROCPRIM_400000_NS6detail17trampoline_kernelINS0_13select_configILj256ELj13ELNS0_17block_load_methodE3ELS4_3ELS4_3ELNS0_20block_scan_algorithmE0ELj4294967295EEENS1_25partition_config_selectorILNS1_17partition_subalgoE3EjNS0_10empty_typeEbEEZZNS1_14partition_implILS8_3ELb0ES6_jNS0_17counting_iteratorIjlEEPS9_SE_NS0_5tupleIJPjSE_EEENSF_IJSE_SE_EEES9_SG_JZNS1_25segmented_radix_sort_implINS0_14default_configELb1EPKfPfPKlPlN2at6native12_GLOBAL__N_18offset_tEEE10hipError_tPvRmT1_PNSt15iterator_traitsISY_E10value_typeET2_T3_PNSZ_IS14_E10value_typeET4_jRbjT5_S1A_jjP12ihipStream_tbEUljE_EEESV_SW_SX_S14_S18_S1A_T6_T7_T9_mT8_S1C_bDpT10_ENKUlT_T0_E_clISt17integral_constantIbLb1EES1P_EEDaS1K_S1L_EUlS1K_E_NS1_11comp_targetILNS1_3genE0ELNS1_11target_archE4294967295ELNS1_3gpuE0ELNS1_3repE0EEENS1_30default_config_static_selectorELNS0_4arch9wavefront6targetE0EEEvSY_.num_named_barrier, 0
	.set _ZN7rocprim17ROCPRIM_400000_NS6detail17trampoline_kernelINS0_13select_configILj256ELj13ELNS0_17block_load_methodE3ELS4_3ELS4_3ELNS0_20block_scan_algorithmE0ELj4294967295EEENS1_25partition_config_selectorILNS1_17partition_subalgoE3EjNS0_10empty_typeEbEEZZNS1_14partition_implILS8_3ELb0ES6_jNS0_17counting_iteratorIjlEEPS9_SE_NS0_5tupleIJPjSE_EEENSF_IJSE_SE_EEES9_SG_JZNS1_25segmented_radix_sort_implINS0_14default_configELb1EPKfPfPKlPlN2at6native12_GLOBAL__N_18offset_tEEE10hipError_tPvRmT1_PNSt15iterator_traitsISY_E10value_typeET2_T3_PNSZ_IS14_E10value_typeET4_jRbjT5_S1A_jjP12ihipStream_tbEUljE_EEESV_SW_SX_S14_S18_S1A_T6_T7_T9_mT8_S1C_bDpT10_ENKUlT_T0_E_clISt17integral_constantIbLb1EES1P_EEDaS1K_S1L_EUlS1K_E_NS1_11comp_targetILNS1_3genE0ELNS1_11target_archE4294967295ELNS1_3gpuE0ELNS1_3repE0EEENS1_30default_config_static_selectorELNS0_4arch9wavefront6targetE0EEEvSY_.private_seg_size, 0
	.set _ZN7rocprim17ROCPRIM_400000_NS6detail17trampoline_kernelINS0_13select_configILj256ELj13ELNS0_17block_load_methodE3ELS4_3ELS4_3ELNS0_20block_scan_algorithmE0ELj4294967295EEENS1_25partition_config_selectorILNS1_17partition_subalgoE3EjNS0_10empty_typeEbEEZZNS1_14partition_implILS8_3ELb0ES6_jNS0_17counting_iteratorIjlEEPS9_SE_NS0_5tupleIJPjSE_EEENSF_IJSE_SE_EEES9_SG_JZNS1_25segmented_radix_sort_implINS0_14default_configELb1EPKfPfPKlPlN2at6native12_GLOBAL__N_18offset_tEEE10hipError_tPvRmT1_PNSt15iterator_traitsISY_E10value_typeET2_T3_PNSZ_IS14_E10value_typeET4_jRbjT5_S1A_jjP12ihipStream_tbEUljE_EEESV_SW_SX_S14_S18_S1A_T6_T7_T9_mT8_S1C_bDpT10_ENKUlT_T0_E_clISt17integral_constantIbLb1EES1P_EEDaS1K_S1L_EUlS1K_E_NS1_11comp_targetILNS1_3genE0ELNS1_11target_archE4294967295ELNS1_3gpuE0ELNS1_3repE0EEENS1_30default_config_static_selectorELNS0_4arch9wavefront6targetE0EEEvSY_.uses_vcc, 0
	.set _ZN7rocprim17ROCPRIM_400000_NS6detail17trampoline_kernelINS0_13select_configILj256ELj13ELNS0_17block_load_methodE3ELS4_3ELS4_3ELNS0_20block_scan_algorithmE0ELj4294967295EEENS1_25partition_config_selectorILNS1_17partition_subalgoE3EjNS0_10empty_typeEbEEZZNS1_14partition_implILS8_3ELb0ES6_jNS0_17counting_iteratorIjlEEPS9_SE_NS0_5tupleIJPjSE_EEENSF_IJSE_SE_EEES9_SG_JZNS1_25segmented_radix_sort_implINS0_14default_configELb1EPKfPfPKlPlN2at6native12_GLOBAL__N_18offset_tEEE10hipError_tPvRmT1_PNSt15iterator_traitsISY_E10value_typeET2_T3_PNSZ_IS14_E10value_typeET4_jRbjT5_S1A_jjP12ihipStream_tbEUljE_EEESV_SW_SX_S14_S18_S1A_T6_T7_T9_mT8_S1C_bDpT10_ENKUlT_T0_E_clISt17integral_constantIbLb1EES1P_EEDaS1K_S1L_EUlS1K_E_NS1_11comp_targetILNS1_3genE0ELNS1_11target_archE4294967295ELNS1_3gpuE0ELNS1_3repE0EEENS1_30default_config_static_selectorELNS0_4arch9wavefront6targetE0EEEvSY_.uses_flat_scratch, 0
	.set _ZN7rocprim17ROCPRIM_400000_NS6detail17trampoline_kernelINS0_13select_configILj256ELj13ELNS0_17block_load_methodE3ELS4_3ELS4_3ELNS0_20block_scan_algorithmE0ELj4294967295EEENS1_25partition_config_selectorILNS1_17partition_subalgoE3EjNS0_10empty_typeEbEEZZNS1_14partition_implILS8_3ELb0ES6_jNS0_17counting_iteratorIjlEEPS9_SE_NS0_5tupleIJPjSE_EEENSF_IJSE_SE_EEES9_SG_JZNS1_25segmented_radix_sort_implINS0_14default_configELb1EPKfPfPKlPlN2at6native12_GLOBAL__N_18offset_tEEE10hipError_tPvRmT1_PNSt15iterator_traitsISY_E10value_typeET2_T3_PNSZ_IS14_E10value_typeET4_jRbjT5_S1A_jjP12ihipStream_tbEUljE_EEESV_SW_SX_S14_S18_S1A_T6_T7_T9_mT8_S1C_bDpT10_ENKUlT_T0_E_clISt17integral_constantIbLb1EES1P_EEDaS1K_S1L_EUlS1K_E_NS1_11comp_targetILNS1_3genE0ELNS1_11target_archE4294967295ELNS1_3gpuE0ELNS1_3repE0EEENS1_30default_config_static_selectorELNS0_4arch9wavefront6targetE0EEEvSY_.has_dyn_sized_stack, 0
	.set _ZN7rocprim17ROCPRIM_400000_NS6detail17trampoline_kernelINS0_13select_configILj256ELj13ELNS0_17block_load_methodE3ELS4_3ELS4_3ELNS0_20block_scan_algorithmE0ELj4294967295EEENS1_25partition_config_selectorILNS1_17partition_subalgoE3EjNS0_10empty_typeEbEEZZNS1_14partition_implILS8_3ELb0ES6_jNS0_17counting_iteratorIjlEEPS9_SE_NS0_5tupleIJPjSE_EEENSF_IJSE_SE_EEES9_SG_JZNS1_25segmented_radix_sort_implINS0_14default_configELb1EPKfPfPKlPlN2at6native12_GLOBAL__N_18offset_tEEE10hipError_tPvRmT1_PNSt15iterator_traitsISY_E10value_typeET2_T3_PNSZ_IS14_E10value_typeET4_jRbjT5_S1A_jjP12ihipStream_tbEUljE_EEESV_SW_SX_S14_S18_S1A_T6_T7_T9_mT8_S1C_bDpT10_ENKUlT_T0_E_clISt17integral_constantIbLb1EES1P_EEDaS1K_S1L_EUlS1K_E_NS1_11comp_targetILNS1_3genE0ELNS1_11target_archE4294967295ELNS1_3gpuE0ELNS1_3repE0EEENS1_30default_config_static_selectorELNS0_4arch9wavefront6targetE0EEEvSY_.has_recursion, 0
	.set _ZN7rocprim17ROCPRIM_400000_NS6detail17trampoline_kernelINS0_13select_configILj256ELj13ELNS0_17block_load_methodE3ELS4_3ELS4_3ELNS0_20block_scan_algorithmE0ELj4294967295EEENS1_25partition_config_selectorILNS1_17partition_subalgoE3EjNS0_10empty_typeEbEEZZNS1_14partition_implILS8_3ELb0ES6_jNS0_17counting_iteratorIjlEEPS9_SE_NS0_5tupleIJPjSE_EEENSF_IJSE_SE_EEES9_SG_JZNS1_25segmented_radix_sort_implINS0_14default_configELb1EPKfPfPKlPlN2at6native12_GLOBAL__N_18offset_tEEE10hipError_tPvRmT1_PNSt15iterator_traitsISY_E10value_typeET2_T3_PNSZ_IS14_E10value_typeET4_jRbjT5_S1A_jjP12ihipStream_tbEUljE_EEESV_SW_SX_S14_S18_S1A_T6_T7_T9_mT8_S1C_bDpT10_ENKUlT_T0_E_clISt17integral_constantIbLb1EES1P_EEDaS1K_S1L_EUlS1K_E_NS1_11comp_targetILNS1_3genE0ELNS1_11target_archE4294967295ELNS1_3gpuE0ELNS1_3repE0EEENS1_30default_config_static_selectorELNS0_4arch9wavefront6targetE0EEEvSY_.has_indirect_call, 0
	.section	.AMDGPU.csdata,"",@progbits
; Kernel info:
; codeLenInByte = 0
; TotalNumSgprs: 0
; NumVgprs: 0
; ScratchSize: 0
; MemoryBound: 0
; FloatMode: 240
; IeeeMode: 1
; LDSByteSize: 0 bytes/workgroup (compile time only)
; SGPRBlocks: 0
; VGPRBlocks: 0
; NumSGPRsForWavesPerEU: 1
; NumVGPRsForWavesPerEU: 1
; Occupancy: 16
; WaveLimiterHint : 0
; COMPUTE_PGM_RSRC2:SCRATCH_EN: 0
; COMPUTE_PGM_RSRC2:USER_SGPR: 6
; COMPUTE_PGM_RSRC2:TRAP_HANDLER: 0
; COMPUTE_PGM_RSRC2:TGID_X_EN: 1
; COMPUTE_PGM_RSRC2:TGID_Y_EN: 0
; COMPUTE_PGM_RSRC2:TGID_Z_EN: 0
; COMPUTE_PGM_RSRC2:TIDIG_COMP_CNT: 0
	.section	.text._ZN7rocprim17ROCPRIM_400000_NS6detail17trampoline_kernelINS0_13select_configILj256ELj13ELNS0_17block_load_methodE3ELS4_3ELS4_3ELNS0_20block_scan_algorithmE0ELj4294967295EEENS1_25partition_config_selectorILNS1_17partition_subalgoE3EjNS0_10empty_typeEbEEZZNS1_14partition_implILS8_3ELb0ES6_jNS0_17counting_iteratorIjlEEPS9_SE_NS0_5tupleIJPjSE_EEENSF_IJSE_SE_EEES9_SG_JZNS1_25segmented_radix_sort_implINS0_14default_configELb1EPKfPfPKlPlN2at6native12_GLOBAL__N_18offset_tEEE10hipError_tPvRmT1_PNSt15iterator_traitsISY_E10value_typeET2_T3_PNSZ_IS14_E10value_typeET4_jRbjT5_S1A_jjP12ihipStream_tbEUljE_EEESV_SW_SX_S14_S18_S1A_T6_T7_T9_mT8_S1C_bDpT10_ENKUlT_T0_E_clISt17integral_constantIbLb1EES1P_EEDaS1K_S1L_EUlS1K_E_NS1_11comp_targetILNS1_3genE5ELNS1_11target_archE942ELNS1_3gpuE9ELNS1_3repE0EEENS1_30default_config_static_selectorELNS0_4arch9wavefront6targetE0EEEvSY_,"axG",@progbits,_ZN7rocprim17ROCPRIM_400000_NS6detail17trampoline_kernelINS0_13select_configILj256ELj13ELNS0_17block_load_methodE3ELS4_3ELS4_3ELNS0_20block_scan_algorithmE0ELj4294967295EEENS1_25partition_config_selectorILNS1_17partition_subalgoE3EjNS0_10empty_typeEbEEZZNS1_14partition_implILS8_3ELb0ES6_jNS0_17counting_iteratorIjlEEPS9_SE_NS0_5tupleIJPjSE_EEENSF_IJSE_SE_EEES9_SG_JZNS1_25segmented_radix_sort_implINS0_14default_configELb1EPKfPfPKlPlN2at6native12_GLOBAL__N_18offset_tEEE10hipError_tPvRmT1_PNSt15iterator_traitsISY_E10value_typeET2_T3_PNSZ_IS14_E10value_typeET4_jRbjT5_S1A_jjP12ihipStream_tbEUljE_EEESV_SW_SX_S14_S18_S1A_T6_T7_T9_mT8_S1C_bDpT10_ENKUlT_T0_E_clISt17integral_constantIbLb1EES1P_EEDaS1K_S1L_EUlS1K_E_NS1_11comp_targetILNS1_3genE5ELNS1_11target_archE942ELNS1_3gpuE9ELNS1_3repE0EEENS1_30default_config_static_selectorELNS0_4arch9wavefront6targetE0EEEvSY_,comdat
	.globl	_ZN7rocprim17ROCPRIM_400000_NS6detail17trampoline_kernelINS0_13select_configILj256ELj13ELNS0_17block_load_methodE3ELS4_3ELS4_3ELNS0_20block_scan_algorithmE0ELj4294967295EEENS1_25partition_config_selectorILNS1_17partition_subalgoE3EjNS0_10empty_typeEbEEZZNS1_14partition_implILS8_3ELb0ES6_jNS0_17counting_iteratorIjlEEPS9_SE_NS0_5tupleIJPjSE_EEENSF_IJSE_SE_EEES9_SG_JZNS1_25segmented_radix_sort_implINS0_14default_configELb1EPKfPfPKlPlN2at6native12_GLOBAL__N_18offset_tEEE10hipError_tPvRmT1_PNSt15iterator_traitsISY_E10value_typeET2_T3_PNSZ_IS14_E10value_typeET4_jRbjT5_S1A_jjP12ihipStream_tbEUljE_EEESV_SW_SX_S14_S18_S1A_T6_T7_T9_mT8_S1C_bDpT10_ENKUlT_T0_E_clISt17integral_constantIbLb1EES1P_EEDaS1K_S1L_EUlS1K_E_NS1_11comp_targetILNS1_3genE5ELNS1_11target_archE942ELNS1_3gpuE9ELNS1_3repE0EEENS1_30default_config_static_selectorELNS0_4arch9wavefront6targetE0EEEvSY_ ; -- Begin function _ZN7rocprim17ROCPRIM_400000_NS6detail17trampoline_kernelINS0_13select_configILj256ELj13ELNS0_17block_load_methodE3ELS4_3ELS4_3ELNS0_20block_scan_algorithmE0ELj4294967295EEENS1_25partition_config_selectorILNS1_17partition_subalgoE3EjNS0_10empty_typeEbEEZZNS1_14partition_implILS8_3ELb0ES6_jNS0_17counting_iteratorIjlEEPS9_SE_NS0_5tupleIJPjSE_EEENSF_IJSE_SE_EEES9_SG_JZNS1_25segmented_radix_sort_implINS0_14default_configELb1EPKfPfPKlPlN2at6native12_GLOBAL__N_18offset_tEEE10hipError_tPvRmT1_PNSt15iterator_traitsISY_E10value_typeET2_T3_PNSZ_IS14_E10value_typeET4_jRbjT5_S1A_jjP12ihipStream_tbEUljE_EEESV_SW_SX_S14_S18_S1A_T6_T7_T9_mT8_S1C_bDpT10_ENKUlT_T0_E_clISt17integral_constantIbLb1EES1P_EEDaS1K_S1L_EUlS1K_E_NS1_11comp_targetILNS1_3genE5ELNS1_11target_archE942ELNS1_3gpuE9ELNS1_3repE0EEENS1_30default_config_static_selectorELNS0_4arch9wavefront6targetE0EEEvSY_
	.p2align	8
	.type	_ZN7rocprim17ROCPRIM_400000_NS6detail17trampoline_kernelINS0_13select_configILj256ELj13ELNS0_17block_load_methodE3ELS4_3ELS4_3ELNS0_20block_scan_algorithmE0ELj4294967295EEENS1_25partition_config_selectorILNS1_17partition_subalgoE3EjNS0_10empty_typeEbEEZZNS1_14partition_implILS8_3ELb0ES6_jNS0_17counting_iteratorIjlEEPS9_SE_NS0_5tupleIJPjSE_EEENSF_IJSE_SE_EEES9_SG_JZNS1_25segmented_radix_sort_implINS0_14default_configELb1EPKfPfPKlPlN2at6native12_GLOBAL__N_18offset_tEEE10hipError_tPvRmT1_PNSt15iterator_traitsISY_E10value_typeET2_T3_PNSZ_IS14_E10value_typeET4_jRbjT5_S1A_jjP12ihipStream_tbEUljE_EEESV_SW_SX_S14_S18_S1A_T6_T7_T9_mT8_S1C_bDpT10_ENKUlT_T0_E_clISt17integral_constantIbLb1EES1P_EEDaS1K_S1L_EUlS1K_E_NS1_11comp_targetILNS1_3genE5ELNS1_11target_archE942ELNS1_3gpuE9ELNS1_3repE0EEENS1_30default_config_static_selectorELNS0_4arch9wavefront6targetE0EEEvSY_,@function
_ZN7rocprim17ROCPRIM_400000_NS6detail17trampoline_kernelINS0_13select_configILj256ELj13ELNS0_17block_load_methodE3ELS4_3ELS4_3ELNS0_20block_scan_algorithmE0ELj4294967295EEENS1_25partition_config_selectorILNS1_17partition_subalgoE3EjNS0_10empty_typeEbEEZZNS1_14partition_implILS8_3ELb0ES6_jNS0_17counting_iteratorIjlEEPS9_SE_NS0_5tupleIJPjSE_EEENSF_IJSE_SE_EEES9_SG_JZNS1_25segmented_radix_sort_implINS0_14default_configELb1EPKfPfPKlPlN2at6native12_GLOBAL__N_18offset_tEEE10hipError_tPvRmT1_PNSt15iterator_traitsISY_E10value_typeET2_T3_PNSZ_IS14_E10value_typeET4_jRbjT5_S1A_jjP12ihipStream_tbEUljE_EEESV_SW_SX_S14_S18_S1A_T6_T7_T9_mT8_S1C_bDpT10_ENKUlT_T0_E_clISt17integral_constantIbLb1EES1P_EEDaS1K_S1L_EUlS1K_E_NS1_11comp_targetILNS1_3genE5ELNS1_11target_archE942ELNS1_3gpuE9ELNS1_3repE0EEENS1_30default_config_static_selectorELNS0_4arch9wavefront6targetE0EEEvSY_: ; @_ZN7rocprim17ROCPRIM_400000_NS6detail17trampoline_kernelINS0_13select_configILj256ELj13ELNS0_17block_load_methodE3ELS4_3ELS4_3ELNS0_20block_scan_algorithmE0ELj4294967295EEENS1_25partition_config_selectorILNS1_17partition_subalgoE3EjNS0_10empty_typeEbEEZZNS1_14partition_implILS8_3ELb0ES6_jNS0_17counting_iteratorIjlEEPS9_SE_NS0_5tupleIJPjSE_EEENSF_IJSE_SE_EEES9_SG_JZNS1_25segmented_radix_sort_implINS0_14default_configELb1EPKfPfPKlPlN2at6native12_GLOBAL__N_18offset_tEEE10hipError_tPvRmT1_PNSt15iterator_traitsISY_E10value_typeET2_T3_PNSZ_IS14_E10value_typeET4_jRbjT5_S1A_jjP12ihipStream_tbEUljE_EEESV_SW_SX_S14_S18_S1A_T6_T7_T9_mT8_S1C_bDpT10_ENKUlT_T0_E_clISt17integral_constantIbLb1EES1P_EEDaS1K_S1L_EUlS1K_E_NS1_11comp_targetILNS1_3genE5ELNS1_11target_archE942ELNS1_3gpuE9ELNS1_3repE0EEENS1_30default_config_static_selectorELNS0_4arch9wavefront6targetE0EEEvSY_
; %bb.0:
	.section	.rodata,"a",@progbits
	.p2align	6, 0x0
	.amdhsa_kernel _ZN7rocprim17ROCPRIM_400000_NS6detail17trampoline_kernelINS0_13select_configILj256ELj13ELNS0_17block_load_methodE3ELS4_3ELS4_3ELNS0_20block_scan_algorithmE0ELj4294967295EEENS1_25partition_config_selectorILNS1_17partition_subalgoE3EjNS0_10empty_typeEbEEZZNS1_14partition_implILS8_3ELb0ES6_jNS0_17counting_iteratorIjlEEPS9_SE_NS0_5tupleIJPjSE_EEENSF_IJSE_SE_EEES9_SG_JZNS1_25segmented_radix_sort_implINS0_14default_configELb1EPKfPfPKlPlN2at6native12_GLOBAL__N_18offset_tEEE10hipError_tPvRmT1_PNSt15iterator_traitsISY_E10value_typeET2_T3_PNSZ_IS14_E10value_typeET4_jRbjT5_S1A_jjP12ihipStream_tbEUljE_EEESV_SW_SX_S14_S18_S1A_T6_T7_T9_mT8_S1C_bDpT10_ENKUlT_T0_E_clISt17integral_constantIbLb1EES1P_EEDaS1K_S1L_EUlS1K_E_NS1_11comp_targetILNS1_3genE5ELNS1_11target_archE942ELNS1_3gpuE9ELNS1_3repE0EEENS1_30default_config_static_selectorELNS0_4arch9wavefront6targetE0EEEvSY_
		.amdhsa_group_segment_fixed_size 0
		.amdhsa_private_segment_fixed_size 0
		.amdhsa_kernarg_size 152
		.amdhsa_user_sgpr_count 6
		.amdhsa_user_sgpr_private_segment_buffer 1
		.amdhsa_user_sgpr_dispatch_ptr 0
		.amdhsa_user_sgpr_queue_ptr 0
		.amdhsa_user_sgpr_kernarg_segment_ptr 1
		.amdhsa_user_sgpr_dispatch_id 0
		.amdhsa_user_sgpr_flat_scratch_init 0
		.amdhsa_user_sgpr_private_segment_size 0
		.amdhsa_wavefront_size32 1
		.amdhsa_uses_dynamic_stack 0
		.amdhsa_system_sgpr_private_segment_wavefront_offset 0
		.amdhsa_system_sgpr_workgroup_id_x 1
		.amdhsa_system_sgpr_workgroup_id_y 0
		.amdhsa_system_sgpr_workgroup_id_z 0
		.amdhsa_system_sgpr_workgroup_info 0
		.amdhsa_system_vgpr_workitem_id 0
		.amdhsa_next_free_vgpr 1
		.amdhsa_next_free_sgpr 1
		.amdhsa_reserve_vcc 0
		.amdhsa_reserve_flat_scratch 0
		.amdhsa_float_round_mode_32 0
		.amdhsa_float_round_mode_16_64 0
		.amdhsa_float_denorm_mode_32 3
		.amdhsa_float_denorm_mode_16_64 3
		.amdhsa_dx10_clamp 1
		.amdhsa_ieee_mode 1
		.amdhsa_fp16_overflow 0
		.amdhsa_workgroup_processor_mode 1
		.amdhsa_memory_ordered 1
		.amdhsa_forward_progress 1
		.amdhsa_shared_vgpr_count 0
		.amdhsa_exception_fp_ieee_invalid_op 0
		.amdhsa_exception_fp_denorm_src 0
		.amdhsa_exception_fp_ieee_div_zero 0
		.amdhsa_exception_fp_ieee_overflow 0
		.amdhsa_exception_fp_ieee_underflow 0
		.amdhsa_exception_fp_ieee_inexact 0
		.amdhsa_exception_int_div_zero 0
	.end_amdhsa_kernel
	.section	.text._ZN7rocprim17ROCPRIM_400000_NS6detail17trampoline_kernelINS0_13select_configILj256ELj13ELNS0_17block_load_methodE3ELS4_3ELS4_3ELNS0_20block_scan_algorithmE0ELj4294967295EEENS1_25partition_config_selectorILNS1_17partition_subalgoE3EjNS0_10empty_typeEbEEZZNS1_14partition_implILS8_3ELb0ES6_jNS0_17counting_iteratorIjlEEPS9_SE_NS0_5tupleIJPjSE_EEENSF_IJSE_SE_EEES9_SG_JZNS1_25segmented_radix_sort_implINS0_14default_configELb1EPKfPfPKlPlN2at6native12_GLOBAL__N_18offset_tEEE10hipError_tPvRmT1_PNSt15iterator_traitsISY_E10value_typeET2_T3_PNSZ_IS14_E10value_typeET4_jRbjT5_S1A_jjP12ihipStream_tbEUljE_EEESV_SW_SX_S14_S18_S1A_T6_T7_T9_mT8_S1C_bDpT10_ENKUlT_T0_E_clISt17integral_constantIbLb1EES1P_EEDaS1K_S1L_EUlS1K_E_NS1_11comp_targetILNS1_3genE5ELNS1_11target_archE942ELNS1_3gpuE9ELNS1_3repE0EEENS1_30default_config_static_selectorELNS0_4arch9wavefront6targetE0EEEvSY_,"axG",@progbits,_ZN7rocprim17ROCPRIM_400000_NS6detail17trampoline_kernelINS0_13select_configILj256ELj13ELNS0_17block_load_methodE3ELS4_3ELS4_3ELNS0_20block_scan_algorithmE0ELj4294967295EEENS1_25partition_config_selectorILNS1_17partition_subalgoE3EjNS0_10empty_typeEbEEZZNS1_14partition_implILS8_3ELb0ES6_jNS0_17counting_iteratorIjlEEPS9_SE_NS0_5tupleIJPjSE_EEENSF_IJSE_SE_EEES9_SG_JZNS1_25segmented_radix_sort_implINS0_14default_configELb1EPKfPfPKlPlN2at6native12_GLOBAL__N_18offset_tEEE10hipError_tPvRmT1_PNSt15iterator_traitsISY_E10value_typeET2_T3_PNSZ_IS14_E10value_typeET4_jRbjT5_S1A_jjP12ihipStream_tbEUljE_EEESV_SW_SX_S14_S18_S1A_T6_T7_T9_mT8_S1C_bDpT10_ENKUlT_T0_E_clISt17integral_constantIbLb1EES1P_EEDaS1K_S1L_EUlS1K_E_NS1_11comp_targetILNS1_3genE5ELNS1_11target_archE942ELNS1_3gpuE9ELNS1_3repE0EEENS1_30default_config_static_selectorELNS0_4arch9wavefront6targetE0EEEvSY_,comdat
.Lfunc_end1294:
	.size	_ZN7rocprim17ROCPRIM_400000_NS6detail17trampoline_kernelINS0_13select_configILj256ELj13ELNS0_17block_load_methodE3ELS4_3ELS4_3ELNS0_20block_scan_algorithmE0ELj4294967295EEENS1_25partition_config_selectorILNS1_17partition_subalgoE3EjNS0_10empty_typeEbEEZZNS1_14partition_implILS8_3ELb0ES6_jNS0_17counting_iteratorIjlEEPS9_SE_NS0_5tupleIJPjSE_EEENSF_IJSE_SE_EEES9_SG_JZNS1_25segmented_radix_sort_implINS0_14default_configELb1EPKfPfPKlPlN2at6native12_GLOBAL__N_18offset_tEEE10hipError_tPvRmT1_PNSt15iterator_traitsISY_E10value_typeET2_T3_PNSZ_IS14_E10value_typeET4_jRbjT5_S1A_jjP12ihipStream_tbEUljE_EEESV_SW_SX_S14_S18_S1A_T6_T7_T9_mT8_S1C_bDpT10_ENKUlT_T0_E_clISt17integral_constantIbLb1EES1P_EEDaS1K_S1L_EUlS1K_E_NS1_11comp_targetILNS1_3genE5ELNS1_11target_archE942ELNS1_3gpuE9ELNS1_3repE0EEENS1_30default_config_static_selectorELNS0_4arch9wavefront6targetE0EEEvSY_, .Lfunc_end1294-_ZN7rocprim17ROCPRIM_400000_NS6detail17trampoline_kernelINS0_13select_configILj256ELj13ELNS0_17block_load_methodE3ELS4_3ELS4_3ELNS0_20block_scan_algorithmE0ELj4294967295EEENS1_25partition_config_selectorILNS1_17partition_subalgoE3EjNS0_10empty_typeEbEEZZNS1_14partition_implILS8_3ELb0ES6_jNS0_17counting_iteratorIjlEEPS9_SE_NS0_5tupleIJPjSE_EEENSF_IJSE_SE_EEES9_SG_JZNS1_25segmented_radix_sort_implINS0_14default_configELb1EPKfPfPKlPlN2at6native12_GLOBAL__N_18offset_tEEE10hipError_tPvRmT1_PNSt15iterator_traitsISY_E10value_typeET2_T3_PNSZ_IS14_E10value_typeET4_jRbjT5_S1A_jjP12ihipStream_tbEUljE_EEESV_SW_SX_S14_S18_S1A_T6_T7_T9_mT8_S1C_bDpT10_ENKUlT_T0_E_clISt17integral_constantIbLb1EES1P_EEDaS1K_S1L_EUlS1K_E_NS1_11comp_targetILNS1_3genE5ELNS1_11target_archE942ELNS1_3gpuE9ELNS1_3repE0EEENS1_30default_config_static_selectorELNS0_4arch9wavefront6targetE0EEEvSY_
                                        ; -- End function
	.set _ZN7rocprim17ROCPRIM_400000_NS6detail17trampoline_kernelINS0_13select_configILj256ELj13ELNS0_17block_load_methodE3ELS4_3ELS4_3ELNS0_20block_scan_algorithmE0ELj4294967295EEENS1_25partition_config_selectorILNS1_17partition_subalgoE3EjNS0_10empty_typeEbEEZZNS1_14partition_implILS8_3ELb0ES6_jNS0_17counting_iteratorIjlEEPS9_SE_NS0_5tupleIJPjSE_EEENSF_IJSE_SE_EEES9_SG_JZNS1_25segmented_radix_sort_implINS0_14default_configELb1EPKfPfPKlPlN2at6native12_GLOBAL__N_18offset_tEEE10hipError_tPvRmT1_PNSt15iterator_traitsISY_E10value_typeET2_T3_PNSZ_IS14_E10value_typeET4_jRbjT5_S1A_jjP12ihipStream_tbEUljE_EEESV_SW_SX_S14_S18_S1A_T6_T7_T9_mT8_S1C_bDpT10_ENKUlT_T0_E_clISt17integral_constantIbLb1EES1P_EEDaS1K_S1L_EUlS1K_E_NS1_11comp_targetILNS1_3genE5ELNS1_11target_archE942ELNS1_3gpuE9ELNS1_3repE0EEENS1_30default_config_static_selectorELNS0_4arch9wavefront6targetE0EEEvSY_.num_vgpr, 0
	.set _ZN7rocprim17ROCPRIM_400000_NS6detail17trampoline_kernelINS0_13select_configILj256ELj13ELNS0_17block_load_methodE3ELS4_3ELS4_3ELNS0_20block_scan_algorithmE0ELj4294967295EEENS1_25partition_config_selectorILNS1_17partition_subalgoE3EjNS0_10empty_typeEbEEZZNS1_14partition_implILS8_3ELb0ES6_jNS0_17counting_iteratorIjlEEPS9_SE_NS0_5tupleIJPjSE_EEENSF_IJSE_SE_EEES9_SG_JZNS1_25segmented_radix_sort_implINS0_14default_configELb1EPKfPfPKlPlN2at6native12_GLOBAL__N_18offset_tEEE10hipError_tPvRmT1_PNSt15iterator_traitsISY_E10value_typeET2_T3_PNSZ_IS14_E10value_typeET4_jRbjT5_S1A_jjP12ihipStream_tbEUljE_EEESV_SW_SX_S14_S18_S1A_T6_T7_T9_mT8_S1C_bDpT10_ENKUlT_T0_E_clISt17integral_constantIbLb1EES1P_EEDaS1K_S1L_EUlS1K_E_NS1_11comp_targetILNS1_3genE5ELNS1_11target_archE942ELNS1_3gpuE9ELNS1_3repE0EEENS1_30default_config_static_selectorELNS0_4arch9wavefront6targetE0EEEvSY_.num_agpr, 0
	.set _ZN7rocprim17ROCPRIM_400000_NS6detail17trampoline_kernelINS0_13select_configILj256ELj13ELNS0_17block_load_methodE3ELS4_3ELS4_3ELNS0_20block_scan_algorithmE0ELj4294967295EEENS1_25partition_config_selectorILNS1_17partition_subalgoE3EjNS0_10empty_typeEbEEZZNS1_14partition_implILS8_3ELb0ES6_jNS0_17counting_iteratorIjlEEPS9_SE_NS0_5tupleIJPjSE_EEENSF_IJSE_SE_EEES9_SG_JZNS1_25segmented_radix_sort_implINS0_14default_configELb1EPKfPfPKlPlN2at6native12_GLOBAL__N_18offset_tEEE10hipError_tPvRmT1_PNSt15iterator_traitsISY_E10value_typeET2_T3_PNSZ_IS14_E10value_typeET4_jRbjT5_S1A_jjP12ihipStream_tbEUljE_EEESV_SW_SX_S14_S18_S1A_T6_T7_T9_mT8_S1C_bDpT10_ENKUlT_T0_E_clISt17integral_constantIbLb1EES1P_EEDaS1K_S1L_EUlS1K_E_NS1_11comp_targetILNS1_3genE5ELNS1_11target_archE942ELNS1_3gpuE9ELNS1_3repE0EEENS1_30default_config_static_selectorELNS0_4arch9wavefront6targetE0EEEvSY_.numbered_sgpr, 0
	.set _ZN7rocprim17ROCPRIM_400000_NS6detail17trampoline_kernelINS0_13select_configILj256ELj13ELNS0_17block_load_methodE3ELS4_3ELS4_3ELNS0_20block_scan_algorithmE0ELj4294967295EEENS1_25partition_config_selectorILNS1_17partition_subalgoE3EjNS0_10empty_typeEbEEZZNS1_14partition_implILS8_3ELb0ES6_jNS0_17counting_iteratorIjlEEPS9_SE_NS0_5tupleIJPjSE_EEENSF_IJSE_SE_EEES9_SG_JZNS1_25segmented_radix_sort_implINS0_14default_configELb1EPKfPfPKlPlN2at6native12_GLOBAL__N_18offset_tEEE10hipError_tPvRmT1_PNSt15iterator_traitsISY_E10value_typeET2_T3_PNSZ_IS14_E10value_typeET4_jRbjT5_S1A_jjP12ihipStream_tbEUljE_EEESV_SW_SX_S14_S18_S1A_T6_T7_T9_mT8_S1C_bDpT10_ENKUlT_T0_E_clISt17integral_constantIbLb1EES1P_EEDaS1K_S1L_EUlS1K_E_NS1_11comp_targetILNS1_3genE5ELNS1_11target_archE942ELNS1_3gpuE9ELNS1_3repE0EEENS1_30default_config_static_selectorELNS0_4arch9wavefront6targetE0EEEvSY_.num_named_barrier, 0
	.set _ZN7rocprim17ROCPRIM_400000_NS6detail17trampoline_kernelINS0_13select_configILj256ELj13ELNS0_17block_load_methodE3ELS4_3ELS4_3ELNS0_20block_scan_algorithmE0ELj4294967295EEENS1_25partition_config_selectorILNS1_17partition_subalgoE3EjNS0_10empty_typeEbEEZZNS1_14partition_implILS8_3ELb0ES6_jNS0_17counting_iteratorIjlEEPS9_SE_NS0_5tupleIJPjSE_EEENSF_IJSE_SE_EEES9_SG_JZNS1_25segmented_radix_sort_implINS0_14default_configELb1EPKfPfPKlPlN2at6native12_GLOBAL__N_18offset_tEEE10hipError_tPvRmT1_PNSt15iterator_traitsISY_E10value_typeET2_T3_PNSZ_IS14_E10value_typeET4_jRbjT5_S1A_jjP12ihipStream_tbEUljE_EEESV_SW_SX_S14_S18_S1A_T6_T7_T9_mT8_S1C_bDpT10_ENKUlT_T0_E_clISt17integral_constantIbLb1EES1P_EEDaS1K_S1L_EUlS1K_E_NS1_11comp_targetILNS1_3genE5ELNS1_11target_archE942ELNS1_3gpuE9ELNS1_3repE0EEENS1_30default_config_static_selectorELNS0_4arch9wavefront6targetE0EEEvSY_.private_seg_size, 0
	.set _ZN7rocprim17ROCPRIM_400000_NS6detail17trampoline_kernelINS0_13select_configILj256ELj13ELNS0_17block_load_methodE3ELS4_3ELS4_3ELNS0_20block_scan_algorithmE0ELj4294967295EEENS1_25partition_config_selectorILNS1_17partition_subalgoE3EjNS0_10empty_typeEbEEZZNS1_14partition_implILS8_3ELb0ES6_jNS0_17counting_iteratorIjlEEPS9_SE_NS0_5tupleIJPjSE_EEENSF_IJSE_SE_EEES9_SG_JZNS1_25segmented_radix_sort_implINS0_14default_configELb1EPKfPfPKlPlN2at6native12_GLOBAL__N_18offset_tEEE10hipError_tPvRmT1_PNSt15iterator_traitsISY_E10value_typeET2_T3_PNSZ_IS14_E10value_typeET4_jRbjT5_S1A_jjP12ihipStream_tbEUljE_EEESV_SW_SX_S14_S18_S1A_T6_T7_T9_mT8_S1C_bDpT10_ENKUlT_T0_E_clISt17integral_constantIbLb1EES1P_EEDaS1K_S1L_EUlS1K_E_NS1_11comp_targetILNS1_3genE5ELNS1_11target_archE942ELNS1_3gpuE9ELNS1_3repE0EEENS1_30default_config_static_selectorELNS0_4arch9wavefront6targetE0EEEvSY_.uses_vcc, 0
	.set _ZN7rocprim17ROCPRIM_400000_NS6detail17trampoline_kernelINS0_13select_configILj256ELj13ELNS0_17block_load_methodE3ELS4_3ELS4_3ELNS0_20block_scan_algorithmE0ELj4294967295EEENS1_25partition_config_selectorILNS1_17partition_subalgoE3EjNS0_10empty_typeEbEEZZNS1_14partition_implILS8_3ELb0ES6_jNS0_17counting_iteratorIjlEEPS9_SE_NS0_5tupleIJPjSE_EEENSF_IJSE_SE_EEES9_SG_JZNS1_25segmented_radix_sort_implINS0_14default_configELb1EPKfPfPKlPlN2at6native12_GLOBAL__N_18offset_tEEE10hipError_tPvRmT1_PNSt15iterator_traitsISY_E10value_typeET2_T3_PNSZ_IS14_E10value_typeET4_jRbjT5_S1A_jjP12ihipStream_tbEUljE_EEESV_SW_SX_S14_S18_S1A_T6_T7_T9_mT8_S1C_bDpT10_ENKUlT_T0_E_clISt17integral_constantIbLb1EES1P_EEDaS1K_S1L_EUlS1K_E_NS1_11comp_targetILNS1_3genE5ELNS1_11target_archE942ELNS1_3gpuE9ELNS1_3repE0EEENS1_30default_config_static_selectorELNS0_4arch9wavefront6targetE0EEEvSY_.uses_flat_scratch, 0
	.set _ZN7rocprim17ROCPRIM_400000_NS6detail17trampoline_kernelINS0_13select_configILj256ELj13ELNS0_17block_load_methodE3ELS4_3ELS4_3ELNS0_20block_scan_algorithmE0ELj4294967295EEENS1_25partition_config_selectorILNS1_17partition_subalgoE3EjNS0_10empty_typeEbEEZZNS1_14partition_implILS8_3ELb0ES6_jNS0_17counting_iteratorIjlEEPS9_SE_NS0_5tupleIJPjSE_EEENSF_IJSE_SE_EEES9_SG_JZNS1_25segmented_radix_sort_implINS0_14default_configELb1EPKfPfPKlPlN2at6native12_GLOBAL__N_18offset_tEEE10hipError_tPvRmT1_PNSt15iterator_traitsISY_E10value_typeET2_T3_PNSZ_IS14_E10value_typeET4_jRbjT5_S1A_jjP12ihipStream_tbEUljE_EEESV_SW_SX_S14_S18_S1A_T6_T7_T9_mT8_S1C_bDpT10_ENKUlT_T0_E_clISt17integral_constantIbLb1EES1P_EEDaS1K_S1L_EUlS1K_E_NS1_11comp_targetILNS1_3genE5ELNS1_11target_archE942ELNS1_3gpuE9ELNS1_3repE0EEENS1_30default_config_static_selectorELNS0_4arch9wavefront6targetE0EEEvSY_.has_dyn_sized_stack, 0
	.set _ZN7rocprim17ROCPRIM_400000_NS6detail17trampoline_kernelINS0_13select_configILj256ELj13ELNS0_17block_load_methodE3ELS4_3ELS4_3ELNS0_20block_scan_algorithmE0ELj4294967295EEENS1_25partition_config_selectorILNS1_17partition_subalgoE3EjNS0_10empty_typeEbEEZZNS1_14partition_implILS8_3ELb0ES6_jNS0_17counting_iteratorIjlEEPS9_SE_NS0_5tupleIJPjSE_EEENSF_IJSE_SE_EEES9_SG_JZNS1_25segmented_radix_sort_implINS0_14default_configELb1EPKfPfPKlPlN2at6native12_GLOBAL__N_18offset_tEEE10hipError_tPvRmT1_PNSt15iterator_traitsISY_E10value_typeET2_T3_PNSZ_IS14_E10value_typeET4_jRbjT5_S1A_jjP12ihipStream_tbEUljE_EEESV_SW_SX_S14_S18_S1A_T6_T7_T9_mT8_S1C_bDpT10_ENKUlT_T0_E_clISt17integral_constantIbLb1EES1P_EEDaS1K_S1L_EUlS1K_E_NS1_11comp_targetILNS1_3genE5ELNS1_11target_archE942ELNS1_3gpuE9ELNS1_3repE0EEENS1_30default_config_static_selectorELNS0_4arch9wavefront6targetE0EEEvSY_.has_recursion, 0
	.set _ZN7rocprim17ROCPRIM_400000_NS6detail17trampoline_kernelINS0_13select_configILj256ELj13ELNS0_17block_load_methodE3ELS4_3ELS4_3ELNS0_20block_scan_algorithmE0ELj4294967295EEENS1_25partition_config_selectorILNS1_17partition_subalgoE3EjNS0_10empty_typeEbEEZZNS1_14partition_implILS8_3ELb0ES6_jNS0_17counting_iteratorIjlEEPS9_SE_NS0_5tupleIJPjSE_EEENSF_IJSE_SE_EEES9_SG_JZNS1_25segmented_radix_sort_implINS0_14default_configELb1EPKfPfPKlPlN2at6native12_GLOBAL__N_18offset_tEEE10hipError_tPvRmT1_PNSt15iterator_traitsISY_E10value_typeET2_T3_PNSZ_IS14_E10value_typeET4_jRbjT5_S1A_jjP12ihipStream_tbEUljE_EEESV_SW_SX_S14_S18_S1A_T6_T7_T9_mT8_S1C_bDpT10_ENKUlT_T0_E_clISt17integral_constantIbLb1EES1P_EEDaS1K_S1L_EUlS1K_E_NS1_11comp_targetILNS1_3genE5ELNS1_11target_archE942ELNS1_3gpuE9ELNS1_3repE0EEENS1_30default_config_static_selectorELNS0_4arch9wavefront6targetE0EEEvSY_.has_indirect_call, 0
	.section	.AMDGPU.csdata,"",@progbits
; Kernel info:
; codeLenInByte = 0
; TotalNumSgprs: 0
; NumVgprs: 0
; ScratchSize: 0
; MemoryBound: 0
; FloatMode: 240
; IeeeMode: 1
; LDSByteSize: 0 bytes/workgroup (compile time only)
; SGPRBlocks: 0
; VGPRBlocks: 0
; NumSGPRsForWavesPerEU: 1
; NumVGPRsForWavesPerEU: 1
; Occupancy: 16
; WaveLimiterHint : 0
; COMPUTE_PGM_RSRC2:SCRATCH_EN: 0
; COMPUTE_PGM_RSRC2:USER_SGPR: 6
; COMPUTE_PGM_RSRC2:TRAP_HANDLER: 0
; COMPUTE_PGM_RSRC2:TGID_X_EN: 1
; COMPUTE_PGM_RSRC2:TGID_Y_EN: 0
; COMPUTE_PGM_RSRC2:TGID_Z_EN: 0
; COMPUTE_PGM_RSRC2:TIDIG_COMP_CNT: 0
	.section	.text._ZN7rocprim17ROCPRIM_400000_NS6detail17trampoline_kernelINS0_13select_configILj256ELj13ELNS0_17block_load_methodE3ELS4_3ELS4_3ELNS0_20block_scan_algorithmE0ELj4294967295EEENS1_25partition_config_selectorILNS1_17partition_subalgoE3EjNS0_10empty_typeEbEEZZNS1_14partition_implILS8_3ELb0ES6_jNS0_17counting_iteratorIjlEEPS9_SE_NS0_5tupleIJPjSE_EEENSF_IJSE_SE_EEES9_SG_JZNS1_25segmented_radix_sort_implINS0_14default_configELb1EPKfPfPKlPlN2at6native12_GLOBAL__N_18offset_tEEE10hipError_tPvRmT1_PNSt15iterator_traitsISY_E10value_typeET2_T3_PNSZ_IS14_E10value_typeET4_jRbjT5_S1A_jjP12ihipStream_tbEUljE_EEESV_SW_SX_S14_S18_S1A_T6_T7_T9_mT8_S1C_bDpT10_ENKUlT_T0_E_clISt17integral_constantIbLb1EES1P_EEDaS1K_S1L_EUlS1K_E_NS1_11comp_targetILNS1_3genE4ELNS1_11target_archE910ELNS1_3gpuE8ELNS1_3repE0EEENS1_30default_config_static_selectorELNS0_4arch9wavefront6targetE0EEEvSY_,"axG",@progbits,_ZN7rocprim17ROCPRIM_400000_NS6detail17trampoline_kernelINS0_13select_configILj256ELj13ELNS0_17block_load_methodE3ELS4_3ELS4_3ELNS0_20block_scan_algorithmE0ELj4294967295EEENS1_25partition_config_selectorILNS1_17partition_subalgoE3EjNS0_10empty_typeEbEEZZNS1_14partition_implILS8_3ELb0ES6_jNS0_17counting_iteratorIjlEEPS9_SE_NS0_5tupleIJPjSE_EEENSF_IJSE_SE_EEES9_SG_JZNS1_25segmented_radix_sort_implINS0_14default_configELb1EPKfPfPKlPlN2at6native12_GLOBAL__N_18offset_tEEE10hipError_tPvRmT1_PNSt15iterator_traitsISY_E10value_typeET2_T3_PNSZ_IS14_E10value_typeET4_jRbjT5_S1A_jjP12ihipStream_tbEUljE_EEESV_SW_SX_S14_S18_S1A_T6_T7_T9_mT8_S1C_bDpT10_ENKUlT_T0_E_clISt17integral_constantIbLb1EES1P_EEDaS1K_S1L_EUlS1K_E_NS1_11comp_targetILNS1_3genE4ELNS1_11target_archE910ELNS1_3gpuE8ELNS1_3repE0EEENS1_30default_config_static_selectorELNS0_4arch9wavefront6targetE0EEEvSY_,comdat
	.globl	_ZN7rocprim17ROCPRIM_400000_NS6detail17trampoline_kernelINS0_13select_configILj256ELj13ELNS0_17block_load_methodE3ELS4_3ELS4_3ELNS0_20block_scan_algorithmE0ELj4294967295EEENS1_25partition_config_selectorILNS1_17partition_subalgoE3EjNS0_10empty_typeEbEEZZNS1_14partition_implILS8_3ELb0ES6_jNS0_17counting_iteratorIjlEEPS9_SE_NS0_5tupleIJPjSE_EEENSF_IJSE_SE_EEES9_SG_JZNS1_25segmented_radix_sort_implINS0_14default_configELb1EPKfPfPKlPlN2at6native12_GLOBAL__N_18offset_tEEE10hipError_tPvRmT1_PNSt15iterator_traitsISY_E10value_typeET2_T3_PNSZ_IS14_E10value_typeET4_jRbjT5_S1A_jjP12ihipStream_tbEUljE_EEESV_SW_SX_S14_S18_S1A_T6_T7_T9_mT8_S1C_bDpT10_ENKUlT_T0_E_clISt17integral_constantIbLb1EES1P_EEDaS1K_S1L_EUlS1K_E_NS1_11comp_targetILNS1_3genE4ELNS1_11target_archE910ELNS1_3gpuE8ELNS1_3repE0EEENS1_30default_config_static_selectorELNS0_4arch9wavefront6targetE0EEEvSY_ ; -- Begin function _ZN7rocprim17ROCPRIM_400000_NS6detail17trampoline_kernelINS0_13select_configILj256ELj13ELNS0_17block_load_methodE3ELS4_3ELS4_3ELNS0_20block_scan_algorithmE0ELj4294967295EEENS1_25partition_config_selectorILNS1_17partition_subalgoE3EjNS0_10empty_typeEbEEZZNS1_14partition_implILS8_3ELb0ES6_jNS0_17counting_iteratorIjlEEPS9_SE_NS0_5tupleIJPjSE_EEENSF_IJSE_SE_EEES9_SG_JZNS1_25segmented_radix_sort_implINS0_14default_configELb1EPKfPfPKlPlN2at6native12_GLOBAL__N_18offset_tEEE10hipError_tPvRmT1_PNSt15iterator_traitsISY_E10value_typeET2_T3_PNSZ_IS14_E10value_typeET4_jRbjT5_S1A_jjP12ihipStream_tbEUljE_EEESV_SW_SX_S14_S18_S1A_T6_T7_T9_mT8_S1C_bDpT10_ENKUlT_T0_E_clISt17integral_constantIbLb1EES1P_EEDaS1K_S1L_EUlS1K_E_NS1_11comp_targetILNS1_3genE4ELNS1_11target_archE910ELNS1_3gpuE8ELNS1_3repE0EEENS1_30default_config_static_selectorELNS0_4arch9wavefront6targetE0EEEvSY_
	.p2align	8
	.type	_ZN7rocprim17ROCPRIM_400000_NS6detail17trampoline_kernelINS0_13select_configILj256ELj13ELNS0_17block_load_methodE3ELS4_3ELS4_3ELNS0_20block_scan_algorithmE0ELj4294967295EEENS1_25partition_config_selectorILNS1_17partition_subalgoE3EjNS0_10empty_typeEbEEZZNS1_14partition_implILS8_3ELb0ES6_jNS0_17counting_iteratorIjlEEPS9_SE_NS0_5tupleIJPjSE_EEENSF_IJSE_SE_EEES9_SG_JZNS1_25segmented_radix_sort_implINS0_14default_configELb1EPKfPfPKlPlN2at6native12_GLOBAL__N_18offset_tEEE10hipError_tPvRmT1_PNSt15iterator_traitsISY_E10value_typeET2_T3_PNSZ_IS14_E10value_typeET4_jRbjT5_S1A_jjP12ihipStream_tbEUljE_EEESV_SW_SX_S14_S18_S1A_T6_T7_T9_mT8_S1C_bDpT10_ENKUlT_T0_E_clISt17integral_constantIbLb1EES1P_EEDaS1K_S1L_EUlS1K_E_NS1_11comp_targetILNS1_3genE4ELNS1_11target_archE910ELNS1_3gpuE8ELNS1_3repE0EEENS1_30default_config_static_selectorELNS0_4arch9wavefront6targetE0EEEvSY_,@function
_ZN7rocprim17ROCPRIM_400000_NS6detail17trampoline_kernelINS0_13select_configILj256ELj13ELNS0_17block_load_methodE3ELS4_3ELS4_3ELNS0_20block_scan_algorithmE0ELj4294967295EEENS1_25partition_config_selectorILNS1_17partition_subalgoE3EjNS0_10empty_typeEbEEZZNS1_14partition_implILS8_3ELb0ES6_jNS0_17counting_iteratorIjlEEPS9_SE_NS0_5tupleIJPjSE_EEENSF_IJSE_SE_EEES9_SG_JZNS1_25segmented_radix_sort_implINS0_14default_configELb1EPKfPfPKlPlN2at6native12_GLOBAL__N_18offset_tEEE10hipError_tPvRmT1_PNSt15iterator_traitsISY_E10value_typeET2_T3_PNSZ_IS14_E10value_typeET4_jRbjT5_S1A_jjP12ihipStream_tbEUljE_EEESV_SW_SX_S14_S18_S1A_T6_T7_T9_mT8_S1C_bDpT10_ENKUlT_T0_E_clISt17integral_constantIbLb1EES1P_EEDaS1K_S1L_EUlS1K_E_NS1_11comp_targetILNS1_3genE4ELNS1_11target_archE910ELNS1_3gpuE8ELNS1_3repE0EEENS1_30default_config_static_selectorELNS0_4arch9wavefront6targetE0EEEvSY_: ; @_ZN7rocprim17ROCPRIM_400000_NS6detail17trampoline_kernelINS0_13select_configILj256ELj13ELNS0_17block_load_methodE3ELS4_3ELS4_3ELNS0_20block_scan_algorithmE0ELj4294967295EEENS1_25partition_config_selectorILNS1_17partition_subalgoE3EjNS0_10empty_typeEbEEZZNS1_14partition_implILS8_3ELb0ES6_jNS0_17counting_iteratorIjlEEPS9_SE_NS0_5tupleIJPjSE_EEENSF_IJSE_SE_EEES9_SG_JZNS1_25segmented_radix_sort_implINS0_14default_configELb1EPKfPfPKlPlN2at6native12_GLOBAL__N_18offset_tEEE10hipError_tPvRmT1_PNSt15iterator_traitsISY_E10value_typeET2_T3_PNSZ_IS14_E10value_typeET4_jRbjT5_S1A_jjP12ihipStream_tbEUljE_EEESV_SW_SX_S14_S18_S1A_T6_T7_T9_mT8_S1C_bDpT10_ENKUlT_T0_E_clISt17integral_constantIbLb1EES1P_EEDaS1K_S1L_EUlS1K_E_NS1_11comp_targetILNS1_3genE4ELNS1_11target_archE910ELNS1_3gpuE8ELNS1_3repE0EEENS1_30default_config_static_selectorELNS0_4arch9wavefront6targetE0EEEvSY_
; %bb.0:
	.section	.rodata,"a",@progbits
	.p2align	6, 0x0
	.amdhsa_kernel _ZN7rocprim17ROCPRIM_400000_NS6detail17trampoline_kernelINS0_13select_configILj256ELj13ELNS0_17block_load_methodE3ELS4_3ELS4_3ELNS0_20block_scan_algorithmE0ELj4294967295EEENS1_25partition_config_selectorILNS1_17partition_subalgoE3EjNS0_10empty_typeEbEEZZNS1_14partition_implILS8_3ELb0ES6_jNS0_17counting_iteratorIjlEEPS9_SE_NS0_5tupleIJPjSE_EEENSF_IJSE_SE_EEES9_SG_JZNS1_25segmented_radix_sort_implINS0_14default_configELb1EPKfPfPKlPlN2at6native12_GLOBAL__N_18offset_tEEE10hipError_tPvRmT1_PNSt15iterator_traitsISY_E10value_typeET2_T3_PNSZ_IS14_E10value_typeET4_jRbjT5_S1A_jjP12ihipStream_tbEUljE_EEESV_SW_SX_S14_S18_S1A_T6_T7_T9_mT8_S1C_bDpT10_ENKUlT_T0_E_clISt17integral_constantIbLb1EES1P_EEDaS1K_S1L_EUlS1K_E_NS1_11comp_targetILNS1_3genE4ELNS1_11target_archE910ELNS1_3gpuE8ELNS1_3repE0EEENS1_30default_config_static_selectorELNS0_4arch9wavefront6targetE0EEEvSY_
		.amdhsa_group_segment_fixed_size 0
		.amdhsa_private_segment_fixed_size 0
		.amdhsa_kernarg_size 152
		.amdhsa_user_sgpr_count 6
		.amdhsa_user_sgpr_private_segment_buffer 1
		.amdhsa_user_sgpr_dispatch_ptr 0
		.amdhsa_user_sgpr_queue_ptr 0
		.amdhsa_user_sgpr_kernarg_segment_ptr 1
		.amdhsa_user_sgpr_dispatch_id 0
		.amdhsa_user_sgpr_flat_scratch_init 0
		.amdhsa_user_sgpr_private_segment_size 0
		.amdhsa_wavefront_size32 1
		.amdhsa_uses_dynamic_stack 0
		.amdhsa_system_sgpr_private_segment_wavefront_offset 0
		.amdhsa_system_sgpr_workgroup_id_x 1
		.amdhsa_system_sgpr_workgroup_id_y 0
		.amdhsa_system_sgpr_workgroup_id_z 0
		.amdhsa_system_sgpr_workgroup_info 0
		.amdhsa_system_vgpr_workitem_id 0
		.amdhsa_next_free_vgpr 1
		.amdhsa_next_free_sgpr 1
		.amdhsa_reserve_vcc 0
		.amdhsa_reserve_flat_scratch 0
		.amdhsa_float_round_mode_32 0
		.amdhsa_float_round_mode_16_64 0
		.amdhsa_float_denorm_mode_32 3
		.amdhsa_float_denorm_mode_16_64 3
		.amdhsa_dx10_clamp 1
		.amdhsa_ieee_mode 1
		.amdhsa_fp16_overflow 0
		.amdhsa_workgroup_processor_mode 1
		.amdhsa_memory_ordered 1
		.amdhsa_forward_progress 1
		.amdhsa_shared_vgpr_count 0
		.amdhsa_exception_fp_ieee_invalid_op 0
		.amdhsa_exception_fp_denorm_src 0
		.amdhsa_exception_fp_ieee_div_zero 0
		.amdhsa_exception_fp_ieee_overflow 0
		.amdhsa_exception_fp_ieee_underflow 0
		.amdhsa_exception_fp_ieee_inexact 0
		.amdhsa_exception_int_div_zero 0
	.end_amdhsa_kernel
	.section	.text._ZN7rocprim17ROCPRIM_400000_NS6detail17trampoline_kernelINS0_13select_configILj256ELj13ELNS0_17block_load_methodE3ELS4_3ELS4_3ELNS0_20block_scan_algorithmE0ELj4294967295EEENS1_25partition_config_selectorILNS1_17partition_subalgoE3EjNS0_10empty_typeEbEEZZNS1_14partition_implILS8_3ELb0ES6_jNS0_17counting_iteratorIjlEEPS9_SE_NS0_5tupleIJPjSE_EEENSF_IJSE_SE_EEES9_SG_JZNS1_25segmented_radix_sort_implINS0_14default_configELb1EPKfPfPKlPlN2at6native12_GLOBAL__N_18offset_tEEE10hipError_tPvRmT1_PNSt15iterator_traitsISY_E10value_typeET2_T3_PNSZ_IS14_E10value_typeET4_jRbjT5_S1A_jjP12ihipStream_tbEUljE_EEESV_SW_SX_S14_S18_S1A_T6_T7_T9_mT8_S1C_bDpT10_ENKUlT_T0_E_clISt17integral_constantIbLb1EES1P_EEDaS1K_S1L_EUlS1K_E_NS1_11comp_targetILNS1_3genE4ELNS1_11target_archE910ELNS1_3gpuE8ELNS1_3repE0EEENS1_30default_config_static_selectorELNS0_4arch9wavefront6targetE0EEEvSY_,"axG",@progbits,_ZN7rocprim17ROCPRIM_400000_NS6detail17trampoline_kernelINS0_13select_configILj256ELj13ELNS0_17block_load_methodE3ELS4_3ELS4_3ELNS0_20block_scan_algorithmE0ELj4294967295EEENS1_25partition_config_selectorILNS1_17partition_subalgoE3EjNS0_10empty_typeEbEEZZNS1_14partition_implILS8_3ELb0ES6_jNS0_17counting_iteratorIjlEEPS9_SE_NS0_5tupleIJPjSE_EEENSF_IJSE_SE_EEES9_SG_JZNS1_25segmented_radix_sort_implINS0_14default_configELb1EPKfPfPKlPlN2at6native12_GLOBAL__N_18offset_tEEE10hipError_tPvRmT1_PNSt15iterator_traitsISY_E10value_typeET2_T3_PNSZ_IS14_E10value_typeET4_jRbjT5_S1A_jjP12ihipStream_tbEUljE_EEESV_SW_SX_S14_S18_S1A_T6_T7_T9_mT8_S1C_bDpT10_ENKUlT_T0_E_clISt17integral_constantIbLb1EES1P_EEDaS1K_S1L_EUlS1K_E_NS1_11comp_targetILNS1_3genE4ELNS1_11target_archE910ELNS1_3gpuE8ELNS1_3repE0EEENS1_30default_config_static_selectorELNS0_4arch9wavefront6targetE0EEEvSY_,comdat
.Lfunc_end1295:
	.size	_ZN7rocprim17ROCPRIM_400000_NS6detail17trampoline_kernelINS0_13select_configILj256ELj13ELNS0_17block_load_methodE3ELS4_3ELS4_3ELNS0_20block_scan_algorithmE0ELj4294967295EEENS1_25partition_config_selectorILNS1_17partition_subalgoE3EjNS0_10empty_typeEbEEZZNS1_14partition_implILS8_3ELb0ES6_jNS0_17counting_iteratorIjlEEPS9_SE_NS0_5tupleIJPjSE_EEENSF_IJSE_SE_EEES9_SG_JZNS1_25segmented_radix_sort_implINS0_14default_configELb1EPKfPfPKlPlN2at6native12_GLOBAL__N_18offset_tEEE10hipError_tPvRmT1_PNSt15iterator_traitsISY_E10value_typeET2_T3_PNSZ_IS14_E10value_typeET4_jRbjT5_S1A_jjP12ihipStream_tbEUljE_EEESV_SW_SX_S14_S18_S1A_T6_T7_T9_mT8_S1C_bDpT10_ENKUlT_T0_E_clISt17integral_constantIbLb1EES1P_EEDaS1K_S1L_EUlS1K_E_NS1_11comp_targetILNS1_3genE4ELNS1_11target_archE910ELNS1_3gpuE8ELNS1_3repE0EEENS1_30default_config_static_selectorELNS0_4arch9wavefront6targetE0EEEvSY_, .Lfunc_end1295-_ZN7rocprim17ROCPRIM_400000_NS6detail17trampoline_kernelINS0_13select_configILj256ELj13ELNS0_17block_load_methodE3ELS4_3ELS4_3ELNS0_20block_scan_algorithmE0ELj4294967295EEENS1_25partition_config_selectorILNS1_17partition_subalgoE3EjNS0_10empty_typeEbEEZZNS1_14partition_implILS8_3ELb0ES6_jNS0_17counting_iteratorIjlEEPS9_SE_NS0_5tupleIJPjSE_EEENSF_IJSE_SE_EEES9_SG_JZNS1_25segmented_radix_sort_implINS0_14default_configELb1EPKfPfPKlPlN2at6native12_GLOBAL__N_18offset_tEEE10hipError_tPvRmT1_PNSt15iterator_traitsISY_E10value_typeET2_T3_PNSZ_IS14_E10value_typeET4_jRbjT5_S1A_jjP12ihipStream_tbEUljE_EEESV_SW_SX_S14_S18_S1A_T6_T7_T9_mT8_S1C_bDpT10_ENKUlT_T0_E_clISt17integral_constantIbLb1EES1P_EEDaS1K_S1L_EUlS1K_E_NS1_11comp_targetILNS1_3genE4ELNS1_11target_archE910ELNS1_3gpuE8ELNS1_3repE0EEENS1_30default_config_static_selectorELNS0_4arch9wavefront6targetE0EEEvSY_
                                        ; -- End function
	.set _ZN7rocprim17ROCPRIM_400000_NS6detail17trampoline_kernelINS0_13select_configILj256ELj13ELNS0_17block_load_methodE3ELS4_3ELS4_3ELNS0_20block_scan_algorithmE0ELj4294967295EEENS1_25partition_config_selectorILNS1_17partition_subalgoE3EjNS0_10empty_typeEbEEZZNS1_14partition_implILS8_3ELb0ES6_jNS0_17counting_iteratorIjlEEPS9_SE_NS0_5tupleIJPjSE_EEENSF_IJSE_SE_EEES9_SG_JZNS1_25segmented_radix_sort_implINS0_14default_configELb1EPKfPfPKlPlN2at6native12_GLOBAL__N_18offset_tEEE10hipError_tPvRmT1_PNSt15iterator_traitsISY_E10value_typeET2_T3_PNSZ_IS14_E10value_typeET4_jRbjT5_S1A_jjP12ihipStream_tbEUljE_EEESV_SW_SX_S14_S18_S1A_T6_T7_T9_mT8_S1C_bDpT10_ENKUlT_T0_E_clISt17integral_constantIbLb1EES1P_EEDaS1K_S1L_EUlS1K_E_NS1_11comp_targetILNS1_3genE4ELNS1_11target_archE910ELNS1_3gpuE8ELNS1_3repE0EEENS1_30default_config_static_selectorELNS0_4arch9wavefront6targetE0EEEvSY_.num_vgpr, 0
	.set _ZN7rocprim17ROCPRIM_400000_NS6detail17trampoline_kernelINS0_13select_configILj256ELj13ELNS0_17block_load_methodE3ELS4_3ELS4_3ELNS0_20block_scan_algorithmE0ELj4294967295EEENS1_25partition_config_selectorILNS1_17partition_subalgoE3EjNS0_10empty_typeEbEEZZNS1_14partition_implILS8_3ELb0ES6_jNS0_17counting_iteratorIjlEEPS9_SE_NS0_5tupleIJPjSE_EEENSF_IJSE_SE_EEES9_SG_JZNS1_25segmented_radix_sort_implINS0_14default_configELb1EPKfPfPKlPlN2at6native12_GLOBAL__N_18offset_tEEE10hipError_tPvRmT1_PNSt15iterator_traitsISY_E10value_typeET2_T3_PNSZ_IS14_E10value_typeET4_jRbjT5_S1A_jjP12ihipStream_tbEUljE_EEESV_SW_SX_S14_S18_S1A_T6_T7_T9_mT8_S1C_bDpT10_ENKUlT_T0_E_clISt17integral_constantIbLb1EES1P_EEDaS1K_S1L_EUlS1K_E_NS1_11comp_targetILNS1_3genE4ELNS1_11target_archE910ELNS1_3gpuE8ELNS1_3repE0EEENS1_30default_config_static_selectorELNS0_4arch9wavefront6targetE0EEEvSY_.num_agpr, 0
	.set _ZN7rocprim17ROCPRIM_400000_NS6detail17trampoline_kernelINS0_13select_configILj256ELj13ELNS0_17block_load_methodE3ELS4_3ELS4_3ELNS0_20block_scan_algorithmE0ELj4294967295EEENS1_25partition_config_selectorILNS1_17partition_subalgoE3EjNS0_10empty_typeEbEEZZNS1_14partition_implILS8_3ELb0ES6_jNS0_17counting_iteratorIjlEEPS9_SE_NS0_5tupleIJPjSE_EEENSF_IJSE_SE_EEES9_SG_JZNS1_25segmented_radix_sort_implINS0_14default_configELb1EPKfPfPKlPlN2at6native12_GLOBAL__N_18offset_tEEE10hipError_tPvRmT1_PNSt15iterator_traitsISY_E10value_typeET2_T3_PNSZ_IS14_E10value_typeET4_jRbjT5_S1A_jjP12ihipStream_tbEUljE_EEESV_SW_SX_S14_S18_S1A_T6_T7_T9_mT8_S1C_bDpT10_ENKUlT_T0_E_clISt17integral_constantIbLb1EES1P_EEDaS1K_S1L_EUlS1K_E_NS1_11comp_targetILNS1_3genE4ELNS1_11target_archE910ELNS1_3gpuE8ELNS1_3repE0EEENS1_30default_config_static_selectorELNS0_4arch9wavefront6targetE0EEEvSY_.numbered_sgpr, 0
	.set _ZN7rocprim17ROCPRIM_400000_NS6detail17trampoline_kernelINS0_13select_configILj256ELj13ELNS0_17block_load_methodE3ELS4_3ELS4_3ELNS0_20block_scan_algorithmE0ELj4294967295EEENS1_25partition_config_selectorILNS1_17partition_subalgoE3EjNS0_10empty_typeEbEEZZNS1_14partition_implILS8_3ELb0ES6_jNS0_17counting_iteratorIjlEEPS9_SE_NS0_5tupleIJPjSE_EEENSF_IJSE_SE_EEES9_SG_JZNS1_25segmented_radix_sort_implINS0_14default_configELb1EPKfPfPKlPlN2at6native12_GLOBAL__N_18offset_tEEE10hipError_tPvRmT1_PNSt15iterator_traitsISY_E10value_typeET2_T3_PNSZ_IS14_E10value_typeET4_jRbjT5_S1A_jjP12ihipStream_tbEUljE_EEESV_SW_SX_S14_S18_S1A_T6_T7_T9_mT8_S1C_bDpT10_ENKUlT_T0_E_clISt17integral_constantIbLb1EES1P_EEDaS1K_S1L_EUlS1K_E_NS1_11comp_targetILNS1_3genE4ELNS1_11target_archE910ELNS1_3gpuE8ELNS1_3repE0EEENS1_30default_config_static_selectorELNS0_4arch9wavefront6targetE0EEEvSY_.num_named_barrier, 0
	.set _ZN7rocprim17ROCPRIM_400000_NS6detail17trampoline_kernelINS0_13select_configILj256ELj13ELNS0_17block_load_methodE3ELS4_3ELS4_3ELNS0_20block_scan_algorithmE0ELj4294967295EEENS1_25partition_config_selectorILNS1_17partition_subalgoE3EjNS0_10empty_typeEbEEZZNS1_14partition_implILS8_3ELb0ES6_jNS0_17counting_iteratorIjlEEPS9_SE_NS0_5tupleIJPjSE_EEENSF_IJSE_SE_EEES9_SG_JZNS1_25segmented_radix_sort_implINS0_14default_configELb1EPKfPfPKlPlN2at6native12_GLOBAL__N_18offset_tEEE10hipError_tPvRmT1_PNSt15iterator_traitsISY_E10value_typeET2_T3_PNSZ_IS14_E10value_typeET4_jRbjT5_S1A_jjP12ihipStream_tbEUljE_EEESV_SW_SX_S14_S18_S1A_T6_T7_T9_mT8_S1C_bDpT10_ENKUlT_T0_E_clISt17integral_constantIbLb1EES1P_EEDaS1K_S1L_EUlS1K_E_NS1_11comp_targetILNS1_3genE4ELNS1_11target_archE910ELNS1_3gpuE8ELNS1_3repE0EEENS1_30default_config_static_selectorELNS0_4arch9wavefront6targetE0EEEvSY_.private_seg_size, 0
	.set _ZN7rocprim17ROCPRIM_400000_NS6detail17trampoline_kernelINS0_13select_configILj256ELj13ELNS0_17block_load_methodE3ELS4_3ELS4_3ELNS0_20block_scan_algorithmE0ELj4294967295EEENS1_25partition_config_selectorILNS1_17partition_subalgoE3EjNS0_10empty_typeEbEEZZNS1_14partition_implILS8_3ELb0ES6_jNS0_17counting_iteratorIjlEEPS9_SE_NS0_5tupleIJPjSE_EEENSF_IJSE_SE_EEES9_SG_JZNS1_25segmented_radix_sort_implINS0_14default_configELb1EPKfPfPKlPlN2at6native12_GLOBAL__N_18offset_tEEE10hipError_tPvRmT1_PNSt15iterator_traitsISY_E10value_typeET2_T3_PNSZ_IS14_E10value_typeET4_jRbjT5_S1A_jjP12ihipStream_tbEUljE_EEESV_SW_SX_S14_S18_S1A_T6_T7_T9_mT8_S1C_bDpT10_ENKUlT_T0_E_clISt17integral_constantIbLb1EES1P_EEDaS1K_S1L_EUlS1K_E_NS1_11comp_targetILNS1_3genE4ELNS1_11target_archE910ELNS1_3gpuE8ELNS1_3repE0EEENS1_30default_config_static_selectorELNS0_4arch9wavefront6targetE0EEEvSY_.uses_vcc, 0
	.set _ZN7rocprim17ROCPRIM_400000_NS6detail17trampoline_kernelINS0_13select_configILj256ELj13ELNS0_17block_load_methodE3ELS4_3ELS4_3ELNS0_20block_scan_algorithmE0ELj4294967295EEENS1_25partition_config_selectorILNS1_17partition_subalgoE3EjNS0_10empty_typeEbEEZZNS1_14partition_implILS8_3ELb0ES6_jNS0_17counting_iteratorIjlEEPS9_SE_NS0_5tupleIJPjSE_EEENSF_IJSE_SE_EEES9_SG_JZNS1_25segmented_radix_sort_implINS0_14default_configELb1EPKfPfPKlPlN2at6native12_GLOBAL__N_18offset_tEEE10hipError_tPvRmT1_PNSt15iterator_traitsISY_E10value_typeET2_T3_PNSZ_IS14_E10value_typeET4_jRbjT5_S1A_jjP12ihipStream_tbEUljE_EEESV_SW_SX_S14_S18_S1A_T6_T7_T9_mT8_S1C_bDpT10_ENKUlT_T0_E_clISt17integral_constantIbLb1EES1P_EEDaS1K_S1L_EUlS1K_E_NS1_11comp_targetILNS1_3genE4ELNS1_11target_archE910ELNS1_3gpuE8ELNS1_3repE0EEENS1_30default_config_static_selectorELNS0_4arch9wavefront6targetE0EEEvSY_.uses_flat_scratch, 0
	.set _ZN7rocprim17ROCPRIM_400000_NS6detail17trampoline_kernelINS0_13select_configILj256ELj13ELNS0_17block_load_methodE3ELS4_3ELS4_3ELNS0_20block_scan_algorithmE0ELj4294967295EEENS1_25partition_config_selectorILNS1_17partition_subalgoE3EjNS0_10empty_typeEbEEZZNS1_14partition_implILS8_3ELb0ES6_jNS0_17counting_iteratorIjlEEPS9_SE_NS0_5tupleIJPjSE_EEENSF_IJSE_SE_EEES9_SG_JZNS1_25segmented_radix_sort_implINS0_14default_configELb1EPKfPfPKlPlN2at6native12_GLOBAL__N_18offset_tEEE10hipError_tPvRmT1_PNSt15iterator_traitsISY_E10value_typeET2_T3_PNSZ_IS14_E10value_typeET4_jRbjT5_S1A_jjP12ihipStream_tbEUljE_EEESV_SW_SX_S14_S18_S1A_T6_T7_T9_mT8_S1C_bDpT10_ENKUlT_T0_E_clISt17integral_constantIbLb1EES1P_EEDaS1K_S1L_EUlS1K_E_NS1_11comp_targetILNS1_3genE4ELNS1_11target_archE910ELNS1_3gpuE8ELNS1_3repE0EEENS1_30default_config_static_selectorELNS0_4arch9wavefront6targetE0EEEvSY_.has_dyn_sized_stack, 0
	.set _ZN7rocprim17ROCPRIM_400000_NS6detail17trampoline_kernelINS0_13select_configILj256ELj13ELNS0_17block_load_methodE3ELS4_3ELS4_3ELNS0_20block_scan_algorithmE0ELj4294967295EEENS1_25partition_config_selectorILNS1_17partition_subalgoE3EjNS0_10empty_typeEbEEZZNS1_14partition_implILS8_3ELb0ES6_jNS0_17counting_iteratorIjlEEPS9_SE_NS0_5tupleIJPjSE_EEENSF_IJSE_SE_EEES9_SG_JZNS1_25segmented_radix_sort_implINS0_14default_configELb1EPKfPfPKlPlN2at6native12_GLOBAL__N_18offset_tEEE10hipError_tPvRmT1_PNSt15iterator_traitsISY_E10value_typeET2_T3_PNSZ_IS14_E10value_typeET4_jRbjT5_S1A_jjP12ihipStream_tbEUljE_EEESV_SW_SX_S14_S18_S1A_T6_T7_T9_mT8_S1C_bDpT10_ENKUlT_T0_E_clISt17integral_constantIbLb1EES1P_EEDaS1K_S1L_EUlS1K_E_NS1_11comp_targetILNS1_3genE4ELNS1_11target_archE910ELNS1_3gpuE8ELNS1_3repE0EEENS1_30default_config_static_selectorELNS0_4arch9wavefront6targetE0EEEvSY_.has_recursion, 0
	.set _ZN7rocprim17ROCPRIM_400000_NS6detail17trampoline_kernelINS0_13select_configILj256ELj13ELNS0_17block_load_methodE3ELS4_3ELS4_3ELNS0_20block_scan_algorithmE0ELj4294967295EEENS1_25partition_config_selectorILNS1_17partition_subalgoE3EjNS0_10empty_typeEbEEZZNS1_14partition_implILS8_3ELb0ES6_jNS0_17counting_iteratorIjlEEPS9_SE_NS0_5tupleIJPjSE_EEENSF_IJSE_SE_EEES9_SG_JZNS1_25segmented_radix_sort_implINS0_14default_configELb1EPKfPfPKlPlN2at6native12_GLOBAL__N_18offset_tEEE10hipError_tPvRmT1_PNSt15iterator_traitsISY_E10value_typeET2_T3_PNSZ_IS14_E10value_typeET4_jRbjT5_S1A_jjP12ihipStream_tbEUljE_EEESV_SW_SX_S14_S18_S1A_T6_T7_T9_mT8_S1C_bDpT10_ENKUlT_T0_E_clISt17integral_constantIbLb1EES1P_EEDaS1K_S1L_EUlS1K_E_NS1_11comp_targetILNS1_3genE4ELNS1_11target_archE910ELNS1_3gpuE8ELNS1_3repE0EEENS1_30default_config_static_selectorELNS0_4arch9wavefront6targetE0EEEvSY_.has_indirect_call, 0
	.section	.AMDGPU.csdata,"",@progbits
; Kernel info:
; codeLenInByte = 0
; TotalNumSgprs: 0
; NumVgprs: 0
; ScratchSize: 0
; MemoryBound: 0
; FloatMode: 240
; IeeeMode: 1
; LDSByteSize: 0 bytes/workgroup (compile time only)
; SGPRBlocks: 0
; VGPRBlocks: 0
; NumSGPRsForWavesPerEU: 1
; NumVGPRsForWavesPerEU: 1
; Occupancy: 16
; WaveLimiterHint : 0
; COMPUTE_PGM_RSRC2:SCRATCH_EN: 0
; COMPUTE_PGM_RSRC2:USER_SGPR: 6
; COMPUTE_PGM_RSRC2:TRAP_HANDLER: 0
; COMPUTE_PGM_RSRC2:TGID_X_EN: 1
; COMPUTE_PGM_RSRC2:TGID_Y_EN: 0
; COMPUTE_PGM_RSRC2:TGID_Z_EN: 0
; COMPUTE_PGM_RSRC2:TIDIG_COMP_CNT: 0
	.section	.text._ZN7rocprim17ROCPRIM_400000_NS6detail17trampoline_kernelINS0_13select_configILj256ELj13ELNS0_17block_load_methodE3ELS4_3ELS4_3ELNS0_20block_scan_algorithmE0ELj4294967295EEENS1_25partition_config_selectorILNS1_17partition_subalgoE3EjNS0_10empty_typeEbEEZZNS1_14partition_implILS8_3ELb0ES6_jNS0_17counting_iteratorIjlEEPS9_SE_NS0_5tupleIJPjSE_EEENSF_IJSE_SE_EEES9_SG_JZNS1_25segmented_radix_sort_implINS0_14default_configELb1EPKfPfPKlPlN2at6native12_GLOBAL__N_18offset_tEEE10hipError_tPvRmT1_PNSt15iterator_traitsISY_E10value_typeET2_T3_PNSZ_IS14_E10value_typeET4_jRbjT5_S1A_jjP12ihipStream_tbEUljE_EEESV_SW_SX_S14_S18_S1A_T6_T7_T9_mT8_S1C_bDpT10_ENKUlT_T0_E_clISt17integral_constantIbLb1EES1P_EEDaS1K_S1L_EUlS1K_E_NS1_11comp_targetILNS1_3genE3ELNS1_11target_archE908ELNS1_3gpuE7ELNS1_3repE0EEENS1_30default_config_static_selectorELNS0_4arch9wavefront6targetE0EEEvSY_,"axG",@progbits,_ZN7rocprim17ROCPRIM_400000_NS6detail17trampoline_kernelINS0_13select_configILj256ELj13ELNS0_17block_load_methodE3ELS4_3ELS4_3ELNS0_20block_scan_algorithmE0ELj4294967295EEENS1_25partition_config_selectorILNS1_17partition_subalgoE3EjNS0_10empty_typeEbEEZZNS1_14partition_implILS8_3ELb0ES6_jNS0_17counting_iteratorIjlEEPS9_SE_NS0_5tupleIJPjSE_EEENSF_IJSE_SE_EEES9_SG_JZNS1_25segmented_radix_sort_implINS0_14default_configELb1EPKfPfPKlPlN2at6native12_GLOBAL__N_18offset_tEEE10hipError_tPvRmT1_PNSt15iterator_traitsISY_E10value_typeET2_T3_PNSZ_IS14_E10value_typeET4_jRbjT5_S1A_jjP12ihipStream_tbEUljE_EEESV_SW_SX_S14_S18_S1A_T6_T7_T9_mT8_S1C_bDpT10_ENKUlT_T0_E_clISt17integral_constantIbLb1EES1P_EEDaS1K_S1L_EUlS1K_E_NS1_11comp_targetILNS1_3genE3ELNS1_11target_archE908ELNS1_3gpuE7ELNS1_3repE0EEENS1_30default_config_static_selectorELNS0_4arch9wavefront6targetE0EEEvSY_,comdat
	.globl	_ZN7rocprim17ROCPRIM_400000_NS6detail17trampoline_kernelINS0_13select_configILj256ELj13ELNS0_17block_load_methodE3ELS4_3ELS4_3ELNS0_20block_scan_algorithmE0ELj4294967295EEENS1_25partition_config_selectorILNS1_17partition_subalgoE3EjNS0_10empty_typeEbEEZZNS1_14partition_implILS8_3ELb0ES6_jNS0_17counting_iteratorIjlEEPS9_SE_NS0_5tupleIJPjSE_EEENSF_IJSE_SE_EEES9_SG_JZNS1_25segmented_radix_sort_implINS0_14default_configELb1EPKfPfPKlPlN2at6native12_GLOBAL__N_18offset_tEEE10hipError_tPvRmT1_PNSt15iterator_traitsISY_E10value_typeET2_T3_PNSZ_IS14_E10value_typeET4_jRbjT5_S1A_jjP12ihipStream_tbEUljE_EEESV_SW_SX_S14_S18_S1A_T6_T7_T9_mT8_S1C_bDpT10_ENKUlT_T0_E_clISt17integral_constantIbLb1EES1P_EEDaS1K_S1L_EUlS1K_E_NS1_11comp_targetILNS1_3genE3ELNS1_11target_archE908ELNS1_3gpuE7ELNS1_3repE0EEENS1_30default_config_static_selectorELNS0_4arch9wavefront6targetE0EEEvSY_ ; -- Begin function _ZN7rocprim17ROCPRIM_400000_NS6detail17trampoline_kernelINS0_13select_configILj256ELj13ELNS0_17block_load_methodE3ELS4_3ELS4_3ELNS0_20block_scan_algorithmE0ELj4294967295EEENS1_25partition_config_selectorILNS1_17partition_subalgoE3EjNS0_10empty_typeEbEEZZNS1_14partition_implILS8_3ELb0ES6_jNS0_17counting_iteratorIjlEEPS9_SE_NS0_5tupleIJPjSE_EEENSF_IJSE_SE_EEES9_SG_JZNS1_25segmented_radix_sort_implINS0_14default_configELb1EPKfPfPKlPlN2at6native12_GLOBAL__N_18offset_tEEE10hipError_tPvRmT1_PNSt15iterator_traitsISY_E10value_typeET2_T3_PNSZ_IS14_E10value_typeET4_jRbjT5_S1A_jjP12ihipStream_tbEUljE_EEESV_SW_SX_S14_S18_S1A_T6_T7_T9_mT8_S1C_bDpT10_ENKUlT_T0_E_clISt17integral_constantIbLb1EES1P_EEDaS1K_S1L_EUlS1K_E_NS1_11comp_targetILNS1_3genE3ELNS1_11target_archE908ELNS1_3gpuE7ELNS1_3repE0EEENS1_30default_config_static_selectorELNS0_4arch9wavefront6targetE0EEEvSY_
	.p2align	8
	.type	_ZN7rocprim17ROCPRIM_400000_NS6detail17trampoline_kernelINS0_13select_configILj256ELj13ELNS0_17block_load_methodE3ELS4_3ELS4_3ELNS0_20block_scan_algorithmE0ELj4294967295EEENS1_25partition_config_selectorILNS1_17partition_subalgoE3EjNS0_10empty_typeEbEEZZNS1_14partition_implILS8_3ELb0ES6_jNS0_17counting_iteratorIjlEEPS9_SE_NS0_5tupleIJPjSE_EEENSF_IJSE_SE_EEES9_SG_JZNS1_25segmented_radix_sort_implINS0_14default_configELb1EPKfPfPKlPlN2at6native12_GLOBAL__N_18offset_tEEE10hipError_tPvRmT1_PNSt15iterator_traitsISY_E10value_typeET2_T3_PNSZ_IS14_E10value_typeET4_jRbjT5_S1A_jjP12ihipStream_tbEUljE_EEESV_SW_SX_S14_S18_S1A_T6_T7_T9_mT8_S1C_bDpT10_ENKUlT_T0_E_clISt17integral_constantIbLb1EES1P_EEDaS1K_S1L_EUlS1K_E_NS1_11comp_targetILNS1_3genE3ELNS1_11target_archE908ELNS1_3gpuE7ELNS1_3repE0EEENS1_30default_config_static_selectorELNS0_4arch9wavefront6targetE0EEEvSY_,@function
_ZN7rocprim17ROCPRIM_400000_NS6detail17trampoline_kernelINS0_13select_configILj256ELj13ELNS0_17block_load_methodE3ELS4_3ELS4_3ELNS0_20block_scan_algorithmE0ELj4294967295EEENS1_25partition_config_selectorILNS1_17partition_subalgoE3EjNS0_10empty_typeEbEEZZNS1_14partition_implILS8_3ELb0ES6_jNS0_17counting_iteratorIjlEEPS9_SE_NS0_5tupleIJPjSE_EEENSF_IJSE_SE_EEES9_SG_JZNS1_25segmented_radix_sort_implINS0_14default_configELb1EPKfPfPKlPlN2at6native12_GLOBAL__N_18offset_tEEE10hipError_tPvRmT1_PNSt15iterator_traitsISY_E10value_typeET2_T3_PNSZ_IS14_E10value_typeET4_jRbjT5_S1A_jjP12ihipStream_tbEUljE_EEESV_SW_SX_S14_S18_S1A_T6_T7_T9_mT8_S1C_bDpT10_ENKUlT_T0_E_clISt17integral_constantIbLb1EES1P_EEDaS1K_S1L_EUlS1K_E_NS1_11comp_targetILNS1_3genE3ELNS1_11target_archE908ELNS1_3gpuE7ELNS1_3repE0EEENS1_30default_config_static_selectorELNS0_4arch9wavefront6targetE0EEEvSY_: ; @_ZN7rocprim17ROCPRIM_400000_NS6detail17trampoline_kernelINS0_13select_configILj256ELj13ELNS0_17block_load_methodE3ELS4_3ELS4_3ELNS0_20block_scan_algorithmE0ELj4294967295EEENS1_25partition_config_selectorILNS1_17partition_subalgoE3EjNS0_10empty_typeEbEEZZNS1_14partition_implILS8_3ELb0ES6_jNS0_17counting_iteratorIjlEEPS9_SE_NS0_5tupleIJPjSE_EEENSF_IJSE_SE_EEES9_SG_JZNS1_25segmented_radix_sort_implINS0_14default_configELb1EPKfPfPKlPlN2at6native12_GLOBAL__N_18offset_tEEE10hipError_tPvRmT1_PNSt15iterator_traitsISY_E10value_typeET2_T3_PNSZ_IS14_E10value_typeET4_jRbjT5_S1A_jjP12ihipStream_tbEUljE_EEESV_SW_SX_S14_S18_S1A_T6_T7_T9_mT8_S1C_bDpT10_ENKUlT_T0_E_clISt17integral_constantIbLb1EES1P_EEDaS1K_S1L_EUlS1K_E_NS1_11comp_targetILNS1_3genE3ELNS1_11target_archE908ELNS1_3gpuE7ELNS1_3repE0EEENS1_30default_config_static_selectorELNS0_4arch9wavefront6targetE0EEEvSY_
; %bb.0:
	.section	.rodata,"a",@progbits
	.p2align	6, 0x0
	.amdhsa_kernel _ZN7rocprim17ROCPRIM_400000_NS6detail17trampoline_kernelINS0_13select_configILj256ELj13ELNS0_17block_load_methodE3ELS4_3ELS4_3ELNS0_20block_scan_algorithmE0ELj4294967295EEENS1_25partition_config_selectorILNS1_17partition_subalgoE3EjNS0_10empty_typeEbEEZZNS1_14partition_implILS8_3ELb0ES6_jNS0_17counting_iteratorIjlEEPS9_SE_NS0_5tupleIJPjSE_EEENSF_IJSE_SE_EEES9_SG_JZNS1_25segmented_radix_sort_implINS0_14default_configELb1EPKfPfPKlPlN2at6native12_GLOBAL__N_18offset_tEEE10hipError_tPvRmT1_PNSt15iterator_traitsISY_E10value_typeET2_T3_PNSZ_IS14_E10value_typeET4_jRbjT5_S1A_jjP12ihipStream_tbEUljE_EEESV_SW_SX_S14_S18_S1A_T6_T7_T9_mT8_S1C_bDpT10_ENKUlT_T0_E_clISt17integral_constantIbLb1EES1P_EEDaS1K_S1L_EUlS1K_E_NS1_11comp_targetILNS1_3genE3ELNS1_11target_archE908ELNS1_3gpuE7ELNS1_3repE0EEENS1_30default_config_static_selectorELNS0_4arch9wavefront6targetE0EEEvSY_
		.amdhsa_group_segment_fixed_size 0
		.amdhsa_private_segment_fixed_size 0
		.amdhsa_kernarg_size 152
		.amdhsa_user_sgpr_count 6
		.amdhsa_user_sgpr_private_segment_buffer 1
		.amdhsa_user_sgpr_dispatch_ptr 0
		.amdhsa_user_sgpr_queue_ptr 0
		.amdhsa_user_sgpr_kernarg_segment_ptr 1
		.amdhsa_user_sgpr_dispatch_id 0
		.amdhsa_user_sgpr_flat_scratch_init 0
		.amdhsa_user_sgpr_private_segment_size 0
		.amdhsa_wavefront_size32 1
		.amdhsa_uses_dynamic_stack 0
		.amdhsa_system_sgpr_private_segment_wavefront_offset 0
		.amdhsa_system_sgpr_workgroup_id_x 1
		.amdhsa_system_sgpr_workgroup_id_y 0
		.amdhsa_system_sgpr_workgroup_id_z 0
		.amdhsa_system_sgpr_workgroup_info 0
		.amdhsa_system_vgpr_workitem_id 0
		.amdhsa_next_free_vgpr 1
		.amdhsa_next_free_sgpr 1
		.amdhsa_reserve_vcc 0
		.amdhsa_reserve_flat_scratch 0
		.amdhsa_float_round_mode_32 0
		.amdhsa_float_round_mode_16_64 0
		.amdhsa_float_denorm_mode_32 3
		.amdhsa_float_denorm_mode_16_64 3
		.amdhsa_dx10_clamp 1
		.amdhsa_ieee_mode 1
		.amdhsa_fp16_overflow 0
		.amdhsa_workgroup_processor_mode 1
		.amdhsa_memory_ordered 1
		.amdhsa_forward_progress 1
		.amdhsa_shared_vgpr_count 0
		.amdhsa_exception_fp_ieee_invalid_op 0
		.amdhsa_exception_fp_denorm_src 0
		.amdhsa_exception_fp_ieee_div_zero 0
		.amdhsa_exception_fp_ieee_overflow 0
		.amdhsa_exception_fp_ieee_underflow 0
		.amdhsa_exception_fp_ieee_inexact 0
		.amdhsa_exception_int_div_zero 0
	.end_amdhsa_kernel
	.section	.text._ZN7rocprim17ROCPRIM_400000_NS6detail17trampoline_kernelINS0_13select_configILj256ELj13ELNS0_17block_load_methodE3ELS4_3ELS4_3ELNS0_20block_scan_algorithmE0ELj4294967295EEENS1_25partition_config_selectorILNS1_17partition_subalgoE3EjNS0_10empty_typeEbEEZZNS1_14partition_implILS8_3ELb0ES6_jNS0_17counting_iteratorIjlEEPS9_SE_NS0_5tupleIJPjSE_EEENSF_IJSE_SE_EEES9_SG_JZNS1_25segmented_radix_sort_implINS0_14default_configELb1EPKfPfPKlPlN2at6native12_GLOBAL__N_18offset_tEEE10hipError_tPvRmT1_PNSt15iterator_traitsISY_E10value_typeET2_T3_PNSZ_IS14_E10value_typeET4_jRbjT5_S1A_jjP12ihipStream_tbEUljE_EEESV_SW_SX_S14_S18_S1A_T6_T7_T9_mT8_S1C_bDpT10_ENKUlT_T0_E_clISt17integral_constantIbLb1EES1P_EEDaS1K_S1L_EUlS1K_E_NS1_11comp_targetILNS1_3genE3ELNS1_11target_archE908ELNS1_3gpuE7ELNS1_3repE0EEENS1_30default_config_static_selectorELNS0_4arch9wavefront6targetE0EEEvSY_,"axG",@progbits,_ZN7rocprim17ROCPRIM_400000_NS6detail17trampoline_kernelINS0_13select_configILj256ELj13ELNS0_17block_load_methodE3ELS4_3ELS4_3ELNS0_20block_scan_algorithmE0ELj4294967295EEENS1_25partition_config_selectorILNS1_17partition_subalgoE3EjNS0_10empty_typeEbEEZZNS1_14partition_implILS8_3ELb0ES6_jNS0_17counting_iteratorIjlEEPS9_SE_NS0_5tupleIJPjSE_EEENSF_IJSE_SE_EEES9_SG_JZNS1_25segmented_radix_sort_implINS0_14default_configELb1EPKfPfPKlPlN2at6native12_GLOBAL__N_18offset_tEEE10hipError_tPvRmT1_PNSt15iterator_traitsISY_E10value_typeET2_T3_PNSZ_IS14_E10value_typeET4_jRbjT5_S1A_jjP12ihipStream_tbEUljE_EEESV_SW_SX_S14_S18_S1A_T6_T7_T9_mT8_S1C_bDpT10_ENKUlT_T0_E_clISt17integral_constantIbLb1EES1P_EEDaS1K_S1L_EUlS1K_E_NS1_11comp_targetILNS1_3genE3ELNS1_11target_archE908ELNS1_3gpuE7ELNS1_3repE0EEENS1_30default_config_static_selectorELNS0_4arch9wavefront6targetE0EEEvSY_,comdat
.Lfunc_end1296:
	.size	_ZN7rocprim17ROCPRIM_400000_NS6detail17trampoline_kernelINS0_13select_configILj256ELj13ELNS0_17block_load_methodE3ELS4_3ELS4_3ELNS0_20block_scan_algorithmE0ELj4294967295EEENS1_25partition_config_selectorILNS1_17partition_subalgoE3EjNS0_10empty_typeEbEEZZNS1_14partition_implILS8_3ELb0ES6_jNS0_17counting_iteratorIjlEEPS9_SE_NS0_5tupleIJPjSE_EEENSF_IJSE_SE_EEES9_SG_JZNS1_25segmented_radix_sort_implINS0_14default_configELb1EPKfPfPKlPlN2at6native12_GLOBAL__N_18offset_tEEE10hipError_tPvRmT1_PNSt15iterator_traitsISY_E10value_typeET2_T3_PNSZ_IS14_E10value_typeET4_jRbjT5_S1A_jjP12ihipStream_tbEUljE_EEESV_SW_SX_S14_S18_S1A_T6_T7_T9_mT8_S1C_bDpT10_ENKUlT_T0_E_clISt17integral_constantIbLb1EES1P_EEDaS1K_S1L_EUlS1K_E_NS1_11comp_targetILNS1_3genE3ELNS1_11target_archE908ELNS1_3gpuE7ELNS1_3repE0EEENS1_30default_config_static_selectorELNS0_4arch9wavefront6targetE0EEEvSY_, .Lfunc_end1296-_ZN7rocprim17ROCPRIM_400000_NS6detail17trampoline_kernelINS0_13select_configILj256ELj13ELNS0_17block_load_methodE3ELS4_3ELS4_3ELNS0_20block_scan_algorithmE0ELj4294967295EEENS1_25partition_config_selectorILNS1_17partition_subalgoE3EjNS0_10empty_typeEbEEZZNS1_14partition_implILS8_3ELb0ES6_jNS0_17counting_iteratorIjlEEPS9_SE_NS0_5tupleIJPjSE_EEENSF_IJSE_SE_EEES9_SG_JZNS1_25segmented_radix_sort_implINS0_14default_configELb1EPKfPfPKlPlN2at6native12_GLOBAL__N_18offset_tEEE10hipError_tPvRmT1_PNSt15iterator_traitsISY_E10value_typeET2_T3_PNSZ_IS14_E10value_typeET4_jRbjT5_S1A_jjP12ihipStream_tbEUljE_EEESV_SW_SX_S14_S18_S1A_T6_T7_T9_mT8_S1C_bDpT10_ENKUlT_T0_E_clISt17integral_constantIbLb1EES1P_EEDaS1K_S1L_EUlS1K_E_NS1_11comp_targetILNS1_3genE3ELNS1_11target_archE908ELNS1_3gpuE7ELNS1_3repE0EEENS1_30default_config_static_selectorELNS0_4arch9wavefront6targetE0EEEvSY_
                                        ; -- End function
	.set _ZN7rocprim17ROCPRIM_400000_NS6detail17trampoline_kernelINS0_13select_configILj256ELj13ELNS0_17block_load_methodE3ELS4_3ELS4_3ELNS0_20block_scan_algorithmE0ELj4294967295EEENS1_25partition_config_selectorILNS1_17partition_subalgoE3EjNS0_10empty_typeEbEEZZNS1_14partition_implILS8_3ELb0ES6_jNS0_17counting_iteratorIjlEEPS9_SE_NS0_5tupleIJPjSE_EEENSF_IJSE_SE_EEES9_SG_JZNS1_25segmented_radix_sort_implINS0_14default_configELb1EPKfPfPKlPlN2at6native12_GLOBAL__N_18offset_tEEE10hipError_tPvRmT1_PNSt15iterator_traitsISY_E10value_typeET2_T3_PNSZ_IS14_E10value_typeET4_jRbjT5_S1A_jjP12ihipStream_tbEUljE_EEESV_SW_SX_S14_S18_S1A_T6_T7_T9_mT8_S1C_bDpT10_ENKUlT_T0_E_clISt17integral_constantIbLb1EES1P_EEDaS1K_S1L_EUlS1K_E_NS1_11comp_targetILNS1_3genE3ELNS1_11target_archE908ELNS1_3gpuE7ELNS1_3repE0EEENS1_30default_config_static_selectorELNS0_4arch9wavefront6targetE0EEEvSY_.num_vgpr, 0
	.set _ZN7rocprim17ROCPRIM_400000_NS6detail17trampoline_kernelINS0_13select_configILj256ELj13ELNS0_17block_load_methodE3ELS4_3ELS4_3ELNS0_20block_scan_algorithmE0ELj4294967295EEENS1_25partition_config_selectorILNS1_17partition_subalgoE3EjNS0_10empty_typeEbEEZZNS1_14partition_implILS8_3ELb0ES6_jNS0_17counting_iteratorIjlEEPS9_SE_NS0_5tupleIJPjSE_EEENSF_IJSE_SE_EEES9_SG_JZNS1_25segmented_radix_sort_implINS0_14default_configELb1EPKfPfPKlPlN2at6native12_GLOBAL__N_18offset_tEEE10hipError_tPvRmT1_PNSt15iterator_traitsISY_E10value_typeET2_T3_PNSZ_IS14_E10value_typeET4_jRbjT5_S1A_jjP12ihipStream_tbEUljE_EEESV_SW_SX_S14_S18_S1A_T6_T7_T9_mT8_S1C_bDpT10_ENKUlT_T0_E_clISt17integral_constantIbLb1EES1P_EEDaS1K_S1L_EUlS1K_E_NS1_11comp_targetILNS1_3genE3ELNS1_11target_archE908ELNS1_3gpuE7ELNS1_3repE0EEENS1_30default_config_static_selectorELNS0_4arch9wavefront6targetE0EEEvSY_.num_agpr, 0
	.set _ZN7rocprim17ROCPRIM_400000_NS6detail17trampoline_kernelINS0_13select_configILj256ELj13ELNS0_17block_load_methodE3ELS4_3ELS4_3ELNS0_20block_scan_algorithmE0ELj4294967295EEENS1_25partition_config_selectorILNS1_17partition_subalgoE3EjNS0_10empty_typeEbEEZZNS1_14partition_implILS8_3ELb0ES6_jNS0_17counting_iteratorIjlEEPS9_SE_NS0_5tupleIJPjSE_EEENSF_IJSE_SE_EEES9_SG_JZNS1_25segmented_radix_sort_implINS0_14default_configELb1EPKfPfPKlPlN2at6native12_GLOBAL__N_18offset_tEEE10hipError_tPvRmT1_PNSt15iterator_traitsISY_E10value_typeET2_T3_PNSZ_IS14_E10value_typeET4_jRbjT5_S1A_jjP12ihipStream_tbEUljE_EEESV_SW_SX_S14_S18_S1A_T6_T7_T9_mT8_S1C_bDpT10_ENKUlT_T0_E_clISt17integral_constantIbLb1EES1P_EEDaS1K_S1L_EUlS1K_E_NS1_11comp_targetILNS1_3genE3ELNS1_11target_archE908ELNS1_3gpuE7ELNS1_3repE0EEENS1_30default_config_static_selectorELNS0_4arch9wavefront6targetE0EEEvSY_.numbered_sgpr, 0
	.set _ZN7rocprim17ROCPRIM_400000_NS6detail17trampoline_kernelINS0_13select_configILj256ELj13ELNS0_17block_load_methodE3ELS4_3ELS4_3ELNS0_20block_scan_algorithmE0ELj4294967295EEENS1_25partition_config_selectorILNS1_17partition_subalgoE3EjNS0_10empty_typeEbEEZZNS1_14partition_implILS8_3ELb0ES6_jNS0_17counting_iteratorIjlEEPS9_SE_NS0_5tupleIJPjSE_EEENSF_IJSE_SE_EEES9_SG_JZNS1_25segmented_radix_sort_implINS0_14default_configELb1EPKfPfPKlPlN2at6native12_GLOBAL__N_18offset_tEEE10hipError_tPvRmT1_PNSt15iterator_traitsISY_E10value_typeET2_T3_PNSZ_IS14_E10value_typeET4_jRbjT5_S1A_jjP12ihipStream_tbEUljE_EEESV_SW_SX_S14_S18_S1A_T6_T7_T9_mT8_S1C_bDpT10_ENKUlT_T0_E_clISt17integral_constantIbLb1EES1P_EEDaS1K_S1L_EUlS1K_E_NS1_11comp_targetILNS1_3genE3ELNS1_11target_archE908ELNS1_3gpuE7ELNS1_3repE0EEENS1_30default_config_static_selectorELNS0_4arch9wavefront6targetE0EEEvSY_.num_named_barrier, 0
	.set _ZN7rocprim17ROCPRIM_400000_NS6detail17trampoline_kernelINS0_13select_configILj256ELj13ELNS0_17block_load_methodE3ELS4_3ELS4_3ELNS0_20block_scan_algorithmE0ELj4294967295EEENS1_25partition_config_selectorILNS1_17partition_subalgoE3EjNS0_10empty_typeEbEEZZNS1_14partition_implILS8_3ELb0ES6_jNS0_17counting_iteratorIjlEEPS9_SE_NS0_5tupleIJPjSE_EEENSF_IJSE_SE_EEES9_SG_JZNS1_25segmented_radix_sort_implINS0_14default_configELb1EPKfPfPKlPlN2at6native12_GLOBAL__N_18offset_tEEE10hipError_tPvRmT1_PNSt15iterator_traitsISY_E10value_typeET2_T3_PNSZ_IS14_E10value_typeET4_jRbjT5_S1A_jjP12ihipStream_tbEUljE_EEESV_SW_SX_S14_S18_S1A_T6_T7_T9_mT8_S1C_bDpT10_ENKUlT_T0_E_clISt17integral_constantIbLb1EES1P_EEDaS1K_S1L_EUlS1K_E_NS1_11comp_targetILNS1_3genE3ELNS1_11target_archE908ELNS1_3gpuE7ELNS1_3repE0EEENS1_30default_config_static_selectorELNS0_4arch9wavefront6targetE0EEEvSY_.private_seg_size, 0
	.set _ZN7rocprim17ROCPRIM_400000_NS6detail17trampoline_kernelINS0_13select_configILj256ELj13ELNS0_17block_load_methodE3ELS4_3ELS4_3ELNS0_20block_scan_algorithmE0ELj4294967295EEENS1_25partition_config_selectorILNS1_17partition_subalgoE3EjNS0_10empty_typeEbEEZZNS1_14partition_implILS8_3ELb0ES6_jNS0_17counting_iteratorIjlEEPS9_SE_NS0_5tupleIJPjSE_EEENSF_IJSE_SE_EEES9_SG_JZNS1_25segmented_radix_sort_implINS0_14default_configELb1EPKfPfPKlPlN2at6native12_GLOBAL__N_18offset_tEEE10hipError_tPvRmT1_PNSt15iterator_traitsISY_E10value_typeET2_T3_PNSZ_IS14_E10value_typeET4_jRbjT5_S1A_jjP12ihipStream_tbEUljE_EEESV_SW_SX_S14_S18_S1A_T6_T7_T9_mT8_S1C_bDpT10_ENKUlT_T0_E_clISt17integral_constantIbLb1EES1P_EEDaS1K_S1L_EUlS1K_E_NS1_11comp_targetILNS1_3genE3ELNS1_11target_archE908ELNS1_3gpuE7ELNS1_3repE0EEENS1_30default_config_static_selectorELNS0_4arch9wavefront6targetE0EEEvSY_.uses_vcc, 0
	.set _ZN7rocprim17ROCPRIM_400000_NS6detail17trampoline_kernelINS0_13select_configILj256ELj13ELNS0_17block_load_methodE3ELS4_3ELS4_3ELNS0_20block_scan_algorithmE0ELj4294967295EEENS1_25partition_config_selectorILNS1_17partition_subalgoE3EjNS0_10empty_typeEbEEZZNS1_14partition_implILS8_3ELb0ES6_jNS0_17counting_iteratorIjlEEPS9_SE_NS0_5tupleIJPjSE_EEENSF_IJSE_SE_EEES9_SG_JZNS1_25segmented_radix_sort_implINS0_14default_configELb1EPKfPfPKlPlN2at6native12_GLOBAL__N_18offset_tEEE10hipError_tPvRmT1_PNSt15iterator_traitsISY_E10value_typeET2_T3_PNSZ_IS14_E10value_typeET4_jRbjT5_S1A_jjP12ihipStream_tbEUljE_EEESV_SW_SX_S14_S18_S1A_T6_T7_T9_mT8_S1C_bDpT10_ENKUlT_T0_E_clISt17integral_constantIbLb1EES1P_EEDaS1K_S1L_EUlS1K_E_NS1_11comp_targetILNS1_3genE3ELNS1_11target_archE908ELNS1_3gpuE7ELNS1_3repE0EEENS1_30default_config_static_selectorELNS0_4arch9wavefront6targetE0EEEvSY_.uses_flat_scratch, 0
	.set _ZN7rocprim17ROCPRIM_400000_NS6detail17trampoline_kernelINS0_13select_configILj256ELj13ELNS0_17block_load_methodE3ELS4_3ELS4_3ELNS0_20block_scan_algorithmE0ELj4294967295EEENS1_25partition_config_selectorILNS1_17partition_subalgoE3EjNS0_10empty_typeEbEEZZNS1_14partition_implILS8_3ELb0ES6_jNS0_17counting_iteratorIjlEEPS9_SE_NS0_5tupleIJPjSE_EEENSF_IJSE_SE_EEES9_SG_JZNS1_25segmented_radix_sort_implINS0_14default_configELb1EPKfPfPKlPlN2at6native12_GLOBAL__N_18offset_tEEE10hipError_tPvRmT1_PNSt15iterator_traitsISY_E10value_typeET2_T3_PNSZ_IS14_E10value_typeET4_jRbjT5_S1A_jjP12ihipStream_tbEUljE_EEESV_SW_SX_S14_S18_S1A_T6_T7_T9_mT8_S1C_bDpT10_ENKUlT_T0_E_clISt17integral_constantIbLb1EES1P_EEDaS1K_S1L_EUlS1K_E_NS1_11comp_targetILNS1_3genE3ELNS1_11target_archE908ELNS1_3gpuE7ELNS1_3repE0EEENS1_30default_config_static_selectorELNS0_4arch9wavefront6targetE0EEEvSY_.has_dyn_sized_stack, 0
	.set _ZN7rocprim17ROCPRIM_400000_NS6detail17trampoline_kernelINS0_13select_configILj256ELj13ELNS0_17block_load_methodE3ELS4_3ELS4_3ELNS0_20block_scan_algorithmE0ELj4294967295EEENS1_25partition_config_selectorILNS1_17partition_subalgoE3EjNS0_10empty_typeEbEEZZNS1_14partition_implILS8_3ELb0ES6_jNS0_17counting_iteratorIjlEEPS9_SE_NS0_5tupleIJPjSE_EEENSF_IJSE_SE_EEES9_SG_JZNS1_25segmented_radix_sort_implINS0_14default_configELb1EPKfPfPKlPlN2at6native12_GLOBAL__N_18offset_tEEE10hipError_tPvRmT1_PNSt15iterator_traitsISY_E10value_typeET2_T3_PNSZ_IS14_E10value_typeET4_jRbjT5_S1A_jjP12ihipStream_tbEUljE_EEESV_SW_SX_S14_S18_S1A_T6_T7_T9_mT8_S1C_bDpT10_ENKUlT_T0_E_clISt17integral_constantIbLb1EES1P_EEDaS1K_S1L_EUlS1K_E_NS1_11comp_targetILNS1_3genE3ELNS1_11target_archE908ELNS1_3gpuE7ELNS1_3repE0EEENS1_30default_config_static_selectorELNS0_4arch9wavefront6targetE0EEEvSY_.has_recursion, 0
	.set _ZN7rocprim17ROCPRIM_400000_NS6detail17trampoline_kernelINS0_13select_configILj256ELj13ELNS0_17block_load_methodE3ELS4_3ELS4_3ELNS0_20block_scan_algorithmE0ELj4294967295EEENS1_25partition_config_selectorILNS1_17partition_subalgoE3EjNS0_10empty_typeEbEEZZNS1_14partition_implILS8_3ELb0ES6_jNS0_17counting_iteratorIjlEEPS9_SE_NS0_5tupleIJPjSE_EEENSF_IJSE_SE_EEES9_SG_JZNS1_25segmented_radix_sort_implINS0_14default_configELb1EPKfPfPKlPlN2at6native12_GLOBAL__N_18offset_tEEE10hipError_tPvRmT1_PNSt15iterator_traitsISY_E10value_typeET2_T3_PNSZ_IS14_E10value_typeET4_jRbjT5_S1A_jjP12ihipStream_tbEUljE_EEESV_SW_SX_S14_S18_S1A_T6_T7_T9_mT8_S1C_bDpT10_ENKUlT_T0_E_clISt17integral_constantIbLb1EES1P_EEDaS1K_S1L_EUlS1K_E_NS1_11comp_targetILNS1_3genE3ELNS1_11target_archE908ELNS1_3gpuE7ELNS1_3repE0EEENS1_30default_config_static_selectorELNS0_4arch9wavefront6targetE0EEEvSY_.has_indirect_call, 0
	.section	.AMDGPU.csdata,"",@progbits
; Kernel info:
; codeLenInByte = 0
; TotalNumSgprs: 0
; NumVgprs: 0
; ScratchSize: 0
; MemoryBound: 0
; FloatMode: 240
; IeeeMode: 1
; LDSByteSize: 0 bytes/workgroup (compile time only)
; SGPRBlocks: 0
; VGPRBlocks: 0
; NumSGPRsForWavesPerEU: 1
; NumVGPRsForWavesPerEU: 1
; Occupancy: 16
; WaveLimiterHint : 0
; COMPUTE_PGM_RSRC2:SCRATCH_EN: 0
; COMPUTE_PGM_RSRC2:USER_SGPR: 6
; COMPUTE_PGM_RSRC2:TRAP_HANDLER: 0
; COMPUTE_PGM_RSRC2:TGID_X_EN: 1
; COMPUTE_PGM_RSRC2:TGID_Y_EN: 0
; COMPUTE_PGM_RSRC2:TGID_Z_EN: 0
; COMPUTE_PGM_RSRC2:TIDIG_COMP_CNT: 0
	.section	.text._ZN7rocprim17ROCPRIM_400000_NS6detail17trampoline_kernelINS0_13select_configILj256ELj13ELNS0_17block_load_methodE3ELS4_3ELS4_3ELNS0_20block_scan_algorithmE0ELj4294967295EEENS1_25partition_config_selectorILNS1_17partition_subalgoE3EjNS0_10empty_typeEbEEZZNS1_14partition_implILS8_3ELb0ES6_jNS0_17counting_iteratorIjlEEPS9_SE_NS0_5tupleIJPjSE_EEENSF_IJSE_SE_EEES9_SG_JZNS1_25segmented_radix_sort_implINS0_14default_configELb1EPKfPfPKlPlN2at6native12_GLOBAL__N_18offset_tEEE10hipError_tPvRmT1_PNSt15iterator_traitsISY_E10value_typeET2_T3_PNSZ_IS14_E10value_typeET4_jRbjT5_S1A_jjP12ihipStream_tbEUljE_EEESV_SW_SX_S14_S18_S1A_T6_T7_T9_mT8_S1C_bDpT10_ENKUlT_T0_E_clISt17integral_constantIbLb1EES1P_EEDaS1K_S1L_EUlS1K_E_NS1_11comp_targetILNS1_3genE2ELNS1_11target_archE906ELNS1_3gpuE6ELNS1_3repE0EEENS1_30default_config_static_selectorELNS0_4arch9wavefront6targetE0EEEvSY_,"axG",@progbits,_ZN7rocprim17ROCPRIM_400000_NS6detail17trampoline_kernelINS0_13select_configILj256ELj13ELNS0_17block_load_methodE3ELS4_3ELS4_3ELNS0_20block_scan_algorithmE0ELj4294967295EEENS1_25partition_config_selectorILNS1_17partition_subalgoE3EjNS0_10empty_typeEbEEZZNS1_14partition_implILS8_3ELb0ES6_jNS0_17counting_iteratorIjlEEPS9_SE_NS0_5tupleIJPjSE_EEENSF_IJSE_SE_EEES9_SG_JZNS1_25segmented_radix_sort_implINS0_14default_configELb1EPKfPfPKlPlN2at6native12_GLOBAL__N_18offset_tEEE10hipError_tPvRmT1_PNSt15iterator_traitsISY_E10value_typeET2_T3_PNSZ_IS14_E10value_typeET4_jRbjT5_S1A_jjP12ihipStream_tbEUljE_EEESV_SW_SX_S14_S18_S1A_T6_T7_T9_mT8_S1C_bDpT10_ENKUlT_T0_E_clISt17integral_constantIbLb1EES1P_EEDaS1K_S1L_EUlS1K_E_NS1_11comp_targetILNS1_3genE2ELNS1_11target_archE906ELNS1_3gpuE6ELNS1_3repE0EEENS1_30default_config_static_selectorELNS0_4arch9wavefront6targetE0EEEvSY_,comdat
	.globl	_ZN7rocprim17ROCPRIM_400000_NS6detail17trampoline_kernelINS0_13select_configILj256ELj13ELNS0_17block_load_methodE3ELS4_3ELS4_3ELNS0_20block_scan_algorithmE0ELj4294967295EEENS1_25partition_config_selectorILNS1_17partition_subalgoE3EjNS0_10empty_typeEbEEZZNS1_14partition_implILS8_3ELb0ES6_jNS0_17counting_iteratorIjlEEPS9_SE_NS0_5tupleIJPjSE_EEENSF_IJSE_SE_EEES9_SG_JZNS1_25segmented_radix_sort_implINS0_14default_configELb1EPKfPfPKlPlN2at6native12_GLOBAL__N_18offset_tEEE10hipError_tPvRmT1_PNSt15iterator_traitsISY_E10value_typeET2_T3_PNSZ_IS14_E10value_typeET4_jRbjT5_S1A_jjP12ihipStream_tbEUljE_EEESV_SW_SX_S14_S18_S1A_T6_T7_T9_mT8_S1C_bDpT10_ENKUlT_T0_E_clISt17integral_constantIbLb1EES1P_EEDaS1K_S1L_EUlS1K_E_NS1_11comp_targetILNS1_3genE2ELNS1_11target_archE906ELNS1_3gpuE6ELNS1_3repE0EEENS1_30default_config_static_selectorELNS0_4arch9wavefront6targetE0EEEvSY_ ; -- Begin function _ZN7rocprim17ROCPRIM_400000_NS6detail17trampoline_kernelINS0_13select_configILj256ELj13ELNS0_17block_load_methodE3ELS4_3ELS4_3ELNS0_20block_scan_algorithmE0ELj4294967295EEENS1_25partition_config_selectorILNS1_17partition_subalgoE3EjNS0_10empty_typeEbEEZZNS1_14partition_implILS8_3ELb0ES6_jNS0_17counting_iteratorIjlEEPS9_SE_NS0_5tupleIJPjSE_EEENSF_IJSE_SE_EEES9_SG_JZNS1_25segmented_radix_sort_implINS0_14default_configELb1EPKfPfPKlPlN2at6native12_GLOBAL__N_18offset_tEEE10hipError_tPvRmT1_PNSt15iterator_traitsISY_E10value_typeET2_T3_PNSZ_IS14_E10value_typeET4_jRbjT5_S1A_jjP12ihipStream_tbEUljE_EEESV_SW_SX_S14_S18_S1A_T6_T7_T9_mT8_S1C_bDpT10_ENKUlT_T0_E_clISt17integral_constantIbLb1EES1P_EEDaS1K_S1L_EUlS1K_E_NS1_11comp_targetILNS1_3genE2ELNS1_11target_archE906ELNS1_3gpuE6ELNS1_3repE0EEENS1_30default_config_static_selectorELNS0_4arch9wavefront6targetE0EEEvSY_
	.p2align	8
	.type	_ZN7rocprim17ROCPRIM_400000_NS6detail17trampoline_kernelINS0_13select_configILj256ELj13ELNS0_17block_load_methodE3ELS4_3ELS4_3ELNS0_20block_scan_algorithmE0ELj4294967295EEENS1_25partition_config_selectorILNS1_17partition_subalgoE3EjNS0_10empty_typeEbEEZZNS1_14partition_implILS8_3ELb0ES6_jNS0_17counting_iteratorIjlEEPS9_SE_NS0_5tupleIJPjSE_EEENSF_IJSE_SE_EEES9_SG_JZNS1_25segmented_radix_sort_implINS0_14default_configELb1EPKfPfPKlPlN2at6native12_GLOBAL__N_18offset_tEEE10hipError_tPvRmT1_PNSt15iterator_traitsISY_E10value_typeET2_T3_PNSZ_IS14_E10value_typeET4_jRbjT5_S1A_jjP12ihipStream_tbEUljE_EEESV_SW_SX_S14_S18_S1A_T6_T7_T9_mT8_S1C_bDpT10_ENKUlT_T0_E_clISt17integral_constantIbLb1EES1P_EEDaS1K_S1L_EUlS1K_E_NS1_11comp_targetILNS1_3genE2ELNS1_11target_archE906ELNS1_3gpuE6ELNS1_3repE0EEENS1_30default_config_static_selectorELNS0_4arch9wavefront6targetE0EEEvSY_,@function
_ZN7rocprim17ROCPRIM_400000_NS6detail17trampoline_kernelINS0_13select_configILj256ELj13ELNS0_17block_load_methodE3ELS4_3ELS4_3ELNS0_20block_scan_algorithmE0ELj4294967295EEENS1_25partition_config_selectorILNS1_17partition_subalgoE3EjNS0_10empty_typeEbEEZZNS1_14partition_implILS8_3ELb0ES6_jNS0_17counting_iteratorIjlEEPS9_SE_NS0_5tupleIJPjSE_EEENSF_IJSE_SE_EEES9_SG_JZNS1_25segmented_radix_sort_implINS0_14default_configELb1EPKfPfPKlPlN2at6native12_GLOBAL__N_18offset_tEEE10hipError_tPvRmT1_PNSt15iterator_traitsISY_E10value_typeET2_T3_PNSZ_IS14_E10value_typeET4_jRbjT5_S1A_jjP12ihipStream_tbEUljE_EEESV_SW_SX_S14_S18_S1A_T6_T7_T9_mT8_S1C_bDpT10_ENKUlT_T0_E_clISt17integral_constantIbLb1EES1P_EEDaS1K_S1L_EUlS1K_E_NS1_11comp_targetILNS1_3genE2ELNS1_11target_archE906ELNS1_3gpuE6ELNS1_3repE0EEENS1_30default_config_static_selectorELNS0_4arch9wavefront6targetE0EEEvSY_: ; @_ZN7rocprim17ROCPRIM_400000_NS6detail17trampoline_kernelINS0_13select_configILj256ELj13ELNS0_17block_load_methodE3ELS4_3ELS4_3ELNS0_20block_scan_algorithmE0ELj4294967295EEENS1_25partition_config_selectorILNS1_17partition_subalgoE3EjNS0_10empty_typeEbEEZZNS1_14partition_implILS8_3ELb0ES6_jNS0_17counting_iteratorIjlEEPS9_SE_NS0_5tupleIJPjSE_EEENSF_IJSE_SE_EEES9_SG_JZNS1_25segmented_radix_sort_implINS0_14default_configELb1EPKfPfPKlPlN2at6native12_GLOBAL__N_18offset_tEEE10hipError_tPvRmT1_PNSt15iterator_traitsISY_E10value_typeET2_T3_PNSZ_IS14_E10value_typeET4_jRbjT5_S1A_jjP12ihipStream_tbEUljE_EEESV_SW_SX_S14_S18_S1A_T6_T7_T9_mT8_S1C_bDpT10_ENKUlT_T0_E_clISt17integral_constantIbLb1EES1P_EEDaS1K_S1L_EUlS1K_E_NS1_11comp_targetILNS1_3genE2ELNS1_11target_archE906ELNS1_3gpuE6ELNS1_3repE0EEENS1_30default_config_static_selectorELNS0_4arch9wavefront6targetE0EEEvSY_
; %bb.0:
	.section	.rodata,"a",@progbits
	.p2align	6, 0x0
	.amdhsa_kernel _ZN7rocprim17ROCPRIM_400000_NS6detail17trampoline_kernelINS0_13select_configILj256ELj13ELNS0_17block_load_methodE3ELS4_3ELS4_3ELNS0_20block_scan_algorithmE0ELj4294967295EEENS1_25partition_config_selectorILNS1_17partition_subalgoE3EjNS0_10empty_typeEbEEZZNS1_14partition_implILS8_3ELb0ES6_jNS0_17counting_iteratorIjlEEPS9_SE_NS0_5tupleIJPjSE_EEENSF_IJSE_SE_EEES9_SG_JZNS1_25segmented_radix_sort_implINS0_14default_configELb1EPKfPfPKlPlN2at6native12_GLOBAL__N_18offset_tEEE10hipError_tPvRmT1_PNSt15iterator_traitsISY_E10value_typeET2_T3_PNSZ_IS14_E10value_typeET4_jRbjT5_S1A_jjP12ihipStream_tbEUljE_EEESV_SW_SX_S14_S18_S1A_T6_T7_T9_mT8_S1C_bDpT10_ENKUlT_T0_E_clISt17integral_constantIbLb1EES1P_EEDaS1K_S1L_EUlS1K_E_NS1_11comp_targetILNS1_3genE2ELNS1_11target_archE906ELNS1_3gpuE6ELNS1_3repE0EEENS1_30default_config_static_selectorELNS0_4arch9wavefront6targetE0EEEvSY_
		.amdhsa_group_segment_fixed_size 0
		.amdhsa_private_segment_fixed_size 0
		.amdhsa_kernarg_size 152
		.amdhsa_user_sgpr_count 6
		.amdhsa_user_sgpr_private_segment_buffer 1
		.amdhsa_user_sgpr_dispatch_ptr 0
		.amdhsa_user_sgpr_queue_ptr 0
		.amdhsa_user_sgpr_kernarg_segment_ptr 1
		.amdhsa_user_sgpr_dispatch_id 0
		.amdhsa_user_sgpr_flat_scratch_init 0
		.amdhsa_user_sgpr_private_segment_size 0
		.amdhsa_wavefront_size32 1
		.amdhsa_uses_dynamic_stack 0
		.amdhsa_system_sgpr_private_segment_wavefront_offset 0
		.amdhsa_system_sgpr_workgroup_id_x 1
		.amdhsa_system_sgpr_workgroup_id_y 0
		.amdhsa_system_sgpr_workgroup_id_z 0
		.amdhsa_system_sgpr_workgroup_info 0
		.amdhsa_system_vgpr_workitem_id 0
		.amdhsa_next_free_vgpr 1
		.amdhsa_next_free_sgpr 1
		.amdhsa_reserve_vcc 0
		.amdhsa_reserve_flat_scratch 0
		.amdhsa_float_round_mode_32 0
		.amdhsa_float_round_mode_16_64 0
		.amdhsa_float_denorm_mode_32 3
		.amdhsa_float_denorm_mode_16_64 3
		.amdhsa_dx10_clamp 1
		.amdhsa_ieee_mode 1
		.amdhsa_fp16_overflow 0
		.amdhsa_workgroup_processor_mode 1
		.amdhsa_memory_ordered 1
		.amdhsa_forward_progress 1
		.amdhsa_shared_vgpr_count 0
		.amdhsa_exception_fp_ieee_invalid_op 0
		.amdhsa_exception_fp_denorm_src 0
		.amdhsa_exception_fp_ieee_div_zero 0
		.amdhsa_exception_fp_ieee_overflow 0
		.amdhsa_exception_fp_ieee_underflow 0
		.amdhsa_exception_fp_ieee_inexact 0
		.amdhsa_exception_int_div_zero 0
	.end_amdhsa_kernel
	.section	.text._ZN7rocprim17ROCPRIM_400000_NS6detail17trampoline_kernelINS0_13select_configILj256ELj13ELNS0_17block_load_methodE3ELS4_3ELS4_3ELNS0_20block_scan_algorithmE0ELj4294967295EEENS1_25partition_config_selectorILNS1_17partition_subalgoE3EjNS0_10empty_typeEbEEZZNS1_14partition_implILS8_3ELb0ES6_jNS0_17counting_iteratorIjlEEPS9_SE_NS0_5tupleIJPjSE_EEENSF_IJSE_SE_EEES9_SG_JZNS1_25segmented_radix_sort_implINS0_14default_configELb1EPKfPfPKlPlN2at6native12_GLOBAL__N_18offset_tEEE10hipError_tPvRmT1_PNSt15iterator_traitsISY_E10value_typeET2_T3_PNSZ_IS14_E10value_typeET4_jRbjT5_S1A_jjP12ihipStream_tbEUljE_EEESV_SW_SX_S14_S18_S1A_T6_T7_T9_mT8_S1C_bDpT10_ENKUlT_T0_E_clISt17integral_constantIbLb1EES1P_EEDaS1K_S1L_EUlS1K_E_NS1_11comp_targetILNS1_3genE2ELNS1_11target_archE906ELNS1_3gpuE6ELNS1_3repE0EEENS1_30default_config_static_selectorELNS0_4arch9wavefront6targetE0EEEvSY_,"axG",@progbits,_ZN7rocprim17ROCPRIM_400000_NS6detail17trampoline_kernelINS0_13select_configILj256ELj13ELNS0_17block_load_methodE3ELS4_3ELS4_3ELNS0_20block_scan_algorithmE0ELj4294967295EEENS1_25partition_config_selectorILNS1_17partition_subalgoE3EjNS0_10empty_typeEbEEZZNS1_14partition_implILS8_3ELb0ES6_jNS0_17counting_iteratorIjlEEPS9_SE_NS0_5tupleIJPjSE_EEENSF_IJSE_SE_EEES9_SG_JZNS1_25segmented_radix_sort_implINS0_14default_configELb1EPKfPfPKlPlN2at6native12_GLOBAL__N_18offset_tEEE10hipError_tPvRmT1_PNSt15iterator_traitsISY_E10value_typeET2_T3_PNSZ_IS14_E10value_typeET4_jRbjT5_S1A_jjP12ihipStream_tbEUljE_EEESV_SW_SX_S14_S18_S1A_T6_T7_T9_mT8_S1C_bDpT10_ENKUlT_T0_E_clISt17integral_constantIbLb1EES1P_EEDaS1K_S1L_EUlS1K_E_NS1_11comp_targetILNS1_3genE2ELNS1_11target_archE906ELNS1_3gpuE6ELNS1_3repE0EEENS1_30default_config_static_selectorELNS0_4arch9wavefront6targetE0EEEvSY_,comdat
.Lfunc_end1297:
	.size	_ZN7rocprim17ROCPRIM_400000_NS6detail17trampoline_kernelINS0_13select_configILj256ELj13ELNS0_17block_load_methodE3ELS4_3ELS4_3ELNS0_20block_scan_algorithmE0ELj4294967295EEENS1_25partition_config_selectorILNS1_17partition_subalgoE3EjNS0_10empty_typeEbEEZZNS1_14partition_implILS8_3ELb0ES6_jNS0_17counting_iteratorIjlEEPS9_SE_NS0_5tupleIJPjSE_EEENSF_IJSE_SE_EEES9_SG_JZNS1_25segmented_radix_sort_implINS0_14default_configELb1EPKfPfPKlPlN2at6native12_GLOBAL__N_18offset_tEEE10hipError_tPvRmT1_PNSt15iterator_traitsISY_E10value_typeET2_T3_PNSZ_IS14_E10value_typeET4_jRbjT5_S1A_jjP12ihipStream_tbEUljE_EEESV_SW_SX_S14_S18_S1A_T6_T7_T9_mT8_S1C_bDpT10_ENKUlT_T0_E_clISt17integral_constantIbLb1EES1P_EEDaS1K_S1L_EUlS1K_E_NS1_11comp_targetILNS1_3genE2ELNS1_11target_archE906ELNS1_3gpuE6ELNS1_3repE0EEENS1_30default_config_static_selectorELNS0_4arch9wavefront6targetE0EEEvSY_, .Lfunc_end1297-_ZN7rocprim17ROCPRIM_400000_NS6detail17trampoline_kernelINS0_13select_configILj256ELj13ELNS0_17block_load_methodE3ELS4_3ELS4_3ELNS0_20block_scan_algorithmE0ELj4294967295EEENS1_25partition_config_selectorILNS1_17partition_subalgoE3EjNS0_10empty_typeEbEEZZNS1_14partition_implILS8_3ELb0ES6_jNS0_17counting_iteratorIjlEEPS9_SE_NS0_5tupleIJPjSE_EEENSF_IJSE_SE_EEES9_SG_JZNS1_25segmented_radix_sort_implINS0_14default_configELb1EPKfPfPKlPlN2at6native12_GLOBAL__N_18offset_tEEE10hipError_tPvRmT1_PNSt15iterator_traitsISY_E10value_typeET2_T3_PNSZ_IS14_E10value_typeET4_jRbjT5_S1A_jjP12ihipStream_tbEUljE_EEESV_SW_SX_S14_S18_S1A_T6_T7_T9_mT8_S1C_bDpT10_ENKUlT_T0_E_clISt17integral_constantIbLb1EES1P_EEDaS1K_S1L_EUlS1K_E_NS1_11comp_targetILNS1_3genE2ELNS1_11target_archE906ELNS1_3gpuE6ELNS1_3repE0EEENS1_30default_config_static_selectorELNS0_4arch9wavefront6targetE0EEEvSY_
                                        ; -- End function
	.set _ZN7rocprim17ROCPRIM_400000_NS6detail17trampoline_kernelINS0_13select_configILj256ELj13ELNS0_17block_load_methodE3ELS4_3ELS4_3ELNS0_20block_scan_algorithmE0ELj4294967295EEENS1_25partition_config_selectorILNS1_17partition_subalgoE3EjNS0_10empty_typeEbEEZZNS1_14partition_implILS8_3ELb0ES6_jNS0_17counting_iteratorIjlEEPS9_SE_NS0_5tupleIJPjSE_EEENSF_IJSE_SE_EEES9_SG_JZNS1_25segmented_radix_sort_implINS0_14default_configELb1EPKfPfPKlPlN2at6native12_GLOBAL__N_18offset_tEEE10hipError_tPvRmT1_PNSt15iterator_traitsISY_E10value_typeET2_T3_PNSZ_IS14_E10value_typeET4_jRbjT5_S1A_jjP12ihipStream_tbEUljE_EEESV_SW_SX_S14_S18_S1A_T6_T7_T9_mT8_S1C_bDpT10_ENKUlT_T0_E_clISt17integral_constantIbLb1EES1P_EEDaS1K_S1L_EUlS1K_E_NS1_11comp_targetILNS1_3genE2ELNS1_11target_archE906ELNS1_3gpuE6ELNS1_3repE0EEENS1_30default_config_static_selectorELNS0_4arch9wavefront6targetE0EEEvSY_.num_vgpr, 0
	.set _ZN7rocprim17ROCPRIM_400000_NS6detail17trampoline_kernelINS0_13select_configILj256ELj13ELNS0_17block_load_methodE3ELS4_3ELS4_3ELNS0_20block_scan_algorithmE0ELj4294967295EEENS1_25partition_config_selectorILNS1_17partition_subalgoE3EjNS0_10empty_typeEbEEZZNS1_14partition_implILS8_3ELb0ES6_jNS0_17counting_iteratorIjlEEPS9_SE_NS0_5tupleIJPjSE_EEENSF_IJSE_SE_EEES9_SG_JZNS1_25segmented_radix_sort_implINS0_14default_configELb1EPKfPfPKlPlN2at6native12_GLOBAL__N_18offset_tEEE10hipError_tPvRmT1_PNSt15iterator_traitsISY_E10value_typeET2_T3_PNSZ_IS14_E10value_typeET4_jRbjT5_S1A_jjP12ihipStream_tbEUljE_EEESV_SW_SX_S14_S18_S1A_T6_T7_T9_mT8_S1C_bDpT10_ENKUlT_T0_E_clISt17integral_constantIbLb1EES1P_EEDaS1K_S1L_EUlS1K_E_NS1_11comp_targetILNS1_3genE2ELNS1_11target_archE906ELNS1_3gpuE6ELNS1_3repE0EEENS1_30default_config_static_selectorELNS0_4arch9wavefront6targetE0EEEvSY_.num_agpr, 0
	.set _ZN7rocprim17ROCPRIM_400000_NS6detail17trampoline_kernelINS0_13select_configILj256ELj13ELNS0_17block_load_methodE3ELS4_3ELS4_3ELNS0_20block_scan_algorithmE0ELj4294967295EEENS1_25partition_config_selectorILNS1_17partition_subalgoE3EjNS0_10empty_typeEbEEZZNS1_14partition_implILS8_3ELb0ES6_jNS0_17counting_iteratorIjlEEPS9_SE_NS0_5tupleIJPjSE_EEENSF_IJSE_SE_EEES9_SG_JZNS1_25segmented_radix_sort_implINS0_14default_configELb1EPKfPfPKlPlN2at6native12_GLOBAL__N_18offset_tEEE10hipError_tPvRmT1_PNSt15iterator_traitsISY_E10value_typeET2_T3_PNSZ_IS14_E10value_typeET4_jRbjT5_S1A_jjP12ihipStream_tbEUljE_EEESV_SW_SX_S14_S18_S1A_T6_T7_T9_mT8_S1C_bDpT10_ENKUlT_T0_E_clISt17integral_constantIbLb1EES1P_EEDaS1K_S1L_EUlS1K_E_NS1_11comp_targetILNS1_3genE2ELNS1_11target_archE906ELNS1_3gpuE6ELNS1_3repE0EEENS1_30default_config_static_selectorELNS0_4arch9wavefront6targetE0EEEvSY_.numbered_sgpr, 0
	.set _ZN7rocprim17ROCPRIM_400000_NS6detail17trampoline_kernelINS0_13select_configILj256ELj13ELNS0_17block_load_methodE3ELS4_3ELS4_3ELNS0_20block_scan_algorithmE0ELj4294967295EEENS1_25partition_config_selectorILNS1_17partition_subalgoE3EjNS0_10empty_typeEbEEZZNS1_14partition_implILS8_3ELb0ES6_jNS0_17counting_iteratorIjlEEPS9_SE_NS0_5tupleIJPjSE_EEENSF_IJSE_SE_EEES9_SG_JZNS1_25segmented_radix_sort_implINS0_14default_configELb1EPKfPfPKlPlN2at6native12_GLOBAL__N_18offset_tEEE10hipError_tPvRmT1_PNSt15iterator_traitsISY_E10value_typeET2_T3_PNSZ_IS14_E10value_typeET4_jRbjT5_S1A_jjP12ihipStream_tbEUljE_EEESV_SW_SX_S14_S18_S1A_T6_T7_T9_mT8_S1C_bDpT10_ENKUlT_T0_E_clISt17integral_constantIbLb1EES1P_EEDaS1K_S1L_EUlS1K_E_NS1_11comp_targetILNS1_3genE2ELNS1_11target_archE906ELNS1_3gpuE6ELNS1_3repE0EEENS1_30default_config_static_selectorELNS0_4arch9wavefront6targetE0EEEvSY_.num_named_barrier, 0
	.set _ZN7rocprim17ROCPRIM_400000_NS6detail17trampoline_kernelINS0_13select_configILj256ELj13ELNS0_17block_load_methodE3ELS4_3ELS4_3ELNS0_20block_scan_algorithmE0ELj4294967295EEENS1_25partition_config_selectorILNS1_17partition_subalgoE3EjNS0_10empty_typeEbEEZZNS1_14partition_implILS8_3ELb0ES6_jNS0_17counting_iteratorIjlEEPS9_SE_NS0_5tupleIJPjSE_EEENSF_IJSE_SE_EEES9_SG_JZNS1_25segmented_radix_sort_implINS0_14default_configELb1EPKfPfPKlPlN2at6native12_GLOBAL__N_18offset_tEEE10hipError_tPvRmT1_PNSt15iterator_traitsISY_E10value_typeET2_T3_PNSZ_IS14_E10value_typeET4_jRbjT5_S1A_jjP12ihipStream_tbEUljE_EEESV_SW_SX_S14_S18_S1A_T6_T7_T9_mT8_S1C_bDpT10_ENKUlT_T0_E_clISt17integral_constantIbLb1EES1P_EEDaS1K_S1L_EUlS1K_E_NS1_11comp_targetILNS1_3genE2ELNS1_11target_archE906ELNS1_3gpuE6ELNS1_3repE0EEENS1_30default_config_static_selectorELNS0_4arch9wavefront6targetE0EEEvSY_.private_seg_size, 0
	.set _ZN7rocprim17ROCPRIM_400000_NS6detail17trampoline_kernelINS0_13select_configILj256ELj13ELNS0_17block_load_methodE3ELS4_3ELS4_3ELNS0_20block_scan_algorithmE0ELj4294967295EEENS1_25partition_config_selectorILNS1_17partition_subalgoE3EjNS0_10empty_typeEbEEZZNS1_14partition_implILS8_3ELb0ES6_jNS0_17counting_iteratorIjlEEPS9_SE_NS0_5tupleIJPjSE_EEENSF_IJSE_SE_EEES9_SG_JZNS1_25segmented_radix_sort_implINS0_14default_configELb1EPKfPfPKlPlN2at6native12_GLOBAL__N_18offset_tEEE10hipError_tPvRmT1_PNSt15iterator_traitsISY_E10value_typeET2_T3_PNSZ_IS14_E10value_typeET4_jRbjT5_S1A_jjP12ihipStream_tbEUljE_EEESV_SW_SX_S14_S18_S1A_T6_T7_T9_mT8_S1C_bDpT10_ENKUlT_T0_E_clISt17integral_constantIbLb1EES1P_EEDaS1K_S1L_EUlS1K_E_NS1_11comp_targetILNS1_3genE2ELNS1_11target_archE906ELNS1_3gpuE6ELNS1_3repE0EEENS1_30default_config_static_selectorELNS0_4arch9wavefront6targetE0EEEvSY_.uses_vcc, 0
	.set _ZN7rocprim17ROCPRIM_400000_NS6detail17trampoline_kernelINS0_13select_configILj256ELj13ELNS0_17block_load_methodE3ELS4_3ELS4_3ELNS0_20block_scan_algorithmE0ELj4294967295EEENS1_25partition_config_selectorILNS1_17partition_subalgoE3EjNS0_10empty_typeEbEEZZNS1_14partition_implILS8_3ELb0ES6_jNS0_17counting_iteratorIjlEEPS9_SE_NS0_5tupleIJPjSE_EEENSF_IJSE_SE_EEES9_SG_JZNS1_25segmented_radix_sort_implINS0_14default_configELb1EPKfPfPKlPlN2at6native12_GLOBAL__N_18offset_tEEE10hipError_tPvRmT1_PNSt15iterator_traitsISY_E10value_typeET2_T3_PNSZ_IS14_E10value_typeET4_jRbjT5_S1A_jjP12ihipStream_tbEUljE_EEESV_SW_SX_S14_S18_S1A_T6_T7_T9_mT8_S1C_bDpT10_ENKUlT_T0_E_clISt17integral_constantIbLb1EES1P_EEDaS1K_S1L_EUlS1K_E_NS1_11comp_targetILNS1_3genE2ELNS1_11target_archE906ELNS1_3gpuE6ELNS1_3repE0EEENS1_30default_config_static_selectorELNS0_4arch9wavefront6targetE0EEEvSY_.uses_flat_scratch, 0
	.set _ZN7rocprim17ROCPRIM_400000_NS6detail17trampoline_kernelINS0_13select_configILj256ELj13ELNS0_17block_load_methodE3ELS4_3ELS4_3ELNS0_20block_scan_algorithmE0ELj4294967295EEENS1_25partition_config_selectorILNS1_17partition_subalgoE3EjNS0_10empty_typeEbEEZZNS1_14partition_implILS8_3ELb0ES6_jNS0_17counting_iteratorIjlEEPS9_SE_NS0_5tupleIJPjSE_EEENSF_IJSE_SE_EEES9_SG_JZNS1_25segmented_radix_sort_implINS0_14default_configELb1EPKfPfPKlPlN2at6native12_GLOBAL__N_18offset_tEEE10hipError_tPvRmT1_PNSt15iterator_traitsISY_E10value_typeET2_T3_PNSZ_IS14_E10value_typeET4_jRbjT5_S1A_jjP12ihipStream_tbEUljE_EEESV_SW_SX_S14_S18_S1A_T6_T7_T9_mT8_S1C_bDpT10_ENKUlT_T0_E_clISt17integral_constantIbLb1EES1P_EEDaS1K_S1L_EUlS1K_E_NS1_11comp_targetILNS1_3genE2ELNS1_11target_archE906ELNS1_3gpuE6ELNS1_3repE0EEENS1_30default_config_static_selectorELNS0_4arch9wavefront6targetE0EEEvSY_.has_dyn_sized_stack, 0
	.set _ZN7rocprim17ROCPRIM_400000_NS6detail17trampoline_kernelINS0_13select_configILj256ELj13ELNS0_17block_load_methodE3ELS4_3ELS4_3ELNS0_20block_scan_algorithmE0ELj4294967295EEENS1_25partition_config_selectorILNS1_17partition_subalgoE3EjNS0_10empty_typeEbEEZZNS1_14partition_implILS8_3ELb0ES6_jNS0_17counting_iteratorIjlEEPS9_SE_NS0_5tupleIJPjSE_EEENSF_IJSE_SE_EEES9_SG_JZNS1_25segmented_radix_sort_implINS0_14default_configELb1EPKfPfPKlPlN2at6native12_GLOBAL__N_18offset_tEEE10hipError_tPvRmT1_PNSt15iterator_traitsISY_E10value_typeET2_T3_PNSZ_IS14_E10value_typeET4_jRbjT5_S1A_jjP12ihipStream_tbEUljE_EEESV_SW_SX_S14_S18_S1A_T6_T7_T9_mT8_S1C_bDpT10_ENKUlT_T0_E_clISt17integral_constantIbLb1EES1P_EEDaS1K_S1L_EUlS1K_E_NS1_11comp_targetILNS1_3genE2ELNS1_11target_archE906ELNS1_3gpuE6ELNS1_3repE0EEENS1_30default_config_static_selectorELNS0_4arch9wavefront6targetE0EEEvSY_.has_recursion, 0
	.set _ZN7rocprim17ROCPRIM_400000_NS6detail17trampoline_kernelINS0_13select_configILj256ELj13ELNS0_17block_load_methodE3ELS4_3ELS4_3ELNS0_20block_scan_algorithmE0ELj4294967295EEENS1_25partition_config_selectorILNS1_17partition_subalgoE3EjNS0_10empty_typeEbEEZZNS1_14partition_implILS8_3ELb0ES6_jNS0_17counting_iteratorIjlEEPS9_SE_NS0_5tupleIJPjSE_EEENSF_IJSE_SE_EEES9_SG_JZNS1_25segmented_radix_sort_implINS0_14default_configELb1EPKfPfPKlPlN2at6native12_GLOBAL__N_18offset_tEEE10hipError_tPvRmT1_PNSt15iterator_traitsISY_E10value_typeET2_T3_PNSZ_IS14_E10value_typeET4_jRbjT5_S1A_jjP12ihipStream_tbEUljE_EEESV_SW_SX_S14_S18_S1A_T6_T7_T9_mT8_S1C_bDpT10_ENKUlT_T0_E_clISt17integral_constantIbLb1EES1P_EEDaS1K_S1L_EUlS1K_E_NS1_11comp_targetILNS1_3genE2ELNS1_11target_archE906ELNS1_3gpuE6ELNS1_3repE0EEENS1_30default_config_static_selectorELNS0_4arch9wavefront6targetE0EEEvSY_.has_indirect_call, 0
	.section	.AMDGPU.csdata,"",@progbits
; Kernel info:
; codeLenInByte = 0
; TotalNumSgprs: 0
; NumVgprs: 0
; ScratchSize: 0
; MemoryBound: 0
; FloatMode: 240
; IeeeMode: 1
; LDSByteSize: 0 bytes/workgroup (compile time only)
; SGPRBlocks: 0
; VGPRBlocks: 0
; NumSGPRsForWavesPerEU: 1
; NumVGPRsForWavesPerEU: 1
; Occupancy: 16
; WaveLimiterHint : 0
; COMPUTE_PGM_RSRC2:SCRATCH_EN: 0
; COMPUTE_PGM_RSRC2:USER_SGPR: 6
; COMPUTE_PGM_RSRC2:TRAP_HANDLER: 0
; COMPUTE_PGM_RSRC2:TGID_X_EN: 1
; COMPUTE_PGM_RSRC2:TGID_Y_EN: 0
; COMPUTE_PGM_RSRC2:TGID_Z_EN: 0
; COMPUTE_PGM_RSRC2:TIDIG_COMP_CNT: 0
	.section	.text._ZN7rocprim17ROCPRIM_400000_NS6detail17trampoline_kernelINS0_13select_configILj256ELj13ELNS0_17block_load_methodE3ELS4_3ELS4_3ELNS0_20block_scan_algorithmE0ELj4294967295EEENS1_25partition_config_selectorILNS1_17partition_subalgoE3EjNS0_10empty_typeEbEEZZNS1_14partition_implILS8_3ELb0ES6_jNS0_17counting_iteratorIjlEEPS9_SE_NS0_5tupleIJPjSE_EEENSF_IJSE_SE_EEES9_SG_JZNS1_25segmented_radix_sort_implINS0_14default_configELb1EPKfPfPKlPlN2at6native12_GLOBAL__N_18offset_tEEE10hipError_tPvRmT1_PNSt15iterator_traitsISY_E10value_typeET2_T3_PNSZ_IS14_E10value_typeET4_jRbjT5_S1A_jjP12ihipStream_tbEUljE_EEESV_SW_SX_S14_S18_S1A_T6_T7_T9_mT8_S1C_bDpT10_ENKUlT_T0_E_clISt17integral_constantIbLb1EES1P_EEDaS1K_S1L_EUlS1K_E_NS1_11comp_targetILNS1_3genE10ELNS1_11target_archE1200ELNS1_3gpuE4ELNS1_3repE0EEENS1_30default_config_static_selectorELNS0_4arch9wavefront6targetE0EEEvSY_,"axG",@progbits,_ZN7rocprim17ROCPRIM_400000_NS6detail17trampoline_kernelINS0_13select_configILj256ELj13ELNS0_17block_load_methodE3ELS4_3ELS4_3ELNS0_20block_scan_algorithmE0ELj4294967295EEENS1_25partition_config_selectorILNS1_17partition_subalgoE3EjNS0_10empty_typeEbEEZZNS1_14partition_implILS8_3ELb0ES6_jNS0_17counting_iteratorIjlEEPS9_SE_NS0_5tupleIJPjSE_EEENSF_IJSE_SE_EEES9_SG_JZNS1_25segmented_radix_sort_implINS0_14default_configELb1EPKfPfPKlPlN2at6native12_GLOBAL__N_18offset_tEEE10hipError_tPvRmT1_PNSt15iterator_traitsISY_E10value_typeET2_T3_PNSZ_IS14_E10value_typeET4_jRbjT5_S1A_jjP12ihipStream_tbEUljE_EEESV_SW_SX_S14_S18_S1A_T6_T7_T9_mT8_S1C_bDpT10_ENKUlT_T0_E_clISt17integral_constantIbLb1EES1P_EEDaS1K_S1L_EUlS1K_E_NS1_11comp_targetILNS1_3genE10ELNS1_11target_archE1200ELNS1_3gpuE4ELNS1_3repE0EEENS1_30default_config_static_selectorELNS0_4arch9wavefront6targetE0EEEvSY_,comdat
	.globl	_ZN7rocprim17ROCPRIM_400000_NS6detail17trampoline_kernelINS0_13select_configILj256ELj13ELNS0_17block_load_methodE3ELS4_3ELS4_3ELNS0_20block_scan_algorithmE0ELj4294967295EEENS1_25partition_config_selectorILNS1_17partition_subalgoE3EjNS0_10empty_typeEbEEZZNS1_14partition_implILS8_3ELb0ES6_jNS0_17counting_iteratorIjlEEPS9_SE_NS0_5tupleIJPjSE_EEENSF_IJSE_SE_EEES9_SG_JZNS1_25segmented_radix_sort_implINS0_14default_configELb1EPKfPfPKlPlN2at6native12_GLOBAL__N_18offset_tEEE10hipError_tPvRmT1_PNSt15iterator_traitsISY_E10value_typeET2_T3_PNSZ_IS14_E10value_typeET4_jRbjT5_S1A_jjP12ihipStream_tbEUljE_EEESV_SW_SX_S14_S18_S1A_T6_T7_T9_mT8_S1C_bDpT10_ENKUlT_T0_E_clISt17integral_constantIbLb1EES1P_EEDaS1K_S1L_EUlS1K_E_NS1_11comp_targetILNS1_3genE10ELNS1_11target_archE1200ELNS1_3gpuE4ELNS1_3repE0EEENS1_30default_config_static_selectorELNS0_4arch9wavefront6targetE0EEEvSY_ ; -- Begin function _ZN7rocprim17ROCPRIM_400000_NS6detail17trampoline_kernelINS0_13select_configILj256ELj13ELNS0_17block_load_methodE3ELS4_3ELS4_3ELNS0_20block_scan_algorithmE0ELj4294967295EEENS1_25partition_config_selectorILNS1_17partition_subalgoE3EjNS0_10empty_typeEbEEZZNS1_14partition_implILS8_3ELb0ES6_jNS0_17counting_iteratorIjlEEPS9_SE_NS0_5tupleIJPjSE_EEENSF_IJSE_SE_EEES9_SG_JZNS1_25segmented_radix_sort_implINS0_14default_configELb1EPKfPfPKlPlN2at6native12_GLOBAL__N_18offset_tEEE10hipError_tPvRmT1_PNSt15iterator_traitsISY_E10value_typeET2_T3_PNSZ_IS14_E10value_typeET4_jRbjT5_S1A_jjP12ihipStream_tbEUljE_EEESV_SW_SX_S14_S18_S1A_T6_T7_T9_mT8_S1C_bDpT10_ENKUlT_T0_E_clISt17integral_constantIbLb1EES1P_EEDaS1K_S1L_EUlS1K_E_NS1_11comp_targetILNS1_3genE10ELNS1_11target_archE1200ELNS1_3gpuE4ELNS1_3repE0EEENS1_30default_config_static_selectorELNS0_4arch9wavefront6targetE0EEEvSY_
	.p2align	8
	.type	_ZN7rocprim17ROCPRIM_400000_NS6detail17trampoline_kernelINS0_13select_configILj256ELj13ELNS0_17block_load_methodE3ELS4_3ELS4_3ELNS0_20block_scan_algorithmE0ELj4294967295EEENS1_25partition_config_selectorILNS1_17partition_subalgoE3EjNS0_10empty_typeEbEEZZNS1_14partition_implILS8_3ELb0ES6_jNS0_17counting_iteratorIjlEEPS9_SE_NS0_5tupleIJPjSE_EEENSF_IJSE_SE_EEES9_SG_JZNS1_25segmented_radix_sort_implINS0_14default_configELb1EPKfPfPKlPlN2at6native12_GLOBAL__N_18offset_tEEE10hipError_tPvRmT1_PNSt15iterator_traitsISY_E10value_typeET2_T3_PNSZ_IS14_E10value_typeET4_jRbjT5_S1A_jjP12ihipStream_tbEUljE_EEESV_SW_SX_S14_S18_S1A_T6_T7_T9_mT8_S1C_bDpT10_ENKUlT_T0_E_clISt17integral_constantIbLb1EES1P_EEDaS1K_S1L_EUlS1K_E_NS1_11comp_targetILNS1_3genE10ELNS1_11target_archE1200ELNS1_3gpuE4ELNS1_3repE0EEENS1_30default_config_static_selectorELNS0_4arch9wavefront6targetE0EEEvSY_,@function
_ZN7rocprim17ROCPRIM_400000_NS6detail17trampoline_kernelINS0_13select_configILj256ELj13ELNS0_17block_load_methodE3ELS4_3ELS4_3ELNS0_20block_scan_algorithmE0ELj4294967295EEENS1_25partition_config_selectorILNS1_17partition_subalgoE3EjNS0_10empty_typeEbEEZZNS1_14partition_implILS8_3ELb0ES6_jNS0_17counting_iteratorIjlEEPS9_SE_NS0_5tupleIJPjSE_EEENSF_IJSE_SE_EEES9_SG_JZNS1_25segmented_radix_sort_implINS0_14default_configELb1EPKfPfPKlPlN2at6native12_GLOBAL__N_18offset_tEEE10hipError_tPvRmT1_PNSt15iterator_traitsISY_E10value_typeET2_T3_PNSZ_IS14_E10value_typeET4_jRbjT5_S1A_jjP12ihipStream_tbEUljE_EEESV_SW_SX_S14_S18_S1A_T6_T7_T9_mT8_S1C_bDpT10_ENKUlT_T0_E_clISt17integral_constantIbLb1EES1P_EEDaS1K_S1L_EUlS1K_E_NS1_11comp_targetILNS1_3genE10ELNS1_11target_archE1200ELNS1_3gpuE4ELNS1_3repE0EEENS1_30default_config_static_selectorELNS0_4arch9wavefront6targetE0EEEvSY_: ; @_ZN7rocprim17ROCPRIM_400000_NS6detail17trampoline_kernelINS0_13select_configILj256ELj13ELNS0_17block_load_methodE3ELS4_3ELS4_3ELNS0_20block_scan_algorithmE0ELj4294967295EEENS1_25partition_config_selectorILNS1_17partition_subalgoE3EjNS0_10empty_typeEbEEZZNS1_14partition_implILS8_3ELb0ES6_jNS0_17counting_iteratorIjlEEPS9_SE_NS0_5tupleIJPjSE_EEENSF_IJSE_SE_EEES9_SG_JZNS1_25segmented_radix_sort_implINS0_14default_configELb1EPKfPfPKlPlN2at6native12_GLOBAL__N_18offset_tEEE10hipError_tPvRmT1_PNSt15iterator_traitsISY_E10value_typeET2_T3_PNSZ_IS14_E10value_typeET4_jRbjT5_S1A_jjP12ihipStream_tbEUljE_EEESV_SW_SX_S14_S18_S1A_T6_T7_T9_mT8_S1C_bDpT10_ENKUlT_T0_E_clISt17integral_constantIbLb1EES1P_EEDaS1K_S1L_EUlS1K_E_NS1_11comp_targetILNS1_3genE10ELNS1_11target_archE1200ELNS1_3gpuE4ELNS1_3repE0EEENS1_30default_config_static_selectorELNS0_4arch9wavefront6targetE0EEEvSY_
; %bb.0:
	.section	.rodata,"a",@progbits
	.p2align	6, 0x0
	.amdhsa_kernel _ZN7rocprim17ROCPRIM_400000_NS6detail17trampoline_kernelINS0_13select_configILj256ELj13ELNS0_17block_load_methodE3ELS4_3ELS4_3ELNS0_20block_scan_algorithmE0ELj4294967295EEENS1_25partition_config_selectorILNS1_17partition_subalgoE3EjNS0_10empty_typeEbEEZZNS1_14partition_implILS8_3ELb0ES6_jNS0_17counting_iteratorIjlEEPS9_SE_NS0_5tupleIJPjSE_EEENSF_IJSE_SE_EEES9_SG_JZNS1_25segmented_radix_sort_implINS0_14default_configELb1EPKfPfPKlPlN2at6native12_GLOBAL__N_18offset_tEEE10hipError_tPvRmT1_PNSt15iterator_traitsISY_E10value_typeET2_T3_PNSZ_IS14_E10value_typeET4_jRbjT5_S1A_jjP12ihipStream_tbEUljE_EEESV_SW_SX_S14_S18_S1A_T6_T7_T9_mT8_S1C_bDpT10_ENKUlT_T0_E_clISt17integral_constantIbLb1EES1P_EEDaS1K_S1L_EUlS1K_E_NS1_11comp_targetILNS1_3genE10ELNS1_11target_archE1200ELNS1_3gpuE4ELNS1_3repE0EEENS1_30default_config_static_selectorELNS0_4arch9wavefront6targetE0EEEvSY_
		.amdhsa_group_segment_fixed_size 0
		.amdhsa_private_segment_fixed_size 0
		.amdhsa_kernarg_size 152
		.amdhsa_user_sgpr_count 6
		.amdhsa_user_sgpr_private_segment_buffer 1
		.amdhsa_user_sgpr_dispatch_ptr 0
		.amdhsa_user_sgpr_queue_ptr 0
		.amdhsa_user_sgpr_kernarg_segment_ptr 1
		.amdhsa_user_sgpr_dispatch_id 0
		.amdhsa_user_sgpr_flat_scratch_init 0
		.amdhsa_user_sgpr_private_segment_size 0
		.amdhsa_wavefront_size32 1
		.amdhsa_uses_dynamic_stack 0
		.amdhsa_system_sgpr_private_segment_wavefront_offset 0
		.amdhsa_system_sgpr_workgroup_id_x 1
		.amdhsa_system_sgpr_workgroup_id_y 0
		.amdhsa_system_sgpr_workgroup_id_z 0
		.amdhsa_system_sgpr_workgroup_info 0
		.amdhsa_system_vgpr_workitem_id 0
		.amdhsa_next_free_vgpr 1
		.amdhsa_next_free_sgpr 1
		.amdhsa_reserve_vcc 0
		.amdhsa_reserve_flat_scratch 0
		.amdhsa_float_round_mode_32 0
		.amdhsa_float_round_mode_16_64 0
		.amdhsa_float_denorm_mode_32 3
		.amdhsa_float_denorm_mode_16_64 3
		.amdhsa_dx10_clamp 1
		.amdhsa_ieee_mode 1
		.amdhsa_fp16_overflow 0
		.amdhsa_workgroup_processor_mode 1
		.amdhsa_memory_ordered 1
		.amdhsa_forward_progress 1
		.amdhsa_shared_vgpr_count 0
		.amdhsa_exception_fp_ieee_invalid_op 0
		.amdhsa_exception_fp_denorm_src 0
		.amdhsa_exception_fp_ieee_div_zero 0
		.amdhsa_exception_fp_ieee_overflow 0
		.amdhsa_exception_fp_ieee_underflow 0
		.amdhsa_exception_fp_ieee_inexact 0
		.amdhsa_exception_int_div_zero 0
	.end_amdhsa_kernel
	.section	.text._ZN7rocprim17ROCPRIM_400000_NS6detail17trampoline_kernelINS0_13select_configILj256ELj13ELNS0_17block_load_methodE3ELS4_3ELS4_3ELNS0_20block_scan_algorithmE0ELj4294967295EEENS1_25partition_config_selectorILNS1_17partition_subalgoE3EjNS0_10empty_typeEbEEZZNS1_14partition_implILS8_3ELb0ES6_jNS0_17counting_iteratorIjlEEPS9_SE_NS0_5tupleIJPjSE_EEENSF_IJSE_SE_EEES9_SG_JZNS1_25segmented_radix_sort_implINS0_14default_configELb1EPKfPfPKlPlN2at6native12_GLOBAL__N_18offset_tEEE10hipError_tPvRmT1_PNSt15iterator_traitsISY_E10value_typeET2_T3_PNSZ_IS14_E10value_typeET4_jRbjT5_S1A_jjP12ihipStream_tbEUljE_EEESV_SW_SX_S14_S18_S1A_T6_T7_T9_mT8_S1C_bDpT10_ENKUlT_T0_E_clISt17integral_constantIbLb1EES1P_EEDaS1K_S1L_EUlS1K_E_NS1_11comp_targetILNS1_3genE10ELNS1_11target_archE1200ELNS1_3gpuE4ELNS1_3repE0EEENS1_30default_config_static_selectorELNS0_4arch9wavefront6targetE0EEEvSY_,"axG",@progbits,_ZN7rocprim17ROCPRIM_400000_NS6detail17trampoline_kernelINS0_13select_configILj256ELj13ELNS0_17block_load_methodE3ELS4_3ELS4_3ELNS0_20block_scan_algorithmE0ELj4294967295EEENS1_25partition_config_selectorILNS1_17partition_subalgoE3EjNS0_10empty_typeEbEEZZNS1_14partition_implILS8_3ELb0ES6_jNS0_17counting_iteratorIjlEEPS9_SE_NS0_5tupleIJPjSE_EEENSF_IJSE_SE_EEES9_SG_JZNS1_25segmented_radix_sort_implINS0_14default_configELb1EPKfPfPKlPlN2at6native12_GLOBAL__N_18offset_tEEE10hipError_tPvRmT1_PNSt15iterator_traitsISY_E10value_typeET2_T3_PNSZ_IS14_E10value_typeET4_jRbjT5_S1A_jjP12ihipStream_tbEUljE_EEESV_SW_SX_S14_S18_S1A_T6_T7_T9_mT8_S1C_bDpT10_ENKUlT_T0_E_clISt17integral_constantIbLb1EES1P_EEDaS1K_S1L_EUlS1K_E_NS1_11comp_targetILNS1_3genE10ELNS1_11target_archE1200ELNS1_3gpuE4ELNS1_3repE0EEENS1_30default_config_static_selectorELNS0_4arch9wavefront6targetE0EEEvSY_,comdat
.Lfunc_end1298:
	.size	_ZN7rocprim17ROCPRIM_400000_NS6detail17trampoline_kernelINS0_13select_configILj256ELj13ELNS0_17block_load_methodE3ELS4_3ELS4_3ELNS0_20block_scan_algorithmE0ELj4294967295EEENS1_25partition_config_selectorILNS1_17partition_subalgoE3EjNS0_10empty_typeEbEEZZNS1_14partition_implILS8_3ELb0ES6_jNS0_17counting_iteratorIjlEEPS9_SE_NS0_5tupleIJPjSE_EEENSF_IJSE_SE_EEES9_SG_JZNS1_25segmented_radix_sort_implINS0_14default_configELb1EPKfPfPKlPlN2at6native12_GLOBAL__N_18offset_tEEE10hipError_tPvRmT1_PNSt15iterator_traitsISY_E10value_typeET2_T3_PNSZ_IS14_E10value_typeET4_jRbjT5_S1A_jjP12ihipStream_tbEUljE_EEESV_SW_SX_S14_S18_S1A_T6_T7_T9_mT8_S1C_bDpT10_ENKUlT_T0_E_clISt17integral_constantIbLb1EES1P_EEDaS1K_S1L_EUlS1K_E_NS1_11comp_targetILNS1_3genE10ELNS1_11target_archE1200ELNS1_3gpuE4ELNS1_3repE0EEENS1_30default_config_static_selectorELNS0_4arch9wavefront6targetE0EEEvSY_, .Lfunc_end1298-_ZN7rocprim17ROCPRIM_400000_NS6detail17trampoline_kernelINS0_13select_configILj256ELj13ELNS0_17block_load_methodE3ELS4_3ELS4_3ELNS0_20block_scan_algorithmE0ELj4294967295EEENS1_25partition_config_selectorILNS1_17partition_subalgoE3EjNS0_10empty_typeEbEEZZNS1_14partition_implILS8_3ELb0ES6_jNS0_17counting_iteratorIjlEEPS9_SE_NS0_5tupleIJPjSE_EEENSF_IJSE_SE_EEES9_SG_JZNS1_25segmented_radix_sort_implINS0_14default_configELb1EPKfPfPKlPlN2at6native12_GLOBAL__N_18offset_tEEE10hipError_tPvRmT1_PNSt15iterator_traitsISY_E10value_typeET2_T3_PNSZ_IS14_E10value_typeET4_jRbjT5_S1A_jjP12ihipStream_tbEUljE_EEESV_SW_SX_S14_S18_S1A_T6_T7_T9_mT8_S1C_bDpT10_ENKUlT_T0_E_clISt17integral_constantIbLb1EES1P_EEDaS1K_S1L_EUlS1K_E_NS1_11comp_targetILNS1_3genE10ELNS1_11target_archE1200ELNS1_3gpuE4ELNS1_3repE0EEENS1_30default_config_static_selectorELNS0_4arch9wavefront6targetE0EEEvSY_
                                        ; -- End function
	.set _ZN7rocprim17ROCPRIM_400000_NS6detail17trampoline_kernelINS0_13select_configILj256ELj13ELNS0_17block_load_methodE3ELS4_3ELS4_3ELNS0_20block_scan_algorithmE0ELj4294967295EEENS1_25partition_config_selectorILNS1_17partition_subalgoE3EjNS0_10empty_typeEbEEZZNS1_14partition_implILS8_3ELb0ES6_jNS0_17counting_iteratorIjlEEPS9_SE_NS0_5tupleIJPjSE_EEENSF_IJSE_SE_EEES9_SG_JZNS1_25segmented_radix_sort_implINS0_14default_configELb1EPKfPfPKlPlN2at6native12_GLOBAL__N_18offset_tEEE10hipError_tPvRmT1_PNSt15iterator_traitsISY_E10value_typeET2_T3_PNSZ_IS14_E10value_typeET4_jRbjT5_S1A_jjP12ihipStream_tbEUljE_EEESV_SW_SX_S14_S18_S1A_T6_T7_T9_mT8_S1C_bDpT10_ENKUlT_T0_E_clISt17integral_constantIbLb1EES1P_EEDaS1K_S1L_EUlS1K_E_NS1_11comp_targetILNS1_3genE10ELNS1_11target_archE1200ELNS1_3gpuE4ELNS1_3repE0EEENS1_30default_config_static_selectorELNS0_4arch9wavefront6targetE0EEEvSY_.num_vgpr, 0
	.set _ZN7rocprim17ROCPRIM_400000_NS6detail17trampoline_kernelINS0_13select_configILj256ELj13ELNS0_17block_load_methodE3ELS4_3ELS4_3ELNS0_20block_scan_algorithmE0ELj4294967295EEENS1_25partition_config_selectorILNS1_17partition_subalgoE3EjNS0_10empty_typeEbEEZZNS1_14partition_implILS8_3ELb0ES6_jNS0_17counting_iteratorIjlEEPS9_SE_NS0_5tupleIJPjSE_EEENSF_IJSE_SE_EEES9_SG_JZNS1_25segmented_radix_sort_implINS0_14default_configELb1EPKfPfPKlPlN2at6native12_GLOBAL__N_18offset_tEEE10hipError_tPvRmT1_PNSt15iterator_traitsISY_E10value_typeET2_T3_PNSZ_IS14_E10value_typeET4_jRbjT5_S1A_jjP12ihipStream_tbEUljE_EEESV_SW_SX_S14_S18_S1A_T6_T7_T9_mT8_S1C_bDpT10_ENKUlT_T0_E_clISt17integral_constantIbLb1EES1P_EEDaS1K_S1L_EUlS1K_E_NS1_11comp_targetILNS1_3genE10ELNS1_11target_archE1200ELNS1_3gpuE4ELNS1_3repE0EEENS1_30default_config_static_selectorELNS0_4arch9wavefront6targetE0EEEvSY_.num_agpr, 0
	.set _ZN7rocprim17ROCPRIM_400000_NS6detail17trampoline_kernelINS0_13select_configILj256ELj13ELNS0_17block_load_methodE3ELS4_3ELS4_3ELNS0_20block_scan_algorithmE0ELj4294967295EEENS1_25partition_config_selectorILNS1_17partition_subalgoE3EjNS0_10empty_typeEbEEZZNS1_14partition_implILS8_3ELb0ES6_jNS0_17counting_iteratorIjlEEPS9_SE_NS0_5tupleIJPjSE_EEENSF_IJSE_SE_EEES9_SG_JZNS1_25segmented_radix_sort_implINS0_14default_configELb1EPKfPfPKlPlN2at6native12_GLOBAL__N_18offset_tEEE10hipError_tPvRmT1_PNSt15iterator_traitsISY_E10value_typeET2_T3_PNSZ_IS14_E10value_typeET4_jRbjT5_S1A_jjP12ihipStream_tbEUljE_EEESV_SW_SX_S14_S18_S1A_T6_T7_T9_mT8_S1C_bDpT10_ENKUlT_T0_E_clISt17integral_constantIbLb1EES1P_EEDaS1K_S1L_EUlS1K_E_NS1_11comp_targetILNS1_3genE10ELNS1_11target_archE1200ELNS1_3gpuE4ELNS1_3repE0EEENS1_30default_config_static_selectorELNS0_4arch9wavefront6targetE0EEEvSY_.numbered_sgpr, 0
	.set _ZN7rocprim17ROCPRIM_400000_NS6detail17trampoline_kernelINS0_13select_configILj256ELj13ELNS0_17block_load_methodE3ELS4_3ELS4_3ELNS0_20block_scan_algorithmE0ELj4294967295EEENS1_25partition_config_selectorILNS1_17partition_subalgoE3EjNS0_10empty_typeEbEEZZNS1_14partition_implILS8_3ELb0ES6_jNS0_17counting_iteratorIjlEEPS9_SE_NS0_5tupleIJPjSE_EEENSF_IJSE_SE_EEES9_SG_JZNS1_25segmented_radix_sort_implINS0_14default_configELb1EPKfPfPKlPlN2at6native12_GLOBAL__N_18offset_tEEE10hipError_tPvRmT1_PNSt15iterator_traitsISY_E10value_typeET2_T3_PNSZ_IS14_E10value_typeET4_jRbjT5_S1A_jjP12ihipStream_tbEUljE_EEESV_SW_SX_S14_S18_S1A_T6_T7_T9_mT8_S1C_bDpT10_ENKUlT_T0_E_clISt17integral_constantIbLb1EES1P_EEDaS1K_S1L_EUlS1K_E_NS1_11comp_targetILNS1_3genE10ELNS1_11target_archE1200ELNS1_3gpuE4ELNS1_3repE0EEENS1_30default_config_static_selectorELNS0_4arch9wavefront6targetE0EEEvSY_.num_named_barrier, 0
	.set _ZN7rocprim17ROCPRIM_400000_NS6detail17trampoline_kernelINS0_13select_configILj256ELj13ELNS0_17block_load_methodE3ELS4_3ELS4_3ELNS0_20block_scan_algorithmE0ELj4294967295EEENS1_25partition_config_selectorILNS1_17partition_subalgoE3EjNS0_10empty_typeEbEEZZNS1_14partition_implILS8_3ELb0ES6_jNS0_17counting_iteratorIjlEEPS9_SE_NS0_5tupleIJPjSE_EEENSF_IJSE_SE_EEES9_SG_JZNS1_25segmented_radix_sort_implINS0_14default_configELb1EPKfPfPKlPlN2at6native12_GLOBAL__N_18offset_tEEE10hipError_tPvRmT1_PNSt15iterator_traitsISY_E10value_typeET2_T3_PNSZ_IS14_E10value_typeET4_jRbjT5_S1A_jjP12ihipStream_tbEUljE_EEESV_SW_SX_S14_S18_S1A_T6_T7_T9_mT8_S1C_bDpT10_ENKUlT_T0_E_clISt17integral_constantIbLb1EES1P_EEDaS1K_S1L_EUlS1K_E_NS1_11comp_targetILNS1_3genE10ELNS1_11target_archE1200ELNS1_3gpuE4ELNS1_3repE0EEENS1_30default_config_static_selectorELNS0_4arch9wavefront6targetE0EEEvSY_.private_seg_size, 0
	.set _ZN7rocprim17ROCPRIM_400000_NS6detail17trampoline_kernelINS0_13select_configILj256ELj13ELNS0_17block_load_methodE3ELS4_3ELS4_3ELNS0_20block_scan_algorithmE0ELj4294967295EEENS1_25partition_config_selectorILNS1_17partition_subalgoE3EjNS0_10empty_typeEbEEZZNS1_14partition_implILS8_3ELb0ES6_jNS0_17counting_iteratorIjlEEPS9_SE_NS0_5tupleIJPjSE_EEENSF_IJSE_SE_EEES9_SG_JZNS1_25segmented_radix_sort_implINS0_14default_configELb1EPKfPfPKlPlN2at6native12_GLOBAL__N_18offset_tEEE10hipError_tPvRmT1_PNSt15iterator_traitsISY_E10value_typeET2_T3_PNSZ_IS14_E10value_typeET4_jRbjT5_S1A_jjP12ihipStream_tbEUljE_EEESV_SW_SX_S14_S18_S1A_T6_T7_T9_mT8_S1C_bDpT10_ENKUlT_T0_E_clISt17integral_constantIbLb1EES1P_EEDaS1K_S1L_EUlS1K_E_NS1_11comp_targetILNS1_3genE10ELNS1_11target_archE1200ELNS1_3gpuE4ELNS1_3repE0EEENS1_30default_config_static_selectorELNS0_4arch9wavefront6targetE0EEEvSY_.uses_vcc, 0
	.set _ZN7rocprim17ROCPRIM_400000_NS6detail17trampoline_kernelINS0_13select_configILj256ELj13ELNS0_17block_load_methodE3ELS4_3ELS4_3ELNS0_20block_scan_algorithmE0ELj4294967295EEENS1_25partition_config_selectorILNS1_17partition_subalgoE3EjNS0_10empty_typeEbEEZZNS1_14partition_implILS8_3ELb0ES6_jNS0_17counting_iteratorIjlEEPS9_SE_NS0_5tupleIJPjSE_EEENSF_IJSE_SE_EEES9_SG_JZNS1_25segmented_radix_sort_implINS0_14default_configELb1EPKfPfPKlPlN2at6native12_GLOBAL__N_18offset_tEEE10hipError_tPvRmT1_PNSt15iterator_traitsISY_E10value_typeET2_T3_PNSZ_IS14_E10value_typeET4_jRbjT5_S1A_jjP12ihipStream_tbEUljE_EEESV_SW_SX_S14_S18_S1A_T6_T7_T9_mT8_S1C_bDpT10_ENKUlT_T0_E_clISt17integral_constantIbLb1EES1P_EEDaS1K_S1L_EUlS1K_E_NS1_11comp_targetILNS1_3genE10ELNS1_11target_archE1200ELNS1_3gpuE4ELNS1_3repE0EEENS1_30default_config_static_selectorELNS0_4arch9wavefront6targetE0EEEvSY_.uses_flat_scratch, 0
	.set _ZN7rocprim17ROCPRIM_400000_NS6detail17trampoline_kernelINS0_13select_configILj256ELj13ELNS0_17block_load_methodE3ELS4_3ELS4_3ELNS0_20block_scan_algorithmE0ELj4294967295EEENS1_25partition_config_selectorILNS1_17partition_subalgoE3EjNS0_10empty_typeEbEEZZNS1_14partition_implILS8_3ELb0ES6_jNS0_17counting_iteratorIjlEEPS9_SE_NS0_5tupleIJPjSE_EEENSF_IJSE_SE_EEES9_SG_JZNS1_25segmented_radix_sort_implINS0_14default_configELb1EPKfPfPKlPlN2at6native12_GLOBAL__N_18offset_tEEE10hipError_tPvRmT1_PNSt15iterator_traitsISY_E10value_typeET2_T3_PNSZ_IS14_E10value_typeET4_jRbjT5_S1A_jjP12ihipStream_tbEUljE_EEESV_SW_SX_S14_S18_S1A_T6_T7_T9_mT8_S1C_bDpT10_ENKUlT_T0_E_clISt17integral_constantIbLb1EES1P_EEDaS1K_S1L_EUlS1K_E_NS1_11comp_targetILNS1_3genE10ELNS1_11target_archE1200ELNS1_3gpuE4ELNS1_3repE0EEENS1_30default_config_static_selectorELNS0_4arch9wavefront6targetE0EEEvSY_.has_dyn_sized_stack, 0
	.set _ZN7rocprim17ROCPRIM_400000_NS6detail17trampoline_kernelINS0_13select_configILj256ELj13ELNS0_17block_load_methodE3ELS4_3ELS4_3ELNS0_20block_scan_algorithmE0ELj4294967295EEENS1_25partition_config_selectorILNS1_17partition_subalgoE3EjNS0_10empty_typeEbEEZZNS1_14partition_implILS8_3ELb0ES6_jNS0_17counting_iteratorIjlEEPS9_SE_NS0_5tupleIJPjSE_EEENSF_IJSE_SE_EEES9_SG_JZNS1_25segmented_radix_sort_implINS0_14default_configELb1EPKfPfPKlPlN2at6native12_GLOBAL__N_18offset_tEEE10hipError_tPvRmT1_PNSt15iterator_traitsISY_E10value_typeET2_T3_PNSZ_IS14_E10value_typeET4_jRbjT5_S1A_jjP12ihipStream_tbEUljE_EEESV_SW_SX_S14_S18_S1A_T6_T7_T9_mT8_S1C_bDpT10_ENKUlT_T0_E_clISt17integral_constantIbLb1EES1P_EEDaS1K_S1L_EUlS1K_E_NS1_11comp_targetILNS1_3genE10ELNS1_11target_archE1200ELNS1_3gpuE4ELNS1_3repE0EEENS1_30default_config_static_selectorELNS0_4arch9wavefront6targetE0EEEvSY_.has_recursion, 0
	.set _ZN7rocprim17ROCPRIM_400000_NS6detail17trampoline_kernelINS0_13select_configILj256ELj13ELNS0_17block_load_methodE3ELS4_3ELS4_3ELNS0_20block_scan_algorithmE0ELj4294967295EEENS1_25partition_config_selectorILNS1_17partition_subalgoE3EjNS0_10empty_typeEbEEZZNS1_14partition_implILS8_3ELb0ES6_jNS0_17counting_iteratorIjlEEPS9_SE_NS0_5tupleIJPjSE_EEENSF_IJSE_SE_EEES9_SG_JZNS1_25segmented_radix_sort_implINS0_14default_configELb1EPKfPfPKlPlN2at6native12_GLOBAL__N_18offset_tEEE10hipError_tPvRmT1_PNSt15iterator_traitsISY_E10value_typeET2_T3_PNSZ_IS14_E10value_typeET4_jRbjT5_S1A_jjP12ihipStream_tbEUljE_EEESV_SW_SX_S14_S18_S1A_T6_T7_T9_mT8_S1C_bDpT10_ENKUlT_T0_E_clISt17integral_constantIbLb1EES1P_EEDaS1K_S1L_EUlS1K_E_NS1_11comp_targetILNS1_3genE10ELNS1_11target_archE1200ELNS1_3gpuE4ELNS1_3repE0EEENS1_30default_config_static_selectorELNS0_4arch9wavefront6targetE0EEEvSY_.has_indirect_call, 0
	.section	.AMDGPU.csdata,"",@progbits
; Kernel info:
; codeLenInByte = 0
; TotalNumSgprs: 0
; NumVgprs: 0
; ScratchSize: 0
; MemoryBound: 0
; FloatMode: 240
; IeeeMode: 1
; LDSByteSize: 0 bytes/workgroup (compile time only)
; SGPRBlocks: 0
; VGPRBlocks: 0
; NumSGPRsForWavesPerEU: 1
; NumVGPRsForWavesPerEU: 1
; Occupancy: 16
; WaveLimiterHint : 0
; COMPUTE_PGM_RSRC2:SCRATCH_EN: 0
; COMPUTE_PGM_RSRC2:USER_SGPR: 6
; COMPUTE_PGM_RSRC2:TRAP_HANDLER: 0
; COMPUTE_PGM_RSRC2:TGID_X_EN: 1
; COMPUTE_PGM_RSRC2:TGID_Y_EN: 0
; COMPUTE_PGM_RSRC2:TGID_Z_EN: 0
; COMPUTE_PGM_RSRC2:TIDIG_COMP_CNT: 0
	.section	.text._ZN7rocprim17ROCPRIM_400000_NS6detail17trampoline_kernelINS0_13select_configILj256ELj13ELNS0_17block_load_methodE3ELS4_3ELS4_3ELNS0_20block_scan_algorithmE0ELj4294967295EEENS1_25partition_config_selectorILNS1_17partition_subalgoE3EjNS0_10empty_typeEbEEZZNS1_14partition_implILS8_3ELb0ES6_jNS0_17counting_iteratorIjlEEPS9_SE_NS0_5tupleIJPjSE_EEENSF_IJSE_SE_EEES9_SG_JZNS1_25segmented_radix_sort_implINS0_14default_configELb1EPKfPfPKlPlN2at6native12_GLOBAL__N_18offset_tEEE10hipError_tPvRmT1_PNSt15iterator_traitsISY_E10value_typeET2_T3_PNSZ_IS14_E10value_typeET4_jRbjT5_S1A_jjP12ihipStream_tbEUljE_EEESV_SW_SX_S14_S18_S1A_T6_T7_T9_mT8_S1C_bDpT10_ENKUlT_T0_E_clISt17integral_constantIbLb1EES1P_EEDaS1K_S1L_EUlS1K_E_NS1_11comp_targetILNS1_3genE9ELNS1_11target_archE1100ELNS1_3gpuE3ELNS1_3repE0EEENS1_30default_config_static_selectorELNS0_4arch9wavefront6targetE0EEEvSY_,"axG",@progbits,_ZN7rocprim17ROCPRIM_400000_NS6detail17trampoline_kernelINS0_13select_configILj256ELj13ELNS0_17block_load_methodE3ELS4_3ELS4_3ELNS0_20block_scan_algorithmE0ELj4294967295EEENS1_25partition_config_selectorILNS1_17partition_subalgoE3EjNS0_10empty_typeEbEEZZNS1_14partition_implILS8_3ELb0ES6_jNS0_17counting_iteratorIjlEEPS9_SE_NS0_5tupleIJPjSE_EEENSF_IJSE_SE_EEES9_SG_JZNS1_25segmented_radix_sort_implINS0_14default_configELb1EPKfPfPKlPlN2at6native12_GLOBAL__N_18offset_tEEE10hipError_tPvRmT1_PNSt15iterator_traitsISY_E10value_typeET2_T3_PNSZ_IS14_E10value_typeET4_jRbjT5_S1A_jjP12ihipStream_tbEUljE_EEESV_SW_SX_S14_S18_S1A_T6_T7_T9_mT8_S1C_bDpT10_ENKUlT_T0_E_clISt17integral_constantIbLb1EES1P_EEDaS1K_S1L_EUlS1K_E_NS1_11comp_targetILNS1_3genE9ELNS1_11target_archE1100ELNS1_3gpuE3ELNS1_3repE0EEENS1_30default_config_static_selectorELNS0_4arch9wavefront6targetE0EEEvSY_,comdat
	.globl	_ZN7rocprim17ROCPRIM_400000_NS6detail17trampoline_kernelINS0_13select_configILj256ELj13ELNS0_17block_load_methodE3ELS4_3ELS4_3ELNS0_20block_scan_algorithmE0ELj4294967295EEENS1_25partition_config_selectorILNS1_17partition_subalgoE3EjNS0_10empty_typeEbEEZZNS1_14partition_implILS8_3ELb0ES6_jNS0_17counting_iteratorIjlEEPS9_SE_NS0_5tupleIJPjSE_EEENSF_IJSE_SE_EEES9_SG_JZNS1_25segmented_radix_sort_implINS0_14default_configELb1EPKfPfPKlPlN2at6native12_GLOBAL__N_18offset_tEEE10hipError_tPvRmT1_PNSt15iterator_traitsISY_E10value_typeET2_T3_PNSZ_IS14_E10value_typeET4_jRbjT5_S1A_jjP12ihipStream_tbEUljE_EEESV_SW_SX_S14_S18_S1A_T6_T7_T9_mT8_S1C_bDpT10_ENKUlT_T0_E_clISt17integral_constantIbLb1EES1P_EEDaS1K_S1L_EUlS1K_E_NS1_11comp_targetILNS1_3genE9ELNS1_11target_archE1100ELNS1_3gpuE3ELNS1_3repE0EEENS1_30default_config_static_selectorELNS0_4arch9wavefront6targetE0EEEvSY_ ; -- Begin function _ZN7rocprim17ROCPRIM_400000_NS6detail17trampoline_kernelINS0_13select_configILj256ELj13ELNS0_17block_load_methodE3ELS4_3ELS4_3ELNS0_20block_scan_algorithmE0ELj4294967295EEENS1_25partition_config_selectorILNS1_17partition_subalgoE3EjNS0_10empty_typeEbEEZZNS1_14partition_implILS8_3ELb0ES6_jNS0_17counting_iteratorIjlEEPS9_SE_NS0_5tupleIJPjSE_EEENSF_IJSE_SE_EEES9_SG_JZNS1_25segmented_radix_sort_implINS0_14default_configELb1EPKfPfPKlPlN2at6native12_GLOBAL__N_18offset_tEEE10hipError_tPvRmT1_PNSt15iterator_traitsISY_E10value_typeET2_T3_PNSZ_IS14_E10value_typeET4_jRbjT5_S1A_jjP12ihipStream_tbEUljE_EEESV_SW_SX_S14_S18_S1A_T6_T7_T9_mT8_S1C_bDpT10_ENKUlT_T0_E_clISt17integral_constantIbLb1EES1P_EEDaS1K_S1L_EUlS1K_E_NS1_11comp_targetILNS1_3genE9ELNS1_11target_archE1100ELNS1_3gpuE3ELNS1_3repE0EEENS1_30default_config_static_selectorELNS0_4arch9wavefront6targetE0EEEvSY_
	.p2align	8
	.type	_ZN7rocprim17ROCPRIM_400000_NS6detail17trampoline_kernelINS0_13select_configILj256ELj13ELNS0_17block_load_methodE3ELS4_3ELS4_3ELNS0_20block_scan_algorithmE0ELj4294967295EEENS1_25partition_config_selectorILNS1_17partition_subalgoE3EjNS0_10empty_typeEbEEZZNS1_14partition_implILS8_3ELb0ES6_jNS0_17counting_iteratorIjlEEPS9_SE_NS0_5tupleIJPjSE_EEENSF_IJSE_SE_EEES9_SG_JZNS1_25segmented_radix_sort_implINS0_14default_configELb1EPKfPfPKlPlN2at6native12_GLOBAL__N_18offset_tEEE10hipError_tPvRmT1_PNSt15iterator_traitsISY_E10value_typeET2_T3_PNSZ_IS14_E10value_typeET4_jRbjT5_S1A_jjP12ihipStream_tbEUljE_EEESV_SW_SX_S14_S18_S1A_T6_T7_T9_mT8_S1C_bDpT10_ENKUlT_T0_E_clISt17integral_constantIbLb1EES1P_EEDaS1K_S1L_EUlS1K_E_NS1_11comp_targetILNS1_3genE9ELNS1_11target_archE1100ELNS1_3gpuE3ELNS1_3repE0EEENS1_30default_config_static_selectorELNS0_4arch9wavefront6targetE0EEEvSY_,@function
_ZN7rocprim17ROCPRIM_400000_NS6detail17trampoline_kernelINS0_13select_configILj256ELj13ELNS0_17block_load_methodE3ELS4_3ELS4_3ELNS0_20block_scan_algorithmE0ELj4294967295EEENS1_25partition_config_selectorILNS1_17partition_subalgoE3EjNS0_10empty_typeEbEEZZNS1_14partition_implILS8_3ELb0ES6_jNS0_17counting_iteratorIjlEEPS9_SE_NS0_5tupleIJPjSE_EEENSF_IJSE_SE_EEES9_SG_JZNS1_25segmented_radix_sort_implINS0_14default_configELb1EPKfPfPKlPlN2at6native12_GLOBAL__N_18offset_tEEE10hipError_tPvRmT1_PNSt15iterator_traitsISY_E10value_typeET2_T3_PNSZ_IS14_E10value_typeET4_jRbjT5_S1A_jjP12ihipStream_tbEUljE_EEESV_SW_SX_S14_S18_S1A_T6_T7_T9_mT8_S1C_bDpT10_ENKUlT_T0_E_clISt17integral_constantIbLb1EES1P_EEDaS1K_S1L_EUlS1K_E_NS1_11comp_targetILNS1_3genE9ELNS1_11target_archE1100ELNS1_3gpuE3ELNS1_3repE0EEENS1_30default_config_static_selectorELNS0_4arch9wavefront6targetE0EEEvSY_: ; @_ZN7rocprim17ROCPRIM_400000_NS6detail17trampoline_kernelINS0_13select_configILj256ELj13ELNS0_17block_load_methodE3ELS4_3ELS4_3ELNS0_20block_scan_algorithmE0ELj4294967295EEENS1_25partition_config_selectorILNS1_17partition_subalgoE3EjNS0_10empty_typeEbEEZZNS1_14partition_implILS8_3ELb0ES6_jNS0_17counting_iteratorIjlEEPS9_SE_NS0_5tupleIJPjSE_EEENSF_IJSE_SE_EEES9_SG_JZNS1_25segmented_radix_sort_implINS0_14default_configELb1EPKfPfPKlPlN2at6native12_GLOBAL__N_18offset_tEEE10hipError_tPvRmT1_PNSt15iterator_traitsISY_E10value_typeET2_T3_PNSZ_IS14_E10value_typeET4_jRbjT5_S1A_jjP12ihipStream_tbEUljE_EEESV_SW_SX_S14_S18_S1A_T6_T7_T9_mT8_S1C_bDpT10_ENKUlT_T0_E_clISt17integral_constantIbLb1EES1P_EEDaS1K_S1L_EUlS1K_E_NS1_11comp_targetILNS1_3genE9ELNS1_11target_archE1100ELNS1_3gpuE3ELNS1_3repE0EEENS1_30default_config_static_selectorELNS0_4arch9wavefront6targetE0EEEvSY_
; %bb.0:
	.section	.rodata,"a",@progbits
	.p2align	6, 0x0
	.amdhsa_kernel _ZN7rocprim17ROCPRIM_400000_NS6detail17trampoline_kernelINS0_13select_configILj256ELj13ELNS0_17block_load_methodE3ELS4_3ELS4_3ELNS0_20block_scan_algorithmE0ELj4294967295EEENS1_25partition_config_selectorILNS1_17partition_subalgoE3EjNS0_10empty_typeEbEEZZNS1_14partition_implILS8_3ELb0ES6_jNS0_17counting_iteratorIjlEEPS9_SE_NS0_5tupleIJPjSE_EEENSF_IJSE_SE_EEES9_SG_JZNS1_25segmented_radix_sort_implINS0_14default_configELb1EPKfPfPKlPlN2at6native12_GLOBAL__N_18offset_tEEE10hipError_tPvRmT1_PNSt15iterator_traitsISY_E10value_typeET2_T3_PNSZ_IS14_E10value_typeET4_jRbjT5_S1A_jjP12ihipStream_tbEUljE_EEESV_SW_SX_S14_S18_S1A_T6_T7_T9_mT8_S1C_bDpT10_ENKUlT_T0_E_clISt17integral_constantIbLb1EES1P_EEDaS1K_S1L_EUlS1K_E_NS1_11comp_targetILNS1_3genE9ELNS1_11target_archE1100ELNS1_3gpuE3ELNS1_3repE0EEENS1_30default_config_static_selectorELNS0_4arch9wavefront6targetE0EEEvSY_
		.amdhsa_group_segment_fixed_size 0
		.amdhsa_private_segment_fixed_size 0
		.amdhsa_kernarg_size 152
		.amdhsa_user_sgpr_count 6
		.amdhsa_user_sgpr_private_segment_buffer 1
		.amdhsa_user_sgpr_dispatch_ptr 0
		.amdhsa_user_sgpr_queue_ptr 0
		.amdhsa_user_sgpr_kernarg_segment_ptr 1
		.amdhsa_user_sgpr_dispatch_id 0
		.amdhsa_user_sgpr_flat_scratch_init 0
		.amdhsa_user_sgpr_private_segment_size 0
		.amdhsa_wavefront_size32 1
		.amdhsa_uses_dynamic_stack 0
		.amdhsa_system_sgpr_private_segment_wavefront_offset 0
		.amdhsa_system_sgpr_workgroup_id_x 1
		.amdhsa_system_sgpr_workgroup_id_y 0
		.amdhsa_system_sgpr_workgroup_id_z 0
		.amdhsa_system_sgpr_workgroup_info 0
		.amdhsa_system_vgpr_workitem_id 0
		.amdhsa_next_free_vgpr 1
		.amdhsa_next_free_sgpr 1
		.amdhsa_reserve_vcc 0
		.amdhsa_reserve_flat_scratch 0
		.amdhsa_float_round_mode_32 0
		.amdhsa_float_round_mode_16_64 0
		.amdhsa_float_denorm_mode_32 3
		.amdhsa_float_denorm_mode_16_64 3
		.amdhsa_dx10_clamp 1
		.amdhsa_ieee_mode 1
		.amdhsa_fp16_overflow 0
		.amdhsa_workgroup_processor_mode 1
		.amdhsa_memory_ordered 1
		.amdhsa_forward_progress 1
		.amdhsa_shared_vgpr_count 0
		.amdhsa_exception_fp_ieee_invalid_op 0
		.amdhsa_exception_fp_denorm_src 0
		.amdhsa_exception_fp_ieee_div_zero 0
		.amdhsa_exception_fp_ieee_overflow 0
		.amdhsa_exception_fp_ieee_underflow 0
		.amdhsa_exception_fp_ieee_inexact 0
		.amdhsa_exception_int_div_zero 0
	.end_amdhsa_kernel
	.section	.text._ZN7rocprim17ROCPRIM_400000_NS6detail17trampoline_kernelINS0_13select_configILj256ELj13ELNS0_17block_load_methodE3ELS4_3ELS4_3ELNS0_20block_scan_algorithmE0ELj4294967295EEENS1_25partition_config_selectorILNS1_17partition_subalgoE3EjNS0_10empty_typeEbEEZZNS1_14partition_implILS8_3ELb0ES6_jNS0_17counting_iteratorIjlEEPS9_SE_NS0_5tupleIJPjSE_EEENSF_IJSE_SE_EEES9_SG_JZNS1_25segmented_radix_sort_implINS0_14default_configELb1EPKfPfPKlPlN2at6native12_GLOBAL__N_18offset_tEEE10hipError_tPvRmT1_PNSt15iterator_traitsISY_E10value_typeET2_T3_PNSZ_IS14_E10value_typeET4_jRbjT5_S1A_jjP12ihipStream_tbEUljE_EEESV_SW_SX_S14_S18_S1A_T6_T7_T9_mT8_S1C_bDpT10_ENKUlT_T0_E_clISt17integral_constantIbLb1EES1P_EEDaS1K_S1L_EUlS1K_E_NS1_11comp_targetILNS1_3genE9ELNS1_11target_archE1100ELNS1_3gpuE3ELNS1_3repE0EEENS1_30default_config_static_selectorELNS0_4arch9wavefront6targetE0EEEvSY_,"axG",@progbits,_ZN7rocprim17ROCPRIM_400000_NS6detail17trampoline_kernelINS0_13select_configILj256ELj13ELNS0_17block_load_methodE3ELS4_3ELS4_3ELNS0_20block_scan_algorithmE0ELj4294967295EEENS1_25partition_config_selectorILNS1_17partition_subalgoE3EjNS0_10empty_typeEbEEZZNS1_14partition_implILS8_3ELb0ES6_jNS0_17counting_iteratorIjlEEPS9_SE_NS0_5tupleIJPjSE_EEENSF_IJSE_SE_EEES9_SG_JZNS1_25segmented_radix_sort_implINS0_14default_configELb1EPKfPfPKlPlN2at6native12_GLOBAL__N_18offset_tEEE10hipError_tPvRmT1_PNSt15iterator_traitsISY_E10value_typeET2_T3_PNSZ_IS14_E10value_typeET4_jRbjT5_S1A_jjP12ihipStream_tbEUljE_EEESV_SW_SX_S14_S18_S1A_T6_T7_T9_mT8_S1C_bDpT10_ENKUlT_T0_E_clISt17integral_constantIbLb1EES1P_EEDaS1K_S1L_EUlS1K_E_NS1_11comp_targetILNS1_3genE9ELNS1_11target_archE1100ELNS1_3gpuE3ELNS1_3repE0EEENS1_30default_config_static_selectorELNS0_4arch9wavefront6targetE0EEEvSY_,comdat
.Lfunc_end1299:
	.size	_ZN7rocprim17ROCPRIM_400000_NS6detail17trampoline_kernelINS0_13select_configILj256ELj13ELNS0_17block_load_methodE3ELS4_3ELS4_3ELNS0_20block_scan_algorithmE0ELj4294967295EEENS1_25partition_config_selectorILNS1_17partition_subalgoE3EjNS0_10empty_typeEbEEZZNS1_14partition_implILS8_3ELb0ES6_jNS0_17counting_iteratorIjlEEPS9_SE_NS0_5tupleIJPjSE_EEENSF_IJSE_SE_EEES9_SG_JZNS1_25segmented_radix_sort_implINS0_14default_configELb1EPKfPfPKlPlN2at6native12_GLOBAL__N_18offset_tEEE10hipError_tPvRmT1_PNSt15iterator_traitsISY_E10value_typeET2_T3_PNSZ_IS14_E10value_typeET4_jRbjT5_S1A_jjP12ihipStream_tbEUljE_EEESV_SW_SX_S14_S18_S1A_T6_T7_T9_mT8_S1C_bDpT10_ENKUlT_T0_E_clISt17integral_constantIbLb1EES1P_EEDaS1K_S1L_EUlS1K_E_NS1_11comp_targetILNS1_3genE9ELNS1_11target_archE1100ELNS1_3gpuE3ELNS1_3repE0EEENS1_30default_config_static_selectorELNS0_4arch9wavefront6targetE0EEEvSY_, .Lfunc_end1299-_ZN7rocprim17ROCPRIM_400000_NS6detail17trampoline_kernelINS0_13select_configILj256ELj13ELNS0_17block_load_methodE3ELS4_3ELS4_3ELNS0_20block_scan_algorithmE0ELj4294967295EEENS1_25partition_config_selectorILNS1_17partition_subalgoE3EjNS0_10empty_typeEbEEZZNS1_14partition_implILS8_3ELb0ES6_jNS0_17counting_iteratorIjlEEPS9_SE_NS0_5tupleIJPjSE_EEENSF_IJSE_SE_EEES9_SG_JZNS1_25segmented_radix_sort_implINS0_14default_configELb1EPKfPfPKlPlN2at6native12_GLOBAL__N_18offset_tEEE10hipError_tPvRmT1_PNSt15iterator_traitsISY_E10value_typeET2_T3_PNSZ_IS14_E10value_typeET4_jRbjT5_S1A_jjP12ihipStream_tbEUljE_EEESV_SW_SX_S14_S18_S1A_T6_T7_T9_mT8_S1C_bDpT10_ENKUlT_T0_E_clISt17integral_constantIbLb1EES1P_EEDaS1K_S1L_EUlS1K_E_NS1_11comp_targetILNS1_3genE9ELNS1_11target_archE1100ELNS1_3gpuE3ELNS1_3repE0EEENS1_30default_config_static_selectorELNS0_4arch9wavefront6targetE0EEEvSY_
                                        ; -- End function
	.set _ZN7rocprim17ROCPRIM_400000_NS6detail17trampoline_kernelINS0_13select_configILj256ELj13ELNS0_17block_load_methodE3ELS4_3ELS4_3ELNS0_20block_scan_algorithmE0ELj4294967295EEENS1_25partition_config_selectorILNS1_17partition_subalgoE3EjNS0_10empty_typeEbEEZZNS1_14partition_implILS8_3ELb0ES6_jNS0_17counting_iteratorIjlEEPS9_SE_NS0_5tupleIJPjSE_EEENSF_IJSE_SE_EEES9_SG_JZNS1_25segmented_radix_sort_implINS0_14default_configELb1EPKfPfPKlPlN2at6native12_GLOBAL__N_18offset_tEEE10hipError_tPvRmT1_PNSt15iterator_traitsISY_E10value_typeET2_T3_PNSZ_IS14_E10value_typeET4_jRbjT5_S1A_jjP12ihipStream_tbEUljE_EEESV_SW_SX_S14_S18_S1A_T6_T7_T9_mT8_S1C_bDpT10_ENKUlT_T0_E_clISt17integral_constantIbLb1EES1P_EEDaS1K_S1L_EUlS1K_E_NS1_11comp_targetILNS1_3genE9ELNS1_11target_archE1100ELNS1_3gpuE3ELNS1_3repE0EEENS1_30default_config_static_selectorELNS0_4arch9wavefront6targetE0EEEvSY_.num_vgpr, 0
	.set _ZN7rocprim17ROCPRIM_400000_NS6detail17trampoline_kernelINS0_13select_configILj256ELj13ELNS0_17block_load_methodE3ELS4_3ELS4_3ELNS0_20block_scan_algorithmE0ELj4294967295EEENS1_25partition_config_selectorILNS1_17partition_subalgoE3EjNS0_10empty_typeEbEEZZNS1_14partition_implILS8_3ELb0ES6_jNS0_17counting_iteratorIjlEEPS9_SE_NS0_5tupleIJPjSE_EEENSF_IJSE_SE_EEES9_SG_JZNS1_25segmented_radix_sort_implINS0_14default_configELb1EPKfPfPKlPlN2at6native12_GLOBAL__N_18offset_tEEE10hipError_tPvRmT1_PNSt15iterator_traitsISY_E10value_typeET2_T3_PNSZ_IS14_E10value_typeET4_jRbjT5_S1A_jjP12ihipStream_tbEUljE_EEESV_SW_SX_S14_S18_S1A_T6_T7_T9_mT8_S1C_bDpT10_ENKUlT_T0_E_clISt17integral_constantIbLb1EES1P_EEDaS1K_S1L_EUlS1K_E_NS1_11comp_targetILNS1_3genE9ELNS1_11target_archE1100ELNS1_3gpuE3ELNS1_3repE0EEENS1_30default_config_static_selectorELNS0_4arch9wavefront6targetE0EEEvSY_.num_agpr, 0
	.set _ZN7rocprim17ROCPRIM_400000_NS6detail17trampoline_kernelINS0_13select_configILj256ELj13ELNS0_17block_load_methodE3ELS4_3ELS4_3ELNS0_20block_scan_algorithmE0ELj4294967295EEENS1_25partition_config_selectorILNS1_17partition_subalgoE3EjNS0_10empty_typeEbEEZZNS1_14partition_implILS8_3ELb0ES6_jNS0_17counting_iteratorIjlEEPS9_SE_NS0_5tupleIJPjSE_EEENSF_IJSE_SE_EEES9_SG_JZNS1_25segmented_radix_sort_implINS0_14default_configELb1EPKfPfPKlPlN2at6native12_GLOBAL__N_18offset_tEEE10hipError_tPvRmT1_PNSt15iterator_traitsISY_E10value_typeET2_T3_PNSZ_IS14_E10value_typeET4_jRbjT5_S1A_jjP12ihipStream_tbEUljE_EEESV_SW_SX_S14_S18_S1A_T6_T7_T9_mT8_S1C_bDpT10_ENKUlT_T0_E_clISt17integral_constantIbLb1EES1P_EEDaS1K_S1L_EUlS1K_E_NS1_11comp_targetILNS1_3genE9ELNS1_11target_archE1100ELNS1_3gpuE3ELNS1_3repE0EEENS1_30default_config_static_selectorELNS0_4arch9wavefront6targetE0EEEvSY_.numbered_sgpr, 0
	.set _ZN7rocprim17ROCPRIM_400000_NS6detail17trampoline_kernelINS0_13select_configILj256ELj13ELNS0_17block_load_methodE3ELS4_3ELS4_3ELNS0_20block_scan_algorithmE0ELj4294967295EEENS1_25partition_config_selectorILNS1_17partition_subalgoE3EjNS0_10empty_typeEbEEZZNS1_14partition_implILS8_3ELb0ES6_jNS0_17counting_iteratorIjlEEPS9_SE_NS0_5tupleIJPjSE_EEENSF_IJSE_SE_EEES9_SG_JZNS1_25segmented_radix_sort_implINS0_14default_configELb1EPKfPfPKlPlN2at6native12_GLOBAL__N_18offset_tEEE10hipError_tPvRmT1_PNSt15iterator_traitsISY_E10value_typeET2_T3_PNSZ_IS14_E10value_typeET4_jRbjT5_S1A_jjP12ihipStream_tbEUljE_EEESV_SW_SX_S14_S18_S1A_T6_T7_T9_mT8_S1C_bDpT10_ENKUlT_T0_E_clISt17integral_constantIbLb1EES1P_EEDaS1K_S1L_EUlS1K_E_NS1_11comp_targetILNS1_3genE9ELNS1_11target_archE1100ELNS1_3gpuE3ELNS1_3repE0EEENS1_30default_config_static_selectorELNS0_4arch9wavefront6targetE0EEEvSY_.num_named_barrier, 0
	.set _ZN7rocprim17ROCPRIM_400000_NS6detail17trampoline_kernelINS0_13select_configILj256ELj13ELNS0_17block_load_methodE3ELS4_3ELS4_3ELNS0_20block_scan_algorithmE0ELj4294967295EEENS1_25partition_config_selectorILNS1_17partition_subalgoE3EjNS0_10empty_typeEbEEZZNS1_14partition_implILS8_3ELb0ES6_jNS0_17counting_iteratorIjlEEPS9_SE_NS0_5tupleIJPjSE_EEENSF_IJSE_SE_EEES9_SG_JZNS1_25segmented_radix_sort_implINS0_14default_configELb1EPKfPfPKlPlN2at6native12_GLOBAL__N_18offset_tEEE10hipError_tPvRmT1_PNSt15iterator_traitsISY_E10value_typeET2_T3_PNSZ_IS14_E10value_typeET4_jRbjT5_S1A_jjP12ihipStream_tbEUljE_EEESV_SW_SX_S14_S18_S1A_T6_T7_T9_mT8_S1C_bDpT10_ENKUlT_T0_E_clISt17integral_constantIbLb1EES1P_EEDaS1K_S1L_EUlS1K_E_NS1_11comp_targetILNS1_3genE9ELNS1_11target_archE1100ELNS1_3gpuE3ELNS1_3repE0EEENS1_30default_config_static_selectorELNS0_4arch9wavefront6targetE0EEEvSY_.private_seg_size, 0
	.set _ZN7rocprim17ROCPRIM_400000_NS6detail17trampoline_kernelINS0_13select_configILj256ELj13ELNS0_17block_load_methodE3ELS4_3ELS4_3ELNS0_20block_scan_algorithmE0ELj4294967295EEENS1_25partition_config_selectorILNS1_17partition_subalgoE3EjNS0_10empty_typeEbEEZZNS1_14partition_implILS8_3ELb0ES6_jNS0_17counting_iteratorIjlEEPS9_SE_NS0_5tupleIJPjSE_EEENSF_IJSE_SE_EEES9_SG_JZNS1_25segmented_radix_sort_implINS0_14default_configELb1EPKfPfPKlPlN2at6native12_GLOBAL__N_18offset_tEEE10hipError_tPvRmT1_PNSt15iterator_traitsISY_E10value_typeET2_T3_PNSZ_IS14_E10value_typeET4_jRbjT5_S1A_jjP12ihipStream_tbEUljE_EEESV_SW_SX_S14_S18_S1A_T6_T7_T9_mT8_S1C_bDpT10_ENKUlT_T0_E_clISt17integral_constantIbLb1EES1P_EEDaS1K_S1L_EUlS1K_E_NS1_11comp_targetILNS1_3genE9ELNS1_11target_archE1100ELNS1_3gpuE3ELNS1_3repE0EEENS1_30default_config_static_selectorELNS0_4arch9wavefront6targetE0EEEvSY_.uses_vcc, 0
	.set _ZN7rocprim17ROCPRIM_400000_NS6detail17trampoline_kernelINS0_13select_configILj256ELj13ELNS0_17block_load_methodE3ELS4_3ELS4_3ELNS0_20block_scan_algorithmE0ELj4294967295EEENS1_25partition_config_selectorILNS1_17partition_subalgoE3EjNS0_10empty_typeEbEEZZNS1_14partition_implILS8_3ELb0ES6_jNS0_17counting_iteratorIjlEEPS9_SE_NS0_5tupleIJPjSE_EEENSF_IJSE_SE_EEES9_SG_JZNS1_25segmented_radix_sort_implINS0_14default_configELb1EPKfPfPKlPlN2at6native12_GLOBAL__N_18offset_tEEE10hipError_tPvRmT1_PNSt15iterator_traitsISY_E10value_typeET2_T3_PNSZ_IS14_E10value_typeET4_jRbjT5_S1A_jjP12ihipStream_tbEUljE_EEESV_SW_SX_S14_S18_S1A_T6_T7_T9_mT8_S1C_bDpT10_ENKUlT_T0_E_clISt17integral_constantIbLb1EES1P_EEDaS1K_S1L_EUlS1K_E_NS1_11comp_targetILNS1_3genE9ELNS1_11target_archE1100ELNS1_3gpuE3ELNS1_3repE0EEENS1_30default_config_static_selectorELNS0_4arch9wavefront6targetE0EEEvSY_.uses_flat_scratch, 0
	.set _ZN7rocprim17ROCPRIM_400000_NS6detail17trampoline_kernelINS0_13select_configILj256ELj13ELNS0_17block_load_methodE3ELS4_3ELS4_3ELNS0_20block_scan_algorithmE0ELj4294967295EEENS1_25partition_config_selectorILNS1_17partition_subalgoE3EjNS0_10empty_typeEbEEZZNS1_14partition_implILS8_3ELb0ES6_jNS0_17counting_iteratorIjlEEPS9_SE_NS0_5tupleIJPjSE_EEENSF_IJSE_SE_EEES9_SG_JZNS1_25segmented_radix_sort_implINS0_14default_configELb1EPKfPfPKlPlN2at6native12_GLOBAL__N_18offset_tEEE10hipError_tPvRmT1_PNSt15iterator_traitsISY_E10value_typeET2_T3_PNSZ_IS14_E10value_typeET4_jRbjT5_S1A_jjP12ihipStream_tbEUljE_EEESV_SW_SX_S14_S18_S1A_T6_T7_T9_mT8_S1C_bDpT10_ENKUlT_T0_E_clISt17integral_constantIbLb1EES1P_EEDaS1K_S1L_EUlS1K_E_NS1_11comp_targetILNS1_3genE9ELNS1_11target_archE1100ELNS1_3gpuE3ELNS1_3repE0EEENS1_30default_config_static_selectorELNS0_4arch9wavefront6targetE0EEEvSY_.has_dyn_sized_stack, 0
	.set _ZN7rocprim17ROCPRIM_400000_NS6detail17trampoline_kernelINS0_13select_configILj256ELj13ELNS0_17block_load_methodE3ELS4_3ELS4_3ELNS0_20block_scan_algorithmE0ELj4294967295EEENS1_25partition_config_selectorILNS1_17partition_subalgoE3EjNS0_10empty_typeEbEEZZNS1_14partition_implILS8_3ELb0ES6_jNS0_17counting_iteratorIjlEEPS9_SE_NS0_5tupleIJPjSE_EEENSF_IJSE_SE_EEES9_SG_JZNS1_25segmented_radix_sort_implINS0_14default_configELb1EPKfPfPKlPlN2at6native12_GLOBAL__N_18offset_tEEE10hipError_tPvRmT1_PNSt15iterator_traitsISY_E10value_typeET2_T3_PNSZ_IS14_E10value_typeET4_jRbjT5_S1A_jjP12ihipStream_tbEUljE_EEESV_SW_SX_S14_S18_S1A_T6_T7_T9_mT8_S1C_bDpT10_ENKUlT_T0_E_clISt17integral_constantIbLb1EES1P_EEDaS1K_S1L_EUlS1K_E_NS1_11comp_targetILNS1_3genE9ELNS1_11target_archE1100ELNS1_3gpuE3ELNS1_3repE0EEENS1_30default_config_static_selectorELNS0_4arch9wavefront6targetE0EEEvSY_.has_recursion, 0
	.set _ZN7rocprim17ROCPRIM_400000_NS6detail17trampoline_kernelINS0_13select_configILj256ELj13ELNS0_17block_load_methodE3ELS4_3ELS4_3ELNS0_20block_scan_algorithmE0ELj4294967295EEENS1_25partition_config_selectorILNS1_17partition_subalgoE3EjNS0_10empty_typeEbEEZZNS1_14partition_implILS8_3ELb0ES6_jNS0_17counting_iteratorIjlEEPS9_SE_NS0_5tupleIJPjSE_EEENSF_IJSE_SE_EEES9_SG_JZNS1_25segmented_radix_sort_implINS0_14default_configELb1EPKfPfPKlPlN2at6native12_GLOBAL__N_18offset_tEEE10hipError_tPvRmT1_PNSt15iterator_traitsISY_E10value_typeET2_T3_PNSZ_IS14_E10value_typeET4_jRbjT5_S1A_jjP12ihipStream_tbEUljE_EEESV_SW_SX_S14_S18_S1A_T6_T7_T9_mT8_S1C_bDpT10_ENKUlT_T0_E_clISt17integral_constantIbLb1EES1P_EEDaS1K_S1L_EUlS1K_E_NS1_11comp_targetILNS1_3genE9ELNS1_11target_archE1100ELNS1_3gpuE3ELNS1_3repE0EEENS1_30default_config_static_selectorELNS0_4arch9wavefront6targetE0EEEvSY_.has_indirect_call, 0
	.section	.AMDGPU.csdata,"",@progbits
; Kernel info:
; codeLenInByte = 0
; TotalNumSgprs: 0
; NumVgprs: 0
; ScratchSize: 0
; MemoryBound: 0
; FloatMode: 240
; IeeeMode: 1
; LDSByteSize: 0 bytes/workgroup (compile time only)
; SGPRBlocks: 0
; VGPRBlocks: 0
; NumSGPRsForWavesPerEU: 1
; NumVGPRsForWavesPerEU: 1
; Occupancy: 16
; WaveLimiterHint : 0
; COMPUTE_PGM_RSRC2:SCRATCH_EN: 0
; COMPUTE_PGM_RSRC2:USER_SGPR: 6
; COMPUTE_PGM_RSRC2:TRAP_HANDLER: 0
; COMPUTE_PGM_RSRC2:TGID_X_EN: 1
; COMPUTE_PGM_RSRC2:TGID_Y_EN: 0
; COMPUTE_PGM_RSRC2:TGID_Z_EN: 0
; COMPUTE_PGM_RSRC2:TIDIG_COMP_CNT: 0
	.section	.text._ZN7rocprim17ROCPRIM_400000_NS6detail17trampoline_kernelINS0_13select_configILj256ELj13ELNS0_17block_load_methodE3ELS4_3ELS4_3ELNS0_20block_scan_algorithmE0ELj4294967295EEENS1_25partition_config_selectorILNS1_17partition_subalgoE3EjNS0_10empty_typeEbEEZZNS1_14partition_implILS8_3ELb0ES6_jNS0_17counting_iteratorIjlEEPS9_SE_NS0_5tupleIJPjSE_EEENSF_IJSE_SE_EEES9_SG_JZNS1_25segmented_radix_sort_implINS0_14default_configELb1EPKfPfPKlPlN2at6native12_GLOBAL__N_18offset_tEEE10hipError_tPvRmT1_PNSt15iterator_traitsISY_E10value_typeET2_T3_PNSZ_IS14_E10value_typeET4_jRbjT5_S1A_jjP12ihipStream_tbEUljE_EEESV_SW_SX_S14_S18_S1A_T6_T7_T9_mT8_S1C_bDpT10_ENKUlT_T0_E_clISt17integral_constantIbLb1EES1P_EEDaS1K_S1L_EUlS1K_E_NS1_11comp_targetILNS1_3genE8ELNS1_11target_archE1030ELNS1_3gpuE2ELNS1_3repE0EEENS1_30default_config_static_selectorELNS0_4arch9wavefront6targetE0EEEvSY_,"axG",@progbits,_ZN7rocprim17ROCPRIM_400000_NS6detail17trampoline_kernelINS0_13select_configILj256ELj13ELNS0_17block_load_methodE3ELS4_3ELS4_3ELNS0_20block_scan_algorithmE0ELj4294967295EEENS1_25partition_config_selectorILNS1_17partition_subalgoE3EjNS0_10empty_typeEbEEZZNS1_14partition_implILS8_3ELb0ES6_jNS0_17counting_iteratorIjlEEPS9_SE_NS0_5tupleIJPjSE_EEENSF_IJSE_SE_EEES9_SG_JZNS1_25segmented_radix_sort_implINS0_14default_configELb1EPKfPfPKlPlN2at6native12_GLOBAL__N_18offset_tEEE10hipError_tPvRmT1_PNSt15iterator_traitsISY_E10value_typeET2_T3_PNSZ_IS14_E10value_typeET4_jRbjT5_S1A_jjP12ihipStream_tbEUljE_EEESV_SW_SX_S14_S18_S1A_T6_T7_T9_mT8_S1C_bDpT10_ENKUlT_T0_E_clISt17integral_constantIbLb1EES1P_EEDaS1K_S1L_EUlS1K_E_NS1_11comp_targetILNS1_3genE8ELNS1_11target_archE1030ELNS1_3gpuE2ELNS1_3repE0EEENS1_30default_config_static_selectorELNS0_4arch9wavefront6targetE0EEEvSY_,comdat
	.globl	_ZN7rocprim17ROCPRIM_400000_NS6detail17trampoline_kernelINS0_13select_configILj256ELj13ELNS0_17block_load_methodE3ELS4_3ELS4_3ELNS0_20block_scan_algorithmE0ELj4294967295EEENS1_25partition_config_selectorILNS1_17partition_subalgoE3EjNS0_10empty_typeEbEEZZNS1_14partition_implILS8_3ELb0ES6_jNS0_17counting_iteratorIjlEEPS9_SE_NS0_5tupleIJPjSE_EEENSF_IJSE_SE_EEES9_SG_JZNS1_25segmented_radix_sort_implINS0_14default_configELb1EPKfPfPKlPlN2at6native12_GLOBAL__N_18offset_tEEE10hipError_tPvRmT1_PNSt15iterator_traitsISY_E10value_typeET2_T3_PNSZ_IS14_E10value_typeET4_jRbjT5_S1A_jjP12ihipStream_tbEUljE_EEESV_SW_SX_S14_S18_S1A_T6_T7_T9_mT8_S1C_bDpT10_ENKUlT_T0_E_clISt17integral_constantIbLb1EES1P_EEDaS1K_S1L_EUlS1K_E_NS1_11comp_targetILNS1_3genE8ELNS1_11target_archE1030ELNS1_3gpuE2ELNS1_3repE0EEENS1_30default_config_static_selectorELNS0_4arch9wavefront6targetE0EEEvSY_ ; -- Begin function _ZN7rocprim17ROCPRIM_400000_NS6detail17trampoline_kernelINS0_13select_configILj256ELj13ELNS0_17block_load_methodE3ELS4_3ELS4_3ELNS0_20block_scan_algorithmE0ELj4294967295EEENS1_25partition_config_selectorILNS1_17partition_subalgoE3EjNS0_10empty_typeEbEEZZNS1_14partition_implILS8_3ELb0ES6_jNS0_17counting_iteratorIjlEEPS9_SE_NS0_5tupleIJPjSE_EEENSF_IJSE_SE_EEES9_SG_JZNS1_25segmented_radix_sort_implINS0_14default_configELb1EPKfPfPKlPlN2at6native12_GLOBAL__N_18offset_tEEE10hipError_tPvRmT1_PNSt15iterator_traitsISY_E10value_typeET2_T3_PNSZ_IS14_E10value_typeET4_jRbjT5_S1A_jjP12ihipStream_tbEUljE_EEESV_SW_SX_S14_S18_S1A_T6_T7_T9_mT8_S1C_bDpT10_ENKUlT_T0_E_clISt17integral_constantIbLb1EES1P_EEDaS1K_S1L_EUlS1K_E_NS1_11comp_targetILNS1_3genE8ELNS1_11target_archE1030ELNS1_3gpuE2ELNS1_3repE0EEENS1_30default_config_static_selectorELNS0_4arch9wavefront6targetE0EEEvSY_
	.p2align	8
	.type	_ZN7rocprim17ROCPRIM_400000_NS6detail17trampoline_kernelINS0_13select_configILj256ELj13ELNS0_17block_load_methodE3ELS4_3ELS4_3ELNS0_20block_scan_algorithmE0ELj4294967295EEENS1_25partition_config_selectorILNS1_17partition_subalgoE3EjNS0_10empty_typeEbEEZZNS1_14partition_implILS8_3ELb0ES6_jNS0_17counting_iteratorIjlEEPS9_SE_NS0_5tupleIJPjSE_EEENSF_IJSE_SE_EEES9_SG_JZNS1_25segmented_radix_sort_implINS0_14default_configELb1EPKfPfPKlPlN2at6native12_GLOBAL__N_18offset_tEEE10hipError_tPvRmT1_PNSt15iterator_traitsISY_E10value_typeET2_T3_PNSZ_IS14_E10value_typeET4_jRbjT5_S1A_jjP12ihipStream_tbEUljE_EEESV_SW_SX_S14_S18_S1A_T6_T7_T9_mT8_S1C_bDpT10_ENKUlT_T0_E_clISt17integral_constantIbLb1EES1P_EEDaS1K_S1L_EUlS1K_E_NS1_11comp_targetILNS1_3genE8ELNS1_11target_archE1030ELNS1_3gpuE2ELNS1_3repE0EEENS1_30default_config_static_selectorELNS0_4arch9wavefront6targetE0EEEvSY_,@function
_ZN7rocprim17ROCPRIM_400000_NS6detail17trampoline_kernelINS0_13select_configILj256ELj13ELNS0_17block_load_methodE3ELS4_3ELS4_3ELNS0_20block_scan_algorithmE0ELj4294967295EEENS1_25partition_config_selectorILNS1_17partition_subalgoE3EjNS0_10empty_typeEbEEZZNS1_14partition_implILS8_3ELb0ES6_jNS0_17counting_iteratorIjlEEPS9_SE_NS0_5tupleIJPjSE_EEENSF_IJSE_SE_EEES9_SG_JZNS1_25segmented_radix_sort_implINS0_14default_configELb1EPKfPfPKlPlN2at6native12_GLOBAL__N_18offset_tEEE10hipError_tPvRmT1_PNSt15iterator_traitsISY_E10value_typeET2_T3_PNSZ_IS14_E10value_typeET4_jRbjT5_S1A_jjP12ihipStream_tbEUljE_EEESV_SW_SX_S14_S18_S1A_T6_T7_T9_mT8_S1C_bDpT10_ENKUlT_T0_E_clISt17integral_constantIbLb1EES1P_EEDaS1K_S1L_EUlS1K_E_NS1_11comp_targetILNS1_3genE8ELNS1_11target_archE1030ELNS1_3gpuE2ELNS1_3repE0EEENS1_30default_config_static_selectorELNS0_4arch9wavefront6targetE0EEEvSY_: ; @_ZN7rocprim17ROCPRIM_400000_NS6detail17trampoline_kernelINS0_13select_configILj256ELj13ELNS0_17block_load_methodE3ELS4_3ELS4_3ELNS0_20block_scan_algorithmE0ELj4294967295EEENS1_25partition_config_selectorILNS1_17partition_subalgoE3EjNS0_10empty_typeEbEEZZNS1_14partition_implILS8_3ELb0ES6_jNS0_17counting_iteratorIjlEEPS9_SE_NS0_5tupleIJPjSE_EEENSF_IJSE_SE_EEES9_SG_JZNS1_25segmented_radix_sort_implINS0_14default_configELb1EPKfPfPKlPlN2at6native12_GLOBAL__N_18offset_tEEE10hipError_tPvRmT1_PNSt15iterator_traitsISY_E10value_typeET2_T3_PNSZ_IS14_E10value_typeET4_jRbjT5_S1A_jjP12ihipStream_tbEUljE_EEESV_SW_SX_S14_S18_S1A_T6_T7_T9_mT8_S1C_bDpT10_ENKUlT_T0_E_clISt17integral_constantIbLb1EES1P_EEDaS1K_S1L_EUlS1K_E_NS1_11comp_targetILNS1_3genE8ELNS1_11target_archE1030ELNS1_3gpuE2ELNS1_3repE0EEENS1_30default_config_static_selectorELNS0_4arch9wavefront6targetE0EEEvSY_
; %bb.0:
	s_endpgm
	.section	.rodata,"a",@progbits
	.p2align	6, 0x0
	.amdhsa_kernel _ZN7rocprim17ROCPRIM_400000_NS6detail17trampoline_kernelINS0_13select_configILj256ELj13ELNS0_17block_load_methodE3ELS4_3ELS4_3ELNS0_20block_scan_algorithmE0ELj4294967295EEENS1_25partition_config_selectorILNS1_17partition_subalgoE3EjNS0_10empty_typeEbEEZZNS1_14partition_implILS8_3ELb0ES6_jNS0_17counting_iteratorIjlEEPS9_SE_NS0_5tupleIJPjSE_EEENSF_IJSE_SE_EEES9_SG_JZNS1_25segmented_radix_sort_implINS0_14default_configELb1EPKfPfPKlPlN2at6native12_GLOBAL__N_18offset_tEEE10hipError_tPvRmT1_PNSt15iterator_traitsISY_E10value_typeET2_T3_PNSZ_IS14_E10value_typeET4_jRbjT5_S1A_jjP12ihipStream_tbEUljE_EEESV_SW_SX_S14_S18_S1A_T6_T7_T9_mT8_S1C_bDpT10_ENKUlT_T0_E_clISt17integral_constantIbLb1EES1P_EEDaS1K_S1L_EUlS1K_E_NS1_11comp_targetILNS1_3genE8ELNS1_11target_archE1030ELNS1_3gpuE2ELNS1_3repE0EEENS1_30default_config_static_selectorELNS0_4arch9wavefront6targetE0EEEvSY_
		.amdhsa_group_segment_fixed_size 0
		.amdhsa_private_segment_fixed_size 0
		.amdhsa_kernarg_size 152
		.amdhsa_user_sgpr_count 6
		.amdhsa_user_sgpr_private_segment_buffer 1
		.amdhsa_user_sgpr_dispatch_ptr 0
		.amdhsa_user_sgpr_queue_ptr 0
		.amdhsa_user_sgpr_kernarg_segment_ptr 1
		.amdhsa_user_sgpr_dispatch_id 0
		.amdhsa_user_sgpr_flat_scratch_init 0
		.amdhsa_user_sgpr_private_segment_size 0
		.amdhsa_wavefront_size32 1
		.amdhsa_uses_dynamic_stack 0
		.amdhsa_system_sgpr_private_segment_wavefront_offset 0
		.amdhsa_system_sgpr_workgroup_id_x 1
		.amdhsa_system_sgpr_workgroup_id_y 0
		.amdhsa_system_sgpr_workgroup_id_z 0
		.amdhsa_system_sgpr_workgroup_info 0
		.amdhsa_system_vgpr_workitem_id 0
		.amdhsa_next_free_vgpr 1
		.amdhsa_next_free_sgpr 1
		.amdhsa_reserve_vcc 0
		.amdhsa_reserve_flat_scratch 0
		.amdhsa_float_round_mode_32 0
		.amdhsa_float_round_mode_16_64 0
		.amdhsa_float_denorm_mode_32 3
		.amdhsa_float_denorm_mode_16_64 3
		.amdhsa_dx10_clamp 1
		.amdhsa_ieee_mode 1
		.amdhsa_fp16_overflow 0
		.amdhsa_workgroup_processor_mode 1
		.amdhsa_memory_ordered 1
		.amdhsa_forward_progress 1
		.amdhsa_shared_vgpr_count 0
		.amdhsa_exception_fp_ieee_invalid_op 0
		.amdhsa_exception_fp_denorm_src 0
		.amdhsa_exception_fp_ieee_div_zero 0
		.amdhsa_exception_fp_ieee_overflow 0
		.amdhsa_exception_fp_ieee_underflow 0
		.amdhsa_exception_fp_ieee_inexact 0
		.amdhsa_exception_int_div_zero 0
	.end_amdhsa_kernel
	.section	.text._ZN7rocprim17ROCPRIM_400000_NS6detail17trampoline_kernelINS0_13select_configILj256ELj13ELNS0_17block_load_methodE3ELS4_3ELS4_3ELNS0_20block_scan_algorithmE0ELj4294967295EEENS1_25partition_config_selectorILNS1_17partition_subalgoE3EjNS0_10empty_typeEbEEZZNS1_14partition_implILS8_3ELb0ES6_jNS0_17counting_iteratorIjlEEPS9_SE_NS0_5tupleIJPjSE_EEENSF_IJSE_SE_EEES9_SG_JZNS1_25segmented_radix_sort_implINS0_14default_configELb1EPKfPfPKlPlN2at6native12_GLOBAL__N_18offset_tEEE10hipError_tPvRmT1_PNSt15iterator_traitsISY_E10value_typeET2_T3_PNSZ_IS14_E10value_typeET4_jRbjT5_S1A_jjP12ihipStream_tbEUljE_EEESV_SW_SX_S14_S18_S1A_T6_T7_T9_mT8_S1C_bDpT10_ENKUlT_T0_E_clISt17integral_constantIbLb1EES1P_EEDaS1K_S1L_EUlS1K_E_NS1_11comp_targetILNS1_3genE8ELNS1_11target_archE1030ELNS1_3gpuE2ELNS1_3repE0EEENS1_30default_config_static_selectorELNS0_4arch9wavefront6targetE0EEEvSY_,"axG",@progbits,_ZN7rocprim17ROCPRIM_400000_NS6detail17trampoline_kernelINS0_13select_configILj256ELj13ELNS0_17block_load_methodE3ELS4_3ELS4_3ELNS0_20block_scan_algorithmE0ELj4294967295EEENS1_25partition_config_selectorILNS1_17partition_subalgoE3EjNS0_10empty_typeEbEEZZNS1_14partition_implILS8_3ELb0ES6_jNS0_17counting_iteratorIjlEEPS9_SE_NS0_5tupleIJPjSE_EEENSF_IJSE_SE_EEES9_SG_JZNS1_25segmented_radix_sort_implINS0_14default_configELb1EPKfPfPKlPlN2at6native12_GLOBAL__N_18offset_tEEE10hipError_tPvRmT1_PNSt15iterator_traitsISY_E10value_typeET2_T3_PNSZ_IS14_E10value_typeET4_jRbjT5_S1A_jjP12ihipStream_tbEUljE_EEESV_SW_SX_S14_S18_S1A_T6_T7_T9_mT8_S1C_bDpT10_ENKUlT_T0_E_clISt17integral_constantIbLb1EES1P_EEDaS1K_S1L_EUlS1K_E_NS1_11comp_targetILNS1_3genE8ELNS1_11target_archE1030ELNS1_3gpuE2ELNS1_3repE0EEENS1_30default_config_static_selectorELNS0_4arch9wavefront6targetE0EEEvSY_,comdat
.Lfunc_end1300:
	.size	_ZN7rocprim17ROCPRIM_400000_NS6detail17trampoline_kernelINS0_13select_configILj256ELj13ELNS0_17block_load_methodE3ELS4_3ELS4_3ELNS0_20block_scan_algorithmE0ELj4294967295EEENS1_25partition_config_selectorILNS1_17partition_subalgoE3EjNS0_10empty_typeEbEEZZNS1_14partition_implILS8_3ELb0ES6_jNS0_17counting_iteratorIjlEEPS9_SE_NS0_5tupleIJPjSE_EEENSF_IJSE_SE_EEES9_SG_JZNS1_25segmented_radix_sort_implINS0_14default_configELb1EPKfPfPKlPlN2at6native12_GLOBAL__N_18offset_tEEE10hipError_tPvRmT1_PNSt15iterator_traitsISY_E10value_typeET2_T3_PNSZ_IS14_E10value_typeET4_jRbjT5_S1A_jjP12ihipStream_tbEUljE_EEESV_SW_SX_S14_S18_S1A_T6_T7_T9_mT8_S1C_bDpT10_ENKUlT_T0_E_clISt17integral_constantIbLb1EES1P_EEDaS1K_S1L_EUlS1K_E_NS1_11comp_targetILNS1_3genE8ELNS1_11target_archE1030ELNS1_3gpuE2ELNS1_3repE0EEENS1_30default_config_static_selectorELNS0_4arch9wavefront6targetE0EEEvSY_, .Lfunc_end1300-_ZN7rocprim17ROCPRIM_400000_NS6detail17trampoline_kernelINS0_13select_configILj256ELj13ELNS0_17block_load_methodE3ELS4_3ELS4_3ELNS0_20block_scan_algorithmE0ELj4294967295EEENS1_25partition_config_selectorILNS1_17partition_subalgoE3EjNS0_10empty_typeEbEEZZNS1_14partition_implILS8_3ELb0ES6_jNS0_17counting_iteratorIjlEEPS9_SE_NS0_5tupleIJPjSE_EEENSF_IJSE_SE_EEES9_SG_JZNS1_25segmented_radix_sort_implINS0_14default_configELb1EPKfPfPKlPlN2at6native12_GLOBAL__N_18offset_tEEE10hipError_tPvRmT1_PNSt15iterator_traitsISY_E10value_typeET2_T3_PNSZ_IS14_E10value_typeET4_jRbjT5_S1A_jjP12ihipStream_tbEUljE_EEESV_SW_SX_S14_S18_S1A_T6_T7_T9_mT8_S1C_bDpT10_ENKUlT_T0_E_clISt17integral_constantIbLb1EES1P_EEDaS1K_S1L_EUlS1K_E_NS1_11comp_targetILNS1_3genE8ELNS1_11target_archE1030ELNS1_3gpuE2ELNS1_3repE0EEENS1_30default_config_static_selectorELNS0_4arch9wavefront6targetE0EEEvSY_
                                        ; -- End function
	.set _ZN7rocprim17ROCPRIM_400000_NS6detail17trampoline_kernelINS0_13select_configILj256ELj13ELNS0_17block_load_methodE3ELS4_3ELS4_3ELNS0_20block_scan_algorithmE0ELj4294967295EEENS1_25partition_config_selectorILNS1_17partition_subalgoE3EjNS0_10empty_typeEbEEZZNS1_14partition_implILS8_3ELb0ES6_jNS0_17counting_iteratorIjlEEPS9_SE_NS0_5tupleIJPjSE_EEENSF_IJSE_SE_EEES9_SG_JZNS1_25segmented_radix_sort_implINS0_14default_configELb1EPKfPfPKlPlN2at6native12_GLOBAL__N_18offset_tEEE10hipError_tPvRmT1_PNSt15iterator_traitsISY_E10value_typeET2_T3_PNSZ_IS14_E10value_typeET4_jRbjT5_S1A_jjP12ihipStream_tbEUljE_EEESV_SW_SX_S14_S18_S1A_T6_T7_T9_mT8_S1C_bDpT10_ENKUlT_T0_E_clISt17integral_constantIbLb1EES1P_EEDaS1K_S1L_EUlS1K_E_NS1_11comp_targetILNS1_3genE8ELNS1_11target_archE1030ELNS1_3gpuE2ELNS1_3repE0EEENS1_30default_config_static_selectorELNS0_4arch9wavefront6targetE0EEEvSY_.num_vgpr, 0
	.set _ZN7rocprim17ROCPRIM_400000_NS6detail17trampoline_kernelINS0_13select_configILj256ELj13ELNS0_17block_load_methodE3ELS4_3ELS4_3ELNS0_20block_scan_algorithmE0ELj4294967295EEENS1_25partition_config_selectorILNS1_17partition_subalgoE3EjNS0_10empty_typeEbEEZZNS1_14partition_implILS8_3ELb0ES6_jNS0_17counting_iteratorIjlEEPS9_SE_NS0_5tupleIJPjSE_EEENSF_IJSE_SE_EEES9_SG_JZNS1_25segmented_radix_sort_implINS0_14default_configELb1EPKfPfPKlPlN2at6native12_GLOBAL__N_18offset_tEEE10hipError_tPvRmT1_PNSt15iterator_traitsISY_E10value_typeET2_T3_PNSZ_IS14_E10value_typeET4_jRbjT5_S1A_jjP12ihipStream_tbEUljE_EEESV_SW_SX_S14_S18_S1A_T6_T7_T9_mT8_S1C_bDpT10_ENKUlT_T0_E_clISt17integral_constantIbLb1EES1P_EEDaS1K_S1L_EUlS1K_E_NS1_11comp_targetILNS1_3genE8ELNS1_11target_archE1030ELNS1_3gpuE2ELNS1_3repE0EEENS1_30default_config_static_selectorELNS0_4arch9wavefront6targetE0EEEvSY_.num_agpr, 0
	.set _ZN7rocprim17ROCPRIM_400000_NS6detail17trampoline_kernelINS0_13select_configILj256ELj13ELNS0_17block_load_methodE3ELS4_3ELS4_3ELNS0_20block_scan_algorithmE0ELj4294967295EEENS1_25partition_config_selectorILNS1_17partition_subalgoE3EjNS0_10empty_typeEbEEZZNS1_14partition_implILS8_3ELb0ES6_jNS0_17counting_iteratorIjlEEPS9_SE_NS0_5tupleIJPjSE_EEENSF_IJSE_SE_EEES9_SG_JZNS1_25segmented_radix_sort_implINS0_14default_configELb1EPKfPfPKlPlN2at6native12_GLOBAL__N_18offset_tEEE10hipError_tPvRmT1_PNSt15iterator_traitsISY_E10value_typeET2_T3_PNSZ_IS14_E10value_typeET4_jRbjT5_S1A_jjP12ihipStream_tbEUljE_EEESV_SW_SX_S14_S18_S1A_T6_T7_T9_mT8_S1C_bDpT10_ENKUlT_T0_E_clISt17integral_constantIbLb1EES1P_EEDaS1K_S1L_EUlS1K_E_NS1_11comp_targetILNS1_3genE8ELNS1_11target_archE1030ELNS1_3gpuE2ELNS1_3repE0EEENS1_30default_config_static_selectorELNS0_4arch9wavefront6targetE0EEEvSY_.numbered_sgpr, 0
	.set _ZN7rocprim17ROCPRIM_400000_NS6detail17trampoline_kernelINS0_13select_configILj256ELj13ELNS0_17block_load_methodE3ELS4_3ELS4_3ELNS0_20block_scan_algorithmE0ELj4294967295EEENS1_25partition_config_selectorILNS1_17partition_subalgoE3EjNS0_10empty_typeEbEEZZNS1_14partition_implILS8_3ELb0ES6_jNS0_17counting_iteratorIjlEEPS9_SE_NS0_5tupleIJPjSE_EEENSF_IJSE_SE_EEES9_SG_JZNS1_25segmented_radix_sort_implINS0_14default_configELb1EPKfPfPKlPlN2at6native12_GLOBAL__N_18offset_tEEE10hipError_tPvRmT1_PNSt15iterator_traitsISY_E10value_typeET2_T3_PNSZ_IS14_E10value_typeET4_jRbjT5_S1A_jjP12ihipStream_tbEUljE_EEESV_SW_SX_S14_S18_S1A_T6_T7_T9_mT8_S1C_bDpT10_ENKUlT_T0_E_clISt17integral_constantIbLb1EES1P_EEDaS1K_S1L_EUlS1K_E_NS1_11comp_targetILNS1_3genE8ELNS1_11target_archE1030ELNS1_3gpuE2ELNS1_3repE0EEENS1_30default_config_static_selectorELNS0_4arch9wavefront6targetE0EEEvSY_.num_named_barrier, 0
	.set _ZN7rocprim17ROCPRIM_400000_NS6detail17trampoline_kernelINS0_13select_configILj256ELj13ELNS0_17block_load_methodE3ELS4_3ELS4_3ELNS0_20block_scan_algorithmE0ELj4294967295EEENS1_25partition_config_selectorILNS1_17partition_subalgoE3EjNS0_10empty_typeEbEEZZNS1_14partition_implILS8_3ELb0ES6_jNS0_17counting_iteratorIjlEEPS9_SE_NS0_5tupleIJPjSE_EEENSF_IJSE_SE_EEES9_SG_JZNS1_25segmented_radix_sort_implINS0_14default_configELb1EPKfPfPKlPlN2at6native12_GLOBAL__N_18offset_tEEE10hipError_tPvRmT1_PNSt15iterator_traitsISY_E10value_typeET2_T3_PNSZ_IS14_E10value_typeET4_jRbjT5_S1A_jjP12ihipStream_tbEUljE_EEESV_SW_SX_S14_S18_S1A_T6_T7_T9_mT8_S1C_bDpT10_ENKUlT_T0_E_clISt17integral_constantIbLb1EES1P_EEDaS1K_S1L_EUlS1K_E_NS1_11comp_targetILNS1_3genE8ELNS1_11target_archE1030ELNS1_3gpuE2ELNS1_3repE0EEENS1_30default_config_static_selectorELNS0_4arch9wavefront6targetE0EEEvSY_.private_seg_size, 0
	.set _ZN7rocprim17ROCPRIM_400000_NS6detail17trampoline_kernelINS0_13select_configILj256ELj13ELNS0_17block_load_methodE3ELS4_3ELS4_3ELNS0_20block_scan_algorithmE0ELj4294967295EEENS1_25partition_config_selectorILNS1_17partition_subalgoE3EjNS0_10empty_typeEbEEZZNS1_14partition_implILS8_3ELb0ES6_jNS0_17counting_iteratorIjlEEPS9_SE_NS0_5tupleIJPjSE_EEENSF_IJSE_SE_EEES9_SG_JZNS1_25segmented_radix_sort_implINS0_14default_configELb1EPKfPfPKlPlN2at6native12_GLOBAL__N_18offset_tEEE10hipError_tPvRmT1_PNSt15iterator_traitsISY_E10value_typeET2_T3_PNSZ_IS14_E10value_typeET4_jRbjT5_S1A_jjP12ihipStream_tbEUljE_EEESV_SW_SX_S14_S18_S1A_T6_T7_T9_mT8_S1C_bDpT10_ENKUlT_T0_E_clISt17integral_constantIbLb1EES1P_EEDaS1K_S1L_EUlS1K_E_NS1_11comp_targetILNS1_3genE8ELNS1_11target_archE1030ELNS1_3gpuE2ELNS1_3repE0EEENS1_30default_config_static_selectorELNS0_4arch9wavefront6targetE0EEEvSY_.uses_vcc, 0
	.set _ZN7rocprim17ROCPRIM_400000_NS6detail17trampoline_kernelINS0_13select_configILj256ELj13ELNS0_17block_load_methodE3ELS4_3ELS4_3ELNS0_20block_scan_algorithmE0ELj4294967295EEENS1_25partition_config_selectorILNS1_17partition_subalgoE3EjNS0_10empty_typeEbEEZZNS1_14partition_implILS8_3ELb0ES6_jNS0_17counting_iteratorIjlEEPS9_SE_NS0_5tupleIJPjSE_EEENSF_IJSE_SE_EEES9_SG_JZNS1_25segmented_radix_sort_implINS0_14default_configELb1EPKfPfPKlPlN2at6native12_GLOBAL__N_18offset_tEEE10hipError_tPvRmT1_PNSt15iterator_traitsISY_E10value_typeET2_T3_PNSZ_IS14_E10value_typeET4_jRbjT5_S1A_jjP12ihipStream_tbEUljE_EEESV_SW_SX_S14_S18_S1A_T6_T7_T9_mT8_S1C_bDpT10_ENKUlT_T0_E_clISt17integral_constantIbLb1EES1P_EEDaS1K_S1L_EUlS1K_E_NS1_11comp_targetILNS1_3genE8ELNS1_11target_archE1030ELNS1_3gpuE2ELNS1_3repE0EEENS1_30default_config_static_selectorELNS0_4arch9wavefront6targetE0EEEvSY_.uses_flat_scratch, 0
	.set _ZN7rocprim17ROCPRIM_400000_NS6detail17trampoline_kernelINS0_13select_configILj256ELj13ELNS0_17block_load_methodE3ELS4_3ELS4_3ELNS0_20block_scan_algorithmE0ELj4294967295EEENS1_25partition_config_selectorILNS1_17partition_subalgoE3EjNS0_10empty_typeEbEEZZNS1_14partition_implILS8_3ELb0ES6_jNS0_17counting_iteratorIjlEEPS9_SE_NS0_5tupleIJPjSE_EEENSF_IJSE_SE_EEES9_SG_JZNS1_25segmented_radix_sort_implINS0_14default_configELb1EPKfPfPKlPlN2at6native12_GLOBAL__N_18offset_tEEE10hipError_tPvRmT1_PNSt15iterator_traitsISY_E10value_typeET2_T3_PNSZ_IS14_E10value_typeET4_jRbjT5_S1A_jjP12ihipStream_tbEUljE_EEESV_SW_SX_S14_S18_S1A_T6_T7_T9_mT8_S1C_bDpT10_ENKUlT_T0_E_clISt17integral_constantIbLb1EES1P_EEDaS1K_S1L_EUlS1K_E_NS1_11comp_targetILNS1_3genE8ELNS1_11target_archE1030ELNS1_3gpuE2ELNS1_3repE0EEENS1_30default_config_static_selectorELNS0_4arch9wavefront6targetE0EEEvSY_.has_dyn_sized_stack, 0
	.set _ZN7rocprim17ROCPRIM_400000_NS6detail17trampoline_kernelINS0_13select_configILj256ELj13ELNS0_17block_load_methodE3ELS4_3ELS4_3ELNS0_20block_scan_algorithmE0ELj4294967295EEENS1_25partition_config_selectorILNS1_17partition_subalgoE3EjNS0_10empty_typeEbEEZZNS1_14partition_implILS8_3ELb0ES6_jNS0_17counting_iteratorIjlEEPS9_SE_NS0_5tupleIJPjSE_EEENSF_IJSE_SE_EEES9_SG_JZNS1_25segmented_radix_sort_implINS0_14default_configELb1EPKfPfPKlPlN2at6native12_GLOBAL__N_18offset_tEEE10hipError_tPvRmT1_PNSt15iterator_traitsISY_E10value_typeET2_T3_PNSZ_IS14_E10value_typeET4_jRbjT5_S1A_jjP12ihipStream_tbEUljE_EEESV_SW_SX_S14_S18_S1A_T6_T7_T9_mT8_S1C_bDpT10_ENKUlT_T0_E_clISt17integral_constantIbLb1EES1P_EEDaS1K_S1L_EUlS1K_E_NS1_11comp_targetILNS1_3genE8ELNS1_11target_archE1030ELNS1_3gpuE2ELNS1_3repE0EEENS1_30default_config_static_selectorELNS0_4arch9wavefront6targetE0EEEvSY_.has_recursion, 0
	.set _ZN7rocprim17ROCPRIM_400000_NS6detail17trampoline_kernelINS0_13select_configILj256ELj13ELNS0_17block_load_methodE3ELS4_3ELS4_3ELNS0_20block_scan_algorithmE0ELj4294967295EEENS1_25partition_config_selectorILNS1_17partition_subalgoE3EjNS0_10empty_typeEbEEZZNS1_14partition_implILS8_3ELb0ES6_jNS0_17counting_iteratorIjlEEPS9_SE_NS0_5tupleIJPjSE_EEENSF_IJSE_SE_EEES9_SG_JZNS1_25segmented_radix_sort_implINS0_14default_configELb1EPKfPfPKlPlN2at6native12_GLOBAL__N_18offset_tEEE10hipError_tPvRmT1_PNSt15iterator_traitsISY_E10value_typeET2_T3_PNSZ_IS14_E10value_typeET4_jRbjT5_S1A_jjP12ihipStream_tbEUljE_EEESV_SW_SX_S14_S18_S1A_T6_T7_T9_mT8_S1C_bDpT10_ENKUlT_T0_E_clISt17integral_constantIbLb1EES1P_EEDaS1K_S1L_EUlS1K_E_NS1_11comp_targetILNS1_3genE8ELNS1_11target_archE1030ELNS1_3gpuE2ELNS1_3repE0EEENS1_30default_config_static_selectorELNS0_4arch9wavefront6targetE0EEEvSY_.has_indirect_call, 0
	.section	.AMDGPU.csdata,"",@progbits
; Kernel info:
; codeLenInByte = 4
; TotalNumSgprs: 0
; NumVgprs: 0
; ScratchSize: 0
; MemoryBound: 0
; FloatMode: 240
; IeeeMode: 1
; LDSByteSize: 0 bytes/workgroup (compile time only)
; SGPRBlocks: 0
; VGPRBlocks: 0
; NumSGPRsForWavesPerEU: 1
; NumVGPRsForWavesPerEU: 1
; Occupancy: 16
; WaveLimiterHint : 0
; COMPUTE_PGM_RSRC2:SCRATCH_EN: 0
; COMPUTE_PGM_RSRC2:USER_SGPR: 6
; COMPUTE_PGM_RSRC2:TRAP_HANDLER: 0
; COMPUTE_PGM_RSRC2:TGID_X_EN: 1
; COMPUTE_PGM_RSRC2:TGID_Y_EN: 0
; COMPUTE_PGM_RSRC2:TGID_Z_EN: 0
; COMPUTE_PGM_RSRC2:TIDIG_COMP_CNT: 0
	.section	.text._ZN7rocprim17ROCPRIM_400000_NS6detail17trampoline_kernelINS0_13select_configILj256ELj13ELNS0_17block_load_methodE3ELS4_3ELS4_3ELNS0_20block_scan_algorithmE0ELj4294967295EEENS1_25partition_config_selectorILNS1_17partition_subalgoE3EjNS0_10empty_typeEbEEZZNS1_14partition_implILS8_3ELb0ES6_jNS0_17counting_iteratorIjlEEPS9_SE_NS0_5tupleIJPjSE_EEENSF_IJSE_SE_EEES9_SG_JZNS1_25segmented_radix_sort_implINS0_14default_configELb1EPKfPfPKlPlN2at6native12_GLOBAL__N_18offset_tEEE10hipError_tPvRmT1_PNSt15iterator_traitsISY_E10value_typeET2_T3_PNSZ_IS14_E10value_typeET4_jRbjT5_S1A_jjP12ihipStream_tbEUljE_EEESV_SW_SX_S14_S18_S1A_T6_T7_T9_mT8_S1C_bDpT10_ENKUlT_T0_E_clISt17integral_constantIbLb1EES1O_IbLb0EEEEDaS1K_S1L_EUlS1K_E_NS1_11comp_targetILNS1_3genE0ELNS1_11target_archE4294967295ELNS1_3gpuE0ELNS1_3repE0EEENS1_30default_config_static_selectorELNS0_4arch9wavefront6targetE0EEEvSY_,"axG",@progbits,_ZN7rocprim17ROCPRIM_400000_NS6detail17trampoline_kernelINS0_13select_configILj256ELj13ELNS0_17block_load_methodE3ELS4_3ELS4_3ELNS0_20block_scan_algorithmE0ELj4294967295EEENS1_25partition_config_selectorILNS1_17partition_subalgoE3EjNS0_10empty_typeEbEEZZNS1_14partition_implILS8_3ELb0ES6_jNS0_17counting_iteratorIjlEEPS9_SE_NS0_5tupleIJPjSE_EEENSF_IJSE_SE_EEES9_SG_JZNS1_25segmented_radix_sort_implINS0_14default_configELb1EPKfPfPKlPlN2at6native12_GLOBAL__N_18offset_tEEE10hipError_tPvRmT1_PNSt15iterator_traitsISY_E10value_typeET2_T3_PNSZ_IS14_E10value_typeET4_jRbjT5_S1A_jjP12ihipStream_tbEUljE_EEESV_SW_SX_S14_S18_S1A_T6_T7_T9_mT8_S1C_bDpT10_ENKUlT_T0_E_clISt17integral_constantIbLb1EES1O_IbLb0EEEEDaS1K_S1L_EUlS1K_E_NS1_11comp_targetILNS1_3genE0ELNS1_11target_archE4294967295ELNS1_3gpuE0ELNS1_3repE0EEENS1_30default_config_static_selectorELNS0_4arch9wavefront6targetE0EEEvSY_,comdat
	.globl	_ZN7rocprim17ROCPRIM_400000_NS6detail17trampoline_kernelINS0_13select_configILj256ELj13ELNS0_17block_load_methodE3ELS4_3ELS4_3ELNS0_20block_scan_algorithmE0ELj4294967295EEENS1_25partition_config_selectorILNS1_17partition_subalgoE3EjNS0_10empty_typeEbEEZZNS1_14partition_implILS8_3ELb0ES6_jNS0_17counting_iteratorIjlEEPS9_SE_NS0_5tupleIJPjSE_EEENSF_IJSE_SE_EEES9_SG_JZNS1_25segmented_radix_sort_implINS0_14default_configELb1EPKfPfPKlPlN2at6native12_GLOBAL__N_18offset_tEEE10hipError_tPvRmT1_PNSt15iterator_traitsISY_E10value_typeET2_T3_PNSZ_IS14_E10value_typeET4_jRbjT5_S1A_jjP12ihipStream_tbEUljE_EEESV_SW_SX_S14_S18_S1A_T6_T7_T9_mT8_S1C_bDpT10_ENKUlT_T0_E_clISt17integral_constantIbLb1EES1O_IbLb0EEEEDaS1K_S1L_EUlS1K_E_NS1_11comp_targetILNS1_3genE0ELNS1_11target_archE4294967295ELNS1_3gpuE0ELNS1_3repE0EEENS1_30default_config_static_selectorELNS0_4arch9wavefront6targetE0EEEvSY_ ; -- Begin function _ZN7rocprim17ROCPRIM_400000_NS6detail17trampoline_kernelINS0_13select_configILj256ELj13ELNS0_17block_load_methodE3ELS4_3ELS4_3ELNS0_20block_scan_algorithmE0ELj4294967295EEENS1_25partition_config_selectorILNS1_17partition_subalgoE3EjNS0_10empty_typeEbEEZZNS1_14partition_implILS8_3ELb0ES6_jNS0_17counting_iteratorIjlEEPS9_SE_NS0_5tupleIJPjSE_EEENSF_IJSE_SE_EEES9_SG_JZNS1_25segmented_radix_sort_implINS0_14default_configELb1EPKfPfPKlPlN2at6native12_GLOBAL__N_18offset_tEEE10hipError_tPvRmT1_PNSt15iterator_traitsISY_E10value_typeET2_T3_PNSZ_IS14_E10value_typeET4_jRbjT5_S1A_jjP12ihipStream_tbEUljE_EEESV_SW_SX_S14_S18_S1A_T6_T7_T9_mT8_S1C_bDpT10_ENKUlT_T0_E_clISt17integral_constantIbLb1EES1O_IbLb0EEEEDaS1K_S1L_EUlS1K_E_NS1_11comp_targetILNS1_3genE0ELNS1_11target_archE4294967295ELNS1_3gpuE0ELNS1_3repE0EEENS1_30default_config_static_selectorELNS0_4arch9wavefront6targetE0EEEvSY_
	.p2align	8
	.type	_ZN7rocprim17ROCPRIM_400000_NS6detail17trampoline_kernelINS0_13select_configILj256ELj13ELNS0_17block_load_methodE3ELS4_3ELS4_3ELNS0_20block_scan_algorithmE0ELj4294967295EEENS1_25partition_config_selectorILNS1_17partition_subalgoE3EjNS0_10empty_typeEbEEZZNS1_14partition_implILS8_3ELb0ES6_jNS0_17counting_iteratorIjlEEPS9_SE_NS0_5tupleIJPjSE_EEENSF_IJSE_SE_EEES9_SG_JZNS1_25segmented_radix_sort_implINS0_14default_configELb1EPKfPfPKlPlN2at6native12_GLOBAL__N_18offset_tEEE10hipError_tPvRmT1_PNSt15iterator_traitsISY_E10value_typeET2_T3_PNSZ_IS14_E10value_typeET4_jRbjT5_S1A_jjP12ihipStream_tbEUljE_EEESV_SW_SX_S14_S18_S1A_T6_T7_T9_mT8_S1C_bDpT10_ENKUlT_T0_E_clISt17integral_constantIbLb1EES1O_IbLb0EEEEDaS1K_S1L_EUlS1K_E_NS1_11comp_targetILNS1_3genE0ELNS1_11target_archE4294967295ELNS1_3gpuE0ELNS1_3repE0EEENS1_30default_config_static_selectorELNS0_4arch9wavefront6targetE0EEEvSY_,@function
_ZN7rocprim17ROCPRIM_400000_NS6detail17trampoline_kernelINS0_13select_configILj256ELj13ELNS0_17block_load_methodE3ELS4_3ELS4_3ELNS0_20block_scan_algorithmE0ELj4294967295EEENS1_25partition_config_selectorILNS1_17partition_subalgoE3EjNS0_10empty_typeEbEEZZNS1_14partition_implILS8_3ELb0ES6_jNS0_17counting_iteratorIjlEEPS9_SE_NS0_5tupleIJPjSE_EEENSF_IJSE_SE_EEES9_SG_JZNS1_25segmented_radix_sort_implINS0_14default_configELb1EPKfPfPKlPlN2at6native12_GLOBAL__N_18offset_tEEE10hipError_tPvRmT1_PNSt15iterator_traitsISY_E10value_typeET2_T3_PNSZ_IS14_E10value_typeET4_jRbjT5_S1A_jjP12ihipStream_tbEUljE_EEESV_SW_SX_S14_S18_S1A_T6_T7_T9_mT8_S1C_bDpT10_ENKUlT_T0_E_clISt17integral_constantIbLb1EES1O_IbLb0EEEEDaS1K_S1L_EUlS1K_E_NS1_11comp_targetILNS1_3genE0ELNS1_11target_archE4294967295ELNS1_3gpuE0ELNS1_3repE0EEENS1_30default_config_static_selectorELNS0_4arch9wavefront6targetE0EEEvSY_: ; @_ZN7rocprim17ROCPRIM_400000_NS6detail17trampoline_kernelINS0_13select_configILj256ELj13ELNS0_17block_load_methodE3ELS4_3ELS4_3ELNS0_20block_scan_algorithmE0ELj4294967295EEENS1_25partition_config_selectorILNS1_17partition_subalgoE3EjNS0_10empty_typeEbEEZZNS1_14partition_implILS8_3ELb0ES6_jNS0_17counting_iteratorIjlEEPS9_SE_NS0_5tupleIJPjSE_EEENSF_IJSE_SE_EEES9_SG_JZNS1_25segmented_radix_sort_implINS0_14default_configELb1EPKfPfPKlPlN2at6native12_GLOBAL__N_18offset_tEEE10hipError_tPvRmT1_PNSt15iterator_traitsISY_E10value_typeET2_T3_PNSZ_IS14_E10value_typeET4_jRbjT5_S1A_jjP12ihipStream_tbEUljE_EEESV_SW_SX_S14_S18_S1A_T6_T7_T9_mT8_S1C_bDpT10_ENKUlT_T0_E_clISt17integral_constantIbLb1EES1O_IbLb0EEEEDaS1K_S1L_EUlS1K_E_NS1_11comp_targetILNS1_3genE0ELNS1_11target_archE4294967295ELNS1_3gpuE0ELNS1_3repE0EEENS1_30default_config_static_selectorELNS0_4arch9wavefront6targetE0EEEvSY_
; %bb.0:
	.section	.rodata,"a",@progbits
	.p2align	6, 0x0
	.amdhsa_kernel _ZN7rocprim17ROCPRIM_400000_NS6detail17trampoline_kernelINS0_13select_configILj256ELj13ELNS0_17block_load_methodE3ELS4_3ELS4_3ELNS0_20block_scan_algorithmE0ELj4294967295EEENS1_25partition_config_selectorILNS1_17partition_subalgoE3EjNS0_10empty_typeEbEEZZNS1_14partition_implILS8_3ELb0ES6_jNS0_17counting_iteratorIjlEEPS9_SE_NS0_5tupleIJPjSE_EEENSF_IJSE_SE_EEES9_SG_JZNS1_25segmented_radix_sort_implINS0_14default_configELb1EPKfPfPKlPlN2at6native12_GLOBAL__N_18offset_tEEE10hipError_tPvRmT1_PNSt15iterator_traitsISY_E10value_typeET2_T3_PNSZ_IS14_E10value_typeET4_jRbjT5_S1A_jjP12ihipStream_tbEUljE_EEESV_SW_SX_S14_S18_S1A_T6_T7_T9_mT8_S1C_bDpT10_ENKUlT_T0_E_clISt17integral_constantIbLb1EES1O_IbLb0EEEEDaS1K_S1L_EUlS1K_E_NS1_11comp_targetILNS1_3genE0ELNS1_11target_archE4294967295ELNS1_3gpuE0ELNS1_3repE0EEENS1_30default_config_static_selectorELNS0_4arch9wavefront6targetE0EEEvSY_
		.amdhsa_group_segment_fixed_size 0
		.amdhsa_private_segment_fixed_size 0
		.amdhsa_kernarg_size 144
		.amdhsa_user_sgpr_count 6
		.amdhsa_user_sgpr_private_segment_buffer 1
		.amdhsa_user_sgpr_dispatch_ptr 0
		.amdhsa_user_sgpr_queue_ptr 0
		.amdhsa_user_sgpr_kernarg_segment_ptr 1
		.amdhsa_user_sgpr_dispatch_id 0
		.amdhsa_user_sgpr_flat_scratch_init 0
		.amdhsa_user_sgpr_private_segment_size 0
		.amdhsa_wavefront_size32 1
		.amdhsa_uses_dynamic_stack 0
		.amdhsa_system_sgpr_private_segment_wavefront_offset 0
		.amdhsa_system_sgpr_workgroup_id_x 1
		.amdhsa_system_sgpr_workgroup_id_y 0
		.amdhsa_system_sgpr_workgroup_id_z 0
		.amdhsa_system_sgpr_workgroup_info 0
		.amdhsa_system_vgpr_workitem_id 0
		.amdhsa_next_free_vgpr 1
		.amdhsa_next_free_sgpr 1
		.amdhsa_reserve_vcc 0
		.amdhsa_reserve_flat_scratch 0
		.amdhsa_float_round_mode_32 0
		.amdhsa_float_round_mode_16_64 0
		.amdhsa_float_denorm_mode_32 3
		.amdhsa_float_denorm_mode_16_64 3
		.amdhsa_dx10_clamp 1
		.amdhsa_ieee_mode 1
		.amdhsa_fp16_overflow 0
		.amdhsa_workgroup_processor_mode 1
		.amdhsa_memory_ordered 1
		.amdhsa_forward_progress 1
		.amdhsa_shared_vgpr_count 0
		.amdhsa_exception_fp_ieee_invalid_op 0
		.amdhsa_exception_fp_denorm_src 0
		.amdhsa_exception_fp_ieee_div_zero 0
		.amdhsa_exception_fp_ieee_overflow 0
		.amdhsa_exception_fp_ieee_underflow 0
		.amdhsa_exception_fp_ieee_inexact 0
		.amdhsa_exception_int_div_zero 0
	.end_amdhsa_kernel
	.section	.text._ZN7rocprim17ROCPRIM_400000_NS6detail17trampoline_kernelINS0_13select_configILj256ELj13ELNS0_17block_load_methodE3ELS4_3ELS4_3ELNS0_20block_scan_algorithmE0ELj4294967295EEENS1_25partition_config_selectorILNS1_17partition_subalgoE3EjNS0_10empty_typeEbEEZZNS1_14partition_implILS8_3ELb0ES6_jNS0_17counting_iteratorIjlEEPS9_SE_NS0_5tupleIJPjSE_EEENSF_IJSE_SE_EEES9_SG_JZNS1_25segmented_radix_sort_implINS0_14default_configELb1EPKfPfPKlPlN2at6native12_GLOBAL__N_18offset_tEEE10hipError_tPvRmT1_PNSt15iterator_traitsISY_E10value_typeET2_T3_PNSZ_IS14_E10value_typeET4_jRbjT5_S1A_jjP12ihipStream_tbEUljE_EEESV_SW_SX_S14_S18_S1A_T6_T7_T9_mT8_S1C_bDpT10_ENKUlT_T0_E_clISt17integral_constantIbLb1EES1O_IbLb0EEEEDaS1K_S1L_EUlS1K_E_NS1_11comp_targetILNS1_3genE0ELNS1_11target_archE4294967295ELNS1_3gpuE0ELNS1_3repE0EEENS1_30default_config_static_selectorELNS0_4arch9wavefront6targetE0EEEvSY_,"axG",@progbits,_ZN7rocprim17ROCPRIM_400000_NS6detail17trampoline_kernelINS0_13select_configILj256ELj13ELNS0_17block_load_methodE3ELS4_3ELS4_3ELNS0_20block_scan_algorithmE0ELj4294967295EEENS1_25partition_config_selectorILNS1_17partition_subalgoE3EjNS0_10empty_typeEbEEZZNS1_14partition_implILS8_3ELb0ES6_jNS0_17counting_iteratorIjlEEPS9_SE_NS0_5tupleIJPjSE_EEENSF_IJSE_SE_EEES9_SG_JZNS1_25segmented_radix_sort_implINS0_14default_configELb1EPKfPfPKlPlN2at6native12_GLOBAL__N_18offset_tEEE10hipError_tPvRmT1_PNSt15iterator_traitsISY_E10value_typeET2_T3_PNSZ_IS14_E10value_typeET4_jRbjT5_S1A_jjP12ihipStream_tbEUljE_EEESV_SW_SX_S14_S18_S1A_T6_T7_T9_mT8_S1C_bDpT10_ENKUlT_T0_E_clISt17integral_constantIbLb1EES1O_IbLb0EEEEDaS1K_S1L_EUlS1K_E_NS1_11comp_targetILNS1_3genE0ELNS1_11target_archE4294967295ELNS1_3gpuE0ELNS1_3repE0EEENS1_30default_config_static_selectorELNS0_4arch9wavefront6targetE0EEEvSY_,comdat
.Lfunc_end1301:
	.size	_ZN7rocprim17ROCPRIM_400000_NS6detail17trampoline_kernelINS0_13select_configILj256ELj13ELNS0_17block_load_methodE3ELS4_3ELS4_3ELNS0_20block_scan_algorithmE0ELj4294967295EEENS1_25partition_config_selectorILNS1_17partition_subalgoE3EjNS0_10empty_typeEbEEZZNS1_14partition_implILS8_3ELb0ES6_jNS0_17counting_iteratorIjlEEPS9_SE_NS0_5tupleIJPjSE_EEENSF_IJSE_SE_EEES9_SG_JZNS1_25segmented_radix_sort_implINS0_14default_configELb1EPKfPfPKlPlN2at6native12_GLOBAL__N_18offset_tEEE10hipError_tPvRmT1_PNSt15iterator_traitsISY_E10value_typeET2_T3_PNSZ_IS14_E10value_typeET4_jRbjT5_S1A_jjP12ihipStream_tbEUljE_EEESV_SW_SX_S14_S18_S1A_T6_T7_T9_mT8_S1C_bDpT10_ENKUlT_T0_E_clISt17integral_constantIbLb1EES1O_IbLb0EEEEDaS1K_S1L_EUlS1K_E_NS1_11comp_targetILNS1_3genE0ELNS1_11target_archE4294967295ELNS1_3gpuE0ELNS1_3repE0EEENS1_30default_config_static_selectorELNS0_4arch9wavefront6targetE0EEEvSY_, .Lfunc_end1301-_ZN7rocprim17ROCPRIM_400000_NS6detail17trampoline_kernelINS0_13select_configILj256ELj13ELNS0_17block_load_methodE3ELS4_3ELS4_3ELNS0_20block_scan_algorithmE0ELj4294967295EEENS1_25partition_config_selectorILNS1_17partition_subalgoE3EjNS0_10empty_typeEbEEZZNS1_14partition_implILS8_3ELb0ES6_jNS0_17counting_iteratorIjlEEPS9_SE_NS0_5tupleIJPjSE_EEENSF_IJSE_SE_EEES9_SG_JZNS1_25segmented_radix_sort_implINS0_14default_configELb1EPKfPfPKlPlN2at6native12_GLOBAL__N_18offset_tEEE10hipError_tPvRmT1_PNSt15iterator_traitsISY_E10value_typeET2_T3_PNSZ_IS14_E10value_typeET4_jRbjT5_S1A_jjP12ihipStream_tbEUljE_EEESV_SW_SX_S14_S18_S1A_T6_T7_T9_mT8_S1C_bDpT10_ENKUlT_T0_E_clISt17integral_constantIbLb1EES1O_IbLb0EEEEDaS1K_S1L_EUlS1K_E_NS1_11comp_targetILNS1_3genE0ELNS1_11target_archE4294967295ELNS1_3gpuE0ELNS1_3repE0EEENS1_30default_config_static_selectorELNS0_4arch9wavefront6targetE0EEEvSY_
                                        ; -- End function
	.set _ZN7rocprim17ROCPRIM_400000_NS6detail17trampoline_kernelINS0_13select_configILj256ELj13ELNS0_17block_load_methodE3ELS4_3ELS4_3ELNS0_20block_scan_algorithmE0ELj4294967295EEENS1_25partition_config_selectorILNS1_17partition_subalgoE3EjNS0_10empty_typeEbEEZZNS1_14partition_implILS8_3ELb0ES6_jNS0_17counting_iteratorIjlEEPS9_SE_NS0_5tupleIJPjSE_EEENSF_IJSE_SE_EEES9_SG_JZNS1_25segmented_radix_sort_implINS0_14default_configELb1EPKfPfPKlPlN2at6native12_GLOBAL__N_18offset_tEEE10hipError_tPvRmT1_PNSt15iterator_traitsISY_E10value_typeET2_T3_PNSZ_IS14_E10value_typeET4_jRbjT5_S1A_jjP12ihipStream_tbEUljE_EEESV_SW_SX_S14_S18_S1A_T6_T7_T9_mT8_S1C_bDpT10_ENKUlT_T0_E_clISt17integral_constantIbLb1EES1O_IbLb0EEEEDaS1K_S1L_EUlS1K_E_NS1_11comp_targetILNS1_3genE0ELNS1_11target_archE4294967295ELNS1_3gpuE0ELNS1_3repE0EEENS1_30default_config_static_selectorELNS0_4arch9wavefront6targetE0EEEvSY_.num_vgpr, 0
	.set _ZN7rocprim17ROCPRIM_400000_NS6detail17trampoline_kernelINS0_13select_configILj256ELj13ELNS0_17block_load_methodE3ELS4_3ELS4_3ELNS0_20block_scan_algorithmE0ELj4294967295EEENS1_25partition_config_selectorILNS1_17partition_subalgoE3EjNS0_10empty_typeEbEEZZNS1_14partition_implILS8_3ELb0ES6_jNS0_17counting_iteratorIjlEEPS9_SE_NS0_5tupleIJPjSE_EEENSF_IJSE_SE_EEES9_SG_JZNS1_25segmented_radix_sort_implINS0_14default_configELb1EPKfPfPKlPlN2at6native12_GLOBAL__N_18offset_tEEE10hipError_tPvRmT1_PNSt15iterator_traitsISY_E10value_typeET2_T3_PNSZ_IS14_E10value_typeET4_jRbjT5_S1A_jjP12ihipStream_tbEUljE_EEESV_SW_SX_S14_S18_S1A_T6_T7_T9_mT8_S1C_bDpT10_ENKUlT_T0_E_clISt17integral_constantIbLb1EES1O_IbLb0EEEEDaS1K_S1L_EUlS1K_E_NS1_11comp_targetILNS1_3genE0ELNS1_11target_archE4294967295ELNS1_3gpuE0ELNS1_3repE0EEENS1_30default_config_static_selectorELNS0_4arch9wavefront6targetE0EEEvSY_.num_agpr, 0
	.set _ZN7rocprim17ROCPRIM_400000_NS6detail17trampoline_kernelINS0_13select_configILj256ELj13ELNS0_17block_load_methodE3ELS4_3ELS4_3ELNS0_20block_scan_algorithmE0ELj4294967295EEENS1_25partition_config_selectorILNS1_17partition_subalgoE3EjNS0_10empty_typeEbEEZZNS1_14partition_implILS8_3ELb0ES6_jNS0_17counting_iteratorIjlEEPS9_SE_NS0_5tupleIJPjSE_EEENSF_IJSE_SE_EEES9_SG_JZNS1_25segmented_radix_sort_implINS0_14default_configELb1EPKfPfPKlPlN2at6native12_GLOBAL__N_18offset_tEEE10hipError_tPvRmT1_PNSt15iterator_traitsISY_E10value_typeET2_T3_PNSZ_IS14_E10value_typeET4_jRbjT5_S1A_jjP12ihipStream_tbEUljE_EEESV_SW_SX_S14_S18_S1A_T6_T7_T9_mT8_S1C_bDpT10_ENKUlT_T0_E_clISt17integral_constantIbLb1EES1O_IbLb0EEEEDaS1K_S1L_EUlS1K_E_NS1_11comp_targetILNS1_3genE0ELNS1_11target_archE4294967295ELNS1_3gpuE0ELNS1_3repE0EEENS1_30default_config_static_selectorELNS0_4arch9wavefront6targetE0EEEvSY_.numbered_sgpr, 0
	.set _ZN7rocprim17ROCPRIM_400000_NS6detail17trampoline_kernelINS0_13select_configILj256ELj13ELNS0_17block_load_methodE3ELS4_3ELS4_3ELNS0_20block_scan_algorithmE0ELj4294967295EEENS1_25partition_config_selectorILNS1_17partition_subalgoE3EjNS0_10empty_typeEbEEZZNS1_14partition_implILS8_3ELb0ES6_jNS0_17counting_iteratorIjlEEPS9_SE_NS0_5tupleIJPjSE_EEENSF_IJSE_SE_EEES9_SG_JZNS1_25segmented_radix_sort_implINS0_14default_configELb1EPKfPfPKlPlN2at6native12_GLOBAL__N_18offset_tEEE10hipError_tPvRmT1_PNSt15iterator_traitsISY_E10value_typeET2_T3_PNSZ_IS14_E10value_typeET4_jRbjT5_S1A_jjP12ihipStream_tbEUljE_EEESV_SW_SX_S14_S18_S1A_T6_T7_T9_mT8_S1C_bDpT10_ENKUlT_T0_E_clISt17integral_constantIbLb1EES1O_IbLb0EEEEDaS1K_S1L_EUlS1K_E_NS1_11comp_targetILNS1_3genE0ELNS1_11target_archE4294967295ELNS1_3gpuE0ELNS1_3repE0EEENS1_30default_config_static_selectorELNS0_4arch9wavefront6targetE0EEEvSY_.num_named_barrier, 0
	.set _ZN7rocprim17ROCPRIM_400000_NS6detail17trampoline_kernelINS0_13select_configILj256ELj13ELNS0_17block_load_methodE3ELS4_3ELS4_3ELNS0_20block_scan_algorithmE0ELj4294967295EEENS1_25partition_config_selectorILNS1_17partition_subalgoE3EjNS0_10empty_typeEbEEZZNS1_14partition_implILS8_3ELb0ES6_jNS0_17counting_iteratorIjlEEPS9_SE_NS0_5tupleIJPjSE_EEENSF_IJSE_SE_EEES9_SG_JZNS1_25segmented_radix_sort_implINS0_14default_configELb1EPKfPfPKlPlN2at6native12_GLOBAL__N_18offset_tEEE10hipError_tPvRmT1_PNSt15iterator_traitsISY_E10value_typeET2_T3_PNSZ_IS14_E10value_typeET4_jRbjT5_S1A_jjP12ihipStream_tbEUljE_EEESV_SW_SX_S14_S18_S1A_T6_T7_T9_mT8_S1C_bDpT10_ENKUlT_T0_E_clISt17integral_constantIbLb1EES1O_IbLb0EEEEDaS1K_S1L_EUlS1K_E_NS1_11comp_targetILNS1_3genE0ELNS1_11target_archE4294967295ELNS1_3gpuE0ELNS1_3repE0EEENS1_30default_config_static_selectorELNS0_4arch9wavefront6targetE0EEEvSY_.private_seg_size, 0
	.set _ZN7rocprim17ROCPRIM_400000_NS6detail17trampoline_kernelINS0_13select_configILj256ELj13ELNS0_17block_load_methodE3ELS4_3ELS4_3ELNS0_20block_scan_algorithmE0ELj4294967295EEENS1_25partition_config_selectorILNS1_17partition_subalgoE3EjNS0_10empty_typeEbEEZZNS1_14partition_implILS8_3ELb0ES6_jNS0_17counting_iteratorIjlEEPS9_SE_NS0_5tupleIJPjSE_EEENSF_IJSE_SE_EEES9_SG_JZNS1_25segmented_radix_sort_implINS0_14default_configELb1EPKfPfPKlPlN2at6native12_GLOBAL__N_18offset_tEEE10hipError_tPvRmT1_PNSt15iterator_traitsISY_E10value_typeET2_T3_PNSZ_IS14_E10value_typeET4_jRbjT5_S1A_jjP12ihipStream_tbEUljE_EEESV_SW_SX_S14_S18_S1A_T6_T7_T9_mT8_S1C_bDpT10_ENKUlT_T0_E_clISt17integral_constantIbLb1EES1O_IbLb0EEEEDaS1K_S1L_EUlS1K_E_NS1_11comp_targetILNS1_3genE0ELNS1_11target_archE4294967295ELNS1_3gpuE0ELNS1_3repE0EEENS1_30default_config_static_selectorELNS0_4arch9wavefront6targetE0EEEvSY_.uses_vcc, 0
	.set _ZN7rocprim17ROCPRIM_400000_NS6detail17trampoline_kernelINS0_13select_configILj256ELj13ELNS0_17block_load_methodE3ELS4_3ELS4_3ELNS0_20block_scan_algorithmE0ELj4294967295EEENS1_25partition_config_selectorILNS1_17partition_subalgoE3EjNS0_10empty_typeEbEEZZNS1_14partition_implILS8_3ELb0ES6_jNS0_17counting_iteratorIjlEEPS9_SE_NS0_5tupleIJPjSE_EEENSF_IJSE_SE_EEES9_SG_JZNS1_25segmented_radix_sort_implINS0_14default_configELb1EPKfPfPKlPlN2at6native12_GLOBAL__N_18offset_tEEE10hipError_tPvRmT1_PNSt15iterator_traitsISY_E10value_typeET2_T3_PNSZ_IS14_E10value_typeET4_jRbjT5_S1A_jjP12ihipStream_tbEUljE_EEESV_SW_SX_S14_S18_S1A_T6_T7_T9_mT8_S1C_bDpT10_ENKUlT_T0_E_clISt17integral_constantIbLb1EES1O_IbLb0EEEEDaS1K_S1L_EUlS1K_E_NS1_11comp_targetILNS1_3genE0ELNS1_11target_archE4294967295ELNS1_3gpuE0ELNS1_3repE0EEENS1_30default_config_static_selectorELNS0_4arch9wavefront6targetE0EEEvSY_.uses_flat_scratch, 0
	.set _ZN7rocprim17ROCPRIM_400000_NS6detail17trampoline_kernelINS0_13select_configILj256ELj13ELNS0_17block_load_methodE3ELS4_3ELS4_3ELNS0_20block_scan_algorithmE0ELj4294967295EEENS1_25partition_config_selectorILNS1_17partition_subalgoE3EjNS0_10empty_typeEbEEZZNS1_14partition_implILS8_3ELb0ES6_jNS0_17counting_iteratorIjlEEPS9_SE_NS0_5tupleIJPjSE_EEENSF_IJSE_SE_EEES9_SG_JZNS1_25segmented_radix_sort_implINS0_14default_configELb1EPKfPfPKlPlN2at6native12_GLOBAL__N_18offset_tEEE10hipError_tPvRmT1_PNSt15iterator_traitsISY_E10value_typeET2_T3_PNSZ_IS14_E10value_typeET4_jRbjT5_S1A_jjP12ihipStream_tbEUljE_EEESV_SW_SX_S14_S18_S1A_T6_T7_T9_mT8_S1C_bDpT10_ENKUlT_T0_E_clISt17integral_constantIbLb1EES1O_IbLb0EEEEDaS1K_S1L_EUlS1K_E_NS1_11comp_targetILNS1_3genE0ELNS1_11target_archE4294967295ELNS1_3gpuE0ELNS1_3repE0EEENS1_30default_config_static_selectorELNS0_4arch9wavefront6targetE0EEEvSY_.has_dyn_sized_stack, 0
	.set _ZN7rocprim17ROCPRIM_400000_NS6detail17trampoline_kernelINS0_13select_configILj256ELj13ELNS0_17block_load_methodE3ELS4_3ELS4_3ELNS0_20block_scan_algorithmE0ELj4294967295EEENS1_25partition_config_selectorILNS1_17partition_subalgoE3EjNS0_10empty_typeEbEEZZNS1_14partition_implILS8_3ELb0ES6_jNS0_17counting_iteratorIjlEEPS9_SE_NS0_5tupleIJPjSE_EEENSF_IJSE_SE_EEES9_SG_JZNS1_25segmented_radix_sort_implINS0_14default_configELb1EPKfPfPKlPlN2at6native12_GLOBAL__N_18offset_tEEE10hipError_tPvRmT1_PNSt15iterator_traitsISY_E10value_typeET2_T3_PNSZ_IS14_E10value_typeET4_jRbjT5_S1A_jjP12ihipStream_tbEUljE_EEESV_SW_SX_S14_S18_S1A_T6_T7_T9_mT8_S1C_bDpT10_ENKUlT_T0_E_clISt17integral_constantIbLb1EES1O_IbLb0EEEEDaS1K_S1L_EUlS1K_E_NS1_11comp_targetILNS1_3genE0ELNS1_11target_archE4294967295ELNS1_3gpuE0ELNS1_3repE0EEENS1_30default_config_static_selectorELNS0_4arch9wavefront6targetE0EEEvSY_.has_recursion, 0
	.set _ZN7rocprim17ROCPRIM_400000_NS6detail17trampoline_kernelINS0_13select_configILj256ELj13ELNS0_17block_load_methodE3ELS4_3ELS4_3ELNS0_20block_scan_algorithmE0ELj4294967295EEENS1_25partition_config_selectorILNS1_17partition_subalgoE3EjNS0_10empty_typeEbEEZZNS1_14partition_implILS8_3ELb0ES6_jNS0_17counting_iteratorIjlEEPS9_SE_NS0_5tupleIJPjSE_EEENSF_IJSE_SE_EEES9_SG_JZNS1_25segmented_radix_sort_implINS0_14default_configELb1EPKfPfPKlPlN2at6native12_GLOBAL__N_18offset_tEEE10hipError_tPvRmT1_PNSt15iterator_traitsISY_E10value_typeET2_T3_PNSZ_IS14_E10value_typeET4_jRbjT5_S1A_jjP12ihipStream_tbEUljE_EEESV_SW_SX_S14_S18_S1A_T6_T7_T9_mT8_S1C_bDpT10_ENKUlT_T0_E_clISt17integral_constantIbLb1EES1O_IbLb0EEEEDaS1K_S1L_EUlS1K_E_NS1_11comp_targetILNS1_3genE0ELNS1_11target_archE4294967295ELNS1_3gpuE0ELNS1_3repE0EEENS1_30default_config_static_selectorELNS0_4arch9wavefront6targetE0EEEvSY_.has_indirect_call, 0
	.section	.AMDGPU.csdata,"",@progbits
; Kernel info:
; codeLenInByte = 0
; TotalNumSgprs: 0
; NumVgprs: 0
; ScratchSize: 0
; MemoryBound: 0
; FloatMode: 240
; IeeeMode: 1
; LDSByteSize: 0 bytes/workgroup (compile time only)
; SGPRBlocks: 0
; VGPRBlocks: 0
; NumSGPRsForWavesPerEU: 1
; NumVGPRsForWavesPerEU: 1
; Occupancy: 16
; WaveLimiterHint : 0
; COMPUTE_PGM_RSRC2:SCRATCH_EN: 0
; COMPUTE_PGM_RSRC2:USER_SGPR: 6
; COMPUTE_PGM_RSRC2:TRAP_HANDLER: 0
; COMPUTE_PGM_RSRC2:TGID_X_EN: 1
; COMPUTE_PGM_RSRC2:TGID_Y_EN: 0
; COMPUTE_PGM_RSRC2:TGID_Z_EN: 0
; COMPUTE_PGM_RSRC2:TIDIG_COMP_CNT: 0
	.section	.text._ZN7rocprim17ROCPRIM_400000_NS6detail17trampoline_kernelINS0_13select_configILj256ELj13ELNS0_17block_load_methodE3ELS4_3ELS4_3ELNS0_20block_scan_algorithmE0ELj4294967295EEENS1_25partition_config_selectorILNS1_17partition_subalgoE3EjNS0_10empty_typeEbEEZZNS1_14partition_implILS8_3ELb0ES6_jNS0_17counting_iteratorIjlEEPS9_SE_NS0_5tupleIJPjSE_EEENSF_IJSE_SE_EEES9_SG_JZNS1_25segmented_radix_sort_implINS0_14default_configELb1EPKfPfPKlPlN2at6native12_GLOBAL__N_18offset_tEEE10hipError_tPvRmT1_PNSt15iterator_traitsISY_E10value_typeET2_T3_PNSZ_IS14_E10value_typeET4_jRbjT5_S1A_jjP12ihipStream_tbEUljE_EEESV_SW_SX_S14_S18_S1A_T6_T7_T9_mT8_S1C_bDpT10_ENKUlT_T0_E_clISt17integral_constantIbLb1EES1O_IbLb0EEEEDaS1K_S1L_EUlS1K_E_NS1_11comp_targetILNS1_3genE5ELNS1_11target_archE942ELNS1_3gpuE9ELNS1_3repE0EEENS1_30default_config_static_selectorELNS0_4arch9wavefront6targetE0EEEvSY_,"axG",@progbits,_ZN7rocprim17ROCPRIM_400000_NS6detail17trampoline_kernelINS0_13select_configILj256ELj13ELNS0_17block_load_methodE3ELS4_3ELS4_3ELNS0_20block_scan_algorithmE0ELj4294967295EEENS1_25partition_config_selectorILNS1_17partition_subalgoE3EjNS0_10empty_typeEbEEZZNS1_14partition_implILS8_3ELb0ES6_jNS0_17counting_iteratorIjlEEPS9_SE_NS0_5tupleIJPjSE_EEENSF_IJSE_SE_EEES9_SG_JZNS1_25segmented_radix_sort_implINS0_14default_configELb1EPKfPfPKlPlN2at6native12_GLOBAL__N_18offset_tEEE10hipError_tPvRmT1_PNSt15iterator_traitsISY_E10value_typeET2_T3_PNSZ_IS14_E10value_typeET4_jRbjT5_S1A_jjP12ihipStream_tbEUljE_EEESV_SW_SX_S14_S18_S1A_T6_T7_T9_mT8_S1C_bDpT10_ENKUlT_T0_E_clISt17integral_constantIbLb1EES1O_IbLb0EEEEDaS1K_S1L_EUlS1K_E_NS1_11comp_targetILNS1_3genE5ELNS1_11target_archE942ELNS1_3gpuE9ELNS1_3repE0EEENS1_30default_config_static_selectorELNS0_4arch9wavefront6targetE0EEEvSY_,comdat
	.globl	_ZN7rocprim17ROCPRIM_400000_NS6detail17trampoline_kernelINS0_13select_configILj256ELj13ELNS0_17block_load_methodE3ELS4_3ELS4_3ELNS0_20block_scan_algorithmE0ELj4294967295EEENS1_25partition_config_selectorILNS1_17partition_subalgoE3EjNS0_10empty_typeEbEEZZNS1_14partition_implILS8_3ELb0ES6_jNS0_17counting_iteratorIjlEEPS9_SE_NS0_5tupleIJPjSE_EEENSF_IJSE_SE_EEES9_SG_JZNS1_25segmented_radix_sort_implINS0_14default_configELb1EPKfPfPKlPlN2at6native12_GLOBAL__N_18offset_tEEE10hipError_tPvRmT1_PNSt15iterator_traitsISY_E10value_typeET2_T3_PNSZ_IS14_E10value_typeET4_jRbjT5_S1A_jjP12ihipStream_tbEUljE_EEESV_SW_SX_S14_S18_S1A_T6_T7_T9_mT8_S1C_bDpT10_ENKUlT_T0_E_clISt17integral_constantIbLb1EES1O_IbLb0EEEEDaS1K_S1L_EUlS1K_E_NS1_11comp_targetILNS1_3genE5ELNS1_11target_archE942ELNS1_3gpuE9ELNS1_3repE0EEENS1_30default_config_static_selectorELNS0_4arch9wavefront6targetE0EEEvSY_ ; -- Begin function _ZN7rocprim17ROCPRIM_400000_NS6detail17trampoline_kernelINS0_13select_configILj256ELj13ELNS0_17block_load_methodE3ELS4_3ELS4_3ELNS0_20block_scan_algorithmE0ELj4294967295EEENS1_25partition_config_selectorILNS1_17partition_subalgoE3EjNS0_10empty_typeEbEEZZNS1_14partition_implILS8_3ELb0ES6_jNS0_17counting_iteratorIjlEEPS9_SE_NS0_5tupleIJPjSE_EEENSF_IJSE_SE_EEES9_SG_JZNS1_25segmented_radix_sort_implINS0_14default_configELb1EPKfPfPKlPlN2at6native12_GLOBAL__N_18offset_tEEE10hipError_tPvRmT1_PNSt15iterator_traitsISY_E10value_typeET2_T3_PNSZ_IS14_E10value_typeET4_jRbjT5_S1A_jjP12ihipStream_tbEUljE_EEESV_SW_SX_S14_S18_S1A_T6_T7_T9_mT8_S1C_bDpT10_ENKUlT_T0_E_clISt17integral_constantIbLb1EES1O_IbLb0EEEEDaS1K_S1L_EUlS1K_E_NS1_11comp_targetILNS1_3genE5ELNS1_11target_archE942ELNS1_3gpuE9ELNS1_3repE0EEENS1_30default_config_static_selectorELNS0_4arch9wavefront6targetE0EEEvSY_
	.p2align	8
	.type	_ZN7rocprim17ROCPRIM_400000_NS6detail17trampoline_kernelINS0_13select_configILj256ELj13ELNS0_17block_load_methodE3ELS4_3ELS4_3ELNS0_20block_scan_algorithmE0ELj4294967295EEENS1_25partition_config_selectorILNS1_17partition_subalgoE3EjNS0_10empty_typeEbEEZZNS1_14partition_implILS8_3ELb0ES6_jNS0_17counting_iteratorIjlEEPS9_SE_NS0_5tupleIJPjSE_EEENSF_IJSE_SE_EEES9_SG_JZNS1_25segmented_radix_sort_implINS0_14default_configELb1EPKfPfPKlPlN2at6native12_GLOBAL__N_18offset_tEEE10hipError_tPvRmT1_PNSt15iterator_traitsISY_E10value_typeET2_T3_PNSZ_IS14_E10value_typeET4_jRbjT5_S1A_jjP12ihipStream_tbEUljE_EEESV_SW_SX_S14_S18_S1A_T6_T7_T9_mT8_S1C_bDpT10_ENKUlT_T0_E_clISt17integral_constantIbLb1EES1O_IbLb0EEEEDaS1K_S1L_EUlS1K_E_NS1_11comp_targetILNS1_3genE5ELNS1_11target_archE942ELNS1_3gpuE9ELNS1_3repE0EEENS1_30default_config_static_selectorELNS0_4arch9wavefront6targetE0EEEvSY_,@function
_ZN7rocprim17ROCPRIM_400000_NS6detail17trampoline_kernelINS0_13select_configILj256ELj13ELNS0_17block_load_methodE3ELS4_3ELS4_3ELNS0_20block_scan_algorithmE0ELj4294967295EEENS1_25partition_config_selectorILNS1_17partition_subalgoE3EjNS0_10empty_typeEbEEZZNS1_14partition_implILS8_3ELb0ES6_jNS0_17counting_iteratorIjlEEPS9_SE_NS0_5tupleIJPjSE_EEENSF_IJSE_SE_EEES9_SG_JZNS1_25segmented_radix_sort_implINS0_14default_configELb1EPKfPfPKlPlN2at6native12_GLOBAL__N_18offset_tEEE10hipError_tPvRmT1_PNSt15iterator_traitsISY_E10value_typeET2_T3_PNSZ_IS14_E10value_typeET4_jRbjT5_S1A_jjP12ihipStream_tbEUljE_EEESV_SW_SX_S14_S18_S1A_T6_T7_T9_mT8_S1C_bDpT10_ENKUlT_T0_E_clISt17integral_constantIbLb1EES1O_IbLb0EEEEDaS1K_S1L_EUlS1K_E_NS1_11comp_targetILNS1_3genE5ELNS1_11target_archE942ELNS1_3gpuE9ELNS1_3repE0EEENS1_30default_config_static_selectorELNS0_4arch9wavefront6targetE0EEEvSY_: ; @_ZN7rocprim17ROCPRIM_400000_NS6detail17trampoline_kernelINS0_13select_configILj256ELj13ELNS0_17block_load_methodE3ELS4_3ELS4_3ELNS0_20block_scan_algorithmE0ELj4294967295EEENS1_25partition_config_selectorILNS1_17partition_subalgoE3EjNS0_10empty_typeEbEEZZNS1_14partition_implILS8_3ELb0ES6_jNS0_17counting_iteratorIjlEEPS9_SE_NS0_5tupleIJPjSE_EEENSF_IJSE_SE_EEES9_SG_JZNS1_25segmented_radix_sort_implINS0_14default_configELb1EPKfPfPKlPlN2at6native12_GLOBAL__N_18offset_tEEE10hipError_tPvRmT1_PNSt15iterator_traitsISY_E10value_typeET2_T3_PNSZ_IS14_E10value_typeET4_jRbjT5_S1A_jjP12ihipStream_tbEUljE_EEESV_SW_SX_S14_S18_S1A_T6_T7_T9_mT8_S1C_bDpT10_ENKUlT_T0_E_clISt17integral_constantIbLb1EES1O_IbLb0EEEEDaS1K_S1L_EUlS1K_E_NS1_11comp_targetILNS1_3genE5ELNS1_11target_archE942ELNS1_3gpuE9ELNS1_3repE0EEENS1_30default_config_static_selectorELNS0_4arch9wavefront6targetE0EEEvSY_
; %bb.0:
	.section	.rodata,"a",@progbits
	.p2align	6, 0x0
	.amdhsa_kernel _ZN7rocprim17ROCPRIM_400000_NS6detail17trampoline_kernelINS0_13select_configILj256ELj13ELNS0_17block_load_methodE3ELS4_3ELS4_3ELNS0_20block_scan_algorithmE0ELj4294967295EEENS1_25partition_config_selectorILNS1_17partition_subalgoE3EjNS0_10empty_typeEbEEZZNS1_14partition_implILS8_3ELb0ES6_jNS0_17counting_iteratorIjlEEPS9_SE_NS0_5tupleIJPjSE_EEENSF_IJSE_SE_EEES9_SG_JZNS1_25segmented_radix_sort_implINS0_14default_configELb1EPKfPfPKlPlN2at6native12_GLOBAL__N_18offset_tEEE10hipError_tPvRmT1_PNSt15iterator_traitsISY_E10value_typeET2_T3_PNSZ_IS14_E10value_typeET4_jRbjT5_S1A_jjP12ihipStream_tbEUljE_EEESV_SW_SX_S14_S18_S1A_T6_T7_T9_mT8_S1C_bDpT10_ENKUlT_T0_E_clISt17integral_constantIbLb1EES1O_IbLb0EEEEDaS1K_S1L_EUlS1K_E_NS1_11comp_targetILNS1_3genE5ELNS1_11target_archE942ELNS1_3gpuE9ELNS1_3repE0EEENS1_30default_config_static_selectorELNS0_4arch9wavefront6targetE0EEEvSY_
		.amdhsa_group_segment_fixed_size 0
		.amdhsa_private_segment_fixed_size 0
		.amdhsa_kernarg_size 144
		.amdhsa_user_sgpr_count 6
		.amdhsa_user_sgpr_private_segment_buffer 1
		.amdhsa_user_sgpr_dispatch_ptr 0
		.amdhsa_user_sgpr_queue_ptr 0
		.amdhsa_user_sgpr_kernarg_segment_ptr 1
		.amdhsa_user_sgpr_dispatch_id 0
		.amdhsa_user_sgpr_flat_scratch_init 0
		.amdhsa_user_sgpr_private_segment_size 0
		.amdhsa_wavefront_size32 1
		.amdhsa_uses_dynamic_stack 0
		.amdhsa_system_sgpr_private_segment_wavefront_offset 0
		.amdhsa_system_sgpr_workgroup_id_x 1
		.amdhsa_system_sgpr_workgroup_id_y 0
		.amdhsa_system_sgpr_workgroup_id_z 0
		.amdhsa_system_sgpr_workgroup_info 0
		.amdhsa_system_vgpr_workitem_id 0
		.amdhsa_next_free_vgpr 1
		.amdhsa_next_free_sgpr 1
		.amdhsa_reserve_vcc 0
		.amdhsa_reserve_flat_scratch 0
		.amdhsa_float_round_mode_32 0
		.amdhsa_float_round_mode_16_64 0
		.amdhsa_float_denorm_mode_32 3
		.amdhsa_float_denorm_mode_16_64 3
		.amdhsa_dx10_clamp 1
		.amdhsa_ieee_mode 1
		.amdhsa_fp16_overflow 0
		.amdhsa_workgroup_processor_mode 1
		.amdhsa_memory_ordered 1
		.amdhsa_forward_progress 1
		.amdhsa_shared_vgpr_count 0
		.amdhsa_exception_fp_ieee_invalid_op 0
		.amdhsa_exception_fp_denorm_src 0
		.amdhsa_exception_fp_ieee_div_zero 0
		.amdhsa_exception_fp_ieee_overflow 0
		.amdhsa_exception_fp_ieee_underflow 0
		.amdhsa_exception_fp_ieee_inexact 0
		.amdhsa_exception_int_div_zero 0
	.end_amdhsa_kernel
	.section	.text._ZN7rocprim17ROCPRIM_400000_NS6detail17trampoline_kernelINS0_13select_configILj256ELj13ELNS0_17block_load_methodE3ELS4_3ELS4_3ELNS0_20block_scan_algorithmE0ELj4294967295EEENS1_25partition_config_selectorILNS1_17partition_subalgoE3EjNS0_10empty_typeEbEEZZNS1_14partition_implILS8_3ELb0ES6_jNS0_17counting_iteratorIjlEEPS9_SE_NS0_5tupleIJPjSE_EEENSF_IJSE_SE_EEES9_SG_JZNS1_25segmented_radix_sort_implINS0_14default_configELb1EPKfPfPKlPlN2at6native12_GLOBAL__N_18offset_tEEE10hipError_tPvRmT1_PNSt15iterator_traitsISY_E10value_typeET2_T3_PNSZ_IS14_E10value_typeET4_jRbjT5_S1A_jjP12ihipStream_tbEUljE_EEESV_SW_SX_S14_S18_S1A_T6_T7_T9_mT8_S1C_bDpT10_ENKUlT_T0_E_clISt17integral_constantIbLb1EES1O_IbLb0EEEEDaS1K_S1L_EUlS1K_E_NS1_11comp_targetILNS1_3genE5ELNS1_11target_archE942ELNS1_3gpuE9ELNS1_3repE0EEENS1_30default_config_static_selectorELNS0_4arch9wavefront6targetE0EEEvSY_,"axG",@progbits,_ZN7rocprim17ROCPRIM_400000_NS6detail17trampoline_kernelINS0_13select_configILj256ELj13ELNS0_17block_load_methodE3ELS4_3ELS4_3ELNS0_20block_scan_algorithmE0ELj4294967295EEENS1_25partition_config_selectorILNS1_17partition_subalgoE3EjNS0_10empty_typeEbEEZZNS1_14partition_implILS8_3ELb0ES6_jNS0_17counting_iteratorIjlEEPS9_SE_NS0_5tupleIJPjSE_EEENSF_IJSE_SE_EEES9_SG_JZNS1_25segmented_radix_sort_implINS0_14default_configELb1EPKfPfPKlPlN2at6native12_GLOBAL__N_18offset_tEEE10hipError_tPvRmT1_PNSt15iterator_traitsISY_E10value_typeET2_T3_PNSZ_IS14_E10value_typeET4_jRbjT5_S1A_jjP12ihipStream_tbEUljE_EEESV_SW_SX_S14_S18_S1A_T6_T7_T9_mT8_S1C_bDpT10_ENKUlT_T0_E_clISt17integral_constantIbLb1EES1O_IbLb0EEEEDaS1K_S1L_EUlS1K_E_NS1_11comp_targetILNS1_3genE5ELNS1_11target_archE942ELNS1_3gpuE9ELNS1_3repE0EEENS1_30default_config_static_selectorELNS0_4arch9wavefront6targetE0EEEvSY_,comdat
.Lfunc_end1302:
	.size	_ZN7rocprim17ROCPRIM_400000_NS6detail17trampoline_kernelINS0_13select_configILj256ELj13ELNS0_17block_load_methodE3ELS4_3ELS4_3ELNS0_20block_scan_algorithmE0ELj4294967295EEENS1_25partition_config_selectorILNS1_17partition_subalgoE3EjNS0_10empty_typeEbEEZZNS1_14partition_implILS8_3ELb0ES6_jNS0_17counting_iteratorIjlEEPS9_SE_NS0_5tupleIJPjSE_EEENSF_IJSE_SE_EEES9_SG_JZNS1_25segmented_radix_sort_implINS0_14default_configELb1EPKfPfPKlPlN2at6native12_GLOBAL__N_18offset_tEEE10hipError_tPvRmT1_PNSt15iterator_traitsISY_E10value_typeET2_T3_PNSZ_IS14_E10value_typeET4_jRbjT5_S1A_jjP12ihipStream_tbEUljE_EEESV_SW_SX_S14_S18_S1A_T6_T7_T9_mT8_S1C_bDpT10_ENKUlT_T0_E_clISt17integral_constantIbLb1EES1O_IbLb0EEEEDaS1K_S1L_EUlS1K_E_NS1_11comp_targetILNS1_3genE5ELNS1_11target_archE942ELNS1_3gpuE9ELNS1_3repE0EEENS1_30default_config_static_selectorELNS0_4arch9wavefront6targetE0EEEvSY_, .Lfunc_end1302-_ZN7rocprim17ROCPRIM_400000_NS6detail17trampoline_kernelINS0_13select_configILj256ELj13ELNS0_17block_load_methodE3ELS4_3ELS4_3ELNS0_20block_scan_algorithmE0ELj4294967295EEENS1_25partition_config_selectorILNS1_17partition_subalgoE3EjNS0_10empty_typeEbEEZZNS1_14partition_implILS8_3ELb0ES6_jNS0_17counting_iteratorIjlEEPS9_SE_NS0_5tupleIJPjSE_EEENSF_IJSE_SE_EEES9_SG_JZNS1_25segmented_radix_sort_implINS0_14default_configELb1EPKfPfPKlPlN2at6native12_GLOBAL__N_18offset_tEEE10hipError_tPvRmT1_PNSt15iterator_traitsISY_E10value_typeET2_T3_PNSZ_IS14_E10value_typeET4_jRbjT5_S1A_jjP12ihipStream_tbEUljE_EEESV_SW_SX_S14_S18_S1A_T6_T7_T9_mT8_S1C_bDpT10_ENKUlT_T0_E_clISt17integral_constantIbLb1EES1O_IbLb0EEEEDaS1K_S1L_EUlS1K_E_NS1_11comp_targetILNS1_3genE5ELNS1_11target_archE942ELNS1_3gpuE9ELNS1_3repE0EEENS1_30default_config_static_selectorELNS0_4arch9wavefront6targetE0EEEvSY_
                                        ; -- End function
	.set _ZN7rocprim17ROCPRIM_400000_NS6detail17trampoline_kernelINS0_13select_configILj256ELj13ELNS0_17block_load_methodE3ELS4_3ELS4_3ELNS0_20block_scan_algorithmE0ELj4294967295EEENS1_25partition_config_selectorILNS1_17partition_subalgoE3EjNS0_10empty_typeEbEEZZNS1_14partition_implILS8_3ELb0ES6_jNS0_17counting_iteratorIjlEEPS9_SE_NS0_5tupleIJPjSE_EEENSF_IJSE_SE_EEES9_SG_JZNS1_25segmented_radix_sort_implINS0_14default_configELb1EPKfPfPKlPlN2at6native12_GLOBAL__N_18offset_tEEE10hipError_tPvRmT1_PNSt15iterator_traitsISY_E10value_typeET2_T3_PNSZ_IS14_E10value_typeET4_jRbjT5_S1A_jjP12ihipStream_tbEUljE_EEESV_SW_SX_S14_S18_S1A_T6_T7_T9_mT8_S1C_bDpT10_ENKUlT_T0_E_clISt17integral_constantIbLb1EES1O_IbLb0EEEEDaS1K_S1L_EUlS1K_E_NS1_11comp_targetILNS1_3genE5ELNS1_11target_archE942ELNS1_3gpuE9ELNS1_3repE0EEENS1_30default_config_static_selectorELNS0_4arch9wavefront6targetE0EEEvSY_.num_vgpr, 0
	.set _ZN7rocprim17ROCPRIM_400000_NS6detail17trampoline_kernelINS0_13select_configILj256ELj13ELNS0_17block_load_methodE3ELS4_3ELS4_3ELNS0_20block_scan_algorithmE0ELj4294967295EEENS1_25partition_config_selectorILNS1_17partition_subalgoE3EjNS0_10empty_typeEbEEZZNS1_14partition_implILS8_3ELb0ES6_jNS0_17counting_iteratorIjlEEPS9_SE_NS0_5tupleIJPjSE_EEENSF_IJSE_SE_EEES9_SG_JZNS1_25segmented_radix_sort_implINS0_14default_configELb1EPKfPfPKlPlN2at6native12_GLOBAL__N_18offset_tEEE10hipError_tPvRmT1_PNSt15iterator_traitsISY_E10value_typeET2_T3_PNSZ_IS14_E10value_typeET4_jRbjT5_S1A_jjP12ihipStream_tbEUljE_EEESV_SW_SX_S14_S18_S1A_T6_T7_T9_mT8_S1C_bDpT10_ENKUlT_T0_E_clISt17integral_constantIbLb1EES1O_IbLb0EEEEDaS1K_S1L_EUlS1K_E_NS1_11comp_targetILNS1_3genE5ELNS1_11target_archE942ELNS1_3gpuE9ELNS1_3repE0EEENS1_30default_config_static_selectorELNS0_4arch9wavefront6targetE0EEEvSY_.num_agpr, 0
	.set _ZN7rocprim17ROCPRIM_400000_NS6detail17trampoline_kernelINS0_13select_configILj256ELj13ELNS0_17block_load_methodE3ELS4_3ELS4_3ELNS0_20block_scan_algorithmE0ELj4294967295EEENS1_25partition_config_selectorILNS1_17partition_subalgoE3EjNS0_10empty_typeEbEEZZNS1_14partition_implILS8_3ELb0ES6_jNS0_17counting_iteratorIjlEEPS9_SE_NS0_5tupleIJPjSE_EEENSF_IJSE_SE_EEES9_SG_JZNS1_25segmented_radix_sort_implINS0_14default_configELb1EPKfPfPKlPlN2at6native12_GLOBAL__N_18offset_tEEE10hipError_tPvRmT1_PNSt15iterator_traitsISY_E10value_typeET2_T3_PNSZ_IS14_E10value_typeET4_jRbjT5_S1A_jjP12ihipStream_tbEUljE_EEESV_SW_SX_S14_S18_S1A_T6_T7_T9_mT8_S1C_bDpT10_ENKUlT_T0_E_clISt17integral_constantIbLb1EES1O_IbLb0EEEEDaS1K_S1L_EUlS1K_E_NS1_11comp_targetILNS1_3genE5ELNS1_11target_archE942ELNS1_3gpuE9ELNS1_3repE0EEENS1_30default_config_static_selectorELNS0_4arch9wavefront6targetE0EEEvSY_.numbered_sgpr, 0
	.set _ZN7rocprim17ROCPRIM_400000_NS6detail17trampoline_kernelINS0_13select_configILj256ELj13ELNS0_17block_load_methodE3ELS4_3ELS4_3ELNS0_20block_scan_algorithmE0ELj4294967295EEENS1_25partition_config_selectorILNS1_17partition_subalgoE3EjNS0_10empty_typeEbEEZZNS1_14partition_implILS8_3ELb0ES6_jNS0_17counting_iteratorIjlEEPS9_SE_NS0_5tupleIJPjSE_EEENSF_IJSE_SE_EEES9_SG_JZNS1_25segmented_radix_sort_implINS0_14default_configELb1EPKfPfPKlPlN2at6native12_GLOBAL__N_18offset_tEEE10hipError_tPvRmT1_PNSt15iterator_traitsISY_E10value_typeET2_T3_PNSZ_IS14_E10value_typeET4_jRbjT5_S1A_jjP12ihipStream_tbEUljE_EEESV_SW_SX_S14_S18_S1A_T6_T7_T9_mT8_S1C_bDpT10_ENKUlT_T0_E_clISt17integral_constantIbLb1EES1O_IbLb0EEEEDaS1K_S1L_EUlS1K_E_NS1_11comp_targetILNS1_3genE5ELNS1_11target_archE942ELNS1_3gpuE9ELNS1_3repE0EEENS1_30default_config_static_selectorELNS0_4arch9wavefront6targetE0EEEvSY_.num_named_barrier, 0
	.set _ZN7rocprim17ROCPRIM_400000_NS6detail17trampoline_kernelINS0_13select_configILj256ELj13ELNS0_17block_load_methodE3ELS4_3ELS4_3ELNS0_20block_scan_algorithmE0ELj4294967295EEENS1_25partition_config_selectorILNS1_17partition_subalgoE3EjNS0_10empty_typeEbEEZZNS1_14partition_implILS8_3ELb0ES6_jNS0_17counting_iteratorIjlEEPS9_SE_NS0_5tupleIJPjSE_EEENSF_IJSE_SE_EEES9_SG_JZNS1_25segmented_radix_sort_implINS0_14default_configELb1EPKfPfPKlPlN2at6native12_GLOBAL__N_18offset_tEEE10hipError_tPvRmT1_PNSt15iterator_traitsISY_E10value_typeET2_T3_PNSZ_IS14_E10value_typeET4_jRbjT5_S1A_jjP12ihipStream_tbEUljE_EEESV_SW_SX_S14_S18_S1A_T6_T7_T9_mT8_S1C_bDpT10_ENKUlT_T0_E_clISt17integral_constantIbLb1EES1O_IbLb0EEEEDaS1K_S1L_EUlS1K_E_NS1_11comp_targetILNS1_3genE5ELNS1_11target_archE942ELNS1_3gpuE9ELNS1_3repE0EEENS1_30default_config_static_selectorELNS0_4arch9wavefront6targetE0EEEvSY_.private_seg_size, 0
	.set _ZN7rocprim17ROCPRIM_400000_NS6detail17trampoline_kernelINS0_13select_configILj256ELj13ELNS0_17block_load_methodE3ELS4_3ELS4_3ELNS0_20block_scan_algorithmE0ELj4294967295EEENS1_25partition_config_selectorILNS1_17partition_subalgoE3EjNS0_10empty_typeEbEEZZNS1_14partition_implILS8_3ELb0ES6_jNS0_17counting_iteratorIjlEEPS9_SE_NS0_5tupleIJPjSE_EEENSF_IJSE_SE_EEES9_SG_JZNS1_25segmented_radix_sort_implINS0_14default_configELb1EPKfPfPKlPlN2at6native12_GLOBAL__N_18offset_tEEE10hipError_tPvRmT1_PNSt15iterator_traitsISY_E10value_typeET2_T3_PNSZ_IS14_E10value_typeET4_jRbjT5_S1A_jjP12ihipStream_tbEUljE_EEESV_SW_SX_S14_S18_S1A_T6_T7_T9_mT8_S1C_bDpT10_ENKUlT_T0_E_clISt17integral_constantIbLb1EES1O_IbLb0EEEEDaS1K_S1L_EUlS1K_E_NS1_11comp_targetILNS1_3genE5ELNS1_11target_archE942ELNS1_3gpuE9ELNS1_3repE0EEENS1_30default_config_static_selectorELNS0_4arch9wavefront6targetE0EEEvSY_.uses_vcc, 0
	.set _ZN7rocprim17ROCPRIM_400000_NS6detail17trampoline_kernelINS0_13select_configILj256ELj13ELNS0_17block_load_methodE3ELS4_3ELS4_3ELNS0_20block_scan_algorithmE0ELj4294967295EEENS1_25partition_config_selectorILNS1_17partition_subalgoE3EjNS0_10empty_typeEbEEZZNS1_14partition_implILS8_3ELb0ES6_jNS0_17counting_iteratorIjlEEPS9_SE_NS0_5tupleIJPjSE_EEENSF_IJSE_SE_EEES9_SG_JZNS1_25segmented_radix_sort_implINS0_14default_configELb1EPKfPfPKlPlN2at6native12_GLOBAL__N_18offset_tEEE10hipError_tPvRmT1_PNSt15iterator_traitsISY_E10value_typeET2_T3_PNSZ_IS14_E10value_typeET4_jRbjT5_S1A_jjP12ihipStream_tbEUljE_EEESV_SW_SX_S14_S18_S1A_T6_T7_T9_mT8_S1C_bDpT10_ENKUlT_T0_E_clISt17integral_constantIbLb1EES1O_IbLb0EEEEDaS1K_S1L_EUlS1K_E_NS1_11comp_targetILNS1_3genE5ELNS1_11target_archE942ELNS1_3gpuE9ELNS1_3repE0EEENS1_30default_config_static_selectorELNS0_4arch9wavefront6targetE0EEEvSY_.uses_flat_scratch, 0
	.set _ZN7rocprim17ROCPRIM_400000_NS6detail17trampoline_kernelINS0_13select_configILj256ELj13ELNS0_17block_load_methodE3ELS4_3ELS4_3ELNS0_20block_scan_algorithmE0ELj4294967295EEENS1_25partition_config_selectorILNS1_17partition_subalgoE3EjNS0_10empty_typeEbEEZZNS1_14partition_implILS8_3ELb0ES6_jNS0_17counting_iteratorIjlEEPS9_SE_NS0_5tupleIJPjSE_EEENSF_IJSE_SE_EEES9_SG_JZNS1_25segmented_radix_sort_implINS0_14default_configELb1EPKfPfPKlPlN2at6native12_GLOBAL__N_18offset_tEEE10hipError_tPvRmT1_PNSt15iterator_traitsISY_E10value_typeET2_T3_PNSZ_IS14_E10value_typeET4_jRbjT5_S1A_jjP12ihipStream_tbEUljE_EEESV_SW_SX_S14_S18_S1A_T6_T7_T9_mT8_S1C_bDpT10_ENKUlT_T0_E_clISt17integral_constantIbLb1EES1O_IbLb0EEEEDaS1K_S1L_EUlS1K_E_NS1_11comp_targetILNS1_3genE5ELNS1_11target_archE942ELNS1_3gpuE9ELNS1_3repE0EEENS1_30default_config_static_selectorELNS0_4arch9wavefront6targetE0EEEvSY_.has_dyn_sized_stack, 0
	.set _ZN7rocprim17ROCPRIM_400000_NS6detail17trampoline_kernelINS0_13select_configILj256ELj13ELNS0_17block_load_methodE3ELS4_3ELS4_3ELNS0_20block_scan_algorithmE0ELj4294967295EEENS1_25partition_config_selectorILNS1_17partition_subalgoE3EjNS0_10empty_typeEbEEZZNS1_14partition_implILS8_3ELb0ES6_jNS0_17counting_iteratorIjlEEPS9_SE_NS0_5tupleIJPjSE_EEENSF_IJSE_SE_EEES9_SG_JZNS1_25segmented_radix_sort_implINS0_14default_configELb1EPKfPfPKlPlN2at6native12_GLOBAL__N_18offset_tEEE10hipError_tPvRmT1_PNSt15iterator_traitsISY_E10value_typeET2_T3_PNSZ_IS14_E10value_typeET4_jRbjT5_S1A_jjP12ihipStream_tbEUljE_EEESV_SW_SX_S14_S18_S1A_T6_T7_T9_mT8_S1C_bDpT10_ENKUlT_T0_E_clISt17integral_constantIbLb1EES1O_IbLb0EEEEDaS1K_S1L_EUlS1K_E_NS1_11comp_targetILNS1_3genE5ELNS1_11target_archE942ELNS1_3gpuE9ELNS1_3repE0EEENS1_30default_config_static_selectorELNS0_4arch9wavefront6targetE0EEEvSY_.has_recursion, 0
	.set _ZN7rocprim17ROCPRIM_400000_NS6detail17trampoline_kernelINS0_13select_configILj256ELj13ELNS0_17block_load_methodE3ELS4_3ELS4_3ELNS0_20block_scan_algorithmE0ELj4294967295EEENS1_25partition_config_selectorILNS1_17partition_subalgoE3EjNS0_10empty_typeEbEEZZNS1_14partition_implILS8_3ELb0ES6_jNS0_17counting_iteratorIjlEEPS9_SE_NS0_5tupleIJPjSE_EEENSF_IJSE_SE_EEES9_SG_JZNS1_25segmented_radix_sort_implINS0_14default_configELb1EPKfPfPKlPlN2at6native12_GLOBAL__N_18offset_tEEE10hipError_tPvRmT1_PNSt15iterator_traitsISY_E10value_typeET2_T3_PNSZ_IS14_E10value_typeET4_jRbjT5_S1A_jjP12ihipStream_tbEUljE_EEESV_SW_SX_S14_S18_S1A_T6_T7_T9_mT8_S1C_bDpT10_ENKUlT_T0_E_clISt17integral_constantIbLb1EES1O_IbLb0EEEEDaS1K_S1L_EUlS1K_E_NS1_11comp_targetILNS1_3genE5ELNS1_11target_archE942ELNS1_3gpuE9ELNS1_3repE0EEENS1_30default_config_static_selectorELNS0_4arch9wavefront6targetE0EEEvSY_.has_indirect_call, 0
	.section	.AMDGPU.csdata,"",@progbits
; Kernel info:
; codeLenInByte = 0
; TotalNumSgprs: 0
; NumVgprs: 0
; ScratchSize: 0
; MemoryBound: 0
; FloatMode: 240
; IeeeMode: 1
; LDSByteSize: 0 bytes/workgroup (compile time only)
; SGPRBlocks: 0
; VGPRBlocks: 0
; NumSGPRsForWavesPerEU: 1
; NumVGPRsForWavesPerEU: 1
; Occupancy: 16
; WaveLimiterHint : 0
; COMPUTE_PGM_RSRC2:SCRATCH_EN: 0
; COMPUTE_PGM_RSRC2:USER_SGPR: 6
; COMPUTE_PGM_RSRC2:TRAP_HANDLER: 0
; COMPUTE_PGM_RSRC2:TGID_X_EN: 1
; COMPUTE_PGM_RSRC2:TGID_Y_EN: 0
; COMPUTE_PGM_RSRC2:TGID_Z_EN: 0
; COMPUTE_PGM_RSRC2:TIDIG_COMP_CNT: 0
	.section	.text._ZN7rocprim17ROCPRIM_400000_NS6detail17trampoline_kernelINS0_13select_configILj256ELj13ELNS0_17block_load_methodE3ELS4_3ELS4_3ELNS0_20block_scan_algorithmE0ELj4294967295EEENS1_25partition_config_selectorILNS1_17partition_subalgoE3EjNS0_10empty_typeEbEEZZNS1_14partition_implILS8_3ELb0ES6_jNS0_17counting_iteratorIjlEEPS9_SE_NS0_5tupleIJPjSE_EEENSF_IJSE_SE_EEES9_SG_JZNS1_25segmented_radix_sort_implINS0_14default_configELb1EPKfPfPKlPlN2at6native12_GLOBAL__N_18offset_tEEE10hipError_tPvRmT1_PNSt15iterator_traitsISY_E10value_typeET2_T3_PNSZ_IS14_E10value_typeET4_jRbjT5_S1A_jjP12ihipStream_tbEUljE_EEESV_SW_SX_S14_S18_S1A_T6_T7_T9_mT8_S1C_bDpT10_ENKUlT_T0_E_clISt17integral_constantIbLb1EES1O_IbLb0EEEEDaS1K_S1L_EUlS1K_E_NS1_11comp_targetILNS1_3genE4ELNS1_11target_archE910ELNS1_3gpuE8ELNS1_3repE0EEENS1_30default_config_static_selectorELNS0_4arch9wavefront6targetE0EEEvSY_,"axG",@progbits,_ZN7rocprim17ROCPRIM_400000_NS6detail17trampoline_kernelINS0_13select_configILj256ELj13ELNS0_17block_load_methodE3ELS4_3ELS4_3ELNS0_20block_scan_algorithmE0ELj4294967295EEENS1_25partition_config_selectorILNS1_17partition_subalgoE3EjNS0_10empty_typeEbEEZZNS1_14partition_implILS8_3ELb0ES6_jNS0_17counting_iteratorIjlEEPS9_SE_NS0_5tupleIJPjSE_EEENSF_IJSE_SE_EEES9_SG_JZNS1_25segmented_radix_sort_implINS0_14default_configELb1EPKfPfPKlPlN2at6native12_GLOBAL__N_18offset_tEEE10hipError_tPvRmT1_PNSt15iterator_traitsISY_E10value_typeET2_T3_PNSZ_IS14_E10value_typeET4_jRbjT5_S1A_jjP12ihipStream_tbEUljE_EEESV_SW_SX_S14_S18_S1A_T6_T7_T9_mT8_S1C_bDpT10_ENKUlT_T0_E_clISt17integral_constantIbLb1EES1O_IbLb0EEEEDaS1K_S1L_EUlS1K_E_NS1_11comp_targetILNS1_3genE4ELNS1_11target_archE910ELNS1_3gpuE8ELNS1_3repE0EEENS1_30default_config_static_selectorELNS0_4arch9wavefront6targetE0EEEvSY_,comdat
	.globl	_ZN7rocprim17ROCPRIM_400000_NS6detail17trampoline_kernelINS0_13select_configILj256ELj13ELNS0_17block_load_methodE3ELS4_3ELS4_3ELNS0_20block_scan_algorithmE0ELj4294967295EEENS1_25partition_config_selectorILNS1_17partition_subalgoE3EjNS0_10empty_typeEbEEZZNS1_14partition_implILS8_3ELb0ES6_jNS0_17counting_iteratorIjlEEPS9_SE_NS0_5tupleIJPjSE_EEENSF_IJSE_SE_EEES9_SG_JZNS1_25segmented_radix_sort_implINS0_14default_configELb1EPKfPfPKlPlN2at6native12_GLOBAL__N_18offset_tEEE10hipError_tPvRmT1_PNSt15iterator_traitsISY_E10value_typeET2_T3_PNSZ_IS14_E10value_typeET4_jRbjT5_S1A_jjP12ihipStream_tbEUljE_EEESV_SW_SX_S14_S18_S1A_T6_T7_T9_mT8_S1C_bDpT10_ENKUlT_T0_E_clISt17integral_constantIbLb1EES1O_IbLb0EEEEDaS1K_S1L_EUlS1K_E_NS1_11comp_targetILNS1_3genE4ELNS1_11target_archE910ELNS1_3gpuE8ELNS1_3repE0EEENS1_30default_config_static_selectorELNS0_4arch9wavefront6targetE0EEEvSY_ ; -- Begin function _ZN7rocprim17ROCPRIM_400000_NS6detail17trampoline_kernelINS0_13select_configILj256ELj13ELNS0_17block_load_methodE3ELS4_3ELS4_3ELNS0_20block_scan_algorithmE0ELj4294967295EEENS1_25partition_config_selectorILNS1_17partition_subalgoE3EjNS0_10empty_typeEbEEZZNS1_14partition_implILS8_3ELb0ES6_jNS0_17counting_iteratorIjlEEPS9_SE_NS0_5tupleIJPjSE_EEENSF_IJSE_SE_EEES9_SG_JZNS1_25segmented_radix_sort_implINS0_14default_configELb1EPKfPfPKlPlN2at6native12_GLOBAL__N_18offset_tEEE10hipError_tPvRmT1_PNSt15iterator_traitsISY_E10value_typeET2_T3_PNSZ_IS14_E10value_typeET4_jRbjT5_S1A_jjP12ihipStream_tbEUljE_EEESV_SW_SX_S14_S18_S1A_T6_T7_T9_mT8_S1C_bDpT10_ENKUlT_T0_E_clISt17integral_constantIbLb1EES1O_IbLb0EEEEDaS1K_S1L_EUlS1K_E_NS1_11comp_targetILNS1_3genE4ELNS1_11target_archE910ELNS1_3gpuE8ELNS1_3repE0EEENS1_30default_config_static_selectorELNS0_4arch9wavefront6targetE0EEEvSY_
	.p2align	8
	.type	_ZN7rocprim17ROCPRIM_400000_NS6detail17trampoline_kernelINS0_13select_configILj256ELj13ELNS0_17block_load_methodE3ELS4_3ELS4_3ELNS0_20block_scan_algorithmE0ELj4294967295EEENS1_25partition_config_selectorILNS1_17partition_subalgoE3EjNS0_10empty_typeEbEEZZNS1_14partition_implILS8_3ELb0ES6_jNS0_17counting_iteratorIjlEEPS9_SE_NS0_5tupleIJPjSE_EEENSF_IJSE_SE_EEES9_SG_JZNS1_25segmented_radix_sort_implINS0_14default_configELb1EPKfPfPKlPlN2at6native12_GLOBAL__N_18offset_tEEE10hipError_tPvRmT1_PNSt15iterator_traitsISY_E10value_typeET2_T3_PNSZ_IS14_E10value_typeET4_jRbjT5_S1A_jjP12ihipStream_tbEUljE_EEESV_SW_SX_S14_S18_S1A_T6_T7_T9_mT8_S1C_bDpT10_ENKUlT_T0_E_clISt17integral_constantIbLb1EES1O_IbLb0EEEEDaS1K_S1L_EUlS1K_E_NS1_11comp_targetILNS1_3genE4ELNS1_11target_archE910ELNS1_3gpuE8ELNS1_3repE0EEENS1_30default_config_static_selectorELNS0_4arch9wavefront6targetE0EEEvSY_,@function
_ZN7rocprim17ROCPRIM_400000_NS6detail17trampoline_kernelINS0_13select_configILj256ELj13ELNS0_17block_load_methodE3ELS4_3ELS4_3ELNS0_20block_scan_algorithmE0ELj4294967295EEENS1_25partition_config_selectorILNS1_17partition_subalgoE3EjNS0_10empty_typeEbEEZZNS1_14partition_implILS8_3ELb0ES6_jNS0_17counting_iteratorIjlEEPS9_SE_NS0_5tupleIJPjSE_EEENSF_IJSE_SE_EEES9_SG_JZNS1_25segmented_radix_sort_implINS0_14default_configELb1EPKfPfPKlPlN2at6native12_GLOBAL__N_18offset_tEEE10hipError_tPvRmT1_PNSt15iterator_traitsISY_E10value_typeET2_T3_PNSZ_IS14_E10value_typeET4_jRbjT5_S1A_jjP12ihipStream_tbEUljE_EEESV_SW_SX_S14_S18_S1A_T6_T7_T9_mT8_S1C_bDpT10_ENKUlT_T0_E_clISt17integral_constantIbLb1EES1O_IbLb0EEEEDaS1K_S1L_EUlS1K_E_NS1_11comp_targetILNS1_3genE4ELNS1_11target_archE910ELNS1_3gpuE8ELNS1_3repE0EEENS1_30default_config_static_selectorELNS0_4arch9wavefront6targetE0EEEvSY_: ; @_ZN7rocprim17ROCPRIM_400000_NS6detail17trampoline_kernelINS0_13select_configILj256ELj13ELNS0_17block_load_methodE3ELS4_3ELS4_3ELNS0_20block_scan_algorithmE0ELj4294967295EEENS1_25partition_config_selectorILNS1_17partition_subalgoE3EjNS0_10empty_typeEbEEZZNS1_14partition_implILS8_3ELb0ES6_jNS0_17counting_iteratorIjlEEPS9_SE_NS0_5tupleIJPjSE_EEENSF_IJSE_SE_EEES9_SG_JZNS1_25segmented_radix_sort_implINS0_14default_configELb1EPKfPfPKlPlN2at6native12_GLOBAL__N_18offset_tEEE10hipError_tPvRmT1_PNSt15iterator_traitsISY_E10value_typeET2_T3_PNSZ_IS14_E10value_typeET4_jRbjT5_S1A_jjP12ihipStream_tbEUljE_EEESV_SW_SX_S14_S18_S1A_T6_T7_T9_mT8_S1C_bDpT10_ENKUlT_T0_E_clISt17integral_constantIbLb1EES1O_IbLb0EEEEDaS1K_S1L_EUlS1K_E_NS1_11comp_targetILNS1_3genE4ELNS1_11target_archE910ELNS1_3gpuE8ELNS1_3repE0EEENS1_30default_config_static_selectorELNS0_4arch9wavefront6targetE0EEEvSY_
; %bb.0:
	.section	.rodata,"a",@progbits
	.p2align	6, 0x0
	.amdhsa_kernel _ZN7rocprim17ROCPRIM_400000_NS6detail17trampoline_kernelINS0_13select_configILj256ELj13ELNS0_17block_load_methodE3ELS4_3ELS4_3ELNS0_20block_scan_algorithmE0ELj4294967295EEENS1_25partition_config_selectorILNS1_17partition_subalgoE3EjNS0_10empty_typeEbEEZZNS1_14partition_implILS8_3ELb0ES6_jNS0_17counting_iteratorIjlEEPS9_SE_NS0_5tupleIJPjSE_EEENSF_IJSE_SE_EEES9_SG_JZNS1_25segmented_radix_sort_implINS0_14default_configELb1EPKfPfPKlPlN2at6native12_GLOBAL__N_18offset_tEEE10hipError_tPvRmT1_PNSt15iterator_traitsISY_E10value_typeET2_T3_PNSZ_IS14_E10value_typeET4_jRbjT5_S1A_jjP12ihipStream_tbEUljE_EEESV_SW_SX_S14_S18_S1A_T6_T7_T9_mT8_S1C_bDpT10_ENKUlT_T0_E_clISt17integral_constantIbLb1EES1O_IbLb0EEEEDaS1K_S1L_EUlS1K_E_NS1_11comp_targetILNS1_3genE4ELNS1_11target_archE910ELNS1_3gpuE8ELNS1_3repE0EEENS1_30default_config_static_selectorELNS0_4arch9wavefront6targetE0EEEvSY_
		.amdhsa_group_segment_fixed_size 0
		.amdhsa_private_segment_fixed_size 0
		.amdhsa_kernarg_size 144
		.amdhsa_user_sgpr_count 6
		.amdhsa_user_sgpr_private_segment_buffer 1
		.amdhsa_user_sgpr_dispatch_ptr 0
		.amdhsa_user_sgpr_queue_ptr 0
		.amdhsa_user_sgpr_kernarg_segment_ptr 1
		.amdhsa_user_sgpr_dispatch_id 0
		.amdhsa_user_sgpr_flat_scratch_init 0
		.amdhsa_user_sgpr_private_segment_size 0
		.amdhsa_wavefront_size32 1
		.amdhsa_uses_dynamic_stack 0
		.amdhsa_system_sgpr_private_segment_wavefront_offset 0
		.amdhsa_system_sgpr_workgroup_id_x 1
		.amdhsa_system_sgpr_workgroup_id_y 0
		.amdhsa_system_sgpr_workgroup_id_z 0
		.amdhsa_system_sgpr_workgroup_info 0
		.amdhsa_system_vgpr_workitem_id 0
		.amdhsa_next_free_vgpr 1
		.amdhsa_next_free_sgpr 1
		.amdhsa_reserve_vcc 0
		.amdhsa_reserve_flat_scratch 0
		.amdhsa_float_round_mode_32 0
		.amdhsa_float_round_mode_16_64 0
		.amdhsa_float_denorm_mode_32 3
		.amdhsa_float_denorm_mode_16_64 3
		.amdhsa_dx10_clamp 1
		.amdhsa_ieee_mode 1
		.amdhsa_fp16_overflow 0
		.amdhsa_workgroup_processor_mode 1
		.amdhsa_memory_ordered 1
		.amdhsa_forward_progress 1
		.amdhsa_shared_vgpr_count 0
		.amdhsa_exception_fp_ieee_invalid_op 0
		.amdhsa_exception_fp_denorm_src 0
		.amdhsa_exception_fp_ieee_div_zero 0
		.amdhsa_exception_fp_ieee_overflow 0
		.amdhsa_exception_fp_ieee_underflow 0
		.amdhsa_exception_fp_ieee_inexact 0
		.amdhsa_exception_int_div_zero 0
	.end_amdhsa_kernel
	.section	.text._ZN7rocprim17ROCPRIM_400000_NS6detail17trampoline_kernelINS0_13select_configILj256ELj13ELNS0_17block_load_methodE3ELS4_3ELS4_3ELNS0_20block_scan_algorithmE0ELj4294967295EEENS1_25partition_config_selectorILNS1_17partition_subalgoE3EjNS0_10empty_typeEbEEZZNS1_14partition_implILS8_3ELb0ES6_jNS0_17counting_iteratorIjlEEPS9_SE_NS0_5tupleIJPjSE_EEENSF_IJSE_SE_EEES9_SG_JZNS1_25segmented_radix_sort_implINS0_14default_configELb1EPKfPfPKlPlN2at6native12_GLOBAL__N_18offset_tEEE10hipError_tPvRmT1_PNSt15iterator_traitsISY_E10value_typeET2_T3_PNSZ_IS14_E10value_typeET4_jRbjT5_S1A_jjP12ihipStream_tbEUljE_EEESV_SW_SX_S14_S18_S1A_T6_T7_T9_mT8_S1C_bDpT10_ENKUlT_T0_E_clISt17integral_constantIbLb1EES1O_IbLb0EEEEDaS1K_S1L_EUlS1K_E_NS1_11comp_targetILNS1_3genE4ELNS1_11target_archE910ELNS1_3gpuE8ELNS1_3repE0EEENS1_30default_config_static_selectorELNS0_4arch9wavefront6targetE0EEEvSY_,"axG",@progbits,_ZN7rocprim17ROCPRIM_400000_NS6detail17trampoline_kernelINS0_13select_configILj256ELj13ELNS0_17block_load_methodE3ELS4_3ELS4_3ELNS0_20block_scan_algorithmE0ELj4294967295EEENS1_25partition_config_selectorILNS1_17partition_subalgoE3EjNS0_10empty_typeEbEEZZNS1_14partition_implILS8_3ELb0ES6_jNS0_17counting_iteratorIjlEEPS9_SE_NS0_5tupleIJPjSE_EEENSF_IJSE_SE_EEES9_SG_JZNS1_25segmented_radix_sort_implINS0_14default_configELb1EPKfPfPKlPlN2at6native12_GLOBAL__N_18offset_tEEE10hipError_tPvRmT1_PNSt15iterator_traitsISY_E10value_typeET2_T3_PNSZ_IS14_E10value_typeET4_jRbjT5_S1A_jjP12ihipStream_tbEUljE_EEESV_SW_SX_S14_S18_S1A_T6_T7_T9_mT8_S1C_bDpT10_ENKUlT_T0_E_clISt17integral_constantIbLb1EES1O_IbLb0EEEEDaS1K_S1L_EUlS1K_E_NS1_11comp_targetILNS1_3genE4ELNS1_11target_archE910ELNS1_3gpuE8ELNS1_3repE0EEENS1_30default_config_static_selectorELNS0_4arch9wavefront6targetE0EEEvSY_,comdat
.Lfunc_end1303:
	.size	_ZN7rocprim17ROCPRIM_400000_NS6detail17trampoline_kernelINS0_13select_configILj256ELj13ELNS0_17block_load_methodE3ELS4_3ELS4_3ELNS0_20block_scan_algorithmE0ELj4294967295EEENS1_25partition_config_selectorILNS1_17partition_subalgoE3EjNS0_10empty_typeEbEEZZNS1_14partition_implILS8_3ELb0ES6_jNS0_17counting_iteratorIjlEEPS9_SE_NS0_5tupleIJPjSE_EEENSF_IJSE_SE_EEES9_SG_JZNS1_25segmented_radix_sort_implINS0_14default_configELb1EPKfPfPKlPlN2at6native12_GLOBAL__N_18offset_tEEE10hipError_tPvRmT1_PNSt15iterator_traitsISY_E10value_typeET2_T3_PNSZ_IS14_E10value_typeET4_jRbjT5_S1A_jjP12ihipStream_tbEUljE_EEESV_SW_SX_S14_S18_S1A_T6_T7_T9_mT8_S1C_bDpT10_ENKUlT_T0_E_clISt17integral_constantIbLb1EES1O_IbLb0EEEEDaS1K_S1L_EUlS1K_E_NS1_11comp_targetILNS1_3genE4ELNS1_11target_archE910ELNS1_3gpuE8ELNS1_3repE0EEENS1_30default_config_static_selectorELNS0_4arch9wavefront6targetE0EEEvSY_, .Lfunc_end1303-_ZN7rocprim17ROCPRIM_400000_NS6detail17trampoline_kernelINS0_13select_configILj256ELj13ELNS0_17block_load_methodE3ELS4_3ELS4_3ELNS0_20block_scan_algorithmE0ELj4294967295EEENS1_25partition_config_selectorILNS1_17partition_subalgoE3EjNS0_10empty_typeEbEEZZNS1_14partition_implILS8_3ELb0ES6_jNS0_17counting_iteratorIjlEEPS9_SE_NS0_5tupleIJPjSE_EEENSF_IJSE_SE_EEES9_SG_JZNS1_25segmented_radix_sort_implINS0_14default_configELb1EPKfPfPKlPlN2at6native12_GLOBAL__N_18offset_tEEE10hipError_tPvRmT1_PNSt15iterator_traitsISY_E10value_typeET2_T3_PNSZ_IS14_E10value_typeET4_jRbjT5_S1A_jjP12ihipStream_tbEUljE_EEESV_SW_SX_S14_S18_S1A_T6_T7_T9_mT8_S1C_bDpT10_ENKUlT_T0_E_clISt17integral_constantIbLb1EES1O_IbLb0EEEEDaS1K_S1L_EUlS1K_E_NS1_11comp_targetILNS1_3genE4ELNS1_11target_archE910ELNS1_3gpuE8ELNS1_3repE0EEENS1_30default_config_static_selectorELNS0_4arch9wavefront6targetE0EEEvSY_
                                        ; -- End function
	.set _ZN7rocprim17ROCPRIM_400000_NS6detail17trampoline_kernelINS0_13select_configILj256ELj13ELNS0_17block_load_methodE3ELS4_3ELS4_3ELNS0_20block_scan_algorithmE0ELj4294967295EEENS1_25partition_config_selectorILNS1_17partition_subalgoE3EjNS0_10empty_typeEbEEZZNS1_14partition_implILS8_3ELb0ES6_jNS0_17counting_iteratorIjlEEPS9_SE_NS0_5tupleIJPjSE_EEENSF_IJSE_SE_EEES9_SG_JZNS1_25segmented_radix_sort_implINS0_14default_configELb1EPKfPfPKlPlN2at6native12_GLOBAL__N_18offset_tEEE10hipError_tPvRmT1_PNSt15iterator_traitsISY_E10value_typeET2_T3_PNSZ_IS14_E10value_typeET4_jRbjT5_S1A_jjP12ihipStream_tbEUljE_EEESV_SW_SX_S14_S18_S1A_T6_T7_T9_mT8_S1C_bDpT10_ENKUlT_T0_E_clISt17integral_constantIbLb1EES1O_IbLb0EEEEDaS1K_S1L_EUlS1K_E_NS1_11comp_targetILNS1_3genE4ELNS1_11target_archE910ELNS1_3gpuE8ELNS1_3repE0EEENS1_30default_config_static_selectorELNS0_4arch9wavefront6targetE0EEEvSY_.num_vgpr, 0
	.set _ZN7rocprim17ROCPRIM_400000_NS6detail17trampoline_kernelINS0_13select_configILj256ELj13ELNS0_17block_load_methodE3ELS4_3ELS4_3ELNS0_20block_scan_algorithmE0ELj4294967295EEENS1_25partition_config_selectorILNS1_17partition_subalgoE3EjNS0_10empty_typeEbEEZZNS1_14partition_implILS8_3ELb0ES6_jNS0_17counting_iteratorIjlEEPS9_SE_NS0_5tupleIJPjSE_EEENSF_IJSE_SE_EEES9_SG_JZNS1_25segmented_radix_sort_implINS0_14default_configELb1EPKfPfPKlPlN2at6native12_GLOBAL__N_18offset_tEEE10hipError_tPvRmT1_PNSt15iterator_traitsISY_E10value_typeET2_T3_PNSZ_IS14_E10value_typeET4_jRbjT5_S1A_jjP12ihipStream_tbEUljE_EEESV_SW_SX_S14_S18_S1A_T6_T7_T9_mT8_S1C_bDpT10_ENKUlT_T0_E_clISt17integral_constantIbLb1EES1O_IbLb0EEEEDaS1K_S1L_EUlS1K_E_NS1_11comp_targetILNS1_3genE4ELNS1_11target_archE910ELNS1_3gpuE8ELNS1_3repE0EEENS1_30default_config_static_selectorELNS0_4arch9wavefront6targetE0EEEvSY_.num_agpr, 0
	.set _ZN7rocprim17ROCPRIM_400000_NS6detail17trampoline_kernelINS0_13select_configILj256ELj13ELNS0_17block_load_methodE3ELS4_3ELS4_3ELNS0_20block_scan_algorithmE0ELj4294967295EEENS1_25partition_config_selectorILNS1_17partition_subalgoE3EjNS0_10empty_typeEbEEZZNS1_14partition_implILS8_3ELb0ES6_jNS0_17counting_iteratorIjlEEPS9_SE_NS0_5tupleIJPjSE_EEENSF_IJSE_SE_EEES9_SG_JZNS1_25segmented_radix_sort_implINS0_14default_configELb1EPKfPfPKlPlN2at6native12_GLOBAL__N_18offset_tEEE10hipError_tPvRmT1_PNSt15iterator_traitsISY_E10value_typeET2_T3_PNSZ_IS14_E10value_typeET4_jRbjT5_S1A_jjP12ihipStream_tbEUljE_EEESV_SW_SX_S14_S18_S1A_T6_T7_T9_mT8_S1C_bDpT10_ENKUlT_T0_E_clISt17integral_constantIbLb1EES1O_IbLb0EEEEDaS1K_S1L_EUlS1K_E_NS1_11comp_targetILNS1_3genE4ELNS1_11target_archE910ELNS1_3gpuE8ELNS1_3repE0EEENS1_30default_config_static_selectorELNS0_4arch9wavefront6targetE0EEEvSY_.numbered_sgpr, 0
	.set _ZN7rocprim17ROCPRIM_400000_NS6detail17trampoline_kernelINS0_13select_configILj256ELj13ELNS0_17block_load_methodE3ELS4_3ELS4_3ELNS0_20block_scan_algorithmE0ELj4294967295EEENS1_25partition_config_selectorILNS1_17partition_subalgoE3EjNS0_10empty_typeEbEEZZNS1_14partition_implILS8_3ELb0ES6_jNS0_17counting_iteratorIjlEEPS9_SE_NS0_5tupleIJPjSE_EEENSF_IJSE_SE_EEES9_SG_JZNS1_25segmented_radix_sort_implINS0_14default_configELb1EPKfPfPKlPlN2at6native12_GLOBAL__N_18offset_tEEE10hipError_tPvRmT1_PNSt15iterator_traitsISY_E10value_typeET2_T3_PNSZ_IS14_E10value_typeET4_jRbjT5_S1A_jjP12ihipStream_tbEUljE_EEESV_SW_SX_S14_S18_S1A_T6_T7_T9_mT8_S1C_bDpT10_ENKUlT_T0_E_clISt17integral_constantIbLb1EES1O_IbLb0EEEEDaS1K_S1L_EUlS1K_E_NS1_11comp_targetILNS1_3genE4ELNS1_11target_archE910ELNS1_3gpuE8ELNS1_3repE0EEENS1_30default_config_static_selectorELNS0_4arch9wavefront6targetE0EEEvSY_.num_named_barrier, 0
	.set _ZN7rocprim17ROCPRIM_400000_NS6detail17trampoline_kernelINS0_13select_configILj256ELj13ELNS0_17block_load_methodE3ELS4_3ELS4_3ELNS0_20block_scan_algorithmE0ELj4294967295EEENS1_25partition_config_selectorILNS1_17partition_subalgoE3EjNS0_10empty_typeEbEEZZNS1_14partition_implILS8_3ELb0ES6_jNS0_17counting_iteratorIjlEEPS9_SE_NS0_5tupleIJPjSE_EEENSF_IJSE_SE_EEES9_SG_JZNS1_25segmented_radix_sort_implINS0_14default_configELb1EPKfPfPKlPlN2at6native12_GLOBAL__N_18offset_tEEE10hipError_tPvRmT1_PNSt15iterator_traitsISY_E10value_typeET2_T3_PNSZ_IS14_E10value_typeET4_jRbjT5_S1A_jjP12ihipStream_tbEUljE_EEESV_SW_SX_S14_S18_S1A_T6_T7_T9_mT8_S1C_bDpT10_ENKUlT_T0_E_clISt17integral_constantIbLb1EES1O_IbLb0EEEEDaS1K_S1L_EUlS1K_E_NS1_11comp_targetILNS1_3genE4ELNS1_11target_archE910ELNS1_3gpuE8ELNS1_3repE0EEENS1_30default_config_static_selectorELNS0_4arch9wavefront6targetE0EEEvSY_.private_seg_size, 0
	.set _ZN7rocprim17ROCPRIM_400000_NS6detail17trampoline_kernelINS0_13select_configILj256ELj13ELNS0_17block_load_methodE3ELS4_3ELS4_3ELNS0_20block_scan_algorithmE0ELj4294967295EEENS1_25partition_config_selectorILNS1_17partition_subalgoE3EjNS0_10empty_typeEbEEZZNS1_14partition_implILS8_3ELb0ES6_jNS0_17counting_iteratorIjlEEPS9_SE_NS0_5tupleIJPjSE_EEENSF_IJSE_SE_EEES9_SG_JZNS1_25segmented_radix_sort_implINS0_14default_configELb1EPKfPfPKlPlN2at6native12_GLOBAL__N_18offset_tEEE10hipError_tPvRmT1_PNSt15iterator_traitsISY_E10value_typeET2_T3_PNSZ_IS14_E10value_typeET4_jRbjT5_S1A_jjP12ihipStream_tbEUljE_EEESV_SW_SX_S14_S18_S1A_T6_T7_T9_mT8_S1C_bDpT10_ENKUlT_T0_E_clISt17integral_constantIbLb1EES1O_IbLb0EEEEDaS1K_S1L_EUlS1K_E_NS1_11comp_targetILNS1_3genE4ELNS1_11target_archE910ELNS1_3gpuE8ELNS1_3repE0EEENS1_30default_config_static_selectorELNS0_4arch9wavefront6targetE0EEEvSY_.uses_vcc, 0
	.set _ZN7rocprim17ROCPRIM_400000_NS6detail17trampoline_kernelINS0_13select_configILj256ELj13ELNS0_17block_load_methodE3ELS4_3ELS4_3ELNS0_20block_scan_algorithmE0ELj4294967295EEENS1_25partition_config_selectorILNS1_17partition_subalgoE3EjNS0_10empty_typeEbEEZZNS1_14partition_implILS8_3ELb0ES6_jNS0_17counting_iteratorIjlEEPS9_SE_NS0_5tupleIJPjSE_EEENSF_IJSE_SE_EEES9_SG_JZNS1_25segmented_radix_sort_implINS0_14default_configELb1EPKfPfPKlPlN2at6native12_GLOBAL__N_18offset_tEEE10hipError_tPvRmT1_PNSt15iterator_traitsISY_E10value_typeET2_T3_PNSZ_IS14_E10value_typeET4_jRbjT5_S1A_jjP12ihipStream_tbEUljE_EEESV_SW_SX_S14_S18_S1A_T6_T7_T9_mT8_S1C_bDpT10_ENKUlT_T0_E_clISt17integral_constantIbLb1EES1O_IbLb0EEEEDaS1K_S1L_EUlS1K_E_NS1_11comp_targetILNS1_3genE4ELNS1_11target_archE910ELNS1_3gpuE8ELNS1_3repE0EEENS1_30default_config_static_selectorELNS0_4arch9wavefront6targetE0EEEvSY_.uses_flat_scratch, 0
	.set _ZN7rocprim17ROCPRIM_400000_NS6detail17trampoline_kernelINS0_13select_configILj256ELj13ELNS0_17block_load_methodE3ELS4_3ELS4_3ELNS0_20block_scan_algorithmE0ELj4294967295EEENS1_25partition_config_selectorILNS1_17partition_subalgoE3EjNS0_10empty_typeEbEEZZNS1_14partition_implILS8_3ELb0ES6_jNS0_17counting_iteratorIjlEEPS9_SE_NS0_5tupleIJPjSE_EEENSF_IJSE_SE_EEES9_SG_JZNS1_25segmented_radix_sort_implINS0_14default_configELb1EPKfPfPKlPlN2at6native12_GLOBAL__N_18offset_tEEE10hipError_tPvRmT1_PNSt15iterator_traitsISY_E10value_typeET2_T3_PNSZ_IS14_E10value_typeET4_jRbjT5_S1A_jjP12ihipStream_tbEUljE_EEESV_SW_SX_S14_S18_S1A_T6_T7_T9_mT8_S1C_bDpT10_ENKUlT_T0_E_clISt17integral_constantIbLb1EES1O_IbLb0EEEEDaS1K_S1L_EUlS1K_E_NS1_11comp_targetILNS1_3genE4ELNS1_11target_archE910ELNS1_3gpuE8ELNS1_3repE0EEENS1_30default_config_static_selectorELNS0_4arch9wavefront6targetE0EEEvSY_.has_dyn_sized_stack, 0
	.set _ZN7rocprim17ROCPRIM_400000_NS6detail17trampoline_kernelINS0_13select_configILj256ELj13ELNS0_17block_load_methodE3ELS4_3ELS4_3ELNS0_20block_scan_algorithmE0ELj4294967295EEENS1_25partition_config_selectorILNS1_17partition_subalgoE3EjNS0_10empty_typeEbEEZZNS1_14partition_implILS8_3ELb0ES6_jNS0_17counting_iteratorIjlEEPS9_SE_NS0_5tupleIJPjSE_EEENSF_IJSE_SE_EEES9_SG_JZNS1_25segmented_radix_sort_implINS0_14default_configELb1EPKfPfPKlPlN2at6native12_GLOBAL__N_18offset_tEEE10hipError_tPvRmT1_PNSt15iterator_traitsISY_E10value_typeET2_T3_PNSZ_IS14_E10value_typeET4_jRbjT5_S1A_jjP12ihipStream_tbEUljE_EEESV_SW_SX_S14_S18_S1A_T6_T7_T9_mT8_S1C_bDpT10_ENKUlT_T0_E_clISt17integral_constantIbLb1EES1O_IbLb0EEEEDaS1K_S1L_EUlS1K_E_NS1_11comp_targetILNS1_3genE4ELNS1_11target_archE910ELNS1_3gpuE8ELNS1_3repE0EEENS1_30default_config_static_selectorELNS0_4arch9wavefront6targetE0EEEvSY_.has_recursion, 0
	.set _ZN7rocprim17ROCPRIM_400000_NS6detail17trampoline_kernelINS0_13select_configILj256ELj13ELNS0_17block_load_methodE3ELS4_3ELS4_3ELNS0_20block_scan_algorithmE0ELj4294967295EEENS1_25partition_config_selectorILNS1_17partition_subalgoE3EjNS0_10empty_typeEbEEZZNS1_14partition_implILS8_3ELb0ES6_jNS0_17counting_iteratorIjlEEPS9_SE_NS0_5tupleIJPjSE_EEENSF_IJSE_SE_EEES9_SG_JZNS1_25segmented_radix_sort_implINS0_14default_configELb1EPKfPfPKlPlN2at6native12_GLOBAL__N_18offset_tEEE10hipError_tPvRmT1_PNSt15iterator_traitsISY_E10value_typeET2_T3_PNSZ_IS14_E10value_typeET4_jRbjT5_S1A_jjP12ihipStream_tbEUljE_EEESV_SW_SX_S14_S18_S1A_T6_T7_T9_mT8_S1C_bDpT10_ENKUlT_T0_E_clISt17integral_constantIbLb1EES1O_IbLb0EEEEDaS1K_S1L_EUlS1K_E_NS1_11comp_targetILNS1_3genE4ELNS1_11target_archE910ELNS1_3gpuE8ELNS1_3repE0EEENS1_30default_config_static_selectorELNS0_4arch9wavefront6targetE0EEEvSY_.has_indirect_call, 0
	.section	.AMDGPU.csdata,"",@progbits
; Kernel info:
; codeLenInByte = 0
; TotalNumSgprs: 0
; NumVgprs: 0
; ScratchSize: 0
; MemoryBound: 0
; FloatMode: 240
; IeeeMode: 1
; LDSByteSize: 0 bytes/workgroup (compile time only)
; SGPRBlocks: 0
; VGPRBlocks: 0
; NumSGPRsForWavesPerEU: 1
; NumVGPRsForWavesPerEU: 1
; Occupancy: 16
; WaveLimiterHint : 0
; COMPUTE_PGM_RSRC2:SCRATCH_EN: 0
; COMPUTE_PGM_RSRC2:USER_SGPR: 6
; COMPUTE_PGM_RSRC2:TRAP_HANDLER: 0
; COMPUTE_PGM_RSRC2:TGID_X_EN: 1
; COMPUTE_PGM_RSRC2:TGID_Y_EN: 0
; COMPUTE_PGM_RSRC2:TGID_Z_EN: 0
; COMPUTE_PGM_RSRC2:TIDIG_COMP_CNT: 0
	.section	.text._ZN7rocprim17ROCPRIM_400000_NS6detail17trampoline_kernelINS0_13select_configILj256ELj13ELNS0_17block_load_methodE3ELS4_3ELS4_3ELNS0_20block_scan_algorithmE0ELj4294967295EEENS1_25partition_config_selectorILNS1_17partition_subalgoE3EjNS0_10empty_typeEbEEZZNS1_14partition_implILS8_3ELb0ES6_jNS0_17counting_iteratorIjlEEPS9_SE_NS0_5tupleIJPjSE_EEENSF_IJSE_SE_EEES9_SG_JZNS1_25segmented_radix_sort_implINS0_14default_configELb1EPKfPfPKlPlN2at6native12_GLOBAL__N_18offset_tEEE10hipError_tPvRmT1_PNSt15iterator_traitsISY_E10value_typeET2_T3_PNSZ_IS14_E10value_typeET4_jRbjT5_S1A_jjP12ihipStream_tbEUljE_EEESV_SW_SX_S14_S18_S1A_T6_T7_T9_mT8_S1C_bDpT10_ENKUlT_T0_E_clISt17integral_constantIbLb1EES1O_IbLb0EEEEDaS1K_S1L_EUlS1K_E_NS1_11comp_targetILNS1_3genE3ELNS1_11target_archE908ELNS1_3gpuE7ELNS1_3repE0EEENS1_30default_config_static_selectorELNS0_4arch9wavefront6targetE0EEEvSY_,"axG",@progbits,_ZN7rocprim17ROCPRIM_400000_NS6detail17trampoline_kernelINS0_13select_configILj256ELj13ELNS0_17block_load_methodE3ELS4_3ELS4_3ELNS0_20block_scan_algorithmE0ELj4294967295EEENS1_25partition_config_selectorILNS1_17partition_subalgoE3EjNS0_10empty_typeEbEEZZNS1_14partition_implILS8_3ELb0ES6_jNS0_17counting_iteratorIjlEEPS9_SE_NS0_5tupleIJPjSE_EEENSF_IJSE_SE_EEES9_SG_JZNS1_25segmented_radix_sort_implINS0_14default_configELb1EPKfPfPKlPlN2at6native12_GLOBAL__N_18offset_tEEE10hipError_tPvRmT1_PNSt15iterator_traitsISY_E10value_typeET2_T3_PNSZ_IS14_E10value_typeET4_jRbjT5_S1A_jjP12ihipStream_tbEUljE_EEESV_SW_SX_S14_S18_S1A_T6_T7_T9_mT8_S1C_bDpT10_ENKUlT_T0_E_clISt17integral_constantIbLb1EES1O_IbLb0EEEEDaS1K_S1L_EUlS1K_E_NS1_11comp_targetILNS1_3genE3ELNS1_11target_archE908ELNS1_3gpuE7ELNS1_3repE0EEENS1_30default_config_static_selectorELNS0_4arch9wavefront6targetE0EEEvSY_,comdat
	.globl	_ZN7rocprim17ROCPRIM_400000_NS6detail17trampoline_kernelINS0_13select_configILj256ELj13ELNS0_17block_load_methodE3ELS4_3ELS4_3ELNS0_20block_scan_algorithmE0ELj4294967295EEENS1_25partition_config_selectorILNS1_17partition_subalgoE3EjNS0_10empty_typeEbEEZZNS1_14partition_implILS8_3ELb0ES6_jNS0_17counting_iteratorIjlEEPS9_SE_NS0_5tupleIJPjSE_EEENSF_IJSE_SE_EEES9_SG_JZNS1_25segmented_radix_sort_implINS0_14default_configELb1EPKfPfPKlPlN2at6native12_GLOBAL__N_18offset_tEEE10hipError_tPvRmT1_PNSt15iterator_traitsISY_E10value_typeET2_T3_PNSZ_IS14_E10value_typeET4_jRbjT5_S1A_jjP12ihipStream_tbEUljE_EEESV_SW_SX_S14_S18_S1A_T6_T7_T9_mT8_S1C_bDpT10_ENKUlT_T0_E_clISt17integral_constantIbLb1EES1O_IbLb0EEEEDaS1K_S1L_EUlS1K_E_NS1_11comp_targetILNS1_3genE3ELNS1_11target_archE908ELNS1_3gpuE7ELNS1_3repE0EEENS1_30default_config_static_selectorELNS0_4arch9wavefront6targetE0EEEvSY_ ; -- Begin function _ZN7rocprim17ROCPRIM_400000_NS6detail17trampoline_kernelINS0_13select_configILj256ELj13ELNS0_17block_load_methodE3ELS4_3ELS4_3ELNS0_20block_scan_algorithmE0ELj4294967295EEENS1_25partition_config_selectorILNS1_17partition_subalgoE3EjNS0_10empty_typeEbEEZZNS1_14partition_implILS8_3ELb0ES6_jNS0_17counting_iteratorIjlEEPS9_SE_NS0_5tupleIJPjSE_EEENSF_IJSE_SE_EEES9_SG_JZNS1_25segmented_radix_sort_implINS0_14default_configELb1EPKfPfPKlPlN2at6native12_GLOBAL__N_18offset_tEEE10hipError_tPvRmT1_PNSt15iterator_traitsISY_E10value_typeET2_T3_PNSZ_IS14_E10value_typeET4_jRbjT5_S1A_jjP12ihipStream_tbEUljE_EEESV_SW_SX_S14_S18_S1A_T6_T7_T9_mT8_S1C_bDpT10_ENKUlT_T0_E_clISt17integral_constantIbLb1EES1O_IbLb0EEEEDaS1K_S1L_EUlS1K_E_NS1_11comp_targetILNS1_3genE3ELNS1_11target_archE908ELNS1_3gpuE7ELNS1_3repE0EEENS1_30default_config_static_selectorELNS0_4arch9wavefront6targetE0EEEvSY_
	.p2align	8
	.type	_ZN7rocprim17ROCPRIM_400000_NS6detail17trampoline_kernelINS0_13select_configILj256ELj13ELNS0_17block_load_methodE3ELS4_3ELS4_3ELNS0_20block_scan_algorithmE0ELj4294967295EEENS1_25partition_config_selectorILNS1_17partition_subalgoE3EjNS0_10empty_typeEbEEZZNS1_14partition_implILS8_3ELb0ES6_jNS0_17counting_iteratorIjlEEPS9_SE_NS0_5tupleIJPjSE_EEENSF_IJSE_SE_EEES9_SG_JZNS1_25segmented_radix_sort_implINS0_14default_configELb1EPKfPfPKlPlN2at6native12_GLOBAL__N_18offset_tEEE10hipError_tPvRmT1_PNSt15iterator_traitsISY_E10value_typeET2_T3_PNSZ_IS14_E10value_typeET4_jRbjT5_S1A_jjP12ihipStream_tbEUljE_EEESV_SW_SX_S14_S18_S1A_T6_T7_T9_mT8_S1C_bDpT10_ENKUlT_T0_E_clISt17integral_constantIbLb1EES1O_IbLb0EEEEDaS1K_S1L_EUlS1K_E_NS1_11comp_targetILNS1_3genE3ELNS1_11target_archE908ELNS1_3gpuE7ELNS1_3repE0EEENS1_30default_config_static_selectorELNS0_4arch9wavefront6targetE0EEEvSY_,@function
_ZN7rocprim17ROCPRIM_400000_NS6detail17trampoline_kernelINS0_13select_configILj256ELj13ELNS0_17block_load_methodE3ELS4_3ELS4_3ELNS0_20block_scan_algorithmE0ELj4294967295EEENS1_25partition_config_selectorILNS1_17partition_subalgoE3EjNS0_10empty_typeEbEEZZNS1_14partition_implILS8_3ELb0ES6_jNS0_17counting_iteratorIjlEEPS9_SE_NS0_5tupleIJPjSE_EEENSF_IJSE_SE_EEES9_SG_JZNS1_25segmented_radix_sort_implINS0_14default_configELb1EPKfPfPKlPlN2at6native12_GLOBAL__N_18offset_tEEE10hipError_tPvRmT1_PNSt15iterator_traitsISY_E10value_typeET2_T3_PNSZ_IS14_E10value_typeET4_jRbjT5_S1A_jjP12ihipStream_tbEUljE_EEESV_SW_SX_S14_S18_S1A_T6_T7_T9_mT8_S1C_bDpT10_ENKUlT_T0_E_clISt17integral_constantIbLb1EES1O_IbLb0EEEEDaS1K_S1L_EUlS1K_E_NS1_11comp_targetILNS1_3genE3ELNS1_11target_archE908ELNS1_3gpuE7ELNS1_3repE0EEENS1_30default_config_static_selectorELNS0_4arch9wavefront6targetE0EEEvSY_: ; @_ZN7rocprim17ROCPRIM_400000_NS6detail17trampoline_kernelINS0_13select_configILj256ELj13ELNS0_17block_load_methodE3ELS4_3ELS4_3ELNS0_20block_scan_algorithmE0ELj4294967295EEENS1_25partition_config_selectorILNS1_17partition_subalgoE3EjNS0_10empty_typeEbEEZZNS1_14partition_implILS8_3ELb0ES6_jNS0_17counting_iteratorIjlEEPS9_SE_NS0_5tupleIJPjSE_EEENSF_IJSE_SE_EEES9_SG_JZNS1_25segmented_radix_sort_implINS0_14default_configELb1EPKfPfPKlPlN2at6native12_GLOBAL__N_18offset_tEEE10hipError_tPvRmT1_PNSt15iterator_traitsISY_E10value_typeET2_T3_PNSZ_IS14_E10value_typeET4_jRbjT5_S1A_jjP12ihipStream_tbEUljE_EEESV_SW_SX_S14_S18_S1A_T6_T7_T9_mT8_S1C_bDpT10_ENKUlT_T0_E_clISt17integral_constantIbLb1EES1O_IbLb0EEEEDaS1K_S1L_EUlS1K_E_NS1_11comp_targetILNS1_3genE3ELNS1_11target_archE908ELNS1_3gpuE7ELNS1_3repE0EEENS1_30default_config_static_selectorELNS0_4arch9wavefront6targetE0EEEvSY_
; %bb.0:
	.section	.rodata,"a",@progbits
	.p2align	6, 0x0
	.amdhsa_kernel _ZN7rocprim17ROCPRIM_400000_NS6detail17trampoline_kernelINS0_13select_configILj256ELj13ELNS0_17block_load_methodE3ELS4_3ELS4_3ELNS0_20block_scan_algorithmE0ELj4294967295EEENS1_25partition_config_selectorILNS1_17partition_subalgoE3EjNS0_10empty_typeEbEEZZNS1_14partition_implILS8_3ELb0ES6_jNS0_17counting_iteratorIjlEEPS9_SE_NS0_5tupleIJPjSE_EEENSF_IJSE_SE_EEES9_SG_JZNS1_25segmented_radix_sort_implINS0_14default_configELb1EPKfPfPKlPlN2at6native12_GLOBAL__N_18offset_tEEE10hipError_tPvRmT1_PNSt15iterator_traitsISY_E10value_typeET2_T3_PNSZ_IS14_E10value_typeET4_jRbjT5_S1A_jjP12ihipStream_tbEUljE_EEESV_SW_SX_S14_S18_S1A_T6_T7_T9_mT8_S1C_bDpT10_ENKUlT_T0_E_clISt17integral_constantIbLb1EES1O_IbLb0EEEEDaS1K_S1L_EUlS1K_E_NS1_11comp_targetILNS1_3genE3ELNS1_11target_archE908ELNS1_3gpuE7ELNS1_3repE0EEENS1_30default_config_static_selectorELNS0_4arch9wavefront6targetE0EEEvSY_
		.amdhsa_group_segment_fixed_size 0
		.amdhsa_private_segment_fixed_size 0
		.amdhsa_kernarg_size 144
		.amdhsa_user_sgpr_count 6
		.amdhsa_user_sgpr_private_segment_buffer 1
		.amdhsa_user_sgpr_dispatch_ptr 0
		.amdhsa_user_sgpr_queue_ptr 0
		.amdhsa_user_sgpr_kernarg_segment_ptr 1
		.amdhsa_user_sgpr_dispatch_id 0
		.amdhsa_user_sgpr_flat_scratch_init 0
		.amdhsa_user_sgpr_private_segment_size 0
		.amdhsa_wavefront_size32 1
		.amdhsa_uses_dynamic_stack 0
		.amdhsa_system_sgpr_private_segment_wavefront_offset 0
		.amdhsa_system_sgpr_workgroup_id_x 1
		.amdhsa_system_sgpr_workgroup_id_y 0
		.amdhsa_system_sgpr_workgroup_id_z 0
		.amdhsa_system_sgpr_workgroup_info 0
		.amdhsa_system_vgpr_workitem_id 0
		.amdhsa_next_free_vgpr 1
		.amdhsa_next_free_sgpr 1
		.amdhsa_reserve_vcc 0
		.amdhsa_reserve_flat_scratch 0
		.amdhsa_float_round_mode_32 0
		.amdhsa_float_round_mode_16_64 0
		.amdhsa_float_denorm_mode_32 3
		.amdhsa_float_denorm_mode_16_64 3
		.amdhsa_dx10_clamp 1
		.amdhsa_ieee_mode 1
		.amdhsa_fp16_overflow 0
		.amdhsa_workgroup_processor_mode 1
		.amdhsa_memory_ordered 1
		.amdhsa_forward_progress 1
		.amdhsa_shared_vgpr_count 0
		.amdhsa_exception_fp_ieee_invalid_op 0
		.amdhsa_exception_fp_denorm_src 0
		.amdhsa_exception_fp_ieee_div_zero 0
		.amdhsa_exception_fp_ieee_overflow 0
		.amdhsa_exception_fp_ieee_underflow 0
		.amdhsa_exception_fp_ieee_inexact 0
		.amdhsa_exception_int_div_zero 0
	.end_amdhsa_kernel
	.section	.text._ZN7rocprim17ROCPRIM_400000_NS6detail17trampoline_kernelINS0_13select_configILj256ELj13ELNS0_17block_load_methodE3ELS4_3ELS4_3ELNS0_20block_scan_algorithmE0ELj4294967295EEENS1_25partition_config_selectorILNS1_17partition_subalgoE3EjNS0_10empty_typeEbEEZZNS1_14partition_implILS8_3ELb0ES6_jNS0_17counting_iteratorIjlEEPS9_SE_NS0_5tupleIJPjSE_EEENSF_IJSE_SE_EEES9_SG_JZNS1_25segmented_radix_sort_implINS0_14default_configELb1EPKfPfPKlPlN2at6native12_GLOBAL__N_18offset_tEEE10hipError_tPvRmT1_PNSt15iterator_traitsISY_E10value_typeET2_T3_PNSZ_IS14_E10value_typeET4_jRbjT5_S1A_jjP12ihipStream_tbEUljE_EEESV_SW_SX_S14_S18_S1A_T6_T7_T9_mT8_S1C_bDpT10_ENKUlT_T0_E_clISt17integral_constantIbLb1EES1O_IbLb0EEEEDaS1K_S1L_EUlS1K_E_NS1_11comp_targetILNS1_3genE3ELNS1_11target_archE908ELNS1_3gpuE7ELNS1_3repE0EEENS1_30default_config_static_selectorELNS0_4arch9wavefront6targetE0EEEvSY_,"axG",@progbits,_ZN7rocprim17ROCPRIM_400000_NS6detail17trampoline_kernelINS0_13select_configILj256ELj13ELNS0_17block_load_methodE3ELS4_3ELS4_3ELNS0_20block_scan_algorithmE0ELj4294967295EEENS1_25partition_config_selectorILNS1_17partition_subalgoE3EjNS0_10empty_typeEbEEZZNS1_14partition_implILS8_3ELb0ES6_jNS0_17counting_iteratorIjlEEPS9_SE_NS0_5tupleIJPjSE_EEENSF_IJSE_SE_EEES9_SG_JZNS1_25segmented_radix_sort_implINS0_14default_configELb1EPKfPfPKlPlN2at6native12_GLOBAL__N_18offset_tEEE10hipError_tPvRmT1_PNSt15iterator_traitsISY_E10value_typeET2_T3_PNSZ_IS14_E10value_typeET4_jRbjT5_S1A_jjP12ihipStream_tbEUljE_EEESV_SW_SX_S14_S18_S1A_T6_T7_T9_mT8_S1C_bDpT10_ENKUlT_T0_E_clISt17integral_constantIbLb1EES1O_IbLb0EEEEDaS1K_S1L_EUlS1K_E_NS1_11comp_targetILNS1_3genE3ELNS1_11target_archE908ELNS1_3gpuE7ELNS1_3repE0EEENS1_30default_config_static_selectorELNS0_4arch9wavefront6targetE0EEEvSY_,comdat
.Lfunc_end1304:
	.size	_ZN7rocprim17ROCPRIM_400000_NS6detail17trampoline_kernelINS0_13select_configILj256ELj13ELNS0_17block_load_methodE3ELS4_3ELS4_3ELNS0_20block_scan_algorithmE0ELj4294967295EEENS1_25partition_config_selectorILNS1_17partition_subalgoE3EjNS0_10empty_typeEbEEZZNS1_14partition_implILS8_3ELb0ES6_jNS0_17counting_iteratorIjlEEPS9_SE_NS0_5tupleIJPjSE_EEENSF_IJSE_SE_EEES9_SG_JZNS1_25segmented_radix_sort_implINS0_14default_configELb1EPKfPfPKlPlN2at6native12_GLOBAL__N_18offset_tEEE10hipError_tPvRmT1_PNSt15iterator_traitsISY_E10value_typeET2_T3_PNSZ_IS14_E10value_typeET4_jRbjT5_S1A_jjP12ihipStream_tbEUljE_EEESV_SW_SX_S14_S18_S1A_T6_T7_T9_mT8_S1C_bDpT10_ENKUlT_T0_E_clISt17integral_constantIbLb1EES1O_IbLb0EEEEDaS1K_S1L_EUlS1K_E_NS1_11comp_targetILNS1_3genE3ELNS1_11target_archE908ELNS1_3gpuE7ELNS1_3repE0EEENS1_30default_config_static_selectorELNS0_4arch9wavefront6targetE0EEEvSY_, .Lfunc_end1304-_ZN7rocprim17ROCPRIM_400000_NS6detail17trampoline_kernelINS0_13select_configILj256ELj13ELNS0_17block_load_methodE3ELS4_3ELS4_3ELNS0_20block_scan_algorithmE0ELj4294967295EEENS1_25partition_config_selectorILNS1_17partition_subalgoE3EjNS0_10empty_typeEbEEZZNS1_14partition_implILS8_3ELb0ES6_jNS0_17counting_iteratorIjlEEPS9_SE_NS0_5tupleIJPjSE_EEENSF_IJSE_SE_EEES9_SG_JZNS1_25segmented_radix_sort_implINS0_14default_configELb1EPKfPfPKlPlN2at6native12_GLOBAL__N_18offset_tEEE10hipError_tPvRmT1_PNSt15iterator_traitsISY_E10value_typeET2_T3_PNSZ_IS14_E10value_typeET4_jRbjT5_S1A_jjP12ihipStream_tbEUljE_EEESV_SW_SX_S14_S18_S1A_T6_T7_T9_mT8_S1C_bDpT10_ENKUlT_T0_E_clISt17integral_constantIbLb1EES1O_IbLb0EEEEDaS1K_S1L_EUlS1K_E_NS1_11comp_targetILNS1_3genE3ELNS1_11target_archE908ELNS1_3gpuE7ELNS1_3repE0EEENS1_30default_config_static_selectorELNS0_4arch9wavefront6targetE0EEEvSY_
                                        ; -- End function
	.set _ZN7rocprim17ROCPRIM_400000_NS6detail17trampoline_kernelINS0_13select_configILj256ELj13ELNS0_17block_load_methodE3ELS4_3ELS4_3ELNS0_20block_scan_algorithmE0ELj4294967295EEENS1_25partition_config_selectorILNS1_17partition_subalgoE3EjNS0_10empty_typeEbEEZZNS1_14partition_implILS8_3ELb0ES6_jNS0_17counting_iteratorIjlEEPS9_SE_NS0_5tupleIJPjSE_EEENSF_IJSE_SE_EEES9_SG_JZNS1_25segmented_radix_sort_implINS0_14default_configELb1EPKfPfPKlPlN2at6native12_GLOBAL__N_18offset_tEEE10hipError_tPvRmT1_PNSt15iterator_traitsISY_E10value_typeET2_T3_PNSZ_IS14_E10value_typeET4_jRbjT5_S1A_jjP12ihipStream_tbEUljE_EEESV_SW_SX_S14_S18_S1A_T6_T7_T9_mT8_S1C_bDpT10_ENKUlT_T0_E_clISt17integral_constantIbLb1EES1O_IbLb0EEEEDaS1K_S1L_EUlS1K_E_NS1_11comp_targetILNS1_3genE3ELNS1_11target_archE908ELNS1_3gpuE7ELNS1_3repE0EEENS1_30default_config_static_selectorELNS0_4arch9wavefront6targetE0EEEvSY_.num_vgpr, 0
	.set _ZN7rocprim17ROCPRIM_400000_NS6detail17trampoline_kernelINS0_13select_configILj256ELj13ELNS0_17block_load_methodE3ELS4_3ELS4_3ELNS0_20block_scan_algorithmE0ELj4294967295EEENS1_25partition_config_selectorILNS1_17partition_subalgoE3EjNS0_10empty_typeEbEEZZNS1_14partition_implILS8_3ELb0ES6_jNS0_17counting_iteratorIjlEEPS9_SE_NS0_5tupleIJPjSE_EEENSF_IJSE_SE_EEES9_SG_JZNS1_25segmented_radix_sort_implINS0_14default_configELb1EPKfPfPKlPlN2at6native12_GLOBAL__N_18offset_tEEE10hipError_tPvRmT1_PNSt15iterator_traitsISY_E10value_typeET2_T3_PNSZ_IS14_E10value_typeET4_jRbjT5_S1A_jjP12ihipStream_tbEUljE_EEESV_SW_SX_S14_S18_S1A_T6_T7_T9_mT8_S1C_bDpT10_ENKUlT_T0_E_clISt17integral_constantIbLb1EES1O_IbLb0EEEEDaS1K_S1L_EUlS1K_E_NS1_11comp_targetILNS1_3genE3ELNS1_11target_archE908ELNS1_3gpuE7ELNS1_3repE0EEENS1_30default_config_static_selectorELNS0_4arch9wavefront6targetE0EEEvSY_.num_agpr, 0
	.set _ZN7rocprim17ROCPRIM_400000_NS6detail17trampoline_kernelINS0_13select_configILj256ELj13ELNS0_17block_load_methodE3ELS4_3ELS4_3ELNS0_20block_scan_algorithmE0ELj4294967295EEENS1_25partition_config_selectorILNS1_17partition_subalgoE3EjNS0_10empty_typeEbEEZZNS1_14partition_implILS8_3ELb0ES6_jNS0_17counting_iteratorIjlEEPS9_SE_NS0_5tupleIJPjSE_EEENSF_IJSE_SE_EEES9_SG_JZNS1_25segmented_radix_sort_implINS0_14default_configELb1EPKfPfPKlPlN2at6native12_GLOBAL__N_18offset_tEEE10hipError_tPvRmT1_PNSt15iterator_traitsISY_E10value_typeET2_T3_PNSZ_IS14_E10value_typeET4_jRbjT5_S1A_jjP12ihipStream_tbEUljE_EEESV_SW_SX_S14_S18_S1A_T6_T7_T9_mT8_S1C_bDpT10_ENKUlT_T0_E_clISt17integral_constantIbLb1EES1O_IbLb0EEEEDaS1K_S1L_EUlS1K_E_NS1_11comp_targetILNS1_3genE3ELNS1_11target_archE908ELNS1_3gpuE7ELNS1_3repE0EEENS1_30default_config_static_selectorELNS0_4arch9wavefront6targetE0EEEvSY_.numbered_sgpr, 0
	.set _ZN7rocprim17ROCPRIM_400000_NS6detail17trampoline_kernelINS0_13select_configILj256ELj13ELNS0_17block_load_methodE3ELS4_3ELS4_3ELNS0_20block_scan_algorithmE0ELj4294967295EEENS1_25partition_config_selectorILNS1_17partition_subalgoE3EjNS0_10empty_typeEbEEZZNS1_14partition_implILS8_3ELb0ES6_jNS0_17counting_iteratorIjlEEPS9_SE_NS0_5tupleIJPjSE_EEENSF_IJSE_SE_EEES9_SG_JZNS1_25segmented_radix_sort_implINS0_14default_configELb1EPKfPfPKlPlN2at6native12_GLOBAL__N_18offset_tEEE10hipError_tPvRmT1_PNSt15iterator_traitsISY_E10value_typeET2_T3_PNSZ_IS14_E10value_typeET4_jRbjT5_S1A_jjP12ihipStream_tbEUljE_EEESV_SW_SX_S14_S18_S1A_T6_T7_T9_mT8_S1C_bDpT10_ENKUlT_T0_E_clISt17integral_constantIbLb1EES1O_IbLb0EEEEDaS1K_S1L_EUlS1K_E_NS1_11comp_targetILNS1_3genE3ELNS1_11target_archE908ELNS1_3gpuE7ELNS1_3repE0EEENS1_30default_config_static_selectorELNS0_4arch9wavefront6targetE0EEEvSY_.num_named_barrier, 0
	.set _ZN7rocprim17ROCPRIM_400000_NS6detail17trampoline_kernelINS0_13select_configILj256ELj13ELNS0_17block_load_methodE3ELS4_3ELS4_3ELNS0_20block_scan_algorithmE0ELj4294967295EEENS1_25partition_config_selectorILNS1_17partition_subalgoE3EjNS0_10empty_typeEbEEZZNS1_14partition_implILS8_3ELb0ES6_jNS0_17counting_iteratorIjlEEPS9_SE_NS0_5tupleIJPjSE_EEENSF_IJSE_SE_EEES9_SG_JZNS1_25segmented_radix_sort_implINS0_14default_configELb1EPKfPfPKlPlN2at6native12_GLOBAL__N_18offset_tEEE10hipError_tPvRmT1_PNSt15iterator_traitsISY_E10value_typeET2_T3_PNSZ_IS14_E10value_typeET4_jRbjT5_S1A_jjP12ihipStream_tbEUljE_EEESV_SW_SX_S14_S18_S1A_T6_T7_T9_mT8_S1C_bDpT10_ENKUlT_T0_E_clISt17integral_constantIbLb1EES1O_IbLb0EEEEDaS1K_S1L_EUlS1K_E_NS1_11comp_targetILNS1_3genE3ELNS1_11target_archE908ELNS1_3gpuE7ELNS1_3repE0EEENS1_30default_config_static_selectorELNS0_4arch9wavefront6targetE0EEEvSY_.private_seg_size, 0
	.set _ZN7rocprim17ROCPRIM_400000_NS6detail17trampoline_kernelINS0_13select_configILj256ELj13ELNS0_17block_load_methodE3ELS4_3ELS4_3ELNS0_20block_scan_algorithmE0ELj4294967295EEENS1_25partition_config_selectorILNS1_17partition_subalgoE3EjNS0_10empty_typeEbEEZZNS1_14partition_implILS8_3ELb0ES6_jNS0_17counting_iteratorIjlEEPS9_SE_NS0_5tupleIJPjSE_EEENSF_IJSE_SE_EEES9_SG_JZNS1_25segmented_radix_sort_implINS0_14default_configELb1EPKfPfPKlPlN2at6native12_GLOBAL__N_18offset_tEEE10hipError_tPvRmT1_PNSt15iterator_traitsISY_E10value_typeET2_T3_PNSZ_IS14_E10value_typeET4_jRbjT5_S1A_jjP12ihipStream_tbEUljE_EEESV_SW_SX_S14_S18_S1A_T6_T7_T9_mT8_S1C_bDpT10_ENKUlT_T0_E_clISt17integral_constantIbLb1EES1O_IbLb0EEEEDaS1K_S1L_EUlS1K_E_NS1_11comp_targetILNS1_3genE3ELNS1_11target_archE908ELNS1_3gpuE7ELNS1_3repE0EEENS1_30default_config_static_selectorELNS0_4arch9wavefront6targetE0EEEvSY_.uses_vcc, 0
	.set _ZN7rocprim17ROCPRIM_400000_NS6detail17trampoline_kernelINS0_13select_configILj256ELj13ELNS0_17block_load_methodE3ELS4_3ELS4_3ELNS0_20block_scan_algorithmE0ELj4294967295EEENS1_25partition_config_selectorILNS1_17partition_subalgoE3EjNS0_10empty_typeEbEEZZNS1_14partition_implILS8_3ELb0ES6_jNS0_17counting_iteratorIjlEEPS9_SE_NS0_5tupleIJPjSE_EEENSF_IJSE_SE_EEES9_SG_JZNS1_25segmented_radix_sort_implINS0_14default_configELb1EPKfPfPKlPlN2at6native12_GLOBAL__N_18offset_tEEE10hipError_tPvRmT1_PNSt15iterator_traitsISY_E10value_typeET2_T3_PNSZ_IS14_E10value_typeET4_jRbjT5_S1A_jjP12ihipStream_tbEUljE_EEESV_SW_SX_S14_S18_S1A_T6_T7_T9_mT8_S1C_bDpT10_ENKUlT_T0_E_clISt17integral_constantIbLb1EES1O_IbLb0EEEEDaS1K_S1L_EUlS1K_E_NS1_11comp_targetILNS1_3genE3ELNS1_11target_archE908ELNS1_3gpuE7ELNS1_3repE0EEENS1_30default_config_static_selectorELNS0_4arch9wavefront6targetE0EEEvSY_.uses_flat_scratch, 0
	.set _ZN7rocprim17ROCPRIM_400000_NS6detail17trampoline_kernelINS0_13select_configILj256ELj13ELNS0_17block_load_methodE3ELS4_3ELS4_3ELNS0_20block_scan_algorithmE0ELj4294967295EEENS1_25partition_config_selectorILNS1_17partition_subalgoE3EjNS0_10empty_typeEbEEZZNS1_14partition_implILS8_3ELb0ES6_jNS0_17counting_iteratorIjlEEPS9_SE_NS0_5tupleIJPjSE_EEENSF_IJSE_SE_EEES9_SG_JZNS1_25segmented_radix_sort_implINS0_14default_configELb1EPKfPfPKlPlN2at6native12_GLOBAL__N_18offset_tEEE10hipError_tPvRmT1_PNSt15iterator_traitsISY_E10value_typeET2_T3_PNSZ_IS14_E10value_typeET4_jRbjT5_S1A_jjP12ihipStream_tbEUljE_EEESV_SW_SX_S14_S18_S1A_T6_T7_T9_mT8_S1C_bDpT10_ENKUlT_T0_E_clISt17integral_constantIbLb1EES1O_IbLb0EEEEDaS1K_S1L_EUlS1K_E_NS1_11comp_targetILNS1_3genE3ELNS1_11target_archE908ELNS1_3gpuE7ELNS1_3repE0EEENS1_30default_config_static_selectorELNS0_4arch9wavefront6targetE0EEEvSY_.has_dyn_sized_stack, 0
	.set _ZN7rocprim17ROCPRIM_400000_NS6detail17trampoline_kernelINS0_13select_configILj256ELj13ELNS0_17block_load_methodE3ELS4_3ELS4_3ELNS0_20block_scan_algorithmE0ELj4294967295EEENS1_25partition_config_selectorILNS1_17partition_subalgoE3EjNS0_10empty_typeEbEEZZNS1_14partition_implILS8_3ELb0ES6_jNS0_17counting_iteratorIjlEEPS9_SE_NS0_5tupleIJPjSE_EEENSF_IJSE_SE_EEES9_SG_JZNS1_25segmented_radix_sort_implINS0_14default_configELb1EPKfPfPKlPlN2at6native12_GLOBAL__N_18offset_tEEE10hipError_tPvRmT1_PNSt15iterator_traitsISY_E10value_typeET2_T3_PNSZ_IS14_E10value_typeET4_jRbjT5_S1A_jjP12ihipStream_tbEUljE_EEESV_SW_SX_S14_S18_S1A_T6_T7_T9_mT8_S1C_bDpT10_ENKUlT_T0_E_clISt17integral_constantIbLb1EES1O_IbLb0EEEEDaS1K_S1L_EUlS1K_E_NS1_11comp_targetILNS1_3genE3ELNS1_11target_archE908ELNS1_3gpuE7ELNS1_3repE0EEENS1_30default_config_static_selectorELNS0_4arch9wavefront6targetE0EEEvSY_.has_recursion, 0
	.set _ZN7rocprim17ROCPRIM_400000_NS6detail17trampoline_kernelINS0_13select_configILj256ELj13ELNS0_17block_load_methodE3ELS4_3ELS4_3ELNS0_20block_scan_algorithmE0ELj4294967295EEENS1_25partition_config_selectorILNS1_17partition_subalgoE3EjNS0_10empty_typeEbEEZZNS1_14partition_implILS8_3ELb0ES6_jNS0_17counting_iteratorIjlEEPS9_SE_NS0_5tupleIJPjSE_EEENSF_IJSE_SE_EEES9_SG_JZNS1_25segmented_radix_sort_implINS0_14default_configELb1EPKfPfPKlPlN2at6native12_GLOBAL__N_18offset_tEEE10hipError_tPvRmT1_PNSt15iterator_traitsISY_E10value_typeET2_T3_PNSZ_IS14_E10value_typeET4_jRbjT5_S1A_jjP12ihipStream_tbEUljE_EEESV_SW_SX_S14_S18_S1A_T6_T7_T9_mT8_S1C_bDpT10_ENKUlT_T0_E_clISt17integral_constantIbLb1EES1O_IbLb0EEEEDaS1K_S1L_EUlS1K_E_NS1_11comp_targetILNS1_3genE3ELNS1_11target_archE908ELNS1_3gpuE7ELNS1_3repE0EEENS1_30default_config_static_selectorELNS0_4arch9wavefront6targetE0EEEvSY_.has_indirect_call, 0
	.section	.AMDGPU.csdata,"",@progbits
; Kernel info:
; codeLenInByte = 0
; TotalNumSgprs: 0
; NumVgprs: 0
; ScratchSize: 0
; MemoryBound: 0
; FloatMode: 240
; IeeeMode: 1
; LDSByteSize: 0 bytes/workgroup (compile time only)
; SGPRBlocks: 0
; VGPRBlocks: 0
; NumSGPRsForWavesPerEU: 1
; NumVGPRsForWavesPerEU: 1
; Occupancy: 16
; WaveLimiterHint : 0
; COMPUTE_PGM_RSRC2:SCRATCH_EN: 0
; COMPUTE_PGM_RSRC2:USER_SGPR: 6
; COMPUTE_PGM_RSRC2:TRAP_HANDLER: 0
; COMPUTE_PGM_RSRC2:TGID_X_EN: 1
; COMPUTE_PGM_RSRC2:TGID_Y_EN: 0
; COMPUTE_PGM_RSRC2:TGID_Z_EN: 0
; COMPUTE_PGM_RSRC2:TIDIG_COMP_CNT: 0
	.section	.text._ZN7rocprim17ROCPRIM_400000_NS6detail17trampoline_kernelINS0_13select_configILj256ELj13ELNS0_17block_load_methodE3ELS4_3ELS4_3ELNS0_20block_scan_algorithmE0ELj4294967295EEENS1_25partition_config_selectorILNS1_17partition_subalgoE3EjNS0_10empty_typeEbEEZZNS1_14partition_implILS8_3ELb0ES6_jNS0_17counting_iteratorIjlEEPS9_SE_NS0_5tupleIJPjSE_EEENSF_IJSE_SE_EEES9_SG_JZNS1_25segmented_radix_sort_implINS0_14default_configELb1EPKfPfPKlPlN2at6native12_GLOBAL__N_18offset_tEEE10hipError_tPvRmT1_PNSt15iterator_traitsISY_E10value_typeET2_T3_PNSZ_IS14_E10value_typeET4_jRbjT5_S1A_jjP12ihipStream_tbEUljE_EEESV_SW_SX_S14_S18_S1A_T6_T7_T9_mT8_S1C_bDpT10_ENKUlT_T0_E_clISt17integral_constantIbLb1EES1O_IbLb0EEEEDaS1K_S1L_EUlS1K_E_NS1_11comp_targetILNS1_3genE2ELNS1_11target_archE906ELNS1_3gpuE6ELNS1_3repE0EEENS1_30default_config_static_selectorELNS0_4arch9wavefront6targetE0EEEvSY_,"axG",@progbits,_ZN7rocprim17ROCPRIM_400000_NS6detail17trampoline_kernelINS0_13select_configILj256ELj13ELNS0_17block_load_methodE3ELS4_3ELS4_3ELNS0_20block_scan_algorithmE0ELj4294967295EEENS1_25partition_config_selectorILNS1_17partition_subalgoE3EjNS0_10empty_typeEbEEZZNS1_14partition_implILS8_3ELb0ES6_jNS0_17counting_iteratorIjlEEPS9_SE_NS0_5tupleIJPjSE_EEENSF_IJSE_SE_EEES9_SG_JZNS1_25segmented_radix_sort_implINS0_14default_configELb1EPKfPfPKlPlN2at6native12_GLOBAL__N_18offset_tEEE10hipError_tPvRmT1_PNSt15iterator_traitsISY_E10value_typeET2_T3_PNSZ_IS14_E10value_typeET4_jRbjT5_S1A_jjP12ihipStream_tbEUljE_EEESV_SW_SX_S14_S18_S1A_T6_T7_T9_mT8_S1C_bDpT10_ENKUlT_T0_E_clISt17integral_constantIbLb1EES1O_IbLb0EEEEDaS1K_S1L_EUlS1K_E_NS1_11comp_targetILNS1_3genE2ELNS1_11target_archE906ELNS1_3gpuE6ELNS1_3repE0EEENS1_30default_config_static_selectorELNS0_4arch9wavefront6targetE0EEEvSY_,comdat
	.globl	_ZN7rocprim17ROCPRIM_400000_NS6detail17trampoline_kernelINS0_13select_configILj256ELj13ELNS0_17block_load_methodE3ELS4_3ELS4_3ELNS0_20block_scan_algorithmE0ELj4294967295EEENS1_25partition_config_selectorILNS1_17partition_subalgoE3EjNS0_10empty_typeEbEEZZNS1_14partition_implILS8_3ELb0ES6_jNS0_17counting_iteratorIjlEEPS9_SE_NS0_5tupleIJPjSE_EEENSF_IJSE_SE_EEES9_SG_JZNS1_25segmented_radix_sort_implINS0_14default_configELb1EPKfPfPKlPlN2at6native12_GLOBAL__N_18offset_tEEE10hipError_tPvRmT1_PNSt15iterator_traitsISY_E10value_typeET2_T3_PNSZ_IS14_E10value_typeET4_jRbjT5_S1A_jjP12ihipStream_tbEUljE_EEESV_SW_SX_S14_S18_S1A_T6_T7_T9_mT8_S1C_bDpT10_ENKUlT_T0_E_clISt17integral_constantIbLb1EES1O_IbLb0EEEEDaS1K_S1L_EUlS1K_E_NS1_11comp_targetILNS1_3genE2ELNS1_11target_archE906ELNS1_3gpuE6ELNS1_3repE0EEENS1_30default_config_static_selectorELNS0_4arch9wavefront6targetE0EEEvSY_ ; -- Begin function _ZN7rocprim17ROCPRIM_400000_NS6detail17trampoline_kernelINS0_13select_configILj256ELj13ELNS0_17block_load_methodE3ELS4_3ELS4_3ELNS0_20block_scan_algorithmE0ELj4294967295EEENS1_25partition_config_selectorILNS1_17partition_subalgoE3EjNS0_10empty_typeEbEEZZNS1_14partition_implILS8_3ELb0ES6_jNS0_17counting_iteratorIjlEEPS9_SE_NS0_5tupleIJPjSE_EEENSF_IJSE_SE_EEES9_SG_JZNS1_25segmented_radix_sort_implINS0_14default_configELb1EPKfPfPKlPlN2at6native12_GLOBAL__N_18offset_tEEE10hipError_tPvRmT1_PNSt15iterator_traitsISY_E10value_typeET2_T3_PNSZ_IS14_E10value_typeET4_jRbjT5_S1A_jjP12ihipStream_tbEUljE_EEESV_SW_SX_S14_S18_S1A_T6_T7_T9_mT8_S1C_bDpT10_ENKUlT_T0_E_clISt17integral_constantIbLb1EES1O_IbLb0EEEEDaS1K_S1L_EUlS1K_E_NS1_11comp_targetILNS1_3genE2ELNS1_11target_archE906ELNS1_3gpuE6ELNS1_3repE0EEENS1_30default_config_static_selectorELNS0_4arch9wavefront6targetE0EEEvSY_
	.p2align	8
	.type	_ZN7rocprim17ROCPRIM_400000_NS6detail17trampoline_kernelINS0_13select_configILj256ELj13ELNS0_17block_load_methodE3ELS4_3ELS4_3ELNS0_20block_scan_algorithmE0ELj4294967295EEENS1_25partition_config_selectorILNS1_17partition_subalgoE3EjNS0_10empty_typeEbEEZZNS1_14partition_implILS8_3ELb0ES6_jNS0_17counting_iteratorIjlEEPS9_SE_NS0_5tupleIJPjSE_EEENSF_IJSE_SE_EEES9_SG_JZNS1_25segmented_radix_sort_implINS0_14default_configELb1EPKfPfPKlPlN2at6native12_GLOBAL__N_18offset_tEEE10hipError_tPvRmT1_PNSt15iterator_traitsISY_E10value_typeET2_T3_PNSZ_IS14_E10value_typeET4_jRbjT5_S1A_jjP12ihipStream_tbEUljE_EEESV_SW_SX_S14_S18_S1A_T6_T7_T9_mT8_S1C_bDpT10_ENKUlT_T0_E_clISt17integral_constantIbLb1EES1O_IbLb0EEEEDaS1K_S1L_EUlS1K_E_NS1_11comp_targetILNS1_3genE2ELNS1_11target_archE906ELNS1_3gpuE6ELNS1_3repE0EEENS1_30default_config_static_selectorELNS0_4arch9wavefront6targetE0EEEvSY_,@function
_ZN7rocprim17ROCPRIM_400000_NS6detail17trampoline_kernelINS0_13select_configILj256ELj13ELNS0_17block_load_methodE3ELS4_3ELS4_3ELNS0_20block_scan_algorithmE0ELj4294967295EEENS1_25partition_config_selectorILNS1_17partition_subalgoE3EjNS0_10empty_typeEbEEZZNS1_14partition_implILS8_3ELb0ES6_jNS0_17counting_iteratorIjlEEPS9_SE_NS0_5tupleIJPjSE_EEENSF_IJSE_SE_EEES9_SG_JZNS1_25segmented_radix_sort_implINS0_14default_configELb1EPKfPfPKlPlN2at6native12_GLOBAL__N_18offset_tEEE10hipError_tPvRmT1_PNSt15iterator_traitsISY_E10value_typeET2_T3_PNSZ_IS14_E10value_typeET4_jRbjT5_S1A_jjP12ihipStream_tbEUljE_EEESV_SW_SX_S14_S18_S1A_T6_T7_T9_mT8_S1C_bDpT10_ENKUlT_T0_E_clISt17integral_constantIbLb1EES1O_IbLb0EEEEDaS1K_S1L_EUlS1K_E_NS1_11comp_targetILNS1_3genE2ELNS1_11target_archE906ELNS1_3gpuE6ELNS1_3repE0EEENS1_30default_config_static_selectorELNS0_4arch9wavefront6targetE0EEEvSY_: ; @_ZN7rocprim17ROCPRIM_400000_NS6detail17trampoline_kernelINS0_13select_configILj256ELj13ELNS0_17block_load_methodE3ELS4_3ELS4_3ELNS0_20block_scan_algorithmE0ELj4294967295EEENS1_25partition_config_selectorILNS1_17partition_subalgoE3EjNS0_10empty_typeEbEEZZNS1_14partition_implILS8_3ELb0ES6_jNS0_17counting_iteratorIjlEEPS9_SE_NS0_5tupleIJPjSE_EEENSF_IJSE_SE_EEES9_SG_JZNS1_25segmented_radix_sort_implINS0_14default_configELb1EPKfPfPKlPlN2at6native12_GLOBAL__N_18offset_tEEE10hipError_tPvRmT1_PNSt15iterator_traitsISY_E10value_typeET2_T3_PNSZ_IS14_E10value_typeET4_jRbjT5_S1A_jjP12ihipStream_tbEUljE_EEESV_SW_SX_S14_S18_S1A_T6_T7_T9_mT8_S1C_bDpT10_ENKUlT_T0_E_clISt17integral_constantIbLb1EES1O_IbLb0EEEEDaS1K_S1L_EUlS1K_E_NS1_11comp_targetILNS1_3genE2ELNS1_11target_archE906ELNS1_3gpuE6ELNS1_3repE0EEENS1_30default_config_static_selectorELNS0_4arch9wavefront6targetE0EEEvSY_
; %bb.0:
	.section	.rodata,"a",@progbits
	.p2align	6, 0x0
	.amdhsa_kernel _ZN7rocprim17ROCPRIM_400000_NS6detail17trampoline_kernelINS0_13select_configILj256ELj13ELNS0_17block_load_methodE3ELS4_3ELS4_3ELNS0_20block_scan_algorithmE0ELj4294967295EEENS1_25partition_config_selectorILNS1_17partition_subalgoE3EjNS0_10empty_typeEbEEZZNS1_14partition_implILS8_3ELb0ES6_jNS0_17counting_iteratorIjlEEPS9_SE_NS0_5tupleIJPjSE_EEENSF_IJSE_SE_EEES9_SG_JZNS1_25segmented_radix_sort_implINS0_14default_configELb1EPKfPfPKlPlN2at6native12_GLOBAL__N_18offset_tEEE10hipError_tPvRmT1_PNSt15iterator_traitsISY_E10value_typeET2_T3_PNSZ_IS14_E10value_typeET4_jRbjT5_S1A_jjP12ihipStream_tbEUljE_EEESV_SW_SX_S14_S18_S1A_T6_T7_T9_mT8_S1C_bDpT10_ENKUlT_T0_E_clISt17integral_constantIbLb1EES1O_IbLb0EEEEDaS1K_S1L_EUlS1K_E_NS1_11comp_targetILNS1_3genE2ELNS1_11target_archE906ELNS1_3gpuE6ELNS1_3repE0EEENS1_30default_config_static_selectorELNS0_4arch9wavefront6targetE0EEEvSY_
		.amdhsa_group_segment_fixed_size 0
		.amdhsa_private_segment_fixed_size 0
		.amdhsa_kernarg_size 144
		.amdhsa_user_sgpr_count 6
		.amdhsa_user_sgpr_private_segment_buffer 1
		.amdhsa_user_sgpr_dispatch_ptr 0
		.amdhsa_user_sgpr_queue_ptr 0
		.amdhsa_user_sgpr_kernarg_segment_ptr 1
		.amdhsa_user_sgpr_dispatch_id 0
		.amdhsa_user_sgpr_flat_scratch_init 0
		.amdhsa_user_sgpr_private_segment_size 0
		.amdhsa_wavefront_size32 1
		.amdhsa_uses_dynamic_stack 0
		.amdhsa_system_sgpr_private_segment_wavefront_offset 0
		.amdhsa_system_sgpr_workgroup_id_x 1
		.amdhsa_system_sgpr_workgroup_id_y 0
		.amdhsa_system_sgpr_workgroup_id_z 0
		.amdhsa_system_sgpr_workgroup_info 0
		.amdhsa_system_vgpr_workitem_id 0
		.amdhsa_next_free_vgpr 1
		.amdhsa_next_free_sgpr 1
		.amdhsa_reserve_vcc 0
		.amdhsa_reserve_flat_scratch 0
		.amdhsa_float_round_mode_32 0
		.amdhsa_float_round_mode_16_64 0
		.amdhsa_float_denorm_mode_32 3
		.amdhsa_float_denorm_mode_16_64 3
		.amdhsa_dx10_clamp 1
		.amdhsa_ieee_mode 1
		.amdhsa_fp16_overflow 0
		.amdhsa_workgroup_processor_mode 1
		.amdhsa_memory_ordered 1
		.amdhsa_forward_progress 1
		.amdhsa_shared_vgpr_count 0
		.amdhsa_exception_fp_ieee_invalid_op 0
		.amdhsa_exception_fp_denorm_src 0
		.amdhsa_exception_fp_ieee_div_zero 0
		.amdhsa_exception_fp_ieee_overflow 0
		.amdhsa_exception_fp_ieee_underflow 0
		.amdhsa_exception_fp_ieee_inexact 0
		.amdhsa_exception_int_div_zero 0
	.end_amdhsa_kernel
	.section	.text._ZN7rocprim17ROCPRIM_400000_NS6detail17trampoline_kernelINS0_13select_configILj256ELj13ELNS0_17block_load_methodE3ELS4_3ELS4_3ELNS0_20block_scan_algorithmE0ELj4294967295EEENS1_25partition_config_selectorILNS1_17partition_subalgoE3EjNS0_10empty_typeEbEEZZNS1_14partition_implILS8_3ELb0ES6_jNS0_17counting_iteratorIjlEEPS9_SE_NS0_5tupleIJPjSE_EEENSF_IJSE_SE_EEES9_SG_JZNS1_25segmented_radix_sort_implINS0_14default_configELb1EPKfPfPKlPlN2at6native12_GLOBAL__N_18offset_tEEE10hipError_tPvRmT1_PNSt15iterator_traitsISY_E10value_typeET2_T3_PNSZ_IS14_E10value_typeET4_jRbjT5_S1A_jjP12ihipStream_tbEUljE_EEESV_SW_SX_S14_S18_S1A_T6_T7_T9_mT8_S1C_bDpT10_ENKUlT_T0_E_clISt17integral_constantIbLb1EES1O_IbLb0EEEEDaS1K_S1L_EUlS1K_E_NS1_11comp_targetILNS1_3genE2ELNS1_11target_archE906ELNS1_3gpuE6ELNS1_3repE0EEENS1_30default_config_static_selectorELNS0_4arch9wavefront6targetE0EEEvSY_,"axG",@progbits,_ZN7rocprim17ROCPRIM_400000_NS6detail17trampoline_kernelINS0_13select_configILj256ELj13ELNS0_17block_load_methodE3ELS4_3ELS4_3ELNS0_20block_scan_algorithmE0ELj4294967295EEENS1_25partition_config_selectorILNS1_17partition_subalgoE3EjNS0_10empty_typeEbEEZZNS1_14partition_implILS8_3ELb0ES6_jNS0_17counting_iteratorIjlEEPS9_SE_NS0_5tupleIJPjSE_EEENSF_IJSE_SE_EEES9_SG_JZNS1_25segmented_radix_sort_implINS0_14default_configELb1EPKfPfPKlPlN2at6native12_GLOBAL__N_18offset_tEEE10hipError_tPvRmT1_PNSt15iterator_traitsISY_E10value_typeET2_T3_PNSZ_IS14_E10value_typeET4_jRbjT5_S1A_jjP12ihipStream_tbEUljE_EEESV_SW_SX_S14_S18_S1A_T6_T7_T9_mT8_S1C_bDpT10_ENKUlT_T0_E_clISt17integral_constantIbLb1EES1O_IbLb0EEEEDaS1K_S1L_EUlS1K_E_NS1_11comp_targetILNS1_3genE2ELNS1_11target_archE906ELNS1_3gpuE6ELNS1_3repE0EEENS1_30default_config_static_selectorELNS0_4arch9wavefront6targetE0EEEvSY_,comdat
.Lfunc_end1305:
	.size	_ZN7rocprim17ROCPRIM_400000_NS6detail17trampoline_kernelINS0_13select_configILj256ELj13ELNS0_17block_load_methodE3ELS4_3ELS4_3ELNS0_20block_scan_algorithmE0ELj4294967295EEENS1_25partition_config_selectorILNS1_17partition_subalgoE3EjNS0_10empty_typeEbEEZZNS1_14partition_implILS8_3ELb0ES6_jNS0_17counting_iteratorIjlEEPS9_SE_NS0_5tupleIJPjSE_EEENSF_IJSE_SE_EEES9_SG_JZNS1_25segmented_radix_sort_implINS0_14default_configELb1EPKfPfPKlPlN2at6native12_GLOBAL__N_18offset_tEEE10hipError_tPvRmT1_PNSt15iterator_traitsISY_E10value_typeET2_T3_PNSZ_IS14_E10value_typeET4_jRbjT5_S1A_jjP12ihipStream_tbEUljE_EEESV_SW_SX_S14_S18_S1A_T6_T7_T9_mT8_S1C_bDpT10_ENKUlT_T0_E_clISt17integral_constantIbLb1EES1O_IbLb0EEEEDaS1K_S1L_EUlS1K_E_NS1_11comp_targetILNS1_3genE2ELNS1_11target_archE906ELNS1_3gpuE6ELNS1_3repE0EEENS1_30default_config_static_selectorELNS0_4arch9wavefront6targetE0EEEvSY_, .Lfunc_end1305-_ZN7rocprim17ROCPRIM_400000_NS6detail17trampoline_kernelINS0_13select_configILj256ELj13ELNS0_17block_load_methodE3ELS4_3ELS4_3ELNS0_20block_scan_algorithmE0ELj4294967295EEENS1_25partition_config_selectorILNS1_17partition_subalgoE3EjNS0_10empty_typeEbEEZZNS1_14partition_implILS8_3ELb0ES6_jNS0_17counting_iteratorIjlEEPS9_SE_NS0_5tupleIJPjSE_EEENSF_IJSE_SE_EEES9_SG_JZNS1_25segmented_radix_sort_implINS0_14default_configELb1EPKfPfPKlPlN2at6native12_GLOBAL__N_18offset_tEEE10hipError_tPvRmT1_PNSt15iterator_traitsISY_E10value_typeET2_T3_PNSZ_IS14_E10value_typeET4_jRbjT5_S1A_jjP12ihipStream_tbEUljE_EEESV_SW_SX_S14_S18_S1A_T6_T7_T9_mT8_S1C_bDpT10_ENKUlT_T0_E_clISt17integral_constantIbLb1EES1O_IbLb0EEEEDaS1K_S1L_EUlS1K_E_NS1_11comp_targetILNS1_3genE2ELNS1_11target_archE906ELNS1_3gpuE6ELNS1_3repE0EEENS1_30default_config_static_selectorELNS0_4arch9wavefront6targetE0EEEvSY_
                                        ; -- End function
	.set _ZN7rocprim17ROCPRIM_400000_NS6detail17trampoline_kernelINS0_13select_configILj256ELj13ELNS0_17block_load_methodE3ELS4_3ELS4_3ELNS0_20block_scan_algorithmE0ELj4294967295EEENS1_25partition_config_selectorILNS1_17partition_subalgoE3EjNS0_10empty_typeEbEEZZNS1_14partition_implILS8_3ELb0ES6_jNS0_17counting_iteratorIjlEEPS9_SE_NS0_5tupleIJPjSE_EEENSF_IJSE_SE_EEES9_SG_JZNS1_25segmented_radix_sort_implINS0_14default_configELb1EPKfPfPKlPlN2at6native12_GLOBAL__N_18offset_tEEE10hipError_tPvRmT1_PNSt15iterator_traitsISY_E10value_typeET2_T3_PNSZ_IS14_E10value_typeET4_jRbjT5_S1A_jjP12ihipStream_tbEUljE_EEESV_SW_SX_S14_S18_S1A_T6_T7_T9_mT8_S1C_bDpT10_ENKUlT_T0_E_clISt17integral_constantIbLb1EES1O_IbLb0EEEEDaS1K_S1L_EUlS1K_E_NS1_11comp_targetILNS1_3genE2ELNS1_11target_archE906ELNS1_3gpuE6ELNS1_3repE0EEENS1_30default_config_static_selectorELNS0_4arch9wavefront6targetE0EEEvSY_.num_vgpr, 0
	.set _ZN7rocprim17ROCPRIM_400000_NS6detail17trampoline_kernelINS0_13select_configILj256ELj13ELNS0_17block_load_methodE3ELS4_3ELS4_3ELNS0_20block_scan_algorithmE0ELj4294967295EEENS1_25partition_config_selectorILNS1_17partition_subalgoE3EjNS0_10empty_typeEbEEZZNS1_14partition_implILS8_3ELb0ES6_jNS0_17counting_iteratorIjlEEPS9_SE_NS0_5tupleIJPjSE_EEENSF_IJSE_SE_EEES9_SG_JZNS1_25segmented_radix_sort_implINS0_14default_configELb1EPKfPfPKlPlN2at6native12_GLOBAL__N_18offset_tEEE10hipError_tPvRmT1_PNSt15iterator_traitsISY_E10value_typeET2_T3_PNSZ_IS14_E10value_typeET4_jRbjT5_S1A_jjP12ihipStream_tbEUljE_EEESV_SW_SX_S14_S18_S1A_T6_T7_T9_mT8_S1C_bDpT10_ENKUlT_T0_E_clISt17integral_constantIbLb1EES1O_IbLb0EEEEDaS1K_S1L_EUlS1K_E_NS1_11comp_targetILNS1_3genE2ELNS1_11target_archE906ELNS1_3gpuE6ELNS1_3repE0EEENS1_30default_config_static_selectorELNS0_4arch9wavefront6targetE0EEEvSY_.num_agpr, 0
	.set _ZN7rocprim17ROCPRIM_400000_NS6detail17trampoline_kernelINS0_13select_configILj256ELj13ELNS0_17block_load_methodE3ELS4_3ELS4_3ELNS0_20block_scan_algorithmE0ELj4294967295EEENS1_25partition_config_selectorILNS1_17partition_subalgoE3EjNS0_10empty_typeEbEEZZNS1_14partition_implILS8_3ELb0ES6_jNS0_17counting_iteratorIjlEEPS9_SE_NS0_5tupleIJPjSE_EEENSF_IJSE_SE_EEES9_SG_JZNS1_25segmented_radix_sort_implINS0_14default_configELb1EPKfPfPKlPlN2at6native12_GLOBAL__N_18offset_tEEE10hipError_tPvRmT1_PNSt15iterator_traitsISY_E10value_typeET2_T3_PNSZ_IS14_E10value_typeET4_jRbjT5_S1A_jjP12ihipStream_tbEUljE_EEESV_SW_SX_S14_S18_S1A_T6_T7_T9_mT8_S1C_bDpT10_ENKUlT_T0_E_clISt17integral_constantIbLb1EES1O_IbLb0EEEEDaS1K_S1L_EUlS1K_E_NS1_11comp_targetILNS1_3genE2ELNS1_11target_archE906ELNS1_3gpuE6ELNS1_3repE0EEENS1_30default_config_static_selectorELNS0_4arch9wavefront6targetE0EEEvSY_.numbered_sgpr, 0
	.set _ZN7rocprim17ROCPRIM_400000_NS6detail17trampoline_kernelINS0_13select_configILj256ELj13ELNS0_17block_load_methodE3ELS4_3ELS4_3ELNS0_20block_scan_algorithmE0ELj4294967295EEENS1_25partition_config_selectorILNS1_17partition_subalgoE3EjNS0_10empty_typeEbEEZZNS1_14partition_implILS8_3ELb0ES6_jNS0_17counting_iteratorIjlEEPS9_SE_NS0_5tupleIJPjSE_EEENSF_IJSE_SE_EEES9_SG_JZNS1_25segmented_radix_sort_implINS0_14default_configELb1EPKfPfPKlPlN2at6native12_GLOBAL__N_18offset_tEEE10hipError_tPvRmT1_PNSt15iterator_traitsISY_E10value_typeET2_T3_PNSZ_IS14_E10value_typeET4_jRbjT5_S1A_jjP12ihipStream_tbEUljE_EEESV_SW_SX_S14_S18_S1A_T6_T7_T9_mT8_S1C_bDpT10_ENKUlT_T0_E_clISt17integral_constantIbLb1EES1O_IbLb0EEEEDaS1K_S1L_EUlS1K_E_NS1_11comp_targetILNS1_3genE2ELNS1_11target_archE906ELNS1_3gpuE6ELNS1_3repE0EEENS1_30default_config_static_selectorELNS0_4arch9wavefront6targetE0EEEvSY_.num_named_barrier, 0
	.set _ZN7rocprim17ROCPRIM_400000_NS6detail17trampoline_kernelINS0_13select_configILj256ELj13ELNS0_17block_load_methodE3ELS4_3ELS4_3ELNS0_20block_scan_algorithmE0ELj4294967295EEENS1_25partition_config_selectorILNS1_17partition_subalgoE3EjNS0_10empty_typeEbEEZZNS1_14partition_implILS8_3ELb0ES6_jNS0_17counting_iteratorIjlEEPS9_SE_NS0_5tupleIJPjSE_EEENSF_IJSE_SE_EEES9_SG_JZNS1_25segmented_radix_sort_implINS0_14default_configELb1EPKfPfPKlPlN2at6native12_GLOBAL__N_18offset_tEEE10hipError_tPvRmT1_PNSt15iterator_traitsISY_E10value_typeET2_T3_PNSZ_IS14_E10value_typeET4_jRbjT5_S1A_jjP12ihipStream_tbEUljE_EEESV_SW_SX_S14_S18_S1A_T6_T7_T9_mT8_S1C_bDpT10_ENKUlT_T0_E_clISt17integral_constantIbLb1EES1O_IbLb0EEEEDaS1K_S1L_EUlS1K_E_NS1_11comp_targetILNS1_3genE2ELNS1_11target_archE906ELNS1_3gpuE6ELNS1_3repE0EEENS1_30default_config_static_selectorELNS0_4arch9wavefront6targetE0EEEvSY_.private_seg_size, 0
	.set _ZN7rocprim17ROCPRIM_400000_NS6detail17trampoline_kernelINS0_13select_configILj256ELj13ELNS0_17block_load_methodE3ELS4_3ELS4_3ELNS0_20block_scan_algorithmE0ELj4294967295EEENS1_25partition_config_selectorILNS1_17partition_subalgoE3EjNS0_10empty_typeEbEEZZNS1_14partition_implILS8_3ELb0ES6_jNS0_17counting_iteratorIjlEEPS9_SE_NS0_5tupleIJPjSE_EEENSF_IJSE_SE_EEES9_SG_JZNS1_25segmented_radix_sort_implINS0_14default_configELb1EPKfPfPKlPlN2at6native12_GLOBAL__N_18offset_tEEE10hipError_tPvRmT1_PNSt15iterator_traitsISY_E10value_typeET2_T3_PNSZ_IS14_E10value_typeET4_jRbjT5_S1A_jjP12ihipStream_tbEUljE_EEESV_SW_SX_S14_S18_S1A_T6_T7_T9_mT8_S1C_bDpT10_ENKUlT_T0_E_clISt17integral_constantIbLb1EES1O_IbLb0EEEEDaS1K_S1L_EUlS1K_E_NS1_11comp_targetILNS1_3genE2ELNS1_11target_archE906ELNS1_3gpuE6ELNS1_3repE0EEENS1_30default_config_static_selectorELNS0_4arch9wavefront6targetE0EEEvSY_.uses_vcc, 0
	.set _ZN7rocprim17ROCPRIM_400000_NS6detail17trampoline_kernelINS0_13select_configILj256ELj13ELNS0_17block_load_methodE3ELS4_3ELS4_3ELNS0_20block_scan_algorithmE0ELj4294967295EEENS1_25partition_config_selectorILNS1_17partition_subalgoE3EjNS0_10empty_typeEbEEZZNS1_14partition_implILS8_3ELb0ES6_jNS0_17counting_iteratorIjlEEPS9_SE_NS0_5tupleIJPjSE_EEENSF_IJSE_SE_EEES9_SG_JZNS1_25segmented_radix_sort_implINS0_14default_configELb1EPKfPfPKlPlN2at6native12_GLOBAL__N_18offset_tEEE10hipError_tPvRmT1_PNSt15iterator_traitsISY_E10value_typeET2_T3_PNSZ_IS14_E10value_typeET4_jRbjT5_S1A_jjP12ihipStream_tbEUljE_EEESV_SW_SX_S14_S18_S1A_T6_T7_T9_mT8_S1C_bDpT10_ENKUlT_T0_E_clISt17integral_constantIbLb1EES1O_IbLb0EEEEDaS1K_S1L_EUlS1K_E_NS1_11comp_targetILNS1_3genE2ELNS1_11target_archE906ELNS1_3gpuE6ELNS1_3repE0EEENS1_30default_config_static_selectorELNS0_4arch9wavefront6targetE0EEEvSY_.uses_flat_scratch, 0
	.set _ZN7rocprim17ROCPRIM_400000_NS6detail17trampoline_kernelINS0_13select_configILj256ELj13ELNS0_17block_load_methodE3ELS4_3ELS4_3ELNS0_20block_scan_algorithmE0ELj4294967295EEENS1_25partition_config_selectorILNS1_17partition_subalgoE3EjNS0_10empty_typeEbEEZZNS1_14partition_implILS8_3ELb0ES6_jNS0_17counting_iteratorIjlEEPS9_SE_NS0_5tupleIJPjSE_EEENSF_IJSE_SE_EEES9_SG_JZNS1_25segmented_radix_sort_implINS0_14default_configELb1EPKfPfPKlPlN2at6native12_GLOBAL__N_18offset_tEEE10hipError_tPvRmT1_PNSt15iterator_traitsISY_E10value_typeET2_T3_PNSZ_IS14_E10value_typeET4_jRbjT5_S1A_jjP12ihipStream_tbEUljE_EEESV_SW_SX_S14_S18_S1A_T6_T7_T9_mT8_S1C_bDpT10_ENKUlT_T0_E_clISt17integral_constantIbLb1EES1O_IbLb0EEEEDaS1K_S1L_EUlS1K_E_NS1_11comp_targetILNS1_3genE2ELNS1_11target_archE906ELNS1_3gpuE6ELNS1_3repE0EEENS1_30default_config_static_selectorELNS0_4arch9wavefront6targetE0EEEvSY_.has_dyn_sized_stack, 0
	.set _ZN7rocprim17ROCPRIM_400000_NS6detail17trampoline_kernelINS0_13select_configILj256ELj13ELNS0_17block_load_methodE3ELS4_3ELS4_3ELNS0_20block_scan_algorithmE0ELj4294967295EEENS1_25partition_config_selectorILNS1_17partition_subalgoE3EjNS0_10empty_typeEbEEZZNS1_14partition_implILS8_3ELb0ES6_jNS0_17counting_iteratorIjlEEPS9_SE_NS0_5tupleIJPjSE_EEENSF_IJSE_SE_EEES9_SG_JZNS1_25segmented_radix_sort_implINS0_14default_configELb1EPKfPfPKlPlN2at6native12_GLOBAL__N_18offset_tEEE10hipError_tPvRmT1_PNSt15iterator_traitsISY_E10value_typeET2_T3_PNSZ_IS14_E10value_typeET4_jRbjT5_S1A_jjP12ihipStream_tbEUljE_EEESV_SW_SX_S14_S18_S1A_T6_T7_T9_mT8_S1C_bDpT10_ENKUlT_T0_E_clISt17integral_constantIbLb1EES1O_IbLb0EEEEDaS1K_S1L_EUlS1K_E_NS1_11comp_targetILNS1_3genE2ELNS1_11target_archE906ELNS1_3gpuE6ELNS1_3repE0EEENS1_30default_config_static_selectorELNS0_4arch9wavefront6targetE0EEEvSY_.has_recursion, 0
	.set _ZN7rocprim17ROCPRIM_400000_NS6detail17trampoline_kernelINS0_13select_configILj256ELj13ELNS0_17block_load_methodE3ELS4_3ELS4_3ELNS0_20block_scan_algorithmE0ELj4294967295EEENS1_25partition_config_selectorILNS1_17partition_subalgoE3EjNS0_10empty_typeEbEEZZNS1_14partition_implILS8_3ELb0ES6_jNS0_17counting_iteratorIjlEEPS9_SE_NS0_5tupleIJPjSE_EEENSF_IJSE_SE_EEES9_SG_JZNS1_25segmented_radix_sort_implINS0_14default_configELb1EPKfPfPKlPlN2at6native12_GLOBAL__N_18offset_tEEE10hipError_tPvRmT1_PNSt15iterator_traitsISY_E10value_typeET2_T3_PNSZ_IS14_E10value_typeET4_jRbjT5_S1A_jjP12ihipStream_tbEUljE_EEESV_SW_SX_S14_S18_S1A_T6_T7_T9_mT8_S1C_bDpT10_ENKUlT_T0_E_clISt17integral_constantIbLb1EES1O_IbLb0EEEEDaS1K_S1L_EUlS1K_E_NS1_11comp_targetILNS1_3genE2ELNS1_11target_archE906ELNS1_3gpuE6ELNS1_3repE0EEENS1_30default_config_static_selectorELNS0_4arch9wavefront6targetE0EEEvSY_.has_indirect_call, 0
	.section	.AMDGPU.csdata,"",@progbits
; Kernel info:
; codeLenInByte = 0
; TotalNumSgprs: 0
; NumVgprs: 0
; ScratchSize: 0
; MemoryBound: 0
; FloatMode: 240
; IeeeMode: 1
; LDSByteSize: 0 bytes/workgroup (compile time only)
; SGPRBlocks: 0
; VGPRBlocks: 0
; NumSGPRsForWavesPerEU: 1
; NumVGPRsForWavesPerEU: 1
; Occupancy: 16
; WaveLimiterHint : 0
; COMPUTE_PGM_RSRC2:SCRATCH_EN: 0
; COMPUTE_PGM_RSRC2:USER_SGPR: 6
; COMPUTE_PGM_RSRC2:TRAP_HANDLER: 0
; COMPUTE_PGM_RSRC2:TGID_X_EN: 1
; COMPUTE_PGM_RSRC2:TGID_Y_EN: 0
; COMPUTE_PGM_RSRC2:TGID_Z_EN: 0
; COMPUTE_PGM_RSRC2:TIDIG_COMP_CNT: 0
	.section	.text._ZN7rocprim17ROCPRIM_400000_NS6detail17trampoline_kernelINS0_13select_configILj256ELj13ELNS0_17block_load_methodE3ELS4_3ELS4_3ELNS0_20block_scan_algorithmE0ELj4294967295EEENS1_25partition_config_selectorILNS1_17partition_subalgoE3EjNS0_10empty_typeEbEEZZNS1_14partition_implILS8_3ELb0ES6_jNS0_17counting_iteratorIjlEEPS9_SE_NS0_5tupleIJPjSE_EEENSF_IJSE_SE_EEES9_SG_JZNS1_25segmented_radix_sort_implINS0_14default_configELb1EPKfPfPKlPlN2at6native12_GLOBAL__N_18offset_tEEE10hipError_tPvRmT1_PNSt15iterator_traitsISY_E10value_typeET2_T3_PNSZ_IS14_E10value_typeET4_jRbjT5_S1A_jjP12ihipStream_tbEUljE_EEESV_SW_SX_S14_S18_S1A_T6_T7_T9_mT8_S1C_bDpT10_ENKUlT_T0_E_clISt17integral_constantIbLb1EES1O_IbLb0EEEEDaS1K_S1L_EUlS1K_E_NS1_11comp_targetILNS1_3genE10ELNS1_11target_archE1200ELNS1_3gpuE4ELNS1_3repE0EEENS1_30default_config_static_selectorELNS0_4arch9wavefront6targetE0EEEvSY_,"axG",@progbits,_ZN7rocprim17ROCPRIM_400000_NS6detail17trampoline_kernelINS0_13select_configILj256ELj13ELNS0_17block_load_methodE3ELS4_3ELS4_3ELNS0_20block_scan_algorithmE0ELj4294967295EEENS1_25partition_config_selectorILNS1_17partition_subalgoE3EjNS0_10empty_typeEbEEZZNS1_14partition_implILS8_3ELb0ES6_jNS0_17counting_iteratorIjlEEPS9_SE_NS0_5tupleIJPjSE_EEENSF_IJSE_SE_EEES9_SG_JZNS1_25segmented_radix_sort_implINS0_14default_configELb1EPKfPfPKlPlN2at6native12_GLOBAL__N_18offset_tEEE10hipError_tPvRmT1_PNSt15iterator_traitsISY_E10value_typeET2_T3_PNSZ_IS14_E10value_typeET4_jRbjT5_S1A_jjP12ihipStream_tbEUljE_EEESV_SW_SX_S14_S18_S1A_T6_T7_T9_mT8_S1C_bDpT10_ENKUlT_T0_E_clISt17integral_constantIbLb1EES1O_IbLb0EEEEDaS1K_S1L_EUlS1K_E_NS1_11comp_targetILNS1_3genE10ELNS1_11target_archE1200ELNS1_3gpuE4ELNS1_3repE0EEENS1_30default_config_static_selectorELNS0_4arch9wavefront6targetE0EEEvSY_,comdat
	.globl	_ZN7rocprim17ROCPRIM_400000_NS6detail17trampoline_kernelINS0_13select_configILj256ELj13ELNS0_17block_load_methodE3ELS4_3ELS4_3ELNS0_20block_scan_algorithmE0ELj4294967295EEENS1_25partition_config_selectorILNS1_17partition_subalgoE3EjNS0_10empty_typeEbEEZZNS1_14partition_implILS8_3ELb0ES6_jNS0_17counting_iteratorIjlEEPS9_SE_NS0_5tupleIJPjSE_EEENSF_IJSE_SE_EEES9_SG_JZNS1_25segmented_radix_sort_implINS0_14default_configELb1EPKfPfPKlPlN2at6native12_GLOBAL__N_18offset_tEEE10hipError_tPvRmT1_PNSt15iterator_traitsISY_E10value_typeET2_T3_PNSZ_IS14_E10value_typeET4_jRbjT5_S1A_jjP12ihipStream_tbEUljE_EEESV_SW_SX_S14_S18_S1A_T6_T7_T9_mT8_S1C_bDpT10_ENKUlT_T0_E_clISt17integral_constantIbLb1EES1O_IbLb0EEEEDaS1K_S1L_EUlS1K_E_NS1_11comp_targetILNS1_3genE10ELNS1_11target_archE1200ELNS1_3gpuE4ELNS1_3repE0EEENS1_30default_config_static_selectorELNS0_4arch9wavefront6targetE0EEEvSY_ ; -- Begin function _ZN7rocprim17ROCPRIM_400000_NS6detail17trampoline_kernelINS0_13select_configILj256ELj13ELNS0_17block_load_methodE3ELS4_3ELS4_3ELNS0_20block_scan_algorithmE0ELj4294967295EEENS1_25partition_config_selectorILNS1_17partition_subalgoE3EjNS0_10empty_typeEbEEZZNS1_14partition_implILS8_3ELb0ES6_jNS0_17counting_iteratorIjlEEPS9_SE_NS0_5tupleIJPjSE_EEENSF_IJSE_SE_EEES9_SG_JZNS1_25segmented_radix_sort_implINS0_14default_configELb1EPKfPfPKlPlN2at6native12_GLOBAL__N_18offset_tEEE10hipError_tPvRmT1_PNSt15iterator_traitsISY_E10value_typeET2_T3_PNSZ_IS14_E10value_typeET4_jRbjT5_S1A_jjP12ihipStream_tbEUljE_EEESV_SW_SX_S14_S18_S1A_T6_T7_T9_mT8_S1C_bDpT10_ENKUlT_T0_E_clISt17integral_constantIbLb1EES1O_IbLb0EEEEDaS1K_S1L_EUlS1K_E_NS1_11comp_targetILNS1_3genE10ELNS1_11target_archE1200ELNS1_3gpuE4ELNS1_3repE0EEENS1_30default_config_static_selectorELNS0_4arch9wavefront6targetE0EEEvSY_
	.p2align	8
	.type	_ZN7rocprim17ROCPRIM_400000_NS6detail17trampoline_kernelINS0_13select_configILj256ELj13ELNS0_17block_load_methodE3ELS4_3ELS4_3ELNS0_20block_scan_algorithmE0ELj4294967295EEENS1_25partition_config_selectorILNS1_17partition_subalgoE3EjNS0_10empty_typeEbEEZZNS1_14partition_implILS8_3ELb0ES6_jNS0_17counting_iteratorIjlEEPS9_SE_NS0_5tupleIJPjSE_EEENSF_IJSE_SE_EEES9_SG_JZNS1_25segmented_radix_sort_implINS0_14default_configELb1EPKfPfPKlPlN2at6native12_GLOBAL__N_18offset_tEEE10hipError_tPvRmT1_PNSt15iterator_traitsISY_E10value_typeET2_T3_PNSZ_IS14_E10value_typeET4_jRbjT5_S1A_jjP12ihipStream_tbEUljE_EEESV_SW_SX_S14_S18_S1A_T6_T7_T9_mT8_S1C_bDpT10_ENKUlT_T0_E_clISt17integral_constantIbLb1EES1O_IbLb0EEEEDaS1K_S1L_EUlS1K_E_NS1_11comp_targetILNS1_3genE10ELNS1_11target_archE1200ELNS1_3gpuE4ELNS1_3repE0EEENS1_30default_config_static_selectorELNS0_4arch9wavefront6targetE0EEEvSY_,@function
_ZN7rocprim17ROCPRIM_400000_NS6detail17trampoline_kernelINS0_13select_configILj256ELj13ELNS0_17block_load_methodE3ELS4_3ELS4_3ELNS0_20block_scan_algorithmE0ELj4294967295EEENS1_25partition_config_selectorILNS1_17partition_subalgoE3EjNS0_10empty_typeEbEEZZNS1_14partition_implILS8_3ELb0ES6_jNS0_17counting_iteratorIjlEEPS9_SE_NS0_5tupleIJPjSE_EEENSF_IJSE_SE_EEES9_SG_JZNS1_25segmented_radix_sort_implINS0_14default_configELb1EPKfPfPKlPlN2at6native12_GLOBAL__N_18offset_tEEE10hipError_tPvRmT1_PNSt15iterator_traitsISY_E10value_typeET2_T3_PNSZ_IS14_E10value_typeET4_jRbjT5_S1A_jjP12ihipStream_tbEUljE_EEESV_SW_SX_S14_S18_S1A_T6_T7_T9_mT8_S1C_bDpT10_ENKUlT_T0_E_clISt17integral_constantIbLb1EES1O_IbLb0EEEEDaS1K_S1L_EUlS1K_E_NS1_11comp_targetILNS1_3genE10ELNS1_11target_archE1200ELNS1_3gpuE4ELNS1_3repE0EEENS1_30default_config_static_selectorELNS0_4arch9wavefront6targetE0EEEvSY_: ; @_ZN7rocprim17ROCPRIM_400000_NS6detail17trampoline_kernelINS0_13select_configILj256ELj13ELNS0_17block_load_methodE3ELS4_3ELS4_3ELNS0_20block_scan_algorithmE0ELj4294967295EEENS1_25partition_config_selectorILNS1_17partition_subalgoE3EjNS0_10empty_typeEbEEZZNS1_14partition_implILS8_3ELb0ES6_jNS0_17counting_iteratorIjlEEPS9_SE_NS0_5tupleIJPjSE_EEENSF_IJSE_SE_EEES9_SG_JZNS1_25segmented_radix_sort_implINS0_14default_configELb1EPKfPfPKlPlN2at6native12_GLOBAL__N_18offset_tEEE10hipError_tPvRmT1_PNSt15iterator_traitsISY_E10value_typeET2_T3_PNSZ_IS14_E10value_typeET4_jRbjT5_S1A_jjP12ihipStream_tbEUljE_EEESV_SW_SX_S14_S18_S1A_T6_T7_T9_mT8_S1C_bDpT10_ENKUlT_T0_E_clISt17integral_constantIbLb1EES1O_IbLb0EEEEDaS1K_S1L_EUlS1K_E_NS1_11comp_targetILNS1_3genE10ELNS1_11target_archE1200ELNS1_3gpuE4ELNS1_3repE0EEENS1_30default_config_static_selectorELNS0_4arch9wavefront6targetE0EEEvSY_
; %bb.0:
	.section	.rodata,"a",@progbits
	.p2align	6, 0x0
	.amdhsa_kernel _ZN7rocprim17ROCPRIM_400000_NS6detail17trampoline_kernelINS0_13select_configILj256ELj13ELNS0_17block_load_methodE3ELS4_3ELS4_3ELNS0_20block_scan_algorithmE0ELj4294967295EEENS1_25partition_config_selectorILNS1_17partition_subalgoE3EjNS0_10empty_typeEbEEZZNS1_14partition_implILS8_3ELb0ES6_jNS0_17counting_iteratorIjlEEPS9_SE_NS0_5tupleIJPjSE_EEENSF_IJSE_SE_EEES9_SG_JZNS1_25segmented_radix_sort_implINS0_14default_configELb1EPKfPfPKlPlN2at6native12_GLOBAL__N_18offset_tEEE10hipError_tPvRmT1_PNSt15iterator_traitsISY_E10value_typeET2_T3_PNSZ_IS14_E10value_typeET4_jRbjT5_S1A_jjP12ihipStream_tbEUljE_EEESV_SW_SX_S14_S18_S1A_T6_T7_T9_mT8_S1C_bDpT10_ENKUlT_T0_E_clISt17integral_constantIbLb1EES1O_IbLb0EEEEDaS1K_S1L_EUlS1K_E_NS1_11comp_targetILNS1_3genE10ELNS1_11target_archE1200ELNS1_3gpuE4ELNS1_3repE0EEENS1_30default_config_static_selectorELNS0_4arch9wavefront6targetE0EEEvSY_
		.amdhsa_group_segment_fixed_size 0
		.amdhsa_private_segment_fixed_size 0
		.amdhsa_kernarg_size 144
		.amdhsa_user_sgpr_count 6
		.amdhsa_user_sgpr_private_segment_buffer 1
		.amdhsa_user_sgpr_dispatch_ptr 0
		.amdhsa_user_sgpr_queue_ptr 0
		.amdhsa_user_sgpr_kernarg_segment_ptr 1
		.amdhsa_user_sgpr_dispatch_id 0
		.amdhsa_user_sgpr_flat_scratch_init 0
		.amdhsa_user_sgpr_private_segment_size 0
		.amdhsa_wavefront_size32 1
		.amdhsa_uses_dynamic_stack 0
		.amdhsa_system_sgpr_private_segment_wavefront_offset 0
		.amdhsa_system_sgpr_workgroup_id_x 1
		.amdhsa_system_sgpr_workgroup_id_y 0
		.amdhsa_system_sgpr_workgroup_id_z 0
		.amdhsa_system_sgpr_workgroup_info 0
		.amdhsa_system_vgpr_workitem_id 0
		.amdhsa_next_free_vgpr 1
		.amdhsa_next_free_sgpr 1
		.amdhsa_reserve_vcc 0
		.amdhsa_reserve_flat_scratch 0
		.amdhsa_float_round_mode_32 0
		.amdhsa_float_round_mode_16_64 0
		.amdhsa_float_denorm_mode_32 3
		.amdhsa_float_denorm_mode_16_64 3
		.amdhsa_dx10_clamp 1
		.amdhsa_ieee_mode 1
		.amdhsa_fp16_overflow 0
		.amdhsa_workgroup_processor_mode 1
		.amdhsa_memory_ordered 1
		.amdhsa_forward_progress 1
		.amdhsa_shared_vgpr_count 0
		.amdhsa_exception_fp_ieee_invalid_op 0
		.amdhsa_exception_fp_denorm_src 0
		.amdhsa_exception_fp_ieee_div_zero 0
		.amdhsa_exception_fp_ieee_overflow 0
		.amdhsa_exception_fp_ieee_underflow 0
		.amdhsa_exception_fp_ieee_inexact 0
		.amdhsa_exception_int_div_zero 0
	.end_amdhsa_kernel
	.section	.text._ZN7rocprim17ROCPRIM_400000_NS6detail17trampoline_kernelINS0_13select_configILj256ELj13ELNS0_17block_load_methodE3ELS4_3ELS4_3ELNS0_20block_scan_algorithmE0ELj4294967295EEENS1_25partition_config_selectorILNS1_17partition_subalgoE3EjNS0_10empty_typeEbEEZZNS1_14partition_implILS8_3ELb0ES6_jNS0_17counting_iteratorIjlEEPS9_SE_NS0_5tupleIJPjSE_EEENSF_IJSE_SE_EEES9_SG_JZNS1_25segmented_radix_sort_implINS0_14default_configELb1EPKfPfPKlPlN2at6native12_GLOBAL__N_18offset_tEEE10hipError_tPvRmT1_PNSt15iterator_traitsISY_E10value_typeET2_T3_PNSZ_IS14_E10value_typeET4_jRbjT5_S1A_jjP12ihipStream_tbEUljE_EEESV_SW_SX_S14_S18_S1A_T6_T7_T9_mT8_S1C_bDpT10_ENKUlT_T0_E_clISt17integral_constantIbLb1EES1O_IbLb0EEEEDaS1K_S1L_EUlS1K_E_NS1_11comp_targetILNS1_3genE10ELNS1_11target_archE1200ELNS1_3gpuE4ELNS1_3repE0EEENS1_30default_config_static_selectorELNS0_4arch9wavefront6targetE0EEEvSY_,"axG",@progbits,_ZN7rocprim17ROCPRIM_400000_NS6detail17trampoline_kernelINS0_13select_configILj256ELj13ELNS0_17block_load_methodE3ELS4_3ELS4_3ELNS0_20block_scan_algorithmE0ELj4294967295EEENS1_25partition_config_selectorILNS1_17partition_subalgoE3EjNS0_10empty_typeEbEEZZNS1_14partition_implILS8_3ELb0ES6_jNS0_17counting_iteratorIjlEEPS9_SE_NS0_5tupleIJPjSE_EEENSF_IJSE_SE_EEES9_SG_JZNS1_25segmented_radix_sort_implINS0_14default_configELb1EPKfPfPKlPlN2at6native12_GLOBAL__N_18offset_tEEE10hipError_tPvRmT1_PNSt15iterator_traitsISY_E10value_typeET2_T3_PNSZ_IS14_E10value_typeET4_jRbjT5_S1A_jjP12ihipStream_tbEUljE_EEESV_SW_SX_S14_S18_S1A_T6_T7_T9_mT8_S1C_bDpT10_ENKUlT_T0_E_clISt17integral_constantIbLb1EES1O_IbLb0EEEEDaS1K_S1L_EUlS1K_E_NS1_11comp_targetILNS1_3genE10ELNS1_11target_archE1200ELNS1_3gpuE4ELNS1_3repE0EEENS1_30default_config_static_selectorELNS0_4arch9wavefront6targetE0EEEvSY_,comdat
.Lfunc_end1306:
	.size	_ZN7rocprim17ROCPRIM_400000_NS6detail17trampoline_kernelINS0_13select_configILj256ELj13ELNS0_17block_load_methodE3ELS4_3ELS4_3ELNS0_20block_scan_algorithmE0ELj4294967295EEENS1_25partition_config_selectorILNS1_17partition_subalgoE3EjNS0_10empty_typeEbEEZZNS1_14partition_implILS8_3ELb0ES6_jNS0_17counting_iteratorIjlEEPS9_SE_NS0_5tupleIJPjSE_EEENSF_IJSE_SE_EEES9_SG_JZNS1_25segmented_radix_sort_implINS0_14default_configELb1EPKfPfPKlPlN2at6native12_GLOBAL__N_18offset_tEEE10hipError_tPvRmT1_PNSt15iterator_traitsISY_E10value_typeET2_T3_PNSZ_IS14_E10value_typeET4_jRbjT5_S1A_jjP12ihipStream_tbEUljE_EEESV_SW_SX_S14_S18_S1A_T6_T7_T9_mT8_S1C_bDpT10_ENKUlT_T0_E_clISt17integral_constantIbLb1EES1O_IbLb0EEEEDaS1K_S1L_EUlS1K_E_NS1_11comp_targetILNS1_3genE10ELNS1_11target_archE1200ELNS1_3gpuE4ELNS1_3repE0EEENS1_30default_config_static_selectorELNS0_4arch9wavefront6targetE0EEEvSY_, .Lfunc_end1306-_ZN7rocprim17ROCPRIM_400000_NS6detail17trampoline_kernelINS0_13select_configILj256ELj13ELNS0_17block_load_methodE3ELS4_3ELS4_3ELNS0_20block_scan_algorithmE0ELj4294967295EEENS1_25partition_config_selectorILNS1_17partition_subalgoE3EjNS0_10empty_typeEbEEZZNS1_14partition_implILS8_3ELb0ES6_jNS0_17counting_iteratorIjlEEPS9_SE_NS0_5tupleIJPjSE_EEENSF_IJSE_SE_EEES9_SG_JZNS1_25segmented_radix_sort_implINS0_14default_configELb1EPKfPfPKlPlN2at6native12_GLOBAL__N_18offset_tEEE10hipError_tPvRmT1_PNSt15iterator_traitsISY_E10value_typeET2_T3_PNSZ_IS14_E10value_typeET4_jRbjT5_S1A_jjP12ihipStream_tbEUljE_EEESV_SW_SX_S14_S18_S1A_T6_T7_T9_mT8_S1C_bDpT10_ENKUlT_T0_E_clISt17integral_constantIbLb1EES1O_IbLb0EEEEDaS1K_S1L_EUlS1K_E_NS1_11comp_targetILNS1_3genE10ELNS1_11target_archE1200ELNS1_3gpuE4ELNS1_3repE0EEENS1_30default_config_static_selectorELNS0_4arch9wavefront6targetE0EEEvSY_
                                        ; -- End function
	.set _ZN7rocprim17ROCPRIM_400000_NS6detail17trampoline_kernelINS0_13select_configILj256ELj13ELNS0_17block_load_methodE3ELS4_3ELS4_3ELNS0_20block_scan_algorithmE0ELj4294967295EEENS1_25partition_config_selectorILNS1_17partition_subalgoE3EjNS0_10empty_typeEbEEZZNS1_14partition_implILS8_3ELb0ES6_jNS0_17counting_iteratorIjlEEPS9_SE_NS0_5tupleIJPjSE_EEENSF_IJSE_SE_EEES9_SG_JZNS1_25segmented_radix_sort_implINS0_14default_configELb1EPKfPfPKlPlN2at6native12_GLOBAL__N_18offset_tEEE10hipError_tPvRmT1_PNSt15iterator_traitsISY_E10value_typeET2_T3_PNSZ_IS14_E10value_typeET4_jRbjT5_S1A_jjP12ihipStream_tbEUljE_EEESV_SW_SX_S14_S18_S1A_T6_T7_T9_mT8_S1C_bDpT10_ENKUlT_T0_E_clISt17integral_constantIbLb1EES1O_IbLb0EEEEDaS1K_S1L_EUlS1K_E_NS1_11comp_targetILNS1_3genE10ELNS1_11target_archE1200ELNS1_3gpuE4ELNS1_3repE0EEENS1_30default_config_static_selectorELNS0_4arch9wavefront6targetE0EEEvSY_.num_vgpr, 0
	.set _ZN7rocprim17ROCPRIM_400000_NS6detail17trampoline_kernelINS0_13select_configILj256ELj13ELNS0_17block_load_methodE3ELS4_3ELS4_3ELNS0_20block_scan_algorithmE0ELj4294967295EEENS1_25partition_config_selectorILNS1_17partition_subalgoE3EjNS0_10empty_typeEbEEZZNS1_14partition_implILS8_3ELb0ES6_jNS0_17counting_iteratorIjlEEPS9_SE_NS0_5tupleIJPjSE_EEENSF_IJSE_SE_EEES9_SG_JZNS1_25segmented_radix_sort_implINS0_14default_configELb1EPKfPfPKlPlN2at6native12_GLOBAL__N_18offset_tEEE10hipError_tPvRmT1_PNSt15iterator_traitsISY_E10value_typeET2_T3_PNSZ_IS14_E10value_typeET4_jRbjT5_S1A_jjP12ihipStream_tbEUljE_EEESV_SW_SX_S14_S18_S1A_T6_T7_T9_mT8_S1C_bDpT10_ENKUlT_T0_E_clISt17integral_constantIbLb1EES1O_IbLb0EEEEDaS1K_S1L_EUlS1K_E_NS1_11comp_targetILNS1_3genE10ELNS1_11target_archE1200ELNS1_3gpuE4ELNS1_3repE0EEENS1_30default_config_static_selectorELNS0_4arch9wavefront6targetE0EEEvSY_.num_agpr, 0
	.set _ZN7rocprim17ROCPRIM_400000_NS6detail17trampoline_kernelINS0_13select_configILj256ELj13ELNS0_17block_load_methodE3ELS4_3ELS4_3ELNS0_20block_scan_algorithmE0ELj4294967295EEENS1_25partition_config_selectorILNS1_17partition_subalgoE3EjNS0_10empty_typeEbEEZZNS1_14partition_implILS8_3ELb0ES6_jNS0_17counting_iteratorIjlEEPS9_SE_NS0_5tupleIJPjSE_EEENSF_IJSE_SE_EEES9_SG_JZNS1_25segmented_radix_sort_implINS0_14default_configELb1EPKfPfPKlPlN2at6native12_GLOBAL__N_18offset_tEEE10hipError_tPvRmT1_PNSt15iterator_traitsISY_E10value_typeET2_T3_PNSZ_IS14_E10value_typeET4_jRbjT5_S1A_jjP12ihipStream_tbEUljE_EEESV_SW_SX_S14_S18_S1A_T6_T7_T9_mT8_S1C_bDpT10_ENKUlT_T0_E_clISt17integral_constantIbLb1EES1O_IbLb0EEEEDaS1K_S1L_EUlS1K_E_NS1_11comp_targetILNS1_3genE10ELNS1_11target_archE1200ELNS1_3gpuE4ELNS1_3repE0EEENS1_30default_config_static_selectorELNS0_4arch9wavefront6targetE0EEEvSY_.numbered_sgpr, 0
	.set _ZN7rocprim17ROCPRIM_400000_NS6detail17trampoline_kernelINS0_13select_configILj256ELj13ELNS0_17block_load_methodE3ELS4_3ELS4_3ELNS0_20block_scan_algorithmE0ELj4294967295EEENS1_25partition_config_selectorILNS1_17partition_subalgoE3EjNS0_10empty_typeEbEEZZNS1_14partition_implILS8_3ELb0ES6_jNS0_17counting_iteratorIjlEEPS9_SE_NS0_5tupleIJPjSE_EEENSF_IJSE_SE_EEES9_SG_JZNS1_25segmented_radix_sort_implINS0_14default_configELb1EPKfPfPKlPlN2at6native12_GLOBAL__N_18offset_tEEE10hipError_tPvRmT1_PNSt15iterator_traitsISY_E10value_typeET2_T3_PNSZ_IS14_E10value_typeET4_jRbjT5_S1A_jjP12ihipStream_tbEUljE_EEESV_SW_SX_S14_S18_S1A_T6_T7_T9_mT8_S1C_bDpT10_ENKUlT_T0_E_clISt17integral_constantIbLb1EES1O_IbLb0EEEEDaS1K_S1L_EUlS1K_E_NS1_11comp_targetILNS1_3genE10ELNS1_11target_archE1200ELNS1_3gpuE4ELNS1_3repE0EEENS1_30default_config_static_selectorELNS0_4arch9wavefront6targetE0EEEvSY_.num_named_barrier, 0
	.set _ZN7rocprim17ROCPRIM_400000_NS6detail17trampoline_kernelINS0_13select_configILj256ELj13ELNS0_17block_load_methodE3ELS4_3ELS4_3ELNS0_20block_scan_algorithmE0ELj4294967295EEENS1_25partition_config_selectorILNS1_17partition_subalgoE3EjNS0_10empty_typeEbEEZZNS1_14partition_implILS8_3ELb0ES6_jNS0_17counting_iteratorIjlEEPS9_SE_NS0_5tupleIJPjSE_EEENSF_IJSE_SE_EEES9_SG_JZNS1_25segmented_radix_sort_implINS0_14default_configELb1EPKfPfPKlPlN2at6native12_GLOBAL__N_18offset_tEEE10hipError_tPvRmT1_PNSt15iterator_traitsISY_E10value_typeET2_T3_PNSZ_IS14_E10value_typeET4_jRbjT5_S1A_jjP12ihipStream_tbEUljE_EEESV_SW_SX_S14_S18_S1A_T6_T7_T9_mT8_S1C_bDpT10_ENKUlT_T0_E_clISt17integral_constantIbLb1EES1O_IbLb0EEEEDaS1K_S1L_EUlS1K_E_NS1_11comp_targetILNS1_3genE10ELNS1_11target_archE1200ELNS1_3gpuE4ELNS1_3repE0EEENS1_30default_config_static_selectorELNS0_4arch9wavefront6targetE0EEEvSY_.private_seg_size, 0
	.set _ZN7rocprim17ROCPRIM_400000_NS6detail17trampoline_kernelINS0_13select_configILj256ELj13ELNS0_17block_load_methodE3ELS4_3ELS4_3ELNS0_20block_scan_algorithmE0ELj4294967295EEENS1_25partition_config_selectorILNS1_17partition_subalgoE3EjNS0_10empty_typeEbEEZZNS1_14partition_implILS8_3ELb0ES6_jNS0_17counting_iteratorIjlEEPS9_SE_NS0_5tupleIJPjSE_EEENSF_IJSE_SE_EEES9_SG_JZNS1_25segmented_radix_sort_implINS0_14default_configELb1EPKfPfPKlPlN2at6native12_GLOBAL__N_18offset_tEEE10hipError_tPvRmT1_PNSt15iterator_traitsISY_E10value_typeET2_T3_PNSZ_IS14_E10value_typeET4_jRbjT5_S1A_jjP12ihipStream_tbEUljE_EEESV_SW_SX_S14_S18_S1A_T6_T7_T9_mT8_S1C_bDpT10_ENKUlT_T0_E_clISt17integral_constantIbLb1EES1O_IbLb0EEEEDaS1K_S1L_EUlS1K_E_NS1_11comp_targetILNS1_3genE10ELNS1_11target_archE1200ELNS1_3gpuE4ELNS1_3repE0EEENS1_30default_config_static_selectorELNS0_4arch9wavefront6targetE0EEEvSY_.uses_vcc, 0
	.set _ZN7rocprim17ROCPRIM_400000_NS6detail17trampoline_kernelINS0_13select_configILj256ELj13ELNS0_17block_load_methodE3ELS4_3ELS4_3ELNS0_20block_scan_algorithmE0ELj4294967295EEENS1_25partition_config_selectorILNS1_17partition_subalgoE3EjNS0_10empty_typeEbEEZZNS1_14partition_implILS8_3ELb0ES6_jNS0_17counting_iteratorIjlEEPS9_SE_NS0_5tupleIJPjSE_EEENSF_IJSE_SE_EEES9_SG_JZNS1_25segmented_radix_sort_implINS0_14default_configELb1EPKfPfPKlPlN2at6native12_GLOBAL__N_18offset_tEEE10hipError_tPvRmT1_PNSt15iterator_traitsISY_E10value_typeET2_T3_PNSZ_IS14_E10value_typeET4_jRbjT5_S1A_jjP12ihipStream_tbEUljE_EEESV_SW_SX_S14_S18_S1A_T6_T7_T9_mT8_S1C_bDpT10_ENKUlT_T0_E_clISt17integral_constantIbLb1EES1O_IbLb0EEEEDaS1K_S1L_EUlS1K_E_NS1_11comp_targetILNS1_3genE10ELNS1_11target_archE1200ELNS1_3gpuE4ELNS1_3repE0EEENS1_30default_config_static_selectorELNS0_4arch9wavefront6targetE0EEEvSY_.uses_flat_scratch, 0
	.set _ZN7rocprim17ROCPRIM_400000_NS6detail17trampoline_kernelINS0_13select_configILj256ELj13ELNS0_17block_load_methodE3ELS4_3ELS4_3ELNS0_20block_scan_algorithmE0ELj4294967295EEENS1_25partition_config_selectorILNS1_17partition_subalgoE3EjNS0_10empty_typeEbEEZZNS1_14partition_implILS8_3ELb0ES6_jNS0_17counting_iteratorIjlEEPS9_SE_NS0_5tupleIJPjSE_EEENSF_IJSE_SE_EEES9_SG_JZNS1_25segmented_radix_sort_implINS0_14default_configELb1EPKfPfPKlPlN2at6native12_GLOBAL__N_18offset_tEEE10hipError_tPvRmT1_PNSt15iterator_traitsISY_E10value_typeET2_T3_PNSZ_IS14_E10value_typeET4_jRbjT5_S1A_jjP12ihipStream_tbEUljE_EEESV_SW_SX_S14_S18_S1A_T6_T7_T9_mT8_S1C_bDpT10_ENKUlT_T0_E_clISt17integral_constantIbLb1EES1O_IbLb0EEEEDaS1K_S1L_EUlS1K_E_NS1_11comp_targetILNS1_3genE10ELNS1_11target_archE1200ELNS1_3gpuE4ELNS1_3repE0EEENS1_30default_config_static_selectorELNS0_4arch9wavefront6targetE0EEEvSY_.has_dyn_sized_stack, 0
	.set _ZN7rocprim17ROCPRIM_400000_NS6detail17trampoline_kernelINS0_13select_configILj256ELj13ELNS0_17block_load_methodE3ELS4_3ELS4_3ELNS0_20block_scan_algorithmE0ELj4294967295EEENS1_25partition_config_selectorILNS1_17partition_subalgoE3EjNS0_10empty_typeEbEEZZNS1_14partition_implILS8_3ELb0ES6_jNS0_17counting_iteratorIjlEEPS9_SE_NS0_5tupleIJPjSE_EEENSF_IJSE_SE_EEES9_SG_JZNS1_25segmented_radix_sort_implINS0_14default_configELb1EPKfPfPKlPlN2at6native12_GLOBAL__N_18offset_tEEE10hipError_tPvRmT1_PNSt15iterator_traitsISY_E10value_typeET2_T3_PNSZ_IS14_E10value_typeET4_jRbjT5_S1A_jjP12ihipStream_tbEUljE_EEESV_SW_SX_S14_S18_S1A_T6_T7_T9_mT8_S1C_bDpT10_ENKUlT_T0_E_clISt17integral_constantIbLb1EES1O_IbLb0EEEEDaS1K_S1L_EUlS1K_E_NS1_11comp_targetILNS1_3genE10ELNS1_11target_archE1200ELNS1_3gpuE4ELNS1_3repE0EEENS1_30default_config_static_selectorELNS0_4arch9wavefront6targetE0EEEvSY_.has_recursion, 0
	.set _ZN7rocprim17ROCPRIM_400000_NS6detail17trampoline_kernelINS0_13select_configILj256ELj13ELNS0_17block_load_methodE3ELS4_3ELS4_3ELNS0_20block_scan_algorithmE0ELj4294967295EEENS1_25partition_config_selectorILNS1_17partition_subalgoE3EjNS0_10empty_typeEbEEZZNS1_14partition_implILS8_3ELb0ES6_jNS0_17counting_iteratorIjlEEPS9_SE_NS0_5tupleIJPjSE_EEENSF_IJSE_SE_EEES9_SG_JZNS1_25segmented_radix_sort_implINS0_14default_configELb1EPKfPfPKlPlN2at6native12_GLOBAL__N_18offset_tEEE10hipError_tPvRmT1_PNSt15iterator_traitsISY_E10value_typeET2_T3_PNSZ_IS14_E10value_typeET4_jRbjT5_S1A_jjP12ihipStream_tbEUljE_EEESV_SW_SX_S14_S18_S1A_T6_T7_T9_mT8_S1C_bDpT10_ENKUlT_T0_E_clISt17integral_constantIbLb1EES1O_IbLb0EEEEDaS1K_S1L_EUlS1K_E_NS1_11comp_targetILNS1_3genE10ELNS1_11target_archE1200ELNS1_3gpuE4ELNS1_3repE0EEENS1_30default_config_static_selectorELNS0_4arch9wavefront6targetE0EEEvSY_.has_indirect_call, 0
	.section	.AMDGPU.csdata,"",@progbits
; Kernel info:
; codeLenInByte = 0
; TotalNumSgprs: 0
; NumVgprs: 0
; ScratchSize: 0
; MemoryBound: 0
; FloatMode: 240
; IeeeMode: 1
; LDSByteSize: 0 bytes/workgroup (compile time only)
; SGPRBlocks: 0
; VGPRBlocks: 0
; NumSGPRsForWavesPerEU: 1
; NumVGPRsForWavesPerEU: 1
; Occupancy: 16
; WaveLimiterHint : 0
; COMPUTE_PGM_RSRC2:SCRATCH_EN: 0
; COMPUTE_PGM_RSRC2:USER_SGPR: 6
; COMPUTE_PGM_RSRC2:TRAP_HANDLER: 0
; COMPUTE_PGM_RSRC2:TGID_X_EN: 1
; COMPUTE_PGM_RSRC2:TGID_Y_EN: 0
; COMPUTE_PGM_RSRC2:TGID_Z_EN: 0
; COMPUTE_PGM_RSRC2:TIDIG_COMP_CNT: 0
	.section	.text._ZN7rocprim17ROCPRIM_400000_NS6detail17trampoline_kernelINS0_13select_configILj256ELj13ELNS0_17block_load_methodE3ELS4_3ELS4_3ELNS0_20block_scan_algorithmE0ELj4294967295EEENS1_25partition_config_selectorILNS1_17partition_subalgoE3EjNS0_10empty_typeEbEEZZNS1_14partition_implILS8_3ELb0ES6_jNS0_17counting_iteratorIjlEEPS9_SE_NS0_5tupleIJPjSE_EEENSF_IJSE_SE_EEES9_SG_JZNS1_25segmented_radix_sort_implINS0_14default_configELb1EPKfPfPKlPlN2at6native12_GLOBAL__N_18offset_tEEE10hipError_tPvRmT1_PNSt15iterator_traitsISY_E10value_typeET2_T3_PNSZ_IS14_E10value_typeET4_jRbjT5_S1A_jjP12ihipStream_tbEUljE_EEESV_SW_SX_S14_S18_S1A_T6_T7_T9_mT8_S1C_bDpT10_ENKUlT_T0_E_clISt17integral_constantIbLb1EES1O_IbLb0EEEEDaS1K_S1L_EUlS1K_E_NS1_11comp_targetILNS1_3genE9ELNS1_11target_archE1100ELNS1_3gpuE3ELNS1_3repE0EEENS1_30default_config_static_selectorELNS0_4arch9wavefront6targetE0EEEvSY_,"axG",@progbits,_ZN7rocprim17ROCPRIM_400000_NS6detail17trampoline_kernelINS0_13select_configILj256ELj13ELNS0_17block_load_methodE3ELS4_3ELS4_3ELNS0_20block_scan_algorithmE0ELj4294967295EEENS1_25partition_config_selectorILNS1_17partition_subalgoE3EjNS0_10empty_typeEbEEZZNS1_14partition_implILS8_3ELb0ES6_jNS0_17counting_iteratorIjlEEPS9_SE_NS0_5tupleIJPjSE_EEENSF_IJSE_SE_EEES9_SG_JZNS1_25segmented_radix_sort_implINS0_14default_configELb1EPKfPfPKlPlN2at6native12_GLOBAL__N_18offset_tEEE10hipError_tPvRmT1_PNSt15iterator_traitsISY_E10value_typeET2_T3_PNSZ_IS14_E10value_typeET4_jRbjT5_S1A_jjP12ihipStream_tbEUljE_EEESV_SW_SX_S14_S18_S1A_T6_T7_T9_mT8_S1C_bDpT10_ENKUlT_T0_E_clISt17integral_constantIbLb1EES1O_IbLb0EEEEDaS1K_S1L_EUlS1K_E_NS1_11comp_targetILNS1_3genE9ELNS1_11target_archE1100ELNS1_3gpuE3ELNS1_3repE0EEENS1_30default_config_static_selectorELNS0_4arch9wavefront6targetE0EEEvSY_,comdat
	.globl	_ZN7rocprim17ROCPRIM_400000_NS6detail17trampoline_kernelINS0_13select_configILj256ELj13ELNS0_17block_load_methodE3ELS4_3ELS4_3ELNS0_20block_scan_algorithmE0ELj4294967295EEENS1_25partition_config_selectorILNS1_17partition_subalgoE3EjNS0_10empty_typeEbEEZZNS1_14partition_implILS8_3ELb0ES6_jNS0_17counting_iteratorIjlEEPS9_SE_NS0_5tupleIJPjSE_EEENSF_IJSE_SE_EEES9_SG_JZNS1_25segmented_radix_sort_implINS0_14default_configELb1EPKfPfPKlPlN2at6native12_GLOBAL__N_18offset_tEEE10hipError_tPvRmT1_PNSt15iterator_traitsISY_E10value_typeET2_T3_PNSZ_IS14_E10value_typeET4_jRbjT5_S1A_jjP12ihipStream_tbEUljE_EEESV_SW_SX_S14_S18_S1A_T6_T7_T9_mT8_S1C_bDpT10_ENKUlT_T0_E_clISt17integral_constantIbLb1EES1O_IbLb0EEEEDaS1K_S1L_EUlS1K_E_NS1_11comp_targetILNS1_3genE9ELNS1_11target_archE1100ELNS1_3gpuE3ELNS1_3repE0EEENS1_30default_config_static_selectorELNS0_4arch9wavefront6targetE0EEEvSY_ ; -- Begin function _ZN7rocprim17ROCPRIM_400000_NS6detail17trampoline_kernelINS0_13select_configILj256ELj13ELNS0_17block_load_methodE3ELS4_3ELS4_3ELNS0_20block_scan_algorithmE0ELj4294967295EEENS1_25partition_config_selectorILNS1_17partition_subalgoE3EjNS0_10empty_typeEbEEZZNS1_14partition_implILS8_3ELb0ES6_jNS0_17counting_iteratorIjlEEPS9_SE_NS0_5tupleIJPjSE_EEENSF_IJSE_SE_EEES9_SG_JZNS1_25segmented_radix_sort_implINS0_14default_configELb1EPKfPfPKlPlN2at6native12_GLOBAL__N_18offset_tEEE10hipError_tPvRmT1_PNSt15iterator_traitsISY_E10value_typeET2_T3_PNSZ_IS14_E10value_typeET4_jRbjT5_S1A_jjP12ihipStream_tbEUljE_EEESV_SW_SX_S14_S18_S1A_T6_T7_T9_mT8_S1C_bDpT10_ENKUlT_T0_E_clISt17integral_constantIbLb1EES1O_IbLb0EEEEDaS1K_S1L_EUlS1K_E_NS1_11comp_targetILNS1_3genE9ELNS1_11target_archE1100ELNS1_3gpuE3ELNS1_3repE0EEENS1_30default_config_static_selectorELNS0_4arch9wavefront6targetE0EEEvSY_
	.p2align	8
	.type	_ZN7rocprim17ROCPRIM_400000_NS6detail17trampoline_kernelINS0_13select_configILj256ELj13ELNS0_17block_load_methodE3ELS4_3ELS4_3ELNS0_20block_scan_algorithmE0ELj4294967295EEENS1_25partition_config_selectorILNS1_17partition_subalgoE3EjNS0_10empty_typeEbEEZZNS1_14partition_implILS8_3ELb0ES6_jNS0_17counting_iteratorIjlEEPS9_SE_NS0_5tupleIJPjSE_EEENSF_IJSE_SE_EEES9_SG_JZNS1_25segmented_radix_sort_implINS0_14default_configELb1EPKfPfPKlPlN2at6native12_GLOBAL__N_18offset_tEEE10hipError_tPvRmT1_PNSt15iterator_traitsISY_E10value_typeET2_T3_PNSZ_IS14_E10value_typeET4_jRbjT5_S1A_jjP12ihipStream_tbEUljE_EEESV_SW_SX_S14_S18_S1A_T6_T7_T9_mT8_S1C_bDpT10_ENKUlT_T0_E_clISt17integral_constantIbLb1EES1O_IbLb0EEEEDaS1K_S1L_EUlS1K_E_NS1_11comp_targetILNS1_3genE9ELNS1_11target_archE1100ELNS1_3gpuE3ELNS1_3repE0EEENS1_30default_config_static_selectorELNS0_4arch9wavefront6targetE0EEEvSY_,@function
_ZN7rocprim17ROCPRIM_400000_NS6detail17trampoline_kernelINS0_13select_configILj256ELj13ELNS0_17block_load_methodE3ELS4_3ELS4_3ELNS0_20block_scan_algorithmE0ELj4294967295EEENS1_25partition_config_selectorILNS1_17partition_subalgoE3EjNS0_10empty_typeEbEEZZNS1_14partition_implILS8_3ELb0ES6_jNS0_17counting_iteratorIjlEEPS9_SE_NS0_5tupleIJPjSE_EEENSF_IJSE_SE_EEES9_SG_JZNS1_25segmented_radix_sort_implINS0_14default_configELb1EPKfPfPKlPlN2at6native12_GLOBAL__N_18offset_tEEE10hipError_tPvRmT1_PNSt15iterator_traitsISY_E10value_typeET2_T3_PNSZ_IS14_E10value_typeET4_jRbjT5_S1A_jjP12ihipStream_tbEUljE_EEESV_SW_SX_S14_S18_S1A_T6_T7_T9_mT8_S1C_bDpT10_ENKUlT_T0_E_clISt17integral_constantIbLb1EES1O_IbLb0EEEEDaS1K_S1L_EUlS1K_E_NS1_11comp_targetILNS1_3genE9ELNS1_11target_archE1100ELNS1_3gpuE3ELNS1_3repE0EEENS1_30default_config_static_selectorELNS0_4arch9wavefront6targetE0EEEvSY_: ; @_ZN7rocprim17ROCPRIM_400000_NS6detail17trampoline_kernelINS0_13select_configILj256ELj13ELNS0_17block_load_methodE3ELS4_3ELS4_3ELNS0_20block_scan_algorithmE0ELj4294967295EEENS1_25partition_config_selectorILNS1_17partition_subalgoE3EjNS0_10empty_typeEbEEZZNS1_14partition_implILS8_3ELb0ES6_jNS0_17counting_iteratorIjlEEPS9_SE_NS0_5tupleIJPjSE_EEENSF_IJSE_SE_EEES9_SG_JZNS1_25segmented_radix_sort_implINS0_14default_configELb1EPKfPfPKlPlN2at6native12_GLOBAL__N_18offset_tEEE10hipError_tPvRmT1_PNSt15iterator_traitsISY_E10value_typeET2_T3_PNSZ_IS14_E10value_typeET4_jRbjT5_S1A_jjP12ihipStream_tbEUljE_EEESV_SW_SX_S14_S18_S1A_T6_T7_T9_mT8_S1C_bDpT10_ENKUlT_T0_E_clISt17integral_constantIbLb1EES1O_IbLb0EEEEDaS1K_S1L_EUlS1K_E_NS1_11comp_targetILNS1_3genE9ELNS1_11target_archE1100ELNS1_3gpuE3ELNS1_3repE0EEENS1_30default_config_static_selectorELNS0_4arch9wavefront6targetE0EEEvSY_
; %bb.0:
	.section	.rodata,"a",@progbits
	.p2align	6, 0x0
	.amdhsa_kernel _ZN7rocprim17ROCPRIM_400000_NS6detail17trampoline_kernelINS0_13select_configILj256ELj13ELNS0_17block_load_methodE3ELS4_3ELS4_3ELNS0_20block_scan_algorithmE0ELj4294967295EEENS1_25partition_config_selectorILNS1_17partition_subalgoE3EjNS0_10empty_typeEbEEZZNS1_14partition_implILS8_3ELb0ES6_jNS0_17counting_iteratorIjlEEPS9_SE_NS0_5tupleIJPjSE_EEENSF_IJSE_SE_EEES9_SG_JZNS1_25segmented_radix_sort_implINS0_14default_configELb1EPKfPfPKlPlN2at6native12_GLOBAL__N_18offset_tEEE10hipError_tPvRmT1_PNSt15iterator_traitsISY_E10value_typeET2_T3_PNSZ_IS14_E10value_typeET4_jRbjT5_S1A_jjP12ihipStream_tbEUljE_EEESV_SW_SX_S14_S18_S1A_T6_T7_T9_mT8_S1C_bDpT10_ENKUlT_T0_E_clISt17integral_constantIbLb1EES1O_IbLb0EEEEDaS1K_S1L_EUlS1K_E_NS1_11comp_targetILNS1_3genE9ELNS1_11target_archE1100ELNS1_3gpuE3ELNS1_3repE0EEENS1_30default_config_static_selectorELNS0_4arch9wavefront6targetE0EEEvSY_
		.amdhsa_group_segment_fixed_size 0
		.amdhsa_private_segment_fixed_size 0
		.amdhsa_kernarg_size 144
		.amdhsa_user_sgpr_count 6
		.amdhsa_user_sgpr_private_segment_buffer 1
		.amdhsa_user_sgpr_dispatch_ptr 0
		.amdhsa_user_sgpr_queue_ptr 0
		.amdhsa_user_sgpr_kernarg_segment_ptr 1
		.amdhsa_user_sgpr_dispatch_id 0
		.amdhsa_user_sgpr_flat_scratch_init 0
		.amdhsa_user_sgpr_private_segment_size 0
		.amdhsa_wavefront_size32 1
		.amdhsa_uses_dynamic_stack 0
		.amdhsa_system_sgpr_private_segment_wavefront_offset 0
		.amdhsa_system_sgpr_workgroup_id_x 1
		.amdhsa_system_sgpr_workgroup_id_y 0
		.amdhsa_system_sgpr_workgroup_id_z 0
		.amdhsa_system_sgpr_workgroup_info 0
		.amdhsa_system_vgpr_workitem_id 0
		.amdhsa_next_free_vgpr 1
		.amdhsa_next_free_sgpr 1
		.amdhsa_reserve_vcc 0
		.amdhsa_reserve_flat_scratch 0
		.amdhsa_float_round_mode_32 0
		.amdhsa_float_round_mode_16_64 0
		.amdhsa_float_denorm_mode_32 3
		.amdhsa_float_denorm_mode_16_64 3
		.amdhsa_dx10_clamp 1
		.amdhsa_ieee_mode 1
		.amdhsa_fp16_overflow 0
		.amdhsa_workgroup_processor_mode 1
		.amdhsa_memory_ordered 1
		.amdhsa_forward_progress 1
		.amdhsa_shared_vgpr_count 0
		.amdhsa_exception_fp_ieee_invalid_op 0
		.amdhsa_exception_fp_denorm_src 0
		.amdhsa_exception_fp_ieee_div_zero 0
		.amdhsa_exception_fp_ieee_overflow 0
		.amdhsa_exception_fp_ieee_underflow 0
		.amdhsa_exception_fp_ieee_inexact 0
		.amdhsa_exception_int_div_zero 0
	.end_amdhsa_kernel
	.section	.text._ZN7rocprim17ROCPRIM_400000_NS6detail17trampoline_kernelINS0_13select_configILj256ELj13ELNS0_17block_load_methodE3ELS4_3ELS4_3ELNS0_20block_scan_algorithmE0ELj4294967295EEENS1_25partition_config_selectorILNS1_17partition_subalgoE3EjNS0_10empty_typeEbEEZZNS1_14partition_implILS8_3ELb0ES6_jNS0_17counting_iteratorIjlEEPS9_SE_NS0_5tupleIJPjSE_EEENSF_IJSE_SE_EEES9_SG_JZNS1_25segmented_radix_sort_implINS0_14default_configELb1EPKfPfPKlPlN2at6native12_GLOBAL__N_18offset_tEEE10hipError_tPvRmT1_PNSt15iterator_traitsISY_E10value_typeET2_T3_PNSZ_IS14_E10value_typeET4_jRbjT5_S1A_jjP12ihipStream_tbEUljE_EEESV_SW_SX_S14_S18_S1A_T6_T7_T9_mT8_S1C_bDpT10_ENKUlT_T0_E_clISt17integral_constantIbLb1EES1O_IbLb0EEEEDaS1K_S1L_EUlS1K_E_NS1_11comp_targetILNS1_3genE9ELNS1_11target_archE1100ELNS1_3gpuE3ELNS1_3repE0EEENS1_30default_config_static_selectorELNS0_4arch9wavefront6targetE0EEEvSY_,"axG",@progbits,_ZN7rocprim17ROCPRIM_400000_NS6detail17trampoline_kernelINS0_13select_configILj256ELj13ELNS0_17block_load_methodE3ELS4_3ELS4_3ELNS0_20block_scan_algorithmE0ELj4294967295EEENS1_25partition_config_selectorILNS1_17partition_subalgoE3EjNS0_10empty_typeEbEEZZNS1_14partition_implILS8_3ELb0ES6_jNS0_17counting_iteratorIjlEEPS9_SE_NS0_5tupleIJPjSE_EEENSF_IJSE_SE_EEES9_SG_JZNS1_25segmented_radix_sort_implINS0_14default_configELb1EPKfPfPKlPlN2at6native12_GLOBAL__N_18offset_tEEE10hipError_tPvRmT1_PNSt15iterator_traitsISY_E10value_typeET2_T3_PNSZ_IS14_E10value_typeET4_jRbjT5_S1A_jjP12ihipStream_tbEUljE_EEESV_SW_SX_S14_S18_S1A_T6_T7_T9_mT8_S1C_bDpT10_ENKUlT_T0_E_clISt17integral_constantIbLb1EES1O_IbLb0EEEEDaS1K_S1L_EUlS1K_E_NS1_11comp_targetILNS1_3genE9ELNS1_11target_archE1100ELNS1_3gpuE3ELNS1_3repE0EEENS1_30default_config_static_selectorELNS0_4arch9wavefront6targetE0EEEvSY_,comdat
.Lfunc_end1307:
	.size	_ZN7rocprim17ROCPRIM_400000_NS6detail17trampoline_kernelINS0_13select_configILj256ELj13ELNS0_17block_load_methodE3ELS4_3ELS4_3ELNS0_20block_scan_algorithmE0ELj4294967295EEENS1_25partition_config_selectorILNS1_17partition_subalgoE3EjNS0_10empty_typeEbEEZZNS1_14partition_implILS8_3ELb0ES6_jNS0_17counting_iteratorIjlEEPS9_SE_NS0_5tupleIJPjSE_EEENSF_IJSE_SE_EEES9_SG_JZNS1_25segmented_radix_sort_implINS0_14default_configELb1EPKfPfPKlPlN2at6native12_GLOBAL__N_18offset_tEEE10hipError_tPvRmT1_PNSt15iterator_traitsISY_E10value_typeET2_T3_PNSZ_IS14_E10value_typeET4_jRbjT5_S1A_jjP12ihipStream_tbEUljE_EEESV_SW_SX_S14_S18_S1A_T6_T7_T9_mT8_S1C_bDpT10_ENKUlT_T0_E_clISt17integral_constantIbLb1EES1O_IbLb0EEEEDaS1K_S1L_EUlS1K_E_NS1_11comp_targetILNS1_3genE9ELNS1_11target_archE1100ELNS1_3gpuE3ELNS1_3repE0EEENS1_30default_config_static_selectorELNS0_4arch9wavefront6targetE0EEEvSY_, .Lfunc_end1307-_ZN7rocprim17ROCPRIM_400000_NS6detail17trampoline_kernelINS0_13select_configILj256ELj13ELNS0_17block_load_methodE3ELS4_3ELS4_3ELNS0_20block_scan_algorithmE0ELj4294967295EEENS1_25partition_config_selectorILNS1_17partition_subalgoE3EjNS0_10empty_typeEbEEZZNS1_14partition_implILS8_3ELb0ES6_jNS0_17counting_iteratorIjlEEPS9_SE_NS0_5tupleIJPjSE_EEENSF_IJSE_SE_EEES9_SG_JZNS1_25segmented_radix_sort_implINS0_14default_configELb1EPKfPfPKlPlN2at6native12_GLOBAL__N_18offset_tEEE10hipError_tPvRmT1_PNSt15iterator_traitsISY_E10value_typeET2_T3_PNSZ_IS14_E10value_typeET4_jRbjT5_S1A_jjP12ihipStream_tbEUljE_EEESV_SW_SX_S14_S18_S1A_T6_T7_T9_mT8_S1C_bDpT10_ENKUlT_T0_E_clISt17integral_constantIbLb1EES1O_IbLb0EEEEDaS1K_S1L_EUlS1K_E_NS1_11comp_targetILNS1_3genE9ELNS1_11target_archE1100ELNS1_3gpuE3ELNS1_3repE0EEENS1_30default_config_static_selectorELNS0_4arch9wavefront6targetE0EEEvSY_
                                        ; -- End function
	.set _ZN7rocprim17ROCPRIM_400000_NS6detail17trampoline_kernelINS0_13select_configILj256ELj13ELNS0_17block_load_methodE3ELS4_3ELS4_3ELNS0_20block_scan_algorithmE0ELj4294967295EEENS1_25partition_config_selectorILNS1_17partition_subalgoE3EjNS0_10empty_typeEbEEZZNS1_14partition_implILS8_3ELb0ES6_jNS0_17counting_iteratorIjlEEPS9_SE_NS0_5tupleIJPjSE_EEENSF_IJSE_SE_EEES9_SG_JZNS1_25segmented_radix_sort_implINS0_14default_configELb1EPKfPfPKlPlN2at6native12_GLOBAL__N_18offset_tEEE10hipError_tPvRmT1_PNSt15iterator_traitsISY_E10value_typeET2_T3_PNSZ_IS14_E10value_typeET4_jRbjT5_S1A_jjP12ihipStream_tbEUljE_EEESV_SW_SX_S14_S18_S1A_T6_T7_T9_mT8_S1C_bDpT10_ENKUlT_T0_E_clISt17integral_constantIbLb1EES1O_IbLb0EEEEDaS1K_S1L_EUlS1K_E_NS1_11comp_targetILNS1_3genE9ELNS1_11target_archE1100ELNS1_3gpuE3ELNS1_3repE0EEENS1_30default_config_static_selectorELNS0_4arch9wavefront6targetE0EEEvSY_.num_vgpr, 0
	.set _ZN7rocprim17ROCPRIM_400000_NS6detail17trampoline_kernelINS0_13select_configILj256ELj13ELNS0_17block_load_methodE3ELS4_3ELS4_3ELNS0_20block_scan_algorithmE0ELj4294967295EEENS1_25partition_config_selectorILNS1_17partition_subalgoE3EjNS0_10empty_typeEbEEZZNS1_14partition_implILS8_3ELb0ES6_jNS0_17counting_iteratorIjlEEPS9_SE_NS0_5tupleIJPjSE_EEENSF_IJSE_SE_EEES9_SG_JZNS1_25segmented_radix_sort_implINS0_14default_configELb1EPKfPfPKlPlN2at6native12_GLOBAL__N_18offset_tEEE10hipError_tPvRmT1_PNSt15iterator_traitsISY_E10value_typeET2_T3_PNSZ_IS14_E10value_typeET4_jRbjT5_S1A_jjP12ihipStream_tbEUljE_EEESV_SW_SX_S14_S18_S1A_T6_T7_T9_mT8_S1C_bDpT10_ENKUlT_T0_E_clISt17integral_constantIbLb1EES1O_IbLb0EEEEDaS1K_S1L_EUlS1K_E_NS1_11comp_targetILNS1_3genE9ELNS1_11target_archE1100ELNS1_3gpuE3ELNS1_3repE0EEENS1_30default_config_static_selectorELNS0_4arch9wavefront6targetE0EEEvSY_.num_agpr, 0
	.set _ZN7rocprim17ROCPRIM_400000_NS6detail17trampoline_kernelINS0_13select_configILj256ELj13ELNS0_17block_load_methodE3ELS4_3ELS4_3ELNS0_20block_scan_algorithmE0ELj4294967295EEENS1_25partition_config_selectorILNS1_17partition_subalgoE3EjNS0_10empty_typeEbEEZZNS1_14partition_implILS8_3ELb0ES6_jNS0_17counting_iteratorIjlEEPS9_SE_NS0_5tupleIJPjSE_EEENSF_IJSE_SE_EEES9_SG_JZNS1_25segmented_radix_sort_implINS0_14default_configELb1EPKfPfPKlPlN2at6native12_GLOBAL__N_18offset_tEEE10hipError_tPvRmT1_PNSt15iterator_traitsISY_E10value_typeET2_T3_PNSZ_IS14_E10value_typeET4_jRbjT5_S1A_jjP12ihipStream_tbEUljE_EEESV_SW_SX_S14_S18_S1A_T6_T7_T9_mT8_S1C_bDpT10_ENKUlT_T0_E_clISt17integral_constantIbLb1EES1O_IbLb0EEEEDaS1K_S1L_EUlS1K_E_NS1_11comp_targetILNS1_3genE9ELNS1_11target_archE1100ELNS1_3gpuE3ELNS1_3repE0EEENS1_30default_config_static_selectorELNS0_4arch9wavefront6targetE0EEEvSY_.numbered_sgpr, 0
	.set _ZN7rocprim17ROCPRIM_400000_NS6detail17trampoline_kernelINS0_13select_configILj256ELj13ELNS0_17block_load_methodE3ELS4_3ELS4_3ELNS0_20block_scan_algorithmE0ELj4294967295EEENS1_25partition_config_selectorILNS1_17partition_subalgoE3EjNS0_10empty_typeEbEEZZNS1_14partition_implILS8_3ELb0ES6_jNS0_17counting_iteratorIjlEEPS9_SE_NS0_5tupleIJPjSE_EEENSF_IJSE_SE_EEES9_SG_JZNS1_25segmented_radix_sort_implINS0_14default_configELb1EPKfPfPKlPlN2at6native12_GLOBAL__N_18offset_tEEE10hipError_tPvRmT1_PNSt15iterator_traitsISY_E10value_typeET2_T3_PNSZ_IS14_E10value_typeET4_jRbjT5_S1A_jjP12ihipStream_tbEUljE_EEESV_SW_SX_S14_S18_S1A_T6_T7_T9_mT8_S1C_bDpT10_ENKUlT_T0_E_clISt17integral_constantIbLb1EES1O_IbLb0EEEEDaS1K_S1L_EUlS1K_E_NS1_11comp_targetILNS1_3genE9ELNS1_11target_archE1100ELNS1_3gpuE3ELNS1_3repE0EEENS1_30default_config_static_selectorELNS0_4arch9wavefront6targetE0EEEvSY_.num_named_barrier, 0
	.set _ZN7rocprim17ROCPRIM_400000_NS6detail17trampoline_kernelINS0_13select_configILj256ELj13ELNS0_17block_load_methodE3ELS4_3ELS4_3ELNS0_20block_scan_algorithmE0ELj4294967295EEENS1_25partition_config_selectorILNS1_17partition_subalgoE3EjNS0_10empty_typeEbEEZZNS1_14partition_implILS8_3ELb0ES6_jNS0_17counting_iteratorIjlEEPS9_SE_NS0_5tupleIJPjSE_EEENSF_IJSE_SE_EEES9_SG_JZNS1_25segmented_radix_sort_implINS0_14default_configELb1EPKfPfPKlPlN2at6native12_GLOBAL__N_18offset_tEEE10hipError_tPvRmT1_PNSt15iterator_traitsISY_E10value_typeET2_T3_PNSZ_IS14_E10value_typeET4_jRbjT5_S1A_jjP12ihipStream_tbEUljE_EEESV_SW_SX_S14_S18_S1A_T6_T7_T9_mT8_S1C_bDpT10_ENKUlT_T0_E_clISt17integral_constantIbLb1EES1O_IbLb0EEEEDaS1K_S1L_EUlS1K_E_NS1_11comp_targetILNS1_3genE9ELNS1_11target_archE1100ELNS1_3gpuE3ELNS1_3repE0EEENS1_30default_config_static_selectorELNS0_4arch9wavefront6targetE0EEEvSY_.private_seg_size, 0
	.set _ZN7rocprim17ROCPRIM_400000_NS6detail17trampoline_kernelINS0_13select_configILj256ELj13ELNS0_17block_load_methodE3ELS4_3ELS4_3ELNS0_20block_scan_algorithmE0ELj4294967295EEENS1_25partition_config_selectorILNS1_17partition_subalgoE3EjNS0_10empty_typeEbEEZZNS1_14partition_implILS8_3ELb0ES6_jNS0_17counting_iteratorIjlEEPS9_SE_NS0_5tupleIJPjSE_EEENSF_IJSE_SE_EEES9_SG_JZNS1_25segmented_radix_sort_implINS0_14default_configELb1EPKfPfPKlPlN2at6native12_GLOBAL__N_18offset_tEEE10hipError_tPvRmT1_PNSt15iterator_traitsISY_E10value_typeET2_T3_PNSZ_IS14_E10value_typeET4_jRbjT5_S1A_jjP12ihipStream_tbEUljE_EEESV_SW_SX_S14_S18_S1A_T6_T7_T9_mT8_S1C_bDpT10_ENKUlT_T0_E_clISt17integral_constantIbLb1EES1O_IbLb0EEEEDaS1K_S1L_EUlS1K_E_NS1_11comp_targetILNS1_3genE9ELNS1_11target_archE1100ELNS1_3gpuE3ELNS1_3repE0EEENS1_30default_config_static_selectorELNS0_4arch9wavefront6targetE0EEEvSY_.uses_vcc, 0
	.set _ZN7rocprim17ROCPRIM_400000_NS6detail17trampoline_kernelINS0_13select_configILj256ELj13ELNS0_17block_load_methodE3ELS4_3ELS4_3ELNS0_20block_scan_algorithmE0ELj4294967295EEENS1_25partition_config_selectorILNS1_17partition_subalgoE3EjNS0_10empty_typeEbEEZZNS1_14partition_implILS8_3ELb0ES6_jNS0_17counting_iteratorIjlEEPS9_SE_NS0_5tupleIJPjSE_EEENSF_IJSE_SE_EEES9_SG_JZNS1_25segmented_radix_sort_implINS0_14default_configELb1EPKfPfPKlPlN2at6native12_GLOBAL__N_18offset_tEEE10hipError_tPvRmT1_PNSt15iterator_traitsISY_E10value_typeET2_T3_PNSZ_IS14_E10value_typeET4_jRbjT5_S1A_jjP12ihipStream_tbEUljE_EEESV_SW_SX_S14_S18_S1A_T6_T7_T9_mT8_S1C_bDpT10_ENKUlT_T0_E_clISt17integral_constantIbLb1EES1O_IbLb0EEEEDaS1K_S1L_EUlS1K_E_NS1_11comp_targetILNS1_3genE9ELNS1_11target_archE1100ELNS1_3gpuE3ELNS1_3repE0EEENS1_30default_config_static_selectorELNS0_4arch9wavefront6targetE0EEEvSY_.uses_flat_scratch, 0
	.set _ZN7rocprim17ROCPRIM_400000_NS6detail17trampoline_kernelINS0_13select_configILj256ELj13ELNS0_17block_load_methodE3ELS4_3ELS4_3ELNS0_20block_scan_algorithmE0ELj4294967295EEENS1_25partition_config_selectorILNS1_17partition_subalgoE3EjNS0_10empty_typeEbEEZZNS1_14partition_implILS8_3ELb0ES6_jNS0_17counting_iteratorIjlEEPS9_SE_NS0_5tupleIJPjSE_EEENSF_IJSE_SE_EEES9_SG_JZNS1_25segmented_radix_sort_implINS0_14default_configELb1EPKfPfPKlPlN2at6native12_GLOBAL__N_18offset_tEEE10hipError_tPvRmT1_PNSt15iterator_traitsISY_E10value_typeET2_T3_PNSZ_IS14_E10value_typeET4_jRbjT5_S1A_jjP12ihipStream_tbEUljE_EEESV_SW_SX_S14_S18_S1A_T6_T7_T9_mT8_S1C_bDpT10_ENKUlT_T0_E_clISt17integral_constantIbLb1EES1O_IbLb0EEEEDaS1K_S1L_EUlS1K_E_NS1_11comp_targetILNS1_3genE9ELNS1_11target_archE1100ELNS1_3gpuE3ELNS1_3repE0EEENS1_30default_config_static_selectorELNS0_4arch9wavefront6targetE0EEEvSY_.has_dyn_sized_stack, 0
	.set _ZN7rocprim17ROCPRIM_400000_NS6detail17trampoline_kernelINS0_13select_configILj256ELj13ELNS0_17block_load_methodE3ELS4_3ELS4_3ELNS0_20block_scan_algorithmE0ELj4294967295EEENS1_25partition_config_selectorILNS1_17partition_subalgoE3EjNS0_10empty_typeEbEEZZNS1_14partition_implILS8_3ELb0ES6_jNS0_17counting_iteratorIjlEEPS9_SE_NS0_5tupleIJPjSE_EEENSF_IJSE_SE_EEES9_SG_JZNS1_25segmented_radix_sort_implINS0_14default_configELb1EPKfPfPKlPlN2at6native12_GLOBAL__N_18offset_tEEE10hipError_tPvRmT1_PNSt15iterator_traitsISY_E10value_typeET2_T3_PNSZ_IS14_E10value_typeET4_jRbjT5_S1A_jjP12ihipStream_tbEUljE_EEESV_SW_SX_S14_S18_S1A_T6_T7_T9_mT8_S1C_bDpT10_ENKUlT_T0_E_clISt17integral_constantIbLb1EES1O_IbLb0EEEEDaS1K_S1L_EUlS1K_E_NS1_11comp_targetILNS1_3genE9ELNS1_11target_archE1100ELNS1_3gpuE3ELNS1_3repE0EEENS1_30default_config_static_selectorELNS0_4arch9wavefront6targetE0EEEvSY_.has_recursion, 0
	.set _ZN7rocprim17ROCPRIM_400000_NS6detail17trampoline_kernelINS0_13select_configILj256ELj13ELNS0_17block_load_methodE3ELS4_3ELS4_3ELNS0_20block_scan_algorithmE0ELj4294967295EEENS1_25partition_config_selectorILNS1_17partition_subalgoE3EjNS0_10empty_typeEbEEZZNS1_14partition_implILS8_3ELb0ES6_jNS0_17counting_iteratorIjlEEPS9_SE_NS0_5tupleIJPjSE_EEENSF_IJSE_SE_EEES9_SG_JZNS1_25segmented_radix_sort_implINS0_14default_configELb1EPKfPfPKlPlN2at6native12_GLOBAL__N_18offset_tEEE10hipError_tPvRmT1_PNSt15iterator_traitsISY_E10value_typeET2_T3_PNSZ_IS14_E10value_typeET4_jRbjT5_S1A_jjP12ihipStream_tbEUljE_EEESV_SW_SX_S14_S18_S1A_T6_T7_T9_mT8_S1C_bDpT10_ENKUlT_T0_E_clISt17integral_constantIbLb1EES1O_IbLb0EEEEDaS1K_S1L_EUlS1K_E_NS1_11comp_targetILNS1_3genE9ELNS1_11target_archE1100ELNS1_3gpuE3ELNS1_3repE0EEENS1_30default_config_static_selectorELNS0_4arch9wavefront6targetE0EEEvSY_.has_indirect_call, 0
	.section	.AMDGPU.csdata,"",@progbits
; Kernel info:
; codeLenInByte = 0
; TotalNumSgprs: 0
; NumVgprs: 0
; ScratchSize: 0
; MemoryBound: 0
; FloatMode: 240
; IeeeMode: 1
; LDSByteSize: 0 bytes/workgroup (compile time only)
; SGPRBlocks: 0
; VGPRBlocks: 0
; NumSGPRsForWavesPerEU: 1
; NumVGPRsForWavesPerEU: 1
; Occupancy: 16
; WaveLimiterHint : 0
; COMPUTE_PGM_RSRC2:SCRATCH_EN: 0
; COMPUTE_PGM_RSRC2:USER_SGPR: 6
; COMPUTE_PGM_RSRC2:TRAP_HANDLER: 0
; COMPUTE_PGM_RSRC2:TGID_X_EN: 1
; COMPUTE_PGM_RSRC2:TGID_Y_EN: 0
; COMPUTE_PGM_RSRC2:TGID_Z_EN: 0
; COMPUTE_PGM_RSRC2:TIDIG_COMP_CNT: 0
	.section	.text._ZN7rocprim17ROCPRIM_400000_NS6detail17trampoline_kernelINS0_13select_configILj256ELj13ELNS0_17block_load_methodE3ELS4_3ELS4_3ELNS0_20block_scan_algorithmE0ELj4294967295EEENS1_25partition_config_selectorILNS1_17partition_subalgoE3EjNS0_10empty_typeEbEEZZNS1_14partition_implILS8_3ELb0ES6_jNS0_17counting_iteratorIjlEEPS9_SE_NS0_5tupleIJPjSE_EEENSF_IJSE_SE_EEES9_SG_JZNS1_25segmented_radix_sort_implINS0_14default_configELb1EPKfPfPKlPlN2at6native12_GLOBAL__N_18offset_tEEE10hipError_tPvRmT1_PNSt15iterator_traitsISY_E10value_typeET2_T3_PNSZ_IS14_E10value_typeET4_jRbjT5_S1A_jjP12ihipStream_tbEUljE_EEESV_SW_SX_S14_S18_S1A_T6_T7_T9_mT8_S1C_bDpT10_ENKUlT_T0_E_clISt17integral_constantIbLb1EES1O_IbLb0EEEEDaS1K_S1L_EUlS1K_E_NS1_11comp_targetILNS1_3genE8ELNS1_11target_archE1030ELNS1_3gpuE2ELNS1_3repE0EEENS1_30default_config_static_selectorELNS0_4arch9wavefront6targetE0EEEvSY_,"axG",@progbits,_ZN7rocprim17ROCPRIM_400000_NS6detail17trampoline_kernelINS0_13select_configILj256ELj13ELNS0_17block_load_methodE3ELS4_3ELS4_3ELNS0_20block_scan_algorithmE0ELj4294967295EEENS1_25partition_config_selectorILNS1_17partition_subalgoE3EjNS0_10empty_typeEbEEZZNS1_14partition_implILS8_3ELb0ES6_jNS0_17counting_iteratorIjlEEPS9_SE_NS0_5tupleIJPjSE_EEENSF_IJSE_SE_EEES9_SG_JZNS1_25segmented_radix_sort_implINS0_14default_configELb1EPKfPfPKlPlN2at6native12_GLOBAL__N_18offset_tEEE10hipError_tPvRmT1_PNSt15iterator_traitsISY_E10value_typeET2_T3_PNSZ_IS14_E10value_typeET4_jRbjT5_S1A_jjP12ihipStream_tbEUljE_EEESV_SW_SX_S14_S18_S1A_T6_T7_T9_mT8_S1C_bDpT10_ENKUlT_T0_E_clISt17integral_constantIbLb1EES1O_IbLb0EEEEDaS1K_S1L_EUlS1K_E_NS1_11comp_targetILNS1_3genE8ELNS1_11target_archE1030ELNS1_3gpuE2ELNS1_3repE0EEENS1_30default_config_static_selectorELNS0_4arch9wavefront6targetE0EEEvSY_,comdat
	.globl	_ZN7rocprim17ROCPRIM_400000_NS6detail17trampoline_kernelINS0_13select_configILj256ELj13ELNS0_17block_load_methodE3ELS4_3ELS4_3ELNS0_20block_scan_algorithmE0ELj4294967295EEENS1_25partition_config_selectorILNS1_17partition_subalgoE3EjNS0_10empty_typeEbEEZZNS1_14partition_implILS8_3ELb0ES6_jNS0_17counting_iteratorIjlEEPS9_SE_NS0_5tupleIJPjSE_EEENSF_IJSE_SE_EEES9_SG_JZNS1_25segmented_radix_sort_implINS0_14default_configELb1EPKfPfPKlPlN2at6native12_GLOBAL__N_18offset_tEEE10hipError_tPvRmT1_PNSt15iterator_traitsISY_E10value_typeET2_T3_PNSZ_IS14_E10value_typeET4_jRbjT5_S1A_jjP12ihipStream_tbEUljE_EEESV_SW_SX_S14_S18_S1A_T6_T7_T9_mT8_S1C_bDpT10_ENKUlT_T0_E_clISt17integral_constantIbLb1EES1O_IbLb0EEEEDaS1K_S1L_EUlS1K_E_NS1_11comp_targetILNS1_3genE8ELNS1_11target_archE1030ELNS1_3gpuE2ELNS1_3repE0EEENS1_30default_config_static_selectorELNS0_4arch9wavefront6targetE0EEEvSY_ ; -- Begin function _ZN7rocprim17ROCPRIM_400000_NS6detail17trampoline_kernelINS0_13select_configILj256ELj13ELNS0_17block_load_methodE3ELS4_3ELS4_3ELNS0_20block_scan_algorithmE0ELj4294967295EEENS1_25partition_config_selectorILNS1_17partition_subalgoE3EjNS0_10empty_typeEbEEZZNS1_14partition_implILS8_3ELb0ES6_jNS0_17counting_iteratorIjlEEPS9_SE_NS0_5tupleIJPjSE_EEENSF_IJSE_SE_EEES9_SG_JZNS1_25segmented_radix_sort_implINS0_14default_configELb1EPKfPfPKlPlN2at6native12_GLOBAL__N_18offset_tEEE10hipError_tPvRmT1_PNSt15iterator_traitsISY_E10value_typeET2_T3_PNSZ_IS14_E10value_typeET4_jRbjT5_S1A_jjP12ihipStream_tbEUljE_EEESV_SW_SX_S14_S18_S1A_T6_T7_T9_mT8_S1C_bDpT10_ENKUlT_T0_E_clISt17integral_constantIbLb1EES1O_IbLb0EEEEDaS1K_S1L_EUlS1K_E_NS1_11comp_targetILNS1_3genE8ELNS1_11target_archE1030ELNS1_3gpuE2ELNS1_3repE0EEENS1_30default_config_static_selectorELNS0_4arch9wavefront6targetE0EEEvSY_
	.p2align	8
	.type	_ZN7rocprim17ROCPRIM_400000_NS6detail17trampoline_kernelINS0_13select_configILj256ELj13ELNS0_17block_load_methodE3ELS4_3ELS4_3ELNS0_20block_scan_algorithmE0ELj4294967295EEENS1_25partition_config_selectorILNS1_17partition_subalgoE3EjNS0_10empty_typeEbEEZZNS1_14partition_implILS8_3ELb0ES6_jNS0_17counting_iteratorIjlEEPS9_SE_NS0_5tupleIJPjSE_EEENSF_IJSE_SE_EEES9_SG_JZNS1_25segmented_radix_sort_implINS0_14default_configELb1EPKfPfPKlPlN2at6native12_GLOBAL__N_18offset_tEEE10hipError_tPvRmT1_PNSt15iterator_traitsISY_E10value_typeET2_T3_PNSZ_IS14_E10value_typeET4_jRbjT5_S1A_jjP12ihipStream_tbEUljE_EEESV_SW_SX_S14_S18_S1A_T6_T7_T9_mT8_S1C_bDpT10_ENKUlT_T0_E_clISt17integral_constantIbLb1EES1O_IbLb0EEEEDaS1K_S1L_EUlS1K_E_NS1_11comp_targetILNS1_3genE8ELNS1_11target_archE1030ELNS1_3gpuE2ELNS1_3repE0EEENS1_30default_config_static_selectorELNS0_4arch9wavefront6targetE0EEEvSY_,@function
_ZN7rocprim17ROCPRIM_400000_NS6detail17trampoline_kernelINS0_13select_configILj256ELj13ELNS0_17block_load_methodE3ELS4_3ELS4_3ELNS0_20block_scan_algorithmE0ELj4294967295EEENS1_25partition_config_selectorILNS1_17partition_subalgoE3EjNS0_10empty_typeEbEEZZNS1_14partition_implILS8_3ELb0ES6_jNS0_17counting_iteratorIjlEEPS9_SE_NS0_5tupleIJPjSE_EEENSF_IJSE_SE_EEES9_SG_JZNS1_25segmented_radix_sort_implINS0_14default_configELb1EPKfPfPKlPlN2at6native12_GLOBAL__N_18offset_tEEE10hipError_tPvRmT1_PNSt15iterator_traitsISY_E10value_typeET2_T3_PNSZ_IS14_E10value_typeET4_jRbjT5_S1A_jjP12ihipStream_tbEUljE_EEESV_SW_SX_S14_S18_S1A_T6_T7_T9_mT8_S1C_bDpT10_ENKUlT_T0_E_clISt17integral_constantIbLb1EES1O_IbLb0EEEEDaS1K_S1L_EUlS1K_E_NS1_11comp_targetILNS1_3genE8ELNS1_11target_archE1030ELNS1_3gpuE2ELNS1_3repE0EEENS1_30default_config_static_selectorELNS0_4arch9wavefront6targetE0EEEvSY_: ; @_ZN7rocprim17ROCPRIM_400000_NS6detail17trampoline_kernelINS0_13select_configILj256ELj13ELNS0_17block_load_methodE3ELS4_3ELS4_3ELNS0_20block_scan_algorithmE0ELj4294967295EEENS1_25partition_config_selectorILNS1_17partition_subalgoE3EjNS0_10empty_typeEbEEZZNS1_14partition_implILS8_3ELb0ES6_jNS0_17counting_iteratorIjlEEPS9_SE_NS0_5tupleIJPjSE_EEENSF_IJSE_SE_EEES9_SG_JZNS1_25segmented_radix_sort_implINS0_14default_configELb1EPKfPfPKlPlN2at6native12_GLOBAL__N_18offset_tEEE10hipError_tPvRmT1_PNSt15iterator_traitsISY_E10value_typeET2_T3_PNSZ_IS14_E10value_typeET4_jRbjT5_S1A_jjP12ihipStream_tbEUljE_EEESV_SW_SX_S14_S18_S1A_T6_T7_T9_mT8_S1C_bDpT10_ENKUlT_T0_E_clISt17integral_constantIbLb1EES1O_IbLb0EEEEDaS1K_S1L_EUlS1K_E_NS1_11comp_targetILNS1_3genE8ELNS1_11target_archE1030ELNS1_3gpuE2ELNS1_3repE0EEENS1_30default_config_static_selectorELNS0_4arch9wavefront6targetE0EEEvSY_
; %bb.0:
	s_endpgm
	.section	.rodata,"a",@progbits
	.p2align	6, 0x0
	.amdhsa_kernel _ZN7rocprim17ROCPRIM_400000_NS6detail17trampoline_kernelINS0_13select_configILj256ELj13ELNS0_17block_load_methodE3ELS4_3ELS4_3ELNS0_20block_scan_algorithmE0ELj4294967295EEENS1_25partition_config_selectorILNS1_17partition_subalgoE3EjNS0_10empty_typeEbEEZZNS1_14partition_implILS8_3ELb0ES6_jNS0_17counting_iteratorIjlEEPS9_SE_NS0_5tupleIJPjSE_EEENSF_IJSE_SE_EEES9_SG_JZNS1_25segmented_radix_sort_implINS0_14default_configELb1EPKfPfPKlPlN2at6native12_GLOBAL__N_18offset_tEEE10hipError_tPvRmT1_PNSt15iterator_traitsISY_E10value_typeET2_T3_PNSZ_IS14_E10value_typeET4_jRbjT5_S1A_jjP12ihipStream_tbEUljE_EEESV_SW_SX_S14_S18_S1A_T6_T7_T9_mT8_S1C_bDpT10_ENKUlT_T0_E_clISt17integral_constantIbLb1EES1O_IbLb0EEEEDaS1K_S1L_EUlS1K_E_NS1_11comp_targetILNS1_3genE8ELNS1_11target_archE1030ELNS1_3gpuE2ELNS1_3repE0EEENS1_30default_config_static_selectorELNS0_4arch9wavefront6targetE0EEEvSY_
		.amdhsa_group_segment_fixed_size 0
		.amdhsa_private_segment_fixed_size 0
		.amdhsa_kernarg_size 144
		.amdhsa_user_sgpr_count 6
		.amdhsa_user_sgpr_private_segment_buffer 1
		.amdhsa_user_sgpr_dispatch_ptr 0
		.amdhsa_user_sgpr_queue_ptr 0
		.amdhsa_user_sgpr_kernarg_segment_ptr 1
		.amdhsa_user_sgpr_dispatch_id 0
		.amdhsa_user_sgpr_flat_scratch_init 0
		.amdhsa_user_sgpr_private_segment_size 0
		.amdhsa_wavefront_size32 1
		.amdhsa_uses_dynamic_stack 0
		.amdhsa_system_sgpr_private_segment_wavefront_offset 0
		.amdhsa_system_sgpr_workgroup_id_x 1
		.amdhsa_system_sgpr_workgroup_id_y 0
		.amdhsa_system_sgpr_workgroup_id_z 0
		.amdhsa_system_sgpr_workgroup_info 0
		.amdhsa_system_vgpr_workitem_id 0
		.amdhsa_next_free_vgpr 1
		.amdhsa_next_free_sgpr 1
		.amdhsa_reserve_vcc 0
		.amdhsa_reserve_flat_scratch 0
		.amdhsa_float_round_mode_32 0
		.amdhsa_float_round_mode_16_64 0
		.amdhsa_float_denorm_mode_32 3
		.amdhsa_float_denorm_mode_16_64 3
		.amdhsa_dx10_clamp 1
		.amdhsa_ieee_mode 1
		.amdhsa_fp16_overflow 0
		.amdhsa_workgroup_processor_mode 1
		.amdhsa_memory_ordered 1
		.amdhsa_forward_progress 1
		.amdhsa_shared_vgpr_count 0
		.amdhsa_exception_fp_ieee_invalid_op 0
		.amdhsa_exception_fp_denorm_src 0
		.amdhsa_exception_fp_ieee_div_zero 0
		.amdhsa_exception_fp_ieee_overflow 0
		.amdhsa_exception_fp_ieee_underflow 0
		.amdhsa_exception_fp_ieee_inexact 0
		.amdhsa_exception_int_div_zero 0
	.end_amdhsa_kernel
	.section	.text._ZN7rocprim17ROCPRIM_400000_NS6detail17trampoline_kernelINS0_13select_configILj256ELj13ELNS0_17block_load_methodE3ELS4_3ELS4_3ELNS0_20block_scan_algorithmE0ELj4294967295EEENS1_25partition_config_selectorILNS1_17partition_subalgoE3EjNS0_10empty_typeEbEEZZNS1_14partition_implILS8_3ELb0ES6_jNS0_17counting_iteratorIjlEEPS9_SE_NS0_5tupleIJPjSE_EEENSF_IJSE_SE_EEES9_SG_JZNS1_25segmented_radix_sort_implINS0_14default_configELb1EPKfPfPKlPlN2at6native12_GLOBAL__N_18offset_tEEE10hipError_tPvRmT1_PNSt15iterator_traitsISY_E10value_typeET2_T3_PNSZ_IS14_E10value_typeET4_jRbjT5_S1A_jjP12ihipStream_tbEUljE_EEESV_SW_SX_S14_S18_S1A_T6_T7_T9_mT8_S1C_bDpT10_ENKUlT_T0_E_clISt17integral_constantIbLb1EES1O_IbLb0EEEEDaS1K_S1L_EUlS1K_E_NS1_11comp_targetILNS1_3genE8ELNS1_11target_archE1030ELNS1_3gpuE2ELNS1_3repE0EEENS1_30default_config_static_selectorELNS0_4arch9wavefront6targetE0EEEvSY_,"axG",@progbits,_ZN7rocprim17ROCPRIM_400000_NS6detail17trampoline_kernelINS0_13select_configILj256ELj13ELNS0_17block_load_methodE3ELS4_3ELS4_3ELNS0_20block_scan_algorithmE0ELj4294967295EEENS1_25partition_config_selectorILNS1_17partition_subalgoE3EjNS0_10empty_typeEbEEZZNS1_14partition_implILS8_3ELb0ES6_jNS0_17counting_iteratorIjlEEPS9_SE_NS0_5tupleIJPjSE_EEENSF_IJSE_SE_EEES9_SG_JZNS1_25segmented_radix_sort_implINS0_14default_configELb1EPKfPfPKlPlN2at6native12_GLOBAL__N_18offset_tEEE10hipError_tPvRmT1_PNSt15iterator_traitsISY_E10value_typeET2_T3_PNSZ_IS14_E10value_typeET4_jRbjT5_S1A_jjP12ihipStream_tbEUljE_EEESV_SW_SX_S14_S18_S1A_T6_T7_T9_mT8_S1C_bDpT10_ENKUlT_T0_E_clISt17integral_constantIbLb1EES1O_IbLb0EEEEDaS1K_S1L_EUlS1K_E_NS1_11comp_targetILNS1_3genE8ELNS1_11target_archE1030ELNS1_3gpuE2ELNS1_3repE0EEENS1_30default_config_static_selectorELNS0_4arch9wavefront6targetE0EEEvSY_,comdat
.Lfunc_end1308:
	.size	_ZN7rocprim17ROCPRIM_400000_NS6detail17trampoline_kernelINS0_13select_configILj256ELj13ELNS0_17block_load_methodE3ELS4_3ELS4_3ELNS0_20block_scan_algorithmE0ELj4294967295EEENS1_25partition_config_selectorILNS1_17partition_subalgoE3EjNS0_10empty_typeEbEEZZNS1_14partition_implILS8_3ELb0ES6_jNS0_17counting_iteratorIjlEEPS9_SE_NS0_5tupleIJPjSE_EEENSF_IJSE_SE_EEES9_SG_JZNS1_25segmented_radix_sort_implINS0_14default_configELb1EPKfPfPKlPlN2at6native12_GLOBAL__N_18offset_tEEE10hipError_tPvRmT1_PNSt15iterator_traitsISY_E10value_typeET2_T3_PNSZ_IS14_E10value_typeET4_jRbjT5_S1A_jjP12ihipStream_tbEUljE_EEESV_SW_SX_S14_S18_S1A_T6_T7_T9_mT8_S1C_bDpT10_ENKUlT_T0_E_clISt17integral_constantIbLb1EES1O_IbLb0EEEEDaS1K_S1L_EUlS1K_E_NS1_11comp_targetILNS1_3genE8ELNS1_11target_archE1030ELNS1_3gpuE2ELNS1_3repE0EEENS1_30default_config_static_selectorELNS0_4arch9wavefront6targetE0EEEvSY_, .Lfunc_end1308-_ZN7rocprim17ROCPRIM_400000_NS6detail17trampoline_kernelINS0_13select_configILj256ELj13ELNS0_17block_load_methodE3ELS4_3ELS4_3ELNS0_20block_scan_algorithmE0ELj4294967295EEENS1_25partition_config_selectorILNS1_17partition_subalgoE3EjNS0_10empty_typeEbEEZZNS1_14partition_implILS8_3ELb0ES6_jNS0_17counting_iteratorIjlEEPS9_SE_NS0_5tupleIJPjSE_EEENSF_IJSE_SE_EEES9_SG_JZNS1_25segmented_radix_sort_implINS0_14default_configELb1EPKfPfPKlPlN2at6native12_GLOBAL__N_18offset_tEEE10hipError_tPvRmT1_PNSt15iterator_traitsISY_E10value_typeET2_T3_PNSZ_IS14_E10value_typeET4_jRbjT5_S1A_jjP12ihipStream_tbEUljE_EEESV_SW_SX_S14_S18_S1A_T6_T7_T9_mT8_S1C_bDpT10_ENKUlT_T0_E_clISt17integral_constantIbLb1EES1O_IbLb0EEEEDaS1K_S1L_EUlS1K_E_NS1_11comp_targetILNS1_3genE8ELNS1_11target_archE1030ELNS1_3gpuE2ELNS1_3repE0EEENS1_30default_config_static_selectorELNS0_4arch9wavefront6targetE0EEEvSY_
                                        ; -- End function
	.set _ZN7rocprim17ROCPRIM_400000_NS6detail17trampoline_kernelINS0_13select_configILj256ELj13ELNS0_17block_load_methodE3ELS4_3ELS4_3ELNS0_20block_scan_algorithmE0ELj4294967295EEENS1_25partition_config_selectorILNS1_17partition_subalgoE3EjNS0_10empty_typeEbEEZZNS1_14partition_implILS8_3ELb0ES6_jNS0_17counting_iteratorIjlEEPS9_SE_NS0_5tupleIJPjSE_EEENSF_IJSE_SE_EEES9_SG_JZNS1_25segmented_radix_sort_implINS0_14default_configELb1EPKfPfPKlPlN2at6native12_GLOBAL__N_18offset_tEEE10hipError_tPvRmT1_PNSt15iterator_traitsISY_E10value_typeET2_T3_PNSZ_IS14_E10value_typeET4_jRbjT5_S1A_jjP12ihipStream_tbEUljE_EEESV_SW_SX_S14_S18_S1A_T6_T7_T9_mT8_S1C_bDpT10_ENKUlT_T0_E_clISt17integral_constantIbLb1EES1O_IbLb0EEEEDaS1K_S1L_EUlS1K_E_NS1_11comp_targetILNS1_3genE8ELNS1_11target_archE1030ELNS1_3gpuE2ELNS1_3repE0EEENS1_30default_config_static_selectorELNS0_4arch9wavefront6targetE0EEEvSY_.num_vgpr, 0
	.set _ZN7rocprim17ROCPRIM_400000_NS6detail17trampoline_kernelINS0_13select_configILj256ELj13ELNS0_17block_load_methodE3ELS4_3ELS4_3ELNS0_20block_scan_algorithmE0ELj4294967295EEENS1_25partition_config_selectorILNS1_17partition_subalgoE3EjNS0_10empty_typeEbEEZZNS1_14partition_implILS8_3ELb0ES6_jNS0_17counting_iteratorIjlEEPS9_SE_NS0_5tupleIJPjSE_EEENSF_IJSE_SE_EEES9_SG_JZNS1_25segmented_radix_sort_implINS0_14default_configELb1EPKfPfPKlPlN2at6native12_GLOBAL__N_18offset_tEEE10hipError_tPvRmT1_PNSt15iterator_traitsISY_E10value_typeET2_T3_PNSZ_IS14_E10value_typeET4_jRbjT5_S1A_jjP12ihipStream_tbEUljE_EEESV_SW_SX_S14_S18_S1A_T6_T7_T9_mT8_S1C_bDpT10_ENKUlT_T0_E_clISt17integral_constantIbLb1EES1O_IbLb0EEEEDaS1K_S1L_EUlS1K_E_NS1_11comp_targetILNS1_3genE8ELNS1_11target_archE1030ELNS1_3gpuE2ELNS1_3repE0EEENS1_30default_config_static_selectorELNS0_4arch9wavefront6targetE0EEEvSY_.num_agpr, 0
	.set _ZN7rocprim17ROCPRIM_400000_NS6detail17trampoline_kernelINS0_13select_configILj256ELj13ELNS0_17block_load_methodE3ELS4_3ELS4_3ELNS0_20block_scan_algorithmE0ELj4294967295EEENS1_25partition_config_selectorILNS1_17partition_subalgoE3EjNS0_10empty_typeEbEEZZNS1_14partition_implILS8_3ELb0ES6_jNS0_17counting_iteratorIjlEEPS9_SE_NS0_5tupleIJPjSE_EEENSF_IJSE_SE_EEES9_SG_JZNS1_25segmented_radix_sort_implINS0_14default_configELb1EPKfPfPKlPlN2at6native12_GLOBAL__N_18offset_tEEE10hipError_tPvRmT1_PNSt15iterator_traitsISY_E10value_typeET2_T3_PNSZ_IS14_E10value_typeET4_jRbjT5_S1A_jjP12ihipStream_tbEUljE_EEESV_SW_SX_S14_S18_S1A_T6_T7_T9_mT8_S1C_bDpT10_ENKUlT_T0_E_clISt17integral_constantIbLb1EES1O_IbLb0EEEEDaS1K_S1L_EUlS1K_E_NS1_11comp_targetILNS1_3genE8ELNS1_11target_archE1030ELNS1_3gpuE2ELNS1_3repE0EEENS1_30default_config_static_selectorELNS0_4arch9wavefront6targetE0EEEvSY_.numbered_sgpr, 0
	.set _ZN7rocprim17ROCPRIM_400000_NS6detail17trampoline_kernelINS0_13select_configILj256ELj13ELNS0_17block_load_methodE3ELS4_3ELS4_3ELNS0_20block_scan_algorithmE0ELj4294967295EEENS1_25partition_config_selectorILNS1_17partition_subalgoE3EjNS0_10empty_typeEbEEZZNS1_14partition_implILS8_3ELb0ES6_jNS0_17counting_iteratorIjlEEPS9_SE_NS0_5tupleIJPjSE_EEENSF_IJSE_SE_EEES9_SG_JZNS1_25segmented_radix_sort_implINS0_14default_configELb1EPKfPfPKlPlN2at6native12_GLOBAL__N_18offset_tEEE10hipError_tPvRmT1_PNSt15iterator_traitsISY_E10value_typeET2_T3_PNSZ_IS14_E10value_typeET4_jRbjT5_S1A_jjP12ihipStream_tbEUljE_EEESV_SW_SX_S14_S18_S1A_T6_T7_T9_mT8_S1C_bDpT10_ENKUlT_T0_E_clISt17integral_constantIbLb1EES1O_IbLb0EEEEDaS1K_S1L_EUlS1K_E_NS1_11comp_targetILNS1_3genE8ELNS1_11target_archE1030ELNS1_3gpuE2ELNS1_3repE0EEENS1_30default_config_static_selectorELNS0_4arch9wavefront6targetE0EEEvSY_.num_named_barrier, 0
	.set _ZN7rocprim17ROCPRIM_400000_NS6detail17trampoline_kernelINS0_13select_configILj256ELj13ELNS0_17block_load_methodE3ELS4_3ELS4_3ELNS0_20block_scan_algorithmE0ELj4294967295EEENS1_25partition_config_selectorILNS1_17partition_subalgoE3EjNS0_10empty_typeEbEEZZNS1_14partition_implILS8_3ELb0ES6_jNS0_17counting_iteratorIjlEEPS9_SE_NS0_5tupleIJPjSE_EEENSF_IJSE_SE_EEES9_SG_JZNS1_25segmented_radix_sort_implINS0_14default_configELb1EPKfPfPKlPlN2at6native12_GLOBAL__N_18offset_tEEE10hipError_tPvRmT1_PNSt15iterator_traitsISY_E10value_typeET2_T3_PNSZ_IS14_E10value_typeET4_jRbjT5_S1A_jjP12ihipStream_tbEUljE_EEESV_SW_SX_S14_S18_S1A_T6_T7_T9_mT8_S1C_bDpT10_ENKUlT_T0_E_clISt17integral_constantIbLb1EES1O_IbLb0EEEEDaS1K_S1L_EUlS1K_E_NS1_11comp_targetILNS1_3genE8ELNS1_11target_archE1030ELNS1_3gpuE2ELNS1_3repE0EEENS1_30default_config_static_selectorELNS0_4arch9wavefront6targetE0EEEvSY_.private_seg_size, 0
	.set _ZN7rocprim17ROCPRIM_400000_NS6detail17trampoline_kernelINS0_13select_configILj256ELj13ELNS0_17block_load_methodE3ELS4_3ELS4_3ELNS0_20block_scan_algorithmE0ELj4294967295EEENS1_25partition_config_selectorILNS1_17partition_subalgoE3EjNS0_10empty_typeEbEEZZNS1_14partition_implILS8_3ELb0ES6_jNS0_17counting_iteratorIjlEEPS9_SE_NS0_5tupleIJPjSE_EEENSF_IJSE_SE_EEES9_SG_JZNS1_25segmented_radix_sort_implINS0_14default_configELb1EPKfPfPKlPlN2at6native12_GLOBAL__N_18offset_tEEE10hipError_tPvRmT1_PNSt15iterator_traitsISY_E10value_typeET2_T3_PNSZ_IS14_E10value_typeET4_jRbjT5_S1A_jjP12ihipStream_tbEUljE_EEESV_SW_SX_S14_S18_S1A_T6_T7_T9_mT8_S1C_bDpT10_ENKUlT_T0_E_clISt17integral_constantIbLb1EES1O_IbLb0EEEEDaS1K_S1L_EUlS1K_E_NS1_11comp_targetILNS1_3genE8ELNS1_11target_archE1030ELNS1_3gpuE2ELNS1_3repE0EEENS1_30default_config_static_selectorELNS0_4arch9wavefront6targetE0EEEvSY_.uses_vcc, 0
	.set _ZN7rocprim17ROCPRIM_400000_NS6detail17trampoline_kernelINS0_13select_configILj256ELj13ELNS0_17block_load_methodE3ELS4_3ELS4_3ELNS0_20block_scan_algorithmE0ELj4294967295EEENS1_25partition_config_selectorILNS1_17partition_subalgoE3EjNS0_10empty_typeEbEEZZNS1_14partition_implILS8_3ELb0ES6_jNS0_17counting_iteratorIjlEEPS9_SE_NS0_5tupleIJPjSE_EEENSF_IJSE_SE_EEES9_SG_JZNS1_25segmented_radix_sort_implINS0_14default_configELb1EPKfPfPKlPlN2at6native12_GLOBAL__N_18offset_tEEE10hipError_tPvRmT1_PNSt15iterator_traitsISY_E10value_typeET2_T3_PNSZ_IS14_E10value_typeET4_jRbjT5_S1A_jjP12ihipStream_tbEUljE_EEESV_SW_SX_S14_S18_S1A_T6_T7_T9_mT8_S1C_bDpT10_ENKUlT_T0_E_clISt17integral_constantIbLb1EES1O_IbLb0EEEEDaS1K_S1L_EUlS1K_E_NS1_11comp_targetILNS1_3genE8ELNS1_11target_archE1030ELNS1_3gpuE2ELNS1_3repE0EEENS1_30default_config_static_selectorELNS0_4arch9wavefront6targetE0EEEvSY_.uses_flat_scratch, 0
	.set _ZN7rocprim17ROCPRIM_400000_NS6detail17trampoline_kernelINS0_13select_configILj256ELj13ELNS0_17block_load_methodE3ELS4_3ELS4_3ELNS0_20block_scan_algorithmE0ELj4294967295EEENS1_25partition_config_selectorILNS1_17partition_subalgoE3EjNS0_10empty_typeEbEEZZNS1_14partition_implILS8_3ELb0ES6_jNS0_17counting_iteratorIjlEEPS9_SE_NS0_5tupleIJPjSE_EEENSF_IJSE_SE_EEES9_SG_JZNS1_25segmented_radix_sort_implINS0_14default_configELb1EPKfPfPKlPlN2at6native12_GLOBAL__N_18offset_tEEE10hipError_tPvRmT1_PNSt15iterator_traitsISY_E10value_typeET2_T3_PNSZ_IS14_E10value_typeET4_jRbjT5_S1A_jjP12ihipStream_tbEUljE_EEESV_SW_SX_S14_S18_S1A_T6_T7_T9_mT8_S1C_bDpT10_ENKUlT_T0_E_clISt17integral_constantIbLb1EES1O_IbLb0EEEEDaS1K_S1L_EUlS1K_E_NS1_11comp_targetILNS1_3genE8ELNS1_11target_archE1030ELNS1_3gpuE2ELNS1_3repE0EEENS1_30default_config_static_selectorELNS0_4arch9wavefront6targetE0EEEvSY_.has_dyn_sized_stack, 0
	.set _ZN7rocprim17ROCPRIM_400000_NS6detail17trampoline_kernelINS0_13select_configILj256ELj13ELNS0_17block_load_methodE3ELS4_3ELS4_3ELNS0_20block_scan_algorithmE0ELj4294967295EEENS1_25partition_config_selectorILNS1_17partition_subalgoE3EjNS0_10empty_typeEbEEZZNS1_14partition_implILS8_3ELb0ES6_jNS0_17counting_iteratorIjlEEPS9_SE_NS0_5tupleIJPjSE_EEENSF_IJSE_SE_EEES9_SG_JZNS1_25segmented_radix_sort_implINS0_14default_configELb1EPKfPfPKlPlN2at6native12_GLOBAL__N_18offset_tEEE10hipError_tPvRmT1_PNSt15iterator_traitsISY_E10value_typeET2_T3_PNSZ_IS14_E10value_typeET4_jRbjT5_S1A_jjP12ihipStream_tbEUljE_EEESV_SW_SX_S14_S18_S1A_T6_T7_T9_mT8_S1C_bDpT10_ENKUlT_T0_E_clISt17integral_constantIbLb1EES1O_IbLb0EEEEDaS1K_S1L_EUlS1K_E_NS1_11comp_targetILNS1_3genE8ELNS1_11target_archE1030ELNS1_3gpuE2ELNS1_3repE0EEENS1_30default_config_static_selectorELNS0_4arch9wavefront6targetE0EEEvSY_.has_recursion, 0
	.set _ZN7rocprim17ROCPRIM_400000_NS6detail17trampoline_kernelINS0_13select_configILj256ELj13ELNS0_17block_load_methodE3ELS4_3ELS4_3ELNS0_20block_scan_algorithmE0ELj4294967295EEENS1_25partition_config_selectorILNS1_17partition_subalgoE3EjNS0_10empty_typeEbEEZZNS1_14partition_implILS8_3ELb0ES6_jNS0_17counting_iteratorIjlEEPS9_SE_NS0_5tupleIJPjSE_EEENSF_IJSE_SE_EEES9_SG_JZNS1_25segmented_radix_sort_implINS0_14default_configELb1EPKfPfPKlPlN2at6native12_GLOBAL__N_18offset_tEEE10hipError_tPvRmT1_PNSt15iterator_traitsISY_E10value_typeET2_T3_PNSZ_IS14_E10value_typeET4_jRbjT5_S1A_jjP12ihipStream_tbEUljE_EEESV_SW_SX_S14_S18_S1A_T6_T7_T9_mT8_S1C_bDpT10_ENKUlT_T0_E_clISt17integral_constantIbLb1EES1O_IbLb0EEEEDaS1K_S1L_EUlS1K_E_NS1_11comp_targetILNS1_3genE8ELNS1_11target_archE1030ELNS1_3gpuE2ELNS1_3repE0EEENS1_30default_config_static_selectorELNS0_4arch9wavefront6targetE0EEEvSY_.has_indirect_call, 0
	.section	.AMDGPU.csdata,"",@progbits
; Kernel info:
; codeLenInByte = 4
; TotalNumSgprs: 0
; NumVgprs: 0
; ScratchSize: 0
; MemoryBound: 0
; FloatMode: 240
; IeeeMode: 1
; LDSByteSize: 0 bytes/workgroup (compile time only)
; SGPRBlocks: 0
; VGPRBlocks: 0
; NumSGPRsForWavesPerEU: 1
; NumVGPRsForWavesPerEU: 1
; Occupancy: 16
; WaveLimiterHint : 0
; COMPUTE_PGM_RSRC2:SCRATCH_EN: 0
; COMPUTE_PGM_RSRC2:USER_SGPR: 6
; COMPUTE_PGM_RSRC2:TRAP_HANDLER: 0
; COMPUTE_PGM_RSRC2:TGID_X_EN: 1
; COMPUTE_PGM_RSRC2:TGID_Y_EN: 0
; COMPUTE_PGM_RSRC2:TGID_Z_EN: 0
; COMPUTE_PGM_RSRC2:TIDIG_COMP_CNT: 0
	.section	.text._ZN7rocprim17ROCPRIM_400000_NS6detail17trampoline_kernelINS0_13select_configILj256ELj13ELNS0_17block_load_methodE3ELS4_3ELS4_3ELNS0_20block_scan_algorithmE0ELj4294967295EEENS1_25partition_config_selectorILNS1_17partition_subalgoE3EjNS0_10empty_typeEbEEZZNS1_14partition_implILS8_3ELb0ES6_jNS0_17counting_iteratorIjlEEPS9_SE_NS0_5tupleIJPjSE_EEENSF_IJSE_SE_EEES9_SG_JZNS1_25segmented_radix_sort_implINS0_14default_configELb1EPKfPfPKlPlN2at6native12_GLOBAL__N_18offset_tEEE10hipError_tPvRmT1_PNSt15iterator_traitsISY_E10value_typeET2_T3_PNSZ_IS14_E10value_typeET4_jRbjT5_S1A_jjP12ihipStream_tbEUljE_EEESV_SW_SX_S14_S18_S1A_T6_T7_T9_mT8_S1C_bDpT10_ENKUlT_T0_E_clISt17integral_constantIbLb0EES1O_IbLb1EEEEDaS1K_S1L_EUlS1K_E_NS1_11comp_targetILNS1_3genE0ELNS1_11target_archE4294967295ELNS1_3gpuE0ELNS1_3repE0EEENS1_30default_config_static_selectorELNS0_4arch9wavefront6targetE0EEEvSY_,"axG",@progbits,_ZN7rocprim17ROCPRIM_400000_NS6detail17trampoline_kernelINS0_13select_configILj256ELj13ELNS0_17block_load_methodE3ELS4_3ELS4_3ELNS0_20block_scan_algorithmE0ELj4294967295EEENS1_25partition_config_selectorILNS1_17partition_subalgoE3EjNS0_10empty_typeEbEEZZNS1_14partition_implILS8_3ELb0ES6_jNS0_17counting_iteratorIjlEEPS9_SE_NS0_5tupleIJPjSE_EEENSF_IJSE_SE_EEES9_SG_JZNS1_25segmented_radix_sort_implINS0_14default_configELb1EPKfPfPKlPlN2at6native12_GLOBAL__N_18offset_tEEE10hipError_tPvRmT1_PNSt15iterator_traitsISY_E10value_typeET2_T3_PNSZ_IS14_E10value_typeET4_jRbjT5_S1A_jjP12ihipStream_tbEUljE_EEESV_SW_SX_S14_S18_S1A_T6_T7_T9_mT8_S1C_bDpT10_ENKUlT_T0_E_clISt17integral_constantIbLb0EES1O_IbLb1EEEEDaS1K_S1L_EUlS1K_E_NS1_11comp_targetILNS1_3genE0ELNS1_11target_archE4294967295ELNS1_3gpuE0ELNS1_3repE0EEENS1_30default_config_static_selectorELNS0_4arch9wavefront6targetE0EEEvSY_,comdat
	.globl	_ZN7rocprim17ROCPRIM_400000_NS6detail17trampoline_kernelINS0_13select_configILj256ELj13ELNS0_17block_load_methodE3ELS4_3ELS4_3ELNS0_20block_scan_algorithmE0ELj4294967295EEENS1_25partition_config_selectorILNS1_17partition_subalgoE3EjNS0_10empty_typeEbEEZZNS1_14partition_implILS8_3ELb0ES6_jNS0_17counting_iteratorIjlEEPS9_SE_NS0_5tupleIJPjSE_EEENSF_IJSE_SE_EEES9_SG_JZNS1_25segmented_radix_sort_implINS0_14default_configELb1EPKfPfPKlPlN2at6native12_GLOBAL__N_18offset_tEEE10hipError_tPvRmT1_PNSt15iterator_traitsISY_E10value_typeET2_T3_PNSZ_IS14_E10value_typeET4_jRbjT5_S1A_jjP12ihipStream_tbEUljE_EEESV_SW_SX_S14_S18_S1A_T6_T7_T9_mT8_S1C_bDpT10_ENKUlT_T0_E_clISt17integral_constantIbLb0EES1O_IbLb1EEEEDaS1K_S1L_EUlS1K_E_NS1_11comp_targetILNS1_3genE0ELNS1_11target_archE4294967295ELNS1_3gpuE0ELNS1_3repE0EEENS1_30default_config_static_selectorELNS0_4arch9wavefront6targetE0EEEvSY_ ; -- Begin function _ZN7rocprim17ROCPRIM_400000_NS6detail17trampoline_kernelINS0_13select_configILj256ELj13ELNS0_17block_load_methodE3ELS4_3ELS4_3ELNS0_20block_scan_algorithmE0ELj4294967295EEENS1_25partition_config_selectorILNS1_17partition_subalgoE3EjNS0_10empty_typeEbEEZZNS1_14partition_implILS8_3ELb0ES6_jNS0_17counting_iteratorIjlEEPS9_SE_NS0_5tupleIJPjSE_EEENSF_IJSE_SE_EEES9_SG_JZNS1_25segmented_radix_sort_implINS0_14default_configELb1EPKfPfPKlPlN2at6native12_GLOBAL__N_18offset_tEEE10hipError_tPvRmT1_PNSt15iterator_traitsISY_E10value_typeET2_T3_PNSZ_IS14_E10value_typeET4_jRbjT5_S1A_jjP12ihipStream_tbEUljE_EEESV_SW_SX_S14_S18_S1A_T6_T7_T9_mT8_S1C_bDpT10_ENKUlT_T0_E_clISt17integral_constantIbLb0EES1O_IbLb1EEEEDaS1K_S1L_EUlS1K_E_NS1_11comp_targetILNS1_3genE0ELNS1_11target_archE4294967295ELNS1_3gpuE0ELNS1_3repE0EEENS1_30default_config_static_selectorELNS0_4arch9wavefront6targetE0EEEvSY_
	.p2align	8
	.type	_ZN7rocprim17ROCPRIM_400000_NS6detail17trampoline_kernelINS0_13select_configILj256ELj13ELNS0_17block_load_methodE3ELS4_3ELS4_3ELNS0_20block_scan_algorithmE0ELj4294967295EEENS1_25partition_config_selectorILNS1_17partition_subalgoE3EjNS0_10empty_typeEbEEZZNS1_14partition_implILS8_3ELb0ES6_jNS0_17counting_iteratorIjlEEPS9_SE_NS0_5tupleIJPjSE_EEENSF_IJSE_SE_EEES9_SG_JZNS1_25segmented_radix_sort_implINS0_14default_configELb1EPKfPfPKlPlN2at6native12_GLOBAL__N_18offset_tEEE10hipError_tPvRmT1_PNSt15iterator_traitsISY_E10value_typeET2_T3_PNSZ_IS14_E10value_typeET4_jRbjT5_S1A_jjP12ihipStream_tbEUljE_EEESV_SW_SX_S14_S18_S1A_T6_T7_T9_mT8_S1C_bDpT10_ENKUlT_T0_E_clISt17integral_constantIbLb0EES1O_IbLb1EEEEDaS1K_S1L_EUlS1K_E_NS1_11comp_targetILNS1_3genE0ELNS1_11target_archE4294967295ELNS1_3gpuE0ELNS1_3repE0EEENS1_30default_config_static_selectorELNS0_4arch9wavefront6targetE0EEEvSY_,@function
_ZN7rocprim17ROCPRIM_400000_NS6detail17trampoline_kernelINS0_13select_configILj256ELj13ELNS0_17block_load_methodE3ELS4_3ELS4_3ELNS0_20block_scan_algorithmE0ELj4294967295EEENS1_25partition_config_selectorILNS1_17partition_subalgoE3EjNS0_10empty_typeEbEEZZNS1_14partition_implILS8_3ELb0ES6_jNS0_17counting_iteratorIjlEEPS9_SE_NS0_5tupleIJPjSE_EEENSF_IJSE_SE_EEES9_SG_JZNS1_25segmented_radix_sort_implINS0_14default_configELb1EPKfPfPKlPlN2at6native12_GLOBAL__N_18offset_tEEE10hipError_tPvRmT1_PNSt15iterator_traitsISY_E10value_typeET2_T3_PNSZ_IS14_E10value_typeET4_jRbjT5_S1A_jjP12ihipStream_tbEUljE_EEESV_SW_SX_S14_S18_S1A_T6_T7_T9_mT8_S1C_bDpT10_ENKUlT_T0_E_clISt17integral_constantIbLb0EES1O_IbLb1EEEEDaS1K_S1L_EUlS1K_E_NS1_11comp_targetILNS1_3genE0ELNS1_11target_archE4294967295ELNS1_3gpuE0ELNS1_3repE0EEENS1_30default_config_static_selectorELNS0_4arch9wavefront6targetE0EEEvSY_: ; @_ZN7rocprim17ROCPRIM_400000_NS6detail17trampoline_kernelINS0_13select_configILj256ELj13ELNS0_17block_load_methodE3ELS4_3ELS4_3ELNS0_20block_scan_algorithmE0ELj4294967295EEENS1_25partition_config_selectorILNS1_17partition_subalgoE3EjNS0_10empty_typeEbEEZZNS1_14partition_implILS8_3ELb0ES6_jNS0_17counting_iteratorIjlEEPS9_SE_NS0_5tupleIJPjSE_EEENSF_IJSE_SE_EEES9_SG_JZNS1_25segmented_radix_sort_implINS0_14default_configELb1EPKfPfPKlPlN2at6native12_GLOBAL__N_18offset_tEEE10hipError_tPvRmT1_PNSt15iterator_traitsISY_E10value_typeET2_T3_PNSZ_IS14_E10value_typeET4_jRbjT5_S1A_jjP12ihipStream_tbEUljE_EEESV_SW_SX_S14_S18_S1A_T6_T7_T9_mT8_S1C_bDpT10_ENKUlT_T0_E_clISt17integral_constantIbLb0EES1O_IbLb1EEEEDaS1K_S1L_EUlS1K_E_NS1_11comp_targetILNS1_3genE0ELNS1_11target_archE4294967295ELNS1_3gpuE0ELNS1_3repE0EEENS1_30default_config_static_selectorELNS0_4arch9wavefront6targetE0EEEvSY_
; %bb.0:
	.section	.rodata,"a",@progbits
	.p2align	6, 0x0
	.amdhsa_kernel _ZN7rocprim17ROCPRIM_400000_NS6detail17trampoline_kernelINS0_13select_configILj256ELj13ELNS0_17block_load_methodE3ELS4_3ELS4_3ELNS0_20block_scan_algorithmE0ELj4294967295EEENS1_25partition_config_selectorILNS1_17partition_subalgoE3EjNS0_10empty_typeEbEEZZNS1_14partition_implILS8_3ELb0ES6_jNS0_17counting_iteratorIjlEEPS9_SE_NS0_5tupleIJPjSE_EEENSF_IJSE_SE_EEES9_SG_JZNS1_25segmented_radix_sort_implINS0_14default_configELb1EPKfPfPKlPlN2at6native12_GLOBAL__N_18offset_tEEE10hipError_tPvRmT1_PNSt15iterator_traitsISY_E10value_typeET2_T3_PNSZ_IS14_E10value_typeET4_jRbjT5_S1A_jjP12ihipStream_tbEUljE_EEESV_SW_SX_S14_S18_S1A_T6_T7_T9_mT8_S1C_bDpT10_ENKUlT_T0_E_clISt17integral_constantIbLb0EES1O_IbLb1EEEEDaS1K_S1L_EUlS1K_E_NS1_11comp_targetILNS1_3genE0ELNS1_11target_archE4294967295ELNS1_3gpuE0ELNS1_3repE0EEENS1_30default_config_static_selectorELNS0_4arch9wavefront6targetE0EEEvSY_
		.amdhsa_group_segment_fixed_size 0
		.amdhsa_private_segment_fixed_size 0
		.amdhsa_kernarg_size 152
		.amdhsa_user_sgpr_count 6
		.amdhsa_user_sgpr_private_segment_buffer 1
		.amdhsa_user_sgpr_dispatch_ptr 0
		.amdhsa_user_sgpr_queue_ptr 0
		.amdhsa_user_sgpr_kernarg_segment_ptr 1
		.amdhsa_user_sgpr_dispatch_id 0
		.amdhsa_user_sgpr_flat_scratch_init 0
		.amdhsa_user_sgpr_private_segment_size 0
		.amdhsa_wavefront_size32 1
		.amdhsa_uses_dynamic_stack 0
		.amdhsa_system_sgpr_private_segment_wavefront_offset 0
		.amdhsa_system_sgpr_workgroup_id_x 1
		.amdhsa_system_sgpr_workgroup_id_y 0
		.amdhsa_system_sgpr_workgroup_id_z 0
		.amdhsa_system_sgpr_workgroup_info 0
		.amdhsa_system_vgpr_workitem_id 0
		.amdhsa_next_free_vgpr 1
		.amdhsa_next_free_sgpr 1
		.amdhsa_reserve_vcc 0
		.amdhsa_reserve_flat_scratch 0
		.amdhsa_float_round_mode_32 0
		.amdhsa_float_round_mode_16_64 0
		.amdhsa_float_denorm_mode_32 3
		.amdhsa_float_denorm_mode_16_64 3
		.amdhsa_dx10_clamp 1
		.amdhsa_ieee_mode 1
		.amdhsa_fp16_overflow 0
		.amdhsa_workgroup_processor_mode 1
		.amdhsa_memory_ordered 1
		.amdhsa_forward_progress 1
		.amdhsa_shared_vgpr_count 0
		.amdhsa_exception_fp_ieee_invalid_op 0
		.amdhsa_exception_fp_denorm_src 0
		.amdhsa_exception_fp_ieee_div_zero 0
		.amdhsa_exception_fp_ieee_overflow 0
		.amdhsa_exception_fp_ieee_underflow 0
		.amdhsa_exception_fp_ieee_inexact 0
		.amdhsa_exception_int_div_zero 0
	.end_amdhsa_kernel
	.section	.text._ZN7rocprim17ROCPRIM_400000_NS6detail17trampoline_kernelINS0_13select_configILj256ELj13ELNS0_17block_load_methodE3ELS4_3ELS4_3ELNS0_20block_scan_algorithmE0ELj4294967295EEENS1_25partition_config_selectorILNS1_17partition_subalgoE3EjNS0_10empty_typeEbEEZZNS1_14partition_implILS8_3ELb0ES6_jNS0_17counting_iteratorIjlEEPS9_SE_NS0_5tupleIJPjSE_EEENSF_IJSE_SE_EEES9_SG_JZNS1_25segmented_radix_sort_implINS0_14default_configELb1EPKfPfPKlPlN2at6native12_GLOBAL__N_18offset_tEEE10hipError_tPvRmT1_PNSt15iterator_traitsISY_E10value_typeET2_T3_PNSZ_IS14_E10value_typeET4_jRbjT5_S1A_jjP12ihipStream_tbEUljE_EEESV_SW_SX_S14_S18_S1A_T6_T7_T9_mT8_S1C_bDpT10_ENKUlT_T0_E_clISt17integral_constantIbLb0EES1O_IbLb1EEEEDaS1K_S1L_EUlS1K_E_NS1_11comp_targetILNS1_3genE0ELNS1_11target_archE4294967295ELNS1_3gpuE0ELNS1_3repE0EEENS1_30default_config_static_selectorELNS0_4arch9wavefront6targetE0EEEvSY_,"axG",@progbits,_ZN7rocprim17ROCPRIM_400000_NS6detail17trampoline_kernelINS0_13select_configILj256ELj13ELNS0_17block_load_methodE3ELS4_3ELS4_3ELNS0_20block_scan_algorithmE0ELj4294967295EEENS1_25partition_config_selectorILNS1_17partition_subalgoE3EjNS0_10empty_typeEbEEZZNS1_14partition_implILS8_3ELb0ES6_jNS0_17counting_iteratorIjlEEPS9_SE_NS0_5tupleIJPjSE_EEENSF_IJSE_SE_EEES9_SG_JZNS1_25segmented_radix_sort_implINS0_14default_configELb1EPKfPfPKlPlN2at6native12_GLOBAL__N_18offset_tEEE10hipError_tPvRmT1_PNSt15iterator_traitsISY_E10value_typeET2_T3_PNSZ_IS14_E10value_typeET4_jRbjT5_S1A_jjP12ihipStream_tbEUljE_EEESV_SW_SX_S14_S18_S1A_T6_T7_T9_mT8_S1C_bDpT10_ENKUlT_T0_E_clISt17integral_constantIbLb0EES1O_IbLb1EEEEDaS1K_S1L_EUlS1K_E_NS1_11comp_targetILNS1_3genE0ELNS1_11target_archE4294967295ELNS1_3gpuE0ELNS1_3repE0EEENS1_30default_config_static_selectorELNS0_4arch9wavefront6targetE0EEEvSY_,comdat
.Lfunc_end1309:
	.size	_ZN7rocprim17ROCPRIM_400000_NS6detail17trampoline_kernelINS0_13select_configILj256ELj13ELNS0_17block_load_methodE3ELS4_3ELS4_3ELNS0_20block_scan_algorithmE0ELj4294967295EEENS1_25partition_config_selectorILNS1_17partition_subalgoE3EjNS0_10empty_typeEbEEZZNS1_14partition_implILS8_3ELb0ES6_jNS0_17counting_iteratorIjlEEPS9_SE_NS0_5tupleIJPjSE_EEENSF_IJSE_SE_EEES9_SG_JZNS1_25segmented_radix_sort_implINS0_14default_configELb1EPKfPfPKlPlN2at6native12_GLOBAL__N_18offset_tEEE10hipError_tPvRmT1_PNSt15iterator_traitsISY_E10value_typeET2_T3_PNSZ_IS14_E10value_typeET4_jRbjT5_S1A_jjP12ihipStream_tbEUljE_EEESV_SW_SX_S14_S18_S1A_T6_T7_T9_mT8_S1C_bDpT10_ENKUlT_T0_E_clISt17integral_constantIbLb0EES1O_IbLb1EEEEDaS1K_S1L_EUlS1K_E_NS1_11comp_targetILNS1_3genE0ELNS1_11target_archE4294967295ELNS1_3gpuE0ELNS1_3repE0EEENS1_30default_config_static_selectorELNS0_4arch9wavefront6targetE0EEEvSY_, .Lfunc_end1309-_ZN7rocprim17ROCPRIM_400000_NS6detail17trampoline_kernelINS0_13select_configILj256ELj13ELNS0_17block_load_methodE3ELS4_3ELS4_3ELNS0_20block_scan_algorithmE0ELj4294967295EEENS1_25partition_config_selectorILNS1_17partition_subalgoE3EjNS0_10empty_typeEbEEZZNS1_14partition_implILS8_3ELb0ES6_jNS0_17counting_iteratorIjlEEPS9_SE_NS0_5tupleIJPjSE_EEENSF_IJSE_SE_EEES9_SG_JZNS1_25segmented_radix_sort_implINS0_14default_configELb1EPKfPfPKlPlN2at6native12_GLOBAL__N_18offset_tEEE10hipError_tPvRmT1_PNSt15iterator_traitsISY_E10value_typeET2_T3_PNSZ_IS14_E10value_typeET4_jRbjT5_S1A_jjP12ihipStream_tbEUljE_EEESV_SW_SX_S14_S18_S1A_T6_T7_T9_mT8_S1C_bDpT10_ENKUlT_T0_E_clISt17integral_constantIbLb0EES1O_IbLb1EEEEDaS1K_S1L_EUlS1K_E_NS1_11comp_targetILNS1_3genE0ELNS1_11target_archE4294967295ELNS1_3gpuE0ELNS1_3repE0EEENS1_30default_config_static_selectorELNS0_4arch9wavefront6targetE0EEEvSY_
                                        ; -- End function
	.set _ZN7rocprim17ROCPRIM_400000_NS6detail17trampoline_kernelINS0_13select_configILj256ELj13ELNS0_17block_load_methodE3ELS4_3ELS4_3ELNS0_20block_scan_algorithmE0ELj4294967295EEENS1_25partition_config_selectorILNS1_17partition_subalgoE3EjNS0_10empty_typeEbEEZZNS1_14partition_implILS8_3ELb0ES6_jNS0_17counting_iteratorIjlEEPS9_SE_NS0_5tupleIJPjSE_EEENSF_IJSE_SE_EEES9_SG_JZNS1_25segmented_radix_sort_implINS0_14default_configELb1EPKfPfPKlPlN2at6native12_GLOBAL__N_18offset_tEEE10hipError_tPvRmT1_PNSt15iterator_traitsISY_E10value_typeET2_T3_PNSZ_IS14_E10value_typeET4_jRbjT5_S1A_jjP12ihipStream_tbEUljE_EEESV_SW_SX_S14_S18_S1A_T6_T7_T9_mT8_S1C_bDpT10_ENKUlT_T0_E_clISt17integral_constantIbLb0EES1O_IbLb1EEEEDaS1K_S1L_EUlS1K_E_NS1_11comp_targetILNS1_3genE0ELNS1_11target_archE4294967295ELNS1_3gpuE0ELNS1_3repE0EEENS1_30default_config_static_selectorELNS0_4arch9wavefront6targetE0EEEvSY_.num_vgpr, 0
	.set _ZN7rocprim17ROCPRIM_400000_NS6detail17trampoline_kernelINS0_13select_configILj256ELj13ELNS0_17block_load_methodE3ELS4_3ELS4_3ELNS0_20block_scan_algorithmE0ELj4294967295EEENS1_25partition_config_selectorILNS1_17partition_subalgoE3EjNS0_10empty_typeEbEEZZNS1_14partition_implILS8_3ELb0ES6_jNS0_17counting_iteratorIjlEEPS9_SE_NS0_5tupleIJPjSE_EEENSF_IJSE_SE_EEES9_SG_JZNS1_25segmented_radix_sort_implINS0_14default_configELb1EPKfPfPKlPlN2at6native12_GLOBAL__N_18offset_tEEE10hipError_tPvRmT1_PNSt15iterator_traitsISY_E10value_typeET2_T3_PNSZ_IS14_E10value_typeET4_jRbjT5_S1A_jjP12ihipStream_tbEUljE_EEESV_SW_SX_S14_S18_S1A_T6_T7_T9_mT8_S1C_bDpT10_ENKUlT_T0_E_clISt17integral_constantIbLb0EES1O_IbLb1EEEEDaS1K_S1L_EUlS1K_E_NS1_11comp_targetILNS1_3genE0ELNS1_11target_archE4294967295ELNS1_3gpuE0ELNS1_3repE0EEENS1_30default_config_static_selectorELNS0_4arch9wavefront6targetE0EEEvSY_.num_agpr, 0
	.set _ZN7rocprim17ROCPRIM_400000_NS6detail17trampoline_kernelINS0_13select_configILj256ELj13ELNS0_17block_load_methodE3ELS4_3ELS4_3ELNS0_20block_scan_algorithmE0ELj4294967295EEENS1_25partition_config_selectorILNS1_17partition_subalgoE3EjNS0_10empty_typeEbEEZZNS1_14partition_implILS8_3ELb0ES6_jNS0_17counting_iteratorIjlEEPS9_SE_NS0_5tupleIJPjSE_EEENSF_IJSE_SE_EEES9_SG_JZNS1_25segmented_radix_sort_implINS0_14default_configELb1EPKfPfPKlPlN2at6native12_GLOBAL__N_18offset_tEEE10hipError_tPvRmT1_PNSt15iterator_traitsISY_E10value_typeET2_T3_PNSZ_IS14_E10value_typeET4_jRbjT5_S1A_jjP12ihipStream_tbEUljE_EEESV_SW_SX_S14_S18_S1A_T6_T7_T9_mT8_S1C_bDpT10_ENKUlT_T0_E_clISt17integral_constantIbLb0EES1O_IbLb1EEEEDaS1K_S1L_EUlS1K_E_NS1_11comp_targetILNS1_3genE0ELNS1_11target_archE4294967295ELNS1_3gpuE0ELNS1_3repE0EEENS1_30default_config_static_selectorELNS0_4arch9wavefront6targetE0EEEvSY_.numbered_sgpr, 0
	.set _ZN7rocprim17ROCPRIM_400000_NS6detail17trampoline_kernelINS0_13select_configILj256ELj13ELNS0_17block_load_methodE3ELS4_3ELS4_3ELNS0_20block_scan_algorithmE0ELj4294967295EEENS1_25partition_config_selectorILNS1_17partition_subalgoE3EjNS0_10empty_typeEbEEZZNS1_14partition_implILS8_3ELb0ES6_jNS0_17counting_iteratorIjlEEPS9_SE_NS0_5tupleIJPjSE_EEENSF_IJSE_SE_EEES9_SG_JZNS1_25segmented_radix_sort_implINS0_14default_configELb1EPKfPfPKlPlN2at6native12_GLOBAL__N_18offset_tEEE10hipError_tPvRmT1_PNSt15iterator_traitsISY_E10value_typeET2_T3_PNSZ_IS14_E10value_typeET4_jRbjT5_S1A_jjP12ihipStream_tbEUljE_EEESV_SW_SX_S14_S18_S1A_T6_T7_T9_mT8_S1C_bDpT10_ENKUlT_T0_E_clISt17integral_constantIbLb0EES1O_IbLb1EEEEDaS1K_S1L_EUlS1K_E_NS1_11comp_targetILNS1_3genE0ELNS1_11target_archE4294967295ELNS1_3gpuE0ELNS1_3repE0EEENS1_30default_config_static_selectorELNS0_4arch9wavefront6targetE0EEEvSY_.num_named_barrier, 0
	.set _ZN7rocprim17ROCPRIM_400000_NS6detail17trampoline_kernelINS0_13select_configILj256ELj13ELNS0_17block_load_methodE3ELS4_3ELS4_3ELNS0_20block_scan_algorithmE0ELj4294967295EEENS1_25partition_config_selectorILNS1_17partition_subalgoE3EjNS0_10empty_typeEbEEZZNS1_14partition_implILS8_3ELb0ES6_jNS0_17counting_iteratorIjlEEPS9_SE_NS0_5tupleIJPjSE_EEENSF_IJSE_SE_EEES9_SG_JZNS1_25segmented_radix_sort_implINS0_14default_configELb1EPKfPfPKlPlN2at6native12_GLOBAL__N_18offset_tEEE10hipError_tPvRmT1_PNSt15iterator_traitsISY_E10value_typeET2_T3_PNSZ_IS14_E10value_typeET4_jRbjT5_S1A_jjP12ihipStream_tbEUljE_EEESV_SW_SX_S14_S18_S1A_T6_T7_T9_mT8_S1C_bDpT10_ENKUlT_T0_E_clISt17integral_constantIbLb0EES1O_IbLb1EEEEDaS1K_S1L_EUlS1K_E_NS1_11comp_targetILNS1_3genE0ELNS1_11target_archE4294967295ELNS1_3gpuE0ELNS1_3repE0EEENS1_30default_config_static_selectorELNS0_4arch9wavefront6targetE0EEEvSY_.private_seg_size, 0
	.set _ZN7rocprim17ROCPRIM_400000_NS6detail17trampoline_kernelINS0_13select_configILj256ELj13ELNS0_17block_load_methodE3ELS4_3ELS4_3ELNS0_20block_scan_algorithmE0ELj4294967295EEENS1_25partition_config_selectorILNS1_17partition_subalgoE3EjNS0_10empty_typeEbEEZZNS1_14partition_implILS8_3ELb0ES6_jNS0_17counting_iteratorIjlEEPS9_SE_NS0_5tupleIJPjSE_EEENSF_IJSE_SE_EEES9_SG_JZNS1_25segmented_radix_sort_implINS0_14default_configELb1EPKfPfPKlPlN2at6native12_GLOBAL__N_18offset_tEEE10hipError_tPvRmT1_PNSt15iterator_traitsISY_E10value_typeET2_T3_PNSZ_IS14_E10value_typeET4_jRbjT5_S1A_jjP12ihipStream_tbEUljE_EEESV_SW_SX_S14_S18_S1A_T6_T7_T9_mT8_S1C_bDpT10_ENKUlT_T0_E_clISt17integral_constantIbLb0EES1O_IbLb1EEEEDaS1K_S1L_EUlS1K_E_NS1_11comp_targetILNS1_3genE0ELNS1_11target_archE4294967295ELNS1_3gpuE0ELNS1_3repE0EEENS1_30default_config_static_selectorELNS0_4arch9wavefront6targetE0EEEvSY_.uses_vcc, 0
	.set _ZN7rocprim17ROCPRIM_400000_NS6detail17trampoline_kernelINS0_13select_configILj256ELj13ELNS0_17block_load_methodE3ELS4_3ELS4_3ELNS0_20block_scan_algorithmE0ELj4294967295EEENS1_25partition_config_selectorILNS1_17partition_subalgoE3EjNS0_10empty_typeEbEEZZNS1_14partition_implILS8_3ELb0ES6_jNS0_17counting_iteratorIjlEEPS9_SE_NS0_5tupleIJPjSE_EEENSF_IJSE_SE_EEES9_SG_JZNS1_25segmented_radix_sort_implINS0_14default_configELb1EPKfPfPKlPlN2at6native12_GLOBAL__N_18offset_tEEE10hipError_tPvRmT1_PNSt15iterator_traitsISY_E10value_typeET2_T3_PNSZ_IS14_E10value_typeET4_jRbjT5_S1A_jjP12ihipStream_tbEUljE_EEESV_SW_SX_S14_S18_S1A_T6_T7_T9_mT8_S1C_bDpT10_ENKUlT_T0_E_clISt17integral_constantIbLb0EES1O_IbLb1EEEEDaS1K_S1L_EUlS1K_E_NS1_11comp_targetILNS1_3genE0ELNS1_11target_archE4294967295ELNS1_3gpuE0ELNS1_3repE0EEENS1_30default_config_static_selectorELNS0_4arch9wavefront6targetE0EEEvSY_.uses_flat_scratch, 0
	.set _ZN7rocprim17ROCPRIM_400000_NS6detail17trampoline_kernelINS0_13select_configILj256ELj13ELNS0_17block_load_methodE3ELS4_3ELS4_3ELNS0_20block_scan_algorithmE0ELj4294967295EEENS1_25partition_config_selectorILNS1_17partition_subalgoE3EjNS0_10empty_typeEbEEZZNS1_14partition_implILS8_3ELb0ES6_jNS0_17counting_iteratorIjlEEPS9_SE_NS0_5tupleIJPjSE_EEENSF_IJSE_SE_EEES9_SG_JZNS1_25segmented_radix_sort_implINS0_14default_configELb1EPKfPfPKlPlN2at6native12_GLOBAL__N_18offset_tEEE10hipError_tPvRmT1_PNSt15iterator_traitsISY_E10value_typeET2_T3_PNSZ_IS14_E10value_typeET4_jRbjT5_S1A_jjP12ihipStream_tbEUljE_EEESV_SW_SX_S14_S18_S1A_T6_T7_T9_mT8_S1C_bDpT10_ENKUlT_T0_E_clISt17integral_constantIbLb0EES1O_IbLb1EEEEDaS1K_S1L_EUlS1K_E_NS1_11comp_targetILNS1_3genE0ELNS1_11target_archE4294967295ELNS1_3gpuE0ELNS1_3repE0EEENS1_30default_config_static_selectorELNS0_4arch9wavefront6targetE0EEEvSY_.has_dyn_sized_stack, 0
	.set _ZN7rocprim17ROCPRIM_400000_NS6detail17trampoline_kernelINS0_13select_configILj256ELj13ELNS0_17block_load_methodE3ELS4_3ELS4_3ELNS0_20block_scan_algorithmE0ELj4294967295EEENS1_25partition_config_selectorILNS1_17partition_subalgoE3EjNS0_10empty_typeEbEEZZNS1_14partition_implILS8_3ELb0ES6_jNS0_17counting_iteratorIjlEEPS9_SE_NS0_5tupleIJPjSE_EEENSF_IJSE_SE_EEES9_SG_JZNS1_25segmented_radix_sort_implINS0_14default_configELb1EPKfPfPKlPlN2at6native12_GLOBAL__N_18offset_tEEE10hipError_tPvRmT1_PNSt15iterator_traitsISY_E10value_typeET2_T3_PNSZ_IS14_E10value_typeET4_jRbjT5_S1A_jjP12ihipStream_tbEUljE_EEESV_SW_SX_S14_S18_S1A_T6_T7_T9_mT8_S1C_bDpT10_ENKUlT_T0_E_clISt17integral_constantIbLb0EES1O_IbLb1EEEEDaS1K_S1L_EUlS1K_E_NS1_11comp_targetILNS1_3genE0ELNS1_11target_archE4294967295ELNS1_3gpuE0ELNS1_3repE0EEENS1_30default_config_static_selectorELNS0_4arch9wavefront6targetE0EEEvSY_.has_recursion, 0
	.set _ZN7rocprim17ROCPRIM_400000_NS6detail17trampoline_kernelINS0_13select_configILj256ELj13ELNS0_17block_load_methodE3ELS4_3ELS4_3ELNS0_20block_scan_algorithmE0ELj4294967295EEENS1_25partition_config_selectorILNS1_17partition_subalgoE3EjNS0_10empty_typeEbEEZZNS1_14partition_implILS8_3ELb0ES6_jNS0_17counting_iteratorIjlEEPS9_SE_NS0_5tupleIJPjSE_EEENSF_IJSE_SE_EEES9_SG_JZNS1_25segmented_radix_sort_implINS0_14default_configELb1EPKfPfPKlPlN2at6native12_GLOBAL__N_18offset_tEEE10hipError_tPvRmT1_PNSt15iterator_traitsISY_E10value_typeET2_T3_PNSZ_IS14_E10value_typeET4_jRbjT5_S1A_jjP12ihipStream_tbEUljE_EEESV_SW_SX_S14_S18_S1A_T6_T7_T9_mT8_S1C_bDpT10_ENKUlT_T0_E_clISt17integral_constantIbLb0EES1O_IbLb1EEEEDaS1K_S1L_EUlS1K_E_NS1_11comp_targetILNS1_3genE0ELNS1_11target_archE4294967295ELNS1_3gpuE0ELNS1_3repE0EEENS1_30default_config_static_selectorELNS0_4arch9wavefront6targetE0EEEvSY_.has_indirect_call, 0
	.section	.AMDGPU.csdata,"",@progbits
; Kernel info:
; codeLenInByte = 0
; TotalNumSgprs: 0
; NumVgprs: 0
; ScratchSize: 0
; MemoryBound: 0
; FloatMode: 240
; IeeeMode: 1
; LDSByteSize: 0 bytes/workgroup (compile time only)
; SGPRBlocks: 0
; VGPRBlocks: 0
; NumSGPRsForWavesPerEU: 1
; NumVGPRsForWavesPerEU: 1
; Occupancy: 16
; WaveLimiterHint : 0
; COMPUTE_PGM_RSRC2:SCRATCH_EN: 0
; COMPUTE_PGM_RSRC2:USER_SGPR: 6
; COMPUTE_PGM_RSRC2:TRAP_HANDLER: 0
; COMPUTE_PGM_RSRC2:TGID_X_EN: 1
; COMPUTE_PGM_RSRC2:TGID_Y_EN: 0
; COMPUTE_PGM_RSRC2:TGID_Z_EN: 0
; COMPUTE_PGM_RSRC2:TIDIG_COMP_CNT: 0
	.section	.text._ZN7rocprim17ROCPRIM_400000_NS6detail17trampoline_kernelINS0_13select_configILj256ELj13ELNS0_17block_load_methodE3ELS4_3ELS4_3ELNS0_20block_scan_algorithmE0ELj4294967295EEENS1_25partition_config_selectorILNS1_17partition_subalgoE3EjNS0_10empty_typeEbEEZZNS1_14partition_implILS8_3ELb0ES6_jNS0_17counting_iteratorIjlEEPS9_SE_NS0_5tupleIJPjSE_EEENSF_IJSE_SE_EEES9_SG_JZNS1_25segmented_radix_sort_implINS0_14default_configELb1EPKfPfPKlPlN2at6native12_GLOBAL__N_18offset_tEEE10hipError_tPvRmT1_PNSt15iterator_traitsISY_E10value_typeET2_T3_PNSZ_IS14_E10value_typeET4_jRbjT5_S1A_jjP12ihipStream_tbEUljE_EEESV_SW_SX_S14_S18_S1A_T6_T7_T9_mT8_S1C_bDpT10_ENKUlT_T0_E_clISt17integral_constantIbLb0EES1O_IbLb1EEEEDaS1K_S1L_EUlS1K_E_NS1_11comp_targetILNS1_3genE5ELNS1_11target_archE942ELNS1_3gpuE9ELNS1_3repE0EEENS1_30default_config_static_selectorELNS0_4arch9wavefront6targetE0EEEvSY_,"axG",@progbits,_ZN7rocprim17ROCPRIM_400000_NS6detail17trampoline_kernelINS0_13select_configILj256ELj13ELNS0_17block_load_methodE3ELS4_3ELS4_3ELNS0_20block_scan_algorithmE0ELj4294967295EEENS1_25partition_config_selectorILNS1_17partition_subalgoE3EjNS0_10empty_typeEbEEZZNS1_14partition_implILS8_3ELb0ES6_jNS0_17counting_iteratorIjlEEPS9_SE_NS0_5tupleIJPjSE_EEENSF_IJSE_SE_EEES9_SG_JZNS1_25segmented_radix_sort_implINS0_14default_configELb1EPKfPfPKlPlN2at6native12_GLOBAL__N_18offset_tEEE10hipError_tPvRmT1_PNSt15iterator_traitsISY_E10value_typeET2_T3_PNSZ_IS14_E10value_typeET4_jRbjT5_S1A_jjP12ihipStream_tbEUljE_EEESV_SW_SX_S14_S18_S1A_T6_T7_T9_mT8_S1C_bDpT10_ENKUlT_T0_E_clISt17integral_constantIbLb0EES1O_IbLb1EEEEDaS1K_S1L_EUlS1K_E_NS1_11comp_targetILNS1_3genE5ELNS1_11target_archE942ELNS1_3gpuE9ELNS1_3repE0EEENS1_30default_config_static_selectorELNS0_4arch9wavefront6targetE0EEEvSY_,comdat
	.globl	_ZN7rocprim17ROCPRIM_400000_NS6detail17trampoline_kernelINS0_13select_configILj256ELj13ELNS0_17block_load_methodE3ELS4_3ELS4_3ELNS0_20block_scan_algorithmE0ELj4294967295EEENS1_25partition_config_selectorILNS1_17partition_subalgoE3EjNS0_10empty_typeEbEEZZNS1_14partition_implILS8_3ELb0ES6_jNS0_17counting_iteratorIjlEEPS9_SE_NS0_5tupleIJPjSE_EEENSF_IJSE_SE_EEES9_SG_JZNS1_25segmented_radix_sort_implINS0_14default_configELb1EPKfPfPKlPlN2at6native12_GLOBAL__N_18offset_tEEE10hipError_tPvRmT1_PNSt15iterator_traitsISY_E10value_typeET2_T3_PNSZ_IS14_E10value_typeET4_jRbjT5_S1A_jjP12ihipStream_tbEUljE_EEESV_SW_SX_S14_S18_S1A_T6_T7_T9_mT8_S1C_bDpT10_ENKUlT_T0_E_clISt17integral_constantIbLb0EES1O_IbLb1EEEEDaS1K_S1L_EUlS1K_E_NS1_11comp_targetILNS1_3genE5ELNS1_11target_archE942ELNS1_3gpuE9ELNS1_3repE0EEENS1_30default_config_static_selectorELNS0_4arch9wavefront6targetE0EEEvSY_ ; -- Begin function _ZN7rocprim17ROCPRIM_400000_NS6detail17trampoline_kernelINS0_13select_configILj256ELj13ELNS0_17block_load_methodE3ELS4_3ELS4_3ELNS0_20block_scan_algorithmE0ELj4294967295EEENS1_25partition_config_selectorILNS1_17partition_subalgoE3EjNS0_10empty_typeEbEEZZNS1_14partition_implILS8_3ELb0ES6_jNS0_17counting_iteratorIjlEEPS9_SE_NS0_5tupleIJPjSE_EEENSF_IJSE_SE_EEES9_SG_JZNS1_25segmented_radix_sort_implINS0_14default_configELb1EPKfPfPKlPlN2at6native12_GLOBAL__N_18offset_tEEE10hipError_tPvRmT1_PNSt15iterator_traitsISY_E10value_typeET2_T3_PNSZ_IS14_E10value_typeET4_jRbjT5_S1A_jjP12ihipStream_tbEUljE_EEESV_SW_SX_S14_S18_S1A_T6_T7_T9_mT8_S1C_bDpT10_ENKUlT_T0_E_clISt17integral_constantIbLb0EES1O_IbLb1EEEEDaS1K_S1L_EUlS1K_E_NS1_11comp_targetILNS1_3genE5ELNS1_11target_archE942ELNS1_3gpuE9ELNS1_3repE0EEENS1_30default_config_static_selectorELNS0_4arch9wavefront6targetE0EEEvSY_
	.p2align	8
	.type	_ZN7rocprim17ROCPRIM_400000_NS6detail17trampoline_kernelINS0_13select_configILj256ELj13ELNS0_17block_load_methodE3ELS4_3ELS4_3ELNS0_20block_scan_algorithmE0ELj4294967295EEENS1_25partition_config_selectorILNS1_17partition_subalgoE3EjNS0_10empty_typeEbEEZZNS1_14partition_implILS8_3ELb0ES6_jNS0_17counting_iteratorIjlEEPS9_SE_NS0_5tupleIJPjSE_EEENSF_IJSE_SE_EEES9_SG_JZNS1_25segmented_radix_sort_implINS0_14default_configELb1EPKfPfPKlPlN2at6native12_GLOBAL__N_18offset_tEEE10hipError_tPvRmT1_PNSt15iterator_traitsISY_E10value_typeET2_T3_PNSZ_IS14_E10value_typeET4_jRbjT5_S1A_jjP12ihipStream_tbEUljE_EEESV_SW_SX_S14_S18_S1A_T6_T7_T9_mT8_S1C_bDpT10_ENKUlT_T0_E_clISt17integral_constantIbLb0EES1O_IbLb1EEEEDaS1K_S1L_EUlS1K_E_NS1_11comp_targetILNS1_3genE5ELNS1_11target_archE942ELNS1_3gpuE9ELNS1_3repE0EEENS1_30default_config_static_selectorELNS0_4arch9wavefront6targetE0EEEvSY_,@function
_ZN7rocprim17ROCPRIM_400000_NS6detail17trampoline_kernelINS0_13select_configILj256ELj13ELNS0_17block_load_methodE3ELS4_3ELS4_3ELNS0_20block_scan_algorithmE0ELj4294967295EEENS1_25partition_config_selectorILNS1_17partition_subalgoE3EjNS0_10empty_typeEbEEZZNS1_14partition_implILS8_3ELb0ES6_jNS0_17counting_iteratorIjlEEPS9_SE_NS0_5tupleIJPjSE_EEENSF_IJSE_SE_EEES9_SG_JZNS1_25segmented_radix_sort_implINS0_14default_configELb1EPKfPfPKlPlN2at6native12_GLOBAL__N_18offset_tEEE10hipError_tPvRmT1_PNSt15iterator_traitsISY_E10value_typeET2_T3_PNSZ_IS14_E10value_typeET4_jRbjT5_S1A_jjP12ihipStream_tbEUljE_EEESV_SW_SX_S14_S18_S1A_T6_T7_T9_mT8_S1C_bDpT10_ENKUlT_T0_E_clISt17integral_constantIbLb0EES1O_IbLb1EEEEDaS1K_S1L_EUlS1K_E_NS1_11comp_targetILNS1_3genE5ELNS1_11target_archE942ELNS1_3gpuE9ELNS1_3repE0EEENS1_30default_config_static_selectorELNS0_4arch9wavefront6targetE0EEEvSY_: ; @_ZN7rocprim17ROCPRIM_400000_NS6detail17trampoline_kernelINS0_13select_configILj256ELj13ELNS0_17block_load_methodE3ELS4_3ELS4_3ELNS0_20block_scan_algorithmE0ELj4294967295EEENS1_25partition_config_selectorILNS1_17partition_subalgoE3EjNS0_10empty_typeEbEEZZNS1_14partition_implILS8_3ELb0ES6_jNS0_17counting_iteratorIjlEEPS9_SE_NS0_5tupleIJPjSE_EEENSF_IJSE_SE_EEES9_SG_JZNS1_25segmented_radix_sort_implINS0_14default_configELb1EPKfPfPKlPlN2at6native12_GLOBAL__N_18offset_tEEE10hipError_tPvRmT1_PNSt15iterator_traitsISY_E10value_typeET2_T3_PNSZ_IS14_E10value_typeET4_jRbjT5_S1A_jjP12ihipStream_tbEUljE_EEESV_SW_SX_S14_S18_S1A_T6_T7_T9_mT8_S1C_bDpT10_ENKUlT_T0_E_clISt17integral_constantIbLb0EES1O_IbLb1EEEEDaS1K_S1L_EUlS1K_E_NS1_11comp_targetILNS1_3genE5ELNS1_11target_archE942ELNS1_3gpuE9ELNS1_3repE0EEENS1_30default_config_static_selectorELNS0_4arch9wavefront6targetE0EEEvSY_
; %bb.0:
	.section	.rodata,"a",@progbits
	.p2align	6, 0x0
	.amdhsa_kernel _ZN7rocprim17ROCPRIM_400000_NS6detail17trampoline_kernelINS0_13select_configILj256ELj13ELNS0_17block_load_methodE3ELS4_3ELS4_3ELNS0_20block_scan_algorithmE0ELj4294967295EEENS1_25partition_config_selectorILNS1_17partition_subalgoE3EjNS0_10empty_typeEbEEZZNS1_14partition_implILS8_3ELb0ES6_jNS0_17counting_iteratorIjlEEPS9_SE_NS0_5tupleIJPjSE_EEENSF_IJSE_SE_EEES9_SG_JZNS1_25segmented_radix_sort_implINS0_14default_configELb1EPKfPfPKlPlN2at6native12_GLOBAL__N_18offset_tEEE10hipError_tPvRmT1_PNSt15iterator_traitsISY_E10value_typeET2_T3_PNSZ_IS14_E10value_typeET4_jRbjT5_S1A_jjP12ihipStream_tbEUljE_EEESV_SW_SX_S14_S18_S1A_T6_T7_T9_mT8_S1C_bDpT10_ENKUlT_T0_E_clISt17integral_constantIbLb0EES1O_IbLb1EEEEDaS1K_S1L_EUlS1K_E_NS1_11comp_targetILNS1_3genE5ELNS1_11target_archE942ELNS1_3gpuE9ELNS1_3repE0EEENS1_30default_config_static_selectorELNS0_4arch9wavefront6targetE0EEEvSY_
		.amdhsa_group_segment_fixed_size 0
		.amdhsa_private_segment_fixed_size 0
		.amdhsa_kernarg_size 152
		.amdhsa_user_sgpr_count 6
		.amdhsa_user_sgpr_private_segment_buffer 1
		.amdhsa_user_sgpr_dispatch_ptr 0
		.amdhsa_user_sgpr_queue_ptr 0
		.amdhsa_user_sgpr_kernarg_segment_ptr 1
		.amdhsa_user_sgpr_dispatch_id 0
		.amdhsa_user_sgpr_flat_scratch_init 0
		.amdhsa_user_sgpr_private_segment_size 0
		.amdhsa_wavefront_size32 1
		.amdhsa_uses_dynamic_stack 0
		.amdhsa_system_sgpr_private_segment_wavefront_offset 0
		.amdhsa_system_sgpr_workgroup_id_x 1
		.amdhsa_system_sgpr_workgroup_id_y 0
		.amdhsa_system_sgpr_workgroup_id_z 0
		.amdhsa_system_sgpr_workgroup_info 0
		.amdhsa_system_vgpr_workitem_id 0
		.amdhsa_next_free_vgpr 1
		.amdhsa_next_free_sgpr 1
		.amdhsa_reserve_vcc 0
		.amdhsa_reserve_flat_scratch 0
		.amdhsa_float_round_mode_32 0
		.amdhsa_float_round_mode_16_64 0
		.amdhsa_float_denorm_mode_32 3
		.amdhsa_float_denorm_mode_16_64 3
		.amdhsa_dx10_clamp 1
		.amdhsa_ieee_mode 1
		.amdhsa_fp16_overflow 0
		.amdhsa_workgroup_processor_mode 1
		.amdhsa_memory_ordered 1
		.amdhsa_forward_progress 1
		.amdhsa_shared_vgpr_count 0
		.amdhsa_exception_fp_ieee_invalid_op 0
		.amdhsa_exception_fp_denorm_src 0
		.amdhsa_exception_fp_ieee_div_zero 0
		.amdhsa_exception_fp_ieee_overflow 0
		.amdhsa_exception_fp_ieee_underflow 0
		.amdhsa_exception_fp_ieee_inexact 0
		.amdhsa_exception_int_div_zero 0
	.end_amdhsa_kernel
	.section	.text._ZN7rocprim17ROCPRIM_400000_NS6detail17trampoline_kernelINS0_13select_configILj256ELj13ELNS0_17block_load_methodE3ELS4_3ELS4_3ELNS0_20block_scan_algorithmE0ELj4294967295EEENS1_25partition_config_selectorILNS1_17partition_subalgoE3EjNS0_10empty_typeEbEEZZNS1_14partition_implILS8_3ELb0ES6_jNS0_17counting_iteratorIjlEEPS9_SE_NS0_5tupleIJPjSE_EEENSF_IJSE_SE_EEES9_SG_JZNS1_25segmented_radix_sort_implINS0_14default_configELb1EPKfPfPKlPlN2at6native12_GLOBAL__N_18offset_tEEE10hipError_tPvRmT1_PNSt15iterator_traitsISY_E10value_typeET2_T3_PNSZ_IS14_E10value_typeET4_jRbjT5_S1A_jjP12ihipStream_tbEUljE_EEESV_SW_SX_S14_S18_S1A_T6_T7_T9_mT8_S1C_bDpT10_ENKUlT_T0_E_clISt17integral_constantIbLb0EES1O_IbLb1EEEEDaS1K_S1L_EUlS1K_E_NS1_11comp_targetILNS1_3genE5ELNS1_11target_archE942ELNS1_3gpuE9ELNS1_3repE0EEENS1_30default_config_static_selectorELNS0_4arch9wavefront6targetE0EEEvSY_,"axG",@progbits,_ZN7rocprim17ROCPRIM_400000_NS6detail17trampoline_kernelINS0_13select_configILj256ELj13ELNS0_17block_load_methodE3ELS4_3ELS4_3ELNS0_20block_scan_algorithmE0ELj4294967295EEENS1_25partition_config_selectorILNS1_17partition_subalgoE3EjNS0_10empty_typeEbEEZZNS1_14partition_implILS8_3ELb0ES6_jNS0_17counting_iteratorIjlEEPS9_SE_NS0_5tupleIJPjSE_EEENSF_IJSE_SE_EEES9_SG_JZNS1_25segmented_radix_sort_implINS0_14default_configELb1EPKfPfPKlPlN2at6native12_GLOBAL__N_18offset_tEEE10hipError_tPvRmT1_PNSt15iterator_traitsISY_E10value_typeET2_T3_PNSZ_IS14_E10value_typeET4_jRbjT5_S1A_jjP12ihipStream_tbEUljE_EEESV_SW_SX_S14_S18_S1A_T6_T7_T9_mT8_S1C_bDpT10_ENKUlT_T0_E_clISt17integral_constantIbLb0EES1O_IbLb1EEEEDaS1K_S1L_EUlS1K_E_NS1_11comp_targetILNS1_3genE5ELNS1_11target_archE942ELNS1_3gpuE9ELNS1_3repE0EEENS1_30default_config_static_selectorELNS0_4arch9wavefront6targetE0EEEvSY_,comdat
.Lfunc_end1310:
	.size	_ZN7rocprim17ROCPRIM_400000_NS6detail17trampoline_kernelINS0_13select_configILj256ELj13ELNS0_17block_load_methodE3ELS4_3ELS4_3ELNS0_20block_scan_algorithmE0ELj4294967295EEENS1_25partition_config_selectorILNS1_17partition_subalgoE3EjNS0_10empty_typeEbEEZZNS1_14partition_implILS8_3ELb0ES6_jNS0_17counting_iteratorIjlEEPS9_SE_NS0_5tupleIJPjSE_EEENSF_IJSE_SE_EEES9_SG_JZNS1_25segmented_radix_sort_implINS0_14default_configELb1EPKfPfPKlPlN2at6native12_GLOBAL__N_18offset_tEEE10hipError_tPvRmT1_PNSt15iterator_traitsISY_E10value_typeET2_T3_PNSZ_IS14_E10value_typeET4_jRbjT5_S1A_jjP12ihipStream_tbEUljE_EEESV_SW_SX_S14_S18_S1A_T6_T7_T9_mT8_S1C_bDpT10_ENKUlT_T0_E_clISt17integral_constantIbLb0EES1O_IbLb1EEEEDaS1K_S1L_EUlS1K_E_NS1_11comp_targetILNS1_3genE5ELNS1_11target_archE942ELNS1_3gpuE9ELNS1_3repE0EEENS1_30default_config_static_selectorELNS0_4arch9wavefront6targetE0EEEvSY_, .Lfunc_end1310-_ZN7rocprim17ROCPRIM_400000_NS6detail17trampoline_kernelINS0_13select_configILj256ELj13ELNS0_17block_load_methodE3ELS4_3ELS4_3ELNS0_20block_scan_algorithmE0ELj4294967295EEENS1_25partition_config_selectorILNS1_17partition_subalgoE3EjNS0_10empty_typeEbEEZZNS1_14partition_implILS8_3ELb0ES6_jNS0_17counting_iteratorIjlEEPS9_SE_NS0_5tupleIJPjSE_EEENSF_IJSE_SE_EEES9_SG_JZNS1_25segmented_radix_sort_implINS0_14default_configELb1EPKfPfPKlPlN2at6native12_GLOBAL__N_18offset_tEEE10hipError_tPvRmT1_PNSt15iterator_traitsISY_E10value_typeET2_T3_PNSZ_IS14_E10value_typeET4_jRbjT5_S1A_jjP12ihipStream_tbEUljE_EEESV_SW_SX_S14_S18_S1A_T6_T7_T9_mT8_S1C_bDpT10_ENKUlT_T0_E_clISt17integral_constantIbLb0EES1O_IbLb1EEEEDaS1K_S1L_EUlS1K_E_NS1_11comp_targetILNS1_3genE5ELNS1_11target_archE942ELNS1_3gpuE9ELNS1_3repE0EEENS1_30default_config_static_selectorELNS0_4arch9wavefront6targetE0EEEvSY_
                                        ; -- End function
	.set _ZN7rocprim17ROCPRIM_400000_NS6detail17trampoline_kernelINS0_13select_configILj256ELj13ELNS0_17block_load_methodE3ELS4_3ELS4_3ELNS0_20block_scan_algorithmE0ELj4294967295EEENS1_25partition_config_selectorILNS1_17partition_subalgoE3EjNS0_10empty_typeEbEEZZNS1_14partition_implILS8_3ELb0ES6_jNS0_17counting_iteratorIjlEEPS9_SE_NS0_5tupleIJPjSE_EEENSF_IJSE_SE_EEES9_SG_JZNS1_25segmented_radix_sort_implINS0_14default_configELb1EPKfPfPKlPlN2at6native12_GLOBAL__N_18offset_tEEE10hipError_tPvRmT1_PNSt15iterator_traitsISY_E10value_typeET2_T3_PNSZ_IS14_E10value_typeET4_jRbjT5_S1A_jjP12ihipStream_tbEUljE_EEESV_SW_SX_S14_S18_S1A_T6_T7_T9_mT8_S1C_bDpT10_ENKUlT_T0_E_clISt17integral_constantIbLb0EES1O_IbLb1EEEEDaS1K_S1L_EUlS1K_E_NS1_11comp_targetILNS1_3genE5ELNS1_11target_archE942ELNS1_3gpuE9ELNS1_3repE0EEENS1_30default_config_static_selectorELNS0_4arch9wavefront6targetE0EEEvSY_.num_vgpr, 0
	.set _ZN7rocprim17ROCPRIM_400000_NS6detail17trampoline_kernelINS0_13select_configILj256ELj13ELNS0_17block_load_methodE3ELS4_3ELS4_3ELNS0_20block_scan_algorithmE0ELj4294967295EEENS1_25partition_config_selectorILNS1_17partition_subalgoE3EjNS0_10empty_typeEbEEZZNS1_14partition_implILS8_3ELb0ES6_jNS0_17counting_iteratorIjlEEPS9_SE_NS0_5tupleIJPjSE_EEENSF_IJSE_SE_EEES9_SG_JZNS1_25segmented_radix_sort_implINS0_14default_configELb1EPKfPfPKlPlN2at6native12_GLOBAL__N_18offset_tEEE10hipError_tPvRmT1_PNSt15iterator_traitsISY_E10value_typeET2_T3_PNSZ_IS14_E10value_typeET4_jRbjT5_S1A_jjP12ihipStream_tbEUljE_EEESV_SW_SX_S14_S18_S1A_T6_T7_T9_mT8_S1C_bDpT10_ENKUlT_T0_E_clISt17integral_constantIbLb0EES1O_IbLb1EEEEDaS1K_S1L_EUlS1K_E_NS1_11comp_targetILNS1_3genE5ELNS1_11target_archE942ELNS1_3gpuE9ELNS1_3repE0EEENS1_30default_config_static_selectorELNS0_4arch9wavefront6targetE0EEEvSY_.num_agpr, 0
	.set _ZN7rocprim17ROCPRIM_400000_NS6detail17trampoline_kernelINS0_13select_configILj256ELj13ELNS0_17block_load_methodE3ELS4_3ELS4_3ELNS0_20block_scan_algorithmE0ELj4294967295EEENS1_25partition_config_selectorILNS1_17partition_subalgoE3EjNS0_10empty_typeEbEEZZNS1_14partition_implILS8_3ELb0ES6_jNS0_17counting_iteratorIjlEEPS9_SE_NS0_5tupleIJPjSE_EEENSF_IJSE_SE_EEES9_SG_JZNS1_25segmented_radix_sort_implINS0_14default_configELb1EPKfPfPKlPlN2at6native12_GLOBAL__N_18offset_tEEE10hipError_tPvRmT1_PNSt15iterator_traitsISY_E10value_typeET2_T3_PNSZ_IS14_E10value_typeET4_jRbjT5_S1A_jjP12ihipStream_tbEUljE_EEESV_SW_SX_S14_S18_S1A_T6_T7_T9_mT8_S1C_bDpT10_ENKUlT_T0_E_clISt17integral_constantIbLb0EES1O_IbLb1EEEEDaS1K_S1L_EUlS1K_E_NS1_11comp_targetILNS1_3genE5ELNS1_11target_archE942ELNS1_3gpuE9ELNS1_3repE0EEENS1_30default_config_static_selectorELNS0_4arch9wavefront6targetE0EEEvSY_.numbered_sgpr, 0
	.set _ZN7rocprim17ROCPRIM_400000_NS6detail17trampoline_kernelINS0_13select_configILj256ELj13ELNS0_17block_load_methodE3ELS4_3ELS4_3ELNS0_20block_scan_algorithmE0ELj4294967295EEENS1_25partition_config_selectorILNS1_17partition_subalgoE3EjNS0_10empty_typeEbEEZZNS1_14partition_implILS8_3ELb0ES6_jNS0_17counting_iteratorIjlEEPS9_SE_NS0_5tupleIJPjSE_EEENSF_IJSE_SE_EEES9_SG_JZNS1_25segmented_radix_sort_implINS0_14default_configELb1EPKfPfPKlPlN2at6native12_GLOBAL__N_18offset_tEEE10hipError_tPvRmT1_PNSt15iterator_traitsISY_E10value_typeET2_T3_PNSZ_IS14_E10value_typeET4_jRbjT5_S1A_jjP12ihipStream_tbEUljE_EEESV_SW_SX_S14_S18_S1A_T6_T7_T9_mT8_S1C_bDpT10_ENKUlT_T0_E_clISt17integral_constantIbLb0EES1O_IbLb1EEEEDaS1K_S1L_EUlS1K_E_NS1_11comp_targetILNS1_3genE5ELNS1_11target_archE942ELNS1_3gpuE9ELNS1_3repE0EEENS1_30default_config_static_selectorELNS0_4arch9wavefront6targetE0EEEvSY_.num_named_barrier, 0
	.set _ZN7rocprim17ROCPRIM_400000_NS6detail17trampoline_kernelINS0_13select_configILj256ELj13ELNS0_17block_load_methodE3ELS4_3ELS4_3ELNS0_20block_scan_algorithmE0ELj4294967295EEENS1_25partition_config_selectorILNS1_17partition_subalgoE3EjNS0_10empty_typeEbEEZZNS1_14partition_implILS8_3ELb0ES6_jNS0_17counting_iteratorIjlEEPS9_SE_NS0_5tupleIJPjSE_EEENSF_IJSE_SE_EEES9_SG_JZNS1_25segmented_radix_sort_implINS0_14default_configELb1EPKfPfPKlPlN2at6native12_GLOBAL__N_18offset_tEEE10hipError_tPvRmT1_PNSt15iterator_traitsISY_E10value_typeET2_T3_PNSZ_IS14_E10value_typeET4_jRbjT5_S1A_jjP12ihipStream_tbEUljE_EEESV_SW_SX_S14_S18_S1A_T6_T7_T9_mT8_S1C_bDpT10_ENKUlT_T0_E_clISt17integral_constantIbLb0EES1O_IbLb1EEEEDaS1K_S1L_EUlS1K_E_NS1_11comp_targetILNS1_3genE5ELNS1_11target_archE942ELNS1_3gpuE9ELNS1_3repE0EEENS1_30default_config_static_selectorELNS0_4arch9wavefront6targetE0EEEvSY_.private_seg_size, 0
	.set _ZN7rocprim17ROCPRIM_400000_NS6detail17trampoline_kernelINS0_13select_configILj256ELj13ELNS0_17block_load_methodE3ELS4_3ELS4_3ELNS0_20block_scan_algorithmE0ELj4294967295EEENS1_25partition_config_selectorILNS1_17partition_subalgoE3EjNS0_10empty_typeEbEEZZNS1_14partition_implILS8_3ELb0ES6_jNS0_17counting_iteratorIjlEEPS9_SE_NS0_5tupleIJPjSE_EEENSF_IJSE_SE_EEES9_SG_JZNS1_25segmented_radix_sort_implINS0_14default_configELb1EPKfPfPKlPlN2at6native12_GLOBAL__N_18offset_tEEE10hipError_tPvRmT1_PNSt15iterator_traitsISY_E10value_typeET2_T3_PNSZ_IS14_E10value_typeET4_jRbjT5_S1A_jjP12ihipStream_tbEUljE_EEESV_SW_SX_S14_S18_S1A_T6_T7_T9_mT8_S1C_bDpT10_ENKUlT_T0_E_clISt17integral_constantIbLb0EES1O_IbLb1EEEEDaS1K_S1L_EUlS1K_E_NS1_11comp_targetILNS1_3genE5ELNS1_11target_archE942ELNS1_3gpuE9ELNS1_3repE0EEENS1_30default_config_static_selectorELNS0_4arch9wavefront6targetE0EEEvSY_.uses_vcc, 0
	.set _ZN7rocprim17ROCPRIM_400000_NS6detail17trampoline_kernelINS0_13select_configILj256ELj13ELNS0_17block_load_methodE3ELS4_3ELS4_3ELNS0_20block_scan_algorithmE0ELj4294967295EEENS1_25partition_config_selectorILNS1_17partition_subalgoE3EjNS0_10empty_typeEbEEZZNS1_14partition_implILS8_3ELb0ES6_jNS0_17counting_iteratorIjlEEPS9_SE_NS0_5tupleIJPjSE_EEENSF_IJSE_SE_EEES9_SG_JZNS1_25segmented_radix_sort_implINS0_14default_configELb1EPKfPfPKlPlN2at6native12_GLOBAL__N_18offset_tEEE10hipError_tPvRmT1_PNSt15iterator_traitsISY_E10value_typeET2_T3_PNSZ_IS14_E10value_typeET4_jRbjT5_S1A_jjP12ihipStream_tbEUljE_EEESV_SW_SX_S14_S18_S1A_T6_T7_T9_mT8_S1C_bDpT10_ENKUlT_T0_E_clISt17integral_constantIbLb0EES1O_IbLb1EEEEDaS1K_S1L_EUlS1K_E_NS1_11comp_targetILNS1_3genE5ELNS1_11target_archE942ELNS1_3gpuE9ELNS1_3repE0EEENS1_30default_config_static_selectorELNS0_4arch9wavefront6targetE0EEEvSY_.uses_flat_scratch, 0
	.set _ZN7rocprim17ROCPRIM_400000_NS6detail17trampoline_kernelINS0_13select_configILj256ELj13ELNS0_17block_load_methodE3ELS4_3ELS4_3ELNS0_20block_scan_algorithmE0ELj4294967295EEENS1_25partition_config_selectorILNS1_17partition_subalgoE3EjNS0_10empty_typeEbEEZZNS1_14partition_implILS8_3ELb0ES6_jNS0_17counting_iteratorIjlEEPS9_SE_NS0_5tupleIJPjSE_EEENSF_IJSE_SE_EEES9_SG_JZNS1_25segmented_radix_sort_implINS0_14default_configELb1EPKfPfPKlPlN2at6native12_GLOBAL__N_18offset_tEEE10hipError_tPvRmT1_PNSt15iterator_traitsISY_E10value_typeET2_T3_PNSZ_IS14_E10value_typeET4_jRbjT5_S1A_jjP12ihipStream_tbEUljE_EEESV_SW_SX_S14_S18_S1A_T6_T7_T9_mT8_S1C_bDpT10_ENKUlT_T0_E_clISt17integral_constantIbLb0EES1O_IbLb1EEEEDaS1K_S1L_EUlS1K_E_NS1_11comp_targetILNS1_3genE5ELNS1_11target_archE942ELNS1_3gpuE9ELNS1_3repE0EEENS1_30default_config_static_selectorELNS0_4arch9wavefront6targetE0EEEvSY_.has_dyn_sized_stack, 0
	.set _ZN7rocprim17ROCPRIM_400000_NS6detail17trampoline_kernelINS0_13select_configILj256ELj13ELNS0_17block_load_methodE3ELS4_3ELS4_3ELNS0_20block_scan_algorithmE0ELj4294967295EEENS1_25partition_config_selectorILNS1_17partition_subalgoE3EjNS0_10empty_typeEbEEZZNS1_14partition_implILS8_3ELb0ES6_jNS0_17counting_iteratorIjlEEPS9_SE_NS0_5tupleIJPjSE_EEENSF_IJSE_SE_EEES9_SG_JZNS1_25segmented_radix_sort_implINS0_14default_configELb1EPKfPfPKlPlN2at6native12_GLOBAL__N_18offset_tEEE10hipError_tPvRmT1_PNSt15iterator_traitsISY_E10value_typeET2_T3_PNSZ_IS14_E10value_typeET4_jRbjT5_S1A_jjP12ihipStream_tbEUljE_EEESV_SW_SX_S14_S18_S1A_T6_T7_T9_mT8_S1C_bDpT10_ENKUlT_T0_E_clISt17integral_constantIbLb0EES1O_IbLb1EEEEDaS1K_S1L_EUlS1K_E_NS1_11comp_targetILNS1_3genE5ELNS1_11target_archE942ELNS1_3gpuE9ELNS1_3repE0EEENS1_30default_config_static_selectorELNS0_4arch9wavefront6targetE0EEEvSY_.has_recursion, 0
	.set _ZN7rocprim17ROCPRIM_400000_NS6detail17trampoline_kernelINS0_13select_configILj256ELj13ELNS0_17block_load_methodE3ELS4_3ELS4_3ELNS0_20block_scan_algorithmE0ELj4294967295EEENS1_25partition_config_selectorILNS1_17partition_subalgoE3EjNS0_10empty_typeEbEEZZNS1_14partition_implILS8_3ELb0ES6_jNS0_17counting_iteratorIjlEEPS9_SE_NS0_5tupleIJPjSE_EEENSF_IJSE_SE_EEES9_SG_JZNS1_25segmented_radix_sort_implINS0_14default_configELb1EPKfPfPKlPlN2at6native12_GLOBAL__N_18offset_tEEE10hipError_tPvRmT1_PNSt15iterator_traitsISY_E10value_typeET2_T3_PNSZ_IS14_E10value_typeET4_jRbjT5_S1A_jjP12ihipStream_tbEUljE_EEESV_SW_SX_S14_S18_S1A_T6_T7_T9_mT8_S1C_bDpT10_ENKUlT_T0_E_clISt17integral_constantIbLb0EES1O_IbLb1EEEEDaS1K_S1L_EUlS1K_E_NS1_11comp_targetILNS1_3genE5ELNS1_11target_archE942ELNS1_3gpuE9ELNS1_3repE0EEENS1_30default_config_static_selectorELNS0_4arch9wavefront6targetE0EEEvSY_.has_indirect_call, 0
	.section	.AMDGPU.csdata,"",@progbits
; Kernel info:
; codeLenInByte = 0
; TotalNumSgprs: 0
; NumVgprs: 0
; ScratchSize: 0
; MemoryBound: 0
; FloatMode: 240
; IeeeMode: 1
; LDSByteSize: 0 bytes/workgroup (compile time only)
; SGPRBlocks: 0
; VGPRBlocks: 0
; NumSGPRsForWavesPerEU: 1
; NumVGPRsForWavesPerEU: 1
; Occupancy: 16
; WaveLimiterHint : 0
; COMPUTE_PGM_RSRC2:SCRATCH_EN: 0
; COMPUTE_PGM_RSRC2:USER_SGPR: 6
; COMPUTE_PGM_RSRC2:TRAP_HANDLER: 0
; COMPUTE_PGM_RSRC2:TGID_X_EN: 1
; COMPUTE_PGM_RSRC2:TGID_Y_EN: 0
; COMPUTE_PGM_RSRC2:TGID_Z_EN: 0
; COMPUTE_PGM_RSRC2:TIDIG_COMP_CNT: 0
	.section	.text._ZN7rocprim17ROCPRIM_400000_NS6detail17trampoline_kernelINS0_13select_configILj256ELj13ELNS0_17block_load_methodE3ELS4_3ELS4_3ELNS0_20block_scan_algorithmE0ELj4294967295EEENS1_25partition_config_selectorILNS1_17partition_subalgoE3EjNS0_10empty_typeEbEEZZNS1_14partition_implILS8_3ELb0ES6_jNS0_17counting_iteratorIjlEEPS9_SE_NS0_5tupleIJPjSE_EEENSF_IJSE_SE_EEES9_SG_JZNS1_25segmented_radix_sort_implINS0_14default_configELb1EPKfPfPKlPlN2at6native12_GLOBAL__N_18offset_tEEE10hipError_tPvRmT1_PNSt15iterator_traitsISY_E10value_typeET2_T3_PNSZ_IS14_E10value_typeET4_jRbjT5_S1A_jjP12ihipStream_tbEUljE_EEESV_SW_SX_S14_S18_S1A_T6_T7_T9_mT8_S1C_bDpT10_ENKUlT_T0_E_clISt17integral_constantIbLb0EES1O_IbLb1EEEEDaS1K_S1L_EUlS1K_E_NS1_11comp_targetILNS1_3genE4ELNS1_11target_archE910ELNS1_3gpuE8ELNS1_3repE0EEENS1_30default_config_static_selectorELNS0_4arch9wavefront6targetE0EEEvSY_,"axG",@progbits,_ZN7rocprim17ROCPRIM_400000_NS6detail17trampoline_kernelINS0_13select_configILj256ELj13ELNS0_17block_load_methodE3ELS4_3ELS4_3ELNS0_20block_scan_algorithmE0ELj4294967295EEENS1_25partition_config_selectorILNS1_17partition_subalgoE3EjNS0_10empty_typeEbEEZZNS1_14partition_implILS8_3ELb0ES6_jNS0_17counting_iteratorIjlEEPS9_SE_NS0_5tupleIJPjSE_EEENSF_IJSE_SE_EEES9_SG_JZNS1_25segmented_radix_sort_implINS0_14default_configELb1EPKfPfPKlPlN2at6native12_GLOBAL__N_18offset_tEEE10hipError_tPvRmT1_PNSt15iterator_traitsISY_E10value_typeET2_T3_PNSZ_IS14_E10value_typeET4_jRbjT5_S1A_jjP12ihipStream_tbEUljE_EEESV_SW_SX_S14_S18_S1A_T6_T7_T9_mT8_S1C_bDpT10_ENKUlT_T0_E_clISt17integral_constantIbLb0EES1O_IbLb1EEEEDaS1K_S1L_EUlS1K_E_NS1_11comp_targetILNS1_3genE4ELNS1_11target_archE910ELNS1_3gpuE8ELNS1_3repE0EEENS1_30default_config_static_selectorELNS0_4arch9wavefront6targetE0EEEvSY_,comdat
	.globl	_ZN7rocprim17ROCPRIM_400000_NS6detail17trampoline_kernelINS0_13select_configILj256ELj13ELNS0_17block_load_methodE3ELS4_3ELS4_3ELNS0_20block_scan_algorithmE0ELj4294967295EEENS1_25partition_config_selectorILNS1_17partition_subalgoE3EjNS0_10empty_typeEbEEZZNS1_14partition_implILS8_3ELb0ES6_jNS0_17counting_iteratorIjlEEPS9_SE_NS0_5tupleIJPjSE_EEENSF_IJSE_SE_EEES9_SG_JZNS1_25segmented_radix_sort_implINS0_14default_configELb1EPKfPfPKlPlN2at6native12_GLOBAL__N_18offset_tEEE10hipError_tPvRmT1_PNSt15iterator_traitsISY_E10value_typeET2_T3_PNSZ_IS14_E10value_typeET4_jRbjT5_S1A_jjP12ihipStream_tbEUljE_EEESV_SW_SX_S14_S18_S1A_T6_T7_T9_mT8_S1C_bDpT10_ENKUlT_T0_E_clISt17integral_constantIbLb0EES1O_IbLb1EEEEDaS1K_S1L_EUlS1K_E_NS1_11comp_targetILNS1_3genE4ELNS1_11target_archE910ELNS1_3gpuE8ELNS1_3repE0EEENS1_30default_config_static_selectorELNS0_4arch9wavefront6targetE0EEEvSY_ ; -- Begin function _ZN7rocprim17ROCPRIM_400000_NS6detail17trampoline_kernelINS0_13select_configILj256ELj13ELNS0_17block_load_methodE3ELS4_3ELS4_3ELNS0_20block_scan_algorithmE0ELj4294967295EEENS1_25partition_config_selectorILNS1_17partition_subalgoE3EjNS0_10empty_typeEbEEZZNS1_14partition_implILS8_3ELb0ES6_jNS0_17counting_iteratorIjlEEPS9_SE_NS0_5tupleIJPjSE_EEENSF_IJSE_SE_EEES9_SG_JZNS1_25segmented_radix_sort_implINS0_14default_configELb1EPKfPfPKlPlN2at6native12_GLOBAL__N_18offset_tEEE10hipError_tPvRmT1_PNSt15iterator_traitsISY_E10value_typeET2_T3_PNSZ_IS14_E10value_typeET4_jRbjT5_S1A_jjP12ihipStream_tbEUljE_EEESV_SW_SX_S14_S18_S1A_T6_T7_T9_mT8_S1C_bDpT10_ENKUlT_T0_E_clISt17integral_constantIbLb0EES1O_IbLb1EEEEDaS1K_S1L_EUlS1K_E_NS1_11comp_targetILNS1_3genE4ELNS1_11target_archE910ELNS1_3gpuE8ELNS1_3repE0EEENS1_30default_config_static_selectorELNS0_4arch9wavefront6targetE0EEEvSY_
	.p2align	8
	.type	_ZN7rocprim17ROCPRIM_400000_NS6detail17trampoline_kernelINS0_13select_configILj256ELj13ELNS0_17block_load_methodE3ELS4_3ELS4_3ELNS0_20block_scan_algorithmE0ELj4294967295EEENS1_25partition_config_selectorILNS1_17partition_subalgoE3EjNS0_10empty_typeEbEEZZNS1_14partition_implILS8_3ELb0ES6_jNS0_17counting_iteratorIjlEEPS9_SE_NS0_5tupleIJPjSE_EEENSF_IJSE_SE_EEES9_SG_JZNS1_25segmented_radix_sort_implINS0_14default_configELb1EPKfPfPKlPlN2at6native12_GLOBAL__N_18offset_tEEE10hipError_tPvRmT1_PNSt15iterator_traitsISY_E10value_typeET2_T3_PNSZ_IS14_E10value_typeET4_jRbjT5_S1A_jjP12ihipStream_tbEUljE_EEESV_SW_SX_S14_S18_S1A_T6_T7_T9_mT8_S1C_bDpT10_ENKUlT_T0_E_clISt17integral_constantIbLb0EES1O_IbLb1EEEEDaS1K_S1L_EUlS1K_E_NS1_11comp_targetILNS1_3genE4ELNS1_11target_archE910ELNS1_3gpuE8ELNS1_3repE0EEENS1_30default_config_static_selectorELNS0_4arch9wavefront6targetE0EEEvSY_,@function
_ZN7rocprim17ROCPRIM_400000_NS6detail17trampoline_kernelINS0_13select_configILj256ELj13ELNS0_17block_load_methodE3ELS4_3ELS4_3ELNS0_20block_scan_algorithmE0ELj4294967295EEENS1_25partition_config_selectorILNS1_17partition_subalgoE3EjNS0_10empty_typeEbEEZZNS1_14partition_implILS8_3ELb0ES6_jNS0_17counting_iteratorIjlEEPS9_SE_NS0_5tupleIJPjSE_EEENSF_IJSE_SE_EEES9_SG_JZNS1_25segmented_radix_sort_implINS0_14default_configELb1EPKfPfPKlPlN2at6native12_GLOBAL__N_18offset_tEEE10hipError_tPvRmT1_PNSt15iterator_traitsISY_E10value_typeET2_T3_PNSZ_IS14_E10value_typeET4_jRbjT5_S1A_jjP12ihipStream_tbEUljE_EEESV_SW_SX_S14_S18_S1A_T6_T7_T9_mT8_S1C_bDpT10_ENKUlT_T0_E_clISt17integral_constantIbLb0EES1O_IbLb1EEEEDaS1K_S1L_EUlS1K_E_NS1_11comp_targetILNS1_3genE4ELNS1_11target_archE910ELNS1_3gpuE8ELNS1_3repE0EEENS1_30default_config_static_selectorELNS0_4arch9wavefront6targetE0EEEvSY_: ; @_ZN7rocprim17ROCPRIM_400000_NS6detail17trampoline_kernelINS0_13select_configILj256ELj13ELNS0_17block_load_methodE3ELS4_3ELS4_3ELNS0_20block_scan_algorithmE0ELj4294967295EEENS1_25partition_config_selectorILNS1_17partition_subalgoE3EjNS0_10empty_typeEbEEZZNS1_14partition_implILS8_3ELb0ES6_jNS0_17counting_iteratorIjlEEPS9_SE_NS0_5tupleIJPjSE_EEENSF_IJSE_SE_EEES9_SG_JZNS1_25segmented_radix_sort_implINS0_14default_configELb1EPKfPfPKlPlN2at6native12_GLOBAL__N_18offset_tEEE10hipError_tPvRmT1_PNSt15iterator_traitsISY_E10value_typeET2_T3_PNSZ_IS14_E10value_typeET4_jRbjT5_S1A_jjP12ihipStream_tbEUljE_EEESV_SW_SX_S14_S18_S1A_T6_T7_T9_mT8_S1C_bDpT10_ENKUlT_T0_E_clISt17integral_constantIbLb0EES1O_IbLb1EEEEDaS1K_S1L_EUlS1K_E_NS1_11comp_targetILNS1_3genE4ELNS1_11target_archE910ELNS1_3gpuE8ELNS1_3repE0EEENS1_30default_config_static_selectorELNS0_4arch9wavefront6targetE0EEEvSY_
; %bb.0:
	.section	.rodata,"a",@progbits
	.p2align	6, 0x0
	.amdhsa_kernel _ZN7rocprim17ROCPRIM_400000_NS6detail17trampoline_kernelINS0_13select_configILj256ELj13ELNS0_17block_load_methodE3ELS4_3ELS4_3ELNS0_20block_scan_algorithmE0ELj4294967295EEENS1_25partition_config_selectorILNS1_17partition_subalgoE3EjNS0_10empty_typeEbEEZZNS1_14partition_implILS8_3ELb0ES6_jNS0_17counting_iteratorIjlEEPS9_SE_NS0_5tupleIJPjSE_EEENSF_IJSE_SE_EEES9_SG_JZNS1_25segmented_radix_sort_implINS0_14default_configELb1EPKfPfPKlPlN2at6native12_GLOBAL__N_18offset_tEEE10hipError_tPvRmT1_PNSt15iterator_traitsISY_E10value_typeET2_T3_PNSZ_IS14_E10value_typeET4_jRbjT5_S1A_jjP12ihipStream_tbEUljE_EEESV_SW_SX_S14_S18_S1A_T6_T7_T9_mT8_S1C_bDpT10_ENKUlT_T0_E_clISt17integral_constantIbLb0EES1O_IbLb1EEEEDaS1K_S1L_EUlS1K_E_NS1_11comp_targetILNS1_3genE4ELNS1_11target_archE910ELNS1_3gpuE8ELNS1_3repE0EEENS1_30default_config_static_selectorELNS0_4arch9wavefront6targetE0EEEvSY_
		.amdhsa_group_segment_fixed_size 0
		.amdhsa_private_segment_fixed_size 0
		.amdhsa_kernarg_size 152
		.amdhsa_user_sgpr_count 6
		.amdhsa_user_sgpr_private_segment_buffer 1
		.amdhsa_user_sgpr_dispatch_ptr 0
		.amdhsa_user_sgpr_queue_ptr 0
		.amdhsa_user_sgpr_kernarg_segment_ptr 1
		.amdhsa_user_sgpr_dispatch_id 0
		.amdhsa_user_sgpr_flat_scratch_init 0
		.amdhsa_user_sgpr_private_segment_size 0
		.amdhsa_wavefront_size32 1
		.amdhsa_uses_dynamic_stack 0
		.amdhsa_system_sgpr_private_segment_wavefront_offset 0
		.amdhsa_system_sgpr_workgroup_id_x 1
		.amdhsa_system_sgpr_workgroup_id_y 0
		.amdhsa_system_sgpr_workgroup_id_z 0
		.amdhsa_system_sgpr_workgroup_info 0
		.amdhsa_system_vgpr_workitem_id 0
		.amdhsa_next_free_vgpr 1
		.amdhsa_next_free_sgpr 1
		.amdhsa_reserve_vcc 0
		.amdhsa_reserve_flat_scratch 0
		.amdhsa_float_round_mode_32 0
		.amdhsa_float_round_mode_16_64 0
		.amdhsa_float_denorm_mode_32 3
		.amdhsa_float_denorm_mode_16_64 3
		.amdhsa_dx10_clamp 1
		.amdhsa_ieee_mode 1
		.amdhsa_fp16_overflow 0
		.amdhsa_workgroup_processor_mode 1
		.amdhsa_memory_ordered 1
		.amdhsa_forward_progress 1
		.amdhsa_shared_vgpr_count 0
		.amdhsa_exception_fp_ieee_invalid_op 0
		.amdhsa_exception_fp_denorm_src 0
		.amdhsa_exception_fp_ieee_div_zero 0
		.amdhsa_exception_fp_ieee_overflow 0
		.amdhsa_exception_fp_ieee_underflow 0
		.amdhsa_exception_fp_ieee_inexact 0
		.amdhsa_exception_int_div_zero 0
	.end_amdhsa_kernel
	.section	.text._ZN7rocprim17ROCPRIM_400000_NS6detail17trampoline_kernelINS0_13select_configILj256ELj13ELNS0_17block_load_methodE3ELS4_3ELS4_3ELNS0_20block_scan_algorithmE0ELj4294967295EEENS1_25partition_config_selectorILNS1_17partition_subalgoE3EjNS0_10empty_typeEbEEZZNS1_14partition_implILS8_3ELb0ES6_jNS0_17counting_iteratorIjlEEPS9_SE_NS0_5tupleIJPjSE_EEENSF_IJSE_SE_EEES9_SG_JZNS1_25segmented_radix_sort_implINS0_14default_configELb1EPKfPfPKlPlN2at6native12_GLOBAL__N_18offset_tEEE10hipError_tPvRmT1_PNSt15iterator_traitsISY_E10value_typeET2_T3_PNSZ_IS14_E10value_typeET4_jRbjT5_S1A_jjP12ihipStream_tbEUljE_EEESV_SW_SX_S14_S18_S1A_T6_T7_T9_mT8_S1C_bDpT10_ENKUlT_T0_E_clISt17integral_constantIbLb0EES1O_IbLb1EEEEDaS1K_S1L_EUlS1K_E_NS1_11comp_targetILNS1_3genE4ELNS1_11target_archE910ELNS1_3gpuE8ELNS1_3repE0EEENS1_30default_config_static_selectorELNS0_4arch9wavefront6targetE0EEEvSY_,"axG",@progbits,_ZN7rocprim17ROCPRIM_400000_NS6detail17trampoline_kernelINS0_13select_configILj256ELj13ELNS0_17block_load_methodE3ELS4_3ELS4_3ELNS0_20block_scan_algorithmE0ELj4294967295EEENS1_25partition_config_selectorILNS1_17partition_subalgoE3EjNS0_10empty_typeEbEEZZNS1_14partition_implILS8_3ELb0ES6_jNS0_17counting_iteratorIjlEEPS9_SE_NS0_5tupleIJPjSE_EEENSF_IJSE_SE_EEES9_SG_JZNS1_25segmented_radix_sort_implINS0_14default_configELb1EPKfPfPKlPlN2at6native12_GLOBAL__N_18offset_tEEE10hipError_tPvRmT1_PNSt15iterator_traitsISY_E10value_typeET2_T3_PNSZ_IS14_E10value_typeET4_jRbjT5_S1A_jjP12ihipStream_tbEUljE_EEESV_SW_SX_S14_S18_S1A_T6_T7_T9_mT8_S1C_bDpT10_ENKUlT_T0_E_clISt17integral_constantIbLb0EES1O_IbLb1EEEEDaS1K_S1L_EUlS1K_E_NS1_11comp_targetILNS1_3genE4ELNS1_11target_archE910ELNS1_3gpuE8ELNS1_3repE0EEENS1_30default_config_static_selectorELNS0_4arch9wavefront6targetE0EEEvSY_,comdat
.Lfunc_end1311:
	.size	_ZN7rocprim17ROCPRIM_400000_NS6detail17trampoline_kernelINS0_13select_configILj256ELj13ELNS0_17block_load_methodE3ELS4_3ELS4_3ELNS0_20block_scan_algorithmE0ELj4294967295EEENS1_25partition_config_selectorILNS1_17partition_subalgoE3EjNS0_10empty_typeEbEEZZNS1_14partition_implILS8_3ELb0ES6_jNS0_17counting_iteratorIjlEEPS9_SE_NS0_5tupleIJPjSE_EEENSF_IJSE_SE_EEES9_SG_JZNS1_25segmented_radix_sort_implINS0_14default_configELb1EPKfPfPKlPlN2at6native12_GLOBAL__N_18offset_tEEE10hipError_tPvRmT1_PNSt15iterator_traitsISY_E10value_typeET2_T3_PNSZ_IS14_E10value_typeET4_jRbjT5_S1A_jjP12ihipStream_tbEUljE_EEESV_SW_SX_S14_S18_S1A_T6_T7_T9_mT8_S1C_bDpT10_ENKUlT_T0_E_clISt17integral_constantIbLb0EES1O_IbLb1EEEEDaS1K_S1L_EUlS1K_E_NS1_11comp_targetILNS1_3genE4ELNS1_11target_archE910ELNS1_3gpuE8ELNS1_3repE0EEENS1_30default_config_static_selectorELNS0_4arch9wavefront6targetE0EEEvSY_, .Lfunc_end1311-_ZN7rocprim17ROCPRIM_400000_NS6detail17trampoline_kernelINS0_13select_configILj256ELj13ELNS0_17block_load_methodE3ELS4_3ELS4_3ELNS0_20block_scan_algorithmE0ELj4294967295EEENS1_25partition_config_selectorILNS1_17partition_subalgoE3EjNS0_10empty_typeEbEEZZNS1_14partition_implILS8_3ELb0ES6_jNS0_17counting_iteratorIjlEEPS9_SE_NS0_5tupleIJPjSE_EEENSF_IJSE_SE_EEES9_SG_JZNS1_25segmented_radix_sort_implINS0_14default_configELb1EPKfPfPKlPlN2at6native12_GLOBAL__N_18offset_tEEE10hipError_tPvRmT1_PNSt15iterator_traitsISY_E10value_typeET2_T3_PNSZ_IS14_E10value_typeET4_jRbjT5_S1A_jjP12ihipStream_tbEUljE_EEESV_SW_SX_S14_S18_S1A_T6_T7_T9_mT8_S1C_bDpT10_ENKUlT_T0_E_clISt17integral_constantIbLb0EES1O_IbLb1EEEEDaS1K_S1L_EUlS1K_E_NS1_11comp_targetILNS1_3genE4ELNS1_11target_archE910ELNS1_3gpuE8ELNS1_3repE0EEENS1_30default_config_static_selectorELNS0_4arch9wavefront6targetE0EEEvSY_
                                        ; -- End function
	.set _ZN7rocprim17ROCPRIM_400000_NS6detail17trampoline_kernelINS0_13select_configILj256ELj13ELNS0_17block_load_methodE3ELS4_3ELS4_3ELNS0_20block_scan_algorithmE0ELj4294967295EEENS1_25partition_config_selectorILNS1_17partition_subalgoE3EjNS0_10empty_typeEbEEZZNS1_14partition_implILS8_3ELb0ES6_jNS0_17counting_iteratorIjlEEPS9_SE_NS0_5tupleIJPjSE_EEENSF_IJSE_SE_EEES9_SG_JZNS1_25segmented_radix_sort_implINS0_14default_configELb1EPKfPfPKlPlN2at6native12_GLOBAL__N_18offset_tEEE10hipError_tPvRmT1_PNSt15iterator_traitsISY_E10value_typeET2_T3_PNSZ_IS14_E10value_typeET4_jRbjT5_S1A_jjP12ihipStream_tbEUljE_EEESV_SW_SX_S14_S18_S1A_T6_T7_T9_mT8_S1C_bDpT10_ENKUlT_T0_E_clISt17integral_constantIbLb0EES1O_IbLb1EEEEDaS1K_S1L_EUlS1K_E_NS1_11comp_targetILNS1_3genE4ELNS1_11target_archE910ELNS1_3gpuE8ELNS1_3repE0EEENS1_30default_config_static_selectorELNS0_4arch9wavefront6targetE0EEEvSY_.num_vgpr, 0
	.set _ZN7rocprim17ROCPRIM_400000_NS6detail17trampoline_kernelINS0_13select_configILj256ELj13ELNS0_17block_load_methodE3ELS4_3ELS4_3ELNS0_20block_scan_algorithmE0ELj4294967295EEENS1_25partition_config_selectorILNS1_17partition_subalgoE3EjNS0_10empty_typeEbEEZZNS1_14partition_implILS8_3ELb0ES6_jNS0_17counting_iteratorIjlEEPS9_SE_NS0_5tupleIJPjSE_EEENSF_IJSE_SE_EEES9_SG_JZNS1_25segmented_radix_sort_implINS0_14default_configELb1EPKfPfPKlPlN2at6native12_GLOBAL__N_18offset_tEEE10hipError_tPvRmT1_PNSt15iterator_traitsISY_E10value_typeET2_T3_PNSZ_IS14_E10value_typeET4_jRbjT5_S1A_jjP12ihipStream_tbEUljE_EEESV_SW_SX_S14_S18_S1A_T6_T7_T9_mT8_S1C_bDpT10_ENKUlT_T0_E_clISt17integral_constantIbLb0EES1O_IbLb1EEEEDaS1K_S1L_EUlS1K_E_NS1_11comp_targetILNS1_3genE4ELNS1_11target_archE910ELNS1_3gpuE8ELNS1_3repE0EEENS1_30default_config_static_selectorELNS0_4arch9wavefront6targetE0EEEvSY_.num_agpr, 0
	.set _ZN7rocprim17ROCPRIM_400000_NS6detail17trampoline_kernelINS0_13select_configILj256ELj13ELNS0_17block_load_methodE3ELS4_3ELS4_3ELNS0_20block_scan_algorithmE0ELj4294967295EEENS1_25partition_config_selectorILNS1_17partition_subalgoE3EjNS0_10empty_typeEbEEZZNS1_14partition_implILS8_3ELb0ES6_jNS0_17counting_iteratorIjlEEPS9_SE_NS0_5tupleIJPjSE_EEENSF_IJSE_SE_EEES9_SG_JZNS1_25segmented_radix_sort_implINS0_14default_configELb1EPKfPfPKlPlN2at6native12_GLOBAL__N_18offset_tEEE10hipError_tPvRmT1_PNSt15iterator_traitsISY_E10value_typeET2_T3_PNSZ_IS14_E10value_typeET4_jRbjT5_S1A_jjP12ihipStream_tbEUljE_EEESV_SW_SX_S14_S18_S1A_T6_T7_T9_mT8_S1C_bDpT10_ENKUlT_T0_E_clISt17integral_constantIbLb0EES1O_IbLb1EEEEDaS1K_S1L_EUlS1K_E_NS1_11comp_targetILNS1_3genE4ELNS1_11target_archE910ELNS1_3gpuE8ELNS1_3repE0EEENS1_30default_config_static_selectorELNS0_4arch9wavefront6targetE0EEEvSY_.numbered_sgpr, 0
	.set _ZN7rocprim17ROCPRIM_400000_NS6detail17trampoline_kernelINS0_13select_configILj256ELj13ELNS0_17block_load_methodE3ELS4_3ELS4_3ELNS0_20block_scan_algorithmE0ELj4294967295EEENS1_25partition_config_selectorILNS1_17partition_subalgoE3EjNS0_10empty_typeEbEEZZNS1_14partition_implILS8_3ELb0ES6_jNS0_17counting_iteratorIjlEEPS9_SE_NS0_5tupleIJPjSE_EEENSF_IJSE_SE_EEES9_SG_JZNS1_25segmented_radix_sort_implINS0_14default_configELb1EPKfPfPKlPlN2at6native12_GLOBAL__N_18offset_tEEE10hipError_tPvRmT1_PNSt15iterator_traitsISY_E10value_typeET2_T3_PNSZ_IS14_E10value_typeET4_jRbjT5_S1A_jjP12ihipStream_tbEUljE_EEESV_SW_SX_S14_S18_S1A_T6_T7_T9_mT8_S1C_bDpT10_ENKUlT_T0_E_clISt17integral_constantIbLb0EES1O_IbLb1EEEEDaS1K_S1L_EUlS1K_E_NS1_11comp_targetILNS1_3genE4ELNS1_11target_archE910ELNS1_3gpuE8ELNS1_3repE0EEENS1_30default_config_static_selectorELNS0_4arch9wavefront6targetE0EEEvSY_.num_named_barrier, 0
	.set _ZN7rocprim17ROCPRIM_400000_NS6detail17trampoline_kernelINS0_13select_configILj256ELj13ELNS0_17block_load_methodE3ELS4_3ELS4_3ELNS0_20block_scan_algorithmE0ELj4294967295EEENS1_25partition_config_selectorILNS1_17partition_subalgoE3EjNS0_10empty_typeEbEEZZNS1_14partition_implILS8_3ELb0ES6_jNS0_17counting_iteratorIjlEEPS9_SE_NS0_5tupleIJPjSE_EEENSF_IJSE_SE_EEES9_SG_JZNS1_25segmented_radix_sort_implINS0_14default_configELb1EPKfPfPKlPlN2at6native12_GLOBAL__N_18offset_tEEE10hipError_tPvRmT1_PNSt15iterator_traitsISY_E10value_typeET2_T3_PNSZ_IS14_E10value_typeET4_jRbjT5_S1A_jjP12ihipStream_tbEUljE_EEESV_SW_SX_S14_S18_S1A_T6_T7_T9_mT8_S1C_bDpT10_ENKUlT_T0_E_clISt17integral_constantIbLb0EES1O_IbLb1EEEEDaS1K_S1L_EUlS1K_E_NS1_11comp_targetILNS1_3genE4ELNS1_11target_archE910ELNS1_3gpuE8ELNS1_3repE0EEENS1_30default_config_static_selectorELNS0_4arch9wavefront6targetE0EEEvSY_.private_seg_size, 0
	.set _ZN7rocprim17ROCPRIM_400000_NS6detail17trampoline_kernelINS0_13select_configILj256ELj13ELNS0_17block_load_methodE3ELS4_3ELS4_3ELNS0_20block_scan_algorithmE0ELj4294967295EEENS1_25partition_config_selectorILNS1_17partition_subalgoE3EjNS0_10empty_typeEbEEZZNS1_14partition_implILS8_3ELb0ES6_jNS0_17counting_iteratorIjlEEPS9_SE_NS0_5tupleIJPjSE_EEENSF_IJSE_SE_EEES9_SG_JZNS1_25segmented_radix_sort_implINS0_14default_configELb1EPKfPfPKlPlN2at6native12_GLOBAL__N_18offset_tEEE10hipError_tPvRmT1_PNSt15iterator_traitsISY_E10value_typeET2_T3_PNSZ_IS14_E10value_typeET4_jRbjT5_S1A_jjP12ihipStream_tbEUljE_EEESV_SW_SX_S14_S18_S1A_T6_T7_T9_mT8_S1C_bDpT10_ENKUlT_T0_E_clISt17integral_constantIbLb0EES1O_IbLb1EEEEDaS1K_S1L_EUlS1K_E_NS1_11comp_targetILNS1_3genE4ELNS1_11target_archE910ELNS1_3gpuE8ELNS1_3repE0EEENS1_30default_config_static_selectorELNS0_4arch9wavefront6targetE0EEEvSY_.uses_vcc, 0
	.set _ZN7rocprim17ROCPRIM_400000_NS6detail17trampoline_kernelINS0_13select_configILj256ELj13ELNS0_17block_load_methodE3ELS4_3ELS4_3ELNS0_20block_scan_algorithmE0ELj4294967295EEENS1_25partition_config_selectorILNS1_17partition_subalgoE3EjNS0_10empty_typeEbEEZZNS1_14partition_implILS8_3ELb0ES6_jNS0_17counting_iteratorIjlEEPS9_SE_NS0_5tupleIJPjSE_EEENSF_IJSE_SE_EEES9_SG_JZNS1_25segmented_radix_sort_implINS0_14default_configELb1EPKfPfPKlPlN2at6native12_GLOBAL__N_18offset_tEEE10hipError_tPvRmT1_PNSt15iterator_traitsISY_E10value_typeET2_T3_PNSZ_IS14_E10value_typeET4_jRbjT5_S1A_jjP12ihipStream_tbEUljE_EEESV_SW_SX_S14_S18_S1A_T6_T7_T9_mT8_S1C_bDpT10_ENKUlT_T0_E_clISt17integral_constantIbLb0EES1O_IbLb1EEEEDaS1K_S1L_EUlS1K_E_NS1_11comp_targetILNS1_3genE4ELNS1_11target_archE910ELNS1_3gpuE8ELNS1_3repE0EEENS1_30default_config_static_selectorELNS0_4arch9wavefront6targetE0EEEvSY_.uses_flat_scratch, 0
	.set _ZN7rocprim17ROCPRIM_400000_NS6detail17trampoline_kernelINS0_13select_configILj256ELj13ELNS0_17block_load_methodE3ELS4_3ELS4_3ELNS0_20block_scan_algorithmE0ELj4294967295EEENS1_25partition_config_selectorILNS1_17partition_subalgoE3EjNS0_10empty_typeEbEEZZNS1_14partition_implILS8_3ELb0ES6_jNS0_17counting_iteratorIjlEEPS9_SE_NS0_5tupleIJPjSE_EEENSF_IJSE_SE_EEES9_SG_JZNS1_25segmented_radix_sort_implINS0_14default_configELb1EPKfPfPKlPlN2at6native12_GLOBAL__N_18offset_tEEE10hipError_tPvRmT1_PNSt15iterator_traitsISY_E10value_typeET2_T3_PNSZ_IS14_E10value_typeET4_jRbjT5_S1A_jjP12ihipStream_tbEUljE_EEESV_SW_SX_S14_S18_S1A_T6_T7_T9_mT8_S1C_bDpT10_ENKUlT_T0_E_clISt17integral_constantIbLb0EES1O_IbLb1EEEEDaS1K_S1L_EUlS1K_E_NS1_11comp_targetILNS1_3genE4ELNS1_11target_archE910ELNS1_3gpuE8ELNS1_3repE0EEENS1_30default_config_static_selectorELNS0_4arch9wavefront6targetE0EEEvSY_.has_dyn_sized_stack, 0
	.set _ZN7rocprim17ROCPRIM_400000_NS6detail17trampoline_kernelINS0_13select_configILj256ELj13ELNS0_17block_load_methodE3ELS4_3ELS4_3ELNS0_20block_scan_algorithmE0ELj4294967295EEENS1_25partition_config_selectorILNS1_17partition_subalgoE3EjNS0_10empty_typeEbEEZZNS1_14partition_implILS8_3ELb0ES6_jNS0_17counting_iteratorIjlEEPS9_SE_NS0_5tupleIJPjSE_EEENSF_IJSE_SE_EEES9_SG_JZNS1_25segmented_radix_sort_implINS0_14default_configELb1EPKfPfPKlPlN2at6native12_GLOBAL__N_18offset_tEEE10hipError_tPvRmT1_PNSt15iterator_traitsISY_E10value_typeET2_T3_PNSZ_IS14_E10value_typeET4_jRbjT5_S1A_jjP12ihipStream_tbEUljE_EEESV_SW_SX_S14_S18_S1A_T6_T7_T9_mT8_S1C_bDpT10_ENKUlT_T0_E_clISt17integral_constantIbLb0EES1O_IbLb1EEEEDaS1K_S1L_EUlS1K_E_NS1_11comp_targetILNS1_3genE4ELNS1_11target_archE910ELNS1_3gpuE8ELNS1_3repE0EEENS1_30default_config_static_selectorELNS0_4arch9wavefront6targetE0EEEvSY_.has_recursion, 0
	.set _ZN7rocprim17ROCPRIM_400000_NS6detail17trampoline_kernelINS0_13select_configILj256ELj13ELNS0_17block_load_methodE3ELS4_3ELS4_3ELNS0_20block_scan_algorithmE0ELj4294967295EEENS1_25partition_config_selectorILNS1_17partition_subalgoE3EjNS0_10empty_typeEbEEZZNS1_14partition_implILS8_3ELb0ES6_jNS0_17counting_iteratorIjlEEPS9_SE_NS0_5tupleIJPjSE_EEENSF_IJSE_SE_EEES9_SG_JZNS1_25segmented_radix_sort_implINS0_14default_configELb1EPKfPfPKlPlN2at6native12_GLOBAL__N_18offset_tEEE10hipError_tPvRmT1_PNSt15iterator_traitsISY_E10value_typeET2_T3_PNSZ_IS14_E10value_typeET4_jRbjT5_S1A_jjP12ihipStream_tbEUljE_EEESV_SW_SX_S14_S18_S1A_T6_T7_T9_mT8_S1C_bDpT10_ENKUlT_T0_E_clISt17integral_constantIbLb0EES1O_IbLb1EEEEDaS1K_S1L_EUlS1K_E_NS1_11comp_targetILNS1_3genE4ELNS1_11target_archE910ELNS1_3gpuE8ELNS1_3repE0EEENS1_30default_config_static_selectorELNS0_4arch9wavefront6targetE0EEEvSY_.has_indirect_call, 0
	.section	.AMDGPU.csdata,"",@progbits
; Kernel info:
; codeLenInByte = 0
; TotalNumSgprs: 0
; NumVgprs: 0
; ScratchSize: 0
; MemoryBound: 0
; FloatMode: 240
; IeeeMode: 1
; LDSByteSize: 0 bytes/workgroup (compile time only)
; SGPRBlocks: 0
; VGPRBlocks: 0
; NumSGPRsForWavesPerEU: 1
; NumVGPRsForWavesPerEU: 1
; Occupancy: 16
; WaveLimiterHint : 0
; COMPUTE_PGM_RSRC2:SCRATCH_EN: 0
; COMPUTE_PGM_RSRC2:USER_SGPR: 6
; COMPUTE_PGM_RSRC2:TRAP_HANDLER: 0
; COMPUTE_PGM_RSRC2:TGID_X_EN: 1
; COMPUTE_PGM_RSRC2:TGID_Y_EN: 0
; COMPUTE_PGM_RSRC2:TGID_Z_EN: 0
; COMPUTE_PGM_RSRC2:TIDIG_COMP_CNT: 0
	.section	.text._ZN7rocprim17ROCPRIM_400000_NS6detail17trampoline_kernelINS0_13select_configILj256ELj13ELNS0_17block_load_methodE3ELS4_3ELS4_3ELNS0_20block_scan_algorithmE0ELj4294967295EEENS1_25partition_config_selectorILNS1_17partition_subalgoE3EjNS0_10empty_typeEbEEZZNS1_14partition_implILS8_3ELb0ES6_jNS0_17counting_iteratorIjlEEPS9_SE_NS0_5tupleIJPjSE_EEENSF_IJSE_SE_EEES9_SG_JZNS1_25segmented_radix_sort_implINS0_14default_configELb1EPKfPfPKlPlN2at6native12_GLOBAL__N_18offset_tEEE10hipError_tPvRmT1_PNSt15iterator_traitsISY_E10value_typeET2_T3_PNSZ_IS14_E10value_typeET4_jRbjT5_S1A_jjP12ihipStream_tbEUljE_EEESV_SW_SX_S14_S18_S1A_T6_T7_T9_mT8_S1C_bDpT10_ENKUlT_T0_E_clISt17integral_constantIbLb0EES1O_IbLb1EEEEDaS1K_S1L_EUlS1K_E_NS1_11comp_targetILNS1_3genE3ELNS1_11target_archE908ELNS1_3gpuE7ELNS1_3repE0EEENS1_30default_config_static_selectorELNS0_4arch9wavefront6targetE0EEEvSY_,"axG",@progbits,_ZN7rocprim17ROCPRIM_400000_NS6detail17trampoline_kernelINS0_13select_configILj256ELj13ELNS0_17block_load_methodE3ELS4_3ELS4_3ELNS0_20block_scan_algorithmE0ELj4294967295EEENS1_25partition_config_selectorILNS1_17partition_subalgoE3EjNS0_10empty_typeEbEEZZNS1_14partition_implILS8_3ELb0ES6_jNS0_17counting_iteratorIjlEEPS9_SE_NS0_5tupleIJPjSE_EEENSF_IJSE_SE_EEES9_SG_JZNS1_25segmented_radix_sort_implINS0_14default_configELb1EPKfPfPKlPlN2at6native12_GLOBAL__N_18offset_tEEE10hipError_tPvRmT1_PNSt15iterator_traitsISY_E10value_typeET2_T3_PNSZ_IS14_E10value_typeET4_jRbjT5_S1A_jjP12ihipStream_tbEUljE_EEESV_SW_SX_S14_S18_S1A_T6_T7_T9_mT8_S1C_bDpT10_ENKUlT_T0_E_clISt17integral_constantIbLb0EES1O_IbLb1EEEEDaS1K_S1L_EUlS1K_E_NS1_11comp_targetILNS1_3genE3ELNS1_11target_archE908ELNS1_3gpuE7ELNS1_3repE0EEENS1_30default_config_static_selectorELNS0_4arch9wavefront6targetE0EEEvSY_,comdat
	.globl	_ZN7rocprim17ROCPRIM_400000_NS6detail17trampoline_kernelINS0_13select_configILj256ELj13ELNS0_17block_load_methodE3ELS4_3ELS4_3ELNS0_20block_scan_algorithmE0ELj4294967295EEENS1_25partition_config_selectorILNS1_17partition_subalgoE3EjNS0_10empty_typeEbEEZZNS1_14partition_implILS8_3ELb0ES6_jNS0_17counting_iteratorIjlEEPS9_SE_NS0_5tupleIJPjSE_EEENSF_IJSE_SE_EEES9_SG_JZNS1_25segmented_radix_sort_implINS0_14default_configELb1EPKfPfPKlPlN2at6native12_GLOBAL__N_18offset_tEEE10hipError_tPvRmT1_PNSt15iterator_traitsISY_E10value_typeET2_T3_PNSZ_IS14_E10value_typeET4_jRbjT5_S1A_jjP12ihipStream_tbEUljE_EEESV_SW_SX_S14_S18_S1A_T6_T7_T9_mT8_S1C_bDpT10_ENKUlT_T0_E_clISt17integral_constantIbLb0EES1O_IbLb1EEEEDaS1K_S1L_EUlS1K_E_NS1_11comp_targetILNS1_3genE3ELNS1_11target_archE908ELNS1_3gpuE7ELNS1_3repE0EEENS1_30default_config_static_selectorELNS0_4arch9wavefront6targetE0EEEvSY_ ; -- Begin function _ZN7rocprim17ROCPRIM_400000_NS6detail17trampoline_kernelINS0_13select_configILj256ELj13ELNS0_17block_load_methodE3ELS4_3ELS4_3ELNS0_20block_scan_algorithmE0ELj4294967295EEENS1_25partition_config_selectorILNS1_17partition_subalgoE3EjNS0_10empty_typeEbEEZZNS1_14partition_implILS8_3ELb0ES6_jNS0_17counting_iteratorIjlEEPS9_SE_NS0_5tupleIJPjSE_EEENSF_IJSE_SE_EEES9_SG_JZNS1_25segmented_radix_sort_implINS0_14default_configELb1EPKfPfPKlPlN2at6native12_GLOBAL__N_18offset_tEEE10hipError_tPvRmT1_PNSt15iterator_traitsISY_E10value_typeET2_T3_PNSZ_IS14_E10value_typeET4_jRbjT5_S1A_jjP12ihipStream_tbEUljE_EEESV_SW_SX_S14_S18_S1A_T6_T7_T9_mT8_S1C_bDpT10_ENKUlT_T0_E_clISt17integral_constantIbLb0EES1O_IbLb1EEEEDaS1K_S1L_EUlS1K_E_NS1_11comp_targetILNS1_3genE3ELNS1_11target_archE908ELNS1_3gpuE7ELNS1_3repE0EEENS1_30default_config_static_selectorELNS0_4arch9wavefront6targetE0EEEvSY_
	.p2align	8
	.type	_ZN7rocprim17ROCPRIM_400000_NS6detail17trampoline_kernelINS0_13select_configILj256ELj13ELNS0_17block_load_methodE3ELS4_3ELS4_3ELNS0_20block_scan_algorithmE0ELj4294967295EEENS1_25partition_config_selectorILNS1_17partition_subalgoE3EjNS0_10empty_typeEbEEZZNS1_14partition_implILS8_3ELb0ES6_jNS0_17counting_iteratorIjlEEPS9_SE_NS0_5tupleIJPjSE_EEENSF_IJSE_SE_EEES9_SG_JZNS1_25segmented_radix_sort_implINS0_14default_configELb1EPKfPfPKlPlN2at6native12_GLOBAL__N_18offset_tEEE10hipError_tPvRmT1_PNSt15iterator_traitsISY_E10value_typeET2_T3_PNSZ_IS14_E10value_typeET4_jRbjT5_S1A_jjP12ihipStream_tbEUljE_EEESV_SW_SX_S14_S18_S1A_T6_T7_T9_mT8_S1C_bDpT10_ENKUlT_T0_E_clISt17integral_constantIbLb0EES1O_IbLb1EEEEDaS1K_S1L_EUlS1K_E_NS1_11comp_targetILNS1_3genE3ELNS1_11target_archE908ELNS1_3gpuE7ELNS1_3repE0EEENS1_30default_config_static_selectorELNS0_4arch9wavefront6targetE0EEEvSY_,@function
_ZN7rocprim17ROCPRIM_400000_NS6detail17trampoline_kernelINS0_13select_configILj256ELj13ELNS0_17block_load_methodE3ELS4_3ELS4_3ELNS0_20block_scan_algorithmE0ELj4294967295EEENS1_25partition_config_selectorILNS1_17partition_subalgoE3EjNS0_10empty_typeEbEEZZNS1_14partition_implILS8_3ELb0ES6_jNS0_17counting_iteratorIjlEEPS9_SE_NS0_5tupleIJPjSE_EEENSF_IJSE_SE_EEES9_SG_JZNS1_25segmented_radix_sort_implINS0_14default_configELb1EPKfPfPKlPlN2at6native12_GLOBAL__N_18offset_tEEE10hipError_tPvRmT1_PNSt15iterator_traitsISY_E10value_typeET2_T3_PNSZ_IS14_E10value_typeET4_jRbjT5_S1A_jjP12ihipStream_tbEUljE_EEESV_SW_SX_S14_S18_S1A_T6_T7_T9_mT8_S1C_bDpT10_ENKUlT_T0_E_clISt17integral_constantIbLb0EES1O_IbLb1EEEEDaS1K_S1L_EUlS1K_E_NS1_11comp_targetILNS1_3genE3ELNS1_11target_archE908ELNS1_3gpuE7ELNS1_3repE0EEENS1_30default_config_static_selectorELNS0_4arch9wavefront6targetE0EEEvSY_: ; @_ZN7rocprim17ROCPRIM_400000_NS6detail17trampoline_kernelINS0_13select_configILj256ELj13ELNS0_17block_load_methodE3ELS4_3ELS4_3ELNS0_20block_scan_algorithmE0ELj4294967295EEENS1_25partition_config_selectorILNS1_17partition_subalgoE3EjNS0_10empty_typeEbEEZZNS1_14partition_implILS8_3ELb0ES6_jNS0_17counting_iteratorIjlEEPS9_SE_NS0_5tupleIJPjSE_EEENSF_IJSE_SE_EEES9_SG_JZNS1_25segmented_radix_sort_implINS0_14default_configELb1EPKfPfPKlPlN2at6native12_GLOBAL__N_18offset_tEEE10hipError_tPvRmT1_PNSt15iterator_traitsISY_E10value_typeET2_T3_PNSZ_IS14_E10value_typeET4_jRbjT5_S1A_jjP12ihipStream_tbEUljE_EEESV_SW_SX_S14_S18_S1A_T6_T7_T9_mT8_S1C_bDpT10_ENKUlT_T0_E_clISt17integral_constantIbLb0EES1O_IbLb1EEEEDaS1K_S1L_EUlS1K_E_NS1_11comp_targetILNS1_3genE3ELNS1_11target_archE908ELNS1_3gpuE7ELNS1_3repE0EEENS1_30default_config_static_selectorELNS0_4arch9wavefront6targetE0EEEvSY_
; %bb.0:
	.section	.rodata,"a",@progbits
	.p2align	6, 0x0
	.amdhsa_kernel _ZN7rocprim17ROCPRIM_400000_NS6detail17trampoline_kernelINS0_13select_configILj256ELj13ELNS0_17block_load_methodE3ELS4_3ELS4_3ELNS0_20block_scan_algorithmE0ELj4294967295EEENS1_25partition_config_selectorILNS1_17partition_subalgoE3EjNS0_10empty_typeEbEEZZNS1_14partition_implILS8_3ELb0ES6_jNS0_17counting_iteratorIjlEEPS9_SE_NS0_5tupleIJPjSE_EEENSF_IJSE_SE_EEES9_SG_JZNS1_25segmented_radix_sort_implINS0_14default_configELb1EPKfPfPKlPlN2at6native12_GLOBAL__N_18offset_tEEE10hipError_tPvRmT1_PNSt15iterator_traitsISY_E10value_typeET2_T3_PNSZ_IS14_E10value_typeET4_jRbjT5_S1A_jjP12ihipStream_tbEUljE_EEESV_SW_SX_S14_S18_S1A_T6_T7_T9_mT8_S1C_bDpT10_ENKUlT_T0_E_clISt17integral_constantIbLb0EES1O_IbLb1EEEEDaS1K_S1L_EUlS1K_E_NS1_11comp_targetILNS1_3genE3ELNS1_11target_archE908ELNS1_3gpuE7ELNS1_3repE0EEENS1_30default_config_static_selectorELNS0_4arch9wavefront6targetE0EEEvSY_
		.amdhsa_group_segment_fixed_size 0
		.amdhsa_private_segment_fixed_size 0
		.amdhsa_kernarg_size 152
		.amdhsa_user_sgpr_count 6
		.amdhsa_user_sgpr_private_segment_buffer 1
		.amdhsa_user_sgpr_dispatch_ptr 0
		.amdhsa_user_sgpr_queue_ptr 0
		.amdhsa_user_sgpr_kernarg_segment_ptr 1
		.amdhsa_user_sgpr_dispatch_id 0
		.amdhsa_user_sgpr_flat_scratch_init 0
		.amdhsa_user_sgpr_private_segment_size 0
		.amdhsa_wavefront_size32 1
		.amdhsa_uses_dynamic_stack 0
		.amdhsa_system_sgpr_private_segment_wavefront_offset 0
		.amdhsa_system_sgpr_workgroup_id_x 1
		.amdhsa_system_sgpr_workgroup_id_y 0
		.amdhsa_system_sgpr_workgroup_id_z 0
		.amdhsa_system_sgpr_workgroup_info 0
		.amdhsa_system_vgpr_workitem_id 0
		.amdhsa_next_free_vgpr 1
		.amdhsa_next_free_sgpr 1
		.amdhsa_reserve_vcc 0
		.amdhsa_reserve_flat_scratch 0
		.amdhsa_float_round_mode_32 0
		.amdhsa_float_round_mode_16_64 0
		.amdhsa_float_denorm_mode_32 3
		.amdhsa_float_denorm_mode_16_64 3
		.amdhsa_dx10_clamp 1
		.amdhsa_ieee_mode 1
		.amdhsa_fp16_overflow 0
		.amdhsa_workgroup_processor_mode 1
		.amdhsa_memory_ordered 1
		.amdhsa_forward_progress 1
		.amdhsa_shared_vgpr_count 0
		.amdhsa_exception_fp_ieee_invalid_op 0
		.amdhsa_exception_fp_denorm_src 0
		.amdhsa_exception_fp_ieee_div_zero 0
		.amdhsa_exception_fp_ieee_overflow 0
		.amdhsa_exception_fp_ieee_underflow 0
		.amdhsa_exception_fp_ieee_inexact 0
		.amdhsa_exception_int_div_zero 0
	.end_amdhsa_kernel
	.section	.text._ZN7rocprim17ROCPRIM_400000_NS6detail17trampoline_kernelINS0_13select_configILj256ELj13ELNS0_17block_load_methodE3ELS4_3ELS4_3ELNS0_20block_scan_algorithmE0ELj4294967295EEENS1_25partition_config_selectorILNS1_17partition_subalgoE3EjNS0_10empty_typeEbEEZZNS1_14partition_implILS8_3ELb0ES6_jNS0_17counting_iteratorIjlEEPS9_SE_NS0_5tupleIJPjSE_EEENSF_IJSE_SE_EEES9_SG_JZNS1_25segmented_radix_sort_implINS0_14default_configELb1EPKfPfPKlPlN2at6native12_GLOBAL__N_18offset_tEEE10hipError_tPvRmT1_PNSt15iterator_traitsISY_E10value_typeET2_T3_PNSZ_IS14_E10value_typeET4_jRbjT5_S1A_jjP12ihipStream_tbEUljE_EEESV_SW_SX_S14_S18_S1A_T6_T7_T9_mT8_S1C_bDpT10_ENKUlT_T0_E_clISt17integral_constantIbLb0EES1O_IbLb1EEEEDaS1K_S1L_EUlS1K_E_NS1_11comp_targetILNS1_3genE3ELNS1_11target_archE908ELNS1_3gpuE7ELNS1_3repE0EEENS1_30default_config_static_selectorELNS0_4arch9wavefront6targetE0EEEvSY_,"axG",@progbits,_ZN7rocprim17ROCPRIM_400000_NS6detail17trampoline_kernelINS0_13select_configILj256ELj13ELNS0_17block_load_methodE3ELS4_3ELS4_3ELNS0_20block_scan_algorithmE0ELj4294967295EEENS1_25partition_config_selectorILNS1_17partition_subalgoE3EjNS0_10empty_typeEbEEZZNS1_14partition_implILS8_3ELb0ES6_jNS0_17counting_iteratorIjlEEPS9_SE_NS0_5tupleIJPjSE_EEENSF_IJSE_SE_EEES9_SG_JZNS1_25segmented_radix_sort_implINS0_14default_configELb1EPKfPfPKlPlN2at6native12_GLOBAL__N_18offset_tEEE10hipError_tPvRmT1_PNSt15iterator_traitsISY_E10value_typeET2_T3_PNSZ_IS14_E10value_typeET4_jRbjT5_S1A_jjP12ihipStream_tbEUljE_EEESV_SW_SX_S14_S18_S1A_T6_T7_T9_mT8_S1C_bDpT10_ENKUlT_T0_E_clISt17integral_constantIbLb0EES1O_IbLb1EEEEDaS1K_S1L_EUlS1K_E_NS1_11comp_targetILNS1_3genE3ELNS1_11target_archE908ELNS1_3gpuE7ELNS1_3repE0EEENS1_30default_config_static_selectorELNS0_4arch9wavefront6targetE0EEEvSY_,comdat
.Lfunc_end1312:
	.size	_ZN7rocprim17ROCPRIM_400000_NS6detail17trampoline_kernelINS0_13select_configILj256ELj13ELNS0_17block_load_methodE3ELS4_3ELS4_3ELNS0_20block_scan_algorithmE0ELj4294967295EEENS1_25partition_config_selectorILNS1_17partition_subalgoE3EjNS0_10empty_typeEbEEZZNS1_14partition_implILS8_3ELb0ES6_jNS0_17counting_iteratorIjlEEPS9_SE_NS0_5tupleIJPjSE_EEENSF_IJSE_SE_EEES9_SG_JZNS1_25segmented_radix_sort_implINS0_14default_configELb1EPKfPfPKlPlN2at6native12_GLOBAL__N_18offset_tEEE10hipError_tPvRmT1_PNSt15iterator_traitsISY_E10value_typeET2_T3_PNSZ_IS14_E10value_typeET4_jRbjT5_S1A_jjP12ihipStream_tbEUljE_EEESV_SW_SX_S14_S18_S1A_T6_T7_T9_mT8_S1C_bDpT10_ENKUlT_T0_E_clISt17integral_constantIbLb0EES1O_IbLb1EEEEDaS1K_S1L_EUlS1K_E_NS1_11comp_targetILNS1_3genE3ELNS1_11target_archE908ELNS1_3gpuE7ELNS1_3repE0EEENS1_30default_config_static_selectorELNS0_4arch9wavefront6targetE0EEEvSY_, .Lfunc_end1312-_ZN7rocprim17ROCPRIM_400000_NS6detail17trampoline_kernelINS0_13select_configILj256ELj13ELNS0_17block_load_methodE3ELS4_3ELS4_3ELNS0_20block_scan_algorithmE0ELj4294967295EEENS1_25partition_config_selectorILNS1_17partition_subalgoE3EjNS0_10empty_typeEbEEZZNS1_14partition_implILS8_3ELb0ES6_jNS0_17counting_iteratorIjlEEPS9_SE_NS0_5tupleIJPjSE_EEENSF_IJSE_SE_EEES9_SG_JZNS1_25segmented_radix_sort_implINS0_14default_configELb1EPKfPfPKlPlN2at6native12_GLOBAL__N_18offset_tEEE10hipError_tPvRmT1_PNSt15iterator_traitsISY_E10value_typeET2_T3_PNSZ_IS14_E10value_typeET4_jRbjT5_S1A_jjP12ihipStream_tbEUljE_EEESV_SW_SX_S14_S18_S1A_T6_T7_T9_mT8_S1C_bDpT10_ENKUlT_T0_E_clISt17integral_constantIbLb0EES1O_IbLb1EEEEDaS1K_S1L_EUlS1K_E_NS1_11comp_targetILNS1_3genE3ELNS1_11target_archE908ELNS1_3gpuE7ELNS1_3repE0EEENS1_30default_config_static_selectorELNS0_4arch9wavefront6targetE0EEEvSY_
                                        ; -- End function
	.set _ZN7rocprim17ROCPRIM_400000_NS6detail17trampoline_kernelINS0_13select_configILj256ELj13ELNS0_17block_load_methodE3ELS4_3ELS4_3ELNS0_20block_scan_algorithmE0ELj4294967295EEENS1_25partition_config_selectorILNS1_17partition_subalgoE3EjNS0_10empty_typeEbEEZZNS1_14partition_implILS8_3ELb0ES6_jNS0_17counting_iteratorIjlEEPS9_SE_NS0_5tupleIJPjSE_EEENSF_IJSE_SE_EEES9_SG_JZNS1_25segmented_radix_sort_implINS0_14default_configELb1EPKfPfPKlPlN2at6native12_GLOBAL__N_18offset_tEEE10hipError_tPvRmT1_PNSt15iterator_traitsISY_E10value_typeET2_T3_PNSZ_IS14_E10value_typeET4_jRbjT5_S1A_jjP12ihipStream_tbEUljE_EEESV_SW_SX_S14_S18_S1A_T6_T7_T9_mT8_S1C_bDpT10_ENKUlT_T0_E_clISt17integral_constantIbLb0EES1O_IbLb1EEEEDaS1K_S1L_EUlS1K_E_NS1_11comp_targetILNS1_3genE3ELNS1_11target_archE908ELNS1_3gpuE7ELNS1_3repE0EEENS1_30default_config_static_selectorELNS0_4arch9wavefront6targetE0EEEvSY_.num_vgpr, 0
	.set _ZN7rocprim17ROCPRIM_400000_NS6detail17trampoline_kernelINS0_13select_configILj256ELj13ELNS0_17block_load_methodE3ELS4_3ELS4_3ELNS0_20block_scan_algorithmE0ELj4294967295EEENS1_25partition_config_selectorILNS1_17partition_subalgoE3EjNS0_10empty_typeEbEEZZNS1_14partition_implILS8_3ELb0ES6_jNS0_17counting_iteratorIjlEEPS9_SE_NS0_5tupleIJPjSE_EEENSF_IJSE_SE_EEES9_SG_JZNS1_25segmented_radix_sort_implINS0_14default_configELb1EPKfPfPKlPlN2at6native12_GLOBAL__N_18offset_tEEE10hipError_tPvRmT1_PNSt15iterator_traitsISY_E10value_typeET2_T3_PNSZ_IS14_E10value_typeET4_jRbjT5_S1A_jjP12ihipStream_tbEUljE_EEESV_SW_SX_S14_S18_S1A_T6_T7_T9_mT8_S1C_bDpT10_ENKUlT_T0_E_clISt17integral_constantIbLb0EES1O_IbLb1EEEEDaS1K_S1L_EUlS1K_E_NS1_11comp_targetILNS1_3genE3ELNS1_11target_archE908ELNS1_3gpuE7ELNS1_3repE0EEENS1_30default_config_static_selectorELNS0_4arch9wavefront6targetE0EEEvSY_.num_agpr, 0
	.set _ZN7rocprim17ROCPRIM_400000_NS6detail17trampoline_kernelINS0_13select_configILj256ELj13ELNS0_17block_load_methodE3ELS4_3ELS4_3ELNS0_20block_scan_algorithmE0ELj4294967295EEENS1_25partition_config_selectorILNS1_17partition_subalgoE3EjNS0_10empty_typeEbEEZZNS1_14partition_implILS8_3ELb0ES6_jNS0_17counting_iteratorIjlEEPS9_SE_NS0_5tupleIJPjSE_EEENSF_IJSE_SE_EEES9_SG_JZNS1_25segmented_radix_sort_implINS0_14default_configELb1EPKfPfPKlPlN2at6native12_GLOBAL__N_18offset_tEEE10hipError_tPvRmT1_PNSt15iterator_traitsISY_E10value_typeET2_T3_PNSZ_IS14_E10value_typeET4_jRbjT5_S1A_jjP12ihipStream_tbEUljE_EEESV_SW_SX_S14_S18_S1A_T6_T7_T9_mT8_S1C_bDpT10_ENKUlT_T0_E_clISt17integral_constantIbLb0EES1O_IbLb1EEEEDaS1K_S1L_EUlS1K_E_NS1_11comp_targetILNS1_3genE3ELNS1_11target_archE908ELNS1_3gpuE7ELNS1_3repE0EEENS1_30default_config_static_selectorELNS0_4arch9wavefront6targetE0EEEvSY_.numbered_sgpr, 0
	.set _ZN7rocprim17ROCPRIM_400000_NS6detail17trampoline_kernelINS0_13select_configILj256ELj13ELNS0_17block_load_methodE3ELS4_3ELS4_3ELNS0_20block_scan_algorithmE0ELj4294967295EEENS1_25partition_config_selectorILNS1_17partition_subalgoE3EjNS0_10empty_typeEbEEZZNS1_14partition_implILS8_3ELb0ES6_jNS0_17counting_iteratorIjlEEPS9_SE_NS0_5tupleIJPjSE_EEENSF_IJSE_SE_EEES9_SG_JZNS1_25segmented_radix_sort_implINS0_14default_configELb1EPKfPfPKlPlN2at6native12_GLOBAL__N_18offset_tEEE10hipError_tPvRmT1_PNSt15iterator_traitsISY_E10value_typeET2_T3_PNSZ_IS14_E10value_typeET4_jRbjT5_S1A_jjP12ihipStream_tbEUljE_EEESV_SW_SX_S14_S18_S1A_T6_T7_T9_mT8_S1C_bDpT10_ENKUlT_T0_E_clISt17integral_constantIbLb0EES1O_IbLb1EEEEDaS1K_S1L_EUlS1K_E_NS1_11comp_targetILNS1_3genE3ELNS1_11target_archE908ELNS1_3gpuE7ELNS1_3repE0EEENS1_30default_config_static_selectorELNS0_4arch9wavefront6targetE0EEEvSY_.num_named_barrier, 0
	.set _ZN7rocprim17ROCPRIM_400000_NS6detail17trampoline_kernelINS0_13select_configILj256ELj13ELNS0_17block_load_methodE3ELS4_3ELS4_3ELNS0_20block_scan_algorithmE0ELj4294967295EEENS1_25partition_config_selectorILNS1_17partition_subalgoE3EjNS0_10empty_typeEbEEZZNS1_14partition_implILS8_3ELb0ES6_jNS0_17counting_iteratorIjlEEPS9_SE_NS0_5tupleIJPjSE_EEENSF_IJSE_SE_EEES9_SG_JZNS1_25segmented_radix_sort_implINS0_14default_configELb1EPKfPfPKlPlN2at6native12_GLOBAL__N_18offset_tEEE10hipError_tPvRmT1_PNSt15iterator_traitsISY_E10value_typeET2_T3_PNSZ_IS14_E10value_typeET4_jRbjT5_S1A_jjP12ihipStream_tbEUljE_EEESV_SW_SX_S14_S18_S1A_T6_T7_T9_mT8_S1C_bDpT10_ENKUlT_T0_E_clISt17integral_constantIbLb0EES1O_IbLb1EEEEDaS1K_S1L_EUlS1K_E_NS1_11comp_targetILNS1_3genE3ELNS1_11target_archE908ELNS1_3gpuE7ELNS1_3repE0EEENS1_30default_config_static_selectorELNS0_4arch9wavefront6targetE0EEEvSY_.private_seg_size, 0
	.set _ZN7rocprim17ROCPRIM_400000_NS6detail17trampoline_kernelINS0_13select_configILj256ELj13ELNS0_17block_load_methodE3ELS4_3ELS4_3ELNS0_20block_scan_algorithmE0ELj4294967295EEENS1_25partition_config_selectorILNS1_17partition_subalgoE3EjNS0_10empty_typeEbEEZZNS1_14partition_implILS8_3ELb0ES6_jNS0_17counting_iteratorIjlEEPS9_SE_NS0_5tupleIJPjSE_EEENSF_IJSE_SE_EEES9_SG_JZNS1_25segmented_radix_sort_implINS0_14default_configELb1EPKfPfPKlPlN2at6native12_GLOBAL__N_18offset_tEEE10hipError_tPvRmT1_PNSt15iterator_traitsISY_E10value_typeET2_T3_PNSZ_IS14_E10value_typeET4_jRbjT5_S1A_jjP12ihipStream_tbEUljE_EEESV_SW_SX_S14_S18_S1A_T6_T7_T9_mT8_S1C_bDpT10_ENKUlT_T0_E_clISt17integral_constantIbLb0EES1O_IbLb1EEEEDaS1K_S1L_EUlS1K_E_NS1_11comp_targetILNS1_3genE3ELNS1_11target_archE908ELNS1_3gpuE7ELNS1_3repE0EEENS1_30default_config_static_selectorELNS0_4arch9wavefront6targetE0EEEvSY_.uses_vcc, 0
	.set _ZN7rocprim17ROCPRIM_400000_NS6detail17trampoline_kernelINS0_13select_configILj256ELj13ELNS0_17block_load_methodE3ELS4_3ELS4_3ELNS0_20block_scan_algorithmE0ELj4294967295EEENS1_25partition_config_selectorILNS1_17partition_subalgoE3EjNS0_10empty_typeEbEEZZNS1_14partition_implILS8_3ELb0ES6_jNS0_17counting_iteratorIjlEEPS9_SE_NS0_5tupleIJPjSE_EEENSF_IJSE_SE_EEES9_SG_JZNS1_25segmented_radix_sort_implINS0_14default_configELb1EPKfPfPKlPlN2at6native12_GLOBAL__N_18offset_tEEE10hipError_tPvRmT1_PNSt15iterator_traitsISY_E10value_typeET2_T3_PNSZ_IS14_E10value_typeET4_jRbjT5_S1A_jjP12ihipStream_tbEUljE_EEESV_SW_SX_S14_S18_S1A_T6_T7_T9_mT8_S1C_bDpT10_ENKUlT_T0_E_clISt17integral_constantIbLb0EES1O_IbLb1EEEEDaS1K_S1L_EUlS1K_E_NS1_11comp_targetILNS1_3genE3ELNS1_11target_archE908ELNS1_3gpuE7ELNS1_3repE0EEENS1_30default_config_static_selectorELNS0_4arch9wavefront6targetE0EEEvSY_.uses_flat_scratch, 0
	.set _ZN7rocprim17ROCPRIM_400000_NS6detail17trampoline_kernelINS0_13select_configILj256ELj13ELNS0_17block_load_methodE3ELS4_3ELS4_3ELNS0_20block_scan_algorithmE0ELj4294967295EEENS1_25partition_config_selectorILNS1_17partition_subalgoE3EjNS0_10empty_typeEbEEZZNS1_14partition_implILS8_3ELb0ES6_jNS0_17counting_iteratorIjlEEPS9_SE_NS0_5tupleIJPjSE_EEENSF_IJSE_SE_EEES9_SG_JZNS1_25segmented_radix_sort_implINS0_14default_configELb1EPKfPfPKlPlN2at6native12_GLOBAL__N_18offset_tEEE10hipError_tPvRmT1_PNSt15iterator_traitsISY_E10value_typeET2_T3_PNSZ_IS14_E10value_typeET4_jRbjT5_S1A_jjP12ihipStream_tbEUljE_EEESV_SW_SX_S14_S18_S1A_T6_T7_T9_mT8_S1C_bDpT10_ENKUlT_T0_E_clISt17integral_constantIbLb0EES1O_IbLb1EEEEDaS1K_S1L_EUlS1K_E_NS1_11comp_targetILNS1_3genE3ELNS1_11target_archE908ELNS1_3gpuE7ELNS1_3repE0EEENS1_30default_config_static_selectorELNS0_4arch9wavefront6targetE0EEEvSY_.has_dyn_sized_stack, 0
	.set _ZN7rocprim17ROCPRIM_400000_NS6detail17trampoline_kernelINS0_13select_configILj256ELj13ELNS0_17block_load_methodE3ELS4_3ELS4_3ELNS0_20block_scan_algorithmE0ELj4294967295EEENS1_25partition_config_selectorILNS1_17partition_subalgoE3EjNS0_10empty_typeEbEEZZNS1_14partition_implILS8_3ELb0ES6_jNS0_17counting_iteratorIjlEEPS9_SE_NS0_5tupleIJPjSE_EEENSF_IJSE_SE_EEES9_SG_JZNS1_25segmented_radix_sort_implINS0_14default_configELb1EPKfPfPKlPlN2at6native12_GLOBAL__N_18offset_tEEE10hipError_tPvRmT1_PNSt15iterator_traitsISY_E10value_typeET2_T3_PNSZ_IS14_E10value_typeET4_jRbjT5_S1A_jjP12ihipStream_tbEUljE_EEESV_SW_SX_S14_S18_S1A_T6_T7_T9_mT8_S1C_bDpT10_ENKUlT_T0_E_clISt17integral_constantIbLb0EES1O_IbLb1EEEEDaS1K_S1L_EUlS1K_E_NS1_11comp_targetILNS1_3genE3ELNS1_11target_archE908ELNS1_3gpuE7ELNS1_3repE0EEENS1_30default_config_static_selectorELNS0_4arch9wavefront6targetE0EEEvSY_.has_recursion, 0
	.set _ZN7rocprim17ROCPRIM_400000_NS6detail17trampoline_kernelINS0_13select_configILj256ELj13ELNS0_17block_load_methodE3ELS4_3ELS4_3ELNS0_20block_scan_algorithmE0ELj4294967295EEENS1_25partition_config_selectorILNS1_17partition_subalgoE3EjNS0_10empty_typeEbEEZZNS1_14partition_implILS8_3ELb0ES6_jNS0_17counting_iteratorIjlEEPS9_SE_NS0_5tupleIJPjSE_EEENSF_IJSE_SE_EEES9_SG_JZNS1_25segmented_radix_sort_implINS0_14default_configELb1EPKfPfPKlPlN2at6native12_GLOBAL__N_18offset_tEEE10hipError_tPvRmT1_PNSt15iterator_traitsISY_E10value_typeET2_T3_PNSZ_IS14_E10value_typeET4_jRbjT5_S1A_jjP12ihipStream_tbEUljE_EEESV_SW_SX_S14_S18_S1A_T6_T7_T9_mT8_S1C_bDpT10_ENKUlT_T0_E_clISt17integral_constantIbLb0EES1O_IbLb1EEEEDaS1K_S1L_EUlS1K_E_NS1_11comp_targetILNS1_3genE3ELNS1_11target_archE908ELNS1_3gpuE7ELNS1_3repE0EEENS1_30default_config_static_selectorELNS0_4arch9wavefront6targetE0EEEvSY_.has_indirect_call, 0
	.section	.AMDGPU.csdata,"",@progbits
; Kernel info:
; codeLenInByte = 0
; TotalNumSgprs: 0
; NumVgprs: 0
; ScratchSize: 0
; MemoryBound: 0
; FloatMode: 240
; IeeeMode: 1
; LDSByteSize: 0 bytes/workgroup (compile time only)
; SGPRBlocks: 0
; VGPRBlocks: 0
; NumSGPRsForWavesPerEU: 1
; NumVGPRsForWavesPerEU: 1
; Occupancy: 16
; WaveLimiterHint : 0
; COMPUTE_PGM_RSRC2:SCRATCH_EN: 0
; COMPUTE_PGM_RSRC2:USER_SGPR: 6
; COMPUTE_PGM_RSRC2:TRAP_HANDLER: 0
; COMPUTE_PGM_RSRC2:TGID_X_EN: 1
; COMPUTE_PGM_RSRC2:TGID_Y_EN: 0
; COMPUTE_PGM_RSRC2:TGID_Z_EN: 0
; COMPUTE_PGM_RSRC2:TIDIG_COMP_CNT: 0
	.section	.text._ZN7rocprim17ROCPRIM_400000_NS6detail17trampoline_kernelINS0_13select_configILj256ELj13ELNS0_17block_load_methodE3ELS4_3ELS4_3ELNS0_20block_scan_algorithmE0ELj4294967295EEENS1_25partition_config_selectorILNS1_17partition_subalgoE3EjNS0_10empty_typeEbEEZZNS1_14partition_implILS8_3ELb0ES6_jNS0_17counting_iteratorIjlEEPS9_SE_NS0_5tupleIJPjSE_EEENSF_IJSE_SE_EEES9_SG_JZNS1_25segmented_radix_sort_implINS0_14default_configELb1EPKfPfPKlPlN2at6native12_GLOBAL__N_18offset_tEEE10hipError_tPvRmT1_PNSt15iterator_traitsISY_E10value_typeET2_T3_PNSZ_IS14_E10value_typeET4_jRbjT5_S1A_jjP12ihipStream_tbEUljE_EEESV_SW_SX_S14_S18_S1A_T6_T7_T9_mT8_S1C_bDpT10_ENKUlT_T0_E_clISt17integral_constantIbLb0EES1O_IbLb1EEEEDaS1K_S1L_EUlS1K_E_NS1_11comp_targetILNS1_3genE2ELNS1_11target_archE906ELNS1_3gpuE6ELNS1_3repE0EEENS1_30default_config_static_selectorELNS0_4arch9wavefront6targetE0EEEvSY_,"axG",@progbits,_ZN7rocprim17ROCPRIM_400000_NS6detail17trampoline_kernelINS0_13select_configILj256ELj13ELNS0_17block_load_methodE3ELS4_3ELS4_3ELNS0_20block_scan_algorithmE0ELj4294967295EEENS1_25partition_config_selectorILNS1_17partition_subalgoE3EjNS0_10empty_typeEbEEZZNS1_14partition_implILS8_3ELb0ES6_jNS0_17counting_iteratorIjlEEPS9_SE_NS0_5tupleIJPjSE_EEENSF_IJSE_SE_EEES9_SG_JZNS1_25segmented_radix_sort_implINS0_14default_configELb1EPKfPfPKlPlN2at6native12_GLOBAL__N_18offset_tEEE10hipError_tPvRmT1_PNSt15iterator_traitsISY_E10value_typeET2_T3_PNSZ_IS14_E10value_typeET4_jRbjT5_S1A_jjP12ihipStream_tbEUljE_EEESV_SW_SX_S14_S18_S1A_T6_T7_T9_mT8_S1C_bDpT10_ENKUlT_T0_E_clISt17integral_constantIbLb0EES1O_IbLb1EEEEDaS1K_S1L_EUlS1K_E_NS1_11comp_targetILNS1_3genE2ELNS1_11target_archE906ELNS1_3gpuE6ELNS1_3repE0EEENS1_30default_config_static_selectorELNS0_4arch9wavefront6targetE0EEEvSY_,comdat
	.globl	_ZN7rocprim17ROCPRIM_400000_NS6detail17trampoline_kernelINS0_13select_configILj256ELj13ELNS0_17block_load_methodE3ELS4_3ELS4_3ELNS0_20block_scan_algorithmE0ELj4294967295EEENS1_25partition_config_selectorILNS1_17partition_subalgoE3EjNS0_10empty_typeEbEEZZNS1_14partition_implILS8_3ELb0ES6_jNS0_17counting_iteratorIjlEEPS9_SE_NS0_5tupleIJPjSE_EEENSF_IJSE_SE_EEES9_SG_JZNS1_25segmented_radix_sort_implINS0_14default_configELb1EPKfPfPKlPlN2at6native12_GLOBAL__N_18offset_tEEE10hipError_tPvRmT1_PNSt15iterator_traitsISY_E10value_typeET2_T3_PNSZ_IS14_E10value_typeET4_jRbjT5_S1A_jjP12ihipStream_tbEUljE_EEESV_SW_SX_S14_S18_S1A_T6_T7_T9_mT8_S1C_bDpT10_ENKUlT_T0_E_clISt17integral_constantIbLb0EES1O_IbLb1EEEEDaS1K_S1L_EUlS1K_E_NS1_11comp_targetILNS1_3genE2ELNS1_11target_archE906ELNS1_3gpuE6ELNS1_3repE0EEENS1_30default_config_static_selectorELNS0_4arch9wavefront6targetE0EEEvSY_ ; -- Begin function _ZN7rocprim17ROCPRIM_400000_NS6detail17trampoline_kernelINS0_13select_configILj256ELj13ELNS0_17block_load_methodE3ELS4_3ELS4_3ELNS0_20block_scan_algorithmE0ELj4294967295EEENS1_25partition_config_selectorILNS1_17partition_subalgoE3EjNS0_10empty_typeEbEEZZNS1_14partition_implILS8_3ELb0ES6_jNS0_17counting_iteratorIjlEEPS9_SE_NS0_5tupleIJPjSE_EEENSF_IJSE_SE_EEES9_SG_JZNS1_25segmented_radix_sort_implINS0_14default_configELb1EPKfPfPKlPlN2at6native12_GLOBAL__N_18offset_tEEE10hipError_tPvRmT1_PNSt15iterator_traitsISY_E10value_typeET2_T3_PNSZ_IS14_E10value_typeET4_jRbjT5_S1A_jjP12ihipStream_tbEUljE_EEESV_SW_SX_S14_S18_S1A_T6_T7_T9_mT8_S1C_bDpT10_ENKUlT_T0_E_clISt17integral_constantIbLb0EES1O_IbLb1EEEEDaS1K_S1L_EUlS1K_E_NS1_11comp_targetILNS1_3genE2ELNS1_11target_archE906ELNS1_3gpuE6ELNS1_3repE0EEENS1_30default_config_static_selectorELNS0_4arch9wavefront6targetE0EEEvSY_
	.p2align	8
	.type	_ZN7rocprim17ROCPRIM_400000_NS6detail17trampoline_kernelINS0_13select_configILj256ELj13ELNS0_17block_load_methodE3ELS4_3ELS4_3ELNS0_20block_scan_algorithmE0ELj4294967295EEENS1_25partition_config_selectorILNS1_17partition_subalgoE3EjNS0_10empty_typeEbEEZZNS1_14partition_implILS8_3ELb0ES6_jNS0_17counting_iteratorIjlEEPS9_SE_NS0_5tupleIJPjSE_EEENSF_IJSE_SE_EEES9_SG_JZNS1_25segmented_radix_sort_implINS0_14default_configELb1EPKfPfPKlPlN2at6native12_GLOBAL__N_18offset_tEEE10hipError_tPvRmT1_PNSt15iterator_traitsISY_E10value_typeET2_T3_PNSZ_IS14_E10value_typeET4_jRbjT5_S1A_jjP12ihipStream_tbEUljE_EEESV_SW_SX_S14_S18_S1A_T6_T7_T9_mT8_S1C_bDpT10_ENKUlT_T0_E_clISt17integral_constantIbLb0EES1O_IbLb1EEEEDaS1K_S1L_EUlS1K_E_NS1_11comp_targetILNS1_3genE2ELNS1_11target_archE906ELNS1_3gpuE6ELNS1_3repE0EEENS1_30default_config_static_selectorELNS0_4arch9wavefront6targetE0EEEvSY_,@function
_ZN7rocprim17ROCPRIM_400000_NS6detail17trampoline_kernelINS0_13select_configILj256ELj13ELNS0_17block_load_methodE3ELS4_3ELS4_3ELNS0_20block_scan_algorithmE0ELj4294967295EEENS1_25partition_config_selectorILNS1_17partition_subalgoE3EjNS0_10empty_typeEbEEZZNS1_14partition_implILS8_3ELb0ES6_jNS0_17counting_iteratorIjlEEPS9_SE_NS0_5tupleIJPjSE_EEENSF_IJSE_SE_EEES9_SG_JZNS1_25segmented_radix_sort_implINS0_14default_configELb1EPKfPfPKlPlN2at6native12_GLOBAL__N_18offset_tEEE10hipError_tPvRmT1_PNSt15iterator_traitsISY_E10value_typeET2_T3_PNSZ_IS14_E10value_typeET4_jRbjT5_S1A_jjP12ihipStream_tbEUljE_EEESV_SW_SX_S14_S18_S1A_T6_T7_T9_mT8_S1C_bDpT10_ENKUlT_T0_E_clISt17integral_constantIbLb0EES1O_IbLb1EEEEDaS1K_S1L_EUlS1K_E_NS1_11comp_targetILNS1_3genE2ELNS1_11target_archE906ELNS1_3gpuE6ELNS1_3repE0EEENS1_30default_config_static_selectorELNS0_4arch9wavefront6targetE0EEEvSY_: ; @_ZN7rocprim17ROCPRIM_400000_NS6detail17trampoline_kernelINS0_13select_configILj256ELj13ELNS0_17block_load_methodE3ELS4_3ELS4_3ELNS0_20block_scan_algorithmE0ELj4294967295EEENS1_25partition_config_selectorILNS1_17partition_subalgoE3EjNS0_10empty_typeEbEEZZNS1_14partition_implILS8_3ELb0ES6_jNS0_17counting_iteratorIjlEEPS9_SE_NS0_5tupleIJPjSE_EEENSF_IJSE_SE_EEES9_SG_JZNS1_25segmented_radix_sort_implINS0_14default_configELb1EPKfPfPKlPlN2at6native12_GLOBAL__N_18offset_tEEE10hipError_tPvRmT1_PNSt15iterator_traitsISY_E10value_typeET2_T3_PNSZ_IS14_E10value_typeET4_jRbjT5_S1A_jjP12ihipStream_tbEUljE_EEESV_SW_SX_S14_S18_S1A_T6_T7_T9_mT8_S1C_bDpT10_ENKUlT_T0_E_clISt17integral_constantIbLb0EES1O_IbLb1EEEEDaS1K_S1L_EUlS1K_E_NS1_11comp_targetILNS1_3genE2ELNS1_11target_archE906ELNS1_3gpuE6ELNS1_3repE0EEENS1_30default_config_static_selectorELNS0_4arch9wavefront6targetE0EEEvSY_
; %bb.0:
	.section	.rodata,"a",@progbits
	.p2align	6, 0x0
	.amdhsa_kernel _ZN7rocprim17ROCPRIM_400000_NS6detail17trampoline_kernelINS0_13select_configILj256ELj13ELNS0_17block_load_methodE3ELS4_3ELS4_3ELNS0_20block_scan_algorithmE0ELj4294967295EEENS1_25partition_config_selectorILNS1_17partition_subalgoE3EjNS0_10empty_typeEbEEZZNS1_14partition_implILS8_3ELb0ES6_jNS0_17counting_iteratorIjlEEPS9_SE_NS0_5tupleIJPjSE_EEENSF_IJSE_SE_EEES9_SG_JZNS1_25segmented_radix_sort_implINS0_14default_configELb1EPKfPfPKlPlN2at6native12_GLOBAL__N_18offset_tEEE10hipError_tPvRmT1_PNSt15iterator_traitsISY_E10value_typeET2_T3_PNSZ_IS14_E10value_typeET4_jRbjT5_S1A_jjP12ihipStream_tbEUljE_EEESV_SW_SX_S14_S18_S1A_T6_T7_T9_mT8_S1C_bDpT10_ENKUlT_T0_E_clISt17integral_constantIbLb0EES1O_IbLb1EEEEDaS1K_S1L_EUlS1K_E_NS1_11comp_targetILNS1_3genE2ELNS1_11target_archE906ELNS1_3gpuE6ELNS1_3repE0EEENS1_30default_config_static_selectorELNS0_4arch9wavefront6targetE0EEEvSY_
		.amdhsa_group_segment_fixed_size 0
		.amdhsa_private_segment_fixed_size 0
		.amdhsa_kernarg_size 152
		.amdhsa_user_sgpr_count 6
		.amdhsa_user_sgpr_private_segment_buffer 1
		.amdhsa_user_sgpr_dispatch_ptr 0
		.amdhsa_user_sgpr_queue_ptr 0
		.amdhsa_user_sgpr_kernarg_segment_ptr 1
		.amdhsa_user_sgpr_dispatch_id 0
		.amdhsa_user_sgpr_flat_scratch_init 0
		.amdhsa_user_sgpr_private_segment_size 0
		.amdhsa_wavefront_size32 1
		.amdhsa_uses_dynamic_stack 0
		.amdhsa_system_sgpr_private_segment_wavefront_offset 0
		.amdhsa_system_sgpr_workgroup_id_x 1
		.amdhsa_system_sgpr_workgroup_id_y 0
		.amdhsa_system_sgpr_workgroup_id_z 0
		.amdhsa_system_sgpr_workgroup_info 0
		.amdhsa_system_vgpr_workitem_id 0
		.amdhsa_next_free_vgpr 1
		.amdhsa_next_free_sgpr 1
		.amdhsa_reserve_vcc 0
		.amdhsa_reserve_flat_scratch 0
		.amdhsa_float_round_mode_32 0
		.amdhsa_float_round_mode_16_64 0
		.amdhsa_float_denorm_mode_32 3
		.amdhsa_float_denorm_mode_16_64 3
		.amdhsa_dx10_clamp 1
		.amdhsa_ieee_mode 1
		.amdhsa_fp16_overflow 0
		.amdhsa_workgroup_processor_mode 1
		.amdhsa_memory_ordered 1
		.amdhsa_forward_progress 1
		.amdhsa_shared_vgpr_count 0
		.amdhsa_exception_fp_ieee_invalid_op 0
		.amdhsa_exception_fp_denorm_src 0
		.amdhsa_exception_fp_ieee_div_zero 0
		.amdhsa_exception_fp_ieee_overflow 0
		.amdhsa_exception_fp_ieee_underflow 0
		.amdhsa_exception_fp_ieee_inexact 0
		.amdhsa_exception_int_div_zero 0
	.end_amdhsa_kernel
	.section	.text._ZN7rocprim17ROCPRIM_400000_NS6detail17trampoline_kernelINS0_13select_configILj256ELj13ELNS0_17block_load_methodE3ELS4_3ELS4_3ELNS0_20block_scan_algorithmE0ELj4294967295EEENS1_25partition_config_selectorILNS1_17partition_subalgoE3EjNS0_10empty_typeEbEEZZNS1_14partition_implILS8_3ELb0ES6_jNS0_17counting_iteratorIjlEEPS9_SE_NS0_5tupleIJPjSE_EEENSF_IJSE_SE_EEES9_SG_JZNS1_25segmented_radix_sort_implINS0_14default_configELb1EPKfPfPKlPlN2at6native12_GLOBAL__N_18offset_tEEE10hipError_tPvRmT1_PNSt15iterator_traitsISY_E10value_typeET2_T3_PNSZ_IS14_E10value_typeET4_jRbjT5_S1A_jjP12ihipStream_tbEUljE_EEESV_SW_SX_S14_S18_S1A_T6_T7_T9_mT8_S1C_bDpT10_ENKUlT_T0_E_clISt17integral_constantIbLb0EES1O_IbLb1EEEEDaS1K_S1L_EUlS1K_E_NS1_11comp_targetILNS1_3genE2ELNS1_11target_archE906ELNS1_3gpuE6ELNS1_3repE0EEENS1_30default_config_static_selectorELNS0_4arch9wavefront6targetE0EEEvSY_,"axG",@progbits,_ZN7rocprim17ROCPRIM_400000_NS6detail17trampoline_kernelINS0_13select_configILj256ELj13ELNS0_17block_load_methodE3ELS4_3ELS4_3ELNS0_20block_scan_algorithmE0ELj4294967295EEENS1_25partition_config_selectorILNS1_17partition_subalgoE3EjNS0_10empty_typeEbEEZZNS1_14partition_implILS8_3ELb0ES6_jNS0_17counting_iteratorIjlEEPS9_SE_NS0_5tupleIJPjSE_EEENSF_IJSE_SE_EEES9_SG_JZNS1_25segmented_radix_sort_implINS0_14default_configELb1EPKfPfPKlPlN2at6native12_GLOBAL__N_18offset_tEEE10hipError_tPvRmT1_PNSt15iterator_traitsISY_E10value_typeET2_T3_PNSZ_IS14_E10value_typeET4_jRbjT5_S1A_jjP12ihipStream_tbEUljE_EEESV_SW_SX_S14_S18_S1A_T6_T7_T9_mT8_S1C_bDpT10_ENKUlT_T0_E_clISt17integral_constantIbLb0EES1O_IbLb1EEEEDaS1K_S1L_EUlS1K_E_NS1_11comp_targetILNS1_3genE2ELNS1_11target_archE906ELNS1_3gpuE6ELNS1_3repE0EEENS1_30default_config_static_selectorELNS0_4arch9wavefront6targetE0EEEvSY_,comdat
.Lfunc_end1313:
	.size	_ZN7rocprim17ROCPRIM_400000_NS6detail17trampoline_kernelINS0_13select_configILj256ELj13ELNS0_17block_load_methodE3ELS4_3ELS4_3ELNS0_20block_scan_algorithmE0ELj4294967295EEENS1_25partition_config_selectorILNS1_17partition_subalgoE3EjNS0_10empty_typeEbEEZZNS1_14partition_implILS8_3ELb0ES6_jNS0_17counting_iteratorIjlEEPS9_SE_NS0_5tupleIJPjSE_EEENSF_IJSE_SE_EEES9_SG_JZNS1_25segmented_radix_sort_implINS0_14default_configELb1EPKfPfPKlPlN2at6native12_GLOBAL__N_18offset_tEEE10hipError_tPvRmT1_PNSt15iterator_traitsISY_E10value_typeET2_T3_PNSZ_IS14_E10value_typeET4_jRbjT5_S1A_jjP12ihipStream_tbEUljE_EEESV_SW_SX_S14_S18_S1A_T6_T7_T9_mT8_S1C_bDpT10_ENKUlT_T0_E_clISt17integral_constantIbLb0EES1O_IbLb1EEEEDaS1K_S1L_EUlS1K_E_NS1_11comp_targetILNS1_3genE2ELNS1_11target_archE906ELNS1_3gpuE6ELNS1_3repE0EEENS1_30default_config_static_selectorELNS0_4arch9wavefront6targetE0EEEvSY_, .Lfunc_end1313-_ZN7rocprim17ROCPRIM_400000_NS6detail17trampoline_kernelINS0_13select_configILj256ELj13ELNS0_17block_load_methodE3ELS4_3ELS4_3ELNS0_20block_scan_algorithmE0ELj4294967295EEENS1_25partition_config_selectorILNS1_17partition_subalgoE3EjNS0_10empty_typeEbEEZZNS1_14partition_implILS8_3ELb0ES6_jNS0_17counting_iteratorIjlEEPS9_SE_NS0_5tupleIJPjSE_EEENSF_IJSE_SE_EEES9_SG_JZNS1_25segmented_radix_sort_implINS0_14default_configELb1EPKfPfPKlPlN2at6native12_GLOBAL__N_18offset_tEEE10hipError_tPvRmT1_PNSt15iterator_traitsISY_E10value_typeET2_T3_PNSZ_IS14_E10value_typeET4_jRbjT5_S1A_jjP12ihipStream_tbEUljE_EEESV_SW_SX_S14_S18_S1A_T6_T7_T9_mT8_S1C_bDpT10_ENKUlT_T0_E_clISt17integral_constantIbLb0EES1O_IbLb1EEEEDaS1K_S1L_EUlS1K_E_NS1_11comp_targetILNS1_3genE2ELNS1_11target_archE906ELNS1_3gpuE6ELNS1_3repE0EEENS1_30default_config_static_selectorELNS0_4arch9wavefront6targetE0EEEvSY_
                                        ; -- End function
	.set _ZN7rocprim17ROCPRIM_400000_NS6detail17trampoline_kernelINS0_13select_configILj256ELj13ELNS0_17block_load_methodE3ELS4_3ELS4_3ELNS0_20block_scan_algorithmE0ELj4294967295EEENS1_25partition_config_selectorILNS1_17partition_subalgoE3EjNS0_10empty_typeEbEEZZNS1_14partition_implILS8_3ELb0ES6_jNS0_17counting_iteratorIjlEEPS9_SE_NS0_5tupleIJPjSE_EEENSF_IJSE_SE_EEES9_SG_JZNS1_25segmented_radix_sort_implINS0_14default_configELb1EPKfPfPKlPlN2at6native12_GLOBAL__N_18offset_tEEE10hipError_tPvRmT1_PNSt15iterator_traitsISY_E10value_typeET2_T3_PNSZ_IS14_E10value_typeET4_jRbjT5_S1A_jjP12ihipStream_tbEUljE_EEESV_SW_SX_S14_S18_S1A_T6_T7_T9_mT8_S1C_bDpT10_ENKUlT_T0_E_clISt17integral_constantIbLb0EES1O_IbLb1EEEEDaS1K_S1L_EUlS1K_E_NS1_11comp_targetILNS1_3genE2ELNS1_11target_archE906ELNS1_3gpuE6ELNS1_3repE0EEENS1_30default_config_static_selectorELNS0_4arch9wavefront6targetE0EEEvSY_.num_vgpr, 0
	.set _ZN7rocprim17ROCPRIM_400000_NS6detail17trampoline_kernelINS0_13select_configILj256ELj13ELNS0_17block_load_methodE3ELS4_3ELS4_3ELNS0_20block_scan_algorithmE0ELj4294967295EEENS1_25partition_config_selectorILNS1_17partition_subalgoE3EjNS0_10empty_typeEbEEZZNS1_14partition_implILS8_3ELb0ES6_jNS0_17counting_iteratorIjlEEPS9_SE_NS0_5tupleIJPjSE_EEENSF_IJSE_SE_EEES9_SG_JZNS1_25segmented_radix_sort_implINS0_14default_configELb1EPKfPfPKlPlN2at6native12_GLOBAL__N_18offset_tEEE10hipError_tPvRmT1_PNSt15iterator_traitsISY_E10value_typeET2_T3_PNSZ_IS14_E10value_typeET4_jRbjT5_S1A_jjP12ihipStream_tbEUljE_EEESV_SW_SX_S14_S18_S1A_T6_T7_T9_mT8_S1C_bDpT10_ENKUlT_T0_E_clISt17integral_constantIbLb0EES1O_IbLb1EEEEDaS1K_S1L_EUlS1K_E_NS1_11comp_targetILNS1_3genE2ELNS1_11target_archE906ELNS1_3gpuE6ELNS1_3repE0EEENS1_30default_config_static_selectorELNS0_4arch9wavefront6targetE0EEEvSY_.num_agpr, 0
	.set _ZN7rocprim17ROCPRIM_400000_NS6detail17trampoline_kernelINS0_13select_configILj256ELj13ELNS0_17block_load_methodE3ELS4_3ELS4_3ELNS0_20block_scan_algorithmE0ELj4294967295EEENS1_25partition_config_selectorILNS1_17partition_subalgoE3EjNS0_10empty_typeEbEEZZNS1_14partition_implILS8_3ELb0ES6_jNS0_17counting_iteratorIjlEEPS9_SE_NS0_5tupleIJPjSE_EEENSF_IJSE_SE_EEES9_SG_JZNS1_25segmented_radix_sort_implINS0_14default_configELb1EPKfPfPKlPlN2at6native12_GLOBAL__N_18offset_tEEE10hipError_tPvRmT1_PNSt15iterator_traitsISY_E10value_typeET2_T3_PNSZ_IS14_E10value_typeET4_jRbjT5_S1A_jjP12ihipStream_tbEUljE_EEESV_SW_SX_S14_S18_S1A_T6_T7_T9_mT8_S1C_bDpT10_ENKUlT_T0_E_clISt17integral_constantIbLb0EES1O_IbLb1EEEEDaS1K_S1L_EUlS1K_E_NS1_11comp_targetILNS1_3genE2ELNS1_11target_archE906ELNS1_3gpuE6ELNS1_3repE0EEENS1_30default_config_static_selectorELNS0_4arch9wavefront6targetE0EEEvSY_.numbered_sgpr, 0
	.set _ZN7rocprim17ROCPRIM_400000_NS6detail17trampoline_kernelINS0_13select_configILj256ELj13ELNS0_17block_load_methodE3ELS4_3ELS4_3ELNS0_20block_scan_algorithmE0ELj4294967295EEENS1_25partition_config_selectorILNS1_17partition_subalgoE3EjNS0_10empty_typeEbEEZZNS1_14partition_implILS8_3ELb0ES6_jNS0_17counting_iteratorIjlEEPS9_SE_NS0_5tupleIJPjSE_EEENSF_IJSE_SE_EEES9_SG_JZNS1_25segmented_radix_sort_implINS0_14default_configELb1EPKfPfPKlPlN2at6native12_GLOBAL__N_18offset_tEEE10hipError_tPvRmT1_PNSt15iterator_traitsISY_E10value_typeET2_T3_PNSZ_IS14_E10value_typeET4_jRbjT5_S1A_jjP12ihipStream_tbEUljE_EEESV_SW_SX_S14_S18_S1A_T6_T7_T9_mT8_S1C_bDpT10_ENKUlT_T0_E_clISt17integral_constantIbLb0EES1O_IbLb1EEEEDaS1K_S1L_EUlS1K_E_NS1_11comp_targetILNS1_3genE2ELNS1_11target_archE906ELNS1_3gpuE6ELNS1_3repE0EEENS1_30default_config_static_selectorELNS0_4arch9wavefront6targetE0EEEvSY_.num_named_barrier, 0
	.set _ZN7rocprim17ROCPRIM_400000_NS6detail17trampoline_kernelINS0_13select_configILj256ELj13ELNS0_17block_load_methodE3ELS4_3ELS4_3ELNS0_20block_scan_algorithmE0ELj4294967295EEENS1_25partition_config_selectorILNS1_17partition_subalgoE3EjNS0_10empty_typeEbEEZZNS1_14partition_implILS8_3ELb0ES6_jNS0_17counting_iteratorIjlEEPS9_SE_NS0_5tupleIJPjSE_EEENSF_IJSE_SE_EEES9_SG_JZNS1_25segmented_radix_sort_implINS0_14default_configELb1EPKfPfPKlPlN2at6native12_GLOBAL__N_18offset_tEEE10hipError_tPvRmT1_PNSt15iterator_traitsISY_E10value_typeET2_T3_PNSZ_IS14_E10value_typeET4_jRbjT5_S1A_jjP12ihipStream_tbEUljE_EEESV_SW_SX_S14_S18_S1A_T6_T7_T9_mT8_S1C_bDpT10_ENKUlT_T0_E_clISt17integral_constantIbLb0EES1O_IbLb1EEEEDaS1K_S1L_EUlS1K_E_NS1_11comp_targetILNS1_3genE2ELNS1_11target_archE906ELNS1_3gpuE6ELNS1_3repE0EEENS1_30default_config_static_selectorELNS0_4arch9wavefront6targetE0EEEvSY_.private_seg_size, 0
	.set _ZN7rocprim17ROCPRIM_400000_NS6detail17trampoline_kernelINS0_13select_configILj256ELj13ELNS0_17block_load_methodE3ELS4_3ELS4_3ELNS0_20block_scan_algorithmE0ELj4294967295EEENS1_25partition_config_selectorILNS1_17partition_subalgoE3EjNS0_10empty_typeEbEEZZNS1_14partition_implILS8_3ELb0ES6_jNS0_17counting_iteratorIjlEEPS9_SE_NS0_5tupleIJPjSE_EEENSF_IJSE_SE_EEES9_SG_JZNS1_25segmented_radix_sort_implINS0_14default_configELb1EPKfPfPKlPlN2at6native12_GLOBAL__N_18offset_tEEE10hipError_tPvRmT1_PNSt15iterator_traitsISY_E10value_typeET2_T3_PNSZ_IS14_E10value_typeET4_jRbjT5_S1A_jjP12ihipStream_tbEUljE_EEESV_SW_SX_S14_S18_S1A_T6_T7_T9_mT8_S1C_bDpT10_ENKUlT_T0_E_clISt17integral_constantIbLb0EES1O_IbLb1EEEEDaS1K_S1L_EUlS1K_E_NS1_11comp_targetILNS1_3genE2ELNS1_11target_archE906ELNS1_3gpuE6ELNS1_3repE0EEENS1_30default_config_static_selectorELNS0_4arch9wavefront6targetE0EEEvSY_.uses_vcc, 0
	.set _ZN7rocprim17ROCPRIM_400000_NS6detail17trampoline_kernelINS0_13select_configILj256ELj13ELNS0_17block_load_methodE3ELS4_3ELS4_3ELNS0_20block_scan_algorithmE0ELj4294967295EEENS1_25partition_config_selectorILNS1_17partition_subalgoE3EjNS0_10empty_typeEbEEZZNS1_14partition_implILS8_3ELb0ES6_jNS0_17counting_iteratorIjlEEPS9_SE_NS0_5tupleIJPjSE_EEENSF_IJSE_SE_EEES9_SG_JZNS1_25segmented_radix_sort_implINS0_14default_configELb1EPKfPfPKlPlN2at6native12_GLOBAL__N_18offset_tEEE10hipError_tPvRmT1_PNSt15iterator_traitsISY_E10value_typeET2_T3_PNSZ_IS14_E10value_typeET4_jRbjT5_S1A_jjP12ihipStream_tbEUljE_EEESV_SW_SX_S14_S18_S1A_T6_T7_T9_mT8_S1C_bDpT10_ENKUlT_T0_E_clISt17integral_constantIbLb0EES1O_IbLb1EEEEDaS1K_S1L_EUlS1K_E_NS1_11comp_targetILNS1_3genE2ELNS1_11target_archE906ELNS1_3gpuE6ELNS1_3repE0EEENS1_30default_config_static_selectorELNS0_4arch9wavefront6targetE0EEEvSY_.uses_flat_scratch, 0
	.set _ZN7rocprim17ROCPRIM_400000_NS6detail17trampoline_kernelINS0_13select_configILj256ELj13ELNS0_17block_load_methodE3ELS4_3ELS4_3ELNS0_20block_scan_algorithmE0ELj4294967295EEENS1_25partition_config_selectorILNS1_17partition_subalgoE3EjNS0_10empty_typeEbEEZZNS1_14partition_implILS8_3ELb0ES6_jNS0_17counting_iteratorIjlEEPS9_SE_NS0_5tupleIJPjSE_EEENSF_IJSE_SE_EEES9_SG_JZNS1_25segmented_radix_sort_implINS0_14default_configELb1EPKfPfPKlPlN2at6native12_GLOBAL__N_18offset_tEEE10hipError_tPvRmT1_PNSt15iterator_traitsISY_E10value_typeET2_T3_PNSZ_IS14_E10value_typeET4_jRbjT5_S1A_jjP12ihipStream_tbEUljE_EEESV_SW_SX_S14_S18_S1A_T6_T7_T9_mT8_S1C_bDpT10_ENKUlT_T0_E_clISt17integral_constantIbLb0EES1O_IbLb1EEEEDaS1K_S1L_EUlS1K_E_NS1_11comp_targetILNS1_3genE2ELNS1_11target_archE906ELNS1_3gpuE6ELNS1_3repE0EEENS1_30default_config_static_selectorELNS0_4arch9wavefront6targetE0EEEvSY_.has_dyn_sized_stack, 0
	.set _ZN7rocprim17ROCPRIM_400000_NS6detail17trampoline_kernelINS0_13select_configILj256ELj13ELNS0_17block_load_methodE3ELS4_3ELS4_3ELNS0_20block_scan_algorithmE0ELj4294967295EEENS1_25partition_config_selectorILNS1_17partition_subalgoE3EjNS0_10empty_typeEbEEZZNS1_14partition_implILS8_3ELb0ES6_jNS0_17counting_iteratorIjlEEPS9_SE_NS0_5tupleIJPjSE_EEENSF_IJSE_SE_EEES9_SG_JZNS1_25segmented_radix_sort_implINS0_14default_configELb1EPKfPfPKlPlN2at6native12_GLOBAL__N_18offset_tEEE10hipError_tPvRmT1_PNSt15iterator_traitsISY_E10value_typeET2_T3_PNSZ_IS14_E10value_typeET4_jRbjT5_S1A_jjP12ihipStream_tbEUljE_EEESV_SW_SX_S14_S18_S1A_T6_T7_T9_mT8_S1C_bDpT10_ENKUlT_T0_E_clISt17integral_constantIbLb0EES1O_IbLb1EEEEDaS1K_S1L_EUlS1K_E_NS1_11comp_targetILNS1_3genE2ELNS1_11target_archE906ELNS1_3gpuE6ELNS1_3repE0EEENS1_30default_config_static_selectorELNS0_4arch9wavefront6targetE0EEEvSY_.has_recursion, 0
	.set _ZN7rocprim17ROCPRIM_400000_NS6detail17trampoline_kernelINS0_13select_configILj256ELj13ELNS0_17block_load_methodE3ELS4_3ELS4_3ELNS0_20block_scan_algorithmE0ELj4294967295EEENS1_25partition_config_selectorILNS1_17partition_subalgoE3EjNS0_10empty_typeEbEEZZNS1_14partition_implILS8_3ELb0ES6_jNS0_17counting_iteratorIjlEEPS9_SE_NS0_5tupleIJPjSE_EEENSF_IJSE_SE_EEES9_SG_JZNS1_25segmented_radix_sort_implINS0_14default_configELb1EPKfPfPKlPlN2at6native12_GLOBAL__N_18offset_tEEE10hipError_tPvRmT1_PNSt15iterator_traitsISY_E10value_typeET2_T3_PNSZ_IS14_E10value_typeET4_jRbjT5_S1A_jjP12ihipStream_tbEUljE_EEESV_SW_SX_S14_S18_S1A_T6_T7_T9_mT8_S1C_bDpT10_ENKUlT_T0_E_clISt17integral_constantIbLb0EES1O_IbLb1EEEEDaS1K_S1L_EUlS1K_E_NS1_11comp_targetILNS1_3genE2ELNS1_11target_archE906ELNS1_3gpuE6ELNS1_3repE0EEENS1_30default_config_static_selectorELNS0_4arch9wavefront6targetE0EEEvSY_.has_indirect_call, 0
	.section	.AMDGPU.csdata,"",@progbits
; Kernel info:
; codeLenInByte = 0
; TotalNumSgprs: 0
; NumVgprs: 0
; ScratchSize: 0
; MemoryBound: 0
; FloatMode: 240
; IeeeMode: 1
; LDSByteSize: 0 bytes/workgroup (compile time only)
; SGPRBlocks: 0
; VGPRBlocks: 0
; NumSGPRsForWavesPerEU: 1
; NumVGPRsForWavesPerEU: 1
; Occupancy: 16
; WaveLimiterHint : 0
; COMPUTE_PGM_RSRC2:SCRATCH_EN: 0
; COMPUTE_PGM_RSRC2:USER_SGPR: 6
; COMPUTE_PGM_RSRC2:TRAP_HANDLER: 0
; COMPUTE_PGM_RSRC2:TGID_X_EN: 1
; COMPUTE_PGM_RSRC2:TGID_Y_EN: 0
; COMPUTE_PGM_RSRC2:TGID_Z_EN: 0
; COMPUTE_PGM_RSRC2:TIDIG_COMP_CNT: 0
	.section	.text._ZN7rocprim17ROCPRIM_400000_NS6detail17trampoline_kernelINS0_13select_configILj256ELj13ELNS0_17block_load_methodE3ELS4_3ELS4_3ELNS0_20block_scan_algorithmE0ELj4294967295EEENS1_25partition_config_selectorILNS1_17partition_subalgoE3EjNS0_10empty_typeEbEEZZNS1_14partition_implILS8_3ELb0ES6_jNS0_17counting_iteratorIjlEEPS9_SE_NS0_5tupleIJPjSE_EEENSF_IJSE_SE_EEES9_SG_JZNS1_25segmented_radix_sort_implINS0_14default_configELb1EPKfPfPKlPlN2at6native12_GLOBAL__N_18offset_tEEE10hipError_tPvRmT1_PNSt15iterator_traitsISY_E10value_typeET2_T3_PNSZ_IS14_E10value_typeET4_jRbjT5_S1A_jjP12ihipStream_tbEUljE_EEESV_SW_SX_S14_S18_S1A_T6_T7_T9_mT8_S1C_bDpT10_ENKUlT_T0_E_clISt17integral_constantIbLb0EES1O_IbLb1EEEEDaS1K_S1L_EUlS1K_E_NS1_11comp_targetILNS1_3genE10ELNS1_11target_archE1200ELNS1_3gpuE4ELNS1_3repE0EEENS1_30default_config_static_selectorELNS0_4arch9wavefront6targetE0EEEvSY_,"axG",@progbits,_ZN7rocprim17ROCPRIM_400000_NS6detail17trampoline_kernelINS0_13select_configILj256ELj13ELNS0_17block_load_methodE3ELS4_3ELS4_3ELNS0_20block_scan_algorithmE0ELj4294967295EEENS1_25partition_config_selectorILNS1_17partition_subalgoE3EjNS0_10empty_typeEbEEZZNS1_14partition_implILS8_3ELb0ES6_jNS0_17counting_iteratorIjlEEPS9_SE_NS0_5tupleIJPjSE_EEENSF_IJSE_SE_EEES9_SG_JZNS1_25segmented_radix_sort_implINS0_14default_configELb1EPKfPfPKlPlN2at6native12_GLOBAL__N_18offset_tEEE10hipError_tPvRmT1_PNSt15iterator_traitsISY_E10value_typeET2_T3_PNSZ_IS14_E10value_typeET4_jRbjT5_S1A_jjP12ihipStream_tbEUljE_EEESV_SW_SX_S14_S18_S1A_T6_T7_T9_mT8_S1C_bDpT10_ENKUlT_T0_E_clISt17integral_constantIbLb0EES1O_IbLb1EEEEDaS1K_S1L_EUlS1K_E_NS1_11comp_targetILNS1_3genE10ELNS1_11target_archE1200ELNS1_3gpuE4ELNS1_3repE0EEENS1_30default_config_static_selectorELNS0_4arch9wavefront6targetE0EEEvSY_,comdat
	.globl	_ZN7rocprim17ROCPRIM_400000_NS6detail17trampoline_kernelINS0_13select_configILj256ELj13ELNS0_17block_load_methodE3ELS4_3ELS4_3ELNS0_20block_scan_algorithmE0ELj4294967295EEENS1_25partition_config_selectorILNS1_17partition_subalgoE3EjNS0_10empty_typeEbEEZZNS1_14partition_implILS8_3ELb0ES6_jNS0_17counting_iteratorIjlEEPS9_SE_NS0_5tupleIJPjSE_EEENSF_IJSE_SE_EEES9_SG_JZNS1_25segmented_radix_sort_implINS0_14default_configELb1EPKfPfPKlPlN2at6native12_GLOBAL__N_18offset_tEEE10hipError_tPvRmT1_PNSt15iterator_traitsISY_E10value_typeET2_T3_PNSZ_IS14_E10value_typeET4_jRbjT5_S1A_jjP12ihipStream_tbEUljE_EEESV_SW_SX_S14_S18_S1A_T6_T7_T9_mT8_S1C_bDpT10_ENKUlT_T0_E_clISt17integral_constantIbLb0EES1O_IbLb1EEEEDaS1K_S1L_EUlS1K_E_NS1_11comp_targetILNS1_3genE10ELNS1_11target_archE1200ELNS1_3gpuE4ELNS1_3repE0EEENS1_30default_config_static_selectorELNS0_4arch9wavefront6targetE0EEEvSY_ ; -- Begin function _ZN7rocprim17ROCPRIM_400000_NS6detail17trampoline_kernelINS0_13select_configILj256ELj13ELNS0_17block_load_methodE3ELS4_3ELS4_3ELNS0_20block_scan_algorithmE0ELj4294967295EEENS1_25partition_config_selectorILNS1_17partition_subalgoE3EjNS0_10empty_typeEbEEZZNS1_14partition_implILS8_3ELb0ES6_jNS0_17counting_iteratorIjlEEPS9_SE_NS0_5tupleIJPjSE_EEENSF_IJSE_SE_EEES9_SG_JZNS1_25segmented_radix_sort_implINS0_14default_configELb1EPKfPfPKlPlN2at6native12_GLOBAL__N_18offset_tEEE10hipError_tPvRmT1_PNSt15iterator_traitsISY_E10value_typeET2_T3_PNSZ_IS14_E10value_typeET4_jRbjT5_S1A_jjP12ihipStream_tbEUljE_EEESV_SW_SX_S14_S18_S1A_T6_T7_T9_mT8_S1C_bDpT10_ENKUlT_T0_E_clISt17integral_constantIbLb0EES1O_IbLb1EEEEDaS1K_S1L_EUlS1K_E_NS1_11comp_targetILNS1_3genE10ELNS1_11target_archE1200ELNS1_3gpuE4ELNS1_3repE0EEENS1_30default_config_static_selectorELNS0_4arch9wavefront6targetE0EEEvSY_
	.p2align	8
	.type	_ZN7rocprim17ROCPRIM_400000_NS6detail17trampoline_kernelINS0_13select_configILj256ELj13ELNS0_17block_load_methodE3ELS4_3ELS4_3ELNS0_20block_scan_algorithmE0ELj4294967295EEENS1_25partition_config_selectorILNS1_17partition_subalgoE3EjNS0_10empty_typeEbEEZZNS1_14partition_implILS8_3ELb0ES6_jNS0_17counting_iteratorIjlEEPS9_SE_NS0_5tupleIJPjSE_EEENSF_IJSE_SE_EEES9_SG_JZNS1_25segmented_radix_sort_implINS0_14default_configELb1EPKfPfPKlPlN2at6native12_GLOBAL__N_18offset_tEEE10hipError_tPvRmT1_PNSt15iterator_traitsISY_E10value_typeET2_T3_PNSZ_IS14_E10value_typeET4_jRbjT5_S1A_jjP12ihipStream_tbEUljE_EEESV_SW_SX_S14_S18_S1A_T6_T7_T9_mT8_S1C_bDpT10_ENKUlT_T0_E_clISt17integral_constantIbLb0EES1O_IbLb1EEEEDaS1K_S1L_EUlS1K_E_NS1_11comp_targetILNS1_3genE10ELNS1_11target_archE1200ELNS1_3gpuE4ELNS1_3repE0EEENS1_30default_config_static_selectorELNS0_4arch9wavefront6targetE0EEEvSY_,@function
_ZN7rocprim17ROCPRIM_400000_NS6detail17trampoline_kernelINS0_13select_configILj256ELj13ELNS0_17block_load_methodE3ELS4_3ELS4_3ELNS0_20block_scan_algorithmE0ELj4294967295EEENS1_25partition_config_selectorILNS1_17partition_subalgoE3EjNS0_10empty_typeEbEEZZNS1_14partition_implILS8_3ELb0ES6_jNS0_17counting_iteratorIjlEEPS9_SE_NS0_5tupleIJPjSE_EEENSF_IJSE_SE_EEES9_SG_JZNS1_25segmented_radix_sort_implINS0_14default_configELb1EPKfPfPKlPlN2at6native12_GLOBAL__N_18offset_tEEE10hipError_tPvRmT1_PNSt15iterator_traitsISY_E10value_typeET2_T3_PNSZ_IS14_E10value_typeET4_jRbjT5_S1A_jjP12ihipStream_tbEUljE_EEESV_SW_SX_S14_S18_S1A_T6_T7_T9_mT8_S1C_bDpT10_ENKUlT_T0_E_clISt17integral_constantIbLb0EES1O_IbLb1EEEEDaS1K_S1L_EUlS1K_E_NS1_11comp_targetILNS1_3genE10ELNS1_11target_archE1200ELNS1_3gpuE4ELNS1_3repE0EEENS1_30default_config_static_selectorELNS0_4arch9wavefront6targetE0EEEvSY_: ; @_ZN7rocprim17ROCPRIM_400000_NS6detail17trampoline_kernelINS0_13select_configILj256ELj13ELNS0_17block_load_methodE3ELS4_3ELS4_3ELNS0_20block_scan_algorithmE0ELj4294967295EEENS1_25partition_config_selectorILNS1_17partition_subalgoE3EjNS0_10empty_typeEbEEZZNS1_14partition_implILS8_3ELb0ES6_jNS0_17counting_iteratorIjlEEPS9_SE_NS0_5tupleIJPjSE_EEENSF_IJSE_SE_EEES9_SG_JZNS1_25segmented_radix_sort_implINS0_14default_configELb1EPKfPfPKlPlN2at6native12_GLOBAL__N_18offset_tEEE10hipError_tPvRmT1_PNSt15iterator_traitsISY_E10value_typeET2_T3_PNSZ_IS14_E10value_typeET4_jRbjT5_S1A_jjP12ihipStream_tbEUljE_EEESV_SW_SX_S14_S18_S1A_T6_T7_T9_mT8_S1C_bDpT10_ENKUlT_T0_E_clISt17integral_constantIbLb0EES1O_IbLb1EEEEDaS1K_S1L_EUlS1K_E_NS1_11comp_targetILNS1_3genE10ELNS1_11target_archE1200ELNS1_3gpuE4ELNS1_3repE0EEENS1_30default_config_static_selectorELNS0_4arch9wavefront6targetE0EEEvSY_
; %bb.0:
	.section	.rodata,"a",@progbits
	.p2align	6, 0x0
	.amdhsa_kernel _ZN7rocprim17ROCPRIM_400000_NS6detail17trampoline_kernelINS0_13select_configILj256ELj13ELNS0_17block_load_methodE3ELS4_3ELS4_3ELNS0_20block_scan_algorithmE0ELj4294967295EEENS1_25partition_config_selectorILNS1_17partition_subalgoE3EjNS0_10empty_typeEbEEZZNS1_14partition_implILS8_3ELb0ES6_jNS0_17counting_iteratorIjlEEPS9_SE_NS0_5tupleIJPjSE_EEENSF_IJSE_SE_EEES9_SG_JZNS1_25segmented_radix_sort_implINS0_14default_configELb1EPKfPfPKlPlN2at6native12_GLOBAL__N_18offset_tEEE10hipError_tPvRmT1_PNSt15iterator_traitsISY_E10value_typeET2_T3_PNSZ_IS14_E10value_typeET4_jRbjT5_S1A_jjP12ihipStream_tbEUljE_EEESV_SW_SX_S14_S18_S1A_T6_T7_T9_mT8_S1C_bDpT10_ENKUlT_T0_E_clISt17integral_constantIbLb0EES1O_IbLb1EEEEDaS1K_S1L_EUlS1K_E_NS1_11comp_targetILNS1_3genE10ELNS1_11target_archE1200ELNS1_3gpuE4ELNS1_3repE0EEENS1_30default_config_static_selectorELNS0_4arch9wavefront6targetE0EEEvSY_
		.amdhsa_group_segment_fixed_size 0
		.amdhsa_private_segment_fixed_size 0
		.amdhsa_kernarg_size 152
		.amdhsa_user_sgpr_count 6
		.amdhsa_user_sgpr_private_segment_buffer 1
		.amdhsa_user_sgpr_dispatch_ptr 0
		.amdhsa_user_sgpr_queue_ptr 0
		.amdhsa_user_sgpr_kernarg_segment_ptr 1
		.amdhsa_user_sgpr_dispatch_id 0
		.amdhsa_user_sgpr_flat_scratch_init 0
		.amdhsa_user_sgpr_private_segment_size 0
		.amdhsa_wavefront_size32 1
		.amdhsa_uses_dynamic_stack 0
		.amdhsa_system_sgpr_private_segment_wavefront_offset 0
		.amdhsa_system_sgpr_workgroup_id_x 1
		.amdhsa_system_sgpr_workgroup_id_y 0
		.amdhsa_system_sgpr_workgroup_id_z 0
		.amdhsa_system_sgpr_workgroup_info 0
		.amdhsa_system_vgpr_workitem_id 0
		.amdhsa_next_free_vgpr 1
		.amdhsa_next_free_sgpr 1
		.amdhsa_reserve_vcc 0
		.amdhsa_reserve_flat_scratch 0
		.amdhsa_float_round_mode_32 0
		.amdhsa_float_round_mode_16_64 0
		.amdhsa_float_denorm_mode_32 3
		.amdhsa_float_denorm_mode_16_64 3
		.amdhsa_dx10_clamp 1
		.amdhsa_ieee_mode 1
		.amdhsa_fp16_overflow 0
		.amdhsa_workgroup_processor_mode 1
		.amdhsa_memory_ordered 1
		.amdhsa_forward_progress 1
		.amdhsa_shared_vgpr_count 0
		.amdhsa_exception_fp_ieee_invalid_op 0
		.amdhsa_exception_fp_denorm_src 0
		.amdhsa_exception_fp_ieee_div_zero 0
		.amdhsa_exception_fp_ieee_overflow 0
		.amdhsa_exception_fp_ieee_underflow 0
		.amdhsa_exception_fp_ieee_inexact 0
		.amdhsa_exception_int_div_zero 0
	.end_amdhsa_kernel
	.section	.text._ZN7rocprim17ROCPRIM_400000_NS6detail17trampoline_kernelINS0_13select_configILj256ELj13ELNS0_17block_load_methodE3ELS4_3ELS4_3ELNS0_20block_scan_algorithmE0ELj4294967295EEENS1_25partition_config_selectorILNS1_17partition_subalgoE3EjNS0_10empty_typeEbEEZZNS1_14partition_implILS8_3ELb0ES6_jNS0_17counting_iteratorIjlEEPS9_SE_NS0_5tupleIJPjSE_EEENSF_IJSE_SE_EEES9_SG_JZNS1_25segmented_radix_sort_implINS0_14default_configELb1EPKfPfPKlPlN2at6native12_GLOBAL__N_18offset_tEEE10hipError_tPvRmT1_PNSt15iterator_traitsISY_E10value_typeET2_T3_PNSZ_IS14_E10value_typeET4_jRbjT5_S1A_jjP12ihipStream_tbEUljE_EEESV_SW_SX_S14_S18_S1A_T6_T7_T9_mT8_S1C_bDpT10_ENKUlT_T0_E_clISt17integral_constantIbLb0EES1O_IbLb1EEEEDaS1K_S1L_EUlS1K_E_NS1_11comp_targetILNS1_3genE10ELNS1_11target_archE1200ELNS1_3gpuE4ELNS1_3repE0EEENS1_30default_config_static_selectorELNS0_4arch9wavefront6targetE0EEEvSY_,"axG",@progbits,_ZN7rocprim17ROCPRIM_400000_NS6detail17trampoline_kernelINS0_13select_configILj256ELj13ELNS0_17block_load_methodE3ELS4_3ELS4_3ELNS0_20block_scan_algorithmE0ELj4294967295EEENS1_25partition_config_selectorILNS1_17partition_subalgoE3EjNS0_10empty_typeEbEEZZNS1_14partition_implILS8_3ELb0ES6_jNS0_17counting_iteratorIjlEEPS9_SE_NS0_5tupleIJPjSE_EEENSF_IJSE_SE_EEES9_SG_JZNS1_25segmented_radix_sort_implINS0_14default_configELb1EPKfPfPKlPlN2at6native12_GLOBAL__N_18offset_tEEE10hipError_tPvRmT1_PNSt15iterator_traitsISY_E10value_typeET2_T3_PNSZ_IS14_E10value_typeET4_jRbjT5_S1A_jjP12ihipStream_tbEUljE_EEESV_SW_SX_S14_S18_S1A_T6_T7_T9_mT8_S1C_bDpT10_ENKUlT_T0_E_clISt17integral_constantIbLb0EES1O_IbLb1EEEEDaS1K_S1L_EUlS1K_E_NS1_11comp_targetILNS1_3genE10ELNS1_11target_archE1200ELNS1_3gpuE4ELNS1_3repE0EEENS1_30default_config_static_selectorELNS0_4arch9wavefront6targetE0EEEvSY_,comdat
.Lfunc_end1314:
	.size	_ZN7rocprim17ROCPRIM_400000_NS6detail17trampoline_kernelINS0_13select_configILj256ELj13ELNS0_17block_load_methodE3ELS4_3ELS4_3ELNS0_20block_scan_algorithmE0ELj4294967295EEENS1_25partition_config_selectorILNS1_17partition_subalgoE3EjNS0_10empty_typeEbEEZZNS1_14partition_implILS8_3ELb0ES6_jNS0_17counting_iteratorIjlEEPS9_SE_NS0_5tupleIJPjSE_EEENSF_IJSE_SE_EEES9_SG_JZNS1_25segmented_radix_sort_implINS0_14default_configELb1EPKfPfPKlPlN2at6native12_GLOBAL__N_18offset_tEEE10hipError_tPvRmT1_PNSt15iterator_traitsISY_E10value_typeET2_T3_PNSZ_IS14_E10value_typeET4_jRbjT5_S1A_jjP12ihipStream_tbEUljE_EEESV_SW_SX_S14_S18_S1A_T6_T7_T9_mT8_S1C_bDpT10_ENKUlT_T0_E_clISt17integral_constantIbLb0EES1O_IbLb1EEEEDaS1K_S1L_EUlS1K_E_NS1_11comp_targetILNS1_3genE10ELNS1_11target_archE1200ELNS1_3gpuE4ELNS1_3repE0EEENS1_30default_config_static_selectorELNS0_4arch9wavefront6targetE0EEEvSY_, .Lfunc_end1314-_ZN7rocprim17ROCPRIM_400000_NS6detail17trampoline_kernelINS0_13select_configILj256ELj13ELNS0_17block_load_methodE3ELS4_3ELS4_3ELNS0_20block_scan_algorithmE0ELj4294967295EEENS1_25partition_config_selectorILNS1_17partition_subalgoE3EjNS0_10empty_typeEbEEZZNS1_14partition_implILS8_3ELb0ES6_jNS0_17counting_iteratorIjlEEPS9_SE_NS0_5tupleIJPjSE_EEENSF_IJSE_SE_EEES9_SG_JZNS1_25segmented_radix_sort_implINS0_14default_configELb1EPKfPfPKlPlN2at6native12_GLOBAL__N_18offset_tEEE10hipError_tPvRmT1_PNSt15iterator_traitsISY_E10value_typeET2_T3_PNSZ_IS14_E10value_typeET4_jRbjT5_S1A_jjP12ihipStream_tbEUljE_EEESV_SW_SX_S14_S18_S1A_T6_T7_T9_mT8_S1C_bDpT10_ENKUlT_T0_E_clISt17integral_constantIbLb0EES1O_IbLb1EEEEDaS1K_S1L_EUlS1K_E_NS1_11comp_targetILNS1_3genE10ELNS1_11target_archE1200ELNS1_3gpuE4ELNS1_3repE0EEENS1_30default_config_static_selectorELNS0_4arch9wavefront6targetE0EEEvSY_
                                        ; -- End function
	.set _ZN7rocprim17ROCPRIM_400000_NS6detail17trampoline_kernelINS0_13select_configILj256ELj13ELNS0_17block_load_methodE3ELS4_3ELS4_3ELNS0_20block_scan_algorithmE0ELj4294967295EEENS1_25partition_config_selectorILNS1_17partition_subalgoE3EjNS0_10empty_typeEbEEZZNS1_14partition_implILS8_3ELb0ES6_jNS0_17counting_iteratorIjlEEPS9_SE_NS0_5tupleIJPjSE_EEENSF_IJSE_SE_EEES9_SG_JZNS1_25segmented_radix_sort_implINS0_14default_configELb1EPKfPfPKlPlN2at6native12_GLOBAL__N_18offset_tEEE10hipError_tPvRmT1_PNSt15iterator_traitsISY_E10value_typeET2_T3_PNSZ_IS14_E10value_typeET4_jRbjT5_S1A_jjP12ihipStream_tbEUljE_EEESV_SW_SX_S14_S18_S1A_T6_T7_T9_mT8_S1C_bDpT10_ENKUlT_T0_E_clISt17integral_constantIbLb0EES1O_IbLb1EEEEDaS1K_S1L_EUlS1K_E_NS1_11comp_targetILNS1_3genE10ELNS1_11target_archE1200ELNS1_3gpuE4ELNS1_3repE0EEENS1_30default_config_static_selectorELNS0_4arch9wavefront6targetE0EEEvSY_.num_vgpr, 0
	.set _ZN7rocprim17ROCPRIM_400000_NS6detail17trampoline_kernelINS0_13select_configILj256ELj13ELNS0_17block_load_methodE3ELS4_3ELS4_3ELNS0_20block_scan_algorithmE0ELj4294967295EEENS1_25partition_config_selectorILNS1_17partition_subalgoE3EjNS0_10empty_typeEbEEZZNS1_14partition_implILS8_3ELb0ES6_jNS0_17counting_iteratorIjlEEPS9_SE_NS0_5tupleIJPjSE_EEENSF_IJSE_SE_EEES9_SG_JZNS1_25segmented_radix_sort_implINS0_14default_configELb1EPKfPfPKlPlN2at6native12_GLOBAL__N_18offset_tEEE10hipError_tPvRmT1_PNSt15iterator_traitsISY_E10value_typeET2_T3_PNSZ_IS14_E10value_typeET4_jRbjT5_S1A_jjP12ihipStream_tbEUljE_EEESV_SW_SX_S14_S18_S1A_T6_T7_T9_mT8_S1C_bDpT10_ENKUlT_T0_E_clISt17integral_constantIbLb0EES1O_IbLb1EEEEDaS1K_S1L_EUlS1K_E_NS1_11comp_targetILNS1_3genE10ELNS1_11target_archE1200ELNS1_3gpuE4ELNS1_3repE0EEENS1_30default_config_static_selectorELNS0_4arch9wavefront6targetE0EEEvSY_.num_agpr, 0
	.set _ZN7rocprim17ROCPRIM_400000_NS6detail17trampoline_kernelINS0_13select_configILj256ELj13ELNS0_17block_load_methodE3ELS4_3ELS4_3ELNS0_20block_scan_algorithmE0ELj4294967295EEENS1_25partition_config_selectorILNS1_17partition_subalgoE3EjNS0_10empty_typeEbEEZZNS1_14partition_implILS8_3ELb0ES6_jNS0_17counting_iteratorIjlEEPS9_SE_NS0_5tupleIJPjSE_EEENSF_IJSE_SE_EEES9_SG_JZNS1_25segmented_radix_sort_implINS0_14default_configELb1EPKfPfPKlPlN2at6native12_GLOBAL__N_18offset_tEEE10hipError_tPvRmT1_PNSt15iterator_traitsISY_E10value_typeET2_T3_PNSZ_IS14_E10value_typeET4_jRbjT5_S1A_jjP12ihipStream_tbEUljE_EEESV_SW_SX_S14_S18_S1A_T6_T7_T9_mT8_S1C_bDpT10_ENKUlT_T0_E_clISt17integral_constantIbLb0EES1O_IbLb1EEEEDaS1K_S1L_EUlS1K_E_NS1_11comp_targetILNS1_3genE10ELNS1_11target_archE1200ELNS1_3gpuE4ELNS1_3repE0EEENS1_30default_config_static_selectorELNS0_4arch9wavefront6targetE0EEEvSY_.numbered_sgpr, 0
	.set _ZN7rocprim17ROCPRIM_400000_NS6detail17trampoline_kernelINS0_13select_configILj256ELj13ELNS0_17block_load_methodE3ELS4_3ELS4_3ELNS0_20block_scan_algorithmE0ELj4294967295EEENS1_25partition_config_selectorILNS1_17partition_subalgoE3EjNS0_10empty_typeEbEEZZNS1_14partition_implILS8_3ELb0ES6_jNS0_17counting_iteratorIjlEEPS9_SE_NS0_5tupleIJPjSE_EEENSF_IJSE_SE_EEES9_SG_JZNS1_25segmented_radix_sort_implINS0_14default_configELb1EPKfPfPKlPlN2at6native12_GLOBAL__N_18offset_tEEE10hipError_tPvRmT1_PNSt15iterator_traitsISY_E10value_typeET2_T3_PNSZ_IS14_E10value_typeET4_jRbjT5_S1A_jjP12ihipStream_tbEUljE_EEESV_SW_SX_S14_S18_S1A_T6_T7_T9_mT8_S1C_bDpT10_ENKUlT_T0_E_clISt17integral_constantIbLb0EES1O_IbLb1EEEEDaS1K_S1L_EUlS1K_E_NS1_11comp_targetILNS1_3genE10ELNS1_11target_archE1200ELNS1_3gpuE4ELNS1_3repE0EEENS1_30default_config_static_selectorELNS0_4arch9wavefront6targetE0EEEvSY_.num_named_barrier, 0
	.set _ZN7rocprim17ROCPRIM_400000_NS6detail17trampoline_kernelINS0_13select_configILj256ELj13ELNS0_17block_load_methodE3ELS4_3ELS4_3ELNS0_20block_scan_algorithmE0ELj4294967295EEENS1_25partition_config_selectorILNS1_17partition_subalgoE3EjNS0_10empty_typeEbEEZZNS1_14partition_implILS8_3ELb0ES6_jNS0_17counting_iteratorIjlEEPS9_SE_NS0_5tupleIJPjSE_EEENSF_IJSE_SE_EEES9_SG_JZNS1_25segmented_radix_sort_implINS0_14default_configELb1EPKfPfPKlPlN2at6native12_GLOBAL__N_18offset_tEEE10hipError_tPvRmT1_PNSt15iterator_traitsISY_E10value_typeET2_T3_PNSZ_IS14_E10value_typeET4_jRbjT5_S1A_jjP12ihipStream_tbEUljE_EEESV_SW_SX_S14_S18_S1A_T6_T7_T9_mT8_S1C_bDpT10_ENKUlT_T0_E_clISt17integral_constantIbLb0EES1O_IbLb1EEEEDaS1K_S1L_EUlS1K_E_NS1_11comp_targetILNS1_3genE10ELNS1_11target_archE1200ELNS1_3gpuE4ELNS1_3repE0EEENS1_30default_config_static_selectorELNS0_4arch9wavefront6targetE0EEEvSY_.private_seg_size, 0
	.set _ZN7rocprim17ROCPRIM_400000_NS6detail17trampoline_kernelINS0_13select_configILj256ELj13ELNS0_17block_load_methodE3ELS4_3ELS4_3ELNS0_20block_scan_algorithmE0ELj4294967295EEENS1_25partition_config_selectorILNS1_17partition_subalgoE3EjNS0_10empty_typeEbEEZZNS1_14partition_implILS8_3ELb0ES6_jNS0_17counting_iteratorIjlEEPS9_SE_NS0_5tupleIJPjSE_EEENSF_IJSE_SE_EEES9_SG_JZNS1_25segmented_radix_sort_implINS0_14default_configELb1EPKfPfPKlPlN2at6native12_GLOBAL__N_18offset_tEEE10hipError_tPvRmT1_PNSt15iterator_traitsISY_E10value_typeET2_T3_PNSZ_IS14_E10value_typeET4_jRbjT5_S1A_jjP12ihipStream_tbEUljE_EEESV_SW_SX_S14_S18_S1A_T6_T7_T9_mT8_S1C_bDpT10_ENKUlT_T0_E_clISt17integral_constantIbLb0EES1O_IbLb1EEEEDaS1K_S1L_EUlS1K_E_NS1_11comp_targetILNS1_3genE10ELNS1_11target_archE1200ELNS1_3gpuE4ELNS1_3repE0EEENS1_30default_config_static_selectorELNS0_4arch9wavefront6targetE0EEEvSY_.uses_vcc, 0
	.set _ZN7rocprim17ROCPRIM_400000_NS6detail17trampoline_kernelINS0_13select_configILj256ELj13ELNS0_17block_load_methodE3ELS4_3ELS4_3ELNS0_20block_scan_algorithmE0ELj4294967295EEENS1_25partition_config_selectorILNS1_17partition_subalgoE3EjNS0_10empty_typeEbEEZZNS1_14partition_implILS8_3ELb0ES6_jNS0_17counting_iteratorIjlEEPS9_SE_NS0_5tupleIJPjSE_EEENSF_IJSE_SE_EEES9_SG_JZNS1_25segmented_radix_sort_implINS0_14default_configELb1EPKfPfPKlPlN2at6native12_GLOBAL__N_18offset_tEEE10hipError_tPvRmT1_PNSt15iterator_traitsISY_E10value_typeET2_T3_PNSZ_IS14_E10value_typeET4_jRbjT5_S1A_jjP12ihipStream_tbEUljE_EEESV_SW_SX_S14_S18_S1A_T6_T7_T9_mT8_S1C_bDpT10_ENKUlT_T0_E_clISt17integral_constantIbLb0EES1O_IbLb1EEEEDaS1K_S1L_EUlS1K_E_NS1_11comp_targetILNS1_3genE10ELNS1_11target_archE1200ELNS1_3gpuE4ELNS1_3repE0EEENS1_30default_config_static_selectorELNS0_4arch9wavefront6targetE0EEEvSY_.uses_flat_scratch, 0
	.set _ZN7rocprim17ROCPRIM_400000_NS6detail17trampoline_kernelINS0_13select_configILj256ELj13ELNS0_17block_load_methodE3ELS4_3ELS4_3ELNS0_20block_scan_algorithmE0ELj4294967295EEENS1_25partition_config_selectorILNS1_17partition_subalgoE3EjNS0_10empty_typeEbEEZZNS1_14partition_implILS8_3ELb0ES6_jNS0_17counting_iteratorIjlEEPS9_SE_NS0_5tupleIJPjSE_EEENSF_IJSE_SE_EEES9_SG_JZNS1_25segmented_radix_sort_implINS0_14default_configELb1EPKfPfPKlPlN2at6native12_GLOBAL__N_18offset_tEEE10hipError_tPvRmT1_PNSt15iterator_traitsISY_E10value_typeET2_T3_PNSZ_IS14_E10value_typeET4_jRbjT5_S1A_jjP12ihipStream_tbEUljE_EEESV_SW_SX_S14_S18_S1A_T6_T7_T9_mT8_S1C_bDpT10_ENKUlT_T0_E_clISt17integral_constantIbLb0EES1O_IbLb1EEEEDaS1K_S1L_EUlS1K_E_NS1_11comp_targetILNS1_3genE10ELNS1_11target_archE1200ELNS1_3gpuE4ELNS1_3repE0EEENS1_30default_config_static_selectorELNS0_4arch9wavefront6targetE0EEEvSY_.has_dyn_sized_stack, 0
	.set _ZN7rocprim17ROCPRIM_400000_NS6detail17trampoline_kernelINS0_13select_configILj256ELj13ELNS0_17block_load_methodE3ELS4_3ELS4_3ELNS0_20block_scan_algorithmE0ELj4294967295EEENS1_25partition_config_selectorILNS1_17partition_subalgoE3EjNS0_10empty_typeEbEEZZNS1_14partition_implILS8_3ELb0ES6_jNS0_17counting_iteratorIjlEEPS9_SE_NS0_5tupleIJPjSE_EEENSF_IJSE_SE_EEES9_SG_JZNS1_25segmented_radix_sort_implINS0_14default_configELb1EPKfPfPKlPlN2at6native12_GLOBAL__N_18offset_tEEE10hipError_tPvRmT1_PNSt15iterator_traitsISY_E10value_typeET2_T3_PNSZ_IS14_E10value_typeET4_jRbjT5_S1A_jjP12ihipStream_tbEUljE_EEESV_SW_SX_S14_S18_S1A_T6_T7_T9_mT8_S1C_bDpT10_ENKUlT_T0_E_clISt17integral_constantIbLb0EES1O_IbLb1EEEEDaS1K_S1L_EUlS1K_E_NS1_11comp_targetILNS1_3genE10ELNS1_11target_archE1200ELNS1_3gpuE4ELNS1_3repE0EEENS1_30default_config_static_selectorELNS0_4arch9wavefront6targetE0EEEvSY_.has_recursion, 0
	.set _ZN7rocprim17ROCPRIM_400000_NS6detail17trampoline_kernelINS0_13select_configILj256ELj13ELNS0_17block_load_methodE3ELS4_3ELS4_3ELNS0_20block_scan_algorithmE0ELj4294967295EEENS1_25partition_config_selectorILNS1_17partition_subalgoE3EjNS0_10empty_typeEbEEZZNS1_14partition_implILS8_3ELb0ES6_jNS0_17counting_iteratorIjlEEPS9_SE_NS0_5tupleIJPjSE_EEENSF_IJSE_SE_EEES9_SG_JZNS1_25segmented_radix_sort_implINS0_14default_configELb1EPKfPfPKlPlN2at6native12_GLOBAL__N_18offset_tEEE10hipError_tPvRmT1_PNSt15iterator_traitsISY_E10value_typeET2_T3_PNSZ_IS14_E10value_typeET4_jRbjT5_S1A_jjP12ihipStream_tbEUljE_EEESV_SW_SX_S14_S18_S1A_T6_T7_T9_mT8_S1C_bDpT10_ENKUlT_T0_E_clISt17integral_constantIbLb0EES1O_IbLb1EEEEDaS1K_S1L_EUlS1K_E_NS1_11comp_targetILNS1_3genE10ELNS1_11target_archE1200ELNS1_3gpuE4ELNS1_3repE0EEENS1_30default_config_static_selectorELNS0_4arch9wavefront6targetE0EEEvSY_.has_indirect_call, 0
	.section	.AMDGPU.csdata,"",@progbits
; Kernel info:
; codeLenInByte = 0
; TotalNumSgprs: 0
; NumVgprs: 0
; ScratchSize: 0
; MemoryBound: 0
; FloatMode: 240
; IeeeMode: 1
; LDSByteSize: 0 bytes/workgroup (compile time only)
; SGPRBlocks: 0
; VGPRBlocks: 0
; NumSGPRsForWavesPerEU: 1
; NumVGPRsForWavesPerEU: 1
; Occupancy: 16
; WaveLimiterHint : 0
; COMPUTE_PGM_RSRC2:SCRATCH_EN: 0
; COMPUTE_PGM_RSRC2:USER_SGPR: 6
; COMPUTE_PGM_RSRC2:TRAP_HANDLER: 0
; COMPUTE_PGM_RSRC2:TGID_X_EN: 1
; COMPUTE_PGM_RSRC2:TGID_Y_EN: 0
; COMPUTE_PGM_RSRC2:TGID_Z_EN: 0
; COMPUTE_PGM_RSRC2:TIDIG_COMP_CNT: 0
	.section	.text._ZN7rocprim17ROCPRIM_400000_NS6detail17trampoline_kernelINS0_13select_configILj256ELj13ELNS0_17block_load_methodE3ELS4_3ELS4_3ELNS0_20block_scan_algorithmE0ELj4294967295EEENS1_25partition_config_selectorILNS1_17partition_subalgoE3EjNS0_10empty_typeEbEEZZNS1_14partition_implILS8_3ELb0ES6_jNS0_17counting_iteratorIjlEEPS9_SE_NS0_5tupleIJPjSE_EEENSF_IJSE_SE_EEES9_SG_JZNS1_25segmented_radix_sort_implINS0_14default_configELb1EPKfPfPKlPlN2at6native12_GLOBAL__N_18offset_tEEE10hipError_tPvRmT1_PNSt15iterator_traitsISY_E10value_typeET2_T3_PNSZ_IS14_E10value_typeET4_jRbjT5_S1A_jjP12ihipStream_tbEUljE_EEESV_SW_SX_S14_S18_S1A_T6_T7_T9_mT8_S1C_bDpT10_ENKUlT_T0_E_clISt17integral_constantIbLb0EES1O_IbLb1EEEEDaS1K_S1L_EUlS1K_E_NS1_11comp_targetILNS1_3genE9ELNS1_11target_archE1100ELNS1_3gpuE3ELNS1_3repE0EEENS1_30default_config_static_selectorELNS0_4arch9wavefront6targetE0EEEvSY_,"axG",@progbits,_ZN7rocprim17ROCPRIM_400000_NS6detail17trampoline_kernelINS0_13select_configILj256ELj13ELNS0_17block_load_methodE3ELS4_3ELS4_3ELNS0_20block_scan_algorithmE0ELj4294967295EEENS1_25partition_config_selectorILNS1_17partition_subalgoE3EjNS0_10empty_typeEbEEZZNS1_14partition_implILS8_3ELb0ES6_jNS0_17counting_iteratorIjlEEPS9_SE_NS0_5tupleIJPjSE_EEENSF_IJSE_SE_EEES9_SG_JZNS1_25segmented_radix_sort_implINS0_14default_configELb1EPKfPfPKlPlN2at6native12_GLOBAL__N_18offset_tEEE10hipError_tPvRmT1_PNSt15iterator_traitsISY_E10value_typeET2_T3_PNSZ_IS14_E10value_typeET4_jRbjT5_S1A_jjP12ihipStream_tbEUljE_EEESV_SW_SX_S14_S18_S1A_T6_T7_T9_mT8_S1C_bDpT10_ENKUlT_T0_E_clISt17integral_constantIbLb0EES1O_IbLb1EEEEDaS1K_S1L_EUlS1K_E_NS1_11comp_targetILNS1_3genE9ELNS1_11target_archE1100ELNS1_3gpuE3ELNS1_3repE0EEENS1_30default_config_static_selectorELNS0_4arch9wavefront6targetE0EEEvSY_,comdat
	.globl	_ZN7rocprim17ROCPRIM_400000_NS6detail17trampoline_kernelINS0_13select_configILj256ELj13ELNS0_17block_load_methodE3ELS4_3ELS4_3ELNS0_20block_scan_algorithmE0ELj4294967295EEENS1_25partition_config_selectorILNS1_17partition_subalgoE3EjNS0_10empty_typeEbEEZZNS1_14partition_implILS8_3ELb0ES6_jNS0_17counting_iteratorIjlEEPS9_SE_NS0_5tupleIJPjSE_EEENSF_IJSE_SE_EEES9_SG_JZNS1_25segmented_radix_sort_implINS0_14default_configELb1EPKfPfPKlPlN2at6native12_GLOBAL__N_18offset_tEEE10hipError_tPvRmT1_PNSt15iterator_traitsISY_E10value_typeET2_T3_PNSZ_IS14_E10value_typeET4_jRbjT5_S1A_jjP12ihipStream_tbEUljE_EEESV_SW_SX_S14_S18_S1A_T6_T7_T9_mT8_S1C_bDpT10_ENKUlT_T0_E_clISt17integral_constantIbLb0EES1O_IbLb1EEEEDaS1K_S1L_EUlS1K_E_NS1_11comp_targetILNS1_3genE9ELNS1_11target_archE1100ELNS1_3gpuE3ELNS1_3repE0EEENS1_30default_config_static_selectorELNS0_4arch9wavefront6targetE0EEEvSY_ ; -- Begin function _ZN7rocprim17ROCPRIM_400000_NS6detail17trampoline_kernelINS0_13select_configILj256ELj13ELNS0_17block_load_methodE3ELS4_3ELS4_3ELNS0_20block_scan_algorithmE0ELj4294967295EEENS1_25partition_config_selectorILNS1_17partition_subalgoE3EjNS0_10empty_typeEbEEZZNS1_14partition_implILS8_3ELb0ES6_jNS0_17counting_iteratorIjlEEPS9_SE_NS0_5tupleIJPjSE_EEENSF_IJSE_SE_EEES9_SG_JZNS1_25segmented_radix_sort_implINS0_14default_configELb1EPKfPfPKlPlN2at6native12_GLOBAL__N_18offset_tEEE10hipError_tPvRmT1_PNSt15iterator_traitsISY_E10value_typeET2_T3_PNSZ_IS14_E10value_typeET4_jRbjT5_S1A_jjP12ihipStream_tbEUljE_EEESV_SW_SX_S14_S18_S1A_T6_T7_T9_mT8_S1C_bDpT10_ENKUlT_T0_E_clISt17integral_constantIbLb0EES1O_IbLb1EEEEDaS1K_S1L_EUlS1K_E_NS1_11comp_targetILNS1_3genE9ELNS1_11target_archE1100ELNS1_3gpuE3ELNS1_3repE0EEENS1_30default_config_static_selectorELNS0_4arch9wavefront6targetE0EEEvSY_
	.p2align	8
	.type	_ZN7rocprim17ROCPRIM_400000_NS6detail17trampoline_kernelINS0_13select_configILj256ELj13ELNS0_17block_load_methodE3ELS4_3ELS4_3ELNS0_20block_scan_algorithmE0ELj4294967295EEENS1_25partition_config_selectorILNS1_17partition_subalgoE3EjNS0_10empty_typeEbEEZZNS1_14partition_implILS8_3ELb0ES6_jNS0_17counting_iteratorIjlEEPS9_SE_NS0_5tupleIJPjSE_EEENSF_IJSE_SE_EEES9_SG_JZNS1_25segmented_radix_sort_implINS0_14default_configELb1EPKfPfPKlPlN2at6native12_GLOBAL__N_18offset_tEEE10hipError_tPvRmT1_PNSt15iterator_traitsISY_E10value_typeET2_T3_PNSZ_IS14_E10value_typeET4_jRbjT5_S1A_jjP12ihipStream_tbEUljE_EEESV_SW_SX_S14_S18_S1A_T6_T7_T9_mT8_S1C_bDpT10_ENKUlT_T0_E_clISt17integral_constantIbLb0EES1O_IbLb1EEEEDaS1K_S1L_EUlS1K_E_NS1_11comp_targetILNS1_3genE9ELNS1_11target_archE1100ELNS1_3gpuE3ELNS1_3repE0EEENS1_30default_config_static_selectorELNS0_4arch9wavefront6targetE0EEEvSY_,@function
_ZN7rocprim17ROCPRIM_400000_NS6detail17trampoline_kernelINS0_13select_configILj256ELj13ELNS0_17block_load_methodE3ELS4_3ELS4_3ELNS0_20block_scan_algorithmE0ELj4294967295EEENS1_25partition_config_selectorILNS1_17partition_subalgoE3EjNS0_10empty_typeEbEEZZNS1_14partition_implILS8_3ELb0ES6_jNS0_17counting_iteratorIjlEEPS9_SE_NS0_5tupleIJPjSE_EEENSF_IJSE_SE_EEES9_SG_JZNS1_25segmented_radix_sort_implINS0_14default_configELb1EPKfPfPKlPlN2at6native12_GLOBAL__N_18offset_tEEE10hipError_tPvRmT1_PNSt15iterator_traitsISY_E10value_typeET2_T3_PNSZ_IS14_E10value_typeET4_jRbjT5_S1A_jjP12ihipStream_tbEUljE_EEESV_SW_SX_S14_S18_S1A_T6_T7_T9_mT8_S1C_bDpT10_ENKUlT_T0_E_clISt17integral_constantIbLb0EES1O_IbLb1EEEEDaS1K_S1L_EUlS1K_E_NS1_11comp_targetILNS1_3genE9ELNS1_11target_archE1100ELNS1_3gpuE3ELNS1_3repE0EEENS1_30default_config_static_selectorELNS0_4arch9wavefront6targetE0EEEvSY_: ; @_ZN7rocprim17ROCPRIM_400000_NS6detail17trampoline_kernelINS0_13select_configILj256ELj13ELNS0_17block_load_methodE3ELS4_3ELS4_3ELNS0_20block_scan_algorithmE0ELj4294967295EEENS1_25partition_config_selectorILNS1_17partition_subalgoE3EjNS0_10empty_typeEbEEZZNS1_14partition_implILS8_3ELb0ES6_jNS0_17counting_iteratorIjlEEPS9_SE_NS0_5tupleIJPjSE_EEENSF_IJSE_SE_EEES9_SG_JZNS1_25segmented_radix_sort_implINS0_14default_configELb1EPKfPfPKlPlN2at6native12_GLOBAL__N_18offset_tEEE10hipError_tPvRmT1_PNSt15iterator_traitsISY_E10value_typeET2_T3_PNSZ_IS14_E10value_typeET4_jRbjT5_S1A_jjP12ihipStream_tbEUljE_EEESV_SW_SX_S14_S18_S1A_T6_T7_T9_mT8_S1C_bDpT10_ENKUlT_T0_E_clISt17integral_constantIbLb0EES1O_IbLb1EEEEDaS1K_S1L_EUlS1K_E_NS1_11comp_targetILNS1_3genE9ELNS1_11target_archE1100ELNS1_3gpuE3ELNS1_3repE0EEENS1_30default_config_static_selectorELNS0_4arch9wavefront6targetE0EEEvSY_
; %bb.0:
	.section	.rodata,"a",@progbits
	.p2align	6, 0x0
	.amdhsa_kernel _ZN7rocprim17ROCPRIM_400000_NS6detail17trampoline_kernelINS0_13select_configILj256ELj13ELNS0_17block_load_methodE3ELS4_3ELS4_3ELNS0_20block_scan_algorithmE0ELj4294967295EEENS1_25partition_config_selectorILNS1_17partition_subalgoE3EjNS0_10empty_typeEbEEZZNS1_14partition_implILS8_3ELb0ES6_jNS0_17counting_iteratorIjlEEPS9_SE_NS0_5tupleIJPjSE_EEENSF_IJSE_SE_EEES9_SG_JZNS1_25segmented_radix_sort_implINS0_14default_configELb1EPKfPfPKlPlN2at6native12_GLOBAL__N_18offset_tEEE10hipError_tPvRmT1_PNSt15iterator_traitsISY_E10value_typeET2_T3_PNSZ_IS14_E10value_typeET4_jRbjT5_S1A_jjP12ihipStream_tbEUljE_EEESV_SW_SX_S14_S18_S1A_T6_T7_T9_mT8_S1C_bDpT10_ENKUlT_T0_E_clISt17integral_constantIbLb0EES1O_IbLb1EEEEDaS1K_S1L_EUlS1K_E_NS1_11comp_targetILNS1_3genE9ELNS1_11target_archE1100ELNS1_3gpuE3ELNS1_3repE0EEENS1_30default_config_static_selectorELNS0_4arch9wavefront6targetE0EEEvSY_
		.amdhsa_group_segment_fixed_size 0
		.amdhsa_private_segment_fixed_size 0
		.amdhsa_kernarg_size 152
		.amdhsa_user_sgpr_count 6
		.amdhsa_user_sgpr_private_segment_buffer 1
		.amdhsa_user_sgpr_dispatch_ptr 0
		.amdhsa_user_sgpr_queue_ptr 0
		.amdhsa_user_sgpr_kernarg_segment_ptr 1
		.amdhsa_user_sgpr_dispatch_id 0
		.amdhsa_user_sgpr_flat_scratch_init 0
		.amdhsa_user_sgpr_private_segment_size 0
		.amdhsa_wavefront_size32 1
		.amdhsa_uses_dynamic_stack 0
		.amdhsa_system_sgpr_private_segment_wavefront_offset 0
		.amdhsa_system_sgpr_workgroup_id_x 1
		.amdhsa_system_sgpr_workgroup_id_y 0
		.amdhsa_system_sgpr_workgroup_id_z 0
		.amdhsa_system_sgpr_workgroup_info 0
		.amdhsa_system_vgpr_workitem_id 0
		.amdhsa_next_free_vgpr 1
		.amdhsa_next_free_sgpr 1
		.amdhsa_reserve_vcc 0
		.amdhsa_reserve_flat_scratch 0
		.amdhsa_float_round_mode_32 0
		.amdhsa_float_round_mode_16_64 0
		.amdhsa_float_denorm_mode_32 3
		.amdhsa_float_denorm_mode_16_64 3
		.amdhsa_dx10_clamp 1
		.amdhsa_ieee_mode 1
		.amdhsa_fp16_overflow 0
		.amdhsa_workgroup_processor_mode 1
		.amdhsa_memory_ordered 1
		.amdhsa_forward_progress 1
		.amdhsa_shared_vgpr_count 0
		.amdhsa_exception_fp_ieee_invalid_op 0
		.amdhsa_exception_fp_denorm_src 0
		.amdhsa_exception_fp_ieee_div_zero 0
		.amdhsa_exception_fp_ieee_overflow 0
		.amdhsa_exception_fp_ieee_underflow 0
		.amdhsa_exception_fp_ieee_inexact 0
		.amdhsa_exception_int_div_zero 0
	.end_amdhsa_kernel
	.section	.text._ZN7rocprim17ROCPRIM_400000_NS6detail17trampoline_kernelINS0_13select_configILj256ELj13ELNS0_17block_load_methodE3ELS4_3ELS4_3ELNS0_20block_scan_algorithmE0ELj4294967295EEENS1_25partition_config_selectorILNS1_17partition_subalgoE3EjNS0_10empty_typeEbEEZZNS1_14partition_implILS8_3ELb0ES6_jNS0_17counting_iteratorIjlEEPS9_SE_NS0_5tupleIJPjSE_EEENSF_IJSE_SE_EEES9_SG_JZNS1_25segmented_radix_sort_implINS0_14default_configELb1EPKfPfPKlPlN2at6native12_GLOBAL__N_18offset_tEEE10hipError_tPvRmT1_PNSt15iterator_traitsISY_E10value_typeET2_T3_PNSZ_IS14_E10value_typeET4_jRbjT5_S1A_jjP12ihipStream_tbEUljE_EEESV_SW_SX_S14_S18_S1A_T6_T7_T9_mT8_S1C_bDpT10_ENKUlT_T0_E_clISt17integral_constantIbLb0EES1O_IbLb1EEEEDaS1K_S1L_EUlS1K_E_NS1_11comp_targetILNS1_3genE9ELNS1_11target_archE1100ELNS1_3gpuE3ELNS1_3repE0EEENS1_30default_config_static_selectorELNS0_4arch9wavefront6targetE0EEEvSY_,"axG",@progbits,_ZN7rocprim17ROCPRIM_400000_NS6detail17trampoline_kernelINS0_13select_configILj256ELj13ELNS0_17block_load_methodE3ELS4_3ELS4_3ELNS0_20block_scan_algorithmE0ELj4294967295EEENS1_25partition_config_selectorILNS1_17partition_subalgoE3EjNS0_10empty_typeEbEEZZNS1_14partition_implILS8_3ELb0ES6_jNS0_17counting_iteratorIjlEEPS9_SE_NS0_5tupleIJPjSE_EEENSF_IJSE_SE_EEES9_SG_JZNS1_25segmented_radix_sort_implINS0_14default_configELb1EPKfPfPKlPlN2at6native12_GLOBAL__N_18offset_tEEE10hipError_tPvRmT1_PNSt15iterator_traitsISY_E10value_typeET2_T3_PNSZ_IS14_E10value_typeET4_jRbjT5_S1A_jjP12ihipStream_tbEUljE_EEESV_SW_SX_S14_S18_S1A_T6_T7_T9_mT8_S1C_bDpT10_ENKUlT_T0_E_clISt17integral_constantIbLb0EES1O_IbLb1EEEEDaS1K_S1L_EUlS1K_E_NS1_11comp_targetILNS1_3genE9ELNS1_11target_archE1100ELNS1_3gpuE3ELNS1_3repE0EEENS1_30default_config_static_selectorELNS0_4arch9wavefront6targetE0EEEvSY_,comdat
.Lfunc_end1315:
	.size	_ZN7rocprim17ROCPRIM_400000_NS6detail17trampoline_kernelINS0_13select_configILj256ELj13ELNS0_17block_load_methodE3ELS4_3ELS4_3ELNS0_20block_scan_algorithmE0ELj4294967295EEENS1_25partition_config_selectorILNS1_17partition_subalgoE3EjNS0_10empty_typeEbEEZZNS1_14partition_implILS8_3ELb0ES6_jNS0_17counting_iteratorIjlEEPS9_SE_NS0_5tupleIJPjSE_EEENSF_IJSE_SE_EEES9_SG_JZNS1_25segmented_radix_sort_implINS0_14default_configELb1EPKfPfPKlPlN2at6native12_GLOBAL__N_18offset_tEEE10hipError_tPvRmT1_PNSt15iterator_traitsISY_E10value_typeET2_T3_PNSZ_IS14_E10value_typeET4_jRbjT5_S1A_jjP12ihipStream_tbEUljE_EEESV_SW_SX_S14_S18_S1A_T6_T7_T9_mT8_S1C_bDpT10_ENKUlT_T0_E_clISt17integral_constantIbLb0EES1O_IbLb1EEEEDaS1K_S1L_EUlS1K_E_NS1_11comp_targetILNS1_3genE9ELNS1_11target_archE1100ELNS1_3gpuE3ELNS1_3repE0EEENS1_30default_config_static_selectorELNS0_4arch9wavefront6targetE0EEEvSY_, .Lfunc_end1315-_ZN7rocprim17ROCPRIM_400000_NS6detail17trampoline_kernelINS0_13select_configILj256ELj13ELNS0_17block_load_methodE3ELS4_3ELS4_3ELNS0_20block_scan_algorithmE0ELj4294967295EEENS1_25partition_config_selectorILNS1_17partition_subalgoE3EjNS0_10empty_typeEbEEZZNS1_14partition_implILS8_3ELb0ES6_jNS0_17counting_iteratorIjlEEPS9_SE_NS0_5tupleIJPjSE_EEENSF_IJSE_SE_EEES9_SG_JZNS1_25segmented_radix_sort_implINS0_14default_configELb1EPKfPfPKlPlN2at6native12_GLOBAL__N_18offset_tEEE10hipError_tPvRmT1_PNSt15iterator_traitsISY_E10value_typeET2_T3_PNSZ_IS14_E10value_typeET4_jRbjT5_S1A_jjP12ihipStream_tbEUljE_EEESV_SW_SX_S14_S18_S1A_T6_T7_T9_mT8_S1C_bDpT10_ENKUlT_T0_E_clISt17integral_constantIbLb0EES1O_IbLb1EEEEDaS1K_S1L_EUlS1K_E_NS1_11comp_targetILNS1_3genE9ELNS1_11target_archE1100ELNS1_3gpuE3ELNS1_3repE0EEENS1_30default_config_static_selectorELNS0_4arch9wavefront6targetE0EEEvSY_
                                        ; -- End function
	.set _ZN7rocprim17ROCPRIM_400000_NS6detail17trampoline_kernelINS0_13select_configILj256ELj13ELNS0_17block_load_methodE3ELS4_3ELS4_3ELNS0_20block_scan_algorithmE0ELj4294967295EEENS1_25partition_config_selectorILNS1_17partition_subalgoE3EjNS0_10empty_typeEbEEZZNS1_14partition_implILS8_3ELb0ES6_jNS0_17counting_iteratorIjlEEPS9_SE_NS0_5tupleIJPjSE_EEENSF_IJSE_SE_EEES9_SG_JZNS1_25segmented_radix_sort_implINS0_14default_configELb1EPKfPfPKlPlN2at6native12_GLOBAL__N_18offset_tEEE10hipError_tPvRmT1_PNSt15iterator_traitsISY_E10value_typeET2_T3_PNSZ_IS14_E10value_typeET4_jRbjT5_S1A_jjP12ihipStream_tbEUljE_EEESV_SW_SX_S14_S18_S1A_T6_T7_T9_mT8_S1C_bDpT10_ENKUlT_T0_E_clISt17integral_constantIbLb0EES1O_IbLb1EEEEDaS1K_S1L_EUlS1K_E_NS1_11comp_targetILNS1_3genE9ELNS1_11target_archE1100ELNS1_3gpuE3ELNS1_3repE0EEENS1_30default_config_static_selectorELNS0_4arch9wavefront6targetE0EEEvSY_.num_vgpr, 0
	.set _ZN7rocprim17ROCPRIM_400000_NS6detail17trampoline_kernelINS0_13select_configILj256ELj13ELNS0_17block_load_methodE3ELS4_3ELS4_3ELNS0_20block_scan_algorithmE0ELj4294967295EEENS1_25partition_config_selectorILNS1_17partition_subalgoE3EjNS0_10empty_typeEbEEZZNS1_14partition_implILS8_3ELb0ES6_jNS0_17counting_iteratorIjlEEPS9_SE_NS0_5tupleIJPjSE_EEENSF_IJSE_SE_EEES9_SG_JZNS1_25segmented_radix_sort_implINS0_14default_configELb1EPKfPfPKlPlN2at6native12_GLOBAL__N_18offset_tEEE10hipError_tPvRmT1_PNSt15iterator_traitsISY_E10value_typeET2_T3_PNSZ_IS14_E10value_typeET4_jRbjT5_S1A_jjP12ihipStream_tbEUljE_EEESV_SW_SX_S14_S18_S1A_T6_T7_T9_mT8_S1C_bDpT10_ENKUlT_T0_E_clISt17integral_constantIbLb0EES1O_IbLb1EEEEDaS1K_S1L_EUlS1K_E_NS1_11comp_targetILNS1_3genE9ELNS1_11target_archE1100ELNS1_3gpuE3ELNS1_3repE0EEENS1_30default_config_static_selectorELNS0_4arch9wavefront6targetE0EEEvSY_.num_agpr, 0
	.set _ZN7rocprim17ROCPRIM_400000_NS6detail17trampoline_kernelINS0_13select_configILj256ELj13ELNS0_17block_load_methodE3ELS4_3ELS4_3ELNS0_20block_scan_algorithmE0ELj4294967295EEENS1_25partition_config_selectorILNS1_17partition_subalgoE3EjNS0_10empty_typeEbEEZZNS1_14partition_implILS8_3ELb0ES6_jNS0_17counting_iteratorIjlEEPS9_SE_NS0_5tupleIJPjSE_EEENSF_IJSE_SE_EEES9_SG_JZNS1_25segmented_radix_sort_implINS0_14default_configELb1EPKfPfPKlPlN2at6native12_GLOBAL__N_18offset_tEEE10hipError_tPvRmT1_PNSt15iterator_traitsISY_E10value_typeET2_T3_PNSZ_IS14_E10value_typeET4_jRbjT5_S1A_jjP12ihipStream_tbEUljE_EEESV_SW_SX_S14_S18_S1A_T6_T7_T9_mT8_S1C_bDpT10_ENKUlT_T0_E_clISt17integral_constantIbLb0EES1O_IbLb1EEEEDaS1K_S1L_EUlS1K_E_NS1_11comp_targetILNS1_3genE9ELNS1_11target_archE1100ELNS1_3gpuE3ELNS1_3repE0EEENS1_30default_config_static_selectorELNS0_4arch9wavefront6targetE0EEEvSY_.numbered_sgpr, 0
	.set _ZN7rocprim17ROCPRIM_400000_NS6detail17trampoline_kernelINS0_13select_configILj256ELj13ELNS0_17block_load_methodE3ELS4_3ELS4_3ELNS0_20block_scan_algorithmE0ELj4294967295EEENS1_25partition_config_selectorILNS1_17partition_subalgoE3EjNS0_10empty_typeEbEEZZNS1_14partition_implILS8_3ELb0ES6_jNS0_17counting_iteratorIjlEEPS9_SE_NS0_5tupleIJPjSE_EEENSF_IJSE_SE_EEES9_SG_JZNS1_25segmented_radix_sort_implINS0_14default_configELb1EPKfPfPKlPlN2at6native12_GLOBAL__N_18offset_tEEE10hipError_tPvRmT1_PNSt15iterator_traitsISY_E10value_typeET2_T3_PNSZ_IS14_E10value_typeET4_jRbjT5_S1A_jjP12ihipStream_tbEUljE_EEESV_SW_SX_S14_S18_S1A_T6_T7_T9_mT8_S1C_bDpT10_ENKUlT_T0_E_clISt17integral_constantIbLb0EES1O_IbLb1EEEEDaS1K_S1L_EUlS1K_E_NS1_11comp_targetILNS1_3genE9ELNS1_11target_archE1100ELNS1_3gpuE3ELNS1_3repE0EEENS1_30default_config_static_selectorELNS0_4arch9wavefront6targetE0EEEvSY_.num_named_barrier, 0
	.set _ZN7rocprim17ROCPRIM_400000_NS6detail17trampoline_kernelINS0_13select_configILj256ELj13ELNS0_17block_load_methodE3ELS4_3ELS4_3ELNS0_20block_scan_algorithmE0ELj4294967295EEENS1_25partition_config_selectorILNS1_17partition_subalgoE3EjNS0_10empty_typeEbEEZZNS1_14partition_implILS8_3ELb0ES6_jNS0_17counting_iteratorIjlEEPS9_SE_NS0_5tupleIJPjSE_EEENSF_IJSE_SE_EEES9_SG_JZNS1_25segmented_radix_sort_implINS0_14default_configELb1EPKfPfPKlPlN2at6native12_GLOBAL__N_18offset_tEEE10hipError_tPvRmT1_PNSt15iterator_traitsISY_E10value_typeET2_T3_PNSZ_IS14_E10value_typeET4_jRbjT5_S1A_jjP12ihipStream_tbEUljE_EEESV_SW_SX_S14_S18_S1A_T6_T7_T9_mT8_S1C_bDpT10_ENKUlT_T0_E_clISt17integral_constantIbLb0EES1O_IbLb1EEEEDaS1K_S1L_EUlS1K_E_NS1_11comp_targetILNS1_3genE9ELNS1_11target_archE1100ELNS1_3gpuE3ELNS1_3repE0EEENS1_30default_config_static_selectorELNS0_4arch9wavefront6targetE0EEEvSY_.private_seg_size, 0
	.set _ZN7rocprim17ROCPRIM_400000_NS6detail17trampoline_kernelINS0_13select_configILj256ELj13ELNS0_17block_load_methodE3ELS4_3ELS4_3ELNS0_20block_scan_algorithmE0ELj4294967295EEENS1_25partition_config_selectorILNS1_17partition_subalgoE3EjNS0_10empty_typeEbEEZZNS1_14partition_implILS8_3ELb0ES6_jNS0_17counting_iteratorIjlEEPS9_SE_NS0_5tupleIJPjSE_EEENSF_IJSE_SE_EEES9_SG_JZNS1_25segmented_radix_sort_implINS0_14default_configELb1EPKfPfPKlPlN2at6native12_GLOBAL__N_18offset_tEEE10hipError_tPvRmT1_PNSt15iterator_traitsISY_E10value_typeET2_T3_PNSZ_IS14_E10value_typeET4_jRbjT5_S1A_jjP12ihipStream_tbEUljE_EEESV_SW_SX_S14_S18_S1A_T6_T7_T9_mT8_S1C_bDpT10_ENKUlT_T0_E_clISt17integral_constantIbLb0EES1O_IbLb1EEEEDaS1K_S1L_EUlS1K_E_NS1_11comp_targetILNS1_3genE9ELNS1_11target_archE1100ELNS1_3gpuE3ELNS1_3repE0EEENS1_30default_config_static_selectorELNS0_4arch9wavefront6targetE0EEEvSY_.uses_vcc, 0
	.set _ZN7rocprim17ROCPRIM_400000_NS6detail17trampoline_kernelINS0_13select_configILj256ELj13ELNS0_17block_load_methodE3ELS4_3ELS4_3ELNS0_20block_scan_algorithmE0ELj4294967295EEENS1_25partition_config_selectorILNS1_17partition_subalgoE3EjNS0_10empty_typeEbEEZZNS1_14partition_implILS8_3ELb0ES6_jNS0_17counting_iteratorIjlEEPS9_SE_NS0_5tupleIJPjSE_EEENSF_IJSE_SE_EEES9_SG_JZNS1_25segmented_radix_sort_implINS0_14default_configELb1EPKfPfPKlPlN2at6native12_GLOBAL__N_18offset_tEEE10hipError_tPvRmT1_PNSt15iterator_traitsISY_E10value_typeET2_T3_PNSZ_IS14_E10value_typeET4_jRbjT5_S1A_jjP12ihipStream_tbEUljE_EEESV_SW_SX_S14_S18_S1A_T6_T7_T9_mT8_S1C_bDpT10_ENKUlT_T0_E_clISt17integral_constantIbLb0EES1O_IbLb1EEEEDaS1K_S1L_EUlS1K_E_NS1_11comp_targetILNS1_3genE9ELNS1_11target_archE1100ELNS1_3gpuE3ELNS1_3repE0EEENS1_30default_config_static_selectorELNS0_4arch9wavefront6targetE0EEEvSY_.uses_flat_scratch, 0
	.set _ZN7rocprim17ROCPRIM_400000_NS6detail17trampoline_kernelINS0_13select_configILj256ELj13ELNS0_17block_load_methodE3ELS4_3ELS4_3ELNS0_20block_scan_algorithmE0ELj4294967295EEENS1_25partition_config_selectorILNS1_17partition_subalgoE3EjNS0_10empty_typeEbEEZZNS1_14partition_implILS8_3ELb0ES6_jNS0_17counting_iteratorIjlEEPS9_SE_NS0_5tupleIJPjSE_EEENSF_IJSE_SE_EEES9_SG_JZNS1_25segmented_radix_sort_implINS0_14default_configELb1EPKfPfPKlPlN2at6native12_GLOBAL__N_18offset_tEEE10hipError_tPvRmT1_PNSt15iterator_traitsISY_E10value_typeET2_T3_PNSZ_IS14_E10value_typeET4_jRbjT5_S1A_jjP12ihipStream_tbEUljE_EEESV_SW_SX_S14_S18_S1A_T6_T7_T9_mT8_S1C_bDpT10_ENKUlT_T0_E_clISt17integral_constantIbLb0EES1O_IbLb1EEEEDaS1K_S1L_EUlS1K_E_NS1_11comp_targetILNS1_3genE9ELNS1_11target_archE1100ELNS1_3gpuE3ELNS1_3repE0EEENS1_30default_config_static_selectorELNS0_4arch9wavefront6targetE0EEEvSY_.has_dyn_sized_stack, 0
	.set _ZN7rocprim17ROCPRIM_400000_NS6detail17trampoline_kernelINS0_13select_configILj256ELj13ELNS0_17block_load_methodE3ELS4_3ELS4_3ELNS0_20block_scan_algorithmE0ELj4294967295EEENS1_25partition_config_selectorILNS1_17partition_subalgoE3EjNS0_10empty_typeEbEEZZNS1_14partition_implILS8_3ELb0ES6_jNS0_17counting_iteratorIjlEEPS9_SE_NS0_5tupleIJPjSE_EEENSF_IJSE_SE_EEES9_SG_JZNS1_25segmented_radix_sort_implINS0_14default_configELb1EPKfPfPKlPlN2at6native12_GLOBAL__N_18offset_tEEE10hipError_tPvRmT1_PNSt15iterator_traitsISY_E10value_typeET2_T3_PNSZ_IS14_E10value_typeET4_jRbjT5_S1A_jjP12ihipStream_tbEUljE_EEESV_SW_SX_S14_S18_S1A_T6_T7_T9_mT8_S1C_bDpT10_ENKUlT_T0_E_clISt17integral_constantIbLb0EES1O_IbLb1EEEEDaS1K_S1L_EUlS1K_E_NS1_11comp_targetILNS1_3genE9ELNS1_11target_archE1100ELNS1_3gpuE3ELNS1_3repE0EEENS1_30default_config_static_selectorELNS0_4arch9wavefront6targetE0EEEvSY_.has_recursion, 0
	.set _ZN7rocprim17ROCPRIM_400000_NS6detail17trampoline_kernelINS0_13select_configILj256ELj13ELNS0_17block_load_methodE3ELS4_3ELS4_3ELNS0_20block_scan_algorithmE0ELj4294967295EEENS1_25partition_config_selectorILNS1_17partition_subalgoE3EjNS0_10empty_typeEbEEZZNS1_14partition_implILS8_3ELb0ES6_jNS0_17counting_iteratorIjlEEPS9_SE_NS0_5tupleIJPjSE_EEENSF_IJSE_SE_EEES9_SG_JZNS1_25segmented_radix_sort_implINS0_14default_configELb1EPKfPfPKlPlN2at6native12_GLOBAL__N_18offset_tEEE10hipError_tPvRmT1_PNSt15iterator_traitsISY_E10value_typeET2_T3_PNSZ_IS14_E10value_typeET4_jRbjT5_S1A_jjP12ihipStream_tbEUljE_EEESV_SW_SX_S14_S18_S1A_T6_T7_T9_mT8_S1C_bDpT10_ENKUlT_T0_E_clISt17integral_constantIbLb0EES1O_IbLb1EEEEDaS1K_S1L_EUlS1K_E_NS1_11comp_targetILNS1_3genE9ELNS1_11target_archE1100ELNS1_3gpuE3ELNS1_3repE0EEENS1_30default_config_static_selectorELNS0_4arch9wavefront6targetE0EEEvSY_.has_indirect_call, 0
	.section	.AMDGPU.csdata,"",@progbits
; Kernel info:
; codeLenInByte = 0
; TotalNumSgprs: 0
; NumVgprs: 0
; ScratchSize: 0
; MemoryBound: 0
; FloatMode: 240
; IeeeMode: 1
; LDSByteSize: 0 bytes/workgroup (compile time only)
; SGPRBlocks: 0
; VGPRBlocks: 0
; NumSGPRsForWavesPerEU: 1
; NumVGPRsForWavesPerEU: 1
; Occupancy: 16
; WaveLimiterHint : 0
; COMPUTE_PGM_RSRC2:SCRATCH_EN: 0
; COMPUTE_PGM_RSRC2:USER_SGPR: 6
; COMPUTE_PGM_RSRC2:TRAP_HANDLER: 0
; COMPUTE_PGM_RSRC2:TGID_X_EN: 1
; COMPUTE_PGM_RSRC2:TGID_Y_EN: 0
; COMPUTE_PGM_RSRC2:TGID_Z_EN: 0
; COMPUTE_PGM_RSRC2:TIDIG_COMP_CNT: 0
	.section	.text._ZN7rocprim17ROCPRIM_400000_NS6detail17trampoline_kernelINS0_13select_configILj256ELj13ELNS0_17block_load_methodE3ELS4_3ELS4_3ELNS0_20block_scan_algorithmE0ELj4294967295EEENS1_25partition_config_selectorILNS1_17partition_subalgoE3EjNS0_10empty_typeEbEEZZNS1_14partition_implILS8_3ELb0ES6_jNS0_17counting_iteratorIjlEEPS9_SE_NS0_5tupleIJPjSE_EEENSF_IJSE_SE_EEES9_SG_JZNS1_25segmented_radix_sort_implINS0_14default_configELb1EPKfPfPKlPlN2at6native12_GLOBAL__N_18offset_tEEE10hipError_tPvRmT1_PNSt15iterator_traitsISY_E10value_typeET2_T3_PNSZ_IS14_E10value_typeET4_jRbjT5_S1A_jjP12ihipStream_tbEUljE_EEESV_SW_SX_S14_S18_S1A_T6_T7_T9_mT8_S1C_bDpT10_ENKUlT_T0_E_clISt17integral_constantIbLb0EES1O_IbLb1EEEEDaS1K_S1L_EUlS1K_E_NS1_11comp_targetILNS1_3genE8ELNS1_11target_archE1030ELNS1_3gpuE2ELNS1_3repE0EEENS1_30default_config_static_selectorELNS0_4arch9wavefront6targetE0EEEvSY_,"axG",@progbits,_ZN7rocprim17ROCPRIM_400000_NS6detail17trampoline_kernelINS0_13select_configILj256ELj13ELNS0_17block_load_methodE3ELS4_3ELS4_3ELNS0_20block_scan_algorithmE0ELj4294967295EEENS1_25partition_config_selectorILNS1_17partition_subalgoE3EjNS0_10empty_typeEbEEZZNS1_14partition_implILS8_3ELb0ES6_jNS0_17counting_iteratorIjlEEPS9_SE_NS0_5tupleIJPjSE_EEENSF_IJSE_SE_EEES9_SG_JZNS1_25segmented_radix_sort_implINS0_14default_configELb1EPKfPfPKlPlN2at6native12_GLOBAL__N_18offset_tEEE10hipError_tPvRmT1_PNSt15iterator_traitsISY_E10value_typeET2_T3_PNSZ_IS14_E10value_typeET4_jRbjT5_S1A_jjP12ihipStream_tbEUljE_EEESV_SW_SX_S14_S18_S1A_T6_T7_T9_mT8_S1C_bDpT10_ENKUlT_T0_E_clISt17integral_constantIbLb0EES1O_IbLb1EEEEDaS1K_S1L_EUlS1K_E_NS1_11comp_targetILNS1_3genE8ELNS1_11target_archE1030ELNS1_3gpuE2ELNS1_3repE0EEENS1_30default_config_static_selectorELNS0_4arch9wavefront6targetE0EEEvSY_,comdat
	.globl	_ZN7rocprim17ROCPRIM_400000_NS6detail17trampoline_kernelINS0_13select_configILj256ELj13ELNS0_17block_load_methodE3ELS4_3ELS4_3ELNS0_20block_scan_algorithmE0ELj4294967295EEENS1_25partition_config_selectorILNS1_17partition_subalgoE3EjNS0_10empty_typeEbEEZZNS1_14partition_implILS8_3ELb0ES6_jNS0_17counting_iteratorIjlEEPS9_SE_NS0_5tupleIJPjSE_EEENSF_IJSE_SE_EEES9_SG_JZNS1_25segmented_radix_sort_implINS0_14default_configELb1EPKfPfPKlPlN2at6native12_GLOBAL__N_18offset_tEEE10hipError_tPvRmT1_PNSt15iterator_traitsISY_E10value_typeET2_T3_PNSZ_IS14_E10value_typeET4_jRbjT5_S1A_jjP12ihipStream_tbEUljE_EEESV_SW_SX_S14_S18_S1A_T6_T7_T9_mT8_S1C_bDpT10_ENKUlT_T0_E_clISt17integral_constantIbLb0EES1O_IbLb1EEEEDaS1K_S1L_EUlS1K_E_NS1_11comp_targetILNS1_3genE8ELNS1_11target_archE1030ELNS1_3gpuE2ELNS1_3repE0EEENS1_30default_config_static_selectorELNS0_4arch9wavefront6targetE0EEEvSY_ ; -- Begin function _ZN7rocprim17ROCPRIM_400000_NS6detail17trampoline_kernelINS0_13select_configILj256ELj13ELNS0_17block_load_methodE3ELS4_3ELS4_3ELNS0_20block_scan_algorithmE0ELj4294967295EEENS1_25partition_config_selectorILNS1_17partition_subalgoE3EjNS0_10empty_typeEbEEZZNS1_14partition_implILS8_3ELb0ES6_jNS0_17counting_iteratorIjlEEPS9_SE_NS0_5tupleIJPjSE_EEENSF_IJSE_SE_EEES9_SG_JZNS1_25segmented_radix_sort_implINS0_14default_configELb1EPKfPfPKlPlN2at6native12_GLOBAL__N_18offset_tEEE10hipError_tPvRmT1_PNSt15iterator_traitsISY_E10value_typeET2_T3_PNSZ_IS14_E10value_typeET4_jRbjT5_S1A_jjP12ihipStream_tbEUljE_EEESV_SW_SX_S14_S18_S1A_T6_T7_T9_mT8_S1C_bDpT10_ENKUlT_T0_E_clISt17integral_constantIbLb0EES1O_IbLb1EEEEDaS1K_S1L_EUlS1K_E_NS1_11comp_targetILNS1_3genE8ELNS1_11target_archE1030ELNS1_3gpuE2ELNS1_3repE0EEENS1_30default_config_static_selectorELNS0_4arch9wavefront6targetE0EEEvSY_
	.p2align	8
	.type	_ZN7rocprim17ROCPRIM_400000_NS6detail17trampoline_kernelINS0_13select_configILj256ELj13ELNS0_17block_load_methodE3ELS4_3ELS4_3ELNS0_20block_scan_algorithmE0ELj4294967295EEENS1_25partition_config_selectorILNS1_17partition_subalgoE3EjNS0_10empty_typeEbEEZZNS1_14partition_implILS8_3ELb0ES6_jNS0_17counting_iteratorIjlEEPS9_SE_NS0_5tupleIJPjSE_EEENSF_IJSE_SE_EEES9_SG_JZNS1_25segmented_radix_sort_implINS0_14default_configELb1EPKfPfPKlPlN2at6native12_GLOBAL__N_18offset_tEEE10hipError_tPvRmT1_PNSt15iterator_traitsISY_E10value_typeET2_T3_PNSZ_IS14_E10value_typeET4_jRbjT5_S1A_jjP12ihipStream_tbEUljE_EEESV_SW_SX_S14_S18_S1A_T6_T7_T9_mT8_S1C_bDpT10_ENKUlT_T0_E_clISt17integral_constantIbLb0EES1O_IbLb1EEEEDaS1K_S1L_EUlS1K_E_NS1_11comp_targetILNS1_3genE8ELNS1_11target_archE1030ELNS1_3gpuE2ELNS1_3repE0EEENS1_30default_config_static_selectorELNS0_4arch9wavefront6targetE0EEEvSY_,@function
_ZN7rocprim17ROCPRIM_400000_NS6detail17trampoline_kernelINS0_13select_configILj256ELj13ELNS0_17block_load_methodE3ELS4_3ELS4_3ELNS0_20block_scan_algorithmE0ELj4294967295EEENS1_25partition_config_selectorILNS1_17partition_subalgoE3EjNS0_10empty_typeEbEEZZNS1_14partition_implILS8_3ELb0ES6_jNS0_17counting_iteratorIjlEEPS9_SE_NS0_5tupleIJPjSE_EEENSF_IJSE_SE_EEES9_SG_JZNS1_25segmented_radix_sort_implINS0_14default_configELb1EPKfPfPKlPlN2at6native12_GLOBAL__N_18offset_tEEE10hipError_tPvRmT1_PNSt15iterator_traitsISY_E10value_typeET2_T3_PNSZ_IS14_E10value_typeET4_jRbjT5_S1A_jjP12ihipStream_tbEUljE_EEESV_SW_SX_S14_S18_S1A_T6_T7_T9_mT8_S1C_bDpT10_ENKUlT_T0_E_clISt17integral_constantIbLb0EES1O_IbLb1EEEEDaS1K_S1L_EUlS1K_E_NS1_11comp_targetILNS1_3genE8ELNS1_11target_archE1030ELNS1_3gpuE2ELNS1_3repE0EEENS1_30default_config_static_selectorELNS0_4arch9wavefront6targetE0EEEvSY_: ; @_ZN7rocprim17ROCPRIM_400000_NS6detail17trampoline_kernelINS0_13select_configILj256ELj13ELNS0_17block_load_methodE3ELS4_3ELS4_3ELNS0_20block_scan_algorithmE0ELj4294967295EEENS1_25partition_config_selectorILNS1_17partition_subalgoE3EjNS0_10empty_typeEbEEZZNS1_14partition_implILS8_3ELb0ES6_jNS0_17counting_iteratorIjlEEPS9_SE_NS0_5tupleIJPjSE_EEENSF_IJSE_SE_EEES9_SG_JZNS1_25segmented_radix_sort_implINS0_14default_configELb1EPKfPfPKlPlN2at6native12_GLOBAL__N_18offset_tEEE10hipError_tPvRmT1_PNSt15iterator_traitsISY_E10value_typeET2_T3_PNSZ_IS14_E10value_typeET4_jRbjT5_S1A_jjP12ihipStream_tbEUljE_EEESV_SW_SX_S14_S18_S1A_T6_T7_T9_mT8_S1C_bDpT10_ENKUlT_T0_E_clISt17integral_constantIbLb0EES1O_IbLb1EEEEDaS1K_S1L_EUlS1K_E_NS1_11comp_targetILNS1_3genE8ELNS1_11target_archE1030ELNS1_3gpuE2ELNS1_3repE0EEENS1_30default_config_static_selectorELNS0_4arch9wavefront6targetE0EEEvSY_
; %bb.0:
	s_clause 0x6
	s_load_dwordx2 s[18:19], s[4:5], 0x10
	s_load_dwordx2 s[16:17], s[4:5], 0x28
	;; [unrolled: 1-line block ×3, first 2 shown]
	s_load_dwordx4 s[12:15], s[4:5], 0x48
	s_load_dword s2, s[4:5], 0x90
	s_load_dwordx2 s[22:23], s[4:5], 0x68
	s_load_dwordx4 s[8:11], s[4:5], 0x80
	v_cmp_eq_u32_e64 s0, 0, v0
	s_and_saveexec_b32 s1, s0
	s_cbranch_execz .LBB1316_4
; %bb.1:
	s_mov_b32 s6, exec_lo
	s_mov_b32 s3, exec_lo
	v_mbcnt_lo_u32_b32 v1, s6, 0
                                        ; implicit-def: $vgpr2
	v_cmpx_eq_u32_e32 0, v1
	s_cbranch_execz .LBB1316_3
; %bb.2:
	s_load_dwordx2 s[24:25], s[4:5], 0x78
	s_bcnt1_i32_b32 s6, s6
	v_mov_b32_e32 v2, 0
	v_mov_b32_e32 v3, s6
	s_waitcnt lgkmcnt(0)
	global_atomic_add v2, v2, v3, s[24:25] glc
.LBB1316_3:
	s_or_b32 exec_lo, exec_lo, s3
	s_waitcnt vmcnt(0)
	v_readfirstlane_b32 s3, v2
	v_mov_b32_e32 v2, 0
	v_add_nc_u32_e32 v1, s3, v1
	ds_write_b32 v2, v1
.LBB1316_4:
	s_or_b32 exec_lo, exec_lo, s1
	v_mov_b32_e32 v1, 0
	s_clause 0x1
	s_load_dword s3, s[4:5], 0x8
	s_load_dword s1, s[4:5], 0x70
	s_waitcnt lgkmcnt(0)
	s_barrier
	buffer_gl0_inv
	ds_read_b32 v2, v1
	s_waitcnt lgkmcnt(0)
	s_barrier
	buffer_gl0_inv
	global_load_dwordx2 v[18:19], v1, s[14:15]
	v_lshlrev_b32_e32 v44, 2, v0
	s_add_i32 s4, s3, s18
	s_mul_i32 s5, s1, 0xd00
	s_add_i32 s1, s1, -1
	s_add_i32 s3, s5, s18
	s_sub_i32 s15, s20, s3
	v_readfirstlane_b32 s25, v2
	s_addk_i32 s15, 0xd00
	s_add_u32 s6, s18, s5
	s_addc_u32 s7, s19, 0
	v_cmp_ne_u32_e32 vcc_lo, s1, v2
	v_cmp_gt_u64_e64 s3, s[20:21], s[6:7]
	s_cmp_eq_u32 s25, s1
	s_mul_i32 s24, s25, 0xd00
	s_cselect_b32 s14, -1, 0
	s_mov_b32 s5, -1
	s_or_b32 s3, s3, vcc_lo
	s_and_b32 vcc_lo, exec_lo, s3
	s_cbranch_vccz .LBB1316_6
; %bb.5:
	v_add3_u32 v1, s24, s4, v0
	s_mov_b32 s5, 0
	v_add_nc_u32_e32 v2, 0x100, v1
	v_add_nc_u32_e32 v3, 0x200, v1
	;; [unrolled: 1-line block ×12, first 2 shown]
	ds_write2st64_b32 v44, v1, v2 offset1:4
	ds_write2st64_b32 v44, v3, v4 offset0:8 offset1:12
	ds_write2st64_b32 v44, v5, v6 offset0:16 offset1:20
	;; [unrolled: 1-line block ×5, first 2 shown]
	ds_write_b32 v44, v13 offset:12288
	s_waitcnt vmcnt(0) lgkmcnt(0)
	s_barrier
.LBB1316_6:
	v_cmp_gt_u32_e64 s1, s15, v0
	v_or_b32_e32 v43, 0x100, v0
	v_or_b32_e32 v42, 0x200, v0
	;; [unrolled: 1-line block ×12, first 2 shown]
	s_andn2_b32 vcc_lo, exec_lo, s5
	s_cbranch_vccnz .LBB1316_8
; %bb.7:
	s_add_i32 s4, s24, s4
	v_cmp_gt_u32_e32 vcc_lo, s15, v43
	v_add_nc_u32_e32 v2, s4, v43
	v_add_nc_u32_e32 v3, s4, v42
	;; [unrolled: 1-line block ×5, first 2 shown]
	v_cndmask_b32_e32 v2, 0, v2, vcc_lo
	v_cmp_gt_u32_e32 vcc_lo, s15, v42
	v_add_nc_u32_e32 v7, s4, v38
	v_add_nc_u32_e32 v8, s4, v37
	;; [unrolled: 1-line block ×4, first 2 shown]
	v_cndmask_b32_e32 v3, 0, v3, vcc_lo
	v_cmp_gt_u32_e32 vcc_lo, s15, v41
	v_add_nc_u32_e32 v11, s4, v34
	v_add_nc_u32_e32 v1, s4, v0
	;; [unrolled: 1-line block ×4, first 2 shown]
	v_cndmask_b32_e32 v4, 0, v4, vcc_lo
	v_cmp_gt_u32_e32 vcc_lo, s15, v40
	v_cndmask_b32_e64 v1, 0, v1, s1
	v_cndmask_b32_e32 v5, 0, v5, vcc_lo
	v_cmp_gt_u32_e32 vcc_lo, s15, v39
	v_cndmask_b32_e32 v6, 0, v6, vcc_lo
	v_cmp_gt_u32_e32 vcc_lo, s15, v38
	;; [unrolled: 2-line block ×8, first 2 shown]
	v_cndmask_b32_e32 v13, 0, v13, vcc_lo
	ds_write2st64_b32 v44, v1, v2 offset1:4
	ds_write2st64_b32 v44, v3, v4 offset0:8 offset1:12
	ds_write2st64_b32 v44, v5, v6 offset0:16 offset1:20
	;; [unrolled: 1-line block ×5, first 2 shown]
	ds_write_b32 v44, v13 offset:12288
	s_waitcnt vmcnt(0) lgkmcnt(0)
	s_barrier
.LBB1316_8:
	v_mul_u32_u24_e32 v47, 13, v0
	s_waitcnt vmcnt(0)
	buffer_gl0_inv
	v_cndmask_b32_e64 v45, 0, 1, s3
	s_andn2_b32 vcc_lo, exec_lo, s3
	v_lshlrev_b32_e32 v1, 2, v47
	ds_read2_b32 v[28:29], v1 offset0:2 offset1:3
	ds_read2_b32 v[24:25], v1 offset0:6 offset1:7
	;; [unrolled: 1-line block ×3, first 2 shown]
	ds_read2_b32 v[30:31], v1 offset1:1
	ds_read2_b32 v[20:21], v1 offset0:10 offset1:11
	ds_read_b32 v46, v1 offset:48
	ds_read2_b32 v[22:23], v1 offset0:8 offset1:9
	s_waitcnt lgkmcnt(0)
	s_barrier
	buffer_gl0_inv
	s_cbranch_vccnz .LBB1316_10
; %bb.9:
	v_add_nc_u32_e32 v1, s9, v29
	v_add_nc_u32_e32 v4, s9, v28
	;; [unrolled: 1-line block ×6, first 2 shown]
	v_mul_lo_u32 v4, v4, s8
	v_mul_lo_u32 v1, v1, s8
	;; [unrolled: 1-line block ×4, first 2 shown]
	v_add_nc_u32_e32 v3, s9, v30
	v_add_nc_u32_e32 v7, s11, v30
	v_mul_lo_u32 v2, v2, s8
	v_mul_lo_u32 v6, v6, s10
	v_add_nc_u32_e32 v10, s11, v27
	v_mul_lo_u32 v3, v3, s8
	v_mul_lo_u32 v7, v7, s10
	v_sub_nc_u32_e32 v1, v1, v5
	v_sub_nc_u32_e32 v4, v4, v8
	v_add_nc_u32_e32 v5, s9, v25
	v_add_nc_u32_e32 v8, s11, v25
	v_sub_nc_u32_e32 v2, v2, v6
	v_add_nc_u32_e32 v6, s9, v27
	v_add_nc_u32_e32 v9, s9, v24
	v_mul_lo_u32 v5, v5, s8
	v_mul_lo_u32 v8, v8, s10
	v_sub_nc_u32_e32 v3, v3, v7
	v_add_nc_u32_e32 v7, s9, v26
	v_add_nc_u32_e32 v11, s11, v24
	v_mul_lo_u32 v6, v6, s8
	v_mul_lo_u32 v10, v10, s10
	v_add_nc_u32_e32 v12, s11, v26
	v_mul_lo_u32 v9, v9, s8
	v_mul_lo_u32 v7, v7, s8
	;; [unrolled: 1-line block ×3, first 2 shown]
	v_sub_nc_u32_e32 v5, v5, v8
	v_mul_lo_u32 v8, v12, s10
	v_cmp_lt_u32_e32 vcc_lo, s2, v1
	v_sub_nc_u32_e32 v6, v6, v10
	v_add_nc_u32_e32 v10, s9, v21
	v_add_nc_u32_e32 v14, s11, v21
	;; [unrolled: 1-line block ×3, first 2 shown]
	v_cndmask_b32_e64 v1, 0, 1, vcc_lo
	v_cmp_lt_u32_e32 vcc_lo, s2, v2
	v_sub_nc_u32_e32 v7, v7, v8
	v_sub_nc_u32_e32 v8, v9, v11
	v_add_nc_u32_e32 v11, s9, v23
	v_mul_lo_u32 v10, v10, s8
	v_mul_lo_u32 v14, v14, s10
	v_cndmask_b32_e64 v2, 0, 1, vcc_lo
	v_cmp_lt_u32_e32 vcc_lo, s2, v5
	v_mul_lo_u32 v11, v11, s8
	v_mul_lo_u32 v15, v15, s10
	v_mov_b32_e32 v9, 8
	v_lshlrev_b16 v2, 8, v2
	v_cndmask_b32_e64 v5, 0, 1, vcc_lo
	v_cmp_lt_u32_e32 vcc_lo, s2, v6
	v_sub_nc_u32_e32 v10, v10, v14
	v_add_nc_u32_e32 v12, s9, v22
	v_add_nc_u32_e32 v16, s11, v22
	v_sub_nc_u32_e32 v11, v11, v15
	v_cndmask_b32_e64 v6, 0, 1, vcc_lo
	v_cmp_lt_u32_e32 vcc_lo, s2, v10
	v_lshrrev_b32_sdwa v2, v9, v2 dst_sel:BYTE_1 dst_unused:UNUSED_PAD src0_sel:DWORD src1_sel:DWORD
	v_add_nc_u32_e32 v13, s9, v20
	v_add_nc_u32_e32 v17, s11, v20
	v_mul_lo_u32 v12, v12, s8
	v_cndmask_b32_e64 v10, 0, 1, vcc_lo
	v_cmp_lt_u32_e32 vcc_lo, s2, v11
	v_mul_lo_u32 v16, v16, s10
	v_mul_lo_u32 v13, v13, s8
	;; [unrolled: 1-line block ×3, first 2 shown]
	v_add_nc_u32_e32 v14, s9, v46
	v_cndmask_b32_e64 v11, 0, 1, vcc_lo
	v_cmp_lt_u32_e32 vcc_lo, s2, v3
	v_add_nc_u32_e32 v15, s11, v46
	v_lshlrev_b16 v1, 8, v1
	v_sub_nc_u32_e32 v12, v12, v16
	v_lshlrev_b16 v11, 8, v11
	v_cndmask_b32_e64 v3, 0, 1, vcc_lo
	v_cmp_lt_u32_e32 vcc_lo, s2, v4
	v_sub_nc_u32_e32 v13, v13, v17
	v_mul_lo_u32 v14, v14, s8
	v_mul_lo_u32 v15, v15, s10
	v_or_b32_e32 v2, v3, v2
	v_cndmask_b32_e64 v3, 0, 1, vcc_lo
	v_cmp_lt_u32_e32 vcc_lo, s2, v7
	v_lshlrev_b16 v6, 8, v6
	v_lshlrev_b16 v10, 8, v10
	;; [unrolled: 1-line block ×3, first 2 shown]
	v_lshrrev_b32_sdwa v1, v9, v1 dst_sel:BYTE_1 dst_unused:UNUSED_PAD src0_sel:DWORD src1_sel:DWORD
	v_cndmask_b32_e64 v4, 0, 1, vcc_lo
	v_cmp_lt_u32_e32 vcc_lo, s2, v8
	v_lshrrev_b32_sdwa v8, v9, v11 dst_sel:BYTE_1 dst_unused:UNUSED_PAD src0_sel:DWORD src1_sel:DWORD
	v_lshrrev_b32_sdwa v6, v9, v6 dst_sel:BYTE_1 dst_unused:UNUSED_PAD src0_sel:DWORD src1_sel:DWORD
	v_sub_nc_u32_e32 v14, v14, v15
	v_lshrrev_b32_sdwa v9, v9, v10 dst_sel:BYTE_1 dst_unused:UNUSED_PAD src0_sel:DWORD src1_sel:DWORD
	v_cndmask_b32_e64 v7, 0, 1, vcc_lo
	v_cmp_lt_u32_e32 vcc_lo, s2, v12
	v_or_b32_sdwa v1, v3, v1 dst_sel:WORD_1 dst_unused:UNUSED_PAD src0_sel:DWORD src1_sel:DWORD
	v_or_b32_e32 v3, v4, v6
	v_or_b32_sdwa v4, v7, v5 dst_sel:WORD_1 dst_unused:UNUSED_PAD src0_sel:DWORD src1_sel:DWORD
	v_cndmask_b32_e64 v11, 0, 1, vcc_lo
	v_cmp_lt_u32_e32 vcc_lo, s2, v13
	v_or_b32_sdwa v52, v2, v1 dst_sel:DWORD dst_unused:UNUSED_PAD src0_sel:WORD_0 src1_sel:DWORD
	v_or_b32_sdwa v50, v3, v4 dst_sel:DWORD dst_unused:UNUSED_PAD src0_sel:WORD_0 src1_sel:DWORD
	v_or_b32_e32 v5, v11, v8
	v_cndmask_b32_e64 v10, 0, 1, vcc_lo
	v_cmp_lt_u32_e32 vcc_lo, s2, v14
	v_or_b32_sdwa v6, v10, v9 dst_sel:WORD_1 dst_unused:UNUSED_PAD src0_sel:DWORD src1_sel:DWORD
	v_cndmask_b32_e64 v48, 0, 1, vcc_lo
	v_or_b32_sdwa v49, v5, v6 dst_sel:DWORD dst_unused:UNUSED_PAD src0_sel:WORD_0 src1_sel:DWORD
	s_cbranch_execz .LBB1316_11
	s_branch .LBB1316_38
.LBB1316_10:
                                        ; implicit-def: $vgpr48
                                        ; implicit-def: $vgpr49
                                        ; implicit-def: $vgpr50
                                        ; implicit-def: $vgpr52
.LBB1316_11:
	v_mov_b32_e32 v2, 0
	v_mov_b32_e32 v1, 0
	s_mov_b32 s1, exec_lo
	v_cmpx_gt_u32_e64 s15, v47
	s_cbranch_execz .LBB1316_13
; %bb.12:
	v_add_nc_u32_e32 v1, s9, v30
	v_add_nc_u32_e32 v3, s11, v30
	v_mul_lo_u32 v1, v1, s8
	v_mul_lo_u32 v3, v3, s10
	v_sub_nc_u32_e32 v1, v1, v3
	v_cmp_lt_u32_e32 vcc_lo, s2, v1
	v_cndmask_b32_e64 v1, 0, 1, vcc_lo
.LBB1316_13:
	s_or_b32 exec_lo, exec_lo, s1
	v_add_nc_u32_e32 v3, 1, v47
	s_mov_b32 s1, exec_lo
	v_cmpx_gt_u32_e64 s15, v3
	s_cbranch_execz .LBB1316_15
; %bb.14:
	v_add_nc_u32_e32 v2, s9, v31
	v_add_nc_u32_e32 v3, s11, v31
	v_mul_lo_u32 v2, v2, s8
	v_mul_lo_u32 v3, v3, s10
	v_sub_nc_u32_e32 v2, v2, v3
	v_cmp_lt_u32_e32 vcc_lo, s2, v2
	v_cndmask_b32_e64 v2, 0, 1, vcc_lo
.LBB1316_15:
	s_or_b32 exec_lo, exec_lo, s1
	v_add_nc_u32_e32 v3, 2, v47
	v_mov_b32_e32 v4, 0
	v_cmp_gt_u32_e32 vcc_lo, s15, v3
	v_mov_b32_e32 v3, 0
	s_and_saveexec_b32 s1, vcc_lo
	s_cbranch_execz .LBB1316_17
; %bb.16:
	v_add_nc_u32_e32 v3, s9, v28
	v_add_nc_u32_e32 v5, s11, v28
	v_mul_lo_u32 v3, v3, s8
	v_mul_lo_u32 v5, v5, s10
	v_sub_nc_u32_e32 v3, v3, v5
	v_cmp_lt_u32_e32 vcc_lo, s2, v3
	v_cndmask_b32_e64 v3, 0, 1, vcc_lo
.LBB1316_17:
	s_or_b32 exec_lo, exec_lo, s1
	v_add_nc_u32_e32 v5, 3, v47
	s_mov_b32 s1, exec_lo
	v_cmpx_gt_u32_e64 s15, v5
	s_cbranch_execz .LBB1316_19
; %bb.18:
	v_add_nc_u32_e32 v4, s9, v29
	v_add_nc_u32_e32 v5, s11, v29
	v_mul_lo_u32 v4, v4, s8
	v_mul_lo_u32 v5, v5, s10
	v_sub_nc_u32_e32 v4, v4, v5
	v_cmp_lt_u32_e32 vcc_lo, s2, v4
	v_cndmask_b32_e64 v4, 0, 1, vcc_lo
.LBB1316_19:
	s_or_b32 exec_lo, exec_lo, s1
	v_add_nc_u32_e32 v5, 4, v47
	v_mov_b32_e32 v6, 0
	v_cmp_gt_u32_e32 vcc_lo, s15, v5
	v_mov_b32_e32 v5, 0
	s_and_saveexec_b32 s1, vcc_lo
	;; [unrolled: 30-line block ×5, first 2 shown]
	s_cbranch_execz .LBB1316_33
; %bb.32:
	v_add_nc_u32_e32 v11, s9, v20
	v_add_nc_u32_e32 v13, s11, v20
	v_mul_lo_u32 v11, v11, s8
	v_mul_lo_u32 v13, v13, s10
	v_sub_nc_u32_e32 v11, v11, v13
	v_cmp_lt_u32_e32 vcc_lo, s2, v11
	v_cndmask_b32_e64 v11, 0, 1, vcc_lo
.LBB1316_33:
	s_or_b32 exec_lo, exec_lo, s1
	v_add_nc_u32_e32 v13, 11, v47
	s_mov_b32 s1, exec_lo
	v_cmpx_gt_u32_e64 s15, v13
	s_cbranch_execz .LBB1316_35
; %bb.34:
	v_add_nc_u32_e32 v12, s9, v21
	v_add_nc_u32_e32 v13, s11, v21
	v_mul_lo_u32 v12, v12, s8
	v_mul_lo_u32 v13, v13, s10
	v_sub_nc_u32_e32 v12, v12, v13
	v_cmp_lt_u32_e32 vcc_lo, s2, v12
	v_cndmask_b32_e64 v12, 0, 1, vcc_lo
.LBB1316_35:
	s_or_b32 exec_lo, exec_lo, s1
	v_add_nc_u32_e32 v13, 12, v47
	v_mov_b32_e32 v48, 0
	s_mov_b32 s1, exec_lo
	v_cmpx_gt_u32_e64 s15, v13
	s_cbranch_execz .LBB1316_37
; %bb.36:
	v_add_nc_u32_e32 v13, s9, v46
	v_add_nc_u32_e32 v14, s11, v46
	v_mul_lo_u32 v13, v13, s8
	v_mul_lo_u32 v14, v14, s10
	v_sub_nc_u32_e32 v13, v13, v14
	v_cmp_lt_u32_e32 vcc_lo, s2, v13
	v_cndmask_b32_e64 v48, 0, 1, vcc_lo
.LBB1316_37:
	s_or_b32 exec_lo, exec_lo, s1
	v_lshlrev_b16 v2, 8, v2
	v_lshlrev_b16 v4, 8, v4
	;; [unrolled: 1-line block ×5, first 2 shown]
	v_or_b32_e32 v1, v1, v2
	v_lshlrev_b16 v2, 8, v12
	v_or_b32_sdwa v3, v3, v4 dst_sel:WORD_1 dst_unused:UNUSED_PAD src0_sel:DWORD src1_sel:DWORD
	v_or_b32_e32 v4, v5, v6
	v_or_b32_sdwa v5, v7, v8 dst_sel:WORD_1 dst_unused:UNUSED_PAD src0_sel:DWORD src1_sel:DWORD
	v_or_b32_e32 v6, v9, v10
	v_or_b32_sdwa v2, v11, v2 dst_sel:WORD_1 dst_unused:UNUSED_PAD src0_sel:DWORD src1_sel:DWORD
	v_or_b32_sdwa v52, v1, v3 dst_sel:DWORD dst_unused:UNUSED_PAD src0_sel:WORD_0 src1_sel:DWORD
	v_or_b32_sdwa v50, v4, v5 dst_sel:DWORD dst_unused:UNUSED_PAD src0_sel:WORD_0 src1_sel:DWORD
	v_or_b32_sdwa v49, v6, v2 dst_sel:DWORD dst_unused:UNUSED_PAD src0_sel:WORD_0 src1_sel:DWORD
.LBB1316_38:
	v_and_b32_e32 v55, 0xff, v52
	v_bfe_u32 v56, v52, 8, 8
	v_bfe_u32 v57, v52, 16, 8
	v_lshrrev_b32_e32 v54, 24, v52
	v_and_b32_e32 v58, 0xff, v50
	v_bfe_u32 v59, v50, 8, 8
	v_bfe_u32 v60, v50, 16, 8
	v_add3_u32 v1, v56, v55, v57
	v_lshrrev_b32_e32 v53, 24, v50
	v_and_b32_e32 v61, 0xff, v49
	v_bfe_u32 v62, v49, 8, 8
	v_mbcnt_lo_u32_b32 v64, -1, 0
	v_add3_u32 v1, v1, v54, v58
	v_bfe_u32 v63, v49, 16, 8
	v_lshrrev_b32_e32 v51, 24, v49
	v_and_b32_e32 v2, 0xff, v48
	v_and_b32_e32 v3, 15, v64
	v_add3_u32 v1, v1, v59, v60
	v_or_b32_e32 v4, 31, v0
	v_and_b32_e32 v5, 16, v64
	v_lshrrev_b32_e32 v65, 5, v0
	v_cmp_eq_u32_e64 s6, 0, v3
	v_add3_u32 v1, v1, v53, v61
	v_cmp_lt_u32_e64 s5, 1, v3
	v_cmp_lt_u32_e64 s4, 3, v3
	;; [unrolled: 1-line block ×3, first 2 shown]
	v_cmp_eq_u32_e64 s2, 0, v5
	v_add3_u32 v1, v1, v62, v63
	v_cmp_eq_u32_e64 s1, v0, v4
	s_cmp_lg_u32 s25, 0
	s_mov_b32 s7, -1
	v_add3_u32 v66, v1, v51, v2
	s_cbranch_scc0 .LBB1316_60
; %bb.39:
	v_mov_b32_dpp v1, v66 row_shr:1 row_mask:0xf bank_mask:0xf
	v_cndmask_b32_e64 v1, v1, 0, s6
	v_add_nc_u32_e32 v1, v1, v66
	v_mov_b32_dpp v2, v1 row_shr:2 row_mask:0xf bank_mask:0xf
	v_cndmask_b32_e64 v2, 0, v2, s5
	v_add_nc_u32_e32 v1, v1, v2
	;; [unrolled: 3-line block ×4, first 2 shown]
	ds_swizzle_b32 v2, v1 offset:swizzle(BROADCAST,32,15)
	s_waitcnt lgkmcnt(0)
	v_cndmask_b32_e64 v2, v2, 0, s2
	v_add_nc_u32_e32 v1, v1, v2
	s_and_saveexec_b32 s7, s1
; %bb.40:
	v_lshlrev_b32_e32 v2, 2, v65
	ds_write_b32 v2, v1
; %bb.41:
	s_or_b32 exec_lo, exec_lo, s7
	s_mov_b32 s7, exec_lo
	s_waitcnt lgkmcnt(0)
	s_barrier
	buffer_gl0_inv
	v_cmpx_gt_u32_e32 8, v0
	s_cbranch_execz .LBB1316_43
; %bb.42:
	ds_read_b32 v2, v44
	v_and_b32_e32 v3, 7, v64
	v_cmp_ne_u32_e32 vcc_lo, 0, v3
	s_waitcnt lgkmcnt(0)
	v_mov_b32_dpp v4, v2 row_shr:1 row_mask:0xf bank_mask:0xf
	v_cndmask_b32_e32 v4, 0, v4, vcc_lo
	v_cmp_lt_u32_e32 vcc_lo, 1, v3
	v_add_nc_u32_e32 v2, v4, v2
	v_mov_b32_dpp v4, v2 row_shr:2 row_mask:0xf bank_mask:0xf
	v_cndmask_b32_e32 v4, 0, v4, vcc_lo
	v_cmp_lt_u32_e32 vcc_lo, 3, v3
	v_add_nc_u32_e32 v2, v2, v4
	v_mov_b32_dpp v4, v2 row_shr:4 row_mask:0xf bank_mask:0xf
	v_cndmask_b32_e32 v3, 0, v4, vcc_lo
	v_add_nc_u32_e32 v2, v2, v3
	ds_write_b32 v44, v2
.LBB1316_43:
	s_or_b32 exec_lo, exec_lo, s7
	s_mov_b32 s8, exec_lo
	v_cmp_gt_u32_e32 vcc_lo, 32, v0
	s_waitcnt lgkmcnt(0)
	s_barrier
	buffer_gl0_inv
                                        ; implicit-def: $vgpr10
	v_cmpx_lt_u32_e32 31, v0
	s_cbranch_execz .LBB1316_45
; %bb.44:
	v_lshl_add_u32 v2, v65, 2, -4
	ds_read_b32 v10, v2
	s_waitcnt lgkmcnt(0)
	v_add_nc_u32_e32 v1, v10, v1
.LBB1316_45:
	s_or_b32 exec_lo, exec_lo, s8
	v_sub_co_u32 v2, s7, v64, 1
	v_cmp_gt_i32_e64 s8, 0, v2
	v_cndmask_b32_e64 v2, v2, v64, s8
	v_lshlrev_b32_e32 v2, 2, v2
	ds_bpermute_b32 v11, v2, v1
	s_and_saveexec_b32 s8, vcc_lo
	s_cbranch_execz .LBB1316_65
; %bb.46:
	v_mov_b32_e32 v7, 0
	ds_read_b32 v1, v7 offset:28
	s_and_saveexec_b32 s9, s7
	s_cbranch_execz .LBB1316_48
; %bb.47:
	s_add_i32 s10, s25, 32
	s_mov_b32 s11, 0
	v_mov_b32_e32 v2, 1
	s_lshl_b64 s[10:11], s[10:11], 3
	s_add_u32 s10, s22, s10
	s_addc_u32 s11, s23, s11
	s_waitcnt lgkmcnt(0)
	global_store_dwordx2 v7, v[1:2], s[10:11]
.LBB1316_48:
	s_or_b32 exec_lo, exec_lo, s9
	v_xad_u32 v3, v64, -1, s25
	s_mov_b32 s10, 0
	v_add_nc_u32_e32 v6, 32, v3
	v_lshlrev_b64 v[4:5], 3, v[6:7]
	v_add_co_u32 v8, vcc_lo, s22, v4
	v_add_co_ci_u32_e64 v9, null, s23, v5, vcc_lo
	global_load_dwordx2 v[5:6], v[8:9], off glc dlc
	s_waitcnt vmcnt(0)
	v_cmp_eq_u16_sdwa s11, v6, v7 src0_sel:BYTE_0 src1_sel:DWORD
	s_and_saveexec_b32 s9, s11
	s_cbranch_execz .LBB1316_52
; %bb.49:
	v_mov_b32_e32 v2, 0
.LBB1316_50:                            ; =>This Inner Loop Header: Depth=1
	global_load_dwordx2 v[5:6], v[8:9], off glc dlc
	s_waitcnt vmcnt(0)
	v_cmp_ne_u16_sdwa s11, v6, v2 src0_sel:BYTE_0 src1_sel:DWORD
	s_or_b32 s10, s11, s10
	s_andn2_b32 exec_lo, exec_lo, s10
	s_cbranch_execnz .LBB1316_50
; %bb.51:
	s_or_b32 exec_lo, exec_lo, s10
.LBB1316_52:
	s_or_b32 exec_lo, exec_lo, s9
	v_cmp_ne_u32_e32 vcc_lo, 31, v64
	v_mov_b32_e32 v12, 2
	v_lshlrev_b32_e64 v13, v64, -1
	v_add_nc_u32_e32 v15, 2, v64
	v_add_nc_u32_e32 v17, 4, v64
	v_add_co_ci_u32_e64 v2, null, 0, v64, vcc_lo
	v_cmp_eq_u16_sdwa s9, v6, v12 src0_sel:BYTE_0 src1_sel:DWORD
	v_cmp_gt_u32_e32 vcc_lo, 30, v64
	v_add_nc_u32_e32 v68, 8, v64
	v_lshlrev_b32_e32 v9, 2, v2
	v_lshl_or_b32 v69, v64, 2, 64
	v_and_or_b32 v4, s9, v13, 0x80000000
	v_cndmask_b32_e64 v7, 0, 2, vcc_lo
	v_add_nc_u32_e32 v70, 16, v64
	ds_bpermute_b32 v2, v9, v5
	v_ffbl_b32_e32 v4, v4
	v_add_lshl_u32 v14, v7, v64, 2
	v_cmp_lt_u32_e32 vcc_lo, v64, v4
	s_waitcnt lgkmcnt(0)
	v_cndmask_b32_e32 v2, 0, v2, vcc_lo
	v_cmp_gt_u32_e32 vcc_lo, 28, v64
	v_add_nc_u32_e32 v2, v2, v5
	v_cndmask_b32_e64 v7, 0, 4, vcc_lo
	v_cmp_le_u32_e32 vcc_lo, v15, v4
	ds_bpermute_b32 v5, v14, v2
	v_add_lshl_u32 v16, v7, v64, 2
	s_waitcnt lgkmcnt(0)
	v_cndmask_b32_e32 v5, 0, v5, vcc_lo
	v_cmp_gt_u32_e32 vcc_lo, 24, v64
	v_add_nc_u32_e32 v2, v2, v5
	v_cndmask_b32_e64 v7, 0, 8, vcc_lo
	v_cmp_le_u32_e32 vcc_lo, v17, v4
	ds_bpermute_b32 v5, v16, v2
	v_add_lshl_u32 v67, v7, v64, 2
	s_waitcnt lgkmcnt(0)
	v_cndmask_b32_e32 v5, 0, v5, vcc_lo
	v_cmp_le_u32_e32 vcc_lo, v68, v4
	v_add_nc_u32_e32 v2, v2, v5
	ds_bpermute_b32 v5, v67, v2
	s_waitcnt lgkmcnt(0)
	v_cndmask_b32_e32 v5, 0, v5, vcc_lo
	v_cmp_le_u32_e32 vcc_lo, v70, v4
	v_add_nc_u32_e32 v2, v2, v5
	ds_bpermute_b32 v5, v69, v2
	s_waitcnt lgkmcnt(0)
	v_cndmask_b32_e32 v4, 0, v5, vcc_lo
	v_add_nc_u32_e32 v5, v2, v4
	v_mov_b32_e32 v4, 0
	s_branch .LBB1316_56
.LBB1316_53:                            ;   in Loop: Header=BB1316_56 Depth=1
	s_or_b32 exec_lo, exec_lo, s10
.LBB1316_54:                            ;   in Loop: Header=BB1316_56 Depth=1
	s_or_b32 exec_lo, exec_lo, s9
	ds_bpermute_b32 v7, v9, v5
	v_cmp_eq_u16_sdwa s9, v6, v12 src0_sel:BYTE_0 src1_sel:DWORD
	v_subrev_nc_u32_e32 v3, 32, v3
	v_and_or_b32 v8, s9, v13, 0x80000000
	s_mov_b32 s9, 0
	v_ffbl_b32_e32 v8, v8
	v_cmp_lt_u32_e32 vcc_lo, v64, v8
	s_waitcnt lgkmcnt(0)
	v_cndmask_b32_e32 v7, 0, v7, vcc_lo
	v_cmp_le_u32_e32 vcc_lo, v15, v8
	v_add_nc_u32_e32 v5, v7, v5
	ds_bpermute_b32 v7, v14, v5
	s_waitcnt lgkmcnt(0)
	v_cndmask_b32_e32 v7, 0, v7, vcc_lo
	v_cmp_le_u32_e32 vcc_lo, v17, v8
	v_add_nc_u32_e32 v5, v5, v7
	ds_bpermute_b32 v7, v16, v5
	;; [unrolled: 5-line block ×4, first 2 shown]
	s_waitcnt lgkmcnt(0)
	v_cndmask_b32_e32 v7, 0, v7, vcc_lo
	v_add3_u32 v5, v7, v2, v5
.LBB1316_55:                            ;   in Loop: Header=BB1316_56 Depth=1
	s_and_b32 vcc_lo, exec_lo, s9
	s_cbranch_vccnz .LBB1316_61
.LBB1316_56:                            ; =>This Loop Header: Depth=1
                                        ;     Child Loop BB1316_59 Depth 2
	v_cmp_ne_u16_sdwa s9, v6, v12 src0_sel:BYTE_0 src1_sel:DWORD
	v_mov_b32_e32 v2, v5
                                        ; implicit-def: $vgpr5
                                        ; implicit-def: $vgpr6
	s_cmp_lg_u32 s9, exec_lo
	s_mov_b32 s9, -1
	s_cbranch_scc1 .LBB1316_55
; %bb.57:                               ;   in Loop: Header=BB1316_56 Depth=1
	v_lshlrev_b64 v[5:6], 3, v[3:4]
	v_add_co_u32 v7, vcc_lo, s22, v5
	v_add_co_ci_u32_e64 v8, null, s23, v6, vcc_lo
	global_load_dwordx2 v[5:6], v[7:8], off glc dlc
	s_waitcnt vmcnt(0)
	v_cmp_eq_u16_sdwa s10, v6, v4 src0_sel:BYTE_0 src1_sel:DWORD
	s_and_saveexec_b32 s9, s10
	s_cbranch_execz .LBB1316_54
; %bb.58:                               ;   in Loop: Header=BB1316_56 Depth=1
	s_mov_b32 s10, 0
.LBB1316_59:                            ;   Parent Loop BB1316_56 Depth=1
                                        ; =>  This Inner Loop Header: Depth=2
	global_load_dwordx2 v[5:6], v[7:8], off glc dlc
	s_waitcnt vmcnt(0)
	v_cmp_ne_u16_sdwa s11, v6, v4 src0_sel:BYTE_0 src1_sel:DWORD
	s_or_b32 s10, s11, s10
	s_andn2_b32 exec_lo, exec_lo, s10
	s_cbranch_execnz .LBB1316_59
	s_branch .LBB1316_53
.LBB1316_60:
                                        ; implicit-def: $vgpr17
                                        ; implicit-def: $vgpr1_vgpr2_vgpr3_vgpr4_vgpr5_vgpr6_vgpr7_vgpr8_vgpr9_vgpr10_vgpr11_vgpr12_vgpr13_vgpr14_vgpr15_vgpr16
	s_and_b32 vcc_lo, exec_lo, s7
	s_cbranch_vccnz .LBB1316_66
	s_branch .LBB1316_75
.LBB1316_61:
	s_and_saveexec_b32 s9, s7
	s_cbranch_execz .LBB1316_63
; %bb.62:
	s_add_i32 s10, s25, 32
	s_mov_b32 s11, 0
	v_add_nc_u32_e32 v3, v2, v1
	v_mov_b32_e32 v4, 2
	s_lshl_b64 s[10:11], s[10:11], 3
	v_mov_b32_e32 v5, 0
	s_add_u32 s10, s22, s10
	s_addc_u32 s11, s23, s11
	global_store_dwordx2 v5, v[3:4], s[10:11]
	ds_write_b64 v5, v[1:2] offset:13312
.LBB1316_63:
	s_or_b32 exec_lo, exec_lo, s9
	s_and_b32 exec_lo, exec_lo, s0
; %bb.64:
	v_mov_b32_e32 v1, 0
	ds_write_b32 v1, v2 offset:28
.LBB1316_65:
	s_or_b32 exec_lo, exec_lo, s8
	v_mov_b32_e32 v12, 0
	s_waitcnt lgkmcnt(0)
	s_waitcnt_vscnt null, 0x0
	s_barrier
	buffer_gl0_inv
	v_cndmask_b32_e64 v2, v11, v10, s7
	ds_read_b32 v1, v12 offset:28
	s_waitcnt lgkmcnt(0)
	s_barrier
	buffer_gl0_inv
	v_cndmask_b32_e64 v2, v2, 0, s0
	ds_read_b64 v[16:17], v12 offset:13312
	v_add_nc_u32_e32 v1, v1, v2
	v_add_nc_u32_e32 v2, v1, v55
	;; [unrolled: 1-line block ×13, first 2 shown]
	s_branch .LBB1316_75
.LBB1316_66:
	v_mov_b32_dpp v1, v66 row_shr:1 row_mask:0xf bank_mask:0xf
	v_cndmask_b32_e64 v1, v1, 0, s6
	v_add_nc_u32_e32 v1, v1, v66
	v_mov_b32_dpp v2, v1 row_shr:2 row_mask:0xf bank_mask:0xf
	v_cndmask_b32_e64 v2, 0, v2, s5
	v_add_nc_u32_e32 v1, v1, v2
	;; [unrolled: 3-line block ×4, first 2 shown]
	ds_swizzle_b32 v2, v1 offset:swizzle(BROADCAST,32,15)
	s_waitcnt lgkmcnt(0)
	v_cndmask_b32_e64 v2, v2, 0, s2
	v_add_nc_u32_e32 v1, v1, v2
	s_and_saveexec_b32 s2, s1
; %bb.67:
	v_lshlrev_b32_e32 v2, 2, v65
	ds_write_b32 v2, v1
; %bb.68:
	s_or_b32 exec_lo, exec_lo, s2
	s_mov_b32 s1, exec_lo
	s_waitcnt lgkmcnt(0)
	s_barrier
	buffer_gl0_inv
	v_cmpx_gt_u32_e32 8, v0
	s_cbranch_execz .LBB1316_70
; %bb.69:
	ds_read_b32 v2, v44
	v_and_b32_e32 v3, 7, v64
	v_cmp_ne_u32_e32 vcc_lo, 0, v3
	s_waitcnt lgkmcnt(0)
	v_mov_b32_dpp v4, v2 row_shr:1 row_mask:0xf bank_mask:0xf
	v_cndmask_b32_e32 v4, 0, v4, vcc_lo
	v_cmp_lt_u32_e32 vcc_lo, 1, v3
	v_add_nc_u32_e32 v2, v4, v2
	v_mov_b32_dpp v4, v2 row_shr:2 row_mask:0xf bank_mask:0xf
	v_cndmask_b32_e32 v4, 0, v4, vcc_lo
	v_cmp_lt_u32_e32 vcc_lo, 3, v3
	v_add_nc_u32_e32 v2, v2, v4
	v_mov_b32_dpp v4, v2 row_shr:4 row_mask:0xf bank_mask:0xf
	v_cndmask_b32_e32 v3, 0, v4, vcc_lo
	v_add_nc_u32_e32 v2, v2, v3
	ds_write_b32 v44, v2
.LBB1316_70:
	s_or_b32 exec_lo, exec_lo, s1
	v_mov_b32_e32 v3, 0
	v_mov_b32_e32 v2, 0
	s_mov_b32 s1, exec_lo
	s_waitcnt lgkmcnt(0)
	s_barrier
	buffer_gl0_inv
	v_cmpx_lt_u32_e32 31, v0
; %bb.71:
	v_lshl_add_u32 v2, v65, 2, -4
	ds_read_b32 v2, v2
; %bb.72:
	s_or_b32 exec_lo, exec_lo, s1
	v_sub_co_u32 v4, vcc_lo, v64, 1
	s_waitcnt lgkmcnt(0)
	v_add_nc_u32_e32 v1, v2, v1
	ds_read_b32 v16, v3 offset:28
	v_cmp_gt_i32_e64 s1, 0, v4
	v_cndmask_b32_e64 v4, v4, v64, s1
	v_lshlrev_b32_e32 v4, 2, v4
	ds_bpermute_b32 v1, v4, v1
	s_and_saveexec_b32 s1, s0
	s_cbranch_execz .LBB1316_74
; %bb.73:
	v_mov_b32_e32 v3, 0
	v_mov_b32_e32 v17, 2
	s_waitcnt lgkmcnt(1)
	global_store_dwordx2 v3, v[16:17], s[22:23] offset:256
.LBB1316_74:
	s_or_b32 exec_lo, exec_lo, s1
	s_waitcnt lgkmcnt(0)
	v_cndmask_b32_e32 v1, v1, v2, vcc_lo
	v_mov_b32_e32 v17, 0
	s_waitcnt_vscnt null, 0x0
	s_barrier
	buffer_gl0_inv
	v_cndmask_b32_e64 v1, v1, 0, s0
	v_add_nc_u32_e32 v2, v1, v55
	v_add_nc_u32_e32 v3, v2, v56
	;; [unrolled: 1-line block ×12, first 2 shown]
.LBB1316_75:
	s_waitcnt lgkmcnt(0)
	v_add_nc_u32_e32 v47, v16, v47
	v_sub_nc_u32_e32 v1, v1, v17
	v_and_b32_e32 v56, 1, v52
	v_lshrrev_b32_e32 v55, 8, v52
	v_sub_nc_u32_e32 v2, v2, v17
	v_sub_nc_u32_e32 v3, v3, v17
	;; [unrolled: 1-line block ×3, first 2 shown]
	v_cmp_eq_u32_e32 vcc_lo, 1, v56
	v_and_b32_e32 v55, 1, v55
	v_mov_b32_e32 v58, 1
	v_sub_nc_u32_e32 v56, v47, v2
	v_sub_nc_u32_e32 v4, v4, v17
	v_cndmask_b32_e32 v1, v57, v1, vcc_lo
	v_sub_nc_u32_e32 v57, v47, v3
	v_and_b32_sdwa v52, v58, v52 dst_sel:DWORD dst_unused:UNUSED_PAD src0_sel:DWORD src1_sel:WORD_1
	v_add_nc_u32_e32 v56, 1, v56
	v_cmp_eq_u32_e32 vcc_lo, 1, v55
	v_lshlrev_b32_e32 v1, 2, v1
	v_and_b32_e32 v54, 1, v54
	v_sub_nc_u32_e32 v59, v47, v4
	v_add_nc_u32_e32 v57, 2, v57
	v_lshrrev_b32_e32 v15, 8, v50
	ds_write_b32 v1, v30
	v_cndmask_b32_e32 v1, v56, v2, vcc_lo
	v_cmp_eq_u32_e32 vcc_lo, 1, v52
	v_add_nc_u32_e32 v59, 3, v59
	v_lshrrev_b32_e32 v14, 8, v49
	v_lshlrev_b32_e32 v1, 2, v1
	v_cndmask_b32_e32 v2, v57, v3, vcc_lo
	v_cmp_eq_u32_e32 vcc_lo, 1, v54
	ds_write_b32 v1, v31
	v_lshlrev_b32_e32 v2, 2, v2
	v_cndmask_b32_e32 v3, v59, v4, vcc_lo
	v_sub_nc_u32_e32 v4, v5, v17
	v_sub_nc_u32_e32 v5, v6, v17
	v_lshlrev_b32_e32 v3, 2, v3
	v_sub_nc_u32_e32 v1, v47, v4
	v_sub_nc_u32_e32 v6, v47, v5
	ds_write_b32 v2, v28
	ds_write_b32 v3, v29
	v_and_b32_e32 v2, 1, v50
	v_add_nc_u32_e32 v1, 4, v1
	v_add_nc_u32_e32 v3, 5, v6
	v_sub_nc_u32_e32 v6, v7, v17
	v_and_b32_e32 v7, 1, v15
	v_cmp_eq_u32_e32 vcc_lo, 1, v2
	v_sub_nc_u32_e32 v2, v8, v17
	v_and_b32_e32 v8, 1, v53
	v_add_co_u32 v15, s1, v18, v17
	v_cndmask_b32_e32 v1, v1, v4, vcc_lo
	v_sub_nc_u32_e32 v4, v47, v6
	v_cmp_eq_u32_e32 vcc_lo, 1, v7
	v_and_b32_sdwa v7, v58, v50 dst_sel:DWORD dst_unused:UNUSED_PAD src0_sel:DWORD src1_sel:WORD_1
	v_lshlrev_b32_e32 v1, 2, v1
	v_add_nc_u32_e32 v4, 6, v4
	v_cndmask_b32_e32 v3, v3, v5, vcc_lo
	v_sub_nc_u32_e32 v5, v47, v2
	v_cmp_eq_u32_e32 vcc_lo, 1, v7
	v_sub_nc_u32_e32 v7, v13, v17
	v_lshlrev_b32_e32 v3, 2, v3
	v_add_nc_u32_e32 v5, 7, v5
	v_cndmask_b32_e32 v4, v4, v6, vcc_lo
	v_cmp_eq_u32_e32 vcc_lo, 1, v8
	v_sub_nc_u32_e32 v6, v9, v17
	ds_write_b32 v1, v26
	ds_write_b32 v3, v27
	v_lshlrev_b32_e32 v3, 2, v4
	v_cndmask_b32_e32 v2, v5, v2, vcc_lo
	v_sub_nc_u32_e32 v1, v47, v6
	v_and_b32_e32 v5, 1, v49
	v_sub_nc_u32_e32 v4, v10, v17
	v_and_b32_e32 v10, 1, v51
	v_lshlrev_b32_e32 v2, 2, v2
	v_add_nc_u32_e32 v1, 8, v1
	ds_write_b32 v3, v24
	ds_write_b32 v2, v25
	v_cmp_eq_u32_e32 vcc_lo, 1, v5
	v_sub_nc_u32_e32 v3, v11, v17
	v_sub_nc_u32_e32 v2, v47, v4
	;; [unrolled: 1-line block ×3, first 2 shown]
	v_and_b32_e32 v11, 1, v48
	v_cndmask_b32_e32 v1, v1, v6, vcc_lo
	v_and_b32_e32 v6, 1, v14
	v_sub_nc_u32_e32 v8, v47, v3
	v_add_nc_u32_e32 v2, 9, v2
	v_sub_nc_u32_e32 v9, v47, v5
	v_lshlrev_b32_e32 v1, 2, v1
	v_cmp_eq_u32_e32 vcc_lo, 1, v6
	v_add_nc_u32_e32 v6, 10, v8
	v_and_b32_sdwa v8, v58, v49 dst_sel:DWORD dst_unused:UNUSED_PAD src0_sel:DWORD src1_sel:WORD_1
	v_add_nc_u32_e32 v9, 11, v9
	v_add_co_ci_u32_e64 v17, null, 0, v19, s1
	v_cndmask_b32_e32 v2, v2, v4, vcc_lo
	v_cmp_eq_u32_e32 vcc_lo, 1, v8
	v_sub_nc_u32_e32 v4, v47, v7
	v_lshlrev_b32_e32 v2, 2, v2
	v_cndmask_b32_e32 v3, v6, v3, vcc_lo
	v_cmp_eq_u32_e32 vcc_lo, 1, v10
	v_add_nc_u32_e32 v4, 12, v4
	v_lshlrev_b32_e32 v3, 2, v3
	v_cndmask_b32_e32 v5, v9, v5, vcc_lo
	v_cmp_eq_u32_e32 vcc_lo, 1, v11
	v_lshlrev_b32_e32 v5, 2, v5
	v_cndmask_b32_e32 v4, v4, v7, vcc_lo
	v_cmp_ne_u32_e32 vcc_lo, 1, v45
	v_lshlrev_b32_e32 v4, 2, v4
	ds_write_b32 v1, v22
	ds_write_b32 v2, v23
	;; [unrolled: 1-line block ×5, first 2 shown]
	s_waitcnt lgkmcnt(0)
	s_barrier
	buffer_gl0_inv
	ds_read2st64_b32 v[11:12], v44 offset1:4
	ds_read2st64_b32 v[9:10], v44 offset0:8 offset1:12
	ds_read2st64_b32 v[7:8], v44 offset0:16 offset1:20
	;; [unrolled: 1-line block ×5, first 2 shown]
	ds_read_b32 v20, v44 offset:12288
	s_cbranch_vccnz .LBB1316_132
; %bb.76:
	s_sub_u32 s1, s20, s24
	v_sub_co_u32 v13, vcc_lo, v15, s18
	s_subb_u32 s2, s21, 0
	v_add_co_u32 v18, s1, s1, v16
	v_subrev_co_ci_u32_e64 v14, null, s19, v17, vcc_lo
	v_add_co_ci_u32_e64 v19, null, s2, 0, s1
	v_add_co_u32 v18, vcc_lo, v18, v13
	s_mov_b32 s1, exec_lo
	v_add_co_ci_u32_e64 v19, null, v19, v14, vcc_lo
                                        ; implicit-def: $vgpr13_vgpr14
	v_cmpx_ge_u32_e64 v0, v16
	s_xor_b32 s1, exec_lo, s1
; %bb.77:
	v_not_b32_e32 v13, v0
	v_ashrrev_i32_e32 v14, 31, v13
	v_add_co_u32 v13, vcc_lo, v18, v13
	v_add_co_ci_u32_e64 v14, null, v19, v14, vcc_lo
; %bb.78:
	s_andn2_saveexec_b32 s1, s1
; %bb.79:
	v_add_co_u32 v13, vcc_lo, v15, v0
	v_add_co_ci_u32_e64 v14, null, 0, v17, vcc_lo
; %bb.80:
	s_or_b32 exec_lo, exec_lo, s1
	v_lshlrev_b64 v[13:14], 2, v[13:14]
	s_mov_b32 s1, exec_lo
	v_add_co_u32 v13, vcc_lo, s16, v13
	v_add_co_ci_u32_e64 v14, null, s17, v14, vcc_lo
	s_waitcnt lgkmcnt(6)
	global_store_dword v[13:14], v11, off
                                        ; implicit-def: $vgpr13_vgpr14
	v_cmpx_ge_u32_e64 v43, v16
	s_xor_b32 s1, exec_lo, s1
; %bb.81:
	v_xor_b32_e32 v13, 0xfffffeff, v0
	v_ashrrev_i32_e32 v14, 31, v13
	v_add_co_u32 v13, vcc_lo, v18, v13
	v_add_co_ci_u32_e64 v14, null, v19, v14, vcc_lo
; %bb.82:
	s_andn2_saveexec_b32 s1, s1
; %bb.83:
	v_add_co_u32 v13, vcc_lo, v15, v43
	v_add_co_ci_u32_e64 v14, null, 0, v17, vcc_lo
; %bb.84:
	s_or_b32 exec_lo, exec_lo, s1
	v_lshlrev_b64 v[13:14], 2, v[13:14]
	s_mov_b32 s1, exec_lo
	v_add_co_u32 v13, vcc_lo, s16, v13
	v_add_co_ci_u32_e64 v14, null, s17, v14, vcc_lo
	global_store_dword v[13:14], v12, off
                                        ; implicit-def: $vgpr13_vgpr14
	v_cmpx_ge_u32_e64 v42, v16
	s_xor_b32 s1, exec_lo, s1
; %bb.85:
	v_xor_b32_e32 v13, 0xfffffdff, v0
	v_ashrrev_i32_e32 v14, 31, v13
	v_add_co_u32 v13, vcc_lo, v18, v13
	v_add_co_ci_u32_e64 v14, null, v19, v14, vcc_lo
; %bb.86:
	s_andn2_saveexec_b32 s1, s1
; %bb.87:
	v_add_co_u32 v13, vcc_lo, v15, v42
	v_add_co_ci_u32_e64 v14, null, 0, v17, vcc_lo
; %bb.88:
	s_or_b32 exec_lo, exec_lo, s1
	v_lshlrev_b64 v[13:14], 2, v[13:14]
	s_mov_b32 s1, exec_lo
	v_add_co_u32 v13, vcc_lo, s16, v13
	v_add_co_ci_u32_e64 v14, null, s17, v14, vcc_lo
	s_waitcnt lgkmcnt(5)
	global_store_dword v[13:14], v9, off
                                        ; implicit-def: $vgpr13_vgpr14
	v_cmpx_ge_u32_e64 v41, v16
	s_xor_b32 s1, exec_lo, s1
; %bb.89:
	v_xor_b32_e32 v13, 0xfffffcff, v0
	v_ashrrev_i32_e32 v14, 31, v13
	v_add_co_u32 v13, vcc_lo, v18, v13
	v_add_co_ci_u32_e64 v14, null, v19, v14, vcc_lo
; %bb.90:
	s_andn2_saveexec_b32 s1, s1
; %bb.91:
	v_add_co_u32 v13, vcc_lo, v15, v41
	v_add_co_ci_u32_e64 v14, null, 0, v17, vcc_lo
; %bb.92:
	s_or_b32 exec_lo, exec_lo, s1
	v_lshlrev_b64 v[13:14], 2, v[13:14]
	s_mov_b32 s1, exec_lo
	v_add_co_u32 v13, vcc_lo, s16, v13
	v_add_co_ci_u32_e64 v14, null, s17, v14, vcc_lo
	global_store_dword v[13:14], v10, off
                                        ; implicit-def: $vgpr13_vgpr14
	v_cmpx_ge_u32_e64 v40, v16
	s_xor_b32 s1, exec_lo, s1
; %bb.93:
	v_xor_b32_e32 v13, 0xfffffbff, v0
	;; [unrolled: 41-line block ×6, first 2 shown]
	v_ashrrev_i32_e32 v14, 31, v13
	v_add_co_u32 v13, vcc_lo, v18, v13
	v_add_co_ci_u32_e64 v14, null, v19, v14, vcc_lo
; %bb.126:
	s_andn2_saveexec_b32 s1, s1
; %bb.127:
	v_add_co_u32 v13, vcc_lo, v15, v32
	v_add_co_ci_u32_e64 v14, null, 0, v17, vcc_lo
; %bb.128:
	s_or_b32 exec_lo, exec_lo, s1
	s_mov_b32 s1, -1
.LBB1316_129:
	s_and_saveexec_b32 s2, s1
	s_cbranch_execz .LBB1316_212
.LBB1316_130:
	s_waitcnt lgkmcnt(1)
	v_lshlrev_b64 v[0:1], 2, v[13:14]
	v_add_co_u32 v0, vcc_lo, s16, v0
	v_add_co_ci_u32_e64 v1, null, s17, v1, vcc_lo
	s_waitcnt lgkmcnt(0)
	global_store_dword v[0:1], v20, off
	s_or_b32 exec_lo, exec_lo, s2
	s_and_b32 s0, s0, s14
	s_and_saveexec_b32 s1, s0
	s_cbranch_execnz .LBB1316_213
.LBB1316_131:
	s_endpgm
.LBB1316_132:
	s_mov_b32 s1, 0
                                        ; implicit-def: $vgpr13_vgpr14
	s_cbranch_execz .LBB1316_129
; %bb.133:
	s_add_u32 s2, s18, s24
	s_addc_u32 s3, s19, 0
	s_sub_u32 s2, s20, s2
	s_subb_u32 s3, s21, s3
	v_add_co_u32 v13, s2, s2, v16
	v_add_co_ci_u32_e64 v14, null, s3, 0, s2
	s_mov_b32 s2, exec_lo
	v_add_co_u32 v18, vcc_lo, v13, v15
	v_add_co_ci_u32_e64 v19, null, v14, v17, vcc_lo
	v_cmpx_gt_u32_e64 s15, v0
	s_cbranch_execz .LBB1316_169
; %bb.134:
	s_mov_b32 s3, exec_lo
                                        ; implicit-def: $vgpr13_vgpr14
	v_cmpx_ge_u32_e64 v0, v16
	s_xor_b32 s3, exec_lo, s3
; %bb.135:
	v_not_b32_e32 v13, v0
	v_ashrrev_i32_e32 v14, 31, v13
	v_add_co_u32 v13, vcc_lo, v18, v13
	v_add_co_ci_u32_e64 v14, null, v19, v14, vcc_lo
; %bb.136:
	s_andn2_saveexec_b32 s3, s3
; %bb.137:
	v_add_co_u32 v13, vcc_lo, v15, v0
	v_add_co_ci_u32_e64 v14, null, 0, v17, vcc_lo
; %bb.138:
	s_or_b32 exec_lo, exec_lo, s3
	v_lshlrev_b64 v[13:14], 2, v[13:14]
	v_add_co_u32 v13, vcc_lo, s16, v13
	v_add_co_ci_u32_e64 v14, null, s17, v14, vcc_lo
	s_waitcnt lgkmcnt(6)
	global_store_dword v[13:14], v11, off
	s_or_b32 exec_lo, exec_lo, s2
	s_mov_b32 s2, exec_lo
	v_cmpx_gt_u32_e64 s15, v43
	s_cbranch_execnz .LBB1316_170
.LBB1316_139:
	s_or_b32 exec_lo, exec_lo, s2
	s_mov_b32 s2, exec_lo
	v_cmpx_gt_u32_e64 s15, v42
	s_cbranch_execz .LBB1316_175
.LBB1316_140:
	s_mov_b32 s3, exec_lo
                                        ; implicit-def: $vgpr11_vgpr12
	v_cmpx_ge_u32_e64 v42, v16
	s_xor_b32 s3, exec_lo, s3
	s_cbranch_execz .LBB1316_142
; %bb.141:
	s_waitcnt lgkmcnt(6)
	v_xor_b32_e32 v11, 0xfffffdff, v0
                                        ; implicit-def: $vgpr42
	v_ashrrev_i32_e32 v12, 31, v11
	v_add_co_u32 v11, vcc_lo, v18, v11
	v_add_co_ci_u32_e64 v12, null, v19, v12, vcc_lo
.LBB1316_142:
	s_andn2_saveexec_b32 s3, s3
	s_cbranch_execz .LBB1316_144
; %bb.143:
	s_waitcnt lgkmcnt(6)
	v_add_co_u32 v11, vcc_lo, v15, v42
	v_add_co_ci_u32_e64 v12, null, 0, v17, vcc_lo
.LBB1316_144:
	s_or_b32 exec_lo, exec_lo, s3
	s_waitcnt lgkmcnt(6)
	v_lshlrev_b64 v[11:12], 2, v[11:12]
	v_add_co_u32 v11, vcc_lo, s16, v11
	v_add_co_ci_u32_e64 v12, null, s17, v12, vcc_lo
	s_waitcnt lgkmcnt(5)
	global_store_dword v[11:12], v9, off
	s_or_b32 exec_lo, exec_lo, s2
	s_mov_b32 s2, exec_lo
	v_cmpx_gt_u32_e64 s15, v41
	s_cbranch_execnz .LBB1316_176
.LBB1316_145:
	s_or_b32 exec_lo, exec_lo, s2
	s_mov_b32 s2, exec_lo
	v_cmpx_gt_u32_e64 s15, v40
	s_cbranch_execz .LBB1316_181
.LBB1316_146:
	s_mov_b32 s3, exec_lo
                                        ; implicit-def: $vgpr9_vgpr10
	v_cmpx_ge_u32_e64 v40, v16
	s_xor_b32 s3, exec_lo, s3
	s_cbranch_execz .LBB1316_148
; %bb.147:
	s_waitcnt lgkmcnt(5)
	v_xor_b32_e32 v9, 0xfffffbff, v0
                                        ; implicit-def: $vgpr40
	v_ashrrev_i32_e32 v10, 31, v9
	v_add_co_u32 v9, vcc_lo, v18, v9
	v_add_co_ci_u32_e64 v10, null, v19, v10, vcc_lo
.LBB1316_148:
	s_andn2_saveexec_b32 s3, s3
	s_cbranch_execz .LBB1316_150
; %bb.149:
	s_waitcnt lgkmcnt(5)
	v_add_co_u32 v9, vcc_lo, v15, v40
	v_add_co_ci_u32_e64 v10, null, 0, v17, vcc_lo
.LBB1316_150:
	s_or_b32 exec_lo, exec_lo, s3
	s_waitcnt lgkmcnt(5)
	v_lshlrev_b64 v[9:10], 2, v[9:10]
	v_add_co_u32 v9, vcc_lo, s16, v9
	v_add_co_ci_u32_e64 v10, null, s17, v10, vcc_lo
	s_waitcnt lgkmcnt(4)
	global_store_dword v[9:10], v7, off
	s_or_b32 exec_lo, exec_lo, s2
	s_mov_b32 s2, exec_lo
	v_cmpx_gt_u32_e64 s15, v39
	s_cbranch_execnz .LBB1316_182
.LBB1316_151:
	s_or_b32 exec_lo, exec_lo, s2
	s_mov_b32 s2, exec_lo
	v_cmpx_gt_u32_e64 s15, v38
	s_cbranch_execz .LBB1316_187
.LBB1316_152:
	s_mov_b32 s3, exec_lo
                                        ; implicit-def: $vgpr7_vgpr8
	v_cmpx_ge_u32_e64 v38, v16
	s_xor_b32 s3, exec_lo, s3
	s_cbranch_execz .LBB1316_154
; %bb.153:
	s_waitcnt lgkmcnt(4)
	v_xor_b32_e32 v7, 0xfffff9ff, v0
                                        ; implicit-def: $vgpr38
	v_ashrrev_i32_e32 v8, 31, v7
	v_add_co_u32 v7, vcc_lo, v18, v7
	v_add_co_ci_u32_e64 v8, null, v19, v8, vcc_lo
.LBB1316_154:
	s_andn2_saveexec_b32 s3, s3
	s_cbranch_execz .LBB1316_156
; %bb.155:
	s_waitcnt lgkmcnt(4)
	v_add_co_u32 v7, vcc_lo, v15, v38
	v_add_co_ci_u32_e64 v8, null, 0, v17, vcc_lo
.LBB1316_156:
	s_or_b32 exec_lo, exec_lo, s3
	s_waitcnt lgkmcnt(4)
	v_lshlrev_b64 v[7:8], 2, v[7:8]
	v_add_co_u32 v7, vcc_lo, s16, v7
	v_add_co_ci_u32_e64 v8, null, s17, v8, vcc_lo
	s_waitcnt lgkmcnt(3)
	global_store_dword v[7:8], v5, off
	s_or_b32 exec_lo, exec_lo, s2
	s_mov_b32 s2, exec_lo
	v_cmpx_gt_u32_e64 s15, v37
	s_cbranch_execnz .LBB1316_188
.LBB1316_157:
	s_or_b32 exec_lo, exec_lo, s2
	s_mov_b32 s2, exec_lo
	v_cmpx_gt_u32_e64 s15, v36
	s_cbranch_execz .LBB1316_193
.LBB1316_158:
	s_mov_b32 s3, exec_lo
                                        ; implicit-def: $vgpr5_vgpr6
	v_cmpx_ge_u32_e64 v36, v16
	s_xor_b32 s3, exec_lo, s3
	s_cbranch_execz .LBB1316_160
; %bb.159:
	s_waitcnt lgkmcnt(3)
	v_xor_b32_e32 v5, 0xfffff7ff, v0
                                        ; implicit-def: $vgpr36
	v_ashrrev_i32_e32 v6, 31, v5
	v_add_co_u32 v5, vcc_lo, v18, v5
	v_add_co_ci_u32_e64 v6, null, v19, v6, vcc_lo
.LBB1316_160:
	s_andn2_saveexec_b32 s3, s3
	s_cbranch_execz .LBB1316_162
; %bb.161:
	s_waitcnt lgkmcnt(3)
	v_add_co_u32 v5, vcc_lo, v15, v36
	v_add_co_ci_u32_e64 v6, null, 0, v17, vcc_lo
.LBB1316_162:
	s_or_b32 exec_lo, exec_lo, s3
	s_waitcnt lgkmcnt(3)
	v_lshlrev_b64 v[5:6], 2, v[5:6]
	v_add_co_u32 v5, vcc_lo, s16, v5
	v_add_co_ci_u32_e64 v6, null, s17, v6, vcc_lo
	s_waitcnt lgkmcnt(2)
	global_store_dword v[5:6], v3, off
	s_or_b32 exec_lo, exec_lo, s2
	s_mov_b32 s2, exec_lo
	v_cmpx_gt_u32_e64 s15, v35
	s_cbranch_execnz .LBB1316_194
.LBB1316_163:
	s_or_b32 exec_lo, exec_lo, s2
	s_mov_b32 s2, exec_lo
	v_cmpx_gt_u32_e64 s15, v34
	s_cbranch_execz .LBB1316_199
.LBB1316_164:
	s_mov_b32 s3, exec_lo
                                        ; implicit-def: $vgpr3_vgpr4
	v_cmpx_ge_u32_e64 v34, v16
	s_xor_b32 s3, exec_lo, s3
	s_cbranch_execz .LBB1316_166
; %bb.165:
	s_waitcnt lgkmcnt(2)
	v_xor_b32_e32 v3, 0xfffff5ff, v0
                                        ; implicit-def: $vgpr34
	v_ashrrev_i32_e32 v4, 31, v3
	v_add_co_u32 v3, vcc_lo, v18, v3
	v_add_co_ci_u32_e64 v4, null, v19, v4, vcc_lo
.LBB1316_166:
	s_andn2_saveexec_b32 s3, s3
	s_cbranch_execz .LBB1316_168
; %bb.167:
	s_waitcnt lgkmcnt(2)
	v_add_co_u32 v3, vcc_lo, v15, v34
	v_add_co_ci_u32_e64 v4, null, 0, v17, vcc_lo
.LBB1316_168:
	s_or_b32 exec_lo, exec_lo, s3
	s_waitcnt lgkmcnt(2)
	v_lshlrev_b64 v[3:4], 2, v[3:4]
	v_add_co_u32 v3, vcc_lo, s16, v3
	v_add_co_ci_u32_e64 v4, null, s17, v4, vcc_lo
	s_waitcnt lgkmcnt(1)
	global_store_dword v[3:4], v1, off
	s_or_b32 exec_lo, exec_lo, s2
	s_mov_b32 s2, exec_lo
	v_cmpx_gt_u32_e64 s15, v33
	s_cbranch_execz .LBB1316_205
	s_branch .LBB1316_200
.LBB1316_169:
	s_or_b32 exec_lo, exec_lo, s2
	s_mov_b32 s2, exec_lo
	v_cmpx_gt_u32_e64 s15, v43
	s_cbranch_execz .LBB1316_139
.LBB1316_170:
	s_mov_b32 s3, exec_lo
                                        ; implicit-def: $vgpr13_vgpr14
	v_cmpx_ge_u32_e64 v43, v16
	s_xor_b32 s3, exec_lo, s3
	s_cbranch_execz .LBB1316_172
; %bb.171:
	s_waitcnt lgkmcnt(6)
	v_xor_b32_e32 v11, 0xfffffeff, v0
                                        ; implicit-def: $vgpr43
	v_ashrrev_i32_e32 v14, 31, v11
	v_add_co_u32 v13, vcc_lo, v18, v11
	v_add_co_ci_u32_e64 v14, null, v19, v14, vcc_lo
.LBB1316_172:
	s_andn2_saveexec_b32 s3, s3
; %bb.173:
	v_add_co_u32 v13, vcc_lo, v15, v43
	v_add_co_ci_u32_e64 v14, null, 0, v17, vcc_lo
; %bb.174:
	s_or_b32 exec_lo, exec_lo, s3
	v_lshlrev_b64 v[13:14], 2, v[13:14]
	v_add_co_u32 v13, vcc_lo, s16, v13
	v_add_co_ci_u32_e64 v14, null, s17, v14, vcc_lo
	s_waitcnt lgkmcnt(6)
	global_store_dword v[13:14], v12, off
	s_or_b32 exec_lo, exec_lo, s2
	s_mov_b32 s2, exec_lo
	v_cmpx_gt_u32_e64 s15, v42
	s_cbranch_execnz .LBB1316_140
.LBB1316_175:
	s_or_b32 exec_lo, exec_lo, s2
	s_mov_b32 s2, exec_lo
	v_cmpx_gt_u32_e64 s15, v41
	s_cbranch_execz .LBB1316_145
.LBB1316_176:
	s_mov_b32 s3, exec_lo
                                        ; implicit-def: $vgpr11_vgpr12
	v_cmpx_ge_u32_e64 v41, v16
	s_xor_b32 s3, exec_lo, s3
	s_cbranch_execz .LBB1316_178
; %bb.177:
	s_waitcnt lgkmcnt(5)
	v_xor_b32_e32 v9, 0xfffffcff, v0
                                        ; implicit-def: $vgpr41
	v_ashrrev_i32_e32 v12, 31, v9
	v_add_co_u32 v11, vcc_lo, v18, v9
	v_add_co_ci_u32_e64 v12, null, v19, v12, vcc_lo
.LBB1316_178:
	s_andn2_saveexec_b32 s3, s3
	s_cbranch_execz .LBB1316_180
; %bb.179:
	s_waitcnt lgkmcnt(6)
	v_add_co_u32 v11, vcc_lo, v15, v41
	v_add_co_ci_u32_e64 v12, null, 0, v17, vcc_lo
.LBB1316_180:
	s_or_b32 exec_lo, exec_lo, s3
	s_waitcnt lgkmcnt(6)
	v_lshlrev_b64 v[11:12], 2, v[11:12]
	v_add_co_u32 v11, vcc_lo, s16, v11
	v_add_co_ci_u32_e64 v12, null, s17, v12, vcc_lo
	s_waitcnt lgkmcnt(5)
	global_store_dword v[11:12], v10, off
	s_or_b32 exec_lo, exec_lo, s2
	s_mov_b32 s2, exec_lo
	v_cmpx_gt_u32_e64 s15, v40
	s_cbranch_execnz .LBB1316_146
.LBB1316_181:
	s_or_b32 exec_lo, exec_lo, s2
	s_mov_b32 s2, exec_lo
	v_cmpx_gt_u32_e64 s15, v39
	s_cbranch_execz .LBB1316_151
.LBB1316_182:
	s_mov_b32 s3, exec_lo
                                        ; implicit-def: $vgpr9_vgpr10
	v_cmpx_ge_u32_e64 v39, v16
	s_xor_b32 s3, exec_lo, s3
	s_cbranch_execz .LBB1316_184
; %bb.183:
	s_waitcnt lgkmcnt(4)
	v_xor_b32_e32 v7, 0xfffffaff, v0
                                        ; implicit-def: $vgpr39
	v_ashrrev_i32_e32 v10, 31, v7
	v_add_co_u32 v9, vcc_lo, v18, v7
	v_add_co_ci_u32_e64 v10, null, v19, v10, vcc_lo
.LBB1316_184:
	s_andn2_saveexec_b32 s3, s3
	s_cbranch_execz .LBB1316_186
; %bb.185:
	s_waitcnt lgkmcnt(5)
	v_add_co_u32 v9, vcc_lo, v15, v39
	v_add_co_ci_u32_e64 v10, null, 0, v17, vcc_lo
.LBB1316_186:
	s_or_b32 exec_lo, exec_lo, s3
	s_waitcnt lgkmcnt(5)
	v_lshlrev_b64 v[9:10], 2, v[9:10]
	v_add_co_u32 v9, vcc_lo, s16, v9
	v_add_co_ci_u32_e64 v10, null, s17, v10, vcc_lo
	s_waitcnt lgkmcnt(4)
	global_store_dword v[9:10], v8, off
	s_or_b32 exec_lo, exec_lo, s2
	s_mov_b32 s2, exec_lo
	v_cmpx_gt_u32_e64 s15, v38
	s_cbranch_execnz .LBB1316_152
.LBB1316_187:
	s_or_b32 exec_lo, exec_lo, s2
	s_mov_b32 s2, exec_lo
	v_cmpx_gt_u32_e64 s15, v37
	s_cbranch_execz .LBB1316_157
.LBB1316_188:
	s_mov_b32 s3, exec_lo
                                        ; implicit-def: $vgpr7_vgpr8
	v_cmpx_ge_u32_e64 v37, v16
	s_xor_b32 s3, exec_lo, s3
	s_cbranch_execz .LBB1316_190
; %bb.189:
	s_waitcnt lgkmcnt(3)
	v_xor_b32_e32 v5, 0xfffff8ff, v0
                                        ; implicit-def: $vgpr37
	v_ashrrev_i32_e32 v8, 31, v5
	v_add_co_u32 v7, vcc_lo, v18, v5
	v_add_co_ci_u32_e64 v8, null, v19, v8, vcc_lo
.LBB1316_190:
	s_andn2_saveexec_b32 s3, s3
	s_cbranch_execz .LBB1316_192
; %bb.191:
	s_waitcnt lgkmcnt(4)
	v_add_co_u32 v7, vcc_lo, v15, v37
	v_add_co_ci_u32_e64 v8, null, 0, v17, vcc_lo
.LBB1316_192:
	s_or_b32 exec_lo, exec_lo, s3
	s_waitcnt lgkmcnt(4)
	v_lshlrev_b64 v[7:8], 2, v[7:8]
	v_add_co_u32 v7, vcc_lo, s16, v7
	v_add_co_ci_u32_e64 v8, null, s17, v8, vcc_lo
	s_waitcnt lgkmcnt(3)
	global_store_dword v[7:8], v6, off
	s_or_b32 exec_lo, exec_lo, s2
	s_mov_b32 s2, exec_lo
	v_cmpx_gt_u32_e64 s15, v36
	s_cbranch_execnz .LBB1316_158
.LBB1316_193:
	s_or_b32 exec_lo, exec_lo, s2
	s_mov_b32 s2, exec_lo
	v_cmpx_gt_u32_e64 s15, v35
	s_cbranch_execz .LBB1316_163
.LBB1316_194:
	s_mov_b32 s3, exec_lo
                                        ; implicit-def: $vgpr5_vgpr6
	v_cmpx_ge_u32_e64 v35, v16
	s_xor_b32 s3, exec_lo, s3
	s_cbranch_execz .LBB1316_196
; %bb.195:
	s_waitcnt lgkmcnt(2)
	v_xor_b32_e32 v3, 0xfffff6ff, v0
                                        ; implicit-def: $vgpr35
	v_ashrrev_i32_e32 v6, 31, v3
	v_add_co_u32 v5, vcc_lo, v18, v3
	v_add_co_ci_u32_e64 v6, null, v19, v6, vcc_lo
.LBB1316_196:
	s_andn2_saveexec_b32 s3, s3
	s_cbranch_execz .LBB1316_198
; %bb.197:
	s_waitcnt lgkmcnt(3)
	v_add_co_u32 v5, vcc_lo, v15, v35
	v_add_co_ci_u32_e64 v6, null, 0, v17, vcc_lo
.LBB1316_198:
	s_or_b32 exec_lo, exec_lo, s3
	s_waitcnt lgkmcnt(3)
	v_lshlrev_b64 v[5:6], 2, v[5:6]
	v_add_co_u32 v5, vcc_lo, s16, v5
	v_add_co_ci_u32_e64 v6, null, s17, v6, vcc_lo
	s_waitcnt lgkmcnt(2)
	global_store_dword v[5:6], v4, off
	s_or_b32 exec_lo, exec_lo, s2
	s_mov_b32 s2, exec_lo
	v_cmpx_gt_u32_e64 s15, v34
	s_cbranch_execnz .LBB1316_164
.LBB1316_199:
	s_or_b32 exec_lo, exec_lo, s2
	s_mov_b32 s2, exec_lo
	v_cmpx_gt_u32_e64 s15, v33
	s_cbranch_execz .LBB1316_205
.LBB1316_200:
	s_mov_b32 s3, exec_lo
                                        ; implicit-def: $vgpr3_vgpr4
	v_cmpx_ge_u32_e64 v33, v16
	s_xor_b32 s3, exec_lo, s3
	s_cbranch_execz .LBB1316_202
; %bb.201:
	s_waitcnt lgkmcnt(1)
	v_xor_b32_e32 v1, 0xfffff4ff, v0
                                        ; implicit-def: $vgpr33
	v_ashrrev_i32_e32 v4, 31, v1
	v_add_co_u32 v3, vcc_lo, v18, v1
	v_add_co_ci_u32_e64 v4, null, v19, v4, vcc_lo
.LBB1316_202:
	s_andn2_saveexec_b32 s3, s3
	s_cbranch_execz .LBB1316_204
; %bb.203:
	s_waitcnt lgkmcnt(2)
	v_add_co_u32 v3, vcc_lo, v15, v33
	v_add_co_ci_u32_e64 v4, null, 0, v17, vcc_lo
.LBB1316_204:
	s_or_b32 exec_lo, exec_lo, s3
	s_waitcnt lgkmcnt(2)
	v_lshlrev_b64 v[3:4], 2, v[3:4]
	v_add_co_u32 v3, vcc_lo, s16, v3
	v_add_co_ci_u32_e64 v4, null, s17, v4, vcc_lo
	s_waitcnt lgkmcnt(1)
	global_store_dword v[3:4], v2, off
.LBB1316_205:
	s_or_b32 exec_lo, exec_lo, s2
	s_mov_b32 s2, exec_lo
                                        ; implicit-def: $vgpr13_vgpr14
	v_cmpx_gt_u32_e64 s15, v32
	s_cbranch_execz .LBB1316_211
; %bb.206:
	s_mov_b32 s3, exec_lo
                                        ; implicit-def: $vgpr13_vgpr14
	v_cmpx_ge_u32_e64 v32, v16
	s_xor_b32 s3, exec_lo, s3
	s_cbranch_execz .LBB1316_208
; %bb.207:
	v_xor_b32_e32 v0, 0xfffff3ff, v0
                                        ; implicit-def: $vgpr32
	s_waitcnt lgkmcnt(1)
	v_ashrrev_i32_e32 v1, 31, v0
	v_add_co_u32 v13, vcc_lo, v18, v0
	v_add_co_ci_u32_e64 v14, null, v19, v1, vcc_lo
.LBB1316_208:
	s_andn2_saveexec_b32 s3, s3
; %bb.209:
	v_add_co_u32 v13, vcc_lo, v15, v32
	v_add_co_ci_u32_e64 v14, null, 0, v17, vcc_lo
; %bb.210:
	s_or_b32 exec_lo, exec_lo, s3
	s_or_b32 s1, s1, exec_lo
.LBB1316_211:
	s_or_b32 exec_lo, exec_lo, s2
	s_and_saveexec_b32 s2, s1
	s_cbranch_execnz .LBB1316_130
.LBB1316_212:
	s_or_b32 exec_lo, exec_lo, s2
	s_and_b32 s0, s0, s14
	s_and_saveexec_b32 s1, s0
	s_cbranch_execz .LBB1316_131
.LBB1316_213:
	v_add_co_u32 v0, vcc_lo, v15, v16
	s_waitcnt lgkmcnt(1)
	v_mov_b32_e32 v2, 0
	v_add_co_ci_u32_e64 v1, null, 0, v17, vcc_lo
	global_store_dwordx2 v2, v[0:1], s[12:13]
	s_endpgm
	.section	.rodata,"a",@progbits
	.p2align	6, 0x0
	.amdhsa_kernel _ZN7rocprim17ROCPRIM_400000_NS6detail17trampoline_kernelINS0_13select_configILj256ELj13ELNS0_17block_load_methodE3ELS4_3ELS4_3ELNS0_20block_scan_algorithmE0ELj4294967295EEENS1_25partition_config_selectorILNS1_17partition_subalgoE3EjNS0_10empty_typeEbEEZZNS1_14partition_implILS8_3ELb0ES6_jNS0_17counting_iteratorIjlEEPS9_SE_NS0_5tupleIJPjSE_EEENSF_IJSE_SE_EEES9_SG_JZNS1_25segmented_radix_sort_implINS0_14default_configELb1EPKfPfPKlPlN2at6native12_GLOBAL__N_18offset_tEEE10hipError_tPvRmT1_PNSt15iterator_traitsISY_E10value_typeET2_T3_PNSZ_IS14_E10value_typeET4_jRbjT5_S1A_jjP12ihipStream_tbEUljE_EEESV_SW_SX_S14_S18_S1A_T6_T7_T9_mT8_S1C_bDpT10_ENKUlT_T0_E_clISt17integral_constantIbLb0EES1O_IbLb1EEEEDaS1K_S1L_EUlS1K_E_NS1_11comp_targetILNS1_3genE8ELNS1_11target_archE1030ELNS1_3gpuE2ELNS1_3repE0EEENS1_30default_config_static_selectorELNS0_4arch9wavefront6targetE0EEEvSY_
		.amdhsa_group_segment_fixed_size 13320
		.amdhsa_private_segment_fixed_size 0
		.amdhsa_kernarg_size 152
		.amdhsa_user_sgpr_count 6
		.amdhsa_user_sgpr_private_segment_buffer 1
		.amdhsa_user_sgpr_dispatch_ptr 0
		.amdhsa_user_sgpr_queue_ptr 0
		.amdhsa_user_sgpr_kernarg_segment_ptr 1
		.amdhsa_user_sgpr_dispatch_id 0
		.amdhsa_user_sgpr_flat_scratch_init 0
		.amdhsa_user_sgpr_private_segment_size 0
		.amdhsa_wavefront_size32 1
		.amdhsa_uses_dynamic_stack 0
		.amdhsa_system_sgpr_private_segment_wavefront_offset 0
		.amdhsa_system_sgpr_workgroup_id_x 1
		.amdhsa_system_sgpr_workgroup_id_y 0
		.amdhsa_system_sgpr_workgroup_id_z 0
		.amdhsa_system_sgpr_workgroup_info 0
		.amdhsa_system_vgpr_workitem_id 0
		.amdhsa_next_free_vgpr 71
		.amdhsa_next_free_sgpr 26
		.amdhsa_reserve_vcc 1
		.amdhsa_reserve_flat_scratch 0
		.amdhsa_float_round_mode_32 0
		.amdhsa_float_round_mode_16_64 0
		.amdhsa_float_denorm_mode_32 3
		.amdhsa_float_denorm_mode_16_64 3
		.amdhsa_dx10_clamp 1
		.amdhsa_ieee_mode 1
		.amdhsa_fp16_overflow 0
		.amdhsa_workgroup_processor_mode 1
		.amdhsa_memory_ordered 1
		.amdhsa_forward_progress 1
		.amdhsa_shared_vgpr_count 0
		.amdhsa_exception_fp_ieee_invalid_op 0
		.amdhsa_exception_fp_denorm_src 0
		.amdhsa_exception_fp_ieee_div_zero 0
		.amdhsa_exception_fp_ieee_overflow 0
		.amdhsa_exception_fp_ieee_underflow 0
		.amdhsa_exception_fp_ieee_inexact 0
		.amdhsa_exception_int_div_zero 0
	.end_amdhsa_kernel
	.section	.text._ZN7rocprim17ROCPRIM_400000_NS6detail17trampoline_kernelINS0_13select_configILj256ELj13ELNS0_17block_load_methodE3ELS4_3ELS4_3ELNS0_20block_scan_algorithmE0ELj4294967295EEENS1_25partition_config_selectorILNS1_17partition_subalgoE3EjNS0_10empty_typeEbEEZZNS1_14partition_implILS8_3ELb0ES6_jNS0_17counting_iteratorIjlEEPS9_SE_NS0_5tupleIJPjSE_EEENSF_IJSE_SE_EEES9_SG_JZNS1_25segmented_radix_sort_implINS0_14default_configELb1EPKfPfPKlPlN2at6native12_GLOBAL__N_18offset_tEEE10hipError_tPvRmT1_PNSt15iterator_traitsISY_E10value_typeET2_T3_PNSZ_IS14_E10value_typeET4_jRbjT5_S1A_jjP12ihipStream_tbEUljE_EEESV_SW_SX_S14_S18_S1A_T6_T7_T9_mT8_S1C_bDpT10_ENKUlT_T0_E_clISt17integral_constantIbLb0EES1O_IbLb1EEEEDaS1K_S1L_EUlS1K_E_NS1_11comp_targetILNS1_3genE8ELNS1_11target_archE1030ELNS1_3gpuE2ELNS1_3repE0EEENS1_30default_config_static_selectorELNS0_4arch9wavefront6targetE0EEEvSY_,"axG",@progbits,_ZN7rocprim17ROCPRIM_400000_NS6detail17trampoline_kernelINS0_13select_configILj256ELj13ELNS0_17block_load_methodE3ELS4_3ELS4_3ELNS0_20block_scan_algorithmE0ELj4294967295EEENS1_25partition_config_selectorILNS1_17partition_subalgoE3EjNS0_10empty_typeEbEEZZNS1_14partition_implILS8_3ELb0ES6_jNS0_17counting_iteratorIjlEEPS9_SE_NS0_5tupleIJPjSE_EEENSF_IJSE_SE_EEES9_SG_JZNS1_25segmented_radix_sort_implINS0_14default_configELb1EPKfPfPKlPlN2at6native12_GLOBAL__N_18offset_tEEE10hipError_tPvRmT1_PNSt15iterator_traitsISY_E10value_typeET2_T3_PNSZ_IS14_E10value_typeET4_jRbjT5_S1A_jjP12ihipStream_tbEUljE_EEESV_SW_SX_S14_S18_S1A_T6_T7_T9_mT8_S1C_bDpT10_ENKUlT_T0_E_clISt17integral_constantIbLb0EES1O_IbLb1EEEEDaS1K_S1L_EUlS1K_E_NS1_11comp_targetILNS1_3genE8ELNS1_11target_archE1030ELNS1_3gpuE2ELNS1_3repE0EEENS1_30default_config_static_selectorELNS0_4arch9wavefront6targetE0EEEvSY_,comdat
.Lfunc_end1316:
	.size	_ZN7rocprim17ROCPRIM_400000_NS6detail17trampoline_kernelINS0_13select_configILj256ELj13ELNS0_17block_load_methodE3ELS4_3ELS4_3ELNS0_20block_scan_algorithmE0ELj4294967295EEENS1_25partition_config_selectorILNS1_17partition_subalgoE3EjNS0_10empty_typeEbEEZZNS1_14partition_implILS8_3ELb0ES6_jNS0_17counting_iteratorIjlEEPS9_SE_NS0_5tupleIJPjSE_EEENSF_IJSE_SE_EEES9_SG_JZNS1_25segmented_radix_sort_implINS0_14default_configELb1EPKfPfPKlPlN2at6native12_GLOBAL__N_18offset_tEEE10hipError_tPvRmT1_PNSt15iterator_traitsISY_E10value_typeET2_T3_PNSZ_IS14_E10value_typeET4_jRbjT5_S1A_jjP12ihipStream_tbEUljE_EEESV_SW_SX_S14_S18_S1A_T6_T7_T9_mT8_S1C_bDpT10_ENKUlT_T0_E_clISt17integral_constantIbLb0EES1O_IbLb1EEEEDaS1K_S1L_EUlS1K_E_NS1_11comp_targetILNS1_3genE8ELNS1_11target_archE1030ELNS1_3gpuE2ELNS1_3repE0EEENS1_30default_config_static_selectorELNS0_4arch9wavefront6targetE0EEEvSY_, .Lfunc_end1316-_ZN7rocprim17ROCPRIM_400000_NS6detail17trampoline_kernelINS0_13select_configILj256ELj13ELNS0_17block_load_methodE3ELS4_3ELS4_3ELNS0_20block_scan_algorithmE0ELj4294967295EEENS1_25partition_config_selectorILNS1_17partition_subalgoE3EjNS0_10empty_typeEbEEZZNS1_14partition_implILS8_3ELb0ES6_jNS0_17counting_iteratorIjlEEPS9_SE_NS0_5tupleIJPjSE_EEENSF_IJSE_SE_EEES9_SG_JZNS1_25segmented_radix_sort_implINS0_14default_configELb1EPKfPfPKlPlN2at6native12_GLOBAL__N_18offset_tEEE10hipError_tPvRmT1_PNSt15iterator_traitsISY_E10value_typeET2_T3_PNSZ_IS14_E10value_typeET4_jRbjT5_S1A_jjP12ihipStream_tbEUljE_EEESV_SW_SX_S14_S18_S1A_T6_T7_T9_mT8_S1C_bDpT10_ENKUlT_T0_E_clISt17integral_constantIbLb0EES1O_IbLb1EEEEDaS1K_S1L_EUlS1K_E_NS1_11comp_targetILNS1_3genE8ELNS1_11target_archE1030ELNS1_3gpuE2ELNS1_3repE0EEENS1_30default_config_static_selectorELNS0_4arch9wavefront6targetE0EEEvSY_
                                        ; -- End function
	.set _ZN7rocprim17ROCPRIM_400000_NS6detail17trampoline_kernelINS0_13select_configILj256ELj13ELNS0_17block_load_methodE3ELS4_3ELS4_3ELNS0_20block_scan_algorithmE0ELj4294967295EEENS1_25partition_config_selectorILNS1_17partition_subalgoE3EjNS0_10empty_typeEbEEZZNS1_14partition_implILS8_3ELb0ES6_jNS0_17counting_iteratorIjlEEPS9_SE_NS0_5tupleIJPjSE_EEENSF_IJSE_SE_EEES9_SG_JZNS1_25segmented_radix_sort_implINS0_14default_configELb1EPKfPfPKlPlN2at6native12_GLOBAL__N_18offset_tEEE10hipError_tPvRmT1_PNSt15iterator_traitsISY_E10value_typeET2_T3_PNSZ_IS14_E10value_typeET4_jRbjT5_S1A_jjP12ihipStream_tbEUljE_EEESV_SW_SX_S14_S18_S1A_T6_T7_T9_mT8_S1C_bDpT10_ENKUlT_T0_E_clISt17integral_constantIbLb0EES1O_IbLb1EEEEDaS1K_S1L_EUlS1K_E_NS1_11comp_targetILNS1_3genE8ELNS1_11target_archE1030ELNS1_3gpuE2ELNS1_3repE0EEENS1_30default_config_static_selectorELNS0_4arch9wavefront6targetE0EEEvSY_.num_vgpr, 71
	.set _ZN7rocprim17ROCPRIM_400000_NS6detail17trampoline_kernelINS0_13select_configILj256ELj13ELNS0_17block_load_methodE3ELS4_3ELS4_3ELNS0_20block_scan_algorithmE0ELj4294967295EEENS1_25partition_config_selectorILNS1_17partition_subalgoE3EjNS0_10empty_typeEbEEZZNS1_14partition_implILS8_3ELb0ES6_jNS0_17counting_iteratorIjlEEPS9_SE_NS0_5tupleIJPjSE_EEENSF_IJSE_SE_EEES9_SG_JZNS1_25segmented_radix_sort_implINS0_14default_configELb1EPKfPfPKlPlN2at6native12_GLOBAL__N_18offset_tEEE10hipError_tPvRmT1_PNSt15iterator_traitsISY_E10value_typeET2_T3_PNSZ_IS14_E10value_typeET4_jRbjT5_S1A_jjP12ihipStream_tbEUljE_EEESV_SW_SX_S14_S18_S1A_T6_T7_T9_mT8_S1C_bDpT10_ENKUlT_T0_E_clISt17integral_constantIbLb0EES1O_IbLb1EEEEDaS1K_S1L_EUlS1K_E_NS1_11comp_targetILNS1_3genE8ELNS1_11target_archE1030ELNS1_3gpuE2ELNS1_3repE0EEENS1_30default_config_static_selectorELNS0_4arch9wavefront6targetE0EEEvSY_.num_agpr, 0
	.set _ZN7rocprim17ROCPRIM_400000_NS6detail17trampoline_kernelINS0_13select_configILj256ELj13ELNS0_17block_load_methodE3ELS4_3ELS4_3ELNS0_20block_scan_algorithmE0ELj4294967295EEENS1_25partition_config_selectorILNS1_17partition_subalgoE3EjNS0_10empty_typeEbEEZZNS1_14partition_implILS8_3ELb0ES6_jNS0_17counting_iteratorIjlEEPS9_SE_NS0_5tupleIJPjSE_EEENSF_IJSE_SE_EEES9_SG_JZNS1_25segmented_radix_sort_implINS0_14default_configELb1EPKfPfPKlPlN2at6native12_GLOBAL__N_18offset_tEEE10hipError_tPvRmT1_PNSt15iterator_traitsISY_E10value_typeET2_T3_PNSZ_IS14_E10value_typeET4_jRbjT5_S1A_jjP12ihipStream_tbEUljE_EEESV_SW_SX_S14_S18_S1A_T6_T7_T9_mT8_S1C_bDpT10_ENKUlT_T0_E_clISt17integral_constantIbLb0EES1O_IbLb1EEEEDaS1K_S1L_EUlS1K_E_NS1_11comp_targetILNS1_3genE8ELNS1_11target_archE1030ELNS1_3gpuE2ELNS1_3repE0EEENS1_30default_config_static_selectorELNS0_4arch9wavefront6targetE0EEEvSY_.numbered_sgpr, 26
	.set _ZN7rocprim17ROCPRIM_400000_NS6detail17trampoline_kernelINS0_13select_configILj256ELj13ELNS0_17block_load_methodE3ELS4_3ELS4_3ELNS0_20block_scan_algorithmE0ELj4294967295EEENS1_25partition_config_selectorILNS1_17partition_subalgoE3EjNS0_10empty_typeEbEEZZNS1_14partition_implILS8_3ELb0ES6_jNS0_17counting_iteratorIjlEEPS9_SE_NS0_5tupleIJPjSE_EEENSF_IJSE_SE_EEES9_SG_JZNS1_25segmented_radix_sort_implINS0_14default_configELb1EPKfPfPKlPlN2at6native12_GLOBAL__N_18offset_tEEE10hipError_tPvRmT1_PNSt15iterator_traitsISY_E10value_typeET2_T3_PNSZ_IS14_E10value_typeET4_jRbjT5_S1A_jjP12ihipStream_tbEUljE_EEESV_SW_SX_S14_S18_S1A_T6_T7_T9_mT8_S1C_bDpT10_ENKUlT_T0_E_clISt17integral_constantIbLb0EES1O_IbLb1EEEEDaS1K_S1L_EUlS1K_E_NS1_11comp_targetILNS1_3genE8ELNS1_11target_archE1030ELNS1_3gpuE2ELNS1_3repE0EEENS1_30default_config_static_selectorELNS0_4arch9wavefront6targetE0EEEvSY_.num_named_barrier, 0
	.set _ZN7rocprim17ROCPRIM_400000_NS6detail17trampoline_kernelINS0_13select_configILj256ELj13ELNS0_17block_load_methodE3ELS4_3ELS4_3ELNS0_20block_scan_algorithmE0ELj4294967295EEENS1_25partition_config_selectorILNS1_17partition_subalgoE3EjNS0_10empty_typeEbEEZZNS1_14partition_implILS8_3ELb0ES6_jNS0_17counting_iteratorIjlEEPS9_SE_NS0_5tupleIJPjSE_EEENSF_IJSE_SE_EEES9_SG_JZNS1_25segmented_radix_sort_implINS0_14default_configELb1EPKfPfPKlPlN2at6native12_GLOBAL__N_18offset_tEEE10hipError_tPvRmT1_PNSt15iterator_traitsISY_E10value_typeET2_T3_PNSZ_IS14_E10value_typeET4_jRbjT5_S1A_jjP12ihipStream_tbEUljE_EEESV_SW_SX_S14_S18_S1A_T6_T7_T9_mT8_S1C_bDpT10_ENKUlT_T0_E_clISt17integral_constantIbLb0EES1O_IbLb1EEEEDaS1K_S1L_EUlS1K_E_NS1_11comp_targetILNS1_3genE8ELNS1_11target_archE1030ELNS1_3gpuE2ELNS1_3repE0EEENS1_30default_config_static_selectorELNS0_4arch9wavefront6targetE0EEEvSY_.private_seg_size, 0
	.set _ZN7rocprim17ROCPRIM_400000_NS6detail17trampoline_kernelINS0_13select_configILj256ELj13ELNS0_17block_load_methodE3ELS4_3ELS4_3ELNS0_20block_scan_algorithmE0ELj4294967295EEENS1_25partition_config_selectorILNS1_17partition_subalgoE3EjNS0_10empty_typeEbEEZZNS1_14partition_implILS8_3ELb0ES6_jNS0_17counting_iteratorIjlEEPS9_SE_NS0_5tupleIJPjSE_EEENSF_IJSE_SE_EEES9_SG_JZNS1_25segmented_radix_sort_implINS0_14default_configELb1EPKfPfPKlPlN2at6native12_GLOBAL__N_18offset_tEEE10hipError_tPvRmT1_PNSt15iterator_traitsISY_E10value_typeET2_T3_PNSZ_IS14_E10value_typeET4_jRbjT5_S1A_jjP12ihipStream_tbEUljE_EEESV_SW_SX_S14_S18_S1A_T6_T7_T9_mT8_S1C_bDpT10_ENKUlT_T0_E_clISt17integral_constantIbLb0EES1O_IbLb1EEEEDaS1K_S1L_EUlS1K_E_NS1_11comp_targetILNS1_3genE8ELNS1_11target_archE1030ELNS1_3gpuE2ELNS1_3repE0EEENS1_30default_config_static_selectorELNS0_4arch9wavefront6targetE0EEEvSY_.uses_vcc, 1
	.set _ZN7rocprim17ROCPRIM_400000_NS6detail17trampoline_kernelINS0_13select_configILj256ELj13ELNS0_17block_load_methodE3ELS4_3ELS4_3ELNS0_20block_scan_algorithmE0ELj4294967295EEENS1_25partition_config_selectorILNS1_17partition_subalgoE3EjNS0_10empty_typeEbEEZZNS1_14partition_implILS8_3ELb0ES6_jNS0_17counting_iteratorIjlEEPS9_SE_NS0_5tupleIJPjSE_EEENSF_IJSE_SE_EEES9_SG_JZNS1_25segmented_radix_sort_implINS0_14default_configELb1EPKfPfPKlPlN2at6native12_GLOBAL__N_18offset_tEEE10hipError_tPvRmT1_PNSt15iterator_traitsISY_E10value_typeET2_T3_PNSZ_IS14_E10value_typeET4_jRbjT5_S1A_jjP12ihipStream_tbEUljE_EEESV_SW_SX_S14_S18_S1A_T6_T7_T9_mT8_S1C_bDpT10_ENKUlT_T0_E_clISt17integral_constantIbLb0EES1O_IbLb1EEEEDaS1K_S1L_EUlS1K_E_NS1_11comp_targetILNS1_3genE8ELNS1_11target_archE1030ELNS1_3gpuE2ELNS1_3repE0EEENS1_30default_config_static_selectorELNS0_4arch9wavefront6targetE0EEEvSY_.uses_flat_scratch, 0
	.set _ZN7rocprim17ROCPRIM_400000_NS6detail17trampoline_kernelINS0_13select_configILj256ELj13ELNS0_17block_load_methodE3ELS4_3ELS4_3ELNS0_20block_scan_algorithmE0ELj4294967295EEENS1_25partition_config_selectorILNS1_17partition_subalgoE3EjNS0_10empty_typeEbEEZZNS1_14partition_implILS8_3ELb0ES6_jNS0_17counting_iteratorIjlEEPS9_SE_NS0_5tupleIJPjSE_EEENSF_IJSE_SE_EEES9_SG_JZNS1_25segmented_radix_sort_implINS0_14default_configELb1EPKfPfPKlPlN2at6native12_GLOBAL__N_18offset_tEEE10hipError_tPvRmT1_PNSt15iterator_traitsISY_E10value_typeET2_T3_PNSZ_IS14_E10value_typeET4_jRbjT5_S1A_jjP12ihipStream_tbEUljE_EEESV_SW_SX_S14_S18_S1A_T6_T7_T9_mT8_S1C_bDpT10_ENKUlT_T0_E_clISt17integral_constantIbLb0EES1O_IbLb1EEEEDaS1K_S1L_EUlS1K_E_NS1_11comp_targetILNS1_3genE8ELNS1_11target_archE1030ELNS1_3gpuE2ELNS1_3repE0EEENS1_30default_config_static_selectorELNS0_4arch9wavefront6targetE0EEEvSY_.has_dyn_sized_stack, 0
	.set _ZN7rocprim17ROCPRIM_400000_NS6detail17trampoline_kernelINS0_13select_configILj256ELj13ELNS0_17block_load_methodE3ELS4_3ELS4_3ELNS0_20block_scan_algorithmE0ELj4294967295EEENS1_25partition_config_selectorILNS1_17partition_subalgoE3EjNS0_10empty_typeEbEEZZNS1_14partition_implILS8_3ELb0ES6_jNS0_17counting_iteratorIjlEEPS9_SE_NS0_5tupleIJPjSE_EEENSF_IJSE_SE_EEES9_SG_JZNS1_25segmented_radix_sort_implINS0_14default_configELb1EPKfPfPKlPlN2at6native12_GLOBAL__N_18offset_tEEE10hipError_tPvRmT1_PNSt15iterator_traitsISY_E10value_typeET2_T3_PNSZ_IS14_E10value_typeET4_jRbjT5_S1A_jjP12ihipStream_tbEUljE_EEESV_SW_SX_S14_S18_S1A_T6_T7_T9_mT8_S1C_bDpT10_ENKUlT_T0_E_clISt17integral_constantIbLb0EES1O_IbLb1EEEEDaS1K_S1L_EUlS1K_E_NS1_11comp_targetILNS1_3genE8ELNS1_11target_archE1030ELNS1_3gpuE2ELNS1_3repE0EEENS1_30default_config_static_selectorELNS0_4arch9wavefront6targetE0EEEvSY_.has_recursion, 0
	.set _ZN7rocprim17ROCPRIM_400000_NS6detail17trampoline_kernelINS0_13select_configILj256ELj13ELNS0_17block_load_methodE3ELS4_3ELS4_3ELNS0_20block_scan_algorithmE0ELj4294967295EEENS1_25partition_config_selectorILNS1_17partition_subalgoE3EjNS0_10empty_typeEbEEZZNS1_14partition_implILS8_3ELb0ES6_jNS0_17counting_iteratorIjlEEPS9_SE_NS0_5tupleIJPjSE_EEENSF_IJSE_SE_EEES9_SG_JZNS1_25segmented_radix_sort_implINS0_14default_configELb1EPKfPfPKlPlN2at6native12_GLOBAL__N_18offset_tEEE10hipError_tPvRmT1_PNSt15iterator_traitsISY_E10value_typeET2_T3_PNSZ_IS14_E10value_typeET4_jRbjT5_S1A_jjP12ihipStream_tbEUljE_EEESV_SW_SX_S14_S18_S1A_T6_T7_T9_mT8_S1C_bDpT10_ENKUlT_T0_E_clISt17integral_constantIbLb0EES1O_IbLb1EEEEDaS1K_S1L_EUlS1K_E_NS1_11comp_targetILNS1_3genE8ELNS1_11target_archE1030ELNS1_3gpuE2ELNS1_3repE0EEENS1_30default_config_static_selectorELNS0_4arch9wavefront6targetE0EEEvSY_.has_indirect_call, 0
	.section	.AMDGPU.csdata,"",@progbits
; Kernel info:
; codeLenInByte = 8704
; TotalNumSgprs: 28
; NumVgprs: 71
; ScratchSize: 0
; MemoryBound: 0
; FloatMode: 240
; IeeeMode: 1
; LDSByteSize: 13320 bytes/workgroup (compile time only)
; SGPRBlocks: 0
; VGPRBlocks: 8
; NumSGPRsForWavesPerEU: 28
; NumVGPRsForWavesPerEU: 71
; Occupancy: 12
; WaveLimiterHint : 0
; COMPUTE_PGM_RSRC2:SCRATCH_EN: 0
; COMPUTE_PGM_RSRC2:USER_SGPR: 6
; COMPUTE_PGM_RSRC2:TRAP_HANDLER: 0
; COMPUTE_PGM_RSRC2:TGID_X_EN: 1
; COMPUTE_PGM_RSRC2:TGID_Y_EN: 0
; COMPUTE_PGM_RSRC2:TGID_Z_EN: 0
; COMPUTE_PGM_RSRC2:TIDIG_COMP_CNT: 0
	.section	.text._ZN7rocprim17ROCPRIM_400000_NS6detail17trampoline_kernelINS0_14default_configENS1_36segmented_radix_sort_config_selectorIflEEZNS1_25segmented_radix_sort_implIS3_Lb1EPKfPfPKlPlN2at6native12_GLOBAL__N_18offset_tEEE10hipError_tPvRmT1_PNSt15iterator_traitsISK_E10value_typeET2_T3_PNSL_ISQ_E10value_typeET4_jRbjT5_SW_jjP12ihipStream_tbEUlT_E_NS1_11comp_targetILNS1_3genE0ELNS1_11target_archE4294967295ELNS1_3gpuE0ELNS1_3repE0EEENS1_30default_config_static_selectorELNS0_4arch9wavefront6targetE0EEEvSK_,"axG",@progbits,_ZN7rocprim17ROCPRIM_400000_NS6detail17trampoline_kernelINS0_14default_configENS1_36segmented_radix_sort_config_selectorIflEEZNS1_25segmented_radix_sort_implIS3_Lb1EPKfPfPKlPlN2at6native12_GLOBAL__N_18offset_tEEE10hipError_tPvRmT1_PNSt15iterator_traitsISK_E10value_typeET2_T3_PNSL_ISQ_E10value_typeET4_jRbjT5_SW_jjP12ihipStream_tbEUlT_E_NS1_11comp_targetILNS1_3genE0ELNS1_11target_archE4294967295ELNS1_3gpuE0ELNS1_3repE0EEENS1_30default_config_static_selectorELNS0_4arch9wavefront6targetE0EEEvSK_,comdat
	.globl	_ZN7rocprim17ROCPRIM_400000_NS6detail17trampoline_kernelINS0_14default_configENS1_36segmented_radix_sort_config_selectorIflEEZNS1_25segmented_radix_sort_implIS3_Lb1EPKfPfPKlPlN2at6native12_GLOBAL__N_18offset_tEEE10hipError_tPvRmT1_PNSt15iterator_traitsISK_E10value_typeET2_T3_PNSL_ISQ_E10value_typeET4_jRbjT5_SW_jjP12ihipStream_tbEUlT_E_NS1_11comp_targetILNS1_3genE0ELNS1_11target_archE4294967295ELNS1_3gpuE0ELNS1_3repE0EEENS1_30default_config_static_selectorELNS0_4arch9wavefront6targetE0EEEvSK_ ; -- Begin function _ZN7rocprim17ROCPRIM_400000_NS6detail17trampoline_kernelINS0_14default_configENS1_36segmented_radix_sort_config_selectorIflEEZNS1_25segmented_radix_sort_implIS3_Lb1EPKfPfPKlPlN2at6native12_GLOBAL__N_18offset_tEEE10hipError_tPvRmT1_PNSt15iterator_traitsISK_E10value_typeET2_T3_PNSL_ISQ_E10value_typeET4_jRbjT5_SW_jjP12ihipStream_tbEUlT_E_NS1_11comp_targetILNS1_3genE0ELNS1_11target_archE4294967295ELNS1_3gpuE0ELNS1_3repE0EEENS1_30default_config_static_selectorELNS0_4arch9wavefront6targetE0EEEvSK_
	.p2align	8
	.type	_ZN7rocprim17ROCPRIM_400000_NS6detail17trampoline_kernelINS0_14default_configENS1_36segmented_radix_sort_config_selectorIflEEZNS1_25segmented_radix_sort_implIS3_Lb1EPKfPfPKlPlN2at6native12_GLOBAL__N_18offset_tEEE10hipError_tPvRmT1_PNSt15iterator_traitsISK_E10value_typeET2_T3_PNSL_ISQ_E10value_typeET4_jRbjT5_SW_jjP12ihipStream_tbEUlT_E_NS1_11comp_targetILNS1_3genE0ELNS1_11target_archE4294967295ELNS1_3gpuE0ELNS1_3repE0EEENS1_30default_config_static_selectorELNS0_4arch9wavefront6targetE0EEEvSK_,@function
_ZN7rocprim17ROCPRIM_400000_NS6detail17trampoline_kernelINS0_14default_configENS1_36segmented_radix_sort_config_selectorIflEEZNS1_25segmented_radix_sort_implIS3_Lb1EPKfPfPKlPlN2at6native12_GLOBAL__N_18offset_tEEE10hipError_tPvRmT1_PNSt15iterator_traitsISK_E10value_typeET2_T3_PNSL_ISQ_E10value_typeET4_jRbjT5_SW_jjP12ihipStream_tbEUlT_E_NS1_11comp_targetILNS1_3genE0ELNS1_11target_archE4294967295ELNS1_3gpuE0ELNS1_3repE0EEENS1_30default_config_static_selectorELNS0_4arch9wavefront6targetE0EEEvSK_: ; @_ZN7rocprim17ROCPRIM_400000_NS6detail17trampoline_kernelINS0_14default_configENS1_36segmented_radix_sort_config_selectorIflEEZNS1_25segmented_radix_sort_implIS3_Lb1EPKfPfPKlPlN2at6native12_GLOBAL__N_18offset_tEEE10hipError_tPvRmT1_PNSt15iterator_traitsISK_E10value_typeET2_T3_PNSL_ISQ_E10value_typeET4_jRbjT5_SW_jjP12ihipStream_tbEUlT_E_NS1_11comp_targetILNS1_3genE0ELNS1_11target_archE4294967295ELNS1_3gpuE0ELNS1_3repE0EEENS1_30default_config_static_selectorELNS0_4arch9wavefront6targetE0EEEvSK_
; %bb.0:
	.section	.rodata,"a",@progbits
	.p2align	6, 0x0
	.amdhsa_kernel _ZN7rocprim17ROCPRIM_400000_NS6detail17trampoline_kernelINS0_14default_configENS1_36segmented_radix_sort_config_selectorIflEEZNS1_25segmented_radix_sort_implIS3_Lb1EPKfPfPKlPlN2at6native12_GLOBAL__N_18offset_tEEE10hipError_tPvRmT1_PNSt15iterator_traitsISK_E10value_typeET2_T3_PNSL_ISQ_E10value_typeET4_jRbjT5_SW_jjP12ihipStream_tbEUlT_E_NS1_11comp_targetILNS1_3genE0ELNS1_11target_archE4294967295ELNS1_3gpuE0ELNS1_3repE0EEENS1_30default_config_static_selectorELNS0_4arch9wavefront6targetE0EEEvSK_
		.amdhsa_group_segment_fixed_size 0
		.amdhsa_private_segment_fixed_size 0
		.amdhsa_kernarg_size 96
		.amdhsa_user_sgpr_count 6
		.amdhsa_user_sgpr_private_segment_buffer 1
		.amdhsa_user_sgpr_dispatch_ptr 0
		.amdhsa_user_sgpr_queue_ptr 0
		.amdhsa_user_sgpr_kernarg_segment_ptr 1
		.amdhsa_user_sgpr_dispatch_id 0
		.amdhsa_user_sgpr_flat_scratch_init 0
		.amdhsa_user_sgpr_private_segment_size 0
		.amdhsa_wavefront_size32 1
		.amdhsa_uses_dynamic_stack 0
		.amdhsa_system_sgpr_private_segment_wavefront_offset 0
		.amdhsa_system_sgpr_workgroup_id_x 1
		.amdhsa_system_sgpr_workgroup_id_y 0
		.amdhsa_system_sgpr_workgroup_id_z 0
		.amdhsa_system_sgpr_workgroup_info 0
		.amdhsa_system_vgpr_workitem_id 0
		.amdhsa_next_free_vgpr 1
		.amdhsa_next_free_sgpr 1
		.amdhsa_reserve_vcc 0
		.amdhsa_reserve_flat_scratch 0
		.amdhsa_float_round_mode_32 0
		.amdhsa_float_round_mode_16_64 0
		.amdhsa_float_denorm_mode_32 3
		.amdhsa_float_denorm_mode_16_64 3
		.amdhsa_dx10_clamp 1
		.amdhsa_ieee_mode 1
		.amdhsa_fp16_overflow 0
		.amdhsa_workgroup_processor_mode 1
		.amdhsa_memory_ordered 1
		.amdhsa_forward_progress 1
		.amdhsa_shared_vgpr_count 0
		.amdhsa_exception_fp_ieee_invalid_op 0
		.amdhsa_exception_fp_denorm_src 0
		.amdhsa_exception_fp_ieee_div_zero 0
		.amdhsa_exception_fp_ieee_overflow 0
		.amdhsa_exception_fp_ieee_underflow 0
		.amdhsa_exception_fp_ieee_inexact 0
		.amdhsa_exception_int_div_zero 0
	.end_amdhsa_kernel
	.section	.text._ZN7rocprim17ROCPRIM_400000_NS6detail17trampoline_kernelINS0_14default_configENS1_36segmented_radix_sort_config_selectorIflEEZNS1_25segmented_radix_sort_implIS3_Lb1EPKfPfPKlPlN2at6native12_GLOBAL__N_18offset_tEEE10hipError_tPvRmT1_PNSt15iterator_traitsISK_E10value_typeET2_T3_PNSL_ISQ_E10value_typeET4_jRbjT5_SW_jjP12ihipStream_tbEUlT_E_NS1_11comp_targetILNS1_3genE0ELNS1_11target_archE4294967295ELNS1_3gpuE0ELNS1_3repE0EEENS1_30default_config_static_selectorELNS0_4arch9wavefront6targetE0EEEvSK_,"axG",@progbits,_ZN7rocprim17ROCPRIM_400000_NS6detail17trampoline_kernelINS0_14default_configENS1_36segmented_radix_sort_config_selectorIflEEZNS1_25segmented_radix_sort_implIS3_Lb1EPKfPfPKlPlN2at6native12_GLOBAL__N_18offset_tEEE10hipError_tPvRmT1_PNSt15iterator_traitsISK_E10value_typeET2_T3_PNSL_ISQ_E10value_typeET4_jRbjT5_SW_jjP12ihipStream_tbEUlT_E_NS1_11comp_targetILNS1_3genE0ELNS1_11target_archE4294967295ELNS1_3gpuE0ELNS1_3repE0EEENS1_30default_config_static_selectorELNS0_4arch9wavefront6targetE0EEEvSK_,comdat
.Lfunc_end1317:
	.size	_ZN7rocprim17ROCPRIM_400000_NS6detail17trampoline_kernelINS0_14default_configENS1_36segmented_radix_sort_config_selectorIflEEZNS1_25segmented_radix_sort_implIS3_Lb1EPKfPfPKlPlN2at6native12_GLOBAL__N_18offset_tEEE10hipError_tPvRmT1_PNSt15iterator_traitsISK_E10value_typeET2_T3_PNSL_ISQ_E10value_typeET4_jRbjT5_SW_jjP12ihipStream_tbEUlT_E_NS1_11comp_targetILNS1_3genE0ELNS1_11target_archE4294967295ELNS1_3gpuE0ELNS1_3repE0EEENS1_30default_config_static_selectorELNS0_4arch9wavefront6targetE0EEEvSK_, .Lfunc_end1317-_ZN7rocprim17ROCPRIM_400000_NS6detail17trampoline_kernelINS0_14default_configENS1_36segmented_radix_sort_config_selectorIflEEZNS1_25segmented_radix_sort_implIS3_Lb1EPKfPfPKlPlN2at6native12_GLOBAL__N_18offset_tEEE10hipError_tPvRmT1_PNSt15iterator_traitsISK_E10value_typeET2_T3_PNSL_ISQ_E10value_typeET4_jRbjT5_SW_jjP12ihipStream_tbEUlT_E_NS1_11comp_targetILNS1_3genE0ELNS1_11target_archE4294967295ELNS1_3gpuE0ELNS1_3repE0EEENS1_30default_config_static_selectorELNS0_4arch9wavefront6targetE0EEEvSK_
                                        ; -- End function
	.set _ZN7rocprim17ROCPRIM_400000_NS6detail17trampoline_kernelINS0_14default_configENS1_36segmented_radix_sort_config_selectorIflEEZNS1_25segmented_radix_sort_implIS3_Lb1EPKfPfPKlPlN2at6native12_GLOBAL__N_18offset_tEEE10hipError_tPvRmT1_PNSt15iterator_traitsISK_E10value_typeET2_T3_PNSL_ISQ_E10value_typeET4_jRbjT5_SW_jjP12ihipStream_tbEUlT_E_NS1_11comp_targetILNS1_3genE0ELNS1_11target_archE4294967295ELNS1_3gpuE0ELNS1_3repE0EEENS1_30default_config_static_selectorELNS0_4arch9wavefront6targetE0EEEvSK_.num_vgpr, 0
	.set _ZN7rocprim17ROCPRIM_400000_NS6detail17trampoline_kernelINS0_14default_configENS1_36segmented_radix_sort_config_selectorIflEEZNS1_25segmented_radix_sort_implIS3_Lb1EPKfPfPKlPlN2at6native12_GLOBAL__N_18offset_tEEE10hipError_tPvRmT1_PNSt15iterator_traitsISK_E10value_typeET2_T3_PNSL_ISQ_E10value_typeET4_jRbjT5_SW_jjP12ihipStream_tbEUlT_E_NS1_11comp_targetILNS1_3genE0ELNS1_11target_archE4294967295ELNS1_3gpuE0ELNS1_3repE0EEENS1_30default_config_static_selectorELNS0_4arch9wavefront6targetE0EEEvSK_.num_agpr, 0
	.set _ZN7rocprim17ROCPRIM_400000_NS6detail17trampoline_kernelINS0_14default_configENS1_36segmented_radix_sort_config_selectorIflEEZNS1_25segmented_radix_sort_implIS3_Lb1EPKfPfPKlPlN2at6native12_GLOBAL__N_18offset_tEEE10hipError_tPvRmT1_PNSt15iterator_traitsISK_E10value_typeET2_T3_PNSL_ISQ_E10value_typeET4_jRbjT5_SW_jjP12ihipStream_tbEUlT_E_NS1_11comp_targetILNS1_3genE0ELNS1_11target_archE4294967295ELNS1_3gpuE0ELNS1_3repE0EEENS1_30default_config_static_selectorELNS0_4arch9wavefront6targetE0EEEvSK_.numbered_sgpr, 0
	.set _ZN7rocprim17ROCPRIM_400000_NS6detail17trampoline_kernelINS0_14default_configENS1_36segmented_radix_sort_config_selectorIflEEZNS1_25segmented_radix_sort_implIS3_Lb1EPKfPfPKlPlN2at6native12_GLOBAL__N_18offset_tEEE10hipError_tPvRmT1_PNSt15iterator_traitsISK_E10value_typeET2_T3_PNSL_ISQ_E10value_typeET4_jRbjT5_SW_jjP12ihipStream_tbEUlT_E_NS1_11comp_targetILNS1_3genE0ELNS1_11target_archE4294967295ELNS1_3gpuE0ELNS1_3repE0EEENS1_30default_config_static_selectorELNS0_4arch9wavefront6targetE0EEEvSK_.num_named_barrier, 0
	.set _ZN7rocprim17ROCPRIM_400000_NS6detail17trampoline_kernelINS0_14default_configENS1_36segmented_radix_sort_config_selectorIflEEZNS1_25segmented_radix_sort_implIS3_Lb1EPKfPfPKlPlN2at6native12_GLOBAL__N_18offset_tEEE10hipError_tPvRmT1_PNSt15iterator_traitsISK_E10value_typeET2_T3_PNSL_ISQ_E10value_typeET4_jRbjT5_SW_jjP12ihipStream_tbEUlT_E_NS1_11comp_targetILNS1_3genE0ELNS1_11target_archE4294967295ELNS1_3gpuE0ELNS1_3repE0EEENS1_30default_config_static_selectorELNS0_4arch9wavefront6targetE0EEEvSK_.private_seg_size, 0
	.set _ZN7rocprim17ROCPRIM_400000_NS6detail17trampoline_kernelINS0_14default_configENS1_36segmented_radix_sort_config_selectorIflEEZNS1_25segmented_radix_sort_implIS3_Lb1EPKfPfPKlPlN2at6native12_GLOBAL__N_18offset_tEEE10hipError_tPvRmT1_PNSt15iterator_traitsISK_E10value_typeET2_T3_PNSL_ISQ_E10value_typeET4_jRbjT5_SW_jjP12ihipStream_tbEUlT_E_NS1_11comp_targetILNS1_3genE0ELNS1_11target_archE4294967295ELNS1_3gpuE0ELNS1_3repE0EEENS1_30default_config_static_selectorELNS0_4arch9wavefront6targetE0EEEvSK_.uses_vcc, 0
	.set _ZN7rocprim17ROCPRIM_400000_NS6detail17trampoline_kernelINS0_14default_configENS1_36segmented_radix_sort_config_selectorIflEEZNS1_25segmented_radix_sort_implIS3_Lb1EPKfPfPKlPlN2at6native12_GLOBAL__N_18offset_tEEE10hipError_tPvRmT1_PNSt15iterator_traitsISK_E10value_typeET2_T3_PNSL_ISQ_E10value_typeET4_jRbjT5_SW_jjP12ihipStream_tbEUlT_E_NS1_11comp_targetILNS1_3genE0ELNS1_11target_archE4294967295ELNS1_3gpuE0ELNS1_3repE0EEENS1_30default_config_static_selectorELNS0_4arch9wavefront6targetE0EEEvSK_.uses_flat_scratch, 0
	.set _ZN7rocprim17ROCPRIM_400000_NS6detail17trampoline_kernelINS0_14default_configENS1_36segmented_radix_sort_config_selectorIflEEZNS1_25segmented_radix_sort_implIS3_Lb1EPKfPfPKlPlN2at6native12_GLOBAL__N_18offset_tEEE10hipError_tPvRmT1_PNSt15iterator_traitsISK_E10value_typeET2_T3_PNSL_ISQ_E10value_typeET4_jRbjT5_SW_jjP12ihipStream_tbEUlT_E_NS1_11comp_targetILNS1_3genE0ELNS1_11target_archE4294967295ELNS1_3gpuE0ELNS1_3repE0EEENS1_30default_config_static_selectorELNS0_4arch9wavefront6targetE0EEEvSK_.has_dyn_sized_stack, 0
	.set _ZN7rocprim17ROCPRIM_400000_NS6detail17trampoline_kernelINS0_14default_configENS1_36segmented_radix_sort_config_selectorIflEEZNS1_25segmented_radix_sort_implIS3_Lb1EPKfPfPKlPlN2at6native12_GLOBAL__N_18offset_tEEE10hipError_tPvRmT1_PNSt15iterator_traitsISK_E10value_typeET2_T3_PNSL_ISQ_E10value_typeET4_jRbjT5_SW_jjP12ihipStream_tbEUlT_E_NS1_11comp_targetILNS1_3genE0ELNS1_11target_archE4294967295ELNS1_3gpuE0ELNS1_3repE0EEENS1_30default_config_static_selectorELNS0_4arch9wavefront6targetE0EEEvSK_.has_recursion, 0
	.set _ZN7rocprim17ROCPRIM_400000_NS6detail17trampoline_kernelINS0_14default_configENS1_36segmented_radix_sort_config_selectorIflEEZNS1_25segmented_radix_sort_implIS3_Lb1EPKfPfPKlPlN2at6native12_GLOBAL__N_18offset_tEEE10hipError_tPvRmT1_PNSt15iterator_traitsISK_E10value_typeET2_T3_PNSL_ISQ_E10value_typeET4_jRbjT5_SW_jjP12ihipStream_tbEUlT_E_NS1_11comp_targetILNS1_3genE0ELNS1_11target_archE4294967295ELNS1_3gpuE0ELNS1_3repE0EEENS1_30default_config_static_selectorELNS0_4arch9wavefront6targetE0EEEvSK_.has_indirect_call, 0
	.section	.AMDGPU.csdata,"",@progbits
; Kernel info:
; codeLenInByte = 0
; TotalNumSgprs: 0
; NumVgprs: 0
; ScratchSize: 0
; MemoryBound: 0
; FloatMode: 240
; IeeeMode: 1
; LDSByteSize: 0 bytes/workgroup (compile time only)
; SGPRBlocks: 0
; VGPRBlocks: 0
; NumSGPRsForWavesPerEU: 1
; NumVGPRsForWavesPerEU: 1
; Occupancy: 16
; WaveLimiterHint : 0
; COMPUTE_PGM_RSRC2:SCRATCH_EN: 0
; COMPUTE_PGM_RSRC2:USER_SGPR: 6
; COMPUTE_PGM_RSRC2:TRAP_HANDLER: 0
; COMPUTE_PGM_RSRC2:TGID_X_EN: 1
; COMPUTE_PGM_RSRC2:TGID_Y_EN: 0
; COMPUTE_PGM_RSRC2:TGID_Z_EN: 0
; COMPUTE_PGM_RSRC2:TIDIG_COMP_CNT: 0
	.section	.text._ZN7rocprim17ROCPRIM_400000_NS6detail17trampoline_kernelINS0_14default_configENS1_36segmented_radix_sort_config_selectorIflEEZNS1_25segmented_radix_sort_implIS3_Lb1EPKfPfPKlPlN2at6native12_GLOBAL__N_18offset_tEEE10hipError_tPvRmT1_PNSt15iterator_traitsISK_E10value_typeET2_T3_PNSL_ISQ_E10value_typeET4_jRbjT5_SW_jjP12ihipStream_tbEUlT_E_NS1_11comp_targetILNS1_3genE5ELNS1_11target_archE942ELNS1_3gpuE9ELNS1_3repE0EEENS1_30default_config_static_selectorELNS0_4arch9wavefront6targetE0EEEvSK_,"axG",@progbits,_ZN7rocprim17ROCPRIM_400000_NS6detail17trampoline_kernelINS0_14default_configENS1_36segmented_radix_sort_config_selectorIflEEZNS1_25segmented_radix_sort_implIS3_Lb1EPKfPfPKlPlN2at6native12_GLOBAL__N_18offset_tEEE10hipError_tPvRmT1_PNSt15iterator_traitsISK_E10value_typeET2_T3_PNSL_ISQ_E10value_typeET4_jRbjT5_SW_jjP12ihipStream_tbEUlT_E_NS1_11comp_targetILNS1_3genE5ELNS1_11target_archE942ELNS1_3gpuE9ELNS1_3repE0EEENS1_30default_config_static_selectorELNS0_4arch9wavefront6targetE0EEEvSK_,comdat
	.globl	_ZN7rocprim17ROCPRIM_400000_NS6detail17trampoline_kernelINS0_14default_configENS1_36segmented_radix_sort_config_selectorIflEEZNS1_25segmented_radix_sort_implIS3_Lb1EPKfPfPKlPlN2at6native12_GLOBAL__N_18offset_tEEE10hipError_tPvRmT1_PNSt15iterator_traitsISK_E10value_typeET2_T3_PNSL_ISQ_E10value_typeET4_jRbjT5_SW_jjP12ihipStream_tbEUlT_E_NS1_11comp_targetILNS1_3genE5ELNS1_11target_archE942ELNS1_3gpuE9ELNS1_3repE0EEENS1_30default_config_static_selectorELNS0_4arch9wavefront6targetE0EEEvSK_ ; -- Begin function _ZN7rocprim17ROCPRIM_400000_NS6detail17trampoline_kernelINS0_14default_configENS1_36segmented_radix_sort_config_selectorIflEEZNS1_25segmented_radix_sort_implIS3_Lb1EPKfPfPKlPlN2at6native12_GLOBAL__N_18offset_tEEE10hipError_tPvRmT1_PNSt15iterator_traitsISK_E10value_typeET2_T3_PNSL_ISQ_E10value_typeET4_jRbjT5_SW_jjP12ihipStream_tbEUlT_E_NS1_11comp_targetILNS1_3genE5ELNS1_11target_archE942ELNS1_3gpuE9ELNS1_3repE0EEENS1_30default_config_static_selectorELNS0_4arch9wavefront6targetE0EEEvSK_
	.p2align	8
	.type	_ZN7rocprim17ROCPRIM_400000_NS6detail17trampoline_kernelINS0_14default_configENS1_36segmented_radix_sort_config_selectorIflEEZNS1_25segmented_radix_sort_implIS3_Lb1EPKfPfPKlPlN2at6native12_GLOBAL__N_18offset_tEEE10hipError_tPvRmT1_PNSt15iterator_traitsISK_E10value_typeET2_T3_PNSL_ISQ_E10value_typeET4_jRbjT5_SW_jjP12ihipStream_tbEUlT_E_NS1_11comp_targetILNS1_3genE5ELNS1_11target_archE942ELNS1_3gpuE9ELNS1_3repE0EEENS1_30default_config_static_selectorELNS0_4arch9wavefront6targetE0EEEvSK_,@function
_ZN7rocprim17ROCPRIM_400000_NS6detail17trampoline_kernelINS0_14default_configENS1_36segmented_radix_sort_config_selectorIflEEZNS1_25segmented_radix_sort_implIS3_Lb1EPKfPfPKlPlN2at6native12_GLOBAL__N_18offset_tEEE10hipError_tPvRmT1_PNSt15iterator_traitsISK_E10value_typeET2_T3_PNSL_ISQ_E10value_typeET4_jRbjT5_SW_jjP12ihipStream_tbEUlT_E_NS1_11comp_targetILNS1_3genE5ELNS1_11target_archE942ELNS1_3gpuE9ELNS1_3repE0EEENS1_30default_config_static_selectorELNS0_4arch9wavefront6targetE0EEEvSK_: ; @_ZN7rocprim17ROCPRIM_400000_NS6detail17trampoline_kernelINS0_14default_configENS1_36segmented_radix_sort_config_selectorIflEEZNS1_25segmented_radix_sort_implIS3_Lb1EPKfPfPKlPlN2at6native12_GLOBAL__N_18offset_tEEE10hipError_tPvRmT1_PNSt15iterator_traitsISK_E10value_typeET2_T3_PNSL_ISQ_E10value_typeET4_jRbjT5_SW_jjP12ihipStream_tbEUlT_E_NS1_11comp_targetILNS1_3genE5ELNS1_11target_archE942ELNS1_3gpuE9ELNS1_3repE0EEENS1_30default_config_static_selectorELNS0_4arch9wavefront6targetE0EEEvSK_
; %bb.0:
	.section	.rodata,"a",@progbits
	.p2align	6, 0x0
	.amdhsa_kernel _ZN7rocprim17ROCPRIM_400000_NS6detail17trampoline_kernelINS0_14default_configENS1_36segmented_radix_sort_config_selectorIflEEZNS1_25segmented_radix_sort_implIS3_Lb1EPKfPfPKlPlN2at6native12_GLOBAL__N_18offset_tEEE10hipError_tPvRmT1_PNSt15iterator_traitsISK_E10value_typeET2_T3_PNSL_ISQ_E10value_typeET4_jRbjT5_SW_jjP12ihipStream_tbEUlT_E_NS1_11comp_targetILNS1_3genE5ELNS1_11target_archE942ELNS1_3gpuE9ELNS1_3repE0EEENS1_30default_config_static_selectorELNS0_4arch9wavefront6targetE0EEEvSK_
		.amdhsa_group_segment_fixed_size 0
		.amdhsa_private_segment_fixed_size 0
		.amdhsa_kernarg_size 96
		.amdhsa_user_sgpr_count 6
		.amdhsa_user_sgpr_private_segment_buffer 1
		.amdhsa_user_sgpr_dispatch_ptr 0
		.amdhsa_user_sgpr_queue_ptr 0
		.amdhsa_user_sgpr_kernarg_segment_ptr 1
		.amdhsa_user_sgpr_dispatch_id 0
		.amdhsa_user_sgpr_flat_scratch_init 0
		.amdhsa_user_sgpr_private_segment_size 0
		.amdhsa_wavefront_size32 1
		.amdhsa_uses_dynamic_stack 0
		.amdhsa_system_sgpr_private_segment_wavefront_offset 0
		.amdhsa_system_sgpr_workgroup_id_x 1
		.amdhsa_system_sgpr_workgroup_id_y 0
		.amdhsa_system_sgpr_workgroup_id_z 0
		.amdhsa_system_sgpr_workgroup_info 0
		.amdhsa_system_vgpr_workitem_id 0
		.amdhsa_next_free_vgpr 1
		.amdhsa_next_free_sgpr 1
		.amdhsa_reserve_vcc 0
		.amdhsa_reserve_flat_scratch 0
		.amdhsa_float_round_mode_32 0
		.amdhsa_float_round_mode_16_64 0
		.amdhsa_float_denorm_mode_32 3
		.amdhsa_float_denorm_mode_16_64 3
		.amdhsa_dx10_clamp 1
		.amdhsa_ieee_mode 1
		.amdhsa_fp16_overflow 0
		.amdhsa_workgroup_processor_mode 1
		.amdhsa_memory_ordered 1
		.amdhsa_forward_progress 1
		.amdhsa_shared_vgpr_count 0
		.amdhsa_exception_fp_ieee_invalid_op 0
		.amdhsa_exception_fp_denorm_src 0
		.amdhsa_exception_fp_ieee_div_zero 0
		.amdhsa_exception_fp_ieee_overflow 0
		.amdhsa_exception_fp_ieee_underflow 0
		.amdhsa_exception_fp_ieee_inexact 0
		.amdhsa_exception_int_div_zero 0
	.end_amdhsa_kernel
	.section	.text._ZN7rocprim17ROCPRIM_400000_NS6detail17trampoline_kernelINS0_14default_configENS1_36segmented_radix_sort_config_selectorIflEEZNS1_25segmented_radix_sort_implIS3_Lb1EPKfPfPKlPlN2at6native12_GLOBAL__N_18offset_tEEE10hipError_tPvRmT1_PNSt15iterator_traitsISK_E10value_typeET2_T3_PNSL_ISQ_E10value_typeET4_jRbjT5_SW_jjP12ihipStream_tbEUlT_E_NS1_11comp_targetILNS1_3genE5ELNS1_11target_archE942ELNS1_3gpuE9ELNS1_3repE0EEENS1_30default_config_static_selectorELNS0_4arch9wavefront6targetE0EEEvSK_,"axG",@progbits,_ZN7rocprim17ROCPRIM_400000_NS6detail17trampoline_kernelINS0_14default_configENS1_36segmented_radix_sort_config_selectorIflEEZNS1_25segmented_radix_sort_implIS3_Lb1EPKfPfPKlPlN2at6native12_GLOBAL__N_18offset_tEEE10hipError_tPvRmT1_PNSt15iterator_traitsISK_E10value_typeET2_T3_PNSL_ISQ_E10value_typeET4_jRbjT5_SW_jjP12ihipStream_tbEUlT_E_NS1_11comp_targetILNS1_3genE5ELNS1_11target_archE942ELNS1_3gpuE9ELNS1_3repE0EEENS1_30default_config_static_selectorELNS0_4arch9wavefront6targetE0EEEvSK_,comdat
.Lfunc_end1318:
	.size	_ZN7rocprim17ROCPRIM_400000_NS6detail17trampoline_kernelINS0_14default_configENS1_36segmented_radix_sort_config_selectorIflEEZNS1_25segmented_radix_sort_implIS3_Lb1EPKfPfPKlPlN2at6native12_GLOBAL__N_18offset_tEEE10hipError_tPvRmT1_PNSt15iterator_traitsISK_E10value_typeET2_T3_PNSL_ISQ_E10value_typeET4_jRbjT5_SW_jjP12ihipStream_tbEUlT_E_NS1_11comp_targetILNS1_3genE5ELNS1_11target_archE942ELNS1_3gpuE9ELNS1_3repE0EEENS1_30default_config_static_selectorELNS0_4arch9wavefront6targetE0EEEvSK_, .Lfunc_end1318-_ZN7rocprim17ROCPRIM_400000_NS6detail17trampoline_kernelINS0_14default_configENS1_36segmented_radix_sort_config_selectorIflEEZNS1_25segmented_radix_sort_implIS3_Lb1EPKfPfPKlPlN2at6native12_GLOBAL__N_18offset_tEEE10hipError_tPvRmT1_PNSt15iterator_traitsISK_E10value_typeET2_T3_PNSL_ISQ_E10value_typeET4_jRbjT5_SW_jjP12ihipStream_tbEUlT_E_NS1_11comp_targetILNS1_3genE5ELNS1_11target_archE942ELNS1_3gpuE9ELNS1_3repE0EEENS1_30default_config_static_selectorELNS0_4arch9wavefront6targetE0EEEvSK_
                                        ; -- End function
	.set _ZN7rocprim17ROCPRIM_400000_NS6detail17trampoline_kernelINS0_14default_configENS1_36segmented_radix_sort_config_selectorIflEEZNS1_25segmented_radix_sort_implIS3_Lb1EPKfPfPKlPlN2at6native12_GLOBAL__N_18offset_tEEE10hipError_tPvRmT1_PNSt15iterator_traitsISK_E10value_typeET2_T3_PNSL_ISQ_E10value_typeET4_jRbjT5_SW_jjP12ihipStream_tbEUlT_E_NS1_11comp_targetILNS1_3genE5ELNS1_11target_archE942ELNS1_3gpuE9ELNS1_3repE0EEENS1_30default_config_static_selectorELNS0_4arch9wavefront6targetE0EEEvSK_.num_vgpr, 0
	.set _ZN7rocprim17ROCPRIM_400000_NS6detail17trampoline_kernelINS0_14default_configENS1_36segmented_radix_sort_config_selectorIflEEZNS1_25segmented_radix_sort_implIS3_Lb1EPKfPfPKlPlN2at6native12_GLOBAL__N_18offset_tEEE10hipError_tPvRmT1_PNSt15iterator_traitsISK_E10value_typeET2_T3_PNSL_ISQ_E10value_typeET4_jRbjT5_SW_jjP12ihipStream_tbEUlT_E_NS1_11comp_targetILNS1_3genE5ELNS1_11target_archE942ELNS1_3gpuE9ELNS1_3repE0EEENS1_30default_config_static_selectorELNS0_4arch9wavefront6targetE0EEEvSK_.num_agpr, 0
	.set _ZN7rocprim17ROCPRIM_400000_NS6detail17trampoline_kernelINS0_14default_configENS1_36segmented_radix_sort_config_selectorIflEEZNS1_25segmented_radix_sort_implIS3_Lb1EPKfPfPKlPlN2at6native12_GLOBAL__N_18offset_tEEE10hipError_tPvRmT1_PNSt15iterator_traitsISK_E10value_typeET2_T3_PNSL_ISQ_E10value_typeET4_jRbjT5_SW_jjP12ihipStream_tbEUlT_E_NS1_11comp_targetILNS1_3genE5ELNS1_11target_archE942ELNS1_3gpuE9ELNS1_3repE0EEENS1_30default_config_static_selectorELNS0_4arch9wavefront6targetE0EEEvSK_.numbered_sgpr, 0
	.set _ZN7rocprim17ROCPRIM_400000_NS6detail17trampoline_kernelINS0_14default_configENS1_36segmented_radix_sort_config_selectorIflEEZNS1_25segmented_radix_sort_implIS3_Lb1EPKfPfPKlPlN2at6native12_GLOBAL__N_18offset_tEEE10hipError_tPvRmT1_PNSt15iterator_traitsISK_E10value_typeET2_T3_PNSL_ISQ_E10value_typeET4_jRbjT5_SW_jjP12ihipStream_tbEUlT_E_NS1_11comp_targetILNS1_3genE5ELNS1_11target_archE942ELNS1_3gpuE9ELNS1_3repE0EEENS1_30default_config_static_selectorELNS0_4arch9wavefront6targetE0EEEvSK_.num_named_barrier, 0
	.set _ZN7rocprim17ROCPRIM_400000_NS6detail17trampoline_kernelINS0_14default_configENS1_36segmented_radix_sort_config_selectorIflEEZNS1_25segmented_radix_sort_implIS3_Lb1EPKfPfPKlPlN2at6native12_GLOBAL__N_18offset_tEEE10hipError_tPvRmT1_PNSt15iterator_traitsISK_E10value_typeET2_T3_PNSL_ISQ_E10value_typeET4_jRbjT5_SW_jjP12ihipStream_tbEUlT_E_NS1_11comp_targetILNS1_3genE5ELNS1_11target_archE942ELNS1_3gpuE9ELNS1_3repE0EEENS1_30default_config_static_selectorELNS0_4arch9wavefront6targetE0EEEvSK_.private_seg_size, 0
	.set _ZN7rocprim17ROCPRIM_400000_NS6detail17trampoline_kernelINS0_14default_configENS1_36segmented_radix_sort_config_selectorIflEEZNS1_25segmented_radix_sort_implIS3_Lb1EPKfPfPKlPlN2at6native12_GLOBAL__N_18offset_tEEE10hipError_tPvRmT1_PNSt15iterator_traitsISK_E10value_typeET2_T3_PNSL_ISQ_E10value_typeET4_jRbjT5_SW_jjP12ihipStream_tbEUlT_E_NS1_11comp_targetILNS1_3genE5ELNS1_11target_archE942ELNS1_3gpuE9ELNS1_3repE0EEENS1_30default_config_static_selectorELNS0_4arch9wavefront6targetE0EEEvSK_.uses_vcc, 0
	.set _ZN7rocprim17ROCPRIM_400000_NS6detail17trampoline_kernelINS0_14default_configENS1_36segmented_radix_sort_config_selectorIflEEZNS1_25segmented_radix_sort_implIS3_Lb1EPKfPfPKlPlN2at6native12_GLOBAL__N_18offset_tEEE10hipError_tPvRmT1_PNSt15iterator_traitsISK_E10value_typeET2_T3_PNSL_ISQ_E10value_typeET4_jRbjT5_SW_jjP12ihipStream_tbEUlT_E_NS1_11comp_targetILNS1_3genE5ELNS1_11target_archE942ELNS1_3gpuE9ELNS1_3repE0EEENS1_30default_config_static_selectorELNS0_4arch9wavefront6targetE0EEEvSK_.uses_flat_scratch, 0
	.set _ZN7rocprim17ROCPRIM_400000_NS6detail17trampoline_kernelINS0_14default_configENS1_36segmented_radix_sort_config_selectorIflEEZNS1_25segmented_radix_sort_implIS3_Lb1EPKfPfPKlPlN2at6native12_GLOBAL__N_18offset_tEEE10hipError_tPvRmT1_PNSt15iterator_traitsISK_E10value_typeET2_T3_PNSL_ISQ_E10value_typeET4_jRbjT5_SW_jjP12ihipStream_tbEUlT_E_NS1_11comp_targetILNS1_3genE5ELNS1_11target_archE942ELNS1_3gpuE9ELNS1_3repE0EEENS1_30default_config_static_selectorELNS0_4arch9wavefront6targetE0EEEvSK_.has_dyn_sized_stack, 0
	.set _ZN7rocprim17ROCPRIM_400000_NS6detail17trampoline_kernelINS0_14default_configENS1_36segmented_radix_sort_config_selectorIflEEZNS1_25segmented_radix_sort_implIS3_Lb1EPKfPfPKlPlN2at6native12_GLOBAL__N_18offset_tEEE10hipError_tPvRmT1_PNSt15iterator_traitsISK_E10value_typeET2_T3_PNSL_ISQ_E10value_typeET4_jRbjT5_SW_jjP12ihipStream_tbEUlT_E_NS1_11comp_targetILNS1_3genE5ELNS1_11target_archE942ELNS1_3gpuE9ELNS1_3repE0EEENS1_30default_config_static_selectorELNS0_4arch9wavefront6targetE0EEEvSK_.has_recursion, 0
	.set _ZN7rocprim17ROCPRIM_400000_NS6detail17trampoline_kernelINS0_14default_configENS1_36segmented_radix_sort_config_selectorIflEEZNS1_25segmented_radix_sort_implIS3_Lb1EPKfPfPKlPlN2at6native12_GLOBAL__N_18offset_tEEE10hipError_tPvRmT1_PNSt15iterator_traitsISK_E10value_typeET2_T3_PNSL_ISQ_E10value_typeET4_jRbjT5_SW_jjP12ihipStream_tbEUlT_E_NS1_11comp_targetILNS1_3genE5ELNS1_11target_archE942ELNS1_3gpuE9ELNS1_3repE0EEENS1_30default_config_static_selectorELNS0_4arch9wavefront6targetE0EEEvSK_.has_indirect_call, 0
	.section	.AMDGPU.csdata,"",@progbits
; Kernel info:
; codeLenInByte = 0
; TotalNumSgprs: 0
; NumVgprs: 0
; ScratchSize: 0
; MemoryBound: 0
; FloatMode: 240
; IeeeMode: 1
; LDSByteSize: 0 bytes/workgroup (compile time only)
; SGPRBlocks: 0
; VGPRBlocks: 0
; NumSGPRsForWavesPerEU: 1
; NumVGPRsForWavesPerEU: 1
; Occupancy: 16
; WaveLimiterHint : 0
; COMPUTE_PGM_RSRC2:SCRATCH_EN: 0
; COMPUTE_PGM_RSRC2:USER_SGPR: 6
; COMPUTE_PGM_RSRC2:TRAP_HANDLER: 0
; COMPUTE_PGM_RSRC2:TGID_X_EN: 1
; COMPUTE_PGM_RSRC2:TGID_Y_EN: 0
; COMPUTE_PGM_RSRC2:TGID_Z_EN: 0
; COMPUTE_PGM_RSRC2:TIDIG_COMP_CNT: 0
	.section	.text._ZN7rocprim17ROCPRIM_400000_NS6detail17trampoline_kernelINS0_14default_configENS1_36segmented_radix_sort_config_selectorIflEEZNS1_25segmented_radix_sort_implIS3_Lb1EPKfPfPKlPlN2at6native12_GLOBAL__N_18offset_tEEE10hipError_tPvRmT1_PNSt15iterator_traitsISK_E10value_typeET2_T3_PNSL_ISQ_E10value_typeET4_jRbjT5_SW_jjP12ihipStream_tbEUlT_E_NS1_11comp_targetILNS1_3genE4ELNS1_11target_archE910ELNS1_3gpuE8ELNS1_3repE0EEENS1_30default_config_static_selectorELNS0_4arch9wavefront6targetE0EEEvSK_,"axG",@progbits,_ZN7rocprim17ROCPRIM_400000_NS6detail17trampoline_kernelINS0_14default_configENS1_36segmented_radix_sort_config_selectorIflEEZNS1_25segmented_radix_sort_implIS3_Lb1EPKfPfPKlPlN2at6native12_GLOBAL__N_18offset_tEEE10hipError_tPvRmT1_PNSt15iterator_traitsISK_E10value_typeET2_T3_PNSL_ISQ_E10value_typeET4_jRbjT5_SW_jjP12ihipStream_tbEUlT_E_NS1_11comp_targetILNS1_3genE4ELNS1_11target_archE910ELNS1_3gpuE8ELNS1_3repE0EEENS1_30default_config_static_selectorELNS0_4arch9wavefront6targetE0EEEvSK_,comdat
	.globl	_ZN7rocprim17ROCPRIM_400000_NS6detail17trampoline_kernelINS0_14default_configENS1_36segmented_radix_sort_config_selectorIflEEZNS1_25segmented_radix_sort_implIS3_Lb1EPKfPfPKlPlN2at6native12_GLOBAL__N_18offset_tEEE10hipError_tPvRmT1_PNSt15iterator_traitsISK_E10value_typeET2_T3_PNSL_ISQ_E10value_typeET4_jRbjT5_SW_jjP12ihipStream_tbEUlT_E_NS1_11comp_targetILNS1_3genE4ELNS1_11target_archE910ELNS1_3gpuE8ELNS1_3repE0EEENS1_30default_config_static_selectorELNS0_4arch9wavefront6targetE0EEEvSK_ ; -- Begin function _ZN7rocprim17ROCPRIM_400000_NS6detail17trampoline_kernelINS0_14default_configENS1_36segmented_radix_sort_config_selectorIflEEZNS1_25segmented_radix_sort_implIS3_Lb1EPKfPfPKlPlN2at6native12_GLOBAL__N_18offset_tEEE10hipError_tPvRmT1_PNSt15iterator_traitsISK_E10value_typeET2_T3_PNSL_ISQ_E10value_typeET4_jRbjT5_SW_jjP12ihipStream_tbEUlT_E_NS1_11comp_targetILNS1_3genE4ELNS1_11target_archE910ELNS1_3gpuE8ELNS1_3repE0EEENS1_30default_config_static_selectorELNS0_4arch9wavefront6targetE0EEEvSK_
	.p2align	8
	.type	_ZN7rocprim17ROCPRIM_400000_NS6detail17trampoline_kernelINS0_14default_configENS1_36segmented_radix_sort_config_selectorIflEEZNS1_25segmented_radix_sort_implIS3_Lb1EPKfPfPKlPlN2at6native12_GLOBAL__N_18offset_tEEE10hipError_tPvRmT1_PNSt15iterator_traitsISK_E10value_typeET2_T3_PNSL_ISQ_E10value_typeET4_jRbjT5_SW_jjP12ihipStream_tbEUlT_E_NS1_11comp_targetILNS1_3genE4ELNS1_11target_archE910ELNS1_3gpuE8ELNS1_3repE0EEENS1_30default_config_static_selectorELNS0_4arch9wavefront6targetE0EEEvSK_,@function
_ZN7rocprim17ROCPRIM_400000_NS6detail17trampoline_kernelINS0_14default_configENS1_36segmented_radix_sort_config_selectorIflEEZNS1_25segmented_radix_sort_implIS3_Lb1EPKfPfPKlPlN2at6native12_GLOBAL__N_18offset_tEEE10hipError_tPvRmT1_PNSt15iterator_traitsISK_E10value_typeET2_T3_PNSL_ISQ_E10value_typeET4_jRbjT5_SW_jjP12ihipStream_tbEUlT_E_NS1_11comp_targetILNS1_3genE4ELNS1_11target_archE910ELNS1_3gpuE8ELNS1_3repE0EEENS1_30default_config_static_selectorELNS0_4arch9wavefront6targetE0EEEvSK_: ; @_ZN7rocprim17ROCPRIM_400000_NS6detail17trampoline_kernelINS0_14default_configENS1_36segmented_radix_sort_config_selectorIflEEZNS1_25segmented_radix_sort_implIS3_Lb1EPKfPfPKlPlN2at6native12_GLOBAL__N_18offset_tEEE10hipError_tPvRmT1_PNSt15iterator_traitsISK_E10value_typeET2_T3_PNSL_ISQ_E10value_typeET4_jRbjT5_SW_jjP12ihipStream_tbEUlT_E_NS1_11comp_targetILNS1_3genE4ELNS1_11target_archE910ELNS1_3gpuE8ELNS1_3repE0EEENS1_30default_config_static_selectorELNS0_4arch9wavefront6targetE0EEEvSK_
; %bb.0:
	.section	.rodata,"a",@progbits
	.p2align	6, 0x0
	.amdhsa_kernel _ZN7rocprim17ROCPRIM_400000_NS6detail17trampoline_kernelINS0_14default_configENS1_36segmented_radix_sort_config_selectorIflEEZNS1_25segmented_radix_sort_implIS3_Lb1EPKfPfPKlPlN2at6native12_GLOBAL__N_18offset_tEEE10hipError_tPvRmT1_PNSt15iterator_traitsISK_E10value_typeET2_T3_PNSL_ISQ_E10value_typeET4_jRbjT5_SW_jjP12ihipStream_tbEUlT_E_NS1_11comp_targetILNS1_3genE4ELNS1_11target_archE910ELNS1_3gpuE8ELNS1_3repE0EEENS1_30default_config_static_selectorELNS0_4arch9wavefront6targetE0EEEvSK_
		.amdhsa_group_segment_fixed_size 0
		.amdhsa_private_segment_fixed_size 0
		.amdhsa_kernarg_size 96
		.amdhsa_user_sgpr_count 6
		.amdhsa_user_sgpr_private_segment_buffer 1
		.amdhsa_user_sgpr_dispatch_ptr 0
		.amdhsa_user_sgpr_queue_ptr 0
		.amdhsa_user_sgpr_kernarg_segment_ptr 1
		.amdhsa_user_sgpr_dispatch_id 0
		.amdhsa_user_sgpr_flat_scratch_init 0
		.amdhsa_user_sgpr_private_segment_size 0
		.amdhsa_wavefront_size32 1
		.amdhsa_uses_dynamic_stack 0
		.amdhsa_system_sgpr_private_segment_wavefront_offset 0
		.amdhsa_system_sgpr_workgroup_id_x 1
		.amdhsa_system_sgpr_workgroup_id_y 0
		.amdhsa_system_sgpr_workgroup_id_z 0
		.amdhsa_system_sgpr_workgroup_info 0
		.amdhsa_system_vgpr_workitem_id 0
		.amdhsa_next_free_vgpr 1
		.amdhsa_next_free_sgpr 1
		.amdhsa_reserve_vcc 0
		.amdhsa_reserve_flat_scratch 0
		.amdhsa_float_round_mode_32 0
		.amdhsa_float_round_mode_16_64 0
		.amdhsa_float_denorm_mode_32 3
		.amdhsa_float_denorm_mode_16_64 3
		.amdhsa_dx10_clamp 1
		.amdhsa_ieee_mode 1
		.amdhsa_fp16_overflow 0
		.amdhsa_workgroup_processor_mode 1
		.amdhsa_memory_ordered 1
		.amdhsa_forward_progress 1
		.amdhsa_shared_vgpr_count 0
		.amdhsa_exception_fp_ieee_invalid_op 0
		.amdhsa_exception_fp_denorm_src 0
		.amdhsa_exception_fp_ieee_div_zero 0
		.amdhsa_exception_fp_ieee_overflow 0
		.amdhsa_exception_fp_ieee_underflow 0
		.amdhsa_exception_fp_ieee_inexact 0
		.amdhsa_exception_int_div_zero 0
	.end_amdhsa_kernel
	.section	.text._ZN7rocprim17ROCPRIM_400000_NS6detail17trampoline_kernelINS0_14default_configENS1_36segmented_radix_sort_config_selectorIflEEZNS1_25segmented_radix_sort_implIS3_Lb1EPKfPfPKlPlN2at6native12_GLOBAL__N_18offset_tEEE10hipError_tPvRmT1_PNSt15iterator_traitsISK_E10value_typeET2_T3_PNSL_ISQ_E10value_typeET4_jRbjT5_SW_jjP12ihipStream_tbEUlT_E_NS1_11comp_targetILNS1_3genE4ELNS1_11target_archE910ELNS1_3gpuE8ELNS1_3repE0EEENS1_30default_config_static_selectorELNS0_4arch9wavefront6targetE0EEEvSK_,"axG",@progbits,_ZN7rocprim17ROCPRIM_400000_NS6detail17trampoline_kernelINS0_14default_configENS1_36segmented_radix_sort_config_selectorIflEEZNS1_25segmented_radix_sort_implIS3_Lb1EPKfPfPKlPlN2at6native12_GLOBAL__N_18offset_tEEE10hipError_tPvRmT1_PNSt15iterator_traitsISK_E10value_typeET2_T3_PNSL_ISQ_E10value_typeET4_jRbjT5_SW_jjP12ihipStream_tbEUlT_E_NS1_11comp_targetILNS1_3genE4ELNS1_11target_archE910ELNS1_3gpuE8ELNS1_3repE0EEENS1_30default_config_static_selectorELNS0_4arch9wavefront6targetE0EEEvSK_,comdat
.Lfunc_end1319:
	.size	_ZN7rocprim17ROCPRIM_400000_NS6detail17trampoline_kernelINS0_14default_configENS1_36segmented_radix_sort_config_selectorIflEEZNS1_25segmented_radix_sort_implIS3_Lb1EPKfPfPKlPlN2at6native12_GLOBAL__N_18offset_tEEE10hipError_tPvRmT1_PNSt15iterator_traitsISK_E10value_typeET2_T3_PNSL_ISQ_E10value_typeET4_jRbjT5_SW_jjP12ihipStream_tbEUlT_E_NS1_11comp_targetILNS1_3genE4ELNS1_11target_archE910ELNS1_3gpuE8ELNS1_3repE0EEENS1_30default_config_static_selectorELNS0_4arch9wavefront6targetE0EEEvSK_, .Lfunc_end1319-_ZN7rocprim17ROCPRIM_400000_NS6detail17trampoline_kernelINS0_14default_configENS1_36segmented_radix_sort_config_selectorIflEEZNS1_25segmented_radix_sort_implIS3_Lb1EPKfPfPKlPlN2at6native12_GLOBAL__N_18offset_tEEE10hipError_tPvRmT1_PNSt15iterator_traitsISK_E10value_typeET2_T3_PNSL_ISQ_E10value_typeET4_jRbjT5_SW_jjP12ihipStream_tbEUlT_E_NS1_11comp_targetILNS1_3genE4ELNS1_11target_archE910ELNS1_3gpuE8ELNS1_3repE0EEENS1_30default_config_static_selectorELNS0_4arch9wavefront6targetE0EEEvSK_
                                        ; -- End function
	.set _ZN7rocprim17ROCPRIM_400000_NS6detail17trampoline_kernelINS0_14default_configENS1_36segmented_radix_sort_config_selectorIflEEZNS1_25segmented_radix_sort_implIS3_Lb1EPKfPfPKlPlN2at6native12_GLOBAL__N_18offset_tEEE10hipError_tPvRmT1_PNSt15iterator_traitsISK_E10value_typeET2_T3_PNSL_ISQ_E10value_typeET4_jRbjT5_SW_jjP12ihipStream_tbEUlT_E_NS1_11comp_targetILNS1_3genE4ELNS1_11target_archE910ELNS1_3gpuE8ELNS1_3repE0EEENS1_30default_config_static_selectorELNS0_4arch9wavefront6targetE0EEEvSK_.num_vgpr, 0
	.set _ZN7rocprim17ROCPRIM_400000_NS6detail17trampoline_kernelINS0_14default_configENS1_36segmented_radix_sort_config_selectorIflEEZNS1_25segmented_radix_sort_implIS3_Lb1EPKfPfPKlPlN2at6native12_GLOBAL__N_18offset_tEEE10hipError_tPvRmT1_PNSt15iterator_traitsISK_E10value_typeET2_T3_PNSL_ISQ_E10value_typeET4_jRbjT5_SW_jjP12ihipStream_tbEUlT_E_NS1_11comp_targetILNS1_3genE4ELNS1_11target_archE910ELNS1_3gpuE8ELNS1_3repE0EEENS1_30default_config_static_selectorELNS0_4arch9wavefront6targetE0EEEvSK_.num_agpr, 0
	.set _ZN7rocprim17ROCPRIM_400000_NS6detail17trampoline_kernelINS0_14default_configENS1_36segmented_radix_sort_config_selectorIflEEZNS1_25segmented_radix_sort_implIS3_Lb1EPKfPfPKlPlN2at6native12_GLOBAL__N_18offset_tEEE10hipError_tPvRmT1_PNSt15iterator_traitsISK_E10value_typeET2_T3_PNSL_ISQ_E10value_typeET4_jRbjT5_SW_jjP12ihipStream_tbEUlT_E_NS1_11comp_targetILNS1_3genE4ELNS1_11target_archE910ELNS1_3gpuE8ELNS1_3repE0EEENS1_30default_config_static_selectorELNS0_4arch9wavefront6targetE0EEEvSK_.numbered_sgpr, 0
	.set _ZN7rocprim17ROCPRIM_400000_NS6detail17trampoline_kernelINS0_14default_configENS1_36segmented_radix_sort_config_selectorIflEEZNS1_25segmented_radix_sort_implIS3_Lb1EPKfPfPKlPlN2at6native12_GLOBAL__N_18offset_tEEE10hipError_tPvRmT1_PNSt15iterator_traitsISK_E10value_typeET2_T3_PNSL_ISQ_E10value_typeET4_jRbjT5_SW_jjP12ihipStream_tbEUlT_E_NS1_11comp_targetILNS1_3genE4ELNS1_11target_archE910ELNS1_3gpuE8ELNS1_3repE0EEENS1_30default_config_static_selectorELNS0_4arch9wavefront6targetE0EEEvSK_.num_named_barrier, 0
	.set _ZN7rocprim17ROCPRIM_400000_NS6detail17trampoline_kernelINS0_14default_configENS1_36segmented_radix_sort_config_selectorIflEEZNS1_25segmented_radix_sort_implIS3_Lb1EPKfPfPKlPlN2at6native12_GLOBAL__N_18offset_tEEE10hipError_tPvRmT1_PNSt15iterator_traitsISK_E10value_typeET2_T3_PNSL_ISQ_E10value_typeET4_jRbjT5_SW_jjP12ihipStream_tbEUlT_E_NS1_11comp_targetILNS1_3genE4ELNS1_11target_archE910ELNS1_3gpuE8ELNS1_3repE0EEENS1_30default_config_static_selectorELNS0_4arch9wavefront6targetE0EEEvSK_.private_seg_size, 0
	.set _ZN7rocprim17ROCPRIM_400000_NS6detail17trampoline_kernelINS0_14default_configENS1_36segmented_radix_sort_config_selectorIflEEZNS1_25segmented_radix_sort_implIS3_Lb1EPKfPfPKlPlN2at6native12_GLOBAL__N_18offset_tEEE10hipError_tPvRmT1_PNSt15iterator_traitsISK_E10value_typeET2_T3_PNSL_ISQ_E10value_typeET4_jRbjT5_SW_jjP12ihipStream_tbEUlT_E_NS1_11comp_targetILNS1_3genE4ELNS1_11target_archE910ELNS1_3gpuE8ELNS1_3repE0EEENS1_30default_config_static_selectorELNS0_4arch9wavefront6targetE0EEEvSK_.uses_vcc, 0
	.set _ZN7rocprim17ROCPRIM_400000_NS6detail17trampoline_kernelINS0_14default_configENS1_36segmented_radix_sort_config_selectorIflEEZNS1_25segmented_radix_sort_implIS3_Lb1EPKfPfPKlPlN2at6native12_GLOBAL__N_18offset_tEEE10hipError_tPvRmT1_PNSt15iterator_traitsISK_E10value_typeET2_T3_PNSL_ISQ_E10value_typeET4_jRbjT5_SW_jjP12ihipStream_tbEUlT_E_NS1_11comp_targetILNS1_3genE4ELNS1_11target_archE910ELNS1_3gpuE8ELNS1_3repE0EEENS1_30default_config_static_selectorELNS0_4arch9wavefront6targetE0EEEvSK_.uses_flat_scratch, 0
	.set _ZN7rocprim17ROCPRIM_400000_NS6detail17trampoline_kernelINS0_14default_configENS1_36segmented_radix_sort_config_selectorIflEEZNS1_25segmented_radix_sort_implIS3_Lb1EPKfPfPKlPlN2at6native12_GLOBAL__N_18offset_tEEE10hipError_tPvRmT1_PNSt15iterator_traitsISK_E10value_typeET2_T3_PNSL_ISQ_E10value_typeET4_jRbjT5_SW_jjP12ihipStream_tbEUlT_E_NS1_11comp_targetILNS1_3genE4ELNS1_11target_archE910ELNS1_3gpuE8ELNS1_3repE0EEENS1_30default_config_static_selectorELNS0_4arch9wavefront6targetE0EEEvSK_.has_dyn_sized_stack, 0
	.set _ZN7rocprim17ROCPRIM_400000_NS6detail17trampoline_kernelINS0_14default_configENS1_36segmented_radix_sort_config_selectorIflEEZNS1_25segmented_radix_sort_implIS3_Lb1EPKfPfPKlPlN2at6native12_GLOBAL__N_18offset_tEEE10hipError_tPvRmT1_PNSt15iterator_traitsISK_E10value_typeET2_T3_PNSL_ISQ_E10value_typeET4_jRbjT5_SW_jjP12ihipStream_tbEUlT_E_NS1_11comp_targetILNS1_3genE4ELNS1_11target_archE910ELNS1_3gpuE8ELNS1_3repE0EEENS1_30default_config_static_selectorELNS0_4arch9wavefront6targetE0EEEvSK_.has_recursion, 0
	.set _ZN7rocprim17ROCPRIM_400000_NS6detail17trampoline_kernelINS0_14default_configENS1_36segmented_radix_sort_config_selectorIflEEZNS1_25segmented_radix_sort_implIS3_Lb1EPKfPfPKlPlN2at6native12_GLOBAL__N_18offset_tEEE10hipError_tPvRmT1_PNSt15iterator_traitsISK_E10value_typeET2_T3_PNSL_ISQ_E10value_typeET4_jRbjT5_SW_jjP12ihipStream_tbEUlT_E_NS1_11comp_targetILNS1_3genE4ELNS1_11target_archE910ELNS1_3gpuE8ELNS1_3repE0EEENS1_30default_config_static_selectorELNS0_4arch9wavefront6targetE0EEEvSK_.has_indirect_call, 0
	.section	.AMDGPU.csdata,"",@progbits
; Kernel info:
; codeLenInByte = 0
; TotalNumSgprs: 0
; NumVgprs: 0
; ScratchSize: 0
; MemoryBound: 0
; FloatMode: 240
; IeeeMode: 1
; LDSByteSize: 0 bytes/workgroup (compile time only)
; SGPRBlocks: 0
; VGPRBlocks: 0
; NumSGPRsForWavesPerEU: 1
; NumVGPRsForWavesPerEU: 1
; Occupancy: 16
; WaveLimiterHint : 0
; COMPUTE_PGM_RSRC2:SCRATCH_EN: 0
; COMPUTE_PGM_RSRC2:USER_SGPR: 6
; COMPUTE_PGM_RSRC2:TRAP_HANDLER: 0
; COMPUTE_PGM_RSRC2:TGID_X_EN: 1
; COMPUTE_PGM_RSRC2:TGID_Y_EN: 0
; COMPUTE_PGM_RSRC2:TGID_Z_EN: 0
; COMPUTE_PGM_RSRC2:TIDIG_COMP_CNT: 0
	.section	.text._ZN7rocprim17ROCPRIM_400000_NS6detail17trampoline_kernelINS0_14default_configENS1_36segmented_radix_sort_config_selectorIflEEZNS1_25segmented_radix_sort_implIS3_Lb1EPKfPfPKlPlN2at6native12_GLOBAL__N_18offset_tEEE10hipError_tPvRmT1_PNSt15iterator_traitsISK_E10value_typeET2_T3_PNSL_ISQ_E10value_typeET4_jRbjT5_SW_jjP12ihipStream_tbEUlT_E_NS1_11comp_targetILNS1_3genE3ELNS1_11target_archE908ELNS1_3gpuE7ELNS1_3repE0EEENS1_30default_config_static_selectorELNS0_4arch9wavefront6targetE0EEEvSK_,"axG",@progbits,_ZN7rocprim17ROCPRIM_400000_NS6detail17trampoline_kernelINS0_14default_configENS1_36segmented_radix_sort_config_selectorIflEEZNS1_25segmented_radix_sort_implIS3_Lb1EPKfPfPKlPlN2at6native12_GLOBAL__N_18offset_tEEE10hipError_tPvRmT1_PNSt15iterator_traitsISK_E10value_typeET2_T3_PNSL_ISQ_E10value_typeET4_jRbjT5_SW_jjP12ihipStream_tbEUlT_E_NS1_11comp_targetILNS1_3genE3ELNS1_11target_archE908ELNS1_3gpuE7ELNS1_3repE0EEENS1_30default_config_static_selectorELNS0_4arch9wavefront6targetE0EEEvSK_,comdat
	.globl	_ZN7rocprim17ROCPRIM_400000_NS6detail17trampoline_kernelINS0_14default_configENS1_36segmented_radix_sort_config_selectorIflEEZNS1_25segmented_radix_sort_implIS3_Lb1EPKfPfPKlPlN2at6native12_GLOBAL__N_18offset_tEEE10hipError_tPvRmT1_PNSt15iterator_traitsISK_E10value_typeET2_T3_PNSL_ISQ_E10value_typeET4_jRbjT5_SW_jjP12ihipStream_tbEUlT_E_NS1_11comp_targetILNS1_3genE3ELNS1_11target_archE908ELNS1_3gpuE7ELNS1_3repE0EEENS1_30default_config_static_selectorELNS0_4arch9wavefront6targetE0EEEvSK_ ; -- Begin function _ZN7rocprim17ROCPRIM_400000_NS6detail17trampoline_kernelINS0_14default_configENS1_36segmented_radix_sort_config_selectorIflEEZNS1_25segmented_radix_sort_implIS3_Lb1EPKfPfPKlPlN2at6native12_GLOBAL__N_18offset_tEEE10hipError_tPvRmT1_PNSt15iterator_traitsISK_E10value_typeET2_T3_PNSL_ISQ_E10value_typeET4_jRbjT5_SW_jjP12ihipStream_tbEUlT_E_NS1_11comp_targetILNS1_3genE3ELNS1_11target_archE908ELNS1_3gpuE7ELNS1_3repE0EEENS1_30default_config_static_selectorELNS0_4arch9wavefront6targetE0EEEvSK_
	.p2align	8
	.type	_ZN7rocprim17ROCPRIM_400000_NS6detail17trampoline_kernelINS0_14default_configENS1_36segmented_radix_sort_config_selectorIflEEZNS1_25segmented_radix_sort_implIS3_Lb1EPKfPfPKlPlN2at6native12_GLOBAL__N_18offset_tEEE10hipError_tPvRmT1_PNSt15iterator_traitsISK_E10value_typeET2_T3_PNSL_ISQ_E10value_typeET4_jRbjT5_SW_jjP12ihipStream_tbEUlT_E_NS1_11comp_targetILNS1_3genE3ELNS1_11target_archE908ELNS1_3gpuE7ELNS1_3repE0EEENS1_30default_config_static_selectorELNS0_4arch9wavefront6targetE0EEEvSK_,@function
_ZN7rocprim17ROCPRIM_400000_NS6detail17trampoline_kernelINS0_14default_configENS1_36segmented_radix_sort_config_selectorIflEEZNS1_25segmented_radix_sort_implIS3_Lb1EPKfPfPKlPlN2at6native12_GLOBAL__N_18offset_tEEE10hipError_tPvRmT1_PNSt15iterator_traitsISK_E10value_typeET2_T3_PNSL_ISQ_E10value_typeET4_jRbjT5_SW_jjP12ihipStream_tbEUlT_E_NS1_11comp_targetILNS1_3genE3ELNS1_11target_archE908ELNS1_3gpuE7ELNS1_3repE0EEENS1_30default_config_static_selectorELNS0_4arch9wavefront6targetE0EEEvSK_: ; @_ZN7rocprim17ROCPRIM_400000_NS6detail17trampoline_kernelINS0_14default_configENS1_36segmented_radix_sort_config_selectorIflEEZNS1_25segmented_radix_sort_implIS3_Lb1EPKfPfPKlPlN2at6native12_GLOBAL__N_18offset_tEEE10hipError_tPvRmT1_PNSt15iterator_traitsISK_E10value_typeET2_T3_PNSL_ISQ_E10value_typeET4_jRbjT5_SW_jjP12ihipStream_tbEUlT_E_NS1_11comp_targetILNS1_3genE3ELNS1_11target_archE908ELNS1_3gpuE7ELNS1_3repE0EEENS1_30default_config_static_selectorELNS0_4arch9wavefront6targetE0EEEvSK_
; %bb.0:
	.section	.rodata,"a",@progbits
	.p2align	6, 0x0
	.amdhsa_kernel _ZN7rocprim17ROCPRIM_400000_NS6detail17trampoline_kernelINS0_14default_configENS1_36segmented_radix_sort_config_selectorIflEEZNS1_25segmented_radix_sort_implIS3_Lb1EPKfPfPKlPlN2at6native12_GLOBAL__N_18offset_tEEE10hipError_tPvRmT1_PNSt15iterator_traitsISK_E10value_typeET2_T3_PNSL_ISQ_E10value_typeET4_jRbjT5_SW_jjP12ihipStream_tbEUlT_E_NS1_11comp_targetILNS1_3genE3ELNS1_11target_archE908ELNS1_3gpuE7ELNS1_3repE0EEENS1_30default_config_static_selectorELNS0_4arch9wavefront6targetE0EEEvSK_
		.amdhsa_group_segment_fixed_size 0
		.amdhsa_private_segment_fixed_size 0
		.amdhsa_kernarg_size 96
		.amdhsa_user_sgpr_count 6
		.amdhsa_user_sgpr_private_segment_buffer 1
		.amdhsa_user_sgpr_dispatch_ptr 0
		.amdhsa_user_sgpr_queue_ptr 0
		.amdhsa_user_sgpr_kernarg_segment_ptr 1
		.amdhsa_user_sgpr_dispatch_id 0
		.amdhsa_user_sgpr_flat_scratch_init 0
		.amdhsa_user_sgpr_private_segment_size 0
		.amdhsa_wavefront_size32 1
		.amdhsa_uses_dynamic_stack 0
		.amdhsa_system_sgpr_private_segment_wavefront_offset 0
		.amdhsa_system_sgpr_workgroup_id_x 1
		.amdhsa_system_sgpr_workgroup_id_y 0
		.amdhsa_system_sgpr_workgroup_id_z 0
		.amdhsa_system_sgpr_workgroup_info 0
		.amdhsa_system_vgpr_workitem_id 0
		.amdhsa_next_free_vgpr 1
		.amdhsa_next_free_sgpr 1
		.amdhsa_reserve_vcc 0
		.amdhsa_reserve_flat_scratch 0
		.amdhsa_float_round_mode_32 0
		.amdhsa_float_round_mode_16_64 0
		.amdhsa_float_denorm_mode_32 3
		.amdhsa_float_denorm_mode_16_64 3
		.amdhsa_dx10_clamp 1
		.amdhsa_ieee_mode 1
		.amdhsa_fp16_overflow 0
		.amdhsa_workgroup_processor_mode 1
		.amdhsa_memory_ordered 1
		.amdhsa_forward_progress 1
		.amdhsa_shared_vgpr_count 0
		.amdhsa_exception_fp_ieee_invalid_op 0
		.amdhsa_exception_fp_denorm_src 0
		.amdhsa_exception_fp_ieee_div_zero 0
		.amdhsa_exception_fp_ieee_overflow 0
		.amdhsa_exception_fp_ieee_underflow 0
		.amdhsa_exception_fp_ieee_inexact 0
		.amdhsa_exception_int_div_zero 0
	.end_amdhsa_kernel
	.section	.text._ZN7rocprim17ROCPRIM_400000_NS6detail17trampoline_kernelINS0_14default_configENS1_36segmented_radix_sort_config_selectorIflEEZNS1_25segmented_radix_sort_implIS3_Lb1EPKfPfPKlPlN2at6native12_GLOBAL__N_18offset_tEEE10hipError_tPvRmT1_PNSt15iterator_traitsISK_E10value_typeET2_T3_PNSL_ISQ_E10value_typeET4_jRbjT5_SW_jjP12ihipStream_tbEUlT_E_NS1_11comp_targetILNS1_3genE3ELNS1_11target_archE908ELNS1_3gpuE7ELNS1_3repE0EEENS1_30default_config_static_selectorELNS0_4arch9wavefront6targetE0EEEvSK_,"axG",@progbits,_ZN7rocprim17ROCPRIM_400000_NS6detail17trampoline_kernelINS0_14default_configENS1_36segmented_radix_sort_config_selectorIflEEZNS1_25segmented_radix_sort_implIS3_Lb1EPKfPfPKlPlN2at6native12_GLOBAL__N_18offset_tEEE10hipError_tPvRmT1_PNSt15iterator_traitsISK_E10value_typeET2_T3_PNSL_ISQ_E10value_typeET4_jRbjT5_SW_jjP12ihipStream_tbEUlT_E_NS1_11comp_targetILNS1_3genE3ELNS1_11target_archE908ELNS1_3gpuE7ELNS1_3repE0EEENS1_30default_config_static_selectorELNS0_4arch9wavefront6targetE0EEEvSK_,comdat
.Lfunc_end1320:
	.size	_ZN7rocprim17ROCPRIM_400000_NS6detail17trampoline_kernelINS0_14default_configENS1_36segmented_radix_sort_config_selectorIflEEZNS1_25segmented_radix_sort_implIS3_Lb1EPKfPfPKlPlN2at6native12_GLOBAL__N_18offset_tEEE10hipError_tPvRmT1_PNSt15iterator_traitsISK_E10value_typeET2_T3_PNSL_ISQ_E10value_typeET4_jRbjT5_SW_jjP12ihipStream_tbEUlT_E_NS1_11comp_targetILNS1_3genE3ELNS1_11target_archE908ELNS1_3gpuE7ELNS1_3repE0EEENS1_30default_config_static_selectorELNS0_4arch9wavefront6targetE0EEEvSK_, .Lfunc_end1320-_ZN7rocprim17ROCPRIM_400000_NS6detail17trampoline_kernelINS0_14default_configENS1_36segmented_radix_sort_config_selectorIflEEZNS1_25segmented_radix_sort_implIS3_Lb1EPKfPfPKlPlN2at6native12_GLOBAL__N_18offset_tEEE10hipError_tPvRmT1_PNSt15iterator_traitsISK_E10value_typeET2_T3_PNSL_ISQ_E10value_typeET4_jRbjT5_SW_jjP12ihipStream_tbEUlT_E_NS1_11comp_targetILNS1_3genE3ELNS1_11target_archE908ELNS1_3gpuE7ELNS1_3repE0EEENS1_30default_config_static_selectorELNS0_4arch9wavefront6targetE0EEEvSK_
                                        ; -- End function
	.set _ZN7rocprim17ROCPRIM_400000_NS6detail17trampoline_kernelINS0_14default_configENS1_36segmented_radix_sort_config_selectorIflEEZNS1_25segmented_radix_sort_implIS3_Lb1EPKfPfPKlPlN2at6native12_GLOBAL__N_18offset_tEEE10hipError_tPvRmT1_PNSt15iterator_traitsISK_E10value_typeET2_T3_PNSL_ISQ_E10value_typeET4_jRbjT5_SW_jjP12ihipStream_tbEUlT_E_NS1_11comp_targetILNS1_3genE3ELNS1_11target_archE908ELNS1_3gpuE7ELNS1_3repE0EEENS1_30default_config_static_selectorELNS0_4arch9wavefront6targetE0EEEvSK_.num_vgpr, 0
	.set _ZN7rocprim17ROCPRIM_400000_NS6detail17trampoline_kernelINS0_14default_configENS1_36segmented_radix_sort_config_selectorIflEEZNS1_25segmented_radix_sort_implIS3_Lb1EPKfPfPKlPlN2at6native12_GLOBAL__N_18offset_tEEE10hipError_tPvRmT1_PNSt15iterator_traitsISK_E10value_typeET2_T3_PNSL_ISQ_E10value_typeET4_jRbjT5_SW_jjP12ihipStream_tbEUlT_E_NS1_11comp_targetILNS1_3genE3ELNS1_11target_archE908ELNS1_3gpuE7ELNS1_3repE0EEENS1_30default_config_static_selectorELNS0_4arch9wavefront6targetE0EEEvSK_.num_agpr, 0
	.set _ZN7rocprim17ROCPRIM_400000_NS6detail17trampoline_kernelINS0_14default_configENS1_36segmented_radix_sort_config_selectorIflEEZNS1_25segmented_radix_sort_implIS3_Lb1EPKfPfPKlPlN2at6native12_GLOBAL__N_18offset_tEEE10hipError_tPvRmT1_PNSt15iterator_traitsISK_E10value_typeET2_T3_PNSL_ISQ_E10value_typeET4_jRbjT5_SW_jjP12ihipStream_tbEUlT_E_NS1_11comp_targetILNS1_3genE3ELNS1_11target_archE908ELNS1_3gpuE7ELNS1_3repE0EEENS1_30default_config_static_selectorELNS0_4arch9wavefront6targetE0EEEvSK_.numbered_sgpr, 0
	.set _ZN7rocprim17ROCPRIM_400000_NS6detail17trampoline_kernelINS0_14default_configENS1_36segmented_radix_sort_config_selectorIflEEZNS1_25segmented_radix_sort_implIS3_Lb1EPKfPfPKlPlN2at6native12_GLOBAL__N_18offset_tEEE10hipError_tPvRmT1_PNSt15iterator_traitsISK_E10value_typeET2_T3_PNSL_ISQ_E10value_typeET4_jRbjT5_SW_jjP12ihipStream_tbEUlT_E_NS1_11comp_targetILNS1_3genE3ELNS1_11target_archE908ELNS1_3gpuE7ELNS1_3repE0EEENS1_30default_config_static_selectorELNS0_4arch9wavefront6targetE0EEEvSK_.num_named_barrier, 0
	.set _ZN7rocprim17ROCPRIM_400000_NS6detail17trampoline_kernelINS0_14default_configENS1_36segmented_radix_sort_config_selectorIflEEZNS1_25segmented_radix_sort_implIS3_Lb1EPKfPfPKlPlN2at6native12_GLOBAL__N_18offset_tEEE10hipError_tPvRmT1_PNSt15iterator_traitsISK_E10value_typeET2_T3_PNSL_ISQ_E10value_typeET4_jRbjT5_SW_jjP12ihipStream_tbEUlT_E_NS1_11comp_targetILNS1_3genE3ELNS1_11target_archE908ELNS1_3gpuE7ELNS1_3repE0EEENS1_30default_config_static_selectorELNS0_4arch9wavefront6targetE0EEEvSK_.private_seg_size, 0
	.set _ZN7rocprim17ROCPRIM_400000_NS6detail17trampoline_kernelINS0_14default_configENS1_36segmented_radix_sort_config_selectorIflEEZNS1_25segmented_radix_sort_implIS3_Lb1EPKfPfPKlPlN2at6native12_GLOBAL__N_18offset_tEEE10hipError_tPvRmT1_PNSt15iterator_traitsISK_E10value_typeET2_T3_PNSL_ISQ_E10value_typeET4_jRbjT5_SW_jjP12ihipStream_tbEUlT_E_NS1_11comp_targetILNS1_3genE3ELNS1_11target_archE908ELNS1_3gpuE7ELNS1_3repE0EEENS1_30default_config_static_selectorELNS0_4arch9wavefront6targetE0EEEvSK_.uses_vcc, 0
	.set _ZN7rocprim17ROCPRIM_400000_NS6detail17trampoline_kernelINS0_14default_configENS1_36segmented_radix_sort_config_selectorIflEEZNS1_25segmented_radix_sort_implIS3_Lb1EPKfPfPKlPlN2at6native12_GLOBAL__N_18offset_tEEE10hipError_tPvRmT1_PNSt15iterator_traitsISK_E10value_typeET2_T3_PNSL_ISQ_E10value_typeET4_jRbjT5_SW_jjP12ihipStream_tbEUlT_E_NS1_11comp_targetILNS1_3genE3ELNS1_11target_archE908ELNS1_3gpuE7ELNS1_3repE0EEENS1_30default_config_static_selectorELNS0_4arch9wavefront6targetE0EEEvSK_.uses_flat_scratch, 0
	.set _ZN7rocprim17ROCPRIM_400000_NS6detail17trampoline_kernelINS0_14default_configENS1_36segmented_radix_sort_config_selectorIflEEZNS1_25segmented_radix_sort_implIS3_Lb1EPKfPfPKlPlN2at6native12_GLOBAL__N_18offset_tEEE10hipError_tPvRmT1_PNSt15iterator_traitsISK_E10value_typeET2_T3_PNSL_ISQ_E10value_typeET4_jRbjT5_SW_jjP12ihipStream_tbEUlT_E_NS1_11comp_targetILNS1_3genE3ELNS1_11target_archE908ELNS1_3gpuE7ELNS1_3repE0EEENS1_30default_config_static_selectorELNS0_4arch9wavefront6targetE0EEEvSK_.has_dyn_sized_stack, 0
	.set _ZN7rocprim17ROCPRIM_400000_NS6detail17trampoline_kernelINS0_14default_configENS1_36segmented_radix_sort_config_selectorIflEEZNS1_25segmented_radix_sort_implIS3_Lb1EPKfPfPKlPlN2at6native12_GLOBAL__N_18offset_tEEE10hipError_tPvRmT1_PNSt15iterator_traitsISK_E10value_typeET2_T3_PNSL_ISQ_E10value_typeET4_jRbjT5_SW_jjP12ihipStream_tbEUlT_E_NS1_11comp_targetILNS1_3genE3ELNS1_11target_archE908ELNS1_3gpuE7ELNS1_3repE0EEENS1_30default_config_static_selectorELNS0_4arch9wavefront6targetE0EEEvSK_.has_recursion, 0
	.set _ZN7rocprim17ROCPRIM_400000_NS6detail17trampoline_kernelINS0_14default_configENS1_36segmented_radix_sort_config_selectorIflEEZNS1_25segmented_radix_sort_implIS3_Lb1EPKfPfPKlPlN2at6native12_GLOBAL__N_18offset_tEEE10hipError_tPvRmT1_PNSt15iterator_traitsISK_E10value_typeET2_T3_PNSL_ISQ_E10value_typeET4_jRbjT5_SW_jjP12ihipStream_tbEUlT_E_NS1_11comp_targetILNS1_3genE3ELNS1_11target_archE908ELNS1_3gpuE7ELNS1_3repE0EEENS1_30default_config_static_selectorELNS0_4arch9wavefront6targetE0EEEvSK_.has_indirect_call, 0
	.section	.AMDGPU.csdata,"",@progbits
; Kernel info:
; codeLenInByte = 0
; TotalNumSgprs: 0
; NumVgprs: 0
; ScratchSize: 0
; MemoryBound: 0
; FloatMode: 240
; IeeeMode: 1
; LDSByteSize: 0 bytes/workgroup (compile time only)
; SGPRBlocks: 0
; VGPRBlocks: 0
; NumSGPRsForWavesPerEU: 1
; NumVGPRsForWavesPerEU: 1
; Occupancy: 16
; WaveLimiterHint : 0
; COMPUTE_PGM_RSRC2:SCRATCH_EN: 0
; COMPUTE_PGM_RSRC2:USER_SGPR: 6
; COMPUTE_PGM_RSRC2:TRAP_HANDLER: 0
; COMPUTE_PGM_RSRC2:TGID_X_EN: 1
; COMPUTE_PGM_RSRC2:TGID_Y_EN: 0
; COMPUTE_PGM_RSRC2:TGID_Z_EN: 0
; COMPUTE_PGM_RSRC2:TIDIG_COMP_CNT: 0
	.section	.text._ZN7rocprim17ROCPRIM_400000_NS6detail17trampoline_kernelINS0_14default_configENS1_36segmented_radix_sort_config_selectorIflEEZNS1_25segmented_radix_sort_implIS3_Lb1EPKfPfPKlPlN2at6native12_GLOBAL__N_18offset_tEEE10hipError_tPvRmT1_PNSt15iterator_traitsISK_E10value_typeET2_T3_PNSL_ISQ_E10value_typeET4_jRbjT5_SW_jjP12ihipStream_tbEUlT_E_NS1_11comp_targetILNS1_3genE2ELNS1_11target_archE906ELNS1_3gpuE6ELNS1_3repE0EEENS1_30default_config_static_selectorELNS0_4arch9wavefront6targetE0EEEvSK_,"axG",@progbits,_ZN7rocprim17ROCPRIM_400000_NS6detail17trampoline_kernelINS0_14default_configENS1_36segmented_radix_sort_config_selectorIflEEZNS1_25segmented_radix_sort_implIS3_Lb1EPKfPfPKlPlN2at6native12_GLOBAL__N_18offset_tEEE10hipError_tPvRmT1_PNSt15iterator_traitsISK_E10value_typeET2_T3_PNSL_ISQ_E10value_typeET4_jRbjT5_SW_jjP12ihipStream_tbEUlT_E_NS1_11comp_targetILNS1_3genE2ELNS1_11target_archE906ELNS1_3gpuE6ELNS1_3repE0EEENS1_30default_config_static_selectorELNS0_4arch9wavefront6targetE0EEEvSK_,comdat
	.globl	_ZN7rocprim17ROCPRIM_400000_NS6detail17trampoline_kernelINS0_14default_configENS1_36segmented_radix_sort_config_selectorIflEEZNS1_25segmented_radix_sort_implIS3_Lb1EPKfPfPKlPlN2at6native12_GLOBAL__N_18offset_tEEE10hipError_tPvRmT1_PNSt15iterator_traitsISK_E10value_typeET2_T3_PNSL_ISQ_E10value_typeET4_jRbjT5_SW_jjP12ihipStream_tbEUlT_E_NS1_11comp_targetILNS1_3genE2ELNS1_11target_archE906ELNS1_3gpuE6ELNS1_3repE0EEENS1_30default_config_static_selectorELNS0_4arch9wavefront6targetE0EEEvSK_ ; -- Begin function _ZN7rocprim17ROCPRIM_400000_NS6detail17trampoline_kernelINS0_14default_configENS1_36segmented_radix_sort_config_selectorIflEEZNS1_25segmented_radix_sort_implIS3_Lb1EPKfPfPKlPlN2at6native12_GLOBAL__N_18offset_tEEE10hipError_tPvRmT1_PNSt15iterator_traitsISK_E10value_typeET2_T3_PNSL_ISQ_E10value_typeET4_jRbjT5_SW_jjP12ihipStream_tbEUlT_E_NS1_11comp_targetILNS1_3genE2ELNS1_11target_archE906ELNS1_3gpuE6ELNS1_3repE0EEENS1_30default_config_static_selectorELNS0_4arch9wavefront6targetE0EEEvSK_
	.p2align	8
	.type	_ZN7rocprim17ROCPRIM_400000_NS6detail17trampoline_kernelINS0_14default_configENS1_36segmented_radix_sort_config_selectorIflEEZNS1_25segmented_radix_sort_implIS3_Lb1EPKfPfPKlPlN2at6native12_GLOBAL__N_18offset_tEEE10hipError_tPvRmT1_PNSt15iterator_traitsISK_E10value_typeET2_T3_PNSL_ISQ_E10value_typeET4_jRbjT5_SW_jjP12ihipStream_tbEUlT_E_NS1_11comp_targetILNS1_3genE2ELNS1_11target_archE906ELNS1_3gpuE6ELNS1_3repE0EEENS1_30default_config_static_selectorELNS0_4arch9wavefront6targetE0EEEvSK_,@function
_ZN7rocprim17ROCPRIM_400000_NS6detail17trampoline_kernelINS0_14default_configENS1_36segmented_radix_sort_config_selectorIflEEZNS1_25segmented_radix_sort_implIS3_Lb1EPKfPfPKlPlN2at6native12_GLOBAL__N_18offset_tEEE10hipError_tPvRmT1_PNSt15iterator_traitsISK_E10value_typeET2_T3_PNSL_ISQ_E10value_typeET4_jRbjT5_SW_jjP12ihipStream_tbEUlT_E_NS1_11comp_targetILNS1_3genE2ELNS1_11target_archE906ELNS1_3gpuE6ELNS1_3repE0EEENS1_30default_config_static_selectorELNS0_4arch9wavefront6targetE0EEEvSK_: ; @_ZN7rocprim17ROCPRIM_400000_NS6detail17trampoline_kernelINS0_14default_configENS1_36segmented_radix_sort_config_selectorIflEEZNS1_25segmented_radix_sort_implIS3_Lb1EPKfPfPKlPlN2at6native12_GLOBAL__N_18offset_tEEE10hipError_tPvRmT1_PNSt15iterator_traitsISK_E10value_typeET2_T3_PNSL_ISQ_E10value_typeET4_jRbjT5_SW_jjP12ihipStream_tbEUlT_E_NS1_11comp_targetILNS1_3genE2ELNS1_11target_archE906ELNS1_3gpuE6ELNS1_3repE0EEENS1_30default_config_static_selectorELNS0_4arch9wavefront6targetE0EEEvSK_
; %bb.0:
	.section	.rodata,"a",@progbits
	.p2align	6, 0x0
	.amdhsa_kernel _ZN7rocprim17ROCPRIM_400000_NS6detail17trampoline_kernelINS0_14default_configENS1_36segmented_radix_sort_config_selectorIflEEZNS1_25segmented_radix_sort_implIS3_Lb1EPKfPfPKlPlN2at6native12_GLOBAL__N_18offset_tEEE10hipError_tPvRmT1_PNSt15iterator_traitsISK_E10value_typeET2_T3_PNSL_ISQ_E10value_typeET4_jRbjT5_SW_jjP12ihipStream_tbEUlT_E_NS1_11comp_targetILNS1_3genE2ELNS1_11target_archE906ELNS1_3gpuE6ELNS1_3repE0EEENS1_30default_config_static_selectorELNS0_4arch9wavefront6targetE0EEEvSK_
		.amdhsa_group_segment_fixed_size 0
		.amdhsa_private_segment_fixed_size 0
		.amdhsa_kernarg_size 96
		.amdhsa_user_sgpr_count 6
		.amdhsa_user_sgpr_private_segment_buffer 1
		.amdhsa_user_sgpr_dispatch_ptr 0
		.amdhsa_user_sgpr_queue_ptr 0
		.amdhsa_user_sgpr_kernarg_segment_ptr 1
		.amdhsa_user_sgpr_dispatch_id 0
		.amdhsa_user_sgpr_flat_scratch_init 0
		.amdhsa_user_sgpr_private_segment_size 0
		.amdhsa_wavefront_size32 1
		.amdhsa_uses_dynamic_stack 0
		.amdhsa_system_sgpr_private_segment_wavefront_offset 0
		.amdhsa_system_sgpr_workgroup_id_x 1
		.amdhsa_system_sgpr_workgroup_id_y 0
		.amdhsa_system_sgpr_workgroup_id_z 0
		.amdhsa_system_sgpr_workgroup_info 0
		.amdhsa_system_vgpr_workitem_id 0
		.amdhsa_next_free_vgpr 1
		.amdhsa_next_free_sgpr 1
		.amdhsa_reserve_vcc 0
		.amdhsa_reserve_flat_scratch 0
		.amdhsa_float_round_mode_32 0
		.amdhsa_float_round_mode_16_64 0
		.amdhsa_float_denorm_mode_32 3
		.amdhsa_float_denorm_mode_16_64 3
		.amdhsa_dx10_clamp 1
		.amdhsa_ieee_mode 1
		.amdhsa_fp16_overflow 0
		.amdhsa_workgroup_processor_mode 1
		.amdhsa_memory_ordered 1
		.amdhsa_forward_progress 1
		.amdhsa_shared_vgpr_count 0
		.amdhsa_exception_fp_ieee_invalid_op 0
		.amdhsa_exception_fp_denorm_src 0
		.amdhsa_exception_fp_ieee_div_zero 0
		.amdhsa_exception_fp_ieee_overflow 0
		.amdhsa_exception_fp_ieee_underflow 0
		.amdhsa_exception_fp_ieee_inexact 0
		.amdhsa_exception_int_div_zero 0
	.end_amdhsa_kernel
	.section	.text._ZN7rocprim17ROCPRIM_400000_NS6detail17trampoline_kernelINS0_14default_configENS1_36segmented_radix_sort_config_selectorIflEEZNS1_25segmented_radix_sort_implIS3_Lb1EPKfPfPKlPlN2at6native12_GLOBAL__N_18offset_tEEE10hipError_tPvRmT1_PNSt15iterator_traitsISK_E10value_typeET2_T3_PNSL_ISQ_E10value_typeET4_jRbjT5_SW_jjP12ihipStream_tbEUlT_E_NS1_11comp_targetILNS1_3genE2ELNS1_11target_archE906ELNS1_3gpuE6ELNS1_3repE0EEENS1_30default_config_static_selectorELNS0_4arch9wavefront6targetE0EEEvSK_,"axG",@progbits,_ZN7rocprim17ROCPRIM_400000_NS6detail17trampoline_kernelINS0_14default_configENS1_36segmented_radix_sort_config_selectorIflEEZNS1_25segmented_radix_sort_implIS3_Lb1EPKfPfPKlPlN2at6native12_GLOBAL__N_18offset_tEEE10hipError_tPvRmT1_PNSt15iterator_traitsISK_E10value_typeET2_T3_PNSL_ISQ_E10value_typeET4_jRbjT5_SW_jjP12ihipStream_tbEUlT_E_NS1_11comp_targetILNS1_3genE2ELNS1_11target_archE906ELNS1_3gpuE6ELNS1_3repE0EEENS1_30default_config_static_selectorELNS0_4arch9wavefront6targetE0EEEvSK_,comdat
.Lfunc_end1321:
	.size	_ZN7rocprim17ROCPRIM_400000_NS6detail17trampoline_kernelINS0_14default_configENS1_36segmented_radix_sort_config_selectorIflEEZNS1_25segmented_radix_sort_implIS3_Lb1EPKfPfPKlPlN2at6native12_GLOBAL__N_18offset_tEEE10hipError_tPvRmT1_PNSt15iterator_traitsISK_E10value_typeET2_T3_PNSL_ISQ_E10value_typeET4_jRbjT5_SW_jjP12ihipStream_tbEUlT_E_NS1_11comp_targetILNS1_3genE2ELNS1_11target_archE906ELNS1_3gpuE6ELNS1_3repE0EEENS1_30default_config_static_selectorELNS0_4arch9wavefront6targetE0EEEvSK_, .Lfunc_end1321-_ZN7rocprim17ROCPRIM_400000_NS6detail17trampoline_kernelINS0_14default_configENS1_36segmented_radix_sort_config_selectorIflEEZNS1_25segmented_radix_sort_implIS3_Lb1EPKfPfPKlPlN2at6native12_GLOBAL__N_18offset_tEEE10hipError_tPvRmT1_PNSt15iterator_traitsISK_E10value_typeET2_T3_PNSL_ISQ_E10value_typeET4_jRbjT5_SW_jjP12ihipStream_tbEUlT_E_NS1_11comp_targetILNS1_3genE2ELNS1_11target_archE906ELNS1_3gpuE6ELNS1_3repE0EEENS1_30default_config_static_selectorELNS0_4arch9wavefront6targetE0EEEvSK_
                                        ; -- End function
	.set _ZN7rocprim17ROCPRIM_400000_NS6detail17trampoline_kernelINS0_14default_configENS1_36segmented_radix_sort_config_selectorIflEEZNS1_25segmented_radix_sort_implIS3_Lb1EPKfPfPKlPlN2at6native12_GLOBAL__N_18offset_tEEE10hipError_tPvRmT1_PNSt15iterator_traitsISK_E10value_typeET2_T3_PNSL_ISQ_E10value_typeET4_jRbjT5_SW_jjP12ihipStream_tbEUlT_E_NS1_11comp_targetILNS1_3genE2ELNS1_11target_archE906ELNS1_3gpuE6ELNS1_3repE0EEENS1_30default_config_static_selectorELNS0_4arch9wavefront6targetE0EEEvSK_.num_vgpr, 0
	.set _ZN7rocprim17ROCPRIM_400000_NS6detail17trampoline_kernelINS0_14default_configENS1_36segmented_radix_sort_config_selectorIflEEZNS1_25segmented_radix_sort_implIS3_Lb1EPKfPfPKlPlN2at6native12_GLOBAL__N_18offset_tEEE10hipError_tPvRmT1_PNSt15iterator_traitsISK_E10value_typeET2_T3_PNSL_ISQ_E10value_typeET4_jRbjT5_SW_jjP12ihipStream_tbEUlT_E_NS1_11comp_targetILNS1_3genE2ELNS1_11target_archE906ELNS1_3gpuE6ELNS1_3repE0EEENS1_30default_config_static_selectorELNS0_4arch9wavefront6targetE0EEEvSK_.num_agpr, 0
	.set _ZN7rocprim17ROCPRIM_400000_NS6detail17trampoline_kernelINS0_14default_configENS1_36segmented_radix_sort_config_selectorIflEEZNS1_25segmented_radix_sort_implIS3_Lb1EPKfPfPKlPlN2at6native12_GLOBAL__N_18offset_tEEE10hipError_tPvRmT1_PNSt15iterator_traitsISK_E10value_typeET2_T3_PNSL_ISQ_E10value_typeET4_jRbjT5_SW_jjP12ihipStream_tbEUlT_E_NS1_11comp_targetILNS1_3genE2ELNS1_11target_archE906ELNS1_3gpuE6ELNS1_3repE0EEENS1_30default_config_static_selectorELNS0_4arch9wavefront6targetE0EEEvSK_.numbered_sgpr, 0
	.set _ZN7rocprim17ROCPRIM_400000_NS6detail17trampoline_kernelINS0_14default_configENS1_36segmented_radix_sort_config_selectorIflEEZNS1_25segmented_radix_sort_implIS3_Lb1EPKfPfPKlPlN2at6native12_GLOBAL__N_18offset_tEEE10hipError_tPvRmT1_PNSt15iterator_traitsISK_E10value_typeET2_T3_PNSL_ISQ_E10value_typeET4_jRbjT5_SW_jjP12ihipStream_tbEUlT_E_NS1_11comp_targetILNS1_3genE2ELNS1_11target_archE906ELNS1_3gpuE6ELNS1_3repE0EEENS1_30default_config_static_selectorELNS0_4arch9wavefront6targetE0EEEvSK_.num_named_barrier, 0
	.set _ZN7rocprim17ROCPRIM_400000_NS6detail17trampoline_kernelINS0_14default_configENS1_36segmented_radix_sort_config_selectorIflEEZNS1_25segmented_radix_sort_implIS3_Lb1EPKfPfPKlPlN2at6native12_GLOBAL__N_18offset_tEEE10hipError_tPvRmT1_PNSt15iterator_traitsISK_E10value_typeET2_T3_PNSL_ISQ_E10value_typeET4_jRbjT5_SW_jjP12ihipStream_tbEUlT_E_NS1_11comp_targetILNS1_3genE2ELNS1_11target_archE906ELNS1_3gpuE6ELNS1_3repE0EEENS1_30default_config_static_selectorELNS0_4arch9wavefront6targetE0EEEvSK_.private_seg_size, 0
	.set _ZN7rocprim17ROCPRIM_400000_NS6detail17trampoline_kernelINS0_14default_configENS1_36segmented_radix_sort_config_selectorIflEEZNS1_25segmented_radix_sort_implIS3_Lb1EPKfPfPKlPlN2at6native12_GLOBAL__N_18offset_tEEE10hipError_tPvRmT1_PNSt15iterator_traitsISK_E10value_typeET2_T3_PNSL_ISQ_E10value_typeET4_jRbjT5_SW_jjP12ihipStream_tbEUlT_E_NS1_11comp_targetILNS1_3genE2ELNS1_11target_archE906ELNS1_3gpuE6ELNS1_3repE0EEENS1_30default_config_static_selectorELNS0_4arch9wavefront6targetE0EEEvSK_.uses_vcc, 0
	.set _ZN7rocprim17ROCPRIM_400000_NS6detail17trampoline_kernelINS0_14default_configENS1_36segmented_radix_sort_config_selectorIflEEZNS1_25segmented_radix_sort_implIS3_Lb1EPKfPfPKlPlN2at6native12_GLOBAL__N_18offset_tEEE10hipError_tPvRmT1_PNSt15iterator_traitsISK_E10value_typeET2_T3_PNSL_ISQ_E10value_typeET4_jRbjT5_SW_jjP12ihipStream_tbEUlT_E_NS1_11comp_targetILNS1_3genE2ELNS1_11target_archE906ELNS1_3gpuE6ELNS1_3repE0EEENS1_30default_config_static_selectorELNS0_4arch9wavefront6targetE0EEEvSK_.uses_flat_scratch, 0
	.set _ZN7rocprim17ROCPRIM_400000_NS6detail17trampoline_kernelINS0_14default_configENS1_36segmented_radix_sort_config_selectorIflEEZNS1_25segmented_radix_sort_implIS3_Lb1EPKfPfPKlPlN2at6native12_GLOBAL__N_18offset_tEEE10hipError_tPvRmT1_PNSt15iterator_traitsISK_E10value_typeET2_T3_PNSL_ISQ_E10value_typeET4_jRbjT5_SW_jjP12ihipStream_tbEUlT_E_NS1_11comp_targetILNS1_3genE2ELNS1_11target_archE906ELNS1_3gpuE6ELNS1_3repE0EEENS1_30default_config_static_selectorELNS0_4arch9wavefront6targetE0EEEvSK_.has_dyn_sized_stack, 0
	.set _ZN7rocprim17ROCPRIM_400000_NS6detail17trampoline_kernelINS0_14default_configENS1_36segmented_radix_sort_config_selectorIflEEZNS1_25segmented_radix_sort_implIS3_Lb1EPKfPfPKlPlN2at6native12_GLOBAL__N_18offset_tEEE10hipError_tPvRmT1_PNSt15iterator_traitsISK_E10value_typeET2_T3_PNSL_ISQ_E10value_typeET4_jRbjT5_SW_jjP12ihipStream_tbEUlT_E_NS1_11comp_targetILNS1_3genE2ELNS1_11target_archE906ELNS1_3gpuE6ELNS1_3repE0EEENS1_30default_config_static_selectorELNS0_4arch9wavefront6targetE0EEEvSK_.has_recursion, 0
	.set _ZN7rocprim17ROCPRIM_400000_NS6detail17trampoline_kernelINS0_14default_configENS1_36segmented_radix_sort_config_selectorIflEEZNS1_25segmented_radix_sort_implIS3_Lb1EPKfPfPKlPlN2at6native12_GLOBAL__N_18offset_tEEE10hipError_tPvRmT1_PNSt15iterator_traitsISK_E10value_typeET2_T3_PNSL_ISQ_E10value_typeET4_jRbjT5_SW_jjP12ihipStream_tbEUlT_E_NS1_11comp_targetILNS1_3genE2ELNS1_11target_archE906ELNS1_3gpuE6ELNS1_3repE0EEENS1_30default_config_static_selectorELNS0_4arch9wavefront6targetE0EEEvSK_.has_indirect_call, 0
	.section	.AMDGPU.csdata,"",@progbits
; Kernel info:
; codeLenInByte = 0
; TotalNumSgprs: 0
; NumVgprs: 0
; ScratchSize: 0
; MemoryBound: 0
; FloatMode: 240
; IeeeMode: 1
; LDSByteSize: 0 bytes/workgroup (compile time only)
; SGPRBlocks: 0
; VGPRBlocks: 0
; NumSGPRsForWavesPerEU: 1
; NumVGPRsForWavesPerEU: 1
; Occupancy: 16
; WaveLimiterHint : 0
; COMPUTE_PGM_RSRC2:SCRATCH_EN: 0
; COMPUTE_PGM_RSRC2:USER_SGPR: 6
; COMPUTE_PGM_RSRC2:TRAP_HANDLER: 0
; COMPUTE_PGM_RSRC2:TGID_X_EN: 1
; COMPUTE_PGM_RSRC2:TGID_Y_EN: 0
; COMPUTE_PGM_RSRC2:TGID_Z_EN: 0
; COMPUTE_PGM_RSRC2:TIDIG_COMP_CNT: 0
	.section	.text._ZN7rocprim17ROCPRIM_400000_NS6detail17trampoline_kernelINS0_14default_configENS1_36segmented_radix_sort_config_selectorIflEEZNS1_25segmented_radix_sort_implIS3_Lb1EPKfPfPKlPlN2at6native12_GLOBAL__N_18offset_tEEE10hipError_tPvRmT1_PNSt15iterator_traitsISK_E10value_typeET2_T3_PNSL_ISQ_E10value_typeET4_jRbjT5_SW_jjP12ihipStream_tbEUlT_E_NS1_11comp_targetILNS1_3genE10ELNS1_11target_archE1201ELNS1_3gpuE5ELNS1_3repE0EEENS1_30default_config_static_selectorELNS0_4arch9wavefront6targetE0EEEvSK_,"axG",@progbits,_ZN7rocprim17ROCPRIM_400000_NS6detail17trampoline_kernelINS0_14default_configENS1_36segmented_radix_sort_config_selectorIflEEZNS1_25segmented_radix_sort_implIS3_Lb1EPKfPfPKlPlN2at6native12_GLOBAL__N_18offset_tEEE10hipError_tPvRmT1_PNSt15iterator_traitsISK_E10value_typeET2_T3_PNSL_ISQ_E10value_typeET4_jRbjT5_SW_jjP12ihipStream_tbEUlT_E_NS1_11comp_targetILNS1_3genE10ELNS1_11target_archE1201ELNS1_3gpuE5ELNS1_3repE0EEENS1_30default_config_static_selectorELNS0_4arch9wavefront6targetE0EEEvSK_,comdat
	.globl	_ZN7rocprim17ROCPRIM_400000_NS6detail17trampoline_kernelINS0_14default_configENS1_36segmented_radix_sort_config_selectorIflEEZNS1_25segmented_radix_sort_implIS3_Lb1EPKfPfPKlPlN2at6native12_GLOBAL__N_18offset_tEEE10hipError_tPvRmT1_PNSt15iterator_traitsISK_E10value_typeET2_T3_PNSL_ISQ_E10value_typeET4_jRbjT5_SW_jjP12ihipStream_tbEUlT_E_NS1_11comp_targetILNS1_3genE10ELNS1_11target_archE1201ELNS1_3gpuE5ELNS1_3repE0EEENS1_30default_config_static_selectorELNS0_4arch9wavefront6targetE0EEEvSK_ ; -- Begin function _ZN7rocprim17ROCPRIM_400000_NS6detail17trampoline_kernelINS0_14default_configENS1_36segmented_radix_sort_config_selectorIflEEZNS1_25segmented_radix_sort_implIS3_Lb1EPKfPfPKlPlN2at6native12_GLOBAL__N_18offset_tEEE10hipError_tPvRmT1_PNSt15iterator_traitsISK_E10value_typeET2_T3_PNSL_ISQ_E10value_typeET4_jRbjT5_SW_jjP12ihipStream_tbEUlT_E_NS1_11comp_targetILNS1_3genE10ELNS1_11target_archE1201ELNS1_3gpuE5ELNS1_3repE0EEENS1_30default_config_static_selectorELNS0_4arch9wavefront6targetE0EEEvSK_
	.p2align	8
	.type	_ZN7rocprim17ROCPRIM_400000_NS6detail17trampoline_kernelINS0_14default_configENS1_36segmented_radix_sort_config_selectorIflEEZNS1_25segmented_radix_sort_implIS3_Lb1EPKfPfPKlPlN2at6native12_GLOBAL__N_18offset_tEEE10hipError_tPvRmT1_PNSt15iterator_traitsISK_E10value_typeET2_T3_PNSL_ISQ_E10value_typeET4_jRbjT5_SW_jjP12ihipStream_tbEUlT_E_NS1_11comp_targetILNS1_3genE10ELNS1_11target_archE1201ELNS1_3gpuE5ELNS1_3repE0EEENS1_30default_config_static_selectorELNS0_4arch9wavefront6targetE0EEEvSK_,@function
_ZN7rocprim17ROCPRIM_400000_NS6detail17trampoline_kernelINS0_14default_configENS1_36segmented_radix_sort_config_selectorIflEEZNS1_25segmented_radix_sort_implIS3_Lb1EPKfPfPKlPlN2at6native12_GLOBAL__N_18offset_tEEE10hipError_tPvRmT1_PNSt15iterator_traitsISK_E10value_typeET2_T3_PNSL_ISQ_E10value_typeET4_jRbjT5_SW_jjP12ihipStream_tbEUlT_E_NS1_11comp_targetILNS1_3genE10ELNS1_11target_archE1201ELNS1_3gpuE5ELNS1_3repE0EEENS1_30default_config_static_selectorELNS0_4arch9wavefront6targetE0EEEvSK_: ; @_ZN7rocprim17ROCPRIM_400000_NS6detail17trampoline_kernelINS0_14default_configENS1_36segmented_radix_sort_config_selectorIflEEZNS1_25segmented_radix_sort_implIS3_Lb1EPKfPfPKlPlN2at6native12_GLOBAL__N_18offset_tEEE10hipError_tPvRmT1_PNSt15iterator_traitsISK_E10value_typeET2_T3_PNSL_ISQ_E10value_typeET4_jRbjT5_SW_jjP12ihipStream_tbEUlT_E_NS1_11comp_targetILNS1_3genE10ELNS1_11target_archE1201ELNS1_3gpuE5ELNS1_3repE0EEENS1_30default_config_static_selectorELNS0_4arch9wavefront6targetE0EEEvSK_
; %bb.0:
	.section	.rodata,"a",@progbits
	.p2align	6, 0x0
	.amdhsa_kernel _ZN7rocprim17ROCPRIM_400000_NS6detail17trampoline_kernelINS0_14default_configENS1_36segmented_radix_sort_config_selectorIflEEZNS1_25segmented_radix_sort_implIS3_Lb1EPKfPfPKlPlN2at6native12_GLOBAL__N_18offset_tEEE10hipError_tPvRmT1_PNSt15iterator_traitsISK_E10value_typeET2_T3_PNSL_ISQ_E10value_typeET4_jRbjT5_SW_jjP12ihipStream_tbEUlT_E_NS1_11comp_targetILNS1_3genE10ELNS1_11target_archE1201ELNS1_3gpuE5ELNS1_3repE0EEENS1_30default_config_static_selectorELNS0_4arch9wavefront6targetE0EEEvSK_
		.amdhsa_group_segment_fixed_size 0
		.amdhsa_private_segment_fixed_size 0
		.amdhsa_kernarg_size 96
		.amdhsa_user_sgpr_count 6
		.amdhsa_user_sgpr_private_segment_buffer 1
		.amdhsa_user_sgpr_dispatch_ptr 0
		.amdhsa_user_sgpr_queue_ptr 0
		.amdhsa_user_sgpr_kernarg_segment_ptr 1
		.amdhsa_user_sgpr_dispatch_id 0
		.amdhsa_user_sgpr_flat_scratch_init 0
		.amdhsa_user_sgpr_private_segment_size 0
		.amdhsa_wavefront_size32 1
		.amdhsa_uses_dynamic_stack 0
		.amdhsa_system_sgpr_private_segment_wavefront_offset 0
		.amdhsa_system_sgpr_workgroup_id_x 1
		.amdhsa_system_sgpr_workgroup_id_y 0
		.amdhsa_system_sgpr_workgroup_id_z 0
		.amdhsa_system_sgpr_workgroup_info 0
		.amdhsa_system_vgpr_workitem_id 0
		.amdhsa_next_free_vgpr 1
		.amdhsa_next_free_sgpr 1
		.amdhsa_reserve_vcc 0
		.amdhsa_reserve_flat_scratch 0
		.amdhsa_float_round_mode_32 0
		.amdhsa_float_round_mode_16_64 0
		.amdhsa_float_denorm_mode_32 3
		.amdhsa_float_denorm_mode_16_64 3
		.amdhsa_dx10_clamp 1
		.amdhsa_ieee_mode 1
		.amdhsa_fp16_overflow 0
		.amdhsa_workgroup_processor_mode 1
		.amdhsa_memory_ordered 1
		.amdhsa_forward_progress 1
		.amdhsa_shared_vgpr_count 0
		.amdhsa_exception_fp_ieee_invalid_op 0
		.amdhsa_exception_fp_denorm_src 0
		.amdhsa_exception_fp_ieee_div_zero 0
		.amdhsa_exception_fp_ieee_overflow 0
		.amdhsa_exception_fp_ieee_underflow 0
		.amdhsa_exception_fp_ieee_inexact 0
		.amdhsa_exception_int_div_zero 0
	.end_amdhsa_kernel
	.section	.text._ZN7rocprim17ROCPRIM_400000_NS6detail17trampoline_kernelINS0_14default_configENS1_36segmented_radix_sort_config_selectorIflEEZNS1_25segmented_radix_sort_implIS3_Lb1EPKfPfPKlPlN2at6native12_GLOBAL__N_18offset_tEEE10hipError_tPvRmT1_PNSt15iterator_traitsISK_E10value_typeET2_T3_PNSL_ISQ_E10value_typeET4_jRbjT5_SW_jjP12ihipStream_tbEUlT_E_NS1_11comp_targetILNS1_3genE10ELNS1_11target_archE1201ELNS1_3gpuE5ELNS1_3repE0EEENS1_30default_config_static_selectorELNS0_4arch9wavefront6targetE0EEEvSK_,"axG",@progbits,_ZN7rocprim17ROCPRIM_400000_NS6detail17trampoline_kernelINS0_14default_configENS1_36segmented_radix_sort_config_selectorIflEEZNS1_25segmented_radix_sort_implIS3_Lb1EPKfPfPKlPlN2at6native12_GLOBAL__N_18offset_tEEE10hipError_tPvRmT1_PNSt15iterator_traitsISK_E10value_typeET2_T3_PNSL_ISQ_E10value_typeET4_jRbjT5_SW_jjP12ihipStream_tbEUlT_E_NS1_11comp_targetILNS1_3genE10ELNS1_11target_archE1201ELNS1_3gpuE5ELNS1_3repE0EEENS1_30default_config_static_selectorELNS0_4arch9wavefront6targetE0EEEvSK_,comdat
.Lfunc_end1322:
	.size	_ZN7rocprim17ROCPRIM_400000_NS6detail17trampoline_kernelINS0_14default_configENS1_36segmented_radix_sort_config_selectorIflEEZNS1_25segmented_radix_sort_implIS3_Lb1EPKfPfPKlPlN2at6native12_GLOBAL__N_18offset_tEEE10hipError_tPvRmT1_PNSt15iterator_traitsISK_E10value_typeET2_T3_PNSL_ISQ_E10value_typeET4_jRbjT5_SW_jjP12ihipStream_tbEUlT_E_NS1_11comp_targetILNS1_3genE10ELNS1_11target_archE1201ELNS1_3gpuE5ELNS1_3repE0EEENS1_30default_config_static_selectorELNS0_4arch9wavefront6targetE0EEEvSK_, .Lfunc_end1322-_ZN7rocprim17ROCPRIM_400000_NS6detail17trampoline_kernelINS0_14default_configENS1_36segmented_radix_sort_config_selectorIflEEZNS1_25segmented_radix_sort_implIS3_Lb1EPKfPfPKlPlN2at6native12_GLOBAL__N_18offset_tEEE10hipError_tPvRmT1_PNSt15iterator_traitsISK_E10value_typeET2_T3_PNSL_ISQ_E10value_typeET4_jRbjT5_SW_jjP12ihipStream_tbEUlT_E_NS1_11comp_targetILNS1_3genE10ELNS1_11target_archE1201ELNS1_3gpuE5ELNS1_3repE0EEENS1_30default_config_static_selectorELNS0_4arch9wavefront6targetE0EEEvSK_
                                        ; -- End function
	.set _ZN7rocprim17ROCPRIM_400000_NS6detail17trampoline_kernelINS0_14default_configENS1_36segmented_radix_sort_config_selectorIflEEZNS1_25segmented_radix_sort_implIS3_Lb1EPKfPfPKlPlN2at6native12_GLOBAL__N_18offset_tEEE10hipError_tPvRmT1_PNSt15iterator_traitsISK_E10value_typeET2_T3_PNSL_ISQ_E10value_typeET4_jRbjT5_SW_jjP12ihipStream_tbEUlT_E_NS1_11comp_targetILNS1_3genE10ELNS1_11target_archE1201ELNS1_3gpuE5ELNS1_3repE0EEENS1_30default_config_static_selectorELNS0_4arch9wavefront6targetE0EEEvSK_.num_vgpr, 0
	.set _ZN7rocprim17ROCPRIM_400000_NS6detail17trampoline_kernelINS0_14default_configENS1_36segmented_radix_sort_config_selectorIflEEZNS1_25segmented_radix_sort_implIS3_Lb1EPKfPfPKlPlN2at6native12_GLOBAL__N_18offset_tEEE10hipError_tPvRmT1_PNSt15iterator_traitsISK_E10value_typeET2_T3_PNSL_ISQ_E10value_typeET4_jRbjT5_SW_jjP12ihipStream_tbEUlT_E_NS1_11comp_targetILNS1_3genE10ELNS1_11target_archE1201ELNS1_3gpuE5ELNS1_3repE0EEENS1_30default_config_static_selectorELNS0_4arch9wavefront6targetE0EEEvSK_.num_agpr, 0
	.set _ZN7rocprim17ROCPRIM_400000_NS6detail17trampoline_kernelINS0_14default_configENS1_36segmented_radix_sort_config_selectorIflEEZNS1_25segmented_radix_sort_implIS3_Lb1EPKfPfPKlPlN2at6native12_GLOBAL__N_18offset_tEEE10hipError_tPvRmT1_PNSt15iterator_traitsISK_E10value_typeET2_T3_PNSL_ISQ_E10value_typeET4_jRbjT5_SW_jjP12ihipStream_tbEUlT_E_NS1_11comp_targetILNS1_3genE10ELNS1_11target_archE1201ELNS1_3gpuE5ELNS1_3repE0EEENS1_30default_config_static_selectorELNS0_4arch9wavefront6targetE0EEEvSK_.numbered_sgpr, 0
	.set _ZN7rocprim17ROCPRIM_400000_NS6detail17trampoline_kernelINS0_14default_configENS1_36segmented_radix_sort_config_selectorIflEEZNS1_25segmented_radix_sort_implIS3_Lb1EPKfPfPKlPlN2at6native12_GLOBAL__N_18offset_tEEE10hipError_tPvRmT1_PNSt15iterator_traitsISK_E10value_typeET2_T3_PNSL_ISQ_E10value_typeET4_jRbjT5_SW_jjP12ihipStream_tbEUlT_E_NS1_11comp_targetILNS1_3genE10ELNS1_11target_archE1201ELNS1_3gpuE5ELNS1_3repE0EEENS1_30default_config_static_selectorELNS0_4arch9wavefront6targetE0EEEvSK_.num_named_barrier, 0
	.set _ZN7rocprim17ROCPRIM_400000_NS6detail17trampoline_kernelINS0_14default_configENS1_36segmented_radix_sort_config_selectorIflEEZNS1_25segmented_radix_sort_implIS3_Lb1EPKfPfPKlPlN2at6native12_GLOBAL__N_18offset_tEEE10hipError_tPvRmT1_PNSt15iterator_traitsISK_E10value_typeET2_T3_PNSL_ISQ_E10value_typeET4_jRbjT5_SW_jjP12ihipStream_tbEUlT_E_NS1_11comp_targetILNS1_3genE10ELNS1_11target_archE1201ELNS1_3gpuE5ELNS1_3repE0EEENS1_30default_config_static_selectorELNS0_4arch9wavefront6targetE0EEEvSK_.private_seg_size, 0
	.set _ZN7rocprim17ROCPRIM_400000_NS6detail17trampoline_kernelINS0_14default_configENS1_36segmented_radix_sort_config_selectorIflEEZNS1_25segmented_radix_sort_implIS3_Lb1EPKfPfPKlPlN2at6native12_GLOBAL__N_18offset_tEEE10hipError_tPvRmT1_PNSt15iterator_traitsISK_E10value_typeET2_T3_PNSL_ISQ_E10value_typeET4_jRbjT5_SW_jjP12ihipStream_tbEUlT_E_NS1_11comp_targetILNS1_3genE10ELNS1_11target_archE1201ELNS1_3gpuE5ELNS1_3repE0EEENS1_30default_config_static_selectorELNS0_4arch9wavefront6targetE0EEEvSK_.uses_vcc, 0
	.set _ZN7rocprim17ROCPRIM_400000_NS6detail17trampoline_kernelINS0_14default_configENS1_36segmented_radix_sort_config_selectorIflEEZNS1_25segmented_radix_sort_implIS3_Lb1EPKfPfPKlPlN2at6native12_GLOBAL__N_18offset_tEEE10hipError_tPvRmT1_PNSt15iterator_traitsISK_E10value_typeET2_T3_PNSL_ISQ_E10value_typeET4_jRbjT5_SW_jjP12ihipStream_tbEUlT_E_NS1_11comp_targetILNS1_3genE10ELNS1_11target_archE1201ELNS1_3gpuE5ELNS1_3repE0EEENS1_30default_config_static_selectorELNS0_4arch9wavefront6targetE0EEEvSK_.uses_flat_scratch, 0
	.set _ZN7rocprim17ROCPRIM_400000_NS6detail17trampoline_kernelINS0_14default_configENS1_36segmented_radix_sort_config_selectorIflEEZNS1_25segmented_radix_sort_implIS3_Lb1EPKfPfPKlPlN2at6native12_GLOBAL__N_18offset_tEEE10hipError_tPvRmT1_PNSt15iterator_traitsISK_E10value_typeET2_T3_PNSL_ISQ_E10value_typeET4_jRbjT5_SW_jjP12ihipStream_tbEUlT_E_NS1_11comp_targetILNS1_3genE10ELNS1_11target_archE1201ELNS1_3gpuE5ELNS1_3repE0EEENS1_30default_config_static_selectorELNS0_4arch9wavefront6targetE0EEEvSK_.has_dyn_sized_stack, 0
	.set _ZN7rocprim17ROCPRIM_400000_NS6detail17trampoline_kernelINS0_14default_configENS1_36segmented_radix_sort_config_selectorIflEEZNS1_25segmented_radix_sort_implIS3_Lb1EPKfPfPKlPlN2at6native12_GLOBAL__N_18offset_tEEE10hipError_tPvRmT1_PNSt15iterator_traitsISK_E10value_typeET2_T3_PNSL_ISQ_E10value_typeET4_jRbjT5_SW_jjP12ihipStream_tbEUlT_E_NS1_11comp_targetILNS1_3genE10ELNS1_11target_archE1201ELNS1_3gpuE5ELNS1_3repE0EEENS1_30default_config_static_selectorELNS0_4arch9wavefront6targetE0EEEvSK_.has_recursion, 0
	.set _ZN7rocprim17ROCPRIM_400000_NS6detail17trampoline_kernelINS0_14default_configENS1_36segmented_radix_sort_config_selectorIflEEZNS1_25segmented_radix_sort_implIS3_Lb1EPKfPfPKlPlN2at6native12_GLOBAL__N_18offset_tEEE10hipError_tPvRmT1_PNSt15iterator_traitsISK_E10value_typeET2_T3_PNSL_ISQ_E10value_typeET4_jRbjT5_SW_jjP12ihipStream_tbEUlT_E_NS1_11comp_targetILNS1_3genE10ELNS1_11target_archE1201ELNS1_3gpuE5ELNS1_3repE0EEENS1_30default_config_static_selectorELNS0_4arch9wavefront6targetE0EEEvSK_.has_indirect_call, 0
	.section	.AMDGPU.csdata,"",@progbits
; Kernel info:
; codeLenInByte = 0
; TotalNumSgprs: 0
; NumVgprs: 0
; ScratchSize: 0
; MemoryBound: 0
; FloatMode: 240
; IeeeMode: 1
; LDSByteSize: 0 bytes/workgroup (compile time only)
; SGPRBlocks: 0
; VGPRBlocks: 0
; NumSGPRsForWavesPerEU: 1
; NumVGPRsForWavesPerEU: 1
; Occupancy: 16
; WaveLimiterHint : 0
; COMPUTE_PGM_RSRC2:SCRATCH_EN: 0
; COMPUTE_PGM_RSRC2:USER_SGPR: 6
; COMPUTE_PGM_RSRC2:TRAP_HANDLER: 0
; COMPUTE_PGM_RSRC2:TGID_X_EN: 1
; COMPUTE_PGM_RSRC2:TGID_Y_EN: 0
; COMPUTE_PGM_RSRC2:TGID_Z_EN: 0
; COMPUTE_PGM_RSRC2:TIDIG_COMP_CNT: 0
	.section	.text._ZN7rocprim17ROCPRIM_400000_NS6detail17trampoline_kernelINS0_14default_configENS1_36segmented_radix_sort_config_selectorIflEEZNS1_25segmented_radix_sort_implIS3_Lb1EPKfPfPKlPlN2at6native12_GLOBAL__N_18offset_tEEE10hipError_tPvRmT1_PNSt15iterator_traitsISK_E10value_typeET2_T3_PNSL_ISQ_E10value_typeET4_jRbjT5_SW_jjP12ihipStream_tbEUlT_E_NS1_11comp_targetILNS1_3genE10ELNS1_11target_archE1200ELNS1_3gpuE4ELNS1_3repE0EEENS1_30default_config_static_selectorELNS0_4arch9wavefront6targetE0EEEvSK_,"axG",@progbits,_ZN7rocprim17ROCPRIM_400000_NS6detail17trampoline_kernelINS0_14default_configENS1_36segmented_radix_sort_config_selectorIflEEZNS1_25segmented_radix_sort_implIS3_Lb1EPKfPfPKlPlN2at6native12_GLOBAL__N_18offset_tEEE10hipError_tPvRmT1_PNSt15iterator_traitsISK_E10value_typeET2_T3_PNSL_ISQ_E10value_typeET4_jRbjT5_SW_jjP12ihipStream_tbEUlT_E_NS1_11comp_targetILNS1_3genE10ELNS1_11target_archE1200ELNS1_3gpuE4ELNS1_3repE0EEENS1_30default_config_static_selectorELNS0_4arch9wavefront6targetE0EEEvSK_,comdat
	.globl	_ZN7rocprim17ROCPRIM_400000_NS6detail17trampoline_kernelINS0_14default_configENS1_36segmented_radix_sort_config_selectorIflEEZNS1_25segmented_radix_sort_implIS3_Lb1EPKfPfPKlPlN2at6native12_GLOBAL__N_18offset_tEEE10hipError_tPvRmT1_PNSt15iterator_traitsISK_E10value_typeET2_T3_PNSL_ISQ_E10value_typeET4_jRbjT5_SW_jjP12ihipStream_tbEUlT_E_NS1_11comp_targetILNS1_3genE10ELNS1_11target_archE1200ELNS1_3gpuE4ELNS1_3repE0EEENS1_30default_config_static_selectorELNS0_4arch9wavefront6targetE0EEEvSK_ ; -- Begin function _ZN7rocprim17ROCPRIM_400000_NS6detail17trampoline_kernelINS0_14default_configENS1_36segmented_radix_sort_config_selectorIflEEZNS1_25segmented_radix_sort_implIS3_Lb1EPKfPfPKlPlN2at6native12_GLOBAL__N_18offset_tEEE10hipError_tPvRmT1_PNSt15iterator_traitsISK_E10value_typeET2_T3_PNSL_ISQ_E10value_typeET4_jRbjT5_SW_jjP12ihipStream_tbEUlT_E_NS1_11comp_targetILNS1_3genE10ELNS1_11target_archE1200ELNS1_3gpuE4ELNS1_3repE0EEENS1_30default_config_static_selectorELNS0_4arch9wavefront6targetE0EEEvSK_
	.p2align	8
	.type	_ZN7rocprim17ROCPRIM_400000_NS6detail17trampoline_kernelINS0_14default_configENS1_36segmented_radix_sort_config_selectorIflEEZNS1_25segmented_radix_sort_implIS3_Lb1EPKfPfPKlPlN2at6native12_GLOBAL__N_18offset_tEEE10hipError_tPvRmT1_PNSt15iterator_traitsISK_E10value_typeET2_T3_PNSL_ISQ_E10value_typeET4_jRbjT5_SW_jjP12ihipStream_tbEUlT_E_NS1_11comp_targetILNS1_3genE10ELNS1_11target_archE1200ELNS1_3gpuE4ELNS1_3repE0EEENS1_30default_config_static_selectorELNS0_4arch9wavefront6targetE0EEEvSK_,@function
_ZN7rocprim17ROCPRIM_400000_NS6detail17trampoline_kernelINS0_14default_configENS1_36segmented_radix_sort_config_selectorIflEEZNS1_25segmented_radix_sort_implIS3_Lb1EPKfPfPKlPlN2at6native12_GLOBAL__N_18offset_tEEE10hipError_tPvRmT1_PNSt15iterator_traitsISK_E10value_typeET2_T3_PNSL_ISQ_E10value_typeET4_jRbjT5_SW_jjP12ihipStream_tbEUlT_E_NS1_11comp_targetILNS1_3genE10ELNS1_11target_archE1200ELNS1_3gpuE4ELNS1_3repE0EEENS1_30default_config_static_selectorELNS0_4arch9wavefront6targetE0EEEvSK_: ; @_ZN7rocprim17ROCPRIM_400000_NS6detail17trampoline_kernelINS0_14default_configENS1_36segmented_radix_sort_config_selectorIflEEZNS1_25segmented_radix_sort_implIS3_Lb1EPKfPfPKlPlN2at6native12_GLOBAL__N_18offset_tEEE10hipError_tPvRmT1_PNSt15iterator_traitsISK_E10value_typeET2_T3_PNSL_ISQ_E10value_typeET4_jRbjT5_SW_jjP12ihipStream_tbEUlT_E_NS1_11comp_targetILNS1_3genE10ELNS1_11target_archE1200ELNS1_3gpuE4ELNS1_3repE0EEENS1_30default_config_static_selectorELNS0_4arch9wavefront6targetE0EEEvSK_
; %bb.0:
	.section	.rodata,"a",@progbits
	.p2align	6, 0x0
	.amdhsa_kernel _ZN7rocprim17ROCPRIM_400000_NS6detail17trampoline_kernelINS0_14default_configENS1_36segmented_radix_sort_config_selectorIflEEZNS1_25segmented_radix_sort_implIS3_Lb1EPKfPfPKlPlN2at6native12_GLOBAL__N_18offset_tEEE10hipError_tPvRmT1_PNSt15iterator_traitsISK_E10value_typeET2_T3_PNSL_ISQ_E10value_typeET4_jRbjT5_SW_jjP12ihipStream_tbEUlT_E_NS1_11comp_targetILNS1_3genE10ELNS1_11target_archE1200ELNS1_3gpuE4ELNS1_3repE0EEENS1_30default_config_static_selectorELNS0_4arch9wavefront6targetE0EEEvSK_
		.amdhsa_group_segment_fixed_size 0
		.amdhsa_private_segment_fixed_size 0
		.amdhsa_kernarg_size 96
		.amdhsa_user_sgpr_count 6
		.amdhsa_user_sgpr_private_segment_buffer 1
		.amdhsa_user_sgpr_dispatch_ptr 0
		.amdhsa_user_sgpr_queue_ptr 0
		.amdhsa_user_sgpr_kernarg_segment_ptr 1
		.amdhsa_user_sgpr_dispatch_id 0
		.amdhsa_user_sgpr_flat_scratch_init 0
		.amdhsa_user_sgpr_private_segment_size 0
		.amdhsa_wavefront_size32 1
		.amdhsa_uses_dynamic_stack 0
		.amdhsa_system_sgpr_private_segment_wavefront_offset 0
		.amdhsa_system_sgpr_workgroup_id_x 1
		.amdhsa_system_sgpr_workgroup_id_y 0
		.amdhsa_system_sgpr_workgroup_id_z 0
		.amdhsa_system_sgpr_workgroup_info 0
		.amdhsa_system_vgpr_workitem_id 0
		.amdhsa_next_free_vgpr 1
		.amdhsa_next_free_sgpr 1
		.amdhsa_reserve_vcc 0
		.amdhsa_reserve_flat_scratch 0
		.amdhsa_float_round_mode_32 0
		.amdhsa_float_round_mode_16_64 0
		.amdhsa_float_denorm_mode_32 3
		.amdhsa_float_denorm_mode_16_64 3
		.amdhsa_dx10_clamp 1
		.amdhsa_ieee_mode 1
		.amdhsa_fp16_overflow 0
		.amdhsa_workgroup_processor_mode 1
		.amdhsa_memory_ordered 1
		.amdhsa_forward_progress 1
		.amdhsa_shared_vgpr_count 0
		.amdhsa_exception_fp_ieee_invalid_op 0
		.amdhsa_exception_fp_denorm_src 0
		.amdhsa_exception_fp_ieee_div_zero 0
		.amdhsa_exception_fp_ieee_overflow 0
		.amdhsa_exception_fp_ieee_underflow 0
		.amdhsa_exception_fp_ieee_inexact 0
		.amdhsa_exception_int_div_zero 0
	.end_amdhsa_kernel
	.section	.text._ZN7rocprim17ROCPRIM_400000_NS6detail17trampoline_kernelINS0_14default_configENS1_36segmented_radix_sort_config_selectorIflEEZNS1_25segmented_radix_sort_implIS3_Lb1EPKfPfPKlPlN2at6native12_GLOBAL__N_18offset_tEEE10hipError_tPvRmT1_PNSt15iterator_traitsISK_E10value_typeET2_T3_PNSL_ISQ_E10value_typeET4_jRbjT5_SW_jjP12ihipStream_tbEUlT_E_NS1_11comp_targetILNS1_3genE10ELNS1_11target_archE1200ELNS1_3gpuE4ELNS1_3repE0EEENS1_30default_config_static_selectorELNS0_4arch9wavefront6targetE0EEEvSK_,"axG",@progbits,_ZN7rocprim17ROCPRIM_400000_NS6detail17trampoline_kernelINS0_14default_configENS1_36segmented_radix_sort_config_selectorIflEEZNS1_25segmented_radix_sort_implIS3_Lb1EPKfPfPKlPlN2at6native12_GLOBAL__N_18offset_tEEE10hipError_tPvRmT1_PNSt15iterator_traitsISK_E10value_typeET2_T3_PNSL_ISQ_E10value_typeET4_jRbjT5_SW_jjP12ihipStream_tbEUlT_E_NS1_11comp_targetILNS1_3genE10ELNS1_11target_archE1200ELNS1_3gpuE4ELNS1_3repE0EEENS1_30default_config_static_selectorELNS0_4arch9wavefront6targetE0EEEvSK_,comdat
.Lfunc_end1323:
	.size	_ZN7rocprim17ROCPRIM_400000_NS6detail17trampoline_kernelINS0_14default_configENS1_36segmented_radix_sort_config_selectorIflEEZNS1_25segmented_radix_sort_implIS3_Lb1EPKfPfPKlPlN2at6native12_GLOBAL__N_18offset_tEEE10hipError_tPvRmT1_PNSt15iterator_traitsISK_E10value_typeET2_T3_PNSL_ISQ_E10value_typeET4_jRbjT5_SW_jjP12ihipStream_tbEUlT_E_NS1_11comp_targetILNS1_3genE10ELNS1_11target_archE1200ELNS1_3gpuE4ELNS1_3repE0EEENS1_30default_config_static_selectorELNS0_4arch9wavefront6targetE0EEEvSK_, .Lfunc_end1323-_ZN7rocprim17ROCPRIM_400000_NS6detail17trampoline_kernelINS0_14default_configENS1_36segmented_radix_sort_config_selectorIflEEZNS1_25segmented_radix_sort_implIS3_Lb1EPKfPfPKlPlN2at6native12_GLOBAL__N_18offset_tEEE10hipError_tPvRmT1_PNSt15iterator_traitsISK_E10value_typeET2_T3_PNSL_ISQ_E10value_typeET4_jRbjT5_SW_jjP12ihipStream_tbEUlT_E_NS1_11comp_targetILNS1_3genE10ELNS1_11target_archE1200ELNS1_3gpuE4ELNS1_3repE0EEENS1_30default_config_static_selectorELNS0_4arch9wavefront6targetE0EEEvSK_
                                        ; -- End function
	.set _ZN7rocprim17ROCPRIM_400000_NS6detail17trampoline_kernelINS0_14default_configENS1_36segmented_radix_sort_config_selectorIflEEZNS1_25segmented_radix_sort_implIS3_Lb1EPKfPfPKlPlN2at6native12_GLOBAL__N_18offset_tEEE10hipError_tPvRmT1_PNSt15iterator_traitsISK_E10value_typeET2_T3_PNSL_ISQ_E10value_typeET4_jRbjT5_SW_jjP12ihipStream_tbEUlT_E_NS1_11comp_targetILNS1_3genE10ELNS1_11target_archE1200ELNS1_3gpuE4ELNS1_3repE0EEENS1_30default_config_static_selectorELNS0_4arch9wavefront6targetE0EEEvSK_.num_vgpr, 0
	.set _ZN7rocprim17ROCPRIM_400000_NS6detail17trampoline_kernelINS0_14default_configENS1_36segmented_radix_sort_config_selectorIflEEZNS1_25segmented_radix_sort_implIS3_Lb1EPKfPfPKlPlN2at6native12_GLOBAL__N_18offset_tEEE10hipError_tPvRmT1_PNSt15iterator_traitsISK_E10value_typeET2_T3_PNSL_ISQ_E10value_typeET4_jRbjT5_SW_jjP12ihipStream_tbEUlT_E_NS1_11comp_targetILNS1_3genE10ELNS1_11target_archE1200ELNS1_3gpuE4ELNS1_3repE0EEENS1_30default_config_static_selectorELNS0_4arch9wavefront6targetE0EEEvSK_.num_agpr, 0
	.set _ZN7rocprim17ROCPRIM_400000_NS6detail17trampoline_kernelINS0_14default_configENS1_36segmented_radix_sort_config_selectorIflEEZNS1_25segmented_radix_sort_implIS3_Lb1EPKfPfPKlPlN2at6native12_GLOBAL__N_18offset_tEEE10hipError_tPvRmT1_PNSt15iterator_traitsISK_E10value_typeET2_T3_PNSL_ISQ_E10value_typeET4_jRbjT5_SW_jjP12ihipStream_tbEUlT_E_NS1_11comp_targetILNS1_3genE10ELNS1_11target_archE1200ELNS1_3gpuE4ELNS1_3repE0EEENS1_30default_config_static_selectorELNS0_4arch9wavefront6targetE0EEEvSK_.numbered_sgpr, 0
	.set _ZN7rocprim17ROCPRIM_400000_NS6detail17trampoline_kernelINS0_14default_configENS1_36segmented_radix_sort_config_selectorIflEEZNS1_25segmented_radix_sort_implIS3_Lb1EPKfPfPKlPlN2at6native12_GLOBAL__N_18offset_tEEE10hipError_tPvRmT1_PNSt15iterator_traitsISK_E10value_typeET2_T3_PNSL_ISQ_E10value_typeET4_jRbjT5_SW_jjP12ihipStream_tbEUlT_E_NS1_11comp_targetILNS1_3genE10ELNS1_11target_archE1200ELNS1_3gpuE4ELNS1_3repE0EEENS1_30default_config_static_selectorELNS0_4arch9wavefront6targetE0EEEvSK_.num_named_barrier, 0
	.set _ZN7rocprim17ROCPRIM_400000_NS6detail17trampoline_kernelINS0_14default_configENS1_36segmented_radix_sort_config_selectorIflEEZNS1_25segmented_radix_sort_implIS3_Lb1EPKfPfPKlPlN2at6native12_GLOBAL__N_18offset_tEEE10hipError_tPvRmT1_PNSt15iterator_traitsISK_E10value_typeET2_T3_PNSL_ISQ_E10value_typeET4_jRbjT5_SW_jjP12ihipStream_tbEUlT_E_NS1_11comp_targetILNS1_3genE10ELNS1_11target_archE1200ELNS1_3gpuE4ELNS1_3repE0EEENS1_30default_config_static_selectorELNS0_4arch9wavefront6targetE0EEEvSK_.private_seg_size, 0
	.set _ZN7rocprim17ROCPRIM_400000_NS6detail17trampoline_kernelINS0_14default_configENS1_36segmented_radix_sort_config_selectorIflEEZNS1_25segmented_radix_sort_implIS3_Lb1EPKfPfPKlPlN2at6native12_GLOBAL__N_18offset_tEEE10hipError_tPvRmT1_PNSt15iterator_traitsISK_E10value_typeET2_T3_PNSL_ISQ_E10value_typeET4_jRbjT5_SW_jjP12ihipStream_tbEUlT_E_NS1_11comp_targetILNS1_3genE10ELNS1_11target_archE1200ELNS1_3gpuE4ELNS1_3repE0EEENS1_30default_config_static_selectorELNS0_4arch9wavefront6targetE0EEEvSK_.uses_vcc, 0
	.set _ZN7rocprim17ROCPRIM_400000_NS6detail17trampoline_kernelINS0_14default_configENS1_36segmented_radix_sort_config_selectorIflEEZNS1_25segmented_radix_sort_implIS3_Lb1EPKfPfPKlPlN2at6native12_GLOBAL__N_18offset_tEEE10hipError_tPvRmT1_PNSt15iterator_traitsISK_E10value_typeET2_T3_PNSL_ISQ_E10value_typeET4_jRbjT5_SW_jjP12ihipStream_tbEUlT_E_NS1_11comp_targetILNS1_3genE10ELNS1_11target_archE1200ELNS1_3gpuE4ELNS1_3repE0EEENS1_30default_config_static_selectorELNS0_4arch9wavefront6targetE0EEEvSK_.uses_flat_scratch, 0
	.set _ZN7rocprim17ROCPRIM_400000_NS6detail17trampoline_kernelINS0_14default_configENS1_36segmented_radix_sort_config_selectorIflEEZNS1_25segmented_radix_sort_implIS3_Lb1EPKfPfPKlPlN2at6native12_GLOBAL__N_18offset_tEEE10hipError_tPvRmT1_PNSt15iterator_traitsISK_E10value_typeET2_T3_PNSL_ISQ_E10value_typeET4_jRbjT5_SW_jjP12ihipStream_tbEUlT_E_NS1_11comp_targetILNS1_3genE10ELNS1_11target_archE1200ELNS1_3gpuE4ELNS1_3repE0EEENS1_30default_config_static_selectorELNS0_4arch9wavefront6targetE0EEEvSK_.has_dyn_sized_stack, 0
	.set _ZN7rocprim17ROCPRIM_400000_NS6detail17trampoline_kernelINS0_14default_configENS1_36segmented_radix_sort_config_selectorIflEEZNS1_25segmented_radix_sort_implIS3_Lb1EPKfPfPKlPlN2at6native12_GLOBAL__N_18offset_tEEE10hipError_tPvRmT1_PNSt15iterator_traitsISK_E10value_typeET2_T3_PNSL_ISQ_E10value_typeET4_jRbjT5_SW_jjP12ihipStream_tbEUlT_E_NS1_11comp_targetILNS1_3genE10ELNS1_11target_archE1200ELNS1_3gpuE4ELNS1_3repE0EEENS1_30default_config_static_selectorELNS0_4arch9wavefront6targetE0EEEvSK_.has_recursion, 0
	.set _ZN7rocprim17ROCPRIM_400000_NS6detail17trampoline_kernelINS0_14default_configENS1_36segmented_radix_sort_config_selectorIflEEZNS1_25segmented_radix_sort_implIS3_Lb1EPKfPfPKlPlN2at6native12_GLOBAL__N_18offset_tEEE10hipError_tPvRmT1_PNSt15iterator_traitsISK_E10value_typeET2_T3_PNSL_ISQ_E10value_typeET4_jRbjT5_SW_jjP12ihipStream_tbEUlT_E_NS1_11comp_targetILNS1_3genE10ELNS1_11target_archE1200ELNS1_3gpuE4ELNS1_3repE0EEENS1_30default_config_static_selectorELNS0_4arch9wavefront6targetE0EEEvSK_.has_indirect_call, 0
	.section	.AMDGPU.csdata,"",@progbits
; Kernel info:
; codeLenInByte = 0
; TotalNumSgprs: 0
; NumVgprs: 0
; ScratchSize: 0
; MemoryBound: 0
; FloatMode: 240
; IeeeMode: 1
; LDSByteSize: 0 bytes/workgroup (compile time only)
; SGPRBlocks: 0
; VGPRBlocks: 0
; NumSGPRsForWavesPerEU: 1
; NumVGPRsForWavesPerEU: 1
; Occupancy: 16
; WaveLimiterHint : 0
; COMPUTE_PGM_RSRC2:SCRATCH_EN: 0
; COMPUTE_PGM_RSRC2:USER_SGPR: 6
; COMPUTE_PGM_RSRC2:TRAP_HANDLER: 0
; COMPUTE_PGM_RSRC2:TGID_X_EN: 1
; COMPUTE_PGM_RSRC2:TGID_Y_EN: 0
; COMPUTE_PGM_RSRC2:TGID_Z_EN: 0
; COMPUTE_PGM_RSRC2:TIDIG_COMP_CNT: 0
	.section	.text._ZN7rocprim17ROCPRIM_400000_NS6detail17trampoline_kernelINS0_14default_configENS1_36segmented_radix_sort_config_selectorIflEEZNS1_25segmented_radix_sort_implIS3_Lb1EPKfPfPKlPlN2at6native12_GLOBAL__N_18offset_tEEE10hipError_tPvRmT1_PNSt15iterator_traitsISK_E10value_typeET2_T3_PNSL_ISQ_E10value_typeET4_jRbjT5_SW_jjP12ihipStream_tbEUlT_E_NS1_11comp_targetILNS1_3genE9ELNS1_11target_archE1100ELNS1_3gpuE3ELNS1_3repE0EEENS1_30default_config_static_selectorELNS0_4arch9wavefront6targetE0EEEvSK_,"axG",@progbits,_ZN7rocprim17ROCPRIM_400000_NS6detail17trampoline_kernelINS0_14default_configENS1_36segmented_radix_sort_config_selectorIflEEZNS1_25segmented_radix_sort_implIS3_Lb1EPKfPfPKlPlN2at6native12_GLOBAL__N_18offset_tEEE10hipError_tPvRmT1_PNSt15iterator_traitsISK_E10value_typeET2_T3_PNSL_ISQ_E10value_typeET4_jRbjT5_SW_jjP12ihipStream_tbEUlT_E_NS1_11comp_targetILNS1_3genE9ELNS1_11target_archE1100ELNS1_3gpuE3ELNS1_3repE0EEENS1_30default_config_static_selectorELNS0_4arch9wavefront6targetE0EEEvSK_,comdat
	.globl	_ZN7rocprim17ROCPRIM_400000_NS6detail17trampoline_kernelINS0_14default_configENS1_36segmented_radix_sort_config_selectorIflEEZNS1_25segmented_radix_sort_implIS3_Lb1EPKfPfPKlPlN2at6native12_GLOBAL__N_18offset_tEEE10hipError_tPvRmT1_PNSt15iterator_traitsISK_E10value_typeET2_T3_PNSL_ISQ_E10value_typeET4_jRbjT5_SW_jjP12ihipStream_tbEUlT_E_NS1_11comp_targetILNS1_3genE9ELNS1_11target_archE1100ELNS1_3gpuE3ELNS1_3repE0EEENS1_30default_config_static_selectorELNS0_4arch9wavefront6targetE0EEEvSK_ ; -- Begin function _ZN7rocprim17ROCPRIM_400000_NS6detail17trampoline_kernelINS0_14default_configENS1_36segmented_radix_sort_config_selectorIflEEZNS1_25segmented_radix_sort_implIS3_Lb1EPKfPfPKlPlN2at6native12_GLOBAL__N_18offset_tEEE10hipError_tPvRmT1_PNSt15iterator_traitsISK_E10value_typeET2_T3_PNSL_ISQ_E10value_typeET4_jRbjT5_SW_jjP12ihipStream_tbEUlT_E_NS1_11comp_targetILNS1_3genE9ELNS1_11target_archE1100ELNS1_3gpuE3ELNS1_3repE0EEENS1_30default_config_static_selectorELNS0_4arch9wavefront6targetE0EEEvSK_
	.p2align	8
	.type	_ZN7rocprim17ROCPRIM_400000_NS6detail17trampoline_kernelINS0_14default_configENS1_36segmented_radix_sort_config_selectorIflEEZNS1_25segmented_radix_sort_implIS3_Lb1EPKfPfPKlPlN2at6native12_GLOBAL__N_18offset_tEEE10hipError_tPvRmT1_PNSt15iterator_traitsISK_E10value_typeET2_T3_PNSL_ISQ_E10value_typeET4_jRbjT5_SW_jjP12ihipStream_tbEUlT_E_NS1_11comp_targetILNS1_3genE9ELNS1_11target_archE1100ELNS1_3gpuE3ELNS1_3repE0EEENS1_30default_config_static_selectorELNS0_4arch9wavefront6targetE0EEEvSK_,@function
_ZN7rocprim17ROCPRIM_400000_NS6detail17trampoline_kernelINS0_14default_configENS1_36segmented_radix_sort_config_selectorIflEEZNS1_25segmented_radix_sort_implIS3_Lb1EPKfPfPKlPlN2at6native12_GLOBAL__N_18offset_tEEE10hipError_tPvRmT1_PNSt15iterator_traitsISK_E10value_typeET2_T3_PNSL_ISQ_E10value_typeET4_jRbjT5_SW_jjP12ihipStream_tbEUlT_E_NS1_11comp_targetILNS1_3genE9ELNS1_11target_archE1100ELNS1_3gpuE3ELNS1_3repE0EEENS1_30default_config_static_selectorELNS0_4arch9wavefront6targetE0EEEvSK_: ; @_ZN7rocprim17ROCPRIM_400000_NS6detail17trampoline_kernelINS0_14default_configENS1_36segmented_radix_sort_config_selectorIflEEZNS1_25segmented_radix_sort_implIS3_Lb1EPKfPfPKlPlN2at6native12_GLOBAL__N_18offset_tEEE10hipError_tPvRmT1_PNSt15iterator_traitsISK_E10value_typeET2_T3_PNSL_ISQ_E10value_typeET4_jRbjT5_SW_jjP12ihipStream_tbEUlT_E_NS1_11comp_targetILNS1_3genE9ELNS1_11target_archE1100ELNS1_3gpuE3ELNS1_3repE0EEENS1_30default_config_static_selectorELNS0_4arch9wavefront6targetE0EEEvSK_
; %bb.0:
	.section	.rodata,"a",@progbits
	.p2align	6, 0x0
	.amdhsa_kernel _ZN7rocprim17ROCPRIM_400000_NS6detail17trampoline_kernelINS0_14default_configENS1_36segmented_radix_sort_config_selectorIflEEZNS1_25segmented_radix_sort_implIS3_Lb1EPKfPfPKlPlN2at6native12_GLOBAL__N_18offset_tEEE10hipError_tPvRmT1_PNSt15iterator_traitsISK_E10value_typeET2_T3_PNSL_ISQ_E10value_typeET4_jRbjT5_SW_jjP12ihipStream_tbEUlT_E_NS1_11comp_targetILNS1_3genE9ELNS1_11target_archE1100ELNS1_3gpuE3ELNS1_3repE0EEENS1_30default_config_static_selectorELNS0_4arch9wavefront6targetE0EEEvSK_
		.amdhsa_group_segment_fixed_size 0
		.amdhsa_private_segment_fixed_size 0
		.amdhsa_kernarg_size 96
		.amdhsa_user_sgpr_count 6
		.amdhsa_user_sgpr_private_segment_buffer 1
		.amdhsa_user_sgpr_dispatch_ptr 0
		.amdhsa_user_sgpr_queue_ptr 0
		.amdhsa_user_sgpr_kernarg_segment_ptr 1
		.amdhsa_user_sgpr_dispatch_id 0
		.amdhsa_user_sgpr_flat_scratch_init 0
		.amdhsa_user_sgpr_private_segment_size 0
		.amdhsa_wavefront_size32 1
		.amdhsa_uses_dynamic_stack 0
		.amdhsa_system_sgpr_private_segment_wavefront_offset 0
		.amdhsa_system_sgpr_workgroup_id_x 1
		.amdhsa_system_sgpr_workgroup_id_y 0
		.amdhsa_system_sgpr_workgroup_id_z 0
		.amdhsa_system_sgpr_workgroup_info 0
		.amdhsa_system_vgpr_workitem_id 0
		.amdhsa_next_free_vgpr 1
		.amdhsa_next_free_sgpr 1
		.amdhsa_reserve_vcc 0
		.amdhsa_reserve_flat_scratch 0
		.amdhsa_float_round_mode_32 0
		.amdhsa_float_round_mode_16_64 0
		.amdhsa_float_denorm_mode_32 3
		.amdhsa_float_denorm_mode_16_64 3
		.amdhsa_dx10_clamp 1
		.amdhsa_ieee_mode 1
		.amdhsa_fp16_overflow 0
		.amdhsa_workgroup_processor_mode 1
		.amdhsa_memory_ordered 1
		.amdhsa_forward_progress 1
		.amdhsa_shared_vgpr_count 0
		.amdhsa_exception_fp_ieee_invalid_op 0
		.amdhsa_exception_fp_denorm_src 0
		.amdhsa_exception_fp_ieee_div_zero 0
		.amdhsa_exception_fp_ieee_overflow 0
		.amdhsa_exception_fp_ieee_underflow 0
		.amdhsa_exception_fp_ieee_inexact 0
		.amdhsa_exception_int_div_zero 0
	.end_amdhsa_kernel
	.section	.text._ZN7rocprim17ROCPRIM_400000_NS6detail17trampoline_kernelINS0_14default_configENS1_36segmented_radix_sort_config_selectorIflEEZNS1_25segmented_radix_sort_implIS3_Lb1EPKfPfPKlPlN2at6native12_GLOBAL__N_18offset_tEEE10hipError_tPvRmT1_PNSt15iterator_traitsISK_E10value_typeET2_T3_PNSL_ISQ_E10value_typeET4_jRbjT5_SW_jjP12ihipStream_tbEUlT_E_NS1_11comp_targetILNS1_3genE9ELNS1_11target_archE1100ELNS1_3gpuE3ELNS1_3repE0EEENS1_30default_config_static_selectorELNS0_4arch9wavefront6targetE0EEEvSK_,"axG",@progbits,_ZN7rocprim17ROCPRIM_400000_NS6detail17trampoline_kernelINS0_14default_configENS1_36segmented_radix_sort_config_selectorIflEEZNS1_25segmented_radix_sort_implIS3_Lb1EPKfPfPKlPlN2at6native12_GLOBAL__N_18offset_tEEE10hipError_tPvRmT1_PNSt15iterator_traitsISK_E10value_typeET2_T3_PNSL_ISQ_E10value_typeET4_jRbjT5_SW_jjP12ihipStream_tbEUlT_E_NS1_11comp_targetILNS1_3genE9ELNS1_11target_archE1100ELNS1_3gpuE3ELNS1_3repE0EEENS1_30default_config_static_selectorELNS0_4arch9wavefront6targetE0EEEvSK_,comdat
.Lfunc_end1324:
	.size	_ZN7rocprim17ROCPRIM_400000_NS6detail17trampoline_kernelINS0_14default_configENS1_36segmented_radix_sort_config_selectorIflEEZNS1_25segmented_radix_sort_implIS3_Lb1EPKfPfPKlPlN2at6native12_GLOBAL__N_18offset_tEEE10hipError_tPvRmT1_PNSt15iterator_traitsISK_E10value_typeET2_T3_PNSL_ISQ_E10value_typeET4_jRbjT5_SW_jjP12ihipStream_tbEUlT_E_NS1_11comp_targetILNS1_3genE9ELNS1_11target_archE1100ELNS1_3gpuE3ELNS1_3repE0EEENS1_30default_config_static_selectorELNS0_4arch9wavefront6targetE0EEEvSK_, .Lfunc_end1324-_ZN7rocprim17ROCPRIM_400000_NS6detail17trampoline_kernelINS0_14default_configENS1_36segmented_radix_sort_config_selectorIflEEZNS1_25segmented_radix_sort_implIS3_Lb1EPKfPfPKlPlN2at6native12_GLOBAL__N_18offset_tEEE10hipError_tPvRmT1_PNSt15iterator_traitsISK_E10value_typeET2_T3_PNSL_ISQ_E10value_typeET4_jRbjT5_SW_jjP12ihipStream_tbEUlT_E_NS1_11comp_targetILNS1_3genE9ELNS1_11target_archE1100ELNS1_3gpuE3ELNS1_3repE0EEENS1_30default_config_static_selectorELNS0_4arch9wavefront6targetE0EEEvSK_
                                        ; -- End function
	.set _ZN7rocprim17ROCPRIM_400000_NS6detail17trampoline_kernelINS0_14default_configENS1_36segmented_radix_sort_config_selectorIflEEZNS1_25segmented_radix_sort_implIS3_Lb1EPKfPfPKlPlN2at6native12_GLOBAL__N_18offset_tEEE10hipError_tPvRmT1_PNSt15iterator_traitsISK_E10value_typeET2_T3_PNSL_ISQ_E10value_typeET4_jRbjT5_SW_jjP12ihipStream_tbEUlT_E_NS1_11comp_targetILNS1_3genE9ELNS1_11target_archE1100ELNS1_3gpuE3ELNS1_3repE0EEENS1_30default_config_static_selectorELNS0_4arch9wavefront6targetE0EEEvSK_.num_vgpr, 0
	.set _ZN7rocprim17ROCPRIM_400000_NS6detail17trampoline_kernelINS0_14default_configENS1_36segmented_radix_sort_config_selectorIflEEZNS1_25segmented_radix_sort_implIS3_Lb1EPKfPfPKlPlN2at6native12_GLOBAL__N_18offset_tEEE10hipError_tPvRmT1_PNSt15iterator_traitsISK_E10value_typeET2_T3_PNSL_ISQ_E10value_typeET4_jRbjT5_SW_jjP12ihipStream_tbEUlT_E_NS1_11comp_targetILNS1_3genE9ELNS1_11target_archE1100ELNS1_3gpuE3ELNS1_3repE0EEENS1_30default_config_static_selectorELNS0_4arch9wavefront6targetE0EEEvSK_.num_agpr, 0
	.set _ZN7rocprim17ROCPRIM_400000_NS6detail17trampoline_kernelINS0_14default_configENS1_36segmented_radix_sort_config_selectorIflEEZNS1_25segmented_radix_sort_implIS3_Lb1EPKfPfPKlPlN2at6native12_GLOBAL__N_18offset_tEEE10hipError_tPvRmT1_PNSt15iterator_traitsISK_E10value_typeET2_T3_PNSL_ISQ_E10value_typeET4_jRbjT5_SW_jjP12ihipStream_tbEUlT_E_NS1_11comp_targetILNS1_3genE9ELNS1_11target_archE1100ELNS1_3gpuE3ELNS1_3repE0EEENS1_30default_config_static_selectorELNS0_4arch9wavefront6targetE0EEEvSK_.numbered_sgpr, 0
	.set _ZN7rocprim17ROCPRIM_400000_NS6detail17trampoline_kernelINS0_14default_configENS1_36segmented_radix_sort_config_selectorIflEEZNS1_25segmented_radix_sort_implIS3_Lb1EPKfPfPKlPlN2at6native12_GLOBAL__N_18offset_tEEE10hipError_tPvRmT1_PNSt15iterator_traitsISK_E10value_typeET2_T3_PNSL_ISQ_E10value_typeET4_jRbjT5_SW_jjP12ihipStream_tbEUlT_E_NS1_11comp_targetILNS1_3genE9ELNS1_11target_archE1100ELNS1_3gpuE3ELNS1_3repE0EEENS1_30default_config_static_selectorELNS0_4arch9wavefront6targetE0EEEvSK_.num_named_barrier, 0
	.set _ZN7rocprim17ROCPRIM_400000_NS6detail17trampoline_kernelINS0_14default_configENS1_36segmented_radix_sort_config_selectorIflEEZNS1_25segmented_radix_sort_implIS3_Lb1EPKfPfPKlPlN2at6native12_GLOBAL__N_18offset_tEEE10hipError_tPvRmT1_PNSt15iterator_traitsISK_E10value_typeET2_T3_PNSL_ISQ_E10value_typeET4_jRbjT5_SW_jjP12ihipStream_tbEUlT_E_NS1_11comp_targetILNS1_3genE9ELNS1_11target_archE1100ELNS1_3gpuE3ELNS1_3repE0EEENS1_30default_config_static_selectorELNS0_4arch9wavefront6targetE0EEEvSK_.private_seg_size, 0
	.set _ZN7rocprim17ROCPRIM_400000_NS6detail17trampoline_kernelINS0_14default_configENS1_36segmented_radix_sort_config_selectorIflEEZNS1_25segmented_radix_sort_implIS3_Lb1EPKfPfPKlPlN2at6native12_GLOBAL__N_18offset_tEEE10hipError_tPvRmT1_PNSt15iterator_traitsISK_E10value_typeET2_T3_PNSL_ISQ_E10value_typeET4_jRbjT5_SW_jjP12ihipStream_tbEUlT_E_NS1_11comp_targetILNS1_3genE9ELNS1_11target_archE1100ELNS1_3gpuE3ELNS1_3repE0EEENS1_30default_config_static_selectorELNS0_4arch9wavefront6targetE0EEEvSK_.uses_vcc, 0
	.set _ZN7rocprim17ROCPRIM_400000_NS6detail17trampoline_kernelINS0_14default_configENS1_36segmented_radix_sort_config_selectorIflEEZNS1_25segmented_radix_sort_implIS3_Lb1EPKfPfPKlPlN2at6native12_GLOBAL__N_18offset_tEEE10hipError_tPvRmT1_PNSt15iterator_traitsISK_E10value_typeET2_T3_PNSL_ISQ_E10value_typeET4_jRbjT5_SW_jjP12ihipStream_tbEUlT_E_NS1_11comp_targetILNS1_3genE9ELNS1_11target_archE1100ELNS1_3gpuE3ELNS1_3repE0EEENS1_30default_config_static_selectorELNS0_4arch9wavefront6targetE0EEEvSK_.uses_flat_scratch, 0
	.set _ZN7rocprim17ROCPRIM_400000_NS6detail17trampoline_kernelINS0_14default_configENS1_36segmented_radix_sort_config_selectorIflEEZNS1_25segmented_radix_sort_implIS3_Lb1EPKfPfPKlPlN2at6native12_GLOBAL__N_18offset_tEEE10hipError_tPvRmT1_PNSt15iterator_traitsISK_E10value_typeET2_T3_PNSL_ISQ_E10value_typeET4_jRbjT5_SW_jjP12ihipStream_tbEUlT_E_NS1_11comp_targetILNS1_3genE9ELNS1_11target_archE1100ELNS1_3gpuE3ELNS1_3repE0EEENS1_30default_config_static_selectorELNS0_4arch9wavefront6targetE0EEEvSK_.has_dyn_sized_stack, 0
	.set _ZN7rocprim17ROCPRIM_400000_NS6detail17trampoline_kernelINS0_14default_configENS1_36segmented_radix_sort_config_selectorIflEEZNS1_25segmented_radix_sort_implIS3_Lb1EPKfPfPKlPlN2at6native12_GLOBAL__N_18offset_tEEE10hipError_tPvRmT1_PNSt15iterator_traitsISK_E10value_typeET2_T3_PNSL_ISQ_E10value_typeET4_jRbjT5_SW_jjP12ihipStream_tbEUlT_E_NS1_11comp_targetILNS1_3genE9ELNS1_11target_archE1100ELNS1_3gpuE3ELNS1_3repE0EEENS1_30default_config_static_selectorELNS0_4arch9wavefront6targetE0EEEvSK_.has_recursion, 0
	.set _ZN7rocprim17ROCPRIM_400000_NS6detail17trampoline_kernelINS0_14default_configENS1_36segmented_radix_sort_config_selectorIflEEZNS1_25segmented_radix_sort_implIS3_Lb1EPKfPfPKlPlN2at6native12_GLOBAL__N_18offset_tEEE10hipError_tPvRmT1_PNSt15iterator_traitsISK_E10value_typeET2_T3_PNSL_ISQ_E10value_typeET4_jRbjT5_SW_jjP12ihipStream_tbEUlT_E_NS1_11comp_targetILNS1_3genE9ELNS1_11target_archE1100ELNS1_3gpuE3ELNS1_3repE0EEENS1_30default_config_static_selectorELNS0_4arch9wavefront6targetE0EEEvSK_.has_indirect_call, 0
	.section	.AMDGPU.csdata,"",@progbits
; Kernel info:
; codeLenInByte = 0
; TotalNumSgprs: 0
; NumVgprs: 0
; ScratchSize: 0
; MemoryBound: 0
; FloatMode: 240
; IeeeMode: 1
; LDSByteSize: 0 bytes/workgroup (compile time only)
; SGPRBlocks: 0
; VGPRBlocks: 0
; NumSGPRsForWavesPerEU: 1
; NumVGPRsForWavesPerEU: 1
; Occupancy: 16
; WaveLimiterHint : 0
; COMPUTE_PGM_RSRC2:SCRATCH_EN: 0
; COMPUTE_PGM_RSRC2:USER_SGPR: 6
; COMPUTE_PGM_RSRC2:TRAP_HANDLER: 0
; COMPUTE_PGM_RSRC2:TGID_X_EN: 1
; COMPUTE_PGM_RSRC2:TGID_Y_EN: 0
; COMPUTE_PGM_RSRC2:TGID_Z_EN: 0
; COMPUTE_PGM_RSRC2:TIDIG_COMP_CNT: 0
	.text
	.p2align	2                               ; -- Begin function _ZN7rocprim17ROCPRIM_400000_NS6detail40segmented_radix_sort_single_block_helperIflLj256ELj16ELb1EE4sortIPKfPfPKlPlEEbT_T0_T1_T2_jjjjRNS3_12storage_typeE
	.type	_ZN7rocprim17ROCPRIM_400000_NS6detail40segmented_radix_sort_single_block_helperIflLj256ELj16ELb1EE4sortIPKfPfPKlPlEEbT_T0_T1_T2_jjjjRNS3_12storage_typeE,@function
_ZN7rocprim17ROCPRIM_400000_NS6detail40segmented_radix_sort_single_block_helperIflLj256ELj16ELb1EE4sortIPKfPfPKlPlEEbT_T0_T1_T2_jjjjRNS3_12storage_typeE: ; @_ZN7rocprim17ROCPRIM_400000_NS6detail40segmented_radix_sort_single_block_helperIflLj256ELj16ELb1EE4sortIPKfPfPKlPlEEbT_T0_T1_T2_jjjjRNS3_12storage_typeE
; %bb.0:
	s_waitcnt vmcnt(0) expcnt(0) lgkmcnt(0)
	buffer_store_dword v40, off, s[0:3], s32 offset:60 ; 4-byte Folded Spill
	buffer_store_dword v41, off, s[0:3], s32 offset:56 ; 4-byte Folded Spill
	;; [unrolled: 1-line block ×15, first 2 shown]
	buffer_store_dword v63, off, s[0:3], s32 ; 4-byte Folded Spill
	v_sub_nc_u32_e32 v151, v9, v8
	s_mov_b32 s24, exec_lo
	v_cmpx_gt_u32_e32 0x1001, v151
	s_cbranch_execz .LBB1325_372
; %bb.1:
	v_bfe_u32 v13, v31, 10, 10
	v_bfe_u32 v14, v31, 20, 10
	v_and_b32_e32 v21, 0x3ff, v31
	v_mbcnt_lo_u32_b32 v114, -1, 0
	s_mov_b32 s4, exec_lo
	v_cmpx_lt_u32_e32 0x800, v151
	s_xor_b32 s25, exec_lo, s4
	s_cbranch_execz .LBB1325_143
; %bb.2:
	s_load_dwordx2 s[4:5], s[8:9], 0x0
	v_mov_b32_e32 v9, 0
	v_lshlrev_b64 v[50:51], 2, v[8:9]
	v_add_co_u32 v17, vcc_lo, v0, v50
	v_add_co_ci_u32_e64 v18, null, v1, v51, vcc_lo
	s_waitcnt lgkmcnt(0)
	s_cmp_lt_u32 s13, s5
	s_cselect_b32 s5, 14, 20
	s_add_u32 s6, s8, s5
	s_addc_u32 s7, s9, 0
	s_cmp_lt_u32 s12, s4
	global_load_ushort v15, v9, s[6:7]
	s_cselect_b32 s4, 12, 18
	s_add_u32 s4, s8, s4
	s_addc_u32 s5, s9, 0
	global_load_ushort v16, v9, s[4:5]
	s_waitcnt vmcnt(1)
	v_mad_u32_u24 v13, v14, v15, v13
	v_mov_b32_e32 v14, v9
	v_mov_b32_e32 v15, -1
	s_waitcnt vmcnt(0)
	v_mad_u64_u32 v[48:49], null, v13, v16, v[21:22]
	v_lshlrev_b32_e32 v16, 2, v114
	v_add_co_u32 v16, vcc_lo, v17, v16
	v_lshlrev_b32_e32 v13, 4, v48
	v_add_co_ci_u32_e64 v17, null, 0, v18, vcc_lo
	v_and_b32_e32 v13, 0xfffffe00, v13
	v_lshlrev_b64 v[0:1], 2, v[13:14]
	v_or_b32_e32 v32, v13, v114
	v_cmp_lt_u32_e32 vcc_lo, v32, v151
	v_add_co_u32 v0, s4, v16, v0
	v_add_co_ci_u32_e64 v1, null, v17, v1, s4
	v_mov_b32_e32 v16, -1
	s_and_saveexec_b32 s4, vcc_lo
	s_cbranch_execz .LBB1325_4
; %bb.3:
	flat_load_dword v16, v[0:1]
.LBB1325_4:
	s_or_b32 exec_lo, exec_lo, s4
	v_or_b32_e32 v17, 32, v32
	v_cmp_lt_u32_e64 s4, v17, v151
	s_and_saveexec_b32 s5, s4
	s_cbranch_execz .LBB1325_6
; %bb.5:
	flat_load_dword v15, v[0:1] offset:128
.LBB1325_6:
	s_or_b32 exec_lo, exec_lo, s5
	v_or_b32_e32 v18, 64, v32
	v_mov_b32_e32 v17, -1
	v_cmp_lt_u32_e64 s5, v18, v151
	v_mov_b32_e32 v18, -1
	s_and_saveexec_b32 s6, s5
	s_cbranch_execz .LBB1325_8
; %bb.7:
	flat_load_dword v18, v[0:1] offset:256
.LBB1325_8:
	s_or_b32 exec_lo, exec_lo, s6
	v_or_b32_e32 v19, 0x60, v32
	v_cmp_lt_u32_e64 s6, v19, v151
	s_and_saveexec_b32 s7, s6
	s_cbranch_execz .LBB1325_10
; %bb.9:
	flat_load_dword v17, v[0:1] offset:384
.LBB1325_10:
	s_or_b32 exec_lo, exec_lo, s7
	v_or_b32_e32 v20, 0x80, v32
	v_mov_b32_e32 v19, -1
	v_cmp_lt_u32_e64 s7, v20, v151
	v_mov_b32_e32 v20, -1
	s_and_saveexec_b32 s10, s7
	s_cbranch_execz .LBB1325_12
; %bb.11:
	flat_load_dword v20, v[0:1] offset:512
.LBB1325_12:
	;; [unrolled: 18-line block ×7, first 2 shown]
	s_or_b32 exec_lo, exec_lo, s11
	v_or_b32_e32 v32, 0x1e0, v32
	v_cmp_lt_u32_e64 s11, v32, v151
	s_and_saveexec_b32 s23, s11
	s_cbranch_execz .LBB1325_34
; %bb.33:
	flat_load_dword v30, v[0:1] offset:1920
.LBB1325_34:
	s_or_b32 exec_lo, exec_lo, s23
	v_lshlrev_b64 v[0:1], 3, v[8:9]
	v_lshlrev_b32_e32 v8, 3, v114
                                        ; implicit-def: $vgpr68_vgpr69
	v_add_co_u32 v9, s23, v4, v0
	v_add_co_ci_u32_e64 v32, null, v5, v1, s23
	v_lshlrev_b64 v[4:5], 3, v[13:14]
	v_add_co_u32 v8, s23, v9, v8
	v_add_co_ci_u32_e64 v9, null, 0, v32, s23
	v_add_co_u32 v4, s23, v8, v4
	v_add_co_ci_u32_e64 v5, null, v9, v5, s23
	s_and_saveexec_b32 s23, vcc_lo
	s_cbranch_execnz .LBB1325_196
; %bb.35:
	s_or_b32 exec_lo, exec_lo, s23
                                        ; implicit-def: $vgpr64_vgpr65
	s_and_saveexec_b32 s23, s4
	s_cbranch_execnz .LBB1325_197
.LBB1325_36:
	s_or_b32 exec_lo, exec_lo, s23
                                        ; implicit-def: $vgpr66_vgpr67
	s_and_saveexec_b32 s4, s5
	s_cbranch_execnz .LBB1325_198
.LBB1325_37:
	s_or_b32 exec_lo, exec_lo, s4
                                        ; implicit-def: $vgpr70_vgpr71
	s_and_saveexec_b32 s4, s6
	s_cbranch_execnz .LBB1325_199
.LBB1325_38:
	s_or_b32 exec_lo, exec_lo, s4
                                        ; implicit-def: $vgpr80_vgpr81
	s_and_saveexec_b32 s4, s7
	s_cbranch_execnz .LBB1325_200
.LBB1325_39:
	s_or_b32 exec_lo, exec_lo, s4
                                        ; implicit-def: $vgpr82_vgpr83
	s_and_saveexec_b32 s4, s10
	s_cbranch_execnz .LBB1325_201
.LBB1325_40:
	s_or_b32 exec_lo, exec_lo, s4
                                        ; implicit-def: $vgpr84_vgpr85
	s_and_saveexec_b32 s4, s14
	s_cbranch_execnz .LBB1325_202
.LBB1325_41:
	s_or_b32 exec_lo, exec_lo, s4
                                        ; implicit-def: $vgpr86_vgpr87
	s_and_saveexec_b32 s4, s17
	s_cbranch_execnz .LBB1325_203
.LBB1325_42:
	s_or_b32 exec_lo, exec_lo, s4
                                        ; implicit-def: $vgpr96_vgpr97
	s_and_saveexec_b32 s4, s22
	s_cbranch_execnz .LBB1325_204
.LBB1325_43:
	s_or_b32 exec_lo, exec_lo, s4
                                        ; implicit-def: $vgpr98_vgpr99
	s_and_saveexec_b32 s4, s20
	s_cbranch_execnz .LBB1325_205
.LBB1325_44:
	s_or_b32 exec_lo, exec_lo, s4
                                        ; implicit-def: $vgpr100_vgpr101
	s_and_saveexec_b32 s4, s21
	s_cbranch_execnz .LBB1325_206
.LBB1325_45:
	s_or_b32 exec_lo, exec_lo, s4
                                        ; implicit-def: $vgpr102_vgpr103
	s_and_saveexec_b32 s4, s18
	s_cbranch_execnz .LBB1325_207
.LBB1325_46:
	s_or_b32 exec_lo, exec_lo, s4
                                        ; implicit-def: $vgpr112_vgpr113
	s_and_saveexec_b32 s4, s19
	s_cbranch_execnz .LBB1325_208
.LBB1325_47:
	s_or_b32 exec_lo, exec_lo, s4
                                        ; implicit-def: $vgpr144_vgpr145
	s_and_saveexec_b32 s4, s15
	s_cbranch_execnz .LBB1325_209
.LBB1325_48:
	s_or_b32 exec_lo, exec_lo, s4
                                        ; implicit-def: $vgpr149_vgpr150
	s_and_saveexec_b32 s4, s16
	s_cbranch_execnz .LBB1325_210
.LBB1325_49:
	s_or_b32 exec_lo, exec_lo, s4
                                        ; implicit-def: $vgpr160_vgpr161
	s_and_saveexec_b32 s4, s11
	s_cbranch_execz .LBB1325_51
.LBB1325_50:
	v_add_co_u32 v4, vcc_lo, 0x800, v4
	v_add_co_ci_u32_e64 v5, null, 0, v5, vcc_lo
	flat_load_dwordx2 v[160:161], v[4:5] offset:1792
.LBB1325_51:
	s_or_b32 exec_lo, exec_lo, s4
	s_waitcnt vmcnt(0) lgkmcnt(0)
	v_cmp_gt_i32_e32 vcc_lo, 0, v16
	s_getpc_b64 s[4:5]
	s_add_u32 s4, s4, _ZN7rocprim17ROCPRIM_400000_NS16block_radix_sortIfLj256ELj16ElLj1ELj1ELj8ELNS0_26block_radix_rank_algorithmE2ELNS0_18block_padding_hintE2ELNS0_4arch9wavefront6targetE0EE19radix_bits_per_passE@rel32@lo+4
	s_addc_u32 s5, s5, _ZN7rocprim17ROCPRIM_400000_NS16block_radix_sortIfLj256ELj16ElLj1ELj1ELj8ELNS0_26block_radix_rank_algorithmE2ELNS0_18block_padding_hintE2ELNS0_4arch9wavefront6targetE0EE19radix_bits_per_passE@rel32@hi+12
	v_lshrrev_b32_e32 v197, 5, v48
	s_load_dword s22, s[4:5], 0x0
	v_cmp_lt_u32_e64 s15, 31, v21
	v_cndmask_b32_e64 v4, 0x7fffffff, 0, vcc_lo
	v_cmp_gt_i32_e32 vcc_lo, 0, v15
	v_cmp_eq_u32_e64 s16, 0, v21
	v_sub_nc_u32_e32 v213, v11, v10
	s_mov_b32 s23, 0
	v_xor_b32_e32 v246, v4, v16
	v_cndmask_b32_e64 v5, 0x7fffffff, 0, vcc_lo
	v_cmp_gt_i32_e32 vcc_lo, 0, v18
	s_waitcnt lgkmcnt(0)
	s_waitcnt_vscnt null, 0x0
	s_barrier
	buffer_gl0_inv
	v_xor_b32_e32 v115, v5, v15
	v_cndmask_b32_e64 v8, 0x7fffffff, 0, vcc_lo
	v_cmp_gt_i32_e32 vcc_lo, 0, v17
	v_xor_b32_e32 v117, v8, v18
	v_cndmask_b32_e64 v4, 0x7fffffff, 0, vcc_lo
	v_cmp_gt_i32_e32 vcc_lo, 0, v20
	;; [unrolled: 3-line block ×11, first 2 shown]
	v_lshl_add_u32 v9, v21, 5, v12
	v_xor_b32_e32 v133, v13, v29
	v_cndmask_b32_e64 v4, 0x7fffffff, 0, vcc_lo
	v_cmp_gt_i32_e32 vcc_lo, 0, v31
	v_add_nc_u32_e32 v49, 32, v9
	v_add_nc_u32_e32 v182, 36, v9
	;; [unrolled: 1-line block ×3, first 2 shown]
	v_xor_b32_e32 v167, v4, v28
	v_cndmask_b32_e64 v5, 0x7fffffff, 0, vcc_lo
	v_and_b32_e32 v4, 0x3e0, v21
	v_cmp_gt_i32_e32 vcc_lo, 0, v30
	v_add_nc_u32_e32 v192, 44, v9
	v_add_nc_u32_e32 v193, 48, v9
	v_xor_b32_e32 v165, v5, v31
	v_and_b32_e32 v5, 15, v114
	v_min_u32_e32 v4, 0xe0, v4
	v_cndmask_b32_e64 v8, 0x7fffffff, 0, vcc_lo
	v_add_nc_u32_e32 v194, 52, v9
	v_add_nc_u32_e32 v195, 56, v9
	v_cmp_eq_u32_e32 vcc_lo, 0, v5
	v_cmp_lt_u32_e64 s4, 1, v5
	v_cmp_lt_u32_e64 s5, 3, v5
	v_or_b32_e32 v4, 31, v4
	v_cmp_lt_u32_e64 s6, 7, v5
	v_lshlrev_b32_e32 v5, 4, v21
	v_add_nc_u32_e32 v196, 60, v9
	v_sub_co_u32 v9, s7, v114, 1
	v_cmp_eq_u32_e64 s11, v21, v4
	v_and_or_b32 v4, 0x3e00, v5, v114
	v_xor_b32_e32 v147, v8, v30
	v_and_b32_e32 v8, 16, v114
	v_cmp_gt_i32_e64 s14, 0, v9
	v_lshrrev_b32_e32 v5, 3, v21
	v_lshlrev_b32_e32 v4, 2, v4
	v_cmp_eq_u32_e64 s10, 0, v8
	v_cndmask_b32_e64 v8, v9, v114, s14
	v_and_b32_e32 v5, 0x7c, v5
	v_add_nc_u32_e32 v208, v12, v4
	v_and_b32_e32 v9, 7, v114
	v_cmp_gt_u32_e64 s14, 8, v21
	v_lshlrev_b32_e32 v199, 2, v8
	v_lshlrev_b32_e32 v8, 2, v21
	v_add_nc_u32_e32 v210, v208, v4
	v_add_nc_u32_e32 v209, v12, v5
	v_mov_b32_e32 v5, 0
	v_cmp_eq_u32_e64 s17, 0, v9
	v_add_co_u32 v198, null, v12, v8
	v_cmp_lt_u32_e64 s18, 1, v9
	v_cmp_lt_u32_e64 s19, 3, v9
	v_add_nc_u32_e32 v211, 0xe00, v210
	v_add_nc_u32_e32 v212, 0xf00, v210
	s_branch .LBB1325_53
.LBB1325_52:                            ;   in Loop: Header=BB1325_53 Depth=1
	s_or_b32 exec_lo, exec_lo, s21
	s_and_b32 s20, exec_lo, s26
	s_or_b32 s23, s20, s23
	s_andn2_b32 exec_lo, exec_lo, s23
	s_cbranch_execz .LBB1325_93
.LBB1325_53:                            ; =>This Inner Loop Header: Depth=1
	v_mov_b32_e32 v214, v246
	v_min_u32_e32 v4, s22, v213
	v_mov_b32_e32 v8, v68
	v_mov_b32_e32 v9, v69
	;; [unrolled: 1-line block ×3, first 2 shown]
	v_cmp_ne_u32_e64 s20, 0x80000000, v214
	v_lshlrev_b32_e64 v4, v4, -1
	v_mov_b32_e32 v29, v65
	v_mov_b32_e32 v22, v66
	;; [unrolled: 1-line block ×3, first 2 shown]
	v_cndmask_b32_e64 v13, 0x7fffffff, v214, s20
	v_not_b32_e32 v68, v4
	v_mov_b32_e32 v19, v70
	v_mov_b32_e32 v54, v80
	v_mov_b32_e32 v52, v82
	v_lshrrev_b32_e32 v4, v10, v13
	v_mov_b32_e32 v32, v84
	v_mov_b32_e32 v38, v86
	;; [unrolled: 1-line block ×4, first 2 shown]
	v_and_b32_e32 v4, v4, v68
	v_mov_b32_e32 v30, v100
	v_mov_b32_e32 v24, v102
	;; [unrolled: 1-line block ×4, first 2 shown]
	v_and_b32_e32 v64, 1, v4
	v_lshlrev_b32_e32 v66, 30, v4
	v_lshlrev_b32_e32 v67, 29, v4
	;; [unrolled: 1-line block ×3, first 2 shown]
	v_mov_b32_e32 v13, v149
	v_add_co_u32 v64, s20, v64, -1
	v_cndmask_b32_e64 v65, 0, 1, s20
	v_mov_b32_e32 v26, v160
	v_mov_b32_e32 v20, v71
	;; [unrolled: 1-line block ×4, first 2 shown]
	v_cmp_ne_u32_e64 s20, 0, v65
	v_not_b32_e32 v65, v66
	v_mov_b32_e32 v33, v85
	v_mov_b32_e32 v39, v87
	;; [unrolled: 1-line block ×3, first 2 shown]
	v_xor_b32_e32 v64, s20, v64
	v_cmp_gt_i32_e64 s20, 0, v66
	v_ashrrev_i32_e32 v65, 31, v65
	v_not_b32_e32 v66, v67
	v_mov_b32_e32 v35, v99
	v_and_b32_e32 v64, exec_lo, v64
	v_mov_b32_e32 v31, v101
	v_xor_b32_e32 v65, s20, v65
	v_cmp_gt_i32_e64 s20, 0, v67
	v_ashrrev_i32_e32 v66, 31, v66
	v_not_b32_e32 v67, v69
	v_mov_b32_e32 v25, v103
	v_and_b32_e32 v64, v64, v65
	v_lshlrev_b32_e32 v65, 27, v4
	v_xor_b32_e32 v66, s20, v66
	v_cmp_gt_i32_e64 s20, 0, v69
	v_ashrrev_i32_e32 v67, 31, v67
	v_mov_b32_e32 v18, v113
	v_not_b32_e32 v69, v65
	v_and_b32_e32 v64, v64, v66
	v_lshlrev_b32_e32 v66, 26, v4
	v_xor_b32_e32 v67, s20, v67
	v_cmp_gt_i32_e64 s20, 0, v65
	v_ashrrev_i32_e32 v65, 31, v69
	v_mov_b32_e32 v16, v145
	v_not_b32_e32 v69, v66
	;; [unrolled: 7-line block ×3, first 2 shown]
	v_and_b32_e32 v64, v64, v65
	v_lshlrev_b32_e32 v65, 24, v4
	v_xor_b32_e32 v66, s20, v66
	v_cmp_gt_i32_e64 s20, 0, v67
	v_ashrrev_i32_e32 v67, 31, v69
	v_lshl_add_u32 v4, v4, 3, v197
	v_not_b32_e32 v69, v65
	v_and_b32_e32 v64, v64, v66
	v_mov_b32_e32 v27, v161
	v_xor_b32_e32 v66, s20, v67
	v_cmp_gt_i32_e64 s20, 0, v65
	v_ashrrev_i32_e32 v65, 31, v69
	v_mov_b32_e32 v224, v115
	v_mov_b32_e32 v215, v117
	v_and_b32_e32 v64, v64, v66
	v_lshlrev_b64 v[66:67], 2, v[4:5]
	v_xor_b32_e32 v65, s20, v65
	v_mov_b32_e32 v225, v129
	v_mov_b32_e32 v227, v119
	;; [unrolled: 1-line block ×4, first 2 shown]
	v_and_b32_e32 v65, v64, v65
	v_add_co_u32 v64, null, v12, v66
	v_mov_b32_e32 v229, v179
	v_mov_b32_e32 v230, v247
	v_mbcnt_lo_u32_b32 v4, v65, 0
	v_cmp_ne_u32_e64 s21, 0, v65
	v_mov_b32_e32 v231, v181
	v_mov_b32_e32 v240, v163
	v_mov_b32_e32 v241, v135
	v_cmp_eq_u32_e64 s20, 0, v4
	v_mov_b32_e32 v242, v133
	v_mov_b32_e32 v243, v167
	;; [unrolled: 1-line block ×4, first 2 shown]
	v_add_co_u32 v64, null, v64, 32
	s_and_b32 s21, s21, s20
	ds_write_b32 v49, v5
	ds_write_b32 v182, v5
	;; [unrolled: 1-line block ×8, first 2 shown]
	s_waitcnt lgkmcnt(0)
	s_barrier
	buffer_gl0_inv
	; wave barrier
	s_and_saveexec_b32 s20, s21
; %bb.54:                               ;   in Loop: Header=BB1325_53 Depth=1
	v_bcnt_u32_b32 v65, v65, 0
	ds_write_b32 v64, v65
; %bb.55:                               ;   in Loop: Header=BB1325_53 Depth=1
	s_or_b32 exec_lo, exec_lo, s20
	v_cmp_ne_u32_e64 s20, 0x80000000, v224
	; wave barrier
	v_cndmask_b32_e64 v65, 0x7fffffff, v224, s20
	v_lshrrev_b32_e32 v65, v10, v65
	v_and_b32_e32 v65, v65, v68
	v_and_b32_e32 v66, 1, v65
	v_lshlrev_b32_e32 v67, 30, v65
	v_lshlrev_b32_e32 v69, 29, v65
	;; [unrolled: 1-line block ×4, first 2 shown]
	v_add_co_u32 v66, s20, v66, -1
	v_cndmask_b32_e64 v71, 0, 1, s20
	v_not_b32_e32 v83, v67
	v_cmp_gt_i32_e64 s21, 0, v67
	v_not_b32_e32 v67, v69
	v_lshlrev_b32_e32 v81, 26, v65
	v_cmp_ne_u32_e64 s20, 0, v71
	v_ashrrev_i32_e32 v83, 31, v83
	v_lshlrev_b32_e32 v82, 25, v65
	v_ashrrev_i32_e32 v67, 31, v67
	v_lshlrev_b32_e32 v71, 24, v65
	v_xor_b32_e32 v66, s20, v66
	v_cmp_gt_i32_e64 s20, 0, v69
	v_not_b32_e32 v69, v70
	v_xor_b32_e32 v83, s21, v83
	v_cmp_gt_i32_e64 s21, 0, v70
	v_and_b32_e32 v66, exec_lo, v66
	v_not_b32_e32 v70, v80
	v_ashrrev_i32_e32 v69, 31, v69
	v_xor_b32_e32 v67, s20, v67
	v_cmp_gt_i32_e64 s20, 0, v80
	v_and_b32_e32 v66, v66, v83
	v_not_b32_e32 v80, v81
	v_ashrrev_i32_e32 v70, 31, v70
	v_xor_b32_e32 v69, s21, v69
	v_cmp_gt_i32_e64 s21, 0, v81
	v_and_b32_e32 v66, v66, v67
	;; [unrolled: 5-line block ×3, first 2 shown]
	v_not_b32_e32 v69, v71
	v_ashrrev_i32_e32 v67, 31, v67
	v_xor_b32_e32 v80, s21, v80
	v_lshl_add_u32 v65, v65, 3, v197
	v_and_b32_e32 v66, v66, v70
	v_cmp_gt_i32_e64 s21, 0, v71
	v_ashrrev_i32_e32 v69, 31, v69
	v_xor_b32_e32 v67, s20, v67
	v_lshl_add_u32 v70, v65, 2, v12
	v_and_b32_e32 v66, v66, v80
	v_xor_b32_e32 v69, s21, v69
	ds_read_b32 v65, v70 offset:32
	v_and_b32_e32 v66, v66, v67
	v_add_nc_u32_e32 v67, 32, v70
	; wave barrier
	v_and_b32_e32 v69, v66, v69
	v_mbcnt_lo_u32_b32 v66, v69, 0
	v_cmp_ne_u32_e64 s21, 0, v69
	v_cmp_eq_u32_e64 s20, 0, v66
	s_and_b32 s21, s21, s20
	s_and_saveexec_b32 s20, s21
	s_cbranch_execz .LBB1325_57
; %bb.56:                               ;   in Loop: Header=BB1325_53 Depth=1
	s_waitcnt lgkmcnt(0)
	v_bcnt_u32_b32 v69, v69, v65
	ds_write_b32 v67, v69
.LBB1325_57:                            ;   in Loop: Header=BB1325_53 Depth=1
	s_or_b32 exec_lo, exec_lo, s20
	v_cmp_ne_u32_e64 s20, 0x80000000, v215
	; wave barrier
	v_cndmask_b32_e64 v69, 0x7fffffff, v215, s20
	v_lshrrev_b32_e32 v69, v10, v69
	v_and_b32_e32 v69, v69, v68
	v_and_b32_e32 v70, 1, v69
	v_lshlrev_b32_e32 v71, 30, v69
	v_lshlrev_b32_e32 v80, 29, v69
	v_lshlrev_b32_e32 v81, 28, v69
	v_lshlrev_b32_e32 v83, 27, v69
	v_add_co_u32 v70, s20, v70, -1
	v_cndmask_b32_e64 v82, 0, 1, s20
	v_not_b32_e32 v86, v71
	v_cmp_gt_i32_e64 s21, 0, v71
	v_not_b32_e32 v71, v80
	v_lshlrev_b32_e32 v84, 26, v69
	v_cmp_ne_u32_e64 s20, 0, v82
	v_ashrrev_i32_e32 v86, 31, v86
	v_lshlrev_b32_e32 v85, 25, v69
	v_ashrrev_i32_e32 v71, 31, v71
	v_lshlrev_b32_e32 v82, 24, v69
	v_xor_b32_e32 v70, s20, v70
	v_cmp_gt_i32_e64 s20, 0, v80
	v_not_b32_e32 v80, v81
	v_xor_b32_e32 v86, s21, v86
	v_cmp_gt_i32_e64 s21, 0, v81
	v_and_b32_e32 v70, exec_lo, v70
	v_not_b32_e32 v81, v83
	v_ashrrev_i32_e32 v80, 31, v80
	v_xor_b32_e32 v71, s20, v71
	v_cmp_gt_i32_e64 s20, 0, v83
	v_and_b32_e32 v70, v70, v86
	v_not_b32_e32 v83, v84
	v_ashrrev_i32_e32 v81, 31, v81
	v_xor_b32_e32 v80, s21, v80
	v_cmp_gt_i32_e64 s21, 0, v84
	v_and_b32_e32 v70, v70, v71
	;; [unrolled: 5-line block ×3, first 2 shown]
	v_not_b32_e32 v80, v82
	v_ashrrev_i32_e32 v71, 31, v71
	v_xor_b32_e32 v83, s21, v83
	v_lshl_add_u32 v69, v69, 3, v197
	v_and_b32_e32 v70, v70, v81
	v_cmp_gt_i32_e64 s21, 0, v82
	v_ashrrev_i32_e32 v80, 31, v80
	v_xor_b32_e32 v71, s20, v71
	v_lshl_add_u32 v81, v69, 2, v12
	v_and_b32_e32 v70, v70, v83
	v_xor_b32_e32 v80, s21, v80
	ds_read_b32 v69, v81 offset:32
	v_and_b32_e32 v70, v70, v71
	v_add_nc_u32_e32 v71, 32, v81
	; wave barrier
	v_and_b32_e32 v80, v70, v80
	v_mbcnt_lo_u32_b32 v70, v80, 0
	v_cmp_ne_u32_e64 s21, 0, v80
	v_cmp_eq_u32_e64 s20, 0, v70
	s_and_b32 s21, s21, s20
	s_and_saveexec_b32 s20, s21
	s_cbranch_execz .LBB1325_59
; %bb.58:                               ;   in Loop: Header=BB1325_53 Depth=1
	s_waitcnt lgkmcnt(0)
	v_bcnt_u32_b32 v80, v80, v69
	ds_write_b32 v71, v80
.LBB1325_59:                            ;   in Loop: Header=BB1325_53 Depth=1
	s_or_b32 exec_lo, exec_lo, s20
	v_cmp_ne_u32_e64 s20, 0x80000000, v225
	; wave barrier
	v_cndmask_b32_e64 v80, 0x7fffffff, v225, s20
	v_lshrrev_b32_e32 v80, v10, v80
	v_and_b32_e32 v80, v80, v68
	v_and_b32_e32 v81, 1, v80
	v_lshlrev_b32_e32 v82, 30, v80
	v_lshlrev_b32_e32 v83, 29, v80
	;; [unrolled: 1-line block ×4, first 2 shown]
	v_add_co_u32 v81, s20, v81, -1
	v_cndmask_b32_e64 v85, 0, 1, s20
	v_not_b32_e32 v97, v82
	v_cmp_gt_i32_e64 s21, 0, v82
	v_not_b32_e32 v82, v83
	v_lshlrev_b32_e32 v87, 26, v80
	v_cmp_ne_u32_e64 s20, 0, v85
	v_ashrrev_i32_e32 v97, 31, v97
	v_lshlrev_b32_e32 v96, 25, v80
	v_ashrrev_i32_e32 v82, 31, v82
	v_lshlrev_b32_e32 v85, 24, v80
	v_xor_b32_e32 v81, s20, v81
	v_cmp_gt_i32_e64 s20, 0, v83
	v_not_b32_e32 v83, v84
	v_xor_b32_e32 v97, s21, v97
	v_cmp_gt_i32_e64 s21, 0, v84
	v_and_b32_e32 v81, exec_lo, v81
	v_not_b32_e32 v84, v86
	v_ashrrev_i32_e32 v83, 31, v83
	v_xor_b32_e32 v82, s20, v82
	v_cmp_gt_i32_e64 s20, 0, v86
	v_and_b32_e32 v81, v81, v97
	v_not_b32_e32 v86, v87
	v_ashrrev_i32_e32 v84, 31, v84
	v_xor_b32_e32 v83, s21, v83
	v_cmp_gt_i32_e64 s21, 0, v87
	v_and_b32_e32 v81, v81, v82
	;; [unrolled: 5-line block ×3, first 2 shown]
	v_not_b32_e32 v83, v85
	v_ashrrev_i32_e32 v82, 31, v82
	v_xor_b32_e32 v86, s21, v86
	v_lshl_add_u32 v80, v80, 3, v197
	v_and_b32_e32 v81, v81, v84
	v_cmp_gt_i32_e64 s21, 0, v85
	v_ashrrev_i32_e32 v83, 31, v83
	v_xor_b32_e32 v82, s20, v82
	v_lshl_add_u32 v84, v80, 2, v12
	v_and_b32_e32 v81, v81, v86
	v_xor_b32_e32 v83, s21, v83
	ds_read_b32 v80, v84 offset:32
	v_and_b32_e32 v81, v81, v82
	v_add_nc_u32_e32 v82, 32, v84
	; wave barrier
	v_and_b32_e32 v83, v81, v83
	v_mbcnt_lo_u32_b32 v81, v83, 0
	v_cmp_ne_u32_e64 s21, 0, v83
	v_cmp_eq_u32_e64 s20, 0, v81
	s_and_b32 s21, s21, s20
	s_and_saveexec_b32 s20, s21
	s_cbranch_execz .LBB1325_61
; %bb.60:                               ;   in Loop: Header=BB1325_53 Depth=1
	s_waitcnt lgkmcnt(0)
	v_bcnt_u32_b32 v83, v83, v80
	ds_write_b32 v82, v83
.LBB1325_61:                            ;   in Loop: Header=BB1325_53 Depth=1
	s_or_b32 exec_lo, exec_lo, s20
	v_cmp_ne_u32_e64 s20, 0x80000000, v227
	; wave barrier
	v_cndmask_b32_e64 v83, 0x7fffffff, v227, s20
	v_lshrrev_b32_e32 v83, v10, v83
	v_and_b32_e32 v83, v83, v68
	v_and_b32_e32 v84, 1, v83
	v_lshlrev_b32_e32 v85, 30, v83
	v_lshlrev_b32_e32 v86, 29, v83
	;; [unrolled: 1-line block ×4, first 2 shown]
	v_add_co_u32 v84, s20, v84, -1
	v_cndmask_b32_e64 v96, 0, 1, s20
	v_not_b32_e32 v100, v85
	v_cmp_gt_i32_e64 s21, 0, v85
	v_not_b32_e32 v85, v86
	v_lshlrev_b32_e32 v98, 26, v83
	v_cmp_ne_u32_e64 s20, 0, v96
	v_ashrrev_i32_e32 v100, 31, v100
	v_lshlrev_b32_e32 v99, 25, v83
	v_ashrrev_i32_e32 v85, 31, v85
	v_lshlrev_b32_e32 v96, 24, v83
	v_xor_b32_e32 v84, s20, v84
	v_cmp_gt_i32_e64 s20, 0, v86
	v_not_b32_e32 v86, v87
	v_xor_b32_e32 v100, s21, v100
	v_cmp_gt_i32_e64 s21, 0, v87
	v_and_b32_e32 v84, exec_lo, v84
	v_not_b32_e32 v87, v97
	v_ashrrev_i32_e32 v86, 31, v86
	v_xor_b32_e32 v85, s20, v85
	v_cmp_gt_i32_e64 s20, 0, v97
	v_and_b32_e32 v84, v84, v100
	v_not_b32_e32 v97, v98
	v_ashrrev_i32_e32 v87, 31, v87
	v_xor_b32_e32 v86, s21, v86
	v_cmp_gt_i32_e64 s21, 0, v98
	v_and_b32_e32 v84, v84, v85
	;; [unrolled: 5-line block ×3, first 2 shown]
	v_not_b32_e32 v86, v96
	v_ashrrev_i32_e32 v85, 31, v85
	v_xor_b32_e32 v97, s21, v97
	v_lshl_add_u32 v83, v83, 3, v197
	v_and_b32_e32 v84, v84, v87
	v_cmp_gt_i32_e64 s21, 0, v96
	v_ashrrev_i32_e32 v86, 31, v86
	v_xor_b32_e32 v85, s20, v85
	v_lshl_add_u32 v87, v83, 2, v12
	v_and_b32_e32 v84, v84, v97
	v_xor_b32_e32 v86, s21, v86
	ds_read_b32 v83, v87 offset:32
	v_and_b32_e32 v84, v84, v85
	v_add_nc_u32_e32 v85, 32, v87
	; wave barrier
	v_and_b32_e32 v86, v84, v86
	v_mbcnt_lo_u32_b32 v84, v86, 0
	v_cmp_ne_u32_e64 s21, 0, v86
	v_cmp_eq_u32_e64 s20, 0, v84
	s_and_b32 s21, s21, s20
	s_and_saveexec_b32 s20, s21
	s_cbranch_execz .LBB1325_63
; %bb.62:                               ;   in Loop: Header=BB1325_53 Depth=1
	s_waitcnt lgkmcnt(0)
	v_bcnt_u32_b32 v86, v86, v83
	ds_write_b32 v85, v86
.LBB1325_63:                            ;   in Loop: Header=BB1325_53 Depth=1
	s_or_b32 exec_lo, exec_lo, s20
	v_cmp_ne_u32_e64 s20, 0x80000000, v226
	; wave barrier
	v_cndmask_b32_e64 v86, 0x7fffffff, v226, s20
	v_lshrrev_b32_e32 v86, v10, v86
	v_and_b32_e32 v86, v86, v68
	v_and_b32_e32 v87, 1, v86
	v_lshlrev_b32_e32 v96, 30, v86
	v_lshlrev_b32_e32 v97, 29, v86
	;; [unrolled: 1-line block ×4, first 2 shown]
	v_add_co_u32 v87, s20, v87, -1
	v_cndmask_b32_e64 v99, 0, 1, s20
	v_not_b32_e32 v103, v96
	v_cmp_gt_i32_e64 s21, 0, v96
	v_not_b32_e32 v96, v97
	v_lshlrev_b32_e32 v101, 26, v86
	v_cmp_ne_u32_e64 s20, 0, v99
	v_ashrrev_i32_e32 v103, 31, v103
	v_lshlrev_b32_e32 v102, 25, v86
	v_ashrrev_i32_e32 v96, 31, v96
	v_lshlrev_b32_e32 v99, 24, v86
	v_xor_b32_e32 v87, s20, v87
	v_cmp_gt_i32_e64 s20, 0, v97
	v_not_b32_e32 v97, v98
	v_xor_b32_e32 v103, s21, v103
	v_cmp_gt_i32_e64 s21, 0, v98
	v_and_b32_e32 v87, exec_lo, v87
	v_not_b32_e32 v98, v100
	v_ashrrev_i32_e32 v97, 31, v97
	v_xor_b32_e32 v96, s20, v96
	v_cmp_gt_i32_e64 s20, 0, v100
	v_and_b32_e32 v87, v87, v103
	v_not_b32_e32 v100, v101
	v_ashrrev_i32_e32 v98, 31, v98
	v_xor_b32_e32 v97, s21, v97
	v_cmp_gt_i32_e64 s21, 0, v101
	v_and_b32_e32 v87, v87, v96
	;; [unrolled: 5-line block ×3, first 2 shown]
	v_not_b32_e32 v97, v99
	v_ashrrev_i32_e32 v96, 31, v96
	v_xor_b32_e32 v100, s21, v100
	v_lshl_add_u32 v86, v86, 3, v197
	v_and_b32_e32 v87, v87, v98
	v_cmp_gt_i32_e64 s21, 0, v99
	v_ashrrev_i32_e32 v97, 31, v97
	v_xor_b32_e32 v96, s20, v96
	v_lshl_add_u32 v98, v86, 2, v12
	v_and_b32_e32 v87, v87, v100
	v_xor_b32_e32 v97, s21, v97
	ds_read_b32 v86, v98 offset:32
	v_and_b32_e32 v87, v87, v96
	v_add_nc_u32_e32 v96, 32, v98
	; wave barrier
	v_and_b32_e32 v97, v87, v97
	v_mbcnt_lo_u32_b32 v87, v97, 0
	v_cmp_ne_u32_e64 s21, 0, v97
	v_cmp_eq_u32_e64 s20, 0, v87
	s_and_b32 s21, s21, s20
	s_and_saveexec_b32 s20, s21
	s_cbranch_execz .LBB1325_65
; %bb.64:                               ;   in Loop: Header=BB1325_53 Depth=1
	s_waitcnt lgkmcnt(0)
	v_bcnt_u32_b32 v97, v97, v86
	ds_write_b32 v96, v97
.LBB1325_65:                            ;   in Loop: Header=BB1325_53 Depth=1
	s_or_b32 exec_lo, exec_lo, s20
	v_cmp_ne_u32_e64 s20, 0x80000000, v228
	; wave barrier
	v_cndmask_b32_e64 v97, 0x7fffffff, v228, s20
	v_lshrrev_b32_e32 v97, v10, v97
	v_and_b32_e32 v97, v97, v68
	v_and_b32_e32 v98, 1, v97
	v_lshlrev_b32_e32 v99, 30, v97
	v_lshlrev_b32_e32 v100, 29, v97
	;; [unrolled: 1-line block ×4, first 2 shown]
	v_add_co_u32 v98, s20, v98, -1
	v_cndmask_b32_e64 v102, 0, 1, s20
	v_not_b32_e32 v114, v99
	v_cmp_gt_i32_e64 s21, 0, v99
	v_not_b32_e32 v99, v100
	v_lshlrev_b32_e32 v112, 26, v97
	v_cmp_ne_u32_e64 s20, 0, v102
	v_ashrrev_i32_e32 v114, 31, v114
	v_lshlrev_b32_e32 v113, 25, v97
	v_ashrrev_i32_e32 v99, 31, v99
	v_lshlrev_b32_e32 v102, 24, v97
	v_xor_b32_e32 v98, s20, v98
	v_cmp_gt_i32_e64 s20, 0, v100
	v_not_b32_e32 v100, v101
	v_xor_b32_e32 v114, s21, v114
	v_cmp_gt_i32_e64 s21, 0, v101
	v_and_b32_e32 v98, exec_lo, v98
	v_not_b32_e32 v101, v103
	v_ashrrev_i32_e32 v100, 31, v100
	v_xor_b32_e32 v99, s20, v99
	v_cmp_gt_i32_e64 s20, 0, v103
	v_and_b32_e32 v98, v98, v114
	v_not_b32_e32 v103, v112
	v_ashrrev_i32_e32 v101, 31, v101
	v_xor_b32_e32 v100, s21, v100
	v_cmp_gt_i32_e64 s21, 0, v112
	v_and_b32_e32 v98, v98, v99
	;; [unrolled: 5-line block ×3, first 2 shown]
	v_not_b32_e32 v100, v102
	v_ashrrev_i32_e32 v99, 31, v99
	v_xor_b32_e32 v103, s21, v103
	v_lshl_add_u32 v97, v97, 3, v197
	v_and_b32_e32 v98, v98, v101
	v_cmp_gt_i32_e64 s21, 0, v102
	v_ashrrev_i32_e32 v100, 31, v100
	v_xor_b32_e32 v99, s20, v99
	v_lshl_add_u32 v101, v97, 2, v12
	v_and_b32_e32 v98, v98, v103
	v_xor_b32_e32 v100, s21, v100
	ds_read_b32 v97, v101 offset:32
	v_and_b32_e32 v98, v98, v99
	v_add_nc_u32_e32 v99, 32, v101
	; wave barrier
	v_and_b32_e32 v100, v98, v100
	v_mbcnt_lo_u32_b32 v98, v100, 0
	v_cmp_ne_u32_e64 s21, 0, v100
	v_cmp_eq_u32_e64 s20, 0, v98
	s_and_b32 s21, s21, s20
	s_and_saveexec_b32 s20, s21
	s_cbranch_execz .LBB1325_67
; %bb.66:                               ;   in Loop: Header=BB1325_53 Depth=1
	s_waitcnt lgkmcnt(0)
	v_bcnt_u32_b32 v100, v100, v97
	ds_write_b32 v99, v100
.LBB1325_67:                            ;   in Loop: Header=BB1325_53 Depth=1
	s_or_b32 exec_lo, exec_lo, s20
	v_cmp_ne_u32_e64 s20, 0x80000000, v229
	; wave barrier
	v_cndmask_b32_e64 v100, 0x7fffffff, v229, s20
	v_lshrrev_b32_e32 v100, v10, v100
	v_and_b32_e32 v100, v100, v68
	v_and_b32_e32 v101, 1, v100
	v_lshlrev_b32_e32 v102, 30, v100
	v_lshlrev_b32_e32 v103, 29, v100
	;; [unrolled: 1-line block ×4, first 2 shown]
	v_add_co_u32 v101, s20, v101, -1
	v_cndmask_b32_e64 v113, 0, 1, s20
	v_not_b32_e32 v117, v102
	v_cmp_gt_i32_e64 s21, 0, v102
	v_not_b32_e32 v102, v103
	v_lshlrev_b32_e32 v115, 26, v100
	v_cmp_ne_u32_e64 s20, 0, v113
	v_ashrrev_i32_e32 v117, 31, v117
	v_lshlrev_b32_e32 v116, 25, v100
	v_ashrrev_i32_e32 v102, 31, v102
	v_lshlrev_b32_e32 v113, 24, v100
	v_xor_b32_e32 v101, s20, v101
	v_cmp_gt_i32_e64 s20, 0, v103
	v_not_b32_e32 v103, v112
	v_xor_b32_e32 v117, s21, v117
	v_cmp_gt_i32_e64 s21, 0, v112
	v_and_b32_e32 v101, exec_lo, v101
	v_not_b32_e32 v112, v114
	v_ashrrev_i32_e32 v103, 31, v103
	v_xor_b32_e32 v102, s20, v102
	v_cmp_gt_i32_e64 s20, 0, v114
	v_and_b32_e32 v101, v101, v117
	v_not_b32_e32 v114, v115
	v_ashrrev_i32_e32 v112, 31, v112
	v_xor_b32_e32 v103, s21, v103
	v_cmp_gt_i32_e64 s21, 0, v115
	v_and_b32_e32 v101, v101, v102
	;; [unrolled: 5-line block ×3, first 2 shown]
	v_not_b32_e32 v103, v113
	v_ashrrev_i32_e32 v102, 31, v102
	v_xor_b32_e32 v114, s21, v114
	v_lshl_add_u32 v100, v100, 3, v197
	v_and_b32_e32 v101, v101, v112
	v_cmp_gt_i32_e64 s21, 0, v113
	v_ashrrev_i32_e32 v103, 31, v103
	v_xor_b32_e32 v102, s20, v102
	v_lshl_add_u32 v112, v100, 2, v12
	v_and_b32_e32 v101, v101, v114
	v_xor_b32_e32 v103, s21, v103
	ds_read_b32 v100, v112 offset:32
	v_and_b32_e32 v101, v101, v102
	v_add_nc_u32_e32 v102, 32, v112
	; wave barrier
	v_and_b32_e32 v103, v101, v103
	v_mbcnt_lo_u32_b32 v101, v103, 0
	v_cmp_ne_u32_e64 s21, 0, v103
	v_cmp_eq_u32_e64 s20, 0, v101
	s_and_b32 s21, s21, s20
	s_and_saveexec_b32 s20, s21
	s_cbranch_execz .LBB1325_69
; %bb.68:                               ;   in Loop: Header=BB1325_53 Depth=1
	s_waitcnt lgkmcnt(0)
	v_bcnt_u32_b32 v103, v103, v100
	ds_write_b32 v102, v103
.LBB1325_69:                            ;   in Loop: Header=BB1325_53 Depth=1
	s_or_b32 exec_lo, exec_lo, s20
	v_cmp_ne_u32_e64 s20, 0x80000000, v230
	; wave barrier
	v_cndmask_b32_e64 v103, 0x7fffffff, v230, s20
	v_lshrrev_b32_e32 v103, v10, v103
	v_and_b32_e32 v103, v103, v68
	v_and_b32_e32 v112, 1, v103
	v_lshlrev_b32_e32 v113, 30, v103
	v_lshlrev_b32_e32 v114, 29, v103
	;; [unrolled: 1-line block ×4, first 2 shown]
	v_add_co_u32 v112, s20, v112, -1
	v_cndmask_b32_e64 v116, 0, 1, s20
	v_not_b32_e32 v128, v113
	v_cmp_gt_i32_e64 s21, 0, v113
	v_not_b32_e32 v113, v114
	v_lshlrev_b32_e32 v118, 26, v103
	v_cmp_ne_u32_e64 s20, 0, v116
	v_ashrrev_i32_e32 v128, 31, v128
	v_lshlrev_b32_e32 v119, 25, v103
	v_ashrrev_i32_e32 v113, 31, v113
	v_lshlrev_b32_e32 v116, 24, v103
	v_xor_b32_e32 v112, s20, v112
	v_cmp_gt_i32_e64 s20, 0, v114
	v_not_b32_e32 v114, v115
	v_xor_b32_e32 v128, s21, v128
	v_cmp_gt_i32_e64 s21, 0, v115
	v_and_b32_e32 v112, exec_lo, v112
	v_not_b32_e32 v115, v117
	v_ashrrev_i32_e32 v114, 31, v114
	v_xor_b32_e32 v113, s20, v113
	v_cmp_gt_i32_e64 s20, 0, v117
	v_and_b32_e32 v112, v112, v128
	v_not_b32_e32 v117, v118
	v_ashrrev_i32_e32 v115, 31, v115
	v_xor_b32_e32 v114, s21, v114
	v_cmp_gt_i32_e64 s21, 0, v118
	v_and_b32_e32 v112, v112, v113
	;; [unrolled: 5-line block ×3, first 2 shown]
	v_not_b32_e32 v114, v116
	v_ashrrev_i32_e32 v113, 31, v113
	v_xor_b32_e32 v117, s21, v117
	v_lshl_add_u32 v103, v103, 3, v197
	v_and_b32_e32 v112, v112, v115
	v_cmp_gt_i32_e64 s21, 0, v116
	v_ashrrev_i32_e32 v114, 31, v114
	v_xor_b32_e32 v113, s20, v113
	v_lshl_add_u32 v115, v103, 2, v12
	v_and_b32_e32 v112, v112, v117
	v_xor_b32_e32 v114, s21, v114
	ds_read_b32 v103, v115 offset:32
	v_and_b32_e32 v112, v112, v113
	v_add_nc_u32_e32 v113, 32, v115
	; wave barrier
	v_and_b32_e32 v114, v112, v114
	v_mbcnt_lo_u32_b32 v112, v114, 0
	v_cmp_ne_u32_e64 s21, 0, v114
	v_cmp_eq_u32_e64 s20, 0, v112
	s_and_b32 s21, s21, s20
	s_and_saveexec_b32 s20, s21
	s_cbranch_execz .LBB1325_71
; %bb.70:                               ;   in Loop: Header=BB1325_53 Depth=1
	s_waitcnt lgkmcnt(0)
	v_bcnt_u32_b32 v114, v114, v103
	ds_write_b32 v113, v114
.LBB1325_71:                            ;   in Loop: Header=BB1325_53 Depth=1
	s_or_b32 exec_lo, exec_lo, s20
	v_cmp_ne_u32_e64 s20, 0x80000000, v231
	; wave barrier
	v_cndmask_b32_e64 v114, 0x7fffffff, v231, s20
	v_lshrrev_b32_e32 v114, v10, v114
	v_and_b32_e32 v114, v114, v68
	v_and_b32_e32 v115, 1, v114
	v_lshlrev_b32_e32 v116, 30, v114
	v_lshlrev_b32_e32 v117, 29, v114
	;; [unrolled: 1-line block ×4, first 2 shown]
	v_add_co_u32 v115, s20, v115, -1
	v_cndmask_b32_e64 v119, 0, 1, s20
	v_not_b32_e32 v131, v116
	v_cmp_gt_i32_e64 s21, 0, v116
	v_not_b32_e32 v116, v117
	v_lshlrev_b32_e32 v129, 26, v114
	v_cmp_ne_u32_e64 s20, 0, v119
	v_ashrrev_i32_e32 v131, 31, v131
	v_lshlrev_b32_e32 v130, 25, v114
	v_ashrrev_i32_e32 v116, 31, v116
	v_lshlrev_b32_e32 v119, 24, v114
	v_xor_b32_e32 v115, s20, v115
	v_cmp_gt_i32_e64 s20, 0, v117
	v_not_b32_e32 v117, v118
	v_xor_b32_e32 v131, s21, v131
	v_cmp_gt_i32_e64 s21, 0, v118
	v_and_b32_e32 v115, exec_lo, v115
	v_not_b32_e32 v118, v128
	v_ashrrev_i32_e32 v117, 31, v117
	v_xor_b32_e32 v116, s20, v116
	v_cmp_gt_i32_e64 s20, 0, v128
	v_and_b32_e32 v115, v115, v131
	v_not_b32_e32 v128, v129
	v_ashrrev_i32_e32 v118, 31, v118
	v_xor_b32_e32 v117, s21, v117
	v_cmp_gt_i32_e64 s21, 0, v129
	v_and_b32_e32 v115, v115, v116
	;; [unrolled: 5-line block ×3, first 2 shown]
	v_not_b32_e32 v117, v119
	v_ashrrev_i32_e32 v116, 31, v116
	v_xor_b32_e32 v128, s21, v128
	v_lshl_add_u32 v114, v114, 3, v197
	v_and_b32_e32 v115, v115, v118
	v_cmp_gt_i32_e64 s21, 0, v119
	v_ashrrev_i32_e32 v117, 31, v117
	v_xor_b32_e32 v116, s20, v116
	v_lshl_add_u32 v114, v114, 2, v12
	v_and_b32_e32 v115, v115, v128
	v_xor_b32_e32 v117, s21, v117
	ds_read_b32 v144, v114 offset:32
	v_and_b32_e32 v115, v115, v116
	v_add_nc_u32_e32 v114, 32, v114
	; wave barrier
	v_and_b32_e32 v115, v115, v117
	v_mbcnt_lo_u32_b32 v145, v115, 0
	v_cmp_ne_u32_e64 s21, 0, v115
	v_cmp_eq_u32_e64 s20, 0, v145
	s_and_b32 s21, s21, s20
	s_and_saveexec_b32 s20, s21
	s_cbranch_execz .LBB1325_73
; %bb.72:                               ;   in Loop: Header=BB1325_53 Depth=1
	s_waitcnt lgkmcnt(0)
	v_bcnt_u32_b32 v115, v115, v144
	ds_write_b32 v114, v115
.LBB1325_73:                            ;   in Loop: Header=BB1325_53 Depth=1
	s_or_b32 exec_lo, exec_lo, s20
	v_cmp_ne_u32_e64 s20, 0x80000000, v240
	; wave barrier
	v_cndmask_b32_e64 v115, 0x7fffffff, v240, s20
	v_lshrrev_b32_e32 v115, v10, v115
	v_and_b32_e32 v115, v115, v68
	v_and_b32_e32 v116, 1, v115
	v_lshlrev_b32_e32 v117, 30, v115
	v_lshlrev_b32_e32 v118, 29, v115
	;; [unrolled: 1-line block ×4, first 2 shown]
	v_add_co_u32 v116, s20, v116, -1
	v_cndmask_b32_e64 v128, 0, 1, s20
	v_not_b32_e32 v132, v117
	v_cmp_gt_i32_e64 s21, 0, v117
	v_not_b32_e32 v117, v118
	v_lshlrev_b32_e32 v130, 26, v115
	v_cmp_ne_u32_e64 s20, 0, v128
	v_ashrrev_i32_e32 v132, 31, v132
	v_lshlrev_b32_e32 v131, 25, v115
	v_ashrrev_i32_e32 v117, 31, v117
	v_lshlrev_b32_e32 v128, 24, v115
	v_xor_b32_e32 v116, s20, v116
	v_cmp_gt_i32_e64 s20, 0, v118
	v_not_b32_e32 v118, v119
	v_xor_b32_e32 v132, s21, v132
	v_cmp_gt_i32_e64 s21, 0, v119
	v_and_b32_e32 v116, exec_lo, v116
	v_not_b32_e32 v119, v129
	v_ashrrev_i32_e32 v118, 31, v118
	v_xor_b32_e32 v117, s20, v117
	v_cmp_gt_i32_e64 s20, 0, v129
	v_and_b32_e32 v116, v116, v132
	v_not_b32_e32 v129, v130
	v_ashrrev_i32_e32 v119, 31, v119
	v_xor_b32_e32 v118, s21, v118
	v_cmp_gt_i32_e64 s21, 0, v130
	v_and_b32_e32 v116, v116, v117
	;; [unrolled: 5-line block ×3, first 2 shown]
	v_not_b32_e32 v118, v128
	v_ashrrev_i32_e32 v117, 31, v117
	v_xor_b32_e32 v129, s21, v129
	v_lshl_add_u32 v115, v115, 3, v197
	v_and_b32_e32 v116, v116, v119
	v_cmp_gt_i32_e64 s21, 0, v128
	v_ashrrev_i32_e32 v118, 31, v118
	v_xor_b32_e32 v117, s20, v117
	v_lshl_add_u32 v119, v115, 2, v12
	v_and_b32_e32 v116, v116, v129
	v_xor_b32_e32 v115, s21, v118
	ds_read_b32 v150, v119 offset:32
	v_and_b32_e32 v116, v116, v117
	; wave barrier
	v_and_b32_e32 v115, v116, v115
	v_add_nc_u32_e32 v116, 32, v119
	v_mbcnt_lo_u32_b32 v160, v115, 0
	v_cmp_ne_u32_e64 s21, 0, v115
	v_cmp_eq_u32_e64 s20, 0, v160
	s_and_b32 s21, s21, s20
	s_and_saveexec_b32 s20, s21
	s_cbranch_execz .LBB1325_75
; %bb.74:                               ;   in Loop: Header=BB1325_53 Depth=1
	s_waitcnt lgkmcnt(0)
	v_bcnt_u32_b32 v115, v115, v150
	ds_write_b32 v116, v115
.LBB1325_75:                            ;   in Loop: Header=BB1325_53 Depth=1
	s_or_b32 exec_lo, exec_lo, s20
	v_cmp_ne_u32_e64 s20, 0x80000000, v241
	; wave barrier
	v_cndmask_b32_e64 v115, 0x7fffffff, v241, s20
	v_lshrrev_b32_e32 v115, v10, v115
	v_and_b32_e32 v115, v115, v68
	v_and_b32_e32 v117, 1, v115
	v_lshlrev_b32_e32 v118, 30, v115
	v_lshlrev_b32_e32 v119, 29, v115
	;; [unrolled: 1-line block ×4, first 2 shown]
	v_add_co_u32 v117, s20, v117, -1
	v_cndmask_b32_e64 v129, 0, 1, s20
	v_not_b32_e32 v133, v118
	v_cmp_gt_i32_e64 s21, 0, v118
	v_not_b32_e32 v118, v119
	v_lshlrev_b32_e32 v131, 26, v115
	v_cmp_ne_u32_e64 s20, 0, v129
	v_ashrrev_i32_e32 v133, 31, v133
	v_lshlrev_b32_e32 v132, 25, v115
	v_ashrrev_i32_e32 v118, 31, v118
	v_lshlrev_b32_e32 v129, 24, v115
	v_xor_b32_e32 v117, s20, v117
	v_cmp_gt_i32_e64 s20, 0, v119
	v_not_b32_e32 v119, v128
	v_xor_b32_e32 v133, s21, v133
	v_cmp_gt_i32_e64 s21, 0, v128
	v_and_b32_e32 v117, exec_lo, v117
	v_not_b32_e32 v128, v130
	v_ashrrev_i32_e32 v119, 31, v119
	v_xor_b32_e32 v118, s20, v118
	v_cmp_gt_i32_e64 s20, 0, v130
	v_and_b32_e32 v117, v117, v133
	v_not_b32_e32 v130, v131
	v_ashrrev_i32_e32 v128, 31, v128
	v_xor_b32_e32 v119, s21, v119
	v_cmp_gt_i32_e64 s21, 0, v131
	v_and_b32_e32 v117, v117, v118
	;; [unrolled: 5-line block ×3, first 2 shown]
	v_not_b32_e32 v119, v129
	v_ashrrev_i32_e32 v118, 31, v118
	v_xor_b32_e32 v130, s21, v130
	v_lshl_add_u32 v115, v115, 3, v197
	v_and_b32_e32 v117, v117, v128
	v_cmp_gt_i32_e64 s21, 0, v129
	v_ashrrev_i32_e32 v119, 31, v119
	v_xor_b32_e32 v118, s20, v118
	v_lshl_add_u32 v128, v115, 2, v12
	v_and_b32_e32 v117, v117, v130
	v_xor_b32_e32 v115, s21, v119
	ds_read_b32 v161, v128 offset:32
	v_and_b32_e32 v117, v117, v118
	v_add_nc_u32_e32 v118, 32, v128
	; wave barrier
	v_and_b32_e32 v115, v117, v115
	v_mbcnt_lo_u32_b32 v162, v115, 0
	v_cmp_ne_u32_e64 s21, 0, v115
	v_cmp_eq_u32_e64 s20, 0, v162
	s_and_b32 s21, s21, s20
	s_and_saveexec_b32 s20, s21
	s_cbranch_execz .LBB1325_77
; %bb.76:                               ;   in Loop: Header=BB1325_53 Depth=1
	s_waitcnt lgkmcnt(0)
	v_bcnt_u32_b32 v115, v115, v161
	ds_write_b32 v118, v115
.LBB1325_77:                            ;   in Loop: Header=BB1325_53 Depth=1
	s_or_b32 exec_lo, exec_lo, s20
	v_cmp_ne_u32_e64 s20, 0x80000000, v242
	; wave barrier
	v_cndmask_b32_e64 v115, 0x7fffffff, v242, s20
	v_lshrrev_b32_e32 v115, v10, v115
	v_and_b32_e32 v115, v115, v68
	v_and_b32_e32 v117, 1, v115
	v_lshlrev_b32_e32 v119, 30, v115
	v_lshlrev_b32_e32 v128, 29, v115
	;; [unrolled: 1-line block ×4, first 2 shown]
	v_add_co_u32 v117, s20, v117, -1
	v_cndmask_b32_e64 v130, 0, 1, s20
	v_not_b32_e32 v134, v119
	v_cmp_gt_i32_e64 s21, 0, v119
	v_not_b32_e32 v119, v128
	v_lshlrev_b32_e32 v132, 26, v115
	v_cmp_ne_u32_e64 s20, 0, v130
	v_ashrrev_i32_e32 v134, 31, v134
	v_lshlrev_b32_e32 v133, 25, v115
	v_ashrrev_i32_e32 v119, 31, v119
	v_lshlrev_b32_e32 v130, 24, v115
	v_xor_b32_e32 v117, s20, v117
	v_cmp_gt_i32_e64 s20, 0, v128
	v_not_b32_e32 v128, v129
	v_xor_b32_e32 v134, s21, v134
	v_cmp_gt_i32_e64 s21, 0, v129
	v_and_b32_e32 v117, exec_lo, v117
	v_not_b32_e32 v129, v131
	v_ashrrev_i32_e32 v128, 31, v128
	v_xor_b32_e32 v119, s20, v119
	v_cmp_gt_i32_e64 s20, 0, v131
	v_and_b32_e32 v117, v117, v134
	v_not_b32_e32 v131, v132
	v_ashrrev_i32_e32 v129, 31, v129
	v_xor_b32_e32 v128, s21, v128
	v_cmp_gt_i32_e64 s21, 0, v132
	v_and_b32_e32 v117, v117, v119
	;; [unrolled: 5-line block ×3, first 2 shown]
	v_not_b32_e32 v128, v130
	v_ashrrev_i32_e32 v119, 31, v119
	v_xor_b32_e32 v131, s21, v131
	v_lshl_add_u32 v115, v115, 3, v197
	v_and_b32_e32 v117, v117, v129
	v_cmp_gt_i32_e64 s21, 0, v130
	v_ashrrev_i32_e32 v128, 31, v128
	v_xor_b32_e32 v119, s20, v119
	v_lshl_add_u32 v129, v115, 2, v12
	v_and_b32_e32 v117, v117, v131
	v_xor_b32_e32 v115, s21, v128
	ds_read_b32 v164, v129 offset:32
	v_and_b32_e32 v117, v117, v119
	v_add_nc_u32_e32 v128, 32, v129
	; wave barrier
	v_and_b32_e32 v115, v117, v115
	v_mbcnt_lo_u32_b32 v176, v115, 0
	v_cmp_ne_u32_e64 s21, 0, v115
	v_cmp_eq_u32_e64 s20, 0, v176
	s_and_b32 s21, s21, s20
	s_and_saveexec_b32 s20, s21
	s_cbranch_execz .LBB1325_79
; %bb.78:                               ;   in Loop: Header=BB1325_53 Depth=1
	s_waitcnt lgkmcnt(0)
	v_bcnt_u32_b32 v115, v115, v164
	ds_write_b32 v128, v115
.LBB1325_79:                            ;   in Loop: Header=BB1325_53 Depth=1
	s_or_b32 exec_lo, exec_lo, s20
	v_cmp_ne_u32_e64 s20, 0x80000000, v243
	; wave barrier
	v_cndmask_b32_e64 v115, 0x7fffffff, v243, s20
	v_lshrrev_b32_e32 v115, v10, v115
	v_and_b32_e32 v115, v115, v68
	v_and_b32_e32 v117, 1, v115
	v_lshlrev_b32_e32 v119, 30, v115
	v_lshlrev_b32_e32 v129, 29, v115
	v_lshlrev_b32_e32 v130, 28, v115
	v_lshlrev_b32_e32 v132, 27, v115
	v_add_co_u32 v117, s20, v117, -1
	v_cndmask_b32_e64 v131, 0, 1, s20
	v_not_b32_e32 v135, v119
	v_cmp_gt_i32_e64 s21, 0, v119
	v_not_b32_e32 v119, v129
	v_lshlrev_b32_e32 v133, 26, v115
	v_cmp_ne_u32_e64 s20, 0, v131
	v_ashrrev_i32_e32 v135, 31, v135
	v_lshlrev_b32_e32 v134, 25, v115
	v_ashrrev_i32_e32 v119, 31, v119
	v_lshlrev_b32_e32 v131, 24, v115
	v_xor_b32_e32 v117, s20, v117
	v_cmp_gt_i32_e64 s20, 0, v129
	v_not_b32_e32 v129, v130
	v_xor_b32_e32 v135, s21, v135
	v_cmp_gt_i32_e64 s21, 0, v130
	v_and_b32_e32 v117, exec_lo, v117
	v_not_b32_e32 v130, v132
	v_ashrrev_i32_e32 v129, 31, v129
	v_xor_b32_e32 v119, s20, v119
	v_cmp_gt_i32_e64 s20, 0, v132
	v_and_b32_e32 v117, v117, v135
	v_not_b32_e32 v132, v133
	v_ashrrev_i32_e32 v130, 31, v130
	v_xor_b32_e32 v129, s21, v129
	v_cmp_gt_i32_e64 s21, 0, v133
	v_and_b32_e32 v117, v117, v119
	;; [unrolled: 5-line block ×3, first 2 shown]
	v_not_b32_e32 v129, v131
	v_ashrrev_i32_e32 v119, 31, v119
	v_xor_b32_e32 v132, s21, v132
	v_lshl_add_u32 v115, v115, 3, v197
	v_and_b32_e32 v117, v117, v130
	v_cmp_gt_i32_e64 s21, 0, v131
	v_ashrrev_i32_e32 v129, 31, v129
	v_xor_b32_e32 v119, s20, v119
	v_lshl_add_u32 v130, v115, 2, v12
	v_and_b32_e32 v117, v117, v132
	v_xor_b32_e32 v115, s21, v129
	ds_read_b32 v177, v130 offset:32
	v_and_b32_e32 v117, v117, v119
	v_add_nc_u32_e32 v130, 32, v130
	; wave barrier
	v_and_b32_e32 v115, v117, v115
	v_mbcnt_lo_u32_b32 v178, v115, 0
	v_cmp_ne_u32_e64 s21, 0, v115
	v_cmp_eq_u32_e64 s20, 0, v178
	s_and_b32 s21, s21, s20
	s_and_saveexec_b32 s20, s21
	s_cbranch_execz .LBB1325_81
; %bb.80:                               ;   in Loop: Header=BB1325_53 Depth=1
	s_waitcnt lgkmcnt(0)
	v_bcnt_u32_b32 v115, v115, v177
	ds_write_b32 v130, v115
.LBB1325_81:                            ;   in Loop: Header=BB1325_53 Depth=1
	s_or_b32 exec_lo, exec_lo, s20
	v_cmp_ne_u32_e64 s20, 0x80000000, v244
	; wave barrier
	v_cndmask_b32_e64 v115, 0x7fffffff, v244, s20
	v_lshrrev_b32_e32 v115, v10, v115
	v_and_b32_e32 v115, v115, v68
	v_and_b32_e32 v117, 1, v115
	v_lshlrev_b32_e32 v119, 30, v115
	v_lshlrev_b32_e32 v129, 29, v115
	;; [unrolled: 1-line block ×4, first 2 shown]
	v_add_co_u32 v117, s20, v117, -1
	v_cndmask_b32_e64 v132, 0, 1, s20
	v_not_b32_e32 v146, v119
	v_cmp_gt_i32_e64 s21, 0, v119
	v_not_b32_e32 v119, v129
	v_lshlrev_b32_e32 v134, 26, v115
	v_cmp_ne_u32_e64 s20, 0, v132
	v_ashrrev_i32_e32 v146, 31, v146
	v_lshlrev_b32_e32 v135, 25, v115
	v_ashrrev_i32_e32 v119, 31, v119
	v_lshlrev_b32_e32 v132, 24, v115
	v_xor_b32_e32 v117, s20, v117
	v_cmp_gt_i32_e64 s20, 0, v129
	v_not_b32_e32 v129, v131
	v_xor_b32_e32 v146, s21, v146
	v_cmp_gt_i32_e64 s21, 0, v131
	v_and_b32_e32 v117, exec_lo, v117
	v_not_b32_e32 v131, v133
	v_ashrrev_i32_e32 v129, 31, v129
	v_xor_b32_e32 v119, s20, v119
	v_cmp_gt_i32_e64 s20, 0, v133
	v_and_b32_e32 v117, v117, v146
	v_not_b32_e32 v133, v134
	v_ashrrev_i32_e32 v131, 31, v131
	v_xor_b32_e32 v129, s21, v129
	v_cmp_gt_i32_e64 s21, 0, v134
	v_and_b32_e32 v117, v117, v119
	;; [unrolled: 5-line block ×3, first 2 shown]
	v_not_b32_e32 v129, v132
	v_ashrrev_i32_e32 v119, 31, v119
	v_xor_b32_e32 v133, s21, v133
	v_lshl_add_u32 v115, v115, 3, v197
	v_and_b32_e32 v117, v117, v131
	v_cmp_gt_i32_e64 s21, 0, v132
	v_ashrrev_i32_e32 v129, 31, v129
	v_xor_b32_e32 v119, s20, v119
	v_lshl_add_u32 v131, v115, 2, v12
	v_and_b32_e32 v117, v117, v133
	v_xor_b32_e32 v115, s21, v129
	ds_read_b32 v179, v131 offset:32
	v_and_b32_e32 v117, v117, v119
	v_add_nc_u32_e32 v132, 32, v131
	; wave barrier
	v_and_b32_e32 v115, v117, v115
	v_mbcnt_lo_u32_b32 v181, v115, 0
	v_cmp_ne_u32_e64 s21, 0, v115
	v_cmp_eq_u32_e64 s20, 0, v181
	s_and_b32 s21, s21, s20
	s_and_saveexec_b32 s20, s21
	s_cbranch_execz .LBB1325_83
; %bb.82:                               ;   in Loop: Header=BB1325_53 Depth=1
	s_waitcnt lgkmcnt(0)
	v_bcnt_u32_b32 v115, v115, v179
	ds_write_b32 v132, v115
.LBB1325_83:                            ;   in Loop: Header=BB1325_53 Depth=1
	s_or_b32 exec_lo, exec_lo, s20
	v_cmp_ne_u32_e64 s20, 0x80000000, v245
	; wave barrier
	v_cndmask_b32_e64 v115, 0x7fffffff, v245, s20
	v_lshrrev_b32_e32 v115, v10, v115
	v_and_b32_e32 v68, v115, v68
	v_and_b32_e32 v115, 1, v68
	v_lshlrev_b32_e32 v117, 30, v68
	v_lshlrev_b32_e32 v119, 29, v68
	;; [unrolled: 1-line block ×4, first 2 shown]
	v_add_co_u32 v115, s20, v115, -1
	v_cndmask_b32_e64 v131, 0, 1, s20
	v_not_b32_e32 v146, v117
	v_cmp_gt_i32_e64 s21, 0, v117
	v_not_b32_e32 v117, v119
	v_lshlrev_b32_e32 v134, 26, v68
	v_cmp_ne_u32_e64 s20, 0, v131
	v_ashrrev_i32_e32 v146, 31, v146
	v_lshlrev_b32_e32 v135, 25, v68
	v_ashrrev_i32_e32 v117, 31, v117
	v_lshlrev_b32_e32 v131, 24, v68
	v_xor_b32_e32 v115, s20, v115
	v_cmp_gt_i32_e64 s20, 0, v119
	v_not_b32_e32 v119, v129
	v_xor_b32_e32 v146, s21, v146
	v_cmp_gt_i32_e64 s21, 0, v129
	v_and_b32_e32 v115, exec_lo, v115
	v_not_b32_e32 v129, v133
	v_ashrrev_i32_e32 v119, 31, v119
	v_xor_b32_e32 v117, s20, v117
	v_cmp_gt_i32_e64 s20, 0, v133
	v_and_b32_e32 v115, v115, v146
	v_not_b32_e32 v133, v134
	v_ashrrev_i32_e32 v129, 31, v129
	v_xor_b32_e32 v119, s21, v119
	v_cmp_gt_i32_e64 s21, 0, v134
	v_and_b32_e32 v115, v115, v117
	;; [unrolled: 5-line block ×3, first 2 shown]
	v_not_b32_e32 v119, v131
	v_ashrrev_i32_e32 v117, 31, v117
	v_xor_b32_e32 v133, s21, v133
	v_lshl_add_u32 v68, v68, 3, v197
	v_and_b32_e32 v115, v115, v129
	v_cmp_gt_i32_e64 s21, 0, v131
	v_ashrrev_i32_e32 v119, 31, v119
	v_xor_b32_e32 v117, s20, v117
	v_lshl_add_u32 v129, v68, 2, v12
	v_and_b32_e32 v115, v115, v133
	v_xor_b32_e32 v119, s21, v119
	ds_read_b32 v68, v129 offset:32
	v_and_b32_e32 v115, v115, v117
	v_add_nc_u32_e32 v134, 32, v129
	; wave barrier
	v_and_b32_e32 v115, v115, v119
	v_mbcnt_lo_u32_b32 v246, v115, 0
	v_cmp_ne_u32_e64 s21, 0, v115
	v_cmp_eq_u32_e64 s20, 0, v246
	s_and_b32 s21, s21, s20
	s_and_saveexec_b32 s20, s21
	s_cbranch_execz .LBB1325_85
; %bb.84:                               ;   in Loop: Header=BB1325_53 Depth=1
	s_waitcnt lgkmcnt(0)
	v_bcnt_u32_b32 v115, v115, v68
	ds_write_b32 v134, v115
.LBB1325_85:                            ;   in Loop: Header=BB1325_53 Depth=1
	s_or_b32 exec_lo, exec_lo, s20
	; wave barrier
	s_waitcnt lgkmcnt(0)
	s_barrier
	buffer_gl0_inv
	ds_read_b32 v117, v49
	ds_read_b32 v119, v182
	;; [unrolled: 1-line block ×8, first 2 shown]
	s_waitcnt lgkmcnt(6)
	v_add_nc_u32_e32 v135, v119, v117
	s_waitcnt lgkmcnt(4)
	v_add3_u32 v135, v135, v129, v115
	s_waitcnt lgkmcnt(2)
	v_add3_u32 v135, v135, v131, v148
	;; [unrolled: 2-line block ×3, first 2 shown]
	v_mov_b32_dpp v135, v133 row_shr:1 row_mask:0xf bank_mask:0xf
	v_cndmask_b32_e64 v135, v135, 0, vcc_lo
	v_add_nc_u32_e32 v133, v135, v133
	v_mov_b32_dpp v135, v133 row_shr:2 row_mask:0xf bank_mask:0xf
	v_cndmask_b32_e64 v135, 0, v135, s4
	v_add_nc_u32_e32 v133, v133, v135
	v_mov_b32_dpp v135, v133 row_shr:4 row_mask:0xf bank_mask:0xf
	v_cndmask_b32_e64 v135, 0, v135, s5
	v_add_nc_u32_e32 v133, v133, v135
	v_mov_b32_dpp v135, v133 row_shr:8 row_mask:0xf bank_mask:0xf
	v_cndmask_b32_e64 v135, 0, v135, s6
	v_add_nc_u32_e32 v133, v133, v135
	ds_swizzle_b32 v135, v133 offset:swizzle(BROADCAST,32,15)
	s_waitcnt lgkmcnt(0)
	v_cndmask_b32_e64 v135, v135, 0, s10
	v_add_nc_u32_e32 v133, v133, v135
	s_and_saveexec_b32 s20, s11
; %bb.86:                               ;   in Loop: Header=BB1325_53 Depth=1
	ds_write_b32 v209, v133
; %bb.87:                               ;   in Loop: Header=BB1325_53 Depth=1
	s_or_b32 exec_lo, exec_lo, s20
	s_waitcnt lgkmcnt(0)
	s_barrier
	buffer_gl0_inv
	s_and_saveexec_b32 s20, s14
	s_cbranch_execz .LBB1325_89
; %bb.88:                               ;   in Loop: Header=BB1325_53 Depth=1
	ds_read_b32 v135, v198
	s_waitcnt lgkmcnt(0)
	v_mov_b32_dpp v147, v135 row_shr:1 row_mask:0xf bank_mask:0xf
	v_cndmask_b32_e64 v147, v147, 0, s17
	v_add_nc_u32_e32 v135, v147, v135
	v_mov_b32_dpp v147, v135 row_shr:2 row_mask:0xf bank_mask:0xf
	v_cndmask_b32_e64 v147, 0, v147, s18
	v_add_nc_u32_e32 v135, v135, v147
	;; [unrolled: 3-line block ×3, first 2 shown]
	ds_write_b32 v198, v135
.LBB1325_89:                            ;   in Loop: Header=BB1325_53 Depth=1
	s_or_b32 exec_lo, exec_lo, s20
	v_mov_b32_e32 v135, 0
	s_waitcnt lgkmcnt(0)
	s_barrier
	buffer_gl0_inv
	s_and_saveexec_b32 s20, s15
; %bb.90:                               ;   in Loop: Header=BB1325_53 Depth=1
	v_add_nc_u32_e32 v135, -4, v209
	ds_read_b32 v135, v135
; %bb.91:                               ;   in Loop: Header=BB1325_53 Depth=1
	s_or_b32 exec_lo, exec_lo, s20
	s_waitcnt lgkmcnt(0)
	v_add_nc_u32_e32 v133, v135, v133
	v_mov_b32_e32 v147, v5
	v_mov_b32_e32 v149, v5
	v_add_nc_u32_e32 v10, 8, v10
	s_mov_b32 s26, -1
	ds_bpermute_b32 v133, v199, v133
	v_cmp_lt_u32_e64 s20, v10, v11
	s_waitcnt lgkmcnt(0)
	v_cndmask_b32_e64 v133, v133, v135, s7
	v_mov_b32_e32 v135, v5
	v_cndmask_b32_e64 v163, v133, 0, s16
	v_mov_b32_e32 v133, v5
	v_add_nc_u32_e32 v165, v163, v117
	v_mov_b32_e32 v117, v5
	v_add_nc_u32_e32 v166, v165, v119
	v_mov_b32_e32 v119, v5
	ds_write_b32 v49, v163
	ds_write_b32 v182, v165
	;; [unrolled: 1-line block ×3, first 2 shown]
	v_mov_b32_e32 v165, v5
	v_add_nc_u32_e32 v167, v166, v129
	v_mov_b32_e32 v129, v5
	v_mov_b32_e32 v163, v5
	v_add_nc_u32_e32 v180, v167, v115
	v_mov_b32_e32 v115, v5
	v_add_nc_u32_e32 v247, v180, v131
	;; [unrolled: 2-line block ×3, first 2 shown]
	v_add_nc_u32_e32 v146, v148, v146
	ds_write_b32 v192, v167
	ds_write_b32 v193, v180
	;; [unrolled: 1-line block ×5, first 2 shown]
	s_waitcnt lgkmcnt(0)
	s_barrier
	buffer_gl0_inv
	ds_read_b32 v64, v64
	ds_read_b32 v67, v67
	;; [unrolled: 1-line block ×16, first 2 shown]
	v_mov_b32_e32 v167, v5
	s_waitcnt lgkmcnt(0)
	v_add_nc_u32_e32 v4, v64, v4
	v_add3_u32 v114, v66, v65, v67
	v_add3_u32 v116, v70, v69, v71
	;; [unrolled: 1-line block ×4, first 2 shown]
	v_lshlrev_b64 v[64:65], 2, v[4:5]
	v_lshlrev_b64 v[65:66], 2, v[114:115]
	v_add3_u32 v132, v101, v100, v102
	v_add3_u32 v146, v112, v103, v113
	v_lshlrev_b64 v[66:67], 2, v[116:117]
	v_add3_u32 v148, v145, v144, v148
	v_add3_u32 v162, v162, v161, v180
	;; [unrolled: 1-line block ×6, first 2 shown]
	v_lshlrev_b64 v[67:68], 2, v[118:119]
	v_mov_b32_e32 v181, v5
	v_add3_u32 v134, v87, v86, v96
	v_add3_u32 v166, v160, v150, v166
	v_lshlrev_b64 v[68:69], 2, v[128:129]
	v_mov_b32_e32 v179, v5
	v_add3_u32 v130, v98, v97, v99
	v_mov_b32_e32 v177, v5
	v_lshlrev_b64 v[80:81], 2, v[132:133]
	v_lshlrev_b64 v[81:82], 2, v[146:147]
	v_add_co_u32 v63, null, v12, v64
	v_add_co_u32 v62, null, v12, v65
	v_lshlrev_b64 v[64:65], 2, v[164:165]
	v_lshlrev_b64 v[82:83], 2, v[148:149]
	v_add_co_u32 v61, null, v12, v66
	v_lshlrev_b64 v[65:66], 2, v[180:181]
	v_lshlrev_b64 v[69:70], 2, v[134:135]
	v_lshlrev_b64 v[83:84], 2, v[166:167]
	v_add_co_u32 v60, null, v12, v67
	v_lshlrev_b64 v[66:67], 2, v[178:179]
	;; [unrolled: 4-line block ×3, first 2 shown]
	v_add_co_u32 v58, null, v12, v69
	v_add_co_u32 v46, null, v12, v70
	;; [unrolled: 1-line block ×11, first 2 shown]
                                        ; implicit-def: $vgpr68_vgpr69
                                        ; implicit-def: $vgpr64_vgpr65
                                        ; implicit-def: $vgpr66_vgpr67
                                        ; implicit-def: $vgpr70_vgpr71
                                        ; implicit-def: $vgpr80_vgpr81
                                        ; implicit-def: $vgpr82_vgpr83
                                        ; implicit-def: $vgpr84_vgpr85
                                        ; implicit-def: $vgpr86_vgpr87
                                        ; implicit-def: $vgpr96_vgpr97
                                        ; implicit-def: $vgpr98_vgpr99
                                        ; implicit-def: $vgpr100_vgpr101
                                        ; implicit-def: $vgpr102_vgpr103
                                        ; implicit-def: $vgpr112_vgpr113
                                        ; implicit-def: $vgpr144_vgpr145
                                        ; implicit-def: $vgpr149_vgpr150
                                        ; implicit-def: $vgpr160_vgpr161
                                        ; implicit-def: $vgpr246
                                        ; implicit-def: $vgpr115
                                        ; implicit-def: $vgpr117
                                        ; implicit-def: $vgpr129
                                        ; implicit-def: $vgpr119
                                        ; implicit-def: $vgpr131
                                        ; implicit-def: $vgpr177
                                        ; implicit-def: $vgpr179
                                        ; implicit-def: $vgpr247
                                        ; implicit-def: $vgpr181
                                        ; implicit-def: $vgpr163
                                        ; implicit-def: $vgpr135
                                        ; implicit-def: $vgpr133
                                        ; implicit-def: $vgpr167
                                        ; implicit-def: $vgpr165
                                        ; implicit-def: $vgpr147
	s_and_saveexec_b32 s21, s20
	s_cbranch_execz .LBB1325_52
; %bb.92:                               ;   in Loop: Header=BB1325_53 Depth=1
	v_add_nc_u32_e32 v64, 0x80, v208
	v_add_nc_u32_e32 v65, 0x100, v208
	;; [unrolled: 1-line block ×4, first 2 shown]
	s_barrier
	buffer_gl0_inv
	ds_write_b32 v63, v214
	ds_write_b32 v62, v224
	;; [unrolled: 1-line block ×16, first 2 shown]
	s_waitcnt lgkmcnt(0)
	s_barrier
	buffer_gl0_inv
	ds_read_b32 v115, v64
	v_add_nc_u32_e32 v64, 0x280, v208
	ds_read_b32 v246, v208
	ds_read_b32 v117, v65
	;; [unrolled: 1-line block ×4, first 2 shown]
	v_add_nc_u32_e32 v65, 0x300, v208
	v_add_nc_u32_e32 v66, 0x400, v208
	ds_read_b32 v131, v64
	v_add_nc_u32_e32 v64, 0x380, v208
	v_add_nc_u32_e32 v67, 0x480, v208
	ds_read_b32 v177, v65
	v_add_nc_u32_e32 v65, 0x500, v208
	ds_read_b32 v179, v64
	ds_read_b32 v247, v66
	;; [unrolled: 1-line block ×3, first 2 shown]
	v_add_nc_u32_e32 v64, 0x580, v208
	v_add_nc_u32_e32 v66, 0x680, v208
	ds_read_b32 v163, v65
	v_add_nc_u32_e32 v65, 0x600, v208
	v_add_nc_u32_e32 v67, 0x700, v208
	ds_read_b32 v135, v64
	v_add_nc_u32_e32 v64, 0x780, v208
	ds_read_b32 v133, v65
	ds_read_b32 v167, v66
	;; [unrolled: 1-line block ×3, first 2 shown]
	v_lshl_add_u32 v65, v4, 2, v63
	v_lshl_add_u32 v66, v118, 2, v60
	ds_read_b32 v147, v64
	v_lshl_add_u32 v64, v114, 2, v62
	s_waitcnt lgkmcnt(0)
	s_barrier
	buffer_gl0_inv
	ds_write_b64 v65, v[8:9]
	v_lshl_add_u32 v65, v116, 2, v61
	v_lshl_add_u32 v67, v128, 2, v59
	;; [unrolled: 1-line block ×3, first 2 shown]
	ds_write_b64 v64, v[28:29]
	ds_write_b64 v65, v[22:23]
	;; [unrolled: 1-line block ×5, first 2 shown]
	v_lshl_add_u32 v64, v130, 2, v46
	v_lshl_add_u32 v65, v132, 2, v43
	;; [unrolled: 1-line block ×5, first 2 shown]
	ds_write_b64 v64, v[32:33]
	ds_write_b64 v65, v[38:39]
	;; [unrolled: 1-line block ×5, first 2 shown]
	v_lshl_add_u32 v64, v162, 2, v44
	v_lshl_add_u32 v65, v164, 2, v56
	;; [unrolled: 1-line block ×5, first 2 shown]
	v_add_nc_u32_e32 v80, 0x400, v210
	v_add_nc_u32_e32 v98, 0x900, v210
	ds_write_b64 v64, v[24:25]
	ds_write_b64 v65, v[17:18]
	;; [unrolled: 1-line block ×5, first 2 shown]
	v_add_nc_u32_e32 v64, 0x100, v210
	v_add_nc_u32_e32 v82, 0x500, v210
	;; [unrolled: 1-line block ×11, first 2 shown]
	s_waitcnt lgkmcnt(0)
	s_barrier
	buffer_gl0_inv
	ds_read_b64 v[68:69], v210
	ds_read_b64 v[64:65], v64
	;; [unrolled: 1-line block ×16, first 2 shown]
	v_add_nc_u32_e32 v213, -8, v213
	s_xor_b32 s26, exec_lo, -1
	s_waitcnt lgkmcnt(0)
	s_barrier
	buffer_gl0_inv
	s_branch .LBB1325_52
.LBB1325_93:
	s_or_b32 exec_lo, exec_lo, s23
	v_lshl_add_u32 v4, v4, 2, v63
	s_barrier
	buffer_gl0_inv
	ds_write_b32 v63, v214
	ds_write_b32 v62, v224
	;; [unrolled: 1-line block ×16, first 2 shown]
	s_waitcnt lgkmcnt(0)
	s_barrier
	buffer_gl0_inv
	ds_read2st64_b32 v[86:87], v198 offset1:4
	ds_read2st64_b32 v[84:85], v198 offset0:8 offset1:12
	ds_read2st64_b32 v[82:83], v198 offset0:16 offset1:20
	;; [unrolled: 1-line block ×7, first 2 shown]
	s_waitcnt lgkmcnt(0)
	s_barrier
	buffer_gl0_inv
	v_lshl_add_u32 v5, v114, 2, v62
	ds_write_b64 v4, v[8:9]
	v_lshl_add_u32 v4, v116, 2, v61
	v_lshl_add_u32 v8, v118, 2, v60
	;; [unrolled: 1-line block ×3, first 2 shown]
	ds_write_b64 v5, v[28:29]
	v_lshl_add_u32 v5, v134, 2, v58
	ds_write_b64 v4, v[22:23]
	ds_write_b64 v8, v[19:20]
	;; [unrolled: 1-line block ×3, first 2 shown]
	v_lshl_add_u32 v4, v130, 2, v46
	v_lshl_add_u32 v8, v146, 2, v42
	v_lshl_add_u32 v9, v148, 2, v41
	ds_write_b64 v5, v[52:53]
	v_lshl_add_u32 v5, v132, 2, v43
	ds_write_b64 v4, v[32:33]
	v_lshl_add_u32 v4, v166, 2, v40
	ds_write_b64 v5, v[38:39]
	ds_write_b64 v8, v[36:37]
	;; [unrolled: 1-line block ×3, first 2 shown]
	v_lshl_add_u32 v5, v162, 2, v44
	ds_write_b64 v4, v[30:31]
	v_lshl_add_u32 v4, v164, 2, v56
	v_lshl_add_u32 v8, v180, 2, v57
	;; [unrolled: 1-line block ×3, first 2 shown]
	ds_write_b64 v5, v[24:25]
	v_lshl_add_u32 v5, v176, 2, v45
	ds_write_b64 v4, v[17:18]
	ds_write_b64 v8, v[15:16]
	ds_write_b64 v9, v[13:14]
	v_lshl_add_u32 v4, v21, 3, v12
	v_mov_b32_e32 v49, 0
	v_add_co_u32 v2, vcc_lo, v2, v50
	ds_write_b64 v5, v[26:27]
	s_waitcnt lgkmcnt(0)
	s_barrier
	buffer_gl0_inv
	ds_read2st64_b64 v[36:39], v4 offset1:4
	ds_read2st64_b64 v[32:35], v4 offset0:8 offset1:12
	ds_read2st64_b64 v[28:31], v4 offset0:16 offset1:20
	;; [unrolled: 1-line block ×7, first 2 shown]
	v_lshlrev_b64 v[4:5], 2, v[48:49]
	v_add_co_ci_u32_e64 v3, null, v3, v51, vcc_lo
	s_waitcnt lgkmcnt(0)
	s_barrier
	buffer_gl0_inv
	v_add_co_u32 v2, vcc_lo, v2, v4
	v_add_co_ci_u32_e64 v3, null, v3, v5, vcc_lo
	v_cmp_lt_u32_e32 vcc_lo, v48, v151
	s_and_saveexec_b32 s5, vcc_lo
	s_cbranch_execz .LBB1325_95
; %bb.94:
	v_cmp_gt_i32_e64 s4, 0, v86
	v_cndmask_b32_e64 v4, 0x7fffffff, 0, s4
	v_xor_b32_e32 v4, v4, v86
	flat_store_dword v[2:3], v4
.LBB1325_95:
	s_or_b32 exec_lo, exec_lo, s5
	v_add_nc_u32_e32 v4, 0x100, v48
	v_cmp_lt_u32_e64 s4, v4, v151
	s_and_saveexec_b32 s6, s4
	s_cbranch_execz .LBB1325_97
; %bb.96:
	v_cmp_gt_i32_e64 s5, 0, v87
	v_cndmask_b32_e64 v4, 0x7fffffff, 0, s5
	v_xor_b32_e32 v4, v4, v87
	flat_store_dword v[2:3], v4 offset:1024
.LBB1325_97:
	s_or_b32 exec_lo, exec_lo, s6
	v_add_nc_u32_e32 v4, 0x200, v48
	v_cmp_lt_u32_e64 s5, v4, v151
	s_and_saveexec_b32 s7, s5
	s_cbranch_execz .LBB1325_99
; %bb.98:
	v_cmp_gt_i32_e64 s6, 0, v84
	v_cndmask_b32_e64 v4, 0x7fffffff, 0, s6
	v_xor_b32_e32 v50, v4, v84
	v_add_co_u32 v4, s6, 0x800, v2
	v_add_co_ci_u32_e64 v5, null, 0, v3, s6
	flat_store_dword v[4:5], v50
.LBB1325_99:
	s_or_b32 exec_lo, exec_lo, s7
	v_add_nc_u32_e32 v4, 0x300, v48
	v_cmp_lt_u32_e64 s6, v4, v151
	s_and_saveexec_b32 s10, s6
	s_cbranch_execz .LBB1325_101
; %bb.100:
	v_cmp_gt_i32_e64 s7, 0, v85
	v_cndmask_b32_e64 v4, 0x7fffffff, 0, s7
	v_xor_b32_e32 v50, v4, v85
	v_add_co_u32 v4, s7, 0x800, v2
	v_add_co_ci_u32_e64 v5, null, 0, v3, s7
	flat_store_dword v[4:5], v50 offset:1024
.LBB1325_101:
	s_or_b32 exec_lo, exec_lo, s10
	v_add_nc_u32_e32 v4, 0x400, v48
	v_cmp_lt_u32_e64 s7, v4, v151
	s_and_saveexec_b32 s11, s7
	s_cbranch_execz .LBB1325_103
; %bb.102:
	v_cmp_gt_i32_e64 s10, 0, v82
	v_cndmask_b32_e64 v4, 0x7fffffff, 0, s10
	v_xor_b32_e32 v50, v4, v82
	v_add_co_u32 v4, s10, 0x1000, v2
	v_add_co_ci_u32_e64 v5, null, 0, v3, s10
	flat_store_dword v[4:5], v50
.LBB1325_103:
	s_or_b32 exec_lo, exec_lo, s11
	v_add_nc_u32_e32 v4, 0x500, v48
	v_cmp_lt_u32_e64 s10, v4, v151
	s_and_saveexec_b32 s14, s10
	s_cbranch_execz .LBB1325_105
; %bb.104:
	v_cmp_gt_i32_e64 s11, 0, v83
	v_cndmask_b32_e64 v4, 0x7fffffff, 0, s11
	v_xor_b32_e32 v50, v4, v83
	v_add_co_u32 v4, s11, 0x1000, v2
	v_add_co_ci_u32_e64 v5, null, 0, v3, s11
	flat_store_dword v[4:5], v50 offset:1024
.LBB1325_105:
	;; [unrolled: 26-line block ×6, first 2 shown]
	s_or_b32 exec_lo, exec_lo, s22
	v_add_nc_u32_e32 v4, 0xe00, v48
	v_cmp_lt_u32_e64 s21, v4, v151
	s_and_saveexec_b32 s23, s21
	s_cbranch_execz .LBB1325_123
; %bb.122:
	v_cmp_gt_i32_e64 s22, 0, v64
	v_cndmask_b32_e64 v4, 0x7fffffff, 0, s22
	v_xor_b32_e32 v50, v4, v64
	v_add_co_u32 v4, s22, 0x3800, v2
	v_add_co_ci_u32_e64 v5, null, 0, v3, s22
	flat_store_dword v[4:5], v50
.LBB1325_123:
	s_or_b32 exec_lo, exec_lo, s23
	v_add_nc_u32_e32 v4, 0xf00, v48
	v_cmp_lt_u32_e64 s22, v4, v151
	s_and_saveexec_b32 s26, s22
	s_cbranch_execz .LBB1325_125
; %bb.124:
	v_cmp_gt_i32_e64 s23, 0, v65
	v_cndmask_b32_e64 v4, 0x7fffffff, 0, s23
	v_add_co_u32 v2, s23, 0x3800, v2
	v_add_co_ci_u32_e64 v3, null, 0, v3, s23
	v_xor_b32_e32 v4, v4, v65
	flat_store_dword v[2:3], v4 offset:1024
.LBB1325_125:
	s_or_b32 exec_lo, exec_lo, s26
	v_lshlrev_b64 v[2:3], 3, v[48:49]
	v_add_co_u32 v0, s23, v6, v0
	v_add_co_ci_u32_e64 v1, null, v7, v1, s23
	v_add_co_u32 v0, s23, v0, v2
	v_add_co_ci_u32_e64 v1, null, v1, v3, s23
	s_and_saveexec_b32 s23, vcc_lo
	s_cbranch_execnz .LBB1325_211
; %bb.126:
	s_or_b32 exec_lo, exec_lo, s23
	s_and_saveexec_b32 s23, s4
	s_cbranch_execnz .LBB1325_212
.LBB1325_127:
	s_or_b32 exec_lo, exec_lo, s23
	s_and_saveexec_b32 s4, s5
	s_cbranch_execnz .LBB1325_213
.LBB1325_128:
	s_or_b32 exec_lo, exec_lo, s4
	s_and_saveexec_b32 s4, s6
	s_cbranch_execnz .LBB1325_214
.LBB1325_129:
	s_or_b32 exec_lo, exec_lo, s4
	s_and_saveexec_b32 s4, s7
	s_cbranch_execnz .LBB1325_215
.LBB1325_130:
	s_or_b32 exec_lo, exec_lo, s4
	s_and_saveexec_b32 s4, s10
	s_cbranch_execnz .LBB1325_216
.LBB1325_131:
	s_or_b32 exec_lo, exec_lo, s4
	s_and_saveexec_b32 s4, s11
	s_cbranch_execnz .LBB1325_217
.LBB1325_132:
	s_or_b32 exec_lo, exec_lo, s4
	s_and_saveexec_b32 s4, s14
	s_cbranch_execnz .LBB1325_218
.LBB1325_133:
	s_or_b32 exec_lo, exec_lo, s4
	s_and_saveexec_b32 s4, s15
	s_cbranch_execnz .LBB1325_219
.LBB1325_134:
	s_or_b32 exec_lo, exec_lo, s4
	s_and_saveexec_b32 s4, s16
	s_cbranch_execnz .LBB1325_220
.LBB1325_135:
	s_or_b32 exec_lo, exec_lo, s4
	s_and_saveexec_b32 s4, s17
	s_cbranch_execnz .LBB1325_221
.LBB1325_136:
	s_or_b32 exec_lo, exec_lo, s4
	s_and_saveexec_b32 s4, s18
	s_cbranch_execnz .LBB1325_222
.LBB1325_137:
	s_or_b32 exec_lo, exec_lo, s4
	s_and_saveexec_b32 s4, s19
	s_cbranch_execnz .LBB1325_223
.LBB1325_138:
	s_or_b32 exec_lo, exec_lo, s4
	s_and_saveexec_b32 s4, s20
	s_cbranch_execnz .LBB1325_224
.LBB1325_139:
	s_or_b32 exec_lo, exec_lo, s4
	s_and_saveexec_b32 s4, s21
	s_cbranch_execnz .LBB1325_225
.LBB1325_140:
	s_or_b32 exec_lo, exec_lo, s4
	s_and_saveexec_b32 s4, s22
	s_cbranch_execz .LBB1325_142
.LBB1325_141:
	v_add_co_u32 v0, vcc_lo, 0x7800, v0
	v_add_co_ci_u32_e64 v1, null, 0, v1, vcc_lo
	flat_store_dwordx2 v[0:1], v[10:11]
.LBB1325_142:
	s_or_b32 exec_lo, exec_lo, s4
                                        ; implicit-def: $vgpr151
                                        ; implicit-def: $vgpr0
                                        ; implicit-def: $vgpr1
                                        ; implicit-def: $vgpr2
                                        ; implicit-def: $vgpr3
                                        ; implicit-def: $vgpr4
                                        ; implicit-def: $vgpr5
                                        ; implicit-def: $vgpr6
                                        ; implicit-def: $vgpr7
                                        ; implicit-def: $vgpr8
                                        ; implicit-def: $vgpr10
                                        ; implicit-def: $vgpr11
                                        ; implicit-def: $vgpr12
                                        ; implicit-def: $vgpr13
                                        ; implicit-def: $vgpr14
                                        ; implicit-def: $vgpr21
                                        ; implicit-def: $vgpr114
.LBB1325_143:
	s_andn2_saveexec_b32 s4, s25
	s_cbranch_execz .LBB1325_372
; %bb.144:
	s_mov_b32 s4, exec_lo
	v_cmpx_lt_u32_e32 0x400, v151
	s_xor_b32 s22, exec_lo, s4
	s_cbranch_execz .LBB1325_252
; %bb.145:
	s_load_dwordx2 s[4:5], s[8:9], 0x0
	v_mov_b32_e32 v9, 0
	v_lshlrev_b32_e32 v20, 2, v114
	v_lshlrev_b64 v[26:27], 2, v[8:9]
	v_mov_b32_e32 v23, v9
	v_add_co_u32 v28, vcc_lo, v0, v26
	v_add_co_ci_u32_e64 v29, null, v1, v27, vcc_lo
	v_add_co_u32 v20, vcc_lo, v28, v20
	v_add_co_ci_u32_e64 v28, null, 0, v29, vcc_lo
	s_waitcnt lgkmcnt(0)
	s_cmp_lt_u32 s13, s5
	s_cselect_b32 s5, 14, 20
	s_add_u32 s6, s8, s5
	s_addc_u32 s7, s9, 0
	s_cmp_lt_u32 s12, s4
	global_load_ushort v15, v9, s[6:7]
	s_cselect_b32 s4, 12, 18
	s_add_u32 s4, s8, s4
	s_addc_u32 s5, s9, 0
	global_load_ushort v16, v9, s[4:5]
	s_waitcnt vmcnt(1)
	v_mad_u32_u24 v13, v14, v15, v13
	s_waitcnt vmcnt(0)
	v_mad_u64_u32 v[24:25], null, v13, v16, v[21:22]
	v_mov_b32_e32 v13, -1
	v_mov_b32_e32 v14, v13
	v_lshlrev_b32_e32 v22, 3, v24
	v_mov_b32_e32 v15, v13
	v_mov_b32_e32 v16, v13
	;; [unrolled: 1-line block ×4, first 2 shown]
	v_and_b32_e32 v22, 0xffffff00, v22
	v_mov_b32_e32 v19, v13
	v_lshlrev_b64 v[0:1], 2, v[22:23]
	v_or_b32_e32 v25, v22, v114
	v_cmp_lt_u32_e32 vcc_lo, v25, v151
	v_add_co_u32 v0, s4, v20, v0
	v_add_co_ci_u32_e64 v1, null, v28, v1, s4
	v_mov_b32_e32 v20, v13
	s_and_saveexec_b32 s4, vcc_lo
	s_cbranch_execz .LBB1325_147
; %bb.146:
	flat_load_dword v28, v[0:1]
	v_mov_b32_e32 v29, v13
	v_mov_b32_e32 v30, v13
	;; [unrolled: 1-line block ×7, first 2 shown]
	s_waitcnt vmcnt(0) lgkmcnt(0)
	v_mov_b32_e32 v13, v28
	v_mov_b32_e32 v14, v29
	;; [unrolled: 1-line block ×8, first 2 shown]
.LBB1325_147:
	s_or_b32 exec_lo, exec_lo, s4
	v_or_b32_e32 v28, 32, v25
	v_cmp_lt_u32_e64 s4, v28, v151
	s_and_saveexec_b32 s5, s4
	s_cbranch_execz .LBB1325_149
; %bb.148:
	flat_load_dword v14, v[0:1] offset:128
.LBB1325_149:
	s_or_b32 exec_lo, exec_lo, s5
	v_or_b32_e32 v28, 64, v25
	v_cmp_lt_u32_e64 s5, v28, v151
	s_and_saveexec_b32 s6, s5
	s_cbranch_execz .LBB1325_151
; %bb.150:
	flat_load_dword v15, v[0:1] offset:256
.LBB1325_151:
	;; [unrolled: 8-line block ×7, first 2 shown]
	s_or_b32 exec_lo, exec_lo, s15
	v_lshlrev_b64 v[0:1], 3, v[8:9]
	v_lshlrev_b32_e32 v8, 3, v114
                                        ; implicit-def: $vgpr36_vgpr37
	v_add_co_u32 v9, s15, v4, v0
	v_add_co_ci_u32_e64 v25, null, v5, v1, s15
	v_lshlrev_b64 v[4:5], 3, v[22:23]
	v_add_co_u32 v8, s15, v9, v8
	v_add_co_ci_u32_e64 v9, null, 0, v25, s15
	v_add_co_u32 v4, s15, v8, v4
	v_add_co_ci_u32_e64 v5, null, v9, v5, s15
	s_and_saveexec_b32 s15, vcc_lo
	s_cbranch_execnz .LBB1325_285
; %bb.162:
	s_or_b32 exec_lo, exec_lo, s15
                                        ; implicit-def: $vgpr48_vgpr49
	s_and_saveexec_b32 s15, s4
	s_cbranch_execnz .LBB1325_286
.LBB1325_163:
	s_or_b32 exec_lo, exec_lo, s15
                                        ; implicit-def: $vgpr50_vgpr51
	s_and_saveexec_b32 s4, s5
	s_cbranch_execnz .LBB1325_287
.LBB1325_164:
	s_or_b32 exec_lo, exec_lo, s4
                                        ; implicit-def: $vgpr52_vgpr53
	s_and_saveexec_b32 s4, s6
	s_cbranch_execnz .LBB1325_288
.LBB1325_165:
	s_or_b32 exec_lo, exec_lo, s4
                                        ; implicit-def: $vgpr54_vgpr55
	s_and_saveexec_b32 s4, s7
	s_cbranch_execnz .LBB1325_289
.LBB1325_166:
	s_or_b32 exec_lo, exec_lo, s4
                                        ; implicit-def: $vgpr32_vgpr33
	s_and_saveexec_b32 s4, s10
	s_cbranch_execnz .LBB1325_290
.LBB1325_167:
	s_or_b32 exec_lo, exec_lo, s4
                                        ; implicit-def: $vgpr34_vgpr35
	s_and_saveexec_b32 s4, s11
	s_cbranch_execnz .LBB1325_291
.LBB1325_168:
	s_or_b32 exec_lo, exec_lo, s4
                                        ; implicit-def: $vgpr38_vgpr39
	s_and_saveexec_b32 s4, s14
	s_cbranch_execz .LBB1325_170
.LBB1325_169:
	flat_load_dwordx2 v[38:39], v[4:5] offset:1792
.LBB1325_170:
	s_or_b32 exec_lo, exec_lo, s4
	v_cmp_gt_i32_e32 vcc_lo, 0, v13
	s_getpc_b64 s[4:5]
	s_add_u32 s4, s4, _ZN7rocprim17ROCPRIM_400000_NS16block_radix_sortIfLj256ELj8ElLj1ELj1ELj8ELNS0_26block_radix_rank_algorithmE2ELNS0_18block_padding_hintE2ELNS0_4arch9wavefront6targetE0EE19radix_bits_per_passE@rel32@lo+4
	s_addc_u32 s5, s5, _ZN7rocprim17ROCPRIM_400000_NS16block_radix_sortIfLj256ELj8ElLj1ELj1ELj8ELNS0_26block_radix_rank_algorithmE2ELNS0_18block_padding_hintE2ELNS0_4arch9wavefront6targetE0EE19radix_bits_per_passE@rel32@hi+12
	v_lshrrev_b32_e32 v101, 5, v24
	s_load_dword s23, s[4:5], 0x0
	v_cmp_lt_u32_e64 s15, 31, v21
	v_cndmask_b32_e64 v4, 0x7fffffff, 0, vcc_lo
	s_waitcnt vmcnt(0) lgkmcnt(0)
	v_cmp_gt_i32_e32 vcc_lo, 0, v14
	v_cmp_eq_u32_e64 s16, 0, v21
	v_sub_nc_u32_e32 v146, v11, v10
	s_mov_b32 s25, 0
	v_xor_b32_e32 v83, v4, v13
	v_cndmask_b32_e64 v5, 0x7fffffff, 0, vcc_lo
	v_cmp_gt_i32_e32 vcc_lo, 0, v15
	v_sub_co_u32 v13, s6, v114, 1
	s_waitcnt_vscnt null, 0x0
	v_xor_b32_e32 v65, v5, v14
	v_cndmask_b32_e64 v8, 0x7fffffff, 0, vcc_lo
	v_cmp_gt_i32_e32 vcc_lo, 0, v16
	v_cmp_gt_i32_e64 s14, 0, v13
	s_barrier
	buffer_gl0_inv
	v_xor_b32_e32 v67, v8, v15
	v_cndmask_b32_e64 v9, 0x7fffffff, 0, vcc_lo
	v_cmp_gt_i32_e32 vcc_lo, 0, v17
	v_xor_b32_e32 v69, v9, v16
	v_cndmask_b32_e64 v22, 0x7fffffff, 0, vcc_lo
	v_cmp_gt_i32_e32 vcc_lo, 0, v18
	v_and_b32_e32 v9, 15, v114
	v_xor_b32_e32 v71, v22, v17
	v_cndmask_b32_e64 v4, 0x7fffffff, 0, vcc_lo
	v_cmp_gt_i32_e32 vcc_lo, 0, v19
	v_cmp_lt_u32_e64 s4, 1, v9
	v_cmp_lt_u32_e64 s5, 3, v9
	;; [unrolled: 1-line block ×3, first 2 shown]
	v_xor_b32_e32 v81, v4, v18
	v_cndmask_b32_e64 v5, 0x7fffffff, 0, vcc_lo
	v_cmp_gt_i32_e32 vcc_lo, 0, v20
	v_lshl_add_u32 v4, v21, 5, v12
	v_xor_b32_e32 v85, v5, v19
	v_cndmask_b32_e64 v8, 0x7fffffff, 0, vcc_lo
	v_add_nc_u32_e32 v25, 32, v4
	v_add_nc_u32_e32 v86, 36, v4
	;; [unrolled: 1-line block ×4, first 2 shown]
	v_xor_b32_e32 v164, v8, v20
	v_and_b32_e32 v8, 0x3e0, v21
	v_add_nc_u32_e32 v97, 48, v4
	v_add_nc_u32_e32 v98, 52, v4
	;; [unrolled: 1-line block ×4, first 2 shown]
	v_min_u32_e32 v4, 0xe0, v8
	v_and_b32_e32 v8, 16, v114
	v_lshlrev_b32_e32 v5, 3, v21
	v_cmp_eq_u32_e32 vcc_lo, 0, v9
	v_and_b32_e32 v9, 7, v114
	v_or_b32_e32 v4, 31, v4
	v_cmp_eq_u32_e64 s10, 0, v8
	v_lshrrev_b32_e32 v8, 3, v21
	v_and_or_b32 v5, 0x1f00, v5, v114
	v_cmp_eq_u32_e64 s17, 0, v9
	v_cmp_eq_u32_e64 s11, v21, v4
	v_cndmask_b32_e64 v4, v13, v114, s14
	v_and_b32_e32 v8, 0x7c, v8
	v_cmp_gt_u32_e64 s14, 8, v21
	v_cmp_lt_u32_e64 s18, 1, v9
	v_cmp_lt_u32_e64 s19, 3, v9
	v_lshlrev_b32_e32 v103, 2, v4
	v_add_nc_u32_e32 v112, v12, v8
	v_lshlrev_b32_e32 v8, 2, v5
	v_lshlrev_b32_e32 v4, 2, v21
	v_mov_b32_e32 v5, 0
	v_add_nc_u32_e32 v114, -4, v112
	v_add_nc_u32_e32 v113, v12, v8
	v_add_co_u32 v102, null, v12, v4
	v_add_nc_u32_e32 v118, v113, v8
	v_add_nc_u32_e32 v115, 0x80, v113
	;; [unrolled: 1-line block ×15, first 2 shown]
	s_branch .LBB1325_172
.LBB1325_171:                           ;   in Loop: Header=BB1325_172 Depth=1
	s_or_b32 exec_lo, exec_lo, s21
	s_and_b32 s20, exec_lo, s26
	s_or_b32 s25, s20, s25
	s_andn2_b32 exec_lo, exec_lo, s25
	s_cbranch_execz .LBB1325_226
.LBB1325_172:                           ; =>This Inner Loop Header: Depth=1
	v_mov_b32_e32 v147, v83
	v_min_u32_e32 v4, s23, v146
	v_mov_b32_e32 v19, v36
	v_mov_b32_e32 v20, v37
	;; [unrolled: 1-line block ×3, first 2 shown]
	v_cmp_ne_u32_e64 s20, 0x80000000, v147
	v_lshlrev_b32_e64 v4, v4, -1
	v_mov_b32_e32 v15, v50
	v_mov_b32_e32 v13, v54
	;; [unrolled: 1-line block ×3, first 2 shown]
	v_cndmask_b32_e64 v8, 0x7fffffff, v147, s20
	v_not_b32_e32 v64, v4
	v_mov_b32_e32 v149, v85
	v_mov_b32_e32 v150, v81
	;; [unrolled: 1-line block ×3, first 2 shown]
	v_lshrrev_b32_e32 v4, v10, v8
	v_mov_b32_e32 v8, v52
	v_mov_b32_e32 v161, v69
	v_mov_b32_e32 v162, v67
	v_mov_b32_e32 v163, v65
	v_and_b32_e32 v4, v4, v64
	v_mov_b32_e32 v18, v49
	v_mov_b32_e32 v16, v51
	;; [unrolled: 1-line block ×4, first 2 shown]
	v_and_b32_e32 v22, 1, v4
	v_lshlrev_b32_e32 v23, 30, v4
	v_lshlrev_b32_e32 v28, 29, v4
	;; [unrolled: 1-line block ×4, first 2 shown]
	v_add_co_u32 v22, s20, v22, -1
	v_cndmask_b32_e64 v29, 0, 1, s20
	v_not_b32_e32 v37, v23
	v_cmp_gt_i32_e64 s21, 0, v23
	v_not_b32_e32 v23, v28
	v_lshlrev_b32_e32 v36, 26, v4
	v_cmp_ne_u32_e64 s20, 0, v29
	v_ashrrev_i32_e32 v37, 31, v37
	v_lshlrev_b32_e32 v29, 25, v4
	v_ashrrev_i32_e32 v23, 31, v23
	ds_write_b32 v25, v5
	ds_write_b32 v86, v5
	v_xor_b32_e32 v22, s20, v22
	v_cmp_gt_i32_e64 s20, 0, v28
	v_not_b32_e32 v28, v30
	v_xor_b32_e32 v37, s21, v37
	v_cmp_gt_i32_e64 s21, 0, v30
	v_and_b32_e32 v22, exec_lo, v22
	v_not_b32_e32 v30, v31
	v_ashrrev_i32_e32 v28, 31, v28
	v_xor_b32_e32 v23, s20, v23
	v_cmp_gt_i32_e64 s20, 0, v31
	v_and_b32_e32 v22, v22, v37
	v_ashrrev_i32_e32 v30, 31, v30
	v_xor_b32_e32 v28, s21, v28
	v_not_b32_e32 v31, v36
	v_cmp_gt_i32_e64 s21, 0, v36
	v_and_b32_e32 v22, v22, v23
	v_not_b32_e32 v23, v29
	v_xor_b32_e32 v30, s20, v30
	v_ashrrev_i32_e32 v31, 31, v31
	v_cmp_gt_i32_e64 s20, 0, v29
	v_and_b32_e32 v22, v22, v28
	v_lshlrev_b32_e32 v28, 24, v4
	v_ashrrev_i32_e32 v29, 31, v23
	v_xor_b32_e32 v36, s21, v31
	v_lshl_add_u32 v4, v4, 3, v101
	v_and_b32_e32 v37, v22, v30
	v_mov_b32_e32 v22, v32
	v_mov_b32_e32 v23, v33
	v_not_b32_e32 v32, v28
	v_mov_b32_e32 v30, v34
	v_mov_b32_e32 v31, v35
	v_xor_b32_e32 v33, s20, v29
	v_and_b32_e32 v34, v37, v36
	v_cmp_gt_i32_e64 s20, 0, v28
	v_ashrrev_i32_e32 v32, 31, v32
	v_mov_b32_e32 v28, v38
	v_mov_b32_e32 v29, v39
	v_and_b32_e32 v33, v34, v33
	v_lshlrev_b64 v[34:35], 2, v[4:5]
	v_xor_b32_e32 v32, s20, v32
	ds_write_b32 v87, v5
	ds_write_b32 v96, v5
	;; [unrolled: 1-line block ×6, first 2 shown]
	v_and_b32_e32 v33, v33, v32
	v_add_co_u32 v32, null, v12, v34
	s_waitcnt lgkmcnt(0)
	s_barrier
	v_mbcnt_lo_u32_b32 v4, v33, 0
	v_cmp_ne_u32_e64 s21, 0, v33
	v_add_co_u32 v32, null, v32, 32
	buffer_gl0_inv
	v_cmp_eq_u32_e64 s20, 0, v4
	; wave barrier
	s_and_b32 s21, s21, s20
	s_and_saveexec_b32 s20, s21
; %bb.173:                              ;   in Loop: Header=BB1325_172 Depth=1
	v_bcnt_u32_b32 v33, v33, 0
	ds_write_b32 v32, v33
; %bb.174:                              ;   in Loop: Header=BB1325_172 Depth=1
	s_or_b32 exec_lo, exec_lo, s20
	v_cmp_ne_u32_e64 s20, 0x80000000, v163
	; wave barrier
	v_cndmask_b32_e64 v33, 0x7fffffff, v163, s20
	v_lshrrev_b32_e32 v33, v10, v33
	v_and_b32_e32 v33, v33, v64
	v_and_b32_e32 v34, 1, v33
	v_lshlrev_b32_e32 v35, 30, v33
	v_lshlrev_b32_e32 v36, 29, v33
	;; [unrolled: 1-line block ×4, first 2 shown]
	v_add_co_u32 v34, s20, v34, -1
	v_cndmask_b32_e64 v38, 0, 1, s20
	v_not_b32_e32 v50, v35
	v_cmp_gt_i32_e64 s21, 0, v35
	v_not_b32_e32 v35, v36
	v_lshlrev_b32_e32 v48, 26, v33
	v_cmp_ne_u32_e64 s20, 0, v38
	v_ashrrev_i32_e32 v50, 31, v50
	v_lshlrev_b32_e32 v49, 25, v33
	v_ashrrev_i32_e32 v35, 31, v35
	v_lshlrev_b32_e32 v38, 24, v33
	v_xor_b32_e32 v34, s20, v34
	v_cmp_gt_i32_e64 s20, 0, v36
	v_not_b32_e32 v36, v37
	v_xor_b32_e32 v50, s21, v50
	v_cmp_gt_i32_e64 s21, 0, v37
	v_and_b32_e32 v34, exec_lo, v34
	v_not_b32_e32 v37, v39
	v_ashrrev_i32_e32 v36, 31, v36
	v_xor_b32_e32 v35, s20, v35
	v_cmp_gt_i32_e64 s20, 0, v39
	v_and_b32_e32 v34, v34, v50
	v_not_b32_e32 v39, v48
	v_ashrrev_i32_e32 v37, 31, v37
	v_xor_b32_e32 v36, s21, v36
	v_cmp_gt_i32_e64 s21, 0, v48
	v_and_b32_e32 v34, v34, v35
	;; [unrolled: 5-line block ×3, first 2 shown]
	v_not_b32_e32 v36, v38
	v_ashrrev_i32_e32 v35, 31, v35
	v_xor_b32_e32 v39, s21, v39
	v_lshl_add_u32 v33, v33, 3, v101
	v_and_b32_e32 v34, v34, v37
	v_cmp_gt_i32_e64 s21, 0, v38
	v_ashrrev_i32_e32 v36, 31, v36
	v_xor_b32_e32 v35, s20, v35
	v_lshl_add_u32 v37, v33, 2, v12
	v_and_b32_e32 v34, v34, v39
	v_xor_b32_e32 v36, s21, v36
	ds_read_b32 v33, v37 offset:32
	v_and_b32_e32 v34, v34, v35
	v_add_nc_u32_e32 v35, 32, v37
	; wave barrier
	v_and_b32_e32 v36, v34, v36
	v_mbcnt_lo_u32_b32 v34, v36, 0
	v_cmp_ne_u32_e64 s21, 0, v36
	v_cmp_eq_u32_e64 s20, 0, v34
	s_and_b32 s21, s21, s20
	s_and_saveexec_b32 s20, s21
	s_cbranch_execz .LBB1325_176
; %bb.175:                              ;   in Loop: Header=BB1325_172 Depth=1
	s_waitcnt lgkmcnt(0)
	v_bcnt_u32_b32 v36, v36, v33
	ds_write_b32 v35, v36
.LBB1325_176:                           ;   in Loop: Header=BB1325_172 Depth=1
	s_or_b32 exec_lo, exec_lo, s20
	v_cmp_ne_u32_e64 s20, 0x80000000, v162
	; wave barrier
	v_cndmask_b32_e64 v36, 0x7fffffff, v162, s20
	v_lshrrev_b32_e32 v36, v10, v36
	v_and_b32_e32 v36, v36, v64
	v_and_b32_e32 v37, 1, v36
	v_lshlrev_b32_e32 v38, 30, v36
	v_lshlrev_b32_e32 v39, 29, v36
	;; [unrolled: 1-line block ×4, first 2 shown]
	v_add_co_u32 v37, s20, v37, -1
	v_cndmask_b32_e64 v49, 0, 1, s20
	v_not_b32_e32 v53, v38
	v_cmp_gt_i32_e64 s21, 0, v38
	v_not_b32_e32 v38, v39
	v_lshlrev_b32_e32 v51, 26, v36
	v_cmp_ne_u32_e64 s20, 0, v49
	v_ashrrev_i32_e32 v53, 31, v53
	v_lshlrev_b32_e32 v52, 25, v36
	v_ashrrev_i32_e32 v38, 31, v38
	v_lshlrev_b32_e32 v49, 24, v36
	v_xor_b32_e32 v37, s20, v37
	v_cmp_gt_i32_e64 s20, 0, v39
	v_not_b32_e32 v39, v48
	v_xor_b32_e32 v53, s21, v53
	v_cmp_gt_i32_e64 s21, 0, v48
	v_and_b32_e32 v37, exec_lo, v37
	v_not_b32_e32 v48, v50
	v_ashrrev_i32_e32 v39, 31, v39
	v_xor_b32_e32 v38, s20, v38
	v_cmp_gt_i32_e64 s20, 0, v50
	v_and_b32_e32 v37, v37, v53
	v_not_b32_e32 v50, v51
	v_ashrrev_i32_e32 v48, 31, v48
	v_xor_b32_e32 v39, s21, v39
	v_cmp_gt_i32_e64 s21, 0, v51
	v_and_b32_e32 v37, v37, v38
	;; [unrolled: 5-line block ×3, first 2 shown]
	v_not_b32_e32 v39, v49
	v_ashrrev_i32_e32 v38, 31, v38
	v_xor_b32_e32 v50, s21, v50
	v_lshl_add_u32 v36, v36, 3, v101
	v_and_b32_e32 v37, v37, v48
	v_cmp_gt_i32_e64 s21, 0, v49
	v_ashrrev_i32_e32 v39, 31, v39
	v_xor_b32_e32 v38, s20, v38
	v_lshl_add_u32 v48, v36, 2, v12
	v_and_b32_e32 v37, v37, v50
	v_xor_b32_e32 v39, s21, v39
	ds_read_b32 v36, v48 offset:32
	v_and_b32_e32 v37, v37, v38
	v_add_nc_u32_e32 v38, 32, v48
	; wave barrier
	v_and_b32_e32 v39, v37, v39
	v_mbcnt_lo_u32_b32 v37, v39, 0
	v_cmp_ne_u32_e64 s21, 0, v39
	v_cmp_eq_u32_e64 s20, 0, v37
	s_and_b32 s21, s21, s20
	s_and_saveexec_b32 s20, s21
	s_cbranch_execz .LBB1325_178
; %bb.177:                              ;   in Loop: Header=BB1325_172 Depth=1
	s_waitcnt lgkmcnt(0)
	v_bcnt_u32_b32 v39, v39, v36
	ds_write_b32 v38, v39
.LBB1325_178:                           ;   in Loop: Header=BB1325_172 Depth=1
	s_or_b32 exec_lo, exec_lo, s20
	v_cmp_ne_u32_e64 s20, 0x80000000, v161
	; wave barrier
	v_cndmask_b32_e64 v39, 0x7fffffff, v161, s20
	v_lshrrev_b32_e32 v39, v10, v39
	v_and_b32_e32 v39, v39, v64
	v_and_b32_e32 v48, 1, v39
	v_lshlrev_b32_e32 v49, 30, v39
	v_lshlrev_b32_e32 v50, 29, v39
	;; [unrolled: 1-line block ×4, first 2 shown]
	v_add_co_u32 v48, s20, v48, -1
	v_cndmask_b32_e64 v52, 0, 1, s20
	v_not_b32_e32 v65, v49
	v_cmp_gt_i32_e64 s21, 0, v49
	v_not_b32_e32 v49, v50
	v_lshlrev_b32_e32 v54, 26, v39
	v_cmp_ne_u32_e64 s20, 0, v52
	v_ashrrev_i32_e32 v65, 31, v65
	v_lshlrev_b32_e32 v55, 25, v39
	v_ashrrev_i32_e32 v49, 31, v49
	v_lshlrev_b32_e32 v52, 24, v39
	v_xor_b32_e32 v48, s20, v48
	v_cmp_gt_i32_e64 s20, 0, v50
	v_not_b32_e32 v50, v51
	v_xor_b32_e32 v65, s21, v65
	v_cmp_gt_i32_e64 s21, 0, v51
	v_and_b32_e32 v48, exec_lo, v48
	v_not_b32_e32 v51, v53
	v_ashrrev_i32_e32 v50, 31, v50
	v_xor_b32_e32 v49, s20, v49
	v_cmp_gt_i32_e64 s20, 0, v53
	v_and_b32_e32 v48, v48, v65
	v_not_b32_e32 v53, v54
	v_ashrrev_i32_e32 v51, 31, v51
	v_xor_b32_e32 v50, s21, v50
	v_cmp_gt_i32_e64 s21, 0, v54
	v_and_b32_e32 v48, v48, v49
	;; [unrolled: 5-line block ×3, first 2 shown]
	v_not_b32_e32 v50, v52
	v_ashrrev_i32_e32 v49, 31, v49
	v_xor_b32_e32 v53, s21, v53
	v_lshl_add_u32 v39, v39, 3, v101
	v_and_b32_e32 v48, v48, v51
	v_cmp_gt_i32_e64 s21, 0, v52
	v_ashrrev_i32_e32 v50, 31, v50
	v_xor_b32_e32 v49, s20, v49
	v_lshl_add_u32 v51, v39, 2, v12
	v_and_b32_e32 v48, v48, v53
	v_xor_b32_e32 v50, s21, v50
	ds_read_b32 v39, v51 offset:32
	v_and_b32_e32 v48, v48, v49
	v_add_nc_u32_e32 v49, 32, v51
	; wave barrier
	v_and_b32_e32 v50, v48, v50
	v_mbcnt_lo_u32_b32 v48, v50, 0
	v_cmp_ne_u32_e64 s21, 0, v50
	v_cmp_eq_u32_e64 s20, 0, v48
	s_and_b32 s21, s21, s20
	s_and_saveexec_b32 s20, s21
	s_cbranch_execz .LBB1325_180
; %bb.179:                              ;   in Loop: Header=BB1325_172 Depth=1
	s_waitcnt lgkmcnt(0)
	v_bcnt_u32_b32 v50, v50, v39
	ds_write_b32 v49, v50
.LBB1325_180:                           ;   in Loop: Header=BB1325_172 Depth=1
	s_or_b32 exec_lo, exec_lo, s20
	v_cmp_ne_u32_e64 s20, 0x80000000, v160
	; wave barrier
	v_cndmask_b32_e64 v50, 0x7fffffff, v160, s20
	v_lshrrev_b32_e32 v50, v10, v50
	v_and_b32_e32 v50, v50, v64
	v_and_b32_e32 v51, 1, v50
	v_lshlrev_b32_e32 v52, 30, v50
	v_lshlrev_b32_e32 v53, 29, v50
	;; [unrolled: 1-line block ×4, first 2 shown]
	v_add_co_u32 v51, s20, v51, -1
	v_cndmask_b32_e64 v55, 0, 1, s20
	v_not_b32_e32 v68, v52
	v_cmp_gt_i32_e64 s21, 0, v52
	v_not_b32_e32 v52, v53
	v_lshlrev_b32_e32 v66, 26, v50
	v_cmp_ne_u32_e64 s20, 0, v55
	v_ashrrev_i32_e32 v68, 31, v68
	v_lshlrev_b32_e32 v67, 25, v50
	v_ashrrev_i32_e32 v52, 31, v52
	v_lshlrev_b32_e32 v55, 24, v50
	v_xor_b32_e32 v51, s20, v51
	v_cmp_gt_i32_e64 s20, 0, v53
	v_not_b32_e32 v53, v54
	v_xor_b32_e32 v68, s21, v68
	v_cmp_gt_i32_e64 s21, 0, v54
	v_and_b32_e32 v51, exec_lo, v51
	v_not_b32_e32 v54, v65
	v_ashrrev_i32_e32 v53, 31, v53
	v_xor_b32_e32 v52, s20, v52
	v_cmp_gt_i32_e64 s20, 0, v65
	v_and_b32_e32 v51, v51, v68
	v_not_b32_e32 v65, v66
	v_ashrrev_i32_e32 v54, 31, v54
	v_xor_b32_e32 v53, s21, v53
	v_cmp_gt_i32_e64 s21, 0, v66
	v_and_b32_e32 v51, v51, v52
	;; [unrolled: 5-line block ×3, first 2 shown]
	v_not_b32_e32 v53, v55
	v_ashrrev_i32_e32 v52, 31, v52
	v_xor_b32_e32 v65, s21, v65
	v_lshl_add_u32 v50, v50, 3, v101
	v_and_b32_e32 v51, v51, v54
	v_cmp_gt_i32_e64 s21, 0, v55
	v_ashrrev_i32_e32 v53, 31, v53
	v_xor_b32_e32 v52, s20, v52
	v_lshl_add_u32 v54, v50, 2, v12
	v_and_b32_e32 v51, v51, v65
	v_xor_b32_e32 v53, s21, v53
	ds_read_b32 v50, v54 offset:32
	v_and_b32_e32 v51, v51, v52
	v_add_nc_u32_e32 v52, 32, v54
	; wave barrier
	v_and_b32_e32 v53, v51, v53
	v_mbcnt_lo_u32_b32 v51, v53, 0
	v_cmp_ne_u32_e64 s21, 0, v53
	v_cmp_eq_u32_e64 s20, 0, v51
	s_and_b32 s21, s21, s20
	s_and_saveexec_b32 s20, s21
	s_cbranch_execz .LBB1325_182
; %bb.181:                              ;   in Loop: Header=BB1325_172 Depth=1
	s_waitcnt lgkmcnt(0)
	v_bcnt_u32_b32 v53, v53, v50
	ds_write_b32 v52, v53
.LBB1325_182:                           ;   in Loop: Header=BB1325_172 Depth=1
	s_or_b32 exec_lo, exec_lo, s20
	v_cmp_ne_u32_e64 s20, 0x80000000, v150
	; wave barrier
	v_cndmask_b32_e64 v53, 0x7fffffff, v150, s20
	v_lshrrev_b32_e32 v53, v10, v53
	v_and_b32_e32 v53, v53, v64
	v_and_b32_e32 v54, 1, v53
	v_lshlrev_b32_e32 v55, 30, v53
	v_lshlrev_b32_e32 v65, 29, v53
	;; [unrolled: 1-line block ×4, first 2 shown]
	v_add_co_u32 v54, s20, v54, -1
	v_cndmask_b32_e64 v67, 0, 1, s20
	v_not_b32_e32 v71, v55
	v_cmp_gt_i32_e64 s21, 0, v55
	v_not_b32_e32 v55, v65
	v_lshlrev_b32_e32 v69, 26, v53
	v_cmp_ne_u32_e64 s20, 0, v67
	v_ashrrev_i32_e32 v71, 31, v71
	v_lshlrev_b32_e32 v70, 25, v53
	v_ashrrev_i32_e32 v55, 31, v55
	v_lshlrev_b32_e32 v67, 24, v53
	v_xor_b32_e32 v54, s20, v54
	v_cmp_gt_i32_e64 s20, 0, v65
	v_not_b32_e32 v65, v66
	v_xor_b32_e32 v71, s21, v71
	v_cmp_gt_i32_e64 s21, 0, v66
	v_and_b32_e32 v54, exec_lo, v54
	v_not_b32_e32 v66, v68
	v_ashrrev_i32_e32 v65, 31, v65
	v_xor_b32_e32 v55, s20, v55
	v_cmp_gt_i32_e64 s20, 0, v68
	v_and_b32_e32 v54, v54, v71
	v_not_b32_e32 v68, v69
	v_ashrrev_i32_e32 v66, 31, v66
	v_xor_b32_e32 v65, s21, v65
	v_cmp_gt_i32_e64 s21, 0, v69
	v_and_b32_e32 v54, v54, v55
	;; [unrolled: 5-line block ×3, first 2 shown]
	v_not_b32_e32 v65, v67
	v_ashrrev_i32_e32 v55, 31, v55
	v_xor_b32_e32 v68, s21, v68
	v_lshl_add_u32 v53, v53, 3, v101
	v_and_b32_e32 v54, v54, v66
	v_cmp_gt_i32_e64 s21, 0, v67
	v_ashrrev_i32_e32 v65, 31, v65
	v_xor_b32_e32 v55, s20, v55
	v_lshl_add_u32 v66, v53, 2, v12
	v_and_b32_e32 v54, v54, v68
	v_xor_b32_e32 v65, s21, v65
	ds_read_b32 v53, v66 offset:32
	v_and_b32_e32 v54, v54, v55
	v_add_nc_u32_e32 v55, 32, v66
	; wave barrier
	v_and_b32_e32 v65, v54, v65
	v_mbcnt_lo_u32_b32 v54, v65, 0
	v_cmp_ne_u32_e64 s21, 0, v65
	v_cmp_eq_u32_e64 s20, 0, v54
	s_and_b32 s21, s21, s20
	s_and_saveexec_b32 s20, s21
	s_cbranch_execz .LBB1325_184
; %bb.183:                              ;   in Loop: Header=BB1325_172 Depth=1
	s_waitcnt lgkmcnt(0)
	v_bcnt_u32_b32 v65, v65, v53
	ds_write_b32 v55, v65
.LBB1325_184:                           ;   in Loop: Header=BB1325_172 Depth=1
	s_or_b32 exec_lo, exec_lo, s20
	v_cmp_ne_u32_e64 s20, 0x80000000, v149
	; wave barrier
	v_cndmask_b32_e64 v65, 0x7fffffff, v149, s20
	v_lshrrev_b32_e32 v65, v10, v65
	v_and_b32_e32 v65, v65, v64
	v_and_b32_e32 v66, 1, v65
	v_lshlrev_b32_e32 v67, 30, v65
	v_lshlrev_b32_e32 v68, 29, v65
	;; [unrolled: 1-line block ×4, first 2 shown]
	v_add_co_u32 v66, s20, v66, -1
	v_cndmask_b32_e64 v70, 0, 1, s20
	v_not_b32_e32 v82, v67
	v_cmp_gt_i32_e64 s21, 0, v67
	v_not_b32_e32 v67, v68
	v_lshlrev_b32_e32 v80, 26, v65
	v_cmp_ne_u32_e64 s20, 0, v70
	v_ashrrev_i32_e32 v82, 31, v82
	v_lshlrev_b32_e32 v81, 25, v65
	v_ashrrev_i32_e32 v67, 31, v67
	v_lshlrev_b32_e32 v70, 24, v65
	v_xor_b32_e32 v66, s20, v66
	v_cmp_gt_i32_e64 s20, 0, v68
	v_not_b32_e32 v68, v69
	v_xor_b32_e32 v82, s21, v82
	v_cmp_gt_i32_e64 s21, 0, v69
	v_and_b32_e32 v66, exec_lo, v66
	v_not_b32_e32 v69, v71
	v_ashrrev_i32_e32 v68, 31, v68
	v_xor_b32_e32 v67, s20, v67
	v_cmp_gt_i32_e64 s20, 0, v71
	v_and_b32_e32 v66, v66, v82
	v_not_b32_e32 v71, v80
	v_ashrrev_i32_e32 v69, 31, v69
	v_xor_b32_e32 v68, s21, v68
	v_cmp_gt_i32_e64 s21, 0, v80
	v_and_b32_e32 v66, v66, v67
	v_not_b32_e32 v67, v81
	v_ashrrev_i32_e32 v71, 31, v71
	v_xor_b32_e32 v69, s20, v69
	v_cmp_gt_i32_e64 s20, 0, v81
	v_and_b32_e32 v66, v66, v68
	v_not_b32_e32 v68, v70
	v_ashrrev_i32_e32 v67, 31, v67
	v_xor_b32_e32 v71, s21, v71
	v_lshl_add_u32 v65, v65, 3, v101
	v_and_b32_e32 v66, v66, v69
	v_cmp_gt_i32_e64 s21, 0, v70
	v_ashrrev_i32_e32 v68, 31, v68
	v_xor_b32_e32 v67, s20, v67
	v_lshl_add_u32 v65, v65, 2, v12
	v_and_b32_e32 v66, v66, v71
	v_xor_b32_e32 v68, s21, v68
	ds_read_b32 v82, v65 offset:32
	v_and_b32_e32 v66, v66, v67
	v_add_nc_u32_e32 v65, 32, v65
	; wave barrier
	v_and_b32_e32 v66, v66, v68
	v_mbcnt_lo_u32_b32 v84, v66, 0
	v_cmp_ne_u32_e64 s21, 0, v66
	v_cmp_eq_u32_e64 s20, 0, v84
	s_and_b32 s21, s21, s20
	s_and_saveexec_b32 s20, s21
	s_cbranch_execz .LBB1325_186
; %bb.185:                              ;   in Loop: Header=BB1325_172 Depth=1
	s_waitcnt lgkmcnt(0)
	v_bcnt_u32_b32 v66, v66, v82
	ds_write_b32 v65, v66
.LBB1325_186:                           ;   in Loop: Header=BB1325_172 Depth=1
	s_or_b32 exec_lo, exec_lo, s20
	v_cmp_ne_u32_e64 s20, 0x80000000, v148
	; wave barrier
	v_cndmask_b32_e64 v66, 0x7fffffff, v148, s20
	v_lshrrev_b32_e32 v66, v10, v66
	v_and_b32_e32 v64, v66, v64
	v_and_b32_e32 v66, 1, v64
	v_lshlrev_b32_e32 v67, 30, v64
	v_lshlrev_b32_e32 v68, 29, v64
	v_lshlrev_b32_e32 v69, 28, v64
	v_lshlrev_b32_e32 v71, 27, v64
	v_add_co_u32 v66, s20, v66, -1
	v_cndmask_b32_e64 v70, 0, 1, s20
	v_not_b32_e32 v83, v67
	v_cmp_gt_i32_e64 s21, 0, v67
	v_not_b32_e32 v67, v68
	v_lshlrev_b32_e32 v80, 26, v64
	v_cmp_ne_u32_e64 s20, 0, v70
	v_ashrrev_i32_e32 v83, 31, v83
	v_lshlrev_b32_e32 v81, 25, v64
	v_ashrrev_i32_e32 v67, 31, v67
	v_lshlrev_b32_e32 v70, 24, v64
	v_xor_b32_e32 v66, s20, v66
	v_cmp_gt_i32_e64 s20, 0, v68
	v_not_b32_e32 v68, v69
	v_xor_b32_e32 v83, s21, v83
	v_cmp_gt_i32_e64 s21, 0, v69
	v_and_b32_e32 v66, exec_lo, v66
	v_not_b32_e32 v69, v71
	v_ashrrev_i32_e32 v68, 31, v68
	v_xor_b32_e32 v67, s20, v67
	v_cmp_gt_i32_e64 s20, 0, v71
	v_and_b32_e32 v66, v66, v83
	v_not_b32_e32 v71, v80
	v_ashrrev_i32_e32 v69, 31, v69
	v_xor_b32_e32 v68, s21, v68
	v_cmp_gt_i32_e64 s21, 0, v80
	v_and_b32_e32 v66, v66, v67
	;; [unrolled: 5-line block ×3, first 2 shown]
	v_not_b32_e32 v68, v70
	v_ashrrev_i32_e32 v67, 31, v67
	v_xor_b32_e32 v71, s21, v71
	v_lshl_add_u32 v64, v64, 3, v101
	v_and_b32_e32 v66, v66, v69
	v_cmp_gt_i32_e64 s21, 0, v70
	v_ashrrev_i32_e32 v68, 31, v68
	v_xor_b32_e32 v67, s20, v67
	v_lshl_add_u32 v64, v64, 2, v12
	v_and_b32_e32 v66, v66, v71
	v_xor_b32_e32 v68, s21, v68
	ds_read_b32 v164, v64 offset:32
	v_and_b32_e32 v66, v66, v67
	v_add_nc_u32_e32 v64, 32, v64
	; wave barrier
	v_and_b32_e32 v66, v66, v68
	v_mbcnt_lo_u32_b32 v165, v66, 0
	v_cmp_ne_u32_e64 s21, 0, v66
	v_cmp_eq_u32_e64 s20, 0, v165
	s_and_b32 s21, s21, s20
	s_and_saveexec_b32 s20, s21
	s_cbranch_execz .LBB1325_188
; %bb.187:                              ;   in Loop: Header=BB1325_172 Depth=1
	s_waitcnt lgkmcnt(0)
	v_bcnt_u32_b32 v66, v66, v164
	ds_write_b32 v64, v66
.LBB1325_188:                           ;   in Loop: Header=BB1325_172 Depth=1
	s_or_b32 exec_lo, exec_lo, s20
	; wave barrier
	s_waitcnt lgkmcnt(0)
	s_barrier
	buffer_gl0_inv
	ds_read_b32 v67, v25
	ds_read_b32 v68, v86
	;; [unrolled: 1-line block ×8, first 2 shown]
	s_waitcnt lgkmcnt(6)
	v_add_nc_u32_e32 v83, v68, v67
	s_waitcnt lgkmcnt(4)
	v_add3_u32 v83, v83, v69, v70
	s_waitcnt lgkmcnt(2)
	v_add3_u32 v83, v83, v71, v80
	;; [unrolled: 2-line block ×3, first 2 shown]
	v_mov_b32_dpp v83, v81 row_shr:1 row_mask:0xf bank_mask:0xf
	v_cndmask_b32_e64 v83, v83, 0, vcc_lo
	v_add_nc_u32_e32 v81, v83, v81
	v_mov_b32_dpp v83, v81 row_shr:2 row_mask:0xf bank_mask:0xf
	v_cndmask_b32_e64 v83, 0, v83, s4
	v_add_nc_u32_e32 v81, v81, v83
	v_mov_b32_dpp v83, v81 row_shr:4 row_mask:0xf bank_mask:0xf
	v_cndmask_b32_e64 v83, 0, v83, s5
	;; [unrolled: 3-line block ×3, first 2 shown]
	v_add_nc_u32_e32 v81, v81, v83
	ds_swizzle_b32 v83, v81 offset:swizzle(BROADCAST,32,15)
	s_waitcnt lgkmcnt(0)
	v_cndmask_b32_e64 v83, v83, 0, s10
	v_add_nc_u32_e32 v81, v81, v83
	s_and_saveexec_b32 s20, s11
; %bb.189:                              ;   in Loop: Header=BB1325_172 Depth=1
	ds_write_b32 v112, v81
; %bb.190:                              ;   in Loop: Header=BB1325_172 Depth=1
	s_or_b32 exec_lo, exec_lo, s20
	s_waitcnt lgkmcnt(0)
	s_barrier
	buffer_gl0_inv
	s_and_saveexec_b32 s20, s14
	s_cbranch_execz .LBB1325_192
; %bb.191:                              ;   in Loop: Header=BB1325_172 Depth=1
	ds_read_b32 v83, v102
	s_waitcnt lgkmcnt(0)
	v_mov_b32_dpp v85, v83 row_shr:1 row_mask:0xf bank_mask:0xf
	v_cndmask_b32_e64 v85, v85, 0, s17
	v_add_nc_u32_e32 v83, v85, v83
	v_mov_b32_dpp v85, v83 row_shr:2 row_mask:0xf bank_mask:0xf
	v_cndmask_b32_e64 v85, 0, v85, s18
	v_add_nc_u32_e32 v83, v83, v85
	;; [unrolled: 3-line block ×3, first 2 shown]
	ds_write_b32 v102, v83
.LBB1325_192:                           ;   in Loop: Header=BB1325_172 Depth=1
	s_or_b32 exec_lo, exec_lo, s20
	v_mov_b32_e32 v83, 0
	s_waitcnt lgkmcnt(0)
	s_barrier
	buffer_gl0_inv
	s_and_saveexec_b32 s20, s15
; %bb.193:                              ;   in Loop: Header=BB1325_172 Depth=1
	ds_read_b32 v83, v114
; %bb.194:                              ;   in Loop: Header=BB1325_172 Depth=1
	s_or_b32 exec_lo, exec_lo, s20
	s_waitcnt lgkmcnt(0)
	v_add_nc_u32_e32 v81, v83, v81
	v_mov_b32_e32 v85, v5
	v_add_nc_u32_e32 v10, 8, v10
	s_mov_b32 s26, -1
	ds_bpermute_b32 v81, v103, v81
	v_cmp_lt_u32_e64 s20, v10, v11
	s_waitcnt lgkmcnt(0)
	v_cndmask_b32_e64 v81, v81, v83, s6
	v_mov_b32_e32 v83, v5
	v_cndmask_b32_e64 v81, v81, 0, s16
	v_add_nc_u32_e32 v67, v81, v67
	v_add_nc_u32_e32 v68, v67, v68
	ds_write_b32 v25, v81
	ds_write_b32 v86, v67
	;; [unrolled: 1-line block ×3, first 2 shown]
	v_mov_b32_e32 v67, v5
	v_add_nc_u32_e32 v69, v68, v69
	v_mov_b32_e32 v81, v5
	v_add_nc_u32_e32 v70, v69, v70
	v_add_nc_u32_e32 v71, v70, v71
	;; [unrolled: 1-line block ×4, first 2 shown]
	ds_write_b32 v96, v69
	ds_write_b32 v97, v70
	;; [unrolled: 1-line block ×5, first 2 shown]
	s_waitcnt lgkmcnt(0)
	s_barrier
	buffer_gl0_inv
	ds_read_b32 v32, v32
	ds_read_b32 v35, v35
	;; [unrolled: 1-line block ×8, first 2 shown]
	v_mov_b32_e32 v71, v5
	v_mov_b32_e32 v65, v5
	;; [unrolled: 1-line block ×3, first 2 shown]
	s_waitcnt lgkmcnt(0)
	v_add_nc_u32_e32 v4, v32, v4
	v_add3_u32 v66, v34, v33, v35
	v_add3_u32 v70, v37, v36, v38
	;; [unrolled: 1-line block ×5, first 2 shown]
	v_lshlrev_b64 v[32:33], 2, v[4:5]
	v_add3_u32 v82, v84, v82, v166
	v_add3_u32 v84, v165, v164, v167
	v_lshlrev_b64 v[33:34], 2, v[66:67]
	v_lshlrev_b64 v[34:35], 2, v[70:71]
	v_lshlrev_b64 v[35:36], 2, v[64:65]
	v_lshlrev_b64 v[36:37], 2, v[68:69]
	v_lshlrev_b64 v[37:38], 2, v[80:81]
	v_lshlrev_b64 v[38:39], 2, v[82:83]
	v_lshlrev_b64 v[48:49], 2, v[84:85]
	v_add_co_u32 v180, null, v12, v32
	v_add_co_u32 v179, null, v12, v33
	v_add_co_u32 v178, null, v12, v34
	v_add_co_u32 v177, null, v12, v35
	v_add_co_u32 v176, null, v12, v36
	v_add_co_u32 v167, null, v12, v37
	v_add_co_u32 v166, null, v12, v38
	v_add_co_u32 v165, null, v12, v48
                                        ; implicit-def: $vgpr164
                                        ; implicit-def: $vgpr85
                                        ; implicit-def: $vgpr81
                                        ; implicit-def: $vgpr71
                                        ; implicit-def: $vgpr69
                                        ; implicit-def: $vgpr67
                                        ; implicit-def: $vgpr65
                                        ; implicit-def: $vgpr83
                                        ; implicit-def: $vgpr36_vgpr37
                                        ; implicit-def: $vgpr48_vgpr49
                                        ; implicit-def: $vgpr50_vgpr51
                                        ; implicit-def: $vgpr52_vgpr53
                                        ; implicit-def: $vgpr54_vgpr55
                                        ; implicit-def: $vgpr32_vgpr33
                                        ; implicit-def: $vgpr34_vgpr35
                                        ; implicit-def: $vgpr38_vgpr39
	s_and_saveexec_b32 s21, s20
	s_cbranch_execz .LBB1325_171
; %bb.195:                              ;   in Loop: Header=BB1325_172 Depth=1
	v_lshl_add_u32 v32, v4, 2, v180
	v_lshl_add_u32 v33, v66, 2, v179
	v_lshl_add_u32 v34, v70, 2, v178
	s_barrier
	buffer_gl0_inv
	ds_write_b32 v180, v147
	ds_write_b32 v179, v163
	;; [unrolled: 1-line block ×8, first 2 shown]
	s_waitcnt lgkmcnt(0)
	s_barrier
	buffer_gl0_inv
	ds_read_b32 v83, v113
	ds_read_b32 v65, v115
	;; [unrolled: 1-line block ×8, first 2 shown]
	s_waitcnt lgkmcnt(0)
	s_barrier
	buffer_gl0_inv
	ds_write_b64 v32, v[19:20]
	ds_write_b64 v33, v[17:18]
	;; [unrolled: 1-line block ×3, first 2 shown]
	v_lshl_add_u32 v32, v64, 2, v177
	v_lshl_add_u32 v33, v68, 2, v176
	;; [unrolled: 1-line block ×5, first 2 shown]
	ds_write_b64 v32, v[8:9]
	ds_write_b64 v33, v[13:14]
	;; [unrolled: 1-line block ×5, first 2 shown]
	s_waitcnt lgkmcnt(0)
	s_barrier
	buffer_gl0_inv
	ds_read_b64 v[36:37], v118
	ds_read_b64 v[48:49], v131
	;; [unrolled: 1-line block ×8, first 2 shown]
	v_add_nc_u32_e32 v146, -8, v146
	s_xor_b32 s26, exec_lo, -1
	s_waitcnt lgkmcnt(0)
	s_barrier
	buffer_gl0_inv
	s_branch .LBB1325_171
.LBB1325_196:
	flat_load_dwordx2 v[68:69], v[4:5]
	s_or_b32 exec_lo, exec_lo, s23
                                        ; implicit-def: $vgpr64_vgpr65
	s_and_saveexec_b32 s23, s4
	s_cbranch_execz .LBB1325_36
.LBB1325_197:
	flat_load_dwordx2 v[64:65], v[4:5] offset:256
	s_or_b32 exec_lo, exec_lo, s23
                                        ; implicit-def: $vgpr66_vgpr67
	s_and_saveexec_b32 s4, s5
	s_cbranch_execz .LBB1325_37
.LBB1325_198:
	flat_load_dwordx2 v[66:67], v[4:5] offset:512
	s_or_b32 exec_lo, exec_lo, s4
                                        ; implicit-def: $vgpr70_vgpr71
	s_and_saveexec_b32 s4, s6
	s_cbranch_execz .LBB1325_38
.LBB1325_199:
	flat_load_dwordx2 v[70:71], v[4:5] offset:768
	s_or_b32 exec_lo, exec_lo, s4
                                        ; implicit-def: $vgpr80_vgpr81
	s_and_saveexec_b32 s4, s7
	s_cbranch_execz .LBB1325_39
.LBB1325_200:
	flat_load_dwordx2 v[80:81], v[4:5] offset:1024
	s_or_b32 exec_lo, exec_lo, s4
                                        ; implicit-def: $vgpr82_vgpr83
	s_and_saveexec_b32 s4, s10
	s_cbranch_execz .LBB1325_40
.LBB1325_201:
	flat_load_dwordx2 v[82:83], v[4:5] offset:1280
	s_or_b32 exec_lo, exec_lo, s4
                                        ; implicit-def: $vgpr84_vgpr85
	s_and_saveexec_b32 s4, s14
	s_cbranch_execz .LBB1325_41
.LBB1325_202:
	flat_load_dwordx2 v[84:85], v[4:5] offset:1536
	s_or_b32 exec_lo, exec_lo, s4
                                        ; implicit-def: $vgpr86_vgpr87
	s_and_saveexec_b32 s4, s17
	s_cbranch_execz .LBB1325_42
.LBB1325_203:
	flat_load_dwordx2 v[86:87], v[4:5] offset:1792
	s_or_b32 exec_lo, exec_lo, s4
                                        ; implicit-def: $vgpr96_vgpr97
	s_and_saveexec_b32 s4, s22
	s_cbranch_execz .LBB1325_43
.LBB1325_204:
	v_add_co_u32 v8, vcc_lo, 0x800, v4
	v_add_co_ci_u32_e64 v9, null, 0, v5, vcc_lo
	flat_load_dwordx2 v[96:97], v[8:9]
	s_or_b32 exec_lo, exec_lo, s4
                                        ; implicit-def: $vgpr98_vgpr99
	s_and_saveexec_b32 s4, s20
	s_cbranch_execz .LBB1325_44
.LBB1325_205:
	v_add_co_u32 v8, vcc_lo, 0x800, v4
	v_add_co_ci_u32_e64 v9, null, 0, v5, vcc_lo
	flat_load_dwordx2 v[98:99], v[8:9] offset:256
	s_or_b32 exec_lo, exec_lo, s4
                                        ; implicit-def: $vgpr100_vgpr101
	s_and_saveexec_b32 s4, s21
	s_cbranch_execz .LBB1325_45
.LBB1325_206:
	v_add_co_u32 v8, vcc_lo, 0x800, v4
	v_add_co_ci_u32_e64 v9, null, 0, v5, vcc_lo
	flat_load_dwordx2 v[100:101], v[8:9] offset:512
	s_or_b32 exec_lo, exec_lo, s4
                                        ; implicit-def: $vgpr102_vgpr103
	s_and_saveexec_b32 s4, s18
	s_cbranch_execz .LBB1325_46
.LBB1325_207:
	v_add_co_u32 v8, vcc_lo, 0x800, v4
	v_add_co_ci_u32_e64 v9, null, 0, v5, vcc_lo
	flat_load_dwordx2 v[102:103], v[8:9] offset:768
	s_or_b32 exec_lo, exec_lo, s4
                                        ; implicit-def: $vgpr112_vgpr113
	s_and_saveexec_b32 s4, s19
	s_cbranch_execz .LBB1325_47
.LBB1325_208:
	v_add_co_u32 v8, vcc_lo, 0x800, v4
	v_add_co_ci_u32_e64 v9, null, 0, v5, vcc_lo
	flat_load_dwordx2 v[112:113], v[8:9] offset:1024
	s_or_b32 exec_lo, exec_lo, s4
                                        ; implicit-def: $vgpr144_vgpr145
	s_and_saveexec_b32 s4, s15
	s_cbranch_execz .LBB1325_48
.LBB1325_209:
	v_add_co_u32 v8, vcc_lo, 0x800, v4
	v_add_co_ci_u32_e64 v9, null, 0, v5, vcc_lo
	flat_load_dwordx2 v[144:145], v[8:9] offset:1280
	s_or_b32 exec_lo, exec_lo, s4
                                        ; implicit-def: $vgpr149_vgpr150
	s_and_saveexec_b32 s4, s16
	s_cbranch_execz .LBB1325_49
.LBB1325_210:
	v_add_co_u32 v8, vcc_lo, 0x800, v4
	v_add_co_ci_u32_e64 v9, null, 0, v5, vcc_lo
	flat_load_dwordx2 v[149:150], v[8:9] offset:1536
	s_or_b32 exec_lo, exec_lo, s4
                                        ; implicit-def: $vgpr160_vgpr161
	s_and_saveexec_b32 s4, s11
	s_cbranch_execnz .LBB1325_50
	s_branch .LBB1325_51
.LBB1325_211:
	flat_store_dwordx2 v[0:1], v[36:37]
	s_or_b32 exec_lo, exec_lo, s23
	s_and_saveexec_b32 s23, s4
	s_cbranch_execz .LBB1325_127
.LBB1325_212:
	v_add_co_u32 v2, vcc_lo, 0x800, v0
	v_add_co_ci_u32_e64 v3, null, 0, v1, vcc_lo
	flat_store_dwordx2 v[2:3], v[38:39]
	s_or_b32 exec_lo, exec_lo, s23
	s_and_saveexec_b32 s4, s5
	s_cbranch_execz .LBB1325_128
.LBB1325_213:
	v_add_co_u32 v2, vcc_lo, 0x1000, v0
	v_add_co_ci_u32_e64 v3, null, 0, v1, vcc_lo
	flat_store_dwordx2 v[2:3], v[32:33]
	s_or_b32 exec_lo, exec_lo, s4
	s_and_saveexec_b32 s4, s6
	s_cbranch_execz .LBB1325_129
.LBB1325_214:
	v_add_co_u32 v2, vcc_lo, 0x1800, v0
	v_add_co_ci_u32_e64 v3, null, 0, v1, vcc_lo
	flat_store_dwordx2 v[2:3], v[34:35]
	s_or_b32 exec_lo, exec_lo, s4
	s_and_saveexec_b32 s4, s7
	s_cbranch_execz .LBB1325_130
.LBB1325_215:
	v_add_co_u32 v2, vcc_lo, 0x2000, v0
	v_add_co_ci_u32_e64 v3, null, 0, v1, vcc_lo
	flat_store_dwordx2 v[2:3], v[28:29]
	s_or_b32 exec_lo, exec_lo, s4
	s_and_saveexec_b32 s4, s10
	s_cbranch_execz .LBB1325_131
.LBB1325_216:
	v_add_co_u32 v2, vcc_lo, 0x2800, v0
	v_add_co_ci_u32_e64 v3, null, 0, v1, vcc_lo
	flat_store_dwordx2 v[2:3], v[30:31]
	s_or_b32 exec_lo, exec_lo, s4
	s_and_saveexec_b32 s4, s11
	s_cbranch_execz .LBB1325_132
.LBB1325_217:
	v_add_co_u32 v2, vcc_lo, 0x3000, v0
	v_add_co_ci_u32_e64 v3, null, 0, v1, vcc_lo
	flat_store_dwordx2 v[2:3], v[24:25]
	s_or_b32 exec_lo, exec_lo, s4
	s_and_saveexec_b32 s4, s14
	s_cbranch_execz .LBB1325_133
.LBB1325_218:
	v_add_co_u32 v2, vcc_lo, 0x3800, v0
	v_add_co_ci_u32_e64 v3, null, 0, v1, vcc_lo
	flat_store_dwordx2 v[2:3], v[26:27]
	s_or_b32 exec_lo, exec_lo, s4
	s_and_saveexec_b32 s4, s15
	s_cbranch_execz .LBB1325_134
.LBB1325_219:
	v_add_co_u32 v2, vcc_lo, 0x4000, v0
	v_add_co_ci_u32_e64 v3, null, 0, v1, vcc_lo
	flat_store_dwordx2 v[2:3], v[20:21]
	s_or_b32 exec_lo, exec_lo, s4
	s_and_saveexec_b32 s4, s16
	s_cbranch_execz .LBB1325_135
.LBB1325_220:
	v_add_co_u32 v2, vcc_lo, 0x4800, v0
	v_add_co_ci_u32_e64 v3, null, 0, v1, vcc_lo
	flat_store_dwordx2 v[2:3], v[22:23]
	s_or_b32 exec_lo, exec_lo, s4
	s_and_saveexec_b32 s4, s17
	s_cbranch_execz .LBB1325_136
.LBB1325_221:
	v_add_co_u32 v2, vcc_lo, 0x5000, v0
	v_add_co_ci_u32_e64 v3, null, 0, v1, vcc_lo
	flat_store_dwordx2 v[2:3], v[16:17]
	s_or_b32 exec_lo, exec_lo, s4
	s_and_saveexec_b32 s4, s18
	s_cbranch_execz .LBB1325_137
.LBB1325_222:
	v_add_co_u32 v2, vcc_lo, 0x5800, v0
	v_add_co_ci_u32_e64 v3, null, 0, v1, vcc_lo
	flat_store_dwordx2 v[2:3], v[18:19]
	s_or_b32 exec_lo, exec_lo, s4
	s_and_saveexec_b32 s4, s19
	s_cbranch_execz .LBB1325_138
.LBB1325_223:
	v_add_co_u32 v2, vcc_lo, 0x6000, v0
	v_add_co_ci_u32_e64 v3, null, 0, v1, vcc_lo
	flat_store_dwordx2 v[2:3], v[12:13]
	s_or_b32 exec_lo, exec_lo, s4
	s_and_saveexec_b32 s4, s20
	s_cbranch_execz .LBB1325_139
.LBB1325_224:
	v_add_co_u32 v2, vcc_lo, 0x6800, v0
	v_add_co_ci_u32_e64 v3, null, 0, v1, vcc_lo
	flat_store_dwordx2 v[2:3], v[14:15]
	s_or_b32 exec_lo, exec_lo, s4
	s_and_saveexec_b32 s4, s21
	s_cbranch_execz .LBB1325_140
.LBB1325_225:
	v_add_co_u32 v2, vcc_lo, 0x7000, v0
	v_add_co_ci_u32_e64 v3, null, 0, v1, vcc_lo
	flat_store_dwordx2 v[2:3], v[8:9]
	s_or_b32 exec_lo, exec_lo, s4
	s_and_saveexec_b32 s4, s22
	s_cbranch_execnz .LBB1325_141
	s_branch .LBB1325_142
.LBB1325_226:
	s_or_b32 exec_lo, exec_lo, s25
	v_lshl_add_u32 v4, v4, 2, v180
	v_lshl_add_u32 v5, v66, 2, v179
	;; [unrolled: 1-line block ×3, first 2 shown]
	s_barrier
	buffer_gl0_inv
	ds_write_b32 v180, v147
	ds_write_b32 v179, v163
	;; [unrolled: 1-line block ×8, first 2 shown]
	s_waitcnt lgkmcnt(0)
	s_barrier
	buffer_gl0_inv
	ds_read2st64_b32 v[38:39], v102 offset1:4
	ds_read2st64_b32 v[36:37], v102 offset0:8 offset1:12
	ds_read2st64_b32 v[34:35], v102 offset0:16 offset1:20
	;; [unrolled: 1-line block ×3, first 2 shown]
	s_waitcnt lgkmcnt(0)
	s_barrier
	buffer_gl0_inv
	ds_write_b64 v4, v[19:20]
	ds_write_b64 v5, v[17:18]
	v_lshl_add_u32 v4, v64, 2, v177
	v_lshl_add_u32 v5, v68, 2, v176
	ds_write_b64 v10, v[15:16]
	v_lshl_add_u32 v10, v80, 2, v167
	v_lshl_add_u32 v11, v82, 2, v166
	ds_write_b64 v4, v[8:9]
	v_lshl_add_u32 v4, v84, 2, v165
	ds_write_b64 v5, v[13:14]
	ds_write_b64 v10, v[22:23]
	;; [unrolled: 1-line block ×3, first 2 shown]
	v_lshl_add_u32 v5, v21, 3, v12
	v_mov_b32_e32 v25, 0
	v_add_co_u32 v2, vcc_lo, v2, v26
	ds_write_b64 v4, v[28:29]
	s_waitcnt lgkmcnt(0)
	s_barrier
	buffer_gl0_inv
	ds_read2st64_b64 v[20:23], v5 offset1:4
	ds_read2st64_b64 v[16:19], v5 offset0:8 offset1:12
	ds_read2st64_b64 v[12:15], v5 offset0:16 offset1:20
	;; [unrolled: 1-line block ×3, first 2 shown]
	v_lshlrev_b64 v[4:5], 2, v[24:25]
	v_add_co_ci_u32_e64 v3, null, v3, v27, vcc_lo
	s_waitcnt lgkmcnt(0)
	s_barrier
	buffer_gl0_inv
	v_add_co_u32 v2, vcc_lo, v2, v4
	v_add_co_ci_u32_e64 v3, null, v3, v5, vcc_lo
	v_cmp_lt_u32_e32 vcc_lo, v24, v151
	s_and_saveexec_b32 s5, vcc_lo
	s_cbranch_execz .LBB1325_228
; %bb.227:
	v_cmp_gt_i32_e64 s4, 0, v38
	v_cndmask_b32_e64 v4, 0x7fffffff, 0, s4
	v_xor_b32_e32 v4, v4, v38
	flat_store_dword v[2:3], v4
.LBB1325_228:
	s_or_b32 exec_lo, exec_lo, s5
	v_add_nc_u32_e32 v4, 0x100, v24
	v_cmp_lt_u32_e64 s4, v4, v151
	s_and_saveexec_b32 s6, s4
	s_cbranch_execz .LBB1325_230
; %bb.229:
	v_cmp_gt_i32_e64 s5, 0, v39
	v_cndmask_b32_e64 v4, 0x7fffffff, 0, s5
	v_xor_b32_e32 v4, v4, v39
	flat_store_dword v[2:3], v4 offset:1024
.LBB1325_230:
	s_or_b32 exec_lo, exec_lo, s6
	v_add_nc_u32_e32 v4, 0x200, v24
	v_cmp_lt_u32_e64 s5, v4, v151
	s_and_saveexec_b32 s7, s5
	s_cbranch_execz .LBB1325_232
; %bb.231:
	v_cmp_gt_i32_e64 s6, 0, v36
	v_cndmask_b32_e64 v4, 0x7fffffff, 0, s6
	v_xor_b32_e32 v26, v4, v36
	v_add_co_u32 v4, s6, 0x800, v2
	v_add_co_ci_u32_e64 v5, null, 0, v3, s6
	flat_store_dword v[4:5], v26
.LBB1325_232:
	s_or_b32 exec_lo, exec_lo, s7
	v_add_nc_u32_e32 v4, 0x300, v24
	v_cmp_lt_u32_e64 s6, v4, v151
	s_and_saveexec_b32 s10, s6
	s_cbranch_execz .LBB1325_234
; %bb.233:
	v_cmp_gt_i32_e64 s7, 0, v37
	v_cndmask_b32_e64 v4, 0x7fffffff, 0, s7
	v_xor_b32_e32 v26, v4, v37
	v_add_co_u32 v4, s7, 0x800, v2
	v_add_co_ci_u32_e64 v5, null, 0, v3, s7
	flat_store_dword v[4:5], v26 offset:1024
.LBB1325_234:
	s_or_b32 exec_lo, exec_lo, s10
	v_add_nc_u32_e32 v4, 0x400, v24
	v_cmp_lt_u32_e64 s7, v4, v151
	s_and_saveexec_b32 s11, s7
	s_cbranch_execz .LBB1325_236
; %bb.235:
	v_cmp_gt_i32_e64 s10, 0, v34
	v_cndmask_b32_e64 v4, 0x7fffffff, 0, s10
	v_xor_b32_e32 v26, v4, v34
	v_add_co_u32 v4, s10, 0x1000, v2
	v_add_co_ci_u32_e64 v5, null, 0, v3, s10
	flat_store_dword v[4:5], v26
.LBB1325_236:
	s_or_b32 exec_lo, exec_lo, s11
	v_add_nc_u32_e32 v4, 0x500, v24
	v_cmp_lt_u32_e64 s10, v4, v151
	s_and_saveexec_b32 s14, s10
	s_cbranch_execz .LBB1325_238
; %bb.237:
	v_cmp_gt_i32_e64 s11, 0, v35
	v_cndmask_b32_e64 v4, 0x7fffffff, 0, s11
	v_xor_b32_e32 v26, v4, v35
	v_add_co_u32 v4, s11, 0x1000, v2
	v_add_co_ci_u32_e64 v5, null, 0, v3, s11
	flat_store_dword v[4:5], v26 offset:1024
.LBB1325_238:
	s_or_b32 exec_lo, exec_lo, s14
	v_add_nc_u32_e32 v4, 0x600, v24
	v_cmp_lt_u32_e64 s11, v4, v151
	s_and_saveexec_b32 s15, s11
	s_cbranch_execz .LBB1325_240
; %bb.239:
	v_cmp_gt_i32_e64 s14, 0, v32
	v_cndmask_b32_e64 v4, 0x7fffffff, 0, s14
	v_xor_b32_e32 v26, v4, v32
	v_add_co_u32 v4, s14, 0x1800, v2
	v_add_co_ci_u32_e64 v5, null, 0, v3, s14
	flat_store_dword v[4:5], v26
.LBB1325_240:
	s_or_b32 exec_lo, exec_lo, s15
	v_add_nc_u32_e32 v4, 0x700, v24
	v_cmp_lt_u32_e64 s14, v4, v151
	s_and_saveexec_b32 s16, s14
	s_cbranch_execz .LBB1325_242
; %bb.241:
	v_cmp_gt_i32_e64 s15, 0, v33
	v_cndmask_b32_e64 v4, 0x7fffffff, 0, s15
	v_add_co_u32 v2, s15, 0x1800, v2
	v_add_co_ci_u32_e64 v3, null, 0, v3, s15
	v_xor_b32_e32 v4, v4, v33
	flat_store_dword v[2:3], v4 offset:1024
.LBB1325_242:
	s_or_b32 exec_lo, exec_lo, s16
	v_lshlrev_b64 v[2:3], 3, v[24:25]
	v_add_co_u32 v0, s15, v6, v0
	v_add_co_ci_u32_e64 v1, null, v7, v1, s15
	v_add_co_u32 v0, s15, v0, v2
	v_add_co_ci_u32_e64 v1, null, v1, v3, s15
	s_and_saveexec_b32 s15, vcc_lo
	s_cbranch_execnz .LBB1325_292
; %bb.243:
	s_or_b32 exec_lo, exec_lo, s15
	s_and_saveexec_b32 s15, s4
	s_cbranch_execnz .LBB1325_293
.LBB1325_244:
	s_or_b32 exec_lo, exec_lo, s15
	s_and_saveexec_b32 s4, s5
	s_cbranch_execnz .LBB1325_294
.LBB1325_245:
	s_or_b32 exec_lo, exec_lo, s4
	s_and_saveexec_b32 s4, s6
	s_cbranch_execnz .LBB1325_295
.LBB1325_246:
	s_or_b32 exec_lo, exec_lo, s4
	s_and_saveexec_b32 s4, s7
	s_cbranch_execnz .LBB1325_296
.LBB1325_247:
	s_or_b32 exec_lo, exec_lo, s4
	s_and_saveexec_b32 s4, s10
	s_cbranch_execnz .LBB1325_297
.LBB1325_248:
	s_or_b32 exec_lo, exec_lo, s4
	s_and_saveexec_b32 s4, s11
	s_cbranch_execnz .LBB1325_298
.LBB1325_249:
	s_or_b32 exec_lo, exec_lo, s4
	s_and_saveexec_b32 s4, s14
	s_cbranch_execz .LBB1325_251
.LBB1325_250:
	v_add_co_u32 v0, vcc_lo, 0x3800, v0
	v_add_co_ci_u32_e64 v1, null, 0, v1, vcc_lo
	flat_store_dwordx2 v[0:1], v[10:11]
.LBB1325_251:
	s_or_b32 exec_lo, exec_lo, s4
                                        ; implicit-def: $vgpr151
                                        ; implicit-def: $vgpr0
                                        ; implicit-def: $vgpr1
                                        ; implicit-def: $vgpr2
                                        ; implicit-def: $vgpr3
                                        ; implicit-def: $vgpr4
                                        ; implicit-def: $vgpr5
                                        ; implicit-def: $vgpr6
                                        ; implicit-def: $vgpr7
                                        ; implicit-def: $vgpr8
                                        ; implicit-def: $vgpr10
                                        ; implicit-def: $vgpr11
                                        ; implicit-def: $vgpr12
                                        ; implicit-def: $vgpr13
                                        ; implicit-def: $vgpr14
                                        ; implicit-def: $vgpr21
                                        ; implicit-def: $vgpr114
.LBB1325_252:
	s_andn2_saveexec_b32 s4, s22
	s_cbranch_execz .LBB1325_372
; %bb.253:
	s_mov_b32 s4, exec_lo
	v_cmpx_lt_u32_e32 0x200, v151
	s_xor_b32 s22, exec_lo, s4
	s_cbranch_execz .LBB1325_313
; %bb.254:
	s_load_dwordx2 s[4:5], s[8:9], 0x0
	v_mov_b32_e32 v9, 0
	v_lshlrev_b64 v[19:20], 2, v[8:9]
	v_mov_b32_e32 v23, v9
	v_add_co_u32 v24, vcc_lo, v0, v19
	v_add_co_ci_u32_e64 v25, null, v1, v20, vcc_lo
	s_waitcnt lgkmcnt(0)
	s_cmp_lt_u32 s13, s5
	s_cselect_b32 s5, 14, 20
	s_add_u32 s6, s8, s5
	s_addc_u32 s7, s9, 0
	s_cmp_lt_u32 s12, s4
	global_load_ushort v15, v9, s[6:7]
	s_cselect_b32 s4, 12, 18
	s_add_u32 s4, s8, s4
	s_addc_u32 s5, s9, 0
	global_load_ushort v16, v9, s[4:5]
	s_waitcnt vmcnt(1)
	v_mad_u32_u24 v13, v14, v15, v13
	s_waitcnt vmcnt(0)
	v_mad_u64_u32 v[17:18], null, v13, v16, v[21:22]
	v_lshlrev_b32_e32 v16, 2, v114
	v_mov_b32_e32 v13, -1
	v_add_co_u32 v16, vcc_lo, v24, v16
	v_lshlrev_b32_e32 v18, 2, v17
	v_add_co_ci_u32_e64 v24, null, 0, v25, vcc_lo
	v_mov_b32_e32 v14, v13
	v_mov_b32_e32 v15, v13
	v_and_b32_e32 v22, 0xffffff80, v18
	v_lshlrev_b64 v[0:1], 2, v[22:23]
	v_or_b32_e32 v18, v22, v114
	v_cmp_lt_u32_e32 vcc_lo, v18, v151
	v_add_co_u32 v0, s4, v16, v0
	v_add_co_ci_u32_e64 v1, null, v24, v1, s4
	v_mov_b32_e32 v16, v13
	s_and_saveexec_b32 s4, vcc_lo
	s_cbranch_execz .LBB1325_256
; %bb.255:
	flat_load_dword v24, v[0:1]
	v_mov_b32_e32 v25, v13
	v_mov_b32_e32 v26, v13
	v_mov_b32_e32 v27, v13
	s_waitcnt vmcnt(0) lgkmcnt(0)
	v_mov_b32_e32 v13, v24
	v_mov_b32_e32 v14, v25
	;; [unrolled: 1-line block ×4, first 2 shown]
.LBB1325_256:
	s_or_b32 exec_lo, exec_lo, s4
	v_or_b32_e32 v24, 32, v18
	v_cmp_lt_u32_e64 s4, v24, v151
	s_and_saveexec_b32 s5, s4
	s_cbranch_execz .LBB1325_258
; %bb.257:
	flat_load_dword v14, v[0:1] offset:128
.LBB1325_258:
	s_or_b32 exec_lo, exec_lo, s5
	v_or_b32_e32 v24, 64, v18
	v_cmp_lt_u32_e64 s5, v24, v151
	s_and_saveexec_b32 s6, s5
	s_cbranch_execz .LBB1325_260
; %bb.259:
	flat_load_dword v15, v[0:1] offset:256
.LBB1325_260:
	;; [unrolled: 8-line block ×3, first 2 shown]
	s_or_b32 exec_lo, exec_lo, s7
	v_lshlrev_b64 v[0:1], 3, v[8:9]
	v_lshlrev_b32_e32 v8, 3, v114
                                        ; implicit-def: $vgpr28_vgpr29
	v_add_co_u32 v9, s7, v4, v0
	v_add_co_ci_u32_e64 v18, null, v5, v1, s7
	v_lshlrev_b64 v[4:5], 3, v[22:23]
	v_add_co_u32 v8, s7, v9, v8
	v_add_co_ci_u32_e64 v9, null, 0, v18, s7
	v_add_co_u32 v4, s7, v8, v4
	v_add_co_ci_u32_e64 v5, null, v9, v5, s7
	s_and_saveexec_b32 s7, vcc_lo
	s_cbranch_execnz .LBB1325_337
; %bb.263:
	s_or_b32 exec_lo, exec_lo, s7
                                        ; implicit-def: $vgpr30_vgpr31
	s_and_saveexec_b32 s7, s4
	s_cbranch_execnz .LBB1325_338
.LBB1325_264:
	s_or_b32 exec_lo, exec_lo, s7
                                        ; implicit-def: $vgpr24_vgpr25
	s_and_saveexec_b32 s4, s5
	s_cbranch_execnz .LBB1325_339
.LBB1325_265:
	s_or_b32 exec_lo, exec_lo, s4
                                        ; implicit-def: $vgpr26_vgpr27
	s_and_saveexec_b32 s4, s6
	s_cbranch_execz .LBB1325_267
.LBB1325_266:
	flat_load_dwordx2 v[26:27], v[4:5] offset:768
.LBB1325_267:
	s_or_b32 exec_lo, exec_lo, s4
	v_cmp_gt_i32_e32 vcc_lo, 0, v13
	v_lshl_add_u32 v9, v21, 5, v12
	s_getpc_b64 s[4:5]
	s_add_u32 s4, s4, _ZN7rocprim17ROCPRIM_400000_NS16block_radix_sortIfLj256ELj4ElLj1ELj1ELj8ELNS0_26block_radix_rank_algorithmE2ELNS0_18block_padding_hintE2ELNS0_4arch9wavefront6targetE0EE19radix_bits_per_passE@rel32@lo+4
	s_addc_u32 s5, s5, _ZN7rocprim17ROCPRIM_400000_NS16block_radix_sortIfLj256ELj4ElLj1ELj1ELj8ELNS0_26block_radix_rank_algorithmE2ELNS0_18block_padding_hintE2ELNS0_4arch9wavefront6targetE0EE19radix_bits_per_passE@rel32@hi+12
	v_lshrrev_b32_e32 v53, 5, v17
	s_load_dword s23, s[4:5], 0x0
	v_cndmask_b32_e64 v4, 0x7fffffff, 0, vcc_lo
	s_waitcnt vmcnt(0) lgkmcnt(0)
	v_cmp_gt_i32_e32 vcc_lo, 0, v14
	v_add_nc_u32_e32 v18, 32, v9
	v_add_nc_u32_e32 v38, 36, v9
	;; [unrolled: 1-line block ×3, first 2 shown]
	v_xor_b32_e32 v87, v4, v13
	v_cndmask_b32_e64 v5, 0x7fffffff, 0, vcc_lo
	v_cmp_gt_i32_e32 vcc_lo, 0, v15
	v_add_nc_u32_e32 v48, 44, v9
	v_add_nc_u32_e32 v49, 48, v9
	;; [unrolled: 1-line block ×3, first 2 shown]
	v_xor_b32_e32 v33, v5, v14
	v_cndmask_b32_e64 v4, 0x7fffffff, 0, vcc_lo
	v_cmp_gt_i32_e32 vcc_lo, 0, v16
	v_and_b32_e32 v5, 0x3e0, v21
	v_add_nc_u32_e32 v51, 56, v9
	v_add_nc_u32_e32 v52, 60, v9
	v_xor_b32_e32 v35, v4, v15
	v_cndmask_b32_e64 v8, 0x7fffffff, 0, vcc_lo
	v_and_b32_e32 v4, 15, v114
	v_min_u32_e32 v5, 0xe0, v5
	v_cmp_lt_u32_e64 s15, 31, v21
	v_cmp_eq_u32_e64 s16, 0, v21
	v_xor_b32_e32 v37, v8, v16
	v_and_b32_e32 v8, 16, v114
	v_cmp_eq_u32_e32 vcc_lo, 0, v4
	v_cmp_lt_u32_e64 s4, 1, v4
	v_cmp_lt_u32_e64 s5, 3, v4
	;; [unrolled: 1-line block ×3, first 2 shown]
	v_cmp_eq_u32_e64 s10, 0, v8
	v_lshlrev_b32_e32 v8, 2, v21
	v_or_b32_e32 v4, 31, v5
	v_sub_co_u32 v5, s7, v114, 1
	v_sub_nc_u32_e32 v82, v11, v10
	v_and_or_b32 v9, 0xf80, v8, v114
	v_cmp_eq_u32_e64 s11, v21, v4
	v_lshrrev_b32_e32 v4, 3, v21
	v_cmp_gt_i32_e64 s14, 0, v5
	v_add_co_u32 v54, null, v12, v8
	v_lshlrev_b32_e32 v9, 2, v9
	v_and_b32_e32 v4, 0x7c, v4
	v_cndmask_b32_e64 v5, v5, v114, s14
	v_cmp_gt_u32_e64 s14, 8, v21
	s_mov_b32 s25, 0
	v_add_nc_u32_e32 v65, v12, v9
	v_add_nc_u32_e32 v64, v12, v4
	v_and_b32_e32 v4, 7, v114
	v_lshlrev_b32_e32 v55, 2, v5
	v_mov_b32_e32 v5, 0
	v_add_nc_u32_e32 v66, v65, v9
	v_add_nc_u32_e32 v67, -4, v64
	v_cmp_eq_u32_e64 s17, 0, v4
	v_cmp_lt_u32_e64 s18, 1, v4
	v_cmp_lt_u32_e64 s19, 3, v4
	v_add_nc_u32_e32 v68, 0x80, v65
	v_add_nc_u32_e32 v69, 0x100, v65
	;; [unrolled: 1-line block ×6, first 2 shown]
	s_waitcnt_vscnt null, 0x0
	s_barrier
	buffer_gl0_inv
	s_branch .LBB1325_269
.LBB1325_268:                           ;   in Loop: Header=BB1325_269 Depth=1
	s_or_b32 exec_lo, exec_lo, s21
	s_and_b32 s20, exec_lo, s26
	s_or_b32 s25, s20, s25
	s_andn2_b32 exec_lo, exec_lo, s25
	s_cbranch_execz .LBB1325_299
.LBB1325_269:                           ; =>This Inner Loop Header: Depth=1
	v_mov_b32_e32 v83, v87
	v_min_u32_e32 v4, s23, v82
	v_mov_b32_e32 v13, v28
	v_mov_b32_e32 v14, v29
	v_mov_b32_e32 v86, v33
	v_cmp_ne_u32_e64 s20, 0x80000000, v83
	v_lshlrev_b32_e64 v4, v4, -1
	v_mov_b32_e32 v84, v37
	v_mov_b32_e32 v85, v35
	ds_write_b32 v18, v5
	ds_write_b32 v38, v5
	v_cndmask_b32_e64 v8, 0x7fffffff, v83, s20
	v_not_b32_e32 v32, v4
	ds_write_b32 v39, v5
	ds_write_b32 v48, v5
	;; [unrolled: 1-line block ×4, first 2 shown]
	v_lshrrev_b32_e32 v4, v10, v8
	v_mov_b32_e32 v8, v30
	v_mov_b32_e32 v9, v31
	ds_write_b32 v51, v5
	ds_write_b32 v52, v5
	s_waitcnt lgkmcnt(0)
	v_and_b32_e32 v4, v4, v32
	s_barrier
	buffer_gl0_inv
	; wave barrier
	v_and_b32_e32 v15, 1, v4
	v_lshlrev_b32_e32 v16, 30, v4
	v_lshlrev_b32_e32 v22, 29, v4
	;; [unrolled: 1-line block ×4, first 2 shown]
	v_add_co_u32 v15, s20, v15, -1
	v_cndmask_b32_e64 v28, 0, 1, s20
	v_not_b32_e32 v33, v16
	v_cmp_gt_i32_e64 s21, 0, v16
	v_not_b32_e32 v16, v22
	v_lshlrev_b32_e32 v30, 26, v4
	v_cmp_ne_u32_e64 s20, 0, v28
	v_ashrrev_i32_e32 v33, 31, v33
	v_lshlrev_b32_e32 v31, 25, v4
	v_ashrrev_i32_e32 v16, 31, v16
	v_lshlrev_b32_e32 v28, 24, v4
	v_xor_b32_e32 v15, s20, v15
	v_cmp_gt_i32_e64 s20, 0, v22
	v_not_b32_e32 v22, v23
	v_xor_b32_e32 v33, s21, v33
	v_cmp_gt_i32_e64 s21, 0, v23
	v_and_b32_e32 v15, exec_lo, v15
	v_not_b32_e32 v23, v29
	v_ashrrev_i32_e32 v22, 31, v22
	v_xor_b32_e32 v16, s20, v16
	v_cmp_gt_i32_e64 s20, 0, v29
	v_and_b32_e32 v15, v15, v33
	v_not_b32_e32 v29, v30
	v_ashrrev_i32_e32 v23, 31, v23
	v_xor_b32_e32 v22, s21, v22
	v_cmp_gt_i32_e64 s21, 0, v30
	v_and_b32_e32 v15, v15, v16
	;; [unrolled: 5-line block ×4, first 2 shown]
	v_mov_b32_e32 v22, v24
	v_mov_b32_e32 v23, v25
	v_ashrrev_i32_e32 v24, 31, v30
	v_xor_b32_e32 v25, s20, v16
	v_and_b32_e32 v28, v15, v29
	v_lshl_add_u32 v4, v4, 3, v53
	v_mov_b32_e32 v15, v26
	v_xor_b32_e32 v24, s21, v24
	v_mov_b32_e32 v16, v27
	v_and_b32_e32 v25, v28, v25
	v_lshlrev_b64 v[26:27], 2, v[4:5]
	v_and_b32_e32 v25, v25, v24
	v_add_co_u32 v24, null, v12, v26
	v_mbcnt_lo_u32_b32 v4, v25, 0
	v_cmp_ne_u32_e64 s21, 0, v25
	v_add_co_u32 v24, null, v24, 32
	v_cmp_eq_u32_e64 s20, 0, v4
	s_and_b32 s21, s21, s20
	s_and_saveexec_b32 s20, s21
; %bb.270:                              ;   in Loop: Header=BB1325_269 Depth=1
	v_bcnt_u32_b32 v25, v25, 0
	ds_write_b32 v24, v25
; %bb.271:                              ;   in Loop: Header=BB1325_269 Depth=1
	s_or_b32 exec_lo, exec_lo, s20
	v_cmp_ne_u32_e64 s20, 0x80000000, v86
	; wave barrier
	v_cndmask_b32_e64 v25, 0x7fffffff, v86, s20
	v_lshrrev_b32_e32 v25, v10, v25
	v_and_b32_e32 v25, v25, v32
	v_and_b32_e32 v26, 1, v25
	v_lshlrev_b32_e32 v27, 30, v25
	v_lshlrev_b32_e32 v28, 29, v25
	;; [unrolled: 1-line block ×4, first 2 shown]
	v_add_co_u32 v26, s20, v26, -1
	v_cndmask_b32_e64 v30, 0, 1, s20
	v_not_b32_e32 v35, v27
	v_cmp_gt_i32_e64 s21, 0, v27
	v_not_b32_e32 v27, v28
	v_lshlrev_b32_e32 v33, 26, v25
	v_cmp_ne_u32_e64 s20, 0, v30
	v_ashrrev_i32_e32 v35, 31, v35
	v_lshlrev_b32_e32 v34, 25, v25
	v_ashrrev_i32_e32 v27, 31, v27
	v_lshlrev_b32_e32 v30, 24, v25
	v_xor_b32_e32 v26, s20, v26
	v_cmp_gt_i32_e64 s20, 0, v28
	v_not_b32_e32 v28, v29
	v_xor_b32_e32 v35, s21, v35
	v_cmp_gt_i32_e64 s21, 0, v29
	v_and_b32_e32 v26, exec_lo, v26
	v_not_b32_e32 v29, v31
	v_ashrrev_i32_e32 v28, 31, v28
	v_xor_b32_e32 v27, s20, v27
	v_cmp_gt_i32_e64 s20, 0, v31
	v_and_b32_e32 v26, v26, v35
	v_not_b32_e32 v31, v33
	v_ashrrev_i32_e32 v29, 31, v29
	v_xor_b32_e32 v28, s21, v28
	v_cmp_gt_i32_e64 s21, 0, v33
	v_and_b32_e32 v26, v26, v27
	;; [unrolled: 5-line block ×3, first 2 shown]
	v_not_b32_e32 v28, v30
	v_ashrrev_i32_e32 v27, 31, v27
	v_xor_b32_e32 v31, s21, v31
	v_lshl_add_u32 v25, v25, 3, v53
	v_and_b32_e32 v26, v26, v29
	v_cmp_gt_i32_e64 s21, 0, v30
	v_ashrrev_i32_e32 v28, 31, v28
	v_xor_b32_e32 v27, s20, v27
	v_lshl_add_u32 v29, v25, 2, v12
	v_and_b32_e32 v26, v26, v31
	v_xor_b32_e32 v28, s21, v28
	ds_read_b32 v25, v29 offset:32
	v_and_b32_e32 v26, v26, v27
	v_add_nc_u32_e32 v27, 32, v29
	; wave barrier
	v_and_b32_e32 v28, v26, v28
	v_mbcnt_lo_u32_b32 v26, v28, 0
	v_cmp_ne_u32_e64 s21, 0, v28
	v_cmp_eq_u32_e64 s20, 0, v26
	s_and_b32 s21, s21, s20
	s_and_saveexec_b32 s20, s21
	s_cbranch_execz .LBB1325_273
; %bb.272:                              ;   in Loop: Header=BB1325_269 Depth=1
	s_waitcnt lgkmcnt(0)
	v_bcnt_u32_b32 v28, v28, v25
	ds_write_b32 v27, v28
.LBB1325_273:                           ;   in Loop: Header=BB1325_269 Depth=1
	s_or_b32 exec_lo, exec_lo, s20
	v_cmp_ne_u32_e64 s20, 0x80000000, v85
	; wave barrier
	v_cndmask_b32_e64 v28, 0x7fffffff, v85, s20
	v_lshrrev_b32_e32 v28, v10, v28
	v_and_b32_e32 v28, v28, v32
	v_and_b32_e32 v29, 1, v28
	v_lshlrev_b32_e32 v30, 30, v28
	v_lshlrev_b32_e32 v31, 29, v28
	;; [unrolled: 1-line block ×4, first 2 shown]
	v_add_co_u32 v29, s20, v29, -1
	v_cndmask_b32_e64 v34, 0, 1, s20
	v_not_b32_e32 v87, v30
	v_cmp_gt_i32_e64 s21, 0, v30
	v_not_b32_e32 v30, v31
	v_lshlrev_b32_e32 v36, 26, v28
	v_cmp_ne_u32_e64 s20, 0, v34
	v_ashrrev_i32_e32 v87, 31, v87
	v_lshlrev_b32_e32 v37, 25, v28
	v_ashrrev_i32_e32 v30, 31, v30
	v_lshlrev_b32_e32 v34, 24, v28
	v_xor_b32_e32 v29, s20, v29
	v_cmp_gt_i32_e64 s20, 0, v31
	v_not_b32_e32 v31, v33
	v_xor_b32_e32 v87, s21, v87
	v_cmp_gt_i32_e64 s21, 0, v33
	v_and_b32_e32 v29, exec_lo, v29
	v_not_b32_e32 v33, v35
	v_ashrrev_i32_e32 v31, 31, v31
	v_xor_b32_e32 v30, s20, v30
	v_cmp_gt_i32_e64 s20, 0, v35
	v_and_b32_e32 v29, v29, v87
	v_not_b32_e32 v35, v36
	v_ashrrev_i32_e32 v33, 31, v33
	v_xor_b32_e32 v31, s21, v31
	v_cmp_gt_i32_e64 s21, 0, v36
	v_and_b32_e32 v29, v29, v30
	;; [unrolled: 5-line block ×3, first 2 shown]
	v_not_b32_e32 v31, v34
	v_ashrrev_i32_e32 v30, 31, v30
	v_xor_b32_e32 v35, s21, v35
	v_lshl_add_u32 v28, v28, 3, v53
	v_and_b32_e32 v29, v29, v33
	v_cmp_gt_i32_e64 s21, 0, v34
	v_ashrrev_i32_e32 v31, 31, v31
	v_xor_b32_e32 v30, s20, v30
	v_lshl_add_u32 v33, v28, 2, v12
	v_and_b32_e32 v29, v29, v35
	v_xor_b32_e32 v31, s21, v31
	ds_read_b32 v28, v33 offset:32
	v_and_b32_e32 v29, v29, v30
	v_add_nc_u32_e32 v30, 32, v33
	; wave barrier
	v_and_b32_e32 v31, v29, v31
	v_mbcnt_lo_u32_b32 v29, v31, 0
	v_cmp_ne_u32_e64 s21, 0, v31
	v_cmp_eq_u32_e64 s20, 0, v29
	s_and_b32 s21, s21, s20
	s_and_saveexec_b32 s20, s21
	s_cbranch_execz .LBB1325_275
; %bb.274:                              ;   in Loop: Header=BB1325_269 Depth=1
	s_waitcnt lgkmcnt(0)
	v_bcnt_u32_b32 v31, v31, v28
	ds_write_b32 v30, v31
.LBB1325_275:                           ;   in Loop: Header=BB1325_269 Depth=1
	s_or_b32 exec_lo, exec_lo, s20
	v_cmp_ne_u32_e64 s20, 0x80000000, v84
	; wave barrier
	v_cndmask_b32_e64 v31, 0x7fffffff, v84, s20
	v_lshrrev_b32_e32 v31, v10, v31
	v_and_b32_e32 v31, v31, v32
	v_and_b32_e32 v32, 1, v31
	v_lshlrev_b32_e32 v33, 30, v31
	v_lshlrev_b32_e32 v34, 29, v31
	;; [unrolled: 1-line block ×4, first 2 shown]
	v_add_co_u32 v32, s20, v32, -1
	v_cndmask_b32_e64 v36, 0, 1, s20
	v_not_b32_e32 v97, v33
	v_cmp_gt_i32_e64 s21, 0, v33
	v_not_b32_e32 v33, v34
	v_lshlrev_b32_e32 v87, 26, v31
	v_cmp_ne_u32_e64 s20, 0, v36
	v_ashrrev_i32_e32 v97, 31, v97
	v_lshlrev_b32_e32 v96, 25, v31
	v_ashrrev_i32_e32 v33, 31, v33
	v_lshlrev_b32_e32 v36, 24, v31
	v_xor_b32_e32 v32, s20, v32
	v_cmp_gt_i32_e64 s20, 0, v34
	v_not_b32_e32 v34, v35
	v_xor_b32_e32 v97, s21, v97
	v_cmp_gt_i32_e64 s21, 0, v35
	v_and_b32_e32 v32, exec_lo, v32
	v_not_b32_e32 v35, v37
	v_ashrrev_i32_e32 v34, 31, v34
	v_xor_b32_e32 v33, s20, v33
	v_cmp_gt_i32_e64 s20, 0, v37
	v_and_b32_e32 v32, v32, v97
	v_not_b32_e32 v37, v87
	v_ashrrev_i32_e32 v35, 31, v35
	v_xor_b32_e32 v34, s21, v34
	v_cmp_gt_i32_e64 s21, 0, v87
	v_and_b32_e32 v32, v32, v33
	;; [unrolled: 5-line block ×3, first 2 shown]
	v_not_b32_e32 v34, v36
	v_ashrrev_i32_e32 v33, 31, v33
	v_xor_b32_e32 v37, s21, v37
	v_lshl_add_u32 v31, v31, 3, v53
	v_and_b32_e32 v32, v32, v35
	v_cmp_gt_i32_e64 s21, 0, v36
	v_ashrrev_i32_e32 v34, 31, v34
	v_xor_b32_e32 v33, s20, v33
	v_lshl_add_u32 v35, v31, 2, v12
	v_and_b32_e32 v32, v32, v37
	v_xor_b32_e32 v34, s21, v34
	ds_read_b32 v31, v35 offset:32
	v_and_b32_e32 v32, v32, v33
	; wave barrier
	v_and_b32_e32 v33, v32, v34
	v_add_nc_u32_e32 v32, 32, v35
	v_mbcnt_lo_u32_b32 v36, v33, 0
	v_cmp_ne_u32_e64 s21, 0, v33
	v_cmp_eq_u32_e64 s20, 0, v36
	s_and_b32 s21, s21, s20
	s_and_saveexec_b32 s20, s21
	s_cbranch_execz .LBB1325_277
; %bb.276:                              ;   in Loop: Header=BB1325_269 Depth=1
	s_waitcnt lgkmcnt(0)
	v_bcnt_u32_b32 v33, v33, v31
	ds_write_b32 v32, v33
.LBB1325_277:                           ;   in Loop: Header=BB1325_269 Depth=1
	s_or_b32 exec_lo, exec_lo, s20
	; wave barrier
	s_waitcnt lgkmcnt(0)
	s_barrier
	buffer_gl0_inv
	ds_read_b32 v34, v18
	ds_read_b32 v35, v38
	;; [unrolled: 1-line block ×8, first 2 shown]
	s_waitcnt lgkmcnt(6)
	v_add_nc_u32_e32 v99, v35, v34
	s_waitcnt lgkmcnt(4)
	v_add3_u32 v99, v99, v37, v87
	s_waitcnt lgkmcnt(2)
	v_add3_u32 v99, v99, v96, v97
	;; [unrolled: 2-line block ×3, first 2 shown]
	v_mov_b32_dpp v99, v98 row_shr:1 row_mask:0xf bank_mask:0xf
	v_cndmask_b32_e64 v99, v99, 0, vcc_lo
	v_add_nc_u32_e32 v98, v99, v98
	v_mov_b32_dpp v99, v98 row_shr:2 row_mask:0xf bank_mask:0xf
	v_cndmask_b32_e64 v99, 0, v99, s4
	v_add_nc_u32_e32 v98, v98, v99
	v_mov_b32_dpp v99, v98 row_shr:4 row_mask:0xf bank_mask:0xf
	v_cndmask_b32_e64 v99, 0, v99, s5
	;; [unrolled: 3-line block ×3, first 2 shown]
	v_add_nc_u32_e32 v98, v98, v99
	ds_swizzle_b32 v99, v98 offset:swizzle(BROADCAST,32,15)
	s_waitcnt lgkmcnt(0)
	v_cndmask_b32_e64 v99, v99, 0, s10
	v_add_nc_u32_e32 v98, v98, v99
	s_and_saveexec_b32 s20, s11
; %bb.278:                              ;   in Loop: Header=BB1325_269 Depth=1
	ds_write_b32 v64, v98
; %bb.279:                              ;   in Loop: Header=BB1325_269 Depth=1
	s_or_b32 exec_lo, exec_lo, s20
	s_waitcnt lgkmcnt(0)
	s_barrier
	buffer_gl0_inv
	s_and_saveexec_b32 s20, s14
	s_cbranch_execz .LBB1325_281
; %bb.280:                              ;   in Loop: Header=BB1325_269 Depth=1
	ds_read_b32 v99, v54
	s_waitcnt lgkmcnt(0)
	v_mov_b32_dpp v100, v99 row_shr:1 row_mask:0xf bank_mask:0xf
	v_cndmask_b32_e64 v100, v100, 0, s17
	v_add_nc_u32_e32 v99, v100, v99
	v_mov_b32_dpp v100, v99 row_shr:2 row_mask:0xf bank_mask:0xf
	v_cndmask_b32_e64 v100, 0, v100, s18
	v_add_nc_u32_e32 v99, v99, v100
	;; [unrolled: 3-line block ×3, first 2 shown]
	ds_write_b32 v54, v99
.LBB1325_281:                           ;   in Loop: Header=BB1325_269 Depth=1
	s_or_b32 exec_lo, exec_lo, s20
	v_mov_b32_e32 v99, 0
	s_waitcnt lgkmcnt(0)
	s_barrier
	buffer_gl0_inv
	s_and_saveexec_b32 s20, s15
; %bb.282:                              ;   in Loop: Header=BB1325_269 Depth=1
	ds_read_b32 v99, v67
; %bb.283:                              ;   in Loop: Header=BB1325_269 Depth=1
	s_or_b32 exec_lo, exec_lo, s20
	s_waitcnt lgkmcnt(0)
	v_add_nc_u32_e32 v98, v99, v98
	v_add_nc_u32_e32 v10, 8, v10
	s_mov_b32 s26, -1
	s_mov_b32 s21, exec_lo
	ds_bpermute_b32 v98, v55, v98
	s_waitcnt lgkmcnt(0)
	v_cndmask_b32_e64 v98, v98, v99, s7
	v_cndmask_b32_e64 v98, v98, 0, s16
	v_add_nc_u32_e32 v34, v98, v34
	v_add_nc_u32_e32 v35, v34, v35
	ds_write_b32 v18, v98
	ds_write_b32 v38, v34
	;; [unrolled: 1-line block ×3, first 2 shown]
	v_add_nc_u32_e32 v37, v35, v37
	v_mov_b32_e32 v35, v5
	v_add_nc_u32_e32 v87, v37, v87
	v_add_nc_u32_e32 v96, v87, v96
	;; [unrolled: 1-line block ×4, first 2 shown]
	ds_write_b32 v48, v37
	ds_write_b32 v49, v87
	;; [unrolled: 1-line block ×5, first 2 shown]
	s_waitcnt lgkmcnt(0)
	s_barrier
	buffer_gl0_inv
	ds_read_b32 v24, v24
	ds_read_b32 v27, v27
	;; [unrolled: 1-line block ×4, first 2 shown]
	v_mov_b32_e32 v33, v5
	v_mov_b32_e32 v37, v5
	s_waitcnt lgkmcnt(0)
	v_add_nc_u32_e32 v4, v24, v4
	v_add3_u32 v32, v26, v25, v27
	v_add3_u32 v34, v29, v28, v30
	;; [unrolled: 1-line block ×3, first 2 shown]
                                        ; implicit-def: $vgpr87
                                        ; implicit-def: $vgpr30_vgpr31
	v_lshlrev_b64 v[24:25], 2, v[4:5]
	v_lshlrev_b64 v[25:26], 2, v[32:33]
	;; [unrolled: 1-line block ×4, first 2 shown]
                                        ; implicit-def: $vgpr37
                                        ; implicit-def: $vgpr35
                                        ; implicit-def: $vgpr33
                                        ; implicit-def: $vgpr28_vgpr29
	v_add_co_u32 v99, null, v12, v24
	v_add_co_u32 v98, null, v12, v25
	;; [unrolled: 1-line block ×4, first 2 shown]
                                        ; implicit-def: $vgpr24_vgpr25
                                        ; implicit-def: $vgpr26_vgpr27
	v_cmpx_lt_u32_e64 v10, v11
	s_cbranch_execz .LBB1325_268
; %bb.284:                              ;   in Loop: Header=BB1325_269 Depth=1
	v_lshl_add_u32 v24, v4, 2, v99
	v_lshl_add_u32 v25, v32, 2, v98
	;; [unrolled: 1-line block ×4, first 2 shown]
	s_barrier
	buffer_gl0_inv
	ds_write_b32 v99, v83
	ds_write_b32 v98, v86
	ds_write_b32 v97, v85
	ds_write_b32 v96, v84
	s_waitcnt lgkmcnt(0)
	s_barrier
	buffer_gl0_inv
	ds_read_b32 v87, v65
	ds_read_b32 v33, v68
	;; [unrolled: 1-line block ×4, first 2 shown]
	s_waitcnt lgkmcnt(0)
	s_barrier
	buffer_gl0_inv
	ds_write_b64 v24, v[13:14]
	ds_write_b64 v25, v[8:9]
	;; [unrolled: 1-line block ×4, first 2 shown]
	s_waitcnt lgkmcnt(0)
	s_barrier
	buffer_gl0_inv
	ds_read_b64 v[28:29], v66
	ds_read_b64 v[30:31], v71
	;; [unrolled: 1-line block ×4, first 2 shown]
	v_add_nc_u32_e32 v82, -8, v82
	s_xor_b32 s26, exec_lo, -1
	s_waitcnt lgkmcnt(0)
	s_barrier
	buffer_gl0_inv
	s_branch .LBB1325_268
.LBB1325_285:
	flat_load_dwordx2 v[36:37], v[4:5]
	s_or_b32 exec_lo, exec_lo, s15
                                        ; implicit-def: $vgpr48_vgpr49
	s_and_saveexec_b32 s15, s4
	s_cbranch_execz .LBB1325_163
.LBB1325_286:
	flat_load_dwordx2 v[48:49], v[4:5] offset:256
	s_or_b32 exec_lo, exec_lo, s15
                                        ; implicit-def: $vgpr50_vgpr51
	s_and_saveexec_b32 s4, s5
	s_cbranch_execz .LBB1325_164
.LBB1325_287:
	flat_load_dwordx2 v[50:51], v[4:5] offset:512
	s_or_b32 exec_lo, exec_lo, s4
                                        ; implicit-def: $vgpr52_vgpr53
	s_and_saveexec_b32 s4, s6
	s_cbranch_execz .LBB1325_165
.LBB1325_288:
	flat_load_dwordx2 v[52:53], v[4:5] offset:768
	s_or_b32 exec_lo, exec_lo, s4
                                        ; implicit-def: $vgpr54_vgpr55
	s_and_saveexec_b32 s4, s7
	s_cbranch_execz .LBB1325_166
.LBB1325_289:
	flat_load_dwordx2 v[54:55], v[4:5] offset:1024
	s_or_b32 exec_lo, exec_lo, s4
                                        ; implicit-def: $vgpr32_vgpr33
	s_and_saveexec_b32 s4, s10
	s_cbranch_execz .LBB1325_167
.LBB1325_290:
	flat_load_dwordx2 v[32:33], v[4:5] offset:1280
	s_or_b32 exec_lo, exec_lo, s4
                                        ; implicit-def: $vgpr34_vgpr35
	s_and_saveexec_b32 s4, s11
	s_cbranch_execz .LBB1325_168
.LBB1325_291:
	flat_load_dwordx2 v[34:35], v[4:5] offset:1536
	s_or_b32 exec_lo, exec_lo, s4
                                        ; implicit-def: $vgpr38_vgpr39
	s_and_saveexec_b32 s4, s14
	s_cbranch_execnz .LBB1325_169
	s_branch .LBB1325_170
.LBB1325_292:
	flat_store_dwordx2 v[0:1], v[20:21]
	s_or_b32 exec_lo, exec_lo, s15
	s_and_saveexec_b32 s15, s4
	s_cbranch_execz .LBB1325_244
.LBB1325_293:
	v_add_co_u32 v2, vcc_lo, 0x800, v0
	v_add_co_ci_u32_e64 v3, null, 0, v1, vcc_lo
	flat_store_dwordx2 v[2:3], v[22:23]
	s_or_b32 exec_lo, exec_lo, s15
	s_and_saveexec_b32 s4, s5
	s_cbranch_execz .LBB1325_245
.LBB1325_294:
	v_add_co_u32 v2, vcc_lo, 0x1000, v0
	v_add_co_ci_u32_e64 v3, null, 0, v1, vcc_lo
	flat_store_dwordx2 v[2:3], v[16:17]
	s_or_b32 exec_lo, exec_lo, s4
	s_and_saveexec_b32 s4, s6
	s_cbranch_execz .LBB1325_246
.LBB1325_295:
	v_add_co_u32 v2, vcc_lo, 0x1800, v0
	v_add_co_ci_u32_e64 v3, null, 0, v1, vcc_lo
	flat_store_dwordx2 v[2:3], v[18:19]
	s_or_b32 exec_lo, exec_lo, s4
	s_and_saveexec_b32 s4, s7
	s_cbranch_execz .LBB1325_247
.LBB1325_296:
	v_add_co_u32 v2, vcc_lo, 0x2000, v0
	v_add_co_ci_u32_e64 v3, null, 0, v1, vcc_lo
	flat_store_dwordx2 v[2:3], v[12:13]
	s_or_b32 exec_lo, exec_lo, s4
	s_and_saveexec_b32 s4, s10
	s_cbranch_execz .LBB1325_248
.LBB1325_297:
	v_add_co_u32 v2, vcc_lo, 0x2800, v0
	v_add_co_ci_u32_e64 v3, null, 0, v1, vcc_lo
	flat_store_dwordx2 v[2:3], v[14:15]
	s_or_b32 exec_lo, exec_lo, s4
	s_and_saveexec_b32 s4, s11
	s_cbranch_execz .LBB1325_249
.LBB1325_298:
	v_add_co_u32 v2, vcc_lo, 0x3000, v0
	v_add_co_ci_u32_e64 v3, null, 0, v1, vcc_lo
	flat_store_dwordx2 v[2:3], v[8:9]
	s_or_b32 exec_lo, exec_lo, s4
	s_and_saveexec_b32 s4, s14
	s_cbranch_execnz .LBB1325_250
	s_branch .LBB1325_251
.LBB1325_299:
	s_or_b32 exec_lo, exec_lo, s25
	v_lshl_add_u32 v4, v4, 2, v99
	v_lshl_add_u32 v5, v32, 2, v98
	;; [unrolled: 1-line block ×3, first 2 shown]
	s_barrier
	buffer_gl0_inv
	ds_write_b32 v99, v83
	ds_write_b32 v98, v86
	;; [unrolled: 1-line block ×4, first 2 shown]
	s_waitcnt lgkmcnt(0)
	s_barrier
	buffer_gl0_inv
	ds_read2st64_b32 v[26:27], v54 offset1:4
	ds_read2st64_b32 v[24:25], v54 offset0:8 offset1:12
	s_waitcnt lgkmcnt(0)
	s_barrier
	buffer_gl0_inv
	v_lshl_add_u32 v11, v36, 2, v96
	ds_write_b64 v4, v[13:14]
	ds_write_b64 v5, v[8:9]
	;; [unrolled: 1-line block ×3, first 2 shown]
	v_lshl_add_u32 v4, v21, 3, v12
	v_mov_b32_e32 v18, 0
	v_add_co_u32 v2, vcc_lo, v2, v19
	ds_write_b64 v11, v[15:16]
	s_waitcnt lgkmcnt(0)
	s_barrier
	buffer_gl0_inv
	ds_read2st64_b64 v[12:15], v4 offset1:4
	ds_read2st64_b64 v[8:11], v4 offset0:8 offset1:12
	v_lshlrev_b64 v[4:5], 2, v[17:18]
	v_add_co_ci_u32_e64 v3, null, v3, v20, vcc_lo
	s_waitcnt lgkmcnt(0)
	s_barrier
	buffer_gl0_inv
	v_add_co_u32 v2, vcc_lo, v2, v4
	v_add_co_ci_u32_e64 v3, null, v3, v5, vcc_lo
	v_cmp_lt_u32_e32 vcc_lo, v17, v151
	s_and_saveexec_b32 s5, vcc_lo
	s_cbranch_execz .LBB1325_301
; %bb.300:
	v_cmp_gt_i32_e64 s4, 0, v26
	v_cndmask_b32_e64 v4, 0x7fffffff, 0, s4
	v_xor_b32_e32 v4, v4, v26
	flat_store_dword v[2:3], v4
.LBB1325_301:
	s_or_b32 exec_lo, exec_lo, s5
	v_add_nc_u32_e32 v4, 0x100, v17
	v_cmp_lt_u32_e64 s4, v4, v151
	s_and_saveexec_b32 s6, s4
	s_cbranch_execz .LBB1325_303
; %bb.302:
	v_cmp_gt_i32_e64 s5, 0, v27
	v_cndmask_b32_e64 v4, 0x7fffffff, 0, s5
	v_xor_b32_e32 v4, v4, v27
	flat_store_dword v[2:3], v4 offset:1024
.LBB1325_303:
	s_or_b32 exec_lo, exec_lo, s6
	v_add_nc_u32_e32 v4, 0x200, v17
	v_cmp_lt_u32_e64 s5, v4, v151
	s_and_saveexec_b32 s7, s5
	s_cbranch_execz .LBB1325_305
; %bb.304:
	v_cmp_gt_i32_e64 s6, 0, v24
	v_cndmask_b32_e64 v4, 0x7fffffff, 0, s6
	v_xor_b32_e32 v16, v4, v24
	v_add_co_u32 v4, s6, 0x800, v2
	v_add_co_ci_u32_e64 v5, null, 0, v3, s6
	flat_store_dword v[4:5], v16
.LBB1325_305:
	s_or_b32 exec_lo, exec_lo, s7
	v_add_nc_u32_e32 v4, 0x300, v17
	v_cmp_lt_u32_e64 s6, v4, v151
	s_and_saveexec_b32 s10, s6
	s_cbranch_execz .LBB1325_307
; %bb.306:
	v_cmp_gt_i32_e64 s7, 0, v25
	v_cndmask_b32_e64 v4, 0x7fffffff, 0, s7
	v_add_co_u32 v2, s7, 0x800, v2
	v_add_co_ci_u32_e64 v3, null, 0, v3, s7
	v_xor_b32_e32 v4, v4, v25
	flat_store_dword v[2:3], v4 offset:1024
.LBB1325_307:
	s_or_b32 exec_lo, exec_lo, s10
	v_lshlrev_b64 v[2:3], 3, v[17:18]
	v_add_co_u32 v0, s7, v6, v0
	v_add_co_ci_u32_e64 v1, null, v7, v1, s7
	v_add_co_u32 v0, s7, v0, v2
	v_add_co_ci_u32_e64 v1, null, v1, v3, s7
	s_and_saveexec_b32 s7, vcc_lo
	s_cbranch_execnz .LBB1325_340
; %bb.308:
	s_or_b32 exec_lo, exec_lo, s7
	s_and_saveexec_b32 s7, s4
	s_cbranch_execnz .LBB1325_341
.LBB1325_309:
	s_or_b32 exec_lo, exec_lo, s7
	s_and_saveexec_b32 s4, s5
	s_cbranch_execnz .LBB1325_342
.LBB1325_310:
	s_or_b32 exec_lo, exec_lo, s4
	s_and_saveexec_b32 s4, s6
	s_cbranch_execz .LBB1325_312
.LBB1325_311:
	v_add_co_u32 v0, vcc_lo, 0x1800, v0
	v_add_co_ci_u32_e64 v1, null, 0, v1, vcc_lo
	flat_store_dwordx2 v[0:1], v[10:11]
.LBB1325_312:
	s_or_b32 exec_lo, exec_lo, s4
                                        ; implicit-def: $vgpr151
                                        ; implicit-def: $vgpr0
                                        ; implicit-def: $vgpr1
                                        ; implicit-def: $vgpr2
                                        ; implicit-def: $vgpr3
                                        ; implicit-def: $vgpr4
                                        ; implicit-def: $vgpr5
                                        ; implicit-def: $vgpr6
                                        ; implicit-def: $vgpr7
                                        ; implicit-def: $vgpr8
                                        ; implicit-def: $vgpr10
                                        ; implicit-def: $vgpr11
                                        ; implicit-def: $vgpr12
                                        ; implicit-def: $vgpr13
                                        ; implicit-def: $vgpr14
                                        ; implicit-def: $vgpr21
                                        ; implicit-def: $vgpr114
.LBB1325_313:
	s_andn2_saveexec_b32 s4, s22
	s_cbranch_execz .LBB1325_372
; %bb.314:
	s_load_dwordx2 s[4:5], s[8:9], 0x0
	v_mov_b32_e32 v9, 0
	s_waitcnt lgkmcnt(0)
	s_cmp_lt_u32 s13, s5
	s_cselect_b32 s5, 14, 20
	s_add_u32 s6, s8, s5
	s_addc_u32 s7, s9, 0
	s_cmp_lt_u32 s12, s4
	global_load_ushort v15, v9, s[6:7]
	s_cselect_b32 s4, 12, 18
	s_add_u32 s4, s8, s4
	s_addc_u32 s5, s9, 0
	global_load_ushort v16, v9, s[4:5]
	s_mov_b32 s4, exec_lo
	s_waitcnt vmcnt(1)
	v_mad_u32_u24 v13, v14, v15, v13
	s_waitcnt vmcnt(0)
	v_mad_u64_u32 v[13:14], null, v13, v16, v[21:22]
	v_lshlrev_b64 v[15:16], 2, v[8:9]
	v_cmpx_lt_u32_e32 0x100, v151
	s_xor_b32 s18, exec_lo, s4
	s_cbranch_execz .LBB1325_352
; %bb.315:
	v_lshlrev_b32_e32 v14, 1, v13
	v_mov_b32_e32 v20, v9
	v_lshlrev_b32_e32 v18, 2, v114
	v_mov_b32_e32 v17, -1
	v_and_b32_e32 v19, 0xffffffc0, v14
	v_add_co_u32 v14, vcc_lo, v0, v15
	v_add_co_ci_u32_e64 v22, null, v1, v16, vcc_lo
	v_lshlrev_b64 v[0:1], 2, v[19:20]
	v_add_co_u32 v18, vcc_lo, v14, v18
	v_add_co_ci_u32_e64 v22, null, 0, v22, vcc_lo
	v_or_b32_e32 v14, v114, v19
	v_add_co_u32 v0, vcc_lo, v18, v0
	v_add_co_ci_u32_e64 v1, null, v22, v1, vcc_lo
	v_cmp_lt_u32_e32 vcc_lo, v14, v151
	v_mov_b32_e32 v18, v17
	s_and_saveexec_b32 s4, vcc_lo
	s_cbranch_execz .LBB1325_317
; %bb.316:
	flat_load_dword v22, v[0:1]
	v_mov_b32_e32 v23, v17
	s_waitcnt vmcnt(0) lgkmcnt(0)
	v_mov_b32_e32 v17, v22
	v_mov_b32_e32 v18, v23
.LBB1325_317:
	s_or_b32 exec_lo, exec_lo, s4
	v_or_b32_e32 v14, 32, v14
	v_cmp_lt_u32_e64 s4, v14, v151
	s_and_saveexec_b32 s5, s4
	s_cbranch_execz .LBB1325_319
; %bb.318:
	flat_load_dword v18, v[0:1] offset:128
.LBB1325_319:
	s_or_b32 exec_lo, exec_lo, s5
	v_lshlrev_b64 v[0:1], 3, v[8:9]
	v_lshlrev_b32_e32 v14, 3, v114
	v_lshlrev_b64 v[8:9], 3, v[19:20]
	v_mov_b32_e32 v22, 0
	v_mov_b32_e32 v19, 0
	v_mov_b32_e32 v23, 0
	v_add_co_u32 v4, s5, v4, v0
	v_add_co_ci_u32_e64 v5, null, v5, v1, s5
	v_mov_b32_e32 v20, 0
	v_add_co_u32 v4, s5, v4, v14
	v_add_co_ci_u32_e64 v5, null, 0, v5, s5
	v_add_co_u32 v4, s5, v4, v8
	v_add_co_ci_u32_e64 v5, null, v5, v9, s5
	s_and_saveexec_b32 s5, vcc_lo
	s_cbranch_execz .LBB1325_321
; %bb.320:
	flat_load_dwordx2 v[19:20], v[4:5]
.LBB1325_321:
	s_or_b32 exec_lo, exec_lo, s5
	s_and_saveexec_b32 s5, s4
	s_cbranch_execz .LBB1325_323
; %bb.322:
	flat_load_dwordx2 v[22:23], v[4:5] offset:256
.LBB1325_323:
	s_or_b32 exec_lo, exec_lo, s5
	v_cmp_gt_i32_e32 vcc_lo, 0, v17
	v_lshl_add_u32 v8, v21, 5, v12
	s_getpc_b64 s[4:5]
	s_add_u32 s4, s4, _ZN7rocprim17ROCPRIM_400000_NS16block_radix_sortIfLj256ELj2ElLj1ELj1ELj8ELNS0_26block_radix_rank_algorithmE2ELNS0_18block_padding_hintE2ELNS0_4arch9wavefront6targetE0EE19radix_bits_per_passE@rel32@lo+4
	s_addc_u32 s5, s5, _ZN7rocprim17ROCPRIM_400000_NS16block_radix_sortIfLj256ELj2ElLj1ELj1ELj8ELNS0_26block_radix_rank_algorithmE2ELNS0_18block_padding_hintE2ELNS0_4arch9wavefront6targetE0EE19radix_bits_per_passE@rel32@hi+12
	v_and_b32_e32 v9, 7, v114
	s_load_dword s19, s[4:5], 0x0
	v_cndmask_b32_e64 v4, 0x7fffffff, 0, vcc_lo
	s_waitcnt vmcnt(0) lgkmcnt(0)
	v_cmp_gt_i32_e32 vcc_lo, 0, v18
	v_add_nc_u32_e32 v14, 32, v8
	v_add_nc_u32_e32 v26, 36, v8
	;; [unrolled: 1-line block ×4, first 2 shown]
	v_cndmask_b32_e64 v5, 0x7fffffff, 0, vcc_lo
	v_add_nc_u32_e32 v29, 48, v8
	v_add_nc_u32_e32 v30, 52, v8
	;; [unrolled: 1-line block ×4, first 2 shown]
	v_xor_b32_e32 v25, v5, v18
	v_and_b32_e32 v5, 0x3e0, v21
	v_and_b32_e32 v8, 16, v114
	v_xor_b32_e32 v53, v4, v17
	v_and_b32_e32 v4, 15, v114
	v_lshrrev_b32_e32 v33, 5, v13
	v_min_u32_e32 v5, 0xe0, v5
	v_cmp_eq_u32_e64 s8, 0, v8
	v_lshlrev_b32_e32 v8, 1, v21
	v_cmp_eq_u32_e32 vcc_lo, 0, v4
	v_cmp_lt_u32_e64 s4, 1, v4
	v_cmp_lt_u32_e64 s5, 3, v4
	;; [unrolled: 1-line block ×3, first 2 shown]
	v_or_b32_e32 v4, 31, v5
	v_and_or_b32 v8, 0x7c0, v8, v114
	v_sub_co_u32 v5, s7, v114, 1
	v_cmp_lt_u32_e64 s11, 31, v21
	v_cmp_eq_u32_e64 s9, v21, v4
	v_lshrrev_b32_e32 v4, 3, v21
	v_lshlrev_b32_e32 v8, 2, v8
	v_cmp_gt_i32_e64 s10, 0, v5
	v_cmp_eq_u32_e64 s12, 0, v21
	v_cmp_eq_u32_e64 s13, 0, v9
	v_and_b32_e32 v4, 0x7c, v4
	v_add_nc_u32_e32 v37, v12, v8
	v_cndmask_b32_e64 v5, v5, v114, s10
	v_cmp_gt_u32_e64 s10, 8, v21
	v_cmp_lt_u32_e64 s14, 1, v9
	v_add_nc_u32_e32 v36, v12, v4
	v_lshlrev_b32_e32 v4, 2, v21
	v_add_nc_u32_e32 v38, v37, v8
	v_lshlrev_b32_e32 v35, 2, v5
	v_mov_b32_e32 v5, 0
	v_cmp_lt_u32_e64 s15, 3, v9
	v_add_co_u32 v34, null, v12, v4
	v_add_nc_u32_e32 v39, -4, v36
	v_add_nc_u32_e32 v48, 0x80, v37
	v_add_nc_u32_e32 v49, 0x100, v38
	v_sub_nc_u32_e32 v50, v11, v10
	s_mov_b32 s20, 0
	s_waitcnt_vscnt null, 0x0
	s_barrier
	buffer_gl0_inv
	s_branch .LBB1325_325
.LBB1325_324:                           ;   in Loop: Header=BB1325_325 Depth=1
	s_or_b32 exec_lo, exec_lo, s17
	s_and_b32 s16, exec_lo, s21
	s_or_b32 s20, s16, s20
	s_andn2_b32 exec_lo, exec_lo, s20
	s_cbranch_execz .LBB1325_343
.LBB1325_325:                           ; =>This Inner Loop Header: Depth=1
	v_mov_b32_e32 v51, v53
	v_min_u32_e32 v4, s19, v50
	v_mov_b32_e32 v52, v25
	ds_write_b32 v14, v5
	ds_write_b32 v26, v5
	;; [unrolled: 1-line block ×3, first 2 shown]
	v_cmp_ne_u32_e64 s16, 0x80000000, v51
	v_lshlrev_b32_e64 v4, v4, -1
	ds_write_b32 v28, v5
	ds_write_b32 v29, v5
	;; [unrolled: 1-line block ×5, first 2 shown]
	v_cndmask_b32_e64 v8, 0x7fffffff, v51, s16
	v_not_b32_e32 v24, v4
	s_waitcnt lgkmcnt(0)
	s_barrier
	buffer_gl0_inv
	v_lshrrev_b32_e32 v4, v10, v8
	; wave barrier
	v_and_b32_e32 v4, v4, v24
	v_and_b32_e32 v8, 1, v4
	v_lshlrev_b32_e32 v9, 30, v4
	v_lshlrev_b32_e32 v17, 29, v4
	;; [unrolled: 1-line block ×4, first 2 shown]
	v_add_co_u32 v8, s16, v8, -1
	v_cndmask_b32_e64 v25, 0, 1, s16
	v_not_b32_e32 v64, v9
	v_cmp_gt_i32_e64 s17, 0, v9
	v_not_b32_e32 v9, v17
	v_lshlrev_b32_e32 v54, 26, v4
	v_cmp_ne_u32_e64 s16, 0, v25
	v_ashrrev_i32_e32 v64, 31, v64
	v_lshlrev_b32_e32 v55, 25, v4
	v_ashrrev_i32_e32 v9, 31, v9
	v_lshlrev_b32_e32 v25, 24, v4
	v_xor_b32_e32 v8, s16, v8
	v_cmp_gt_i32_e64 s16, 0, v17
	v_not_b32_e32 v17, v18
	v_xor_b32_e32 v64, s17, v64
	v_cmp_gt_i32_e64 s17, 0, v18
	v_and_b32_e32 v8, exec_lo, v8
	v_not_b32_e32 v18, v53
	v_ashrrev_i32_e32 v17, 31, v17
	v_xor_b32_e32 v9, s16, v9
	v_cmp_gt_i32_e64 s16, 0, v53
	v_and_b32_e32 v8, v8, v64
	v_not_b32_e32 v53, v54
	v_ashrrev_i32_e32 v18, 31, v18
	v_xor_b32_e32 v17, s17, v17
	v_cmp_gt_i32_e64 s17, 0, v54
	v_and_b32_e32 v8, v8, v9
	v_not_b32_e32 v9, v55
	v_ashrrev_i32_e32 v53, 31, v53
	v_xor_b32_e32 v18, s16, v18
	v_cmp_gt_i32_e64 s16, 0, v55
	v_and_b32_e32 v8, v8, v17
	v_not_b32_e32 v17, v25
	v_ashrrev_i32_e32 v54, 31, v9
	v_xor_b32_e32 v53, s17, v53
	v_cmp_gt_i32_e64 s17, 0, v25
	v_and_b32_e32 v18, v8, v18
	v_mov_b32_e32 v8, v22
	v_mov_b32_e32 v9, v23
	v_ashrrev_i32_e32 v22, 31, v17
	v_xor_b32_e32 v23, s16, v54
	v_and_b32_e32 v25, v18, v53
	v_mov_b32_e32 v17, v19
	v_mov_b32_e32 v18, v20
	v_xor_b32_e32 v19, s17, v22
	v_lshl_add_u32 v4, v4, 3, v33
	v_and_b32_e32 v20, v25, v23
	v_lshlrev_b64 v[22:23], 2, v[4:5]
	v_and_b32_e32 v20, v20, v19
	v_add_co_u32 v19, null, v12, v22
	v_mbcnt_lo_u32_b32 v4, v20, 0
	v_cmp_ne_u32_e64 s17, 0, v20
	v_add_co_u32 v19, null, v19, 32
	v_cmp_eq_u32_e64 s16, 0, v4
	s_and_b32 s17, s17, s16
	s_and_saveexec_b32 s16, s17
; %bb.326:                              ;   in Loop: Header=BB1325_325 Depth=1
	v_bcnt_u32_b32 v20, v20, 0
	ds_write_b32 v19, v20
; %bb.327:                              ;   in Loop: Header=BB1325_325 Depth=1
	s_or_b32 exec_lo, exec_lo, s16
	v_cmp_ne_u32_e64 s16, 0x80000000, v52
	; wave barrier
	v_cndmask_b32_e64 v20, 0x7fffffff, v52, s16
	v_lshrrev_b32_e32 v20, v10, v20
	v_and_b32_e32 v20, v20, v24
	v_and_b32_e32 v22, 1, v20
	v_lshlrev_b32_e32 v23, 30, v20
	v_lshlrev_b32_e32 v24, 29, v20
	;; [unrolled: 1-line block ×4, first 2 shown]
	v_add_co_u32 v22, s16, v22, -1
	v_cndmask_b32_e64 v53, 0, 1, s16
	v_not_b32_e32 v65, v23
	v_cmp_gt_i32_e64 s17, 0, v23
	v_not_b32_e32 v23, v24
	v_lshlrev_b32_e32 v55, 26, v20
	v_cmp_ne_u32_e64 s16, 0, v53
	v_ashrrev_i32_e32 v65, 31, v65
	v_lshlrev_b32_e32 v64, 25, v20
	v_ashrrev_i32_e32 v23, 31, v23
	v_lshlrev_b32_e32 v53, 24, v20
	v_xor_b32_e32 v22, s16, v22
	v_cmp_gt_i32_e64 s16, 0, v24
	v_not_b32_e32 v24, v25
	v_xor_b32_e32 v65, s17, v65
	v_cmp_gt_i32_e64 s17, 0, v25
	v_and_b32_e32 v22, exec_lo, v22
	v_not_b32_e32 v25, v54
	v_ashrrev_i32_e32 v24, 31, v24
	v_xor_b32_e32 v23, s16, v23
	v_cmp_gt_i32_e64 s16, 0, v54
	v_and_b32_e32 v22, v22, v65
	v_not_b32_e32 v54, v55
	v_ashrrev_i32_e32 v25, 31, v25
	v_xor_b32_e32 v24, s17, v24
	v_cmp_gt_i32_e64 s17, 0, v55
	v_and_b32_e32 v22, v22, v23
	v_not_b32_e32 v23, v64
	v_ashrrev_i32_e32 v54, 31, v54
	v_xor_b32_e32 v25, s16, v25
	v_cmp_gt_i32_e64 s16, 0, v64
	v_and_b32_e32 v22, v22, v24
	v_not_b32_e32 v24, v53
	v_ashrrev_i32_e32 v23, 31, v23
	v_xor_b32_e32 v54, s17, v54
	v_lshl_add_u32 v20, v20, 3, v33
	v_and_b32_e32 v22, v22, v25
	v_cmp_gt_i32_e64 s17, 0, v53
	v_ashrrev_i32_e32 v24, 31, v24
	v_xor_b32_e32 v23, s16, v23
	v_lshl_add_u32 v25, v20, 2, v12
	v_and_b32_e32 v22, v22, v54
	v_xor_b32_e32 v24, s17, v24
	ds_read_b32 v20, v25 offset:32
	v_and_b32_e32 v22, v22, v23
	v_add_nc_u32_e32 v23, 32, v25
	; wave barrier
	v_and_b32_e32 v24, v22, v24
	v_mbcnt_lo_u32_b32 v22, v24, 0
	v_cmp_ne_u32_e64 s17, 0, v24
	v_cmp_eq_u32_e64 s16, 0, v22
	s_and_b32 s17, s17, s16
	s_and_saveexec_b32 s16, s17
	s_cbranch_execz .LBB1325_329
; %bb.328:                              ;   in Loop: Header=BB1325_325 Depth=1
	s_waitcnt lgkmcnt(0)
	v_bcnt_u32_b32 v24, v24, v20
	ds_write_b32 v23, v24
.LBB1325_329:                           ;   in Loop: Header=BB1325_325 Depth=1
	s_or_b32 exec_lo, exec_lo, s16
	; wave barrier
	s_waitcnt lgkmcnt(0)
	s_barrier
	buffer_gl0_inv
	ds_read_b32 v25, v14
	ds_read_b32 v53, v26
	;; [unrolled: 1-line block ×8, first 2 shown]
	s_waitcnt lgkmcnt(6)
	v_add_nc_u32_e32 v67, v53, v25
	s_waitcnt lgkmcnt(4)
	v_add3_u32 v67, v67, v54, v55
	s_waitcnt lgkmcnt(2)
	v_add3_u32 v67, v67, v64, v65
	;; [unrolled: 2-line block ×3, first 2 shown]
	v_mov_b32_dpp v67, v66 row_shr:1 row_mask:0xf bank_mask:0xf
	v_cndmask_b32_e64 v67, v67, 0, vcc_lo
	v_add_nc_u32_e32 v66, v67, v66
	v_mov_b32_dpp v67, v66 row_shr:2 row_mask:0xf bank_mask:0xf
	v_cndmask_b32_e64 v67, 0, v67, s4
	v_add_nc_u32_e32 v66, v66, v67
	v_mov_b32_dpp v67, v66 row_shr:4 row_mask:0xf bank_mask:0xf
	v_cndmask_b32_e64 v67, 0, v67, s5
	;; [unrolled: 3-line block ×3, first 2 shown]
	v_add_nc_u32_e32 v66, v66, v67
	ds_swizzle_b32 v67, v66 offset:swizzle(BROADCAST,32,15)
	s_waitcnt lgkmcnt(0)
	v_cndmask_b32_e64 v67, v67, 0, s8
	v_add_nc_u32_e32 v66, v66, v67
	s_and_saveexec_b32 s16, s9
; %bb.330:                              ;   in Loop: Header=BB1325_325 Depth=1
	ds_write_b32 v36, v66
; %bb.331:                              ;   in Loop: Header=BB1325_325 Depth=1
	s_or_b32 exec_lo, exec_lo, s16
	s_waitcnt lgkmcnt(0)
	s_barrier
	buffer_gl0_inv
	s_and_saveexec_b32 s16, s10
	s_cbranch_execz .LBB1325_333
; %bb.332:                              ;   in Loop: Header=BB1325_325 Depth=1
	ds_read_b32 v67, v34
	s_waitcnt lgkmcnt(0)
	v_mov_b32_dpp v68, v67 row_shr:1 row_mask:0xf bank_mask:0xf
	v_cndmask_b32_e64 v68, v68, 0, s13
	v_add_nc_u32_e32 v67, v68, v67
	v_mov_b32_dpp v68, v67 row_shr:2 row_mask:0xf bank_mask:0xf
	v_cndmask_b32_e64 v68, 0, v68, s14
	v_add_nc_u32_e32 v67, v67, v68
	;; [unrolled: 3-line block ×3, first 2 shown]
	ds_write_b32 v34, v67
.LBB1325_333:                           ;   in Loop: Header=BB1325_325 Depth=1
	s_or_b32 exec_lo, exec_lo, s16
	v_mov_b32_e32 v67, 0
	s_waitcnt lgkmcnt(0)
	s_barrier
	buffer_gl0_inv
	s_and_saveexec_b32 s16, s11
; %bb.334:                              ;   in Loop: Header=BB1325_325 Depth=1
	ds_read_b32 v67, v39
; %bb.335:                              ;   in Loop: Header=BB1325_325 Depth=1
	s_or_b32 exec_lo, exec_lo, s16
	s_waitcnt lgkmcnt(0)
	v_add_nc_u32_e32 v66, v67, v66
	v_add_nc_u32_e32 v10, 8, v10
	s_mov_b32 s21, -1
	s_mov_b32 s17, exec_lo
	ds_bpermute_b32 v66, v35, v66
	s_waitcnt lgkmcnt(0)
	v_cndmask_b32_e64 v66, v66, v67, s7
	v_cndmask_b32_e64 v66, v66, 0, s12
	v_add_nc_u32_e32 v25, v66, v25
	v_add_nc_u32_e32 v53, v25, v53
	ds_write_b32 v14, v66
	ds_write_b32 v26, v25
	;; [unrolled: 1-line block ×3, first 2 shown]
	v_mov_b32_e32 v25, v5
	v_add_nc_u32_e32 v54, v53, v54
                                        ; implicit-def: $vgpr53
	v_add_nc_u32_e32 v55, v54, v55
	v_add_nc_u32_e32 v64, v55, v64
	;; [unrolled: 1-line block ×4, first 2 shown]
	ds_write_b32 v28, v54
	ds_write_b32 v29, v55
	;; [unrolled: 1-line block ×5, first 2 shown]
	s_waitcnt lgkmcnt(0)
	s_barrier
	buffer_gl0_inv
	ds_read_b32 v19, v19
	ds_read_b32 v23, v23
	s_waitcnt lgkmcnt(0)
	v_add_nc_u32_e32 v4, v19, v4
	v_add3_u32 v24, v22, v20, v23
	v_lshlrev_b64 v[19:20], 2, v[4:5]
	v_lshlrev_b64 v[22:23], 2, v[24:25]
                                        ; implicit-def: $vgpr25
	v_add_co_u32 v55, null, v12, v19
	v_add_co_u32 v54, null, v12, v22
                                        ; implicit-def: $vgpr22_vgpr23
                                        ; implicit-def: $vgpr19_vgpr20
	v_cmpx_lt_u32_e64 v10, v11
	s_cbranch_execz .LBB1325_324
; %bb.336:                              ;   in Loop: Header=BB1325_325 Depth=1
	v_lshl_add_u32 v19, v4, 2, v55
	v_lshl_add_u32 v20, v24, 2, v54
	s_barrier
	buffer_gl0_inv
	ds_write_b32 v55, v51
	ds_write_b32 v54, v52
	s_waitcnt lgkmcnt(0)
	s_barrier
	buffer_gl0_inv
	ds_read_b32 v53, v37
	ds_read_b32 v25, v48
	s_waitcnt lgkmcnt(0)
	s_barrier
	buffer_gl0_inv
	ds_write_b64 v19, v[17:18]
	ds_write_b64 v20, v[8:9]
	s_waitcnt lgkmcnt(0)
	s_barrier
	buffer_gl0_inv
	ds_read_b64 v[19:20], v38
	ds_read_b64 v[22:23], v49
	v_add_nc_u32_e32 v50, -8, v50
	s_xor_b32 s21, exec_lo, -1
	s_waitcnt lgkmcnt(0)
	s_barrier
	buffer_gl0_inv
	s_branch .LBB1325_324
.LBB1325_337:
	flat_load_dwordx2 v[28:29], v[4:5]
	s_or_b32 exec_lo, exec_lo, s7
                                        ; implicit-def: $vgpr30_vgpr31
	s_and_saveexec_b32 s7, s4
	s_cbranch_execz .LBB1325_264
.LBB1325_338:
	flat_load_dwordx2 v[30:31], v[4:5] offset:256
	s_or_b32 exec_lo, exec_lo, s7
                                        ; implicit-def: $vgpr24_vgpr25
	s_and_saveexec_b32 s4, s5
	s_cbranch_execz .LBB1325_265
.LBB1325_339:
	flat_load_dwordx2 v[24:25], v[4:5] offset:512
	s_or_b32 exec_lo, exec_lo, s4
                                        ; implicit-def: $vgpr26_vgpr27
	s_and_saveexec_b32 s4, s6
	s_cbranch_execnz .LBB1325_266
	s_branch .LBB1325_267
.LBB1325_340:
	flat_store_dwordx2 v[0:1], v[12:13]
	s_or_b32 exec_lo, exec_lo, s7
	s_and_saveexec_b32 s7, s4
	s_cbranch_execz .LBB1325_309
.LBB1325_341:
	v_add_co_u32 v2, vcc_lo, 0x800, v0
	v_add_co_ci_u32_e64 v3, null, 0, v1, vcc_lo
	flat_store_dwordx2 v[2:3], v[14:15]
	s_or_b32 exec_lo, exec_lo, s7
	s_and_saveexec_b32 s4, s5
	s_cbranch_execz .LBB1325_310
.LBB1325_342:
	v_add_co_u32 v2, vcc_lo, 0x1000, v0
	v_add_co_ci_u32_e64 v3, null, 0, v1, vcc_lo
	flat_store_dwordx2 v[2:3], v[8:9]
	s_or_b32 exec_lo, exec_lo, s4
	s_and_saveexec_b32 s4, s6
	s_cbranch_execnz .LBB1325_311
	s_branch .LBB1325_312
.LBB1325_343:
	s_or_b32 exec_lo, exec_lo, s20
	v_lshl_add_u32 v4, v4, 2, v55
	s_barrier
	buffer_gl0_inv
	ds_write_b32 v55, v51
	ds_write_b32 v54, v52
	s_waitcnt lgkmcnt(0)
	s_barrier
	buffer_gl0_inv
	ds_read2st64_b32 v[19:20], v34 offset1:4
	s_waitcnt lgkmcnt(0)
	v_lshl_add_u32 v5, v24, 2, v54
	s_barrier
	buffer_gl0_inv
	ds_write_b64 v4, v[17:18]
	v_lshl_add_u32 v4, v21, 3, v12
	ds_write_b64 v5, v[8:9]
	s_waitcnt lgkmcnt(0)
	s_barrier
	buffer_gl0_inv
	ds_read2st64_b64 v[8:11], v4 offset1:4
	v_mov_b32_e32 v14, 0
	v_add_co_u32 v2, vcc_lo, v2, v15
	v_add_co_ci_u32_e64 v3, null, v3, v16, vcc_lo
	v_lshlrev_b64 v[4:5], 2, v[13:14]
	s_waitcnt lgkmcnt(0)
	s_barrier
	buffer_gl0_inv
	v_add_co_u32 v2, vcc_lo, v2, v4
	v_add_co_ci_u32_e64 v3, null, v3, v5, vcc_lo
	v_cmp_lt_u32_e32 vcc_lo, v13, v151
	s_and_saveexec_b32 s5, vcc_lo
	s_cbranch_execz .LBB1325_345
; %bb.344:
	v_cmp_gt_i32_e64 s4, 0, v19
	v_cndmask_b32_e64 v4, 0x7fffffff, 0, s4
	v_xor_b32_e32 v4, v4, v19
	flat_store_dword v[2:3], v4
.LBB1325_345:
	s_or_b32 exec_lo, exec_lo, s5
	v_add_nc_u32_e32 v4, 0x100, v13
	v_cmp_lt_u32_e64 s4, v4, v151
	s_and_saveexec_b32 s6, s4
	s_cbranch_execz .LBB1325_347
; %bb.346:
	v_cmp_gt_i32_e64 s5, 0, v20
	v_cndmask_b32_e64 v4, 0x7fffffff, 0, s5
	v_xor_b32_e32 v4, v4, v20
	flat_store_dword v[2:3], v4 offset:1024
.LBB1325_347:
	s_or_b32 exec_lo, exec_lo, s6
	v_lshlrev_b64 v[2:3], 3, v[13:14]
	v_add_co_u32 v0, s5, v6, v0
	v_add_co_ci_u32_e64 v1, null, v7, v1, s5
	v_add_co_u32 v0, s5, v0, v2
	v_add_co_ci_u32_e64 v1, null, v1, v3, s5
	s_and_saveexec_b32 s5, vcc_lo
	s_cbranch_execz .LBB1325_349
; %bb.348:
	flat_store_dwordx2 v[0:1], v[8:9]
.LBB1325_349:
	s_or_b32 exec_lo, exec_lo, s5
	s_and_saveexec_b32 s5, s4
	s_cbranch_execz .LBB1325_351
; %bb.350:
	v_add_co_u32 v0, vcc_lo, 0x800, v0
	v_add_co_ci_u32_e64 v1, null, 0, v1, vcc_lo
	flat_store_dwordx2 v[0:1], v[10:11]
.LBB1325_351:
	s_or_b32 exec_lo, exec_lo, s5
                                        ; implicit-def: $vgpr13_vgpr14
                                        ; implicit-def: $vgpr8_vgpr9
                                        ; implicit-def: $vgpr15_vgpr16
                                        ; implicit-def: $vgpr151
                                        ; implicit-def: $vgpr0
                                        ; implicit-def: $vgpr1
                                        ; implicit-def: $vgpr2
                                        ; implicit-def: $vgpr3
                                        ; implicit-def: $vgpr4
                                        ; implicit-def: $vgpr5
                                        ; implicit-def: $vgpr6
                                        ; implicit-def: $vgpr7
                                        ; implicit-def: $vgpr10
                                        ; implicit-def: $vgpr11
                                        ; implicit-def: $vgpr12
                                        ; implicit-def: $vgpr21
                                        ; implicit-def: $vgpr114
.LBB1325_352:
	s_andn2_saveexec_b32 s4, s18
	s_cbranch_execz .LBB1325_372
; %bb.353:
	v_and_b32_e32 v17, 0xffffffe0, v13
	v_mov_b32_e32 v14, -1
	v_or_b32_e32 v18, v114, v17
	v_cmp_lt_u32_e32 vcc_lo, v18, v151
	s_and_saveexec_b32 s5, vcc_lo
	s_cbranch_execz .LBB1325_355
; %bb.354:
	v_mov_b32_e32 v18, 0
	v_lshlrev_b32_e32 v14, 2, v114
	v_add_co_u32 v19, s4, v0, v15
	v_add_co_ci_u32_e64 v20, null, v1, v16, s4
	v_lshlrev_b64 v[0:1], 2, v[17:18]
	v_add_co_u32 v14, s4, v19, v14
	v_add_co_ci_u32_e64 v18, null, 0, v20, s4
	v_add_co_u32 v0, s4, v14, v0
	v_add_co_ci_u32_e64 v1, null, v18, v1, s4
	flat_load_dword v14, v[0:1]
.LBB1325_355:
	s_or_b32 exec_lo, exec_lo, s5
	v_lshlrev_b64 v[0:1], 3, v[8:9]
                                        ; implicit-def: $vgpr8_vgpr9
	s_and_saveexec_b32 s4, vcc_lo
	s_cbranch_execz .LBB1325_357
; %bb.356:
	v_mov_b32_e32 v18, 0
	v_lshlrev_b32_e32 v8, 3, v114
	v_add_co_u32 v9, vcc_lo, v4, v0
	v_add_co_ci_u32_e64 v19, null, v5, v1, vcc_lo
	v_lshlrev_b64 v[4:5], 3, v[17:18]
	v_add_co_u32 v8, vcc_lo, v9, v8
	v_add_co_ci_u32_e64 v9, null, 0, v19, vcc_lo
	v_add_co_u32 v4, vcc_lo, v8, v4
	v_add_co_ci_u32_e64 v5, null, v9, v5, vcc_lo
	flat_load_dwordx2 v[8:9], v[4:5]
.LBB1325_357:
	s_or_b32 exec_lo, exec_lo, s4
	s_waitcnt vmcnt(0) lgkmcnt(0)
	v_cmp_gt_i32_e32 vcc_lo, 0, v14
	v_lshl_add_u32 v5, v21, 5, v12
	v_and_b32_e32 v17, 0x3e0, v21
	v_sub_co_u32 v29, s6, v114, 1
	v_cndmask_b32_e64 v4, 0x7fffffff, 0, vcc_lo
	v_add_nc_u32_e32 v19, 36, v5
	v_add_nc_u32_e32 v20, 40, v5
	;; [unrolled: 1-line block ×4, first 2 shown]
	v_xor_b32_e32 v4, v4, v14
	v_add_nc_u32_e32 v14, 32, v5
	v_add_nc_u32_e32 v24, 52, v5
	;; [unrolled: 1-line block ×4, first 2 shown]
	v_min_u32_e32 v5, 0xe0, v17
	s_getpc_b64 s[4:5]
	s_add_u32 s4, s4, _ZN7rocprim17ROCPRIM_400000_NS16block_radix_sortIfLj256ELj1ElLj1ELj1ELj8ELNS0_26block_radix_rank_algorithmE2ELNS0_18block_padding_hintE2ELNS0_4arch9wavefront6targetE0EE19radix_bits_per_passE@rel32@lo+4
	s_addc_u32 s5, s5, _ZN7rocprim17ROCPRIM_400000_NS16block_radix_sortIfLj256ELj1ElLj1ELj1ELj8ELNS0_26block_radix_rank_algorithmE2ELNS0_18block_padding_hintE2ELNS0_4arch9wavefront6targetE0EE19radix_bits_per_passE@rel32@hi+12
	v_and_b32_e32 v18, 15, v114
	s_load_dword s18, s[4:5], 0x0
	v_cmp_gt_i32_e64 s10, 0, v29
	v_or_b32_e32 v5, 31, v5
	v_or_b32_e32 v17, v114, v17
	v_cmp_eq_u32_e32 vcc_lo, 0, v18
	v_cmp_lt_u32_e64 s4, 1, v18
	v_cmp_lt_u32_e64 s5, 3, v18
	v_cmp_eq_u32_e64 s9, v21, v5
	v_lshrrev_b32_e32 v5, 3, v21
	v_cmp_lt_u32_e64 s7, 7, v18
	v_cndmask_b32_e64 v18, v29, v114, s10
	v_lshlrev_b32_e32 v17, 2, v17
	v_and_b32_e32 v28, 16, v114
	v_and_b32_e32 v5, 0x7c, v5
	v_lshrrev_b32_e32 v27, 5, v13
	v_lshlrev_b32_e32 v29, 2, v18
	v_and_b32_e32 v18, 7, v114
	v_add_nc_u32_e32 v31, v12, v17
	v_add_nc_u32_e32 v30, v12, v5
	v_cmp_eq_u32_e64 s8, 0, v28
	v_cmp_gt_u32_e64 s10, 8, v21
	v_cmp_lt_u32_e64 s11, 31, v21
	v_cmp_eq_u32_e64 s12, 0, v21
	v_mov_b32_e32 v5, 0
	v_lshl_add_u32 v28, v21, 2, v12
	v_cmp_eq_u32_e64 s13, 0, v18
	v_cmp_lt_u32_e64 s14, 1, v18
	v_cmp_lt_u32_e64 s15, 3, v18
	v_add_nc_u32_e32 v32, -4, v30
	v_add_nc_u32_e32 v33, v31, v17
	v_sub_nc_u32_e32 v34, v11, v10
	s_mov_b32 s19, 0
	s_waitcnt lgkmcnt(0)
	s_waitcnt_vscnt null, 0x0
	s_barrier
	buffer_gl0_inv
	s_branch .LBB1325_359
.LBB1325_358:                           ;   in Loop: Header=BB1325_359 Depth=1
	s_or_b32 exec_lo, exec_lo, s17
	s_and_b32 s16, exec_lo, s20
	s_or_b32 s19, s16, s19
	s_andn2_b32 exec_lo, exec_lo, s19
	s_cbranch_execz .LBB1325_369
.LBB1325_359:                           ; =>This Inner Loop Header: Depth=1
	v_mov_b32_e32 v35, v4
	v_min_u32_e32 v17, s18, v34
	ds_write_b32 v14, v5
	ds_write_b32 v19, v5
	;; [unrolled: 1-line block ×5, first 2 shown]
	v_cmp_ne_u32_e64 s16, 0x80000000, v35
	ds_write_b32 v24, v5
	ds_write_b32 v25, v5
	;; [unrolled: 1-line block ×3, first 2 shown]
	s_waitcnt lgkmcnt(0)
	s_barrier
	v_cndmask_b32_e64 v4, 0x7fffffff, v35, s16
	buffer_gl0_inv
	; wave barrier
	v_lshrrev_b32_e32 v4, v10, v4
	v_bfe_u32 v4, v4, 0, v17
	v_and_b32_e32 v17, 1, v4
	v_lshlrev_b32_e32 v18, 30, v4
	v_lshlrev_b32_e32 v36, 29, v4
	;; [unrolled: 1-line block ×4, first 2 shown]
	v_add_co_u32 v17, s16, v17, -1
	v_cndmask_b32_e64 v38, 0, 1, s16
	v_not_b32_e32 v50, v18
	v_cmp_gt_i32_e64 s17, 0, v18
	v_not_b32_e32 v18, v36
	v_lshlrev_b32_e32 v48, 26, v4
	v_cmp_ne_u32_e64 s16, 0, v38
	v_ashrrev_i32_e32 v50, 31, v50
	v_lshlrev_b32_e32 v49, 25, v4
	v_ashrrev_i32_e32 v18, 31, v18
	v_lshlrev_b32_e32 v38, 24, v4
	v_xor_b32_e32 v17, s16, v17
	v_cmp_gt_i32_e64 s16, 0, v36
	v_not_b32_e32 v36, v37
	v_xor_b32_e32 v50, s17, v50
	v_cmp_gt_i32_e64 s17, 0, v37
	v_and_b32_e32 v17, exec_lo, v17
	v_not_b32_e32 v37, v39
	v_ashrrev_i32_e32 v36, 31, v36
	v_xor_b32_e32 v18, s16, v18
	v_cmp_gt_i32_e64 s16, 0, v39
	v_and_b32_e32 v17, v17, v50
	v_not_b32_e32 v39, v48
	v_ashrrev_i32_e32 v37, 31, v37
	v_xor_b32_e32 v36, s17, v36
	v_cmp_gt_i32_e64 s17, 0, v48
	v_and_b32_e32 v17, v17, v18
	;; [unrolled: 5-line block ×4, first 2 shown]
	v_ashrrev_i32_e32 v36, 31, v36
	v_xor_b32_e32 v37, s16, v18
	v_lshl_add_u32 v4, v4, 3, v27
	v_and_b32_e32 v38, v17, v39
	v_mov_b32_e32 v18, v9
	v_mov_b32_e32 v17, v8
	v_xor_b32_e32 v8, s17, v36
	v_and_b32_e32 v9, v38, v37
	v_lshlrev_b64 v[36:37], 2, v[4:5]
	v_and_b32_e32 v9, v9, v8
	v_add_co_u32 v8, null, v12, v36
	v_mbcnt_lo_u32_b32 v4, v9, 0
	v_cmp_ne_u32_e64 s17, 0, v9
	v_add_co_u32 v8, null, v8, 32
	v_cmp_eq_u32_e64 s16, 0, v4
	s_and_b32 s17, s17, s16
	s_and_saveexec_b32 s16, s17
; %bb.360:                              ;   in Loop: Header=BB1325_359 Depth=1
	v_bcnt_u32_b32 v9, v9, 0
	ds_write_b32 v8, v9
; %bb.361:                              ;   in Loop: Header=BB1325_359 Depth=1
	s_or_b32 exec_lo, exec_lo, s16
	; wave barrier
	s_waitcnt lgkmcnt(0)
	s_barrier
	buffer_gl0_inv
	ds_read_b32 v36, v14
	ds_read_b32 v37, v19
	;; [unrolled: 1-line block ×8, first 2 shown]
	s_waitcnt lgkmcnt(6)
	v_add_nc_u32_e32 v51, v37, v36
	s_waitcnt lgkmcnt(4)
	v_add3_u32 v51, v51, v38, v39
	s_waitcnt lgkmcnt(2)
	v_add3_u32 v51, v51, v48, v49
	;; [unrolled: 2-line block ×3, first 2 shown]
	v_mov_b32_dpp v51, v50 row_shr:1 row_mask:0xf bank_mask:0xf
	v_cndmask_b32_e64 v51, v51, 0, vcc_lo
	v_add_nc_u32_e32 v50, v51, v50
	v_mov_b32_dpp v51, v50 row_shr:2 row_mask:0xf bank_mask:0xf
	v_cndmask_b32_e64 v51, 0, v51, s4
	v_add_nc_u32_e32 v50, v50, v51
	v_mov_b32_dpp v51, v50 row_shr:4 row_mask:0xf bank_mask:0xf
	v_cndmask_b32_e64 v51, 0, v51, s5
	;; [unrolled: 3-line block ×3, first 2 shown]
	v_add_nc_u32_e32 v50, v50, v51
	ds_swizzle_b32 v51, v50 offset:swizzle(BROADCAST,32,15)
	s_waitcnt lgkmcnt(0)
	v_cndmask_b32_e64 v51, v51, 0, s8
	v_add_nc_u32_e32 v50, v50, v51
	s_and_saveexec_b32 s16, s9
; %bb.362:                              ;   in Loop: Header=BB1325_359 Depth=1
	ds_write_b32 v30, v50
; %bb.363:                              ;   in Loop: Header=BB1325_359 Depth=1
	s_or_b32 exec_lo, exec_lo, s16
	s_waitcnt lgkmcnt(0)
	s_barrier
	buffer_gl0_inv
	s_and_saveexec_b32 s16, s10
	s_cbranch_execz .LBB1325_365
; %bb.364:                              ;   in Loop: Header=BB1325_359 Depth=1
	ds_read_b32 v51, v28
	s_waitcnt lgkmcnt(0)
	v_mov_b32_dpp v52, v51 row_shr:1 row_mask:0xf bank_mask:0xf
	v_cndmask_b32_e64 v52, v52, 0, s13
	v_add_nc_u32_e32 v51, v52, v51
	v_mov_b32_dpp v52, v51 row_shr:2 row_mask:0xf bank_mask:0xf
	v_cndmask_b32_e64 v52, 0, v52, s14
	v_add_nc_u32_e32 v51, v51, v52
	;; [unrolled: 3-line block ×3, first 2 shown]
	ds_write_b32 v28, v51
.LBB1325_365:                           ;   in Loop: Header=BB1325_359 Depth=1
	s_or_b32 exec_lo, exec_lo, s16
	v_mov_b32_e32 v51, 0
	s_waitcnt lgkmcnt(0)
	s_barrier
	buffer_gl0_inv
	s_and_saveexec_b32 s16, s11
; %bb.366:                              ;   in Loop: Header=BB1325_359 Depth=1
	ds_read_b32 v51, v32
; %bb.367:                              ;   in Loop: Header=BB1325_359 Depth=1
	s_or_b32 exec_lo, exec_lo, s16
	s_waitcnt lgkmcnt(0)
	v_add_nc_u32_e32 v50, v51, v50
	v_add_nc_u32_e32 v10, 8, v10
	s_mov_b32 s20, -1
	s_mov_b32 s17, exec_lo
	ds_bpermute_b32 v50, v29, v50
	s_waitcnt lgkmcnt(0)
	v_cndmask_b32_e64 v50, v50, v51, s6
	v_cndmask_b32_e64 v50, v50, 0, s12
	v_add_nc_u32_e32 v36, v50, v36
	v_add_nc_u32_e32 v37, v36, v37
	ds_write_b32 v14, v50
	ds_write_b32 v19, v36
	;; [unrolled: 1-line block ×3, first 2 shown]
	v_add_nc_u32_e32 v38, v37, v38
	v_add_nc_u32_e32 v39, v38, v39
	;; [unrolled: 1-line block ×5, first 2 shown]
	ds_write_b32 v22, v38
	ds_write_b32 v23, v39
	;; [unrolled: 1-line block ×5, first 2 shown]
	s_waitcnt lgkmcnt(0)
	s_barrier
	buffer_gl0_inv
	ds_read_b32 v8, v8
	s_waitcnt lgkmcnt(0)
	v_add_nc_u32_e32 v4, v8, v4
	v_lshlrev_b64 v[8:9], 2, v[4:5]
                                        ; implicit-def: $vgpr4
	v_add_co_u32 v37, null, v12, v8
	v_add_co_u32 v36, null, v37, v8
                                        ; implicit-def: $vgpr8_vgpr9
	v_cmpx_lt_u32_e64 v10, v11
	s_cbranch_execz .LBB1325_358
; %bb.368:                              ;   in Loop: Header=BB1325_359 Depth=1
	s_barrier
	buffer_gl0_inv
	ds_write_b32 v37, v35
	s_waitcnt lgkmcnt(0)
	s_barrier
	buffer_gl0_inv
	ds_read_b32 v4, v31
	s_waitcnt lgkmcnt(0)
	s_barrier
	buffer_gl0_inv
	ds_write_b64 v36, v[17:18]
	s_waitcnt lgkmcnt(0)
	s_barrier
	buffer_gl0_inv
	ds_read_b64 v[8:9], v33
	v_add_nc_u32_e32 v34, -8, v34
	s_xor_b32 s20, exec_lo, -1
	s_waitcnt lgkmcnt(0)
	s_barrier
	buffer_gl0_inv
	s_branch .LBB1325_358
.LBB1325_369:
	s_or_b32 exec_lo, exec_lo, s19
	v_lshl_add_u32 v4, v21, 3, v12
	s_barrier
	buffer_gl0_inv
	ds_write_b32 v37, v35
	s_waitcnt lgkmcnt(0)
	s_barrier
	buffer_gl0_inv
	ds_read_b32 v8, v28
	s_waitcnt lgkmcnt(0)
	s_barrier
	buffer_gl0_inv
	ds_write_b64 v36, v[17:18]
	s_waitcnt lgkmcnt(0)
	s_barrier
	buffer_gl0_inv
	ds_read_b64 v[4:5], v4
	s_mov_b32 s4, exec_lo
	s_waitcnt lgkmcnt(0)
	s_barrier
	buffer_gl0_inv
	v_cmpx_lt_u32_e64 v13, v151
	s_cbranch_execz .LBB1325_371
; %bb.370:
	v_mov_b32_e32 v14, 0
	v_add_co_u32 v2, vcc_lo, v2, v15
	v_add_co_ci_u32_e64 v3, null, v3, v16, vcc_lo
	v_lshlrev_b64 v[9:10], 2, v[13:14]
	v_cmp_gt_i32_e32 vcc_lo, 0, v8
	v_cndmask_b32_e64 v11, 0x7fffffff, 0, vcc_lo
	v_add_co_u32 v2, vcc_lo, v2, v9
	v_add_co_ci_u32_e64 v3, null, v3, v10, vcc_lo
	v_lshlrev_b64 v[9:10], 3, v[13:14]
	v_add_co_u32 v0, vcc_lo, v6, v0
	v_add_co_ci_u32_e64 v1, null, v7, v1, vcc_lo
	v_xor_b32_e32 v6, v11, v8
	v_add_co_u32 v0, vcc_lo, v0, v9
	v_add_co_ci_u32_e64 v1, null, v1, v10, vcc_lo
	flat_store_dword v[2:3], v6
	flat_store_dwordx2 v[0:1], v[4:5]
.LBB1325_371:
	s_or_b32 exec_lo, exec_lo, s4
.LBB1325_372:
	s_or_b32 exec_lo, exec_lo, s24
	s_clause 0xf
	buffer_load_dword v63, off, s[0:3], s32
	buffer_load_dword v62, off, s[0:3], s32 offset:4
	buffer_load_dword v61, off, s[0:3], s32 offset:8
	;; [unrolled: 1-line block ×15, first 2 shown]
	s_waitcnt vmcnt(0) lgkmcnt(0)
	s_setpc_b64 s[30:31]
.Lfunc_end1325:
	.size	_ZN7rocprim17ROCPRIM_400000_NS6detail40segmented_radix_sort_single_block_helperIflLj256ELj16ELb1EE4sortIPKfPfPKlPlEEbT_T0_T1_T2_jjjjRNS3_12storage_typeE, .Lfunc_end1325-_ZN7rocprim17ROCPRIM_400000_NS6detail40segmented_radix_sort_single_block_helperIflLj256ELj16ELb1EE4sortIPKfPfPKlPlEEbT_T0_T1_T2_jjjjRNS3_12storage_typeE
                                        ; -- End function
	.set .L_ZN7rocprim17ROCPRIM_400000_NS6detail40segmented_radix_sort_single_block_helperIflLj256ELj16ELb1EE4sortIPKfPfPKlPlEEbT_T0_T1_T2_jjjjRNS3_12storage_typeE.num_vgpr, 248
	.set .L_ZN7rocprim17ROCPRIM_400000_NS6detail40segmented_radix_sort_single_block_helperIflLj256ELj16ELb1EE4sortIPKfPfPKlPlEEbT_T0_T1_T2_jjjjRNS3_12storage_typeE.num_agpr, 0
	.set .L_ZN7rocprim17ROCPRIM_400000_NS6detail40segmented_radix_sort_single_block_helperIflLj256ELj16ELb1EE4sortIPKfPfPKlPlEEbT_T0_T1_T2_jjjjRNS3_12storage_typeE.numbered_sgpr, 33
	.set .L_ZN7rocprim17ROCPRIM_400000_NS6detail40segmented_radix_sort_single_block_helperIflLj256ELj16ELb1EE4sortIPKfPfPKlPlEEbT_T0_T1_T2_jjjjRNS3_12storage_typeE.num_named_barrier, 0
	.set .L_ZN7rocprim17ROCPRIM_400000_NS6detail40segmented_radix_sort_single_block_helperIflLj256ELj16ELb1EE4sortIPKfPfPKlPlEEbT_T0_T1_T2_jjjjRNS3_12storage_typeE.private_seg_size, 68
	.set .L_ZN7rocprim17ROCPRIM_400000_NS6detail40segmented_radix_sort_single_block_helperIflLj256ELj16ELb1EE4sortIPKfPfPKlPlEEbT_T0_T1_T2_jjjjRNS3_12storage_typeE.uses_vcc, 1
	.set .L_ZN7rocprim17ROCPRIM_400000_NS6detail40segmented_radix_sort_single_block_helperIflLj256ELj16ELb1EE4sortIPKfPfPKlPlEEbT_T0_T1_T2_jjjjRNS3_12storage_typeE.uses_flat_scratch, 0
	.set .L_ZN7rocprim17ROCPRIM_400000_NS6detail40segmented_radix_sort_single_block_helperIflLj256ELj16ELb1EE4sortIPKfPfPKlPlEEbT_T0_T1_T2_jjjjRNS3_12storage_typeE.has_dyn_sized_stack, 0
	.set .L_ZN7rocprim17ROCPRIM_400000_NS6detail40segmented_radix_sort_single_block_helperIflLj256ELj16ELb1EE4sortIPKfPfPKlPlEEbT_T0_T1_T2_jjjjRNS3_12storage_typeE.has_recursion, 0
	.set .L_ZN7rocprim17ROCPRIM_400000_NS6detail40segmented_radix_sort_single_block_helperIflLj256ELj16ELb1EE4sortIPKfPfPKlPlEEbT_T0_T1_T2_jjjjRNS3_12storage_typeE.has_indirect_call, 0
	.section	.AMDGPU.csdata,"",@progbits
; Function info:
; codeLenInByte = 29484
; TotalNumSgprs: 35
; NumVgprs: 248
; ScratchSize: 68
; MemoryBound: 1
	.section	.text._ZN7rocprim17ROCPRIM_400000_NS6detail17trampoline_kernelINS0_14default_configENS1_36segmented_radix_sort_config_selectorIflEEZNS1_25segmented_radix_sort_implIS3_Lb1EPKfPfPKlPlN2at6native12_GLOBAL__N_18offset_tEEE10hipError_tPvRmT1_PNSt15iterator_traitsISK_E10value_typeET2_T3_PNSL_ISQ_E10value_typeET4_jRbjT5_SW_jjP12ihipStream_tbEUlT_E_NS1_11comp_targetILNS1_3genE8ELNS1_11target_archE1030ELNS1_3gpuE2ELNS1_3repE0EEENS1_30default_config_static_selectorELNS0_4arch9wavefront6targetE0EEEvSK_,"axG",@progbits,_ZN7rocprim17ROCPRIM_400000_NS6detail17trampoline_kernelINS0_14default_configENS1_36segmented_radix_sort_config_selectorIflEEZNS1_25segmented_radix_sort_implIS3_Lb1EPKfPfPKlPlN2at6native12_GLOBAL__N_18offset_tEEE10hipError_tPvRmT1_PNSt15iterator_traitsISK_E10value_typeET2_T3_PNSL_ISQ_E10value_typeET4_jRbjT5_SW_jjP12ihipStream_tbEUlT_E_NS1_11comp_targetILNS1_3genE8ELNS1_11target_archE1030ELNS1_3gpuE2ELNS1_3repE0EEENS1_30default_config_static_selectorELNS0_4arch9wavefront6targetE0EEEvSK_,comdat
	.globl	_ZN7rocprim17ROCPRIM_400000_NS6detail17trampoline_kernelINS0_14default_configENS1_36segmented_radix_sort_config_selectorIflEEZNS1_25segmented_radix_sort_implIS3_Lb1EPKfPfPKlPlN2at6native12_GLOBAL__N_18offset_tEEE10hipError_tPvRmT1_PNSt15iterator_traitsISK_E10value_typeET2_T3_PNSL_ISQ_E10value_typeET4_jRbjT5_SW_jjP12ihipStream_tbEUlT_E_NS1_11comp_targetILNS1_3genE8ELNS1_11target_archE1030ELNS1_3gpuE2ELNS1_3repE0EEENS1_30default_config_static_selectorELNS0_4arch9wavefront6targetE0EEEvSK_ ; -- Begin function _ZN7rocprim17ROCPRIM_400000_NS6detail17trampoline_kernelINS0_14default_configENS1_36segmented_radix_sort_config_selectorIflEEZNS1_25segmented_radix_sort_implIS3_Lb1EPKfPfPKlPlN2at6native12_GLOBAL__N_18offset_tEEE10hipError_tPvRmT1_PNSt15iterator_traitsISK_E10value_typeET2_T3_PNSL_ISQ_E10value_typeET4_jRbjT5_SW_jjP12ihipStream_tbEUlT_E_NS1_11comp_targetILNS1_3genE8ELNS1_11target_archE1030ELNS1_3gpuE2ELNS1_3repE0EEENS1_30default_config_static_selectorELNS0_4arch9wavefront6targetE0EEEvSK_
	.p2align	8
	.type	_ZN7rocprim17ROCPRIM_400000_NS6detail17trampoline_kernelINS0_14default_configENS1_36segmented_radix_sort_config_selectorIflEEZNS1_25segmented_radix_sort_implIS3_Lb1EPKfPfPKlPlN2at6native12_GLOBAL__N_18offset_tEEE10hipError_tPvRmT1_PNSt15iterator_traitsISK_E10value_typeET2_T3_PNSL_ISQ_E10value_typeET4_jRbjT5_SW_jjP12ihipStream_tbEUlT_E_NS1_11comp_targetILNS1_3genE8ELNS1_11target_archE1030ELNS1_3gpuE2ELNS1_3repE0EEENS1_30default_config_static_selectorELNS0_4arch9wavefront6targetE0EEEvSK_,@function
_ZN7rocprim17ROCPRIM_400000_NS6detail17trampoline_kernelINS0_14default_configENS1_36segmented_radix_sort_config_selectorIflEEZNS1_25segmented_radix_sort_implIS3_Lb1EPKfPfPKlPlN2at6native12_GLOBAL__N_18offset_tEEE10hipError_tPvRmT1_PNSt15iterator_traitsISK_E10value_typeET2_T3_PNSL_ISQ_E10value_typeET4_jRbjT5_SW_jjP12ihipStream_tbEUlT_E_NS1_11comp_targetILNS1_3genE8ELNS1_11target_archE1030ELNS1_3gpuE2ELNS1_3repE0EEENS1_30default_config_static_selectorELNS0_4arch9wavefront6targetE0EEEvSK_: ; @_ZN7rocprim17ROCPRIM_400000_NS6detail17trampoline_kernelINS0_14default_configENS1_36segmented_radix_sort_config_selectorIflEEZNS1_25segmented_radix_sort_implIS3_Lb1EPKfPfPKlPlN2at6native12_GLOBAL__N_18offset_tEEE10hipError_tPvRmT1_PNSt15iterator_traitsISK_E10value_typeET2_T3_PNSL_ISQ_E10value_typeET4_jRbjT5_SW_jjP12ihipStream_tbEUlT_E_NS1_11comp_targetILNS1_3genE8ELNS1_11target_archE1030ELNS1_3gpuE2ELNS1_3repE0EEENS1_30default_config_static_selectorELNS0_4arch9wavefront6targetE0EEEvSK_
; %bb.0:
	s_load_dwordx2 s[12:13], s[4:5], 0x38
	s_mov_b32 s27, s7
	s_mov_b32 s7, 0
	s_add_u32 s0, s0, s8
	s_addc_u32 s1, s1, 0
	s_lshl_b64 s[14:15], s[6:7], 2
	s_load_dwordx4 s[8:11], s[4:5], 0x40
	s_mov_b32 s32, 0
	s_waitcnt lgkmcnt(0)
	s_add_u32 s12, s12, s14
	s_addc_u32 s13, s13, s15
	s_load_dword s7, s[12:13], 0x0
	s_waitcnt lgkmcnt(0)
	s_add_i32 s58, s7, s9
	s_add_i32 s59, s7, s11
	s_mul_i32 s58, s58, s8
	s_mul_i32 s59, s59, s10
	s_cmp_le_u32 s59, s58
	s_cbranch_scc1 .LBB1326_1190
; %bb.1:
	s_clause 0x3
	s_load_dword s7, s[4:5], 0x30
	s_load_dwordx4 s[48:51], s[4:5], 0x20
	s_load_dwordx4 s[52:55], s[4:5], 0x50
	s_load_dwordx8 s[40:47], s[4:5], 0x0
	s_waitcnt lgkmcnt(0)
	s_bitcmp1_b32 s7, 0
	s_mov_b32 s7, -1
	s_cselect_b32 s55, -1, 0
	s_sub_i32 s60, s59, s58
	s_cmpk_lt_u32 s60, 0x1001
	s_cbranch_scc0 .LBB1326_7
; %bb.2:
	v_cndmask_b32_e64 v3, 0, 1, s55
	s_and_b32 s7, s52, 1
	v_lshlrev_b32_e32 v41, 20, v2
	v_lshlrev_b32_e32 v42, 10, v1
	v_cmp_ne_u32_e32 vcc_lo, s7, v3
	s_mov_b32 s7, -1
	s_cbranch_vccnz .LBB1326_4
; %bb.3:
	s_mov_b64 s[10:11], src_shared_base
	v_or3_b32 v31, v0, v42, v41
	v_mov_b32_e32 v40, v0
	v_mov_b32_e32 v0, s40
	;; [unrolled: 1-line block ×17, first 2 shown]
	s_add_u32 s8, s4, 0x60
	s_addc_u32 s9, s5, 0
	s_getpc_b64 s[14:15]
	s_add_u32 s14, s14, _ZN7rocprim17ROCPRIM_400000_NS6detail40segmented_radix_sort_single_block_helperIflLj256ELj16ELb1EE4sortIPKfPfPKlPlEEbT_T0_T1_T2_jjjjRNS3_12storage_typeE@rel32@lo+4
	s_addc_u32 s15, s15, _ZN7rocprim17ROCPRIM_400000_NS6detail40segmented_radix_sort_single_block_helperIflLj256ELj16ELb1EE4sortIPKfPfPKlPlEEbT_T0_T1_T2_jjjjRNS3_12storage_typeE@rel32@hi+12
	s_mov_b32 s12, s6
	s_mov_b32 s13, s27
	s_mov_b32 s28, s6
	s_mov_b64 s[34:35], s[4:5]
	s_swappc_b64 s[30:31], s[14:15]
	v_mov_b32_e32 v1, v43
	v_mov_b32_e32 v2, v44
	;; [unrolled: 1-line block ×3, first 2 shown]
	s_mov_b64 s[4:5], s[34:35]
	s_mov_b32 s6, s28
	s_mov_b32 s7, 0
.LBB1326_4:
	s_andn2_b32 vcc_lo, exec_lo, s7
	s_cbranch_vccnz .LBB1326_6
; %bb.5:
	s_mov_b64 s[10:11], src_shared_base
	v_or3_b32 v31, v0, v42, v41
	v_mov_b32_e32 v40, v0
	v_mov_b32_e32 v0, s40
	v_mov_b32_e32 v41, v1
	v_mov_b32_e32 v1, s41
	v_mov_b32_e32 v42, v2
	v_mov_b32_e32 v2, s42
	v_mov_b32_e32 v3, s43
	v_mov_b32_e32 v4, s46
	v_mov_b32_e32 v5, s47
	v_mov_b32_e32 v6, s48
	v_mov_b32_e32 v7, s49
	v_mov_b32_e32 v8, s58
	v_mov_b32_e32 v9, s59
	v_mov_b32_e32 v10, s53
	v_mov_b32_e32 v11, s54
	v_mov_b32_e32 v12, 0
	v_mov_b32_e32 v13, s11
	s_add_u32 s8, s4, 0x60
	s_addc_u32 s9, s5, 0
	s_getpc_b64 s[14:15]
	s_add_u32 s14, s14, _ZN7rocprim17ROCPRIM_400000_NS6detail40segmented_radix_sort_single_block_helperIflLj256ELj16ELb1EE4sortIPKfPfPKlPlEEbT_T0_T1_T2_jjjjRNS3_12storage_typeE@rel32@lo+4
	s_addc_u32 s15, s15, _ZN7rocprim17ROCPRIM_400000_NS6detail40segmented_radix_sort_single_block_helperIflLj256ELj16ELb1EE4sortIPKfPfPKlPlEEbT_T0_T1_T2_jjjjRNS3_12storage_typeE@rel32@hi+12
	s_mov_b32 s12, s6
	s_mov_b32 s13, s27
	;; [unrolled: 1-line block ×3, first 2 shown]
	s_mov_b64 s[34:35], s[4:5]
	s_swappc_b64 s[30:31], s[14:15]
	v_mov_b32_e32 v1, v41
	v_mov_b32_e32 v2, v42
	;; [unrolled: 1-line block ×3, first 2 shown]
	s_mov_b64 s[4:5], s[34:35]
	s_mov_b32 s6, s28
.LBB1326_6:
	s_mov_b32 s7, 0
.LBB1326_7:
	s_andn2_b32 vcc_lo, exec_lo, s7
	s_cbranch_vccnz .LBB1326_1190
; %bb.8:
	s_cmp_ge_u32 s53, s54
	s_cbranch_scc1 .LBB1326_1190
; %bb.9:
	v_and_b32_e32 v5, 0xe0, v0
	v_and_b32_e32 v3, 3, v0
	v_lshlrev_b32_e32 v41, 2, v0
	v_lshrrev_b32_e32 v7, 3, v0
	s_add_u32 s56, s4, 0x60
	v_min_u32_e32 v6, 0x60, v5
	v_lshlrev_b32_e32 v59, 2, v3
	v_mad_u32_u24 v61, v0, 12, v41
	v_and_b32_e32 v60, 28, v7
	v_add_nc_u32_e32 v7, 1, v0
	v_or_b32_e32 v3, 31, v6
	v_lshlrev_b32_e32 v6, 4, v0
	v_add_nc_u32_e32 v65, v61, v41
	v_mbcnt_lo_u32_b32 v79, -1, 0
	v_mul_u32_u24_e32 v67, 36, v7
	v_cmp_eq_u32_e64 s8, v0, v3
	v_or_b32_e32 v3, 31, v5
	v_and_b32_e32 v5, 0xe00, v6
	v_sub_nc_u32_e32 v66, v65, v6
	v_cmp_ne_u32_e64 s13, 0x80, v7
	v_lshlrev_b32_e32 v102, 3, v79
	v_cmp_eq_u32_e64 s4, v0, v3
	v_lshlrev_b32_e32 v3, 3, v5
	v_lshlrev_b32_e32 v6, 2, v5
	;; [unrolled: 1-line block ×3, first 2 shown]
	v_or_b32_e32 v45, 0x200, v0
	v_or_b32_e32 v46, 0x300, v0
	v_add_co_u32 v7, s14, s50, v3
	v_add_co_ci_u32_e64 v8, null, s51, 0, s14
	v_add_co_u32 v9, s14, s44, v6
	v_add_co_ci_u32_e64 v10, null, s45, 0, s14
	;; [unrolled: 2-line block ×5, first 2 shown]
	v_add_co_u32 v75, s14, s40, v41
	v_or_b32_e32 v47, 0x400, v0
	v_or_b32_e32 v48, 0x500, v0
	;; [unrolled: 1-line block ×13, first 2 shown]
	v_add_co_ci_u32_e64 v76, null, s41, 0, s14
	v_add_co_u32 v77, s14, s46, v3
	v_add_co_u32 v106, vcc_lo, v7, v102
	v_add_co_u32 v43, s7, s44, v41
	v_add_co_ci_u32_e64 v78, null, s47, 0, s14
	v_add_co_u32 v80, s14, s40, v6
	v_add_co_ci_u32_e64 v107, null, 0, v8, vcc_lo
	v_add_co_u32 v124, vcc_lo, v9, v120
	v_mov_b32_e32 v4, 0
	v_or_b32_e32 v42, 0x100, v0
	v_add_co_ci_u32_e64 v44, null, s45, 0, s7
	v_cmp_gt_u32_e64 s7, 0x80, v0
	v_or_b32_e32 v62, 0x8200, v60
	v_cmp_gt_u32_e64 s9, 4, v0
	v_add_nc_u32_e32 v63, 0x8200, v41
	v_cmp_lt_u32_e64 s10, 31, v0
	v_add_nc_u32_e32 v64, 0x81fc, v60
	v_cmp_gt_u32_e64 s11, 8, v0
	v_cmp_eq_u32_e64 s12, 0, v0
	v_lshl_add_u32 v68, v0, 5, v66
	v_add_co_ci_u32_e64 v81, null, s41, 0, s14
	v_mov_b32_e32 v82, 1
	v_and_b32_e32 v83, 15, v79
	v_bfe_i32 v84, v79, 4, 1
	v_and_b32_e32 v85, 16, v79
	v_lshlrev_b32_e32 v86, 2, v0
	v_lshlrev_b32_e32 v87, 2, v45
	;; [unrolled: 1-line block ×15, first 2 shown]
	v_and_b32_e32 v101, 3, v79
	v_sub_co_u32 v103, s14, v79, 1
	v_and_b32_e32 v104, 7, v79
	v_or_b32_e32 v108, 32, v105
	v_or_b32_e32 v109, 64, v105
	v_or_b32_e32 v110, 0x60, v105
	v_or_b32_e32 v111, 0x80, v105
	v_or_b32_e32 v112, 0xa0, v105
	v_or_b32_e32 v113, 0xc0, v105
	v_or_b32_e32 v114, 0xe0, v105
	v_or_b32_e32 v115, 0x100, v105
	v_or_b32_e32 v116, 0x120, v105
	v_or_b32_e32 v117, 0x140, v105
	v_or_b32_e32 v118, 0x160, v105
	v_or_b32_e32 v119, 0x180, v105
	v_or_b32_e32 v121, 0x1a0, v105
	v_or_b32_e32 v122, 0x1c0, v105
	v_or_b32_e32 v123, 0x1e0, v105
	v_add_co_ci_u32_e64 v125, null, 0, v10, vcc_lo
	s_addc_u32 s57, s5, 0
	s_mov_b32 s47, 0
	s_mov_b32 s52, s53
	s_branch .LBB1326_12
.LBB1326_10:                            ;   in Loop: Header=BB1326_12 Depth=1
	s_waitcnt lgkmcnt(0)
	s_barrier
.LBB1326_11:                            ;   in Loop: Header=BB1326_12 Depth=1
	s_add_i32 s52, s52, 7
	buffer_gl0_inv
	s_cmp_ge_u32 s52, s54
	s_cbranch_scc1 .LBB1326_1190
.LBB1326_12:                            ; =>This Loop Header: Depth=1
                                        ;     Child Loop BB1326_16 Depth 2
                                        ;     Child Loop BB1326_96 Depth 2
	;; [unrolled: 1-line block ×8, first 2 shown]
	s_sub_i32 s5, s54, s52
	s_xor_b32 s55, s55, -1
	s_min_u32 s5, s5, 7
	ds_write2st64_b32 v41, v4, v4 offset1:4
	s_lshl_b32 s5, -1, s5
	s_waitcnt lgkmcnt(0)
	s_waitcnt_vscnt null, 0x0
	s_not_b32 s61, s5
	s_cmp_lg_u32 s52, s53
	s_mov_b32 s5, -1
	s_cbranch_scc0 .LBB1326_602
; %bb.13:                               ;   in Loop: Header=BB1326_12 Depth=1
	s_and_b32 vcc_lo, exec_lo, s55
	s_cbranch_vccz .LBB1326_307
; %bb.14:                               ;   in Loop: Header=BB1326_12 Depth=1
	s_mov_b32 s5, s60
	s_mov_b32 s46, s58
	s_barrier
	buffer_gl0_inv
                                        ; implicit-def: $vgpr3
                                        ; implicit-def: $vgpr5
                                        ; implicit-def: $vgpr6
                                        ; implicit-def: $vgpr7
                                        ; implicit-def: $vgpr8
                                        ; implicit-def: $vgpr9
                                        ; implicit-def: $vgpr10
                                        ; implicit-def: $vgpr11
                                        ; implicit-def: $vgpr12
                                        ; implicit-def: $vgpr13
                                        ; implicit-def: $vgpr14
                                        ; implicit-def: $vgpr15
                                        ; implicit-def: $vgpr16
                                        ; implicit-def: $vgpr17
                                        ; implicit-def: $vgpr18
                                        ; implicit-def: $vgpr19
	s_branch .LBB1326_16
.LBB1326_15:                            ;   in Loop: Header=BB1326_16 Depth=2
	s_or_b32 exec_lo, exec_lo, s16
	s_addk_i32 s5, 0xf000
	s_cmp_ge_u32 s15, s59
	s_mov_b32 s46, s15
	s_cbranch_scc1 .LBB1326_84
.LBB1326_16:                            ;   Parent Loop BB1326_12 Depth=1
                                        ; =>  This Inner Loop Header: Depth=2
	s_add_i32 s15, s46, 0x1000
	s_mov_b32 s16, -1
	s_cmp_gt_u32 s15, s59
                                        ; implicit-def: $vgpr20
                                        ; implicit-def: $vgpr21
                                        ; implicit-def: $vgpr24
                                        ; implicit-def: $vgpr22
                                        ; implicit-def: $vgpr26
                                        ; implicit-def: $vgpr23
                                        ; implicit-def: $vgpr28
                                        ; implicit-def: $vgpr25
                                        ; implicit-def: $vgpr30
                                        ; implicit-def: $vgpr27
                                        ; implicit-def: $vgpr31
                                        ; implicit-def: $vgpr29
                                        ; implicit-def: $vgpr33
                                        ; implicit-def: $vgpr32
                                        ; implicit-def: $vgpr34
                                        ; implicit-def: $vgpr35
	s_cbranch_scc1 .LBB1326_18
; %bb.17:                               ;   in Loop: Header=BB1326_16 Depth=2
	s_lshl_b64 s[16:17], s[46:47], 2
	v_add_co_u32 v30, vcc_lo, v43, s16
	v_add_co_ci_u32_e64 v31, null, s17, v44, vcc_lo
	s_mov_b32 s16, 0
	v_add_co_u32 v22, vcc_lo, 0x800, v30
	v_add_co_ci_u32_e64 v23, null, 0, v31, vcc_lo
	v_add_co_u32 v33, vcc_lo, v30, 0x1000
	v_add_co_ci_u32_e64 v34, null, 0, v31, vcc_lo
	;; [unrolled: 2-line block ×9, first 2 shown]
	s_clause 0x7
	global_load_dword v20, v[30:31], off
	global_load_dword v21, v[30:31], off offset:1024
	global_load_dword v22, v[22:23], off offset:1024
	global_load_dword v23, v[24:25], off offset:1024
	global_load_dword v25, v[26:27], off offset:1024
	global_load_dword v27, v[28:29], off offset:1024
	global_load_dword v29, v[37:38], off offset:1024
	global_load_dword v32, v[126:127], off offset:1024
	v_add_co_u32 v37, vcc_lo, 0x3800, v30
	v_add_co_ci_u32_e64 v38, null, 0, v31, vcc_lo
	s_clause 0x7
	global_load_dword v24, v[33:34], off offset:-2048
	global_load_dword v26, v[33:34], off
	global_load_dword v28, v[35:36], off offset:-2048
	global_load_dword v30, v[35:36], off
	;; [unrolled: 2-line block ×3, first 2 shown]
	global_load_dword v34, v[37:38], off
	global_load_dword v35, v[37:38], off offset:1024
.LBB1326_18:                            ;   in Loop: Header=BB1326_16 Depth=2
	s_andn2_b32 vcc_lo, exec_lo, s16
	s_movk_i32 s16, 0x1000
	s_cbranch_vccnz .LBB1326_37
; %bb.19:                               ;   in Loop: Header=BB1326_16 Depth=2
	s_lshl_b64 s[16:17], s[46:47], 2
	s_mov_b32 s18, exec_lo
	s_add_u32 s16, s44, s16
	s_addc_u32 s17, s45, s17
	v_cmpx_gt_u32_e64 s5, v0
	s_cbranch_execnz .LBB1326_69
; %bb.20:                               ;   in Loop: Header=BB1326_16 Depth=2
	s_or_b32 exec_lo, exec_lo, s18
	s_mov_b32 s18, exec_lo
	v_cmpx_gt_u32_e64 s5, v42
	s_cbranch_execnz .LBB1326_70
.LBB1326_21:                            ;   in Loop: Header=BB1326_16 Depth=2
	s_or_b32 exec_lo, exec_lo, s18
	s_mov_b32 s18, exec_lo
	v_cmpx_gt_u32_e64 s5, v45
	s_cbranch_execnz .LBB1326_71
.LBB1326_22:                            ;   in Loop: Header=BB1326_16 Depth=2
	s_or_b32 exec_lo, exec_lo, s18
	s_mov_b32 s18, exec_lo
	v_cmpx_gt_u32_e64 s5, v46
	s_cbranch_execnz .LBB1326_72
.LBB1326_23:                            ;   in Loop: Header=BB1326_16 Depth=2
	s_or_b32 exec_lo, exec_lo, s18
	s_mov_b32 s18, exec_lo
	v_cmpx_gt_u32_e64 s5, v47
	s_cbranch_execnz .LBB1326_73
.LBB1326_24:                            ;   in Loop: Header=BB1326_16 Depth=2
	s_or_b32 exec_lo, exec_lo, s18
	s_mov_b32 s18, exec_lo
	v_cmpx_gt_u32_e64 s5, v48
	s_cbranch_execnz .LBB1326_74
.LBB1326_25:                            ;   in Loop: Header=BB1326_16 Depth=2
	s_or_b32 exec_lo, exec_lo, s18
	s_mov_b32 s18, exec_lo
	v_cmpx_gt_u32_e64 s5, v49
	s_cbranch_execnz .LBB1326_75
.LBB1326_26:                            ;   in Loop: Header=BB1326_16 Depth=2
	s_or_b32 exec_lo, exec_lo, s18
	s_mov_b32 s18, exec_lo
	v_cmpx_gt_u32_e64 s5, v50
	s_cbranch_execnz .LBB1326_76
.LBB1326_27:                            ;   in Loop: Header=BB1326_16 Depth=2
	s_or_b32 exec_lo, exec_lo, s18
	s_mov_b32 s18, exec_lo
	v_cmpx_gt_u32_e64 s5, v51
	s_cbranch_execnz .LBB1326_77
.LBB1326_28:                            ;   in Loop: Header=BB1326_16 Depth=2
	s_or_b32 exec_lo, exec_lo, s18
	s_mov_b32 s18, exec_lo
	v_cmpx_gt_u32_e64 s5, v52
	s_cbranch_execnz .LBB1326_78
.LBB1326_29:                            ;   in Loop: Header=BB1326_16 Depth=2
	s_or_b32 exec_lo, exec_lo, s18
	s_mov_b32 s18, exec_lo
	v_cmpx_gt_u32_e64 s5, v53
	s_cbranch_execnz .LBB1326_79
.LBB1326_30:                            ;   in Loop: Header=BB1326_16 Depth=2
	s_or_b32 exec_lo, exec_lo, s18
	s_mov_b32 s18, exec_lo
	v_cmpx_gt_u32_e64 s5, v54
	s_cbranch_execnz .LBB1326_80
.LBB1326_31:                            ;   in Loop: Header=BB1326_16 Depth=2
	s_or_b32 exec_lo, exec_lo, s18
	s_mov_b32 s18, exec_lo
	v_cmpx_gt_u32_e64 s5, v55
	s_cbranch_execnz .LBB1326_81
.LBB1326_32:                            ;   in Loop: Header=BB1326_16 Depth=2
	s_or_b32 exec_lo, exec_lo, s18
	s_mov_b32 s18, exec_lo
	v_cmpx_gt_u32_e64 s5, v56
	s_cbranch_execnz .LBB1326_82
.LBB1326_33:                            ;   in Loop: Header=BB1326_16 Depth=2
	s_or_b32 exec_lo, exec_lo, s18
	s_mov_b32 s18, exec_lo
	v_cmpx_gt_u32_e64 s5, v57
	s_cbranch_execnz .LBB1326_83
.LBB1326_34:                            ;   in Loop: Header=BB1326_16 Depth=2
	s_or_b32 exec_lo, exec_lo, s18
	s_mov_b32 s18, exec_lo
	v_cmpx_gt_u32_e64 s5, v58
	s_cbranch_execz .LBB1326_36
.LBB1326_35:                            ;   in Loop: Header=BB1326_16 Depth=2
	global_load_dword v3, v100, s[16:17]
.LBB1326_36:                            ;   in Loop: Header=BB1326_16 Depth=2
	s_or_b32 exec_lo, exec_lo, s18
	s_waitcnt vmcnt(0)
	v_mov_b32_e32 v20, v19
	v_mov_b32_e32 v21, v18
	;; [unrolled: 1-line block ×16, first 2 shown]
	s_mov_b32 s16, s5
.LBB1326_37:                            ;   in Loop: Header=BB1326_16 Depth=2
	s_waitcnt vmcnt(0)
	v_mov_b32_e32 v3, v35
	v_mov_b32_e32 v5, v34
	;; [unrolled: 1-line block ×16, first 2 shown]
	s_mov_b32 s17, exec_lo
	v_cmpx_gt_u32_e64 s16, v0
	s_cbranch_execnz .LBB1326_53
; %bb.38:                               ;   in Loop: Header=BB1326_16 Depth=2
	s_or_b32 exec_lo, exec_lo, s17
	s_mov_b32 s17, exec_lo
	v_cmpx_gt_u32_e64 s16, v42
	s_cbranch_execnz .LBB1326_54
.LBB1326_39:                            ;   in Loop: Header=BB1326_16 Depth=2
	s_or_b32 exec_lo, exec_lo, s17
	s_mov_b32 s17, exec_lo
	v_cmpx_gt_u32_e64 s16, v45
	s_cbranch_execnz .LBB1326_55
.LBB1326_40:                            ;   in Loop: Header=BB1326_16 Depth=2
	s_or_b32 exec_lo, exec_lo, s17
	s_mov_b32 s17, exec_lo
	v_cmpx_gt_u32_e64 s16, v46
	s_cbranch_execnz .LBB1326_56
.LBB1326_41:                            ;   in Loop: Header=BB1326_16 Depth=2
	s_or_b32 exec_lo, exec_lo, s17
	s_mov_b32 s17, exec_lo
	v_cmpx_gt_u32_e64 s16, v47
	s_cbranch_execnz .LBB1326_57
.LBB1326_42:                            ;   in Loop: Header=BB1326_16 Depth=2
	s_or_b32 exec_lo, exec_lo, s17
	s_mov_b32 s17, exec_lo
	v_cmpx_gt_u32_e64 s16, v48
	s_cbranch_execnz .LBB1326_58
.LBB1326_43:                            ;   in Loop: Header=BB1326_16 Depth=2
	s_or_b32 exec_lo, exec_lo, s17
	s_mov_b32 s17, exec_lo
	v_cmpx_gt_u32_e64 s16, v49
	s_cbranch_execnz .LBB1326_59
.LBB1326_44:                            ;   in Loop: Header=BB1326_16 Depth=2
	s_or_b32 exec_lo, exec_lo, s17
	s_mov_b32 s17, exec_lo
	v_cmpx_gt_u32_e64 s16, v50
	s_cbranch_execnz .LBB1326_60
.LBB1326_45:                            ;   in Loop: Header=BB1326_16 Depth=2
	s_or_b32 exec_lo, exec_lo, s17
	s_mov_b32 s17, exec_lo
	v_cmpx_gt_u32_e64 s16, v51
	s_cbranch_execnz .LBB1326_61
.LBB1326_46:                            ;   in Loop: Header=BB1326_16 Depth=2
	s_or_b32 exec_lo, exec_lo, s17
	s_mov_b32 s17, exec_lo
	v_cmpx_gt_u32_e64 s16, v52
	s_cbranch_execnz .LBB1326_62
.LBB1326_47:                            ;   in Loop: Header=BB1326_16 Depth=2
	s_or_b32 exec_lo, exec_lo, s17
	s_mov_b32 s17, exec_lo
	v_cmpx_gt_u32_e64 s16, v53
	s_cbranch_execnz .LBB1326_63
.LBB1326_48:                            ;   in Loop: Header=BB1326_16 Depth=2
	s_or_b32 exec_lo, exec_lo, s17
	s_mov_b32 s17, exec_lo
	v_cmpx_gt_u32_e64 s16, v54
	s_cbranch_execnz .LBB1326_64
.LBB1326_49:                            ;   in Loop: Header=BB1326_16 Depth=2
	s_or_b32 exec_lo, exec_lo, s17
	s_mov_b32 s17, exec_lo
	v_cmpx_gt_u32_e64 s16, v55
	s_cbranch_execnz .LBB1326_65
.LBB1326_50:                            ;   in Loop: Header=BB1326_16 Depth=2
	s_or_b32 exec_lo, exec_lo, s17
	s_mov_b32 s17, exec_lo
	v_cmpx_gt_u32_e64 s16, v56
	s_cbranch_execnz .LBB1326_66
.LBB1326_51:                            ;   in Loop: Header=BB1326_16 Depth=2
	s_or_b32 exec_lo, exec_lo, s17
	s_mov_b32 s17, exec_lo
	v_cmpx_gt_u32_e64 s16, v57
	s_cbranch_execnz .LBB1326_67
.LBB1326_52:                            ;   in Loop: Header=BB1326_16 Depth=2
	s_or_b32 exec_lo, exec_lo, s17
	v_cmp_gt_u32_e32 vcc_lo, s16, v58
	s_and_saveexec_b32 s16, vcc_lo
	s_cbranch_execz .LBB1326_15
	s_branch .LBB1326_68
.LBB1326_53:                            ;   in Loop: Header=BB1326_16 Depth=2
	v_cmp_gt_i32_e32 vcc_lo, 0, v19
	v_cndmask_b32_e64 v20, 0x7fffffff, 0, vcc_lo
	v_xor_b32_e32 v20, v20, v19
	v_cmp_ne_u32_e32 vcc_lo, 0x80000000, v20
	v_cndmask_b32_e32 v20, 0x7fffffff, v20, vcc_lo
	v_lshrrev_b32_e32 v20, s52, v20
	v_and_b32_e32 v20, s61, v20
	v_lshl_or_b32 v20, v20, 4, v59
	ds_add_u32 v20, v82
	s_or_b32 exec_lo, exec_lo, s17
	s_mov_b32 s17, exec_lo
	v_cmpx_gt_u32_e64 s16, v42
	s_cbranch_execz .LBB1326_39
.LBB1326_54:                            ;   in Loop: Header=BB1326_16 Depth=2
	v_cmp_gt_i32_e32 vcc_lo, 0, v18
	v_cndmask_b32_e64 v20, 0x7fffffff, 0, vcc_lo
	v_xor_b32_e32 v20, v20, v18
	v_cmp_ne_u32_e32 vcc_lo, 0x80000000, v20
	v_cndmask_b32_e32 v20, 0x7fffffff, v20, vcc_lo
	v_lshrrev_b32_e32 v20, s52, v20
	v_and_b32_e32 v20, s61, v20
	v_lshl_or_b32 v20, v20, 4, v59
	ds_add_u32 v20, v82
	s_or_b32 exec_lo, exec_lo, s17
	s_mov_b32 s17, exec_lo
	v_cmpx_gt_u32_e64 s16, v45
	s_cbranch_execz .LBB1326_40
.LBB1326_55:                            ;   in Loop: Header=BB1326_16 Depth=2
	v_cmp_gt_i32_e32 vcc_lo, 0, v17
	v_cndmask_b32_e64 v20, 0x7fffffff, 0, vcc_lo
	v_xor_b32_e32 v20, v20, v17
	v_cmp_ne_u32_e32 vcc_lo, 0x80000000, v20
	v_cndmask_b32_e32 v20, 0x7fffffff, v20, vcc_lo
	v_lshrrev_b32_e32 v20, s52, v20
	v_and_b32_e32 v20, s61, v20
	v_lshl_or_b32 v20, v20, 4, v59
	ds_add_u32 v20, v82
	s_or_b32 exec_lo, exec_lo, s17
	s_mov_b32 s17, exec_lo
	v_cmpx_gt_u32_e64 s16, v46
	s_cbranch_execz .LBB1326_41
.LBB1326_56:                            ;   in Loop: Header=BB1326_16 Depth=2
	v_cmp_gt_i32_e32 vcc_lo, 0, v16
	v_cndmask_b32_e64 v20, 0x7fffffff, 0, vcc_lo
	v_xor_b32_e32 v20, v20, v16
	v_cmp_ne_u32_e32 vcc_lo, 0x80000000, v20
	v_cndmask_b32_e32 v20, 0x7fffffff, v20, vcc_lo
	v_lshrrev_b32_e32 v20, s52, v20
	v_and_b32_e32 v20, s61, v20
	v_lshl_or_b32 v20, v20, 4, v59
	ds_add_u32 v20, v82
	s_or_b32 exec_lo, exec_lo, s17
	s_mov_b32 s17, exec_lo
	v_cmpx_gt_u32_e64 s16, v47
	s_cbranch_execz .LBB1326_42
.LBB1326_57:                            ;   in Loop: Header=BB1326_16 Depth=2
	v_cmp_gt_i32_e32 vcc_lo, 0, v15
	v_cndmask_b32_e64 v20, 0x7fffffff, 0, vcc_lo
	v_xor_b32_e32 v20, v20, v15
	v_cmp_ne_u32_e32 vcc_lo, 0x80000000, v20
	v_cndmask_b32_e32 v20, 0x7fffffff, v20, vcc_lo
	v_lshrrev_b32_e32 v20, s52, v20
	v_and_b32_e32 v20, s61, v20
	v_lshl_or_b32 v20, v20, 4, v59
	ds_add_u32 v20, v82
	s_or_b32 exec_lo, exec_lo, s17
	s_mov_b32 s17, exec_lo
	v_cmpx_gt_u32_e64 s16, v48
	s_cbranch_execz .LBB1326_43
.LBB1326_58:                            ;   in Loop: Header=BB1326_16 Depth=2
	v_cmp_gt_i32_e32 vcc_lo, 0, v14
	v_cndmask_b32_e64 v20, 0x7fffffff, 0, vcc_lo
	v_xor_b32_e32 v20, v20, v14
	v_cmp_ne_u32_e32 vcc_lo, 0x80000000, v20
	v_cndmask_b32_e32 v20, 0x7fffffff, v20, vcc_lo
	v_lshrrev_b32_e32 v20, s52, v20
	v_and_b32_e32 v20, s61, v20
	v_lshl_or_b32 v20, v20, 4, v59
	ds_add_u32 v20, v82
	s_or_b32 exec_lo, exec_lo, s17
	s_mov_b32 s17, exec_lo
	v_cmpx_gt_u32_e64 s16, v49
	s_cbranch_execz .LBB1326_44
.LBB1326_59:                            ;   in Loop: Header=BB1326_16 Depth=2
	v_cmp_gt_i32_e32 vcc_lo, 0, v13
	v_cndmask_b32_e64 v20, 0x7fffffff, 0, vcc_lo
	v_xor_b32_e32 v20, v20, v13
	v_cmp_ne_u32_e32 vcc_lo, 0x80000000, v20
	v_cndmask_b32_e32 v20, 0x7fffffff, v20, vcc_lo
	v_lshrrev_b32_e32 v20, s52, v20
	v_and_b32_e32 v20, s61, v20
	v_lshl_or_b32 v20, v20, 4, v59
	ds_add_u32 v20, v82
	s_or_b32 exec_lo, exec_lo, s17
	s_mov_b32 s17, exec_lo
	v_cmpx_gt_u32_e64 s16, v50
	s_cbranch_execz .LBB1326_45
.LBB1326_60:                            ;   in Loop: Header=BB1326_16 Depth=2
	v_cmp_gt_i32_e32 vcc_lo, 0, v12
	v_cndmask_b32_e64 v20, 0x7fffffff, 0, vcc_lo
	v_xor_b32_e32 v20, v20, v12
	v_cmp_ne_u32_e32 vcc_lo, 0x80000000, v20
	v_cndmask_b32_e32 v20, 0x7fffffff, v20, vcc_lo
	v_lshrrev_b32_e32 v20, s52, v20
	v_and_b32_e32 v20, s61, v20
	v_lshl_or_b32 v20, v20, 4, v59
	ds_add_u32 v20, v82
	s_or_b32 exec_lo, exec_lo, s17
	s_mov_b32 s17, exec_lo
	v_cmpx_gt_u32_e64 s16, v51
	s_cbranch_execz .LBB1326_46
.LBB1326_61:                            ;   in Loop: Header=BB1326_16 Depth=2
	v_cmp_gt_i32_e32 vcc_lo, 0, v11
	v_cndmask_b32_e64 v20, 0x7fffffff, 0, vcc_lo
	v_xor_b32_e32 v20, v20, v11
	v_cmp_ne_u32_e32 vcc_lo, 0x80000000, v20
	v_cndmask_b32_e32 v20, 0x7fffffff, v20, vcc_lo
	v_lshrrev_b32_e32 v20, s52, v20
	v_and_b32_e32 v20, s61, v20
	v_lshl_or_b32 v20, v20, 4, v59
	ds_add_u32 v20, v82
	s_or_b32 exec_lo, exec_lo, s17
	s_mov_b32 s17, exec_lo
	v_cmpx_gt_u32_e64 s16, v52
	s_cbranch_execz .LBB1326_47
.LBB1326_62:                            ;   in Loop: Header=BB1326_16 Depth=2
	v_cmp_gt_i32_e32 vcc_lo, 0, v10
	v_cndmask_b32_e64 v20, 0x7fffffff, 0, vcc_lo
	v_xor_b32_e32 v20, v20, v10
	v_cmp_ne_u32_e32 vcc_lo, 0x80000000, v20
	v_cndmask_b32_e32 v20, 0x7fffffff, v20, vcc_lo
	v_lshrrev_b32_e32 v20, s52, v20
	v_and_b32_e32 v20, s61, v20
	v_lshl_or_b32 v20, v20, 4, v59
	ds_add_u32 v20, v82
	s_or_b32 exec_lo, exec_lo, s17
	s_mov_b32 s17, exec_lo
	v_cmpx_gt_u32_e64 s16, v53
	s_cbranch_execz .LBB1326_48
.LBB1326_63:                            ;   in Loop: Header=BB1326_16 Depth=2
	v_cmp_gt_i32_e32 vcc_lo, 0, v9
	v_cndmask_b32_e64 v20, 0x7fffffff, 0, vcc_lo
	v_xor_b32_e32 v20, v20, v9
	v_cmp_ne_u32_e32 vcc_lo, 0x80000000, v20
	v_cndmask_b32_e32 v20, 0x7fffffff, v20, vcc_lo
	v_lshrrev_b32_e32 v20, s52, v20
	v_and_b32_e32 v20, s61, v20
	v_lshl_or_b32 v20, v20, 4, v59
	ds_add_u32 v20, v82
	s_or_b32 exec_lo, exec_lo, s17
	s_mov_b32 s17, exec_lo
	v_cmpx_gt_u32_e64 s16, v54
	s_cbranch_execz .LBB1326_49
.LBB1326_64:                            ;   in Loop: Header=BB1326_16 Depth=2
	v_cmp_gt_i32_e32 vcc_lo, 0, v8
	v_cndmask_b32_e64 v20, 0x7fffffff, 0, vcc_lo
	v_xor_b32_e32 v20, v20, v8
	v_cmp_ne_u32_e32 vcc_lo, 0x80000000, v20
	v_cndmask_b32_e32 v20, 0x7fffffff, v20, vcc_lo
	v_lshrrev_b32_e32 v20, s52, v20
	v_and_b32_e32 v20, s61, v20
	v_lshl_or_b32 v20, v20, 4, v59
	ds_add_u32 v20, v82
	s_or_b32 exec_lo, exec_lo, s17
	s_mov_b32 s17, exec_lo
	v_cmpx_gt_u32_e64 s16, v55
	s_cbranch_execz .LBB1326_50
.LBB1326_65:                            ;   in Loop: Header=BB1326_16 Depth=2
	v_cmp_gt_i32_e32 vcc_lo, 0, v7
	v_cndmask_b32_e64 v20, 0x7fffffff, 0, vcc_lo
	v_xor_b32_e32 v20, v20, v7
	v_cmp_ne_u32_e32 vcc_lo, 0x80000000, v20
	v_cndmask_b32_e32 v20, 0x7fffffff, v20, vcc_lo
	v_lshrrev_b32_e32 v20, s52, v20
	v_and_b32_e32 v20, s61, v20
	v_lshl_or_b32 v20, v20, 4, v59
	ds_add_u32 v20, v82
	s_or_b32 exec_lo, exec_lo, s17
	s_mov_b32 s17, exec_lo
	v_cmpx_gt_u32_e64 s16, v56
	s_cbranch_execz .LBB1326_51
.LBB1326_66:                            ;   in Loop: Header=BB1326_16 Depth=2
	v_cmp_gt_i32_e32 vcc_lo, 0, v6
	v_cndmask_b32_e64 v20, 0x7fffffff, 0, vcc_lo
	v_xor_b32_e32 v20, v20, v6
	v_cmp_ne_u32_e32 vcc_lo, 0x80000000, v20
	v_cndmask_b32_e32 v20, 0x7fffffff, v20, vcc_lo
	v_lshrrev_b32_e32 v20, s52, v20
	v_and_b32_e32 v20, s61, v20
	v_lshl_or_b32 v20, v20, 4, v59
	ds_add_u32 v20, v82
	s_or_b32 exec_lo, exec_lo, s17
	s_mov_b32 s17, exec_lo
	v_cmpx_gt_u32_e64 s16, v57
	s_cbranch_execz .LBB1326_52
.LBB1326_67:                            ;   in Loop: Header=BB1326_16 Depth=2
	v_cmp_gt_i32_e32 vcc_lo, 0, v5
	v_cndmask_b32_e64 v20, 0x7fffffff, 0, vcc_lo
	v_xor_b32_e32 v20, v20, v5
	v_cmp_ne_u32_e32 vcc_lo, 0x80000000, v20
	v_cndmask_b32_e32 v20, 0x7fffffff, v20, vcc_lo
	v_lshrrev_b32_e32 v20, s52, v20
	v_and_b32_e32 v20, s61, v20
	v_lshl_or_b32 v20, v20, 4, v59
	ds_add_u32 v20, v82
	s_or_b32 exec_lo, exec_lo, s17
	v_cmp_gt_u32_e32 vcc_lo, s16, v58
	s_and_saveexec_b32 s16, vcc_lo
	s_cbranch_execz .LBB1326_15
.LBB1326_68:                            ;   in Loop: Header=BB1326_16 Depth=2
	v_cmp_gt_i32_e32 vcc_lo, 0, v3
	v_cndmask_b32_e64 v20, 0x7fffffff, 0, vcc_lo
	v_xor_b32_e32 v20, v20, v3
	v_cmp_ne_u32_e32 vcc_lo, 0x80000000, v20
	v_cndmask_b32_e32 v20, 0x7fffffff, v20, vcc_lo
	v_lshrrev_b32_e32 v20, s52, v20
	v_and_b32_e32 v20, s61, v20
	v_lshl_or_b32 v20, v20, 4, v59
	ds_add_u32 v20, v82
	s_branch .LBB1326_15
.LBB1326_69:                            ;   in Loop: Header=BB1326_16 Depth=2
	global_load_dword v19, v86, s[16:17]
	s_or_b32 exec_lo, exec_lo, s18
	s_mov_b32 s18, exec_lo
	v_cmpx_gt_u32_e64 s5, v42
	s_cbranch_execz .LBB1326_21
.LBB1326_70:                            ;   in Loop: Header=BB1326_16 Depth=2
	global_load_dword v18, v86, s[16:17] offset:1024
	s_or_b32 exec_lo, exec_lo, s18
	s_mov_b32 s18, exec_lo
	v_cmpx_gt_u32_e64 s5, v45
	s_cbranch_execz .LBB1326_22
.LBB1326_71:                            ;   in Loop: Header=BB1326_16 Depth=2
	global_load_dword v17, v87, s[16:17]
	s_or_b32 exec_lo, exec_lo, s18
	s_mov_b32 s18, exec_lo
	v_cmpx_gt_u32_e64 s5, v46
	s_cbranch_execz .LBB1326_23
.LBB1326_72:                            ;   in Loop: Header=BB1326_16 Depth=2
	global_load_dword v16, v88, s[16:17]
	s_or_b32 exec_lo, exec_lo, s18
	s_mov_b32 s18, exec_lo
	v_cmpx_gt_u32_e64 s5, v47
	s_cbranch_execz .LBB1326_24
.LBB1326_73:                            ;   in Loop: Header=BB1326_16 Depth=2
	global_load_dword v15, v89, s[16:17]
	s_or_b32 exec_lo, exec_lo, s18
	s_mov_b32 s18, exec_lo
	v_cmpx_gt_u32_e64 s5, v48
	s_cbranch_execz .LBB1326_25
.LBB1326_74:                            ;   in Loop: Header=BB1326_16 Depth=2
	global_load_dword v14, v90, s[16:17]
	s_or_b32 exec_lo, exec_lo, s18
	s_mov_b32 s18, exec_lo
	v_cmpx_gt_u32_e64 s5, v49
	s_cbranch_execz .LBB1326_26
.LBB1326_75:                            ;   in Loop: Header=BB1326_16 Depth=2
	global_load_dword v13, v91, s[16:17]
	s_or_b32 exec_lo, exec_lo, s18
	s_mov_b32 s18, exec_lo
	v_cmpx_gt_u32_e64 s5, v50
	s_cbranch_execz .LBB1326_27
.LBB1326_76:                            ;   in Loop: Header=BB1326_16 Depth=2
	global_load_dword v12, v92, s[16:17]
	s_or_b32 exec_lo, exec_lo, s18
	s_mov_b32 s18, exec_lo
	v_cmpx_gt_u32_e64 s5, v51
	s_cbranch_execz .LBB1326_28
.LBB1326_77:                            ;   in Loop: Header=BB1326_16 Depth=2
	global_load_dword v11, v93, s[16:17]
	s_or_b32 exec_lo, exec_lo, s18
	s_mov_b32 s18, exec_lo
	v_cmpx_gt_u32_e64 s5, v52
	s_cbranch_execz .LBB1326_29
.LBB1326_78:                            ;   in Loop: Header=BB1326_16 Depth=2
	global_load_dword v10, v94, s[16:17]
	s_or_b32 exec_lo, exec_lo, s18
	s_mov_b32 s18, exec_lo
	v_cmpx_gt_u32_e64 s5, v53
	s_cbranch_execz .LBB1326_30
.LBB1326_79:                            ;   in Loop: Header=BB1326_16 Depth=2
	global_load_dword v9, v95, s[16:17]
	s_or_b32 exec_lo, exec_lo, s18
	s_mov_b32 s18, exec_lo
	v_cmpx_gt_u32_e64 s5, v54
	s_cbranch_execz .LBB1326_31
.LBB1326_80:                            ;   in Loop: Header=BB1326_16 Depth=2
	global_load_dword v8, v96, s[16:17]
	s_or_b32 exec_lo, exec_lo, s18
	s_mov_b32 s18, exec_lo
	v_cmpx_gt_u32_e64 s5, v55
	s_cbranch_execz .LBB1326_32
.LBB1326_81:                            ;   in Loop: Header=BB1326_16 Depth=2
	global_load_dword v7, v97, s[16:17]
	s_or_b32 exec_lo, exec_lo, s18
	s_mov_b32 s18, exec_lo
	v_cmpx_gt_u32_e64 s5, v56
	s_cbranch_execz .LBB1326_33
.LBB1326_82:                            ;   in Loop: Header=BB1326_16 Depth=2
	global_load_dword v6, v98, s[16:17]
	s_or_b32 exec_lo, exec_lo, s18
	s_mov_b32 s18, exec_lo
	v_cmpx_gt_u32_e64 s5, v57
	s_cbranch_execz .LBB1326_34
.LBB1326_83:                            ;   in Loop: Header=BB1326_16 Depth=2
	global_load_dword v5, v99, s[16:17]
	s_or_b32 exec_lo, exec_lo, s18
	s_mov_b32 s18, exec_lo
	v_cmpx_gt_u32_e64 s5, v58
	s_cbranch_execnz .LBB1326_35
	s_branch .LBB1326_36
.LBB1326_84:                            ;   in Loop: Header=BB1326_12 Depth=1
	v_mov_b32_e32 v3, 0
	s_waitcnt lgkmcnt(0)
	s_barrier
	buffer_gl0_inv
	s_and_saveexec_b32 s5, s7
	s_cbranch_execz .LBB1326_86
; %bb.85:                               ;   in Loop: Header=BB1326_12 Depth=1
	ds_read2_b64 v[5:8], v61 offset1:1
	s_waitcnt lgkmcnt(0)
	v_add_nc_u32_e32 v3, v6, v5
	v_add3_u32 v3, v3, v7, v8
.LBB1326_86:                            ;   in Loop: Header=BB1326_12 Depth=1
	s_or_b32 exec_lo, exec_lo, s5
	v_mov_b32_dpp v5, v3 row_shr:1 row_mask:0xf bank_mask:0xf
	v_cmp_eq_u32_e64 s5, 0, v83
	v_cmp_lt_u32_e64 s15, 1, v83
	v_cmp_lt_u32_e64 s16, 3, v83
	;; [unrolled: 1-line block ×3, first 2 shown]
	v_cmp_eq_u32_e64 s18, 0, v85
	v_cndmask_b32_e64 v5, v5, 0, s5
	v_add_nc_u32_e32 v3, v5, v3
	v_mov_b32_dpp v5, v3 row_shr:2 row_mask:0xf bank_mask:0xf
	v_cndmask_b32_e64 v5, 0, v5, s15
	v_add_nc_u32_e32 v3, v3, v5
	v_mov_b32_dpp v5, v3 row_shr:4 row_mask:0xf bank_mask:0xf
	;; [unrolled: 3-line block ×3, first 2 shown]
	v_cndmask_b32_e64 v5, 0, v5, s17
	v_add_nc_u32_e32 v3, v3, v5
	ds_swizzle_b32 v5, v3 offset:swizzle(BROADCAST,32,15)
	s_waitcnt lgkmcnt(0)
	v_and_b32_e32 v5, v84, v5
	v_add_nc_u32_e32 v3, v3, v5
	s_and_saveexec_b32 s19, s8
; %bb.87:                               ;   in Loop: Header=BB1326_12 Depth=1
	ds_write_b32 v62, v3
; %bb.88:                               ;   in Loop: Header=BB1326_12 Depth=1
	s_or_b32 exec_lo, exec_lo, s19
	s_waitcnt lgkmcnt(0)
	s_barrier
	buffer_gl0_inv
	s_and_saveexec_b32 s19, s9
	s_cbranch_execz .LBB1326_90
; %bb.89:                               ;   in Loop: Header=BB1326_12 Depth=1
	ds_read_b32 v5, v63
	v_cmp_ne_u32_e32 vcc_lo, 0, v101
	s_waitcnt lgkmcnt(0)
	v_mov_b32_dpp v6, v5 row_shr:1 row_mask:0xf bank_mask:0xf
	v_cndmask_b32_e32 v6, 0, v6, vcc_lo
	v_cmp_lt_u32_e32 vcc_lo, 1, v101
	v_add_nc_u32_e32 v5, v6, v5
	v_mov_b32_dpp v6, v5 row_shr:2 row_mask:0xf bank_mask:0xf
	v_cndmask_b32_e32 v6, 0, v6, vcc_lo
	v_add_nc_u32_e32 v5, v5, v6
	ds_write_b32 v63, v5
.LBB1326_90:                            ;   in Loop: Header=BB1326_12 Depth=1
	s_or_b32 exec_lo, exec_lo, s19
	v_mov_b32_e32 v5, 0
	s_waitcnt lgkmcnt(0)
	s_barrier
	buffer_gl0_inv
	s_and_saveexec_b32 s19, s10
; %bb.91:                               ;   in Loop: Header=BB1326_12 Depth=1
	ds_read_b32 v5, v64
; %bb.92:                               ;   in Loop: Header=BB1326_12 Depth=1
	s_or_b32 exec_lo, exec_lo, s19
	v_cmp_gt_i32_e32 vcc_lo, 0, v103
	s_waitcnt lgkmcnt(0)
	v_add_nc_u32_e32 v3, v5, v3
	s_barrier
	buffer_gl0_inv
	v_cndmask_b32_e32 v6, v103, v79, vcc_lo
	v_lshlrev_b32_e32 v126, 2, v6
	ds_bpermute_b32 v3, v126, v3
	s_and_saveexec_b32 s19, s7
	s_cbranch_execz .LBB1326_94
; %bb.93:                               ;   in Loop: Header=BB1326_12 Depth=1
	s_waitcnt lgkmcnt(0)
	v_cndmask_b32_e64 v3, v3, v5, s14
	v_add_nc_u32_e32 v3, s58, v3
	ds_write_b32 v41, v3
.LBB1326_94:                            ;   in Loop: Header=BB1326_12 Depth=1
	s_or_b32 exec_lo, exec_lo, s19
	s_clause 0x1
	s_load_dword s19, s[56:57], 0x4
	s_load_dword s22, s[56:57], 0xc
	s_mov_b32 s62, s60
	s_mov_b32 s46, s58
                                        ; implicit-def: $vgpr7_vgpr8
                                        ; implicit-def: $vgpr9_vgpr10
                                        ; implicit-def: $vgpr11_vgpr12
                                        ; implicit-def: $vgpr13_vgpr14
                                        ; implicit-def: $vgpr17_vgpr18
                                        ; implicit-def: $vgpr21_vgpr22
                                        ; implicit-def: $vgpr25_vgpr26
                                        ; implicit-def: $vgpr15_vgpr16
                                        ; implicit-def: $vgpr19_vgpr20
                                        ; implicit-def: $vgpr23_vgpr24
                                        ; implicit-def: $vgpr27_vgpr28
                                        ; implicit-def: $vgpr29_vgpr30
                                        ; implicit-def: $vgpr31_vgpr32
                                        ; implicit-def: $vgpr33_vgpr34
                                        ; implicit-def: $vgpr35_vgpr36
                                        ; implicit-def: $vgpr128
                                        ; implicit-def: $vgpr129
                                        ; implicit-def: $vgpr130
                                        ; implicit-def: $vgpr131
                                        ; implicit-def: $vgpr132
                                        ; implicit-def: $vgpr133
                                        ; implicit-def: $vgpr134
                                        ; implicit-def: $vgpr135
                                        ; implicit-def: $vgpr136
                                        ; implicit-def: $vgpr137
                                        ; implicit-def: $vgpr138
                                        ; implicit-def: $vgpr139
                                        ; implicit-def: $vgpr141
                                        ; implicit-def: $vgpr142
                                        ; implicit-def: $vgpr143
                                        ; implicit-def: $vgpr144
                                        ; implicit-def: $vgpr140
                                        ; implicit-def: $vgpr145
	s_waitcnt lgkmcnt(0)
	s_cmp_lt_u32 s27, s19
	s_cselect_b32 s19, 14, 20
	s_add_u32 s20, s56, s19
	s_addc_u32 s21, s57, 0
	s_and_b32 s19, s22, 0xffff
	global_load_ushort v3, v4, s[20:21]
	v_cmp_lt_u32_e64 s20, 1, v104
	v_cmp_lt_u32_e64 s21, 3, v104
	s_waitcnt vmcnt(0)
	v_mad_u32_u24 v3, v2, v3, v1
	v_mad_u64_u32 v[5:6], null, v3, s19, v[0:1]
	v_cmp_eq_u32_e64 s19, 0, v104
	v_lshrrev_b32_e32 v3, 3, v5
                                        ; implicit-def: $vgpr5_vgpr6
	v_and_b32_e32 v127, 0x1ffffffc, v3
	s_branch .LBB1326_96
.LBB1326_95:                            ;   in Loop: Header=BB1326_96 Depth=2
	s_or_b32 exec_lo, exec_lo, s22
	s_addk_i32 s62, 0xf000
	s_cmp_lt_u32 s63, s59
	s_mov_b32 s46, s63
	s_cbranch_scc0 .LBB1326_306
.LBB1326_96:                            ;   Parent Loop BB1326_12 Depth=1
                                        ; =>  This Inner Loop Header: Depth=2
	s_add_i32 s63, s46, 0x1000
	s_cmp_gt_u32 s63, s59
	s_cbranch_scc1 .LBB1326_98
; %bb.97:                               ;   in Loop: Header=BB1326_96 Depth=2
	s_lshl_b64 s[22:23], s[46:47], 2
	v_add_co_u32 v37, vcc_lo, v124, s22
	v_add_co_ci_u32_e64 v38, null, s23, v125, vcc_lo
	s_mov_b32 s22, -1
	s_clause 0xe
	global_load_dword v3, v[37:38], off
	global_load_dword v147, v[37:38], off offset:128
	global_load_dword v150, v[37:38], off offset:256
	;; [unrolled: 1-line block ×14, first 2 shown]
	s_movk_i32 s23, 0x1000
	s_cbranch_execz .LBB1326_99
	s_branch .LBB1326_130
.LBB1326_98:                            ;   in Loop: Header=BB1326_96 Depth=2
	s_mov_b32 s22, 0
                                        ; implicit-def: $vgpr3
                                        ; implicit-def: $vgpr147
                                        ; implicit-def: $vgpr150
                                        ; implicit-def: $vgpr154
                                        ; implicit-def: $vgpr158
                                        ; implicit-def: $vgpr164
                                        ; implicit-def: $vgpr169
                                        ; implicit-def: $vgpr174
                                        ; implicit-def: $vgpr177
                                        ; implicit-def: $vgpr172
                                        ; implicit-def: $vgpr168
                                        ; implicit-def: $vgpr163
                                        ; implicit-def: $vgpr160
                                        ; implicit-def: $vgpr40
                                        ; implicit-def: $vgpr39
	s_movk_i32 s23, 0x1000
.LBB1326_99:                            ;   in Loop: Header=BB1326_96 Depth=2
	s_lshl_b64 s[22:23], s[46:47], 2
	s_waitcnt vmcnt(13)
	v_mov_b32_e32 v147, -1
	v_add_co_u32 v37, vcc_lo, v124, s22
	v_add_co_ci_u32_e64 v38, null, s23, v125, vcc_lo
	v_mov_b32_e32 v3, -1
	s_mov_b32 s22, exec_lo
	v_cmpx_gt_u32_e64 s62, v105
	s_cbranch_execz .LBB1326_101
; %bb.100:                              ;   in Loop: Header=BB1326_96 Depth=2
	global_load_dword v3, v[37:38], off
.LBB1326_101:                           ;   in Loop: Header=BB1326_96 Depth=2
	s_or_b32 exec_lo, exec_lo, s22
	s_mov_b32 s22, exec_lo
	v_cmpx_gt_u32_e64 s62, v108
	s_cbranch_execz .LBB1326_103
; %bb.102:                              ;   in Loop: Header=BB1326_96 Depth=2
	global_load_dword v147, v[37:38], off offset:128
.LBB1326_103:                           ;   in Loop: Header=BB1326_96 Depth=2
	s_or_b32 exec_lo, exec_lo, s22
	s_waitcnt vmcnt(11)
	v_mov_b32_e32 v154, -1
	v_mov_b32_e32 v150, -1
	s_mov_b32 s22, exec_lo
	v_cmpx_gt_u32_e64 s62, v109
	s_cbranch_execz .LBB1326_105
; %bb.104:                              ;   in Loop: Header=BB1326_96 Depth=2
	global_load_dword v150, v[37:38], off offset:256
.LBB1326_105:                           ;   in Loop: Header=BB1326_96 Depth=2
	s_or_b32 exec_lo, exec_lo, s22
	s_mov_b32 s22, exec_lo
	v_cmpx_gt_u32_e64 s62, v110
	s_cbranch_execz .LBB1326_107
; %bb.106:                              ;   in Loop: Header=BB1326_96 Depth=2
	global_load_dword v154, v[37:38], off offset:384
.LBB1326_107:                           ;   in Loop: Header=BB1326_96 Depth=2
	s_or_b32 exec_lo, exec_lo, s22
	s_waitcnt vmcnt(9)
	v_mov_b32_e32 v164, -1
	v_mov_b32_e32 v158, -1
	s_mov_b32 s22, exec_lo
	v_cmpx_gt_u32_e64 s62, v111
	s_cbranch_execz .LBB1326_109
; %bb.108:                              ;   in Loop: Header=BB1326_96 Depth=2
	global_load_dword v158, v[37:38], off offset:512
.LBB1326_109:                           ;   in Loop: Header=BB1326_96 Depth=2
	;; [unrolled: 17-line block ×6, first 2 shown]
	s_or_b32 exec_lo, exec_lo, s22
	s_mov_b32 s22, exec_lo
	v_cmpx_gt_u32_e64 s62, v121
	s_cbranch_execz .LBB1326_127
; %bb.126:                              ;   in Loop: Header=BB1326_96 Depth=2
	global_load_dword v40, v[37:38], off offset:1664
.LBB1326_127:                           ;   in Loop: Header=BB1326_96 Depth=2
	s_or_b32 exec_lo, exec_lo, s22
	s_waitcnt vmcnt(0)
	v_mov_b32_e32 v39, -1
	s_mov_b32 s22, exec_lo
	v_cmpx_gt_u32_e64 s62, v122
	s_cbranch_execz .LBB1326_129
; %bb.128:                              ;   in Loop: Header=BB1326_96 Depth=2
	global_load_dword v39, v[37:38], off offset:1792
.LBB1326_129:                           ;   in Loop: Header=BB1326_96 Depth=2
	s_or_b32 exec_lo, exec_lo, s22
	v_cmp_gt_u32_e64 s22, s62, v123
	s_sub_i32 s23, s59, s46
.LBB1326_130:                           ;   in Loop: Header=BB1326_96 Depth=2
	v_mov_b32_e32 v37, -1
	v_mov_b32_e32 v146, s62
	s_and_saveexec_b32 s24, s22
	s_cbranch_execz .LBB1326_132
; %bb.131:                              ;   in Loop: Header=BB1326_96 Depth=2
	s_lshl_b64 s[28:29], s[46:47], 2
	v_mov_b32_e32 v146, s23
	v_add_co_u32 v37, vcc_lo, v124, s28
	v_add_co_ci_u32_e64 v38, null, s29, v125, vcc_lo
	global_load_dword v37, v[37:38], off offset:1920
.LBB1326_132:                           ;   in Loop: Header=BB1326_96 Depth=2
	s_or_b32 exec_lo, exec_lo, s24
	s_waitcnt vmcnt(14)
	v_cmp_gt_i32_e32 vcc_lo, 0, v3
	ds_write2_b32 v65, v4, v4 offset0:136 offset1:137
	ds_write2_b32 v65, v4, v4 offset0:138 offset1:139
	ds_write_b32 v65, v4 offset:560
	s_waitcnt vmcnt(0) lgkmcnt(0)
	s_barrier
	v_cndmask_b32_e64 v38, 0x7fffffff, 0, vcc_lo
	buffer_gl0_inv
	; wave barrier
	v_xor_b32_e32 v3, v38, v3
	v_cmp_ne_u32_e32 vcc_lo, 0x80000000, v3
	v_cndmask_b32_e32 v38, 0x7fffffff, v3, vcc_lo
	v_lshrrev_b32_e32 v38, s52, v38
	v_and_b32_e32 v149, s61, v38
	v_and_b32_e32 v38, 1, v149
	v_lshlrev_b32_e32 v148, 30, v149
	v_lshlrev_b32_e32 v151, 29, v149
	;; [unrolled: 1-line block ×4, first 2 shown]
	v_add_co_u32 v38, s22, v38, -1
	v_cndmask_b32_e64 v152, 0, 1, s22
	v_not_b32_e32 v157, v148
	v_cmp_gt_i32_e64 s22, 0, v148
	v_not_b32_e32 v148, v151
	v_lshlrev_b32_e32 v156, 26, v149
	v_cmp_ne_u32_e32 vcc_lo, 0, v152
	v_ashrrev_i32_e32 v157, 31, v157
	v_lshlrev_b32_e32 v152, 25, v149
	v_ashrrev_i32_e32 v148, 31, v148
	v_mul_u32_u24_e32 v149, 36, v149
	v_xor_b32_e32 v38, vcc_lo, v38
	v_cmp_gt_i32_e32 vcc_lo, 0, v151
	v_not_b32_e32 v151, v153
	v_xor_b32_e32 v157, s22, v157
	v_cmp_gt_i32_e64 s22, 0, v153
	v_and_b32_e32 v38, exec_lo, v38
	v_not_b32_e32 v153, v155
	v_ashrrev_i32_e32 v151, 31, v151
	v_xor_b32_e32 v148, vcc_lo, v148
	v_cmp_gt_i32_e32 vcc_lo, 0, v155
	v_and_b32_e32 v38, v38, v157
	v_not_b32_e32 v155, v156
	v_ashrrev_i32_e32 v153, 31, v153
	v_xor_b32_e32 v151, s22, v151
	v_cmp_gt_i32_e64 s22, 0, v156
	v_and_b32_e32 v38, v38, v148
	v_not_b32_e32 v148, v152
	v_ashrrev_i32_e32 v155, 31, v155
	v_xor_b32_e32 v153, vcc_lo, v153
	v_cmp_gt_i32_e32 vcc_lo, 0, v152
	v_and_b32_e32 v38, v38, v151
	v_ashrrev_i32_e32 v148, 31, v148
	v_xor_b32_e32 v151, s22, v155
	v_add_nc_u32_e32 v149, v127, v149
	v_and_b32_e32 v38, v38, v153
	v_xor_b32_e32 v148, vcc_lo, v148
	v_and_b32_e32 v38, v38, v151
	v_and_b32_e32 v38, v38, v148
	v_mbcnt_lo_u32_b32 v148, v38, 0
	v_cmp_ne_u32_e64 s22, 0, v38
	v_cmp_eq_u32_e32 vcc_lo, 0, v148
	s_and_b32 s23, s22, vcc_lo
	s_and_saveexec_b32 s22, s23
; %bb.133:                              ;   in Loop: Header=BB1326_96 Depth=2
	v_bcnt_u32_b32 v38, v38, 0
	ds_write_b32 v149, v38 offset:544
; %bb.134:                              ;   in Loop: Header=BB1326_96 Depth=2
	s_or_b32 exec_lo, exec_lo, s22
	v_cmp_gt_i32_e32 vcc_lo, 0, v147
	; wave barrier
	v_cndmask_b32_e64 v38, 0x7fffffff, 0, vcc_lo
	v_xor_b32_e32 v147, v38, v147
	v_cmp_ne_u32_e32 vcc_lo, 0x80000000, v147
	v_cndmask_b32_e32 v38, 0x7fffffff, v147, vcc_lo
	v_lshrrev_b32_e32 v38, s52, v38
	v_and_b32_e32 v153, s61, v38
	v_and_b32_e32 v38, 1, v153
	v_lshlrev_b32_e32 v151, 30, v153
	v_lshlrev_b32_e32 v152, 29, v153
	;; [unrolled: 1-line block ×4, first 2 shown]
	v_add_co_u32 v38, s22, v38, -1
	v_cndmask_b32_e64 v155, 0, 1, s22
	v_not_b32_e32 v161, v151
	v_cmp_gt_i32_e64 s22, 0, v151
	v_not_b32_e32 v151, v152
	v_lshlrev_b32_e32 v159, 26, v153
	v_cmp_ne_u32_e32 vcc_lo, 0, v155
	v_ashrrev_i32_e32 v161, 31, v161
	v_lshlrev_b32_e32 v155, 25, v153
	v_ashrrev_i32_e32 v151, 31, v151
	v_xor_b32_e32 v38, vcc_lo, v38
	v_cmp_gt_i32_e32 vcc_lo, 0, v152
	v_not_b32_e32 v152, v156
	v_xor_b32_e32 v161, s22, v161
	v_cmp_gt_i32_e64 s22, 0, v156
	v_and_b32_e32 v38, exec_lo, v38
	v_not_b32_e32 v156, v157
	v_ashrrev_i32_e32 v152, 31, v152
	v_xor_b32_e32 v151, vcc_lo, v151
	v_cmp_gt_i32_e32 vcc_lo, 0, v157
	v_and_b32_e32 v38, v38, v161
	v_not_b32_e32 v157, v159
	v_ashrrev_i32_e32 v156, 31, v156
	v_xor_b32_e32 v152, s22, v152
	v_cmp_gt_i32_e64 s22, 0, v159
	v_and_b32_e32 v38, v38, v151
	v_not_b32_e32 v151, v155
	v_ashrrev_i32_e32 v157, 31, v157
	v_xor_b32_e32 v156, vcc_lo, v156
	v_cmp_gt_i32_e32 vcc_lo, 0, v155
	v_and_b32_e32 v38, v38, v152
	v_ashrrev_i32_e32 v151, 31, v151
	v_xor_b32_e32 v152, s22, v157
	v_mad_u32_u24 v155, v153, 36, v127
	v_mul_u32_u24_e32 v153, 36, v153
	v_and_b32_e32 v38, v38, v156
	v_xor_b32_e32 v156, vcc_lo, v151
	ds_read_b32 v151, v155 offset:544
	v_add_nc_u32_e32 v153, v127, v153
	v_and_b32_e32 v38, v38, v152
	; wave barrier
	v_and_b32_e32 v38, v38, v156
	v_mbcnt_lo_u32_b32 v152, v38, 0
	v_cmp_ne_u32_e64 s22, 0, v38
	v_cmp_eq_u32_e32 vcc_lo, 0, v152
	s_and_b32 s23, s22, vcc_lo
	s_and_saveexec_b32 s22, s23
	s_cbranch_execz .LBB1326_136
; %bb.135:                              ;   in Loop: Header=BB1326_96 Depth=2
	s_waitcnt lgkmcnt(0)
	v_bcnt_u32_b32 v38, v38, v151
	ds_write_b32 v153, v38 offset:544
.LBB1326_136:                           ;   in Loop: Header=BB1326_96 Depth=2
	s_or_b32 exec_lo, exec_lo, s22
	v_cmp_gt_i32_e32 vcc_lo, 0, v150
	; wave barrier
	v_cndmask_b32_e64 v38, 0x7fffffff, 0, vcc_lo
	v_xor_b32_e32 v150, v38, v150
	v_cmp_ne_u32_e32 vcc_lo, 0x80000000, v150
	v_cndmask_b32_e32 v38, 0x7fffffff, v150, vcc_lo
	v_lshrrev_b32_e32 v38, s52, v38
	v_and_b32_e32 v157, s61, v38
	v_and_b32_e32 v38, 1, v157
	v_lshlrev_b32_e32 v155, 30, v157
	v_lshlrev_b32_e32 v156, 29, v157
	;; [unrolled: 1-line block ×4, first 2 shown]
	v_add_co_u32 v38, s22, v38, -1
	v_cndmask_b32_e64 v159, 0, 1, s22
	v_not_b32_e32 v166, v155
	v_cmp_gt_i32_e64 s22, 0, v155
	v_not_b32_e32 v155, v156
	v_lshlrev_b32_e32 v165, 26, v157
	v_cmp_ne_u32_e32 vcc_lo, 0, v159
	v_ashrrev_i32_e32 v166, 31, v166
	v_lshlrev_b32_e32 v159, 25, v157
	v_ashrrev_i32_e32 v155, 31, v155
	v_xor_b32_e32 v38, vcc_lo, v38
	v_cmp_gt_i32_e32 vcc_lo, 0, v156
	v_not_b32_e32 v156, v161
	v_xor_b32_e32 v166, s22, v166
	v_cmp_gt_i32_e64 s22, 0, v161
	v_and_b32_e32 v38, exec_lo, v38
	v_not_b32_e32 v161, v162
	v_ashrrev_i32_e32 v156, 31, v156
	v_xor_b32_e32 v155, vcc_lo, v155
	v_cmp_gt_i32_e32 vcc_lo, 0, v162
	v_and_b32_e32 v38, v38, v166
	v_not_b32_e32 v162, v165
	v_ashrrev_i32_e32 v161, 31, v161
	v_xor_b32_e32 v156, s22, v156
	v_cmp_gt_i32_e64 s22, 0, v165
	v_and_b32_e32 v38, v38, v155
	v_not_b32_e32 v155, v159
	v_ashrrev_i32_e32 v162, 31, v162
	v_xor_b32_e32 v161, vcc_lo, v161
	v_cmp_gt_i32_e32 vcc_lo, 0, v159
	v_and_b32_e32 v38, v38, v156
	v_ashrrev_i32_e32 v155, 31, v155
	v_xor_b32_e32 v156, s22, v162
	v_mad_u32_u24 v159, v157, 36, v127
	v_mul_u32_u24_e32 v157, 36, v157
	v_and_b32_e32 v38, v38, v161
	v_xor_b32_e32 v161, vcc_lo, v155
	ds_read_b32 v155, v159 offset:544
	v_add_nc_u32_e32 v157, v127, v157
	v_and_b32_e32 v38, v38, v156
	; wave barrier
	v_and_b32_e32 v38, v38, v161
	v_mbcnt_lo_u32_b32 v156, v38, 0
	v_cmp_ne_u32_e64 s22, 0, v38
	v_cmp_eq_u32_e32 vcc_lo, 0, v156
	s_and_b32 s23, s22, vcc_lo
	s_and_saveexec_b32 s22, s23
	s_cbranch_execz .LBB1326_138
; %bb.137:                              ;   in Loop: Header=BB1326_96 Depth=2
	s_waitcnt lgkmcnt(0)
	v_bcnt_u32_b32 v38, v38, v155
	ds_write_b32 v157, v38 offset:544
.LBB1326_138:                           ;   in Loop: Header=BB1326_96 Depth=2
	s_or_b32 exec_lo, exec_lo, s22
	v_cmp_gt_i32_e32 vcc_lo, 0, v154
	; wave barrier
	v_cndmask_b32_e64 v38, 0x7fffffff, 0, vcc_lo
	v_xor_b32_e32 v154, v38, v154
	v_cmp_ne_u32_e32 vcc_lo, 0x80000000, v154
	v_cndmask_b32_e32 v38, 0x7fffffff, v154, vcc_lo
	v_lshrrev_b32_e32 v38, s52, v38
	v_and_b32_e32 v162, s61, v38
	v_and_b32_e32 v38, 1, v162
	v_lshlrev_b32_e32 v159, 30, v162
	v_lshlrev_b32_e32 v161, 29, v162
	v_lshlrev_b32_e32 v166, 28, v162
	v_lshlrev_b32_e32 v167, 27, v162
	v_add_co_u32 v38, s22, v38, -1
	v_cndmask_b32_e64 v165, 0, 1, s22
	v_not_b32_e32 v171, v159
	v_cmp_gt_i32_e64 s22, 0, v159
	v_not_b32_e32 v159, v161
	v_lshlrev_b32_e32 v170, 26, v162
	v_cmp_ne_u32_e32 vcc_lo, 0, v165
	v_ashrrev_i32_e32 v171, 31, v171
	v_lshlrev_b32_e32 v165, 25, v162
	v_ashrrev_i32_e32 v159, 31, v159
	v_xor_b32_e32 v38, vcc_lo, v38
	v_cmp_gt_i32_e32 vcc_lo, 0, v161
	v_not_b32_e32 v161, v166
	v_xor_b32_e32 v171, s22, v171
	v_cmp_gt_i32_e64 s22, 0, v166
	v_and_b32_e32 v38, exec_lo, v38
	v_not_b32_e32 v166, v167
	v_ashrrev_i32_e32 v161, 31, v161
	v_xor_b32_e32 v159, vcc_lo, v159
	v_cmp_gt_i32_e32 vcc_lo, 0, v167
	v_and_b32_e32 v38, v38, v171
	v_not_b32_e32 v167, v170
	v_ashrrev_i32_e32 v166, 31, v166
	v_xor_b32_e32 v161, s22, v161
	v_cmp_gt_i32_e64 s22, 0, v170
	v_and_b32_e32 v38, v38, v159
	v_not_b32_e32 v159, v165
	v_ashrrev_i32_e32 v167, 31, v167
	v_xor_b32_e32 v166, vcc_lo, v166
	v_cmp_gt_i32_e32 vcc_lo, 0, v165
	v_and_b32_e32 v38, v38, v161
	v_ashrrev_i32_e32 v159, 31, v159
	v_xor_b32_e32 v161, s22, v167
	v_mad_u32_u24 v165, v162, 36, v127
	v_mul_u32_u24_e32 v162, 36, v162
	v_and_b32_e32 v38, v38, v166
	v_xor_b32_e32 v166, vcc_lo, v159
	ds_read_b32 v159, v165 offset:544
	v_add_nc_u32_e32 v162, v127, v162
	v_and_b32_e32 v38, v38, v161
	; wave barrier
	v_and_b32_e32 v38, v38, v166
	v_mbcnt_lo_u32_b32 v161, v38, 0
	v_cmp_ne_u32_e64 s22, 0, v38
	v_cmp_eq_u32_e32 vcc_lo, 0, v161
	s_and_b32 s23, s22, vcc_lo
	s_and_saveexec_b32 s22, s23
	s_cbranch_execz .LBB1326_140
; %bb.139:                              ;   in Loop: Header=BB1326_96 Depth=2
	s_waitcnt lgkmcnt(0)
	v_bcnt_u32_b32 v38, v38, v159
	ds_write_b32 v162, v38 offset:544
.LBB1326_140:                           ;   in Loop: Header=BB1326_96 Depth=2
	s_or_b32 exec_lo, exec_lo, s22
	v_cmp_gt_i32_e32 vcc_lo, 0, v158
	; wave barrier
	v_cndmask_b32_e64 v38, 0x7fffffff, 0, vcc_lo
	v_xor_b32_e32 v158, v38, v158
	v_cmp_ne_u32_e32 vcc_lo, 0x80000000, v158
	v_cndmask_b32_e32 v38, 0x7fffffff, v158, vcc_lo
	v_lshrrev_b32_e32 v38, s52, v38
	v_and_b32_e32 v167, s61, v38
	v_and_b32_e32 v38, 1, v167
	v_lshlrev_b32_e32 v165, 30, v167
	v_lshlrev_b32_e32 v166, 29, v167
	;; [unrolled: 1-line block ×4, first 2 shown]
	v_add_co_u32 v38, s22, v38, -1
	v_cndmask_b32_e64 v170, 0, 1, s22
	v_not_b32_e32 v176, v165
	v_cmp_gt_i32_e64 s22, 0, v165
	v_not_b32_e32 v165, v166
	v_lshlrev_b32_e32 v175, 26, v167
	v_cmp_ne_u32_e32 vcc_lo, 0, v170
	v_ashrrev_i32_e32 v176, 31, v176
	v_lshlrev_b32_e32 v170, 25, v167
	v_ashrrev_i32_e32 v165, 31, v165
	v_xor_b32_e32 v38, vcc_lo, v38
	v_cmp_gt_i32_e32 vcc_lo, 0, v166
	v_not_b32_e32 v166, v171
	v_xor_b32_e32 v176, s22, v176
	v_cmp_gt_i32_e64 s22, 0, v171
	v_and_b32_e32 v38, exec_lo, v38
	v_not_b32_e32 v171, v173
	v_ashrrev_i32_e32 v166, 31, v166
	v_xor_b32_e32 v165, vcc_lo, v165
	v_cmp_gt_i32_e32 vcc_lo, 0, v173
	v_and_b32_e32 v38, v38, v176
	v_not_b32_e32 v173, v175
	v_ashrrev_i32_e32 v171, 31, v171
	v_xor_b32_e32 v166, s22, v166
	v_cmp_gt_i32_e64 s22, 0, v175
	v_and_b32_e32 v38, v38, v165
	v_not_b32_e32 v165, v170
	v_ashrrev_i32_e32 v173, 31, v173
	v_xor_b32_e32 v171, vcc_lo, v171
	v_cmp_gt_i32_e32 vcc_lo, 0, v170
	v_and_b32_e32 v38, v38, v166
	v_ashrrev_i32_e32 v165, 31, v165
	v_xor_b32_e32 v166, s22, v173
	v_mad_u32_u24 v170, v167, 36, v127
	v_mul_u32_u24_e32 v167, 36, v167
	v_and_b32_e32 v38, v38, v171
	v_xor_b32_e32 v171, vcc_lo, v165
	ds_read_b32 v165, v170 offset:544
	v_add_nc_u32_e32 v167, v127, v167
	v_and_b32_e32 v38, v38, v166
	; wave barrier
	v_and_b32_e32 v38, v38, v171
	v_mbcnt_lo_u32_b32 v166, v38, 0
	v_cmp_ne_u32_e64 s22, 0, v38
	v_cmp_eq_u32_e32 vcc_lo, 0, v166
	s_and_b32 s23, s22, vcc_lo
	s_and_saveexec_b32 s22, s23
	s_cbranch_execz .LBB1326_142
; %bb.141:                              ;   in Loop: Header=BB1326_96 Depth=2
	s_waitcnt lgkmcnt(0)
	v_bcnt_u32_b32 v38, v38, v165
	ds_write_b32 v167, v38 offset:544
.LBB1326_142:                           ;   in Loop: Header=BB1326_96 Depth=2
	s_or_b32 exec_lo, exec_lo, s22
	v_cmp_gt_i32_e32 vcc_lo, 0, v164
	; wave barrier
	v_cndmask_b32_e64 v38, 0x7fffffff, 0, vcc_lo
	v_xor_b32_e32 v164, v38, v164
	v_cmp_ne_u32_e32 vcc_lo, 0x80000000, v164
	v_cndmask_b32_e32 v38, 0x7fffffff, v164, vcc_lo
	v_lshrrev_b32_e32 v38, s52, v38
	v_and_b32_e32 v173, s61, v38
	v_and_b32_e32 v38, 1, v173
	v_lshlrev_b32_e32 v170, 30, v173
	v_lshlrev_b32_e32 v171, 29, v173
	;; [unrolled: 1-line block ×4, first 2 shown]
	v_add_co_u32 v38, s22, v38, -1
	v_cndmask_b32_e64 v175, 0, 1, s22
	v_not_b32_e32 v180, v170
	v_cmp_gt_i32_e64 s22, 0, v170
	v_not_b32_e32 v170, v171
	v_lshlrev_b32_e32 v179, 26, v173
	v_cmp_ne_u32_e32 vcc_lo, 0, v175
	v_ashrrev_i32_e32 v180, 31, v180
	v_lshlrev_b32_e32 v175, 25, v173
	v_ashrrev_i32_e32 v170, 31, v170
	v_xor_b32_e32 v38, vcc_lo, v38
	v_cmp_gt_i32_e32 vcc_lo, 0, v171
	v_not_b32_e32 v171, v176
	v_xor_b32_e32 v180, s22, v180
	v_cmp_gt_i32_e64 s22, 0, v176
	v_and_b32_e32 v38, exec_lo, v38
	v_not_b32_e32 v176, v178
	v_ashrrev_i32_e32 v171, 31, v171
	v_xor_b32_e32 v170, vcc_lo, v170
	v_cmp_gt_i32_e32 vcc_lo, 0, v178
	v_and_b32_e32 v38, v38, v180
	v_not_b32_e32 v178, v179
	v_ashrrev_i32_e32 v176, 31, v176
	v_xor_b32_e32 v171, s22, v171
	v_cmp_gt_i32_e64 s22, 0, v179
	v_and_b32_e32 v38, v38, v170
	v_not_b32_e32 v170, v175
	v_ashrrev_i32_e32 v178, 31, v178
	v_xor_b32_e32 v176, vcc_lo, v176
	v_cmp_gt_i32_e32 vcc_lo, 0, v175
	v_and_b32_e32 v38, v38, v171
	v_ashrrev_i32_e32 v170, 31, v170
	v_xor_b32_e32 v171, s22, v178
	v_mad_u32_u24 v175, v173, 36, v127
	v_mul_u32_u24_e32 v173, 36, v173
	v_and_b32_e32 v38, v38, v176
	v_xor_b32_e32 v176, vcc_lo, v170
	ds_read_b32 v170, v175 offset:544
	v_add_nc_u32_e32 v173, v127, v173
	v_and_b32_e32 v38, v38, v171
	; wave barrier
	v_and_b32_e32 v38, v38, v176
	v_mbcnt_lo_u32_b32 v171, v38, 0
	v_cmp_ne_u32_e64 s22, 0, v38
	v_cmp_eq_u32_e32 vcc_lo, 0, v171
	s_and_b32 s23, s22, vcc_lo
	s_and_saveexec_b32 s22, s23
	s_cbranch_execz .LBB1326_144
; %bb.143:                              ;   in Loop: Header=BB1326_96 Depth=2
	s_waitcnt lgkmcnt(0)
	v_bcnt_u32_b32 v38, v38, v170
	ds_write_b32 v173, v38 offset:544
.LBB1326_144:                           ;   in Loop: Header=BB1326_96 Depth=2
	s_or_b32 exec_lo, exec_lo, s22
	v_cmp_gt_i32_e32 vcc_lo, 0, v169
	; wave barrier
	v_cndmask_b32_e64 v38, 0x7fffffff, 0, vcc_lo
	v_xor_b32_e32 v169, v38, v169
	v_cmp_ne_u32_e32 vcc_lo, 0x80000000, v169
	v_cndmask_b32_e32 v38, 0x7fffffff, v169, vcc_lo
	v_lshrrev_b32_e32 v38, s52, v38
	v_and_b32_e32 v178, s61, v38
	v_and_b32_e32 v38, 1, v178
	v_lshlrev_b32_e32 v175, 30, v178
	v_lshlrev_b32_e32 v176, 29, v178
	;; [unrolled: 1-line block ×4, first 2 shown]
	v_add_co_u32 v38, s22, v38, -1
	v_cndmask_b32_e64 v179, 0, 1, s22
	v_not_b32_e32 v183, v175
	v_cmp_gt_i32_e64 s22, 0, v175
	v_not_b32_e32 v175, v176
	v_lshlrev_b32_e32 v182, 26, v178
	v_cmp_ne_u32_e32 vcc_lo, 0, v179
	v_ashrrev_i32_e32 v183, 31, v183
	v_lshlrev_b32_e32 v179, 25, v178
	v_ashrrev_i32_e32 v175, 31, v175
	v_xor_b32_e32 v38, vcc_lo, v38
	v_cmp_gt_i32_e32 vcc_lo, 0, v176
	v_not_b32_e32 v176, v180
	v_xor_b32_e32 v183, s22, v183
	v_cmp_gt_i32_e64 s22, 0, v180
	v_and_b32_e32 v38, exec_lo, v38
	v_not_b32_e32 v180, v181
	v_ashrrev_i32_e32 v176, 31, v176
	v_xor_b32_e32 v175, vcc_lo, v175
	v_cmp_gt_i32_e32 vcc_lo, 0, v181
	v_and_b32_e32 v38, v38, v183
	v_not_b32_e32 v181, v182
	v_ashrrev_i32_e32 v180, 31, v180
	v_xor_b32_e32 v176, s22, v176
	v_cmp_gt_i32_e64 s22, 0, v182
	v_and_b32_e32 v38, v38, v175
	v_not_b32_e32 v175, v179
	v_ashrrev_i32_e32 v181, 31, v181
	v_xor_b32_e32 v180, vcc_lo, v180
	v_cmp_gt_i32_e32 vcc_lo, 0, v179
	v_and_b32_e32 v38, v38, v176
	v_ashrrev_i32_e32 v175, 31, v175
	v_xor_b32_e32 v176, s22, v181
	v_mad_u32_u24 v179, v178, 36, v127
	v_mul_u32_u24_e32 v178, 36, v178
	v_and_b32_e32 v38, v38, v180
	v_xor_b32_e32 v180, vcc_lo, v175
	ds_read_b32 v175, v179 offset:544
	v_add_nc_u32_e32 v178, v127, v178
	v_and_b32_e32 v38, v38, v176
	; wave barrier
	v_and_b32_e32 v38, v38, v180
	v_mbcnt_lo_u32_b32 v176, v38, 0
	v_cmp_ne_u32_e64 s22, 0, v38
	v_cmp_eq_u32_e32 vcc_lo, 0, v176
	s_and_b32 s23, s22, vcc_lo
	s_and_saveexec_b32 s22, s23
	s_cbranch_execz .LBB1326_146
; %bb.145:                              ;   in Loop: Header=BB1326_96 Depth=2
	s_waitcnt lgkmcnt(0)
	v_bcnt_u32_b32 v38, v38, v175
	ds_write_b32 v178, v38 offset:544
.LBB1326_146:                           ;   in Loop: Header=BB1326_96 Depth=2
	s_or_b32 exec_lo, exec_lo, s22
	v_cmp_gt_i32_e32 vcc_lo, 0, v174
	; wave barrier
	v_cndmask_b32_e64 v38, 0x7fffffff, 0, vcc_lo
	v_xor_b32_e32 v174, v38, v174
	v_cmp_ne_u32_e32 vcc_lo, 0x80000000, v174
	v_cndmask_b32_e32 v38, 0x7fffffff, v174, vcc_lo
	v_lshrrev_b32_e32 v38, s52, v38
	v_and_b32_e32 v181, s61, v38
	v_and_b32_e32 v38, 1, v181
	v_lshlrev_b32_e32 v179, 30, v181
	v_lshlrev_b32_e32 v180, 29, v181
	;; [unrolled: 1-line block ×4, first 2 shown]
	v_add_co_u32 v38, s22, v38, -1
	v_cndmask_b32_e64 v182, 0, 1, s22
	v_not_b32_e32 v186, v179
	v_cmp_gt_i32_e64 s22, 0, v179
	v_not_b32_e32 v179, v180
	v_lshlrev_b32_e32 v185, 26, v181
	v_cmp_ne_u32_e32 vcc_lo, 0, v182
	v_ashrrev_i32_e32 v186, 31, v186
	v_lshlrev_b32_e32 v182, 25, v181
	v_ashrrev_i32_e32 v179, 31, v179
	v_xor_b32_e32 v38, vcc_lo, v38
	v_cmp_gt_i32_e32 vcc_lo, 0, v180
	v_not_b32_e32 v180, v183
	v_xor_b32_e32 v186, s22, v186
	v_cmp_gt_i32_e64 s22, 0, v183
	v_and_b32_e32 v38, exec_lo, v38
	v_not_b32_e32 v183, v184
	v_ashrrev_i32_e32 v180, 31, v180
	v_xor_b32_e32 v179, vcc_lo, v179
	v_cmp_gt_i32_e32 vcc_lo, 0, v184
	v_and_b32_e32 v38, v38, v186
	v_not_b32_e32 v184, v185
	v_ashrrev_i32_e32 v183, 31, v183
	v_xor_b32_e32 v180, s22, v180
	v_cmp_gt_i32_e64 s22, 0, v185
	v_and_b32_e32 v38, v38, v179
	v_not_b32_e32 v179, v182
	v_ashrrev_i32_e32 v184, 31, v184
	v_xor_b32_e32 v183, vcc_lo, v183
	v_cmp_gt_i32_e32 vcc_lo, 0, v182
	v_and_b32_e32 v38, v38, v180
	v_ashrrev_i32_e32 v179, 31, v179
	v_xor_b32_e32 v180, s22, v184
	v_mad_u32_u24 v182, v181, 36, v127
	v_mul_u32_u24_e32 v181, 36, v181
	v_and_b32_e32 v38, v38, v183
	v_xor_b32_e32 v183, vcc_lo, v179
	ds_read_b32 v179, v182 offset:544
	v_add_nc_u32_e32 v181, v127, v181
	v_and_b32_e32 v38, v38, v180
	; wave barrier
	v_and_b32_e32 v38, v38, v183
	v_mbcnt_lo_u32_b32 v180, v38, 0
	v_cmp_ne_u32_e64 s22, 0, v38
	v_cmp_eq_u32_e32 vcc_lo, 0, v180
	s_and_b32 s23, s22, vcc_lo
	s_and_saveexec_b32 s22, s23
	s_cbranch_execz .LBB1326_148
; %bb.147:                              ;   in Loop: Header=BB1326_96 Depth=2
	s_waitcnt lgkmcnt(0)
	v_bcnt_u32_b32 v38, v38, v179
	ds_write_b32 v181, v38 offset:544
.LBB1326_148:                           ;   in Loop: Header=BB1326_96 Depth=2
	s_or_b32 exec_lo, exec_lo, s22
	v_cmp_gt_i32_e32 vcc_lo, 0, v177
	; wave barrier
	v_cndmask_b32_e64 v38, 0x7fffffff, 0, vcc_lo
	v_xor_b32_e32 v177, v38, v177
	v_cmp_ne_u32_e32 vcc_lo, 0x80000000, v177
	v_cndmask_b32_e32 v38, 0x7fffffff, v177, vcc_lo
	v_lshrrev_b32_e32 v38, s52, v38
	v_and_b32_e32 v184, s61, v38
	v_and_b32_e32 v38, 1, v184
	v_lshlrev_b32_e32 v182, 30, v184
	v_lshlrev_b32_e32 v183, 29, v184
	;; [unrolled: 1-line block ×4, first 2 shown]
	v_add_co_u32 v38, s22, v38, -1
	v_cndmask_b32_e64 v185, 0, 1, s22
	v_not_b32_e32 v189, v182
	v_cmp_gt_i32_e64 s22, 0, v182
	v_not_b32_e32 v182, v183
	v_lshlrev_b32_e32 v188, 26, v184
	v_cmp_ne_u32_e32 vcc_lo, 0, v185
	v_ashrrev_i32_e32 v189, 31, v189
	v_lshlrev_b32_e32 v185, 25, v184
	v_ashrrev_i32_e32 v182, 31, v182
	v_xor_b32_e32 v38, vcc_lo, v38
	v_cmp_gt_i32_e32 vcc_lo, 0, v183
	v_not_b32_e32 v183, v186
	v_xor_b32_e32 v189, s22, v189
	v_cmp_gt_i32_e64 s22, 0, v186
	v_and_b32_e32 v38, exec_lo, v38
	v_not_b32_e32 v186, v187
	v_ashrrev_i32_e32 v183, 31, v183
	v_xor_b32_e32 v182, vcc_lo, v182
	v_cmp_gt_i32_e32 vcc_lo, 0, v187
	v_and_b32_e32 v38, v38, v189
	v_not_b32_e32 v187, v188
	v_ashrrev_i32_e32 v186, 31, v186
	v_xor_b32_e32 v183, s22, v183
	v_cmp_gt_i32_e64 s22, 0, v188
	v_and_b32_e32 v38, v38, v182
	v_not_b32_e32 v182, v185
	v_ashrrev_i32_e32 v187, 31, v187
	v_xor_b32_e32 v186, vcc_lo, v186
	v_cmp_gt_i32_e32 vcc_lo, 0, v185
	v_and_b32_e32 v38, v38, v183
	v_ashrrev_i32_e32 v182, 31, v182
	v_xor_b32_e32 v183, s22, v187
	v_mad_u32_u24 v185, v184, 36, v127
	v_mul_u32_u24_e32 v184, 36, v184
	v_and_b32_e32 v38, v38, v186
	v_xor_b32_e32 v186, vcc_lo, v182
	ds_read_b32 v182, v185 offset:544
	v_add_nc_u32_e32 v184, v127, v184
	v_and_b32_e32 v38, v38, v183
	; wave barrier
	v_and_b32_e32 v38, v38, v186
	v_mbcnt_lo_u32_b32 v183, v38, 0
	v_cmp_ne_u32_e64 s22, 0, v38
	v_cmp_eq_u32_e32 vcc_lo, 0, v183
	s_and_b32 s23, s22, vcc_lo
	s_and_saveexec_b32 s22, s23
	s_cbranch_execz .LBB1326_150
; %bb.149:                              ;   in Loop: Header=BB1326_96 Depth=2
	s_waitcnt lgkmcnt(0)
	v_bcnt_u32_b32 v38, v38, v182
	ds_write_b32 v184, v38 offset:544
.LBB1326_150:                           ;   in Loop: Header=BB1326_96 Depth=2
	s_or_b32 exec_lo, exec_lo, s22
	v_cmp_gt_i32_e32 vcc_lo, 0, v172
	; wave barrier
	v_cndmask_b32_e64 v38, 0x7fffffff, 0, vcc_lo
	v_xor_b32_e32 v172, v38, v172
	v_cmp_ne_u32_e32 vcc_lo, 0x80000000, v172
	v_cndmask_b32_e32 v38, 0x7fffffff, v172, vcc_lo
	v_lshrrev_b32_e32 v38, s52, v38
	v_and_b32_e32 v187, s61, v38
	v_and_b32_e32 v38, 1, v187
	v_lshlrev_b32_e32 v185, 30, v187
	v_lshlrev_b32_e32 v186, 29, v187
	;; [unrolled: 1-line block ×4, first 2 shown]
	v_add_co_u32 v38, s22, v38, -1
	v_cndmask_b32_e64 v188, 0, 1, s22
	v_not_b32_e32 v192, v185
	v_cmp_gt_i32_e64 s22, 0, v185
	v_not_b32_e32 v185, v186
	v_lshlrev_b32_e32 v191, 26, v187
	v_cmp_ne_u32_e32 vcc_lo, 0, v188
	v_ashrrev_i32_e32 v192, 31, v192
	v_lshlrev_b32_e32 v188, 25, v187
	v_ashrrev_i32_e32 v185, 31, v185
	v_xor_b32_e32 v38, vcc_lo, v38
	v_cmp_gt_i32_e32 vcc_lo, 0, v186
	v_not_b32_e32 v186, v189
	v_xor_b32_e32 v192, s22, v192
	v_cmp_gt_i32_e64 s22, 0, v189
	v_and_b32_e32 v38, exec_lo, v38
	v_not_b32_e32 v189, v190
	v_ashrrev_i32_e32 v186, 31, v186
	v_xor_b32_e32 v185, vcc_lo, v185
	v_cmp_gt_i32_e32 vcc_lo, 0, v190
	v_and_b32_e32 v38, v38, v192
	v_not_b32_e32 v190, v191
	v_ashrrev_i32_e32 v189, 31, v189
	v_xor_b32_e32 v186, s22, v186
	v_cmp_gt_i32_e64 s22, 0, v191
	v_and_b32_e32 v38, v38, v185
	v_not_b32_e32 v185, v188
	v_ashrrev_i32_e32 v190, 31, v190
	v_xor_b32_e32 v189, vcc_lo, v189
	v_cmp_gt_i32_e32 vcc_lo, 0, v188
	v_and_b32_e32 v38, v38, v186
	v_ashrrev_i32_e32 v185, 31, v185
	v_xor_b32_e32 v186, s22, v190
	v_mad_u32_u24 v188, v187, 36, v127
	v_mul_u32_u24_e32 v187, 36, v187
	v_and_b32_e32 v38, v38, v189
	v_xor_b32_e32 v189, vcc_lo, v185
	ds_read_b32 v185, v188 offset:544
	v_add_nc_u32_e32 v187, v127, v187
	v_and_b32_e32 v38, v38, v186
	; wave barrier
	v_and_b32_e32 v38, v38, v189
	v_mbcnt_lo_u32_b32 v186, v38, 0
	v_cmp_ne_u32_e64 s22, 0, v38
	v_cmp_eq_u32_e32 vcc_lo, 0, v186
	s_and_b32 s23, s22, vcc_lo
	s_and_saveexec_b32 s22, s23
	s_cbranch_execz .LBB1326_152
; %bb.151:                              ;   in Loop: Header=BB1326_96 Depth=2
	s_waitcnt lgkmcnt(0)
	v_bcnt_u32_b32 v38, v38, v185
	ds_write_b32 v187, v38 offset:544
.LBB1326_152:                           ;   in Loop: Header=BB1326_96 Depth=2
	s_or_b32 exec_lo, exec_lo, s22
	v_cmp_gt_i32_e32 vcc_lo, 0, v168
	; wave barrier
	v_cndmask_b32_e64 v38, 0x7fffffff, 0, vcc_lo
	v_xor_b32_e32 v168, v38, v168
	v_cmp_ne_u32_e32 vcc_lo, 0x80000000, v168
	v_cndmask_b32_e32 v38, 0x7fffffff, v168, vcc_lo
	v_lshrrev_b32_e32 v38, s52, v38
	v_and_b32_e32 v188, s61, v38
	v_and_b32_e32 v38, 1, v188
	v_lshlrev_b32_e32 v189, 30, v188
	v_lshlrev_b32_e32 v190, 29, v188
	;; [unrolled: 1-line block ×4, first 2 shown]
	v_add_co_u32 v38, s22, v38, -1
	v_cndmask_b32_e64 v191, 0, 1, s22
	v_not_b32_e32 v195, v189
	v_cmp_gt_i32_e64 s22, 0, v189
	v_not_b32_e32 v189, v190
	v_lshlrev_b32_e32 v194, 26, v188
	v_cmp_ne_u32_e32 vcc_lo, 0, v191
	v_ashrrev_i32_e32 v195, 31, v195
	v_lshlrev_b32_e32 v191, 25, v188
	v_ashrrev_i32_e32 v189, 31, v189
	v_xor_b32_e32 v38, vcc_lo, v38
	v_cmp_gt_i32_e32 vcc_lo, 0, v190
	v_not_b32_e32 v190, v192
	v_xor_b32_e32 v195, s22, v195
	v_cmp_gt_i32_e64 s22, 0, v192
	v_and_b32_e32 v38, exec_lo, v38
	v_not_b32_e32 v192, v193
	v_ashrrev_i32_e32 v190, 31, v190
	v_xor_b32_e32 v189, vcc_lo, v189
	v_cmp_gt_i32_e32 vcc_lo, 0, v193
	v_and_b32_e32 v38, v38, v195
	v_not_b32_e32 v193, v194
	v_ashrrev_i32_e32 v192, 31, v192
	v_xor_b32_e32 v190, s22, v190
	v_cmp_gt_i32_e64 s22, 0, v194
	v_and_b32_e32 v38, v38, v189
	v_not_b32_e32 v189, v191
	v_ashrrev_i32_e32 v193, 31, v193
	v_xor_b32_e32 v192, vcc_lo, v192
	v_cmp_gt_i32_e32 vcc_lo, 0, v191
	v_and_b32_e32 v38, v38, v190
	v_ashrrev_i32_e32 v189, 31, v189
	v_xor_b32_e32 v190, s22, v193
	v_mad_u32_u24 v191, v188, 36, v127
	v_mul_u32_u24_e32 v188, 36, v188
	v_and_b32_e32 v38, v38, v192
	v_xor_b32_e32 v192, vcc_lo, v189
	ds_read_b32 v189, v191 offset:544
	v_add_nc_u32_e32 v191, v127, v188
	v_and_b32_e32 v38, v38, v190
	; wave barrier
	v_and_b32_e32 v38, v38, v192
	v_mbcnt_lo_u32_b32 v190, v38, 0
	v_cmp_ne_u32_e64 s22, 0, v38
	v_cmp_eq_u32_e32 vcc_lo, 0, v190
	s_and_b32 s23, s22, vcc_lo
	s_and_saveexec_b32 s22, s23
	s_cbranch_execz .LBB1326_154
; %bb.153:                              ;   in Loop: Header=BB1326_96 Depth=2
	s_waitcnt lgkmcnt(0)
	v_bcnt_u32_b32 v38, v38, v189
	ds_write_b32 v191, v38 offset:544
.LBB1326_154:                           ;   in Loop: Header=BB1326_96 Depth=2
	s_or_b32 exec_lo, exec_lo, s22
	v_cmp_gt_i32_e32 vcc_lo, 0, v163
	; wave barrier
	v_cndmask_b32_e64 v38, 0x7fffffff, 0, vcc_lo
	v_xor_b32_e32 v188, v38, v163
	v_cmp_ne_u32_e32 vcc_lo, 0x80000000, v188
	v_cndmask_b32_e32 v38, 0x7fffffff, v188, vcc_lo
	v_lshrrev_b32_e32 v38, s52, v38
	v_and_b32_e32 v163, s61, v38
	v_and_b32_e32 v38, 1, v163
	v_lshlrev_b32_e32 v192, 30, v163
	v_lshlrev_b32_e32 v193, 29, v163
	;; [unrolled: 1-line block ×4, first 2 shown]
	v_add_co_u32 v38, s22, v38, -1
	v_cndmask_b32_e64 v194, 0, 1, s22
	v_not_b32_e32 v198, v192
	v_cmp_gt_i32_e64 s22, 0, v192
	v_not_b32_e32 v192, v193
	v_lshlrev_b32_e32 v197, 26, v163
	v_cmp_ne_u32_e32 vcc_lo, 0, v194
	v_ashrrev_i32_e32 v198, 31, v198
	v_lshlrev_b32_e32 v194, 25, v163
	v_ashrrev_i32_e32 v192, 31, v192
	v_xor_b32_e32 v38, vcc_lo, v38
	v_cmp_gt_i32_e32 vcc_lo, 0, v193
	v_not_b32_e32 v193, v195
	v_xor_b32_e32 v198, s22, v198
	v_cmp_gt_i32_e64 s22, 0, v195
	v_and_b32_e32 v38, exec_lo, v38
	v_not_b32_e32 v195, v196
	v_ashrrev_i32_e32 v193, 31, v193
	v_xor_b32_e32 v192, vcc_lo, v192
	v_cmp_gt_i32_e32 vcc_lo, 0, v196
	v_and_b32_e32 v38, v38, v198
	v_not_b32_e32 v196, v197
	v_ashrrev_i32_e32 v195, 31, v195
	v_xor_b32_e32 v193, s22, v193
	v_cmp_gt_i32_e64 s22, 0, v197
	v_and_b32_e32 v38, v38, v192
	v_not_b32_e32 v192, v194
	v_ashrrev_i32_e32 v196, 31, v196
	v_xor_b32_e32 v195, vcc_lo, v195
	v_cmp_gt_i32_e32 vcc_lo, 0, v194
	v_and_b32_e32 v38, v38, v193
	v_ashrrev_i32_e32 v192, 31, v192
	v_xor_b32_e32 v193, s22, v196
	v_mad_u32_u24 v194, v163, 36, v127
	v_mul_u32_u24_e32 v163, 36, v163
	v_and_b32_e32 v38, v38, v195
	v_xor_b32_e32 v192, vcc_lo, v192
	v_add_nc_u32_e32 v163, v127, v163
	v_and_b32_e32 v38, v38, v193
	ds_read_b32 v193, v194 offset:544
	; wave barrier
	v_and_b32_e32 v38, v38, v192
	v_mbcnt_lo_u32_b32 v194, v38, 0
	v_cmp_ne_u32_e64 s22, 0, v38
	v_cmp_eq_u32_e32 vcc_lo, 0, v194
	s_and_b32 s23, s22, vcc_lo
	s_and_saveexec_b32 s22, s23
	s_cbranch_execz .LBB1326_156
; %bb.155:                              ;   in Loop: Header=BB1326_96 Depth=2
	s_waitcnt lgkmcnt(0)
	v_bcnt_u32_b32 v38, v38, v193
	ds_write_b32 v163, v38 offset:544
.LBB1326_156:                           ;   in Loop: Header=BB1326_96 Depth=2
	s_or_b32 exec_lo, exec_lo, s22
	v_cmp_gt_i32_e32 vcc_lo, 0, v160
	; wave barrier
	v_cndmask_b32_e64 v38, 0x7fffffff, 0, vcc_lo
	v_xor_b32_e32 v192, v38, v160
	v_cmp_ne_u32_e32 vcc_lo, 0x80000000, v192
	v_cndmask_b32_e32 v38, 0x7fffffff, v192, vcc_lo
	v_lshrrev_b32_e32 v38, s52, v38
	v_and_b32_e32 v160, s61, v38
	v_and_b32_e32 v38, 1, v160
	v_lshlrev_b32_e32 v195, 30, v160
	v_lshlrev_b32_e32 v196, 29, v160
	;; [unrolled: 1-line block ×4, first 2 shown]
	v_add_co_u32 v38, s22, v38, -1
	v_cndmask_b32_e64 v197, 0, 1, s22
	v_not_b32_e32 v201, v195
	v_cmp_gt_i32_e64 s22, 0, v195
	v_not_b32_e32 v195, v196
	v_lshlrev_b32_e32 v200, 26, v160
	v_cmp_ne_u32_e32 vcc_lo, 0, v197
	v_ashrrev_i32_e32 v201, 31, v201
	v_lshlrev_b32_e32 v197, 25, v160
	v_ashrrev_i32_e32 v195, 31, v195
	v_xor_b32_e32 v38, vcc_lo, v38
	v_cmp_gt_i32_e32 vcc_lo, 0, v196
	v_not_b32_e32 v196, v198
	v_xor_b32_e32 v201, s22, v201
	v_cmp_gt_i32_e64 s22, 0, v198
	v_and_b32_e32 v38, exec_lo, v38
	v_not_b32_e32 v198, v199
	v_ashrrev_i32_e32 v196, 31, v196
	v_xor_b32_e32 v195, vcc_lo, v195
	v_cmp_gt_i32_e32 vcc_lo, 0, v199
	v_and_b32_e32 v38, v38, v201
	v_not_b32_e32 v199, v200
	v_ashrrev_i32_e32 v198, 31, v198
	v_xor_b32_e32 v196, s22, v196
	v_cmp_gt_i32_e64 s22, 0, v200
	v_and_b32_e32 v38, v38, v195
	v_not_b32_e32 v195, v197
	v_ashrrev_i32_e32 v199, 31, v199
	v_xor_b32_e32 v198, vcc_lo, v198
	v_cmp_gt_i32_e32 vcc_lo, 0, v197
	v_and_b32_e32 v38, v38, v196
	v_ashrrev_i32_e32 v195, 31, v195
	v_xor_b32_e32 v196, s22, v199
	v_mad_u32_u24 v197, v160, 36, v127
	v_mul_u32_u24_e32 v160, 36, v160
	v_and_b32_e32 v38, v38, v198
	v_xor_b32_e32 v195, vcc_lo, v195
	v_add_nc_u32_e32 v160, v127, v160
	v_and_b32_e32 v38, v38, v196
	ds_read_b32 v196, v197 offset:544
	; wave barrier
	v_and_b32_e32 v38, v38, v195
	v_mbcnt_lo_u32_b32 v197, v38, 0
	v_cmp_ne_u32_e64 s22, 0, v38
	v_cmp_eq_u32_e32 vcc_lo, 0, v197
	s_and_b32 s23, s22, vcc_lo
	s_and_saveexec_b32 s22, s23
	s_cbranch_execz .LBB1326_158
; %bb.157:                              ;   in Loop: Header=BB1326_96 Depth=2
	s_waitcnt lgkmcnt(0)
	v_bcnt_u32_b32 v38, v38, v196
	ds_write_b32 v160, v38 offset:544
.LBB1326_158:                           ;   in Loop: Header=BB1326_96 Depth=2
	s_or_b32 exec_lo, exec_lo, s22
	v_cmp_gt_i32_e32 vcc_lo, 0, v40
	; wave barrier
	v_cndmask_b32_e64 v38, 0x7fffffff, 0, vcc_lo
	v_xor_b32_e32 v195, v38, v40
	v_cmp_ne_u32_e32 vcc_lo, 0x80000000, v195
	v_cndmask_b32_e32 v38, 0x7fffffff, v195, vcc_lo
	v_lshrrev_b32_e32 v38, s52, v38
	v_and_b32_e32 v40, s61, v38
	v_and_b32_e32 v38, 1, v40
	v_lshlrev_b32_e32 v198, 30, v40
	v_lshlrev_b32_e32 v199, 29, v40
	;; [unrolled: 1-line block ×4, first 2 shown]
	v_add_co_u32 v38, s22, v38, -1
	v_cndmask_b32_e64 v200, 0, 1, s22
	v_not_b32_e32 v204, v198
	v_cmp_gt_i32_e64 s22, 0, v198
	v_not_b32_e32 v198, v199
	v_lshlrev_b32_e32 v203, 26, v40
	v_cmp_ne_u32_e32 vcc_lo, 0, v200
	v_ashrrev_i32_e32 v204, 31, v204
	v_lshlrev_b32_e32 v200, 25, v40
	v_ashrrev_i32_e32 v198, 31, v198
	v_xor_b32_e32 v38, vcc_lo, v38
	v_cmp_gt_i32_e32 vcc_lo, 0, v199
	v_not_b32_e32 v199, v201
	v_xor_b32_e32 v204, s22, v204
	v_cmp_gt_i32_e64 s22, 0, v201
	v_and_b32_e32 v38, exec_lo, v38
	v_not_b32_e32 v201, v202
	v_ashrrev_i32_e32 v199, 31, v199
	v_xor_b32_e32 v198, vcc_lo, v198
	v_cmp_gt_i32_e32 vcc_lo, 0, v202
	v_and_b32_e32 v38, v38, v204
	v_not_b32_e32 v202, v203
	v_ashrrev_i32_e32 v201, 31, v201
	v_xor_b32_e32 v199, s22, v199
	v_cmp_gt_i32_e64 s22, 0, v203
	v_and_b32_e32 v38, v38, v198
	v_not_b32_e32 v198, v200
	v_ashrrev_i32_e32 v202, 31, v202
	v_xor_b32_e32 v201, vcc_lo, v201
	v_cmp_gt_i32_e32 vcc_lo, 0, v200
	v_and_b32_e32 v38, v38, v199
	v_ashrrev_i32_e32 v198, 31, v198
	v_xor_b32_e32 v199, s22, v202
	v_mad_u32_u24 v200, v40, 36, v127
	v_mul_u32_u24_e32 v40, 36, v40
	v_and_b32_e32 v38, v38, v201
	v_xor_b32_e32 v198, vcc_lo, v198
	v_add_nc_u32_e32 v201, v127, v40
	v_and_b32_e32 v38, v38, v199
	ds_read_b32 v199, v200 offset:544
	; wave barrier
	v_and_b32_e32 v38, v38, v198
	v_mbcnt_lo_u32_b32 v200, v38, 0
	v_cmp_ne_u32_e64 s22, 0, v38
	v_cmp_eq_u32_e32 vcc_lo, 0, v200
	s_and_b32 s23, s22, vcc_lo
	s_and_saveexec_b32 s22, s23
	s_cbranch_execz .LBB1326_160
; %bb.159:                              ;   in Loop: Header=BB1326_96 Depth=2
	s_waitcnt lgkmcnt(0)
	v_bcnt_u32_b32 v38, v38, v199
	ds_write_b32 v201, v38 offset:544
.LBB1326_160:                           ;   in Loop: Header=BB1326_96 Depth=2
	s_or_b32 exec_lo, exec_lo, s22
	v_cmp_gt_i32_e32 vcc_lo, 0, v39
	; wave barrier
	v_cndmask_b32_e64 v38, 0x7fffffff, 0, vcc_lo
	v_xor_b32_e32 v198, v38, v39
	v_cmp_ne_u32_e32 vcc_lo, 0x80000000, v198
	v_cndmask_b32_e32 v38, 0x7fffffff, v198, vcc_lo
	v_lshrrev_b32_e32 v38, s52, v38
	v_and_b32_e32 v39, s61, v38
	v_and_b32_e32 v38, 1, v39
	v_lshlrev_b32_e32 v40, 30, v39
	v_lshlrev_b32_e32 v202, 29, v39
	v_lshlrev_b32_e32 v204, 28, v39
	v_lshlrev_b32_e32 v205, 27, v39
	v_add_co_u32 v38, s22, v38, -1
	v_cndmask_b32_e64 v203, 0, 1, s22
	v_not_b32_e32 v207, v40
	v_cmp_gt_i32_e64 s22, 0, v40
	v_not_b32_e32 v40, v202
	v_lshlrev_b32_e32 v206, 26, v39
	v_cmp_ne_u32_e32 vcc_lo, 0, v203
	v_ashrrev_i32_e32 v207, 31, v207
	v_lshlrev_b32_e32 v203, 25, v39
	v_ashrrev_i32_e32 v40, 31, v40
	v_xor_b32_e32 v38, vcc_lo, v38
	v_cmp_gt_i32_e32 vcc_lo, 0, v202
	v_not_b32_e32 v202, v204
	v_xor_b32_e32 v207, s22, v207
	v_cmp_gt_i32_e64 s22, 0, v204
	v_and_b32_e32 v38, exec_lo, v38
	v_not_b32_e32 v204, v205
	v_ashrrev_i32_e32 v202, 31, v202
	v_xor_b32_e32 v40, vcc_lo, v40
	v_cmp_gt_i32_e32 vcc_lo, 0, v205
	v_and_b32_e32 v38, v38, v207
	v_not_b32_e32 v205, v206
	v_ashrrev_i32_e32 v204, 31, v204
	v_xor_b32_e32 v202, s22, v202
	v_cmp_gt_i32_e64 s22, 0, v206
	v_and_b32_e32 v38, v38, v40
	v_not_b32_e32 v40, v203
	v_ashrrev_i32_e32 v205, 31, v205
	v_xor_b32_e32 v204, vcc_lo, v204
	v_cmp_gt_i32_e32 vcc_lo, 0, v203
	v_and_b32_e32 v38, v38, v202
	v_ashrrev_i32_e32 v40, 31, v40
	v_xor_b32_e32 v202, s22, v205
	v_mad_u32_u24 v203, v39, 36, v127
	v_mul_u32_u24_e32 v39, 36, v39
	v_and_b32_e32 v38, v38, v204
	v_xor_b32_e32 v40, vcc_lo, v40
	ds_read_b32 v203, v203 offset:544
	v_add_nc_u32_e32 v205, v127, v39
	v_and_b32_e32 v38, v38, v202
	; wave barrier
	v_and_b32_e32 v38, v38, v40
	v_mbcnt_lo_u32_b32 v204, v38, 0
	v_cmp_ne_u32_e64 s22, 0, v38
	v_cmp_eq_u32_e32 vcc_lo, 0, v204
	s_and_b32 s23, s22, vcc_lo
	s_and_saveexec_b32 s22, s23
	s_cbranch_execz .LBB1326_162
; %bb.161:                              ;   in Loop: Header=BB1326_96 Depth=2
	s_waitcnt lgkmcnt(0)
	v_bcnt_u32_b32 v38, v38, v203
	ds_write_b32 v205, v38 offset:544
.LBB1326_162:                           ;   in Loop: Header=BB1326_96 Depth=2
	s_or_b32 exec_lo, exec_lo, s22
	v_cmp_gt_i32_e32 vcc_lo, 0, v37
	; wave barrier
	v_cndmask_b32_e64 v38, 0x7fffffff, 0, vcc_lo
	v_xor_b32_e32 v202, v38, v37
	v_cmp_ne_u32_e32 vcc_lo, 0x80000000, v202
	v_cndmask_b32_e32 v37, 0x7fffffff, v202, vcc_lo
	v_lshrrev_b32_e32 v37, s52, v37
	v_and_b32_e32 v38, s61, v37
	v_and_b32_e32 v37, 1, v38
	v_lshlrev_b32_e32 v39, 30, v38
	v_lshlrev_b32_e32 v40, 29, v38
	v_lshlrev_b32_e32 v207, 28, v38
	v_lshlrev_b32_e32 v208, 27, v38
	v_add_co_u32 v37, s22, v37, -1
	v_cndmask_b32_e64 v206, 0, 1, s22
	v_not_b32_e32 v210, v39
	v_cmp_gt_i32_e64 s22, 0, v39
	v_not_b32_e32 v39, v40
	v_lshlrev_b32_e32 v209, 26, v38
	v_cmp_ne_u32_e32 vcc_lo, 0, v206
	v_ashrrev_i32_e32 v210, 31, v210
	v_lshlrev_b32_e32 v206, 25, v38
	v_ashrrev_i32_e32 v39, 31, v39
	v_xor_b32_e32 v37, vcc_lo, v37
	v_cmp_gt_i32_e32 vcc_lo, 0, v40
	v_not_b32_e32 v40, v207
	v_xor_b32_e32 v210, s22, v210
	v_cmp_gt_i32_e64 s22, 0, v207
	v_and_b32_e32 v37, exec_lo, v37
	v_not_b32_e32 v207, v208
	v_ashrrev_i32_e32 v40, 31, v40
	v_xor_b32_e32 v39, vcc_lo, v39
	v_cmp_gt_i32_e32 vcc_lo, 0, v208
	v_and_b32_e32 v37, v37, v210
	v_not_b32_e32 v208, v209
	v_ashrrev_i32_e32 v207, 31, v207
	v_xor_b32_e32 v40, s22, v40
	v_cmp_gt_i32_e64 s22, 0, v209
	v_and_b32_e32 v37, v37, v39
	v_not_b32_e32 v39, v206
	v_ashrrev_i32_e32 v208, 31, v208
	v_xor_b32_e32 v207, vcc_lo, v207
	v_cmp_gt_i32_e32 vcc_lo, 0, v206
	v_and_b32_e32 v37, v37, v40
	v_ashrrev_i32_e32 v39, 31, v39
	v_xor_b32_e32 v40, s22, v208
	v_mad_u32_u24 v206, v38, 36, v127
	v_mul_u32_u24_e32 v38, 36, v38
	v_and_b32_e32 v37, v37, v207
	v_xor_b32_e32 v39, vcc_lo, v39
	ds_read_b32 v206, v206 offset:544
	v_add_nc_u32_e32 v208, v127, v38
	v_and_b32_e32 v37, v37, v40
	; wave barrier
	v_and_b32_e32 v37, v37, v39
	v_mbcnt_lo_u32_b32 v207, v37, 0
	v_cmp_ne_u32_e64 s22, 0, v37
	v_cmp_eq_u32_e32 vcc_lo, 0, v207
	s_and_b32 s23, s22, vcc_lo
	s_and_saveexec_b32 s22, s23
	s_cbranch_execz .LBB1326_164
; %bb.163:                              ;   in Loop: Header=BB1326_96 Depth=2
	s_waitcnt lgkmcnt(0)
	v_bcnt_u32_b32 v37, v37, v206
	ds_write_b32 v208, v37 offset:544
.LBB1326_164:                           ;   in Loop: Header=BB1326_96 Depth=2
	s_or_b32 exec_lo, exec_lo, s22
	; wave barrier
	s_waitcnt lgkmcnt(0)
	s_barrier
	buffer_gl0_inv
	ds_read2_b32 v[39:40], v65 offset0:136 offset1:137
	ds_read2_b32 v[37:38], v65 offset0:138 offset1:139
	ds_read_b32 v209, v65 offset:560
	s_waitcnt lgkmcnt(1)
	v_add3_u32 v210, v40, v39, v37
	s_waitcnt lgkmcnt(0)
	v_add3_u32 v209, v210, v38, v209
	v_mov_b32_dpp v210, v209 row_shr:1 row_mask:0xf bank_mask:0xf
	v_cndmask_b32_e64 v210, v210, 0, s5
	v_add_nc_u32_e32 v209, v210, v209
	v_mov_b32_dpp v210, v209 row_shr:2 row_mask:0xf bank_mask:0xf
	v_cndmask_b32_e64 v210, 0, v210, s15
	v_add_nc_u32_e32 v209, v209, v210
	;; [unrolled: 3-line block ×4, first 2 shown]
	ds_swizzle_b32 v210, v209 offset:swizzle(BROADCAST,32,15)
	s_waitcnt lgkmcnt(0)
	v_cndmask_b32_e64 v210, v210, 0, s18
	v_add_nc_u32_e32 v209, v209, v210
	s_and_saveexec_b32 s22, s4
; %bb.165:                              ;   in Loop: Header=BB1326_96 Depth=2
	ds_write_b32 v60, v209 offset:512
; %bb.166:                              ;   in Loop: Header=BB1326_96 Depth=2
	s_or_b32 exec_lo, exec_lo, s22
	s_waitcnt lgkmcnt(0)
	s_barrier
	buffer_gl0_inv
	s_and_saveexec_b32 s22, s11
	s_cbranch_execz .LBB1326_168
; %bb.167:                              ;   in Loop: Header=BB1326_96 Depth=2
	ds_read_b32 v210, v66 offset:512
	s_waitcnt lgkmcnt(0)
	v_mov_b32_dpp v211, v210 row_shr:1 row_mask:0xf bank_mask:0xf
	v_cndmask_b32_e64 v211, v211, 0, s19
	v_add_nc_u32_e32 v210, v211, v210
	v_mov_b32_dpp v211, v210 row_shr:2 row_mask:0xf bank_mask:0xf
	v_cndmask_b32_e64 v211, 0, v211, s20
	v_add_nc_u32_e32 v210, v210, v211
	;; [unrolled: 3-line block ×3, first 2 shown]
	ds_write_b32 v66, v210 offset:512
.LBB1326_168:                           ;   in Loop: Header=BB1326_96 Depth=2
	s_or_b32 exec_lo, exec_lo, s22
	v_mov_b32_e32 v210, 0
	s_waitcnt lgkmcnt(0)
	s_barrier
	buffer_gl0_inv
	s_and_saveexec_b32 s22, s10
; %bb.169:                              ;   in Loop: Header=BB1326_96 Depth=2
	ds_read_b32 v210, v60 offset:508
; %bb.170:                              ;   in Loop: Header=BB1326_96 Depth=2
	s_or_b32 exec_lo, exec_lo, s22
	s_waitcnt lgkmcnt(0)
	v_add_nc_u32_e32 v209, v210, v209
	ds_bpermute_b32 v209, v126, v209
	s_waitcnt lgkmcnt(0)
	v_cndmask_b32_e64 v209, v209, v210, s14
	v_cndmask_b32_e64 v209, v209, 0, s12
	v_add_nc_u32_e32 v39, v209, v39
	v_add_nc_u32_e32 v40, v39, v40
	;; [unrolled: 1-line block ×4, first 2 shown]
	ds_write2_b32 v65, v209, v39 offset0:136 offset1:137
	ds_write2_b32 v65, v40, v37 offset0:138 offset1:139
	ds_write_b32 v65, v38 offset:560
	s_waitcnt lgkmcnt(0)
	s_barrier
	buffer_gl0_inv
	ds_read_b32 v39, v149 offset:544
	ds_read_b32 v40, v153 offset:544
	;; [unrolled: 1-line block ×16, first 2 shown]
	s_and_saveexec_b32 s22, s7
	s_cbranch_execz .LBB1326_174
; %bb.171:                              ;   in Loop: Header=BB1326_96 Depth=2
	ds_read_b32 v140, v68 offset:544
	v_mov_b32_e32 v145, 0x1000
	s_and_saveexec_b32 s23, s13
; %bb.172:                              ;   in Loop: Header=BB1326_96 Depth=2
	ds_read_b32 v145, v67 offset:544
; %bb.173:                              ;   in Loop: Header=BB1326_96 Depth=2
	s_or_b32 exec_lo, exec_lo, s23
	s_waitcnt lgkmcnt(0)
	v_sub_nc_u32_e32 v145, v145, v140
.LBB1326_174:                           ;   in Loop: Header=BB1326_96 Depth=2
	s_or_b32 exec_lo, exec_lo, s22
	s_waitcnt lgkmcnt(0)
	s_barrier
	buffer_gl0_inv
	s_and_saveexec_b32 s22, s7
	s_cbranch_execz .LBB1326_176
; %bb.175:                              ;   in Loop: Header=BB1326_96 Depth=2
	ds_read_b32 v160, v41
	s_waitcnt lgkmcnt(0)
	v_sub_nc_u32_e32 v160, v160, v140
	ds_write_b32 v41, v160
.LBB1326_176:                           ;   in Loop: Header=BB1326_96 Depth=2
	s_or_b32 exec_lo, exec_lo, s22
	v_add_nc_u32_e32 v167, v39, v148
	v_add3_u32 v163, v152, v151, v40
	v_add3_u32 v162, v156, v155, v149
	;; [unrolled: 1-line block ×5, first 2 shown]
	v_lshlrev_b32_e32 v165, 2, v167
	v_add3_u32 v151, v200, v199, v37
	v_lshlrev_b32_e32 v37, 2, v163
	v_add3_u32 v157, v176, v175, v178
	v_add3_u32 v156, v180, v179, v181
	ds_write_b32 v165, v3 offset:512
	v_lshlrev_b32_e32 v3, 2, v162
	ds_write_b32 v37, v147 offset:512
	v_lshlrev_b32_e32 v37, 2, v159
	v_add3_u32 v155, v183, v182, v184
	v_add3_u32 v149, v204, v203, v38
	v_lshlrev_b32_e32 v38, 2, v161
	v_add3_u32 v153, v186, v185, v187
	v_lshlrev_b32_e32 v165, 2, v160
	v_add3_u32 v152, v190, v189, v191
	v_add3_u32 v40, v194, v193, v210
	ds_write_b32 v3, v150 offset:512
	ds_write_b32 v38, v154 offset:512
	;; [unrolled: 1-line block ×3, first 2 shown]
	v_lshlrev_b32_e32 v3, 2, v157
	ds_write_b32 v37, v164 offset:512
	v_lshlrev_b32_e32 v37, 2, v156
	v_lshlrev_b32_e32 v38, 2, v155
	;; [unrolled: 1-line block ×3, first 2 shown]
	v_add3_u32 v39, v197, v196, v211
	v_add3_u32 v148, v207, v206, v173
	ds_write_b32 v3, v169 offset:512
	v_lshlrev_b32_e32 v3, 2, v152
	ds_write_b32 v37, v174 offset:512
	ds_write_b32 v38, v177 offset:512
	;; [unrolled: 1-line block ×3, first 2 shown]
	v_lshlrev_b32_e32 v37, 2, v40
	v_cmp_lt_u32_e32 vcc_lo, v0, v146
	v_lshlrev_b32_e32 v38, 2, v151
	ds_write_b32 v3, v168 offset:512
	v_lshlrev_b32_e32 v3, 2, v39
	ds_write_b32 v37, v188 offset:512
	v_lshlrev_b32_e32 v37, 2, v148
	v_lshlrev_b32_e32 v147, 2, v149
	ds_write_b32 v3, v192 offset:512
	ds_write_b32 v38, v195 offset:512
	;; [unrolled: 1-line block ×4, first 2 shown]
	s_waitcnt lgkmcnt(0)
	s_barrier
	buffer_gl0_inv
	s_and_saveexec_b32 s23, vcc_lo
	s_cbranch_execnz .LBB1326_245
; %bb.177:                              ;   in Loop: Header=BB1326_96 Depth=2
	s_or_b32 exec_lo, exec_lo, s23
	v_cmp_lt_u32_e64 s22, v42, v146
	s_and_saveexec_b32 s24, s22
	s_cbranch_execnz .LBB1326_246
.LBB1326_178:                           ;   in Loop: Header=BB1326_96 Depth=2
	s_or_b32 exec_lo, exec_lo, s24
	v_cmp_lt_u32_e64 s23, v45, v146
	s_and_saveexec_b32 s25, s23
	s_cbranch_execnz .LBB1326_247
.LBB1326_179:                           ;   in Loop: Header=BB1326_96 Depth=2
	s_or_b32 exec_lo, exec_lo, s25
	v_cmp_lt_u32_e64 s24, v46, v146
	s_and_saveexec_b32 s26, s24
	s_cbranch_execnz .LBB1326_248
.LBB1326_180:                           ;   in Loop: Header=BB1326_96 Depth=2
	s_or_b32 exec_lo, exec_lo, s26
	v_cmp_lt_u32_e64 s25, v47, v146
	s_and_saveexec_b32 s28, s25
	s_cbranch_execnz .LBB1326_249
.LBB1326_181:                           ;   in Loop: Header=BB1326_96 Depth=2
	s_or_b32 exec_lo, exec_lo, s28
	v_cmp_lt_u32_e64 s26, v48, v146
	s_and_saveexec_b32 s29, s26
	s_cbranch_execnz .LBB1326_250
.LBB1326_182:                           ;   in Loop: Header=BB1326_96 Depth=2
	s_or_b32 exec_lo, exec_lo, s29
	v_cmp_lt_u32_e64 s28, v49, v146
	s_and_saveexec_b32 s30, s28
	s_cbranch_execnz .LBB1326_251
.LBB1326_183:                           ;   in Loop: Header=BB1326_96 Depth=2
	s_or_b32 exec_lo, exec_lo, s30
	v_cmp_lt_u32_e64 s29, v50, v146
	s_and_saveexec_b32 s31, s29
	s_cbranch_execnz .LBB1326_252
.LBB1326_184:                           ;   in Loop: Header=BB1326_96 Depth=2
	s_or_b32 exec_lo, exec_lo, s31
	v_cmp_lt_u32_e64 s30, v51, v146
	s_and_saveexec_b32 s33, s30
	s_cbranch_execnz .LBB1326_253
.LBB1326_185:                           ;   in Loop: Header=BB1326_96 Depth=2
	s_or_b32 exec_lo, exec_lo, s33
	v_cmp_lt_u32_e64 s31, v52, v146
	s_and_saveexec_b32 s34, s31
	s_cbranch_execnz .LBB1326_254
.LBB1326_186:                           ;   in Loop: Header=BB1326_96 Depth=2
	s_or_b32 exec_lo, exec_lo, s34
	v_cmp_lt_u32_e64 s33, v53, v146
	s_and_saveexec_b32 s35, s33
	s_cbranch_execnz .LBB1326_255
.LBB1326_187:                           ;   in Loop: Header=BB1326_96 Depth=2
	s_or_b32 exec_lo, exec_lo, s35
	v_cmp_lt_u32_e64 s34, v54, v146
	s_and_saveexec_b32 s36, s34
	s_cbranch_execnz .LBB1326_256
.LBB1326_188:                           ;   in Loop: Header=BB1326_96 Depth=2
	s_or_b32 exec_lo, exec_lo, s36
	v_cmp_lt_u32_e64 s35, v55, v146
	s_and_saveexec_b32 s37, s35
	s_cbranch_execnz .LBB1326_257
.LBB1326_189:                           ;   in Loop: Header=BB1326_96 Depth=2
	s_or_b32 exec_lo, exec_lo, s37
	v_cmp_lt_u32_e64 s36, v56, v146
	s_and_saveexec_b32 s38, s36
	s_cbranch_execnz .LBB1326_258
.LBB1326_190:                           ;   in Loop: Header=BB1326_96 Depth=2
	s_or_b32 exec_lo, exec_lo, s38
	v_cmp_lt_u32_e64 s37, v57, v146
	s_and_saveexec_b32 s39, s37
	s_cbranch_execnz .LBB1326_259
.LBB1326_191:                           ;   in Loop: Header=BB1326_96 Depth=2
	s_or_b32 exec_lo, exec_lo, s39
	v_cmp_lt_u32_e64 s38, v58, v146
	s_and_saveexec_b32 s64, s38
	s_cbranch_execz .LBB1326_193
.LBB1326_192:                           ;   in Loop: Header=BB1326_96 Depth=2
	ds_read_b32 v147, v66 offset:15872
	s_waitcnt lgkmcnt(0)
	v_cmp_ne_u32_e64 s39, 0x80000000, v147
	v_cndmask_b32_e64 v3, 0x7fffffff, v147, s39
	v_cmp_gt_i32_e64 s39, 0, v147
	v_lshrrev_b32_e32 v3, s52, v3
	v_cndmask_b32_e64 v150, 0x7fffffff, 0, s39
	v_and_b32_e32 v3, s61, v3
	v_lshlrev_b32_e32 v3, 2, v3
	ds_read_b32 v3, v3
	s_waitcnt lgkmcnt(0)
	v_add_nc_u32_e32 v3, v3, v58
	v_lshlrev_b64 v[37:38], 2, v[3:4]
	v_xor_b32_e32 v3, v150, v147
	v_add_co_u32 v37, s39, s42, v37
	v_add_co_ci_u32_e64 v38, null, s43, v38, s39
	global_store_dword v[37:38], v3, off
.LBB1326_193:                           ;   in Loop: Header=BB1326_96 Depth=2
	s_or_b32 exec_lo, exec_lo, s64
	s_lshl_b64 s[64:65], s[46:47], 3
	v_add_co_u32 v37, s39, v106, s64
	v_add_co_ci_u32_e64 v38, null, s65, v107, s39
	v_cmp_lt_u32_e64 s39, v105, v146
	s_and_saveexec_b32 s46, s39
	s_xor_b32 s39, exec_lo, s46
	s_cbranch_execnz .LBB1326_260
; %bb.194:                              ;   in Loop: Header=BB1326_96 Depth=2
	s_or_b32 exec_lo, exec_lo, s39
	s_mov_b32 s46, exec_lo
	v_cmpx_lt_u32_e64 v108, v146
	s_cbranch_execnz .LBB1326_261
.LBB1326_195:                           ;   in Loop: Header=BB1326_96 Depth=2
	s_or_b32 exec_lo, exec_lo, s46
	s_mov_b32 s46, exec_lo
	v_cmpx_lt_u32_e64 v109, v146
	s_cbranch_execnz .LBB1326_262
.LBB1326_196:                           ;   in Loop: Header=BB1326_96 Depth=2
	s_or_b32 exec_lo, exec_lo, s46
	s_mov_b32 s46, exec_lo
	v_cmpx_lt_u32_e64 v110, v146
	s_cbranch_execnz .LBB1326_263
.LBB1326_197:                           ;   in Loop: Header=BB1326_96 Depth=2
	s_or_b32 exec_lo, exec_lo, s46
	s_mov_b32 s46, exec_lo
	v_cmpx_lt_u32_e64 v111, v146
	s_cbranch_execnz .LBB1326_264
.LBB1326_198:                           ;   in Loop: Header=BB1326_96 Depth=2
	s_or_b32 exec_lo, exec_lo, s46
	s_mov_b32 s46, exec_lo
	v_cmpx_lt_u32_e64 v112, v146
	s_cbranch_execnz .LBB1326_265
.LBB1326_199:                           ;   in Loop: Header=BB1326_96 Depth=2
	s_or_b32 exec_lo, exec_lo, s46
	s_mov_b32 s46, exec_lo
	v_cmpx_lt_u32_e64 v113, v146
	s_cbranch_execnz .LBB1326_266
.LBB1326_200:                           ;   in Loop: Header=BB1326_96 Depth=2
	s_or_b32 exec_lo, exec_lo, s46
	s_mov_b32 s46, exec_lo
	v_cmpx_lt_u32_e64 v114, v146
	s_cbranch_execnz .LBB1326_267
.LBB1326_201:                           ;   in Loop: Header=BB1326_96 Depth=2
	s_or_b32 exec_lo, exec_lo, s46
	s_mov_b32 s46, exec_lo
	v_cmpx_lt_u32_e64 v115, v146
	s_cbranch_execnz .LBB1326_268
.LBB1326_202:                           ;   in Loop: Header=BB1326_96 Depth=2
	s_or_b32 exec_lo, exec_lo, s46
	s_mov_b32 s46, exec_lo
	v_cmpx_lt_u32_e64 v116, v146
	s_cbranch_execnz .LBB1326_269
.LBB1326_203:                           ;   in Loop: Header=BB1326_96 Depth=2
	s_or_b32 exec_lo, exec_lo, s46
	s_mov_b32 s46, exec_lo
	v_cmpx_lt_u32_e64 v117, v146
	s_cbranch_execnz .LBB1326_270
.LBB1326_204:                           ;   in Loop: Header=BB1326_96 Depth=2
	s_or_b32 exec_lo, exec_lo, s46
	s_mov_b32 s46, exec_lo
	v_cmpx_lt_u32_e64 v118, v146
	s_cbranch_execnz .LBB1326_271
.LBB1326_205:                           ;   in Loop: Header=BB1326_96 Depth=2
	s_or_b32 exec_lo, exec_lo, s46
	s_mov_b32 s46, exec_lo
	v_cmpx_lt_u32_e64 v119, v146
	s_cbranch_execnz .LBB1326_272
.LBB1326_206:                           ;   in Loop: Header=BB1326_96 Depth=2
	s_or_b32 exec_lo, exec_lo, s46
	s_mov_b32 s46, exec_lo
	v_cmpx_lt_u32_e64 v121, v146
	s_cbranch_execnz .LBB1326_273
.LBB1326_207:                           ;   in Loop: Header=BB1326_96 Depth=2
	s_or_b32 exec_lo, exec_lo, s46
	s_mov_b32 s46, exec_lo
	v_cmpx_lt_u32_e64 v122, v146
	s_cbranch_execnz .LBB1326_274
.LBB1326_208:                           ;   in Loop: Header=BB1326_96 Depth=2
	s_or_b32 exec_lo, exec_lo, s46
	s_mov_b32 s46, exec_lo
	v_cmpx_lt_u32_e64 v123, v146
	s_cbranch_execnz .LBB1326_275
.LBB1326_209:                           ;   in Loop: Header=BB1326_96 Depth=2
	s_or_b32 exec_lo, exec_lo, s46
	s_and_saveexec_b32 s46, vcc_lo
	s_cbranch_execnz .LBB1326_276
.LBB1326_210:                           ;   in Loop: Header=BB1326_96 Depth=2
	s_or_b32 exec_lo, exec_lo, s46
	s_and_saveexec_b32 s46, s22
	s_cbranch_execnz .LBB1326_277
.LBB1326_211:                           ;   in Loop: Header=BB1326_96 Depth=2
	s_or_b32 exec_lo, exec_lo, s46
	s_and_saveexec_b32 s46, s23
	s_cbranch_execnz .LBB1326_278
.LBB1326_212:                           ;   in Loop: Header=BB1326_96 Depth=2
	s_or_b32 exec_lo, exec_lo, s46
	s_and_saveexec_b32 s46, s24
	s_cbranch_execnz .LBB1326_279
.LBB1326_213:                           ;   in Loop: Header=BB1326_96 Depth=2
	s_or_b32 exec_lo, exec_lo, s46
	s_and_saveexec_b32 s46, s25
	s_cbranch_execnz .LBB1326_280
.LBB1326_214:                           ;   in Loop: Header=BB1326_96 Depth=2
	s_or_b32 exec_lo, exec_lo, s46
	s_and_saveexec_b32 s46, s26
	s_cbranch_execnz .LBB1326_281
.LBB1326_215:                           ;   in Loop: Header=BB1326_96 Depth=2
	s_or_b32 exec_lo, exec_lo, s46
	s_and_saveexec_b32 s46, s28
	s_cbranch_execnz .LBB1326_282
.LBB1326_216:                           ;   in Loop: Header=BB1326_96 Depth=2
	s_or_b32 exec_lo, exec_lo, s46
	s_and_saveexec_b32 s46, s29
	s_cbranch_execnz .LBB1326_283
.LBB1326_217:                           ;   in Loop: Header=BB1326_96 Depth=2
	s_or_b32 exec_lo, exec_lo, s46
	s_and_saveexec_b32 s46, s30
	s_cbranch_execnz .LBB1326_284
.LBB1326_218:                           ;   in Loop: Header=BB1326_96 Depth=2
	s_or_b32 exec_lo, exec_lo, s46
	s_and_saveexec_b32 s46, s31
	s_cbranch_execnz .LBB1326_285
.LBB1326_219:                           ;   in Loop: Header=BB1326_96 Depth=2
	s_or_b32 exec_lo, exec_lo, s46
	s_and_saveexec_b32 s46, s33
	s_cbranch_execnz .LBB1326_286
.LBB1326_220:                           ;   in Loop: Header=BB1326_96 Depth=2
	s_or_b32 exec_lo, exec_lo, s46
	s_and_saveexec_b32 s46, s34
	s_cbranch_execnz .LBB1326_287
.LBB1326_221:                           ;   in Loop: Header=BB1326_96 Depth=2
	s_or_b32 exec_lo, exec_lo, s46
	s_and_saveexec_b32 s46, s35
	s_cbranch_execnz .LBB1326_288
.LBB1326_222:                           ;   in Loop: Header=BB1326_96 Depth=2
	s_or_b32 exec_lo, exec_lo, s46
	s_and_saveexec_b32 s46, s36
	s_cbranch_execnz .LBB1326_289
.LBB1326_223:                           ;   in Loop: Header=BB1326_96 Depth=2
	s_or_b32 exec_lo, exec_lo, s46
	s_and_saveexec_b32 s46, s37
	s_cbranch_execnz .LBB1326_290
.LBB1326_224:                           ;   in Loop: Header=BB1326_96 Depth=2
	s_or_b32 exec_lo, exec_lo, s46
	s_and_saveexec_b32 s46, s38
	s_cbranch_execz .LBB1326_226
.LBB1326_225:                           ;   in Loop: Header=BB1326_96 Depth=2
	ds_read_b32 v3, v66 offset:15872
	s_waitcnt lgkmcnt(0)
	v_cmp_ne_u32_e64 s39, 0x80000000, v3
	v_cndmask_b32_e64 v3, 0x7fffffff, v3, s39
	v_lshrrev_b32_e32 v3, s52, v3
	v_and_b32_e32 v128, s61, v3
.LBB1326_226:                           ;   in Loop: Header=BB1326_96 Depth=2
	s_or_b32 exec_lo, exec_lo, s46
	v_lshlrev_b32_e32 v3, 3, v167
	v_lshlrev_b32_e32 v37, 3, v163
	s_waitcnt vmcnt(0)
	s_waitcnt_vscnt null, 0x0
	s_barrier
	buffer_gl0_inv
	ds_write_b64 v3, v[35:36] offset:512
	v_lshlrev_b32_e32 v3, 3, v162
	v_lshlrev_b32_e32 v38, 3, v161
	;; [unrolled: 1-line block ×4, first 2 shown]
	ds_write_b64 v37, v[33:34] offset:512
	ds_write_b64 v3, v[31:32] offset:512
	;; [unrolled: 1-line block ×5, first 2 shown]
	v_lshlrev_b32_e32 v3, 3, v157
	v_lshlrev_b32_e32 v37, 3, v156
	;; [unrolled: 1-line block ×5, first 2 shown]
	ds_write_b64 v3, v[19:20] offset:512
	ds_write_b64 v37, v[15:16] offset:512
	;; [unrolled: 1-line block ×5, first 2 shown]
	v_lshlrev_b32_e32 v3, 3, v40
	v_lshlrev_b32_e32 v37, 3, v39
	;; [unrolled: 1-line block ×5, first 2 shown]
	ds_write_b64 v3, v[13:14] offset:512
	ds_write_b64 v37, v[11:12] offset:512
	;; [unrolled: 1-line block ×5, first 2 shown]
	s_waitcnt lgkmcnt(0)
	s_barrier
	buffer_gl0_inv
	s_and_saveexec_b32 s39, vcc_lo
	s_cbranch_execnz .LBB1326_291
; %bb.227:                              ;   in Loop: Header=BB1326_96 Depth=2
	s_or_b32 exec_lo, exec_lo, s39
	s_and_saveexec_b32 s39, s22
	s_cbranch_execnz .LBB1326_292
.LBB1326_228:                           ;   in Loop: Header=BB1326_96 Depth=2
	s_or_b32 exec_lo, exec_lo, s39
	s_and_saveexec_b32 s22, s23
	s_cbranch_execnz .LBB1326_293
.LBB1326_229:                           ;   in Loop: Header=BB1326_96 Depth=2
	s_or_b32 exec_lo, exec_lo, s22
	s_and_saveexec_b32 s22, s24
	s_cbranch_execnz .LBB1326_294
.LBB1326_230:                           ;   in Loop: Header=BB1326_96 Depth=2
	s_or_b32 exec_lo, exec_lo, s22
	s_and_saveexec_b32 s22, s25
	s_cbranch_execnz .LBB1326_295
.LBB1326_231:                           ;   in Loop: Header=BB1326_96 Depth=2
	s_or_b32 exec_lo, exec_lo, s22
	s_and_saveexec_b32 s22, s26
	s_cbranch_execnz .LBB1326_296
.LBB1326_232:                           ;   in Loop: Header=BB1326_96 Depth=2
	s_or_b32 exec_lo, exec_lo, s22
	s_and_saveexec_b32 s22, s28
	s_cbranch_execnz .LBB1326_297
.LBB1326_233:                           ;   in Loop: Header=BB1326_96 Depth=2
	s_or_b32 exec_lo, exec_lo, s22
	s_and_saveexec_b32 s22, s29
	s_cbranch_execnz .LBB1326_298
.LBB1326_234:                           ;   in Loop: Header=BB1326_96 Depth=2
	s_or_b32 exec_lo, exec_lo, s22
	s_and_saveexec_b32 s22, s30
	s_cbranch_execnz .LBB1326_299
.LBB1326_235:                           ;   in Loop: Header=BB1326_96 Depth=2
	s_or_b32 exec_lo, exec_lo, s22
	s_and_saveexec_b32 s22, s31
	s_cbranch_execnz .LBB1326_300
.LBB1326_236:                           ;   in Loop: Header=BB1326_96 Depth=2
	s_or_b32 exec_lo, exec_lo, s22
	s_and_saveexec_b32 s22, s33
	s_cbranch_execnz .LBB1326_301
.LBB1326_237:                           ;   in Loop: Header=BB1326_96 Depth=2
	s_or_b32 exec_lo, exec_lo, s22
	s_and_saveexec_b32 s22, s34
	s_cbranch_execnz .LBB1326_302
.LBB1326_238:                           ;   in Loop: Header=BB1326_96 Depth=2
	s_or_b32 exec_lo, exec_lo, s22
	s_and_saveexec_b32 s22, s35
	s_cbranch_execnz .LBB1326_303
.LBB1326_239:                           ;   in Loop: Header=BB1326_96 Depth=2
	s_or_b32 exec_lo, exec_lo, s22
	s_and_saveexec_b32 s22, s36
	s_cbranch_execnz .LBB1326_304
.LBB1326_240:                           ;   in Loop: Header=BB1326_96 Depth=2
	s_or_b32 exec_lo, exec_lo, s22
	s_and_saveexec_b32 s22, s37
	s_cbranch_execnz .LBB1326_305
.LBB1326_241:                           ;   in Loop: Header=BB1326_96 Depth=2
	s_or_b32 exec_lo, exec_lo, s22
	s_and_saveexec_b32 s22, s38
	s_cbranch_execz .LBB1326_243
.LBB1326_242:                           ;   in Loop: Header=BB1326_96 Depth=2
	v_lshlrev_b32_e32 v3, 2, v128
	v_add_nc_u32_e32 v37, v66, v41
	ds_read_b32 v3, v3
	ds_read_b64 v[37:38], v37 offset:31232
	s_waitcnt lgkmcnt(1)
	v_add_nc_u32_e32 v3, v3, v58
	v_lshlrev_b64 v[39:40], 3, v[3:4]
	v_add_co_u32 v39, vcc_lo, s48, v39
	v_add_co_ci_u32_e64 v40, null, s49, v40, vcc_lo
	s_waitcnt lgkmcnt(0)
	global_store_dwordx2 v[39:40], v[37:38], off
.LBB1326_243:                           ;   in Loop: Header=BB1326_96 Depth=2
	s_or_b32 exec_lo, exec_lo, s22
	s_waitcnt_vscnt null, 0x0
	s_barrier
	buffer_gl0_inv
	s_and_saveexec_b32 s22, s7
	s_cbranch_execz .LBB1326_95
; %bb.244:                              ;   in Loop: Header=BB1326_96 Depth=2
	ds_read_b32 v3, v41
	s_waitcnt lgkmcnt(0)
	v_add3_u32 v3, v140, v145, v3
	ds_write_b32 v41, v3
	s_branch .LBB1326_95
.LBB1326_245:                           ;   in Loop: Header=BB1326_96 Depth=2
	ds_read_b32 v147, v66 offset:512
	s_waitcnt lgkmcnt(0)
	v_cmp_ne_u32_e64 s22, 0x80000000, v147
	v_cndmask_b32_e64 v3, 0x7fffffff, v147, s22
	v_cmp_gt_i32_e64 s22, 0, v147
	v_lshrrev_b32_e32 v3, s52, v3
	v_cndmask_b32_e64 v150, 0x7fffffff, 0, s22
	v_and_b32_e32 v3, s61, v3
	v_lshlrev_b32_e32 v3, 2, v3
	ds_read_b32 v3, v3
	s_waitcnt lgkmcnt(0)
	v_add_nc_u32_e32 v3, v3, v0
	v_lshlrev_b64 v[37:38], 2, v[3:4]
	v_xor_b32_e32 v3, v150, v147
	v_add_co_u32 v37, s22, s42, v37
	v_add_co_ci_u32_e64 v38, null, s43, v38, s22
	global_store_dword v[37:38], v3, off
	s_or_b32 exec_lo, exec_lo, s23
	v_cmp_lt_u32_e64 s22, v42, v146
	s_and_saveexec_b32 s24, s22
	s_cbranch_execz .LBB1326_178
.LBB1326_246:                           ;   in Loop: Header=BB1326_96 Depth=2
	ds_read_b32 v147, v66 offset:1536
	s_waitcnt lgkmcnt(0)
	v_cmp_ne_u32_e64 s23, 0x80000000, v147
	v_cndmask_b32_e64 v3, 0x7fffffff, v147, s23
	v_cmp_gt_i32_e64 s23, 0, v147
	v_lshrrev_b32_e32 v3, s52, v3
	v_cndmask_b32_e64 v150, 0x7fffffff, 0, s23
	v_and_b32_e32 v3, s61, v3
	v_lshlrev_b32_e32 v3, 2, v3
	ds_read_b32 v3, v3
	s_waitcnt lgkmcnt(0)
	v_add_nc_u32_e32 v3, v3, v42
	v_lshlrev_b64 v[37:38], 2, v[3:4]
	v_xor_b32_e32 v3, v150, v147
	v_add_co_u32 v37, s23, s42, v37
	v_add_co_ci_u32_e64 v38, null, s43, v38, s23
	global_store_dword v[37:38], v3, off
	s_or_b32 exec_lo, exec_lo, s24
	v_cmp_lt_u32_e64 s23, v45, v146
	s_and_saveexec_b32 s25, s23
	s_cbranch_execz .LBB1326_179
.LBB1326_247:                           ;   in Loop: Header=BB1326_96 Depth=2
	ds_read_b32 v147, v66 offset:2560
	s_waitcnt lgkmcnt(0)
	v_cmp_ne_u32_e64 s24, 0x80000000, v147
	v_cndmask_b32_e64 v3, 0x7fffffff, v147, s24
	v_cmp_gt_i32_e64 s24, 0, v147
	v_lshrrev_b32_e32 v3, s52, v3
	v_cndmask_b32_e64 v150, 0x7fffffff, 0, s24
	v_and_b32_e32 v3, s61, v3
	v_lshlrev_b32_e32 v3, 2, v3
	ds_read_b32 v3, v3
	s_waitcnt lgkmcnt(0)
	v_add_nc_u32_e32 v3, v3, v45
	v_lshlrev_b64 v[37:38], 2, v[3:4]
	v_xor_b32_e32 v3, v150, v147
	v_add_co_u32 v37, s24, s42, v37
	v_add_co_ci_u32_e64 v38, null, s43, v38, s24
	global_store_dword v[37:38], v3, off
	s_or_b32 exec_lo, exec_lo, s25
	v_cmp_lt_u32_e64 s24, v46, v146
	s_and_saveexec_b32 s26, s24
	s_cbranch_execz .LBB1326_180
.LBB1326_248:                           ;   in Loop: Header=BB1326_96 Depth=2
	ds_read_b32 v147, v66 offset:3584
	s_waitcnt lgkmcnt(0)
	v_cmp_ne_u32_e64 s25, 0x80000000, v147
	v_cndmask_b32_e64 v3, 0x7fffffff, v147, s25
	v_cmp_gt_i32_e64 s25, 0, v147
	v_lshrrev_b32_e32 v3, s52, v3
	v_cndmask_b32_e64 v150, 0x7fffffff, 0, s25
	v_and_b32_e32 v3, s61, v3
	v_lshlrev_b32_e32 v3, 2, v3
	ds_read_b32 v3, v3
	s_waitcnt lgkmcnt(0)
	v_add_nc_u32_e32 v3, v3, v46
	v_lshlrev_b64 v[37:38], 2, v[3:4]
	v_xor_b32_e32 v3, v150, v147
	v_add_co_u32 v37, s25, s42, v37
	v_add_co_ci_u32_e64 v38, null, s43, v38, s25
	global_store_dword v[37:38], v3, off
	s_or_b32 exec_lo, exec_lo, s26
	v_cmp_lt_u32_e64 s25, v47, v146
	s_and_saveexec_b32 s28, s25
	s_cbranch_execz .LBB1326_181
.LBB1326_249:                           ;   in Loop: Header=BB1326_96 Depth=2
	ds_read_b32 v147, v66 offset:4608
	s_waitcnt lgkmcnt(0)
	v_cmp_ne_u32_e64 s26, 0x80000000, v147
	v_cndmask_b32_e64 v3, 0x7fffffff, v147, s26
	v_cmp_gt_i32_e64 s26, 0, v147
	v_lshrrev_b32_e32 v3, s52, v3
	v_cndmask_b32_e64 v150, 0x7fffffff, 0, s26
	v_and_b32_e32 v3, s61, v3
	v_lshlrev_b32_e32 v3, 2, v3
	ds_read_b32 v3, v3
	s_waitcnt lgkmcnt(0)
	v_add_nc_u32_e32 v3, v3, v47
	v_lshlrev_b64 v[37:38], 2, v[3:4]
	v_xor_b32_e32 v3, v150, v147
	v_add_co_u32 v37, s26, s42, v37
	v_add_co_ci_u32_e64 v38, null, s43, v38, s26
	global_store_dword v[37:38], v3, off
	s_or_b32 exec_lo, exec_lo, s28
	v_cmp_lt_u32_e64 s26, v48, v146
	s_and_saveexec_b32 s29, s26
	s_cbranch_execz .LBB1326_182
.LBB1326_250:                           ;   in Loop: Header=BB1326_96 Depth=2
	ds_read_b32 v147, v66 offset:5632
	s_waitcnt lgkmcnt(0)
	v_cmp_ne_u32_e64 s28, 0x80000000, v147
	v_cndmask_b32_e64 v3, 0x7fffffff, v147, s28
	v_cmp_gt_i32_e64 s28, 0, v147
	v_lshrrev_b32_e32 v3, s52, v3
	v_cndmask_b32_e64 v150, 0x7fffffff, 0, s28
	v_and_b32_e32 v3, s61, v3
	v_lshlrev_b32_e32 v3, 2, v3
	ds_read_b32 v3, v3
	s_waitcnt lgkmcnt(0)
	v_add_nc_u32_e32 v3, v3, v48
	v_lshlrev_b64 v[37:38], 2, v[3:4]
	v_xor_b32_e32 v3, v150, v147
	v_add_co_u32 v37, s28, s42, v37
	v_add_co_ci_u32_e64 v38, null, s43, v38, s28
	global_store_dword v[37:38], v3, off
	s_or_b32 exec_lo, exec_lo, s29
	v_cmp_lt_u32_e64 s28, v49, v146
	s_and_saveexec_b32 s30, s28
	s_cbranch_execz .LBB1326_183
.LBB1326_251:                           ;   in Loop: Header=BB1326_96 Depth=2
	ds_read_b32 v147, v66 offset:6656
	s_waitcnt lgkmcnt(0)
	v_cmp_ne_u32_e64 s29, 0x80000000, v147
	v_cndmask_b32_e64 v3, 0x7fffffff, v147, s29
	v_cmp_gt_i32_e64 s29, 0, v147
	v_lshrrev_b32_e32 v3, s52, v3
	v_cndmask_b32_e64 v150, 0x7fffffff, 0, s29
	v_and_b32_e32 v3, s61, v3
	v_lshlrev_b32_e32 v3, 2, v3
	ds_read_b32 v3, v3
	s_waitcnt lgkmcnt(0)
	v_add_nc_u32_e32 v3, v3, v49
	v_lshlrev_b64 v[37:38], 2, v[3:4]
	v_xor_b32_e32 v3, v150, v147
	v_add_co_u32 v37, s29, s42, v37
	v_add_co_ci_u32_e64 v38, null, s43, v38, s29
	global_store_dword v[37:38], v3, off
	s_or_b32 exec_lo, exec_lo, s30
	v_cmp_lt_u32_e64 s29, v50, v146
	s_and_saveexec_b32 s31, s29
	s_cbranch_execz .LBB1326_184
.LBB1326_252:                           ;   in Loop: Header=BB1326_96 Depth=2
	ds_read_b32 v147, v66 offset:7680
	s_waitcnt lgkmcnt(0)
	v_cmp_ne_u32_e64 s30, 0x80000000, v147
	v_cndmask_b32_e64 v3, 0x7fffffff, v147, s30
	v_cmp_gt_i32_e64 s30, 0, v147
	v_lshrrev_b32_e32 v3, s52, v3
	v_cndmask_b32_e64 v150, 0x7fffffff, 0, s30
	v_and_b32_e32 v3, s61, v3
	v_lshlrev_b32_e32 v3, 2, v3
	ds_read_b32 v3, v3
	s_waitcnt lgkmcnt(0)
	v_add_nc_u32_e32 v3, v3, v50
	v_lshlrev_b64 v[37:38], 2, v[3:4]
	v_xor_b32_e32 v3, v150, v147
	v_add_co_u32 v37, s30, s42, v37
	v_add_co_ci_u32_e64 v38, null, s43, v38, s30
	global_store_dword v[37:38], v3, off
	s_or_b32 exec_lo, exec_lo, s31
	v_cmp_lt_u32_e64 s30, v51, v146
	s_and_saveexec_b32 s33, s30
	s_cbranch_execz .LBB1326_185
.LBB1326_253:                           ;   in Loop: Header=BB1326_96 Depth=2
	ds_read_b32 v147, v66 offset:8704
	s_waitcnt lgkmcnt(0)
	v_cmp_ne_u32_e64 s31, 0x80000000, v147
	v_cndmask_b32_e64 v3, 0x7fffffff, v147, s31
	v_cmp_gt_i32_e64 s31, 0, v147
	v_lshrrev_b32_e32 v3, s52, v3
	v_cndmask_b32_e64 v150, 0x7fffffff, 0, s31
	v_and_b32_e32 v3, s61, v3
	v_lshlrev_b32_e32 v3, 2, v3
	ds_read_b32 v3, v3
	s_waitcnt lgkmcnt(0)
	v_add_nc_u32_e32 v3, v3, v51
	v_lshlrev_b64 v[37:38], 2, v[3:4]
	v_xor_b32_e32 v3, v150, v147
	v_add_co_u32 v37, s31, s42, v37
	v_add_co_ci_u32_e64 v38, null, s43, v38, s31
	global_store_dword v[37:38], v3, off
	s_or_b32 exec_lo, exec_lo, s33
	v_cmp_lt_u32_e64 s31, v52, v146
	s_and_saveexec_b32 s34, s31
	s_cbranch_execz .LBB1326_186
.LBB1326_254:                           ;   in Loop: Header=BB1326_96 Depth=2
	ds_read_b32 v147, v66 offset:9728
	s_waitcnt lgkmcnt(0)
	v_cmp_ne_u32_e64 s33, 0x80000000, v147
	v_cndmask_b32_e64 v3, 0x7fffffff, v147, s33
	v_cmp_gt_i32_e64 s33, 0, v147
	v_lshrrev_b32_e32 v3, s52, v3
	v_cndmask_b32_e64 v150, 0x7fffffff, 0, s33
	v_and_b32_e32 v3, s61, v3
	v_lshlrev_b32_e32 v3, 2, v3
	ds_read_b32 v3, v3
	s_waitcnt lgkmcnt(0)
	v_add_nc_u32_e32 v3, v3, v52
	v_lshlrev_b64 v[37:38], 2, v[3:4]
	v_xor_b32_e32 v3, v150, v147
	v_add_co_u32 v37, s33, s42, v37
	v_add_co_ci_u32_e64 v38, null, s43, v38, s33
	global_store_dword v[37:38], v3, off
	s_or_b32 exec_lo, exec_lo, s34
	v_cmp_lt_u32_e64 s33, v53, v146
	s_and_saveexec_b32 s35, s33
	s_cbranch_execz .LBB1326_187
.LBB1326_255:                           ;   in Loop: Header=BB1326_96 Depth=2
	ds_read_b32 v147, v66 offset:10752
	s_waitcnt lgkmcnt(0)
	v_cmp_ne_u32_e64 s34, 0x80000000, v147
	v_cndmask_b32_e64 v3, 0x7fffffff, v147, s34
	v_cmp_gt_i32_e64 s34, 0, v147
	v_lshrrev_b32_e32 v3, s52, v3
	v_cndmask_b32_e64 v150, 0x7fffffff, 0, s34
	v_and_b32_e32 v3, s61, v3
	v_lshlrev_b32_e32 v3, 2, v3
	ds_read_b32 v3, v3
	s_waitcnt lgkmcnt(0)
	v_add_nc_u32_e32 v3, v3, v53
	v_lshlrev_b64 v[37:38], 2, v[3:4]
	v_xor_b32_e32 v3, v150, v147
	v_add_co_u32 v37, s34, s42, v37
	v_add_co_ci_u32_e64 v38, null, s43, v38, s34
	global_store_dword v[37:38], v3, off
	s_or_b32 exec_lo, exec_lo, s35
	v_cmp_lt_u32_e64 s34, v54, v146
	s_and_saveexec_b32 s36, s34
	s_cbranch_execz .LBB1326_188
.LBB1326_256:                           ;   in Loop: Header=BB1326_96 Depth=2
	ds_read_b32 v147, v66 offset:11776
	s_waitcnt lgkmcnt(0)
	v_cmp_ne_u32_e64 s35, 0x80000000, v147
	v_cndmask_b32_e64 v3, 0x7fffffff, v147, s35
	v_cmp_gt_i32_e64 s35, 0, v147
	v_lshrrev_b32_e32 v3, s52, v3
	v_cndmask_b32_e64 v150, 0x7fffffff, 0, s35
	v_and_b32_e32 v3, s61, v3
	v_lshlrev_b32_e32 v3, 2, v3
	ds_read_b32 v3, v3
	s_waitcnt lgkmcnt(0)
	v_add_nc_u32_e32 v3, v3, v54
	v_lshlrev_b64 v[37:38], 2, v[3:4]
	v_xor_b32_e32 v3, v150, v147
	v_add_co_u32 v37, s35, s42, v37
	v_add_co_ci_u32_e64 v38, null, s43, v38, s35
	global_store_dword v[37:38], v3, off
	s_or_b32 exec_lo, exec_lo, s36
	v_cmp_lt_u32_e64 s35, v55, v146
	s_and_saveexec_b32 s37, s35
	s_cbranch_execz .LBB1326_189
.LBB1326_257:                           ;   in Loop: Header=BB1326_96 Depth=2
	ds_read_b32 v147, v66 offset:12800
	s_waitcnt lgkmcnt(0)
	v_cmp_ne_u32_e64 s36, 0x80000000, v147
	v_cndmask_b32_e64 v3, 0x7fffffff, v147, s36
	v_cmp_gt_i32_e64 s36, 0, v147
	v_lshrrev_b32_e32 v3, s52, v3
	v_cndmask_b32_e64 v150, 0x7fffffff, 0, s36
	v_and_b32_e32 v3, s61, v3
	v_lshlrev_b32_e32 v3, 2, v3
	ds_read_b32 v3, v3
	s_waitcnt lgkmcnt(0)
	v_add_nc_u32_e32 v3, v3, v55
	v_lshlrev_b64 v[37:38], 2, v[3:4]
	v_xor_b32_e32 v3, v150, v147
	v_add_co_u32 v37, s36, s42, v37
	v_add_co_ci_u32_e64 v38, null, s43, v38, s36
	global_store_dword v[37:38], v3, off
	s_or_b32 exec_lo, exec_lo, s37
	v_cmp_lt_u32_e64 s36, v56, v146
	s_and_saveexec_b32 s38, s36
	s_cbranch_execz .LBB1326_190
.LBB1326_258:                           ;   in Loop: Header=BB1326_96 Depth=2
	ds_read_b32 v147, v66 offset:13824
	s_waitcnt lgkmcnt(0)
	v_cmp_ne_u32_e64 s37, 0x80000000, v147
	v_cndmask_b32_e64 v3, 0x7fffffff, v147, s37
	v_cmp_gt_i32_e64 s37, 0, v147
	v_lshrrev_b32_e32 v3, s52, v3
	v_cndmask_b32_e64 v150, 0x7fffffff, 0, s37
	v_and_b32_e32 v3, s61, v3
	v_lshlrev_b32_e32 v3, 2, v3
	ds_read_b32 v3, v3
	s_waitcnt lgkmcnt(0)
	v_add_nc_u32_e32 v3, v3, v56
	v_lshlrev_b64 v[37:38], 2, v[3:4]
	v_xor_b32_e32 v3, v150, v147
	v_add_co_u32 v37, s37, s42, v37
	v_add_co_ci_u32_e64 v38, null, s43, v38, s37
	global_store_dword v[37:38], v3, off
	s_or_b32 exec_lo, exec_lo, s38
	v_cmp_lt_u32_e64 s37, v57, v146
	s_and_saveexec_b32 s39, s37
	s_cbranch_execz .LBB1326_191
.LBB1326_259:                           ;   in Loop: Header=BB1326_96 Depth=2
	ds_read_b32 v147, v66 offset:14848
	s_waitcnt lgkmcnt(0)
	v_cmp_ne_u32_e64 s38, 0x80000000, v147
	v_cndmask_b32_e64 v3, 0x7fffffff, v147, s38
	v_cmp_gt_i32_e64 s38, 0, v147
	v_lshrrev_b32_e32 v3, s52, v3
	v_cndmask_b32_e64 v150, 0x7fffffff, 0, s38
	v_and_b32_e32 v3, s61, v3
	v_lshlrev_b32_e32 v3, 2, v3
	ds_read_b32 v3, v3
	s_waitcnt lgkmcnt(0)
	v_add_nc_u32_e32 v3, v3, v57
	v_lshlrev_b64 v[37:38], 2, v[3:4]
	v_xor_b32_e32 v3, v150, v147
	v_add_co_u32 v37, s38, s42, v37
	v_add_co_ci_u32_e64 v38, null, s43, v38, s38
	global_store_dword v[37:38], v3, off
	s_or_b32 exec_lo, exec_lo, s39
	v_cmp_lt_u32_e64 s38, v58, v146
	s_and_saveexec_b32 s64, s38
	s_cbranch_execnz .LBB1326_192
	s_branch .LBB1326_193
.LBB1326_260:                           ;   in Loop: Header=BB1326_96 Depth=2
	global_load_dwordx2 v[35:36], v[37:38], off
	s_or_b32 exec_lo, exec_lo, s39
	s_mov_b32 s46, exec_lo
	v_cmpx_lt_u32_e64 v108, v146
	s_cbranch_execz .LBB1326_195
.LBB1326_261:                           ;   in Loop: Header=BB1326_96 Depth=2
	global_load_dwordx2 v[33:34], v[37:38], off offset:256
	s_or_b32 exec_lo, exec_lo, s46
	s_mov_b32 s46, exec_lo
	v_cmpx_lt_u32_e64 v109, v146
	s_cbranch_execz .LBB1326_196
.LBB1326_262:                           ;   in Loop: Header=BB1326_96 Depth=2
	global_load_dwordx2 v[31:32], v[37:38], off offset:512
	s_or_b32 exec_lo, exec_lo, s46
	s_mov_b32 s46, exec_lo
	v_cmpx_lt_u32_e64 v110, v146
	s_cbranch_execz .LBB1326_197
.LBB1326_263:                           ;   in Loop: Header=BB1326_96 Depth=2
	global_load_dwordx2 v[29:30], v[37:38], off offset:768
	s_or_b32 exec_lo, exec_lo, s46
	s_mov_b32 s46, exec_lo
	v_cmpx_lt_u32_e64 v111, v146
	s_cbranch_execz .LBB1326_198
.LBB1326_264:                           ;   in Loop: Header=BB1326_96 Depth=2
	global_load_dwordx2 v[27:28], v[37:38], off offset:1024
	s_or_b32 exec_lo, exec_lo, s46
	s_mov_b32 s46, exec_lo
	v_cmpx_lt_u32_e64 v112, v146
	s_cbranch_execz .LBB1326_199
.LBB1326_265:                           ;   in Loop: Header=BB1326_96 Depth=2
	global_load_dwordx2 v[23:24], v[37:38], off offset:1280
	s_or_b32 exec_lo, exec_lo, s46
	s_mov_b32 s46, exec_lo
	v_cmpx_lt_u32_e64 v113, v146
	s_cbranch_execz .LBB1326_200
.LBB1326_266:                           ;   in Loop: Header=BB1326_96 Depth=2
	global_load_dwordx2 v[19:20], v[37:38], off offset:1536
	s_or_b32 exec_lo, exec_lo, s46
	s_mov_b32 s46, exec_lo
	v_cmpx_lt_u32_e64 v114, v146
	s_cbranch_execz .LBB1326_201
.LBB1326_267:                           ;   in Loop: Header=BB1326_96 Depth=2
	global_load_dwordx2 v[15:16], v[37:38], off offset:1792
	s_or_b32 exec_lo, exec_lo, s46
	s_mov_b32 s46, exec_lo
	v_cmpx_lt_u32_e64 v115, v146
	s_cbranch_execz .LBB1326_202
.LBB1326_268:                           ;   in Loop: Header=BB1326_96 Depth=2
	v_add_co_u32 v25, s39, 0x800, v37
	v_add_co_ci_u32_e64 v26, null, 0, v38, s39
	global_load_dwordx2 v[25:26], v[25:26], off
	s_or_b32 exec_lo, exec_lo, s46
	s_mov_b32 s46, exec_lo
	v_cmpx_lt_u32_e64 v116, v146
	s_cbranch_execz .LBB1326_203
.LBB1326_269:                           ;   in Loop: Header=BB1326_96 Depth=2
	v_add_co_u32 v21, s39, 0x800, v37
	v_add_co_ci_u32_e64 v22, null, 0, v38, s39
	global_load_dwordx2 v[21:22], v[21:22], off offset:256
	s_or_b32 exec_lo, exec_lo, s46
	s_mov_b32 s46, exec_lo
	v_cmpx_lt_u32_e64 v117, v146
	s_cbranch_execz .LBB1326_204
.LBB1326_270:                           ;   in Loop: Header=BB1326_96 Depth=2
	v_add_co_u32 v17, s39, 0x800, v37
	v_add_co_ci_u32_e64 v18, null, 0, v38, s39
	global_load_dwordx2 v[17:18], v[17:18], off offset:512
	s_or_b32 exec_lo, exec_lo, s46
	s_mov_b32 s46, exec_lo
	v_cmpx_lt_u32_e64 v118, v146
	s_cbranch_execz .LBB1326_205
.LBB1326_271:                           ;   in Loop: Header=BB1326_96 Depth=2
	v_add_co_u32 v13, s39, 0x800, v37
	v_add_co_ci_u32_e64 v14, null, 0, v38, s39
	global_load_dwordx2 v[13:14], v[13:14], off offset:768
	s_or_b32 exec_lo, exec_lo, s46
	s_mov_b32 s46, exec_lo
	v_cmpx_lt_u32_e64 v119, v146
	s_cbranch_execz .LBB1326_206
.LBB1326_272:                           ;   in Loop: Header=BB1326_96 Depth=2
	v_add_co_u32 v11, s39, 0x800, v37
	v_add_co_ci_u32_e64 v12, null, 0, v38, s39
	global_load_dwordx2 v[11:12], v[11:12], off offset:1024
	s_or_b32 exec_lo, exec_lo, s46
	s_mov_b32 s46, exec_lo
	v_cmpx_lt_u32_e64 v121, v146
	s_cbranch_execz .LBB1326_207
.LBB1326_273:                           ;   in Loop: Header=BB1326_96 Depth=2
	v_add_co_u32 v9, s39, 0x800, v37
	v_add_co_ci_u32_e64 v10, null, 0, v38, s39
	global_load_dwordx2 v[9:10], v[9:10], off offset:1280
	s_or_b32 exec_lo, exec_lo, s46
	s_mov_b32 s46, exec_lo
	v_cmpx_lt_u32_e64 v122, v146
	s_cbranch_execz .LBB1326_208
.LBB1326_274:                           ;   in Loop: Header=BB1326_96 Depth=2
	v_add_co_u32 v7, s39, 0x800, v37
	v_add_co_ci_u32_e64 v8, null, 0, v38, s39
	global_load_dwordx2 v[7:8], v[7:8], off offset:1536
	s_or_b32 exec_lo, exec_lo, s46
	s_mov_b32 s46, exec_lo
	v_cmpx_lt_u32_e64 v123, v146
	s_cbranch_execz .LBB1326_209
.LBB1326_275:                           ;   in Loop: Header=BB1326_96 Depth=2
	v_add_co_u32 v5, s39, 0x800, v37
	v_add_co_ci_u32_e64 v6, null, 0, v38, s39
	global_load_dwordx2 v[5:6], v[5:6], off offset:1792
	s_or_b32 exec_lo, exec_lo, s46
	s_and_saveexec_b32 s46, vcc_lo
	s_cbranch_execz .LBB1326_210
.LBB1326_276:                           ;   in Loop: Header=BB1326_96 Depth=2
	ds_read_b32 v3, v66 offset:512
	s_waitcnt lgkmcnt(0)
	v_cmp_ne_u32_e64 s39, 0x80000000, v3
	v_cndmask_b32_e64 v3, 0x7fffffff, v3, s39
	v_lshrrev_b32_e32 v3, s52, v3
	v_and_b32_e32 v144, s61, v3
	s_or_b32 exec_lo, exec_lo, s46
	s_and_saveexec_b32 s46, s22
	s_cbranch_execz .LBB1326_211
.LBB1326_277:                           ;   in Loop: Header=BB1326_96 Depth=2
	ds_read_b32 v3, v66 offset:1536
	s_waitcnt lgkmcnt(0)
	v_cmp_ne_u32_e64 s39, 0x80000000, v3
	v_cndmask_b32_e64 v3, 0x7fffffff, v3, s39
	v_lshrrev_b32_e32 v3, s52, v3
	v_and_b32_e32 v143, s61, v3
	s_or_b32 exec_lo, exec_lo, s46
	s_and_saveexec_b32 s46, s23
	s_cbranch_execz .LBB1326_212
.LBB1326_278:                           ;   in Loop: Header=BB1326_96 Depth=2
	ds_read_b32 v3, v66 offset:2560
	s_waitcnt lgkmcnt(0)
	v_cmp_ne_u32_e64 s39, 0x80000000, v3
	v_cndmask_b32_e64 v3, 0x7fffffff, v3, s39
	v_lshrrev_b32_e32 v3, s52, v3
	v_and_b32_e32 v142, s61, v3
	s_or_b32 exec_lo, exec_lo, s46
	s_and_saveexec_b32 s46, s24
	s_cbranch_execz .LBB1326_213
.LBB1326_279:                           ;   in Loop: Header=BB1326_96 Depth=2
	ds_read_b32 v3, v66 offset:3584
	s_waitcnt lgkmcnt(0)
	v_cmp_ne_u32_e64 s39, 0x80000000, v3
	v_cndmask_b32_e64 v3, 0x7fffffff, v3, s39
	v_lshrrev_b32_e32 v3, s52, v3
	v_and_b32_e32 v141, s61, v3
	s_or_b32 exec_lo, exec_lo, s46
	s_and_saveexec_b32 s46, s25
	s_cbranch_execz .LBB1326_214
.LBB1326_280:                           ;   in Loop: Header=BB1326_96 Depth=2
	ds_read_b32 v3, v66 offset:4608
	s_waitcnt lgkmcnt(0)
	v_cmp_ne_u32_e64 s39, 0x80000000, v3
	v_cndmask_b32_e64 v3, 0x7fffffff, v3, s39
	v_lshrrev_b32_e32 v3, s52, v3
	v_and_b32_e32 v139, s61, v3
	s_or_b32 exec_lo, exec_lo, s46
	s_and_saveexec_b32 s46, s26
	s_cbranch_execz .LBB1326_215
.LBB1326_281:                           ;   in Loop: Header=BB1326_96 Depth=2
	ds_read_b32 v3, v66 offset:5632
	s_waitcnt lgkmcnt(0)
	v_cmp_ne_u32_e64 s39, 0x80000000, v3
	v_cndmask_b32_e64 v3, 0x7fffffff, v3, s39
	v_lshrrev_b32_e32 v3, s52, v3
	v_and_b32_e32 v138, s61, v3
	s_or_b32 exec_lo, exec_lo, s46
	s_and_saveexec_b32 s46, s28
	s_cbranch_execz .LBB1326_216
.LBB1326_282:                           ;   in Loop: Header=BB1326_96 Depth=2
	ds_read_b32 v3, v66 offset:6656
	s_waitcnt lgkmcnt(0)
	v_cmp_ne_u32_e64 s39, 0x80000000, v3
	v_cndmask_b32_e64 v3, 0x7fffffff, v3, s39
	v_lshrrev_b32_e32 v3, s52, v3
	v_and_b32_e32 v137, s61, v3
	s_or_b32 exec_lo, exec_lo, s46
	s_and_saveexec_b32 s46, s29
	s_cbranch_execz .LBB1326_217
.LBB1326_283:                           ;   in Loop: Header=BB1326_96 Depth=2
	ds_read_b32 v3, v66 offset:7680
	s_waitcnt lgkmcnt(0)
	v_cmp_ne_u32_e64 s39, 0x80000000, v3
	v_cndmask_b32_e64 v3, 0x7fffffff, v3, s39
	v_lshrrev_b32_e32 v3, s52, v3
	v_and_b32_e32 v136, s61, v3
	s_or_b32 exec_lo, exec_lo, s46
	s_and_saveexec_b32 s46, s30
	s_cbranch_execz .LBB1326_218
.LBB1326_284:                           ;   in Loop: Header=BB1326_96 Depth=2
	ds_read_b32 v3, v66 offset:8704
	s_waitcnt lgkmcnt(0)
	v_cmp_ne_u32_e64 s39, 0x80000000, v3
	v_cndmask_b32_e64 v3, 0x7fffffff, v3, s39
	v_lshrrev_b32_e32 v3, s52, v3
	v_and_b32_e32 v135, s61, v3
	s_or_b32 exec_lo, exec_lo, s46
	s_and_saveexec_b32 s46, s31
	s_cbranch_execz .LBB1326_219
.LBB1326_285:                           ;   in Loop: Header=BB1326_96 Depth=2
	ds_read_b32 v3, v66 offset:9728
	s_waitcnt lgkmcnt(0)
	v_cmp_ne_u32_e64 s39, 0x80000000, v3
	v_cndmask_b32_e64 v3, 0x7fffffff, v3, s39
	v_lshrrev_b32_e32 v3, s52, v3
	v_and_b32_e32 v134, s61, v3
	s_or_b32 exec_lo, exec_lo, s46
	s_and_saveexec_b32 s46, s33
	s_cbranch_execz .LBB1326_220
.LBB1326_286:                           ;   in Loop: Header=BB1326_96 Depth=2
	ds_read_b32 v3, v66 offset:10752
	s_waitcnt lgkmcnt(0)
	v_cmp_ne_u32_e64 s39, 0x80000000, v3
	v_cndmask_b32_e64 v3, 0x7fffffff, v3, s39
	v_lshrrev_b32_e32 v3, s52, v3
	v_and_b32_e32 v133, s61, v3
	s_or_b32 exec_lo, exec_lo, s46
	s_and_saveexec_b32 s46, s34
	s_cbranch_execz .LBB1326_221
.LBB1326_287:                           ;   in Loop: Header=BB1326_96 Depth=2
	ds_read_b32 v3, v66 offset:11776
	s_waitcnt lgkmcnt(0)
	v_cmp_ne_u32_e64 s39, 0x80000000, v3
	v_cndmask_b32_e64 v3, 0x7fffffff, v3, s39
	v_lshrrev_b32_e32 v3, s52, v3
	v_and_b32_e32 v132, s61, v3
	s_or_b32 exec_lo, exec_lo, s46
	s_and_saveexec_b32 s46, s35
	s_cbranch_execz .LBB1326_222
.LBB1326_288:                           ;   in Loop: Header=BB1326_96 Depth=2
	ds_read_b32 v3, v66 offset:12800
	s_waitcnt lgkmcnt(0)
	v_cmp_ne_u32_e64 s39, 0x80000000, v3
	v_cndmask_b32_e64 v3, 0x7fffffff, v3, s39
	v_lshrrev_b32_e32 v3, s52, v3
	v_and_b32_e32 v131, s61, v3
	s_or_b32 exec_lo, exec_lo, s46
	s_and_saveexec_b32 s46, s36
	s_cbranch_execz .LBB1326_223
.LBB1326_289:                           ;   in Loop: Header=BB1326_96 Depth=2
	ds_read_b32 v3, v66 offset:13824
	s_waitcnt lgkmcnt(0)
	v_cmp_ne_u32_e64 s39, 0x80000000, v3
	v_cndmask_b32_e64 v3, 0x7fffffff, v3, s39
	v_lshrrev_b32_e32 v3, s52, v3
	v_and_b32_e32 v130, s61, v3
	s_or_b32 exec_lo, exec_lo, s46
	s_and_saveexec_b32 s46, s37
	s_cbranch_execz .LBB1326_224
.LBB1326_290:                           ;   in Loop: Header=BB1326_96 Depth=2
	ds_read_b32 v3, v66 offset:14848
	s_waitcnt lgkmcnt(0)
	v_cmp_ne_u32_e64 s39, 0x80000000, v3
	v_cndmask_b32_e64 v3, 0x7fffffff, v3, s39
	v_lshrrev_b32_e32 v3, s52, v3
	v_and_b32_e32 v129, s61, v3
	s_or_b32 exec_lo, exec_lo, s46
	s_and_saveexec_b32 s46, s38
	s_cbranch_execnz .LBB1326_225
	s_branch .LBB1326_226
.LBB1326_291:                           ;   in Loop: Header=BB1326_96 Depth=2
	v_lshlrev_b32_e32 v3, 2, v144
	v_add_nc_u32_e32 v37, v66, v41
	ds_read_b32 v3, v3
	ds_read_b64 v[37:38], v37 offset:512
	s_waitcnt lgkmcnt(1)
	v_add_nc_u32_e32 v3, v3, v0
	v_lshlrev_b64 v[39:40], 3, v[3:4]
	v_add_co_u32 v39, vcc_lo, s48, v39
	v_add_co_ci_u32_e64 v40, null, s49, v40, vcc_lo
	s_waitcnt lgkmcnt(0)
	global_store_dwordx2 v[39:40], v[37:38], off
	s_or_b32 exec_lo, exec_lo, s39
	s_and_saveexec_b32 s39, s22
	s_cbranch_execz .LBB1326_228
.LBB1326_292:                           ;   in Loop: Header=BB1326_96 Depth=2
	v_lshlrev_b32_e32 v3, 2, v143
	v_add_nc_u32_e32 v37, v66, v41
	ds_read_b32 v3, v3
	ds_read_b64 v[37:38], v37 offset:2560
	s_waitcnt lgkmcnt(1)
	v_add_nc_u32_e32 v3, v3, v42
	v_lshlrev_b64 v[39:40], 3, v[3:4]
	v_add_co_u32 v39, vcc_lo, s48, v39
	v_add_co_ci_u32_e64 v40, null, s49, v40, vcc_lo
	s_waitcnt lgkmcnt(0)
	global_store_dwordx2 v[39:40], v[37:38], off
	s_or_b32 exec_lo, exec_lo, s39
	s_and_saveexec_b32 s22, s23
	s_cbranch_execz .LBB1326_229
.LBB1326_293:                           ;   in Loop: Header=BB1326_96 Depth=2
	v_lshlrev_b32_e32 v3, 2, v142
	v_add_nc_u32_e32 v37, v66, v41
	ds_read_b32 v3, v3
	ds_read_b64 v[37:38], v37 offset:4608
	s_waitcnt lgkmcnt(1)
	v_add_nc_u32_e32 v3, v3, v45
	v_lshlrev_b64 v[39:40], 3, v[3:4]
	v_add_co_u32 v39, vcc_lo, s48, v39
	v_add_co_ci_u32_e64 v40, null, s49, v40, vcc_lo
	s_waitcnt lgkmcnt(0)
	global_store_dwordx2 v[39:40], v[37:38], off
	s_or_b32 exec_lo, exec_lo, s22
	s_and_saveexec_b32 s22, s24
	s_cbranch_execz .LBB1326_230
.LBB1326_294:                           ;   in Loop: Header=BB1326_96 Depth=2
	v_lshlrev_b32_e32 v3, 2, v141
	v_add_nc_u32_e32 v37, v66, v41
	ds_read_b32 v3, v3
	ds_read_b64 v[37:38], v37 offset:6656
	s_waitcnt lgkmcnt(1)
	v_add_nc_u32_e32 v3, v3, v46
	v_lshlrev_b64 v[39:40], 3, v[3:4]
	v_add_co_u32 v39, vcc_lo, s48, v39
	v_add_co_ci_u32_e64 v40, null, s49, v40, vcc_lo
	s_waitcnt lgkmcnt(0)
	global_store_dwordx2 v[39:40], v[37:38], off
	s_or_b32 exec_lo, exec_lo, s22
	s_and_saveexec_b32 s22, s25
	s_cbranch_execz .LBB1326_231
.LBB1326_295:                           ;   in Loop: Header=BB1326_96 Depth=2
	v_lshlrev_b32_e32 v3, 2, v139
	v_add_nc_u32_e32 v37, v66, v41
	ds_read_b32 v3, v3
	ds_read_b64 v[37:38], v37 offset:8704
	s_waitcnt lgkmcnt(1)
	v_add_nc_u32_e32 v3, v3, v47
	v_lshlrev_b64 v[39:40], 3, v[3:4]
	v_add_co_u32 v39, vcc_lo, s48, v39
	v_add_co_ci_u32_e64 v40, null, s49, v40, vcc_lo
	s_waitcnt lgkmcnt(0)
	global_store_dwordx2 v[39:40], v[37:38], off
	s_or_b32 exec_lo, exec_lo, s22
	s_and_saveexec_b32 s22, s26
	s_cbranch_execz .LBB1326_232
.LBB1326_296:                           ;   in Loop: Header=BB1326_96 Depth=2
	v_lshlrev_b32_e32 v3, 2, v138
	v_add_nc_u32_e32 v37, v66, v41
	ds_read_b32 v3, v3
	ds_read_b64 v[37:38], v37 offset:10752
	s_waitcnt lgkmcnt(1)
	v_add_nc_u32_e32 v3, v3, v48
	v_lshlrev_b64 v[39:40], 3, v[3:4]
	v_add_co_u32 v39, vcc_lo, s48, v39
	v_add_co_ci_u32_e64 v40, null, s49, v40, vcc_lo
	s_waitcnt lgkmcnt(0)
	global_store_dwordx2 v[39:40], v[37:38], off
	s_or_b32 exec_lo, exec_lo, s22
	s_and_saveexec_b32 s22, s28
	s_cbranch_execz .LBB1326_233
.LBB1326_297:                           ;   in Loop: Header=BB1326_96 Depth=2
	v_lshlrev_b32_e32 v3, 2, v137
	v_add_nc_u32_e32 v37, v66, v41
	ds_read_b32 v3, v3
	ds_read_b64 v[37:38], v37 offset:12800
	s_waitcnt lgkmcnt(1)
	v_add_nc_u32_e32 v3, v3, v49
	v_lshlrev_b64 v[39:40], 3, v[3:4]
	v_add_co_u32 v39, vcc_lo, s48, v39
	v_add_co_ci_u32_e64 v40, null, s49, v40, vcc_lo
	s_waitcnt lgkmcnt(0)
	global_store_dwordx2 v[39:40], v[37:38], off
	s_or_b32 exec_lo, exec_lo, s22
	s_and_saveexec_b32 s22, s29
	s_cbranch_execz .LBB1326_234
.LBB1326_298:                           ;   in Loop: Header=BB1326_96 Depth=2
	v_lshlrev_b32_e32 v3, 2, v136
	v_add_nc_u32_e32 v37, v66, v41
	ds_read_b32 v3, v3
	ds_read_b64 v[37:38], v37 offset:14848
	s_waitcnt lgkmcnt(1)
	v_add_nc_u32_e32 v3, v3, v50
	v_lshlrev_b64 v[39:40], 3, v[3:4]
	v_add_co_u32 v39, vcc_lo, s48, v39
	v_add_co_ci_u32_e64 v40, null, s49, v40, vcc_lo
	s_waitcnt lgkmcnt(0)
	global_store_dwordx2 v[39:40], v[37:38], off
	s_or_b32 exec_lo, exec_lo, s22
	s_and_saveexec_b32 s22, s30
	s_cbranch_execz .LBB1326_235
.LBB1326_299:                           ;   in Loop: Header=BB1326_96 Depth=2
	v_lshlrev_b32_e32 v3, 2, v135
	v_add_nc_u32_e32 v37, v66, v41
	ds_read_b32 v3, v3
	ds_read_b64 v[37:38], v37 offset:16896
	s_waitcnt lgkmcnt(1)
	v_add_nc_u32_e32 v3, v3, v51
	v_lshlrev_b64 v[39:40], 3, v[3:4]
	v_add_co_u32 v39, vcc_lo, s48, v39
	v_add_co_ci_u32_e64 v40, null, s49, v40, vcc_lo
	s_waitcnt lgkmcnt(0)
	global_store_dwordx2 v[39:40], v[37:38], off
	s_or_b32 exec_lo, exec_lo, s22
	s_and_saveexec_b32 s22, s31
	s_cbranch_execz .LBB1326_236
.LBB1326_300:                           ;   in Loop: Header=BB1326_96 Depth=2
	v_lshlrev_b32_e32 v3, 2, v134
	v_add_nc_u32_e32 v37, v66, v41
	ds_read_b32 v3, v3
	ds_read_b64 v[37:38], v37 offset:18944
	s_waitcnt lgkmcnt(1)
	v_add_nc_u32_e32 v3, v3, v52
	v_lshlrev_b64 v[39:40], 3, v[3:4]
	v_add_co_u32 v39, vcc_lo, s48, v39
	v_add_co_ci_u32_e64 v40, null, s49, v40, vcc_lo
	s_waitcnt lgkmcnt(0)
	global_store_dwordx2 v[39:40], v[37:38], off
	s_or_b32 exec_lo, exec_lo, s22
	s_and_saveexec_b32 s22, s33
	s_cbranch_execz .LBB1326_237
.LBB1326_301:                           ;   in Loop: Header=BB1326_96 Depth=2
	v_lshlrev_b32_e32 v3, 2, v133
	v_add_nc_u32_e32 v37, v66, v41
	ds_read_b32 v3, v3
	ds_read_b64 v[37:38], v37 offset:20992
	s_waitcnt lgkmcnt(1)
	v_add_nc_u32_e32 v3, v3, v53
	v_lshlrev_b64 v[39:40], 3, v[3:4]
	v_add_co_u32 v39, vcc_lo, s48, v39
	v_add_co_ci_u32_e64 v40, null, s49, v40, vcc_lo
	s_waitcnt lgkmcnt(0)
	global_store_dwordx2 v[39:40], v[37:38], off
	s_or_b32 exec_lo, exec_lo, s22
	s_and_saveexec_b32 s22, s34
	s_cbranch_execz .LBB1326_238
.LBB1326_302:                           ;   in Loop: Header=BB1326_96 Depth=2
	v_lshlrev_b32_e32 v3, 2, v132
	v_add_nc_u32_e32 v37, v66, v41
	ds_read_b32 v3, v3
	ds_read_b64 v[37:38], v37 offset:23040
	s_waitcnt lgkmcnt(1)
	v_add_nc_u32_e32 v3, v3, v54
	v_lshlrev_b64 v[39:40], 3, v[3:4]
	v_add_co_u32 v39, vcc_lo, s48, v39
	v_add_co_ci_u32_e64 v40, null, s49, v40, vcc_lo
	s_waitcnt lgkmcnt(0)
	global_store_dwordx2 v[39:40], v[37:38], off
	s_or_b32 exec_lo, exec_lo, s22
	s_and_saveexec_b32 s22, s35
	s_cbranch_execz .LBB1326_239
.LBB1326_303:                           ;   in Loop: Header=BB1326_96 Depth=2
	v_lshlrev_b32_e32 v3, 2, v131
	v_add_nc_u32_e32 v37, v66, v41
	ds_read_b32 v3, v3
	ds_read_b64 v[37:38], v37 offset:25088
	s_waitcnt lgkmcnt(1)
	v_add_nc_u32_e32 v3, v3, v55
	v_lshlrev_b64 v[39:40], 3, v[3:4]
	v_add_co_u32 v39, vcc_lo, s48, v39
	v_add_co_ci_u32_e64 v40, null, s49, v40, vcc_lo
	s_waitcnt lgkmcnt(0)
	global_store_dwordx2 v[39:40], v[37:38], off
	s_or_b32 exec_lo, exec_lo, s22
	s_and_saveexec_b32 s22, s36
	s_cbranch_execz .LBB1326_240
.LBB1326_304:                           ;   in Loop: Header=BB1326_96 Depth=2
	v_lshlrev_b32_e32 v3, 2, v130
	v_add_nc_u32_e32 v37, v66, v41
	ds_read_b32 v3, v3
	ds_read_b64 v[37:38], v37 offset:27136
	s_waitcnt lgkmcnt(1)
	v_add_nc_u32_e32 v3, v3, v56
	v_lshlrev_b64 v[39:40], 3, v[3:4]
	v_add_co_u32 v39, vcc_lo, s48, v39
	v_add_co_ci_u32_e64 v40, null, s49, v40, vcc_lo
	s_waitcnt lgkmcnt(0)
	global_store_dwordx2 v[39:40], v[37:38], off
	s_or_b32 exec_lo, exec_lo, s22
	s_and_saveexec_b32 s22, s37
	s_cbranch_execz .LBB1326_241
.LBB1326_305:                           ;   in Loop: Header=BB1326_96 Depth=2
	v_lshlrev_b32_e32 v3, 2, v129
	v_add_nc_u32_e32 v37, v66, v41
	ds_read_b32 v3, v3
	ds_read_b64 v[37:38], v37 offset:29184
	s_waitcnt lgkmcnt(1)
	v_add_nc_u32_e32 v3, v3, v57
	v_lshlrev_b64 v[39:40], 3, v[3:4]
	v_add_co_u32 v39, vcc_lo, s48, v39
	v_add_co_ci_u32_e64 v40, null, s49, v40, vcc_lo
	s_waitcnt lgkmcnt(0)
	global_store_dwordx2 v[39:40], v[37:38], off
	s_or_b32 exec_lo, exec_lo, s22
	s_and_saveexec_b32 s22, s38
	s_cbranch_execnz .LBB1326_242
	s_branch .LBB1326_243
.LBB1326_306:                           ;   in Loop: Header=BB1326_12 Depth=1
	s_waitcnt lgkmcnt(0)
	s_mov_b32 s5, 0
	s_barrier
.LBB1326_307:                           ;   in Loop: Header=BB1326_12 Depth=1
	s_and_b32 vcc_lo, exec_lo, s5
	s_cbranch_vccz .LBB1326_601
; %bb.308:                              ;   in Loop: Header=BB1326_12 Depth=1
	s_mov_b32 s5, s60
	s_mov_b32 s46, s58
	s_barrier
	buffer_gl0_inv
                                        ; implicit-def: $vgpr3
                                        ; implicit-def: $vgpr5
                                        ; implicit-def: $vgpr6
                                        ; implicit-def: $vgpr7
                                        ; implicit-def: $vgpr8
                                        ; implicit-def: $vgpr9
                                        ; implicit-def: $vgpr10
                                        ; implicit-def: $vgpr11
                                        ; implicit-def: $vgpr12
                                        ; implicit-def: $vgpr13
                                        ; implicit-def: $vgpr14
                                        ; implicit-def: $vgpr15
                                        ; implicit-def: $vgpr16
                                        ; implicit-def: $vgpr17
                                        ; implicit-def: $vgpr18
                                        ; implicit-def: $vgpr19
	s_branch .LBB1326_310
.LBB1326_309:                           ;   in Loop: Header=BB1326_310 Depth=2
	s_or_b32 exec_lo, exec_lo, s16
	s_addk_i32 s5, 0xf000
	s_cmp_ge_u32 s15, s59
	s_mov_b32 s46, s15
	s_cbranch_scc1 .LBB1326_378
.LBB1326_310:                           ;   Parent Loop BB1326_12 Depth=1
                                        ; =>  This Inner Loop Header: Depth=2
	s_add_i32 s15, s46, 0x1000
	s_mov_b32 s16, -1
	s_cmp_gt_u32 s15, s59
                                        ; implicit-def: $vgpr20
                                        ; implicit-def: $vgpr21
                                        ; implicit-def: $vgpr24
                                        ; implicit-def: $vgpr22
                                        ; implicit-def: $vgpr26
                                        ; implicit-def: $vgpr23
                                        ; implicit-def: $vgpr28
                                        ; implicit-def: $vgpr25
                                        ; implicit-def: $vgpr30
                                        ; implicit-def: $vgpr27
                                        ; implicit-def: $vgpr31
                                        ; implicit-def: $vgpr29
                                        ; implicit-def: $vgpr33
                                        ; implicit-def: $vgpr32
                                        ; implicit-def: $vgpr34
                                        ; implicit-def: $vgpr35
	s_cbranch_scc1 .LBB1326_312
; %bb.311:                              ;   in Loop: Header=BB1326_310 Depth=2
	s_lshl_b64 s[16:17], s[46:47], 2
	v_add_co_u32 v30, vcc_lo, v69, s16
	v_add_co_ci_u32_e64 v31, null, s17, v70, vcc_lo
	s_mov_b32 s16, 0
	v_add_co_u32 v22, vcc_lo, 0x800, v30
	v_add_co_ci_u32_e64 v23, null, 0, v31, vcc_lo
	v_add_co_u32 v33, vcc_lo, v30, 0x1000
	v_add_co_ci_u32_e64 v34, null, 0, v31, vcc_lo
	;; [unrolled: 2-line block ×9, first 2 shown]
	s_clause 0x7
	global_load_dword v20, v[30:31], off
	global_load_dword v21, v[30:31], off offset:1024
	global_load_dword v22, v[22:23], off offset:1024
	;; [unrolled: 1-line block ×7, first 2 shown]
	v_add_co_u32 v37, vcc_lo, 0x3800, v30
	v_add_co_ci_u32_e64 v38, null, 0, v31, vcc_lo
	s_clause 0x7
	global_load_dword v24, v[33:34], off offset:-2048
	global_load_dword v26, v[33:34], off
	global_load_dword v28, v[35:36], off offset:-2048
	global_load_dword v30, v[35:36], off
	;; [unrolled: 2-line block ×3, first 2 shown]
	global_load_dword v34, v[37:38], off
	global_load_dword v35, v[37:38], off offset:1024
.LBB1326_312:                           ;   in Loop: Header=BB1326_310 Depth=2
	s_andn2_b32 vcc_lo, exec_lo, s16
	s_movk_i32 s16, 0x1000
	s_cbranch_vccnz .LBB1326_331
; %bb.313:                              ;   in Loop: Header=BB1326_310 Depth=2
	s_lshl_b64 s[16:17], s[46:47], 2
	s_mov_b32 s18, exec_lo
	s_add_u32 s16, s42, s16
	s_addc_u32 s17, s43, s17
	v_cmpx_gt_u32_e64 s5, v0
	s_cbranch_execnz .LBB1326_363
; %bb.314:                              ;   in Loop: Header=BB1326_310 Depth=2
	s_or_b32 exec_lo, exec_lo, s18
	s_mov_b32 s18, exec_lo
	v_cmpx_gt_u32_e64 s5, v42
	s_cbranch_execnz .LBB1326_364
.LBB1326_315:                           ;   in Loop: Header=BB1326_310 Depth=2
	s_or_b32 exec_lo, exec_lo, s18
	s_mov_b32 s18, exec_lo
	v_cmpx_gt_u32_e64 s5, v45
	s_cbranch_execnz .LBB1326_365
.LBB1326_316:                           ;   in Loop: Header=BB1326_310 Depth=2
	s_or_b32 exec_lo, exec_lo, s18
	s_mov_b32 s18, exec_lo
	v_cmpx_gt_u32_e64 s5, v46
	s_cbranch_execnz .LBB1326_366
.LBB1326_317:                           ;   in Loop: Header=BB1326_310 Depth=2
	s_or_b32 exec_lo, exec_lo, s18
	s_mov_b32 s18, exec_lo
	v_cmpx_gt_u32_e64 s5, v47
	s_cbranch_execnz .LBB1326_367
.LBB1326_318:                           ;   in Loop: Header=BB1326_310 Depth=2
	s_or_b32 exec_lo, exec_lo, s18
	s_mov_b32 s18, exec_lo
	v_cmpx_gt_u32_e64 s5, v48
	s_cbranch_execnz .LBB1326_368
.LBB1326_319:                           ;   in Loop: Header=BB1326_310 Depth=2
	s_or_b32 exec_lo, exec_lo, s18
	s_mov_b32 s18, exec_lo
	v_cmpx_gt_u32_e64 s5, v49
	s_cbranch_execnz .LBB1326_369
.LBB1326_320:                           ;   in Loop: Header=BB1326_310 Depth=2
	s_or_b32 exec_lo, exec_lo, s18
	s_mov_b32 s18, exec_lo
	v_cmpx_gt_u32_e64 s5, v50
	s_cbranch_execnz .LBB1326_370
.LBB1326_321:                           ;   in Loop: Header=BB1326_310 Depth=2
	s_or_b32 exec_lo, exec_lo, s18
	s_mov_b32 s18, exec_lo
	v_cmpx_gt_u32_e64 s5, v51
	s_cbranch_execnz .LBB1326_371
.LBB1326_322:                           ;   in Loop: Header=BB1326_310 Depth=2
	s_or_b32 exec_lo, exec_lo, s18
	s_mov_b32 s18, exec_lo
	v_cmpx_gt_u32_e64 s5, v52
	s_cbranch_execnz .LBB1326_372
.LBB1326_323:                           ;   in Loop: Header=BB1326_310 Depth=2
	s_or_b32 exec_lo, exec_lo, s18
	s_mov_b32 s18, exec_lo
	v_cmpx_gt_u32_e64 s5, v53
	s_cbranch_execnz .LBB1326_373
.LBB1326_324:                           ;   in Loop: Header=BB1326_310 Depth=2
	s_or_b32 exec_lo, exec_lo, s18
	s_mov_b32 s18, exec_lo
	v_cmpx_gt_u32_e64 s5, v54
	s_cbranch_execnz .LBB1326_374
.LBB1326_325:                           ;   in Loop: Header=BB1326_310 Depth=2
	s_or_b32 exec_lo, exec_lo, s18
	s_mov_b32 s18, exec_lo
	v_cmpx_gt_u32_e64 s5, v55
	s_cbranch_execnz .LBB1326_375
.LBB1326_326:                           ;   in Loop: Header=BB1326_310 Depth=2
	s_or_b32 exec_lo, exec_lo, s18
	s_mov_b32 s18, exec_lo
	v_cmpx_gt_u32_e64 s5, v56
	s_cbranch_execnz .LBB1326_376
.LBB1326_327:                           ;   in Loop: Header=BB1326_310 Depth=2
	s_or_b32 exec_lo, exec_lo, s18
	s_mov_b32 s18, exec_lo
	v_cmpx_gt_u32_e64 s5, v57
	s_cbranch_execnz .LBB1326_377
.LBB1326_328:                           ;   in Loop: Header=BB1326_310 Depth=2
	s_or_b32 exec_lo, exec_lo, s18
	s_mov_b32 s18, exec_lo
	v_cmpx_gt_u32_e64 s5, v58
	s_cbranch_execz .LBB1326_330
.LBB1326_329:                           ;   in Loop: Header=BB1326_310 Depth=2
	global_load_dword v3, v100, s[16:17]
.LBB1326_330:                           ;   in Loop: Header=BB1326_310 Depth=2
	s_or_b32 exec_lo, exec_lo, s18
	s_waitcnt vmcnt(0)
	v_mov_b32_e32 v20, v19
	v_mov_b32_e32 v21, v18
	;; [unrolled: 1-line block ×16, first 2 shown]
	s_mov_b32 s16, s5
.LBB1326_331:                           ;   in Loop: Header=BB1326_310 Depth=2
	s_waitcnt vmcnt(0)
	v_mov_b32_e32 v3, v35
	v_mov_b32_e32 v5, v34
	;; [unrolled: 1-line block ×16, first 2 shown]
	s_mov_b32 s17, exec_lo
	v_cmpx_gt_u32_e64 s16, v0
	s_cbranch_execnz .LBB1326_347
; %bb.332:                              ;   in Loop: Header=BB1326_310 Depth=2
	s_or_b32 exec_lo, exec_lo, s17
	s_mov_b32 s17, exec_lo
	v_cmpx_gt_u32_e64 s16, v42
	s_cbranch_execnz .LBB1326_348
.LBB1326_333:                           ;   in Loop: Header=BB1326_310 Depth=2
	s_or_b32 exec_lo, exec_lo, s17
	s_mov_b32 s17, exec_lo
	v_cmpx_gt_u32_e64 s16, v45
	s_cbranch_execnz .LBB1326_349
.LBB1326_334:                           ;   in Loop: Header=BB1326_310 Depth=2
	s_or_b32 exec_lo, exec_lo, s17
	s_mov_b32 s17, exec_lo
	v_cmpx_gt_u32_e64 s16, v46
	s_cbranch_execnz .LBB1326_350
.LBB1326_335:                           ;   in Loop: Header=BB1326_310 Depth=2
	s_or_b32 exec_lo, exec_lo, s17
	s_mov_b32 s17, exec_lo
	v_cmpx_gt_u32_e64 s16, v47
	s_cbranch_execnz .LBB1326_351
.LBB1326_336:                           ;   in Loop: Header=BB1326_310 Depth=2
	s_or_b32 exec_lo, exec_lo, s17
	s_mov_b32 s17, exec_lo
	v_cmpx_gt_u32_e64 s16, v48
	s_cbranch_execnz .LBB1326_352
.LBB1326_337:                           ;   in Loop: Header=BB1326_310 Depth=2
	s_or_b32 exec_lo, exec_lo, s17
	s_mov_b32 s17, exec_lo
	v_cmpx_gt_u32_e64 s16, v49
	s_cbranch_execnz .LBB1326_353
.LBB1326_338:                           ;   in Loop: Header=BB1326_310 Depth=2
	s_or_b32 exec_lo, exec_lo, s17
	s_mov_b32 s17, exec_lo
	v_cmpx_gt_u32_e64 s16, v50
	s_cbranch_execnz .LBB1326_354
.LBB1326_339:                           ;   in Loop: Header=BB1326_310 Depth=2
	s_or_b32 exec_lo, exec_lo, s17
	s_mov_b32 s17, exec_lo
	v_cmpx_gt_u32_e64 s16, v51
	s_cbranch_execnz .LBB1326_355
.LBB1326_340:                           ;   in Loop: Header=BB1326_310 Depth=2
	s_or_b32 exec_lo, exec_lo, s17
	s_mov_b32 s17, exec_lo
	v_cmpx_gt_u32_e64 s16, v52
	s_cbranch_execnz .LBB1326_356
.LBB1326_341:                           ;   in Loop: Header=BB1326_310 Depth=2
	s_or_b32 exec_lo, exec_lo, s17
	s_mov_b32 s17, exec_lo
	v_cmpx_gt_u32_e64 s16, v53
	s_cbranch_execnz .LBB1326_357
.LBB1326_342:                           ;   in Loop: Header=BB1326_310 Depth=2
	s_or_b32 exec_lo, exec_lo, s17
	s_mov_b32 s17, exec_lo
	v_cmpx_gt_u32_e64 s16, v54
	s_cbranch_execnz .LBB1326_358
.LBB1326_343:                           ;   in Loop: Header=BB1326_310 Depth=2
	s_or_b32 exec_lo, exec_lo, s17
	s_mov_b32 s17, exec_lo
	v_cmpx_gt_u32_e64 s16, v55
	s_cbranch_execnz .LBB1326_359
.LBB1326_344:                           ;   in Loop: Header=BB1326_310 Depth=2
	s_or_b32 exec_lo, exec_lo, s17
	s_mov_b32 s17, exec_lo
	v_cmpx_gt_u32_e64 s16, v56
	s_cbranch_execnz .LBB1326_360
.LBB1326_345:                           ;   in Loop: Header=BB1326_310 Depth=2
	s_or_b32 exec_lo, exec_lo, s17
	s_mov_b32 s17, exec_lo
	v_cmpx_gt_u32_e64 s16, v57
	s_cbranch_execnz .LBB1326_361
.LBB1326_346:                           ;   in Loop: Header=BB1326_310 Depth=2
	s_or_b32 exec_lo, exec_lo, s17
	v_cmp_gt_u32_e32 vcc_lo, s16, v58
	s_and_saveexec_b32 s16, vcc_lo
	s_cbranch_execz .LBB1326_309
	s_branch .LBB1326_362
.LBB1326_347:                           ;   in Loop: Header=BB1326_310 Depth=2
	v_cmp_gt_i32_e32 vcc_lo, 0, v19
	v_cndmask_b32_e64 v20, 0x7fffffff, 0, vcc_lo
	v_xor_b32_e32 v20, v20, v19
	v_cmp_ne_u32_e32 vcc_lo, 0x80000000, v20
	v_cndmask_b32_e32 v20, 0x7fffffff, v20, vcc_lo
	v_lshrrev_b32_e32 v20, s52, v20
	v_and_b32_e32 v20, s61, v20
	v_lshl_or_b32 v20, v20, 4, v59
	ds_add_u32 v20, v82
	s_or_b32 exec_lo, exec_lo, s17
	s_mov_b32 s17, exec_lo
	v_cmpx_gt_u32_e64 s16, v42
	s_cbranch_execz .LBB1326_333
.LBB1326_348:                           ;   in Loop: Header=BB1326_310 Depth=2
	v_cmp_gt_i32_e32 vcc_lo, 0, v18
	v_cndmask_b32_e64 v20, 0x7fffffff, 0, vcc_lo
	v_xor_b32_e32 v20, v20, v18
	v_cmp_ne_u32_e32 vcc_lo, 0x80000000, v20
	v_cndmask_b32_e32 v20, 0x7fffffff, v20, vcc_lo
	v_lshrrev_b32_e32 v20, s52, v20
	v_and_b32_e32 v20, s61, v20
	v_lshl_or_b32 v20, v20, 4, v59
	ds_add_u32 v20, v82
	s_or_b32 exec_lo, exec_lo, s17
	s_mov_b32 s17, exec_lo
	v_cmpx_gt_u32_e64 s16, v45
	s_cbranch_execz .LBB1326_334
.LBB1326_349:                           ;   in Loop: Header=BB1326_310 Depth=2
	v_cmp_gt_i32_e32 vcc_lo, 0, v17
	v_cndmask_b32_e64 v20, 0x7fffffff, 0, vcc_lo
	v_xor_b32_e32 v20, v20, v17
	v_cmp_ne_u32_e32 vcc_lo, 0x80000000, v20
	v_cndmask_b32_e32 v20, 0x7fffffff, v20, vcc_lo
	v_lshrrev_b32_e32 v20, s52, v20
	v_and_b32_e32 v20, s61, v20
	v_lshl_or_b32 v20, v20, 4, v59
	ds_add_u32 v20, v82
	s_or_b32 exec_lo, exec_lo, s17
	s_mov_b32 s17, exec_lo
	v_cmpx_gt_u32_e64 s16, v46
	s_cbranch_execz .LBB1326_335
.LBB1326_350:                           ;   in Loop: Header=BB1326_310 Depth=2
	v_cmp_gt_i32_e32 vcc_lo, 0, v16
	v_cndmask_b32_e64 v20, 0x7fffffff, 0, vcc_lo
	v_xor_b32_e32 v20, v20, v16
	v_cmp_ne_u32_e32 vcc_lo, 0x80000000, v20
	v_cndmask_b32_e32 v20, 0x7fffffff, v20, vcc_lo
	v_lshrrev_b32_e32 v20, s52, v20
	v_and_b32_e32 v20, s61, v20
	v_lshl_or_b32 v20, v20, 4, v59
	ds_add_u32 v20, v82
	s_or_b32 exec_lo, exec_lo, s17
	s_mov_b32 s17, exec_lo
	v_cmpx_gt_u32_e64 s16, v47
	s_cbranch_execz .LBB1326_336
.LBB1326_351:                           ;   in Loop: Header=BB1326_310 Depth=2
	v_cmp_gt_i32_e32 vcc_lo, 0, v15
	v_cndmask_b32_e64 v20, 0x7fffffff, 0, vcc_lo
	v_xor_b32_e32 v20, v20, v15
	v_cmp_ne_u32_e32 vcc_lo, 0x80000000, v20
	v_cndmask_b32_e32 v20, 0x7fffffff, v20, vcc_lo
	v_lshrrev_b32_e32 v20, s52, v20
	v_and_b32_e32 v20, s61, v20
	v_lshl_or_b32 v20, v20, 4, v59
	ds_add_u32 v20, v82
	s_or_b32 exec_lo, exec_lo, s17
	s_mov_b32 s17, exec_lo
	v_cmpx_gt_u32_e64 s16, v48
	s_cbranch_execz .LBB1326_337
.LBB1326_352:                           ;   in Loop: Header=BB1326_310 Depth=2
	v_cmp_gt_i32_e32 vcc_lo, 0, v14
	v_cndmask_b32_e64 v20, 0x7fffffff, 0, vcc_lo
	v_xor_b32_e32 v20, v20, v14
	v_cmp_ne_u32_e32 vcc_lo, 0x80000000, v20
	v_cndmask_b32_e32 v20, 0x7fffffff, v20, vcc_lo
	v_lshrrev_b32_e32 v20, s52, v20
	v_and_b32_e32 v20, s61, v20
	v_lshl_or_b32 v20, v20, 4, v59
	ds_add_u32 v20, v82
	s_or_b32 exec_lo, exec_lo, s17
	s_mov_b32 s17, exec_lo
	v_cmpx_gt_u32_e64 s16, v49
	s_cbranch_execz .LBB1326_338
.LBB1326_353:                           ;   in Loop: Header=BB1326_310 Depth=2
	v_cmp_gt_i32_e32 vcc_lo, 0, v13
	v_cndmask_b32_e64 v20, 0x7fffffff, 0, vcc_lo
	v_xor_b32_e32 v20, v20, v13
	v_cmp_ne_u32_e32 vcc_lo, 0x80000000, v20
	v_cndmask_b32_e32 v20, 0x7fffffff, v20, vcc_lo
	v_lshrrev_b32_e32 v20, s52, v20
	v_and_b32_e32 v20, s61, v20
	v_lshl_or_b32 v20, v20, 4, v59
	ds_add_u32 v20, v82
	s_or_b32 exec_lo, exec_lo, s17
	s_mov_b32 s17, exec_lo
	v_cmpx_gt_u32_e64 s16, v50
	s_cbranch_execz .LBB1326_339
.LBB1326_354:                           ;   in Loop: Header=BB1326_310 Depth=2
	v_cmp_gt_i32_e32 vcc_lo, 0, v12
	v_cndmask_b32_e64 v20, 0x7fffffff, 0, vcc_lo
	v_xor_b32_e32 v20, v20, v12
	v_cmp_ne_u32_e32 vcc_lo, 0x80000000, v20
	v_cndmask_b32_e32 v20, 0x7fffffff, v20, vcc_lo
	v_lshrrev_b32_e32 v20, s52, v20
	v_and_b32_e32 v20, s61, v20
	v_lshl_or_b32 v20, v20, 4, v59
	ds_add_u32 v20, v82
	s_or_b32 exec_lo, exec_lo, s17
	s_mov_b32 s17, exec_lo
	v_cmpx_gt_u32_e64 s16, v51
	s_cbranch_execz .LBB1326_340
.LBB1326_355:                           ;   in Loop: Header=BB1326_310 Depth=2
	v_cmp_gt_i32_e32 vcc_lo, 0, v11
	v_cndmask_b32_e64 v20, 0x7fffffff, 0, vcc_lo
	v_xor_b32_e32 v20, v20, v11
	v_cmp_ne_u32_e32 vcc_lo, 0x80000000, v20
	v_cndmask_b32_e32 v20, 0x7fffffff, v20, vcc_lo
	v_lshrrev_b32_e32 v20, s52, v20
	v_and_b32_e32 v20, s61, v20
	v_lshl_or_b32 v20, v20, 4, v59
	ds_add_u32 v20, v82
	s_or_b32 exec_lo, exec_lo, s17
	s_mov_b32 s17, exec_lo
	v_cmpx_gt_u32_e64 s16, v52
	s_cbranch_execz .LBB1326_341
.LBB1326_356:                           ;   in Loop: Header=BB1326_310 Depth=2
	v_cmp_gt_i32_e32 vcc_lo, 0, v10
	v_cndmask_b32_e64 v20, 0x7fffffff, 0, vcc_lo
	v_xor_b32_e32 v20, v20, v10
	v_cmp_ne_u32_e32 vcc_lo, 0x80000000, v20
	v_cndmask_b32_e32 v20, 0x7fffffff, v20, vcc_lo
	v_lshrrev_b32_e32 v20, s52, v20
	v_and_b32_e32 v20, s61, v20
	v_lshl_or_b32 v20, v20, 4, v59
	ds_add_u32 v20, v82
	s_or_b32 exec_lo, exec_lo, s17
	s_mov_b32 s17, exec_lo
	v_cmpx_gt_u32_e64 s16, v53
	s_cbranch_execz .LBB1326_342
.LBB1326_357:                           ;   in Loop: Header=BB1326_310 Depth=2
	v_cmp_gt_i32_e32 vcc_lo, 0, v9
	v_cndmask_b32_e64 v20, 0x7fffffff, 0, vcc_lo
	v_xor_b32_e32 v20, v20, v9
	v_cmp_ne_u32_e32 vcc_lo, 0x80000000, v20
	v_cndmask_b32_e32 v20, 0x7fffffff, v20, vcc_lo
	v_lshrrev_b32_e32 v20, s52, v20
	v_and_b32_e32 v20, s61, v20
	v_lshl_or_b32 v20, v20, 4, v59
	ds_add_u32 v20, v82
	s_or_b32 exec_lo, exec_lo, s17
	s_mov_b32 s17, exec_lo
	v_cmpx_gt_u32_e64 s16, v54
	s_cbranch_execz .LBB1326_343
.LBB1326_358:                           ;   in Loop: Header=BB1326_310 Depth=2
	v_cmp_gt_i32_e32 vcc_lo, 0, v8
	v_cndmask_b32_e64 v20, 0x7fffffff, 0, vcc_lo
	v_xor_b32_e32 v20, v20, v8
	v_cmp_ne_u32_e32 vcc_lo, 0x80000000, v20
	v_cndmask_b32_e32 v20, 0x7fffffff, v20, vcc_lo
	v_lshrrev_b32_e32 v20, s52, v20
	v_and_b32_e32 v20, s61, v20
	v_lshl_or_b32 v20, v20, 4, v59
	ds_add_u32 v20, v82
	s_or_b32 exec_lo, exec_lo, s17
	s_mov_b32 s17, exec_lo
	v_cmpx_gt_u32_e64 s16, v55
	s_cbranch_execz .LBB1326_344
.LBB1326_359:                           ;   in Loop: Header=BB1326_310 Depth=2
	v_cmp_gt_i32_e32 vcc_lo, 0, v7
	v_cndmask_b32_e64 v20, 0x7fffffff, 0, vcc_lo
	v_xor_b32_e32 v20, v20, v7
	v_cmp_ne_u32_e32 vcc_lo, 0x80000000, v20
	v_cndmask_b32_e32 v20, 0x7fffffff, v20, vcc_lo
	v_lshrrev_b32_e32 v20, s52, v20
	v_and_b32_e32 v20, s61, v20
	v_lshl_or_b32 v20, v20, 4, v59
	ds_add_u32 v20, v82
	s_or_b32 exec_lo, exec_lo, s17
	s_mov_b32 s17, exec_lo
	v_cmpx_gt_u32_e64 s16, v56
	s_cbranch_execz .LBB1326_345
.LBB1326_360:                           ;   in Loop: Header=BB1326_310 Depth=2
	v_cmp_gt_i32_e32 vcc_lo, 0, v6
	v_cndmask_b32_e64 v20, 0x7fffffff, 0, vcc_lo
	v_xor_b32_e32 v20, v20, v6
	v_cmp_ne_u32_e32 vcc_lo, 0x80000000, v20
	v_cndmask_b32_e32 v20, 0x7fffffff, v20, vcc_lo
	v_lshrrev_b32_e32 v20, s52, v20
	v_and_b32_e32 v20, s61, v20
	v_lshl_or_b32 v20, v20, 4, v59
	ds_add_u32 v20, v82
	s_or_b32 exec_lo, exec_lo, s17
	s_mov_b32 s17, exec_lo
	v_cmpx_gt_u32_e64 s16, v57
	s_cbranch_execz .LBB1326_346
.LBB1326_361:                           ;   in Loop: Header=BB1326_310 Depth=2
	v_cmp_gt_i32_e32 vcc_lo, 0, v5
	v_cndmask_b32_e64 v20, 0x7fffffff, 0, vcc_lo
	v_xor_b32_e32 v20, v20, v5
	v_cmp_ne_u32_e32 vcc_lo, 0x80000000, v20
	v_cndmask_b32_e32 v20, 0x7fffffff, v20, vcc_lo
	v_lshrrev_b32_e32 v20, s52, v20
	v_and_b32_e32 v20, s61, v20
	v_lshl_or_b32 v20, v20, 4, v59
	ds_add_u32 v20, v82
	s_or_b32 exec_lo, exec_lo, s17
	v_cmp_gt_u32_e32 vcc_lo, s16, v58
	s_and_saveexec_b32 s16, vcc_lo
	s_cbranch_execz .LBB1326_309
.LBB1326_362:                           ;   in Loop: Header=BB1326_310 Depth=2
	v_cmp_gt_i32_e32 vcc_lo, 0, v3
	v_cndmask_b32_e64 v20, 0x7fffffff, 0, vcc_lo
	v_xor_b32_e32 v20, v20, v3
	v_cmp_ne_u32_e32 vcc_lo, 0x80000000, v20
	v_cndmask_b32_e32 v20, 0x7fffffff, v20, vcc_lo
	v_lshrrev_b32_e32 v20, s52, v20
	v_and_b32_e32 v20, s61, v20
	v_lshl_or_b32 v20, v20, 4, v59
	ds_add_u32 v20, v82
	s_branch .LBB1326_309
.LBB1326_363:                           ;   in Loop: Header=BB1326_310 Depth=2
	global_load_dword v19, v86, s[16:17]
	s_or_b32 exec_lo, exec_lo, s18
	s_mov_b32 s18, exec_lo
	v_cmpx_gt_u32_e64 s5, v42
	s_cbranch_execz .LBB1326_315
.LBB1326_364:                           ;   in Loop: Header=BB1326_310 Depth=2
	global_load_dword v18, v86, s[16:17] offset:1024
	s_or_b32 exec_lo, exec_lo, s18
	s_mov_b32 s18, exec_lo
	v_cmpx_gt_u32_e64 s5, v45
	s_cbranch_execz .LBB1326_316
.LBB1326_365:                           ;   in Loop: Header=BB1326_310 Depth=2
	global_load_dword v17, v87, s[16:17]
	s_or_b32 exec_lo, exec_lo, s18
	s_mov_b32 s18, exec_lo
	v_cmpx_gt_u32_e64 s5, v46
	s_cbranch_execz .LBB1326_317
.LBB1326_366:                           ;   in Loop: Header=BB1326_310 Depth=2
	global_load_dword v16, v88, s[16:17]
	s_or_b32 exec_lo, exec_lo, s18
	s_mov_b32 s18, exec_lo
	v_cmpx_gt_u32_e64 s5, v47
	s_cbranch_execz .LBB1326_318
.LBB1326_367:                           ;   in Loop: Header=BB1326_310 Depth=2
	global_load_dword v15, v89, s[16:17]
	s_or_b32 exec_lo, exec_lo, s18
	s_mov_b32 s18, exec_lo
	v_cmpx_gt_u32_e64 s5, v48
	s_cbranch_execz .LBB1326_319
.LBB1326_368:                           ;   in Loop: Header=BB1326_310 Depth=2
	global_load_dword v14, v90, s[16:17]
	s_or_b32 exec_lo, exec_lo, s18
	s_mov_b32 s18, exec_lo
	v_cmpx_gt_u32_e64 s5, v49
	s_cbranch_execz .LBB1326_320
.LBB1326_369:                           ;   in Loop: Header=BB1326_310 Depth=2
	global_load_dword v13, v91, s[16:17]
	s_or_b32 exec_lo, exec_lo, s18
	s_mov_b32 s18, exec_lo
	v_cmpx_gt_u32_e64 s5, v50
	s_cbranch_execz .LBB1326_321
.LBB1326_370:                           ;   in Loop: Header=BB1326_310 Depth=2
	global_load_dword v12, v92, s[16:17]
	s_or_b32 exec_lo, exec_lo, s18
	s_mov_b32 s18, exec_lo
	v_cmpx_gt_u32_e64 s5, v51
	s_cbranch_execz .LBB1326_322
.LBB1326_371:                           ;   in Loop: Header=BB1326_310 Depth=2
	global_load_dword v11, v93, s[16:17]
	s_or_b32 exec_lo, exec_lo, s18
	s_mov_b32 s18, exec_lo
	v_cmpx_gt_u32_e64 s5, v52
	s_cbranch_execz .LBB1326_323
.LBB1326_372:                           ;   in Loop: Header=BB1326_310 Depth=2
	global_load_dword v10, v94, s[16:17]
	s_or_b32 exec_lo, exec_lo, s18
	s_mov_b32 s18, exec_lo
	v_cmpx_gt_u32_e64 s5, v53
	s_cbranch_execz .LBB1326_324
.LBB1326_373:                           ;   in Loop: Header=BB1326_310 Depth=2
	global_load_dword v9, v95, s[16:17]
	s_or_b32 exec_lo, exec_lo, s18
	s_mov_b32 s18, exec_lo
	v_cmpx_gt_u32_e64 s5, v54
	s_cbranch_execz .LBB1326_325
.LBB1326_374:                           ;   in Loop: Header=BB1326_310 Depth=2
	global_load_dword v8, v96, s[16:17]
	s_or_b32 exec_lo, exec_lo, s18
	s_mov_b32 s18, exec_lo
	v_cmpx_gt_u32_e64 s5, v55
	s_cbranch_execz .LBB1326_326
.LBB1326_375:                           ;   in Loop: Header=BB1326_310 Depth=2
	global_load_dword v7, v97, s[16:17]
	s_or_b32 exec_lo, exec_lo, s18
	s_mov_b32 s18, exec_lo
	v_cmpx_gt_u32_e64 s5, v56
	s_cbranch_execz .LBB1326_327
.LBB1326_376:                           ;   in Loop: Header=BB1326_310 Depth=2
	global_load_dword v6, v98, s[16:17]
	s_or_b32 exec_lo, exec_lo, s18
	s_mov_b32 s18, exec_lo
	v_cmpx_gt_u32_e64 s5, v57
	s_cbranch_execz .LBB1326_328
.LBB1326_377:                           ;   in Loop: Header=BB1326_310 Depth=2
	global_load_dword v5, v99, s[16:17]
	s_or_b32 exec_lo, exec_lo, s18
	s_mov_b32 s18, exec_lo
	v_cmpx_gt_u32_e64 s5, v58
	s_cbranch_execnz .LBB1326_329
	s_branch .LBB1326_330
.LBB1326_378:                           ;   in Loop: Header=BB1326_12 Depth=1
	v_mov_b32_e32 v3, 0
	s_waitcnt lgkmcnt(0)
	s_barrier
	buffer_gl0_inv
	s_and_saveexec_b32 s5, s7
	s_cbranch_execz .LBB1326_380
; %bb.379:                              ;   in Loop: Header=BB1326_12 Depth=1
	ds_read2_b64 v[5:8], v61 offset1:1
	s_waitcnt lgkmcnt(0)
	v_add_nc_u32_e32 v3, v6, v5
	v_add3_u32 v3, v3, v7, v8
.LBB1326_380:                           ;   in Loop: Header=BB1326_12 Depth=1
	s_or_b32 exec_lo, exec_lo, s5
	v_mov_b32_dpp v5, v3 row_shr:1 row_mask:0xf bank_mask:0xf
	v_cmp_eq_u32_e64 s5, 0, v83
	v_cmp_lt_u32_e64 s15, 1, v83
	v_cmp_lt_u32_e64 s16, 3, v83
	v_cmp_lt_u32_e64 s17, 7, v83
	v_cmp_eq_u32_e64 s18, 0, v85
	v_cndmask_b32_e64 v5, v5, 0, s5
	v_add_nc_u32_e32 v3, v5, v3
	v_mov_b32_dpp v5, v3 row_shr:2 row_mask:0xf bank_mask:0xf
	v_cndmask_b32_e64 v5, 0, v5, s15
	v_add_nc_u32_e32 v3, v3, v5
	v_mov_b32_dpp v5, v3 row_shr:4 row_mask:0xf bank_mask:0xf
	;; [unrolled: 3-line block ×3, first 2 shown]
	v_cndmask_b32_e64 v5, 0, v5, s17
	v_add_nc_u32_e32 v3, v3, v5
	ds_swizzle_b32 v5, v3 offset:swizzle(BROADCAST,32,15)
	s_waitcnt lgkmcnt(0)
	v_and_b32_e32 v5, v84, v5
	v_add_nc_u32_e32 v3, v3, v5
	s_and_saveexec_b32 s19, s8
; %bb.381:                              ;   in Loop: Header=BB1326_12 Depth=1
	ds_write_b32 v62, v3
; %bb.382:                              ;   in Loop: Header=BB1326_12 Depth=1
	s_or_b32 exec_lo, exec_lo, s19
	s_waitcnt lgkmcnt(0)
	s_barrier
	buffer_gl0_inv
	s_and_saveexec_b32 s19, s9
	s_cbranch_execz .LBB1326_384
; %bb.383:                              ;   in Loop: Header=BB1326_12 Depth=1
	ds_read_b32 v5, v63
	v_cmp_ne_u32_e32 vcc_lo, 0, v101
	s_waitcnt lgkmcnt(0)
	v_mov_b32_dpp v6, v5 row_shr:1 row_mask:0xf bank_mask:0xf
	v_cndmask_b32_e32 v6, 0, v6, vcc_lo
	v_cmp_lt_u32_e32 vcc_lo, 1, v101
	v_add_nc_u32_e32 v5, v6, v5
	v_mov_b32_dpp v6, v5 row_shr:2 row_mask:0xf bank_mask:0xf
	v_cndmask_b32_e32 v6, 0, v6, vcc_lo
	v_add_nc_u32_e32 v5, v5, v6
	ds_write_b32 v63, v5
.LBB1326_384:                           ;   in Loop: Header=BB1326_12 Depth=1
	s_or_b32 exec_lo, exec_lo, s19
	v_mov_b32_e32 v5, 0
	s_waitcnt lgkmcnt(0)
	s_barrier
	buffer_gl0_inv
	s_and_saveexec_b32 s19, s10
; %bb.385:                              ;   in Loop: Header=BB1326_12 Depth=1
	ds_read_b32 v5, v64
; %bb.386:                              ;   in Loop: Header=BB1326_12 Depth=1
	s_or_b32 exec_lo, exec_lo, s19
	v_cmp_gt_i32_e32 vcc_lo, 0, v103
	s_waitcnt lgkmcnt(0)
	v_add_nc_u32_e32 v3, v5, v3
	s_barrier
	buffer_gl0_inv
	v_cndmask_b32_e32 v6, v103, v79, vcc_lo
	v_lshlrev_b32_e32 v126, 2, v6
	ds_bpermute_b32 v3, v126, v3
	s_and_saveexec_b32 s19, s7
	s_cbranch_execz .LBB1326_388
; %bb.387:                              ;   in Loop: Header=BB1326_12 Depth=1
	s_waitcnt lgkmcnt(0)
	v_cndmask_b32_e64 v3, v3, v5, s14
	v_add_nc_u32_e32 v3, s58, v3
	ds_write_b32 v41, v3
.LBB1326_388:                           ;   in Loop: Header=BB1326_12 Depth=1
	s_or_b32 exec_lo, exec_lo, s19
	s_load_dwordx2 s[20:21], s[56:57], 0x0
	v_add_co_u32 v127, vcc_lo, v71, v102
	v_add_co_ci_u32_e64 v128, null, 0, v72, vcc_lo
	v_add_co_u32 v129, vcc_lo, v73, v120
	v_add_co_ci_u32_e64 v130, null, 0, v74, vcc_lo
	s_mov_b32 s62, s60
	s_mov_b32 s46, s58
                                        ; implicit-def: $vgpr7_vgpr8
                                        ; implicit-def: $vgpr9_vgpr10
                                        ; implicit-def: $vgpr11_vgpr12
                                        ; implicit-def: $vgpr13_vgpr14
                                        ; implicit-def: $vgpr17_vgpr18
                                        ; implicit-def: $vgpr21_vgpr22
                                        ; implicit-def: $vgpr25_vgpr26
                                        ; implicit-def: $vgpr15_vgpr16
                                        ; implicit-def: $vgpr19_vgpr20
                                        ; implicit-def: $vgpr23_vgpr24
                                        ; implicit-def: $vgpr27_vgpr28
                                        ; implicit-def: $vgpr29_vgpr30
                                        ; implicit-def: $vgpr31_vgpr32
                                        ; implicit-def: $vgpr33_vgpr34
                                        ; implicit-def: $vgpr35_vgpr36
                                        ; implicit-def: $vgpr132
                                        ; implicit-def: $vgpr133
                                        ; implicit-def: $vgpr134
                                        ; implicit-def: $vgpr135
                                        ; implicit-def: $vgpr136
                                        ; implicit-def: $vgpr137
                                        ; implicit-def: $vgpr138
                                        ; implicit-def: $vgpr139
                                        ; implicit-def: $vgpr140
                                        ; implicit-def: $vgpr141
                                        ; implicit-def: $vgpr142
                                        ; implicit-def: $vgpr143
                                        ; implicit-def: $vgpr145
                                        ; implicit-def: $vgpr146
                                        ; implicit-def: $vgpr147
                                        ; implicit-def: $vgpr148
                                        ; implicit-def: $vgpr144
                                        ; implicit-def: $vgpr149
	s_waitcnt lgkmcnt(0)
	s_cmp_lt_u32 s27, s21
	s_cselect_b32 s19, 14, 20
	s_add_u32 s22, s56, s19
	s_addc_u32 s23, s57, 0
	s_cmp_lt_u32 s6, s20
	global_load_ushort v3, v4, s[22:23]
	s_cselect_b32 s19, 12, 18
	s_add_u32 s20, s56, s19
	s_addc_u32 s21, s57, 0
	v_cmp_eq_u32_e64 s19, 0, v104
	global_load_ushort v5, v4, s[20:21]
	v_cmp_lt_u32_e64 s20, 1, v104
	v_cmp_lt_u32_e64 s21, 3, v104
	s_waitcnt vmcnt(1)
	v_mad_u32_u24 v3, v2, v3, v1
	s_waitcnt vmcnt(0)
	v_mad_u64_u32 v[5:6], null, v3, v5, v[0:1]
	v_lshrrev_b32_e32 v3, 3, v5
                                        ; implicit-def: $vgpr5_vgpr6
	v_and_b32_e32 v131, 0x1ffffffc, v3
	s_branch .LBB1326_390
.LBB1326_389:                           ;   in Loop: Header=BB1326_390 Depth=2
	s_or_b32 exec_lo, exec_lo, s22
	s_addk_i32 s62, 0xf000
	s_cmp_lt_u32 s63, s59
	s_mov_b32 s46, s63
	s_cbranch_scc0 .LBB1326_600
.LBB1326_390:                           ;   Parent Loop BB1326_12 Depth=1
                                        ; =>  This Inner Loop Header: Depth=2
	s_add_i32 s63, s46, 0x1000
	s_cmp_gt_u32 s63, s59
	s_cbranch_scc1 .LBB1326_392
; %bb.391:                              ;   in Loop: Header=BB1326_390 Depth=2
	s_lshl_b64 s[22:23], s[46:47], 2
	v_add_co_u32 v37, vcc_lo, v129, s22
	v_add_co_ci_u32_e64 v38, null, s23, v130, vcc_lo
	s_mov_b32 s22, -1
	s_clause 0xe
	global_load_dword v3, v[37:38], off
	global_load_dword v151, v[37:38], off offset:128
	global_load_dword v154, v[37:38], off offset:256
	;; [unrolled: 1-line block ×14, first 2 shown]
	s_movk_i32 s23, 0x1000
	s_cbranch_execz .LBB1326_393
	s_branch .LBB1326_424
.LBB1326_392:                           ;   in Loop: Header=BB1326_390 Depth=2
	s_mov_b32 s22, 0
                                        ; implicit-def: $vgpr3
                                        ; implicit-def: $vgpr151
                                        ; implicit-def: $vgpr154
                                        ; implicit-def: $vgpr158
                                        ; implicit-def: $vgpr162
                                        ; implicit-def: $vgpr168
                                        ; implicit-def: $vgpr173
                                        ; implicit-def: $vgpr178
                                        ; implicit-def: $vgpr181
                                        ; implicit-def: $vgpr176
                                        ; implicit-def: $vgpr172
                                        ; implicit-def: $vgpr167
                                        ; implicit-def: $vgpr164
                                        ; implicit-def: $vgpr40
                                        ; implicit-def: $vgpr39
	s_movk_i32 s23, 0x1000
.LBB1326_393:                           ;   in Loop: Header=BB1326_390 Depth=2
	s_lshl_b64 s[22:23], s[46:47], 2
	s_waitcnt vmcnt(13)
	v_mov_b32_e32 v151, -1
	v_add_co_u32 v37, vcc_lo, v129, s22
	v_add_co_ci_u32_e64 v38, null, s23, v130, vcc_lo
	v_mov_b32_e32 v3, -1
	s_mov_b32 s22, exec_lo
	v_cmpx_gt_u32_e64 s62, v105
	s_cbranch_execz .LBB1326_395
; %bb.394:                              ;   in Loop: Header=BB1326_390 Depth=2
	global_load_dword v3, v[37:38], off
.LBB1326_395:                           ;   in Loop: Header=BB1326_390 Depth=2
	s_or_b32 exec_lo, exec_lo, s22
	s_mov_b32 s22, exec_lo
	v_cmpx_gt_u32_e64 s62, v108
	s_cbranch_execz .LBB1326_397
; %bb.396:                              ;   in Loop: Header=BB1326_390 Depth=2
	global_load_dword v151, v[37:38], off offset:128
.LBB1326_397:                           ;   in Loop: Header=BB1326_390 Depth=2
	s_or_b32 exec_lo, exec_lo, s22
	s_waitcnt vmcnt(11)
	v_mov_b32_e32 v158, -1
	v_mov_b32_e32 v154, -1
	s_mov_b32 s22, exec_lo
	v_cmpx_gt_u32_e64 s62, v109
	s_cbranch_execz .LBB1326_399
; %bb.398:                              ;   in Loop: Header=BB1326_390 Depth=2
	global_load_dword v154, v[37:38], off offset:256
.LBB1326_399:                           ;   in Loop: Header=BB1326_390 Depth=2
	s_or_b32 exec_lo, exec_lo, s22
	s_mov_b32 s22, exec_lo
	v_cmpx_gt_u32_e64 s62, v110
	s_cbranch_execz .LBB1326_401
; %bb.400:                              ;   in Loop: Header=BB1326_390 Depth=2
	global_load_dword v158, v[37:38], off offset:384
.LBB1326_401:                           ;   in Loop: Header=BB1326_390 Depth=2
	s_or_b32 exec_lo, exec_lo, s22
	s_waitcnt vmcnt(9)
	v_mov_b32_e32 v168, -1
	v_mov_b32_e32 v162, -1
	s_mov_b32 s22, exec_lo
	v_cmpx_gt_u32_e64 s62, v111
	s_cbranch_execz .LBB1326_403
; %bb.402:                              ;   in Loop: Header=BB1326_390 Depth=2
	global_load_dword v162, v[37:38], off offset:512
.LBB1326_403:                           ;   in Loop: Header=BB1326_390 Depth=2
	;; [unrolled: 17-line block ×6, first 2 shown]
	s_or_b32 exec_lo, exec_lo, s22
	s_mov_b32 s22, exec_lo
	v_cmpx_gt_u32_e64 s62, v121
	s_cbranch_execz .LBB1326_421
; %bb.420:                              ;   in Loop: Header=BB1326_390 Depth=2
	global_load_dword v40, v[37:38], off offset:1664
.LBB1326_421:                           ;   in Loop: Header=BB1326_390 Depth=2
	s_or_b32 exec_lo, exec_lo, s22
	s_waitcnt vmcnt(0)
	v_mov_b32_e32 v39, -1
	s_mov_b32 s22, exec_lo
	v_cmpx_gt_u32_e64 s62, v122
	s_cbranch_execz .LBB1326_423
; %bb.422:                              ;   in Loop: Header=BB1326_390 Depth=2
	global_load_dword v39, v[37:38], off offset:1792
.LBB1326_423:                           ;   in Loop: Header=BB1326_390 Depth=2
	s_or_b32 exec_lo, exec_lo, s22
	v_cmp_gt_u32_e64 s22, s62, v123
	s_sub_i32 s23, s59, s46
.LBB1326_424:                           ;   in Loop: Header=BB1326_390 Depth=2
	v_mov_b32_e32 v37, -1
	v_mov_b32_e32 v150, s62
	s_and_saveexec_b32 s24, s22
	s_cbranch_execz .LBB1326_426
; %bb.425:                              ;   in Loop: Header=BB1326_390 Depth=2
	s_lshl_b64 s[28:29], s[46:47], 2
	v_mov_b32_e32 v150, s23
	v_add_co_u32 v37, vcc_lo, v129, s28
	v_add_co_ci_u32_e64 v38, null, s29, v130, vcc_lo
	global_load_dword v37, v[37:38], off offset:1920
.LBB1326_426:                           ;   in Loop: Header=BB1326_390 Depth=2
	s_or_b32 exec_lo, exec_lo, s24
	s_waitcnt vmcnt(14)
	v_cmp_gt_i32_e32 vcc_lo, 0, v3
	ds_write2_b32 v65, v4, v4 offset0:136 offset1:137
	ds_write2_b32 v65, v4, v4 offset0:138 offset1:139
	ds_write_b32 v65, v4 offset:560
	s_waitcnt vmcnt(0) lgkmcnt(0)
	s_barrier
	v_cndmask_b32_e64 v38, 0x7fffffff, 0, vcc_lo
	buffer_gl0_inv
	; wave barrier
	v_xor_b32_e32 v3, v38, v3
	v_cmp_ne_u32_e32 vcc_lo, 0x80000000, v3
	v_cndmask_b32_e32 v38, 0x7fffffff, v3, vcc_lo
	v_lshrrev_b32_e32 v38, s52, v38
	v_and_b32_e32 v153, s61, v38
	v_and_b32_e32 v38, 1, v153
	v_lshlrev_b32_e32 v152, 30, v153
	v_lshlrev_b32_e32 v155, 29, v153
	;; [unrolled: 1-line block ×4, first 2 shown]
	v_add_co_u32 v38, s22, v38, -1
	v_cndmask_b32_e64 v156, 0, 1, s22
	v_not_b32_e32 v161, v152
	v_cmp_gt_i32_e64 s22, 0, v152
	v_not_b32_e32 v152, v155
	v_lshlrev_b32_e32 v160, 26, v153
	v_cmp_ne_u32_e32 vcc_lo, 0, v156
	v_ashrrev_i32_e32 v161, 31, v161
	v_lshlrev_b32_e32 v156, 25, v153
	v_ashrrev_i32_e32 v152, 31, v152
	v_mul_u32_u24_e32 v153, 36, v153
	v_xor_b32_e32 v38, vcc_lo, v38
	v_cmp_gt_i32_e32 vcc_lo, 0, v155
	v_not_b32_e32 v155, v157
	v_xor_b32_e32 v161, s22, v161
	v_cmp_gt_i32_e64 s22, 0, v157
	v_and_b32_e32 v38, exec_lo, v38
	v_not_b32_e32 v157, v159
	v_ashrrev_i32_e32 v155, 31, v155
	v_xor_b32_e32 v152, vcc_lo, v152
	v_cmp_gt_i32_e32 vcc_lo, 0, v159
	v_and_b32_e32 v38, v38, v161
	v_not_b32_e32 v159, v160
	v_ashrrev_i32_e32 v157, 31, v157
	v_xor_b32_e32 v155, s22, v155
	v_cmp_gt_i32_e64 s22, 0, v160
	v_and_b32_e32 v38, v38, v152
	v_not_b32_e32 v152, v156
	v_ashrrev_i32_e32 v159, 31, v159
	v_xor_b32_e32 v157, vcc_lo, v157
	v_cmp_gt_i32_e32 vcc_lo, 0, v156
	v_and_b32_e32 v38, v38, v155
	v_ashrrev_i32_e32 v152, 31, v152
	v_xor_b32_e32 v155, s22, v159
	v_add_nc_u32_e32 v153, v131, v153
	v_and_b32_e32 v38, v38, v157
	v_xor_b32_e32 v152, vcc_lo, v152
	v_and_b32_e32 v38, v38, v155
	v_and_b32_e32 v38, v38, v152
	v_mbcnt_lo_u32_b32 v152, v38, 0
	v_cmp_ne_u32_e64 s22, 0, v38
	v_cmp_eq_u32_e32 vcc_lo, 0, v152
	s_and_b32 s23, s22, vcc_lo
	s_and_saveexec_b32 s22, s23
; %bb.427:                              ;   in Loop: Header=BB1326_390 Depth=2
	v_bcnt_u32_b32 v38, v38, 0
	ds_write_b32 v153, v38 offset:544
; %bb.428:                              ;   in Loop: Header=BB1326_390 Depth=2
	s_or_b32 exec_lo, exec_lo, s22
	v_cmp_gt_i32_e32 vcc_lo, 0, v151
	; wave barrier
	v_cndmask_b32_e64 v38, 0x7fffffff, 0, vcc_lo
	v_xor_b32_e32 v151, v38, v151
	v_cmp_ne_u32_e32 vcc_lo, 0x80000000, v151
	v_cndmask_b32_e32 v38, 0x7fffffff, v151, vcc_lo
	v_lshrrev_b32_e32 v38, s52, v38
	v_and_b32_e32 v157, s61, v38
	v_and_b32_e32 v38, 1, v157
	v_lshlrev_b32_e32 v155, 30, v157
	v_lshlrev_b32_e32 v156, 29, v157
	;; [unrolled: 1-line block ×4, first 2 shown]
	v_add_co_u32 v38, s22, v38, -1
	v_cndmask_b32_e64 v159, 0, 1, s22
	v_not_b32_e32 v165, v155
	v_cmp_gt_i32_e64 s22, 0, v155
	v_not_b32_e32 v155, v156
	v_lshlrev_b32_e32 v163, 26, v157
	v_cmp_ne_u32_e32 vcc_lo, 0, v159
	v_ashrrev_i32_e32 v165, 31, v165
	v_lshlrev_b32_e32 v159, 25, v157
	v_ashrrev_i32_e32 v155, 31, v155
	v_xor_b32_e32 v38, vcc_lo, v38
	v_cmp_gt_i32_e32 vcc_lo, 0, v156
	v_not_b32_e32 v156, v160
	v_xor_b32_e32 v165, s22, v165
	v_cmp_gt_i32_e64 s22, 0, v160
	v_and_b32_e32 v38, exec_lo, v38
	v_not_b32_e32 v160, v161
	v_ashrrev_i32_e32 v156, 31, v156
	v_xor_b32_e32 v155, vcc_lo, v155
	v_cmp_gt_i32_e32 vcc_lo, 0, v161
	v_and_b32_e32 v38, v38, v165
	v_not_b32_e32 v161, v163
	v_ashrrev_i32_e32 v160, 31, v160
	v_xor_b32_e32 v156, s22, v156
	v_cmp_gt_i32_e64 s22, 0, v163
	v_and_b32_e32 v38, v38, v155
	v_not_b32_e32 v155, v159
	v_ashrrev_i32_e32 v161, 31, v161
	v_xor_b32_e32 v160, vcc_lo, v160
	v_cmp_gt_i32_e32 vcc_lo, 0, v159
	v_and_b32_e32 v38, v38, v156
	v_ashrrev_i32_e32 v155, 31, v155
	v_xor_b32_e32 v156, s22, v161
	v_mad_u32_u24 v159, v157, 36, v131
	v_mul_u32_u24_e32 v157, 36, v157
	v_and_b32_e32 v38, v38, v160
	v_xor_b32_e32 v160, vcc_lo, v155
	ds_read_b32 v155, v159 offset:544
	v_add_nc_u32_e32 v157, v131, v157
	v_and_b32_e32 v38, v38, v156
	; wave barrier
	v_and_b32_e32 v38, v38, v160
	v_mbcnt_lo_u32_b32 v156, v38, 0
	v_cmp_ne_u32_e64 s22, 0, v38
	v_cmp_eq_u32_e32 vcc_lo, 0, v156
	s_and_b32 s23, s22, vcc_lo
	s_and_saveexec_b32 s22, s23
	s_cbranch_execz .LBB1326_430
; %bb.429:                              ;   in Loop: Header=BB1326_390 Depth=2
	s_waitcnt lgkmcnt(0)
	v_bcnt_u32_b32 v38, v38, v155
	ds_write_b32 v157, v38 offset:544
.LBB1326_430:                           ;   in Loop: Header=BB1326_390 Depth=2
	s_or_b32 exec_lo, exec_lo, s22
	v_cmp_gt_i32_e32 vcc_lo, 0, v154
	; wave barrier
	v_cndmask_b32_e64 v38, 0x7fffffff, 0, vcc_lo
	v_xor_b32_e32 v154, v38, v154
	v_cmp_ne_u32_e32 vcc_lo, 0x80000000, v154
	v_cndmask_b32_e32 v38, 0x7fffffff, v154, vcc_lo
	v_lshrrev_b32_e32 v38, s52, v38
	v_and_b32_e32 v161, s61, v38
	v_and_b32_e32 v38, 1, v161
	v_lshlrev_b32_e32 v159, 30, v161
	v_lshlrev_b32_e32 v160, 29, v161
	;; [unrolled: 1-line block ×4, first 2 shown]
	v_add_co_u32 v38, s22, v38, -1
	v_cndmask_b32_e64 v163, 0, 1, s22
	v_not_b32_e32 v170, v159
	v_cmp_gt_i32_e64 s22, 0, v159
	v_not_b32_e32 v159, v160
	v_lshlrev_b32_e32 v169, 26, v161
	v_cmp_ne_u32_e32 vcc_lo, 0, v163
	v_ashrrev_i32_e32 v170, 31, v170
	v_lshlrev_b32_e32 v163, 25, v161
	v_ashrrev_i32_e32 v159, 31, v159
	v_xor_b32_e32 v38, vcc_lo, v38
	v_cmp_gt_i32_e32 vcc_lo, 0, v160
	v_not_b32_e32 v160, v165
	v_xor_b32_e32 v170, s22, v170
	v_cmp_gt_i32_e64 s22, 0, v165
	v_and_b32_e32 v38, exec_lo, v38
	v_not_b32_e32 v165, v166
	v_ashrrev_i32_e32 v160, 31, v160
	v_xor_b32_e32 v159, vcc_lo, v159
	v_cmp_gt_i32_e32 vcc_lo, 0, v166
	v_and_b32_e32 v38, v38, v170
	v_not_b32_e32 v166, v169
	v_ashrrev_i32_e32 v165, 31, v165
	v_xor_b32_e32 v160, s22, v160
	v_cmp_gt_i32_e64 s22, 0, v169
	v_and_b32_e32 v38, v38, v159
	v_not_b32_e32 v159, v163
	v_ashrrev_i32_e32 v166, 31, v166
	v_xor_b32_e32 v165, vcc_lo, v165
	v_cmp_gt_i32_e32 vcc_lo, 0, v163
	v_and_b32_e32 v38, v38, v160
	v_ashrrev_i32_e32 v159, 31, v159
	v_xor_b32_e32 v160, s22, v166
	v_mad_u32_u24 v163, v161, 36, v131
	v_mul_u32_u24_e32 v161, 36, v161
	v_and_b32_e32 v38, v38, v165
	v_xor_b32_e32 v165, vcc_lo, v159
	ds_read_b32 v159, v163 offset:544
	v_add_nc_u32_e32 v161, v131, v161
	v_and_b32_e32 v38, v38, v160
	; wave barrier
	v_and_b32_e32 v38, v38, v165
	v_mbcnt_lo_u32_b32 v160, v38, 0
	v_cmp_ne_u32_e64 s22, 0, v38
	v_cmp_eq_u32_e32 vcc_lo, 0, v160
	s_and_b32 s23, s22, vcc_lo
	s_and_saveexec_b32 s22, s23
	s_cbranch_execz .LBB1326_432
; %bb.431:                              ;   in Loop: Header=BB1326_390 Depth=2
	s_waitcnt lgkmcnt(0)
	v_bcnt_u32_b32 v38, v38, v159
	ds_write_b32 v161, v38 offset:544
.LBB1326_432:                           ;   in Loop: Header=BB1326_390 Depth=2
	s_or_b32 exec_lo, exec_lo, s22
	v_cmp_gt_i32_e32 vcc_lo, 0, v158
	; wave barrier
	v_cndmask_b32_e64 v38, 0x7fffffff, 0, vcc_lo
	v_xor_b32_e32 v158, v38, v158
	v_cmp_ne_u32_e32 vcc_lo, 0x80000000, v158
	v_cndmask_b32_e32 v38, 0x7fffffff, v158, vcc_lo
	v_lshrrev_b32_e32 v38, s52, v38
	v_and_b32_e32 v166, s61, v38
	v_and_b32_e32 v38, 1, v166
	v_lshlrev_b32_e32 v163, 30, v166
	v_lshlrev_b32_e32 v165, 29, v166
	v_lshlrev_b32_e32 v170, 28, v166
	v_lshlrev_b32_e32 v171, 27, v166
	v_add_co_u32 v38, s22, v38, -1
	v_cndmask_b32_e64 v169, 0, 1, s22
	v_not_b32_e32 v175, v163
	v_cmp_gt_i32_e64 s22, 0, v163
	v_not_b32_e32 v163, v165
	v_lshlrev_b32_e32 v174, 26, v166
	v_cmp_ne_u32_e32 vcc_lo, 0, v169
	v_ashrrev_i32_e32 v175, 31, v175
	v_lshlrev_b32_e32 v169, 25, v166
	v_ashrrev_i32_e32 v163, 31, v163
	v_xor_b32_e32 v38, vcc_lo, v38
	v_cmp_gt_i32_e32 vcc_lo, 0, v165
	v_not_b32_e32 v165, v170
	v_xor_b32_e32 v175, s22, v175
	v_cmp_gt_i32_e64 s22, 0, v170
	v_and_b32_e32 v38, exec_lo, v38
	v_not_b32_e32 v170, v171
	v_ashrrev_i32_e32 v165, 31, v165
	v_xor_b32_e32 v163, vcc_lo, v163
	v_cmp_gt_i32_e32 vcc_lo, 0, v171
	v_and_b32_e32 v38, v38, v175
	v_not_b32_e32 v171, v174
	v_ashrrev_i32_e32 v170, 31, v170
	v_xor_b32_e32 v165, s22, v165
	v_cmp_gt_i32_e64 s22, 0, v174
	v_and_b32_e32 v38, v38, v163
	v_not_b32_e32 v163, v169
	v_ashrrev_i32_e32 v171, 31, v171
	v_xor_b32_e32 v170, vcc_lo, v170
	v_cmp_gt_i32_e32 vcc_lo, 0, v169
	v_and_b32_e32 v38, v38, v165
	v_ashrrev_i32_e32 v163, 31, v163
	v_xor_b32_e32 v165, s22, v171
	v_mad_u32_u24 v169, v166, 36, v131
	v_mul_u32_u24_e32 v166, 36, v166
	v_and_b32_e32 v38, v38, v170
	v_xor_b32_e32 v170, vcc_lo, v163
	ds_read_b32 v163, v169 offset:544
	v_add_nc_u32_e32 v166, v131, v166
	v_and_b32_e32 v38, v38, v165
	; wave barrier
	v_and_b32_e32 v38, v38, v170
	v_mbcnt_lo_u32_b32 v165, v38, 0
	v_cmp_ne_u32_e64 s22, 0, v38
	v_cmp_eq_u32_e32 vcc_lo, 0, v165
	s_and_b32 s23, s22, vcc_lo
	s_and_saveexec_b32 s22, s23
	s_cbranch_execz .LBB1326_434
; %bb.433:                              ;   in Loop: Header=BB1326_390 Depth=2
	s_waitcnt lgkmcnt(0)
	v_bcnt_u32_b32 v38, v38, v163
	ds_write_b32 v166, v38 offset:544
.LBB1326_434:                           ;   in Loop: Header=BB1326_390 Depth=2
	s_or_b32 exec_lo, exec_lo, s22
	v_cmp_gt_i32_e32 vcc_lo, 0, v162
	; wave barrier
	v_cndmask_b32_e64 v38, 0x7fffffff, 0, vcc_lo
	v_xor_b32_e32 v162, v38, v162
	v_cmp_ne_u32_e32 vcc_lo, 0x80000000, v162
	v_cndmask_b32_e32 v38, 0x7fffffff, v162, vcc_lo
	v_lshrrev_b32_e32 v38, s52, v38
	v_and_b32_e32 v171, s61, v38
	v_and_b32_e32 v38, 1, v171
	v_lshlrev_b32_e32 v169, 30, v171
	v_lshlrev_b32_e32 v170, 29, v171
	;; [unrolled: 1-line block ×4, first 2 shown]
	v_add_co_u32 v38, s22, v38, -1
	v_cndmask_b32_e64 v174, 0, 1, s22
	v_not_b32_e32 v180, v169
	v_cmp_gt_i32_e64 s22, 0, v169
	v_not_b32_e32 v169, v170
	v_lshlrev_b32_e32 v179, 26, v171
	v_cmp_ne_u32_e32 vcc_lo, 0, v174
	v_ashrrev_i32_e32 v180, 31, v180
	v_lshlrev_b32_e32 v174, 25, v171
	v_ashrrev_i32_e32 v169, 31, v169
	v_xor_b32_e32 v38, vcc_lo, v38
	v_cmp_gt_i32_e32 vcc_lo, 0, v170
	v_not_b32_e32 v170, v175
	v_xor_b32_e32 v180, s22, v180
	v_cmp_gt_i32_e64 s22, 0, v175
	v_and_b32_e32 v38, exec_lo, v38
	v_not_b32_e32 v175, v177
	v_ashrrev_i32_e32 v170, 31, v170
	v_xor_b32_e32 v169, vcc_lo, v169
	v_cmp_gt_i32_e32 vcc_lo, 0, v177
	v_and_b32_e32 v38, v38, v180
	v_not_b32_e32 v177, v179
	v_ashrrev_i32_e32 v175, 31, v175
	v_xor_b32_e32 v170, s22, v170
	v_cmp_gt_i32_e64 s22, 0, v179
	v_and_b32_e32 v38, v38, v169
	v_not_b32_e32 v169, v174
	v_ashrrev_i32_e32 v177, 31, v177
	v_xor_b32_e32 v175, vcc_lo, v175
	v_cmp_gt_i32_e32 vcc_lo, 0, v174
	v_and_b32_e32 v38, v38, v170
	v_ashrrev_i32_e32 v169, 31, v169
	v_xor_b32_e32 v170, s22, v177
	v_mad_u32_u24 v174, v171, 36, v131
	v_mul_u32_u24_e32 v171, 36, v171
	v_and_b32_e32 v38, v38, v175
	v_xor_b32_e32 v175, vcc_lo, v169
	ds_read_b32 v169, v174 offset:544
	v_add_nc_u32_e32 v171, v131, v171
	v_and_b32_e32 v38, v38, v170
	; wave barrier
	v_and_b32_e32 v38, v38, v175
	v_mbcnt_lo_u32_b32 v170, v38, 0
	v_cmp_ne_u32_e64 s22, 0, v38
	v_cmp_eq_u32_e32 vcc_lo, 0, v170
	s_and_b32 s23, s22, vcc_lo
	s_and_saveexec_b32 s22, s23
	s_cbranch_execz .LBB1326_436
; %bb.435:                              ;   in Loop: Header=BB1326_390 Depth=2
	s_waitcnt lgkmcnt(0)
	v_bcnt_u32_b32 v38, v38, v169
	ds_write_b32 v171, v38 offset:544
.LBB1326_436:                           ;   in Loop: Header=BB1326_390 Depth=2
	s_or_b32 exec_lo, exec_lo, s22
	v_cmp_gt_i32_e32 vcc_lo, 0, v168
	; wave barrier
	v_cndmask_b32_e64 v38, 0x7fffffff, 0, vcc_lo
	v_xor_b32_e32 v168, v38, v168
	v_cmp_ne_u32_e32 vcc_lo, 0x80000000, v168
	v_cndmask_b32_e32 v38, 0x7fffffff, v168, vcc_lo
	v_lshrrev_b32_e32 v38, s52, v38
	v_and_b32_e32 v177, s61, v38
	v_and_b32_e32 v38, 1, v177
	v_lshlrev_b32_e32 v174, 30, v177
	v_lshlrev_b32_e32 v175, 29, v177
	;; [unrolled: 1-line block ×4, first 2 shown]
	v_add_co_u32 v38, s22, v38, -1
	v_cndmask_b32_e64 v179, 0, 1, s22
	v_not_b32_e32 v184, v174
	v_cmp_gt_i32_e64 s22, 0, v174
	v_not_b32_e32 v174, v175
	v_lshlrev_b32_e32 v183, 26, v177
	v_cmp_ne_u32_e32 vcc_lo, 0, v179
	v_ashrrev_i32_e32 v184, 31, v184
	v_lshlrev_b32_e32 v179, 25, v177
	v_ashrrev_i32_e32 v174, 31, v174
	v_xor_b32_e32 v38, vcc_lo, v38
	v_cmp_gt_i32_e32 vcc_lo, 0, v175
	v_not_b32_e32 v175, v180
	v_xor_b32_e32 v184, s22, v184
	v_cmp_gt_i32_e64 s22, 0, v180
	v_and_b32_e32 v38, exec_lo, v38
	v_not_b32_e32 v180, v182
	v_ashrrev_i32_e32 v175, 31, v175
	v_xor_b32_e32 v174, vcc_lo, v174
	v_cmp_gt_i32_e32 vcc_lo, 0, v182
	v_and_b32_e32 v38, v38, v184
	v_not_b32_e32 v182, v183
	v_ashrrev_i32_e32 v180, 31, v180
	v_xor_b32_e32 v175, s22, v175
	v_cmp_gt_i32_e64 s22, 0, v183
	v_and_b32_e32 v38, v38, v174
	v_not_b32_e32 v174, v179
	v_ashrrev_i32_e32 v182, 31, v182
	v_xor_b32_e32 v180, vcc_lo, v180
	v_cmp_gt_i32_e32 vcc_lo, 0, v179
	v_and_b32_e32 v38, v38, v175
	v_ashrrev_i32_e32 v174, 31, v174
	v_xor_b32_e32 v175, s22, v182
	v_mad_u32_u24 v179, v177, 36, v131
	v_mul_u32_u24_e32 v177, 36, v177
	v_and_b32_e32 v38, v38, v180
	v_xor_b32_e32 v180, vcc_lo, v174
	ds_read_b32 v174, v179 offset:544
	v_add_nc_u32_e32 v177, v131, v177
	v_and_b32_e32 v38, v38, v175
	; wave barrier
	v_and_b32_e32 v38, v38, v180
	v_mbcnt_lo_u32_b32 v175, v38, 0
	v_cmp_ne_u32_e64 s22, 0, v38
	v_cmp_eq_u32_e32 vcc_lo, 0, v175
	s_and_b32 s23, s22, vcc_lo
	s_and_saveexec_b32 s22, s23
	s_cbranch_execz .LBB1326_438
; %bb.437:                              ;   in Loop: Header=BB1326_390 Depth=2
	s_waitcnt lgkmcnt(0)
	v_bcnt_u32_b32 v38, v38, v174
	ds_write_b32 v177, v38 offset:544
.LBB1326_438:                           ;   in Loop: Header=BB1326_390 Depth=2
	s_or_b32 exec_lo, exec_lo, s22
	v_cmp_gt_i32_e32 vcc_lo, 0, v173
	; wave barrier
	v_cndmask_b32_e64 v38, 0x7fffffff, 0, vcc_lo
	v_xor_b32_e32 v173, v38, v173
	v_cmp_ne_u32_e32 vcc_lo, 0x80000000, v173
	v_cndmask_b32_e32 v38, 0x7fffffff, v173, vcc_lo
	v_lshrrev_b32_e32 v38, s52, v38
	v_and_b32_e32 v182, s61, v38
	v_and_b32_e32 v38, 1, v182
	v_lshlrev_b32_e32 v179, 30, v182
	v_lshlrev_b32_e32 v180, 29, v182
	;; [unrolled: 1-line block ×4, first 2 shown]
	v_add_co_u32 v38, s22, v38, -1
	v_cndmask_b32_e64 v183, 0, 1, s22
	v_not_b32_e32 v187, v179
	v_cmp_gt_i32_e64 s22, 0, v179
	v_not_b32_e32 v179, v180
	v_lshlrev_b32_e32 v186, 26, v182
	v_cmp_ne_u32_e32 vcc_lo, 0, v183
	v_ashrrev_i32_e32 v187, 31, v187
	v_lshlrev_b32_e32 v183, 25, v182
	v_ashrrev_i32_e32 v179, 31, v179
	v_xor_b32_e32 v38, vcc_lo, v38
	v_cmp_gt_i32_e32 vcc_lo, 0, v180
	v_not_b32_e32 v180, v184
	v_xor_b32_e32 v187, s22, v187
	v_cmp_gt_i32_e64 s22, 0, v184
	v_and_b32_e32 v38, exec_lo, v38
	v_not_b32_e32 v184, v185
	v_ashrrev_i32_e32 v180, 31, v180
	v_xor_b32_e32 v179, vcc_lo, v179
	v_cmp_gt_i32_e32 vcc_lo, 0, v185
	v_and_b32_e32 v38, v38, v187
	v_not_b32_e32 v185, v186
	v_ashrrev_i32_e32 v184, 31, v184
	v_xor_b32_e32 v180, s22, v180
	v_cmp_gt_i32_e64 s22, 0, v186
	v_and_b32_e32 v38, v38, v179
	v_not_b32_e32 v179, v183
	v_ashrrev_i32_e32 v185, 31, v185
	v_xor_b32_e32 v184, vcc_lo, v184
	v_cmp_gt_i32_e32 vcc_lo, 0, v183
	v_and_b32_e32 v38, v38, v180
	v_ashrrev_i32_e32 v179, 31, v179
	v_xor_b32_e32 v180, s22, v185
	v_mad_u32_u24 v183, v182, 36, v131
	v_mul_u32_u24_e32 v182, 36, v182
	v_and_b32_e32 v38, v38, v184
	v_xor_b32_e32 v184, vcc_lo, v179
	ds_read_b32 v179, v183 offset:544
	v_add_nc_u32_e32 v182, v131, v182
	v_and_b32_e32 v38, v38, v180
	; wave barrier
	v_and_b32_e32 v38, v38, v184
	v_mbcnt_lo_u32_b32 v180, v38, 0
	v_cmp_ne_u32_e64 s22, 0, v38
	v_cmp_eq_u32_e32 vcc_lo, 0, v180
	s_and_b32 s23, s22, vcc_lo
	s_and_saveexec_b32 s22, s23
	s_cbranch_execz .LBB1326_440
; %bb.439:                              ;   in Loop: Header=BB1326_390 Depth=2
	s_waitcnt lgkmcnt(0)
	v_bcnt_u32_b32 v38, v38, v179
	ds_write_b32 v182, v38 offset:544
.LBB1326_440:                           ;   in Loop: Header=BB1326_390 Depth=2
	s_or_b32 exec_lo, exec_lo, s22
	v_cmp_gt_i32_e32 vcc_lo, 0, v178
	; wave barrier
	v_cndmask_b32_e64 v38, 0x7fffffff, 0, vcc_lo
	v_xor_b32_e32 v178, v38, v178
	v_cmp_ne_u32_e32 vcc_lo, 0x80000000, v178
	v_cndmask_b32_e32 v38, 0x7fffffff, v178, vcc_lo
	v_lshrrev_b32_e32 v38, s52, v38
	v_and_b32_e32 v185, s61, v38
	v_and_b32_e32 v38, 1, v185
	v_lshlrev_b32_e32 v183, 30, v185
	v_lshlrev_b32_e32 v184, 29, v185
	v_lshlrev_b32_e32 v187, 28, v185
	v_lshlrev_b32_e32 v188, 27, v185
	v_add_co_u32 v38, s22, v38, -1
	v_cndmask_b32_e64 v186, 0, 1, s22
	v_not_b32_e32 v190, v183
	v_cmp_gt_i32_e64 s22, 0, v183
	v_not_b32_e32 v183, v184
	v_lshlrev_b32_e32 v189, 26, v185
	v_cmp_ne_u32_e32 vcc_lo, 0, v186
	v_ashrrev_i32_e32 v190, 31, v190
	v_lshlrev_b32_e32 v186, 25, v185
	v_ashrrev_i32_e32 v183, 31, v183
	v_xor_b32_e32 v38, vcc_lo, v38
	v_cmp_gt_i32_e32 vcc_lo, 0, v184
	v_not_b32_e32 v184, v187
	v_xor_b32_e32 v190, s22, v190
	v_cmp_gt_i32_e64 s22, 0, v187
	v_and_b32_e32 v38, exec_lo, v38
	v_not_b32_e32 v187, v188
	v_ashrrev_i32_e32 v184, 31, v184
	v_xor_b32_e32 v183, vcc_lo, v183
	v_cmp_gt_i32_e32 vcc_lo, 0, v188
	v_and_b32_e32 v38, v38, v190
	v_not_b32_e32 v188, v189
	v_ashrrev_i32_e32 v187, 31, v187
	v_xor_b32_e32 v184, s22, v184
	v_cmp_gt_i32_e64 s22, 0, v189
	v_and_b32_e32 v38, v38, v183
	v_not_b32_e32 v183, v186
	v_ashrrev_i32_e32 v188, 31, v188
	v_xor_b32_e32 v187, vcc_lo, v187
	v_cmp_gt_i32_e32 vcc_lo, 0, v186
	v_and_b32_e32 v38, v38, v184
	v_ashrrev_i32_e32 v183, 31, v183
	v_xor_b32_e32 v184, s22, v188
	v_mad_u32_u24 v186, v185, 36, v131
	v_mul_u32_u24_e32 v185, 36, v185
	v_and_b32_e32 v38, v38, v187
	v_xor_b32_e32 v187, vcc_lo, v183
	ds_read_b32 v183, v186 offset:544
	v_add_nc_u32_e32 v185, v131, v185
	v_and_b32_e32 v38, v38, v184
	; wave barrier
	v_and_b32_e32 v38, v38, v187
	v_mbcnt_lo_u32_b32 v184, v38, 0
	v_cmp_ne_u32_e64 s22, 0, v38
	v_cmp_eq_u32_e32 vcc_lo, 0, v184
	s_and_b32 s23, s22, vcc_lo
	s_and_saveexec_b32 s22, s23
	s_cbranch_execz .LBB1326_442
; %bb.441:                              ;   in Loop: Header=BB1326_390 Depth=2
	s_waitcnt lgkmcnt(0)
	v_bcnt_u32_b32 v38, v38, v183
	ds_write_b32 v185, v38 offset:544
.LBB1326_442:                           ;   in Loop: Header=BB1326_390 Depth=2
	s_or_b32 exec_lo, exec_lo, s22
	v_cmp_gt_i32_e32 vcc_lo, 0, v181
	; wave barrier
	v_cndmask_b32_e64 v38, 0x7fffffff, 0, vcc_lo
	v_xor_b32_e32 v181, v38, v181
	v_cmp_ne_u32_e32 vcc_lo, 0x80000000, v181
	v_cndmask_b32_e32 v38, 0x7fffffff, v181, vcc_lo
	v_lshrrev_b32_e32 v38, s52, v38
	v_and_b32_e32 v188, s61, v38
	v_and_b32_e32 v38, 1, v188
	v_lshlrev_b32_e32 v186, 30, v188
	v_lshlrev_b32_e32 v187, 29, v188
	;; [unrolled: 1-line block ×4, first 2 shown]
	v_add_co_u32 v38, s22, v38, -1
	v_cndmask_b32_e64 v189, 0, 1, s22
	v_not_b32_e32 v193, v186
	v_cmp_gt_i32_e64 s22, 0, v186
	v_not_b32_e32 v186, v187
	v_lshlrev_b32_e32 v192, 26, v188
	v_cmp_ne_u32_e32 vcc_lo, 0, v189
	v_ashrrev_i32_e32 v193, 31, v193
	v_lshlrev_b32_e32 v189, 25, v188
	v_ashrrev_i32_e32 v186, 31, v186
	v_xor_b32_e32 v38, vcc_lo, v38
	v_cmp_gt_i32_e32 vcc_lo, 0, v187
	v_not_b32_e32 v187, v190
	v_xor_b32_e32 v193, s22, v193
	v_cmp_gt_i32_e64 s22, 0, v190
	v_and_b32_e32 v38, exec_lo, v38
	v_not_b32_e32 v190, v191
	v_ashrrev_i32_e32 v187, 31, v187
	v_xor_b32_e32 v186, vcc_lo, v186
	v_cmp_gt_i32_e32 vcc_lo, 0, v191
	v_and_b32_e32 v38, v38, v193
	v_not_b32_e32 v191, v192
	v_ashrrev_i32_e32 v190, 31, v190
	v_xor_b32_e32 v187, s22, v187
	v_cmp_gt_i32_e64 s22, 0, v192
	v_and_b32_e32 v38, v38, v186
	v_not_b32_e32 v186, v189
	v_ashrrev_i32_e32 v191, 31, v191
	v_xor_b32_e32 v190, vcc_lo, v190
	v_cmp_gt_i32_e32 vcc_lo, 0, v189
	v_and_b32_e32 v38, v38, v187
	v_ashrrev_i32_e32 v186, 31, v186
	v_xor_b32_e32 v187, s22, v191
	v_mad_u32_u24 v189, v188, 36, v131
	v_mul_u32_u24_e32 v188, 36, v188
	v_and_b32_e32 v38, v38, v190
	v_xor_b32_e32 v190, vcc_lo, v186
	ds_read_b32 v186, v189 offset:544
	v_add_nc_u32_e32 v188, v131, v188
	v_and_b32_e32 v38, v38, v187
	; wave barrier
	v_and_b32_e32 v38, v38, v190
	v_mbcnt_lo_u32_b32 v187, v38, 0
	v_cmp_ne_u32_e64 s22, 0, v38
	v_cmp_eq_u32_e32 vcc_lo, 0, v187
	s_and_b32 s23, s22, vcc_lo
	s_and_saveexec_b32 s22, s23
	s_cbranch_execz .LBB1326_444
; %bb.443:                              ;   in Loop: Header=BB1326_390 Depth=2
	s_waitcnt lgkmcnt(0)
	v_bcnt_u32_b32 v38, v38, v186
	ds_write_b32 v188, v38 offset:544
.LBB1326_444:                           ;   in Loop: Header=BB1326_390 Depth=2
	s_or_b32 exec_lo, exec_lo, s22
	v_cmp_gt_i32_e32 vcc_lo, 0, v176
	; wave barrier
	v_cndmask_b32_e64 v38, 0x7fffffff, 0, vcc_lo
	v_xor_b32_e32 v176, v38, v176
	v_cmp_ne_u32_e32 vcc_lo, 0x80000000, v176
	v_cndmask_b32_e32 v38, 0x7fffffff, v176, vcc_lo
	v_lshrrev_b32_e32 v38, s52, v38
	v_and_b32_e32 v191, s61, v38
	v_and_b32_e32 v38, 1, v191
	v_lshlrev_b32_e32 v189, 30, v191
	v_lshlrev_b32_e32 v190, 29, v191
	v_lshlrev_b32_e32 v193, 28, v191
	v_lshlrev_b32_e32 v194, 27, v191
	v_add_co_u32 v38, s22, v38, -1
	v_cndmask_b32_e64 v192, 0, 1, s22
	v_not_b32_e32 v196, v189
	v_cmp_gt_i32_e64 s22, 0, v189
	v_not_b32_e32 v189, v190
	v_lshlrev_b32_e32 v195, 26, v191
	v_cmp_ne_u32_e32 vcc_lo, 0, v192
	v_ashrrev_i32_e32 v196, 31, v196
	v_lshlrev_b32_e32 v192, 25, v191
	v_ashrrev_i32_e32 v189, 31, v189
	v_xor_b32_e32 v38, vcc_lo, v38
	v_cmp_gt_i32_e32 vcc_lo, 0, v190
	v_not_b32_e32 v190, v193
	v_xor_b32_e32 v196, s22, v196
	v_cmp_gt_i32_e64 s22, 0, v193
	v_and_b32_e32 v38, exec_lo, v38
	v_not_b32_e32 v193, v194
	v_ashrrev_i32_e32 v190, 31, v190
	v_xor_b32_e32 v189, vcc_lo, v189
	v_cmp_gt_i32_e32 vcc_lo, 0, v194
	v_and_b32_e32 v38, v38, v196
	v_not_b32_e32 v194, v195
	v_ashrrev_i32_e32 v193, 31, v193
	v_xor_b32_e32 v190, s22, v190
	v_cmp_gt_i32_e64 s22, 0, v195
	v_and_b32_e32 v38, v38, v189
	v_not_b32_e32 v189, v192
	v_ashrrev_i32_e32 v194, 31, v194
	v_xor_b32_e32 v193, vcc_lo, v193
	v_cmp_gt_i32_e32 vcc_lo, 0, v192
	v_and_b32_e32 v38, v38, v190
	v_ashrrev_i32_e32 v189, 31, v189
	v_xor_b32_e32 v190, s22, v194
	v_mad_u32_u24 v192, v191, 36, v131
	v_mul_u32_u24_e32 v191, 36, v191
	v_and_b32_e32 v38, v38, v193
	v_xor_b32_e32 v193, vcc_lo, v189
	ds_read_b32 v189, v192 offset:544
	v_add_nc_u32_e32 v191, v131, v191
	v_and_b32_e32 v38, v38, v190
	; wave barrier
	v_and_b32_e32 v38, v38, v193
	v_mbcnt_lo_u32_b32 v190, v38, 0
	v_cmp_ne_u32_e64 s22, 0, v38
	v_cmp_eq_u32_e32 vcc_lo, 0, v190
	s_and_b32 s23, s22, vcc_lo
	s_and_saveexec_b32 s22, s23
	s_cbranch_execz .LBB1326_446
; %bb.445:                              ;   in Loop: Header=BB1326_390 Depth=2
	s_waitcnt lgkmcnt(0)
	v_bcnt_u32_b32 v38, v38, v189
	ds_write_b32 v191, v38 offset:544
.LBB1326_446:                           ;   in Loop: Header=BB1326_390 Depth=2
	s_or_b32 exec_lo, exec_lo, s22
	v_cmp_gt_i32_e32 vcc_lo, 0, v172
	; wave barrier
	v_cndmask_b32_e64 v38, 0x7fffffff, 0, vcc_lo
	v_xor_b32_e32 v172, v38, v172
	v_cmp_ne_u32_e32 vcc_lo, 0x80000000, v172
	v_cndmask_b32_e32 v38, 0x7fffffff, v172, vcc_lo
	v_lshrrev_b32_e32 v38, s52, v38
	v_and_b32_e32 v192, s61, v38
	v_and_b32_e32 v38, 1, v192
	v_lshlrev_b32_e32 v193, 30, v192
	v_lshlrev_b32_e32 v194, 29, v192
	;; [unrolled: 1-line block ×4, first 2 shown]
	v_add_co_u32 v38, s22, v38, -1
	v_cndmask_b32_e64 v195, 0, 1, s22
	v_not_b32_e32 v199, v193
	v_cmp_gt_i32_e64 s22, 0, v193
	v_not_b32_e32 v193, v194
	v_lshlrev_b32_e32 v198, 26, v192
	v_cmp_ne_u32_e32 vcc_lo, 0, v195
	v_ashrrev_i32_e32 v199, 31, v199
	v_lshlrev_b32_e32 v195, 25, v192
	v_ashrrev_i32_e32 v193, 31, v193
	v_xor_b32_e32 v38, vcc_lo, v38
	v_cmp_gt_i32_e32 vcc_lo, 0, v194
	v_not_b32_e32 v194, v196
	v_xor_b32_e32 v199, s22, v199
	v_cmp_gt_i32_e64 s22, 0, v196
	v_and_b32_e32 v38, exec_lo, v38
	v_not_b32_e32 v196, v197
	v_ashrrev_i32_e32 v194, 31, v194
	v_xor_b32_e32 v193, vcc_lo, v193
	v_cmp_gt_i32_e32 vcc_lo, 0, v197
	v_and_b32_e32 v38, v38, v199
	v_not_b32_e32 v197, v198
	v_ashrrev_i32_e32 v196, 31, v196
	v_xor_b32_e32 v194, s22, v194
	v_cmp_gt_i32_e64 s22, 0, v198
	v_and_b32_e32 v38, v38, v193
	v_not_b32_e32 v193, v195
	v_ashrrev_i32_e32 v197, 31, v197
	v_xor_b32_e32 v196, vcc_lo, v196
	v_cmp_gt_i32_e32 vcc_lo, 0, v195
	v_and_b32_e32 v38, v38, v194
	v_ashrrev_i32_e32 v193, 31, v193
	v_xor_b32_e32 v194, s22, v197
	v_mad_u32_u24 v195, v192, 36, v131
	v_mul_u32_u24_e32 v192, 36, v192
	v_and_b32_e32 v38, v38, v196
	v_xor_b32_e32 v196, vcc_lo, v193
	ds_read_b32 v193, v195 offset:544
	v_add_nc_u32_e32 v195, v131, v192
	v_and_b32_e32 v38, v38, v194
	; wave barrier
	v_and_b32_e32 v38, v38, v196
	v_mbcnt_lo_u32_b32 v194, v38, 0
	v_cmp_ne_u32_e64 s22, 0, v38
	v_cmp_eq_u32_e32 vcc_lo, 0, v194
	s_and_b32 s23, s22, vcc_lo
	s_and_saveexec_b32 s22, s23
	s_cbranch_execz .LBB1326_448
; %bb.447:                              ;   in Loop: Header=BB1326_390 Depth=2
	s_waitcnt lgkmcnt(0)
	v_bcnt_u32_b32 v38, v38, v193
	ds_write_b32 v195, v38 offset:544
.LBB1326_448:                           ;   in Loop: Header=BB1326_390 Depth=2
	s_or_b32 exec_lo, exec_lo, s22
	v_cmp_gt_i32_e32 vcc_lo, 0, v167
	; wave barrier
	v_cndmask_b32_e64 v38, 0x7fffffff, 0, vcc_lo
	v_xor_b32_e32 v192, v38, v167
	v_cmp_ne_u32_e32 vcc_lo, 0x80000000, v192
	v_cndmask_b32_e32 v38, 0x7fffffff, v192, vcc_lo
	v_lshrrev_b32_e32 v38, s52, v38
	v_and_b32_e32 v167, s61, v38
	v_and_b32_e32 v38, 1, v167
	v_lshlrev_b32_e32 v196, 30, v167
	v_lshlrev_b32_e32 v197, 29, v167
	;; [unrolled: 1-line block ×4, first 2 shown]
	v_add_co_u32 v38, s22, v38, -1
	v_cndmask_b32_e64 v198, 0, 1, s22
	v_not_b32_e32 v202, v196
	v_cmp_gt_i32_e64 s22, 0, v196
	v_not_b32_e32 v196, v197
	v_lshlrev_b32_e32 v201, 26, v167
	v_cmp_ne_u32_e32 vcc_lo, 0, v198
	v_ashrrev_i32_e32 v202, 31, v202
	v_lshlrev_b32_e32 v198, 25, v167
	v_ashrrev_i32_e32 v196, 31, v196
	v_xor_b32_e32 v38, vcc_lo, v38
	v_cmp_gt_i32_e32 vcc_lo, 0, v197
	v_not_b32_e32 v197, v199
	v_xor_b32_e32 v202, s22, v202
	v_cmp_gt_i32_e64 s22, 0, v199
	v_and_b32_e32 v38, exec_lo, v38
	v_not_b32_e32 v199, v200
	v_ashrrev_i32_e32 v197, 31, v197
	v_xor_b32_e32 v196, vcc_lo, v196
	v_cmp_gt_i32_e32 vcc_lo, 0, v200
	v_and_b32_e32 v38, v38, v202
	v_not_b32_e32 v200, v201
	v_ashrrev_i32_e32 v199, 31, v199
	v_xor_b32_e32 v197, s22, v197
	v_cmp_gt_i32_e64 s22, 0, v201
	v_and_b32_e32 v38, v38, v196
	v_not_b32_e32 v196, v198
	v_ashrrev_i32_e32 v200, 31, v200
	v_xor_b32_e32 v199, vcc_lo, v199
	v_cmp_gt_i32_e32 vcc_lo, 0, v198
	v_and_b32_e32 v38, v38, v197
	v_ashrrev_i32_e32 v196, 31, v196
	v_xor_b32_e32 v197, s22, v200
	v_mad_u32_u24 v198, v167, 36, v131
	v_mul_u32_u24_e32 v167, 36, v167
	v_and_b32_e32 v38, v38, v199
	v_xor_b32_e32 v196, vcc_lo, v196
	v_add_nc_u32_e32 v167, v131, v167
	v_and_b32_e32 v38, v38, v197
	ds_read_b32 v197, v198 offset:544
	; wave barrier
	v_and_b32_e32 v38, v38, v196
	v_mbcnt_lo_u32_b32 v198, v38, 0
	v_cmp_ne_u32_e64 s22, 0, v38
	v_cmp_eq_u32_e32 vcc_lo, 0, v198
	s_and_b32 s23, s22, vcc_lo
	s_and_saveexec_b32 s22, s23
	s_cbranch_execz .LBB1326_450
; %bb.449:                              ;   in Loop: Header=BB1326_390 Depth=2
	s_waitcnt lgkmcnt(0)
	v_bcnt_u32_b32 v38, v38, v197
	ds_write_b32 v167, v38 offset:544
.LBB1326_450:                           ;   in Loop: Header=BB1326_390 Depth=2
	s_or_b32 exec_lo, exec_lo, s22
	v_cmp_gt_i32_e32 vcc_lo, 0, v164
	; wave barrier
	v_cndmask_b32_e64 v38, 0x7fffffff, 0, vcc_lo
	v_xor_b32_e32 v196, v38, v164
	v_cmp_ne_u32_e32 vcc_lo, 0x80000000, v196
	v_cndmask_b32_e32 v38, 0x7fffffff, v196, vcc_lo
	v_lshrrev_b32_e32 v38, s52, v38
	v_and_b32_e32 v164, s61, v38
	v_and_b32_e32 v38, 1, v164
	v_lshlrev_b32_e32 v199, 30, v164
	v_lshlrev_b32_e32 v200, 29, v164
	;; [unrolled: 1-line block ×4, first 2 shown]
	v_add_co_u32 v38, s22, v38, -1
	v_cndmask_b32_e64 v201, 0, 1, s22
	v_not_b32_e32 v205, v199
	v_cmp_gt_i32_e64 s22, 0, v199
	v_not_b32_e32 v199, v200
	v_lshlrev_b32_e32 v204, 26, v164
	v_cmp_ne_u32_e32 vcc_lo, 0, v201
	v_ashrrev_i32_e32 v205, 31, v205
	v_lshlrev_b32_e32 v201, 25, v164
	v_ashrrev_i32_e32 v199, 31, v199
	v_xor_b32_e32 v38, vcc_lo, v38
	v_cmp_gt_i32_e32 vcc_lo, 0, v200
	v_not_b32_e32 v200, v202
	v_xor_b32_e32 v205, s22, v205
	v_cmp_gt_i32_e64 s22, 0, v202
	v_and_b32_e32 v38, exec_lo, v38
	v_not_b32_e32 v202, v203
	v_ashrrev_i32_e32 v200, 31, v200
	v_xor_b32_e32 v199, vcc_lo, v199
	v_cmp_gt_i32_e32 vcc_lo, 0, v203
	v_and_b32_e32 v38, v38, v205
	v_not_b32_e32 v203, v204
	v_ashrrev_i32_e32 v202, 31, v202
	v_xor_b32_e32 v200, s22, v200
	v_cmp_gt_i32_e64 s22, 0, v204
	v_and_b32_e32 v38, v38, v199
	v_not_b32_e32 v199, v201
	v_ashrrev_i32_e32 v203, 31, v203
	v_xor_b32_e32 v202, vcc_lo, v202
	v_cmp_gt_i32_e32 vcc_lo, 0, v201
	v_and_b32_e32 v38, v38, v200
	v_ashrrev_i32_e32 v199, 31, v199
	v_xor_b32_e32 v200, s22, v203
	v_mad_u32_u24 v201, v164, 36, v131
	v_mul_u32_u24_e32 v164, 36, v164
	v_and_b32_e32 v38, v38, v202
	v_xor_b32_e32 v199, vcc_lo, v199
	v_add_nc_u32_e32 v164, v131, v164
	v_and_b32_e32 v38, v38, v200
	ds_read_b32 v200, v201 offset:544
	; wave barrier
	v_and_b32_e32 v38, v38, v199
	v_mbcnt_lo_u32_b32 v201, v38, 0
	v_cmp_ne_u32_e64 s22, 0, v38
	v_cmp_eq_u32_e32 vcc_lo, 0, v201
	s_and_b32 s23, s22, vcc_lo
	s_and_saveexec_b32 s22, s23
	s_cbranch_execz .LBB1326_452
; %bb.451:                              ;   in Loop: Header=BB1326_390 Depth=2
	s_waitcnt lgkmcnt(0)
	v_bcnt_u32_b32 v38, v38, v200
	ds_write_b32 v164, v38 offset:544
.LBB1326_452:                           ;   in Loop: Header=BB1326_390 Depth=2
	s_or_b32 exec_lo, exec_lo, s22
	v_cmp_gt_i32_e32 vcc_lo, 0, v40
	; wave barrier
	v_cndmask_b32_e64 v38, 0x7fffffff, 0, vcc_lo
	v_xor_b32_e32 v199, v38, v40
	v_cmp_ne_u32_e32 vcc_lo, 0x80000000, v199
	v_cndmask_b32_e32 v38, 0x7fffffff, v199, vcc_lo
	v_lshrrev_b32_e32 v38, s52, v38
	v_and_b32_e32 v40, s61, v38
	v_and_b32_e32 v38, 1, v40
	v_lshlrev_b32_e32 v202, 30, v40
	v_lshlrev_b32_e32 v203, 29, v40
	;; [unrolled: 1-line block ×4, first 2 shown]
	v_add_co_u32 v38, s22, v38, -1
	v_cndmask_b32_e64 v204, 0, 1, s22
	v_not_b32_e32 v208, v202
	v_cmp_gt_i32_e64 s22, 0, v202
	v_not_b32_e32 v202, v203
	v_lshlrev_b32_e32 v207, 26, v40
	v_cmp_ne_u32_e32 vcc_lo, 0, v204
	v_ashrrev_i32_e32 v208, 31, v208
	v_lshlrev_b32_e32 v204, 25, v40
	v_ashrrev_i32_e32 v202, 31, v202
	v_xor_b32_e32 v38, vcc_lo, v38
	v_cmp_gt_i32_e32 vcc_lo, 0, v203
	v_not_b32_e32 v203, v205
	v_xor_b32_e32 v208, s22, v208
	v_cmp_gt_i32_e64 s22, 0, v205
	v_and_b32_e32 v38, exec_lo, v38
	v_not_b32_e32 v205, v206
	v_ashrrev_i32_e32 v203, 31, v203
	v_xor_b32_e32 v202, vcc_lo, v202
	v_cmp_gt_i32_e32 vcc_lo, 0, v206
	v_and_b32_e32 v38, v38, v208
	v_not_b32_e32 v206, v207
	v_ashrrev_i32_e32 v205, 31, v205
	v_xor_b32_e32 v203, s22, v203
	v_cmp_gt_i32_e64 s22, 0, v207
	v_and_b32_e32 v38, v38, v202
	v_not_b32_e32 v202, v204
	v_ashrrev_i32_e32 v206, 31, v206
	v_xor_b32_e32 v205, vcc_lo, v205
	v_cmp_gt_i32_e32 vcc_lo, 0, v204
	v_and_b32_e32 v38, v38, v203
	v_ashrrev_i32_e32 v202, 31, v202
	v_xor_b32_e32 v203, s22, v206
	v_mad_u32_u24 v204, v40, 36, v131
	v_mul_u32_u24_e32 v40, 36, v40
	v_and_b32_e32 v38, v38, v205
	v_xor_b32_e32 v202, vcc_lo, v202
	v_add_nc_u32_e32 v205, v131, v40
	v_and_b32_e32 v38, v38, v203
	ds_read_b32 v203, v204 offset:544
	; wave barrier
	v_and_b32_e32 v38, v38, v202
	v_mbcnt_lo_u32_b32 v204, v38, 0
	v_cmp_ne_u32_e64 s22, 0, v38
	v_cmp_eq_u32_e32 vcc_lo, 0, v204
	s_and_b32 s23, s22, vcc_lo
	s_and_saveexec_b32 s22, s23
	s_cbranch_execz .LBB1326_454
; %bb.453:                              ;   in Loop: Header=BB1326_390 Depth=2
	s_waitcnt lgkmcnt(0)
	v_bcnt_u32_b32 v38, v38, v203
	ds_write_b32 v205, v38 offset:544
.LBB1326_454:                           ;   in Loop: Header=BB1326_390 Depth=2
	s_or_b32 exec_lo, exec_lo, s22
	v_cmp_gt_i32_e32 vcc_lo, 0, v39
	; wave barrier
	v_cndmask_b32_e64 v38, 0x7fffffff, 0, vcc_lo
	v_xor_b32_e32 v202, v38, v39
	v_cmp_ne_u32_e32 vcc_lo, 0x80000000, v202
	v_cndmask_b32_e32 v38, 0x7fffffff, v202, vcc_lo
	v_lshrrev_b32_e32 v38, s52, v38
	v_and_b32_e32 v39, s61, v38
	v_and_b32_e32 v38, 1, v39
	v_lshlrev_b32_e32 v40, 30, v39
	v_lshlrev_b32_e32 v206, 29, v39
	v_lshlrev_b32_e32 v208, 28, v39
	v_lshlrev_b32_e32 v209, 27, v39
	v_add_co_u32 v38, s22, v38, -1
	v_cndmask_b32_e64 v207, 0, 1, s22
	v_not_b32_e32 v211, v40
	v_cmp_gt_i32_e64 s22, 0, v40
	v_not_b32_e32 v40, v206
	v_lshlrev_b32_e32 v210, 26, v39
	v_cmp_ne_u32_e32 vcc_lo, 0, v207
	v_ashrrev_i32_e32 v211, 31, v211
	v_lshlrev_b32_e32 v207, 25, v39
	v_ashrrev_i32_e32 v40, 31, v40
	v_xor_b32_e32 v38, vcc_lo, v38
	v_cmp_gt_i32_e32 vcc_lo, 0, v206
	v_not_b32_e32 v206, v208
	v_xor_b32_e32 v211, s22, v211
	v_cmp_gt_i32_e64 s22, 0, v208
	v_and_b32_e32 v38, exec_lo, v38
	v_not_b32_e32 v208, v209
	v_ashrrev_i32_e32 v206, 31, v206
	v_xor_b32_e32 v40, vcc_lo, v40
	v_cmp_gt_i32_e32 vcc_lo, 0, v209
	v_and_b32_e32 v38, v38, v211
	v_not_b32_e32 v209, v210
	v_ashrrev_i32_e32 v208, 31, v208
	v_xor_b32_e32 v206, s22, v206
	v_cmp_gt_i32_e64 s22, 0, v210
	v_and_b32_e32 v38, v38, v40
	v_not_b32_e32 v40, v207
	v_ashrrev_i32_e32 v209, 31, v209
	v_xor_b32_e32 v208, vcc_lo, v208
	v_cmp_gt_i32_e32 vcc_lo, 0, v207
	v_and_b32_e32 v38, v38, v206
	v_ashrrev_i32_e32 v40, 31, v40
	v_xor_b32_e32 v206, s22, v209
	v_mad_u32_u24 v207, v39, 36, v131
	v_mul_u32_u24_e32 v39, 36, v39
	v_and_b32_e32 v38, v38, v208
	v_xor_b32_e32 v40, vcc_lo, v40
	ds_read_b32 v207, v207 offset:544
	v_add_nc_u32_e32 v209, v131, v39
	v_and_b32_e32 v38, v38, v206
	; wave barrier
	v_and_b32_e32 v38, v38, v40
	v_mbcnt_lo_u32_b32 v208, v38, 0
	v_cmp_ne_u32_e64 s22, 0, v38
	v_cmp_eq_u32_e32 vcc_lo, 0, v208
	s_and_b32 s23, s22, vcc_lo
	s_and_saveexec_b32 s22, s23
	s_cbranch_execz .LBB1326_456
; %bb.455:                              ;   in Loop: Header=BB1326_390 Depth=2
	s_waitcnt lgkmcnt(0)
	v_bcnt_u32_b32 v38, v38, v207
	ds_write_b32 v209, v38 offset:544
.LBB1326_456:                           ;   in Loop: Header=BB1326_390 Depth=2
	s_or_b32 exec_lo, exec_lo, s22
	v_cmp_gt_i32_e32 vcc_lo, 0, v37
	; wave barrier
	v_cndmask_b32_e64 v38, 0x7fffffff, 0, vcc_lo
	v_xor_b32_e32 v206, v38, v37
	v_cmp_ne_u32_e32 vcc_lo, 0x80000000, v206
	v_cndmask_b32_e32 v37, 0x7fffffff, v206, vcc_lo
	v_lshrrev_b32_e32 v37, s52, v37
	v_and_b32_e32 v38, s61, v37
	v_and_b32_e32 v37, 1, v38
	v_lshlrev_b32_e32 v39, 30, v38
	v_lshlrev_b32_e32 v40, 29, v38
	;; [unrolled: 1-line block ×4, first 2 shown]
	v_add_co_u32 v37, s22, v37, -1
	v_cndmask_b32_e64 v210, 0, 1, s22
	v_not_b32_e32 v214, v39
	v_cmp_gt_i32_e64 s22, 0, v39
	v_not_b32_e32 v39, v40
	v_lshlrev_b32_e32 v213, 26, v38
	v_cmp_ne_u32_e32 vcc_lo, 0, v210
	v_ashrrev_i32_e32 v214, 31, v214
	v_lshlrev_b32_e32 v210, 25, v38
	v_ashrrev_i32_e32 v39, 31, v39
	v_xor_b32_e32 v37, vcc_lo, v37
	v_cmp_gt_i32_e32 vcc_lo, 0, v40
	v_not_b32_e32 v40, v211
	v_xor_b32_e32 v214, s22, v214
	v_cmp_gt_i32_e64 s22, 0, v211
	v_and_b32_e32 v37, exec_lo, v37
	v_not_b32_e32 v211, v212
	v_ashrrev_i32_e32 v40, 31, v40
	v_xor_b32_e32 v39, vcc_lo, v39
	v_cmp_gt_i32_e32 vcc_lo, 0, v212
	v_and_b32_e32 v37, v37, v214
	v_not_b32_e32 v212, v213
	v_ashrrev_i32_e32 v211, 31, v211
	v_xor_b32_e32 v40, s22, v40
	v_cmp_gt_i32_e64 s22, 0, v213
	v_and_b32_e32 v37, v37, v39
	v_not_b32_e32 v39, v210
	v_ashrrev_i32_e32 v212, 31, v212
	v_xor_b32_e32 v211, vcc_lo, v211
	v_cmp_gt_i32_e32 vcc_lo, 0, v210
	v_and_b32_e32 v37, v37, v40
	v_ashrrev_i32_e32 v39, 31, v39
	v_xor_b32_e32 v40, s22, v212
	v_mad_u32_u24 v210, v38, 36, v131
	v_mul_u32_u24_e32 v38, 36, v38
	v_and_b32_e32 v37, v37, v211
	v_xor_b32_e32 v39, vcc_lo, v39
	ds_read_b32 v210, v210 offset:544
	v_add_nc_u32_e32 v212, v131, v38
	v_and_b32_e32 v37, v37, v40
	; wave barrier
	v_and_b32_e32 v37, v37, v39
	v_mbcnt_lo_u32_b32 v211, v37, 0
	v_cmp_ne_u32_e64 s22, 0, v37
	v_cmp_eq_u32_e32 vcc_lo, 0, v211
	s_and_b32 s23, s22, vcc_lo
	s_and_saveexec_b32 s22, s23
	s_cbranch_execz .LBB1326_458
; %bb.457:                              ;   in Loop: Header=BB1326_390 Depth=2
	s_waitcnt lgkmcnt(0)
	v_bcnt_u32_b32 v37, v37, v210
	ds_write_b32 v212, v37 offset:544
.LBB1326_458:                           ;   in Loop: Header=BB1326_390 Depth=2
	s_or_b32 exec_lo, exec_lo, s22
	; wave barrier
	s_waitcnt lgkmcnt(0)
	s_barrier
	buffer_gl0_inv
	ds_read2_b32 v[39:40], v65 offset0:136 offset1:137
	ds_read2_b32 v[37:38], v65 offset0:138 offset1:139
	ds_read_b32 v213, v65 offset:560
	s_waitcnt lgkmcnt(1)
	v_add3_u32 v214, v40, v39, v37
	s_waitcnt lgkmcnt(0)
	v_add3_u32 v213, v214, v38, v213
	v_mov_b32_dpp v214, v213 row_shr:1 row_mask:0xf bank_mask:0xf
	v_cndmask_b32_e64 v214, v214, 0, s5
	v_add_nc_u32_e32 v213, v214, v213
	v_mov_b32_dpp v214, v213 row_shr:2 row_mask:0xf bank_mask:0xf
	v_cndmask_b32_e64 v214, 0, v214, s15
	v_add_nc_u32_e32 v213, v213, v214
	;; [unrolled: 3-line block ×4, first 2 shown]
	ds_swizzle_b32 v214, v213 offset:swizzle(BROADCAST,32,15)
	s_waitcnt lgkmcnt(0)
	v_cndmask_b32_e64 v214, v214, 0, s18
	v_add_nc_u32_e32 v213, v213, v214
	s_and_saveexec_b32 s22, s4
; %bb.459:                              ;   in Loop: Header=BB1326_390 Depth=2
	ds_write_b32 v60, v213 offset:512
; %bb.460:                              ;   in Loop: Header=BB1326_390 Depth=2
	s_or_b32 exec_lo, exec_lo, s22
	s_waitcnt lgkmcnt(0)
	s_barrier
	buffer_gl0_inv
	s_and_saveexec_b32 s22, s11
	s_cbranch_execz .LBB1326_462
; %bb.461:                              ;   in Loop: Header=BB1326_390 Depth=2
	ds_read_b32 v214, v66 offset:512
	s_waitcnt lgkmcnt(0)
	v_mov_b32_dpp v215, v214 row_shr:1 row_mask:0xf bank_mask:0xf
	v_cndmask_b32_e64 v215, v215, 0, s19
	v_add_nc_u32_e32 v214, v215, v214
	v_mov_b32_dpp v215, v214 row_shr:2 row_mask:0xf bank_mask:0xf
	v_cndmask_b32_e64 v215, 0, v215, s20
	v_add_nc_u32_e32 v214, v214, v215
	;; [unrolled: 3-line block ×3, first 2 shown]
	ds_write_b32 v66, v214 offset:512
.LBB1326_462:                           ;   in Loop: Header=BB1326_390 Depth=2
	s_or_b32 exec_lo, exec_lo, s22
	v_mov_b32_e32 v214, 0
	s_waitcnt lgkmcnt(0)
	s_barrier
	buffer_gl0_inv
	s_and_saveexec_b32 s22, s10
; %bb.463:                              ;   in Loop: Header=BB1326_390 Depth=2
	ds_read_b32 v214, v60 offset:508
; %bb.464:                              ;   in Loop: Header=BB1326_390 Depth=2
	s_or_b32 exec_lo, exec_lo, s22
	s_waitcnt lgkmcnt(0)
	v_add_nc_u32_e32 v213, v214, v213
	ds_bpermute_b32 v213, v126, v213
	s_waitcnt lgkmcnt(0)
	v_cndmask_b32_e64 v213, v213, v214, s14
	v_cndmask_b32_e64 v213, v213, 0, s12
	v_add_nc_u32_e32 v39, v213, v39
	v_add_nc_u32_e32 v40, v39, v40
	;; [unrolled: 1-line block ×4, first 2 shown]
	ds_write2_b32 v65, v213, v39 offset0:136 offset1:137
	ds_write2_b32 v65, v40, v37 offset0:138 offset1:139
	ds_write_b32 v65, v38 offset:560
	s_waitcnt lgkmcnt(0)
	s_barrier
	buffer_gl0_inv
	ds_read_b32 v39, v153 offset:544
	ds_read_b32 v40, v157 offset:544
	;; [unrolled: 1-line block ×16, first 2 shown]
	s_and_saveexec_b32 s22, s7
	s_cbranch_execz .LBB1326_468
; %bb.465:                              ;   in Loop: Header=BB1326_390 Depth=2
	ds_read_b32 v144, v68 offset:544
	v_mov_b32_e32 v149, 0x1000
	s_and_saveexec_b32 s23, s13
; %bb.466:                              ;   in Loop: Header=BB1326_390 Depth=2
	ds_read_b32 v149, v67 offset:544
; %bb.467:                              ;   in Loop: Header=BB1326_390 Depth=2
	s_or_b32 exec_lo, exec_lo, s23
	s_waitcnt lgkmcnt(0)
	v_sub_nc_u32_e32 v149, v149, v144
.LBB1326_468:                           ;   in Loop: Header=BB1326_390 Depth=2
	s_or_b32 exec_lo, exec_lo, s22
	s_waitcnt lgkmcnt(0)
	s_barrier
	buffer_gl0_inv
	s_and_saveexec_b32 s22, s7
	s_cbranch_execz .LBB1326_470
; %bb.469:                              ;   in Loop: Header=BB1326_390 Depth=2
	ds_read_b32 v164, v41
	s_waitcnt lgkmcnt(0)
	v_sub_nc_u32_e32 v164, v164, v144
	ds_write_b32 v41, v164
.LBB1326_470:                           ;   in Loop: Header=BB1326_390 Depth=2
	s_or_b32 exec_lo, exec_lo, s22
	v_add_nc_u32_e32 v171, v39, v152
	v_add3_u32 v167, v156, v155, v40
	v_add3_u32 v166, v160, v159, v153
	;; [unrolled: 1-line block ×5, first 2 shown]
	v_lshlrev_b32_e32 v169, 2, v171
	v_add3_u32 v155, v204, v203, v37
	v_lshlrev_b32_e32 v37, 2, v167
	v_add3_u32 v161, v180, v179, v182
	v_add3_u32 v160, v184, v183, v185
	ds_write_b32 v169, v3 offset:512
	v_lshlrev_b32_e32 v3, 2, v166
	ds_write_b32 v37, v151 offset:512
	v_lshlrev_b32_e32 v37, 2, v163
	v_add3_u32 v159, v187, v186, v188
	v_add3_u32 v153, v208, v207, v38
	v_lshlrev_b32_e32 v38, 2, v165
	v_add3_u32 v157, v190, v189, v191
	v_lshlrev_b32_e32 v169, 2, v164
	v_add3_u32 v156, v194, v193, v195
	v_add3_u32 v40, v198, v197, v214
	ds_write_b32 v3, v154 offset:512
	ds_write_b32 v38, v158 offset:512
	;; [unrolled: 1-line block ×3, first 2 shown]
	v_lshlrev_b32_e32 v3, 2, v161
	ds_write_b32 v37, v168 offset:512
	v_lshlrev_b32_e32 v37, 2, v160
	v_lshlrev_b32_e32 v38, 2, v159
	;; [unrolled: 1-line block ×3, first 2 shown]
	v_add3_u32 v39, v201, v200, v215
	v_add3_u32 v152, v211, v210, v177
	ds_write_b32 v3, v173 offset:512
	v_lshlrev_b32_e32 v3, 2, v156
	ds_write_b32 v37, v178 offset:512
	ds_write_b32 v38, v181 offset:512
	;; [unrolled: 1-line block ×3, first 2 shown]
	v_lshlrev_b32_e32 v37, 2, v40
	v_cmp_lt_u32_e32 vcc_lo, v0, v150
	v_lshlrev_b32_e32 v38, 2, v155
	ds_write_b32 v3, v172 offset:512
	v_lshlrev_b32_e32 v3, 2, v39
	ds_write_b32 v37, v192 offset:512
	v_lshlrev_b32_e32 v37, 2, v152
	v_lshlrev_b32_e32 v151, 2, v153
	ds_write_b32 v3, v196 offset:512
	ds_write_b32 v38, v199 offset:512
	;; [unrolled: 1-line block ×4, first 2 shown]
	s_waitcnt lgkmcnt(0)
	s_barrier
	buffer_gl0_inv
	s_and_saveexec_b32 s23, vcc_lo
	s_cbranch_execnz .LBB1326_539
; %bb.471:                              ;   in Loop: Header=BB1326_390 Depth=2
	s_or_b32 exec_lo, exec_lo, s23
	v_cmp_lt_u32_e64 s22, v42, v150
	s_and_saveexec_b32 s24, s22
	s_cbranch_execnz .LBB1326_540
.LBB1326_472:                           ;   in Loop: Header=BB1326_390 Depth=2
	s_or_b32 exec_lo, exec_lo, s24
	v_cmp_lt_u32_e64 s23, v45, v150
	s_and_saveexec_b32 s25, s23
	s_cbranch_execnz .LBB1326_541
.LBB1326_473:                           ;   in Loop: Header=BB1326_390 Depth=2
	s_or_b32 exec_lo, exec_lo, s25
	v_cmp_lt_u32_e64 s24, v46, v150
	s_and_saveexec_b32 s26, s24
	s_cbranch_execnz .LBB1326_542
.LBB1326_474:                           ;   in Loop: Header=BB1326_390 Depth=2
	s_or_b32 exec_lo, exec_lo, s26
	v_cmp_lt_u32_e64 s25, v47, v150
	s_and_saveexec_b32 s28, s25
	s_cbranch_execnz .LBB1326_543
.LBB1326_475:                           ;   in Loop: Header=BB1326_390 Depth=2
	s_or_b32 exec_lo, exec_lo, s28
	v_cmp_lt_u32_e64 s26, v48, v150
	s_and_saveexec_b32 s29, s26
	s_cbranch_execnz .LBB1326_544
.LBB1326_476:                           ;   in Loop: Header=BB1326_390 Depth=2
	s_or_b32 exec_lo, exec_lo, s29
	v_cmp_lt_u32_e64 s28, v49, v150
	s_and_saveexec_b32 s30, s28
	s_cbranch_execnz .LBB1326_545
.LBB1326_477:                           ;   in Loop: Header=BB1326_390 Depth=2
	s_or_b32 exec_lo, exec_lo, s30
	v_cmp_lt_u32_e64 s29, v50, v150
	s_and_saveexec_b32 s31, s29
	s_cbranch_execnz .LBB1326_546
.LBB1326_478:                           ;   in Loop: Header=BB1326_390 Depth=2
	s_or_b32 exec_lo, exec_lo, s31
	v_cmp_lt_u32_e64 s30, v51, v150
	s_and_saveexec_b32 s33, s30
	s_cbranch_execnz .LBB1326_547
.LBB1326_479:                           ;   in Loop: Header=BB1326_390 Depth=2
	s_or_b32 exec_lo, exec_lo, s33
	v_cmp_lt_u32_e64 s31, v52, v150
	s_and_saveexec_b32 s34, s31
	s_cbranch_execnz .LBB1326_548
.LBB1326_480:                           ;   in Loop: Header=BB1326_390 Depth=2
	s_or_b32 exec_lo, exec_lo, s34
	v_cmp_lt_u32_e64 s33, v53, v150
	s_and_saveexec_b32 s35, s33
	s_cbranch_execnz .LBB1326_549
.LBB1326_481:                           ;   in Loop: Header=BB1326_390 Depth=2
	s_or_b32 exec_lo, exec_lo, s35
	v_cmp_lt_u32_e64 s34, v54, v150
	s_and_saveexec_b32 s36, s34
	s_cbranch_execnz .LBB1326_550
.LBB1326_482:                           ;   in Loop: Header=BB1326_390 Depth=2
	s_or_b32 exec_lo, exec_lo, s36
	v_cmp_lt_u32_e64 s35, v55, v150
	s_and_saveexec_b32 s37, s35
	s_cbranch_execnz .LBB1326_551
.LBB1326_483:                           ;   in Loop: Header=BB1326_390 Depth=2
	s_or_b32 exec_lo, exec_lo, s37
	v_cmp_lt_u32_e64 s36, v56, v150
	s_and_saveexec_b32 s38, s36
	s_cbranch_execnz .LBB1326_552
.LBB1326_484:                           ;   in Loop: Header=BB1326_390 Depth=2
	s_or_b32 exec_lo, exec_lo, s38
	v_cmp_lt_u32_e64 s37, v57, v150
	s_and_saveexec_b32 s39, s37
	s_cbranch_execnz .LBB1326_553
.LBB1326_485:                           ;   in Loop: Header=BB1326_390 Depth=2
	s_or_b32 exec_lo, exec_lo, s39
	v_cmp_lt_u32_e64 s38, v58, v150
	s_and_saveexec_b32 s64, s38
	s_cbranch_execz .LBB1326_487
.LBB1326_486:                           ;   in Loop: Header=BB1326_390 Depth=2
	ds_read_b32 v151, v66 offset:15872
	s_waitcnt lgkmcnt(0)
	v_cmp_ne_u32_e64 s39, 0x80000000, v151
	v_cndmask_b32_e64 v3, 0x7fffffff, v151, s39
	v_cmp_gt_i32_e64 s39, 0, v151
	v_lshrrev_b32_e32 v3, s52, v3
	v_cndmask_b32_e64 v154, 0x7fffffff, 0, s39
	v_and_b32_e32 v3, s61, v3
	v_lshlrev_b32_e32 v3, 2, v3
	ds_read_b32 v3, v3
	s_waitcnt lgkmcnt(0)
	v_add_nc_u32_e32 v3, v3, v58
	v_lshlrev_b64 v[37:38], 2, v[3:4]
	v_xor_b32_e32 v3, v154, v151
	v_add_co_u32 v37, s39, s44, v37
	v_add_co_ci_u32_e64 v38, null, s45, v38, s39
	global_store_dword v[37:38], v3, off
.LBB1326_487:                           ;   in Loop: Header=BB1326_390 Depth=2
	s_or_b32 exec_lo, exec_lo, s64
	s_lshl_b64 s[64:65], s[46:47], 3
	v_add_co_u32 v37, s39, v127, s64
	v_add_co_ci_u32_e64 v38, null, s65, v128, s39
	v_cmp_lt_u32_e64 s39, v105, v150
	s_and_saveexec_b32 s46, s39
	s_xor_b32 s39, exec_lo, s46
	s_cbranch_execnz .LBB1326_554
; %bb.488:                              ;   in Loop: Header=BB1326_390 Depth=2
	s_or_b32 exec_lo, exec_lo, s39
	s_mov_b32 s46, exec_lo
	v_cmpx_lt_u32_e64 v108, v150
	s_cbranch_execnz .LBB1326_555
.LBB1326_489:                           ;   in Loop: Header=BB1326_390 Depth=2
	s_or_b32 exec_lo, exec_lo, s46
	s_mov_b32 s46, exec_lo
	v_cmpx_lt_u32_e64 v109, v150
	s_cbranch_execnz .LBB1326_556
.LBB1326_490:                           ;   in Loop: Header=BB1326_390 Depth=2
	s_or_b32 exec_lo, exec_lo, s46
	s_mov_b32 s46, exec_lo
	v_cmpx_lt_u32_e64 v110, v150
	s_cbranch_execnz .LBB1326_557
.LBB1326_491:                           ;   in Loop: Header=BB1326_390 Depth=2
	s_or_b32 exec_lo, exec_lo, s46
	s_mov_b32 s46, exec_lo
	v_cmpx_lt_u32_e64 v111, v150
	s_cbranch_execnz .LBB1326_558
.LBB1326_492:                           ;   in Loop: Header=BB1326_390 Depth=2
	s_or_b32 exec_lo, exec_lo, s46
	s_mov_b32 s46, exec_lo
	v_cmpx_lt_u32_e64 v112, v150
	s_cbranch_execnz .LBB1326_559
.LBB1326_493:                           ;   in Loop: Header=BB1326_390 Depth=2
	s_or_b32 exec_lo, exec_lo, s46
	s_mov_b32 s46, exec_lo
	v_cmpx_lt_u32_e64 v113, v150
	s_cbranch_execnz .LBB1326_560
.LBB1326_494:                           ;   in Loop: Header=BB1326_390 Depth=2
	s_or_b32 exec_lo, exec_lo, s46
	s_mov_b32 s46, exec_lo
	v_cmpx_lt_u32_e64 v114, v150
	s_cbranch_execnz .LBB1326_561
.LBB1326_495:                           ;   in Loop: Header=BB1326_390 Depth=2
	s_or_b32 exec_lo, exec_lo, s46
	s_mov_b32 s46, exec_lo
	v_cmpx_lt_u32_e64 v115, v150
	s_cbranch_execnz .LBB1326_562
.LBB1326_496:                           ;   in Loop: Header=BB1326_390 Depth=2
	s_or_b32 exec_lo, exec_lo, s46
	s_mov_b32 s46, exec_lo
	v_cmpx_lt_u32_e64 v116, v150
	s_cbranch_execnz .LBB1326_563
.LBB1326_497:                           ;   in Loop: Header=BB1326_390 Depth=2
	s_or_b32 exec_lo, exec_lo, s46
	s_mov_b32 s46, exec_lo
	v_cmpx_lt_u32_e64 v117, v150
	s_cbranch_execnz .LBB1326_564
.LBB1326_498:                           ;   in Loop: Header=BB1326_390 Depth=2
	s_or_b32 exec_lo, exec_lo, s46
	s_mov_b32 s46, exec_lo
	v_cmpx_lt_u32_e64 v118, v150
	s_cbranch_execnz .LBB1326_565
.LBB1326_499:                           ;   in Loop: Header=BB1326_390 Depth=2
	s_or_b32 exec_lo, exec_lo, s46
	s_mov_b32 s46, exec_lo
	v_cmpx_lt_u32_e64 v119, v150
	s_cbranch_execnz .LBB1326_566
.LBB1326_500:                           ;   in Loop: Header=BB1326_390 Depth=2
	s_or_b32 exec_lo, exec_lo, s46
	s_mov_b32 s46, exec_lo
	v_cmpx_lt_u32_e64 v121, v150
	s_cbranch_execnz .LBB1326_567
.LBB1326_501:                           ;   in Loop: Header=BB1326_390 Depth=2
	s_or_b32 exec_lo, exec_lo, s46
	s_mov_b32 s46, exec_lo
	v_cmpx_lt_u32_e64 v122, v150
	s_cbranch_execnz .LBB1326_568
.LBB1326_502:                           ;   in Loop: Header=BB1326_390 Depth=2
	s_or_b32 exec_lo, exec_lo, s46
	s_mov_b32 s46, exec_lo
	v_cmpx_lt_u32_e64 v123, v150
	s_cbranch_execnz .LBB1326_569
.LBB1326_503:                           ;   in Loop: Header=BB1326_390 Depth=2
	s_or_b32 exec_lo, exec_lo, s46
	s_and_saveexec_b32 s46, vcc_lo
	s_cbranch_execnz .LBB1326_570
.LBB1326_504:                           ;   in Loop: Header=BB1326_390 Depth=2
	s_or_b32 exec_lo, exec_lo, s46
	s_and_saveexec_b32 s46, s22
	s_cbranch_execnz .LBB1326_571
.LBB1326_505:                           ;   in Loop: Header=BB1326_390 Depth=2
	s_or_b32 exec_lo, exec_lo, s46
	s_and_saveexec_b32 s46, s23
	s_cbranch_execnz .LBB1326_572
.LBB1326_506:                           ;   in Loop: Header=BB1326_390 Depth=2
	s_or_b32 exec_lo, exec_lo, s46
	s_and_saveexec_b32 s46, s24
	s_cbranch_execnz .LBB1326_573
.LBB1326_507:                           ;   in Loop: Header=BB1326_390 Depth=2
	s_or_b32 exec_lo, exec_lo, s46
	s_and_saveexec_b32 s46, s25
	s_cbranch_execnz .LBB1326_574
.LBB1326_508:                           ;   in Loop: Header=BB1326_390 Depth=2
	s_or_b32 exec_lo, exec_lo, s46
	s_and_saveexec_b32 s46, s26
	s_cbranch_execnz .LBB1326_575
.LBB1326_509:                           ;   in Loop: Header=BB1326_390 Depth=2
	s_or_b32 exec_lo, exec_lo, s46
	s_and_saveexec_b32 s46, s28
	s_cbranch_execnz .LBB1326_576
.LBB1326_510:                           ;   in Loop: Header=BB1326_390 Depth=2
	s_or_b32 exec_lo, exec_lo, s46
	s_and_saveexec_b32 s46, s29
	s_cbranch_execnz .LBB1326_577
.LBB1326_511:                           ;   in Loop: Header=BB1326_390 Depth=2
	s_or_b32 exec_lo, exec_lo, s46
	s_and_saveexec_b32 s46, s30
	s_cbranch_execnz .LBB1326_578
.LBB1326_512:                           ;   in Loop: Header=BB1326_390 Depth=2
	s_or_b32 exec_lo, exec_lo, s46
	s_and_saveexec_b32 s46, s31
	s_cbranch_execnz .LBB1326_579
.LBB1326_513:                           ;   in Loop: Header=BB1326_390 Depth=2
	s_or_b32 exec_lo, exec_lo, s46
	s_and_saveexec_b32 s46, s33
	s_cbranch_execnz .LBB1326_580
.LBB1326_514:                           ;   in Loop: Header=BB1326_390 Depth=2
	s_or_b32 exec_lo, exec_lo, s46
	s_and_saveexec_b32 s46, s34
	s_cbranch_execnz .LBB1326_581
.LBB1326_515:                           ;   in Loop: Header=BB1326_390 Depth=2
	s_or_b32 exec_lo, exec_lo, s46
	s_and_saveexec_b32 s46, s35
	s_cbranch_execnz .LBB1326_582
.LBB1326_516:                           ;   in Loop: Header=BB1326_390 Depth=2
	s_or_b32 exec_lo, exec_lo, s46
	s_and_saveexec_b32 s46, s36
	s_cbranch_execnz .LBB1326_583
.LBB1326_517:                           ;   in Loop: Header=BB1326_390 Depth=2
	s_or_b32 exec_lo, exec_lo, s46
	s_and_saveexec_b32 s46, s37
	s_cbranch_execnz .LBB1326_584
.LBB1326_518:                           ;   in Loop: Header=BB1326_390 Depth=2
	s_or_b32 exec_lo, exec_lo, s46
	s_and_saveexec_b32 s46, s38
	s_cbranch_execz .LBB1326_520
.LBB1326_519:                           ;   in Loop: Header=BB1326_390 Depth=2
	ds_read_b32 v3, v66 offset:15872
	s_waitcnt lgkmcnt(0)
	v_cmp_ne_u32_e64 s39, 0x80000000, v3
	v_cndmask_b32_e64 v3, 0x7fffffff, v3, s39
	v_lshrrev_b32_e32 v3, s52, v3
	v_and_b32_e32 v132, s61, v3
.LBB1326_520:                           ;   in Loop: Header=BB1326_390 Depth=2
	s_or_b32 exec_lo, exec_lo, s46
	v_lshlrev_b32_e32 v3, 3, v171
	v_lshlrev_b32_e32 v37, 3, v167
	s_waitcnt vmcnt(0)
	s_waitcnt_vscnt null, 0x0
	s_barrier
	buffer_gl0_inv
	ds_write_b64 v3, v[35:36] offset:512
	v_lshlrev_b32_e32 v3, 3, v166
	v_lshlrev_b32_e32 v38, 3, v165
	;; [unrolled: 1-line block ×4, first 2 shown]
	ds_write_b64 v37, v[33:34] offset:512
	ds_write_b64 v3, v[31:32] offset:512
	;; [unrolled: 1-line block ×5, first 2 shown]
	v_lshlrev_b32_e32 v3, 3, v161
	v_lshlrev_b32_e32 v37, 3, v160
	;; [unrolled: 1-line block ×5, first 2 shown]
	ds_write_b64 v3, v[19:20] offset:512
	ds_write_b64 v37, v[15:16] offset:512
	;; [unrolled: 1-line block ×5, first 2 shown]
	v_lshlrev_b32_e32 v3, 3, v40
	v_lshlrev_b32_e32 v37, 3, v39
	;; [unrolled: 1-line block ×5, first 2 shown]
	ds_write_b64 v3, v[13:14] offset:512
	ds_write_b64 v37, v[11:12] offset:512
	;; [unrolled: 1-line block ×5, first 2 shown]
	s_waitcnt lgkmcnt(0)
	s_barrier
	buffer_gl0_inv
	s_and_saveexec_b32 s39, vcc_lo
	s_cbranch_execnz .LBB1326_585
; %bb.521:                              ;   in Loop: Header=BB1326_390 Depth=2
	s_or_b32 exec_lo, exec_lo, s39
	s_and_saveexec_b32 s39, s22
	s_cbranch_execnz .LBB1326_586
.LBB1326_522:                           ;   in Loop: Header=BB1326_390 Depth=2
	s_or_b32 exec_lo, exec_lo, s39
	s_and_saveexec_b32 s22, s23
	s_cbranch_execnz .LBB1326_587
.LBB1326_523:                           ;   in Loop: Header=BB1326_390 Depth=2
	s_or_b32 exec_lo, exec_lo, s22
	s_and_saveexec_b32 s22, s24
	s_cbranch_execnz .LBB1326_588
.LBB1326_524:                           ;   in Loop: Header=BB1326_390 Depth=2
	s_or_b32 exec_lo, exec_lo, s22
	s_and_saveexec_b32 s22, s25
	s_cbranch_execnz .LBB1326_589
.LBB1326_525:                           ;   in Loop: Header=BB1326_390 Depth=2
	s_or_b32 exec_lo, exec_lo, s22
	s_and_saveexec_b32 s22, s26
	s_cbranch_execnz .LBB1326_590
.LBB1326_526:                           ;   in Loop: Header=BB1326_390 Depth=2
	s_or_b32 exec_lo, exec_lo, s22
	s_and_saveexec_b32 s22, s28
	s_cbranch_execnz .LBB1326_591
.LBB1326_527:                           ;   in Loop: Header=BB1326_390 Depth=2
	s_or_b32 exec_lo, exec_lo, s22
	s_and_saveexec_b32 s22, s29
	s_cbranch_execnz .LBB1326_592
.LBB1326_528:                           ;   in Loop: Header=BB1326_390 Depth=2
	s_or_b32 exec_lo, exec_lo, s22
	s_and_saveexec_b32 s22, s30
	s_cbranch_execnz .LBB1326_593
.LBB1326_529:                           ;   in Loop: Header=BB1326_390 Depth=2
	s_or_b32 exec_lo, exec_lo, s22
	s_and_saveexec_b32 s22, s31
	s_cbranch_execnz .LBB1326_594
.LBB1326_530:                           ;   in Loop: Header=BB1326_390 Depth=2
	s_or_b32 exec_lo, exec_lo, s22
	s_and_saveexec_b32 s22, s33
	s_cbranch_execnz .LBB1326_595
.LBB1326_531:                           ;   in Loop: Header=BB1326_390 Depth=2
	s_or_b32 exec_lo, exec_lo, s22
	s_and_saveexec_b32 s22, s34
	s_cbranch_execnz .LBB1326_596
.LBB1326_532:                           ;   in Loop: Header=BB1326_390 Depth=2
	s_or_b32 exec_lo, exec_lo, s22
	s_and_saveexec_b32 s22, s35
	s_cbranch_execnz .LBB1326_597
.LBB1326_533:                           ;   in Loop: Header=BB1326_390 Depth=2
	s_or_b32 exec_lo, exec_lo, s22
	s_and_saveexec_b32 s22, s36
	s_cbranch_execnz .LBB1326_598
.LBB1326_534:                           ;   in Loop: Header=BB1326_390 Depth=2
	s_or_b32 exec_lo, exec_lo, s22
	s_and_saveexec_b32 s22, s37
	s_cbranch_execnz .LBB1326_599
.LBB1326_535:                           ;   in Loop: Header=BB1326_390 Depth=2
	s_or_b32 exec_lo, exec_lo, s22
	s_and_saveexec_b32 s22, s38
	s_cbranch_execz .LBB1326_537
.LBB1326_536:                           ;   in Loop: Header=BB1326_390 Depth=2
	v_lshlrev_b32_e32 v3, 2, v132
	v_add_nc_u32_e32 v37, v66, v41
	ds_read_b32 v3, v3
	ds_read_b64 v[37:38], v37 offset:31232
	s_waitcnt lgkmcnt(1)
	v_add_nc_u32_e32 v3, v3, v58
	v_lshlrev_b64 v[39:40], 3, v[3:4]
	v_add_co_u32 v39, vcc_lo, s50, v39
	v_add_co_ci_u32_e64 v40, null, s51, v40, vcc_lo
	s_waitcnt lgkmcnt(0)
	global_store_dwordx2 v[39:40], v[37:38], off
.LBB1326_537:                           ;   in Loop: Header=BB1326_390 Depth=2
	s_or_b32 exec_lo, exec_lo, s22
	s_waitcnt_vscnt null, 0x0
	s_barrier
	buffer_gl0_inv
	s_and_saveexec_b32 s22, s7
	s_cbranch_execz .LBB1326_389
; %bb.538:                              ;   in Loop: Header=BB1326_390 Depth=2
	ds_read_b32 v3, v41
	s_waitcnt lgkmcnt(0)
	v_add3_u32 v3, v144, v149, v3
	ds_write_b32 v41, v3
	s_branch .LBB1326_389
.LBB1326_539:                           ;   in Loop: Header=BB1326_390 Depth=2
	ds_read_b32 v151, v66 offset:512
	s_waitcnt lgkmcnt(0)
	v_cmp_ne_u32_e64 s22, 0x80000000, v151
	v_cndmask_b32_e64 v3, 0x7fffffff, v151, s22
	v_cmp_gt_i32_e64 s22, 0, v151
	v_lshrrev_b32_e32 v3, s52, v3
	v_cndmask_b32_e64 v154, 0x7fffffff, 0, s22
	v_and_b32_e32 v3, s61, v3
	v_lshlrev_b32_e32 v3, 2, v3
	ds_read_b32 v3, v3
	s_waitcnt lgkmcnt(0)
	v_add_nc_u32_e32 v3, v3, v0
	v_lshlrev_b64 v[37:38], 2, v[3:4]
	v_xor_b32_e32 v3, v154, v151
	v_add_co_u32 v37, s22, s44, v37
	v_add_co_ci_u32_e64 v38, null, s45, v38, s22
	global_store_dword v[37:38], v3, off
	s_or_b32 exec_lo, exec_lo, s23
	v_cmp_lt_u32_e64 s22, v42, v150
	s_and_saveexec_b32 s24, s22
	s_cbranch_execz .LBB1326_472
.LBB1326_540:                           ;   in Loop: Header=BB1326_390 Depth=2
	ds_read_b32 v151, v66 offset:1536
	s_waitcnt lgkmcnt(0)
	v_cmp_ne_u32_e64 s23, 0x80000000, v151
	v_cndmask_b32_e64 v3, 0x7fffffff, v151, s23
	v_cmp_gt_i32_e64 s23, 0, v151
	v_lshrrev_b32_e32 v3, s52, v3
	v_cndmask_b32_e64 v154, 0x7fffffff, 0, s23
	v_and_b32_e32 v3, s61, v3
	v_lshlrev_b32_e32 v3, 2, v3
	ds_read_b32 v3, v3
	s_waitcnt lgkmcnt(0)
	v_add_nc_u32_e32 v3, v3, v42
	v_lshlrev_b64 v[37:38], 2, v[3:4]
	v_xor_b32_e32 v3, v154, v151
	v_add_co_u32 v37, s23, s44, v37
	v_add_co_ci_u32_e64 v38, null, s45, v38, s23
	global_store_dword v[37:38], v3, off
	s_or_b32 exec_lo, exec_lo, s24
	v_cmp_lt_u32_e64 s23, v45, v150
	s_and_saveexec_b32 s25, s23
	s_cbranch_execz .LBB1326_473
.LBB1326_541:                           ;   in Loop: Header=BB1326_390 Depth=2
	ds_read_b32 v151, v66 offset:2560
	s_waitcnt lgkmcnt(0)
	v_cmp_ne_u32_e64 s24, 0x80000000, v151
	v_cndmask_b32_e64 v3, 0x7fffffff, v151, s24
	v_cmp_gt_i32_e64 s24, 0, v151
	v_lshrrev_b32_e32 v3, s52, v3
	v_cndmask_b32_e64 v154, 0x7fffffff, 0, s24
	v_and_b32_e32 v3, s61, v3
	v_lshlrev_b32_e32 v3, 2, v3
	ds_read_b32 v3, v3
	s_waitcnt lgkmcnt(0)
	v_add_nc_u32_e32 v3, v3, v45
	v_lshlrev_b64 v[37:38], 2, v[3:4]
	v_xor_b32_e32 v3, v154, v151
	v_add_co_u32 v37, s24, s44, v37
	v_add_co_ci_u32_e64 v38, null, s45, v38, s24
	global_store_dword v[37:38], v3, off
	s_or_b32 exec_lo, exec_lo, s25
	v_cmp_lt_u32_e64 s24, v46, v150
	s_and_saveexec_b32 s26, s24
	s_cbranch_execz .LBB1326_474
.LBB1326_542:                           ;   in Loop: Header=BB1326_390 Depth=2
	ds_read_b32 v151, v66 offset:3584
	s_waitcnt lgkmcnt(0)
	v_cmp_ne_u32_e64 s25, 0x80000000, v151
	v_cndmask_b32_e64 v3, 0x7fffffff, v151, s25
	v_cmp_gt_i32_e64 s25, 0, v151
	v_lshrrev_b32_e32 v3, s52, v3
	v_cndmask_b32_e64 v154, 0x7fffffff, 0, s25
	v_and_b32_e32 v3, s61, v3
	v_lshlrev_b32_e32 v3, 2, v3
	ds_read_b32 v3, v3
	s_waitcnt lgkmcnt(0)
	v_add_nc_u32_e32 v3, v3, v46
	v_lshlrev_b64 v[37:38], 2, v[3:4]
	v_xor_b32_e32 v3, v154, v151
	v_add_co_u32 v37, s25, s44, v37
	v_add_co_ci_u32_e64 v38, null, s45, v38, s25
	global_store_dword v[37:38], v3, off
	s_or_b32 exec_lo, exec_lo, s26
	v_cmp_lt_u32_e64 s25, v47, v150
	s_and_saveexec_b32 s28, s25
	s_cbranch_execz .LBB1326_475
.LBB1326_543:                           ;   in Loop: Header=BB1326_390 Depth=2
	ds_read_b32 v151, v66 offset:4608
	s_waitcnt lgkmcnt(0)
	v_cmp_ne_u32_e64 s26, 0x80000000, v151
	v_cndmask_b32_e64 v3, 0x7fffffff, v151, s26
	v_cmp_gt_i32_e64 s26, 0, v151
	v_lshrrev_b32_e32 v3, s52, v3
	v_cndmask_b32_e64 v154, 0x7fffffff, 0, s26
	v_and_b32_e32 v3, s61, v3
	v_lshlrev_b32_e32 v3, 2, v3
	ds_read_b32 v3, v3
	s_waitcnt lgkmcnt(0)
	v_add_nc_u32_e32 v3, v3, v47
	v_lshlrev_b64 v[37:38], 2, v[3:4]
	v_xor_b32_e32 v3, v154, v151
	v_add_co_u32 v37, s26, s44, v37
	v_add_co_ci_u32_e64 v38, null, s45, v38, s26
	global_store_dword v[37:38], v3, off
	s_or_b32 exec_lo, exec_lo, s28
	v_cmp_lt_u32_e64 s26, v48, v150
	s_and_saveexec_b32 s29, s26
	s_cbranch_execz .LBB1326_476
.LBB1326_544:                           ;   in Loop: Header=BB1326_390 Depth=2
	ds_read_b32 v151, v66 offset:5632
	s_waitcnt lgkmcnt(0)
	v_cmp_ne_u32_e64 s28, 0x80000000, v151
	v_cndmask_b32_e64 v3, 0x7fffffff, v151, s28
	v_cmp_gt_i32_e64 s28, 0, v151
	v_lshrrev_b32_e32 v3, s52, v3
	v_cndmask_b32_e64 v154, 0x7fffffff, 0, s28
	v_and_b32_e32 v3, s61, v3
	v_lshlrev_b32_e32 v3, 2, v3
	ds_read_b32 v3, v3
	s_waitcnt lgkmcnt(0)
	v_add_nc_u32_e32 v3, v3, v48
	v_lshlrev_b64 v[37:38], 2, v[3:4]
	v_xor_b32_e32 v3, v154, v151
	v_add_co_u32 v37, s28, s44, v37
	v_add_co_ci_u32_e64 v38, null, s45, v38, s28
	global_store_dword v[37:38], v3, off
	s_or_b32 exec_lo, exec_lo, s29
	v_cmp_lt_u32_e64 s28, v49, v150
	s_and_saveexec_b32 s30, s28
	s_cbranch_execz .LBB1326_477
.LBB1326_545:                           ;   in Loop: Header=BB1326_390 Depth=2
	ds_read_b32 v151, v66 offset:6656
	s_waitcnt lgkmcnt(0)
	v_cmp_ne_u32_e64 s29, 0x80000000, v151
	v_cndmask_b32_e64 v3, 0x7fffffff, v151, s29
	v_cmp_gt_i32_e64 s29, 0, v151
	v_lshrrev_b32_e32 v3, s52, v3
	v_cndmask_b32_e64 v154, 0x7fffffff, 0, s29
	v_and_b32_e32 v3, s61, v3
	v_lshlrev_b32_e32 v3, 2, v3
	ds_read_b32 v3, v3
	s_waitcnt lgkmcnt(0)
	v_add_nc_u32_e32 v3, v3, v49
	v_lshlrev_b64 v[37:38], 2, v[3:4]
	v_xor_b32_e32 v3, v154, v151
	v_add_co_u32 v37, s29, s44, v37
	v_add_co_ci_u32_e64 v38, null, s45, v38, s29
	global_store_dword v[37:38], v3, off
	s_or_b32 exec_lo, exec_lo, s30
	v_cmp_lt_u32_e64 s29, v50, v150
	s_and_saveexec_b32 s31, s29
	s_cbranch_execz .LBB1326_478
.LBB1326_546:                           ;   in Loop: Header=BB1326_390 Depth=2
	ds_read_b32 v151, v66 offset:7680
	s_waitcnt lgkmcnt(0)
	v_cmp_ne_u32_e64 s30, 0x80000000, v151
	v_cndmask_b32_e64 v3, 0x7fffffff, v151, s30
	v_cmp_gt_i32_e64 s30, 0, v151
	v_lshrrev_b32_e32 v3, s52, v3
	v_cndmask_b32_e64 v154, 0x7fffffff, 0, s30
	v_and_b32_e32 v3, s61, v3
	v_lshlrev_b32_e32 v3, 2, v3
	ds_read_b32 v3, v3
	s_waitcnt lgkmcnt(0)
	v_add_nc_u32_e32 v3, v3, v50
	v_lshlrev_b64 v[37:38], 2, v[3:4]
	v_xor_b32_e32 v3, v154, v151
	v_add_co_u32 v37, s30, s44, v37
	v_add_co_ci_u32_e64 v38, null, s45, v38, s30
	global_store_dword v[37:38], v3, off
	s_or_b32 exec_lo, exec_lo, s31
	v_cmp_lt_u32_e64 s30, v51, v150
	s_and_saveexec_b32 s33, s30
	s_cbranch_execz .LBB1326_479
.LBB1326_547:                           ;   in Loop: Header=BB1326_390 Depth=2
	ds_read_b32 v151, v66 offset:8704
	s_waitcnt lgkmcnt(0)
	v_cmp_ne_u32_e64 s31, 0x80000000, v151
	v_cndmask_b32_e64 v3, 0x7fffffff, v151, s31
	v_cmp_gt_i32_e64 s31, 0, v151
	v_lshrrev_b32_e32 v3, s52, v3
	v_cndmask_b32_e64 v154, 0x7fffffff, 0, s31
	v_and_b32_e32 v3, s61, v3
	v_lshlrev_b32_e32 v3, 2, v3
	ds_read_b32 v3, v3
	s_waitcnt lgkmcnt(0)
	v_add_nc_u32_e32 v3, v3, v51
	v_lshlrev_b64 v[37:38], 2, v[3:4]
	v_xor_b32_e32 v3, v154, v151
	v_add_co_u32 v37, s31, s44, v37
	v_add_co_ci_u32_e64 v38, null, s45, v38, s31
	global_store_dword v[37:38], v3, off
	s_or_b32 exec_lo, exec_lo, s33
	v_cmp_lt_u32_e64 s31, v52, v150
	s_and_saveexec_b32 s34, s31
	s_cbranch_execz .LBB1326_480
.LBB1326_548:                           ;   in Loop: Header=BB1326_390 Depth=2
	ds_read_b32 v151, v66 offset:9728
	s_waitcnt lgkmcnt(0)
	v_cmp_ne_u32_e64 s33, 0x80000000, v151
	v_cndmask_b32_e64 v3, 0x7fffffff, v151, s33
	v_cmp_gt_i32_e64 s33, 0, v151
	v_lshrrev_b32_e32 v3, s52, v3
	v_cndmask_b32_e64 v154, 0x7fffffff, 0, s33
	v_and_b32_e32 v3, s61, v3
	v_lshlrev_b32_e32 v3, 2, v3
	ds_read_b32 v3, v3
	s_waitcnt lgkmcnt(0)
	v_add_nc_u32_e32 v3, v3, v52
	v_lshlrev_b64 v[37:38], 2, v[3:4]
	v_xor_b32_e32 v3, v154, v151
	v_add_co_u32 v37, s33, s44, v37
	v_add_co_ci_u32_e64 v38, null, s45, v38, s33
	global_store_dword v[37:38], v3, off
	s_or_b32 exec_lo, exec_lo, s34
	v_cmp_lt_u32_e64 s33, v53, v150
	s_and_saveexec_b32 s35, s33
	s_cbranch_execz .LBB1326_481
.LBB1326_549:                           ;   in Loop: Header=BB1326_390 Depth=2
	ds_read_b32 v151, v66 offset:10752
	s_waitcnt lgkmcnt(0)
	v_cmp_ne_u32_e64 s34, 0x80000000, v151
	v_cndmask_b32_e64 v3, 0x7fffffff, v151, s34
	v_cmp_gt_i32_e64 s34, 0, v151
	v_lshrrev_b32_e32 v3, s52, v3
	v_cndmask_b32_e64 v154, 0x7fffffff, 0, s34
	v_and_b32_e32 v3, s61, v3
	v_lshlrev_b32_e32 v3, 2, v3
	ds_read_b32 v3, v3
	s_waitcnt lgkmcnt(0)
	v_add_nc_u32_e32 v3, v3, v53
	v_lshlrev_b64 v[37:38], 2, v[3:4]
	v_xor_b32_e32 v3, v154, v151
	v_add_co_u32 v37, s34, s44, v37
	v_add_co_ci_u32_e64 v38, null, s45, v38, s34
	global_store_dword v[37:38], v3, off
	s_or_b32 exec_lo, exec_lo, s35
	v_cmp_lt_u32_e64 s34, v54, v150
	s_and_saveexec_b32 s36, s34
	s_cbranch_execz .LBB1326_482
.LBB1326_550:                           ;   in Loop: Header=BB1326_390 Depth=2
	ds_read_b32 v151, v66 offset:11776
	s_waitcnt lgkmcnt(0)
	v_cmp_ne_u32_e64 s35, 0x80000000, v151
	v_cndmask_b32_e64 v3, 0x7fffffff, v151, s35
	v_cmp_gt_i32_e64 s35, 0, v151
	v_lshrrev_b32_e32 v3, s52, v3
	v_cndmask_b32_e64 v154, 0x7fffffff, 0, s35
	v_and_b32_e32 v3, s61, v3
	v_lshlrev_b32_e32 v3, 2, v3
	ds_read_b32 v3, v3
	s_waitcnt lgkmcnt(0)
	v_add_nc_u32_e32 v3, v3, v54
	v_lshlrev_b64 v[37:38], 2, v[3:4]
	v_xor_b32_e32 v3, v154, v151
	v_add_co_u32 v37, s35, s44, v37
	v_add_co_ci_u32_e64 v38, null, s45, v38, s35
	global_store_dword v[37:38], v3, off
	s_or_b32 exec_lo, exec_lo, s36
	v_cmp_lt_u32_e64 s35, v55, v150
	s_and_saveexec_b32 s37, s35
	s_cbranch_execz .LBB1326_483
.LBB1326_551:                           ;   in Loop: Header=BB1326_390 Depth=2
	ds_read_b32 v151, v66 offset:12800
	s_waitcnt lgkmcnt(0)
	v_cmp_ne_u32_e64 s36, 0x80000000, v151
	v_cndmask_b32_e64 v3, 0x7fffffff, v151, s36
	v_cmp_gt_i32_e64 s36, 0, v151
	v_lshrrev_b32_e32 v3, s52, v3
	v_cndmask_b32_e64 v154, 0x7fffffff, 0, s36
	v_and_b32_e32 v3, s61, v3
	v_lshlrev_b32_e32 v3, 2, v3
	ds_read_b32 v3, v3
	s_waitcnt lgkmcnt(0)
	v_add_nc_u32_e32 v3, v3, v55
	v_lshlrev_b64 v[37:38], 2, v[3:4]
	v_xor_b32_e32 v3, v154, v151
	v_add_co_u32 v37, s36, s44, v37
	v_add_co_ci_u32_e64 v38, null, s45, v38, s36
	global_store_dword v[37:38], v3, off
	s_or_b32 exec_lo, exec_lo, s37
	v_cmp_lt_u32_e64 s36, v56, v150
	s_and_saveexec_b32 s38, s36
	s_cbranch_execz .LBB1326_484
.LBB1326_552:                           ;   in Loop: Header=BB1326_390 Depth=2
	ds_read_b32 v151, v66 offset:13824
	s_waitcnt lgkmcnt(0)
	v_cmp_ne_u32_e64 s37, 0x80000000, v151
	v_cndmask_b32_e64 v3, 0x7fffffff, v151, s37
	v_cmp_gt_i32_e64 s37, 0, v151
	v_lshrrev_b32_e32 v3, s52, v3
	v_cndmask_b32_e64 v154, 0x7fffffff, 0, s37
	v_and_b32_e32 v3, s61, v3
	v_lshlrev_b32_e32 v3, 2, v3
	ds_read_b32 v3, v3
	s_waitcnt lgkmcnt(0)
	v_add_nc_u32_e32 v3, v3, v56
	v_lshlrev_b64 v[37:38], 2, v[3:4]
	v_xor_b32_e32 v3, v154, v151
	v_add_co_u32 v37, s37, s44, v37
	v_add_co_ci_u32_e64 v38, null, s45, v38, s37
	global_store_dword v[37:38], v3, off
	s_or_b32 exec_lo, exec_lo, s38
	v_cmp_lt_u32_e64 s37, v57, v150
	s_and_saveexec_b32 s39, s37
	s_cbranch_execz .LBB1326_485
.LBB1326_553:                           ;   in Loop: Header=BB1326_390 Depth=2
	ds_read_b32 v151, v66 offset:14848
	s_waitcnt lgkmcnt(0)
	v_cmp_ne_u32_e64 s38, 0x80000000, v151
	v_cndmask_b32_e64 v3, 0x7fffffff, v151, s38
	v_cmp_gt_i32_e64 s38, 0, v151
	v_lshrrev_b32_e32 v3, s52, v3
	v_cndmask_b32_e64 v154, 0x7fffffff, 0, s38
	v_and_b32_e32 v3, s61, v3
	v_lshlrev_b32_e32 v3, 2, v3
	ds_read_b32 v3, v3
	s_waitcnt lgkmcnt(0)
	v_add_nc_u32_e32 v3, v3, v57
	v_lshlrev_b64 v[37:38], 2, v[3:4]
	v_xor_b32_e32 v3, v154, v151
	v_add_co_u32 v37, s38, s44, v37
	v_add_co_ci_u32_e64 v38, null, s45, v38, s38
	global_store_dword v[37:38], v3, off
	s_or_b32 exec_lo, exec_lo, s39
	v_cmp_lt_u32_e64 s38, v58, v150
	s_and_saveexec_b32 s64, s38
	s_cbranch_execnz .LBB1326_486
	s_branch .LBB1326_487
.LBB1326_554:                           ;   in Loop: Header=BB1326_390 Depth=2
	global_load_dwordx2 v[35:36], v[37:38], off
	s_or_b32 exec_lo, exec_lo, s39
	s_mov_b32 s46, exec_lo
	v_cmpx_lt_u32_e64 v108, v150
	s_cbranch_execz .LBB1326_489
.LBB1326_555:                           ;   in Loop: Header=BB1326_390 Depth=2
	global_load_dwordx2 v[33:34], v[37:38], off offset:256
	s_or_b32 exec_lo, exec_lo, s46
	s_mov_b32 s46, exec_lo
	v_cmpx_lt_u32_e64 v109, v150
	s_cbranch_execz .LBB1326_490
.LBB1326_556:                           ;   in Loop: Header=BB1326_390 Depth=2
	global_load_dwordx2 v[31:32], v[37:38], off offset:512
	s_or_b32 exec_lo, exec_lo, s46
	s_mov_b32 s46, exec_lo
	v_cmpx_lt_u32_e64 v110, v150
	s_cbranch_execz .LBB1326_491
.LBB1326_557:                           ;   in Loop: Header=BB1326_390 Depth=2
	global_load_dwordx2 v[29:30], v[37:38], off offset:768
	s_or_b32 exec_lo, exec_lo, s46
	s_mov_b32 s46, exec_lo
	v_cmpx_lt_u32_e64 v111, v150
	s_cbranch_execz .LBB1326_492
.LBB1326_558:                           ;   in Loop: Header=BB1326_390 Depth=2
	global_load_dwordx2 v[27:28], v[37:38], off offset:1024
	s_or_b32 exec_lo, exec_lo, s46
	s_mov_b32 s46, exec_lo
	v_cmpx_lt_u32_e64 v112, v150
	s_cbranch_execz .LBB1326_493
.LBB1326_559:                           ;   in Loop: Header=BB1326_390 Depth=2
	global_load_dwordx2 v[23:24], v[37:38], off offset:1280
	s_or_b32 exec_lo, exec_lo, s46
	s_mov_b32 s46, exec_lo
	v_cmpx_lt_u32_e64 v113, v150
	s_cbranch_execz .LBB1326_494
.LBB1326_560:                           ;   in Loop: Header=BB1326_390 Depth=2
	global_load_dwordx2 v[19:20], v[37:38], off offset:1536
	s_or_b32 exec_lo, exec_lo, s46
	s_mov_b32 s46, exec_lo
	v_cmpx_lt_u32_e64 v114, v150
	s_cbranch_execz .LBB1326_495
.LBB1326_561:                           ;   in Loop: Header=BB1326_390 Depth=2
	global_load_dwordx2 v[15:16], v[37:38], off offset:1792
	s_or_b32 exec_lo, exec_lo, s46
	s_mov_b32 s46, exec_lo
	v_cmpx_lt_u32_e64 v115, v150
	s_cbranch_execz .LBB1326_496
.LBB1326_562:                           ;   in Loop: Header=BB1326_390 Depth=2
	v_add_co_u32 v25, s39, 0x800, v37
	v_add_co_ci_u32_e64 v26, null, 0, v38, s39
	global_load_dwordx2 v[25:26], v[25:26], off
	s_or_b32 exec_lo, exec_lo, s46
	s_mov_b32 s46, exec_lo
	v_cmpx_lt_u32_e64 v116, v150
	s_cbranch_execz .LBB1326_497
.LBB1326_563:                           ;   in Loop: Header=BB1326_390 Depth=2
	v_add_co_u32 v21, s39, 0x800, v37
	v_add_co_ci_u32_e64 v22, null, 0, v38, s39
	global_load_dwordx2 v[21:22], v[21:22], off offset:256
	s_or_b32 exec_lo, exec_lo, s46
	s_mov_b32 s46, exec_lo
	v_cmpx_lt_u32_e64 v117, v150
	s_cbranch_execz .LBB1326_498
.LBB1326_564:                           ;   in Loop: Header=BB1326_390 Depth=2
	v_add_co_u32 v17, s39, 0x800, v37
	v_add_co_ci_u32_e64 v18, null, 0, v38, s39
	global_load_dwordx2 v[17:18], v[17:18], off offset:512
	s_or_b32 exec_lo, exec_lo, s46
	s_mov_b32 s46, exec_lo
	v_cmpx_lt_u32_e64 v118, v150
	s_cbranch_execz .LBB1326_499
.LBB1326_565:                           ;   in Loop: Header=BB1326_390 Depth=2
	v_add_co_u32 v13, s39, 0x800, v37
	v_add_co_ci_u32_e64 v14, null, 0, v38, s39
	global_load_dwordx2 v[13:14], v[13:14], off offset:768
	s_or_b32 exec_lo, exec_lo, s46
	s_mov_b32 s46, exec_lo
	v_cmpx_lt_u32_e64 v119, v150
	s_cbranch_execz .LBB1326_500
.LBB1326_566:                           ;   in Loop: Header=BB1326_390 Depth=2
	v_add_co_u32 v11, s39, 0x800, v37
	v_add_co_ci_u32_e64 v12, null, 0, v38, s39
	global_load_dwordx2 v[11:12], v[11:12], off offset:1024
	s_or_b32 exec_lo, exec_lo, s46
	s_mov_b32 s46, exec_lo
	v_cmpx_lt_u32_e64 v121, v150
	s_cbranch_execz .LBB1326_501
.LBB1326_567:                           ;   in Loop: Header=BB1326_390 Depth=2
	v_add_co_u32 v9, s39, 0x800, v37
	v_add_co_ci_u32_e64 v10, null, 0, v38, s39
	global_load_dwordx2 v[9:10], v[9:10], off offset:1280
	s_or_b32 exec_lo, exec_lo, s46
	s_mov_b32 s46, exec_lo
	v_cmpx_lt_u32_e64 v122, v150
	s_cbranch_execz .LBB1326_502
.LBB1326_568:                           ;   in Loop: Header=BB1326_390 Depth=2
	v_add_co_u32 v7, s39, 0x800, v37
	v_add_co_ci_u32_e64 v8, null, 0, v38, s39
	global_load_dwordx2 v[7:8], v[7:8], off offset:1536
	s_or_b32 exec_lo, exec_lo, s46
	s_mov_b32 s46, exec_lo
	v_cmpx_lt_u32_e64 v123, v150
	s_cbranch_execz .LBB1326_503
.LBB1326_569:                           ;   in Loop: Header=BB1326_390 Depth=2
	v_add_co_u32 v5, s39, 0x800, v37
	v_add_co_ci_u32_e64 v6, null, 0, v38, s39
	global_load_dwordx2 v[5:6], v[5:6], off offset:1792
	s_or_b32 exec_lo, exec_lo, s46
	s_and_saveexec_b32 s46, vcc_lo
	s_cbranch_execz .LBB1326_504
.LBB1326_570:                           ;   in Loop: Header=BB1326_390 Depth=2
	ds_read_b32 v3, v66 offset:512
	s_waitcnt lgkmcnt(0)
	v_cmp_ne_u32_e64 s39, 0x80000000, v3
	v_cndmask_b32_e64 v3, 0x7fffffff, v3, s39
	v_lshrrev_b32_e32 v3, s52, v3
	v_and_b32_e32 v148, s61, v3
	s_or_b32 exec_lo, exec_lo, s46
	s_and_saveexec_b32 s46, s22
	s_cbranch_execz .LBB1326_505
.LBB1326_571:                           ;   in Loop: Header=BB1326_390 Depth=2
	ds_read_b32 v3, v66 offset:1536
	s_waitcnt lgkmcnt(0)
	v_cmp_ne_u32_e64 s39, 0x80000000, v3
	v_cndmask_b32_e64 v3, 0x7fffffff, v3, s39
	v_lshrrev_b32_e32 v3, s52, v3
	v_and_b32_e32 v147, s61, v3
	s_or_b32 exec_lo, exec_lo, s46
	s_and_saveexec_b32 s46, s23
	s_cbranch_execz .LBB1326_506
.LBB1326_572:                           ;   in Loop: Header=BB1326_390 Depth=2
	ds_read_b32 v3, v66 offset:2560
	s_waitcnt lgkmcnt(0)
	v_cmp_ne_u32_e64 s39, 0x80000000, v3
	v_cndmask_b32_e64 v3, 0x7fffffff, v3, s39
	v_lshrrev_b32_e32 v3, s52, v3
	v_and_b32_e32 v146, s61, v3
	s_or_b32 exec_lo, exec_lo, s46
	s_and_saveexec_b32 s46, s24
	s_cbranch_execz .LBB1326_507
.LBB1326_573:                           ;   in Loop: Header=BB1326_390 Depth=2
	ds_read_b32 v3, v66 offset:3584
	s_waitcnt lgkmcnt(0)
	v_cmp_ne_u32_e64 s39, 0x80000000, v3
	v_cndmask_b32_e64 v3, 0x7fffffff, v3, s39
	v_lshrrev_b32_e32 v3, s52, v3
	v_and_b32_e32 v145, s61, v3
	s_or_b32 exec_lo, exec_lo, s46
	s_and_saveexec_b32 s46, s25
	s_cbranch_execz .LBB1326_508
.LBB1326_574:                           ;   in Loop: Header=BB1326_390 Depth=2
	ds_read_b32 v3, v66 offset:4608
	s_waitcnt lgkmcnt(0)
	v_cmp_ne_u32_e64 s39, 0x80000000, v3
	v_cndmask_b32_e64 v3, 0x7fffffff, v3, s39
	v_lshrrev_b32_e32 v3, s52, v3
	v_and_b32_e32 v143, s61, v3
	s_or_b32 exec_lo, exec_lo, s46
	s_and_saveexec_b32 s46, s26
	s_cbranch_execz .LBB1326_509
.LBB1326_575:                           ;   in Loop: Header=BB1326_390 Depth=2
	ds_read_b32 v3, v66 offset:5632
	s_waitcnt lgkmcnt(0)
	v_cmp_ne_u32_e64 s39, 0x80000000, v3
	v_cndmask_b32_e64 v3, 0x7fffffff, v3, s39
	v_lshrrev_b32_e32 v3, s52, v3
	v_and_b32_e32 v142, s61, v3
	s_or_b32 exec_lo, exec_lo, s46
	s_and_saveexec_b32 s46, s28
	s_cbranch_execz .LBB1326_510
.LBB1326_576:                           ;   in Loop: Header=BB1326_390 Depth=2
	ds_read_b32 v3, v66 offset:6656
	s_waitcnt lgkmcnt(0)
	v_cmp_ne_u32_e64 s39, 0x80000000, v3
	v_cndmask_b32_e64 v3, 0x7fffffff, v3, s39
	v_lshrrev_b32_e32 v3, s52, v3
	v_and_b32_e32 v141, s61, v3
	s_or_b32 exec_lo, exec_lo, s46
	s_and_saveexec_b32 s46, s29
	s_cbranch_execz .LBB1326_511
.LBB1326_577:                           ;   in Loop: Header=BB1326_390 Depth=2
	ds_read_b32 v3, v66 offset:7680
	s_waitcnt lgkmcnt(0)
	v_cmp_ne_u32_e64 s39, 0x80000000, v3
	v_cndmask_b32_e64 v3, 0x7fffffff, v3, s39
	v_lshrrev_b32_e32 v3, s52, v3
	v_and_b32_e32 v140, s61, v3
	s_or_b32 exec_lo, exec_lo, s46
	s_and_saveexec_b32 s46, s30
	s_cbranch_execz .LBB1326_512
.LBB1326_578:                           ;   in Loop: Header=BB1326_390 Depth=2
	ds_read_b32 v3, v66 offset:8704
	s_waitcnt lgkmcnt(0)
	v_cmp_ne_u32_e64 s39, 0x80000000, v3
	v_cndmask_b32_e64 v3, 0x7fffffff, v3, s39
	v_lshrrev_b32_e32 v3, s52, v3
	v_and_b32_e32 v139, s61, v3
	s_or_b32 exec_lo, exec_lo, s46
	s_and_saveexec_b32 s46, s31
	s_cbranch_execz .LBB1326_513
.LBB1326_579:                           ;   in Loop: Header=BB1326_390 Depth=2
	ds_read_b32 v3, v66 offset:9728
	s_waitcnt lgkmcnt(0)
	v_cmp_ne_u32_e64 s39, 0x80000000, v3
	v_cndmask_b32_e64 v3, 0x7fffffff, v3, s39
	v_lshrrev_b32_e32 v3, s52, v3
	v_and_b32_e32 v138, s61, v3
	s_or_b32 exec_lo, exec_lo, s46
	s_and_saveexec_b32 s46, s33
	s_cbranch_execz .LBB1326_514
.LBB1326_580:                           ;   in Loop: Header=BB1326_390 Depth=2
	ds_read_b32 v3, v66 offset:10752
	s_waitcnt lgkmcnt(0)
	v_cmp_ne_u32_e64 s39, 0x80000000, v3
	v_cndmask_b32_e64 v3, 0x7fffffff, v3, s39
	v_lshrrev_b32_e32 v3, s52, v3
	v_and_b32_e32 v137, s61, v3
	s_or_b32 exec_lo, exec_lo, s46
	s_and_saveexec_b32 s46, s34
	s_cbranch_execz .LBB1326_515
.LBB1326_581:                           ;   in Loop: Header=BB1326_390 Depth=2
	ds_read_b32 v3, v66 offset:11776
	s_waitcnt lgkmcnt(0)
	v_cmp_ne_u32_e64 s39, 0x80000000, v3
	v_cndmask_b32_e64 v3, 0x7fffffff, v3, s39
	v_lshrrev_b32_e32 v3, s52, v3
	v_and_b32_e32 v136, s61, v3
	s_or_b32 exec_lo, exec_lo, s46
	s_and_saveexec_b32 s46, s35
	s_cbranch_execz .LBB1326_516
.LBB1326_582:                           ;   in Loop: Header=BB1326_390 Depth=2
	ds_read_b32 v3, v66 offset:12800
	s_waitcnt lgkmcnt(0)
	v_cmp_ne_u32_e64 s39, 0x80000000, v3
	v_cndmask_b32_e64 v3, 0x7fffffff, v3, s39
	v_lshrrev_b32_e32 v3, s52, v3
	v_and_b32_e32 v135, s61, v3
	s_or_b32 exec_lo, exec_lo, s46
	s_and_saveexec_b32 s46, s36
	s_cbranch_execz .LBB1326_517
.LBB1326_583:                           ;   in Loop: Header=BB1326_390 Depth=2
	ds_read_b32 v3, v66 offset:13824
	s_waitcnt lgkmcnt(0)
	v_cmp_ne_u32_e64 s39, 0x80000000, v3
	v_cndmask_b32_e64 v3, 0x7fffffff, v3, s39
	v_lshrrev_b32_e32 v3, s52, v3
	v_and_b32_e32 v134, s61, v3
	s_or_b32 exec_lo, exec_lo, s46
	s_and_saveexec_b32 s46, s37
	s_cbranch_execz .LBB1326_518
.LBB1326_584:                           ;   in Loop: Header=BB1326_390 Depth=2
	ds_read_b32 v3, v66 offset:14848
	s_waitcnt lgkmcnt(0)
	v_cmp_ne_u32_e64 s39, 0x80000000, v3
	v_cndmask_b32_e64 v3, 0x7fffffff, v3, s39
	v_lshrrev_b32_e32 v3, s52, v3
	v_and_b32_e32 v133, s61, v3
	s_or_b32 exec_lo, exec_lo, s46
	s_and_saveexec_b32 s46, s38
	s_cbranch_execnz .LBB1326_519
	s_branch .LBB1326_520
.LBB1326_585:                           ;   in Loop: Header=BB1326_390 Depth=2
	v_lshlrev_b32_e32 v3, 2, v148
	v_add_nc_u32_e32 v37, v66, v41
	ds_read_b32 v3, v3
	ds_read_b64 v[37:38], v37 offset:512
	s_waitcnt lgkmcnt(1)
	v_add_nc_u32_e32 v3, v3, v0
	v_lshlrev_b64 v[39:40], 3, v[3:4]
	v_add_co_u32 v39, vcc_lo, s50, v39
	v_add_co_ci_u32_e64 v40, null, s51, v40, vcc_lo
	s_waitcnt lgkmcnt(0)
	global_store_dwordx2 v[39:40], v[37:38], off
	s_or_b32 exec_lo, exec_lo, s39
	s_and_saveexec_b32 s39, s22
	s_cbranch_execz .LBB1326_522
.LBB1326_586:                           ;   in Loop: Header=BB1326_390 Depth=2
	v_lshlrev_b32_e32 v3, 2, v147
	v_add_nc_u32_e32 v37, v66, v41
	ds_read_b32 v3, v3
	ds_read_b64 v[37:38], v37 offset:2560
	s_waitcnt lgkmcnt(1)
	v_add_nc_u32_e32 v3, v3, v42
	v_lshlrev_b64 v[39:40], 3, v[3:4]
	v_add_co_u32 v39, vcc_lo, s50, v39
	v_add_co_ci_u32_e64 v40, null, s51, v40, vcc_lo
	s_waitcnt lgkmcnt(0)
	global_store_dwordx2 v[39:40], v[37:38], off
	s_or_b32 exec_lo, exec_lo, s39
	s_and_saveexec_b32 s22, s23
	s_cbranch_execz .LBB1326_523
.LBB1326_587:                           ;   in Loop: Header=BB1326_390 Depth=2
	v_lshlrev_b32_e32 v3, 2, v146
	v_add_nc_u32_e32 v37, v66, v41
	ds_read_b32 v3, v3
	ds_read_b64 v[37:38], v37 offset:4608
	s_waitcnt lgkmcnt(1)
	v_add_nc_u32_e32 v3, v3, v45
	v_lshlrev_b64 v[39:40], 3, v[3:4]
	v_add_co_u32 v39, vcc_lo, s50, v39
	v_add_co_ci_u32_e64 v40, null, s51, v40, vcc_lo
	s_waitcnt lgkmcnt(0)
	global_store_dwordx2 v[39:40], v[37:38], off
	s_or_b32 exec_lo, exec_lo, s22
	s_and_saveexec_b32 s22, s24
	s_cbranch_execz .LBB1326_524
.LBB1326_588:                           ;   in Loop: Header=BB1326_390 Depth=2
	v_lshlrev_b32_e32 v3, 2, v145
	v_add_nc_u32_e32 v37, v66, v41
	ds_read_b32 v3, v3
	ds_read_b64 v[37:38], v37 offset:6656
	s_waitcnt lgkmcnt(1)
	v_add_nc_u32_e32 v3, v3, v46
	v_lshlrev_b64 v[39:40], 3, v[3:4]
	v_add_co_u32 v39, vcc_lo, s50, v39
	v_add_co_ci_u32_e64 v40, null, s51, v40, vcc_lo
	s_waitcnt lgkmcnt(0)
	global_store_dwordx2 v[39:40], v[37:38], off
	s_or_b32 exec_lo, exec_lo, s22
	s_and_saveexec_b32 s22, s25
	s_cbranch_execz .LBB1326_525
.LBB1326_589:                           ;   in Loop: Header=BB1326_390 Depth=2
	v_lshlrev_b32_e32 v3, 2, v143
	v_add_nc_u32_e32 v37, v66, v41
	ds_read_b32 v3, v3
	ds_read_b64 v[37:38], v37 offset:8704
	s_waitcnt lgkmcnt(1)
	v_add_nc_u32_e32 v3, v3, v47
	v_lshlrev_b64 v[39:40], 3, v[3:4]
	v_add_co_u32 v39, vcc_lo, s50, v39
	v_add_co_ci_u32_e64 v40, null, s51, v40, vcc_lo
	s_waitcnt lgkmcnt(0)
	global_store_dwordx2 v[39:40], v[37:38], off
	s_or_b32 exec_lo, exec_lo, s22
	s_and_saveexec_b32 s22, s26
	s_cbranch_execz .LBB1326_526
.LBB1326_590:                           ;   in Loop: Header=BB1326_390 Depth=2
	v_lshlrev_b32_e32 v3, 2, v142
	v_add_nc_u32_e32 v37, v66, v41
	ds_read_b32 v3, v3
	ds_read_b64 v[37:38], v37 offset:10752
	s_waitcnt lgkmcnt(1)
	v_add_nc_u32_e32 v3, v3, v48
	v_lshlrev_b64 v[39:40], 3, v[3:4]
	v_add_co_u32 v39, vcc_lo, s50, v39
	v_add_co_ci_u32_e64 v40, null, s51, v40, vcc_lo
	s_waitcnt lgkmcnt(0)
	global_store_dwordx2 v[39:40], v[37:38], off
	s_or_b32 exec_lo, exec_lo, s22
	s_and_saveexec_b32 s22, s28
	s_cbranch_execz .LBB1326_527
.LBB1326_591:                           ;   in Loop: Header=BB1326_390 Depth=2
	v_lshlrev_b32_e32 v3, 2, v141
	v_add_nc_u32_e32 v37, v66, v41
	ds_read_b32 v3, v3
	ds_read_b64 v[37:38], v37 offset:12800
	s_waitcnt lgkmcnt(1)
	v_add_nc_u32_e32 v3, v3, v49
	v_lshlrev_b64 v[39:40], 3, v[3:4]
	v_add_co_u32 v39, vcc_lo, s50, v39
	v_add_co_ci_u32_e64 v40, null, s51, v40, vcc_lo
	s_waitcnt lgkmcnt(0)
	global_store_dwordx2 v[39:40], v[37:38], off
	s_or_b32 exec_lo, exec_lo, s22
	s_and_saveexec_b32 s22, s29
	s_cbranch_execz .LBB1326_528
.LBB1326_592:                           ;   in Loop: Header=BB1326_390 Depth=2
	v_lshlrev_b32_e32 v3, 2, v140
	v_add_nc_u32_e32 v37, v66, v41
	ds_read_b32 v3, v3
	ds_read_b64 v[37:38], v37 offset:14848
	s_waitcnt lgkmcnt(1)
	v_add_nc_u32_e32 v3, v3, v50
	v_lshlrev_b64 v[39:40], 3, v[3:4]
	v_add_co_u32 v39, vcc_lo, s50, v39
	v_add_co_ci_u32_e64 v40, null, s51, v40, vcc_lo
	s_waitcnt lgkmcnt(0)
	global_store_dwordx2 v[39:40], v[37:38], off
	s_or_b32 exec_lo, exec_lo, s22
	s_and_saveexec_b32 s22, s30
	s_cbranch_execz .LBB1326_529
.LBB1326_593:                           ;   in Loop: Header=BB1326_390 Depth=2
	v_lshlrev_b32_e32 v3, 2, v139
	v_add_nc_u32_e32 v37, v66, v41
	ds_read_b32 v3, v3
	ds_read_b64 v[37:38], v37 offset:16896
	s_waitcnt lgkmcnt(1)
	v_add_nc_u32_e32 v3, v3, v51
	v_lshlrev_b64 v[39:40], 3, v[3:4]
	v_add_co_u32 v39, vcc_lo, s50, v39
	v_add_co_ci_u32_e64 v40, null, s51, v40, vcc_lo
	s_waitcnt lgkmcnt(0)
	global_store_dwordx2 v[39:40], v[37:38], off
	s_or_b32 exec_lo, exec_lo, s22
	s_and_saveexec_b32 s22, s31
	s_cbranch_execz .LBB1326_530
.LBB1326_594:                           ;   in Loop: Header=BB1326_390 Depth=2
	v_lshlrev_b32_e32 v3, 2, v138
	v_add_nc_u32_e32 v37, v66, v41
	ds_read_b32 v3, v3
	ds_read_b64 v[37:38], v37 offset:18944
	s_waitcnt lgkmcnt(1)
	v_add_nc_u32_e32 v3, v3, v52
	v_lshlrev_b64 v[39:40], 3, v[3:4]
	v_add_co_u32 v39, vcc_lo, s50, v39
	v_add_co_ci_u32_e64 v40, null, s51, v40, vcc_lo
	s_waitcnt lgkmcnt(0)
	global_store_dwordx2 v[39:40], v[37:38], off
	s_or_b32 exec_lo, exec_lo, s22
	s_and_saveexec_b32 s22, s33
	s_cbranch_execz .LBB1326_531
.LBB1326_595:                           ;   in Loop: Header=BB1326_390 Depth=2
	v_lshlrev_b32_e32 v3, 2, v137
	v_add_nc_u32_e32 v37, v66, v41
	ds_read_b32 v3, v3
	ds_read_b64 v[37:38], v37 offset:20992
	s_waitcnt lgkmcnt(1)
	v_add_nc_u32_e32 v3, v3, v53
	v_lshlrev_b64 v[39:40], 3, v[3:4]
	v_add_co_u32 v39, vcc_lo, s50, v39
	v_add_co_ci_u32_e64 v40, null, s51, v40, vcc_lo
	s_waitcnt lgkmcnt(0)
	global_store_dwordx2 v[39:40], v[37:38], off
	s_or_b32 exec_lo, exec_lo, s22
	s_and_saveexec_b32 s22, s34
	s_cbranch_execz .LBB1326_532
.LBB1326_596:                           ;   in Loop: Header=BB1326_390 Depth=2
	v_lshlrev_b32_e32 v3, 2, v136
	v_add_nc_u32_e32 v37, v66, v41
	ds_read_b32 v3, v3
	ds_read_b64 v[37:38], v37 offset:23040
	s_waitcnt lgkmcnt(1)
	v_add_nc_u32_e32 v3, v3, v54
	v_lshlrev_b64 v[39:40], 3, v[3:4]
	v_add_co_u32 v39, vcc_lo, s50, v39
	v_add_co_ci_u32_e64 v40, null, s51, v40, vcc_lo
	s_waitcnt lgkmcnt(0)
	global_store_dwordx2 v[39:40], v[37:38], off
	s_or_b32 exec_lo, exec_lo, s22
	s_and_saveexec_b32 s22, s35
	s_cbranch_execz .LBB1326_533
.LBB1326_597:                           ;   in Loop: Header=BB1326_390 Depth=2
	v_lshlrev_b32_e32 v3, 2, v135
	v_add_nc_u32_e32 v37, v66, v41
	ds_read_b32 v3, v3
	ds_read_b64 v[37:38], v37 offset:25088
	s_waitcnt lgkmcnt(1)
	v_add_nc_u32_e32 v3, v3, v55
	v_lshlrev_b64 v[39:40], 3, v[3:4]
	v_add_co_u32 v39, vcc_lo, s50, v39
	v_add_co_ci_u32_e64 v40, null, s51, v40, vcc_lo
	s_waitcnt lgkmcnt(0)
	global_store_dwordx2 v[39:40], v[37:38], off
	s_or_b32 exec_lo, exec_lo, s22
	s_and_saveexec_b32 s22, s36
	s_cbranch_execz .LBB1326_534
.LBB1326_598:                           ;   in Loop: Header=BB1326_390 Depth=2
	v_lshlrev_b32_e32 v3, 2, v134
	v_add_nc_u32_e32 v37, v66, v41
	ds_read_b32 v3, v3
	ds_read_b64 v[37:38], v37 offset:27136
	s_waitcnt lgkmcnt(1)
	v_add_nc_u32_e32 v3, v3, v56
	v_lshlrev_b64 v[39:40], 3, v[3:4]
	v_add_co_u32 v39, vcc_lo, s50, v39
	v_add_co_ci_u32_e64 v40, null, s51, v40, vcc_lo
	s_waitcnt lgkmcnt(0)
	global_store_dwordx2 v[39:40], v[37:38], off
	s_or_b32 exec_lo, exec_lo, s22
	s_and_saveexec_b32 s22, s37
	s_cbranch_execz .LBB1326_535
.LBB1326_599:                           ;   in Loop: Header=BB1326_390 Depth=2
	v_lshlrev_b32_e32 v3, 2, v133
	v_add_nc_u32_e32 v37, v66, v41
	ds_read_b32 v3, v3
	ds_read_b64 v[37:38], v37 offset:29184
	s_waitcnt lgkmcnt(1)
	v_add_nc_u32_e32 v3, v3, v57
	v_lshlrev_b64 v[39:40], 3, v[3:4]
	v_add_co_u32 v39, vcc_lo, s50, v39
	v_add_co_ci_u32_e64 v40, null, s51, v40, vcc_lo
	s_waitcnt lgkmcnt(0)
	global_store_dwordx2 v[39:40], v[37:38], off
	s_or_b32 exec_lo, exec_lo, s22
	s_and_saveexec_b32 s22, s38
	s_cbranch_execnz .LBB1326_536
	s_branch .LBB1326_537
.LBB1326_600:                           ;   in Loop: Header=BB1326_12 Depth=1
	s_waitcnt lgkmcnt(0)
	s_barrier
.LBB1326_601:                           ;   in Loop: Header=BB1326_12 Depth=1
	s_mov_b32 s5, 0
.LBB1326_602:                           ;   in Loop: Header=BB1326_12 Depth=1
	s_andn2_b32 vcc_lo, exec_lo, s5
	s_cbranch_vccnz .LBB1326_11
; %bb.603:                              ;   in Loop: Header=BB1326_12 Depth=1
	s_and_b32 vcc_lo, exec_lo, s55
	s_mov_b32 s5, -1
	s_cbranch_vccz .LBB1326_897
; %bb.604:                              ;   in Loop: Header=BB1326_12 Depth=1
	s_mov_b32 s5, s60
	s_mov_b32 s46, s58
	s_barrier
	buffer_gl0_inv
                                        ; implicit-def: $vgpr3
                                        ; implicit-def: $vgpr5
                                        ; implicit-def: $vgpr6
                                        ; implicit-def: $vgpr7
                                        ; implicit-def: $vgpr8
                                        ; implicit-def: $vgpr9
                                        ; implicit-def: $vgpr10
                                        ; implicit-def: $vgpr11
                                        ; implicit-def: $vgpr12
                                        ; implicit-def: $vgpr13
                                        ; implicit-def: $vgpr14
                                        ; implicit-def: $vgpr15
                                        ; implicit-def: $vgpr16
                                        ; implicit-def: $vgpr17
                                        ; implicit-def: $vgpr18
                                        ; implicit-def: $vgpr19
	s_branch .LBB1326_606
.LBB1326_605:                           ;   in Loop: Header=BB1326_606 Depth=2
	s_or_b32 exec_lo, exec_lo, s16
	s_addk_i32 s5, 0xf000
	s_cmp_ge_u32 s15, s59
	s_mov_b32 s46, s15
	s_cbranch_scc1 .LBB1326_674
.LBB1326_606:                           ;   Parent Loop BB1326_12 Depth=1
                                        ; =>  This Inner Loop Header: Depth=2
	s_add_i32 s15, s46, 0x1000
	s_mov_b32 s16, -1
	s_cmp_gt_u32 s15, s59
                                        ; implicit-def: $vgpr20
                                        ; implicit-def: $vgpr21
                                        ; implicit-def: $vgpr24
                                        ; implicit-def: $vgpr22
                                        ; implicit-def: $vgpr26
                                        ; implicit-def: $vgpr23
                                        ; implicit-def: $vgpr28
                                        ; implicit-def: $vgpr25
                                        ; implicit-def: $vgpr30
                                        ; implicit-def: $vgpr27
                                        ; implicit-def: $vgpr31
                                        ; implicit-def: $vgpr29
                                        ; implicit-def: $vgpr33
                                        ; implicit-def: $vgpr32
                                        ; implicit-def: $vgpr34
                                        ; implicit-def: $vgpr35
	s_cbranch_scc1 .LBB1326_608
; %bb.607:                              ;   in Loop: Header=BB1326_606 Depth=2
	s_lshl_b64 s[16:17], s[46:47], 2
	v_add_co_u32 v30, vcc_lo, v75, s16
	v_add_co_ci_u32_e64 v31, null, s17, v76, vcc_lo
	s_mov_b32 s16, 0
	v_add_co_u32 v22, vcc_lo, 0x800, v30
	v_add_co_ci_u32_e64 v23, null, 0, v31, vcc_lo
	v_add_co_u32 v33, vcc_lo, v30, 0x1000
	v_add_co_ci_u32_e64 v34, null, 0, v31, vcc_lo
	;; [unrolled: 2-line block ×9, first 2 shown]
	s_clause 0x7
	global_load_dword v20, v[30:31], off
	global_load_dword v21, v[30:31], off offset:1024
	global_load_dword v22, v[22:23], off offset:1024
	;; [unrolled: 1-line block ×7, first 2 shown]
	v_add_co_u32 v37, vcc_lo, 0x3800, v30
	v_add_co_ci_u32_e64 v38, null, 0, v31, vcc_lo
	s_clause 0x7
	global_load_dword v24, v[33:34], off offset:-2048
	global_load_dword v26, v[33:34], off
	global_load_dword v28, v[35:36], off offset:-2048
	global_load_dword v30, v[35:36], off
	;; [unrolled: 2-line block ×3, first 2 shown]
	global_load_dword v34, v[37:38], off
	global_load_dword v35, v[37:38], off offset:1024
.LBB1326_608:                           ;   in Loop: Header=BB1326_606 Depth=2
	s_andn2_b32 vcc_lo, exec_lo, s16
	s_movk_i32 s16, 0x1000
	s_cbranch_vccnz .LBB1326_627
; %bb.609:                              ;   in Loop: Header=BB1326_606 Depth=2
	s_lshl_b64 s[16:17], s[46:47], 2
	s_mov_b32 s18, exec_lo
	s_add_u32 s16, s40, s16
	s_addc_u32 s17, s41, s17
	v_cmpx_gt_u32_e64 s5, v0
	s_cbranch_execnz .LBB1326_659
; %bb.610:                              ;   in Loop: Header=BB1326_606 Depth=2
	s_or_b32 exec_lo, exec_lo, s18
	s_mov_b32 s18, exec_lo
	v_cmpx_gt_u32_e64 s5, v42
	s_cbranch_execnz .LBB1326_660
.LBB1326_611:                           ;   in Loop: Header=BB1326_606 Depth=2
	s_or_b32 exec_lo, exec_lo, s18
	s_mov_b32 s18, exec_lo
	v_cmpx_gt_u32_e64 s5, v45
	s_cbranch_execnz .LBB1326_661
.LBB1326_612:                           ;   in Loop: Header=BB1326_606 Depth=2
	s_or_b32 exec_lo, exec_lo, s18
	s_mov_b32 s18, exec_lo
	v_cmpx_gt_u32_e64 s5, v46
	s_cbranch_execnz .LBB1326_662
.LBB1326_613:                           ;   in Loop: Header=BB1326_606 Depth=2
	s_or_b32 exec_lo, exec_lo, s18
	s_mov_b32 s18, exec_lo
	v_cmpx_gt_u32_e64 s5, v47
	s_cbranch_execnz .LBB1326_663
.LBB1326_614:                           ;   in Loop: Header=BB1326_606 Depth=2
	s_or_b32 exec_lo, exec_lo, s18
	s_mov_b32 s18, exec_lo
	v_cmpx_gt_u32_e64 s5, v48
	s_cbranch_execnz .LBB1326_664
.LBB1326_615:                           ;   in Loop: Header=BB1326_606 Depth=2
	s_or_b32 exec_lo, exec_lo, s18
	s_mov_b32 s18, exec_lo
	v_cmpx_gt_u32_e64 s5, v49
	s_cbranch_execnz .LBB1326_665
.LBB1326_616:                           ;   in Loop: Header=BB1326_606 Depth=2
	s_or_b32 exec_lo, exec_lo, s18
	s_mov_b32 s18, exec_lo
	v_cmpx_gt_u32_e64 s5, v50
	s_cbranch_execnz .LBB1326_666
.LBB1326_617:                           ;   in Loop: Header=BB1326_606 Depth=2
	s_or_b32 exec_lo, exec_lo, s18
	s_mov_b32 s18, exec_lo
	v_cmpx_gt_u32_e64 s5, v51
	s_cbranch_execnz .LBB1326_667
.LBB1326_618:                           ;   in Loop: Header=BB1326_606 Depth=2
	s_or_b32 exec_lo, exec_lo, s18
	s_mov_b32 s18, exec_lo
	v_cmpx_gt_u32_e64 s5, v52
	s_cbranch_execnz .LBB1326_668
.LBB1326_619:                           ;   in Loop: Header=BB1326_606 Depth=2
	s_or_b32 exec_lo, exec_lo, s18
	s_mov_b32 s18, exec_lo
	v_cmpx_gt_u32_e64 s5, v53
	s_cbranch_execnz .LBB1326_669
.LBB1326_620:                           ;   in Loop: Header=BB1326_606 Depth=2
	s_or_b32 exec_lo, exec_lo, s18
	s_mov_b32 s18, exec_lo
	v_cmpx_gt_u32_e64 s5, v54
	s_cbranch_execnz .LBB1326_670
.LBB1326_621:                           ;   in Loop: Header=BB1326_606 Depth=2
	s_or_b32 exec_lo, exec_lo, s18
	s_mov_b32 s18, exec_lo
	v_cmpx_gt_u32_e64 s5, v55
	s_cbranch_execnz .LBB1326_671
.LBB1326_622:                           ;   in Loop: Header=BB1326_606 Depth=2
	s_or_b32 exec_lo, exec_lo, s18
	s_mov_b32 s18, exec_lo
	v_cmpx_gt_u32_e64 s5, v56
	s_cbranch_execnz .LBB1326_672
.LBB1326_623:                           ;   in Loop: Header=BB1326_606 Depth=2
	s_or_b32 exec_lo, exec_lo, s18
	s_mov_b32 s18, exec_lo
	v_cmpx_gt_u32_e64 s5, v57
	s_cbranch_execnz .LBB1326_673
.LBB1326_624:                           ;   in Loop: Header=BB1326_606 Depth=2
	s_or_b32 exec_lo, exec_lo, s18
	s_mov_b32 s18, exec_lo
	v_cmpx_gt_u32_e64 s5, v58
	s_cbranch_execz .LBB1326_626
.LBB1326_625:                           ;   in Loop: Header=BB1326_606 Depth=2
	global_load_dword v3, v100, s[16:17]
.LBB1326_626:                           ;   in Loop: Header=BB1326_606 Depth=2
	s_or_b32 exec_lo, exec_lo, s18
	s_waitcnt vmcnt(0)
	v_mov_b32_e32 v20, v19
	v_mov_b32_e32 v21, v18
	;; [unrolled: 1-line block ×16, first 2 shown]
	s_mov_b32 s16, s5
.LBB1326_627:                           ;   in Loop: Header=BB1326_606 Depth=2
	s_waitcnt vmcnt(0)
	v_mov_b32_e32 v3, v35
	v_mov_b32_e32 v5, v34
	;; [unrolled: 1-line block ×16, first 2 shown]
	s_mov_b32 s17, exec_lo
	v_cmpx_gt_u32_e64 s16, v0
	s_cbranch_execnz .LBB1326_643
; %bb.628:                              ;   in Loop: Header=BB1326_606 Depth=2
	s_or_b32 exec_lo, exec_lo, s17
	s_mov_b32 s17, exec_lo
	v_cmpx_gt_u32_e64 s16, v42
	s_cbranch_execnz .LBB1326_644
.LBB1326_629:                           ;   in Loop: Header=BB1326_606 Depth=2
	s_or_b32 exec_lo, exec_lo, s17
	s_mov_b32 s17, exec_lo
	v_cmpx_gt_u32_e64 s16, v45
	s_cbranch_execnz .LBB1326_645
.LBB1326_630:                           ;   in Loop: Header=BB1326_606 Depth=2
	s_or_b32 exec_lo, exec_lo, s17
	s_mov_b32 s17, exec_lo
	v_cmpx_gt_u32_e64 s16, v46
	s_cbranch_execnz .LBB1326_646
.LBB1326_631:                           ;   in Loop: Header=BB1326_606 Depth=2
	s_or_b32 exec_lo, exec_lo, s17
	s_mov_b32 s17, exec_lo
	v_cmpx_gt_u32_e64 s16, v47
	s_cbranch_execnz .LBB1326_647
.LBB1326_632:                           ;   in Loop: Header=BB1326_606 Depth=2
	s_or_b32 exec_lo, exec_lo, s17
	s_mov_b32 s17, exec_lo
	v_cmpx_gt_u32_e64 s16, v48
	s_cbranch_execnz .LBB1326_648
.LBB1326_633:                           ;   in Loop: Header=BB1326_606 Depth=2
	s_or_b32 exec_lo, exec_lo, s17
	s_mov_b32 s17, exec_lo
	v_cmpx_gt_u32_e64 s16, v49
	s_cbranch_execnz .LBB1326_649
.LBB1326_634:                           ;   in Loop: Header=BB1326_606 Depth=2
	s_or_b32 exec_lo, exec_lo, s17
	s_mov_b32 s17, exec_lo
	v_cmpx_gt_u32_e64 s16, v50
	s_cbranch_execnz .LBB1326_650
.LBB1326_635:                           ;   in Loop: Header=BB1326_606 Depth=2
	s_or_b32 exec_lo, exec_lo, s17
	s_mov_b32 s17, exec_lo
	v_cmpx_gt_u32_e64 s16, v51
	s_cbranch_execnz .LBB1326_651
.LBB1326_636:                           ;   in Loop: Header=BB1326_606 Depth=2
	s_or_b32 exec_lo, exec_lo, s17
	s_mov_b32 s17, exec_lo
	v_cmpx_gt_u32_e64 s16, v52
	s_cbranch_execnz .LBB1326_652
.LBB1326_637:                           ;   in Loop: Header=BB1326_606 Depth=2
	s_or_b32 exec_lo, exec_lo, s17
	s_mov_b32 s17, exec_lo
	v_cmpx_gt_u32_e64 s16, v53
	s_cbranch_execnz .LBB1326_653
.LBB1326_638:                           ;   in Loop: Header=BB1326_606 Depth=2
	s_or_b32 exec_lo, exec_lo, s17
	s_mov_b32 s17, exec_lo
	v_cmpx_gt_u32_e64 s16, v54
	s_cbranch_execnz .LBB1326_654
.LBB1326_639:                           ;   in Loop: Header=BB1326_606 Depth=2
	s_or_b32 exec_lo, exec_lo, s17
	s_mov_b32 s17, exec_lo
	v_cmpx_gt_u32_e64 s16, v55
	s_cbranch_execnz .LBB1326_655
.LBB1326_640:                           ;   in Loop: Header=BB1326_606 Depth=2
	s_or_b32 exec_lo, exec_lo, s17
	s_mov_b32 s17, exec_lo
	v_cmpx_gt_u32_e64 s16, v56
	s_cbranch_execnz .LBB1326_656
.LBB1326_641:                           ;   in Loop: Header=BB1326_606 Depth=2
	s_or_b32 exec_lo, exec_lo, s17
	s_mov_b32 s17, exec_lo
	v_cmpx_gt_u32_e64 s16, v57
	s_cbranch_execnz .LBB1326_657
.LBB1326_642:                           ;   in Loop: Header=BB1326_606 Depth=2
	s_or_b32 exec_lo, exec_lo, s17
	v_cmp_gt_u32_e32 vcc_lo, s16, v58
	s_and_saveexec_b32 s16, vcc_lo
	s_cbranch_execz .LBB1326_605
	s_branch .LBB1326_658
.LBB1326_643:                           ;   in Loop: Header=BB1326_606 Depth=2
	v_cmp_gt_i32_e32 vcc_lo, 0, v19
	v_cndmask_b32_e64 v20, 0x7fffffff, 0, vcc_lo
	v_xor_b32_e32 v20, v20, v19
	v_cmp_ne_u32_e32 vcc_lo, 0x80000000, v20
	v_cndmask_b32_e32 v20, 0x7fffffff, v20, vcc_lo
	v_lshrrev_b32_e32 v20, s53, v20
	v_and_b32_e32 v20, s61, v20
	v_lshl_or_b32 v20, v20, 4, v59
	ds_add_u32 v20, v82
	s_or_b32 exec_lo, exec_lo, s17
	s_mov_b32 s17, exec_lo
	v_cmpx_gt_u32_e64 s16, v42
	s_cbranch_execz .LBB1326_629
.LBB1326_644:                           ;   in Loop: Header=BB1326_606 Depth=2
	v_cmp_gt_i32_e32 vcc_lo, 0, v18
	v_cndmask_b32_e64 v20, 0x7fffffff, 0, vcc_lo
	v_xor_b32_e32 v20, v20, v18
	v_cmp_ne_u32_e32 vcc_lo, 0x80000000, v20
	v_cndmask_b32_e32 v20, 0x7fffffff, v20, vcc_lo
	v_lshrrev_b32_e32 v20, s53, v20
	v_and_b32_e32 v20, s61, v20
	v_lshl_or_b32 v20, v20, 4, v59
	ds_add_u32 v20, v82
	s_or_b32 exec_lo, exec_lo, s17
	s_mov_b32 s17, exec_lo
	v_cmpx_gt_u32_e64 s16, v45
	s_cbranch_execz .LBB1326_630
.LBB1326_645:                           ;   in Loop: Header=BB1326_606 Depth=2
	v_cmp_gt_i32_e32 vcc_lo, 0, v17
	v_cndmask_b32_e64 v20, 0x7fffffff, 0, vcc_lo
	v_xor_b32_e32 v20, v20, v17
	v_cmp_ne_u32_e32 vcc_lo, 0x80000000, v20
	v_cndmask_b32_e32 v20, 0x7fffffff, v20, vcc_lo
	v_lshrrev_b32_e32 v20, s53, v20
	v_and_b32_e32 v20, s61, v20
	v_lshl_or_b32 v20, v20, 4, v59
	ds_add_u32 v20, v82
	s_or_b32 exec_lo, exec_lo, s17
	s_mov_b32 s17, exec_lo
	v_cmpx_gt_u32_e64 s16, v46
	s_cbranch_execz .LBB1326_631
.LBB1326_646:                           ;   in Loop: Header=BB1326_606 Depth=2
	v_cmp_gt_i32_e32 vcc_lo, 0, v16
	v_cndmask_b32_e64 v20, 0x7fffffff, 0, vcc_lo
	v_xor_b32_e32 v20, v20, v16
	v_cmp_ne_u32_e32 vcc_lo, 0x80000000, v20
	v_cndmask_b32_e32 v20, 0x7fffffff, v20, vcc_lo
	v_lshrrev_b32_e32 v20, s53, v20
	v_and_b32_e32 v20, s61, v20
	v_lshl_or_b32 v20, v20, 4, v59
	ds_add_u32 v20, v82
	s_or_b32 exec_lo, exec_lo, s17
	s_mov_b32 s17, exec_lo
	v_cmpx_gt_u32_e64 s16, v47
	s_cbranch_execz .LBB1326_632
.LBB1326_647:                           ;   in Loop: Header=BB1326_606 Depth=2
	v_cmp_gt_i32_e32 vcc_lo, 0, v15
	v_cndmask_b32_e64 v20, 0x7fffffff, 0, vcc_lo
	v_xor_b32_e32 v20, v20, v15
	v_cmp_ne_u32_e32 vcc_lo, 0x80000000, v20
	v_cndmask_b32_e32 v20, 0x7fffffff, v20, vcc_lo
	v_lshrrev_b32_e32 v20, s53, v20
	v_and_b32_e32 v20, s61, v20
	v_lshl_or_b32 v20, v20, 4, v59
	ds_add_u32 v20, v82
	s_or_b32 exec_lo, exec_lo, s17
	s_mov_b32 s17, exec_lo
	v_cmpx_gt_u32_e64 s16, v48
	s_cbranch_execz .LBB1326_633
.LBB1326_648:                           ;   in Loop: Header=BB1326_606 Depth=2
	v_cmp_gt_i32_e32 vcc_lo, 0, v14
	v_cndmask_b32_e64 v20, 0x7fffffff, 0, vcc_lo
	v_xor_b32_e32 v20, v20, v14
	v_cmp_ne_u32_e32 vcc_lo, 0x80000000, v20
	v_cndmask_b32_e32 v20, 0x7fffffff, v20, vcc_lo
	v_lshrrev_b32_e32 v20, s53, v20
	v_and_b32_e32 v20, s61, v20
	v_lshl_or_b32 v20, v20, 4, v59
	ds_add_u32 v20, v82
	s_or_b32 exec_lo, exec_lo, s17
	s_mov_b32 s17, exec_lo
	v_cmpx_gt_u32_e64 s16, v49
	s_cbranch_execz .LBB1326_634
.LBB1326_649:                           ;   in Loop: Header=BB1326_606 Depth=2
	v_cmp_gt_i32_e32 vcc_lo, 0, v13
	v_cndmask_b32_e64 v20, 0x7fffffff, 0, vcc_lo
	v_xor_b32_e32 v20, v20, v13
	v_cmp_ne_u32_e32 vcc_lo, 0x80000000, v20
	v_cndmask_b32_e32 v20, 0x7fffffff, v20, vcc_lo
	v_lshrrev_b32_e32 v20, s53, v20
	v_and_b32_e32 v20, s61, v20
	v_lshl_or_b32 v20, v20, 4, v59
	ds_add_u32 v20, v82
	s_or_b32 exec_lo, exec_lo, s17
	s_mov_b32 s17, exec_lo
	v_cmpx_gt_u32_e64 s16, v50
	s_cbranch_execz .LBB1326_635
.LBB1326_650:                           ;   in Loop: Header=BB1326_606 Depth=2
	v_cmp_gt_i32_e32 vcc_lo, 0, v12
	v_cndmask_b32_e64 v20, 0x7fffffff, 0, vcc_lo
	v_xor_b32_e32 v20, v20, v12
	v_cmp_ne_u32_e32 vcc_lo, 0x80000000, v20
	v_cndmask_b32_e32 v20, 0x7fffffff, v20, vcc_lo
	v_lshrrev_b32_e32 v20, s53, v20
	v_and_b32_e32 v20, s61, v20
	v_lshl_or_b32 v20, v20, 4, v59
	ds_add_u32 v20, v82
	s_or_b32 exec_lo, exec_lo, s17
	s_mov_b32 s17, exec_lo
	v_cmpx_gt_u32_e64 s16, v51
	s_cbranch_execz .LBB1326_636
.LBB1326_651:                           ;   in Loop: Header=BB1326_606 Depth=2
	v_cmp_gt_i32_e32 vcc_lo, 0, v11
	v_cndmask_b32_e64 v20, 0x7fffffff, 0, vcc_lo
	v_xor_b32_e32 v20, v20, v11
	v_cmp_ne_u32_e32 vcc_lo, 0x80000000, v20
	v_cndmask_b32_e32 v20, 0x7fffffff, v20, vcc_lo
	v_lshrrev_b32_e32 v20, s53, v20
	v_and_b32_e32 v20, s61, v20
	v_lshl_or_b32 v20, v20, 4, v59
	ds_add_u32 v20, v82
	s_or_b32 exec_lo, exec_lo, s17
	s_mov_b32 s17, exec_lo
	v_cmpx_gt_u32_e64 s16, v52
	s_cbranch_execz .LBB1326_637
.LBB1326_652:                           ;   in Loop: Header=BB1326_606 Depth=2
	v_cmp_gt_i32_e32 vcc_lo, 0, v10
	v_cndmask_b32_e64 v20, 0x7fffffff, 0, vcc_lo
	v_xor_b32_e32 v20, v20, v10
	v_cmp_ne_u32_e32 vcc_lo, 0x80000000, v20
	v_cndmask_b32_e32 v20, 0x7fffffff, v20, vcc_lo
	v_lshrrev_b32_e32 v20, s53, v20
	v_and_b32_e32 v20, s61, v20
	v_lshl_or_b32 v20, v20, 4, v59
	ds_add_u32 v20, v82
	s_or_b32 exec_lo, exec_lo, s17
	s_mov_b32 s17, exec_lo
	v_cmpx_gt_u32_e64 s16, v53
	s_cbranch_execz .LBB1326_638
.LBB1326_653:                           ;   in Loop: Header=BB1326_606 Depth=2
	v_cmp_gt_i32_e32 vcc_lo, 0, v9
	v_cndmask_b32_e64 v20, 0x7fffffff, 0, vcc_lo
	v_xor_b32_e32 v20, v20, v9
	v_cmp_ne_u32_e32 vcc_lo, 0x80000000, v20
	v_cndmask_b32_e32 v20, 0x7fffffff, v20, vcc_lo
	v_lshrrev_b32_e32 v20, s53, v20
	v_and_b32_e32 v20, s61, v20
	v_lshl_or_b32 v20, v20, 4, v59
	ds_add_u32 v20, v82
	s_or_b32 exec_lo, exec_lo, s17
	s_mov_b32 s17, exec_lo
	v_cmpx_gt_u32_e64 s16, v54
	s_cbranch_execz .LBB1326_639
.LBB1326_654:                           ;   in Loop: Header=BB1326_606 Depth=2
	v_cmp_gt_i32_e32 vcc_lo, 0, v8
	v_cndmask_b32_e64 v20, 0x7fffffff, 0, vcc_lo
	v_xor_b32_e32 v20, v20, v8
	v_cmp_ne_u32_e32 vcc_lo, 0x80000000, v20
	v_cndmask_b32_e32 v20, 0x7fffffff, v20, vcc_lo
	v_lshrrev_b32_e32 v20, s53, v20
	v_and_b32_e32 v20, s61, v20
	v_lshl_or_b32 v20, v20, 4, v59
	ds_add_u32 v20, v82
	s_or_b32 exec_lo, exec_lo, s17
	s_mov_b32 s17, exec_lo
	v_cmpx_gt_u32_e64 s16, v55
	s_cbranch_execz .LBB1326_640
.LBB1326_655:                           ;   in Loop: Header=BB1326_606 Depth=2
	v_cmp_gt_i32_e32 vcc_lo, 0, v7
	v_cndmask_b32_e64 v20, 0x7fffffff, 0, vcc_lo
	v_xor_b32_e32 v20, v20, v7
	v_cmp_ne_u32_e32 vcc_lo, 0x80000000, v20
	v_cndmask_b32_e32 v20, 0x7fffffff, v20, vcc_lo
	v_lshrrev_b32_e32 v20, s53, v20
	v_and_b32_e32 v20, s61, v20
	v_lshl_or_b32 v20, v20, 4, v59
	ds_add_u32 v20, v82
	s_or_b32 exec_lo, exec_lo, s17
	s_mov_b32 s17, exec_lo
	v_cmpx_gt_u32_e64 s16, v56
	s_cbranch_execz .LBB1326_641
.LBB1326_656:                           ;   in Loop: Header=BB1326_606 Depth=2
	v_cmp_gt_i32_e32 vcc_lo, 0, v6
	v_cndmask_b32_e64 v20, 0x7fffffff, 0, vcc_lo
	v_xor_b32_e32 v20, v20, v6
	v_cmp_ne_u32_e32 vcc_lo, 0x80000000, v20
	v_cndmask_b32_e32 v20, 0x7fffffff, v20, vcc_lo
	v_lshrrev_b32_e32 v20, s53, v20
	v_and_b32_e32 v20, s61, v20
	v_lshl_or_b32 v20, v20, 4, v59
	ds_add_u32 v20, v82
	s_or_b32 exec_lo, exec_lo, s17
	s_mov_b32 s17, exec_lo
	v_cmpx_gt_u32_e64 s16, v57
	s_cbranch_execz .LBB1326_642
.LBB1326_657:                           ;   in Loop: Header=BB1326_606 Depth=2
	v_cmp_gt_i32_e32 vcc_lo, 0, v5
	v_cndmask_b32_e64 v20, 0x7fffffff, 0, vcc_lo
	v_xor_b32_e32 v20, v20, v5
	v_cmp_ne_u32_e32 vcc_lo, 0x80000000, v20
	v_cndmask_b32_e32 v20, 0x7fffffff, v20, vcc_lo
	v_lshrrev_b32_e32 v20, s53, v20
	v_and_b32_e32 v20, s61, v20
	v_lshl_or_b32 v20, v20, 4, v59
	ds_add_u32 v20, v82
	s_or_b32 exec_lo, exec_lo, s17
	v_cmp_gt_u32_e32 vcc_lo, s16, v58
	s_and_saveexec_b32 s16, vcc_lo
	s_cbranch_execz .LBB1326_605
.LBB1326_658:                           ;   in Loop: Header=BB1326_606 Depth=2
	v_cmp_gt_i32_e32 vcc_lo, 0, v3
	v_cndmask_b32_e64 v20, 0x7fffffff, 0, vcc_lo
	v_xor_b32_e32 v20, v20, v3
	v_cmp_ne_u32_e32 vcc_lo, 0x80000000, v20
	v_cndmask_b32_e32 v20, 0x7fffffff, v20, vcc_lo
	v_lshrrev_b32_e32 v20, s53, v20
	v_and_b32_e32 v20, s61, v20
	v_lshl_or_b32 v20, v20, 4, v59
	ds_add_u32 v20, v82
	s_branch .LBB1326_605
.LBB1326_659:                           ;   in Loop: Header=BB1326_606 Depth=2
	global_load_dword v19, v86, s[16:17]
	s_or_b32 exec_lo, exec_lo, s18
	s_mov_b32 s18, exec_lo
	v_cmpx_gt_u32_e64 s5, v42
	s_cbranch_execz .LBB1326_611
.LBB1326_660:                           ;   in Loop: Header=BB1326_606 Depth=2
	global_load_dword v18, v86, s[16:17] offset:1024
	s_or_b32 exec_lo, exec_lo, s18
	s_mov_b32 s18, exec_lo
	v_cmpx_gt_u32_e64 s5, v45
	s_cbranch_execz .LBB1326_612
.LBB1326_661:                           ;   in Loop: Header=BB1326_606 Depth=2
	global_load_dword v17, v87, s[16:17]
	s_or_b32 exec_lo, exec_lo, s18
	s_mov_b32 s18, exec_lo
	v_cmpx_gt_u32_e64 s5, v46
	s_cbranch_execz .LBB1326_613
.LBB1326_662:                           ;   in Loop: Header=BB1326_606 Depth=2
	global_load_dword v16, v88, s[16:17]
	s_or_b32 exec_lo, exec_lo, s18
	s_mov_b32 s18, exec_lo
	v_cmpx_gt_u32_e64 s5, v47
	s_cbranch_execz .LBB1326_614
.LBB1326_663:                           ;   in Loop: Header=BB1326_606 Depth=2
	global_load_dword v15, v89, s[16:17]
	s_or_b32 exec_lo, exec_lo, s18
	s_mov_b32 s18, exec_lo
	v_cmpx_gt_u32_e64 s5, v48
	s_cbranch_execz .LBB1326_615
.LBB1326_664:                           ;   in Loop: Header=BB1326_606 Depth=2
	global_load_dword v14, v90, s[16:17]
	s_or_b32 exec_lo, exec_lo, s18
	s_mov_b32 s18, exec_lo
	v_cmpx_gt_u32_e64 s5, v49
	s_cbranch_execz .LBB1326_616
.LBB1326_665:                           ;   in Loop: Header=BB1326_606 Depth=2
	global_load_dword v13, v91, s[16:17]
	s_or_b32 exec_lo, exec_lo, s18
	s_mov_b32 s18, exec_lo
	v_cmpx_gt_u32_e64 s5, v50
	s_cbranch_execz .LBB1326_617
.LBB1326_666:                           ;   in Loop: Header=BB1326_606 Depth=2
	global_load_dword v12, v92, s[16:17]
	s_or_b32 exec_lo, exec_lo, s18
	s_mov_b32 s18, exec_lo
	v_cmpx_gt_u32_e64 s5, v51
	s_cbranch_execz .LBB1326_618
.LBB1326_667:                           ;   in Loop: Header=BB1326_606 Depth=2
	global_load_dword v11, v93, s[16:17]
	s_or_b32 exec_lo, exec_lo, s18
	s_mov_b32 s18, exec_lo
	v_cmpx_gt_u32_e64 s5, v52
	s_cbranch_execz .LBB1326_619
.LBB1326_668:                           ;   in Loop: Header=BB1326_606 Depth=2
	global_load_dword v10, v94, s[16:17]
	s_or_b32 exec_lo, exec_lo, s18
	s_mov_b32 s18, exec_lo
	v_cmpx_gt_u32_e64 s5, v53
	s_cbranch_execz .LBB1326_620
.LBB1326_669:                           ;   in Loop: Header=BB1326_606 Depth=2
	global_load_dword v9, v95, s[16:17]
	s_or_b32 exec_lo, exec_lo, s18
	s_mov_b32 s18, exec_lo
	v_cmpx_gt_u32_e64 s5, v54
	s_cbranch_execz .LBB1326_621
.LBB1326_670:                           ;   in Loop: Header=BB1326_606 Depth=2
	global_load_dword v8, v96, s[16:17]
	s_or_b32 exec_lo, exec_lo, s18
	s_mov_b32 s18, exec_lo
	v_cmpx_gt_u32_e64 s5, v55
	s_cbranch_execz .LBB1326_622
.LBB1326_671:                           ;   in Loop: Header=BB1326_606 Depth=2
	global_load_dword v7, v97, s[16:17]
	s_or_b32 exec_lo, exec_lo, s18
	s_mov_b32 s18, exec_lo
	v_cmpx_gt_u32_e64 s5, v56
	s_cbranch_execz .LBB1326_623
.LBB1326_672:                           ;   in Loop: Header=BB1326_606 Depth=2
	global_load_dword v6, v98, s[16:17]
	s_or_b32 exec_lo, exec_lo, s18
	s_mov_b32 s18, exec_lo
	v_cmpx_gt_u32_e64 s5, v57
	s_cbranch_execz .LBB1326_624
.LBB1326_673:                           ;   in Loop: Header=BB1326_606 Depth=2
	global_load_dword v5, v99, s[16:17]
	s_or_b32 exec_lo, exec_lo, s18
	s_mov_b32 s18, exec_lo
	v_cmpx_gt_u32_e64 s5, v58
	s_cbranch_execnz .LBB1326_625
	s_branch .LBB1326_626
.LBB1326_674:                           ;   in Loop: Header=BB1326_12 Depth=1
	v_mov_b32_e32 v3, 0
	s_waitcnt lgkmcnt(0)
	s_barrier
	buffer_gl0_inv
	s_and_saveexec_b32 s5, s7
	s_cbranch_execz .LBB1326_676
; %bb.675:                              ;   in Loop: Header=BB1326_12 Depth=1
	ds_read2_b64 v[5:8], v61 offset1:1
	s_waitcnt lgkmcnt(0)
	v_add_nc_u32_e32 v3, v6, v5
	v_add3_u32 v3, v3, v7, v8
.LBB1326_676:                           ;   in Loop: Header=BB1326_12 Depth=1
	s_or_b32 exec_lo, exec_lo, s5
	v_mov_b32_dpp v5, v3 row_shr:1 row_mask:0xf bank_mask:0xf
	v_cmp_eq_u32_e64 s5, 0, v83
	v_cmp_lt_u32_e64 s15, 1, v83
	v_cmp_lt_u32_e64 s16, 3, v83
	;; [unrolled: 1-line block ×3, first 2 shown]
	v_cmp_eq_u32_e64 s18, 0, v85
	v_cndmask_b32_e64 v5, v5, 0, s5
	v_add_nc_u32_e32 v3, v5, v3
	v_mov_b32_dpp v5, v3 row_shr:2 row_mask:0xf bank_mask:0xf
	v_cndmask_b32_e64 v5, 0, v5, s15
	v_add_nc_u32_e32 v3, v3, v5
	v_mov_b32_dpp v5, v3 row_shr:4 row_mask:0xf bank_mask:0xf
	;; [unrolled: 3-line block ×3, first 2 shown]
	v_cndmask_b32_e64 v5, 0, v5, s17
	v_add_nc_u32_e32 v3, v3, v5
	ds_swizzle_b32 v5, v3 offset:swizzle(BROADCAST,32,15)
	s_waitcnt lgkmcnt(0)
	v_and_b32_e32 v5, v84, v5
	v_add_nc_u32_e32 v3, v3, v5
	s_and_saveexec_b32 s19, s8
; %bb.677:                              ;   in Loop: Header=BB1326_12 Depth=1
	ds_write_b32 v62, v3
; %bb.678:                              ;   in Loop: Header=BB1326_12 Depth=1
	s_or_b32 exec_lo, exec_lo, s19
	s_waitcnt lgkmcnt(0)
	s_barrier
	buffer_gl0_inv
	s_and_saveexec_b32 s19, s9
	s_cbranch_execz .LBB1326_680
; %bb.679:                              ;   in Loop: Header=BB1326_12 Depth=1
	ds_read_b32 v5, v63
	v_cmp_ne_u32_e32 vcc_lo, 0, v101
	s_waitcnt lgkmcnt(0)
	v_mov_b32_dpp v6, v5 row_shr:1 row_mask:0xf bank_mask:0xf
	v_cndmask_b32_e32 v6, 0, v6, vcc_lo
	v_cmp_lt_u32_e32 vcc_lo, 1, v101
	v_add_nc_u32_e32 v5, v6, v5
	v_mov_b32_dpp v6, v5 row_shr:2 row_mask:0xf bank_mask:0xf
	v_cndmask_b32_e32 v6, 0, v6, vcc_lo
	v_add_nc_u32_e32 v5, v5, v6
	ds_write_b32 v63, v5
.LBB1326_680:                           ;   in Loop: Header=BB1326_12 Depth=1
	s_or_b32 exec_lo, exec_lo, s19
	v_mov_b32_e32 v5, 0
	s_waitcnt lgkmcnt(0)
	s_barrier
	buffer_gl0_inv
	s_and_saveexec_b32 s19, s10
; %bb.681:                              ;   in Loop: Header=BB1326_12 Depth=1
	ds_read_b32 v5, v64
; %bb.682:                              ;   in Loop: Header=BB1326_12 Depth=1
	s_or_b32 exec_lo, exec_lo, s19
	v_cmp_gt_i32_e32 vcc_lo, 0, v103
	s_waitcnt lgkmcnt(0)
	v_add_nc_u32_e32 v3, v5, v3
	s_barrier
	buffer_gl0_inv
	v_cndmask_b32_e32 v6, v103, v79, vcc_lo
	v_lshlrev_b32_e32 v126, 2, v6
	ds_bpermute_b32 v3, v126, v3
	s_and_saveexec_b32 s19, s7
	s_cbranch_execz .LBB1326_684
; %bb.683:                              ;   in Loop: Header=BB1326_12 Depth=1
	s_waitcnt lgkmcnt(0)
	v_cndmask_b32_e64 v3, v3, v5, s14
	v_add_nc_u32_e32 v3, s58, v3
	ds_write_b32 v41, v3
.LBB1326_684:                           ;   in Loop: Header=BB1326_12 Depth=1
	s_or_b32 exec_lo, exec_lo, s19
	s_load_dwordx2 s[20:21], s[56:57], 0x0
	v_add_co_u32 v127, vcc_lo, v77, v102
	v_add_co_ci_u32_e64 v128, null, 0, v78, vcc_lo
	v_add_co_u32 v129, vcc_lo, v80, v120
	v_add_co_ci_u32_e64 v130, null, 0, v81, vcc_lo
	s_mov_b32 s62, s60
	s_mov_b32 s46, s58
                                        ; implicit-def: $vgpr7_vgpr8
                                        ; implicit-def: $vgpr9_vgpr10
                                        ; implicit-def: $vgpr11_vgpr12
                                        ; implicit-def: $vgpr13_vgpr14
                                        ; implicit-def: $vgpr17_vgpr18
                                        ; implicit-def: $vgpr21_vgpr22
                                        ; implicit-def: $vgpr25_vgpr26
                                        ; implicit-def: $vgpr15_vgpr16
                                        ; implicit-def: $vgpr19_vgpr20
                                        ; implicit-def: $vgpr23_vgpr24
                                        ; implicit-def: $vgpr27_vgpr28
                                        ; implicit-def: $vgpr29_vgpr30
                                        ; implicit-def: $vgpr31_vgpr32
                                        ; implicit-def: $vgpr33_vgpr34
                                        ; implicit-def: $vgpr35_vgpr36
                                        ; implicit-def: $vgpr132
                                        ; implicit-def: $vgpr133
                                        ; implicit-def: $vgpr134
                                        ; implicit-def: $vgpr135
                                        ; implicit-def: $vgpr136
                                        ; implicit-def: $vgpr137
                                        ; implicit-def: $vgpr138
                                        ; implicit-def: $vgpr139
                                        ; implicit-def: $vgpr140
                                        ; implicit-def: $vgpr141
                                        ; implicit-def: $vgpr142
                                        ; implicit-def: $vgpr143
                                        ; implicit-def: $vgpr145
                                        ; implicit-def: $vgpr146
                                        ; implicit-def: $vgpr147
                                        ; implicit-def: $vgpr148
                                        ; implicit-def: $vgpr144
                                        ; implicit-def: $vgpr149
	s_waitcnt lgkmcnt(0)
	s_cmp_lt_u32 s27, s21
	s_cselect_b32 s19, 14, 20
	s_add_u32 s22, s56, s19
	s_addc_u32 s23, s57, 0
	s_cmp_lt_u32 s6, s20
	global_load_ushort v3, v4, s[22:23]
	s_cselect_b32 s19, 12, 18
	s_add_u32 s20, s56, s19
	s_addc_u32 s21, s57, 0
	v_cmp_eq_u32_e64 s19, 0, v104
	global_load_ushort v5, v4, s[20:21]
	v_cmp_lt_u32_e64 s20, 1, v104
	v_cmp_lt_u32_e64 s21, 3, v104
	s_waitcnt vmcnt(1)
	v_mad_u32_u24 v3, v2, v3, v1
	s_waitcnt vmcnt(0)
	v_mad_u64_u32 v[5:6], null, v3, v5, v[0:1]
	v_lshrrev_b32_e32 v3, 3, v5
                                        ; implicit-def: $vgpr5_vgpr6
	v_and_b32_e32 v131, 0x1ffffffc, v3
	s_branch .LBB1326_686
.LBB1326_685:                           ;   in Loop: Header=BB1326_686 Depth=2
	s_or_b32 exec_lo, exec_lo, s22
	s_addk_i32 s62, 0xf000
	s_cmp_lt_u32 s63, s59
	s_mov_b32 s46, s63
	s_cbranch_scc0 .LBB1326_896
.LBB1326_686:                           ;   Parent Loop BB1326_12 Depth=1
                                        ; =>  This Inner Loop Header: Depth=2
	s_add_i32 s63, s46, 0x1000
	s_cmp_gt_u32 s63, s59
	s_cbranch_scc1 .LBB1326_688
; %bb.687:                              ;   in Loop: Header=BB1326_686 Depth=2
	s_lshl_b64 s[22:23], s[46:47], 2
	v_add_co_u32 v37, vcc_lo, v129, s22
	v_add_co_ci_u32_e64 v38, null, s23, v130, vcc_lo
	s_mov_b32 s22, -1
	s_clause 0xe
	global_load_dword v3, v[37:38], off
	global_load_dword v151, v[37:38], off offset:128
	global_load_dword v154, v[37:38], off offset:256
	;; [unrolled: 1-line block ×14, first 2 shown]
	s_movk_i32 s23, 0x1000
	s_cbranch_execz .LBB1326_689
	s_branch .LBB1326_720
.LBB1326_688:                           ;   in Loop: Header=BB1326_686 Depth=2
	s_mov_b32 s22, 0
                                        ; implicit-def: $vgpr3
                                        ; implicit-def: $vgpr151
                                        ; implicit-def: $vgpr154
                                        ; implicit-def: $vgpr158
                                        ; implicit-def: $vgpr162
                                        ; implicit-def: $vgpr168
                                        ; implicit-def: $vgpr173
                                        ; implicit-def: $vgpr178
                                        ; implicit-def: $vgpr181
                                        ; implicit-def: $vgpr176
                                        ; implicit-def: $vgpr172
                                        ; implicit-def: $vgpr167
                                        ; implicit-def: $vgpr164
                                        ; implicit-def: $vgpr40
                                        ; implicit-def: $vgpr39
	s_movk_i32 s23, 0x1000
.LBB1326_689:                           ;   in Loop: Header=BB1326_686 Depth=2
	s_lshl_b64 s[22:23], s[46:47], 2
	s_waitcnt vmcnt(13)
	v_mov_b32_e32 v151, -1
	v_add_co_u32 v37, vcc_lo, v129, s22
	v_add_co_ci_u32_e64 v38, null, s23, v130, vcc_lo
	v_mov_b32_e32 v3, -1
	s_mov_b32 s22, exec_lo
	v_cmpx_gt_u32_e64 s62, v105
	s_cbranch_execz .LBB1326_691
; %bb.690:                              ;   in Loop: Header=BB1326_686 Depth=2
	global_load_dword v3, v[37:38], off
.LBB1326_691:                           ;   in Loop: Header=BB1326_686 Depth=2
	s_or_b32 exec_lo, exec_lo, s22
	s_mov_b32 s22, exec_lo
	v_cmpx_gt_u32_e64 s62, v108
	s_cbranch_execz .LBB1326_693
; %bb.692:                              ;   in Loop: Header=BB1326_686 Depth=2
	global_load_dword v151, v[37:38], off offset:128
.LBB1326_693:                           ;   in Loop: Header=BB1326_686 Depth=2
	s_or_b32 exec_lo, exec_lo, s22
	s_waitcnt vmcnt(11)
	v_mov_b32_e32 v158, -1
	v_mov_b32_e32 v154, -1
	s_mov_b32 s22, exec_lo
	v_cmpx_gt_u32_e64 s62, v109
	s_cbranch_execz .LBB1326_695
; %bb.694:                              ;   in Loop: Header=BB1326_686 Depth=2
	global_load_dword v154, v[37:38], off offset:256
.LBB1326_695:                           ;   in Loop: Header=BB1326_686 Depth=2
	s_or_b32 exec_lo, exec_lo, s22
	s_mov_b32 s22, exec_lo
	v_cmpx_gt_u32_e64 s62, v110
	s_cbranch_execz .LBB1326_697
; %bb.696:                              ;   in Loop: Header=BB1326_686 Depth=2
	global_load_dword v158, v[37:38], off offset:384
.LBB1326_697:                           ;   in Loop: Header=BB1326_686 Depth=2
	s_or_b32 exec_lo, exec_lo, s22
	s_waitcnt vmcnt(9)
	v_mov_b32_e32 v168, -1
	v_mov_b32_e32 v162, -1
	s_mov_b32 s22, exec_lo
	v_cmpx_gt_u32_e64 s62, v111
	s_cbranch_execz .LBB1326_699
; %bb.698:                              ;   in Loop: Header=BB1326_686 Depth=2
	global_load_dword v162, v[37:38], off offset:512
.LBB1326_699:                           ;   in Loop: Header=BB1326_686 Depth=2
	;; [unrolled: 17-line block ×6, first 2 shown]
	s_or_b32 exec_lo, exec_lo, s22
	s_mov_b32 s22, exec_lo
	v_cmpx_gt_u32_e64 s62, v121
	s_cbranch_execz .LBB1326_717
; %bb.716:                              ;   in Loop: Header=BB1326_686 Depth=2
	global_load_dword v40, v[37:38], off offset:1664
.LBB1326_717:                           ;   in Loop: Header=BB1326_686 Depth=2
	s_or_b32 exec_lo, exec_lo, s22
	s_waitcnt vmcnt(0)
	v_mov_b32_e32 v39, -1
	s_mov_b32 s22, exec_lo
	v_cmpx_gt_u32_e64 s62, v122
	s_cbranch_execz .LBB1326_719
; %bb.718:                              ;   in Loop: Header=BB1326_686 Depth=2
	global_load_dword v39, v[37:38], off offset:1792
.LBB1326_719:                           ;   in Loop: Header=BB1326_686 Depth=2
	s_or_b32 exec_lo, exec_lo, s22
	v_cmp_gt_u32_e64 s22, s62, v123
	s_sub_i32 s23, s59, s46
.LBB1326_720:                           ;   in Loop: Header=BB1326_686 Depth=2
	v_mov_b32_e32 v37, -1
	v_mov_b32_e32 v150, s62
	s_and_saveexec_b32 s24, s22
	s_cbranch_execz .LBB1326_722
; %bb.721:                              ;   in Loop: Header=BB1326_686 Depth=2
	s_lshl_b64 s[28:29], s[46:47], 2
	v_mov_b32_e32 v150, s23
	v_add_co_u32 v37, vcc_lo, v129, s28
	v_add_co_ci_u32_e64 v38, null, s29, v130, vcc_lo
	global_load_dword v37, v[37:38], off offset:1920
.LBB1326_722:                           ;   in Loop: Header=BB1326_686 Depth=2
	s_or_b32 exec_lo, exec_lo, s24
	s_waitcnt vmcnt(14)
	v_cmp_gt_i32_e32 vcc_lo, 0, v3
	ds_write2_b32 v65, v4, v4 offset0:136 offset1:137
	ds_write2_b32 v65, v4, v4 offset0:138 offset1:139
	ds_write_b32 v65, v4 offset:560
	s_waitcnt vmcnt(0) lgkmcnt(0)
	s_barrier
	v_cndmask_b32_e64 v38, 0x7fffffff, 0, vcc_lo
	buffer_gl0_inv
	; wave barrier
	v_xor_b32_e32 v3, v38, v3
	v_cmp_ne_u32_e32 vcc_lo, 0x80000000, v3
	v_cndmask_b32_e32 v38, 0x7fffffff, v3, vcc_lo
	v_lshrrev_b32_e32 v38, s53, v38
	v_and_b32_e32 v153, s61, v38
	v_and_b32_e32 v38, 1, v153
	v_lshlrev_b32_e32 v152, 30, v153
	v_lshlrev_b32_e32 v155, 29, v153
	;; [unrolled: 1-line block ×4, first 2 shown]
	v_add_co_u32 v38, s22, v38, -1
	v_cndmask_b32_e64 v156, 0, 1, s22
	v_not_b32_e32 v161, v152
	v_cmp_gt_i32_e64 s22, 0, v152
	v_not_b32_e32 v152, v155
	v_lshlrev_b32_e32 v160, 26, v153
	v_cmp_ne_u32_e32 vcc_lo, 0, v156
	v_ashrrev_i32_e32 v161, 31, v161
	v_lshlrev_b32_e32 v156, 25, v153
	v_ashrrev_i32_e32 v152, 31, v152
	v_mul_u32_u24_e32 v153, 36, v153
	v_xor_b32_e32 v38, vcc_lo, v38
	v_cmp_gt_i32_e32 vcc_lo, 0, v155
	v_not_b32_e32 v155, v157
	v_xor_b32_e32 v161, s22, v161
	v_cmp_gt_i32_e64 s22, 0, v157
	v_and_b32_e32 v38, exec_lo, v38
	v_not_b32_e32 v157, v159
	v_ashrrev_i32_e32 v155, 31, v155
	v_xor_b32_e32 v152, vcc_lo, v152
	v_cmp_gt_i32_e32 vcc_lo, 0, v159
	v_and_b32_e32 v38, v38, v161
	v_not_b32_e32 v159, v160
	v_ashrrev_i32_e32 v157, 31, v157
	v_xor_b32_e32 v155, s22, v155
	v_cmp_gt_i32_e64 s22, 0, v160
	v_and_b32_e32 v38, v38, v152
	v_not_b32_e32 v152, v156
	v_ashrrev_i32_e32 v159, 31, v159
	v_xor_b32_e32 v157, vcc_lo, v157
	v_cmp_gt_i32_e32 vcc_lo, 0, v156
	v_and_b32_e32 v38, v38, v155
	v_ashrrev_i32_e32 v152, 31, v152
	v_xor_b32_e32 v155, s22, v159
	v_add_nc_u32_e32 v153, v131, v153
	v_and_b32_e32 v38, v38, v157
	v_xor_b32_e32 v152, vcc_lo, v152
	v_and_b32_e32 v38, v38, v155
	v_and_b32_e32 v38, v38, v152
	v_mbcnt_lo_u32_b32 v152, v38, 0
	v_cmp_ne_u32_e64 s22, 0, v38
	v_cmp_eq_u32_e32 vcc_lo, 0, v152
	s_and_b32 s23, s22, vcc_lo
	s_and_saveexec_b32 s22, s23
; %bb.723:                              ;   in Loop: Header=BB1326_686 Depth=2
	v_bcnt_u32_b32 v38, v38, 0
	ds_write_b32 v153, v38 offset:544
; %bb.724:                              ;   in Loop: Header=BB1326_686 Depth=2
	s_or_b32 exec_lo, exec_lo, s22
	v_cmp_gt_i32_e32 vcc_lo, 0, v151
	; wave barrier
	v_cndmask_b32_e64 v38, 0x7fffffff, 0, vcc_lo
	v_xor_b32_e32 v151, v38, v151
	v_cmp_ne_u32_e32 vcc_lo, 0x80000000, v151
	v_cndmask_b32_e32 v38, 0x7fffffff, v151, vcc_lo
	v_lshrrev_b32_e32 v38, s53, v38
	v_and_b32_e32 v157, s61, v38
	v_and_b32_e32 v38, 1, v157
	v_lshlrev_b32_e32 v155, 30, v157
	v_lshlrev_b32_e32 v156, 29, v157
	;; [unrolled: 1-line block ×4, first 2 shown]
	v_add_co_u32 v38, s22, v38, -1
	v_cndmask_b32_e64 v159, 0, 1, s22
	v_not_b32_e32 v165, v155
	v_cmp_gt_i32_e64 s22, 0, v155
	v_not_b32_e32 v155, v156
	v_lshlrev_b32_e32 v163, 26, v157
	v_cmp_ne_u32_e32 vcc_lo, 0, v159
	v_ashrrev_i32_e32 v165, 31, v165
	v_lshlrev_b32_e32 v159, 25, v157
	v_ashrrev_i32_e32 v155, 31, v155
	v_xor_b32_e32 v38, vcc_lo, v38
	v_cmp_gt_i32_e32 vcc_lo, 0, v156
	v_not_b32_e32 v156, v160
	v_xor_b32_e32 v165, s22, v165
	v_cmp_gt_i32_e64 s22, 0, v160
	v_and_b32_e32 v38, exec_lo, v38
	v_not_b32_e32 v160, v161
	v_ashrrev_i32_e32 v156, 31, v156
	v_xor_b32_e32 v155, vcc_lo, v155
	v_cmp_gt_i32_e32 vcc_lo, 0, v161
	v_and_b32_e32 v38, v38, v165
	v_not_b32_e32 v161, v163
	v_ashrrev_i32_e32 v160, 31, v160
	v_xor_b32_e32 v156, s22, v156
	v_cmp_gt_i32_e64 s22, 0, v163
	v_and_b32_e32 v38, v38, v155
	v_not_b32_e32 v155, v159
	v_ashrrev_i32_e32 v161, 31, v161
	v_xor_b32_e32 v160, vcc_lo, v160
	v_cmp_gt_i32_e32 vcc_lo, 0, v159
	v_and_b32_e32 v38, v38, v156
	v_ashrrev_i32_e32 v155, 31, v155
	v_xor_b32_e32 v156, s22, v161
	v_mad_u32_u24 v159, v157, 36, v131
	v_mul_u32_u24_e32 v157, 36, v157
	v_and_b32_e32 v38, v38, v160
	v_xor_b32_e32 v160, vcc_lo, v155
	ds_read_b32 v155, v159 offset:544
	v_add_nc_u32_e32 v157, v131, v157
	v_and_b32_e32 v38, v38, v156
	; wave barrier
	v_and_b32_e32 v38, v38, v160
	v_mbcnt_lo_u32_b32 v156, v38, 0
	v_cmp_ne_u32_e64 s22, 0, v38
	v_cmp_eq_u32_e32 vcc_lo, 0, v156
	s_and_b32 s23, s22, vcc_lo
	s_and_saveexec_b32 s22, s23
	s_cbranch_execz .LBB1326_726
; %bb.725:                              ;   in Loop: Header=BB1326_686 Depth=2
	s_waitcnt lgkmcnt(0)
	v_bcnt_u32_b32 v38, v38, v155
	ds_write_b32 v157, v38 offset:544
.LBB1326_726:                           ;   in Loop: Header=BB1326_686 Depth=2
	s_or_b32 exec_lo, exec_lo, s22
	v_cmp_gt_i32_e32 vcc_lo, 0, v154
	; wave barrier
	v_cndmask_b32_e64 v38, 0x7fffffff, 0, vcc_lo
	v_xor_b32_e32 v154, v38, v154
	v_cmp_ne_u32_e32 vcc_lo, 0x80000000, v154
	v_cndmask_b32_e32 v38, 0x7fffffff, v154, vcc_lo
	v_lshrrev_b32_e32 v38, s53, v38
	v_and_b32_e32 v161, s61, v38
	v_and_b32_e32 v38, 1, v161
	v_lshlrev_b32_e32 v159, 30, v161
	v_lshlrev_b32_e32 v160, 29, v161
	;; [unrolled: 1-line block ×4, first 2 shown]
	v_add_co_u32 v38, s22, v38, -1
	v_cndmask_b32_e64 v163, 0, 1, s22
	v_not_b32_e32 v170, v159
	v_cmp_gt_i32_e64 s22, 0, v159
	v_not_b32_e32 v159, v160
	v_lshlrev_b32_e32 v169, 26, v161
	v_cmp_ne_u32_e32 vcc_lo, 0, v163
	v_ashrrev_i32_e32 v170, 31, v170
	v_lshlrev_b32_e32 v163, 25, v161
	v_ashrrev_i32_e32 v159, 31, v159
	v_xor_b32_e32 v38, vcc_lo, v38
	v_cmp_gt_i32_e32 vcc_lo, 0, v160
	v_not_b32_e32 v160, v165
	v_xor_b32_e32 v170, s22, v170
	v_cmp_gt_i32_e64 s22, 0, v165
	v_and_b32_e32 v38, exec_lo, v38
	v_not_b32_e32 v165, v166
	v_ashrrev_i32_e32 v160, 31, v160
	v_xor_b32_e32 v159, vcc_lo, v159
	v_cmp_gt_i32_e32 vcc_lo, 0, v166
	v_and_b32_e32 v38, v38, v170
	v_not_b32_e32 v166, v169
	v_ashrrev_i32_e32 v165, 31, v165
	v_xor_b32_e32 v160, s22, v160
	v_cmp_gt_i32_e64 s22, 0, v169
	v_and_b32_e32 v38, v38, v159
	v_not_b32_e32 v159, v163
	v_ashrrev_i32_e32 v166, 31, v166
	v_xor_b32_e32 v165, vcc_lo, v165
	v_cmp_gt_i32_e32 vcc_lo, 0, v163
	v_and_b32_e32 v38, v38, v160
	v_ashrrev_i32_e32 v159, 31, v159
	v_xor_b32_e32 v160, s22, v166
	v_mad_u32_u24 v163, v161, 36, v131
	v_mul_u32_u24_e32 v161, 36, v161
	v_and_b32_e32 v38, v38, v165
	v_xor_b32_e32 v165, vcc_lo, v159
	ds_read_b32 v159, v163 offset:544
	v_add_nc_u32_e32 v161, v131, v161
	v_and_b32_e32 v38, v38, v160
	; wave barrier
	v_and_b32_e32 v38, v38, v165
	v_mbcnt_lo_u32_b32 v160, v38, 0
	v_cmp_ne_u32_e64 s22, 0, v38
	v_cmp_eq_u32_e32 vcc_lo, 0, v160
	s_and_b32 s23, s22, vcc_lo
	s_and_saveexec_b32 s22, s23
	s_cbranch_execz .LBB1326_728
; %bb.727:                              ;   in Loop: Header=BB1326_686 Depth=2
	s_waitcnt lgkmcnt(0)
	v_bcnt_u32_b32 v38, v38, v159
	ds_write_b32 v161, v38 offset:544
.LBB1326_728:                           ;   in Loop: Header=BB1326_686 Depth=2
	s_or_b32 exec_lo, exec_lo, s22
	v_cmp_gt_i32_e32 vcc_lo, 0, v158
	; wave barrier
	v_cndmask_b32_e64 v38, 0x7fffffff, 0, vcc_lo
	v_xor_b32_e32 v158, v38, v158
	v_cmp_ne_u32_e32 vcc_lo, 0x80000000, v158
	v_cndmask_b32_e32 v38, 0x7fffffff, v158, vcc_lo
	v_lshrrev_b32_e32 v38, s53, v38
	v_and_b32_e32 v166, s61, v38
	v_and_b32_e32 v38, 1, v166
	v_lshlrev_b32_e32 v163, 30, v166
	v_lshlrev_b32_e32 v165, 29, v166
	;; [unrolled: 1-line block ×4, first 2 shown]
	v_add_co_u32 v38, s22, v38, -1
	v_cndmask_b32_e64 v169, 0, 1, s22
	v_not_b32_e32 v175, v163
	v_cmp_gt_i32_e64 s22, 0, v163
	v_not_b32_e32 v163, v165
	v_lshlrev_b32_e32 v174, 26, v166
	v_cmp_ne_u32_e32 vcc_lo, 0, v169
	v_ashrrev_i32_e32 v175, 31, v175
	v_lshlrev_b32_e32 v169, 25, v166
	v_ashrrev_i32_e32 v163, 31, v163
	v_xor_b32_e32 v38, vcc_lo, v38
	v_cmp_gt_i32_e32 vcc_lo, 0, v165
	v_not_b32_e32 v165, v170
	v_xor_b32_e32 v175, s22, v175
	v_cmp_gt_i32_e64 s22, 0, v170
	v_and_b32_e32 v38, exec_lo, v38
	v_not_b32_e32 v170, v171
	v_ashrrev_i32_e32 v165, 31, v165
	v_xor_b32_e32 v163, vcc_lo, v163
	v_cmp_gt_i32_e32 vcc_lo, 0, v171
	v_and_b32_e32 v38, v38, v175
	v_not_b32_e32 v171, v174
	v_ashrrev_i32_e32 v170, 31, v170
	v_xor_b32_e32 v165, s22, v165
	v_cmp_gt_i32_e64 s22, 0, v174
	v_and_b32_e32 v38, v38, v163
	v_not_b32_e32 v163, v169
	v_ashrrev_i32_e32 v171, 31, v171
	v_xor_b32_e32 v170, vcc_lo, v170
	v_cmp_gt_i32_e32 vcc_lo, 0, v169
	v_and_b32_e32 v38, v38, v165
	v_ashrrev_i32_e32 v163, 31, v163
	v_xor_b32_e32 v165, s22, v171
	v_mad_u32_u24 v169, v166, 36, v131
	v_mul_u32_u24_e32 v166, 36, v166
	v_and_b32_e32 v38, v38, v170
	v_xor_b32_e32 v170, vcc_lo, v163
	ds_read_b32 v163, v169 offset:544
	v_add_nc_u32_e32 v166, v131, v166
	v_and_b32_e32 v38, v38, v165
	; wave barrier
	v_and_b32_e32 v38, v38, v170
	v_mbcnt_lo_u32_b32 v165, v38, 0
	v_cmp_ne_u32_e64 s22, 0, v38
	v_cmp_eq_u32_e32 vcc_lo, 0, v165
	s_and_b32 s23, s22, vcc_lo
	s_and_saveexec_b32 s22, s23
	s_cbranch_execz .LBB1326_730
; %bb.729:                              ;   in Loop: Header=BB1326_686 Depth=2
	s_waitcnt lgkmcnt(0)
	v_bcnt_u32_b32 v38, v38, v163
	ds_write_b32 v166, v38 offset:544
.LBB1326_730:                           ;   in Loop: Header=BB1326_686 Depth=2
	s_or_b32 exec_lo, exec_lo, s22
	v_cmp_gt_i32_e32 vcc_lo, 0, v162
	; wave barrier
	v_cndmask_b32_e64 v38, 0x7fffffff, 0, vcc_lo
	v_xor_b32_e32 v162, v38, v162
	v_cmp_ne_u32_e32 vcc_lo, 0x80000000, v162
	v_cndmask_b32_e32 v38, 0x7fffffff, v162, vcc_lo
	v_lshrrev_b32_e32 v38, s53, v38
	v_and_b32_e32 v171, s61, v38
	v_and_b32_e32 v38, 1, v171
	v_lshlrev_b32_e32 v169, 30, v171
	v_lshlrev_b32_e32 v170, 29, v171
	;; [unrolled: 1-line block ×4, first 2 shown]
	v_add_co_u32 v38, s22, v38, -1
	v_cndmask_b32_e64 v174, 0, 1, s22
	v_not_b32_e32 v180, v169
	v_cmp_gt_i32_e64 s22, 0, v169
	v_not_b32_e32 v169, v170
	v_lshlrev_b32_e32 v179, 26, v171
	v_cmp_ne_u32_e32 vcc_lo, 0, v174
	v_ashrrev_i32_e32 v180, 31, v180
	v_lshlrev_b32_e32 v174, 25, v171
	v_ashrrev_i32_e32 v169, 31, v169
	v_xor_b32_e32 v38, vcc_lo, v38
	v_cmp_gt_i32_e32 vcc_lo, 0, v170
	v_not_b32_e32 v170, v175
	v_xor_b32_e32 v180, s22, v180
	v_cmp_gt_i32_e64 s22, 0, v175
	v_and_b32_e32 v38, exec_lo, v38
	v_not_b32_e32 v175, v177
	v_ashrrev_i32_e32 v170, 31, v170
	v_xor_b32_e32 v169, vcc_lo, v169
	v_cmp_gt_i32_e32 vcc_lo, 0, v177
	v_and_b32_e32 v38, v38, v180
	v_not_b32_e32 v177, v179
	v_ashrrev_i32_e32 v175, 31, v175
	v_xor_b32_e32 v170, s22, v170
	v_cmp_gt_i32_e64 s22, 0, v179
	v_and_b32_e32 v38, v38, v169
	v_not_b32_e32 v169, v174
	v_ashrrev_i32_e32 v177, 31, v177
	v_xor_b32_e32 v175, vcc_lo, v175
	v_cmp_gt_i32_e32 vcc_lo, 0, v174
	v_and_b32_e32 v38, v38, v170
	v_ashrrev_i32_e32 v169, 31, v169
	v_xor_b32_e32 v170, s22, v177
	v_mad_u32_u24 v174, v171, 36, v131
	v_mul_u32_u24_e32 v171, 36, v171
	v_and_b32_e32 v38, v38, v175
	v_xor_b32_e32 v175, vcc_lo, v169
	ds_read_b32 v169, v174 offset:544
	v_add_nc_u32_e32 v171, v131, v171
	v_and_b32_e32 v38, v38, v170
	; wave barrier
	v_and_b32_e32 v38, v38, v175
	v_mbcnt_lo_u32_b32 v170, v38, 0
	v_cmp_ne_u32_e64 s22, 0, v38
	v_cmp_eq_u32_e32 vcc_lo, 0, v170
	s_and_b32 s23, s22, vcc_lo
	s_and_saveexec_b32 s22, s23
	s_cbranch_execz .LBB1326_732
; %bb.731:                              ;   in Loop: Header=BB1326_686 Depth=2
	s_waitcnt lgkmcnt(0)
	v_bcnt_u32_b32 v38, v38, v169
	ds_write_b32 v171, v38 offset:544
.LBB1326_732:                           ;   in Loop: Header=BB1326_686 Depth=2
	s_or_b32 exec_lo, exec_lo, s22
	v_cmp_gt_i32_e32 vcc_lo, 0, v168
	; wave barrier
	v_cndmask_b32_e64 v38, 0x7fffffff, 0, vcc_lo
	v_xor_b32_e32 v168, v38, v168
	v_cmp_ne_u32_e32 vcc_lo, 0x80000000, v168
	v_cndmask_b32_e32 v38, 0x7fffffff, v168, vcc_lo
	v_lshrrev_b32_e32 v38, s53, v38
	v_and_b32_e32 v177, s61, v38
	v_and_b32_e32 v38, 1, v177
	v_lshlrev_b32_e32 v174, 30, v177
	v_lshlrev_b32_e32 v175, 29, v177
	;; [unrolled: 1-line block ×4, first 2 shown]
	v_add_co_u32 v38, s22, v38, -1
	v_cndmask_b32_e64 v179, 0, 1, s22
	v_not_b32_e32 v184, v174
	v_cmp_gt_i32_e64 s22, 0, v174
	v_not_b32_e32 v174, v175
	v_lshlrev_b32_e32 v183, 26, v177
	v_cmp_ne_u32_e32 vcc_lo, 0, v179
	v_ashrrev_i32_e32 v184, 31, v184
	v_lshlrev_b32_e32 v179, 25, v177
	v_ashrrev_i32_e32 v174, 31, v174
	v_xor_b32_e32 v38, vcc_lo, v38
	v_cmp_gt_i32_e32 vcc_lo, 0, v175
	v_not_b32_e32 v175, v180
	v_xor_b32_e32 v184, s22, v184
	v_cmp_gt_i32_e64 s22, 0, v180
	v_and_b32_e32 v38, exec_lo, v38
	v_not_b32_e32 v180, v182
	v_ashrrev_i32_e32 v175, 31, v175
	v_xor_b32_e32 v174, vcc_lo, v174
	v_cmp_gt_i32_e32 vcc_lo, 0, v182
	v_and_b32_e32 v38, v38, v184
	v_not_b32_e32 v182, v183
	v_ashrrev_i32_e32 v180, 31, v180
	v_xor_b32_e32 v175, s22, v175
	v_cmp_gt_i32_e64 s22, 0, v183
	v_and_b32_e32 v38, v38, v174
	v_not_b32_e32 v174, v179
	v_ashrrev_i32_e32 v182, 31, v182
	v_xor_b32_e32 v180, vcc_lo, v180
	v_cmp_gt_i32_e32 vcc_lo, 0, v179
	v_and_b32_e32 v38, v38, v175
	v_ashrrev_i32_e32 v174, 31, v174
	v_xor_b32_e32 v175, s22, v182
	v_mad_u32_u24 v179, v177, 36, v131
	v_mul_u32_u24_e32 v177, 36, v177
	v_and_b32_e32 v38, v38, v180
	v_xor_b32_e32 v180, vcc_lo, v174
	ds_read_b32 v174, v179 offset:544
	v_add_nc_u32_e32 v177, v131, v177
	v_and_b32_e32 v38, v38, v175
	; wave barrier
	v_and_b32_e32 v38, v38, v180
	v_mbcnt_lo_u32_b32 v175, v38, 0
	v_cmp_ne_u32_e64 s22, 0, v38
	v_cmp_eq_u32_e32 vcc_lo, 0, v175
	s_and_b32 s23, s22, vcc_lo
	s_and_saveexec_b32 s22, s23
	s_cbranch_execz .LBB1326_734
; %bb.733:                              ;   in Loop: Header=BB1326_686 Depth=2
	s_waitcnt lgkmcnt(0)
	v_bcnt_u32_b32 v38, v38, v174
	ds_write_b32 v177, v38 offset:544
.LBB1326_734:                           ;   in Loop: Header=BB1326_686 Depth=2
	s_or_b32 exec_lo, exec_lo, s22
	v_cmp_gt_i32_e32 vcc_lo, 0, v173
	; wave barrier
	v_cndmask_b32_e64 v38, 0x7fffffff, 0, vcc_lo
	v_xor_b32_e32 v173, v38, v173
	v_cmp_ne_u32_e32 vcc_lo, 0x80000000, v173
	v_cndmask_b32_e32 v38, 0x7fffffff, v173, vcc_lo
	v_lshrrev_b32_e32 v38, s53, v38
	v_and_b32_e32 v182, s61, v38
	v_and_b32_e32 v38, 1, v182
	v_lshlrev_b32_e32 v179, 30, v182
	v_lshlrev_b32_e32 v180, 29, v182
	;; [unrolled: 1-line block ×4, first 2 shown]
	v_add_co_u32 v38, s22, v38, -1
	v_cndmask_b32_e64 v183, 0, 1, s22
	v_not_b32_e32 v187, v179
	v_cmp_gt_i32_e64 s22, 0, v179
	v_not_b32_e32 v179, v180
	v_lshlrev_b32_e32 v186, 26, v182
	v_cmp_ne_u32_e32 vcc_lo, 0, v183
	v_ashrrev_i32_e32 v187, 31, v187
	v_lshlrev_b32_e32 v183, 25, v182
	v_ashrrev_i32_e32 v179, 31, v179
	v_xor_b32_e32 v38, vcc_lo, v38
	v_cmp_gt_i32_e32 vcc_lo, 0, v180
	v_not_b32_e32 v180, v184
	v_xor_b32_e32 v187, s22, v187
	v_cmp_gt_i32_e64 s22, 0, v184
	v_and_b32_e32 v38, exec_lo, v38
	v_not_b32_e32 v184, v185
	v_ashrrev_i32_e32 v180, 31, v180
	v_xor_b32_e32 v179, vcc_lo, v179
	v_cmp_gt_i32_e32 vcc_lo, 0, v185
	v_and_b32_e32 v38, v38, v187
	v_not_b32_e32 v185, v186
	v_ashrrev_i32_e32 v184, 31, v184
	v_xor_b32_e32 v180, s22, v180
	v_cmp_gt_i32_e64 s22, 0, v186
	v_and_b32_e32 v38, v38, v179
	v_not_b32_e32 v179, v183
	v_ashrrev_i32_e32 v185, 31, v185
	v_xor_b32_e32 v184, vcc_lo, v184
	v_cmp_gt_i32_e32 vcc_lo, 0, v183
	v_and_b32_e32 v38, v38, v180
	v_ashrrev_i32_e32 v179, 31, v179
	v_xor_b32_e32 v180, s22, v185
	v_mad_u32_u24 v183, v182, 36, v131
	v_mul_u32_u24_e32 v182, 36, v182
	v_and_b32_e32 v38, v38, v184
	v_xor_b32_e32 v184, vcc_lo, v179
	ds_read_b32 v179, v183 offset:544
	v_add_nc_u32_e32 v182, v131, v182
	v_and_b32_e32 v38, v38, v180
	; wave barrier
	v_and_b32_e32 v38, v38, v184
	v_mbcnt_lo_u32_b32 v180, v38, 0
	v_cmp_ne_u32_e64 s22, 0, v38
	v_cmp_eq_u32_e32 vcc_lo, 0, v180
	s_and_b32 s23, s22, vcc_lo
	s_and_saveexec_b32 s22, s23
	s_cbranch_execz .LBB1326_736
; %bb.735:                              ;   in Loop: Header=BB1326_686 Depth=2
	s_waitcnt lgkmcnt(0)
	v_bcnt_u32_b32 v38, v38, v179
	ds_write_b32 v182, v38 offset:544
.LBB1326_736:                           ;   in Loop: Header=BB1326_686 Depth=2
	s_or_b32 exec_lo, exec_lo, s22
	v_cmp_gt_i32_e32 vcc_lo, 0, v178
	; wave barrier
	v_cndmask_b32_e64 v38, 0x7fffffff, 0, vcc_lo
	v_xor_b32_e32 v178, v38, v178
	v_cmp_ne_u32_e32 vcc_lo, 0x80000000, v178
	v_cndmask_b32_e32 v38, 0x7fffffff, v178, vcc_lo
	v_lshrrev_b32_e32 v38, s53, v38
	v_and_b32_e32 v185, s61, v38
	v_and_b32_e32 v38, 1, v185
	v_lshlrev_b32_e32 v183, 30, v185
	v_lshlrev_b32_e32 v184, 29, v185
	;; [unrolled: 1-line block ×4, first 2 shown]
	v_add_co_u32 v38, s22, v38, -1
	v_cndmask_b32_e64 v186, 0, 1, s22
	v_not_b32_e32 v190, v183
	v_cmp_gt_i32_e64 s22, 0, v183
	v_not_b32_e32 v183, v184
	v_lshlrev_b32_e32 v189, 26, v185
	v_cmp_ne_u32_e32 vcc_lo, 0, v186
	v_ashrrev_i32_e32 v190, 31, v190
	v_lshlrev_b32_e32 v186, 25, v185
	v_ashrrev_i32_e32 v183, 31, v183
	v_xor_b32_e32 v38, vcc_lo, v38
	v_cmp_gt_i32_e32 vcc_lo, 0, v184
	v_not_b32_e32 v184, v187
	v_xor_b32_e32 v190, s22, v190
	v_cmp_gt_i32_e64 s22, 0, v187
	v_and_b32_e32 v38, exec_lo, v38
	v_not_b32_e32 v187, v188
	v_ashrrev_i32_e32 v184, 31, v184
	v_xor_b32_e32 v183, vcc_lo, v183
	v_cmp_gt_i32_e32 vcc_lo, 0, v188
	v_and_b32_e32 v38, v38, v190
	v_not_b32_e32 v188, v189
	v_ashrrev_i32_e32 v187, 31, v187
	v_xor_b32_e32 v184, s22, v184
	v_cmp_gt_i32_e64 s22, 0, v189
	v_and_b32_e32 v38, v38, v183
	v_not_b32_e32 v183, v186
	v_ashrrev_i32_e32 v188, 31, v188
	v_xor_b32_e32 v187, vcc_lo, v187
	v_cmp_gt_i32_e32 vcc_lo, 0, v186
	v_and_b32_e32 v38, v38, v184
	v_ashrrev_i32_e32 v183, 31, v183
	v_xor_b32_e32 v184, s22, v188
	v_mad_u32_u24 v186, v185, 36, v131
	v_mul_u32_u24_e32 v185, 36, v185
	v_and_b32_e32 v38, v38, v187
	v_xor_b32_e32 v187, vcc_lo, v183
	ds_read_b32 v183, v186 offset:544
	v_add_nc_u32_e32 v185, v131, v185
	v_and_b32_e32 v38, v38, v184
	; wave barrier
	v_and_b32_e32 v38, v38, v187
	v_mbcnt_lo_u32_b32 v184, v38, 0
	v_cmp_ne_u32_e64 s22, 0, v38
	v_cmp_eq_u32_e32 vcc_lo, 0, v184
	s_and_b32 s23, s22, vcc_lo
	s_and_saveexec_b32 s22, s23
	s_cbranch_execz .LBB1326_738
; %bb.737:                              ;   in Loop: Header=BB1326_686 Depth=2
	s_waitcnt lgkmcnt(0)
	v_bcnt_u32_b32 v38, v38, v183
	ds_write_b32 v185, v38 offset:544
.LBB1326_738:                           ;   in Loop: Header=BB1326_686 Depth=2
	s_or_b32 exec_lo, exec_lo, s22
	v_cmp_gt_i32_e32 vcc_lo, 0, v181
	; wave barrier
	v_cndmask_b32_e64 v38, 0x7fffffff, 0, vcc_lo
	v_xor_b32_e32 v181, v38, v181
	v_cmp_ne_u32_e32 vcc_lo, 0x80000000, v181
	v_cndmask_b32_e32 v38, 0x7fffffff, v181, vcc_lo
	v_lshrrev_b32_e32 v38, s53, v38
	v_and_b32_e32 v188, s61, v38
	v_and_b32_e32 v38, 1, v188
	v_lshlrev_b32_e32 v186, 30, v188
	v_lshlrev_b32_e32 v187, 29, v188
	;; [unrolled: 1-line block ×4, first 2 shown]
	v_add_co_u32 v38, s22, v38, -1
	v_cndmask_b32_e64 v189, 0, 1, s22
	v_not_b32_e32 v193, v186
	v_cmp_gt_i32_e64 s22, 0, v186
	v_not_b32_e32 v186, v187
	v_lshlrev_b32_e32 v192, 26, v188
	v_cmp_ne_u32_e32 vcc_lo, 0, v189
	v_ashrrev_i32_e32 v193, 31, v193
	v_lshlrev_b32_e32 v189, 25, v188
	v_ashrrev_i32_e32 v186, 31, v186
	v_xor_b32_e32 v38, vcc_lo, v38
	v_cmp_gt_i32_e32 vcc_lo, 0, v187
	v_not_b32_e32 v187, v190
	v_xor_b32_e32 v193, s22, v193
	v_cmp_gt_i32_e64 s22, 0, v190
	v_and_b32_e32 v38, exec_lo, v38
	v_not_b32_e32 v190, v191
	v_ashrrev_i32_e32 v187, 31, v187
	v_xor_b32_e32 v186, vcc_lo, v186
	v_cmp_gt_i32_e32 vcc_lo, 0, v191
	v_and_b32_e32 v38, v38, v193
	v_not_b32_e32 v191, v192
	v_ashrrev_i32_e32 v190, 31, v190
	v_xor_b32_e32 v187, s22, v187
	v_cmp_gt_i32_e64 s22, 0, v192
	v_and_b32_e32 v38, v38, v186
	v_not_b32_e32 v186, v189
	v_ashrrev_i32_e32 v191, 31, v191
	v_xor_b32_e32 v190, vcc_lo, v190
	v_cmp_gt_i32_e32 vcc_lo, 0, v189
	v_and_b32_e32 v38, v38, v187
	v_ashrrev_i32_e32 v186, 31, v186
	v_xor_b32_e32 v187, s22, v191
	v_mad_u32_u24 v189, v188, 36, v131
	v_mul_u32_u24_e32 v188, 36, v188
	v_and_b32_e32 v38, v38, v190
	v_xor_b32_e32 v190, vcc_lo, v186
	ds_read_b32 v186, v189 offset:544
	v_add_nc_u32_e32 v188, v131, v188
	v_and_b32_e32 v38, v38, v187
	; wave barrier
	v_and_b32_e32 v38, v38, v190
	v_mbcnt_lo_u32_b32 v187, v38, 0
	v_cmp_ne_u32_e64 s22, 0, v38
	v_cmp_eq_u32_e32 vcc_lo, 0, v187
	s_and_b32 s23, s22, vcc_lo
	s_and_saveexec_b32 s22, s23
	s_cbranch_execz .LBB1326_740
; %bb.739:                              ;   in Loop: Header=BB1326_686 Depth=2
	s_waitcnt lgkmcnt(0)
	v_bcnt_u32_b32 v38, v38, v186
	ds_write_b32 v188, v38 offset:544
.LBB1326_740:                           ;   in Loop: Header=BB1326_686 Depth=2
	s_or_b32 exec_lo, exec_lo, s22
	v_cmp_gt_i32_e32 vcc_lo, 0, v176
	; wave barrier
	v_cndmask_b32_e64 v38, 0x7fffffff, 0, vcc_lo
	v_xor_b32_e32 v176, v38, v176
	v_cmp_ne_u32_e32 vcc_lo, 0x80000000, v176
	v_cndmask_b32_e32 v38, 0x7fffffff, v176, vcc_lo
	v_lshrrev_b32_e32 v38, s53, v38
	v_and_b32_e32 v191, s61, v38
	v_and_b32_e32 v38, 1, v191
	v_lshlrev_b32_e32 v189, 30, v191
	v_lshlrev_b32_e32 v190, 29, v191
	;; [unrolled: 1-line block ×4, first 2 shown]
	v_add_co_u32 v38, s22, v38, -1
	v_cndmask_b32_e64 v192, 0, 1, s22
	v_not_b32_e32 v196, v189
	v_cmp_gt_i32_e64 s22, 0, v189
	v_not_b32_e32 v189, v190
	v_lshlrev_b32_e32 v195, 26, v191
	v_cmp_ne_u32_e32 vcc_lo, 0, v192
	v_ashrrev_i32_e32 v196, 31, v196
	v_lshlrev_b32_e32 v192, 25, v191
	v_ashrrev_i32_e32 v189, 31, v189
	v_xor_b32_e32 v38, vcc_lo, v38
	v_cmp_gt_i32_e32 vcc_lo, 0, v190
	v_not_b32_e32 v190, v193
	v_xor_b32_e32 v196, s22, v196
	v_cmp_gt_i32_e64 s22, 0, v193
	v_and_b32_e32 v38, exec_lo, v38
	v_not_b32_e32 v193, v194
	v_ashrrev_i32_e32 v190, 31, v190
	v_xor_b32_e32 v189, vcc_lo, v189
	v_cmp_gt_i32_e32 vcc_lo, 0, v194
	v_and_b32_e32 v38, v38, v196
	v_not_b32_e32 v194, v195
	v_ashrrev_i32_e32 v193, 31, v193
	v_xor_b32_e32 v190, s22, v190
	v_cmp_gt_i32_e64 s22, 0, v195
	v_and_b32_e32 v38, v38, v189
	v_not_b32_e32 v189, v192
	v_ashrrev_i32_e32 v194, 31, v194
	v_xor_b32_e32 v193, vcc_lo, v193
	v_cmp_gt_i32_e32 vcc_lo, 0, v192
	v_and_b32_e32 v38, v38, v190
	v_ashrrev_i32_e32 v189, 31, v189
	v_xor_b32_e32 v190, s22, v194
	v_mad_u32_u24 v192, v191, 36, v131
	v_mul_u32_u24_e32 v191, 36, v191
	v_and_b32_e32 v38, v38, v193
	v_xor_b32_e32 v193, vcc_lo, v189
	ds_read_b32 v189, v192 offset:544
	v_add_nc_u32_e32 v191, v131, v191
	v_and_b32_e32 v38, v38, v190
	; wave barrier
	v_and_b32_e32 v38, v38, v193
	v_mbcnt_lo_u32_b32 v190, v38, 0
	v_cmp_ne_u32_e64 s22, 0, v38
	v_cmp_eq_u32_e32 vcc_lo, 0, v190
	s_and_b32 s23, s22, vcc_lo
	s_and_saveexec_b32 s22, s23
	s_cbranch_execz .LBB1326_742
; %bb.741:                              ;   in Loop: Header=BB1326_686 Depth=2
	s_waitcnt lgkmcnt(0)
	v_bcnt_u32_b32 v38, v38, v189
	ds_write_b32 v191, v38 offset:544
.LBB1326_742:                           ;   in Loop: Header=BB1326_686 Depth=2
	s_or_b32 exec_lo, exec_lo, s22
	v_cmp_gt_i32_e32 vcc_lo, 0, v172
	; wave barrier
	v_cndmask_b32_e64 v38, 0x7fffffff, 0, vcc_lo
	v_xor_b32_e32 v172, v38, v172
	v_cmp_ne_u32_e32 vcc_lo, 0x80000000, v172
	v_cndmask_b32_e32 v38, 0x7fffffff, v172, vcc_lo
	v_lshrrev_b32_e32 v38, s53, v38
	v_and_b32_e32 v192, s61, v38
	v_and_b32_e32 v38, 1, v192
	v_lshlrev_b32_e32 v193, 30, v192
	v_lshlrev_b32_e32 v194, 29, v192
	;; [unrolled: 1-line block ×4, first 2 shown]
	v_add_co_u32 v38, s22, v38, -1
	v_cndmask_b32_e64 v195, 0, 1, s22
	v_not_b32_e32 v199, v193
	v_cmp_gt_i32_e64 s22, 0, v193
	v_not_b32_e32 v193, v194
	v_lshlrev_b32_e32 v198, 26, v192
	v_cmp_ne_u32_e32 vcc_lo, 0, v195
	v_ashrrev_i32_e32 v199, 31, v199
	v_lshlrev_b32_e32 v195, 25, v192
	v_ashrrev_i32_e32 v193, 31, v193
	v_xor_b32_e32 v38, vcc_lo, v38
	v_cmp_gt_i32_e32 vcc_lo, 0, v194
	v_not_b32_e32 v194, v196
	v_xor_b32_e32 v199, s22, v199
	v_cmp_gt_i32_e64 s22, 0, v196
	v_and_b32_e32 v38, exec_lo, v38
	v_not_b32_e32 v196, v197
	v_ashrrev_i32_e32 v194, 31, v194
	v_xor_b32_e32 v193, vcc_lo, v193
	v_cmp_gt_i32_e32 vcc_lo, 0, v197
	v_and_b32_e32 v38, v38, v199
	v_not_b32_e32 v197, v198
	v_ashrrev_i32_e32 v196, 31, v196
	v_xor_b32_e32 v194, s22, v194
	v_cmp_gt_i32_e64 s22, 0, v198
	v_and_b32_e32 v38, v38, v193
	v_not_b32_e32 v193, v195
	v_ashrrev_i32_e32 v197, 31, v197
	v_xor_b32_e32 v196, vcc_lo, v196
	v_cmp_gt_i32_e32 vcc_lo, 0, v195
	v_and_b32_e32 v38, v38, v194
	v_ashrrev_i32_e32 v193, 31, v193
	v_xor_b32_e32 v194, s22, v197
	v_mad_u32_u24 v195, v192, 36, v131
	v_mul_u32_u24_e32 v192, 36, v192
	v_and_b32_e32 v38, v38, v196
	v_xor_b32_e32 v196, vcc_lo, v193
	ds_read_b32 v193, v195 offset:544
	v_add_nc_u32_e32 v195, v131, v192
	v_and_b32_e32 v38, v38, v194
	; wave barrier
	v_and_b32_e32 v38, v38, v196
	v_mbcnt_lo_u32_b32 v194, v38, 0
	v_cmp_ne_u32_e64 s22, 0, v38
	v_cmp_eq_u32_e32 vcc_lo, 0, v194
	s_and_b32 s23, s22, vcc_lo
	s_and_saveexec_b32 s22, s23
	s_cbranch_execz .LBB1326_744
; %bb.743:                              ;   in Loop: Header=BB1326_686 Depth=2
	s_waitcnt lgkmcnt(0)
	v_bcnt_u32_b32 v38, v38, v193
	ds_write_b32 v195, v38 offset:544
.LBB1326_744:                           ;   in Loop: Header=BB1326_686 Depth=2
	s_or_b32 exec_lo, exec_lo, s22
	v_cmp_gt_i32_e32 vcc_lo, 0, v167
	; wave barrier
	v_cndmask_b32_e64 v38, 0x7fffffff, 0, vcc_lo
	v_xor_b32_e32 v192, v38, v167
	v_cmp_ne_u32_e32 vcc_lo, 0x80000000, v192
	v_cndmask_b32_e32 v38, 0x7fffffff, v192, vcc_lo
	v_lshrrev_b32_e32 v38, s53, v38
	v_and_b32_e32 v167, s61, v38
	v_and_b32_e32 v38, 1, v167
	v_lshlrev_b32_e32 v196, 30, v167
	v_lshlrev_b32_e32 v197, 29, v167
	;; [unrolled: 1-line block ×4, first 2 shown]
	v_add_co_u32 v38, s22, v38, -1
	v_cndmask_b32_e64 v198, 0, 1, s22
	v_not_b32_e32 v202, v196
	v_cmp_gt_i32_e64 s22, 0, v196
	v_not_b32_e32 v196, v197
	v_lshlrev_b32_e32 v201, 26, v167
	v_cmp_ne_u32_e32 vcc_lo, 0, v198
	v_ashrrev_i32_e32 v202, 31, v202
	v_lshlrev_b32_e32 v198, 25, v167
	v_ashrrev_i32_e32 v196, 31, v196
	v_xor_b32_e32 v38, vcc_lo, v38
	v_cmp_gt_i32_e32 vcc_lo, 0, v197
	v_not_b32_e32 v197, v199
	v_xor_b32_e32 v202, s22, v202
	v_cmp_gt_i32_e64 s22, 0, v199
	v_and_b32_e32 v38, exec_lo, v38
	v_not_b32_e32 v199, v200
	v_ashrrev_i32_e32 v197, 31, v197
	v_xor_b32_e32 v196, vcc_lo, v196
	v_cmp_gt_i32_e32 vcc_lo, 0, v200
	v_and_b32_e32 v38, v38, v202
	v_not_b32_e32 v200, v201
	v_ashrrev_i32_e32 v199, 31, v199
	v_xor_b32_e32 v197, s22, v197
	v_cmp_gt_i32_e64 s22, 0, v201
	v_and_b32_e32 v38, v38, v196
	v_not_b32_e32 v196, v198
	v_ashrrev_i32_e32 v200, 31, v200
	v_xor_b32_e32 v199, vcc_lo, v199
	v_cmp_gt_i32_e32 vcc_lo, 0, v198
	v_and_b32_e32 v38, v38, v197
	v_ashrrev_i32_e32 v196, 31, v196
	v_xor_b32_e32 v197, s22, v200
	v_mad_u32_u24 v198, v167, 36, v131
	v_mul_u32_u24_e32 v167, 36, v167
	v_and_b32_e32 v38, v38, v199
	v_xor_b32_e32 v196, vcc_lo, v196
	v_add_nc_u32_e32 v167, v131, v167
	v_and_b32_e32 v38, v38, v197
	ds_read_b32 v197, v198 offset:544
	; wave barrier
	v_and_b32_e32 v38, v38, v196
	v_mbcnt_lo_u32_b32 v198, v38, 0
	v_cmp_ne_u32_e64 s22, 0, v38
	v_cmp_eq_u32_e32 vcc_lo, 0, v198
	s_and_b32 s23, s22, vcc_lo
	s_and_saveexec_b32 s22, s23
	s_cbranch_execz .LBB1326_746
; %bb.745:                              ;   in Loop: Header=BB1326_686 Depth=2
	s_waitcnt lgkmcnt(0)
	v_bcnt_u32_b32 v38, v38, v197
	ds_write_b32 v167, v38 offset:544
.LBB1326_746:                           ;   in Loop: Header=BB1326_686 Depth=2
	s_or_b32 exec_lo, exec_lo, s22
	v_cmp_gt_i32_e32 vcc_lo, 0, v164
	; wave barrier
	v_cndmask_b32_e64 v38, 0x7fffffff, 0, vcc_lo
	v_xor_b32_e32 v196, v38, v164
	v_cmp_ne_u32_e32 vcc_lo, 0x80000000, v196
	v_cndmask_b32_e32 v38, 0x7fffffff, v196, vcc_lo
	v_lshrrev_b32_e32 v38, s53, v38
	v_and_b32_e32 v164, s61, v38
	v_and_b32_e32 v38, 1, v164
	v_lshlrev_b32_e32 v199, 30, v164
	v_lshlrev_b32_e32 v200, 29, v164
	;; [unrolled: 1-line block ×4, first 2 shown]
	v_add_co_u32 v38, s22, v38, -1
	v_cndmask_b32_e64 v201, 0, 1, s22
	v_not_b32_e32 v205, v199
	v_cmp_gt_i32_e64 s22, 0, v199
	v_not_b32_e32 v199, v200
	v_lshlrev_b32_e32 v204, 26, v164
	v_cmp_ne_u32_e32 vcc_lo, 0, v201
	v_ashrrev_i32_e32 v205, 31, v205
	v_lshlrev_b32_e32 v201, 25, v164
	v_ashrrev_i32_e32 v199, 31, v199
	v_xor_b32_e32 v38, vcc_lo, v38
	v_cmp_gt_i32_e32 vcc_lo, 0, v200
	v_not_b32_e32 v200, v202
	v_xor_b32_e32 v205, s22, v205
	v_cmp_gt_i32_e64 s22, 0, v202
	v_and_b32_e32 v38, exec_lo, v38
	v_not_b32_e32 v202, v203
	v_ashrrev_i32_e32 v200, 31, v200
	v_xor_b32_e32 v199, vcc_lo, v199
	v_cmp_gt_i32_e32 vcc_lo, 0, v203
	v_and_b32_e32 v38, v38, v205
	v_not_b32_e32 v203, v204
	v_ashrrev_i32_e32 v202, 31, v202
	v_xor_b32_e32 v200, s22, v200
	v_cmp_gt_i32_e64 s22, 0, v204
	v_and_b32_e32 v38, v38, v199
	v_not_b32_e32 v199, v201
	v_ashrrev_i32_e32 v203, 31, v203
	v_xor_b32_e32 v202, vcc_lo, v202
	v_cmp_gt_i32_e32 vcc_lo, 0, v201
	v_and_b32_e32 v38, v38, v200
	v_ashrrev_i32_e32 v199, 31, v199
	v_xor_b32_e32 v200, s22, v203
	v_mad_u32_u24 v201, v164, 36, v131
	v_mul_u32_u24_e32 v164, 36, v164
	v_and_b32_e32 v38, v38, v202
	v_xor_b32_e32 v199, vcc_lo, v199
	v_add_nc_u32_e32 v164, v131, v164
	v_and_b32_e32 v38, v38, v200
	ds_read_b32 v200, v201 offset:544
	; wave barrier
	v_and_b32_e32 v38, v38, v199
	v_mbcnt_lo_u32_b32 v201, v38, 0
	v_cmp_ne_u32_e64 s22, 0, v38
	v_cmp_eq_u32_e32 vcc_lo, 0, v201
	s_and_b32 s23, s22, vcc_lo
	s_and_saveexec_b32 s22, s23
	s_cbranch_execz .LBB1326_748
; %bb.747:                              ;   in Loop: Header=BB1326_686 Depth=2
	s_waitcnt lgkmcnt(0)
	v_bcnt_u32_b32 v38, v38, v200
	ds_write_b32 v164, v38 offset:544
.LBB1326_748:                           ;   in Loop: Header=BB1326_686 Depth=2
	s_or_b32 exec_lo, exec_lo, s22
	v_cmp_gt_i32_e32 vcc_lo, 0, v40
	; wave barrier
	v_cndmask_b32_e64 v38, 0x7fffffff, 0, vcc_lo
	v_xor_b32_e32 v199, v38, v40
	v_cmp_ne_u32_e32 vcc_lo, 0x80000000, v199
	v_cndmask_b32_e32 v38, 0x7fffffff, v199, vcc_lo
	v_lshrrev_b32_e32 v38, s53, v38
	v_and_b32_e32 v40, s61, v38
	v_and_b32_e32 v38, 1, v40
	v_lshlrev_b32_e32 v202, 30, v40
	v_lshlrev_b32_e32 v203, 29, v40
	v_lshlrev_b32_e32 v205, 28, v40
	v_lshlrev_b32_e32 v206, 27, v40
	v_add_co_u32 v38, s22, v38, -1
	v_cndmask_b32_e64 v204, 0, 1, s22
	v_not_b32_e32 v208, v202
	v_cmp_gt_i32_e64 s22, 0, v202
	v_not_b32_e32 v202, v203
	v_lshlrev_b32_e32 v207, 26, v40
	v_cmp_ne_u32_e32 vcc_lo, 0, v204
	v_ashrrev_i32_e32 v208, 31, v208
	v_lshlrev_b32_e32 v204, 25, v40
	v_ashrrev_i32_e32 v202, 31, v202
	v_xor_b32_e32 v38, vcc_lo, v38
	v_cmp_gt_i32_e32 vcc_lo, 0, v203
	v_not_b32_e32 v203, v205
	v_xor_b32_e32 v208, s22, v208
	v_cmp_gt_i32_e64 s22, 0, v205
	v_and_b32_e32 v38, exec_lo, v38
	v_not_b32_e32 v205, v206
	v_ashrrev_i32_e32 v203, 31, v203
	v_xor_b32_e32 v202, vcc_lo, v202
	v_cmp_gt_i32_e32 vcc_lo, 0, v206
	v_and_b32_e32 v38, v38, v208
	v_not_b32_e32 v206, v207
	v_ashrrev_i32_e32 v205, 31, v205
	v_xor_b32_e32 v203, s22, v203
	v_cmp_gt_i32_e64 s22, 0, v207
	v_and_b32_e32 v38, v38, v202
	v_not_b32_e32 v202, v204
	v_ashrrev_i32_e32 v206, 31, v206
	v_xor_b32_e32 v205, vcc_lo, v205
	v_cmp_gt_i32_e32 vcc_lo, 0, v204
	v_and_b32_e32 v38, v38, v203
	v_ashrrev_i32_e32 v202, 31, v202
	v_xor_b32_e32 v203, s22, v206
	v_mad_u32_u24 v204, v40, 36, v131
	v_mul_u32_u24_e32 v40, 36, v40
	v_and_b32_e32 v38, v38, v205
	v_xor_b32_e32 v202, vcc_lo, v202
	v_add_nc_u32_e32 v205, v131, v40
	v_and_b32_e32 v38, v38, v203
	ds_read_b32 v203, v204 offset:544
	; wave barrier
	v_and_b32_e32 v38, v38, v202
	v_mbcnt_lo_u32_b32 v204, v38, 0
	v_cmp_ne_u32_e64 s22, 0, v38
	v_cmp_eq_u32_e32 vcc_lo, 0, v204
	s_and_b32 s23, s22, vcc_lo
	s_and_saveexec_b32 s22, s23
	s_cbranch_execz .LBB1326_750
; %bb.749:                              ;   in Loop: Header=BB1326_686 Depth=2
	s_waitcnt lgkmcnt(0)
	v_bcnt_u32_b32 v38, v38, v203
	ds_write_b32 v205, v38 offset:544
.LBB1326_750:                           ;   in Loop: Header=BB1326_686 Depth=2
	s_or_b32 exec_lo, exec_lo, s22
	v_cmp_gt_i32_e32 vcc_lo, 0, v39
	; wave barrier
	v_cndmask_b32_e64 v38, 0x7fffffff, 0, vcc_lo
	v_xor_b32_e32 v202, v38, v39
	v_cmp_ne_u32_e32 vcc_lo, 0x80000000, v202
	v_cndmask_b32_e32 v38, 0x7fffffff, v202, vcc_lo
	v_lshrrev_b32_e32 v38, s53, v38
	v_and_b32_e32 v39, s61, v38
	v_and_b32_e32 v38, 1, v39
	v_lshlrev_b32_e32 v40, 30, v39
	v_lshlrev_b32_e32 v206, 29, v39
	;; [unrolled: 1-line block ×4, first 2 shown]
	v_add_co_u32 v38, s22, v38, -1
	v_cndmask_b32_e64 v207, 0, 1, s22
	v_not_b32_e32 v211, v40
	v_cmp_gt_i32_e64 s22, 0, v40
	v_not_b32_e32 v40, v206
	v_lshlrev_b32_e32 v210, 26, v39
	v_cmp_ne_u32_e32 vcc_lo, 0, v207
	v_ashrrev_i32_e32 v211, 31, v211
	v_lshlrev_b32_e32 v207, 25, v39
	v_ashrrev_i32_e32 v40, 31, v40
	v_xor_b32_e32 v38, vcc_lo, v38
	v_cmp_gt_i32_e32 vcc_lo, 0, v206
	v_not_b32_e32 v206, v208
	v_xor_b32_e32 v211, s22, v211
	v_cmp_gt_i32_e64 s22, 0, v208
	v_and_b32_e32 v38, exec_lo, v38
	v_not_b32_e32 v208, v209
	v_ashrrev_i32_e32 v206, 31, v206
	v_xor_b32_e32 v40, vcc_lo, v40
	v_cmp_gt_i32_e32 vcc_lo, 0, v209
	v_and_b32_e32 v38, v38, v211
	v_not_b32_e32 v209, v210
	v_ashrrev_i32_e32 v208, 31, v208
	v_xor_b32_e32 v206, s22, v206
	v_cmp_gt_i32_e64 s22, 0, v210
	v_and_b32_e32 v38, v38, v40
	v_not_b32_e32 v40, v207
	v_ashrrev_i32_e32 v209, 31, v209
	v_xor_b32_e32 v208, vcc_lo, v208
	v_cmp_gt_i32_e32 vcc_lo, 0, v207
	v_and_b32_e32 v38, v38, v206
	v_ashrrev_i32_e32 v40, 31, v40
	v_xor_b32_e32 v206, s22, v209
	v_mad_u32_u24 v207, v39, 36, v131
	v_mul_u32_u24_e32 v39, 36, v39
	v_and_b32_e32 v38, v38, v208
	v_xor_b32_e32 v40, vcc_lo, v40
	ds_read_b32 v207, v207 offset:544
	v_add_nc_u32_e32 v209, v131, v39
	v_and_b32_e32 v38, v38, v206
	; wave barrier
	v_and_b32_e32 v38, v38, v40
	v_mbcnt_lo_u32_b32 v208, v38, 0
	v_cmp_ne_u32_e64 s22, 0, v38
	v_cmp_eq_u32_e32 vcc_lo, 0, v208
	s_and_b32 s23, s22, vcc_lo
	s_and_saveexec_b32 s22, s23
	s_cbranch_execz .LBB1326_752
; %bb.751:                              ;   in Loop: Header=BB1326_686 Depth=2
	s_waitcnt lgkmcnt(0)
	v_bcnt_u32_b32 v38, v38, v207
	ds_write_b32 v209, v38 offset:544
.LBB1326_752:                           ;   in Loop: Header=BB1326_686 Depth=2
	s_or_b32 exec_lo, exec_lo, s22
	v_cmp_gt_i32_e32 vcc_lo, 0, v37
	; wave barrier
	v_cndmask_b32_e64 v38, 0x7fffffff, 0, vcc_lo
	v_xor_b32_e32 v206, v38, v37
	v_cmp_ne_u32_e32 vcc_lo, 0x80000000, v206
	v_cndmask_b32_e32 v37, 0x7fffffff, v206, vcc_lo
	v_lshrrev_b32_e32 v37, s53, v37
	v_and_b32_e32 v38, s61, v37
	v_and_b32_e32 v37, 1, v38
	v_lshlrev_b32_e32 v39, 30, v38
	v_lshlrev_b32_e32 v40, 29, v38
	;; [unrolled: 1-line block ×4, first 2 shown]
	v_add_co_u32 v37, s22, v37, -1
	v_cndmask_b32_e64 v210, 0, 1, s22
	v_not_b32_e32 v214, v39
	v_cmp_gt_i32_e64 s22, 0, v39
	v_not_b32_e32 v39, v40
	v_lshlrev_b32_e32 v213, 26, v38
	v_cmp_ne_u32_e32 vcc_lo, 0, v210
	v_ashrrev_i32_e32 v214, 31, v214
	v_lshlrev_b32_e32 v210, 25, v38
	v_ashrrev_i32_e32 v39, 31, v39
	v_xor_b32_e32 v37, vcc_lo, v37
	v_cmp_gt_i32_e32 vcc_lo, 0, v40
	v_not_b32_e32 v40, v211
	v_xor_b32_e32 v214, s22, v214
	v_cmp_gt_i32_e64 s22, 0, v211
	v_and_b32_e32 v37, exec_lo, v37
	v_not_b32_e32 v211, v212
	v_ashrrev_i32_e32 v40, 31, v40
	v_xor_b32_e32 v39, vcc_lo, v39
	v_cmp_gt_i32_e32 vcc_lo, 0, v212
	v_and_b32_e32 v37, v37, v214
	v_not_b32_e32 v212, v213
	v_ashrrev_i32_e32 v211, 31, v211
	v_xor_b32_e32 v40, s22, v40
	v_cmp_gt_i32_e64 s22, 0, v213
	v_and_b32_e32 v37, v37, v39
	v_not_b32_e32 v39, v210
	v_ashrrev_i32_e32 v212, 31, v212
	v_xor_b32_e32 v211, vcc_lo, v211
	v_cmp_gt_i32_e32 vcc_lo, 0, v210
	v_and_b32_e32 v37, v37, v40
	v_ashrrev_i32_e32 v39, 31, v39
	v_xor_b32_e32 v40, s22, v212
	v_mad_u32_u24 v210, v38, 36, v131
	v_mul_u32_u24_e32 v38, 36, v38
	v_and_b32_e32 v37, v37, v211
	v_xor_b32_e32 v39, vcc_lo, v39
	ds_read_b32 v210, v210 offset:544
	v_add_nc_u32_e32 v212, v131, v38
	v_and_b32_e32 v37, v37, v40
	; wave barrier
	v_and_b32_e32 v37, v37, v39
	v_mbcnt_lo_u32_b32 v211, v37, 0
	v_cmp_ne_u32_e64 s22, 0, v37
	v_cmp_eq_u32_e32 vcc_lo, 0, v211
	s_and_b32 s23, s22, vcc_lo
	s_and_saveexec_b32 s22, s23
	s_cbranch_execz .LBB1326_754
; %bb.753:                              ;   in Loop: Header=BB1326_686 Depth=2
	s_waitcnt lgkmcnt(0)
	v_bcnt_u32_b32 v37, v37, v210
	ds_write_b32 v212, v37 offset:544
.LBB1326_754:                           ;   in Loop: Header=BB1326_686 Depth=2
	s_or_b32 exec_lo, exec_lo, s22
	; wave barrier
	s_waitcnt lgkmcnt(0)
	s_barrier
	buffer_gl0_inv
	ds_read2_b32 v[39:40], v65 offset0:136 offset1:137
	ds_read2_b32 v[37:38], v65 offset0:138 offset1:139
	ds_read_b32 v213, v65 offset:560
	s_waitcnt lgkmcnt(1)
	v_add3_u32 v214, v40, v39, v37
	s_waitcnt lgkmcnt(0)
	v_add3_u32 v213, v214, v38, v213
	v_mov_b32_dpp v214, v213 row_shr:1 row_mask:0xf bank_mask:0xf
	v_cndmask_b32_e64 v214, v214, 0, s5
	v_add_nc_u32_e32 v213, v214, v213
	v_mov_b32_dpp v214, v213 row_shr:2 row_mask:0xf bank_mask:0xf
	v_cndmask_b32_e64 v214, 0, v214, s15
	v_add_nc_u32_e32 v213, v213, v214
	v_mov_b32_dpp v214, v213 row_shr:4 row_mask:0xf bank_mask:0xf
	v_cndmask_b32_e64 v214, 0, v214, s16
	v_add_nc_u32_e32 v213, v213, v214
	v_mov_b32_dpp v214, v213 row_shr:8 row_mask:0xf bank_mask:0xf
	v_cndmask_b32_e64 v214, 0, v214, s17
	v_add_nc_u32_e32 v213, v213, v214
	ds_swizzle_b32 v214, v213 offset:swizzle(BROADCAST,32,15)
	s_waitcnt lgkmcnt(0)
	v_cndmask_b32_e64 v214, v214, 0, s18
	v_add_nc_u32_e32 v213, v213, v214
	s_and_saveexec_b32 s22, s4
; %bb.755:                              ;   in Loop: Header=BB1326_686 Depth=2
	ds_write_b32 v60, v213 offset:512
; %bb.756:                              ;   in Loop: Header=BB1326_686 Depth=2
	s_or_b32 exec_lo, exec_lo, s22
	s_waitcnt lgkmcnt(0)
	s_barrier
	buffer_gl0_inv
	s_and_saveexec_b32 s22, s11
	s_cbranch_execz .LBB1326_758
; %bb.757:                              ;   in Loop: Header=BB1326_686 Depth=2
	ds_read_b32 v214, v66 offset:512
	s_waitcnt lgkmcnt(0)
	v_mov_b32_dpp v215, v214 row_shr:1 row_mask:0xf bank_mask:0xf
	v_cndmask_b32_e64 v215, v215, 0, s19
	v_add_nc_u32_e32 v214, v215, v214
	v_mov_b32_dpp v215, v214 row_shr:2 row_mask:0xf bank_mask:0xf
	v_cndmask_b32_e64 v215, 0, v215, s20
	v_add_nc_u32_e32 v214, v214, v215
	;; [unrolled: 3-line block ×3, first 2 shown]
	ds_write_b32 v66, v214 offset:512
.LBB1326_758:                           ;   in Loop: Header=BB1326_686 Depth=2
	s_or_b32 exec_lo, exec_lo, s22
	v_mov_b32_e32 v214, 0
	s_waitcnt lgkmcnt(0)
	s_barrier
	buffer_gl0_inv
	s_and_saveexec_b32 s22, s10
; %bb.759:                              ;   in Loop: Header=BB1326_686 Depth=2
	ds_read_b32 v214, v60 offset:508
; %bb.760:                              ;   in Loop: Header=BB1326_686 Depth=2
	s_or_b32 exec_lo, exec_lo, s22
	s_waitcnt lgkmcnt(0)
	v_add_nc_u32_e32 v213, v214, v213
	ds_bpermute_b32 v213, v126, v213
	s_waitcnt lgkmcnt(0)
	v_cndmask_b32_e64 v213, v213, v214, s14
	v_cndmask_b32_e64 v213, v213, 0, s12
	v_add_nc_u32_e32 v39, v213, v39
	v_add_nc_u32_e32 v40, v39, v40
	;; [unrolled: 1-line block ×4, first 2 shown]
	ds_write2_b32 v65, v213, v39 offset0:136 offset1:137
	ds_write2_b32 v65, v40, v37 offset0:138 offset1:139
	ds_write_b32 v65, v38 offset:560
	s_waitcnt lgkmcnt(0)
	s_barrier
	buffer_gl0_inv
	ds_read_b32 v39, v153 offset:544
	ds_read_b32 v40, v157 offset:544
	;; [unrolled: 1-line block ×16, first 2 shown]
	s_and_saveexec_b32 s22, s7
	s_cbranch_execz .LBB1326_764
; %bb.761:                              ;   in Loop: Header=BB1326_686 Depth=2
	ds_read_b32 v144, v68 offset:544
	v_mov_b32_e32 v149, 0x1000
	s_and_saveexec_b32 s23, s13
; %bb.762:                              ;   in Loop: Header=BB1326_686 Depth=2
	ds_read_b32 v149, v67 offset:544
; %bb.763:                              ;   in Loop: Header=BB1326_686 Depth=2
	s_or_b32 exec_lo, exec_lo, s23
	s_waitcnt lgkmcnt(0)
	v_sub_nc_u32_e32 v149, v149, v144
.LBB1326_764:                           ;   in Loop: Header=BB1326_686 Depth=2
	s_or_b32 exec_lo, exec_lo, s22
	s_waitcnt lgkmcnt(0)
	s_barrier
	buffer_gl0_inv
	s_and_saveexec_b32 s22, s7
	s_cbranch_execz .LBB1326_766
; %bb.765:                              ;   in Loop: Header=BB1326_686 Depth=2
	ds_read_b32 v164, v41
	s_waitcnt lgkmcnt(0)
	v_sub_nc_u32_e32 v164, v164, v144
	ds_write_b32 v41, v164
.LBB1326_766:                           ;   in Loop: Header=BB1326_686 Depth=2
	s_or_b32 exec_lo, exec_lo, s22
	v_add_nc_u32_e32 v171, v39, v152
	v_add3_u32 v167, v156, v155, v40
	v_add3_u32 v166, v160, v159, v153
	;; [unrolled: 1-line block ×5, first 2 shown]
	v_lshlrev_b32_e32 v169, 2, v171
	v_add3_u32 v155, v204, v203, v37
	v_lshlrev_b32_e32 v37, 2, v167
	v_add3_u32 v161, v180, v179, v182
	v_add3_u32 v160, v184, v183, v185
	ds_write_b32 v169, v3 offset:512
	v_lshlrev_b32_e32 v3, 2, v166
	ds_write_b32 v37, v151 offset:512
	v_lshlrev_b32_e32 v37, 2, v163
	v_add3_u32 v159, v187, v186, v188
	v_add3_u32 v153, v208, v207, v38
	v_lshlrev_b32_e32 v38, 2, v165
	v_add3_u32 v157, v190, v189, v191
	v_lshlrev_b32_e32 v169, 2, v164
	v_add3_u32 v156, v194, v193, v195
	v_add3_u32 v40, v198, v197, v214
	ds_write_b32 v3, v154 offset:512
	ds_write_b32 v38, v158 offset:512
	;; [unrolled: 1-line block ×3, first 2 shown]
	v_lshlrev_b32_e32 v3, 2, v161
	ds_write_b32 v37, v168 offset:512
	v_lshlrev_b32_e32 v37, 2, v160
	v_lshlrev_b32_e32 v38, 2, v159
	;; [unrolled: 1-line block ×3, first 2 shown]
	v_add3_u32 v39, v201, v200, v215
	v_add3_u32 v152, v211, v210, v177
	ds_write_b32 v3, v173 offset:512
	v_lshlrev_b32_e32 v3, 2, v156
	ds_write_b32 v37, v178 offset:512
	ds_write_b32 v38, v181 offset:512
	ds_write_b32 v151, v176 offset:512
	v_lshlrev_b32_e32 v37, 2, v40
	v_cmp_lt_u32_e32 vcc_lo, v0, v150
	v_lshlrev_b32_e32 v38, 2, v155
	ds_write_b32 v3, v172 offset:512
	v_lshlrev_b32_e32 v3, 2, v39
	ds_write_b32 v37, v192 offset:512
	v_lshlrev_b32_e32 v37, 2, v152
	v_lshlrev_b32_e32 v151, 2, v153
	ds_write_b32 v3, v196 offset:512
	ds_write_b32 v38, v199 offset:512
	;; [unrolled: 1-line block ×4, first 2 shown]
	s_waitcnt lgkmcnt(0)
	s_barrier
	buffer_gl0_inv
	s_and_saveexec_b32 s23, vcc_lo
	s_cbranch_execnz .LBB1326_835
; %bb.767:                              ;   in Loop: Header=BB1326_686 Depth=2
	s_or_b32 exec_lo, exec_lo, s23
	v_cmp_lt_u32_e64 s22, v42, v150
	s_and_saveexec_b32 s24, s22
	s_cbranch_execnz .LBB1326_836
.LBB1326_768:                           ;   in Loop: Header=BB1326_686 Depth=2
	s_or_b32 exec_lo, exec_lo, s24
	v_cmp_lt_u32_e64 s23, v45, v150
	s_and_saveexec_b32 s25, s23
	s_cbranch_execnz .LBB1326_837
.LBB1326_769:                           ;   in Loop: Header=BB1326_686 Depth=2
	s_or_b32 exec_lo, exec_lo, s25
	v_cmp_lt_u32_e64 s24, v46, v150
	s_and_saveexec_b32 s26, s24
	s_cbranch_execnz .LBB1326_838
.LBB1326_770:                           ;   in Loop: Header=BB1326_686 Depth=2
	s_or_b32 exec_lo, exec_lo, s26
	v_cmp_lt_u32_e64 s25, v47, v150
	s_and_saveexec_b32 s28, s25
	s_cbranch_execnz .LBB1326_839
.LBB1326_771:                           ;   in Loop: Header=BB1326_686 Depth=2
	s_or_b32 exec_lo, exec_lo, s28
	v_cmp_lt_u32_e64 s26, v48, v150
	s_and_saveexec_b32 s29, s26
	s_cbranch_execnz .LBB1326_840
.LBB1326_772:                           ;   in Loop: Header=BB1326_686 Depth=2
	s_or_b32 exec_lo, exec_lo, s29
	v_cmp_lt_u32_e64 s28, v49, v150
	s_and_saveexec_b32 s30, s28
	s_cbranch_execnz .LBB1326_841
.LBB1326_773:                           ;   in Loop: Header=BB1326_686 Depth=2
	s_or_b32 exec_lo, exec_lo, s30
	v_cmp_lt_u32_e64 s29, v50, v150
	s_and_saveexec_b32 s31, s29
	s_cbranch_execnz .LBB1326_842
.LBB1326_774:                           ;   in Loop: Header=BB1326_686 Depth=2
	s_or_b32 exec_lo, exec_lo, s31
	v_cmp_lt_u32_e64 s30, v51, v150
	s_and_saveexec_b32 s33, s30
	s_cbranch_execnz .LBB1326_843
.LBB1326_775:                           ;   in Loop: Header=BB1326_686 Depth=2
	s_or_b32 exec_lo, exec_lo, s33
	v_cmp_lt_u32_e64 s31, v52, v150
	s_and_saveexec_b32 s34, s31
	s_cbranch_execnz .LBB1326_844
.LBB1326_776:                           ;   in Loop: Header=BB1326_686 Depth=2
	s_or_b32 exec_lo, exec_lo, s34
	v_cmp_lt_u32_e64 s33, v53, v150
	s_and_saveexec_b32 s35, s33
	s_cbranch_execnz .LBB1326_845
.LBB1326_777:                           ;   in Loop: Header=BB1326_686 Depth=2
	s_or_b32 exec_lo, exec_lo, s35
	v_cmp_lt_u32_e64 s34, v54, v150
	s_and_saveexec_b32 s36, s34
	s_cbranch_execnz .LBB1326_846
.LBB1326_778:                           ;   in Loop: Header=BB1326_686 Depth=2
	s_or_b32 exec_lo, exec_lo, s36
	v_cmp_lt_u32_e64 s35, v55, v150
	s_and_saveexec_b32 s37, s35
	s_cbranch_execnz .LBB1326_847
.LBB1326_779:                           ;   in Loop: Header=BB1326_686 Depth=2
	s_or_b32 exec_lo, exec_lo, s37
	v_cmp_lt_u32_e64 s36, v56, v150
	s_and_saveexec_b32 s38, s36
	s_cbranch_execnz .LBB1326_848
.LBB1326_780:                           ;   in Loop: Header=BB1326_686 Depth=2
	s_or_b32 exec_lo, exec_lo, s38
	v_cmp_lt_u32_e64 s37, v57, v150
	s_and_saveexec_b32 s39, s37
	s_cbranch_execnz .LBB1326_849
.LBB1326_781:                           ;   in Loop: Header=BB1326_686 Depth=2
	s_or_b32 exec_lo, exec_lo, s39
	v_cmp_lt_u32_e64 s38, v58, v150
	s_and_saveexec_b32 s64, s38
	s_cbranch_execz .LBB1326_783
.LBB1326_782:                           ;   in Loop: Header=BB1326_686 Depth=2
	ds_read_b32 v151, v66 offset:15872
	s_waitcnt lgkmcnt(0)
	v_cmp_ne_u32_e64 s39, 0x80000000, v151
	v_cndmask_b32_e64 v3, 0x7fffffff, v151, s39
	v_cmp_gt_i32_e64 s39, 0, v151
	v_lshrrev_b32_e32 v3, s53, v3
	v_cndmask_b32_e64 v154, 0x7fffffff, 0, s39
	v_and_b32_e32 v3, s61, v3
	v_lshlrev_b32_e32 v3, 2, v3
	ds_read_b32 v3, v3
	s_waitcnt lgkmcnt(0)
	v_add_nc_u32_e32 v3, v3, v58
	v_lshlrev_b64 v[37:38], 2, v[3:4]
	v_xor_b32_e32 v3, v154, v151
	v_add_co_u32 v37, s39, s42, v37
	v_add_co_ci_u32_e64 v38, null, s43, v38, s39
	global_store_dword v[37:38], v3, off
.LBB1326_783:                           ;   in Loop: Header=BB1326_686 Depth=2
	s_or_b32 exec_lo, exec_lo, s64
	s_lshl_b64 s[64:65], s[46:47], 3
	v_add_co_u32 v37, s39, v127, s64
	v_add_co_ci_u32_e64 v38, null, s65, v128, s39
	v_cmp_lt_u32_e64 s39, v105, v150
	s_and_saveexec_b32 s46, s39
	s_xor_b32 s39, exec_lo, s46
	s_cbranch_execnz .LBB1326_850
; %bb.784:                              ;   in Loop: Header=BB1326_686 Depth=2
	s_or_b32 exec_lo, exec_lo, s39
	s_mov_b32 s46, exec_lo
	v_cmpx_lt_u32_e64 v108, v150
	s_cbranch_execnz .LBB1326_851
.LBB1326_785:                           ;   in Loop: Header=BB1326_686 Depth=2
	s_or_b32 exec_lo, exec_lo, s46
	s_mov_b32 s46, exec_lo
	v_cmpx_lt_u32_e64 v109, v150
	s_cbranch_execnz .LBB1326_852
.LBB1326_786:                           ;   in Loop: Header=BB1326_686 Depth=2
	s_or_b32 exec_lo, exec_lo, s46
	s_mov_b32 s46, exec_lo
	v_cmpx_lt_u32_e64 v110, v150
	s_cbranch_execnz .LBB1326_853
.LBB1326_787:                           ;   in Loop: Header=BB1326_686 Depth=2
	s_or_b32 exec_lo, exec_lo, s46
	s_mov_b32 s46, exec_lo
	v_cmpx_lt_u32_e64 v111, v150
	s_cbranch_execnz .LBB1326_854
.LBB1326_788:                           ;   in Loop: Header=BB1326_686 Depth=2
	s_or_b32 exec_lo, exec_lo, s46
	s_mov_b32 s46, exec_lo
	v_cmpx_lt_u32_e64 v112, v150
	s_cbranch_execnz .LBB1326_855
.LBB1326_789:                           ;   in Loop: Header=BB1326_686 Depth=2
	s_or_b32 exec_lo, exec_lo, s46
	s_mov_b32 s46, exec_lo
	v_cmpx_lt_u32_e64 v113, v150
	s_cbranch_execnz .LBB1326_856
.LBB1326_790:                           ;   in Loop: Header=BB1326_686 Depth=2
	s_or_b32 exec_lo, exec_lo, s46
	s_mov_b32 s46, exec_lo
	v_cmpx_lt_u32_e64 v114, v150
	s_cbranch_execnz .LBB1326_857
.LBB1326_791:                           ;   in Loop: Header=BB1326_686 Depth=2
	s_or_b32 exec_lo, exec_lo, s46
	s_mov_b32 s46, exec_lo
	v_cmpx_lt_u32_e64 v115, v150
	s_cbranch_execnz .LBB1326_858
.LBB1326_792:                           ;   in Loop: Header=BB1326_686 Depth=2
	s_or_b32 exec_lo, exec_lo, s46
	s_mov_b32 s46, exec_lo
	v_cmpx_lt_u32_e64 v116, v150
	s_cbranch_execnz .LBB1326_859
.LBB1326_793:                           ;   in Loop: Header=BB1326_686 Depth=2
	s_or_b32 exec_lo, exec_lo, s46
	s_mov_b32 s46, exec_lo
	v_cmpx_lt_u32_e64 v117, v150
	s_cbranch_execnz .LBB1326_860
.LBB1326_794:                           ;   in Loop: Header=BB1326_686 Depth=2
	s_or_b32 exec_lo, exec_lo, s46
	s_mov_b32 s46, exec_lo
	v_cmpx_lt_u32_e64 v118, v150
	s_cbranch_execnz .LBB1326_861
.LBB1326_795:                           ;   in Loop: Header=BB1326_686 Depth=2
	s_or_b32 exec_lo, exec_lo, s46
	s_mov_b32 s46, exec_lo
	v_cmpx_lt_u32_e64 v119, v150
	s_cbranch_execnz .LBB1326_862
.LBB1326_796:                           ;   in Loop: Header=BB1326_686 Depth=2
	s_or_b32 exec_lo, exec_lo, s46
	s_mov_b32 s46, exec_lo
	v_cmpx_lt_u32_e64 v121, v150
	s_cbranch_execnz .LBB1326_863
.LBB1326_797:                           ;   in Loop: Header=BB1326_686 Depth=2
	s_or_b32 exec_lo, exec_lo, s46
	s_mov_b32 s46, exec_lo
	v_cmpx_lt_u32_e64 v122, v150
	s_cbranch_execnz .LBB1326_864
.LBB1326_798:                           ;   in Loop: Header=BB1326_686 Depth=2
	s_or_b32 exec_lo, exec_lo, s46
	s_mov_b32 s46, exec_lo
	v_cmpx_lt_u32_e64 v123, v150
	s_cbranch_execnz .LBB1326_865
.LBB1326_799:                           ;   in Loop: Header=BB1326_686 Depth=2
	s_or_b32 exec_lo, exec_lo, s46
	s_and_saveexec_b32 s46, vcc_lo
	s_cbranch_execnz .LBB1326_866
.LBB1326_800:                           ;   in Loop: Header=BB1326_686 Depth=2
	s_or_b32 exec_lo, exec_lo, s46
	s_and_saveexec_b32 s46, s22
	s_cbranch_execnz .LBB1326_867
.LBB1326_801:                           ;   in Loop: Header=BB1326_686 Depth=2
	s_or_b32 exec_lo, exec_lo, s46
	s_and_saveexec_b32 s46, s23
	s_cbranch_execnz .LBB1326_868
.LBB1326_802:                           ;   in Loop: Header=BB1326_686 Depth=2
	s_or_b32 exec_lo, exec_lo, s46
	s_and_saveexec_b32 s46, s24
	s_cbranch_execnz .LBB1326_869
.LBB1326_803:                           ;   in Loop: Header=BB1326_686 Depth=2
	s_or_b32 exec_lo, exec_lo, s46
	s_and_saveexec_b32 s46, s25
	s_cbranch_execnz .LBB1326_870
.LBB1326_804:                           ;   in Loop: Header=BB1326_686 Depth=2
	s_or_b32 exec_lo, exec_lo, s46
	s_and_saveexec_b32 s46, s26
	s_cbranch_execnz .LBB1326_871
.LBB1326_805:                           ;   in Loop: Header=BB1326_686 Depth=2
	s_or_b32 exec_lo, exec_lo, s46
	s_and_saveexec_b32 s46, s28
	s_cbranch_execnz .LBB1326_872
.LBB1326_806:                           ;   in Loop: Header=BB1326_686 Depth=2
	s_or_b32 exec_lo, exec_lo, s46
	s_and_saveexec_b32 s46, s29
	s_cbranch_execnz .LBB1326_873
.LBB1326_807:                           ;   in Loop: Header=BB1326_686 Depth=2
	s_or_b32 exec_lo, exec_lo, s46
	s_and_saveexec_b32 s46, s30
	s_cbranch_execnz .LBB1326_874
.LBB1326_808:                           ;   in Loop: Header=BB1326_686 Depth=2
	s_or_b32 exec_lo, exec_lo, s46
	s_and_saveexec_b32 s46, s31
	s_cbranch_execnz .LBB1326_875
.LBB1326_809:                           ;   in Loop: Header=BB1326_686 Depth=2
	s_or_b32 exec_lo, exec_lo, s46
	s_and_saveexec_b32 s46, s33
	s_cbranch_execnz .LBB1326_876
.LBB1326_810:                           ;   in Loop: Header=BB1326_686 Depth=2
	s_or_b32 exec_lo, exec_lo, s46
	s_and_saveexec_b32 s46, s34
	s_cbranch_execnz .LBB1326_877
.LBB1326_811:                           ;   in Loop: Header=BB1326_686 Depth=2
	s_or_b32 exec_lo, exec_lo, s46
	s_and_saveexec_b32 s46, s35
	s_cbranch_execnz .LBB1326_878
.LBB1326_812:                           ;   in Loop: Header=BB1326_686 Depth=2
	s_or_b32 exec_lo, exec_lo, s46
	s_and_saveexec_b32 s46, s36
	s_cbranch_execnz .LBB1326_879
.LBB1326_813:                           ;   in Loop: Header=BB1326_686 Depth=2
	s_or_b32 exec_lo, exec_lo, s46
	s_and_saveexec_b32 s46, s37
	s_cbranch_execnz .LBB1326_880
.LBB1326_814:                           ;   in Loop: Header=BB1326_686 Depth=2
	s_or_b32 exec_lo, exec_lo, s46
	s_and_saveexec_b32 s46, s38
	s_cbranch_execz .LBB1326_816
.LBB1326_815:                           ;   in Loop: Header=BB1326_686 Depth=2
	ds_read_b32 v3, v66 offset:15872
	s_waitcnt lgkmcnt(0)
	v_cmp_ne_u32_e64 s39, 0x80000000, v3
	v_cndmask_b32_e64 v3, 0x7fffffff, v3, s39
	v_lshrrev_b32_e32 v3, s53, v3
	v_and_b32_e32 v132, s61, v3
.LBB1326_816:                           ;   in Loop: Header=BB1326_686 Depth=2
	s_or_b32 exec_lo, exec_lo, s46
	v_lshlrev_b32_e32 v3, 3, v171
	v_lshlrev_b32_e32 v37, 3, v167
	s_waitcnt vmcnt(0)
	s_waitcnt_vscnt null, 0x0
	s_barrier
	buffer_gl0_inv
	ds_write_b64 v3, v[35:36] offset:512
	v_lshlrev_b32_e32 v3, 3, v166
	v_lshlrev_b32_e32 v38, 3, v165
	;; [unrolled: 1-line block ×4, first 2 shown]
	ds_write_b64 v37, v[33:34] offset:512
	ds_write_b64 v3, v[31:32] offset:512
	;; [unrolled: 1-line block ×5, first 2 shown]
	v_lshlrev_b32_e32 v3, 3, v161
	v_lshlrev_b32_e32 v37, 3, v160
	;; [unrolled: 1-line block ×5, first 2 shown]
	ds_write_b64 v3, v[19:20] offset:512
	ds_write_b64 v37, v[15:16] offset:512
	;; [unrolled: 1-line block ×5, first 2 shown]
	v_lshlrev_b32_e32 v3, 3, v40
	v_lshlrev_b32_e32 v37, 3, v39
	;; [unrolled: 1-line block ×5, first 2 shown]
	ds_write_b64 v3, v[13:14] offset:512
	ds_write_b64 v37, v[11:12] offset:512
	;; [unrolled: 1-line block ×5, first 2 shown]
	s_waitcnt lgkmcnt(0)
	s_barrier
	buffer_gl0_inv
	s_and_saveexec_b32 s39, vcc_lo
	s_cbranch_execnz .LBB1326_881
; %bb.817:                              ;   in Loop: Header=BB1326_686 Depth=2
	s_or_b32 exec_lo, exec_lo, s39
	s_and_saveexec_b32 s39, s22
	s_cbranch_execnz .LBB1326_882
.LBB1326_818:                           ;   in Loop: Header=BB1326_686 Depth=2
	s_or_b32 exec_lo, exec_lo, s39
	s_and_saveexec_b32 s22, s23
	s_cbranch_execnz .LBB1326_883
.LBB1326_819:                           ;   in Loop: Header=BB1326_686 Depth=2
	s_or_b32 exec_lo, exec_lo, s22
	s_and_saveexec_b32 s22, s24
	s_cbranch_execnz .LBB1326_884
.LBB1326_820:                           ;   in Loop: Header=BB1326_686 Depth=2
	s_or_b32 exec_lo, exec_lo, s22
	s_and_saveexec_b32 s22, s25
	s_cbranch_execnz .LBB1326_885
.LBB1326_821:                           ;   in Loop: Header=BB1326_686 Depth=2
	s_or_b32 exec_lo, exec_lo, s22
	s_and_saveexec_b32 s22, s26
	s_cbranch_execnz .LBB1326_886
.LBB1326_822:                           ;   in Loop: Header=BB1326_686 Depth=2
	s_or_b32 exec_lo, exec_lo, s22
	s_and_saveexec_b32 s22, s28
	s_cbranch_execnz .LBB1326_887
.LBB1326_823:                           ;   in Loop: Header=BB1326_686 Depth=2
	s_or_b32 exec_lo, exec_lo, s22
	s_and_saveexec_b32 s22, s29
	s_cbranch_execnz .LBB1326_888
.LBB1326_824:                           ;   in Loop: Header=BB1326_686 Depth=2
	s_or_b32 exec_lo, exec_lo, s22
	s_and_saveexec_b32 s22, s30
	s_cbranch_execnz .LBB1326_889
.LBB1326_825:                           ;   in Loop: Header=BB1326_686 Depth=2
	s_or_b32 exec_lo, exec_lo, s22
	s_and_saveexec_b32 s22, s31
	s_cbranch_execnz .LBB1326_890
.LBB1326_826:                           ;   in Loop: Header=BB1326_686 Depth=2
	s_or_b32 exec_lo, exec_lo, s22
	s_and_saveexec_b32 s22, s33
	s_cbranch_execnz .LBB1326_891
.LBB1326_827:                           ;   in Loop: Header=BB1326_686 Depth=2
	s_or_b32 exec_lo, exec_lo, s22
	s_and_saveexec_b32 s22, s34
	s_cbranch_execnz .LBB1326_892
.LBB1326_828:                           ;   in Loop: Header=BB1326_686 Depth=2
	s_or_b32 exec_lo, exec_lo, s22
	s_and_saveexec_b32 s22, s35
	s_cbranch_execnz .LBB1326_893
.LBB1326_829:                           ;   in Loop: Header=BB1326_686 Depth=2
	s_or_b32 exec_lo, exec_lo, s22
	s_and_saveexec_b32 s22, s36
	s_cbranch_execnz .LBB1326_894
.LBB1326_830:                           ;   in Loop: Header=BB1326_686 Depth=2
	s_or_b32 exec_lo, exec_lo, s22
	s_and_saveexec_b32 s22, s37
	s_cbranch_execnz .LBB1326_895
.LBB1326_831:                           ;   in Loop: Header=BB1326_686 Depth=2
	s_or_b32 exec_lo, exec_lo, s22
	s_and_saveexec_b32 s22, s38
	s_cbranch_execz .LBB1326_833
.LBB1326_832:                           ;   in Loop: Header=BB1326_686 Depth=2
	v_lshlrev_b32_e32 v3, 2, v132
	v_add_nc_u32_e32 v37, v66, v41
	ds_read_b32 v3, v3
	ds_read_b64 v[37:38], v37 offset:31232
	s_waitcnt lgkmcnt(1)
	v_add_nc_u32_e32 v3, v3, v58
	v_lshlrev_b64 v[39:40], 3, v[3:4]
	v_add_co_u32 v39, vcc_lo, s48, v39
	v_add_co_ci_u32_e64 v40, null, s49, v40, vcc_lo
	s_waitcnt lgkmcnt(0)
	global_store_dwordx2 v[39:40], v[37:38], off
.LBB1326_833:                           ;   in Loop: Header=BB1326_686 Depth=2
	s_or_b32 exec_lo, exec_lo, s22
	s_waitcnt_vscnt null, 0x0
	s_barrier
	buffer_gl0_inv
	s_and_saveexec_b32 s22, s7
	s_cbranch_execz .LBB1326_685
; %bb.834:                              ;   in Loop: Header=BB1326_686 Depth=2
	ds_read_b32 v3, v41
	s_waitcnt lgkmcnt(0)
	v_add3_u32 v3, v144, v149, v3
	ds_write_b32 v41, v3
	s_branch .LBB1326_685
.LBB1326_835:                           ;   in Loop: Header=BB1326_686 Depth=2
	ds_read_b32 v151, v66 offset:512
	s_waitcnt lgkmcnt(0)
	v_cmp_ne_u32_e64 s22, 0x80000000, v151
	v_cndmask_b32_e64 v3, 0x7fffffff, v151, s22
	v_cmp_gt_i32_e64 s22, 0, v151
	v_lshrrev_b32_e32 v3, s53, v3
	v_cndmask_b32_e64 v154, 0x7fffffff, 0, s22
	v_and_b32_e32 v3, s61, v3
	v_lshlrev_b32_e32 v3, 2, v3
	ds_read_b32 v3, v3
	s_waitcnt lgkmcnt(0)
	v_add_nc_u32_e32 v3, v3, v0
	v_lshlrev_b64 v[37:38], 2, v[3:4]
	v_xor_b32_e32 v3, v154, v151
	v_add_co_u32 v37, s22, s42, v37
	v_add_co_ci_u32_e64 v38, null, s43, v38, s22
	global_store_dword v[37:38], v3, off
	s_or_b32 exec_lo, exec_lo, s23
	v_cmp_lt_u32_e64 s22, v42, v150
	s_and_saveexec_b32 s24, s22
	s_cbranch_execz .LBB1326_768
.LBB1326_836:                           ;   in Loop: Header=BB1326_686 Depth=2
	ds_read_b32 v151, v66 offset:1536
	s_waitcnt lgkmcnt(0)
	v_cmp_ne_u32_e64 s23, 0x80000000, v151
	v_cndmask_b32_e64 v3, 0x7fffffff, v151, s23
	v_cmp_gt_i32_e64 s23, 0, v151
	v_lshrrev_b32_e32 v3, s53, v3
	v_cndmask_b32_e64 v154, 0x7fffffff, 0, s23
	v_and_b32_e32 v3, s61, v3
	v_lshlrev_b32_e32 v3, 2, v3
	ds_read_b32 v3, v3
	s_waitcnt lgkmcnt(0)
	v_add_nc_u32_e32 v3, v3, v42
	v_lshlrev_b64 v[37:38], 2, v[3:4]
	v_xor_b32_e32 v3, v154, v151
	v_add_co_u32 v37, s23, s42, v37
	v_add_co_ci_u32_e64 v38, null, s43, v38, s23
	global_store_dword v[37:38], v3, off
	s_or_b32 exec_lo, exec_lo, s24
	v_cmp_lt_u32_e64 s23, v45, v150
	s_and_saveexec_b32 s25, s23
	s_cbranch_execz .LBB1326_769
.LBB1326_837:                           ;   in Loop: Header=BB1326_686 Depth=2
	ds_read_b32 v151, v66 offset:2560
	s_waitcnt lgkmcnt(0)
	v_cmp_ne_u32_e64 s24, 0x80000000, v151
	v_cndmask_b32_e64 v3, 0x7fffffff, v151, s24
	v_cmp_gt_i32_e64 s24, 0, v151
	v_lshrrev_b32_e32 v3, s53, v3
	v_cndmask_b32_e64 v154, 0x7fffffff, 0, s24
	v_and_b32_e32 v3, s61, v3
	v_lshlrev_b32_e32 v3, 2, v3
	ds_read_b32 v3, v3
	s_waitcnt lgkmcnt(0)
	v_add_nc_u32_e32 v3, v3, v45
	v_lshlrev_b64 v[37:38], 2, v[3:4]
	v_xor_b32_e32 v3, v154, v151
	v_add_co_u32 v37, s24, s42, v37
	v_add_co_ci_u32_e64 v38, null, s43, v38, s24
	global_store_dword v[37:38], v3, off
	s_or_b32 exec_lo, exec_lo, s25
	v_cmp_lt_u32_e64 s24, v46, v150
	s_and_saveexec_b32 s26, s24
	s_cbranch_execz .LBB1326_770
.LBB1326_838:                           ;   in Loop: Header=BB1326_686 Depth=2
	ds_read_b32 v151, v66 offset:3584
	s_waitcnt lgkmcnt(0)
	v_cmp_ne_u32_e64 s25, 0x80000000, v151
	v_cndmask_b32_e64 v3, 0x7fffffff, v151, s25
	v_cmp_gt_i32_e64 s25, 0, v151
	v_lshrrev_b32_e32 v3, s53, v3
	v_cndmask_b32_e64 v154, 0x7fffffff, 0, s25
	v_and_b32_e32 v3, s61, v3
	v_lshlrev_b32_e32 v3, 2, v3
	ds_read_b32 v3, v3
	s_waitcnt lgkmcnt(0)
	v_add_nc_u32_e32 v3, v3, v46
	v_lshlrev_b64 v[37:38], 2, v[3:4]
	v_xor_b32_e32 v3, v154, v151
	v_add_co_u32 v37, s25, s42, v37
	v_add_co_ci_u32_e64 v38, null, s43, v38, s25
	global_store_dword v[37:38], v3, off
	s_or_b32 exec_lo, exec_lo, s26
	v_cmp_lt_u32_e64 s25, v47, v150
	s_and_saveexec_b32 s28, s25
	s_cbranch_execz .LBB1326_771
.LBB1326_839:                           ;   in Loop: Header=BB1326_686 Depth=2
	ds_read_b32 v151, v66 offset:4608
	s_waitcnt lgkmcnt(0)
	v_cmp_ne_u32_e64 s26, 0x80000000, v151
	v_cndmask_b32_e64 v3, 0x7fffffff, v151, s26
	v_cmp_gt_i32_e64 s26, 0, v151
	v_lshrrev_b32_e32 v3, s53, v3
	v_cndmask_b32_e64 v154, 0x7fffffff, 0, s26
	v_and_b32_e32 v3, s61, v3
	v_lshlrev_b32_e32 v3, 2, v3
	ds_read_b32 v3, v3
	s_waitcnt lgkmcnt(0)
	v_add_nc_u32_e32 v3, v3, v47
	v_lshlrev_b64 v[37:38], 2, v[3:4]
	v_xor_b32_e32 v3, v154, v151
	v_add_co_u32 v37, s26, s42, v37
	v_add_co_ci_u32_e64 v38, null, s43, v38, s26
	global_store_dword v[37:38], v3, off
	s_or_b32 exec_lo, exec_lo, s28
	v_cmp_lt_u32_e64 s26, v48, v150
	s_and_saveexec_b32 s29, s26
	s_cbranch_execz .LBB1326_772
.LBB1326_840:                           ;   in Loop: Header=BB1326_686 Depth=2
	ds_read_b32 v151, v66 offset:5632
	s_waitcnt lgkmcnt(0)
	v_cmp_ne_u32_e64 s28, 0x80000000, v151
	v_cndmask_b32_e64 v3, 0x7fffffff, v151, s28
	v_cmp_gt_i32_e64 s28, 0, v151
	v_lshrrev_b32_e32 v3, s53, v3
	v_cndmask_b32_e64 v154, 0x7fffffff, 0, s28
	v_and_b32_e32 v3, s61, v3
	v_lshlrev_b32_e32 v3, 2, v3
	ds_read_b32 v3, v3
	s_waitcnt lgkmcnt(0)
	v_add_nc_u32_e32 v3, v3, v48
	v_lshlrev_b64 v[37:38], 2, v[3:4]
	v_xor_b32_e32 v3, v154, v151
	v_add_co_u32 v37, s28, s42, v37
	v_add_co_ci_u32_e64 v38, null, s43, v38, s28
	global_store_dword v[37:38], v3, off
	s_or_b32 exec_lo, exec_lo, s29
	v_cmp_lt_u32_e64 s28, v49, v150
	s_and_saveexec_b32 s30, s28
	s_cbranch_execz .LBB1326_773
.LBB1326_841:                           ;   in Loop: Header=BB1326_686 Depth=2
	ds_read_b32 v151, v66 offset:6656
	s_waitcnt lgkmcnt(0)
	v_cmp_ne_u32_e64 s29, 0x80000000, v151
	v_cndmask_b32_e64 v3, 0x7fffffff, v151, s29
	v_cmp_gt_i32_e64 s29, 0, v151
	v_lshrrev_b32_e32 v3, s53, v3
	v_cndmask_b32_e64 v154, 0x7fffffff, 0, s29
	v_and_b32_e32 v3, s61, v3
	v_lshlrev_b32_e32 v3, 2, v3
	ds_read_b32 v3, v3
	s_waitcnt lgkmcnt(0)
	v_add_nc_u32_e32 v3, v3, v49
	v_lshlrev_b64 v[37:38], 2, v[3:4]
	v_xor_b32_e32 v3, v154, v151
	v_add_co_u32 v37, s29, s42, v37
	v_add_co_ci_u32_e64 v38, null, s43, v38, s29
	global_store_dword v[37:38], v3, off
	s_or_b32 exec_lo, exec_lo, s30
	v_cmp_lt_u32_e64 s29, v50, v150
	s_and_saveexec_b32 s31, s29
	s_cbranch_execz .LBB1326_774
.LBB1326_842:                           ;   in Loop: Header=BB1326_686 Depth=2
	ds_read_b32 v151, v66 offset:7680
	s_waitcnt lgkmcnt(0)
	v_cmp_ne_u32_e64 s30, 0x80000000, v151
	v_cndmask_b32_e64 v3, 0x7fffffff, v151, s30
	v_cmp_gt_i32_e64 s30, 0, v151
	v_lshrrev_b32_e32 v3, s53, v3
	v_cndmask_b32_e64 v154, 0x7fffffff, 0, s30
	v_and_b32_e32 v3, s61, v3
	v_lshlrev_b32_e32 v3, 2, v3
	ds_read_b32 v3, v3
	s_waitcnt lgkmcnt(0)
	v_add_nc_u32_e32 v3, v3, v50
	v_lshlrev_b64 v[37:38], 2, v[3:4]
	v_xor_b32_e32 v3, v154, v151
	v_add_co_u32 v37, s30, s42, v37
	v_add_co_ci_u32_e64 v38, null, s43, v38, s30
	global_store_dword v[37:38], v3, off
	s_or_b32 exec_lo, exec_lo, s31
	v_cmp_lt_u32_e64 s30, v51, v150
	s_and_saveexec_b32 s33, s30
	s_cbranch_execz .LBB1326_775
.LBB1326_843:                           ;   in Loop: Header=BB1326_686 Depth=2
	ds_read_b32 v151, v66 offset:8704
	s_waitcnt lgkmcnt(0)
	v_cmp_ne_u32_e64 s31, 0x80000000, v151
	v_cndmask_b32_e64 v3, 0x7fffffff, v151, s31
	v_cmp_gt_i32_e64 s31, 0, v151
	v_lshrrev_b32_e32 v3, s53, v3
	v_cndmask_b32_e64 v154, 0x7fffffff, 0, s31
	v_and_b32_e32 v3, s61, v3
	v_lshlrev_b32_e32 v3, 2, v3
	ds_read_b32 v3, v3
	s_waitcnt lgkmcnt(0)
	v_add_nc_u32_e32 v3, v3, v51
	v_lshlrev_b64 v[37:38], 2, v[3:4]
	v_xor_b32_e32 v3, v154, v151
	v_add_co_u32 v37, s31, s42, v37
	v_add_co_ci_u32_e64 v38, null, s43, v38, s31
	global_store_dword v[37:38], v3, off
	s_or_b32 exec_lo, exec_lo, s33
	v_cmp_lt_u32_e64 s31, v52, v150
	s_and_saveexec_b32 s34, s31
	s_cbranch_execz .LBB1326_776
.LBB1326_844:                           ;   in Loop: Header=BB1326_686 Depth=2
	ds_read_b32 v151, v66 offset:9728
	s_waitcnt lgkmcnt(0)
	v_cmp_ne_u32_e64 s33, 0x80000000, v151
	v_cndmask_b32_e64 v3, 0x7fffffff, v151, s33
	v_cmp_gt_i32_e64 s33, 0, v151
	v_lshrrev_b32_e32 v3, s53, v3
	v_cndmask_b32_e64 v154, 0x7fffffff, 0, s33
	v_and_b32_e32 v3, s61, v3
	v_lshlrev_b32_e32 v3, 2, v3
	ds_read_b32 v3, v3
	s_waitcnt lgkmcnt(0)
	v_add_nc_u32_e32 v3, v3, v52
	v_lshlrev_b64 v[37:38], 2, v[3:4]
	v_xor_b32_e32 v3, v154, v151
	v_add_co_u32 v37, s33, s42, v37
	v_add_co_ci_u32_e64 v38, null, s43, v38, s33
	global_store_dword v[37:38], v3, off
	s_or_b32 exec_lo, exec_lo, s34
	v_cmp_lt_u32_e64 s33, v53, v150
	s_and_saveexec_b32 s35, s33
	s_cbranch_execz .LBB1326_777
.LBB1326_845:                           ;   in Loop: Header=BB1326_686 Depth=2
	ds_read_b32 v151, v66 offset:10752
	s_waitcnt lgkmcnt(0)
	v_cmp_ne_u32_e64 s34, 0x80000000, v151
	v_cndmask_b32_e64 v3, 0x7fffffff, v151, s34
	v_cmp_gt_i32_e64 s34, 0, v151
	v_lshrrev_b32_e32 v3, s53, v3
	v_cndmask_b32_e64 v154, 0x7fffffff, 0, s34
	v_and_b32_e32 v3, s61, v3
	v_lshlrev_b32_e32 v3, 2, v3
	ds_read_b32 v3, v3
	s_waitcnt lgkmcnt(0)
	v_add_nc_u32_e32 v3, v3, v53
	v_lshlrev_b64 v[37:38], 2, v[3:4]
	v_xor_b32_e32 v3, v154, v151
	v_add_co_u32 v37, s34, s42, v37
	v_add_co_ci_u32_e64 v38, null, s43, v38, s34
	global_store_dword v[37:38], v3, off
	s_or_b32 exec_lo, exec_lo, s35
	v_cmp_lt_u32_e64 s34, v54, v150
	s_and_saveexec_b32 s36, s34
	s_cbranch_execz .LBB1326_778
.LBB1326_846:                           ;   in Loop: Header=BB1326_686 Depth=2
	ds_read_b32 v151, v66 offset:11776
	s_waitcnt lgkmcnt(0)
	v_cmp_ne_u32_e64 s35, 0x80000000, v151
	v_cndmask_b32_e64 v3, 0x7fffffff, v151, s35
	v_cmp_gt_i32_e64 s35, 0, v151
	v_lshrrev_b32_e32 v3, s53, v3
	v_cndmask_b32_e64 v154, 0x7fffffff, 0, s35
	v_and_b32_e32 v3, s61, v3
	v_lshlrev_b32_e32 v3, 2, v3
	ds_read_b32 v3, v3
	s_waitcnt lgkmcnt(0)
	v_add_nc_u32_e32 v3, v3, v54
	v_lshlrev_b64 v[37:38], 2, v[3:4]
	v_xor_b32_e32 v3, v154, v151
	v_add_co_u32 v37, s35, s42, v37
	v_add_co_ci_u32_e64 v38, null, s43, v38, s35
	global_store_dword v[37:38], v3, off
	s_or_b32 exec_lo, exec_lo, s36
	v_cmp_lt_u32_e64 s35, v55, v150
	s_and_saveexec_b32 s37, s35
	s_cbranch_execz .LBB1326_779
.LBB1326_847:                           ;   in Loop: Header=BB1326_686 Depth=2
	ds_read_b32 v151, v66 offset:12800
	s_waitcnt lgkmcnt(0)
	v_cmp_ne_u32_e64 s36, 0x80000000, v151
	v_cndmask_b32_e64 v3, 0x7fffffff, v151, s36
	v_cmp_gt_i32_e64 s36, 0, v151
	v_lshrrev_b32_e32 v3, s53, v3
	v_cndmask_b32_e64 v154, 0x7fffffff, 0, s36
	v_and_b32_e32 v3, s61, v3
	v_lshlrev_b32_e32 v3, 2, v3
	ds_read_b32 v3, v3
	s_waitcnt lgkmcnt(0)
	v_add_nc_u32_e32 v3, v3, v55
	v_lshlrev_b64 v[37:38], 2, v[3:4]
	v_xor_b32_e32 v3, v154, v151
	v_add_co_u32 v37, s36, s42, v37
	v_add_co_ci_u32_e64 v38, null, s43, v38, s36
	global_store_dword v[37:38], v3, off
	s_or_b32 exec_lo, exec_lo, s37
	v_cmp_lt_u32_e64 s36, v56, v150
	s_and_saveexec_b32 s38, s36
	s_cbranch_execz .LBB1326_780
.LBB1326_848:                           ;   in Loop: Header=BB1326_686 Depth=2
	ds_read_b32 v151, v66 offset:13824
	s_waitcnt lgkmcnt(0)
	v_cmp_ne_u32_e64 s37, 0x80000000, v151
	v_cndmask_b32_e64 v3, 0x7fffffff, v151, s37
	v_cmp_gt_i32_e64 s37, 0, v151
	v_lshrrev_b32_e32 v3, s53, v3
	v_cndmask_b32_e64 v154, 0x7fffffff, 0, s37
	v_and_b32_e32 v3, s61, v3
	v_lshlrev_b32_e32 v3, 2, v3
	ds_read_b32 v3, v3
	s_waitcnt lgkmcnt(0)
	v_add_nc_u32_e32 v3, v3, v56
	v_lshlrev_b64 v[37:38], 2, v[3:4]
	v_xor_b32_e32 v3, v154, v151
	v_add_co_u32 v37, s37, s42, v37
	v_add_co_ci_u32_e64 v38, null, s43, v38, s37
	global_store_dword v[37:38], v3, off
	s_or_b32 exec_lo, exec_lo, s38
	v_cmp_lt_u32_e64 s37, v57, v150
	s_and_saveexec_b32 s39, s37
	s_cbranch_execz .LBB1326_781
.LBB1326_849:                           ;   in Loop: Header=BB1326_686 Depth=2
	ds_read_b32 v151, v66 offset:14848
	s_waitcnt lgkmcnt(0)
	v_cmp_ne_u32_e64 s38, 0x80000000, v151
	v_cndmask_b32_e64 v3, 0x7fffffff, v151, s38
	v_cmp_gt_i32_e64 s38, 0, v151
	v_lshrrev_b32_e32 v3, s53, v3
	v_cndmask_b32_e64 v154, 0x7fffffff, 0, s38
	v_and_b32_e32 v3, s61, v3
	v_lshlrev_b32_e32 v3, 2, v3
	ds_read_b32 v3, v3
	s_waitcnt lgkmcnt(0)
	v_add_nc_u32_e32 v3, v3, v57
	v_lshlrev_b64 v[37:38], 2, v[3:4]
	v_xor_b32_e32 v3, v154, v151
	v_add_co_u32 v37, s38, s42, v37
	v_add_co_ci_u32_e64 v38, null, s43, v38, s38
	global_store_dword v[37:38], v3, off
	s_or_b32 exec_lo, exec_lo, s39
	v_cmp_lt_u32_e64 s38, v58, v150
	s_and_saveexec_b32 s64, s38
	s_cbranch_execnz .LBB1326_782
	s_branch .LBB1326_783
.LBB1326_850:                           ;   in Loop: Header=BB1326_686 Depth=2
	global_load_dwordx2 v[35:36], v[37:38], off
	s_or_b32 exec_lo, exec_lo, s39
	s_mov_b32 s46, exec_lo
	v_cmpx_lt_u32_e64 v108, v150
	s_cbranch_execz .LBB1326_785
.LBB1326_851:                           ;   in Loop: Header=BB1326_686 Depth=2
	global_load_dwordx2 v[33:34], v[37:38], off offset:256
	s_or_b32 exec_lo, exec_lo, s46
	s_mov_b32 s46, exec_lo
	v_cmpx_lt_u32_e64 v109, v150
	s_cbranch_execz .LBB1326_786
.LBB1326_852:                           ;   in Loop: Header=BB1326_686 Depth=2
	global_load_dwordx2 v[31:32], v[37:38], off offset:512
	s_or_b32 exec_lo, exec_lo, s46
	s_mov_b32 s46, exec_lo
	v_cmpx_lt_u32_e64 v110, v150
	s_cbranch_execz .LBB1326_787
.LBB1326_853:                           ;   in Loop: Header=BB1326_686 Depth=2
	global_load_dwordx2 v[29:30], v[37:38], off offset:768
	s_or_b32 exec_lo, exec_lo, s46
	s_mov_b32 s46, exec_lo
	v_cmpx_lt_u32_e64 v111, v150
	s_cbranch_execz .LBB1326_788
.LBB1326_854:                           ;   in Loop: Header=BB1326_686 Depth=2
	global_load_dwordx2 v[27:28], v[37:38], off offset:1024
	s_or_b32 exec_lo, exec_lo, s46
	s_mov_b32 s46, exec_lo
	v_cmpx_lt_u32_e64 v112, v150
	s_cbranch_execz .LBB1326_789
.LBB1326_855:                           ;   in Loop: Header=BB1326_686 Depth=2
	global_load_dwordx2 v[23:24], v[37:38], off offset:1280
	s_or_b32 exec_lo, exec_lo, s46
	s_mov_b32 s46, exec_lo
	v_cmpx_lt_u32_e64 v113, v150
	s_cbranch_execz .LBB1326_790
.LBB1326_856:                           ;   in Loop: Header=BB1326_686 Depth=2
	global_load_dwordx2 v[19:20], v[37:38], off offset:1536
	s_or_b32 exec_lo, exec_lo, s46
	s_mov_b32 s46, exec_lo
	v_cmpx_lt_u32_e64 v114, v150
	s_cbranch_execz .LBB1326_791
.LBB1326_857:                           ;   in Loop: Header=BB1326_686 Depth=2
	global_load_dwordx2 v[15:16], v[37:38], off offset:1792
	s_or_b32 exec_lo, exec_lo, s46
	s_mov_b32 s46, exec_lo
	v_cmpx_lt_u32_e64 v115, v150
	s_cbranch_execz .LBB1326_792
.LBB1326_858:                           ;   in Loop: Header=BB1326_686 Depth=2
	v_add_co_u32 v25, s39, 0x800, v37
	v_add_co_ci_u32_e64 v26, null, 0, v38, s39
	global_load_dwordx2 v[25:26], v[25:26], off
	s_or_b32 exec_lo, exec_lo, s46
	s_mov_b32 s46, exec_lo
	v_cmpx_lt_u32_e64 v116, v150
	s_cbranch_execz .LBB1326_793
.LBB1326_859:                           ;   in Loop: Header=BB1326_686 Depth=2
	v_add_co_u32 v21, s39, 0x800, v37
	v_add_co_ci_u32_e64 v22, null, 0, v38, s39
	global_load_dwordx2 v[21:22], v[21:22], off offset:256
	s_or_b32 exec_lo, exec_lo, s46
	s_mov_b32 s46, exec_lo
	v_cmpx_lt_u32_e64 v117, v150
	s_cbranch_execz .LBB1326_794
.LBB1326_860:                           ;   in Loop: Header=BB1326_686 Depth=2
	v_add_co_u32 v17, s39, 0x800, v37
	v_add_co_ci_u32_e64 v18, null, 0, v38, s39
	global_load_dwordx2 v[17:18], v[17:18], off offset:512
	s_or_b32 exec_lo, exec_lo, s46
	s_mov_b32 s46, exec_lo
	v_cmpx_lt_u32_e64 v118, v150
	s_cbranch_execz .LBB1326_795
.LBB1326_861:                           ;   in Loop: Header=BB1326_686 Depth=2
	v_add_co_u32 v13, s39, 0x800, v37
	v_add_co_ci_u32_e64 v14, null, 0, v38, s39
	global_load_dwordx2 v[13:14], v[13:14], off offset:768
	s_or_b32 exec_lo, exec_lo, s46
	s_mov_b32 s46, exec_lo
	v_cmpx_lt_u32_e64 v119, v150
	s_cbranch_execz .LBB1326_796
.LBB1326_862:                           ;   in Loop: Header=BB1326_686 Depth=2
	v_add_co_u32 v11, s39, 0x800, v37
	v_add_co_ci_u32_e64 v12, null, 0, v38, s39
	global_load_dwordx2 v[11:12], v[11:12], off offset:1024
	s_or_b32 exec_lo, exec_lo, s46
	s_mov_b32 s46, exec_lo
	v_cmpx_lt_u32_e64 v121, v150
	s_cbranch_execz .LBB1326_797
.LBB1326_863:                           ;   in Loop: Header=BB1326_686 Depth=2
	v_add_co_u32 v9, s39, 0x800, v37
	v_add_co_ci_u32_e64 v10, null, 0, v38, s39
	global_load_dwordx2 v[9:10], v[9:10], off offset:1280
	s_or_b32 exec_lo, exec_lo, s46
	s_mov_b32 s46, exec_lo
	v_cmpx_lt_u32_e64 v122, v150
	s_cbranch_execz .LBB1326_798
.LBB1326_864:                           ;   in Loop: Header=BB1326_686 Depth=2
	v_add_co_u32 v7, s39, 0x800, v37
	v_add_co_ci_u32_e64 v8, null, 0, v38, s39
	global_load_dwordx2 v[7:8], v[7:8], off offset:1536
	s_or_b32 exec_lo, exec_lo, s46
	s_mov_b32 s46, exec_lo
	v_cmpx_lt_u32_e64 v123, v150
	s_cbranch_execz .LBB1326_799
.LBB1326_865:                           ;   in Loop: Header=BB1326_686 Depth=2
	v_add_co_u32 v5, s39, 0x800, v37
	v_add_co_ci_u32_e64 v6, null, 0, v38, s39
	global_load_dwordx2 v[5:6], v[5:6], off offset:1792
	s_or_b32 exec_lo, exec_lo, s46
	s_and_saveexec_b32 s46, vcc_lo
	s_cbranch_execz .LBB1326_800
.LBB1326_866:                           ;   in Loop: Header=BB1326_686 Depth=2
	ds_read_b32 v3, v66 offset:512
	s_waitcnt lgkmcnt(0)
	v_cmp_ne_u32_e64 s39, 0x80000000, v3
	v_cndmask_b32_e64 v3, 0x7fffffff, v3, s39
	v_lshrrev_b32_e32 v3, s53, v3
	v_and_b32_e32 v148, s61, v3
	s_or_b32 exec_lo, exec_lo, s46
	s_and_saveexec_b32 s46, s22
	s_cbranch_execz .LBB1326_801
.LBB1326_867:                           ;   in Loop: Header=BB1326_686 Depth=2
	ds_read_b32 v3, v66 offset:1536
	s_waitcnt lgkmcnt(0)
	v_cmp_ne_u32_e64 s39, 0x80000000, v3
	v_cndmask_b32_e64 v3, 0x7fffffff, v3, s39
	v_lshrrev_b32_e32 v3, s53, v3
	v_and_b32_e32 v147, s61, v3
	s_or_b32 exec_lo, exec_lo, s46
	s_and_saveexec_b32 s46, s23
	s_cbranch_execz .LBB1326_802
.LBB1326_868:                           ;   in Loop: Header=BB1326_686 Depth=2
	ds_read_b32 v3, v66 offset:2560
	s_waitcnt lgkmcnt(0)
	v_cmp_ne_u32_e64 s39, 0x80000000, v3
	v_cndmask_b32_e64 v3, 0x7fffffff, v3, s39
	v_lshrrev_b32_e32 v3, s53, v3
	v_and_b32_e32 v146, s61, v3
	s_or_b32 exec_lo, exec_lo, s46
	s_and_saveexec_b32 s46, s24
	s_cbranch_execz .LBB1326_803
.LBB1326_869:                           ;   in Loop: Header=BB1326_686 Depth=2
	ds_read_b32 v3, v66 offset:3584
	s_waitcnt lgkmcnt(0)
	v_cmp_ne_u32_e64 s39, 0x80000000, v3
	v_cndmask_b32_e64 v3, 0x7fffffff, v3, s39
	v_lshrrev_b32_e32 v3, s53, v3
	v_and_b32_e32 v145, s61, v3
	s_or_b32 exec_lo, exec_lo, s46
	s_and_saveexec_b32 s46, s25
	s_cbranch_execz .LBB1326_804
.LBB1326_870:                           ;   in Loop: Header=BB1326_686 Depth=2
	ds_read_b32 v3, v66 offset:4608
	s_waitcnt lgkmcnt(0)
	v_cmp_ne_u32_e64 s39, 0x80000000, v3
	v_cndmask_b32_e64 v3, 0x7fffffff, v3, s39
	v_lshrrev_b32_e32 v3, s53, v3
	v_and_b32_e32 v143, s61, v3
	s_or_b32 exec_lo, exec_lo, s46
	s_and_saveexec_b32 s46, s26
	s_cbranch_execz .LBB1326_805
.LBB1326_871:                           ;   in Loop: Header=BB1326_686 Depth=2
	ds_read_b32 v3, v66 offset:5632
	s_waitcnt lgkmcnt(0)
	v_cmp_ne_u32_e64 s39, 0x80000000, v3
	v_cndmask_b32_e64 v3, 0x7fffffff, v3, s39
	v_lshrrev_b32_e32 v3, s53, v3
	v_and_b32_e32 v142, s61, v3
	s_or_b32 exec_lo, exec_lo, s46
	s_and_saveexec_b32 s46, s28
	s_cbranch_execz .LBB1326_806
.LBB1326_872:                           ;   in Loop: Header=BB1326_686 Depth=2
	ds_read_b32 v3, v66 offset:6656
	s_waitcnt lgkmcnt(0)
	v_cmp_ne_u32_e64 s39, 0x80000000, v3
	v_cndmask_b32_e64 v3, 0x7fffffff, v3, s39
	v_lshrrev_b32_e32 v3, s53, v3
	v_and_b32_e32 v141, s61, v3
	s_or_b32 exec_lo, exec_lo, s46
	s_and_saveexec_b32 s46, s29
	s_cbranch_execz .LBB1326_807
.LBB1326_873:                           ;   in Loop: Header=BB1326_686 Depth=2
	ds_read_b32 v3, v66 offset:7680
	s_waitcnt lgkmcnt(0)
	v_cmp_ne_u32_e64 s39, 0x80000000, v3
	v_cndmask_b32_e64 v3, 0x7fffffff, v3, s39
	v_lshrrev_b32_e32 v3, s53, v3
	v_and_b32_e32 v140, s61, v3
	s_or_b32 exec_lo, exec_lo, s46
	s_and_saveexec_b32 s46, s30
	s_cbranch_execz .LBB1326_808
.LBB1326_874:                           ;   in Loop: Header=BB1326_686 Depth=2
	ds_read_b32 v3, v66 offset:8704
	s_waitcnt lgkmcnt(0)
	v_cmp_ne_u32_e64 s39, 0x80000000, v3
	v_cndmask_b32_e64 v3, 0x7fffffff, v3, s39
	v_lshrrev_b32_e32 v3, s53, v3
	v_and_b32_e32 v139, s61, v3
	s_or_b32 exec_lo, exec_lo, s46
	s_and_saveexec_b32 s46, s31
	s_cbranch_execz .LBB1326_809
.LBB1326_875:                           ;   in Loop: Header=BB1326_686 Depth=2
	ds_read_b32 v3, v66 offset:9728
	s_waitcnt lgkmcnt(0)
	v_cmp_ne_u32_e64 s39, 0x80000000, v3
	v_cndmask_b32_e64 v3, 0x7fffffff, v3, s39
	v_lshrrev_b32_e32 v3, s53, v3
	v_and_b32_e32 v138, s61, v3
	s_or_b32 exec_lo, exec_lo, s46
	s_and_saveexec_b32 s46, s33
	s_cbranch_execz .LBB1326_810
.LBB1326_876:                           ;   in Loop: Header=BB1326_686 Depth=2
	ds_read_b32 v3, v66 offset:10752
	s_waitcnt lgkmcnt(0)
	v_cmp_ne_u32_e64 s39, 0x80000000, v3
	v_cndmask_b32_e64 v3, 0x7fffffff, v3, s39
	v_lshrrev_b32_e32 v3, s53, v3
	v_and_b32_e32 v137, s61, v3
	s_or_b32 exec_lo, exec_lo, s46
	s_and_saveexec_b32 s46, s34
	s_cbranch_execz .LBB1326_811
.LBB1326_877:                           ;   in Loop: Header=BB1326_686 Depth=2
	ds_read_b32 v3, v66 offset:11776
	s_waitcnt lgkmcnt(0)
	v_cmp_ne_u32_e64 s39, 0x80000000, v3
	v_cndmask_b32_e64 v3, 0x7fffffff, v3, s39
	v_lshrrev_b32_e32 v3, s53, v3
	v_and_b32_e32 v136, s61, v3
	s_or_b32 exec_lo, exec_lo, s46
	s_and_saveexec_b32 s46, s35
	s_cbranch_execz .LBB1326_812
.LBB1326_878:                           ;   in Loop: Header=BB1326_686 Depth=2
	ds_read_b32 v3, v66 offset:12800
	s_waitcnt lgkmcnt(0)
	v_cmp_ne_u32_e64 s39, 0x80000000, v3
	v_cndmask_b32_e64 v3, 0x7fffffff, v3, s39
	v_lshrrev_b32_e32 v3, s53, v3
	v_and_b32_e32 v135, s61, v3
	s_or_b32 exec_lo, exec_lo, s46
	s_and_saveexec_b32 s46, s36
	s_cbranch_execz .LBB1326_813
.LBB1326_879:                           ;   in Loop: Header=BB1326_686 Depth=2
	ds_read_b32 v3, v66 offset:13824
	s_waitcnt lgkmcnt(0)
	v_cmp_ne_u32_e64 s39, 0x80000000, v3
	v_cndmask_b32_e64 v3, 0x7fffffff, v3, s39
	v_lshrrev_b32_e32 v3, s53, v3
	v_and_b32_e32 v134, s61, v3
	s_or_b32 exec_lo, exec_lo, s46
	s_and_saveexec_b32 s46, s37
	s_cbranch_execz .LBB1326_814
.LBB1326_880:                           ;   in Loop: Header=BB1326_686 Depth=2
	ds_read_b32 v3, v66 offset:14848
	s_waitcnt lgkmcnt(0)
	v_cmp_ne_u32_e64 s39, 0x80000000, v3
	v_cndmask_b32_e64 v3, 0x7fffffff, v3, s39
	v_lshrrev_b32_e32 v3, s53, v3
	v_and_b32_e32 v133, s61, v3
	s_or_b32 exec_lo, exec_lo, s46
	s_and_saveexec_b32 s46, s38
	s_cbranch_execnz .LBB1326_815
	s_branch .LBB1326_816
.LBB1326_881:                           ;   in Loop: Header=BB1326_686 Depth=2
	v_lshlrev_b32_e32 v3, 2, v148
	v_add_nc_u32_e32 v37, v66, v41
	ds_read_b32 v3, v3
	ds_read_b64 v[37:38], v37 offset:512
	s_waitcnt lgkmcnt(1)
	v_add_nc_u32_e32 v3, v3, v0
	v_lshlrev_b64 v[39:40], 3, v[3:4]
	v_add_co_u32 v39, vcc_lo, s48, v39
	v_add_co_ci_u32_e64 v40, null, s49, v40, vcc_lo
	s_waitcnt lgkmcnt(0)
	global_store_dwordx2 v[39:40], v[37:38], off
	s_or_b32 exec_lo, exec_lo, s39
	s_and_saveexec_b32 s39, s22
	s_cbranch_execz .LBB1326_818
.LBB1326_882:                           ;   in Loop: Header=BB1326_686 Depth=2
	v_lshlrev_b32_e32 v3, 2, v147
	v_add_nc_u32_e32 v37, v66, v41
	ds_read_b32 v3, v3
	ds_read_b64 v[37:38], v37 offset:2560
	s_waitcnt lgkmcnt(1)
	v_add_nc_u32_e32 v3, v3, v42
	v_lshlrev_b64 v[39:40], 3, v[3:4]
	v_add_co_u32 v39, vcc_lo, s48, v39
	v_add_co_ci_u32_e64 v40, null, s49, v40, vcc_lo
	s_waitcnt lgkmcnt(0)
	global_store_dwordx2 v[39:40], v[37:38], off
	s_or_b32 exec_lo, exec_lo, s39
	s_and_saveexec_b32 s22, s23
	s_cbranch_execz .LBB1326_819
.LBB1326_883:                           ;   in Loop: Header=BB1326_686 Depth=2
	v_lshlrev_b32_e32 v3, 2, v146
	v_add_nc_u32_e32 v37, v66, v41
	ds_read_b32 v3, v3
	ds_read_b64 v[37:38], v37 offset:4608
	s_waitcnt lgkmcnt(1)
	v_add_nc_u32_e32 v3, v3, v45
	v_lshlrev_b64 v[39:40], 3, v[3:4]
	v_add_co_u32 v39, vcc_lo, s48, v39
	v_add_co_ci_u32_e64 v40, null, s49, v40, vcc_lo
	s_waitcnt lgkmcnt(0)
	global_store_dwordx2 v[39:40], v[37:38], off
	s_or_b32 exec_lo, exec_lo, s22
	s_and_saveexec_b32 s22, s24
	s_cbranch_execz .LBB1326_820
.LBB1326_884:                           ;   in Loop: Header=BB1326_686 Depth=2
	v_lshlrev_b32_e32 v3, 2, v145
	v_add_nc_u32_e32 v37, v66, v41
	ds_read_b32 v3, v3
	ds_read_b64 v[37:38], v37 offset:6656
	s_waitcnt lgkmcnt(1)
	v_add_nc_u32_e32 v3, v3, v46
	v_lshlrev_b64 v[39:40], 3, v[3:4]
	v_add_co_u32 v39, vcc_lo, s48, v39
	v_add_co_ci_u32_e64 v40, null, s49, v40, vcc_lo
	s_waitcnt lgkmcnt(0)
	global_store_dwordx2 v[39:40], v[37:38], off
	s_or_b32 exec_lo, exec_lo, s22
	s_and_saveexec_b32 s22, s25
	s_cbranch_execz .LBB1326_821
.LBB1326_885:                           ;   in Loop: Header=BB1326_686 Depth=2
	v_lshlrev_b32_e32 v3, 2, v143
	v_add_nc_u32_e32 v37, v66, v41
	ds_read_b32 v3, v3
	ds_read_b64 v[37:38], v37 offset:8704
	s_waitcnt lgkmcnt(1)
	v_add_nc_u32_e32 v3, v3, v47
	v_lshlrev_b64 v[39:40], 3, v[3:4]
	v_add_co_u32 v39, vcc_lo, s48, v39
	v_add_co_ci_u32_e64 v40, null, s49, v40, vcc_lo
	s_waitcnt lgkmcnt(0)
	global_store_dwordx2 v[39:40], v[37:38], off
	s_or_b32 exec_lo, exec_lo, s22
	s_and_saveexec_b32 s22, s26
	s_cbranch_execz .LBB1326_822
.LBB1326_886:                           ;   in Loop: Header=BB1326_686 Depth=2
	v_lshlrev_b32_e32 v3, 2, v142
	v_add_nc_u32_e32 v37, v66, v41
	ds_read_b32 v3, v3
	ds_read_b64 v[37:38], v37 offset:10752
	s_waitcnt lgkmcnt(1)
	v_add_nc_u32_e32 v3, v3, v48
	v_lshlrev_b64 v[39:40], 3, v[3:4]
	v_add_co_u32 v39, vcc_lo, s48, v39
	v_add_co_ci_u32_e64 v40, null, s49, v40, vcc_lo
	s_waitcnt lgkmcnt(0)
	global_store_dwordx2 v[39:40], v[37:38], off
	s_or_b32 exec_lo, exec_lo, s22
	s_and_saveexec_b32 s22, s28
	s_cbranch_execz .LBB1326_823
.LBB1326_887:                           ;   in Loop: Header=BB1326_686 Depth=2
	v_lshlrev_b32_e32 v3, 2, v141
	v_add_nc_u32_e32 v37, v66, v41
	ds_read_b32 v3, v3
	ds_read_b64 v[37:38], v37 offset:12800
	s_waitcnt lgkmcnt(1)
	v_add_nc_u32_e32 v3, v3, v49
	v_lshlrev_b64 v[39:40], 3, v[3:4]
	v_add_co_u32 v39, vcc_lo, s48, v39
	v_add_co_ci_u32_e64 v40, null, s49, v40, vcc_lo
	s_waitcnt lgkmcnt(0)
	global_store_dwordx2 v[39:40], v[37:38], off
	s_or_b32 exec_lo, exec_lo, s22
	s_and_saveexec_b32 s22, s29
	s_cbranch_execz .LBB1326_824
.LBB1326_888:                           ;   in Loop: Header=BB1326_686 Depth=2
	v_lshlrev_b32_e32 v3, 2, v140
	v_add_nc_u32_e32 v37, v66, v41
	ds_read_b32 v3, v3
	ds_read_b64 v[37:38], v37 offset:14848
	s_waitcnt lgkmcnt(1)
	v_add_nc_u32_e32 v3, v3, v50
	v_lshlrev_b64 v[39:40], 3, v[3:4]
	v_add_co_u32 v39, vcc_lo, s48, v39
	v_add_co_ci_u32_e64 v40, null, s49, v40, vcc_lo
	s_waitcnt lgkmcnt(0)
	global_store_dwordx2 v[39:40], v[37:38], off
	s_or_b32 exec_lo, exec_lo, s22
	s_and_saveexec_b32 s22, s30
	s_cbranch_execz .LBB1326_825
.LBB1326_889:                           ;   in Loop: Header=BB1326_686 Depth=2
	v_lshlrev_b32_e32 v3, 2, v139
	v_add_nc_u32_e32 v37, v66, v41
	ds_read_b32 v3, v3
	ds_read_b64 v[37:38], v37 offset:16896
	s_waitcnt lgkmcnt(1)
	v_add_nc_u32_e32 v3, v3, v51
	v_lshlrev_b64 v[39:40], 3, v[3:4]
	v_add_co_u32 v39, vcc_lo, s48, v39
	v_add_co_ci_u32_e64 v40, null, s49, v40, vcc_lo
	s_waitcnt lgkmcnt(0)
	global_store_dwordx2 v[39:40], v[37:38], off
	s_or_b32 exec_lo, exec_lo, s22
	s_and_saveexec_b32 s22, s31
	s_cbranch_execz .LBB1326_826
.LBB1326_890:                           ;   in Loop: Header=BB1326_686 Depth=2
	v_lshlrev_b32_e32 v3, 2, v138
	v_add_nc_u32_e32 v37, v66, v41
	ds_read_b32 v3, v3
	ds_read_b64 v[37:38], v37 offset:18944
	s_waitcnt lgkmcnt(1)
	v_add_nc_u32_e32 v3, v3, v52
	v_lshlrev_b64 v[39:40], 3, v[3:4]
	v_add_co_u32 v39, vcc_lo, s48, v39
	v_add_co_ci_u32_e64 v40, null, s49, v40, vcc_lo
	s_waitcnt lgkmcnt(0)
	global_store_dwordx2 v[39:40], v[37:38], off
	s_or_b32 exec_lo, exec_lo, s22
	s_and_saveexec_b32 s22, s33
	s_cbranch_execz .LBB1326_827
.LBB1326_891:                           ;   in Loop: Header=BB1326_686 Depth=2
	v_lshlrev_b32_e32 v3, 2, v137
	v_add_nc_u32_e32 v37, v66, v41
	ds_read_b32 v3, v3
	ds_read_b64 v[37:38], v37 offset:20992
	s_waitcnt lgkmcnt(1)
	v_add_nc_u32_e32 v3, v3, v53
	v_lshlrev_b64 v[39:40], 3, v[3:4]
	v_add_co_u32 v39, vcc_lo, s48, v39
	v_add_co_ci_u32_e64 v40, null, s49, v40, vcc_lo
	s_waitcnt lgkmcnt(0)
	global_store_dwordx2 v[39:40], v[37:38], off
	s_or_b32 exec_lo, exec_lo, s22
	s_and_saveexec_b32 s22, s34
	s_cbranch_execz .LBB1326_828
.LBB1326_892:                           ;   in Loop: Header=BB1326_686 Depth=2
	v_lshlrev_b32_e32 v3, 2, v136
	v_add_nc_u32_e32 v37, v66, v41
	ds_read_b32 v3, v3
	ds_read_b64 v[37:38], v37 offset:23040
	s_waitcnt lgkmcnt(1)
	v_add_nc_u32_e32 v3, v3, v54
	v_lshlrev_b64 v[39:40], 3, v[3:4]
	v_add_co_u32 v39, vcc_lo, s48, v39
	v_add_co_ci_u32_e64 v40, null, s49, v40, vcc_lo
	s_waitcnt lgkmcnt(0)
	global_store_dwordx2 v[39:40], v[37:38], off
	s_or_b32 exec_lo, exec_lo, s22
	s_and_saveexec_b32 s22, s35
	s_cbranch_execz .LBB1326_829
.LBB1326_893:                           ;   in Loop: Header=BB1326_686 Depth=2
	v_lshlrev_b32_e32 v3, 2, v135
	v_add_nc_u32_e32 v37, v66, v41
	ds_read_b32 v3, v3
	ds_read_b64 v[37:38], v37 offset:25088
	s_waitcnt lgkmcnt(1)
	v_add_nc_u32_e32 v3, v3, v55
	v_lshlrev_b64 v[39:40], 3, v[3:4]
	v_add_co_u32 v39, vcc_lo, s48, v39
	v_add_co_ci_u32_e64 v40, null, s49, v40, vcc_lo
	s_waitcnt lgkmcnt(0)
	global_store_dwordx2 v[39:40], v[37:38], off
	s_or_b32 exec_lo, exec_lo, s22
	s_and_saveexec_b32 s22, s36
	s_cbranch_execz .LBB1326_830
.LBB1326_894:                           ;   in Loop: Header=BB1326_686 Depth=2
	v_lshlrev_b32_e32 v3, 2, v134
	v_add_nc_u32_e32 v37, v66, v41
	ds_read_b32 v3, v3
	ds_read_b64 v[37:38], v37 offset:27136
	s_waitcnt lgkmcnt(1)
	v_add_nc_u32_e32 v3, v3, v56
	v_lshlrev_b64 v[39:40], 3, v[3:4]
	v_add_co_u32 v39, vcc_lo, s48, v39
	v_add_co_ci_u32_e64 v40, null, s49, v40, vcc_lo
	s_waitcnt lgkmcnt(0)
	global_store_dwordx2 v[39:40], v[37:38], off
	s_or_b32 exec_lo, exec_lo, s22
	s_and_saveexec_b32 s22, s37
	s_cbranch_execz .LBB1326_831
.LBB1326_895:                           ;   in Loop: Header=BB1326_686 Depth=2
	v_lshlrev_b32_e32 v3, 2, v133
	v_add_nc_u32_e32 v37, v66, v41
	ds_read_b32 v3, v3
	ds_read_b64 v[37:38], v37 offset:29184
	s_waitcnt lgkmcnt(1)
	v_add_nc_u32_e32 v3, v3, v57
	v_lshlrev_b64 v[39:40], 3, v[3:4]
	v_add_co_u32 v39, vcc_lo, s48, v39
	v_add_co_ci_u32_e64 v40, null, s49, v40, vcc_lo
	s_waitcnt lgkmcnt(0)
	global_store_dwordx2 v[39:40], v[37:38], off
	s_or_b32 exec_lo, exec_lo, s22
	s_and_saveexec_b32 s22, s38
	s_cbranch_execnz .LBB1326_832
	s_branch .LBB1326_833
.LBB1326_896:                           ;   in Loop: Header=BB1326_12 Depth=1
	s_waitcnt lgkmcnt(0)
	s_mov_b32 s5, 0
	s_barrier
.LBB1326_897:                           ;   in Loop: Header=BB1326_12 Depth=1
	s_and_b32 vcc_lo, exec_lo, s5
	s_cbranch_vccz .LBB1326_11
; %bb.898:                              ;   in Loop: Header=BB1326_12 Depth=1
	s_mov_b32 s5, s60
	s_mov_b32 s46, s58
	s_barrier
	buffer_gl0_inv
                                        ; implicit-def: $vgpr3
                                        ; implicit-def: $vgpr5
                                        ; implicit-def: $vgpr6
                                        ; implicit-def: $vgpr7
                                        ; implicit-def: $vgpr8
                                        ; implicit-def: $vgpr9
                                        ; implicit-def: $vgpr10
                                        ; implicit-def: $vgpr11
                                        ; implicit-def: $vgpr12
                                        ; implicit-def: $vgpr13
                                        ; implicit-def: $vgpr14
                                        ; implicit-def: $vgpr15
                                        ; implicit-def: $vgpr16
                                        ; implicit-def: $vgpr17
                                        ; implicit-def: $vgpr18
                                        ; implicit-def: $vgpr19
	s_branch .LBB1326_900
.LBB1326_899:                           ;   in Loop: Header=BB1326_900 Depth=2
	s_or_b32 exec_lo, exec_lo, s16
	s_addk_i32 s5, 0xf000
	s_cmp_ge_u32 s15, s59
	s_mov_b32 s46, s15
	s_cbranch_scc1 .LBB1326_968
.LBB1326_900:                           ;   Parent Loop BB1326_12 Depth=1
                                        ; =>  This Inner Loop Header: Depth=2
	s_add_i32 s15, s46, 0x1000
	s_mov_b32 s16, -1
	s_cmp_gt_u32 s15, s59
                                        ; implicit-def: $vgpr20
                                        ; implicit-def: $vgpr21
                                        ; implicit-def: $vgpr24
                                        ; implicit-def: $vgpr22
                                        ; implicit-def: $vgpr26
                                        ; implicit-def: $vgpr23
                                        ; implicit-def: $vgpr28
                                        ; implicit-def: $vgpr25
                                        ; implicit-def: $vgpr30
                                        ; implicit-def: $vgpr27
                                        ; implicit-def: $vgpr31
                                        ; implicit-def: $vgpr29
                                        ; implicit-def: $vgpr33
                                        ; implicit-def: $vgpr32
                                        ; implicit-def: $vgpr34
                                        ; implicit-def: $vgpr35
	s_cbranch_scc1 .LBB1326_902
; %bb.901:                              ;   in Loop: Header=BB1326_900 Depth=2
	s_lshl_b64 s[16:17], s[46:47], 2
	v_add_co_u32 v30, vcc_lo, v75, s16
	v_add_co_ci_u32_e64 v31, null, s17, v76, vcc_lo
	s_mov_b32 s16, 0
	v_add_co_u32 v22, vcc_lo, 0x800, v30
	v_add_co_ci_u32_e64 v23, null, 0, v31, vcc_lo
	v_add_co_u32 v33, vcc_lo, v30, 0x1000
	v_add_co_ci_u32_e64 v34, null, 0, v31, vcc_lo
	;; [unrolled: 2-line block ×9, first 2 shown]
	s_clause 0x7
	global_load_dword v20, v[30:31], off
	global_load_dword v21, v[30:31], off offset:1024
	global_load_dword v22, v[22:23], off offset:1024
	;; [unrolled: 1-line block ×7, first 2 shown]
	v_add_co_u32 v37, vcc_lo, 0x3800, v30
	v_add_co_ci_u32_e64 v38, null, 0, v31, vcc_lo
	s_clause 0x7
	global_load_dword v24, v[33:34], off offset:-2048
	global_load_dword v26, v[33:34], off
	global_load_dword v28, v[35:36], off offset:-2048
	global_load_dword v30, v[35:36], off
	;; [unrolled: 2-line block ×3, first 2 shown]
	global_load_dword v34, v[37:38], off
	global_load_dword v35, v[37:38], off offset:1024
.LBB1326_902:                           ;   in Loop: Header=BB1326_900 Depth=2
	s_andn2_b32 vcc_lo, exec_lo, s16
	s_movk_i32 s16, 0x1000
	s_cbranch_vccnz .LBB1326_921
; %bb.903:                              ;   in Loop: Header=BB1326_900 Depth=2
	s_lshl_b64 s[16:17], s[46:47], 2
	s_mov_b32 s18, exec_lo
	s_add_u32 s16, s40, s16
	s_addc_u32 s17, s41, s17
	v_cmpx_gt_u32_e64 s5, v0
	s_cbranch_execnz .LBB1326_953
; %bb.904:                              ;   in Loop: Header=BB1326_900 Depth=2
	s_or_b32 exec_lo, exec_lo, s18
	s_mov_b32 s18, exec_lo
	v_cmpx_gt_u32_e64 s5, v42
	s_cbranch_execnz .LBB1326_954
.LBB1326_905:                           ;   in Loop: Header=BB1326_900 Depth=2
	s_or_b32 exec_lo, exec_lo, s18
	s_mov_b32 s18, exec_lo
	v_cmpx_gt_u32_e64 s5, v45
	s_cbranch_execnz .LBB1326_955
.LBB1326_906:                           ;   in Loop: Header=BB1326_900 Depth=2
	s_or_b32 exec_lo, exec_lo, s18
	s_mov_b32 s18, exec_lo
	v_cmpx_gt_u32_e64 s5, v46
	s_cbranch_execnz .LBB1326_956
.LBB1326_907:                           ;   in Loop: Header=BB1326_900 Depth=2
	s_or_b32 exec_lo, exec_lo, s18
	s_mov_b32 s18, exec_lo
	v_cmpx_gt_u32_e64 s5, v47
	s_cbranch_execnz .LBB1326_957
.LBB1326_908:                           ;   in Loop: Header=BB1326_900 Depth=2
	s_or_b32 exec_lo, exec_lo, s18
	s_mov_b32 s18, exec_lo
	v_cmpx_gt_u32_e64 s5, v48
	s_cbranch_execnz .LBB1326_958
.LBB1326_909:                           ;   in Loop: Header=BB1326_900 Depth=2
	s_or_b32 exec_lo, exec_lo, s18
	s_mov_b32 s18, exec_lo
	v_cmpx_gt_u32_e64 s5, v49
	s_cbranch_execnz .LBB1326_959
.LBB1326_910:                           ;   in Loop: Header=BB1326_900 Depth=2
	s_or_b32 exec_lo, exec_lo, s18
	s_mov_b32 s18, exec_lo
	v_cmpx_gt_u32_e64 s5, v50
	s_cbranch_execnz .LBB1326_960
.LBB1326_911:                           ;   in Loop: Header=BB1326_900 Depth=2
	s_or_b32 exec_lo, exec_lo, s18
	s_mov_b32 s18, exec_lo
	v_cmpx_gt_u32_e64 s5, v51
	s_cbranch_execnz .LBB1326_961
.LBB1326_912:                           ;   in Loop: Header=BB1326_900 Depth=2
	s_or_b32 exec_lo, exec_lo, s18
	s_mov_b32 s18, exec_lo
	v_cmpx_gt_u32_e64 s5, v52
	s_cbranch_execnz .LBB1326_962
.LBB1326_913:                           ;   in Loop: Header=BB1326_900 Depth=2
	s_or_b32 exec_lo, exec_lo, s18
	s_mov_b32 s18, exec_lo
	v_cmpx_gt_u32_e64 s5, v53
	s_cbranch_execnz .LBB1326_963
.LBB1326_914:                           ;   in Loop: Header=BB1326_900 Depth=2
	s_or_b32 exec_lo, exec_lo, s18
	s_mov_b32 s18, exec_lo
	v_cmpx_gt_u32_e64 s5, v54
	s_cbranch_execnz .LBB1326_964
.LBB1326_915:                           ;   in Loop: Header=BB1326_900 Depth=2
	s_or_b32 exec_lo, exec_lo, s18
	s_mov_b32 s18, exec_lo
	v_cmpx_gt_u32_e64 s5, v55
	s_cbranch_execnz .LBB1326_965
.LBB1326_916:                           ;   in Loop: Header=BB1326_900 Depth=2
	s_or_b32 exec_lo, exec_lo, s18
	s_mov_b32 s18, exec_lo
	v_cmpx_gt_u32_e64 s5, v56
	s_cbranch_execnz .LBB1326_966
.LBB1326_917:                           ;   in Loop: Header=BB1326_900 Depth=2
	s_or_b32 exec_lo, exec_lo, s18
	s_mov_b32 s18, exec_lo
	v_cmpx_gt_u32_e64 s5, v57
	s_cbranch_execnz .LBB1326_967
.LBB1326_918:                           ;   in Loop: Header=BB1326_900 Depth=2
	s_or_b32 exec_lo, exec_lo, s18
	s_mov_b32 s18, exec_lo
	v_cmpx_gt_u32_e64 s5, v58
	s_cbranch_execz .LBB1326_920
.LBB1326_919:                           ;   in Loop: Header=BB1326_900 Depth=2
	global_load_dword v3, v100, s[16:17]
.LBB1326_920:                           ;   in Loop: Header=BB1326_900 Depth=2
	s_or_b32 exec_lo, exec_lo, s18
	s_waitcnt vmcnt(0)
	v_mov_b32_e32 v20, v19
	v_mov_b32_e32 v21, v18
	;; [unrolled: 1-line block ×16, first 2 shown]
	s_mov_b32 s16, s5
.LBB1326_921:                           ;   in Loop: Header=BB1326_900 Depth=2
	s_waitcnt vmcnt(0)
	v_mov_b32_e32 v3, v35
	v_mov_b32_e32 v5, v34
	;; [unrolled: 1-line block ×16, first 2 shown]
	s_mov_b32 s17, exec_lo
	v_cmpx_gt_u32_e64 s16, v0
	s_cbranch_execnz .LBB1326_937
; %bb.922:                              ;   in Loop: Header=BB1326_900 Depth=2
	s_or_b32 exec_lo, exec_lo, s17
	s_mov_b32 s17, exec_lo
	v_cmpx_gt_u32_e64 s16, v42
	s_cbranch_execnz .LBB1326_938
.LBB1326_923:                           ;   in Loop: Header=BB1326_900 Depth=2
	s_or_b32 exec_lo, exec_lo, s17
	s_mov_b32 s17, exec_lo
	v_cmpx_gt_u32_e64 s16, v45
	s_cbranch_execnz .LBB1326_939
.LBB1326_924:                           ;   in Loop: Header=BB1326_900 Depth=2
	s_or_b32 exec_lo, exec_lo, s17
	s_mov_b32 s17, exec_lo
	v_cmpx_gt_u32_e64 s16, v46
	s_cbranch_execnz .LBB1326_940
.LBB1326_925:                           ;   in Loop: Header=BB1326_900 Depth=2
	s_or_b32 exec_lo, exec_lo, s17
	s_mov_b32 s17, exec_lo
	v_cmpx_gt_u32_e64 s16, v47
	s_cbranch_execnz .LBB1326_941
.LBB1326_926:                           ;   in Loop: Header=BB1326_900 Depth=2
	s_or_b32 exec_lo, exec_lo, s17
	s_mov_b32 s17, exec_lo
	v_cmpx_gt_u32_e64 s16, v48
	s_cbranch_execnz .LBB1326_942
.LBB1326_927:                           ;   in Loop: Header=BB1326_900 Depth=2
	s_or_b32 exec_lo, exec_lo, s17
	s_mov_b32 s17, exec_lo
	v_cmpx_gt_u32_e64 s16, v49
	s_cbranch_execnz .LBB1326_943
.LBB1326_928:                           ;   in Loop: Header=BB1326_900 Depth=2
	s_or_b32 exec_lo, exec_lo, s17
	s_mov_b32 s17, exec_lo
	v_cmpx_gt_u32_e64 s16, v50
	s_cbranch_execnz .LBB1326_944
.LBB1326_929:                           ;   in Loop: Header=BB1326_900 Depth=2
	s_or_b32 exec_lo, exec_lo, s17
	s_mov_b32 s17, exec_lo
	v_cmpx_gt_u32_e64 s16, v51
	s_cbranch_execnz .LBB1326_945
.LBB1326_930:                           ;   in Loop: Header=BB1326_900 Depth=2
	s_or_b32 exec_lo, exec_lo, s17
	s_mov_b32 s17, exec_lo
	v_cmpx_gt_u32_e64 s16, v52
	s_cbranch_execnz .LBB1326_946
.LBB1326_931:                           ;   in Loop: Header=BB1326_900 Depth=2
	s_or_b32 exec_lo, exec_lo, s17
	s_mov_b32 s17, exec_lo
	v_cmpx_gt_u32_e64 s16, v53
	s_cbranch_execnz .LBB1326_947
.LBB1326_932:                           ;   in Loop: Header=BB1326_900 Depth=2
	s_or_b32 exec_lo, exec_lo, s17
	s_mov_b32 s17, exec_lo
	v_cmpx_gt_u32_e64 s16, v54
	s_cbranch_execnz .LBB1326_948
.LBB1326_933:                           ;   in Loop: Header=BB1326_900 Depth=2
	s_or_b32 exec_lo, exec_lo, s17
	s_mov_b32 s17, exec_lo
	v_cmpx_gt_u32_e64 s16, v55
	s_cbranch_execnz .LBB1326_949
.LBB1326_934:                           ;   in Loop: Header=BB1326_900 Depth=2
	s_or_b32 exec_lo, exec_lo, s17
	s_mov_b32 s17, exec_lo
	v_cmpx_gt_u32_e64 s16, v56
	s_cbranch_execnz .LBB1326_950
.LBB1326_935:                           ;   in Loop: Header=BB1326_900 Depth=2
	s_or_b32 exec_lo, exec_lo, s17
	s_mov_b32 s17, exec_lo
	v_cmpx_gt_u32_e64 s16, v57
	s_cbranch_execnz .LBB1326_951
.LBB1326_936:                           ;   in Loop: Header=BB1326_900 Depth=2
	s_or_b32 exec_lo, exec_lo, s17
	v_cmp_gt_u32_e32 vcc_lo, s16, v58
	s_and_saveexec_b32 s16, vcc_lo
	s_cbranch_execz .LBB1326_899
	s_branch .LBB1326_952
.LBB1326_937:                           ;   in Loop: Header=BB1326_900 Depth=2
	v_cmp_gt_i32_e32 vcc_lo, 0, v19
	v_cndmask_b32_e64 v20, 0x7fffffff, 0, vcc_lo
	v_xor_b32_e32 v20, v20, v19
	v_cmp_ne_u32_e32 vcc_lo, 0x80000000, v20
	v_cndmask_b32_e32 v20, 0x7fffffff, v20, vcc_lo
	v_lshrrev_b32_e32 v20, s53, v20
	v_and_b32_e32 v20, s61, v20
	v_lshl_or_b32 v20, v20, 4, v59
	ds_add_u32 v20, v82
	s_or_b32 exec_lo, exec_lo, s17
	s_mov_b32 s17, exec_lo
	v_cmpx_gt_u32_e64 s16, v42
	s_cbranch_execz .LBB1326_923
.LBB1326_938:                           ;   in Loop: Header=BB1326_900 Depth=2
	v_cmp_gt_i32_e32 vcc_lo, 0, v18
	v_cndmask_b32_e64 v20, 0x7fffffff, 0, vcc_lo
	v_xor_b32_e32 v20, v20, v18
	v_cmp_ne_u32_e32 vcc_lo, 0x80000000, v20
	v_cndmask_b32_e32 v20, 0x7fffffff, v20, vcc_lo
	v_lshrrev_b32_e32 v20, s53, v20
	v_and_b32_e32 v20, s61, v20
	v_lshl_or_b32 v20, v20, 4, v59
	ds_add_u32 v20, v82
	s_or_b32 exec_lo, exec_lo, s17
	s_mov_b32 s17, exec_lo
	v_cmpx_gt_u32_e64 s16, v45
	s_cbranch_execz .LBB1326_924
.LBB1326_939:                           ;   in Loop: Header=BB1326_900 Depth=2
	v_cmp_gt_i32_e32 vcc_lo, 0, v17
	v_cndmask_b32_e64 v20, 0x7fffffff, 0, vcc_lo
	v_xor_b32_e32 v20, v20, v17
	v_cmp_ne_u32_e32 vcc_lo, 0x80000000, v20
	v_cndmask_b32_e32 v20, 0x7fffffff, v20, vcc_lo
	v_lshrrev_b32_e32 v20, s53, v20
	v_and_b32_e32 v20, s61, v20
	v_lshl_or_b32 v20, v20, 4, v59
	ds_add_u32 v20, v82
	s_or_b32 exec_lo, exec_lo, s17
	s_mov_b32 s17, exec_lo
	v_cmpx_gt_u32_e64 s16, v46
	s_cbranch_execz .LBB1326_925
.LBB1326_940:                           ;   in Loop: Header=BB1326_900 Depth=2
	v_cmp_gt_i32_e32 vcc_lo, 0, v16
	v_cndmask_b32_e64 v20, 0x7fffffff, 0, vcc_lo
	v_xor_b32_e32 v20, v20, v16
	v_cmp_ne_u32_e32 vcc_lo, 0x80000000, v20
	v_cndmask_b32_e32 v20, 0x7fffffff, v20, vcc_lo
	v_lshrrev_b32_e32 v20, s53, v20
	v_and_b32_e32 v20, s61, v20
	v_lshl_or_b32 v20, v20, 4, v59
	ds_add_u32 v20, v82
	s_or_b32 exec_lo, exec_lo, s17
	s_mov_b32 s17, exec_lo
	v_cmpx_gt_u32_e64 s16, v47
	s_cbranch_execz .LBB1326_926
.LBB1326_941:                           ;   in Loop: Header=BB1326_900 Depth=2
	v_cmp_gt_i32_e32 vcc_lo, 0, v15
	v_cndmask_b32_e64 v20, 0x7fffffff, 0, vcc_lo
	v_xor_b32_e32 v20, v20, v15
	v_cmp_ne_u32_e32 vcc_lo, 0x80000000, v20
	v_cndmask_b32_e32 v20, 0x7fffffff, v20, vcc_lo
	v_lshrrev_b32_e32 v20, s53, v20
	v_and_b32_e32 v20, s61, v20
	v_lshl_or_b32 v20, v20, 4, v59
	ds_add_u32 v20, v82
	s_or_b32 exec_lo, exec_lo, s17
	s_mov_b32 s17, exec_lo
	v_cmpx_gt_u32_e64 s16, v48
	s_cbranch_execz .LBB1326_927
.LBB1326_942:                           ;   in Loop: Header=BB1326_900 Depth=2
	v_cmp_gt_i32_e32 vcc_lo, 0, v14
	v_cndmask_b32_e64 v20, 0x7fffffff, 0, vcc_lo
	v_xor_b32_e32 v20, v20, v14
	v_cmp_ne_u32_e32 vcc_lo, 0x80000000, v20
	v_cndmask_b32_e32 v20, 0x7fffffff, v20, vcc_lo
	v_lshrrev_b32_e32 v20, s53, v20
	v_and_b32_e32 v20, s61, v20
	v_lshl_or_b32 v20, v20, 4, v59
	ds_add_u32 v20, v82
	s_or_b32 exec_lo, exec_lo, s17
	s_mov_b32 s17, exec_lo
	v_cmpx_gt_u32_e64 s16, v49
	s_cbranch_execz .LBB1326_928
.LBB1326_943:                           ;   in Loop: Header=BB1326_900 Depth=2
	v_cmp_gt_i32_e32 vcc_lo, 0, v13
	v_cndmask_b32_e64 v20, 0x7fffffff, 0, vcc_lo
	v_xor_b32_e32 v20, v20, v13
	v_cmp_ne_u32_e32 vcc_lo, 0x80000000, v20
	v_cndmask_b32_e32 v20, 0x7fffffff, v20, vcc_lo
	v_lshrrev_b32_e32 v20, s53, v20
	v_and_b32_e32 v20, s61, v20
	v_lshl_or_b32 v20, v20, 4, v59
	ds_add_u32 v20, v82
	s_or_b32 exec_lo, exec_lo, s17
	s_mov_b32 s17, exec_lo
	v_cmpx_gt_u32_e64 s16, v50
	s_cbranch_execz .LBB1326_929
.LBB1326_944:                           ;   in Loop: Header=BB1326_900 Depth=2
	v_cmp_gt_i32_e32 vcc_lo, 0, v12
	v_cndmask_b32_e64 v20, 0x7fffffff, 0, vcc_lo
	v_xor_b32_e32 v20, v20, v12
	v_cmp_ne_u32_e32 vcc_lo, 0x80000000, v20
	v_cndmask_b32_e32 v20, 0x7fffffff, v20, vcc_lo
	v_lshrrev_b32_e32 v20, s53, v20
	v_and_b32_e32 v20, s61, v20
	v_lshl_or_b32 v20, v20, 4, v59
	ds_add_u32 v20, v82
	s_or_b32 exec_lo, exec_lo, s17
	s_mov_b32 s17, exec_lo
	v_cmpx_gt_u32_e64 s16, v51
	s_cbranch_execz .LBB1326_930
.LBB1326_945:                           ;   in Loop: Header=BB1326_900 Depth=2
	v_cmp_gt_i32_e32 vcc_lo, 0, v11
	v_cndmask_b32_e64 v20, 0x7fffffff, 0, vcc_lo
	v_xor_b32_e32 v20, v20, v11
	v_cmp_ne_u32_e32 vcc_lo, 0x80000000, v20
	v_cndmask_b32_e32 v20, 0x7fffffff, v20, vcc_lo
	v_lshrrev_b32_e32 v20, s53, v20
	v_and_b32_e32 v20, s61, v20
	v_lshl_or_b32 v20, v20, 4, v59
	ds_add_u32 v20, v82
	s_or_b32 exec_lo, exec_lo, s17
	s_mov_b32 s17, exec_lo
	v_cmpx_gt_u32_e64 s16, v52
	s_cbranch_execz .LBB1326_931
.LBB1326_946:                           ;   in Loop: Header=BB1326_900 Depth=2
	v_cmp_gt_i32_e32 vcc_lo, 0, v10
	v_cndmask_b32_e64 v20, 0x7fffffff, 0, vcc_lo
	v_xor_b32_e32 v20, v20, v10
	v_cmp_ne_u32_e32 vcc_lo, 0x80000000, v20
	v_cndmask_b32_e32 v20, 0x7fffffff, v20, vcc_lo
	v_lshrrev_b32_e32 v20, s53, v20
	v_and_b32_e32 v20, s61, v20
	v_lshl_or_b32 v20, v20, 4, v59
	ds_add_u32 v20, v82
	s_or_b32 exec_lo, exec_lo, s17
	s_mov_b32 s17, exec_lo
	v_cmpx_gt_u32_e64 s16, v53
	s_cbranch_execz .LBB1326_932
.LBB1326_947:                           ;   in Loop: Header=BB1326_900 Depth=2
	v_cmp_gt_i32_e32 vcc_lo, 0, v9
	v_cndmask_b32_e64 v20, 0x7fffffff, 0, vcc_lo
	v_xor_b32_e32 v20, v20, v9
	v_cmp_ne_u32_e32 vcc_lo, 0x80000000, v20
	v_cndmask_b32_e32 v20, 0x7fffffff, v20, vcc_lo
	v_lshrrev_b32_e32 v20, s53, v20
	v_and_b32_e32 v20, s61, v20
	v_lshl_or_b32 v20, v20, 4, v59
	ds_add_u32 v20, v82
	s_or_b32 exec_lo, exec_lo, s17
	s_mov_b32 s17, exec_lo
	v_cmpx_gt_u32_e64 s16, v54
	s_cbranch_execz .LBB1326_933
.LBB1326_948:                           ;   in Loop: Header=BB1326_900 Depth=2
	v_cmp_gt_i32_e32 vcc_lo, 0, v8
	v_cndmask_b32_e64 v20, 0x7fffffff, 0, vcc_lo
	v_xor_b32_e32 v20, v20, v8
	v_cmp_ne_u32_e32 vcc_lo, 0x80000000, v20
	v_cndmask_b32_e32 v20, 0x7fffffff, v20, vcc_lo
	v_lshrrev_b32_e32 v20, s53, v20
	v_and_b32_e32 v20, s61, v20
	v_lshl_or_b32 v20, v20, 4, v59
	ds_add_u32 v20, v82
	s_or_b32 exec_lo, exec_lo, s17
	s_mov_b32 s17, exec_lo
	v_cmpx_gt_u32_e64 s16, v55
	s_cbranch_execz .LBB1326_934
.LBB1326_949:                           ;   in Loop: Header=BB1326_900 Depth=2
	v_cmp_gt_i32_e32 vcc_lo, 0, v7
	v_cndmask_b32_e64 v20, 0x7fffffff, 0, vcc_lo
	v_xor_b32_e32 v20, v20, v7
	v_cmp_ne_u32_e32 vcc_lo, 0x80000000, v20
	v_cndmask_b32_e32 v20, 0x7fffffff, v20, vcc_lo
	v_lshrrev_b32_e32 v20, s53, v20
	v_and_b32_e32 v20, s61, v20
	v_lshl_or_b32 v20, v20, 4, v59
	ds_add_u32 v20, v82
	s_or_b32 exec_lo, exec_lo, s17
	s_mov_b32 s17, exec_lo
	v_cmpx_gt_u32_e64 s16, v56
	s_cbranch_execz .LBB1326_935
.LBB1326_950:                           ;   in Loop: Header=BB1326_900 Depth=2
	v_cmp_gt_i32_e32 vcc_lo, 0, v6
	v_cndmask_b32_e64 v20, 0x7fffffff, 0, vcc_lo
	v_xor_b32_e32 v20, v20, v6
	v_cmp_ne_u32_e32 vcc_lo, 0x80000000, v20
	v_cndmask_b32_e32 v20, 0x7fffffff, v20, vcc_lo
	v_lshrrev_b32_e32 v20, s53, v20
	v_and_b32_e32 v20, s61, v20
	v_lshl_or_b32 v20, v20, 4, v59
	ds_add_u32 v20, v82
	s_or_b32 exec_lo, exec_lo, s17
	s_mov_b32 s17, exec_lo
	v_cmpx_gt_u32_e64 s16, v57
	s_cbranch_execz .LBB1326_936
.LBB1326_951:                           ;   in Loop: Header=BB1326_900 Depth=2
	v_cmp_gt_i32_e32 vcc_lo, 0, v5
	v_cndmask_b32_e64 v20, 0x7fffffff, 0, vcc_lo
	v_xor_b32_e32 v20, v20, v5
	v_cmp_ne_u32_e32 vcc_lo, 0x80000000, v20
	v_cndmask_b32_e32 v20, 0x7fffffff, v20, vcc_lo
	v_lshrrev_b32_e32 v20, s53, v20
	v_and_b32_e32 v20, s61, v20
	v_lshl_or_b32 v20, v20, 4, v59
	ds_add_u32 v20, v82
	s_or_b32 exec_lo, exec_lo, s17
	v_cmp_gt_u32_e32 vcc_lo, s16, v58
	s_and_saveexec_b32 s16, vcc_lo
	s_cbranch_execz .LBB1326_899
.LBB1326_952:                           ;   in Loop: Header=BB1326_900 Depth=2
	v_cmp_gt_i32_e32 vcc_lo, 0, v3
	v_cndmask_b32_e64 v20, 0x7fffffff, 0, vcc_lo
	v_xor_b32_e32 v20, v20, v3
	v_cmp_ne_u32_e32 vcc_lo, 0x80000000, v20
	v_cndmask_b32_e32 v20, 0x7fffffff, v20, vcc_lo
	v_lshrrev_b32_e32 v20, s53, v20
	v_and_b32_e32 v20, s61, v20
	v_lshl_or_b32 v20, v20, 4, v59
	ds_add_u32 v20, v82
	s_branch .LBB1326_899
.LBB1326_953:                           ;   in Loop: Header=BB1326_900 Depth=2
	global_load_dword v19, v86, s[16:17]
	s_or_b32 exec_lo, exec_lo, s18
	s_mov_b32 s18, exec_lo
	v_cmpx_gt_u32_e64 s5, v42
	s_cbranch_execz .LBB1326_905
.LBB1326_954:                           ;   in Loop: Header=BB1326_900 Depth=2
	global_load_dword v18, v86, s[16:17] offset:1024
	s_or_b32 exec_lo, exec_lo, s18
	s_mov_b32 s18, exec_lo
	v_cmpx_gt_u32_e64 s5, v45
	s_cbranch_execz .LBB1326_906
.LBB1326_955:                           ;   in Loop: Header=BB1326_900 Depth=2
	global_load_dword v17, v87, s[16:17]
	s_or_b32 exec_lo, exec_lo, s18
	s_mov_b32 s18, exec_lo
	v_cmpx_gt_u32_e64 s5, v46
	s_cbranch_execz .LBB1326_907
.LBB1326_956:                           ;   in Loop: Header=BB1326_900 Depth=2
	global_load_dword v16, v88, s[16:17]
	s_or_b32 exec_lo, exec_lo, s18
	s_mov_b32 s18, exec_lo
	v_cmpx_gt_u32_e64 s5, v47
	s_cbranch_execz .LBB1326_908
.LBB1326_957:                           ;   in Loop: Header=BB1326_900 Depth=2
	global_load_dword v15, v89, s[16:17]
	s_or_b32 exec_lo, exec_lo, s18
	s_mov_b32 s18, exec_lo
	v_cmpx_gt_u32_e64 s5, v48
	s_cbranch_execz .LBB1326_909
.LBB1326_958:                           ;   in Loop: Header=BB1326_900 Depth=2
	global_load_dword v14, v90, s[16:17]
	s_or_b32 exec_lo, exec_lo, s18
	s_mov_b32 s18, exec_lo
	v_cmpx_gt_u32_e64 s5, v49
	s_cbranch_execz .LBB1326_910
.LBB1326_959:                           ;   in Loop: Header=BB1326_900 Depth=2
	global_load_dword v13, v91, s[16:17]
	s_or_b32 exec_lo, exec_lo, s18
	s_mov_b32 s18, exec_lo
	v_cmpx_gt_u32_e64 s5, v50
	s_cbranch_execz .LBB1326_911
.LBB1326_960:                           ;   in Loop: Header=BB1326_900 Depth=2
	global_load_dword v12, v92, s[16:17]
	s_or_b32 exec_lo, exec_lo, s18
	s_mov_b32 s18, exec_lo
	v_cmpx_gt_u32_e64 s5, v51
	s_cbranch_execz .LBB1326_912
.LBB1326_961:                           ;   in Loop: Header=BB1326_900 Depth=2
	global_load_dword v11, v93, s[16:17]
	s_or_b32 exec_lo, exec_lo, s18
	s_mov_b32 s18, exec_lo
	v_cmpx_gt_u32_e64 s5, v52
	s_cbranch_execz .LBB1326_913
.LBB1326_962:                           ;   in Loop: Header=BB1326_900 Depth=2
	global_load_dword v10, v94, s[16:17]
	s_or_b32 exec_lo, exec_lo, s18
	s_mov_b32 s18, exec_lo
	v_cmpx_gt_u32_e64 s5, v53
	s_cbranch_execz .LBB1326_914
.LBB1326_963:                           ;   in Loop: Header=BB1326_900 Depth=2
	global_load_dword v9, v95, s[16:17]
	s_or_b32 exec_lo, exec_lo, s18
	s_mov_b32 s18, exec_lo
	v_cmpx_gt_u32_e64 s5, v54
	s_cbranch_execz .LBB1326_915
.LBB1326_964:                           ;   in Loop: Header=BB1326_900 Depth=2
	global_load_dword v8, v96, s[16:17]
	s_or_b32 exec_lo, exec_lo, s18
	s_mov_b32 s18, exec_lo
	v_cmpx_gt_u32_e64 s5, v55
	s_cbranch_execz .LBB1326_916
.LBB1326_965:                           ;   in Loop: Header=BB1326_900 Depth=2
	global_load_dword v7, v97, s[16:17]
	s_or_b32 exec_lo, exec_lo, s18
	s_mov_b32 s18, exec_lo
	v_cmpx_gt_u32_e64 s5, v56
	s_cbranch_execz .LBB1326_917
.LBB1326_966:                           ;   in Loop: Header=BB1326_900 Depth=2
	global_load_dword v6, v98, s[16:17]
	s_or_b32 exec_lo, exec_lo, s18
	s_mov_b32 s18, exec_lo
	v_cmpx_gt_u32_e64 s5, v57
	s_cbranch_execz .LBB1326_918
.LBB1326_967:                           ;   in Loop: Header=BB1326_900 Depth=2
	global_load_dword v5, v99, s[16:17]
	s_or_b32 exec_lo, exec_lo, s18
	s_mov_b32 s18, exec_lo
	v_cmpx_gt_u32_e64 s5, v58
	s_cbranch_execnz .LBB1326_919
	s_branch .LBB1326_920
.LBB1326_968:                           ;   in Loop: Header=BB1326_12 Depth=1
	v_mov_b32_e32 v3, 0
	s_waitcnt lgkmcnt(0)
	s_barrier
	buffer_gl0_inv
	s_and_saveexec_b32 s5, s7
	s_cbranch_execz .LBB1326_970
; %bb.969:                              ;   in Loop: Header=BB1326_12 Depth=1
	ds_read2_b64 v[5:8], v61 offset1:1
	s_waitcnt lgkmcnt(0)
	v_add_nc_u32_e32 v3, v6, v5
	v_add3_u32 v3, v3, v7, v8
.LBB1326_970:                           ;   in Loop: Header=BB1326_12 Depth=1
	s_or_b32 exec_lo, exec_lo, s5
	v_mov_b32_dpp v5, v3 row_shr:1 row_mask:0xf bank_mask:0xf
	v_cmp_eq_u32_e64 s5, 0, v83
	v_cmp_lt_u32_e64 s15, 1, v83
	v_cmp_lt_u32_e64 s16, 3, v83
	v_cmp_lt_u32_e64 s17, 7, v83
	v_cmp_eq_u32_e64 s18, 0, v85
	v_cndmask_b32_e64 v5, v5, 0, s5
	v_add_nc_u32_e32 v3, v5, v3
	v_mov_b32_dpp v5, v3 row_shr:2 row_mask:0xf bank_mask:0xf
	v_cndmask_b32_e64 v5, 0, v5, s15
	v_add_nc_u32_e32 v3, v3, v5
	v_mov_b32_dpp v5, v3 row_shr:4 row_mask:0xf bank_mask:0xf
	;; [unrolled: 3-line block ×3, first 2 shown]
	v_cndmask_b32_e64 v5, 0, v5, s17
	v_add_nc_u32_e32 v3, v3, v5
	ds_swizzle_b32 v5, v3 offset:swizzle(BROADCAST,32,15)
	s_waitcnt lgkmcnt(0)
	v_and_b32_e32 v5, v84, v5
	v_add_nc_u32_e32 v3, v3, v5
	s_and_saveexec_b32 s19, s8
; %bb.971:                              ;   in Loop: Header=BB1326_12 Depth=1
	ds_write_b32 v62, v3
; %bb.972:                              ;   in Loop: Header=BB1326_12 Depth=1
	s_or_b32 exec_lo, exec_lo, s19
	s_waitcnt lgkmcnt(0)
	s_barrier
	buffer_gl0_inv
	s_and_saveexec_b32 s19, s9
	s_cbranch_execz .LBB1326_974
; %bb.973:                              ;   in Loop: Header=BB1326_12 Depth=1
	ds_read_b32 v5, v63
	v_cmp_ne_u32_e32 vcc_lo, 0, v101
	s_waitcnt lgkmcnt(0)
	v_mov_b32_dpp v6, v5 row_shr:1 row_mask:0xf bank_mask:0xf
	v_cndmask_b32_e32 v6, 0, v6, vcc_lo
	v_cmp_lt_u32_e32 vcc_lo, 1, v101
	v_add_nc_u32_e32 v5, v6, v5
	v_mov_b32_dpp v6, v5 row_shr:2 row_mask:0xf bank_mask:0xf
	v_cndmask_b32_e32 v6, 0, v6, vcc_lo
	v_add_nc_u32_e32 v5, v5, v6
	ds_write_b32 v63, v5
.LBB1326_974:                           ;   in Loop: Header=BB1326_12 Depth=1
	s_or_b32 exec_lo, exec_lo, s19
	v_mov_b32_e32 v5, 0
	s_waitcnt lgkmcnt(0)
	s_barrier
	buffer_gl0_inv
	s_and_saveexec_b32 s19, s10
; %bb.975:                              ;   in Loop: Header=BB1326_12 Depth=1
	ds_read_b32 v5, v64
; %bb.976:                              ;   in Loop: Header=BB1326_12 Depth=1
	s_or_b32 exec_lo, exec_lo, s19
	v_cmp_gt_i32_e32 vcc_lo, 0, v103
	s_waitcnt lgkmcnt(0)
	v_add_nc_u32_e32 v3, v5, v3
	s_barrier
	buffer_gl0_inv
	v_cndmask_b32_e32 v6, v103, v79, vcc_lo
	v_lshlrev_b32_e32 v126, 2, v6
	ds_bpermute_b32 v3, v126, v3
	s_and_saveexec_b32 s19, s7
	s_cbranch_execz .LBB1326_978
; %bb.977:                              ;   in Loop: Header=BB1326_12 Depth=1
	s_waitcnt lgkmcnt(0)
	v_cndmask_b32_e64 v3, v3, v5, s14
	v_add_nc_u32_e32 v3, s58, v3
	ds_write_b32 v41, v3
.LBB1326_978:                           ;   in Loop: Header=BB1326_12 Depth=1
	s_or_b32 exec_lo, exec_lo, s19
	s_load_dwordx2 s[20:21], s[56:57], 0x0
	v_add_co_u32 v127, vcc_lo, v77, v102
	v_add_co_ci_u32_e64 v128, null, 0, v78, vcc_lo
	v_add_co_u32 v129, vcc_lo, v80, v120
	v_add_co_ci_u32_e64 v130, null, 0, v81, vcc_lo
	s_mov_b32 s62, s60
	s_mov_b32 s46, s58
                                        ; implicit-def: $vgpr7_vgpr8
                                        ; implicit-def: $vgpr9_vgpr10
                                        ; implicit-def: $vgpr11_vgpr12
                                        ; implicit-def: $vgpr13_vgpr14
                                        ; implicit-def: $vgpr17_vgpr18
                                        ; implicit-def: $vgpr21_vgpr22
                                        ; implicit-def: $vgpr25_vgpr26
                                        ; implicit-def: $vgpr15_vgpr16
                                        ; implicit-def: $vgpr19_vgpr20
                                        ; implicit-def: $vgpr23_vgpr24
                                        ; implicit-def: $vgpr27_vgpr28
                                        ; implicit-def: $vgpr29_vgpr30
                                        ; implicit-def: $vgpr31_vgpr32
                                        ; implicit-def: $vgpr33_vgpr34
                                        ; implicit-def: $vgpr35_vgpr36
                                        ; implicit-def: $vgpr132
                                        ; implicit-def: $vgpr133
                                        ; implicit-def: $vgpr134
                                        ; implicit-def: $vgpr135
                                        ; implicit-def: $vgpr136
                                        ; implicit-def: $vgpr137
                                        ; implicit-def: $vgpr138
                                        ; implicit-def: $vgpr139
                                        ; implicit-def: $vgpr140
                                        ; implicit-def: $vgpr141
                                        ; implicit-def: $vgpr142
                                        ; implicit-def: $vgpr143
                                        ; implicit-def: $vgpr145
                                        ; implicit-def: $vgpr146
                                        ; implicit-def: $vgpr147
                                        ; implicit-def: $vgpr148
                                        ; implicit-def: $vgpr144
                                        ; implicit-def: $vgpr149
	s_waitcnt lgkmcnt(0)
	s_cmp_lt_u32 s27, s21
	s_cselect_b32 s19, 14, 20
	s_add_u32 s22, s56, s19
	s_addc_u32 s23, s57, 0
	s_cmp_lt_u32 s6, s20
	global_load_ushort v3, v4, s[22:23]
	s_cselect_b32 s19, 12, 18
	s_add_u32 s20, s56, s19
	s_addc_u32 s21, s57, 0
	v_cmp_eq_u32_e64 s19, 0, v104
	global_load_ushort v5, v4, s[20:21]
	v_cmp_lt_u32_e64 s20, 1, v104
	v_cmp_lt_u32_e64 s21, 3, v104
	s_waitcnt vmcnt(1)
	v_mad_u32_u24 v3, v2, v3, v1
	s_waitcnt vmcnt(0)
	v_mad_u64_u32 v[5:6], null, v3, v5, v[0:1]
	v_lshrrev_b32_e32 v3, 3, v5
                                        ; implicit-def: $vgpr5_vgpr6
	v_and_b32_e32 v131, 0x1ffffffc, v3
	s_branch .LBB1326_980
.LBB1326_979:                           ;   in Loop: Header=BB1326_980 Depth=2
	s_or_b32 exec_lo, exec_lo, s22
	s_addk_i32 s62, 0xf000
	s_cmp_lt_u32 s63, s59
	s_mov_b32 s46, s63
	s_cbranch_scc0 .LBB1326_10
.LBB1326_980:                           ;   Parent Loop BB1326_12 Depth=1
                                        ; =>  This Inner Loop Header: Depth=2
	s_add_i32 s63, s46, 0x1000
	s_cmp_gt_u32 s63, s59
	s_cbranch_scc1 .LBB1326_982
; %bb.981:                              ;   in Loop: Header=BB1326_980 Depth=2
	s_lshl_b64 s[22:23], s[46:47], 2
	v_add_co_u32 v37, vcc_lo, v129, s22
	v_add_co_ci_u32_e64 v38, null, s23, v130, vcc_lo
	s_mov_b32 s22, -1
	s_clause 0xe
	global_load_dword v3, v[37:38], off
	global_load_dword v151, v[37:38], off offset:128
	global_load_dword v154, v[37:38], off offset:256
	;; [unrolled: 1-line block ×14, first 2 shown]
	s_movk_i32 s23, 0x1000
	s_cbranch_execz .LBB1326_983
	s_branch .LBB1326_1014
.LBB1326_982:                           ;   in Loop: Header=BB1326_980 Depth=2
	s_mov_b32 s22, 0
                                        ; implicit-def: $vgpr3
                                        ; implicit-def: $vgpr151
                                        ; implicit-def: $vgpr154
                                        ; implicit-def: $vgpr158
                                        ; implicit-def: $vgpr162
                                        ; implicit-def: $vgpr168
                                        ; implicit-def: $vgpr173
                                        ; implicit-def: $vgpr178
                                        ; implicit-def: $vgpr181
                                        ; implicit-def: $vgpr176
                                        ; implicit-def: $vgpr172
                                        ; implicit-def: $vgpr167
                                        ; implicit-def: $vgpr164
                                        ; implicit-def: $vgpr40
                                        ; implicit-def: $vgpr39
	s_movk_i32 s23, 0x1000
.LBB1326_983:                           ;   in Loop: Header=BB1326_980 Depth=2
	s_lshl_b64 s[22:23], s[46:47], 2
	s_waitcnt vmcnt(13)
	v_mov_b32_e32 v151, -1
	v_add_co_u32 v37, vcc_lo, v129, s22
	v_add_co_ci_u32_e64 v38, null, s23, v130, vcc_lo
	v_mov_b32_e32 v3, -1
	s_mov_b32 s22, exec_lo
	v_cmpx_gt_u32_e64 s62, v105
	s_cbranch_execz .LBB1326_985
; %bb.984:                              ;   in Loop: Header=BB1326_980 Depth=2
	global_load_dword v3, v[37:38], off
.LBB1326_985:                           ;   in Loop: Header=BB1326_980 Depth=2
	s_or_b32 exec_lo, exec_lo, s22
	s_mov_b32 s22, exec_lo
	v_cmpx_gt_u32_e64 s62, v108
	s_cbranch_execz .LBB1326_987
; %bb.986:                              ;   in Loop: Header=BB1326_980 Depth=2
	global_load_dword v151, v[37:38], off offset:128
.LBB1326_987:                           ;   in Loop: Header=BB1326_980 Depth=2
	s_or_b32 exec_lo, exec_lo, s22
	s_waitcnt vmcnt(11)
	v_mov_b32_e32 v158, -1
	v_mov_b32_e32 v154, -1
	s_mov_b32 s22, exec_lo
	v_cmpx_gt_u32_e64 s62, v109
	s_cbranch_execz .LBB1326_989
; %bb.988:                              ;   in Loop: Header=BB1326_980 Depth=2
	global_load_dword v154, v[37:38], off offset:256
.LBB1326_989:                           ;   in Loop: Header=BB1326_980 Depth=2
	s_or_b32 exec_lo, exec_lo, s22
	s_mov_b32 s22, exec_lo
	v_cmpx_gt_u32_e64 s62, v110
	s_cbranch_execz .LBB1326_991
; %bb.990:                              ;   in Loop: Header=BB1326_980 Depth=2
	global_load_dword v158, v[37:38], off offset:384
.LBB1326_991:                           ;   in Loop: Header=BB1326_980 Depth=2
	s_or_b32 exec_lo, exec_lo, s22
	s_waitcnt vmcnt(9)
	v_mov_b32_e32 v168, -1
	v_mov_b32_e32 v162, -1
	s_mov_b32 s22, exec_lo
	v_cmpx_gt_u32_e64 s62, v111
	s_cbranch_execz .LBB1326_993
; %bb.992:                              ;   in Loop: Header=BB1326_980 Depth=2
	global_load_dword v162, v[37:38], off offset:512
.LBB1326_993:                           ;   in Loop: Header=BB1326_980 Depth=2
	;; [unrolled: 17-line block ×3, first 2 shown]
	s_or_b32 exec_lo, exec_lo, s22
	s_mov_b32 s22, exec_lo
	v_cmpx_gt_u32_e64 s62, v114
	s_cbranch_execz .LBB1326_999
; %bb.998:                              ;   in Loop: Header=BB1326_980 Depth=2
	global_load_dword v178, v[37:38], off offset:896
.LBB1326_999:                           ;   in Loop: Header=BB1326_980 Depth=2
	s_or_b32 exec_lo, exec_lo, s22
	s_waitcnt vmcnt(5)
	v_mov_b32_e32 v176, -1
	v_mov_b32_e32 v181, -1
	s_mov_b32 s22, exec_lo
	v_cmpx_gt_u32_e64 s62, v115
	s_cbranch_execz .LBB1326_1001
; %bb.1000:                             ;   in Loop: Header=BB1326_980 Depth=2
	global_load_dword v181, v[37:38], off offset:1024
.LBB1326_1001:                          ;   in Loop: Header=BB1326_980 Depth=2
	s_or_b32 exec_lo, exec_lo, s22
	s_mov_b32 s22, exec_lo
	v_cmpx_gt_u32_e64 s62, v116
	s_cbranch_execz .LBB1326_1003
; %bb.1002:                             ;   in Loop: Header=BB1326_980 Depth=2
	global_load_dword v176, v[37:38], off offset:1152
.LBB1326_1003:                          ;   in Loop: Header=BB1326_980 Depth=2
	s_or_b32 exec_lo, exec_lo, s22
	s_waitcnt vmcnt(3)
	v_mov_b32_e32 v167, -1
	v_mov_b32_e32 v172, -1
	s_mov_b32 s22, exec_lo
	v_cmpx_gt_u32_e64 s62, v117
	s_cbranch_execz .LBB1326_1005
; %bb.1004:                             ;   in Loop: Header=BB1326_980 Depth=2
	global_load_dword v172, v[37:38], off offset:1280
.LBB1326_1005:                          ;   in Loop: Header=BB1326_980 Depth=2
	s_or_b32 exec_lo, exec_lo, s22
	s_mov_b32 s22, exec_lo
	v_cmpx_gt_u32_e64 s62, v118
	s_cbranch_execz .LBB1326_1007
; %bb.1006:                             ;   in Loop: Header=BB1326_980 Depth=2
	global_load_dword v167, v[37:38], off offset:1408
.LBB1326_1007:                          ;   in Loop: Header=BB1326_980 Depth=2
	;; [unrolled: 17-line block ×3, first 2 shown]
	s_or_b32 exec_lo, exec_lo, s22
	s_waitcnt vmcnt(0)
	v_mov_b32_e32 v39, -1
	s_mov_b32 s22, exec_lo
	v_cmpx_gt_u32_e64 s62, v122
	s_cbranch_execz .LBB1326_1013
; %bb.1012:                             ;   in Loop: Header=BB1326_980 Depth=2
	global_load_dword v39, v[37:38], off offset:1792
.LBB1326_1013:                          ;   in Loop: Header=BB1326_980 Depth=2
	s_or_b32 exec_lo, exec_lo, s22
	v_cmp_gt_u32_e64 s22, s62, v123
	s_sub_i32 s23, s59, s46
.LBB1326_1014:                          ;   in Loop: Header=BB1326_980 Depth=2
	v_mov_b32_e32 v37, -1
	v_mov_b32_e32 v150, s62
	s_and_saveexec_b32 s24, s22
	s_cbranch_execz .LBB1326_1016
; %bb.1015:                             ;   in Loop: Header=BB1326_980 Depth=2
	s_lshl_b64 s[28:29], s[46:47], 2
	v_mov_b32_e32 v150, s23
	v_add_co_u32 v37, vcc_lo, v129, s28
	v_add_co_ci_u32_e64 v38, null, s29, v130, vcc_lo
	global_load_dword v37, v[37:38], off offset:1920
.LBB1326_1016:                          ;   in Loop: Header=BB1326_980 Depth=2
	s_or_b32 exec_lo, exec_lo, s24
	s_waitcnt vmcnt(14)
	v_cmp_gt_i32_e32 vcc_lo, 0, v3
	ds_write2_b32 v65, v4, v4 offset0:136 offset1:137
	ds_write2_b32 v65, v4, v4 offset0:138 offset1:139
	ds_write_b32 v65, v4 offset:560
	s_waitcnt vmcnt(0) lgkmcnt(0)
	s_barrier
	v_cndmask_b32_e64 v38, 0x7fffffff, 0, vcc_lo
	buffer_gl0_inv
	; wave barrier
	v_xor_b32_e32 v3, v38, v3
	v_cmp_ne_u32_e32 vcc_lo, 0x80000000, v3
	v_cndmask_b32_e32 v38, 0x7fffffff, v3, vcc_lo
	v_lshrrev_b32_e32 v38, s53, v38
	v_and_b32_e32 v153, s61, v38
	v_and_b32_e32 v38, 1, v153
	v_lshlrev_b32_e32 v152, 30, v153
	v_lshlrev_b32_e32 v155, 29, v153
	;; [unrolled: 1-line block ×4, first 2 shown]
	v_add_co_u32 v38, s22, v38, -1
	v_cndmask_b32_e64 v156, 0, 1, s22
	v_not_b32_e32 v161, v152
	v_cmp_gt_i32_e64 s22, 0, v152
	v_not_b32_e32 v152, v155
	v_lshlrev_b32_e32 v160, 26, v153
	v_cmp_ne_u32_e32 vcc_lo, 0, v156
	v_ashrrev_i32_e32 v161, 31, v161
	v_lshlrev_b32_e32 v156, 25, v153
	v_ashrrev_i32_e32 v152, 31, v152
	v_mul_u32_u24_e32 v153, 36, v153
	v_xor_b32_e32 v38, vcc_lo, v38
	v_cmp_gt_i32_e32 vcc_lo, 0, v155
	v_not_b32_e32 v155, v157
	v_xor_b32_e32 v161, s22, v161
	v_cmp_gt_i32_e64 s22, 0, v157
	v_and_b32_e32 v38, exec_lo, v38
	v_not_b32_e32 v157, v159
	v_ashrrev_i32_e32 v155, 31, v155
	v_xor_b32_e32 v152, vcc_lo, v152
	v_cmp_gt_i32_e32 vcc_lo, 0, v159
	v_and_b32_e32 v38, v38, v161
	v_not_b32_e32 v159, v160
	v_ashrrev_i32_e32 v157, 31, v157
	v_xor_b32_e32 v155, s22, v155
	v_cmp_gt_i32_e64 s22, 0, v160
	v_and_b32_e32 v38, v38, v152
	v_not_b32_e32 v152, v156
	v_ashrrev_i32_e32 v159, 31, v159
	v_xor_b32_e32 v157, vcc_lo, v157
	v_cmp_gt_i32_e32 vcc_lo, 0, v156
	v_and_b32_e32 v38, v38, v155
	v_ashrrev_i32_e32 v152, 31, v152
	v_xor_b32_e32 v155, s22, v159
	v_add_nc_u32_e32 v153, v131, v153
	v_and_b32_e32 v38, v38, v157
	v_xor_b32_e32 v152, vcc_lo, v152
	v_and_b32_e32 v38, v38, v155
	v_and_b32_e32 v38, v38, v152
	v_mbcnt_lo_u32_b32 v152, v38, 0
	v_cmp_ne_u32_e64 s22, 0, v38
	v_cmp_eq_u32_e32 vcc_lo, 0, v152
	s_and_b32 s23, s22, vcc_lo
	s_and_saveexec_b32 s22, s23
; %bb.1017:                             ;   in Loop: Header=BB1326_980 Depth=2
	v_bcnt_u32_b32 v38, v38, 0
	ds_write_b32 v153, v38 offset:544
; %bb.1018:                             ;   in Loop: Header=BB1326_980 Depth=2
	s_or_b32 exec_lo, exec_lo, s22
	v_cmp_gt_i32_e32 vcc_lo, 0, v151
	; wave barrier
	v_cndmask_b32_e64 v38, 0x7fffffff, 0, vcc_lo
	v_xor_b32_e32 v151, v38, v151
	v_cmp_ne_u32_e32 vcc_lo, 0x80000000, v151
	v_cndmask_b32_e32 v38, 0x7fffffff, v151, vcc_lo
	v_lshrrev_b32_e32 v38, s53, v38
	v_and_b32_e32 v157, s61, v38
	v_and_b32_e32 v38, 1, v157
	v_lshlrev_b32_e32 v155, 30, v157
	v_lshlrev_b32_e32 v156, 29, v157
	;; [unrolled: 1-line block ×4, first 2 shown]
	v_add_co_u32 v38, s22, v38, -1
	v_cndmask_b32_e64 v159, 0, 1, s22
	v_not_b32_e32 v165, v155
	v_cmp_gt_i32_e64 s22, 0, v155
	v_not_b32_e32 v155, v156
	v_lshlrev_b32_e32 v163, 26, v157
	v_cmp_ne_u32_e32 vcc_lo, 0, v159
	v_ashrrev_i32_e32 v165, 31, v165
	v_lshlrev_b32_e32 v159, 25, v157
	v_ashrrev_i32_e32 v155, 31, v155
	v_xor_b32_e32 v38, vcc_lo, v38
	v_cmp_gt_i32_e32 vcc_lo, 0, v156
	v_not_b32_e32 v156, v160
	v_xor_b32_e32 v165, s22, v165
	v_cmp_gt_i32_e64 s22, 0, v160
	v_and_b32_e32 v38, exec_lo, v38
	v_not_b32_e32 v160, v161
	v_ashrrev_i32_e32 v156, 31, v156
	v_xor_b32_e32 v155, vcc_lo, v155
	v_cmp_gt_i32_e32 vcc_lo, 0, v161
	v_and_b32_e32 v38, v38, v165
	v_not_b32_e32 v161, v163
	v_ashrrev_i32_e32 v160, 31, v160
	v_xor_b32_e32 v156, s22, v156
	v_cmp_gt_i32_e64 s22, 0, v163
	v_and_b32_e32 v38, v38, v155
	v_not_b32_e32 v155, v159
	v_ashrrev_i32_e32 v161, 31, v161
	v_xor_b32_e32 v160, vcc_lo, v160
	v_cmp_gt_i32_e32 vcc_lo, 0, v159
	v_and_b32_e32 v38, v38, v156
	v_ashrrev_i32_e32 v155, 31, v155
	v_xor_b32_e32 v156, s22, v161
	v_mad_u32_u24 v159, v157, 36, v131
	v_mul_u32_u24_e32 v157, 36, v157
	v_and_b32_e32 v38, v38, v160
	v_xor_b32_e32 v160, vcc_lo, v155
	ds_read_b32 v155, v159 offset:544
	v_add_nc_u32_e32 v157, v131, v157
	v_and_b32_e32 v38, v38, v156
	; wave barrier
	v_and_b32_e32 v38, v38, v160
	v_mbcnt_lo_u32_b32 v156, v38, 0
	v_cmp_ne_u32_e64 s22, 0, v38
	v_cmp_eq_u32_e32 vcc_lo, 0, v156
	s_and_b32 s23, s22, vcc_lo
	s_and_saveexec_b32 s22, s23
	s_cbranch_execz .LBB1326_1020
; %bb.1019:                             ;   in Loop: Header=BB1326_980 Depth=2
	s_waitcnt lgkmcnt(0)
	v_bcnt_u32_b32 v38, v38, v155
	ds_write_b32 v157, v38 offset:544
.LBB1326_1020:                          ;   in Loop: Header=BB1326_980 Depth=2
	s_or_b32 exec_lo, exec_lo, s22
	v_cmp_gt_i32_e32 vcc_lo, 0, v154
	; wave barrier
	v_cndmask_b32_e64 v38, 0x7fffffff, 0, vcc_lo
	v_xor_b32_e32 v154, v38, v154
	v_cmp_ne_u32_e32 vcc_lo, 0x80000000, v154
	v_cndmask_b32_e32 v38, 0x7fffffff, v154, vcc_lo
	v_lshrrev_b32_e32 v38, s53, v38
	v_and_b32_e32 v161, s61, v38
	v_and_b32_e32 v38, 1, v161
	v_lshlrev_b32_e32 v159, 30, v161
	v_lshlrev_b32_e32 v160, 29, v161
	;; [unrolled: 1-line block ×4, first 2 shown]
	v_add_co_u32 v38, s22, v38, -1
	v_cndmask_b32_e64 v163, 0, 1, s22
	v_not_b32_e32 v170, v159
	v_cmp_gt_i32_e64 s22, 0, v159
	v_not_b32_e32 v159, v160
	v_lshlrev_b32_e32 v169, 26, v161
	v_cmp_ne_u32_e32 vcc_lo, 0, v163
	v_ashrrev_i32_e32 v170, 31, v170
	v_lshlrev_b32_e32 v163, 25, v161
	v_ashrrev_i32_e32 v159, 31, v159
	v_xor_b32_e32 v38, vcc_lo, v38
	v_cmp_gt_i32_e32 vcc_lo, 0, v160
	v_not_b32_e32 v160, v165
	v_xor_b32_e32 v170, s22, v170
	v_cmp_gt_i32_e64 s22, 0, v165
	v_and_b32_e32 v38, exec_lo, v38
	v_not_b32_e32 v165, v166
	v_ashrrev_i32_e32 v160, 31, v160
	v_xor_b32_e32 v159, vcc_lo, v159
	v_cmp_gt_i32_e32 vcc_lo, 0, v166
	v_and_b32_e32 v38, v38, v170
	v_not_b32_e32 v166, v169
	v_ashrrev_i32_e32 v165, 31, v165
	v_xor_b32_e32 v160, s22, v160
	v_cmp_gt_i32_e64 s22, 0, v169
	v_and_b32_e32 v38, v38, v159
	v_not_b32_e32 v159, v163
	v_ashrrev_i32_e32 v166, 31, v166
	v_xor_b32_e32 v165, vcc_lo, v165
	v_cmp_gt_i32_e32 vcc_lo, 0, v163
	v_and_b32_e32 v38, v38, v160
	v_ashrrev_i32_e32 v159, 31, v159
	v_xor_b32_e32 v160, s22, v166
	v_mad_u32_u24 v163, v161, 36, v131
	v_mul_u32_u24_e32 v161, 36, v161
	v_and_b32_e32 v38, v38, v165
	v_xor_b32_e32 v165, vcc_lo, v159
	ds_read_b32 v159, v163 offset:544
	v_add_nc_u32_e32 v161, v131, v161
	v_and_b32_e32 v38, v38, v160
	; wave barrier
	v_and_b32_e32 v38, v38, v165
	v_mbcnt_lo_u32_b32 v160, v38, 0
	v_cmp_ne_u32_e64 s22, 0, v38
	v_cmp_eq_u32_e32 vcc_lo, 0, v160
	s_and_b32 s23, s22, vcc_lo
	s_and_saveexec_b32 s22, s23
	s_cbranch_execz .LBB1326_1022
; %bb.1021:                             ;   in Loop: Header=BB1326_980 Depth=2
	s_waitcnt lgkmcnt(0)
	v_bcnt_u32_b32 v38, v38, v159
	ds_write_b32 v161, v38 offset:544
.LBB1326_1022:                          ;   in Loop: Header=BB1326_980 Depth=2
	s_or_b32 exec_lo, exec_lo, s22
	v_cmp_gt_i32_e32 vcc_lo, 0, v158
	; wave barrier
	v_cndmask_b32_e64 v38, 0x7fffffff, 0, vcc_lo
	v_xor_b32_e32 v158, v38, v158
	v_cmp_ne_u32_e32 vcc_lo, 0x80000000, v158
	v_cndmask_b32_e32 v38, 0x7fffffff, v158, vcc_lo
	v_lshrrev_b32_e32 v38, s53, v38
	v_and_b32_e32 v166, s61, v38
	v_and_b32_e32 v38, 1, v166
	v_lshlrev_b32_e32 v163, 30, v166
	v_lshlrev_b32_e32 v165, 29, v166
	;; [unrolled: 1-line block ×4, first 2 shown]
	v_add_co_u32 v38, s22, v38, -1
	v_cndmask_b32_e64 v169, 0, 1, s22
	v_not_b32_e32 v175, v163
	v_cmp_gt_i32_e64 s22, 0, v163
	v_not_b32_e32 v163, v165
	v_lshlrev_b32_e32 v174, 26, v166
	v_cmp_ne_u32_e32 vcc_lo, 0, v169
	v_ashrrev_i32_e32 v175, 31, v175
	v_lshlrev_b32_e32 v169, 25, v166
	v_ashrrev_i32_e32 v163, 31, v163
	v_xor_b32_e32 v38, vcc_lo, v38
	v_cmp_gt_i32_e32 vcc_lo, 0, v165
	v_not_b32_e32 v165, v170
	v_xor_b32_e32 v175, s22, v175
	v_cmp_gt_i32_e64 s22, 0, v170
	v_and_b32_e32 v38, exec_lo, v38
	v_not_b32_e32 v170, v171
	v_ashrrev_i32_e32 v165, 31, v165
	v_xor_b32_e32 v163, vcc_lo, v163
	v_cmp_gt_i32_e32 vcc_lo, 0, v171
	v_and_b32_e32 v38, v38, v175
	v_not_b32_e32 v171, v174
	v_ashrrev_i32_e32 v170, 31, v170
	v_xor_b32_e32 v165, s22, v165
	v_cmp_gt_i32_e64 s22, 0, v174
	v_and_b32_e32 v38, v38, v163
	v_not_b32_e32 v163, v169
	v_ashrrev_i32_e32 v171, 31, v171
	v_xor_b32_e32 v170, vcc_lo, v170
	v_cmp_gt_i32_e32 vcc_lo, 0, v169
	v_and_b32_e32 v38, v38, v165
	v_ashrrev_i32_e32 v163, 31, v163
	v_xor_b32_e32 v165, s22, v171
	v_mad_u32_u24 v169, v166, 36, v131
	v_mul_u32_u24_e32 v166, 36, v166
	v_and_b32_e32 v38, v38, v170
	v_xor_b32_e32 v170, vcc_lo, v163
	ds_read_b32 v163, v169 offset:544
	v_add_nc_u32_e32 v166, v131, v166
	v_and_b32_e32 v38, v38, v165
	; wave barrier
	v_and_b32_e32 v38, v38, v170
	v_mbcnt_lo_u32_b32 v165, v38, 0
	v_cmp_ne_u32_e64 s22, 0, v38
	v_cmp_eq_u32_e32 vcc_lo, 0, v165
	s_and_b32 s23, s22, vcc_lo
	s_and_saveexec_b32 s22, s23
	s_cbranch_execz .LBB1326_1024
; %bb.1023:                             ;   in Loop: Header=BB1326_980 Depth=2
	s_waitcnt lgkmcnt(0)
	v_bcnt_u32_b32 v38, v38, v163
	ds_write_b32 v166, v38 offset:544
.LBB1326_1024:                          ;   in Loop: Header=BB1326_980 Depth=2
	s_or_b32 exec_lo, exec_lo, s22
	v_cmp_gt_i32_e32 vcc_lo, 0, v162
	; wave barrier
	v_cndmask_b32_e64 v38, 0x7fffffff, 0, vcc_lo
	v_xor_b32_e32 v162, v38, v162
	v_cmp_ne_u32_e32 vcc_lo, 0x80000000, v162
	v_cndmask_b32_e32 v38, 0x7fffffff, v162, vcc_lo
	v_lshrrev_b32_e32 v38, s53, v38
	v_and_b32_e32 v171, s61, v38
	v_and_b32_e32 v38, 1, v171
	v_lshlrev_b32_e32 v169, 30, v171
	v_lshlrev_b32_e32 v170, 29, v171
	;; [unrolled: 1-line block ×4, first 2 shown]
	v_add_co_u32 v38, s22, v38, -1
	v_cndmask_b32_e64 v174, 0, 1, s22
	v_not_b32_e32 v180, v169
	v_cmp_gt_i32_e64 s22, 0, v169
	v_not_b32_e32 v169, v170
	v_lshlrev_b32_e32 v179, 26, v171
	v_cmp_ne_u32_e32 vcc_lo, 0, v174
	v_ashrrev_i32_e32 v180, 31, v180
	v_lshlrev_b32_e32 v174, 25, v171
	v_ashrrev_i32_e32 v169, 31, v169
	v_xor_b32_e32 v38, vcc_lo, v38
	v_cmp_gt_i32_e32 vcc_lo, 0, v170
	v_not_b32_e32 v170, v175
	v_xor_b32_e32 v180, s22, v180
	v_cmp_gt_i32_e64 s22, 0, v175
	v_and_b32_e32 v38, exec_lo, v38
	v_not_b32_e32 v175, v177
	v_ashrrev_i32_e32 v170, 31, v170
	v_xor_b32_e32 v169, vcc_lo, v169
	v_cmp_gt_i32_e32 vcc_lo, 0, v177
	v_and_b32_e32 v38, v38, v180
	v_not_b32_e32 v177, v179
	v_ashrrev_i32_e32 v175, 31, v175
	v_xor_b32_e32 v170, s22, v170
	v_cmp_gt_i32_e64 s22, 0, v179
	v_and_b32_e32 v38, v38, v169
	v_not_b32_e32 v169, v174
	v_ashrrev_i32_e32 v177, 31, v177
	v_xor_b32_e32 v175, vcc_lo, v175
	v_cmp_gt_i32_e32 vcc_lo, 0, v174
	v_and_b32_e32 v38, v38, v170
	v_ashrrev_i32_e32 v169, 31, v169
	v_xor_b32_e32 v170, s22, v177
	v_mad_u32_u24 v174, v171, 36, v131
	v_mul_u32_u24_e32 v171, 36, v171
	v_and_b32_e32 v38, v38, v175
	v_xor_b32_e32 v175, vcc_lo, v169
	ds_read_b32 v169, v174 offset:544
	v_add_nc_u32_e32 v171, v131, v171
	v_and_b32_e32 v38, v38, v170
	; wave barrier
	v_and_b32_e32 v38, v38, v175
	v_mbcnt_lo_u32_b32 v170, v38, 0
	v_cmp_ne_u32_e64 s22, 0, v38
	v_cmp_eq_u32_e32 vcc_lo, 0, v170
	s_and_b32 s23, s22, vcc_lo
	s_and_saveexec_b32 s22, s23
	s_cbranch_execz .LBB1326_1026
; %bb.1025:                             ;   in Loop: Header=BB1326_980 Depth=2
	s_waitcnt lgkmcnt(0)
	v_bcnt_u32_b32 v38, v38, v169
	ds_write_b32 v171, v38 offset:544
.LBB1326_1026:                          ;   in Loop: Header=BB1326_980 Depth=2
	s_or_b32 exec_lo, exec_lo, s22
	v_cmp_gt_i32_e32 vcc_lo, 0, v168
	; wave barrier
	v_cndmask_b32_e64 v38, 0x7fffffff, 0, vcc_lo
	v_xor_b32_e32 v168, v38, v168
	v_cmp_ne_u32_e32 vcc_lo, 0x80000000, v168
	v_cndmask_b32_e32 v38, 0x7fffffff, v168, vcc_lo
	v_lshrrev_b32_e32 v38, s53, v38
	v_and_b32_e32 v177, s61, v38
	v_and_b32_e32 v38, 1, v177
	v_lshlrev_b32_e32 v174, 30, v177
	v_lshlrev_b32_e32 v175, 29, v177
	v_lshlrev_b32_e32 v180, 28, v177
	v_lshlrev_b32_e32 v182, 27, v177
	v_add_co_u32 v38, s22, v38, -1
	v_cndmask_b32_e64 v179, 0, 1, s22
	v_not_b32_e32 v184, v174
	v_cmp_gt_i32_e64 s22, 0, v174
	v_not_b32_e32 v174, v175
	v_lshlrev_b32_e32 v183, 26, v177
	v_cmp_ne_u32_e32 vcc_lo, 0, v179
	v_ashrrev_i32_e32 v184, 31, v184
	v_lshlrev_b32_e32 v179, 25, v177
	v_ashrrev_i32_e32 v174, 31, v174
	v_xor_b32_e32 v38, vcc_lo, v38
	v_cmp_gt_i32_e32 vcc_lo, 0, v175
	v_not_b32_e32 v175, v180
	v_xor_b32_e32 v184, s22, v184
	v_cmp_gt_i32_e64 s22, 0, v180
	v_and_b32_e32 v38, exec_lo, v38
	v_not_b32_e32 v180, v182
	v_ashrrev_i32_e32 v175, 31, v175
	v_xor_b32_e32 v174, vcc_lo, v174
	v_cmp_gt_i32_e32 vcc_lo, 0, v182
	v_and_b32_e32 v38, v38, v184
	v_not_b32_e32 v182, v183
	v_ashrrev_i32_e32 v180, 31, v180
	v_xor_b32_e32 v175, s22, v175
	v_cmp_gt_i32_e64 s22, 0, v183
	v_and_b32_e32 v38, v38, v174
	v_not_b32_e32 v174, v179
	v_ashrrev_i32_e32 v182, 31, v182
	v_xor_b32_e32 v180, vcc_lo, v180
	v_cmp_gt_i32_e32 vcc_lo, 0, v179
	v_and_b32_e32 v38, v38, v175
	v_ashrrev_i32_e32 v174, 31, v174
	v_xor_b32_e32 v175, s22, v182
	v_mad_u32_u24 v179, v177, 36, v131
	v_mul_u32_u24_e32 v177, 36, v177
	v_and_b32_e32 v38, v38, v180
	v_xor_b32_e32 v180, vcc_lo, v174
	ds_read_b32 v174, v179 offset:544
	v_add_nc_u32_e32 v177, v131, v177
	v_and_b32_e32 v38, v38, v175
	; wave barrier
	v_and_b32_e32 v38, v38, v180
	v_mbcnt_lo_u32_b32 v175, v38, 0
	v_cmp_ne_u32_e64 s22, 0, v38
	v_cmp_eq_u32_e32 vcc_lo, 0, v175
	s_and_b32 s23, s22, vcc_lo
	s_and_saveexec_b32 s22, s23
	s_cbranch_execz .LBB1326_1028
; %bb.1027:                             ;   in Loop: Header=BB1326_980 Depth=2
	s_waitcnt lgkmcnt(0)
	v_bcnt_u32_b32 v38, v38, v174
	ds_write_b32 v177, v38 offset:544
.LBB1326_1028:                          ;   in Loop: Header=BB1326_980 Depth=2
	s_or_b32 exec_lo, exec_lo, s22
	v_cmp_gt_i32_e32 vcc_lo, 0, v173
	; wave barrier
	v_cndmask_b32_e64 v38, 0x7fffffff, 0, vcc_lo
	v_xor_b32_e32 v173, v38, v173
	v_cmp_ne_u32_e32 vcc_lo, 0x80000000, v173
	v_cndmask_b32_e32 v38, 0x7fffffff, v173, vcc_lo
	v_lshrrev_b32_e32 v38, s53, v38
	v_and_b32_e32 v182, s61, v38
	v_and_b32_e32 v38, 1, v182
	v_lshlrev_b32_e32 v179, 30, v182
	v_lshlrev_b32_e32 v180, 29, v182
	;; [unrolled: 1-line block ×4, first 2 shown]
	v_add_co_u32 v38, s22, v38, -1
	v_cndmask_b32_e64 v183, 0, 1, s22
	v_not_b32_e32 v187, v179
	v_cmp_gt_i32_e64 s22, 0, v179
	v_not_b32_e32 v179, v180
	v_lshlrev_b32_e32 v186, 26, v182
	v_cmp_ne_u32_e32 vcc_lo, 0, v183
	v_ashrrev_i32_e32 v187, 31, v187
	v_lshlrev_b32_e32 v183, 25, v182
	v_ashrrev_i32_e32 v179, 31, v179
	v_xor_b32_e32 v38, vcc_lo, v38
	v_cmp_gt_i32_e32 vcc_lo, 0, v180
	v_not_b32_e32 v180, v184
	v_xor_b32_e32 v187, s22, v187
	v_cmp_gt_i32_e64 s22, 0, v184
	v_and_b32_e32 v38, exec_lo, v38
	v_not_b32_e32 v184, v185
	v_ashrrev_i32_e32 v180, 31, v180
	v_xor_b32_e32 v179, vcc_lo, v179
	v_cmp_gt_i32_e32 vcc_lo, 0, v185
	v_and_b32_e32 v38, v38, v187
	v_not_b32_e32 v185, v186
	v_ashrrev_i32_e32 v184, 31, v184
	v_xor_b32_e32 v180, s22, v180
	v_cmp_gt_i32_e64 s22, 0, v186
	v_and_b32_e32 v38, v38, v179
	v_not_b32_e32 v179, v183
	v_ashrrev_i32_e32 v185, 31, v185
	v_xor_b32_e32 v184, vcc_lo, v184
	v_cmp_gt_i32_e32 vcc_lo, 0, v183
	v_and_b32_e32 v38, v38, v180
	v_ashrrev_i32_e32 v179, 31, v179
	v_xor_b32_e32 v180, s22, v185
	v_mad_u32_u24 v183, v182, 36, v131
	v_mul_u32_u24_e32 v182, 36, v182
	v_and_b32_e32 v38, v38, v184
	v_xor_b32_e32 v184, vcc_lo, v179
	ds_read_b32 v179, v183 offset:544
	v_add_nc_u32_e32 v182, v131, v182
	v_and_b32_e32 v38, v38, v180
	; wave barrier
	v_and_b32_e32 v38, v38, v184
	v_mbcnt_lo_u32_b32 v180, v38, 0
	v_cmp_ne_u32_e64 s22, 0, v38
	v_cmp_eq_u32_e32 vcc_lo, 0, v180
	s_and_b32 s23, s22, vcc_lo
	s_and_saveexec_b32 s22, s23
	s_cbranch_execz .LBB1326_1030
; %bb.1029:                             ;   in Loop: Header=BB1326_980 Depth=2
	s_waitcnt lgkmcnt(0)
	v_bcnt_u32_b32 v38, v38, v179
	ds_write_b32 v182, v38 offset:544
.LBB1326_1030:                          ;   in Loop: Header=BB1326_980 Depth=2
	s_or_b32 exec_lo, exec_lo, s22
	v_cmp_gt_i32_e32 vcc_lo, 0, v178
	; wave barrier
	v_cndmask_b32_e64 v38, 0x7fffffff, 0, vcc_lo
	v_xor_b32_e32 v178, v38, v178
	v_cmp_ne_u32_e32 vcc_lo, 0x80000000, v178
	v_cndmask_b32_e32 v38, 0x7fffffff, v178, vcc_lo
	v_lshrrev_b32_e32 v38, s53, v38
	v_and_b32_e32 v185, s61, v38
	v_and_b32_e32 v38, 1, v185
	v_lshlrev_b32_e32 v183, 30, v185
	v_lshlrev_b32_e32 v184, 29, v185
	v_lshlrev_b32_e32 v187, 28, v185
	v_lshlrev_b32_e32 v188, 27, v185
	v_add_co_u32 v38, s22, v38, -1
	v_cndmask_b32_e64 v186, 0, 1, s22
	v_not_b32_e32 v190, v183
	v_cmp_gt_i32_e64 s22, 0, v183
	v_not_b32_e32 v183, v184
	v_lshlrev_b32_e32 v189, 26, v185
	v_cmp_ne_u32_e32 vcc_lo, 0, v186
	v_ashrrev_i32_e32 v190, 31, v190
	v_lshlrev_b32_e32 v186, 25, v185
	v_ashrrev_i32_e32 v183, 31, v183
	v_xor_b32_e32 v38, vcc_lo, v38
	v_cmp_gt_i32_e32 vcc_lo, 0, v184
	v_not_b32_e32 v184, v187
	v_xor_b32_e32 v190, s22, v190
	v_cmp_gt_i32_e64 s22, 0, v187
	v_and_b32_e32 v38, exec_lo, v38
	v_not_b32_e32 v187, v188
	v_ashrrev_i32_e32 v184, 31, v184
	v_xor_b32_e32 v183, vcc_lo, v183
	v_cmp_gt_i32_e32 vcc_lo, 0, v188
	v_and_b32_e32 v38, v38, v190
	v_not_b32_e32 v188, v189
	v_ashrrev_i32_e32 v187, 31, v187
	v_xor_b32_e32 v184, s22, v184
	v_cmp_gt_i32_e64 s22, 0, v189
	v_and_b32_e32 v38, v38, v183
	v_not_b32_e32 v183, v186
	v_ashrrev_i32_e32 v188, 31, v188
	v_xor_b32_e32 v187, vcc_lo, v187
	v_cmp_gt_i32_e32 vcc_lo, 0, v186
	v_and_b32_e32 v38, v38, v184
	v_ashrrev_i32_e32 v183, 31, v183
	v_xor_b32_e32 v184, s22, v188
	v_mad_u32_u24 v186, v185, 36, v131
	v_mul_u32_u24_e32 v185, 36, v185
	v_and_b32_e32 v38, v38, v187
	v_xor_b32_e32 v187, vcc_lo, v183
	ds_read_b32 v183, v186 offset:544
	v_add_nc_u32_e32 v185, v131, v185
	v_and_b32_e32 v38, v38, v184
	; wave barrier
	v_and_b32_e32 v38, v38, v187
	v_mbcnt_lo_u32_b32 v184, v38, 0
	v_cmp_ne_u32_e64 s22, 0, v38
	v_cmp_eq_u32_e32 vcc_lo, 0, v184
	s_and_b32 s23, s22, vcc_lo
	s_and_saveexec_b32 s22, s23
	s_cbranch_execz .LBB1326_1032
; %bb.1031:                             ;   in Loop: Header=BB1326_980 Depth=2
	s_waitcnt lgkmcnt(0)
	v_bcnt_u32_b32 v38, v38, v183
	ds_write_b32 v185, v38 offset:544
.LBB1326_1032:                          ;   in Loop: Header=BB1326_980 Depth=2
	s_or_b32 exec_lo, exec_lo, s22
	v_cmp_gt_i32_e32 vcc_lo, 0, v181
	; wave barrier
	v_cndmask_b32_e64 v38, 0x7fffffff, 0, vcc_lo
	v_xor_b32_e32 v181, v38, v181
	v_cmp_ne_u32_e32 vcc_lo, 0x80000000, v181
	v_cndmask_b32_e32 v38, 0x7fffffff, v181, vcc_lo
	v_lshrrev_b32_e32 v38, s53, v38
	v_and_b32_e32 v188, s61, v38
	v_and_b32_e32 v38, 1, v188
	v_lshlrev_b32_e32 v186, 30, v188
	v_lshlrev_b32_e32 v187, 29, v188
	;; [unrolled: 1-line block ×4, first 2 shown]
	v_add_co_u32 v38, s22, v38, -1
	v_cndmask_b32_e64 v189, 0, 1, s22
	v_not_b32_e32 v193, v186
	v_cmp_gt_i32_e64 s22, 0, v186
	v_not_b32_e32 v186, v187
	v_lshlrev_b32_e32 v192, 26, v188
	v_cmp_ne_u32_e32 vcc_lo, 0, v189
	v_ashrrev_i32_e32 v193, 31, v193
	v_lshlrev_b32_e32 v189, 25, v188
	v_ashrrev_i32_e32 v186, 31, v186
	v_xor_b32_e32 v38, vcc_lo, v38
	v_cmp_gt_i32_e32 vcc_lo, 0, v187
	v_not_b32_e32 v187, v190
	v_xor_b32_e32 v193, s22, v193
	v_cmp_gt_i32_e64 s22, 0, v190
	v_and_b32_e32 v38, exec_lo, v38
	v_not_b32_e32 v190, v191
	v_ashrrev_i32_e32 v187, 31, v187
	v_xor_b32_e32 v186, vcc_lo, v186
	v_cmp_gt_i32_e32 vcc_lo, 0, v191
	v_and_b32_e32 v38, v38, v193
	v_not_b32_e32 v191, v192
	v_ashrrev_i32_e32 v190, 31, v190
	v_xor_b32_e32 v187, s22, v187
	v_cmp_gt_i32_e64 s22, 0, v192
	v_and_b32_e32 v38, v38, v186
	v_not_b32_e32 v186, v189
	v_ashrrev_i32_e32 v191, 31, v191
	v_xor_b32_e32 v190, vcc_lo, v190
	v_cmp_gt_i32_e32 vcc_lo, 0, v189
	v_and_b32_e32 v38, v38, v187
	v_ashrrev_i32_e32 v186, 31, v186
	v_xor_b32_e32 v187, s22, v191
	v_mad_u32_u24 v189, v188, 36, v131
	v_mul_u32_u24_e32 v188, 36, v188
	v_and_b32_e32 v38, v38, v190
	v_xor_b32_e32 v190, vcc_lo, v186
	ds_read_b32 v186, v189 offset:544
	v_add_nc_u32_e32 v188, v131, v188
	v_and_b32_e32 v38, v38, v187
	; wave barrier
	v_and_b32_e32 v38, v38, v190
	v_mbcnt_lo_u32_b32 v187, v38, 0
	v_cmp_ne_u32_e64 s22, 0, v38
	v_cmp_eq_u32_e32 vcc_lo, 0, v187
	s_and_b32 s23, s22, vcc_lo
	s_and_saveexec_b32 s22, s23
	s_cbranch_execz .LBB1326_1034
; %bb.1033:                             ;   in Loop: Header=BB1326_980 Depth=2
	s_waitcnt lgkmcnt(0)
	v_bcnt_u32_b32 v38, v38, v186
	ds_write_b32 v188, v38 offset:544
.LBB1326_1034:                          ;   in Loop: Header=BB1326_980 Depth=2
	s_or_b32 exec_lo, exec_lo, s22
	v_cmp_gt_i32_e32 vcc_lo, 0, v176
	; wave barrier
	v_cndmask_b32_e64 v38, 0x7fffffff, 0, vcc_lo
	v_xor_b32_e32 v176, v38, v176
	v_cmp_ne_u32_e32 vcc_lo, 0x80000000, v176
	v_cndmask_b32_e32 v38, 0x7fffffff, v176, vcc_lo
	v_lshrrev_b32_e32 v38, s53, v38
	v_and_b32_e32 v191, s61, v38
	v_and_b32_e32 v38, 1, v191
	v_lshlrev_b32_e32 v189, 30, v191
	v_lshlrev_b32_e32 v190, 29, v191
	;; [unrolled: 1-line block ×4, first 2 shown]
	v_add_co_u32 v38, s22, v38, -1
	v_cndmask_b32_e64 v192, 0, 1, s22
	v_not_b32_e32 v196, v189
	v_cmp_gt_i32_e64 s22, 0, v189
	v_not_b32_e32 v189, v190
	v_lshlrev_b32_e32 v195, 26, v191
	v_cmp_ne_u32_e32 vcc_lo, 0, v192
	v_ashrrev_i32_e32 v196, 31, v196
	v_lshlrev_b32_e32 v192, 25, v191
	v_ashrrev_i32_e32 v189, 31, v189
	v_xor_b32_e32 v38, vcc_lo, v38
	v_cmp_gt_i32_e32 vcc_lo, 0, v190
	v_not_b32_e32 v190, v193
	v_xor_b32_e32 v196, s22, v196
	v_cmp_gt_i32_e64 s22, 0, v193
	v_and_b32_e32 v38, exec_lo, v38
	v_not_b32_e32 v193, v194
	v_ashrrev_i32_e32 v190, 31, v190
	v_xor_b32_e32 v189, vcc_lo, v189
	v_cmp_gt_i32_e32 vcc_lo, 0, v194
	v_and_b32_e32 v38, v38, v196
	v_not_b32_e32 v194, v195
	v_ashrrev_i32_e32 v193, 31, v193
	v_xor_b32_e32 v190, s22, v190
	v_cmp_gt_i32_e64 s22, 0, v195
	v_and_b32_e32 v38, v38, v189
	v_not_b32_e32 v189, v192
	v_ashrrev_i32_e32 v194, 31, v194
	v_xor_b32_e32 v193, vcc_lo, v193
	v_cmp_gt_i32_e32 vcc_lo, 0, v192
	v_and_b32_e32 v38, v38, v190
	v_ashrrev_i32_e32 v189, 31, v189
	v_xor_b32_e32 v190, s22, v194
	v_mad_u32_u24 v192, v191, 36, v131
	v_mul_u32_u24_e32 v191, 36, v191
	v_and_b32_e32 v38, v38, v193
	v_xor_b32_e32 v193, vcc_lo, v189
	ds_read_b32 v189, v192 offset:544
	v_add_nc_u32_e32 v191, v131, v191
	v_and_b32_e32 v38, v38, v190
	; wave barrier
	v_and_b32_e32 v38, v38, v193
	v_mbcnt_lo_u32_b32 v190, v38, 0
	v_cmp_ne_u32_e64 s22, 0, v38
	v_cmp_eq_u32_e32 vcc_lo, 0, v190
	s_and_b32 s23, s22, vcc_lo
	s_and_saveexec_b32 s22, s23
	s_cbranch_execz .LBB1326_1036
; %bb.1035:                             ;   in Loop: Header=BB1326_980 Depth=2
	s_waitcnt lgkmcnt(0)
	v_bcnt_u32_b32 v38, v38, v189
	ds_write_b32 v191, v38 offset:544
.LBB1326_1036:                          ;   in Loop: Header=BB1326_980 Depth=2
	s_or_b32 exec_lo, exec_lo, s22
	v_cmp_gt_i32_e32 vcc_lo, 0, v172
	; wave barrier
	v_cndmask_b32_e64 v38, 0x7fffffff, 0, vcc_lo
	v_xor_b32_e32 v172, v38, v172
	v_cmp_ne_u32_e32 vcc_lo, 0x80000000, v172
	v_cndmask_b32_e32 v38, 0x7fffffff, v172, vcc_lo
	v_lshrrev_b32_e32 v38, s53, v38
	v_and_b32_e32 v192, s61, v38
	v_and_b32_e32 v38, 1, v192
	v_lshlrev_b32_e32 v193, 30, v192
	v_lshlrev_b32_e32 v194, 29, v192
	;; [unrolled: 1-line block ×4, first 2 shown]
	v_add_co_u32 v38, s22, v38, -1
	v_cndmask_b32_e64 v195, 0, 1, s22
	v_not_b32_e32 v199, v193
	v_cmp_gt_i32_e64 s22, 0, v193
	v_not_b32_e32 v193, v194
	v_lshlrev_b32_e32 v198, 26, v192
	v_cmp_ne_u32_e32 vcc_lo, 0, v195
	v_ashrrev_i32_e32 v199, 31, v199
	v_lshlrev_b32_e32 v195, 25, v192
	v_ashrrev_i32_e32 v193, 31, v193
	v_xor_b32_e32 v38, vcc_lo, v38
	v_cmp_gt_i32_e32 vcc_lo, 0, v194
	v_not_b32_e32 v194, v196
	v_xor_b32_e32 v199, s22, v199
	v_cmp_gt_i32_e64 s22, 0, v196
	v_and_b32_e32 v38, exec_lo, v38
	v_not_b32_e32 v196, v197
	v_ashrrev_i32_e32 v194, 31, v194
	v_xor_b32_e32 v193, vcc_lo, v193
	v_cmp_gt_i32_e32 vcc_lo, 0, v197
	v_and_b32_e32 v38, v38, v199
	v_not_b32_e32 v197, v198
	v_ashrrev_i32_e32 v196, 31, v196
	v_xor_b32_e32 v194, s22, v194
	v_cmp_gt_i32_e64 s22, 0, v198
	v_and_b32_e32 v38, v38, v193
	v_not_b32_e32 v193, v195
	v_ashrrev_i32_e32 v197, 31, v197
	v_xor_b32_e32 v196, vcc_lo, v196
	v_cmp_gt_i32_e32 vcc_lo, 0, v195
	v_and_b32_e32 v38, v38, v194
	v_ashrrev_i32_e32 v193, 31, v193
	v_xor_b32_e32 v194, s22, v197
	v_mad_u32_u24 v195, v192, 36, v131
	v_mul_u32_u24_e32 v192, 36, v192
	v_and_b32_e32 v38, v38, v196
	v_xor_b32_e32 v196, vcc_lo, v193
	ds_read_b32 v193, v195 offset:544
	v_add_nc_u32_e32 v195, v131, v192
	v_and_b32_e32 v38, v38, v194
	; wave barrier
	v_and_b32_e32 v38, v38, v196
	v_mbcnt_lo_u32_b32 v194, v38, 0
	v_cmp_ne_u32_e64 s22, 0, v38
	v_cmp_eq_u32_e32 vcc_lo, 0, v194
	s_and_b32 s23, s22, vcc_lo
	s_and_saveexec_b32 s22, s23
	s_cbranch_execz .LBB1326_1038
; %bb.1037:                             ;   in Loop: Header=BB1326_980 Depth=2
	s_waitcnt lgkmcnt(0)
	v_bcnt_u32_b32 v38, v38, v193
	ds_write_b32 v195, v38 offset:544
.LBB1326_1038:                          ;   in Loop: Header=BB1326_980 Depth=2
	s_or_b32 exec_lo, exec_lo, s22
	v_cmp_gt_i32_e32 vcc_lo, 0, v167
	; wave barrier
	v_cndmask_b32_e64 v38, 0x7fffffff, 0, vcc_lo
	v_xor_b32_e32 v192, v38, v167
	v_cmp_ne_u32_e32 vcc_lo, 0x80000000, v192
	v_cndmask_b32_e32 v38, 0x7fffffff, v192, vcc_lo
	v_lshrrev_b32_e32 v38, s53, v38
	v_and_b32_e32 v167, s61, v38
	v_and_b32_e32 v38, 1, v167
	v_lshlrev_b32_e32 v196, 30, v167
	v_lshlrev_b32_e32 v197, 29, v167
	;; [unrolled: 1-line block ×4, first 2 shown]
	v_add_co_u32 v38, s22, v38, -1
	v_cndmask_b32_e64 v198, 0, 1, s22
	v_not_b32_e32 v202, v196
	v_cmp_gt_i32_e64 s22, 0, v196
	v_not_b32_e32 v196, v197
	v_lshlrev_b32_e32 v201, 26, v167
	v_cmp_ne_u32_e32 vcc_lo, 0, v198
	v_ashrrev_i32_e32 v202, 31, v202
	v_lshlrev_b32_e32 v198, 25, v167
	v_ashrrev_i32_e32 v196, 31, v196
	v_xor_b32_e32 v38, vcc_lo, v38
	v_cmp_gt_i32_e32 vcc_lo, 0, v197
	v_not_b32_e32 v197, v199
	v_xor_b32_e32 v202, s22, v202
	v_cmp_gt_i32_e64 s22, 0, v199
	v_and_b32_e32 v38, exec_lo, v38
	v_not_b32_e32 v199, v200
	v_ashrrev_i32_e32 v197, 31, v197
	v_xor_b32_e32 v196, vcc_lo, v196
	v_cmp_gt_i32_e32 vcc_lo, 0, v200
	v_and_b32_e32 v38, v38, v202
	v_not_b32_e32 v200, v201
	v_ashrrev_i32_e32 v199, 31, v199
	v_xor_b32_e32 v197, s22, v197
	v_cmp_gt_i32_e64 s22, 0, v201
	v_and_b32_e32 v38, v38, v196
	v_not_b32_e32 v196, v198
	v_ashrrev_i32_e32 v200, 31, v200
	v_xor_b32_e32 v199, vcc_lo, v199
	v_cmp_gt_i32_e32 vcc_lo, 0, v198
	v_and_b32_e32 v38, v38, v197
	v_ashrrev_i32_e32 v196, 31, v196
	v_xor_b32_e32 v197, s22, v200
	v_mad_u32_u24 v198, v167, 36, v131
	v_mul_u32_u24_e32 v167, 36, v167
	v_and_b32_e32 v38, v38, v199
	v_xor_b32_e32 v196, vcc_lo, v196
	v_add_nc_u32_e32 v167, v131, v167
	v_and_b32_e32 v38, v38, v197
	ds_read_b32 v197, v198 offset:544
	; wave barrier
	v_and_b32_e32 v38, v38, v196
	v_mbcnt_lo_u32_b32 v198, v38, 0
	v_cmp_ne_u32_e64 s22, 0, v38
	v_cmp_eq_u32_e32 vcc_lo, 0, v198
	s_and_b32 s23, s22, vcc_lo
	s_and_saveexec_b32 s22, s23
	s_cbranch_execz .LBB1326_1040
; %bb.1039:                             ;   in Loop: Header=BB1326_980 Depth=2
	s_waitcnt lgkmcnt(0)
	v_bcnt_u32_b32 v38, v38, v197
	ds_write_b32 v167, v38 offset:544
.LBB1326_1040:                          ;   in Loop: Header=BB1326_980 Depth=2
	s_or_b32 exec_lo, exec_lo, s22
	v_cmp_gt_i32_e32 vcc_lo, 0, v164
	; wave barrier
	v_cndmask_b32_e64 v38, 0x7fffffff, 0, vcc_lo
	v_xor_b32_e32 v196, v38, v164
	v_cmp_ne_u32_e32 vcc_lo, 0x80000000, v196
	v_cndmask_b32_e32 v38, 0x7fffffff, v196, vcc_lo
	v_lshrrev_b32_e32 v38, s53, v38
	v_and_b32_e32 v164, s61, v38
	v_and_b32_e32 v38, 1, v164
	v_lshlrev_b32_e32 v199, 30, v164
	v_lshlrev_b32_e32 v200, 29, v164
	;; [unrolled: 1-line block ×4, first 2 shown]
	v_add_co_u32 v38, s22, v38, -1
	v_cndmask_b32_e64 v201, 0, 1, s22
	v_not_b32_e32 v205, v199
	v_cmp_gt_i32_e64 s22, 0, v199
	v_not_b32_e32 v199, v200
	v_lshlrev_b32_e32 v204, 26, v164
	v_cmp_ne_u32_e32 vcc_lo, 0, v201
	v_ashrrev_i32_e32 v205, 31, v205
	v_lshlrev_b32_e32 v201, 25, v164
	v_ashrrev_i32_e32 v199, 31, v199
	v_xor_b32_e32 v38, vcc_lo, v38
	v_cmp_gt_i32_e32 vcc_lo, 0, v200
	v_not_b32_e32 v200, v202
	v_xor_b32_e32 v205, s22, v205
	v_cmp_gt_i32_e64 s22, 0, v202
	v_and_b32_e32 v38, exec_lo, v38
	v_not_b32_e32 v202, v203
	v_ashrrev_i32_e32 v200, 31, v200
	v_xor_b32_e32 v199, vcc_lo, v199
	v_cmp_gt_i32_e32 vcc_lo, 0, v203
	v_and_b32_e32 v38, v38, v205
	v_not_b32_e32 v203, v204
	v_ashrrev_i32_e32 v202, 31, v202
	v_xor_b32_e32 v200, s22, v200
	v_cmp_gt_i32_e64 s22, 0, v204
	v_and_b32_e32 v38, v38, v199
	v_not_b32_e32 v199, v201
	v_ashrrev_i32_e32 v203, 31, v203
	v_xor_b32_e32 v202, vcc_lo, v202
	v_cmp_gt_i32_e32 vcc_lo, 0, v201
	v_and_b32_e32 v38, v38, v200
	v_ashrrev_i32_e32 v199, 31, v199
	v_xor_b32_e32 v200, s22, v203
	v_mad_u32_u24 v201, v164, 36, v131
	v_mul_u32_u24_e32 v164, 36, v164
	v_and_b32_e32 v38, v38, v202
	v_xor_b32_e32 v199, vcc_lo, v199
	v_add_nc_u32_e32 v164, v131, v164
	v_and_b32_e32 v38, v38, v200
	ds_read_b32 v200, v201 offset:544
	; wave barrier
	v_and_b32_e32 v38, v38, v199
	v_mbcnt_lo_u32_b32 v201, v38, 0
	v_cmp_ne_u32_e64 s22, 0, v38
	v_cmp_eq_u32_e32 vcc_lo, 0, v201
	s_and_b32 s23, s22, vcc_lo
	s_and_saveexec_b32 s22, s23
	s_cbranch_execz .LBB1326_1042
; %bb.1041:                             ;   in Loop: Header=BB1326_980 Depth=2
	s_waitcnt lgkmcnt(0)
	v_bcnt_u32_b32 v38, v38, v200
	ds_write_b32 v164, v38 offset:544
.LBB1326_1042:                          ;   in Loop: Header=BB1326_980 Depth=2
	s_or_b32 exec_lo, exec_lo, s22
	v_cmp_gt_i32_e32 vcc_lo, 0, v40
	; wave barrier
	v_cndmask_b32_e64 v38, 0x7fffffff, 0, vcc_lo
	v_xor_b32_e32 v199, v38, v40
	v_cmp_ne_u32_e32 vcc_lo, 0x80000000, v199
	v_cndmask_b32_e32 v38, 0x7fffffff, v199, vcc_lo
	v_lshrrev_b32_e32 v38, s53, v38
	v_and_b32_e32 v40, s61, v38
	v_and_b32_e32 v38, 1, v40
	v_lshlrev_b32_e32 v202, 30, v40
	v_lshlrev_b32_e32 v203, 29, v40
	;; [unrolled: 1-line block ×4, first 2 shown]
	v_add_co_u32 v38, s22, v38, -1
	v_cndmask_b32_e64 v204, 0, 1, s22
	v_not_b32_e32 v208, v202
	v_cmp_gt_i32_e64 s22, 0, v202
	v_not_b32_e32 v202, v203
	v_lshlrev_b32_e32 v207, 26, v40
	v_cmp_ne_u32_e32 vcc_lo, 0, v204
	v_ashrrev_i32_e32 v208, 31, v208
	v_lshlrev_b32_e32 v204, 25, v40
	v_ashrrev_i32_e32 v202, 31, v202
	v_xor_b32_e32 v38, vcc_lo, v38
	v_cmp_gt_i32_e32 vcc_lo, 0, v203
	v_not_b32_e32 v203, v205
	v_xor_b32_e32 v208, s22, v208
	v_cmp_gt_i32_e64 s22, 0, v205
	v_and_b32_e32 v38, exec_lo, v38
	v_not_b32_e32 v205, v206
	v_ashrrev_i32_e32 v203, 31, v203
	v_xor_b32_e32 v202, vcc_lo, v202
	v_cmp_gt_i32_e32 vcc_lo, 0, v206
	v_and_b32_e32 v38, v38, v208
	v_not_b32_e32 v206, v207
	v_ashrrev_i32_e32 v205, 31, v205
	v_xor_b32_e32 v203, s22, v203
	v_cmp_gt_i32_e64 s22, 0, v207
	v_and_b32_e32 v38, v38, v202
	v_not_b32_e32 v202, v204
	v_ashrrev_i32_e32 v206, 31, v206
	v_xor_b32_e32 v205, vcc_lo, v205
	v_cmp_gt_i32_e32 vcc_lo, 0, v204
	v_and_b32_e32 v38, v38, v203
	v_ashrrev_i32_e32 v202, 31, v202
	v_xor_b32_e32 v203, s22, v206
	v_mad_u32_u24 v204, v40, 36, v131
	v_mul_u32_u24_e32 v40, 36, v40
	v_and_b32_e32 v38, v38, v205
	v_xor_b32_e32 v202, vcc_lo, v202
	v_add_nc_u32_e32 v205, v131, v40
	v_and_b32_e32 v38, v38, v203
	ds_read_b32 v203, v204 offset:544
	; wave barrier
	v_and_b32_e32 v38, v38, v202
	v_mbcnt_lo_u32_b32 v204, v38, 0
	v_cmp_ne_u32_e64 s22, 0, v38
	v_cmp_eq_u32_e32 vcc_lo, 0, v204
	s_and_b32 s23, s22, vcc_lo
	s_and_saveexec_b32 s22, s23
	s_cbranch_execz .LBB1326_1044
; %bb.1043:                             ;   in Loop: Header=BB1326_980 Depth=2
	s_waitcnt lgkmcnt(0)
	v_bcnt_u32_b32 v38, v38, v203
	ds_write_b32 v205, v38 offset:544
.LBB1326_1044:                          ;   in Loop: Header=BB1326_980 Depth=2
	s_or_b32 exec_lo, exec_lo, s22
	v_cmp_gt_i32_e32 vcc_lo, 0, v39
	; wave barrier
	v_cndmask_b32_e64 v38, 0x7fffffff, 0, vcc_lo
	v_xor_b32_e32 v202, v38, v39
	v_cmp_ne_u32_e32 vcc_lo, 0x80000000, v202
	v_cndmask_b32_e32 v38, 0x7fffffff, v202, vcc_lo
	v_lshrrev_b32_e32 v38, s53, v38
	v_and_b32_e32 v39, s61, v38
	v_and_b32_e32 v38, 1, v39
	v_lshlrev_b32_e32 v40, 30, v39
	v_lshlrev_b32_e32 v206, 29, v39
	;; [unrolled: 1-line block ×4, first 2 shown]
	v_add_co_u32 v38, s22, v38, -1
	v_cndmask_b32_e64 v207, 0, 1, s22
	v_not_b32_e32 v211, v40
	v_cmp_gt_i32_e64 s22, 0, v40
	v_not_b32_e32 v40, v206
	v_lshlrev_b32_e32 v210, 26, v39
	v_cmp_ne_u32_e32 vcc_lo, 0, v207
	v_ashrrev_i32_e32 v211, 31, v211
	v_lshlrev_b32_e32 v207, 25, v39
	v_ashrrev_i32_e32 v40, 31, v40
	v_xor_b32_e32 v38, vcc_lo, v38
	v_cmp_gt_i32_e32 vcc_lo, 0, v206
	v_not_b32_e32 v206, v208
	v_xor_b32_e32 v211, s22, v211
	v_cmp_gt_i32_e64 s22, 0, v208
	v_and_b32_e32 v38, exec_lo, v38
	v_not_b32_e32 v208, v209
	v_ashrrev_i32_e32 v206, 31, v206
	v_xor_b32_e32 v40, vcc_lo, v40
	v_cmp_gt_i32_e32 vcc_lo, 0, v209
	v_and_b32_e32 v38, v38, v211
	v_not_b32_e32 v209, v210
	v_ashrrev_i32_e32 v208, 31, v208
	v_xor_b32_e32 v206, s22, v206
	v_cmp_gt_i32_e64 s22, 0, v210
	v_and_b32_e32 v38, v38, v40
	v_not_b32_e32 v40, v207
	v_ashrrev_i32_e32 v209, 31, v209
	v_xor_b32_e32 v208, vcc_lo, v208
	v_cmp_gt_i32_e32 vcc_lo, 0, v207
	v_and_b32_e32 v38, v38, v206
	v_ashrrev_i32_e32 v40, 31, v40
	v_xor_b32_e32 v206, s22, v209
	v_mad_u32_u24 v207, v39, 36, v131
	v_mul_u32_u24_e32 v39, 36, v39
	v_and_b32_e32 v38, v38, v208
	v_xor_b32_e32 v40, vcc_lo, v40
	ds_read_b32 v207, v207 offset:544
	v_add_nc_u32_e32 v209, v131, v39
	v_and_b32_e32 v38, v38, v206
	; wave barrier
	v_and_b32_e32 v38, v38, v40
	v_mbcnt_lo_u32_b32 v208, v38, 0
	v_cmp_ne_u32_e64 s22, 0, v38
	v_cmp_eq_u32_e32 vcc_lo, 0, v208
	s_and_b32 s23, s22, vcc_lo
	s_and_saveexec_b32 s22, s23
	s_cbranch_execz .LBB1326_1046
; %bb.1045:                             ;   in Loop: Header=BB1326_980 Depth=2
	s_waitcnt lgkmcnt(0)
	v_bcnt_u32_b32 v38, v38, v207
	ds_write_b32 v209, v38 offset:544
.LBB1326_1046:                          ;   in Loop: Header=BB1326_980 Depth=2
	s_or_b32 exec_lo, exec_lo, s22
	v_cmp_gt_i32_e32 vcc_lo, 0, v37
	; wave barrier
	v_cndmask_b32_e64 v38, 0x7fffffff, 0, vcc_lo
	v_xor_b32_e32 v206, v38, v37
	v_cmp_ne_u32_e32 vcc_lo, 0x80000000, v206
	v_cndmask_b32_e32 v37, 0x7fffffff, v206, vcc_lo
	v_lshrrev_b32_e32 v37, s53, v37
	v_and_b32_e32 v38, s61, v37
	v_and_b32_e32 v37, 1, v38
	v_lshlrev_b32_e32 v39, 30, v38
	v_lshlrev_b32_e32 v40, 29, v38
	;; [unrolled: 1-line block ×4, first 2 shown]
	v_add_co_u32 v37, s22, v37, -1
	v_cndmask_b32_e64 v210, 0, 1, s22
	v_not_b32_e32 v214, v39
	v_cmp_gt_i32_e64 s22, 0, v39
	v_not_b32_e32 v39, v40
	v_lshlrev_b32_e32 v213, 26, v38
	v_cmp_ne_u32_e32 vcc_lo, 0, v210
	v_ashrrev_i32_e32 v214, 31, v214
	v_lshlrev_b32_e32 v210, 25, v38
	v_ashrrev_i32_e32 v39, 31, v39
	v_xor_b32_e32 v37, vcc_lo, v37
	v_cmp_gt_i32_e32 vcc_lo, 0, v40
	v_not_b32_e32 v40, v211
	v_xor_b32_e32 v214, s22, v214
	v_cmp_gt_i32_e64 s22, 0, v211
	v_and_b32_e32 v37, exec_lo, v37
	v_not_b32_e32 v211, v212
	v_ashrrev_i32_e32 v40, 31, v40
	v_xor_b32_e32 v39, vcc_lo, v39
	v_cmp_gt_i32_e32 vcc_lo, 0, v212
	v_and_b32_e32 v37, v37, v214
	v_not_b32_e32 v212, v213
	v_ashrrev_i32_e32 v211, 31, v211
	v_xor_b32_e32 v40, s22, v40
	v_cmp_gt_i32_e64 s22, 0, v213
	v_and_b32_e32 v37, v37, v39
	v_not_b32_e32 v39, v210
	v_ashrrev_i32_e32 v212, 31, v212
	v_xor_b32_e32 v211, vcc_lo, v211
	v_cmp_gt_i32_e32 vcc_lo, 0, v210
	v_and_b32_e32 v37, v37, v40
	v_ashrrev_i32_e32 v39, 31, v39
	v_xor_b32_e32 v40, s22, v212
	v_mad_u32_u24 v210, v38, 36, v131
	v_mul_u32_u24_e32 v38, 36, v38
	v_and_b32_e32 v37, v37, v211
	v_xor_b32_e32 v39, vcc_lo, v39
	ds_read_b32 v210, v210 offset:544
	v_add_nc_u32_e32 v212, v131, v38
	v_and_b32_e32 v37, v37, v40
	; wave barrier
	v_and_b32_e32 v37, v37, v39
	v_mbcnt_lo_u32_b32 v211, v37, 0
	v_cmp_ne_u32_e64 s22, 0, v37
	v_cmp_eq_u32_e32 vcc_lo, 0, v211
	s_and_b32 s23, s22, vcc_lo
	s_and_saveexec_b32 s22, s23
	s_cbranch_execz .LBB1326_1048
; %bb.1047:                             ;   in Loop: Header=BB1326_980 Depth=2
	s_waitcnt lgkmcnt(0)
	v_bcnt_u32_b32 v37, v37, v210
	ds_write_b32 v212, v37 offset:544
.LBB1326_1048:                          ;   in Loop: Header=BB1326_980 Depth=2
	s_or_b32 exec_lo, exec_lo, s22
	; wave barrier
	s_waitcnt lgkmcnt(0)
	s_barrier
	buffer_gl0_inv
	ds_read2_b32 v[39:40], v65 offset0:136 offset1:137
	ds_read2_b32 v[37:38], v65 offset0:138 offset1:139
	ds_read_b32 v213, v65 offset:560
	s_waitcnt lgkmcnt(1)
	v_add3_u32 v214, v40, v39, v37
	s_waitcnt lgkmcnt(0)
	v_add3_u32 v213, v214, v38, v213
	v_mov_b32_dpp v214, v213 row_shr:1 row_mask:0xf bank_mask:0xf
	v_cndmask_b32_e64 v214, v214, 0, s5
	v_add_nc_u32_e32 v213, v214, v213
	v_mov_b32_dpp v214, v213 row_shr:2 row_mask:0xf bank_mask:0xf
	v_cndmask_b32_e64 v214, 0, v214, s15
	v_add_nc_u32_e32 v213, v213, v214
	;; [unrolled: 3-line block ×4, first 2 shown]
	ds_swizzle_b32 v214, v213 offset:swizzle(BROADCAST,32,15)
	s_waitcnt lgkmcnt(0)
	v_cndmask_b32_e64 v214, v214, 0, s18
	v_add_nc_u32_e32 v213, v213, v214
	s_and_saveexec_b32 s22, s4
; %bb.1049:                             ;   in Loop: Header=BB1326_980 Depth=2
	ds_write_b32 v60, v213 offset:512
; %bb.1050:                             ;   in Loop: Header=BB1326_980 Depth=2
	s_or_b32 exec_lo, exec_lo, s22
	s_waitcnt lgkmcnt(0)
	s_barrier
	buffer_gl0_inv
	s_and_saveexec_b32 s22, s11
	s_cbranch_execz .LBB1326_1052
; %bb.1051:                             ;   in Loop: Header=BB1326_980 Depth=2
	ds_read_b32 v214, v66 offset:512
	s_waitcnt lgkmcnt(0)
	v_mov_b32_dpp v215, v214 row_shr:1 row_mask:0xf bank_mask:0xf
	v_cndmask_b32_e64 v215, v215, 0, s19
	v_add_nc_u32_e32 v214, v215, v214
	v_mov_b32_dpp v215, v214 row_shr:2 row_mask:0xf bank_mask:0xf
	v_cndmask_b32_e64 v215, 0, v215, s20
	v_add_nc_u32_e32 v214, v214, v215
	;; [unrolled: 3-line block ×3, first 2 shown]
	ds_write_b32 v66, v214 offset:512
.LBB1326_1052:                          ;   in Loop: Header=BB1326_980 Depth=2
	s_or_b32 exec_lo, exec_lo, s22
	v_mov_b32_e32 v214, 0
	s_waitcnt lgkmcnt(0)
	s_barrier
	buffer_gl0_inv
	s_and_saveexec_b32 s22, s10
; %bb.1053:                             ;   in Loop: Header=BB1326_980 Depth=2
	ds_read_b32 v214, v60 offset:508
; %bb.1054:                             ;   in Loop: Header=BB1326_980 Depth=2
	s_or_b32 exec_lo, exec_lo, s22
	s_waitcnt lgkmcnt(0)
	v_add_nc_u32_e32 v213, v214, v213
	ds_bpermute_b32 v213, v126, v213
	s_waitcnt lgkmcnt(0)
	v_cndmask_b32_e64 v213, v213, v214, s14
	v_cndmask_b32_e64 v213, v213, 0, s12
	v_add_nc_u32_e32 v39, v213, v39
	v_add_nc_u32_e32 v40, v39, v40
	;; [unrolled: 1-line block ×4, first 2 shown]
	ds_write2_b32 v65, v213, v39 offset0:136 offset1:137
	ds_write2_b32 v65, v40, v37 offset0:138 offset1:139
	ds_write_b32 v65, v38 offset:560
	s_waitcnt lgkmcnt(0)
	s_barrier
	buffer_gl0_inv
	ds_read_b32 v39, v153 offset:544
	ds_read_b32 v153, v157 offset:544
	;; [unrolled: 1-line block ×16, first 2 shown]
	s_and_saveexec_b32 s22, s7
	s_cbranch_execz .LBB1326_1058
; %bb.1055:                             ;   in Loop: Header=BB1326_980 Depth=2
	ds_read_b32 v144, v68 offset:544
	v_mov_b32_e32 v149, 0x1000
	s_and_saveexec_b32 s23, s13
; %bb.1056:                             ;   in Loop: Header=BB1326_980 Depth=2
	ds_read_b32 v149, v67 offset:544
; %bb.1057:                             ;   in Loop: Header=BB1326_980 Depth=2
	s_or_b32 exec_lo, exec_lo, s23
	s_waitcnt lgkmcnt(0)
	v_sub_nc_u32_e32 v149, v149, v144
.LBB1326_1058:                          ;   in Loop: Header=BB1326_980 Depth=2
	s_or_b32 exec_lo, exec_lo, s22
	s_waitcnt lgkmcnt(0)
	s_barrier
	buffer_gl0_inv
	s_and_saveexec_b32 s22, s7
	s_cbranch_execz .LBB1326_1060
; %bb.1059:                             ;   in Loop: Header=BB1326_980 Depth=2
	ds_read_b32 v164, v41
	s_waitcnt lgkmcnt(0)
	v_sub_nc_u32_e32 v164, v164, v144
	ds_write_b32 v41, v164
.LBB1326_1060:                          ;   in Loop: Header=BB1326_980 Depth=2
	s_or_b32 exec_lo, exec_lo, s22
	v_add_nc_u32_e32 v171, v39, v152
	v_add3_u32 v167, v156, v155, v153
	v_add3_u32 v166, v160, v159, v157
	;; [unrolled: 1-line block ×5, first 2 shown]
	v_lshlrev_b32_e32 v169, 2, v171
	v_add3_u32 v155, v204, v203, v37
	v_lshlrev_b32_e32 v37, 2, v167
	v_add3_u32 v161, v180, v179, v182
	v_add3_u32 v160, v184, v183, v185
	ds_write_b32 v169, v3 offset:512
	v_lshlrev_b32_e32 v3, 2, v166
	ds_write_b32 v37, v151 offset:512
	v_lshlrev_b32_e32 v37, 2, v163
	v_add3_u32 v159, v187, v186, v188
	v_add3_u32 v153, v208, v207, v38
	v_lshlrev_b32_e32 v38, 2, v165
	v_add3_u32 v157, v190, v189, v191
	v_lshlrev_b32_e32 v169, 2, v164
	v_add3_u32 v156, v194, v193, v195
	v_add3_u32 v152, v198, v197, v214
	ds_write_b32 v3, v154 offset:512
	ds_write_b32 v38, v158 offset:512
	;; [unrolled: 1-line block ×3, first 2 shown]
	v_lshlrev_b32_e32 v3, 2, v161
	ds_write_b32 v37, v168 offset:512
	v_lshlrev_b32_e32 v37, 2, v160
	v_lshlrev_b32_e32 v38, 2, v159
	;; [unrolled: 1-line block ×3, first 2 shown]
	v_add3_u32 v39, v201, v200, v215
	v_add3_u32 v40, v211, v210, v40
	ds_write_b32 v3, v173 offset:512
	v_lshlrev_b32_e32 v3, 2, v156
	ds_write_b32 v37, v178 offset:512
	ds_write_b32 v38, v181 offset:512
	;; [unrolled: 1-line block ×3, first 2 shown]
	v_lshlrev_b32_e32 v37, 2, v152
	v_cmp_lt_u32_e32 vcc_lo, v0, v150
	v_lshlrev_b32_e32 v38, 2, v155
	ds_write_b32 v3, v172 offset:512
	v_lshlrev_b32_e32 v3, 2, v39
	ds_write_b32 v37, v192 offset:512
	v_lshlrev_b32_e32 v37, 2, v40
	v_lshlrev_b32_e32 v151, 2, v153
	ds_write_b32 v3, v196 offset:512
	ds_write_b32 v38, v199 offset:512
	;; [unrolled: 1-line block ×4, first 2 shown]
	s_waitcnt lgkmcnt(0)
	s_barrier
	buffer_gl0_inv
	s_and_saveexec_b32 s23, vcc_lo
	s_cbranch_execnz .LBB1326_1129
; %bb.1061:                             ;   in Loop: Header=BB1326_980 Depth=2
	s_or_b32 exec_lo, exec_lo, s23
	v_cmp_lt_u32_e64 s22, v42, v150
	s_and_saveexec_b32 s24, s22
	s_cbranch_execnz .LBB1326_1130
.LBB1326_1062:                          ;   in Loop: Header=BB1326_980 Depth=2
	s_or_b32 exec_lo, exec_lo, s24
	v_cmp_lt_u32_e64 s23, v45, v150
	s_and_saveexec_b32 s25, s23
	s_cbranch_execnz .LBB1326_1131
.LBB1326_1063:                          ;   in Loop: Header=BB1326_980 Depth=2
	s_or_b32 exec_lo, exec_lo, s25
	v_cmp_lt_u32_e64 s24, v46, v150
	s_and_saveexec_b32 s26, s24
	s_cbranch_execnz .LBB1326_1132
.LBB1326_1064:                          ;   in Loop: Header=BB1326_980 Depth=2
	s_or_b32 exec_lo, exec_lo, s26
	v_cmp_lt_u32_e64 s25, v47, v150
	s_and_saveexec_b32 s28, s25
	s_cbranch_execnz .LBB1326_1133
.LBB1326_1065:                          ;   in Loop: Header=BB1326_980 Depth=2
	s_or_b32 exec_lo, exec_lo, s28
	v_cmp_lt_u32_e64 s26, v48, v150
	s_and_saveexec_b32 s29, s26
	s_cbranch_execnz .LBB1326_1134
.LBB1326_1066:                          ;   in Loop: Header=BB1326_980 Depth=2
	s_or_b32 exec_lo, exec_lo, s29
	v_cmp_lt_u32_e64 s28, v49, v150
	s_and_saveexec_b32 s30, s28
	s_cbranch_execnz .LBB1326_1135
.LBB1326_1067:                          ;   in Loop: Header=BB1326_980 Depth=2
	s_or_b32 exec_lo, exec_lo, s30
	v_cmp_lt_u32_e64 s29, v50, v150
	s_and_saveexec_b32 s31, s29
	s_cbranch_execnz .LBB1326_1136
.LBB1326_1068:                          ;   in Loop: Header=BB1326_980 Depth=2
	s_or_b32 exec_lo, exec_lo, s31
	v_cmp_lt_u32_e64 s30, v51, v150
	s_and_saveexec_b32 s33, s30
	s_cbranch_execnz .LBB1326_1137
.LBB1326_1069:                          ;   in Loop: Header=BB1326_980 Depth=2
	s_or_b32 exec_lo, exec_lo, s33
	v_cmp_lt_u32_e64 s31, v52, v150
	s_and_saveexec_b32 s34, s31
	s_cbranch_execnz .LBB1326_1138
.LBB1326_1070:                          ;   in Loop: Header=BB1326_980 Depth=2
	s_or_b32 exec_lo, exec_lo, s34
	v_cmp_lt_u32_e64 s33, v53, v150
	s_and_saveexec_b32 s35, s33
	s_cbranch_execnz .LBB1326_1139
.LBB1326_1071:                          ;   in Loop: Header=BB1326_980 Depth=2
	s_or_b32 exec_lo, exec_lo, s35
	v_cmp_lt_u32_e64 s34, v54, v150
	s_and_saveexec_b32 s36, s34
	s_cbranch_execnz .LBB1326_1140
.LBB1326_1072:                          ;   in Loop: Header=BB1326_980 Depth=2
	s_or_b32 exec_lo, exec_lo, s36
	v_cmp_lt_u32_e64 s35, v55, v150
	s_and_saveexec_b32 s37, s35
	s_cbranch_execnz .LBB1326_1141
.LBB1326_1073:                          ;   in Loop: Header=BB1326_980 Depth=2
	s_or_b32 exec_lo, exec_lo, s37
	v_cmp_lt_u32_e64 s36, v56, v150
	s_and_saveexec_b32 s38, s36
	s_cbranch_execnz .LBB1326_1142
.LBB1326_1074:                          ;   in Loop: Header=BB1326_980 Depth=2
	s_or_b32 exec_lo, exec_lo, s38
	v_cmp_lt_u32_e64 s37, v57, v150
	s_and_saveexec_b32 s39, s37
	s_cbranch_execnz .LBB1326_1143
.LBB1326_1075:                          ;   in Loop: Header=BB1326_980 Depth=2
	s_or_b32 exec_lo, exec_lo, s39
	v_cmp_lt_u32_e64 s38, v58, v150
	s_and_saveexec_b32 s64, s38
	s_cbranch_execz .LBB1326_1077
.LBB1326_1076:                          ;   in Loop: Header=BB1326_980 Depth=2
	ds_read_b32 v151, v66 offset:15872
	s_waitcnt lgkmcnt(0)
	v_cmp_ne_u32_e64 s39, 0x80000000, v151
	v_cndmask_b32_e64 v3, 0x7fffffff, v151, s39
	v_cmp_gt_i32_e64 s39, 0, v151
	v_lshrrev_b32_e32 v3, s53, v3
	v_cndmask_b32_e64 v154, 0x7fffffff, 0, s39
	v_and_b32_e32 v3, s61, v3
	v_lshlrev_b32_e32 v3, 2, v3
	ds_read_b32 v3, v3
	s_waitcnt lgkmcnt(0)
	v_add_nc_u32_e32 v3, v3, v58
	v_lshlrev_b64 v[37:38], 2, v[3:4]
	v_xor_b32_e32 v3, v154, v151
	v_add_co_u32 v37, s39, s44, v37
	v_add_co_ci_u32_e64 v38, null, s45, v38, s39
	global_store_dword v[37:38], v3, off
.LBB1326_1077:                          ;   in Loop: Header=BB1326_980 Depth=2
	s_or_b32 exec_lo, exec_lo, s64
	s_lshl_b64 s[64:65], s[46:47], 3
	v_add_co_u32 v37, s39, v127, s64
	v_add_co_ci_u32_e64 v38, null, s65, v128, s39
	v_cmp_lt_u32_e64 s39, v105, v150
	s_and_saveexec_b32 s46, s39
	s_xor_b32 s39, exec_lo, s46
	s_cbranch_execnz .LBB1326_1144
; %bb.1078:                             ;   in Loop: Header=BB1326_980 Depth=2
	s_or_b32 exec_lo, exec_lo, s39
	s_mov_b32 s46, exec_lo
	v_cmpx_lt_u32_e64 v108, v150
	s_cbranch_execnz .LBB1326_1145
.LBB1326_1079:                          ;   in Loop: Header=BB1326_980 Depth=2
	s_or_b32 exec_lo, exec_lo, s46
	s_mov_b32 s46, exec_lo
	v_cmpx_lt_u32_e64 v109, v150
	s_cbranch_execnz .LBB1326_1146
.LBB1326_1080:                          ;   in Loop: Header=BB1326_980 Depth=2
	s_or_b32 exec_lo, exec_lo, s46
	s_mov_b32 s46, exec_lo
	v_cmpx_lt_u32_e64 v110, v150
	s_cbranch_execnz .LBB1326_1147
.LBB1326_1081:                          ;   in Loop: Header=BB1326_980 Depth=2
	s_or_b32 exec_lo, exec_lo, s46
	s_mov_b32 s46, exec_lo
	v_cmpx_lt_u32_e64 v111, v150
	s_cbranch_execnz .LBB1326_1148
.LBB1326_1082:                          ;   in Loop: Header=BB1326_980 Depth=2
	s_or_b32 exec_lo, exec_lo, s46
	s_mov_b32 s46, exec_lo
	v_cmpx_lt_u32_e64 v112, v150
	s_cbranch_execnz .LBB1326_1149
.LBB1326_1083:                          ;   in Loop: Header=BB1326_980 Depth=2
	s_or_b32 exec_lo, exec_lo, s46
	s_mov_b32 s46, exec_lo
	v_cmpx_lt_u32_e64 v113, v150
	s_cbranch_execnz .LBB1326_1150
.LBB1326_1084:                          ;   in Loop: Header=BB1326_980 Depth=2
	s_or_b32 exec_lo, exec_lo, s46
	s_mov_b32 s46, exec_lo
	v_cmpx_lt_u32_e64 v114, v150
	s_cbranch_execnz .LBB1326_1151
.LBB1326_1085:                          ;   in Loop: Header=BB1326_980 Depth=2
	s_or_b32 exec_lo, exec_lo, s46
	s_mov_b32 s46, exec_lo
	v_cmpx_lt_u32_e64 v115, v150
	s_cbranch_execnz .LBB1326_1152
.LBB1326_1086:                          ;   in Loop: Header=BB1326_980 Depth=2
	s_or_b32 exec_lo, exec_lo, s46
	s_mov_b32 s46, exec_lo
	v_cmpx_lt_u32_e64 v116, v150
	s_cbranch_execnz .LBB1326_1153
.LBB1326_1087:                          ;   in Loop: Header=BB1326_980 Depth=2
	s_or_b32 exec_lo, exec_lo, s46
	s_mov_b32 s46, exec_lo
	v_cmpx_lt_u32_e64 v117, v150
	s_cbranch_execnz .LBB1326_1154
.LBB1326_1088:                          ;   in Loop: Header=BB1326_980 Depth=2
	s_or_b32 exec_lo, exec_lo, s46
	s_mov_b32 s46, exec_lo
	v_cmpx_lt_u32_e64 v118, v150
	s_cbranch_execnz .LBB1326_1155
.LBB1326_1089:                          ;   in Loop: Header=BB1326_980 Depth=2
	s_or_b32 exec_lo, exec_lo, s46
	s_mov_b32 s46, exec_lo
	v_cmpx_lt_u32_e64 v119, v150
	s_cbranch_execnz .LBB1326_1156
.LBB1326_1090:                          ;   in Loop: Header=BB1326_980 Depth=2
	s_or_b32 exec_lo, exec_lo, s46
	s_mov_b32 s46, exec_lo
	v_cmpx_lt_u32_e64 v121, v150
	s_cbranch_execnz .LBB1326_1157
.LBB1326_1091:                          ;   in Loop: Header=BB1326_980 Depth=2
	s_or_b32 exec_lo, exec_lo, s46
	s_mov_b32 s46, exec_lo
	v_cmpx_lt_u32_e64 v122, v150
	s_cbranch_execnz .LBB1326_1158
.LBB1326_1092:                          ;   in Loop: Header=BB1326_980 Depth=2
	s_or_b32 exec_lo, exec_lo, s46
	s_mov_b32 s46, exec_lo
	v_cmpx_lt_u32_e64 v123, v150
	s_cbranch_execnz .LBB1326_1159
.LBB1326_1093:                          ;   in Loop: Header=BB1326_980 Depth=2
	s_or_b32 exec_lo, exec_lo, s46
	s_and_saveexec_b32 s46, vcc_lo
	s_cbranch_execnz .LBB1326_1160
.LBB1326_1094:                          ;   in Loop: Header=BB1326_980 Depth=2
	s_or_b32 exec_lo, exec_lo, s46
	s_and_saveexec_b32 s46, s22
	s_cbranch_execnz .LBB1326_1161
.LBB1326_1095:                          ;   in Loop: Header=BB1326_980 Depth=2
	s_or_b32 exec_lo, exec_lo, s46
	s_and_saveexec_b32 s46, s23
	s_cbranch_execnz .LBB1326_1162
.LBB1326_1096:                          ;   in Loop: Header=BB1326_980 Depth=2
	s_or_b32 exec_lo, exec_lo, s46
	s_and_saveexec_b32 s46, s24
	s_cbranch_execnz .LBB1326_1163
.LBB1326_1097:                          ;   in Loop: Header=BB1326_980 Depth=2
	s_or_b32 exec_lo, exec_lo, s46
	s_and_saveexec_b32 s46, s25
	s_cbranch_execnz .LBB1326_1164
.LBB1326_1098:                          ;   in Loop: Header=BB1326_980 Depth=2
	s_or_b32 exec_lo, exec_lo, s46
	s_and_saveexec_b32 s46, s26
	s_cbranch_execnz .LBB1326_1165
.LBB1326_1099:                          ;   in Loop: Header=BB1326_980 Depth=2
	s_or_b32 exec_lo, exec_lo, s46
	s_and_saveexec_b32 s46, s28
	s_cbranch_execnz .LBB1326_1166
.LBB1326_1100:                          ;   in Loop: Header=BB1326_980 Depth=2
	s_or_b32 exec_lo, exec_lo, s46
	s_and_saveexec_b32 s46, s29
	s_cbranch_execnz .LBB1326_1167
.LBB1326_1101:                          ;   in Loop: Header=BB1326_980 Depth=2
	s_or_b32 exec_lo, exec_lo, s46
	s_and_saveexec_b32 s46, s30
	s_cbranch_execnz .LBB1326_1168
.LBB1326_1102:                          ;   in Loop: Header=BB1326_980 Depth=2
	s_or_b32 exec_lo, exec_lo, s46
	s_and_saveexec_b32 s46, s31
	s_cbranch_execnz .LBB1326_1169
.LBB1326_1103:                          ;   in Loop: Header=BB1326_980 Depth=2
	s_or_b32 exec_lo, exec_lo, s46
	s_and_saveexec_b32 s46, s33
	s_cbranch_execnz .LBB1326_1170
.LBB1326_1104:                          ;   in Loop: Header=BB1326_980 Depth=2
	s_or_b32 exec_lo, exec_lo, s46
	s_and_saveexec_b32 s46, s34
	s_cbranch_execnz .LBB1326_1171
.LBB1326_1105:                          ;   in Loop: Header=BB1326_980 Depth=2
	s_or_b32 exec_lo, exec_lo, s46
	s_and_saveexec_b32 s46, s35
	s_cbranch_execnz .LBB1326_1172
.LBB1326_1106:                          ;   in Loop: Header=BB1326_980 Depth=2
	s_or_b32 exec_lo, exec_lo, s46
	s_and_saveexec_b32 s46, s36
	s_cbranch_execnz .LBB1326_1173
.LBB1326_1107:                          ;   in Loop: Header=BB1326_980 Depth=2
	s_or_b32 exec_lo, exec_lo, s46
	s_and_saveexec_b32 s46, s37
	s_cbranch_execnz .LBB1326_1174
.LBB1326_1108:                          ;   in Loop: Header=BB1326_980 Depth=2
	s_or_b32 exec_lo, exec_lo, s46
	s_and_saveexec_b32 s46, s38
	s_cbranch_execz .LBB1326_1110
.LBB1326_1109:                          ;   in Loop: Header=BB1326_980 Depth=2
	ds_read_b32 v3, v66 offset:15872
	s_waitcnt lgkmcnt(0)
	v_cmp_ne_u32_e64 s39, 0x80000000, v3
	v_cndmask_b32_e64 v3, 0x7fffffff, v3, s39
	v_lshrrev_b32_e32 v3, s53, v3
	v_and_b32_e32 v132, s61, v3
.LBB1326_1110:                          ;   in Loop: Header=BB1326_980 Depth=2
	s_or_b32 exec_lo, exec_lo, s46
	v_lshlrev_b32_e32 v3, 3, v171
	v_lshlrev_b32_e32 v37, 3, v167
	s_waitcnt vmcnt(0)
	s_waitcnt_vscnt null, 0x0
	s_barrier
	buffer_gl0_inv
	ds_write_b64 v3, v[35:36] offset:512
	v_lshlrev_b32_e32 v3, 3, v166
	ds_write_b64 v37, v[33:34] offset:512
	v_lshlrev_b32_e32 v37, 3, v163
	v_lshlrev_b32_e32 v38, 3, v165
	;; [unrolled: 1-line block ×3, first 2 shown]
	ds_write_b64 v3, v[31:32] offset:512
	ds_write_b64 v38, v[29:30] offset:512
	;; [unrolled: 1-line block ×3, first 2 shown]
	v_lshlrev_b32_e32 v3, 3, v161
	ds_write_b64 v37, v[23:24] offset:512
	v_lshlrev_b32_e32 v37, 3, v160
	v_lshlrev_b32_e32 v38, 3, v159
	;; [unrolled: 1-line block ×3, first 2 shown]
	ds_write_b64 v3, v[19:20] offset:512
	v_lshlrev_b32_e32 v3, 3, v156
	ds_write_b64 v37, v[15:16] offset:512
	ds_write_b64 v38, v[25:26] offset:512
	;; [unrolled: 1-line block ×3, first 2 shown]
	v_lshlrev_b32_e32 v37, 3, v152
	v_lshlrev_b32_e32 v40, 3, v40
	;; [unrolled: 1-line block ×3, first 2 shown]
	ds_write_b64 v3, v[17:18] offset:512
	v_lshlrev_b32_e32 v3, 3, v39
	ds_write_b64 v37, v[13:14] offset:512
	v_add_nc_u32_e32 v37, v66, v41
	v_lshlrev_b32_e32 v39, 3, v153
	ds_write_b64 v3, v[11:12] offset:512
	ds_write_b64 v38, v[9:10] offset:512
	ds_write_b64 v39, v[7:8] offset:512
	ds_write_b64 v40, v[5:6] offset:512
	s_waitcnt lgkmcnt(0)
	s_barrier
	buffer_gl0_inv
	s_and_saveexec_b32 s39, vcc_lo
	s_cbranch_execnz .LBB1326_1175
; %bb.1111:                             ;   in Loop: Header=BB1326_980 Depth=2
	s_or_b32 exec_lo, exec_lo, s39
	s_and_saveexec_b32 s39, s22
	s_cbranch_execnz .LBB1326_1176
.LBB1326_1112:                          ;   in Loop: Header=BB1326_980 Depth=2
	s_or_b32 exec_lo, exec_lo, s39
	s_and_saveexec_b32 s22, s23
	s_cbranch_execnz .LBB1326_1177
.LBB1326_1113:                          ;   in Loop: Header=BB1326_980 Depth=2
	s_or_b32 exec_lo, exec_lo, s22
	s_and_saveexec_b32 s22, s24
	s_cbranch_execnz .LBB1326_1178
.LBB1326_1114:                          ;   in Loop: Header=BB1326_980 Depth=2
	s_or_b32 exec_lo, exec_lo, s22
	s_and_saveexec_b32 s22, s25
	s_cbranch_execnz .LBB1326_1179
.LBB1326_1115:                          ;   in Loop: Header=BB1326_980 Depth=2
	s_or_b32 exec_lo, exec_lo, s22
	s_and_saveexec_b32 s22, s26
	s_cbranch_execnz .LBB1326_1180
.LBB1326_1116:                          ;   in Loop: Header=BB1326_980 Depth=2
	s_or_b32 exec_lo, exec_lo, s22
	s_and_saveexec_b32 s22, s28
	s_cbranch_execnz .LBB1326_1181
.LBB1326_1117:                          ;   in Loop: Header=BB1326_980 Depth=2
	s_or_b32 exec_lo, exec_lo, s22
	s_and_saveexec_b32 s22, s29
	s_cbranch_execnz .LBB1326_1182
.LBB1326_1118:                          ;   in Loop: Header=BB1326_980 Depth=2
	s_or_b32 exec_lo, exec_lo, s22
	s_and_saveexec_b32 s22, s30
	s_cbranch_execnz .LBB1326_1183
.LBB1326_1119:                          ;   in Loop: Header=BB1326_980 Depth=2
	s_or_b32 exec_lo, exec_lo, s22
	s_and_saveexec_b32 s22, s31
	s_cbranch_execnz .LBB1326_1184
.LBB1326_1120:                          ;   in Loop: Header=BB1326_980 Depth=2
	s_or_b32 exec_lo, exec_lo, s22
	s_and_saveexec_b32 s22, s33
	s_cbranch_execnz .LBB1326_1185
.LBB1326_1121:                          ;   in Loop: Header=BB1326_980 Depth=2
	s_or_b32 exec_lo, exec_lo, s22
	s_and_saveexec_b32 s22, s34
	s_cbranch_execnz .LBB1326_1186
.LBB1326_1122:                          ;   in Loop: Header=BB1326_980 Depth=2
	s_or_b32 exec_lo, exec_lo, s22
	s_and_saveexec_b32 s22, s35
	s_cbranch_execnz .LBB1326_1187
.LBB1326_1123:                          ;   in Loop: Header=BB1326_980 Depth=2
	s_or_b32 exec_lo, exec_lo, s22
	s_and_saveexec_b32 s22, s36
	s_cbranch_execnz .LBB1326_1188
.LBB1326_1124:                          ;   in Loop: Header=BB1326_980 Depth=2
	s_or_b32 exec_lo, exec_lo, s22
	s_and_saveexec_b32 s22, s37
	s_cbranch_execnz .LBB1326_1189
.LBB1326_1125:                          ;   in Loop: Header=BB1326_980 Depth=2
	s_or_b32 exec_lo, exec_lo, s22
	s_and_saveexec_b32 s22, s38
	s_cbranch_execz .LBB1326_1127
.LBB1326_1126:                          ;   in Loop: Header=BB1326_980 Depth=2
	v_lshlrev_b32_e32 v3, 2, v132
	ds_read_b32 v3, v3
	ds_read_b64 v[37:38], v37 offset:31232
	s_waitcnt lgkmcnt(1)
	v_add_nc_u32_e32 v3, v3, v58
	v_lshlrev_b64 v[39:40], 3, v[3:4]
	v_add_co_u32 v39, vcc_lo, s50, v39
	v_add_co_ci_u32_e64 v40, null, s51, v40, vcc_lo
	s_waitcnt lgkmcnt(0)
	global_store_dwordx2 v[39:40], v[37:38], off
.LBB1326_1127:                          ;   in Loop: Header=BB1326_980 Depth=2
	s_or_b32 exec_lo, exec_lo, s22
	s_waitcnt_vscnt null, 0x0
	s_barrier
	buffer_gl0_inv
	s_and_saveexec_b32 s22, s7
	s_cbranch_execz .LBB1326_979
; %bb.1128:                             ;   in Loop: Header=BB1326_980 Depth=2
	ds_read_b32 v3, v41
	s_waitcnt lgkmcnt(0)
	v_add3_u32 v3, v144, v149, v3
	ds_write_b32 v41, v3
	s_branch .LBB1326_979
.LBB1326_1129:                          ;   in Loop: Header=BB1326_980 Depth=2
	ds_read_b32 v151, v66 offset:512
	s_waitcnt lgkmcnt(0)
	v_cmp_ne_u32_e64 s22, 0x80000000, v151
	v_cndmask_b32_e64 v3, 0x7fffffff, v151, s22
	v_cmp_gt_i32_e64 s22, 0, v151
	v_lshrrev_b32_e32 v3, s53, v3
	v_cndmask_b32_e64 v154, 0x7fffffff, 0, s22
	v_and_b32_e32 v3, s61, v3
	v_lshlrev_b32_e32 v3, 2, v3
	ds_read_b32 v3, v3
	s_waitcnt lgkmcnt(0)
	v_add_nc_u32_e32 v3, v3, v0
	v_lshlrev_b64 v[37:38], 2, v[3:4]
	v_xor_b32_e32 v3, v154, v151
	v_add_co_u32 v37, s22, s44, v37
	v_add_co_ci_u32_e64 v38, null, s45, v38, s22
	global_store_dword v[37:38], v3, off
	s_or_b32 exec_lo, exec_lo, s23
	v_cmp_lt_u32_e64 s22, v42, v150
	s_and_saveexec_b32 s24, s22
	s_cbranch_execz .LBB1326_1062
.LBB1326_1130:                          ;   in Loop: Header=BB1326_980 Depth=2
	ds_read_b32 v151, v66 offset:1536
	s_waitcnt lgkmcnt(0)
	v_cmp_ne_u32_e64 s23, 0x80000000, v151
	v_cndmask_b32_e64 v3, 0x7fffffff, v151, s23
	v_cmp_gt_i32_e64 s23, 0, v151
	v_lshrrev_b32_e32 v3, s53, v3
	v_cndmask_b32_e64 v154, 0x7fffffff, 0, s23
	v_and_b32_e32 v3, s61, v3
	v_lshlrev_b32_e32 v3, 2, v3
	ds_read_b32 v3, v3
	s_waitcnt lgkmcnt(0)
	v_add_nc_u32_e32 v3, v3, v42
	v_lshlrev_b64 v[37:38], 2, v[3:4]
	v_xor_b32_e32 v3, v154, v151
	v_add_co_u32 v37, s23, s44, v37
	v_add_co_ci_u32_e64 v38, null, s45, v38, s23
	global_store_dword v[37:38], v3, off
	s_or_b32 exec_lo, exec_lo, s24
	v_cmp_lt_u32_e64 s23, v45, v150
	s_and_saveexec_b32 s25, s23
	s_cbranch_execz .LBB1326_1063
.LBB1326_1131:                          ;   in Loop: Header=BB1326_980 Depth=2
	ds_read_b32 v151, v66 offset:2560
	s_waitcnt lgkmcnt(0)
	v_cmp_ne_u32_e64 s24, 0x80000000, v151
	v_cndmask_b32_e64 v3, 0x7fffffff, v151, s24
	v_cmp_gt_i32_e64 s24, 0, v151
	v_lshrrev_b32_e32 v3, s53, v3
	v_cndmask_b32_e64 v154, 0x7fffffff, 0, s24
	v_and_b32_e32 v3, s61, v3
	v_lshlrev_b32_e32 v3, 2, v3
	ds_read_b32 v3, v3
	s_waitcnt lgkmcnt(0)
	v_add_nc_u32_e32 v3, v3, v45
	v_lshlrev_b64 v[37:38], 2, v[3:4]
	v_xor_b32_e32 v3, v154, v151
	v_add_co_u32 v37, s24, s44, v37
	v_add_co_ci_u32_e64 v38, null, s45, v38, s24
	global_store_dword v[37:38], v3, off
	s_or_b32 exec_lo, exec_lo, s25
	v_cmp_lt_u32_e64 s24, v46, v150
	s_and_saveexec_b32 s26, s24
	s_cbranch_execz .LBB1326_1064
.LBB1326_1132:                          ;   in Loop: Header=BB1326_980 Depth=2
	ds_read_b32 v151, v66 offset:3584
	s_waitcnt lgkmcnt(0)
	v_cmp_ne_u32_e64 s25, 0x80000000, v151
	v_cndmask_b32_e64 v3, 0x7fffffff, v151, s25
	v_cmp_gt_i32_e64 s25, 0, v151
	v_lshrrev_b32_e32 v3, s53, v3
	v_cndmask_b32_e64 v154, 0x7fffffff, 0, s25
	v_and_b32_e32 v3, s61, v3
	v_lshlrev_b32_e32 v3, 2, v3
	ds_read_b32 v3, v3
	s_waitcnt lgkmcnt(0)
	v_add_nc_u32_e32 v3, v3, v46
	v_lshlrev_b64 v[37:38], 2, v[3:4]
	v_xor_b32_e32 v3, v154, v151
	v_add_co_u32 v37, s25, s44, v37
	v_add_co_ci_u32_e64 v38, null, s45, v38, s25
	global_store_dword v[37:38], v3, off
	s_or_b32 exec_lo, exec_lo, s26
	v_cmp_lt_u32_e64 s25, v47, v150
	s_and_saveexec_b32 s28, s25
	s_cbranch_execz .LBB1326_1065
.LBB1326_1133:                          ;   in Loop: Header=BB1326_980 Depth=2
	ds_read_b32 v151, v66 offset:4608
	s_waitcnt lgkmcnt(0)
	v_cmp_ne_u32_e64 s26, 0x80000000, v151
	v_cndmask_b32_e64 v3, 0x7fffffff, v151, s26
	v_cmp_gt_i32_e64 s26, 0, v151
	v_lshrrev_b32_e32 v3, s53, v3
	v_cndmask_b32_e64 v154, 0x7fffffff, 0, s26
	v_and_b32_e32 v3, s61, v3
	v_lshlrev_b32_e32 v3, 2, v3
	ds_read_b32 v3, v3
	s_waitcnt lgkmcnt(0)
	v_add_nc_u32_e32 v3, v3, v47
	v_lshlrev_b64 v[37:38], 2, v[3:4]
	v_xor_b32_e32 v3, v154, v151
	v_add_co_u32 v37, s26, s44, v37
	v_add_co_ci_u32_e64 v38, null, s45, v38, s26
	global_store_dword v[37:38], v3, off
	s_or_b32 exec_lo, exec_lo, s28
	v_cmp_lt_u32_e64 s26, v48, v150
	s_and_saveexec_b32 s29, s26
	s_cbranch_execz .LBB1326_1066
.LBB1326_1134:                          ;   in Loop: Header=BB1326_980 Depth=2
	ds_read_b32 v151, v66 offset:5632
	s_waitcnt lgkmcnt(0)
	v_cmp_ne_u32_e64 s28, 0x80000000, v151
	v_cndmask_b32_e64 v3, 0x7fffffff, v151, s28
	v_cmp_gt_i32_e64 s28, 0, v151
	v_lshrrev_b32_e32 v3, s53, v3
	v_cndmask_b32_e64 v154, 0x7fffffff, 0, s28
	v_and_b32_e32 v3, s61, v3
	v_lshlrev_b32_e32 v3, 2, v3
	ds_read_b32 v3, v3
	s_waitcnt lgkmcnt(0)
	v_add_nc_u32_e32 v3, v3, v48
	v_lshlrev_b64 v[37:38], 2, v[3:4]
	v_xor_b32_e32 v3, v154, v151
	v_add_co_u32 v37, s28, s44, v37
	v_add_co_ci_u32_e64 v38, null, s45, v38, s28
	global_store_dword v[37:38], v3, off
	s_or_b32 exec_lo, exec_lo, s29
	v_cmp_lt_u32_e64 s28, v49, v150
	s_and_saveexec_b32 s30, s28
	s_cbranch_execz .LBB1326_1067
.LBB1326_1135:                          ;   in Loop: Header=BB1326_980 Depth=2
	ds_read_b32 v151, v66 offset:6656
	s_waitcnt lgkmcnt(0)
	v_cmp_ne_u32_e64 s29, 0x80000000, v151
	v_cndmask_b32_e64 v3, 0x7fffffff, v151, s29
	v_cmp_gt_i32_e64 s29, 0, v151
	v_lshrrev_b32_e32 v3, s53, v3
	v_cndmask_b32_e64 v154, 0x7fffffff, 0, s29
	v_and_b32_e32 v3, s61, v3
	v_lshlrev_b32_e32 v3, 2, v3
	ds_read_b32 v3, v3
	s_waitcnt lgkmcnt(0)
	v_add_nc_u32_e32 v3, v3, v49
	v_lshlrev_b64 v[37:38], 2, v[3:4]
	v_xor_b32_e32 v3, v154, v151
	v_add_co_u32 v37, s29, s44, v37
	v_add_co_ci_u32_e64 v38, null, s45, v38, s29
	global_store_dword v[37:38], v3, off
	s_or_b32 exec_lo, exec_lo, s30
	v_cmp_lt_u32_e64 s29, v50, v150
	s_and_saveexec_b32 s31, s29
	s_cbranch_execz .LBB1326_1068
.LBB1326_1136:                          ;   in Loop: Header=BB1326_980 Depth=2
	ds_read_b32 v151, v66 offset:7680
	s_waitcnt lgkmcnt(0)
	v_cmp_ne_u32_e64 s30, 0x80000000, v151
	v_cndmask_b32_e64 v3, 0x7fffffff, v151, s30
	v_cmp_gt_i32_e64 s30, 0, v151
	v_lshrrev_b32_e32 v3, s53, v3
	v_cndmask_b32_e64 v154, 0x7fffffff, 0, s30
	v_and_b32_e32 v3, s61, v3
	v_lshlrev_b32_e32 v3, 2, v3
	ds_read_b32 v3, v3
	s_waitcnt lgkmcnt(0)
	v_add_nc_u32_e32 v3, v3, v50
	v_lshlrev_b64 v[37:38], 2, v[3:4]
	v_xor_b32_e32 v3, v154, v151
	v_add_co_u32 v37, s30, s44, v37
	v_add_co_ci_u32_e64 v38, null, s45, v38, s30
	global_store_dword v[37:38], v3, off
	s_or_b32 exec_lo, exec_lo, s31
	v_cmp_lt_u32_e64 s30, v51, v150
	s_and_saveexec_b32 s33, s30
	s_cbranch_execz .LBB1326_1069
.LBB1326_1137:                          ;   in Loop: Header=BB1326_980 Depth=2
	ds_read_b32 v151, v66 offset:8704
	s_waitcnt lgkmcnt(0)
	v_cmp_ne_u32_e64 s31, 0x80000000, v151
	v_cndmask_b32_e64 v3, 0x7fffffff, v151, s31
	v_cmp_gt_i32_e64 s31, 0, v151
	v_lshrrev_b32_e32 v3, s53, v3
	v_cndmask_b32_e64 v154, 0x7fffffff, 0, s31
	v_and_b32_e32 v3, s61, v3
	v_lshlrev_b32_e32 v3, 2, v3
	ds_read_b32 v3, v3
	s_waitcnt lgkmcnt(0)
	v_add_nc_u32_e32 v3, v3, v51
	v_lshlrev_b64 v[37:38], 2, v[3:4]
	v_xor_b32_e32 v3, v154, v151
	v_add_co_u32 v37, s31, s44, v37
	v_add_co_ci_u32_e64 v38, null, s45, v38, s31
	global_store_dword v[37:38], v3, off
	s_or_b32 exec_lo, exec_lo, s33
	v_cmp_lt_u32_e64 s31, v52, v150
	s_and_saveexec_b32 s34, s31
	s_cbranch_execz .LBB1326_1070
.LBB1326_1138:                          ;   in Loop: Header=BB1326_980 Depth=2
	ds_read_b32 v151, v66 offset:9728
	s_waitcnt lgkmcnt(0)
	v_cmp_ne_u32_e64 s33, 0x80000000, v151
	v_cndmask_b32_e64 v3, 0x7fffffff, v151, s33
	v_cmp_gt_i32_e64 s33, 0, v151
	v_lshrrev_b32_e32 v3, s53, v3
	v_cndmask_b32_e64 v154, 0x7fffffff, 0, s33
	v_and_b32_e32 v3, s61, v3
	v_lshlrev_b32_e32 v3, 2, v3
	ds_read_b32 v3, v3
	s_waitcnt lgkmcnt(0)
	v_add_nc_u32_e32 v3, v3, v52
	v_lshlrev_b64 v[37:38], 2, v[3:4]
	v_xor_b32_e32 v3, v154, v151
	v_add_co_u32 v37, s33, s44, v37
	v_add_co_ci_u32_e64 v38, null, s45, v38, s33
	global_store_dword v[37:38], v3, off
	s_or_b32 exec_lo, exec_lo, s34
	v_cmp_lt_u32_e64 s33, v53, v150
	s_and_saveexec_b32 s35, s33
	s_cbranch_execz .LBB1326_1071
.LBB1326_1139:                          ;   in Loop: Header=BB1326_980 Depth=2
	ds_read_b32 v151, v66 offset:10752
	s_waitcnt lgkmcnt(0)
	v_cmp_ne_u32_e64 s34, 0x80000000, v151
	v_cndmask_b32_e64 v3, 0x7fffffff, v151, s34
	v_cmp_gt_i32_e64 s34, 0, v151
	v_lshrrev_b32_e32 v3, s53, v3
	v_cndmask_b32_e64 v154, 0x7fffffff, 0, s34
	v_and_b32_e32 v3, s61, v3
	v_lshlrev_b32_e32 v3, 2, v3
	ds_read_b32 v3, v3
	s_waitcnt lgkmcnt(0)
	v_add_nc_u32_e32 v3, v3, v53
	v_lshlrev_b64 v[37:38], 2, v[3:4]
	v_xor_b32_e32 v3, v154, v151
	v_add_co_u32 v37, s34, s44, v37
	v_add_co_ci_u32_e64 v38, null, s45, v38, s34
	global_store_dword v[37:38], v3, off
	s_or_b32 exec_lo, exec_lo, s35
	v_cmp_lt_u32_e64 s34, v54, v150
	s_and_saveexec_b32 s36, s34
	s_cbranch_execz .LBB1326_1072
.LBB1326_1140:                          ;   in Loop: Header=BB1326_980 Depth=2
	ds_read_b32 v151, v66 offset:11776
	s_waitcnt lgkmcnt(0)
	v_cmp_ne_u32_e64 s35, 0x80000000, v151
	v_cndmask_b32_e64 v3, 0x7fffffff, v151, s35
	v_cmp_gt_i32_e64 s35, 0, v151
	v_lshrrev_b32_e32 v3, s53, v3
	v_cndmask_b32_e64 v154, 0x7fffffff, 0, s35
	v_and_b32_e32 v3, s61, v3
	v_lshlrev_b32_e32 v3, 2, v3
	ds_read_b32 v3, v3
	s_waitcnt lgkmcnt(0)
	v_add_nc_u32_e32 v3, v3, v54
	v_lshlrev_b64 v[37:38], 2, v[3:4]
	v_xor_b32_e32 v3, v154, v151
	v_add_co_u32 v37, s35, s44, v37
	v_add_co_ci_u32_e64 v38, null, s45, v38, s35
	global_store_dword v[37:38], v3, off
	s_or_b32 exec_lo, exec_lo, s36
	v_cmp_lt_u32_e64 s35, v55, v150
	s_and_saveexec_b32 s37, s35
	s_cbranch_execz .LBB1326_1073
.LBB1326_1141:                          ;   in Loop: Header=BB1326_980 Depth=2
	ds_read_b32 v151, v66 offset:12800
	s_waitcnt lgkmcnt(0)
	v_cmp_ne_u32_e64 s36, 0x80000000, v151
	v_cndmask_b32_e64 v3, 0x7fffffff, v151, s36
	v_cmp_gt_i32_e64 s36, 0, v151
	v_lshrrev_b32_e32 v3, s53, v3
	v_cndmask_b32_e64 v154, 0x7fffffff, 0, s36
	v_and_b32_e32 v3, s61, v3
	v_lshlrev_b32_e32 v3, 2, v3
	ds_read_b32 v3, v3
	s_waitcnt lgkmcnt(0)
	v_add_nc_u32_e32 v3, v3, v55
	v_lshlrev_b64 v[37:38], 2, v[3:4]
	v_xor_b32_e32 v3, v154, v151
	v_add_co_u32 v37, s36, s44, v37
	v_add_co_ci_u32_e64 v38, null, s45, v38, s36
	global_store_dword v[37:38], v3, off
	s_or_b32 exec_lo, exec_lo, s37
	v_cmp_lt_u32_e64 s36, v56, v150
	s_and_saveexec_b32 s38, s36
	s_cbranch_execz .LBB1326_1074
.LBB1326_1142:                          ;   in Loop: Header=BB1326_980 Depth=2
	ds_read_b32 v151, v66 offset:13824
	s_waitcnt lgkmcnt(0)
	v_cmp_ne_u32_e64 s37, 0x80000000, v151
	v_cndmask_b32_e64 v3, 0x7fffffff, v151, s37
	v_cmp_gt_i32_e64 s37, 0, v151
	v_lshrrev_b32_e32 v3, s53, v3
	v_cndmask_b32_e64 v154, 0x7fffffff, 0, s37
	v_and_b32_e32 v3, s61, v3
	v_lshlrev_b32_e32 v3, 2, v3
	ds_read_b32 v3, v3
	s_waitcnt lgkmcnt(0)
	v_add_nc_u32_e32 v3, v3, v56
	v_lshlrev_b64 v[37:38], 2, v[3:4]
	v_xor_b32_e32 v3, v154, v151
	v_add_co_u32 v37, s37, s44, v37
	v_add_co_ci_u32_e64 v38, null, s45, v38, s37
	global_store_dword v[37:38], v3, off
	s_or_b32 exec_lo, exec_lo, s38
	v_cmp_lt_u32_e64 s37, v57, v150
	s_and_saveexec_b32 s39, s37
	s_cbranch_execz .LBB1326_1075
.LBB1326_1143:                          ;   in Loop: Header=BB1326_980 Depth=2
	ds_read_b32 v151, v66 offset:14848
	s_waitcnt lgkmcnt(0)
	v_cmp_ne_u32_e64 s38, 0x80000000, v151
	v_cndmask_b32_e64 v3, 0x7fffffff, v151, s38
	v_cmp_gt_i32_e64 s38, 0, v151
	v_lshrrev_b32_e32 v3, s53, v3
	v_cndmask_b32_e64 v154, 0x7fffffff, 0, s38
	v_and_b32_e32 v3, s61, v3
	v_lshlrev_b32_e32 v3, 2, v3
	ds_read_b32 v3, v3
	s_waitcnt lgkmcnt(0)
	v_add_nc_u32_e32 v3, v3, v57
	v_lshlrev_b64 v[37:38], 2, v[3:4]
	v_xor_b32_e32 v3, v154, v151
	v_add_co_u32 v37, s38, s44, v37
	v_add_co_ci_u32_e64 v38, null, s45, v38, s38
	global_store_dword v[37:38], v3, off
	s_or_b32 exec_lo, exec_lo, s39
	v_cmp_lt_u32_e64 s38, v58, v150
	s_and_saveexec_b32 s64, s38
	s_cbranch_execnz .LBB1326_1076
	s_branch .LBB1326_1077
.LBB1326_1144:                          ;   in Loop: Header=BB1326_980 Depth=2
	global_load_dwordx2 v[35:36], v[37:38], off
	s_or_b32 exec_lo, exec_lo, s39
	s_mov_b32 s46, exec_lo
	v_cmpx_lt_u32_e64 v108, v150
	s_cbranch_execz .LBB1326_1079
.LBB1326_1145:                          ;   in Loop: Header=BB1326_980 Depth=2
	global_load_dwordx2 v[33:34], v[37:38], off offset:256
	s_or_b32 exec_lo, exec_lo, s46
	s_mov_b32 s46, exec_lo
	v_cmpx_lt_u32_e64 v109, v150
	s_cbranch_execz .LBB1326_1080
.LBB1326_1146:                          ;   in Loop: Header=BB1326_980 Depth=2
	global_load_dwordx2 v[31:32], v[37:38], off offset:512
	s_or_b32 exec_lo, exec_lo, s46
	s_mov_b32 s46, exec_lo
	v_cmpx_lt_u32_e64 v110, v150
	s_cbranch_execz .LBB1326_1081
.LBB1326_1147:                          ;   in Loop: Header=BB1326_980 Depth=2
	global_load_dwordx2 v[29:30], v[37:38], off offset:768
	s_or_b32 exec_lo, exec_lo, s46
	s_mov_b32 s46, exec_lo
	v_cmpx_lt_u32_e64 v111, v150
	s_cbranch_execz .LBB1326_1082
.LBB1326_1148:                          ;   in Loop: Header=BB1326_980 Depth=2
	global_load_dwordx2 v[27:28], v[37:38], off offset:1024
	s_or_b32 exec_lo, exec_lo, s46
	s_mov_b32 s46, exec_lo
	v_cmpx_lt_u32_e64 v112, v150
	s_cbranch_execz .LBB1326_1083
.LBB1326_1149:                          ;   in Loop: Header=BB1326_980 Depth=2
	global_load_dwordx2 v[23:24], v[37:38], off offset:1280
	s_or_b32 exec_lo, exec_lo, s46
	s_mov_b32 s46, exec_lo
	v_cmpx_lt_u32_e64 v113, v150
	s_cbranch_execz .LBB1326_1084
.LBB1326_1150:                          ;   in Loop: Header=BB1326_980 Depth=2
	global_load_dwordx2 v[19:20], v[37:38], off offset:1536
	s_or_b32 exec_lo, exec_lo, s46
	s_mov_b32 s46, exec_lo
	v_cmpx_lt_u32_e64 v114, v150
	s_cbranch_execz .LBB1326_1085
.LBB1326_1151:                          ;   in Loop: Header=BB1326_980 Depth=2
	global_load_dwordx2 v[15:16], v[37:38], off offset:1792
	s_or_b32 exec_lo, exec_lo, s46
	s_mov_b32 s46, exec_lo
	v_cmpx_lt_u32_e64 v115, v150
	s_cbranch_execz .LBB1326_1086
.LBB1326_1152:                          ;   in Loop: Header=BB1326_980 Depth=2
	v_add_co_u32 v25, s39, 0x800, v37
	v_add_co_ci_u32_e64 v26, null, 0, v38, s39
	global_load_dwordx2 v[25:26], v[25:26], off
	s_or_b32 exec_lo, exec_lo, s46
	s_mov_b32 s46, exec_lo
	v_cmpx_lt_u32_e64 v116, v150
	s_cbranch_execz .LBB1326_1087
.LBB1326_1153:                          ;   in Loop: Header=BB1326_980 Depth=2
	v_add_co_u32 v21, s39, 0x800, v37
	v_add_co_ci_u32_e64 v22, null, 0, v38, s39
	global_load_dwordx2 v[21:22], v[21:22], off offset:256
	s_or_b32 exec_lo, exec_lo, s46
	s_mov_b32 s46, exec_lo
	v_cmpx_lt_u32_e64 v117, v150
	s_cbranch_execz .LBB1326_1088
.LBB1326_1154:                          ;   in Loop: Header=BB1326_980 Depth=2
	v_add_co_u32 v17, s39, 0x800, v37
	v_add_co_ci_u32_e64 v18, null, 0, v38, s39
	global_load_dwordx2 v[17:18], v[17:18], off offset:512
	s_or_b32 exec_lo, exec_lo, s46
	s_mov_b32 s46, exec_lo
	v_cmpx_lt_u32_e64 v118, v150
	s_cbranch_execz .LBB1326_1089
.LBB1326_1155:                          ;   in Loop: Header=BB1326_980 Depth=2
	v_add_co_u32 v13, s39, 0x800, v37
	v_add_co_ci_u32_e64 v14, null, 0, v38, s39
	global_load_dwordx2 v[13:14], v[13:14], off offset:768
	s_or_b32 exec_lo, exec_lo, s46
	s_mov_b32 s46, exec_lo
	v_cmpx_lt_u32_e64 v119, v150
	s_cbranch_execz .LBB1326_1090
.LBB1326_1156:                          ;   in Loop: Header=BB1326_980 Depth=2
	v_add_co_u32 v11, s39, 0x800, v37
	v_add_co_ci_u32_e64 v12, null, 0, v38, s39
	global_load_dwordx2 v[11:12], v[11:12], off offset:1024
	s_or_b32 exec_lo, exec_lo, s46
	s_mov_b32 s46, exec_lo
	v_cmpx_lt_u32_e64 v121, v150
	s_cbranch_execz .LBB1326_1091
.LBB1326_1157:                          ;   in Loop: Header=BB1326_980 Depth=2
	v_add_co_u32 v9, s39, 0x800, v37
	v_add_co_ci_u32_e64 v10, null, 0, v38, s39
	global_load_dwordx2 v[9:10], v[9:10], off offset:1280
	s_or_b32 exec_lo, exec_lo, s46
	s_mov_b32 s46, exec_lo
	v_cmpx_lt_u32_e64 v122, v150
	s_cbranch_execz .LBB1326_1092
.LBB1326_1158:                          ;   in Loop: Header=BB1326_980 Depth=2
	v_add_co_u32 v7, s39, 0x800, v37
	v_add_co_ci_u32_e64 v8, null, 0, v38, s39
	global_load_dwordx2 v[7:8], v[7:8], off offset:1536
	s_or_b32 exec_lo, exec_lo, s46
	s_mov_b32 s46, exec_lo
	v_cmpx_lt_u32_e64 v123, v150
	s_cbranch_execz .LBB1326_1093
.LBB1326_1159:                          ;   in Loop: Header=BB1326_980 Depth=2
	v_add_co_u32 v5, s39, 0x800, v37
	v_add_co_ci_u32_e64 v6, null, 0, v38, s39
	global_load_dwordx2 v[5:6], v[5:6], off offset:1792
	s_or_b32 exec_lo, exec_lo, s46
	s_and_saveexec_b32 s46, vcc_lo
	s_cbranch_execz .LBB1326_1094
.LBB1326_1160:                          ;   in Loop: Header=BB1326_980 Depth=2
	ds_read_b32 v3, v66 offset:512
	s_waitcnt lgkmcnt(0)
	v_cmp_ne_u32_e64 s39, 0x80000000, v3
	v_cndmask_b32_e64 v3, 0x7fffffff, v3, s39
	v_lshrrev_b32_e32 v3, s53, v3
	v_and_b32_e32 v148, s61, v3
	s_or_b32 exec_lo, exec_lo, s46
	s_and_saveexec_b32 s46, s22
	s_cbranch_execz .LBB1326_1095
.LBB1326_1161:                          ;   in Loop: Header=BB1326_980 Depth=2
	ds_read_b32 v3, v66 offset:1536
	s_waitcnt lgkmcnt(0)
	v_cmp_ne_u32_e64 s39, 0x80000000, v3
	v_cndmask_b32_e64 v3, 0x7fffffff, v3, s39
	v_lshrrev_b32_e32 v3, s53, v3
	v_and_b32_e32 v147, s61, v3
	s_or_b32 exec_lo, exec_lo, s46
	s_and_saveexec_b32 s46, s23
	s_cbranch_execz .LBB1326_1096
.LBB1326_1162:                          ;   in Loop: Header=BB1326_980 Depth=2
	ds_read_b32 v3, v66 offset:2560
	s_waitcnt lgkmcnt(0)
	v_cmp_ne_u32_e64 s39, 0x80000000, v3
	v_cndmask_b32_e64 v3, 0x7fffffff, v3, s39
	v_lshrrev_b32_e32 v3, s53, v3
	v_and_b32_e32 v146, s61, v3
	s_or_b32 exec_lo, exec_lo, s46
	s_and_saveexec_b32 s46, s24
	s_cbranch_execz .LBB1326_1097
.LBB1326_1163:                          ;   in Loop: Header=BB1326_980 Depth=2
	ds_read_b32 v3, v66 offset:3584
	s_waitcnt lgkmcnt(0)
	v_cmp_ne_u32_e64 s39, 0x80000000, v3
	v_cndmask_b32_e64 v3, 0x7fffffff, v3, s39
	v_lshrrev_b32_e32 v3, s53, v3
	v_and_b32_e32 v145, s61, v3
	s_or_b32 exec_lo, exec_lo, s46
	s_and_saveexec_b32 s46, s25
	s_cbranch_execz .LBB1326_1098
.LBB1326_1164:                          ;   in Loop: Header=BB1326_980 Depth=2
	ds_read_b32 v3, v66 offset:4608
	s_waitcnt lgkmcnt(0)
	v_cmp_ne_u32_e64 s39, 0x80000000, v3
	v_cndmask_b32_e64 v3, 0x7fffffff, v3, s39
	v_lshrrev_b32_e32 v3, s53, v3
	v_and_b32_e32 v143, s61, v3
	s_or_b32 exec_lo, exec_lo, s46
	s_and_saveexec_b32 s46, s26
	s_cbranch_execz .LBB1326_1099
.LBB1326_1165:                          ;   in Loop: Header=BB1326_980 Depth=2
	ds_read_b32 v3, v66 offset:5632
	s_waitcnt lgkmcnt(0)
	v_cmp_ne_u32_e64 s39, 0x80000000, v3
	v_cndmask_b32_e64 v3, 0x7fffffff, v3, s39
	v_lshrrev_b32_e32 v3, s53, v3
	v_and_b32_e32 v142, s61, v3
	s_or_b32 exec_lo, exec_lo, s46
	s_and_saveexec_b32 s46, s28
	s_cbranch_execz .LBB1326_1100
.LBB1326_1166:                          ;   in Loop: Header=BB1326_980 Depth=2
	ds_read_b32 v3, v66 offset:6656
	s_waitcnt lgkmcnt(0)
	v_cmp_ne_u32_e64 s39, 0x80000000, v3
	v_cndmask_b32_e64 v3, 0x7fffffff, v3, s39
	v_lshrrev_b32_e32 v3, s53, v3
	v_and_b32_e32 v141, s61, v3
	s_or_b32 exec_lo, exec_lo, s46
	s_and_saveexec_b32 s46, s29
	s_cbranch_execz .LBB1326_1101
.LBB1326_1167:                          ;   in Loop: Header=BB1326_980 Depth=2
	ds_read_b32 v3, v66 offset:7680
	s_waitcnt lgkmcnt(0)
	v_cmp_ne_u32_e64 s39, 0x80000000, v3
	v_cndmask_b32_e64 v3, 0x7fffffff, v3, s39
	v_lshrrev_b32_e32 v3, s53, v3
	v_and_b32_e32 v140, s61, v3
	s_or_b32 exec_lo, exec_lo, s46
	s_and_saveexec_b32 s46, s30
	s_cbranch_execz .LBB1326_1102
.LBB1326_1168:                          ;   in Loop: Header=BB1326_980 Depth=2
	ds_read_b32 v3, v66 offset:8704
	s_waitcnt lgkmcnt(0)
	v_cmp_ne_u32_e64 s39, 0x80000000, v3
	v_cndmask_b32_e64 v3, 0x7fffffff, v3, s39
	v_lshrrev_b32_e32 v3, s53, v3
	v_and_b32_e32 v139, s61, v3
	s_or_b32 exec_lo, exec_lo, s46
	s_and_saveexec_b32 s46, s31
	s_cbranch_execz .LBB1326_1103
.LBB1326_1169:                          ;   in Loop: Header=BB1326_980 Depth=2
	ds_read_b32 v3, v66 offset:9728
	s_waitcnt lgkmcnt(0)
	v_cmp_ne_u32_e64 s39, 0x80000000, v3
	v_cndmask_b32_e64 v3, 0x7fffffff, v3, s39
	v_lshrrev_b32_e32 v3, s53, v3
	v_and_b32_e32 v138, s61, v3
	s_or_b32 exec_lo, exec_lo, s46
	s_and_saveexec_b32 s46, s33
	s_cbranch_execz .LBB1326_1104
.LBB1326_1170:                          ;   in Loop: Header=BB1326_980 Depth=2
	ds_read_b32 v3, v66 offset:10752
	s_waitcnt lgkmcnt(0)
	v_cmp_ne_u32_e64 s39, 0x80000000, v3
	v_cndmask_b32_e64 v3, 0x7fffffff, v3, s39
	v_lshrrev_b32_e32 v3, s53, v3
	v_and_b32_e32 v137, s61, v3
	s_or_b32 exec_lo, exec_lo, s46
	s_and_saveexec_b32 s46, s34
	s_cbranch_execz .LBB1326_1105
.LBB1326_1171:                          ;   in Loop: Header=BB1326_980 Depth=2
	ds_read_b32 v3, v66 offset:11776
	s_waitcnt lgkmcnt(0)
	v_cmp_ne_u32_e64 s39, 0x80000000, v3
	v_cndmask_b32_e64 v3, 0x7fffffff, v3, s39
	v_lshrrev_b32_e32 v3, s53, v3
	v_and_b32_e32 v136, s61, v3
	s_or_b32 exec_lo, exec_lo, s46
	s_and_saveexec_b32 s46, s35
	s_cbranch_execz .LBB1326_1106
.LBB1326_1172:                          ;   in Loop: Header=BB1326_980 Depth=2
	ds_read_b32 v3, v66 offset:12800
	s_waitcnt lgkmcnt(0)
	v_cmp_ne_u32_e64 s39, 0x80000000, v3
	v_cndmask_b32_e64 v3, 0x7fffffff, v3, s39
	v_lshrrev_b32_e32 v3, s53, v3
	v_and_b32_e32 v135, s61, v3
	s_or_b32 exec_lo, exec_lo, s46
	s_and_saveexec_b32 s46, s36
	s_cbranch_execz .LBB1326_1107
.LBB1326_1173:                          ;   in Loop: Header=BB1326_980 Depth=2
	ds_read_b32 v3, v66 offset:13824
	s_waitcnt lgkmcnt(0)
	v_cmp_ne_u32_e64 s39, 0x80000000, v3
	v_cndmask_b32_e64 v3, 0x7fffffff, v3, s39
	v_lshrrev_b32_e32 v3, s53, v3
	v_and_b32_e32 v134, s61, v3
	s_or_b32 exec_lo, exec_lo, s46
	s_and_saveexec_b32 s46, s37
	s_cbranch_execz .LBB1326_1108
.LBB1326_1174:                          ;   in Loop: Header=BB1326_980 Depth=2
	ds_read_b32 v3, v66 offset:14848
	s_waitcnt lgkmcnt(0)
	v_cmp_ne_u32_e64 s39, 0x80000000, v3
	v_cndmask_b32_e64 v3, 0x7fffffff, v3, s39
	v_lshrrev_b32_e32 v3, s53, v3
	v_and_b32_e32 v133, s61, v3
	s_or_b32 exec_lo, exec_lo, s46
	s_and_saveexec_b32 s46, s38
	s_cbranch_execnz .LBB1326_1109
	s_branch .LBB1326_1110
.LBB1326_1175:                          ;   in Loop: Header=BB1326_980 Depth=2
	v_lshlrev_b32_e32 v3, 2, v148
	ds_read_b32 v3, v3
	ds_read_b64 v[38:39], v37 offset:512
	s_waitcnt lgkmcnt(1)
	v_add_nc_u32_e32 v3, v3, v0
	v_lshlrev_b64 v[150:151], 3, v[3:4]
	v_add_co_u32 v150, vcc_lo, s50, v150
	v_add_co_ci_u32_e64 v151, null, s51, v151, vcc_lo
	s_waitcnt lgkmcnt(0)
	global_store_dwordx2 v[150:151], v[38:39], off
	s_or_b32 exec_lo, exec_lo, s39
	s_and_saveexec_b32 s39, s22
	s_cbranch_execz .LBB1326_1112
.LBB1326_1176:                          ;   in Loop: Header=BB1326_980 Depth=2
	v_lshlrev_b32_e32 v3, 2, v147
	ds_read_b32 v3, v3
	ds_read_b64 v[38:39], v37 offset:2560
	s_waitcnt lgkmcnt(1)
	v_add_nc_u32_e32 v3, v3, v42
	v_lshlrev_b64 v[150:151], 3, v[3:4]
	v_add_co_u32 v150, vcc_lo, s50, v150
	v_add_co_ci_u32_e64 v151, null, s51, v151, vcc_lo
	s_waitcnt lgkmcnt(0)
	global_store_dwordx2 v[150:151], v[38:39], off
	s_or_b32 exec_lo, exec_lo, s39
	s_and_saveexec_b32 s22, s23
	s_cbranch_execz .LBB1326_1113
.LBB1326_1177:                          ;   in Loop: Header=BB1326_980 Depth=2
	v_lshlrev_b32_e32 v3, 2, v146
	ds_read_b32 v3, v3
	ds_read_b64 v[38:39], v37 offset:4608
	s_waitcnt lgkmcnt(1)
	v_add_nc_u32_e32 v3, v3, v45
	v_lshlrev_b64 v[150:151], 3, v[3:4]
	v_add_co_u32 v150, vcc_lo, s50, v150
	v_add_co_ci_u32_e64 v151, null, s51, v151, vcc_lo
	s_waitcnt lgkmcnt(0)
	global_store_dwordx2 v[150:151], v[38:39], off
	s_or_b32 exec_lo, exec_lo, s22
	s_and_saveexec_b32 s22, s24
	s_cbranch_execz .LBB1326_1114
.LBB1326_1178:                          ;   in Loop: Header=BB1326_980 Depth=2
	v_lshlrev_b32_e32 v3, 2, v145
	ds_read_b32 v3, v3
	ds_read_b64 v[38:39], v37 offset:6656
	s_waitcnt lgkmcnt(1)
	v_add_nc_u32_e32 v3, v3, v46
	v_lshlrev_b64 v[150:151], 3, v[3:4]
	v_add_co_u32 v150, vcc_lo, s50, v150
	v_add_co_ci_u32_e64 v151, null, s51, v151, vcc_lo
	s_waitcnt lgkmcnt(0)
	global_store_dwordx2 v[150:151], v[38:39], off
	s_or_b32 exec_lo, exec_lo, s22
	s_and_saveexec_b32 s22, s25
	s_cbranch_execz .LBB1326_1115
.LBB1326_1179:                          ;   in Loop: Header=BB1326_980 Depth=2
	v_lshlrev_b32_e32 v3, 2, v143
	ds_read_b32 v3, v3
	ds_read_b64 v[38:39], v37 offset:8704
	s_waitcnt lgkmcnt(1)
	v_add_nc_u32_e32 v3, v3, v47
	v_lshlrev_b64 v[150:151], 3, v[3:4]
	v_add_co_u32 v150, vcc_lo, s50, v150
	v_add_co_ci_u32_e64 v151, null, s51, v151, vcc_lo
	s_waitcnt lgkmcnt(0)
	global_store_dwordx2 v[150:151], v[38:39], off
	s_or_b32 exec_lo, exec_lo, s22
	s_and_saveexec_b32 s22, s26
	s_cbranch_execz .LBB1326_1116
.LBB1326_1180:                          ;   in Loop: Header=BB1326_980 Depth=2
	v_lshlrev_b32_e32 v3, 2, v142
	ds_read_b32 v3, v3
	ds_read_b64 v[38:39], v37 offset:10752
	s_waitcnt lgkmcnt(1)
	v_add_nc_u32_e32 v3, v3, v48
	v_lshlrev_b64 v[150:151], 3, v[3:4]
	v_add_co_u32 v150, vcc_lo, s50, v150
	v_add_co_ci_u32_e64 v151, null, s51, v151, vcc_lo
	s_waitcnt lgkmcnt(0)
	global_store_dwordx2 v[150:151], v[38:39], off
	s_or_b32 exec_lo, exec_lo, s22
	s_and_saveexec_b32 s22, s28
	s_cbranch_execz .LBB1326_1117
.LBB1326_1181:                          ;   in Loop: Header=BB1326_980 Depth=2
	v_lshlrev_b32_e32 v3, 2, v141
	ds_read_b32 v3, v3
	ds_read_b64 v[38:39], v37 offset:12800
	s_waitcnt lgkmcnt(1)
	v_add_nc_u32_e32 v3, v3, v49
	v_lshlrev_b64 v[150:151], 3, v[3:4]
	v_add_co_u32 v150, vcc_lo, s50, v150
	v_add_co_ci_u32_e64 v151, null, s51, v151, vcc_lo
	s_waitcnt lgkmcnt(0)
	global_store_dwordx2 v[150:151], v[38:39], off
	s_or_b32 exec_lo, exec_lo, s22
	s_and_saveexec_b32 s22, s29
	s_cbranch_execz .LBB1326_1118
.LBB1326_1182:                          ;   in Loop: Header=BB1326_980 Depth=2
	v_lshlrev_b32_e32 v3, 2, v140
	ds_read_b32 v3, v3
	ds_read_b64 v[38:39], v37 offset:14848
	s_waitcnt lgkmcnt(1)
	v_add_nc_u32_e32 v3, v3, v50
	v_lshlrev_b64 v[150:151], 3, v[3:4]
	v_add_co_u32 v150, vcc_lo, s50, v150
	v_add_co_ci_u32_e64 v151, null, s51, v151, vcc_lo
	s_waitcnt lgkmcnt(0)
	global_store_dwordx2 v[150:151], v[38:39], off
	s_or_b32 exec_lo, exec_lo, s22
	s_and_saveexec_b32 s22, s30
	s_cbranch_execz .LBB1326_1119
.LBB1326_1183:                          ;   in Loop: Header=BB1326_980 Depth=2
	v_lshlrev_b32_e32 v3, 2, v139
	ds_read_b32 v3, v3
	ds_read_b64 v[38:39], v37 offset:16896
	s_waitcnt lgkmcnt(1)
	v_add_nc_u32_e32 v3, v3, v51
	v_lshlrev_b64 v[150:151], 3, v[3:4]
	v_add_co_u32 v150, vcc_lo, s50, v150
	v_add_co_ci_u32_e64 v151, null, s51, v151, vcc_lo
	s_waitcnt lgkmcnt(0)
	global_store_dwordx2 v[150:151], v[38:39], off
	s_or_b32 exec_lo, exec_lo, s22
	s_and_saveexec_b32 s22, s31
	s_cbranch_execz .LBB1326_1120
.LBB1326_1184:                          ;   in Loop: Header=BB1326_980 Depth=2
	v_lshlrev_b32_e32 v3, 2, v138
	ds_read_b32 v3, v3
	ds_read_b64 v[38:39], v37 offset:18944
	s_waitcnt lgkmcnt(1)
	v_add_nc_u32_e32 v3, v3, v52
	v_lshlrev_b64 v[150:151], 3, v[3:4]
	v_add_co_u32 v150, vcc_lo, s50, v150
	v_add_co_ci_u32_e64 v151, null, s51, v151, vcc_lo
	s_waitcnt lgkmcnt(0)
	global_store_dwordx2 v[150:151], v[38:39], off
	s_or_b32 exec_lo, exec_lo, s22
	s_and_saveexec_b32 s22, s33
	s_cbranch_execz .LBB1326_1121
.LBB1326_1185:                          ;   in Loop: Header=BB1326_980 Depth=2
	v_lshlrev_b32_e32 v3, 2, v137
	ds_read_b32 v3, v3
	ds_read_b64 v[38:39], v37 offset:20992
	s_waitcnt lgkmcnt(1)
	v_add_nc_u32_e32 v3, v3, v53
	v_lshlrev_b64 v[150:151], 3, v[3:4]
	v_add_co_u32 v150, vcc_lo, s50, v150
	v_add_co_ci_u32_e64 v151, null, s51, v151, vcc_lo
	s_waitcnt lgkmcnt(0)
	global_store_dwordx2 v[150:151], v[38:39], off
	s_or_b32 exec_lo, exec_lo, s22
	s_and_saveexec_b32 s22, s34
	s_cbranch_execz .LBB1326_1122
.LBB1326_1186:                          ;   in Loop: Header=BB1326_980 Depth=2
	v_lshlrev_b32_e32 v3, 2, v136
	ds_read_b32 v3, v3
	ds_read_b64 v[38:39], v37 offset:23040
	s_waitcnt lgkmcnt(1)
	v_add_nc_u32_e32 v3, v3, v54
	v_lshlrev_b64 v[150:151], 3, v[3:4]
	v_add_co_u32 v150, vcc_lo, s50, v150
	v_add_co_ci_u32_e64 v151, null, s51, v151, vcc_lo
	s_waitcnt lgkmcnt(0)
	global_store_dwordx2 v[150:151], v[38:39], off
	s_or_b32 exec_lo, exec_lo, s22
	s_and_saveexec_b32 s22, s35
	s_cbranch_execz .LBB1326_1123
.LBB1326_1187:                          ;   in Loop: Header=BB1326_980 Depth=2
	v_lshlrev_b32_e32 v3, 2, v135
	ds_read_b32 v3, v3
	ds_read_b64 v[38:39], v37 offset:25088
	s_waitcnt lgkmcnt(1)
	v_add_nc_u32_e32 v3, v3, v55
	v_lshlrev_b64 v[150:151], 3, v[3:4]
	v_add_co_u32 v150, vcc_lo, s50, v150
	v_add_co_ci_u32_e64 v151, null, s51, v151, vcc_lo
	s_waitcnt lgkmcnt(0)
	global_store_dwordx2 v[150:151], v[38:39], off
	s_or_b32 exec_lo, exec_lo, s22
	s_and_saveexec_b32 s22, s36
	s_cbranch_execz .LBB1326_1124
.LBB1326_1188:                          ;   in Loop: Header=BB1326_980 Depth=2
	v_lshlrev_b32_e32 v3, 2, v134
	ds_read_b32 v3, v3
	ds_read_b64 v[38:39], v37 offset:27136
	s_waitcnt lgkmcnt(1)
	v_add_nc_u32_e32 v3, v3, v56
	v_lshlrev_b64 v[150:151], 3, v[3:4]
	v_add_co_u32 v150, vcc_lo, s50, v150
	v_add_co_ci_u32_e64 v151, null, s51, v151, vcc_lo
	s_waitcnt lgkmcnt(0)
	global_store_dwordx2 v[150:151], v[38:39], off
	s_or_b32 exec_lo, exec_lo, s22
	s_and_saveexec_b32 s22, s37
	s_cbranch_execz .LBB1326_1125
.LBB1326_1189:                          ;   in Loop: Header=BB1326_980 Depth=2
	v_lshlrev_b32_e32 v3, 2, v133
	ds_read_b32 v3, v3
	ds_read_b64 v[38:39], v37 offset:29184
	s_waitcnt lgkmcnt(1)
	v_add_nc_u32_e32 v3, v3, v57
	v_lshlrev_b64 v[150:151], 3, v[3:4]
	v_add_co_u32 v150, vcc_lo, s50, v150
	v_add_co_ci_u32_e64 v151, null, s51, v151, vcc_lo
	s_waitcnt lgkmcnt(0)
	global_store_dwordx2 v[150:151], v[38:39], off
	s_or_b32 exec_lo, exec_lo, s22
	s_and_saveexec_b32 s22, s38
	s_cbranch_execnz .LBB1326_1126
	s_branch .LBB1326_1127
.LBB1326_1190:
	s_endpgm
	.section	.rodata,"a",@progbits
	.p2align	6, 0x0
	.amdhsa_kernel _ZN7rocprim17ROCPRIM_400000_NS6detail17trampoline_kernelINS0_14default_configENS1_36segmented_radix_sort_config_selectorIflEEZNS1_25segmented_radix_sort_implIS3_Lb1EPKfPfPKlPlN2at6native12_GLOBAL__N_18offset_tEEE10hipError_tPvRmT1_PNSt15iterator_traitsISK_E10value_typeET2_T3_PNSL_ISQ_E10value_typeET4_jRbjT5_SW_jjP12ihipStream_tbEUlT_E_NS1_11comp_targetILNS1_3genE8ELNS1_11target_archE1030ELNS1_3gpuE2ELNS1_3repE0EEENS1_30default_config_static_selectorELNS0_4arch9wavefront6targetE0EEEvSK_
		.amdhsa_group_segment_fixed_size 33296
		.amdhsa_private_segment_fixed_size 68
		.amdhsa_kernarg_size 352
		.amdhsa_user_sgpr_count 6
		.amdhsa_user_sgpr_private_segment_buffer 1
		.amdhsa_user_sgpr_dispatch_ptr 0
		.amdhsa_user_sgpr_queue_ptr 0
		.amdhsa_user_sgpr_kernarg_segment_ptr 1
		.amdhsa_user_sgpr_dispatch_id 0
		.amdhsa_user_sgpr_flat_scratch_init 0
		.amdhsa_user_sgpr_private_segment_size 0
		.amdhsa_wavefront_size32 1
		.amdhsa_uses_dynamic_stack 0
		.amdhsa_system_sgpr_private_segment_wavefront_offset 1
		.amdhsa_system_sgpr_workgroup_id_x 1
		.amdhsa_system_sgpr_workgroup_id_y 1
		.amdhsa_system_sgpr_workgroup_id_z 0
		.amdhsa_system_sgpr_workgroup_info 0
		.amdhsa_system_vgpr_workitem_id 2
		.amdhsa_next_free_vgpr 248
		.amdhsa_next_free_sgpr 66
		.amdhsa_reserve_vcc 1
		.amdhsa_reserve_flat_scratch 0
		.amdhsa_float_round_mode_32 0
		.amdhsa_float_round_mode_16_64 0
		.amdhsa_float_denorm_mode_32 3
		.amdhsa_float_denorm_mode_16_64 3
		.amdhsa_dx10_clamp 1
		.amdhsa_ieee_mode 1
		.amdhsa_fp16_overflow 0
		.amdhsa_workgroup_processor_mode 1
		.amdhsa_memory_ordered 1
		.amdhsa_forward_progress 1
		.amdhsa_shared_vgpr_count 0
		.amdhsa_exception_fp_ieee_invalid_op 0
		.amdhsa_exception_fp_denorm_src 0
		.amdhsa_exception_fp_ieee_div_zero 0
		.amdhsa_exception_fp_ieee_overflow 0
		.amdhsa_exception_fp_ieee_underflow 0
		.amdhsa_exception_fp_ieee_inexact 0
		.amdhsa_exception_int_div_zero 0
	.end_amdhsa_kernel
	.section	.text._ZN7rocprim17ROCPRIM_400000_NS6detail17trampoline_kernelINS0_14default_configENS1_36segmented_radix_sort_config_selectorIflEEZNS1_25segmented_radix_sort_implIS3_Lb1EPKfPfPKlPlN2at6native12_GLOBAL__N_18offset_tEEE10hipError_tPvRmT1_PNSt15iterator_traitsISK_E10value_typeET2_T3_PNSL_ISQ_E10value_typeET4_jRbjT5_SW_jjP12ihipStream_tbEUlT_E_NS1_11comp_targetILNS1_3genE8ELNS1_11target_archE1030ELNS1_3gpuE2ELNS1_3repE0EEENS1_30default_config_static_selectorELNS0_4arch9wavefront6targetE0EEEvSK_,"axG",@progbits,_ZN7rocprim17ROCPRIM_400000_NS6detail17trampoline_kernelINS0_14default_configENS1_36segmented_radix_sort_config_selectorIflEEZNS1_25segmented_radix_sort_implIS3_Lb1EPKfPfPKlPlN2at6native12_GLOBAL__N_18offset_tEEE10hipError_tPvRmT1_PNSt15iterator_traitsISK_E10value_typeET2_T3_PNSL_ISQ_E10value_typeET4_jRbjT5_SW_jjP12ihipStream_tbEUlT_E_NS1_11comp_targetILNS1_3genE8ELNS1_11target_archE1030ELNS1_3gpuE2ELNS1_3repE0EEENS1_30default_config_static_selectorELNS0_4arch9wavefront6targetE0EEEvSK_,comdat
.Lfunc_end1326:
	.size	_ZN7rocprim17ROCPRIM_400000_NS6detail17trampoline_kernelINS0_14default_configENS1_36segmented_radix_sort_config_selectorIflEEZNS1_25segmented_radix_sort_implIS3_Lb1EPKfPfPKlPlN2at6native12_GLOBAL__N_18offset_tEEE10hipError_tPvRmT1_PNSt15iterator_traitsISK_E10value_typeET2_T3_PNSL_ISQ_E10value_typeET4_jRbjT5_SW_jjP12ihipStream_tbEUlT_E_NS1_11comp_targetILNS1_3genE8ELNS1_11target_archE1030ELNS1_3gpuE2ELNS1_3repE0EEENS1_30default_config_static_selectorELNS0_4arch9wavefront6targetE0EEEvSK_, .Lfunc_end1326-_ZN7rocprim17ROCPRIM_400000_NS6detail17trampoline_kernelINS0_14default_configENS1_36segmented_radix_sort_config_selectorIflEEZNS1_25segmented_radix_sort_implIS3_Lb1EPKfPfPKlPlN2at6native12_GLOBAL__N_18offset_tEEE10hipError_tPvRmT1_PNSt15iterator_traitsISK_E10value_typeET2_T3_PNSL_ISQ_E10value_typeET4_jRbjT5_SW_jjP12ihipStream_tbEUlT_E_NS1_11comp_targetILNS1_3genE8ELNS1_11target_archE1030ELNS1_3gpuE2ELNS1_3repE0EEENS1_30default_config_static_selectorELNS0_4arch9wavefront6targetE0EEEvSK_
                                        ; -- End function
	.set _ZN7rocprim17ROCPRIM_400000_NS6detail17trampoline_kernelINS0_14default_configENS1_36segmented_radix_sort_config_selectorIflEEZNS1_25segmented_radix_sort_implIS3_Lb1EPKfPfPKlPlN2at6native12_GLOBAL__N_18offset_tEEE10hipError_tPvRmT1_PNSt15iterator_traitsISK_E10value_typeET2_T3_PNSL_ISQ_E10value_typeET4_jRbjT5_SW_jjP12ihipStream_tbEUlT_E_NS1_11comp_targetILNS1_3genE8ELNS1_11target_archE1030ELNS1_3gpuE2ELNS1_3repE0EEENS1_30default_config_static_selectorELNS0_4arch9wavefront6targetE0EEEvSK_.num_vgpr, max(216, .L_ZN7rocprim17ROCPRIM_400000_NS6detail40segmented_radix_sort_single_block_helperIflLj256ELj16ELb1EE4sortIPKfPfPKlPlEEbT_T0_T1_T2_jjjjRNS3_12storage_typeE.num_vgpr)
	.set _ZN7rocprim17ROCPRIM_400000_NS6detail17trampoline_kernelINS0_14default_configENS1_36segmented_radix_sort_config_selectorIflEEZNS1_25segmented_radix_sort_implIS3_Lb1EPKfPfPKlPlN2at6native12_GLOBAL__N_18offset_tEEE10hipError_tPvRmT1_PNSt15iterator_traitsISK_E10value_typeET2_T3_PNSL_ISQ_E10value_typeET4_jRbjT5_SW_jjP12ihipStream_tbEUlT_E_NS1_11comp_targetILNS1_3genE8ELNS1_11target_archE1030ELNS1_3gpuE2ELNS1_3repE0EEENS1_30default_config_static_selectorELNS0_4arch9wavefront6targetE0EEEvSK_.num_agpr, max(0, .L_ZN7rocprim17ROCPRIM_400000_NS6detail40segmented_radix_sort_single_block_helperIflLj256ELj16ELb1EE4sortIPKfPfPKlPlEEbT_T0_T1_T2_jjjjRNS3_12storage_typeE.num_agpr)
	.set _ZN7rocprim17ROCPRIM_400000_NS6detail17trampoline_kernelINS0_14default_configENS1_36segmented_radix_sort_config_selectorIflEEZNS1_25segmented_radix_sort_implIS3_Lb1EPKfPfPKlPlN2at6native12_GLOBAL__N_18offset_tEEE10hipError_tPvRmT1_PNSt15iterator_traitsISK_E10value_typeET2_T3_PNSL_ISQ_E10value_typeET4_jRbjT5_SW_jjP12ihipStream_tbEUlT_E_NS1_11comp_targetILNS1_3genE8ELNS1_11target_archE1030ELNS1_3gpuE2ELNS1_3repE0EEENS1_30default_config_static_selectorELNS0_4arch9wavefront6targetE0EEEvSK_.numbered_sgpr, max(66, .L_ZN7rocprim17ROCPRIM_400000_NS6detail40segmented_radix_sort_single_block_helperIflLj256ELj16ELb1EE4sortIPKfPfPKlPlEEbT_T0_T1_T2_jjjjRNS3_12storage_typeE.numbered_sgpr)
	.set _ZN7rocprim17ROCPRIM_400000_NS6detail17trampoline_kernelINS0_14default_configENS1_36segmented_radix_sort_config_selectorIflEEZNS1_25segmented_radix_sort_implIS3_Lb1EPKfPfPKlPlN2at6native12_GLOBAL__N_18offset_tEEE10hipError_tPvRmT1_PNSt15iterator_traitsISK_E10value_typeET2_T3_PNSL_ISQ_E10value_typeET4_jRbjT5_SW_jjP12ihipStream_tbEUlT_E_NS1_11comp_targetILNS1_3genE8ELNS1_11target_archE1030ELNS1_3gpuE2ELNS1_3repE0EEENS1_30default_config_static_selectorELNS0_4arch9wavefront6targetE0EEEvSK_.num_named_barrier, max(0, .L_ZN7rocprim17ROCPRIM_400000_NS6detail40segmented_radix_sort_single_block_helperIflLj256ELj16ELb1EE4sortIPKfPfPKlPlEEbT_T0_T1_T2_jjjjRNS3_12storage_typeE.num_named_barrier)
	.set _ZN7rocprim17ROCPRIM_400000_NS6detail17trampoline_kernelINS0_14default_configENS1_36segmented_radix_sort_config_selectorIflEEZNS1_25segmented_radix_sort_implIS3_Lb1EPKfPfPKlPlN2at6native12_GLOBAL__N_18offset_tEEE10hipError_tPvRmT1_PNSt15iterator_traitsISK_E10value_typeET2_T3_PNSL_ISQ_E10value_typeET4_jRbjT5_SW_jjP12ihipStream_tbEUlT_E_NS1_11comp_targetILNS1_3genE8ELNS1_11target_archE1030ELNS1_3gpuE2ELNS1_3repE0EEENS1_30default_config_static_selectorELNS0_4arch9wavefront6targetE0EEEvSK_.private_seg_size, 0+max(.L_ZN7rocprim17ROCPRIM_400000_NS6detail40segmented_radix_sort_single_block_helperIflLj256ELj16ELb1EE4sortIPKfPfPKlPlEEbT_T0_T1_T2_jjjjRNS3_12storage_typeE.private_seg_size)
	.set _ZN7rocprim17ROCPRIM_400000_NS6detail17trampoline_kernelINS0_14default_configENS1_36segmented_radix_sort_config_selectorIflEEZNS1_25segmented_radix_sort_implIS3_Lb1EPKfPfPKlPlN2at6native12_GLOBAL__N_18offset_tEEE10hipError_tPvRmT1_PNSt15iterator_traitsISK_E10value_typeET2_T3_PNSL_ISQ_E10value_typeET4_jRbjT5_SW_jjP12ihipStream_tbEUlT_E_NS1_11comp_targetILNS1_3genE8ELNS1_11target_archE1030ELNS1_3gpuE2ELNS1_3repE0EEENS1_30default_config_static_selectorELNS0_4arch9wavefront6targetE0EEEvSK_.uses_vcc, or(1, .L_ZN7rocprim17ROCPRIM_400000_NS6detail40segmented_radix_sort_single_block_helperIflLj256ELj16ELb1EE4sortIPKfPfPKlPlEEbT_T0_T1_T2_jjjjRNS3_12storage_typeE.uses_vcc)
	.set _ZN7rocprim17ROCPRIM_400000_NS6detail17trampoline_kernelINS0_14default_configENS1_36segmented_radix_sort_config_selectorIflEEZNS1_25segmented_radix_sort_implIS3_Lb1EPKfPfPKlPlN2at6native12_GLOBAL__N_18offset_tEEE10hipError_tPvRmT1_PNSt15iterator_traitsISK_E10value_typeET2_T3_PNSL_ISQ_E10value_typeET4_jRbjT5_SW_jjP12ihipStream_tbEUlT_E_NS1_11comp_targetILNS1_3genE8ELNS1_11target_archE1030ELNS1_3gpuE2ELNS1_3repE0EEENS1_30default_config_static_selectorELNS0_4arch9wavefront6targetE0EEEvSK_.uses_flat_scratch, or(0, .L_ZN7rocprim17ROCPRIM_400000_NS6detail40segmented_radix_sort_single_block_helperIflLj256ELj16ELb1EE4sortIPKfPfPKlPlEEbT_T0_T1_T2_jjjjRNS3_12storage_typeE.uses_flat_scratch)
	.set _ZN7rocprim17ROCPRIM_400000_NS6detail17trampoline_kernelINS0_14default_configENS1_36segmented_radix_sort_config_selectorIflEEZNS1_25segmented_radix_sort_implIS3_Lb1EPKfPfPKlPlN2at6native12_GLOBAL__N_18offset_tEEE10hipError_tPvRmT1_PNSt15iterator_traitsISK_E10value_typeET2_T3_PNSL_ISQ_E10value_typeET4_jRbjT5_SW_jjP12ihipStream_tbEUlT_E_NS1_11comp_targetILNS1_3genE8ELNS1_11target_archE1030ELNS1_3gpuE2ELNS1_3repE0EEENS1_30default_config_static_selectorELNS0_4arch9wavefront6targetE0EEEvSK_.has_dyn_sized_stack, or(0, .L_ZN7rocprim17ROCPRIM_400000_NS6detail40segmented_radix_sort_single_block_helperIflLj256ELj16ELb1EE4sortIPKfPfPKlPlEEbT_T0_T1_T2_jjjjRNS3_12storage_typeE.has_dyn_sized_stack)
	.set _ZN7rocprim17ROCPRIM_400000_NS6detail17trampoline_kernelINS0_14default_configENS1_36segmented_radix_sort_config_selectorIflEEZNS1_25segmented_radix_sort_implIS3_Lb1EPKfPfPKlPlN2at6native12_GLOBAL__N_18offset_tEEE10hipError_tPvRmT1_PNSt15iterator_traitsISK_E10value_typeET2_T3_PNSL_ISQ_E10value_typeET4_jRbjT5_SW_jjP12ihipStream_tbEUlT_E_NS1_11comp_targetILNS1_3genE8ELNS1_11target_archE1030ELNS1_3gpuE2ELNS1_3repE0EEENS1_30default_config_static_selectorELNS0_4arch9wavefront6targetE0EEEvSK_.has_recursion, or(0, .L_ZN7rocprim17ROCPRIM_400000_NS6detail40segmented_radix_sort_single_block_helperIflLj256ELj16ELb1EE4sortIPKfPfPKlPlEEbT_T0_T1_T2_jjjjRNS3_12storage_typeE.has_recursion)
	.set _ZN7rocprim17ROCPRIM_400000_NS6detail17trampoline_kernelINS0_14default_configENS1_36segmented_radix_sort_config_selectorIflEEZNS1_25segmented_radix_sort_implIS3_Lb1EPKfPfPKlPlN2at6native12_GLOBAL__N_18offset_tEEE10hipError_tPvRmT1_PNSt15iterator_traitsISK_E10value_typeET2_T3_PNSL_ISQ_E10value_typeET4_jRbjT5_SW_jjP12ihipStream_tbEUlT_E_NS1_11comp_targetILNS1_3genE8ELNS1_11target_archE1030ELNS1_3gpuE2ELNS1_3repE0EEENS1_30default_config_static_selectorELNS0_4arch9wavefront6targetE0EEEvSK_.has_indirect_call, or(0, .L_ZN7rocprim17ROCPRIM_400000_NS6detail40segmented_radix_sort_single_block_helperIflLj256ELj16ELb1EE4sortIPKfPfPKlPlEEbT_T0_T1_T2_jjjjRNS3_12storage_typeE.has_indirect_call)
	.section	.AMDGPU.csdata,"",@progbits
; Kernel info:
; codeLenInByte = 67724
; TotalNumSgprs: 68
; NumVgprs: 248
; ScratchSize: 68
; MemoryBound: 0
; FloatMode: 240
; IeeeMode: 1
; LDSByteSize: 33296 bytes/workgroup (compile time only)
; SGPRBlocks: 0
; VGPRBlocks: 30
; NumSGPRsForWavesPerEU: 68
; NumVGPRsForWavesPerEU: 248
; Occupancy: 4
; WaveLimiterHint : 1
; COMPUTE_PGM_RSRC2:SCRATCH_EN: 1
; COMPUTE_PGM_RSRC2:USER_SGPR: 6
; COMPUTE_PGM_RSRC2:TRAP_HANDLER: 0
; COMPUTE_PGM_RSRC2:TGID_X_EN: 1
; COMPUTE_PGM_RSRC2:TGID_Y_EN: 1
; COMPUTE_PGM_RSRC2:TGID_Z_EN: 0
; COMPUTE_PGM_RSRC2:TIDIG_COMP_CNT: 2
	.section	.text._ZN7rocprim17ROCPRIM_400000_NS6detail17trampoline_kernelINS0_14default_configENS1_36segmented_radix_sort_config_selectorIflEEZNS1_25segmented_radix_sort_implIS3_Lb1EPKfPfPKlPlN2at6native12_GLOBAL__N_18offset_tEEE10hipError_tPvRmT1_PNSt15iterator_traitsISK_E10value_typeET2_T3_PNSL_ISQ_E10value_typeET4_jRbjT5_SW_jjP12ihipStream_tbEUlT_E0_NS1_11comp_targetILNS1_3genE0ELNS1_11target_archE4294967295ELNS1_3gpuE0ELNS1_3repE0EEENS1_60segmented_radix_sort_warp_sort_medium_config_static_selectorELNS0_4arch9wavefront6targetE0EEEvSK_,"axG",@progbits,_ZN7rocprim17ROCPRIM_400000_NS6detail17trampoline_kernelINS0_14default_configENS1_36segmented_radix_sort_config_selectorIflEEZNS1_25segmented_radix_sort_implIS3_Lb1EPKfPfPKlPlN2at6native12_GLOBAL__N_18offset_tEEE10hipError_tPvRmT1_PNSt15iterator_traitsISK_E10value_typeET2_T3_PNSL_ISQ_E10value_typeET4_jRbjT5_SW_jjP12ihipStream_tbEUlT_E0_NS1_11comp_targetILNS1_3genE0ELNS1_11target_archE4294967295ELNS1_3gpuE0ELNS1_3repE0EEENS1_60segmented_radix_sort_warp_sort_medium_config_static_selectorELNS0_4arch9wavefront6targetE0EEEvSK_,comdat
	.globl	_ZN7rocprim17ROCPRIM_400000_NS6detail17trampoline_kernelINS0_14default_configENS1_36segmented_radix_sort_config_selectorIflEEZNS1_25segmented_radix_sort_implIS3_Lb1EPKfPfPKlPlN2at6native12_GLOBAL__N_18offset_tEEE10hipError_tPvRmT1_PNSt15iterator_traitsISK_E10value_typeET2_T3_PNSL_ISQ_E10value_typeET4_jRbjT5_SW_jjP12ihipStream_tbEUlT_E0_NS1_11comp_targetILNS1_3genE0ELNS1_11target_archE4294967295ELNS1_3gpuE0ELNS1_3repE0EEENS1_60segmented_radix_sort_warp_sort_medium_config_static_selectorELNS0_4arch9wavefront6targetE0EEEvSK_ ; -- Begin function _ZN7rocprim17ROCPRIM_400000_NS6detail17trampoline_kernelINS0_14default_configENS1_36segmented_radix_sort_config_selectorIflEEZNS1_25segmented_radix_sort_implIS3_Lb1EPKfPfPKlPlN2at6native12_GLOBAL__N_18offset_tEEE10hipError_tPvRmT1_PNSt15iterator_traitsISK_E10value_typeET2_T3_PNSL_ISQ_E10value_typeET4_jRbjT5_SW_jjP12ihipStream_tbEUlT_E0_NS1_11comp_targetILNS1_3genE0ELNS1_11target_archE4294967295ELNS1_3gpuE0ELNS1_3repE0EEENS1_60segmented_radix_sort_warp_sort_medium_config_static_selectorELNS0_4arch9wavefront6targetE0EEEvSK_
	.p2align	8
	.type	_ZN7rocprim17ROCPRIM_400000_NS6detail17trampoline_kernelINS0_14default_configENS1_36segmented_radix_sort_config_selectorIflEEZNS1_25segmented_radix_sort_implIS3_Lb1EPKfPfPKlPlN2at6native12_GLOBAL__N_18offset_tEEE10hipError_tPvRmT1_PNSt15iterator_traitsISK_E10value_typeET2_T3_PNSL_ISQ_E10value_typeET4_jRbjT5_SW_jjP12ihipStream_tbEUlT_E0_NS1_11comp_targetILNS1_3genE0ELNS1_11target_archE4294967295ELNS1_3gpuE0ELNS1_3repE0EEENS1_60segmented_radix_sort_warp_sort_medium_config_static_selectorELNS0_4arch9wavefront6targetE0EEEvSK_,@function
_ZN7rocprim17ROCPRIM_400000_NS6detail17trampoline_kernelINS0_14default_configENS1_36segmented_radix_sort_config_selectorIflEEZNS1_25segmented_radix_sort_implIS3_Lb1EPKfPfPKlPlN2at6native12_GLOBAL__N_18offset_tEEE10hipError_tPvRmT1_PNSt15iterator_traitsISK_E10value_typeET2_T3_PNSL_ISQ_E10value_typeET4_jRbjT5_SW_jjP12ihipStream_tbEUlT_E0_NS1_11comp_targetILNS1_3genE0ELNS1_11target_archE4294967295ELNS1_3gpuE0ELNS1_3repE0EEENS1_60segmented_radix_sort_warp_sort_medium_config_static_selectorELNS0_4arch9wavefront6targetE0EEEvSK_: ; @_ZN7rocprim17ROCPRIM_400000_NS6detail17trampoline_kernelINS0_14default_configENS1_36segmented_radix_sort_config_selectorIflEEZNS1_25segmented_radix_sort_implIS3_Lb1EPKfPfPKlPlN2at6native12_GLOBAL__N_18offset_tEEE10hipError_tPvRmT1_PNSt15iterator_traitsISK_E10value_typeET2_T3_PNSL_ISQ_E10value_typeET4_jRbjT5_SW_jjP12ihipStream_tbEUlT_E0_NS1_11comp_targetILNS1_3genE0ELNS1_11target_archE4294967295ELNS1_3gpuE0ELNS1_3repE0EEENS1_60segmented_radix_sort_warp_sort_medium_config_static_selectorELNS0_4arch9wavefront6targetE0EEEvSK_
; %bb.0:
	.section	.rodata,"a",@progbits
	.p2align	6, 0x0
	.amdhsa_kernel _ZN7rocprim17ROCPRIM_400000_NS6detail17trampoline_kernelINS0_14default_configENS1_36segmented_radix_sort_config_selectorIflEEZNS1_25segmented_radix_sort_implIS3_Lb1EPKfPfPKlPlN2at6native12_GLOBAL__N_18offset_tEEE10hipError_tPvRmT1_PNSt15iterator_traitsISK_E10value_typeET2_T3_PNSL_ISQ_E10value_typeET4_jRbjT5_SW_jjP12ihipStream_tbEUlT_E0_NS1_11comp_targetILNS1_3genE0ELNS1_11target_archE4294967295ELNS1_3gpuE0ELNS1_3repE0EEENS1_60segmented_radix_sort_warp_sort_medium_config_static_selectorELNS0_4arch9wavefront6targetE0EEEvSK_
		.amdhsa_group_segment_fixed_size 0
		.amdhsa_private_segment_fixed_size 0
		.amdhsa_kernarg_size 88
		.amdhsa_user_sgpr_count 6
		.amdhsa_user_sgpr_private_segment_buffer 1
		.amdhsa_user_sgpr_dispatch_ptr 0
		.amdhsa_user_sgpr_queue_ptr 0
		.amdhsa_user_sgpr_kernarg_segment_ptr 1
		.amdhsa_user_sgpr_dispatch_id 0
		.amdhsa_user_sgpr_flat_scratch_init 0
		.amdhsa_user_sgpr_private_segment_size 0
		.amdhsa_wavefront_size32 1
		.amdhsa_uses_dynamic_stack 0
		.amdhsa_system_sgpr_private_segment_wavefront_offset 0
		.amdhsa_system_sgpr_workgroup_id_x 1
		.amdhsa_system_sgpr_workgroup_id_y 0
		.amdhsa_system_sgpr_workgroup_id_z 0
		.amdhsa_system_sgpr_workgroup_info 0
		.amdhsa_system_vgpr_workitem_id 0
		.amdhsa_next_free_vgpr 1
		.amdhsa_next_free_sgpr 1
		.amdhsa_reserve_vcc 0
		.amdhsa_reserve_flat_scratch 0
		.amdhsa_float_round_mode_32 0
		.amdhsa_float_round_mode_16_64 0
		.amdhsa_float_denorm_mode_32 3
		.amdhsa_float_denorm_mode_16_64 3
		.amdhsa_dx10_clamp 1
		.amdhsa_ieee_mode 1
		.amdhsa_fp16_overflow 0
		.amdhsa_workgroup_processor_mode 1
		.amdhsa_memory_ordered 1
		.amdhsa_forward_progress 1
		.amdhsa_shared_vgpr_count 0
		.amdhsa_exception_fp_ieee_invalid_op 0
		.amdhsa_exception_fp_denorm_src 0
		.amdhsa_exception_fp_ieee_div_zero 0
		.amdhsa_exception_fp_ieee_overflow 0
		.amdhsa_exception_fp_ieee_underflow 0
		.amdhsa_exception_fp_ieee_inexact 0
		.amdhsa_exception_int_div_zero 0
	.end_amdhsa_kernel
	.section	.text._ZN7rocprim17ROCPRIM_400000_NS6detail17trampoline_kernelINS0_14default_configENS1_36segmented_radix_sort_config_selectorIflEEZNS1_25segmented_radix_sort_implIS3_Lb1EPKfPfPKlPlN2at6native12_GLOBAL__N_18offset_tEEE10hipError_tPvRmT1_PNSt15iterator_traitsISK_E10value_typeET2_T3_PNSL_ISQ_E10value_typeET4_jRbjT5_SW_jjP12ihipStream_tbEUlT_E0_NS1_11comp_targetILNS1_3genE0ELNS1_11target_archE4294967295ELNS1_3gpuE0ELNS1_3repE0EEENS1_60segmented_radix_sort_warp_sort_medium_config_static_selectorELNS0_4arch9wavefront6targetE0EEEvSK_,"axG",@progbits,_ZN7rocprim17ROCPRIM_400000_NS6detail17trampoline_kernelINS0_14default_configENS1_36segmented_radix_sort_config_selectorIflEEZNS1_25segmented_radix_sort_implIS3_Lb1EPKfPfPKlPlN2at6native12_GLOBAL__N_18offset_tEEE10hipError_tPvRmT1_PNSt15iterator_traitsISK_E10value_typeET2_T3_PNSL_ISQ_E10value_typeET4_jRbjT5_SW_jjP12ihipStream_tbEUlT_E0_NS1_11comp_targetILNS1_3genE0ELNS1_11target_archE4294967295ELNS1_3gpuE0ELNS1_3repE0EEENS1_60segmented_radix_sort_warp_sort_medium_config_static_selectorELNS0_4arch9wavefront6targetE0EEEvSK_,comdat
.Lfunc_end1327:
	.size	_ZN7rocprim17ROCPRIM_400000_NS6detail17trampoline_kernelINS0_14default_configENS1_36segmented_radix_sort_config_selectorIflEEZNS1_25segmented_radix_sort_implIS3_Lb1EPKfPfPKlPlN2at6native12_GLOBAL__N_18offset_tEEE10hipError_tPvRmT1_PNSt15iterator_traitsISK_E10value_typeET2_T3_PNSL_ISQ_E10value_typeET4_jRbjT5_SW_jjP12ihipStream_tbEUlT_E0_NS1_11comp_targetILNS1_3genE0ELNS1_11target_archE4294967295ELNS1_3gpuE0ELNS1_3repE0EEENS1_60segmented_radix_sort_warp_sort_medium_config_static_selectorELNS0_4arch9wavefront6targetE0EEEvSK_, .Lfunc_end1327-_ZN7rocprim17ROCPRIM_400000_NS6detail17trampoline_kernelINS0_14default_configENS1_36segmented_radix_sort_config_selectorIflEEZNS1_25segmented_radix_sort_implIS3_Lb1EPKfPfPKlPlN2at6native12_GLOBAL__N_18offset_tEEE10hipError_tPvRmT1_PNSt15iterator_traitsISK_E10value_typeET2_T3_PNSL_ISQ_E10value_typeET4_jRbjT5_SW_jjP12ihipStream_tbEUlT_E0_NS1_11comp_targetILNS1_3genE0ELNS1_11target_archE4294967295ELNS1_3gpuE0ELNS1_3repE0EEENS1_60segmented_radix_sort_warp_sort_medium_config_static_selectorELNS0_4arch9wavefront6targetE0EEEvSK_
                                        ; -- End function
	.set _ZN7rocprim17ROCPRIM_400000_NS6detail17trampoline_kernelINS0_14default_configENS1_36segmented_radix_sort_config_selectorIflEEZNS1_25segmented_radix_sort_implIS3_Lb1EPKfPfPKlPlN2at6native12_GLOBAL__N_18offset_tEEE10hipError_tPvRmT1_PNSt15iterator_traitsISK_E10value_typeET2_T3_PNSL_ISQ_E10value_typeET4_jRbjT5_SW_jjP12ihipStream_tbEUlT_E0_NS1_11comp_targetILNS1_3genE0ELNS1_11target_archE4294967295ELNS1_3gpuE0ELNS1_3repE0EEENS1_60segmented_radix_sort_warp_sort_medium_config_static_selectorELNS0_4arch9wavefront6targetE0EEEvSK_.num_vgpr, 0
	.set _ZN7rocprim17ROCPRIM_400000_NS6detail17trampoline_kernelINS0_14default_configENS1_36segmented_radix_sort_config_selectorIflEEZNS1_25segmented_radix_sort_implIS3_Lb1EPKfPfPKlPlN2at6native12_GLOBAL__N_18offset_tEEE10hipError_tPvRmT1_PNSt15iterator_traitsISK_E10value_typeET2_T3_PNSL_ISQ_E10value_typeET4_jRbjT5_SW_jjP12ihipStream_tbEUlT_E0_NS1_11comp_targetILNS1_3genE0ELNS1_11target_archE4294967295ELNS1_3gpuE0ELNS1_3repE0EEENS1_60segmented_radix_sort_warp_sort_medium_config_static_selectorELNS0_4arch9wavefront6targetE0EEEvSK_.num_agpr, 0
	.set _ZN7rocprim17ROCPRIM_400000_NS6detail17trampoline_kernelINS0_14default_configENS1_36segmented_radix_sort_config_selectorIflEEZNS1_25segmented_radix_sort_implIS3_Lb1EPKfPfPKlPlN2at6native12_GLOBAL__N_18offset_tEEE10hipError_tPvRmT1_PNSt15iterator_traitsISK_E10value_typeET2_T3_PNSL_ISQ_E10value_typeET4_jRbjT5_SW_jjP12ihipStream_tbEUlT_E0_NS1_11comp_targetILNS1_3genE0ELNS1_11target_archE4294967295ELNS1_3gpuE0ELNS1_3repE0EEENS1_60segmented_radix_sort_warp_sort_medium_config_static_selectorELNS0_4arch9wavefront6targetE0EEEvSK_.numbered_sgpr, 0
	.set _ZN7rocprim17ROCPRIM_400000_NS6detail17trampoline_kernelINS0_14default_configENS1_36segmented_radix_sort_config_selectorIflEEZNS1_25segmented_radix_sort_implIS3_Lb1EPKfPfPKlPlN2at6native12_GLOBAL__N_18offset_tEEE10hipError_tPvRmT1_PNSt15iterator_traitsISK_E10value_typeET2_T3_PNSL_ISQ_E10value_typeET4_jRbjT5_SW_jjP12ihipStream_tbEUlT_E0_NS1_11comp_targetILNS1_3genE0ELNS1_11target_archE4294967295ELNS1_3gpuE0ELNS1_3repE0EEENS1_60segmented_radix_sort_warp_sort_medium_config_static_selectorELNS0_4arch9wavefront6targetE0EEEvSK_.num_named_barrier, 0
	.set _ZN7rocprim17ROCPRIM_400000_NS6detail17trampoline_kernelINS0_14default_configENS1_36segmented_radix_sort_config_selectorIflEEZNS1_25segmented_radix_sort_implIS3_Lb1EPKfPfPKlPlN2at6native12_GLOBAL__N_18offset_tEEE10hipError_tPvRmT1_PNSt15iterator_traitsISK_E10value_typeET2_T3_PNSL_ISQ_E10value_typeET4_jRbjT5_SW_jjP12ihipStream_tbEUlT_E0_NS1_11comp_targetILNS1_3genE0ELNS1_11target_archE4294967295ELNS1_3gpuE0ELNS1_3repE0EEENS1_60segmented_radix_sort_warp_sort_medium_config_static_selectorELNS0_4arch9wavefront6targetE0EEEvSK_.private_seg_size, 0
	.set _ZN7rocprim17ROCPRIM_400000_NS6detail17trampoline_kernelINS0_14default_configENS1_36segmented_radix_sort_config_selectorIflEEZNS1_25segmented_radix_sort_implIS3_Lb1EPKfPfPKlPlN2at6native12_GLOBAL__N_18offset_tEEE10hipError_tPvRmT1_PNSt15iterator_traitsISK_E10value_typeET2_T3_PNSL_ISQ_E10value_typeET4_jRbjT5_SW_jjP12ihipStream_tbEUlT_E0_NS1_11comp_targetILNS1_3genE0ELNS1_11target_archE4294967295ELNS1_3gpuE0ELNS1_3repE0EEENS1_60segmented_radix_sort_warp_sort_medium_config_static_selectorELNS0_4arch9wavefront6targetE0EEEvSK_.uses_vcc, 0
	.set _ZN7rocprim17ROCPRIM_400000_NS6detail17trampoline_kernelINS0_14default_configENS1_36segmented_radix_sort_config_selectorIflEEZNS1_25segmented_radix_sort_implIS3_Lb1EPKfPfPKlPlN2at6native12_GLOBAL__N_18offset_tEEE10hipError_tPvRmT1_PNSt15iterator_traitsISK_E10value_typeET2_T3_PNSL_ISQ_E10value_typeET4_jRbjT5_SW_jjP12ihipStream_tbEUlT_E0_NS1_11comp_targetILNS1_3genE0ELNS1_11target_archE4294967295ELNS1_3gpuE0ELNS1_3repE0EEENS1_60segmented_radix_sort_warp_sort_medium_config_static_selectorELNS0_4arch9wavefront6targetE0EEEvSK_.uses_flat_scratch, 0
	.set _ZN7rocprim17ROCPRIM_400000_NS6detail17trampoline_kernelINS0_14default_configENS1_36segmented_radix_sort_config_selectorIflEEZNS1_25segmented_radix_sort_implIS3_Lb1EPKfPfPKlPlN2at6native12_GLOBAL__N_18offset_tEEE10hipError_tPvRmT1_PNSt15iterator_traitsISK_E10value_typeET2_T3_PNSL_ISQ_E10value_typeET4_jRbjT5_SW_jjP12ihipStream_tbEUlT_E0_NS1_11comp_targetILNS1_3genE0ELNS1_11target_archE4294967295ELNS1_3gpuE0ELNS1_3repE0EEENS1_60segmented_radix_sort_warp_sort_medium_config_static_selectorELNS0_4arch9wavefront6targetE0EEEvSK_.has_dyn_sized_stack, 0
	.set _ZN7rocprim17ROCPRIM_400000_NS6detail17trampoline_kernelINS0_14default_configENS1_36segmented_radix_sort_config_selectorIflEEZNS1_25segmented_radix_sort_implIS3_Lb1EPKfPfPKlPlN2at6native12_GLOBAL__N_18offset_tEEE10hipError_tPvRmT1_PNSt15iterator_traitsISK_E10value_typeET2_T3_PNSL_ISQ_E10value_typeET4_jRbjT5_SW_jjP12ihipStream_tbEUlT_E0_NS1_11comp_targetILNS1_3genE0ELNS1_11target_archE4294967295ELNS1_3gpuE0ELNS1_3repE0EEENS1_60segmented_radix_sort_warp_sort_medium_config_static_selectorELNS0_4arch9wavefront6targetE0EEEvSK_.has_recursion, 0
	.set _ZN7rocprim17ROCPRIM_400000_NS6detail17trampoline_kernelINS0_14default_configENS1_36segmented_radix_sort_config_selectorIflEEZNS1_25segmented_radix_sort_implIS3_Lb1EPKfPfPKlPlN2at6native12_GLOBAL__N_18offset_tEEE10hipError_tPvRmT1_PNSt15iterator_traitsISK_E10value_typeET2_T3_PNSL_ISQ_E10value_typeET4_jRbjT5_SW_jjP12ihipStream_tbEUlT_E0_NS1_11comp_targetILNS1_3genE0ELNS1_11target_archE4294967295ELNS1_3gpuE0ELNS1_3repE0EEENS1_60segmented_radix_sort_warp_sort_medium_config_static_selectorELNS0_4arch9wavefront6targetE0EEEvSK_.has_indirect_call, 0
	.section	.AMDGPU.csdata,"",@progbits
; Kernel info:
; codeLenInByte = 0
; TotalNumSgprs: 0
; NumVgprs: 0
; ScratchSize: 0
; MemoryBound: 0
; FloatMode: 240
; IeeeMode: 1
; LDSByteSize: 0 bytes/workgroup (compile time only)
; SGPRBlocks: 0
; VGPRBlocks: 0
; NumSGPRsForWavesPerEU: 1
; NumVGPRsForWavesPerEU: 1
; Occupancy: 16
; WaveLimiterHint : 0
; COMPUTE_PGM_RSRC2:SCRATCH_EN: 0
; COMPUTE_PGM_RSRC2:USER_SGPR: 6
; COMPUTE_PGM_RSRC2:TRAP_HANDLER: 0
; COMPUTE_PGM_RSRC2:TGID_X_EN: 1
; COMPUTE_PGM_RSRC2:TGID_Y_EN: 0
; COMPUTE_PGM_RSRC2:TGID_Z_EN: 0
; COMPUTE_PGM_RSRC2:TIDIG_COMP_CNT: 0
	.section	.text._ZN7rocprim17ROCPRIM_400000_NS6detail17trampoline_kernelINS0_14default_configENS1_36segmented_radix_sort_config_selectorIflEEZNS1_25segmented_radix_sort_implIS3_Lb1EPKfPfPKlPlN2at6native12_GLOBAL__N_18offset_tEEE10hipError_tPvRmT1_PNSt15iterator_traitsISK_E10value_typeET2_T3_PNSL_ISQ_E10value_typeET4_jRbjT5_SW_jjP12ihipStream_tbEUlT_E0_NS1_11comp_targetILNS1_3genE5ELNS1_11target_archE942ELNS1_3gpuE9ELNS1_3repE0EEENS1_60segmented_radix_sort_warp_sort_medium_config_static_selectorELNS0_4arch9wavefront6targetE0EEEvSK_,"axG",@progbits,_ZN7rocprim17ROCPRIM_400000_NS6detail17trampoline_kernelINS0_14default_configENS1_36segmented_radix_sort_config_selectorIflEEZNS1_25segmented_radix_sort_implIS3_Lb1EPKfPfPKlPlN2at6native12_GLOBAL__N_18offset_tEEE10hipError_tPvRmT1_PNSt15iterator_traitsISK_E10value_typeET2_T3_PNSL_ISQ_E10value_typeET4_jRbjT5_SW_jjP12ihipStream_tbEUlT_E0_NS1_11comp_targetILNS1_3genE5ELNS1_11target_archE942ELNS1_3gpuE9ELNS1_3repE0EEENS1_60segmented_radix_sort_warp_sort_medium_config_static_selectorELNS0_4arch9wavefront6targetE0EEEvSK_,comdat
	.globl	_ZN7rocprim17ROCPRIM_400000_NS6detail17trampoline_kernelINS0_14default_configENS1_36segmented_radix_sort_config_selectorIflEEZNS1_25segmented_radix_sort_implIS3_Lb1EPKfPfPKlPlN2at6native12_GLOBAL__N_18offset_tEEE10hipError_tPvRmT1_PNSt15iterator_traitsISK_E10value_typeET2_T3_PNSL_ISQ_E10value_typeET4_jRbjT5_SW_jjP12ihipStream_tbEUlT_E0_NS1_11comp_targetILNS1_3genE5ELNS1_11target_archE942ELNS1_3gpuE9ELNS1_3repE0EEENS1_60segmented_radix_sort_warp_sort_medium_config_static_selectorELNS0_4arch9wavefront6targetE0EEEvSK_ ; -- Begin function _ZN7rocprim17ROCPRIM_400000_NS6detail17trampoline_kernelINS0_14default_configENS1_36segmented_radix_sort_config_selectorIflEEZNS1_25segmented_radix_sort_implIS3_Lb1EPKfPfPKlPlN2at6native12_GLOBAL__N_18offset_tEEE10hipError_tPvRmT1_PNSt15iterator_traitsISK_E10value_typeET2_T3_PNSL_ISQ_E10value_typeET4_jRbjT5_SW_jjP12ihipStream_tbEUlT_E0_NS1_11comp_targetILNS1_3genE5ELNS1_11target_archE942ELNS1_3gpuE9ELNS1_3repE0EEENS1_60segmented_radix_sort_warp_sort_medium_config_static_selectorELNS0_4arch9wavefront6targetE0EEEvSK_
	.p2align	8
	.type	_ZN7rocprim17ROCPRIM_400000_NS6detail17trampoline_kernelINS0_14default_configENS1_36segmented_radix_sort_config_selectorIflEEZNS1_25segmented_radix_sort_implIS3_Lb1EPKfPfPKlPlN2at6native12_GLOBAL__N_18offset_tEEE10hipError_tPvRmT1_PNSt15iterator_traitsISK_E10value_typeET2_T3_PNSL_ISQ_E10value_typeET4_jRbjT5_SW_jjP12ihipStream_tbEUlT_E0_NS1_11comp_targetILNS1_3genE5ELNS1_11target_archE942ELNS1_3gpuE9ELNS1_3repE0EEENS1_60segmented_radix_sort_warp_sort_medium_config_static_selectorELNS0_4arch9wavefront6targetE0EEEvSK_,@function
_ZN7rocprim17ROCPRIM_400000_NS6detail17trampoline_kernelINS0_14default_configENS1_36segmented_radix_sort_config_selectorIflEEZNS1_25segmented_radix_sort_implIS3_Lb1EPKfPfPKlPlN2at6native12_GLOBAL__N_18offset_tEEE10hipError_tPvRmT1_PNSt15iterator_traitsISK_E10value_typeET2_T3_PNSL_ISQ_E10value_typeET4_jRbjT5_SW_jjP12ihipStream_tbEUlT_E0_NS1_11comp_targetILNS1_3genE5ELNS1_11target_archE942ELNS1_3gpuE9ELNS1_3repE0EEENS1_60segmented_radix_sort_warp_sort_medium_config_static_selectorELNS0_4arch9wavefront6targetE0EEEvSK_: ; @_ZN7rocprim17ROCPRIM_400000_NS6detail17trampoline_kernelINS0_14default_configENS1_36segmented_radix_sort_config_selectorIflEEZNS1_25segmented_radix_sort_implIS3_Lb1EPKfPfPKlPlN2at6native12_GLOBAL__N_18offset_tEEE10hipError_tPvRmT1_PNSt15iterator_traitsISK_E10value_typeET2_T3_PNSL_ISQ_E10value_typeET4_jRbjT5_SW_jjP12ihipStream_tbEUlT_E0_NS1_11comp_targetILNS1_3genE5ELNS1_11target_archE942ELNS1_3gpuE9ELNS1_3repE0EEENS1_60segmented_radix_sort_warp_sort_medium_config_static_selectorELNS0_4arch9wavefront6targetE0EEEvSK_
; %bb.0:
	.section	.rodata,"a",@progbits
	.p2align	6, 0x0
	.amdhsa_kernel _ZN7rocprim17ROCPRIM_400000_NS6detail17trampoline_kernelINS0_14default_configENS1_36segmented_radix_sort_config_selectorIflEEZNS1_25segmented_radix_sort_implIS3_Lb1EPKfPfPKlPlN2at6native12_GLOBAL__N_18offset_tEEE10hipError_tPvRmT1_PNSt15iterator_traitsISK_E10value_typeET2_T3_PNSL_ISQ_E10value_typeET4_jRbjT5_SW_jjP12ihipStream_tbEUlT_E0_NS1_11comp_targetILNS1_3genE5ELNS1_11target_archE942ELNS1_3gpuE9ELNS1_3repE0EEENS1_60segmented_radix_sort_warp_sort_medium_config_static_selectorELNS0_4arch9wavefront6targetE0EEEvSK_
		.amdhsa_group_segment_fixed_size 0
		.amdhsa_private_segment_fixed_size 0
		.amdhsa_kernarg_size 88
		.amdhsa_user_sgpr_count 6
		.amdhsa_user_sgpr_private_segment_buffer 1
		.amdhsa_user_sgpr_dispatch_ptr 0
		.amdhsa_user_sgpr_queue_ptr 0
		.amdhsa_user_sgpr_kernarg_segment_ptr 1
		.amdhsa_user_sgpr_dispatch_id 0
		.amdhsa_user_sgpr_flat_scratch_init 0
		.amdhsa_user_sgpr_private_segment_size 0
		.amdhsa_wavefront_size32 1
		.amdhsa_uses_dynamic_stack 0
		.amdhsa_system_sgpr_private_segment_wavefront_offset 0
		.amdhsa_system_sgpr_workgroup_id_x 1
		.amdhsa_system_sgpr_workgroup_id_y 0
		.amdhsa_system_sgpr_workgroup_id_z 0
		.amdhsa_system_sgpr_workgroup_info 0
		.amdhsa_system_vgpr_workitem_id 0
		.amdhsa_next_free_vgpr 1
		.amdhsa_next_free_sgpr 1
		.amdhsa_reserve_vcc 0
		.amdhsa_reserve_flat_scratch 0
		.amdhsa_float_round_mode_32 0
		.amdhsa_float_round_mode_16_64 0
		.amdhsa_float_denorm_mode_32 3
		.amdhsa_float_denorm_mode_16_64 3
		.amdhsa_dx10_clamp 1
		.amdhsa_ieee_mode 1
		.amdhsa_fp16_overflow 0
		.amdhsa_workgroup_processor_mode 1
		.amdhsa_memory_ordered 1
		.amdhsa_forward_progress 1
		.amdhsa_shared_vgpr_count 0
		.amdhsa_exception_fp_ieee_invalid_op 0
		.amdhsa_exception_fp_denorm_src 0
		.amdhsa_exception_fp_ieee_div_zero 0
		.amdhsa_exception_fp_ieee_overflow 0
		.amdhsa_exception_fp_ieee_underflow 0
		.amdhsa_exception_fp_ieee_inexact 0
		.amdhsa_exception_int_div_zero 0
	.end_amdhsa_kernel
	.section	.text._ZN7rocprim17ROCPRIM_400000_NS6detail17trampoline_kernelINS0_14default_configENS1_36segmented_radix_sort_config_selectorIflEEZNS1_25segmented_radix_sort_implIS3_Lb1EPKfPfPKlPlN2at6native12_GLOBAL__N_18offset_tEEE10hipError_tPvRmT1_PNSt15iterator_traitsISK_E10value_typeET2_T3_PNSL_ISQ_E10value_typeET4_jRbjT5_SW_jjP12ihipStream_tbEUlT_E0_NS1_11comp_targetILNS1_3genE5ELNS1_11target_archE942ELNS1_3gpuE9ELNS1_3repE0EEENS1_60segmented_radix_sort_warp_sort_medium_config_static_selectorELNS0_4arch9wavefront6targetE0EEEvSK_,"axG",@progbits,_ZN7rocprim17ROCPRIM_400000_NS6detail17trampoline_kernelINS0_14default_configENS1_36segmented_radix_sort_config_selectorIflEEZNS1_25segmented_radix_sort_implIS3_Lb1EPKfPfPKlPlN2at6native12_GLOBAL__N_18offset_tEEE10hipError_tPvRmT1_PNSt15iterator_traitsISK_E10value_typeET2_T3_PNSL_ISQ_E10value_typeET4_jRbjT5_SW_jjP12ihipStream_tbEUlT_E0_NS1_11comp_targetILNS1_3genE5ELNS1_11target_archE942ELNS1_3gpuE9ELNS1_3repE0EEENS1_60segmented_radix_sort_warp_sort_medium_config_static_selectorELNS0_4arch9wavefront6targetE0EEEvSK_,comdat
.Lfunc_end1328:
	.size	_ZN7rocprim17ROCPRIM_400000_NS6detail17trampoline_kernelINS0_14default_configENS1_36segmented_radix_sort_config_selectorIflEEZNS1_25segmented_radix_sort_implIS3_Lb1EPKfPfPKlPlN2at6native12_GLOBAL__N_18offset_tEEE10hipError_tPvRmT1_PNSt15iterator_traitsISK_E10value_typeET2_T3_PNSL_ISQ_E10value_typeET4_jRbjT5_SW_jjP12ihipStream_tbEUlT_E0_NS1_11comp_targetILNS1_3genE5ELNS1_11target_archE942ELNS1_3gpuE9ELNS1_3repE0EEENS1_60segmented_radix_sort_warp_sort_medium_config_static_selectorELNS0_4arch9wavefront6targetE0EEEvSK_, .Lfunc_end1328-_ZN7rocprim17ROCPRIM_400000_NS6detail17trampoline_kernelINS0_14default_configENS1_36segmented_radix_sort_config_selectorIflEEZNS1_25segmented_radix_sort_implIS3_Lb1EPKfPfPKlPlN2at6native12_GLOBAL__N_18offset_tEEE10hipError_tPvRmT1_PNSt15iterator_traitsISK_E10value_typeET2_T3_PNSL_ISQ_E10value_typeET4_jRbjT5_SW_jjP12ihipStream_tbEUlT_E0_NS1_11comp_targetILNS1_3genE5ELNS1_11target_archE942ELNS1_3gpuE9ELNS1_3repE0EEENS1_60segmented_radix_sort_warp_sort_medium_config_static_selectorELNS0_4arch9wavefront6targetE0EEEvSK_
                                        ; -- End function
	.set _ZN7rocprim17ROCPRIM_400000_NS6detail17trampoline_kernelINS0_14default_configENS1_36segmented_radix_sort_config_selectorIflEEZNS1_25segmented_radix_sort_implIS3_Lb1EPKfPfPKlPlN2at6native12_GLOBAL__N_18offset_tEEE10hipError_tPvRmT1_PNSt15iterator_traitsISK_E10value_typeET2_T3_PNSL_ISQ_E10value_typeET4_jRbjT5_SW_jjP12ihipStream_tbEUlT_E0_NS1_11comp_targetILNS1_3genE5ELNS1_11target_archE942ELNS1_3gpuE9ELNS1_3repE0EEENS1_60segmented_radix_sort_warp_sort_medium_config_static_selectorELNS0_4arch9wavefront6targetE0EEEvSK_.num_vgpr, 0
	.set _ZN7rocprim17ROCPRIM_400000_NS6detail17trampoline_kernelINS0_14default_configENS1_36segmented_radix_sort_config_selectorIflEEZNS1_25segmented_radix_sort_implIS3_Lb1EPKfPfPKlPlN2at6native12_GLOBAL__N_18offset_tEEE10hipError_tPvRmT1_PNSt15iterator_traitsISK_E10value_typeET2_T3_PNSL_ISQ_E10value_typeET4_jRbjT5_SW_jjP12ihipStream_tbEUlT_E0_NS1_11comp_targetILNS1_3genE5ELNS1_11target_archE942ELNS1_3gpuE9ELNS1_3repE0EEENS1_60segmented_radix_sort_warp_sort_medium_config_static_selectorELNS0_4arch9wavefront6targetE0EEEvSK_.num_agpr, 0
	.set _ZN7rocprim17ROCPRIM_400000_NS6detail17trampoline_kernelINS0_14default_configENS1_36segmented_radix_sort_config_selectorIflEEZNS1_25segmented_radix_sort_implIS3_Lb1EPKfPfPKlPlN2at6native12_GLOBAL__N_18offset_tEEE10hipError_tPvRmT1_PNSt15iterator_traitsISK_E10value_typeET2_T3_PNSL_ISQ_E10value_typeET4_jRbjT5_SW_jjP12ihipStream_tbEUlT_E0_NS1_11comp_targetILNS1_3genE5ELNS1_11target_archE942ELNS1_3gpuE9ELNS1_3repE0EEENS1_60segmented_radix_sort_warp_sort_medium_config_static_selectorELNS0_4arch9wavefront6targetE0EEEvSK_.numbered_sgpr, 0
	.set _ZN7rocprim17ROCPRIM_400000_NS6detail17trampoline_kernelINS0_14default_configENS1_36segmented_radix_sort_config_selectorIflEEZNS1_25segmented_radix_sort_implIS3_Lb1EPKfPfPKlPlN2at6native12_GLOBAL__N_18offset_tEEE10hipError_tPvRmT1_PNSt15iterator_traitsISK_E10value_typeET2_T3_PNSL_ISQ_E10value_typeET4_jRbjT5_SW_jjP12ihipStream_tbEUlT_E0_NS1_11comp_targetILNS1_3genE5ELNS1_11target_archE942ELNS1_3gpuE9ELNS1_3repE0EEENS1_60segmented_radix_sort_warp_sort_medium_config_static_selectorELNS0_4arch9wavefront6targetE0EEEvSK_.num_named_barrier, 0
	.set _ZN7rocprim17ROCPRIM_400000_NS6detail17trampoline_kernelINS0_14default_configENS1_36segmented_radix_sort_config_selectorIflEEZNS1_25segmented_radix_sort_implIS3_Lb1EPKfPfPKlPlN2at6native12_GLOBAL__N_18offset_tEEE10hipError_tPvRmT1_PNSt15iterator_traitsISK_E10value_typeET2_T3_PNSL_ISQ_E10value_typeET4_jRbjT5_SW_jjP12ihipStream_tbEUlT_E0_NS1_11comp_targetILNS1_3genE5ELNS1_11target_archE942ELNS1_3gpuE9ELNS1_3repE0EEENS1_60segmented_radix_sort_warp_sort_medium_config_static_selectorELNS0_4arch9wavefront6targetE0EEEvSK_.private_seg_size, 0
	.set _ZN7rocprim17ROCPRIM_400000_NS6detail17trampoline_kernelINS0_14default_configENS1_36segmented_radix_sort_config_selectorIflEEZNS1_25segmented_radix_sort_implIS3_Lb1EPKfPfPKlPlN2at6native12_GLOBAL__N_18offset_tEEE10hipError_tPvRmT1_PNSt15iterator_traitsISK_E10value_typeET2_T3_PNSL_ISQ_E10value_typeET4_jRbjT5_SW_jjP12ihipStream_tbEUlT_E0_NS1_11comp_targetILNS1_3genE5ELNS1_11target_archE942ELNS1_3gpuE9ELNS1_3repE0EEENS1_60segmented_radix_sort_warp_sort_medium_config_static_selectorELNS0_4arch9wavefront6targetE0EEEvSK_.uses_vcc, 0
	.set _ZN7rocprim17ROCPRIM_400000_NS6detail17trampoline_kernelINS0_14default_configENS1_36segmented_radix_sort_config_selectorIflEEZNS1_25segmented_radix_sort_implIS3_Lb1EPKfPfPKlPlN2at6native12_GLOBAL__N_18offset_tEEE10hipError_tPvRmT1_PNSt15iterator_traitsISK_E10value_typeET2_T3_PNSL_ISQ_E10value_typeET4_jRbjT5_SW_jjP12ihipStream_tbEUlT_E0_NS1_11comp_targetILNS1_3genE5ELNS1_11target_archE942ELNS1_3gpuE9ELNS1_3repE0EEENS1_60segmented_radix_sort_warp_sort_medium_config_static_selectorELNS0_4arch9wavefront6targetE0EEEvSK_.uses_flat_scratch, 0
	.set _ZN7rocprim17ROCPRIM_400000_NS6detail17trampoline_kernelINS0_14default_configENS1_36segmented_radix_sort_config_selectorIflEEZNS1_25segmented_radix_sort_implIS3_Lb1EPKfPfPKlPlN2at6native12_GLOBAL__N_18offset_tEEE10hipError_tPvRmT1_PNSt15iterator_traitsISK_E10value_typeET2_T3_PNSL_ISQ_E10value_typeET4_jRbjT5_SW_jjP12ihipStream_tbEUlT_E0_NS1_11comp_targetILNS1_3genE5ELNS1_11target_archE942ELNS1_3gpuE9ELNS1_3repE0EEENS1_60segmented_radix_sort_warp_sort_medium_config_static_selectorELNS0_4arch9wavefront6targetE0EEEvSK_.has_dyn_sized_stack, 0
	.set _ZN7rocprim17ROCPRIM_400000_NS6detail17trampoline_kernelINS0_14default_configENS1_36segmented_radix_sort_config_selectorIflEEZNS1_25segmented_radix_sort_implIS3_Lb1EPKfPfPKlPlN2at6native12_GLOBAL__N_18offset_tEEE10hipError_tPvRmT1_PNSt15iterator_traitsISK_E10value_typeET2_T3_PNSL_ISQ_E10value_typeET4_jRbjT5_SW_jjP12ihipStream_tbEUlT_E0_NS1_11comp_targetILNS1_3genE5ELNS1_11target_archE942ELNS1_3gpuE9ELNS1_3repE0EEENS1_60segmented_radix_sort_warp_sort_medium_config_static_selectorELNS0_4arch9wavefront6targetE0EEEvSK_.has_recursion, 0
	.set _ZN7rocprim17ROCPRIM_400000_NS6detail17trampoline_kernelINS0_14default_configENS1_36segmented_radix_sort_config_selectorIflEEZNS1_25segmented_radix_sort_implIS3_Lb1EPKfPfPKlPlN2at6native12_GLOBAL__N_18offset_tEEE10hipError_tPvRmT1_PNSt15iterator_traitsISK_E10value_typeET2_T3_PNSL_ISQ_E10value_typeET4_jRbjT5_SW_jjP12ihipStream_tbEUlT_E0_NS1_11comp_targetILNS1_3genE5ELNS1_11target_archE942ELNS1_3gpuE9ELNS1_3repE0EEENS1_60segmented_radix_sort_warp_sort_medium_config_static_selectorELNS0_4arch9wavefront6targetE0EEEvSK_.has_indirect_call, 0
	.section	.AMDGPU.csdata,"",@progbits
; Kernel info:
; codeLenInByte = 0
; TotalNumSgprs: 0
; NumVgprs: 0
; ScratchSize: 0
; MemoryBound: 0
; FloatMode: 240
; IeeeMode: 1
; LDSByteSize: 0 bytes/workgroup (compile time only)
; SGPRBlocks: 0
; VGPRBlocks: 0
; NumSGPRsForWavesPerEU: 1
; NumVGPRsForWavesPerEU: 1
; Occupancy: 16
; WaveLimiterHint : 0
; COMPUTE_PGM_RSRC2:SCRATCH_EN: 0
; COMPUTE_PGM_RSRC2:USER_SGPR: 6
; COMPUTE_PGM_RSRC2:TRAP_HANDLER: 0
; COMPUTE_PGM_RSRC2:TGID_X_EN: 1
; COMPUTE_PGM_RSRC2:TGID_Y_EN: 0
; COMPUTE_PGM_RSRC2:TGID_Z_EN: 0
; COMPUTE_PGM_RSRC2:TIDIG_COMP_CNT: 0
	.section	.text._ZN7rocprim17ROCPRIM_400000_NS6detail17trampoline_kernelINS0_14default_configENS1_36segmented_radix_sort_config_selectorIflEEZNS1_25segmented_radix_sort_implIS3_Lb1EPKfPfPKlPlN2at6native12_GLOBAL__N_18offset_tEEE10hipError_tPvRmT1_PNSt15iterator_traitsISK_E10value_typeET2_T3_PNSL_ISQ_E10value_typeET4_jRbjT5_SW_jjP12ihipStream_tbEUlT_E0_NS1_11comp_targetILNS1_3genE4ELNS1_11target_archE910ELNS1_3gpuE8ELNS1_3repE0EEENS1_60segmented_radix_sort_warp_sort_medium_config_static_selectorELNS0_4arch9wavefront6targetE0EEEvSK_,"axG",@progbits,_ZN7rocprim17ROCPRIM_400000_NS6detail17trampoline_kernelINS0_14default_configENS1_36segmented_radix_sort_config_selectorIflEEZNS1_25segmented_radix_sort_implIS3_Lb1EPKfPfPKlPlN2at6native12_GLOBAL__N_18offset_tEEE10hipError_tPvRmT1_PNSt15iterator_traitsISK_E10value_typeET2_T3_PNSL_ISQ_E10value_typeET4_jRbjT5_SW_jjP12ihipStream_tbEUlT_E0_NS1_11comp_targetILNS1_3genE4ELNS1_11target_archE910ELNS1_3gpuE8ELNS1_3repE0EEENS1_60segmented_radix_sort_warp_sort_medium_config_static_selectorELNS0_4arch9wavefront6targetE0EEEvSK_,comdat
	.globl	_ZN7rocprim17ROCPRIM_400000_NS6detail17trampoline_kernelINS0_14default_configENS1_36segmented_radix_sort_config_selectorIflEEZNS1_25segmented_radix_sort_implIS3_Lb1EPKfPfPKlPlN2at6native12_GLOBAL__N_18offset_tEEE10hipError_tPvRmT1_PNSt15iterator_traitsISK_E10value_typeET2_T3_PNSL_ISQ_E10value_typeET4_jRbjT5_SW_jjP12ihipStream_tbEUlT_E0_NS1_11comp_targetILNS1_3genE4ELNS1_11target_archE910ELNS1_3gpuE8ELNS1_3repE0EEENS1_60segmented_radix_sort_warp_sort_medium_config_static_selectorELNS0_4arch9wavefront6targetE0EEEvSK_ ; -- Begin function _ZN7rocprim17ROCPRIM_400000_NS6detail17trampoline_kernelINS0_14default_configENS1_36segmented_radix_sort_config_selectorIflEEZNS1_25segmented_radix_sort_implIS3_Lb1EPKfPfPKlPlN2at6native12_GLOBAL__N_18offset_tEEE10hipError_tPvRmT1_PNSt15iterator_traitsISK_E10value_typeET2_T3_PNSL_ISQ_E10value_typeET4_jRbjT5_SW_jjP12ihipStream_tbEUlT_E0_NS1_11comp_targetILNS1_3genE4ELNS1_11target_archE910ELNS1_3gpuE8ELNS1_3repE0EEENS1_60segmented_radix_sort_warp_sort_medium_config_static_selectorELNS0_4arch9wavefront6targetE0EEEvSK_
	.p2align	8
	.type	_ZN7rocprim17ROCPRIM_400000_NS6detail17trampoline_kernelINS0_14default_configENS1_36segmented_radix_sort_config_selectorIflEEZNS1_25segmented_radix_sort_implIS3_Lb1EPKfPfPKlPlN2at6native12_GLOBAL__N_18offset_tEEE10hipError_tPvRmT1_PNSt15iterator_traitsISK_E10value_typeET2_T3_PNSL_ISQ_E10value_typeET4_jRbjT5_SW_jjP12ihipStream_tbEUlT_E0_NS1_11comp_targetILNS1_3genE4ELNS1_11target_archE910ELNS1_3gpuE8ELNS1_3repE0EEENS1_60segmented_radix_sort_warp_sort_medium_config_static_selectorELNS0_4arch9wavefront6targetE0EEEvSK_,@function
_ZN7rocprim17ROCPRIM_400000_NS6detail17trampoline_kernelINS0_14default_configENS1_36segmented_radix_sort_config_selectorIflEEZNS1_25segmented_radix_sort_implIS3_Lb1EPKfPfPKlPlN2at6native12_GLOBAL__N_18offset_tEEE10hipError_tPvRmT1_PNSt15iterator_traitsISK_E10value_typeET2_T3_PNSL_ISQ_E10value_typeET4_jRbjT5_SW_jjP12ihipStream_tbEUlT_E0_NS1_11comp_targetILNS1_3genE4ELNS1_11target_archE910ELNS1_3gpuE8ELNS1_3repE0EEENS1_60segmented_radix_sort_warp_sort_medium_config_static_selectorELNS0_4arch9wavefront6targetE0EEEvSK_: ; @_ZN7rocprim17ROCPRIM_400000_NS6detail17trampoline_kernelINS0_14default_configENS1_36segmented_radix_sort_config_selectorIflEEZNS1_25segmented_radix_sort_implIS3_Lb1EPKfPfPKlPlN2at6native12_GLOBAL__N_18offset_tEEE10hipError_tPvRmT1_PNSt15iterator_traitsISK_E10value_typeET2_T3_PNSL_ISQ_E10value_typeET4_jRbjT5_SW_jjP12ihipStream_tbEUlT_E0_NS1_11comp_targetILNS1_3genE4ELNS1_11target_archE910ELNS1_3gpuE8ELNS1_3repE0EEENS1_60segmented_radix_sort_warp_sort_medium_config_static_selectorELNS0_4arch9wavefront6targetE0EEEvSK_
; %bb.0:
	.section	.rodata,"a",@progbits
	.p2align	6, 0x0
	.amdhsa_kernel _ZN7rocprim17ROCPRIM_400000_NS6detail17trampoline_kernelINS0_14default_configENS1_36segmented_radix_sort_config_selectorIflEEZNS1_25segmented_radix_sort_implIS3_Lb1EPKfPfPKlPlN2at6native12_GLOBAL__N_18offset_tEEE10hipError_tPvRmT1_PNSt15iterator_traitsISK_E10value_typeET2_T3_PNSL_ISQ_E10value_typeET4_jRbjT5_SW_jjP12ihipStream_tbEUlT_E0_NS1_11comp_targetILNS1_3genE4ELNS1_11target_archE910ELNS1_3gpuE8ELNS1_3repE0EEENS1_60segmented_radix_sort_warp_sort_medium_config_static_selectorELNS0_4arch9wavefront6targetE0EEEvSK_
		.amdhsa_group_segment_fixed_size 0
		.amdhsa_private_segment_fixed_size 0
		.amdhsa_kernarg_size 88
		.amdhsa_user_sgpr_count 6
		.amdhsa_user_sgpr_private_segment_buffer 1
		.amdhsa_user_sgpr_dispatch_ptr 0
		.amdhsa_user_sgpr_queue_ptr 0
		.amdhsa_user_sgpr_kernarg_segment_ptr 1
		.amdhsa_user_sgpr_dispatch_id 0
		.amdhsa_user_sgpr_flat_scratch_init 0
		.amdhsa_user_sgpr_private_segment_size 0
		.amdhsa_wavefront_size32 1
		.amdhsa_uses_dynamic_stack 0
		.amdhsa_system_sgpr_private_segment_wavefront_offset 0
		.amdhsa_system_sgpr_workgroup_id_x 1
		.amdhsa_system_sgpr_workgroup_id_y 0
		.amdhsa_system_sgpr_workgroup_id_z 0
		.amdhsa_system_sgpr_workgroup_info 0
		.amdhsa_system_vgpr_workitem_id 0
		.amdhsa_next_free_vgpr 1
		.amdhsa_next_free_sgpr 1
		.amdhsa_reserve_vcc 0
		.amdhsa_reserve_flat_scratch 0
		.amdhsa_float_round_mode_32 0
		.amdhsa_float_round_mode_16_64 0
		.amdhsa_float_denorm_mode_32 3
		.amdhsa_float_denorm_mode_16_64 3
		.amdhsa_dx10_clamp 1
		.amdhsa_ieee_mode 1
		.amdhsa_fp16_overflow 0
		.amdhsa_workgroup_processor_mode 1
		.amdhsa_memory_ordered 1
		.amdhsa_forward_progress 1
		.amdhsa_shared_vgpr_count 0
		.amdhsa_exception_fp_ieee_invalid_op 0
		.amdhsa_exception_fp_denorm_src 0
		.amdhsa_exception_fp_ieee_div_zero 0
		.amdhsa_exception_fp_ieee_overflow 0
		.amdhsa_exception_fp_ieee_underflow 0
		.amdhsa_exception_fp_ieee_inexact 0
		.amdhsa_exception_int_div_zero 0
	.end_amdhsa_kernel
	.section	.text._ZN7rocprim17ROCPRIM_400000_NS6detail17trampoline_kernelINS0_14default_configENS1_36segmented_radix_sort_config_selectorIflEEZNS1_25segmented_radix_sort_implIS3_Lb1EPKfPfPKlPlN2at6native12_GLOBAL__N_18offset_tEEE10hipError_tPvRmT1_PNSt15iterator_traitsISK_E10value_typeET2_T3_PNSL_ISQ_E10value_typeET4_jRbjT5_SW_jjP12ihipStream_tbEUlT_E0_NS1_11comp_targetILNS1_3genE4ELNS1_11target_archE910ELNS1_3gpuE8ELNS1_3repE0EEENS1_60segmented_radix_sort_warp_sort_medium_config_static_selectorELNS0_4arch9wavefront6targetE0EEEvSK_,"axG",@progbits,_ZN7rocprim17ROCPRIM_400000_NS6detail17trampoline_kernelINS0_14default_configENS1_36segmented_radix_sort_config_selectorIflEEZNS1_25segmented_radix_sort_implIS3_Lb1EPKfPfPKlPlN2at6native12_GLOBAL__N_18offset_tEEE10hipError_tPvRmT1_PNSt15iterator_traitsISK_E10value_typeET2_T3_PNSL_ISQ_E10value_typeET4_jRbjT5_SW_jjP12ihipStream_tbEUlT_E0_NS1_11comp_targetILNS1_3genE4ELNS1_11target_archE910ELNS1_3gpuE8ELNS1_3repE0EEENS1_60segmented_radix_sort_warp_sort_medium_config_static_selectorELNS0_4arch9wavefront6targetE0EEEvSK_,comdat
.Lfunc_end1329:
	.size	_ZN7rocprim17ROCPRIM_400000_NS6detail17trampoline_kernelINS0_14default_configENS1_36segmented_radix_sort_config_selectorIflEEZNS1_25segmented_radix_sort_implIS3_Lb1EPKfPfPKlPlN2at6native12_GLOBAL__N_18offset_tEEE10hipError_tPvRmT1_PNSt15iterator_traitsISK_E10value_typeET2_T3_PNSL_ISQ_E10value_typeET4_jRbjT5_SW_jjP12ihipStream_tbEUlT_E0_NS1_11comp_targetILNS1_3genE4ELNS1_11target_archE910ELNS1_3gpuE8ELNS1_3repE0EEENS1_60segmented_radix_sort_warp_sort_medium_config_static_selectorELNS0_4arch9wavefront6targetE0EEEvSK_, .Lfunc_end1329-_ZN7rocprim17ROCPRIM_400000_NS6detail17trampoline_kernelINS0_14default_configENS1_36segmented_radix_sort_config_selectorIflEEZNS1_25segmented_radix_sort_implIS3_Lb1EPKfPfPKlPlN2at6native12_GLOBAL__N_18offset_tEEE10hipError_tPvRmT1_PNSt15iterator_traitsISK_E10value_typeET2_T3_PNSL_ISQ_E10value_typeET4_jRbjT5_SW_jjP12ihipStream_tbEUlT_E0_NS1_11comp_targetILNS1_3genE4ELNS1_11target_archE910ELNS1_3gpuE8ELNS1_3repE0EEENS1_60segmented_radix_sort_warp_sort_medium_config_static_selectorELNS0_4arch9wavefront6targetE0EEEvSK_
                                        ; -- End function
	.set _ZN7rocprim17ROCPRIM_400000_NS6detail17trampoline_kernelINS0_14default_configENS1_36segmented_radix_sort_config_selectorIflEEZNS1_25segmented_radix_sort_implIS3_Lb1EPKfPfPKlPlN2at6native12_GLOBAL__N_18offset_tEEE10hipError_tPvRmT1_PNSt15iterator_traitsISK_E10value_typeET2_T3_PNSL_ISQ_E10value_typeET4_jRbjT5_SW_jjP12ihipStream_tbEUlT_E0_NS1_11comp_targetILNS1_3genE4ELNS1_11target_archE910ELNS1_3gpuE8ELNS1_3repE0EEENS1_60segmented_radix_sort_warp_sort_medium_config_static_selectorELNS0_4arch9wavefront6targetE0EEEvSK_.num_vgpr, 0
	.set _ZN7rocprim17ROCPRIM_400000_NS6detail17trampoline_kernelINS0_14default_configENS1_36segmented_radix_sort_config_selectorIflEEZNS1_25segmented_radix_sort_implIS3_Lb1EPKfPfPKlPlN2at6native12_GLOBAL__N_18offset_tEEE10hipError_tPvRmT1_PNSt15iterator_traitsISK_E10value_typeET2_T3_PNSL_ISQ_E10value_typeET4_jRbjT5_SW_jjP12ihipStream_tbEUlT_E0_NS1_11comp_targetILNS1_3genE4ELNS1_11target_archE910ELNS1_3gpuE8ELNS1_3repE0EEENS1_60segmented_radix_sort_warp_sort_medium_config_static_selectorELNS0_4arch9wavefront6targetE0EEEvSK_.num_agpr, 0
	.set _ZN7rocprim17ROCPRIM_400000_NS6detail17trampoline_kernelINS0_14default_configENS1_36segmented_radix_sort_config_selectorIflEEZNS1_25segmented_radix_sort_implIS3_Lb1EPKfPfPKlPlN2at6native12_GLOBAL__N_18offset_tEEE10hipError_tPvRmT1_PNSt15iterator_traitsISK_E10value_typeET2_T3_PNSL_ISQ_E10value_typeET4_jRbjT5_SW_jjP12ihipStream_tbEUlT_E0_NS1_11comp_targetILNS1_3genE4ELNS1_11target_archE910ELNS1_3gpuE8ELNS1_3repE0EEENS1_60segmented_radix_sort_warp_sort_medium_config_static_selectorELNS0_4arch9wavefront6targetE0EEEvSK_.numbered_sgpr, 0
	.set _ZN7rocprim17ROCPRIM_400000_NS6detail17trampoline_kernelINS0_14default_configENS1_36segmented_radix_sort_config_selectorIflEEZNS1_25segmented_radix_sort_implIS3_Lb1EPKfPfPKlPlN2at6native12_GLOBAL__N_18offset_tEEE10hipError_tPvRmT1_PNSt15iterator_traitsISK_E10value_typeET2_T3_PNSL_ISQ_E10value_typeET4_jRbjT5_SW_jjP12ihipStream_tbEUlT_E0_NS1_11comp_targetILNS1_3genE4ELNS1_11target_archE910ELNS1_3gpuE8ELNS1_3repE0EEENS1_60segmented_radix_sort_warp_sort_medium_config_static_selectorELNS0_4arch9wavefront6targetE0EEEvSK_.num_named_barrier, 0
	.set _ZN7rocprim17ROCPRIM_400000_NS6detail17trampoline_kernelINS0_14default_configENS1_36segmented_radix_sort_config_selectorIflEEZNS1_25segmented_radix_sort_implIS3_Lb1EPKfPfPKlPlN2at6native12_GLOBAL__N_18offset_tEEE10hipError_tPvRmT1_PNSt15iterator_traitsISK_E10value_typeET2_T3_PNSL_ISQ_E10value_typeET4_jRbjT5_SW_jjP12ihipStream_tbEUlT_E0_NS1_11comp_targetILNS1_3genE4ELNS1_11target_archE910ELNS1_3gpuE8ELNS1_3repE0EEENS1_60segmented_radix_sort_warp_sort_medium_config_static_selectorELNS0_4arch9wavefront6targetE0EEEvSK_.private_seg_size, 0
	.set _ZN7rocprim17ROCPRIM_400000_NS6detail17trampoline_kernelINS0_14default_configENS1_36segmented_radix_sort_config_selectorIflEEZNS1_25segmented_radix_sort_implIS3_Lb1EPKfPfPKlPlN2at6native12_GLOBAL__N_18offset_tEEE10hipError_tPvRmT1_PNSt15iterator_traitsISK_E10value_typeET2_T3_PNSL_ISQ_E10value_typeET4_jRbjT5_SW_jjP12ihipStream_tbEUlT_E0_NS1_11comp_targetILNS1_3genE4ELNS1_11target_archE910ELNS1_3gpuE8ELNS1_3repE0EEENS1_60segmented_radix_sort_warp_sort_medium_config_static_selectorELNS0_4arch9wavefront6targetE0EEEvSK_.uses_vcc, 0
	.set _ZN7rocprim17ROCPRIM_400000_NS6detail17trampoline_kernelINS0_14default_configENS1_36segmented_radix_sort_config_selectorIflEEZNS1_25segmented_radix_sort_implIS3_Lb1EPKfPfPKlPlN2at6native12_GLOBAL__N_18offset_tEEE10hipError_tPvRmT1_PNSt15iterator_traitsISK_E10value_typeET2_T3_PNSL_ISQ_E10value_typeET4_jRbjT5_SW_jjP12ihipStream_tbEUlT_E0_NS1_11comp_targetILNS1_3genE4ELNS1_11target_archE910ELNS1_3gpuE8ELNS1_3repE0EEENS1_60segmented_radix_sort_warp_sort_medium_config_static_selectorELNS0_4arch9wavefront6targetE0EEEvSK_.uses_flat_scratch, 0
	.set _ZN7rocprim17ROCPRIM_400000_NS6detail17trampoline_kernelINS0_14default_configENS1_36segmented_radix_sort_config_selectorIflEEZNS1_25segmented_radix_sort_implIS3_Lb1EPKfPfPKlPlN2at6native12_GLOBAL__N_18offset_tEEE10hipError_tPvRmT1_PNSt15iterator_traitsISK_E10value_typeET2_T3_PNSL_ISQ_E10value_typeET4_jRbjT5_SW_jjP12ihipStream_tbEUlT_E0_NS1_11comp_targetILNS1_3genE4ELNS1_11target_archE910ELNS1_3gpuE8ELNS1_3repE0EEENS1_60segmented_radix_sort_warp_sort_medium_config_static_selectorELNS0_4arch9wavefront6targetE0EEEvSK_.has_dyn_sized_stack, 0
	.set _ZN7rocprim17ROCPRIM_400000_NS6detail17trampoline_kernelINS0_14default_configENS1_36segmented_radix_sort_config_selectorIflEEZNS1_25segmented_radix_sort_implIS3_Lb1EPKfPfPKlPlN2at6native12_GLOBAL__N_18offset_tEEE10hipError_tPvRmT1_PNSt15iterator_traitsISK_E10value_typeET2_T3_PNSL_ISQ_E10value_typeET4_jRbjT5_SW_jjP12ihipStream_tbEUlT_E0_NS1_11comp_targetILNS1_3genE4ELNS1_11target_archE910ELNS1_3gpuE8ELNS1_3repE0EEENS1_60segmented_radix_sort_warp_sort_medium_config_static_selectorELNS0_4arch9wavefront6targetE0EEEvSK_.has_recursion, 0
	.set _ZN7rocprim17ROCPRIM_400000_NS6detail17trampoline_kernelINS0_14default_configENS1_36segmented_radix_sort_config_selectorIflEEZNS1_25segmented_radix_sort_implIS3_Lb1EPKfPfPKlPlN2at6native12_GLOBAL__N_18offset_tEEE10hipError_tPvRmT1_PNSt15iterator_traitsISK_E10value_typeET2_T3_PNSL_ISQ_E10value_typeET4_jRbjT5_SW_jjP12ihipStream_tbEUlT_E0_NS1_11comp_targetILNS1_3genE4ELNS1_11target_archE910ELNS1_3gpuE8ELNS1_3repE0EEENS1_60segmented_radix_sort_warp_sort_medium_config_static_selectorELNS0_4arch9wavefront6targetE0EEEvSK_.has_indirect_call, 0
	.section	.AMDGPU.csdata,"",@progbits
; Kernel info:
; codeLenInByte = 0
; TotalNumSgprs: 0
; NumVgprs: 0
; ScratchSize: 0
; MemoryBound: 0
; FloatMode: 240
; IeeeMode: 1
; LDSByteSize: 0 bytes/workgroup (compile time only)
; SGPRBlocks: 0
; VGPRBlocks: 0
; NumSGPRsForWavesPerEU: 1
; NumVGPRsForWavesPerEU: 1
; Occupancy: 16
; WaveLimiterHint : 0
; COMPUTE_PGM_RSRC2:SCRATCH_EN: 0
; COMPUTE_PGM_RSRC2:USER_SGPR: 6
; COMPUTE_PGM_RSRC2:TRAP_HANDLER: 0
; COMPUTE_PGM_RSRC2:TGID_X_EN: 1
; COMPUTE_PGM_RSRC2:TGID_Y_EN: 0
; COMPUTE_PGM_RSRC2:TGID_Z_EN: 0
; COMPUTE_PGM_RSRC2:TIDIG_COMP_CNT: 0
	.section	.text._ZN7rocprim17ROCPRIM_400000_NS6detail17trampoline_kernelINS0_14default_configENS1_36segmented_radix_sort_config_selectorIflEEZNS1_25segmented_radix_sort_implIS3_Lb1EPKfPfPKlPlN2at6native12_GLOBAL__N_18offset_tEEE10hipError_tPvRmT1_PNSt15iterator_traitsISK_E10value_typeET2_T3_PNSL_ISQ_E10value_typeET4_jRbjT5_SW_jjP12ihipStream_tbEUlT_E0_NS1_11comp_targetILNS1_3genE3ELNS1_11target_archE908ELNS1_3gpuE7ELNS1_3repE0EEENS1_60segmented_radix_sort_warp_sort_medium_config_static_selectorELNS0_4arch9wavefront6targetE0EEEvSK_,"axG",@progbits,_ZN7rocprim17ROCPRIM_400000_NS6detail17trampoline_kernelINS0_14default_configENS1_36segmented_radix_sort_config_selectorIflEEZNS1_25segmented_radix_sort_implIS3_Lb1EPKfPfPKlPlN2at6native12_GLOBAL__N_18offset_tEEE10hipError_tPvRmT1_PNSt15iterator_traitsISK_E10value_typeET2_T3_PNSL_ISQ_E10value_typeET4_jRbjT5_SW_jjP12ihipStream_tbEUlT_E0_NS1_11comp_targetILNS1_3genE3ELNS1_11target_archE908ELNS1_3gpuE7ELNS1_3repE0EEENS1_60segmented_radix_sort_warp_sort_medium_config_static_selectorELNS0_4arch9wavefront6targetE0EEEvSK_,comdat
	.globl	_ZN7rocprim17ROCPRIM_400000_NS6detail17trampoline_kernelINS0_14default_configENS1_36segmented_radix_sort_config_selectorIflEEZNS1_25segmented_radix_sort_implIS3_Lb1EPKfPfPKlPlN2at6native12_GLOBAL__N_18offset_tEEE10hipError_tPvRmT1_PNSt15iterator_traitsISK_E10value_typeET2_T3_PNSL_ISQ_E10value_typeET4_jRbjT5_SW_jjP12ihipStream_tbEUlT_E0_NS1_11comp_targetILNS1_3genE3ELNS1_11target_archE908ELNS1_3gpuE7ELNS1_3repE0EEENS1_60segmented_radix_sort_warp_sort_medium_config_static_selectorELNS0_4arch9wavefront6targetE0EEEvSK_ ; -- Begin function _ZN7rocprim17ROCPRIM_400000_NS6detail17trampoline_kernelINS0_14default_configENS1_36segmented_radix_sort_config_selectorIflEEZNS1_25segmented_radix_sort_implIS3_Lb1EPKfPfPKlPlN2at6native12_GLOBAL__N_18offset_tEEE10hipError_tPvRmT1_PNSt15iterator_traitsISK_E10value_typeET2_T3_PNSL_ISQ_E10value_typeET4_jRbjT5_SW_jjP12ihipStream_tbEUlT_E0_NS1_11comp_targetILNS1_3genE3ELNS1_11target_archE908ELNS1_3gpuE7ELNS1_3repE0EEENS1_60segmented_radix_sort_warp_sort_medium_config_static_selectorELNS0_4arch9wavefront6targetE0EEEvSK_
	.p2align	8
	.type	_ZN7rocprim17ROCPRIM_400000_NS6detail17trampoline_kernelINS0_14default_configENS1_36segmented_radix_sort_config_selectorIflEEZNS1_25segmented_radix_sort_implIS3_Lb1EPKfPfPKlPlN2at6native12_GLOBAL__N_18offset_tEEE10hipError_tPvRmT1_PNSt15iterator_traitsISK_E10value_typeET2_T3_PNSL_ISQ_E10value_typeET4_jRbjT5_SW_jjP12ihipStream_tbEUlT_E0_NS1_11comp_targetILNS1_3genE3ELNS1_11target_archE908ELNS1_3gpuE7ELNS1_3repE0EEENS1_60segmented_radix_sort_warp_sort_medium_config_static_selectorELNS0_4arch9wavefront6targetE0EEEvSK_,@function
_ZN7rocprim17ROCPRIM_400000_NS6detail17trampoline_kernelINS0_14default_configENS1_36segmented_radix_sort_config_selectorIflEEZNS1_25segmented_radix_sort_implIS3_Lb1EPKfPfPKlPlN2at6native12_GLOBAL__N_18offset_tEEE10hipError_tPvRmT1_PNSt15iterator_traitsISK_E10value_typeET2_T3_PNSL_ISQ_E10value_typeET4_jRbjT5_SW_jjP12ihipStream_tbEUlT_E0_NS1_11comp_targetILNS1_3genE3ELNS1_11target_archE908ELNS1_3gpuE7ELNS1_3repE0EEENS1_60segmented_radix_sort_warp_sort_medium_config_static_selectorELNS0_4arch9wavefront6targetE0EEEvSK_: ; @_ZN7rocprim17ROCPRIM_400000_NS6detail17trampoline_kernelINS0_14default_configENS1_36segmented_radix_sort_config_selectorIflEEZNS1_25segmented_radix_sort_implIS3_Lb1EPKfPfPKlPlN2at6native12_GLOBAL__N_18offset_tEEE10hipError_tPvRmT1_PNSt15iterator_traitsISK_E10value_typeET2_T3_PNSL_ISQ_E10value_typeET4_jRbjT5_SW_jjP12ihipStream_tbEUlT_E0_NS1_11comp_targetILNS1_3genE3ELNS1_11target_archE908ELNS1_3gpuE7ELNS1_3repE0EEENS1_60segmented_radix_sort_warp_sort_medium_config_static_selectorELNS0_4arch9wavefront6targetE0EEEvSK_
; %bb.0:
	.section	.rodata,"a",@progbits
	.p2align	6, 0x0
	.amdhsa_kernel _ZN7rocprim17ROCPRIM_400000_NS6detail17trampoline_kernelINS0_14default_configENS1_36segmented_radix_sort_config_selectorIflEEZNS1_25segmented_radix_sort_implIS3_Lb1EPKfPfPKlPlN2at6native12_GLOBAL__N_18offset_tEEE10hipError_tPvRmT1_PNSt15iterator_traitsISK_E10value_typeET2_T3_PNSL_ISQ_E10value_typeET4_jRbjT5_SW_jjP12ihipStream_tbEUlT_E0_NS1_11comp_targetILNS1_3genE3ELNS1_11target_archE908ELNS1_3gpuE7ELNS1_3repE0EEENS1_60segmented_radix_sort_warp_sort_medium_config_static_selectorELNS0_4arch9wavefront6targetE0EEEvSK_
		.amdhsa_group_segment_fixed_size 0
		.amdhsa_private_segment_fixed_size 0
		.amdhsa_kernarg_size 88
		.amdhsa_user_sgpr_count 6
		.amdhsa_user_sgpr_private_segment_buffer 1
		.amdhsa_user_sgpr_dispatch_ptr 0
		.amdhsa_user_sgpr_queue_ptr 0
		.amdhsa_user_sgpr_kernarg_segment_ptr 1
		.amdhsa_user_sgpr_dispatch_id 0
		.amdhsa_user_sgpr_flat_scratch_init 0
		.amdhsa_user_sgpr_private_segment_size 0
		.amdhsa_wavefront_size32 1
		.amdhsa_uses_dynamic_stack 0
		.amdhsa_system_sgpr_private_segment_wavefront_offset 0
		.amdhsa_system_sgpr_workgroup_id_x 1
		.amdhsa_system_sgpr_workgroup_id_y 0
		.amdhsa_system_sgpr_workgroup_id_z 0
		.amdhsa_system_sgpr_workgroup_info 0
		.amdhsa_system_vgpr_workitem_id 0
		.amdhsa_next_free_vgpr 1
		.amdhsa_next_free_sgpr 1
		.amdhsa_reserve_vcc 0
		.amdhsa_reserve_flat_scratch 0
		.amdhsa_float_round_mode_32 0
		.amdhsa_float_round_mode_16_64 0
		.amdhsa_float_denorm_mode_32 3
		.amdhsa_float_denorm_mode_16_64 3
		.amdhsa_dx10_clamp 1
		.amdhsa_ieee_mode 1
		.amdhsa_fp16_overflow 0
		.amdhsa_workgroup_processor_mode 1
		.amdhsa_memory_ordered 1
		.amdhsa_forward_progress 1
		.amdhsa_shared_vgpr_count 0
		.amdhsa_exception_fp_ieee_invalid_op 0
		.amdhsa_exception_fp_denorm_src 0
		.amdhsa_exception_fp_ieee_div_zero 0
		.amdhsa_exception_fp_ieee_overflow 0
		.amdhsa_exception_fp_ieee_underflow 0
		.amdhsa_exception_fp_ieee_inexact 0
		.amdhsa_exception_int_div_zero 0
	.end_amdhsa_kernel
	.section	.text._ZN7rocprim17ROCPRIM_400000_NS6detail17trampoline_kernelINS0_14default_configENS1_36segmented_radix_sort_config_selectorIflEEZNS1_25segmented_radix_sort_implIS3_Lb1EPKfPfPKlPlN2at6native12_GLOBAL__N_18offset_tEEE10hipError_tPvRmT1_PNSt15iterator_traitsISK_E10value_typeET2_T3_PNSL_ISQ_E10value_typeET4_jRbjT5_SW_jjP12ihipStream_tbEUlT_E0_NS1_11comp_targetILNS1_3genE3ELNS1_11target_archE908ELNS1_3gpuE7ELNS1_3repE0EEENS1_60segmented_radix_sort_warp_sort_medium_config_static_selectorELNS0_4arch9wavefront6targetE0EEEvSK_,"axG",@progbits,_ZN7rocprim17ROCPRIM_400000_NS6detail17trampoline_kernelINS0_14default_configENS1_36segmented_radix_sort_config_selectorIflEEZNS1_25segmented_radix_sort_implIS3_Lb1EPKfPfPKlPlN2at6native12_GLOBAL__N_18offset_tEEE10hipError_tPvRmT1_PNSt15iterator_traitsISK_E10value_typeET2_T3_PNSL_ISQ_E10value_typeET4_jRbjT5_SW_jjP12ihipStream_tbEUlT_E0_NS1_11comp_targetILNS1_3genE3ELNS1_11target_archE908ELNS1_3gpuE7ELNS1_3repE0EEENS1_60segmented_radix_sort_warp_sort_medium_config_static_selectorELNS0_4arch9wavefront6targetE0EEEvSK_,comdat
.Lfunc_end1330:
	.size	_ZN7rocprim17ROCPRIM_400000_NS6detail17trampoline_kernelINS0_14default_configENS1_36segmented_radix_sort_config_selectorIflEEZNS1_25segmented_radix_sort_implIS3_Lb1EPKfPfPKlPlN2at6native12_GLOBAL__N_18offset_tEEE10hipError_tPvRmT1_PNSt15iterator_traitsISK_E10value_typeET2_T3_PNSL_ISQ_E10value_typeET4_jRbjT5_SW_jjP12ihipStream_tbEUlT_E0_NS1_11comp_targetILNS1_3genE3ELNS1_11target_archE908ELNS1_3gpuE7ELNS1_3repE0EEENS1_60segmented_radix_sort_warp_sort_medium_config_static_selectorELNS0_4arch9wavefront6targetE0EEEvSK_, .Lfunc_end1330-_ZN7rocprim17ROCPRIM_400000_NS6detail17trampoline_kernelINS0_14default_configENS1_36segmented_radix_sort_config_selectorIflEEZNS1_25segmented_radix_sort_implIS3_Lb1EPKfPfPKlPlN2at6native12_GLOBAL__N_18offset_tEEE10hipError_tPvRmT1_PNSt15iterator_traitsISK_E10value_typeET2_T3_PNSL_ISQ_E10value_typeET4_jRbjT5_SW_jjP12ihipStream_tbEUlT_E0_NS1_11comp_targetILNS1_3genE3ELNS1_11target_archE908ELNS1_3gpuE7ELNS1_3repE0EEENS1_60segmented_radix_sort_warp_sort_medium_config_static_selectorELNS0_4arch9wavefront6targetE0EEEvSK_
                                        ; -- End function
	.set _ZN7rocprim17ROCPRIM_400000_NS6detail17trampoline_kernelINS0_14default_configENS1_36segmented_radix_sort_config_selectorIflEEZNS1_25segmented_radix_sort_implIS3_Lb1EPKfPfPKlPlN2at6native12_GLOBAL__N_18offset_tEEE10hipError_tPvRmT1_PNSt15iterator_traitsISK_E10value_typeET2_T3_PNSL_ISQ_E10value_typeET4_jRbjT5_SW_jjP12ihipStream_tbEUlT_E0_NS1_11comp_targetILNS1_3genE3ELNS1_11target_archE908ELNS1_3gpuE7ELNS1_3repE0EEENS1_60segmented_radix_sort_warp_sort_medium_config_static_selectorELNS0_4arch9wavefront6targetE0EEEvSK_.num_vgpr, 0
	.set _ZN7rocprim17ROCPRIM_400000_NS6detail17trampoline_kernelINS0_14default_configENS1_36segmented_radix_sort_config_selectorIflEEZNS1_25segmented_radix_sort_implIS3_Lb1EPKfPfPKlPlN2at6native12_GLOBAL__N_18offset_tEEE10hipError_tPvRmT1_PNSt15iterator_traitsISK_E10value_typeET2_T3_PNSL_ISQ_E10value_typeET4_jRbjT5_SW_jjP12ihipStream_tbEUlT_E0_NS1_11comp_targetILNS1_3genE3ELNS1_11target_archE908ELNS1_3gpuE7ELNS1_3repE0EEENS1_60segmented_radix_sort_warp_sort_medium_config_static_selectorELNS0_4arch9wavefront6targetE0EEEvSK_.num_agpr, 0
	.set _ZN7rocprim17ROCPRIM_400000_NS6detail17trampoline_kernelINS0_14default_configENS1_36segmented_radix_sort_config_selectorIflEEZNS1_25segmented_radix_sort_implIS3_Lb1EPKfPfPKlPlN2at6native12_GLOBAL__N_18offset_tEEE10hipError_tPvRmT1_PNSt15iterator_traitsISK_E10value_typeET2_T3_PNSL_ISQ_E10value_typeET4_jRbjT5_SW_jjP12ihipStream_tbEUlT_E0_NS1_11comp_targetILNS1_3genE3ELNS1_11target_archE908ELNS1_3gpuE7ELNS1_3repE0EEENS1_60segmented_radix_sort_warp_sort_medium_config_static_selectorELNS0_4arch9wavefront6targetE0EEEvSK_.numbered_sgpr, 0
	.set _ZN7rocprim17ROCPRIM_400000_NS6detail17trampoline_kernelINS0_14default_configENS1_36segmented_radix_sort_config_selectorIflEEZNS1_25segmented_radix_sort_implIS3_Lb1EPKfPfPKlPlN2at6native12_GLOBAL__N_18offset_tEEE10hipError_tPvRmT1_PNSt15iterator_traitsISK_E10value_typeET2_T3_PNSL_ISQ_E10value_typeET4_jRbjT5_SW_jjP12ihipStream_tbEUlT_E0_NS1_11comp_targetILNS1_3genE3ELNS1_11target_archE908ELNS1_3gpuE7ELNS1_3repE0EEENS1_60segmented_radix_sort_warp_sort_medium_config_static_selectorELNS0_4arch9wavefront6targetE0EEEvSK_.num_named_barrier, 0
	.set _ZN7rocprim17ROCPRIM_400000_NS6detail17trampoline_kernelINS0_14default_configENS1_36segmented_radix_sort_config_selectorIflEEZNS1_25segmented_radix_sort_implIS3_Lb1EPKfPfPKlPlN2at6native12_GLOBAL__N_18offset_tEEE10hipError_tPvRmT1_PNSt15iterator_traitsISK_E10value_typeET2_T3_PNSL_ISQ_E10value_typeET4_jRbjT5_SW_jjP12ihipStream_tbEUlT_E0_NS1_11comp_targetILNS1_3genE3ELNS1_11target_archE908ELNS1_3gpuE7ELNS1_3repE0EEENS1_60segmented_radix_sort_warp_sort_medium_config_static_selectorELNS0_4arch9wavefront6targetE0EEEvSK_.private_seg_size, 0
	.set _ZN7rocprim17ROCPRIM_400000_NS6detail17trampoline_kernelINS0_14default_configENS1_36segmented_radix_sort_config_selectorIflEEZNS1_25segmented_radix_sort_implIS3_Lb1EPKfPfPKlPlN2at6native12_GLOBAL__N_18offset_tEEE10hipError_tPvRmT1_PNSt15iterator_traitsISK_E10value_typeET2_T3_PNSL_ISQ_E10value_typeET4_jRbjT5_SW_jjP12ihipStream_tbEUlT_E0_NS1_11comp_targetILNS1_3genE3ELNS1_11target_archE908ELNS1_3gpuE7ELNS1_3repE0EEENS1_60segmented_radix_sort_warp_sort_medium_config_static_selectorELNS0_4arch9wavefront6targetE0EEEvSK_.uses_vcc, 0
	.set _ZN7rocprim17ROCPRIM_400000_NS6detail17trampoline_kernelINS0_14default_configENS1_36segmented_radix_sort_config_selectorIflEEZNS1_25segmented_radix_sort_implIS3_Lb1EPKfPfPKlPlN2at6native12_GLOBAL__N_18offset_tEEE10hipError_tPvRmT1_PNSt15iterator_traitsISK_E10value_typeET2_T3_PNSL_ISQ_E10value_typeET4_jRbjT5_SW_jjP12ihipStream_tbEUlT_E0_NS1_11comp_targetILNS1_3genE3ELNS1_11target_archE908ELNS1_3gpuE7ELNS1_3repE0EEENS1_60segmented_radix_sort_warp_sort_medium_config_static_selectorELNS0_4arch9wavefront6targetE0EEEvSK_.uses_flat_scratch, 0
	.set _ZN7rocprim17ROCPRIM_400000_NS6detail17trampoline_kernelINS0_14default_configENS1_36segmented_radix_sort_config_selectorIflEEZNS1_25segmented_radix_sort_implIS3_Lb1EPKfPfPKlPlN2at6native12_GLOBAL__N_18offset_tEEE10hipError_tPvRmT1_PNSt15iterator_traitsISK_E10value_typeET2_T3_PNSL_ISQ_E10value_typeET4_jRbjT5_SW_jjP12ihipStream_tbEUlT_E0_NS1_11comp_targetILNS1_3genE3ELNS1_11target_archE908ELNS1_3gpuE7ELNS1_3repE0EEENS1_60segmented_radix_sort_warp_sort_medium_config_static_selectorELNS0_4arch9wavefront6targetE0EEEvSK_.has_dyn_sized_stack, 0
	.set _ZN7rocprim17ROCPRIM_400000_NS6detail17trampoline_kernelINS0_14default_configENS1_36segmented_radix_sort_config_selectorIflEEZNS1_25segmented_radix_sort_implIS3_Lb1EPKfPfPKlPlN2at6native12_GLOBAL__N_18offset_tEEE10hipError_tPvRmT1_PNSt15iterator_traitsISK_E10value_typeET2_T3_PNSL_ISQ_E10value_typeET4_jRbjT5_SW_jjP12ihipStream_tbEUlT_E0_NS1_11comp_targetILNS1_3genE3ELNS1_11target_archE908ELNS1_3gpuE7ELNS1_3repE0EEENS1_60segmented_radix_sort_warp_sort_medium_config_static_selectorELNS0_4arch9wavefront6targetE0EEEvSK_.has_recursion, 0
	.set _ZN7rocprim17ROCPRIM_400000_NS6detail17trampoline_kernelINS0_14default_configENS1_36segmented_radix_sort_config_selectorIflEEZNS1_25segmented_radix_sort_implIS3_Lb1EPKfPfPKlPlN2at6native12_GLOBAL__N_18offset_tEEE10hipError_tPvRmT1_PNSt15iterator_traitsISK_E10value_typeET2_T3_PNSL_ISQ_E10value_typeET4_jRbjT5_SW_jjP12ihipStream_tbEUlT_E0_NS1_11comp_targetILNS1_3genE3ELNS1_11target_archE908ELNS1_3gpuE7ELNS1_3repE0EEENS1_60segmented_radix_sort_warp_sort_medium_config_static_selectorELNS0_4arch9wavefront6targetE0EEEvSK_.has_indirect_call, 0
	.section	.AMDGPU.csdata,"",@progbits
; Kernel info:
; codeLenInByte = 0
; TotalNumSgprs: 0
; NumVgprs: 0
; ScratchSize: 0
; MemoryBound: 0
; FloatMode: 240
; IeeeMode: 1
; LDSByteSize: 0 bytes/workgroup (compile time only)
; SGPRBlocks: 0
; VGPRBlocks: 0
; NumSGPRsForWavesPerEU: 1
; NumVGPRsForWavesPerEU: 1
; Occupancy: 16
; WaveLimiterHint : 0
; COMPUTE_PGM_RSRC2:SCRATCH_EN: 0
; COMPUTE_PGM_RSRC2:USER_SGPR: 6
; COMPUTE_PGM_RSRC2:TRAP_HANDLER: 0
; COMPUTE_PGM_RSRC2:TGID_X_EN: 1
; COMPUTE_PGM_RSRC2:TGID_Y_EN: 0
; COMPUTE_PGM_RSRC2:TGID_Z_EN: 0
; COMPUTE_PGM_RSRC2:TIDIG_COMP_CNT: 0
	.section	.text._ZN7rocprim17ROCPRIM_400000_NS6detail17trampoline_kernelINS0_14default_configENS1_36segmented_radix_sort_config_selectorIflEEZNS1_25segmented_radix_sort_implIS3_Lb1EPKfPfPKlPlN2at6native12_GLOBAL__N_18offset_tEEE10hipError_tPvRmT1_PNSt15iterator_traitsISK_E10value_typeET2_T3_PNSL_ISQ_E10value_typeET4_jRbjT5_SW_jjP12ihipStream_tbEUlT_E0_NS1_11comp_targetILNS1_3genE2ELNS1_11target_archE906ELNS1_3gpuE6ELNS1_3repE0EEENS1_60segmented_radix_sort_warp_sort_medium_config_static_selectorELNS0_4arch9wavefront6targetE0EEEvSK_,"axG",@progbits,_ZN7rocprim17ROCPRIM_400000_NS6detail17trampoline_kernelINS0_14default_configENS1_36segmented_radix_sort_config_selectorIflEEZNS1_25segmented_radix_sort_implIS3_Lb1EPKfPfPKlPlN2at6native12_GLOBAL__N_18offset_tEEE10hipError_tPvRmT1_PNSt15iterator_traitsISK_E10value_typeET2_T3_PNSL_ISQ_E10value_typeET4_jRbjT5_SW_jjP12ihipStream_tbEUlT_E0_NS1_11comp_targetILNS1_3genE2ELNS1_11target_archE906ELNS1_3gpuE6ELNS1_3repE0EEENS1_60segmented_radix_sort_warp_sort_medium_config_static_selectorELNS0_4arch9wavefront6targetE0EEEvSK_,comdat
	.globl	_ZN7rocprim17ROCPRIM_400000_NS6detail17trampoline_kernelINS0_14default_configENS1_36segmented_radix_sort_config_selectorIflEEZNS1_25segmented_radix_sort_implIS3_Lb1EPKfPfPKlPlN2at6native12_GLOBAL__N_18offset_tEEE10hipError_tPvRmT1_PNSt15iterator_traitsISK_E10value_typeET2_T3_PNSL_ISQ_E10value_typeET4_jRbjT5_SW_jjP12ihipStream_tbEUlT_E0_NS1_11comp_targetILNS1_3genE2ELNS1_11target_archE906ELNS1_3gpuE6ELNS1_3repE0EEENS1_60segmented_radix_sort_warp_sort_medium_config_static_selectorELNS0_4arch9wavefront6targetE0EEEvSK_ ; -- Begin function _ZN7rocprim17ROCPRIM_400000_NS6detail17trampoline_kernelINS0_14default_configENS1_36segmented_radix_sort_config_selectorIflEEZNS1_25segmented_radix_sort_implIS3_Lb1EPKfPfPKlPlN2at6native12_GLOBAL__N_18offset_tEEE10hipError_tPvRmT1_PNSt15iterator_traitsISK_E10value_typeET2_T3_PNSL_ISQ_E10value_typeET4_jRbjT5_SW_jjP12ihipStream_tbEUlT_E0_NS1_11comp_targetILNS1_3genE2ELNS1_11target_archE906ELNS1_3gpuE6ELNS1_3repE0EEENS1_60segmented_radix_sort_warp_sort_medium_config_static_selectorELNS0_4arch9wavefront6targetE0EEEvSK_
	.p2align	8
	.type	_ZN7rocprim17ROCPRIM_400000_NS6detail17trampoline_kernelINS0_14default_configENS1_36segmented_radix_sort_config_selectorIflEEZNS1_25segmented_radix_sort_implIS3_Lb1EPKfPfPKlPlN2at6native12_GLOBAL__N_18offset_tEEE10hipError_tPvRmT1_PNSt15iterator_traitsISK_E10value_typeET2_T3_PNSL_ISQ_E10value_typeET4_jRbjT5_SW_jjP12ihipStream_tbEUlT_E0_NS1_11comp_targetILNS1_3genE2ELNS1_11target_archE906ELNS1_3gpuE6ELNS1_3repE0EEENS1_60segmented_radix_sort_warp_sort_medium_config_static_selectorELNS0_4arch9wavefront6targetE0EEEvSK_,@function
_ZN7rocprim17ROCPRIM_400000_NS6detail17trampoline_kernelINS0_14default_configENS1_36segmented_radix_sort_config_selectorIflEEZNS1_25segmented_radix_sort_implIS3_Lb1EPKfPfPKlPlN2at6native12_GLOBAL__N_18offset_tEEE10hipError_tPvRmT1_PNSt15iterator_traitsISK_E10value_typeET2_T3_PNSL_ISQ_E10value_typeET4_jRbjT5_SW_jjP12ihipStream_tbEUlT_E0_NS1_11comp_targetILNS1_3genE2ELNS1_11target_archE906ELNS1_3gpuE6ELNS1_3repE0EEENS1_60segmented_radix_sort_warp_sort_medium_config_static_selectorELNS0_4arch9wavefront6targetE0EEEvSK_: ; @_ZN7rocprim17ROCPRIM_400000_NS6detail17trampoline_kernelINS0_14default_configENS1_36segmented_radix_sort_config_selectorIflEEZNS1_25segmented_radix_sort_implIS3_Lb1EPKfPfPKlPlN2at6native12_GLOBAL__N_18offset_tEEE10hipError_tPvRmT1_PNSt15iterator_traitsISK_E10value_typeET2_T3_PNSL_ISQ_E10value_typeET4_jRbjT5_SW_jjP12ihipStream_tbEUlT_E0_NS1_11comp_targetILNS1_3genE2ELNS1_11target_archE906ELNS1_3gpuE6ELNS1_3repE0EEENS1_60segmented_radix_sort_warp_sort_medium_config_static_selectorELNS0_4arch9wavefront6targetE0EEEvSK_
; %bb.0:
	.section	.rodata,"a",@progbits
	.p2align	6, 0x0
	.amdhsa_kernel _ZN7rocprim17ROCPRIM_400000_NS6detail17trampoline_kernelINS0_14default_configENS1_36segmented_radix_sort_config_selectorIflEEZNS1_25segmented_radix_sort_implIS3_Lb1EPKfPfPKlPlN2at6native12_GLOBAL__N_18offset_tEEE10hipError_tPvRmT1_PNSt15iterator_traitsISK_E10value_typeET2_T3_PNSL_ISQ_E10value_typeET4_jRbjT5_SW_jjP12ihipStream_tbEUlT_E0_NS1_11comp_targetILNS1_3genE2ELNS1_11target_archE906ELNS1_3gpuE6ELNS1_3repE0EEENS1_60segmented_radix_sort_warp_sort_medium_config_static_selectorELNS0_4arch9wavefront6targetE0EEEvSK_
		.amdhsa_group_segment_fixed_size 0
		.amdhsa_private_segment_fixed_size 0
		.amdhsa_kernarg_size 88
		.amdhsa_user_sgpr_count 6
		.amdhsa_user_sgpr_private_segment_buffer 1
		.amdhsa_user_sgpr_dispatch_ptr 0
		.amdhsa_user_sgpr_queue_ptr 0
		.amdhsa_user_sgpr_kernarg_segment_ptr 1
		.amdhsa_user_sgpr_dispatch_id 0
		.amdhsa_user_sgpr_flat_scratch_init 0
		.amdhsa_user_sgpr_private_segment_size 0
		.amdhsa_wavefront_size32 1
		.amdhsa_uses_dynamic_stack 0
		.amdhsa_system_sgpr_private_segment_wavefront_offset 0
		.amdhsa_system_sgpr_workgroup_id_x 1
		.amdhsa_system_sgpr_workgroup_id_y 0
		.amdhsa_system_sgpr_workgroup_id_z 0
		.amdhsa_system_sgpr_workgroup_info 0
		.amdhsa_system_vgpr_workitem_id 0
		.amdhsa_next_free_vgpr 1
		.amdhsa_next_free_sgpr 1
		.amdhsa_reserve_vcc 0
		.amdhsa_reserve_flat_scratch 0
		.amdhsa_float_round_mode_32 0
		.amdhsa_float_round_mode_16_64 0
		.amdhsa_float_denorm_mode_32 3
		.amdhsa_float_denorm_mode_16_64 3
		.amdhsa_dx10_clamp 1
		.amdhsa_ieee_mode 1
		.amdhsa_fp16_overflow 0
		.amdhsa_workgroup_processor_mode 1
		.amdhsa_memory_ordered 1
		.amdhsa_forward_progress 1
		.amdhsa_shared_vgpr_count 0
		.amdhsa_exception_fp_ieee_invalid_op 0
		.amdhsa_exception_fp_denorm_src 0
		.amdhsa_exception_fp_ieee_div_zero 0
		.amdhsa_exception_fp_ieee_overflow 0
		.amdhsa_exception_fp_ieee_underflow 0
		.amdhsa_exception_fp_ieee_inexact 0
		.amdhsa_exception_int_div_zero 0
	.end_amdhsa_kernel
	.section	.text._ZN7rocprim17ROCPRIM_400000_NS6detail17trampoline_kernelINS0_14default_configENS1_36segmented_radix_sort_config_selectorIflEEZNS1_25segmented_radix_sort_implIS3_Lb1EPKfPfPKlPlN2at6native12_GLOBAL__N_18offset_tEEE10hipError_tPvRmT1_PNSt15iterator_traitsISK_E10value_typeET2_T3_PNSL_ISQ_E10value_typeET4_jRbjT5_SW_jjP12ihipStream_tbEUlT_E0_NS1_11comp_targetILNS1_3genE2ELNS1_11target_archE906ELNS1_3gpuE6ELNS1_3repE0EEENS1_60segmented_radix_sort_warp_sort_medium_config_static_selectorELNS0_4arch9wavefront6targetE0EEEvSK_,"axG",@progbits,_ZN7rocprim17ROCPRIM_400000_NS6detail17trampoline_kernelINS0_14default_configENS1_36segmented_radix_sort_config_selectorIflEEZNS1_25segmented_radix_sort_implIS3_Lb1EPKfPfPKlPlN2at6native12_GLOBAL__N_18offset_tEEE10hipError_tPvRmT1_PNSt15iterator_traitsISK_E10value_typeET2_T3_PNSL_ISQ_E10value_typeET4_jRbjT5_SW_jjP12ihipStream_tbEUlT_E0_NS1_11comp_targetILNS1_3genE2ELNS1_11target_archE906ELNS1_3gpuE6ELNS1_3repE0EEENS1_60segmented_radix_sort_warp_sort_medium_config_static_selectorELNS0_4arch9wavefront6targetE0EEEvSK_,comdat
.Lfunc_end1331:
	.size	_ZN7rocprim17ROCPRIM_400000_NS6detail17trampoline_kernelINS0_14default_configENS1_36segmented_radix_sort_config_selectorIflEEZNS1_25segmented_radix_sort_implIS3_Lb1EPKfPfPKlPlN2at6native12_GLOBAL__N_18offset_tEEE10hipError_tPvRmT1_PNSt15iterator_traitsISK_E10value_typeET2_T3_PNSL_ISQ_E10value_typeET4_jRbjT5_SW_jjP12ihipStream_tbEUlT_E0_NS1_11comp_targetILNS1_3genE2ELNS1_11target_archE906ELNS1_3gpuE6ELNS1_3repE0EEENS1_60segmented_radix_sort_warp_sort_medium_config_static_selectorELNS0_4arch9wavefront6targetE0EEEvSK_, .Lfunc_end1331-_ZN7rocprim17ROCPRIM_400000_NS6detail17trampoline_kernelINS0_14default_configENS1_36segmented_radix_sort_config_selectorIflEEZNS1_25segmented_radix_sort_implIS3_Lb1EPKfPfPKlPlN2at6native12_GLOBAL__N_18offset_tEEE10hipError_tPvRmT1_PNSt15iterator_traitsISK_E10value_typeET2_T3_PNSL_ISQ_E10value_typeET4_jRbjT5_SW_jjP12ihipStream_tbEUlT_E0_NS1_11comp_targetILNS1_3genE2ELNS1_11target_archE906ELNS1_3gpuE6ELNS1_3repE0EEENS1_60segmented_radix_sort_warp_sort_medium_config_static_selectorELNS0_4arch9wavefront6targetE0EEEvSK_
                                        ; -- End function
	.set _ZN7rocprim17ROCPRIM_400000_NS6detail17trampoline_kernelINS0_14default_configENS1_36segmented_radix_sort_config_selectorIflEEZNS1_25segmented_radix_sort_implIS3_Lb1EPKfPfPKlPlN2at6native12_GLOBAL__N_18offset_tEEE10hipError_tPvRmT1_PNSt15iterator_traitsISK_E10value_typeET2_T3_PNSL_ISQ_E10value_typeET4_jRbjT5_SW_jjP12ihipStream_tbEUlT_E0_NS1_11comp_targetILNS1_3genE2ELNS1_11target_archE906ELNS1_3gpuE6ELNS1_3repE0EEENS1_60segmented_radix_sort_warp_sort_medium_config_static_selectorELNS0_4arch9wavefront6targetE0EEEvSK_.num_vgpr, 0
	.set _ZN7rocprim17ROCPRIM_400000_NS6detail17trampoline_kernelINS0_14default_configENS1_36segmented_radix_sort_config_selectorIflEEZNS1_25segmented_radix_sort_implIS3_Lb1EPKfPfPKlPlN2at6native12_GLOBAL__N_18offset_tEEE10hipError_tPvRmT1_PNSt15iterator_traitsISK_E10value_typeET2_T3_PNSL_ISQ_E10value_typeET4_jRbjT5_SW_jjP12ihipStream_tbEUlT_E0_NS1_11comp_targetILNS1_3genE2ELNS1_11target_archE906ELNS1_3gpuE6ELNS1_3repE0EEENS1_60segmented_radix_sort_warp_sort_medium_config_static_selectorELNS0_4arch9wavefront6targetE0EEEvSK_.num_agpr, 0
	.set _ZN7rocprim17ROCPRIM_400000_NS6detail17trampoline_kernelINS0_14default_configENS1_36segmented_radix_sort_config_selectorIflEEZNS1_25segmented_radix_sort_implIS3_Lb1EPKfPfPKlPlN2at6native12_GLOBAL__N_18offset_tEEE10hipError_tPvRmT1_PNSt15iterator_traitsISK_E10value_typeET2_T3_PNSL_ISQ_E10value_typeET4_jRbjT5_SW_jjP12ihipStream_tbEUlT_E0_NS1_11comp_targetILNS1_3genE2ELNS1_11target_archE906ELNS1_3gpuE6ELNS1_3repE0EEENS1_60segmented_radix_sort_warp_sort_medium_config_static_selectorELNS0_4arch9wavefront6targetE0EEEvSK_.numbered_sgpr, 0
	.set _ZN7rocprim17ROCPRIM_400000_NS6detail17trampoline_kernelINS0_14default_configENS1_36segmented_radix_sort_config_selectorIflEEZNS1_25segmented_radix_sort_implIS3_Lb1EPKfPfPKlPlN2at6native12_GLOBAL__N_18offset_tEEE10hipError_tPvRmT1_PNSt15iterator_traitsISK_E10value_typeET2_T3_PNSL_ISQ_E10value_typeET4_jRbjT5_SW_jjP12ihipStream_tbEUlT_E0_NS1_11comp_targetILNS1_3genE2ELNS1_11target_archE906ELNS1_3gpuE6ELNS1_3repE0EEENS1_60segmented_radix_sort_warp_sort_medium_config_static_selectorELNS0_4arch9wavefront6targetE0EEEvSK_.num_named_barrier, 0
	.set _ZN7rocprim17ROCPRIM_400000_NS6detail17trampoline_kernelINS0_14default_configENS1_36segmented_radix_sort_config_selectorIflEEZNS1_25segmented_radix_sort_implIS3_Lb1EPKfPfPKlPlN2at6native12_GLOBAL__N_18offset_tEEE10hipError_tPvRmT1_PNSt15iterator_traitsISK_E10value_typeET2_T3_PNSL_ISQ_E10value_typeET4_jRbjT5_SW_jjP12ihipStream_tbEUlT_E0_NS1_11comp_targetILNS1_3genE2ELNS1_11target_archE906ELNS1_3gpuE6ELNS1_3repE0EEENS1_60segmented_radix_sort_warp_sort_medium_config_static_selectorELNS0_4arch9wavefront6targetE0EEEvSK_.private_seg_size, 0
	.set _ZN7rocprim17ROCPRIM_400000_NS6detail17trampoline_kernelINS0_14default_configENS1_36segmented_radix_sort_config_selectorIflEEZNS1_25segmented_radix_sort_implIS3_Lb1EPKfPfPKlPlN2at6native12_GLOBAL__N_18offset_tEEE10hipError_tPvRmT1_PNSt15iterator_traitsISK_E10value_typeET2_T3_PNSL_ISQ_E10value_typeET4_jRbjT5_SW_jjP12ihipStream_tbEUlT_E0_NS1_11comp_targetILNS1_3genE2ELNS1_11target_archE906ELNS1_3gpuE6ELNS1_3repE0EEENS1_60segmented_radix_sort_warp_sort_medium_config_static_selectorELNS0_4arch9wavefront6targetE0EEEvSK_.uses_vcc, 0
	.set _ZN7rocprim17ROCPRIM_400000_NS6detail17trampoline_kernelINS0_14default_configENS1_36segmented_radix_sort_config_selectorIflEEZNS1_25segmented_radix_sort_implIS3_Lb1EPKfPfPKlPlN2at6native12_GLOBAL__N_18offset_tEEE10hipError_tPvRmT1_PNSt15iterator_traitsISK_E10value_typeET2_T3_PNSL_ISQ_E10value_typeET4_jRbjT5_SW_jjP12ihipStream_tbEUlT_E0_NS1_11comp_targetILNS1_3genE2ELNS1_11target_archE906ELNS1_3gpuE6ELNS1_3repE0EEENS1_60segmented_radix_sort_warp_sort_medium_config_static_selectorELNS0_4arch9wavefront6targetE0EEEvSK_.uses_flat_scratch, 0
	.set _ZN7rocprim17ROCPRIM_400000_NS6detail17trampoline_kernelINS0_14default_configENS1_36segmented_radix_sort_config_selectorIflEEZNS1_25segmented_radix_sort_implIS3_Lb1EPKfPfPKlPlN2at6native12_GLOBAL__N_18offset_tEEE10hipError_tPvRmT1_PNSt15iterator_traitsISK_E10value_typeET2_T3_PNSL_ISQ_E10value_typeET4_jRbjT5_SW_jjP12ihipStream_tbEUlT_E0_NS1_11comp_targetILNS1_3genE2ELNS1_11target_archE906ELNS1_3gpuE6ELNS1_3repE0EEENS1_60segmented_radix_sort_warp_sort_medium_config_static_selectorELNS0_4arch9wavefront6targetE0EEEvSK_.has_dyn_sized_stack, 0
	.set _ZN7rocprim17ROCPRIM_400000_NS6detail17trampoline_kernelINS0_14default_configENS1_36segmented_radix_sort_config_selectorIflEEZNS1_25segmented_radix_sort_implIS3_Lb1EPKfPfPKlPlN2at6native12_GLOBAL__N_18offset_tEEE10hipError_tPvRmT1_PNSt15iterator_traitsISK_E10value_typeET2_T3_PNSL_ISQ_E10value_typeET4_jRbjT5_SW_jjP12ihipStream_tbEUlT_E0_NS1_11comp_targetILNS1_3genE2ELNS1_11target_archE906ELNS1_3gpuE6ELNS1_3repE0EEENS1_60segmented_radix_sort_warp_sort_medium_config_static_selectorELNS0_4arch9wavefront6targetE0EEEvSK_.has_recursion, 0
	.set _ZN7rocprim17ROCPRIM_400000_NS6detail17trampoline_kernelINS0_14default_configENS1_36segmented_radix_sort_config_selectorIflEEZNS1_25segmented_radix_sort_implIS3_Lb1EPKfPfPKlPlN2at6native12_GLOBAL__N_18offset_tEEE10hipError_tPvRmT1_PNSt15iterator_traitsISK_E10value_typeET2_T3_PNSL_ISQ_E10value_typeET4_jRbjT5_SW_jjP12ihipStream_tbEUlT_E0_NS1_11comp_targetILNS1_3genE2ELNS1_11target_archE906ELNS1_3gpuE6ELNS1_3repE0EEENS1_60segmented_radix_sort_warp_sort_medium_config_static_selectorELNS0_4arch9wavefront6targetE0EEEvSK_.has_indirect_call, 0
	.section	.AMDGPU.csdata,"",@progbits
; Kernel info:
; codeLenInByte = 0
; TotalNumSgprs: 0
; NumVgprs: 0
; ScratchSize: 0
; MemoryBound: 0
; FloatMode: 240
; IeeeMode: 1
; LDSByteSize: 0 bytes/workgroup (compile time only)
; SGPRBlocks: 0
; VGPRBlocks: 0
; NumSGPRsForWavesPerEU: 1
; NumVGPRsForWavesPerEU: 1
; Occupancy: 16
; WaveLimiterHint : 0
; COMPUTE_PGM_RSRC2:SCRATCH_EN: 0
; COMPUTE_PGM_RSRC2:USER_SGPR: 6
; COMPUTE_PGM_RSRC2:TRAP_HANDLER: 0
; COMPUTE_PGM_RSRC2:TGID_X_EN: 1
; COMPUTE_PGM_RSRC2:TGID_Y_EN: 0
; COMPUTE_PGM_RSRC2:TGID_Z_EN: 0
; COMPUTE_PGM_RSRC2:TIDIG_COMP_CNT: 0
	.section	.text._ZN7rocprim17ROCPRIM_400000_NS6detail17trampoline_kernelINS0_14default_configENS1_36segmented_radix_sort_config_selectorIflEEZNS1_25segmented_radix_sort_implIS3_Lb1EPKfPfPKlPlN2at6native12_GLOBAL__N_18offset_tEEE10hipError_tPvRmT1_PNSt15iterator_traitsISK_E10value_typeET2_T3_PNSL_ISQ_E10value_typeET4_jRbjT5_SW_jjP12ihipStream_tbEUlT_E0_NS1_11comp_targetILNS1_3genE10ELNS1_11target_archE1201ELNS1_3gpuE5ELNS1_3repE0EEENS1_60segmented_radix_sort_warp_sort_medium_config_static_selectorELNS0_4arch9wavefront6targetE0EEEvSK_,"axG",@progbits,_ZN7rocprim17ROCPRIM_400000_NS6detail17trampoline_kernelINS0_14default_configENS1_36segmented_radix_sort_config_selectorIflEEZNS1_25segmented_radix_sort_implIS3_Lb1EPKfPfPKlPlN2at6native12_GLOBAL__N_18offset_tEEE10hipError_tPvRmT1_PNSt15iterator_traitsISK_E10value_typeET2_T3_PNSL_ISQ_E10value_typeET4_jRbjT5_SW_jjP12ihipStream_tbEUlT_E0_NS1_11comp_targetILNS1_3genE10ELNS1_11target_archE1201ELNS1_3gpuE5ELNS1_3repE0EEENS1_60segmented_radix_sort_warp_sort_medium_config_static_selectorELNS0_4arch9wavefront6targetE0EEEvSK_,comdat
	.globl	_ZN7rocprim17ROCPRIM_400000_NS6detail17trampoline_kernelINS0_14default_configENS1_36segmented_radix_sort_config_selectorIflEEZNS1_25segmented_radix_sort_implIS3_Lb1EPKfPfPKlPlN2at6native12_GLOBAL__N_18offset_tEEE10hipError_tPvRmT1_PNSt15iterator_traitsISK_E10value_typeET2_T3_PNSL_ISQ_E10value_typeET4_jRbjT5_SW_jjP12ihipStream_tbEUlT_E0_NS1_11comp_targetILNS1_3genE10ELNS1_11target_archE1201ELNS1_3gpuE5ELNS1_3repE0EEENS1_60segmented_radix_sort_warp_sort_medium_config_static_selectorELNS0_4arch9wavefront6targetE0EEEvSK_ ; -- Begin function _ZN7rocprim17ROCPRIM_400000_NS6detail17trampoline_kernelINS0_14default_configENS1_36segmented_radix_sort_config_selectorIflEEZNS1_25segmented_radix_sort_implIS3_Lb1EPKfPfPKlPlN2at6native12_GLOBAL__N_18offset_tEEE10hipError_tPvRmT1_PNSt15iterator_traitsISK_E10value_typeET2_T3_PNSL_ISQ_E10value_typeET4_jRbjT5_SW_jjP12ihipStream_tbEUlT_E0_NS1_11comp_targetILNS1_3genE10ELNS1_11target_archE1201ELNS1_3gpuE5ELNS1_3repE0EEENS1_60segmented_radix_sort_warp_sort_medium_config_static_selectorELNS0_4arch9wavefront6targetE0EEEvSK_
	.p2align	8
	.type	_ZN7rocprim17ROCPRIM_400000_NS6detail17trampoline_kernelINS0_14default_configENS1_36segmented_radix_sort_config_selectorIflEEZNS1_25segmented_radix_sort_implIS3_Lb1EPKfPfPKlPlN2at6native12_GLOBAL__N_18offset_tEEE10hipError_tPvRmT1_PNSt15iterator_traitsISK_E10value_typeET2_T3_PNSL_ISQ_E10value_typeET4_jRbjT5_SW_jjP12ihipStream_tbEUlT_E0_NS1_11comp_targetILNS1_3genE10ELNS1_11target_archE1201ELNS1_3gpuE5ELNS1_3repE0EEENS1_60segmented_radix_sort_warp_sort_medium_config_static_selectorELNS0_4arch9wavefront6targetE0EEEvSK_,@function
_ZN7rocprim17ROCPRIM_400000_NS6detail17trampoline_kernelINS0_14default_configENS1_36segmented_radix_sort_config_selectorIflEEZNS1_25segmented_radix_sort_implIS3_Lb1EPKfPfPKlPlN2at6native12_GLOBAL__N_18offset_tEEE10hipError_tPvRmT1_PNSt15iterator_traitsISK_E10value_typeET2_T3_PNSL_ISQ_E10value_typeET4_jRbjT5_SW_jjP12ihipStream_tbEUlT_E0_NS1_11comp_targetILNS1_3genE10ELNS1_11target_archE1201ELNS1_3gpuE5ELNS1_3repE0EEENS1_60segmented_radix_sort_warp_sort_medium_config_static_selectorELNS0_4arch9wavefront6targetE0EEEvSK_: ; @_ZN7rocprim17ROCPRIM_400000_NS6detail17trampoline_kernelINS0_14default_configENS1_36segmented_radix_sort_config_selectorIflEEZNS1_25segmented_radix_sort_implIS3_Lb1EPKfPfPKlPlN2at6native12_GLOBAL__N_18offset_tEEE10hipError_tPvRmT1_PNSt15iterator_traitsISK_E10value_typeET2_T3_PNSL_ISQ_E10value_typeET4_jRbjT5_SW_jjP12ihipStream_tbEUlT_E0_NS1_11comp_targetILNS1_3genE10ELNS1_11target_archE1201ELNS1_3gpuE5ELNS1_3repE0EEENS1_60segmented_radix_sort_warp_sort_medium_config_static_selectorELNS0_4arch9wavefront6targetE0EEEvSK_
; %bb.0:
	.section	.rodata,"a",@progbits
	.p2align	6, 0x0
	.amdhsa_kernel _ZN7rocprim17ROCPRIM_400000_NS6detail17trampoline_kernelINS0_14default_configENS1_36segmented_radix_sort_config_selectorIflEEZNS1_25segmented_radix_sort_implIS3_Lb1EPKfPfPKlPlN2at6native12_GLOBAL__N_18offset_tEEE10hipError_tPvRmT1_PNSt15iterator_traitsISK_E10value_typeET2_T3_PNSL_ISQ_E10value_typeET4_jRbjT5_SW_jjP12ihipStream_tbEUlT_E0_NS1_11comp_targetILNS1_3genE10ELNS1_11target_archE1201ELNS1_3gpuE5ELNS1_3repE0EEENS1_60segmented_radix_sort_warp_sort_medium_config_static_selectorELNS0_4arch9wavefront6targetE0EEEvSK_
		.amdhsa_group_segment_fixed_size 0
		.amdhsa_private_segment_fixed_size 0
		.amdhsa_kernarg_size 88
		.amdhsa_user_sgpr_count 6
		.amdhsa_user_sgpr_private_segment_buffer 1
		.amdhsa_user_sgpr_dispatch_ptr 0
		.amdhsa_user_sgpr_queue_ptr 0
		.amdhsa_user_sgpr_kernarg_segment_ptr 1
		.amdhsa_user_sgpr_dispatch_id 0
		.amdhsa_user_sgpr_flat_scratch_init 0
		.amdhsa_user_sgpr_private_segment_size 0
		.amdhsa_wavefront_size32 1
		.amdhsa_uses_dynamic_stack 0
		.amdhsa_system_sgpr_private_segment_wavefront_offset 0
		.amdhsa_system_sgpr_workgroup_id_x 1
		.amdhsa_system_sgpr_workgroup_id_y 0
		.amdhsa_system_sgpr_workgroup_id_z 0
		.amdhsa_system_sgpr_workgroup_info 0
		.amdhsa_system_vgpr_workitem_id 0
		.amdhsa_next_free_vgpr 1
		.amdhsa_next_free_sgpr 1
		.amdhsa_reserve_vcc 0
		.amdhsa_reserve_flat_scratch 0
		.amdhsa_float_round_mode_32 0
		.amdhsa_float_round_mode_16_64 0
		.amdhsa_float_denorm_mode_32 3
		.amdhsa_float_denorm_mode_16_64 3
		.amdhsa_dx10_clamp 1
		.amdhsa_ieee_mode 1
		.amdhsa_fp16_overflow 0
		.amdhsa_workgroup_processor_mode 1
		.amdhsa_memory_ordered 1
		.amdhsa_forward_progress 1
		.amdhsa_shared_vgpr_count 0
		.amdhsa_exception_fp_ieee_invalid_op 0
		.amdhsa_exception_fp_denorm_src 0
		.amdhsa_exception_fp_ieee_div_zero 0
		.amdhsa_exception_fp_ieee_overflow 0
		.amdhsa_exception_fp_ieee_underflow 0
		.amdhsa_exception_fp_ieee_inexact 0
		.amdhsa_exception_int_div_zero 0
	.end_amdhsa_kernel
	.section	.text._ZN7rocprim17ROCPRIM_400000_NS6detail17trampoline_kernelINS0_14default_configENS1_36segmented_radix_sort_config_selectorIflEEZNS1_25segmented_radix_sort_implIS3_Lb1EPKfPfPKlPlN2at6native12_GLOBAL__N_18offset_tEEE10hipError_tPvRmT1_PNSt15iterator_traitsISK_E10value_typeET2_T3_PNSL_ISQ_E10value_typeET4_jRbjT5_SW_jjP12ihipStream_tbEUlT_E0_NS1_11comp_targetILNS1_3genE10ELNS1_11target_archE1201ELNS1_3gpuE5ELNS1_3repE0EEENS1_60segmented_radix_sort_warp_sort_medium_config_static_selectorELNS0_4arch9wavefront6targetE0EEEvSK_,"axG",@progbits,_ZN7rocprim17ROCPRIM_400000_NS6detail17trampoline_kernelINS0_14default_configENS1_36segmented_radix_sort_config_selectorIflEEZNS1_25segmented_radix_sort_implIS3_Lb1EPKfPfPKlPlN2at6native12_GLOBAL__N_18offset_tEEE10hipError_tPvRmT1_PNSt15iterator_traitsISK_E10value_typeET2_T3_PNSL_ISQ_E10value_typeET4_jRbjT5_SW_jjP12ihipStream_tbEUlT_E0_NS1_11comp_targetILNS1_3genE10ELNS1_11target_archE1201ELNS1_3gpuE5ELNS1_3repE0EEENS1_60segmented_radix_sort_warp_sort_medium_config_static_selectorELNS0_4arch9wavefront6targetE0EEEvSK_,comdat
.Lfunc_end1332:
	.size	_ZN7rocprim17ROCPRIM_400000_NS6detail17trampoline_kernelINS0_14default_configENS1_36segmented_radix_sort_config_selectorIflEEZNS1_25segmented_radix_sort_implIS3_Lb1EPKfPfPKlPlN2at6native12_GLOBAL__N_18offset_tEEE10hipError_tPvRmT1_PNSt15iterator_traitsISK_E10value_typeET2_T3_PNSL_ISQ_E10value_typeET4_jRbjT5_SW_jjP12ihipStream_tbEUlT_E0_NS1_11comp_targetILNS1_3genE10ELNS1_11target_archE1201ELNS1_3gpuE5ELNS1_3repE0EEENS1_60segmented_radix_sort_warp_sort_medium_config_static_selectorELNS0_4arch9wavefront6targetE0EEEvSK_, .Lfunc_end1332-_ZN7rocprim17ROCPRIM_400000_NS6detail17trampoline_kernelINS0_14default_configENS1_36segmented_radix_sort_config_selectorIflEEZNS1_25segmented_radix_sort_implIS3_Lb1EPKfPfPKlPlN2at6native12_GLOBAL__N_18offset_tEEE10hipError_tPvRmT1_PNSt15iterator_traitsISK_E10value_typeET2_T3_PNSL_ISQ_E10value_typeET4_jRbjT5_SW_jjP12ihipStream_tbEUlT_E0_NS1_11comp_targetILNS1_3genE10ELNS1_11target_archE1201ELNS1_3gpuE5ELNS1_3repE0EEENS1_60segmented_radix_sort_warp_sort_medium_config_static_selectorELNS0_4arch9wavefront6targetE0EEEvSK_
                                        ; -- End function
	.set _ZN7rocprim17ROCPRIM_400000_NS6detail17trampoline_kernelINS0_14default_configENS1_36segmented_radix_sort_config_selectorIflEEZNS1_25segmented_radix_sort_implIS3_Lb1EPKfPfPKlPlN2at6native12_GLOBAL__N_18offset_tEEE10hipError_tPvRmT1_PNSt15iterator_traitsISK_E10value_typeET2_T3_PNSL_ISQ_E10value_typeET4_jRbjT5_SW_jjP12ihipStream_tbEUlT_E0_NS1_11comp_targetILNS1_3genE10ELNS1_11target_archE1201ELNS1_3gpuE5ELNS1_3repE0EEENS1_60segmented_radix_sort_warp_sort_medium_config_static_selectorELNS0_4arch9wavefront6targetE0EEEvSK_.num_vgpr, 0
	.set _ZN7rocprim17ROCPRIM_400000_NS6detail17trampoline_kernelINS0_14default_configENS1_36segmented_radix_sort_config_selectorIflEEZNS1_25segmented_radix_sort_implIS3_Lb1EPKfPfPKlPlN2at6native12_GLOBAL__N_18offset_tEEE10hipError_tPvRmT1_PNSt15iterator_traitsISK_E10value_typeET2_T3_PNSL_ISQ_E10value_typeET4_jRbjT5_SW_jjP12ihipStream_tbEUlT_E0_NS1_11comp_targetILNS1_3genE10ELNS1_11target_archE1201ELNS1_3gpuE5ELNS1_3repE0EEENS1_60segmented_radix_sort_warp_sort_medium_config_static_selectorELNS0_4arch9wavefront6targetE0EEEvSK_.num_agpr, 0
	.set _ZN7rocprim17ROCPRIM_400000_NS6detail17trampoline_kernelINS0_14default_configENS1_36segmented_radix_sort_config_selectorIflEEZNS1_25segmented_radix_sort_implIS3_Lb1EPKfPfPKlPlN2at6native12_GLOBAL__N_18offset_tEEE10hipError_tPvRmT1_PNSt15iterator_traitsISK_E10value_typeET2_T3_PNSL_ISQ_E10value_typeET4_jRbjT5_SW_jjP12ihipStream_tbEUlT_E0_NS1_11comp_targetILNS1_3genE10ELNS1_11target_archE1201ELNS1_3gpuE5ELNS1_3repE0EEENS1_60segmented_radix_sort_warp_sort_medium_config_static_selectorELNS0_4arch9wavefront6targetE0EEEvSK_.numbered_sgpr, 0
	.set _ZN7rocprim17ROCPRIM_400000_NS6detail17trampoline_kernelINS0_14default_configENS1_36segmented_radix_sort_config_selectorIflEEZNS1_25segmented_radix_sort_implIS3_Lb1EPKfPfPKlPlN2at6native12_GLOBAL__N_18offset_tEEE10hipError_tPvRmT1_PNSt15iterator_traitsISK_E10value_typeET2_T3_PNSL_ISQ_E10value_typeET4_jRbjT5_SW_jjP12ihipStream_tbEUlT_E0_NS1_11comp_targetILNS1_3genE10ELNS1_11target_archE1201ELNS1_3gpuE5ELNS1_3repE0EEENS1_60segmented_radix_sort_warp_sort_medium_config_static_selectorELNS0_4arch9wavefront6targetE0EEEvSK_.num_named_barrier, 0
	.set _ZN7rocprim17ROCPRIM_400000_NS6detail17trampoline_kernelINS0_14default_configENS1_36segmented_radix_sort_config_selectorIflEEZNS1_25segmented_radix_sort_implIS3_Lb1EPKfPfPKlPlN2at6native12_GLOBAL__N_18offset_tEEE10hipError_tPvRmT1_PNSt15iterator_traitsISK_E10value_typeET2_T3_PNSL_ISQ_E10value_typeET4_jRbjT5_SW_jjP12ihipStream_tbEUlT_E0_NS1_11comp_targetILNS1_3genE10ELNS1_11target_archE1201ELNS1_3gpuE5ELNS1_3repE0EEENS1_60segmented_radix_sort_warp_sort_medium_config_static_selectorELNS0_4arch9wavefront6targetE0EEEvSK_.private_seg_size, 0
	.set _ZN7rocprim17ROCPRIM_400000_NS6detail17trampoline_kernelINS0_14default_configENS1_36segmented_radix_sort_config_selectorIflEEZNS1_25segmented_radix_sort_implIS3_Lb1EPKfPfPKlPlN2at6native12_GLOBAL__N_18offset_tEEE10hipError_tPvRmT1_PNSt15iterator_traitsISK_E10value_typeET2_T3_PNSL_ISQ_E10value_typeET4_jRbjT5_SW_jjP12ihipStream_tbEUlT_E0_NS1_11comp_targetILNS1_3genE10ELNS1_11target_archE1201ELNS1_3gpuE5ELNS1_3repE0EEENS1_60segmented_radix_sort_warp_sort_medium_config_static_selectorELNS0_4arch9wavefront6targetE0EEEvSK_.uses_vcc, 0
	.set _ZN7rocprim17ROCPRIM_400000_NS6detail17trampoline_kernelINS0_14default_configENS1_36segmented_radix_sort_config_selectorIflEEZNS1_25segmented_radix_sort_implIS3_Lb1EPKfPfPKlPlN2at6native12_GLOBAL__N_18offset_tEEE10hipError_tPvRmT1_PNSt15iterator_traitsISK_E10value_typeET2_T3_PNSL_ISQ_E10value_typeET4_jRbjT5_SW_jjP12ihipStream_tbEUlT_E0_NS1_11comp_targetILNS1_3genE10ELNS1_11target_archE1201ELNS1_3gpuE5ELNS1_3repE0EEENS1_60segmented_radix_sort_warp_sort_medium_config_static_selectorELNS0_4arch9wavefront6targetE0EEEvSK_.uses_flat_scratch, 0
	.set _ZN7rocprim17ROCPRIM_400000_NS6detail17trampoline_kernelINS0_14default_configENS1_36segmented_radix_sort_config_selectorIflEEZNS1_25segmented_radix_sort_implIS3_Lb1EPKfPfPKlPlN2at6native12_GLOBAL__N_18offset_tEEE10hipError_tPvRmT1_PNSt15iterator_traitsISK_E10value_typeET2_T3_PNSL_ISQ_E10value_typeET4_jRbjT5_SW_jjP12ihipStream_tbEUlT_E0_NS1_11comp_targetILNS1_3genE10ELNS1_11target_archE1201ELNS1_3gpuE5ELNS1_3repE0EEENS1_60segmented_radix_sort_warp_sort_medium_config_static_selectorELNS0_4arch9wavefront6targetE0EEEvSK_.has_dyn_sized_stack, 0
	.set _ZN7rocprim17ROCPRIM_400000_NS6detail17trampoline_kernelINS0_14default_configENS1_36segmented_radix_sort_config_selectorIflEEZNS1_25segmented_radix_sort_implIS3_Lb1EPKfPfPKlPlN2at6native12_GLOBAL__N_18offset_tEEE10hipError_tPvRmT1_PNSt15iterator_traitsISK_E10value_typeET2_T3_PNSL_ISQ_E10value_typeET4_jRbjT5_SW_jjP12ihipStream_tbEUlT_E0_NS1_11comp_targetILNS1_3genE10ELNS1_11target_archE1201ELNS1_3gpuE5ELNS1_3repE0EEENS1_60segmented_radix_sort_warp_sort_medium_config_static_selectorELNS0_4arch9wavefront6targetE0EEEvSK_.has_recursion, 0
	.set _ZN7rocprim17ROCPRIM_400000_NS6detail17trampoline_kernelINS0_14default_configENS1_36segmented_radix_sort_config_selectorIflEEZNS1_25segmented_radix_sort_implIS3_Lb1EPKfPfPKlPlN2at6native12_GLOBAL__N_18offset_tEEE10hipError_tPvRmT1_PNSt15iterator_traitsISK_E10value_typeET2_T3_PNSL_ISQ_E10value_typeET4_jRbjT5_SW_jjP12ihipStream_tbEUlT_E0_NS1_11comp_targetILNS1_3genE10ELNS1_11target_archE1201ELNS1_3gpuE5ELNS1_3repE0EEENS1_60segmented_radix_sort_warp_sort_medium_config_static_selectorELNS0_4arch9wavefront6targetE0EEEvSK_.has_indirect_call, 0
	.section	.AMDGPU.csdata,"",@progbits
; Kernel info:
; codeLenInByte = 0
; TotalNumSgprs: 0
; NumVgprs: 0
; ScratchSize: 0
; MemoryBound: 0
; FloatMode: 240
; IeeeMode: 1
; LDSByteSize: 0 bytes/workgroup (compile time only)
; SGPRBlocks: 0
; VGPRBlocks: 0
; NumSGPRsForWavesPerEU: 1
; NumVGPRsForWavesPerEU: 1
; Occupancy: 16
; WaveLimiterHint : 0
; COMPUTE_PGM_RSRC2:SCRATCH_EN: 0
; COMPUTE_PGM_RSRC2:USER_SGPR: 6
; COMPUTE_PGM_RSRC2:TRAP_HANDLER: 0
; COMPUTE_PGM_RSRC2:TGID_X_EN: 1
; COMPUTE_PGM_RSRC2:TGID_Y_EN: 0
; COMPUTE_PGM_RSRC2:TGID_Z_EN: 0
; COMPUTE_PGM_RSRC2:TIDIG_COMP_CNT: 0
	.section	.text._ZN7rocprim17ROCPRIM_400000_NS6detail17trampoline_kernelINS0_14default_configENS1_36segmented_radix_sort_config_selectorIflEEZNS1_25segmented_radix_sort_implIS3_Lb1EPKfPfPKlPlN2at6native12_GLOBAL__N_18offset_tEEE10hipError_tPvRmT1_PNSt15iterator_traitsISK_E10value_typeET2_T3_PNSL_ISQ_E10value_typeET4_jRbjT5_SW_jjP12ihipStream_tbEUlT_E0_NS1_11comp_targetILNS1_3genE10ELNS1_11target_archE1200ELNS1_3gpuE4ELNS1_3repE0EEENS1_60segmented_radix_sort_warp_sort_medium_config_static_selectorELNS0_4arch9wavefront6targetE0EEEvSK_,"axG",@progbits,_ZN7rocprim17ROCPRIM_400000_NS6detail17trampoline_kernelINS0_14default_configENS1_36segmented_radix_sort_config_selectorIflEEZNS1_25segmented_radix_sort_implIS3_Lb1EPKfPfPKlPlN2at6native12_GLOBAL__N_18offset_tEEE10hipError_tPvRmT1_PNSt15iterator_traitsISK_E10value_typeET2_T3_PNSL_ISQ_E10value_typeET4_jRbjT5_SW_jjP12ihipStream_tbEUlT_E0_NS1_11comp_targetILNS1_3genE10ELNS1_11target_archE1200ELNS1_3gpuE4ELNS1_3repE0EEENS1_60segmented_radix_sort_warp_sort_medium_config_static_selectorELNS0_4arch9wavefront6targetE0EEEvSK_,comdat
	.globl	_ZN7rocprim17ROCPRIM_400000_NS6detail17trampoline_kernelINS0_14default_configENS1_36segmented_radix_sort_config_selectorIflEEZNS1_25segmented_radix_sort_implIS3_Lb1EPKfPfPKlPlN2at6native12_GLOBAL__N_18offset_tEEE10hipError_tPvRmT1_PNSt15iterator_traitsISK_E10value_typeET2_T3_PNSL_ISQ_E10value_typeET4_jRbjT5_SW_jjP12ihipStream_tbEUlT_E0_NS1_11comp_targetILNS1_3genE10ELNS1_11target_archE1200ELNS1_3gpuE4ELNS1_3repE0EEENS1_60segmented_radix_sort_warp_sort_medium_config_static_selectorELNS0_4arch9wavefront6targetE0EEEvSK_ ; -- Begin function _ZN7rocprim17ROCPRIM_400000_NS6detail17trampoline_kernelINS0_14default_configENS1_36segmented_radix_sort_config_selectorIflEEZNS1_25segmented_radix_sort_implIS3_Lb1EPKfPfPKlPlN2at6native12_GLOBAL__N_18offset_tEEE10hipError_tPvRmT1_PNSt15iterator_traitsISK_E10value_typeET2_T3_PNSL_ISQ_E10value_typeET4_jRbjT5_SW_jjP12ihipStream_tbEUlT_E0_NS1_11comp_targetILNS1_3genE10ELNS1_11target_archE1200ELNS1_3gpuE4ELNS1_3repE0EEENS1_60segmented_radix_sort_warp_sort_medium_config_static_selectorELNS0_4arch9wavefront6targetE0EEEvSK_
	.p2align	8
	.type	_ZN7rocprim17ROCPRIM_400000_NS6detail17trampoline_kernelINS0_14default_configENS1_36segmented_radix_sort_config_selectorIflEEZNS1_25segmented_radix_sort_implIS3_Lb1EPKfPfPKlPlN2at6native12_GLOBAL__N_18offset_tEEE10hipError_tPvRmT1_PNSt15iterator_traitsISK_E10value_typeET2_T3_PNSL_ISQ_E10value_typeET4_jRbjT5_SW_jjP12ihipStream_tbEUlT_E0_NS1_11comp_targetILNS1_3genE10ELNS1_11target_archE1200ELNS1_3gpuE4ELNS1_3repE0EEENS1_60segmented_radix_sort_warp_sort_medium_config_static_selectorELNS0_4arch9wavefront6targetE0EEEvSK_,@function
_ZN7rocprim17ROCPRIM_400000_NS6detail17trampoline_kernelINS0_14default_configENS1_36segmented_radix_sort_config_selectorIflEEZNS1_25segmented_radix_sort_implIS3_Lb1EPKfPfPKlPlN2at6native12_GLOBAL__N_18offset_tEEE10hipError_tPvRmT1_PNSt15iterator_traitsISK_E10value_typeET2_T3_PNSL_ISQ_E10value_typeET4_jRbjT5_SW_jjP12ihipStream_tbEUlT_E0_NS1_11comp_targetILNS1_3genE10ELNS1_11target_archE1200ELNS1_3gpuE4ELNS1_3repE0EEENS1_60segmented_radix_sort_warp_sort_medium_config_static_selectorELNS0_4arch9wavefront6targetE0EEEvSK_: ; @_ZN7rocprim17ROCPRIM_400000_NS6detail17trampoline_kernelINS0_14default_configENS1_36segmented_radix_sort_config_selectorIflEEZNS1_25segmented_radix_sort_implIS3_Lb1EPKfPfPKlPlN2at6native12_GLOBAL__N_18offset_tEEE10hipError_tPvRmT1_PNSt15iterator_traitsISK_E10value_typeET2_T3_PNSL_ISQ_E10value_typeET4_jRbjT5_SW_jjP12ihipStream_tbEUlT_E0_NS1_11comp_targetILNS1_3genE10ELNS1_11target_archE1200ELNS1_3gpuE4ELNS1_3repE0EEENS1_60segmented_radix_sort_warp_sort_medium_config_static_selectorELNS0_4arch9wavefront6targetE0EEEvSK_
; %bb.0:
	.section	.rodata,"a",@progbits
	.p2align	6, 0x0
	.amdhsa_kernel _ZN7rocprim17ROCPRIM_400000_NS6detail17trampoline_kernelINS0_14default_configENS1_36segmented_radix_sort_config_selectorIflEEZNS1_25segmented_radix_sort_implIS3_Lb1EPKfPfPKlPlN2at6native12_GLOBAL__N_18offset_tEEE10hipError_tPvRmT1_PNSt15iterator_traitsISK_E10value_typeET2_T3_PNSL_ISQ_E10value_typeET4_jRbjT5_SW_jjP12ihipStream_tbEUlT_E0_NS1_11comp_targetILNS1_3genE10ELNS1_11target_archE1200ELNS1_3gpuE4ELNS1_3repE0EEENS1_60segmented_radix_sort_warp_sort_medium_config_static_selectorELNS0_4arch9wavefront6targetE0EEEvSK_
		.amdhsa_group_segment_fixed_size 0
		.amdhsa_private_segment_fixed_size 0
		.amdhsa_kernarg_size 88
		.amdhsa_user_sgpr_count 6
		.amdhsa_user_sgpr_private_segment_buffer 1
		.amdhsa_user_sgpr_dispatch_ptr 0
		.amdhsa_user_sgpr_queue_ptr 0
		.amdhsa_user_sgpr_kernarg_segment_ptr 1
		.amdhsa_user_sgpr_dispatch_id 0
		.amdhsa_user_sgpr_flat_scratch_init 0
		.amdhsa_user_sgpr_private_segment_size 0
		.amdhsa_wavefront_size32 1
		.amdhsa_uses_dynamic_stack 0
		.amdhsa_system_sgpr_private_segment_wavefront_offset 0
		.amdhsa_system_sgpr_workgroup_id_x 1
		.amdhsa_system_sgpr_workgroup_id_y 0
		.amdhsa_system_sgpr_workgroup_id_z 0
		.amdhsa_system_sgpr_workgroup_info 0
		.amdhsa_system_vgpr_workitem_id 0
		.amdhsa_next_free_vgpr 1
		.amdhsa_next_free_sgpr 1
		.amdhsa_reserve_vcc 0
		.amdhsa_reserve_flat_scratch 0
		.amdhsa_float_round_mode_32 0
		.amdhsa_float_round_mode_16_64 0
		.amdhsa_float_denorm_mode_32 3
		.amdhsa_float_denorm_mode_16_64 3
		.amdhsa_dx10_clamp 1
		.amdhsa_ieee_mode 1
		.amdhsa_fp16_overflow 0
		.amdhsa_workgroup_processor_mode 1
		.amdhsa_memory_ordered 1
		.amdhsa_forward_progress 1
		.amdhsa_shared_vgpr_count 0
		.amdhsa_exception_fp_ieee_invalid_op 0
		.amdhsa_exception_fp_denorm_src 0
		.amdhsa_exception_fp_ieee_div_zero 0
		.amdhsa_exception_fp_ieee_overflow 0
		.amdhsa_exception_fp_ieee_underflow 0
		.amdhsa_exception_fp_ieee_inexact 0
		.amdhsa_exception_int_div_zero 0
	.end_amdhsa_kernel
	.section	.text._ZN7rocprim17ROCPRIM_400000_NS6detail17trampoline_kernelINS0_14default_configENS1_36segmented_radix_sort_config_selectorIflEEZNS1_25segmented_radix_sort_implIS3_Lb1EPKfPfPKlPlN2at6native12_GLOBAL__N_18offset_tEEE10hipError_tPvRmT1_PNSt15iterator_traitsISK_E10value_typeET2_T3_PNSL_ISQ_E10value_typeET4_jRbjT5_SW_jjP12ihipStream_tbEUlT_E0_NS1_11comp_targetILNS1_3genE10ELNS1_11target_archE1200ELNS1_3gpuE4ELNS1_3repE0EEENS1_60segmented_radix_sort_warp_sort_medium_config_static_selectorELNS0_4arch9wavefront6targetE0EEEvSK_,"axG",@progbits,_ZN7rocprim17ROCPRIM_400000_NS6detail17trampoline_kernelINS0_14default_configENS1_36segmented_radix_sort_config_selectorIflEEZNS1_25segmented_radix_sort_implIS3_Lb1EPKfPfPKlPlN2at6native12_GLOBAL__N_18offset_tEEE10hipError_tPvRmT1_PNSt15iterator_traitsISK_E10value_typeET2_T3_PNSL_ISQ_E10value_typeET4_jRbjT5_SW_jjP12ihipStream_tbEUlT_E0_NS1_11comp_targetILNS1_3genE10ELNS1_11target_archE1200ELNS1_3gpuE4ELNS1_3repE0EEENS1_60segmented_radix_sort_warp_sort_medium_config_static_selectorELNS0_4arch9wavefront6targetE0EEEvSK_,comdat
.Lfunc_end1333:
	.size	_ZN7rocprim17ROCPRIM_400000_NS6detail17trampoline_kernelINS0_14default_configENS1_36segmented_radix_sort_config_selectorIflEEZNS1_25segmented_radix_sort_implIS3_Lb1EPKfPfPKlPlN2at6native12_GLOBAL__N_18offset_tEEE10hipError_tPvRmT1_PNSt15iterator_traitsISK_E10value_typeET2_T3_PNSL_ISQ_E10value_typeET4_jRbjT5_SW_jjP12ihipStream_tbEUlT_E0_NS1_11comp_targetILNS1_3genE10ELNS1_11target_archE1200ELNS1_3gpuE4ELNS1_3repE0EEENS1_60segmented_radix_sort_warp_sort_medium_config_static_selectorELNS0_4arch9wavefront6targetE0EEEvSK_, .Lfunc_end1333-_ZN7rocprim17ROCPRIM_400000_NS6detail17trampoline_kernelINS0_14default_configENS1_36segmented_radix_sort_config_selectorIflEEZNS1_25segmented_radix_sort_implIS3_Lb1EPKfPfPKlPlN2at6native12_GLOBAL__N_18offset_tEEE10hipError_tPvRmT1_PNSt15iterator_traitsISK_E10value_typeET2_T3_PNSL_ISQ_E10value_typeET4_jRbjT5_SW_jjP12ihipStream_tbEUlT_E0_NS1_11comp_targetILNS1_3genE10ELNS1_11target_archE1200ELNS1_3gpuE4ELNS1_3repE0EEENS1_60segmented_radix_sort_warp_sort_medium_config_static_selectorELNS0_4arch9wavefront6targetE0EEEvSK_
                                        ; -- End function
	.set _ZN7rocprim17ROCPRIM_400000_NS6detail17trampoline_kernelINS0_14default_configENS1_36segmented_radix_sort_config_selectorIflEEZNS1_25segmented_radix_sort_implIS3_Lb1EPKfPfPKlPlN2at6native12_GLOBAL__N_18offset_tEEE10hipError_tPvRmT1_PNSt15iterator_traitsISK_E10value_typeET2_T3_PNSL_ISQ_E10value_typeET4_jRbjT5_SW_jjP12ihipStream_tbEUlT_E0_NS1_11comp_targetILNS1_3genE10ELNS1_11target_archE1200ELNS1_3gpuE4ELNS1_3repE0EEENS1_60segmented_radix_sort_warp_sort_medium_config_static_selectorELNS0_4arch9wavefront6targetE0EEEvSK_.num_vgpr, 0
	.set _ZN7rocprim17ROCPRIM_400000_NS6detail17trampoline_kernelINS0_14default_configENS1_36segmented_radix_sort_config_selectorIflEEZNS1_25segmented_radix_sort_implIS3_Lb1EPKfPfPKlPlN2at6native12_GLOBAL__N_18offset_tEEE10hipError_tPvRmT1_PNSt15iterator_traitsISK_E10value_typeET2_T3_PNSL_ISQ_E10value_typeET4_jRbjT5_SW_jjP12ihipStream_tbEUlT_E0_NS1_11comp_targetILNS1_3genE10ELNS1_11target_archE1200ELNS1_3gpuE4ELNS1_3repE0EEENS1_60segmented_radix_sort_warp_sort_medium_config_static_selectorELNS0_4arch9wavefront6targetE0EEEvSK_.num_agpr, 0
	.set _ZN7rocprim17ROCPRIM_400000_NS6detail17trampoline_kernelINS0_14default_configENS1_36segmented_radix_sort_config_selectorIflEEZNS1_25segmented_radix_sort_implIS3_Lb1EPKfPfPKlPlN2at6native12_GLOBAL__N_18offset_tEEE10hipError_tPvRmT1_PNSt15iterator_traitsISK_E10value_typeET2_T3_PNSL_ISQ_E10value_typeET4_jRbjT5_SW_jjP12ihipStream_tbEUlT_E0_NS1_11comp_targetILNS1_3genE10ELNS1_11target_archE1200ELNS1_3gpuE4ELNS1_3repE0EEENS1_60segmented_radix_sort_warp_sort_medium_config_static_selectorELNS0_4arch9wavefront6targetE0EEEvSK_.numbered_sgpr, 0
	.set _ZN7rocprim17ROCPRIM_400000_NS6detail17trampoline_kernelINS0_14default_configENS1_36segmented_radix_sort_config_selectorIflEEZNS1_25segmented_radix_sort_implIS3_Lb1EPKfPfPKlPlN2at6native12_GLOBAL__N_18offset_tEEE10hipError_tPvRmT1_PNSt15iterator_traitsISK_E10value_typeET2_T3_PNSL_ISQ_E10value_typeET4_jRbjT5_SW_jjP12ihipStream_tbEUlT_E0_NS1_11comp_targetILNS1_3genE10ELNS1_11target_archE1200ELNS1_3gpuE4ELNS1_3repE0EEENS1_60segmented_radix_sort_warp_sort_medium_config_static_selectorELNS0_4arch9wavefront6targetE0EEEvSK_.num_named_barrier, 0
	.set _ZN7rocprim17ROCPRIM_400000_NS6detail17trampoline_kernelINS0_14default_configENS1_36segmented_radix_sort_config_selectorIflEEZNS1_25segmented_radix_sort_implIS3_Lb1EPKfPfPKlPlN2at6native12_GLOBAL__N_18offset_tEEE10hipError_tPvRmT1_PNSt15iterator_traitsISK_E10value_typeET2_T3_PNSL_ISQ_E10value_typeET4_jRbjT5_SW_jjP12ihipStream_tbEUlT_E0_NS1_11comp_targetILNS1_3genE10ELNS1_11target_archE1200ELNS1_3gpuE4ELNS1_3repE0EEENS1_60segmented_radix_sort_warp_sort_medium_config_static_selectorELNS0_4arch9wavefront6targetE0EEEvSK_.private_seg_size, 0
	.set _ZN7rocprim17ROCPRIM_400000_NS6detail17trampoline_kernelINS0_14default_configENS1_36segmented_radix_sort_config_selectorIflEEZNS1_25segmented_radix_sort_implIS3_Lb1EPKfPfPKlPlN2at6native12_GLOBAL__N_18offset_tEEE10hipError_tPvRmT1_PNSt15iterator_traitsISK_E10value_typeET2_T3_PNSL_ISQ_E10value_typeET4_jRbjT5_SW_jjP12ihipStream_tbEUlT_E0_NS1_11comp_targetILNS1_3genE10ELNS1_11target_archE1200ELNS1_3gpuE4ELNS1_3repE0EEENS1_60segmented_radix_sort_warp_sort_medium_config_static_selectorELNS0_4arch9wavefront6targetE0EEEvSK_.uses_vcc, 0
	.set _ZN7rocprim17ROCPRIM_400000_NS6detail17trampoline_kernelINS0_14default_configENS1_36segmented_radix_sort_config_selectorIflEEZNS1_25segmented_radix_sort_implIS3_Lb1EPKfPfPKlPlN2at6native12_GLOBAL__N_18offset_tEEE10hipError_tPvRmT1_PNSt15iterator_traitsISK_E10value_typeET2_T3_PNSL_ISQ_E10value_typeET4_jRbjT5_SW_jjP12ihipStream_tbEUlT_E0_NS1_11comp_targetILNS1_3genE10ELNS1_11target_archE1200ELNS1_3gpuE4ELNS1_3repE0EEENS1_60segmented_radix_sort_warp_sort_medium_config_static_selectorELNS0_4arch9wavefront6targetE0EEEvSK_.uses_flat_scratch, 0
	.set _ZN7rocprim17ROCPRIM_400000_NS6detail17trampoline_kernelINS0_14default_configENS1_36segmented_radix_sort_config_selectorIflEEZNS1_25segmented_radix_sort_implIS3_Lb1EPKfPfPKlPlN2at6native12_GLOBAL__N_18offset_tEEE10hipError_tPvRmT1_PNSt15iterator_traitsISK_E10value_typeET2_T3_PNSL_ISQ_E10value_typeET4_jRbjT5_SW_jjP12ihipStream_tbEUlT_E0_NS1_11comp_targetILNS1_3genE10ELNS1_11target_archE1200ELNS1_3gpuE4ELNS1_3repE0EEENS1_60segmented_radix_sort_warp_sort_medium_config_static_selectorELNS0_4arch9wavefront6targetE0EEEvSK_.has_dyn_sized_stack, 0
	.set _ZN7rocprim17ROCPRIM_400000_NS6detail17trampoline_kernelINS0_14default_configENS1_36segmented_radix_sort_config_selectorIflEEZNS1_25segmented_radix_sort_implIS3_Lb1EPKfPfPKlPlN2at6native12_GLOBAL__N_18offset_tEEE10hipError_tPvRmT1_PNSt15iterator_traitsISK_E10value_typeET2_T3_PNSL_ISQ_E10value_typeET4_jRbjT5_SW_jjP12ihipStream_tbEUlT_E0_NS1_11comp_targetILNS1_3genE10ELNS1_11target_archE1200ELNS1_3gpuE4ELNS1_3repE0EEENS1_60segmented_radix_sort_warp_sort_medium_config_static_selectorELNS0_4arch9wavefront6targetE0EEEvSK_.has_recursion, 0
	.set _ZN7rocprim17ROCPRIM_400000_NS6detail17trampoline_kernelINS0_14default_configENS1_36segmented_radix_sort_config_selectorIflEEZNS1_25segmented_radix_sort_implIS3_Lb1EPKfPfPKlPlN2at6native12_GLOBAL__N_18offset_tEEE10hipError_tPvRmT1_PNSt15iterator_traitsISK_E10value_typeET2_T3_PNSL_ISQ_E10value_typeET4_jRbjT5_SW_jjP12ihipStream_tbEUlT_E0_NS1_11comp_targetILNS1_3genE10ELNS1_11target_archE1200ELNS1_3gpuE4ELNS1_3repE0EEENS1_60segmented_radix_sort_warp_sort_medium_config_static_selectorELNS0_4arch9wavefront6targetE0EEEvSK_.has_indirect_call, 0
	.section	.AMDGPU.csdata,"",@progbits
; Kernel info:
; codeLenInByte = 0
; TotalNumSgprs: 0
; NumVgprs: 0
; ScratchSize: 0
; MemoryBound: 0
; FloatMode: 240
; IeeeMode: 1
; LDSByteSize: 0 bytes/workgroup (compile time only)
; SGPRBlocks: 0
; VGPRBlocks: 0
; NumSGPRsForWavesPerEU: 1
; NumVGPRsForWavesPerEU: 1
; Occupancy: 16
; WaveLimiterHint : 0
; COMPUTE_PGM_RSRC2:SCRATCH_EN: 0
; COMPUTE_PGM_RSRC2:USER_SGPR: 6
; COMPUTE_PGM_RSRC2:TRAP_HANDLER: 0
; COMPUTE_PGM_RSRC2:TGID_X_EN: 1
; COMPUTE_PGM_RSRC2:TGID_Y_EN: 0
; COMPUTE_PGM_RSRC2:TGID_Z_EN: 0
; COMPUTE_PGM_RSRC2:TIDIG_COMP_CNT: 0
	.section	.text._ZN7rocprim17ROCPRIM_400000_NS6detail17trampoline_kernelINS0_14default_configENS1_36segmented_radix_sort_config_selectorIflEEZNS1_25segmented_radix_sort_implIS3_Lb1EPKfPfPKlPlN2at6native12_GLOBAL__N_18offset_tEEE10hipError_tPvRmT1_PNSt15iterator_traitsISK_E10value_typeET2_T3_PNSL_ISQ_E10value_typeET4_jRbjT5_SW_jjP12ihipStream_tbEUlT_E0_NS1_11comp_targetILNS1_3genE9ELNS1_11target_archE1100ELNS1_3gpuE3ELNS1_3repE0EEENS1_60segmented_radix_sort_warp_sort_medium_config_static_selectorELNS0_4arch9wavefront6targetE0EEEvSK_,"axG",@progbits,_ZN7rocprim17ROCPRIM_400000_NS6detail17trampoline_kernelINS0_14default_configENS1_36segmented_radix_sort_config_selectorIflEEZNS1_25segmented_radix_sort_implIS3_Lb1EPKfPfPKlPlN2at6native12_GLOBAL__N_18offset_tEEE10hipError_tPvRmT1_PNSt15iterator_traitsISK_E10value_typeET2_T3_PNSL_ISQ_E10value_typeET4_jRbjT5_SW_jjP12ihipStream_tbEUlT_E0_NS1_11comp_targetILNS1_3genE9ELNS1_11target_archE1100ELNS1_3gpuE3ELNS1_3repE0EEENS1_60segmented_radix_sort_warp_sort_medium_config_static_selectorELNS0_4arch9wavefront6targetE0EEEvSK_,comdat
	.globl	_ZN7rocprim17ROCPRIM_400000_NS6detail17trampoline_kernelINS0_14default_configENS1_36segmented_radix_sort_config_selectorIflEEZNS1_25segmented_radix_sort_implIS3_Lb1EPKfPfPKlPlN2at6native12_GLOBAL__N_18offset_tEEE10hipError_tPvRmT1_PNSt15iterator_traitsISK_E10value_typeET2_T3_PNSL_ISQ_E10value_typeET4_jRbjT5_SW_jjP12ihipStream_tbEUlT_E0_NS1_11comp_targetILNS1_3genE9ELNS1_11target_archE1100ELNS1_3gpuE3ELNS1_3repE0EEENS1_60segmented_radix_sort_warp_sort_medium_config_static_selectorELNS0_4arch9wavefront6targetE0EEEvSK_ ; -- Begin function _ZN7rocprim17ROCPRIM_400000_NS6detail17trampoline_kernelINS0_14default_configENS1_36segmented_radix_sort_config_selectorIflEEZNS1_25segmented_radix_sort_implIS3_Lb1EPKfPfPKlPlN2at6native12_GLOBAL__N_18offset_tEEE10hipError_tPvRmT1_PNSt15iterator_traitsISK_E10value_typeET2_T3_PNSL_ISQ_E10value_typeET4_jRbjT5_SW_jjP12ihipStream_tbEUlT_E0_NS1_11comp_targetILNS1_3genE9ELNS1_11target_archE1100ELNS1_3gpuE3ELNS1_3repE0EEENS1_60segmented_radix_sort_warp_sort_medium_config_static_selectorELNS0_4arch9wavefront6targetE0EEEvSK_
	.p2align	8
	.type	_ZN7rocprim17ROCPRIM_400000_NS6detail17trampoline_kernelINS0_14default_configENS1_36segmented_radix_sort_config_selectorIflEEZNS1_25segmented_radix_sort_implIS3_Lb1EPKfPfPKlPlN2at6native12_GLOBAL__N_18offset_tEEE10hipError_tPvRmT1_PNSt15iterator_traitsISK_E10value_typeET2_T3_PNSL_ISQ_E10value_typeET4_jRbjT5_SW_jjP12ihipStream_tbEUlT_E0_NS1_11comp_targetILNS1_3genE9ELNS1_11target_archE1100ELNS1_3gpuE3ELNS1_3repE0EEENS1_60segmented_radix_sort_warp_sort_medium_config_static_selectorELNS0_4arch9wavefront6targetE0EEEvSK_,@function
_ZN7rocprim17ROCPRIM_400000_NS6detail17trampoline_kernelINS0_14default_configENS1_36segmented_radix_sort_config_selectorIflEEZNS1_25segmented_radix_sort_implIS3_Lb1EPKfPfPKlPlN2at6native12_GLOBAL__N_18offset_tEEE10hipError_tPvRmT1_PNSt15iterator_traitsISK_E10value_typeET2_T3_PNSL_ISQ_E10value_typeET4_jRbjT5_SW_jjP12ihipStream_tbEUlT_E0_NS1_11comp_targetILNS1_3genE9ELNS1_11target_archE1100ELNS1_3gpuE3ELNS1_3repE0EEENS1_60segmented_radix_sort_warp_sort_medium_config_static_selectorELNS0_4arch9wavefront6targetE0EEEvSK_: ; @_ZN7rocprim17ROCPRIM_400000_NS6detail17trampoline_kernelINS0_14default_configENS1_36segmented_radix_sort_config_selectorIflEEZNS1_25segmented_radix_sort_implIS3_Lb1EPKfPfPKlPlN2at6native12_GLOBAL__N_18offset_tEEE10hipError_tPvRmT1_PNSt15iterator_traitsISK_E10value_typeET2_T3_PNSL_ISQ_E10value_typeET4_jRbjT5_SW_jjP12ihipStream_tbEUlT_E0_NS1_11comp_targetILNS1_3genE9ELNS1_11target_archE1100ELNS1_3gpuE3ELNS1_3repE0EEENS1_60segmented_radix_sort_warp_sort_medium_config_static_selectorELNS0_4arch9wavefront6targetE0EEEvSK_
; %bb.0:
	.section	.rodata,"a",@progbits
	.p2align	6, 0x0
	.amdhsa_kernel _ZN7rocprim17ROCPRIM_400000_NS6detail17trampoline_kernelINS0_14default_configENS1_36segmented_radix_sort_config_selectorIflEEZNS1_25segmented_radix_sort_implIS3_Lb1EPKfPfPKlPlN2at6native12_GLOBAL__N_18offset_tEEE10hipError_tPvRmT1_PNSt15iterator_traitsISK_E10value_typeET2_T3_PNSL_ISQ_E10value_typeET4_jRbjT5_SW_jjP12ihipStream_tbEUlT_E0_NS1_11comp_targetILNS1_3genE9ELNS1_11target_archE1100ELNS1_3gpuE3ELNS1_3repE0EEENS1_60segmented_radix_sort_warp_sort_medium_config_static_selectorELNS0_4arch9wavefront6targetE0EEEvSK_
		.amdhsa_group_segment_fixed_size 0
		.amdhsa_private_segment_fixed_size 0
		.amdhsa_kernarg_size 88
		.amdhsa_user_sgpr_count 6
		.amdhsa_user_sgpr_private_segment_buffer 1
		.amdhsa_user_sgpr_dispatch_ptr 0
		.amdhsa_user_sgpr_queue_ptr 0
		.amdhsa_user_sgpr_kernarg_segment_ptr 1
		.amdhsa_user_sgpr_dispatch_id 0
		.amdhsa_user_sgpr_flat_scratch_init 0
		.amdhsa_user_sgpr_private_segment_size 0
		.amdhsa_wavefront_size32 1
		.amdhsa_uses_dynamic_stack 0
		.amdhsa_system_sgpr_private_segment_wavefront_offset 0
		.amdhsa_system_sgpr_workgroup_id_x 1
		.amdhsa_system_sgpr_workgroup_id_y 0
		.amdhsa_system_sgpr_workgroup_id_z 0
		.amdhsa_system_sgpr_workgroup_info 0
		.amdhsa_system_vgpr_workitem_id 0
		.amdhsa_next_free_vgpr 1
		.amdhsa_next_free_sgpr 1
		.amdhsa_reserve_vcc 0
		.amdhsa_reserve_flat_scratch 0
		.amdhsa_float_round_mode_32 0
		.amdhsa_float_round_mode_16_64 0
		.amdhsa_float_denorm_mode_32 3
		.amdhsa_float_denorm_mode_16_64 3
		.amdhsa_dx10_clamp 1
		.amdhsa_ieee_mode 1
		.amdhsa_fp16_overflow 0
		.amdhsa_workgroup_processor_mode 1
		.amdhsa_memory_ordered 1
		.amdhsa_forward_progress 1
		.amdhsa_shared_vgpr_count 0
		.amdhsa_exception_fp_ieee_invalid_op 0
		.amdhsa_exception_fp_denorm_src 0
		.amdhsa_exception_fp_ieee_div_zero 0
		.amdhsa_exception_fp_ieee_overflow 0
		.amdhsa_exception_fp_ieee_underflow 0
		.amdhsa_exception_fp_ieee_inexact 0
		.amdhsa_exception_int_div_zero 0
	.end_amdhsa_kernel
	.section	.text._ZN7rocprim17ROCPRIM_400000_NS6detail17trampoline_kernelINS0_14default_configENS1_36segmented_radix_sort_config_selectorIflEEZNS1_25segmented_radix_sort_implIS3_Lb1EPKfPfPKlPlN2at6native12_GLOBAL__N_18offset_tEEE10hipError_tPvRmT1_PNSt15iterator_traitsISK_E10value_typeET2_T3_PNSL_ISQ_E10value_typeET4_jRbjT5_SW_jjP12ihipStream_tbEUlT_E0_NS1_11comp_targetILNS1_3genE9ELNS1_11target_archE1100ELNS1_3gpuE3ELNS1_3repE0EEENS1_60segmented_radix_sort_warp_sort_medium_config_static_selectorELNS0_4arch9wavefront6targetE0EEEvSK_,"axG",@progbits,_ZN7rocprim17ROCPRIM_400000_NS6detail17trampoline_kernelINS0_14default_configENS1_36segmented_radix_sort_config_selectorIflEEZNS1_25segmented_radix_sort_implIS3_Lb1EPKfPfPKlPlN2at6native12_GLOBAL__N_18offset_tEEE10hipError_tPvRmT1_PNSt15iterator_traitsISK_E10value_typeET2_T3_PNSL_ISQ_E10value_typeET4_jRbjT5_SW_jjP12ihipStream_tbEUlT_E0_NS1_11comp_targetILNS1_3genE9ELNS1_11target_archE1100ELNS1_3gpuE3ELNS1_3repE0EEENS1_60segmented_radix_sort_warp_sort_medium_config_static_selectorELNS0_4arch9wavefront6targetE0EEEvSK_,comdat
.Lfunc_end1334:
	.size	_ZN7rocprim17ROCPRIM_400000_NS6detail17trampoline_kernelINS0_14default_configENS1_36segmented_radix_sort_config_selectorIflEEZNS1_25segmented_radix_sort_implIS3_Lb1EPKfPfPKlPlN2at6native12_GLOBAL__N_18offset_tEEE10hipError_tPvRmT1_PNSt15iterator_traitsISK_E10value_typeET2_T3_PNSL_ISQ_E10value_typeET4_jRbjT5_SW_jjP12ihipStream_tbEUlT_E0_NS1_11comp_targetILNS1_3genE9ELNS1_11target_archE1100ELNS1_3gpuE3ELNS1_3repE0EEENS1_60segmented_radix_sort_warp_sort_medium_config_static_selectorELNS0_4arch9wavefront6targetE0EEEvSK_, .Lfunc_end1334-_ZN7rocprim17ROCPRIM_400000_NS6detail17trampoline_kernelINS0_14default_configENS1_36segmented_radix_sort_config_selectorIflEEZNS1_25segmented_radix_sort_implIS3_Lb1EPKfPfPKlPlN2at6native12_GLOBAL__N_18offset_tEEE10hipError_tPvRmT1_PNSt15iterator_traitsISK_E10value_typeET2_T3_PNSL_ISQ_E10value_typeET4_jRbjT5_SW_jjP12ihipStream_tbEUlT_E0_NS1_11comp_targetILNS1_3genE9ELNS1_11target_archE1100ELNS1_3gpuE3ELNS1_3repE0EEENS1_60segmented_radix_sort_warp_sort_medium_config_static_selectorELNS0_4arch9wavefront6targetE0EEEvSK_
                                        ; -- End function
	.set _ZN7rocprim17ROCPRIM_400000_NS6detail17trampoline_kernelINS0_14default_configENS1_36segmented_radix_sort_config_selectorIflEEZNS1_25segmented_radix_sort_implIS3_Lb1EPKfPfPKlPlN2at6native12_GLOBAL__N_18offset_tEEE10hipError_tPvRmT1_PNSt15iterator_traitsISK_E10value_typeET2_T3_PNSL_ISQ_E10value_typeET4_jRbjT5_SW_jjP12ihipStream_tbEUlT_E0_NS1_11comp_targetILNS1_3genE9ELNS1_11target_archE1100ELNS1_3gpuE3ELNS1_3repE0EEENS1_60segmented_radix_sort_warp_sort_medium_config_static_selectorELNS0_4arch9wavefront6targetE0EEEvSK_.num_vgpr, 0
	.set _ZN7rocprim17ROCPRIM_400000_NS6detail17trampoline_kernelINS0_14default_configENS1_36segmented_radix_sort_config_selectorIflEEZNS1_25segmented_radix_sort_implIS3_Lb1EPKfPfPKlPlN2at6native12_GLOBAL__N_18offset_tEEE10hipError_tPvRmT1_PNSt15iterator_traitsISK_E10value_typeET2_T3_PNSL_ISQ_E10value_typeET4_jRbjT5_SW_jjP12ihipStream_tbEUlT_E0_NS1_11comp_targetILNS1_3genE9ELNS1_11target_archE1100ELNS1_3gpuE3ELNS1_3repE0EEENS1_60segmented_radix_sort_warp_sort_medium_config_static_selectorELNS0_4arch9wavefront6targetE0EEEvSK_.num_agpr, 0
	.set _ZN7rocprim17ROCPRIM_400000_NS6detail17trampoline_kernelINS0_14default_configENS1_36segmented_radix_sort_config_selectorIflEEZNS1_25segmented_radix_sort_implIS3_Lb1EPKfPfPKlPlN2at6native12_GLOBAL__N_18offset_tEEE10hipError_tPvRmT1_PNSt15iterator_traitsISK_E10value_typeET2_T3_PNSL_ISQ_E10value_typeET4_jRbjT5_SW_jjP12ihipStream_tbEUlT_E0_NS1_11comp_targetILNS1_3genE9ELNS1_11target_archE1100ELNS1_3gpuE3ELNS1_3repE0EEENS1_60segmented_radix_sort_warp_sort_medium_config_static_selectorELNS0_4arch9wavefront6targetE0EEEvSK_.numbered_sgpr, 0
	.set _ZN7rocprim17ROCPRIM_400000_NS6detail17trampoline_kernelINS0_14default_configENS1_36segmented_radix_sort_config_selectorIflEEZNS1_25segmented_radix_sort_implIS3_Lb1EPKfPfPKlPlN2at6native12_GLOBAL__N_18offset_tEEE10hipError_tPvRmT1_PNSt15iterator_traitsISK_E10value_typeET2_T3_PNSL_ISQ_E10value_typeET4_jRbjT5_SW_jjP12ihipStream_tbEUlT_E0_NS1_11comp_targetILNS1_3genE9ELNS1_11target_archE1100ELNS1_3gpuE3ELNS1_3repE0EEENS1_60segmented_radix_sort_warp_sort_medium_config_static_selectorELNS0_4arch9wavefront6targetE0EEEvSK_.num_named_barrier, 0
	.set _ZN7rocprim17ROCPRIM_400000_NS6detail17trampoline_kernelINS0_14default_configENS1_36segmented_radix_sort_config_selectorIflEEZNS1_25segmented_radix_sort_implIS3_Lb1EPKfPfPKlPlN2at6native12_GLOBAL__N_18offset_tEEE10hipError_tPvRmT1_PNSt15iterator_traitsISK_E10value_typeET2_T3_PNSL_ISQ_E10value_typeET4_jRbjT5_SW_jjP12ihipStream_tbEUlT_E0_NS1_11comp_targetILNS1_3genE9ELNS1_11target_archE1100ELNS1_3gpuE3ELNS1_3repE0EEENS1_60segmented_radix_sort_warp_sort_medium_config_static_selectorELNS0_4arch9wavefront6targetE0EEEvSK_.private_seg_size, 0
	.set _ZN7rocprim17ROCPRIM_400000_NS6detail17trampoline_kernelINS0_14default_configENS1_36segmented_radix_sort_config_selectorIflEEZNS1_25segmented_radix_sort_implIS3_Lb1EPKfPfPKlPlN2at6native12_GLOBAL__N_18offset_tEEE10hipError_tPvRmT1_PNSt15iterator_traitsISK_E10value_typeET2_T3_PNSL_ISQ_E10value_typeET4_jRbjT5_SW_jjP12ihipStream_tbEUlT_E0_NS1_11comp_targetILNS1_3genE9ELNS1_11target_archE1100ELNS1_3gpuE3ELNS1_3repE0EEENS1_60segmented_radix_sort_warp_sort_medium_config_static_selectorELNS0_4arch9wavefront6targetE0EEEvSK_.uses_vcc, 0
	.set _ZN7rocprim17ROCPRIM_400000_NS6detail17trampoline_kernelINS0_14default_configENS1_36segmented_radix_sort_config_selectorIflEEZNS1_25segmented_radix_sort_implIS3_Lb1EPKfPfPKlPlN2at6native12_GLOBAL__N_18offset_tEEE10hipError_tPvRmT1_PNSt15iterator_traitsISK_E10value_typeET2_T3_PNSL_ISQ_E10value_typeET4_jRbjT5_SW_jjP12ihipStream_tbEUlT_E0_NS1_11comp_targetILNS1_3genE9ELNS1_11target_archE1100ELNS1_3gpuE3ELNS1_3repE0EEENS1_60segmented_radix_sort_warp_sort_medium_config_static_selectorELNS0_4arch9wavefront6targetE0EEEvSK_.uses_flat_scratch, 0
	.set _ZN7rocprim17ROCPRIM_400000_NS6detail17trampoline_kernelINS0_14default_configENS1_36segmented_radix_sort_config_selectorIflEEZNS1_25segmented_radix_sort_implIS3_Lb1EPKfPfPKlPlN2at6native12_GLOBAL__N_18offset_tEEE10hipError_tPvRmT1_PNSt15iterator_traitsISK_E10value_typeET2_T3_PNSL_ISQ_E10value_typeET4_jRbjT5_SW_jjP12ihipStream_tbEUlT_E0_NS1_11comp_targetILNS1_3genE9ELNS1_11target_archE1100ELNS1_3gpuE3ELNS1_3repE0EEENS1_60segmented_radix_sort_warp_sort_medium_config_static_selectorELNS0_4arch9wavefront6targetE0EEEvSK_.has_dyn_sized_stack, 0
	.set _ZN7rocprim17ROCPRIM_400000_NS6detail17trampoline_kernelINS0_14default_configENS1_36segmented_radix_sort_config_selectorIflEEZNS1_25segmented_radix_sort_implIS3_Lb1EPKfPfPKlPlN2at6native12_GLOBAL__N_18offset_tEEE10hipError_tPvRmT1_PNSt15iterator_traitsISK_E10value_typeET2_T3_PNSL_ISQ_E10value_typeET4_jRbjT5_SW_jjP12ihipStream_tbEUlT_E0_NS1_11comp_targetILNS1_3genE9ELNS1_11target_archE1100ELNS1_3gpuE3ELNS1_3repE0EEENS1_60segmented_radix_sort_warp_sort_medium_config_static_selectorELNS0_4arch9wavefront6targetE0EEEvSK_.has_recursion, 0
	.set _ZN7rocprim17ROCPRIM_400000_NS6detail17trampoline_kernelINS0_14default_configENS1_36segmented_radix_sort_config_selectorIflEEZNS1_25segmented_radix_sort_implIS3_Lb1EPKfPfPKlPlN2at6native12_GLOBAL__N_18offset_tEEE10hipError_tPvRmT1_PNSt15iterator_traitsISK_E10value_typeET2_T3_PNSL_ISQ_E10value_typeET4_jRbjT5_SW_jjP12ihipStream_tbEUlT_E0_NS1_11comp_targetILNS1_3genE9ELNS1_11target_archE1100ELNS1_3gpuE3ELNS1_3repE0EEENS1_60segmented_radix_sort_warp_sort_medium_config_static_selectorELNS0_4arch9wavefront6targetE0EEEvSK_.has_indirect_call, 0
	.section	.AMDGPU.csdata,"",@progbits
; Kernel info:
; codeLenInByte = 0
; TotalNumSgprs: 0
; NumVgprs: 0
; ScratchSize: 0
; MemoryBound: 0
; FloatMode: 240
; IeeeMode: 1
; LDSByteSize: 0 bytes/workgroup (compile time only)
; SGPRBlocks: 0
; VGPRBlocks: 0
; NumSGPRsForWavesPerEU: 1
; NumVGPRsForWavesPerEU: 1
; Occupancy: 16
; WaveLimiterHint : 0
; COMPUTE_PGM_RSRC2:SCRATCH_EN: 0
; COMPUTE_PGM_RSRC2:USER_SGPR: 6
; COMPUTE_PGM_RSRC2:TRAP_HANDLER: 0
; COMPUTE_PGM_RSRC2:TGID_X_EN: 1
; COMPUTE_PGM_RSRC2:TGID_Y_EN: 0
; COMPUTE_PGM_RSRC2:TGID_Z_EN: 0
; COMPUTE_PGM_RSRC2:TIDIG_COMP_CNT: 0
	.text
	.p2align	2                               ; -- Begin function _ZN7rocprim17ROCPRIM_400000_NS6detail26segmented_warp_sort_helperINS1_20WarpSortHelperConfigILj16ELj16ELj256EEEflLi256ELb1EvE4sortIPKfPfPKlPlEEvT_T0_T1_T2_jjjjRNS5_12storage_typeE
	.type	_ZN7rocprim17ROCPRIM_400000_NS6detail26segmented_warp_sort_helperINS1_20WarpSortHelperConfigILj16ELj16ELj256EEEflLi256ELb1EvE4sortIPKfPfPKlPlEEvT_T0_T1_T2_jjjjRNS5_12storage_typeE,@function
_ZN7rocprim17ROCPRIM_400000_NS6detail26segmented_warp_sort_helperINS1_20WarpSortHelperConfigILj16ELj16ELj256EEEflLi256ELb1EvE4sortIPKfPfPKlPlEEvT_T0_T1_T2_jjjjRNS5_12storage_typeE: ; @_ZN7rocprim17ROCPRIM_400000_NS6detail26segmented_warp_sort_helperINS1_20WarpSortHelperConfigILj16ELj16ELj256EEEflLi256ELb1EvE4sortIPKfPfPKlPlEEvT_T0_T1_T2_jjjjRNS5_12storage_typeE
; %bb.0:
	s_waitcnt vmcnt(0) expcnt(0) lgkmcnt(0)
	v_mov_b32_e32 v10, v9
	v_mbcnt_lo_u32_b32 v9, -1, 0
	v_mov_b32_e32 v14, -1
	v_mov_b32_e32 v13, -1
	v_sub_nc_u32_e32 v10, v10, v8
	v_lshlrev_b32_e32 v102, 4, v9
	v_mov_b32_e32 v9, 0
	v_and_b32_e32 v101, 0xf0, v102
	v_lshlrev_b64 v[11:12], 2, v[8:9]
	v_lshlrev_b32_e32 v100, 2, v101
	v_add_co_u32 v0, vcc_lo, v0, v11
	v_add_co_ci_u32_e64 v1, null, v1, v12, vcc_lo
	v_add_co_u32 v0, vcc_lo, v0, v100
	v_add_co_ci_u32_e64 v1, null, 0, v1, vcc_lo
	v_cmp_lt_u32_e32 vcc_lo, v101, v10
	s_and_saveexec_b32 s4, vcc_lo
	s_cbranch_execz .LBB1335_2
; %bb.1:
	flat_load_dword v13, v[0:1]
.LBB1335_2:
	s_or_b32 exec_lo, exec_lo, s4
	v_or_b32_e32 v15, 1, v101
	v_cmp_lt_u32_e64 s4, v15, v10
	s_and_saveexec_b32 s5, s4
	s_cbranch_execz .LBB1335_4
; %bb.3:
	flat_load_dword v14, v[0:1] offset:4
.LBB1335_4:
	s_or_b32 exec_lo, exec_lo, s5
	v_or_b32_e32 v15, 2, v101
	v_mov_b32_e32 v53, -1
	v_mov_b32_e32 v52, -1
	v_cmp_lt_u32_e64 s5, v15, v10
	s_and_saveexec_b32 s6, s5
	s_cbranch_execz .LBB1335_6
; %bb.5:
	flat_load_dword v52, v[0:1] offset:8
.LBB1335_6:
	s_or_b32 exec_lo, exec_lo, s6
	v_or_b32_e32 v15, 3, v101
	v_cmp_lt_u32_e64 s6, v15, v10
	s_and_saveexec_b32 s7, s6
	s_cbranch_execz .LBB1335_8
; %bb.7:
	flat_load_dword v53, v[0:1] offset:12
.LBB1335_8:
	s_or_b32 exec_lo, exec_lo, s7
	v_or_b32_e32 v15, 4, v101
	v_mov_b32_e32 v55, -1
	v_mov_b32_e32 v54, -1
	v_cmp_lt_u32_e64 s7, v15, v10
	s_and_saveexec_b32 s10, s7
	s_cbranch_execz .LBB1335_10
; %bb.9:
	flat_load_dword v54, v[0:1] offset:16
.LBB1335_10:
	;; [unrolled: 18-line block ×6, first 2 shown]
	s_or_b32 exec_lo, exec_lo, s18
	v_or_b32_e32 v15, 13, v101
	v_cmp_lt_u32_e64 s18, v15, v10
	s_and_saveexec_b32 s19, s18
	s_cbranch_execz .LBB1335_28
; %bb.27:
	flat_load_dword v51, v[0:1] offset:52
.LBB1335_28:
	s_or_b32 exec_lo, exec_lo, s19
	v_or_b32_e32 v15, 14, v101
	v_mov_b32_e32 v16, -1
	v_cmp_lt_u32_e64 s19, v15, v10
	v_mov_b32_e32 v15, -1
	s_and_saveexec_b32 s20, s19
	s_cbranch_execz .LBB1335_30
; %bb.29:
	flat_load_dword v15, v[0:1] offset:56
.LBB1335_30:
	s_or_b32 exec_lo, exec_lo, s20
	v_or_b32_e32 v17, 15, v101
	v_cmp_lt_u32_e64 s20, v17, v10
	s_and_saveexec_b32 s23, s20
	s_cbranch_execz .LBB1335_32
; %bb.31:
	flat_load_dword v16, v[0:1] offset:60
.LBB1335_32:
	s_or_b32 exec_lo, exec_lo, s23
	v_lshlrev_b64 v[0:1], 3, v[8:9]
	v_lshlrev_b32_e32 v10, 3, v101
	; wave barrier
	v_add_co_u32 v4, s23, v4, v0
	v_add_co_ci_u32_e64 v5, null, v5, v1, s23
	v_add_co_u32 v82, s23, v4, v10
	v_add_co_ci_u32_e64 v83, null, 0, v5, s23
                                        ; implicit-def: $vgpr4_vgpr5
	s_and_saveexec_b32 s23, vcc_lo
	s_cbranch_execnz .LBB1335_613
; %bb.33:
	s_or_b32 exec_lo, exec_lo, s23
	s_and_saveexec_b32 s23, s4
                                        ; implicit-def: $vgpr8_vgpr9
	s_cbranch_execnz .LBB1335_614
.LBB1335_34:
	s_or_b32 exec_lo, exec_lo, s23
                                        ; implicit-def: $vgpr17_vgpr18
	s_and_saveexec_b32 s23, s5
	s_cbranch_execnz .LBB1335_615
.LBB1335_35:
	s_or_b32 exec_lo, exec_lo, s23
	s_and_saveexec_b32 s23, s6
                                        ; implicit-def: $vgpr19_vgpr20
	s_cbranch_execnz .LBB1335_616
.LBB1335_36:
	s_or_b32 exec_lo, exec_lo, s23
                                        ; implicit-def: $vgpr21_vgpr22
	s_and_saveexec_b32 s23, s7
	s_cbranch_execnz .LBB1335_617
.LBB1335_37:
	s_or_b32 exec_lo, exec_lo, s23
	s_and_saveexec_b32 s23, s10
                                        ; implicit-def: $vgpr23_vgpr24
	s_cbranch_execnz .LBB1335_618
.LBB1335_38:
	s_or_b32 exec_lo, exec_lo, s23
                                        ; implicit-def: $vgpr25_vgpr26
	s_and_saveexec_b32 s23, s11
	s_cbranch_execnz .LBB1335_619
.LBB1335_39:
	s_or_b32 exec_lo, exec_lo, s23
	s_and_saveexec_b32 s23, s21
                                        ; implicit-def: $vgpr27_vgpr28
	s_cbranch_execnz .LBB1335_620
.LBB1335_40:
	s_or_b32 exec_lo, exec_lo, s23
                                        ; implicit-def: $vgpr29_vgpr30
	s_and_saveexec_b32 s23, s22
	s_cbranch_execnz .LBB1335_621
.LBB1335_41:
	s_or_b32 exec_lo, exec_lo, s23
	s_and_saveexec_b32 s23, s14
                                        ; implicit-def: $vgpr32_vgpr33
	s_cbranch_execnz .LBB1335_622
.LBB1335_42:
	s_or_b32 exec_lo, exec_lo, s23
                                        ; implicit-def: $vgpr34_vgpr35
	s_and_saveexec_b32 s23, s15
	s_cbranch_execnz .LBB1335_623
.LBB1335_43:
	s_or_b32 exec_lo, exec_lo, s23
	s_and_saveexec_b32 s23, s16
                                        ; implicit-def: $vgpr36_vgpr37
	s_cbranch_execnz .LBB1335_624
.LBB1335_44:
	s_or_b32 exec_lo, exec_lo, s23
                                        ; implicit-def: $vgpr48_vgpr49
	s_and_saveexec_b32 s23, s17
	s_cbranch_execnz .LBB1335_625
.LBB1335_45:
	s_or_b32 exec_lo, exec_lo, s23
	s_and_saveexec_b32 s23, s18
                                        ; implicit-def: $vgpr68_vgpr69
	s_cbranch_execnz .LBB1335_626
.LBB1335_46:
	s_or_b32 exec_lo, exec_lo, s23
                                        ; implicit-def: $vgpr38_vgpr39
	s_and_saveexec_b32 s23, s19
	s_cbranch_execnz .LBB1335_627
.LBB1335_47:
	s_or_b32 exec_lo, exec_lo, s23
	s_and_saveexec_b32 s23, s20
                                        ; implicit-def: $vgpr80_vgpr81
	s_cbranch_execz .LBB1335_49
.LBB1335_48:
	flat_load_dwordx2 v[80:81], v[82:83] offset:120
.LBB1335_49:
	s_or_b32 exec_lo, exec_lo, s23
	; wave barrier
	s_load_dwordx2 s[24:25], s[8:9], 0x0
	v_mov_b32_e32 v82, 0
	v_bfe_u32 v84, v31, 10, 10
	v_bfe_u32 v85, v31, 20, 10
	v_and_b32_e32 v31, 0x3ff, v31
	s_waitcnt lgkmcnt(0)
	s_cmp_lt_u32 s13, s25
	s_cselect_b32 s13, 14, 20
	s_add_u32 s26, s8, s13
	s_addc_u32 s27, s9, 0
	s_cmp_lt_u32 s12, s24
	global_load_ushort v83, v82, s[26:27]
	s_cselect_b32 s12, 12, 18
	s_add_u32 s8, s8, s12
	s_addc_u32 s9, s9, 0
	global_load_ushort v82, v82, s[8:9]
	s_mov_b32 s9, exec_lo
	s_waitcnt vmcnt(1)
	v_mad_u32_u24 v83, v85, v83, v84
	s_waitcnt vmcnt(0)
	v_mul_lo_u32 v82, v83, v82
	v_add_lshl_u32 v103, v82, v31, 4
	v_cmpx_gt_u32_e32 0x1000, v103
	s_cbranch_execz .LBB1335_291
; %bb.50:
	v_add_f32_e32 v31, 0, v14
	v_add_f32_e32 v82, 0, v13
	v_mov_b32_e32 v96, v14
	v_ashrrev_i32_e32 v83, 31, v31
	v_ashrrev_i32_e32 v84, 31, v82
	v_or_b32_e32 v83, 0x80000000, v83
	v_or_b32_e32 v84, 0x80000000, v84
	v_xor_b32_e32 v31, v83, v31
	v_xor_b32_e32 v82, v84, v82
	v_cmp_gt_u32_e64 s8, v31, v82
	v_mov_b32_e32 v83, v9
	v_mov_b32_e32 v82, v8
	s_and_saveexec_b32 s12, s8
; %bb.51:
	v_mov_b32_e32 v83, v5
	v_mov_b32_e32 v82, v4
	;; [unrolled: 1-line block ×6, first 2 shown]
; %bb.52:
	s_or_b32 exec_lo, exec_lo, s12
	v_add_f32_e32 v8, 0, v53
	v_add_f32_e32 v9, 0, v52
	v_mov_b32_e32 v85, v20
	v_mov_b32_e32 v84, v19
	s_mov_b32 s12, exec_lo
	v_ashrrev_i32_e32 v14, 31, v8
	v_ashrrev_i32_e32 v31, 31, v9
	v_or_b32_e32 v14, 0x80000000, v14
	v_or_b32_e32 v31, 0x80000000, v31
	v_xor_b32_e32 v8, v14, v8
	v_xor_b32_e32 v9, v31, v9
	v_mov_b32_e32 v14, v53
	v_cmpx_gt_u32_e64 v8, v9
; %bb.53:
	v_mov_b32_e32 v85, v18
	v_mov_b32_e32 v84, v17
	v_mov_b32_e32 v17, v19
	v_mov_b32_e32 v14, v52
	v_mov_b32_e32 v52, v53
	v_mov_b32_e32 v18, v20
; %bb.54:
	s_or_b32 exec_lo, exec_lo, s12
	v_add_f32_e32 v8, 0, v55
	v_add_f32_e32 v9, 0, v54
	v_mov_b32_e32 v87, v24
	v_mov_b32_e32 v97, v55
	v_mov_b32_e32 v86, v23
	v_ashrrev_i32_e32 v19, 31, v8
	v_ashrrev_i32_e32 v20, 31, v9
	s_mov_b32 s12, exec_lo
	v_or_b32_e32 v19, 0x80000000, v19
	v_or_b32_e32 v20, 0x80000000, v20
	v_xor_b32_e32 v8, v19, v8
	v_xor_b32_e32 v9, v20, v9
	v_cmpx_gt_u32_e64 v8, v9
; %bb.55:
	v_mov_b32_e32 v87, v22
	v_mov_b32_e32 v86, v21
	v_mov_b32_e32 v21, v23
	v_mov_b32_e32 v97, v54
	v_mov_b32_e32 v54, v55
	v_mov_b32_e32 v22, v24
; %bb.56:
	s_or_b32 exec_lo, exec_lo, s12
	v_add_f32_e32 v8, 0, v65
	v_add_f32_e32 v9, 0, v64
	v_mov_b32_e32 v23, v27
	v_mov_b32_e32 v98, v65
	v_mov_b32_e32 v24, v28
	v_ashrrev_i32_e32 v19, 31, v8
	v_ashrrev_i32_e32 v20, 31, v9
	s_mov_b32 s12, exec_lo
	v_or_b32_e32 v19, 0x80000000, v19
	v_or_b32_e32 v20, 0x80000000, v20
	v_xor_b32_e32 v8, v19, v8
	v_xor_b32_e32 v9, v20, v9
	;; [unrolled: 22-line block ×4, first 2 shown]
	v_cmpx_gt_u32_e64 v8, v9
; %bb.61:
	v_mov_b32_e32 v31, v34
	v_mov_b32_e32 v32, v35
	;; [unrolled: 1-line block ×6, first 2 shown]
; %bb.62:
	s_or_b32 exec_lo, exec_lo, s12
	v_add_f32_e32 v8, 0, v51
	v_add_f32_e32 v9, 0, v50
	v_mov_b32_e32 v114, v50
	s_mov_b32 s12, exec_lo
	v_ashrrev_i32_e32 v19, 31, v8
	v_ashrrev_i32_e32 v20, 31, v9
	v_or_b32_e32 v19, 0x80000000, v19
	v_or_b32_e32 v20, 0x80000000, v20
	v_xor_b32_e32 v8, v19, v8
	v_xor_b32_e32 v9, v20, v9
	v_mov_b32_e32 v19, v68
	v_mov_b32_e32 v20, v69
	v_cmpx_gt_u32_e64 v8, v9
; %bb.63:
	v_mov_b32_e32 v19, v48
	v_mov_b32_e32 v20, v49
	;; [unrolled: 1-line block ×6, first 2 shown]
; %bb.64:
	s_or_b32 exec_lo, exec_lo, s12
	v_add_f32_e32 v8, 0, v16
	v_add_f32_e32 v9, 0, v15
	v_mov_b32_e32 v112, v15
	s_mov_b32 s12, exec_lo
	v_ashrrev_i32_e32 v36, 31, v8
	v_ashrrev_i32_e32 v37, 31, v9
	v_or_b32_e32 v36, 0x80000000, v36
	v_or_b32_e32 v37, 0x80000000, v37
	v_xor_b32_e32 v36, v36, v8
	v_xor_b32_e32 v37, v37, v9
	v_mov_b32_e32 v8, v80
	v_mov_b32_e32 v9, v81
	v_cmpx_gt_u32_e64 v36, v37
; %bb.65:
	v_mov_b32_e32 v8, v38
	v_mov_b32_e32 v9, v39
	;; [unrolled: 1-line block ×6, first 2 shown]
; %bb.66:
	s_or_b32 exec_lo, exec_lo, s12
	v_add_f32_e32 v15, 0, v52
	v_add_f32_e32 v36, 0, v96
	v_mov_b32_e32 v68, v52
	v_ashrrev_i32_e32 v37, 31, v15
	v_ashrrev_i32_e32 v50, 31, v36
	v_or_b32_e32 v37, 0x80000000, v37
	v_or_b32_e32 v50, 0x80000000, v50
	v_xor_b32_e32 v15, v37, v15
	v_xor_b32_e32 v36, v50, v36
	v_cmp_gt_u32_e64 s8, v15, v36
	v_mov_b32_e32 v37, v18
	v_mov_b32_e32 v36, v17
	s_and_saveexec_b32 s12, s8
	s_xor_b32 s8, exec_lo, s12
; %bb.67:
	v_mov_b32_e32 v36, v82
	v_mov_b32_e32 v37, v83
	v_mov_b32_e32 v83, v18
	v_mov_b32_e32 v68, v96
	v_mov_b32_e32 v96, v52
	v_mov_b32_e32 v82, v17
; %bb.68:
	s_or_b32 exec_lo, exec_lo, s8
	v_add_f32_e32 v15, 0, v54
	v_add_f32_e32 v17, 0, v14
	v_mov_b32_e32 v53, v22
	v_mov_b32_e32 v69, v54
	v_mov_b32_e32 v52, v21
	v_ashrrev_i32_e32 v18, 31, v15
	v_ashrrev_i32_e32 v50, 31, v17
	s_mov_b32 s12, exec_lo
	v_or_b32_e32 v18, 0x80000000, v18
	v_or_b32_e32 v50, 0x80000000, v50
	v_xor_b32_e32 v15, v18, v15
	v_xor_b32_e32 v17, v50, v17
	v_cmpx_gt_u32_e64 v15, v17
; %bb.69:
	v_mov_b32_e32 v52, v84
	v_mov_b32_e32 v53, v85
	v_mov_b32_e32 v85, v22
	v_mov_b32_e32 v69, v14
	v_mov_b32_e32 v14, v54
	v_mov_b32_e32 v84, v21
; %bb.70:
	s_or_b32 exec_lo, exec_lo, s12
	v_add_f32_e32 v15, 0, v64
	v_add_f32_e32 v17, 0, v97
	v_mov_b32_e32 v55, v26
	v_mov_b32_e32 v71, v64
	v_mov_b32_e32 v54, v25
	v_ashrrev_i32_e32 v18, 31, v15
	v_ashrrev_i32_e32 v21, 31, v17
	s_mov_b32 s12, exec_lo
	v_or_b32_e32 v18, 0x80000000, v18
	v_or_b32_e32 v21, 0x80000000, v21
	v_xor_b32_e32 v15, v18, v15
	v_xor_b32_e32 v17, v21, v17
	v_cmpx_gt_u32_e64 v15, v17
	;; [unrolled: 22-line block ×4, first 2 shown]
; %bb.75:
	v_mov_b32_e32 v30, v28
	v_mov_b32_e32 v29, v27
	;; [unrolled: 1-line block ×6, first 2 shown]
; %bb.76:
	s_or_b32 exec_lo, exec_lo, s12
	v_add_f32_e32 v15, 0, v114
	v_add_f32_e32 v17, 0, v33
	v_mov_b32_e32 v25, v48
	v_mov_b32_e32 v26, v49
	s_mov_b32 s12, exec_lo
	v_ashrrev_i32_e32 v18, 31, v15
	v_ashrrev_i32_e32 v21, 31, v17
	v_or_b32_e32 v18, 0x80000000, v18
	v_or_b32_e32 v21, 0x80000000, v21
	v_xor_b32_e32 v18, v18, v15
	v_xor_b32_e32 v17, v21, v17
	v_mov_b32_e32 v15, v33
	v_cmpx_gt_u32_e64 v18, v17
; %bb.77:
	v_mov_b32_e32 v25, v31
	v_mov_b32_e32 v26, v32
	;; [unrolled: 1-line block ×6, first 2 shown]
; %bb.78:
	s_or_b32 exec_lo, exec_lo, s12
	v_add_f32_e32 v17, 0, v112
	v_add_f32_e32 v18, 0, v51
	v_mov_b32_e32 v113, v51
	s_mov_b32 s12, exec_lo
	v_ashrrev_i32_e32 v21, 31, v17
	v_ashrrev_i32_e32 v22, 31, v18
	v_or_b32_e32 v21, 0x80000000, v21
	v_or_b32_e32 v22, 0x80000000, v22
	v_xor_b32_e32 v21, v21, v17
	v_xor_b32_e32 v22, v22, v18
	v_mov_b32_e32 v17, v38
	v_mov_b32_e32 v18, v39
	v_cmpx_gt_u32_e64 v21, v22
; %bb.79:
	v_mov_b32_e32 v17, v19
	v_mov_b32_e32 v18, v20
	;; [unrolled: 1-line block ×6, first 2 shown]
; %bb.80:
	s_or_b32 exec_lo, exec_lo, s12
	v_add_f32_e32 v21, 0, v96
	v_add_f32_e32 v22, 0, v13
	v_mov_b32_e32 v70, v96
	s_mov_b32 s12, exec_lo
	v_ashrrev_i32_e32 v33, 31, v21
	v_ashrrev_i32_e32 v34, 31, v22
	v_or_b32_e32 v33, 0x80000000, v33
	v_or_b32_e32 v34, 0x80000000, v34
	v_xor_b32_e32 v21, v33, v21
	v_xor_b32_e32 v22, v34, v22
	v_mov_b32_e32 v33, v82
	v_mov_b32_e32 v34, v83
	v_cmpx_gt_u32_e64 v21, v22
; %bb.81:
	v_mov_b32_e32 v34, v5
	v_mov_b32_e32 v33, v4
	;; [unrolled: 1-line block ×6, first 2 shown]
; %bb.82:
	s_or_b32 exec_lo, exec_lo, s12
	v_add_f32_e32 v22, 0, v68
	v_add_f32_e32 v21, 0, v14
	v_mov_b32_e32 v82, v14
	s_mov_b32 s12, exec_lo
	v_ashrrev_i32_e32 v38, 31, v22
	v_ashrrev_i32_e32 v35, 31, v21
	v_or_b32_e32 v38, 0x80000000, v38
	v_or_b32_e32 v35, 0x80000000, v35
	v_xor_b32_e32 v22, v38, v22
	v_mov_b32_e32 v38, v84
	v_xor_b32_e32 v21, v35, v21
	v_mov_b32_e32 v39, v85
	v_cmpx_gt_u32_e64 v21, v22
; %bb.83:
	v_mov_b32_e32 v39, v37
	v_mov_b32_e32 v38, v36
	v_mov_b32_e32 v36, v84
	v_mov_b32_e32 v82, v68
	v_mov_b32_e32 v68, v14
	v_mov_b32_e32 v37, v85
; %bb.84:
	s_or_b32 exec_lo, exec_lo, s12
	v_add_f32_e32 v14, 0, v97
	v_add_f32_e32 v21, 0, v69
	v_mov_b32_e32 v48, v86
	v_mov_b32_e32 v83, v97
	v_mov_b32_e32 v49, v87
	v_ashrrev_i32_e32 v22, 31, v14
	v_ashrrev_i32_e32 v35, 31, v21
	s_mov_b32 s12, exec_lo
	v_or_b32_e32 v22, 0x80000000, v22
	v_or_b32_e32 v35, 0x80000000, v35
	v_xor_b32_e32 v14, v22, v14
	v_xor_b32_e32 v21, v35, v21
	v_cmpx_gt_u32_e64 v14, v21
; %bb.85:
	v_mov_b32_e32 v48, v52
	v_mov_b32_e32 v49, v53
	v_mov_b32_e32 v52, v86
	v_mov_b32_e32 v83, v69
	v_mov_b32_e32 v69, v97
	v_mov_b32_e32 v53, v87
; %bb.86:
	s_or_b32 exec_lo, exec_lo, s12
	v_add_f32_e32 v14, 0, v98
	v_add_f32_e32 v21, 0, v71
	v_mov_b32_e32 v51, v24
	v_mov_b32_e32 v84, v98
	v_mov_b32_e32 v50, v23
	v_ashrrev_i32_e32 v22, 31, v14
	v_ashrrev_i32_e32 v35, 31, v21
	s_mov_b32 s12, exec_lo
	v_or_b32_e32 v22, 0x80000000, v22
	v_or_b32_e32 v35, 0x80000000, v35
	v_xor_b32_e32 v14, v22, v14
	v_xor_b32_e32 v21, v35, v21
	;; [unrolled: 22-line block ×4, first 2 shown]
	v_cmpx_gt_u32_e64 v14, v21
; %bb.91:
	v_mov_b32_e32 v27, v29
	v_mov_b32_e32 v28, v30
	;; [unrolled: 1-line block ×6, first 2 shown]
; %bb.92:
	s_or_b32 exec_lo, exec_lo, s12
	v_add_f32_e32 v14, 0, v113
	v_add_f32_e32 v15, 0, v114
	v_mov_b32_e32 v97, v114
	s_mov_b32 s12, exec_lo
	v_ashrrev_i32_e32 v21, 31, v14
	v_ashrrev_i32_e32 v22, 31, v15
	v_or_b32_e32 v21, 0x80000000, v21
	v_or_b32_e32 v22, 0x80000000, v22
	v_xor_b32_e32 v14, v21, v14
	v_xor_b32_e32 v15, v22, v15
	v_mov_b32_e32 v22, v20
	v_mov_b32_e32 v21, v19
	v_cmpx_gt_u32_e64 v14, v15
; %bb.93:
	v_mov_b32_e32 v21, v25
	v_mov_b32_e32 v22, v26
	;; [unrolled: 1-line block ×6, first 2 shown]
; %bb.94:
	s_or_b32 exec_lo, exec_lo, s12
	v_add_f32_e32 v14, 0, v16
	v_add_f32_e32 v15, 0, v112
	v_mov_b32_e32 v87, v112
	s_mov_b32 s12, exec_lo
	v_ashrrev_i32_e32 v19, 31, v14
	v_ashrrev_i32_e32 v20, 31, v15
	v_or_b32_e32 v19, 0x80000000, v19
	v_or_b32_e32 v20, 0x80000000, v20
	v_xor_b32_e32 v19, v19, v14
	v_xor_b32_e32 v20, v20, v15
	v_mov_b32_e32 v15, v9
	v_mov_b32_e32 v14, v8
	v_cmpx_gt_u32_e64 v19, v20
; %bb.95:
	v_mov_b32_e32 v14, v17
	v_mov_b32_e32 v15, v18
	v_mov_b32_e32 v18, v9
	v_mov_b32_e32 v17, v8
	v_mov_b32_e32 v87, v16
	v_mov_b32_e32 v16, v112
; %bb.96:
	s_or_b32 exec_lo, exec_lo, s12
	v_add_f32_e32 v8, 0, v68
	v_add_f32_e32 v9, 0, v70
	v_mov_b32_e32 v31, v36
	v_mov_b32_e32 v86, v68
	v_mov_b32_e32 v32, v37
	v_ashrrev_i32_e32 v19, 31, v8
	v_ashrrev_i32_e32 v20, 31, v9
	s_mov_b32 s12, exec_lo
	v_or_b32_e32 v19, 0x80000000, v19
	v_or_b32_e32 v20, 0x80000000, v20
	v_xor_b32_e32 v8, v19, v8
	v_xor_b32_e32 v9, v20, v9
	v_cmpx_gt_u32_e64 v8, v9
; %bb.97:
	v_mov_b32_e32 v31, v33
	v_mov_b32_e32 v32, v34
	v_mov_b32_e32 v33, v36
	v_mov_b32_e32 v86, v70
	v_mov_b32_e32 v70, v68
	v_mov_b32_e32 v34, v37
; %bb.98:
	s_or_b32 exec_lo, exec_lo, s12
	v_add_f32_e32 v8, 0, v69
	v_add_f32_e32 v9, 0, v82
	v_mov_b32_e32 v35, v52
	v_mov_b32_e32 v68, v69
	v_mov_b32_e32 v36, v53
	v_ashrrev_i32_e32 v19, 31, v8
	v_ashrrev_i32_e32 v20, 31, v9
	s_mov_b32 s12, exec_lo
	v_or_b32_e32 v19, 0x80000000, v19
	v_or_b32_e32 v20, 0x80000000, v20
	v_xor_b32_e32 v8, v19, v8
	v_xor_b32_e32 v9, v20, v9
	;; [unrolled: 22-line block ×5, first 2 shown]
	v_cmpx_gt_u32_e64 v8, v9
; %bb.105:
	v_mov_b32_e32 v64, v66
	v_mov_b32_e32 v65, v67
	;; [unrolled: 1-line block ×6, first 2 shown]
; %bb.106:
	s_or_b32 exec_lo, exec_lo, s12
	v_add_f32_e32 v8, 0, v97
	v_add_f32_e32 v9, 0, v96
	v_mov_b32_e32 v23, v25
	v_mov_b32_e32 v24, v26
	s_mov_b32 s12, exec_lo
	v_ashrrev_i32_e32 v19, 31, v8
	v_ashrrev_i32_e32 v20, 31, v9
	v_or_b32_e32 v19, 0x80000000, v19
	v_or_b32_e32 v20, 0x80000000, v20
	v_xor_b32_e32 v19, v19, v8
	v_xor_b32_e32 v9, v20, v9
	v_mov_b32_e32 v8, v96
	v_cmpx_gt_u32_e64 v19, v9
; %bb.107:
	v_mov_b32_e32 v23, v27
	v_mov_b32_e32 v24, v28
	;; [unrolled: 1-line block ×6, first 2 shown]
; %bb.108:
	s_or_b32 exec_lo, exec_lo, s12
	v_add_f32_e32 v9, 0, v87
	v_add_f32_e32 v19, 0, v113
	v_mov_b32_e32 v96, v113
	s_mov_b32 s12, exec_lo
	v_ashrrev_i32_e32 v20, 31, v9
	v_ashrrev_i32_e32 v25, 31, v19
	v_or_b32_e32 v20, 0x80000000, v20
	v_or_b32_e32 v25, 0x80000000, v25
	v_xor_b32_e32 v9, v20, v9
	v_xor_b32_e32 v25, v25, v19
	v_mov_b32_e32 v20, v18
	v_mov_b32_e32 v19, v17
	v_cmpx_gt_u32_e64 v9, v25
; %bb.109:
	v_mov_b32_e32 v19, v21
	v_mov_b32_e32 v20, v22
	v_mov_b32_e32 v22, v18
	v_mov_b32_e32 v21, v17
	v_mov_b32_e32 v96, v87
	v_mov_b32_e32 v87, v113
; %bb.110:
	s_or_b32 exec_lo, exec_lo, s12
	v_add_f32_e32 v9, 0, v70
	v_add_f32_e32 v17, 0, v13
	v_mov_b32_e32 v29, v33
	v_mov_b32_e32 v81, v70
	v_mov_b32_e32 v30, v34
	v_ashrrev_i32_e32 v18, 31, v9
	v_ashrrev_i32_e32 v25, 31, v17
	s_mov_b32 s12, exec_lo
	v_or_b32_e32 v18, 0x80000000, v18
	v_or_b32_e32 v25, 0x80000000, v25
	v_xor_b32_e32 v9, v18, v9
	v_xor_b32_e32 v17, v25, v17
	v_cmpx_gt_u32_e64 v9, v17
; %bb.111:
	v_mov_b32_e32 v30, v5
	v_mov_b32_e32 v29, v4
	v_mov_b32_e32 v4, v33
	v_mov_b32_e32 v81, v13
	v_mov_b32_e32 v13, v70
	v_mov_b32_e32 v5, v34
; %bb.112:
	s_or_b32 exec_lo, exec_lo, s12
	v_add_f32_e32 v9, 0, v82
	v_add_f32_e32 v17, 0, v86
	v_mov_b32_e32 v33, v38
	v_mov_b32_e32 v70, v82
	v_mov_b32_e32 v34, v39
	v_ashrrev_i32_e32 v18, 31, v9
	v_ashrrev_i32_e32 v25, 31, v17
	s_mov_b32 s12, exec_lo
	v_or_b32_e32 v18, 0x80000000, v18
	v_or_b32_e32 v25, 0x80000000, v25
	v_xor_b32_e32 v9, v18, v9
	v_xor_b32_e32 v17, v25, v17
	;; [unrolled: 22-line block ×6, first 2 shown]
	v_cmpx_gt_u32_e64 v9, v17
; %bb.121:
	v_mov_b32_e32 v67, v65
	v_mov_b32_e32 v66, v64
	;; [unrolled: 1-line block ×6, first 2 shown]
; %bb.122:
	s_or_b32 exec_lo, exec_lo, s12
	v_add_f32_e32 v8, 0, v96
	v_add_f32_e32 v9, 0, v97
	v_mov_b32_e32 v98, v97
	s_mov_b32 s12, exec_lo
	v_ashrrev_i32_e32 v17, 31, v8
	v_ashrrev_i32_e32 v18, 31, v9
	v_or_b32_e32 v17, 0x80000000, v17
	v_or_b32_e32 v18, 0x80000000, v18
	v_xor_b32_e32 v8, v17, v8
	v_xor_b32_e32 v9, v18, v9
	v_mov_b32_e32 v17, v21
	v_mov_b32_e32 v18, v22
	v_cmpx_gt_u32_e64 v8, v9
; %bb.123:
	v_mov_b32_e32 v17, v23
	v_mov_b32_e32 v18, v24
	;; [unrolled: 1-line block ×6, first 2 shown]
; %bb.124:
	s_or_b32 exec_lo, exec_lo, s12
	v_add_f32_e32 v8, 0, v16
	v_add_f32_e32 v9, 0, v87
	v_mov_b32_e32 v97, v87
	s_mov_b32 s12, exec_lo
	v_ashrrev_i32_e32 v21, 31, v8
	v_ashrrev_i32_e32 v22, 31, v9
	v_or_b32_e32 v21, 0x80000000, v21
	v_or_b32_e32 v22, 0x80000000, v22
	v_xor_b32_e32 v21, v21, v8
	v_xor_b32_e32 v22, v22, v9
	v_mov_b32_e32 v8, v14
	v_mov_b32_e32 v9, v15
	v_cmpx_gt_u32_e64 v21, v22
; %bb.125:
	v_mov_b32_e32 v8, v19
	v_mov_b32_e32 v9, v20
	v_mov_b32_e32 v20, v15
	v_mov_b32_e32 v19, v14
	v_mov_b32_e32 v97, v16
	v_mov_b32_e32 v16, v87
; %bb.126:
	s_or_b32 exec_lo, exec_lo, s12
	v_add_f32_e32 v14, 0, v86
	v_add_f32_e32 v15, 0, v81
	v_mov_b32_e32 v27, v31
	v_mov_b32_e32 v84, v86
	v_mov_b32_e32 v28, v32
	v_ashrrev_i32_e32 v21, 31, v14
	v_ashrrev_i32_e32 v22, 31, v15
	s_mov_b32 s12, exec_lo
	v_or_b32_e32 v21, 0x80000000, v21
	v_or_b32_e32 v22, 0x80000000, v22
	v_xor_b32_e32 v14, v21, v14
	v_xor_b32_e32 v15, v22, v15
	v_cmpx_gt_u32_e64 v14, v15
; %bb.127:
	v_mov_b32_e32 v27, v29
	v_mov_b32_e32 v28, v30
	v_mov_b32_e32 v29, v31
	v_mov_b32_e32 v84, v81
	v_mov_b32_e32 v81, v86
	v_mov_b32_e32 v30, v32
; %bb.128:
	s_or_b32 exec_lo, exec_lo, s12
	v_add_f32_e32 v14, 0, v68
	v_add_f32_e32 v15, 0, v70
	v_mov_b32_e32 v31, v35
	v_mov_b32_e32 v85, v68
	v_mov_b32_e32 v32, v36
	v_ashrrev_i32_e32 v21, 31, v14
	v_ashrrev_i32_e32 v22, 31, v15
	s_mov_b32 s12, exec_lo
	v_or_b32_e32 v21, 0x80000000, v21
	v_or_b32_e32 v22, 0x80000000, v22
	v_xor_b32_e32 v14, v21, v14
	v_xor_b32_e32 v15, v22, v15
	;; [unrolled: 22-line block ×5, first 2 shown]
	v_cmpx_gt_u32_e64 v14, v15
; %bb.135:
	v_mov_b32_e32 v55, v51
	v_mov_b32_e32 v54, v50
	;; [unrolled: 1-line block ×6, first 2 shown]
; %bb.136:
	s_or_b32 exec_lo, exec_lo, s12
	v_add_f32_e32 v14, 0, v98
	v_add_f32_e32 v15, 0, v99
	v_mov_b32_e32 v26, v24
	v_mov_b32_e32 v25, v23
	s_mov_b32 s12, exec_lo
	v_ashrrev_i32_e32 v21, 31, v14
	v_ashrrev_i32_e32 v22, 31, v15
	v_or_b32_e32 v21, 0x80000000, v21
	v_or_b32_e32 v22, 0x80000000, v22
	v_xor_b32_e32 v21, v21, v14
	v_xor_b32_e32 v15, v22, v15
	v_mov_b32_e32 v14, v99
	v_cmpx_gt_u32_e64 v21, v15
; %bb.137:
	v_mov_b32_e32 v25, v66
	v_mov_b32_e32 v26, v67
	;; [unrolled: 1-line block ×6, first 2 shown]
; %bb.138:
	s_or_b32 exec_lo, exec_lo, s12
	v_add_f32_e32 v15, 0, v97
	v_add_f32_e32 v21, 0, v96
	v_mov_b32_e32 v86, v96
	s_mov_b32 s12, exec_lo
	v_ashrrev_i32_e32 v22, 31, v15
	v_ashrrev_i32_e32 v23, 31, v21
	v_or_b32_e32 v22, 0x80000000, v22
	v_or_b32_e32 v23, 0x80000000, v23
	v_xor_b32_e32 v15, v22, v15
	v_xor_b32_e32 v23, v23, v21
	v_mov_b32_e32 v22, v20
	v_mov_b32_e32 v21, v19
	v_cmpx_gt_u32_e64 v15, v23
; %bb.139:
	v_mov_b32_e32 v22, v18
	v_mov_b32_e32 v21, v17
	v_mov_b32_e32 v17, v19
	v_mov_b32_e32 v18, v20
	v_mov_b32_e32 v86, v97
	v_mov_b32_e32 v97, v96
; %bb.140:
	s_or_b32 exec_lo, exec_lo, s12
	v_add_f32_e32 v15, 0, v81
	v_add_f32_e32 v19, 0, v13
	v_mov_b32_e32 v65, v30
	v_mov_b32_e32 v80, v81
	v_mov_b32_e32 v64, v29
	v_ashrrev_i32_e32 v20, 31, v15
	v_ashrrev_i32_e32 v23, 31, v19
	s_mov_b32 s12, exec_lo
	v_or_b32_e32 v20, 0x80000000, v20
	v_or_b32_e32 v23, 0x80000000, v23
	v_xor_b32_e32 v15, v20, v15
	v_xor_b32_e32 v19, v23, v19
	v_cmpx_gt_u32_e64 v15, v19
; %bb.141:
	v_mov_b32_e32 v65, v5
	v_mov_b32_e32 v64, v4
	v_mov_b32_e32 v4, v29
	v_mov_b32_e32 v80, v13
	v_mov_b32_e32 v13, v81
	v_mov_b32_e32 v5, v30
; %bb.142:
	s_or_b32 exec_lo, exec_lo, s12
	v_add_f32_e32 v15, 0, v70
	v_add_f32_e32 v19, 0, v84
	v_mov_b32_e32 v29, v33
	v_mov_b32_e32 v81, v70
	v_mov_b32_e32 v30, v34
	v_ashrrev_i32_e32 v20, 31, v15
	v_ashrrev_i32_e32 v23, 31, v19
	s_mov_b32 s12, exec_lo
	v_or_b32_e32 v20, 0x80000000, v20
	v_or_b32_e32 v23, 0x80000000, v23
	v_xor_b32_e32 v15, v20, v15
	v_xor_b32_e32 v19, v23, v19
	;; [unrolled: 22-line block ×6, first 2 shown]
	v_cmpx_gt_u32_e64 v15, v19
; %bb.151:
	v_mov_b32_e32 v50, v54
	v_mov_b32_e32 v51, v55
	;; [unrolled: 1-line block ×6, first 2 shown]
; %bb.152:
	s_or_b32 exec_lo, exec_lo, s12
	v_add_f32_e32 v14, 0, v86
	v_add_f32_e32 v15, 0, v98
	v_mov_b32_e32 v99, v98
	s_mov_b32 s12, exec_lo
	v_ashrrev_i32_e32 v19, 31, v14
	v_ashrrev_i32_e32 v20, 31, v15
	v_or_b32_e32 v19, 0x80000000, v19
	v_or_b32_e32 v20, 0x80000000, v20
	v_xor_b32_e32 v14, v19, v14
	v_xor_b32_e32 v15, v20, v15
	v_mov_b32_e32 v20, v18
	v_mov_b32_e32 v19, v17
	v_cmpx_gt_u32_e64 v14, v15
; %bb.153:
	v_mov_b32_e32 v19, v25
	v_mov_b32_e32 v20, v26
	v_mov_b32_e32 v26, v18
	v_mov_b32_e32 v25, v17
	v_mov_b32_e32 v99, v86
	v_mov_b32_e32 v86, v98
; %bb.154:
	s_or_b32 exec_lo, exec_lo, s12
	v_add_f32_e32 v14, 0, v16
	v_add_f32_e32 v15, 0, v97
	v_mov_b32_e32 v87, v97
	s_mov_b32 s12, exec_lo
	v_ashrrev_i32_e32 v17, 31, v14
	v_ashrrev_i32_e32 v18, 31, v15
	v_or_b32_e32 v17, 0x80000000, v17
	v_or_b32_e32 v18, 0x80000000, v18
	v_xor_b32_e32 v17, v17, v14
	v_xor_b32_e32 v18, v18, v15
	v_mov_b32_e32 v15, v9
	v_mov_b32_e32 v14, v8
	v_cmpx_gt_u32_e64 v17, v18
; %bb.155:
	v_mov_b32_e32 v14, v21
	v_mov_b32_e32 v15, v22
	v_mov_b32_e32 v22, v9
	v_mov_b32_e32 v21, v8
	v_mov_b32_e32 v87, v16
	v_mov_b32_e32 v16, v97
; %bb.156:
	s_or_b32 exec_lo, exec_lo, s12
	v_add_f32_e32 v8, 0, v84
	v_add_f32_e32 v9, 0, v80
	v_mov_b32_e32 v67, v28
	v_mov_b32_e32 v83, v84
	v_mov_b32_e32 v66, v27
	v_ashrrev_i32_e32 v17, 31, v8
	v_ashrrev_i32_e32 v18, 31, v9
	s_mov_b32 s12, exec_lo
	v_or_b32_e32 v17, 0x80000000, v17
	v_or_b32_e32 v18, 0x80000000, v18
	v_xor_b32_e32 v8, v17, v8
	v_xor_b32_e32 v9, v18, v9
	v_cmpx_gt_u32_e64 v8, v9
; %bb.157:
	v_mov_b32_e32 v67, v65
	v_mov_b32_e32 v66, v64
	v_mov_b32_e32 v65, v28
	v_mov_b32_e32 v83, v80
	v_mov_b32_e32 v80, v84
	v_mov_b32_e32 v64, v27
; %bb.158:
	s_or_b32 exec_lo, exec_lo, s12
	v_add_f32_e32 v8, 0, v85
	v_add_f32_e32 v9, 0, v81
	v_mov_b32_e32 v27, v31
	v_mov_b32_e32 v84, v85
	v_mov_b32_e32 v28, v32
	v_ashrrev_i32_e32 v17, 31, v8
	v_ashrrev_i32_e32 v18, 31, v9
	s_mov_b32 s12, exec_lo
	v_or_b32_e32 v17, 0x80000000, v17
	v_or_b32_e32 v18, 0x80000000, v18
	v_xor_b32_e32 v8, v17, v8
	v_xor_b32_e32 v9, v18, v9
	;; [unrolled: 22-line block ×5, first 2 shown]
	v_cmpx_gt_u32_e64 v8, v9
; %bb.165:
	v_mov_b32_e32 v53, v49
	v_mov_b32_e32 v52, v48
	;; [unrolled: 1-line block ×6, first 2 shown]
; %bb.166:
	s_or_b32 exec_lo, exec_lo, s12
	v_add_f32_e32 v8, 0, v99
	v_add_f32_e32 v9, 0, v96
	v_mov_b32_e32 v23, v25
	v_mov_b32_e32 v24, v26
	s_mov_b32 s12, exec_lo
	v_ashrrev_i32_e32 v17, 31, v8
	v_ashrrev_i32_e32 v18, 31, v9
	v_or_b32_e32 v17, 0x80000000, v17
	v_or_b32_e32 v18, 0x80000000, v18
	v_xor_b32_e32 v17, v17, v8
	v_xor_b32_e32 v9, v18, v9
	v_mov_b32_e32 v8, v96
	v_cmpx_gt_u32_e64 v17, v9
; %bb.167:
	v_mov_b32_e32 v23, v50
	v_mov_b32_e32 v24, v51
	;; [unrolled: 1-line block ×6, first 2 shown]
; %bb.168:
	s_or_b32 exec_lo, exec_lo, s12
	v_add_f32_e32 v9, 0, v87
	v_add_f32_e32 v17, 0, v86
	v_mov_b32_e32 v96, v86
	s_mov_b32 s12, exec_lo
	v_ashrrev_i32_e32 v18, 31, v9
	v_ashrrev_i32_e32 v25, 31, v17
	v_or_b32_e32 v18, 0x80000000, v18
	v_or_b32_e32 v25, 0x80000000, v25
	v_xor_b32_e32 v9, v18, v9
	v_xor_b32_e32 v25, v25, v17
	v_mov_b32_e32 v17, v21
	v_mov_b32_e32 v18, v22
	v_cmpx_gt_u32_e64 v9, v25
; %bb.169:
	v_mov_b32_e32 v17, v19
	v_mov_b32_e32 v18, v20
	v_mov_b32_e32 v19, v21
	v_mov_b32_e32 v20, v22
	v_mov_b32_e32 v96, v87
	v_mov_b32_e32 v87, v86
; %bb.170:
	s_or_b32 exec_lo, exec_lo, s12
	v_add_f32_e32 v9, 0, v80
	v_add_f32_e32 v21, 0, v13
	v_mov_b32_e32 v54, v64
	v_mov_b32_e32 v71, v80
	v_mov_b32_e32 v55, v65
	v_ashrrev_i32_e32 v22, 31, v9
	v_ashrrev_i32_e32 v25, 31, v21
	s_mov_b32 s12, exec_lo
	v_or_b32_e32 v22, 0x80000000, v22
	v_or_b32_e32 v25, 0x80000000, v25
	v_xor_b32_e32 v9, v22, v9
	v_xor_b32_e32 v21, v25, v21
	v_cmpx_gt_u32_e64 v9, v21
; %bb.171:
	v_mov_b32_e32 v55, v5
	v_mov_b32_e32 v54, v4
	v_mov_b32_e32 v4, v64
	v_mov_b32_e32 v71, v13
	v_mov_b32_e32 v13, v80
	v_mov_b32_e32 v5, v65
; %bb.172:
	s_or_b32 exec_lo, exec_lo, s12
	v_add_f32_e32 v9, 0, v81
	v_add_f32_e32 v21, 0, v83
	v_mov_b32_e32 v65, v30
	v_mov_b32_e32 v80, v81
	v_mov_b32_e32 v64, v29
	v_ashrrev_i32_e32 v22, 31, v9
	v_ashrrev_i32_e32 v25, 31, v21
	s_mov_b32 s12, exec_lo
	v_or_b32_e32 v22, 0x80000000, v22
	v_or_b32_e32 v25, 0x80000000, v25
	v_xor_b32_e32 v9, v22, v9
	v_xor_b32_e32 v21, v25, v21
	;; [unrolled: 22-line block ×6, first 2 shown]
	v_cmpx_gt_u32_e64 v9, v21
; %bb.181:
	v_mov_b32_e32 v48, v52
	v_mov_b32_e32 v49, v53
	;; [unrolled: 1-line block ×6, first 2 shown]
; %bb.182:
	s_or_b32 exec_lo, exec_lo, s12
	v_add_f32_e32 v8, 0, v96
	v_add_f32_e32 v9, 0, v99
	v_mov_b32_e32 v98, v99
	s_mov_b32 s12, exec_lo
	v_ashrrev_i32_e32 v21, 31, v8
	v_ashrrev_i32_e32 v22, 31, v9
	v_or_b32_e32 v21, 0x80000000, v21
	v_or_b32_e32 v22, 0x80000000, v22
	v_xor_b32_e32 v8, v21, v8
	v_xor_b32_e32 v9, v22, v9
	v_mov_b32_e32 v22, v20
	v_mov_b32_e32 v21, v19
	v_cmpx_gt_u32_e64 v8, v9
; %bb.183:
	v_mov_b32_e32 v21, v23
	v_mov_b32_e32 v22, v24
	;; [unrolled: 1-line block ×6, first 2 shown]
; %bb.184:
	s_or_b32 exec_lo, exec_lo, s12
	v_add_f32_e32 v8, 0, v16
	v_add_f32_e32 v9, 0, v87
	v_mov_b32_e32 v97, v87
	s_mov_b32 s12, exec_lo
	v_ashrrev_i32_e32 v19, 31, v8
	v_ashrrev_i32_e32 v20, 31, v9
	v_or_b32_e32 v19, 0x80000000, v19
	v_or_b32_e32 v20, 0x80000000, v20
	v_xor_b32_e32 v19, v19, v8
	v_xor_b32_e32 v20, v20, v9
	v_mov_b32_e32 v8, v14
	v_mov_b32_e32 v9, v15
	v_cmpx_gt_u32_e64 v19, v20
; %bb.185:
	v_mov_b32_e32 v8, v17
	v_mov_b32_e32 v9, v18
	v_mov_b32_e32 v18, v15
	v_mov_b32_e32 v17, v14
	v_mov_b32_e32 v97, v16
	v_mov_b32_e32 v16, v87
; %bb.186:
	s_or_b32 exec_lo, exec_lo, s12
	v_add_f32_e32 v14, 0, v83
	v_add_f32_e32 v15, 0, v71
	v_mov_b32_e32 v50, v66
	v_mov_b32_e32 v82, v83
	v_mov_b32_e32 v51, v67
	v_ashrrev_i32_e32 v19, 31, v14
	v_ashrrev_i32_e32 v20, 31, v15
	s_mov_b32 s12, exec_lo
	v_or_b32_e32 v19, 0x80000000, v19
	v_or_b32_e32 v20, 0x80000000, v20
	v_xor_b32_e32 v14, v19, v14
	v_xor_b32_e32 v15, v20, v15
	v_cmpx_gt_u32_e64 v14, v15
; %bb.187:
	v_mov_b32_e32 v50, v54
	v_mov_b32_e32 v51, v55
	v_mov_b32_e32 v54, v66
	v_mov_b32_e32 v82, v71
	v_mov_b32_e32 v71, v83
	v_mov_b32_e32 v55, v67
; %bb.188:
	s_or_b32 exec_lo, exec_lo, s12
	v_add_f32_e32 v14, 0, v84
	v_add_f32_e32 v15, 0, v80
	v_mov_b32_e32 v67, v28
	v_mov_b32_e32 v83, v84
	v_mov_b32_e32 v66, v27
	v_ashrrev_i32_e32 v19, 31, v14
	v_ashrrev_i32_e32 v20, 31, v15
	s_mov_b32 s12, exec_lo
	v_or_b32_e32 v19, 0x80000000, v19
	v_or_b32_e32 v20, 0x80000000, v20
	v_xor_b32_e32 v14, v19, v14
	v_xor_b32_e32 v15, v20, v15
	;; [unrolled: 22-line block ×5, first 2 shown]
	v_cmpx_gt_u32_e64 v14, v15
; %bb.195:
	v_mov_b32_e32 v35, v37
	v_mov_b32_e32 v36, v38
	;; [unrolled: 1-line block ×6, first 2 shown]
; %bb.196:
	s_or_b32 exec_lo, exec_lo, s12
	v_add_f32_e32 v14, 0, v98
	v_add_f32_e32 v15, 0, v86
	v_mov_b32_e32 v26, v24
	v_mov_b32_e32 v25, v23
	s_mov_b32 s12, exec_lo
	v_ashrrev_i32_e32 v19, 31, v14
	v_ashrrev_i32_e32 v20, 31, v15
	v_or_b32_e32 v19, 0x80000000, v19
	v_or_b32_e32 v20, 0x80000000, v20
	v_xor_b32_e32 v19, v19, v14
	v_xor_b32_e32 v15, v20, v15
	v_mov_b32_e32 v14, v86
	v_cmpx_gt_u32_e64 v19, v15
; %bb.197:
	v_mov_b32_e32 v25, v48
	v_mov_b32_e32 v26, v49
	;; [unrolled: 1-line block ×6, first 2 shown]
; %bb.198:
	s_or_b32 exec_lo, exec_lo, s12
	v_add_f32_e32 v15, 0, v97
	v_add_f32_e32 v19, 0, v96
	v_mov_b32_e32 v99, v96
	s_mov_b32 s12, exec_lo
	v_ashrrev_i32_e32 v20, 31, v15
	v_ashrrev_i32_e32 v23, 31, v19
	v_or_b32_e32 v20, 0x80000000, v20
	v_or_b32_e32 v23, 0x80000000, v23
	v_xor_b32_e32 v15, v20, v15
	v_xor_b32_e32 v23, v23, v19
	v_mov_b32_e32 v20, v18
	v_mov_b32_e32 v19, v17
	v_cmpx_gt_u32_e64 v15, v23
; %bb.199:
	v_mov_b32_e32 v19, v21
	v_mov_b32_e32 v20, v22
	v_mov_b32_e32 v22, v18
	v_mov_b32_e32 v21, v17
	v_mov_b32_e32 v99, v97
	v_mov_b32_e32 v97, v96
; %bb.200:
	s_or_b32 exec_lo, exec_lo, s12
	v_add_f32_e32 v15, 0, v71
	v_add_f32_e32 v17, 0, v13
	v_mov_b32_e32 v52, v54
	v_mov_b32_e32 v69, v71
	v_mov_b32_e32 v53, v55
	v_ashrrev_i32_e32 v18, 31, v15
	v_ashrrev_i32_e32 v23, 31, v17
	s_mov_b32 s12, exec_lo
	v_or_b32_e32 v18, 0x80000000, v18
	v_or_b32_e32 v23, 0x80000000, v23
	v_xor_b32_e32 v15, v18, v15
	v_xor_b32_e32 v17, v23, v17
	v_cmpx_gt_u32_e64 v15, v17
; %bb.201:
	v_mov_b32_e32 v53, v5
	v_mov_b32_e32 v52, v4
	v_mov_b32_e32 v4, v54
	v_mov_b32_e32 v69, v13
	v_mov_b32_e32 v13, v71
	v_mov_b32_e32 v5, v55
; %bb.202:
	s_or_b32 exec_lo, exec_lo, s12
	v_add_f32_e32 v15, 0, v80
	v_add_f32_e32 v17, 0, v82
	v_mov_b32_e32 v54, v64
	v_mov_b32_e32 v71, v80
	v_mov_b32_e32 v55, v65
	v_ashrrev_i32_e32 v18, 31, v15
	v_ashrrev_i32_e32 v23, 31, v17
	s_mov_b32 s12, exec_lo
	v_or_b32_e32 v18, 0x80000000, v18
	v_or_b32_e32 v23, 0x80000000, v23
	v_xor_b32_e32 v15, v18, v15
	v_xor_b32_e32 v17, v23, v17
	;; [unrolled: 22-line block ×6, first 2 shown]
	v_cmpx_gt_u32_e64 v15, v17
; %bb.211:
	v_mov_b32_e32 v38, v36
	v_mov_b32_e32 v37, v35
	;; [unrolled: 1-line block ×6, first 2 shown]
; %bb.212:
	s_or_b32 exec_lo, exec_lo, s12
	v_add_f32_e32 v14, 0, v99
	v_add_f32_e32 v15, 0, v98
	v_mov_b32_e32 v114, v98
	s_mov_b32 s12, exec_lo
	v_ashrrev_i32_e32 v17, 31, v14
	v_ashrrev_i32_e32 v18, 31, v15
	v_or_b32_e32 v17, 0x80000000, v17
	v_or_b32_e32 v18, 0x80000000, v18
	v_xor_b32_e32 v14, v17, v14
	v_xor_b32_e32 v15, v18, v15
	v_mov_b32_e32 v17, v21
	v_mov_b32_e32 v18, v22
	v_cmpx_gt_u32_e64 v14, v15
; %bb.213:
	v_mov_b32_e32 v17, v25
	v_mov_b32_e32 v18, v26
	;; [unrolled: 1-line block ×6, first 2 shown]
; %bb.214:
	s_or_b32 exec_lo, exec_lo, s12
	v_add_f32_e32 v14, 0, v16
	v_add_f32_e32 v15, 0, v97
	v_mov_b32_e32 v113, v97
	s_mov_b32 s12, exec_lo
	v_ashrrev_i32_e32 v21, 31, v14
	v_ashrrev_i32_e32 v22, 31, v15
	v_or_b32_e32 v21, 0x80000000, v21
	v_or_b32_e32 v22, 0x80000000, v22
	v_xor_b32_e32 v21, v21, v14
	v_xor_b32_e32 v22, v22, v15
	v_mov_b32_e32 v15, v9
	v_mov_b32_e32 v14, v8
	v_cmpx_gt_u32_e64 v21, v22
; %bb.215:
	v_mov_b32_e32 v14, v19
	v_mov_b32_e32 v15, v20
	v_mov_b32_e32 v20, v9
	v_mov_b32_e32 v19, v8
	v_mov_b32_e32 v113, v16
	v_mov_b32_e32 v16, v97
; %bb.216:
	s_or_b32 exec_lo, exec_lo, s12
	v_add_f32_e32 v8, 0, v82
	v_add_f32_e32 v9, 0, v69
	v_mov_b32_e32 v48, v50
	v_mov_b32_e32 v39, v82
	v_mov_b32_e32 v49, v51
	v_ashrrev_i32_e32 v21, 31, v8
	v_ashrrev_i32_e32 v22, 31, v9
	s_mov_b32 s12, exec_lo
	v_or_b32_e32 v21, 0x80000000, v21
	v_or_b32_e32 v22, 0x80000000, v22
	v_xor_b32_e32 v8, v21, v8
	v_xor_b32_e32 v9, v22, v9
	v_cmpx_gt_u32_e64 v8, v9
; %bb.217:
	v_mov_b32_e32 v48, v52
	v_mov_b32_e32 v49, v53
	v_mov_b32_e32 v53, v51
	v_mov_b32_e32 v39, v69
	v_mov_b32_e32 v69, v82
	v_mov_b32_e32 v52, v50
; %bb.218:
	s_or_b32 exec_lo, exec_lo, s12
	v_add_f32_e32 v8, 0, v83
	v_add_f32_e32 v9, 0, v71
	v_mov_b32_e32 v50, v66
	v_mov_b32_e32 v87, v83
	v_mov_b32_e32 v51, v67
	v_ashrrev_i32_e32 v21, 31, v8
	v_ashrrev_i32_e32 v22, 31, v9
	s_mov_b32 s12, exec_lo
	v_or_b32_e32 v21, 0x80000000, v21
	v_or_b32_e32 v22, 0x80000000, v22
	v_xor_b32_e32 v8, v21, v8
	v_xor_b32_e32 v9, v22, v9
	;; [unrolled: 22-line block ×5, first 2 shown]
	v_cmpx_gt_u32_e64 v8, v9
; %bb.225:
	v_mov_b32_e32 v31, v33
	v_mov_b32_e32 v32, v34
	;; [unrolled: 1-line block ×6, first 2 shown]
; %bb.226:
	s_or_b32 exec_lo, exec_lo, s12
	v_add_f32_e32 v8, 0, v114
	v_add_f32_e32 v9, 0, v70
	v_mov_b32_e32 v23, v25
	v_mov_b32_e32 v24, v26
	s_mov_b32 s12, exec_lo
	v_ashrrev_i32_e32 v21, 31, v8
	v_ashrrev_i32_e32 v22, 31, v9
	v_or_b32_e32 v21, 0x80000000, v21
	v_or_b32_e32 v22, 0x80000000, v22
	v_xor_b32_e32 v8, v21, v8
	v_xor_b32_e32 v9, v22, v9
	v_mov_b32_e32 v21, v70
	v_cmpx_gt_u32_e64 v8, v9
; %bb.227:
	v_mov_b32_e32 v23, v37
	v_mov_b32_e32 v24, v38
	;; [unrolled: 1-line block ×6, first 2 shown]
; %bb.228:
	s_or_b32 exec_lo, exec_lo, s12
	v_add_f32_e32 v8, 0, v113
	v_add_f32_e32 v9, 0, v99
	v_mov_b32_e32 v116, v99
	s_mov_b32 s12, exec_lo
	v_ashrrev_i32_e32 v22, 31, v8
	v_ashrrev_i32_e32 v25, 31, v9
	v_or_b32_e32 v22, 0x80000000, v22
	v_or_b32_e32 v25, 0x80000000, v25
	v_xor_b32_e32 v22, v22, v8
	v_xor_b32_e32 v25, v25, v9
	v_mov_b32_e32 v8, v19
	v_mov_b32_e32 v9, v20
	v_cmpx_gt_u32_e64 v22, v25
; %bb.229:
	v_mov_b32_e32 v8, v17
	v_mov_b32_e32 v9, v18
	v_mov_b32_e32 v17, v19
	v_mov_b32_e32 v18, v20
	v_mov_b32_e32 v116, v113
	v_mov_b32_e32 v113, v99
; %bb.230:
	s_or_b32 exec_lo, exec_lo, s12
	v_add_f32_e32 v19, 0, v69
	v_add_f32_e32 v20, 0, v13
	v_mov_b32_e32 v99, v69
	v_ashrrev_i32_e32 v22, 31, v19
	v_ashrrev_i32_e32 v25, 31, v20
	v_or_b32_e32 v22, 0x80000000, v22
	v_or_b32_e32 v25, 0x80000000, v25
	v_xor_b32_e32 v19, v22, v19
	v_xor_b32_e32 v20, v25, v20
	v_cmp_gt_u32_e64 s8, v19, v20
	v_mov_b32_e32 v19, v52
	v_mov_b32_e32 v20, v53
	s_and_saveexec_b32 s12, s8
; %bb.231:
	v_mov_b32_e32 v20, v5
	v_mov_b32_e32 v19, v4
	v_mov_b32_e32 v4, v52
	v_mov_b32_e32 v99, v13
	v_mov_b32_e32 v13, v69
	v_mov_b32_e32 v5, v53
; %bb.232:
	s_or_b32 exec_lo, exec_lo, s12
	v_add_f32_e32 v22, 0, v71
	v_add_f32_e32 v25, 0, v39
	v_mov_b32_e32 v52, v71
	v_ashrrev_i32_e32 v26, 31, v22
	v_ashrrev_i32_e32 v35, 31, v25
	v_or_b32_e32 v26, 0x80000000, v26
	v_or_b32_e32 v35, 0x80000000, v35
	v_xor_b32_e32 v22, v26, v22
	v_xor_b32_e32 v25, v35, v25
	v_cmp_gt_u32_e64 s8, v22, v25
	v_mov_b32_e32 v25, v54
	v_mov_b32_e32 v26, v55
	s_and_saveexec_b32 s12, s8
	;; [unrolled: 22-line block ×3, first 2 shown]
; %bb.235:
	v_mov_b32_e32 v35, v50
	v_mov_b32_e32 v36, v51
	;; [unrolled: 1-line block ×6, first 2 shown]
; %bb.236:
	s_or_b32 exec_lo, exec_lo, s12
	v_add_f32_e32 v22, 0, v81
	v_add_f32_e32 v53, 0, v96
	v_mov_b32_e32 v71, v30
	v_mov_b32_e32 v70, v29
	s_mov_b32 s12, exec_lo
	v_ashrrev_i32_e32 v55, 31, v22
	v_ashrrev_i32_e32 v64, 31, v53
	v_or_b32_e32 v55, 0x80000000, v55
	v_or_b32_e32 v64, 0x80000000, v64
	v_xor_b32_e32 v22, v55, v22
	v_xor_b32_e32 v53, v64, v53
	v_mov_b32_e32 v64, v81
	v_cmpx_gt_u32_e64 v22, v53
; %bb.237:
	v_mov_b32_e32 v71, v67
	v_mov_b32_e32 v70, v66
	;; [unrolled: 1-line block ×6, first 2 shown]
; %bb.238:
	s_or_b32 exec_lo, exec_lo, s12
	v_add_f32_e32 v22, 0, v86
	v_add_f32_e32 v29, 0, v97
	v_mov_b32_e32 v112, v86
	v_ashrrev_i32_e32 v30, 31, v22
	v_ashrrev_i32_e32 v53, 31, v29
	v_or_b32_e32 v30, 0x80000000, v30
	v_or_b32_e32 v53, 0x80000000, v53
	v_xor_b32_e32 v22, v30, v22
	v_xor_b32_e32 v29, v53, v29
	v_cmp_gt_u32_e64 s8, v22, v29
	v_mov_b32_e32 v29, v33
	v_mov_b32_e32 v30, v34
	s_and_saveexec_b32 s12, s8
; %bb.239:
	v_mov_b32_e32 v30, v28
	v_mov_b32_e32 v29, v27
	;; [unrolled: 1-line block ×6, first 2 shown]
; %bb.240:
	s_or_b32 exec_lo, exec_lo, s12
	v_add_f32_e32 v22, 0, v21
	v_add_f32_e32 v33, 0, v98
	v_mov_b32_e32 v81, v38
	v_mov_b32_e32 v80, v37
	s_mov_b32 s12, exec_lo
	v_ashrrev_i32_e32 v34, 31, v22
	v_ashrrev_i32_e32 v53, 31, v33
	v_or_b32_e32 v34, 0x80000000, v34
	v_or_b32_e32 v53, 0x80000000, v53
	v_xor_b32_e32 v22, v34, v22
	v_xor_b32_e32 v34, v53, v33
	v_mov_b32_e32 v33, v21
	v_cmpx_gt_u32_e64 v22, v34
; %bb.241:
	v_mov_b32_e32 v81, v32
	v_mov_b32_e32 v80, v31
	;; [unrolled: 1-line block ×6, first 2 shown]
; %bb.242:
	s_or_b32 exec_lo, exec_lo, s12
	v_add_f32_e32 v21, 0, v116
	v_add_f32_e32 v22, 0, v114
	v_mov_b32_e32 v118, v114
	s_mov_b32 s12, exec_lo
	v_ashrrev_i32_e32 v34, 31, v21
	v_ashrrev_i32_e32 v37, 31, v22
	v_or_b32_e32 v34, 0x80000000, v34
	v_or_b32_e32 v37, 0x80000000, v37
	v_xor_b32_e32 v34, v34, v21
	v_xor_b32_e32 v37, v37, v22
	v_mov_b32_e32 v22, v18
	v_mov_b32_e32 v21, v17
	v_cmpx_gt_u32_e64 v34, v37
; %bb.243:
	v_mov_b32_e32 v21, v23
	v_mov_b32_e32 v22, v24
	;; [unrolled: 1-line block ×6, first 2 shown]
; %bb.244:
	s_or_b32 exec_lo, exec_lo, s12
	v_add_f32_e32 v17, 0, v16
	v_add_f32_e32 v18, 0, v113
	v_mov_b32_e32 v117, v113
	s_mov_b32 s12, exec_lo
	v_ashrrev_i32_e32 v34, 31, v17
	v_ashrrev_i32_e32 v37, 31, v18
	v_or_b32_e32 v34, 0x80000000, v34
	v_or_b32_e32 v37, 0x80000000, v37
	v_xor_b32_e32 v34, v34, v17
	v_xor_b32_e32 v37, v37, v18
	v_mov_b32_e32 v18, v15
	v_mov_b32_e32 v17, v14
	v_cmpx_gt_u32_e64 v34, v37
; %bb.245:
	v_mov_b32_e32 v18, v9
	v_mov_b32_e32 v17, v8
	;; [unrolled: 1-line block ×6, first 2 shown]
; %bb.246:
	s_or_b32 exec_lo, exec_lo, s12
	v_add_f32_e32 v14, 0, v39
	v_add_f32_e32 v15, 0, v99
	v_mov_b32_e32 v83, v49
	v_mov_b32_e32 v82, v48
	s_mov_b32 s12, exec_lo
	v_ashrrev_i32_e32 v34, 31, v14
	v_ashrrev_i32_e32 v37, 31, v15
	v_or_b32_e32 v34, 0x80000000, v34
	v_or_b32_e32 v37, 0x80000000, v37
	v_xor_b32_e32 v14, v34, v14
	v_xor_b32_e32 v34, v37, v15
	v_mov_b32_e32 v15, v39
	v_cmpx_gt_u32_e64 v14, v34
; %bb.247:
	v_mov_b32_e32 v83, v20
	v_mov_b32_e32 v82, v19
	;; [unrolled: 1-line block ×6, first 2 shown]
; %bb.248:
	s_or_b32 exec_lo, exec_lo, s12
	v_add_f32_e32 v14, 0, v87
	v_add_f32_e32 v34, 0, v52
	v_mov_b32_e32 v48, v50
	v_mov_b32_e32 v49, v51
	s_mov_b32 s12, exec_lo
	v_ashrrev_i32_e32 v37, 31, v14
	v_ashrrev_i32_e32 v38, 31, v34
	v_or_b32_e32 v37, 0x80000000, v37
	v_or_b32_e32 v38, 0x80000000, v38
	v_xor_b32_e32 v14, v37, v14
	v_xor_b32_e32 v37, v38, v34
	v_mov_b32_e32 v34, v87
	v_cmpx_gt_u32_e64 v14, v37
; %bb.249:
	v_mov_b32_e32 v49, v26
	v_mov_b32_e32 v48, v25
	v_mov_b32_e32 v25, v50
	v_mov_b32_e32 v34, v52
	v_mov_b32_e32 v52, v87
	v_mov_b32_e32 v26, v51
; %bb.250:
	s_or_b32 exec_lo, exec_lo, s12
	v_add_f32_e32 v14, 0, v96
	v_add_f32_e32 v37, 0, v54
	v_mov_b32_e32 v85, v67
	v_mov_b32_e32 v113, v96
	v_mov_b32_e32 v84, v66
	v_ashrrev_i32_e32 v38, 31, v14
	v_ashrrev_i32_e32 v39, 31, v37
	s_mov_b32 s12, exec_lo
	v_or_b32_e32 v38, 0x80000000, v38
	v_or_b32_e32 v39, 0x80000000, v39
	v_xor_b32_e32 v14, v38, v14
	v_xor_b32_e32 v37, v39, v37
	v_cmpx_gt_u32_e64 v14, v37
; %bb.251:
	v_mov_b32_e32 v85, v36
	v_mov_b32_e32 v84, v35
	v_mov_b32_e32 v35, v66
	v_mov_b32_e32 v113, v54
	v_mov_b32_e32 v54, v96
	v_mov_b32_e32 v36, v67
; %bb.252:
	s_or_b32 exec_lo, exec_lo, s12
	v_add_f32_e32 v14, 0, v97
	v_add_f32_e32 v37, 0, v64
	v_mov_b32_e32 v87, v28
	v_mov_b32_e32 v114, v97
	v_mov_b32_e32 v86, v27
	v_ashrrev_i32_e32 v38, 31, v14
	v_ashrrev_i32_e32 v39, 31, v37
	s_mov_b32 s12, exec_lo
	v_or_b32_e32 v38, 0x80000000, v38
	v_or_b32_e32 v39, 0x80000000, v39
	v_xor_b32_e32 v14, v38, v14
	v_xor_b32_e32 v37, v39, v37
	;; [unrolled: 22-line block ×5, first 2 shown]
	v_cmpx_gt_u32_e64 v14, v23
; %bb.259:
	v_mov_b32_e32 v39, v22
	v_mov_b32_e32 v38, v21
	;; [unrolled: 1-line block ×6, first 2 shown]
; %bb.260:
	s_or_b32 exec_lo, exec_lo, s12
	v_add_f32_e32 v8, 0, v99
	v_add_f32_e32 v9, 0, v13
	v_ashrrev_i32_e32 v14, 31, v8
	v_ashrrev_i32_e32 v23, 31, v9
	v_or_b32_e32 v14, 0x80000000, v14
	v_or_b32_e32 v23, 0x80000000, v23
	v_xor_b32_e32 v8, v14, v8
	v_xor_b32_e32 v9, v23, v9
	v_mov_b32_e32 v14, v99
	v_cmp_gt_u32_e64 s8, v8, v9
	v_mov_b32_e32 v8, v19
	v_mov_b32_e32 v9, v20
	s_and_saveexec_b32 s12, s8
; %bb.261:
	v_mov_b32_e32 v9, v5
	v_mov_b32_e32 v8, v4
	;; [unrolled: 1-line block ×6, first 2 shown]
; %bb.262:
	s_or_b32 exec_lo, exec_lo, s12
	v_add_f32_e32 v19, 0, v52
	v_add_f32_e32 v20, 0, v15
	v_mov_b32_e32 v53, v52
	v_ashrrev_i32_e32 v23, 31, v19
	v_ashrrev_i32_e32 v24, 31, v20
	v_or_b32_e32 v23, 0x80000000, v23
	v_or_b32_e32 v24, 0x80000000, v24
	v_xor_b32_e32 v19, v23, v19
	v_xor_b32_e32 v20, v24, v20
	v_cmp_gt_u32_e64 s8, v19, v20
	v_mov_b32_e32 v19, v25
	v_mov_b32_e32 v20, v26
	s_and_saveexec_b32 s12, s8
; %bb.263:
	v_mov_b32_e32 v19, v82
	v_mov_b32_e32 v20, v83
	;; [unrolled: 1-line block ×6, first 2 shown]
; %bb.264:
	s_or_b32 exec_lo, exec_lo, s12
	v_add_f32_e32 v23, 0, v54
	v_add_f32_e32 v24, 0, v34
	v_mov_b32_e32 v55, v54
	v_ashrrev_i32_e32 v25, 31, v23
	v_ashrrev_i32_e32 v26, 31, v24
	v_or_b32_e32 v25, 0x80000000, v25
	v_or_b32_e32 v26, 0x80000000, v26
	v_xor_b32_e32 v23, v25, v23
	v_xor_b32_e32 v24, v26, v24
	v_cmp_gt_u32_e64 s8, v23, v24
	v_mov_b32_e32 v23, v35
	v_mov_b32_e32 v24, v36
	s_and_saveexec_b32 s12, s8
; %bb.265:
	v_mov_b32_e32 v23, v48
	v_mov_b32_e32 v24, v49
	;; [unrolled: 1-line block ×6, first 2 shown]
; %bb.266:
	s_or_b32 exec_lo, exec_lo, s12
	v_add_f32_e32 v25, 0, v64
	v_add_f32_e32 v26, 0, v113
	v_mov_b32_e32 v65, v64
	s_mov_b32 s12, exec_lo
	v_ashrrev_i32_e32 v27, 31, v25
	v_ashrrev_i32_e32 v28, 31, v26
	v_or_b32_e32 v27, 0x80000000, v27
	v_or_b32_e32 v28, 0x80000000, v28
	v_xor_b32_e32 v25, v27, v25
	v_xor_b32_e32 v26, v28, v26
	v_mov_b32_e32 v27, v70
	v_mov_b32_e32 v28, v71
	v_cmpx_gt_u32_e64 v25, v26
; %bb.267:
	v_mov_b32_e32 v27, v84
	v_mov_b32_e32 v28, v85
	;; [unrolled: 1-line block ×6, first 2 shown]
; %bb.268:
	s_or_b32 exec_lo, exec_lo, s12
	v_add_f32_e32 v26, 0, v114
	v_add_f32_e32 v25, 0, v112
	v_mov_b32_e32 v67, v112
	s_mov_b32 s12, exec_lo
	v_ashrrev_i32_e32 v32, 31, v26
	v_ashrrev_i32_e32 v31, 31, v25
	v_or_b32_e32 v32, 0x80000000, v32
	v_or_b32_e32 v31, 0x80000000, v31
	v_xor_b32_e32 v26, v32, v26
	v_mov_b32_e32 v33, v30
	v_xor_b32_e32 v25, v31, v25
	v_mov_b32_e32 v32, v29
	v_cmpx_gt_u32_e64 v25, v26
; %bb.269:
	v_mov_b32_e32 v32, v86
	v_mov_b32_e32 v33, v87
	v_mov_b32_e32 v87, v30
	v_mov_b32_e32 v67, v114
	v_mov_b32_e32 v114, v112
	v_mov_b32_e32 v86, v29
; %bb.270:
	s_or_b32 exec_lo, exec_lo, s12
	v_add_f32_e32 v25, 0, v50
	v_add_f32_e32 v26, 0, v115
	v_mov_b32_e32 v36, v80
	v_mov_b32_e32 v31, v50
	v_mov_b32_e32 v37, v81
	v_ashrrev_i32_e32 v29, 31, v25
	v_ashrrev_i32_e32 v30, 31, v26
	s_mov_b32 s12, exec_lo
	v_or_b32_e32 v29, 0x80000000, v29
	v_or_b32_e32 v30, 0x80000000, v30
	v_xor_b32_e32 v25, v29, v25
	v_xor_b32_e32 v26, v30, v26
	v_cmpx_gt_u32_e64 v25, v26
; %bb.271:
	v_mov_b32_e32 v36, v96
	v_mov_b32_e32 v37, v97
	v_mov_b32_e32 v97, v81
	v_mov_b32_e32 v31, v115
	v_mov_b32_e32 v115, v50
	v_mov_b32_e32 v96, v80
; %bb.272:
	s_or_b32 exec_lo, exec_lo, s12
	v_add_f32_e32 v25, 0, v51
	v_add_f32_e32 v26, 0, v118
	v_mov_b32_e32 v99, v22
	v_mov_b32_e32 v98, v21
	v_mov_b32_e32 v50, v118
	v_ashrrev_i32_e32 v29, 31, v25
	v_ashrrev_i32_e32 v30, 31, v26
	s_mov_b32 s12, exec_lo
	v_or_b32_e32 v29, 0x80000000, v29
	v_or_b32_e32 v30, 0x80000000, v30
	v_xor_b32_e32 v25, v29, v25
	v_xor_b32_e32 v26, v30, v26
	;; [unrolled: 22-line block ×3, first 2 shown]
	v_cmpx_gt_u32_e64 v21, v22
; %bb.275:
	v_mov_b32_e32 v81, v39
	v_mov_b32_e32 v80, v38
	v_mov_b32_e32 v39, v18
	v_mov_b32_e32 v38, v17
	v_mov_b32_e32 v112, v16
	v_mov_b32_e32 v16, v117
; %bb.276:
	s_or_b32 exec_lo, exec_lo, s12
	v_add_f32_e32 v17, 0, v15
	v_add_f32_e32 v18, 0, v14
	v_mov_b32_e32 v52, v15
	v_ashrrev_i32_e32 v21, 31, v17
	v_ashrrev_i32_e32 v22, 31, v18
	v_or_b32_e32 v21, 0x80000000, v21
	v_or_b32_e32 v22, 0x80000000, v22
	v_xor_b32_e32 v17, v21, v17
	v_xor_b32_e32 v18, v22, v18
	v_cmp_gt_u32_e64 s8, v17, v18
	v_mov_b32_e32 v17, v82
	v_mov_b32_e32 v18, v83
	s_and_saveexec_b32 s12, s8
; %bb.277:
	v_mov_b32_e32 v18, v9
	v_mov_b32_e32 v17, v8
	v_mov_b32_e32 v8, v82
	v_mov_b32_e32 v52, v14
	v_mov_b32_e32 v14, v15
	v_mov_b32_e32 v9, v83
; %bb.278:
	s_or_b32 exec_lo, exec_lo, s12
	v_add_f32_e32 v15, 0, v34
	v_add_f32_e32 v21, 0, v53
	v_mov_b32_e32 v54, v34
	v_ashrrev_i32_e32 v22, 31, v15
	v_ashrrev_i32_e32 v25, 31, v21
	v_or_b32_e32 v22, 0x80000000, v22
	v_or_b32_e32 v25, 0x80000000, v25
	v_xor_b32_e32 v15, v22, v15
	v_xor_b32_e32 v21, v25, v21
	v_cmp_gt_u32_e64 s8, v15, v21
	v_mov_b32_e32 v21, v48
	v_mov_b32_e32 v22, v49
	s_and_saveexec_b32 s12, s8
	;; [unrolled: 22-line block ×5, first 2 shown]
; %bb.285:
	v_mov_b32_e32 v35, v33
	v_mov_b32_e32 v34, v32
	;; [unrolled: 1-line block ×6, first 2 shown]
; %bb.286:
	s_or_b32 exec_lo, exec_lo, s12
	v_add_f32_e32 v15, 0, v50
	v_add_f32_e32 v48, 0, v31
	v_ashrrev_i32_e32 v49, 31, v15
	v_ashrrev_i32_e32 v71, 31, v48
	v_or_b32_e32 v49, 0x80000000, v49
	v_or_b32_e32 v71, 0x80000000, v71
	v_xor_b32_e32 v15, v49, v15
	v_xor_b32_e32 v48, v71, v48
	v_mov_b32_e32 v71, v31
	v_cmp_gt_u32_e64 s8, v15, v48
	v_mov_b32_e32 v48, v68
	v_mov_b32_e32 v49, v69
	s_and_saveexec_b32 s12, s8
; %bb.287:
	v_mov_b32_e32 v49, v37
	v_mov_b32_e32 v48, v36
	;; [unrolled: 1-line block ×6, first 2 shown]
; %bb.288:
	s_or_b32 exec_lo, exec_lo, s12
	v_add_f32_e32 v15, 0, v112
	v_add_f32_e32 v31, 0, v51
	v_ashrrev_i32_e32 v68, 31, v15
	v_ashrrev_i32_e32 v69, 31, v31
	v_or_b32_e32 v68, 0x80000000, v68
	v_or_b32_e32 v69, 0x80000000, v69
	v_xor_b32_e32 v68, v68, v15
	v_xor_b32_e32 v31, v69, v31
	v_mov_b32_e32 v15, v112
	v_cmp_gt_u32_e64 s8, v68, v31
	v_mov_b32_e32 v68, v98
	v_mov_b32_e32 v69, v99
	s_and_saveexec_b32 s12, s8
; %bb.289:
	v_mov_b32_e32 v69, v39
	v_mov_b32_e32 v68, v38
	;; [unrolled: 1-line block ×6, first 2 shown]
; %bb.290:
	s_or_b32 exec_lo, exec_lo, s12
.LBB1335_291:
	s_or_b32 exec_lo, exec_lo, s9
	v_and_b32_e32 v82, 0xfffffe00, v103
	v_or_b32_e32 v85, 16, v102
	v_and_b32_e32 v86, 16, v102
	v_and_b32_e32 v116, 0x1e0, v102
	s_mov_b32 s9, exec_lo
	v_sub_nc_u32_e64 v84, 0x1000, v82 clamp
	v_lshlrev_b32_e32 v31, 2, v82
	v_min_u32_e32 v112, v84, v85
	v_add_nc_u32_e32 v82, v31, v31
	v_min_u32_e32 v117, v84, v86
	v_lshl_or_b32 v83, v102, 2, v31
	ds_write2_b64 v83, v[13:14], v[52:53] offset1:1
	ds_write2_b64 v83, v[54:55], v[64:65] offset0:2 offset1:3
	ds_write2_b64 v83, v[66:67], v[70:71] offset0:4 offset1:5
	v_add_nc_u32_e32 v85, 16, v112
	v_lshl_add_u32 v97, v102, 3, v82
	v_sub_nc_u32_e32 v115, v112, v116
	v_min_u32_e32 v113, v84, v85
	v_add_nc_u32_e32 v103, 0x4000, v97
	v_add_nc_u32_e32 v98, 0x4010, v97
	v_add_nc_u32_e32 v99, 0x4020, v97
	v_add_nc_u32_e32 v87, 0x4030, v97
	v_sub_nc_u32_e32 v114, v113, v112
	v_add_nc_u32_e32 v96, 0x4040, v97
	v_add_nc_u32_e32 v85, 0x4050, v97
	;; [unrolled: 1-line block ×3, first 2 shown]
	v_min_u32_e32 v118, v117, v115
	v_sub_nc_u32_e64 v114, v117, v114 clamp
	v_add_nc_u32_e32 v97, 0x4070, v97
	v_lshl_or_b32 v115, v116, 2, v31
	ds_write2_b64 v103, v[4:5], v[8:9] offset1:1
	ds_write2_b64 v98, v[17:18], v[19:20] offset1:1
	;; [unrolled: 1-line block ×7, first 2 shown]
	ds_write2_b64 v83, v[50:51], v[15:16] offset0:6 offset1:7
	ds_write2_b64 v97, v[38:39], v[80:81] offset1:1
	; wave barrier
	v_cmpx_lt_u32_e64 v114, v118
	s_cbranch_execz .LBB1335_295
; %bb.292:
	v_lshlrev_b32_e32 v119, 2, v112
	v_lshlrev_b32_e32 v128, 2, v117
	s_mov_b32 s12, 0
	v_add3_u32 v119, v31, v119, v128
	s_inst_prefetch 0x1
	.p2align	6
.LBB1335_293:                           ; =>This Inner Loop Header: Depth=1
	v_add_nc_u32_e32 v128, v118, v114
	v_lshrrev_b32_e32 v128, 1, v128
	v_not_b32_e32 v129, v128
	v_lshl_add_u32 v130, v128, 2, v115
	v_lshl_add_u32 v129, v129, 2, v119
	ds_read_b32 v130, v130
	ds_read_b32 v129, v129
	s_waitcnt lgkmcnt(1)
	v_add_f32_e32 v130, 0, v130
	s_waitcnt lgkmcnt(0)
	v_add_f32_e32 v129, 0, v129
	v_ashrrev_i32_e32 v131, 31, v130
	v_ashrrev_i32_e32 v132, 31, v129
	v_or_b32_e32 v131, 0x80000000, v131
	v_or_b32_e32 v132, 0x80000000, v132
	v_xor_b32_e32 v130, v131, v130
	v_xor_b32_e32 v129, v132, v129
	v_add_nc_u32_e32 v131, 1, v128
	v_cmp_gt_u32_e64 s8, v129, v130
	v_cndmask_b32_e64 v118, v118, v128, s8
	v_cndmask_b32_e64 v114, v131, v114, s8
	v_cmp_ge_u32_e64 s8, v114, v118
	s_or_b32 s12, s8, s12
	s_andn2_b32 exec_lo, exec_lo, s12
	s_cbranch_execnz .LBB1335_293
; %bb.294:
	s_inst_prefetch 0x2
	s_or_b32 exec_lo, exec_lo, s12
.LBB1335_295:
	s_or_b32 exec_lo, exec_lo, s9
	v_add_nc_u32_e32 v117, v112, v117
	v_add_nc_u32_e32 v116, v114, v116
	v_sub_nc_u32_e32 v117, v117, v114
	v_cmp_le_u32_e64 s8, v116, v112
	v_cmp_le_u32_e64 s9, v117, v113
	s_or_b32 s8, s8, s9
	s_and_saveexec_b32 s12, s8
	s_cbranch_execz .LBB1335_363
; %bb.296:
	v_cmp_ge_u32_e64 s8, v116, v112
	s_mov_b32 s13, exec_lo
                                        ; implicit-def: $vgpr13
	v_cmpx_lt_u32_e64 v116, v112
; %bb.297:
	v_lshl_add_u32 v4, v114, 2, v115
	ds_read_b32 v13, v4
; %bb.298:
	s_or_b32 exec_lo, exec_lo, s13
	v_cmp_ge_u32_e64 s13, v117, v113
	s_mov_b32 s23, exec_lo
                                        ; implicit-def: $vgpr16
	v_cmpx_lt_u32_e64 v117, v113
; %bb.299:
	v_lshl_add_u32 v4, v117, 2, v31
	ds_read_b32 v16, v4
; %bb.300:
	s_or_b32 exec_lo, exec_lo, s23
	s_nor_b32 s8, s8, s13
	s_and_saveexec_b32 s9, s8
	s_cbranch_execz .LBB1335_302
; %bb.301:
	s_waitcnt lgkmcnt(0)
	v_add_f32_e32 v4, 0, v16
	v_add_f32_e32 v5, 0, v13
	s_andn2_b32 s13, s13, exec_lo
	v_ashrrev_i32_e32 v8, 31, v4
	v_ashrrev_i32_e32 v9, 31, v5
	v_or_b32_e32 v8, 0x80000000, v8
	v_or_b32_e32 v9, 0x80000000, v9
	v_xor_b32_e32 v4, v8, v4
	v_xor_b32_e32 v5, v9, v5
	v_cmp_le_u32_e64 s8, v4, v5
	s_and_b32 s8, s8, exec_lo
	s_or_b32 s13, s13, s8
.LBB1335_302:
	s_or_b32 exec_lo, exec_lo, s9
	v_cndmask_b32_e64 v4, v117, v116, s13
	v_cndmask_b32_e64 v5, v113, v112, s13
	s_mov_b32 s23, -1
	s_mov_b32 s9, -1
	s_mov_b32 s24, exec_lo
	v_add_nc_u32_e32 v8, 1, v4
	v_add_nc_u32_e32 v5, -1, v5
	v_lshl_add_u32 v4, v4, 3, v82
	v_cndmask_b32_e64 v15, v8, v117, s13
	v_min_u32_e32 v5, v8, v5
	v_cndmask_b32_e64 v17, v116, v8, s13
	v_lshl_add_u32 v5, v5, 2, v31
	ds_read_b32 v9, v5
	ds_read_b64 v[4:5], v4 offset:16384
	s_waitcnt lgkmcnt(1)
	v_cndmask_b32_e64 v14, v9, v16, s13
	v_cndmask_b32_e64 v114, v13, v9, s13
	v_cmpx_lt_u32_e64 v15, v113
	s_cbranch_execz .LBB1335_306
; %bb.303:
	s_mov_b32 s25, 0
	s_mov_b32 s9, exec_lo
	v_cmpx_lt_u32_e64 v17, v112
	s_cbranch_execz .LBB1335_305
; %bb.304:
	v_add_f32_e32 v8, 0, v14
	v_add_f32_e32 v9, 0, v114
	v_ashrrev_i32_e32 v18, 31, v8
	v_ashrrev_i32_e32 v19, 31, v9
	v_or_b32_e32 v18, 0x80000000, v18
	v_or_b32_e32 v19, 0x80000000, v19
	v_xor_b32_e32 v8, v18, v8
	v_xor_b32_e32 v9, v19, v9
	v_cmp_le_u32_e64 s8, v8, v9
	s_and_b32 s25, s8, exec_lo
.LBB1335_305:
	s_or_b32 exec_lo, exec_lo, s9
	s_orn2_b32 s9, s25, exec_lo
.LBB1335_306:
	s_or_b32 exec_lo, exec_lo, s24
	v_cndmask_b32_e64 v8, v15, v17, s9
	v_cndmask_b32_e64 v9, v113, v112, s9
	s_mov_b32 s24, exec_lo
	v_add_nc_u32_e32 v18, 1, v8
	v_add_nc_u32_e32 v9, -1, v9
	v_lshl_add_u32 v8, v8, 3, v82
	v_cndmask_b32_e64 v15, v18, v15, s9
	v_min_u32_e32 v9, v18, v9
	v_cndmask_b32_e64 v19, v17, v18, s9
	v_lshl_add_u32 v9, v9, 2, v31
	ds_read_b32 v20, v9
	ds_read_b64 v[8:9], v8 offset:16384
	s_waitcnt lgkmcnt(1)
	v_cndmask_b32_e64 v52, v20, v14, s9
	v_cndmask_b32_e64 v115, v114, v20, s9
	v_cmpx_lt_u32_e64 v15, v113
	s_cbranch_execz .LBB1335_310
; %bb.307:
	s_mov_b32 s25, 0
	s_mov_b32 s23, exec_lo
	v_cmpx_lt_u32_e64 v19, v112
	s_cbranch_execz .LBB1335_309
; %bb.308:
	v_add_f32_e32 v17, 0, v52
	v_add_f32_e32 v18, 0, v115
	v_ashrrev_i32_e32 v20, 31, v17
	v_ashrrev_i32_e32 v21, 31, v18
	v_or_b32_e32 v20, 0x80000000, v20
	v_or_b32_e32 v21, 0x80000000, v21
	v_xor_b32_e32 v17, v20, v17
	v_xor_b32_e32 v18, v21, v18
	v_cmp_le_u32_e64 s8, v17, v18
	s_and_b32 s25, s8, exec_lo
.LBB1335_309:
	s_or_b32 exec_lo, exec_lo, s23
	s_orn2_b32 s23, s25, exec_lo
.LBB1335_310:
	s_or_b32 exec_lo, exec_lo, s24
	v_cndmask_b32_e64 v17, v15, v19, s23
	v_cndmask_b32_e64 v18, v113, v112, s23
	s_mov_b32 s25, -1
	s_mov_b32 s24, -1
	s_mov_b32 s26, exec_lo
	v_add_nc_u32_e32 v20, 1, v17
	v_add_nc_u32_e32 v18, -1, v18
	v_lshl_add_u32 v17, v17, 3, v82
	v_cndmask_b32_e64 v15, v20, v15, s23
	v_min_u32_e32 v18, v20, v18
	v_cndmask_b32_e64 v21, v19, v20, s23
	v_lshl_add_u32 v18, v18, 2, v31
	ds_read_b32 v22, v18
	ds_read_b64 v[17:18], v17 offset:16384
	s_waitcnt lgkmcnt(1)
	v_cndmask_b32_e64 v53, v22, v52, s23
	v_cndmask_b32_e64 v116, v115, v22, s23
	v_cmpx_lt_u32_e64 v15, v113
	s_cbranch_execz .LBB1335_314
; %bb.311:
	s_mov_b32 s27, 0
	s_mov_b32 s24, exec_lo
	v_cmpx_lt_u32_e64 v21, v112
	s_cbranch_execz .LBB1335_313
; %bb.312:
	v_add_f32_e32 v19, 0, v53
	v_add_f32_e32 v20, 0, v116
	v_ashrrev_i32_e32 v22, 31, v19
	v_ashrrev_i32_e32 v23, 31, v20
	v_or_b32_e32 v22, 0x80000000, v22
	v_or_b32_e32 v23, 0x80000000, v23
	v_xor_b32_e32 v19, v22, v19
	v_xor_b32_e32 v20, v23, v20
	v_cmp_le_u32_e64 s8, v19, v20
	s_and_b32 s27, s8, exec_lo
.LBB1335_313:
	s_or_b32 exec_lo, exec_lo, s24
	s_orn2_b32 s24, s27, exec_lo
.LBB1335_314:
	s_or_b32 exec_lo, exec_lo, s26
	v_cndmask_b32_e64 v19, v15, v21, s24
	v_cndmask_b32_e64 v20, v113, v112, s24
	s_mov_b32 s26, exec_lo
	v_add_nc_u32_e32 v22, 1, v19
	v_add_nc_u32_e32 v20, -1, v20
	v_lshl_add_u32 v19, v19, 3, v82
	v_cndmask_b32_e64 v15, v22, v15, s24
	v_min_u32_e32 v20, v22, v20
	v_cndmask_b32_e64 v23, v21, v22, s24
	v_lshl_add_u32 v20, v20, 2, v31
	ds_read_b32 v24, v20
	ds_read_b64 v[19:20], v19 offset:16384
	s_waitcnt lgkmcnt(1)
	v_cndmask_b32_e64 v54, v24, v53, s24
	v_cndmask_b32_e64 v117, v116, v24, s24
	v_cmpx_lt_u32_e64 v15, v113
	s_cbranch_execz .LBB1335_318
; %bb.315:
	s_mov_b32 s27, 0
	s_mov_b32 s25, exec_lo
	v_cmpx_lt_u32_e64 v23, v112
	s_cbranch_execz .LBB1335_317
; %bb.316:
	v_add_f32_e32 v21, 0, v54
	v_add_f32_e32 v22, 0, v117
	v_ashrrev_i32_e32 v24, 31, v21
	v_ashrrev_i32_e32 v25, 31, v22
	v_or_b32_e32 v24, 0x80000000, v24
	v_or_b32_e32 v25, 0x80000000, v25
	v_xor_b32_e32 v21, v24, v21
	v_xor_b32_e32 v22, v25, v22
	v_cmp_le_u32_e64 s8, v21, v22
	s_and_b32 s27, s8, exec_lo
.LBB1335_317:
	s_or_b32 exec_lo, exec_lo, s25
	s_orn2_b32 s25, s27, exec_lo
.LBB1335_318:
	s_or_b32 exec_lo, exec_lo, s26
	v_cndmask_b32_e64 v21, v15, v23, s25
	v_cndmask_b32_e64 v22, v113, v112, s25
	s_mov_b32 s27, -1
	s_mov_b32 s26, -1
	s_mov_b32 s28, exec_lo
	v_add_nc_u32_e32 v24, 1, v21
	v_add_nc_u32_e32 v22, -1, v22
	v_lshl_add_u32 v21, v21, 3, v82
	v_cndmask_b32_e64 v15, v24, v15, s25
	v_min_u32_e32 v22, v24, v22
	v_cndmask_b32_e64 v25, v23, v24, s25
	v_lshl_add_u32 v22, v22, 2, v31
	ds_read_b32 v26, v22
	ds_read_b64 v[21:22], v21 offset:16384
	s_waitcnt lgkmcnt(1)
	v_cndmask_b32_e64 v55, v26, v54, s25
	v_cndmask_b32_e64 v118, v117, v26, s25
	v_cmpx_lt_u32_e64 v15, v113
	s_cbranch_execz .LBB1335_322
; %bb.319:
	s_mov_b32 s29, 0
	s_mov_b32 s26, exec_lo
	v_cmpx_lt_u32_e64 v25, v112
	s_cbranch_execz .LBB1335_321
; %bb.320:
	v_add_f32_e32 v23, 0, v55
	v_add_f32_e32 v24, 0, v118
	v_ashrrev_i32_e32 v26, 31, v23
	v_ashrrev_i32_e32 v27, 31, v24
	v_or_b32_e32 v26, 0x80000000, v26
	v_or_b32_e32 v27, 0x80000000, v27
	v_xor_b32_e32 v23, v26, v23
	v_xor_b32_e32 v24, v27, v24
	v_cmp_le_u32_e64 s8, v23, v24
	s_and_b32 s29, s8, exec_lo
.LBB1335_321:
	s_or_b32 exec_lo, exec_lo, s26
	s_orn2_b32 s26, s29, exec_lo
.LBB1335_322:
	s_or_b32 exec_lo, exec_lo, s28
	v_cndmask_b32_e64 v23, v15, v25, s26
	v_cndmask_b32_e64 v24, v113, v112, s26
	s_mov_b32 s28, exec_lo
	v_add_nc_u32_e32 v26, 1, v23
	v_add_nc_u32_e32 v24, -1, v24
	v_lshl_add_u32 v23, v23, 3, v82
	v_cndmask_b32_e64 v15, v26, v15, s26
	v_min_u32_e32 v24, v26, v24
	v_cndmask_b32_e64 v27, v25, v26, s26
	v_lshl_add_u32 v24, v24, 2, v31
	ds_read_b32 v28, v24
	ds_read_b64 v[23:24], v23 offset:16384
	s_waitcnt lgkmcnt(1)
	v_cndmask_b32_e64 v64, v28, v55, s26
	v_cndmask_b32_e64 v119, v118, v28, s26
	v_cmpx_lt_u32_e64 v15, v113
	s_cbranch_execz .LBB1335_326
; %bb.323:
	s_mov_b32 s29, 0
	s_mov_b32 s27, exec_lo
	v_cmpx_lt_u32_e64 v27, v112
	s_cbranch_execz .LBB1335_325
; %bb.324:
	v_add_f32_e32 v25, 0, v64
	v_add_f32_e32 v26, 0, v119
	v_ashrrev_i32_e32 v28, 31, v25
	v_ashrrev_i32_e32 v29, 31, v26
	v_or_b32_e32 v28, 0x80000000, v28
	v_or_b32_e32 v29, 0x80000000, v29
	v_xor_b32_e32 v25, v28, v25
	v_xor_b32_e32 v26, v29, v26
	v_cmp_le_u32_e64 s8, v25, v26
	s_and_b32 s29, s8, exec_lo
.LBB1335_325:
	s_or_b32 exec_lo, exec_lo, s27
	s_orn2_b32 s27, s29, exec_lo
.LBB1335_326:
	s_or_b32 exec_lo, exec_lo, s28
	v_cndmask_b32_e64 v25, v15, v27, s27
	v_cndmask_b32_e64 v26, v113, v112, s27
	s_mov_b32 s29, -1
	s_mov_b32 s28, -1
	s_mov_b32 s40, exec_lo
	v_add_nc_u32_e32 v28, 1, v25
	v_add_nc_u32_e32 v26, -1, v26
	v_lshl_add_u32 v25, v25, 3, v82
	v_cndmask_b32_e64 v15, v28, v15, s27
	v_min_u32_e32 v26, v28, v26
	v_cndmask_b32_e64 v29, v27, v28, s27
	v_lshl_add_u32 v26, v26, 2, v31
	ds_read_b32 v30, v26
	ds_read_b64 v[25:26], v25 offset:16384
	s_waitcnt lgkmcnt(1)
	v_cndmask_b32_e64 v65, v30, v64, s27
	v_cndmask_b32_e64 v128, v119, v30, s27
	v_cmpx_lt_u32_e64 v15, v113
	s_cbranch_execz .LBB1335_330
; %bb.327:
	s_mov_b32 s41, 0
	s_mov_b32 s28, exec_lo
	v_cmpx_lt_u32_e64 v29, v112
	s_cbranch_execz .LBB1335_329
; %bb.328:
	v_add_f32_e32 v27, 0, v65
	v_add_f32_e32 v28, 0, v128
	v_ashrrev_i32_e32 v30, 31, v27
	v_ashrrev_i32_e32 v32, 31, v28
	v_or_b32_e32 v30, 0x80000000, v30
	v_or_b32_e32 v32, 0x80000000, v32
	v_xor_b32_e32 v27, v30, v27
	v_xor_b32_e32 v28, v32, v28
	v_cmp_le_u32_e64 s8, v27, v28
	s_and_b32 s41, s8, exec_lo
.LBB1335_329:
	s_or_b32 exec_lo, exec_lo, s28
	s_orn2_b32 s28, s41, exec_lo
.LBB1335_330:
	s_or_b32 exec_lo, exec_lo, s40
	v_cndmask_b32_e64 v27, v15, v29, s28
	v_cndmask_b32_e64 v28, v113, v112, s28
	s_mov_b32 s40, exec_lo
	v_add_nc_u32_e32 v30, 1, v27
	v_add_nc_u32_e32 v28, -1, v28
	v_lshl_add_u32 v27, v27, 3, v82
	v_cndmask_b32_e64 v15, v30, v15, s28
	v_min_u32_e32 v28, v30, v28
	v_cndmask_b32_e64 v32, v29, v30, s28
	v_lshl_add_u32 v28, v28, 2, v31
	ds_read_b32 v33, v28
	ds_read_b64 v[27:28], v27 offset:16384
	s_waitcnt lgkmcnt(1)
	v_cndmask_b32_e64 v66, v33, v65, s28
	v_cndmask_b32_e64 v129, v128, v33, s28
	v_cmpx_lt_u32_e64 v15, v113
	s_cbranch_execz .LBB1335_334
; %bb.331:
	s_mov_b32 s41, 0
	s_mov_b32 s29, exec_lo
	v_cmpx_lt_u32_e64 v32, v112
	s_cbranch_execz .LBB1335_333
; %bb.332:
	v_add_f32_e32 v29, 0, v66
	v_add_f32_e32 v30, 0, v129
	v_ashrrev_i32_e32 v33, 31, v29
	v_ashrrev_i32_e32 v34, 31, v30
	v_or_b32_e32 v33, 0x80000000, v33
	v_or_b32_e32 v34, 0x80000000, v34
	v_xor_b32_e32 v29, v33, v29
	v_xor_b32_e32 v30, v34, v30
	v_cmp_le_u32_e64 s8, v29, v30
	s_and_b32 s41, s8, exec_lo
.LBB1335_333:
	s_or_b32 exec_lo, exec_lo, s29
	s_orn2_b32 s29, s41, exec_lo
.LBB1335_334:
	s_or_b32 exec_lo, exec_lo, s40
	v_cndmask_b32_e64 v29, v15, v32, s29
	v_cndmask_b32_e64 v30, v113, v112, s29
	s_mov_b32 s41, -1
	s_mov_b32 s40, -1
	s_mov_b32 s42, exec_lo
	v_add_nc_u32_e32 v33, 1, v29
	v_add_nc_u32_e32 v30, -1, v30
	v_lshl_add_u32 v29, v29, 3, v82
	v_cndmask_b32_e64 v15, v33, v15, s29
	v_min_u32_e32 v30, v33, v30
	v_cndmask_b32_e64 v34, v32, v33, s29
	v_lshl_add_u32 v30, v30, 2, v31
	ds_read_b32 v35, v30
	ds_read_b64 v[29:30], v29 offset:16384
	s_waitcnt lgkmcnt(1)
	v_cndmask_b32_e64 v67, v35, v66, s29
	v_cndmask_b32_e64 v130, v129, v35, s29
	v_cmpx_lt_u32_e64 v15, v113
	s_cbranch_execz .LBB1335_338
; %bb.335:
	s_mov_b32 s43, 0
	s_mov_b32 s40, exec_lo
	v_cmpx_lt_u32_e64 v34, v112
	s_cbranch_execz .LBB1335_337
; %bb.336:
	v_add_f32_e32 v32, 0, v67
	v_add_f32_e32 v33, 0, v130
	v_ashrrev_i32_e32 v35, 31, v32
	v_ashrrev_i32_e32 v36, 31, v33
	v_or_b32_e32 v35, 0x80000000, v35
	v_or_b32_e32 v36, 0x80000000, v36
	v_xor_b32_e32 v32, v35, v32
	v_xor_b32_e32 v33, v36, v33
	v_cmp_le_u32_e64 s8, v32, v33
	s_and_b32 s43, s8, exec_lo
.LBB1335_337:
	s_or_b32 exec_lo, exec_lo, s40
	s_orn2_b32 s40, s43, exec_lo
.LBB1335_338:
	s_or_b32 exec_lo, exec_lo, s42
	v_cndmask_b32_e64 v32, v15, v34, s40
	v_cndmask_b32_e64 v33, v113, v112, s40
	s_mov_b32 s42, exec_lo
	v_add_nc_u32_e32 v35, 1, v32
	v_add_nc_u32_e32 v33, -1, v33
	v_lshl_add_u32 v32, v32, 3, v82
	v_cndmask_b32_e64 v15, v35, v15, s40
	v_min_u32_e32 v33, v35, v33
	v_cndmask_b32_e64 v36, v34, v35, s40
	v_lshl_add_u32 v33, v33, 2, v31
	ds_read_b32 v37, v33
	ds_read_b64 v[32:33], v32 offset:16384
	s_waitcnt lgkmcnt(1)
	v_cndmask_b32_e64 v70, v37, v67, s40
	v_cndmask_b32_e64 v131, v130, v37, s40
	v_cmpx_lt_u32_e64 v15, v113
	s_cbranch_execz .LBB1335_342
; %bb.339:
	s_mov_b32 s43, 0
	s_mov_b32 s41, exec_lo
	v_cmpx_lt_u32_e64 v36, v112
	s_cbranch_execz .LBB1335_341
; %bb.340:
	v_add_f32_e32 v34, 0, v70
	v_add_f32_e32 v35, 0, v131
	v_ashrrev_i32_e32 v37, 31, v34
	v_ashrrev_i32_e32 v38, 31, v35
	v_or_b32_e32 v37, 0x80000000, v37
	v_or_b32_e32 v38, 0x80000000, v38
	v_xor_b32_e32 v34, v37, v34
	v_xor_b32_e32 v35, v38, v35
	v_cmp_le_u32_e64 s8, v34, v35
	s_and_b32 s43, s8, exec_lo
.LBB1335_341:
	s_or_b32 exec_lo, exec_lo, s41
	s_orn2_b32 s41, s43, exec_lo
.LBB1335_342:
	s_or_b32 exec_lo, exec_lo, s42
	v_cndmask_b32_e64 v34, v15, v36, s41
	v_cndmask_b32_e64 v35, v113, v112, s41
	s_mov_b32 s43, -1
	s_mov_b32 s42, -1
	s_mov_b32 s44, exec_lo
	v_add_nc_u32_e32 v37, 1, v34
	v_add_nc_u32_e32 v35, -1, v35
	v_lshl_add_u32 v34, v34, 3, v82
	v_cndmask_b32_e64 v15, v37, v15, s41
	v_min_u32_e32 v35, v37, v35
	v_cndmask_b32_e64 v38, v36, v37, s41
	v_lshl_add_u32 v35, v35, 2, v31
	ds_read_b32 v39, v35
	ds_read_b64 v[34:35], v34 offset:16384
	s_waitcnt lgkmcnt(1)
	v_cndmask_b32_e64 v71, v39, v70, s41
	v_cndmask_b32_e64 v132, v131, v39, s41
	v_cmpx_lt_u32_e64 v15, v113
	s_cbranch_execz .LBB1335_346
; %bb.343:
	s_mov_b32 s45, 0
	s_mov_b32 s42, exec_lo
	v_cmpx_lt_u32_e64 v38, v112
	s_cbranch_execz .LBB1335_345
; %bb.344:
	v_add_f32_e32 v36, 0, v71
	v_add_f32_e32 v37, 0, v132
	v_ashrrev_i32_e32 v39, 31, v36
	v_ashrrev_i32_e32 v48, 31, v37
	v_or_b32_e32 v39, 0x80000000, v39
	v_or_b32_e32 v48, 0x80000000, v48
	v_xor_b32_e32 v36, v39, v36
	v_xor_b32_e32 v37, v48, v37
	v_cmp_le_u32_e64 s8, v36, v37
	s_and_b32 s45, s8, exec_lo
.LBB1335_345:
	s_or_b32 exec_lo, exec_lo, s42
	s_orn2_b32 s42, s45, exec_lo
.LBB1335_346:
	s_or_b32 exec_lo, exec_lo, s44
	v_cndmask_b32_e64 v36, v15, v38, s42
	v_cndmask_b32_e64 v37, v113, v112, s42
	s_mov_b32 s44, exec_lo
	v_add_nc_u32_e32 v39, 1, v36
	v_add_nc_u32_e32 v37, -1, v37
	v_lshl_add_u32 v36, v36, 3, v82
	v_cndmask_b32_e64 v15, v39, v15, s42
	v_min_u32_e32 v37, v39, v37
	v_cndmask_b32_e64 v38, v38, v39, s42
	v_lshl_add_u32 v37, v37, 2, v31
	ds_read_b32 v48, v37
	ds_read_b64 v[36:37], v36 offset:16384
	s_waitcnt lgkmcnt(1)
	v_cndmask_b32_e64 v50, v48, v71, s42
	v_cndmask_b32_e64 v133, v132, v48, s42
	v_cmpx_lt_u32_e64 v15, v113
	s_cbranch_execz .LBB1335_350
; %bb.347:
	s_mov_b32 s45, 0
	s_mov_b32 s43, exec_lo
	v_cmpx_lt_u32_e64 v38, v112
	s_cbranch_execz .LBB1335_349
; %bb.348:
	v_add_f32_e32 v39, 0, v50
	v_add_f32_e32 v48, 0, v133
	v_ashrrev_i32_e32 v49, 31, v39
	v_ashrrev_i32_e32 v51, 31, v48
	v_or_b32_e32 v49, 0x80000000, v49
	v_or_b32_e32 v51, 0x80000000, v51
	v_xor_b32_e32 v39, v49, v39
	v_xor_b32_e32 v48, v51, v48
	v_cmp_le_u32_e64 s8, v39, v48
	s_and_b32 s45, s8, exec_lo
.LBB1335_349:
	s_or_b32 exec_lo, exec_lo, s43
	s_orn2_b32 s43, s45, exec_lo
.LBB1335_350:
	s_or_b32 exec_lo, exec_lo, s44
	v_cndmask_b32_e64 v39, v15, v38, s43
	v_cndmask_b32_e64 v48, v113, v112, s43
	s_mov_b32 s45, -1
	s_mov_b32 s44, -1
	s_mov_b32 s46, exec_lo
	v_add_nc_u32_e32 v51, 1, v39
	v_add_nc_u32_e32 v48, -1, v48
	v_lshl_add_u32 v39, v39, 3, v82
	v_cndmask_b32_e64 v15, v51, v15, s43
	v_min_u32_e32 v48, v51, v48
	v_cndmask_b32_e64 v38, v38, v51, s43
	v_lshl_add_u32 v48, v48, 2, v31
	ds_read_b32 v68, v48
	ds_read_b64 v[48:49], v39 offset:16384
	s_waitcnt lgkmcnt(1)
	v_cndmask_b32_e64 v51, v68, v50, s43
	v_cndmask_b32_e64 v134, v133, v68, s43
	v_cmpx_lt_u32_e64 v15, v113
	s_cbranch_execz .LBB1335_354
; %bb.351:
	s_mov_b32 s47, 0
	s_mov_b32 s44, exec_lo
	v_cmpx_lt_u32_e64 v38, v112
	s_cbranch_execz .LBB1335_353
; %bb.352:
	v_add_f32_e32 v39, 0, v51
	v_add_f32_e32 v68, 0, v134
	v_ashrrev_i32_e32 v69, 31, v39
	v_ashrrev_i32_e32 v80, 31, v68
	v_or_b32_e32 v69, 0x80000000, v69
	v_or_b32_e32 v80, 0x80000000, v80
	v_xor_b32_e32 v39, v69, v39
	v_xor_b32_e32 v68, v80, v68
	v_cmp_le_u32_e64 s8, v39, v68
	s_and_b32 s47, s8, exec_lo
.LBB1335_353:
	s_or_b32 exec_lo, exec_lo, s44
	s_orn2_b32 s44, s47, exec_lo
.LBB1335_354:
	s_or_b32 exec_lo, exec_lo, s46
	v_cndmask_b32_e64 v39, v15, v38, s44
	v_cndmask_b32_e64 v68, v113, v112, s44
	s_mov_b32 s46, exec_lo
	v_add_nc_u32_e32 v80, 1, v39
	v_add_nc_u32_e32 v68, -1, v68
	v_lshl_add_u32 v39, v39, 3, v82
	v_cndmask_b32_e64 v81, v80, v15, s44
	v_min_u32_e32 v68, v80, v68
	v_cndmask_b32_e64 v135, v38, v80, s44
	v_lshl_add_u32 v68, v68, 2, v31
	ds_read_b32 v144, v68
	ds_read_b64 v[68:69], v39 offset:16384
	s_waitcnt lgkmcnt(1)
	v_cndmask_b32_e64 v15, v144, v51, s44
	v_cndmask_b32_e64 v80, v134, v144, s44
	v_cmpx_lt_u32_e64 v81, v113
	s_cbranch_execz .LBB1335_358
; %bb.355:
	s_mov_b32 s47, 0
	s_mov_b32 s45, exec_lo
	v_cmpx_lt_u32_e64 v135, v112
	s_cbranch_execz .LBB1335_357
; %bb.356:
	v_add_f32_e32 v38, 0, v15
	v_add_f32_e32 v39, 0, v80
	v_ashrrev_i32_e32 v144, 31, v38
	v_ashrrev_i32_e32 v145, 31, v39
	v_or_b32_e32 v144, 0x80000000, v144
	v_or_b32_e32 v145, 0x80000000, v145
	v_xor_b32_e32 v38, v144, v38
	v_xor_b32_e32 v39, v145, v39
	v_cmp_le_u32_e64 s8, v38, v39
	s_and_b32 s47, s8, exec_lo
.LBB1335_357:
	s_or_b32 exec_lo, exec_lo, s45
	s_orn2_b32 s45, s47, exec_lo
.LBB1335_358:
	s_or_b32 exec_lo, exec_lo, s46
	v_cndmask_b32_e64 v38, v81, v135, s45
	v_cndmask_b32_e64 v39, v113, v112, s45
	s_mov_b32 s46, -1
	s_mov_b32 s47, exec_lo
	v_add_nc_u32_e32 v144, 1, v38
	v_add_nc_u32_e32 v39, -1, v39
	v_lshl_add_u32 v38, v38, 3, v82
	v_cndmask_b32_e64 v81, v144, v81, s45
	v_min_u32_e32 v39, v144, v39
	v_cndmask_b32_e64 v145, v135, v144, s45
	v_lshl_add_u32 v39, v39, 2, v31
	ds_read_b32 v146, v39
	ds_read_b64 v[38:39], v38 offset:16384
	s_waitcnt lgkmcnt(1)
	v_cndmask_b32_e64 v135, v146, v15, s45
	v_cndmask_b32_e64 v144, v80, v146, s45
	v_cmpx_lt_u32_e64 v81, v113
	s_cbranch_execz .LBB1335_362
; %bb.359:
	s_mov_b32 s56, 0
	s_mov_b32 s46, exec_lo
	v_cmpx_lt_u32_e64 v145, v112
	s_cbranch_execz .LBB1335_361
; %bb.360:
	v_add_f32_e32 v112, 0, v135
	v_add_f32_e32 v113, 0, v144
	v_ashrrev_i32_e32 v146, 31, v112
	v_ashrrev_i32_e32 v147, 31, v113
	v_or_b32_e32 v146, 0x80000000, v146
	v_or_b32_e32 v147, 0x80000000, v147
	v_xor_b32_e32 v112, v146, v112
	v_xor_b32_e32 v113, v147, v113
	v_cmp_le_u32_e64 s8, v112, v113
	s_and_b32 s56, s8, exec_lo
.LBB1335_361:
	s_or_b32 exec_lo, exec_lo, s46
	s_orn2_b32 s46, s56, exec_lo
.LBB1335_362:
	s_or_b32 exec_lo, exec_lo, s47
	v_cndmask_b32_e64 v81, v81, v145, s46
	v_cndmask_b32_e64 v15, v15, v80, s45
	;; [unrolled: 1-line block ×5, first 2 shown]
	v_lshl_add_u32 v81, v81, 3, v82
	v_cndmask_b32_e64 v70, v70, v131, s41
	v_cndmask_b32_e64 v67, v67, v130, s40
	;; [unrolled: 1-line block ×4, first 2 shown]
	ds_read_b64 v[80:81], v81 offset:16384
	v_cndmask_b32_e64 v64, v64, v119, s27
	v_cndmask_b32_e64 v55, v55, v118, s26
	;; [unrolled: 1-line block ×8, first 2 shown]
.LBB1335_363:
	s_or_b32 exec_lo, exec_lo, s12
	v_and_b32_e32 v116, 0x1c0, v102
	v_and_b32_e32 v114, 48, v102
	s_mov_b32 s9, exec_lo
	; wave barrier
	v_or_b32_e32 v112, 32, v116
	v_min_u32_e32 v117, v84, v114
	ds_write2_b64 v103, v[4:5], v[8:9] offset1:1
	ds_write2_b64 v83, v[13:14], v[52:53] offset1:1
	;; [unrolled: 1-line block ×4, first 2 shown]
	ds_write2_b64 v83, v[54:55], v[64:65] offset0:2 offset1:3
	ds_write2_b64 v87, v[25:26], v[27:28] offset1:1
	ds_write2_b64 v96, v[29:30], v[32:33] offset1:1
	v_min_u32_e32 v112, v84, v112
	ds_write2_b64 v83, v[66:67], v[70:71] offset0:4 offset1:5
	ds_write2_b64 v85, v[34:35], v[36:37] offset1:1
	ds_write2_b64 v86, v[48:49], v[68:69] offset1:1
	ds_write2_b64 v83, v[50:51], v[15:16] offset0:6 offset1:7
	s_waitcnt lgkmcnt(11)
	ds_write2_b64 v97, v[38:39], v[80:81] offset1:1
	; wave barrier
	v_add_nc_u32_e32 v113, 32, v112
	v_sub_nc_u32_e32 v115, v112, v116
	v_min_u32_e32 v113, v84, v113
	v_min_u32_e32 v118, v117, v115
	v_lshl_add_u32 v115, v116, 2, v31
	v_sub_nc_u32_e32 v114, v113, v112
	v_sub_nc_u32_e64 v114, v117, v114 clamp
	v_cmpx_lt_u32_e64 v114, v118
	s_cbranch_execz .LBB1335_367
; %bb.364:
	v_lshlrev_b32_e32 v119, 2, v112
	v_lshlrev_b32_e32 v128, 2, v117
	s_mov_b32 s12, 0
	v_add3_u32 v119, v31, v119, v128
	s_inst_prefetch 0x1
	.p2align	6
.LBB1335_365:                           ; =>This Inner Loop Header: Depth=1
	v_add_nc_u32_e32 v128, v118, v114
	v_lshrrev_b32_e32 v128, 1, v128
	v_not_b32_e32 v129, v128
	v_lshl_add_u32 v130, v128, 2, v115
	v_lshl_add_u32 v129, v129, 2, v119
	ds_read_b32 v130, v130
	ds_read_b32 v129, v129
	s_waitcnt lgkmcnt(1)
	v_add_f32_e32 v130, 0, v130
	s_waitcnt lgkmcnt(0)
	v_add_f32_e32 v129, 0, v129
	v_ashrrev_i32_e32 v131, 31, v130
	v_ashrrev_i32_e32 v132, 31, v129
	v_or_b32_e32 v131, 0x80000000, v131
	v_or_b32_e32 v132, 0x80000000, v132
	v_xor_b32_e32 v130, v131, v130
	v_xor_b32_e32 v129, v132, v129
	v_add_nc_u32_e32 v131, 1, v128
	v_cmp_gt_u32_e64 s8, v129, v130
	v_cndmask_b32_e64 v118, v118, v128, s8
	v_cndmask_b32_e64 v114, v131, v114, s8
	v_cmp_ge_u32_e64 s8, v114, v118
	s_or_b32 s12, s8, s12
	s_andn2_b32 exec_lo, exec_lo, s12
	s_cbranch_execnz .LBB1335_365
; %bb.366:
	s_inst_prefetch 0x2
	s_or_b32 exec_lo, exec_lo, s12
.LBB1335_367:
	s_or_b32 exec_lo, exec_lo, s9
	v_add_nc_u32_e32 v117, v112, v117
	v_add_nc_u32_e32 v116, v114, v116
	v_sub_nc_u32_e32 v117, v117, v114
	v_cmp_le_u32_e64 s8, v116, v112
	v_cmp_le_u32_e64 s9, v117, v113
	s_or_b32 s8, s8, s9
	s_and_saveexec_b32 s12, s8
	s_cbranch_execz .LBB1335_435
; %bb.368:
	v_cmp_ge_u32_e64 s8, v116, v112
	s_mov_b32 s13, exec_lo
                                        ; implicit-def: $vgpr13
	v_cmpx_lt_u32_e64 v116, v112
; %bb.369:
	v_lshl_add_u32 v4, v114, 2, v115
	ds_read_b32 v13, v4
; %bb.370:
	s_or_b32 exec_lo, exec_lo, s13
	v_cmp_ge_u32_e64 s13, v117, v113
	s_mov_b32 s23, exec_lo
                                        ; implicit-def: $vgpr16
	v_cmpx_lt_u32_e64 v117, v113
; %bb.371:
	v_lshl_add_u32 v4, v117, 2, v31
	ds_read_b32 v16, v4
; %bb.372:
	s_or_b32 exec_lo, exec_lo, s23
	s_nor_b32 s8, s8, s13
	s_and_saveexec_b32 s9, s8
	s_cbranch_execz .LBB1335_374
; %bb.373:
	s_waitcnt lgkmcnt(0)
	v_add_f32_e32 v4, 0, v16
	v_add_f32_e32 v5, 0, v13
	s_andn2_b32 s13, s13, exec_lo
	v_ashrrev_i32_e32 v8, 31, v4
	v_ashrrev_i32_e32 v9, 31, v5
	v_or_b32_e32 v8, 0x80000000, v8
	v_or_b32_e32 v9, 0x80000000, v9
	v_xor_b32_e32 v4, v8, v4
	v_xor_b32_e32 v5, v9, v5
	v_cmp_le_u32_e64 s8, v4, v5
	s_and_b32 s8, s8, exec_lo
	s_or_b32 s13, s13, s8
.LBB1335_374:
	s_or_b32 exec_lo, exec_lo, s9
	v_cndmask_b32_e64 v4, v117, v116, s13
	v_cndmask_b32_e64 v5, v113, v112, s13
	s_mov_b32 s23, -1
	s_mov_b32 s9, -1
	s_mov_b32 s24, exec_lo
	v_add_nc_u32_e32 v8, 1, v4
	v_add_nc_u32_e32 v5, -1, v5
	v_lshl_add_u32 v4, v4, 3, v82
	v_cndmask_b32_e64 v15, v8, v117, s13
	v_min_u32_e32 v5, v8, v5
	v_cndmask_b32_e64 v17, v116, v8, s13
	v_lshl_add_u32 v5, v5, 2, v31
	ds_read_b32 v9, v5
	ds_read_b64 v[4:5], v4 offset:16384
	s_waitcnt lgkmcnt(1)
	v_cndmask_b32_e64 v14, v9, v16, s13
	v_cndmask_b32_e64 v114, v13, v9, s13
	v_cmpx_lt_u32_e64 v15, v113
	s_cbranch_execz .LBB1335_378
; %bb.375:
	s_mov_b32 s25, 0
	s_mov_b32 s9, exec_lo
	v_cmpx_lt_u32_e64 v17, v112
	s_cbranch_execz .LBB1335_377
; %bb.376:
	v_add_f32_e32 v8, 0, v14
	v_add_f32_e32 v9, 0, v114
	v_ashrrev_i32_e32 v18, 31, v8
	v_ashrrev_i32_e32 v19, 31, v9
	v_or_b32_e32 v18, 0x80000000, v18
	v_or_b32_e32 v19, 0x80000000, v19
	v_xor_b32_e32 v8, v18, v8
	v_xor_b32_e32 v9, v19, v9
	v_cmp_le_u32_e64 s8, v8, v9
	s_and_b32 s25, s8, exec_lo
.LBB1335_377:
	s_or_b32 exec_lo, exec_lo, s9
	s_orn2_b32 s9, s25, exec_lo
.LBB1335_378:
	s_or_b32 exec_lo, exec_lo, s24
	v_cndmask_b32_e64 v8, v15, v17, s9
	v_cndmask_b32_e64 v9, v113, v112, s9
	s_mov_b32 s24, exec_lo
	v_add_nc_u32_e32 v18, 1, v8
	v_add_nc_u32_e32 v9, -1, v9
	v_lshl_add_u32 v8, v8, 3, v82
	v_cndmask_b32_e64 v15, v18, v15, s9
	v_min_u32_e32 v9, v18, v9
	v_cndmask_b32_e64 v19, v17, v18, s9
	v_lshl_add_u32 v9, v9, 2, v31
	ds_read_b32 v20, v9
	ds_read_b64 v[8:9], v8 offset:16384
	s_waitcnt lgkmcnt(1)
	v_cndmask_b32_e64 v52, v20, v14, s9
	v_cndmask_b32_e64 v115, v114, v20, s9
	v_cmpx_lt_u32_e64 v15, v113
	s_cbranch_execz .LBB1335_382
; %bb.379:
	s_mov_b32 s25, 0
	s_mov_b32 s23, exec_lo
	v_cmpx_lt_u32_e64 v19, v112
	s_cbranch_execz .LBB1335_381
; %bb.380:
	v_add_f32_e32 v17, 0, v52
	v_add_f32_e32 v18, 0, v115
	v_ashrrev_i32_e32 v20, 31, v17
	v_ashrrev_i32_e32 v21, 31, v18
	v_or_b32_e32 v20, 0x80000000, v20
	v_or_b32_e32 v21, 0x80000000, v21
	v_xor_b32_e32 v17, v20, v17
	v_xor_b32_e32 v18, v21, v18
	v_cmp_le_u32_e64 s8, v17, v18
	s_and_b32 s25, s8, exec_lo
.LBB1335_381:
	s_or_b32 exec_lo, exec_lo, s23
	s_orn2_b32 s23, s25, exec_lo
.LBB1335_382:
	s_or_b32 exec_lo, exec_lo, s24
	v_cndmask_b32_e64 v17, v15, v19, s23
	v_cndmask_b32_e64 v18, v113, v112, s23
	s_mov_b32 s25, -1
	s_mov_b32 s24, -1
	s_mov_b32 s26, exec_lo
	v_add_nc_u32_e32 v20, 1, v17
	v_add_nc_u32_e32 v18, -1, v18
	v_lshl_add_u32 v17, v17, 3, v82
	v_cndmask_b32_e64 v15, v20, v15, s23
	v_min_u32_e32 v18, v20, v18
	v_cndmask_b32_e64 v21, v19, v20, s23
	v_lshl_add_u32 v18, v18, 2, v31
	ds_read_b32 v22, v18
	ds_read_b64 v[17:18], v17 offset:16384
	s_waitcnt lgkmcnt(1)
	v_cndmask_b32_e64 v53, v22, v52, s23
	v_cndmask_b32_e64 v116, v115, v22, s23
	v_cmpx_lt_u32_e64 v15, v113
	s_cbranch_execz .LBB1335_386
; %bb.383:
	s_mov_b32 s27, 0
	s_mov_b32 s24, exec_lo
	v_cmpx_lt_u32_e64 v21, v112
	s_cbranch_execz .LBB1335_385
; %bb.384:
	v_add_f32_e32 v19, 0, v53
	v_add_f32_e32 v20, 0, v116
	v_ashrrev_i32_e32 v22, 31, v19
	v_ashrrev_i32_e32 v23, 31, v20
	v_or_b32_e32 v22, 0x80000000, v22
	v_or_b32_e32 v23, 0x80000000, v23
	v_xor_b32_e32 v19, v22, v19
	v_xor_b32_e32 v20, v23, v20
	v_cmp_le_u32_e64 s8, v19, v20
	s_and_b32 s27, s8, exec_lo
.LBB1335_385:
	s_or_b32 exec_lo, exec_lo, s24
	s_orn2_b32 s24, s27, exec_lo
.LBB1335_386:
	s_or_b32 exec_lo, exec_lo, s26
	v_cndmask_b32_e64 v19, v15, v21, s24
	v_cndmask_b32_e64 v20, v113, v112, s24
	s_mov_b32 s26, exec_lo
	v_add_nc_u32_e32 v22, 1, v19
	v_add_nc_u32_e32 v20, -1, v20
	v_lshl_add_u32 v19, v19, 3, v82
	v_cndmask_b32_e64 v15, v22, v15, s24
	v_min_u32_e32 v20, v22, v20
	v_cndmask_b32_e64 v23, v21, v22, s24
	v_lshl_add_u32 v20, v20, 2, v31
	ds_read_b32 v24, v20
	ds_read_b64 v[19:20], v19 offset:16384
	s_waitcnt lgkmcnt(1)
	v_cndmask_b32_e64 v54, v24, v53, s24
	v_cndmask_b32_e64 v117, v116, v24, s24
	v_cmpx_lt_u32_e64 v15, v113
	s_cbranch_execz .LBB1335_390
; %bb.387:
	s_mov_b32 s27, 0
	s_mov_b32 s25, exec_lo
	v_cmpx_lt_u32_e64 v23, v112
	s_cbranch_execz .LBB1335_389
; %bb.388:
	v_add_f32_e32 v21, 0, v54
	v_add_f32_e32 v22, 0, v117
	v_ashrrev_i32_e32 v24, 31, v21
	v_ashrrev_i32_e32 v25, 31, v22
	v_or_b32_e32 v24, 0x80000000, v24
	v_or_b32_e32 v25, 0x80000000, v25
	v_xor_b32_e32 v21, v24, v21
	v_xor_b32_e32 v22, v25, v22
	v_cmp_le_u32_e64 s8, v21, v22
	s_and_b32 s27, s8, exec_lo
.LBB1335_389:
	s_or_b32 exec_lo, exec_lo, s25
	s_orn2_b32 s25, s27, exec_lo
.LBB1335_390:
	s_or_b32 exec_lo, exec_lo, s26
	v_cndmask_b32_e64 v21, v15, v23, s25
	v_cndmask_b32_e64 v22, v113, v112, s25
	s_mov_b32 s27, -1
	s_mov_b32 s26, -1
	s_mov_b32 s28, exec_lo
	v_add_nc_u32_e32 v24, 1, v21
	v_add_nc_u32_e32 v22, -1, v22
	v_lshl_add_u32 v21, v21, 3, v82
	v_cndmask_b32_e64 v15, v24, v15, s25
	v_min_u32_e32 v22, v24, v22
	v_cndmask_b32_e64 v25, v23, v24, s25
	v_lshl_add_u32 v22, v22, 2, v31
	ds_read_b32 v26, v22
	ds_read_b64 v[21:22], v21 offset:16384
	s_waitcnt lgkmcnt(1)
	v_cndmask_b32_e64 v55, v26, v54, s25
	v_cndmask_b32_e64 v118, v117, v26, s25
	v_cmpx_lt_u32_e64 v15, v113
	s_cbranch_execz .LBB1335_394
; %bb.391:
	s_mov_b32 s29, 0
	s_mov_b32 s26, exec_lo
	v_cmpx_lt_u32_e64 v25, v112
	s_cbranch_execz .LBB1335_393
; %bb.392:
	v_add_f32_e32 v23, 0, v55
	v_add_f32_e32 v24, 0, v118
	v_ashrrev_i32_e32 v26, 31, v23
	v_ashrrev_i32_e32 v27, 31, v24
	v_or_b32_e32 v26, 0x80000000, v26
	v_or_b32_e32 v27, 0x80000000, v27
	v_xor_b32_e32 v23, v26, v23
	v_xor_b32_e32 v24, v27, v24
	v_cmp_le_u32_e64 s8, v23, v24
	s_and_b32 s29, s8, exec_lo
.LBB1335_393:
	s_or_b32 exec_lo, exec_lo, s26
	s_orn2_b32 s26, s29, exec_lo
.LBB1335_394:
	s_or_b32 exec_lo, exec_lo, s28
	v_cndmask_b32_e64 v23, v15, v25, s26
	v_cndmask_b32_e64 v24, v113, v112, s26
	s_mov_b32 s28, exec_lo
	v_add_nc_u32_e32 v26, 1, v23
	v_add_nc_u32_e32 v24, -1, v24
	v_lshl_add_u32 v23, v23, 3, v82
	v_cndmask_b32_e64 v15, v26, v15, s26
	v_min_u32_e32 v24, v26, v24
	v_cndmask_b32_e64 v27, v25, v26, s26
	v_lshl_add_u32 v24, v24, 2, v31
	ds_read_b32 v28, v24
	ds_read_b64 v[23:24], v23 offset:16384
	s_waitcnt lgkmcnt(1)
	v_cndmask_b32_e64 v64, v28, v55, s26
	v_cndmask_b32_e64 v119, v118, v28, s26
	v_cmpx_lt_u32_e64 v15, v113
	s_cbranch_execz .LBB1335_398
; %bb.395:
	s_mov_b32 s29, 0
	s_mov_b32 s27, exec_lo
	v_cmpx_lt_u32_e64 v27, v112
	s_cbranch_execz .LBB1335_397
; %bb.396:
	v_add_f32_e32 v25, 0, v64
	v_add_f32_e32 v26, 0, v119
	v_ashrrev_i32_e32 v28, 31, v25
	v_ashrrev_i32_e32 v29, 31, v26
	v_or_b32_e32 v28, 0x80000000, v28
	v_or_b32_e32 v29, 0x80000000, v29
	v_xor_b32_e32 v25, v28, v25
	v_xor_b32_e32 v26, v29, v26
	v_cmp_le_u32_e64 s8, v25, v26
	s_and_b32 s29, s8, exec_lo
.LBB1335_397:
	s_or_b32 exec_lo, exec_lo, s27
	s_orn2_b32 s27, s29, exec_lo
.LBB1335_398:
	s_or_b32 exec_lo, exec_lo, s28
	v_cndmask_b32_e64 v25, v15, v27, s27
	v_cndmask_b32_e64 v26, v113, v112, s27
	s_mov_b32 s29, -1
	s_mov_b32 s28, -1
	s_mov_b32 s40, exec_lo
	v_add_nc_u32_e32 v28, 1, v25
	v_add_nc_u32_e32 v26, -1, v26
	v_lshl_add_u32 v25, v25, 3, v82
	v_cndmask_b32_e64 v15, v28, v15, s27
	v_min_u32_e32 v26, v28, v26
	v_cndmask_b32_e64 v29, v27, v28, s27
	v_lshl_add_u32 v26, v26, 2, v31
	ds_read_b32 v30, v26
	ds_read_b64 v[25:26], v25 offset:16384
	s_waitcnt lgkmcnt(1)
	v_cndmask_b32_e64 v65, v30, v64, s27
	v_cndmask_b32_e64 v128, v119, v30, s27
	v_cmpx_lt_u32_e64 v15, v113
	s_cbranch_execz .LBB1335_402
; %bb.399:
	s_mov_b32 s41, 0
	s_mov_b32 s28, exec_lo
	v_cmpx_lt_u32_e64 v29, v112
	s_cbranch_execz .LBB1335_401
; %bb.400:
	v_add_f32_e32 v27, 0, v65
	v_add_f32_e32 v28, 0, v128
	v_ashrrev_i32_e32 v30, 31, v27
	v_ashrrev_i32_e32 v32, 31, v28
	v_or_b32_e32 v30, 0x80000000, v30
	v_or_b32_e32 v32, 0x80000000, v32
	v_xor_b32_e32 v27, v30, v27
	v_xor_b32_e32 v28, v32, v28
	v_cmp_le_u32_e64 s8, v27, v28
	s_and_b32 s41, s8, exec_lo
.LBB1335_401:
	s_or_b32 exec_lo, exec_lo, s28
	s_orn2_b32 s28, s41, exec_lo
.LBB1335_402:
	s_or_b32 exec_lo, exec_lo, s40
	v_cndmask_b32_e64 v27, v15, v29, s28
	v_cndmask_b32_e64 v28, v113, v112, s28
	s_mov_b32 s40, exec_lo
	v_add_nc_u32_e32 v30, 1, v27
	v_add_nc_u32_e32 v28, -1, v28
	v_lshl_add_u32 v27, v27, 3, v82
	v_cndmask_b32_e64 v15, v30, v15, s28
	v_min_u32_e32 v28, v30, v28
	v_cndmask_b32_e64 v32, v29, v30, s28
	v_lshl_add_u32 v28, v28, 2, v31
	ds_read_b32 v33, v28
	ds_read_b64 v[27:28], v27 offset:16384
	s_waitcnt lgkmcnt(1)
	v_cndmask_b32_e64 v66, v33, v65, s28
	v_cndmask_b32_e64 v129, v128, v33, s28
	v_cmpx_lt_u32_e64 v15, v113
	s_cbranch_execz .LBB1335_406
; %bb.403:
	s_mov_b32 s41, 0
	s_mov_b32 s29, exec_lo
	v_cmpx_lt_u32_e64 v32, v112
	s_cbranch_execz .LBB1335_405
; %bb.404:
	v_add_f32_e32 v29, 0, v66
	v_add_f32_e32 v30, 0, v129
	v_ashrrev_i32_e32 v33, 31, v29
	v_ashrrev_i32_e32 v34, 31, v30
	v_or_b32_e32 v33, 0x80000000, v33
	v_or_b32_e32 v34, 0x80000000, v34
	v_xor_b32_e32 v29, v33, v29
	v_xor_b32_e32 v30, v34, v30
	v_cmp_le_u32_e64 s8, v29, v30
	s_and_b32 s41, s8, exec_lo
.LBB1335_405:
	s_or_b32 exec_lo, exec_lo, s29
	s_orn2_b32 s29, s41, exec_lo
.LBB1335_406:
	s_or_b32 exec_lo, exec_lo, s40
	v_cndmask_b32_e64 v29, v15, v32, s29
	v_cndmask_b32_e64 v30, v113, v112, s29
	s_mov_b32 s41, -1
	s_mov_b32 s40, -1
	s_mov_b32 s42, exec_lo
	v_add_nc_u32_e32 v33, 1, v29
	v_add_nc_u32_e32 v30, -1, v30
	v_lshl_add_u32 v29, v29, 3, v82
	v_cndmask_b32_e64 v15, v33, v15, s29
	v_min_u32_e32 v30, v33, v30
	v_cndmask_b32_e64 v34, v32, v33, s29
	v_lshl_add_u32 v30, v30, 2, v31
	ds_read_b32 v35, v30
	ds_read_b64 v[29:30], v29 offset:16384
	s_waitcnt lgkmcnt(1)
	v_cndmask_b32_e64 v67, v35, v66, s29
	v_cndmask_b32_e64 v130, v129, v35, s29
	v_cmpx_lt_u32_e64 v15, v113
	s_cbranch_execz .LBB1335_410
; %bb.407:
	s_mov_b32 s43, 0
	s_mov_b32 s40, exec_lo
	v_cmpx_lt_u32_e64 v34, v112
	s_cbranch_execz .LBB1335_409
; %bb.408:
	v_add_f32_e32 v32, 0, v67
	v_add_f32_e32 v33, 0, v130
	v_ashrrev_i32_e32 v35, 31, v32
	v_ashrrev_i32_e32 v36, 31, v33
	v_or_b32_e32 v35, 0x80000000, v35
	v_or_b32_e32 v36, 0x80000000, v36
	v_xor_b32_e32 v32, v35, v32
	v_xor_b32_e32 v33, v36, v33
	v_cmp_le_u32_e64 s8, v32, v33
	s_and_b32 s43, s8, exec_lo
.LBB1335_409:
	s_or_b32 exec_lo, exec_lo, s40
	s_orn2_b32 s40, s43, exec_lo
.LBB1335_410:
	s_or_b32 exec_lo, exec_lo, s42
	v_cndmask_b32_e64 v32, v15, v34, s40
	v_cndmask_b32_e64 v33, v113, v112, s40
	s_mov_b32 s42, exec_lo
	v_add_nc_u32_e32 v35, 1, v32
	v_add_nc_u32_e32 v33, -1, v33
	v_lshl_add_u32 v32, v32, 3, v82
	v_cndmask_b32_e64 v15, v35, v15, s40
	v_min_u32_e32 v33, v35, v33
	v_cndmask_b32_e64 v36, v34, v35, s40
	v_lshl_add_u32 v33, v33, 2, v31
	ds_read_b32 v37, v33
	ds_read_b64 v[32:33], v32 offset:16384
	s_waitcnt lgkmcnt(1)
	v_cndmask_b32_e64 v70, v37, v67, s40
	v_cndmask_b32_e64 v131, v130, v37, s40
	v_cmpx_lt_u32_e64 v15, v113
	s_cbranch_execz .LBB1335_414
; %bb.411:
	s_mov_b32 s43, 0
	s_mov_b32 s41, exec_lo
	v_cmpx_lt_u32_e64 v36, v112
	s_cbranch_execz .LBB1335_413
; %bb.412:
	v_add_f32_e32 v34, 0, v70
	v_add_f32_e32 v35, 0, v131
	v_ashrrev_i32_e32 v37, 31, v34
	v_ashrrev_i32_e32 v38, 31, v35
	v_or_b32_e32 v37, 0x80000000, v37
	v_or_b32_e32 v38, 0x80000000, v38
	v_xor_b32_e32 v34, v37, v34
	v_xor_b32_e32 v35, v38, v35
	v_cmp_le_u32_e64 s8, v34, v35
	s_and_b32 s43, s8, exec_lo
.LBB1335_413:
	s_or_b32 exec_lo, exec_lo, s41
	s_orn2_b32 s41, s43, exec_lo
.LBB1335_414:
	s_or_b32 exec_lo, exec_lo, s42
	v_cndmask_b32_e64 v34, v15, v36, s41
	v_cndmask_b32_e64 v35, v113, v112, s41
	s_mov_b32 s43, -1
	s_mov_b32 s42, -1
	s_mov_b32 s44, exec_lo
	v_add_nc_u32_e32 v37, 1, v34
	v_add_nc_u32_e32 v35, -1, v35
	v_lshl_add_u32 v34, v34, 3, v82
	v_cndmask_b32_e64 v15, v37, v15, s41
	v_min_u32_e32 v35, v37, v35
	v_cndmask_b32_e64 v38, v36, v37, s41
	v_lshl_add_u32 v35, v35, 2, v31
	ds_read_b32 v39, v35
	ds_read_b64 v[34:35], v34 offset:16384
	s_waitcnt lgkmcnt(1)
	v_cndmask_b32_e64 v71, v39, v70, s41
	v_cndmask_b32_e64 v132, v131, v39, s41
	v_cmpx_lt_u32_e64 v15, v113
	s_cbranch_execz .LBB1335_418
; %bb.415:
	s_mov_b32 s45, 0
	s_mov_b32 s42, exec_lo
	v_cmpx_lt_u32_e64 v38, v112
	s_cbranch_execz .LBB1335_417
; %bb.416:
	v_add_f32_e32 v36, 0, v71
	v_add_f32_e32 v37, 0, v132
	v_ashrrev_i32_e32 v39, 31, v36
	v_ashrrev_i32_e32 v48, 31, v37
	v_or_b32_e32 v39, 0x80000000, v39
	v_or_b32_e32 v48, 0x80000000, v48
	v_xor_b32_e32 v36, v39, v36
	v_xor_b32_e32 v37, v48, v37
	v_cmp_le_u32_e64 s8, v36, v37
	s_and_b32 s45, s8, exec_lo
.LBB1335_417:
	s_or_b32 exec_lo, exec_lo, s42
	s_orn2_b32 s42, s45, exec_lo
.LBB1335_418:
	s_or_b32 exec_lo, exec_lo, s44
	v_cndmask_b32_e64 v36, v15, v38, s42
	v_cndmask_b32_e64 v37, v113, v112, s42
	s_mov_b32 s44, exec_lo
	v_add_nc_u32_e32 v39, 1, v36
	v_add_nc_u32_e32 v37, -1, v37
	v_lshl_add_u32 v36, v36, 3, v82
	v_cndmask_b32_e64 v15, v39, v15, s42
	v_min_u32_e32 v37, v39, v37
	v_cndmask_b32_e64 v38, v38, v39, s42
	v_lshl_add_u32 v37, v37, 2, v31
	ds_read_b32 v48, v37
	ds_read_b64 v[36:37], v36 offset:16384
	s_waitcnt lgkmcnt(1)
	v_cndmask_b32_e64 v50, v48, v71, s42
	v_cndmask_b32_e64 v133, v132, v48, s42
	v_cmpx_lt_u32_e64 v15, v113
	s_cbranch_execz .LBB1335_422
; %bb.419:
	s_mov_b32 s45, 0
	s_mov_b32 s43, exec_lo
	v_cmpx_lt_u32_e64 v38, v112
	s_cbranch_execz .LBB1335_421
; %bb.420:
	v_add_f32_e32 v39, 0, v50
	v_add_f32_e32 v48, 0, v133
	v_ashrrev_i32_e32 v49, 31, v39
	v_ashrrev_i32_e32 v51, 31, v48
	v_or_b32_e32 v49, 0x80000000, v49
	v_or_b32_e32 v51, 0x80000000, v51
	v_xor_b32_e32 v39, v49, v39
	v_xor_b32_e32 v48, v51, v48
	v_cmp_le_u32_e64 s8, v39, v48
	s_and_b32 s45, s8, exec_lo
.LBB1335_421:
	s_or_b32 exec_lo, exec_lo, s43
	s_orn2_b32 s43, s45, exec_lo
.LBB1335_422:
	s_or_b32 exec_lo, exec_lo, s44
	v_cndmask_b32_e64 v39, v15, v38, s43
	v_cndmask_b32_e64 v48, v113, v112, s43
	s_mov_b32 s45, -1
	s_mov_b32 s44, -1
	s_mov_b32 s46, exec_lo
	v_add_nc_u32_e32 v51, 1, v39
	v_add_nc_u32_e32 v48, -1, v48
	v_lshl_add_u32 v39, v39, 3, v82
	v_cndmask_b32_e64 v15, v51, v15, s43
	v_min_u32_e32 v48, v51, v48
	v_cndmask_b32_e64 v38, v38, v51, s43
	v_lshl_add_u32 v48, v48, 2, v31
	ds_read_b32 v68, v48
	ds_read_b64 v[48:49], v39 offset:16384
	s_waitcnt lgkmcnt(1)
	v_cndmask_b32_e64 v51, v68, v50, s43
	v_cndmask_b32_e64 v134, v133, v68, s43
	v_cmpx_lt_u32_e64 v15, v113
	s_cbranch_execz .LBB1335_426
; %bb.423:
	s_mov_b32 s47, 0
	s_mov_b32 s44, exec_lo
	v_cmpx_lt_u32_e64 v38, v112
	s_cbranch_execz .LBB1335_425
; %bb.424:
	v_add_f32_e32 v39, 0, v51
	v_add_f32_e32 v68, 0, v134
	v_ashrrev_i32_e32 v69, 31, v39
	v_ashrrev_i32_e32 v80, 31, v68
	v_or_b32_e32 v69, 0x80000000, v69
	v_or_b32_e32 v80, 0x80000000, v80
	v_xor_b32_e32 v39, v69, v39
	v_xor_b32_e32 v68, v80, v68
	v_cmp_le_u32_e64 s8, v39, v68
	s_and_b32 s47, s8, exec_lo
.LBB1335_425:
	s_or_b32 exec_lo, exec_lo, s44
	s_orn2_b32 s44, s47, exec_lo
.LBB1335_426:
	s_or_b32 exec_lo, exec_lo, s46
	v_cndmask_b32_e64 v39, v15, v38, s44
	v_cndmask_b32_e64 v68, v113, v112, s44
	s_mov_b32 s46, exec_lo
	v_add_nc_u32_e32 v80, 1, v39
	v_add_nc_u32_e32 v68, -1, v68
	v_lshl_add_u32 v39, v39, 3, v82
	v_cndmask_b32_e64 v81, v80, v15, s44
	v_min_u32_e32 v68, v80, v68
	v_cndmask_b32_e64 v135, v38, v80, s44
	v_lshl_add_u32 v68, v68, 2, v31
	ds_read_b32 v144, v68
	ds_read_b64 v[68:69], v39 offset:16384
	s_waitcnt lgkmcnt(1)
	v_cndmask_b32_e64 v15, v144, v51, s44
	v_cndmask_b32_e64 v80, v134, v144, s44
	v_cmpx_lt_u32_e64 v81, v113
	s_cbranch_execz .LBB1335_430
; %bb.427:
	s_mov_b32 s47, 0
	s_mov_b32 s45, exec_lo
	v_cmpx_lt_u32_e64 v135, v112
	s_cbranch_execz .LBB1335_429
; %bb.428:
	v_add_f32_e32 v38, 0, v15
	v_add_f32_e32 v39, 0, v80
	v_ashrrev_i32_e32 v144, 31, v38
	v_ashrrev_i32_e32 v145, 31, v39
	v_or_b32_e32 v144, 0x80000000, v144
	v_or_b32_e32 v145, 0x80000000, v145
	v_xor_b32_e32 v38, v144, v38
	v_xor_b32_e32 v39, v145, v39
	v_cmp_le_u32_e64 s8, v38, v39
	s_and_b32 s47, s8, exec_lo
.LBB1335_429:
	s_or_b32 exec_lo, exec_lo, s45
	s_orn2_b32 s45, s47, exec_lo
.LBB1335_430:
	s_or_b32 exec_lo, exec_lo, s46
	v_cndmask_b32_e64 v38, v81, v135, s45
	v_cndmask_b32_e64 v39, v113, v112, s45
	s_mov_b32 s46, -1
	s_mov_b32 s47, exec_lo
	v_add_nc_u32_e32 v144, 1, v38
	v_add_nc_u32_e32 v39, -1, v39
	v_lshl_add_u32 v38, v38, 3, v82
	v_cndmask_b32_e64 v81, v144, v81, s45
	v_min_u32_e32 v39, v144, v39
	v_cndmask_b32_e64 v145, v135, v144, s45
	v_lshl_add_u32 v39, v39, 2, v31
	ds_read_b32 v146, v39
	ds_read_b64 v[38:39], v38 offset:16384
	s_waitcnt lgkmcnt(1)
	v_cndmask_b32_e64 v135, v146, v15, s45
	v_cndmask_b32_e64 v144, v80, v146, s45
	v_cmpx_lt_u32_e64 v81, v113
	s_cbranch_execz .LBB1335_434
; %bb.431:
	s_mov_b32 s56, 0
	s_mov_b32 s46, exec_lo
	v_cmpx_lt_u32_e64 v145, v112
	s_cbranch_execz .LBB1335_433
; %bb.432:
	v_add_f32_e32 v112, 0, v135
	v_add_f32_e32 v113, 0, v144
	v_ashrrev_i32_e32 v146, 31, v112
	v_ashrrev_i32_e32 v147, 31, v113
	v_or_b32_e32 v146, 0x80000000, v146
	v_or_b32_e32 v147, 0x80000000, v147
	v_xor_b32_e32 v112, v146, v112
	v_xor_b32_e32 v113, v147, v113
	v_cmp_le_u32_e64 s8, v112, v113
	s_and_b32 s56, s8, exec_lo
.LBB1335_433:
	s_or_b32 exec_lo, exec_lo, s46
	s_orn2_b32 s46, s56, exec_lo
.LBB1335_434:
	s_or_b32 exec_lo, exec_lo, s47
	v_cndmask_b32_e64 v81, v81, v145, s46
	v_cndmask_b32_e64 v15, v15, v80, s45
	;; [unrolled: 1-line block ×5, first 2 shown]
	v_lshl_add_u32 v81, v81, 3, v82
	v_cndmask_b32_e64 v70, v70, v131, s41
	v_cndmask_b32_e64 v67, v67, v130, s40
	;; [unrolled: 1-line block ×4, first 2 shown]
	ds_read_b64 v[80:81], v81 offset:16384
	v_cndmask_b32_e64 v64, v64, v119, s27
	v_cndmask_b32_e64 v55, v55, v118, s26
	;; [unrolled: 1-line block ×8, first 2 shown]
.LBB1335_435:
	s_or_b32 exec_lo, exec_lo, s12
	v_and_b32_e32 v116, 0x180, v102
	v_and_b32_e32 v114, 0x70, v102
	s_mov_b32 s9, exec_lo
	; wave barrier
	v_or_b32_e32 v112, 64, v116
	v_min_u32_e32 v117, v84, v114
	ds_write2_b64 v103, v[4:5], v[8:9] offset1:1
	ds_write2_b64 v83, v[13:14], v[52:53] offset1:1
	;; [unrolled: 1-line block ×4, first 2 shown]
	ds_write2_b64 v83, v[54:55], v[64:65] offset0:2 offset1:3
	ds_write2_b64 v87, v[25:26], v[27:28] offset1:1
	ds_write2_b64 v96, v[29:30], v[32:33] offset1:1
	v_min_u32_e32 v112, v84, v112
	ds_write2_b64 v83, v[66:67], v[70:71] offset0:4 offset1:5
	ds_write2_b64 v85, v[34:35], v[36:37] offset1:1
	ds_write2_b64 v86, v[48:49], v[68:69] offset1:1
	ds_write2_b64 v83, v[50:51], v[15:16] offset0:6 offset1:7
	s_waitcnt lgkmcnt(11)
	ds_write2_b64 v97, v[38:39], v[80:81] offset1:1
	; wave barrier
	v_add_nc_u32_e32 v113, 64, v112
	v_sub_nc_u32_e32 v115, v112, v116
	v_min_u32_e32 v113, v84, v113
	v_min_u32_e32 v118, v117, v115
	v_lshl_add_u32 v115, v116, 2, v31
	v_sub_nc_u32_e32 v114, v113, v112
	v_sub_nc_u32_e64 v114, v117, v114 clamp
	v_cmpx_lt_u32_e64 v114, v118
	s_cbranch_execz .LBB1335_439
; %bb.436:
	v_lshlrev_b32_e32 v119, 2, v112
	v_lshlrev_b32_e32 v128, 2, v117
	s_mov_b32 s12, 0
	v_add3_u32 v119, v31, v119, v128
	s_inst_prefetch 0x1
	.p2align	6
.LBB1335_437:                           ; =>This Inner Loop Header: Depth=1
	v_add_nc_u32_e32 v128, v118, v114
	v_lshrrev_b32_e32 v128, 1, v128
	v_not_b32_e32 v129, v128
	v_lshl_add_u32 v130, v128, 2, v115
	v_lshl_add_u32 v129, v129, 2, v119
	ds_read_b32 v130, v130
	ds_read_b32 v129, v129
	s_waitcnt lgkmcnt(1)
	v_add_f32_e32 v130, 0, v130
	s_waitcnt lgkmcnt(0)
	v_add_f32_e32 v129, 0, v129
	v_ashrrev_i32_e32 v131, 31, v130
	v_ashrrev_i32_e32 v132, 31, v129
	v_or_b32_e32 v131, 0x80000000, v131
	v_or_b32_e32 v132, 0x80000000, v132
	v_xor_b32_e32 v130, v131, v130
	v_xor_b32_e32 v129, v132, v129
	v_add_nc_u32_e32 v131, 1, v128
	v_cmp_gt_u32_e64 s8, v129, v130
	v_cndmask_b32_e64 v118, v118, v128, s8
	v_cndmask_b32_e64 v114, v131, v114, s8
	v_cmp_ge_u32_e64 s8, v114, v118
	s_or_b32 s12, s8, s12
	s_andn2_b32 exec_lo, exec_lo, s12
	s_cbranch_execnz .LBB1335_437
; %bb.438:
	s_inst_prefetch 0x2
	s_or_b32 exec_lo, exec_lo, s12
.LBB1335_439:
	s_or_b32 exec_lo, exec_lo, s9
	v_add_nc_u32_e32 v117, v112, v117
	v_add_nc_u32_e32 v116, v114, v116
	v_sub_nc_u32_e32 v117, v117, v114
	v_cmp_le_u32_e64 s8, v116, v112
	v_cmp_le_u32_e64 s9, v117, v113
	s_or_b32 s8, s8, s9
	s_and_saveexec_b32 s12, s8
	s_cbranch_execz .LBB1335_507
; %bb.440:
	v_cmp_ge_u32_e64 s8, v116, v112
	s_mov_b32 s13, exec_lo
                                        ; implicit-def: $vgpr13
	v_cmpx_lt_u32_e64 v116, v112
; %bb.441:
	v_lshl_add_u32 v4, v114, 2, v115
	ds_read_b32 v13, v4
; %bb.442:
	s_or_b32 exec_lo, exec_lo, s13
	v_cmp_ge_u32_e64 s13, v117, v113
	s_mov_b32 s23, exec_lo
                                        ; implicit-def: $vgpr16
	v_cmpx_lt_u32_e64 v117, v113
; %bb.443:
	v_lshl_add_u32 v4, v117, 2, v31
	ds_read_b32 v16, v4
; %bb.444:
	s_or_b32 exec_lo, exec_lo, s23
	s_nor_b32 s8, s8, s13
	s_and_saveexec_b32 s9, s8
	s_cbranch_execz .LBB1335_446
; %bb.445:
	s_waitcnt lgkmcnt(0)
	v_add_f32_e32 v4, 0, v16
	v_add_f32_e32 v5, 0, v13
	s_andn2_b32 s13, s13, exec_lo
	v_ashrrev_i32_e32 v8, 31, v4
	v_ashrrev_i32_e32 v9, 31, v5
	v_or_b32_e32 v8, 0x80000000, v8
	v_or_b32_e32 v9, 0x80000000, v9
	v_xor_b32_e32 v4, v8, v4
	v_xor_b32_e32 v5, v9, v5
	v_cmp_le_u32_e64 s8, v4, v5
	s_and_b32 s8, s8, exec_lo
	s_or_b32 s13, s13, s8
.LBB1335_446:
	s_or_b32 exec_lo, exec_lo, s9
	v_cndmask_b32_e64 v4, v117, v116, s13
	v_cndmask_b32_e64 v5, v113, v112, s13
	s_mov_b32 s23, -1
	s_mov_b32 s9, -1
	s_mov_b32 s24, exec_lo
	v_add_nc_u32_e32 v8, 1, v4
	v_add_nc_u32_e32 v5, -1, v5
	v_lshl_add_u32 v4, v4, 3, v82
	v_cndmask_b32_e64 v15, v8, v117, s13
	v_min_u32_e32 v5, v8, v5
	v_cndmask_b32_e64 v17, v116, v8, s13
	v_lshl_add_u32 v5, v5, 2, v31
	ds_read_b32 v9, v5
	ds_read_b64 v[4:5], v4 offset:16384
	s_waitcnt lgkmcnt(1)
	v_cndmask_b32_e64 v14, v9, v16, s13
	v_cndmask_b32_e64 v114, v13, v9, s13
	v_cmpx_lt_u32_e64 v15, v113
	s_cbranch_execz .LBB1335_450
; %bb.447:
	s_mov_b32 s25, 0
	s_mov_b32 s9, exec_lo
	v_cmpx_lt_u32_e64 v17, v112
	s_cbranch_execz .LBB1335_449
; %bb.448:
	v_add_f32_e32 v8, 0, v14
	v_add_f32_e32 v9, 0, v114
	v_ashrrev_i32_e32 v18, 31, v8
	v_ashrrev_i32_e32 v19, 31, v9
	v_or_b32_e32 v18, 0x80000000, v18
	v_or_b32_e32 v19, 0x80000000, v19
	v_xor_b32_e32 v8, v18, v8
	v_xor_b32_e32 v9, v19, v9
	v_cmp_le_u32_e64 s8, v8, v9
	s_and_b32 s25, s8, exec_lo
.LBB1335_449:
	s_or_b32 exec_lo, exec_lo, s9
	s_orn2_b32 s9, s25, exec_lo
.LBB1335_450:
	s_or_b32 exec_lo, exec_lo, s24
	v_cndmask_b32_e64 v8, v15, v17, s9
	v_cndmask_b32_e64 v9, v113, v112, s9
	s_mov_b32 s24, exec_lo
	v_add_nc_u32_e32 v18, 1, v8
	v_add_nc_u32_e32 v9, -1, v9
	v_lshl_add_u32 v8, v8, 3, v82
	v_cndmask_b32_e64 v15, v18, v15, s9
	v_min_u32_e32 v9, v18, v9
	v_cndmask_b32_e64 v19, v17, v18, s9
	v_lshl_add_u32 v9, v9, 2, v31
	ds_read_b32 v20, v9
	ds_read_b64 v[8:9], v8 offset:16384
	s_waitcnt lgkmcnt(1)
	v_cndmask_b32_e64 v52, v20, v14, s9
	v_cndmask_b32_e64 v115, v114, v20, s9
	v_cmpx_lt_u32_e64 v15, v113
	s_cbranch_execz .LBB1335_454
; %bb.451:
	s_mov_b32 s25, 0
	s_mov_b32 s23, exec_lo
	v_cmpx_lt_u32_e64 v19, v112
	s_cbranch_execz .LBB1335_453
; %bb.452:
	v_add_f32_e32 v17, 0, v52
	v_add_f32_e32 v18, 0, v115
	v_ashrrev_i32_e32 v20, 31, v17
	v_ashrrev_i32_e32 v21, 31, v18
	v_or_b32_e32 v20, 0x80000000, v20
	v_or_b32_e32 v21, 0x80000000, v21
	v_xor_b32_e32 v17, v20, v17
	v_xor_b32_e32 v18, v21, v18
	v_cmp_le_u32_e64 s8, v17, v18
	s_and_b32 s25, s8, exec_lo
.LBB1335_453:
	s_or_b32 exec_lo, exec_lo, s23
	s_orn2_b32 s23, s25, exec_lo
.LBB1335_454:
	s_or_b32 exec_lo, exec_lo, s24
	v_cndmask_b32_e64 v17, v15, v19, s23
	v_cndmask_b32_e64 v18, v113, v112, s23
	s_mov_b32 s25, -1
	s_mov_b32 s24, -1
	s_mov_b32 s26, exec_lo
	v_add_nc_u32_e32 v20, 1, v17
	v_add_nc_u32_e32 v18, -1, v18
	v_lshl_add_u32 v17, v17, 3, v82
	v_cndmask_b32_e64 v15, v20, v15, s23
	v_min_u32_e32 v18, v20, v18
	v_cndmask_b32_e64 v21, v19, v20, s23
	v_lshl_add_u32 v18, v18, 2, v31
	ds_read_b32 v22, v18
	ds_read_b64 v[17:18], v17 offset:16384
	s_waitcnt lgkmcnt(1)
	v_cndmask_b32_e64 v53, v22, v52, s23
	v_cndmask_b32_e64 v116, v115, v22, s23
	v_cmpx_lt_u32_e64 v15, v113
	s_cbranch_execz .LBB1335_458
; %bb.455:
	s_mov_b32 s27, 0
	s_mov_b32 s24, exec_lo
	v_cmpx_lt_u32_e64 v21, v112
	s_cbranch_execz .LBB1335_457
; %bb.456:
	v_add_f32_e32 v19, 0, v53
	v_add_f32_e32 v20, 0, v116
	v_ashrrev_i32_e32 v22, 31, v19
	v_ashrrev_i32_e32 v23, 31, v20
	v_or_b32_e32 v22, 0x80000000, v22
	v_or_b32_e32 v23, 0x80000000, v23
	v_xor_b32_e32 v19, v22, v19
	v_xor_b32_e32 v20, v23, v20
	v_cmp_le_u32_e64 s8, v19, v20
	s_and_b32 s27, s8, exec_lo
.LBB1335_457:
	s_or_b32 exec_lo, exec_lo, s24
	s_orn2_b32 s24, s27, exec_lo
.LBB1335_458:
	s_or_b32 exec_lo, exec_lo, s26
	v_cndmask_b32_e64 v19, v15, v21, s24
	v_cndmask_b32_e64 v20, v113, v112, s24
	s_mov_b32 s26, exec_lo
	v_add_nc_u32_e32 v22, 1, v19
	v_add_nc_u32_e32 v20, -1, v20
	v_lshl_add_u32 v19, v19, 3, v82
	v_cndmask_b32_e64 v15, v22, v15, s24
	v_min_u32_e32 v20, v22, v20
	v_cndmask_b32_e64 v23, v21, v22, s24
	v_lshl_add_u32 v20, v20, 2, v31
	ds_read_b32 v24, v20
	ds_read_b64 v[19:20], v19 offset:16384
	s_waitcnt lgkmcnt(1)
	v_cndmask_b32_e64 v54, v24, v53, s24
	v_cndmask_b32_e64 v117, v116, v24, s24
	v_cmpx_lt_u32_e64 v15, v113
	s_cbranch_execz .LBB1335_462
; %bb.459:
	s_mov_b32 s27, 0
	s_mov_b32 s25, exec_lo
	v_cmpx_lt_u32_e64 v23, v112
	s_cbranch_execz .LBB1335_461
; %bb.460:
	v_add_f32_e32 v21, 0, v54
	v_add_f32_e32 v22, 0, v117
	v_ashrrev_i32_e32 v24, 31, v21
	v_ashrrev_i32_e32 v25, 31, v22
	v_or_b32_e32 v24, 0x80000000, v24
	v_or_b32_e32 v25, 0x80000000, v25
	v_xor_b32_e32 v21, v24, v21
	v_xor_b32_e32 v22, v25, v22
	v_cmp_le_u32_e64 s8, v21, v22
	s_and_b32 s27, s8, exec_lo
.LBB1335_461:
	s_or_b32 exec_lo, exec_lo, s25
	s_orn2_b32 s25, s27, exec_lo
.LBB1335_462:
	s_or_b32 exec_lo, exec_lo, s26
	v_cndmask_b32_e64 v21, v15, v23, s25
	v_cndmask_b32_e64 v22, v113, v112, s25
	s_mov_b32 s27, -1
	s_mov_b32 s26, -1
	s_mov_b32 s28, exec_lo
	v_add_nc_u32_e32 v24, 1, v21
	v_add_nc_u32_e32 v22, -1, v22
	v_lshl_add_u32 v21, v21, 3, v82
	v_cndmask_b32_e64 v15, v24, v15, s25
	v_min_u32_e32 v22, v24, v22
	v_cndmask_b32_e64 v25, v23, v24, s25
	v_lshl_add_u32 v22, v22, 2, v31
	ds_read_b32 v26, v22
	ds_read_b64 v[21:22], v21 offset:16384
	s_waitcnt lgkmcnt(1)
	v_cndmask_b32_e64 v55, v26, v54, s25
	v_cndmask_b32_e64 v118, v117, v26, s25
	v_cmpx_lt_u32_e64 v15, v113
	s_cbranch_execz .LBB1335_466
; %bb.463:
	s_mov_b32 s29, 0
	s_mov_b32 s26, exec_lo
	v_cmpx_lt_u32_e64 v25, v112
	s_cbranch_execz .LBB1335_465
; %bb.464:
	v_add_f32_e32 v23, 0, v55
	v_add_f32_e32 v24, 0, v118
	v_ashrrev_i32_e32 v26, 31, v23
	v_ashrrev_i32_e32 v27, 31, v24
	v_or_b32_e32 v26, 0x80000000, v26
	v_or_b32_e32 v27, 0x80000000, v27
	v_xor_b32_e32 v23, v26, v23
	v_xor_b32_e32 v24, v27, v24
	v_cmp_le_u32_e64 s8, v23, v24
	s_and_b32 s29, s8, exec_lo
.LBB1335_465:
	s_or_b32 exec_lo, exec_lo, s26
	s_orn2_b32 s26, s29, exec_lo
.LBB1335_466:
	s_or_b32 exec_lo, exec_lo, s28
	v_cndmask_b32_e64 v23, v15, v25, s26
	v_cndmask_b32_e64 v24, v113, v112, s26
	s_mov_b32 s28, exec_lo
	v_add_nc_u32_e32 v26, 1, v23
	v_add_nc_u32_e32 v24, -1, v24
	v_lshl_add_u32 v23, v23, 3, v82
	v_cndmask_b32_e64 v15, v26, v15, s26
	v_min_u32_e32 v24, v26, v24
	v_cndmask_b32_e64 v27, v25, v26, s26
	v_lshl_add_u32 v24, v24, 2, v31
	ds_read_b32 v28, v24
	ds_read_b64 v[23:24], v23 offset:16384
	s_waitcnt lgkmcnt(1)
	v_cndmask_b32_e64 v64, v28, v55, s26
	v_cndmask_b32_e64 v119, v118, v28, s26
	v_cmpx_lt_u32_e64 v15, v113
	s_cbranch_execz .LBB1335_470
; %bb.467:
	s_mov_b32 s29, 0
	s_mov_b32 s27, exec_lo
	v_cmpx_lt_u32_e64 v27, v112
	s_cbranch_execz .LBB1335_469
; %bb.468:
	v_add_f32_e32 v25, 0, v64
	v_add_f32_e32 v26, 0, v119
	v_ashrrev_i32_e32 v28, 31, v25
	v_ashrrev_i32_e32 v29, 31, v26
	v_or_b32_e32 v28, 0x80000000, v28
	v_or_b32_e32 v29, 0x80000000, v29
	v_xor_b32_e32 v25, v28, v25
	v_xor_b32_e32 v26, v29, v26
	v_cmp_le_u32_e64 s8, v25, v26
	s_and_b32 s29, s8, exec_lo
.LBB1335_469:
	s_or_b32 exec_lo, exec_lo, s27
	s_orn2_b32 s27, s29, exec_lo
.LBB1335_470:
	s_or_b32 exec_lo, exec_lo, s28
	v_cndmask_b32_e64 v25, v15, v27, s27
	v_cndmask_b32_e64 v26, v113, v112, s27
	s_mov_b32 s29, -1
	s_mov_b32 s28, -1
	s_mov_b32 s40, exec_lo
	v_add_nc_u32_e32 v28, 1, v25
	v_add_nc_u32_e32 v26, -1, v26
	v_lshl_add_u32 v25, v25, 3, v82
	v_cndmask_b32_e64 v15, v28, v15, s27
	v_min_u32_e32 v26, v28, v26
	v_cndmask_b32_e64 v29, v27, v28, s27
	v_lshl_add_u32 v26, v26, 2, v31
	ds_read_b32 v30, v26
	ds_read_b64 v[25:26], v25 offset:16384
	s_waitcnt lgkmcnt(1)
	v_cndmask_b32_e64 v65, v30, v64, s27
	v_cndmask_b32_e64 v128, v119, v30, s27
	v_cmpx_lt_u32_e64 v15, v113
	s_cbranch_execz .LBB1335_474
; %bb.471:
	s_mov_b32 s41, 0
	s_mov_b32 s28, exec_lo
	v_cmpx_lt_u32_e64 v29, v112
	s_cbranch_execz .LBB1335_473
; %bb.472:
	v_add_f32_e32 v27, 0, v65
	v_add_f32_e32 v28, 0, v128
	v_ashrrev_i32_e32 v30, 31, v27
	v_ashrrev_i32_e32 v32, 31, v28
	v_or_b32_e32 v30, 0x80000000, v30
	v_or_b32_e32 v32, 0x80000000, v32
	v_xor_b32_e32 v27, v30, v27
	v_xor_b32_e32 v28, v32, v28
	v_cmp_le_u32_e64 s8, v27, v28
	s_and_b32 s41, s8, exec_lo
.LBB1335_473:
	s_or_b32 exec_lo, exec_lo, s28
	s_orn2_b32 s28, s41, exec_lo
.LBB1335_474:
	s_or_b32 exec_lo, exec_lo, s40
	v_cndmask_b32_e64 v27, v15, v29, s28
	v_cndmask_b32_e64 v28, v113, v112, s28
	s_mov_b32 s40, exec_lo
	v_add_nc_u32_e32 v30, 1, v27
	v_add_nc_u32_e32 v28, -1, v28
	v_lshl_add_u32 v27, v27, 3, v82
	v_cndmask_b32_e64 v15, v30, v15, s28
	v_min_u32_e32 v28, v30, v28
	v_cndmask_b32_e64 v32, v29, v30, s28
	v_lshl_add_u32 v28, v28, 2, v31
	ds_read_b32 v33, v28
	ds_read_b64 v[27:28], v27 offset:16384
	s_waitcnt lgkmcnt(1)
	v_cndmask_b32_e64 v66, v33, v65, s28
	v_cndmask_b32_e64 v129, v128, v33, s28
	v_cmpx_lt_u32_e64 v15, v113
	s_cbranch_execz .LBB1335_478
; %bb.475:
	s_mov_b32 s41, 0
	s_mov_b32 s29, exec_lo
	v_cmpx_lt_u32_e64 v32, v112
	s_cbranch_execz .LBB1335_477
; %bb.476:
	v_add_f32_e32 v29, 0, v66
	v_add_f32_e32 v30, 0, v129
	v_ashrrev_i32_e32 v33, 31, v29
	v_ashrrev_i32_e32 v34, 31, v30
	v_or_b32_e32 v33, 0x80000000, v33
	v_or_b32_e32 v34, 0x80000000, v34
	v_xor_b32_e32 v29, v33, v29
	v_xor_b32_e32 v30, v34, v30
	v_cmp_le_u32_e64 s8, v29, v30
	s_and_b32 s41, s8, exec_lo
.LBB1335_477:
	s_or_b32 exec_lo, exec_lo, s29
	s_orn2_b32 s29, s41, exec_lo
.LBB1335_478:
	s_or_b32 exec_lo, exec_lo, s40
	v_cndmask_b32_e64 v29, v15, v32, s29
	v_cndmask_b32_e64 v30, v113, v112, s29
	s_mov_b32 s41, -1
	s_mov_b32 s40, -1
	s_mov_b32 s42, exec_lo
	v_add_nc_u32_e32 v33, 1, v29
	v_add_nc_u32_e32 v30, -1, v30
	v_lshl_add_u32 v29, v29, 3, v82
	v_cndmask_b32_e64 v15, v33, v15, s29
	v_min_u32_e32 v30, v33, v30
	v_cndmask_b32_e64 v34, v32, v33, s29
	v_lshl_add_u32 v30, v30, 2, v31
	ds_read_b32 v35, v30
	ds_read_b64 v[29:30], v29 offset:16384
	s_waitcnt lgkmcnt(1)
	v_cndmask_b32_e64 v67, v35, v66, s29
	v_cndmask_b32_e64 v130, v129, v35, s29
	v_cmpx_lt_u32_e64 v15, v113
	s_cbranch_execz .LBB1335_482
; %bb.479:
	s_mov_b32 s43, 0
	s_mov_b32 s40, exec_lo
	v_cmpx_lt_u32_e64 v34, v112
	s_cbranch_execz .LBB1335_481
; %bb.480:
	v_add_f32_e32 v32, 0, v67
	v_add_f32_e32 v33, 0, v130
	v_ashrrev_i32_e32 v35, 31, v32
	v_ashrrev_i32_e32 v36, 31, v33
	v_or_b32_e32 v35, 0x80000000, v35
	v_or_b32_e32 v36, 0x80000000, v36
	v_xor_b32_e32 v32, v35, v32
	v_xor_b32_e32 v33, v36, v33
	v_cmp_le_u32_e64 s8, v32, v33
	s_and_b32 s43, s8, exec_lo
.LBB1335_481:
	s_or_b32 exec_lo, exec_lo, s40
	s_orn2_b32 s40, s43, exec_lo
.LBB1335_482:
	s_or_b32 exec_lo, exec_lo, s42
	v_cndmask_b32_e64 v32, v15, v34, s40
	v_cndmask_b32_e64 v33, v113, v112, s40
	s_mov_b32 s42, exec_lo
	v_add_nc_u32_e32 v35, 1, v32
	v_add_nc_u32_e32 v33, -1, v33
	v_lshl_add_u32 v32, v32, 3, v82
	v_cndmask_b32_e64 v15, v35, v15, s40
	v_min_u32_e32 v33, v35, v33
	v_cndmask_b32_e64 v36, v34, v35, s40
	v_lshl_add_u32 v33, v33, 2, v31
	ds_read_b32 v37, v33
	ds_read_b64 v[32:33], v32 offset:16384
	s_waitcnt lgkmcnt(1)
	v_cndmask_b32_e64 v70, v37, v67, s40
	v_cndmask_b32_e64 v131, v130, v37, s40
	v_cmpx_lt_u32_e64 v15, v113
	s_cbranch_execz .LBB1335_486
; %bb.483:
	s_mov_b32 s43, 0
	s_mov_b32 s41, exec_lo
	v_cmpx_lt_u32_e64 v36, v112
	s_cbranch_execz .LBB1335_485
; %bb.484:
	v_add_f32_e32 v34, 0, v70
	v_add_f32_e32 v35, 0, v131
	v_ashrrev_i32_e32 v37, 31, v34
	v_ashrrev_i32_e32 v38, 31, v35
	v_or_b32_e32 v37, 0x80000000, v37
	v_or_b32_e32 v38, 0x80000000, v38
	v_xor_b32_e32 v34, v37, v34
	v_xor_b32_e32 v35, v38, v35
	v_cmp_le_u32_e64 s8, v34, v35
	s_and_b32 s43, s8, exec_lo
.LBB1335_485:
	s_or_b32 exec_lo, exec_lo, s41
	s_orn2_b32 s41, s43, exec_lo
.LBB1335_486:
	s_or_b32 exec_lo, exec_lo, s42
	v_cndmask_b32_e64 v34, v15, v36, s41
	v_cndmask_b32_e64 v35, v113, v112, s41
	s_mov_b32 s43, -1
	s_mov_b32 s42, -1
	s_mov_b32 s44, exec_lo
	v_add_nc_u32_e32 v37, 1, v34
	v_add_nc_u32_e32 v35, -1, v35
	v_lshl_add_u32 v34, v34, 3, v82
	v_cndmask_b32_e64 v15, v37, v15, s41
	v_min_u32_e32 v35, v37, v35
	v_cndmask_b32_e64 v38, v36, v37, s41
	v_lshl_add_u32 v35, v35, 2, v31
	ds_read_b32 v39, v35
	ds_read_b64 v[34:35], v34 offset:16384
	s_waitcnt lgkmcnt(1)
	v_cndmask_b32_e64 v71, v39, v70, s41
	v_cndmask_b32_e64 v132, v131, v39, s41
	v_cmpx_lt_u32_e64 v15, v113
	s_cbranch_execz .LBB1335_490
; %bb.487:
	s_mov_b32 s45, 0
	s_mov_b32 s42, exec_lo
	v_cmpx_lt_u32_e64 v38, v112
	s_cbranch_execz .LBB1335_489
; %bb.488:
	v_add_f32_e32 v36, 0, v71
	v_add_f32_e32 v37, 0, v132
	v_ashrrev_i32_e32 v39, 31, v36
	v_ashrrev_i32_e32 v48, 31, v37
	v_or_b32_e32 v39, 0x80000000, v39
	v_or_b32_e32 v48, 0x80000000, v48
	v_xor_b32_e32 v36, v39, v36
	v_xor_b32_e32 v37, v48, v37
	v_cmp_le_u32_e64 s8, v36, v37
	s_and_b32 s45, s8, exec_lo
.LBB1335_489:
	s_or_b32 exec_lo, exec_lo, s42
	s_orn2_b32 s42, s45, exec_lo
.LBB1335_490:
	s_or_b32 exec_lo, exec_lo, s44
	v_cndmask_b32_e64 v36, v15, v38, s42
	v_cndmask_b32_e64 v37, v113, v112, s42
	s_mov_b32 s44, exec_lo
	v_add_nc_u32_e32 v39, 1, v36
	v_add_nc_u32_e32 v37, -1, v37
	v_lshl_add_u32 v36, v36, 3, v82
	v_cndmask_b32_e64 v15, v39, v15, s42
	v_min_u32_e32 v37, v39, v37
	v_cndmask_b32_e64 v38, v38, v39, s42
	v_lshl_add_u32 v37, v37, 2, v31
	ds_read_b32 v48, v37
	ds_read_b64 v[36:37], v36 offset:16384
	s_waitcnt lgkmcnt(1)
	v_cndmask_b32_e64 v50, v48, v71, s42
	v_cndmask_b32_e64 v133, v132, v48, s42
	v_cmpx_lt_u32_e64 v15, v113
	s_cbranch_execz .LBB1335_494
; %bb.491:
	s_mov_b32 s45, 0
	s_mov_b32 s43, exec_lo
	v_cmpx_lt_u32_e64 v38, v112
	s_cbranch_execz .LBB1335_493
; %bb.492:
	v_add_f32_e32 v39, 0, v50
	v_add_f32_e32 v48, 0, v133
	v_ashrrev_i32_e32 v49, 31, v39
	v_ashrrev_i32_e32 v51, 31, v48
	v_or_b32_e32 v49, 0x80000000, v49
	v_or_b32_e32 v51, 0x80000000, v51
	v_xor_b32_e32 v39, v49, v39
	v_xor_b32_e32 v48, v51, v48
	v_cmp_le_u32_e64 s8, v39, v48
	s_and_b32 s45, s8, exec_lo
.LBB1335_493:
	s_or_b32 exec_lo, exec_lo, s43
	s_orn2_b32 s43, s45, exec_lo
.LBB1335_494:
	s_or_b32 exec_lo, exec_lo, s44
	v_cndmask_b32_e64 v39, v15, v38, s43
	v_cndmask_b32_e64 v48, v113, v112, s43
	s_mov_b32 s45, -1
	s_mov_b32 s44, -1
	s_mov_b32 s46, exec_lo
	v_add_nc_u32_e32 v51, 1, v39
	v_add_nc_u32_e32 v48, -1, v48
	v_lshl_add_u32 v39, v39, 3, v82
	v_cndmask_b32_e64 v15, v51, v15, s43
	v_min_u32_e32 v48, v51, v48
	v_cndmask_b32_e64 v38, v38, v51, s43
	v_lshl_add_u32 v48, v48, 2, v31
	ds_read_b32 v68, v48
	ds_read_b64 v[48:49], v39 offset:16384
	s_waitcnt lgkmcnt(1)
	v_cndmask_b32_e64 v51, v68, v50, s43
	v_cndmask_b32_e64 v134, v133, v68, s43
	v_cmpx_lt_u32_e64 v15, v113
	s_cbranch_execz .LBB1335_498
; %bb.495:
	s_mov_b32 s47, 0
	s_mov_b32 s44, exec_lo
	v_cmpx_lt_u32_e64 v38, v112
	s_cbranch_execz .LBB1335_497
; %bb.496:
	v_add_f32_e32 v39, 0, v51
	v_add_f32_e32 v68, 0, v134
	v_ashrrev_i32_e32 v69, 31, v39
	v_ashrrev_i32_e32 v80, 31, v68
	v_or_b32_e32 v69, 0x80000000, v69
	v_or_b32_e32 v80, 0x80000000, v80
	v_xor_b32_e32 v39, v69, v39
	v_xor_b32_e32 v68, v80, v68
	v_cmp_le_u32_e64 s8, v39, v68
	s_and_b32 s47, s8, exec_lo
.LBB1335_497:
	s_or_b32 exec_lo, exec_lo, s44
	s_orn2_b32 s44, s47, exec_lo
.LBB1335_498:
	s_or_b32 exec_lo, exec_lo, s46
	v_cndmask_b32_e64 v39, v15, v38, s44
	v_cndmask_b32_e64 v68, v113, v112, s44
	s_mov_b32 s46, exec_lo
	v_add_nc_u32_e32 v80, 1, v39
	v_add_nc_u32_e32 v68, -1, v68
	v_lshl_add_u32 v39, v39, 3, v82
	v_cndmask_b32_e64 v81, v80, v15, s44
	v_min_u32_e32 v68, v80, v68
	v_cndmask_b32_e64 v135, v38, v80, s44
	v_lshl_add_u32 v68, v68, 2, v31
	ds_read_b32 v144, v68
	ds_read_b64 v[68:69], v39 offset:16384
	s_waitcnt lgkmcnt(1)
	v_cndmask_b32_e64 v15, v144, v51, s44
	v_cndmask_b32_e64 v80, v134, v144, s44
	v_cmpx_lt_u32_e64 v81, v113
	s_cbranch_execz .LBB1335_502
; %bb.499:
	s_mov_b32 s47, 0
	s_mov_b32 s45, exec_lo
	v_cmpx_lt_u32_e64 v135, v112
	s_cbranch_execz .LBB1335_501
; %bb.500:
	v_add_f32_e32 v38, 0, v15
	v_add_f32_e32 v39, 0, v80
	v_ashrrev_i32_e32 v144, 31, v38
	v_ashrrev_i32_e32 v145, 31, v39
	v_or_b32_e32 v144, 0x80000000, v144
	v_or_b32_e32 v145, 0x80000000, v145
	v_xor_b32_e32 v38, v144, v38
	v_xor_b32_e32 v39, v145, v39
	v_cmp_le_u32_e64 s8, v38, v39
	s_and_b32 s47, s8, exec_lo
.LBB1335_501:
	s_or_b32 exec_lo, exec_lo, s45
	s_orn2_b32 s45, s47, exec_lo
.LBB1335_502:
	s_or_b32 exec_lo, exec_lo, s46
	v_cndmask_b32_e64 v38, v81, v135, s45
	v_cndmask_b32_e64 v39, v113, v112, s45
	s_mov_b32 s46, -1
	s_mov_b32 s47, exec_lo
	v_add_nc_u32_e32 v144, 1, v38
	v_add_nc_u32_e32 v39, -1, v39
	v_lshl_add_u32 v38, v38, 3, v82
	v_cndmask_b32_e64 v81, v144, v81, s45
	v_min_u32_e32 v39, v144, v39
	v_cndmask_b32_e64 v145, v135, v144, s45
	v_lshl_add_u32 v39, v39, 2, v31
	ds_read_b32 v146, v39
	ds_read_b64 v[38:39], v38 offset:16384
	s_waitcnt lgkmcnt(1)
	v_cndmask_b32_e64 v135, v146, v15, s45
	v_cndmask_b32_e64 v144, v80, v146, s45
	v_cmpx_lt_u32_e64 v81, v113
	s_cbranch_execz .LBB1335_506
; %bb.503:
	s_mov_b32 s56, 0
	s_mov_b32 s46, exec_lo
	v_cmpx_lt_u32_e64 v145, v112
	s_cbranch_execz .LBB1335_505
; %bb.504:
	v_add_f32_e32 v112, 0, v135
	v_add_f32_e32 v113, 0, v144
	v_ashrrev_i32_e32 v146, 31, v112
	v_ashrrev_i32_e32 v147, 31, v113
	v_or_b32_e32 v146, 0x80000000, v146
	v_or_b32_e32 v147, 0x80000000, v147
	v_xor_b32_e32 v112, v146, v112
	v_xor_b32_e32 v113, v147, v113
	v_cmp_le_u32_e64 s8, v112, v113
	s_and_b32 s56, s8, exec_lo
.LBB1335_505:
	s_or_b32 exec_lo, exec_lo, s46
	s_orn2_b32 s46, s56, exec_lo
.LBB1335_506:
	s_or_b32 exec_lo, exec_lo, s47
	v_cndmask_b32_e64 v81, v81, v145, s46
	v_cndmask_b32_e64 v15, v15, v80, s45
	;; [unrolled: 1-line block ×5, first 2 shown]
	v_lshl_add_u32 v81, v81, 3, v82
	v_cndmask_b32_e64 v70, v70, v131, s41
	v_cndmask_b32_e64 v67, v67, v130, s40
	;; [unrolled: 1-line block ×4, first 2 shown]
	ds_read_b64 v[80:81], v81 offset:16384
	v_cndmask_b32_e64 v64, v64, v119, s27
	v_cndmask_b32_e64 v55, v55, v118, s26
	;; [unrolled: 1-line block ×8, first 2 shown]
.LBB1335_507:
	s_or_b32 exec_lo, exec_lo, s12
	v_and_b32_e32 v112, 0x100, v102
	; wave barrier
	ds_write2_b64 v103, v[4:5], v[8:9] offset1:1
	ds_write2_b64 v83, v[13:14], v[52:53] offset1:1
	ds_write2_b64 v98, v[17:18], v[19:20] offset1:1
	ds_write2_b64 v99, v[21:22], v[23:24] offset1:1
	v_or_b32_e32 v102, 0x80, v112
	v_min_u32_e32 v98, v84, v101
	ds_write2_b64 v83, v[54:55], v[64:65] offset0:2 offset1:3
	ds_write2_b64 v87, v[25:26], v[27:28] offset1:1
	ds_write2_b64 v96, v[29:30], v[32:33] offset1:1
	ds_write2_b64 v83, v[66:67], v[70:71] offset0:4 offset1:5
	ds_write2_b64 v85, v[34:35], v[36:37] offset1:1
	ds_write2_b64 v86, v[48:49], v[68:69] offset1:1
	v_lshl_add_u32 v85, v112, 2, v31
	v_min_u32_e32 v102, v84, v102
	s_mov_b32 s9, exec_lo
	ds_write2_b64 v83, v[50:51], v[15:16] offset0:6 offset1:7
	s_waitcnt lgkmcnt(11)
	ds_write2_b64 v97, v[38:39], v[80:81] offset1:1
	; wave barrier
	v_add_nc_u32_e32 v113, 0x80, v102
	v_sub_nc_u32_e32 v99, v102, v112
	v_min_u32_e32 v103, v84, v113
	v_min_u32_e32 v87, v98, v99
	v_sub_nc_u32_e32 v84, v103, v102
	v_sub_nc_u32_e64 v84, v98, v84 clamp
	v_cmpx_lt_u32_e64 v84, v87
	s_cbranch_execz .LBB1335_511
; %bb.508:
	v_lshlrev_b32_e32 v83, 2, v102
	v_lshlrev_b32_e32 v86, 2, v98
	s_mov_b32 s12, 0
	v_add3_u32 v83, v31, v83, v86
	s_inst_prefetch 0x1
	.p2align	6
.LBB1335_509:                           ; =>This Inner Loop Header: Depth=1
	v_add_nc_u32_e32 v86, v87, v84
	v_lshrrev_b32_e32 v86, 1, v86
	v_not_b32_e32 v96, v86
	v_lshl_add_u32 v97, v86, 2, v85
	v_lshl_add_u32 v96, v96, 2, v83
	ds_read_b32 v97, v97
	ds_read_b32 v96, v96
	s_waitcnt lgkmcnt(1)
	v_add_f32_e32 v97, 0, v97
	s_waitcnt lgkmcnt(0)
	v_add_f32_e32 v96, 0, v96
	v_ashrrev_i32_e32 v99, 31, v97
	v_ashrrev_i32_e32 v101, 31, v96
	v_or_b32_e32 v99, 0x80000000, v99
	v_or_b32_e32 v101, 0x80000000, v101
	v_xor_b32_e32 v97, v99, v97
	v_xor_b32_e32 v96, v101, v96
	v_add_nc_u32_e32 v99, 1, v86
	v_cmp_gt_u32_e64 s8, v96, v97
	v_cndmask_b32_e64 v87, v87, v86, s8
	v_cndmask_b32_e64 v84, v99, v84, s8
	v_cmp_ge_u32_e64 s8, v84, v87
	s_or_b32 s12, s8, s12
	s_andn2_b32 exec_lo, exec_lo, s12
	s_cbranch_execnz .LBB1335_509
; %bb.510:
	s_inst_prefetch 0x2
	s_or_b32 exec_lo, exec_lo, s12
.LBB1335_511:
	s_or_b32 exec_lo, exec_lo, s9
	v_add_nc_u32_e32 v86, v102, v98
	v_add_nc_u32_e32 v83, v84, v112
	v_sub_nc_u32_e32 v86, v86, v84
	v_cmp_le_u32_e64 s8, v83, v102
	v_cmp_le_u32_e64 s9, v86, v103
	s_or_b32 s8, s8, s9
	s_and_saveexec_b32 s12, s8
	s_cbranch_execz .LBB1335_579
; %bb.512:
	v_cmp_ge_u32_e64 s8, v83, v102
	s_mov_b32 s13, exec_lo
                                        ; implicit-def: $vgpr13
	v_cmpx_lt_u32_e64 v83, v102
; %bb.513:
	v_lshl_add_u32 v4, v84, 2, v85
	ds_read_b32 v13, v4
; %bb.514:
	s_or_b32 exec_lo, exec_lo, s13
	v_cmp_ge_u32_e64 s13, v86, v103
	s_mov_b32 s23, exec_lo
                                        ; implicit-def: $vgpr16
	v_cmpx_lt_u32_e64 v86, v103
; %bb.515:
	v_lshl_add_u32 v4, v86, 2, v31
	ds_read_b32 v16, v4
; %bb.516:
	s_or_b32 exec_lo, exec_lo, s23
	s_nor_b32 s8, s8, s13
	s_and_saveexec_b32 s9, s8
	s_cbranch_execz .LBB1335_518
; %bb.517:
	s_waitcnt lgkmcnt(0)
	v_add_f32_e32 v4, 0, v16
	v_add_f32_e32 v5, 0, v13
	s_andn2_b32 s13, s13, exec_lo
	v_ashrrev_i32_e32 v8, 31, v4
	v_ashrrev_i32_e32 v9, 31, v5
	v_or_b32_e32 v8, 0x80000000, v8
	v_or_b32_e32 v9, 0x80000000, v9
	v_xor_b32_e32 v4, v8, v4
	v_xor_b32_e32 v5, v9, v5
	v_cmp_le_u32_e64 s8, v4, v5
	s_and_b32 s8, s8, exec_lo
	s_or_b32 s13, s13, s8
.LBB1335_518:
	s_or_b32 exec_lo, exec_lo, s9
	v_cndmask_b32_e64 v4, v86, v83, s13
	v_cndmask_b32_e64 v5, v103, v102, s13
	s_mov_b32 s23, -1
	s_mov_b32 s9, -1
	s_mov_b32 s24, exec_lo
	v_add_nc_u32_e32 v8, 1, v4
	v_add_nc_u32_e32 v5, -1, v5
	v_lshl_add_u32 v4, v4, 3, v82
	v_cndmask_b32_e64 v15, v8, v86, s13
	v_min_u32_e32 v5, v8, v5
	v_cndmask_b32_e64 v17, v83, v8, s13
	v_lshl_add_u32 v5, v5, 2, v31
	ds_read_b32 v9, v5
	ds_read_b64 v[4:5], v4 offset:16384
	s_waitcnt lgkmcnt(1)
	v_cndmask_b32_e64 v14, v9, v16, s13
	v_cndmask_b32_e64 v83, v13, v9, s13
	v_cmpx_lt_u32_e64 v15, v103
	s_cbranch_execz .LBB1335_522
; %bb.519:
	s_mov_b32 s25, 0
	s_mov_b32 s9, exec_lo
	v_cmpx_lt_u32_e64 v17, v102
	s_cbranch_execz .LBB1335_521
; %bb.520:
	v_add_f32_e32 v8, 0, v14
	v_add_f32_e32 v9, 0, v83
	v_ashrrev_i32_e32 v18, 31, v8
	v_ashrrev_i32_e32 v19, 31, v9
	v_or_b32_e32 v18, 0x80000000, v18
	v_or_b32_e32 v19, 0x80000000, v19
	v_xor_b32_e32 v8, v18, v8
	v_xor_b32_e32 v9, v19, v9
	v_cmp_le_u32_e64 s8, v8, v9
	s_and_b32 s25, s8, exec_lo
.LBB1335_521:
	s_or_b32 exec_lo, exec_lo, s9
	s_orn2_b32 s9, s25, exec_lo
.LBB1335_522:
	s_or_b32 exec_lo, exec_lo, s24
	v_cndmask_b32_e64 v8, v15, v17, s9
	v_cndmask_b32_e64 v9, v103, v102, s9
	s_mov_b32 s24, exec_lo
	v_add_nc_u32_e32 v18, 1, v8
	v_add_nc_u32_e32 v9, -1, v9
	v_lshl_add_u32 v8, v8, 3, v82
	v_cndmask_b32_e64 v15, v18, v15, s9
	v_min_u32_e32 v9, v18, v9
	v_cndmask_b32_e64 v19, v17, v18, s9
	v_lshl_add_u32 v9, v9, 2, v31
	ds_read_b32 v20, v9
	ds_read_b64 v[8:9], v8 offset:16384
	s_waitcnt lgkmcnt(1)
	v_cndmask_b32_e64 v52, v20, v14, s9
	v_cndmask_b32_e64 v84, v83, v20, s9
	v_cmpx_lt_u32_e64 v15, v103
	s_cbranch_execz .LBB1335_526
; %bb.523:
	s_mov_b32 s25, 0
	s_mov_b32 s23, exec_lo
	v_cmpx_lt_u32_e64 v19, v102
	s_cbranch_execz .LBB1335_525
; %bb.524:
	v_add_f32_e32 v17, 0, v52
	v_add_f32_e32 v18, 0, v84
	v_ashrrev_i32_e32 v20, 31, v17
	v_ashrrev_i32_e32 v21, 31, v18
	v_or_b32_e32 v20, 0x80000000, v20
	v_or_b32_e32 v21, 0x80000000, v21
	v_xor_b32_e32 v17, v20, v17
	v_xor_b32_e32 v18, v21, v18
	v_cmp_le_u32_e64 s8, v17, v18
	s_and_b32 s25, s8, exec_lo
.LBB1335_525:
	s_or_b32 exec_lo, exec_lo, s23
	s_orn2_b32 s23, s25, exec_lo
.LBB1335_526:
	s_or_b32 exec_lo, exec_lo, s24
	v_cndmask_b32_e64 v17, v15, v19, s23
	v_cndmask_b32_e64 v18, v103, v102, s23
	s_mov_b32 s25, -1
	s_mov_b32 s24, -1
	s_mov_b32 s26, exec_lo
	v_add_nc_u32_e32 v20, 1, v17
	v_add_nc_u32_e32 v18, -1, v18
	v_lshl_add_u32 v17, v17, 3, v82
	v_cndmask_b32_e64 v15, v20, v15, s23
	v_min_u32_e32 v18, v20, v18
	v_cndmask_b32_e64 v21, v19, v20, s23
	v_lshl_add_u32 v18, v18, 2, v31
	ds_read_b32 v22, v18
	ds_read_b64 v[17:18], v17 offset:16384
	s_waitcnt lgkmcnt(1)
	v_cndmask_b32_e64 v53, v22, v52, s23
	v_cndmask_b32_e64 v85, v84, v22, s23
	v_cmpx_lt_u32_e64 v15, v103
	s_cbranch_execz .LBB1335_530
; %bb.527:
	s_mov_b32 s27, 0
	s_mov_b32 s24, exec_lo
	v_cmpx_lt_u32_e64 v21, v102
	s_cbranch_execz .LBB1335_529
; %bb.528:
	v_add_f32_e32 v19, 0, v53
	v_add_f32_e32 v20, 0, v85
	v_ashrrev_i32_e32 v22, 31, v19
	v_ashrrev_i32_e32 v23, 31, v20
	v_or_b32_e32 v22, 0x80000000, v22
	v_or_b32_e32 v23, 0x80000000, v23
	v_xor_b32_e32 v19, v22, v19
	v_xor_b32_e32 v20, v23, v20
	v_cmp_le_u32_e64 s8, v19, v20
	s_and_b32 s27, s8, exec_lo
.LBB1335_529:
	s_or_b32 exec_lo, exec_lo, s24
	s_orn2_b32 s24, s27, exec_lo
.LBB1335_530:
	s_or_b32 exec_lo, exec_lo, s26
	v_cndmask_b32_e64 v19, v15, v21, s24
	v_cndmask_b32_e64 v20, v103, v102, s24
	s_mov_b32 s26, exec_lo
	v_add_nc_u32_e32 v22, 1, v19
	v_add_nc_u32_e32 v20, -1, v20
	v_lshl_add_u32 v19, v19, 3, v82
	v_cndmask_b32_e64 v15, v22, v15, s24
	v_min_u32_e32 v20, v22, v20
	v_cndmask_b32_e64 v23, v21, v22, s24
	v_lshl_add_u32 v20, v20, 2, v31
	ds_read_b32 v24, v20
	ds_read_b64 v[19:20], v19 offset:16384
	s_waitcnt lgkmcnt(1)
	v_cndmask_b32_e64 v54, v24, v53, s24
	v_cndmask_b32_e64 v86, v85, v24, s24
	v_cmpx_lt_u32_e64 v15, v103
	s_cbranch_execz .LBB1335_534
; %bb.531:
	s_mov_b32 s27, 0
	s_mov_b32 s25, exec_lo
	v_cmpx_lt_u32_e64 v23, v102
	s_cbranch_execz .LBB1335_533
; %bb.532:
	v_add_f32_e32 v21, 0, v54
	v_add_f32_e32 v22, 0, v86
	v_ashrrev_i32_e32 v24, 31, v21
	v_ashrrev_i32_e32 v25, 31, v22
	v_or_b32_e32 v24, 0x80000000, v24
	v_or_b32_e32 v25, 0x80000000, v25
	v_xor_b32_e32 v21, v24, v21
	v_xor_b32_e32 v22, v25, v22
	v_cmp_le_u32_e64 s8, v21, v22
	s_and_b32 s27, s8, exec_lo
.LBB1335_533:
	s_or_b32 exec_lo, exec_lo, s25
	s_orn2_b32 s25, s27, exec_lo
.LBB1335_534:
	s_or_b32 exec_lo, exec_lo, s26
	v_cndmask_b32_e64 v21, v15, v23, s25
	v_cndmask_b32_e64 v22, v103, v102, s25
	s_mov_b32 s27, -1
	s_mov_b32 s26, -1
	s_mov_b32 s28, exec_lo
	v_add_nc_u32_e32 v24, 1, v21
	v_add_nc_u32_e32 v22, -1, v22
	v_lshl_add_u32 v21, v21, 3, v82
	v_cndmask_b32_e64 v15, v24, v15, s25
	v_min_u32_e32 v22, v24, v22
	v_cndmask_b32_e64 v25, v23, v24, s25
	v_lshl_add_u32 v22, v22, 2, v31
	ds_read_b32 v26, v22
	ds_read_b64 v[21:22], v21 offset:16384
	s_waitcnt lgkmcnt(1)
	v_cndmask_b32_e64 v55, v26, v54, s25
	v_cndmask_b32_e64 v87, v86, v26, s25
	v_cmpx_lt_u32_e64 v15, v103
	s_cbranch_execz .LBB1335_538
; %bb.535:
	s_mov_b32 s29, 0
	s_mov_b32 s26, exec_lo
	v_cmpx_lt_u32_e64 v25, v102
	s_cbranch_execz .LBB1335_537
; %bb.536:
	v_add_f32_e32 v23, 0, v55
	v_add_f32_e32 v24, 0, v87
	v_ashrrev_i32_e32 v26, 31, v23
	v_ashrrev_i32_e32 v27, 31, v24
	v_or_b32_e32 v26, 0x80000000, v26
	v_or_b32_e32 v27, 0x80000000, v27
	v_xor_b32_e32 v23, v26, v23
	v_xor_b32_e32 v24, v27, v24
	v_cmp_le_u32_e64 s8, v23, v24
	s_and_b32 s29, s8, exec_lo
.LBB1335_537:
	s_or_b32 exec_lo, exec_lo, s26
	s_orn2_b32 s26, s29, exec_lo
.LBB1335_538:
	s_or_b32 exec_lo, exec_lo, s28
	v_cndmask_b32_e64 v23, v15, v25, s26
	v_cndmask_b32_e64 v24, v103, v102, s26
	s_mov_b32 s28, exec_lo
	v_add_nc_u32_e32 v26, 1, v23
	v_add_nc_u32_e32 v24, -1, v24
	v_lshl_add_u32 v23, v23, 3, v82
	v_cndmask_b32_e64 v15, v26, v15, s26
	v_min_u32_e32 v24, v26, v24
	v_cndmask_b32_e64 v27, v25, v26, s26
	v_lshl_add_u32 v24, v24, 2, v31
	ds_read_b32 v28, v24
	ds_read_b64 v[23:24], v23 offset:16384
	s_waitcnt lgkmcnt(1)
	v_cndmask_b32_e64 v64, v28, v55, s26
	v_cndmask_b32_e64 v96, v87, v28, s26
	v_cmpx_lt_u32_e64 v15, v103
	s_cbranch_execz .LBB1335_542
; %bb.539:
	s_mov_b32 s29, 0
	s_mov_b32 s27, exec_lo
	v_cmpx_lt_u32_e64 v27, v102
	s_cbranch_execz .LBB1335_541
; %bb.540:
	v_add_f32_e32 v25, 0, v64
	v_add_f32_e32 v26, 0, v96
	v_ashrrev_i32_e32 v28, 31, v25
	v_ashrrev_i32_e32 v29, 31, v26
	v_or_b32_e32 v28, 0x80000000, v28
	v_or_b32_e32 v29, 0x80000000, v29
	v_xor_b32_e32 v25, v28, v25
	v_xor_b32_e32 v26, v29, v26
	v_cmp_le_u32_e64 s8, v25, v26
	s_and_b32 s29, s8, exec_lo
.LBB1335_541:
	s_or_b32 exec_lo, exec_lo, s27
	s_orn2_b32 s27, s29, exec_lo
.LBB1335_542:
	s_or_b32 exec_lo, exec_lo, s28
	v_cndmask_b32_e64 v25, v15, v27, s27
	v_cndmask_b32_e64 v26, v103, v102, s27
	s_mov_b32 s29, -1
	s_mov_b32 s28, -1
	s_mov_b32 s40, exec_lo
	v_add_nc_u32_e32 v28, 1, v25
	v_add_nc_u32_e32 v26, -1, v26
	v_lshl_add_u32 v25, v25, 3, v82
	v_cndmask_b32_e64 v15, v28, v15, s27
	v_min_u32_e32 v26, v28, v26
	v_cndmask_b32_e64 v29, v27, v28, s27
	v_lshl_add_u32 v26, v26, 2, v31
	ds_read_b32 v30, v26
	ds_read_b64 v[25:26], v25 offset:16384
	s_waitcnt lgkmcnt(1)
	v_cndmask_b32_e64 v65, v30, v64, s27
	v_cndmask_b32_e64 v97, v96, v30, s27
	v_cmpx_lt_u32_e64 v15, v103
	s_cbranch_execz .LBB1335_546
; %bb.543:
	s_mov_b32 s41, 0
	s_mov_b32 s28, exec_lo
	v_cmpx_lt_u32_e64 v29, v102
	s_cbranch_execz .LBB1335_545
; %bb.544:
	v_add_f32_e32 v27, 0, v65
	v_add_f32_e32 v28, 0, v97
	v_ashrrev_i32_e32 v30, 31, v27
	v_ashrrev_i32_e32 v32, 31, v28
	v_or_b32_e32 v30, 0x80000000, v30
	v_or_b32_e32 v32, 0x80000000, v32
	v_xor_b32_e32 v27, v30, v27
	v_xor_b32_e32 v28, v32, v28
	v_cmp_le_u32_e64 s8, v27, v28
	s_and_b32 s41, s8, exec_lo
.LBB1335_545:
	s_or_b32 exec_lo, exec_lo, s28
	s_orn2_b32 s28, s41, exec_lo
.LBB1335_546:
	s_or_b32 exec_lo, exec_lo, s40
	v_cndmask_b32_e64 v27, v15, v29, s28
	v_cndmask_b32_e64 v28, v103, v102, s28
	s_mov_b32 s40, exec_lo
	v_add_nc_u32_e32 v30, 1, v27
	v_add_nc_u32_e32 v28, -1, v28
	v_lshl_add_u32 v27, v27, 3, v82
	v_cndmask_b32_e64 v15, v30, v15, s28
	v_min_u32_e32 v28, v30, v28
	v_cndmask_b32_e64 v32, v29, v30, s28
	v_lshl_add_u32 v28, v28, 2, v31
	ds_read_b32 v33, v28
	ds_read_b64 v[27:28], v27 offset:16384
	s_waitcnt lgkmcnt(1)
	v_cndmask_b32_e64 v66, v33, v65, s28
	v_cndmask_b32_e64 v98, v97, v33, s28
	v_cmpx_lt_u32_e64 v15, v103
	s_cbranch_execz .LBB1335_550
; %bb.547:
	s_mov_b32 s41, 0
	s_mov_b32 s29, exec_lo
	v_cmpx_lt_u32_e64 v32, v102
	s_cbranch_execz .LBB1335_549
; %bb.548:
	v_add_f32_e32 v29, 0, v66
	v_add_f32_e32 v30, 0, v98
	v_ashrrev_i32_e32 v33, 31, v29
	v_ashrrev_i32_e32 v34, 31, v30
	v_or_b32_e32 v33, 0x80000000, v33
	v_or_b32_e32 v34, 0x80000000, v34
	v_xor_b32_e32 v29, v33, v29
	v_xor_b32_e32 v30, v34, v30
	v_cmp_le_u32_e64 s8, v29, v30
	s_and_b32 s41, s8, exec_lo
.LBB1335_549:
	s_or_b32 exec_lo, exec_lo, s29
	s_orn2_b32 s29, s41, exec_lo
.LBB1335_550:
	s_or_b32 exec_lo, exec_lo, s40
	v_cndmask_b32_e64 v29, v15, v32, s29
	v_cndmask_b32_e64 v30, v103, v102, s29
	s_mov_b32 s41, -1
	s_mov_b32 s40, -1
	s_mov_b32 s42, exec_lo
	v_add_nc_u32_e32 v33, 1, v29
	v_add_nc_u32_e32 v30, -1, v30
	v_lshl_add_u32 v29, v29, 3, v82
	v_cndmask_b32_e64 v15, v33, v15, s29
	v_min_u32_e32 v30, v33, v30
	v_cndmask_b32_e64 v34, v32, v33, s29
	v_lshl_add_u32 v30, v30, 2, v31
	ds_read_b32 v35, v30
	ds_read_b64 v[29:30], v29 offset:16384
	s_waitcnt lgkmcnt(1)
	v_cndmask_b32_e64 v67, v35, v66, s29
	v_cndmask_b32_e64 v99, v98, v35, s29
	v_cmpx_lt_u32_e64 v15, v103
	s_cbranch_execz .LBB1335_554
; %bb.551:
	s_mov_b32 s43, 0
	s_mov_b32 s40, exec_lo
	v_cmpx_lt_u32_e64 v34, v102
	s_cbranch_execz .LBB1335_553
; %bb.552:
	v_add_f32_e32 v32, 0, v67
	v_add_f32_e32 v33, 0, v99
	v_ashrrev_i32_e32 v35, 31, v32
	v_ashrrev_i32_e32 v36, 31, v33
	v_or_b32_e32 v35, 0x80000000, v35
	v_or_b32_e32 v36, 0x80000000, v36
	v_xor_b32_e32 v32, v35, v32
	v_xor_b32_e32 v33, v36, v33
	v_cmp_le_u32_e64 s8, v32, v33
	s_and_b32 s43, s8, exec_lo
.LBB1335_553:
	s_or_b32 exec_lo, exec_lo, s40
	s_orn2_b32 s40, s43, exec_lo
.LBB1335_554:
	s_or_b32 exec_lo, exec_lo, s42
	v_cndmask_b32_e64 v32, v15, v34, s40
	v_cndmask_b32_e64 v33, v103, v102, s40
	s_mov_b32 s42, exec_lo
	v_add_nc_u32_e32 v35, 1, v32
	v_add_nc_u32_e32 v33, -1, v33
	v_lshl_add_u32 v32, v32, 3, v82
	v_cndmask_b32_e64 v15, v35, v15, s40
	v_min_u32_e32 v33, v35, v33
	v_cndmask_b32_e64 v36, v34, v35, s40
	v_lshl_add_u32 v33, v33, 2, v31
	ds_read_b32 v37, v33
	ds_read_b64 v[32:33], v32 offset:16384
	s_waitcnt lgkmcnt(1)
	v_cndmask_b32_e64 v70, v37, v67, s40
	v_cndmask_b32_e64 v101, v99, v37, s40
	v_cmpx_lt_u32_e64 v15, v103
	s_cbranch_execz .LBB1335_558
; %bb.555:
	s_mov_b32 s43, 0
	s_mov_b32 s41, exec_lo
	v_cmpx_lt_u32_e64 v36, v102
	s_cbranch_execz .LBB1335_557
; %bb.556:
	v_add_f32_e32 v34, 0, v70
	v_add_f32_e32 v35, 0, v101
	v_ashrrev_i32_e32 v37, 31, v34
	v_ashrrev_i32_e32 v38, 31, v35
	v_or_b32_e32 v37, 0x80000000, v37
	v_or_b32_e32 v38, 0x80000000, v38
	v_xor_b32_e32 v34, v37, v34
	v_xor_b32_e32 v35, v38, v35
	v_cmp_le_u32_e64 s8, v34, v35
	s_and_b32 s43, s8, exec_lo
.LBB1335_557:
	s_or_b32 exec_lo, exec_lo, s41
	s_orn2_b32 s41, s43, exec_lo
.LBB1335_558:
	s_or_b32 exec_lo, exec_lo, s42
	v_cndmask_b32_e64 v34, v15, v36, s41
	v_cndmask_b32_e64 v35, v103, v102, s41
	s_mov_b32 s43, -1
	s_mov_b32 s42, -1
	s_mov_b32 s44, exec_lo
	v_add_nc_u32_e32 v37, 1, v34
	v_add_nc_u32_e32 v35, -1, v35
	v_lshl_add_u32 v34, v34, 3, v82
	v_cndmask_b32_e64 v15, v37, v15, s41
	v_min_u32_e32 v35, v37, v35
	v_cndmask_b32_e64 v38, v36, v37, s41
	v_lshl_add_u32 v35, v35, 2, v31
	ds_read_b32 v39, v35
	ds_read_b64 v[34:35], v34 offset:16384
	s_waitcnt lgkmcnt(1)
	v_cndmask_b32_e64 v71, v39, v70, s41
	v_cndmask_b32_e64 v112, v101, v39, s41
	v_cmpx_lt_u32_e64 v15, v103
	s_cbranch_execz .LBB1335_562
; %bb.559:
	s_mov_b32 s45, 0
	s_mov_b32 s42, exec_lo
	v_cmpx_lt_u32_e64 v38, v102
	s_cbranch_execz .LBB1335_561
; %bb.560:
	v_add_f32_e32 v36, 0, v71
	v_add_f32_e32 v37, 0, v112
	v_ashrrev_i32_e32 v39, 31, v36
	v_ashrrev_i32_e32 v48, 31, v37
	v_or_b32_e32 v39, 0x80000000, v39
	v_or_b32_e32 v48, 0x80000000, v48
	v_xor_b32_e32 v36, v39, v36
	v_xor_b32_e32 v37, v48, v37
	v_cmp_le_u32_e64 s8, v36, v37
	s_and_b32 s45, s8, exec_lo
.LBB1335_561:
	s_or_b32 exec_lo, exec_lo, s42
	s_orn2_b32 s42, s45, exec_lo
.LBB1335_562:
	s_or_b32 exec_lo, exec_lo, s44
	v_cndmask_b32_e64 v36, v15, v38, s42
	v_cndmask_b32_e64 v37, v103, v102, s42
	s_mov_b32 s44, exec_lo
	v_add_nc_u32_e32 v39, 1, v36
	v_add_nc_u32_e32 v37, -1, v37
	v_lshl_add_u32 v36, v36, 3, v82
	v_cndmask_b32_e64 v15, v39, v15, s42
	v_min_u32_e32 v37, v39, v37
	v_cndmask_b32_e64 v38, v38, v39, s42
	v_lshl_add_u32 v37, v37, 2, v31
	ds_read_b32 v48, v37
	ds_read_b64 v[36:37], v36 offset:16384
	s_waitcnt lgkmcnt(1)
	v_cndmask_b32_e64 v50, v48, v71, s42
	v_cndmask_b32_e64 v113, v112, v48, s42
	v_cmpx_lt_u32_e64 v15, v103
	s_cbranch_execz .LBB1335_566
; %bb.563:
	s_mov_b32 s45, 0
	s_mov_b32 s43, exec_lo
	v_cmpx_lt_u32_e64 v38, v102
	s_cbranch_execz .LBB1335_565
; %bb.564:
	v_add_f32_e32 v39, 0, v50
	v_add_f32_e32 v48, 0, v113
	v_ashrrev_i32_e32 v49, 31, v39
	v_ashrrev_i32_e32 v51, 31, v48
	v_or_b32_e32 v49, 0x80000000, v49
	v_or_b32_e32 v51, 0x80000000, v51
	v_xor_b32_e32 v39, v49, v39
	v_xor_b32_e32 v48, v51, v48
	v_cmp_le_u32_e64 s8, v39, v48
	s_and_b32 s45, s8, exec_lo
.LBB1335_565:
	s_or_b32 exec_lo, exec_lo, s43
	s_orn2_b32 s43, s45, exec_lo
.LBB1335_566:
	s_or_b32 exec_lo, exec_lo, s44
	v_cndmask_b32_e64 v39, v15, v38, s43
	v_cndmask_b32_e64 v48, v103, v102, s43
	s_mov_b32 s45, -1
	s_mov_b32 s44, -1
	s_mov_b32 s46, exec_lo
	v_add_nc_u32_e32 v51, 1, v39
	v_add_nc_u32_e32 v48, -1, v48
	v_lshl_add_u32 v39, v39, 3, v82
	v_cndmask_b32_e64 v15, v51, v15, s43
	v_min_u32_e32 v48, v51, v48
	v_cndmask_b32_e64 v38, v38, v51, s43
	v_lshl_add_u32 v48, v48, 2, v31
	ds_read_b32 v68, v48
	ds_read_b64 v[48:49], v39 offset:16384
	s_waitcnt lgkmcnt(1)
	v_cndmask_b32_e64 v51, v68, v50, s43
	v_cndmask_b32_e64 v114, v113, v68, s43
	v_cmpx_lt_u32_e64 v15, v103
	s_cbranch_execz .LBB1335_570
; %bb.567:
	s_mov_b32 s47, 0
	s_mov_b32 s44, exec_lo
	v_cmpx_lt_u32_e64 v38, v102
	s_cbranch_execz .LBB1335_569
; %bb.568:
	v_add_f32_e32 v39, 0, v51
	v_add_f32_e32 v68, 0, v114
	v_ashrrev_i32_e32 v69, 31, v39
	v_ashrrev_i32_e32 v80, 31, v68
	v_or_b32_e32 v69, 0x80000000, v69
	v_or_b32_e32 v80, 0x80000000, v80
	v_xor_b32_e32 v39, v69, v39
	v_xor_b32_e32 v68, v80, v68
	v_cmp_le_u32_e64 s8, v39, v68
	s_and_b32 s47, s8, exec_lo
.LBB1335_569:
	s_or_b32 exec_lo, exec_lo, s44
	s_orn2_b32 s44, s47, exec_lo
.LBB1335_570:
	s_or_b32 exec_lo, exec_lo, s46
	v_cndmask_b32_e64 v39, v15, v38, s44
	v_cndmask_b32_e64 v68, v103, v102, s44
	s_mov_b32 s46, exec_lo
	v_add_nc_u32_e32 v80, 1, v39
	v_add_nc_u32_e32 v68, -1, v68
	v_lshl_add_u32 v39, v39, 3, v82
	v_cndmask_b32_e64 v81, v80, v15, s44
	v_min_u32_e32 v68, v80, v68
	v_cndmask_b32_e64 v115, v38, v80, s44
	v_lshl_add_u32 v68, v68, 2, v31
	ds_read_b32 v116, v68
	ds_read_b64 v[68:69], v39 offset:16384
	s_waitcnt lgkmcnt(1)
	v_cndmask_b32_e64 v15, v116, v51, s44
	v_cndmask_b32_e64 v80, v114, v116, s44
	v_cmpx_lt_u32_e64 v81, v103
	s_cbranch_execz .LBB1335_574
; %bb.571:
	s_mov_b32 s47, 0
	s_mov_b32 s45, exec_lo
	v_cmpx_lt_u32_e64 v115, v102
	s_cbranch_execz .LBB1335_573
; %bb.572:
	v_add_f32_e32 v38, 0, v15
	v_add_f32_e32 v39, 0, v80
	v_ashrrev_i32_e32 v116, 31, v38
	v_ashrrev_i32_e32 v117, 31, v39
	v_or_b32_e32 v116, 0x80000000, v116
	v_or_b32_e32 v117, 0x80000000, v117
	v_xor_b32_e32 v38, v116, v38
	v_xor_b32_e32 v39, v117, v39
	v_cmp_le_u32_e64 s8, v38, v39
	s_and_b32 s47, s8, exec_lo
.LBB1335_573:
	s_or_b32 exec_lo, exec_lo, s45
	s_orn2_b32 s45, s47, exec_lo
.LBB1335_574:
	s_or_b32 exec_lo, exec_lo, s46
	v_cndmask_b32_e64 v38, v81, v115, s45
	v_cndmask_b32_e64 v39, v103, v102, s45
	s_mov_b32 s46, -1
	s_mov_b32 s47, exec_lo
	v_add_nc_u32_e32 v116, 1, v38
	v_add_nc_u32_e32 v39, -1, v39
	v_cndmask_b32_e64 v81, v116, v81, s45
	v_min_u32_e32 v39, v116, v39
	v_cndmask_b32_e64 v116, v115, v116, s45
	v_lshl_add_u32 v31, v39, 2, v31
	ds_read_b32 v117, v31
	v_lshl_add_u32 v31, v38, 3, v82
	ds_read_b64 v[38:39], v31 offset:16384
	s_waitcnt lgkmcnt(1)
	v_cndmask_b32_e64 v31, v117, v15, s45
	v_cndmask_b32_e64 v115, v80, v117, s45
	v_cmpx_lt_u32_e64 v81, v103
	s_cbranch_execz .LBB1335_578
; %bb.575:
	s_mov_b32 s56, 0
	s_mov_b32 s46, exec_lo
	v_cmpx_lt_u32_e64 v116, v102
	s_cbranch_execz .LBB1335_577
; %bb.576:
	v_add_f32_e32 v102, 0, v31
	v_add_f32_e32 v103, 0, v115
	v_ashrrev_i32_e32 v117, 31, v102
	v_ashrrev_i32_e32 v118, 31, v103
	v_or_b32_e32 v117, 0x80000000, v117
	v_or_b32_e32 v118, 0x80000000, v118
	v_xor_b32_e32 v102, v117, v102
	v_xor_b32_e32 v103, v118, v103
	v_cmp_le_u32_e64 s8, v102, v103
	s_and_b32 s56, s8, exec_lo
.LBB1335_577:
	s_or_b32 exec_lo, exec_lo, s46
	s_orn2_b32 s46, s56, exec_lo
.LBB1335_578:
	s_or_b32 exec_lo, exec_lo, s47
	v_cndmask_b32_e64 v81, v81, v116, s46
	v_cndmask_b32_e64 v15, v15, v80, s45
	;; [unrolled: 1-line block ×5, first 2 shown]
	v_lshl_add_u32 v81, v81, 3, v82
	v_cndmask_b32_e64 v70, v70, v101, s41
	v_cndmask_b32_e64 v67, v67, v99, s40
	;; [unrolled: 1-line block ×4, first 2 shown]
	ds_read_b64 v[80:81], v81 offset:16384
	v_cndmask_b32_e64 v64, v64, v96, s27
	v_cndmask_b32_e64 v55, v55, v87, s26
	;; [unrolled: 1-line block ×8, first 2 shown]
.LBB1335_579:
	s_or_b32 exec_lo, exec_lo, s12
	v_add_co_u32 v2, s8, v2, v11
	v_add_co_ci_u32_e64 v3, null, v3, v12, s8
	v_add_co_u32 v2, s8, v2, v100
	v_add_co_ci_u32_e64 v3, null, 0, v3, s8
	; wave barrier
	s_waitcnt lgkmcnt(0)
	s_waitcnt_vscnt null, 0x0
	s_barrier
	buffer_gl0_inv
	; wave barrier
	s_and_saveexec_b32 s8, vcc_lo
	s_cbranch_execnz .LBB1335_628
; %bb.580:
	s_or_b32 exec_lo, exec_lo, s8
	s_and_saveexec_b32 s8, s4
	s_cbranch_execnz .LBB1335_629
.LBB1335_581:
	s_or_b32 exec_lo, exec_lo, s8
	s_and_saveexec_b32 s8, s5
	s_cbranch_execnz .LBB1335_630
.LBB1335_582:
	s_or_b32 exec_lo, exec_lo, s8
	s_and_saveexec_b32 s8, s6
	s_cbranch_execnz .LBB1335_631
.LBB1335_583:
	s_or_b32 exec_lo, exec_lo, s8
	s_and_saveexec_b32 s8, s7
	s_cbranch_execnz .LBB1335_632
.LBB1335_584:
	s_or_b32 exec_lo, exec_lo, s8
	s_and_saveexec_b32 s8, s10
	s_cbranch_execnz .LBB1335_633
.LBB1335_585:
	s_or_b32 exec_lo, exec_lo, s8
	s_and_saveexec_b32 s8, s11
	s_cbranch_execnz .LBB1335_634
.LBB1335_586:
	s_or_b32 exec_lo, exec_lo, s8
	s_and_saveexec_b32 s8, s21
	s_cbranch_execnz .LBB1335_635
.LBB1335_587:
	s_or_b32 exec_lo, exec_lo, s8
	s_and_saveexec_b32 s8, s22
	s_cbranch_execnz .LBB1335_636
.LBB1335_588:
	s_or_b32 exec_lo, exec_lo, s8
	s_and_saveexec_b32 s8, s14
	s_cbranch_execnz .LBB1335_637
.LBB1335_589:
	s_or_b32 exec_lo, exec_lo, s8
	s_and_saveexec_b32 s8, s15
	s_cbranch_execnz .LBB1335_638
.LBB1335_590:
	s_or_b32 exec_lo, exec_lo, s8
	s_and_saveexec_b32 s8, s16
	s_cbranch_execnz .LBB1335_639
.LBB1335_591:
	s_or_b32 exec_lo, exec_lo, s8
	s_and_saveexec_b32 s8, s17
	s_cbranch_execnz .LBB1335_640
.LBB1335_592:
	s_or_b32 exec_lo, exec_lo, s8
	s_and_saveexec_b32 s8, s18
	s_cbranch_execnz .LBB1335_641
.LBB1335_593:
	s_or_b32 exec_lo, exec_lo, s8
	s_and_saveexec_b32 s8, s19
	s_cbranch_execnz .LBB1335_642
.LBB1335_594:
	s_or_b32 exec_lo, exec_lo, s8
	s_and_saveexec_b32 s8, s20
	s_cbranch_execz .LBB1335_596
.LBB1335_595:
	flat_store_dword v[2:3], v16 offset:60
.LBB1335_596:
	s_or_b32 exec_lo, exec_lo, s8
	v_add_co_u32 v0, s8, v6, v0
	v_add_co_ci_u32_e64 v1, null, v7, v1, s8
	v_add_co_u32 v0, s8, v0, v10
	v_add_co_ci_u32_e64 v1, null, 0, v1, s8
	; wave barrier
	s_and_saveexec_b32 s8, vcc_lo
	s_cbranch_execnz .LBB1335_643
; %bb.597:
	s_or_b32 exec_lo, exec_lo, s8
	s_and_saveexec_b32 s8, s4
	s_cbranch_execnz .LBB1335_644
.LBB1335_598:
	s_or_b32 exec_lo, exec_lo, s8
	s_and_saveexec_b32 s4, s5
	s_cbranch_execnz .LBB1335_645
.LBB1335_599:
	s_or_b32 exec_lo, exec_lo, s4
	s_and_saveexec_b32 s4, s6
	s_cbranch_execnz .LBB1335_646
.LBB1335_600:
	s_or_b32 exec_lo, exec_lo, s4
	s_and_saveexec_b32 s4, s7
	s_cbranch_execnz .LBB1335_647
.LBB1335_601:
	s_or_b32 exec_lo, exec_lo, s4
	s_and_saveexec_b32 s4, s10
	s_cbranch_execnz .LBB1335_648
.LBB1335_602:
	s_or_b32 exec_lo, exec_lo, s4
	s_and_saveexec_b32 s4, s11
	s_cbranch_execnz .LBB1335_649
.LBB1335_603:
	s_or_b32 exec_lo, exec_lo, s4
	s_and_saveexec_b32 s4, s21
	s_cbranch_execnz .LBB1335_650
.LBB1335_604:
	s_or_b32 exec_lo, exec_lo, s4
	s_and_saveexec_b32 s4, s22
	s_cbranch_execnz .LBB1335_651
.LBB1335_605:
	s_or_b32 exec_lo, exec_lo, s4
	s_and_saveexec_b32 s4, s14
	s_cbranch_execnz .LBB1335_652
.LBB1335_606:
	s_or_b32 exec_lo, exec_lo, s4
	s_and_saveexec_b32 s4, s15
	s_cbranch_execnz .LBB1335_653
.LBB1335_607:
	s_or_b32 exec_lo, exec_lo, s4
	s_and_saveexec_b32 s4, s16
	s_cbranch_execnz .LBB1335_654
.LBB1335_608:
	s_or_b32 exec_lo, exec_lo, s4
	s_and_saveexec_b32 s4, s17
	s_cbranch_execnz .LBB1335_655
.LBB1335_609:
	s_or_b32 exec_lo, exec_lo, s4
	s_and_saveexec_b32 s4, s18
	s_cbranch_execnz .LBB1335_656
.LBB1335_610:
	s_or_b32 exec_lo, exec_lo, s4
	s_and_saveexec_b32 s4, s19
	s_cbranch_execnz .LBB1335_657
.LBB1335_611:
	s_or_b32 exec_lo, exec_lo, s4
	s_and_saveexec_b32 s4, s20
	s_cbranch_execnz .LBB1335_658
.LBB1335_612:
	s_or_b32 exec_lo, exec_lo, s4
	s_waitcnt lgkmcnt(0)
	s_setpc_b64 s[30:31]
.LBB1335_613:
	flat_load_dwordx2 v[4:5], v[82:83]
	s_or_b32 exec_lo, exec_lo, s23
	s_and_saveexec_b32 s23, s4
                                        ; implicit-def: $vgpr8_vgpr9
	s_cbranch_execz .LBB1335_34
.LBB1335_614:
	flat_load_dwordx2 v[8:9], v[82:83] offset:8
	s_or_b32 exec_lo, exec_lo, s23
                                        ; implicit-def: $vgpr17_vgpr18
	s_and_saveexec_b32 s23, s5
	s_cbranch_execz .LBB1335_35
.LBB1335_615:
	flat_load_dwordx2 v[17:18], v[82:83] offset:16
	s_or_b32 exec_lo, exec_lo, s23
	s_and_saveexec_b32 s23, s6
                                        ; implicit-def: $vgpr19_vgpr20
	s_cbranch_execz .LBB1335_36
.LBB1335_616:
	flat_load_dwordx2 v[19:20], v[82:83] offset:24
	s_or_b32 exec_lo, exec_lo, s23
                                        ; implicit-def: $vgpr21_vgpr22
	s_and_saveexec_b32 s23, s7
	s_cbranch_execz .LBB1335_37
.LBB1335_617:
	flat_load_dwordx2 v[21:22], v[82:83] offset:32
	s_or_b32 exec_lo, exec_lo, s23
	s_and_saveexec_b32 s23, s10
                                        ; implicit-def: $vgpr23_vgpr24
	s_cbranch_execz .LBB1335_38
.LBB1335_618:
	flat_load_dwordx2 v[23:24], v[82:83] offset:40
	s_or_b32 exec_lo, exec_lo, s23
                                        ; implicit-def: $vgpr25_vgpr26
	s_and_saveexec_b32 s23, s11
	s_cbranch_execz .LBB1335_39
.LBB1335_619:
	flat_load_dwordx2 v[25:26], v[82:83] offset:48
	s_or_b32 exec_lo, exec_lo, s23
	s_and_saveexec_b32 s23, s21
                                        ; implicit-def: $vgpr27_vgpr28
	s_cbranch_execz .LBB1335_40
.LBB1335_620:
	flat_load_dwordx2 v[27:28], v[82:83] offset:56
	s_or_b32 exec_lo, exec_lo, s23
                                        ; implicit-def: $vgpr29_vgpr30
	s_and_saveexec_b32 s23, s22
	s_cbranch_execz .LBB1335_41
.LBB1335_621:
	flat_load_dwordx2 v[29:30], v[82:83] offset:64
	s_or_b32 exec_lo, exec_lo, s23
	s_and_saveexec_b32 s23, s14
                                        ; implicit-def: $vgpr32_vgpr33
	s_cbranch_execz .LBB1335_42
.LBB1335_622:
	flat_load_dwordx2 v[32:33], v[82:83] offset:72
	s_or_b32 exec_lo, exec_lo, s23
                                        ; implicit-def: $vgpr34_vgpr35
	s_and_saveexec_b32 s23, s15
	s_cbranch_execz .LBB1335_43
.LBB1335_623:
	flat_load_dwordx2 v[34:35], v[82:83] offset:80
	s_or_b32 exec_lo, exec_lo, s23
	s_and_saveexec_b32 s23, s16
                                        ; implicit-def: $vgpr36_vgpr37
	s_cbranch_execz .LBB1335_44
.LBB1335_624:
	flat_load_dwordx2 v[36:37], v[82:83] offset:88
	s_or_b32 exec_lo, exec_lo, s23
                                        ; implicit-def: $vgpr48_vgpr49
	s_and_saveexec_b32 s23, s17
	s_cbranch_execz .LBB1335_45
.LBB1335_625:
	flat_load_dwordx2 v[48:49], v[82:83] offset:96
	s_or_b32 exec_lo, exec_lo, s23
	s_and_saveexec_b32 s23, s18
                                        ; implicit-def: $vgpr68_vgpr69
	s_cbranch_execz .LBB1335_46
.LBB1335_626:
	flat_load_dwordx2 v[68:69], v[82:83] offset:104
	s_or_b32 exec_lo, exec_lo, s23
                                        ; implicit-def: $vgpr38_vgpr39
	s_and_saveexec_b32 s23, s19
	s_cbranch_execz .LBB1335_47
.LBB1335_627:
	flat_load_dwordx2 v[38:39], v[82:83] offset:112
	s_or_b32 exec_lo, exec_lo, s23
	s_and_saveexec_b32 s23, s20
                                        ; implicit-def: $vgpr80_vgpr81
	s_cbranch_execnz .LBB1335_48
	s_branch .LBB1335_49
.LBB1335_628:
	flat_store_dword v[2:3], v13
	s_or_b32 exec_lo, exec_lo, s8
	s_and_saveexec_b32 s8, s4
	s_cbranch_execz .LBB1335_581
.LBB1335_629:
	flat_store_dword v[2:3], v14 offset:4
	s_or_b32 exec_lo, exec_lo, s8
	s_and_saveexec_b32 s8, s5
	s_cbranch_execz .LBB1335_582
.LBB1335_630:
	flat_store_dword v[2:3], v52 offset:8
	s_or_b32 exec_lo, exec_lo, s8
	s_and_saveexec_b32 s8, s6
	s_cbranch_execz .LBB1335_583
.LBB1335_631:
	flat_store_dword v[2:3], v53 offset:12
	s_or_b32 exec_lo, exec_lo, s8
	s_and_saveexec_b32 s8, s7
	s_cbranch_execz .LBB1335_584
.LBB1335_632:
	flat_store_dword v[2:3], v54 offset:16
	s_or_b32 exec_lo, exec_lo, s8
	s_and_saveexec_b32 s8, s10
	s_cbranch_execz .LBB1335_585
.LBB1335_633:
	flat_store_dword v[2:3], v55 offset:20
	s_or_b32 exec_lo, exec_lo, s8
	s_and_saveexec_b32 s8, s11
	s_cbranch_execz .LBB1335_586
.LBB1335_634:
	flat_store_dword v[2:3], v64 offset:24
	s_or_b32 exec_lo, exec_lo, s8
	s_and_saveexec_b32 s8, s21
	s_cbranch_execz .LBB1335_587
.LBB1335_635:
	flat_store_dword v[2:3], v65 offset:28
	s_or_b32 exec_lo, exec_lo, s8
	s_and_saveexec_b32 s8, s22
	s_cbranch_execz .LBB1335_588
.LBB1335_636:
	flat_store_dword v[2:3], v66 offset:32
	s_or_b32 exec_lo, exec_lo, s8
	s_and_saveexec_b32 s8, s14
	s_cbranch_execz .LBB1335_589
.LBB1335_637:
	flat_store_dword v[2:3], v67 offset:36
	s_or_b32 exec_lo, exec_lo, s8
	s_and_saveexec_b32 s8, s15
	s_cbranch_execz .LBB1335_590
.LBB1335_638:
	flat_store_dword v[2:3], v70 offset:40
	s_or_b32 exec_lo, exec_lo, s8
	s_and_saveexec_b32 s8, s16
	s_cbranch_execz .LBB1335_591
.LBB1335_639:
	flat_store_dword v[2:3], v71 offset:44
	s_or_b32 exec_lo, exec_lo, s8
	s_and_saveexec_b32 s8, s17
	s_cbranch_execz .LBB1335_592
.LBB1335_640:
	flat_store_dword v[2:3], v50 offset:48
	s_or_b32 exec_lo, exec_lo, s8
	s_and_saveexec_b32 s8, s18
	s_cbranch_execz .LBB1335_593
.LBB1335_641:
	flat_store_dword v[2:3], v51 offset:52
	s_or_b32 exec_lo, exec_lo, s8
	s_and_saveexec_b32 s8, s19
	s_cbranch_execz .LBB1335_594
.LBB1335_642:
	flat_store_dword v[2:3], v15 offset:56
	s_or_b32 exec_lo, exec_lo, s8
	s_and_saveexec_b32 s8, s20
	s_cbranch_execnz .LBB1335_595
	s_branch .LBB1335_596
.LBB1335_643:
	flat_store_dwordx2 v[0:1], v[4:5]
	s_or_b32 exec_lo, exec_lo, s8
	s_and_saveexec_b32 s8, s4
	s_cbranch_execz .LBB1335_598
.LBB1335_644:
	flat_store_dwordx2 v[0:1], v[8:9] offset:8
	s_or_b32 exec_lo, exec_lo, s8
	s_and_saveexec_b32 s4, s5
	s_cbranch_execz .LBB1335_599
.LBB1335_645:
	flat_store_dwordx2 v[0:1], v[17:18] offset:16
	s_or_b32 exec_lo, exec_lo, s4
	s_and_saveexec_b32 s4, s6
	s_cbranch_execz .LBB1335_600
.LBB1335_646:
	flat_store_dwordx2 v[0:1], v[19:20] offset:24
	s_or_b32 exec_lo, exec_lo, s4
	s_and_saveexec_b32 s4, s7
	s_cbranch_execz .LBB1335_601
.LBB1335_647:
	flat_store_dwordx2 v[0:1], v[21:22] offset:32
	s_or_b32 exec_lo, exec_lo, s4
	s_and_saveexec_b32 s4, s10
	s_cbranch_execz .LBB1335_602
.LBB1335_648:
	flat_store_dwordx2 v[0:1], v[23:24] offset:40
	s_or_b32 exec_lo, exec_lo, s4
	s_and_saveexec_b32 s4, s11
	s_cbranch_execz .LBB1335_603
.LBB1335_649:
	flat_store_dwordx2 v[0:1], v[25:26] offset:48
	s_or_b32 exec_lo, exec_lo, s4
	s_and_saveexec_b32 s4, s21
	s_cbranch_execz .LBB1335_604
.LBB1335_650:
	flat_store_dwordx2 v[0:1], v[27:28] offset:56
	s_or_b32 exec_lo, exec_lo, s4
	s_and_saveexec_b32 s4, s22
	s_cbranch_execz .LBB1335_605
.LBB1335_651:
	flat_store_dwordx2 v[0:1], v[29:30] offset:64
	s_or_b32 exec_lo, exec_lo, s4
	s_and_saveexec_b32 s4, s14
	s_cbranch_execz .LBB1335_606
.LBB1335_652:
	flat_store_dwordx2 v[0:1], v[32:33] offset:72
	s_or_b32 exec_lo, exec_lo, s4
	s_and_saveexec_b32 s4, s15
	s_cbranch_execz .LBB1335_607
.LBB1335_653:
	flat_store_dwordx2 v[0:1], v[34:35] offset:80
	s_or_b32 exec_lo, exec_lo, s4
	s_and_saveexec_b32 s4, s16
	s_cbranch_execz .LBB1335_608
.LBB1335_654:
	flat_store_dwordx2 v[0:1], v[36:37] offset:88
	s_or_b32 exec_lo, exec_lo, s4
	s_and_saveexec_b32 s4, s17
	s_cbranch_execz .LBB1335_609
.LBB1335_655:
	flat_store_dwordx2 v[0:1], v[48:49] offset:96
	s_or_b32 exec_lo, exec_lo, s4
	s_and_saveexec_b32 s4, s18
	s_cbranch_execz .LBB1335_610
.LBB1335_656:
	flat_store_dwordx2 v[0:1], v[68:69] offset:104
	s_or_b32 exec_lo, exec_lo, s4
	s_and_saveexec_b32 s4, s19
	s_cbranch_execz .LBB1335_611
.LBB1335_657:
	flat_store_dwordx2 v[0:1], v[38:39] offset:112
	s_or_b32 exec_lo, exec_lo, s4
	s_and_saveexec_b32 s4, s20
	s_cbranch_execz .LBB1335_612
.LBB1335_658:
	flat_store_dwordx2 v[0:1], v[80:81] offset:120
	s_or_b32 exec_lo, exec_lo, s4
	s_waitcnt lgkmcnt(0)
	s_setpc_b64 s[30:31]
.Lfunc_end1335:
	.size	_ZN7rocprim17ROCPRIM_400000_NS6detail26segmented_warp_sort_helperINS1_20WarpSortHelperConfigILj16ELj16ELj256EEEflLi256ELb1EvE4sortIPKfPfPKlPlEEvT_T0_T1_T2_jjjjRNS5_12storage_typeE, .Lfunc_end1335-_ZN7rocprim17ROCPRIM_400000_NS6detail26segmented_warp_sort_helperINS1_20WarpSortHelperConfigILj16ELj16ELj256EEEflLi256ELb1EvE4sortIPKfPfPKlPlEEvT_T0_T1_T2_jjjjRNS5_12storage_typeE
                                        ; -- End function
	.set .L_ZN7rocprim17ROCPRIM_400000_NS6detail26segmented_warp_sort_helperINS1_20WarpSortHelperConfigILj16ELj16ELj256EEEflLi256ELb1EvE4sortIPKfPfPKlPlEEvT_T0_T1_T2_jjjjRNS5_12storage_typeE.num_vgpr, 148
	.set .L_ZN7rocprim17ROCPRIM_400000_NS6detail26segmented_warp_sort_helperINS1_20WarpSortHelperConfigILj16ELj16ELj256EEEflLi256ELb1EvE4sortIPKfPfPKlPlEEvT_T0_T1_T2_jjjjRNS5_12storage_typeE.num_agpr, 0
	.set .L_ZN7rocprim17ROCPRIM_400000_NS6detail26segmented_warp_sort_helperINS1_20WarpSortHelperConfigILj16ELj16ELj256EEEflLi256ELb1EvE4sortIPKfPfPKlPlEEvT_T0_T1_T2_jjjjRNS5_12storage_typeE.numbered_sgpr, 57
	.set .L_ZN7rocprim17ROCPRIM_400000_NS6detail26segmented_warp_sort_helperINS1_20WarpSortHelperConfigILj16ELj16ELj256EEEflLi256ELb1EvE4sortIPKfPfPKlPlEEvT_T0_T1_T2_jjjjRNS5_12storage_typeE.num_named_barrier, 0
	.set .L_ZN7rocprim17ROCPRIM_400000_NS6detail26segmented_warp_sort_helperINS1_20WarpSortHelperConfigILj16ELj16ELj256EEEflLi256ELb1EvE4sortIPKfPfPKlPlEEvT_T0_T1_T2_jjjjRNS5_12storage_typeE.private_seg_size, 0
	.set .L_ZN7rocprim17ROCPRIM_400000_NS6detail26segmented_warp_sort_helperINS1_20WarpSortHelperConfigILj16ELj16ELj256EEEflLi256ELb1EvE4sortIPKfPfPKlPlEEvT_T0_T1_T2_jjjjRNS5_12storage_typeE.uses_vcc, 1
	.set .L_ZN7rocprim17ROCPRIM_400000_NS6detail26segmented_warp_sort_helperINS1_20WarpSortHelperConfigILj16ELj16ELj256EEEflLi256ELb1EvE4sortIPKfPfPKlPlEEvT_T0_T1_T2_jjjjRNS5_12storage_typeE.uses_flat_scratch, 0
	.set .L_ZN7rocprim17ROCPRIM_400000_NS6detail26segmented_warp_sort_helperINS1_20WarpSortHelperConfigILj16ELj16ELj256EEEflLi256ELb1EvE4sortIPKfPfPKlPlEEvT_T0_T1_T2_jjjjRNS5_12storage_typeE.has_dyn_sized_stack, 0
	.set .L_ZN7rocprim17ROCPRIM_400000_NS6detail26segmented_warp_sort_helperINS1_20WarpSortHelperConfigILj16ELj16ELj256EEEflLi256ELb1EvE4sortIPKfPfPKlPlEEvT_T0_T1_T2_jjjjRNS5_12storage_typeE.has_recursion, 0
	.set .L_ZN7rocprim17ROCPRIM_400000_NS6detail26segmented_warp_sort_helperINS1_20WarpSortHelperConfigILj16ELj16ELj256EEEflLi256ELb1EvE4sortIPKfPfPKlPlEEvT_T0_T1_T2_jjjjRNS5_12storage_typeE.has_indirect_call, 0
	.section	.AMDGPU.csdata,"",@progbits
; Function info:
; codeLenInByte = 28472
; TotalNumSgprs: 59
; NumVgprs: 148
; ScratchSize: 0
; MemoryBound: 0
	.section	.text._ZN7rocprim17ROCPRIM_400000_NS6detail17trampoline_kernelINS0_14default_configENS1_36segmented_radix_sort_config_selectorIflEEZNS1_25segmented_radix_sort_implIS3_Lb1EPKfPfPKlPlN2at6native12_GLOBAL__N_18offset_tEEE10hipError_tPvRmT1_PNSt15iterator_traitsISK_E10value_typeET2_T3_PNSL_ISQ_E10value_typeET4_jRbjT5_SW_jjP12ihipStream_tbEUlT_E0_NS1_11comp_targetILNS1_3genE8ELNS1_11target_archE1030ELNS1_3gpuE2ELNS1_3repE0EEENS1_60segmented_radix_sort_warp_sort_medium_config_static_selectorELNS0_4arch9wavefront6targetE0EEEvSK_,"axG",@progbits,_ZN7rocprim17ROCPRIM_400000_NS6detail17trampoline_kernelINS0_14default_configENS1_36segmented_radix_sort_config_selectorIflEEZNS1_25segmented_radix_sort_implIS3_Lb1EPKfPfPKlPlN2at6native12_GLOBAL__N_18offset_tEEE10hipError_tPvRmT1_PNSt15iterator_traitsISK_E10value_typeET2_T3_PNSL_ISQ_E10value_typeET4_jRbjT5_SW_jjP12ihipStream_tbEUlT_E0_NS1_11comp_targetILNS1_3genE8ELNS1_11target_archE1030ELNS1_3gpuE2ELNS1_3repE0EEENS1_60segmented_radix_sort_warp_sort_medium_config_static_selectorELNS0_4arch9wavefront6targetE0EEEvSK_,comdat
	.globl	_ZN7rocprim17ROCPRIM_400000_NS6detail17trampoline_kernelINS0_14default_configENS1_36segmented_radix_sort_config_selectorIflEEZNS1_25segmented_radix_sort_implIS3_Lb1EPKfPfPKlPlN2at6native12_GLOBAL__N_18offset_tEEE10hipError_tPvRmT1_PNSt15iterator_traitsISK_E10value_typeET2_T3_PNSL_ISQ_E10value_typeET4_jRbjT5_SW_jjP12ihipStream_tbEUlT_E0_NS1_11comp_targetILNS1_3genE8ELNS1_11target_archE1030ELNS1_3gpuE2ELNS1_3repE0EEENS1_60segmented_radix_sort_warp_sort_medium_config_static_selectorELNS0_4arch9wavefront6targetE0EEEvSK_ ; -- Begin function _ZN7rocprim17ROCPRIM_400000_NS6detail17trampoline_kernelINS0_14default_configENS1_36segmented_radix_sort_config_selectorIflEEZNS1_25segmented_radix_sort_implIS3_Lb1EPKfPfPKlPlN2at6native12_GLOBAL__N_18offset_tEEE10hipError_tPvRmT1_PNSt15iterator_traitsISK_E10value_typeET2_T3_PNSL_ISQ_E10value_typeET4_jRbjT5_SW_jjP12ihipStream_tbEUlT_E0_NS1_11comp_targetILNS1_3genE8ELNS1_11target_archE1030ELNS1_3gpuE2ELNS1_3repE0EEENS1_60segmented_radix_sort_warp_sort_medium_config_static_selectorELNS0_4arch9wavefront6targetE0EEEvSK_
	.p2align	8
	.type	_ZN7rocprim17ROCPRIM_400000_NS6detail17trampoline_kernelINS0_14default_configENS1_36segmented_radix_sort_config_selectorIflEEZNS1_25segmented_radix_sort_implIS3_Lb1EPKfPfPKlPlN2at6native12_GLOBAL__N_18offset_tEEE10hipError_tPvRmT1_PNSt15iterator_traitsISK_E10value_typeET2_T3_PNSL_ISQ_E10value_typeET4_jRbjT5_SW_jjP12ihipStream_tbEUlT_E0_NS1_11comp_targetILNS1_3genE8ELNS1_11target_archE1030ELNS1_3gpuE2ELNS1_3repE0EEENS1_60segmented_radix_sort_warp_sort_medium_config_static_selectorELNS0_4arch9wavefront6targetE0EEEvSK_,@function
_ZN7rocprim17ROCPRIM_400000_NS6detail17trampoline_kernelINS0_14default_configENS1_36segmented_radix_sort_config_selectorIflEEZNS1_25segmented_radix_sort_implIS3_Lb1EPKfPfPKlPlN2at6native12_GLOBAL__N_18offset_tEEE10hipError_tPvRmT1_PNSt15iterator_traitsISK_E10value_typeET2_T3_PNSL_ISQ_E10value_typeET4_jRbjT5_SW_jjP12ihipStream_tbEUlT_E0_NS1_11comp_targetILNS1_3genE8ELNS1_11target_archE1030ELNS1_3gpuE2ELNS1_3repE0EEENS1_60segmented_radix_sort_warp_sort_medium_config_static_selectorELNS0_4arch9wavefront6targetE0EEEvSK_: ; @_ZN7rocprim17ROCPRIM_400000_NS6detail17trampoline_kernelINS0_14default_configENS1_36segmented_radix_sort_config_selectorIflEEZNS1_25segmented_radix_sort_implIS3_Lb1EPKfPfPKlPlN2at6native12_GLOBAL__N_18offset_tEEE10hipError_tPvRmT1_PNSt15iterator_traitsISK_E10value_typeET2_T3_PNSL_ISQ_E10value_typeET4_jRbjT5_SW_jjP12ihipStream_tbEUlT_E0_NS1_11comp_targetILNS1_3genE8ELNS1_11target_archE1030ELNS1_3gpuE2ELNS1_3repE0EEENS1_60segmented_radix_sort_warp_sort_medium_config_static_selectorELNS0_4arch9wavefront6targetE0EEEvSK_
; %bb.0:
	s_add_u32 s0, s0, s8
	s_load_dword s8, s[4:5], 0x64
	s_addc_u32 s1, s1, 0
	s_mov_b32 s32, 0
	s_waitcnt lgkmcnt(0)
	s_lshr_b32 s9, s8, 16
	s_and_b32 s8, s8, 0xffff
	v_mad_u32_u24 v3, v2, s9, v1
	s_load_dword s9, s[4:5], 0x34
	v_mad_u64_u32 v[3:4], null, v3, s8, v[0:1]
	s_mov_b32 s8, exec_lo
	v_lshrrev_b32_e32 v3, 4, v3
	v_lshl_add_u32 v3, s6, 4, v3
	s_waitcnt lgkmcnt(0)
	v_cmpx_gt_u32_e64 s9, v3
	s_cbranch_execz .LBB1336_6
; %bb.1:
	s_clause 0x1
	s_load_dwordx2 s[12:13], s[4:5], 0x38
	s_load_dwordx4 s[8:11], s[4:5], 0x40
	v_mov_b32_e32 v4, 0
	v_lshlrev_b64 v[3:4], 2, v[3:4]
	s_waitcnt lgkmcnt(0)
	v_add_co_u32 v3, vcc_lo, s12, v3
	v_add_co_ci_u32_e64 v4, null, s13, v4, vcc_lo
	global_load_dword v3, v[3:4], off
	s_waitcnt vmcnt(0)
	v_add_nc_u32_e32 v4, s9, v3
	v_add_nc_u32_e32 v3, s11, v3
	v_mul_lo_u32 v40, v4, s8
	v_mul_lo_u32 v41, v3, s10
	v_cmp_gt_u32_e32 vcc_lo, v41, v40
	s_and_b32 exec_lo, exec_lo, vcc_lo
	s_cbranch_execz .LBB1336_6
; %bb.2:
	s_clause 0x2
	s_load_dword s8, s[4:5], 0x30
	s_load_dwordx4 s[36:39], s[4:5], 0x20
	s_load_dwordx8 s[48:55], s[4:5], 0x0
	v_lshlrev_b32_e32 v43, 20, v2
	v_lshlrev_b32_e32 v44, 10, v1
	s_waitcnt lgkmcnt(0)
	s_bitcmp0_b32 s8, 0
	s_mov_b32 s8, -1
	s_cbranch_scc0 .LBB1336_4
; %bb.3:
	v_or3_b32 v31, v0, v44, v43
	v_mov_b32_e32 v42, v0
	v_mov_b32_e32 v0, s48
	v_mov_b32_e32 v1, s49
	v_mov_b32_e32 v2, s50
	v_mov_b32_e32 v3, s51
	v_mov_b32_e32 v4, s54
	v_mov_b32_e32 v5, s55
	v_mov_b32_e32 v6, s36
	v_mov_b32_e32 v7, s37
	v_mov_b32_e32 v8, v40
	v_mov_b32_e32 v9, v41
	s_add_u32 s8, s4, 0x58
	s_addc_u32 s9, s5, 0
	s_getpc_b64 s[10:11]
	s_add_u32 s10, s10, _ZN7rocprim17ROCPRIM_400000_NS6detail26segmented_warp_sort_helperINS1_20WarpSortHelperConfigILj16ELj16ELj256EEEflLi256ELb1EvE4sortIPKfPfPKlPlEEvT_T0_T1_T2_jjjjRNS5_12storage_typeE@rel32@lo+4
	s_addc_u32 s11, s11, _ZN7rocprim17ROCPRIM_400000_NS6detail26segmented_warp_sort_helperINS1_20WarpSortHelperConfigILj16ELj16ELj256EEEflLi256ELb1EvE4sortIPKfPfPKlPlEEvT_T0_T1_T2_jjjjRNS5_12storage_typeE@rel32@hi+12
	s_mov_b32 s12, s6
	s_mov_b32 s13, s7
	s_mov_b64 s[34:35], s[4:5]
	s_mov_b32 s33, s7
	s_mov_b32 s36, s6
	s_swappc_b64 s[30:31], s[10:11]
	v_mov_b32_e32 v0, v42
	s_mov_b32 s6, s36
	s_mov_b32 s7, s33
	s_mov_b64 s[4:5], s[34:35]
	s_mov_b32 s8, 0
.LBB1336_4:
	s_andn2_b32 vcc_lo, exec_lo, s8
	s_cbranch_vccnz .LBB1336_6
; %bb.5:
	v_or3_b32 v31, v0, v44, v43
	v_mov_b32_e32 v0, s48
	v_mov_b32_e32 v1, s49
	;; [unrolled: 1-line block ×10, first 2 shown]
	s_add_u32 s8, s4, 0x58
	s_addc_u32 s9, s5, 0
	s_getpc_b64 s[4:5]
	s_add_u32 s4, s4, _ZN7rocprim17ROCPRIM_400000_NS6detail26segmented_warp_sort_helperINS1_20WarpSortHelperConfigILj16ELj16ELj256EEEflLi256ELb1EvE4sortIPKfPfPKlPlEEvT_T0_T1_T2_jjjjRNS5_12storage_typeE@rel32@lo+4
	s_addc_u32 s5, s5, _ZN7rocprim17ROCPRIM_400000_NS6detail26segmented_warp_sort_helperINS1_20WarpSortHelperConfigILj16ELj16ELj256EEEflLi256ELb1EvE4sortIPKfPfPKlPlEEvT_T0_T1_T2_jjjjRNS5_12storage_typeE@rel32@hi+12
	s_mov_b32 s12, s6
	s_mov_b32 s13, s7
	s_swappc_b64 s[30:31], s[4:5]
.LBB1336_6:
	s_endpgm
	.section	.rodata,"a",@progbits
	.p2align	6, 0x0
	.amdhsa_kernel _ZN7rocprim17ROCPRIM_400000_NS6detail17trampoline_kernelINS0_14default_configENS1_36segmented_radix_sort_config_selectorIflEEZNS1_25segmented_radix_sort_implIS3_Lb1EPKfPfPKlPlN2at6native12_GLOBAL__N_18offset_tEEE10hipError_tPvRmT1_PNSt15iterator_traitsISK_E10value_typeET2_T3_PNSL_ISQ_E10value_typeET4_jRbjT5_SW_jjP12ihipStream_tbEUlT_E0_NS1_11comp_targetILNS1_3genE8ELNS1_11target_archE1030ELNS1_3gpuE2ELNS1_3repE0EEENS1_60segmented_radix_sort_warp_sort_medium_config_static_selectorELNS0_4arch9wavefront6targetE0EEEvSK_
		.amdhsa_group_segment_fixed_size 49152
		.amdhsa_private_segment_fixed_size 0
		.amdhsa_kernarg_size 344
		.amdhsa_user_sgpr_count 6
		.amdhsa_user_sgpr_private_segment_buffer 1
		.amdhsa_user_sgpr_dispatch_ptr 0
		.amdhsa_user_sgpr_queue_ptr 0
		.amdhsa_user_sgpr_kernarg_segment_ptr 1
		.amdhsa_user_sgpr_dispatch_id 0
		.amdhsa_user_sgpr_flat_scratch_init 0
		.amdhsa_user_sgpr_private_segment_size 0
		.amdhsa_wavefront_size32 1
		.amdhsa_uses_dynamic_stack 0
		.amdhsa_system_sgpr_private_segment_wavefront_offset 0
		.amdhsa_system_sgpr_workgroup_id_x 1
		.amdhsa_system_sgpr_workgroup_id_y 1
		.amdhsa_system_sgpr_workgroup_id_z 0
		.amdhsa_system_sgpr_workgroup_info 0
		.amdhsa_system_vgpr_workitem_id 2
		.amdhsa_next_free_vgpr 193
		.amdhsa_next_free_sgpr 57
		.amdhsa_reserve_vcc 1
		.amdhsa_reserve_flat_scratch 0
		.amdhsa_float_round_mode_32 0
		.amdhsa_float_round_mode_16_64 0
		.amdhsa_float_denorm_mode_32 3
		.amdhsa_float_denorm_mode_16_64 3
		.amdhsa_dx10_clamp 1
		.amdhsa_ieee_mode 1
		.amdhsa_fp16_overflow 0
		.amdhsa_workgroup_processor_mode 1
		.amdhsa_memory_ordered 1
		.amdhsa_forward_progress 1
		.amdhsa_shared_vgpr_count 0
		.amdhsa_exception_fp_ieee_invalid_op 0
		.amdhsa_exception_fp_denorm_src 0
		.amdhsa_exception_fp_ieee_div_zero 0
		.amdhsa_exception_fp_ieee_overflow 0
		.amdhsa_exception_fp_ieee_underflow 0
		.amdhsa_exception_fp_ieee_inexact 0
		.amdhsa_exception_int_div_zero 0
	.end_amdhsa_kernel
	.section	.text._ZN7rocprim17ROCPRIM_400000_NS6detail17trampoline_kernelINS0_14default_configENS1_36segmented_radix_sort_config_selectorIflEEZNS1_25segmented_radix_sort_implIS3_Lb1EPKfPfPKlPlN2at6native12_GLOBAL__N_18offset_tEEE10hipError_tPvRmT1_PNSt15iterator_traitsISK_E10value_typeET2_T3_PNSL_ISQ_E10value_typeET4_jRbjT5_SW_jjP12ihipStream_tbEUlT_E0_NS1_11comp_targetILNS1_3genE8ELNS1_11target_archE1030ELNS1_3gpuE2ELNS1_3repE0EEENS1_60segmented_radix_sort_warp_sort_medium_config_static_selectorELNS0_4arch9wavefront6targetE0EEEvSK_,"axG",@progbits,_ZN7rocprim17ROCPRIM_400000_NS6detail17trampoline_kernelINS0_14default_configENS1_36segmented_radix_sort_config_selectorIflEEZNS1_25segmented_radix_sort_implIS3_Lb1EPKfPfPKlPlN2at6native12_GLOBAL__N_18offset_tEEE10hipError_tPvRmT1_PNSt15iterator_traitsISK_E10value_typeET2_T3_PNSL_ISQ_E10value_typeET4_jRbjT5_SW_jjP12ihipStream_tbEUlT_E0_NS1_11comp_targetILNS1_3genE8ELNS1_11target_archE1030ELNS1_3gpuE2ELNS1_3repE0EEENS1_60segmented_radix_sort_warp_sort_medium_config_static_selectorELNS0_4arch9wavefront6targetE0EEEvSK_,comdat
.Lfunc_end1336:
	.size	_ZN7rocprim17ROCPRIM_400000_NS6detail17trampoline_kernelINS0_14default_configENS1_36segmented_radix_sort_config_selectorIflEEZNS1_25segmented_radix_sort_implIS3_Lb1EPKfPfPKlPlN2at6native12_GLOBAL__N_18offset_tEEE10hipError_tPvRmT1_PNSt15iterator_traitsISK_E10value_typeET2_T3_PNSL_ISQ_E10value_typeET4_jRbjT5_SW_jjP12ihipStream_tbEUlT_E0_NS1_11comp_targetILNS1_3genE8ELNS1_11target_archE1030ELNS1_3gpuE2ELNS1_3repE0EEENS1_60segmented_radix_sort_warp_sort_medium_config_static_selectorELNS0_4arch9wavefront6targetE0EEEvSK_, .Lfunc_end1336-_ZN7rocprim17ROCPRIM_400000_NS6detail17trampoline_kernelINS0_14default_configENS1_36segmented_radix_sort_config_selectorIflEEZNS1_25segmented_radix_sort_implIS3_Lb1EPKfPfPKlPlN2at6native12_GLOBAL__N_18offset_tEEE10hipError_tPvRmT1_PNSt15iterator_traitsISK_E10value_typeET2_T3_PNSL_ISQ_E10value_typeET4_jRbjT5_SW_jjP12ihipStream_tbEUlT_E0_NS1_11comp_targetILNS1_3genE8ELNS1_11target_archE1030ELNS1_3gpuE2ELNS1_3repE0EEENS1_60segmented_radix_sort_warp_sort_medium_config_static_selectorELNS0_4arch9wavefront6targetE0EEEvSK_
                                        ; -- End function
	.set _ZN7rocprim17ROCPRIM_400000_NS6detail17trampoline_kernelINS0_14default_configENS1_36segmented_radix_sort_config_selectorIflEEZNS1_25segmented_radix_sort_implIS3_Lb1EPKfPfPKlPlN2at6native12_GLOBAL__N_18offset_tEEE10hipError_tPvRmT1_PNSt15iterator_traitsISK_E10value_typeET2_T3_PNSL_ISQ_E10value_typeET4_jRbjT5_SW_jjP12ihipStream_tbEUlT_E0_NS1_11comp_targetILNS1_3genE8ELNS1_11target_archE1030ELNS1_3gpuE2ELNS1_3repE0EEENS1_60segmented_radix_sort_warp_sort_medium_config_static_selectorELNS0_4arch9wavefront6targetE0EEEvSK_.num_vgpr, max(45, .L_ZN7rocprim17ROCPRIM_400000_NS6detail26segmented_warp_sort_helperINS1_20WarpSortHelperConfigILj16ELj16ELj256EEEflLi256ELb1EvE4sortIPKfPfPKlPlEEvT_T0_T1_T2_jjjjRNS5_12storage_typeE.num_vgpr)
	.set _ZN7rocprim17ROCPRIM_400000_NS6detail17trampoline_kernelINS0_14default_configENS1_36segmented_radix_sort_config_selectorIflEEZNS1_25segmented_radix_sort_implIS3_Lb1EPKfPfPKlPlN2at6native12_GLOBAL__N_18offset_tEEE10hipError_tPvRmT1_PNSt15iterator_traitsISK_E10value_typeET2_T3_PNSL_ISQ_E10value_typeET4_jRbjT5_SW_jjP12ihipStream_tbEUlT_E0_NS1_11comp_targetILNS1_3genE8ELNS1_11target_archE1030ELNS1_3gpuE2ELNS1_3repE0EEENS1_60segmented_radix_sort_warp_sort_medium_config_static_selectorELNS0_4arch9wavefront6targetE0EEEvSK_.num_agpr, max(0, .L_ZN7rocprim17ROCPRIM_400000_NS6detail26segmented_warp_sort_helperINS1_20WarpSortHelperConfigILj16ELj16ELj256EEEflLi256ELb1EvE4sortIPKfPfPKlPlEEvT_T0_T1_T2_jjjjRNS5_12storage_typeE.num_agpr)
	.set _ZN7rocprim17ROCPRIM_400000_NS6detail17trampoline_kernelINS0_14default_configENS1_36segmented_radix_sort_config_selectorIflEEZNS1_25segmented_radix_sort_implIS3_Lb1EPKfPfPKlPlN2at6native12_GLOBAL__N_18offset_tEEE10hipError_tPvRmT1_PNSt15iterator_traitsISK_E10value_typeET2_T3_PNSL_ISQ_E10value_typeET4_jRbjT5_SW_jjP12ihipStream_tbEUlT_E0_NS1_11comp_targetILNS1_3genE8ELNS1_11target_archE1030ELNS1_3gpuE2ELNS1_3repE0EEENS1_60segmented_radix_sort_warp_sort_medium_config_static_selectorELNS0_4arch9wavefront6targetE0EEEvSK_.numbered_sgpr, max(56, .L_ZN7rocprim17ROCPRIM_400000_NS6detail26segmented_warp_sort_helperINS1_20WarpSortHelperConfigILj16ELj16ELj256EEEflLi256ELb1EvE4sortIPKfPfPKlPlEEvT_T0_T1_T2_jjjjRNS5_12storage_typeE.numbered_sgpr)
	.set _ZN7rocprim17ROCPRIM_400000_NS6detail17trampoline_kernelINS0_14default_configENS1_36segmented_radix_sort_config_selectorIflEEZNS1_25segmented_radix_sort_implIS3_Lb1EPKfPfPKlPlN2at6native12_GLOBAL__N_18offset_tEEE10hipError_tPvRmT1_PNSt15iterator_traitsISK_E10value_typeET2_T3_PNSL_ISQ_E10value_typeET4_jRbjT5_SW_jjP12ihipStream_tbEUlT_E0_NS1_11comp_targetILNS1_3genE8ELNS1_11target_archE1030ELNS1_3gpuE2ELNS1_3repE0EEENS1_60segmented_radix_sort_warp_sort_medium_config_static_selectorELNS0_4arch9wavefront6targetE0EEEvSK_.num_named_barrier, max(0, .L_ZN7rocprim17ROCPRIM_400000_NS6detail26segmented_warp_sort_helperINS1_20WarpSortHelperConfigILj16ELj16ELj256EEEflLi256ELb1EvE4sortIPKfPfPKlPlEEvT_T0_T1_T2_jjjjRNS5_12storage_typeE.num_named_barrier)
	.set _ZN7rocprim17ROCPRIM_400000_NS6detail17trampoline_kernelINS0_14default_configENS1_36segmented_radix_sort_config_selectorIflEEZNS1_25segmented_radix_sort_implIS3_Lb1EPKfPfPKlPlN2at6native12_GLOBAL__N_18offset_tEEE10hipError_tPvRmT1_PNSt15iterator_traitsISK_E10value_typeET2_T3_PNSL_ISQ_E10value_typeET4_jRbjT5_SW_jjP12ihipStream_tbEUlT_E0_NS1_11comp_targetILNS1_3genE8ELNS1_11target_archE1030ELNS1_3gpuE2ELNS1_3repE0EEENS1_60segmented_radix_sort_warp_sort_medium_config_static_selectorELNS0_4arch9wavefront6targetE0EEEvSK_.private_seg_size, 0+max(.L_ZN7rocprim17ROCPRIM_400000_NS6detail26segmented_warp_sort_helperINS1_20WarpSortHelperConfigILj16ELj16ELj256EEEflLi256ELb1EvE4sortIPKfPfPKlPlEEvT_T0_T1_T2_jjjjRNS5_12storage_typeE.private_seg_size)
	.set _ZN7rocprim17ROCPRIM_400000_NS6detail17trampoline_kernelINS0_14default_configENS1_36segmented_radix_sort_config_selectorIflEEZNS1_25segmented_radix_sort_implIS3_Lb1EPKfPfPKlPlN2at6native12_GLOBAL__N_18offset_tEEE10hipError_tPvRmT1_PNSt15iterator_traitsISK_E10value_typeET2_T3_PNSL_ISQ_E10value_typeET4_jRbjT5_SW_jjP12ihipStream_tbEUlT_E0_NS1_11comp_targetILNS1_3genE8ELNS1_11target_archE1030ELNS1_3gpuE2ELNS1_3repE0EEENS1_60segmented_radix_sort_warp_sort_medium_config_static_selectorELNS0_4arch9wavefront6targetE0EEEvSK_.uses_vcc, or(1, .L_ZN7rocprim17ROCPRIM_400000_NS6detail26segmented_warp_sort_helperINS1_20WarpSortHelperConfigILj16ELj16ELj256EEEflLi256ELb1EvE4sortIPKfPfPKlPlEEvT_T0_T1_T2_jjjjRNS5_12storage_typeE.uses_vcc)
	.set _ZN7rocprim17ROCPRIM_400000_NS6detail17trampoline_kernelINS0_14default_configENS1_36segmented_radix_sort_config_selectorIflEEZNS1_25segmented_radix_sort_implIS3_Lb1EPKfPfPKlPlN2at6native12_GLOBAL__N_18offset_tEEE10hipError_tPvRmT1_PNSt15iterator_traitsISK_E10value_typeET2_T3_PNSL_ISQ_E10value_typeET4_jRbjT5_SW_jjP12ihipStream_tbEUlT_E0_NS1_11comp_targetILNS1_3genE8ELNS1_11target_archE1030ELNS1_3gpuE2ELNS1_3repE0EEENS1_60segmented_radix_sort_warp_sort_medium_config_static_selectorELNS0_4arch9wavefront6targetE0EEEvSK_.uses_flat_scratch, or(0, .L_ZN7rocprim17ROCPRIM_400000_NS6detail26segmented_warp_sort_helperINS1_20WarpSortHelperConfigILj16ELj16ELj256EEEflLi256ELb1EvE4sortIPKfPfPKlPlEEvT_T0_T1_T2_jjjjRNS5_12storage_typeE.uses_flat_scratch)
	.set _ZN7rocprim17ROCPRIM_400000_NS6detail17trampoline_kernelINS0_14default_configENS1_36segmented_radix_sort_config_selectorIflEEZNS1_25segmented_radix_sort_implIS3_Lb1EPKfPfPKlPlN2at6native12_GLOBAL__N_18offset_tEEE10hipError_tPvRmT1_PNSt15iterator_traitsISK_E10value_typeET2_T3_PNSL_ISQ_E10value_typeET4_jRbjT5_SW_jjP12ihipStream_tbEUlT_E0_NS1_11comp_targetILNS1_3genE8ELNS1_11target_archE1030ELNS1_3gpuE2ELNS1_3repE0EEENS1_60segmented_radix_sort_warp_sort_medium_config_static_selectorELNS0_4arch9wavefront6targetE0EEEvSK_.has_dyn_sized_stack, or(0, .L_ZN7rocprim17ROCPRIM_400000_NS6detail26segmented_warp_sort_helperINS1_20WarpSortHelperConfigILj16ELj16ELj256EEEflLi256ELb1EvE4sortIPKfPfPKlPlEEvT_T0_T1_T2_jjjjRNS5_12storage_typeE.has_dyn_sized_stack)
	.set _ZN7rocprim17ROCPRIM_400000_NS6detail17trampoline_kernelINS0_14default_configENS1_36segmented_radix_sort_config_selectorIflEEZNS1_25segmented_radix_sort_implIS3_Lb1EPKfPfPKlPlN2at6native12_GLOBAL__N_18offset_tEEE10hipError_tPvRmT1_PNSt15iterator_traitsISK_E10value_typeET2_T3_PNSL_ISQ_E10value_typeET4_jRbjT5_SW_jjP12ihipStream_tbEUlT_E0_NS1_11comp_targetILNS1_3genE8ELNS1_11target_archE1030ELNS1_3gpuE2ELNS1_3repE0EEENS1_60segmented_radix_sort_warp_sort_medium_config_static_selectorELNS0_4arch9wavefront6targetE0EEEvSK_.has_recursion, or(0, .L_ZN7rocprim17ROCPRIM_400000_NS6detail26segmented_warp_sort_helperINS1_20WarpSortHelperConfigILj16ELj16ELj256EEEflLi256ELb1EvE4sortIPKfPfPKlPlEEvT_T0_T1_T2_jjjjRNS5_12storage_typeE.has_recursion)
	.set _ZN7rocprim17ROCPRIM_400000_NS6detail17trampoline_kernelINS0_14default_configENS1_36segmented_radix_sort_config_selectorIflEEZNS1_25segmented_radix_sort_implIS3_Lb1EPKfPfPKlPlN2at6native12_GLOBAL__N_18offset_tEEE10hipError_tPvRmT1_PNSt15iterator_traitsISK_E10value_typeET2_T3_PNSL_ISQ_E10value_typeET4_jRbjT5_SW_jjP12ihipStream_tbEUlT_E0_NS1_11comp_targetILNS1_3genE8ELNS1_11target_archE1030ELNS1_3gpuE2ELNS1_3repE0EEENS1_60segmented_radix_sort_warp_sort_medium_config_static_selectorELNS0_4arch9wavefront6targetE0EEEvSK_.has_indirect_call, or(0, .L_ZN7rocprim17ROCPRIM_400000_NS6detail26segmented_warp_sort_helperINS1_20WarpSortHelperConfigILj16ELj16ELj256EEEflLi256ELb1EvE4sortIPKfPfPKlPlEEvT_T0_T1_T2_jjjjRNS5_12storage_typeE.has_indirect_call)
	.section	.AMDGPU.csdata,"",@progbits
; Kernel info:
; codeLenInByte = 476
; TotalNumSgprs: 59
; NumVgprs: 148
; ScratchSize: 0
; MemoryBound: 0
; FloatMode: 240
; IeeeMode: 1
; LDSByteSize: 49152 bytes/workgroup (compile time only)
; SGPRBlocks: 0
; VGPRBlocks: 24
; NumSGPRsForWavesPerEU: 59
; NumVGPRsForWavesPerEU: 193
; Occupancy: 4
; WaveLimiterHint : 0
; COMPUTE_PGM_RSRC2:SCRATCH_EN: 0
; COMPUTE_PGM_RSRC2:USER_SGPR: 6
; COMPUTE_PGM_RSRC2:TRAP_HANDLER: 0
; COMPUTE_PGM_RSRC2:TGID_X_EN: 1
; COMPUTE_PGM_RSRC2:TGID_Y_EN: 1
; COMPUTE_PGM_RSRC2:TGID_Z_EN: 0
; COMPUTE_PGM_RSRC2:TIDIG_COMP_CNT: 2
	.section	.text._ZN7rocprim17ROCPRIM_400000_NS6detail17trampoline_kernelINS0_14default_configENS1_36segmented_radix_sort_config_selectorIflEEZNS1_25segmented_radix_sort_implIS3_Lb1EPKfPfPKlPlN2at6native12_GLOBAL__N_18offset_tEEE10hipError_tPvRmT1_PNSt15iterator_traitsISK_E10value_typeET2_T3_PNSL_ISQ_E10value_typeET4_jRbjT5_SW_jjP12ihipStream_tbEUlT_E1_NS1_11comp_targetILNS1_3genE0ELNS1_11target_archE4294967295ELNS1_3gpuE0ELNS1_3repE0EEENS1_59segmented_radix_sort_warp_sort_small_config_static_selectorELNS0_4arch9wavefront6targetE0EEEvSK_,"axG",@progbits,_ZN7rocprim17ROCPRIM_400000_NS6detail17trampoline_kernelINS0_14default_configENS1_36segmented_radix_sort_config_selectorIflEEZNS1_25segmented_radix_sort_implIS3_Lb1EPKfPfPKlPlN2at6native12_GLOBAL__N_18offset_tEEE10hipError_tPvRmT1_PNSt15iterator_traitsISK_E10value_typeET2_T3_PNSL_ISQ_E10value_typeET4_jRbjT5_SW_jjP12ihipStream_tbEUlT_E1_NS1_11comp_targetILNS1_3genE0ELNS1_11target_archE4294967295ELNS1_3gpuE0ELNS1_3repE0EEENS1_59segmented_radix_sort_warp_sort_small_config_static_selectorELNS0_4arch9wavefront6targetE0EEEvSK_,comdat
	.globl	_ZN7rocprim17ROCPRIM_400000_NS6detail17trampoline_kernelINS0_14default_configENS1_36segmented_radix_sort_config_selectorIflEEZNS1_25segmented_radix_sort_implIS3_Lb1EPKfPfPKlPlN2at6native12_GLOBAL__N_18offset_tEEE10hipError_tPvRmT1_PNSt15iterator_traitsISK_E10value_typeET2_T3_PNSL_ISQ_E10value_typeET4_jRbjT5_SW_jjP12ihipStream_tbEUlT_E1_NS1_11comp_targetILNS1_3genE0ELNS1_11target_archE4294967295ELNS1_3gpuE0ELNS1_3repE0EEENS1_59segmented_radix_sort_warp_sort_small_config_static_selectorELNS0_4arch9wavefront6targetE0EEEvSK_ ; -- Begin function _ZN7rocprim17ROCPRIM_400000_NS6detail17trampoline_kernelINS0_14default_configENS1_36segmented_radix_sort_config_selectorIflEEZNS1_25segmented_radix_sort_implIS3_Lb1EPKfPfPKlPlN2at6native12_GLOBAL__N_18offset_tEEE10hipError_tPvRmT1_PNSt15iterator_traitsISK_E10value_typeET2_T3_PNSL_ISQ_E10value_typeET4_jRbjT5_SW_jjP12ihipStream_tbEUlT_E1_NS1_11comp_targetILNS1_3genE0ELNS1_11target_archE4294967295ELNS1_3gpuE0ELNS1_3repE0EEENS1_59segmented_radix_sort_warp_sort_small_config_static_selectorELNS0_4arch9wavefront6targetE0EEEvSK_
	.p2align	8
	.type	_ZN7rocprim17ROCPRIM_400000_NS6detail17trampoline_kernelINS0_14default_configENS1_36segmented_radix_sort_config_selectorIflEEZNS1_25segmented_radix_sort_implIS3_Lb1EPKfPfPKlPlN2at6native12_GLOBAL__N_18offset_tEEE10hipError_tPvRmT1_PNSt15iterator_traitsISK_E10value_typeET2_T3_PNSL_ISQ_E10value_typeET4_jRbjT5_SW_jjP12ihipStream_tbEUlT_E1_NS1_11comp_targetILNS1_3genE0ELNS1_11target_archE4294967295ELNS1_3gpuE0ELNS1_3repE0EEENS1_59segmented_radix_sort_warp_sort_small_config_static_selectorELNS0_4arch9wavefront6targetE0EEEvSK_,@function
_ZN7rocprim17ROCPRIM_400000_NS6detail17trampoline_kernelINS0_14default_configENS1_36segmented_radix_sort_config_selectorIflEEZNS1_25segmented_radix_sort_implIS3_Lb1EPKfPfPKlPlN2at6native12_GLOBAL__N_18offset_tEEE10hipError_tPvRmT1_PNSt15iterator_traitsISK_E10value_typeET2_T3_PNSL_ISQ_E10value_typeET4_jRbjT5_SW_jjP12ihipStream_tbEUlT_E1_NS1_11comp_targetILNS1_3genE0ELNS1_11target_archE4294967295ELNS1_3gpuE0ELNS1_3repE0EEENS1_59segmented_radix_sort_warp_sort_small_config_static_selectorELNS0_4arch9wavefront6targetE0EEEvSK_: ; @_ZN7rocprim17ROCPRIM_400000_NS6detail17trampoline_kernelINS0_14default_configENS1_36segmented_radix_sort_config_selectorIflEEZNS1_25segmented_radix_sort_implIS3_Lb1EPKfPfPKlPlN2at6native12_GLOBAL__N_18offset_tEEE10hipError_tPvRmT1_PNSt15iterator_traitsISK_E10value_typeET2_T3_PNSL_ISQ_E10value_typeET4_jRbjT5_SW_jjP12ihipStream_tbEUlT_E1_NS1_11comp_targetILNS1_3genE0ELNS1_11target_archE4294967295ELNS1_3gpuE0ELNS1_3repE0EEENS1_59segmented_radix_sort_warp_sort_small_config_static_selectorELNS0_4arch9wavefront6targetE0EEEvSK_
; %bb.0:
	.section	.rodata,"a",@progbits
	.p2align	6, 0x0
	.amdhsa_kernel _ZN7rocprim17ROCPRIM_400000_NS6detail17trampoline_kernelINS0_14default_configENS1_36segmented_radix_sort_config_selectorIflEEZNS1_25segmented_radix_sort_implIS3_Lb1EPKfPfPKlPlN2at6native12_GLOBAL__N_18offset_tEEE10hipError_tPvRmT1_PNSt15iterator_traitsISK_E10value_typeET2_T3_PNSL_ISQ_E10value_typeET4_jRbjT5_SW_jjP12ihipStream_tbEUlT_E1_NS1_11comp_targetILNS1_3genE0ELNS1_11target_archE4294967295ELNS1_3gpuE0ELNS1_3repE0EEENS1_59segmented_radix_sort_warp_sort_small_config_static_selectorELNS0_4arch9wavefront6targetE0EEEvSK_
		.amdhsa_group_segment_fixed_size 0
		.amdhsa_private_segment_fixed_size 0
		.amdhsa_kernarg_size 88
		.amdhsa_user_sgpr_count 6
		.amdhsa_user_sgpr_private_segment_buffer 1
		.amdhsa_user_sgpr_dispatch_ptr 0
		.amdhsa_user_sgpr_queue_ptr 0
		.amdhsa_user_sgpr_kernarg_segment_ptr 1
		.amdhsa_user_sgpr_dispatch_id 0
		.amdhsa_user_sgpr_flat_scratch_init 0
		.amdhsa_user_sgpr_private_segment_size 0
		.amdhsa_wavefront_size32 1
		.amdhsa_uses_dynamic_stack 0
		.amdhsa_system_sgpr_private_segment_wavefront_offset 0
		.amdhsa_system_sgpr_workgroup_id_x 1
		.amdhsa_system_sgpr_workgroup_id_y 0
		.amdhsa_system_sgpr_workgroup_id_z 0
		.amdhsa_system_sgpr_workgroup_info 0
		.amdhsa_system_vgpr_workitem_id 0
		.amdhsa_next_free_vgpr 1
		.amdhsa_next_free_sgpr 1
		.amdhsa_reserve_vcc 0
		.amdhsa_reserve_flat_scratch 0
		.amdhsa_float_round_mode_32 0
		.amdhsa_float_round_mode_16_64 0
		.amdhsa_float_denorm_mode_32 3
		.amdhsa_float_denorm_mode_16_64 3
		.amdhsa_dx10_clamp 1
		.amdhsa_ieee_mode 1
		.amdhsa_fp16_overflow 0
		.amdhsa_workgroup_processor_mode 1
		.amdhsa_memory_ordered 1
		.amdhsa_forward_progress 1
		.amdhsa_shared_vgpr_count 0
		.amdhsa_exception_fp_ieee_invalid_op 0
		.amdhsa_exception_fp_denorm_src 0
		.amdhsa_exception_fp_ieee_div_zero 0
		.amdhsa_exception_fp_ieee_overflow 0
		.amdhsa_exception_fp_ieee_underflow 0
		.amdhsa_exception_fp_ieee_inexact 0
		.amdhsa_exception_int_div_zero 0
	.end_amdhsa_kernel
	.section	.text._ZN7rocprim17ROCPRIM_400000_NS6detail17trampoline_kernelINS0_14default_configENS1_36segmented_radix_sort_config_selectorIflEEZNS1_25segmented_radix_sort_implIS3_Lb1EPKfPfPKlPlN2at6native12_GLOBAL__N_18offset_tEEE10hipError_tPvRmT1_PNSt15iterator_traitsISK_E10value_typeET2_T3_PNSL_ISQ_E10value_typeET4_jRbjT5_SW_jjP12ihipStream_tbEUlT_E1_NS1_11comp_targetILNS1_3genE0ELNS1_11target_archE4294967295ELNS1_3gpuE0ELNS1_3repE0EEENS1_59segmented_radix_sort_warp_sort_small_config_static_selectorELNS0_4arch9wavefront6targetE0EEEvSK_,"axG",@progbits,_ZN7rocprim17ROCPRIM_400000_NS6detail17trampoline_kernelINS0_14default_configENS1_36segmented_radix_sort_config_selectorIflEEZNS1_25segmented_radix_sort_implIS3_Lb1EPKfPfPKlPlN2at6native12_GLOBAL__N_18offset_tEEE10hipError_tPvRmT1_PNSt15iterator_traitsISK_E10value_typeET2_T3_PNSL_ISQ_E10value_typeET4_jRbjT5_SW_jjP12ihipStream_tbEUlT_E1_NS1_11comp_targetILNS1_3genE0ELNS1_11target_archE4294967295ELNS1_3gpuE0ELNS1_3repE0EEENS1_59segmented_radix_sort_warp_sort_small_config_static_selectorELNS0_4arch9wavefront6targetE0EEEvSK_,comdat
.Lfunc_end1337:
	.size	_ZN7rocprim17ROCPRIM_400000_NS6detail17trampoline_kernelINS0_14default_configENS1_36segmented_radix_sort_config_selectorIflEEZNS1_25segmented_radix_sort_implIS3_Lb1EPKfPfPKlPlN2at6native12_GLOBAL__N_18offset_tEEE10hipError_tPvRmT1_PNSt15iterator_traitsISK_E10value_typeET2_T3_PNSL_ISQ_E10value_typeET4_jRbjT5_SW_jjP12ihipStream_tbEUlT_E1_NS1_11comp_targetILNS1_3genE0ELNS1_11target_archE4294967295ELNS1_3gpuE0ELNS1_3repE0EEENS1_59segmented_radix_sort_warp_sort_small_config_static_selectorELNS0_4arch9wavefront6targetE0EEEvSK_, .Lfunc_end1337-_ZN7rocprim17ROCPRIM_400000_NS6detail17trampoline_kernelINS0_14default_configENS1_36segmented_radix_sort_config_selectorIflEEZNS1_25segmented_radix_sort_implIS3_Lb1EPKfPfPKlPlN2at6native12_GLOBAL__N_18offset_tEEE10hipError_tPvRmT1_PNSt15iterator_traitsISK_E10value_typeET2_T3_PNSL_ISQ_E10value_typeET4_jRbjT5_SW_jjP12ihipStream_tbEUlT_E1_NS1_11comp_targetILNS1_3genE0ELNS1_11target_archE4294967295ELNS1_3gpuE0ELNS1_3repE0EEENS1_59segmented_radix_sort_warp_sort_small_config_static_selectorELNS0_4arch9wavefront6targetE0EEEvSK_
                                        ; -- End function
	.set _ZN7rocprim17ROCPRIM_400000_NS6detail17trampoline_kernelINS0_14default_configENS1_36segmented_radix_sort_config_selectorIflEEZNS1_25segmented_radix_sort_implIS3_Lb1EPKfPfPKlPlN2at6native12_GLOBAL__N_18offset_tEEE10hipError_tPvRmT1_PNSt15iterator_traitsISK_E10value_typeET2_T3_PNSL_ISQ_E10value_typeET4_jRbjT5_SW_jjP12ihipStream_tbEUlT_E1_NS1_11comp_targetILNS1_3genE0ELNS1_11target_archE4294967295ELNS1_3gpuE0ELNS1_3repE0EEENS1_59segmented_radix_sort_warp_sort_small_config_static_selectorELNS0_4arch9wavefront6targetE0EEEvSK_.num_vgpr, 0
	.set _ZN7rocprim17ROCPRIM_400000_NS6detail17trampoline_kernelINS0_14default_configENS1_36segmented_radix_sort_config_selectorIflEEZNS1_25segmented_radix_sort_implIS3_Lb1EPKfPfPKlPlN2at6native12_GLOBAL__N_18offset_tEEE10hipError_tPvRmT1_PNSt15iterator_traitsISK_E10value_typeET2_T3_PNSL_ISQ_E10value_typeET4_jRbjT5_SW_jjP12ihipStream_tbEUlT_E1_NS1_11comp_targetILNS1_3genE0ELNS1_11target_archE4294967295ELNS1_3gpuE0ELNS1_3repE0EEENS1_59segmented_radix_sort_warp_sort_small_config_static_selectorELNS0_4arch9wavefront6targetE0EEEvSK_.num_agpr, 0
	.set _ZN7rocprim17ROCPRIM_400000_NS6detail17trampoline_kernelINS0_14default_configENS1_36segmented_radix_sort_config_selectorIflEEZNS1_25segmented_radix_sort_implIS3_Lb1EPKfPfPKlPlN2at6native12_GLOBAL__N_18offset_tEEE10hipError_tPvRmT1_PNSt15iterator_traitsISK_E10value_typeET2_T3_PNSL_ISQ_E10value_typeET4_jRbjT5_SW_jjP12ihipStream_tbEUlT_E1_NS1_11comp_targetILNS1_3genE0ELNS1_11target_archE4294967295ELNS1_3gpuE0ELNS1_3repE0EEENS1_59segmented_radix_sort_warp_sort_small_config_static_selectorELNS0_4arch9wavefront6targetE0EEEvSK_.numbered_sgpr, 0
	.set _ZN7rocprim17ROCPRIM_400000_NS6detail17trampoline_kernelINS0_14default_configENS1_36segmented_radix_sort_config_selectorIflEEZNS1_25segmented_radix_sort_implIS3_Lb1EPKfPfPKlPlN2at6native12_GLOBAL__N_18offset_tEEE10hipError_tPvRmT1_PNSt15iterator_traitsISK_E10value_typeET2_T3_PNSL_ISQ_E10value_typeET4_jRbjT5_SW_jjP12ihipStream_tbEUlT_E1_NS1_11comp_targetILNS1_3genE0ELNS1_11target_archE4294967295ELNS1_3gpuE0ELNS1_3repE0EEENS1_59segmented_radix_sort_warp_sort_small_config_static_selectorELNS0_4arch9wavefront6targetE0EEEvSK_.num_named_barrier, 0
	.set _ZN7rocprim17ROCPRIM_400000_NS6detail17trampoline_kernelINS0_14default_configENS1_36segmented_radix_sort_config_selectorIflEEZNS1_25segmented_radix_sort_implIS3_Lb1EPKfPfPKlPlN2at6native12_GLOBAL__N_18offset_tEEE10hipError_tPvRmT1_PNSt15iterator_traitsISK_E10value_typeET2_T3_PNSL_ISQ_E10value_typeET4_jRbjT5_SW_jjP12ihipStream_tbEUlT_E1_NS1_11comp_targetILNS1_3genE0ELNS1_11target_archE4294967295ELNS1_3gpuE0ELNS1_3repE0EEENS1_59segmented_radix_sort_warp_sort_small_config_static_selectorELNS0_4arch9wavefront6targetE0EEEvSK_.private_seg_size, 0
	.set _ZN7rocprim17ROCPRIM_400000_NS6detail17trampoline_kernelINS0_14default_configENS1_36segmented_radix_sort_config_selectorIflEEZNS1_25segmented_radix_sort_implIS3_Lb1EPKfPfPKlPlN2at6native12_GLOBAL__N_18offset_tEEE10hipError_tPvRmT1_PNSt15iterator_traitsISK_E10value_typeET2_T3_PNSL_ISQ_E10value_typeET4_jRbjT5_SW_jjP12ihipStream_tbEUlT_E1_NS1_11comp_targetILNS1_3genE0ELNS1_11target_archE4294967295ELNS1_3gpuE0ELNS1_3repE0EEENS1_59segmented_radix_sort_warp_sort_small_config_static_selectorELNS0_4arch9wavefront6targetE0EEEvSK_.uses_vcc, 0
	.set _ZN7rocprim17ROCPRIM_400000_NS6detail17trampoline_kernelINS0_14default_configENS1_36segmented_radix_sort_config_selectorIflEEZNS1_25segmented_radix_sort_implIS3_Lb1EPKfPfPKlPlN2at6native12_GLOBAL__N_18offset_tEEE10hipError_tPvRmT1_PNSt15iterator_traitsISK_E10value_typeET2_T3_PNSL_ISQ_E10value_typeET4_jRbjT5_SW_jjP12ihipStream_tbEUlT_E1_NS1_11comp_targetILNS1_3genE0ELNS1_11target_archE4294967295ELNS1_3gpuE0ELNS1_3repE0EEENS1_59segmented_radix_sort_warp_sort_small_config_static_selectorELNS0_4arch9wavefront6targetE0EEEvSK_.uses_flat_scratch, 0
	.set _ZN7rocprim17ROCPRIM_400000_NS6detail17trampoline_kernelINS0_14default_configENS1_36segmented_radix_sort_config_selectorIflEEZNS1_25segmented_radix_sort_implIS3_Lb1EPKfPfPKlPlN2at6native12_GLOBAL__N_18offset_tEEE10hipError_tPvRmT1_PNSt15iterator_traitsISK_E10value_typeET2_T3_PNSL_ISQ_E10value_typeET4_jRbjT5_SW_jjP12ihipStream_tbEUlT_E1_NS1_11comp_targetILNS1_3genE0ELNS1_11target_archE4294967295ELNS1_3gpuE0ELNS1_3repE0EEENS1_59segmented_radix_sort_warp_sort_small_config_static_selectorELNS0_4arch9wavefront6targetE0EEEvSK_.has_dyn_sized_stack, 0
	.set _ZN7rocprim17ROCPRIM_400000_NS6detail17trampoline_kernelINS0_14default_configENS1_36segmented_radix_sort_config_selectorIflEEZNS1_25segmented_radix_sort_implIS3_Lb1EPKfPfPKlPlN2at6native12_GLOBAL__N_18offset_tEEE10hipError_tPvRmT1_PNSt15iterator_traitsISK_E10value_typeET2_T3_PNSL_ISQ_E10value_typeET4_jRbjT5_SW_jjP12ihipStream_tbEUlT_E1_NS1_11comp_targetILNS1_3genE0ELNS1_11target_archE4294967295ELNS1_3gpuE0ELNS1_3repE0EEENS1_59segmented_radix_sort_warp_sort_small_config_static_selectorELNS0_4arch9wavefront6targetE0EEEvSK_.has_recursion, 0
	.set _ZN7rocprim17ROCPRIM_400000_NS6detail17trampoline_kernelINS0_14default_configENS1_36segmented_radix_sort_config_selectorIflEEZNS1_25segmented_radix_sort_implIS3_Lb1EPKfPfPKlPlN2at6native12_GLOBAL__N_18offset_tEEE10hipError_tPvRmT1_PNSt15iterator_traitsISK_E10value_typeET2_T3_PNSL_ISQ_E10value_typeET4_jRbjT5_SW_jjP12ihipStream_tbEUlT_E1_NS1_11comp_targetILNS1_3genE0ELNS1_11target_archE4294967295ELNS1_3gpuE0ELNS1_3repE0EEENS1_59segmented_radix_sort_warp_sort_small_config_static_selectorELNS0_4arch9wavefront6targetE0EEEvSK_.has_indirect_call, 0
	.section	.AMDGPU.csdata,"",@progbits
; Kernel info:
; codeLenInByte = 0
; TotalNumSgprs: 0
; NumVgprs: 0
; ScratchSize: 0
; MemoryBound: 0
; FloatMode: 240
; IeeeMode: 1
; LDSByteSize: 0 bytes/workgroup (compile time only)
; SGPRBlocks: 0
; VGPRBlocks: 0
; NumSGPRsForWavesPerEU: 1
; NumVGPRsForWavesPerEU: 1
; Occupancy: 16
; WaveLimiterHint : 0
; COMPUTE_PGM_RSRC2:SCRATCH_EN: 0
; COMPUTE_PGM_RSRC2:USER_SGPR: 6
; COMPUTE_PGM_RSRC2:TRAP_HANDLER: 0
; COMPUTE_PGM_RSRC2:TGID_X_EN: 1
; COMPUTE_PGM_RSRC2:TGID_Y_EN: 0
; COMPUTE_PGM_RSRC2:TGID_Z_EN: 0
; COMPUTE_PGM_RSRC2:TIDIG_COMP_CNT: 0
	.section	.text._ZN7rocprim17ROCPRIM_400000_NS6detail17trampoline_kernelINS0_14default_configENS1_36segmented_radix_sort_config_selectorIflEEZNS1_25segmented_radix_sort_implIS3_Lb1EPKfPfPKlPlN2at6native12_GLOBAL__N_18offset_tEEE10hipError_tPvRmT1_PNSt15iterator_traitsISK_E10value_typeET2_T3_PNSL_ISQ_E10value_typeET4_jRbjT5_SW_jjP12ihipStream_tbEUlT_E1_NS1_11comp_targetILNS1_3genE5ELNS1_11target_archE942ELNS1_3gpuE9ELNS1_3repE0EEENS1_59segmented_radix_sort_warp_sort_small_config_static_selectorELNS0_4arch9wavefront6targetE0EEEvSK_,"axG",@progbits,_ZN7rocprim17ROCPRIM_400000_NS6detail17trampoline_kernelINS0_14default_configENS1_36segmented_radix_sort_config_selectorIflEEZNS1_25segmented_radix_sort_implIS3_Lb1EPKfPfPKlPlN2at6native12_GLOBAL__N_18offset_tEEE10hipError_tPvRmT1_PNSt15iterator_traitsISK_E10value_typeET2_T3_PNSL_ISQ_E10value_typeET4_jRbjT5_SW_jjP12ihipStream_tbEUlT_E1_NS1_11comp_targetILNS1_3genE5ELNS1_11target_archE942ELNS1_3gpuE9ELNS1_3repE0EEENS1_59segmented_radix_sort_warp_sort_small_config_static_selectorELNS0_4arch9wavefront6targetE0EEEvSK_,comdat
	.globl	_ZN7rocprim17ROCPRIM_400000_NS6detail17trampoline_kernelINS0_14default_configENS1_36segmented_radix_sort_config_selectorIflEEZNS1_25segmented_radix_sort_implIS3_Lb1EPKfPfPKlPlN2at6native12_GLOBAL__N_18offset_tEEE10hipError_tPvRmT1_PNSt15iterator_traitsISK_E10value_typeET2_T3_PNSL_ISQ_E10value_typeET4_jRbjT5_SW_jjP12ihipStream_tbEUlT_E1_NS1_11comp_targetILNS1_3genE5ELNS1_11target_archE942ELNS1_3gpuE9ELNS1_3repE0EEENS1_59segmented_radix_sort_warp_sort_small_config_static_selectorELNS0_4arch9wavefront6targetE0EEEvSK_ ; -- Begin function _ZN7rocprim17ROCPRIM_400000_NS6detail17trampoline_kernelINS0_14default_configENS1_36segmented_radix_sort_config_selectorIflEEZNS1_25segmented_radix_sort_implIS3_Lb1EPKfPfPKlPlN2at6native12_GLOBAL__N_18offset_tEEE10hipError_tPvRmT1_PNSt15iterator_traitsISK_E10value_typeET2_T3_PNSL_ISQ_E10value_typeET4_jRbjT5_SW_jjP12ihipStream_tbEUlT_E1_NS1_11comp_targetILNS1_3genE5ELNS1_11target_archE942ELNS1_3gpuE9ELNS1_3repE0EEENS1_59segmented_radix_sort_warp_sort_small_config_static_selectorELNS0_4arch9wavefront6targetE0EEEvSK_
	.p2align	8
	.type	_ZN7rocprim17ROCPRIM_400000_NS6detail17trampoline_kernelINS0_14default_configENS1_36segmented_radix_sort_config_selectorIflEEZNS1_25segmented_radix_sort_implIS3_Lb1EPKfPfPKlPlN2at6native12_GLOBAL__N_18offset_tEEE10hipError_tPvRmT1_PNSt15iterator_traitsISK_E10value_typeET2_T3_PNSL_ISQ_E10value_typeET4_jRbjT5_SW_jjP12ihipStream_tbEUlT_E1_NS1_11comp_targetILNS1_3genE5ELNS1_11target_archE942ELNS1_3gpuE9ELNS1_3repE0EEENS1_59segmented_radix_sort_warp_sort_small_config_static_selectorELNS0_4arch9wavefront6targetE0EEEvSK_,@function
_ZN7rocprim17ROCPRIM_400000_NS6detail17trampoline_kernelINS0_14default_configENS1_36segmented_radix_sort_config_selectorIflEEZNS1_25segmented_radix_sort_implIS3_Lb1EPKfPfPKlPlN2at6native12_GLOBAL__N_18offset_tEEE10hipError_tPvRmT1_PNSt15iterator_traitsISK_E10value_typeET2_T3_PNSL_ISQ_E10value_typeET4_jRbjT5_SW_jjP12ihipStream_tbEUlT_E1_NS1_11comp_targetILNS1_3genE5ELNS1_11target_archE942ELNS1_3gpuE9ELNS1_3repE0EEENS1_59segmented_radix_sort_warp_sort_small_config_static_selectorELNS0_4arch9wavefront6targetE0EEEvSK_: ; @_ZN7rocprim17ROCPRIM_400000_NS6detail17trampoline_kernelINS0_14default_configENS1_36segmented_radix_sort_config_selectorIflEEZNS1_25segmented_radix_sort_implIS3_Lb1EPKfPfPKlPlN2at6native12_GLOBAL__N_18offset_tEEE10hipError_tPvRmT1_PNSt15iterator_traitsISK_E10value_typeET2_T3_PNSL_ISQ_E10value_typeET4_jRbjT5_SW_jjP12ihipStream_tbEUlT_E1_NS1_11comp_targetILNS1_3genE5ELNS1_11target_archE942ELNS1_3gpuE9ELNS1_3repE0EEENS1_59segmented_radix_sort_warp_sort_small_config_static_selectorELNS0_4arch9wavefront6targetE0EEEvSK_
; %bb.0:
	.section	.rodata,"a",@progbits
	.p2align	6, 0x0
	.amdhsa_kernel _ZN7rocprim17ROCPRIM_400000_NS6detail17trampoline_kernelINS0_14default_configENS1_36segmented_radix_sort_config_selectorIflEEZNS1_25segmented_radix_sort_implIS3_Lb1EPKfPfPKlPlN2at6native12_GLOBAL__N_18offset_tEEE10hipError_tPvRmT1_PNSt15iterator_traitsISK_E10value_typeET2_T3_PNSL_ISQ_E10value_typeET4_jRbjT5_SW_jjP12ihipStream_tbEUlT_E1_NS1_11comp_targetILNS1_3genE5ELNS1_11target_archE942ELNS1_3gpuE9ELNS1_3repE0EEENS1_59segmented_radix_sort_warp_sort_small_config_static_selectorELNS0_4arch9wavefront6targetE0EEEvSK_
		.amdhsa_group_segment_fixed_size 0
		.amdhsa_private_segment_fixed_size 0
		.amdhsa_kernarg_size 88
		.amdhsa_user_sgpr_count 6
		.amdhsa_user_sgpr_private_segment_buffer 1
		.amdhsa_user_sgpr_dispatch_ptr 0
		.amdhsa_user_sgpr_queue_ptr 0
		.amdhsa_user_sgpr_kernarg_segment_ptr 1
		.amdhsa_user_sgpr_dispatch_id 0
		.amdhsa_user_sgpr_flat_scratch_init 0
		.amdhsa_user_sgpr_private_segment_size 0
		.amdhsa_wavefront_size32 1
		.amdhsa_uses_dynamic_stack 0
		.amdhsa_system_sgpr_private_segment_wavefront_offset 0
		.amdhsa_system_sgpr_workgroup_id_x 1
		.amdhsa_system_sgpr_workgroup_id_y 0
		.amdhsa_system_sgpr_workgroup_id_z 0
		.amdhsa_system_sgpr_workgroup_info 0
		.amdhsa_system_vgpr_workitem_id 0
		.amdhsa_next_free_vgpr 1
		.amdhsa_next_free_sgpr 1
		.amdhsa_reserve_vcc 0
		.amdhsa_reserve_flat_scratch 0
		.amdhsa_float_round_mode_32 0
		.amdhsa_float_round_mode_16_64 0
		.amdhsa_float_denorm_mode_32 3
		.amdhsa_float_denorm_mode_16_64 3
		.amdhsa_dx10_clamp 1
		.amdhsa_ieee_mode 1
		.amdhsa_fp16_overflow 0
		.amdhsa_workgroup_processor_mode 1
		.amdhsa_memory_ordered 1
		.amdhsa_forward_progress 1
		.amdhsa_shared_vgpr_count 0
		.amdhsa_exception_fp_ieee_invalid_op 0
		.amdhsa_exception_fp_denorm_src 0
		.amdhsa_exception_fp_ieee_div_zero 0
		.amdhsa_exception_fp_ieee_overflow 0
		.amdhsa_exception_fp_ieee_underflow 0
		.amdhsa_exception_fp_ieee_inexact 0
		.amdhsa_exception_int_div_zero 0
	.end_amdhsa_kernel
	.section	.text._ZN7rocprim17ROCPRIM_400000_NS6detail17trampoline_kernelINS0_14default_configENS1_36segmented_radix_sort_config_selectorIflEEZNS1_25segmented_radix_sort_implIS3_Lb1EPKfPfPKlPlN2at6native12_GLOBAL__N_18offset_tEEE10hipError_tPvRmT1_PNSt15iterator_traitsISK_E10value_typeET2_T3_PNSL_ISQ_E10value_typeET4_jRbjT5_SW_jjP12ihipStream_tbEUlT_E1_NS1_11comp_targetILNS1_3genE5ELNS1_11target_archE942ELNS1_3gpuE9ELNS1_3repE0EEENS1_59segmented_radix_sort_warp_sort_small_config_static_selectorELNS0_4arch9wavefront6targetE0EEEvSK_,"axG",@progbits,_ZN7rocprim17ROCPRIM_400000_NS6detail17trampoline_kernelINS0_14default_configENS1_36segmented_radix_sort_config_selectorIflEEZNS1_25segmented_radix_sort_implIS3_Lb1EPKfPfPKlPlN2at6native12_GLOBAL__N_18offset_tEEE10hipError_tPvRmT1_PNSt15iterator_traitsISK_E10value_typeET2_T3_PNSL_ISQ_E10value_typeET4_jRbjT5_SW_jjP12ihipStream_tbEUlT_E1_NS1_11comp_targetILNS1_3genE5ELNS1_11target_archE942ELNS1_3gpuE9ELNS1_3repE0EEENS1_59segmented_radix_sort_warp_sort_small_config_static_selectorELNS0_4arch9wavefront6targetE0EEEvSK_,comdat
.Lfunc_end1338:
	.size	_ZN7rocprim17ROCPRIM_400000_NS6detail17trampoline_kernelINS0_14default_configENS1_36segmented_radix_sort_config_selectorIflEEZNS1_25segmented_radix_sort_implIS3_Lb1EPKfPfPKlPlN2at6native12_GLOBAL__N_18offset_tEEE10hipError_tPvRmT1_PNSt15iterator_traitsISK_E10value_typeET2_T3_PNSL_ISQ_E10value_typeET4_jRbjT5_SW_jjP12ihipStream_tbEUlT_E1_NS1_11comp_targetILNS1_3genE5ELNS1_11target_archE942ELNS1_3gpuE9ELNS1_3repE0EEENS1_59segmented_radix_sort_warp_sort_small_config_static_selectorELNS0_4arch9wavefront6targetE0EEEvSK_, .Lfunc_end1338-_ZN7rocprim17ROCPRIM_400000_NS6detail17trampoline_kernelINS0_14default_configENS1_36segmented_radix_sort_config_selectorIflEEZNS1_25segmented_radix_sort_implIS3_Lb1EPKfPfPKlPlN2at6native12_GLOBAL__N_18offset_tEEE10hipError_tPvRmT1_PNSt15iterator_traitsISK_E10value_typeET2_T3_PNSL_ISQ_E10value_typeET4_jRbjT5_SW_jjP12ihipStream_tbEUlT_E1_NS1_11comp_targetILNS1_3genE5ELNS1_11target_archE942ELNS1_3gpuE9ELNS1_3repE0EEENS1_59segmented_radix_sort_warp_sort_small_config_static_selectorELNS0_4arch9wavefront6targetE0EEEvSK_
                                        ; -- End function
	.set _ZN7rocprim17ROCPRIM_400000_NS6detail17trampoline_kernelINS0_14default_configENS1_36segmented_radix_sort_config_selectorIflEEZNS1_25segmented_radix_sort_implIS3_Lb1EPKfPfPKlPlN2at6native12_GLOBAL__N_18offset_tEEE10hipError_tPvRmT1_PNSt15iterator_traitsISK_E10value_typeET2_T3_PNSL_ISQ_E10value_typeET4_jRbjT5_SW_jjP12ihipStream_tbEUlT_E1_NS1_11comp_targetILNS1_3genE5ELNS1_11target_archE942ELNS1_3gpuE9ELNS1_3repE0EEENS1_59segmented_radix_sort_warp_sort_small_config_static_selectorELNS0_4arch9wavefront6targetE0EEEvSK_.num_vgpr, 0
	.set _ZN7rocprim17ROCPRIM_400000_NS6detail17trampoline_kernelINS0_14default_configENS1_36segmented_radix_sort_config_selectorIflEEZNS1_25segmented_radix_sort_implIS3_Lb1EPKfPfPKlPlN2at6native12_GLOBAL__N_18offset_tEEE10hipError_tPvRmT1_PNSt15iterator_traitsISK_E10value_typeET2_T3_PNSL_ISQ_E10value_typeET4_jRbjT5_SW_jjP12ihipStream_tbEUlT_E1_NS1_11comp_targetILNS1_3genE5ELNS1_11target_archE942ELNS1_3gpuE9ELNS1_3repE0EEENS1_59segmented_radix_sort_warp_sort_small_config_static_selectorELNS0_4arch9wavefront6targetE0EEEvSK_.num_agpr, 0
	.set _ZN7rocprim17ROCPRIM_400000_NS6detail17trampoline_kernelINS0_14default_configENS1_36segmented_radix_sort_config_selectorIflEEZNS1_25segmented_radix_sort_implIS3_Lb1EPKfPfPKlPlN2at6native12_GLOBAL__N_18offset_tEEE10hipError_tPvRmT1_PNSt15iterator_traitsISK_E10value_typeET2_T3_PNSL_ISQ_E10value_typeET4_jRbjT5_SW_jjP12ihipStream_tbEUlT_E1_NS1_11comp_targetILNS1_3genE5ELNS1_11target_archE942ELNS1_3gpuE9ELNS1_3repE0EEENS1_59segmented_radix_sort_warp_sort_small_config_static_selectorELNS0_4arch9wavefront6targetE0EEEvSK_.numbered_sgpr, 0
	.set _ZN7rocprim17ROCPRIM_400000_NS6detail17trampoline_kernelINS0_14default_configENS1_36segmented_radix_sort_config_selectorIflEEZNS1_25segmented_radix_sort_implIS3_Lb1EPKfPfPKlPlN2at6native12_GLOBAL__N_18offset_tEEE10hipError_tPvRmT1_PNSt15iterator_traitsISK_E10value_typeET2_T3_PNSL_ISQ_E10value_typeET4_jRbjT5_SW_jjP12ihipStream_tbEUlT_E1_NS1_11comp_targetILNS1_3genE5ELNS1_11target_archE942ELNS1_3gpuE9ELNS1_3repE0EEENS1_59segmented_radix_sort_warp_sort_small_config_static_selectorELNS0_4arch9wavefront6targetE0EEEvSK_.num_named_barrier, 0
	.set _ZN7rocprim17ROCPRIM_400000_NS6detail17trampoline_kernelINS0_14default_configENS1_36segmented_radix_sort_config_selectorIflEEZNS1_25segmented_radix_sort_implIS3_Lb1EPKfPfPKlPlN2at6native12_GLOBAL__N_18offset_tEEE10hipError_tPvRmT1_PNSt15iterator_traitsISK_E10value_typeET2_T3_PNSL_ISQ_E10value_typeET4_jRbjT5_SW_jjP12ihipStream_tbEUlT_E1_NS1_11comp_targetILNS1_3genE5ELNS1_11target_archE942ELNS1_3gpuE9ELNS1_3repE0EEENS1_59segmented_radix_sort_warp_sort_small_config_static_selectorELNS0_4arch9wavefront6targetE0EEEvSK_.private_seg_size, 0
	.set _ZN7rocprim17ROCPRIM_400000_NS6detail17trampoline_kernelINS0_14default_configENS1_36segmented_radix_sort_config_selectorIflEEZNS1_25segmented_radix_sort_implIS3_Lb1EPKfPfPKlPlN2at6native12_GLOBAL__N_18offset_tEEE10hipError_tPvRmT1_PNSt15iterator_traitsISK_E10value_typeET2_T3_PNSL_ISQ_E10value_typeET4_jRbjT5_SW_jjP12ihipStream_tbEUlT_E1_NS1_11comp_targetILNS1_3genE5ELNS1_11target_archE942ELNS1_3gpuE9ELNS1_3repE0EEENS1_59segmented_radix_sort_warp_sort_small_config_static_selectorELNS0_4arch9wavefront6targetE0EEEvSK_.uses_vcc, 0
	.set _ZN7rocprim17ROCPRIM_400000_NS6detail17trampoline_kernelINS0_14default_configENS1_36segmented_radix_sort_config_selectorIflEEZNS1_25segmented_radix_sort_implIS3_Lb1EPKfPfPKlPlN2at6native12_GLOBAL__N_18offset_tEEE10hipError_tPvRmT1_PNSt15iterator_traitsISK_E10value_typeET2_T3_PNSL_ISQ_E10value_typeET4_jRbjT5_SW_jjP12ihipStream_tbEUlT_E1_NS1_11comp_targetILNS1_3genE5ELNS1_11target_archE942ELNS1_3gpuE9ELNS1_3repE0EEENS1_59segmented_radix_sort_warp_sort_small_config_static_selectorELNS0_4arch9wavefront6targetE0EEEvSK_.uses_flat_scratch, 0
	.set _ZN7rocprim17ROCPRIM_400000_NS6detail17trampoline_kernelINS0_14default_configENS1_36segmented_radix_sort_config_selectorIflEEZNS1_25segmented_radix_sort_implIS3_Lb1EPKfPfPKlPlN2at6native12_GLOBAL__N_18offset_tEEE10hipError_tPvRmT1_PNSt15iterator_traitsISK_E10value_typeET2_T3_PNSL_ISQ_E10value_typeET4_jRbjT5_SW_jjP12ihipStream_tbEUlT_E1_NS1_11comp_targetILNS1_3genE5ELNS1_11target_archE942ELNS1_3gpuE9ELNS1_3repE0EEENS1_59segmented_radix_sort_warp_sort_small_config_static_selectorELNS0_4arch9wavefront6targetE0EEEvSK_.has_dyn_sized_stack, 0
	.set _ZN7rocprim17ROCPRIM_400000_NS6detail17trampoline_kernelINS0_14default_configENS1_36segmented_radix_sort_config_selectorIflEEZNS1_25segmented_radix_sort_implIS3_Lb1EPKfPfPKlPlN2at6native12_GLOBAL__N_18offset_tEEE10hipError_tPvRmT1_PNSt15iterator_traitsISK_E10value_typeET2_T3_PNSL_ISQ_E10value_typeET4_jRbjT5_SW_jjP12ihipStream_tbEUlT_E1_NS1_11comp_targetILNS1_3genE5ELNS1_11target_archE942ELNS1_3gpuE9ELNS1_3repE0EEENS1_59segmented_radix_sort_warp_sort_small_config_static_selectorELNS0_4arch9wavefront6targetE0EEEvSK_.has_recursion, 0
	.set _ZN7rocprim17ROCPRIM_400000_NS6detail17trampoline_kernelINS0_14default_configENS1_36segmented_radix_sort_config_selectorIflEEZNS1_25segmented_radix_sort_implIS3_Lb1EPKfPfPKlPlN2at6native12_GLOBAL__N_18offset_tEEE10hipError_tPvRmT1_PNSt15iterator_traitsISK_E10value_typeET2_T3_PNSL_ISQ_E10value_typeET4_jRbjT5_SW_jjP12ihipStream_tbEUlT_E1_NS1_11comp_targetILNS1_3genE5ELNS1_11target_archE942ELNS1_3gpuE9ELNS1_3repE0EEENS1_59segmented_radix_sort_warp_sort_small_config_static_selectorELNS0_4arch9wavefront6targetE0EEEvSK_.has_indirect_call, 0
	.section	.AMDGPU.csdata,"",@progbits
; Kernel info:
; codeLenInByte = 0
; TotalNumSgprs: 0
; NumVgprs: 0
; ScratchSize: 0
; MemoryBound: 0
; FloatMode: 240
; IeeeMode: 1
; LDSByteSize: 0 bytes/workgroup (compile time only)
; SGPRBlocks: 0
; VGPRBlocks: 0
; NumSGPRsForWavesPerEU: 1
; NumVGPRsForWavesPerEU: 1
; Occupancy: 16
; WaveLimiterHint : 0
; COMPUTE_PGM_RSRC2:SCRATCH_EN: 0
; COMPUTE_PGM_RSRC2:USER_SGPR: 6
; COMPUTE_PGM_RSRC2:TRAP_HANDLER: 0
; COMPUTE_PGM_RSRC2:TGID_X_EN: 1
; COMPUTE_PGM_RSRC2:TGID_Y_EN: 0
; COMPUTE_PGM_RSRC2:TGID_Z_EN: 0
; COMPUTE_PGM_RSRC2:TIDIG_COMP_CNT: 0
	.section	.text._ZN7rocprim17ROCPRIM_400000_NS6detail17trampoline_kernelINS0_14default_configENS1_36segmented_radix_sort_config_selectorIflEEZNS1_25segmented_radix_sort_implIS3_Lb1EPKfPfPKlPlN2at6native12_GLOBAL__N_18offset_tEEE10hipError_tPvRmT1_PNSt15iterator_traitsISK_E10value_typeET2_T3_PNSL_ISQ_E10value_typeET4_jRbjT5_SW_jjP12ihipStream_tbEUlT_E1_NS1_11comp_targetILNS1_3genE4ELNS1_11target_archE910ELNS1_3gpuE8ELNS1_3repE0EEENS1_59segmented_radix_sort_warp_sort_small_config_static_selectorELNS0_4arch9wavefront6targetE0EEEvSK_,"axG",@progbits,_ZN7rocprim17ROCPRIM_400000_NS6detail17trampoline_kernelINS0_14default_configENS1_36segmented_radix_sort_config_selectorIflEEZNS1_25segmented_radix_sort_implIS3_Lb1EPKfPfPKlPlN2at6native12_GLOBAL__N_18offset_tEEE10hipError_tPvRmT1_PNSt15iterator_traitsISK_E10value_typeET2_T3_PNSL_ISQ_E10value_typeET4_jRbjT5_SW_jjP12ihipStream_tbEUlT_E1_NS1_11comp_targetILNS1_3genE4ELNS1_11target_archE910ELNS1_3gpuE8ELNS1_3repE0EEENS1_59segmented_radix_sort_warp_sort_small_config_static_selectorELNS0_4arch9wavefront6targetE0EEEvSK_,comdat
	.globl	_ZN7rocprim17ROCPRIM_400000_NS6detail17trampoline_kernelINS0_14default_configENS1_36segmented_radix_sort_config_selectorIflEEZNS1_25segmented_radix_sort_implIS3_Lb1EPKfPfPKlPlN2at6native12_GLOBAL__N_18offset_tEEE10hipError_tPvRmT1_PNSt15iterator_traitsISK_E10value_typeET2_T3_PNSL_ISQ_E10value_typeET4_jRbjT5_SW_jjP12ihipStream_tbEUlT_E1_NS1_11comp_targetILNS1_3genE4ELNS1_11target_archE910ELNS1_3gpuE8ELNS1_3repE0EEENS1_59segmented_radix_sort_warp_sort_small_config_static_selectorELNS0_4arch9wavefront6targetE0EEEvSK_ ; -- Begin function _ZN7rocprim17ROCPRIM_400000_NS6detail17trampoline_kernelINS0_14default_configENS1_36segmented_radix_sort_config_selectorIflEEZNS1_25segmented_radix_sort_implIS3_Lb1EPKfPfPKlPlN2at6native12_GLOBAL__N_18offset_tEEE10hipError_tPvRmT1_PNSt15iterator_traitsISK_E10value_typeET2_T3_PNSL_ISQ_E10value_typeET4_jRbjT5_SW_jjP12ihipStream_tbEUlT_E1_NS1_11comp_targetILNS1_3genE4ELNS1_11target_archE910ELNS1_3gpuE8ELNS1_3repE0EEENS1_59segmented_radix_sort_warp_sort_small_config_static_selectorELNS0_4arch9wavefront6targetE0EEEvSK_
	.p2align	8
	.type	_ZN7rocprim17ROCPRIM_400000_NS6detail17trampoline_kernelINS0_14default_configENS1_36segmented_radix_sort_config_selectorIflEEZNS1_25segmented_radix_sort_implIS3_Lb1EPKfPfPKlPlN2at6native12_GLOBAL__N_18offset_tEEE10hipError_tPvRmT1_PNSt15iterator_traitsISK_E10value_typeET2_T3_PNSL_ISQ_E10value_typeET4_jRbjT5_SW_jjP12ihipStream_tbEUlT_E1_NS1_11comp_targetILNS1_3genE4ELNS1_11target_archE910ELNS1_3gpuE8ELNS1_3repE0EEENS1_59segmented_radix_sort_warp_sort_small_config_static_selectorELNS0_4arch9wavefront6targetE0EEEvSK_,@function
_ZN7rocprim17ROCPRIM_400000_NS6detail17trampoline_kernelINS0_14default_configENS1_36segmented_radix_sort_config_selectorIflEEZNS1_25segmented_radix_sort_implIS3_Lb1EPKfPfPKlPlN2at6native12_GLOBAL__N_18offset_tEEE10hipError_tPvRmT1_PNSt15iterator_traitsISK_E10value_typeET2_T3_PNSL_ISQ_E10value_typeET4_jRbjT5_SW_jjP12ihipStream_tbEUlT_E1_NS1_11comp_targetILNS1_3genE4ELNS1_11target_archE910ELNS1_3gpuE8ELNS1_3repE0EEENS1_59segmented_radix_sort_warp_sort_small_config_static_selectorELNS0_4arch9wavefront6targetE0EEEvSK_: ; @_ZN7rocprim17ROCPRIM_400000_NS6detail17trampoline_kernelINS0_14default_configENS1_36segmented_radix_sort_config_selectorIflEEZNS1_25segmented_radix_sort_implIS3_Lb1EPKfPfPKlPlN2at6native12_GLOBAL__N_18offset_tEEE10hipError_tPvRmT1_PNSt15iterator_traitsISK_E10value_typeET2_T3_PNSL_ISQ_E10value_typeET4_jRbjT5_SW_jjP12ihipStream_tbEUlT_E1_NS1_11comp_targetILNS1_3genE4ELNS1_11target_archE910ELNS1_3gpuE8ELNS1_3repE0EEENS1_59segmented_radix_sort_warp_sort_small_config_static_selectorELNS0_4arch9wavefront6targetE0EEEvSK_
; %bb.0:
	.section	.rodata,"a",@progbits
	.p2align	6, 0x0
	.amdhsa_kernel _ZN7rocprim17ROCPRIM_400000_NS6detail17trampoline_kernelINS0_14default_configENS1_36segmented_radix_sort_config_selectorIflEEZNS1_25segmented_radix_sort_implIS3_Lb1EPKfPfPKlPlN2at6native12_GLOBAL__N_18offset_tEEE10hipError_tPvRmT1_PNSt15iterator_traitsISK_E10value_typeET2_T3_PNSL_ISQ_E10value_typeET4_jRbjT5_SW_jjP12ihipStream_tbEUlT_E1_NS1_11comp_targetILNS1_3genE4ELNS1_11target_archE910ELNS1_3gpuE8ELNS1_3repE0EEENS1_59segmented_radix_sort_warp_sort_small_config_static_selectorELNS0_4arch9wavefront6targetE0EEEvSK_
		.amdhsa_group_segment_fixed_size 0
		.amdhsa_private_segment_fixed_size 0
		.amdhsa_kernarg_size 88
		.amdhsa_user_sgpr_count 6
		.amdhsa_user_sgpr_private_segment_buffer 1
		.amdhsa_user_sgpr_dispatch_ptr 0
		.amdhsa_user_sgpr_queue_ptr 0
		.amdhsa_user_sgpr_kernarg_segment_ptr 1
		.amdhsa_user_sgpr_dispatch_id 0
		.amdhsa_user_sgpr_flat_scratch_init 0
		.amdhsa_user_sgpr_private_segment_size 0
		.amdhsa_wavefront_size32 1
		.amdhsa_uses_dynamic_stack 0
		.amdhsa_system_sgpr_private_segment_wavefront_offset 0
		.amdhsa_system_sgpr_workgroup_id_x 1
		.amdhsa_system_sgpr_workgroup_id_y 0
		.amdhsa_system_sgpr_workgroup_id_z 0
		.amdhsa_system_sgpr_workgroup_info 0
		.amdhsa_system_vgpr_workitem_id 0
		.amdhsa_next_free_vgpr 1
		.amdhsa_next_free_sgpr 1
		.amdhsa_reserve_vcc 0
		.amdhsa_reserve_flat_scratch 0
		.amdhsa_float_round_mode_32 0
		.amdhsa_float_round_mode_16_64 0
		.amdhsa_float_denorm_mode_32 3
		.amdhsa_float_denorm_mode_16_64 3
		.amdhsa_dx10_clamp 1
		.amdhsa_ieee_mode 1
		.amdhsa_fp16_overflow 0
		.amdhsa_workgroup_processor_mode 1
		.amdhsa_memory_ordered 1
		.amdhsa_forward_progress 1
		.amdhsa_shared_vgpr_count 0
		.amdhsa_exception_fp_ieee_invalid_op 0
		.amdhsa_exception_fp_denorm_src 0
		.amdhsa_exception_fp_ieee_div_zero 0
		.amdhsa_exception_fp_ieee_overflow 0
		.amdhsa_exception_fp_ieee_underflow 0
		.amdhsa_exception_fp_ieee_inexact 0
		.amdhsa_exception_int_div_zero 0
	.end_amdhsa_kernel
	.section	.text._ZN7rocprim17ROCPRIM_400000_NS6detail17trampoline_kernelINS0_14default_configENS1_36segmented_radix_sort_config_selectorIflEEZNS1_25segmented_radix_sort_implIS3_Lb1EPKfPfPKlPlN2at6native12_GLOBAL__N_18offset_tEEE10hipError_tPvRmT1_PNSt15iterator_traitsISK_E10value_typeET2_T3_PNSL_ISQ_E10value_typeET4_jRbjT5_SW_jjP12ihipStream_tbEUlT_E1_NS1_11comp_targetILNS1_3genE4ELNS1_11target_archE910ELNS1_3gpuE8ELNS1_3repE0EEENS1_59segmented_radix_sort_warp_sort_small_config_static_selectorELNS0_4arch9wavefront6targetE0EEEvSK_,"axG",@progbits,_ZN7rocprim17ROCPRIM_400000_NS6detail17trampoline_kernelINS0_14default_configENS1_36segmented_radix_sort_config_selectorIflEEZNS1_25segmented_radix_sort_implIS3_Lb1EPKfPfPKlPlN2at6native12_GLOBAL__N_18offset_tEEE10hipError_tPvRmT1_PNSt15iterator_traitsISK_E10value_typeET2_T3_PNSL_ISQ_E10value_typeET4_jRbjT5_SW_jjP12ihipStream_tbEUlT_E1_NS1_11comp_targetILNS1_3genE4ELNS1_11target_archE910ELNS1_3gpuE8ELNS1_3repE0EEENS1_59segmented_radix_sort_warp_sort_small_config_static_selectorELNS0_4arch9wavefront6targetE0EEEvSK_,comdat
.Lfunc_end1339:
	.size	_ZN7rocprim17ROCPRIM_400000_NS6detail17trampoline_kernelINS0_14default_configENS1_36segmented_radix_sort_config_selectorIflEEZNS1_25segmented_radix_sort_implIS3_Lb1EPKfPfPKlPlN2at6native12_GLOBAL__N_18offset_tEEE10hipError_tPvRmT1_PNSt15iterator_traitsISK_E10value_typeET2_T3_PNSL_ISQ_E10value_typeET4_jRbjT5_SW_jjP12ihipStream_tbEUlT_E1_NS1_11comp_targetILNS1_3genE4ELNS1_11target_archE910ELNS1_3gpuE8ELNS1_3repE0EEENS1_59segmented_radix_sort_warp_sort_small_config_static_selectorELNS0_4arch9wavefront6targetE0EEEvSK_, .Lfunc_end1339-_ZN7rocprim17ROCPRIM_400000_NS6detail17trampoline_kernelINS0_14default_configENS1_36segmented_radix_sort_config_selectorIflEEZNS1_25segmented_radix_sort_implIS3_Lb1EPKfPfPKlPlN2at6native12_GLOBAL__N_18offset_tEEE10hipError_tPvRmT1_PNSt15iterator_traitsISK_E10value_typeET2_T3_PNSL_ISQ_E10value_typeET4_jRbjT5_SW_jjP12ihipStream_tbEUlT_E1_NS1_11comp_targetILNS1_3genE4ELNS1_11target_archE910ELNS1_3gpuE8ELNS1_3repE0EEENS1_59segmented_radix_sort_warp_sort_small_config_static_selectorELNS0_4arch9wavefront6targetE0EEEvSK_
                                        ; -- End function
	.set _ZN7rocprim17ROCPRIM_400000_NS6detail17trampoline_kernelINS0_14default_configENS1_36segmented_radix_sort_config_selectorIflEEZNS1_25segmented_radix_sort_implIS3_Lb1EPKfPfPKlPlN2at6native12_GLOBAL__N_18offset_tEEE10hipError_tPvRmT1_PNSt15iterator_traitsISK_E10value_typeET2_T3_PNSL_ISQ_E10value_typeET4_jRbjT5_SW_jjP12ihipStream_tbEUlT_E1_NS1_11comp_targetILNS1_3genE4ELNS1_11target_archE910ELNS1_3gpuE8ELNS1_3repE0EEENS1_59segmented_radix_sort_warp_sort_small_config_static_selectorELNS0_4arch9wavefront6targetE0EEEvSK_.num_vgpr, 0
	.set _ZN7rocprim17ROCPRIM_400000_NS6detail17trampoline_kernelINS0_14default_configENS1_36segmented_radix_sort_config_selectorIflEEZNS1_25segmented_radix_sort_implIS3_Lb1EPKfPfPKlPlN2at6native12_GLOBAL__N_18offset_tEEE10hipError_tPvRmT1_PNSt15iterator_traitsISK_E10value_typeET2_T3_PNSL_ISQ_E10value_typeET4_jRbjT5_SW_jjP12ihipStream_tbEUlT_E1_NS1_11comp_targetILNS1_3genE4ELNS1_11target_archE910ELNS1_3gpuE8ELNS1_3repE0EEENS1_59segmented_radix_sort_warp_sort_small_config_static_selectorELNS0_4arch9wavefront6targetE0EEEvSK_.num_agpr, 0
	.set _ZN7rocprim17ROCPRIM_400000_NS6detail17trampoline_kernelINS0_14default_configENS1_36segmented_radix_sort_config_selectorIflEEZNS1_25segmented_radix_sort_implIS3_Lb1EPKfPfPKlPlN2at6native12_GLOBAL__N_18offset_tEEE10hipError_tPvRmT1_PNSt15iterator_traitsISK_E10value_typeET2_T3_PNSL_ISQ_E10value_typeET4_jRbjT5_SW_jjP12ihipStream_tbEUlT_E1_NS1_11comp_targetILNS1_3genE4ELNS1_11target_archE910ELNS1_3gpuE8ELNS1_3repE0EEENS1_59segmented_radix_sort_warp_sort_small_config_static_selectorELNS0_4arch9wavefront6targetE0EEEvSK_.numbered_sgpr, 0
	.set _ZN7rocprim17ROCPRIM_400000_NS6detail17trampoline_kernelINS0_14default_configENS1_36segmented_radix_sort_config_selectorIflEEZNS1_25segmented_radix_sort_implIS3_Lb1EPKfPfPKlPlN2at6native12_GLOBAL__N_18offset_tEEE10hipError_tPvRmT1_PNSt15iterator_traitsISK_E10value_typeET2_T3_PNSL_ISQ_E10value_typeET4_jRbjT5_SW_jjP12ihipStream_tbEUlT_E1_NS1_11comp_targetILNS1_3genE4ELNS1_11target_archE910ELNS1_3gpuE8ELNS1_3repE0EEENS1_59segmented_radix_sort_warp_sort_small_config_static_selectorELNS0_4arch9wavefront6targetE0EEEvSK_.num_named_barrier, 0
	.set _ZN7rocprim17ROCPRIM_400000_NS6detail17trampoline_kernelINS0_14default_configENS1_36segmented_radix_sort_config_selectorIflEEZNS1_25segmented_radix_sort_implIS3_Lb1EPKfPfPKlPlN2at6native12_GLOBAL__N_18offset_tEEE10hipError_tPvRmT1_PNSt15iterator_traitsISK_E10value_typeET2_T3_PNSL_ISQ_E10value_typeET4_jRbjT5_SW_jjP12ihipStream_tbEUlT_E1_NS1_11comp_targetILNS1_3genE4ELNS1_11target_archE910ELNS1_3gpuE8ELNS1_3repE0EEENS1_59segmented_radix_sort_warp_sort_small_config_static_selectorELNS0_4arch9wavefront6targetE0EEEvSK_.private_seg_size, 0
	.set _ZN7rocprim17ROCPRIM_400000_NS6detail17trampoline_kernelINS0_14default_configENS1_36segmented_radix_sort_config_selectorIflEEZNS1_25segmented_radix_sort_implIS3_Lb1EPKfPfPKlPlN2at6native12_GLOBAL__N_18offset_tEEE10hipError_tPvRmT1_PNSt15iterator_traitsISK_E10value_typeET2_T3_PNSL_ISQ_E10value_typeET4_jRbjT5_SW_jjP12ihipStream_tbEUlT_E1_NS1_11comp_targetILNS1_3genE4ELNS1_11target_archE910ELNS1_3gpuE8ELNS1_3repE0EEENS1_59segmented_radix_sort_warp_sort_small_config_static_selectorELNS0_4arch9wavefront6targetE0EEEvSK_.uses_vcc, 0
	.set _ZN7rocprim17ROCPRIM_400000_NS6detail17trampoline_kernelINS0_14default_configENS1_36segmented_radix_sort_config_selectorIflEEZNS1_25segmented_radix_sort_implIS3_Lb1EPKfPfPKlPlN2at6native12_GLOBAL__N_18offset_tEEE10hipError_tPvRmT1_PNSt15iterator_traitsISK_E10value_typeET2_T3_PNSL_ISQ_E10value_typeET4_jRbjT5_SW_jjP12ihipStream_tbEUlT_E1_NS1_11comp_targetILNS1_3genE4ELNS1_11target_archE910ELNS1_3gpuE8ELNS1_3repE0EEENS1_59segmented_radix_sort_warp_sort_small_config_static_selectorELNS0_4arch9wavefront6targetE0EEEvSK_.uses_flat_scratch, 0
	.set _ZN7rocprim17ROCPRIM_400000_NS6detail17trampoline_kernelINS0_14default_configENS1_36segmented_radix_sort_config_selectorIflEEZNS1_25segmented_radix_sort_implIS3_Lb1EPKfPfPKlPlN2at6native12_GLOBAL__N_18offset_tEEE10hipError_tPvRmT1_PNSt15iterator_traitsISK_E10value_typeET2_T3_PNSL_ISQ_E10value_typeET4_jRbjT5_SW_jjP12ihipStream_tbEUlT_E1_NS1_11comp_targetILNS1_3genE4ELNS1_11target_archE910ELNS1_3gpuE8ELNS1_3repE0EEENS1_59segmented_radix_sort_warp_sort_small_config_static_selectorELNS0_4arch9wavefront6targetE0EEEvSK_.has_dyn_sized_stack, 0
	.set _ZN7rocprim17ROCPRIM_400000_NS6detail17trampoline_kernelINS0_14default_configENS1_36segmented_radix_sort_config_selectorIflEEZNS1_25segmented_radix_sort_implIS3_Lb1EPKfPfPKlPlN2at6native12_GLOBAL__N_18offset_tEEE10hipError_tPvRmT1_PNSt15iterator_traitsISK_E10value_typeET2_T3_PNSL_ISQ_E10value_typeET4_jRbjT5_SW_jjP12ihipStream_tbEUlT_E1_NS1_11comp_targetILNS1_3genE4ELNS1_11target_archE910ELNS1_3gpuE8ELNS1_3repE0EEENS1_59segmented_radix_sort_warp_sort_small_config_static_selectorELNS0_4arch9wavefront6targetE0EEEvSK_.has_recursion, 0
	.set _ZN7rocprim17ROCPRIM_400000_NS6detail17trampoline_kernelINS0_14default_configENS1_36segmented_radix_sort_config_selectorIflEEZNS1_25segmented_radix_sort_implIS3_Lb1EPKfPfPKlPlN2at6native12_GLOBAL__N_18offset_tEEE10hipError_tPvRmT1_PNSt15iterator_traitsISK_E10value_typeET2_T3_PNSL_ISQ_E10value_typeET4_jRbjT5_SW_jjP12ihipStream_tbEUlT_E1_NS1_11comp_targetILNS1_3genE4ELNS1_11target_archE910ELNS1_3gpuE8ELNS1_3repE0EEENS1_59segmented_radix_sort_warp_sort_small_config_static_selectorELNS0_4arch9wavefront6targetE0EEEvSK_.has_indirect_call, 0
	.section	.AMDGPU.csdata,"",@progbits
; Kernel info:
; codeLenInByte = 0
; TotalNumSgprs: 0
; NumVgprs: 0
; ScratchSize: 0
; MemoryBound: 0
; FloatMode: 240
; IeeeMode: 1
; LDSByteSize: 0 bytes/workgroup (compile time only)
; SGPRBlocks: 0
; VGPRBlocks: 0
; NumSGPRsForWavesPerEU: 1
; NumVGPRsForWavesPerEU: 1
; Occupancy: 16
; WaveLimiterHint : 0
; COMPUTE_PGM_RSRC2:SCRATCH_EN: 0
; COMPUTE_PGM_RSRC2:USER_SGPR: 6
; COMPUTE_PGM_RSRC2:TRAP_HANDLER: 0
; COMPUTE_PGM_RSRC2:TGID_X_EN: 1
; COMPUTE_PGM_RSRC2:TGID_Y_EN: 0
; COMPUTE_PGM_RSRC2:TGID_Z_EN: 0
; COMPUTE_PGM_RSRC2:TIDIG_COMP_CNT: 0
	.section	.text._ZN7rocprim17ROCPRIM_400000_NS6detail17trampoline_kernelINS0_14default_configENS1_36segmented_radix_sort_config_selectorIflEEZNS1_25segmented_radix_sort_implIS3_Lb1EPKfPfPKlPlN2at6native12_GLOBAL__N_18offset_tEEE10hipError_tPvRmT1_PNSt15iterator_traitsISK_E10value_typeET2_T3_PNSL_ISQ_E10value_typeET4_jRbjT5_SW_jjP12ihipStream_tbEUlT_E1_NS1_11comp_targetILNS1_3genE3ELNS1_11target_archE908ELNS1_3gpuE7ELNS1_3repE0EEENS1_59segmented_radix_sort_warp_sort_small_config_static_selectorELNS0_4arch9wavefront6targetE0EEEvSK_,"axG",@progbits,_ZN7rocprim17ROCPRIM_400000_NS6detail17trampoline_kernelINS0_14default_configENS1_36segmented_radix_sort_config_selectorIflEEZNS1_25segmented_radix_sort_implIS3_Lb1EPKfPfPKlPlN2at6native12_GLOBAL__N_18offset_tEEE10hipError_tPvRmT1_PNSt15iterator_traitsISK_E10value_typeET2_T3_PNSL_ISQ_E10value_typeET4_jRbjT5_SW_jjP12ihipStream_tbEUlT_E1_NS1_11comp_targetILNS1_3genE3ELNS1_11target_archE908ELNS1_3gpuE7ELNS1_3repE0EEENS1_59segmented_radix_sort_warp_sort_small_config_static_selectorELNS0_4arch9wavefront6targetE0EEEvSK_,comdat
	.globl	_ZN7rocprim17ROCPRIM_400000_NS6detail17trampoline_kernelINS0_14default_configENS1_36segmented_radix_sort_config_selectorIflEEZNS1_25segmented_radix_sort_implIS3_Lb1EPKfPfPKlPlN2at6native12_GLOBAL__N_18offset_tEEE10hipError_tPvRmT1_PNSt15iterator_traitsISK_E10value_typeET2_T3_PNSL_ISQ_E10value_typeET4_jRbjT5_SW_jjP12ihipStream_tbEUlT_E1_NS1_11comp_targetILNS1_3genE3ELNS1_11target_archE908ELNS1_3gpuE7ELNS1_3repE0EEENS1_59segmented_radix_sort_warp_sort_small_config_static_selectorELNS0_4arch9wavefront6targetE0EEEvSK_ ; -- Begin function _ZN7rocprim17ROCPRIM_400000_NS6detail17trampoline_kernelINS0_14default_configENS1_36segmented_radix_sort_config_selectorIflEEZNS1_25segmented_radix_sort_implIS3_Lb1EPKfPfPKlPlN2at6native12_GLOBAL__N_18offset_tEEE10hipError_tPvRmT1_PNSt15iterator_traitsISK_E10value_typeET2_T3_PNSL_ISQ_E10value_typeET4_jRbjT5_SW_jjP12ihipStream_tbEUlT_E1_NS1_11comp_targetILNS1_3genE3ELNS1_11target_archE908ELNS1_3gpuE7ELNS1_3repE0EEENS1_59segmented_radix_sort_warp_sort_small_config_static_selectorELNS0_4arch9wavefront6targetE0EEEvSK_
	.p2align	8
	.type	_ZN7rocprim17ROCPRIM_400000_NS6detail17trampoline_kernelINS0_14default_configENS1_36segmented_radix_sort_config_selectorIflEEZNS1_25segmented_radix_sort_implIS3_Lb1EPKfPfPKlPlN2at6native12_GLOBAL__N_18offset_tEEE10hipError_tPvRmT1_PNSt15iterator_traitsISK_E10value_typeET2_T3_PNSL_ISQ_E10value_typeET4_jRbjT5_SW_jjP12ihipStream_tbEUlT_E1_NS1_11comp_targetILNS1_3genE3ELNS1_11target_archE908ELNS1_3gpuE7ELNS1_3repE0EEENS1_59segmented_radix_sort_warp_sort_small_config_static_selectorELNS0_4arch9wavefront6targetE0EEEvSK_,@function
_ZN7rocprim17ROCPRIM_400000_NS6detail17trampoline_kernelINS0_14default_configENS1_36segmented_radix_sort_config_selectorIflEEZNS1_25segmented_radix_sort_implIS3_Lb1EPKfPfPKlPlN2at6native12_GLOBAL__N_18offset_tEEE10hipError_tPvRmT1_PNSt15iterator_traitsISK_E10value_typeET2_T3_PNSL_ISQ_E10value_typeET4_jRbjT5_SW_jjP12ihipStream_tbEUlT_E1_NS1_11comp_targetILNS1_3genE3ELNS1_11target_archE908ELNS1_3gpuE7ELNS1_3repE0EEENS1_59segmented_radix_sort_warp_sort_small_config_static_selectorELNS0_4arch9wavefront6targetE0EEEvSK_: ; @_ZN7rocprim17ROCPRIM_400000_NS6detail17trampoline_kernelINS0_14default_configENS1_36segmented_radix_sort_config_selectorIflEEZNS1_25segmented_radix_sort_implIS3_Lb1EPKfPfPKlPlN2at6native12_GLOBAL__N_18offset_tEEE10hipError_tPvRmT1_PNSt15iterator_traitsISK_E10value_typeET2_T3_PNSL_ISQ_E10value_typeET4_jRbjT5_SW_jjP12ihipStream_tbEUlT_E1_NS1_11comp_targetILNS1_3genE3ELNS1_11target_archE908ELNS1_3gpuE7ELNS1_3repE0EEENS1_59segmented_radix_sort_warp_sort_small_config_static_selectorELNS0_4arch9wavefront6targetE0EEEvSK_
; %bb.0:
	.section	.rodata,"a",@progbits
	.p2align	6, 0x0
	.amdhsa_kernel _ZN7rocprim17ROCPRIM_400000_NS6detail17trampoline_kernelINS0_14default_configENS1_36segmented_radix_sort_config_selectorIflEEZNS1_25segmented_radix_sort_implIS3_Lb1EPKfPfPKlPlN2at6native12_GLOBAL__N_18offset_tEEE10hipError_tPvRmT1_PNSt15iterator_traitsISK_E10value_typeET2_T3_PNSL_ISQ_E10value_typeET4_jRbjT5_SW_jjP12ihipStream_tbEUlT_E1_NS1_11comp_targetILNS1_3genE3ELNS1_11target_archE908ELNS1_3gpuE7ELNS1_3repE0EEENS1_59segmented_radix_sort_warp_sort_small_config_static_selectorELNS0_4arch9wavefront6targetE0EEEvSK_
		.amdhsa_group_segment_fixed_size 0
		.amdhsa_private_segment_fixed_size 0
		.amdhsa_kernarg_size 88
		.amdhsa_user_sgpr_count 6
		.amdhsa_user_sgpr_private_segment_buffer 1
		.amdhsa_user_sgpr_dispatch_ptr 0
		.amdhsa_user_sgpr_queue_ptr 0
		.amdhsa_user_sgpr_kernarg_segment_ptr 1
		.amdhsa_user_sgpr_dispatch_id 0
		.amdhsa_user_sgpr_flat_scratch_init 0
		.amdhsa_user_sgpr_private_segment_size 0
		.amdhsa_wavefront_size32 1
		.amdhsa_uses_dynamic_stack 0
		.amdhsa_system_sgpr_private_segment_wavefront_offset 0
		.amdhsa_system_sgpr_workgroup_id_x 1
		.amdhsa_system_sgpr_workgroup_id_y 0
		.amdhsa_system_sgpr_workgroup_id_z 0
		.amdhsa_system_sgpr_workgroup_info 0
		.amdhsa_system_vgpr_workitem_id 0
		.amdhsa_next_free_vgpr 1
		.amdhsa_next_free_sgpr 1
		.amdhsa_reserve_vcc 0
		.amdhsa_reserve_flat_scratch 0
		.amdhsa_float_round_mode_32 0
		.amdhsa_float_round_mode_16_64 0
		.amdhsa_float_denorm_mode_32 3
		.amdhsa_float_denorm_mode_16_64 3
		.amdhsa_dx10_clamp 1
		.amdhsa_ieee_mode 1
		.amdhsa_fp16_overflow 0
		.amdhsa_workgroup_processor_mode 1
		.amdhsa_memory_ordered 1
		.amdhsa_forward_progress 1
		.amdhsa_shared_vgpr_count 0
		.amdhsa_exception_fp_ieee_invalid_op 0
		.amdhsa_exception_fp_denorm_src 0
		.amdhsa_exception_fp_ieee_div_zero 0
		.amdhsa_exception_fp_ieee_overflow 0
		.amdhsa_exception_fp_ieee_underflow 0
		.amdhsa_exception_fp_ieee_inexact 0
		.amdhsa_exception_int_div_zero 0
	.end_amdhsa_kernel
	.section	.text._ZN7rocprim17ROCPRIM_400000_NS6detail17trampoline_kernelINS0_14default_configENS1_36segmented_radix_sort_config_selectorIflEEZNS1_25segmented_radix_sort_implIS3_Lb1EPKfPfPKlPlN2at6native12_GLOBAL__N_18offset_tEEE10hipError_tPvRmT1_PNSt15iterator_traitsISK_E10value_typeET2_T3_PNSL_ISQ_E10value_typeET4_jRbjT5_SW_jjP12ihipStream_tbEUlT_E1_NS1_11comp_targetILNS1_3genE3ELNS1_11target_archE908ELNS1_3gpuE7ELNS1_3repE0EEENS1_59segmented_radix_sort_warp_sort_small_config_static_selectorELNS0_4arch9wavefront6targetE0EEEvSK_,"axG",@progbits,_ZN7rocprim17ROCPRIM_400000_NS6detail17trampoline_kernelINS0_14default_configENS1_36segmented_radix_sort_config_selectorIflEEZNS1_25segmented_radix_sort_implIS3_Lb1EPKfPfPKlPlN2at6native12_GLOBAL__N_18offset_tEEE10hipError_tPvRmT1_PNSt15iterator_traitsISK_E10value_typeET2_T3_PNSL_ISQ_E10value_typeET4_jRbjT5_SW_jjP12ihipStream_tbEUlT_E1_NS1_11comp_targetILNS1_3genE3ELNS1_11target_archE908ELNS1_3gpuE7ELNS1_3repE0EEENS1_59segmented_radix_sort_warp_sort_small_config_static_selectorELNS0_4arch9wavefront6targetE0EEEvSK_,comdat
.Lfunc_end1340:
	.size	_ZN7rocprim17ROCPRIM_400000_NS6detail17trampoline_kernelINS0_14default_configENS1_36segmented_radix_sort_config_selectorIflEEZNS1_25segmented_radix_sort_implIS3_Lb1EPKfPfPKlPlN2at6native12_GLOBAL__N_18offset_tEEE10hipError_tPvRmT1_PNSt15iterator_traitsISK_E10value_typeET2_T3_PNSL_ISQ_E10value_typeET4_jRbjT5_SW_jjP12ihipStream_tbEUlT_E1_NS1_11comp_targetILNS1_3genE3ELNS1_11target_archE908ELNS1_3gpuE7ELNS1_3repE0EEENS1_59segmented_radix_sort_warp_sort_small_config_static_selectorELNS0_4arch9wavefront6targetE0EEEvSK_, .Lfunc_end1340-_ZN7rocprim17ROCPRIM_400000_NS6detail17trampoline_kernelINS0_14default_configENS1_36segmented_radix_sort_config_selectorIflEEZNS1_25segmented_radix_sort_implIS3_Lb1EPKfPfPKlPlN2at6native12_GLOBAL__N_18offset_tEEE10hipError_tPvRmT1_PNSt15iterator_traitsISK_E10value_typeET2_T3_PNSL_ISQ_E10value_typeET4_jRbjT5_SW_jjP12ihipStream_tbEUlT_E1_NS1_11comp_targetILNS1_3genE3ELNS1_11target_archE908ELNS1_3gpuE7ELNS1_3repE0EEENS1_59segmented_radix_sort_warp_sort_small_config_static_selectorELNS0_4arch9wavefront6targetE0EEEvSK_
                                        ; -- End function
	.set _ZN7rocprim17ROCPRIM_400000_NS6detail17trampoline_kernelINS0_14default_configENS1_36segmented_radix_sort_config_selectorIflEEZNS1_25segmented_radix_sort_implIS3_Lb1EPKfPfPKlPlN2at6native12_GLOBAL__N_18offset_tEEE10hipError_tPvRmT1_PNSt15iterator_traitsISK_E10value_typeET2_T3_PNSL_ISQ_E10value_typeET4_jRbjT5_SW_jjP12ihipStream_tbEUlT_E1_NS1_11comp_targetILNS1_3genE3ELNS1_11target_archE908ELNS1_3gpuE7ELNS1_3repE0EEENS1_59segmented_radix_sort_warp_sort_small_config_static_selectorELNS0_4arch9wavefront6targetE0EEEvSK_.num_vgpr, 0
	.set _ZN7rocprim17ROCPRIM_400000_NS6detail17trampoline_kernelINS0_14default_configENS1_36segmented_radix_sort_config_selectorIflEEZNS1_25segmented_radix_sort_implIS3_Lb1EPKfPfPKlPlN2at6native12_GLOBAL__N_18offset_tEEE10hipError_tPvRmT1_PNSt15iterator_traitsISK_E10value_typeET2_T3_PNSL_ISQ_E10value_typeET4_jRbjT5_SW_jjP12ihipStream_tbEUlT_E1_NS1_11comp_targetILNS1_3genE3ELNS1_11target_archE908ELNS1_3gpuE7ELNS1_3repE0EEENS1_59segmented_radix_sort_warp_sort_small_config_static_selectorELNS0_4arch9wavefront6targetE0EEEvSK_.num_agpr, 0
	.set _ZN7rocprim17ROCPRIM_400000_NS6detail17trampoline_kernelINS0_14default_configENS1_36segmented_radix_sort_config_selectorIflEEZNS1_25segmented_radix_sort_implIS3_Lb1EPKfPfPKlPlN2at6native12_GLOBAL__N_18offset_tEEE10hipError_tPvRmT1_PNSt15iterator_traitsISK_E10value_typeET2_T3_PNSL_ISQ_E10value_typeET4_jRbjT5_SW_jjP12ihipStream_tbEUlT_E1_NS1_11comp_targetILNS1_3genE3ELNS1_11target_archE908ELNS1_3gpuE7ELNS1_3repE0EEENS1_59segmented_radix_sort_warp_sort_small_config_static_selectorELNS0_4arch9wavefront6targetE0EEEvSK_.numbered_sgpr, 0
	.set _ZN7rocprim17ROCPRIM_400000_NS6detail17trampoline_kernelINS0_14default_configENS1_36segmented_radix_sort_config_selectorIflEEZNS1_25segmented_radix_sort_implIS3_Lb1EPKfPfPKlPlN2at6native12_GLOBAL__N_18offset_tEEE10hipError_tPvRmT1_PNSt15iterator_traitsISK_E10value_typeET2_T3_PNSL_ISQ_E10value_typeET4_jRbjT5_SW_jjP12ihipStream_tbEUlT_E1_NS1_11comp_targetILNS1_3genE3ELNS1_11target_archE908ELNS1_3gpuE7ELNS1_3repE0EEENS1_59segmented_radix_sort_warp_sort_small_config_static_selectorELNS0_4arch9wavefront6targetE0EEEvSK_.num_named_barrier, 0
	.set _ZN7rocprim17ROCPRIM_400000_NS6detail17trampoline_kernelINS0_14default_configENS1_36segmented_radix_sort_config_selectorIflEEZNS1_25segmented_radix_sort_implIS3_Lb1EPKfPfPKlPlN2at6native12_GLOBAL__N_18offset_tEEE10hipError_tPvRmT1_PNSt15iterator_traitsISK_E10value_typeET2_T3_PNSL_ISQ_E10value_typeET4_jRbjT5_SW_jjP12ihipStream_tbEUlT_E1_NS1_11comp_targetILNS1_3genE3ELNS1_11target_archE908ELNS1_3gpuE7ELNS1_3repE0EEENS1_59segmented_radix_sort_warp_sort_small_config_static_selectorELNS0_4arch9wavefront6targetE0EEEvSK_.private_seg_size, 0
	.set _ZN7rocprim17ROCPRIM_400000_NS6detail17trampoline_kernelINS0_14default_configENS1_36segmented_radix_sort_config_selectorIflEEZNS1_25segmented_radix_sort_implIS3_Lb1EPKfPfPKlPlN2at6native12_GLOBAL__N_18offset_tEEE10hipError_tPvRmT1_PNSt15iterator_traitsISK_E10value_typeET2_T3_PNSL_ISQ_E10value_typeET4_jRbjT5_SW_jjP12ihipStream_tbEUlT_E1_NS1_11comp_targetILNS1_3genE3ELNS1_11target_archE908ELNS1_3gpuE7ELNS1_3repE0EEENS1_59segmented_radix_sort_warp_sort_small_config_static_selectorELNS0_4arch9wavefront6targetE0EEEvSK_.uses_vcc, 0
	.set _ZN7rocprim17ROCPRIM_400000_NS6detail17trampoline_kernelINS0_14default_configENS1_36segmented_radix_sort_config_selectorIflEEZNS1_25segmented_radix_sort_implIS3_Lb1EPKfPfPKlPlN2at6native12_GLOBAL__N_18offset_tEEE10hipError_tPvRmT1_PNSt15iterator_traitsISK_E10value_typeET2_T3_PNSL_ISQ_E10value_typeET4_jRbjT5_SW_jjP12ihipStream_tbEUlT_E1_NS1_11comp_targetILNS1_3genE3ELNS1_11target_archE908ELNS1_3gpuE7ELNS1_3repE0EEENS1_59segmented_radix_sort_warp_sort_small_config_static_selectorELNS0_4arch9wavefront6targetE0EEEvSK_.uses_flat_scratch, 0
	.set _ZN7rocprim17ROCPRIM_400000_NS6detail17trampoline_kernelINS0_14default_configENS1_36segmented_radix_sort_config_selectorIflEEZNS1_25segmented_radix_sort_implIS3_Lb1EPKfPfPKlPlN2at6native12_GLOBAL__N_18offset_tEEE10hipError_tPvRmT1_PNSt15iterator_traitsISK_E10value_typeET2_T3_PNSL_ISQ_E10value_typeET4_jRbjT5_SW_jjP12ihipStream_tbEUlT_E1_NS1_11comp_targetILNS1_3genE3ELNS1_11target_archE908ELNS1_3gpuE7ELNS1_3repE0EEENS1_59segmented_radix_sort_warp_sort_small_config_static_selectorELNS0_4arch9wavefront6targetE0EEEvSK_.has_dyn_sized_stack, 0
	.set _ZN7rocprim17ROCPRIM_400000_NS6detail17trampoline_kernelINS0_14default_configENS1_36segmented_radix_sort_config_selectorIflEEZNS1_25segmented_radix_sort_implIS3_Lb1EPKfPfPKlPlN2at6native12_GLOBAL__N_18offset_tEEE10hipError_tPvRmT1_PNSt15iterator_traitsISK_E10value_typeET2_T3_PNSL_ISQ_E10value_typeET4_jRbjT5_SW_jjP12ihipStream_tbEUlT_E1_NS1_11comp_targetILNS1_3genE3ELNS1_11target_archE908ELNS1_3gpuE7ELNS1_3repE0EEENS1_59segmented_radix_sort_warp_sort_small_config_static_selectorELNS0_4arch9wavefront6targetE0EEEvSK_.has_recursion, 0
	.set _ZN7rocprim17ROCPRIM_400000_NS6detail17trampoline_kernelINS0_14default_configENS1_36segmented_radix_sort_config_selectorIflEEZNS1_25segmented_radix_sort_implIS3_Lb1EPKfPfPKlPlN2at6native12_GLOBAL__N_18offset_tEEE10hipError_tPvRmT1_PNSt15iterator_traitsISK_E10value_typeET2_T3_PNSL_ISQ_E10value_typeET4_jRbjT5_SW_jjP12ihipStream_tbEUlT_E1_NS1_11comp_targetILNS1_3genE3ELNS1_11target_archE908ELNS1_3gpuE7ELNS1_3repE0EEENS1_59segmented_radix_sort_warp_sort_small_config_static_selectorELNS0_4arch9wavefront6targetE0EEEvSK_.has_indirect_call, 0
	.section	.AMDGPU.csdata,"",@progbits
; Kernel info:
; codeLenInByte = 0
; TotalNumSgprs: 0
; NumVgprs: 0
; ScratchSize: 0
; MemoryBound: 0
; FloatMode: 240
; IeeeMode: 1
; LDSByteSize: 0 bytes/workgroup (compile time only)
; SGPRBlocks: 0
; VGPRBlocks: 0
; NumSGPRsForWavesPerEU: 1
; NumVGPRsForWavesPerEU: 1
; Occupancy: 16
; WaveLimiterHint : 0
; COMPUTE_PGM_RSRC2:SCRATCH_EN: 0
; COMPUTE_PGM_RSRC2:USER_SGPR: 6
; COMPUTE_PGM_RSRC2:TRAP_HANDLER: 0
; COMPUTE_PGM_RSRC2:TGID_X_EN: 1
; COMPUTE_PGM_RSRC2:TGID_Y_EN: 0
; COMPUTE_PGM_RSRC2:TGID_Z_EN: 0
; COMPUTE_PGM_RSRC2:TIDIG_COMP_CNT: 0
	.section	.text._ZN7rocprim17ROCPRIM_400000_NS6detail17trampoline_kernelINS0_14default_configENS1_36segmented_radix_sort_config_selectorIflEEZNS1_25segmented_radix_sort_implIS3_Lb1EPKfPfPKlPlN2at6native12_GLOBAL__N_18offset_tEEE10hipError_tPvRmT1_PNSt15iterator_traitsISK_E10value_typeET2_T3_PNSL_ISQ_E10value_typeET4_jRbjT5_SW_jjP12ihipStream_tbEUlT_E1_NS1_11comp_targetILNS1_3genE2ELNS1_11target_archE906ELNS1_3gpuE6ELNS1_3repE0EEENS1_59segmented_radix_sort_warp_sort_small_config_static_selectorELNS0_4arch9wavefront6targetE0EEEvSK_,"axG",@progbits,_ZN7rocprim17ROCPRIM_400000_NS6detail17trampoline_kernelINS0_14default_configENS1_36segmented_radix_sort_config_selectorIflEEZNS1_25segmented_radix_sort_implIS3_Lb1EPKfPfPKlPlN2at6native12_GLOBAL__N_18offset_tEEE10hipError_tPvRmT1_PNSt15iterator_traitsISK_E10value_typeET2_T3_PNSL_ISQ_E10value_typeET4_jRbjT5_SW_jjP12ihipStream_tbEUlT_E1_NS1_11comp_targetILNS1_3genE2ELNS1_11target_archE906ELNS1_3gpuE6ELNS1_3repE0EEENS1_59segmented_radix_sort_warp_sort_small_config_static_selectorELNS0_4arch9wavefront6targetE0EEEvSK_,comdat
	.globl	_ZN7rocprim17ROCPRIM_400000_NS6detail17trampoline_kernelINS0_14default_configENS1_36segmented_radix_sort_config_selectorIflEEZNS1_25segmented_radix_sort_implIS3_Lb1EPKfPfPKlPlN2at6native12_GLOBAL__N_18offset_tEEE10hipError_tPvRmT1_PNSt15iterator_traitsISK_E10value_typeET2_T3_PNSL_ISQ_E10value_typeET4_jRbjT5_SW_jjP12ihipStream_tbEUlT_E1_NS1_11comp_targetILNS1_3genE2ELNS1_11target_archE906ELNS1_3gpuE6ELNS1_3repE0EEENS1_59segmented_radix_sort_warp_sort_small_config_static_selectorELNS0_4arch9wavefront6targetE0EEEvSK_ ; -- Begin function _ZN7rocprim17ROCPRIM_400000_NS6detail17trampoline_kernelINS0_14default_configENS1_36segmented_radix_sort_config_selectorIflEEZNS1_25segmented_radix_sort_implIS3_Lb1EPKfPfPKlPlN2at6native12_GLOBAL__N_18offset_tEEE10hipError_tPvRmT1_PNSt15iterator_traitsISK_E10value_typeET2_T3_PNSL_ISQ_E10value_typeET4_jRbjT5_SW_jjP12ihipStream_tbEUlT_E1_NS1_11comp_targetILNS1_3genE2ELNS1_11target_archE906ELNS1_3gpuE6ELNS1_3repE0EEENS1_59segmented_radix_sort_warp_sort_small_config_static_selectorELNS0_4arch9wavefront6targetE0EEEvSK_
	.p2align	8
	.type	_ZN7rocprim17ROCPRIM_400000_NS6detail17trampoline_kernelINS0_14default_configENS1_36segmented_radix_sort_config_selectorIflEEZNS1_25segmented_radix_sort_implIS3_Lb1EPKfPfPKlPlN2at6native12_GLOBAL__N_18offset_tEEE10hipError_tPvRmT1_PNSt15iterator_traitsISK_E10value_typeET2_T3_PNSL_ISQ_E10value_typeET4_jRbjT5_SW_jjP12ihipStream_tbEUlT_E1_NS1_11comp_targetILNS1_3genE2ELNS1_11target_archE906ELNS1_3gpuE6ELNS1_3repE0EEENS1_59segmented_radix_sort_warp_sort_small_config_static_selectorELNS0_4arch9wavefront6targetE0EEEvSK_,@function
_ZN7rocprim17ROCPRIM_400000_NS6detail17trampoline_kernelINS0_14default_configENS1_36segmented_radix_sort_config_selectorIflEEZNS1_25segmented_radix_sort_implIS3_Lb1EPKfPfPKlPlN2at6native12_GLOBAL__N_18offset_tEEE10hipError_tPvRmT1_PNSt15iterator_traitsISK_E10value_typeET2_T3_PNSL_ISQ_E10value_typeET4_jRbjT5_SW_jjP12ihipStream_tbEUlT_E1_NS1_11comp_targetILNS1_3genE2ELNS1_11target_archE906ELNS1_3gpuE6ELNS1_3repE0EEENS1_59segmented_radix_sort_warp_sort_small_config_static_selectorELNS0_4arch9wavefront6targetE0EEEvSK_: ; @_ZN7rocprim17ROCPRIM_400000_NS6detail17trampoline_kernelINS0_14default_configENS1_36segmented_radix_sort_config_selectorIflEEZNS1_25segmented_radix_sort_implIS3_Lb1EPKfPfPKlPlN2at6native12_GLOBAL__N_18offset_tEEE10hipError_tPvRmT1_PNSt15iterator_traitsISK_E10value_typeET2_T3_PNSL_ISQ_E10value_typeET4_jRbjT5_SW_jjP12ihipStream_tbEUlT_E1_NS1_11comp_targetILNS1_3genE2ELNS1_11target_archE906ELNS1_3gpuE6ELNS1_3repE0EEENS1_59segmented_radix_sort_warp_sort_small_config_static_selectorELNS0_4arch9wavefront6targetE0EEEvSK_
; %bb.0:
	.section	.rodata,"a",@progbits
	.p2align	6, 0x0
	.amdhsa_kernel _ZN7rocprim17ROCPRIM_400000_NS6detail17trampoline_kernelINS0_14default_configENS1_36segmented_radix_sort_config_selectorIflEEZNS1_25segmented_radix_sort_implIS3_Lb1EPKfPfPKlPlN2at6native12_GLOBAL__N_18offset_tEEE10hipError_tPvRmT1_PNSt15iterator_traitsISK_E10value_typeET2_T3_PNSL_ISQ_E10value_typeET4_jRbjT5_SW_jjP12ihipStream_tbEUlT_E1_NS1_11comp_targetILNS1_3genE2ELNS1_11target_archE906ELNS1_3gpuE6ELNS1_3repE0EEENS1_59segmented_radix_sort_warp_sort_small_config_static_selectorELNS0_4arch9wavefront6targetE0EEEvSK_
		.amdhsa_group_segment_fixed_size 0
		.amdhsa_private_segment_fixed_size 0
		.amdhsa_kernarg_size 88
		.amdhsa_user_sgpr_count 6
		.amdhsa_user_sgpr_private_segment_buffer 1
		.amdhsa_user_sgpr_dispatch_ptr 0
		.amdhsa_user_sgpr_queue_ptr 0
		.amdhsa_user_sgpr_kernarg_segment_ptr 1
		.amdhsa_user_sgpr_dispatch_id 0
		.amdhsa_user_sgpr_flat_scratch_init 0
		.amdhsa_user_sgpr_private_segment_size 0
		.amdhsa_wavefront_size32 1
		.amdhsa_uses_dynamic_stack 0
		.amdhsa_system_sgpr_private_segment_wavefront_offset 0
		.amdhsa_system_sgpr_workgroup_id_x 1
		.amdhsa_system_sgpr_workgroup_id_y 0
		.amdhsa_system_sgpr_workgroup_id_z 0
		.amdhsa_system_sgpr_workgroup_info 0
		.amdhsa_system_vgpr_workitem_id 0
		.amdhsa_next_free_vgpr 1
		.amdhsa_next_free_sgpr 1
		.amdhsa_reserve_vcc 0
		.amdhsa_reserve_flat_scratch 0
		.amdhsa_float_round_mode_32 0
		.amdhsa_float_round_mode_16_64 0
		.amdhsa_float_denorm_mode_32 3
		.amdhsa_float_denorm_mode_16_64 3
		.amdhsa_dx10_clamp 1
		.amdhsa_ieee_mode 1
		.amdhsa_fp16_overflow 0
		.amdhsa_workgroup_processor_mode 1
		.amdhsa_memory_ordered 1
		.amdhsa_forward_progress 1
		.amdhsa_shared_vgpr_count 0
		.amdhsa_exception_fp_ieee_invalid_op 0
		.amdhsa_exception_fp_denorm_src 0
		.amdhsa_exception_fp_ieee_div_zero 0
		.amdhsa_exception_fp_ieee_overflow 0
		.amdhsa_exception_fp_ieee_underflow 0
		.amdhsa_exception_fp_ieee_inexact 0
		.amdhsa_exception_int_div_zero 0
	.end_amdhsa_kernel
	.section	.text._ZN7rocprim17ROCPRIM_400000_NS6detail17trampoline_kernelINS0_14default_configENS1_36segmented_radix_sort_config_selectorIflEEZNS1_25segmented_radix_sort_implIS3_Lb1EPKfPfPKlPlN2at6native12_GLOBAL__N_18offset_tEEE10hipError_tPvRmT1_PNSt15iterator_traitsISK_E10value_typeET2_T3_PNSL_ISQ_E10value_typeET4_jRbjT5_SW_jjP12ihipStream_tbEUlT_E1_NS1_11comp_targetILNS1_3genE2ELNS1_11target_archE906ELNS1_3gpuE6ELNS1_3repE0EEENS1_59segmented_radix_sort_warp_sort_small_config_static_selectorELNS0_4arch9wavefront6targetE0EEEvSK_,"axG",@progbits,_ZN7rocprim17ROCPRIM_400000_NS6detail17trampoline_kernelINS0_14default_configENS1_36segmented_radix_sort_config_selectorIflEEZNS1_25segmented_radix_sort_implIS3_Lb1EPKfPfPKlPlN2at6native12_GLOBAL__N_18offset_tEEE10hipError_tPvRmT1_PNSt15iterator_traitsISK_E10value_typeET2_T3_PNSL_ISQ_E10value_typeET4_jRbjT5_SW_jjP12ihipStream_tbEUlT_E1_NS1_11comp_targetILNS1_3genE2ELNS1_11target_archE906ELNS1_3gpuE6ELNS1_3repE0EEENS1_59segmented_radix_sort_warp_sort_small_config_static_selectorELNS0_4arch9wavefront6targetE0EEEvSK_,comdat
.Lfunc_end1341:
	.size	_ZN7rocprim17ROCPRIM_400000_NS6detail17trampoline_kernelINS0_14default_configENS1_36segmented_radix_sort_config_selectorIflEEZNS1_25segmented_radix_sort_implIS3_Lb1EPKfPfPKlPlN2at6native12_GLOBAL__N_18offset_tEEE10hipError_tPvRmT1_PNSt15iterator_traitsISK_E10value_typeET2_T3_PNSL_ISQ_E10value_typeET4_jRbjT5_SW_jjP12ihipStream_tbEUlT_E1_NS1_11comp_targetILNS1_3genE2ELNS1_11target_archE906ELNS1_3gpuE6ELNS1_3repE0EEENS1_59segmented_radix_sort_warp_sort_small_config_static_selectorELNS0_4arch9wavefront6targetE0EEEvSK_, .Lfunc_end1341-_ZN7rocprim17ROCPRIM_400000_NS6detail17trampoline_kernelINS0_14default_configENS1_36segmented_radix_sort_config_selectorIflEEZNS1_25segmented_radix_sort_implIS3_Lb1EPKfPfPKlPlN2at6native12_GLOBAL__N_18offset_tEEE10hipError_tPvRmT1_PNSt15iterator_traitsISK_E10value_typeET2_T3_PNSL_ISQ_E10value_typeET4_jRbjT5_SW_jjP12ihipStream_tbEUlT_E1_NS1_11comp_targetILNS1_3genE2ELNS1_11target_archE906ELNS1_3gpuE6ELNS1_3repE0EEENS1_59segmented_radix_sort_warp_sort_small_config_static_selectorELNS0_4arch9wavefront6targetE0EEEvSK_
                                        ; -- End function
	.set _ZN7rocprim17ROCPRIM_400000_NS6detail17trampoline_kernelINS0_14default_configENS1_36segmented_radix_sort_config_selectorIflEEZNS1_25segmented_radix_sort_implIS3_Lb1EPKfPfPKlPlN2at6native12_GLOBAL__N_18offset_tEEE10hipError_tPvRmT1_PNSt15iterator_traitsISK_E10value_typeET2_T3_PNSL_ISQ_E10value_typeET4_jRbjT5_SW_jjP12ihipStream_tbEUlT_E1_NS1_11comp_targetILNS1_3genE2ELNS1_11target_archE906ELNS1_3gpuE6ELNS1_3repE0EEENS1_59segmented_radix_sort_warp_sort_small_config_static_selectorELNS0_4arch9wavefront6targetE0EEEvSK_.num_vgpr, 0
	.set _ZN7rocprim17ROCPRIM_400000_NS6detail17trampoline_kernelINS0_14default_configENS1_36segmented_radix_sort_config_selectorIflEEZNS1_25segmented_radix_sort_implIS3_Lb1EPKfPfPKlPlN2at6native12_GLOBAL__N_18offset_tEEE10hipError_tPvRmT1_PNSt15iterator_traitsISK_E10value_typeET2_T3_PNSL_ISQ_E10value_typeET4_jRbjT5_SW_jjP12ihipStream_tbEUlT_E1_NS1_11comp_targetILNS1_3genE2ELNS1_11target_archE906ELNS1_3gpuE6ELNS1_3repE0EEENS1_59segmented_radix_sort_warp_sort_small_config_static_selectorELNS0_4arch9wavefront6targetE0EEEvSK_.num_agpr, 0
	.set _ZN7rocprim17ROCPRIM_400000_NS6detail17trampoline_kernelINS0_14default_configENS1_36segmented_radix_sort_config_selectorIflEEZNS1_25segmented_radix_sort_implIS3_Lb1EPKfPfPKlPlN2at6native12_GLOBAL__N_18offset_tEEE10hipError_tPvRmT1_PNSt15iterator_traitsISK_E10value_typeET2_T3_PNSL_ISQ_E10value_typeET4_jRbjT5_SW_jjP12ihipStream_tbEUlT_E1_NS1_11comp_targetILNS1_3genE2ELNS1_11target_archE906ELNS1_3gpuE6ELNS1_3repE0EEENS1_59segmented_radix_sort_warp_sort_small_config_static_selectorELNS0_4arch9wavefront6targetE0EEEvSK_.numbered_sgpr, 0
	.set _ZN7rocprim17ROCPRIM_400000_NS6detail17trampoline_kernelINS0_14default_configENS1_36segmented_radix_sort_config_selectorIflEEZNS1_25segmented_radix_sort_implIS3_Lb1EPKfPfPKlPlN2at6native12_GLOBAL__N_18offset_tEEE10hipError_tPvRmT1_PNSt15iterator_traitsISK_E10value_typeET2_T3_PNSL_ISQ_E10value_typeET4_jRbjT5_SW_jjP12ihipStream_tbEUlT_E1_NS1_11comp_targetILNS1_3genE2ELNS1_11target_archE906ELNS1_3gpuE6ELNS1_3repE0EEENS1_59segmented_radix_sort_warp_sort_small_config_static_selectorELNS0_4arch9wavefront6targetE0EEEvSK_.num_named_barrier, 0
	.set _ZN7rocprim17ROCPRIM_400000_NS6detail17trampoline_kernelINS0_14default_configENS1_36segmented_radix_sort_config_selectorIflEEZNS1_25segmented_radix_sort_implIS3_Lb1EPKfPfPKlPlN2at6native12_GLOBAL__N_18offset_tEEE10hipError_tPvRmT1_PNSt15iterator_traitsISK_E10value_typeET2_T3_PNSL_ISQ_E10value_typeET4_jRbjT5_SW_jjP12ihipStream_tbEUlT_E1_NS1_11comp_targetILNS1_3genE2ELNS1_11target_archE906ELNS1_3gpuE6ELNS1_3repE0EEENS1_59segmented_radix_sort_warp_sort_small_config_static_selectorELNS0_4arch9wavefront6targetE0EEEvSK_.private_seg_size, 0
	.set _ZN7rocprim17ROCPRIM_400000_NS6detail17trampoline_kernelINS0_14default_configENS1_36segmented_radix_sort_config_selectorIflEEZNS1_25segmented_radix_sort_implIS3_Lb1EPKfPfPKlPlN2at6native12_GLOBAL__N_18offset_tEEE10hipError_tPvRmT1_PNSt15iterator_traitsISK_E10value_typeET2_T3_PNSL_ISQ_E10value_typeET4_jRbjT5_SW_jjP12ihipStream_tbEUlT_E1_NS1_11comp_targetILNS1_3genE2ELNS1_11target_archE906ELNS1_3gpuE6ELNS1_3repE0EEENS1_59segmented_radix_sort_warp_sort_small_config_static_selectorELNS0_4arch9wavefront6targetE0EEEvSK_.uses_vcc, 0
	.set _ZN7rocprim17ROCPRIM_400000_NS6detail17trampoline_kernelINS0_14default_configENS1_36segmented_radix_sort_config_selectorIflEEZNS1_25segmented_radix_sort_implIS3_Lb1EPKfPfPKlPlN2at6native12_GLOBAL__N_18offset_tEEE10hipError_tPvRmT1_PNSt15iterator_traitsISK_E10value_typeET2_T3_PNSL_ISQ_E10value_typeET4_jRbjT5_SW_jjP12ihipStream_tbEUlT_E1_NS1_11comp_targetILNS1_3genE2ELNS1_11target_archE906ELNS1_3gpuE6ELNS1_3repE0EEENS1_59segmented_radix_sort_warp_sort_small_config_static_selectorELNS0_4arch9wavefront6targetE0EEEvSK_.uses_flat_scratch, 0
	.set _ZN7rocprim17ROCPRIM_400000_NS6detail17trampoline_kernelINS0_14default_configENS1_36segmented_radix_sort_config_selectorIflEEZNS1_25segmented_radix_sort_implIS3_Lb1EPKfPfPKlPlN2at6native12_GLOBAL__N_18offset_tEEE10hipError_tPvRmT1_PNSt15iterator_traitsISK_E10value_typeET2_T3_PNSL_ISQ_E10value_typeET4_jRbjT5_SW_jjP12ihipStream_tbEUlT_E1_NS1_11comp_targetILNS1_3genE2ELNS1_11target_archE906ELNS1_3gpuE6ELNS1_3repE0EEENS1_59segmented_radix_sort_warp_sort_small_config_static_selectorELNS0_4arch9wavefront6targetE0EEEvSK_.has_dyn_sized_stack, 0
	.set _ZN7rocprim17ROCPRIM_400000_NS6detail17trampoline_kernelINS0_14default_configENS1_36segmented_radix_sort_config_selectorIflEEZNS1_25segmented_radix_sort_implIS3_Lb1EPKfPfPKlPlN2at6native12_GLOBAL__N_18offset_tEEE10hipError_tPvRmT1_PNSt15iterator_traitsISK_E10value_typeET2_T3_PNSL_ISQ_E10value_typeET4_jRbjT5_SW_jjP12ihipStream_tbEUlT_E1_NS1_11comp_targetILNS1_3genE2ELNS1_11target_archE906ELNS1_3gpuE6ELNS1_3repE0EEENS1_59segmented_radix_sort_warp_sort_small_config_static_selectorELNS0_4arch9wavefront6targetE0EEEvSK_.has_recursion, 0
	.set _ZN7rocprim17ROCPRIM_400000_NS6detail17trampoline_kernelINS0_14default_configENS1_36segmented_radix_sort_config_selectorIflEEZNS1_25segmented_radix_sort_implIS3_Lb1EPKfPfPKlPlN2at6native12_GLOBAL__N_18offset_tEEE10hipError_tPvRmT1_PNSt15iterator_traitsISK_E10value_typeET2_T3_PNSL_ISQ_E10value_typeET4_jRbjT5_SW_jjP12ihipStream_tbEUlT_E1_NS1_11comp_targetILNS1_3genE2ELNS1_11target_archE906ELNS1_3gpuE6ELNS1_3repE0EEENS1_59segmented_radix_sort_warp_sort_small_config_static_selectorELNS0_4arch9wavefront6targetE0EEEvSK_.has_indirect_call, 0
	.section	.AMDGPU.csdata,"",@progbits
; Kernel info:
; codeLenInByte = 0
; TotalNumSgprs: 0
; NumVgprs: 0
; ScratchSize: 0
; MemoryBound: 0
; FloatMode: 240
; IeeeMode: 1
; LDSByteSize: 0 bytes/workgroup (compile time only)
; SGPRBlocks: 0
; VGPRBlocks: 0
; NumSGPRsForWavesPerEU: 1
; NumVGPRsForWavesPerEU: 1
; Occupancy: 16
; WaveLimiterHint : 0
; COMPUTE_PGM_RSRC2:SCRATCH_EN: 0
; COMPUTE_PGM_RSRC2:USER_SGPR: 6
; COMPUTE_PGM_RSRC2:TRAP_HANDLER: 0
; COMPUTE_PGM_RSRC2:TGID_X_EN: 1
; COMPUTE_PGM_RSRC2:TGID_Y_EN: 0
; COMPUTE_PGM_RSRC2:TGID_Z_EN: 0
; COMPUTE_PGM_RSRC2:TIDIG_COMP_CNT: 0
	.section	.text._ZN7rocprim17ROCPRIM_400000_NS6detail17trampoline_kernelINS0_14default_configENS1_36segmented_radix_sort_config_selectorIflEEZNS1_25segmented_radix_sort_implIS3_Lb1EPKfPfPKlPlN2at6native12_GLOBAL__N_18offset_tEEE10hipError_tPvRmT1_PNSt15iterator_traitsISK_E10value_typeET2_T3_PNSL_ISQ_E10value_typeET4_jRbjT5_SW_jjP12ihipStream_tbEUlT_E1_NS1_11comp_targetILNS1_3genE10ELNS1_11target_archE1201ELNS1_3gpuE5ELNS1_3repE0EEENS1_59segmented_radix_sort_warp_sort_small_config_static_selectorELNS0_4arch9wavefront6targetE0EEEvSK_,"axG",@progbits,_ZN7rocprim17ROCPRIM_400000_NS6detail17trampoline_kernelINS0_14default_configENS1_36segmented_radix_sort_config_selectorIflEEZNS1_25segmented_radix_sort_implIS3_Lb1EPKfPfPKlPlN2at6native12_GLOBAL__N_18offset_tEEE10hipError_tPvRmT1_PNSt15iterator_traitsISK_E10value_typeET2_T3_PNSL_ISQ_E10value_typeET4_jRbjT5_SW_jjP12ihipStream_tbEUlT_E1_NS1_11comp_targetILNS1_3genE10ELNS1_11target_archE1201ELNS1_3gpuE5ELNS1_3repE0EEENS1_59segmented_radix_sort_warp_sort_small_config_static_selectorELNS0_4arch9wavefront6targetE0EEEvSK_,comdat
	.globl	_ZN7rocprim17ROCPRIM_400000_NS6detail17trampoline_kernelINS0_14default_configENS1_36segmented_radix_sort_config_selectorIflEEZNS1_25segmented_radix_sort_implIS3_Lb1EPKfPfPKlPlN2at6native12_GLOBAL__N_18offset_tEEE10hipError_tPvRmT1_PNSt15iterator_traitsISK_E10value_typeET2_T3_PNSL_ISQ_E10value_typeET4_jRbjT5_SW_jjP12ihipStream_tbEUlT_E1_NS1_11comp_targetILNS1_3genE10ELNS1_11target_archE1201ELNS1_3gpuE5ELNS1_3repE0EEENS1_59segmented_radix_sort_warp_sort_small_config_static_selectorELNS0_4arch9wavefront6targetE0EEEvSK_ ; -- Begin function _ZN7rocprim17ROCPRIM_400000_NS6detail17trampoline_kernelINS0_14default_configENS1_36segmented_radix_sort_config_selectorIflEEZNS1_25segmented_radix_sort_implIS3_Lb1EPKfPfPKlPlN2at6native12_GLOBAL__N_18offset_tEEE10hipError_tPvRmT1_PNSt15iterator_traitsISK_E10value_typeET2_T3_PNSL_ISQ_E10value_typeET4_jRbjT5_SW_jjP12ihipStream_tbEUlT_E1_NS1_11comp_targetILNS1_3genE10ELNS1_11target_archE1201ELNS1_3gpuE5ELNS1_3repE0EEENS1_59segmented_radix_sort_warp_sort_small_config_static_selectorELNS0_4arch9wavefront6targetE0EEEvSK_
	.p2align	8
	.type	_ZN7rocprim17ROCPRIM_400000_NS6detail17trampoline_kernelINS0_14default_configENS1_36segmented_radix_sort_config_selectorIflEEZNS1_25segmented_radix_sort_implIS3_Lb1EPKfPfPKlPlN2at6native12_GLOBAL__N_18offset_tEEE10hipError_tPvRmT1_PNSt15iterator_traitsISK_E10value_typeET2_T3_PNSL_ISQ_E10value_typeET4_jRbjT5_SW_jjP12ihipStream_tbEUlT_E1_NS1_11comp_targetILNS1_3genE10ELNS1_11target_archE1201ELNS1_3gpuE5ELNS1_3repE0EEENS1_59segmented_radix_sort_warp_sort_small_config_static_selectorELNS0_4arch9wavefront6targetE0EEEvSK_,@function
_ZN7rocprim17ROCPRIM_400000_NS6detail17trampoline_kernelINS0_14default_configENS1_36segmented_radix_sort_config_selectorIflEEZNS1_25segmented_radix_sort_implIS3_Lb1EPKfPfPKlPlN2at6native12_GLOBAL__N_18offset_tEEE10hipError_tPvRmT1_PNSt15iterator_traitsISK_E10value_typeET2_T3_PNSL_ISQ_E10value_typeET4_jRbjT5_SW_jjP12ihipStream_tbEUlT_E1_NS1_11comp_targetILNS1_3genE10ELNS1_11target_archE1201ELNS1_3gpuE5ELNS1_3repE0EEENS1_59segmented_radix_sort_warp_sort_small_config_static_selectorELNS0_4arch9wavefront6targetE0EEEvSK_: ; @_ZN7rocprim17ROCPRIM_400000_NS6detail17trampoline_kernelINS0_14default_configENS1_36segmented_radix_sort_config_selectorIflEEZNS1_25segmented_radix_sort_implIS3_Lb1EPKfPfPKlPlN2at6native12_GLOBAL__N_18offset_tEEE10hipError_tPvRmT1_PNSt15iterator_traitsISK_E10value_typeET2_T3_PNSL_ISQ_E10value_typeET4_jRbjT5_SW_jjP12ihipStream_tbEUlT_E1_NS1_11comp_targetILNS1_3genE10ELNS1_11target_archE1201ELNS1_3gpuE5ELNS1_3repE0EEENS1_59segmented_radix_sort_warp_sort_small_config_static_selectorELNS0_4arch9wavefront6targetE0EEEvSK_
; %bb.0:
	.section	.rodata,"a",@progbits
	.p2align	6, 0x0
	.amdhsa_kernel _ZN7rocprim17ROCPRIM_400000_NS6detail17trampoline_kernelINS0_14default_configENS1_36segmented_radix_sort_config_selectorIflEEZNS1_25segmented_radix_sort_implIS3_Lb1EPKfPfPKlPlN2at6native12_GLOBAL__N_18offset_tEEE10hipError_tPvRmT1_PNSt15iterator_traitsISK_E10value_typeET2_T3_PNSL_ISQ_E10value_typeET4_jRbjT5_SW_jjP12ihipStream_tbEUlT_E1_NS1_11comp_targetILNS1_3genE10ELNS1_11target_archE1201ELNS1_3gpuE5ELNS1_3repE0EEENS1_59segmented_radix_sort_warp_sort_small_config_static_selectorELNS0_4arch9wavefront6targetE0EEEvSK_
		.amdhsa_group_segment_fixed_size 0
		.amdhsa_private_segment_fixed_size 0
		.amdhsa_kernarg_size 88
		.amdhsa_user_sgpr_count 6
		.amdhsa_user_sgpr_private_segment_buffer 1
		.amdhsa_user_sgpr_dispatch_ptr 0
		.amdhsa_user_sgpr_queue_ptr 0
		.amdhsa_user_sgpr_kernarg_segment_ptr 1
		.amdhsa_user_sgpr_dispatch_id 0
		.amdhsa_user_sgpr_flat_scratch_init 0
		.amdhsa_user_sgpr_private_segment_size 0
		.amdhsa_wavefront_size32 1
		.amdhsa_uses_dynamic_stack 0
		.amdhsa_system_sgpr_private_segment_wavefront_offset 0
		.amdhsa_system_sgpr_workgroup_id_x 1
		.amdhsa_system_sgpr_workgroup_id_y 0
		.amdhsa_system_sgpr_workgroup_id_z 0
		.amdhsa_system_sgpr_workgroup_info 0
		.amdhsa_system_vgpr_workitem_id 0
		.amdhsa_next_free_vgpr 1
		.amdhsa_next_free_sgpr 1
		.amdhsa_reserve_vcc 0
		.amdhsa_reserve_flat_scratch 0
		.amdhsa_float_round_mode_32 0
		.amdhsa_float_round_mode_16_64 0
		.amdhsa_float_denorm_mode_32 3
		.amdhsa_float_denorm_mode_16_64 3
		.amdhsa_dx10_clamp 1
		.amdhsa_ieee_mode 1
		.amdhsa_fp16_overflow 0
		.amdhsa_workgroup_processor_mode 1
		.amdhsa_memory_ordered 1
		.amdhsa_forward_progress 1
		.amdhsa_shared_vgpr_count 0
		.amdhsa_exception_fp_ieee_invalid_op 0
		.amdhsa_exception_fp_denorm_src 0
		.amdhsa_exception_fp_ieee_div_zero 0
		.amdhsa_exception_fp_ieee_overflow 0
		.amdhsa_exception_fp_ieee_underflow 0
		.amdhsa_exception_fp_ieee_inexact 0
		.amdhsa_exception_int_div_zero 0
	.end_amdhsa_kernel
	.section	.text._ZN7rocprim17ROCPRIM_400000_NS6detail17trampoline_kernelINS0_14default_configENS1_36segmented_radix_sort_config_selectorIflEEZNS1_25segmented_radix_sort_implIS3_Lb1EPKfPfPKlPlN2at6native12_GLOBAL__N_18offset_tEEE10hipError_tPvRmT1_PNSt15iterator_traitsISK_E10value_typeET2_T3_PNSL_ISQ_E10value_typeET4_jRbjT5_SW_jjP12ihipStream_tbEUlT_E1_NS1_11comp_targetILNS1_3genE10ELNS1_11target_archE1201ELNS1_3gpuE5ELNS1_3repE0EEENS1_59segmented_radix_sort_warp_sort_small_config_static_selectorELNS0_4arch9wavefront6targetE0EEEvSK_,"axG",@progbits,_ZN7rocprim17ROCPRIM_400000_NS6detail17trampoline_kernelINS0_14default_configENS1_36segmented_radix_sort_config_selectorIflEEZNS1_25segmented_radix_sort_implIS3_Lb1EPKfPfPKlPlN2at6native12_GLOBAL__N_18offset_tEEE10hipError_tPvRmT1_PNSt15iterator_traitsISK_E10value_typeET2_T3_PNSL_ISQ_E10value_typeET4_jRbjT5_SW_jjP12ihipStream_tbEUlT_E1_NS1_11comp_targetILNS1_3genE10ELNS1_11target_archE1201ELNS1_3gpuE5ELNS1_3repE0EEENS1_59segmented_radix_sort_warp_sort_small_config_static_selectorELNS0_4arch9wavefront6targetE0EEEvSK_,comdat
.Lfunc_end1342:
	.size	_ZN7rocprim17ROCPRIM_400000_NS6detail17trampoline_kernelINS0_14default_configENS1_36segmented_radix_sort_config_selectorIflEEZNS1_25segmented_radix_sort_implIS3_Lb1EPKfPfPKlPlN2at6native12_GLOBAL__N_18offset_tEEE10hipError_tPvRmT1_PNSt15iterator_traitsISK_E10value_typeET2_T3_PNSL_ISQ_E10value_typeET4_jRbjT5_SW_jjP12ihipStream_tbEUlT_E1_NS1_11comp_targetILNS1_3genE10ELNS1_11target_archE1201ELNS1_3gpuE5ELNS1_3repE0EEENS1_59segmented_radix_sort_warp_sort_small_config_static_selectorELNS0_4arch9wavefront6targetE0EEEvSK_, .Lfunc_end1342-_ZN7rocprim17ROCPRIM_400000_NS6detail17trampoline_kernelINS0_14default_configENS1_36segmented_radix_sort_config_selectorIflEEZNS1_25segmented_radix_sort_implIS3_Lb1EPKfPfPKlPlN2at6native12_GLOBAL__N_18offset_tEEE10hipError_tPvRmT1_PNSt15iterator_traitsISK_E10value_typeET2_T3_PNSL_ISQ_E10value_typeET4_jRbjT5_SW_jjP12ihipStream_tbEUlT_E1_NS1_11comp_targetILNS1_3genE10ELNS1_11target_archE1201ELNS1_3gpuE5ELNS1_3repE0EEENS1_59segmented_radix_sort_warp_sort_small_config_static_selectorELNS0_4arch9wavefront6targetE0EEEvSK_
                                        ; -- End function
	.set _ZN7rocprim17ROCPRIM_400000_NS6detail17trampoline_kernelINS0_14default_configENS1_36segmented_radix_sort_config_selectorIflEEZNS1_25segmented_radix_sort_implIS3_Lb1EPKfPfPKlPlN2at6native12_GLOBAL__N_18offset_tEEE10hipError_tPvRmT1_PNSt15iterator_traitsISK_E10value_typeET2_T3_PNSL_ISQ_E10value_typeET4_jRbjT5_SW_jjP12ihipStream_tbEUlT_E1_NS1_11comp_targetILNS1_3genE10ELNS1_11target_archE1201ELNS1_3gpuE5ELNS1_3repE0EEENS1_59segmented_radix_sort_warp_sort_small_config_static_selectorELNS0_4arch9wavefront6targetE0EEEvSK_.num_vgpr, 0
	.set _ZN7rocprim17ROCPRIM_400000_NS6detail17trampoline_kernelINS0_14default_configENS1_36segmented_radix_sort_config_selectorIflEEZNS1_25segmented_radix_sort_implIS3_Lb1EPKfPfPKlPlN2at6native12_GLOBAL__N_18offset_tEEE10hipError_tPvRmT1_PNSt15iterator_traitsISK_E10value_typeET2_T3_PNSL_ISQ_E10value_typeET4_jRbjT5_SW_jjP12ihipStream_tbEUlT_E1_NS1_11comp_targetILNS1_3genE10ELNS1_11target_archE1201ELNS1_3gpuE5ELNS1_3repE0EEENS1_59segmented_radix_sort_warp_sort_small_config_static_selectorELNS0_4arch9wavefront6targetE0EEEvSK_.num_agpr, 0
	.set _ZN7rocprim17ROCPRIM_400000_NS6detail17trampoline_kernelINS0_14default_configENS1_36segmented_radix_sort_config_selectorIflEEZNS1_25segmented_radix_sort_implIS3_Lb1EPKfPfPKlPlN2at6native12_GLOBAL__N_18offset_tEEE10hipError_tPvRmT1_PNSt15iterator_traitsISK_E10value_typeET2_T3_PNSL_ISQ_E10value_typeET4_jRbjT5_SW_jjP12ihipStream_tbEUlT_E1_NS1_11comp_targetILNS1_3genE10ELNS1_11target_archE1201ELNS1_3gpuE5ELNS1_3repE0EEENS1_59segmented_radix_sort_warp_sort_small_config_static_selectorELNS0_4arch9wavefront6targetE0EEEvSK_.numbered_sgpr, 0
	.set _ZN7rocprim17ROCPRIM_400000_NS6detail17trampoline_kernelINS0_14default_configENS1_36segmented_radix_sort_config_selectorIflEEZNS1_25segmented_radix_sort_implIS3_Lb1EPKfPfPKlPlN2at6native12_GLOBAL__N_18offset_tEEE10hipError_tPvRmT1_PNSt15iterator_traitsISK_E10value_typeET2_T3_PNSL_ISQ_E10value_typeET4_jRbjT5_SW_jjP12ihipStream_tbEUlT_E1_NS1_11comp_targetILNS1_3genE10ELNS1_11target_archE1201ELNS1_3gpuE5ELNS1_3repE0EEENS1_59segmented_radix_sort_warp_sort_small_config_static_selectorELNS0_4arch9wavefront6targetE0EEEvSK_.num_named_barrier, 0
	.set _ZN7rocprim17ROCPRIM_400000_NS6detail17trampoline_kernelINS0_14default_configENS1_36segmented_radix_sort_config_selectorIflEEZNS1_25segmented_radix_sort_implIS3_Lb1EPKfPfPKlPlN2at6native12_GLOBAL__N_18offset_tEEE10hipError_tPvRmT1_PNSt15iterator_traitsISK_E10value_typeET2_T3_PNSL_ISQ_E10value_typeET4_jRbjT5_SW_jjP12ihipStream_tbEUlT_E1_NS1_11comp_targetILNS1_3genE10ELNS1_11target_archE1201ELNS1_3gpuE5ELNS1_3repE0EEENS1_59segmented_radix_sort_warp_sort_small_config_static_selectorELNS0_4arch9wavefront6targetE0EEEvSK_.private_seg_size, 0
	.set _ZN7rocprim17ROCPRIM_400000_NS6detail17trampoline_kernelINS0_14default_configENS1_36segmented_radix_sort_config_selectorIflEEZNS1_25segmented_radix_sort_implIS3_Lb1EPKfPfPKlPlN2at6native12_GLOBAL__N_18offset_tEEE10hipError_tPvRmT1_PNSt15iterator_traitsISK_E10value_typeET2_T3_PNSL_ISQ_E10value_typeET4_jRbjT5_SW_jjP12ihipStream_tbEUlT_E1_NS1_11comp_targetILNS1_3genE10ELNS1_11target_archE1201ELNS1_3gpuE5ELNS1_3repE0EEENS1_59segmented_radix_sort_warp_sort_small_config_static_selectorELNS0_4arch9wavefront6targetE0EEEvSK_.uses_vcc, 0
	.set _ZN7rocprim17ROCPRIM_400000_NS6detail17trampoline_kernelINS0_14default_configENS1_36segmented_radix_sort_config_selectorIflEEZNS1_25segmented_radix_sort_implIS3_Lb1EPKfPfPKlPlN2at6native12_GLOBAL__N_18offset_tEEE10hipError_tPvRmT1_PNSt15iterator_traitsISK_E10value_typeET2_T3_PNSL_ISQ_E10value_typeET4_jRbjT5_SW_jjP12ihipStream_tbEUlT_E1_NS1_11comp_targetILNS1_3genE10ELNS1_11target_archE1201ELNS1_3gpuE5ELNS1_3repE0EEENS1_59segmented_radix_sort_warp_sort_small_config_static_selectorELNS0_4arch9wavefront6targetE0EEEvSK_.uses_flat_scratch, 0
	.set _ZN7rocprim17ROCPRIM_400000_NS6detail17trampoline_kernelINS0_14default_configENS1_36segmented_radix_sort_config_selectorIflEEZNS1_25segmented_radix_sort_implIS3_Lb1EPKfPfPKlPlN2at6native12_GLOBAL__N_18offset_tEEE10hipError_tPvRmT1_PNSt15iterator_traitsISK_E10value_typeET2_T3_PNSL_ISQ_E10value_typeET4_jRbjT5_SW_jjP12ihipStream_tbEUlT_E1_NS1_11comp_targetILNS1_3genE10ELNS1_11target_archE1201ELNS1_3gpuE5ELNS1_3repE0EEENS1_59segmented_radix_sort_warp_sort_small_config_static_selectorELNS0_4arch9wavefront6targetE0EEEvSK_.has_dyn_sized_stack, 0
	.set _ZN7rocprim17ROCPRIM_400000_NS6detail17trampoline_kernelINS0_14default_configENS1_36segmented_radix_sort_config_selectorIflEEZNS1_25segmented_radix_sort_implIS3_Lb1EPKfPfPKlPlN2at6native12_GLOBAL__N_18offset_tEEE10hipError_tPvRmT1_PNSt15iterator_traitsISK_E10value_typeET2_T3_PNSL_ISQ_E10value_typeET4_jRbjT5_SW_jjP12ihipStream_tbEUlT_E1_NS1_11comp_targetILNS1_3genE10ELNS1_11target_archE1201ELNS1_3gpuE5ELNS1_3repE0EEENS1_59segmented_radix_sort_warp_sort_small_config_static_selectorELNS0_4arch9wavefront6targetE0EEEvSK_.has_recursion, 0
	.set _ZN7rocprim17ROCPRIM_400000_NS6detail17trampoline_kernelINS0_14default_configENS1_36segmented_radix_sort_config_selectorIflEEZNS1_25segmented_radix_sort_implIS3_Lb1EPKfPfPKlPlN2at6native12_GLOBAL__N_18offset_tEEE10hipError_tPvRmT1_PNSt15iterator_traitsISK_E10value_typeET2_T3_PNSL_ISQ_E10value_typeET4_jRbjT5_SW_jjP12ihipStream_tbEUlT_E1_NS1_11comp_targetILNS1_3genE10ELNS1_11target_archE1201ELNS1_3gpuE5ELNS1_3repE0EEENS1_59segmented_radix_sort_warp_sort_small_config_static_selectorELNS0_4arch9wavefront6targetE0EEEvSK_.has_indirect_call, 0
	.section	.AMDGPU.csdata,"",@progbits
; Kernel info:
; codeLenInByte = 0
; TotalNumSgprs: 0
; NumVgprs: 0
; ScratchSize: 0
; MemoryBound: 0
; FloatMode: 240
; IeeeMode: 1
; LDSByteSize: 0 bytes/workgroup (compile time only)
; SGPRBlocks: 0
; VGPRBlocks: 0
; NumSGPRsForWavesPerEU: 1
; NumVGPRsForWavesPerEU: 1
; Occupancy: 16
; WaveLimiterHint : 0
; COMPUTE_PGM_RSRC2:SCRATCH_EN: 0
; COMPUTE_PGM_RSRC2:USER_SGPR: 6
; COMPUTE_PGM_RSRC2:TRAP_HANDLER: 0
; COMPUTE_PGM_RSRC2:TGID_X_EN: 1
; COMPUTE_PGM_RSRC2:TGID_Y_EN: 0
; COMPUTE_PGM_RSRC2:TGID_Z_EN: 0
; COMPUTE_PGM_RSRC2:TIDIG_COMP_CNT: 0
	.section	.text._ZN7rocprim17ROCPRIM_400000_NS6detail17trampoline_kernelINS0_14default_configENS1_36segmented_radix_sort_config_selectorIflEEZNS1_25segmented_radix_sort_implIS3_Lb1EPKfPfPKlPlN2at6native12_GLOBAL__N_18offset_tEEE10hipError_tPvRmT1_PNSt15iterator_traitsISK_E10value_typeET2_T3_PNSL_ISQ_E10value_typeET4_jRbjT5_SW_jjP12ihipStream_tbEUlT_E1_NS1_11comp_targetILNS1_3genE10ELNS1_11target_archE1200ELNS1_3gpuE4ELNS1_3repE0EEENS1_59segmented_radix_sort_warp_sort_small_config_static_selectorELNS0_4arch9wavefront6targetE0EEEvSK_,"axG",@progbits,_ZN7rocprim17ROCPRIM_400000_NS6detail17trampoline_kernelINS0_14default_configENS1_36segmented_radix_sort_config_selectorIflEEZNS1_25segmented_radix_sort_implIS3_Lb1EPKfPfPKlPlN2at6native12_GLOBAL__N_18offset_tEEE10hipError_tPvRmT1_PNSt15iterator_traitsISK_E10value_typeET2_T3_PNSL_ISQ_E10value_typeET4_jRbjT5_SW_jjP12ihipStream_tbEUlT_E1_NS1_11comp_targetILNS1_3genE10ELNS1_11target_archE1200ELNS1_3gpuE4ELNS1_3repE0EEENS1_59segmented_radix_sort_warp_sort_small_config_static_selectorELNS0_4arch9wavefront6targetE0EEEvSK_,comdat
	.globl	_ZN7rocprim17ROCPRIM_400000_NS6detail17trampoline_kernelINS0_14default_configENS1_36segmented_radix_sort_config_selectorIflEEZNS1_25segmented_radix_sort_implIS3_Lb1EPKfPfPKlPlN2at6native12_GLOBAL__N_18offset_tEEE10hipError_tPvRmT1_PNSt15iterator_traitsISK_E10value_typeET2_T3_PNSL_ISQ_E10value_typeET4_jRbjT5_SW_jjP12ihipStream_tbEUlT_E1_NS1_11comp_targetILNS1_3genE10ELNS1_11target_archE1200ELNS1_3gpuE4ELNS1_3repE0EEENS1_59segmented_radix_sort_warp_sort_small_config_static_selectorELNS0_4arch9wavefront6targetE0EEEvSK_ ; -- Begin function _ZN7rocprim17ROCPRIM_400000_NS6detail17trampoline_kernelINS0_14default_configENS1_36segmented_radix_sort_config_selectorIflEEZNS1_25segmented_radix_sort_implIS3_Lb1EPKfPfPKlPlN2at6native12_GLOBAL__N_18offset_tEEE10hipError_tPvRmT1_PNSt15iterator_traitsISK_E10value_typeET2_T3_PNSL_ISQ_E10value_typeET4_jRbjT5_SW_jjP12ihipStream_tbEUlT_E1_NS1_11comp_targetILNS1_3genE10ELNS1_11target_archE1200ELNS1_3gpuE4ELNS1_3repE0EEENS1_59segmented_radix_sort_warp_sort_small_config_static_selectorELNS0_4arch9wavefront6targetE0EEEvSK_
	.p2align	8
	.type	_ZN7rocprim17ROCPRIM_400000_NS6detail17trampoline_kernelINS0_14default_configENS1_36segmented_radix_sort_config_selectorIflEEZNS1_25segmented_radix_sort_implIS3_Lb1EPKfPfPKlPlN2at6native12_GLOBAL__N_18offset_tEEE10hipError_tPvRmT1_PNSt15iterator_traitsISK_E10value_typeET2_T3_PNSL_ISQ_E10value_typeET4_jRbjT5_SW_jjP12ihipStream_tbEUlT_E1_NS1_11comp_targetILNS1_3genE10ELNS1_11target_archE1200ELNS1_3gpuE4ELNS1_3repE0EEENS1_59segmented_radix_sort_warp_sort_small_config_static_selectorELNS0_4arch9wavefront6targetE0EEEvSK_,@function
_ZN7rocprim17ROCPRIM_400000_NS6detail17trampoline_kernelINS0_14default_configENS1_36segmented_radix_sort_config_selectorIflEEZNS1_25segmented_radix_sort_implIS3_Lb1EPKfPfPKlPlN2at6native12_GLOBAL__N_18offset_tEEE10hipError_tPvRmT1_PNSt15iterator_traitsISK_E10value_typeET2_T3_PNSL_ISQ_E10value_typeET4_jRbjT5_SW_jjP12ihipStream_tbEUlT_E1_NS1_11comp_targetILNS1_3genE10ELNS1_11target_archE1200ELNS1_3gpuE4ELNS1_3repE0EEENS1_59segmented_radix_sort_warp_sort_small_config_static_selectorELNS0_4arch9wavefront6targetE0EEEvSK_: ; @_ZN7rocprim17ROCPRIM_400000_NS6detail17trampoline_kernelINS0_14default_configENS1_36segmented_radix_sort_config_selectorIflEEZNS1_25segmented_radix_sort_implIS3_Lb1EPKfPfPKlPlN2at6native12_GLOBAL__N_18offset_tEEE10hipError_tPvRmT1_PNSt15iterator_traitsISK_E10value_typeET2_T3_PNSL_ISQ_E10value_typeET4_jRbjT5_SW_jjP12ihipStream_tbEUlT_E1_NS1_11comp_targetILNS1_3genE10ELNS1_11target_archE1200ELNS1_3gpuE4ELNS1_3repE0EEENS1_59segmented_radix_sort_warp_sort_small_config_static_selectorELNS0_4arch9wavefront6targetE0EEEvSK_
; %bb.0:
	.section	.rodata,"a",@progbits
	.p2align	6, 0x0
	.amdhsa_kernel _ZN7rocprim17ROCPRIM_400000_NS6detail17trampoline_kernelINS0_14default_configENS1_36segmented_radix_sort_config_selectorIflEEZNS1_25segmented_radix_sort_implIS3_Lb1EPKfPfPKlPlN2at6native12_GLOBAL__N_18offset_tEEE10hipError_tPvRmT1_PNSt15iterator_traitsISK_E10value_typeET2_T3_PNSL_ISQ_E10value_typeET4_jRbjT5_SW_jjP12ihipStream_tbEUlT_E1_NS1_11comp_targetILNS1_3genE10ELNS1_11target_archE1200ELNS1_3gpuE4ELNS1_3repE0EEENS1_59segmented_radix_sort_warp_sort_small_config_static_selectorELNS0_4arch9wavefront6targetE0EEEvSK_
		.amdhsa_group_segment_fixed_size 0
		.amdhsa_private_segment_fixed_size 0
		.amdhsa_kernarg_size 88
		.amdhsa_user_sgpr_count 6
		.amdhsa_user_sgpr_private_segment_buffer 1
		.amdhsa_user_sgpr_dispatch_ptr 0
		.amdhsa_user_sgpr_queue_ptr 0
		.amdhsa_user_sgpr_kernarg_segment_ptr 1
		.amdhsa_user_sgpr_dispatch_id 0
		.amdhsa_user_sgpr_flat_scratch_init 0
		.amdhsa_user_sgpr_private_segment_size 0
		.amdhsa_wavefront_size32 1
		.amdhsa_uses_dynamic_stack 0
		.amdhsa_system_sgpr_private_segment_wavefront_offset 0
		.amdhsa_system_sgpr_workgroup_id_x 1
		.amdhsa_system_sgpr_workgroup_id_y 0
		.amdhsa_system_sgpr_workgroup_id_z 0
		.amdhsa_system_sgpr_workgroup_info 0
		.amdhsa_system_vgpr_workitem_id 0
		.amdhsa_next_free_vgpr 1
		.amdhsa_next_free_sgpr 1
		.amdhsa_reserve_vcc 0
		.amdhsa_reserve_flat_scratch 0
		.amdhsa_float_round_mode_32 0
		.amdhsa_float_round_mode_16_64 0
		.amdhsa_float_denorm_mode_32 3
		.amdhsa_float_denorm_mode_16_64 3
		.amdhsa_dx10_clamp 1
		.amdhsa_ieee_mode 1
		.amdhsa_fp16_overflow 0
		.amdhsa_workgroup_processor_mode 1
		.amdhsa_memory_ordered 1
		.amdhsa_forward_progress 1
		.amdhsa_shared_vgpr_count 0
		.amdhsa_exception_fp_ieee_invalid_op 0
		.amdhsa_exception_fp_denorm_src 0
		.amdhsa_exception_fp_ieee_div_zero 0
		.amdhsa_exception_fp_ieee_overflow 0
		.amdhsa_exception_fp_ieee_underflow 0
		.amdhsa_exception_fp_ieee_inexact 0
		.amdhsa_exception_int_div_zero 0
	.end_amdhsa_kernel
	.section	.text._ZN7rocprim17ROCPRIM_400000_NS6detail17trampoline_kernelINS0_14default_configENS1_36segmented_radix_sort_config_selectorIflEEZNS1_25segmented_radix_sort_implIS3_Lb1EPKfPfPKlPlN2at6native12_GLOBAL__N_18offset_tEEE10hipError_tPvRmT1_PNSt15iterator_traitsISK_E10value_typeET2_T3_PNSL_ISQ_E10value_typeET4_jRbjT5_SW_jjP12ihipStream_tbEUlT_E1_NS1_11comp_targetILNS1_3genE10ELNS1_11target_archE1200ELNS1_3gpuE4ELNS1_3repE0EEENS1_59segmented_radix_sort_warp_sort_small_config_static_selectorELNS0_4arch9wavefront6targetE0EEEvSK_,"axG",@progbits,_ZN7rocprim17ROCPRIM_400000_NS6detail17trampoline_kernelINS0_14default_configENS1_36segmented_radix_sort_config_selectorIflEEZNS1_25segmented_radix_sort_implIS3_Lb1EPKfPfPKlPlN2at6native12_GLOBAL__N_18offset_tEEE10hipError_tPvRmT1_PNSt15iterator_traitsISK_E10value_typeET2_T3_PNSL_ISQ_E10value_typeET4_jRbjT5_SW_jjP12ihipStream_tbEUlT_E1_NS1_11comp_targetILNS1_3genE10ELNS1_11target_archE1200ELNS1_3gpuE4ELNS1_3repE0EEENS1_59segmented_radix_sort_warp_sort_small_config_static_selectorELNS0_4arch9wavefront6targetE0EEEvSK_,comdat
.Lfunc_end1343:
	.size	_ZN7rocprim17ROCPRIM_400000_NS6detail17trampoline_kernelINS0_14default_configENS1_36segmented_radix_sort_config_selectorIflEEZNS1_25segmented_radix_sort_implIS3_Lb1EPKfPfPKlPlN2at6native12_GLOBAL__N_18offset_tEEE10hipError_tPvRmT1_PNSt15iterator_traitsISK_E10value_typeET2_T3_PNSL_ISQ_E10value_typeET4_jRbjT5_SW_jjP12ihipStream_tbEUlT_E1_NS1_11comp_targetILNS1_3genE10ELNS1_11target_archE1200ELNS1_3gpuE4ELNS1_3repE0EEENS1_59segmented_radix_sort_warp_sort_small_config_static_selectorELNS0_4arch9wavefront6targetE0EEEvSK_, .Lfunc_end1343-_ZN7rocprim17ROCPRIM_400000_NS6detail17trampoline_kernelINS0_14default_configENS1_36segmented_radix_sort_config_selectorIflEEZNS1_25segmented_radix_sort_implIS3_Lb1EPKfPfPKlPlN2at6native12_GLOBAL__N_18offset_tEEE10hipError_tPvRmT1_PNSt15iterator_traitsISK_E10value_typeET2_T3_PNSL_ISQ_E10value_typeET4_jRbjT5_SW_jjP12ihipStream_tbEUlT_E1_NS1_11comp_targetILNS1_3genE10ELNS1_11target_archE1200ELNS1_3gpuE4ELNS1_3repE0EEENS1_59segmented_radix_sort_warp_sort_small_config_static_selectorELNS0_4arch9wavefront6targetE0EEEvSK_
                                        ; -- End function
	.set _ZN7rocprim17ROCPRIM_400000_NS6detail17trampoline_kernelINS0_14default_configENS1_36segmented_radix_sort_config_selectorIflEEZNS1_25segmented_radix_sort_implIS3_Lb1EPKfPfPKlPlN2at6native12_GLOBAL__N_18offset_tEEE10hipError_tPvRmT1_PNSt15iterator_traitsISK_E10value_typeET2_T3_PNSL_ISQ_E10value_typeET4_jRbjT5_SW_jjP12ihipStream_tbEUlT_E1_NS1_11comp_targetILNS1_3genE10ELNS1_11target_archE1200ELNS1_3gpuE4ELNS1_3repE0EEENS1_59segmented_radix_sort_warp_sort_small_config_static_selectorELNS0_4arch9wavefront6targetE0EEEvSK_.num_vgpr, 0
	.set _ZN7rocprim17ROCPRIM_400000_NS6detail17trampoline_kernelINS0_14default_configENS1_36segmented_radix_sort_config_selectorIflEEZNS1_25segmented_radix_sort_implIS3_Lb1EPKfPfPKlPlN2at6native12_GLOBAL__N_18offset_tEEE10hipError_tPvRmT1_PNSt15iterator_traitsISK_E10value_typeET2_T3_PNSL_ISQ_E10value_typeET4_jRbjT5_SW_jjP12ihipStream_tbEUlT_E1_NS1_11comp_targetILNS1_3genE10ELNS1_11target_archE1200ELNS1_3gpuE4ELNS1_3repE0EEENS1_59segmented_radix_sort_warp_sort_small_config_static_selectorELNS0_4arch9wavefront6targetE0EEEvSK_.num_agpr, 0
	.set _ZN7rocprim17ROCPRIM_400000_NS6detail17trampoline_kernelINS0_14default_configENS1_36segmented_radix_sort_config_selectorIflEEZNS1_25segmented_radix_sort_implIS3_Lb1EPKfPfPKlPlN2at6native12_GLOBAL__N_18offset_tEEE10hipError_tPvRmT1_PNSt15iterator_traitsISK_E10value_typeET2_T3_PNSL_ISQ_E10value_typeET4_jRbjT5_SW_jjP12ihipStream_tbEUlT_E1_NS1_11comp_targetILNS1_3genE10ELNS1_11target_archE1200ELNS1_3gpuE4ELNS1_3repE0EEENS1_59segmented_radix_sort_warp_sort_small_config_static_selectorELNS0_4arch9wavefront6targetE0EEEvSK_.numbered_sgpr, 0
	.set _ZN7rocprim17ROCPRIM_400000_NS6detail17trampoline_kernelINS0_14default_configENS1_36segmented_radix_sort_config_selectorIflEEZNS1_25segmented_radix_sort_implIS3_Lb1EPKfPfPKlPlN2at6native12_GLOBAL__N_18offset_tEEE10hipError_tPvRmT1_PNSt15iterator_traitsISK_E10value_typeET2_T3_PNSL_ISQ_E10value_typeET4_jRbjT5_SW_jjP12ihipStream_tbEUlT_E1_NS1_11comp_targetILNS1_3genE10ELNS1_11target_archE1200ELNS1_3gpuE4ELNS1_3repE0EEENS1_59segmented_radix_sort_warp_sort_small_config_static_selectorELNS0_4arch9wavefront6targetE0EEEvSK_.num_named_barrier, 0
	.set _ZN7rocprim17ROCPRIM_400000_NS6detail17trampoline_kernelINS0_14default_configENS1_36segmented_radix_sort_config_selectorIflEEZNS1_25segmented_radix_sort_implIS3_Lb1EPKfPfPKlPlN2at6native12_GLOBAL__N_18offset_tEEE10hipError_tPvRmT1_PNSt15iterator_traitsISK_E10value_typeET2_T3_PNSL_ISQ_E10value_typeET4_jRbjT5_SW_jjP12ihipStream_tbEUlT_E1_NS1_11comp_targetILNS1_3genE10ELNS1_11target_archE1200ELNS1_3gpuE4ELNS1_3repE0EEENS1_59segmented_radix_sort_warp_sort_small_config_static_selectorELNS0_4arch9wavefront6targetE0EEEvSK_.private_seg_size, 0
	.set _ZN7rocprim17ROCPRIM_400000_NS6detail17trampoline_kernelINS0_14default_configENS1_36segmented_radix_sort_config_selectorIflEEZNS1_25segmented_radix_sort_implIS3_Lb1EPKfPfPKlPlN2at6native12_GLOBAL__N_18offset_tEEE10hipError_tPvRmT1_PNSt15iterator_traitsISK_E10value_typeET2_T3_PNSL_ISQ_E10value_typeET4_jRbjT5_SW_jjP12ihipStream_tbEUlT_E1_NS1_11comp_targetILNS1_3genE10ELNS1_11target_archE1200ELNS1_3gpuE4ELNS1_3repE0EEENS1_59segmented_radix_sort_warp_sort_small_config_static_selectorELNS0_4arch9wavefront6targetE0EEEvSK_.uses_vcc, 0
	.set _ZN7rocprim17ROCPRIM_400000_NS6detail17trampoline_kernelINS0_14default_configENS1_36segmented_radix_sort_config_selectorIflEEZNS1_25segmented_radix_sort_implIS3_Lb1EPKfPfPKlPlN2at6native12_GLOBAL__N_18offset_tEEE10hipError_tPvRmT1_PNSt15iterator_traitsISK_E10value_typeET2_T3_PNSL_ISQ_E10value_typeET4_jRbjT5_SW_jjP12ihipStream_tbEUlT_E1_NS1_11comp_targetILNS1_3genE10ELNS1_11target_archE1200ELNS1_3gpuE4ELNS1_3repE0EEENS1_59segmented_radix_sort_warp_sort_small_config_static_selectorELNS0_4arch9wavefront6targetE0EEEvSK_.uses_flat_scratch, 0
	.set _ZN7rocprim17ROCPRIM_400000_NS6detail17trampoline_kernelINS0_14default_configENS1_36segmented_radix_sort_config_selectorIflEEZNS1_25segmented_radix_sort_implIS3_Lb1EPKfPfPKlPlN2at6native12_GLOBAL__N_18offset_tEEE10hipError_tPvRmT1_PNSt15iterator_traitsISK_E10value_typeET2_T3_PNSL_ISQ_E10value_typeET4_jRbjT5_SW_jjP12ihipStream_tbEUlT_E1_NS1_11comp_targetILNS1_3genE10ELNS1_11target_archE1200ELNS1_3gpuE4ELNS1_3repE0EEENS1_59segmented_radix_sort_warp_sort_small_config_static_selectorELNS0_4arch9wavefront6targetE0EEEvSK_.has_dyn_sized_stack, 0
	.set _ZN7rocprim17ROCPRIM_400000_NS6detail17trampoline_kernelINS0_14default_configENS1_36segmented_radix_sort_config_selectorIflEEZNS1_25segmented_radix_sort_implIS3_Lb1EPKfPfPKlPlN2at6native12_GLOBAL__N_18offset_tEEE10hipError_tPvRmT1_PNSt15iterator_traitsISK_E10value_typeET2_T3_PNSL_ISQ_E10value_typeET4_jRbjT5_SW_jjP12ihipStream_tbEUlT_E1_NS1_11comp_targetILNS1_3genE10ELNS1_11target_archE1200ELNS1_3gpuE4ELNS1_3repE0EEENS1_59segmented_radix_sort_warp_sort_small_config_static_selectorELNS0_4arch9wavefront6targetE0EEEvSK_.has_recursion, 0
	.set _ZN7rocprim17ROCPRIM_400000_NS6detail17trampoline_kernelINS0_14default_configENS1_36segmented_radix_sort_config_selectorIflEEZNS1_25segmented_radix_sort_implIS3_Lb1EPKfPfPKlPlN2at6native12_GLOBAL__N_18offset_tEEE10hipError_tPvRmT1_PNSt15iterator_traitsISK_E10value_typeET2_T3_PNSL_ISQ_E10value_typeET4_jRbjT5_SW_jjP12ihipStream_tbEUlT_E1_NS1_11comp_targetILNS1_3genE10ELNS1_11target_archE1200ELNS1_3gpuE4ELNS1_3repE0EEENS1_59segmented_radix_sort_warp_sort_small_config_static_selectorELNS0_4arch9wavefront6targetE0EEEvSK_.has_indirect_call, 0
	.section	.AMDGPU.csdata,"",@progbits
; Kernel info:
; codeLenInByte = 0
; TotalNumSgprs: 0
; NumVgprs: 0
; ScratchSize: 0
; MemoryBound: 0
; FloatMode: 240
; IeeeMode: 1
; LDSByteSize: 0 bytes/workgroup (compile time only)
; SGPRBlocks: 0
; VGPRBlocks: 0
; NumSGPRsForWavesPerEU: 1
; NumVGPRsForWavesPerEU: 1
; Occupancy: 16
; WaveLimiterHint : 0
; COMPUTE_PGM_RSRC2:SCRATCH_EN: 0
; COMPUTE_PGM_RSRC2:USER_SGPR: 6
; COMPUTE_PGM_RSRC2:TRAP_HANDLER: 0
; COMPUTE_PGM_RSRC2:TGID_X_EN: 1
; COMPUTE_PGM_RSRC2:TGID_Y_EN: 0
; COMPUTE_PGM_RSRC2:TGID_Z_EN: 0
; COMPUTE_PGM_RSRC2:TIDIG_COMP_CNT: 0
	.section	.text._ZN7rocprim17ROCPRIM_400000_NS6detail17trampoline_kernelINS0_14default_configENS1_36segmented_radix_sort_config_selectorIflEEZNS1_25segmented_radix_sort_implIS3_Lb1EPKfPfPKlPlN2at6native12_GLOBAL__N_18offset_tEEE10hipError_tPvRmT1_PNSt15iterator_traitsISK_E10value_typeET2_T3_PNSL_ISQ_E10value_typeET4_jRbjT5_SW_jjP12ihipStream_tbEUlT_E1_NS1_11comp_targetILNS1_3genE9ELNS1_11target_archE1100ELNS1_3gpuE3ELNS1_3repE0EEENS1_59segmented_radix_sort_warp_sort_small_config_static_selectorELNS0_4arch9wavefront6targetE0EEEvSK_,"axG",@progbits,_ZN7rocprim17ROCPRIM_400000_NS6detail17trampoline_kernelINS0_14default_configENS1_36segmented_radix_sort_config_selectorIflEEZNS1_25segmented_radix_sort_implIS3_Lb1EPKfPfPKlPlN2at6native12_GLOBAL__N_18offset_tEEE10hipError_tPvRmT1_PNSt15iterator_traitsISK_E10value_typeET2_T3_PNSL_ISQ_E10value_typeET4_jRbjT5_SW_jjP12ihipStream_tbEUlT_E1_NS1_11comp_targetILNS1_3genE9ELNS1_11target_archE1100ELNS1_3gpuE3ELNS1_3repE0EEENS1_59segmented_radix_sort_warp_sort_small_config_static_selectorELNS0_4arch9wavefront6targetE0EEEvSK_,comdat
	.globl	_ZN7rocprim17ROCPRIM_400000_NS6detail17trampoline_kernelINS0_14default_configENS1_36segmented_radix_sort_config_selectorIflEEZNS1_25segmented_radix_sort_implIS3_Lb1EPKfPfPKlPlN2at6native12_GLOBAL__N_18offset_tEEE10hipError_tPvRmT1_PNSt15iterator_traitsISK_E10value_typeET2_T3_PNSL_ISQ_E10value_typeET4_jRbjT5_SW_jjP12ihipStream_tbEUlT_E1_NS1_11comp_targetILNS1_3genE9ELNS1_11target_archE1100ELNS1_3gpuE3ELNS1_3repE0EEENS1_59segmented_radix_sort_warp_sort_small_config_static_selectorELNS0_4arch9wavefront6targetE0EEEvSK_ ; -- Begin function _ZN7rocprim17ROCPRIM_400000_NS6detail17trampoline_kernelINS0_14default_configENS1_36segmented_radix_sort_config_selectorIflEEZNS1_25segmented_radix_sort_implIS3_Lb1EPKfPfPKlPlN2at6native12_GLOBAL__N_18offset_tEEE10hipError_tPvRmT1_PNSt15iterator_traitsISK_E10value_typeET2_T3_PNSL_ISQ_E10value_typeET4_jRbjT5_SW_jjP12ihipStream_tbEUlT_E1_NS1_11comp_targetILNS1_3genE9ELNS1_11target_archE1100ELNS1_3gpuE3ELNS1_3repE0EEENS1_59segmented_radix_sort_warp_sort_small_config_static_selectorELNS0_4arch9wavefront6targetE0EEEvSK_
	.p2align	8
	.type	_ZN7rocprim17ROCPRIM_400000_NS6detail17trampoline_kernelINS0_14default_configENS1_36segmented_radix_sort_config_selectorIflEEZNS1_25segmented_radix_sort_implIS3_Lb1EPKfPfPKlPlN2at6native12_GLOBAL__N_18offset_tEEE10hipError_tPvRmT1_PNSt15iterator_traitsISK_E10value_typeET2_T3_PNSL_ISQ_E10value_typeET4_jRbjT5_SW_jjP12ihipStream_tbEUlT_E1_NS1_11comp_targetILNS1_3genE9ELNS1_11target_archE1100ELNS1_3gpuE3ELNS1_3repE0EEENS1_59segmented_radix_sort_warp_sort_small_config_static_selectorELNS0_4arch9wavefront6targetE0EEEvSK_,@function
_ZN7rocprim17ROCPRIM_400000_NS6detail17trampoline_kernelINS0_14default_configENS1_36segmented_radix_sort_config_selectorIflEEZNS1_25segmented_radix_sort_implIS3_Lb1EPKfPfPKlPlN2at6native12_GLOBAL__N_18offset_tEEE10hipError_tPvRmT1_PNSt15iterator_traitsISK_E10value_typeET2_T3_PNSL_ISQ_E10value_typeET4_jRbjT5_SW_jjP12ihipStream_tbEUlT_E1_NS1_11comp_targetILNS1_3genE9ELNS1_11target_archE1100ELNS1_3gpuE3ELNS1_3repE0EEENS1_59segmented_radix_sort_warp_sort_small_config_static_selectorELNS0_4arch9wavefront6targetE0EEEvSK_: ; @_ZN7rocprim17ROCPRIM_400000_NS6detail17trampoline_kernelINS0_14default_configENS1_36segmented_radix_sort_config_selectorIflEEZNS1_25segmented_radix_sort_implIS3_Lb1EPKfPfPKlPlN2at6native12_GLOBAL__N_18offset_tEEE10hipError_tPvRmT1_PNSt15iterator_traitsISK_E10value_typeET2_T3_PNSL_ISQ_E10value_typeET4_jRbjT5_SW_jjP12ihipStream_tbEUlT_E1_NS1_11comp_targetILNS1_3genE9ELNS1_11target_archE1100ELNS1_3gpuE3ELNS1_3repE0EEENS1_59segmented_radix_sort_warp_sort_small_config_static_selectorELNS0_4arch9wavefront6targetE0EEEvSK_
; %bb.0:
	.section	.rodata,"a",@progbits
	.p2align	6, 0x0
	.amdhsa_kernel _ZN7rocprim17ROCPRIM_400000_NS6detail17trampoline_kernelINS0_14default_configENS1_36segmented_radix_sort_config_selectorIflEEZNS1_25segmented_radix_sort_implIS3_Lb1EPKfPfPKlPlN2at6native12_GLOBAL__N_18offset_tEEE10hipError_tPvRmT1_PNSt15iterator_traitsISK_E10value_typeET2_T3_PNSL_ISQ_E10value_typeET4_jRbjT5_SW_jjP12ihipStream_tbEUlT_E1_NS1_11comp_targetILNS1_3genE9ELNS1_11target_archE1100ELNS1_3gpuE3ELNS1_3repE0EEENS1_59segmented_radix_sort_warp_sort_small_config_static_selectorELNS0_4arch9wavefront6targetE0EEEvSK_
		.amdhsa_group_segment_fixed_size 0
		.amdhsa_private_segment_fixed_size 0
		.amdhsa_kernarg_size 88
		.amdhsa_user_sgpr_count 6
		.amdhsa_user_sgpr_private_segment_buffer 1
		.amdhsa_user_sgpr_dispatch_ptr 0
		.amdhsa_user_sgpr_queue_ptr 0
		.amdhsa_user_sgpr_kernarg_segment_ptr 1
		.amdhsa_user_sgpr_dispatch_id 0
		.amdhsa_user_sgpr_flat_scratch_init 0
		.amdhsa_user_sgpr_private_segment_size 0
		.amdhsa_wavefront_size32 1
		.amdhsa_uses_dynamic_stack 0
		.amdhsa_system_sgpr_private_segment_wavefront_offset 0
		.amdhsa_system_sgpr_workgroup_id_x 1
		.amdhsa_system_sgpr_workgroup_id_y 0
		.amdhsa_system_sgpr_workgroup_id_z 0
		.amdhsa_system_sgpr_workgroup_info 0
		.amdhsa_system_vgpr_workitem_id 0
		.amdhsa_next_free_vgpr 1
		.amdhsa_next_free_sgpr 1
		.amdhsa_reserve_vcc 0
		.amdhsa_reserve_flat_scratch 0
		.amdhsa_float_round_mode_32 0
		.amdhsa_float_round_mode_16_64 0
		.amdhsa_float_denorm_mode_32 3
		.amdhsa_float_denorm_mode_16_64 3
		.amdhsa_dx10_clamp 1
		.amdhsa_ieee_mode 1
		.amdhsa_fp16_overflow 0
		.amdhsa_workgroup_processor_mode 1
		.amdhsa_memory_ordered 1
		.amdhsa_forward_progress 1
		.amdhsa_shared_vgpr_count 0
		.amdhsa_exception_fp_ieee_invalid_op 0
		.amdhsa_exception_fp_denorm_src 0
		.amdhsa_exception_fp_ieee_div_zero 0
		.amdhsa_exception_fp_ieee_overflow 0
		.amdhsa_exception_fp_ieee_underflow 0
		.amdhsa_exception_fp_ieee_inexact 0
		.amdhsa_exception_int_div_zero 0
	.end_amdhsa_kernel
	.section	.text._ZN7rocprim17ROCPRIM_400000_NS6detail17trampoline_kernelINS0_14default_configENS1_36segmented_radix_sort_config_selectorIflEEZNS1_25segmented_radix_sort_implIS3_Lb1EPKfPfPKlPlN2at6native12_GLOBAL__N_18offset_tEEE10hipError_tPvRmT1_PNSt15iterator_traitsISK_E10value_typeET2_T3_PNSL_ISQ_E10value_typeET4_jRbjT5_SW_jjP12ihipStream_tbEUlT_E1_NS1_11comp_targetILNS1_3genE9ELNS1_11target_archE1100ELNS1_3gpuE3ELNS1_3repE0EEENS1_59segmented_radix_sort_warp_sort_small_config_static_selectorELNS0_4arch9wavefront6targetE0EEEvSK_,"axG",@progbits,_ZN7rocprim17ROCPRIM_400000_NS6detail17trampoline_kernelINS0_14default_configENS1_36segmented_radix_sort_config_selectorIflEEZNS1_25segmented_radix_sort_implIS3_Lb1EPKfPfPKlPlN2at6native12_GLOBAL__N_18offset_tEEE10hipError_tPvRmT1_PNSt15iterator_traitsISK_E10value_typeET2_T3_PNSL_ISQ_E10value_typeET4_jRbjT5_SW_jjP12ihipStream_tbEUlT_E1_NS1_11comp_targetILNS1_3genE9ELNS1_11target_archE1100ELNS1_3gpuE3ELNS1_3repE0EEENS1_59segmented_radix_sort_warp_sort_small_config_static_selectorELNS0_4arch9wavefront6targetE0EEEvSK_,comdat
.Lfunc_end1344:
	.size	_ZN7rocprim17ROCPRIM_400000_NS6detail17trampoline_kernelINS0_14default_configENS1_36segmented_radix_sort_config_selectorIflEEZNS1_25segmented_radix_sort_implIS3_Lb1EPKfPfPKlPlN2at6native12_GLOBAL__N_18offset_tEEE10hipError_tPvRmT1_PNSt15iterator_traitsISK_E10value_typeET2_T3_PNSL_ISQ_E10value_typeET4_jRbjT5_SW_jjP12ihipStream_tbEUlT_E1_NS1_11comp_targetILNS1_3genE9ELNS1_11target_archE1100ELNS1_3gpuE3ELNS1_3repE0EEENS1_59segmented_radix_sort_warp_sort_small_config_static_selectorELNS0_4arch9wavefront6targetE0EEEvSK_, .Lfunc_end1344-_ZN7rocprim17ROCPRIM_400000_NS6detail17trampoline_kernelINS0_14default_configENS1_36segmented_radix_sort_config_selectorIflEEZNS1_25segmented_radix_sort_implIS3_Lb1EPKfPfPKlPlN2at6native12_GLOBAL__N_18offset_tEEE10hipError_tPvRmT1_PNSt15iterator_traitsISK_E10value_typeET2_T3_PNSL_ISQ_E10value_typeET4_jRbjT5_SW_jjP12ihipStream_tbEUlT_E1_NS1_11comp_targetILNS1_3genE9ELNS1_11target_archE1100ELNS1_3gpuE3ELNS1_3repE0EEENS1_59segmented_radix_sort_warp_sort_small_config_static_selectorELNS0_4arch9wavefront6targetE0EEEvSK_
                                        ; -- End function
	.set _ZN7rocprim17ROCPRIM_400000_NS6detail17trampoline_kernelINS0_14default_configENS1_36segmented_radix_sort_config_selectorIflEEZNS1_25segmented_radix_sort_implIS3_Lb1EPKfPfPKlPlN2at6native12_GLOBAL__N_18offset_tEEE10hipError_tPvRmT1_PNSt15iterator_traitsISK_E10value_typeET2_T3_PNSL_ISQ_E10value_typeET4_jRbjT5_SW_jjP12ihipStream_tbEUlT_E1_NS1_11comp_targetILNS1_3genE9ELNS1_11target_archE1100ELNS1_3gpuE3ELNS1_3repE0EEENS1_59segmented_radix_sort_warp_sort_small_config_static_selectorELNS0_4arch9wavefront6targetE0EEEvSK_.num_vgpr, 0
	.set _ZN7rocprim17ROCPRIM_400000_NS6detail17trampoline_kernelINS0_14default_configENS1_36segmented_radix_sort_config_selectorIflEEZNS1_25segmented_radix_sort_implIS3_Lb1EPKfPfPKlPlN2at6native12_GLOBAL__N_18offset_tEEE10hipError_tPvRmT1_PNSt15iterator_traitsISK_E10value_typeET2_T3_PNSL_ISQ_E10value_typeET4_jRbjT5_SW_jjP12ihipStream_tbEUlT_E1_NS1_11comp_targetILNS1_3genE9ELNS1_11target_archE1100ELNS1_3gpuE3ELNS1_3repE0EEENS1_59segmented_radix_sort_warp_sort_small_config_static_selectorELNS0_4arch9wavefront6targetE0EEEvSK_.num_agpr, 0
	.set _ZN7rocprim17ROCPRIM_400000_NS6detail17trampoline_kernelINS0_14default_configENS1_36segmented_radix_sort_config_selectorIflEEZNS1_25segmented_radix_sort_implIS3_Lb1EPKfPfPKlPlN2at6native12_GLOBAL__N_18offset_tEEE10hipError_tPvRmT1_PNSt15iterator_traitsISK_E10value_typeET2_T3_PNSL_ISQ_E10value_typeET4_jRbjT5_SW_jjP12ihipStream_tbEUlT_E1_NS1_11comp_targetILNS1_3genE9ELNS1_11target_archE1100ELNS1_3gpuE3ELNS1_3repE0EEENS1_59segmented_radix_sort_warp_sort_small_config_static_selectorELNS0_4arch9wavefront6targetE0EEEvSK_.numbered_sgpr, 0
	.set _ZN7rocprim17ROCPRIM_400000_NS6detail17trampoline_kernelINS0_14default_configENS1_36segmented_radix_sort_config_selectorIflEEZNS1_25segmented_radix_sort_implIS3_Lb1EPKfPfPKlPlN2at6native12_GLOBAL__N_18offset_tEEE10hipError_tPvRmT1_PNSt15iterator_traitsISK_E10value_typeET2_T3_PNSL_ISQ_E10value_typeET4_jRbjT5_SW_jjP12ihipStream_tbEUlT_E1_NS1_11comp_targetILNS1_3genE9ELNS1_11target_archE1100ELNS1_3gpuE3ELNS1_3repE0EEENS1_59segmented_radix_sort_warp_sort_small_config_static_selectorELNS0_4arch9wavefront6targetE0EEEvSK_.num_named_barrier, 0
	.set _ZN7rocprim17ROCPRIM_400000_NS6detail17trampoline_kernelINS0_14default_configENS1_36segmented_radix_sort_config_selectorIflEEZNS1_25segmented_radix_sort_implIS3_Lb1EPKfPfPKlPlN2at6native12_GLOBAL__N_18offset_tEEE10hipError_tPvRmT1_PNSt15iterator_traitsISK_E10value_typeET2_T3_PNSL_ISQ_E10value_typeET4_jRbjT5_SW_jjP12ihipStream_tbEUlT_E1_NS1_11comp_targetILNS1_3genE9ELNS1_11target_archE1100ELNS1_3gpuE3ELNS1_3repE0EEENS1_59segmented_radix_sort_warp_sort_small_config_static_selectorELNS0_4arch9wavefront6targetE0EEEvSK_.private_seg_size, 0
	.set _ZN7rocprim17ROCPRIM_400000_NS6detail17trampoline_kernelINS0_14default_configENS1_36segmented_radix_sort_config_selectorIflEEZNS1_25segmented_radix_sort_implIS3_Lb1EPKfPfPKlPlN2at6native12_GLOBAL__N_18offset_tEEE10hipError_tPvRmT1_PNSt15iterator_traitsISK_E10value_typeET2_T3_PNSL_ISQ_E10value_typeET4_jRbjT5_SW_jjP12ihipStream_tbEUlT_E1_NS1_11comp_targetILNS1_3genE9ELNS1_11target_archE1100ELNS1_3gpuE3ELNS1_3repE0EEENS1_59segmented_radix_sort_warp_sort_small_config_static_selectorELNS0_4arch9wavefront6targetE0EEEvSK_.uses_vcc, 0
	.set _ZN7rocprim17ROCPRIM_400000_NS6detail17trampoline_kernelINS0_14default_configENS1_36segmented_radix_sort_config_selectorIflEEZNS1_25segmented_radix_sort_implIS3_Lb1EPKfPfPKlPlN2at6native12_GLOBAL__N_18offset_tEEE10hipError_tPvRmT1_PNSt15iterator_traitsISK_E10value_typeET2_T3_PNSL_ISQ_E10value_typeET4_jRbjT5_SW_jjP12ihipStream_tbEUlT_E1_NS1_11comp_targetILNS1_3genE9ELNS1_11target_archE1100ELNS1_3gpuE3ELNS1_3repE0EEENS1_59segmented_radix_sort_warp_sort_small_config_static_selectorELNS0_4arch9wavefront6targetE0EEEvSK_.uses_flat_scratch, 0
	.set _ZN7rocprim17ROCPRIM_400000_NS6detail17trampoline_kernelINS0_14default_configENS1_36segmented_radix_sort_config_selectorIflEEZNS1_25segmented_radix_sort_implIS3_Lb1EPKfPfPKlPlN2at6native12_GLOBAL__N_18offset_tEEE10hipError_tPvRmT1_PNSt15iterator_traitsISK_E10value_typeET2_T3_PNSL_ISQ_E10value_typeET4_jRbjT5_SW_jjP12ihipStream_tbEUlT_E1_NS1_11comp_targetILNS1_3genE9ELNS1_11target_archE1100ELNS1_3gpuE3ELNS1_3repE0EEENS1_59segmented_radix_sort_warp_sort_small_config_static_selectorELNS0_4arch9wavefront6targetE0EEEvSK_.has_dyn_sized_stack, 0
	.set _ZN7rocprim17ROCPRIM_400000_NS6detail17trampoline_kernelINS0_14default_configENS1_36segmented_radix_sort_config_selectorIflEEZNS1_25segmented_radix_sort_implIS3_Lb1EPKfPfPKlPlN2at6native12_GLOBAL__N_18offset_tEEE10hipError_tPvRmT1_PNSt15iterator_traitsISK_E10value_typeET2_T3_PNSL_ISQ_E10value_typeET4_jRbjT5_SW_jjP12ihipStream_tbEUlT_E1_NS1_11comp_targetILNS1_3genE9ELNS1_11target_archE1100ELNS1_3gpuE3ELNS1_3repE0EEENS1_59segmented_radix_sort_warp_sort_small_config_static_selectorELNS0_4arch9wavefront6targetE0EEEvSK_.has_recursion, 0
	.set _ZN7rocprim17ROCPRIM_400000_NS6detail17trampoline_kernelINS0_14default_configENS1_36segmented_radix_sort_config_selectorIflEEZNS1_25segmented_radix_sort_implIS3_Lb1EPKfPfPKlPlN2at6native12_GLOBAL__N_18offset_tEEE10hipError_tPvRmT1_PNSt15iterator_traitsISK_E10value_typeET2_T3_PNSL_ISQ_E10value_typeET4_jRbjT5_SW_jjP12ihipStream_tbEUlT_E1_NS1_11comp_targetILNS1_3genE9ELNS1_11target_archE1100ELNS1_3gpuE3ELNS1_3repE0EEENS1_59segmented_radix_sort_warp_sort_small_config_static_selectorELNS0_4arch9wavefront6targetE0EEEvSK_.has_indirect_call, 0
	.section	.AMDGPU.csdata,"",@progbits
; Kernel info:
; codeLenInByte = 0
; TotalNumSgprs: 0
; NumVgprs: 0
; ScratchSize: 0
; MemoryBound: 0
; FloatMode: 240
; IeeeMode: 1
; LDSByteSize: 0 bytes/workgroup (compile time only)
; SGPRBlocks: 0
; VGPRBlocks: 0
; NumSGPRsForWavesPerEU: 1
; NumVGPRsForWavesPerEU: 1
; Occupancy: 16
; WaveLimiterHint : 0
; COMPUTE_PGM_RSRC2:SCRATCH_EN: 0
; COMPUTE_PGM_RSRC2:USER_SGPR: 6
; COMPUTE_PGM_RSRC2:TRAP_HANDLER: 0
; COMPUTE_PGM_RSRC2:TGID_X_EN: 1
; COMPUTE_PGM_RSRC2:TGID_Y_EN: 0
; COMPUTE_PGM_RSRC2:TGID_Z_EN: 0
; COMPUTE_PGM_RSRC2:TIDIG_COMP_CNT: 0
	.text
	.p2align	2                               ; -- Begin function _ZN7rocprim17ROCPRIM_400000_NS6detail26segmented_warp_sort_helperINS1_20WarpSortHelperConfigILj8ELj8ELj256EEEflLi256ELb1EvE4sortIPKfPfPKlPlEEvT_T0_T1_T2_jjjjRNS5_12storage_typeE
	.type	_ZN7rocprim17ROCPRIM_400000_NS6detail26segmented_warp_sort_helperINS1_20WarpSortHelperConfigILj8ELj8ELj256EEEflLi256ELb1EvE4sortIPKfPfPKlPlEEvT_T0_T1_T2_jjjjRNS5_12storage_typeE,@function
_ZN7rocprim17ROCPRIM_400000_NS6detail26segmented_warp_sort_helperINS1_20WarpSortHelperConfigILj8ELj8ELj256EEEflLi256ELb1EvE4sortIPKfPfPKlPlEEvT_T0_T1_T2_jjjjRNS5_12storage_typeE: ; @_ZN7rocprim17ROCPRIM_400000_NS6detail26segmented_warp_sort_helperINS1_20WarpSortHelperConfigILj8ELj8ELj256EEEflLi256ELb1EvE4sortIPKfPfPKlPlEEvT_T0_T1_T2_jjjjRNS5_12storage_typeE
; %bb.0:
	s_waitcnt vmcnt(0) expcnt(0) lgkmcnt(0)
	v_mov_b32_e32 v11, v9
	v_mbcnt_lo_u32_b32 v9, -1, 0
	v_mov_b32_e32 v66, -1
	v_mov_b32_e32 v37, -1
	v_sub_nc_u32_e32 v11, v11, v8
	v_lshlrev_b32_e32 v36, 3, v9
	v_mov_b32_e32 v9, 0
	v_and_b32_e32 v35, 56, v36
	v_lshlrev_b64 v[12:13], 2, v[8:9]
	v_lshlrev_b32_e32 v34, 2, v35
	v_add_co_u32 v0, vcc_lo, v0, v12
	v_add_co_ci_u32_e64 v1, null, v1, v13, vcc_lo
	v_add_co_u32 v0, vcc_lo, v0, v34
	v_add_co_ci_u32_e64 v1, null, 0, v1, vcc_lo
	v_cmp_lt_u32_e32 vcc_lo, v35, v11
	s_and_saveexec_b32 s4, vcc_lo
	s_cbranch_execz .LBB1345_2
; %bb.1:
	flat_load_dword v37, v[0:1]
.LBB1345_2:
	s_or_b32 exec_lo, exec_lo, s4
	v_or_b32_e32 v14, 1, v35
	v_cmp_lt_u32_e64 s4, v14, v11
	s_and_saveexec_b32 s5, s4
	s_cbranch_execz .LBB1345_4
; %bb.3:
	flat_load_dword v66, v[0:1] offset:4
.LBB1345_4:
	s_or_b32 exec_lo, exec_lo, s5
	v_or_b32_e32 v14, 2, v35
	v_mov_b32_e32 v70, -1
	v_mov_b32_e32 v67, -1
	v_cmp_lt_u32_e64 s5, v14, v11
	s_and_saveexec_b32 s6, s5
	s_cbranch_execz .LBB1345_6
; %bb.5:
	flat_load_dword v67, v[0:1] offset:8
.LBB1345_6:
	s_or_b32 exec_lo, exec_lo, s6
	v_or_b32_e32 v14, 3, v35
	v_cmp_lt_u32_e64 s6, v14, v11
	s_and_saveexec_b32 s7, s6
	s_cbranch_execz .LBB1345_8
; %bb.7:
	flat_load_dword v70, v[0:1] offset:12
.LBB1345_8:
	s_or_b32 exec_lo, exec_lo, s7
	v_or_b32_e32 v14, 4, v35
	v_mov_b32_e32 v39, -1
	v_mov_b32_e32 v68, -1
	v_cmp_lt_u32_e64 s7, v14, v11
	s_and_saveexec_b32 s10, s7
	s_cbranch_execz .LBB1345_10
; %bb.9:
	flat_load_dword v68, v[0:1] offset:16
.LBB1345_10:
	;; [unrolled: 18-line block ×3, first 2 shown]
	s_or_b32 exec_lo, exec_lo, s14
	v_or_b32_e32 v14, 7, v35
	v_cmp_lt_u32_e64 s14, v14, v11
	s_and_saveexec_b32 s15, s14
	s_cbranch_execz .LBB1345_16
; %bb.15:
	flat_load_dword v38, v[0:1] offset:28
.LBB1345_16:
	s_or_b32 exec_lo, exec_lo, s15
	v_lshlrev_b64 v[0:1], 3, v[8:9]
	v_lshlrev_b32_e32 v11, 3, v35
	; wave barrier
	v_add_co_u32 v4, s15, v4, v0
	v_add_co_ci_u32_e64 v5, null, v5, v1, s15
	v_add_co_u32 v26, s15, v4, v11
	v_add_co_ci_u32_e64 v27, null, 0, v5, s15
                                        ; implicit-def: $vgpr4_vgpr5
	s_and_saveexec_b32 s15, vcc_lo
	s_cbranch_execnz .LBB1345_221
; %bb.17:
	s_or_b32 exec_lo, exec_lo, s15
                                        ; implicit-def: $vgpr8_vgpr9
	s_and_saveexec_b32 s15, s4
	s_cbranch_execnz .LBB1345_222
.LBB1345_18:
	s_or_b32 exec_lo, exec_lo, s15
                                        ; implicit-def: $vgpr14_vgpr15
	s_and_saveexec_b32 s15, s5
	s_cbranch_execnz .LBB1345_223
.LBB1345_19:
	s_or_b32 exec_lo, exec_lo, s15
                                        ; implicit-def: $vgpr16_vgpr17
	s_and_saveexec_b32 s15, s6
	s_cbranch_execnz .LBB1345_224
.LBB1345_20:
	s_or_b32 exec_lo, exec_lo, s15
                                        ; implicit-def: $vgpr18_vgpr19
	s_and_saveexec_b32 s15, s7
	s_cbranch_execnz .LBB1345_225
.LBB1345_21:
	s_or_b32 exec_lo, exec_lo, s15
                                        ; implicit-def: $vgpr22_vgpr23
	s_and_saveexec_b32 s15, s10
	s_cbranch_execnz .LBB1345_226
.LBB1345_22:
	s_or_b32 exec_lo, exec_lo, s15
                                        ; implicit-def: $vgpr20_vgpr21
	s_and_saveexec_b32 s15, s11
	s_cbranch_execnz .LBB1345_227
.LBB1345_23:
	s_or_b32 exec_lo, exec_lo, s15
                                        ; implicit-def: $vgpr24_vgpr25
	s_and_saveexec_b32 s15, s14
	s_cbranch_execz .LBB1345_25
.LBB1345_24:
	flat_load_dwordx2 v[24:25], v[26:27] offset:56
.LBB1345_25:
	s_or_b32 exec_lo, exec_lo, s15
	; wave barrier
	s_load_dwordx2 s[16:17], s[8:9], 0x0
	v_mov_b32_e32 v26, 0
	v_bfe_u32 v28, v31, 10, 10
	v_bfe_u32 v29, v31, 20, 10
	s_waitcnt lgkmcnt(0)
	s_cmp_lt_u32 s13, s17
	s_cselect_b32 s13, 14, 20
	s_add_u32 s18, s8, s13
	s_addc_u32 s19, s9, 0
	s_cmp_lt_u32 s12, s16
	global_load_ushort v27, v26, s[18:19]
	s_cselect_b32 s12, 12, 18
	s_add_u32 s8, s8, s12
	s_addc_u32 s9, s9, 0
	global_load_ushort v26, v26, s[8:9]
	s_mov_b32 s9, exec_lo
	s_waitcnt vmcnt(1)
	v_mad_u32_u24 v27, v29, v27, v28
	s_waitcnt vmcnt(0)
	v_mul_lo_u32 v26, v27, v26
	v_and_b32_e32 v27, 0x3ff, v31
	v_add_lshl_u32 v48, v26, v27, 3
	v_cmpx_gt_u32_e32 0x800, v48
	s_cbranch_execz .LBB1345_83
; %bb.26:
	v_add_f32_e32 v26, 0, v66
	v_add_f32_e32 v27, 0, v37
	v_mov_b32_e32 v32, v66
	v_ashrrev_i32_e32 v28, 31, v26
	v_ashrrev_i32_e32 v29, 31, v27
	v_or_b32_e32 v28, 0x80000000, v28
	v_or_b32_e32 v29, 0x80000000, v29
	v_xor_b32_e32 v26, v28, v26
	v_xor_b32_e32 v27, v29, v27
	v_cmp_gt_u32_e64 s8, v26, v27
	v_mov_b32_e32 v27, v9
	v_mov_b32_e32 v26, v8
	s_and_saveexec_b32 s12, s8
; %bb.27:
	v_mov_b32_e32 v27, v5
	v_mov_b32_e32 v26, v4
	v_mov_b32_e32 v4, v8
	v_mov_b32_e32 v32, v37
	v_mov_b32_e32 v37, v66
	v_mov_b32_e32 v5, v9
; %bb.28:
	s_or_b32 exec_lo, exec_lo, s12
	v_add_f32_e32 v8, 0, v70
	v_add_f32_e32 v9, 0, v67
	v_mov_b32_e32 v30, v70
	s_mov_b32 s12, exec_lo
	v_ashrrev_i32_e32 v28, 31, v8
	v_ashrrev_i32_e32 v29, 31, v9
	v_or_b32_e32 v28, 0x80000000, v28
	v_or_b32_e32 v29, 0x80000000, v29
	v_xor_b32_e32 v8, v28, v8
	v_xor_b32_e32 v9, v29, v9
	v_mov_b32_e32 v29, v17
	v_mov_b32_e32 v28, v16
	v_cmpx_gt_u32_e64 v8, v9
; %bb.29:
	v_mov_b32_e32 v29, v15
	v_mov_b32_e32 v28, v14
	v_mov_b32_e32 v14, v16
	v_mov_b32_e32 v30, v67
	v_mov_b32_e32 v67, v70
	v_mov_b32_e32 v15, v17
; %bb.30:
	s_or_b32 exec_lo, exec_lo, s12
	v_add_f32_e32 v8, 0, v39
	v_add_f32_e32 v9, 0, v68
	v_mov_b32_e32 v51, v68
	s_mov_b32 s12, exec_lo
	v_ashrrev_i32_e32 v16, 31, v8
	v_ashrrev_i32_e32 v17, 31, v9
	v_or_b32_e32 v16, 0x80000000, v16
	v_or_b32_e32 v17, 0x80000000, v17
	v_xor_b32_e32 v8, v16, v8
	v_xor_b32_e32 v9, v17, v9
	v_mov_b32_e32 v16, v22
	v_mov_b32_e32 v17, v23
	v_cmpx_gt_u32_e64 v8, v9
	;; [unrolled: 22-line block ×3, first 2 shown]
; %bb.33:
	v_mov_b32_e32 v8, v20
	v_mov_b32_e32 v9, v21
	;; [unrolled: 1-line block ×6, first 2 shown]
; %bb.34:
	s_or_b32 exec_lo, exec_lo, s12
	v_add_f32_e32 v22, 0, v67
	v_add_f32_e32 v23, 0, v32
	v_mov_b32_e32 v33, v67
	v_ashrrev_i32_e32 v24, 31, v22
	v_ashrrev_i32_e32 v25, 31, v23
	v_or_b32_e32 v24, 0x80000000, v24
	v_or_b32_e32 v25, 0x80000000, v25
	v_xor_b32_e32 v22, v24, v22
	v_xor_b32_e32 v23, v25, v23
	v_cmp_gt_u32_e64 s8, v22, v23
	v_mov_b32_e32 v23, v15
	v_mov_b32_e32 v22, v14
	s_and_saveexec_b32 s12, s8
	s_xor_b32 s8, exec_lo, s12
; %bb.35:
	v_mov_b32_e32 v22, v26
	v_mov_b32_e32 v23, v27
	;; [unrolled: 1-line block ×6, first 2 shown]
; %bb.36:
	s_or_b32 exec_lo, exec_lo, s8
	v_add_f32_e32 v14, 0, v51
	v_add_f32_e32 v15, 0, v30
	v_ashrrev_i32_e32 v24, 31, v14
	v_ashrrev_i32_e32 v25, 31, v15
	v_or_b32_e32 v24, 0x80000000, v24
	v_or_b32_e32 v25, 0x80000000, v25
	v_xor_b32_e32 v24, v24, v14
	v_xor_b32_e32 v15, v25, v15
	v_mov_b32_e32 v14, v30
	v_cmp_gt_u32_e64 s8, v24, v15
	v_mov_b32_e32 v25, v19
	v_mov_b32_e32 v24, v18
	s_and_saveexec_b32 s12, s8
; %bb.37:
	v_mov_b32_e32 v24, v28
	v_mov_b32_e32 v25, v29
	;; [unrolled: 1-line block ×6, first 2 shown]
; %bb.38:
	s_or_b32 exec_lo, exec_lo, s12
	v_add_f32_e32 v15, 0, v49
	v_add_f32_e32 v18, 0, v39
	v_mov_b32_e32 v50, v39
	s_mov_b32 s12, exec_lo
	v_ashrrev_i32_e32 v19, 31, v15
	v_ashrrev_i32_e32 v30, 31, v18
	v_or_b32_e32 v19, 0x80000000, v19
	v_or_b32_e32 v30, 0x80000000, v30
	v_xor_b32_e32 v15, v19, v15
	v_xor_b32_e32 v30, v30, v18
	v_mov_b32_e32 v18, v20
	v_mov_b32_e32 v19, v21
	v_cmpx_gt_u32_e64 v15, v30
; %bb.39:
	v_mov_b32_e32 v19, v17
	v_mov_b32_e32 v18, v16
	v_mov_b32_e32 v16, v20
	v_mov_b32_e32 v17, v21
	v_mov_b32_e32 v50, v49
	v_mov_b32_e32 v49, v39
; %bb.40:
	s_or_b32 exec_lo, exec_lo, s12
	v_add_f32_e32 v20, 0, v37
	v_add_f32_e32 v15, 0, v32
	v_mov_b32_e32 v39, v32
	s_mov_b32 s12, exec_lo
	v_ashrrev_i32_e32 v30, 31, v20
	v_ashrrev_i32_e32 v21, 31, v15
	v_or_b32_e32 v30, 0x80000000, v30
	v_or_b32_e32 v21, 0x80000000, v21
	v_xor_b32_e32 v20, v30, v20
	v_mov_b32_e32 v31, v27
	v_xor_b32_e32 v15, v21, v15
	v_mov_b32_e32 v30, v26
	v_cmpx_gt_u32_e64 v15, v20
; %bb.41:
	v_mov_b32_e32 v31, v5
	v_mov_b32_e32 v30, v4
	;; [unrolled: 1-line block ×6, first 2 shown]
; %bb.42:
	s_or_b32 exec_lo, exec_lo, s12
	v_add_f32_e32 v20, 0, v33
	v_add_f32_e32 v15, 0, v14
	v_mov_b32_e32 v52, v14
	s_mov_b32 s12, exec_lo
	v_ashrrev_i32_e32 v26, 31, v20
	v_ashrrev_i32_e32 v21, 31, v15
	v_or_b32_e32 v26, 0x80000000, v26
	v_or_b32_e32 v21, 0x80000000, v21
	v_xor_b32_e32 v20, v26, v20
	v_mov_b32_e32 v26, v28
	v_xor_b32_e32 v15, v21, v15
	v_mov_b32_e32 v27, v29
	v_cmpx_gt_u32_e64 v15, v20
; %bb.43:
	v_mov_b32_e32 v27, v23
	v_mov_b32_e32 v26, v22
	;; [unrolled: 1-line block ×6, first 2 shown]
; %bb.44:
	s_or_b32 exec_lo, exec_lo, s12
	v_add_f32_e32 v14, 0, v50
	v_add_f32_e32 v15, 0, v51
	v_mov_b32_e32 v53, v51
	s_mov_b32 s12, exec_lo
	v_ashrrev_i32_e32 v20, 31, v14
	v_ashrrev_i32_e32 v21, 31, v15
	v_or_b32_e32 v20, 0x80000000, v20
	v_or_b32_e32 v21, 0x80000000, v21
	v_xor_b32_e32 v14, v20, v14
	v_xor_b32_e32 v15, v21, v15
	v_mov_b32_e32 v21, v17
	v_mov_b32_e32 v20, v16
	v_cmpx_gt_u32_e64 v14, v15
; %bb.45:
	v_mov_b32_e32 v20, v24
	v_mov_b32_e32 v21, v25
	;; [unrolled: 1-line block ×6, first 2 shown]
; %bb.46:
	s_or_b32 exec_lo, exec_lo, s12
	v_add_f32_e32 v14, 0, v38
	v_add_f32_e32 v15, 0, v49
	v_mov_b32_e32 v32, v49
	s_mov_b32 s12, exec_lo
	v_ashrrev_i32_e32 v16, 31, v14
	v_ashrrev_i32_e32 v17, 31, v15
	v_or_b32_e32 v16, 0x80000000, v16
	v_or_b32_e32 v17, 0x80000000, v17
	v_xor_b32_e32 v16, v16, v14
	v_xor_b32_e32 v17, v17, v15
	v_mov_b32_e32 v15, v9
	v_mov_b32_e32 v14, v8
	v_cmpx_gt_u32_e64 v16, v17
; %bb.47:
	v_mov_b32_e32 v14, v18
	v_mov_b32_e32 v15, v19
	;; [unrolled: 1-line block ×6, first 2 shown]
; %bb.48:
	s_or_b32 exec_lo, exec_lo, s12
	v_add_f32_e32 v8, 0, v33
	v_add_f32_e32 v9, 0, v39
	v_mov_b32_e32 v29, v23
	v_mov_b32_e32 v49, v33
	;; [unrolled: 1-line block ×3, first 2 shown]
	v_ashrrev_i32_e32 v16, 31, v8
	v_ashrrev_i32_e32 v17, 31, v9
	s_mov_b32 s12, exec_lo
	v_or_b32_e32 v16, 0x80000000, v16
	v_or_b32_e32 v17, 0x80000000, v17
	v_xor_b32_e32 v8, v16, v8
	v_xor_b32_e32 v9, v17, v9
	v_cmpx_gt_u32_e64 v8, v9
; %bb.49:
	v_mov_b32_e32 v28, v30
	v_mov_b32_e32 v29, v31
	;; [unrolled: 1-line block ×6, first 2 shown]
; %bb.50:
	s_or_b32 exec_lo, exec_lo, s12
	v_add_f32_e32 v8, 0, v53
	v_add_f32_e32 v9, 0, v52
	v_mov_b32_e32 v22, v52
	s_mov_b32 s12, exec_lo
	v_ashrrev_i32_e32 v16, 31, v8
	v_ashrrev_i32_e32 v17, 31, v9
	v_or_b32_e32 v16, 0x80000000, v16
	v_or_b32_e32 v17, 0x80000000, v17
	v_xor_b32_e32 v8, v16, v8
	v_xor_b32_e32 v9, v17, v9
	v_mov_b32_e32 v16, v24
	v_mov_b32_e32 v17, v25
	v_cmpx_gt_u32_e64 v8, v9
; %bb.51:
	v_mov_b32_e32 v16, v26
	v_mov_b32_e32 v17, v27
	;; [unrolled: 1-line block ×6, first 2 shown]
; %bb.52:
	s_or_b32 exec_lo, exec_lo, s12
	v_add_f32_e32 v8, 0, v32
	v_add_f32_e32 v9, 0, v50
	v_mov_b32_e32 v52, v50
	s_mov_b32 s12, exec_lo
	v_ashrrev_i32_e32 v23, 31, v8
	v_ashrrev_i32_e32 v24, 31, v9
	v_or_b32_e32 v23, 0x80000000, v23
	v_or_b32_e32 v24, 0x80000000, v24
	v_xor_b32_e32 v23, v23, v8
	v_xor_b32_e32 v24, v24, v9
	v_mov_b32_e32 v8, v18
	v_mov_b32_e32 v9, v19
	v_cmpx_gt_u32_e64 v23, v24
; %bb.53:
	v_mov_b32_e32 v8, v20
	v_mov_b32_e32 v9, v21
	;; [unrolled: 1-line block ×6, first 2 shown]
; %bb.54:
	s_or_b32 exec_lo, exec_lo, s12
	v_add_f32_e32 v19, 0, v37
	v_add_f32_e32 v18, 0, v39
	v_mov_b32_e32 v50, v39
	s_mov_b32 s12, exec_lo
	v_ashrrev_i32_e32 v24, 31, v19
	v_ashrrev_i32_e32 v23, 31, v18
	v_or_b32_e32 v24, 0x80000000, v24
	v_or_b32_e32 v23, 0x80000000, v23
	v_xor_b32_e32 v19, v24, v19
	v_mov_b32_e32 v24, v30
	v_xor_b32_e32 v18, v23, v18
	v_mov_b32_e32 v25, v31
	v_cmpx_gt_u32_e64 v18, v19
; %bb.55:
	v_mov_b32_e32 v25, v5
	v_mov_b32_e32 v24, v4
	;; [unrolled: 1-line block ×6, first 2 shown]
; %bb.56:
	s_or_b32 exec_lo, exec_lo, s12
	v_add_f32_e32 v19, 0, v49
	v_add_f32_e32 v18, 0, v22
	v_mov_b32_e32 v39, v22
	s_mov_b32 s12, exec_lo
	v_ashrrev_i32_e32 v30, 31, v19
	v_ashrrev_i32_e32 v23, 31, v18
	v_or_b32_e32 v30, 0x80000000, v30
	v_or_b32_e32 v23, 0x80000000, v23
	v_xor_b32_e32 v19, v30, v19
	v_mov_b32_e32 v31, v27
	v_xor_b32_e32 v18, v23, v18
	v_mov_b32_e32 v30, v26
	v_cmpx_gt_u32_e64 v18, v19
; %bb.57:
	v_mov_b32_e32 v31, v29
	v_mov_b32_e32 v30, v28
	;; [unrolled: 1-line block ×6, first 2 shown]
; %bb.58:
	s_or_b32 exec_lo, exec_lo, s12
	v_add_f32_e32 v18, 0, v52
	v_add_f32_e32 v19, 0, v53
	v_mov_b32_e32 v54, v53
	s_mov_b32 s12, exec_lo
	v_ashrrev_i32_e32 v22, 31, v18
	v_ashrrev_i32_e32 v23, 31, v19
	v_or_b32_e32 v22, 0x80000000, v22
	v_or_b32_e32 v23, 0x80000000, v23
	v_xor_b32_e32 v18, v22, v18
	v_xor_b32_e32 v19, v23, v19
	v_mov_b32_e32 v23, v21
	v_mov_b32_e32 v22, v20
	v_cmpx_gt_u32_e64 v18, v19
; %bb.59:
	v_mov_b32_e32 v23, v17
	v_mov_b32_e32 v22, v16
	;; [unrolled: 1-line block ×6, first 2 shown]
; %bb.60:
	s_or_b32 exec_lo, exec_lo, s12
	v_add_f32_e32 v18, 0, v38
	v_add_f32_e32 v19, 0, v32
	v_mov_b32_e32 v53, v32
	s_mov_b32 s12, exec_lo
	v_ashrrev_i32_e32 v20, 31, v18
	v_ashrrev_i32_e32 v21, 31, v19
	v_or_b32_e32 v20, 0x80000000, v20
	v_or_b32_e32 v21, 0x80000000, v21
	v_xor_b32_e32 v20, v20, v18
	v_xor_b32_e32 v21, v21, v19
	v_mov_b32_e32 v19, v15
	v_mov_b32_e32 v18, v14
	v_cmpx_gt_u32_e64 v20, v21
; %bb.61:
	v_mov_b32_e32 v19, v9
	v_mov_b32_e32 v18, v8
	v_mov_b32_e32 v8, v14
	v_mov_b32_e32 v9, v15
	v_mov_b32_e32 v53, v38
	v_mov_b32_e32 v38, v32
; %bb.62:
	s_or_b32 exec_lo, exec_lo, s12
	v_add_f32_e32 v14, 0, v49
	v_add_f32_e32 v15, 0, v50
	v_mov_b32_e32 v33, v29
	v_mov_b32_e32 v51, v49
	;; [unrolled: 1-line block ×3, first 2 shown]
	v_ashrrev_i32_e32 v20, 31, v14
	v_ashrrev_i32_e32 v21, 31, v15
	s_mov_b32 s12, exec_lo
	v_or_b32_e32 v20, 0x80000000, v20
	v_or_b32_e32 v21, 0x80000000, v21
	v_xor_b32_e32 v14, v20, v14
	v_xor_b32_e32 v15, v21, v15
	v_cmpx_gt_u32_e64 v14, v15
; %bb.63:
	v_mov_b32_e32 v33, v25
	v_mov_b32_e32 v32, v24
	;; [unrolled: 1-line block ×6, first 2 shown]
; %bb.64:
	s_or_b32 exec_lo, exec_lo, s12
	v_add_f32_e32 v14, 0, v54
	v_add_f32_e32 v15, 0, v39
	v_mov_b32_e32 v27, v17
	v_mov_b32_e32 v26, v16
	s_mov_b32 s12, exec_lo
	v_ashrrev_i32_e32 v20, 31, v14
	v_ashrrev_i32_e32 v21, 31, v15
	v_or_b32_e32 v20, 0x80000000, v20
	v_or_b32_e32 v21, 0x80000000, v21
	v_xor_b32_e32 v20, v20, v14
	v_xor_b32_e32 v15, v21, v15
	v_mov_b32_e32 v14, v39
	v_cmpx_gt_u32_e64 v20, v15
; %bb.65:
	v_mov_b32_e32 v26, v30
	v_mov_b32_e32 v27, v31
	;; [unrolled: 1-line block ×6, first 2 shown]
; %bb.66:
	s_or_b32 exec_lo, exec_lo, s12
	v_add_f32_e32 v16, 0, v52
	v_add_f32_e32 v15, 0, v53
	v_mov_b32_e32 v39, v52
	s_mov_b32 s12, exec_lo
	v_ashrrev_i32_e32 v20, 31, v16
	v_ashrrev_i32_e32 v17, 31, v15
	v_or_b32_e32 v20, 0x80000000, v20
	v_or_b32_e32 v17, 0x80000000, v17
	v_xor_b32_e32 v16, v20, v16
	v_mov_b32_e32 v21, v9
	v_xor_b32_e32 v15, v17, v15
	v_mov_b32_e32 v20, v8
	v_cmpx_gt_u32_e64 v15, v16
; %bb.67:
	v_mov_b32_e32 v20, v22
	v_mov_b32_e32 v21, v23
	;; [unrolled: 1-line block ×6, first 2 shown]
; %bb.68:
	s_or_b32 exec_lo, exec_lo, s12
	v_add_f32_e32 v8, 0, v50
	v_add_f32_e32 v9, 0, v37
	v_mov_b32_e32 v66, v50
	v_ashrrev_i32_e32 v15, 31, v8
	v_ashrrev_i32_e32 v16, 31, v9
	v_or_b32_e32 v15, 0x80000000, v15
	v_or_b32_e32 v16, 0x80000000, v16
	v_xor_b32_e32 v8, v15, v8
	v_xor_b32_e32 v9, v16, v9
	v_cmp_gt_u32_e64 s8, v8, v9
	v_mov_b32_e32 v8, v24
	v_mov_b32_e32 v9, v25
	s_and_saveexec_b32 s12, s8
; %bb.69:
	v_mov_b32_e32 v9, v5
	v_mov_b32_e32 v8, v4
	;; [unrolled: 1-line block ×6, first 2 shown]
; %bb.70:
	s_or_b32 exec_lo, exec_lo, s12
	v_add_f32_e32 v15, 0, v14
	v_add_f32_e32 v16, 0, v51
	v_mov_b32_e32 v49, v14
	v_ashrrev_i32_e32 v17, 31, v15
	v_ashrrev_i32_e32 v24, 31, v16
	v_or_b32_e32 v17, 0x80000000, v17
	v_or_b32_e32 v24, 0x80000000, v24
	v_xor_b32_e32 v15, v17, v15
	v_xor_b32_e32 v16, v24, v16
	v_cmp_gt_u32_e64 s8, v15, v16
	v_mov_b32_e32 v16, v30
	v_mov_b32_e32 v17, v31
	s_and_saveexec_b32 s12, s8
; %bb.71:
	v_mov_b32_e32 v16, v32
	v_mov_b32_e32 v17, v33
	;; [unrolled: 1-line block ×6, first 2 shown]
; %bb.72:
	s_or_b32 exec_lo, exec_lo, s12
	v_add_f32_e32 v14, 0, v39
	v_add_f32_e32 v15, 0, v54
	v_mov_b32_e32 v29, v23
	v_mov_b32_e32 v28, v22
	;; [unrolled: 1-line block ×3, first 2 shown]
	v_ashrrev_i32_e32 v24, 31, v14
	v_ashrrev_i32_e32 v25, 31, v15
	s_mov_b32 s12, exec_lo
	v_or_b32_e32 v24, 0x80000000, v24
	v_or_b32_e32 v25, 0x80000000, v25
	v_xor_b32_e32 v14, v24, v14
	v_xor_b32_e32 v15, v25, v15
	v_cmpx_gt_u32_e64 v14, v15
; %bb.73:
	v_mov_b32_e32 v29, v27
	v_mov_b32_e32 v28, v26
	;; [unrolled: 1-line block ×6, first 2 shown]
; %bb.74:
	s_or_b32 exec_lo, exec_lo, s12
	v_add_f32_e32 v14, 0, v38
	v_add_f32_e32 v15, 0, v53
	v_mov_b32_e32 v25, v19
	v_mov_b32_e32 v24, v18
	;; [unrolled: 1-line block ×3, first 2 shown]
	v_ashrrev_i32_e32 v22, 31, v14
	v_ashrrev_i32_e32 v23, 31, v15
	s_mov_b32 s12, exec_lo
	v_or_b32_e32 v22, 0x80000000, v22
	v_or_b32_e32 v23, 0x80000000, v23
	v_xor_b32_e32 v14, v22, v14
	v_xor_b32_e32 v15, v23, v15
	v_cmpx_gt_u32_e64 v14, v15
; %bb.75:
	v_mov_b32_e32 v25, v21
	v_mov_b32_e32 v24, v20
	v_mov_b32_e32 v21, v19
	v_mov_b32_e32 v20, v18
	v_mov_b32_e32 v30, v38
	v_mov_b32_e32 v38, v53
; %bb.76:
	s_or_b32 exec_lo, exec_lo, s12
	v_add_f32_e32 v14, 0, v51
	v_add_f32_e32 v15, 0, v66
	v_mov_b32_e32 v67, v51
	v_ashrrev_i32_e32 v18, 31, v14
	v_ashrrev_i32_e32 v19, 31, v15
	v_or_b32_e32 v18, 0x80000000, v18
	v_or_b32_e32 v19, 0x80000000, v19
	v_xor_b32_e32 v14, v18, v14
	v_xor_b32_e32 v15, v19, v15
	v_cmp_gt_u32_e64 s8, v14, v15
	v_mov_b32_e32 v14, v32
	v_mov_b32_e32 v15, v33
	s_and_saveexec_b32 s12, s8
; %bb.77:
	v_mov_b32_e32 v15, v9
	v_mov_b32_e32 v14, v8
	v_mov_b32_e32 v8, v32
	v_mov_b32_e32 v67, v66
	v_mov_b32_e32 v66, v51
	v_mov_b32_e32 v9, v33
; %bb.78:
	s_or_b32 exec_lo, exec_lo, s12
	v_add_f32_e32 v18, 0, v68
	v_add_f32_e32 v19, 0, v49
	v_mov_b32_e32 v70, v49
	v_ashrrev_i32_e32 v22, 31, v18
	v_ashrrev_i32_e32 v23, 31, v19
	v_or_b32_e32 v22, 0x80000000, v22
	v_or_b32_e32 v23, 0x80000000, v23
	v_xor_b32_e32 v18, v22, v18
	v_xor_b32_e32 v19, v23, v19
	v_cmp_gt_u32_e64 s8, v18, v19
	v_mov_b32_e32 v18, v26
	v_mov_b32_e32 v19, v27
	s_and_saveexec_b32 s12, s8
	;; [unrolled: 22-line block ×3, first 2 shown]
; %bb.81:
	v_mov_b32_e32 v23, v21
	v_mov_b32_e32 v22, v20
	;; [unrolled: 1-line block ×6, first 2 shown]
; %bb.82:
	s_or_b32 exec_lo, exec_lo, s12
.LBB1345_83:
	s_or_b32 exec_lo, exec_lo, s9
	v_and_b32_e32 v28, 0xffffff00, v48
	v_or_b32_e32 v26, 8, v36
	v_mov_b32_e32 v29, 0
	v_and_b32_e32 v81, 0xf0, v36
	s_mov_b32 s9, exec_lo
	v_sub_nc_u32_e64 v27, 0x800, v28 clamp
	v_lshlrev_b64 v[30:31], 3, v[28:29]
	v_lshlrev_b64 v[28:29], 2, v[28:29]
	v_and_b32_e32 v29, 8, v36
	v_min_u32_e32 v71, v27, v26
	v_add_co_u32 v30, null, v10, v30
	v_add_nc_u32_e32 v31, 8, v71
	v_add_co_u32 v26, null, v10, v28
	v_add_co_u32 v10, null, 0x2000, v30
	v_min_u32_e32 v80, v27, v31
	v_min_u32_e32 v82, v27, v29
	v_sub_nc_u32_e32 v31, v71, v81
	v_lshl_add_u32 v28, v36, 2, v26
	v_lshl_add_u32 v29, v36, 3, v10
	v_sub_nc_u32_e32 v30, v80, v71
	ds_write2_b32 v28, v37, v66 offset1:1
	ds_write2_b64 v29, v[4:5], v[8:9] offset1:1
	ds_write2_b32 v28, v67, v70 offset0:2 offset1:3
	ds_write2_b64 v29, v[14:15], v[16:17] offset0:2 offset1:3
	ds_write2_b32 v28, v68, v39 offset0:4 offset1:5
	ds_write2_b64 v29, v[18:19], v[22:23] offset0:4 offset1:5
	;; [unrolled: 2-line block ×3, first 2 shown]
	v_sub_nc_u32_e64 v83, v82, v30 clamp
	v_min_u32_e32 v30, v82, v31
	; wave barrier
	v_cmpx_lt_u32_e64 v83, v30
	s_cbranch_execz .LBB1345_87
; %bb.84:
	v_lshlrev_b32_e32 v31, 2, v81
	v_lshlrev_b32_e32 v32, 2, v71
	s_mov_b32 s12, 0
	v_add_co_u32 v31, null, v26, v31
	v_add_co_u32 v32, null, v26, v32
	s_inst_prefetch 0x1
	.p2align	6
.LBB1345_85:                            ; =>This Inner Loop Header: Depth=1
	v_add_nc_u32_e32 v33, v30, v83
	v_lshrrev_b32_e32 v33, 1, v33
	v_xad_u32 v48, v33, -1, v82
	v_lshl_add_u32 v49, v33, 2, v31
	v_lshl_add_u32 v48, v48, 2, v32
	ds_read_b32 v49, v49
	ds_read_b32 v48, v48
	s_waitcnt lgkmcnt(1)
	v_add_f32_e32 v49, 0, v49
	s_waitcnt lgkmcnt(0)
	v_add_f32_e32 v48, 0, v48
	v_ashrrev_i32_e32 v50, 31, v49
	v_ashrrev_i32_e32 v51, 31, v48
	v_or_b32_e32 v50, 0x80000000, v50
	v_or_b32_e32 v51, 0x80000000, v51
	v_xor_b32_e32 v49, v50, v49
	v_xor_b32_e32 v48, v51, v48
	v_add_nc_u32_e32 v50, 1, v33
	v_cmp_gt_u32_e64 s8, v48, v49
	v_cndmask_b32_e64 v30, v30, v33, s8
	v_cndmask_b32_e64 v83, v50, v83, s8
	v_cmp_ge_u32_e64 s8, v83, v30
	s_or_b32 s12, s8, s12
	s_andn2_b32 exec_lo, exec_lo, s12
	s_cbranch_execnz .LBB1345_85
; %bb.86:
	s_inst_prefetch 0x2
	s_or_b32 exec_lo, exec_lo, s12
.LBB1345_87:
	s_or_b32 exec_lo, exec_lo, s9
	v_add_nc_u32_e32 v82, v71, v82
	v_add_nc_u32_e32 v81, v83, v81
	;; [unrolled: 1-line block ×5, first 2 shown]
	v_sub_nc_u32_e32 v82, v82, v83
	v_cmp_le_u32_e64 s8, v81, v71
	v_add_nc_u32_e32 v54, 16, v29
	v_add_nc_u32_e32 v55, 12, v28
	;; [unrolled: 1-line block ×3, first 2 shown]
	v_cmp_le_u32_e64 s9, v82, v80
	v_add_nc_u32_e32 v51, 16, v28
	v_add_nc_u32_e32 v52, 32, v29
	v_add_nc_u32_e32 v32, 20, v28
	v_add_nc_u32_e32 v33, 40, v29
	v_add_nc_u32_e32 v48, 24, v28
	v_add_nc_u32_e32 v49, 48, v29
	v_add_nc_u32_e32 v30, 28, v28
	v_add_nc_u32_e32 v31, 56, v29
	s_or_b32 s8, s8, s9
	s_and_saveexec_b32 s12, s8
	s_cbranch_execz .LBB1345_123
; %bb.88:
	v_cmp_ge_u32_e64 s8, v81, v71
	s_mov_b32 s13, exec_lo
                                        ; implicit-def: $vgpr37
	v_cmpx_lt_u32_e64 v81, v71
; %bb.89:
	v_lshl_add_u32 v4, v81, 2, v26
	ds_read_b32 v37, v4
; %bb.90:
	s_or_b32 exec_lo, exec_lo, s13
	v_cmp_ge_u32_e64 s13, v82, v80
	s_mov_b32 s15, exec_lo
                                        ; implicit-def: $vgpr38
	v_cmpx_lt_u32_e64 v82, v80
; %bb.91:
	v_lshl_add_u32 v4, v82, 2, v26
	ds_read_b32 v38, v4
; %bb.92:
	s_or_b32 exec_lo, exec_lo, s15
	s_nor_b32 s8, s8, s13
	s_and_saveexec_b32 s9, s8
	s_cbranch_execz .LBB1345_94
; %bb.93:
	s_waitcnt lgkmcnt(0)
	v_add_f32_e32 v4, 0, v38
	v_add_f32_e32 v5, 0, v37
	s_andn2_b32 s13, s13, exec_lo
	v_ashrrev_i32_e32 v8, 31, v4
	v_ashrrev_i32_e32 v9, 31, v5
	v_or_b32_e32 v8, 0x80000000, v8
	v_or_b32_e32 v9, 0x80000000, v9
	v_xor_b32_e32 v4, v8, v4
	v_xor_b32_e32 v5, v9, v5
	v_cmp_le_u32_e64 s8, v4, v5
	s_and_b32 s8, s8, exec_lo
	s_or_b32 s13, s13, s8
.LBB1345_94:
	s_or_b32 exec_lo, exec_lo, s9
	v_cndmask_b32_e64 v4, v82, v81, s13
	v_cndmask_b32_e64 v5, v80, v71, s13
	s_mov_b32 s15, -1
	s_mov_b32 s9, -1
	s_mov_b32 s16, exec_lo
	v_add_nc_u32_e32 v8, 1, v4
	v_add_nc_u32_e32 v5, -1, v5
	v_lshl_add_u32 v4, v4, 3, v10
	v_cndmask_b32_e64 v14, v8, v82, s13
	v_min_u32_e32 v5, v8, v5
	v_cndmask_b32_e64 v15, v81, v8, s13
	v_lshl_add_u32 v5, v5, 2, v26
	ds_read_b32 v9, v5
	ds_read_b64 v[4:5], v4
	s_waitcnt lgkmcnt(1)
	v_cndmask_b32_e64 v66, v9, v38, s13
	v_cndmask_b32_e64 v81, v37, v9, s13
	v_cmpx_lt_u32_e64 v14, v80
	s_cbranch_execz .LBB1345_98
; %bb.95:
	s_mov_b32 s17, 0
	s_mov_b32 s9, exec_lo
	v_cmpx_lt_u32_e64 v15, v71
	s_cbranch_execz .LBB1345_97
; %bb.96:
	v_add_f32_e32 v8, 0, v66
	v_add_f32_e32 v9, 0, v81
	v_ashrrev_i32_e32 v16, 31, v8
	v_ashrrev_i32_e32 v17, 31, v9
	v_or_b32_e32 v16, 0x80000000, v16
	v_or_b32_e32 v17, 0x80000000, v17
	v_xor_b32_e32 v8, v16, v8
	v_xor_b32_e32 v9, v17, v9
	v_cmp_le_u32_e64 s8, v8, v9
	s_and_b32 s17, s8, exec_lo
.LBB1345_97:
	s_or_b32 exec_lo, exec_lo, s9
	s_orn2_b32 s9, s17, exec_lo
.LBB1345_98:
	s_or_b32 exec_lo, exec_lo, s16
	v_cndmask_b32_e64 v8, v14, v15, s9
	v_cndmask_b32_e64 v9, v80, v71, s9
	s_mov_b32 s16, exec_lo
	v_add_nc_u32_e32 v17, 1, v8
	v_add_nc_u32_e32 v9, -1, v9
	v_lshl_add_u32 v8, v8, 3, v10
	v_cndmask_b32_e64 v16, v17, v14, s9
	v_min_u32_e32 v9, v17, v9
	v_cndmask_b32_e64 v17, v15, v17, s9
	v_lshl_add_u32 v9, v9, 2, v26
	ds_read_b32 v18, v9
	ds_read_b64 v[8:9], v8
	s_waitcnt lgkmcnt(1)
	v_cndmask_b32_e64 v67, v18, v66, s9
	v_cndmask_b32_e64 v82, v81, v18, s9
	v_cmpx_lt_u32_e64 v16, v80
	s_cbranch_execz .LBB1345_102
; %bb.99:
	s_mov_b32 s17, 0
	s_mov_b32 s15, exec_lo
	v_cmpx_lt_u32_e64 v17, v71
	s_cbranch_execz .LBB1345_101
; %bb.100:
	v_add_f32_e32 v14, 0, v67
	v_add_f32_e32 v15, 0, v82
	v_ashrrev_i32_e32 v18, 31, v14
	v_ashrrev_i32_e32 v19, 31, v15
	v_or_b32_e32 v18, 0x80000000, v18
	v_or_b32_e32 v19, 0x80000000, v19
	v_xor_b32_e32 v14, v18, v14
	v_xor_b32_e32 v15, v19, v15
	v_cmp_le_u32_e64 s8, v14, v15
	s_and_b32 s17, s8, exec_lo
.LBB1345_101:
	s_or_b32 exec_lo, exec_lo, s15
	s_orn2_b32 s15, s17, exec_lo
.LBB1345_102:
	s_or_b32 exec_lo, exec_lo, s16
	v_cndmask_b32_e64 v14, v16, v17, s15
	v_cndmask_b32_e64 v15, v80, v71, s15
	s_mov_b32 s17, -1
	s_mov_b32 s16, -1
	s_mov_b32 s18, exec_lo
	v_add_nc_u32_e32 v19, 1, v14
	v_add_nc_u32_e32 v15, -1, v15
	v_lshl_add_u32 v14, v14, 3, v10
	v_cndmask_b32_e64 v18, v19, v16, s15
	v_min_u32_e32 v15, v19, v15
	v_cndmask_b32_e64 v19, v17, v19, s15
	v_lshl_add_u32 v15, v15, 2, v26
	ds_read_b32 v20, v15
	ds_read_b64 v[14:15], v14
	s_waitcnt lgkmcnt(1)
	v_cndmask_b32_e64 v70, v20, v67, s15
	v_cndmask_b32_e64 v83, v82, v20, s15
	v_cmpx_lt_u32_e64 v18, v80
	s_cbranch_execz .LBB1345_106
; %bb.103:
	s_mov_b32 s19, 0
	s_mov_b32 s16, exec_lo
	v_cmpx_lt_u32_e64 v19, v71
	s_cbranch_execz .LBB1345_105
; %bb.104:
	v_add_f32_e32 v16, 0, v70
	v_add_f32_e32 v17, 0, v83
	v_ashrrev_i32_e32 v20, 31, v16
	v_ashrrev_i32_e32 v21, 31, v17
	v_or_b32_e32 v20, 0x80000000, v20
	v_or_b32_e32 v21, 0x80000000, v21
	v_xor_b32_e32 v16, v20, v16
	v_xor_b32_e32 v17, v21, v17
	v_cmp_le_u32_e64 s8, v16, v17
	s_and_b32 s19, s8, exec_lo
.LBB1345_105:
	s_or_b32 exec_lo, exec_lo, s16
	s_orn2_b32 s16, s19, exec_lo
.LBB1345_106:
	s_or_b32 exec_lo, exec_lo, s18
	v_cndmask_b32_e64 v16, v18, v19, s16
	v_cndmask_b32_e64 v17, v80, v71, s16
	s_mov_b32 s18, exec_lo
	v_add_nc_u32_e32 v21, 1, v16
	v_add_nc_u32_e32 v17, -1, v17
	v_lshl_add_u32 v16, v16, 3, v10
	v_cndmask_b32_e64 v20, v21, v18, s16
	v_min_u32_e32 v17, v21, v17
	v_cndmask_b32_e64 v21, v19, v21, s16
	v_lshl_add_u32 v17, v17, 2, v26
	ds_read_b32 v22, v17
	ds_read_b64 v[16:17], v16
	s_waitcnt lgkmcnt(1)
	v_cndmask_b32_e64 v68, v22, v70, s16
	v_cndmask_b32_e64 v84, v83, v22, s16
	v_cmpx_lt_u32_e64 v20, v80
	s_cbranch_execz .LBB1345_110
; %bb.107:
	s_mov_b32 s19, 0
	s_mov_b32 s17, exec_lo
	v_cmpx_lt_u32_e64 v21, v71
	s_cbranch_execz .LBB1345_109
; %bb.108:
	v_add_f32_e32 v18, 0, v68
	v_add_f32_e32 v19, 0, v84
	v_ashrrev_i32_e32 v22, 31, v18
	v_ashrrev_i32_e32 v23, 31, v19
	v_or_b32_e32 v22, 0x80000000, v22
	v_or_b32_e32 v23, 0x80000000, v23
	v_xor_b32_e32 v18, v22, v18
	v_xor_b32_e32 v19, v23, v19
	v_cmp_le_u32_e64 s8, v18, v19
	s_and_b32 s19, s8, exec_lo
.LBB1345_109:
	s_or_b32 exec_lo, exec_lo, s17
	s_orn2_b32 s17, s19, exec_lo
.LBB1345_110:
	s_or_b32 exec_lo, exec_lo, s18
	v_cndmask_b32_e64 v18, v20, v21, s17
	v_cndmask_b32_e64 v19, v80, v71, s17
	s_mov_b32 s19, -1
	s_mov_b32 s18, -1
	s_mov_b32 s20, exec_lo
	v_add_nc_u32_e32 v22, 1, v18
	v_add_nc_u32_e32 v19, -1, v19
	v_lshl_add_u32 v18, v18, 3, v10
	v_cndmask_b32_e64 v20, v22, v20, s17
	v_min_u32_e32 v19, v22, v19
	v_cndmask_b32_e64 v21, v21, v22, s17
	v_lshl_add_u32 v19, v19, 2, v26
	ds_read_b32 v23, v19
	ds_read_b64 v[18:19], v18
	s_waitcnt lgkmcnt(1)
	v_cndmask_b32_e64 v39, v23, v68, s17
	v_cndmask_b32_e64 v85, v84, v23, s17
	v_cmpx_lt_u32_e64 v20, v80
	s_cbranch_execz .LBB1345_114
; %bb.111:
	s_mov_b32 s21, 0
	s_mov_b32 s18, exec_lo
	v_cmpx_lt_u32_e64 v21, v71
	s_cbranch_execz .LBB1345_113
; %bb.112:
	v_add_f32_e32 v22, 0, v39
	v_add_f32_e32 v23, 0, v85
	v_ashrrev_i32_e32 v24, 31, v22
	v_ashrrev_i32_e32 v25, 31, v23
	v_or_b32_e32 v24, 0x80000000, v24
	v_or_b32_e32 v25, 0x80000000, v25
	v_xor_b32_e32 v22, v24, v22
	v_xor_b32_e32 v23, v25, v23
	v_cmp_le_u32_e64 s8, v22, v23
	s_and_b32 s21, s8, exec_lo
.LBB1345_113:
	s_or_b32 exec_lo, exec_lo, s18
	s_orn2_b32 s18, s21, exec_lo
.LBB1345_114:
	s_or_b32 exec_lo, exec_lo, s20
	v_cndmask_b32_e64 v22, v20, v21, s18
	v_cndmask_b32_e64 v23, v80, v71, s18
	s_mov_b32 s20, exec_lo
	v_add_nc_u32_e32 v25, 1, v22
	v_add_nc_u32_e32 v23, -1, v23
	v_lshl_add_u32 v22, v22, 3, v10
	v_cndmask_b32_e64 v24, v25, v20, s18
	v_min_u32_e32 v23, v25, v23
	v_cndmask_b32_e64 v25, v21, v25, s18
	v_lshl_add_u32 v23, v23, 2, v26
	ds_read_b32 v86, v23
	ds_read_b64 v[22:23], v22
	s_waitcnt lgkmcnt(1)
	v_cndmask_b32_e64 v69, v86, v39, s18
	v_cndmask_b32_e64 v86, v85, v86, s18
	v_cmpx_lt_u32_e64 v24, v80
	s_cbranch_execz .LBB1345_118
; %bb.115:
	s_mov_b32 s21, 0
	s_mov_b32 s19, exec_lo
	v_cmpx_lt_u32_e64 v25, v71
	s_cbranch_execz .LBB1345_117
; %bb.116:
	v_add_f32_e32 v20, 0, v69
	v_add_f32_e32 v21, 0, v86
	v_ashrrev_i32_e32 v87, 31, v20
	v_ashrrev_i32_e32 v96, 31, v21
	v_or_b32_e32 v87, 0x80000000, v87
	v_or_b32_e32 v96, 0x80000000, v96
	v_xor_b32_e32 v20, v87, v20
	v_xor_b32_e32 v21, v96, v21
	v_cmp_le_u32_e64 s8, v20, v21
	s_and_b32 s21, s8, exec_lo
.LBB1345_117:
	s_or_b32 exec_lo, exec_lo, s19
	s_orn2_b32 s19, s21, exec_lo
.LBB1345_118:
	s_or_b32 exec_lo, exec_lo, s20
	v_cndmask_b32_e64 v20, v24, v25, s19
	v_cndmask_b32_e64 v21, v80, v71, s19
	s_mov_b32 s21, -1
	s_mov_b32 s20, exec_lo
	v_add_nc_u32_e32 v87, 1, v20
	v_add_nc_u32_e32 v21, -1, v21
	v_lshl_add_u32 v20, v20, 3, v10
	v_cndmask_b32_e64 v24, v87, v24, s19
	v_min_u32_e32 v21, v87, v21
	v_cndmask_b32_e64 v25, v25, v87, s19
	v_lshl_add_u32 v21, v21, 2, v26
	ds_read_b32 v96, v21
	ds_read_b64 v[20:21], v20
	s_waitcnt lgkmcnt(1)
	v_cndmask_b32_e64 v87, v96, v69, s19
	v_cndmask_b32_e64 v96, v86, v96, s19
	v_cmpx_lt_u32_e64 v24, v80
	s_cbranch_execz .LBB1345_122
; %bb.119:
	s_mov_b32 s22, 0
	s_mov_b32 s21, exec_lo
	v_cmpx_lt_u32_e64 v25, v71
	s_cbranch_execz .LBB1345_121
; %bb.120:
	v_add_f32_e32 v71, 0, v87
	v_add_f32_e32 v80, 0, v96
	v_ashrrev_i32_e32 v97, 31, v71
	v_ashrrev_i32_e32 v98, 31, v80
	v_or_b32_e32 v97, 0x80000000, v97
	v_or_b32_e32 v98, 0x80000000, v98
	v_xor_b32_e32 v71, v97, v71
	v_xor_b32_e32 v80, v98, v80
	v_cmp_le_u32_e64 s8, v71, v80
	s_and_b32 s22, s8, exec_lo
.LBB1345_121:
	s_or_b32 exec_lo, exec_lo, s21
	s_orn2_b32 s21, s22, exec_lo
.LBB1345_122:
	s_or_b32 exec_lo, exec_lo, s20
	v_cndmask_b32_e64 v24, v24, v25, s21
	v_cndmask_b32_e64 v69, v69, v86, s19
	v_cndmask_b32_e64 v39, v39, v85, s18
	v_cndmask_b32_e64 v68, v68, v84, s17
	v_cndmask_b32_e64 v70, v70, v83, s16
	v_lshl_add_u32 v24, v24, 3, v10
	v_cndmask_b32_e64 v67, v67, v82, s15
	v_cndmask_b32_e64 v66, v66, v81, s9
	;; [unrolled: 1-line block ×4, first 2 shown]
	ds_read_b64 v[24:25], v24
.LBB1345_123:
	s_or_b32 exec_lo, exec_lo, s12
	v_and_b32_e32 v81, 0xe0, v36
	v_and_b32_e32 v82, 24, v36
	s_mov_b32 s9, exec_lo
	; wave barrier
	v_or_b32_e32 v71, 16, v81
	v_min_u32_e32 v82, v27, v82
	ds_write_b32 v28, v37
	ds_write_b64 v29, v[4:5]
	ds_write_b32 v64, v66
	ds_write_b64 v65, v[8:9]
	;; [unrolled: 2-line block ×3, first 2 shown]
	ds_write_b32 v55, v70
	v_min_u32_e32 v71, v27, v71
	ds_write_b64 v50, v[16:17]
	ds_write_b32 v51, v68
	ds_write_b64 v52, v[18:19]
	ds_write_b32 v32, v39
	;; [unrolled: 2-line block ×3, first 2 shown]
	s_waitcnt lgkmcnt(14)
	ds_write_b64 v49, v[20:21]
	ds_write_b32 v30, v38
	s_waitcnt lgkmcnt(15)
	ds_write_b64 v31, v[24:25]
	; wave barrier
	v_add_nc_u32_e32 v80, 16, v71
	v_sub_nc_u32_e32 v84, v71, v81
	v_min_u32_e32 v80, v27, v80
	v_min_u32_e32 v84, v82, v84
	v_sub_nc_u32_e32 v83, v80, v71
	v_sub_nc_u32_e64 v83, v82, v83 clamp
	v_cmpx_lt_u32_e64 v83, v84
	s_cbranch_execz .LBB1345_127
; %bb.124:
	v_lshlrev_b32_e32 v85, 2, v81
	v_lshlrev_b32_e32 v86, 2, v71
	s_mov_b32 s12, 0
	v_add_co_u32 v85, null, v26, v85
	v_add_co_u32 v86, null, v26, v86
	s_inst_prefetch 0x1
	.p2align	6
.LBB1345_125:                           ; =>This Inner Loop Header: Depth=1
	v_add_nc_u32_e32 v87, v84, v83
	v_lshrrev_b32_e32 v87, 1, v87
	v_xad_u32 v96, v87, -1, v82
	v_lshl_add_u32 v97, v87, 2, v85
	v_lshl_add_u32 v96, v96, 2, v86
	ds_read_b32 v97, v97
	ds_read_b32 v96, v96
	s_waitcnt lgkmcnt(1)
	v_add_f32_e32 v97, 0, v97
	s_waitcnt lgkmcnt(0)
	v_add_f32_e32 v96, 0, v96
	v_ashrrev_i32_e32 v98, 31, v97
	v_ashrrev_i32_e32 v99, 31, v96
	v_or_b32_e32 v98, 0x80000000, v98
	v_or_b32_e32 v99, 0x80000000, v99
	v_xor_b32_e32 v97, v98, v97
	v_xor_b32_e32 v96, v99, v96
	v_add_nc_u32_e32 v98, 1, v87
	v_cmp_gt_u32_e64 s8, v96, v97
	v_cndmask_b32_e64 v84, v84, v87, s8
	v_cndmask_b32_e64 v83, v98, v83, s8
	v_cmp_ge_u32_e64 s8, v83, v84
	s_or_b32 s12, s8, s12
	s_andn2_b32 exec_lo, exec_lo, s12
	s_cbranch_execnz .LBB1345_125
; %bb.126:
	s_inst_prefetch 0x2
	s_or_b32 exec_lo, exec_lo, s12
.LBB1345_127:
	s_or_b32 exec_lo, exec_lo, s9
	v_add_nc_u32_e32 v82, v71, v82
	v_add_nc_u32_e32 v81, v83, v81
	v_sub_nc_u32_e32 v82, v82, v83
	v_cmp_le_u32_e64 s8, v81, v71
	v_cmp_le_u32_e64 s9, v82, v80
	s_or_b32 s8, s8, s9
	s_and_saveexec_b32 s12, s8
	s_cbranch_execz .LBB1345_163
; %bb.128:
	v_cmp_ge_u32_e64 s8, v81, v71
	s_mov_b32 s13, exec_lo
                                        ; implicit-def: $vgpr37
	v_cmpx_lt_u32_e64 v81, v71
; %bb.129:
	v_lshl_add_u32 v4, v81, 2, v26
	ds_read_b32 v37, v4
; %bb.130:
	s_or_b32 exec_lo, exec_lo, s13
	v_cmp_ge_u32_e64 s13, v82, v80
	s_mov_b32 s15, exec_lo
                                        ; implicit-def: $vgpr38
	v_cmpx_lt_u32_e64 v82, v80
; %bb.131:
	v_lshl_add_u32 v4, v82, 2, v26
	ds_read_b32 v38, v4
; %bb.132:
	s_or_b32 exec_lo, exec_lo, s15
	s_nor_b32 s8, s8, s13
	s_and_saveexec_b32 s9, s8
	s_cbranch_execz .LBB1345_134
; %bb.133:
	s_waitcnt lgkmcnt(0)
	v_add_f32_e32 v4, 0, v38
	v_add_f32_e32 v5, 0, v37
	s_andn2_b32 s13, s13, exec_lo
	v_ashrrev_i32_e32 v8, 31, v4
	v_ashrrev_i32_e32 v9, 31, v5
	v_or_b32_e32 v8, 0x80000000, v8
	v_or_b32_e32 v9, 0x80000000, v9
	v_xor_b32_e32 v4, v8, v4
	v_xor_b32_e32 v5, v9, v5
	v_cmp_le_u32_e64 s8, v4, v5
	s_and_b32 s8, s8, exec_lo
	s_or_b32 s13, s13, s8
.LBB1345_134:
	s_or_b32 exec_lo, exec_lo, s9
	v_cndmask_b32_e64 v4, v82, v81, s13
	v_cndmask_b32_e64 v5, v80, v71, s13
	s_mov_b32 s15, -1
	s_mov_b32 s9, -1
	s_mov_b32 s16, exec_lo
	v_add_nc_u32_e32 v8, 1, v4
	v_add_nc_u32_e32 v5, -1, v5
	v_lshl_add_u32 v4, v4, 3, v10
	v_cndmask_b32_e64 v14, v8, v82, s13
	v_min_u32_e32 v5, v8, v5
	v_cndmask_b32_e64 v15, v81, v8, s13
	v_lshl_add_u32 v5, v5, 2, v26
	ds_read_b32 v9, v5
	ds_read_b64 v[4:5], v4
	s_waitcnt lgkmcnt(1)
	v_cndmask_b32_e64 v66, v9, v38, s13
	v_cndmask_b32_e64 v81, v37, v9, s13
	v_cmpx_lt_u32_e64 v14, v80
	s_cbranch_execz .LBB1345_138
; %bb.135:
	s_mov_b32 s17, 0
	s_mov_b32 s9, exec_lo
	v_cmpx_lt_u32_e64 v15, v71
	s_cbranch_execz .LBB1345_137
; %bb.136:
	v_add_f32_e32 v8, 0, v66
	v_add_f32_e32 v9, 0, v81
	v_ashrrev_i32_e32 v16, 31, v8
	v_ashrrev_i32_e32 v17, 31, v9
	v_or_b32_e32 v16, 0x80000000, v16
	v_or_b32_e32 v17, 0x80000000, v17
	v_xor_b32_e32 v8, v16, v8
	v_xor_b32_e32 v9, v17, v9
	v_cmp_le_u32_e64 s8, v8, v9
	s_and_b32 s17, s8, exec_lo
.LBB1345_137:
	s_or_b32 exec_lo, exec_lo, s9
	s_orn2_b32 s9, s17, exec_lo
.LBB1345_138:
	s_or_b32 exec_lo, exec_lo, s16
	v_cndmask_b32_e64 v8, v14, v15, s9
	v_cndmask_b32_e64 v9, v80, v71, s9
	s_mov_b32 s16, exec_lo
	v_add_nc_u32_e32 v17, 1, v8
	v_add_nc_u32_e32 v9, -1, v9
	v_lshl_add_u32 v8, v8, 3, v10
	v_cndmask_b32_e64 v16, v17, v14, s9
	v_min_u32_e32 v9, v17, v9
	v_cndmask_b32_e64 v17, v15, v17, s9
	v_lshl_add_u32 v9, v9, 2, v26
	ds_read_b32 v18, v9
	ds_read_b64 v[8:9], v8
	s_waitcnt lgkmcnt(1)
	v_cndmask_b32_e64 v67, v18, v66, s9
	v_cndmask_b32_e64 v82, v81, v18, s9
	v_cmpx_lt_u32_e64 v16, v80
	s_cbranch_execz .LBB1345_142
; %bb.139:
	s_mov_b32 s17, 0
	s_mov_b32 s15, exec_lo
	v_cmpx_lt_u32_e64 v17, v71
	s_cbranch_execz .LBB1345_141
; %bb.140:
	v_add_f32_e32 v14, 0, v67
	v_add_f32_e32 v15, 0, v82
	v_ashrrev_i32_e32 v18, 31, v14
	v_ashrrev_i32_e32 v19, 31, v15
	v_or_b32_e32 v18, 0x80000000, v18
	v_or_b32_e32 v19, 0x80000000, v19
	v_xor_b32_e32 v14, v18, v14
	v_xor_b32_e32 v15, v19, v15
	v_cmp_le_u32_e64 s8, v14, v15
	s_and_b32 s17, s8, exec_lo
.LBB1345_141:
	s_or_b32 exec_lo, exec_lo, s15
	s_orn2_b32 s15, s17, exec_lo
.LBB1345_142:
	s_or_b32 exec_lo, exec_lo, s16
	v_cndmask_b32_e64 v14, v16, v17, s15
	v_cndmask_b32_e64 v15, v80, v71, s15
	s_mov_b32 s17, -1
	s_mov_b32 s16, -1
	s_mov_b32 s18, exec_lo
	v_add_nc_u32_e32 v19, 1, v14
	v_add_nc_u32_e32 v15, -1, v15
	v_lshl_add_u32 v14, v14, 3, v10
	v_cndmask_b32_e64 v18, v19, v16, s15
	v_min_u32_e32 v15, v19, v15
	v_cndmask_b32_e64 v19, v17, v19, s15
	v_lshl_add_u32 v15, v15, 2, v26
	ds_read_b32 v20, v15
	ds_read_b64 v[14:15], v14
	s_waitcnt lgkmcnt(1)
	v_cndmask_b32_e64 v70, v20, v67, s15
	v_cndmask_b32_e64 v83, v82, v20, s15
	v_cmpx_lt_u32_e64 v18, v80
	s_cbranch_execz .LBB1345_146
; %bb.143:
	s_mov_b32 s19, 0
	s_mov_b32 s16, exec_lo
	v_cmpx_lt_u32_e64 v19, v71
	s_cbranch_execz .LBB1345_145
; %bb.144:
	v_add_f32_e32 v16, 0, v70
	v_add_f32_e32 v17, 0, v83
	v_ashrrev_i32_e32 v20, 31, v16
	v_ashrrev_i32_e32 v21, 31, v17
	v_or_b32_e32 v20, 0x80000000, v20
	v_or_b32_e32 v21, 0x80000000, v21
	v_xor_b32_e32 v16, v20, v16
	v_xor_b32_e32 v17, v21, v17
	v_cmp_le_u32_e64 s8, v16, v17
	s_and_b32 s19, s8, exec_lo
.LBB1345_145:
	s_or_b32 exec_lo, exec_lo, s16
	s_orn2_b32 s16, s19, exec_lo
.LBB1345_146:
	s_or_b32 exec_lo, exec_lo, s18
	v_cndmask_b32_e64 v16, v18, v19, s16
	v_cndmask_b32_e64 v17, v80, v71, s16
	s_mov_b32 s18, exec_lo
	v_add_nc_u32_e32 v21, 1, v16
	v_add_nc_u32_e32 v17, -1, v17
	v_lshl_add_u32 v16, v16, 3, v10
	v_cndmask_b32_e64 v20, v21, v18, s16
	v_min_u32_e32 v17, v21, v17
	v_cndmask_b32_e64 v21, v19, v21, s16
	v_lshl_add_u32 v17, v17, 2, v26
	ds_read_b32 v22, v17
	ds_read_b64 v[16:17], v16
	s_waitcnt lgkmcnt(1)
	v_cndmask_b32_e64 v68, v22, v70, s16
	v_cndmask_b32_e64 v84, v83, v22, s16
	v_cmpx_lt_u32_e64 v20, v80
	s_cbranch_execz .LBB1345_150
; %bb.147:
	s_mov_b32 s19, 0
	s_mov_b32 s17, exec_lo
	v_cmpx_lt_u32_e64 v21, v71
	s_cbranch_execz .LBB1345_149
; %bb.148:
	v_add_f32_e32 v18, 0, v68
	v_add_f32_e32 v19, 0, v84
	v_ashrrev_i32_e32 v22, 31, v18
	v_ashrrev_i32_e32 v23, 31, v19
	v_or_b32_e32 v22, 0x80000000, v22
	v_or_b32_e32 v23, 0x80000000, v23
	v_xor_b32_e32 v18, v22, v18
	v_xor_b32_e32 v19, v23, v19
	v_cmp_le_u32_e64 s8, v18, v19
	s_and_b32 s19, s8, exec_lo
.LBB1345_149:
	s_or_b32 exec_lo, exec_lo, s17
	s_orn2_b32 s17, s19, exec_lo
.LBB1345_150:
	s_or_b32 exec_lo, exec_lo, s18
	v_cndmask_b32_e64 v18, v20, v21, s17
	v_cndmask_b32_e64 v19, v80, v71, s17
	s_mov_b32 s19, -1
	s_mov_b32 s18, -1
	s_mov_b32 s20, exec_lo
	v_add_nc_u32_e32 v22, 1, v18
	v_add_nc_u32_e32 v19, -1, v19
	v_lshl_add_u32 v18, v18, 3, v10
	v_cndmask_b32_e64 v20, v22, v20, s17
	v_min_u32_e32 v19, v22, v19
	v_cndmask_b32_e64 v21, v21, v22, s17
	v_lshl_add_u32 v19, v19, 2, v26
	ds_read_b32 v23, v19
	ds_read_b64 v[18:19], v18
	s_waitcnt lgkmcnt(1)
	v_cndmask_b32_e64 v39, v23, v68, s17
	v_cndmask_b32_e64 v85, v84, v23, s17
	v_cmpx_lt_u32_e64 v20, v80
	s_cbranch_execz .LBB1345_154
; %bb.151:
	s_mov_b32 s21, 0
	s_mov_b32 s18, exec_lo
	v_cmpx_lt_u32_e64 v21, v71
	s_cbranch_execz .LBB1345_153
; %bb.152:
	v_add_f32_e32 v22, 0, v39
	v_add_f32_e32 v23, 0, v85
	v_ashrrev_i32_e32 v24, 31, v22
	v_ashrrev_i32_e32 v25, 31, v23
	v_or_b32_e32 v24, 0x80000000, v24
	v_or_b32_e32 v25, 0x80000000, v25
	v_xor_b32_e32 v22, v24, v22
	v_xor_b32_e32 v23, v25, v23
	v_cmp_le_u32_e64 s8, v22, v23
	s_and_b32 s21, s8, exec_lo
.LBB1345_153:
	s_or_b32 exec_lo, exec_lo, s18
	s_orn2_b32 s18, s21, exec_lo
.LBB1345_154:
	s_or_b32 exec_lo, exec_lo, s20
	v_cndmask_b32_e64 v22, v20, v21, s18
	v_cndmask_b32_e64 v23, v80, v71, s18
	s_mov_b32 s20, exec_lo
	v_add_nc_u32_e32 v25, 1, v22
	v_add_nc_u32_e32 v23, -1, v23
	v_lshl_add_u32 v22, v22, 3, v10
	v_cndmask_b32_e64 v24, v25, v20, s18
	v_min_u32_e32 v23, v25, v23
	v_cndmask_b32_e64 v25, v21, v25, s18
	v_lshl_add_u32 v23, v23, 2, v26
	ds_read_b32 v86, v23
	ds_read_b64 v[22:23], v22
	s_waitcnt lgkmcnt(1)
	v_cndmask_b32_e64 v69, v86, v39, s18
	v_cndmask_b32_e64 v86, v85, v86, s18
	v_cmpx_lt_u32_e64 v24, v80
	s_cbranch_execz .LBB1345_158
; %bb.155:
	s_mov_b32 s21, 0
	s_mov_b32 s19, exec_lo
	v_cmpx_lt_u32_e64 v25, v71
	s_cbranch_execz .LBB1345_157
; %bb.156:
	v_add_f32_e32 v20, 0, v69
	v_add_f32_e32 v21, 0, v86
	v_ashrrev_i32_e32 v87, 31, v20
	v_ashrrev_i32_e32 v96, 31, v21
	v_or_b32_e32 v87, 0x80000000, v87
	v_or_b32_e32 v96, 0x80000000, v96
	v_xor_b32_e32 v20, v87, v20
	v_xor_b32_e32 v21, v96, v21
	v_cmp_le_u32_e64 s8, v20, v21
	s_and_b32 s21, s8, exec_lo
.LBB1345_157:
	s_or_b32 exec_lo, exec_lo, s19
	s_orn2_b32 s19, s21, exec_lo
.LBB1345_158:
	s_or_b32 exec_lo, exec_lo, s20
	v_cndmask_b32_e64 v20, v24, v25, s19
	v_cndmask_b32_e64 v21, v80, v71, s19
	s_mov_b32 s21, -1
	s_mov_b32 s20, exec_lo
	v_add_nc_u32_e32 v87, 1, v20
	v_add_nc_u32_e32 v21, -1, v21
	v_lshl_add_u32 v20, v20, 3, v10
	v_cndmask_b32_e64 v24, v87, v24, s19
	v_min_u32_e32 v21, v87, v21
	v_cndmask_b32_e64 v25, v25, v87, s19
	v_lshl_add_u32 v21, v21, 2, v26
	ds_read_b32 v96, v21
	ds_read_b64 v[20:21], v20
	s_waitcnt lgkmcnt(1)
	v_cndmask_b32_e64 v87, v96, v69, s19
	v_cndmask_b32_e64 v96, v86, v96, s19
	v_cmpx_lt_u32_e64 v24, v80
	s_cbranch_execz .LBB1345_162
; %bb.159:
	s_mov_b32 s22, 0
	s_mov_b32 s21, exec_lo
	v_cmpx_lt_u32_e64 v25, v71
	s_cbranch_execz .LBB1345_161
; %bb.160:
	v_add_f32_e32 v71, 0, v87
	v_add_f32_e32 v80, 0, v96
	v_ashrrev_i32_e32 v97, 31, v71
	v_ashrrev_i32_e32 v98, 31, v80
	v_or_b32_e32 v97, 0x80000000, v97
	v_or_b32_e32 v98, 0x80000000, v98
	v_xor_b32_e32 v71, v97, v71
	v_xor_b32_e32 v80, v98, v80
	v_cmp_le_u32_e64 s8, v71, v80
	s_and_b32 s22, s8, exec_lo
.LBB1345_161:
	s_or_b32 exec_lo, exec_lo, s21
	s_orn2_b32 s21, s22, exec_lo
.LBB1345_162:
	s_or_b32 exec_lo, exec_lo, s20
	v_cndmask_b32_e64 v24, v24, v25, s21
	v_cndmask_b32_e64 v69, v69, v86, s19
	;; [unrolled: 1-line block ×5, first 2 shown]
	v_lshl_add_u32 v24, v24, 3, v10
	v_cndmask_b32_e64 v67, v67, v82, s15
	v_cndmask_b32_e64 v66, v66, v81, s9
	;; [unrolled: 1-line block ×4, first 2 shown]
	ds_read_b64 v[24:25], v24
.LBB1345_163:
	s_or_b32 exec_lo, exec_lo, s12
	v_and_b32_e32 v71, 0xc0, v36
	; wave barrier
	ds_write_b32 v28, v37
	ds_write_b64 v29, v[4:5]
	ds_write_b32 v64, v66
	ds_write_b64 v65, v[8:9]
	s_mov_b32 s9, exec_lo
	v_or_b32_e32 v36, 32, v71
	ds_write_b32 v53, v67
	ds_write_b64 v54, v[14:15]
	ds_write_b32 v55, v70
	ds_write_b64 v50, v[16:17]
	;; [unrolled: 2-line block ×4, first 2 shown]
	ds_write_b32 v48, v69
	s_waitcnt lgkmcnt(14)
	ds_write_b64 v49, v[20:21]
	ds_write_b32 v30, v38
	s_waitcnt lgkmcnt(15)
	ds_write_b64 v31, v[24:25]
	v_min_u32_e32 v36, v27, v36
	; wave barrier
	v_add_nc_u32_e32 v80, 32, v36
	v_min_u32_e32 v28, v27, v80
	v_min_u32_e32 v27, v27, v35
	v_sub_nc_u32_e32 v35, v36, v71
	v_sub_nc_u32_e32 v29, v28, v36
	v_min_u32_e32 v35, v27, v35
	v_sub_nc_u32_e64 v29, v27, v29 clamp
	v_cmpx_lt_u32_e64 v29, v35
	s_cbranch_execz .LBB1345_167
; %bb.164:
	v_lshlrev_b32_e32 v30, 2, v71
	v_lshlrev_b32_e32 v31, 2, v36
	s_mov_b32 s12, 0
	v_add_co_u32 v30, null, v26, v30
	v_add_co_u32 v31, null, v26, v31
	s_inst_prefetch 0x1
	.p2align	6
.LBB1345_165:                           ; =>This Inner Loop Header: Depth=1
	v_add_nc_u32_e32 v32, v35, v29
	v_lshrrev_b32_e32 v32, 1, v32
	v_xad_u32 v33, v32, -1, v27
	v_lshl_add_u32 v48, v32, 2, v30
	v_lshl_add_u32 v33, v33, 2, v31
	ds_read_b32 v48, v48
	ds_read_b32 v33, v33
	s_waitcnt lgkmcnt(1)
	v_add_f32_e32 v48, 0, v48
	s_waitcnt lgkmcnt(0)
	v_add_f32_e32 v33, 0, v33
	v_ashrrev_i32_e32 v49, 31, v48
	v_ashrrev_i32_e32 v50, 31, v33
	v_or_b32_e32 v49, 0x80000000, v49
	v_or_b32_e32 v50, 0x80000000, v50
	v_xor_b32_e32 v48, v49, v48
	v_xor_b32_e32 v33, v50, v33
	v_add_nc_u32_e32 v49, 1, v32
	v_cmp_gt_u32_e64 s8, v33, v48
	v_cndmask_b32_e64 v35, v35, v32, s8
	v_cndmask_b32_e64 v29, v49, v29, s8
	v_cmp_ge_u32_e64 s8, v29, v35
	s_or_b32 s12, s8, s12
	s_andn2_b32 exec_lo, exec_lo, s12
	s_cbranch_execnz .LBB1345_165
; %bb.166:
	s_inst_prefetch 0x2
	s_or_b32 exec_lo, exec_lo, s12
.LBB1345_167:
	s_or_b32 exec_lo, exec_lo, s9
	v_add_nc_u32_e32 v27, v36, v27
	v_add_nc_u32_e32 v30, v29, v71
	v_sub_nc_u32_e32 v31, v27, v29
	v_cmp_le_u32_e64 s8, v30, v36
	v_cmp_le_u32_e64 s9, v31, v28
	s_or_b32 s8, s8, s9
	s_and_saveexec_b32 s12, s8
	s_cbranch_execz .LBB1345_203
; %bb.168:
	v_cmp_ge_u32_e64 s8, v30, v36
	s_mov_b32 s13, exec_lo
                                        ; implicit-def: $vgpr27
	v_cmpx_lt_u32_e64 v30, v36
; %bb.169:
	v_lshl_add_u32 v4, v30, 2, v26
	ds_read_b32 v27, v4
; %bb.170:
	s_or_b32 exec_lo, exec_lo, s13
	v_cmp_ge_u32_e64 s13, v31, v28
	s_mov_b32 s15, exec_lo
                                        ; implicit-def: $vgpr29
	v_cmpx_lt_u32_e64 v31, v28
; %bb.171:
	v_lshl_add_u32 v4, v31, 2, v26
	ds_read_b32 v29, v4
; %bb.172:
	s_or_b32 exec_lo, exec_lo, s15
	s_nor_b32 s8, s8, s13
	s_and_saveexec_b32 s9, s8
	s_cbranch_execz .LBB1345_174
; %bb.173:
	s_waitcnt lgkmcnt(0)
	v_add_f32_e32 v4, 0, v29
	v_add_f32_e32 v5, 0, v27
	s_andn2_b32 s13, s13, exec_lo
	v_ashrrev_i32_e32 v8, 31, v4
	v_ashrrev_i32_e32 v9, 31, v5
	v_or_b32_e32 v8, 0x80000000, v8
	v_or_b32_e32 v9, 0x80000000, v9
	v_xor_b32_e32 v4, v8, v4
	v_xor_b32_e32 v5, v9, v5
	v_cmp_le_u32_e64 s8, v4, v5
	s_and_b32 s8, s8, exec_lo
	s_or_b32 s13, s13, s8
.LBB1345_174:
	s_or_b32 exec_lo, exec_lo, s9
	v_cndmask_b32_e64 v4, v31, v30, s13
	v_cndmask_b32_e64 v5, v28, v36, s13
	s_mov_b32 s15, -1
	s_mov_b32 s9, -1
	s_mov_b32 s16, exec_lo
	v_add_nc_u32_e32 v8, 1, v4
	v_add_nc_u32_e32 v5, -1, v5
	v_lshl_add_u32 v4, v4, 3, v10
	v_cndmask_b32_e64 v14, v8, v31, s13
	v_min_u32_e32 v5, v8, v5
	v_cndmask_b32_e64 v15, v30, v8, s13
	v_lshl_add_u32 v5, v5, 2, v26
	ds_read_b32 v9, v5
	ds_read_b64 v[4:5], v4
	s_waitcnt lgkmcnt(1)
	v_cndmask_b32_e64 v30, v9, v29, s13
	v_cndmask_b32_e64 v31, v27, v9, s13
	v_cmpx_lt_u32_e64 v14, v28
	s_cbranch_execz .LBB1345_178
; %bb.175:
	s_mov_b32 s17, 0
	s_mov_b32 s9, exec_lo
	v_cmpx_lt_u32_e64 v15, v36
	s_cbranch_execz .LBB1345_177
; %bb.176:
	v_add_f32_e32 v8, 0, v30
	v_add_f32_e32 v9, 0, v31
	v_ashrrev_i32_e32 v16, 31, v8
	v_ashrrev_i32_e32 v17, 31, v9
	v_or_b32_e32 v16, 0x80000000, v16
	v_or_b32_e32 v17, 0x80000000, v17
	v_xor_b32_e32 v8, v16, v8
	v_xor_b32_e32 v9, v17, v9
	v_cmp_le_u32_e64 s8, v8, v9
	s_and_b32 s17, s8, exec_lo
.LBB1345_177:
	s_or_b32 exec_lo, exec_lo, s9
	s_orn2_b32 s9, s17, exec_lo
.LBB1345_178:
	s_or_b32 exec_lo, exec_lo, s16
	v_cndmask_b32_e64 v8, v14, v15, s9
	v_cndmask_b32_e64 v9, v28, v36, s9
	s_mov_b32 s16, exec_lo
	v_add_nc_u32_e32 v17, 1, v8
	v_add_nc_u32_e32 v9, -1, v9
	v_lshl_add_u32 v8, v8, 3, v10
	v_cndmask_b32_e64 v16, v17, v14, s9
	v_min_u32_e32 v9, v17, v9
	v_cndmask_b32_e64 v17, v15, v17, s9
	v_lshl_add_u32 v9, v9, 2, v26
	ds_read_b32 v18, v9
	ds_read_b64 v[8:9], v8
	s_waitcnt lgkmcnt(1)
	v_cndmask_b32_e64 v32, v18, v30, s9
	v_cndmask_b32_e64 v33, v31, v18, s9
	v_cmpx_lt_u32_e64 v16, v28
	s_cbranch_execz .LBB1345_182
; %bb.179:
	s_mov_b32 s17, 0
	s_mov_b32 s15, exec_lo
	v_cmpx_lt_u32_e64 v17, v36
	s_cbranch_execz .LBB1345_181
; %bb.180:
	v_add_f32_e32 v14, 0, v32
	v_add_f32_e32 v15, 0, v33
	v_ashrrev_i32_e32 v18, 31, v14
	v_ashrrev_i32_e32 v19, 31, v15
	v_or_b32_e32 v18, 0x80000000, v18
	v_or_b32_e32 v19, 0x80000000, v19
	v_xor_b32_e32 v14, v18, v14
	v_xor_b32_e32 v15, v19, v15
	v_cmp_le_u32_e64 s8, v14, v15
	s_and_b32 s17, s8, exec_lo
.LBB1345_181:
	s_or_b32 exec_lo, exec_lo, s15
	s_orn2_b32 s15, s17, exec_lo
.LBB1345_182:
	s_or_b32 exec_lo, exec_lo, s16
	v_cndmask_b32_e64 v14, v16, v17, s15
	v_cndmask_b32_e64 v15, v28, v36, s15
	s_mov_b32 s17, -1
	s_mov_b32 s16, -1
	s_mov_b32 s18, exec_lo
	v_add_nc_u32_e32 v19, 1, v14
	v_add_nc_u32_e32 v15, -1, v15
	v_lshl_add_u32 v14, v14, 3, v10
	v_cndmask_b32_e64 v18, v19, v16, s15
	v_min_u32_e32 v15, v19, v15
	v_cndmask_b32_e64 v19, v17, v19, s15
	v_lshl_add_u32 v15, v15, 2, v26
	ds_read_b32 v20, v15
	ds_read_b64 v[14:15], v14
	s_waitcnt lgkmcnt(1)
	v_cndmask_b32_e64 v35, v20, v32, s15
	v_cndmask_b32_e64 v37, v33, v20, s15
	v_cmpx_lt_u32_e64 v18, v28
	s_cbranch_execz .LBB1345_186
; %bb.183:
	s_mov_b32 s19, 0
	s_mov_b32 s16, exec_lo
	v_cmpx_lt_u32_e64 v19, v36
	s_cbranch_execz .LBB1345_185
; %bb.184:
	v_add_f32_e32 v16, 0, v35
	v_add_f32_e32 v17, 0, v37
	v_ashrrev_i32_e32 v20, 31, v16
	v_ashrrev_i32_e32 v21, 31, v17
	v_or_b32_e32 v20, 0x80000000, v20
	v_or_b32_e32 v21, 0x80000000, v21
	v_xor_b32_e32 v16, v20, v16
	v_xor_b32_e32 v17, v21, v17
	v_cmp_le_u32_e64 s8, v16, v17
	s_and_b32 s19, s8, exec_lo
.LBB1345_185:
	s_or_b32 exec_lo, exec_lo, s16
	s_orn2_b32 s16, s19, exec_lo
.LBB1345_186:
	s_or_b32 exec_lo, exec_lo, s18
	v_cndmask_b32_e64 v16, v18, v19, s16
	v_cndmask_b32_e64 v17, v28, v36, s16
	s_mov_b32 s18, exec_lo
	v_add_nc_u32_e32 v21, 1, v16
	v_add_nc_u32_e32 v17, -1, v17
	v_lshl_add_u32 v16, v16, 3, v10
	v_cndmask_b32_e64 v20, v21, v18, s16
	v_min_u32_e32 v17, v21, v17
	v_cndmask_b32_e64 v21, v19, v21, s16
	v_lshl_add_u32 v17, v17, 2, v26
	ds_read_b32 v22, v17
	ds_read_b64 v[16:17], v16
	s_waitcnt lgkmcnt(1)
	v_cndmask_b32_e64 v38, v22, v35, s16
	v_cndmask_b32_e64 v48, v37, v22, s16
	v_cmpx_lt_u32_e64 v20, v28
	s_cbranch_execz .LBB1345_190
; %bb.187:
	s_mov_b32 s19, 0
	s_mov_b32 s17, exec_lo
	v_cmpx_lt_u32_e64 v21, v36
	s_cbranch_execz .LBB1345_189
; %bb.188:
	v_add_f32_e32 v18, 0, v38
	v_add_f32_e32 v19, 0, v48
	v_ashrrev_i32_e32 v22, 31, v18
	v_ashrrev_i32_e32 v23, 31, v19
	v_or_b32_e32 v22, 0x80000000, v22
	v_or_b32_e32 v23, 0x80000000, v23
	v_xor_b32_e32 v18, v22, v18
	v_xor_b32_e32 v19, v23, v19
	v_cmp_le_u32_e64 s8, v18, v19
	s_and_b32 s19, s8, exec_lo
.LBB1345_189:
	s_or_b32 exec_lo, exec_lo, s17
	s_orn2_b32 s17, s19, exec_lo
.LBB1345_190:
	s_or_b32 exec_lo, exec_lo, s18
	v_cndmask_b32_e64 v18, v20, v21, s17
	v_cndmask_b32_e64 v19, v28, v36, s17
	s_mov_b32 s19, -1
	s_mov_b32 s18, -1
	s_mov_b32 s20, exec_lo
	v_add_nc_u32_e32 v22, 1, v18
	v_add_nc_u32_e32 v19, -1, v19
	v_lshl_add_u32 v18, v18, 3, v10
	v_cndmask_b32_e64 v20, v22, v20, s17
	v_min_u32_e32 v19, v22, v19
	v_cndmask_b32_e64 v21, v21, v22, s17
	v_lshl_add_u32 v19, v19, 2, v26
	ds_read_b32 v23, v19
	ds_read_b64 v[18:19], v18
	s_waitcnt lgkmcnt(1)
	v_cndmask_b32_e64 v39, v23, v38, s17
	v_cndmask_b32_e64 v49, v48, v23, s17
	v_cmpx_lt_u32_e64 v20, v28
	s_cbranch_execz .LBB1345_194
; %bb.191:
	s_mov_b32 s21, 0
	s_mov_b32 s18, exec_lo
	v_cmpx_lt_u32_e64 v21, v36
	s_cbranch_execz .LBB1345_193
; %bb.192:
	v_add_f32_e32 v22, 0, v39
	v_add_f32_e32 v23, 0, v49
	v_ashrrev_i32_e32 v24, 31, v22
	v_ashrrev_i32_e32 v25, 31, v23
	v_or_b32_e32 v24, 0x80000000, v24
	v_or_b32_e32 v25, 0x80000000, v25
	v_xor_b32_e32 v22, v24, v22
	v_xor_b32_e32 v23, v25, v23
	v_cmp_le_u32_e64 s8, v22, v23
	s_and_b32 s21, s8, exec_lo
.LBB1345_193:
	s_or_b32 exec_lo, exec_lo, s18
	s_orn2_b32 s18, s21, exec_lo
.LBB1345_194:
	s_or_b32 exec_lo, exec_lo, s20
	v_cndmask_b32_e64 v22, v20, v21, s18
	v_cndmask_b32_e64 v23, v28, v36, s18
	s_mov_b32 s20, exec_lo
	v_add_nc_u32_e32 v25, 1, v22
	v_add_nc_u32_e32 v23, -1, v23
	v_lshl_add_u32 v22, v22, 3, v10
	v_cndmask_b32_e64 v24, v25, v20, s18
	v_min_u32_e32 v23, v25, v23
	v_cndmask_b32_e64 v25, v21, v25, s18
	v_lshl_add_u32 v23, v23, 2, v26
	ds_read_b32 v51, v23
	ds_read_b64 v[22:23], v22
	s_waitcnt lgkmcnt(1)
	v_cndmask_b32_e64 v50, v51, v39, s18
	v_cndmask_b32_e64 v51, v49, v51, s18
	v_cmpx_lt_u32_e64 v24, v28
	s_cbranch_execz .LBB1345_198
; %bb.195:
	s_mov_b32 s21, 0
	s_mov_b32 s19, exec_lo
	v_cmpx_lt_u32_e64 v25, v36
	s_cbranch_execz .LBB1345_197
; %bb.196:
	v_add_f32_e32 v20, 0, v50
	v_add_f32_e32 v21, 0, v51
	v_ashrrev_i32_e32 v52, 31, v20
	v_ashrrev_i32_e32 v53, 31, v21
	v_or_b32_e32 v52, 0x80000000, v52
	v_or_b32_e32 v53, 0x80000000, v53
	v_xor_b32_e32 v20, v52, v20
	v_xor_b32_e32 v21, v53, v21
	v_cmp_le_u32_e64 s8, v20, v21
	s_and_b32 s21, s8, exec_lo
.LBB1345_197:
	s_or_b32 exec_lo, exec_lo, s19
	s_orn2_b32 s19, s21, exec_lo
.LBB1345_198:
	s_or_b32 exec_lo, exec_lo, s20
	v_cndmask_b32_e64 v20, v24, v25, s19
	v_cndmask_b32_e64 v21, v28, v36, s19
	s_mov_b32 s21, -1
	s_mov_b32 s20, exec_lo
	v_add_nc_u32_e32 v52, 1, v20
	v_add_nc_u32_e32 v21, -1, v21
	v_lshl_add_u32 v20, v20, 3, v10
	v_cndmask_b32_e64 v24, v52, v24, s19
	v_min_u32_e32 v21, v52, v21
	v_cndmask_b32_e64 v25, v25, v52, s19
	v_lshl_add_u32 v21, v21, 2, v26
	ds_read_b32 v53, v21
	ds_read_b64 v[20:21], v20
	s_waitcnt lgkmcnt(1)
	v_cndmask_b32_e64 v26, v53, v50, s19
	v_cndmask_b32_e64 v52, v51, v53, s19
	v_cmpx_lt_u32_e64 v24, v28
	s_cbranch_execz .LBB1345_202
; %bb.199:
	s_mov_b32 s22, 0
	s_mov_b32 s21, exec_lo
	v_cmpx_lt_u32_e64 v25, v36
	s_cbranch_execz .LBB1345_201
; %bb.200:
	v_add_f32_e32 v28, 0, v26
	v_add_f32_e32 v36, 0, v52
	v_ashrrev_i32_e32 v53, 31, v28
	v_ashrrev_i32_e32 v54, 31, v36
	v_or_b32_e32 v53, 0x80000000, v53
	v_or_b32_e32 v54, 0x80000000, v54
	v_xor_b32_e32 v28, v53, v28
	v_xor_b32_e32 v36, v54, v36
	v_cmp_le_u32_e64 s8, v28, v36
	s_and_b32 s22, s8, exec_lo
.LBB1345_201:
	s_or_b32 exec_lo, exec_lo, s21
	s_orn2_b32 s21, s22, exec_lo
.LBB1345_202:
	s_or_b32 exec_lo, exec_lo, s20
	v_cndmask_b32_e64 v24, v24, v25, s21
	v_cndmask_b32_e64 v69, v50, v51, s19
	;; [unrolled: 1-line block ×5, first 2 shown]
	v_lshl_add_u32 v10, v24, 3, v10
	v_cndmask_b32_e64 v67, v32, v33, s15
	v_cndmask_b32_e64 v66, v30, v31, s9
	v_cndmask_b32_e64 v37, v29, v27, s13
	v_cndmask_b32_e64 v38, v26, v52, s21
	ds_read_b64 v[24:25], v10
.LBB1345_203:
	s_or_b32 exec_lo, exec_lo, s12
	v_add_co_u32 v2, s8, v2, v12
	v_add_co_ci_u32_e64 v3, null, v3, v13, s8
	v_add_co_u32 v2, s8, v2, v34
	v_add_co_ci_u32_e64 v3, null, 0, v3, s8
	; wave barrier
	s_waitcnt lgkmcnt(0)
	s_waitcnt_vscnt null, 0x0
	s_barrier
	buffer_gl0_inv
	; wave barrier
	s_and_saveexec_b32 s8, vcc_lo
	s_cbranch_execnz .LBB1345_228
; %bb.204:
	s_or_b32 exec_lo, exec_lo, s8
	s_and_saveexec_b32 s8, s4
	s_cbranch_execnz .LBB1345_229
.LBB1345_205:
	s_or_b32 exec_lo, exec_lo, s8
	s_and_saveexec_b32 s8, s5
	s_cbranch_execnz .LBB1345_230
.LBB1345_206:
	s_or_b32 exec_lo, exec_lo, s8
	s_and_saveexec_b32 s8, s6
	s_cbranch_execnz .LBB1345_231
.LBB1345_207:
	s_or_b32 exec_lo, exec_lo, s8
	s_and_saveexec_b32 s8, s7
	s_cbranch_execnz .LBB1345_232
.LBB1345_208:
	s_or_b32 exec_lo, exec_lo, s8
	s_and_saveexec_b32 s8, s10
	s_cbranch_execnz .LBB1345_233
.LBB1345_209:
	s_or_b32 exec_lo, exec_lo, s8
	s_and_saveexec_b32 s8, s11
	s_cbranch_execnz .LBB1345_234
.LBB1345_210:
	s_or_b32 exec_lo, exec_lo, s8
	s_and_saveexec_b32 s8, s14
	s_cbranch_execz .LBB1345_212
.LBB1345_211:
	flat_store_dword v[2:3], v38 offset:28
.LBB1345_212:
	s_or_b32 exec_lo, exec_lo, s8
	v_add_co_u32 v0, s8, v6, v0
	v_add_co_ci_u32_e64 v1, null, v7, v1, s8
	v_add_co_u32 v0, s8, v0, v11
	v_add_co_ci_u32_e64 v1, null, 0, v1, s8
	; wave barrier
	s_and_saveexec_b32 s8, vcc_lo
	s_cbranch_execnz .LBB1345_235
; %bb.213:
	s_or_b32 exec_lo, exec_lo, s8
	s_and_saveexec_b32 s8, s4
	s_cbranch_execnz .LBB1345_236
.LBB1345_214:
	s_or_b32 exec_lo, exec_lo, s8
	s_and_saveexec_b32 s4, s5
	s_cbranch_execnz .LBB1345_237
.LBB1345_215:
	s_or_b32 exec_lo, exec_lo, s4
	s_and_saveexec_b32 s4, s6
	s_cbranch_execnz .LBB1345_238
.LBB1345_216:
	s_or_b32 exec_lo, exec_lo, s4
	s_and_saveexec_b32 s4, s7
	s_cbranch_execnz .LBB1345_239
.LBB1345_217:
	s_or_b32 exec_lo, exec_lo, s4
	s_and_saveexec_b32 s4, s10
	s_cbranch_execnz .LBB1345_240
.LBB1345_218:
	s_or_b32 exec_lo, exec_lo, s4
	s_and_saveexec_b32 s4, s11
	s_cbranch_execnz .LBB1345_241
.LBB1345_219:
	s_or_b32 exec_lo, exec_lo, s4
	s_and_saveexec_b32 s4, s14
	s_cbranch_execnz .LBB1345_242
.LBB1345_220:
	s_or_b32 exec_lo, exec_lo, s4
	s_waitcnt lgkmcnt(0)
	s_setpc_b64 s[30:31]
.LBB1345_221:
	flat_load_dwordx2 v[4:5], v[26:27]
	s_or_b32 exec_lo, exec_lo, s15
                                        ; implicit-def: $vgpr8_vgpr9
	s_and_saveexec_b32 s15, s4
	s_cbranch_execz .LBB1345_18
.LBB1345_222:
	flat_load_dwordx2 v[8:9], v[26:27] offset:8
	s_or_b32 exec_lo, exec_lo, s15
                                        ; implicit-def: $vgpr14_vgpr15
	s_and_saveexec_b32 s15, s5
	s_cbranch_execz .LBB1345_19
.LBB1345_223:
	flat_load_dwordx2 v[14:15], v[26:27] offset:16
	s_or_b32 exec_lo, exec_lo, s15
                                        ; implicit-def: $vgpr16_vgpr17
	s_and_saveexec_b32 s15, s6
	s_cbranch_execz .LBB1345_20
.LBB1345_224:
	flat_load_dwordx2 v[16:17], v[26:27] offset:24
	s_or_b32 exec_lo, exec_lo, s15
                                        ; implicit-def: $vgpr18_vgpr19
	s_and_saveexec_b32 s15, s7
	s_cbranch_execz .LBB1345_21
.LBB1345_225:
	flat_load_dwordx2 v[18:19], v[26:27] offset:32
	s_or_b32 exec_lo, exec_lo, s15
                                        ; implicit-def: $vgpr22_vgpr23
	s_and_saveexec_b32 s15, s10
	s_cbranch_execz .LBB1345_22
.LBB1345_226:
	flat_load_dwordx2 v[22:23], v[26:27] offset:40
	s_or_b32 exec_lo, exec_lo, s15
                                        ; implicit-def: $vgpr20_vgpr21
	s_and_saveexec_b32 s15, s11
	s_cbranch_execz .LBB1345_23
.LBB1345_227:
	flat_load_dwordx2 v[20:21], v[26:27] offset:48
	s_or_b32 exec_lo, exec_lo, s15
                                        ; implicit-def: $vgpr24_vgpr25
	s_and_saveexec_b32 s15, s14
	s_cbranch_execnz .LBB1345_24
	s_branch .LBB1345_25
.LBB1345_228:
	flat_store_dword v[2:3], v37
	s_or_b32 exec_lo, exec_lo, s8
	s_and_saveexec_b32 s8, s4
	s_cbranch_execz .LBB1345_205
.LBB1345_229:
	flat_store_dword v[2:3], v66 offset:4
	s_or_b32 exec_lo, exec_lo, s8
	s_and_saveexec_b32 s8, s5
	s_cbranch_execz .LBB1345_206
.LBB1345_230:
	flat_store_dword v[2:3], v67 offset:8
	s_or_b32 exec_lo, exec_lo, s8
	s_and_saveexec_b32 s8, s6
	s_cbranch_execz .LBB1345_207
.LBB1345_231:
	flat_store_dword v[2:3], v70 offset:12
	s_or_b32 exec_lo, exec_lo, s8
	s_and_saveexec_b32 s8, s7
	s_cbranch_execz .LBB1345_208
.LBB1345_232:
	flat_store_dword v[2:3], v68 offset:16
	s_or_b32 exec_lo, exec_lo, s8
	s_and_saveexec_b32 s8, s10
	s_cbranch_execz .LBB1345_209
.LBB1345_233:
	flat_store_dword v[2:3], v39 offset:20
	s_or_b32 exec_lo, exec_lo, s8
	s_and_saveexec_b32 s8, s11
	s_cbranch_execz .LBB1345_210
.LBB1345_234:
	flat_store_dword v[2:3], v69 offset:24
	s_or_b32 exec_lo, exec_lo, s8
	s_and_saveexec_b32 s8, s14
	s_cbranch_execnz .LBB1345_211
	s_branch .LBB1345_212
.LBB1345_235:
	flat_store_dwordx2 v[0:1], v[4:5]
	s_or_b32 exec_lo, exec_lo, s8
	s_and_saveexec_b32 s8, s4
	s_cbranch_execz .LBB1345_214
.LBB1345_236:
	flat_store_dwordx2 v[0:1], v[8:9] offset:8
	s_or_b32 exec_lo, exec_lo, s8
	s_and_saveexec_b32 s4, s5
	s_cbranch_execz .LBB1345_215
.LBB1345_237:
	flat_store_dwordx2 v[0:1], v[14:15] offset:16
	s_or_b32 exec_lo, exec_lo, s4
	s_and_saveexec_b32 s4, s6
	s_cbranch_execz .LBB1345_216
.LBB1345_238:
	flat_store_dwordx2 v[0:1], v[16:17] offset:24
	s_or_b32 exec_lo, exec_lo, s4
	s_and_saveexec_b32 s4, s7
	s_cbranch_execz .LBB1345_217
.LBB1345_239:
	flat_store_dwordx2 v[0:1], v[18:19] offset:32
	s_or_b32 exec_lo, exec_lo, s4
	s_and_saveexec_b32 s4, s10
	s_cbranch_execz .LBB1345_218
.LBB1345_240:
	flat_store_dwordx2 v[0:1], v[22:23] offset:40
	s_or_b32 exec_lo, exec_lo, s4
	s_and_saveexec_b32 s4, s11
	s_cbranch_execz .LBB1345_219
.LBB1345_241:
	flat_store_dwordx2 v[0:1], v[20:21] offset:48
	s_or_b32 exec_lo, exec_lo, s4
	s_and_saveexec_b32 s4, s14
	s_cbranch_execz .LBB1345_220
.LBB1345_242:
	flat_store_dwordx2 v[0:1], v[24:25] offset:56
	s_or_b32 exec_lo, exec_lo, s4
	s_waitcnt lgkmcnt(0)
	s_setpc_b64 s[30:31]
.Lfunc_end1345:
	.size	_ZN7rocprim17ROCPRIM_400000_NS6detail26segmented_warp_sort_helperINS1_20WarpSortHelperConfigILj8ELj8ELj256EEEflLi256ELb1EvE4sortIPKfPfPKlPlEEvT_T0_T1_T2_jjjjRNS5_12storage_typeE, .Lfunc_end1345-_ZN7rocprim17ROCPRIM_400000_NS6detail26segmented_warp_sort_helperINS1_20WarpSortHelperConfigILj8ELj8ELj256EEEflLi256ELb1EvE4sortIPKfPfPKlPlEEvT_T0_T1_T2_jjjjRNS5_12storage_typeE
                                        ; -- End function
	.set .L_ZN7rocprim17ROCPRIM_400000_NS6detail26segmented_warp_sort_helperINS1_20WarpSortHelperConfigILj8ELj8ELj256EEEflLi256ELb1EvE4sortIPKfPfPKlPlEEvT_T0_T1_T2_jjjjRNS5_12storage_typeE.num_vgpr, 100
	.set .L_ZN7rocprim17ROCPRIM_400000_NS6detail26segmented_warp_sort_helperINS1_20WarpSortHelperConfigILj8ELj8ELj256EEEflLi256ELb1EvE4sortIPKfPfPKlPlEEvT_T0_T1_T2_jjjjRNS5_12storage_typeE.num_agpr, 0
	.set .L_ZN7rocprim17ROCPRIM_400000_NS6detail26segmented_warp_sort_helperINS1_20WarpSortHelperConfigILj8ELj8ELj256EEEflLi256ELb1EvE4sortIPKfPfPKlPlEEvT_T0_T1_T2_jjjjRNS5_12storage_typeE.numbered_sgpr, 32
	.set .L_ZN7rocprim17ROCPRIM_400000_NS6detail26segmented_warp_sort_helperINS1_20WarpSortHelperConfigILj8ELj8ELj256EEEflLi256ELb1EvE4sortIPKfPfPKlPlEEvT_T0_T1_T2_jjjjRNS5_12storage_typeE.num_named_barrier, 0
	.set .L_ZN7rocprim17ROCPRIM_400000_NS6detail26segmented_warp_sort_helperINS1_20WarpSortHelperConfigILj8ELj8ELj256EEEflLi256ELb1EvE4sortIPKfPfPKlPlEEvT_T0_T1_T2_jjjjRNS5_12storage_typeE.private_seg_size, 0
	.set .L_ZN7rocprim17ROCPRIM_400000_NS6detail26segmented_warp_sort_helperINS1_20WarpSortHelperConfigILj8ELj8ELj256EEEflLi256ELb1EvE4sortIPKfPfPKlPlEEvT_T0_T1_T2_jjjjRNS5_12storage_typeE.uses_vcc, 1
	.set .L_ZN7rocprim17ROCPRIM_400000_NS6detail26segmented_warp_sort_helperINS1_20WarpSortHelperConfigILj8ELj8ELj256EEEflLi256ELb1EvE4sortIPKfPfPKlPlEEvT_T0_T1_T2_jjjjRNS5_12storage_typeE.uses_flat_scratch, 0
	.set .L_ZN7rocprim17ROCPRIM_400000_NS6detail26segmented_warp_sort_helperINS1_20WarpSortHelperConfigILj8ELj8ELj256EEEflLi256ELb1EvE4sortIPKfPfPKlPlEEvT_T0_T1_T2_jjjjRNS5_12storage_typeE.has_dyn_sized_stack, 0
	.set .L_ZN7rocprim17ROCPRIM_400000_NS6detail26segmented_warp_sort_helperINS1_20WarpSortHelperConfigILj8ELj8ELj256EEEflLi256ELb1EvE4sortIPKfPfPKlPlEEvT_T0_T1_T2_jjjjRNS5_12storage_typeE.has_recursion, 0
	.set .L_ZN7rocprim17ROCPRIM_400000_NS6detail26segmented_warp_sort_helperINS1_20WarpSortHelperConfigILj8ELj8ELj256EEEflLi256ELb1EvE4sortIPKfPfPKlPlEEvT_T0_T1_T2_jjjjRNS5_12storage_typeE.has_indirect_call, 0
	.section	.AMDGPU.csdata,"",@progbits
; Function info:
; codeLenInByte = 10396
; TotalNumSgprs: 34
; NumVgprs: 100
; ScratchSize: 0
; MemoryBound: 0
	.section	.text._ZN7rocprim17ROCPRIM_400000_NS6detail17trampoline_kernelINS0_14default_configENS1_36segmented_radix_sort_config_selectorIflEEZNS1_25segmented_radix_sort_implIS3_Lb1EPKfPfPKlPlN2at6native12_GLOBAL__N_18offset_tEEE10hipError_tPvRmT1_PNSt15iterator_traitsISK_E10value_typeET2_T3_PNSL_ISQ_E10value_typeET4_jRbjT5_SW_jjP12ihipStream_tbEUlT_E1_NS1_11comp_targetILNS1_3genE8ELNS1_11target_archE1030ELNS1_3gpuE2ELNS1_3repE0EEENS1_59segmented_radix_sort_warp_sort_small_config_static_selectorELNS0_4arch9wavefront6targetE0EEEvSK_,"axG",@progbits,_ZN7rocprim17ROCPRIM_400000_NS6detail17trampoline_kernelINS0_14default_configENS1_36segmented_radix_sort_config_selectorIflEEZNS1_25segmented_radix_sort_implIS3_Lb1EPKfPfPKlPlN2at6native12_GLOBAL__N_18offset_tEEE10hipError_tPvRmT1_PNSt15iterator_traitsISK_E10value_typeET2_T3_PNSL_ISQ_E10value_typeET4_jRbjT5_SW_jjP12ihipStream_tbEUlT_E1_NS1_11comp_targetILNS1_3genE8ELNS1_11target_archE1030ELNS1_3gpuE2ELNS1_3repE0EEENS1_59segmented_radix_sort_warp_sort_small_config_static_selectorELNS0_4arch9wavefront6targetE0EEEvSK_,comdat
	.globl	_ZN7rocprim17ROCPRIM_400000_NS6detail17trampoline_kernelINS0_14default_configENS1_36segmented_radix_sort_config_selectorIflEEZNS1_25segmented_radix_sort_implIS3_Lb1EPKfPfPKlPlN2at6native12_GLOBAL__N_18offset_tEEE10hipError_tPvRmT1_PNSt15iterator_traitsISK_E10value_typeET2_T3_PNSL_ISQ_E10value_typeET4_jRbjT5_SW_jjP12ihipStream_tbEUlT_E1_NS1_11comp_targetILNS1_3genE8ELNS1_11target_archE1030ELNS1_3gpuE2ELNS1_3repE0EEENS1_59segmented_radix_sort_warp_sort_small_config_static_selectorELNS0_4arch9wavefront6targetE0EEEvSK_ ; -- Begin function _ZN7rocprim17ROCPRIM_400000_NS6detail17trampoline_kernelINS0_14default_configENS1_36segmented_radix_sort_config_selectorIflEEZNS1_25segmented_radix_sort_implIS3_Lb1EPKfPfPKlPlN2at6native12_GLOBAL__N_18offset_tEEE10hipError_tPvRmT1_PNSt15iterator_traitsISK_E10value_typeET2_T3_PNSL_ISQ_E10value_typeET4_jRbjT5_SW_jjP12ihipStream_tbEUlT_E1_NS1_11comp_targetILNS1_3genE8ELNS1_11target_archE1030ELNS1_3gpuE2ELNS1_3repE0EEENS1_59segmented_radix_sort_warp_sort_small_config_static_selectorELNS0_4arch9wavefront6targetE0EEEvSK_
	.p2align	8
	.type	_ZN7rocprim17ROCPRIM_400000_NS6detail17trampoline_kernelINS0_14default_configENS1_36segmented_radix_sort_config_selectorIflEEZNS1_25segmented_radix_sort_implIS3_Lb1EPKfPfPKlPlN2at6native12_GLOBAL__N_18offset_tEEE10hipError_tPvRmT1_PNSt15iterator_traitsISK_E10value_typeET2_T3_PNSL_ISQ_E10value_typeET4_jRbjT5_SW_jjP12ihipStream_tbEUlT_E1_NS1_11comp_targetILNS1_3genE8ELNS1_11target_archE1030ELNS1_3gpuE2ELNS1_3repE0EEENS1_59segmented_radix_sort_warp_sort_small_config_static_selectorELNS0_4arch9wavefront6targetE0EEEvSK_,@function
_ZN7rocprim17ROCPRIM_400000_NS6detail17trampoline_kernelINS0_14default_configENS1_36segmented_radix_sort_config_selectorIflEEZNS1_25segmented_radix_sort_implIS3_Lb1EPKfPfPKlPlN2at6native12_GLOBAL__N_18offset_tEEE10hipError_tPvRmT1_PNSt15iterator_traitsISK_E10value_typeET2_T3_PNSL_ISQ_E10value_typeET4_jRbjT5_SW_jjP12ihipStream_tbEUlT_E1_NS1_11comp_targetILNS1_3genE8ELNS1_11target_archE1030ELNS1_3gpuE2ELNS1_3repE0EEENS1_59segmented_radix_sort_warp_sort_small_config_static_selectorELNS0_4arch9wavefront6targetE0EEEvSK_: ; @_ZN7rocprim17ROCPRIM_400000_NS6detail17trampoline_kernelINS0_14default_configENS1_36segmented_radix_sort_config_selectorIflEEZNS1_25segmented_radix_sort_implIS3_Lb1EPKfPfPKlPlN2at6native12_GLOBAL__N_18offset_tEEE10hipError_tPvRmT1_PNSt15iterator_traitsISK_E10value_typeET2_T3_PNSL_ISQ_E10value_typeET4_jRbjT5_SW_jjP12ihipStream_tbEUlT_E1_NS1_11comp_targetILNS1_3genE8ELNS1_11target_archE1030ELNS1_3gpuE2ELNS1_3repE0EEENS1_59segmented_radix_sort_warp_sort_small_config_static_selectorELNS0_4arch9wavefront6targetE0EEEvSK_
; %bb.0:
	s_add_u32 s0, s0, s8
	s_load_dword s8, s[4:5], 0x64
	s_addc_u32 s1, s1, 0
	s_mov_b32 s32, 0
	s_waitcnt lgkmcnt(0)
	s_lshr_b32 s9, s8, 16
	s_and_b32 s8, s8, 0xffff
	v_mad_u32_u24 v3, v2, s9, v1
	s_load_dword s9, s[4:5], 0x34
	v_mad_u64_u32 v[3:4], null, v3, s8, v[0:1]
	s_mov_b32 s8, exec_lo
	v_lshrrev_b32_e32 v3, 3, v3
	v_lshl_add_u32 v3, s6, 5, v3
	s_waitcnt lgkmcnt(0)
	v_cmpx_gt_u32_e64 s9, v3
	s_cbranch_execz .LBB1346_6
; %bb.1:
	s_clause 0x1
	s_load_dwordx2 s[12:13], s[4:5], 0x38
	s_load_dwordx4 s[8:11], s[4:5], 0x40
	v_mov_b32_e32 v4, 0
	v_lshlrev_b64 v[3:4], 2, v[3:4]
	s_waitcnt lgkmcnt(0)
	v_sub_co_u32 v3, vcc_lo, s12, v3
	v_sub_co_ci_u32_e64 v4, null, s13, v4, vcc_lo
	global_load_dword v3, v[3:4], off offset:-4
	s_waitcnt vmcnt(0)
	v_add_nc_u32_e32 v4, s9, v3
	v_add_nc_u32_e32 v3, s11, v3
	v_mul_lo_u32 v40, v4, s8
	v_mul_lo_u32 v41, v3, s10
	v_cmp_gt_u32_e32 vcc_lo, v41, v40
	s_and_b32 exec_lo, exec_lo, vcc_lo
	s_cbranch_execz .LBB1346_6
; %bb.2:
	s_clause 0x2
	s_load_dword s8, s[4:5], 0x30
	s_load_dwordx4 s[24:27], s[4:5], 0x20
	s_load_dwordx8 s[36:43], s[4:5], 0x0
	v_lshlrev_b32_e32 v43, 20, v2
	v_lshlrev_b32_e32 v44, 10, v1
	s_waitcnt lgkmcnt(0)
	s_bitcmp0_b32 s8, 0
	s_mov_b32 s8, -1
	s_cbranch_scc0 .LBB1346_4
; %bb.3:
	s_mov_b64 s[10:11], src_shared_base
	v_or3_b32 v31, v0, v44, v43
	v_mov_b32_e32 v42, v0
	v_mov_b32_e32 v0, s36
	;; [unrolled: 1-line block ×13, first 2 shown]
	s_add_u32 s8, s4, 0x58
	s_addc_u32 s9, s5, 0
	s_getpc_b64 s[14:15]
	s_add_u32 s14, s14, _ZN7rocprim17ROCPRIM_400000_NS6detail26segmented_warp_sort_helperINS1_20WarpSortHelperConfigILj8ELj8ELj256EEEflLi256ELb1EvE4sortIPKfPfPKlPlEEvT_T0_T1_T2_jjjjRNS5_12storage_typeE@rel32@lo+4
	s_addc_u32 s15, s15, _ZN7rocprim17ROCPRIM_400000_NS6detail26segmented_warp_sort_helperINS1_20WarpSortHelperConfigILj8ELj8ELj256EEEflLi256ELb1EvE4sortIPKfPfPKlPlEEvT_T0_T1_T2_jjjjRNS5_12storage_typeE@rel32@hi+12
	s_mov_b32 s12, s6
	s_mov_b32 s13, s7
	s_mov_b64 s[24:25], s[4:5]
	s_mov_b32 s23, s7
	s_mov_b32 s28, s6
	s_swappc_b64 s[30:31], s[14:15]
	v_mov_b32_e32 v0, v42
	s_mov_b32 s6, s28
	s_mov_b32 s7, s23
	s_mov_b64 s[4:5], s[24:25]
	s_mov_b32 s8, 0
.LBB1346_4:
	s_andn2_b32 vcc_lo, exec_lo, s8
	s_cbranch_vccnz .LBB1346_6
; %bb.5:
	s_mov_b64 s[10:11], src_shared_base
	v_or3_b32 v31, v0, v44, v43
	v_mov_b32_e32 v0, s36
	v_mov_b32_e32 v1, s37
	;; [unrolled: 1-line block ×12, first 2 shown]
	s_add_u32 s8, s4, 0x58
	s_addc_u32 s9, s5, 0
	s_getpc_b64 s[4:5]
	s_add_u32 s4, s4, _ZN7rocprim17ROCPRIM_400000_NS6detail26segmented_warp_sort_helperINS1_20WarpSortHelperConfigILj8ELj8ELj256EEEflLi256ELb1EvE4sortIPKfPfPKlPlEEvT_T0_T1_T2_jjjjRNS5_12storage_typeE@rel32@lo+4
	s_addc_u32 s5, s5, _ZN7rocprim17ROCPRIM_400000_NS6detail26segmented_warp_sort_helperINS1_20WarpSortHelperConfigILj8ELj8ELj256EEEflLi256ELb1EvE4sortIPKfPfPKlPlEEvT_T0_T1_T2_jjjjRNS5_12storage_typeE@rel32@hi+12
	s_mov_b32 s12, s6
	s_mov_b32 s13, s7
	s_swappc_b64 s[30:31], s[4:5]
.LBB1346_6:
	s_endpgm
	.section	.rodata,"a",@progbits
	.p2align	6, 0x0
	.amdhsa_kernel _ZN7rocprim17ROCPRIM_400000_NS6detail17trampoline_kernelINS0_14default_configENS1_36segmented_radix_sort_config_selectorIflEEZNS1_25segmented_radix_sort_implIS3_Lb1EPKfPfPKlPlN2at6native12_GLOBAL__N_18offset_tEEE10hipError_tPvRmT1_PNSt15iterator_traitsISK_E10value_typeET2_T3_PNSL_ISQ_E10value_typeET4_jRbjT5_SW_jjP12ihipStream_tbEUlT_E1_NS1_11comp_targetILNS1_3genE8ELNS1_11target_archE1030ELNS1_3gpuE2ELNS1_3repE0EEENS1_59segmented_radix_sort_warp_sort_small_config_static_selectorELNS0_4arch9wavefront6targetE0EEEvSK_
		.amdhsa_group_segment_fixed_size 24576
		.amdhsa_private_segment_fixed_size 0
		.amdhsa_kernarg_size 344
		.amdhsa_user_sgpr_count 6
		.amdhsa_user_sgpr_private_segment_buffer 1
		.amdhsa_user_sgpr_dispatch_ptr 0
		.amdhsa_user_sgpr_queue_ptr 0
		.amdhsa_user_sgpr_kernarg_segment_ptr 1
		.amdhsa_user_sgpr_dispatch_id 0
		.amdhsa_user_sgpr_flat_scratch_init 0
		.amdhsa_user_sgpr_private_segment_size 0
		.amdhsa_wavefront_size32 1
		.amdhsa_uses_dynamic_stack 0
		.amdhsa_system_sgpr_private_segment_wavefront_offset 0
		.amdhsa_system_sgpr_workgroup_id_x 1
		.amdhsa_system_sgpr_workgroup_id_y 1
		.amdhsa_system_sgpr_workgroup_id_z 0
		.amdhsa_system_sgpr_workgroup_info 0
		.amdhsa_system_vgpr_workitem_id 2
		.amdhsa_next_free_vgpr 100
		.amdhsa_next_free_sgpr 44
		.amdhsa_reserve_vcc 1
		.amdhsa_reserve_flat_scratch 0
		.amdhsa_float_round_mode_32 0
		.amdhsa_float_round_mode_16_64 0
		.amdhsa_float_denorm_mode_32 3
		.amdhsa_float_denorm_mode_16_64 3
		.amdhsa_dx10_clamp 1
		.amdhsa_ieee_mode 1
		.amdhsa_fp16_overflow 0
		.amdhsa_workgroup_processor_mode 1
		.amdhsa_memory_ordered 1
		.amdhsa_forward_progress 1
		.amdhsa_shared_vgpr_count 0
		.amdhsa_exception_fp_ieee_invalid_op 0
		.amdhsa_exception_fp_denorm_src 0
		.amdhsa_exception_fp_ieee_div_zero 0
		.amdhsa_exception_fp_ieee_overflow 0
		.amdhsa_exception_fp_ieee_underflow 0
		.amdhsa_exception_fp_ieee_inexact 0
		.amdhsa_exception_int_div_zero 0
	.end_amdhsa_kernel
	.section	.text._ZN7rocprim17ROCPRIM_400000_NS6detail17trampoline_kernelINS0_14default_configENS1_36segmented_radix_sort_config_selectorIflEEZNS1_25segmented_radix_sort_implIS3_Lb1EPKfPfPKlPlN2at6native12_GLOBAL__N_18offset_tEEE10hipError_tPvRmT1_PNSt15iterator_traitsISK_E10value_typeET2_T3_PNSL_ISQ_E10value_typeET4_jRbjT5_SW_jjP12ihipStream_tbEUlT_E1_NS1_11comp_targetILNS1_3genE8ELNS1_11target_archE1030ELNS1_3gpuE2ELNS1_3repE0EEENS1_59segmented_radix_sort_warp_sort_small_config_static_selectorELNS0_4arch9wavefront6targetE0EEEvSK_,"axG",@progbits,_ZN7rocprim17ROCPRIM_400000_NS6detail17trampoline_kernelINS0_14default_configENS1_36segmented_radix_sort_config_selectorIflEEZNS1_25segmented_radix_sort_implIS3_Lb1EPKfPfPKlPlN2at6native12_GLOBAL__N_18offset_tEEE10hipError_tPvRmT1_PNSt15iterator_traitsISK_E10value_typeET2_T3_PNSL_ISQ_E10value_typeET4_jRbjT5_SW_jjP12ihipStream_tbEUlT_E1_NS1_11comp_targetILNS1_3genE8ELNS1_11target_archE1030ELNS1_3gpuE2ELNS1_3repE0EEENS1_59segmented_radix_sort_warp_sort_small_config_static_selectorELNS0_4arch9wavefront6targetE0EEEvSK_,comdat
.Lfunc_end1346:
	.size	_ZN7rocprim17ROCPRIM_400000_NS6detail17trampoline_kernelINS0_14default_configENS1_36segmented_radix_sort_config_selectorIflEEZNS1_25segmented_radix_sort_implIS3_Lb1EPKfPfPKlPlN2at6native12_GLOBAL__N_18offset_tEEE10hipError_tPvRmT1_PNSt15iterator_traitsISK_E10value_typeET2_T3_PNSL_ISQ_E10value_typeET4_jRbjT5_SW_jjP12ihipStream_tbEUlT_E1_NS1_11comp_targetILNS1_3genE8ELNS1_11target_archE1030ELNS1_3gpuE2ELNS1_3repE0EEENS1_59segmented_radix_sort_warp_sort_small_config_static_selectorELNS0_4arch9wavefront6targetE0EEEvSK_, .Lfunc_end1346-_ZN7rocprim17ROCPRIM_400000_NS6detail17trampoline_kernelINS0_14default_configENS1_36segmented_radix_sort_config_selectorIflEEZNS1_25segmented_radix_sort_implIS3_Lb1EPKfPfPKlPlN2at6native12_GLOBAL__N_18offset_tEEE10hipError_tPvRmT1_PNSt15iterator_traitsISK_E10value_typeET2_T3_PNSL_ISQ_E10value_typeET4_jRbjT5_SW_jjP12ihipStream_tbEUlT_E1_NS1_11comp_targetILNS1_3genE8ELNS1_11target_archE1030ELNS1_3gpuE2ELNS1_3repE0EEENS1_59segmented_radix_sort_warp_sort_small_config_static_selectorELNS0_4arch9wavefront6targetE0EEEvSK_
                                        ; -- End function
	.set _ZN7rocprim17ROCPRIM_400000_NS6detail17trampoline_kernelINS0_14default_configENS1_36segmented_radix_sort_config_selectorIflEEZNS1_25segmented_radix_sort_implIS3_Lb1EPKfPfPKlPlN2at6native12_GLOBAL__N_18offset_tEEE10hipError_tPvRmT1_PNSt15iterator_traitsISK_E10value_typeET2_T3_PNSL_ISQ_E10value_typeET4_jRbjT5_SW_jjP12ihipStream_tbEUlT_E1_NS1_11comp_targetILNS1_3genE8ELNS1_11target_archE1030ELNS1_3gpuE2ELNS1_3repE0EEENS1_59segmented_radix_sort_warp_sort_small_config_static_selectorELNS0_4arch9wavefront6targetE0EEEvSK_.num_vgpr, max(45, .L_ZN7rocprim17ROCPRIM_400000_NS6detail26segmented_warp_sort_helperINS1_20WarpSortHelperConfigILj8ELj8ELj256EEEflLi256ELb1EvE4sortIPKfPfPKlPlEEvT_T0_T1_T2_jjjjRNS5_12storage_typeE.num_vgpr)
	.set _ZN7rocprim17ROCPRIM_400000_NS6detail17trampoline_kernelINS0_14default_configENS1_36segmented_radix_sort_config_selectorIflEEZNS1_25segmented_radix_sort_implIS3_Lb1EPKfPfPKlPlN2at6native12_GLOBAL__N_18offset_tEEE10hipError_tPvRmT1_PNSt15iterator_traitsISK_E10value_typeET2_T3_PNSL_ISQ_E10value_typeET4_jRbjT5_SW_jjP12ihipStream_tbEUlT_E1_NS1_11comp_targetILNS1_3genE8ELNS1_11target_archE1030ELNS1_3gpuE2ELNS1_3repE0EEENS1_59segmented_radix_sort_warp_sort_small_config_static_selectorELNS0_4arch9wavefront6targetE0EEEvSK_.num_agpr, max(0, .L_ZN7rocprim17ROCPRIM_400000_NS6detail26segmented_warp_sort_helperINS1_20WarpSortHelperConfigILj8ELj8ELj256EEEflLi256ELb1EvE4sortIPKfPfPKlPlEEvT_T0_T1_T2_jjjjRNS5_12storage_typeE.num_agpr)
	.set _ZN7rocprim17ROCPRIM_400000_NS6detail17trampoline_kernelINS0_14default_configENS1_36segmented_radix_sort_config_selectorIflEEZNS1_25segmented_radix_sort_implIS3_Lb1EPKfPfPKlPlN2at6native12_GLOBAL__N_18offset_tEEE10hipError_tPvRmT1_PNSt15iterator_traitsISK_E10value_typeET2_T3_PNSL_ISQ_E10value_typeET4_jRbjT5_SW_jjP12ihipStream_tbEUlT_E1_NS1_11comp_targetILNS1_3genE8ELNS1_11target_archE1030ELNS1_3gpuE2ELNS1_3repE0EEENS1_59segmented_radix_sort_warp_sort_small_config_static_selectorELNS0_4arch9wavefront6targetE0EEEvSK_.numbered_sgpr, max(44, .L_ZN7rocprim17ROCPRIM_400000_NS6detail26segmented_warp_sort_helperINS1_20WarpSortHelperConfigILj8ELj8ELj256EEEflLi256ELb1EvE4sortIPKfPfPKlPlEEvT_T0_T1_T2_jjjjRNS5_12storage_typeE.numbered_sgpr)
	.set _ZN7rocprim17ROCPRIM_400000_NS6detail17trampoline_kernelINS0_14default_configENS1_36segmented_radix_sort_config_selectorIflEEZNS1_25segmented_radix_sort_implIS3_Lb1EPKfPfPKlPlN2at6native12_GLOBAL__N_18offset_tEEE10hipError_tPvRmT1_PNSt15iterator_traitsISK_E10value_typeET2_T3_PNSL_ISQ_E10value_typeET4_jRbjT5_SW_jjP12ihipStream_tbEUlT_E1_NS1_11comp_targetILNS1_3genE8ELNS1_11target_archE1030ELNS1_3gpuE2ELNS1_3repE0EEENS1_59segmented_radix_sort_warp_sort_small_config_static_selectorELNS0_4arch9wavefront6targetE0EEEvSK_.num_named_barrier, max(0, .L_ZN7rocprim17ROCPRIM_400000_NS6detail26segmented_warp_sort_helperINS1_20WarpSortHelperConfigILj8ELj8ELj256EEEflLi256ELb1EvE4sortIPKfPfPKlPlEEvT_T0_T1_T2_jjjjRNS5_12storage_typeE.num_named_barrier)
	.set _ZN7rocprim17ROCPRIM_400000_NS6detail17trampoline_kernelINS0_14default_configENS1_36segmented_radix_sort_config_selectorIflEEZNS1_25segmented_radix_sort_implIS3_Lb1EPKfPfPKlPlN2at6native12_GLOBAL__N_18offset_tEEE10hipError_tPvRmT1_PNSt15iterator_traitsISK_E10value_typeET2_T3_PNSL_ISQ_E10value_typeET4_jRbjT5_SW_jjP12ihipStream_tbEUlT_E1_NS1_11comp_targetILNS1_3genE8ELNS1_11target_archE1030ELNS1_3gpuE2ELNS1_3repE0EEENS1_59segmented_radix_sort_warp_sort_small_config_static_selectorELNS0_4arch9wavefront6targetE0EEEvSK_.private_seg_size, 0+max(.L_ZN7rocprim17ROCPRIM_400000_NS6detail26segmented_warp_sort_helperINS1_20WarpSortHelperConfigILj8ELj8ELj256EEEflLi256ELb1EvE4sortIPKfPfPKlPlEEvT_T0_T1_T2_jjjjRNS5_12storage_typeE.private_seg_size)
	.set _ZN7rocprim17ROCPRIM_400000_NS6detail17trampoline_kernelINS0_14default_configENS1_36segmented_radix_sort_config_selectorIflEEZNS1_25segmented_radix_sort_implIS3_Lb1EPKfPfPKlPlN2at6native12_GLOBAL__N_18offset_tEEE10hipError_tPvRmT1_PNSt15iterator_traitsISK_E10value_typeET2_T3_PNSL_ISQ_E10value_typeET4_jRbjT5_SW_jjP12ihipStream_tbEUlT_E1_NS1_11comp_targetILNS1_3genE8ELNS1_11target_archE1030ELNS1_3gpuE2ELNS1_3repE0EEENS1_59segmented_radix_sort_warp_sort_small_config_static_selectorELNS0_4arch9wavefront6targetE0EEEvSK_.uses_vcc, or(1, .L_ZN7rocprim17ROCPRIM_400000_NS6detail26segmented_warp_sort_helperINS1_20WarpSortHelperConfigILj8ELj8ELj256EEEflLi256ELb1EvE4sortIPKfPfPKlPlEEvT_T0_T1_T2_jjjjRNS5_12storage_typeE.uses_vcc)
	.set _ZN7rocprim17ROCPRIM_400000_NS6detail17trampoline_kernelINS0_14default_configENS1_36segmented_radix_sort_config_selectorIflEEZNS1_25segmented_radix_sort_implIS3_Lb1EPKfPfPKlPlN2at6native12_GLOBAL__N_18offset_tEEE10hipError_tPvRmT1_PNSt15iterator_traitsISK_E10value_typeET2_T3_PNSL_ISQ_E10value_typeET4_jRbjT5_SW_jjP12ihipStream_tbEUlT_E1_NS1_11comp_targetILNS1_3genE8ELNS1_11target_archE1030ELNS1_3gpuE2ELNS1_3repE0EEENS1_59segmented_radix_sort_warp_sort_small_config_static_selectorELNS0_4arch9wavefront6targetE0EEEvSK_.uses_flat_scratch, or(0, .L_ZN7rocprim17ROCPRIM_400000_NS6detail26segmented_warp_sort_helperINS1_20WarpSortHelperConfigILj8ELj8ELj256EEEflLi256ELb1EvE4sortIPKfPfPKlPlEEvT_T0_T1_T2_jjjjRNS5_12storage_typeE.uses_flat_scratch)
	.set _ZN7rocprim17ROCPRIM_400000_NS6detail17trampoline_kernelINS0_14default_configENS1_36segmented_radix_sort_config_selectorIflEEZNS1_25segmented_radix_sort_implIS3_Lb1EPKfPfPKlPlN2at6native12_GLOBAL__N_18offset_tEEE10hipError_tPvRmT1_PNSt15iterator_traitsISK_E10value_typeET2_T3_PNSL_ISQ_E10value_typeET4_jRbjT5_SW_jjP12ihipStream_tbEUlT_E1_NS1_11comp_targetILNS1_3genE8ELNS1_11target_archE1030ELNS1_3gpuE2ELNS1_3repE0EEENS1_59segmented_radix_sort_warp_sort_small_config_static_selectorELNS0_4arch9wavefront6targetE0EEEvSK_.has_dyn_sized_stack, or(0, .L_ZN7rocprim17ROCPRIM_400000_NS6detail26segmented_warp_sort_helperINS1_20WarpSortHelperConfigILj8ELj8ELj256EEEflLi256ELb1EvE4sortIPKfPfPKlPlEEvT_T0_T1_T2_jjjjRNS5_12storage_typeE.has_dyn_sized_stack)
	.set _ZN7rocprim17ROCPRIM_400000_NS6detail17trampoline_kernelINS0_14default_configENS1_36segmented_radix_sort_config_selectorIflEEZNS1_25segmented_radix_sort_implIS3_Lb1EPKfPfPKlPlN2at6native12_GLOBAL__N_18offset_tEEE10hipError_tPvRmT1_PNSt15iterator_traitsISK_E10value_typeET2_T3_PNSL_ISQ_E10value_typeET4_jRbjT5_SW_jjP12ihipStream_tbEUlT_E1_NS1_11comp_targetILNS1_3genE8ELNS1_11target_archE1030ELNS1_3gpuE2ELNS1_3repE0EEENS1_59segmented_radix_sort_warp_sort_small_config_static_selectorELNS0_4arch9wavefront6targetE0EEEvSK_.has_recursion, or(0, .L_ZN7rocprim17ROCPRIM_400000_NS6detail26segmented_warp_sort_helperINS1_20WarpSortHelperConfigILj8ELj8ELj256EEEflLi256ELb1EvE4sortIPKfPfPKlPlEEvT_T0_T1_T2_jjjjRNS5_12storage_typeE.has_recursion)
	.set _ZN7rocprim17ROCPRIM_400000_NS6detail17trampoline_kernelINS0_14default_configENS1_36segmented_radix_sort_config_selectorIflEEZNS1_25segmented_radix_sort_implIS3_Lb1EPKfPfPKlPlN2at6native12_GLOBAL__N_18offset_tEEE10hipError_tPvRmT1_PNSt15iterator_traitsISK_E10value_typeET2_T3_PNSL_ISQ_E10value_typeET4_jRbjT5_SW_jjP12ihipStream_tbEUlT_E1_NS1_11comp_targetILNS1_3genE8ELNS1_11target_archE1030ELNS1_3gpuE2ELNS1_3repE0EEENS1_59segmented_radix_sort_warp_sort_small_config_static_selectorELNS0_4arch9wavefront6targetE0EEEvSK_.has_indirect_call, or(0, .L_ZN7rocprim17ROCPRIM_400000_NS6detail26segmented_warp_sort_helperINS1_20WarpSortHelperConfigILj8ELj8ELj256EEEflLi256ELb1EvE4sortIPKfPfPKlPlEEvT_T0_T1_T2_jjjjRNS5_12storage_typeE.has_indirect_call)
	.section	.AMDGPU.csdata,"",@progbits
; Kernel info:
; codeLenInByte = 500
; TotalNumSgprs: 46
; NumVgprs: 100
; ScratchSize: 0
; MemoryBound: 0
; FloatMode: 240
; IeeeMode: 1
; LDSByteSize: 24576 bytes/workgroup (compile time only)
; SGPRBlocks: 0
; VGPRBlocks: 12
; NumSGPRsForWavesPerEU: 46
; NumVGPRsForWavesPerEU: 100
; Occupancy: 9
; WaveLimiterHint : 0
; COMPUTE_PGM_RSRC2:SCRATCH_EN: 0
; COMPUTE_PGM_RSRC2:USER_SGPR: 6
; COMPUTE_PGM_RSRC2:TRAP_HANDLER: 0
; COMPUTE_PGM_RSRC2:TGID_X_EN: 1
; COMPUTE_PGM_RSRC2:TGID_Y_EN: 1
; COMPUTE_PGM_RSRC2:TGID_Z_EN: 0
; COMPUTE_PGM_RSRC2:TIDIG_COMP_CNT: 2
	.section	.text._ZN7rocprim17ROCPRIM_400000_NS6detail17trampoline_kernelINS0_14default_configENS1_36segmented_radix_sort_config_selectorIflEEZNS1_25segmented_radix_sort_implIS3_Lb1EPKfPfPKlPlN2at6native12_GLOBAL__N_18offset_tEEE10hipError_tPvRmT1_PNSt15iterator_traitsISK_E10value_typeET2_T3_PNSL_ISQ_E10value_typeET4_jRbjT5_SW_jjP12ihipStream_tbEUlT_E2_NS1_11comp_targetILNS1_3genE0ELNS1_11target_archE4294967295ELNS1_3gpuE0ELNS1_3repE0EEENS1_30default_config_static_selectorELNS0_4arch9wavefront6targetE0EEEvSK_,"axG",@progbits,_ZN7rocprim17ROCPRIM_400000_NS6detail17trampoline_kernelINS0_14default_configENS1_36segmented_radix_sort_config_selectorIflEEZNS1_25segmented_radix_sort_implIS3_Lb1EPKfPfPKlPlN2at6native12_GLOBAL__N_18offset_tEEE10hipError_tPvRmT1_PNSt15iterator_traitsISK_E10value_typeET2_T3_PNSL_ISQ_E10value_typeET4_jRbjT5_SW_jjP12ihipStream_tbEUlT_E2_NS1_11comp_targetILNS1_3genE0ELNS1_11target_archE4294967295ELNS1_3gpuE0ELNS1_3repE0EEENS1_30default_config_static_selectorELNS0_4arch9wavefront6targetE0EEEvSK_,comdat
	.globl	_ZN7rocprim17ROCPRIM_400000_NS6detail17trampoline_kernelINS0_14default_configENS1_36segmented_radix_sort_config_selectorIflEEZNS1_25segmented_radix_sort_implIS3_Lb1EPKfPfPKlPlN2at6native12_GLOBAL__N_18offset_tEEE10hipError_tPvRmT1_PNSt15iterator_traitsISK_E10value_typeET2_T3_PNSL_ISQ_E10value_typeET4_jRbjT5_SW_jjP12ihipStream_tbEUlT_E2_NS1_11comp_targetILNS1_3genE0ELNS1_11target_archE4294967295ELNS1_3gpuE0ELNS1_3repE0EEENS1_30default_config_static_selectorELNS0_4arch9wavefront6targetE0EEEvSK_ ; -- Begin function _ZN7rocprim17ROCPRIM_400000_NS6detail17trampoline_kernelINS0_14default_configENS1_36segmented_radix_sort_config_selectorIflEEZNS1_25segmented_radix_sort_implIS3_Lb1EPKfPfPKlPlN2at6native12_GLOBAL__N_18offset_tEEE10hipError_tPvRmT1_PNSt15iterator_traitsISK_E10value_typeET2_T3_PNSL_ISQ_E10value_typeET4_jRbjT5_SW_jjP12ihipStream_tbEUlT_E2_NS1_11comp_targetILNS1_3genE0ELNS1_11target_archE4294967295ELNS1_3gpuE0ELNS1_3repE0EEENS1_30default_config_static_selectorELNS0_4arch9wavefront6targetE0EEEvSK_
	.p2align	8
	.type	_ZN7rocprim17ROCPRIM_400000_NS6detail17trampoline_kernelINS0_14default_configENS1_36segmented_radix_sort_config_selectorIflEEZNS1_25segmented_radix_sort_implIS3_Lb1EPKfPfPKlPlN2at6native12_GLOBAL__N_18offset_tEEE10hipError_tPvRmT1_PNSt15iterator_traitsISK_E10value_typeET2_T3_PNSL_ISQ_E10value_typeET4_jRbjT5_SW_jjP12ihipStream_tbEUlT_E2_NS1_11comp_targetILNS1_3genE0ELNS1_11target_archE4294967295ELNS1_3gpuE0ELNS1_3repE0EEENS1_30default_config_static_selectorELNS0_4arch9wavefront6targetE0EEEvSK_,@function
_ZN7rocprim17ROCPRIM_400000_NS6detail17trampoline_kernelINS0_14default_configENS1_36segmented_radix_sort_config_selectorIflEEZNS1_25segmented_radix_sort_implIS3_Lb1EPKfPfPKlPlN2at6native12_GLOBAL__N_18offset_tEEE10hipError_tPvRmT1_PNSt15iterator_traitsISK_E10value_typeET2_T3_PNSL_ISQ_E10value_typeET4_jRbjT5_SW_jjP12ihipStream_tbEUlT_E2_NS1_11comp_targetILNS1_3genE0ELNS1_11target_archE4294967295ELNS1_3gpuE0ELNS1_3repE0EEENS1_30default_config_static_selectorELNS0_4arch9wavefront6targetE0EEEvSK_: ; @_ZN7rocprim17ROCPRIM_400000_NS6detail17trampoline_kernelINS0_14default_configENS1_36segmented_radix_sort_config_selectorIflEEZNS1_25segmented_radix_sort_implIS3_Lb1EPKfPfPKlPlN2at6native12_GLOBAL__N_18offset_tEEE10hipError_tPvRmT1_PNSt15iterator_traitsISK_E10value_typeET2_T3_PNSL_ISQ_E10value_typeET4_jRbjT5_SW_jjP12ihipStream_tbEUlT_E2_NS1_11comp_targetILNS1_3genE0ELNS1_11target_archE4294967295ELNS1_3gpuE0ELNS1_3repE0EEENS1_30default_config_static_selectorELNS0_4arch9wavefront6targetE0EEEvSK_
; %bb.0:
	.section	.rodata,"a",@progbits
	.p2align	6, 0x0
	.amdhsa_kernel _ZN7rocprim17ROCPRIM_400000_NS6detail17trampoline_kernelINS0_14default_configENS1_36segmented_radix_sort_config_selectorIflEEZNS1_25segmented_radix_sort_implIS3_Lb1EPKfPfPKlPlN2at6native12_GLOBAL__N_18offset_tEEE10hipError_tPvRmT1_PNSt15iterator_traitsISK_E10value_typeET2_T3_PNSL_ISQ_E10value_typeET4_jRbjT5_SW_jjP12ihipStream_tbEUlT_E2_NS1_11comp_targetILNS1_3genE0ELNS1_11target_archE4294967295ELNS1_3gpuE0ELNS1_3repE0EEENS1_30default_config_static_selectorELNS0_4arch9wavefront6targetE0EEEvSK_
		.amdhsa_group_segment_fixed_size 0
		.amdhsa_private_segment_fixed_size 0
		.amdhsa_kernarg_size 80
		.amdhsa_user_sgpr_count 6
		.amdhsa_user_sgpr_private_segment_buffer 1
		.amdhsa_user_sgpr_dispatch_ptr 0
		.amdhsa_user_sgpr_queue_ptr 0
		.amdhsa_user_sgpr_kernarg_segment_ptr 1
		.amdhsa_user_sgpr_dispatch_id 0
		.amdhsa_user_sgpr_flat_scratch_init 0
		.amdhsa_user_sgpr_private_segment_size 0
		.amdhsa_wavefront_size32 1
		.amdhsa_uses_dynamic_stack 0
		.amdhsa_system_sgpr_private_segment_wavefront_offset 0
		.amdhsa_system_sgpr_workgroup_id_x 1
		.amdhsa_system_sgpr_workgroup_id_y 0
		.amdhsa_system_sgpr_workgroup_id_z 0
		.amdhsa_system_sgpr_workgroup_info 0
		.amdhsa_system_vgpr_workitem_id 0
		.amdhsa_next_free_vgpr 1
		.amdhsa_next_free_sgpr 1
		.amdhsa_reserve_vcc 0
		.amdhsa_reserve_flat_scratch 0
		.amdhsa_float_round_mode_32 0
		.amdhsa_float_round_mode_16_64 0
		.amdhsa_float_denorm_mode_32 3
		.amdhsa_float_denorm_mode_16_64 3
		.amdhsa_dx10_clamp 1
		.amdhsa_ieee_mode 1
		.amdhsa_fp16_overflow 0
		.amdhsa_workgroup_processor_mode 1
		.amdhsa_memory_ordered 1
		.amdhsa_forward_progress 1
		.amdhsa_shared_vgpr_count 0
		.amdhsa_exception_fp_ieee_invalid_op 0
		.amdhsa_exception_fp_denorm_src 0
		.amdhsa_exception_fp_ieee_div_zero 0
		.amdhsa_exception_fp_ieee_overflow 0
		.amdhsa_exception_fp_ieee_underflow 0
		.amdhsa_exception_fp_ieee_inexact 0
		.amdhsa_exception_int_div_zero 0
	.end_amdhsa_kernel
	.section	.text._ZN7rocprim17ROCPRIM_400000_NS6detail17trampoline_kernelINS0_14default_configENS1_36segmented_radix_sort_config_selectorIflEEZNS1_25segmented_radix_sort_implIS3_Lb1EPKfPfPKlPlN2at6native12_GLOBAL__N_18offset_tEEE10hipError_tPvRmT1_PNSt15iterator_traitsISK_E10value_typeET2_T3_PNSL_ISQ_E10value_typeET4_jRbjT5_SW_jjP12ihipStream_tbEUlT_E2_NS1_11comp_targetILNS1_3genE0ELNS1_11target_archE4294967295ELNS1_3gpuE0ELNS1_3repE0EEENS1_30default_config_static_selectorELNS0_4arch9wavefront6targetE0EEEvSK_,"axG",@progbits,_ZN7rocprim17ROCPRIM_400000_NS6detail17trampoline_kernelINS0_14default_configENS1_36segmented_radix_sort_config_selectorIflEEZNS1_25segmented_radix_sort_implIS3_Lb1EPKfPfPKlPlN2at6native12_GLOBAL__N_18offset_tEEE10hipError_tPvRmT1_PNSt15iterator_traitsISK_E10value_typeET2_T3_PNSL_ISQ_E10value_typeET4_jRbjT5_SW_jjP12ihipStream_tbEUlT_E2_NS1_11comp_targetILNS1_3genE0ELNS1_11target_archE4294967295ELNS1_3gpuE0ELNS1_3repE0EEENS1_30default_config_static_selectorELNS0_4arch9wavefront6targetE0EEEvSK_,comdat
.Lfunc_end1347:
	.size	_ZN7rocprim17ROCPRIM_400000_NS6detail17trampoline_kernelINS0_14default_configENS1_36segmented_radix_sort_config_selectorIflEEZNS1_25segmented_radix_sort_implIS3_Lb1EPKfPfPKlPlN2at6native12_GLOBAL__N_18offset_tEEE10hipError_tPvRmT1_PNSt15iterator_traitsISK_E10value_typeET2_T3_PNSL_ISQ_E10value_typeET4_jRbjT5_SW_jjP12ihipStream_tbEUlT_E2_NS1_11comp_targetILNS1_3genE0ELNS1_11target_archE4294967295ELNS1_3gpuE0ELNS1_3repE0EEENS1_30default_config_static_selectorELNS0_4arch9wavefront6targetE0EEEvSK_, .Lfunc_end1347-_ZN7rocprim17ROCPRIM_400000_NS6detail17trampoline_kernelINS0_14default_configENS1_36segmented_radix_sort_config_selectorIflEEZNS1_25segmented_radix_sort_implIS3_Lb1EPKfPfPKlPlN2at6native12_GLOBAL__N_18offset_tEEE10hipError_tPvRmT1_PNSt15iterator_traitsISK_E10value_typeET2_T3_PNSL_ISQ_E10value_typeET4_jRbjT5_SW_jjP12ihipStream_tbEUlT_E2_NS1_11comp_targetILNS1_3genE0ELNS1_11target_archE4294967295ELNS1_3gpuE0ELNS1_3repE0EEENS1_30default_config_static_selectorELNS0_4arch9wavefront6targetE0EEEvSK_
                                        ; -- End function
	.set _ZN7rocprim17ROCPRIM_400000_NS6detail17trampoline_kernelINS0_14default_configENS1_36segmented_radix_sort_config_selectorIflEEZNS1_25segmented_radix_sort_implIS3_Lb1EPKfPfPKlPlN2at6native12_GLOBAL__N_18offset_tEEE10hipError_tPvRmT1_PNSt15iterator_traitsISK_E10value_typeET2_T3_PNSL_ISQ_E10value_typeET4_jRbjT5_SW_jjP12ihipStream_tbEUlT_E2_NS1_11comp_targetILNS1_3genE0ELNS1_11target_archE4294967295ELNS1_3gpuE0ELNS1_3repE0EEENS1_30default_config_static_selectorELNS0_4arch9wavefront6targetE0EEEvSK_.num_vgpr, 0
	.set _ZN7rocprim17ROCPRIM_400000_NS6detail17trampoline_kernelINS0_14default_configENS1_36segmented_radix_sort_config_selectorIflEEZNS1_25segmented_radix_sort_implIS3_Lb1EPKfPfPKlPlN2at6native12_GLOBAL__N_18offset_tEEE10hipError_tPvRmT1_PNSt15iterator_traitsISK_E10value_typeET2_T3_PNSL_ISQ_E10value_typeET4_jRbjT5_SW_jjP12ihipStream_tbEUlT_E2_NS1_11comp_targetILNS1_3genE0ELNS1_11target_archE4294967295ELNS1_3gpuE0ELNS1_3repE0EEENS1_30default_config_static_selectorELNS0_4arch9wavefront6targetE0EEEvSK_.num_agpr, 0
	.set _ZN7rocprim17ROCPRIM_400000_NS6detail17trampoline_kernelINS0_14default_configENS1_36segmented_radix_sort_config_selectorIflEEZNS1_25segmented_radix_sort_implIS3_Lb1EPKfPfPKlPlN2at6native12_GLOBAL__N_18offset_tEEE10hipError_tPvRmT1_PNSt15iterator_traitsISK_E10value_typeET2_T3_PNSL_ISQ_E10value_typeET4_jRbjT5_SW_jjP12ihipStream_tbEUlT_E2_NS1_11comp_targetILNS1_3genE0ELNS1_11target_archE4294967295ELNS1_3gpuE0ELNS1_3repE0EEENS1_30default_config_static_selectorELNS0_4arch9wavefront6targetE0EEEvSK_.numbered_sgpr, 0
	.set _ZN7rocprim17ROCPRIM_400000_NS6detail17trampoline_kernelINS0_14default_configENS1_36segmented_radix_sort_config_selectorIflEEZNS1_25segmented_radix_sort_implIS3_Lb1EPKfPfPKlPlN2at6native12_GLOBAL__N_18offset_tEEE10hipError_tPvRmT1_PNSt15iterator_traitsISK_E10value_typeET2_T3_PNSL_ISQ_E10value_typeET4_jRbjT5_SW_jjP12ihipStream_tbEUlT_E2_NS1_11comp_targetILNS1_3genE0ELNS1_11target_archE4294967295ELNS1_3gpuE0ELNS1_3repE0EEENS1_30default_config_static_selectorELNS0_4arch9wavefront6targetE0EEEvSK_.num_named_barrier, 0
	.set _ZN7rocprim17ROCPRIM_400000_NS6detail17trampoline_kernelINS0_14default_configENS1_36segmented_radix_sort_config_selectorIflEEZNS1_25segmented_radix_sort_implIS3_Lb1EPKfPfPKlPlN2at6native12_GLOBAL__N_18offset_tEEE10hipError_tPvRmT1_PNSt15iterator_traitsISK_E10value_typeET2_T3_PNSL_ISQ_E10value_typeET4_jRbjT5_SW_jjP12ihipStream_tbEUlT_E2_NS1_11comp_targetILNS1_3genE0ELNS1_11target_archE4294967295ELNS1_3gpuE0ELNS1_3repE0EEENS1_30default_config_static_selectorELNS0_4arch9wavefront6targetE0EEEvSK_.private_seg_size, 0
	.set _ZN7rocprim17ROCPRIM_400000_NS6detail17trampoline_kernelINS0_14default_configENS1_36segmented_radix_sort_config_selectorIflEEZNS1_25segmented_radix_sort_implIS3_Lb1EPKfPfPKlPlN2at6native12_GLOBAL__N_18offset_tEEE10hipError_tPvRmT1_PNSt15iterator_traitsISK_E10value_typeET2_T3_PNSL_ISQ_E10value_typeET4_jRbjT5_SW_jjP12ihipStream_tbEUlT_E2_NS1_11comp_targetILNS1_3genE0ELNS1_11target_archE4294967295ELNS1_3gpuE0ELNS1_3repE0EEENS1_30default_config_static_selectorELNS0_4arch9wavefront6targetE0EEEvSK_.uses_vcc, 0
	.set _ZN7rocprim17ROCPRIM_400000_NS6detail17trampoline_kernelINS0_14default_configENS1_36segmented_radix_sort_config_selectorIflEEZNS1_25segmented_radix_sort_implIS3_Lb1EPKfPfPKlPlN2at6native12_GLOBAL__N_18offset_tEEE10hipError_tPvRmT1_PNSt15iterator_traitsISK_E10value_typeET2_T3_PNSL_ISQ_E10value_typeET4_jRbjT5_SW_jjP12ihipStream_tbEUlT_E2_NS1_11comp_targetILNS1_3genE0ELNS1_11target_archE4294967295ELNS1_3gpuE0ELNS1_3repE0EEENS1_30default_config_static_selectorELNS0_4arch9wavefront6targetE0EEEvSK_.uses_flat_scratch, 0
	.set _ZN7rocprim17ROCPRIM_400000_NS6detail17trampoline_kernelINS0_14default_configENS1_36segmented_radix_sort_config_selectorIflEEZNS1_25segmented_radix_sort_implIS3_Lb1EPKfPfPKlPlN2at6native12_GLOBAL__N_18offset_tEEE10hipError_tPvRmT1_PNSt15iterator_traitsISK_E10value_typeET2_T3_PNSL_ISQ_E10value_typeET4_jRbjT5_SW_jjP12ihipStream_tbEUlT_E2_NS1_11comp_targetILNS1_3genE0ELNS1_11target_archE4294967295ELNS1_3gpuE0ELNS1_3repE0EEENS1_30default_config_static_selectorELNS0_4arch9wavefront6targetE0EEEvSK_.has_dyn_sized_stack, 0
	.set _ZN7rocprim17ROCPRIM_400000_NS6detail17trampoline_kernelINS0_14default_configENS1_36segmented_radix_sort_config_selectorIflEEZNS1_25segmented_radix_sort_implIS3_Lb1EPKfPfPKlPlN2at6native12_GLOBAL__N_18offset_tEEE10hipError_tPvRmT1_PNSt15iterator_traitsISK_E10value_typeET2_T3_PNSL_ISQ_E10value_typeET4_jRbjT5_SW_jjP12ihipStream_tbEUlT_E2_NS1_11comp_targetILNS1_3genE0ELNS1_11target_archE4294967295ELNS1_3gpuE0ELNS1_3repE0EEENS1_30default_config_static_selectorELNS0_4arch9wavefront6targetE0EEEvSK_.has_recursion, 0
	.set _ZN7rocprim17ROCPRIM_400000_NS6detail17trampoline_kernelINS0_14default_configENS1_36segmented_radix_sort_config_selectorIflEEZNS1_25segmented_radix_sort_implIS3_Lb1EPKfPfPKlPlN2at6native12_GLOBAL__N_18offset_tEEE10hipError_tPvRmT1_PNSt15iterator_traitsISK_E10value_typeET2_T3_PNSL_ISQ_E10value_typeET4_jRbjT5_SW_jjP12ihipStream_tbEUlT_E2_NS1_11comp_targetILNS1_3genE0ELNS1_11target_archE4294967295ELNS1_3gpuE0ELNS1_3repE0EEENS1_30default_config_static_selectorELNS0_4arch9wavefront6targetE0EEEvSK_.has_indirect_call, 0
	.section	.AMDGPU.csdata,"",@progbits
; Kernel info:
; codeLenInByte = 0
; TotalNumSgprs: 0
; NumVgprs: 0
; ScratchSize: 0
; MemoryBound: 0
; FloatMode: 240
; IeeeMode: 1
; LDSByteSize: 0 bytes/workgroup (compile time only)
; SGPRBlocks: 0
; VGPRBlocks: 0
; NumSGPRsForWavesPerEU: 1
; NumVGPRsForWavesPerEU: 1
; Occupancy: 16
; WaveLimiterHint : 0
; COMPUTE_PGM_RSRC2:SCRATCH_EN: 0
; COMPUTE_PGM_RSRC2:USER_SGPR: 6
; COMPUTE_PGM_RSRC2:TRAP_HANDLER: 0
; COMPUTE_PGM_RSRC2:TGID_X_EN: 1
; COMPUTE_PGM_RSRC2:TGID_Y_EN: 0
; COMPUTE_PGM_RSRC2:TGID_Z_EN: 0
; COMPUTE_PGM_RSRC2:TIDIG_COMP_CNT: 0
	.section	.text._ZN7rocprim17ROCPRIM_400000_NS6detail17trampoline_kernelINS0_14default_configENS1_36segmented_radix_sort_config_selectorIflEEZNS1_25segmented_radix_sort_implIS3_Lb1EPKfPfPKlPlN2at6native12_GLOBAL__N_18offset_tEEE10hipError_tPvRmT1_PNSt15iterator_traitsISK_E10value_typeET2_T3_PNSL_ISQ_E10value_typeET4_jRbjT5_SW_jjP12ihipStream_tbEUlT_E2_NS1_11comp_targetILNS1_3genE5ELNS1_11target_archE942ELNS1_3gpuE9ELNS1_3repE0EEENS1_30default_config_static_selectorELNS0_4arch9wavefront6targetE0EEEvSK_,"axG",@progbits,_ZN7rocprim17ROCPRIM_400000_NS6detail17trampoline_kernelINS0_14default_configENS1_36segmented_radix_sort_config_selectorIflEEZNS1_25segmented_radix_sort_implIS3_Lb1EPKfPfPKlPlN2at6native12_GLOBAL__N_18offset_tEEE10hipError_tPvRmT1_PNSt15iterator_traitsISK_E10value_typeET2_T3_PNSL_ISQ_E10value_typeET4_jRbjT5_SW_jjP12ihipStream_tbEUlT_E2_NS1_11comp_targetILNS1_3genE5ELNS1_11target_archE942ELNS1_3gpuE9ELNS1_3repE0EEENS1_30default_config_static_selectorELNS0_4arch9wavefront6targetE0EEEvSK_,comdat
	.globl	_ZN7rocprim17ROCPRIM_400000_NS6detail17trampoline_kernelINS0_14default_configENS1_36segmented_radix_sort_config_selectorIflEEZNS1_25segmented_radix_sort_implIS3_Lb1EPKfPfPKlPlN2at6native12_GLOBAL__N_18offset_tEEE10hipError_tPvRmT1_PNSt15iterator_traitsISK_E10value_typeET2_T3_PNSL_ISQ_E10value_typeET4_jRbjT5_SW_jjP12ihipStream_tbEUlT_E2_NS1_11comp_targetILNS1_3genE5ELNS1_11target_archE942ELNS1_3gpuE9ELNS1_3repE0EEENS1_30default_config_static_selectorELNS0_4arch9wavefront6targetE0EEEvSK_ ; -- Begin function _ZN7rocprim17ROCPRIM_400000_NS6detail17trampoline_kernelINS0_14default_configENS1_36segmented_radix_sort_config_selectorIflEEZNS1_25segmented_radix_sort_implIS3_Lb1EPKfPfPKlPlN2at6native12_GLOBAL__N_18offset_tEEE10hipError_tPvRmT1_PNSt15iterator_traitsISK_E10value_typeET2_T3_PNSL_ISQ_E10value_typeET4_jRbjT5_SW_jjP12ihipStream_tbEUlT_E2_NS1_11comp_targetILNS1_3genE5ELNS1_11target_archE942ELNS1_3gpuE9ELNS1_3repE0EEENS1_30default_config_static_selectorELNS0_4arch9wavefront6targetE0EEEvSK_
	.p2align	8
	.type	_ZN7rocprim17ROCPRIM_400000_NS6detail17trampoline_kernelINS0_14default_configENS1_36segmented_radix_sort_config_selectorIflEEZNS1_25segmented_radix_sort_implIS3_Lb1EPKfPfPKlPlN2at6native12_GLOBAL__N_18offset_tEEE10hipError_tPvRmT1_PNSt15iterator_traitsISK_E10value_typeET2_T3_PNSL_ISQ_E10value_typeET4_jRbjT5_SW_jjP12ihipStream_tbEUlT_E2_NS1_11comp_targetILNS1_3genE5ELNS1_11target_archE942ELNS1_3gpuE9ELNS1_3repE0EEENS1_30default_config_static_selectorELNS0_4arch9wavefront6targetE0EEEvSK_,@function
_ZN7rocprim17ROCPRIM_400000_NS6detail17trampoline_kernelINS0_14default_configENS1_36segmented_radix_sort_config_selectorIflEEZNS1_25segmented_radix_sort_implIS3_Lb1EPKfPfPKlPlN2at6native12_GLOBAL__N_18offset_tEEE10hipError_tPvRmT1_PNSt15iterator_traitsISK_E10value_typeET2_T3_PNSL_ISQ_E10value_typeET4_jRbjT5_SW_jjP12ihipStream_tbEUlT_E2_NS1_11comp_targetILNS1_3genE5ELNS1_11target_archE942ELNS1_3gpuE9ELNS1_3repE0EEENS1_30default_config_static_selectorELNS0_4arch9wavefront6targetE0EEEvSK_: ; @_ZN7rocprim17ROCPRIM_400000_NS6detail17trampoline_kernelINS0_14default_configENS1_36segmented_radix_sort_config_selectorIflEEZNS1_25segmented_radix_sort_implIS3_Lb1EPKfPfPKlPlN2at6native12_GLOBAL__N_18offset_tEEE10hipError_tPvRmT1_PNSt15iterator_traitsISK_E10value_typeET2_T3_PNSL_ISQ_E10value_typeET4_jRbjT5_SW_jjP12ihipStream_tbEUlT_E2_NS1_11comp_targetILNS1_3genE5ELNS1_11target_archE942ELNS1_3gpuE9ELNS1_3repE0EEENS1_30default_config_static_selectorELNS0_4arch9wavefront6targetE0EEEvSK_
; %bb.0:
	.section	.rodata,"a",@progbits
	.p2align	6, 0x0
	.amdhsa_kernel _ZN7rocprim17ROCPRIM_400000_NS6detail17trampoline_kernelINS0_14default_configENS1_36segmented_radix_sort_config_selectorIflEEZNS1_25segmented_radix_sort_implIS3_Lb1EPKfPfPKlPlN2at6native12_GLOBAL__N_18offset_tEEE10hipError_tPvRmT1_PNSt15iterator_traitsISK_E10value_typeET2_T3_PNSL_ISQ_E10value_typeET4_jRbjT5_SW_jjP12ihipStream_tbEUlT_E2_NS1_11comp_targetILNS1_3genE5ELNS1_11target_archE942ELNS1_3gpuE9ELNS1_3repE0EEENS1_30default_config_static_selectorELNS0_4arch9wavefront6targetE0EEEvSK_
		.amdhsa_group_segment_fixed_size 0
		.amdhsa_private_segment_fixed_size 0
		.amdhsa_kernarg_size 80
		.amdhsa_user_sgpr_count 6
		.amdhsa_user_sgpr_private_segment_buffer 1
		.amdhsa_user_sgpr_dispatch_ptr 0
		.amdhsa_user_sgpr_queue_ptr 0
		.amdhsa_user_sgpr_kernarg_segment_ptr 1
		.amdhsa_user_sgpr_dispatch_id 0
		.amdhsa_user_sgpr_flat_scratch_init 0
		.amdhsa_user_sgpr_private_segment_size 0
		.amdhsa_wavefront_size32 1
		.amdhsa_uses_dynamic_stack 0
		.amdhsa_system_sgpr_private_segment_wavefront_offset 0
		.amdhsa_system_sgpr_workgroup_id_x 1
		.amdhsa_system_sgpr_workgroup_id_y 0
		.amdhsa_system_sgpr_workgroup_id_z 0
		.amdhsa_system_sgpr_workgroup_info 0
		.amdhsa_system_vgpr_workitem_id 0
		.amdhsa_next_free_vgpr 1
		.amdhsa_next_free_sgpr 1
		.amdhsa_reserve_vcc 0
		.amdhsa_reserve_flat_scratch 0
		.amdhsa_float_round_mode_32 0
		.amdhsa_float_round_mode_16_64 0
		.amdhsa_float_denorm_mode_32 3
		.amdhsa_float_denorm_mode_16_64 3
		.amdhsa_dx10_clamp 1
		.amdhsa_ieee_mode 1
		.amdhsa_fp16_overflow 0
		.amdhsa_workgroup_processor_mode 1
		.amdhsa_memory_ordered 1
		.amdhsa_forward_progress 1
		.amdhsa_shared_vgpr_count 0
		.amdhsa_exception_fp_ieee_invalid_op 0
		.amdhsa_exception_fp_denorm_src 0
		.amdhsa_exception_fp_ieee_div_zero 0
		.amdhsa_exception_fp_ieee_overflow 0
		.amdhsa_exception_fp_ieee_underflow 0
		.amdhsa_exception_fp_ieee_inexact 0
		.amdhsa_exception_int_div_zero 0
	.end_amdhsa_kernel
	.section	.text._ZN7rocprim17ROCPRIM_400000_NS6detail17trampoline_kernelINS0_14default_configENS1_36segmented_radix_sort_config_selectorIflEEZNS1_25segmented_radix_sort_implIS3_Lb1EPKfPfPKlPlN2at6native12_GLOBAL__N_18offset_tEEE10hipError_tPvRmT1_PNSt15iterator_traitsISK_E10value_typeET2_T3_PNSL_ISQ_E10value_typeET4_jRbjT5_SW_jjP12ihipStream_tbEUlT_E2_NS1_11comp_targetILNS1_3genE5ELNS1_11target_archE942ELNS1_3gpuE9ELNS1_3repE0EEENS1_30default_config_static_selectorELNS0_4arch9wavefront6targetE0EEEvSK_,"axG",@progbits,_ZN7rocprim17ROCPRIM_400000_NS6detail17trampoline_kernelINS0_14default_configENS1_36segmented_radix_sort_config_selectorIflEEZNS1_25segmented_radix_sort_implIS3_Lb1EPKfPfPKlPlN2at6native12_GLOBAL__N_18offset_tEEE10hipError_tPvRmT1_PNSt15iterator_traitsISK_E10value_typeET2_T3_PNSL_ISQ_E10value_typeET4_jRbjT5_SW_jjP12ihipStream_tbEUlT_E2_NS1_11comp_targetILNS1_3genE5ELNS1_11target_archE942ELNS1_3gpuE9ELNS1_3repE0EEENS1_30default_config_static_selectorELNS0_4arch9wavefront6targetE0EEEvSK_,comdat
.Lfunc_end1348:
	.size	_ZN7rocprim17ROCPRIM_400000_NS6detail17trampoline_kernelINS0_14default_configENS1_36segmented_radix_sort_config_selectorIflEEZNS1_25segmented_radix_sort_implIS3_Lb1EPKfPfPKlPlN2at6native12_GLOBAL__N_18offset_tEEE10hipError_tPvRmT1_PNSt15iterator_traitsISK_E10value_typeET2_T3_PNSL_ISQ_E10value_typeET4_jRbjT5_SW_jjP12ihipStream_tbEUlT_E2_NS1_11comp_targetILNS1_3genE5ELNS1_11target_archE942ELNS1_3gpuE9ELNS1_3repE0EEENS1_30default_config_static_selectorELNS0_4arch9wavefront6targetE0EEEvSK_, .Lfunc_end1348-_ZN7rocprim17ROCPRIM_400000_NS6detail17trampoline_kernelINS0_14default_configENS1_36segmented_radix_sort_config_selectorIflEEZNS1_25segmented_radix_sort_implIS3_Lb1EPKfPfPKlPlN2at6native12_GLOBAL__N_18offset_tEEE10hipError_tPvRmT1_PNSt15iterator_traitsISK_E10value_typeET2_T3_PNSL_ISQ_E10value_typeET4_jRbjT5_SW_jjP12ihipStream_tbEUlT_E2_NS1_11comp_targetILNS1_3genE5ELNS1_11target_archE942ELNS1_3gpuE9ELNS1_3repE0EEENS1_30default_config_static_selectorELNS0_4arch9wavefront6targetE0EEEvSK_
                                        ; -- End function
	.set _ZN7rocprim17ROCPRIM_400000_NS6detail17trampoline_kernelINS0_14default_configENS1_36segmented_radix_sort_config_selectorIflEEZNS1_25segmented_radix_sort_implIS3_Lb1EPKfPfPKlPlN2at6native12_GLOBAL__N_18offset_tEEE10hipError_tPvRmT1_PNSt15iterator_traitsISK_E10value_typeET2_T3_PNSL_ISQ_E10value_typeET4_jRbjT5_SW_jjP12ihipStream_tbEUlT_E2_NS1_11comp_targetILNS1_3genE5ELNS1_11target_archE942ELNS1_3gpuE9ELNS1_3repE0EEENS1_30default_config_static_selectorELNS0_4arch9wavefront6targetE0EEEvSK_.num_vgpr, 0
	.set _ZN7rocprim17ROCPRIM_400000_NS6detail17trampoline_kernelINS0_14default_configENS1_36segmented_radix_sort_config_selectorIflEEZNS1_25segmented_radix_sort_implIS3_Lb1EPKfPfPKlPlN2at6native12_GLOBAL__N_18offset_tEEE10hipError_tPvRmT1_PNSt15iterator_traitsISK_E10value_typeET2_T3_PNSL_ISQ_E10value_typeET4_jRbjT5_SW_jjP12ihipStream_tbEUlT_E2_NS1_11comp_targetILNS1_3genE5ELNS1_11target_archE942ELNS1_3gpuE9ELNS1_3repE0EEENS1_30default_config_static_selectorELNS0_4arch9wavefront6targetE0EEEvSK_.num_agpr, 0
	.set _ZN7rocprim17ROCPRIM_400000_NS6detail17trampoline_kernelINS0_14default_configENS1_36segmented_radix_sort_config_selectorIflEEZNS1_25segmented_radix_sort_implIS3_Lb1EPKfPfPKlPlN2at6native12_GLOBAL__N_18offset_tEEE10hipError_tPvRmT1_PNSt15iterator_traitsISK_E10value_typeET2_T3_PNSL_ISQ_E10value_typeET4_jRbjT5_SW_jjP12ihipStream_tbEUlT_E2_NS1_11comp_targetILNS1_3genE5ELNS1_11target_archE942ELNS1_3gpuE9ELNS1_3repE0EEENS1_30default_config_static_selectorELNS0_4arch9wavefront6targetE0EEEvSK_.numbered_sgpr, 0
	.set _ZN7rocprim17ROCPRIM_400000_NS6detail17trampoline_kernelINS0_14default_configENS1_36segmented_radix_sort_config_selectorIflEEZNS1_25segmented_radix_sort_implIS3_Lb1EPKfPfPKlPlN2at6native12_GLOBAL__N_18offset_tEEE10hipError_tPvRmT1_PNSt15iterator_traitsISK_E10value_typeET2_T3_PNSL_ISQ_E10value_typeET4_jRbjT5_SW_jjP12ihipStream_tbEUlT_E2_NS1_11comp_targetILNS1_3genE5ELNS1_11target_archE942ELNS1_3gpuE9ELNS1_3repE0EEENS1_30default_config_static_selectorELNS0_4arch9wavefront6targetE0EEEvSK_.num_named_barrier, 0
	.set _ZN7rocprim17ROCPRIM_400000_NS6detail17trampoline_kernelINS0_14default_configENS1_36segmented_radix_sort_config_selectorIflEEZNS1_25segmented_radix_sort_implIS3_Lb1EPKfPfPKlPlN2at6native12_GLOBAL__N_18offset_tEEE10hipError_tPvRmT1_PNSt15iterator_traitsISK_E10value_typeET2_T3_PNSL_ISQ_E10value_typeET4_jRbjT5_SW_jjP12ihipStream_tbEUlT_E2_NS1_11comp_targetILNS1_3genE5ELNS1_11target_archE942ELNS1_3gpuE9ELNS1_3repE0EEENS1_30default_config_static_selectorELNS0_4arch9wavefront6targetE0EEEvSK_.private_seg_size, 0
	.set _ZN7rocprim17ROCPRIM_400000_NS6detail17trampoline_kernelINS0_14default_configENS1_36segmented_radix_sort_config_selectorIflEEZNS1_25segmented_radix_sort_implIS3_Lb1EPKfPfPKlPlN2at6native12_GLOBAL__N_18offset_tEEE10hipError_tPvRmT1_PNSt15iterator_traitsISK_E10value_typeET2_T3_PNSL_ISQ_E10value_typeET4_jRbjT5_SW_jjP12ihipStream_tbEUlT_E2_NS1_11comp_targetILNS1_3genE5ELNS1_11target_archE942ELNS1_3gpuE9ELNS1_3repE0EEENS1_30default_config_static_selectorELNS0_4arch9wavefront6targetE0EEEvSK_.uses_vcc, 0
	.set _ZN7rocprim17ROCPRIM_400000_NS6detail17trampoline_kernelINS0_14default_configENS1_36segmented_radix_sort_config_selectorIflEEZNS1_25segmented_radix_sort_implIS3_Lb1EPKfPfPKlPlN2at6native12_GLOBAL__N_18offset_tEEE10hipError_tPvRmT1_PNSt15iterator_traitsISK_E10value_typeET2_T3_PNSL_ISQ_E10value_typeET4_jRbjT5_SW_jjP12ihipStream_tbEUlT_E2_NS1_11comp_targetILNS1_3genE5ELNS1_11target_archE942ELNS1_3gpuE9ELNS1_3repE0EEENS1_30default_config_static_selectorELNS0_4arch9wavefront6targetE0EEEvSK_.uses_flat_scratch, 0
	.set _ZN7rocprim17ROCPRIM_400000_NS6detail17trampoline_kernelINS0_14default_configENS1_36segmented_radix_sort_config_selectorIflEEZNS1_25segmented_radix_sort_implIS3_Lb1EPKfPfPKlPlN2at6native12_GLOBAL__N_18offset_tEEE10hipError_tPvRmT1_PNSt15iterator_traitsISK_E10value_typeET2_T3_PNSL_ISQ_E10value_typeET4_jRbjT5_SW_jjP12ihipStream_tbEUlT_E2_NS1_11comp_targetILNS1_3genE5ELNS1_11target_archE942ELNS1_3gpuE9ELNS1_3repE0EEENS1_30default_config_static_selectorELNS0_4arch9wavefront6targetE0EEEvSK_.has_dyn_sized_stack, 0
	.set _ZN7rocprim17ROCPRIM_400000_NS6detail17trampoline_kernelINS0_14default_configENS1_36segmented_radix_sort_config_selectorIflEEZNS1_25segmented_radix_sort_implIS3_Lb1EPKfPfPKlPlN2at6native12_GLOBAL__N_18offset_tEEE10hipError_tPvRmT1_PNSt15iterator_traitsISK_E10value_typeET2_T3_PNSL_ISQ_E10value_typeET4_jRbjT5_SW_jjP12ihipStream_tbEUlT_E2_NS1_11comp_targetILNS1_3genE5ELNS1_11target_archE942ELNS1_3gpuE9ELNS1_3repE0EEENS1_30default_config_static_selectorELNS0_4arch9wavefront6targetE0EEEvSK_.has_recursion, 0
	.set _ZN7rocprim17ROCPRIM_400000_NS6detail17trampoline_kernelINS0_14default_configENS1_36segmented_radix_sort_config_selectorIflEEZNS1_25segmented_radix_sort_implIS3_Lb1EPKfPfPKlPlN2at6native12_GLOBAL__N_18offset_tEEE10hipError_tPvRmT1_PNSt15iterator_traitsISK_E10value_typeET2_T3_PNSL_ISQ_E10value_typeET4_jRbjT5_SW_jjP12ihipStream_tbEUlT_E2_NS1_11comp_targetILNS1_3genE5ELNS1_11target_archE942ELNS1_3gpuE9ELNS1_3repE0EEENS1_30default_config_static_selectorELNS0_4arch9wavefront6targetE0EEEvSK_.has_indirect_call, 0
	.section	.AMDGPU.csdata,"",@progbits
; Kernel info:
; codeLenInByte = 0
; TotalNumSgprs: 0
; NumVgprs: 0
; ScratchSize: 0
; MemoryBound: 0
; FloatMode: 240
; IeeeMode: 1
; LDSByteSize: 0 bytes/workgroup (compile time only)
; SGPRBlocks: 0
; VGPRBlocks: 0
; NumSGPRsForWavesPerEU: 1
; NumVGPRsForWavesPerEU: 1
; Occupancy: 16
; WaveLimiterHint : 0
; COMPUTE_PGM_RSRC2:SCRATCH_EN: 0
; COMPUTE_PGM_RSRC2:USER_SGPR: 6
; COMPUTE_PGM_RSRC2:TRAP_HANDLER: 0
; COMPUTE_PGM_RSRC2:TGID_X_EN: 1
; COMPUTE_PGM_RSRC2:TGID_Y_EN: 0
; COMPUTE_PGM_RSRC2:TGID_Z_EN: 0
; COMPUTE_PGM_RSRC2:TIDIG_COMP_CNT: 0
	.section	.text._ZN7rocprim17ROCPRIM_400000_NS6detail17trampoline_kernelINS0_14default_configENS1_36segmented_radix_sort_config_selectorIflEEZNS1_25segmented_radix_sort_implIS3_Lb1EPKfPfPKlPlN2at6native12_GLOBAL__N_18offset_tEEE10hipError_tPvRmT1_PNSt15iterator_traitsISK_E10value_typeET2_T3_PNSL_ISQ_E10value_typeET4_jRbjT5_SW_jjP12ihipStream_tbEUlT_E2_NS1_11comp_targetILNS1_3genE4ELNS1_11target_archE910ELNS1_3gpuE8ELNS1_3repE0EEENS1_30default_config_static_selectorELNS0_4arch9wavefront6targetE0EEEvSK_,"axG",@progbits,_ZN7rocprim17ROCPRIM_400000_NS6detail17trampoline_kernelINS0_14default_configENS1_36segmented_radix_sort_config_selectorIflEEZNS1_25segmented_radix_sort_implIS3_Lb1EPKfPfPKlPlN2at6native12_GLOBAL__N_18offset_tEEE10hipError_tPvRmT1_PNSt15iterator_traitsISK_E10value_typeET2_T3_PNSL_ISQ_E10value_typeET4_jRbjT5_SW_jjP12ihipStream_tbEUlT_E2_NS1_11comp_targetILNS1_3genE4ELNS1_11target_archE910ELNS1_3gpuE8ELNS1_3repE0EEENS1_30default_config_static_selectorELNS0_4arch9wavefront6targetE0EEEvSK_,comdat
	.globl	_ZN7rocprim17ROCPRIM_400000_NS6detail17trampoline_kernelINS0_14default_configENS1_36segmented_radix_sort_config_selectorIflEEZNS1_25segmented_radix_sort_implIS3_Lb1EPKfPfPKlPlN2at6native12_GLOBAL__N_18offset_tEEE10hipError_tPvRmT1_PNSt15iterator_traitsISK_E10value_typeET2_T3_PNSL_ISQ_E10value_typeET4_jRbjT5_SW_jjP12ihipStream_tbEUlT_E2_NS1_11comp_targetILNS1_3genE4ELNS1_11target_archE910ELNS1_3gpuE8ELNS1_3repE0EEENS1_30default_config_static_selectorELNS0_4arch9wavefront6targetE0EEEvSK_ ; -- Begin function _ZN7rocprim17ROCPRIM_400000_NS6detail17trampoline_kernelINS0_14default_configENS1_36segmented_radix_sort_config_selectorIflEEZNS1_25segmented_radix_sort_implIS3_Lb1EPKfPfPKlPlN2at6native12_GLOBAL__N_18offset_tEEE10hipError_tPvRmT1_PNSt15iterator_traitsISK_E10value_typeET2_T3_PNSL_ISQ_E10value_typeET4_jRbjT5_SW_jjP12ihipStream_tbEUlT_E2_NS1_11comp_targetILNS1_3genE4ELNS1_11target_archE910ELNS1_3gpuE8ELNS1_3repE0EEENS1_30default_config_static_selectorELNS0_4arch9wavefront6targetE0EEEvSK_
	.p2align	8
	.type	_ZN7rocprim17ROCPRIM_400000_NS6detail17trampoline_kernelINS0_14default_configENS1_36segmented_radix_sort_config_selectorIflEEZNS1_25segmented_radix_sort_implIS3_Lb1EPKfPfPKlPlN2at6native12_GLOBAL__N_18offset_tEEE10hipError_tPvRmT1_PNSt15iterator_traitsISK_E10value_typeET2_T3_PNSL_ISQ_E10value_typeET4_jRbjT5_SW_jjP12ihipStream_tbEUlT_E2_NS1_11comp_targetILNS1_3genE4ELNS1_11target_archE910ELNS1_3gpuE8ELNS1_3repE0EEENS1_30default_config_static_selectorELNS0_4arch9wavefront6targetE0EEEvSK_,@function
_ZN7rocprim17ROCPRIM_400000_NS6detail17trampoline_kernelINS0_14default_configENS1_36segmented_radix_sort_config_selectorIflEEZNS1_25segmented_radix_sort_implIS3_Lb1EPKfPfPKlPlN2at6native12_GLOBAL__N_18offset_tEEE10hipError_tPvRmT1_PNSt15iterator_traitsISK_E10value_typeET2_T3_PNSL_ISQ_E10value_typeET4_jRbjT5_SW_jjP12ihipStream_tbEUlT_E2_NS1_11comp_targetILNS1_3genE4ELNS1_11target_archE910ELNS1_3gpuE8ELNS1_3repE0EEENS1_30default_config_static_selectorELNS0_4arch9wavefront6targetE0EEEvSK_: ; @_ZN7rocprim17ROCPRIM_400000_NS6detail17trampoline_kernelINS0_14default_configENS1_36segmented_radix_sort_config_selectorIflEEZNS1_25segmented_radix_sort_implIS3_Lb1EPKfPfPKlPlN2at6native12_GLOBAL__N_18offset_tEEE10hipError_tPvRmT1_PNSt15iterator_traitsISK_E10value_typeET2_T3_PNSL_ISQ_E10value_typeET4_jRbjT5_SW_jjP12ihipStream_tbEUlT_E2_NS1_11comp_targetILNS1_3genE4ELNS1_11target_archE910ELNS1_3gpuE8ELNS1_3repE0EEENS1_30default_config_static_selectorELNS0_4arch9wavefront6targetE0EEEvSK_
; %bb.0:
	.section	.rodata,"a",@progbits
	.p2align	6, 0x0
	.amdhsa_kernel _ZN7rocprim17ROCPRIM_400000_NS6detail17trampoline_kernelINS0_14default_configENS1_36segmented_radix_sort_config_selectorIflEEZNS1_25segmented_radix_sort_implIS3_Lb1EPKfPfPKlPlN2at6native12_GLOBAL__N_18offset_tEEE10hipError_tPvRmT1_PNSt15iterator_traitsISK_E10value_typeET2_T3_PNSL_ISQ_E10value_typeET4_jRbjT5_SW_jjP12ihipStream_tbEUlT_E2_NS1_11comp_targetILNS1_3genE4ELNS1_11target_archE910ELNS1_3gpuE8ELNS1_3repE0EEENS1_30default_config_static_selectorELNS0_4arch9wavefront6targetE0EEEvSK_
		.amdhsa_group_segment_fixed_size 0
		.amdhsa_private_segment_fixed_size 0
		.amdhsa_kernarg_size 80
		.amdhsa_user_sgpr_count 6
		.amdhsa_user_sgpr_private_segment_buffer 1
		.amdhsa_user_sgpr_dispatch_ptr 0
		.amdhsa_user_sgpr_queue_ptr 0
		.amdhsa_user_sgpr_kernarg_segment_ptr 1
		.amdhsa_user_sgpr_dispatch_id 0
		.amdhsa_user_sgpr_flat_scratch_init 0
		.amdhsa_user_sgpr_private_segment_size 0
		.amdhsa_wavefront_size32 1
		.amdhsa_uses_dynamic_stack 0
		.amdhsa_system_sgpr_private_segment_wavefront_offset 0
		.amdhsa_system_sgpr_workgroup_id_x 1
		.amdhsa_system_sgpr_workgroup_id_y 0
		.amdhsa_system_sgpr_workgroup_id_z 0
		.amdhsa_system_sgpr_workgroup_info 0
		.amdhsa_system_vgpr_workitem_id 0
		.amdhsa_next_free_vgpr 1
		.amdhsa_next_free_sgpr 1
		.amdhsa_reserve_vcc 0
		.amdhsa_reserve_flat_scratch 0
		.amdhsa_float_round_mode_32 0
		.amdhsa_float_round_mode_16_64 0
		.amdhsa_float_denorm_mode_32 3
		.amdhsa_float_denorm_mode_16_64 3
		.amdhsa_dx10_clamp 1
		.amdhsa_ieee_mode 1
		.amdhsa_fp16_overflow 0
		.amdhsa_workgroup_processor_mode 1
		.amdhsa_memory_ordered 1
		.amdhsa_forward_progress 1
		.amdhsa_shared_vgpr_count 0
		.amdhsa_exception_fp_ieee_invalid_op 0
		.amdhsa_exception_fp_denorm_src 0
		.amdhsa_exception_fp_ieee_div_zero 0
		.amdhsa_exception_fp_ieee_overflow 0
		.amdhsa_exception_fp_ieee_underflow 0
		.amdhsa_exception_fp_ieee_inexact 0
		.amdhsa_exception_int_div_zero 0
	.end_amdhsa_kernel
	.section	.text._ZN7rocprim17ROCPRIM_400000_NS6detail17trampoline_kernelINS0_14default_configENS1_36segmented_radix_sort_config_selectorIflEEZNS1_25segmented_radix_sort_implIS3_Lb1EPKfPfPKlPlN2at6native12_GLOBAL__N_18offset_tEEE10hipError_tPvRmT1_PNSt15iterator_traitsISK_E10value_typeET2_T3_PNSL_ISQ_E10value_typeET4_jRbjT5_SW_jjP12ihipStream_tbEUlT_E2_NS1_11comp_targetILNS1_3genE4ELNS1_11target_archE910ELNS1_3gpuE8ELNS1_3repE0EEENS1_30default_config_static_selectorELNS0_4arch9wavefront6targetE0EEEvSK_,"axG",@progbits,_ZN7rocprim17ROCPRIM_400000_NS6detail17trampoline_kernelINS0_14default_configENS1_36segmented_radix_sort_config_selectorIflEEZNS1_25segmented_radix_sort_implIS3_Lb1EPKfPfPKlPlN2at6native12_GLOBAL__N_18offset_tEEE10hipError_tPvRmT1_PNSt15iterator_traitsISK_E10value_typeET2_T3_PNSL_ISQ_E10value_typeET4_jRbjT5_SW_jjP12ihipStream_tbEUlT_E2_NS1_11comp_targetILNS1_3genE4ELNS1_11target_archE910ELNS1_3gpuE8ELNS1_3repE0EEENS1_30default_config_static_selectorELNS0_4arch9wavefront6targetE0EEEvSK_,comdat
.Lfunc_end1349:
	.size	_ZN7rocprim17ROCPRIM_400000_NS6detail17trampoline_kernelINS0_14default_configENS1_36segmented_radix_sort_config_selectorIflEEZNS1_25segmented_radix_sort_implIS3_Lb1EPKfPfPKlPlN2at6native12_GLOBAL__N_18offset_tEEE10hipError_tPvRmT1_PNSt15iterator_traitsISK_E10value_typeET2_T3_PNSL_ISQ_E10value_typeET4_jRbjT5_SW_jjP12ihipStream_tbEUlT_E2_NS1_11comp_targetILNS1_3genE4ELNS1_11target_archE910ELNS1_3gpuE8ELNS1_3repE0EEENS1_30default_config_static_selectorELNS0_4arch9wavefront6targetE0EEEvSK_, .Lfunc_end1349-_ZN7rocprim17ROCPRIM_400000_NS6detail17trampoline_kernelINS0_14default_configENS1_36segmented_radix_sort_config_selectorIflEEZNS1_25segmented_radix_sort_implIS3_Lb1EPKfPfPKlPlN2at6native12_GLOBAL__N_18offset_tEEE10hipError_tPvRmT1_PNSt15iterator_traitsISK_E10value_typeET2_T3_PNSL_ISQ_E10value_typeET4_jRbjT5_SW_jjP12ihipStream_tbEUlT_E2_NS1_11comp_targetILNS1_3genE4ELNS1_11target_archE910ELNS1_3gpuE8ELNS1_3repE0EEENS1_30default_config_static_selectorELNS0_4arch9wavefront6targetE0EEEvSK_
                                        ; -- End function
	.set _ZN7rocprim17ROCPRIM_400000_NS6detail17trampoline_kernelINS0_14default_configENS1_36segmented_radix_sort_config_selectorIflEEZNS1_25segmented_radix_sort_implIS3_Lb1EPKfPfPKlPlN2at6native12_GLOBAL__N_18offset_tEEE10hipError_tPvRmT1_PNSt15iterator_traitsISK_E10value_typeET2_T3_PNSL_ISQ_E10value_typeET4_jRbjT5_SW_jjP12ihipStream_tbEUlT_E2_NS1_11comp_targetILNS1_3genE4ELNS1_11target_archE910ELNS1_3gpuE8ELNS1_3repE0EEENS1_30default_config_static_selectorELNS0_4arch9wavefront6targetE0EEEvSK_.num_vgpr, 0
	.set _ZN7rocprim17ROCPRIM_400000_NS6detail17trampoline_kernelINS0_14default_configENS1_36segmented_radix_sort_config_selectorIflEEZNS1_25segmented_radix_sort_implIS3_Lb1EPKfPfPKlPlN2at6native12_GLOBAL__N_18offset_tEEE10hipError_tPvRmT1_PNSt15iterator_traitsISK_E10value_typeET2_T3_PNSL_ISQ_E10value_typeET4_jRbjT5_SW_jjP12ihipStream_tbEUlT_E2_NS1_11comp_targetILNS1_3genE4ELNS1_11target_archE910ELNS1_3gpuE8ELNS1_3repE0EEENS1_30default_config_static_selectorELNS0_4arch9wavefront6targetE0EEEvSK_.num_agpr, 0
	.set _ZN7rocprim17ROCPRIM_400000_NS6detail17trampoline_kernelINS0_14default_configENS1_36segmented_radix_sort_config_selectorIflEEZNS1_25segmented_radix_sort_implIS3_Lb1EPKfPfPKlPlN2at6native12_GLOBAL__N_18offset_tEEE10hipError_tPvRmT1_PNSt15iterator_traitsISK_E10value_typeET2_T3_PNSL_ISQ_E10value_typeET4_jRbjT5_SW_jjP12ihipStream_tbEUlT_E2_NS1_11comp_targetILNS1_3genE4ELNS1_11target_archE910ELNS1_3gpuE8ELNS1_3repE0EEENS1_30default_config_static_selectorELNS0_4arch9wavefront6targetE0EEEvSK_.numbered_sgpr, 0
	.set _ZN7rocprim17ROCPRIM_400000_NS6detail17trampoline_kernelINS0_14default_configENS1_36segmented_radix_sort_config_selectorIflEEZNS1_25segmented_radix_sort_implIS3_Lb1EPKfPfPKlPlN2at6native12_GLOBAL__N_18offset_tEEE10hipError_tPvRmT1_PNSt15iterator_traitsISK_E10value_typeET2_T3_PNSL_ISQ_E10value_typeET4_jRbjT5_SW_jjP12ihipStream_tbEUlT_E2_NS1_11comp_targetILNS1_3genE4ELNS1_11target_archE910ELNS1_3gpuE8ELNS1_3repE0EEENS1_30default_config_static_selectorELNS0_4arch9wavefront6targetE0EEEvSK_.num_named_barrier, 0
	.set _ZN7rocprim17ROCPRIM_400000_NS6detail17trampoline_kernelINS0_14default_configENS1_36segmented_radix_sort_config_selectorIflEEZNS1_25segmented_radix_sort_implIS3_Lb1EPKfPfPKlPlN2at6native12_GLOBAL__N_18offset_tEEE10hipError_tPvRmT1_PNSt15iterator_traitsISK_E10value_typeET2_T3_PNSL_ISQ_E10value_typeET4_jRbjT5_SW_jjP12ihipStream_tbEUlT_E2_NS1_11comp_targetILNS1_3genE4ELNS1_11target_archE910ELNS1_3gpuE8ELNS1_3repE0EEENS1_30default_config_static_selectorELNS0_4arch9wavefront6targetE0EEEvSK_.private_seg_size, 0
	.set _ZN7rocprim17ROCPRIM_400000_NS6detail17trampoline_kernelINS0_14default_configENS1_36segmented_radix_sort_config_selectorIflEEZNS1_25segmented_radix_sort_implIS3_Lb1EPKfPfPKlPlN2at6native12_GLOBAL__N_18offset_tEEE10hipError_tPvRmT1_PNSt15iterator_traitsISK_E10value_typeET2_T3_PNSL_ISQ_E10value_typeET4_jRbjT5_SW_jjP12ihipStream_tbEUlT_E2_NS1_11comp_targetILNS1_3genE4ELNS1_11target_archE910ELNS1_3gpuE8ELNS1_3repE0EEENS1_30default_config_static_selectorELNS0_4arch9wavefront6targetE0EEEvSK_.uses_vcc, 0
	.set _ZN7rocprim17ROCPRIM_400000_NS6detail17trampoline_kernelINS0_14default_configENS1_36segmented_radix_sort_config_selectorIflEEZNS1_25segmented_radix_sort_implIS3_Lb1EPKfPfPKlPlN2at6native12_GLOBAL__N_18offset_tEEE10hipError_tPvRmT1_PNSt15iterator_traitsISK_E10value_typeET2_T3_PNSL_ISQ_E10value_typeET4_jRbjT5_SW_jjP12ihipStream_tbEUlT_E2_NS1_11comp_targetILNS1_3genE4ELNS1_11target_archE910ELNS1_3gpuE8ELNS1_3repE0EEENS1_30default_config_static_selectorELNS0_4arch9wavefront6targetE0EEEvSK_.uses_flat_scratch, 0
	.set _ZN7rocprim17ROCPRIM_400000_NS6detail17trampoline_kernelINS0_14default_configENS1_36segmented_radix_sort_config_selectorIflEEZNS1_25segmented_radix_sort_implIS3_Lb1EPKfPfPKlPlN2at6native12_GLOBAL__N_18offset_tEEE10hipError_tPvRmT1_PNSt15iterator_traitsISK_E10value_typeET2_T3_PNSL_ISQ_E10value_typeET4_jRbjT5_SW_jjP12ihipStream_tbEUlT_E2_NS1_11comp_targetILNS1_3genE4ELNS1_11target_archE910ELNS1_3gpuE8ELNS1_3repE0EEENS1_30default_config_static_selectorELNS0_4arch9wavefront6targetE0EEEvSK_.has_dyn_sized_stack, 0
	.set _ZN7rocprim17ROCPRIM_400000_NS6detail17trampoline_kernelINS0_14default_configENS1_36segmented_radix_sort_config_selectorIflEEZNS1_25segmented_radix_sort_implIS3_Lb1EPKfPfPKlPlN2at6native12_GLOBAL__N_18offset_tEEE10hipError_tPvRmT1_PNSt15iterator_traitsISK_E10value_typeET2_T3_PNSL_ISQ_E10value_typeET4_jRbjT5_SW_jjP12ihipStream_tbEUlT_E2_NS1_11comp_targetILNS1_3genE4ELNS1_11target_archE910ELNS1_3gpuE8ELNS1_3repE0EEENS1_30default_config_static_selectorELNS0_4arch9wavefront6targetE0EEEvSK_.has_recursion, 0
	.set _ZN7rocprim17ROCPRIM_400000_NS6detail17trampoline_kernelINS0_14default_configENS1_36segmented_radix_sort_config_selectorIflEEZNS1_25segmented_radix_sort_implIS3_Lb1EPKfPfPKlPlN2at6native12_GLOBAL__N_18offset_tEEE10hipError_tPvRmT1_PNSt15iterator_traitsISK_E10value_typeET2_T3_PNSL_ISQ_E10value_typeET4_jRbjT5_SW_jjP12ihipStream_tbEUlT_E2_NS1_11comp_targetILNS1_3genE4ELNS1_11target_archE910ELNS1_3gpuE8ELNS1_3repE0EEENS1_30default_config_static_selectorELNS0_4arch9wavefront6targetE0EEEvSK_.has_indirect_call, 0
	.section	.AMDGPU.csdata,"",@progbits
; Kernel info:
; codeLenInByte = 0
; TotalNumSgprs: 0
; NumVgprs: 0
; ScratchSize: 0
; MemoryBound: 0
; FloatMode: 240
; IeeeMode: 1
; LDSByteSize: 0 bytes/workgroup (compile time only)
; SGPRBlocks: 0
; VGPRBlocks: 0
; NumSGPRsForWavesPerEU: 1
; NumVGPRsForWavesPerEU: 1
; Occupancy: 16
; WaveLimiterHint : 0
; COMPUTE_PGM_RSRC2:SCRATCH_EN: 0
; COMPUTE_PGM_RSRC2:USER_SGPR: 6
; COMPUTE_PGM_RSRC2:TRAP_HANDLER: 0
; COMPUTE_PGM_RSRC2:TGID_X_EN: 1
; COMPUTE_PGM_RSRC2:TGID_Y_EN: 0
; COMPUTE_PGM_RSRC2:TGID_Z_EN: 0
; COMPUTE_PGM_RSRC2:TIDIG_COMP_CNT: 0
	.section	.text._ZN7rocprim17ROCPRIM_400000_NS6detail17trampoline_kernelINS0_14default_configENS1_36segmented_radix_sort_config_selectorIflEEZNS1_25segmented_radix_sort_implIS3_Lb1EPKfPfPKlPlN2at6native12_GLOBAL__N_18offset_tEEE10hipError_tPvRmT1_PNSt15iterator_traitsISK_E10value_typeET2_T3_PNSL_ISQ_E10value_typeET4_jRbjT5_SW_jjP12ihipStream_tbEUlT_E2_NS1_11comp_targetILNS1_3genE3ELNS1_11target_archE908ELNS1_3gpuE7ELNS1_3repE0EEENS1_30default_config_static_selectorELNS0_4arch9wavefront6targetE0EEEvSK_,"axG",@progbits,_ZN7rocprim17ROCPRIM_400000_NS6detail17trampoline_kernelINS0_14default_configENS1_36segmented_radix_sort_config_selectorIflEEZNS1_25segmented_radix_sort_implIS3_Lb1EPKfPfPKlPlN2at6native12_GLOBAL__N_18offset_tEEE10hipError_tPvRmT1_PNSt15iterator_traitsISK_E10value_typeET2_T3_PNSL_ISQ_E10value_typeET4_jRbjT5_SW_jjP12ihipStream_tbEUlT_E2_NS1_11comp_targetILNS1_3genE3ELNS1_11target_archE908ELNS1_3gpuE7ELNS1_3repE0EEENS1_30default_config_static_selectorELNS0_4arch9wavefront6targetE0EEEvSK_,comdat
	.globl	_ZN7rocprim17ROCPRIM_400000_NS6detail17trampoline_kernelINS0_14default_configENS1_36segmented_radix_sort_config_selectorIflEEZNS1_25segmented_radix_sort_implIS3_Lb1EPKfPfPKlPlN2at6native12_GLOBAL__N_18offset_tEEE10hipError_tPvRmT1_PNSt15iterator_traitsISK_E10value_typeET2_T3_PNSL_ISQ_E10value_typeET4_jRbjT5_SW_jjP12ihipStream_tbEUlT_E2_NS1_11comp_targetILNS1_3genE3ELNS1_11target_archE908ELNS1_3gpuE7ELNS1_3repE0EEENS1_30default_config_static_selectorELNS0_4arch9wavefront6targetE0EEEvSK_ ; -- Begin function _ZN7rocprim17ROCPRIM_400000_NS6detail17trampoline_kernelINS0_14default_configENS1_36segmented_radix_sort_config_selectorIflEEZNS1_25segmented_radix_sort_implIS3_Lb1EPKfPfPKlPlN2at6native12_GLOBAL__N_18offset_tEEE10hipError_tPvRmT1_PNSt15iterator_traitsISK_E10value_typeET2_T3_PNSL_ISQ_E10value_typeET4_jRbjT5_SW_jjP12ihipStream_tbEUlT_E2_NS1_11comp_targetILNS1_3genE3ELNS1_11target_archE908ELNS1_3gpuE7ELNS1_3repE0EEENS1_30default_config_static_selectorELNS0_4arch9wavefront6targetE0EEEvSK_
	.p2align	8
	.type	_ZN7rocprim17ROCPRIM_400000_NS6detail17trampoline_kernelINS0_14default_configENS1_36segmented_radix_sort_config_selectorIflEEZNS1_25segmented_radix_sort_implIS3_Lb1EPKfPfPKlPlN2at6native12_GLOBAL__N_18offset_tEEE10hipError_tPvRmT1_PNSt15iterator_traitsISK_E10value_typeET2_T3_PNSL_ISQ_E10value_typeET4_jRbjT5_SW_jjP12ihipStream_tbEUlT_E2_NS1_11comp_targetILNS1_3genE3ELNS1_11target_archE908ELNS1_3gpuE7ELNS1_3repE0EEENS1_30default_config_static_selectorELNS0_4arch9wavefront6targetE0EEEvSK_,@function
_ZN7rocprim17ROCPRIM_400000_NS6detail17trampoline_kernelINS0_14default_configENS1_36segmented_radix_sort_config_selectorIflEEZNS1_25segmented_radix_sort_implIS3_Lb1EPKfPfPKlPlN2at6native12_GLOBAL__N_18offset_tEEE10hipError_tPvRmT1_PNSt15iterator_traitsISK_E10value_typeET2_T3_PNSL_ISQ_E10value_typeET4_jRbjT5_SW_jjP12ihipStream_tbEUlT_E2_NS1_11comp_targetILNS1_3genE3ELNS1_11target_archE908ELNS1_3gpuE7ELNS1_3repE0EEENS1_30default_config_static_selectorELNS0_4arch9wavefront6targetE0EEEvSK_: ; @_ZN7rocprim17ROCPRIM_400000_NS6detail17trampoline_kernelINS0_14default_configENS1_36segmented_radix_sort_config_selectorIflEEZNS1_25segmented_radix_sort_implIS3_Lb1EPKfPfPKlPlN2at6native12_GLOBAL__N_18offset_tEEE10hipError_tPvRmT1_PNSt15iterator_traitsISK_E10value_typeET2_T3_PNSL_ISQ_E10value_typeET4_jRbjT5_SW_jjP12ihipStream_tbEUlT_E2_NS1_11comp_targetILNS1_3genE3ELNS1_11target_archE908ELNS1_3gpuE7ELNS1_3repE0EEENS1_30default_config_static_selectorELNS0_4arch9wavefront6targetE0EEEvSK_
; %bb.0:
	.section	.rodata,"a",@progbits
	.p2align	6, 0x0
	.amdhsa_kernel _ZN7rocprim17ROCPRIM_400000_NS6detail17trampoline_kernelINS0_14default_configENS1_36segmented_radix_sort_config_selectorIflEEZNS1_25segmented_radix_sort_implIS3_Lb1EPKfPfPKlPlN2at6native12_GLOBAL__N_18offset_tEEE10hipError_tPvRmT1_PNSt15iterator_traitsISK_E10value_typeET2_T3_PNSL_ISQ_E10value_typeET4_jRbjT5_SW_jjP12ihipStream_tbEUlT_E2_NS1_11comp_targetILNS1_3genE3ELNS1_11target_archE908ELNS1_3gpuE7ELNS1_3repE0EEENS1_30default_config_static_selectorELNS0_4arch9wavefront6targetE0EEEvSK_
		.amdhsa_group_segment_fixed_size 0
		.amdhsa_private_segment_fixed_size 0
		.amdhsa_kernarg_size 80
		.amdhsa_user_sgpr_count 6
		.amdhsa_user_sgpr_private_segment_buffer 1
		.amdhsa_user_sgpr_dispatch_ptr 0
		.amdhsa_user_sgpr_queue_ptr 0
		.amdhsa_user_sgpr_kernarg_segment_ptr 1
		.amdhsa_user_sgpr_dispatch_id 0
		.amdhsa_user_sgpr_flat_scratch_init 0
		.amdhsa_user_sgpr_private_segment_size 0
		.amdhsa_wavefront_size32 1
		.amdhsa_uses_dynamic_stack 0
		.amdhsa_system_sgpr_private_segment_wavefront_offset 0
		.amdhsa_system_sgpr_workgroup_id_x 1
		.amdhsa_system_sgpr_workgroup_id_y 0
		.amdhsa_system_sgpr_workgroup_id_z 0
		.amdhsa_system_sgpr_workgroup_info 0
		.amdhsa_system_vgpr_workitem_id 0
		.amdhsa_next_free_vgpr 1
		.amdhsa_next_free_sgpr 1
		.amdhsa_reserve_vcc 0
		.amdhsa_reserve_flat_scratch 0
		.amdhsa_float_round_mode_32 0
		.amdhsa_float_round_mode_16_64 0
		.amdhsa_float_denorm_mode_32 3
		.amdhsa_float_denorm_mode_16_64 3
		.amdhsa_dx10_clamp 1
		.amdhsa_ieee_mode 1
		.amdhsa_fp16_overflow 0
		.amdhsa_workgroup_processor_mode 1
		.amdhsa_memory_ordered 1
		.amdhsa_forward_progress 1
		.amdhsa_shared_vgpr_count 0
		.amdhsa_exception_fp_ieee_invalid_op 0
		.amdhsa_exception_fp_denorm_src 0
		.amdhsa_exception_fp_ieee_div_zero 0
		.amdhsa_exception_fp_ieee_overflow 0
		.amdhsa_exception_fp_ieee_underflow 0
		.amdhsa_exception_fp_ieee_inexact 0
		.amdhsa_exception_int_div_zero 0
	.end_amdhsa_kernel
	.section	.text._ZN7rocprim17ROCPRIM_400000_NS6detail17trampoline_kernelINS0_14default_configENS1_36segmented_radix_sort_config_selectorIflEEZNS1_25segmented_radix_sort_implIS3_Lb1EPKfPfPKlPlN2at6native12_GLOBAL__N_18offset_tEEE10hipError_tPvRmT1_PNSt15iterator_traitsISK_E10value_typeET2_T3_PNSL_ISQ_E10value_typeET4_jRbjT5_SW_jjP12ihipStream_tbEUlT_E2_NS1_11comp_targetILNS1_3genE3ELNS1_11target_archE908ELNS1_3gpuE7ELNS1_3repE0EEENS1_30default_config_static_selectorELNS0_4arch9wavefront6targetE0EEEvSK_,"axG",@progbits,_ZN7rocprim17ROCPRIM_400000_NS6detail17trampoline_kernelINS0_14default_configENS1_36segmented_radix_sort_config_selectorIflEEZNS1_25segmented_radix_sort_implIS3_Lb1EPKfPfPKlPlN2at6native12_GLOBAL__N_18offset_tEEE10hipError_tPvRmT1_PNSt15iterator_traitsISK_E10value_typeET2_T3_PNSL_ISQ_E10value_typeET4_jRbjT5_SW_jjP12ihipStream_tbEUlT_E2_NS1_11comp_targetILNS1_3genE3ELNS1_11target_archE908ELNS1_3gpuE7ELNS1_3repE0EEENS1_30default_config_static_selectorELNS0_4arch9wavefront6targetE0EEEvSK_,comdat
.Lfunc_end1350:
	.size	_ZN7rocprim17ROCPRIM_400000_NS6detail17trampoline_kernelINS0_14default_configENS1_36segmented_radix_sort_config_selectorIflEEZNS1_25segmented_radix_sort_implIS3_Lb1EPKfPfPKlPlN2at6native12_GLOBAL__N_18offset_tEEE10hipError_tPvRmT1_PNSt15iterator_traitsISK_E10value_typeET2_T3_PNSL_ISQ_E10value_typeET4_jRbjT5_SW_jjP12ihipStream_tbEUlT_E2_NS1_11comp_targetILNS1_3genE3ELNS1_11target_archE908ELNS1_3gpuE7ELNS1_3repE0EEENS1_30default_config_static_selectorELNS0_4arch9wavefront6targetE0EEEvSK_, .Lfunc_end1350-_ZN7rocprim17ROCPRIM_400000_NS6detail17trampoline_kernelINS0_14default_configENS1_36segmented_radix_sort_config_selectorIflEEZNS1_25segmented_radix_sort_implIS3_Lb1EPKfPfPKlPlN2at6native12_GLOBAL__N_18offset_tEEE10hipError_tPvRmT1_PNSt15iterator_traitsISK_E10value_typeET2_T3_PNSL_ISQ_E10value_typeET4_jRbjT5_SW_jjP12ihipStream_tbEUlT_E2_NS1_11comp_targetILNS1_3genE3ELNS1_11target_archE908ELNS1_3gpuE7ELNS1_3repE0EEENS1_30default_config_static_selectorELNS0_4arch9wavefront6targetE0EEEvSK_
                                        ; -- End function
	.set _ZN7rocprim17ROCPRIM_400000_NS6detail17trampoline_kernelINS0_14default_configENS1_36segmented_radix_sort_config_selectorIflEEZNS1_25segmented_radix_sort_implIS3_Lb1EPKfPfPKlPlN2at6native12_GLOBAL__N_18offset_tEEE10hipError_tPvRmT1_PNSt15iterator_traitsISK_E10value_typeET2_T3_PNSL_ISQ_E10value_typeET4_jRbjT5_SW_jjP12ihipStream_tbEUlT_E2_NS1_11comp_targetILNS1_3genE3ELNS1_11target_archE908ELNS1_3gpuE7ELNS1_3repE0EEENS1_30default_config_static_selectorELNS0_4arch9wavefront6targetE0EEEvSK_.num_vgpr, 0
	.set _ZN7rocprim17ROCPRIM_400000_NS6detail17trampoline_kernelINS0_14default_configENS1_36segmented_radix_sort_config_selectorIflEEZNS1_25segmented_radix_sort_implIS3_Lb1EPKfPfPKlPlN2at6native12_GLOBAL__N_18offset_tEEE10hipError_tPvRmT1_PNSt15iterator_traitsISK_E10value_typeET2_T3_PNSL_ISQ_E10value_typeET4_jRbjT5_SW_jjP12ihipStream_tbEUlT_E2_NS1_11comp_targetILNS1_3genE3ELNS1_11target_archE908ELNS1_3gpuE7ELNS1_3repE0EEENS1_30default_config_static_selectorELNS0_4arch9wavefront6targetE0EEEvSK_.num_agpr, 0
	.set _ZN7rocprim17ROCPRIM_400000_NS6detail17trampoline_kernelINS0_14default_configENS1_36segmented_radix_sort_config_selectorIflEEZNS1_25segmented_radix_sort_implIS3_Lb1EPKfPfPKlPlN2at6native12_GLOBAL__N_18offset_tEEE10hipError_tPvRmT1_PNSt15iterator_traitsISK_E10value_typeET2_T3_PNSL_ISQ_E10value_typeET4_jRbjT5_SW_jjP12ihipStream_tbEUlT_E2_NS1_11comp_targetILNS1_3genE3ELNS1_11target_archE908ELNS1_3gpuE7ELNS1_3repE0EEENS1_30default_config_static_selectorELNS0_4arch9wavefront6targetE0EEEvSK_.numbered_sgpr, 0
	.set _ZN7rocprim17ROCPRIM_400000_NS6detail17trampoline_kernelINS0_14default_configENS1_36segmented_radix_sort_config_selectorIflEEZNS1_25segmented_radix_sort_implIS3_Lb1EPKfPfPKlPlN2at6native12_GLOBAL__N_18offset_tEEE10hipError_tPvRmT1_PNSt15iterator_traitsISK_E10value_typeET2_T3_PNSL_ISQ_E10value_typeET4_jRbjT5_SW_jjP12ihipStream_tbEUlT_E2_NS1_11comp_targetILNS1_3genE3ELNS1_11target_archE908ELNS1_3gpuE7ELNS1_3repE0EEENS1_30default_config_static_selectorELNS0_4arch9wavefront6targetE0EEEvSK_.num_named_barrier, 0
	.set _ZN7rocprim17ROCPRIM_400000_NS6detail17trampoline_kernelINS0_14default_configENS1_36segmented_radix_sort_config_selectorIflEEZNS1_25segmented_radix_sort_implIS3_Lb1EPKfPfPKlPlN2at6native12_GLOBAL__N_18offset_tEEE10hipError_tPvRmT1_PNSt15iterator_traitsISK_E10value_typeET2_T3_PNSL_ISQ_E10value_typeET4_jRbjT5_SW_jjP12ihipStream_tbEUlT_E2_NS1_11comp_targetILNS1_3genE3ELNS1_11target_archE908ELNS1_3gpuE7ELNS1_3repE0EEENS1_30default_config_static_selectorELNS0_4arch9wavefront6targetE0EEEvSK_.private_seg_size, 0
	.set _ZN7rocprim17ROCPRIM_400000_NS6detail17trampoline_kernelINS0_14default_configENS1_36segmented_radix_sort_config_selectorIflEEZNS1_25segmented_radix_sort_implIS3_Lb1EPKfPfPKlPlN2at6native12_GLOBAL__N_18offset_tEEE10hipError_tPvRmT1_PNSt15iterator_traitsISK_E10value_typeET2_T3_PNSL_ISQ_E10value_typeET4_jRbjT5_SW_jjP12ihipStream_tbEUlT_E2_NS1_11comp_targetILNS1_3genE3ELNS1_11target_archE908ELNS1_3gpuE7ELNS1_3repE0EEENS1_30default_config_static_selectorELNS0_4arch9wavefront6targetE0EEEvSK_.uses_vcc, 0
	.set _ZN7rocprim17ROCPRIM_400000_NS6detail17trampoline_kernelINS0_14default_configENS1_36segmented_radix_sort_config_selectorIflEEZNS1_25segmented_radix_sort_implIS3_Lb1EPKfPfPKlPlN2at6native12_GLOBAL__N_18offset_tEEE10hipError_tPvRmT1_PNSt15iterator_traitsISK_E10value_typeET2_T3_PNSL_ISQ_E10value_typeET4_jRbjT5_SW_jjP12ihipStream_tbEUlT_E2_NS1_11comp_targetILNS1_3genE3ELNS1_11target_archE908ELNS1_3gpuE7ELNS1_3repE0EEENS1_30default_config_static_selectorELNS0_4arch9wavefront6targetE0EEEvSK_.uses_flat_scratch, 0
	.set _ZN7rocprim17ROCPRIM_400000_NS6detail17trampoline_kernelINS0_14default_configENS1_36segmented_radix_sort_config_selectorIflEEZNS1_25segmented_radix_sort_implIS3_Lb1EPKfPfPKlPlN2at6native12_GLOBAL__N_18offset_tEEE10hipError_tPvRmT1_PNSt15iterator_traitsISK_E10value_typeET2_T3_PNSL_ISQ_E10value_typeET4_jRbjT5_SW_jjP12ihipStream_tbEUlT_E2_NS1_11comp_targetILNS1_3genE3ELNS1_11target_archE908ELNS1_3gpuE7ELNS1_3repE0EEENS1_30default_config_static_selectorELNS0_4arch9wavefront6targetE0EEEvSK_.has_dyn_sized_stack, 0
	.set _ZN7rocprim17ROCPRIM_400000_NS6detail17trampoline_kernelINS0_14default_configENS1_36segmented_radix_sort_config_selectorIflEEZNS1_25segmented_radix_sort_implIS3_Lb1EPKfPfPKlPlN2at6native12_GLOBAL__N_18offset_tEEE10hipError_tPvRmT1_PNSt15iterator_traitsISK_E10value_typeET2_T3_PNSL_ISQ_E10value_typeET4_jRbjT5_SW_jjP12ihipStream_tbEUlT_E2_NS1_11comp_targetILNS1_3genE3ELNS1_11target_archE908ELNS1_3gpuE7ELNS1_3repE0EEENS1_30default_config_static_selectorELNS0_4arch9wavefront6targetE0EEEvSK_.has_recursion, 0
	.set _ZN7rocprim17ROCPRIM_400000_NS6detail17trampoline_kernelINS0_14default_configENS1_36segmented_radix_sort_config_selectorIflEEZNS1_25segmented_radix_sort_implIS3_Lb1EPKfPfPKlPlN2at6native12_GLOBAL__N_18offset_tEEE10hipError_tPvRmT1_PNSt15iterator_traitsISK_E10value_typeET2_T3_PNSL_ISQ_E10value_typeET4_jRbjT5_SW_jjP12ihipStream_tbEUlT_E2_NS1_11comp_targetILNS1_3genE3ELNS1_11target_archE908ELNS1_3gpuE7ELNS1_3repE0EEENS1_30default_config_static_selectorELNS0_4arch9wavefront6targetE0EEEvSK_.has_indirect_call, 0
	.section	.AMDGPU.csdata,"",@progbits
; Kernel info:
; codeLenInByte = 0
; TotalNumSgprs: 0
; NumVgprs: 0
; ScratchSize: 0
; MemoryBound: 0
; FloatMode: 240
; IeeeMode: 1
; LDSByteSize: 0 bytes/workgroup (compile time only)
; SGPRBlocks: 0
; VGPRBlocks: 0
; NumSGPRsForWavesPerEU: 1
; NumVGPRsForWavesPerEU: 1
; Occupancy: 16
; WaveLimiterHint : 0
; COMPUTE_PGM_RSRC2:SCRATCH_EN: 0
; COMPUTE_PGM_RSRC2:USER_SGPR: 6
; COMPUTE_PGM_RSRC2:TRAP_HANDLER: 0
; COMPUTE_PGM_RSRC2:TGID_X_EN: 1
; COMPUTE_PGM_RSRC2:TGID_Y_EN: 0
; COMPUTE_PGM_RSRC2:TGID_Z_EN: 0
; COMPUTE_PGM_RSRC2:TIDIG_COMP_CNT: 0
	.section	.text._ZN7rocprim17ROCPRIM_400000_NS6detail17trampoline_kernelINS0_14default_configENS1_36segmented_radix_sort_config_selectorIflEEZNS1_25segmented_radix_sort_implIS3_Lb1EPKfPfPKlPlN2at6native12_GLOBAL__N_18offset_tEEE10hipError_tPvRmT1_PNSt15iterator_traitsISK_E10value_typeET2_T3_PNSL_ISQ_E10value_typeET4_jRbjT5_SW_jjP12ihipStream_tbEUlT_E2_NS1_11comp_targetILNS1_3genE2ELNS1_11target_archE906ELNS1_3gpuE6ELNS1_3repE0EEENS1_30default_config_static_selectorELNS0_4arch9wavefront6targetE0EEEvSK_,"axG",@progbits,_ZN7rocprim17ROCPRIM_400000_NS6detail17trampoline_kernelINS0_14default_configENS1_36segmented_radix_sort_config_selectorIflEEZNS1_25segmented_radix_sort_implIS3_Lb1EPKfPfPKlPlN2at6native12_GLOBAL__N_18offset_tEEE10hipError_tPvRmT1_PNSt15iterator_traitsISK_E10value_typeET2_T3_PNSL_ISQ_E10value_typeET4_jRbjT5_SW_jjP12ihipStream_tbEUlT_E2_NS1_11comp_targetILNS1_3genE2ELNS1_11target_archE906ELNS1_3gpuE6ELNS1_3repE0EEENS1_30default_config_static_selectorELNS0_4arch9wavefront6targetE0EEEvSK_,comdat
	.globl	_ZN7rocprim17ROCPRIM_400000_NS6detail17trampoline_kernelINS0_14default_configENS1_36segmented_radix_sort_config_selectorIflEEZNS1_25segmented_radix_sort_implIS3_Lb1EPKfPfPKlPlN2at6native12_GLOBAL__N_18offset_tEEE10hipError_tPvRmT1_PNSt15iterator_traitsISK_E10value_typeET2_T3_PNSL_ISQ_E10value_typeET4_jRbjT5_SW_jjP12ihipStream_tbEUlT_E2_NS1_11comp_targetILNS1_3genE2ELNS1_11target_archE906ELNS1_3gpuE6ELNS1_3repE0EEENS1_30default_config_static_selectorELNS0_4arch9wavefront6targetE0EEEvSK_ ; -- Begin function _ZN7rocprim17ROCPRIM_400000_NS6detail17trampoline_kernelINS0_14default_configENS1_36segmented_radix_sort_config_selectorIflEEZNS1_25segmented_radix_sort_implIS3_Lb1EPKfPfPKlPlN2at6native12_GLOBAL__N_18offset_tEEE10hipError_tPvRmT1_PNSt15iterator_traitsISK_E10value_typeET2_T3_PNSL_ISQ_E10value_typeET4_jRbjT5_SW_jjP12ihipStream_tbEUlT_E2_NS1_11comp_targetILNS1_3genE2ELNS1_11target_archE906ELNS1_3gpuE6ELNS1_3repE0EEENS1_30default_config_static_selectorELNS0_4arch9wavefront6targetE0EEEvSK_
	.p2align	8
	.type	_ZN7rocprim17ROCPRIM_400000_NS6detail17trampoline_kernelINS0_14default_configENS1_36segmented_radix_sort_config_selectorIflEEZNS1_25segmented_radix_sort_implIS3_Lb1EPKfPfPKlPlN2at6native12_GLOBAL__N_18offset_tEEE10hipError_tPvRmT1_PNSt15iterator_traitsISK_E10value_typeET2_T3_PNSL_ISQ_E10value_typeET4_jRbjT5_SW_jjP12ihipStream_tbEUlT_E2_NS1_11comp_targetILNS1_3genE2ELNS1_11target_archE906ELNS1_3gpuE6ELNS1_3repE0EEENS1_30default_config_static_selectorELNS0_4arch9wavefront6targetE0EEEvSK_,@function
_ZN7rocprim17ROCPRIM_400000_NS6detail17trampoline_kernelINS0_14default_configENS1_36segmented_radix_sort_config_selectorIflEEZNS1_25segmented_radix_sort_implIS3_Lb1EPKfPfPKlPlN2at6native12_GLOBAL__N_18offset_tEEE10hipError_tPvRmT1_PNSt15iterator_traitsISK_E10value_typeET2_T3_PNSL_ISQ_E10value_typeET4_jRbjT5_SW_jjP12ihipStream_tbEUlT_E2_NS1_11comp_targetILNS1_3genE2ELNS1_11target_archE906ELNS1_3gpuE6ELNS1_3repE0EEENS1_30default_config_static_selectorELNS0_4arch9wavefront6targetE0EEEvSK_: ; @_ZN7rocprim17ROCPRIM_400000_NS6detail17trampoline_kernelINS0_14default_configENS1_36segmented_radix_sort_config_selectorIflEEZNS1_25segmented_radix_sort_implIS3_Lb1EPKfPfPKlPlN2at6native12_GLOBAL__N_18offset_tEEE10hipError_tPvRmT1_PNSt15iterator_traitsISK_E10value_typeET2_T3_PNSL_ISQ_E10value_typeET4_jRbjT5_SW_jjP12ihipStream_tbEUlT_E2_NS1_11comp_targetILNS1_3genE2ELNS1_11target_archE906ELNS1_3gpuE6ELNS1_3repE0EEENS1_30default_config_static_selectorELNS0_4arch9wavefront6targetE0EEEvSK_
; %bb.0:
	.section	.rodata,"a",@progbits
	.p2align	6, 0x0
	.amdhsa_kernel _ZN7rocprim17ROCPRIM_400000_NS6detail17trampoline_kernelINS0_14default_configENS1_36segmented_radix_sort_config_selectorIflEEZNS1_25segmented_radix_sort_implIS3_Lb1EPKfPfPKlPlN2at6native12_GLOBAL__N_18offset_tEEE10hipError_tPvRmT1_PNSt15iterator_traitsISK_E10value_typeET2_T3_PNSL_ISQ_E10value_typeET4_jRbjT5_SW_jjP12ihipStream_tbEUlT_E2_NS1_11comp_targetILNS1_3genE2ELNS1_11target_archE906ELNS1_3gpuE6ELNS1_3repE0EEENS1_30default_config_static_selectorELNS0_4arch9wavefront6targetE0EEEvSK_
		.amdhsa_group_segment_fixed_size 0
		.amdhsa_private_segment_fixed_size 0
		.amdhsa_kernarg_size 80
		.amdhsa_user_sgpr_count 6
		.amdhsa_user_sgpr_private_segment_buffer 1
		.amdhsa_user_sgpr_dispatch_ptr 0
		.amdhsa_user_sgpr_queue_ptr 0
		.amdhsa_user_sgpr_kernarg_segment_ptr 1
		.amdhsa_user_sgpr_dispatch_id 0
		.amdhsa_user_sgpr_flat_scratch_init 0
		.amdhsa_user_sgpr_private_segment_size 0
		.amdhsa_wavefront_size32 1
		.amdhsa_uses_dynamic_stack 0
		.amdhsa_system_sgpr_private_segment_wavefront_offset 0
		.amdhsa_system_sgpr_workgroup_id_x 1
		.amdhsa_system_sgpr_workgroup_id_y 0
		.amdhsa_system_sgpr_workgroup_id_z 0
		.amdhsa_system_sgpr_workgroup_info 0
		.amdhsa_system_vgpr_workitem_id 0
		.amdhsa_next_free_vgpr 1
		.amdhsa_next_free_sgpr 1
		.amdhsa_reserve_vcc 0
		.amdhsa_reserve_flat_scratch 0
		.amdhsa_float_round_mode_32 0
		.amdhsa_float_round_mode_16_64 0
		.amdhsa_float_denorm_mode_32 3
		.amdhsa_float_denorm_mode_16_64 3
		.amdhsa_dx10_clamp 1
		.amdhsa_ieee_mode 1
		.amdhsa_fp16_overflow 0
		.amdhsa_workgroup_processor_mode 1
		.amdhsa_memory_ordered 1
		.amdhsa_forward_progress 1
		.amdhsa_shared_vgpr_count 0
		.amdhsa_exception_fp_ieee_invalid_op 0
		.amdhsa_exception_fp_denorm_src 0
		.amdhsa_exception_fp_ieee_div_zero 0
		.amdhsa_exception_fp_ieee_overflow 0
		.amdhsa_exception_fp_ieee_underflow 0
		.amdhsa_exception_fp_ieee_inexact 0
		.amdhsa_exception_int_div_zero 0
	.end_amdhsa_kernel
	.section	.text._ZN7rocprim17ROCPRIM_400000_NS6detail17trampoline_kernelINS0_14default_configENS1_36segmented_radix_sort_config_selectorIflEEZNS1_25segmented_radix_sort_implIS3_Lb1EPKfPfPKlPlN2at6native12_GLOBAL__N_18offset_tEEE10hipError_tPvRmT1_PNSt15iterator_traitsISK_E10value_typeET2_T3_PNSL_ISQ_E10value_typeET4_jRbjT5_SW_jjP12ihipStream_tbEUlT_E2_NS1_11comp_targetILNS1_3genE2ELNS1_11target_archE906ELNS1_3gpuE6ELNS1_3repE0EEENS1_30default_config_static_selectorELNS0_4arch9wavefront6targetE0EEEvSK_,"axG",@progbits,_ZN7rocprim17ROCPRIM_400000_NS6detail17trampoline_kernelINS0_14default_configENS1_36segmented_radix_sort_config_selectorIflEEZNS1_25segmented_radix_sort_implIS3_Lb1EPKfPfPKlPlN2at6native12_GLOBAL__N_18offset_tEEE10hipError_tPvRmT1_PNSt15iterator_traitsISK_E10value_typeET2_T3_PNSL_ISQ_E10value_typeET4_jRbjT5_SW_jjP12ihipStream_tbEUlT_E2_NS1_11comp_targetILNS1_3genE2ELNS1_11target_archE906ELNS1_3gpuE6ELNS1_3repE0EEENS1_30default_config_static_selectorELNS0_4arch9wavefront6targetE0EEEvSK_,comdat
.Lfunc_end1351:
	.size	_ZN7rocprim17ROCPRIM_400000_NS6detail17trampoline_kernelINS0_14default_configENS1_36segmented_radix_sort_config_selectorIflEEZNS1_25segmented_radix_sort_implIS3_Lb1EPKfPfPKlPlN2at6native12_GLOBAL__N_18offset_tEEE10hipError_tPvRmT1_PNSt15iterator_traitsISK_E10value_typeET2_T3_PNSL_ISQ_E10value_typeET4_jRbjT5_SW_jjP12ihipStream_tbEUlT_E2_NS1_11comp_targetILNS1_3genE2ELNS1_11target_archE906ELNS1_3gpuE6ELNS1_3repE0EEENS1_30default_config_static_selectorELNS0_4arch9wavefront6targetE0EEEvSK_, .Lfunc_end1351-_ZN7rocprim17ROCPRIM_400000_NS6detail17trampoline_kernelINS0_14default_configENS1_36segmented_radix_sort_config_selectorIflEEZNS1_25segmented_radix_sort_implIS3_Lb1EPKfPfPKlPlN2at6native12_GLOBAL__N_18offset_tEEE10hipError_tPvRmT1_PNSt15iterator_traitsISK_E10value_typeET2_T3_PNSL_ISQ_E10value_typeET4_jRbjT5_SW_jjP12ihipStream_tbEUlT_E2_NS1_11comp_targetILNS1_3genE2ELNS1_11target_archE906ELNS1_3gpuE6ELNS1_3repE0EEENS1_30default_config_static_selectorELNS0_4arch9wavefront6targetE0EEEvSK_
                                        ; -- End function
	.set _ZN7rocprim17ROCPRIM_400000_NS6detail17trampoline_kernelINS0_14default_configENS1_36segmented_radix_sort_config_selectorIflEEZNS1_25segmented_radix_sort_implIS3_Lb1EPKfPfPKlPlN2at6native12_GLOBAL__N_18offset_tEEE10hipError_tPvRmT1_PNSt15iterator_traitsISK_E10value_typeET2_T3_PNSL_ISQ_E10value_typeET4_jRbjT5_SW_jjP12ihipStream_tbEUlT_E2_NS1_11comp_targetILNS1_3genE2ELNS1_11target_archE906ELNS1_3gpuE6ELNS1_3repE0EEENS1_30default_config_static_selectorELNS0_4arch9wavefront6targetE0EEEvSK_.num_vgpr, 0
	.set _ZN7rocprim17ROCPRIM_400000_NS6detail17trampoline_kernelINS0_14default_configENS1_36segmented_radix_sort_config_selectorIflEEZNS1_25segmented_radix_sort_implIS3_Lb1EPKfPfPKlPlN2at6native12_GLOBAL__N_18offset_tEEE10hipError_tPvRmT1_PNSt15iterator_traitsISK_E10value_typeET2_T3_PNSL_ISQ_E10value_typeET4_jRbjT5_SW_jjP12ihipStream_tbEUlT_E2_NS1_11comp_targetILNS1_3genE2ELNS1_11target_archE906ELNS1_3gpuE6ELNS1_3repE0EEENS1_30default_config_static_selectorELNS0_4arch9wavefront6targetE0EEEvSK_.num_agpr, 0
	.set _ZN7rocprim17ROCPRIM_400000_NS6detail17trampoline_kernelINS0_14default_configENS1_36segmented_radix_sort_config_selectorIflEEZNS1_25segmented_radix_sort_implIS3_Lb1EPKfPfPKlPlN2at6native12_GLOBAL__N_18offset_tEEE10hipError_tPvRmT1_PNSt15iterator_traitsISK_E10value_typeET2_T3_PNSL_ISQ_E10value_typeET4_jRbjT5_SW_jjP12ihipStream_tbEUlT_E2_NS1_11comp_targetILNS1_3genE2ELNS1_11target_archE906ELNS1_3gpuE6ELNS1_3repE0EEENS1_30default_config_static_selectorELNS0_4arch9wavefront6targetE0EEEvSK_.numbered_sgpr, 0
	.set _ZN7rocprim17ROCPRIM_400000_NS6detail17trampoline_kernelINS0_14default_configENS1_36segmented_radix_sort_config_selectorIflEEZNS1_25segmented_radix_sort_implIS3_Lb1EPKfPfPKlPlN2at6native12_GLOBAL__N_18offset_tEEE10hipError_tPvRmT1_PNSt15iterator_traitsISK_E10value_typeET2_T3_PNSL_ISQ_E10value_typeET4_jRbjT5_SW_jjP12ihipStream_tbEUlT_E2_NS1_11comp_targetILNS1_3genE2ELNS1_11target_archE906ELNS1_3gpuE6ELNS1_3repE0EEENS1_30default_config_static_selectorELNS0_4arch9wavefront6targetE0EEEvSK_.num_named_barrier, 0
	.set _ZN7rocprim17ROCPRIM_400000_NS6detail17trampoline_kernelINS0_14default_configENS1_36segmented_radix_sort_config_selectorIflEEZNS1_25segmented_radix_sort_implIS3_Lb1EPKfPfPKlPlN2at6native12_GLOBAL__N_18offset_tEEE10hipError_tPvRmT1_PNSt15iterator_traitsISK_E10value_typeET2_T3_PNSL_ISQ_E10value_typeET4_jRbjT5_SW_jjP12ihipStream_tbEUlT_E2_NS1_11comp_targetILNS1_3genE2ELNS1_11target_archE906ELNS1_3gpuE6ELNS1_3repE0EEENS1_30default_config_static_selectorELNS0_4arch9wavefront6targetE0EEEvSK_.private_seg_size, 0
	.set _ZN7rocprim17ROCPRIM_400000_NS6detail17trampoline_kernelINS0_14default_configENS1_36segmented_radix_sort_config_selectorIflEEZNS1_25segmented_radix_sort_implIS3_Lb1EPKfPfPKlPlN2at6native12_GLOBAL__N_18offset_tEEE10hipError_tPvRmT1_PNSt15iterator_traitsISK_E10value_typeET2_T3_PNSL_ISQ_E10value_typeET4_jRbjT5_SW_jjP12ihipStream_tbEUlT_E2_NS1_11comp_targetILNS1_3genE2ELNS1_11target_archE906ELNS1_3gpuE6ELNS1_3repE0EEENS1_30default_config_static_selectorELNS0_4arch9wavefront6targetE0EEEvSK_.uses_vcc, 0
	.set _ZN7rocprim17ROCPRIM_400000_NS6detail17trampoline_kernelINS0_14default_configENS1_36segmented_radix_sort_config_selectorIflEEZNS1_25segmented_radix_sort_implIS3_Lb1EPKfPfPKlPlN2at6native12_GLOBAL__N_18offset_tEEE10hipError_tPvRmT1_PNSt15iterator_traitsISK_E10value_typeET2_T3_PNSL_ISQ_E10value_typeET4_jRbjT5_SW_jjP12ihipStream_tbEUlT_E2_NS1_11comp_targetILNS1_3genE2ELNS1_11target_archE906ELNS1_3gpuE6ELNS1_3repE0EEENS1_30default_config_static_selectorELNS0_4arch9wavefront6targetE0EEEvSK_.uses_flat_scratch, 0
	.set _ZN7rocprim17ROCPRIM_400000_NS6detail17trampoline_kernelINS0_14default_configENS1_36segmented_radix_sort_config_selectorIflEEZNS1_25segmented_radix_sort_implIS3_Lb1EPKfPfPKlPlN2at6native12_GLOBAL__N_18offset_tEEE10hipError_tPvRmT1_PNSt15iterator_traitsISK_E10value_typeET2_T3_PNSL_ISQ_E10value_typeET4_jRbjT5_SW_jjP12ihipStream_tbEUlT_E2_NS1_11comp_targetILNS1_3genE2ELNS1_11target_archE906ELNS1_3gpuE6ELNS1_3repE0EEENS1_30default_config_static_selectorELNS0_4arch9wavefront6targetE0EEEvSK_.has_dyn_sized_stack, 0
	.set _ZN7rocprim17ROCPRIM_400000_NS6detail17trampoline_kernelINS0_14default_configENS1_36segmented_radix_sort_config_selectorIflEEZNS1_25segmented_radix_sort_implIS3_Lb1EPKfPfPKlPlN2at6native12_GLOBAL__N_18offset_tEEE10hipError_tPvRmT1_PNSt15iterator_traitsISK_E10value_typeET2_T3_PNSL_ISQ_E10value_typeET4_jRbjT5_SW_jjP12ihipStream_tbEUlT_E2_NS1_11comp_targetILNS1_3genE2ELNS1_11target_archE906ELNS1_3gpuE6ELNS1_3repE0EEENS1_30default_config_static_selectorELNS0_4arch9wavefront6targetE0EEEvSK_.has_recursion, 0
	.set _ZN7rocprim17ROCPRIM_400000_NS6detail17trampoline_kernelINS0_14default_configENS1_36segmented_radix_sort_config_selectorIflEEZNS1_25segmented_radix_sort_implIS3_Lb1EPKfPfPKlPlN2at6native12_GLOBAL__N_18offset_tEEE10hipError_tPvRmT1_PNSt15iterator_traitsISK_E10value_typeET2_T3_PNSL_ISQ_E10value_typeET4_jRbjT5_SW_jjP12ihipStream_tbEUlT_E2_NS1_11comp_targetILNS1_3genE2ELNS1_11target_archE906ELNS1_3gpuE6ELNS1_3repE0EEENS1_30default_config_static_selectorELNS0_4arch9wavefront6targetE0EEEvSK_.has_indirect_call, 0
	.section	.AMDGPU.csdata,"",@progbits
; Kernel info:
; codeLenInByte = 0
; TotalNumSgprs: 0
; NumVgprs: 0
; ScratchSize: 0
; MemoryBound: 0
; FloatMode: 240
; IeeeMode: 1
; LDSByteSize: 0 bytes/workgroup (compile time only)
; SGPRBlocks: 0
; VGPRBlocks: 0
; NumSGPRsForWavesPerEU: 1
; NumVGPRsForWavesPerEU: 1
; Occupancy: 16
; WaveLimiterHint : 0
; COMPUTE_PGM_RSRC2:SCRATCH_EN: 0
; COMPUTE_PGM_RSRC2:USER_SGPR: 6
; COMPUTE_PGM_RSRC2:TRAP_HANDLER: 0
; COMPUTE_PGM_RSRC2:TGID_X_EN: 1
; COMPUTE_PGM_RSRC2:TGID_Y_EN: 0
; COMPUTE_PGM_RSRC2:TGID_Z_EN: 0
; COMPUTE_PGM_RSRC2:TIDIG_COMP_CNT: 0
	.section	.text._ZN7rocprim17ROCPRIM_400000_NS6detail17trampoline_kernelINS0_14default_configENS1_36segmented_radix_sort_config_selectorIflEEZNS1_25segmented_radix_sort_implIS3_Lb1EPKfPfPKlPlN2at6native12_GLOBAL__N_18offset_tEEE10hipError_tPvRmT1_PNSt15iterator_traitsISK_E10value_typeET2_T3_PNSL_ISQ_E10value_typeET4_jRbjT5_SW_jjP12ihipStream_tbEUlT_E2_NS1_11comp_targetILNS1_3genE10ELNS1_11target_archE1201ELNS1_3gpuE5ELNS1_3repE0EEENS1_30default_config_static_selectorELNS0_4arch9wavefront6targetE0EEEvSK_,"axG",@progbits,_ZN7rocprim17ROCPRIM_400000_NS6detail17trampoline_kernelINS0_14default_configENS1_36segmented_radix_sort_config_selectorIflEEZNS1_25segmented_radix_sort_implIS3_Lb1EPKfPfPKlPlN2at6native12_GLOBAL__N_18offset_tEEE10hipError_tPvRmT1_PNSt15iterator_traitsISK_E10value_typeET2_T3_PNSL_ISQ_E10value_typeET4_jRbjT5_SW_jjP12ihipStream_tbEUlT_E2_NS1_11comp_targetILNS1_3genE10ELNS1_11target_archE1201ELNS1_3gpuE5ELNS1_3repE0EEENS1_30default_config_static_selectorELNS0_4arch9wavefront6targetE0EEEvSK_,comdat
	.globl	_ZN7rocprim17ROCPRIM_400000_NS6detail17trampoline_kernelINS0_14default_configENS1_36segmented_radix_sort_config_selectorIflEEZNS1_25segmented_radix_sort_implIS3_Lb1EPKfPfPKlPlN2at6native12_GLOBAL__N_18offset_tEEE10hipError_tPvRmT1_PNSt15iterator_traitsISK_E10value_typeET2_T3_PNSL_ISQ_E10value_typeET4_jRbjT5_SW_jjP12ihipStream_tbEUlT_E2_NS1_11comp_targetILNS1_3genE10ELNS1_11target_archE1201ELNS1_3gpuE5ELNS1_3repE0EEENS1_30default_config_static_selectorELNS0_4arch9wavefront6targetE0EEEvSK_ ; -- Begin function _ZN7rocprim17ROCPRIM_400000_NS6detail17trampoline_kernelINS0_14default_configENS1_36segmented_radix_sort_config_selectorIflEEZNS1_25segmented_radix_sort_implIS3_Lb1EPKfPfPKlPlN2at6native12_GLOBAL__N_18offset_tEEE10hipError_tPvRmT1_PNSt15iterator_traitsISK_E10value_typeET2_T3_PNSL_ISQ_E10value_typeET4_jRbjT5_SW_jjP12ihipStream_tbEUlT_E2_NS1_11comp_targetILNS1_3genE10ELNS1_11target_archE1201ELNS1_3gpuE5ELNS1_3repE0EEENS1_30default_config_static_selectorELNS0_4arch9wavefront6targetE0EEEvSK_
	.p2align	8
	.type	_ZN7rocprim17ROCPRIM_400000_NS6detail17trampoline_kernelINS0_14default_configENS1_36segmented_radix_sort_config_selectorIflEEZNS1_25segmented_radix_sort_implIS3_Lb1EPKfPfPKlPlN2at6native12_GLOBAL__N_18offset_tEEE10hipError_tPvRmT1_PNSt15iterator_traitsISK_E10value_typeET2_T3_PNSL_ISQ_E10value_typeET4_jRbjT5_SW_jjP12ihipStream_tbEUlT_E2_NS1_11comp_targetILNS1_3genE10ELNS1_11target_archE1201ELNS1_3gpuE5ELNS1_3repE0EEENS1_30default_config_static_selectorELNS0_4arch9wavefront6targetE0EEEvSK_,@function
_ZN7rocprim17ROCPRIM_400000_NS6detail17trampoline_kernelINS0_14default_configENS1_36segmented_radix_sort_config_selectorIflEEZNS1_25segmented_radix_sort_implIS3_Lb1EPKfPfPKlPlN2at6native12_GLOBAL__N_18offset_tEEE10hipError_tPvRmT1_PNSt15iterator_traitsISK_E10value_typeET2_T3_PNSL_ISQ_E10value_typeET4_jRbjT5_SW_jjP12ihipStream_tbEUlT_E2_NS1_11comp_targetILNS1_3genE10ELNS1_11target_archE1201ELNS1_3gpuE5ELNS1_3repE0EEENS1_30default_config_static_selectorELNS0_4arch9wavefront6targetE0EEEvSK_: ; @_ZN7rocprim17ROCPRIM_400000_NS6detail17trampoline_kernelINS0_14default_configENS1_36segmented_radix_sort_config_selectorIflEEZNS1_25segmented_radix_sort_implIS3_Lb1EPKfPfPKlPlN2at6native12_GLOBAL__N_18offset_tEEE10hipError_tPvRmT1_PNSt15iterator_traitsISK_E10value_typeET2_T3_PNSL_ISQ_E10value_typeET4_jRbjT5_SW_jjP12ihipStream_tbEUlT_E2_NS1_11comp_targetILNS1_3genE10ELNS1_11target_archE1201ELNS1_3gpuE5ELNS1_3repE0EEENS1_30default_config_static_selectorELNS0_4arch9wavefront6targetE0EEEvSK_
; %bb.0:
	.section	.rodata,"a",@progbits
	.p2align	6, 0x0
	.amdhsa_kernel _ZN7rocprim17ROCPRIM_400000_NS6detail17trampoline_kernelINS0_14default_configENS1_36segmented_radix_sort_config_selectorIflEEZNS1_25segmented_radix_sort_implIS3_Lb1EPKfPfPKlPlN2at6native12_GLOBAL__N_18offset_tEEE10hipError_tPvRmT1_PNSt15iterator_traitsISK_E10value_typeET2_T3_PNSL_ISQ_E10value_typeET4_jRbjT5_SW_jjP12ihipStream_tbEUlT_E2_NS1_11comp_targetILNS1_3genE10ELNS1_11target_archE1201ELNS1_3gpuE5ELNS1_3repE0EEENS1_30default_config_static_selectorELNS0_4arch9wavefront6targetE0EEEvSK_
		.amdhsa_group_segment_fixed_size 0
		.amdhsa_private_segment_fixed_size 0
		.amdhsa_kernarg_size 80
		.amdhsa_user_sgpr_count 6
		.amdhsa_user_sgpr_private_segment_buffer 1
		.amdhsa_user_sgpr_dispatch_ptr 0
		.amdhsa_user_sgpr_queue_ptr 0
		.amdhsa_user_sgpr_kernarg_segment_ptr 1
		.amdhsa_user_sgpr_dispatch_id 0
		.amdhsa_user_sgpr_flat_scratch_init 0
		.amdhsa_user_sgpr_private_segment_size 0
		.amdhsa_wavefront_size32 1
		.amdhsa_uses_dynamic_stack 0
		.amdhsa_system_sgpr_private_segment_wavefront_offset 0
		.amdhsa_system_sgpr_workgroup_id_x 1
		.amdhsa_system_sgpr_workgroup_id_y 0
		.amdhsa_system_sgpr_workgroup_id_z 0
		.amdhsa_system_sgpr_workgroup_info 0
		.amdhsa_system_vgpr_workitem_id 0
		.amdhsa_next_free_vgpr 1
		.amdhsa_next_free_sgpr 1
		.amdhsa_reserve_vcc 0
		.amdhsa_reserve_flat_scratch 0
		.amdhsa_float_round_mode_32 0
		.amdhsa_float_round_mode_16_64 0
		.amdhsa_float_denorm_mode_32 3
		.amdhsa_float_denorm_mode_16_64 3
		.amdhsa_dx10_clamp 1
		.amdhsa_ieee_mode 1
		.amdhsa_fp16_overflow 0
		.amdhsa_workgroup_processor_mode 1
		.amdhsa_memory_ordered 1
		.amdhsa_forward_progress 1
		.amdhsa_shared_vgpr_count 0
		.amdhsa_exception_fp_ieee_invalid_op 0
		.amdhsa_exception_fp_denorm_src 0
		.amdhsa_exception_fp_ieee_div_zero 0
		.amdhsa_exception_fp_ieee_overflow 0
		.amdhsa_exception_fp_ieee_underflow 0
		.amdhsa_exception_fp_ieee_inexact 0
		.amdhsa_exception_int_div_zero 0
	.end_amdhsa_kernel
	.section	.text._ZN7rocprim17ROCPRIM_400000_NS6detail17trampoline_kernelINS0_14default_configENS1_36segmented_radix_sort_config_selectorIflEEZNS1_25segmented_radix_sort_implIS3_Lb1EPKfPfPKlPlN2at6native12_GLOBAL__N_18offset_tEEE10hipError_tPvRmT1_PNSt15iterator_traitsISK_E10value_typeET2_T3_PNSL_ISQ_E10value_typeET4_jRbjT5_SW_jjP12ihipStream_tbEUlT_E2_NS1_11comp_targetILNS1_3genE10ELNS1_11target_archE1201ELNS1_3gpuE5ELNS1_3repE0EEENS1_30default_config_static_selectorELNS0_4arch9wavefront6targetE0EEEvSK_,"axG",@progbits,_ZN7rocprim17ROCPRIM_400000_NS6detail17trampoline_kernelINS0_14default_configENS1_36segmented_radix_sort_config_selectorIflEEZNS1_25segmented_radix_sort_implIS3_Lb1EPKfPfPKlPlN2at6native12_GLOBAL__N_18offset_tEEE10hipError_tPvRmT1_PNSt15iterator_traitsISK_E10value_typeET2_T3_PNSL_ISQ_E10value_typeET4_jRbjT5_SW_jjP12ihipStream_tbEUlT_E2_NS1_11comp_targetILNS1_3genE10ELNS1_11target_archE1201ELNS1_3gpuE5ELNS1_3repE0EEENS1_30default_config_static_selectorELNS0_4arch9wavefront6targetE0EEEvSK_,comdat
.Lfunc_end1352:
	.size	_ZN7rocprim17ROCPRIM_400000_NS6detail17trampoline_kernelINS0_14default_configENS1_36segmented_radix_sort_config_selectorIflEEZNS1_25segmented_radix_sort_implIS3_Lb1EPKfPfPKlPlN2at6native12_GLOBAL__N_18offset_tEEE10hipError_tPvRmT1_PNSt15iterator_traitsISK_E10value_typeET2_T3_PNSL_ISQ_E10value_typeET4_jRbjT5_SW_jjP12ihipStream_tbEUlT_E2_NS1_11comp_targetILNS1_3genE10ELNS1_11target_archE1201ELNS1_3gpuE5ELNS1_3repE0EEENS1_30default_config_static_selectorELNS0_4arch9wavefront6targetE0EEEvSK_, .Lfunc_end1352-_ZN7rocprim17ROCPRIM_400000_NS6detail17trampoline_kernelINS0_14default_configENS1_36segmented_radix_sort_config_selectorIflEEZNS1_25segmented_radix_sort_implIS3_Lb1EPKfPfPKlPlN2at6native12_GLOBAL__N_18offset_tEEE10hipError_tPvRmT1_PNSt15iterator_traitsISK_E10value_typeET2_T3_PNSL_ISQ_E10value_typeET4_jRbjT5_SW_jjP12ihipStream_tbEUlT_E2_NS1_11comp_targetILNS1_3genE10ELNS1_11target_archE1201ELNS1_3gpuE5ELNS1_3repE0EEENS1_30default_config_static_selectorELNS0_4arch9wavefront6targetE0EEEvSK_
                                        ; -- End function
	.set _ZN7rocprim17ROCPRIM_400000_NS6detail17trampoline_kernelINS0_14default_configENS1_36segmented_radix_sort_config_selectorIflEEZNS1_25segmented_radix_sort_implIS3_Lb1EPKfPfPKlPlN2at6native12_GLOBAL__N_18offset_tEEE10hipError_tPvRmT1_PNSt15iterator_traitsISK_E10value_typeET2_T3_PNSL_ISQ_E10value_typeET4_jRbjT5_SW_jjP12ihipStream_tbEUlT_E2_NS1_11comp_targetILNS1_3genE10ELNS1_11target_archE1201ELNS1_3gpuE5ELNS1_3repE0EEENS1_30default_config_static_selectorELNS0_4arch9wavefront6targetE0EEEvSK_.num_vgpr, 0
	.set _ZN7rocprim17ROCPRIM_400000_NS6detail17trampoline_kernelINS0_14default_configENS1_36segmented_radix_sort_config_selectorIflEEZNS1_25segmented_radix_sort_implIS3_Lb1EPKfPfPKlPlN2at6native12_GLOBAL__N_18offset_tEEE10hipError_tPvRmT1_PNSt15iterator_traitsISK_E10value_typeET2_T3_PNSL_ISQ_E10value_typeET4_jRbjT5_SW_jjP12ihipStream_tbEUlT_E2_NS1_11comp_targetILNS1_3genE10ELNS1_11target_archE1201ELNS1_3gpuE5ELNS1_3repE0EEENS1_30default_config_static_selectorELNS0_4arch9wavefront6targetE0EEEvSK_.num_agpr, 0
	.set _ZN7rocprim17ROCPRIM_400000_NS6detail17trampoline_kernelINS0_14default_configENS1_36segmented_radix_sort_config_selectorIflEEZNS1_25segmented_radix_sort_implIS3_Lb1EPKfPfPKlPlN2at6native12_GLOBAL__N_18offset_tEEE10hipError_tPvRmT1_PNSt15iterator_traitsISK_E10value_typeET2_T3_PNSL_ISQ_E10value_typeET4_jRbjT5_SW_jjP12ihipStream_tbEUlT_E2_NS1_11comp_targetILNS1_3genE10ELNS1_11target_archE1201ELNS1_3gpuE5ELNS1_3repE0EEENS1_30default_config_static_selectorELNS0_4arch9wavefront6targetE0EEEvSK_.numbered_sgpr, 0
	.set _ZN7rocprim17ROCPRIM_400000_NS6detail17trampoline_kernelINS0_14default_configENS1_36segmented_radix_sort_config_selectorIflEEZNS1_25segmented_radix_sort_implIS3_Lb1EPKfPfPKlPlN2at6native12_GLOBAL__N_18offset_tEEE10hipError_tPvRmT1_PNSt15iterator_traitsISK_E10value_typeET2_T3_PNSL_ISQ_E10value_typeET4_jRbjT5_SW_jjP12ihipStream_tbEUlT_E2_NS1_11comp_targetILNS1_3genE10ELNS1_11target_archE1201ELNS1_3gpuE5ELNS1_3repE0EEENS1_30default_config_static_selectorELNS0_4arch9wavefront6targetE0EEEvSK_.num_named_barrier, 0
	.set _ZN7rocprim17ROCPRIM_400000_NS6detail17trampoline_kernelINS0_14default_configENS1_36segmented_radix_sort_config_selectorIflEEZNS1_25segmented_radix_sort_implIS3_Lb1EPKfPfPKlPlN2at6native12_GLOBAL__N_18offset_tEEE10hipError_tPvRmT1_PNSt15iterator_traitsISK_E10value_typeET2_T3_PNSL_ISQ_E10value_typeET4_jRbjT5_SW_jjP12ihipStream_tbEUlT_E2_NS1_11comp_targetILNS1_3genE10ELNS1_11target_archE1201ELNS1_3gpuE5ELNS1_3repE0EEENS1_30default_config_static_selectorELNS0_4arch9wavefront6targetE0EEEvSK_.private_seg_size, 0
	.set _ZN7rocprim17ROCPRIM_400000_NS6detail17trampoline_kernelINS0_14default_configENS1_36segmented_radix_sort_config_selectorIflEEZNS1_25segmented_radix_sort_implIS3_Lb1EPKfPfPKlPlN2at6native12_GLOBAL__N_18offset_tEEE10hipError_tPvRmT1_PNSt15iterator_traitsISK_E10value_typeET2_T3_PNSL_ISQ_E10value_typeET4_jRbjT5_SW_jjP12ihipStream_tbEUlT_E2_NS1_11comp_targetILNS1_3genE10ELNS1_11target_archE1201ELNS1_3gpuE5ELNS1_3repE0EEENS1_30default_config_static_selectorELNS0_4arch9wavefront6targetE0EEEvSK_.uses_vcc, 0
	.set _ZN7rocprim17ROCPRIM_400000_NS6detail17trampoline_kernelINS0_14default_configENS1_36segmented_radix_sort_config_selectorIflEEZNS1_25segmented_radix_sort_implIS3_Lb1EPKfPfPKlPlN2at6native12_GLOBAL__N_18offset_tEEE10hipError_tPvRmT1_PNSt15iterator_traitsISK_E10value_typeET2_T3_PNSL_ISQ_E10value_typeET4_jRbjT5_SW_jjP12ihipStream_tbEUlT_E2_NS1_11comp_targetILNS1_3genE10ELNS1_11target_archE1201ELNS1_3gpuE5ELNS1_3repE0EEENS1_30default_config_static_selectorELNS0_4arch9wavefront6targetE0EEEvSK_.uses_flat_scratch, 0
	.set _ZN7rocprim17ROCPRIM_400000_NS6detail17trampoline_kernelINS0_14default_configENS1_36segmented_radix_sort_config_selectorIflEEZNS1_25segmented_radix_sort_implIS3_Lb1EPKfPfPKlPlN2at6native12_GLOBAL__N_18offset_tEEE10hipError_tPvRmT1_PNSt15iterator_traitsISK_E10value_typeET2_T3_PNSL_ISQ_E10value_typeET4_jRbjT5_SW_jjP12ihipStream_tbEUlT_E2_NS1_11comp_targetILNS1_3genE10ELNS1_11target_archE1201ELNS1_3gpuE5ELNS1_3repE0EEENS1_30default_config_static_selectorELNS0_4arch9wavefront6targetE0EEEvSK_.has_dyn_sized_stack, 0
	.set _ZN7rocprim17ROCPRIM_400000_NS6detail17trampoline_kernelINS0_14default_configENS1_36segmented_radix_sort_config_selectorIflEEZNS1_25segmented_radix_sort_implIS3_Lb1EPKfPfPKlPlN2at6native12_GLOBAL__N_18offset_tEEE10hipError_tPvRmT1_PNSt15iterator_traitsISK_E10value_typeET2_T3_PNSL_ISQ_E10value_typeET4_jRbjT5_SW_jjP12ihipStream_tbEUlT_E2_NS1_11comp_targetILNS1_3genE10ELNS1_11target_archE1201ELNS1_3gpuE5ELNS1_3repE0EEENS1_30default_config_static_selectorELNS0_4arch9wavefront6targetE0EEEvSK_.has_recursion, 0
	.set _ZN7rocprim17ROCPRIM_400000_NS6detail17trampoline_kernelINS0_14default_configENS1_36segmented_radix_sort_config_selectorIflEEZNS1_25segmented_radix_sort_implIS3_Lb1EPKfPfPKlPlN2at6native12_GLOBAL__N_18offset_tEEE10hipError_tPvRmT1_PNSt15iterator_traitsISK_E10value_typeET2_T3_PNSL_ISQ_E10value_typeET4_jRbjT5_SW_jjP12ihipStream_tbEUlT_E2_NS1_11comp_targetILNS1_3genE10ELNS1_11target_archE1201ELNS1_3gpuE5ELNS1_3repE0EEENS1_30default_config_static_selectorELNS0_4arch9wavefront6targetE0EEEvSK_.has_indirect_call, 0
	.section	.AMDGPU.csdata,"",@progbits
; Kernel info:
; codeLenInByte = 0
; TotalNumSgprs: 0
; NumVgprs: 0
; ScratchSize: 0
; MemoryBound: 0
; FloatMode: 240
; IeeeMode: 1
; LDSByteSize: 0 bytes/workgroup (compile time only)
; SGPRBlocks: 0
; VGPRBlocks: 0
; NumSGPRsForWavesPerEU: 1
; NumVGPRsForWavesPerEU: 1
; Occupancy: 16
; WaveLimiterHint : 0
; COMPUTE_PGM_RSRC2:SCRATCH_EN: 0
; COMPUTE_PGM_RSRC2:USER_SGPR: 6
; COMPUTE_PGM_RSRC2:TRAP_HANDLER: 0
; COMPUTE_PGM_RSRC2:TGID_X_EN: 1
; COMPUTE_PGM_RSRC2:TGID_Y_EN: 0
; COMPUTE_PGM_RSRC2:TGID_Z_EN: 0
; COMPUTE_PGM_RSRC2:TIDIG_COMP_CNT: 0
	.section	.text._ZN7rocprim17ROCPRIM_400000_NS6detail17trampoline_kernelINS0_14default_configENS1_36segmented_radix_sort_config_selectorIflEEZNS1_25segmented_radix_sort_implIS3_Lb1EPKfPfPKlPlN2at6native12_GLOBAL__N_18offset_tEEE10hipError_tPvRmT1_PNSt15iterator_traitsISK_E10value_typeET2_T3_PNSL_ISQ_E10value_typeET4_jRbjT5_SW_jjP12ihipStream_tbEUlT_E2_NS1_11comp_targetILNS1_3genE10ELNS1_11target_archE1200ELNS1_3gpuE4ELNS1_3repE0EEENS1_30default_config_static_selectorELNS0_4arch9wavefront6targetE0EEEvSK_,"axG",@progbits,_ZN7rocprim17ROCPRIM_400000_NS6detail17trampoline_kernelINS0_14default_configENS1_36segmented_radix_sort_config_selectorIflEEZNS1_25segmented_radix_sort_implIS3_Lb1EPKfPfPKlPlN2at6native12_GLOBAL__N_18offset_tEEE10hipError_tPvRmT1_PNSt15iterator_traitsISK_E10value_typeET2_T3_PNSL_ISQ_E10value_typeET4_jRbjT5_SW_jjP12ihipStream_tbEUlT_E2_NS1_11comp_targetILNS1_3genE10ELNS1_11target_archE1200ELNS1_3gpuE4ELNS1_3repE0EEENS1_30default_config_static_selectorELNS0_4arch9wavefront6targetE0EEEvSK_,comdat
	.globl	_ZN7rocprim17ROCPRIM_400000_NS6detail17trampoline_kernelINS0_14default_configENS1_36segmented_radix_sort_config_selectorIflEEZNS1_25segmented_radix_sort_implIS3_Lb1EPKfPfPKlPlN2at6native12_GLOBAL__N_18offset_tEEE10hipError_tPvRmT1_PNSt15iterator_traitsISK_E10value_typeET2_T3_PNSL_ISQ_E10value_typeET4_jRbjT5_SW_jjP12ihipStream_tbEUlT_E2_NS1_11comp_targetILNS1_3genE10ELNS1_11target_archE1200ELNS1_3gpuE4ELNS1_3repE0EEENS1_30default_config_static_selectorELNS0_4arch9wavefront6targetE0EEEvSK_ ; -- Begin function _ZN7rocprim17ROCPRIM_400000_NS6detail17trampoline_kernelINS0_14default_configENS1_36segmented_radix_sort_config_selectorIflEEZNS1_25segmented_radix_sort_implIS3_Lb1EPKfPfPKlPlN2at6native12_GLOBAL__N_18offset_tEEE10hipError_tPvRmT1_PNSt15iterator_traitsISK_E10value_typeET2_T3_PNSL_ISQ_E10value_typeET4_jRbjT5_SW_jjP12ihipStream_tbEUlT_E2_NS1_11comp_targetILNS1_3genE10ELNS1_11target_archE1200ELNS1_3gpuE4ELNS1_3repE0EEENS1_30default_config_static_selectorELNS0_4arch9wavefront6targetE0EEEvSK_
	.p2align	8
	.type	_ZN7rocprim17ROCPRIM_400000_NS6detail17trampoline_kernelINS0_14default_configENS1_36segmented_radix_sort_config_selectorIflEEZNS1_25segmented_radix_sort_implIS3_Lb1EPKfPfPKlPlN2at6native12_GLOBAL__N_18offset_tEEE10hipError_tPvRmT1_PNSt15iterator_traitsISK_E10value_typeET2_T3_PNSL_ISQ_E10value_typeET4_jRbjT5_SW_jjP12ihipStream_tbEUlT_E2_NS1_11comp_targetILNS1_3genE10ELNS1_11target_archE1200ELNS1_3gpuE4ELNS1_3repE0EEENS1_30default_config_static_selectorELNS0_4arch9wavefront6targetE0EEEvSK_,@function
_ZN7rocprim17ROCPRIM_400000_NS6detail17trampoline_kernelINS0_14default_configENS1_36segmented_radix_sort_config_selectorIflEEZNS1_25segmented_radix_sort_implIS3_Lb1EPKfPfPKlPlN2at6native12_GLOBAL__N_18offset_tEEE10hipError_tPvRmT1_PNSt15iterator_traitsISK_E10value_typeET2_T3_PNSL_ISQ_E10value_typeET4_jRbjT5_SW_jjP12ihipStream_tbEUlT_E2_NS1_11comp_targetILNS1_3genE10ELNS1_11target_archE1200ELNS1_3gpuE4ELNS1_3repE0EEENS1_30default_config_static_selectorELNS0_4arch9wavefront6targetE0EEEvSK_: ; @_ZN7rocprim17ROCPRIM_400000_NS6detail17trampoline_kernelINS0_14default_configENS1_36segmented_radix_sort_config_selectorIflEEZNS1_25segmented_radix_sort_implIS3_Lb1EPKfPfPKlPlN2at6native12_GLOBAL__N_18offset_tEEE10hipError_tPvRmT1_PNSt15iterator_traitsISK_E10value_typeET2_T3_PNSL_ISQ_E10value_typeET4_jRbjT5_SW_jjP12ihipStream_tbEUlT_E2_NS1_11comp_targetILNS1_3genE10ELNS1_11target_archE1200ELNS1_3gpuE4ELNS1_3repE0EEENS1_30default_config_static_selectorELNS0_4arch9wavefront6targetE0EEEvSK_
; %bb.0:
	.section	.rodata,"a",@progbits
	.p2align	6, 0x0
	.amdhsa_kernel _ZN7rocprim17ROCPRIM_400000_NS6detail17trampoline_kernelINS0_14default_configENS1_36segmented_radix_sort_config_selectorIflEEZNS1_25segmented_radix_sort_implIS3_Lb1EPKfPfPKlPlN2at6native12_GLOBAL__N_18offset_tEEE10hipError_tPvRmT1_PNSt15iterator_traitsISK_E10value_typeET2_T3_PNSL_ISQ_E10value_typeET4_jRbjT5_SW_jjP12ihipStream_tbEUlT_E2_NS1_11comp_targetILNS1_3genE10ELNS1_11target_archE1200ELNS1_3gpuE4ELNS1_3repE0EEENS1_30default_config_static_selectorELNS0_4arch9wavefront6targetE0EEEvSK_
		.amdhsa_group_segment_fixed_size 0
		.amdhsa_private_segment_fixed_size 0
		.amdhsa_kernarg_size 80
		.amdhsa_user_sgpr_count 6
		.amdhsa_user_sgpr_private_segment_buffer 1
		.amdhsa_user_sgpr_dispatch_ptr 0
		.amdhsa_user_sgpr_queue_ptr 0
		.amdhsa_user_sgpr_kernarg_segment_ptr 1
		.amdhsa_user_sgpr_dispatch_id 0
		.amdhsa_user_sgpr_flat_scratch_init 0
		.amdhsa_user_sgpr_private_segment_size 0
		.amdhsa_wavefront_size32 1
		.amdhsa_uses_dynamic_stack 0
		.amdhsa_system_sgpr_private_segment_wavefront_offset 0
		.amdhsa_system_sgpr_workgroup_id_x 1
		.amdhsa_system_sgpr_workgroup_id_y 0
		.amdhsa_system_sgpr_workgroup_id_z 0
		.amdhsa_system_sgpr_workgroup_info 0
		.amdhsa_system_vgpr_workitem_id 0
		.amdhsa_next_free_vgpr 1
		.amdhsa_next_free_sgpr 1
		.amdhsa_reserve_vcc 0
		.amdhsa_reserve_flat_scratch 0
		.amdhsa_float_round_mode_32 0
		.amdhsa_float_round_mode_16_64 0
		.amdhsa_float_denorm_mode_32 3
		.amdhsa_float_denorm_mode_16_64 3
		.amdhsa_dx10_clamp 1
		.amdhsa_ieee_mode 1
		.amdhsa_fp16_overflow 0
		.amdhsa_workgroup_processor_mode 1
		.amdhsa_memory_ordered 1
		.amdhsa_forward_progress 1
		.amdhsa_shared_vgpr_count 0
		.amdhsa_exception_fp_ieee_invalid_op 0
		.amdhsa_exception_fp_denorm_src 0
		.amdhsa_exception_fp_ieee_div_zero 0
		.amdhsa_exception_fp_ieee_overflow 0
		.amdhsa_exception_fp_ieee_underflow 0
		.amdhsa_exception_fp_ieee_inexact 0
		.amdhsa_exception_int_div_zero 0
	.end_amdhsa_kernel
	.section	.text._ZN7rocprim17ROCPRIM_400000_NS6detail17trampoline_kernelINS0_14default_configENS1_36segmented_radix_sort_config_selectorIflEEZNS1_25segmented_radix_sort_implIS3_Lb1EPKfPfPKlPlN2at6native12_GLOBAL__N_18offset_tEEE10hipError_tPvRmT1_PNSt15iterator_traitsISK_E10value_typeET2_T3_PNSL_ISQ_E10value_typeET4_jRbjT5_SW_jjP12ihipStream_tbEUlT_E2_NS1_11comp_targetILNS1_3genE10ELNS1_11target_archE1200ELNS1_3gpuE4ELNS1_3repE0EEENS1_30default_config_static_selectorELNS0_4arch9wavefront6targetE0EEEvSK_,"axG",@progbits,_ZN7rocprim17ROCPRIM_400000_NS6detail17trampoline_kernelINS0_14default_configENS1_36segmented_radix_sort_config_selectorIflEEZNS1_25segmented_radix_sort_implIS3_Lb1EPKfPfPKlPlN2at6native12_GLOBAL__N_18offset_tEEE10hipError_tPvRmT1_PNSt15iterator_traitsISK_E10value_typeET2_T3_PNSL_ISQ_E10value_typeET4_jRbjT5_SW_jjP12ihipStream_tbEUlT_E2_NS1_11comp_targetILNS1_3genE10ELNS1_11target_archE1200ELNS1_3gpuE4ELNS1_3repE0EEENS1_30default_config_static_selectorELNS0_4arch9wavefront6targetE0EEEvSK_,comdat
.Lfunc_end1353:
	.size	_ZN7rocprim17ROCPRIM_400000_NS6detail17trampoline_kernelINS0_14default_configENS1_36segmented_radix_sort_config_selectorIflEEZNS1_25segmented_radix_sort_implIS3_Lb1EPKfPfPKlPlN2at6native12_GLOBAL__N_18offset_tEEE10hipError_tPvRmT1_PNSt15iterator_traitsISK_E10value_typeET2_T3_PNSL_ISQ_E10value_typeET4_jRbjT5_SW_jjP12ihipStream_tbEUlT_E2_NS1_11comp_targetILNS1_3genE10ELNS1_11target_archE1200ELNS1_3gpuE4ELNS1_3repE0EEENS1_30default_config_static_selectorELNS0_4arch9wavefront6targetE0EEEvSK_, .Lfunc_end1353-_ZN7rocprim17ROCPRIM_400000_NS6detail17trampoline_kernelINS0_14default_configENS1_36segmented_radix_sort_config_selectorIflEEZNS1_25segmented_radix_sort_implIS3_Lb1EPKfPfPKlPlN2at6native12_GLOBAL__N_18offset_tEEE10hipError_tPvRmT1_PNSt15iterator_traitsISK_E10value_typeET2_T3_PNSL_ISQ_E10value_typeET4_jRbjT5_SW_jjP12ihipStream_tbEUlT_E2_NS1_11comp_targetILNS1_3genE10ELNS1_11target_archE1200ELNS1_3gpuE4ELNS1_3repE0EEENS1_30default_config_static_selectorELNS0_4arch9wavefront6targetE0EEEvSK_
                                        ; -- End function
	.set _ZN7rocprim17ROCPRIM_400000_NS6detail17trampoline_kernelINS0_14default_configENS1_36segmented_radix_sort_config_selectorIflEEZNS1_25segmented_radix_sort_implIS3_Lb1EPKfPfPKlPlN2at6native12_GLOBAL__N_18offset_tEEE10hipError_tPvRmT1_PNSt15iterator_traitsISK_E10value_typeET2_T3_PNSL_ISQ_E10value_typeET4_jRbjT5_SW_jjP12ihipStream_tbEUlT_E2_NS1_11comp_targetILNS1_3genE10ELNS1_11target_archE1200ELNS1_3gpuE4ELNS1_3repE0EEENS1_30default_config_static_selectorELNS0_4arch9wavefront6targetE0EEEvSK_.num_vgpr, 0
	.set _ZN7rocprim17ROCPRIM_400000_NS6detail17trampoline_kernelINS0_14default_configENS1_36segmented_radix_sort_config_selectorIflEEZNS1_25segmented_radix_sort_implIS3_Lb1EPKfPfPKlPlN2at6native12_GLOBAL__N_18offset_tEEE10hipError_tPvRmT1_PNSt15iterator_traitsISK_E10value_typeET2_T3_PNSL_ISQ_E10value_typeET4_jRbjT5_SW_jjP12ihipStream_tbEUlT_E2_NS1_11comp_targetILNS1_3genE10ELNS1_11target_archE1200ELNS1_3gpuE4ELNS1_3repE0EEENS1_30default_config_static_selectorELNS0_4arch9wavefront6targetE0EEEvSK_.num_agpr, 0
	.set _ZN7rocprim17ROCPRIM_400000_NS6detail17trampoline_kernelINS0_14default_configENS1_36segmented_radix_sort_config_selectorIflEEZNS1_25segmented_radix_sort_implIS3_Lb1EPKfPfPKlPlN2at6native12_GLOBAL__N_18offset_tEEE10hipError_tPvRmT1_PNSt15iterator_traitsISK_E10value_typeET2_T3_PNSL_ISQ_E10value_typeET4_jRbjT5_SW_jjP12ihipStream_tbEUlT_E2_NS1_11comp_targetILNS1_3genE10ELNS1_11target_archE1200ELNS1_3gpuE4ELNS1_3repE0EEENS1_30default_config_static_selectorELNS0_4arch9wavefront6targetE0EEEvSK_.numbered_sgpr, 0
	.set _ZN7rocprim17ROCPRIM_400000_NS6detail17trampoline_kernelINS0_14default_configENS1_36segmented_radix_sort_config_selectorIflEEZNS1_25segmented_radix_sort_implIS3_Lb1EPKfPfPKlPlN2at6native12_GLOBAL__N_18offset_tEEE10hipError_tPvRmT1_PNSt15iterator_traitsISK_E10value_typeET2_T3_PNSL_ISQ_E10value_typeET4_jRbjT5_SW_jjP12ihipStream_tbEUlT_E2_NS1_11comp_targetILNS1_3genE10ELNS1_11target_archE1200ELNS1_3gpuE4ELNS1_3repE0EEENS1_30default_config_static_selectorELNS0_4arch9wavefront6targetE0EEEvSK_.num_named_barrier, 0
	.set _ZN7rocprim17ROCPRIM_400000_NS6detail17trampoline_kernelINS0_14default_configENS1_36segmented_radix_sort_config_selectorIflEEZNS1_25segmented_radix_sort_implIS3_Lb1EPKfPfPKlPlN2at6native12_GLOBAL__N_18offset_tEEE10hipError_tPvRmT1_PNSt15iterator_traitsISK_E10value_typeET2_T3_PNSL_ISQ_E10value_typeET4_jRbjT5_SW_jjP12ihipStream_tbEUlT_E2_NS1_11comp_targetILNS1_3genE10ELNS1_11target_archE1200ELNS1_3gpuE4ELNS1_3repE0EEENS1_30default_config_static_selectorELNS0_4arch9wavefront6targetE0EEEvSK_.private_seg_size, 0
	.set _ZN7rocprim17ROCPRIM_400000_NS6detail17trampoline_kernelINS0_14default_configENS1_36segmented_radix_sort_config_selectorIflEEZNS1_25segmented_radix_sort_implIS3_Lb1EPKfPfPKlPlN2at6native12_GLOBAL__N_18offset_tEEE10hipError_tPvRmT1_PNSt15iterator_traitsISK_E10value_typeET2_T3_PNSL_ISQ_E10value_typeET4_jRbjT5_SW_jjP12ihipStream_tbEUlT_E2_NS1_11comp_targetILNS1_3genE10ELNS1_11target_archE1200ELNS1_3gpuE4ELNS1_3repE0EEENS1_30default_config_static_selectorELNS0_4arch9wavefront6targetE0EEEvSK_.uses_vcc, 0
	.set _ZN7rocprim17ROCPRIM_400000_NS6detail17trampoline_kernelINS0_14default_configENS1_36segmented_radix_sort_config_selectorIflEEZNS1_25segmented_radix_sort_implIS3_Lb1EPKfPfPKlPlN2at6native12_GLOBAL__N_18offset_tEEE10hipError_tPvRmT1_PNSt15iterator_traitsISK_E10value_typeET2_T3_PNSL_ISQ_E10value_typeET4_jRbjT5_SW_jjP12ihipStream_tbEUlT_E2_NS1_11comp_targetILNS1_3genE10ELNS1_11target_archE1200ELNS1_3gpuE4ELNS1_3repE0EEENS1_30default_config_static_selectorELNS0_4arch9wavefront6targetE0EEEvSK_.uses_flat_scratch, 0
	.set _ZN7rocprim17ROCPRIM_400000_NS6detail17trampoline_kernelINS0_14default_configENS1_36segmented_radix_sort_config_selectorIflEEZNS1_25segmented_radix_sort_implIS3_Lb1EPKfPfPKlPlN2at6native12_GLOBAL__N_18offset_tEEE10hipError_tPvRmT1_PNSt15iterator_traitsISK_E10value_typeET2_T3_PNSL_ISQ_E10value_typeET4_jRbjT5_SW_jjP12ihipStream_tbEUlT_E2_NS1_11comp_targetILNS1_3genE10ELNS1_11target_archE1200ELNS1_3gpuE4ELNS1_3repE0EEENS1_30default_config_static_selectorELNS0_4arch9wavefront6targetE0EEEvSK_.has_dyn_sized_stack, 0
	.set _ZN7rocprim17ROCPRIM_400000_NS6detail17trampoline_kernelINS0_14default_configENS1_36segmented_radix_sort_config_selectorIflEEZNS1_25segmented_radix_sort_implIS3_Lb1EPKfPfPKlPlN2at6native12_GLOBAL__N_18offset_tEEE10hipError_tPvRmT1_PNSt15iterator_traitsISK_E10value_typeET2_T3_PNSL_ISQ_E10value_typeET4_jRbjT5_SW_jjP12ihipStream_tbEUlT_E2_NS1_11comp_targetILNS1_3genE10ELNS1_11target_archE1200ELNS1_3gpuE4ELNS1_3repE0EEENS1_30default_config_static_selectorELNS0_4arch9wavefront6targetE0EEEvSK_.has_recursion, 0
	.set _ZN7rocprim17ROCPRIM_400000_NS6detail17trampoline_kernelINS0_14default_configENS1_36segmented_radix_sort_config_selectorIflEEZNS1_25segmented_radix_sort_implIS3_Lb1EPKfPfPKlPlN2at6native12_GLOBAL__N_18offset_tEEE10hipError_tPvRmT1_PNSt15iterator_traitsISK_E10value_typeET2_T3_PNSL_ISQ_E10value_typeET4_jRbjT5_SW_jjP12ihipStream_tbEUlT_E2_NS1_11comp_targetILNS1_3genE10ELNS1_11target_archE1200ELNS1_3gpuE4ELNS1_3repE0EEENS1_30default_config_static_selectorELNS0_4arch9wavefront6targetE0EEEvSK_.has_indirect_call, 0
	.section	.AMDGPU.csdata,"",@progbits
; Kernel info:
; codeLenInByte = 0
; TotalNumSgprs: 0
; NumVgprs: 0
; ScratchSize: 0
; MemoryBound: 0
; FloatMode: 240
; IeeeMode: 1
; LDSByteSize: 0 bytes/workgroup (compile time only)
; SGPRBlocks: 0
; VGPRBlocks: 0
; NumSGPRsForWavesPerEU: 1
; NumVGPRsForWavesPerEU: 1
; Occupancy: 16
; WaveLimiterHint : 0
; COMPUTE_PGM_RSRC2:SCRATCH_EN: 0
; COMPUTE_PGM_RSRC2:USER_SGPR: 6
; COMPUTE_PGM_RSRC2:TRAP_HANDLER: 0
; COMPUTE_PGM_RSRC2:TGID_X_EN: 1
; COMPUTE_PGM_RSRC2:TGID_Y_EN: 0
; COMPUTE_PGM_RSRC2:TGID_Z_EN: 0
; COMPUTE_PGM_RSRC2:TIDIG_COMP_CNT: 0
	.section	.text._ZN7rocprim17ROCPRIM_400000_NS6detail17trampoline_kernelINS0_14default_configENS1_36segmented_radix_sort_config_selectorIflEEZNS1_25segmented_radix_sort_implIS3_Lb1EPKfPfPKlPlN2at6native12_GLOBAL__N_18offset_tEEE10hipError_tPvRmT1_PNSt15iterator_traitsISK_E10value_typeET2_T3_PNSL_ISQ_E10value_typeET4_jRbjT5_SW_jjP12ihipStream_tbEUlT_E2_NS1_11comp_targetILNS1_3genE9ELNS1_11target_archE1100ELNS1_3gpuE3ELNS1_3repE0EEENS1_30default_config_static_selectorELNS0_4arch9wavefront6targetE0EEEvSK_,"axG",@progbits,_ZN7rocprim17ROCPRIM_400000_NS6detail17trampoline_kernelINS0_14default_configENS1_36segmented_radix_sort_config_selectorIflEEZNS1_25segmented_radix_sort_implIS3_Lb1EPKfPfPKlPlN2at6native12_GLOBAL__N_18offset_tEEE10hipError_tPvRmT1_PNSt15iterator_traitsISK_E10value_typeET2_T3_PNSL_ISQ_E10value_typeET4_jRbjT5_SW_jjP12ihipStream_tbEUlT_E2_NS1_11comp_targetILNS1_3genE9ELNS1_11target_archE1100ELNS1_3gpuE3ELNS1_3repE0EEENS1_30default_config_static_selectorELNS0_4arch9wavefront6targetE0EEEvSK_,comdat
	.globl	_ZN7rocprim17ROCPRIM_400000_NS6detail17trampoline_kernelINS0_14default_configENS1_36segmented_radix_sort_config_selectorIflEEZNS1_25segmented_radix_sort_implIS3_Lb1EPKfPfPKlPlN2at6native12_GLOBAL__N_18offset_tEEE10hipError_tPvRmT1_PNSt15iterator_traitsISK_E10value_typeET2_T3_PNSL_ISQ_E10value_typeET4_jRbjT5_SW_jjP12ihipStream_tbEUlT_E2_NS1_11comp_targetILNS1_3genE9ELNS1_11target_archE1100ELNS1_3gpuE3ELNS1_3repE0EEENS1_30default_config_static_selectorELNS0_4arch9wavefront6targetE0EEEvSK_ ; -- Begin function _ZN7rocprim17ROCPRIM_400000_NS6detail17trampoline_kernelINS0_14default_configENS1_36segmented_radix_sort_config_selectorIflEEZNS1_25segmented_radix_sort_implIS3_Lb1EPKfPfPKlPlN2at6native12_GLOBAL__N_18offset_tEEE10hipError_tPvRmT1_PNSt15iterator_traitsISK_E10value_typeET2_T3_PNSL_ISQ_E10value_typeET4_jRbjT5_SW_jjP12ihipStream_tbEUlT_E2_NS1_11comp_targetILNS1_3genE9ELNS1_11target_archE1100ELNS1_3gpuE3ELNS1_3repE0EEENS1_30default_config_static_selectorELNS0_4arch9wavefront6targetE0EEEvSK_
	.p2align	8
	.type	_ZN7rocprim17ROCPRIM_400000_NS6detail17trampoline_kernelINS0_14default_configENS1_36segmented_radix_sort_config_selectorIflEEZNS1_25segmented_radix_sort_implIS3_Lb1EPKfPfPKlPlN2at6native12_GLOBAL__N_18offset_tEEE10hipError_tPvRmT1_PNSt15iterator_traitsISK_E10value_typeET2_T3_PNSL_ISQ_E10value_typeET4_jRbjT5_SW_jjP12ihipStream_tbEUlT_E2_NS1_11comp_targetILNS1_3genE9ELNS1_11target_archE1100ELNS1_3gpuE3ELNS1_3repE0EEENS1_30default_config_static_selectorELNS0_4arch9wavefront6targetE0EEEvSK_,@function
_ZN7rocprim17ROCPRIM_400000_NS6detail17trampoline_kernelINS0_14default_configENS1_36segmented_radix_sort_config_selectorIflEEZNS1_25segmented_radix_sort_implIS3_Lb1EPKfPfPKlPlN2at6native12_GLOBAL__N_18offset_tEEE10hipError_tPvRmT1_PNSt15iterator_traitsISK_E10value_typeET2_T3_PNSL_ISQ_E10value_typeET4_jRbjT5_SW_jjP12ihipStream_tbEUlT_E2_NS1_11comp_targetILNS1_3genE9ELNS1_11target_archE1100ELNS1_3gpuE3ELNS1_3repE0EEENS1_30default_config_static_selectorELNS0_4arch9wavefront6targetE0EEEvSK_: ; @_ZN7rocprim17ROCPRIM_400000_NS6detail17trampoline_kernelINS0_14default_configENS1_36segmented_radix_sort_config_selectorIflEEZNS1_25segmented_radix_sort_implIS3_Lb1EPKfPfPKlPlN2at6native12_GLOBAL__N_18offset_tEEE10hipError_tPvRmT1_PNSt15iterator_traitsISK_E10value_typeET2_T3_PNSL_ISQ_E10value_typeET4_jRbjT5_SW_jjP12ihipStream_tbEUlT_E2_NS1_11comp_targetILNS1_3genE9ELNS1_11target_archE1100ELNS1_3gpuE3ELNS1_3repE0EEENS1_30default_config_static_selectorELNS0_4arch9wavefront6targetE0EEEvSK_
; %bb.0:
	.section	.rodata,"a",@progbits
	.p2align	6, 0x0
	.amdhsa_kernel _ZN7rocprim17ROCPRIM_400000_NS6detail17trampoline_kernelINS0_14default_configENS1_36segmented_radix_sort_config_selectorIflEEZNS1_25segmented_radix_sort_implIS3_Lb1EPKfPfPKlPlN2at6native12_GLOBAL__N_18offset_tEEE10hipError_tPvRmT1_PNSt15iterator_traitsISK_E10value_typeET2_T3_PNSL_ISQ_E10value_typeET4_jRbjT5_SW_jjP12ihipStream_tbEUlT_E2_NS1_11comp_targetILNS1_3genE9ELNS1_11target_archE1100ELNS1_3gpuE3ELNS1_3repE0EEENS1_30default_config_static_selectorELNS0_4arch9wavefront6targetE0EEEvSK_
		.amdhsa_group_segment_fixed_size 0
		.amdhsa_private_segment_fixed_size 0
		.amdhsa_kernarg_size 80
		.amdhsa_user_sgpr_count 6
		.amdhsa_user_sgpr_private_segment_buffer 1
		.amdhsa_user_sgpr_dispatch_ptr 0
		.amdhsa_user_sgpr_queue_ptr 0
		.amdhsa_user_sgpr_kernarg_segment_ptr 1
		.amdhsa_user_sgpr_dispatch_id 0
		.amdhsa_user_sgpr_flat_scratch_init 0
		.amdhsa_user_sgpr_private_segment_size 0
		.amdhsa_wavefront_size32 1
		.amdhsa_uses_dynamic_stack 0
		.amdhsa_system_sgpr_private_segment_wavefront_offset 0
		.amdhsa_system_sgpr_workgroup_id_x 1
		.amdhsa_system_sgpr_workgroup_id_y 0
		.amdhsa_system_sgpr_workgroup_id_z 0
		.amdhsa_system_sgpr_workgroup_info 0
		.amdhsa_system_vgpr_workitem_id 0
		.amdhsa_next_free_vgpr 1
		.amdhsa_next_free_sgpr 1
		.amdhsa_reserve_vcc 0
		.amdhsa_reserve_flat_scratch 0
		.amdhsa_float_round_mode_32 0
		.amdhsa_float_round_mode_16_64 0
		.amdhsa_float_denorm_mode_32 3
		.amdhsa_float_denorm_mode_16_64 3
		.amdhsa_dx10_clamp 1
		.amdhsa_ieee_mode 1
		.amdhsa_fp16_overflow 0
		.amdhsa_workgroup_processor_mode 1
		.amdhsa_memory_ordered 1
		.amdhsa_forward_progress 1
		.amdhsa_shared_vgpr_count 0
		.amdhsa_exception_fp_ieee_invalid_op 0
		.amdhsa_exception_fp_denorm_src 0
		.amdhsa_exception_fp_ieee_div_zero 0
		.amdhsa_exception_fp_ieee_overflow 0
		.amdhsa_exception_fp_ieee_underflow 0
		.amdhsa_exception_fp_ieee_inexact 0
		.amdhsa_exception_int_div_zero 0
	.end_amdhsa_kernel
	.section	.text._ZN7rocprim17ROCPRIM_400000_NS6detail17trampoline_kernelINS0_14default_configENS1_36segmented_radix_sort_config_selectorIflEEZNS1_25segmented_radix_sort_implIS3_Lb1EPKfPfPKlPlN2at6native12_GLOBAL__N_18offset_tEEE10hipError_tPvRmT1_PNSt15iterator_traitsISK_E10value_typeET2_T3_PNSL_ISQ_E10value_typeET4_jRbjT5_SW_jjP12ihipStream_tbEUlT_E2_NS1_11comp_targetILNS1_3genE9ELNS1_11target_archE1100ELNS1_3gpuE3ELNS1_3repE0EEENS1_30default_config_static_selectorELNS0_4arch9wavefront6targetE0EEEvSK_,"axG",@progbits,_ZN7rocprim17ROCPRIM_400000_NS6detail17trampoline_kernelINS0_14default_configENS1_36segmented_radix_sort_config_selectorIflEEZNS1_25segmented_radix_sort_implIS3_Lb1EPKfPfPKlPlN2at6native12_GLOBAL__N_18offset_tEEE10hipError_tPvRmT1_PNSt15iterator_traitsISK_E10value_typeET2_T3_PNSL_ISQ_E10value_typeET4_jRbjT5_SW_jjP12ihipStream_tbEUlT_E2_NS1_11comp_targetILNS1_3genE9ELNS1_11target_archE1100ELNS1_3gpuE3ELNS1_3repE0EEENS1_30default_config_static_selectorELNS0_4arch9wavefront6targetE0EEEvSK_,comdat
.Lfunc_end1354:
	.size	_ZN7rocprim17ROCPRIM_400000_NS6detail17trampoline_kernelINS0_14default_configENS1_36segmented_radix_sort_config_selectorIflEEZNS1_25segmented_radix_sort_implIS3_Lb1EPKfPfPKlPlN2at6native12_GLOBAL__N_18offset_tEEE10hipError_tPvRmT1_PNSt15iterator_traitsISK_E10value_typeET2_T3_PNSL_ISQ_E10value_typeET4_jRbjT5_SW_jjP12ihipStream_tbEUlT_E2_NS1_11comp_targetILNS1_3genE9ELNS1_11target_archE1100ELNS1_3gpuE3ELNS1_3repE0EEENS1_30default_config_static_selectorELNS0_4arch9wavefront6targetE0EEEvSK_, .Lfunc_end1354-_ZN7rocprim17ROCPRIM_400000_NS6detail17trampoline_kernelINS0_14default_configENS1_36segmented_radix_sort_config_selectorIflEEZNS1_25segmented_radix_sort_implIS3_Lb1EPKfPfPKlPlN2at6native12_GLOBAL__N_18offset_tEEE10hipError_tPvRmT1_PNSt15iterator_traitsISK_E10value_typeET2_T3_PNSL_ISQ_E10value_typeET4_jRbjT5_SW_jjP12ihipStream_tbEUlT_E2_NS1_11comp_targetILNS1_3genE9ELNS1_11target_archE1100ELNS1_3gpuE3ELNS1_3repE0EEENS1_30default_config_static_selectorELNS0_4arch9wavefront6targetE0EEEvSK_
                                        ; -- End function
	.set _ZN7rocprim17ROCPRIM_400000_NS6detail17trampoline_kernelINS0_14default_configENS1_36segmented_radix_sort_config_selectorIflEEZNS1_25segmented_radix_sort_implIS3_Lb1EPKfPfPKlPlN2at6native12_GLOBAL__N_18offset_tEEE10hipError_tPvRmT1_PNSt15iterator_traitsISK_E10value_typeET2_T3_PNSL_ISQ_E10value_typeET4_jRbjT5_SW_jjP12ihipStream_tbEUlT_E2_NS1_11comp_targetILNS1_3genE9ELNS1_11target_archE1100ELNS1_3gpuE3ELNS1_3repE0EEENS1_30default_config_static_selectorELNS0_4arch9wavefront6targetE0EEEvSK_.num_vgpr, 0
	.set _ZN7rocprim17ROCPRIM_400000_NS6detail17trampoline_kernelINS0_14default_configENS1_36segmented_radix_sort_config_selectorIflEEZNS1_25segmented_radix_sort_implIS3_Lb1EPKfPfPKlPlN2at6native12_GLOBAL__N_18offset_tEEE10hipError_tPvRmT1_PNSt15iterator_traitsISK_E10value_typeET2_T3_PNSL_ISQ_E10value_typeET4_jRbjT5_SW_jjP12ihipStream_tbEUlT_E2_NS1_11comp_targetILNS1_3genE9ELNS1_11target_archE1100ELNS1_3gpuE3ELNS1_3repE0EEENS1_30default_config_static_selectorELNS0_4arch9wavefront6targetE0EEEvSK_.num_agpr, 0
	.set _ZN7rocprim17ROCPRIM_400000_NS6detail17trampoline_kernelINS0_14default_configENS1_36segmented_radix_sort_config_selectorIflEEZNS1_25segmented_radix_sort_implIS3_Lb1EPKfPfPKlPlN2at6native12_GLOBAL__N_18offset_tEEE10hipError_tPvRmT1_PNSt15iterator_traitsISK_E10value_typeET2_T3_PNSL_ISQ_E10value_typeET4_jRbjT5_SW_jjP12ihipStream_tbEUlT_E2_NS1_11comp_targetILNS1_3genE9ELNS1_11target_archE1100ELNS1_3gpuE3ELNS1_3repE0EEENS1_30default_config_static_selectorELNS0_4arch9wavefront6targetE0EEEvSK_.numbered_sgpr, 0
	.set _ZN7rocprim17ROCPRIM_400000_NS6detail17trampoline_kernelINS0_14default_configENS1_36segmented_radix_sort_config_selectorIflEEZNS1_25segmented_radix_sort_implIS3_Lb1EPKfPfPKlPlN2at6native12_GLOBAL__N_18offset_tEEE10hipError_tPvRmT1_PNSt15iterator_traitsISK_E10value_typeET2_T3_PNSL_ISQ_E10value_typeET4_jRbjT5_SW_jjP12ihipStream_tbEUlT_E2_NS1_11comp_targetILNS1_3genE9ELNS1_11target_archE1100ELNS1_3gpuE3ELNS1_3repE0EEENS1_30default_config_static_selectorELNS0_4arch9wavefront6targetE0EEEvSK_.num_named_barrier, 0
	.set _ZN7rocprim17ROCPRIM_400000_NS6detail17trampoline_kernelINS0_14default_configENS1_36segmented_radix_sort_config_selectorIflEEZNS1_25segmented_radix_sort_implIS3_Lb1EPKfPfPKlPlN2at6native12_GLOBAL__N_18offset_tEEE10hipError_tPvRmT1_PNSt15iterator_traitsISK_E10value_typeET2_T3_PNSL_ISQ_E10value_typeET4_jRbjT5_SW_jjP12ihipStream_tbEUlT_E2_NS1_11comp_targetILNS1_3genE9ELNS1_11target_archE1100ELNS1_3gpuE3ELNS1_3repE0EEENS1_30default_config_static_selectorELNS0_4arch9wavefront6targetE0EEEvSK_.private_seg_size, 0
	.set _ZN7rocprim17ROCPRIM_400000_NS6detail17trampoline_kernelINS0_14default_configENS1_36segmented_radix_sort_config_selectorIflEEZNS1_25segmented_radix_sort_implIS3_Lb1EPKfPfPKlPlN2at6native12_GLOBAL__N_18offset_tEEE10hipError_tPvRmT1_PNSt15iterator_traitsISK_E10value_typeET2_T3_PNSL_ISQ_E10value_typeET4_jRbjT5_SW_jjP12ihipStream_tbEUlT_E2_NS1_11comp_targetILNS1_3genE9ELNS1_11target_archE1100ELNS1_3gpuE3ELNS1_3repE0EEENS1_30default_config_static_selectorELNS0_4arch9wavefront6targetE0EEEvSK_.uses_vcc, 0
	.set _ZN7rocprim17ROCPRIM_400000_NS6detail17trampoline_kernelINS0_14default_configENS1_36segmented_radix_sort_config_selectorIflEEZNS1_25segmented_radix_sort_implIS3_Lb1EPKfPfPKlPlN2at6native12_GLOBAL__N_18offset_tEEE10hipError_tPvRmT1_PNSt15iterator_traitsISK_E10value_typeET2_T3_PNSL_ISQ_E10value_typeET4_jRbjT5_SW_jjP12ihipStream_tbEUlT_E2_NS1_11comp_targetILNS1_3genE9ELNS1_11target_archE1100ELNS1_3gpuE3ELNS1_3repE0EEENS1_30default_config_static_selectorELNS0_4arch9wavefront6targetE0EEEvSK_.uses_flat_scratch, 0
	.set _ZN7rocprim17ROCPRIM_400000_NS6detail17trampoline_kernelINS0_14default_configENS1_36segmented_radix_sort_config_selectorIflEEZNS1_25segmented_radix_sort_implIS3_Lb1EPKfPfPKlPlN2at6native12_GLOBAL__N_18offset_tEEE10hipError_tPvRmT1_PNSt15iterator_traitsISK_E10value_typeET2_T3_PNSL_ISQ_E10value_typeET4_jRbjT5_SW_jjP12ihipStream_tbEUlT_E2_NS1_11comp_targetILNS1_3genE9ELNS1_11target_archE1100ELNS1_3gpuE3ELNS1_3repE0EEENS1_30default_config_static_selectorELNS0_4arch9wavefront6targetE0EEEvSK_.has_dyn_sized_stack, 0
	.set _ZN7rocprim17ROCPRIM_400000_NS6detail17trampoline_kernelINS0_14default_configENS1_36segmented_radix_sort_config_selectorIflEEZNS1_25segmented_radix_sort_implIS3_Lb1EPKfPfPKlPlN2at6native12_GLOBAL__N_18offset_tEEE10hipError_tPvRmT1_PNSt15iterator_traitsISK_E10value_typeET2_T3_PNSL_ISQ_E10value_typeET4_jRbjT5_SW_jjP12ihipStream_tbEUlT_E2_NS1_11comp_targetILNS1_3genE9ELNS1_11target_archE1100ELNS1_3gpuE3ELNS1_3repE0EEENS1_30default_config_static_selectorELNS0_4arch9wavefront6targetE0EEEvSK_.has_recursion, 0
	.set _ZN7rocprim17ROCPRIM_400000_NS6detail17trampoline_kernelINS0_14default_configENS1_36segmented_radix_sort_config_selectorIflEEZNS1_25segmented_radix_sort_implIS3_Lb1EPKfPfPKlPlN2at6native12_GLOBAL__N_18offset_tEEE10hipError_tPvRmT1_PNSt15iterator_traitsISK_E10value_typeET2_T3_PNSL_ISQ_E10value_typeET4_jRbjT5_SW_jjP12ihipStream_tbEUlT_E2_NS1_11comp_targetILNS1_3genE9ELNS1_11target_archE1100ELNS1_3gpuE3ELNS1_3repE0EEENS1_30default_config_static_selectorELNS0_4arch9wavefront6targetE0EEEvSK_.has_indirect_call, 0
	.section	.AMDGPU.csdata,"",@progbits
; Kernel info:
; codeLenInByte = 0
; TotalNumSgprs: 0
; NumVgprs: 0
; ScratchSize: 0
; MemoryBound: 0
; FloatMode: 240
; IeeeMode: 1
; LDSByteSize: 0 bytes/workgroup (compile time only)
; SGPRBlocks: 0
; VGPRBlocks: 0
; NumSGPRsForWavesPerEU: 1
; NumVGPRsForWavesPerEU: 1
; Occupancy: 16
; WaveLimiterHint : 0
; COMPUTE_PGM_RSRC2:SCRATCH_EN: 0
; COMPUTE_PGM_RSRC2:USER_SGPR: 6
; COMPUTE_PGM_RSRC2:TRAP_HANDLER: 0
; COMPUTE_PGM_RSRC2:TGID_X_EN: 1
; COMPUTE_PGM_RSRC2:TGID_Y_EN: 0
; COMPUTE_PGM_RSRC2:TGID_Z_EN: 0
; COMPUTE_PGM_RSRC2:TIDIG_COMP_CNT: 0
	.section	.text._ZN7rocprim17ROCPRIM_400000_NS6detail17trampoline_kernelINS0_14default_configENS1_36segmented_radix_sort_config_selectorIflEEZNS1_25segmented_radix_sort_implIS3_Lb1EPKfPfPKlPlN2at6native12_GLOBAL__N_18offset_tEEE10hipError_tPvRmT1_PNSt15iterator_traitsISK_E10value_typeET2_T3_PNSL_ISQ_E10value_typeET4_jRbjT5_SW_jjP12ihipStream_tbEUlT_E2_NS1_11comp_targetILNS1_3genE8ELNS1_11target_archE1030ELNS1_3gpuE2ELNS1_3repE0EEENS1_30default_config_static_selectorELNS0_4arch9wavefront6targetE0EEEvSK_,"axG",@progbits,_ZN7rocprim17ROCPRIM_400000_NS6detail17trampoline_kernelINS0_14default_configENS1_36segmented_radix_sort_config_selectorIflEEZNS1_25segmented_radix_sort_implIS3_Lb1EPKfPfPKlPlN2at6native12_GLOBAL__N_18offset_tEEE10hipError_tPvRmT1_PNSt15iterator_traitsISK_E10value_typeET2_T3_PNSL_ISQ_E10value_typeET4_jRbjT5_SW_jjP12ihipStream_tbEUlT_E2_NS1_11comp_targetILNS1_3genE8ELNS1_11target_archE1030ELNS1_3gpuE2ELNS1_3repE0EEENS1_30default_config_static_selectorELNS0_4arch9wavefront6targetE0EEEvSK_,comdat
	.globl	_ZN7rocprim17ROCPRIM_400000_NS6detail17trampoline_kernelINS0_14default_configENS1_36segmented_radix_sort_config_selectorIflEEZNS1_25segmented_radix_sort_implIS3_Lb1EPKfPfPKlPlN2at6native12_GLOBAL__N_18offset_tEEE10hipError_tPvRmT1_PNSt15iterator_traitsISK_E10value_typeET2_T3_PNSL_ISQ_E10value_typeET4_jRbjT5_SW_jjP12ihipStream_tbEUlT_E2_NS1_11comp_targetILNS1_3genE8ELNS1_11target_archE1030ELNS1_3gpuE2ELNS1_3repE0EEENS1_30default_config_static_selectorELNS0_4arch9wavefront6targetE0EEEvSK_ ; -- Begin function _ZN7rocprim17ROCPRIM_400000_NS6detail17trampoline_kernelINS0_14default_configENS1_36segmented_radix_sort_config_selectorIflEEZNS1_25segmented_radix_sort_implIS3_Lb1EPKfPfPKlPlN2at6native12_GLOBAL__N_18offset_tEEE10hipError_tPvRmT1_PNSt15iterator_traitsISK_E10value_typeET2_T3_PNSL_ISQ_E10value_typeET4_jRbjT5_SW_jjP12ihipStream_tbEUlT_E2_NS1_11comp_targetILNS1_3genE8ELNS1_11target_archE1030ELNS1_3gpuE2ELNS1_3repE0EEENS1_30default_config_static_selectorELNS0_4arch9wavefront6targetE0EEEvSK_
	.p2align	8
	.type	_ZN7rocprim17ROCPRIM_400000_NS6detail17trampoline_kernelINS0_14default_configENS1_36segmented_radix_sort_config_selectorIflEEZNS1_25segmented_radix_sort_implIS3_Lb1EPKfPfPKlPlN2at6native12_GLOBAL__N_18offset_tEEE10hipError_tPvRmT1_PNSt15iterator_traitsISK_E10value_typeET2_T3_PNSL_ISQ_E10value_typeET4_jRbjT5_SW_jjP12ihipStream_tbEUlT_E2_NS1_11comp_targetILNS1_3genE8ELNS1_11target_archE1030ELNS1_3gpuE2ELNS1_3repE0EEENS1_30default_config_static_selectorELNS0_4arch9wavefront6targetE0EEEvSK_,@function
_ZN7rocprim17ROCPRIM_400000_NS6detail17trampoline_kernelINS0_14default_configENS1_36segmented_radix_sort_config_selectorIflEEZNS1_25segmented_radix_sort_implIS3_Lb1EPKfPfPKlPlN2at6native12_GLOBAL__N_18offset_tEEE10hipError_tPvRmT1_PNSt15iterator_traitsISK_E10value_typeET2_T3_PNSL_ISQ_E10value_typeET4_jRbjT5_SW_jjP12ihipStream_tbEUlT_E2_NS1_11comp_targetILNS1_3genE8ELNS1_11target_archE1030ELNS1_3gpuE2ELNS1_3repE0EEENS1_30default_config_static_selectorELNS0_4arch9wavefront6targetE0EEEvSK_: ; @_ZN7rocprim17ROCPRIM_400000_NS6detail17trampoline_kernelINS0_14default_configENS1_36segmented_radix_sort_config_selectorIflEEZNS1_25segmented_radix_sort_implIS3_Lb1EPKfPfPKlPlN2at6native12_GLOBAL__N_18offset_tEEE10hipError_tPvRmT1_PNSt15iterator_traitsISK_E10value_typeET2_T3_PNSL_ISQ_E10value_typeET4_jRbjT5_SW_jjP12ihipStream_tbEUlT_E2_NS1_11comp_targetILNS1_3genE8ELNS1_11target_archE1030ELNS1_3gpuE2ELNS1_3repE0EEENS1_30default_config_static_selectorELNS0_4arch9wavefront6targetE0EEEvSK_
; %bb.0:
	s_add_u32 s0, s0, s8
	s_load_dwordx4 s[8:11], s[4:5], 0x34
	s_addc_u32 s1, s1, 0
	s_mov_b32 s32, 0
	s_waitcnt lgkmcnt(0)
	s_add_i32 s58, s9, s6
	s_add_i32 s59, s11, s6
	s_mul_i32 s58, s58, s8
	s_mul_i32 s59, s59, s10
	s_cmp_le_u32 s59, s58
	s_cbranch_scc1 .LBB1355_1198
; %bb.1:
	s_clause 0x3
	s_load_dword s8, s[4:5], 0x30
	s_load_dwordx4 s[48:51], s[4:5], 0x20
	s_load_dwordx4 s[52:55], s[4:5], 0x44
	s_load_dwordx8 s[40:47], s[4:5], 0x0
	s_waitcnt lgkmcnt(0)
	s_bitcmp1_b32 s8, 0
	s_mov_b32 s8, -1
	s_cselect_b32 s55, -1, 0
	s_sub_i32 s60, s59, s58
	s_cmpk_lt_u32 s60, 0x1001
	s_cbranch_scc0 .LBB1355_15
; %bb.2:
	s_cmpk_lt_u32 s60, 0x41
	s_cbranch_scc0 .LBB1355_9
; %bb.3:
	s_load_dword s8, s[4:5], 0x5c
	s_mov_b32 s23, exec_lo
	s_waitcnt lgkmcnt(0)
	s_lshr_b32 s9, s8, 16
	s_and_b32 s8, s8, 0xffff
	v_mad_u32_u24 v3, v2, s9, v1
	v_mad_u64_u32 v[3:4], null, v3, s8, v[0:1]
	v_cmpx_gt_u32_e32 8, v3
	s_cbranch_execz .LBB1355_8
; %bb.4:
	v_cndmask_b32_e64 v3, 0, 1, s55
	s_and_b32 s8, s52, 1
	v_cmp_ne_u32_e32 vcc_lo, s8, v3
	s_mov_b32 s8, -1
	s_cbranch_vccnz .LBB1355_6
; %bb.5:
	v_lshlrev_b32_e32 v3, 20, v2
	v_lshlrev_b32_e32 v4, 10, v1
	s_mov_b64 s[10:11], src_shared_base
	v_mov_b32_e32 v40, v0
	v_mov_b32_e32 v41, v1
	v_mov_b32_e32 v1, s41
	v_or3_b32 v31, v0, v4, v3
	v_mov_b32_e32 v0, s40
	v_mov_b32_e32 v42, v2
	;; [unrolled: 1-line block ×12, first 2 shown]
	s_add_u32 s8, s4, 0x50
	s_addc_u32 s9, s5, 0
	s_getpc_b64 s[14:15]
	s_add_u32 s14, s14, _ZN7rocprim17ROCPRIM_400000_NS6detail26segmented_warp_sort_helperINS1_20WarpSortHelperConfigILj8ELj8ELj256EEEflLi256ELb1EvE4sortIPKfPfPKlPlEEvT_T0_T1_T2_jjjjRNS5_12storage_typeE@rel32@lo+4
	s_addc_u32 s15, s15, _ZN7rocprim17ROCPRIM_400000_NS6detail26segmented_warp_sort_helperINS1_20WarpSortHelperConfigILj8ELj8ELj256EEEflLi256ELb1EvE4sortIPKfPfPKlPlEEvT_T0_T1_T2_jjjjRNS5_12storage_typeE@rel32@hi+12
	s_mov_b32 s12, s6
	s_mov_b32 s13, s7
	s_mov_b64 s[24:25], s[4:5]
	s_mov_b32 s26, s7
	s_mov_b32 s27, s6
	s_swappc_b64 s[30:31], s[14:15]
	v_mov_b32_e32 v1, v41
	v_mov_b32_e32 v2, v42
	v_mov_b32_e32 v0, v40
	s_mov_b32 s6, s27
	s_mov_b32 s7, s26
	s_mov_b64 s[4:5], s[24:25]
	s_mov_b32 s8, 0
.LBB1355_6:
	s_andn2_b32 vcc_lo, exec_lo, s8
	s_cbranch_vccnz .LBB1355_8
; %bb.7:
	v_lshlrev_b32_e32 v3, 20, v2
	v_lshlrev_b32_e32 v4, 10, v1
	s_mov_b64 s[10:11], src_shared_base
	v_mov_b32_e32 v40, v0
	v_mov_b32_e32 v41, v1
	;; [unrolled: 1-line block ×3, first 2 shown]
	v_or3_b32 v31, v0, v4, v3
	v_mov_b32_e32 v0, s40
	v_mov_b32_e32 v42, v2
	;; [unrolled: 1-line block ×12, first 2 shown]
	s_add_u32 s8, s4, 0x50
	s_addc_u32 s9, s5, 0
	s_getpc_b64 s[14:15]
	s_add_u32 s14, s14, _ZN7rocprim17ROCPRIM_400000_NS6detail26segmented_warp_sort_helperINS1_20WarpSortHelperConfigILj8ELj8ELj256EEEflLi256ELb1EvE4sortIPKfPfPKlPlEEvT_T0_T1_T2_jjjjRNS5_12storage_typeE@rel32@lo+4
	s_addc_u32 s15, s15, _ZN7rocprim17ROCPRIM_400000_NS6detail26segmented_warp_sort_helperINS1_20WarpSortHelperConfigILj8ELj8ELj256EEEflLi256ELb1EvE4sortIPKfPfPKlPlEEvT_T0_T1_T2_jjjjRNS5_12storage_typeE@rel32@hi+12
	s_mov_b32 s12, s6
	s_mov_b32 s13, s7
	s_mov_b64 s[24:25], s[4:5]
	s_mov_b32 s27, s7
	s_mov_b32 s26, s6
	s_swappc_b64 s[30:31], s[14:15]
	v_mov_b32_e32 v1, v41
	v_mov_b32_e32 v2, v42
	;; [unrolled: 1-line block ×3, first 2 shown]
	s_mov_b32 s6, s26
	s_mov_b32 s7, s27
	s_mov_b64 s[4:5], s[24:25]
.LBB1355_8:
	s_or_b32 exec_lo, exec_lo, s23
	s_mov_b32 s8, 0
.LBB1355_9:
	s_andn2_b32 vcc_lo, exec_lo, s8
	s_cbranch_vccnz .LBB1355_14
; %bb.10:
	v_cndmask_b32_e64 v3, 0, 1, s55
	s_and_b32 s8, s52, 1
	v_lshlrev_b32_e32 v41, 20, v2
	v_lshlrev_b32_e32 v42, 10, v1
	v_cmp_ne_u32_e32 vcc_lo, s8, v3
	s_mov_b32 s8, -1
	s_cbranch_vccnz .LBB1355_12
; %bb.11:
	s_mov_b64 s[10:11], src_shared_base
	v_or3_b32 v31, v0, v42, v41
	v_mov_b32_e32 v40, v0
	v_mov_b32_e32 v0, s40
	;; [unrolled: 1-line block ×17, first 2 shown]
	s_add_u32 s8, s4, 0x50
	s_addc_u32 s9, s5, 0
	s_getpc_b64 s[14:15]
	s_add_u32 s14, s14, _ZN7rocprim17ROCPRIM_400000_NS6detail40segmented_radix_sort_single_block_helperIflLj256ELj16ELb1EE4sortIPKfPfPKlPlEEbT_T0_T1_T2_jjjjRNS3_12storage_typeE@rel32@lo+4
	s_addc_u32 s15, s15, _ZN7rocprim17ROCPRIM_400000_NS6detail40segmented_radix_sort_single_block_helperIflLj256ELj16ELb1EE4sortIPKfPfPKlPlEEbT_T0_T1_T2_jjjjRNS3_12storage_typeE@rel32@hi+12
	s_mov_b32 s12, s6
	s_mov_b32 s13, s7
	s_mov_b64 s[28:29], s[4:5]
	s_mov_b32 s27, s7
	s_mov_b32 s33, s6
	s_swappc_b64 s[30:31], s[14:15]
	v_mov_b32_e32 v1, v43
	v_mov_b32_e32 v2, v44
	;; [unrolled: 1-line block ×3, first 2 shown]
	s_mov_b32 s6, s33
	s_mov_b32 s7, s27
	s_mov_b64 s[4:5], s[28:29]
	s_mov_b32 s8, 0
.LBB1355_12:
	s_andn2_b32 vcc_lo, exec_lo, s8
	s_cbranch_vccnz .LBB1355_14
; %bb.13:
	s_mov_b64 s[10:11], src_shared_base
	v_or3_b32 v31, v0, v42, v41
	v_mov_b32_e32 v40, v0
	v_mov_b32_e32 v0, s40
	;; [unrolled: 1-line block ×17, first 2 shown]
	s_add_u32 s8, s4, 0x50
	s_addc_u32 s9, s5, 0
	s_getpc_b64 s[14:15]
	s_add_u32 s14, s14, _ZN7rocprim17ROCPRIM_400000_NS6detail40segmented_radix_sort_single_block_helperIflLj256ELj16ELb1EE4sortIPKfPfPKlPlEEbT_T0_T1_T2_jjjjRNS3_12storage_typeE@rel32@lo+4
	s_addc_u32 s15, s15, _ZN7rocprim17ROCPRIM_400000_NS6detail40segmented_radix_sort_single_block_helperIflLj256ELj16ELb1EE4sortIPKfPfPKlPlEEbT_T0_T1_T2_jjjjRNS3_12storage_typeE@rel32@hi+12
	s_mov_b32 s12, s6
	s_mov_b32 s13, s7
	s_mov_b64 s[28:29], s[4:5]
	s_mov_b32 s33, s7
	s_mov_b32 s27, s6
	s_swappc_b64 s[30:31], s[14:15]
	v_mov_b32_e32 v1, v41
	v_mov_b32_e32 v2, v42
	;; [unrolled: 1-line block ×3, first 2 shown]
	s_mov_b32 s6, s27
	s_mov_b32 s7, s33
	s_mov_b64 s[4:5], s[28:29]
.LBB1355_14:
	s_mov_b32 s8, 0
.LBB1355_15:
	s_andn2_b32 vcc_lo, exec_lo, s8
	s_cbranch_vccnz .LBB1355_1198
; %bb.16:
	s_cmp_ge_u32 s53, s54
	s_cbranch_scc1 .LBB1355_1198
; %bb.17:
	v_and_b32_e32 v5, 0xe0, v0
	v_and_b32_e32 v3, 3, v0
	v_lshlrev_b32_e32 v41, 2, v0
	v_lshrrev_b32_e32 v7, 3, v0
	s_add_u32 s56, s4, 0x50
	v_min_u32_e32 v6, 0x60, v5
	v_lshlrev_b32_e32 v59, 2, v3
	v_mad_u32_u24 v61, v0, 12, v41
	v_and_b32_e32 v60, 28, v7
	v_add_nc_u32_e32 v7, 1, v0
	v_or_b32_e32 v3, 31, v6
	v_lshlrev_b32_e32 v6, 4, v0
	v_add_nc_u32_e32 v65, v61, v41
	v_mbcnt_lo_u32_b32 v79, -1, 0
	v_mul_u32_u24_e32 v67, 36, v7
	v_cmp_eq_u32_e64 s9, v0, v3
	v_or_b32_e32 v3, 31, v5
	v_and_b32_e32 v5, 0xe00, v6
	v_sub_nc_u32_e32 v66, v65, v6
	v_cmp_ne_u32_e64 s14, 0x80, v7
	v_lshlrev_b32_e32 v102, 3, v79
	v_cmp_eq_u32_e64 s4, v0, v3
	v_lshlrev_b32_e32 v3, 3, v5
	v_lshlrev_b32_e32 v6, 2, v5
	;; [unrolled: 1-line block ×3, first 2 shown]
	v_or_b32_e32 v45, 0x200, v0
	v_or_b32_e32 v46, 0x300, v0
	v_add_co_u32 v7, s15, s50, v3
	v_add_co_ci_u32_e64 v8, null, s51, 0, s15
	v_add_co_u32 v9, s15, s44, v6
	v_add_co_ci_u32_e64 v10, null, s45, 0, s15
	;; [unrolled: 2-line block ×5, first 2 shown]
	v_add_co_u32 v75, s15, s40, v41
	v_or_b32_e32 v47, 0x400, v0
	v_or_b32_e32 v48, 0x500, v0
	;; [unrolled: 1-line block ×13, first 2 shown]
	v_add_co_ci_u32_e64 v76, null, s41, 0, s15
	v_add_co_u32 v77, s15, s46, v3
	v_add_co_u32 v106, vcc_lo, v7, v102
	v_add_co_u32 v43, s8, s44, v41
	v_add_co_ci_u32_e64 v78, null, s47, 0, s15
	v_add_co_u32 v80, s15, s40, v6
	v_add_co_ci_u32_e64 v107, null, 0, v8, vcc_lo
	v_add_co_u32 v124, vcc_lo, v9, v120
	v_mov_b32_e32 v4, 0
	v_or_b32_e32 v42, 0x100, v0
	v_add_co_ci_u32_e64 v44, null, s45, 0, s8
	v_cmp_gt_u32_e64 s8, 0x80, v0
	v_or_b32_e32 v62, 0x8200, v60
	v_cmp_gt_u32_e64 s10, 4, v0
	v_add_nc_u32_e32 v63, 0x8200, v41
	v_cmp_lt_u32_e64 s11, 31, v0
	v_add_nc_u32_e32 v64, 0x81fc, v60
	v_cmp_gt_u32_e64 s12, 8, v0
	v_cmp_eq_u32_e64 s13, 0, v0
	v_lshl_add_u32 v68, v0, 5, v66
	v_add_co_ci_u32_e64 v81, null, s41, 0, s15
	v_mov_b32_e32 v82, 1
	v_and_b32_e32 v83, 15, v79
	v_bfe_i32 v84, v79, 4, 1
	v_and_b32_e32 v85, 16, v79
	v_lshlrev_b32_e32 v86, 2, v0
	v_lshlrev_b32_e32 v87, 2, v45
	;; [unrolled: 1-line block ×15, first 2 shown]
	v_and_b32_e32 v101, 3, v79
	v_sub_co_u32 v103, s15, v79, 1
	v_and_b32_e32 v104, 7, v79
	v_or_b32_e32 v108, 32, v105
	v_or_b32_e32 v109, 64, v105
	;; [unrolled: 1-line block ×15, first 2 shown]
	v_add_co_ci_u32_e64 v125, null, 0, v10, vcc_lo
	s_addc_u32 s57, s5, 0
	s_mov_b32 s47, 0
	s_mov_b32 s52, s53
	s_branch .LBB1355_20
.LBB1355_18:                            ;   in Loop: Header=BB1355_20 Depth=1
	s_waitcnt lgkmcnt(0)
	s_barrier
.LBB1355_19:                            ;   in Loop: Header=BB1355_20 Depth=1
	s_add_i32 s52, s52, 7
	buffer_gl0_inv
	s_cmp_ge_u32 s52, s54
	s_cbranch_scc1 .LBB1355_1198
.LBB1355_20:                            ; =>This Loop Header: Depth=1
                                        ;     Child Loop BB1355_24 Depth 2
                                        ;     Child Loop BB1355_104 Depth 2
	;; [unrolled: 1-line block ×8, first 2 shown]
	s_sub_i32 s5, s54, s52
	s_xor_b32 s55, s55, -1
	s_min_u32 s5, s5, 7
	ds_write2st64_b32 v41, v4, v4 offset1:4
	s_lshl_b32 s5, -1, s5
	s_waitcnt lgkmcnt(0)
	s_waitcnt_vscnt null, 0x0
	s_not_b32 s61, s5
	s_cmp_lg_u32 s52, s53
	s_mov_b32 s5, -1
	s_cbranch_scc0 .LBB1355_610
; %bb.21:                               ;   in Loop: Header=BB1355_20 Depth=1
	s_and_b32 vcc_lo, exec_lo, s55
	s_cbranch_vccz .LBB1355_315
; %bb.22:                               ;   in Loop: Header=BB1355_20 Depth=1
	s_mov_b32 s5, s60
	s_mov_b32 s46, s58
	s_barrier
	buffer_gl0_inv
                                        ; implicit-def: $vgpr3
                                        ; implicit-def: $vgpr5
                                        ; implicit-def: $vgpr6
                                        ; implicit-def: $vgpr7
                                        ; implicit-def: $vgpr8
                                        ; implicit-def: $vgpr9
                                        ; implicit-def: $vgpr10
                                        ; implicit-def: $vgpr11
                                        ; implicit-def: $vgpr12
                                        ; implicit-def: $vgpr13
                                        ; implicit-def: $vgpr14
                                        ; implicit-def: $vgpr15
                                        ; implicit-def: $vgpr16
                                        ; implicit-def: $vgpr17
                                        ; implicit-def: $vgpr18
                                        ; implicit-def: $vgpr19
	s_branch .LBB1355_24
.LBB1355_23:                            ;   in Loop: Header=BB1355_24 Depth=2
	s_or_b32 exec_lo, exec_lo, s16
	s_addk_i32 s5, 0xf000
	s_cmp_ge_u32 s18, s59
	s_mov_b32 s46, s18
	s_cbranch_scc1 .LBB1355_92
.LBB1355_24:                            ;   Parent Loop BB1355_20 Depth=1
                                        ; =>  This Inner Loop Header: Depth=2
	s_add_i32 s18, s46, 0x1000
	s_mov_b32 s16, -1
	s_cmp_gt_u32 s18, s59
                                        ; implicit-def: $vgpr20
                                        ; implicit-def: $vgpr21
                                        ; implicit-def: $vgpr24
                                        ; implicit-def: $vgpr22
                                        ; implicit-def: $vgpr26
                                        ; implicit-def: $vgpr23
                                        ; implicit-def: $vgpr28
                                        ; implicit-def: $vgpr25
                                        ; implicit-def: $vgpr30
                                        ; implicit-def: $vgpr27
                                        ; implicit-def: $vgpr31
                                        ; implicit-def: $vgpr29
                                        ; implicit-def: $vgpr33
                                        ; implicit-def: $vgpr32
                                        ; implicit-def: $vgpr34
                                        ; implicit-def: $vgpr35
	s_cbranch_scc1 .LBB1355_26
; %bb.25:                               ;   in Loop: Header=BB1355_24 Depth=2
	s_lshl_b64 s[16:17], s[46:47], 2
	v_add_co_u32 v30, vcc_lo, v43, s16
	v_add_co_ci_u32_e64 v31, null, s17, v44, vcc_lo
	s_mov_b32 s16, 0
	v_add_co_u32 v22, vcc_lo, 0x800, v30
	v_add_co_ci_u32_e64 v23, null, 0, v31, vcc_lo
	v_add_co_u32 v33, vcc_lo, v30, 0x1000
	v_add_co_ci_u32_e64 v34, null, 0, v31, vcc_lo
	v_add_co_u32 v24, vcc_lo, 0x1000, v30
	v_add_co_ci_u32_e64 v25, null, 0, v31, vcc_lo
	v_add_co_u32 v26, vcc_lo, 0x1800, v30
	v_add_co_ci_u32_e64 v27, null, 0, v31, vcc_lo
	v_add_co_u32 v35, vcc_lo, v30, 0x2000
	v_add_co_ci_u32_e64 v36, null, 0, v31, vcc_lo
	v_add_co_u32 v28, vcc_lo, 0x2000, v30
	v_add_co_ci_u32_e64 v29, null, 0, v31, vcc_lo
	v_add_co_u32 v37, vcc_lo, 0x2800, v30
	v_add_co_ci_u32_e64 v38, null, 0, v31, vcc_lo
	v_add_co_u32 v39, vcc_lo, v30, 0x3000
	v_add_co_ci_u32_e64 v40, null, 0, v31, vcc_lo
	v_add_co_u32 v126, vcc_lo, 0x3000, v30
	v_add_co_ci_u32_e64 v127, null, 0, v31, vcc_lo
	s_clause 0x7
	global_load_dword v20, v[30:31], off
	global_load_dword v21, v[30:31], off offset:1024
	global_load_dword v22, v[22:23], off offset:1024
	;; [unrolled: 1-line block ×7, first 2 shown]
	v_add_co_u32 v37, vcc_lo, 0x3800, v30
	v_add_co_ci_u32_e64 v38, null, 0, v31, vcc_lo
	s_clause 0x7
	global_load_dword v24, v[33:34], off offset:-2048
	global_load_dword v26, v[33:34], off
	global_load_dword v28, v[35:36], off offset:-2048
	global_load_dword v30, v[35:36], off
	;; [unrolled: 2-line block ×3, first 2 shown]
	global_load_dword v34, v[37:38], off
	global_load_dword v35, v[37:38], off offset:1024
.LBB1355_26:                            ;   in Loop: Header=BB1355_24 Depth=2
	s_andn2_b32 vcc_lo, exec_lo, s16
	s_movk_i32 s16, 0x1000
	s_cbranch_vccnz .LBB1355_45
; %bb.27:                               ;   in Loop: Header=BB1355_24 Depth=2
	s_lshl_b64 s[16:17], s[46:47], 2
	s_mov_b32 s19, exec_lo
	s_add_u32 s16, s44, s16
	s_addc_u32 s17, s45, s17
	v_cmpx_gt_u32_e64 s5, v0
	s_cbranch_execnz .LBB1355_77
; %bb.28:                               ;   in Loop: Header=BB1355_24 Depth=2
	s_or_b32 exec_lo, exec_lo, s19
	s_mov_b32 s19, exec_lo
	v_cmpx_gt_u32_e64 s5, v42
	s_cbranch_execnz .LBB1355_78
.LBB1355_29:                            ;   in Loop: Header=BB1355_24 Depth=2
	s_or_b32 exec_lo, exec_lo, s19
	s_mov_b32 s19, exec_lo
	v_cmpx_gt_u32_e64 s5, v45
	s_cbranch_execnz .LBB1355_79
.LBB1355_30:                            ;   in Loop: Header=BB1355_24 Depth=2
	s_or_b32 exec_lo, exec_lo, s19
	s_mov_b32 s19, exec_lo
	v_cmpx_gt_u32_e64 s5, v46
	s_cbranch_execnz .LBB1355_80
.LBB1355_31:                            ;   in Loop: Header=BB1355_24 Depth=2
	s_or_b32 exec_lo, exec_lo, s19
	s_mov_b32 s19, exec_lo
	v_cmpx_gt_u32_e64 s5, v47
	s_cbranch_execnz .LBB1355_81
.LBB1355_32:                            ;   in Loop: Header=BB1355_24 Depth=2
	s_or_b32 exec_lo, exec_lo, s19
	s_mov_b32 s19, exec_lo
	v_cmpx_gt_u32_e64 s5, v48
	s_cbranch_execnz .LBB1355_82
.LBB1355_33:                            ;   in Loop: Header=BB1355_24 Depth=2
	s_or_b32 exec_lo, exec_lo, s19
	s_mov_b32 s19, exec_lo
	v_cmpx_gt_u32_e64 s5, v49
	s_cbranch_execnz .LBB1355_83
.LBB1355_34:                            ;   in Loop: Header=BB1355_24 Depth=2
	s_or_b32 exec_lo, exec_lo, s19
	s_mov_b32 s19, exec_lo
	v_cmpx_gt_u32_e64 s5, v50
	s_cbranch_execnz .LBB1355_84
.LBB1355_35:                            ;   in Loop: Header=BB1355_24 Depth=2
	s_or_b32 exec_lo, exec_lo, s19
	s_mov_b32 s19, exec_lo
	v_cmpx_gt_u32_e64 s5, v51
	s_cbranch_execnz .LBB1355_85
.LBB1355_36:                            ;   in Loop: Header=BB1355_24 Depth=2
	s_or_b32 exec_lo, exec_lo, s19
	s_mov_b32 s19, exec_lo
	v_cmpx_gt_u32_e64 s5, v52
	s_cbranch_execnz .LBB1355_86
.LBB1355_37:                            ;   in Loop: Header=BB1355_24 Depth=2
	s_or_b32 exec_lo, exec_lo, s19
	s_mov_b32 s19, exec_lo
	v_cmpx_gt_u32_e64 s5, v53
	s_cbranch_execnz .LBB1355_87
.LBB1355_38:                            ;   in Loop: Header=BB1355_24 Depth=2
	s_or_b32 exec_lo, exec_lo, s19
	s_mov_b32 s19, exec_lo
	v_cmpx_gt_u32_e64 s5, v54
	s_cbranch_execnz .LBB1355_88
.LBB1355_39:                            ;   in Loop: Header=BB1355_24 Depth=2
	s_or_b32 exec_lo, exec_lo, s19
	s_mov_b32 s19, exec_lo
	v_cmpx_gt_u32_e64 s5, v55
	s_cbranch_execnz .LBB1355_89
.LBB1355_40:                            ;   in Loop: Header=BB1355_24 Depth=2
	s_or_b32 exec_lo, exec_lo, s19
	s_mov_b32 s19, exec_lo
	v_cmpx_gt_u32_e64 s5, v56
	s_cbranch_execnz .LBB1355_90
.LBB1355_41:                            ;   in Loop: Header=BB1355_24 Depth=2
	s_or_b32 exec_lo, exec_lo, s19
	s_mov_b32 s19, exec_lo
	v_cmpx_gt_u32_e64 s5, v57
	s_cbranch_execnz .LBB1355_91
.LBB1355_42:                            ;   in Loop: Header=BB1355_24 Depth=2
	s_or_b32 exec_lo, exec_lo, s19
	s_mov_b32 s19, exec_lo
	v_cmpx_gt_u32_e64 s5, v58
	s_cbranch_execz .LBB1355_44
.LBB1355_43:                            ;   in Loop: Header=BB1355_24 Depth=2
	global_load_dword v3, v100, s[16:17]
.LBB1355_44:                            ;   in Loop: Header=BB1355_24 Depth=2
	s_or_b32 exec_lo, exec_lo, s19
	s_waitcnt vmcnt(0)
	v_mov_b32_e32 v20, v19
	v_mov_b32_e32 v21, v18
	;; [unrolled: 1-line block ×16, first 2 shown]
	s_mov_b32 s16, s5
.LBB1355_45:                            ;   in Loop: Header=BB1355_24 Depth=2
	s_waitcnt vmcnt(0)
	v_mov_b32_e32 v3, v35
	v_mov_b32_e32 v5, v34
	;; [unrolled: 1-line block ×16, first 2 shown]
	s_mov_b32 s17, exec_lo
	v_cmpx_gt_u32_e64 s16, v0
	s_cbranch_execnz .LBB1355_61
; %bb.46:                               ;   in Loop: Header=BB1355_24 Depth=2
	s_or_b32 exec_lo, exec_lo, s17
	s_mov_b32 s17, exec_lo
	v_cmpx_gt_u32_e64 s16, v42
	s_cbranch_execnz .LBB1355_62
.LBB1355_47:                            ;   in Loop: Header=BB1355_24 Depth=2
	s_or_b32 exec_lo, exec_lo, s17
	s_mov_b32 s17, exec_lo
	v_cmpx_gt_u32_e64 s16, v45
	s_cbranch_execnz .LBB1355_63
.LBB1355_48:                            ;   in Loop: Header=BB1355_24 Depth=2
	s_or_b32 exec_lo, exec_lo, s17
	s_mov_b32 s17, exec_lo
	v_cmpx_gt_u32_e64 s16, v46
	s_cbranch_execnz .LBB1355_64
.LBB1355_49:                            ;   in Loop: Header=BB1355_24 Depth=2
	s_or_b32 exec_lo, exec_lo, s17
	s_mov_b32 s17, exec_lo
	v_cmpx_gt_u32_e64 s16, v47
	s_cbranch_execnz .LBB1355_65
.LBB1355_50:                            ;   in Loop: Header=BB1355_24 Depth=2
	s_or_b32 exec_lo, exec_lo, s17
	s_mov_b32 s17, exec_lo
	v_cmpx_gt_u32_e64 s16, v48
	s_cbranch_execnz .LBB1355_66
.LBB1355_51:                            ;   in Loop: Header=BB1355_24 Depth=2
	s_or_b32 exec_lo, exec_lo, s17
	s_mov_b32 s17, exec_lo
	v_cmpx_gt_u32_e64 s16, v49
	s_cbranch_execnz .LBB1355_67
.LBB1355_52:                            ;   in Loop: Header=BB1355_24 Depth=2
	s_or_b32 exec_lo, exec_lo, s17
	s_mov_b32 s17, exec_lo
	v_cmpx_gt_u32_e64 s16, v50
	s_cbranch_execnz .LBB1355_68
.LBB1355_53:                            ;   in Loop: Header=BB1355_24 Depth=2
	s_or_b32 exec_lo, exec_lo, s17
	s_mov_b32 s17, exec_lo
	v_cmpx_gt_u32_e64 s16, v51
	s_cbranch_execnz .LBB1355_69
.LBB1355_54:                            ;   in Loop: Header=BB1355_24 Depth=2
	s_or_b32 exec_lo, exec_lo, s17
	s_mov_b32 s17, exec_lo
	v_cmpx_gt_u32_e64 s16, v52
	s_cbranch_execnz .LBB1355_70
.LBB1355_55:                            ;   in Loop: Header=BB1355_24 Depth=2
	s_or_b32 exec_lo, exec_lo, s17
	s_mov_b32 s17, exec_lo
	v_cmpx_gt_u32_e64 s16, v53
	s_cbranch_execnz .LBB1355_71
.LBB1355_56:                            ;   in Loop: Header=BB1355_24 Depth=2
	s_or_b32 exec_lo, exec_lo, s17
	s_mov_b32 s17, exec_lo
	v_cmpx_gt_u32_e64 s16, v54
	s_cbranch_execnz .LBB1355_72
.LBB1355_57:                            ;   in Loop: Header=BB1355_24 Depth=2
	s_or_b32 exec_lo, exec_lo, s17
	s_mov_b32 s17, exec_lo
	v_cmpx_gt_u32_e64 s16, v55
	s_cbranch_execnz .LBB1355_73
.LBB1355_58:                            ;   in Loop: Header=BB1355_24 Depth=2
	s_or_b32 exec_lo, exec_lo, s17
	s_mov_b32 s17, exec_lo
	v_cmpx_gt_u32_e64 s16, v56
	s_cbranch_execnz .LBB1355_74
.LBB1355_59:                            ;   in Loop: Header=BB1355_24 Depth=2
	s_or_b32 exec_lo, exec_lo, s17
	s_mov_b32 s17, exec_lo
	v_cmpx_gt_u32_e64 s16, v57
	s_cbranch_execnz .LBB1355_75
.LBB1355_60:                            ;   in Loop: Header=BB1355_24 Depth=2
	s_or_b32 exec_lo, exec_lo, s17
	v_cmp_gt_u32_e32 vcc_lo, s16, v58
	s_and_saveexec_b32 s16, vcc_lo
	s_cbranch_execz .LBB1355_23
	s_branch .LBB1355_76
.LBB1355_61:                            ;   in Loop: Header=BB1355_24 Depth=2
	v_cmp_gt_i32_e32 vcc_lo, 0, v19
	v_cndmask_b32_e64 v20, 0x7fffffff, 0, vcc_lo
	v_xor_b32_e32 v20, v20, v19
	v_cmp_ne_u32_e32 vcc_lo, 0x80000000, v20
	v_cndmask_b32_e32 v20, 0x7fffffff, v20, vcc_lo
	v_lshrrev_b32_e32 v20, s52, v20
	v_and_b32_e32 v20, s61, v20
	v_lshl_or_b32 v20, v20, 4, v59
	ds_add_u32 v20, v82
	s_or_b32 exec_lo, exec_lo, s17
	s_mov_b32 s17, exec_lo
	v_cmpx_gt_u32_e64 s16, v42
	s_cbranch_execz .LBB1355_47
.LBB1355_62:                            ;   in Loop: Header=BB1355_24 Depth=2
	v_cmp_gt_i32_e32 vcc_lo, 0, v18
	v_cndmask_b32_e64 v20, 0x7fffffff, 0, vcc_lo
	v_xor_b32_e32 v20, v20, v18
	v_cmp_ne_u32_e32 vcc_lo, 0x80000000, v20
	v_cndmask_b32_e32 v20, 0x7fffffff, v20, vcc_lo
	v_lshrrev_b32_e32 v20, s52, v20
	v_and_b32_e32 v20, s61, v20
	v_lshl_or_b32 v20, v20, 4, v59
	ds_add_u32 v20, v82
	s_or_b32 exec_lo, exec_lo, s17
	s_mov_b32 s17, exec_lo
	v_cmpx_gt_u32_e64 s16, v45
	s_cbranch_execz .LBB1355_48
.LBB1355_63:                            ;   in Loop: Header=BB1355_24 Depth=2
	v_cmp_gt_i32_e32 vcc_lo, 0, v17
	v_cndmask_b32_e64 v20, 0x7fffffff, 0, vcc_lo
	v_xor_b32_e32 v20, v20, v17
	v_cmp_ne_u32_e32 vcc_lo, 0x80000000, v20
	v_cndmask_b32_e32 v20, 0x7fffffff, v20, vcc_lo
	v_lshrrev_b32_e32 v20, s52, v20
	v_and_b32_e32 v20, s61, v20
	v_lshl_or_b32 v20, v20, 4, v59
	ds_add_u32 v20, v82
	s_or_b32 exec_lo, exec_lo, s17
	s_mov_b32 s17, exec_lo
	v_cmpx_gt_u32_e64 s16, v46
	s_cbranch_execz .LBB1355_49
.LBB1355_64:                            ;   in Loop: Header=BB1355_24 Depth=2
	v_cmp_gt_i32_e32 vcc_lo, 0, v16
	v_cndmask_b32_e64 v20, 0x7fffffff, 0, vcc_lo
	v_xor_b32_e32 v20, v20, v16
	v_cmp_ne_u32_e32 vcc_lo, 0x80000000, v20
	v_cndmask_b32_e32 v20, 0x7fffffff, v20, vcc_lo
	v_lshrrev_b32_e32 v20, s52, v20
	v_and_b32_e32 v20, s61, v20
	v_lshl_or_b32 v20, v20, 4, v59
	ds_add_u32 v20, v82
	s_or_b32 exec_lo, exec_lo, s17
	s_mov_b32 s17, exec_lo
	v_cmpx_gt_u32_e64 s16, v47
	s_cbranch_execz .LBB1355_50
.LBB1355_65:                            ;   in Loop: Header=BB1355_24 Depth=2
	v_cmp_gt_i32_e32 vcc_lo, 0, v15
	v_cndmask_b32_e64 v20, 0x7fffffff, 0, vcc_lo
	v_xor_b32_e32 v20, v20, v15
	v_cmp_ne_u32_e32 vcc_lo, 0x80000000, v20
	v_cndmask_b32_e32 v20, 0x7fffffff, v20, vcc_lo
	v_lshrrev_b32_e32 v20, s52, v20
	v_and_b32_e32 v20, s61, v20
	v_lshl_or_b32 v20, v20, 4, v59
	ds_add_u32 v20, v82
	s_or_b32 exec_lo, exec_lo, s17
	s_mov_b32 s17, exec_lo
	v_cmpx_gt_u32_e64 s16, v48
	s_cbranch_execz .LBB1355_51
.LBB1355_66:                            ;   in Loop: Header=BB1355_24 Depth=2
	v_cmp_gt_i32_e32 vcc_lo, 0, v14
	v_cndmask_b32_e64 v20, 0x7fffffff, 0, vcc_lo
	v_xor_b32_e32 v20, v20, v14
	v_cmp_ne_u32_e32 vcc_lo, 0x80000000, v20
	v_cndmask_b32_e32 v20, 0x7fffffff, v20, vcc_lo
	v_lshrrev_b32_e32 v20, s52, v20
	v_and_b32_e32 v20, s61, v20
	v_lshl_or_b32 v20, v20, 4, v59
	ds_add_u32 v20, v82
	s_or_b32 exec_lo, exec_lo, s17
	s_mov_b32 s17, exec_lo
	v_cmpx_gt_u32_e64 s16, v49
	s_cbranch_execz .LBB1355_52
.LBB1355_67:                            ;   in Loop: Header=BB1355_24 Depth=2
	v_cmp_gt_i32_e32 vcc_lo, 0, v13
	v_cndmask_b32_e64 v20, 0x7fffffff, 0, vcc_lo
	v_xor_b32_e32 v20, v20, v13
	v_cmp_ne_u32_e32 vcc_lo, 0x80000000, v20
	v_cndmask_b32_e32 v20, 0x7fffffff, v20, vcc_lo
	v_lshrrev_b32_e32 v20, s52, v20
	v_and_b32_e32 v20, s61, v20
	v_lshl_or_b32 v20, v20, 4, v59
	ds_add_u32 v20, v82
	s_or_b32 exec_lo, exec_lo, s17
	s_mov_b32 s17, exec_lo
	v_cmpx_gt_u32_e64 s16, v50
	s_cbranch_execz .LBB1355_53
.LBB1355_68:                            ;   in Loop: Header=BB1355_24 Depth=2
	v_cmp_gt_i32_e32 vcc_lo, 0, v12
	v_cndmask_b32_e64 v20, 0x7fffffff, 0, vcc_lo
	v_xor_b32_e32 v20, v20, v12
	v_cmp_ne_u32_e32 vcc_lo, 0x80000000, v20
	v_cndmask_b32_e32 v20, 0x7fffffff, v20, vcc_lo
	v_lshrrev_b32_e32 v20, s52, v20
	v_and_b32_e32 v20, s61, v20
	v_lshl_or_b32 v20, v20, 4, v59
	ds_add_u32 v20, v82
	s_or_b32 exec_lo, exec_lo, s17
	s_mov_b32 s17, exec_lo
	v_cmpx_gt_u32_e64 s16, v51
	s_cbranch_execz .LBB1355_54
.LBB1355_69:                            ;   in Loop: Header=BB1355_24 Depth=2
	v_cmp_gt_i32_e32 vcc_lo, 0, v11
	v_cndmask_b32_e64 v20, 0x7fffffff, 0, vcc_lo
	v_xor_b32_e32 v20, v20, v11
	v_cmp_ne_u32_e32 vcc_lo, 0x80000000, v20
	v_cndmask_b32_e32 v20, 0x7fffffff, v20, vcc_lo
	v_lshrrev_b32_e32 v20, s52, v20
	v_and_b32_e32 v20, s61, v20
	v_lshl_or_b32 v20, v20, 4, v59
	ds_add_u32 v20, v82
	s_or_b32 exec_lo, exec_lo, s17
	s_mov_b32 s17, exec_lo
	v_cmpx_gt_u32_e64 s16, v52
	s_cbranch_execz .LBB1355_55
.LBB1355_70:                            ;   in Loop: Header=BB1355_24 Depth=2
	v_cmp_gt_i32_e32 vcc_lo, 0, v10
	v_cndmask_b32_e64 v20, 0x7fffffff, 0, vcc_lo
	v_xor_b32_e32 v20, v20, v10
	v_cmp_ne_u32_e32 vcc_lo, 0x80000000, v20
	v_cndmask_b32_e32 v20, 0x7fffffff, v20, vcc_lo
	v_lshrrev_b32_e32 v20, s52, v20
	v_and_b32_e32 v20, s61, v20
	v_lshl_or_b32 v20, v20, 4, v59
	ds_add_u32 v20, v82
	s_or_b32 exec_lo, exec_lo, s17
	s_mov_b32 s17, exec_lo
	v_cmpx_gt_u32_e64 s16, v53
	s_cbranch_execz .LBB1355_56
.LBB1355_71:                            ;   in Loop: Header=BB1355_24 Depth=2
	v_cmp_gt_i32_e32 vcc_lo, 0, v9
	v_cndmask_b32_e64 v20, 0x7fffffff, 0, vcc_lo
	v_xor_b32_e32 v20, v20, v9
	v_cmp_ne_u32_e32 vcc_lo, 0x80000000, v20
	v_cndmask_b32_e32 v20, 0x7fffffff, v20, vcc_lo
	v_lshrrev_b32_e32 v20, s52, v20
	v_and_b32_e32 v20, s61, v20
	v_lshl_or_b32 v20, v20, 4, v59
	ds_add_u32 v20, v82
	s_or_b32 exec_lo, exec_lo, s17
	s_mov_b32 s17, exec_lo
	v_cmpx_gt_u32_e64 s16, v54
	s_cbranch_execz .LBB1355_57
.LBB1355_72:                            ;   in Loop: Header=BB1355_24 Depth=2
	v_cmp_gt_i32_e32 vcc_lo, 0, v8
	v_cndmask_b32_e64 v20, 0x7fffffff, 0, vcc_lo
	v_xor_b32_e32 v20, v20, v8
	v_cmp_ne_u32_e32 vcc_lo, 0x80000000, v20
	v_cndmask_b32_e32 v20, 0x7fffffff, v20, vcc_lo
	v_lshrrev_b32_e32 v20, s52, v20
	v_and_b32_e32 v20, s61, v20
	v_lshl_or_b32 v20, v20, 4, v59
	ds_add_u32 v20, v82
	s_or_b32 exec_lo, exec_lo, s17
	s_mov_b32 s17, exec_lo
	v_cmpx_gt_u32_e64 s16, v55
	s_cbranch_execz .LBB1355_58
.LBB1355_73:                            ;   in Loop: Header=BB1355_24 Depth=2
	v_cmp_gt_i32_e32 vcc_lo, 0, v7
	v_cndmask_b32_e64 v20, 0x7fffffff, 0, vcc_lo
	v_xor_b32_e32 v20, v20, v7
	v_cmp_ne_u32_e32 vcc_lo, 0x80000000, v20
	v_cndmask_b32_e32 v20, 0x7fffffff, v20, vcc_lo
	v_lshrrev_b32_e32 v20, s52, v20
	v_and_b32_e32 v20, s61, v20
	v_lshl_or_b32 v20, v20, 4, v59
	ds_add_u32 v20, v82
	s_or_b32 exec_lo, exec_lo, s17
	s_mov_b32 s17, exec_lo
	v_cmpx_gt_u32_e64 s16, v56
	s_cbranch_execz .LBB1355_59
.LBB1355_74:                            ;   in Loop: Header=BB1355_24 Depth=2
	v_cmp_gt_i32_e32 vcc_lo, 0, v6
	v_cndmask_b32_e64 v20, 0x7fffffff, 0, vcc_lo
	v_xor_b32_e32 v20, v20, v6
	v_cmp_ne_u32_e32 vcc_lo, 0x80000000, v20
	v_cndmask_b32_e32 v20, 0x7fffffff, v20, vcc_lo
	v_lshrrev_b32_e32 v20, s52, v20
	v_and_b32_e32 v20, s61, v20
	v_lshl_or_b32 v20, v20, 4, v59
	ds_add_u32 v20, v82
	s_or_b32 exec_lo, exec_lo, s17
	s_mov_b32 s17, exec_lo
	v_cmpx_gt_u32_e64 s16, v57
	s_cbranch_execz .LBB1355_60
.LBB1355_75:                            ;   in Loop: Header=BB1355_24 Depth=2
	v_cmp_gt_i32_e32 vcc_lo, 0, v5
	v_cndmask_b32_e64 v20, 0x7fffffff, 0, vcc_lo
	v_xor_b32_e32 v20, v20, v5
	v_cmp_ne_u32_e32 vcc_lo, 0x80000000, v20
	v_cndmask_b32_e32 v20, 0x7fffffff, v20, vcc_lo
	v_lshrrev_b32_e32 v20, s52, v20
	v_and_b32_e32 v20, s61, v20
	v_lshl_or_b32 v20, v20, 4, v59
	ds_add_u32 v20, v82
	s_or_b32 exec_lo, exec_lo, s17
	v_cmp_gt_u32_e32 vcc_lo, s16, v58
	s_and_saveexec_b32 s16, vcc_lo
	s_cbranch_execz .LBB1355_23
.LBB1355_76:                            ;   in Loop: Header=BB1355_24 Depth=2
	v_cmp_gt_i32_e32 vcc_lo, 0, v3
	v_cndmask_b32_e64 v20, 0x7fffffff, 0, vcc_lo
	v_xor_b32_e32 v20, v20, v3
	v_cmp_ne_u32_e32 vcc_lo, 0x80000000, v20
	v_cndmask_b32_e32 v20, 0x7fffffff, v20, vcc_lo
	v_lshrrev_b32_e32 v20, s52, v20
	v_and_b32_e32 v20, s61, v20
	v_lshl_or_b32 v20, v20, 4, v59
	ds_add_u32 v20, v82
	s_branch .LBB1355_23
.LBB1355_77:                            ;   in Loop: Header=BB1355_24 Depth=2
	global_load_dword v19, v86, s[16:17]
	s_or_b32 exec_lo, exec_lo, s19
	s_mov_b32 s19, exec_lo
	v_cmpx_gt_u32_e64 s5, v42
	s_cbranch_execz .LBB1355_29
.LBB1355_78:                            ;   in Loop: Header=BB1355_24 Depth=2
	global_load_dword v18, v86, s[16:17] offset:1024
	s_or_b32 exec_lo, exec_lo, s19
	s_mov_b32 s19, exec_lo
	v_cmpx_gt_u32_e64 s5, v45
	s_cbranch_execz .LBB1355_30
.LBB1355_79:                            ;   in Loop: Header=BB1355_24 Depth=2
	global_load_dword v17, v87, s[16:17]
	s_or_b32 exec_lo, exec_lo, s19
	s_mov_b32 s19, exec_lo
	v_cmpx_gt_u32_e64 s5, v46
	s_cbranch_execz .LBB1355_31
.LBB1355_80:                            ;   in Loop: Header=BB1355_24 Depth=2
	global_load_dword v16, v88, s[16:17]
	s_or_b32 exec_lo, exec_lo, s19
	s_mov_b32 s19, exec_lo
	v_cmpx_gt_u32_e64 s5, v47
	s_cbranch_execz .LBB1355_32
.LBB1355_81:                            ;   in Loop: Header=BB1355_24 Depth=2
	global_load_dword v15, v89, s[16:17]
	s_or_b32 exec_lo, exec_lo, s19
	s_mov_b32 s19, exec_lo
	v_cmpx_gt_u32_e64 s5, v48
	s_cbranch_execz .LBB1355_33
.LBB1355_82:                            ;   in Loop: Header=BB1355_24 Depth=2
	global_load_dword v14, v90, s[16:17]
	s_or_b32 exec_lo, exec_lo, s19
	s_mov_b32 s19, exec_lo
	v_cmpx_gt_u32_e64 s5, v49
	s_cbranch_execz .LBB1355_34
.LBB1355_83:                            ;   in Loop: Header=BB1355_24 Depth=2
	global_load_dword v13, v91, s[16:17]
	s_or_b32 exec_lo, exec_lo, s19
	s_mov_b32 s19, exec_lo
	v_cmpx_gt_u32_e64 s5, v50
	s_cbranch_execz .LBB1355_35
.LBB1355_84:                            ;   in Loop: Header=BB1355_24 Depth=2
	global_load_dword v12, v92, s[16:17]
	s_or_b32 exec_lo, exec_lo, s19
	s_mov_b32 s19, exec_lo
	v_cmpx_gt_u32_e64 s5, v51
	s_cbranch_execz .LBB1355_36
.LBB1355_85:                            ;   in Loop: Header=BB1355_24 Depth=2
	global_load_dword v11, v93, s[16:17]
	s_or_b32 exec_lo, exec_lo, s19
	s_mov_b32 s19, exec_lo
	v_cmpx_gt_u32_e64 s5, v52
	s_cbranch_execz .LBB1355_37
.LBB1355_86:                            ;   in Loop: Header=BB1355_24 Depth=2
	global_load_dword v10, v94, s[16:17]
	s_or_b32 exec_lo, exec_lo, s19
	s_mov_b32 s19, exec_lo
	v_cmpx_gt_u32_e64 s5, v53
	s_cbranch_execz .LBB1355_38
.LBB1355_87:                            ;   in Loop: Header=BB1355_24 Depth=2
	global_load_dword v9, v95, s[16:17]
	s_or_b32 exec_lo, exec_lo, s19
	s_mov_b32 s19, exec_lo
	v_cmpx_gt_u32_e64 s5, v54
	s_cbranch_execz .LBB1355_39
.LBB1355_88:                            ;   in Loop: Header=BB1355_24 Depth=2
	global_load_dword v8, v96, s[16:17]
	s_or_b32 exec_lo, exec_lo, s19
	s_mov_b32 s19, exec_lo
	v_cmpx_gt_u32_e64 s5, v55
	s_cbranch_execz .LBB1355_40
.LBB1355_89:                            ;   in Loop: Header=BB1355_24 Depth=2
	global_load_dword v7, v97, s[16:17]
	s_or_b32 exec_lo, exec_lo, s19
	s_mov_b32 s19, exec_lo
	v_cmpx_gt_u32_e64 s5, v56
	s_cbranch_execz .LBB1355_41
.LBB1355_90:                            ;   in Loop: Header=BB1355_24 Depth=2
	global_load_dword v6, v98, s[16:17]
	s_or_b32 exec_lo, exec_lo, s19
	s_mov_b32 s19, exec_lo
	v_cmpx_gt_u32_e64 s5, v57
	s_cbranch_execz .LBB1355_42
.LBB1355_91:                            ;   in Loop: Header=BB1355_24 Depth=2
	global_load_dword v5, v99, s[16:17]
	s_or_b32 exec_lo, exec_lo, s19
	s_mov_b32 s19, exec_lo
	v_cmpx_gt_u32_e64 s5, v58
	s_cbranch_execnz .LBB1355_43
	s_branch .LBB1355_44
.LBB1355_92:                            ;   in Loop: Header=BB1355_20 Depth=1
	v_mov_b32_e32 v3, 0
	s_waitcnt lgkmcnt(0)
	s_barrier
	buffer_gl0_inv
	s_and_saveexec_b32 s5, s8
	s_cbranch_execz .LBB1355_94
; %bb.93:                               ;   in Loop: Header=BB1355_20 Depth=1
	ds_read2_b64 v[5:8], v61 offset1:1
	s_waitcnt lgkmcnt(0)
	v_add_nc_u32_e32 v3, v6, v5
	v_add3_u32 v3, v3, v7, v8
.LBB1355_94:                            ;   in Loop: Header=BB1355_20 Depth=1
	s_or_b32 exec_lo, exec_lo, s5
	v_mov_b32_dpp v5, v3 row_shr:1 row_mask:0xf bank_mask:0xf
	v_cmp_eq_u32_e64 s5, 0, v83
	v_cmp_lt_u32_e64 s16, 1, v83
	v_cmp_lt_u32_e64 s17, 3, v83
	;; [unrolled: 1-line block ×3, first 2 shown]
	v_cmp_eq_u32_e64 s19, 0, v85
	v_cndmask_b32_e64 v5, v5, 0, s5
	v_add_nc_u32_e32 v3, v5, v3
	v_mov_b32_dpp v5, v3 row_shr:2 row_mask:0xf bank_mask:0xf
	v_cndmask_b32_e64 v5, 0, v5, s16
	v_add_nc_u32_e32 v3, v3, v5
	v_mov_b32_dpp v5, v3 row_shr:4 row_mask:0xf bank_mask:0xf
	;; [unrolled: 3-line block ×3, first 2 shown]
	v_cndmask_b32_e64 v5, 0, v5, s18
	v_add_nc_u32_e32 v3, v3, v5
	ds_swizzle_b32 v5, v3 offset:swizzle(BROADCAST,32,15)
	s_waitcnt lgkmcnt(0)
	v_and_b32_e32 v5, v84, v5
	v_add_nc_u32_e32 v3, v3, v5
	s_and_saveexec_b32 s20, s9
; %bb.95:                               ;   in Loop: Header=BB1355_20 Depth=1
	ds_write_b32 v62, v3
; %bb.96:                               ;   in Loop: Header=BB1355_20 Depth=1
	s_or_b32 exec_lo, exec_lo, s20
	s_waitcnt lgkmcnt(0)
	s_barrier
	buffer_gl0_inv
	s_and_saveexec_b32 s20, s10
	s_cbranch_execz .LBB1355_98
; %bb.97:                               ;   in Loop: Header=BB1355_20 Depth=1
	ds_read_b32 v5, v63
	v_cmp_ne_u32_e32 vcc_lo, 0, v101
	s_waitcnt lgkmcnt(0)
	v_mov_b32_dpp v6, v5 row_shr:1 row_mask:0xf bank_mask:0xf
	v_cndmask_b32_e32 v6, 0, v6, vcc_lo
	v_cmp_lt_u32_e32 vcc_lo, 1, v101
	v_add_nc_u32_e32 v5, v6, v5
	v_mov_b32_dpp v6, v5 row_shr:2 row_mask:0xf bank_mask:0xf
	v_cndmask_b32_e32 v6, 0, v6, vcc_lo
	v_add_nc_u32_e32 v5, v5, v6
	ds_write_b32 v63, v5
.LBB1355_98:                            ;   in Loop: Header=BB1355_20 Depth=1
	s_or_b32 exec_lo, exec_lo, s20
	v_mov_b32_e32 v5, 0
	s_waitcnt lgkmcnt(0)
	s_barrier
	buffer_gl0_inv
	s_and_saveexec_b32 s20, s11
; %bb.99:                               ;   in Loop: Header=BB1355_20 Depth=1
	ds_read_b32 v5, v64
; %bb.100:                              ;   in Loop: Header=BB1355_20 Depth=1
	s_or_b32 exec_lo, exec_lo, s20
	v_cmp_gt_i32_e32 vcc_lo, 0, v103
	s_waitcnt lgkmcnt(0)
	v_add_nc_u32_e32 v3, v5, v3
	s_barrier
	buffer_gl0_inv
	v_cndmask_b32_e32 v6, v103, v79, vcc_lo
	v_lshlrev_b32_e32 v126, 2, v6
	ds_bpermute_b32 v3, v126, v3
	s_and_saveexec_b32 s20, s8
	s_cbranch_execz .LBB1355_102
; %bb.101:                              ;   in Loop: Header=BB1355_20 Depth=1
	s_waitcnt lgkmcnt(0)
	v_cndmask_b32_e64 v3, v3, v5, s15
	v_add_nc_u32_e32 v3, s58, v3
	ds_write_b32 v41, v3
.LBB1355_102:                           ;   in Loop: Header=BB1355_20 Depth=1
	s_or_b32 exec_lo, exec_lo, s20
	s_clause 0x1
	s_load_dword s20, s[56:57], 0x4
	s_load_dword s22, s[56:57], 0xc
	s_mov_b32 s62, s60
	s_mov_b32 s46, s58
                                        ; implicit-def: $vgpr7_vgpr8
                                        ; implicit-def: $vgpr9_vgpr10
                                        ; implicit-def: $vgpr11_vgpr12
                                        ; implicit-def: $vgpr13_vgpr14
                                        ; implicit-def: $vgpr17_vgpr18
                                        ; implicit-def: $vgpr21_vgpr22
                                        ; implicit-def: $vgpr25_vgpr26
                                        ; implicit-def: $vgpr15_vgpr16
                                        ; implicit-def: $vgpr19_vgpr20
                                        ; implicit-def: $vgpr23_vgpr24
                                        ; implicit-def: $vgpr27_vgpr28
                                        ; implicit-def: $vgpr29_vgpr30
                                        ; implicit-def: $vgpr31_vgpr32
                                        ; implicit-def: $vgpr33_vgpr34
                                        ; implicit-def: $vgpr35_vgpr36
                                        ; implicit-def: $vgpr128
                                        ; implicit-def: $vgpr129
                                        ; implicit-def: $vgpr130
                                        ; implicit-def: $vgpr131
                                        ; implicit-def: $vgpr132
                                        ; implicit-def: $vgpr133
                                        ; implicit-def: $vgpr134
                                        ; implicit-def: $vgpr135
                                        ; implicit-def: $vgpr136
                                        ; implicit-def: $vgpr137
                                        ; implicit-def: $vgpr138
                                        ; implicit-def: $vgpr139
                                        ; implicit-def: $vgpr141
                                        ; implicit-def: $vgpr142
                                        ; implicit-def: $vgpr143
                                        ; implicit-def: $vgpr144
                                        ; implicit-def: $vgpr140
                                        ; implicit-def: $vgpr145
	s_waitcnt lgkmcnt(0)
	s_cmp_lt_u32 s7, s20
	s_cselect_b32 s20, 14, 20
	s_add_u32 s20, s56, s20
	s_addc_u32 s21, s57, 0
	global_load_ushort v3, v4, s[20:21]
	s_and_b32 s20, s22, 0xffff
	v_cmp_lt_u32_e64 s21, 1, v104
	v_cmp_lt_u32_e64 s22, 3, v104
	s_waitcnt vmcnt(0)
	v_mad_u32_u24 v3, v2, v3, v1
	v_mad_u64_u32 v[5:6], null, v3, s20, v[0:1]
	v_cmp_eq_u32_e64 s20, 0, v104
	v_lshrrev_b32_e32 v3, 3, v5
                                        ; implicit-def: $vgpr5_vgpr6
	v_and_b32_e32 v127, 0x1ffffffc, v3
	s_branch .LBB1355_104
.LBB1355_103:                           ;   in Loop: Header=BB1355_104 Depth=2
	s_or_b32 exec_lo, exec_lo, s23
	s_addk_i32 s62, 0xf000
	s_cmp_lt_u32 s63, s59
	s_mov_b32 s46, s63
	s_cbranch_scc0 .LBB1355_314
.LBB1355_104:                           ;   Parent Loop BB1355_20 Depth=1
                                        ; =>  This Inner Loop Header: Depth=2
	s_add_i32 s63, s46, 0x1000
	s_cmp_gt_u32 s63, s59
	s_cbranch_scc1 .LBB1355_106
; %bb.105:                              ;   in Loop: Header=BB1355_104 Depth=2
	s_lshl_b64 s[24:25], s[46:47], 2
	s_mov_b32 s23, -1
	v_add_co_u32 v37, vcc_lo, v124, s24
	v_add_co_ci_u32_e64 v38, null, s25, v125, vcc_lo
	s_clause 0xe
	global_load_dword v3, v[37:38], off
	global_load_dword v147, v[37:38], off offset:128
	global_load_dword v150, v[37:38], off offset:256
	;; [unrolled: 1-line block ×14, first 2 shown]
	s_movk_i32 s24, 0x1000
	s_cbranch_execz .LBB1355_107
	s_branch .LBB1355_138
.LBB1355_106:                           ;   in Loop: Header=BB1355_104 Depth=2
	s_mov_b32 s23, 0
                                        ; implicit-def: $vgpr3
                                        ; implicit-def: $vgpr147
                                        ; implicit-def: $vgpr150
                                        ; implicit-def: $vgpr154
                                        ; implicit-def: $vgpr158
                                        ; implicit-def: $vgpr164
                                        ; implicit-def: $vgpr169
                                        ; implicit-def: $vgpr174
                                        ; implicit-def: $vgpr177
                                        ; implicit-def: $vgpr172
                                        ; implicit-def: $vgpr168
                                        ; implicit-def: $vgpr163
                                        ; implicit-def: $vgpr160
                                        ; implicit-def: $vgpr40
                                        ; implicit-def: $vgpr39
	s_movk_i32 s24, 0x1000
.LBB1355_107:                           ;   in Loop: Header=BB1355_104 Depth=2
	s_lshl_b64 s[24:25], s[46:47], 2
	s_waitcnt vmcnt(13)
	v_mov_b32_e32 v147, -1
	v_add_co_u32 v37, vcc_lo, v124, s24
	v_add_co_ci_u32_e64 v38, null, s25, v125, vcc_lo
	v_mov_b32_e32 v3, -1
	s_mov_b32 s23, exec_lo
	v_cmpx_gt_u32_e64 s62, v105
	s_cbranch_execz .LBB1355_109
; %bb.108:                              ;   in Loop: Header=BB1355_104 Depth=2
	global_load_dword v3, v[37:38], off
.LBB1355_109:                           ;   in Loop: Header=BB1355_104 Depth=2
	s_or_b32 exec_lo, exec_lo, s23
	s_mov_b32 s23, exec_lo
	v_cmpx_gt_u32_e64 s62, v108
	s_cbranch_execz .LBB1355_111
; %bb.110:                              ;   in Loop: Header=BB1355_104 Depth=2
	global_load_dword v147, v[37:38], off offset:128
.LBB1355_111:                           ;   in Loop: Header=BB1355_104 Depth=2
	s_or_b32 exec_lo, exec_lo, s23
	s_waitcnt vmcnt(11)
	v_mov_b32_e32 v154, -1
	v_mov_b32_e32 v150, -1
	s_mov_b32 s23, exec_lo
	v_cmpx_gt_u32_e64 s62, v109
	s_cbranch_execz .LBB1355_113
; %bb.112:                              ;   in Loop: Header=BB1355_104 Depth=2
	global_load_dword v150, v[37:38], off offset:256
.LBB1355_113:                           ;   in Loop: Header=BB1355_104 Depth=2
	s_or_b32 exec_lo, exec_lo, s23
	s_mov_b32 s23, exec_lo
	v_cmpx_gt_u32_e64 s62, v110
	s_cbranch_execz .LBB1355_115
; %bb.114:                              ;   in Loop: Header=BB1355_104 Depth=2
	global_load_dword v154, v[37:38], off offset:384
.LBB1355_115:                           ;   in Loop: Header=BB1355_104 Depth=2
	s_or_b32 exec_lo, exec_lo, s23
	s_waitcnt vmcnt(9)
	v_mov_b32_e32 v164, -1
	v_mov_b32_e32 v158, -1
	s_mov_b32 s23, exec_lo
	v_cmpx_gt_u32_e64 s62, v111
	s_cbranch_execz .LBB1355_117
; %bb.116:                              ;   in Loop: Header=BB1355_104 Depth=2
	global_load_dword v158, v[37:38], off offset:512
.LBB1355_117:                           ;   in Loop: Header=BB1355_104 Depth=2
	;; [unrolled: 17-line block ×6, first 2 shown]
	s_or_b32 exec_lo, exec_lo, s23
	s_mov_b32 s23, exec_lo
	v_cmpx_gt_u32_e64 s62, v121
	s_cbranch_execz .LBB1355_135
; %bb.134:                              ;   in Loop: Header=BB1355_104 Depth=2
	global_load_dword v40, v[37:38], off offset:1664
.LBB1355_135:                           ;   in Loop: Header=BB1355_104 Depth=2
	s_or_b32 exec_lo, exec_lo, s23
	s_waitcnt vmcnt(0)
	v_mov_b32_e32 v39, -1
	s_mov_b32 s23, exec_lo
	v_cmpx_gt_u32_e64 s62, v122
	s_cbranch_execz .LBB1355_137
; %bb.136:                              ;   in Loop: Header=BB1355_104 Depth=2
	global_load_dword v39, v[37:38], off offset:1792
.LBB1355_137:                           ;   in Loop: Header=BB1355_104 Depth=2
	s_or_b32 exec_lo, exec_lo, s23
	v_cmp_gt_u32_e64 s23, s62, v123
	s_sub_i32 s24, s59, s46
.LBB1355_138:                           ;   in Loop: Header=BB1355_104 Depth=2
	v_mov_b32_e32 v37, -1
	v_mov_b32_e32 v146, s62
	s_and_saveexec_b32 s25, s23
	s_cbranch_execz .LBB1355_140
; %bb.139:                              ;   in Loop: Header=BB1355_104 Depth=2
	s_lshl_b64 s[26:27], s[46:47], 2
	v_mov_b32_e32 v146, s24
	v_add_co_u32 v37, vcc_lo, v124, s26
	v_add_co_ci_u32_e64 v38, null, s27, v125, vcc_lo
	global_load_dword v37, v[37:38], off offset:1920
.LBB1355_140:                           ;   in Loop: Header=BB1355_104 Depth=2
	s_or_b32 exec_lo, exec_lo, s25
	s_waitcnt vmcnt(14)
	v_cmp_gt_i32_e32 vcc_lo, 0, v3
	ds_write2_b32 v65, v4, v4 offset0:136 offset1:137
	ds_write2_b32 v65, v4, v4 offset0:138 offset1:139
	ds_write_b32 v65, v4 offset:560
	s_waitcnt vmcnt(0) lgkmcnt(0)
	s_barrier
	v_cndmask_b32_e64 v38, 0x7fffffff, 0, vcc_lo
	buffer_gl0_inv
	; wave barrier
	v_xor_b32_e32 v3, v38, v3
	v_cmp_ne_u32_e32 vcc_lo, 0x80000000, v3
	v_cndmask_b32_e32 v38, 0x7fffffff, v3, vcc_lo
	v_lshrrev_b32_e32 v38, s52, v38
	v_and_b32_e32 v149, s61, v38
	v_and_b32_e32 v38, 1, v149
	v_lshlrev_b32_e32 v148, 30, v149
	v_lshlrev_b32_e32 v151, 29, v149
	;; [unrolled: 1-line block ×4, first 2 shown]
	v_add_co_u32 v38, s23, v38, -1
	v_cndmask_b32_e64 v152, 0, 1, s23
	v_not_b32_e32 v157, v148
	v_cmp_gt_i32_e64 s23, 0, v148
	v_not_b32_e32 v148, v151
	v_lshlrev_b32_e32 v156, 26, v149
	v_cmp_ne_u32_e32 vcc_lo, 0, v152
	v_ashrrev_i32_e32 v157, 31, v157
	v_lshlrev_b32_e32 v152, 25, v149
	v_ashrrev_i32_e32 v148, 31, v148
	v_mul_u32_u24_e32 v149, 36, v149
	v_xor_b32_e32 v38, vcc_lo, v38
	v_cmp_gt_i32_e32 vcc_lo, 0, v151
	v_not_b32_e32 v151, v153
	v_xor_b32_e32 v157, s23, v157
	v_cmp_gt_i32_e64 s23, 0, v153
	v_and_b32_e32 v38, exec_lo, v38
	v_not_b32_e32 v153, v155
	v_ashrrev_i32_e32 v151, 31, v151
	v_xor_b32_e32 v148, vcc_lo, v148
	v_cmp_gt_i32_e32 vcc_lo, 0, v155
	v_and_b32_e32 v38, v38, v157
	v_not_b32_e32 v155, v156
	v_ashrrev_i32_e32 v153, 31, v153
	v_xor_b32_e32 v151, s23, v151
	v_cmp_gt_i32_e64 s23, 0, v156
	v_and_b32_e32 v38, v38, v148
	v_not_b32_e32 v148, v152
	v_ashrrev_i32_e32 v155, 31, v155
	v_xor_b32_e32 v153, vcc_lo, v153
	v_cmp_gt_i32_e32 vcc_lo, 0, v152
	v_and_b32_e32 v38, v38, v151
	v_ashrrev_i32_e32 v148, 31, v148
	v_xor_b32_e32 v151, s23, v155
	v_add_nc_u32_e32 v149, v127, v149
	v_and_b32_e32 v38, v38, v153
	v_xor_b32_e32 v148, vcc_lo, v148
	v_and_b32_e32 v38, v38, v151
	v_and_b32_e32 v38, v38, v148
	v_mbcnt_lo_u32_b32 v148, v38, 0
	v_cmp_ne_u32_e64 s23, 0, v38
	v_cmp_eq_u32_e32 vcc_lo, 0, v148
	s_and_b32 s24, s23, vcc_lo
	s_and_saveexec_b32 s23, s24
; %bb.141:                              ;   in Loop: Header=BB1355_104 Depth=2
	v_bcnt_u32_b32 v38, v38, 0
	ds_write_b32 v149, v38 offset:544
; %bb.142:                              ;   in Loop: Header=BB1355_104 Depth=2
	s_or_b32 exec_lo, exec_lo, s23
	v_cmp_gt_i32_e32 vcc_lo, 0, v147
	; wave barrier
	v_cndmask_b32_e64 v38, 0x7fffffff, 0, vcc_lo
	v_xor_b32_e32 v147, v38, v147
	v_cmp_ne_u32_e32 vcc_lo, 0x80000000, v147
	v_cndmask_b32_e32 v38, 0x7fffffff, v147, vcc_lo
	v_lshrrev_b32_e32 v38, s52, v38
	v_and_b32_e32 v153, s61, v38
	v_and_b32_e32 v38, 1, v153
	v_lshlrev_b32_e32 v151, 30, v153
	v_lshlrev_b32_e32 v152, 29, v153
	;; [unrolled: 1-line block ×4, first 2 shown]
	v_add_co_u32 v38, s23, v38, -1
	v_cndmask_b32_e64 v155, 0, 1, s23
	v_not_b32_e32 v161, v151
	v_cmp_gt_i32_e64 s23, 0, v151
	v_not_b32_e32 v151, v152
	v_lshlrev_b32_e32 v159, 26, v153
	v_cmp_ne_u32_e32 vcc_lo, 0, v155
	v_ashrrev_i32_e32 v161, 31, v161
	v_lshlrev_b32_e32 v155, 25, v153
	v_ashrrev_i32_e32 v151, 31, v151
	v_xor_b32_e32 v38, vcc_lo, v38
	v_cmp_gt_i32_e32 vcc_lo, 0, v152
	v_not_b32_e32 v152, v156
	v_xor_b32_e32 v161, s23, v161
	v_cmp_gt_i32_e64 s23, 0, v156
	v_and_b32_e32 v38, exec_lo, v38
	v_not_b32_e32 v156, v157
	v_ashrrev_i32_e32 v152, 31, v152
	v_xor_b32_e32 v151, vcc_lo, v151
	v_cmp_gt_i32_e32 vcc_lo, 0, v157
	v_and_b32_e32 v38, v38, v161
	v_not_b32_e32 v157, v159
	v_ashrrev_i32_e32 v156, 31, v156
	v_xor_b32_e32 v152, s23, v152
	v_cmp_gt_i32_e64 s23, 0, v159
	v_and_b32_e32 v38, v38, v151
	v_not_b32_e32 v151, v155
	v_ashrrev_i32_e32 v157, 31, v157
	v_xor_b32_e32 v156, vcc_lo, v156
	v_cmp_gt_i32_e32 vcc_lo, 0, v155
	v_and_b32_e32 v38, v38, v152
	v_ashrrev_i32_e32 v151, 31, v151
	v_xor_b32_e32 v152, s23, v157
	v_mad_u32_u24 v155, v153, 36, v127
	v_mul_u32_u24_e32 v153, 36, v153
	v_and_b32_e32 v38, v38, v156
	v_xor_b32_e32 v156, vcc_lo, v151
	ds_read_b32 v151, v155 offset:544
	v_add_nc_u32_e32 v153, v127, v153
	v_and_b32_e32 v38, v38, v152
	; wave barrier
	v_and_b32_e32 v38, v38, v156
	v_mbcnt_lo_u32_b32 v152, v38, 0
	v_cmp_ne_u32_e64 s23, 0, v38
	v_cmp_eq_u32_e32 vcc_lo, 0, v152
	s_and_b32 s24, s23, vcc_lo
	s_and_saveexec_b32 s23, s24
	s_cbranch_execz .LBB1355_144
; %bb.143:                              ;   in Loop: Header=BB1355_104 Depth=2
	s_waitcnt lgkmcnt(0)
	v_bcnt_u32_b32 v38, v38, v151
	ds_write_b32 v153, v38 offset:544
.LBB1355_144:                           ;   in Loop: Header=BB1355_104 Depth=2
	s_or_b32 exec_lo, exec_lo, s23
	v_cmp_gt_i32_e32 vcc_lo, 0, v150
	; wave barrier
	v_cndmask_b32_e64 v38, 0x7fffffff, 0, vcc_lo
	v_xor_b32_e32 v150, v38, v150
	v_cmp_ne_u32_e32 vcc_lo, 0x80000000, v150
	v_cndmask_b32_e32 v38, 0x7fffffff, v150, vcc_lo
	v_lshrrev_b32_e32 v38, s52, v38
	v_and_b32_e32 v157, s61, v38
	v_and_b32_e32 v38, 1, v157
	v_lshlrev_b32_e32 v155, 30, v157
	v_lshlrev_b32_e32 v156, 29, v157
	;; [unrolled: 1-line block ×4, first 2 shown]
	v_add_co_u32 v38, s23, v38, -1
	v_cndmask_b32_e64 v159, 0, 1, s23
	v_not_b32_e32 v166, v155
	v_cmp_gt_i32_e64 s23, 0, v155
	v_not_b32_e32 v155, v156
	v_lshlrev_b32_e32 v165, 26, v157
	v_cmp_ne_u32_e32 vcc_lo, 0, v159
	v_ashrrev_i32_e32 v166, 31, v166
	v_lshlrev_b32_e32 v159, 25, v157
	v_ashrrev_i32_e32 v155, 31, v155
	v_xor_b32_e32 v38, vcc_lo, v38
	v_cmp_gt_i32_e32 vcc_lo, 0, v156
	v_not_b32_e32 v156, v161
	v_xor_b32_e32 v166, s23, v166
	v_cmp_gt_i32_e64 s23, 0, v161
	v_and_b32_e32 v38, exec_lo, v38
	v_not_b32_e32 v161, v162
	v_ashrrev_i32_e32 v156, 31, v156
	v_xor_b32_e32 v155, vcc_lo, v155
	v_cmp_gt_i32_e32 vcc_lo, 0, v162
	v_and_b32_e32 v38, v38, v166
	v_not_b32_e32 v162, v165
	v_ashrrev_i32_e32 v161, 31, v161
	v_xor_b32_e32 v156, s23, v156
	v_cmp_gt_i32_e64 s23, 0, v165
	v_and_b32_e32 v38, v38, v155
	v_not_b32_e32 v155, v159
	v_ashrrev_i32_e32 v162, 31, v162
	v_xor_b32_e32 v161, vcc_lo, v161
	v_cmp_gt_i32_e32 vcc_lo, 0, v159
	v_and_b32_e32 v38, v38, v156
	v_ashrrev_i32_e32 v155, 31, v155
	v_xor_b32_e32 v156, s23, v162
	v_mad_u32_u24 v159, v157, 36, v127
	v_mul_u32_u24_e32 v157, 36, v157
	v_and_b32_e32 v38, v38, v161
	v_xor_b32_e32 v161, vcc_lo, v155
	ds_read_b32 v155, v159 offset:544
	v_add_nc_u32_e32 v157, v127, v157
	v_and_b32_e32 v38, v38, v156
	; wave barrier
	v_and_b32_e32 v38, v38, v161
	v_mbcnt_lo_u32_b32 v156, v38, 0
	v_cmp_ne_u32_e64 s23, 0, v38
	v_cmp_eq_u32_e32 vcc_lo, 0, v156
	s_and_b32 s24, s23, vcc_lo
	s_and_saveexec_b32 s23, s24
	s_cbranch_execz .LBB1355_146
; %bb.145:                              ;   in Loop: Header=BB1355_104 Depth=2
	s_waitcnt lgkmcnt(0)
	v_bcnt_u32_b32 v38, v38, v155
	ds_write_b32 v157, v38 offset:544
.LBB1355_146:                           ;   in Loop: Header=BB1355_104 Depth=2
	s_or_b32 exec_lo, exec_lo, s23
	v_cmp_gt_i32_e32 vcc_lo, 0, v154
	; wave barrier
	v_cndmask_b32_e64 v38, 0x7fffffff, 0, vcc_lo
	v_xor_b32_e32 v154, v38, v154
	v_cmp_ne_u32_e32 vcc_lo, 0x80000000, v154
	v_cndmask_b32_e32 v38, 0x7fffffff, v154, vcc_lo
	v_lshrrev_b32_e32 v38, s52, v38
	v_and_b32_e32 v162, s61, v38
	v_and_b32_e32 v38, 1, v162
	v_lshlrev_b32_e32 v159, 30, v162
	v_lshlrev_b32_e32 v161, 29, v162
	;; [unrolled: 1-line block ×4, first 2 shown]
	v_add_co_u32 v38, s23, v38, -1
	v_cndmask_b32_e64 v165, 0, 1, s23
	v_not_b32_e32 v171, v159
	v_cmp_gt_i32_e64 s23, 0, v159
	v_not_b32_e32 v159, v161
	v_lshlrev_b32_e32 v170, 26, v162
	v_cmp_ne_u32_e32 vcc_lo, 0, v165
	v_ashrrev_i32_e32 v171, 31, v171
	v_lshlrev_b32_e32 v165, 25, v162
	v_ashrrev_i32_e32 v159, 31, v159
	v_xor_b32_e32 v38, vcc_lo, v38
	v_cmp_gt_i32_e32 vcc_lo, 0, v161
	v_not_b32_e32 v161, v166
	v_xor_b32_e32 v171, s23, v171
	v_cmp_gt_i32_e64 s23, 0, v166
	v_and_b32_e32 v38, exec_lo, v38
	v_not_b32_e32 v166, v167
	v_ashrrev_i32_e32 v161, 31, v161
	v_xor_b32_e32 v159, vcc_lo, v159
	v_cmp_gt_i32_e32 vcc_lo, 0, v167
	v_and_b32_e32 v38, v38, v171
	v_not_b32_e32 v167, v170
	v_ashrrev_i32_e32 v166, 31, v166
	v_xor_b32_e32 v161, s23, v161
	v_cmp_gt_i32_e64 s23, 0, v170
	v_and_b32_e32 v38, v38, v159
	v_not_b32_e32 v159, v165
	v_ashrrev_i32_e32 v167, 31, v167
	v_xor_b32_e32 v166, vcc_lo, v166
	v_cmp_gt_i32_e32 vcc_lo, 0, v165
	v_and_b32_e32 v38, v38, v161
	v_ashrrev_i32_e32 v159, 31, v159
	v_xor_b32_e32 v161, s23, v167
	v_mad_u32_u24 v165, v162, 36, v127
	v_mul_u32_u24_e32 v162, 36, v162
	v_and_b32_e32 v38, v38, v166
	v_xor_b32_e32 v166, vcc_lo, v159
	ds_read_b32 v159, v165 offset:544
	v_add_nc_u32_e32 v162, v127, v162
	v_and_b32_e32 v38, v38, v161
	; wave barrier
	v_and_b32_e32 v38, v38, v166
	v_mbcnt_lo_u32_b32 v161, v38, 0
	v_cmp_ne_u32_e64 s23, 0, v38
	v_cmp_eq_u32_e32 vcc_lo, 0, v161
	s_and_b32 s24, s23, vcc_lo
	s_and_saveexec_b32 s23, s24
	s_cbranch_execz .LBB1355_148
; %bb.147:                              ;   in Loop: Header=BB1355_104 Depth=2
	s_waitcnt lgkmcnt(0)
	v_bcnt_u32_b32 v38, v38, v159
	ds_write_b32 v162, v38 offset:544
.LBB1355_148:                           ;   in Loop: Header=BB1355_104 Depth=2
	s_or_b32 exec_lo, exec_lo, s23
	v_cmp_gt_i32_e32 vcc_lo, 0, v158
	; wave barrier
	v_cndmask_b32_e64 v38, 0x7fffffff, 0, vcc_lo
	v_xor_b32_e32 v158, v38, v158
	v_cmp_ne_u32_e32 vcc_lo, 0x80000000, v158
	v_cndmask_b32_e32 v38, 0x7fffffff, v158, vcc_lo
	v_lshrrev_b32_e32 v38, s52, v38
	v_and_b32_e32 v167, s61, v38
	v_and_b32_e32 v38, 1, v167
	v_lshlrev_b32_e32 v165, 30, v167
	v_lshlrev_b32_e32 v166, 29, v167
	v_lshlrev_b32_e32 v171, 28, v167
	v_lshlrev_b32_e32 v173, 27, v167
	v_add_co_u32 v38, s23, v38, -1
	v_cndmask_b32_e64 v170, 0, 1, s23
	v_not_b32_e32 v176, v165
	v_cmp_gt_i32_e64 s23, 0, v165
	v_not_b32_e32 v165, v166
	v_lshlrev_b32_e32 v175, 26, v167
	v_cmp_ne_u32_e32 vcc_lo, 0, v170
	v_ashrrev_i32_e32 v176, 31, v176
	v_lshlrev_b32_e32 v170, 25, v167
	v_ashrrev_i32_e32 v165, 31, v165
	v_xor_b32_e32 v38, vcc_lo, v38
	v_cmp_gt_i32_e32 vcc_lo, 0, v166
	v_not_b32_e32 v166, v171
	v_xor_b32_e32 v176, s23, v176
	v_cmp_gt_i32_e64 s23, 0, v171
	v_and_b32_e32 v38, exec_lo, v38
	v_not_b32_e32 v171, v173
	v_ashrrev_i32_e32 v166, 31, v166
	v_xor_b32_e32 v165, vcc_lo, v165
	v_cmp_gt_i32_e32 vcc_lo, 0, v173
	v_and_b32_e32 v38, v38, v176
	v_not_b32_e32 v173, v175
	v_ashrrev_i32_e32 v171, 31, v171
	v_xor_b32_e32 v166, s23, v166
	v_cmp_gt_i32_e64 s23, 0, v175
	v_and_b32_e32 v38, v38, v165
	v_not_b32_e32 v165, v170
	v_ashrrev_i32_e32 v173, 31, v173
	v_xor_b32_e32 v171, vcc_lo, v171
	v_cmp_gt_i32_e32 vcc_lo, 0, v170
	v_and_b32_e32 v38, v38, v166
	v_ashrrev_i32_e32 v165, 31, v165
	v_xor_b32_e32 v166, s23, v173
	v_mad_u32_u24 v170, v167, 36, v127
	v_mul_u32_u24_e32 v167, 36, v167
	v_and_b32_e32 v38, v38, v171
	v_xor_b32_e32 v171, vcc_lo, v165
	ds_read_b32 v165, v170 offset:544
	v_add_nc_u32_e32 v167, v127, v167
	v_and_b32_e32 v38, v38, v166
	; wave barrier
	v_and_b32_e32 v38, v38, v171
	v_mbcnt_lo_u32_b32 v166, v38, 0
	v_cmp_ne_u32_e64 s23, 0, v38
	v_cmp_eq_u32_e32 vcc_lo, 0, v166
	s_and_b32 s24, s23, vcc_lo
	s_and_saveexec_b32 s23, s24
	s_cbranch_execz .LBB1355_150
; %bb.149:                              ;   in Loop: Header=BB1355_104 Depth=2
	s_waitcnt lgkmcnt(0)
	v_bcnt_u32_b32 v38, v38, v165
	ds_write_b32 v167, v38 offset:544
.LBB1355_150:                           ;   in Loop: Header=BB1355_104 Depth=2
	s_or_b32 exec_lo, exec_lo, s23
	v_cmp_gt_i32_e32 vcc_lo, 0, v164
	; wave barrier
	v_cndmask_b32_e64 v38, 0x7fffffff, 0, vcc_lo
	v_xor_b32_e32 v164, v38, v164
	v_cmp_ne_u32_e32 vcc_lo, 0x80000000, v164
	v_cndmask_b32_e32 v38, 0x7fffffff, v164, vcc_lo
	v_lshrrev_b32_e32 v38, s52, v38
	v_and_b32_e32 v173, s61, v38
	v_and_b32_e32 v38, 1, v173
	v_lshlrev_b32_e32 v170, 30, v173
	v_lshlrev_b32_e32 v171, 29, v173
	;; [unrolled: 1-line block ×4, first 2 shown]
	v_add_co_u32 v38, s23, v38, -1
	v_cndmask_b32_e64 v175, 0, 1, s23
	v_not_b32_e32 v180, v170
	v_cmp_gt_i32_e64 s23, 0, v170
	v_not_b32_e32 v170, v171
	v_lshlrev_b32_e32 v179, 26, v173
	v_cmp_ne_u32_e32 vcc_lo, 0, v175
	v_ashrrev_i32_e32 v180, 31, v180
	v_lshlrev_b32_e32 v175, 25, v173
	v_ashrrev_i32_e32 v170, 31, v170
	v_xor_b32_e32 v38, vcc_lo, v38
	v_cmp_gt_i32_e32 vcc_lo, 0, v171
	v_not_b32_e32 v171, v176
	v_xor_b32_e32 v180, s23, v180
	v_cmp_gt_i32_e64 s23, 0, v176
	v_and_b32_e32 v38, exec_lo, v38
	v_not_b32_e32 v176, v178
	v_ashrrev_i32_e32 v171, 31, v171
	v_xor_b32_e32 v170, vcc_lo, v170
	v_cmp_gt_i32_e32 vcc_lo, 0, v178
	v_and_b32_e32 v38, v38, v180
	v_not_b32_e32 v178, v179
	v_ashrrev_i32_e32 v176, 31, v176
	v_xor_b32_e32 v171, s23, v171
	v_cmp_gt_i32_e64 s23, 0, v179
	v_and_b32_e32 v38, v38, v170
	v_not_b32_e32 v170, v175
	v_ashrrev_i32_e32 v178, 31, v178
	v_xor_b32_e32 v176, vcc_lo, v176
	v_cmp_gt_i32_e32 vcc_lo, 0, v175
	v_and_b32_e32 v38, v38, v171
	v_ashrrev_i32_e32 v170, 31, v170
	v_xor_b32_e32 v171, s23, v178
	v_mad_u32_u24 v175, v173, 36, v127
	v_mul_u32_u24_e32 v173, 36, v173
	v_and_b32_e32 v38, v38, v176
	v_xor_b32_e32 v176, vcc_lo, v170
	ds_read_b32 v170, v175 offset:544
	v_add_nc_u32_e32 v173, v127, v173
	v_and_b32_e32 v38, v38, v171
	; wave barrier
	v_and_b32_e32 v38, v38, v176
	v_mbcnt_lo_u32_b32 v171, v38, 0
	v_cmp_ne_u32_e64 s23, 0, v38
	v_cmp_eq_u32_e32 vcc_lo, 0, v171
	s_and_b32 s24, s23, vcc_lo
	s_and_saveexec_b32 s23, s24
	s_cbranch_execz .LBB1355_152
; %bb.151:                              ;   in Loop: Header=BB1355_104 Depth=2
	s_waitcnt lgkmcnt(0)
	v_bcnt_u32_b32 v38, v38, v170
	ds_write_b32 v173, v38 offset:544
.LBB1355_152:                           ;   in Loop: Header=BB1355_104 Depth=2
	s_or_b32 exec_lo, exec_lo, s23
	v_cmp_gt_i32_e32 vcc_lo, 0, v169
	; wave barrier
	v_cndmask_b32_e64 v38, 0x7fffffff, 0, vcc_lo
	v_xor_b32_e32 v169, v38, v169
	v_cmp_ne_u32_e32 vcc_lo, 0x80000000, v169
	v_cndmask_b32_e32 v38, 0x7fffffff, v169, vcc_lo
	v_lshrrev_b32_e32 v38, s52, v38
	v_and_b32_e32 v178, s61, v38
	v_and_b32_e32 v38, 1, v178
	v_lshlrev_b32_e32 v175, 30, v178
	v_lshlrev_b32_e32 v176, 29, v178
	;; [unrolled: 1-line block ×4, first 2 shown]
	v_add_co_u32 v38, s23, v38, -1
	v_cndmask_b32_e64 v179, 0, 1, s23
	v_not_b32_e32 v183, v175
	v_cmp_gt_i32_e64 s23, 0, v175
	v_not_b32_e32 v175, v176
	v_lshlrev_b32_e32 v182, 26, v178
	v_cmp_ne_u32_e32 vcc_lo, 0, v179
	v_ashrrev_i32_e32 v183, 31, v183
	v_lshlrev_b32_e32 v179, 25, v178
	v_ashrrev_i32_e32 v175, 31, v175
	v_xor_b32_e32 v38, vcc_lo, v38
	v_cmp_gt_i32_e32 vcc_lo, 0, v176
	v_not_b32_e32 v176, v180
	v_xor_b32_e32 v183, s23, v183
	v_cmp_gt_i32_e64 s23, 0, v180
	v_and_b32_e32 v38, exec_lo, v38
	v_not_b32_e32 v180, v181
	v_ashrrev_i32_e32 v176, 31, v176
	v_xor_b32_e32 v175, vcc_lo, v175
	v_cmp_gt_i32_e32 vcc_lo, 0, v181
	v_and_b32_e32 v38, v38, v183
	v_not_b32_e32 v181, v182
	v_ashrrev_i32_e32 v180, 31, v180
	v_xor_b32_e32 v176, s23, v176
	v_cmp_gt_i32_e64 s23, 0, v182
	v_and_b32_e32 v38, v38, v175
	v_not_b32_e32 v175, v179
	v_ashrrev_i32_e32 v181, 31, v181
	v_xor_b32_e32 v180, vcc_lo, v180
	v_cmp_gt_i32_e32 vcc_lo, 0, v179
	v_and_b32_e32 v38, v38, v176
	v_ashrrev_i32_e32 v175, 31, v175
	v_xor_b32_e32 v176, s23, v181
	v_mad_u32_u24 v179, v178, 36, v127
	v_mul_u32_u24_e32 v178, 36, v178
	v_and_b32_e32 v38, v38, v180
	v_xor_b32_e32 v180, vcc_lo, v175
	ds_read_b32 v175, v179 offset:544
	v_add_nc_u32_e32 v178, v127, v178
	v_and_b32_e32 v38, v38, v176
	; wave barrier
	v_and_b32_e32 v38, v38, v180
	v_mbcnt_lo_u32_b32 v176, v38, 0
	v_cmp_ne_u32_e64 s23, 0, v38
	v_cmp_eq_u32_e32 vcc_lo, 0, v176
	s_and_b32 s24, s23, vcc_lo
	s_and_saveexec_b32 s23, s24
	s_cbranch_execz .LBB1355_154
; %bb.153:                              ;   in Loop: Header=BB1355_104 Depth=2
	s_waitcnt lgkmcnt(0)
	v_bcnt_u32_b32 v38, v38, v175
	ds_write_b32 v178, v38 offset:544
.LBB1355_154:                           ;   in Loop: Header=BB1355_104 Depth=2
	s_or_b32 exec_lo, exec_lo, s23
	v_cmp_gt_i32_e32 vcc_lo, 0, v174
	; wave barrier
	v_cndmask_b32_e64 v38, 0x7fffffff, 0, vcc_lo
	v_xor_b32_e32 v174, v38, v174
	v_cmp_ne_u32_e32 vcc_lo, 0x80000000, v174
	v_cndmask_b32_e32 v38, 0x7fffffff, v174, vcc_lo
	v_lshrrev_b32_e32 v38, s52, v38
	v_and_b32_e32 v181, s61, v38
	v_and_b32_e32 v38, 1, v181
	v_lshlrev_b32_e32 v179, 30, v181
	v_lshlrev_b32_e32 v180, 29, v181
	;; [unrolled: 1-line block ×4, first 2 shown]
	v_add_co_u32 v38, s23, v38, -1
	v_cndmask_b32_e64 v182, 0, 1, s23
	v_not_b32_e32 v186, v179
	v_cmp_gt_i32_e64 s23, 0, v179
	v_not_b32_e32 v179, v180
	v_lshlrev_b32_e32 v185, 26, v181
	v_cmp_ne_u32_e32 vcc_lo, 0, v182
	v_ashrrev_i32_e32 v186, 31, v186
	v_lshlrev_b32_e32 v182, 25, v181
	v_ashrrev_i32_e32 v179, 31, v179
	v_xor_b32_e32 v38, vcc_lo, v38
	v_cmp_gt_i32_e32 vcc_lo, 0, v180
	v_not_b32_e32 v180, v183
	v_xor_b32_e32 v186, s23, v186
	v_cmp_gt_i32_e64 s23, 0, v183
	v_and_b32_e32 v38, exec_lo, v38
	v_not_b32_e32 v183, v184
	v_ashrrev_i32_e32 v180, 31, v180
	v_xor_b32_e32 v179, vcc_lo, v179
	v_cmp_gt_i32_e32 vcc_lo, 0, v184
	v_and_b32_e32 v38, v38, v186
	v_not_b32_e32 v184, v185
	v_ashrrev_i32_e32 v183, 31, v183
	v_xor_b32_e32 v180, s23, v180
	v_cmp_gt_i32_e64 s23, 0, v185
	v_and_b32_e32 v38, v38, v179
	v_not_b32_e32 v179, v182
	v_ashrrev_i32_e32 v184, 31, v184
	v_xor_b32_e32 v183, vcc_lo, v183
	v_cmp_gt_i32_e32 vcc_lo, 0, v182
	v_and_b32_e32 v38, v38, v180
	v_ashrrev_i32_e32 v179, 31, v179
	v_xor_b32_e32 v180, s23, v184
	v_mad_u32_u24 v182, v181, 36, v127
	v_mul_u32_u24_e32 v181, 36, v181
	v_and_b32_e32 v38, v38, v183
	v_xor_b32_e32 v183, vcc_lo, v179
	ds_read_b32 v179, v182 offset:544
	v_add_nc_u32_e32 v181, v127, v181
	v_and_b32_e32 v38, v38, v180
	; wave barrier
	v_and_b32_e32 v38, v38, v183
	v_mbcnt_lo_u32_b32 v180, v38, 0
	v_cmp_ne_u32_e64 s23, 0, v38
	v_cmp_eq_u32_e32 vcc_lo, 0, v180
	s_and_b32 s24, s23, vcc_lo
	s_and_saveexec_b32 s23, s24
	s_cbranch_execz .LBB1355_156
; %bb.155:                              ;   in Loop: Header=BB1355_104 Depth=2
	s_waitcnt lgkmcnt(0)
	v_bcnt_u32_b32 v38, v38, v179
	ds_write_b32 v181, v38 offset:544
.LBB1355_156:                           ;   in Loop: Header=BB1355_104 Depth=2
	s_or_b32 exec_lo, exec_lo, s23
	v_cmp_gt_i32_e32 vcc_lo, 0, v177
	; wave barrier
	v_cndmask_b32_e64 v38, 0x7fffffff, 0, vcc_lo
	v_xor_b32_e32 v177, v38, v177
	v_cmp_ne_u32_e32 vcc_lo, 0x80000000, v177
	v_cndmask_b32_e32 v38, 0x7fffffff, v177, vcc_lo
	v_lshrrev_b32_e32 v38, s52, v38
	v_and_b32_e32 v184, s61, v38
	v_and_b32_e32 v38, 1, v184
	v_lshlrev_b32_e32 v182, 30, v184
	v_lshlrev_b32_e32 v183, 29, v184
	;; [unrolled: 1-line block ×4, first 2 shown]
	v_add_co_u32 v38, s23, v38, -1
	v_cndmask_b32_e64 v185, 0, 1, s23
	v_not_b32_e32 v189, v182
	v_cmp_gt_i32_e64 s23, 0, v182
	v_not_b32_e32 v182, v183
	v_lshlrev_b32_e32 v188, 26, v184
	v_cmp_ne_u32_e32 vcc_lo, 0, v185
	v_ashrrev_i32_e32 v189, 31, v189
	v_lshlrev_b32_e32 v185, 25, v184
	v_ashrrev_i32_e32 v182, 31, v182
	v_xor_b32_e32 v38, vcc_lo, v38
	v_cmp_gt_i32_e32 vcc_lo, 0, v183
	v_not_b32_e32 v183, v186
	v_xor_b32_e32 v189, s23, v189
	v_cmp_gt_i32_e64 s23, 0, v186
	v_and_b32_e32 v38, exec_lo, v38
	v_not_b32_e32 v186, v187
	v_ashrrev_i32_e32 v183, 31, v183
	v_xor_b32_e32 v182, vcc_lo, v182
	v_cmp_gt_i32_e32 vcc_lo, 0, v187
	v_and_b32_e32 v38, v38, v189
	v_not_b32_e32 v187, v188
	v_ashrrev_i32_e32 v186, 31, v186
	v_xor_b32_e32 v183, s23, v183
	v_cmp_gt_i32_e64 s23, 0, v188
	v_and_b32_e32 v38, v38, v182
	v_not_b32_e32 v182, v185
	v_ashrrev_i32_e32 v187, 31, v187
	v_xor_b32_e32 v186, vcc_lo, v186
	v_cmp_gt_i32_e32 vcc_lo, 0, v185
	v_and_b32_e32 v38, v38, v183
	v_ashrrev_i32_e32 v182, 31, v182
	v_xor_b32_e32 v183, s23, v187
	v_mad_u32_u24 v185, v184, 36, v127
	v_mul_u32_u24_e32 v184, 36, v184
	v_and_b32_e32 v38, v38, v186
	v_xor_b32_e32 v186, vcc_lo, v182
	ds_read_b32 v182, v185 offset:544
	v_add_nc_u32_e32 v184, v127, v184
	v_and_b32_e32 v38, v38, v183
	; wave barrier
	v_and_b32_e32 v38, v38, v186
	v_mbcnt_lo_u32_b32 v183, v38, 0
	v_cmp_ne_u32_e64 s23, 0, v38
	v_cmp_eq_u32_e32 vcc_lo, 0, v183
	s_and_b32 s24, s23, vcc_lo
	s_and_saveexec_b32 s23, s24
	s_cbranch_execz .LBB1355_158
; %bb.157:                              ;   in Loop: Header=BB1355_104 Depth=2
	s_waitcnt lgkmcnt(0)
	v_bcnt_u32_b32 v38, v38, v182
	ds_write_b32 v184, v38 offset:544
.LBB1355_158:                           ;   in Loop: Header=BB1355_104 Depth=2
	s_or_b32 exec_lo, exec_lo, s23
	v_cmp_gt_i32_e32 vcc_lo, 0, v172
	; wave barrier
	v_cndmask_b32_e64 v38, 0x7fffffff, 0, vcc_lo
	v_xor_b32_e32 v172, v38, v172
	v_cmp_ne_u32_e32 vcc_lo, 0x80000000, v172
	v_cndmask_b32_e32 v38, 0x7fffffff, v172, vcc_lo
	v_lshrrev_b32_e32 v38, s52, v38
	v_and_b32_e32 v187, s61, v38
	v_and_b32_e32 v38, 1, v187
	v_lshlrev_b32_e32 v185, 30, v187
	v_lshlrev_b32_e32 v186, 29, v187
	;; [unrolled: 1-line block ×4, first 2 shown]
	v_add_co_u32 v38, s23, v38, -1
	v_cndmask_b32_e64 v188, 0, 1, s23
	v_not_b32_e32 v192, v185
	v_cmp_gt_i32_e64 s23, 0, v185
	v_not_b32_e32 v185, v186
	v_lshlrev_b32_e32 v191, 26, v187
	v_cmp_ne_u32_e32 vcc_lo, 0, v188
	v_ashrrev_i32_e32 v192, 31, v192
	v_lshlrev_b32_e32 v188, 25, v187
	v_ashrrev_i32_e32 v185, 31, v185
	v_xor_b32_e32 v38, vcc_lo, v38
	v_cmp_gt_i32_e32 vcc_lo, 0, v186
	v_not_b32_e32 v186, v189
	v_xor_b32_e32 v192, s23, v192
	v_cmp_gt_i32_e64 s23, 0, v189
	v_and_b32_e32 v38, exec_lo, v38
	v_not_b32_e32 v189, v190
	v_ashrrev_i32_e32 v186, 31, v186
	v_xor_b32_e32 v185, vcc_lo, v185
	v_cmp_gt_i32_e32 vcc_lo, 0, v190
	v_and_b32_e32 v38, v38, v192
	v_not_b32_e32 v190, v191
	v_ashrrev_i32_e32 v189, 31, v189
	v_xor_b32_e32 v186, s23, v186
	v_cmp_gt_i32_e64 s23, 0, v191
	v_and_b32_e32 v38, v38, v185
	v_not_b32_e32 v185, v188
	v_ashrrev_i32_e32 v190, 31, v190
	v_xor_b32_e32 v189, vcc_lo, v189
	v_cmp_gt_i32_e32 vcc_lo, 0, v188
	v_and_b32_e32 v38, v38, v186
	v_ashrrev_i32_e32 v185, 31, v185
	v_xor_b32_e32 v186, s23, v190
	v_mad_u32_u24 v188, v187, 36, v127
	v_mul_u32_u24_e32 v187, 36, v187
	v_and_b32_e32 v38, v38, v189
	v_xor_b32_e32 v189, vcc_lo, v185
	ds_read_b32 v185, v188 offset:544
	v_add_nc_u32_e32 v187, v127, v187
	v_and_b32_e32 v38, v38, v186
	; wave barrier
	v_and_b32_e32 v38, v38, v189
	v_mbcnt_lo_u32_b32 v186, v38, 0
	v_cmp_ne_u32_e64 s23, 0, v38
	v_cmp_eq_u32_e32 vcc_lo, 0, v186
	s_and_b32 s24, s23, vcc_lo
	s_and_saveexec_b32 s23, s24
	s_cbranch_execz .LBB1355_160
; %bb.159:                              ;   in Loop: Header=BB1355_104 Depth=2
	s_waitcnt lgkmcnt(0)
	v_bcnt_u32_b32 v38, v38, v185
	ds_write_b32 v187, v38 offset:544
.LBB1355_160:                           ;   in Loop: Header=BB1355_104 Depth=2
	s_or_b32 exec_lo, exec_lo, s23
	v_cmp_gt_i32_e32 vcc_lo, 0, v168
	; wave barrier
	v_cndmask_b32_e64 v38, 0x7fffffff, 0, vcc_lo
	v_xor_b32_e32 v168, v38, v168
	v_cmp_ne_u32_e32 vcc_lo, 0x80000000, v168
	v_cndmask_b32_e32 v38, 0x7fffffff, v168, vcc_lo
	v_lshrrev_b32_e32 v38, s52, v38
	v_and_b32_e32 v188, s61, v38
	v_and_b32_e32 v38, 1, v188
	v_lshlrev_b32_e32 v189, 30, v188
	v_lshlrev_b32_e32 v190, 29, v188
	;; [unrolled: 1-line block ×4, first 2 shown]
	v_add_co_u32 v38, s23, v38, -1
	v_cndmask_b32_e64 v191, 0, 1, s23
	v_not_b32_e32 v195, v189
	v_cmp_gt_i32_e64 s23, 0, v189
	v_not_b32_e32 v189, v190
	v_lshlrev_b32_e32 v194, 26, v188
	v_cmp_ne_u32_e32 vcc_lo, 0, v191
	v_ashrrev_i32_e32 v195, 31, v195
	v_lshlrev_b32_e32 v191, 25, v188
	v_ashrrev_i32_e32 v189, 31, v189
	v_xor_b32_e32 v38, vcc_lo, v38
	v_cmp_gt_i32_e32 vcc_lo, 0, v190
	v_not_b32_e32 v190, v192
	v_xor_b32_e32 v195, s23, v195
	v_cmp_gt_i32_e64 s23, 0, v192
	v_and_b32_e32 v38, exec_lo, v38
	v_not_b32_e32 v192, v193
	v_ashrrev_i32_e32 v190, 31, v190
	v_xor_b32_e32 v189, vcc_lo, v189
	v_cmp_gt_i32_e32 vcc_lo, 0, v193
	v_and_b32_e32 v38, v38, v195
	v_not_b32_e32 v193, v194
	v_ashrrev_i32_e32 v192, 31, v192
	v_xor_b32_e32 v190, s23, v190
	v_cmp_gt_i32_e64 s23, 0, v194
	v_and_b32_e32 v38, v38, v189
	v_not_b32_e32 v189, v191
	v_ashrrev_i32_e32 v193, 31, v193
	v_xor_b32_e32 v192, vcc_lo, v192
	v_cmp_gt_i32_e32 vcc_lo, 0, v191
	v_and_b32_e32 v38, v38, v190
	v_ashrrev_i32_e32 v189, 31, v189
	v_xor_b32_e32 v190, s23, v193
	v_mad_u32_u24 v191, v188, 36, v127
	v_mul_u32_u24_e32 v188, 36, v188
	v_and_b32_e32 v38, v38, v192
	v_xor_b32_e32 v192, vcc_lo, v189
	ds_read_b32 v189, v191 offset:544
	v_add_nc_u32_e32 v191, v127, v188
	v_and_b32_e32 v38, v38, v190
	; wave barrier
	v_and_b32_e32 v38, v38, v192
	v_mbcnt_lo_u32_b32 v190, v38, 0
	v_cmp_ne_u32_e64 s23, 0, v38
	v_cmp_eq_u32_e32 vcc_lo, 0, v190
	s_and_b32 s24, s23, vcc_lo
	s_and_saveexec_b32 s23, s24
	s_cbranch_execz .LBB1355_162
; %bb.161:                              ;   in Loop: Header=BB1355_104 Depth=2
	s_waitcnt lgkmcnt(0)
	v_bcnt_u32_b32 v38, v38, v189
	ds_write_b32 v191, v38 offset:544
.LBB1355_162:                           ;   in Loop: Header=BB1355_104 Depth=2
	s_or_b32 exec_lo, exec_lo, s23
	v_cmp_gt_i32_e32 vcc_lo, 0, v163
	; wave barrier
	v_cndmask_b32_e64 v38, 0x7fffffff, 0, vcc_lo
	v_xor_b32_e32 v188, v38, v163
	v_cmp_ne_u32_e32 vcc_lo, 0x80000000, v188
	v_cndmask_b32_e32 v38, 0x7fffffff, v188, vcc_lo
	v_lshrrev_b32_e32 v38, s52, v38
	v_and_b32_e32 v163, s61, v38
	v_and_b32_e32 v38, 1, v163
	v_lshlrev_b32_e32 v192, 30, v163
	v_lshlrev_b32_e32 v193, 29, v163
	v_lshlrev_b32_e32 v195, 28, v163
	v_lshlrev_b32_e32 v196, 27, v163
	v_add_co_u32 v38, s23, v38, -1
	v_cndmask_b32_e64 v194, 0, 1, s23
	v_not_b32_e32 v198, v192
	v_cmp_gt_i32_e64 s23, 0, v192
	v_not_b32_e32 v192, v193
	v_lshlrev_b32_e32 v197, 26, v163
	v_cmp_ne_u32_e32 vcc_lo, 0, v194
	v_ashrrev_i32_e32 v198, 31, v198
	v_lshlrev_b32_e32 v194, 25, v163
	v_ashrrev_i32_e32 v192, 31, v192
	v_xor_b32_e32 v38, vcc_lo, v38
	v_cmp_gt_i32_e32 vcc_lo, 0, v193
	v_not_b32_e32 v193, v195
	v_xor_b32_e32 v198, s23, v198
	v_cmp_gt_i32_e64 s23, 0, v195
	v_and_b32_e32 v38, exec_lo, v38
	v_not_b32_e32 v195, v196
	v_ashrrev_i32_e32 v193, 31, v193
	v_xor_b32_e32 v192, vcc_lo, v192
	v_cmp_gt_i32_e32 vcc_lo, 0, v196
	v_and_b32_e32 v38, v38, v198
	v_not_b32_e32 v196, v197
	v_ashrrev_i32_e32 v195, 31, v195
	v_xor_b32_e32 v193, s23, v193
	v_cmp_gt_i32_e64 s23, 0, v197
	v_and_b32_e32 v38, v38, v192
	v_not_b32_e32 v192, v194
	v_ashrrev_i32_e32 v196, 31, v196
	v_xor_b32_e32 v195, vcc_lo, v195
	v_cmp_gt_i32_e32 vcc_lo, 0, v194
	v_and_b32_e32 v38, v38, v193
	v_ashrrev_i32_e32 v192, 31, v192
	v_xor_b32_e32 v193, s23, v196
	v_mad_u32_u24 v194, v163, 36, v127
	v_mul_u32_u24_e32 v163, 36, v163
	v_and_b32_e32 v38, v38, v195
	v_xor_b32_e32 v192, vcc_lo, v192
	v_add_nc_u32_e32 v163, v127, v163
	v_and_b32_e32 v38, v38, v193
	ds_read_b32 v193, v194 offset:544
	; wave barrier
	v_and_b32_e32 v38, v38, v192
	v_mbcnt_lo_u32_b32 v194, v38, 0
	v_cmp_ne_u32_e64 s23, 0, v38
	v_cmp_eq_u32_e32 vcc_lo, 0, v194
	s_and_b32 s24, s23, vcc_lo
	s_and_saveexec_b32 s23, s24
	s_cbranch_execz .LBB1355_164
; %bb.163:                              ;   in Loop: Header=BB1355_104 Depth=2
	s_waitcnt lgkmcnt(0)
	v_bcnt_u32_b32 v38, v38, v193
	ds_write_b32 v163, v38 offset:544
.LBB1355_164:                           ;   in Loop: Header=BB1355_104 Depth=2
	s_or_b32 exec_lo, exec_lo, s23
	v_cmp_gt_i32_e32 vcc_lo, 0, v160
	; wave barrier
	v_cndmask_b32_e64 v38, 0x7fffffff, 0, vcc_lo
	v_xor_b32_e32 v192, v38, v160
	v_cmp_ne_u32_e32 vcc_lo, 0x80000000, v192
	v_cndmask_b32_e32 v38, 0x7fffffff, v192, vcc_lo
	v_lshrrev_b32_e32 v38, s52, v38
	v_and_b32_e32 v160, s61, v38
	v_and_b32_e32 v38, 1, v160
	v_lshlrev_b32_e32 v195, 30, v160
	v_lshlrev_b32_e32 v196, 29, v160
	;; [unrolled: 1-line block ×4, first 2 shown]
	v_add_co_u32 v38, s23, v38, -1
	v_cndmask_b32_e64 v197, 0, 1, s23
	v_not_b32_e32 v201, v195
	v_cmp_gt_i32_e64 s23, 0, v195
	v_not_b32_e32 v195, v196
	v_lshlrev_b32_e32 v200, 26, v160
	v_cmp_ne_u32_e32 vcc_lo, 0, v197
	v_ashrrev_i32_e32 v201, 31, v201
	v_lshlrev_b32_e32 v197, 25, v160
	v_ashrrev_i32_e32 v195, 31, v195
	v_xor_b32_e32 v38, vcc_lo, v38
	v_cmp_gt_i32_e32 vcc_lo, 0, v196
	v_not_b32_e32 v196, v198
	v_xor_b32_e32 v201, s23, v201
	v_cmp_gt_i32_e64 s23, 0, v198
	v_and_b32_e32 v38, exec_lo, v38
	v_not_b32_e32 v198, v199
	v_ashrrev_i32_e32 v196, 31, v196
	v_xor_b32_e32 v195, vcc_lo, v195
	v_cmp_gt_i32_e32 vcc_lo, 0, v199
	v_and_b32_e32 v38, v38, v201
	v_not_b32_e32 v199, v200
	v_ashrrev_i32_e32 v198, 31, v198
	v_xor_b32_e32 v196, s23, v196
	v_cmp_gt_i32_e64 s23, 0, v200
	v_and_b32_e32 v38, v38, v195
	v_not_b32_e32 v195, v197
	v_ashrrev_i32_e32 v199, 31, v199
	v_xor_b32_e32 v198, vcc_lo, v198
	v_cmp_gt_i32_e32 vcc_lo, 0, v197
	v_and_b32_e32 v38, v38, v196
	v_ashrrev_i32_e32 v195, 31, v195
	v_xor_b32_e32 v196, s23, v199
	v_mad_u32_u24 v197, v160, 36, v127
	v_mul_u32_u24_e32 v160, 36, v160
	v_and_b32_e32 v38, v38, v198
	v_xor_b32_e32 v195, vcc_lo, v195
	v_add_nc_u32_e32 v160, v127, v160
	v_and_b32_e32 v38, v38, v196
	ds_read_b32 v196, v197 offset:544
	; wave barrier
	v_and_b32_e32 v38, v38, v195
	v_mbcnt_lo_u32_b32 v197, v38, 0
	v_cmp_ne_u32_e64 s23, 0, v38
	v_cmp_eq_u32_e32 vcc_lo, 0, v197
	s_and_b32 s24, s23, vcc_lo
	s_and_saveexec_b32 s23, s24
	s_cbranch_execz .LBB1355_166
; %bb.165:                              ;   in Loop: Header=BB1355_104 Depth=2
	s_waitcnt lgkmcnt(0)
	v_bcnt_u32_b32 v38, v38, v196
	ds_write_b32 v160, v38 offset:544
.LBB1355_166:                           ;   in Loop: Header=BB1355_104 Depth=2
	s_or_b32 exec_lo, exec_lo, s23
	v_cmp_gt_i32_e32 vcc_lo, 0, v40
	; wave barrier
	v_cndmask_b32_e64 v38, 0x7fffffff, 0, vcc_lo
	v_xor_b32_e32 v195, v38, v40
	v_cmp_ne_u32_e32 vcc_lo, 0x80000000, v195
	v_cndmask_b32_e32 v38, 0x7fffffff, v195, vcc_lo
	v_lshrrev_b32_e32 v38, s52, v38
	v_and_b32_e32 v40, s61, v38
	v_and_b32_e32 v38, 1, v40
	v_lshlrev_b32_e32 v198, 30, v40
	v_lshlrev_b32_e32 v199, 29, v40
	;; [unrolled: 1-line block ×4, first 2 shown]
	v_add_co_u32 v38, s23, v38, -1
	v_cndmask_b32_e64 v200, 0, 1, s23
	v_not_b32_e32 v204, v198
	v_cmp_gt_i32_e64 s23, 0, v198
	v_not_b32_e32 v198, v199
	v_lshlrev_b32_e32 v203, 26, v40
	v_cmp_ne_u32_e32 vcc_lo, 0, v200
	v_ashrrev_i32_e32 v204, 31, v204
	v_lshlrev_b32_e32 v200, 25, v40
	v_ashrrev_i32_e32 v198, 31, v198
	v_xor_b32_e32 v38, vcc_lo, v38
	v_cmp_gt_i32_e32 vcc_lo, 0, v199
	v_not_b32_e32 v199, v201
	v_xor_b32_e32 v204, s23, v204
	v_cmp_gt_i32_e64 s23, 0, v201
	v_and_b32_e32 v38, exec_lo, v38
	v_not_b32_e32 v201, v202
	v_ashrrev_i32_e32 v199, 31, v199
	v_xor_b32_e32 v198, vcc_lo, v198
	v_cmp_gt_i32_e32 vcc_lo, 0, v202
	v_and_b32_e32 v38, v38, v204
	v_not_b32_e32 v202, v203
	v_ashrrev_i32_e32 v201, 31, v201
	v_xor_b32_e32 v199, s23, v199
	v_cmp_gt_i32_e64 s23, 0, v203
	v_and_b32_e32 v38, v38, v198
	v_not_b32_e32 v198, v200
	v_ashrrev_i32_e32 v202, 31, v202
	v_xor_b32_e32 v201, vcc_lo, v201
	v_cmp_gt_i32_e32 vcc_lo, 0, v200
	v_and_b32_e32 v38, v38, v199
	v_ashrrev_i32_e32 v198, 31, v198
	v_xor_b32_e32 v199, s23, v202
	v_mad_u32_u24 v200, v40, 36, v127
	v_mul_u32_u24_e32 v40, 36, v40
	v_and_b32_e32 v38, v38, v201
	v_xor_b32_e32 v198, vcc_lo, v198
	v_add_nc_u32_e32 v201, v127, v40
	v_and_b32_e32 v38, v38, v199
	ds_read_b32 v199, v200 offset:544
	; wave barrier
	v_and_b32_e32 v38, v38, v198
	v_mbcnt_lo_u32_b32 v200, v38, 0
	v_cmp_ne_u32_e64 s23, 0, v38
	v_cmp_eq_u32_e32 vcc_lo, 0, v200
	s_and_b32 s24, s23, vcc_lo
	s_and_saveexec_b32 s23, s24
	s_cbranch_execz .LBB1355_168
; %bb.167:                              ;   in Loop: Header=BB1355_104 Depth=2
	s_waitcnt lgkmcnt(0)
	v_bcnt_u32_b32 v38, v38, v199
	ds_write_b32 v201, v38 offset:544
.LBB1355_168:                           ;   in Loop: Header=BB1355_104 Depth=2
	s_or_b32 exec_lo, exec_lo, s23
	v_cmp_gt_i32_e32 vcc_lo, 0, v39
	; wave barrier
	v_cndmask_b32_e64 v38, 0x7fffffff, 0, vcc_lo
	v_xor_b32_e32 v198, v38, v39
	v_cmp_ne_u32_e32 vcc_lo, 0x80000000, v198
	v_cndmask_b32_e32 v38, 0x7fffffff, v198, vcc_lo
	v_lshrrev_b32_e32 v38, s52, v38
	v_and_b32_e32 v39, s61, v38
	v_and_b32_e32 v38, 1, v39
	v_lshlrev_b32_e32 v40, 30, v39
	v_lshlrev_b32_e32 v202, 29, v39
	;; [unrolled: 1-line block ×4, first 2 shown]
	v_add_co_u32 v38, s23, v38, -1
	v_cndmask_b32_e64 v203, 0, 1, s23
	v_not_b32_e32 v207, v40
	v_cmp_gt_i32_e64 s23, 0, v40
	v_not_b32_e32 v40, v202
	v_lshlrev_b32_e32 v206, 26, v39
	v_cmp_ne_u32_e32 vcc_lo, 0, v203
	v_ashrrev_i32_e32 v207, 31, v207
	v_lshlrev_b32_e32 v203, 25, v39
	v_ashrrev_i32_e32 v40, 31, v40
	v_xor_b32_e32 v38, vcc_lo, v38
	v_cmp_gt_i32_e32 vcc_lo, 0, v202
	v_not_b32_e32 v202, v204
	v_xor_b32_e32 v207, s23, v207
	v_cmp_gt_i32_e64 s23, 0, v204
	v_and_b32_e32 v38, exec_lo, v38
	v_not_b32_e32 v204, v205
	v_ashrrev_i32_e32 v202, 31, v202
	v_xor_b32_e32 v40, vcc_lo, v40
	v_cmp_gt_i32_e32 vcc_lo, 0, v205
	v_and_b32_e32 v38, v38, v207
	v_not_b32_e32 v205, v206
	v_ashrrev_i32_e32 v204, 31, v204
	v_xor_b32_e32 v202, s23, v202
	v_cmp_gt_i32_e64 s23, 0, v206
	v_and_b32_e32 v38, v38, v40
	v_not_b32_e32 v40, v203
	v_ashrrev_i32_e32 v205, 31, v205
	v_xor_b32_e32 v204, vcc_lo, v204
	v_cmp_gt_i32_e32 vcc_lo, 0, v203
	v_and_b32_e32 v38, v38, v202
	v_ashrrev_i32_e32 v40, 31, v40
	v_xor_b32_e32 v202, s23, v205
	v_mad_u32_u24 v203, v39, 36, v127
	v_mul_u32_u24_e32 v39, 36, v39
	v_and_b32_e32 v38, v38, v204
	v_xor_b32_e32 v40, vcc_lo, v40
	ds_read_b32 v203, v203 offset:544
	v_add_nc_u32_e32 v205, v127, v39
	v_and_b32_e32 v38, v38, v202
	; wave barrier
	v_and_b32_e32 v38, v38, v40
	v_mbcnt_lo_u32_b32 v204, v38, 0
	v_cmp_ne_u32_e64 s23, 0, v38
	v_cmp_eq_u32_e32 vcc_lo, 0, v204
	s_and_b32 s24, s23, vcc_lo
	s_and_saveexec_b32 s23, s24
	s_cbranch_execz .LBB1355_170
; %bb.169:                              ;   in Loop: Header=BB1355_104 Depth=2
	s_waitcnt lgkmcnt(0)
	v_bcnt_u32_b32 v38, v38, v203
	ds_write_b32 v205, v38 offset:544
.LBB1355_170:                           ;   in Loop: Header=BB1355_104 Depth=2
	s_or_b32 exec_lo, exec_lo, s23
	v_cmp_gt_i32_e32 vcc_lo, 0, v37
	; wave barrier
	v_cndmask_b32_e64 v38, 0x7fffffff, 0, vcc_lo
	v_xor_b32_e32 v202, v38, v37
	v_cmp_ne_u32_e32 vcc_lo, 0x80000000, v202
	v_cndmask_b32_e32 v37, 0x7fffffff, v202, vcc_lo
	v_lshrrev_b32_e32 v37, s52, v37
	v_and_b32_e32 v38, s61, v37
	v_and_b32_e32 v37, 1, v38
	v_lshlrev_b32_e32 v39, 30, v38
	v_lshlrev_b32_e32 v40, 29, v38
	;; [unrolled: 1-line block ×4, first 2 shown]
	v_add_co_u32 v37, s23, v37, -1
	v_cndmask_b32_e64 v206, 0, 1, s23
	v_not_b32_e32 v210, v39
	v_cmp_gt_i32_e64 s23, 0, v39
	v_not_b32_e32 v39, v40
	v_lshlrev_b32_e32 v209, 26, v38
	v_cmp_ne_u32_e32 vcc_lo, 0, v206
	v_ashrrev_i32_e32 v210, 31, v210
	v_lshlrev_b32_e32 v206, 25, v38
	v_ashrrev_i32_e32 v39, 31, v39
	v_xor_b32_e32 v37, vcc_lo, v37
	v_cmp_gt_i32_e32 vcc_lo, 0, v40
	v_not_b32_e32 v40, v207
	v_xor_b32_e32 v210, s23, v210
	v_cmp_gt_i32_e64 s23, 0, v207
	v_and_b32_e32 v37, exec_lo, v37
	v_not_b32_e32 v207, v208
	v_ashrrev_i32_e32 v40, 31, v40
	v_xor_b32_e32 v39, vcc_lo, v39
	v_cmp_gt_i32_e32 vcc_lo, 0, v208
	v_and_b32_e32 v37, v37, v210
	v_not_b32_e32 v208, v209
	v_ashrrev_i32_e32 v207, 31, v207
	v_xor_b32_e32 v40, s23, v40
	v_cmp_gt_i32_e64 s23, 0, v209
	v_and_b32_e32 v37, v37, v39
	v_not_b32_e32 v39, v206
	v_ashrrev_i32_e32 v208, 31, v208
	v_xor_b32_e32 v207, vcc_lo, v207
	v_cmp_gt_i32_e32 vcc_lo, 0, v206
	v_and_b32_e32 v37, v37, v40
	v_ashrrev_i32_e32 v39, 31, v39
	v_xor_b32_e32 v40, s23, v208
	v_mad_u32_u24 v206, v38, 36, v127
	v_mul_u32_u24_e32 v38, 36, v38
	v_and_b32_e32 v37, v37, v207
	v_xor_b32_e32 v39, vcc_lo, v39
	ds_read_b32 v206, v206 offset:544
	v_add_nc_u32_e32 v208, v127, v38
	v_and_b32_e32 v37, v37, v40
	; wave barrier
	v_and_b32_e32 v37, v37, v39
	v_mbcnt_lo_u32_b32 v207, v37, 0
	v_cmp_ne_u32_e64 s23, 0, v37
	v_cmp_eq_u32_e32 vcc_lo, 0, v207
	s_and_b32 s24, s23, vcc_lo
	s_and_saveexec_b32 s23, s24
	s_cbranch_execz .LBB1355_172
; %bb.171:                              ;   in Loop: Header=BB1355_104 Depth=2
	s_waitcnt lgkmcnt(0)
	v_bcnt_u32_b32 v37, v37, v206
	ds_write_b32 v208, v37 offset:544
.LBB1355_172:                           ;   in Loop: Header=BB1355_104 Depth=2
	s_or_b32 exec_lo, exec_lo, s23
	; wave barrier
	s_waitcnt lgkmcnt(0)
	s_barrier
	buffer_gl0_inv
	ds_read2_b32 v[39:40], v65 offset0:136 offset1:137
	ds_read2_b32 v[37:38], v65 offset0:138 offset1:139
	ds_read_b32 v209, v65 offset:560
	s_waitcnt lgkmcnt(1)
	v_add3_u32 v210, v40, v39, v37
	s_waitcnt lgkmcnt(0)
	v_add3_u32 v209, v210, v38, v209
	v_mov_b32_dpp v210, v209 row_shr:1 row_mask:0xf bank_mask:0xf
	v_cndmask_b32_e64 v210, v210, 0, s5
	v_add_nc_u32_e32 v209, v210, v209
	v_mov_b32_dpp v210, v209 row_shr:2 row_mask:0xf bank_mask:0xf
	v_cndmask_b32_e64 v210, 0, v210, s16
	v_add_nc_u32_e32 v209, v209, v210
	;; [unrolled: 3-line block ×4, first 2 shown]
	ds_swizzle_b32 v210, v209 offset:swizzle(BROADCAST,32,15)
	s_waitcnt lgkmcnt(0)
	v_cndmask_b32_e64 v210, v210, 0, s19
	v_add_nc_u32_e32 v209, v209, v210
	s_and_saveexec_b32 s23, s4
; %bb.173:                              ;   in Loop: Header=BB1355_104 Depth=2
	ds_write_b32 v60, v209 offset:512
; %bb.174:                              ;   in Loop: Header=BB1355_104 Depth=2
	s_or_b32 exec_lo, exec_lo, s23
	s_waitcnt lgkmcnt(0)
	s_barrier
	buffer_gl0_inv
	s_and_saveexec_b32 s23, s12
	s_cbranch_execz .LBB1355_176
; %bb.175:                              ;   in Loop: Header=BB1355_104 Depth=2
	ds_read_b32 v210, v66 offset:512
	s_waitcnt lgkmcnt(0)
	v_mov_b32_dpp v211, v210 row_shr:1 row_mask:0xf bank_mask:0xf
	v_cndmask_b32_e64 v211, v211, 0, s20
	v_add_nc_u32_e32 v210, v211, v210
	v_mov_b32_dpp v211, v210 row_shr:2 row_mask:0xf bank_mask:0xf
	v_cndmask_b32_e64 v211, 0, v211, s21
	v_add_nc_u32_e32 v210, v210, v211
	;; [unrolled: 3-line block ×3, first 2 shown]
	ds_write_b32 v66, v210 offset:512
.LBB1355_176:                           ;   in Loop: Header=BB1355_104 Depth=2
	s_or_b32 exec_lo, exec_lo, s23
	v_mov_b32_e32 v210, 0
	s_waitcnt lgkmcnt(0)
	s_barrier
	buffer_gl0_inv
	s_and_saveexec_b32 s23, s11
; %bb.177:                              ;   in Loop: Header=BB1355_104 Depth=2
	ds_read_b32 v210, v60 offset:508
; %bb.178:                              ;   in Loop: Header=BB1355_104 Depth=2
	s_or_b32 exec_lo, exec_lo, s23
	s_waitcnt lgkmcnt(0)
	v_add_nc_u32_e32 v209, v210, v209
	ds_bpermute_b32 v209, v126, v209
	s_waitcnt lgkmcnt(0)
	v_cndmask_b32_e64 v209, v209, v210, s15
	v_cndmask_b32_e64 v209, v209, 0, s13
	v_add_nc_u32_e32 v39, v209, v39
	v_add_nc_u32_e32 v40, v39, v40
	;; [unrolled: 1-line block ×4, first 2 shown]
	ds_write2_b32 v65, v209, v39 offset0:136 offset1:137
	ds_write2_b32 v65, v40, v37 offset0:138 offset1:139
	ds_write_b32 v65, v38 offset:560
	s_waitcnt lgkmcnt(0)
	s_barrier
	buffer_gl0_inv
	ds_read_b32 v39, v149 offset:544
	ds_read_b32 v40, v153 offset:544
	ds_read_b32 v149, v157 offset:544
	ds_read_b32 v153, v162 offset:544
	ds_read_b32 v157, v167 offset:544
	ds_read_b32 v209, v173 offset:544
	ds_read_b32 v178, v178 offset:544
	ds_read_b32 v181, v181 offset:544
	ds_read_b32 v184, v184 offset:544
	ds_read_b32 v187, v187 offset:544
	ds_read_b32 v191, v191 offset:544
	ds_read_b32 v210, v163 offset:544
	ds_read_b32 v211, v160 offset:544
	ds_read_b32 v37, v201 offset:544
	ds_read_b32 v38, v205 offset:544
	ds_read_b32 v173, v208 offset:544
	s_and_saveexec_b32 s23, s8
	s_cbranch_execz .LBB1355_182
; %bb.179:                              ;   in Loop: Header=BB1355_104 Depth=2
	ds_read_b32 v140, v68 offset:544
	v_mov_b32_e32 v145, 0x1000
	s_and_saveexec_b32 s24, s14
; %bb.180:                              ;   in Loop: Header=BB1355_104 Depth=2
	ds_read_b32 v145, v67 offset:544
; %bb.181:                              ;   in Loop: Header=BB1355_104 Depth=2
	s_or_b32 exec_lo, exec_lo, s24
	s_waitcnt lgkmcnt(0)
	v_sub_nc_u32_e32 v145, v145, v140
.LBB1355_182:                           ;   in Loop: Header=BB1355_104 Depth=2
	s_or_b32 exec_lo, exec_lo, s23
	s_waitcnt lgkmcnt(0)
	s_barrier
	buffer_gl0_inv
	s_and_saveexec_b32 s23, s8
	s_cbranch_execz .LBB1355_184
; %bb.183:                              ;   in Loop: Header=BB1355_104 Depth=2
	ds_read_b32 v160, v41
	s_waitcnt lgkmcnt(0)
	v_sub_nc_u32_e32 v160, v160, v140
	ds_write_b32 v41, v160
.LBB1355_184:                           ;   in Loop: Header=BB1355_104 Depth=2
	s_or_b32 exec_lo, exec_lo, s23
	v_add_nc_u32_e32 v167, v39, v148
	v_add3_u32 v163, v152, v151, v40
	v_add3_u32 v162, v156, v155, v149
	;; [unrolled: 1-line block ×5, first 2 shown]
	v_lshlrev_b32_e32 v165, 2, v167
	v_add3_u32 v151, v200, v199, v37
	v_lshlrev_b32_e32 v37, 2, v163
	v_add3_u32 v157, v176, v175, v178
	v_add3_u32 v156, v180, v179, v181
	ds_write_b32 v165, v3 offset:512
	v_lshlrev_b32_e32 v3, 2, v162
	ds_write_b32 v37, v147 offset:512
	v_lshlrev_b32_e32 v37, 2, v159
	v_add3_u32 v155, v183, v182, v184
	v_add3_u32 v149, v204, v203, v38
	v_lshlrev_b32_e32 v38, 2, v161
	v_add3_u32 v153, v186, v185, v187
	v_lshlrev_b32_e32 v165, 2, v160
	v_add3_u32 v152, v190, v189, v191
	v_add3_u32 v40, v194, v193, v210
	ds_write_b32 v3, v150 offset:512
	ds_write_b32 v38, v154 offset:512
	;; [unrolled: 1-line block ×3, first 2 shown]
	v_lshlrev_b32_e32 v3, 2, v157
	ds_write_b32 v37, v164 offset:512
	v_lshlrev_b32_e32 v37, 2, v156
	v_lshlrev_b32_e32 v38, 2, v155
	;; [unrolled: 1-line block ×3, first 2 shown]
	v_add3_u32 v39, v197, v196, v211
	v_add3_u32 v148, v207, v206, v173
	ds_write_b32 v3, v169 offset:512
	v_lshlrev_b32_e32 v3, 2, v152
	ds_write_b32 v37, v174 offset:512
	ds_write_b32 v38, v177 offset:512
	;; [unrolled: 1-line block ×3, first 2 shown]
	v_lshlrev_b32_e32 v37, 2, v40
	v_cmp_lt_u32_e32 vcc_lo, v0, v146
	v_lshlrev_b32_e32 v38, 2, v151
	ds_write_b32 v3, v168 offset:512
	v_lshlrev_b32_e32 v3, 2, v39
	ds_write_b32 v37, v188 offset:512
	v_lshlrev_b32_e32 v37, 2, v148
	v_lshlrev_b32_e32 v147, 2, v149
	ds_write_b32 v3, v192 offset:512
	ds_write_b32 v38, v195 offset:512
	;; [unrolled: 1-line block ×4, first 2 shown]
	s_waitcnt lgkmcnt(0)
	s_barrier
	buffer_gl0_inv
	s_and_saveexec_b32 s24, vcc_lo
	s_cbranch_execnz .LBB1355_253
; %bb.185:                              ;   in Loop: Header=BB1355_104 Depth=2
	s_or_b32 exec_lo, exec_lo, s24
	v_cmp_lt_u32_e64 s23, v42, v146
	s_and_saveexec_b32 s25, s23
	s_cbranch_execnz .LBB1355_254
.LBB1355_186:                           ;   in Loop: Header=BB1355_104 Depth=2
	s_or_b32 exec_lo, exec_lo, s25
	v_cmp_lt_u32_e64 s24, v45, v146
	s_and_saveexec_b32 s26, s24
	s_cbranch_execnz .LBB1355_255
.LBB1355_187:                           ;   in Loop: Header=BB1355_104 Depth=2
	s_or_b32 exec_lo, exec_lo, s26
	v_cmp_lt_u32_e64 s25, v46, v146
	s_and_saveexec_b32 s27, s25
	s_cbranch_execnz .LBB1355_256
.LBB1355_188:                           ;   in Loop: Header=BB1355_104 Depth=2
	s_or_b32 exec_lo, exec_lo, s27
	v_cmp_lt_u32_e64 s26, v47, v146
	s_and_saveexec_b32 s28, s26
	s_cbranch_execnz .LBB1355_257
.LBB1355_189:                           ;   in Loop: Header=BB1355_104 Depth=2
	s_or_b32 exec_lo, exec_lo, s28
	v_cmp_lt_u32_e64 s27, v48, v146
	s_and_saveexec_b32 s29, s27
	s_cbranch_execnz .LBB1355_258
.LBB1355_190:                           ;   in Loop: Header=BB1355_104 Depth=2
	s_or_b32 exec_lo, exec_lo, s29
	v_cmp_lt_u32_e64 s28, v49, v146
	s_and_saveexec_b32 s30, s28
	s_cbranch_execnz .LBB1355_259
.LBB1355_191:                           ;   in Loop: Header=BB1355_104 Depth=2
	s_or_b32 exec_lo, exec_lo, s30
	v_cmp_lt_u32_e64 s29, v50, v146
	s_and_saveexec_b32 s31, s29
	s_cbranch_execnz .LBB1355_260
.LBB1355_192:                           ;   in Loop: Header=BB1355_104 Depth=2
	s_or_b32 exec_lo, exec_lo, s31
	v_cmp_lt_u32_e64 s30, v51, v146
	s_and_saveexec_b32 s33, s30
	s_cbranch_execnz .LBB1355_261
.LBB1355_193:                           ;   in Loop: Header=BB1355_104 Depth=2
	s_or_b32 exec_lo, exec_lo, s33
	v_cmp_lt_u32_e64 s31, v52, v146
	s_and_saveexec_b32 s34, s31
	s_cbranch_execnz .LBB1355_262
.LBB1355_194:                           ;   in Loop: Header=BB1355_104 Depth=2
	s_or_b32 exec_lo, exec_lo, s34
	v_cmp_lt_u32_e64 s33, v53, v146
	s_and_saveexec_b32 s35, s33
	s_cbranch_execnz .LBB1355_263
.LBB1355_195:                           ;   in Loop: Header=BB1355_104 Depth=2
	s_or_b32 exec_lo, exec_lo, s35
	v_cmp_lt_u32_e64 s34, v54, v146
	s_and_saveexec_b32 s36, s34
	s_cbranch_execnz .LBB1355_264
.LBB1355_196:                           ;   in Loop: Header=BB1355_104 Depth=2
	s_or_b32 exec_lo, exec_lo, s36
	v_cmp_lt_u32_e64 s35, v55, v146
	s_and_saveexec_b32 s37, s35
	s_cbranch_execnz .LBB1355_265
.LBB1355_197:                           ;   in Loop: Header=BB1355_104 Depth=2
	s_or_b32 exec_lo, exec_lo, s37
	v_cmp_lt_u32_e64 s36, v56, v146
	s_and_saveexec_b32 s38, s36
	s_cbranch_execnz .LBB1355_266
.LBB1355_198:                           ;   in Loop: Header=BB1355_104 Depth=2
	s_or_b32 exec_lo, exec_lo, s38
	v_cmp_lt_u32_e64 s37, v57, v146
	s_and_saveexec_b32 s39, s37
	s_cbranch_execnz .LBB1355_267
.LBB1355_199:                           ;   in Loop: Header=BB1355_104 Depth=2
	s_or_b32 exec_lo, exec_lo, s39
	v_cmp_lt_u32_e64 s38, v58, v146
	s_and_saveexec_b32 s64, s38
	s_cbranch_execz .LBB1355_201
.LBB1355_200:                           ;   in Loop: Header=BB1355_104 Depth=2
	ds_read_b32 v147, v66 offset:15872
	s_waitcnt lgkmcnt(0)
	v_cmp_ne_u32_e64 s39, 0x80000000, v147
	v_cndmask_b32_e64 v3, 0x7fffffff, v147, s39
	v_cmp_gt_i32_e64 s39, 0, v147
	v_lshrrev_b32_e32 v3, s52, v3
	v_cndmask_b32_e64 v150, 0x7fffffff, 0, s39
	v_and_b32_e32 v3, s61, v3
	v_lshlrev_b32_e32 v3, 2, v3
	ds_read_b32 v3, v3
	s_waitcnt lgkmcnt(0)
	v_add_nc_u32_e32 v3, v3, v58
	v_lshlrev_b64 v[37:38], 2, v[3:4]
	v_xor_b32_e32 v3, v150, v147
	v_add_co_u32 v37, s39, s42, v37
	v_add_co_ci_u32_e64 v38, null, s43, v38, s39
	global_store_dword v[37:38], v3, off
.LBB1355_201:                           ;   in Loop: Header=BB1355_104 Depth=2
	s_or_b32 exec_lo, exec_lo, s64
	s_lshl_b64 s[64:65], s[46:47], 3
	v_add_co_u32 v37, s39, v106, s64
	v_add_co_ci_u32_e64 v38, null, s65, v107, s39
	v_cmp_lt_u32_e64 s39, v105, v146
	s_and_saveexec_b32 s46, s39
	s_xor_b32 s39, exec_lo, s46
	s_cbranch_execnz .LBB1355_268
; %bb.202:                              ;   in Loop: Header=BB1355_104 Depth=2
	s_or_b32 exec_lo, exec_lo, s39
	s_mov_b32 s46, exec_lo
	v_cmpx_lt_u32_e64 v108, v146
	s_cbranch_execnz .LBB1355_269
.LBB1355_203:                           ;   in Loop: Header=BB1355_104 Depth=2
	s_or_b32 exec_lo, exec_lo, s46
	s_mov_b32 s46, exec_lo
	v_cmpx_lt_u32_e64 v109, v146
	s_cbranch_execnz .LBB1355_270
.LBB1355_204:                           ;   in Loop: Header=BB1355_104 Depth=2
	s_or_b32 exec_lo, exec_lo, s46
	s_mov_b32 s46, exec_lo
	v_cmpx_lt_u32_e64 v110, v146
	s_cbranch_execnz .LBB1355_271
.LBB1355_205:                           ;   in Loop: Header=BB1355_104 Depth=2
	s_or_b32 exec_lo, exec_lo, s46
	s_mov_b32 s46, exec_lo
	v_cmpx_lt_u32_e64 v111, v146
	s_cbranch_execnz .LBB1355_272
.LBB1355_206:                           ;   in Loop: Header=BB1355_104 Depth=2
	s_or_b32 exec_lo, exec_lo, s46
	s_mov_b32 s46, exec_lo
	v_cmpx_lt_u32_e64 v112, v146
	s_cbranch_execnz .LBB1355_273
.LBB1355_207:                           ;   in Loop: Header=BB1355_104 Depth=2
	s_or_b32 exec_lo, exec_lo, s46
	s_mov_b32 s46, exec_lo
	v_cmpx_lt_u32_e64 v113, v146
	s_cbranch_execnz .LBB1355_274
.LBB1355_208:                           ;   in Loop: Header=BB1355_104 Depth=2
	s_or_b32 exec_lo, exec_lo, s46
	s_mov_b32 s46, exec_lo
	v_cmpx_lt_u32_e64 v114, v146
	s_cbranch_execnz .LBB1355_275
.LBB1355_209:                           ;   in Loop: Header=BB1355_104 Depth=2
	s_or_b32 exec_lo, exec_lo, s46
	s_mov_b32 s46, exec_lo
	v_cmpx_lt_u32_e64 v115, v146
	s_cbranch_execnz .LBB1355_276
.LBB1355_210:                           ;   in Loop: Header=BB1355_104 Depth=2
	s_or_b32 exec_lo, exec_lo, s46
	s_mov_b32 s46, exec_lo
	v_cmpx_lt_u32_e64 v116, v146
	s_cbranch_execnz .LBB1355_277
.LBB1355_211:                           ;   in Loop: Header=BB1355_104 Depth=2
	s_or_b32 exec_lo, exec_lo, s46
	s_mov_b32 s46, exec_lo
	v_cmpx_lt_u32_e64 v117, v146
	s_cbranch_execnz .LBB1355_278
.LBB1355_212:                           ;   in Loop: Header=BB1355_104 Depth=2
	s_or_b32 exec_lo, exec_lo, s46
	s_mov_b32 s46, exec_lo
	v_cmpx_lt_u32_e64 v118, v146
	s_cbranch_execnz .LBB1355_279
.LBB1355_213:                           ;   in Loop: Header=BB1355_104 Depth=2
	s_or_b32 exec_lo, exec_lo, s46
	s_mov_b32 s46, exec_lo
	v_cmpx_lt_u32_e64 v119, v146
	s_cbranch_execnz .LBB1355_280
.LBB1355_214:                           ;   in Loop: Header=BB1355_104 Depth=2
	s_or_b32 exec_lo, exec_lo, s46
	s_mov_b32 s46, exec_lo
	v_cmpx_lt_u32_e64 v121, v146
	s_cbranch_execnz .LBB1355_281
.LBB1355_215:                           ;   in Loop: Header=BB1355_104 Depth=2
	s_or_b32 exec_lo, exec_lo, s46
	s_mov_b32 s46, exec_lo
	v_cmpx_lt_u32_e64 v122, v146
	s_cbranch_execnz .LBB1355_282
.LBB1355_216:                           ;   in Loop: Header=BB1355_104 Depth=2
	s_or_b32 exec_lo, exec_lo, s46
	s_mov_b32 s46, exec_lo
	v_cmpx_lt_u32_e64 v123, v146
	s_cbranch_execnz .LBB1355_283
.LBB1355_217:                           ;   in Loop: Header=BB1355_104 Depth=2
	s_or_b32 exec_lo, exec_lo, s46
	s_and_saveexec_b32 s46, vcc_lo
	s_cbranch_execnz .LBB1355_284
.LBB1355_218:                           ;   in Loop: Header=BB1355_104 Depth=2
	s_or_b32 exec_lo, exec_lo, s46
	s_and_saveexec_b32 s46, s23
	s_cbranch_execnz .LBB1355_285
.LBB1355_219:                           ;   in Loop: Header=BB1355_104 Depth=2
	s_or_b32 exec_lo, exec_lo, s46
	s_and_saveexec_b32 s46, s24
	s_cbranch_execnz .LBB1355_286
.LBB1355_220:                           ;   in Loop: Header=BB1355_104 Depth=2
	s_or_b32 exec_lo, exec_lo, s46
	s_and_saveexec_b32 s46, s25
	s_cbranch_execnz .LBB1355_287
.LBB1355_221:                           ;   in Loop: Header=BB1355_104 Depth=2
	s_or_b32 exec_lo, exec_lo, s46
	s_and_saveexec_b32 s46, s26
	s_cbranch_execnz .LBB1355_288
.LBB1355_222:                           ;   in Loop: Header=BB1355_104 Depth=2
	s_or_b32 exec_lo, exec_lo, s46
	s_and_saveexec_b32 s46, s27
	s_cbranch_execnz .LBB1355_289
.LBB1355_223:                           ;   in Loop: Header=BB1355_104 Depth=2
	s_or_b32 exec_lo, exec_lo, s46
	s_and_saveexec_b32 s46, s28
	s_cbranch_execnz .LBB1355_290
.LBB1355_224:                           ;   in Loop: Header=BB1355_104 Depth=2
	s_or_b32 exec_lo, exec_lo, s46
	s_and_saveexec_b32 s46, s29
	s_cbranch_execnz .LBB1355_291
.LBB1355_225:                           ;   in Loop: Header=BB1355_104 Depth=2
	s_or_b32 exec_lo, exec_lo, s46
	s_and_saveexec_b32 s46, s30
	s_cbranch_execnz .LBB1355_292
.LBB1355_226:                           ;   in Loop: Header=BB1355_104 Depth=2
	s_or_b32 exec_lo, exec_lo, s46
	s_and_saveexec_b32 s46, s31
	s_cbranch_execnz .LBB1355_293
.LBB1355_227:                           ;   in Loop: Header=BB1355_104 Depth=2
	s_or_b32 exec_lo, exec_lo, s46
	s_and_saveexec_b32 s46, s33
	s_cbranch_execnz .LBB1355_294
.LBB1355_228:                           ;   in Loop: Header=BB1355_104 Depth=2
	s_or_b32 exec_lo, exec_lo, s46
	s_and_saveexec_b32 s46, s34
	s_cbranch_execnz .LBB1355_295
.LBB1355_229:                           ;   in Loop: Header=BB1355_104 Depth=2
	s_or_b32 exec_lo, exec_lo, s46
	s_and_saveexec_b32 s46, s35
	s_cbranch_execnz .LBB1355_296
.LBB1355_230:                           ;   in Loop: Header=BB1355_104 Depth=2
	s_or_b32 exec_lo, exec_lo, s46
	s_and_saveexec_b32 s46, s36
	s_cbranch_execnz .LBB1355_297
.LBB1355_231:                           ;   in Loop: Header=BB1355_104 Depth=2
	s_or_b32 exec_lo, exec_lo, s46
	s_and_saveexec_b32 s46, s37
	s_cbranch_execnz .LBB1355_298
.LBB1355_232:                           ;   in Loop: Header=BB1355_104 Depth=2
	s_or_b32 exec_lo, exec_lo, s46
	s_and_saveexec_b32 s46, s38
	s_cbranch_execz .LBB1355_234
.LBB1355_233:                           ;   in Loop: Header=BB1355_104 Depth=2
	ds_read_b32 v3, v66 offset:15872
	s_waitcnt lgkmcnt(0)
	v_cmp_ne_u32_e64 s39, 0x80000000, v3
	v_cndmask_b32_e64 v3, 0x7fffffff, v3, s39
	v_lshrrev_b32_e32 v3, s52, v3
	v_and_b32_e32 v128, s61, v3
.LBB1355_234:                           ;   in Loop: Header=BB1355_104 Depth=2
	s_or_b32 exec_lo, exec_lo, s46
	v_lshlrev_b32_e32 v3, 3, v167
	v_lshlrev_b32_e32 v37, 3, v163
	s_waitcnt vmcnt(0)
	s_waitcnt_vscnt null, 0x0
	s_barrier
	buffer_gl0_inv
	ds_write_b64 v3, v[35:36] offset:512
	v_lshlrev_b32_e32 v3, 3, v162
	v_lshlrev_b32_e32 v38, 3, v161
	;; [unrolled: 1-line block ×4, first 2 shown]
	ds_write_b64 v37, v[33:34] offset:512
	ds_write_b64 v3, v[31:32] offset:512
	;; [unrolled: 1-line block ×5, first 2 shown]
	v_lshlrev_b32_e32 v3, 3, v157
	v_lshlrev_b32_e32 v37, 3, v156
	v_lshlrev_b32_e32 v38, 3, v155
	v_lshlrev_b32_e32 v146, 3, v153
	v_lshlrev_b32_e32 v147, 3, v152
	ds_write_b64 v3, v[19:20] offset:512
	ds_write_b64 v37, v[15:16] offset:512
	;; [unrolled: 1-line block ×5, first 2 shown]
	v_lshlrev_b32_e32 v3, 3, v40
	v_lshlrev_b32_e32 v37, 3, v39
	;; [unrolled: 1-line block ×5, first 2 shown]
	ds_write_b64 v3, v[13:14] offset:512
	ds_write_b64 v37, v[11:12] offset:512
	;; [unrolled: 1-line block ×5, first 2 shown]
	s_waitcnt lgkmcnt(0)
	s_barrier
	buffer_gl0_inv
	s_and_saveexec_b32 s39, vcc_lo
	s_cbranch_execnz .LBB1355_299
; %bb.235:                              ;   in Loop: Header=BB1355_104 Depth=2
	s_or_b32 exec_lo, exec_lo, s39
	s_and_saveexec_b32 s39, s23
	s_cbranch_execnz .LBB1355_300
.LBB1355_236:                           ;   in Loop: Header=BB1355_104 Depth=2
	s_or_b32 exec_lo, exec_lo, s39
	s_and_saveexec_b32 s23, s24
	s_cbranch_execnz .LBB1355_301
.LBB1355_237:                           ;   in Loop: Header=BB1355_104 Depth=2
	s_or_b32 exec_lo, exec_lo, s23
	s_and_saveexec_b32 s23, s25
	s_cbranch_execnz .LBB1355_302
.LBB1355_238:                           ;   in Loop: Header=BB1355_104 Depth=2
	s_or_b32 exec_lo, exec_lo, s23
	s_and_saveexec_b32 s23, s26
	s_cbranch_execnz .LBB1355_303
.LBB1355_239:                           ;   in Loop: Header=BB1355_104 Depth=2
	s_or_b32 exec_lo, exec_lo, s23
	s_and_saveexec_b32 s23, s27
	s_cbranch_execnz .LBB1355_304
.LBB1355_240:                           ;   in Loop: Header=BB1355_104 Depth=2
	s_or_b32 exec_lo, exec_lo, s23
	s_and_saveexec_b32 s23, s28
	s_cbranch_execnz .LBB1355_305
.LBB1355_241:                           ;   in Loop: Header=BB1355_104 Depth=2
	s_or_b32 exec_lo, exec_lo, s23
	s_and_saveexec_b32 s23, s29
	s_cbranch_execnz .LBB1355_306
.LBB1355_242:                           ;   in Loop: Header=BB1355_104 Depth=2
	s_or_b32 exec_lo, exec_lo, s23
	s_and_saveexec_b32 s23, s30
	s_cbranch_execnz .LBB1355_307
.LBB1355_243:                           ;   in Loop: Header=BB1355_104 Depth=2
	s_or_b32 exec_lo, exec_lo, s23
	s_and_saveexec_b32 s23, s31
	s_cbranch_execnz .LBB1355_308
.LBB1355_244:                           ;   in Loop: Header=BB1355_104 Depth=2
	s_or_b32 exec_lo, exec_lo, s23
	s_and_saveexec_b32 s23, s33
	s_cbranch_execnz .LBB1355_309
.LBB1355_245:                           ;   in Loop: Header=BB1355_104 Depth=2
	s_or_b32 exec_lo, exec_lo, s23
	s_and_saveexec_b32 s23, s34
	s_cbranch_execnz .LBB1355_310
.LBB1355_246:                           ;   in Loop: Header=BB1355_104 Depth=2
	s_or_b32 exec_lo, exec_lo, s23
	s_and_saveexec_b32 s23, s35
	s_cbranch_execnz .LBB1355_311
.LBB1355_247:                           ;   in Loop: Header=BB1355_104 Depth=2
	s_or_b32 exec_lo, exec_lo, s23
	s_and_saveexec_b32 s23, s36
	s_cbranch_execnz .LBB1355_312
.LBB1355_248:                           ;   in Loop: Header=BB1355_104 Depth=2
	s_or_b32 exec_lo, exec_lo, s23
	s_and_saveexec_b32 s23, s37
	s_cbranch_execnz .LBB1355_313
.LBB1355_249:                           ;   in Loop: Header=BB1355_104 Depth=2
	s_or_b32 exec_lo, exec_lo, s23
	s_and_saveexec_b32 s23, s38
	s_cbranch_execz .LBB1355_251
.LBB1355_250:                           ;   in Loop: Header=BB1355_104 Depth=2
	v_lshlrev_b32_e32 v3, 2, v128
	v_add_nc_u32_e32 v37, v66, v41
	ds_read_b32 v3, v3
	ds_read_b64 v[37:38], v37 offset:31232
	s_waitcnt lgkmcnt(1)
	v_add_nc_u32_e32 v3, v3, v58
	v_lshlrev_b64 v[39:40], 3, v[3:4]
	v_add_co_u32 v39, vcc_lo, s48, v39
	v_add_co_ci_u32_e64 v40, null, s49, v40, vcc_lo
	s_waitcnt lgkmcnt(0)
	global_store_dwordx2 v[39:40], v[37:38], off
.LBB1355_251:                           ;   in Loop: Header=BB1355_104 Depth=2
	s_or_b32 exec_lo, exec_lo, s23
	s_waitcnt_vscnt null, 0x0
	s_barrier
	buffer_gl0_inv
	s_and_saveexec_b32 s23, s8
	s_cbranch_execz .LBB1355_103
; %bb.252:                              ;   in Loop: Header=BB1355_104 Depth=2
	ds_read_b32 v3, v41
	s_waitcnt lgkmcnt(0)
	v_add3_u32 v3, v140, v145, v3
	ds_write_b32 v41, v3
	s_branch .LBB1355_103
.LBB1355_253:                           ;   in Loop: Header=BB1355_104 Depth=2
	ds_read_b32 v147, v66 offset:512
	s_waitcnt lgkmcnt(0)
	v_cmp_ne_u32_e64 s23, 0x80000000, v147
	v_cndmask_b32_e64 v3, 0x7fffffff, v147, s23
	v_cmp_gt_i32_e64 s23, 0, v147
	v_lshrrev_b32_e32 v3, s52, v3
	v_cndmask_b32_e64 v150, 0x7fffffff, 0, s23
	v_and_b32_e32 v3, s61, v3
	v_lshlrev_b32_e32 v3, 2, v3
	ds_read_b32 v3, v3
	s_waitcnt lgkmcnt(0)
	v_add_nc_u32_e32 v3, v3, v0
	v_lshlrev_b64 v[37:38], 2, v[3:4]
	v_xor_b32_e32 v3, v150, v147
	v_add_co_u32 v37, s23, s42, v37
	v_add_co_ci_u32_e64 v38, null, s43, v38, s23
	global_store_dword v[37:38], v3, off
	s_or_b32 exec_lo, exec_lo, s24
	v_cmp_lt_u32_e64 s23, v42, v146
	s_and_saveexec_b32 s25, s23
	s_cbranch_execz .LBB1355_186
.LBB1355_254:                           ;   in Loop: Header=BB1355_104 Depth=2
	ds_read_b32 v147, v66 offset:1536
	s_waitcnt lgkmcnt(0)
	v_cmp_ne_u32_e64 s24, 0x80000000, v147
	v_cndmask_b32_e64 v3, 0x7fffffff, v147, s24
	v_cmp_gt_i32_e64 s24, 0, v147
	v_lshrrev_b32_e32 v3, s52, v3
	v_cndmask_b32_e64 v150, 0x7fffffff, 0, s24
	v_and_b32_e32 v3, s61, v3
	v_lshlrev_b32_e32 v3, 2, v3
	ds_read_b32 v3, v3
	s_waitcnt lgkmcnt(0)
	v_add_nc_u32_e32 v3, v3, v42
	v_lshlrev_b64 v[37:38], 2, v[3:4]
	v_xor_b32_e32 v3, v150, v147
	v_add_co_u32 v37, s24, s42, v37
	v_add_co_ci_u32_e64 v38, null, s43, v38, s24
	global_store_dword v[37:38], v3, off
	s_or_b32 exec_lo, exec_lo, s25
	v_cmp_lt_u32_e64 s24, v45, v146
	s_and_saveexec_b32 s26, s24
	s_cbranch_execz .LBB1355_187
.LBB1355_255:                           ;   in Loop: Header=BB1355_104 Depth=2
	ds_read_b32 v147, v66 offset:2560
	s_waitcnt lgkmcnt(0)
	v_cmp_ne_u32_e64 s25, 0x80000000, v147
	v_cndmask_b32_e64 v3, 0x7fffffff, v147, s25
	v_cmp_gt_i32_e64 s25, 0, v147
	v_lshrrev_b32_e32 v3, s52, v3
	v_cndmask_b32_e64 v150, 0x7fffffff, 0, s25
	v_and_b32_e32 v3, s61, v3
	v_lshlrev_b32_e32 v3, 2, v3
	ds_read_b32 v3, v3
	s_waitcnt lgkmcnt(0)
	v_add_nc_u32_e32 v3, v3, v45
	v_lshlrev_b64 v[37:38], 2, v[3:4]
	v_xor_b32_e32 v3, v150, v147
	v_add_co_u32 v37, s25, s42, v37
	v_add_co_ci_u32_e64 v38, null, s43, v38, s25
	global_store_dword v[37:38], v3, off
	s_or_b32 exec_lo, exec_lo, s26
	v_cmp_lt_u32_e64 s25, v46, v146
	s_and_saveexec_b32 s27, s25
	s_cbranch_execz .LBB1355_188
.LBB1355_256:                           ;   in Loop: Header=BB1355_104 Depth=2
	ds_read_b32 v147, v66 offset:3584
	s_waitcnt lgkmcnt(0)
	v_cmp_ne_u32_e64 s26, 0x80000000, v147
	v_cndmask_b32_e64 v3, 0x7fffffff, v147, s26
	v_cmp_gt_i32_e64 s26, 0, v147
	v_lshrrev_b32_e32 v3, s52, v3
	v_cndmask_b32_e64 v150, 0x7fffffff, 0, s26
	v_and_b32_e32 v3, s61, v3
	v_lshlrev_b32_e32 v3, 2, v3
	ds_read_b32 v3, v3
	s_waitcnt lgkmcnt(0)
	v_add_nc_u32_e32 v3, v3, v46
	v_lshlrev_b64 v[37:38], 2, v[3:4]
	v_xor_b32_e32 v3, v150, v147
	v_add_co_u32 v37, s26, s42, v37
	v_add_co_ci_u32_e64 v38, null, s43, v38, s26
	global_store_dword v[37:38], v3, off
	s_or_b32 exec_lo, exec_lo, s27
	v_cmp_lt_u32_e64 s26, v47, v146
	s_and_saveexec_b32 s28, s26
	s_cbranch_execz .LBB1355_189
.LBB1355_257:                           ;   in Loop: Header=BB1355_104 Depth=2
	ds_read_b32 v147, v66 offset:4608
	s_waitcnt lgkmcnt(0)
	v_cmp_ne_u32_e64 s27, 0x80000000, v147
	v_cndmask_b32_e64 v3, 0x7fffffff, v147, s27
	v_cmp_gt_i32_e64 s27, 0, v147
	v_lshrrev_b32_e32 v3, s52, v3
	v_cndmask_b32_e64 v150, 0x7fffffff, 0, s27
	v_and_b32_e32 v3, s61, v3
	v_lshlrev_b32_e32 v3, 2, v3
	ds_read_b32 v3, v3
	s_waitcnt lgkmcnt(0)
	v_add_nc_u32_e32 v3, v3, v47
	v_lshlrev_b64 v[37:38], 2, v[3:4]
	v_xor_b32_e32 v3, v150, v147
	v_add_co_u32 v37, s27, s42, v37
	v_add_co_ci_u32_e64 v38, null, s43, v38, s27
	global_store_dword v[37:38], v3, off
	s_or_b32 exec_lo, exec_lo, s28
	v_cmp_lt_u32_e64 s27, v48, v146
	s_and_saveexec_b32 s29, s27
	s_cbranch_execz .LBB1355_190
.LBB1355_258:                           ;   in Loop: Header=BB1355_104 Depth=2
	ds_read_b32 v147, v66 offset:5632
	s_waitcnt lgkmcnt(0)
	v_cmp_ne_u32_e64 s28, 0x80000000, v147
	v_cndmask_b32_e64 v3, 0x7fffffff, v147, s28
	v_cmp_gt_i32_e64 s28, 0, v147
	v_lshrrev_b32_e32 v3, s52, v3
	v_cndmask_b32_e64 v150, 0x7fffffff, 0, s28
	v_and_b32_e32 v3, s61, v3
	v_lshlrev_b32_e32 v3, 2, v3
	ds_read_b32 v3, v3
	s_waitcnt lgkmcnt(0)
	v_add_nc_u32_e32 v3, v3, v48
	v_lshlrev_b64 v[37:38], 2, v[3:4]
	v_xor_b32_e32 v3, v150, v147
	v_add_co_u32 v37, s28, s42, v37
	v_add_co_ci_u32_e64 v38, null, s43, v38, s28
	global_store_dword v[37:38], v3, off
	s_or_b32 exec_lo, exec_lo, s29
	v_cmp_lt_u32_e64 s28, v49, v146
	s_and_saveexec_b32 s30, s28
	s_cbranch_execz .LBB1355_191
.LBB1355_259:                           ;   in Loop: Header=BB1355_104 Depth=2
	ds_read_b32 v147, v66 offset:6656
	s_waitcnt lgkmcnt(0)
	v_cmp_ne_u32_e64 s29, 0x80000000, v147
	v_cndmask_b32_e64 v3, 0x7fffffff, v147, s29
	v_cmp_gt_i32_e64 s29, 0, v147
	v_lshrrev_b32_e32 v3, s52, v3
	v_cndmask_b32_e64 v150, 0x7fffffff, 0, s29
	v_and_b32_e32 v3, s61, v3
	v_lshlrev_b32_e32 v3, 2, v3
	ds_read_b32 v3, v3
	s_waitcnt lgkmcnt(0)
	v_add_nc_u32_e32 v3, v3, v49
	v_lshlrev_b64 v[37:38], 2, v[3:4]
	v_xor_b32_e32 v3, v150, v147
	v_add_co_u32 v37, s29, s42, v37
	v_add_co_ci_u32_e64 v38, null, s43, v38, s29
	global_store_dword v[37:38], v3, off
	s_or_b32 exec_lo, exec_lo, s30
	v_cmp_lt_u32_e64 s29, v50, v146
	s_and_saveexec_b32 s31, s29
	s_cbranch_execz .LBB1355_192
.LBB1355_260:                           ;   in Loop: Header=BB1355_104 Depth=2
	ds_read_b32 v147, v66 offset:7680
	s_waitcnt lgkmcnt(0)
	v_cmp_ne_u32_e64 s30, 0x80000000, v147
	v_cndmask_b32_e64 v3, 0x7fffffff, v147, s30
	v_cmp_gt_i32_e64 s30, 0, v147
	v_lshrrev_b32_e32 v3, s52, v3
	v_cndmask_b32_e64 v150, 0x7fffffff, 0, s30
	v_and_b32_e32 v3, s61, v3
	v_lshlrev_b32_e32 v3, 2, v3
	ds_read_b32 v3, v3
	s_waitcnt lgkmcnt(0)
	v_add_nc_u32_e32 v3, v3, v50
	v_lshlrev_b64 v[37:38], 2, v[3:4]
	v_xor_b32_e32 v3, v150, v147
	v_add_co_u32 v37, s30, s42, v37
	v_add_co_ci_u32_e64 v38, null, s43, v38, s30
	global_store_dword v[37:38], v3, off
	s_or_b32 exec_lo, exec_lo, s31
	v_cmp_lt_u32_e64 s30, v51, v146
	s_and_saveexec_b32 s33, s30
	s_cbranch_execz .LBB1355_193
.LBB1355_261:                           ;   in Loop: Header=BB1355_104 Depth=2
	ds_read_b32 v147, v66 offset:8704
	s_waitcnt lgkmcnt(0)
	v_cmp_ne_u32_e64 s31, 0x80000000, v147
	v_cndmask_b32_e64 v3, 0x7fffffff, v147, s31
	v_cmp_gt_i32_e64 s31, 0, v147
	v_lshrrev_b32_e32 v3, s52, v3
	v_cndmask_b32_e64 v150, 0x7fffffff, 0, s31
	v_and_b32_e32 v3, s61, v3
	v_lshlrev_b32_e32 v3, 2, v3
	ds_read_b32 v3, v3
	s_waitcnt lgkmcnt(0)
	v_add_nc_u32_e32 v3, v3, v51
	v_lshlrev_b64 v[37:38], 2, v[3:4]
	v_xor_b32_e32 v3, v150, v147
	v_add_co_u32 v37, s31, s42, v37
	v_add_co_ci_u32_e64 v38, null, s43, v38, s31
	global_store_dword v[37:38], v3, off
	s_or_b32 exec_lo, exec_lo, s33
	v_cmp_lt_u32_e64 s31, v52, v146
	s_and_saveexec_b32 s34, s31
	s_cbranch_execz .LBB1355_194
.LBB1355_262:                           ;   in Loop: Header=BB1355_104 Depth=2
	ds_read_b32 v147, v66 offset:9728
	s_waitcnt lgkmcnt(0)
	v_cmp_ne_u32_e64 s33, 0x80000000, v147
	v_cndmask_b32_e64 v3, 0x7fffffff, v147, s33
	v_cmp_gt_i32_e64 s33, 0, v147
	v_lshrrev_b32_e32 v3, s52, v3
	v_cndmask_b32_e64 v150, 0x7fffffff, 0, s33
	v_and_b32_e32 v3, s61, v3
	v_lshlrev_b32_e32 v3, 2, v3
	ds_read_b32 v3, v3
	s_waitcnt lgkmcnt(0)
	v_add_nc_u32_e32 v3, v3, v52
	v_lshlrev_b64 v[37:38], 2, v[3:4]
	v_xor_b32_e32 v3, v150, v147
	v_add_co_u32 v37, s33, s42, v37
	v_add_co_ci_u32_e64 v38, null, s43, v38, s33
	global_store_dword v[37:38], v3, off
	s_or_b32 exec_lo, exec_lo, s34
	v_cmp_lt_u32_e64 s33, v53, v146
	s_and_saveexec_b32 s35, s33
	s_cbranch_execz .LBB1355_195
.LBB1355_263:                           ;   in Loop: Header=BB1355_104 Depth=2
	ds_read_b32 v147, v66 offset:10752
	s_waitcnt lgkmcnt(0)
	v_cmp_ne_u32_e64 s34, 0x80000000, v147
	v_cndmask_b32_e64 v3, 0x7fffffff, v147, s34
	v_cmp_gt_i32_e64 s34, 0, v147
	v_lshrrev_b32_e32 v3, s52, v3
	v_cndmask_b32_e64 v150, 0x7fffffff, 0, s34
	v_and_b32_e32 v3, s61, v3
	v_lshlrev_b32_e32 v3, 2, v3
	ds_read_b32 v3, v3
	s_waitcnt lgkmcnt(0)
	v_add_nc_u32_e32 v3, v3, v53
	v_lshlrev_b64 v[37:38], 2, v[3:4]
	v_xor_b32_e32 v3, v150, v147
	v_add_co_u32 v37, s34, s42, v37
	v_add_co_ci_u32_e64 v38, null, s43, v38, s34
	global_store_dword v[37:38], v3, off
	s_or_b32 exec_lo, exec_lo, s35
	v_cmp_lt_u32_e64 s34, v54, v146
	s_and_saveexec_b32 s36, s34
	s_cbranch_execz .LBB1355_196
.LBB1355_264:                           ;   in Loop: Header=BB1355_104 Depth=2
	ds_read_b32 v147, v66 offset:11776
	s_waitcnt lgkmcnt(0)
	v_cmp_ne_u32_e64 s35, 0x80000000, v147
	v_cndmask_b32_e64 v3, 0x7fffffff, v147, s35
	v_cmp_gt_i32_e64 s35, 0, v147
	v_lshrrev_b32_e32 v3, s52, v3
	v_cndmask_b32_e64 v150, 0x7fffffff, 0, s35
	v_and_b32_e32 v3, s61, v3
	v_lshlrev_b32_e32 v3, 2, v3
	ds_read_b32 v3, v3
	s_waitcnt lgkmcnt(0)
	v_add_nc_u32_e32 v3, v3, v54
	v_lshlrev_b64 v[37:38], 2, v[3:4]
	v_xor_b32_e32 v3, v150, v147
	v_add_co_u32 v37, s35, s42, v37
	v_add_co_ci_u32_e64 v38, null, s43, v38, s35
	global_store_dword v[37:38], v3, off
	s_or_b32 exec_lo, exec_lo, s36
	v_cmp_lt_u32_e64 s35, v55, v146
	s_and_saveexec_b32 s37, s35
	s_cbranch_execz .LBB1355_197
.LBB1355_265:                           ;   in Loop: Header=BB1355_104 Depth=2
	ds_read_b32 v147, v66 offset:12800
	s_waitcnt lgkmcnt(0)
	v_cmp_ne_u32_e64 s36, 0x80000000, v147
	v_cndmask_b32_e64 v3, 0x7fffffff, v147, s36
	v_cmp_gt_i32_e64 s36, 0, v147
	v_lshrrev_b32_e32 v3, s52, v3
	v_cndmask_b32_e64 v150, 0x7fffffff, 0, s36
	v_and_b32_e32 v3, s61, v3
	v_lshlrev_b32_e32 v3, 2, v3
	ds_read_b32 v3, v3
	s_waitcnt lgkmcnt(0)
	v_add_nc_u32_e32 v3, v3, v55
	v_lshlrev_b64 v[37:38], 2, v[3:4]
	v_xor_b32_e32 v3, v150, v147
	v_add_co_u32 v37, s36, s42, v37
	v_add_co_ci_u32_e64 v38, null, s43, v38, s36
	global_store_dword v[37:38], v3, off
	s_or_b32 exec_lo, exec_lo, s37
	v_cmp_lt_u32_e64 s36, v56, v146
	s_and_saveexec_b32 s38, s36
	s_cbranch_execz .LBB1355_198
.LBB1355_266:                           ;   in Loop: Header=BB1355_104 Depth=2
	ds_read_b32 v147, v66 offset:13824
	s_waitcnt lgkmcnt(0)
	v_cmp_ne_u32_e64 s37, 0x80000000, v147
	v_cndmask_b32_e64 v3, 0x7fffffff, v147, s37
	v_cmp_gt_i32_e64 s37, 0, v147
	v_lshrrev_b32_e32 v3, s52, v3
	v_cndmask_b32_e64 v150, 0x7fffffff, 0, s37
	v_and_b32_e32 v3, s61, v3
	v_lshlrev_b32_e32 v3, 2, v3
	ds_read_b32 v3, v3
	s_waitcnt lgkmcnt(0)
	v_add_nc_u32_e32 v3, v3, v56
	v_lshlrev_b64 v[37:38], 2, v[3:4]
	v_xor_b32_e32 v3, v150, v147
	v_add_co_u32 v37, s37, s42, v37
	v_add_co_ci_u32_e64 v38, null, s43, v38, s37
	global_store_dword v[37:38], v3, off
	s_or_b32 exec_lo, exec_lo, s38
	v_cmp_lt_u32_e64 s37, v57, v146
	s_and_saveexec_b32 s39, s37
	s_cbranch_execz .LBB1355_199
.LBB1355_267:                           ;   in Loop: Header=BB1355_104 Depth=2
	ds_read_b32 v147, v66 offset:14848
	s_waitcnt lgkmcnt(0)
	v_cmp_ne_u32_e64 s38, 0x80000000, v147
	v_cndmask_b32_e64 v3, 0x7fffffff, v147, s38
	v_cmp_gt_i32_e64 s38, 0, v147
	v_lshrrev_b32_e32 v3, s52, v3
	v_cndmask_b32_e64 v150, 0x7fffffff, 0, s38
	v_and_b32_e32 v3, s61, v3
	v_lshlrev_b32_e32 v3, 2, v3
	ds_read_b32 v3, v3
	s_waitcnt lgkmcnt(0)
	v_add_nc_u32_e32 v3, v3, v57
	v_lshlrev_b64 v[37:38], 2, v[3:4]
	v_xor_b32_e32 v3, v150, v147
	v_add_co_u32 v37, s38, s42, v37
	v_add_co_ci_u32_e64 v38, null, s43, v38, s38
	global_store_dword v[37:38], v3, off
	s_or_b32 exec_lo, exec_lo, s39
	v_cmp_lt_u32_e64 s38, v58, v146
	s_and_saveexec_b32 s64, s38
	s_cbranch_execnz .LBB1355_200
	s_branch .LBB1355_201
.LBB1355_268:                           ;   in Loop: Header=BB1355_104 Depth=2
	global_load_dwordx2 v[35:36], v[37:38], off
	s_or_b32 exec_lo, exec_lo, s39
	s_mov_b32 s46, exec_lo
	v_cmpx_lt_u32_e64 v108, v146
	s_cbranch_execz .LBB1355_203
.LBB1355_269:                           ;   in Loop: Header=BB1355_104 Depth=2
	global_load_dwordx2 v[33:34], v[37:38], off offset:256
	s_or_b32 exec_lo, exec_lo, s46
	s_mov_b32 s46, exec_lo
	v_cmpx_lt_u32_e64 v109, v146
	s_cbranch_execz .LBB1355_204
.LBB1355_270:                           ;   in Loop: Header=BB1355_104 Depth=2
	global_load_dwordx2 v[31:32], v[37:38], off offset:512
	s_or_b32 exec_lo, exec_lo, s46
	s_mov_b32 s46, exec_lo
	v_cmpx_lt_u32_e64 v110, v146
	s_cbranch_execz .LBB1355_205
.LBB1355_271:                           ;   in Loop: Header=BB1355_104 Depth=2
	global_load_dwordx2 v[29:30], v[37:38], off offset:768
	s_or_b32 exec_lo, exec_lo, s46
	s_mov_b32 s46, exec_lo
	v_cmpx_lt_u32_e64 v111, v146
	s_cbranch_execz .LBB1355_206
.LBB1355_272:                           ;   in Loop: Header=BB1355_104 Depth=2
	global_load_dwordx2 v[27:28], v[37:38], off offset:1024
	s_or_b32 exec_lo, exec_lo, s46
	s_mov_b32 s46, exec_lo
	v_cmpx_lt_u32_e64 v112, v146
	s_cbranch_execz .LBB1355_207
.LBB1355_273:                           ;   in Loop: Header=BB1355_104 Depth=2
	global_load_dwordx2 v[23:24], v[37:38], off offset:1280
	s_or_b32 exec_lo, exec_lo, s46
	s_mov_b32 s46, exec_lo
	v_cmpx_lt_u32_e64 v113, v146
	s_cbranch_execz .LBB1355_208
.LBB1355_274:                           ;   in Loop: Header=BB1355_104 Depth=2
	global_load_dwordx2 v[19:20], v[37:38], off offset:1536
	s_or_b32 exec_lo, exec_lo, s46
	s_mov_b32 s46, exec_lo
	v_cmpx_lt_u32_e64 v114, v146
	s_cbranch_execz .LBB1355_209
.LBB1355_275:                           ;   in Loop: Header=BB1355_104 Depth=2
	global_load_dwordx2 v[15:16], v[37:38], off offset:1792
	s_or_b32 exec_lo, exec_lo, s46
	s_mov_b32 s46, exec_lo
	v_cmpx_lt_u32_e64 v115, v146
	s_cbranch_execz .LBB1355_210
.LBB1355_276:                           ;   in Loop: Header=BB1355_104 Depth=2
	v_add_co_u32 v25, s39, 0x800, v37
	v_add_co_ci_u32_e64 v26, null, 0, v38, s39
	global_load_dwordx2 v[25:26], v[25:26], off
	s_or_b32 exec_lo, exec_lo, s46
	s_mov_b32 s46, exec_lo
	v_cmpx_lt_u32_e64 v116, v146
	s_cbranch_execz .LBB1355_211
.LBB1355_277:                           ;   in Loop: Header=BB1355_104 Depth=2
	v_add_co_u32 v21, s39, 0x800, v37
	v_add_co_ci_u32_e64 v22, null, 0, v38, s39
	global_load_dwordx2 v[21:22], v[21:22], off offset:256
	s_or_b32 exec_lo, exec_lo, s46
	s_mov_b32 s46, exec_lo
	v_cmpx_lt_u32_e64 v117, v146
	s_cbranch_execz .LBB1355_212
.LBB1355_278:                           ;   in Loop: Header=BB1355_104 Depth=2
	v_add_co_u32 v17, s39, 0x800, v37
	v_add_co_ci_u32_e64 v18, null, 0, v38, s39
	global_load_dwordx2 v[17:18], v[17:18], off offset:512
	s_or_b32 exec_lo, exec_lo, s46
	s_mov_b32 s46, exec_lo
	v_cmpx_lt_u32_e64 v118, v146
	s_cbranch_execz .LBB1355_213
.LBB1355_279:                           ;   in Loop: Header=BB1355_104 Depth=2
	v_add_co_u32 v13, s39, 0x800, v37
	v_add_co_ci_u32_e64 v14, null, 0, v38, s39
	global_load_dwordx2 v[13:14], v[13:14], off offset:768
	s_or_b32 exec_lo, exec_lo, s46
	s_mov_b32 s46, exec_lo
	v_cmpx_lt_u32_e64 v119, v146
	s_cbranch_execz .LBB1355_214
.LBB1355_280:                           ;   in Loop: Header=BB1355_104 Depth=2
	v_add_co_u32 v11, s39, 0x800, v37
	v_add_co_ci_u32_e64 v12, null, 0, v38, s39
	global_load_dwordx2 v[11:12], v[11:12], off offset:1024
	s_or_b32 exec_lo, exec_lo, s46
	s_mov_b32 s46, exec_lo
	v_cmpx_lt_u32_e64 v121, v146
	s_cbranch_execz .LBB1355_215
.LBB1355_281:                           ;   in Loop: Header=BB1355_104 Depth=2
	v_add_co_u32 v9, s39, 0x800, v37
	v_add_co_ci_u32_e64 v10, null, 0, v38, s39
	global_load_dwordx2 v[9:10], v[9:10], off offset:1280
	s_or_b32 exec_lo, exec_lo, s46
	s_mov_b32 s46, exec_lo
	v_cmpx_lt_u32_e64 v122, v146
	s_cbranch_execz .LBB1355_216
.LBB1355_282:                           ;   in Loop: Header=BB1355_104 Depth=2
	v_add_co_u32 v7, s39, 0x800, v37
	v_add_co_ci_u32_e64 v8, null, 0, v38, s39
	global_load_dwordx2 v[7:8], v[7:8], off offset:1536
	s_or_b32 exec_lo, exec_lo, s46
	s_mov_b32 s46, exec_lo
	v_cmpx_lt_u32_e64 v123, v146
	s_cbranch_execz .LBB1355_217
.LBB1355_283:                           ;   in Loop: Header=BB1355_104 Depth=2
	v_add_co_u32 v5, s39, 0x800, v37
	v_add_co_ci_u32_e64 v6, null, 0, v38, s39
	global_load_dwordx2 v[5:6], v[5:6], off offset:1792
	s_or_b32 exec_lo, exec_lo, s46
	s_and_saveexec_b32 s46, vcc_lo
	s_cbranch_execz .LBB1355_218
.LBB1355_284:                           ;   in Loop: Header=BB1355_104 Depth=2
	ds_read_b32 v3, v66 offset:512
	s_waitcnt lgkmcnt(0)
	v_cmp_ne_u32_e64 s39, 0x80000000, v3
	v_cndmask_b32_e64 v3, 0x7fffffff, v3, s39
	v_lshrrev_b32_e32 v3, s52, v3
	v_and_b32_e32 v144, s61, v3
	s_or_b32 exec_lo, exec_lo, s46
	s_and_saveexec_b32 s46, s23
	s_cbranch_execz .LBB1355_219
.LBB1355_285:                           ;   in Loop: Header=BB1355_104 Depth=2
	ds_read_b32 v3, v66 offset:1536
	s_waitcnt lgkmcnt(0)
	v_cmp_ne_u32_e64 s39, 0x80000000, v3
	v_cndmask_b32_e64 v3, 0x7fffffff, v3, s39
	v_lshrrev_b32_e32 v3, s52, v3
	v_and_b32_e32 v143, s61, v3
	s_or_b32 exec_lo, exec_lo, s46
	s_and_saveexec_b32 s46, s24
	s_cbranch_execz .LBB1355_220
.LBB1355_286:                           ;   in Loop: Header=BB1355_104 Depth=2
	ds_read_b32 v3, v66 offset:2560
	s_waitcnt lgkmcnt(0)
	v_cmp_ne_u32_e64 s39, 0x80000000, v3
	v_cndmask_b32_e64 v3, 0x7fffffff, v3, s39
	v_lshrrev_b32_e32 v3, s52, v3
	v_and_b32_e32 v142, s61, v3
	s_or_b32 exec_lo, exec_lo, s46
	s_and_saveexec_b32 s46, s25
	s_cbranch_execz .LBB1355_221
.LBB1355_287:                           ;   in Loop: Header=BB1355_104 Depth=2
	ds_read_b32 v3, v66 offset:3584
	s_waitcnt lgkmcnt(0)
	v_cmp_ne_u32_e64 s39, 0x80000000, v3
	v_cndmask_b32_e64 v3, 0x7fffffff, v3, s39
	v_lshrrev_b32_e32 v3, s52, v3
	v_and_b32_e32 v141, s61, v3
	s_or_b32 exec_lo, exec_lo, s46
	s_and_saveexec_b32 s46, s26
	s_cbranch_execz .LBB1355_222
.LBB1355_288:                           ;   in Loop: Header=BB1355_104 Depth=2
	ds_read_b32 v3, v66 offset:4608
	s_waitcnt lgkmcnt(0)
	v_cmp_ne_u32_e64 s39, 0x80000000, v3
	v_cndmask_b32_e64 v3, 0x7fffffff, v3, s39
	v_lshrrev_b32_e32 v3, s52, v3
	v_and_b32_e32 v139, s61, v3
	s_or_b32 exec_lo, exec_lo, s46
	s_and_saveexec_b32 s46, s27
	s_cbranch_execz .LBB1355_223
.LBB1355_289:                           ;   in Loop: Header=BB1355_104 Depth=2
	ds_read_b32 v3, v66 offset:5632
	s_waitcnt lgkmcnt(0)
	v_cmp_ne_u32_e64 s39, 0x80000000, v3
	v_cndmask_b32_e64 v3, 0x7fffffff, v3, s39
	v_lshrrev_b32_e32 v3, s52, v3
	v_and_b32_e32 v138, s61, v3
	s_or_b32 exec_lo, exec_lo, s46
	s_and_saveexec_b32 s46, s28
	s_cbranch_execz .LBB1355_224
.LBB1355_290:                           ;   in Loop: Header=BB1355_104 Depth=2
	ds_read_b32 v3, v66 offset:6656
	s_waitcnt lgkmcnt(0)
	v_cmp_ne_u32_e64 s39, 0x80000000, v3
	v_cndmask_b32_e64 v3, 0x7fffffff, v3, s39
	v_lshrrev_b32_e32 v3, s52, v3
	v_and_b32_e32 v137, s61, v3
	s_or_b32 exec_lo, exec_lo, s46
	s_and_saveexec_b32 s46, s29
	s_cbranch_execz .LBB1355_225
.LBB1355_291:                           ;   in Loop: Header=BB1355_104 Depth=2
	ds_read_b32 v3, v66 offset:7680
	s_waitcnt lgkmcnt(0)
	v_cmp_ne_u32_e64 s39, 0x80000000, v3
	v_cndmask_b32_e64 v3, 0x7fffffff, v3, s39
	v_lshrrev_b32_e32 v3, s52, v3
	v_and_b32_e32 v136, s61, v3
	s_or_b32 exec_lo, exec_lo, s46
	s_and_saveexec_b32 s46, s30
	s_cbranch_execz .LBB1355_226
.LBB1355_292:                           ;   in Loop: Header=BB1355_104 Depth=2
	ds_read_b32 v3, v66 offset:8704
	s_waitcnt lgkmcnt(0)
	v_cmp_ne_u32_e64 s39, 0x80000000, v3
	v_cndmask_b32_e64 v3, 0x7fffffff, v3, s39
	v_lshrrev_b32_e32 v3, s52, v3
	v_and_b32_e32 v135, s61, v3
	s_or_b32 exec_lo, exec_lo, s46
	s_and_saveexec_b32 s46, s31
	s_cbranch_execz .LBB1355_227
.LBB1355_293:                           ;   in Loop: Header=BB1355_104 Depth=2
	ds_read_b32 v3, v66 offset:9728
	s_waitcnt lgkmcnt(0)
	v_cmp_ne_u32_e64 s39, 0x80000000, v3
	v_cndmask_b32_e64 v3, 0x7fffffff, v3, s39
	v_lshrrev_b32_e32 v3, s52, v3
	v_and_b32_e32 v134, s61, v3
	s_or_b32 exec_lo, exec_lo, s46
	s_and_saveexec_b32 s46, s33
	s_cbranch_execz .LBB1355_228
.LBB1355_294:                           ;   in Loop: Header=BB1355_104 Depth=2
	ds_read_b32 v3, v66 offset:10752
	s_waitcnt lgkmcnt(0)
	v_cmp_ne_u32_e64 s39, 0x80000000, v3
	v_cndmask_b32_e64 v3, 0x7fffffff, v3, s39
	v_lshrrev_b32_e32 v3, s52, v3
	v_and_b32_e32 v133, s61, v3
	s_or_b32 exec_lo, exec_lo, s46
	s_and_saveexec_b32 s46, s34
	s_cbranch_execz .LBB1355_229
.LBB1355_295:                           ;   in Loop: Header=BB1355_104 Depth=2
	ds_read_b32 v3, v66 offset:11776
	s_waitcnt lgkmcnt(0)
	v_cmp_ne_u32_e64 s39, 0x80000000, v3
	v_cndmask_b32_e64 v3, 0x7fffffff, v3, s39
	v_lshrrev_b32_e32 v3, s52, v3
	v_and_b32_e32 v132, s61, v3
	s_or_b32 exec_lo, exec_lo, s46
	s_and_saveexec_b32 s46, s35
	s_cbranch_execz .LBB1355_230
.LBB1355_296:                           ;   in Loop: Header=BB1355_104 Depth=2
	ds_read_b32 v3, v66 offset:12800
	s_waitcnt lgkmcnt(0)
	v_cmp_ne_u32_e64 s39, 0x80000000, v3
	v_cndmask_b32_e64 v3, 0x7fffffff, v3, s39
	v_lshrrev_b32_e32 v3, s52, v3
	v_and_b32_e32 v131, s61, v3
	s_or_b32 exec_lo, exec_lo, s46
	s_and_saveexec_b32 s46, s36
	s_cbranch_execz .LBB1355_231
.LBB1355_297:                           ;   in Loop: Header=BB1355_104 Depth=2
	ds_read_b32 v3, v66 offset:13824
	s_waitcnt lgkmcnt(0)
	v_cmp_ne_u32_e64 s39, 0x80000000, v3
	v_cndmask_b32_e64 v3, 0x7fffffff, v3, s39
	v_lshrrev_b32_e32 v3, s52, v3
	v_and_b32_e32 v130, s61, v3
	s_or_b32 exec_lo, exec_lo, s46
	s_and_saveexec_b32 s46, s37
	s_cbranch_execz .LBB1355_232
.LBB1355_298:                           ;   in Loop: Header=BB1355_104 Depth=2
	ds_read_b32 v3, v66 offset:14848
	s_waitcnt lgkmcnt(0)
	v_cmp_ne_u32_e64 s39, 0x80000000, v3
	v_cndmask_b32_e64 v3, 0x7fffffff, v3, s39
	v_lshrrev_b32_e32 v3, s52, v3
	v_and_b32_e32 v129, s61, v3
	s_or_b32 exec_lo, exec_lo, s46
	s_and_saveexec_b32 s46, s38
	s_cbranch_execnz .LBB1355_233
	s_branch .LBB1355_234
.LBB1355_299:                           ;   in Loop: Header=BB1355_104 Depth=2
	v_lshlrev_b32_e32 v3, 2, v144
	v_add_nc_u32_e32 v37, v66, v41
	ds_read_b32 v3, v3
	ds_read_b64 v[37:38], v37 offset:512
	s_waitcnt lgkmcnt(1)
	v_add_nc_u32_e32 v3, v3, v0
	v_lshlrev_b64 v[39:40], 3, v[3:4]
	v_add_co_u32 v39, vcc_lo, s48, v39
	v_add_co_ci_u32_e64 v40, null, s49, v40, vcc_lo
	s_waitcnt lgkmcnt(0)
	global_store_dwordx2 v[39:40], v[37:38], off
	s_or_b32 exec_lo, exec_lo, s39
	s_and_saveexec_b32 s39, s23
	s_cbranch_execz .LBB1355_236
.LBB1355_300:                           ;   in Loop: Header=BB1355_104 Depth=2
	v_lshlrev_b32_e32 v3, 2, v143
	v_add_nc_u32_e32 v37, v66, v41
	ds_read_b32 v3, v3
	ds_read_b64 v[37:38], v37 offset:2560
	s_waitcnt lgkmcnt(1)
	v_add_nc_u32_e32 v3, v3, v42
	v_lshlrev_b64 v[39:40], 3, v[3:4]
	v_add_co_u32 v39, vcc_lo, s48, v39
	v_add_co_ci_u32_e64 v40, null, s49, v40, vcc_lo
	s_waitcnt lgkmcnt(0)
	global_store_dwordx2 v[39:40], v[37:38], off
	s_or_b32 exec_lo, exec_lo, s39
	s_and_saveexec_b32 s23, s24
	s_cbranch_execz .LBB1355_237
.LBB1355_301:                           ;   in Loop: Header=BB1355_104 Depth=2
	v_lshlrev_b32_e32 v3, 2, v142
	v_add_nc_u32_e32 v37, v66, v41
	ds_read_b32 v3, v3
	ds_read_b64 v[37:38], v37 offset:4608
	s_waitcnt lgkmcnt(1)
	v_add_nc_u32_e32 v3, v3, v45
	v_lshlrev_b64 v[39:40], 3, v[3:4]
	v_add_co_u32 v39, vcc_lo, s48, v39
	v_add_co_ci_u32_e64 v40, null, s49, v40, vcc_lo
	s_waitcnt lgkmcnt(0)
	global_store_dwordx2 v[39:40], v[37:38], off
	s_or_b32 exec_lo, exec_lo, s23
	s_and_saveexec_b32 s23, s25
	s_cbranch_execz .LBB1355_238
.LBB1355_302:                           ;   in Loop: Header=BB1355_104 Depth=2
	v_lshlrev_b32_e32 v3, 2, v141
	v_add_nc_u32_e32 v37, v66, v41
	ds_read_b32 v3, v3
	ds_read_b64 v[37:38], v37 offset:6656
	s_waitcnt lgkmcnt(1)
	v_add_nc_u32_e32 v3, v3, v46
	v_lshlrev_b64 v[39:40], 3, v[3:4]
	v_add_co_u32 v39, vcc_lo, s48, v39
	v_add_co_ci_u32_e64 v40, null, s49, v40, vcc_lo
	s_waitcnt lgkmcnt(0)
	global_store_dwordx2 v[39:40], v[37:38], off
	s_or_b32 exec_lo, exec_lo, s23
	s_and_saveexec_b32 s23, s26
	s_cbranch_execz .LBB1355_239
.LBB1355_303:                           ;   in Loop: Header=BB1355_104 Depth=2
	v_lshlrev_b32_e32 v3, 2, v139
	v_add_nc_u32_e32 v37, v66, v41
	ds_read_b32 v3, v3
	ds_read_b64 v[37:38], v37 offset:8704
	s_waitcnt lgkmcnt(1)
	v_add_nc_u32_e32 v3, v3, v47
	v_lshlrev_b64 v[39:40], 3, v[3:4]
	v_add_co_u32 v39, vcc_lo, s48, v39
	v_add_co_ci_u32_e64 v40, null, s49, v40, vcc_lo
	s_waitcnt lgkmcnt(0)
	global_store_dwordx2 v[39:40], v[37:38], off
	s_or_b32 exec_lo, exec_lo, s23
	s_and_saveexec_b32 s23, s27
	s_cbranch_execz .LBB1355_240
.LBB1355_304:                           ;   in Loop: Header=BB1355_104 Depth=2
	v_lshlrev_b32_e32 v3, 2, v138
	v_add_nc_u32_e32 v37, v66, v41
	ds_read_b32 v3, v3
	ds_read_b64 v[37:38], v37 offset:10752
	s_waitcnt lgkmcnt(1)
	v_add_nc_u32_e32 v3, v3, v48
	v_lshlrev_b64 v[39:40], 3, v[3:4]
	v_add_co_u32 v39, vcc_lo, s48, v39
	v_add_co_ci_u32_e64 v40, null, s49, v40, vcc_lo
	s_waitcnt lgkmcnt(0)
	global_store_dwordx2 v[39:40], v[37:38], off
	s_or_b32 exec_lo, exec_lo, s23
	s_and_saveexec_b32 s23, s28
	s_cbranch_execz .LBB1355_241
.LBB1355_305:                           ;   in Loop: Header=BB1355_104 Depth=2
	v_lshlrev_b32_e32 v3, 2, v137
	v_add_nc_u32_e32 v37, v66, v41
	ds_read_b32 v3, v3
	ds_read_b64 v[37:38], v37 offset:12800
	s_waitcnt lgkmcnt(1)
	v_add_nc_u32_e32 v3, v3, v49
	v_lshlrev_b64 v[39:40], 3, v[3:4]
	v_add_co_u32 v39, vcc_lo, s48, v39
	v_add_co_ci_u32_e64 v40, null, s49, v40, vcc_lo
	s_waitcnt lgkmcnt(0)
	global_store_dwordx2 v[39:40], v[37:38], off
	s_or_b32 exec_lo, exec_lo, s23
	s_and_saveexec_b32 s23, s29
	s_cbranch_execz .LBB1355_242
.LBB1355_306:                           ;   in Loop: Header=BB1355_104 Depth=2
	v_lshlrev_b32_e32 v3, 2, v136
	v_add_nc_u32_e32 v37, v66, v41
	ds_read_b32 v3, v3
	ds_read_b64 v[37:38], v37 offset:14848
	s_waitcnt lgkmcnt(1)
	v_add_nc_u32_e32 v3, v3, v50
	v_lshlrev_b64 v[39:40], 3, v[3:4]
	v_add_co_u32 v39, vcc_lo, s48, v39
	v_add_co_ci_u32_e64 v40, null, s49, v40, vcc_lo
	s_waitcnt lgkmcnt(0)
	global_store_dwordx2 v[39:40], v[37:38], off
	s_or_b32 exec_lo, exec_lo, s23
	s_and_saveexec_b32 s23, s30
	s_cbranch_execz .LBB1355_243
.LBB1355_307:                           ;   in Loop: Header=BB1355_104 Depth=2
	v_lshlrev_b32_e32 v3, 2, v135
	v_add_nc_u32_e32 v37, v66, v41
	ds_read_b32 v3, v3
	ds_read_b64 v[37:38], v37 offset:16896
	s_waitcnt lgkmcnt(1)
	v_add_nc_u32_e32 v3, v3, v51
	v_lshlrev_b64 v[39:40], 3, v[3:4]
	v_add_co_u32 v39, vcc_lo, s48, v39
	v_add_co_ci_u32_e64 v40, null, s49, v40, vcc_lo
	s_waitcnt lgkmcnt(0)
	global_store_dwordx2 v[39:40], v[37:38], off
	s_or_b32 exec_lo, exec_lo, s23
	s_and_saveexec_b32 s23, s31
	s_cbranch_execz .LBB1355_244
.LBB1355_308:                           ;   in Loop: Header=BB1355_104 Depth=2
	v_lshlrev_b32_e32 v3, 2, v134
	v_add_nc_u32_e32 v37, v66, v41
	ds_read_b32 v3, v3
	ds_read_b64 v[37:38], v37 offset:18944
	s_waitcnt lgkmcnt(1)
	v_add_nc_u32_e32 v3, v3, v52
	v_lshlrev_b64 v[39:40], 3, v[3:4]
	v_add_co_u32 v39, vcc_lo, s48, v39
	v_add_co_ci_u32_e64 v40, null, s49, v40, vcc_lo
	s_waitcnt lgkmcnt(0)
	global_store_dwordx2 v[39:40], v[37:38], off
	s_or_b32 exec_lo, exec_lo, s23
	s_and_saveexec_b32 s23, s33
	s_cbranch_execz .LBB1355_245
.LBB1355_309:                           ;   in Loop: Header=BB1355_104 Depth=2
	v_lshlrev_b32_e32 v3, 2, v133
	v_add_nc_u32_e32 v37, v66, v41
	ds_read_b32 v3, v3
	ds_read_b64 v[37:38], v37 offset:20992
	s_waitcnt lgkmcnt(1)
	v_add_nc_u32_e32 v3, v3, v53
	v_lshlrev_b64 v[39:40], 3, v[3:4]
	v_add_co_u32 v39, vcc_lo, s48, v39
	v_add_co_ci_u32_e64 v40, null, s49, v40, vcc_lo
	s_waitcnt lgkmcnt(0)
	global_store_dwordx2 v[39:40], v[37:38], off
	s_or_b32 exec_lo, exec_lo, s23
	s_and_saveexec_b32 s23, s34
	s_cbranch_execz .LBB1355_246
.LBB1355_310:                           ;   in Loop: Header=BB1355_104 Depth=2
	v_lshlrev_b32_e32 v3, 2, v132
	v_add_nc_u32_e32 v37, v66, v41
	ds_read_b32 v3, v3
	ds_read_b64 v[37:38], v37 offset:23040
	s_waitcnt lgkmcnt(1)
	v_add_nc_u32_e32 v3, v3, v54
	v_lshlrev_b64 v[39:40], 3, v[3:4]
	v_add_co_u32 v39, vcc_lo, s48, v39
	v_add_co_ci_u32_e64 v40, null, s49, v40, vcc_lo
	s_waitcnt lgkmcnt(0)
	global_store_dwordx2 v[39:40], v[37:38], off
	s_or_b32 exec_lo, exec_lo, s23
	s_and_saveexec_b32 s23, s35
	s_cbranch_execz .LBB1355_247
.LBB1355_311:                           ;   in Loop: Header=BB1355_104 Depth=2
	v_lshlrev_b32_e32 v3, 2, v131
	v_add_nc_u32_e32 v37, v66, v41
	ds_read_b32 v3, v3
	ds_read_b64 v[37:38], v37 offset:25088
	s_waitcnt lgkmcnt(1)
	v_add_nc_u32_e32 v3, v3, v55
	v_lshlrev_b64 v[39:40], 3, v[3:4]
	v_add_co_u32 v39, vcc_lo, s48, v39
	v_add_co_ci_u32_e64 v40, null, s49, v40, vcc_lo
	s_waitcnt lgkmcnt(0)
	global_store_dwordx2 v[39:40], v[37:38], off
	s_or_b32 exec_lo, exec_lo, s23
	s_and_saveexec_b32 s23, s36
	s_cbranch_execz .LBB1355_248
.LBB1355_312:                           ;   in Loop: Header=BB1355_104 Depth=2
	v_lshlrev_b32_e32 v3, 2, v130
	v_add_nc_u32_e32 v37, v66, v41
	ds_read_b32 v3, v3
	ds_read_b64 v[37:38], v37 offset:27136
	s_waitcnt lgkmcnt(1)
	v_add_nc_u32_e32 v3, v3, v56
	v_lshlrev_b64 v[39:40], 3, v[3:4]
	v_add_co_u32 v39, vcc_lo, s48, v39
	v_add_co_ci_u32_e64 v40, null, s49, v40, vcc_lo
	s_waitcnt lgkmcnt(0)
	global_store_dwordx2 v[39:40], v[37:38], off
	s_or_b32 exec_lo, exec_lo, s23
	s_and_saveexec_b32 s23, s37
	s_cbranch_execz .LBB1355_249
.LBB1355_313:                           ;   in Loop: Header=BB1355_104 Depth=2
	v_lshlrev_b32_e32 v3, 2, v129
	v_add_nc_u32_e32 v37, v66, v41
	ds_read_b32 v3, v3
	ds_read_b64 v[37:38], v37 offset:29184
	s_waitcnt lgkmcnt(1)
	v_add_nc_u32_e32 v3, v3, v57
	v_lshlrev_b64 v[39:40], 3, v[3:4]
	v_add_co_u32 v39, vcc_lo, s48, v39
	v_add_co_ci_u32_e64 v40, null, s49, v40, vcc_lo
	s_waitcnt lgkmcnt(0)
	global_store_dwordx2 v[39:40], v[37:38], off
	s_or_b32 exec_lo, exec_lo, s23
	s_and_saveexec_b32 s23, s38
	s_cbranch_execnz .LBB1355_250
	s_branch .LBB1355_251
.LBB1355_314:                           ;   in Loop: Header=BB1355_20 Depth=1
	s_waitcnt lgkmcnt(0)
	s_mov_b32 s5, 0
	s_barrier
.LBB1355_315:                           ;   in Loop: Header=BB1355_20 Depth=1
	s_and_b32 vcc_lo, exec_lo, s5
	s_cbranch_vccz .LBB1355_609
; %bb.316:                              ;   in Loop: Header=BB1355_20 Depth=1
	s_mov_b32 s5, s60
	s_mov_b32 s46, s58
	s_barrier
	buffer_gl0_inv
                                        ; implicit-def: $vgpr3
                                        ; implicit-def: $vgpr5
                                        ; implicit-def: $vgpr6
                                        ; implicit-def: $vgpr7
                                        ; implicit-def: $vgpr8
                                        ; implicit-def: $vgpr9
                                        ; implicit-def: $vgpr10
                                        ; implicit-def: $vgpr11
                                        ; implicit-def: $vgpr12
                                        ; implicit-def: $vgpr13
                                        ; implicit-def: $vgpr14
                                        ; implicit-def: $vgpr15
                                        ; implicit-def: $vgpr16
                                        ; implicit-def: $vgpr17
                                        ; implicit-def: $vgpr18
                                        ; implicit-def: $vgpr19
	s_branch .LBB1355_318
.LBB1355_317:                           ;   in Loop: Header=BB1355_318 Depth=2
	s_or_b32 exec_lo, exec_lo, s16
	s_addk_i32 s5, 0xf000
	s_cmp_ge_u32 s18, s59
	s_mov_b32 s46, s18
	s_cbranch_scc1 .LBB1355_386
.LBB1355_318:                           ;   Parent Loop BB1355_20 Depth=1
                                        ; =>  This Inner Loop Header: Depth=2
	s_add_i32 s18, s46, 0x1000
	s_mov_b32 s16, -1
	s_cmp_gt_u32 s18, s59
                                        ; implicit-def: $vgpr20
                                        ; implicit-def: $vgpr21
                                        ; implicit-def: $vgpr24
                                        ; implicit-def: $vgpr22
                                        ; implicit-def: $vgpr26
                                        ; implicit-def: $vgpr23
                                        ; implicit-def: $vgpr28
                                        ; implicit-def: $vgpr25
                                        ; implicit-def: $vgpr30
                                        ; implicit-def: $vgpr27
                                        ; implicit-def: $vgpr31
                                        ; implicit-def: $vgpr29
                                        ; implicit-def: $vgpr33
                                        ; implicit-def: $vgpr32
                                        ; implicit-def: $vgpr34
                                        ; implicit-def: $vgpr35
	s_cbranch_scc1 .LBB1355_320
; %bb.319:                              ;   in Loop: Header=BB1355_318 Depth=2
	s_lshl_b64 s[16:17], s[46:47], 2
	v_add_co_u32 v30, vcc_lo, v69, s16
	v_add_co_ci_u32_e64 v31, null, s17, v70, vcc_lo
	s_mov_b32 s16, 0
	v_add_co_u32 v22, vcc_lo, 0x800, v30
	v_add_co_ci_u32_e64 v23, null, 0, v31, vcc_lo
	v_add_co_u32 v33, vcc_lo, v30, 0x1000
	v_add_co_ci_u32_e64 v34, null, 0, v31, vcc_lo
	;; [unrolled: 2-line block ×9, first 2 shown]
	s_clause 0x7
	global_load_dword v20, v[30:31], off
	global_load_dword v21, v[30:31], off offset:1024
	global_load_dword v22, v[22:23], off offset:1024
	;; [unrolled: 1-line block ×7, first 2 shown]
	v_add_co_u32 v37, vcc_lo, 0x3800, v30
	v_add_co_ci_u32_e64 v38, null, 0, v31, vcc_lo
	s_clause 0x7
	global_load_dword v24, v[33:34], off offset:-2048
	global_load_dword v26, v[33:34], off
	global_load_dword v28, v[35:36], off offset:-2048
	global_load_dword v30, v[35:36], off
	;; [unrolled: 2-line block ×3, first 2 shown]
	global_load_dword v34, v[37:38], off
	global_load_dword v35, v[37:38], off offset:1024
.LBB1355_320:                           ;   in Loop: Header=BB1355_318 Depth=2
	s_andn2_b32 vcc_lo, exec_lo, s16
	s_movk_i32 s16, 0x1000
	s_cbranch_vccnz .LBB1355_339
; %bb.321:                              ;   in Loop: Header=BB1355_318 Depth=2
	s_lshl_b64 s[16:17], s[46:47], 2
	s_mov_b32 s19, exec_lo
	s_add_u32 s16, s42, s16
	s_addc_u32 s17, s43, s17
	v_cmpx_gt_u32_e64 s5, v0
	s_cbranch_execnz .LBB1355_371
; %bb.322:                              ;   in Loop: Header=BB1355_318 Depth=2
	s_or_b32 exec_lo, exec_lo, s19
	s_mov_b32 s19, exec_lo
	v_cmpx_gt_u32_e64 s5, v42
	s_cbranch_execnz .LBB1355_372
.LBB1355_323:                           ;   in Loop: Header=BB1355_318 Depth=2
	s_or_b32 exec_lo, exec_lo, s19
	s_mov_b32 s19, exec_lo
	v_cmpx_gt_u32_e64 s5, v45
	s_cbranch_execnz .LBB1355_373
.LBB1355_324:                           ;   in Loop: Header=BB1355_318 Depth=2
	s_or_b32 exec_lo, exec_lo, s19
	s_mov_b32 s19, exec_lo
	v_cmpx_gt_u32_e64 s5, v46
	s_cbranch_execnz .LBB1355_374
.LBB1355_325:                           ;   in Loop: Header=BB1355_318 Depth=2
	s_or_b32 exec_lo, exec_lo, s19
	s_mov_b32 s19, exec_lo
	v_cmpx_gt_u32_e64 s5, v47
	s_cbranch_execnz .LBB1355_375
.LBB1355_326:                           ;   in Loop: Header=BB1355_318 Depth=2
	s_or_b32 exec_lo, exec_lo, s19
	s_mov_b32 s19, exec_lo
	v_cmpx_gt_u32_e64 s5, v48
	s_cbranch_execnz .LBB1355_376
.LBB1355_327:                           ;   in Loop: Header=BB1355_318 Depth=2
	s_or_b32 exec_lo, exec_lo, s19
	s_mov_b32 s19, exec_lo
	v_cmpx_gt_u32_e64 s5, v49
	s_cbranch_execnz .LBB1355_377
.LBB1355_328:                           ;   in Loop: Header=BB1355_318 Depth=2
	s_or_b32 exec_lo, exec_lo, s19
	s_mov_b32 s19, exec_lo
	v_cmpx_gt_u32_e64 s5, v50
	s_cbranch_execnz .LBB1355_378
.LBB1355_329:                           ;   in Loop: Header=BB1355_318 Depth=2
	s_or_b32 exec_lo, exec_lo, s19
	s_mov_b32 s19, exec_lo
	v_cmpx_gt_u32_e64 s5, v51
	s_cbranch_execnz .LBB1355_379
.LBB1355_330:                           ;   in Loop: Header=BB1355_318 Depth=2
	s_or_b32 exec_lo, exec_lo, s19
	s_mov_b32 s19, exec_lo
	v_cmpx_gt_u32_e64 s5, v52
	s_cbranch_execnz .LBB1355_380
.LBB1355_331:                           ;   in Loop: Header=BB1355_318 Depth=2
	s_or_b32 exec_lo, exec_lo, s19
	s_mov_b32 s19, exec_lo
	v_cmpx_gt_u32_e64 s5, v53
	s_cbranch_execnz .LBB1355_381
.LBB1355_332:                           ;   in Loop: Header=BB1355_318 Depth=2
	s_or_b32 exec_lo, exec_lo, s19
	s_mov_b32 s19, exec_lo
	v_cmpx_gt_u32_e64 s5, v54
	s_cbranch_execnz .LBB1355_382
.LBB1355_333:                           ;   in Loop: Header=BB1355_318 Depth=2
	s_or_b32 exec_lo, exec_lo, s19
	s_mov_b32 s19, exec_lo
	v_cmpx_gt_u32_e64 s5, v55
	s_cbranch_execnz .LBB1355_383
.LBB1355_334:                           ;   in Loop: Header=BB1355_318 Depth=2
	s_or_b32 exec_lo, exec_lo, s19
	s_mov_b32 s19, exec_lo
	v_cmpx_gt_u32_e64 s5, v56
	s_cbranch_execnz .LBB1355_384
.LBB1355_335:                           ;   in Loop: Header=BB1355_318 Depth=2
	s_or_b32 exec_lo, exec_lo, s19
	s_mov_b32 s19, exec_lo
	v_cmpx_gt_u32_e64 s5, v57
	s_cbranch_execnz .LBB1355_385
.LBB1355_336:                           ;   in Loop: Header=BB1355_318 Depth=2
	s_or_b32 exec_lo, exec_lo, s19
	s_mov_b32 s19, exec_lo
	v_cmpx_gt_u32_e64 s5, v58
	s_cbranch_execz .LBB1355_338
.LBB1355_337:                           ;   in Loop: Header=BB1355_318 Depth=2
	global_load_dword v3, v100, s[16:17]
.LBB1355_338:                           ;   in Loop: Header=BB1355_318 Depth=2
	s_or_b32 exec_lo, exec_lo, s19
	s_waitcnt vmcnt(0)
	v_mov_b32_e32 v20, v19
	v_mov_b32_e32 v21, v18
	;; [unrolled: 1-line block ×16, first 2 shown]
	s_mov_b32 s16, s5
.LBB1355_339:                           ;   in Loop: Header=BB1355_318 Depth=2
	s_waitcnt vmcnt(0)
	v_mov_b32_e32 v3, v35
	v_mov_b32_e32 v5, v34
	;; [unrolled: 1-line block ×16, first 2 shown]
	s_mov_b32 s17, exec_lo
	v_cmpx_gt_u32_e64 s16, v0
	s_cbranch_execnz .LBB1355_355
; %bb.340:                              ;   in Loop: Header=BB1355_318 Depth=2
	s_or_b32 exec_lo, exec_lo, s17
	s_mov_b32 s17, exec_lo
	v_cmpx_gt_u32_e64 s16, v42
	s_cbranch_execnz .LBB1355_356
.LBB1355_341:                           ;   in Loop: Header=BB1355_318 Depth=2
	s_or_b32 exec_lo, exec_lo, s17
	s_mov_b32 s17, exec_lo
	v_cmpx_gt_u32_e64 s16, v45
	s_cbranch_execnz .LBB1355_357
.LBB1355_342:                           ;   in Loop: Header=BB1355_318 Depth=2
	s_or_b32 exec_lo, exec_lo, s17
	s_mov_b32 s17, exec_lo
	v_cmpx_gt_u32_e64 s16, v46
	s_cbranch_execnz .LBB1355_358
.LBB1355_343:                           ;   in Loop: Header=BB1355_318 Depth=2
	s_or_b32 exec_lo, exec_lo, s17
	s_mov_b32 s17, exec_lo
	v_cmpx_gt_u32_e64 s16, v47
	s_cbranch_execnz .LBB1355_359
.LBB1355_344:                           ;   in Loop: Header=BB1355_318 Depth=2
	s_or_b32 exec_lo, exec_lo, s17
	s_mov_b32 s17, exec_lo
	v_cmpx_gt_u32_e64 s16, v48
	s_cbranch_execnz .LBB1355_360
.LBB1355_345:                           ;   in Loop: Header=BB1355_318 Depth=2
	s_or_b32 exec_lo, exec_lo, s17
	s_mov_b32 s17, exec_lo
	v_cmpx_gt_u32_e64 s16, v49
	s_cbranch_execnz .LBB1355_361
.LBB1355_346:                           ;   in Loop: Header=BB1355_318 Depth=2
	s_or_b32 exec_lo, exec_lo, s17
	s_mov_b32 s17, exec_lo
	v_cmpx_gt_u32_e64 s16, v50
	s_cbranch_execnz .LBB1355_362
.LBB1355_347:                           ;   in Loop: Header=BB1355_318 Depth=2
	s_or_b32 exec_lo, exec_lo, s17
	s_mov_b32 s17, exec_lo
	v_cmpx_gt_u32_e64 s16, v51
	s_cbranch_execnz .LBB1355_363
.LBB1355_348:                           ;   in Loop: Header=BB1355_318 Depth=2
	s_or_b32 exec_lo, exec_lo, s17
	s_mov_b32 s17, exec_lo
	v_cmpx_gt_u32_e64 s16, v52
	s_cbranch_execnz .LBB1355_364
.LBB1355_349:                           ;   in Loop: Header=BB1355_318 Depth=2
	s_or_b32 exec_lo, exec_lo, s17
	s_mov_b32 s17, exec_lo
	v_cmpx_gt_u32_e64 s16, v53
	s_cbranch_execnz .LBB1355_365
.LBB1355_350:                           ;   in Loop: Header=BB1355_318 Depth=2
	s_or_b32 exec_lo, exec_lo, s17
	s_mov_b32 s17, exec_lo
	v_cmpx_gt_u32_e64 s16, v54
	s_cbranch_execnz .LBB1355_366
.LBB1355_351:                           ;   in Loop: Header=BB1355_318 Depth=2
	s_or_b32 exec_lo, exec_lo, s17
	s_mov_b32 s17, exec_lo
	v_cmpx_gt_u32_e64 s16, v55
	s_cbranch_execnz .LBB1355_367
.LBB1355_352:                           ;   in Loop: Header=BB1355_318 Depth=2
	s_or_b32 exec_lo, exec_lo, s17
	s_mov_b32 s17, exec_lo
	v_cmpx_gt_u32_e64 s16, v56
	s_cbranch_execnz .LBB1355_368
.LBB1355_353:                           ;   in Loop: Header=BB1355_318 Depth=2
	s_or_b32 exec_lo, exec_lo, s17
	s_mov_b32 s17, exec_lo
	v_cmpx_gt_u32_e64 s16, v57
	s_cbranch_execnz .LBB1355_369
.LBB1355_354:                           ;   in Loop: Header=BB1355_318 Depth=2
	s_or_b32 exec_lo, exec_lo, s17
	v_cmp_gt_u32_e32 vcc_lo, s16, v58
	s_and_saveexec_b32 s16, vcc_lo
	s_cbranch_execz .LBB1355_317
	s_branch .LBB1355_370
.LBB1355_355:                           ;   in Loop: Header=BB1355_318 Depth=2
	v_cmp_gt_i32_e32 vcc_lo, 0, v19
	v_cndmask_b32_e64 v20, 0x7fffffff, 0, vcc_lo
	v_xor_b32_e32 v20, v20, v19
	v_cmp_ne_u32_e32 vcc_lo, 0x80000000, v20
	v_cndmask_b32_e32 v20, 0x7fffffff, v20, vcc_lo
	v_lshrrev_b32_e32 v20, s52, v20
	v_and_b32_e32 v20, s61, v20
	v_lshl_or_b32 v20, v20, 4, v59
	ds_add_u32 v20, v82
	s_or_b32 exec_lo, exec_lo, s17
	s_mov_b32 s17, exec_lo
	v_cmpx_gt_u32_e64 s16, v42
	s_cbranch_execz .LBB1355_341
.LBB1355_356:                           ;   in Loop: Header=BB1355_318 Depth=2
	v_cmp_gt_i32_e32 vcc_lo, 0, v18
	v_cndmask_b32_e64 v20, 0x7fffffff, 0, vcc_lo
	v_xor_b32_e32 v20, v20, v18
	v_cmp_ne_u32_e32 vcc_lo, 0x80000000, v20
	v_cndmask_b32_e32 v20, 0x7fffffff, v20, vcc_lo
	v_lshrrev_b32_e32 v20, s52, v20
	v_and_b32_e32 v20, s61, v20
	v_lshl_or_b32 v20, v20, 4, v59
	ds_add_u32 v20, v82
	s_or_b32 exec_lo, exec_lo, s17
	s_mov_b32 s17, exec_lo
	v_cmpx_gt_u32_e64 s16, v45
	s_cbranch_execz .LBB1355_342
.LBB1355_357:                           ;   in Loop: Header=BB1355_318 Depth=2
	v_cmp_gt_i32_e32 vcc_lo, 0, v17
	v_cndmask_b32_e64 v20, 0x7fffffff, 0, vcc_lo
	v_xor_b32_e32 v20, v20, v17
	v_cmp_ne_u32_e32 vcc_lo, 0x80000000, v20
	v_cndmask_b32_e32 v20, 0x7fffffff, v20, vcc_lo
	v_lshrrev_b32_e32 v20, s52, v20
	v_and_b32_e32 v20, s61, v20
	v_lshl_or_b32 v20, v20, 4, v59
	ds_add_u32 v20, v82
	s_or_b32 exec_lo, exec_lo, s17
	s_mov_b32 s17, exec_lo
	v_cmpx_gt_u32_e64 s16, v46
	s_cbranch_execz .LBB1355_343
.LBB1355_358:                           ;   in Loop: Header=BB1355_318 Depth=2
	v_cmp_gt_i32_e32 vcc_lo, 0, v16
	v_cndmask_b32_e64 v20, 0x7fffffff, 0, vcc_lo
	v_xor_b32_e32 v20, v20, v16
	v_cmp_ne_u32_e32 vcc_lo, 0x80000000, v20
	v_cndmask_b32_e32 v20, 0x7fffffff, v20, vcc_lo
	v_lshrrev_b32_e32 v20, s52, v20
	v_and_b32_e32 v20, s61, v20
	v_lshl_or_b32 v20, v20, 4, v59
	ds_add_u32 v20, v82
	s_or_b32 exec_lo, exec_lo, s17
	s_mov_b32 s17, exec_lo
	v_cmpx_gt_u32_e64 s16, v47
	s_cbranch_execz .LBB1355_344
.LBB1355_359:                           ;   in Loop: Header=BB1355_318 Depth=2
	v_cmp_gt_i32_e32 vcc_lo, 0, v15
	v_cndmask_b32_e64 v20, 0x7fffffff, 0, vcc_lo
	v_xor_b32_e32 v20, v20, v15
	v_cmp_ne_u32_e32 vcc_lo, 0x80000000, v20
	v_cndmask_b32_e32 v20, 0x7fffffff, v20, vcc_lo
	v_lshrrev_b32_e32 v20, s52, v20
	v_and_b32_e32 v20, s61, v20
	v_lshl_or_b32 v20, v20, 4, v59
	ds_add_u32 v20, v82
	s_or_b32 exec_lo, exec_lo, s17
	s_mov_b32 s17, exec_lo
	v_cmpx_gt_u32_e64 s16, v48
	s_cbranch_execz .LBB1355_345
.LBB1355_360:                           ;   in Loop: Header=BB1355_318 Depth=2
	v_cmp_gt_i32_e32 vcc_lo, 0, v14
	v_cndmask_b32_e64 v20, 0x7fffffff, 0, vcc_lo
	v_xor_b32_e32 v20, v20, v14
	v_cmp_ne_u32_e32 vcc_lo, 0x80000000, v20
	v_cndmask_b32_e32 v20, 0x7fffffff, v20, vcc_lo
	v_lshrrev_b32_e32 v20, s52, v20
	v_and_b32_e32 v20, s61, v20
	v_lshl_or_b32 v20, v20, 4, v59
	ds_add_u32 v20, v82
	s_or_b32 exec_lo, exec_lo, s17
	s_mov_b32 s17, exec_lo
	v_cmpx_gt_u32_e64 s16, v49
	s_cbranch_execz .LBB1355_346
.LBB1355_361:                           ;   in Loop: Header=BB1355_318 Depth=2
	v_cmp_gt_i32_e32 vcc_lo, 0, v13
	v_cndmask_b32_e64 v20, 0x7fffffff, 0, vcc_lo
	v_xor_b32_e32 v20, v20, v13
	v_cmp_ne_u32_e32 vcc_lo, 0x80000000, v20
	v_cndmask_b32_e32 v20, 0x7fffffff, v20, vcc_lo
	v_lshrrev_b32_e32 v20, s52, v20
	v_and_b32_e32 v20, s61, v20
	v_lshl_or_b32 v20, v20, 4, v59
	ds_add_u32 v20, v82
	s_or_b32 exec_lo, exec_lo, s17
	s_mov_b32 s17, exec_lo
	v_cmpx_gt_u32_e64 s16, v50
	s_cbranch_execz .LBB1355_347
.LBB1355_362:                           ;   in Loop: Header=BB1355_318 Depth=2
	v_cmp_gt_i32_e32 vcc_lo, 0, v12
	v_cndmask_b32_e64 v20, 0x7fffffff, 0, vcc_lo
	v_xor_b32_e32 v20, v20, v12
	v_cmp_ne_u32_e32 vcc_lo, 0x80000000, v20
	v_cndmask_b32_e32 v20, 0x7fffffff, v20, vcc_lo
	v_lshrrev_b32_e32 v20, s52, v20
	v_and_b32_e32 v20, s61, v20
	v_lshl_or_b32 v20, v20, 4, v59
	ds_add_u32 v20, v82
	s_or_b32 exec_lo, exec_lo, s17
	s_mov_b32 s17, exec_lo
	v_cmpx_gt_u32_e64 s16, v51
	s_cbranch_execz .LBB1355_348
.LBB1355_363:                           ;   in Loop: Header=BB1355_318 Depth=2
	v_cmp_gt_i32_e32 vcc_lo, 0, v11
	v_cndmask_b32_e64 v20, 0x7fffffff, 0, vcc_lo
	v_xor_b32_e32 v20, v20, v11
	v_cmp_ne_u32_e32 vcc_lo, 0x80000000, v20
	v_cndmask_b32_e32 v20, 0x7fffffff, v20, vcc_lo
	v_lshrrev_b32_e32 v20, s52, v20
	v_and_b32_e32 v20, s61, v20
	v_lshl_or_b32 v20, v20, 4, v59
	ds_add_u32 v20, v82
	s_or_b32 exec_lo, exec_lo, s17
	s_mov_b32 s17, exec_lo
	v_cmpx_gt_u32_e64 s16, v52
	s_cbranch_execz .LBB1355_349
.LBB1355_364:                           ;   in Loop: Header=BB1355_318 Depth=2
	v_cmp_gt_i32_e32 vcc_lo, 0, v10
	v_cndmask_b32_e64 v20, 0x7fffffff, 0, vcc_lo
	v_xor_b32_e32 v20, v20, v10
	v_cmp_ne_u32_e32 vcc_lo, 0x80000000, v20
	v_cndmask_b32_e32 v20, 0x7fffffff, v20, vcc_lo
	v_lshrrev_b32_e32 v20, s52, v20
	v_and_b32_e32 v20, s61, v20
	v_lshl_or_b32 v20, v20, 4, v59
	ds_add_u32 v20, v82
	s_or_b32 exec_lo, exec_lo, s17
	s_mov_b32 s17, exec_lo
	v_cmpx_gt_u32_e64 s16, v53
	s_cbranch_execz .LBB1355_350
.LBB1355_365:                           ;   in Loop: Header=BB1355_318 Depth=2
	v_cmp_gt_i32_e32 vcc_lo, 0, v9
	v_cndmask_b32_e64 v20, 0x7fffffff, 0, vcc_lo
	v_xor_b32_e32 v20, v20, v9
	v_cmp_ne_u32_e32 vcc_lo, 0x80000000, v20
	v_cndmask_b32_e32 v20, 0x7fffffff, v20, vcc_lo
	v_lshrrev_b32_e32 v20, s52, v20
	v_and_b32_e32 v20, s61, v20
	v_lshl_or_b32 v20, v20, 4, v59
	ds_add_u32 v20, v82
	s_or_b32 exec_lo, exec_lo, s17
	s_mov_b32 s17, exec_lo
	v_cmpx_gt_u32_e64 s16, v54
	s_cbranch_execz .LBB1355_351
.LBB1355_366:                           ;   in Loop: Header=BB1355_318 Depth=2
	v_cmp_gt_i32_e32 vcc_lo, 0, v8
	v_cndmask_b32_e64 v20, 0x7fffffff, 0, vcc_lo
	v_xor_b32_e32 v20, v20, v8
	v_cmp_ne_u32_e32 vcc_lo, 0x80000000, v20
	v_cndmask_b32_e32 v20, 0x7fffffff, v20, vcc_lo
	v_lshrrev_b32_e32 v20, s52, v20
	v_and_b32_e32 v20, s61, v20
	v_lshl_or_b32 v20, v20, 4, v59
	ds_add_u32 v20, v82
	s_or_b32 exec_lo, exec_lo, s17
	s_mov_b32 s17, exec_lo
	v_cmpx_gt_u32_e64 s16, v55
	s_cbranch_execz .LBB1355_352
.LBB1355_367:                           ;   in Loop: Header=BB1355_318 Depth=2
	v_cmp_gt_i32_e32 vcc_lo, 0, v7
	v_cndmask_b32_e64 v20, 0x7fffffff, 0, vcc_lo
	v_xor_b32_e32 v20, v20, v7
	v_cmp_ne_u32_e32 vcc_lo, 0x80000000, v20
	v_cndmask_b32_e32 v20, 0x7fffffff, v20, vcc_lo
	v_lshrrev_b32_e32 v20, s52, v20
	v_and_b32_e32 v20, s61, v20
	v_lshl_or_b32 v20, v20, 4, v59
	ds_add_u32 v20, v82
	s_or_b32 exec_lo, exec_lo, s17
	s_mov_b32 s17, exec_lo
	v_cmpx_gt_u32_e64 s16, v56
	s_cbranch_execz .LBB1355_353
.LBB1355_368:                           ;   in Loop: Header=BB1355_318 Depth=2
	v_cmp_gt_i32_e32 vcc_lo, 0, v6
	v_cndmask_b32_e64 v20, 0x7fffffff, 0, vcc_lo
	v_xor_b32_e32 v20, v20, v6
	v_cmp_ne_u32_e32 vcc_lo, 0x80000000, v20
	v_cndmask_b32_e32 v20, 0x7fffffff, v20, vcc_lo
	v_lshrrev_b32_e32 v20, s52, v20
	v_and_b32_e32 v20, s61, v20
	v_lshl_or_b32 v20, v20, 4, v59
	ds_add_u32 v20, v82
	s_or_b32 exec_lo, exec_lo, s17
	s_mov_b32 s17, exec_lo
	v_cmpx_gt_u32_e64 s16, v57
	s_cbranch_execz .LBB1355_354
.LBB1355_369:                           ;   in Loop: Header=BB1355_318 Depth=2
	v_cmp_gt_i32_e32 vcc_lo, 0, v5
	v_cndmask_b32_e64 v20, 0x7fffffff, 0, vcc_lo
	v_xor_b32_e32 v20, v20, v5
	v_cmp_ne_u32_e32 vcc_lo, 0x80000000, v20
	v_cndmask_b32_e32 v20, 0x7fffffff, v20, vcc_lo
	v_lshrrev_b32_e32 v20, s52, v20
	v_and_b32_e32 v20, s61, v20
	v_lshl_or_b32 v20, v20, 4, v59
	ds_add_u32 v20, v82
	s_or_b32 exec_lo, exec_lo, s17
	v_cmp_gt_u32_e32 vcc_lo, s16, v58
	s_and_saveexec_b32 s16, vcc_lo
	s_cbranch_execz .LBB1355_317
.LBB1355_370:                           ;   in Loop: Header=BB1355_318 Depth=2
	v_cmp_gt_i32_e32 vcc_lo, 0, v3
	v_cndmask_b32_e64 v20, 0x7fffffff, 0, vcc_lo
	v_xor_b32_e32 v20, v20, v3
	v_cmp_ne_u32_e32 vcc_lo, 0x80000000, v20
	v_cndmask_b32_e32 v20, 0x7fffffff, v20, vcc_lo
	v_lshrrev_b32_e32 v20, s52, v20
	v_and_b32_e32 v20, s61, v20
	v_lshl_or_b32 v20, v20, 4, v59
	ds_add_u32 v20, v82
	s_branch .LBB1355_317
.LBB1355_371:                           ;   in Loop: Header=BB1355_318 Depth=2
	global_load_dword v19, v86, s[16:17]
	s_or_b32 exec_lo, exec_lo, s19
	s_mov_b32 s19, exec_lo
	v_cmpx_gt_u32_e64 s5, v42
	s_cbranch_execz .LBB1355_323
.LBB1355_372:                           ;   in Loop: Header=BB1355_318 Depth=2
	global_load_dword v18, v86, s[16:17] offset:1024
	s_or_b32 exec_lo, exec_lo, s19
	s_mov_b32 s19, exec_lo
	v_cmpx_gt_u32_e64 s5, v45
	s_cbranch_execz .LBB1355_324
.LBB1355_373:                           ;   in Loop: Header=BB1355_318 Depth=2
	global_load_dword v17, v87, s[16:17]
	s_or_b32 exec_lo, exec_lo, s19
	s_mov_b32 s19, exec_lo
	v_cmpx_gt_u32_e64 s5, v46
	s_cbranch_execz .LBB1355_325
.LBB1355_374:                           ;   in Loop: Header=BB1355_318 Depth=2
	global_load_dword v16, v88, s[16:17]
	s_or_b32 exec_lo, exec_lo, s19
	s_mov_b32 s19, exec_lo
	v_cmpx_gt_u32_e64 s5, v47
	s_cbranch_execz .LBB1355_326
.LBB1355_375:                           ;   in Loop: Header=BB1355_318 Depth=2
	global_load_dword v15, v89, s[16:17]
	s_or_b32 exec_lo, exec_lo, s19
	s_mov_b32 s19, exec_lo
	v_cmpx_gt_u32_e64 s5, v48
	s_cbranch_execz .LBB1355_327
.LBB1355_376:                           ;   in Loop: Header=BB1355_318 Depth=2
	global_load_dword v14, v90, s[16:17]
	s_or_b32 exec_lo, exec_lo, s19
	s_mov_b32 s19, exec_lo
	v_cmpx_gt_u32_e64 s5, v49
	s_cbranch_execz .LBB1355_328
.LBB1355_377:                           ;   in Loop: Header=BB1355_318 Depth=2
	global_load_dword v13, v91, s[16:17]
	s_or_b32 exec_lo, exec_lo, s19
	s_mov_b32 s19, exec_lo
	v_cmpx_gt_u32_e64 s5, v50
	s_cbranch_execz .LBB1355_329
.LBB1355_378:                           ;   in Loop: Header=BB1355_318 Depth=2
	global_load_dword v12, v92, s[16:17]
	s_or_b32 exec_lo, exec_lo, s19
	s_mov_b32 s19, exec_lo
	v_cmpx_gt_u32_e64 s5, v51
	s_cbranch_execz .LBB1355_330
.LBB1355_379:                           ;   in Loop: Header=BB1355_318 Depth=2
	global_load_dword v11, v93, s[16:17]
	s_or_b32 exec_lo, exec_lo, s19
	s_mov_b32 s19, exec_lo
	v_cmpx_gt_u32_e64 s5, v52
	s_cbranch_execz .LBB1355_331
.LBB1355_380:                           ;   in Loop: Header=BB1355_318 Depth=2
	global_load_dword v10, v94, s[16:17]
	s_or_b32 exec_lo, exec_lo, s19
	s_mov_b32 s19, exec_lo
	v_cmpx_gt_u32_e64 s5, v53
	s_cbranch_execz .LBB1355_332
.LBB1355_381:                           ;   in Loop: Header=BB1355_318 Depth=2
	global_load_dword v9, v95, s[16:17]
	s_or_b32 exec_lo, exec_lo, s19
	s_mov_b32 s19, exec_lo
	v_cmpx_gt_u32_e64 s5, v54
	s_cbranch_execz .LBB1355_333
.LBB1355_382:                           ;   in Loop: Header=BB1355_318 Depth=2
	global_load_dword v8, v96, s[16:17]
	s_or_b32 exec_lo, exec_lo, s19
	s_mov_b32 s19, exec_lo
	v_cmpx_gt_u32_e64 s5, v55
	s_cbranch_execz .LBB1355_334
.LBB1355_383:                           ;   in Loop: Header=BB1355_318 Depth=2
	global_load_dword v7, v97, s[16:17]
	s_or_b32 exec_lo, exec_lo, s19
	s_mov_b32 s19, exec_lo
	v_cmpx_gt_u32_e64 s5, v56
	s_cbranch_execz .LBB1355_335
.LBB1355_384:                           ;   in Loop: Header=BB1355_318 Depth=2
	global_load_dword v6, v98, s[16:17]
	s_or_b32 exec_lo, exec_lo, s19
	s_mov_b32 s19, exec_lo
	v_cmpx_gt_u32_e64 s5, v57
	s_cbranch_execz .LBB1355_336
.LBB1355_385:                           ;   in Loop: Header=BB1355_318 Depth=2
	global_load_dword v5, v99, s[16:17]
	s_or_b32 exec_lo, exec_lo, s19
	s_mov_b32 s19, exec_lo
	v_cmpx_gt_u32_e64 s5, v58
	s_cbranch_execnz .LBB1355_337
	s_branch .LBB1355_338
.LBB1355_386:                           ;   in Loop: Header=BB1355_20 Depth=1
	v_mov_b32_e32 v3, 0
	s_waitcnt lgkmcnt(0)
	s_barrier
	buffer_gl0_inv
	s_and_saveexec_b32 s5, s8
	s_cbranch_execz .LBB1355_388
; %bb.387:                              ;   in Loop: Header=BB1355_20 Depth=1
	ds_read2_b64 v[5:8], v61 offset1:1
	s_waitcnt lgkmcnt(0)
	v_add_nc_u32_e32 v3, v6, v5
	v_add3_u32 v3, v3, v7, v8
.LBB1355_388:                           ;   in Loop: Header=BB1355_20 Depth=1
	s_or_b32 exec_lo, exec_lo, s5
	v_mov_b32_dpp v5, v3 row_shr:1 row_mask:0xf bank_mask:0xf
	v_cmp_eq_u32_e64 s5, 0, v83
	v_cmp_lt_u32_e64 s16, 1, v83
	v_cmp_lt_u32_e64 s17, 3, v83
	;; [unrolled: 1-line block ×3, first 2 shown]
	v_cmp_eq_u32_e64 s19, 0, v85
	v_cndmask_b32_e64 v5, v5, 0, s5
	v_add_nc_u32_e32 v3, v5, v3
	v_mov_b32_dpp v5, v3 row_shr:2 row_mask:0xf bank_mask:0xf
	v_cndmask_b32_e64 v5, 0, v5, s16
	v_add_nc_u32_e32 v3, v3, v5
	v_mov_b32_dpp v5, v3 row_shr:4 row_mask:0xf bank_mask:0xf
	;; [unrolled: 3-line block ×3, first 2 shown]
	v_cndmask_b32_e64 v5, 0, v5, s18
	v_add_nc_u32_e32 v3, v3, v5
	ds_swizzle_b32 v5, v3 offset:swizzle(BROADCAST,32,15)
	s_waitcnt lgkmcnt(0)
	v_and_b32_e32 v5, v84, v5
	v_add_nc_u32_e32 v3, v3, v5
	s_and_saveexec_b32 s20, s9
; %bb.389:                              ;   in Loop: Header=BB1355_20 Depth=1
	ds_write_b32 v62, v3
; %bb.390:                              ;   in Loop: Header=BB1355_20 Depth=1
	s_or_b32 exec_lo, exec_lo, s20
	s_waitcnt lgkmcnt(0)
	s_barrier
	buffer_gl0_inv
	s_and_saveexec_b32 s20, s10
	s_cbranch_execz .LBB1355_392
; %bb.391:                              ;   in Loop: Header=BB1355_20 Depth=1
	ds_read_b32 v5, v63
	v_cmp_ne_u32_e32 vcc_lo, 0, v101
	s_waitcnt lgkmcnt(0)
	v_mov_b32_dpp v6, v5 row_shr:1 row_mask:0xf bank_mask:0xf
	v_cndmask_b32_e32 v6, 0, v6, vcc_lo
	v_cmp_lt_u32_e32 vcc_lo, 1, v101
	v_add_nc_u32_e32 v5, v6, v5
	v_mov_b32_dpp v6, v5 row_shr:2 row_mask:0xf bank_mask:0xf
	v_cndmask_b32_e32 v6, 0, v6, vcc_lo
	v_add_nc_u32_e32 v5, v5, v6
	ds_write_b32 v63, v5
.LBB1355_392:                           ;   in Loop: Header=BB1355_20 Depth=1
	s_or_b32 exec_lo, exec_lo, s20
	v_mov_b32_e32 v5, 0
	s_waitcnt lgkmcnt(0)
	s_barrier
	buffer_gl0_inv
	s_and_saveexec_b32 s20, s11
; %bb.393:                              ;   in Loop: Header=BB1355_20 Depth=1
	ds_read_b32 v5, v64
; %bb.394:                              ;   in Loop: Header=BB1355_20 Depth=1
	s_or_b32 exec_lo, exec_lo, s20
	v_cmp_gt_i32_e32 vcc_lo, 0, v103
	s_waitcnt lgkmcnt(0)
	v_add_nc_u32_e32 v3, v5, v3
	s_barrier
	buffer_gl0_inv
	v_cndmask_b32_e32 v6, v103, v79, vcc_lo
	v_lshlrev_b32_e32 v126, 2, v6
	ds_bpermute_b32 v3, v126, v3
	s_and_saveexec_b32 s20, s8
	s_cbranch_execz .LBB1355_396
; %bb.395:                              ;   in Loop: Header=BB1355_20 Depth=1
	s_waitcnt lgkmcnt(0)
	v_cndmask_b32_e64 v3, v3, v5, s15
	v_add_nc_u32_e32 v3, s58, v3
	ds_write_b32 v41, v3
.LBB1355_396:                           ;   in Loop: Header=BB1355_20 Depth=1
	s_or_b32 exec_lo, exec_lo, s20
	s_load_dwordx2 s[20:21], s[56:57], 0x0
	v_add_co_u32 v127, vcc_lo, v71, v102
	v_add_co_ci_u32_e64 v128, null, 0, v72, vcc_lo
	v_add_co_u32 v129, vcc_lo, v73, v120
	v_add_co_ci_u32_e64 v130, null, 0, v74, vcc_lo
	s_mov_b32 s62, s60
	s_mov_b32 s46, s58
                                        ; implicit-def: $vgpr7_vgpr8
                                        ; implicit-def: $vgpr9_vgpr10
                                        ; implicit-def: $vgpr11_vgpr12
                                        ; implicit-def: $vgpr13_vgpr14
                                        ; implicit-def: $vgpr17_vgpr18
                                        ; implicit-def: $vgpr21_vgpr22
                                        ; implicit-def: $vgpr25_vgpr26
                                        ; implicit-def: $vgpr15_vgpr16
                                        ; implicit-def: $vgpr19_vgpr20
                                        ; implicit-def: $vgpr23_vgpr24
                                        ; implicit-def: $vgpr27_vgpr28
                                        ; implicit-def: $vgpr29_vgpr30
                                        ; implicit-def: $vgpr31_vgpr32
                                        ; implicit-def: $vgpr33_vgpr34
                                        ; implicit-def: $vgpr35_vgpr36
                                        ; implicit-def: $vgpr132
                                        ; implicit-def: $vgpr133
                                        ; implicit-def: $vgpr134
                                        ; implicit-def: $vgpr135
                                        ; implicit-def: $vgpr136
                                        ; implicit-def: $vgpr137
                                        ; implicit-def: $vgpr138
                                        ; implicit-def: $vgpr139
                                        ; implicit-def: $vgpr140
                                        ; implicit-def: $vgpr141
                                        ; implicit-def: $vgpr142
                                        ; implicit-def: $vgpr143
                                        ; implicit-def: $vgpr145
                                        ; implicit-def: $vgpr146
                                        ; implicit-def: $vgpr147
                                        ; implicit-def: $vgpr148
                                        ; implicit-def: $vgpr144
                                        ; implicit-def: $vgpr149
	s_waitcnt lgkmcnt(0)
	s_cmp_lt_u32 s7, s21
	s_cselect_b32 s21, 14, 20
	s_add_u32 s22, s56, s21
	s_addc_u32 s23, s57, 0
	s_cmp_lt_u32 s6, s20
	global_load_ushort v3, v4, s[22:23]
	s_cselect_b32 s20, 12, 18
	s_add_u32 s20, s56, s20
	s_addc_u32 s21, s57, 0
	global_load_ushort v5, v4, s[20:21]
	v_cmp_eq_u32_e64 s20, 0, v104
	v_cmp_lt_u32_e64 s21, 1, v104
	v_cmp_lt_u32_e64 s22, 3, v104
	s_waitcnt vmcnt(1)
	v_mad_u32_u24 v3, v2, v3, v1
	s_waitcnt vmcnt(0)
	v_mad_u64_u32 v[5:6], null, v3, v5, v[0:1]
	v_lshrrev_b32_e32 v3, 3, v5
                                        ; implicit-def: $vgpr5_vgpr6
	v_and_b32_e32 v131, 0x1ffffffc, v3
	s_branch .LBB1355_398
.LBB1355_397:                           ;   in Loop: Header=BB1355_398 Depth=2
	s_or_b32 exec_lo, exec_lo, s23
	s_addk_i32 s62, 0xf000
	s_cmp_lt_u32 s63, s59
	s_mov_b32 s46, s63
	s_cbranch_scc0 .LBB1355_608
.LBB1355_398:                           ;   Parent Loop BB1355_20 Depth=1
                                        ; =>  This Inner Loop Header: Depth=2
	s_add_i32 s63, s46, 0x1000
	s_cmp_gt_u32 s63, s59
	s_cbranch_scc1 .LBB1355_400
; %bb.399:                              ;   in Loop: Header=BB1355_398 Depth=2
	s_lshl_b64 s[24:25], s[46:47], 2
	s_mov_b32 s23, -1
	v_add_co_u32 v37, vcc_lo, v129, s24
	v_add_co_ci_u32_e64 v38, null, s25, v130, vcc_lo
	s_clause 0xe
	global_load_dword v3, v[37:38], off
	global_load_dword v151, v[37:38], off offset:128
	global_load_dword v154, v[37:38], off offset:256
	;; [unrolled: 1-line block ×14, first 2 shown]
	s_movk_i32 s24, 0x1000
	s_cbranch_execz .LBB1355_401
	s_branch .LBB1355_432
.LBB1355_400:                           ;   in Loop: Header=BB1355_398 Depth=2
	s_mov_b32 s23, 0
                                        ; implicit-def: $vgpr3
                                        ; implicit-def: $vgpr151
                                        ; implicit-def: $vgpr154
                                        ; implicit-def: $vgpr158
                                        ; implicit-def: $vgpr162
                                        ; implicit-def: $vgpr168
                                        ; implicit-def: $vgpr173
                                        ; implicit-def: $vgpr178
                                        ; implicit-def: $vgpr181
                                        ; implicit-def: $vgpr176
                                        ; implicit-def: $vgpr172
                                        ; implicit-def: $vgpr167
                                        ; implicit-def: $vgpr164
                                        ; implicit-def: $vgpr40
                                        ; implicit-def: $vgpr39
	s_movk_i32 s24, 0x1000
.LBB1355_401:                           ;   in Loop: Header=BB1355_398 Depth=2
	s_lshl_b64 s[24:25], s[46:47], 2
	s_waitcnt vmcnt(13)
	v_mov_b32_e32 v151, -1
	v_add_co_u32 v37, vcc_lo, v129, s24
	v_add_co_ci_u32_e64 v38, null, s25, v130, vcc_lo
	v_mov_b32_e32 v3, -1
	s_mov_b32 s23, exec_lo
	v_cmpx_gt_u32_e64 s62, v105
	s_cbranch_execz .LBB1355_403
; %bb.402:                              ;   in Loop: Header=BB1355_398 Depth=2
	global_load_dword v3, v[37:38], off
.LBB1355_403:                           ;   in Loop: Header=BB1355_398 Depth=2
	s_or_b32 exec_lo, exec_lo, s23
	s_mov_b32 s23, exec_lo
	v_cmpx_gt_u32_e64 s62, v108
	s_cbranch_execz .LBB1355_405
; %bb.404:                              ;   in Loop: Header=BB1355_398 Depth=2
	global_load_dword v151, v[37:38], off offset:128
.LBB1355_405:                           ;   in Loop: Header=BB1355_398 Depth=2
	s_or_b32 exec_lo, exec_lo, s23
	s_waitcnt vmcnt(11)
	v_mov_b32_e32 v158, -1
	v_mov_b32_e32 v154, -1
	s_mov_b32 s23, exec_lo
	v_cmpx_gt_u32_e64 s62, v109
	s_cbranch_execz .LBB1355_407
; %bb.406:                              ;   in Loop: Header=BB1355_398 Depth=2
	global_load_dword v154, v[37:38], off offset:256
.LBB1355_407:                           ;   in Loop: Header=BB1355_398 Depth=2
	s_or_b32 exec_lo, exec_lo, s23
	s_mov_b32 s23, exec_lo
	v_cmpx_gt_u32_e64 s62, v110
	s_cbranch_execz .LBB1355_409
; %bb.408:                              ;   in Loop: Header=BB1355_398 Depth=2
	global_load_dword v158, v[37:38], off offset:384
.LBB1355_409:                           ;   in Loop: Header=BB1355_398 Depth=2
	s_or_b32 exec_lo, exec_lo, s23
	s_waitcnt vmcnt(9)
	v_mov_b32_e32 v168, -1
	v_mov_b32_e32 v162, -1
	s_mov_b32 s23, exec_lo
	v_cmpx_gt_u32_e64 s62, v111
	s_cbranch_execz .LBB1355_411
; %bb.410:                              ;   in Loop: Header=BB1355_398 Depth=2
	global_load_dword v162, v[37:38], off offset:512
.LBB1355_411:                           ;   in Loop: Header=BB1355_398 Depth=2
	;; [unrolled: 17-line block ×6, first 2 shown]
	s_or_b32 exec_lo, exec_lo, s23
	s_mov_b32 s23, exec_lo
	v_cmpx_gt_u32_e64 s62, v121
	s_cbranch_execz .LBB1355_429
; %bb.428:                              ;   in Loop: Header=BB1355_398 Depth=2
	global_load_dword v40, v[37:38], off offset:1664
.LBB1355_429:                           ;   in Loop: Header=BB1355_398 Depth=2
	s_or_b32 exec_lo, exec_lo, s23
	s_waitcnt vmcnt(0)
	v_mov_b32_e32 v39, -1
	s_mov_b32 s23, exec_lo
	v_cmpx_gt_u32_e64 s62, v122
	s_cbranch_execz .LBB1355_431
; %bb.430:                              ;   in Loop: Header=BB1355_398 Depth=2
	global_load_dword v39, v[37:38], off offset:1792
.LBB1355_431:                           ;   in Loop: Header=BB1355_398 Depth=2
	s_or_b32 exec_lo, exec_lo, s23
	v_cmp_gt_u32_e64 s23, s62, v123
	s_sub_i32 s24, s59, s46
.LBB1355_432:                           ;   in Loop: Header=BB1355_398 Depth=2
	v_mov_b32_e32 v37, -1
	v_mov_b32_e32 v150, s62
	s_and_saveexec_b32 s25, s23
	s_cbranch_execz .LBB1355_434
; %bb.433:                              ;   in Loop: Header=BB1355_398 Depth=2
	s_lshl_b64 s[26:27], s[46:47], 2
	v_mov_b32_e32 v150, s24
	v_add_co_u32 v37, vcc_lo, v129, s26
	v_add_co_ci_u32_e64 v38, null, s27, v130, vcc_lo
	global_load_dword v37, v[37:38], off offset:1920
.LBB1355_434:                           ;   in Loop: Header=BB1355_398 Depth=2
	s_or_b32 exec_lo, exec_lo, s25
	s_waitcnt vmcnt(14)
	v_cmp_gt_i32_e32 vcc_lo, 0, v3
	ds_write2_b32 v65, v4, v4 offset0:136 offset1:137
	ds_write2_b32 v65, v4, v4 offset0:138 offset1:139
	ds_write_b32 v65, v4 offset:560
	s_waitcnt vmcnt(0) lgkmcnt(0)
	s_barrier
	v_cndmask_b32_e64 v38, 0x7fffffff, 0, vcc_lo
	buffer_gl0_inv
	; wave barrier
	v_xor_b32_e32 v3, v38, v3
	v_cmp_ne_u32_e32 vcc_lo, 0x80000000, v3
	v_cndmask_b32_e32 v38, 0x7fffffff, v3, vcc_lo
	v_lshrrev_b32_e32 v38, s52, v38
	v_and_b32_e32 v153, s61, v38
	v_and_b32_e32 v38, 1, v153
	v_lshlrev_b32_e32 v152, 30, v153
	v_lshlrev_b32_e32 v155, 29, v153
	;; [unrolled: 1-line block ×4, first 2 shown]
	v_add_co_u32 v38, s23, v38, -1
	v_cndmask_b32_e64 v156, 0, 1, s23
	v_not_b32_e32 v161, v152
	v_cmp_gt_i32_e64 s23, 0, v152
	v_not_b32_e32 v152, v155
	v_lshlrev_b32_e32 v160, 26, v153
	v_cmp_ne_u32_e32 vcc_lo, 0, v156
	v_ashrrev_i32_e32 v161, 31, v161
	v_lshlrev_b32_e32 v156, 25, v153
	v_ashrrev_i32_e32 v152, 31, v152
	v_mul_u32_u24_e32 v153, 36, v153
	v_xor_b32_e32 v38, vcc_lo, v38
	v_cmp_gt_i32_e32 vcc_lo, 0, v155
	v_not_b32_e32 v155, v157
	v_xor_b32_e32 v161, s23, v161
	v_cmp_gt_i32_e64 s23, 0, v157
	v_and_b32_e32 v38, exec_lo, v38
	v_not_b32_e32 v157, v159
	v_ashrrev_i32_e32 v155, 31, v155
	v_xor_b32_e32 v152, vcc_lo, v152
	v_cmp_gt_i32_e32 vcc_lo, 0, v159
	v_and_b32_e32 v38, v38, v161
	v_not_b32_e32 v159, v160
	v_ashrrev_i32_e32 v157, 31, v157
	v_xor_b32_e32 v155, s23, v155
	v_cmp_gt_i32_e64 s23, 0, v160
	v_and_b32_e32 v38, v38, v152
	v_not_b32_e32 v152, v156
	v_ashrrev_i32_e32 v159, 31, v159
	v_xor_b32_e32 v157, vcc_lo, v157
	v_cmp_gt_i32_e32 vcc_lo, 0, v156
	v_and_b32_e32 v38, v38, v155
	v_ashrrev_i32_e32 v152, 31, v152
	v_xor_b32_e32 v155, s23, v159
	v_add_nc_u32_e32 v153, v131, v153
	v_and_b32_e32 v38, v38, v157
	v_xor_b32_e32 v152, vcc_lo, v152
	v_and_b32_e32 v38, v38, v155
	v_and_b32_e32 v38, v38, v152
	v_mbcnt_lo_u32_b32 v152, v38, 0
	v_cmp_ne_u32_e64 s23, 0, v38
	v_cmp_eq_u32_e32 vcc_lo, 0, v152
	s_and_b32 s24, s23, vcc_lo
	s_and_saveexec_b32 s23, s24
; %bb.435:                              ;   in Loop: Header=BB1355_398 Depth=2
	v_bcnt_u32_b32 v38, v38, 0
	ds_write_b32 v153, v38 offset:544
; %bb.436:                              ;   in Loop: Header=BB1355_398 Depth=2
	s_or_b32 exec_lo, exec_lo, s23
	v_cmp_gt_i32_e32 vcc_lo, 0, v151
	; wave barrier
	v_cndmask_b32_e64 v38, 0x7fffffff, 0, vcc_lo
	v_xor_b32_e32 v151, v38, v151
	v_cmp_ne_u32_e32 vcc_lo, 0x80000000, v151
	v_cndmask_b32_e32 v38, 0x7fffffff, v151, vcc_lo
	v_lshrrev_b32_e32 v38, s52, v38
	v_and_b32_e32 v157, s61, v38
	v_and_b32_e32 v38, 1, v157
	v_lshlrev_b32_e32 v155, 30, v157
	v_lshlrev_b32_e32 v156, 29, v157
	;; [unrolled: 1-line block ×4, first 2 shown]
	v_add_co_u32 v38, s23, v38, -1
	v_cndmask_b32_e64 v159, 0, 1, s23
	v_not_b32_e32 v165, v155
	v_cmp_gt_i32_e64 s23, 0, v155
	v_not_b32_e32 v155, v156
	v_lshlrev_b32_e32 v163, 26, v157
	v_cmp_ne_u32_e32 vcc_lo, 0, v159
	v_ashrrev_i32_e32 v165, 31, v165
	v_lshlrev_b32_e32 v159, 25, v157
	v_ashrrev_i32_e32 v155, 31, v155
	v_xor_b32_e32 v38, vcc_lo, v38
	v_cmp_gt_i32_e32 vcc_lo, 0, v156
	v_not_b32_e32 v156, v160
	v_xor_b32_e32 v165, s23, v165
	v_cmp_gt_i32_e64 s23, 0, v160
	v_and_b32_e32 v38, exec_lo, v38
	v_not_b32_e32 v160, v161
	v_ashrrev_i32_e32 v156, 31, v156
	v_xor_b32_e32 v155, vcc_lo, v155
	v_cmp_gt_i32_e32 vcc_lo, 0, v161
	v_and_b32_e32 v38, v38, v165
	v_not_b32_e32 v161, v163
	v_ashrrev_i32_e32 v160, 31, v160
	v_xor_b32_e32 v156, s23, v156
	v_cmp_gt_i32_e64 s23, 0, v163
	v_and_b32_e32 v38, v38, v155
	v_not_b32_e32 v155, v159
	v_ashrrev_i32_e32 v161, 31, v161
	v_xor_b32_e32 v160, vcc_lo, v160
	v_cmp_gt_i32_e32 vcc_lo, 0, v159
	v_and_b32_e32 v38, v38, v156
	v_ashrrev_i32_e32 v155, 31, v155
	v_xor_b32_e32 v156, s23, v161
	v_mad_u32_u24 v159, v157, 36, v131
	v_mul_u32_u24_e32 v157, 36, v157
	v_and_b32_e32 v38, v38, v160
	v_xor_b32_e32 v160, vcc_lo, v155
	ds_read_b32 v155, v159 offset:544
	v_add_nc_u32_e32 v157, v131, v157
	v_and_b32_e32 v38, v38, v156
	; wave barrier
	v_and_b32_e32 v38, v38, v160
	v_mbcnt_lo_u32_b32 v156, v38, 0
	v_cmp_ne_u32_e64 s23, 0, v38
	v_cmp_eq_u32_e32 vcc_lo, 0, v156
	s_and_b32 s24, s23, vcc_lo
	s_and_saveexec_b32 s23, s24
	s_cbranch_execz .LBB1355_438
; %bb.437:                              ;   in Loop: Header=BB1355_398 Depth=2
	s_waitcnt lgkmcnt(0)
	v_bcnt_u32_b32 v38, v38, v155
	ds_write_b32 v157, v38 offset:544
.LBB1355_438:                           ;   in Loop: Header=BB1355_398 Depth=2
	s_or_b32 exec_lo, exec_lo, s23
	v_cmp_gt_i32_e32 vcc_lo, 0, v154
	; wave barrier
	v_cndmask_b32_e64 v38, 0x7fffffff, 0, vcc_lo
	v_xor_b32_e32 v154, v38, v154
	v_cmp_ne_u32_e32 vcc_lo, 0x80000000, v154
	v_cndmask_b32_e32 v38, 0x7fffffff, v154, vcc_lo
	v_lshrrev_b32_e32 v38, s52, v38
	v_and_b32_e32 v161, s61, v38
	v_and_b32_e32 v38, 1, v161
	v_lshlrev_b32_e32 v159, 30, v161
	v_lshlrev_b32_e32 v160, 29, v161
	;; [unrolled: 1-line block ×4, first 2 shown]
	v_add_co_u32 v38, s23, v38, -1
	v_cndmask_b32_e64 v163, 0, 1, s23
	v_not_b32_e32 v170, v159
	v_cmp_gt_i32_e64 s23, 0, v159
	v_not_b32_e32 v159, v160
	v_lshlrev_b32_e32 v169, 26, v161
	v_cmp_ne_u32_e32 vcc_lo, 0, v163
	v_ashrrev_i32_e32 v170, 31, v170
	v_lshlrev_b32_e32 v163, 25, v161
	v_ashrrev_i32_e32 v159, 31, v159
	v_xor_b32_e32 v38, vcc_lo, v38
	v_cmp_gt_i32_e32 vcc_lo, 0, v160
	v_not_b32_e32 v160, v165
	v_xor_b32_e32 v170, s23, v170
	v_cmp_gt_i32_e64 s23, 0, v165
	v_and_b32_e32 v38, exec_lo, v38
	v_not_b32_e32 v165, v166
	v_ashrrev_i32_e32 v160, 31, v160
	v_xor_b32_e32 v159, vcc_lo, v159
	v_cmp_gt_i32_e32 vcc_lo, 0, v166
	v_and_b32_e32 v38, v38, v170
	v_not_b32_e32 v166, v169
	v_ashrrev_i32_e32 v165, 31, v165
	v_xor_b32_e32 v160, s23, v160
	v_cmp_gt_i32_e64 s23, 0, v169
	v_and_b32_e32 v38, v38, v159
	v_not_b32_e32 v159, v163
	v_ashrrev_i32_e32 v166, 31, v166
	v_xor_b32_e32 v165, vcc_lo, v165
	v_cmp_gt_i32_e32 vcc_lo, 0, v163
	v_and_b32_e32 v38, v38, v160
	v_ashrrev_i32_e32 v159, 31, v159
	v_xor_b32_e32 v160, s23, v166
	v_mad_u32_u24 v163, v161, 36, v131
	v_mul_u32_u24_e32 v161, 36, v161
	v_and_b32_e32 v38, v38, v165
	v_xor_b32_e32 v165, vcc_lo, v159
	ds_read_b32 v159, v163 offset:544
	v_add_nc_u32_e32 v161, v131, v161
	v_and_b32_e32 v38, v38, v160
	; wave barrier
	v_and_b32_e32 v38, v38, v165
	v_mbcnt_lo_u32_b32 v160, v38, 0
	v_cmp_ne_u32_e64 s23, 0, v38
	v_cmp_eq_u32_e32 vcc_lo, 0, v160
	s_and_b32 s24, s23, vcc_lo
	s_and_saveexec_b32 s23, s24
	s_cbranch_execz .LBB1355_440
; %bb.439:                              ;   in Loop: Header=BB1355_398 Depth=2
	s_waitcnt lgkmcnt(0)
	v_bcnt_u32_b32 v38, v38, v159
	ds_write_b32 v161, v38 offset:544
.LBB1355_440:                           ;   in Loop: Header=BB1355_398 Depth=2
	s_or_b32 exec_lo, exec_lo, s23
	v_cmp_gt_i32_e32 vcc_lo, 0, v158
	; wave barrier
	v_cndmask_b32_e64 v38, 0x7fffffff, 0, vcc_lo
	v_xor_b32_e32 v158, v38, v158
	v_cmp_ne_u32_e32 vcc_lo, 0x80000000, v158
	v_cndmask_b32_e32 v38, 0x7fffffff, v158, vcc_lo
	v_lshrrev_b32_e32 v38, s52, v38
	v_and_b32_e32 v166, s61, v38
	v_and_b32_e32 v38, 1, v166
	v_lshlrev_b32_e32 v163, 30, v166
	v_lshlrev_b32_e32 v165, 29, v166
	;; [unrolled: 1-line block ×4, first 2 shown]
	v_add_co_u32 v38, s23, v38, -1
	v_cndmask_b32_e64 v169, 0, 1, s23
	v_not_b32_e32 v175, v163
	v_cmp_gt_i32_e64 s23, 0, v163
	v_not_b32_e32 v163, v165
	v_lshlrev_b32_e32 v174, 26, v166
	v_cmp_ne_u32_e32 vcc_lo, 0, v169
	v_ashrrev_i32_e32 v175, 31, v175
	v_lshlrev_b32_e32 v169, 25, v166
	v_ashrrev_i32_e32 v163, 31, v163
	v_xor_b32_e32 v38, vcc_lo, v38
	v_cmp_gt_i32_e32 vcc_lo, 0, v165
	v_not_b32_e32 v165, v170
	v_xor_b32_e32 v175, s23, v175
	v_cmp_gt_i32_e64 s23, 0, v170
	v_and_b32_e32 v38, exec_lo, v38
	v_not_b32_e32 v170, v171
	v_ashrrev_i32_e32 v165, 31, v165
	v_xor_b32_e32 v163, vcc_lo, v163
	v_cmp_gt_i32_e32 vcc_lo, 0, v171
	v_and_b32_e32 v38, v38, v175
	v_not_b32_e32 v171, v174
	v_ashrrev_i32_e32 v170, 31, v170
	v_xor_b32_e32 v165, s23, v165
	v_cmp_gt_i32_e64 s23, 0, v174
	v_and_b32_e32 v38, v38, v163
	v_not_b32_e32 v163, v169
	v_ashrrev_i32_e32 v171, 31, v171
	v_xor_b32_e32 v170, vcc_lo, v170
	v_cmp_gt_i32_e32 vcc_lo, 0, v169
	v_and_b32_e32 v38, v38, v165
	v_ashrrev_i32_e32 v163, 31, v163
	v_xor_b32_e32 v165, s23, v171
	v_mad_u32_u24 v169, v166, 36, v131
	v_mul_u32_u24_e32 v166, 36, v166
	v_and_b32_e32 v38, v38, v170
	v_xor_b32_e32 v170, vcc_lo, v163
	ds_read_b32 v163, v169 offset:544
	v_add_nc_u32_e32 v166, v131, v166
	v_and_b32_e32 v38, v38, v165
	; wave barrier
	v_and_b32_e32 v38, v38, v170
	v_mbcnt_lo_u32_b32 v165, v38, 0
	v_cmp_ne_u32_e64 s23, 0, v38
	v_cmp_eq_u32_e32 vcc_lo, 0, v165
	s_and_b32 s24, s23, vcc_lo
	s_and_saveexec_b32 s23, s24
	s_cbranch_execz .LBB1355_442
; %bb.441:                              ;   in Loop: Header=BB1355_398 Depth=2
	s_waitcnt lgkmcnt(0)
	v_bcnt_u32_b32 v38, v38, v163
	ds_write_b32 v166, v38 offset:544
.LBB1355_442:                           ;   in Loop: Header=BB1355_398 Depth=2
	s_or_b32 exec_lo, exec_lo, s23
	v_cmp_gt_i32_e32 vcc_lo, 0, v162
	; wave barrier
	v_cndmask_b32_e64 v38, 0x7fffffff, 0, vcc_lo
	v_xor_b32_e32 v162, v38, v162
	v_cmp_ne_u32_e32 vcc_lo, 0x80000000, v162
	v_cndmask_b32_e32 v38, 0x7fffffff, v162, vcc_lo
	v_lshrrev_b32_e32 v38, s52, v38
	v_and_b32_e32 v171, s61, v38
	v_and_b32_e32 v38, 1, v171
	v_lshlrev_b32_e32 v169, 30, v171
	v_lshlrev_b32_e32 v170, 29, v171
	;; [unrolled: 1-line block ×4, first 2 shown]
	v_add_co_u32 v38, s23, v38, -1
	v_cndmask_b32_e64 v174, 0, 1, s23
	v_not_b32_e32 v180, v169
	v_cmp_gt_i32_e64 s23, 0, v169
	v_not_b32_e32 v169, v170
	v_lshlrev_b32_e32 v179, 26, v171
	v_cmp_ne_u32_e32 vcc_lo, 0, v174
	v_ashrrev_i32_e32 v180, 31, v180
	v_lshlrev_b32_e32 v174, 25, v171
	v_ashrrev_i32_e32 v169, 31, v169
	v_xor_b32_e32 v38, vcc_lo, v38
	v_cmp_gt_i32_e32 vcc_lo, 0, v170
	v_not_b32_e32 v170, v175
	v_xor_b32_e32 v180, s23, v180
	v_cmp_gt_i32_e64 s23, 0, v175
	v_and_b32_e32 v38, exec_lo, v38
	v_not_b32_e32 v175, v177
	v_ashrrev_i32_e32 v170, 31, v170
	v_xor_b32_e32 v169, vcc_lo, v169
	v_cmp_gt_i32_e32 vcc_lo, 0, v177
	v_and_b32_e32 v38, v38, v180
	v_not_b32_e32 v177, v179
	v_ashrrev_i32_e32 v175, 31, v175
	v_xor_b32_e32 v170, s23, v170
	v_cmp_gt_i32_e64 s23, 0, v179
	v_and_b32_e32 v38, v38, v169
	v_not_b32_e32 v169, v174
	v_ashrrev_i32_e32 v177, 31, v177
	v_xor_b32_e32 v175, vcc_lo, v175
	v_cmp_gt_i32_e32 vcc_lo, 0, v174
	v_and_b32_e32 v38, v38, v170
	v_ashrrev_i32_e32 v169, 31, v169
	v_xor_b32_e32 v170, s23, v177
	v_mad_u32_u24 v174, v171, 36, v131
	v_mul_u32_u24_e32 v171, 36, v171
	v_and_b32_e32 v38, v38, v175
	v_xor_b32_e32 v175, vcc_lo, v169
	ds_read_b32 v169, v174 offset:544
	v_add_nc_u32_e32 v171, v131, v171
	v_and_b32_e32 v38, v38, v170
	; wave barrier
	v_and_b32_e32 v38, v38, v175
	v_mbcnt_lo_u32_b32 v170, v38, 0
	v_cmp_ne_u32_e64 s23, 0, v38
	v_cmp_eq_u32_e32 vcc_lo, 0, v170
	s_and_b32 s24, s23, vcc_lo
	s_and_saveexec_b32 s23, s24
	s_cbranch_execz .LBB1355_444
; %bb.443:                              ;   in Loop: Header=BB1355_398 Depth=2
	s_waitcnt lgkmcnt(0)
	v_bcnt_u32_b32 v38, v38, v169
	ds_write_b32 v171, v38 offset:544
.LBB1355_444:                           ;   in Loop: Header=BB1355_398 Depth=2
	s_or_b32 exec_lo, exec_lo, s23
	v_cmp_gt_i32_e32 vcc_lo, 0, v168
	; wave barrier
	v_cndmask_b32_e64 v38, 0x7fffffff, 0, vcc_lo
	v_xor_b32_e32 v168, v38, v168
	v_cmp_ne_u32_e32 vcc_lo, 0x80000000, v168
	v_cndmask_b32_e32 v38, 0x7fffffff, v168, vcc_lo
	v_lshrrev_b32_e32 v38, s52, v38
	v_and_b32_e32 v177, s61, v38
	v_and_b32_e32 v38, 1, v177
	v_lshlrev_b32_e32 v174, 30, v177
	v_lshlrev_b32_e32 v175, 29, v177
	;; [unrolled: 1-line block ×4, first 2 shown]
	v_add_co_u32 v38, s23, v38, -1
	v_cndmask_b32_e64 v179, 0, 1, s23
	v_not_b32_e32 v184, v174
	v_cmp_gt_i32_e64 s23, 0, v174
	v_not_b32_e32 v174, v175
	v_lshlrev_b32_e32 v183, 26, v177
	v_cmp_ne_u32_e32 vcc_lo, 0, v179
	v_ashrrev_i32_e32 v184, 31, v184
	v_lshlrev_b32_e32 v179, 25, v177
	v_ashrrev_i32_e32 v174, 31, v174
	v_xor_b32_e32 v38, vcc_lo, v38
	v_cmp_gt_i32_e32 vcc_lo, 0, v175
	v_not_b32_e32 v175, v180
	v_xor_b32_e32 v184, s23, v184
	v_cmp_gt_i32_e64 s23, 0, v180
	v_and_b32_e32 v38, exec_lo, v38
	v_not_b32_e32 v180, v182
	v_ashrrev_i32_e32 v175, 31, v175
	v_xor_b32_e32 v174, vcc_lo, v174
	v_cmp_gt_i32_e32 vcc_lo, 0, v182
	v_and_b32_e32 v38, v38, v184
	v_not_b32_e32 v182, v183
	v_ashrrev_i32_e32 v180, 31, v180
	v_xor_b32_e32 v175, s23, v175
	v_cmp_gt_i32_e64 s23, 0, v183
	v_and_b32_e32 v38, v38, v174
	v_not_b32_e32 v174, v179
	v_ashrrev_i32_e32 v182, 31, v182
	v_xor_b32_e32 v180, vcc_lo, v180
	v_cmp_gt_i32_e32 vcc_lo, 0, v179
	v_and_b32_e32 v38, v38, v175
	v_ashrrev_i32_e32 v174, 31, v174
	v_xor_b32_e32 v175, s23, v182
	v_mad_u32_u24 v179, v177, 36, v131
	v_mul_u32_u24_e32 v177, 36, v177
	v_and_b32_e32 v38, v38, v180
	v_xor_b32_e32 v180, vcc_lo, v174
	ds_read_b32 v174, v179 offset:544
	v_add_nc_u32_e32 v177, v131, v177
	v_and_b32_e32 v38, v38, v175
	; wave barrier
	v_and_b32_e32 v38, v38, v180
	v_mbcnt_lo_u32_b32 v175, v38, 0
	v_cmp_ne_u32_e64 s23, 0, v38
	v_cmp_eq_u32_e32 vcc_lo, 0, v175
	s_and_b32 s24, s23, vcc_lo
	s_and_saveexec_b32 s23, s24
	s_cbranch_execz .LBB1355_446
; %bb.445:                              ;   in Loop: Header=BB1355_398 Depth=2
	s_waitcnt lgkmcnt(0)
	v_bcnt_u32_b32 v38, v38, v174
	ds_write_b32 v177, v38 offset:544
.LBB1355_446:                           ;   in Loop: Header=BB1355_398 Depth=2
	s_or_b32 exec_lo, exec_lo, s23
	v_cmp_gt_i32_e32 vcc_lo, 0, v173
	; wave barrier
	v_cndmask_b32_e64 v38, 0x7fffffff, 0, vcc_lo
	v_xor_b32_e32 v173, v38, v173
	v_cmp_ne_u32_e32 vcc_lo, 0x80000000, v173
	v_cndmask_b32_e32 v38, 0x7fffffff, v173, vcc_lo
	v_lshrrev_b32_e32 v38, s52, v38
	v_and_b32_e32 v182, s61, v38
	v_and_b32_e32 v38, 1, v182
	v_lshlrev_b32_e32 v179, 30, v182
	v_lshlrev_b32_e32 v180, 29, v182
	;; [unrolled: 1-line block ×4, first 2 shown]
	v_add_co_u32 v38, s23, v38, -1
	v_cndmask_b32_e64 v183, 0, 1, s23
	v_not_b32_e32 v187, v179
	v_cmp_gt_i32_e64 s23, 0, v179
	v_not_b32_e32 v179, v180
	v_lshlrev_b32_e32 v186, 26, v182
	v_cmp_ne_u32_e32 vcc_lo, 0, v183
	v_ashrrev_i32_e32 v187, 31, v187
	v_lshlrev_b32_e32 v183, 25, v182
	v_ashrrev_i32_e32 v179, 31, v179
	v_xor_b32_e32 v38, vcc_lo, v38
	v_cmp_gt_i32_e32 vcc_lo, 0, v180
	v_not_b32_e32 v180, v184
	v_xor_b32_e32 v187, s23, v187
	v_cmp_gt_i32_e64 s23, 0, v184
	v_and_b32_e32 v38, exec_lo, v38
	v_not_b32_e32 v184, v185
	v_ashrrev_i32_e32 v180, 31, v180
	v_xor_b32_e32 v179, vcc_lo, v179
	v_cmp_gt_i32_e32 vcc_lo, 0, v185
	v_and_b32_e32 v38, v38, v187
	v_not_b32_e32 v185, v186
	v_ashrrev_i32_e32 v184, 31, v184
	v_xor_b32_e32 v180, s23, v180
	v_cmp_gt_i32_e64 s23, 0, v186
	v_and_b32_e32 v38, v38, v179
	v_not_b32_e32 v179, v183
	v_ashrrev_i32_e32 v185, 31, v185
	v_xor_b32_e32 v184, vcc_lo, v184
	v_cmp_gt_i32_e32 vcc_lo, 0, v183
	v_and_b32_e32 v38, v38, v180
	v_ashrrev_i32_e32 v179, 31, v179
	v_xor_b32_e32 v180, s23, v185
	v_mad_u32_u24 v183, v182, 36, v131
	v_mul_u32_u24_e32 v182, 36, v182
	v_and_b32_e32 v38, v38, v184
	v_xor_b32_e32 v184, vcc_lo, v179
	ds_read_b32 v179, v183 offset:544
	v_add_nc_u32_e32 v182, v131, v182
	v_and_b32_e32 v38, v38, v180
	; wave barrier
	v_and_b32_e32 v38, v38, v184
	v_mbcnt_lo_u32_b32 v180, v38, 0
	v_cmp_ne_u32_e64 s23, 0, v38
	v_cmp_eq_u32_e32 vcc_lo, 0, v180
	s_and_b32 s24, s23, vcc_lo
	s_and_saveexec_b32 s23, s24
	s_cbranch_execz .LBB1355_448
; %bb.447:                              ;   in Loop: Header=BB1355_398 Depth=2
	s_waitcnt lgkmcnt(0)
	v_bcnt_u32_b32 v38, v38, v179
	ds_write_b32 v182, v38 offset:544
.LBB1355_448:                           ;   in Loop: Header=BB1355_398 Depth=2
	s_or_b32 exec_lo, exec_lo, s23
	v_cmp_gt_i32_e32 vcc_lo, 0, v178
	; wave barrier
	v_cndmask_b32_e64 v38, 0x7fffffff, 0, vcc_lo
	v_xor_b32_e32 v178, v38, v178
	v_cmp_ne_u32_e32 vcc_lo, 0x80000000, v178
	v_cndmask_b32_e32 v38, 0x7fffffff, v178, vcc_lo
	v_lshrrev_b32_e32 v38, s52, v38
	v_and_b32_e32 v185, s61, v38
	v_and_b32_e32 v38, 1, v185
	v_lshlrev_b32_e32 v183, 30, v185
	v_lshlrev_b32_e32 v184, 29, v185
	;; [unrolled: 1-line block ×4, first 2 shown]
	v_add_co_u32 v38, s23, v38, -1
	v_cndmask_b32_e64 v186, 0, 1, s23
	v_not_b32_e32 v190, v183
	v_cmp_gt_i32_e64 s23, 0, v183
	v_not_b32_e32 v183, v184
	v_lshlrev_b32_e32 v189, 26, v185
	v_cmp_ne_u32_e32 vcc_lo, 0, v186
	v_ashrrev_i32_e32 v190, 31, v190
	v_lshlrev_b32_e32 v186, 25, v185
	v_ashrrev_i32_e32 v183, 31, v183
	v_xor_b32_e32 v38, vcc_lo, v38
	v_cmp_gt_i32_e32 vcc_lo, 0, v184
	v_not_b32_e32 v184, v187
	v_xor_b32_e32 v190, s23, v190
	v_cmp_gt_i32_e64 s23, 0, v187
	v_and_b32_e32 v38, exec_lo, v38
	v_not_b32_e32 v187, v188
	v_ashrrev_i32_e32 v184, 31, v184
	v_xor_b32_e32 v183, vcc_lo, v183
	v_cmp_gt_i32_e32 vcc_lo, 0, v188
	v_and_b32_e32 v38, v38, v190
	v_not_b32_e32 v188, v189
	v_ashrrev_i32_e32 v187, 31, v187
	v_xor_b32_e32 v184, s23, v184
	v_cmp_gt_i32_e64 s23, 0, v189
	v_and_b32_e32 v38, v38, v183
	v_not_b32_e32 v183, v186
	v_ashrrev_i32_e32 v188, 31, v188
	v_xor_b32_e32 v187, vcc_lo, v187
	v_cmp_gt_i32_e32 vcc_lo, 0, v186
	v_and_b32_e32 v38, v38, v184
	v_ashrrev_i32_e32 v183, 31, v183
	v_xor_b32_e32 v184, s23, v188
	v_mad_u32_u24 v186, v185, 36, v131
	v_mul_u32_u24_e32 v185, 36, v185
	v_and_b32_e32 v38, v38, v187
	v_xor_b32_e32 v187, vcc_lo, v183
	ds_read_b32 v183, v186 offset:544
	v_add_nc_u32_e32 v185, v131, v185
	v_and_b32_e32 v38, v38, v184
	; wave barrier
	v_and_b32_e32 v38, v38, v187
	v_mbcnt_lo_u32_b32 v184, v38, 0
	v_cmp_ne_u32_e64 s23, 0, v38
	v_cmp_eq_u32_e32 vcc_lo, 0, v184
	s_and_b32 s24, s23, vcc_lo
	s_and_saveexec_b32 s23, s24
	s_cbranch_execz .LBB1355_450
; %bb.449:                              ;   in Loop: Header=BB1355_398 Depth=2
	s_waitcnt lgkmcnt(0)
	v_bcnt_u32_b32 v38, v38, v183
	ds_write_b32 v185, v38 offset:544
.LBB1355_450:                           ;   in Loop: Header=BB1355_398 Depth=2
	s_or_b32 exec_lo, exec_lo, s23
	v_cmp_gt_i32_e32 vcc_lo, 0, v181
	; wave barrier
	v_cndmask_b32_e64 v38, 0x7fffffff, 0, vcc_lo
	v_xor_b32_e32 v181, v38, v181
	v_cmp_ne_u32_e32 vcc_lo, 0x80000000, v181
	v_cndmask_b32_e32 v38, 0x7fffffff, v181, vcc_lo
	v_lshrrev_b32_e32 v38, s52, v38
	v_and_b32_e32 v188, s61, v38
	v_and_b32_e32 v38, 1, v188
	v_lshlrev_b32_e32 v186, 30, v188
	v_lshlrev_b32_e32 v187, 29, v188
	;; [unrolled: 1-line block ×4, first 2 shown]
	v_add_co_u32 v38, s23, v38, -1
	v_cndmask_b32_e64 v189, 0, 1, s23
	v_not_b32_e32 v193, v186
	v_cmp_gt_i32_e64 s23, 0, v186
	v_not_b32_e32 v186, v187
	v_lshlrev_b32_e32 v192, 26, v188
	v_cmp_ne_u32_e32 vcc_lo, 0, v189
	v_ashrrev_i32_e32 v193, 31, v193
	v_lshlrev_b32_e32 v189, 25, v188
	v_ashrrev_i32_e32 v186, 31, v186
	v_xor_b32_e32 v38, vcc_lo, v38
	v_cmp_gt_i32_e32 vcc_lo, 0, v187
	v_not_b32_e32 v187, v190
	v_xor_b32_e32 v193, s23, v193
	v_cmp_gt_i32_e64 s23, 0, v190
	v_and_b32_e32 v38, exec_lo, v38
	v_not_b32_e32 v190, v191
	v_ashrrev_i32_e32 v187, 31, v187
	v_xor_b32_e32 v186, vcc_lo, v186
	v_cmp_gt_i32_e32 vcc_lo, 0, v191
	v_and_b32_e32 v38, v38, v193
	v_not_b32_e32 v191, v192
	v_ashrrev_i32_e32 v190, 31, v190
	v_xor_b32_e32 v187, s23, v187
	v_cmp_gt_i32_e64 s23, 0, v192
	v_and_b32_e32 v38, v38, v186
	v_not_b32_e32 v186, v189
	v_ashrrev_i32_e32 v191, 31, v191
	v_xor_b32_e32 v190, vcc_lo, v190
	v_cmp_gt_i32_e32 vcc_lo, 0, v189
	v_and_b32_e32 v38, v38, v187
	v_ashrrev_i32_e32 v186, 31, v186
	v_xor_b32_e32 v187, s23, v191
	v_mad_u32_u24 v189, v188, 36, v131
	v_mul_u32_u24_e32 v188, 36, v188
	v_and_b32_e32 v38, v38, v190
	v_xor_b32_e32 v190, vcc_lo, v186
	ds_read_b32 v186, v189 offset:544
	v_add_nc_u32_e32 v188, v131, v188
	v_and_b32_e32 v38, v38, v187
	; wave barrier
	v_and_b32_e32 v38, v38, v190
	v_mbcnt_lo_u32_b32 v187, v38, 0
	v_cmp_ne_u32_e64 s23, 0, v38
	v_cmp_eq_u32_e32 vcc_lo, 0, v187
	s_and_b32 s24, s23, vcc_lo
	s_and_saveexec_b32 s23, s24
	s_cbranch_execz .LBB1355_452
; %bb.451:                              ;   in Loop: Header=BB1355_398 Depth=2
	s_waitcnt lgkmcnt(0)
	v_bcnt_u32_b32 v38, v38, v186
	ds_write_b32 v188, v38 offset:544
.LBB1355_452:                           ;   in Loop: Header=BB1355_398 Depth=2
	s_or_b32 exec_lo, exec_lo, s23
	v_cmp_gt_i32_e32 vcc_lo, 0, v176
	; wave barrier
	v_cndmask_b32_e64 v38, 0x7fffffff, 0, vcc_lo
	v_xor_b32_e32 v176, v38, v176
	v_cmp_ne_u32_e32 vcc_lo, 0x80000000, v176
	v_cndmask_b32_e32 v38, 0x7fffffff, v176, vcc_lo
	v_lshrrev_b32_e32 v38, s52, v38
	v_and_b32_e32 v191, s61, v38
	v_and_b32_e32 v38, 1, v191
	v_lshlrev_b32_e32 v189, 30, v191
	v_lshlrev_b32_e32 v190, 29, v191
	;; [unrolled: 1-line block ×4, first 2 shown]
	v_add_co_u32 v38, s23, v38, -1
	v_cndmask_b32_e64 v192, 0, 1, s23
	v_not_b32_e32 v196, v189
	v_cmp_gt_i32_e64 s23, 0, v189
	v_not_b32_e32 v189, v190
	v_lshlrev_b32_e32 v195, 26, v191
	v_cmp_ne_u32_e32 vcc_lo, 0, v192
	v_ashrrev_i32_e32 v196, 31, v196
	v_lshlrev_b32_e32 v192, 25, v191
	v_ashrrev_i32_e32 v189, 31, v189
	v_xor_b32_e32 v38, vcc_lo, v38
	v_cmp_gt_i32_e32 vcc_lo, 0, v190
	v_not_b32_e32 v190, v193
	v_xor_b32_e32 v196, s23, v196
	v_cmp_gt_i32_e64 s23, 0, v193
	v_and_b32_e32 v38, exec_lo, v38
	v_not_b32_e32 v193, v194
	v_ashrrev_i32_e32 v190, 31, v190
	v_xor_b32_e32 v189, vcc_lo, v189
	v_cmp_gt_i32_e32 vcc_lo, 0, v194
	v_and_b32_e32 v38, v38, v196
	v_not_b32_e32 v194, v195
	v_ashrrev_i32_e32 v193, 31, v193
	v_xor_b32_e32 v190, s23, v190
	v_cmp_gt_i32_e64 s23, 0, v195
	v_and_b32_e32 v38, v38, v189
	v_not_b32_e32 v189, v192
	v_ashrrev_i32_e32 v194, 31, v194
	v_xor_b32_e32 v193, vcc_lo, v193
	v_cmp_gt_i32_e32 vcc_lo, 0, v192
	v_and_b32_e32 v38, v38, v190
	v_ashrrev_i32_e32 v189, 31, v189
	v_xor_b32_e32 v190, s23, v194
	v_mad_u32_u24 v192, v191, 36, v131
	v_mul_u32_u24_e32 v191, 36, v191
	v_and_b32_e32 v38, v38, v193
	v_xor_b32_e32 v193, vcc_lo, v189
	ds_read_b32 v189, v192 offset:544
	v_add_nc_u32_e32 v191, v131, v191
	v_and_b32_e32 v38, v38, v190
	; wave barrier
	v_and_b32_e32 v38, v38, v193
	v_mbcnt_lo_u32_b32 v190, v38, 0
	v_cmp_ne_u32_e64 s23, 0, v38
	v_cmp_eq_u32_e32 vcc_lo, 0, v190
	s_and_b32 s24, s23, vcc_lo
	s_and_saveexec_b32 s23, s24
	s_cbranch_execz .LBB1355_454
; %bb.453:                              ;   in Loop: Header=BB1355_398 Depth=2
	s_waitcnt lgkmcnt(0)
	v_bcnt_u32_b32 v38, v38, v189
	ds_write_b32 v191, v38 offset:544
.LBB1355_454:                           ;   in Loop: Header=BB1355_398 Depth=2
	s_or_b32 exec_lo, exec_lo, s23
	v_cmp_gt_i32_e32 vcc_lo, 0, v172
	; wave barrier
	v_cndmask_b32_e64 v38, 0x7fffffff, 0, vcc_lo
	v_xor_b32_e32 v172, v38, v172
	v_cmp_ne_u32_e32 vcc_lo, 0x80000000, v172
	v_cndmask_b32_e32 v38, 0x7fffffff, v172, vcc_lo
	v_lshrrev_b32_e32 v38, s52, v38
	v_and_b32_e32 v192, s61, v38
	v_and_b32_e32 v38, 1, v192
	v_lshlrev_b32_e32 v193, 30, v192
	v_lshlrev_b32_e32 v194, 29, v192
	;; [unrolled: 1-line block ×4, first 2 shown]
	v_add_co_u32 v38, s23, v38, -1
	v_cndmask_b32_e64 v195, 0, 1, s23
	v_not_b32_e32 v199, v193
	v_cmp_gt_i32_e64 s23, 0, v193
	v_not_b32_e32 v193, v194
	v_lshlrev_b32_e32 v198, 26, v192
	v_cmp_ne_u32_e32 vcc_lo, 0, v195
	v_ashrrev_i32_e32 v199, 31, v199
	v_lshlrev_b32_e32 v195, 25, v192
	v_ashrrev_i32_e32 v193, 31, v193
	v_xor_b32_e32 v38, vcc_lo, v38
	v_cmp_gt_i32_e32 vcc_lo, 0, v194
	v_not_b32_e32 v194, v196
	v_xor_b32_e32 v199, s23, v199
	v_cmp_gt_i32_e64 s23, 0, v196
	v_and_b32_e32 v38, exec_lo, v38
	v_not_b32_e32 v196, v197
	v_ashrrev_i32_e32 v194, 31, v194
	v_xor_b32_e32 v193, vcc_lo, v193
	v_cmp_gt_i32_e32 vcc_lo, 0, v197
	v_and_b32_e32 v38, v38, v199
	v_not_b32_e32 v197, v198
	v_ashrrev_i32_e32 v196, 31, v196
	v_xor_b32_e32 v194, s23, v194
	v_cmp_gt_i32_e64 s23, 0, v198
	v_and_b32_e32 v38, v38, v193
	v_not_b32_e32 v193, v195
	v_ashrrev_i32_e32 v197, 31, v197
	v_xor_b32_e32 v196, vcc_lo, v196
	v_cmp_gt_i32_e32 vcc_lo, 0, v195
	v_and_b32_e32 v38, v38, v194
	v_ashrrev_i32_e32 v193, 31, v193
	v_xor_b32_e32 v194, s23, v197
	v_mad_u32_u24 v195, v192, 36, v131
	v_mul_u32_u24_e32 v192, 36, v192
	v_and_b32_e32 v38, v38, v196
	v_xor_b32_e32 v196, vcc_lo, v193
	ds_read_b32 v193, v195 offset:544
	v_add_nc_u32_e32 v195, v131, v192
	v_and_b32_e32 v38, v38, v194
	; wave barrier
	v_and_b32_e32 v38, v38, v196
	v_mbcnt_lo_u32_b32 v194, v38, 0
	v_cmp_ne_u32_e64 s23, 0, v38
	v_cmp_eq_u32_e32 vcc_lo, 0, v194
	s_and_b32 s24, s23, vcc_lo
	s_and_saveexec_b32 s23, s24
	s_cbranch_execz .LBB1355_456
; %bb.455:                              ;   in Loop: Header=BB1355_398 Depth=2
	s_waitcnt lgkmcnt(0)
	v_bcnt_u32_b32 v38, v38, v193
	ds_write_b32 v195, v38 offset:544
.LBB1355_456:                           ;   in Loop: Header=BB1355_398 Depth=2
	s_or_b32 exec_lo, exec_lo, s23
	v_cmp_gt_i32_e32 vcc_lo, 0, v167
	; wave barrier
	v_cndmask_b32_e64 v38, 0x7fffffff, 0, vcc_lo
	v_xor_b32_e32 v192, v38, v167
	v_cmp_ne_u32_e32 vcc_lo, 0x80000000, v192
	v_cndmask_b32_e32 v38, 0x7fffffff, v192, vcc_lo
	v_lshrrev_b32_e32 v38, s52, v38
	v_and_b32_e32 v167, s61, v38
	v_and_b32_e32 v38, 1, v167
	v_lshlrev_b32_e32 v196, 30, v167
	v_lshlrev_b32_e32 v197, 29, v167
	;; [unrolled: 1-line block ×4, first 2 shown]
	v_add_co_u32 v38, s23, v38, -1
	v_cndmask_b32_e64 v198, 0, 1, s23
	v_not_b32_e32 v202, v196
	v_cmp_gt_i32_e64 s23, 0, v196
	v_not_b32_e32 v196, v197
	v_lshlrev_b32_e32 v201, 26, v167
	v_cmp_ne_u32_e32 vcc_lo, 0, v198
	v_ashrrev_i32_e32 v202, 31, v202
	v_lshlrev_b32_e32 v198, 25, v167
	v_ashrrev_i32_e32 v196, 31, v196
	v_xor_b32_e32 v38, vcc_lo, v38
	v_cmp_gt_i32_e32 vcc_lo, 0, v197
	v_not_b32_e32 v197, v199
	v_xor_b32_e32 v202, s23, v202
	v_cmp_gt_i32_e64 s23, 0, v199
	v_and_b32_e32 v38, exec_lo, v38
	v_not_b32_e32 v199, v200
	v_ashrrev_i32_e32 v197, 31, v197
	v_xor_b32_e32 v196, vcc_lo, v196
	v_cmp_gt_i32_e32 vcc_lo, 0, v200
	v_and_b32_e32 v38, v38, v202
	v_not_b32_e32 v200, v201
	v_ashrrev_i32_e32 v199, 31, v199
	v_xor_b32_e32 v197, s23, v197
	v_cmp_gt_i32_e64 s23, 0, v201
	v_and_b32_e32 v38, v38, v196
	v_not_b32_e32 v196, v198
	v_ashrrev_i32_e32 v200, 31, v200
	v_xor_b32_e32 v199, vcc_lo, v199
	v_cmp_gt_i32_e32 vcc_lo, 0, v198
	v_and_b32_e32 v38, v38, v197
	v_ashrrev_i32_e32 v196, 31, v196
	v_xor_b32_e32 v197, s23, v200
	v_mad_u32_u24 v198, v167, 36, v131
	v_mul_u32_u24_e32 v167, 36, v167
	v_and_b32_e32 v38, v38, v199
	v_xor_b32_e32 v196, vcc_lo, v196
	v_add_nc_u32_e32 v167, v131, v167
	v_and_b32_e32 v38, v38, v197
	ds_read_b32 v197, v198 offset:544
	; wave barrier
	v_and_b32_e32 v38, v38, v196
	v_mbcnt_lo_u32_b32 v198, v38, 0
	v_cmp_ne_u32_e64 s23, 0, v38
	v_cmp_eq_u32_e32 vcc_lo, 0, v198
	s_and_b32 s24, s23, vcc_lo
	s_and_saveexec_b32 s23, s24
	s_cbranch_execz .LBB1355_458
; %bb.457:                              ;   in Loop: Header=BB1355_398 Depth=2
	s_waitcnt lgkmcnt(0)
	v_bcnt_u32_b32 v38, v38, v197
	ds_write_b32 v167, v38 offset:544
.LBB1355_458:                           ;   in Loop: Header=BB1355_398 Depth=2
	s_or_b32 exec_lo, exec_lo, s23
	v_cmp_gt_i32_e32 vcc_lo, 0, v164
	; wave barrier
	v_cndmask_b32_e64 v38, 0x7fffffff, 0, vcc_lo
	v_xor_b32_e32 v196, v38, v164
	v_cmp_ne_u32_e32 vcc_lo, 0x80000000, v196
	v_cndmask_b32_e32 v38, 0x7fffffff, v196, vcc_lo
	v_lshrrev_b32_e32 v38, s52, v38
	v_and_b32_e32 v164, s61, v38
	v_and_b32_e32 v38, 1, v164
	v_lshlrev_b32_e32 v199, 30, v164
	v_lshlrev_b32_e32 v200, 29, v164
	;; [unrolled: 1-line block ×4, first 2 shown]
	v_add_co_u32 v38, s23, v38, -1
	v_cndmask_b32_e64 v201, 0, 1, s23
	v_not_b32_e32 v205, v199
	v_cmp_gt_i32_e64 s23, 0, v199
	v_not_b32_e32 v199, v200
	v_lshlrev_b32_e32 v204, 26, v164
	v_cmp_ne_u32_e32 vcc_lo, 0, v201
	v_ashrrev_i32_e32 v205, 31, v205
	v_lshlrev_b32_e32 v201, 25, v164
	v_ashrrev_i32_e32 v199, 31, v199
	v_xor_b32_e32 v38, vcc_lo, v38
	v_cmp_gt_i32_e32 vcc_lo, 0, v200
	v_not_b32_e32 v200, v202
	v_xor_b32_e32 v205, s23, v205
	v_cmp_gt_i32_e64 s23, 0, v202
	v_and_b32_e32 v38, exec_lo, v38
	v_not_b32_e32 v202, v203
	v_ashrrev_i32_e32 v200, 31, v200
	v_xor_b32_e32 v199, vcc_lo, v199
	v_cmp_gt_i32_e32 vcc_lo, 0, v203
	v_and_b32_e32 v38, v38, v205
	v_not_b32_e32 v203, v204
	v_ashrrev_i32_e32 v202, 31, v202
	v_xor_b32_e32 v200, s23, v200
	v_cmp_gt_i32_e64 s23, 0, v204
	v_and_b32_e32 v38, v38, v199
	v_not_b32_e32 v199, v201
	v_ashrrev_i32_e32 v203, 31, v203
	v_xor_b32_e32 v202, vcc_lo, v202
	v_cmp_gt_i32_e32 vcc_lo, 0, v201
	v_and_b32_e32 v38, v38, v200
	v_ashrrev_i32_e32 v199, 31, v199
	v_xor_b32_e32 v200, s23, v203
	v_mad_u32_u24 v201, v164, 36, v131
	v_mul_u32_u24_e32 v164, 36, v164
	v_and_b32_e32 v38, v38, v202
	v_xor_b32_e32 v199, vcc_lo, v199
	v_add_nc_u32_e32 v164, v131, v164
	v_and_b32_e32 v38, v38, v200
	ds_read_b32 v200, v201 offset:544
	; wave barrier
	v_and_b32_e32 v38, v38, v199
	v_mbcnt_lo_u32_b32 v201, v38, 0
	v_cmp_ne_u32_e64 s23, 0, v38
	v_cmp_eq_u32_e32 vcc_lo, 0, v201
	s_and_b32 s24, s23, vcc_lo
	s_and_saveexec_b32 s23, s24
	s_cbranch_execz .LBB1355_460
; %bb.459:                              ;   in Loop: Header=BB1355_398 Depth=2
	s_waitcnt lgkmcnt(0)
	v_bcnt_u32_b32 v38, v38, v200
	ds_write_b32 v164, v38 offset:544
.LBB1355_460:                           ;   in Loop: Header=BB1355_398 Depth=2
	s_or_b32 exec_lo, exec_lo, s23
	v_cmp_gt_i32_e32 vcc_lo, 0, v40
	; wave barrier
	v_cndmask_b32_e64 v38, 0x7fffffff, 0, vcc_lo
	v_xor_b32_e32 v199, v38, v40
	v_cmp_ne_u32_e32 vcc_lo, 0x80000000, v199
	v_cndmask_b32_e32 v38, 0x7fffffff, v199, vcc_lo
	v_lshrrev_b32_e32 v38, s52, v38
	v_and_b32_e32 v40, s61, v38
	v_and_b32_e32 v38, 1, v40
	v_lshlrev_b32_e32 v202, 30, v40
	v_lshlrev_b32_e32 v203, 29, v40
	;; [unrolled: 1-line block ×4, first 2 shown]
	v_add_co_u32 v38, s23, v38, -1
	v_cndmask_b32_e64 v204, 0, 1, s23
	v_not_b32_e32 v208, v202
	v_cmp_gt_i32_e64 s23, 0, v202
	v_not_b32_e32 v202, v203
	v_lshlrev_b32_e32 v207, 26, v40
	v_cmp_ne_u32_e32 vcc_lo, 0, v204
	v_ashrrev_i32_e32 v208, 31, v208
	v_lshlrev_b32_e32 v204, 25, v40
	v_ashrrev_i32_e32 v202, 31, v202
	v_xor_b32_e32 v38, vcc_lo, v38
	v_cmp_gt_i32_e32 vcc_lo, 0, v203
	v_not_b32_e32 v203, v205
	v_xor_b32_e32 v208, s23, v208
	v_cmp_gt_i32_e64 s23, 0, v205
	v_and_b32_e32 v38, exec_lo, v38
	v_not_b32_e32 v205, v206
	v_ashrrev_i32_e32 v203, 31, v203
	v_xor_b32_e32 v202, vcc_lo, v202
	v_cmp_gt_i32_e32 vcc_lo, 0, v206
	v_and_b32_e32 v38, v38, v208
	v_not_b32_e32 v206, v207
	v_ashrrev_i32_e32 v205, 31, v205
	v_xor_b32_e32 v203, s23, v203
	v_cmp_gt_i32_e64 s23, 0, v207
	v_and_b32_e32 v38, v38, v202
	v_not_b32_e32 v202, v204
	v_ashrrev_i32_e32 v206, 31, v206
	v_xor_b32_e32 v205, vcc_lo, v205
	v_cmp_gt_i32_e32 vcc_lo, 0, v204
	v_and_b32_e32 v38, v38, v203
	v_ashrrev_i32_e32 v202, 31, v202
	v_xor_b32_e32 v203, s23, v206
	v_mad_u32_u24 v204, v40, 36, v131
	v_mul_u32_u24_e32 v40, 36, v40
	v_and_b32_e32 v38, v38, v205
	v_xor_b32_e32 v202, vcc_lo, v202
	v_add_nc_u32_e32 v205, v131, v40
	v_and_b32_e32 v38, v38, v203
	ds_read_b32 v203, v204 offset:544
	; wave barrier
	v_and_b32_e32 v38, v38, v202
	v_mbcnt_lo_u32_b32 v204, v38, 0
	v_cmp_ne_u32_e64 s23, 0, v38
	v_cmp_eq_u32_e32 vcc_lo, 0, v204
	s_and_b32 s24, s23, vcc_lo
	s_and_saveexec_b32 s23, s24
	s_cbranch_execz .LBB1355_462
; %bb.461:                              ;   in Loop: Header=BB1355_398 Depth=2
	s_waitcnt lgkmcnt(0)
	v_bcnt_u32_b32 v38, v38, v203
	ds_write_b32 v205, v38 offset:544
.LBB1355_462:                           ;   in Loop: Header=BB1355_398 Depth=2
	s_or_b32 exec_lo, exec_lo, s23
	v_cmp_gt_i32_e32 vcc_lo, 0, v39
	; wave barrier
	v_cndmask_b32_e64 v38, 0x7fffffff, 0, vcc_lo
	v_xor_b32_e32 v202, v38, v39
	v_cmp_ne_u32_e32 vcc_lo, 0x80000000, v202
	v_cndmask_b32_e32 v38, 0x7fffffff, v202, vcc_lo
	v_lshrrev_b32_e32 v38, s52, v38
	v_and_b32_e32 v39, s61, v38
	v_and_b32_e32 v38, 1, v39
	v_lshlrev_b32_e32 v40, 30, v39
	v_lshlrev_b32_e32 v206, 29, v39
	;; [unrolled: 1-line block ×4, first 2 shown]
	v_add_co_u32 v38, s23, v38, -1
	v_cndmask_b32_e64 v207, 0, 1, s23
	v_not_b32_e32 v211, v40
	v_cmp_gt_i32_e64 s23, 0, v40
	v_not_b32_e32 v40, v206
	v_lshlrev_b32_e32 v210, 26, v39
	v_cmp_ne_u32_e32 vcc_lo, 0, v207
	v_ashrrev_i32_e32 v211, 31, v211
	v_lshlrev_b32_e32 v207, 25, v39
	v_ashrrev_i32_e32 v40, 31, v40
	v_xor_b32_e32 v38, vcc_lo, v38
	v_cmp_gt_i32_e32 vcc_lo, 0, v206
	v_not_b32_e32 v206, v208
	v_xor_b32_e32 v211, s23, v211
	v_cmp_gt_i32_e64 s23, 0, v208
	v_and_b32_e32 v38, exec_lo, v38
	v_not_b32_e32 v208, v209
	v_ashrrev_i32_e32 v206, 31, v206
	v_xor_b32_e32 v40, vcc_lo, v40
	v_cmp_gt_i32_e32 vcc_lo, 0, v209
	v_and_b32_e32 v38, v38, v211
	v_not_b32_e32 v209, v210
	v_ashrrev_i32_e32 v208, 31, v208
	v_xor_b32_e32 v206, s23, v206
	v_cmp_gt_i32_e64 s23, 0, v210
	v_and_b32_e32 v38, v38, v40
	v_not_b32_e32 v40, v207
	v_ashrrev_i32_e32 v209, 31, v209
	v_xor_b32_e32 v208, vcc_lo, v208
	v_cmp_gt_i32_e32 vcc_lo, 0, v207
	v_and_b32_e32 v38, v38, v206
	v_ashrrev_i32_e32 v40, 31, v40
	v_xor_b32_e32 v206, s23, v209
	v_mad_u32_u24 v207, v39, 36, v131
	v_mul_u32_u24_e32 v39, 36, v39
	v_and_b32_e32 v38, v38, v208
	v_xor_b32_e32 v40, vcc_lo, v40
	ds_read_b32 v207, v207 offset:544
	v_add_nc_u32_e32 v209, v131, v39
	v_and_b32_e32 v38, v38, v206
	; wave barrier
	v_and_b32_e32 v38, v38, v40
	v_mbcnt_lo_u32_b32 v208, v38, 0
	v_cmp_ne_u32_e64 s23, 0, v38
	v_cmp_eq_u32_e32 vcc_lo, 0, v208
	s_and_b32 s24, s23, vcc_lo
	s_and_saveexec_b32 s23, s24
	s_cbranch_execz .LBB1355_464
; %bb.463:                              ;   in Loop: Header=BB1355_398 Depth=2
	s_waitcnt lgkmcnt(0)
	v_bcnt_u32_b32 v38, v38, v207
	ds_write_b32 v209, v38 offset:544
.LBB1355_464:                           ;   in Loop: Header=BB1355_398 Depth=2
	s_or_b32 exec_lo, exec_lo, s23
	v_cmp_gt_i32_e32 vcc_lo, 0, v37
	; wave barrier
	v_cndmask_b32_e64 v38, 0x7fffffff, 0, vcc_lo
	v_xor_b32_e32 v206, v38, v37
	v_cmp_ne_u32_e32 vcc_lo, 0x80000000, v206
	v_cndmask_b32_e32 v37, 0x7fffffff, v206, vcc_lo
	v_lshrrev_b32_e32 v37, s52, v37
	v_and_b32_e32 v38, s61, v37
	v_and_b32_e32 v37, 1, v38
	v_lshlrev_b32_e32 v39, 30, v38
	v_lshlrev_b32_e32 v40, 29, v38
	;; [unrolled: 1-line block ×4, first 2 shown]
	v_add_co_u32 v37, s23, v37, -1
	v_cndmask_b32_e64 v210, 0, 1, s23
	v_not_b32_e32 v214, v39
	v_cmp_gt_i32_e64 s23, 0, v39
	v_not_b32_e32 v39, v40
	v_lshlrev_b32_e32 v213, 26, v38
	v_cmp_ne_u32_e32 vcc_lo, 0, v210
	v_ashrrev_i32_e32 v214, 31, v214
	v_lshlrev_b32_e32 v210, 25, v38
	v_ashrrev_i32_e32 v39, 31, v39
	v_xor_b32_e32 v37, vcc_lo, v37
	v_cmp_gt_i32_e32 vcc_lo, 0, v40
	v_not_b32_e32 v40, v211
	v_xor_b32_e32 v214, s23, v214
	v_cmp_gt_i32_e64 s23, 0, v211
	v_and_b32_e32 v37, exec_lo, v37
	v_not_b32_e32 v211, v212
	v_ashrrev_i32_e32 v40, 31, v40
	v_xor_b32_e32 v39, vcc_lo, v39
	v_cmp_gt_i32_e32 vcc_lo, 0, v212
	v_and_b32_e32 v37, v37, v214
	v_not_b32_e32 v212, v213
	v_ashrrev_i32_e32 v211, 31, v211
	v_xor_b32_e32 v40, s23, v40
	v_cmp_gt_i32_e64 s23, 0, v213
	v_and_b32_e32 v37, v37, v39
	v_not_b32_e32 v39, v210
	v_ashrrev_i32_e32 v212, 31, v212
	v_xor_b32_e32 v211, vcc_lo, v211
	v_cmp_gt_i32_e32 vcc_lo, 0, v210
	v_and_b32_e32 v37, v37, v40
	v_ashrrev_i32_e32 v39, 31, v39
	v_xor_b32_e32 v40, s23, v212
	v_mad_u32_u24 v210, v38, 36, v131
	v_mul_u32_u24_e32 v38, 36, v38
	v_and_b32_e32 v37, v37, v211
	v_xor_b32_e32 v39, vcc_lo, v39
	ds_read_b32 v210, v210 offset:544
	v_add_nc_u32_e32 v212, v131, v38
	v_and_b32_e32 v37, v37, v40
	; wave barrier
	v_and_b32_e32 v37, v37, v39
	v_mbcnt_lo_u32_b32 v211, v37, 0
	v_cmp_ne_u32_e64 s23, 0, v37
	v_cmp_eq_u32_e32 vcc_lo, 0, v211
	s_and_b32 s24, s23, vcc_lo
	s_and_saveexec_b32 s23, s24
	s_cbranch_execz .LBB1355_466
; %bb.465:                              ;   in Loop: Header=BB1355_398 Depth=2
	s_waitcnt lgkmcnt(0)
	v_bcnt_u32_b32 v37, v37, v210
	ds_write_b32 v212, v37 offset:544
.LBB1355_466:                           ;   in Loop: Header=BB1355_398 Depth=2
	s_or_b32 exec_lo, exec_lo, s23
	; wave barrier
	s_waitcnt lgkmcnt(0)
	s_barrier
	buffer_gl0_inv
	ds_read2_b32 v[39:40], v65 offset0:136 offset1:137
	ds_read2_b32 v[37:38], v65 offset0:138 offset1:139
	ds_read_b32 v213, v65 offset:560
	s_waitcnt lgkmcnt(1)
	v_add3_u32 v214, v40, v39, v37
	s_waitcnt lgkmcnt(0)
	v_add3_u32 v213, v214, v38, v213
	v_mov_b32_dpp v214, v213 row_shr:1 row_mask:0xf bank_mask:0xf
	v_cndmask_b32_e64 v214, v214, 0, s5
	v_add_nc_u32_e32 v213, v214, v213
	v_mov_b32_dpp v214, v213 row_shr:2 row_mask:0xf bank_mask:0xf
	v_cndmask_b32_e64 v214, 0, v214, s16
	v_add_nc_u32_e32 v213, v213, v214
	;; [unrolled: 3-line block ×4, first 2 shown]
	ds_swizzle_b32 v214, v213 offset:swizzle(BROADCAST,32,15)
	s_waitcnt lgkmcnt(0)
	v_cndmask_b32_e64 v214, v214, 0, s19
	v_add_nc_u32_e32 v213, v213, v214
	s_and_saveexec_b32 s23, s4
; %bb.467:                              ;   in Loop: Header=BB1355_398 Depth=2
	ds_write_b32 v60, v213 offset:512
; %bb.468:                              ;   in Loop: Header=BB1355_398 Depth=2
	s_or_b32 exec_lo, exec_lo, s23
	s_waitcnt lgkmcnt(0)
	s_barrier
	buffer_gl0_inv
	s_and_saveexec_b32 s23, s12
	s_cbranch_execz .LBB1355_470
; %bb.469:                              ;   in Loop: Header=BB1355_398 Depth=2
	ds_read_b32 v214, v66 offset:512
	s_waitcnt lgkmcnt(0)
	v_mov_b32_dpp v215, v214 row_shr:1 row_mask:0xf bank_mask:0xf
	v_cndmask_b32_e64 v215, v215, 0, s20
	v_add_nc_u32_e32 v214, v215, v214
	v_mov_b32_dpp v215, v214 row_shr:2 row_mask:0xf bank_mask:0xf
	v_cndmask_b32_e64 v215, 0, v215, s21
	v_add_nc_u32_e32 v214, v214, v215
	;; [unrolled: 3-line block ×3, first 2 shown]
	ds_write_b32 v66, v214 offset:512
.LBB1355_470:                           ;   in Loop: Header=BB1355_398 Depth=2
	s_or_b32 exec_lo, exec_lo, s23
	v_mov_b32_e32 v214, 0
	s_waitcnt lgkmcnt(0)
	s_barrier
	buffer_gl0_inv
	s_and_saveexec_b32 s23, s11
; %bb.471:                              ;   in Loop: Header=BB1355_398 Depth=2
	ds_read_b32 v214, v60 offset:508
; %bb.472:                              ;   in Loop: Header=BB1355_398 Depth=2
	s_or_b32 exec_lo, exec_lo, s23
	s_waitcnt lgkmcnt(0)
	v_add_nc_u32_e32 v213, v214, v213
	ds_bpermute_b32 v213, v126, v213
	s_waitcnt lgkmcnt(0)
	v_cndmask_b32_e64 v213, v213, v214, s15
	v_cndmask_b32_e64 v213, v213, 0, s13
	v_add_nc_u32_e32 v39, v213, v39
	v_add_nc_u32_e32 v40, v39, v40
	;; [unrolled: 1-line block ×4, first 2 shown]
	ds_write2_b32 v65, v213, v39 offset0:136 offset1:137
	ds_write2_b32 v65, v40, v37 offset0:138 offset1:139
	ds_write_b32 v65, v38 offset:560
	s_waitcnt lgkmcnt(0)
	s_barrier
	buffer_gl0_inv
	ds_read_b32 v39, v153 offset:544
	ds_read_b32 v40, v157 offset:544
	;; [unrolled: 1-line block ×16, first 2 shown]
	s_and_saveexec_b32 s23, s8
	s_cbranch_execz .LBB1355_476
; %bb.473:                              ;   in Loop: Header=BB1355_398 Depth=2
	ds_read_b32 v144, v68 offset:544
	v_mov_b32_e32 v149, 0x1000
	s_and_saveexec_b32 s24, s14
; %bb.474:                              ;   in Loop: Header=BB1355_398 Depth=2
	ds_read_b32 v149, v67 offset:544
; %bb.475:                              ;   in Loop: Header=BB1355_398 Depth=2
	s_or_b32 exec_lo, exec_lo, s24
	s_waitcnt lgkmcnt(0)
	v_sub_nc_u32_e32 v149, v149, v144
.LBB1355_476:                           ;   in Loop: Header=BB1355_398 Depth=2
	s_or_b32 exec_lo, exec_lo, s23
	s_waitcnt lgkmcnt(0)
	s_barrier
	buffer_gl0_inv
	s_and_saveexec_b32 s23, s8
	s_cbranch_execz .LBB1355_478
; %bb.477:                              ;   in Loop: Header=BB1355_398 Depth=2
	ds_read_b32 v164, v41
	s_waitcnt lgkmcnt(0)
	v_sub_nc_u32_e32 v164, v164, v144
	ds_write_b32 v41, v164
.LBB1355_478:                           ;   in Loop: Header=BB1355_398 Depth=2
	s_or_b32 exec_lo, exec_lo, s23
	v_add_nc_u32_e32 v171, v39, v152
	v_add3_u32 v167, v156, v155, v40
	v_add3_u32 v166, v160, v159, v153
	;; [unrolled: 1-line block ×5, first 2 shown]
	v_lshlrev_b32_e32 v169, 2, v171
	v_add3_u32 v155, v204, v203, v37
	v_lshlrev_b32_e32 v37, 2, v167
	v_add3_u32 v161, v180, v179, v182
	v_add3_u32 v160, v184, v183, v185
	ds_write_b32 v169, v3 offset:512
	v_lshlrev_b32_e32 v3, 2, v166
	ds_write_b32 v37, v151 offset:512
	v_lshlrev_b32_e32 v37, 2, v163
	v_add3_u32 v159, v187, v186, v188
	v_add3_u32 v153, v208, v207, v38
	v_lshlrev_b32_e32 v38, 2, v165
	v_add3_u32 v157, v190, v189, v191
	v_lshlrev_b32_e32 v169, 2, v164
	v_add3_u32 v156, v194, v193, v195
	v_add3_u32 v40, v198, v197, v214
	ds_write_b32 v3, v154 offset:512
	ds_write_b32 v38, v158 offset:512
	;; [unrolled: 1-line block ×3, first 2 shown]
	v_lshlrev_b32_e32 v3, 2, v161
	ds_write_b32 v37, v168 offset:512
	v_lshlrev_b32_e32 v37, 2, v160
	v_lshlrev_b32_e32 v38, 2, v159
	v_lshlrev_b32_e32 v151, 2, v157
	v_add3_u32 v39, v201, v200, v215
	v_add3_u32 v152, v211, v210, v177
	ds_write_b32 v3, v173 offset:512
	v_lshlrev_b32_e32 v3, 2, v156
	ds_write_b32 v37, v178 offset:512
	ds_write_b32 v38, v181 offset:512
	;; [unrolled: 1-line block ×3, first 2 shown]
	v_lshlrev_b32_e32 v37, 2, v40
	v_cmp_lt_u32_e32 vcc_lo, v0, v150
	v_lshlrev_b32_e32 v38, 2, v155
	ds_write_b32 v3, v172 offset:512
	v_lshlrev_b32_e32 v3, 2, v39
	ds_write_b32 v37, v192 offset:512
	v_lshlrev_b32_e32 v37, 2, v152
	v_lshlrev_b32_e32 v151, 2, v153
	ds_write_b32 v3, v196 offset:512
	ds_write_b32 v38, v199 offset:512
	;; [unrolled: 1-line block ×4, first 2 shown]
	s_waitcnt lgkmcnt(0)
	s_barrier
	buffer_gl0_inv
	s_and_saveexec_b32 s24, vcc_lo
	s_cbranch_execnz .LBB1355_547
; %bb.479:                              ;   in Loop: Header=BB1355_398 Depth=2
	s_or_b32 exec_lo, exec_lo, s24
	v_cmp_lt_u32_e64 s23, v42, v150
	s_and_saveexec_b32 s25, s23
	s_cbranch_execnz .LBB1355_548
.LBB1355_480:                           ;   in Loop: Header=BB1355_398 Depth=2
	s_or_b32 exec_lo, exec_lo, s25
	v_cmp_lt_u32_e64 s24, v45, v150
	s_and_saveexec_b32 s26, s24
	s_cbranch_execnz .LBB1355_549
.LBB1355_481:                           ;   in Loop: Header=BB1355_398 Depth=2
	s_or_b32 exec_lo, exec_lo, s26
	v_cmp_lt_u32_e64 s25, v46, v150
	s_and_saveexec_b32 s27, s25
	s_cbranch_execnz .LBB1355_550
.LBB1355_482:                           ;   in Loop: Header=BB1355_398 Depth=2
	s_or_b32 exec_lo, exec_lo, s27
	v_cmp_lt_u32_e64 s26, v47, v150
	s_and_saveexec_b32 s28, s26
	s_cbranch_execnz .LBB1355_551
.LBB1355_483:                           ;   in Loop: Header=BB1355_398 Depth=2
	s_or_b32 exec_lo, exec_lo, s28
	v_cmp_lt_u32_e64 s27, v48, v150
	s_and_saveexec_b32 s29, s27
	s_cbranch_execnz .LBB1355_552
.LBB1355_484:                           ;   in Loop: Header=BB1355_398 Depth=2
	s_or_b32 exec_lo, exec_lo, s29
	v_cmp_lt_u32_e64 s28, v49, v150
	s_and_saveexec_b32 s30, s28
	s_cbranch_execnz .LBB1355_553
.LBB1355_485:                           ;   in Loop: Header=BB1355_398 Depth=2
	s_or_b32 exec_lo, exec_lo, s30
	v_cmp_lt_u32_e64 s29, v50, v150
	s_and_saveexec_b32 s31, s29
	s_cbranch_execnz .LBB1355_554
.LBB1355_486:                           ;   in Loop: Header=BB1355_398 Depth=2
	s_or_b32 exec_lo, exec_lo, s31
	v_cmp_lt_u32_e64 s30, v51, v150
	s_and_saveexec_b32 s33, s30
	s_cbranch_execnz .LBB1355_555
.LBB1355_487:                           ;   in Loop: Header=BB1355_398 Depth=2
	s_or_b32 exec_lo, exec_lo, s33
	v_cmp_lt_u32_e64 s31, v52, v150
	s_and_saveexec_b32 s34, s31
	s_cbranch_execnz .LBB1355_556
.LBB1355_488:                           ;   in Loop: Header=BB1355_398 Depth=2
	s_or_b32 exec_lo, exec_lo, s34
	v_cmp_lt_u32_e64 s33, v53, v150
	s_and_saveexec_b32 s35, s33
	s_cbranch_execnz .LBB1355_557
.LBB1355_489:                           ;   in Loop: Header=BB1355_398 Depth=2
	s_or_b32 exec_lo, exec_lo, s35
	v_cmp_lt_u32_e64 s34, v54, v150
	s_and_saveexec_b32 s36, s34
	s_cbranch_execnz .LBB1355_558
.LBB1355_490:                           ;   in Loop: Header=BB1355_398 Depth=2
	s_or_b32 exec_lo, exec_lo, s36
	v_cmp_lt_u32_e64 s35, v55, v150
	s_and_saveexec_b32 s37, s35
	s_cbranch_execnz .LBB1355_559
.LBB1355_491:                           ;   in Loop: Header=BB1355_398 Depth=2
	s_or_b32 exec_lo, exec_lo, s37
	v_cmp_lt_u32_e64 s36, v56, v150
	s_and_saveexec_b32 s38, s36
	s_cbranch_execnz .LBB1355_560
.LBB1355_492:                           ;   in Loop: Header=BB1355_398 Depth=2
	s_or_b32 exec_lo, exec_lo, s38
	v_cmp_lt_u32_e64 s37, v57, v150
	s_and_saveexec_b32 s39, s37
	s_cbranch_execnz .LBB1355_561
.LBB1355_493:                           ;   in Loop: Header=BB1355_398 Depth=2
	s_or_b32 exec_lo, exec_lo, s39
	v_cmp_lt_u32_e64 s38, v58, v150
	s_and_saveexec_b32 s64, s38
	s_cbranch_execz .LBB1355_495
.LBB1355_494:                           ;   in Loop: Header=BB1355_398 Depth=2
	ds_read_b32 v151, v66 offset:15872
	s_waitcnt lgkmcnt(0)
	v_cmp_ne_u32_e64 s39, 0x80000000, v151
	v_cndmask_b32_e64 v3, 0x7fffffff, v151, s39
	v_cmp_gt_i32_e64 s39, 0, v151
	v_lshrrev_b32_e32 v3, s52, v3
	v_cndmask_b32_e64 v154, 0x7fffffff, 0, s39
	v_and_b32_e32 v3, s61, v3
	v_lshlrev_b32_e32 v3, 2, v3
	ds_read_b32 v3, v3
	s_waitcnt lgkmcnt(0)
	v_add_nc_u32_e32 v3, v3, v58
	v_lshlrev_b64 v[37:38], 2, v[3:4]
	v_xor_b32_e32 v3, v154, v151
	v_add_co_u32 v37, s39, s44, v37
	v_add_co_ci_u32_e64 v38, null, s45, v38, s39
	global_store_dword v[37:38], v3, off
.LBB1355_495:                           ;   in Loop: Header=BB1355_398 Depth=2
	s_or_b32 exec_lo, exec_lo, s64
	s_lshl_b64 s[64:65], s[46:47], 3
	v_add_co_u32 v37, s39, v127, s64
	v_add_co_ci_u32_e64 v38, null, s65, v128, s39
	v_cmp_lt_u32_e64 s39, v105, v150
	s_and_saveexec_b32 s46, s39
	s_xor_b32 s39, exec_lo, s46
	s_cbranch_execnz .LBB1355_562
; %bb.496:                              ;   in Loop: Header=BB1355_398 Depth=2
	s_or_b32 exec_lo, exec_lo, s39
	s_mov_b32 s46, exec_lo
	v_cmpx_lt_u32_e64 v108, v150
	s_cbranch_execnz .LBB1355_563
.LBB1355_497:                           ;   in Loop: Header=BB1355_398 Depth=2
	s_or_b32 exec_lo, exec_lo, s46
	s_mov_b32 s46, exec_lo
	v_cmpx_lt_u32_e64 v109, v150
	s_cbranch_execnz .LBB1355_564
.LBB1355_498:                           ;   in Loop: Header=BB1355_398 Depth=2
	s_or_b32 exec_lo, exec_lo, s46
	s_mov_b32 s46, exec_lo
	v_cmpx_lt_u32_e64 v110, v150
	s_cbranch_execnz .LBB1355_565
.LBB1355_499:                           ;   in Loop: Header=BB1355_398 Depth=2
	s_or_b32 exec_lo, exec_lo, s46
	s_mov_b32 s46, exec_lo
	v_cmpx_lt_u32_e64 v111, v150
	s_cbranch_execnz .LBB1355_566
.LBB1355_500:                           ;   in Loop: Header=BB1355_398 Depth=2
	s_or_b32 exec_lo, exec_lo, s46
	s_mov_b32 s46, exec_lo
	v_cmpx_lt_u32_e64 v112, v150
	s_cbranch_execnz .LBB1355_567
.LBB1355_501:                           ;   in Loop: Header=BB1355_398 Depth=2
	s_or_b32 exec_lo, exec_lo, s46
	s_mov_b32 s46, exec_lo
	v_cmpx_lt_u32_e64 v113, v150
	s_cbranch_execnz .LBB1355_568
.LBB1355_502:                           ;   in Loop: Header=BB1355_398 Depth=2
	s_or_b32 exec_lo, exec_lo, s46
	s_mov_b32 s46, exec_lo
	v_cmpx_lt_u32_e64 v114, v150
	s_cbranch_execnz .LBB1355_569
.LBB1355_503:                           ;   in Loop: Header=BB1355_398 Depth=2
	s_or_b32 exec_lo, exec_lo, s46
	s_mov_b32 s46, exec_lo
	v_cmpx_lt_u32_e64 v115, v150
	s_cbranch_execnz .LBB1355_570
.LBB1355_504:                           ;   in Loop: Header=BB1355_398 Depth=2
	s_or_b32 exec_lo, exec_lo, s46
	s_mov_b32 s46, exec_lo
	v_cmpx_lt_u32_e64 v116, v150
	s_cbranch_execnz .LBB1355_571
.LBB1355_505:                           ;   in Loop: Header=BB1355_398 Depth=2
	s_or_b32 exec_lo, exec_lo, s46
	s_mov_b32 s46, exec_lo
	v_cmpx_lt_u32_e64 v117, v150
	s_cbranch_execnz .LBB1355_572
.LBB1355_506:                           ;   in Loop: Header=BB1355_398 Depth=2
	s_or_b32 exec_lo, exec_lo, s46
	s_mov_b32 s46, exec_lo
	v_cmpx_lt_u32_e64 v118, v150
	s_cbranch_execnz .LBB1355_573
.LBB1355_507:                           ;   in Loop: Header=BB1355_398 Depth=2
	s_or_b32 exec_lo, exec_lo, s46
	s_mov_b32 s46, exec_lo
	v_cmpx_lt_u32_e64 v119, v150
	s_cbranch_execnz .LBB1355_574
.LBB1355_508:                           ;   in Loop: Header=BB1355_398 Depth=2
	s_or_b32 exec_lo, exec_lo, s46
	s_mov_b32 s46, exec_lo
	v_cmpx_lt_u32_e64 v121, v150
	s_cbranch_execnz .LBB1355_575
.LBB1355_509:                           ;   in Loop: Header=BB1355_398 Depth=2
	s_or_b32 exec_lo, exec_lo, s46
	s_mov_b32 s46, exec_lo
	v_cmpx_lt_u32_e64 v122, v150
	s_cbranch_execnz .LBB1355_576
.LBB1355_510:                           ;   in Loop: Header=BB1355_398 Depth=2
	s_or_b32 exec_lo, exec_lo, s46
	s_mov_b32 s46, exec_lo
	v_cmpx_lt_u32_e64 v123, v150
	s_cbranch_execnz .LBB1355_577
.LBB1355_511:                           ;   in Loop: Header=BB1355_398 Depth=2
	s_or_b32 exec_lo, exec_lo, s46
	s_and_saveexec_b32 s46, vcc_lo
	s_cbranch_execnz .LBB1355_578
.LBB1355_512:                           ;   in Loop: Header=BB1355_398 Depth=2
	s_or_b32 exec_lo, exec_lo, s46
	s_and_saveexec_b32 s46, s23
	s_cbranch_execnz .LBB1355_579
.LBB1355_513:                           ;   in Loop: Header=BB1355_398 Depth=2
	s_or_b32 exec_lo, exec_lo, s46
	s_and_saveexec_b32 s46, s24
	s_cbranch_execnz .LBB1355_580
.LBB1355_514:                           ;   in Loop: Header=BB1355_398 Depth=2
	s_or_b32 exec_lo, exec_lo, s46
	s_and_saveexec_b32 s46, s25
	s_cbranch_execnz .LBB1355_581
.LBB1355_515:                           ;   in Loop: Header=BB1355_398 Depth=2
	s_or_b32 exec_lo, exec_lo, s46
	s_and_saveexec_b32 s46, s26
	s_cbranch_execnz .LBB1355_582
.LBB1355_516:                           ;   in Loop: Header=BB1355_398 Depth=2
	s_or_b32 exec_lo, exec_lo, s46
	s_and_saveexec_b32 s46, s27
	s_cbranch_execnz .LBB1355_583
.LBB1355_517:                           ;   in Loop: Header=BB1355_398 Depth=2
	s_or_b32 exec_lo, exec_lo, s46
	s_and_saveexec_b32 s46, s28
	s_cbranch_execnz .LBB1355_584
.LBB1355_518:                           ;   in Loop: Header=BB1355_398 Depth=2
	s_or_b32 exec_lo, exec_lo, s46
	s_and_saveexec_b32 s46, s29
	s_cbranch_execnz .LBB1355_585
.LBB1355_519:                           ;   in Loop: Header=BB1355_398 Depth=2
	s_or_b32 exec_lo, exec_lo, s46
	s_and_saveexec_b32 s46, s30
	s_cbranch_execnz .LBB1355_586
.LBB1355_520:                           ;   in Loop: Header=BB1355_398 Depth=2
	s_or_b32 exec_lo, exec_lo, s46
	s_and_saveexec_b32 s46, s31
	s_cbranch_execnz .LBB1355_587
.LBB1355_521:                           ;   in Loop: Header=BB1355_398 Depth=2
	s_or_b32 exec_lo, exec_lo, s46
	s_and_saveexec_b32 s46, s33
	s_cbranch_execnz .LBB1355_588
.LBB1355_522:                           ;   in Loop: Header=BB1355_398 Depth=2
	s_or_b32 exec_lo, exec_lo, s46
	s_and_saveexec_b32 s46, s34
	s_cbranch_execnz .LBB1355_589
.LBB1355_523:                           ;   in Loop: Header=BB1355_398 Depth=2
	s_or_b32 exec_lo, exec_lo, s46
	s_and_saveexec_b32 s46, s35
	s_cbranch_execnz .LBB1355_590
.LBB1355_524:                           ;   in Loop: Header=BB1355_398 Depth=2
	s_or_b32 exec_lo, exec_lo, s46
	s_and_saveexec_b32 s46, s36
	s_cbranch_execnz .LBB1355_591
.LBB1355_525:                           ;   in Loop: Header=BB1355_398 Depth=2
	s_or_b32 exec_lo, exec_lo, s46
	s_and_saveexec_b32 s46, s37
	s_cbranch_execnz .LBB1355_592
.LBB1355_526:                           ;   in Loop: Header=BB1355_398 Depth=2
	s_or_b32 exec_lo, exec_lo, s46
	s_and_saveexec_b32 s46, s38
	s_cbranch_execz .LBB1355_528
.LBB1355_527:                           ;   in Loop: Header=BB1355_398 Depth=2
	ds_read_b32 v3, v66 offset:15872
	s_waitcnt lgkmcnt(0)
	v_cmp_ne_u32_e64 s39, 0x80000000, v3
	v_cndmask_b32_e64 v3, 0x7fffffff, v3, s39
	v_lshrrev_b32_e32 v3, s52, v3
	v_and_b32_e32 v132, s61, v3
.LBB1355_528:                           ;   in Loop: Header=BB1355_398 Depth=2
	s_or_b32 exec_lo, exec_lo, s46
	v_lshlrev_b32_e32 v3, 3, v171
	v_lshlrev_b32_e32 v37, 3, v167
	s_waitcnt vmcnt(0)
	s_waitcnt_vscnt null, 0x0
	s_barrier
	buffer_gl0_inv
	ds_write_b64 v3, v[35:36] offset:512
	v_lshlrev_b32_e32 v3, 3, v166
	v_lshlrev_b32_e32 v38, 3, v165
	;; [unrolled: 1-line block ×4, first 2 shown]
	ds_write_b64 v37, v[33:34] offset:512
	ds_write_b64 v3, v[31:32] offset:512
	ds_write_b64 v38, v[29:30] offset:512
	ds_write_b64 v150, v[27:28] offset:512
	ds_write_b64 v151, v[23:24] offset:512
	v_lshlrev_b32_e32 v3, 3, v161
	v_lshlrev_b32_e32 v37, 3, v160
	;; [unrolled: 1-line block ×5, first 2 shown]
	ds_write_b64 v3, v[19:20] offset:512
	ds_write_b64 v37, v[15:16] offset:512
	;; [unrolled: 1-line block ×5, first 2 shown]
	v_lshlrev_b32_e32 v3, 3, v40
	v_lshlrev_b32_e32 v37, 3, v39
	;; [unrolled: 1-line block ×5, first 2 shown]
	ds_write_b64 v3, v[13:14] offset:512
	ds_write_b64 v37, v[11:12] offset:512
	;; [unrolled: 1-line block ×5, first 2 shown]
	s_waitcnt lgkmcnt(0)
	s_barrier
	buffer_gl0_inv
	s_and_saveexec_b32 s39, vcc_lo
	s_cbranch_execnz .LBB1355_593
; %bb.529:                              ;   in Loop: Header=BB1355_398 Depth=2
	s_or_b32 exec_lo, exec_lo, s39
	s_and_saveexec_b32 s39, s23
	s_cbranch_execnz .LBB1355_594
.LBB1355_530:                           ;   in Loop: Header=BB1355_398 Depth=2
	s_or_b32 exec_lo, exec_lo, s39
	s_and_saveexec_b32 s23, s24
	s_cbranch_execnz .LBB1355_595
.LBB1355_531:                           ;   in Loop: Header=BB1355_398 Depth=2
	s_or_b32 exec_lo, exec_lo, s23
	s_and_saveexec_b32 s23, s25
	s_cbranch_execnz .LBB1355_596
.LBB1355_532:                           ;   in Loop: Header=BB1355_398 Depth=2
	s_or_b32 exec_lo, exec_lo, s23
	s_and_saveexec_b32 s23, s26
	s_cbranch_execnz .LBB1355_597
.LBB1355_533:                           ;   in Loop: Header=BB1355_398 Depth=2
	s_or_b32 exec_lo, exec_lo, s23
	s_and_saveexec_b32 s23, s27
	s_cbranch_execnz .LBB1355_598
.LBB1355_534:                           ;   in Loop: Header=BB1355_398 Depth=2
	s_or_b32 exec_lo, exec_lo, s23
	s_and_saveexec_b32 s23, s28
	s_cbranch_execnz .LBB1355_599
.LBB1355_535:                           ;   in Loop: Header=BB1355_398 Depth=2
	s_or_b32 exec_lo, exec_lo, s23
	s_and_saveexec_b32 s23, s29
	s_cbranch_execnz .LBB1355_600
.LBB1355_536:                           ;   in Loop: Header=BB1355_398 Depth=2
	s_or_b32 exec_lo, exec_lo, s23
	s_and_saveexec_b32 s23, s30
	s_cbranch_execnz .LBB1355_601
.LBB1355_537:                           ;   in Loop: Header=BB1355_398 Depth=2
	s_or_b32 exec_lo, exec_lo, s23
	s_and_saveexec_b32 s23, s31
	s_cbranch_execnz .LBB1355_602
.LBB1355_538:                           ;   in Loop: Header=BB1355_398 Depth=2
	s_or_b32 exec_lo, exec_lo, s23
	s_and_saveexec_b32 s23, s33
	s_cbranch_execnz .LBB1355_603
.LBB1355_539:                           ;   in Loop: Header=BB1355_398 Depth=2
	s_or_b32 exec_lo, exec_lo, s23
	s_and_saveexec_b32 s23, s34
	s_cbranch_execnz .LBB1355_604
.LBB1355_540:                           ;   in Loop: Header=BB1355_398 Depth=2
	s_or_b32 exec_lo, exec_lo, s23
	s_and_saveexec_b32 s23, s35
	s_cbranch_execnz .LBB1355_605
.LBB1355_541:                           ;   in Loop: Header=BB1355_398 Depth=2
	s_or_b32 exec_lo, exec_lo, s23
	s_and_saveexec_b32 s23, s36
	s_cbranch_execnz .LBB1355_606
.LBB1355_542:                           ;   in Loop: Header=BB1355_398 Depth=2
	s_or_b32 exec_lo, exec_lo, s23
	s_and_saveexec_b32 s23, s37
	s_cbranch_execnz .LBB1355_607
.LBB1355_543:                           ;   in Loop: Header=BB1355_398 Depth=2
	s_or_b32 exec_lo, exec_lo, s23
	s_and_saveexec_b32 s23, s38
	s_cbranch_execz .LBB1355_545
.LBB1355_544:                           ;   in Loop: Header=BB1355_398 Depth=2
	v_lshlrev_b32_e32 v3, 2, v132
	v_add_nc_u32_e32 v37, v66, v41
	ds_read_b32 v3, v3
	ds_read_b64 v[37:38], v37 offset:31232
	s_waitcnt lgkmcnt(1)
	v_add_nc_u32_e32 v3, v3, v58
	v_lshlrev_b64 v[39:40], 3, v[3:4]
	v_add_co_u32 v39, vcc_lo, s50, v39
	v_add_co_ci_u32_e64 v40, null, s51, v40, vcc_lo
	s_waitcnt lgkmcnt(0)
	global_store_dwordx2 v[39:40], v[37:38], off
.LBB1355_545:                           ;   in Loop: Header=BB1355_398 Depth=2
	s_or_b32 exec_lo, exec_lo, s23
	s_waitcnt_vscnt null, 0x0
	s_barrier
	buffer_gl0_inv
	s_and_saveexec_b32 s23, s8
	s_cbranch_execz .LBB1355_397
; %bb.546:                              ;   in Loop: Header=BB1355_398 Depth=2
	ds_read_b32 v3, v41
	s_waitcnt lgkmcnt(0)
	v_add3_u32 v3, v144, v149, v3
	ds_write_b32 v41, v3
	s_branch .LBB1355_397
.LBB1355_547:                           ;   in Loop: Header=BB1355_398 Depth=2
	ds_read_b32 v151, v66 offset:512
	s_waitcnt lgkmcnt(0)
	v_cmp_ne_u32_e64 s23, 0x80000000, v151
	v_cndmask_b32_e64 v3, 0x7fffffff, v151, s23
	v_cmp_gt_i32_e64 s23, 0, v151
	v_lshrrev_b32_e32 v3, s52, v3
	v_cndmask_b32_e64 v154, 0x7fffffff, 0, s23
	v_and_b32_e32 v3, s61, v3
	v_lshlrev_b32_e32 v3, 2, v3
	ds_read_b32 v3, v3
	s_waitcnt lgkmcnt(0)
	v_add_nc_u32_e32 v3, v3, v0
	v_lshlrev_b64 v[37:38], 2, v[3:4]
	v_xor_b32_e32 v3, v154, v151
	v_add_co_u32 v37, s23, s44, v37
	v_add_co_ci_u32_e64 v38, null, s45, v38, s23
	global_store_dword v[37:38], v3, off
	s_or_b32 exec_lo, exec_lo, s24
	v_cmp_lt_u32_e64 s23, v42, v150
	s_and_saveexec_b32 s25, s23
	s_cbranch_execz .LBB1355_480
.LBB1355_548:                           ;   in Loop: Header=BB1355_398 Depth=2
	ds_read_b32 v151, v66 offset:1536
	s_waitcnt lgkmcnt(0)
	v_cmp_ne_u32_e64 s24, 0x80000000, v151
	v_cndmask_b32_e64 v3, 0x7fffffff, v151, s24
	v_cmp_gt_i32_e64 s24, 0, v151
	v_lshrrev_b32_e32 v3, s52, v3
	v_cndmask_b32_e64 v154, 0x7fffffff, 0, s24
	v_and_b32_e32 v3, s61, v3
	v_lshlrev_b32_e32 v3, 2, v3
	ds_read_b32 v3, v3
	s_waitcnt lgkmcnt(0)
	v_add_nc_u32_e32 v3, v3, v42
	v_lshlrev_b64 v[37:38], 2, v[3:4]
	v_xor_b32_e32 v3, v154, v151
	v_add_co_u32 v37, s24, s44, v37
	v_add_co_ci_u32_e64 v38, null, s45, v38, s24
	global_store_dword v[37:38], v3, off
	s_or_b32 exec_lo, exec_lo, s25
	v_cmp_lt_u32_e64 s24, v45, v150
	s_and_saveexec_b32 s26, s24
	s_cbranch_execz .LBB1355_481
.LBB1355_549:                           ;   in Loop: Header=BB1355_398 Depth=2
	ds_read_b32 v151, v66 offset:2560
	s_waitcnt lgkmcnt(0)
	v_cmp_ne_u32_e64 s25, 0x80000000, v151
	v_cndmask_b32_e64 v3, 0x7fffffff, v151, s25
	v_cmp_gt_i32_e64 s25, 0, v151
	v_lshrrev_b32_e32 v3, s52, v3
	v_cndmask_b32_e64 v154, 0x7fffffff, 0, s25
	v_and_b32_e32 v3, s61, v3
	v_lshlrev_b32_e32 v3, 2, v3
	ds_read_b32 v3, v3
	s_waitcnt lgkmcnt(0)
	v_add_nc_u32_e32 v3, v3, v45
	v_lshlrev_b64 v[37:38], 2, v[3:4]
	v_xor_b32_e32 v3, v154, v151
	v_add_co_u32 v37, s25, s44, v37
	v_add_co_ci_u32_e64 v38, null, s45, v38, s25
	global_store_dword v[37:38], v3, off
	s_or_b32 exec_lo, exec_lo, s26
	v_cmp_lt_u32_e64 s25, v46, v150
	s_and_saveexec_b32 s27, s25
	s_cbranch_execz .LBB1355_482
.LBB1355_550:                           ;   in Loop: Header=BB1355_398 Depth=2
	ds_read_b32 v151, v66 offset:3584
	s_waitcnt lgkmcnt(0)
	v_cmp_ne_u32_e64 s26, 0x80000000, v151
	v_cndmask_b32_e64 v3, 0x7fffffff, v151, s26
	v_cmp_gt_i32_e64 s26, 0, v151
	v_lshrrev_b32_e32 v3, s52, v3
	v_cndmask_b32_e64 v154, 0x7fffffff, 0, s26
	v_and_b32_e32 v3, s61, v3
	v_lshlrev_b32_e32 v3, 2, v3
	ds_read_b32 v3, v3
	s_waitcnt lgkmcnt(0)
	v_add_nc_u32_e32 v3, v3, v46
	v_lshlrev_b64 v[37:38], 2, v[3:4]
	v_xor_b32_e32 v3, v154, v151
	v_add_co_u32 v37, s26, s44, v37
	v_add_co_ci_u32_e64 v38, null, s45, v38, s26
	global_store_dword v[37:38], v3, off
	s_or_b32 exec_lo, exec_lo, s27
	v_cmp_lt_u32_e64 s26, v47, v150
	s_and_saveexec_b32 s28, s26
	s_cbranch_execz .LBB1355_483
.LBB1355_551:                           ;   in Loop: Header=BB1355_398 Depth=2
	ds_read_b32 v151, v66 offset:4608
	s_waitcnt lgkmcnt(0)
	v_cmp_ne_u32_e64 s27, 0x80000000, v151
	v_cndmask_b32_e64 v3, 0x7fffffff, v151, s27
	v_cmp_gt_i32_e64 s27, 0, v151
	v_lshrrev_b32_e32 v3, s52, v3
	v_cndmask_b32_e64 v154, 0x7fffffff, 0, s27
	v_and_b32_e32 v3, s61, v3
	v_lshlrev_b32_e32 v3, 2, v3
	ds_read_b32 v3, v3
	s_waitcnt lgkmcnt(0)
	v_add_nc_u32_e32 v3, v3, v47
	v_lshlrev_b64 v[37:38], 2, v[3:4]
	v_xor_b32_e32 v3, v154, v151
	v_add_co_u32 v37, s27, s44, v37
	v_add_co_ci_u32_e64 v38, null, s45, v38, s27
	global_store_dword v[37:38], v3, off
	s_or_b32 exec_lo, exec_lo, s28
	v_cmp_lt_u32_e64 s27, v48, v150
	s_and_saveexec_b32 s29, s27
	s_cbranch_execz .LBB1355_484
.LBB1355_552:                           ;   in Loop: Header=BB1355_398 Depth=2
	ds_read_b32 v151, v66 offset:5632
	s_waitcnt lgkmcnt(0)
	v_cmp_ne_u32_e64 s28, 0x80000000, v151
	v_cndmask_b32_e64 v3, 0x7fffffff, v151, s28
	v_cmp_gt_i32_e64 s28, 0, v151
	v_lshrrev_b32_e32 v3, s52, v3
	v_cndmask_b32_e64 v154, 0x7fffffff, 0, s28
	v_and_b32_e32 v3, s61, v3
	v_lshlrev_b32_e32 v3, 2, v3
	ds_read_b32 v3, v3
	s_waitcnt lgkmcnt(0)
	v_add_nc_u32_e32 v3, v3, v48
	v_lshlrev_b64 v[37:38], 2, v[3:4]
	v_xor_b32_e32 v3, v154, v151
	v_add_co_u32 v37, s28, s44, v37
	v_add_co_ci_u32_e64 v38, null, s45, v38, s28
	global_store_dword v[37:38], v3, off
	s_or_b32 exec_lo, exec_lo, s29
	v_cmp_lt_u32_e64 s28, v49, v150
	s_and_saveexec_b32 s30, s28
	s_cbranch_execz .LBB1355_485
.LBB1355_553:                           ;   in Loop: Header=BB1355_398 Depth=2
	ds_read_b32 v151, v66 offset:6656
	s_waitcnt lgkmcnt(0)
	v_cmp_ne_u32_e64 s29, 0x80000000, v151
	v_cndmask_b32_e64 v3, 0x7fffffff, v151, s29
	v_cmp_gt_i32_e64 s29, 0, v151
	v_lshrrev_b32_e32 v3, s52, v3
	v_cndmask_b32_e64 v154, 0x7fffffff, 0, s29
	v_and_b32_e32 v3, s61, v3
	v_lshlrev_b32_e32 v3, 2, v3
	ds_read_b32 v3, v3
	s_waitcnt lgkmcnt(0)
	v_add_nc_u32_e32 v3, v3, v49
	v_lshlrev_b64 v[37:38], 2, v[3:4]
	v_xor_b32_e32 v3, v154, v151
	v_add_co_u32 v37, s29, s44, v37
	v_add_co_ci_u32_e64 v38, null, s45, v38, s29
	global_store_dword v[37:38], v3, off
	s_or_b32 exec_lo, exec_lo, s30
	v_cmp_lt_u32_e64 s29, v50, v150
	s_and_saveexec_b32 s31, s29
	s_cbranch_execz .LBB1355_486
.LBB1355_554:                           ;   in Loop: Header=BB1355_398 Depth=2
	ds_read_b32 v151, v66 offset:7680
	s_waitcnt lgkmcnt(0)
	v_cmp_ne_u32_e64 s30, 0x80000000, v151
	v_cndmask_b32_e64 v3, 0x7fffffff, v151, s30
	v_cmp_gt_i32_e64 s30, 0, v151
	v_lshrrev_b32_e32 v3, s52, v3
	v_cndmask_b32_e64 v154, 0x7fffffff, 0, s30
	v_and_b32_e32 v3, s61, v3
	v_lshlrev_b32_e32 v3, 2, v3
	ds_read_b32 v3, v3
	s_waitcnt lgkmcnt(0)
	v_add_nc_u32_e32 v3, v3, v50
	v_lshlrev_b64 v[37:38], 2, v[3:4]
	v_xor_b32_e32 v3, v154, v151
	v_add_co_u32 v37, s30, s44, v37
	v_add_co_ci_u32_e64 v38, null, s45, v38, s30
	global_store_dword v[37:38], v3, off
	s_or_b32 exec_lo, exec_lo, s31
	v_cmp_lt_u32_e64 s30, v51, v150
	s_and_saveexec_b32 s33, s30
	s_cbranch_execz .LBB1355_487
.LBB1355_555:                           ;   in Loop: Header=BB1355_398 Depth=2
	ds_read_b32 v151, v66 offset:8704
	s_waitcnt lgkmcnt(0)
	v_cmp_ne_u32_e64 s31, 0x80000000, v151
	v_cndmask_b32_e64 v3, 0x7fffffff, v151, s31
	v_cmp_gt_i32_e64 s31, 0, v151
	v_lshrrev_b32_e32 v3, s52, v3
	v_cndmask_b32_e64 v154, 0x7fffffff, 0, s31
	v_and_b32_e32 v3, s61, v3
	v_lshlrev_b32_e32 v3, 2, v3
	ds_read_b32 v3, v3
	s_waitcnt lgkmcnt(0)
	v_add_nc_u32_e32 v3, v3, v51
	v_lshlrev_b64 v[37:38], 2, v[3:4]
	v_xor_b32_e32 v3, v154, v151
	v_add_co_u32 v37, s31, s44, v37
	v_add_co_ci_u32_e64 v38, null, s45, v38, s31
	global_store_dword v[37:38], v3, off
	s_or_b32 exec_lo, exec_lo, s33
	v_cmp_lt_u32_e64 s31, v52, v150
	s_and_saveexec_b32 s34, s31
	s_cbranch_execz .LBB1355_488
.LBB1355_556:                           ;   in Loop: Header=BB1355_398 Depth=2
	ds_read_b32 v151, v66 offset:9728
	s_waitcnt lgkmcnt(0)
	v_cmp_ne_u32_e64 s33, 0x80000000, v151
	v_cndmask_b32_e64 v3, 0x7fffffff, v151, s33
	v_cmp_gt_i32_e64 s33, 0, v151
	v_lshrrev_b32_e32 v3, s52, v3
	v_cndmask_b32_e64 v154, 0x7fffffff, 0, s33
	v_and_b32_e32 v3, s61, v3
	v_lshlrev_b32_e32 v3, 2, v3
	ds_read_b32 v3, v3
	s_waitcnt lgkmcnt(0)
	v_add_nc_u32_e32 v3, v3, v52
	v_lshlrev_b64 v[37:38], 2, v[3:4]
	v_xor_b32_e32 v3, v154, v151
	v_add_co_u32 v37, s33, s44, v37
	v_add_co_ci_u32_e64 v38, null, s45, v38, s33
	global_store_dword v[37:38], v3, off
	s_or_b32 exec_lo, exec_lo, s34
	v_cmp_lt_u32_e64 s33, v53, v150
	s_and_saveexec_b32 s35, s33
	s_cbranch_execz .LBB1355_489
.LBB1355_557:                           ;   in Loop: Header=BB1355_398 Depth=2
	ds_read_b32 v151, v66 offset:10752
	s_waitcnt lgkmcnt(0)
	v_cmp_ne_u32_e64 s34, 0x80000000, v151
	v_cndmask_b32_e64 v3, 0x7fffffff, v151, s34
	v_cmp_gt_i32_e64 s34, 0, v151
	v_lshrrev_b32_e32 v3, s52, v3
	v_cndmask_b32_e64 v154, 0x7fffffff, 0, s34
	v_and_b32_e32 v3, s61, v3
	v_lshlrev_b32_e32 v3, 2, v3
	ds_read_b32 v3, v3
	s_waitcnt lgkmcnt(0)
	v_add_nc_u32_e32 v3, v3, v53
	v_lshlrev_b64 v[37:38], 2, v[3:4]
	v_xor_b32_e32 v3, v154, v151
	v_add_co_u32 v37, s34, s44, v37
	v_add_co_ci_u32_e64 v38, null, s45, v38, s34
	global_store_dword v[37:38], v3, off
	s_or_b32 exec_lo, exec_lo, s35
	v_cmp_lt_u32_e64 s34, v54, v150
	s_and_saveexec_b32 s36, s34
	s_cbranch_execz .LBB1355_490
.LBB1355_558:                           ;   in Loop: Header=BB1355_398 Depth=2
	ds_read_b32 v151, v66 offset:11776
	s_waitcnt lgkmcnt(0)
	v_cmp_ne_u32_e64 s35, 0x80000000, v151
	v_cndmask_b32_e64 v3, 0x7fffffff, v151, s35
	v_cmp_gt_i32_e64 s35, 0, v151
	v_lshrrev_b32_e32 v3, s52, v3
	v_cndmask_b32_e64 v154, 0x7fffffff, 0, s35
	v_and_b32_e32 v3, s61, v3
	v_lshlrev_b32_e32 v3, 2, v3
	ds_read_b32 v3, v3
	s_waitcnt lgkmcnt(0)
	v_add_nc_u32_e32 v3, v3, v54
	v_lshlrev_b64 v[37:38], 2, v[3:4]
	v_xor_b32_e32 v3, v154, v151
	v_add_co_u32 v37, s35, s44, v37
	v_add_co_ci_u32_e64 v38, null, s45, v38, s35
	global_store_dword v[37:38], v3, off
	s_or_b32 exec_lo, exec_lo, s36
	v_cmp_lt_u32_e64 s35, v55, v150
	s_and_saveexec_b32 s37, s35
	s_cbranch_execz .LBB1355_491
.LBB1355_559:                           ;   in Loop: Header=BB1355_398 Depth=2
	ds_read_b32 v151, v66 offset:12800
	s_waitcnt lgkmcnt(0)
	v_cmp_ne_u32_e64 s36, 0x80000000, v151
	v_cndmask_b32_e64 v3, 0x7fffffff, v151, s36
	v_cmp_gt_i32_e64 s36, 0, v151
	v_lshrrev_b32_e32 v3, s52, v3
	v_cndmask_b32_e64 v154, 0x7fffffff, 0, s36
	v_and_b32_e32 v3, s61, v3
	v_lshlrev_b32_e32 v3, 2, v3
	ds_read_b32 v3, v3
	s_waitcnt lgkmcnt(0)
	v_add_nc_u32_e32 v3, v3, v55
	v_lshlrev_b64 v[37:38], 2, v[3:4]
	v_xor_b32_e32 v3, v154, v151
	v_add_co_u32 v37, s36, s44, v37
	v_add_co_ci_u32_e64 v38, null, s45, v38, s36
	global_store_dword v[37:38], v3, off
	s_or_b32 exec_lo, exec_lo, s37
	v_cmp_lt_u32_e64 s36, v56, v150
	s_and_saveexec_b32 s38, s36
	s_cbranch_execz .LBB1355_492
.LBB1355_560:                           ;   in Loop: Header=BB1355_398 Depth=2
	ds_read_b32 v151, v66 offset:13824
	s_waitcnt lgkmcnt(0)
	v_cmp_ne_u32_e64 s37, 0x80000000, v151
	v_cndmask_b32_e64 v3, 0x7fffffff, v151, s37
	v_cmp_gt_i32_e64 s37, 0, v151
	v_lshrrev_b32_e32 v3, s52, v3
	v_cndmask_b32_e64 v154, 0x7fffffff, 0, s37
	v_and_b32_e32 v3, s61, v3
	v_lshlrev_b32_e32 v3, 2, v3
	ds_read_b32 v3, v3
	s_waitcnt lgkmcnt(0)
	v_add_nc_u32_e32 v3, v3, v56
	v_lshlrev_b64 v[37:38], 2, v[3:4]
	v_xor_b32_e32 v3, v154, v151
	v_add_co_u32 v37, s37, s44, v37
	v_add_co_ci_u32_e64 v38, null, s45, v38, s37
	global_store_dword v[37:38], v3, off
	s_or_b32 exec_lo, exec_lo, s38
	v_cmp_lt_u32_e64 s37, v57, v150
	s_and_saveexec_b32 s39, s37
	s_cbranch_execz .LBB1355_493
.LBB1355_561:                           ;   in Loop: Header=BB1355_398 Depth=2
	ds_read_b32 v151, v66 offset:14848
	s_waitcnt lgkmcnt(0)
	v_cmp_ne_u32_e64 s38, 0x80000000, v151
	v_cndmask_b32_e64 v3, 0x7fffffff, v151, s38
	v_cmp_gt_i32_e64 s38, 0, v151
	v_lshrrev_b32_e32 v3, s52, v3
	v_cndmask_b32_e64 v154, 0x7fffffff, 0, s38
	v_and_b32_e32 v3, s61, v3
	v_lshlrev_b32_e32 v3, 2, v3
	ds_read_b32 v3, v3
	s_waitcnt lgkmcnt(0)
	v_add_nc_u32_e32 v3, v3, v57
	v_lshlrev_b64 v[37:38], 2, v[3:4]
	v_xor_b32_e32 v3, v154, v151
	v_add_co_u32 v37, s38, s44, v37
	v_add_co_ci_u32_e64 v38, null, s45, v38, s38
	global_store_dword v[37:38], v3, off
	s_or_b32 exec_lo, exec_lo, s39
	v_cmp_lt_u32_e64 s38, v58, v150
	s_and_saveexec_b32 s64, s38
	s_cbranch_execnz .LBB1355_494
	s_branch .LBB1355_495
.LBB1355_562:                           ;   in Loop: Header=BB1355_398 Depth=2
	global_load_dwordx2 v[35:36], v[37:38], off
	s_or_b32 exec_lo, exec_lo, s39
	s_mov_b32 s46, exec_lo
	v_cmpx_lt_u32_e64 v108, v150
	s_cbranch_execz .LBB1355_497
.LBB1355_563:                           ;   in Loop: Header=BB1355_398 Depth=2
	global_load_dwordx2 v[33:34], v[37:38], off offset:256
	s_or_b32 exec_lo, exec_lo, s46
	s_mov_b32 s46, exec_lo
	v_cmpx_lt_u32_e64 v109, v150
	s_cbranch_execz .LBB1355_498
.LBB1355_564:                           ;   in Loop: Header=BB1355_398 Depth=2
	global_load_dwordx2 v[31:32], v[37:38], off offset:512
	s_or_b32 exec_lo, exec_lo, s46
	s_mov_b32 s46, exec_lo
	v_cmpx_lt_u32_e64 v110, v150
	s_cbranch_execz .LBB1355_499
.LBB1355_565:                           ;   in Loop: Header=BB1355_398 Depth=2
	global_load_dwordx2 v[29:30], v[37:38], off offset:768
	s_or_b32 exec_lo, exec_lo, s46
	s_mov_b32 s46, exec_lo
	v_cmpx_lt_u32_e64 v111, v150
	s_cbranch_execz .LBB1355_500
.LBB1355_566:                           ;   in Loop: Header=BB1355_398 Depth=2
	global_load_dwordx2 v[27:28], v[37:38], off offset:1024
	s_or_b32 exec_lo, exec_lo, s46
	s_mov_b32 s46, exec_lo
	v_cmpx_lt_u32_e64 v112, v150
	s_cbranch_execz .LBB1355_501
.LBB1355_567:                           ;   in Loop: Header=BB1355_398 Depth=2
	global_load_dwordx2 v[23:24], v[37:38], off offset:1280
	s_or_b32 exec_lo, exec_lo, s46
	s_mov_b32 s46, exec_lo
	v_cmpx_lt_u32_e64 v113, v150
	s_cbranch_execz .LBB1355_502
.LBB1355_568:                           ;   in Loop: Header=BB1355_398 Depth=2
	global_load_dwordx2 v[19:20], v[37:38], off offset:1536
	s_or_b32 exec_lo, exec_lo, s46
	s_mov_b32 s46, exec_lo
	v_cmpx_lt_u32_e64 v114, v150
	s_cbranch_execz .LBB1355_503
.LBB1355_569:                           ;   in Loop: Header=BB1355_398 Depth=2
	global_load_dwordx2 v[15:16], v[37:38], off offset:1792
	s_or_b32 exec_lo, exec_lo, s46
	s_mov_b32 s46, exec_lo
	v_cmpx_lt_u32_e64 v115, v150
	s_cbranch_execz .LBB1355_504
.LBB1355_570:                           ;   in Loop: Header=BB1355_398 Depth=2
	v_add_co_u32 v25, s39, 0x800, v37
	v_add_co_ci_u32_e64 v26, null, 0, v38, s39
	global_load_dwordx2 v[25:26], v[25:26], off
	s_or_b32 exec_lo, exec_lo, s46
	s_mov_b32 s46, exec_lo
	v_cmpx_lt_u32_e64 v116, v150
	s_cbranch_execz .LBB1355_505
.LBB1355_571:                           ;   in Loop: Header=BB1355_398 Depth=2
	v_add_co_u32 v21, s39, 0x800, v37
	v_add_co_ci_u32_e64 v22, null, 0, v38, s39
	global_load_dwordx2 v[21:22], v[21:22], off offset:256
	s_or_b32 exec_lo, exec_lo, s46
	s_mov_b32 s46, exec_lo
	v_cmpx_lt_u32_e64 v117, v150
	s_cbranch_execz .LBB1355_506
.LBB1355_572:                           ;   in Loop: Header=BB1355_398 Depth=2
	v_add_co_u32 v17, s39, 0x800, v37
	v_add_co_ci_u32_e64 v18, null, 0, v38, s39
	global_load_dwordx2 v[17:18], v[17:18], off offset:512
	s_or_b32 exec_lo, exec_lo, s46
	s_mov_b32 s46, exec_lo
	v_cmpx_lt_u32_e64 v118, v150
	s_cbranch_execz .LBB1355_507
.LBB1355_573:                           ;   in Loop: Header=BB1355_398 Depth=2
	v_add_co_u32 v13, s39, 0x800, v37
	v_add_co_ci_u32_e64 v14, null, 0, v38, s39
	global_load_dwordx2 v[13:14], v[13:14], off offset:768
	s_or_b32 exec_lo, exec_lo, s46
	s_mov_b32 s46, exec_lo
	v_cmpx_lt_u32_e64 v119, v150
	s_cbranch_execz .LBB1355_508
.LBB1355_574:                           ;   in Loop: Header=BB1355_398 Depth=2
	v_add_co_u32 v11, s39, 0x800, v37
	v_add_co_ci_u32_e64 v12, null, 0, v38, s39
	global_load_dwordx2 v[11:12], v[11:12], off offset:1024
	s_or_b32 exec_lo, exec_lo, s46
	s_mov_b32 s46, exec_lo
	v_cmpx_lt_u32_e64 v121, v150
	s_cbranch_execz .LBB1355_509
.LBB1355_575:                           ;   in Loop: Header=BB1355_398 Depth=2
	v_add_co_u32 v9, s39, 0x800, v37
	v_add_co_ci_u32_e64 v10, null, 0, v38, s39
	global_load_dwordx2 v[9:10], v[9:10], off offset:1280
	s_or_b32 exec_lo, exec_lo, s46
	s_mov_b32 s46, exec_lo
	v_cmpx_lt_u32_e64 v122, v150
	s_cbranch_execz .LBB1355_510
.LBB1355_576:                           ;   in Loop: Header=BB1355_398 Depth=2
	v_add_co_u32 v7, s39, 0x800, v37
	v_add_co_ci_u32_e64 v8, null, 0, v38, s39
	global_load_dwordx2 v[7:8], v[7:8], off offset:1536
	s_or_b32 exec_lo, exec_lo, s46
	s_mov_b32 s46, exec_lo
	v_cmpx_lt_u32_e64 v123, v150
	s_cbranch_execz .LBB1355_511
.LBB1355_577:                           ;   in Loop: Header=BB1355_398 Depth=2
	v_add_co_u32 v5, s39, 0x800, v37
	v_add_co_ci_u32_e64 v6, null, 0, v38, s39
	global_load_dwordx2 v[5:6], v[5:6], off offset:1792
	s_or_b32 exec_lo, exec_lo, s46
	s_and_saveexec_b32 s46, vcc_lo
	s_cbranch_execz .LBB1355_512
.LBB1355_578:                           ;   in Loop: Header=BB1355_398 Depth=2
	ds_read_b32 v3, v66 offset:512
	s_waitcnt lgkmcnt(0)
	v_cmp_ne_u32_e64 s39, 0x80000000, v3
	v_cndmask_b32_e64 v3, 0x7fffffff, v3, s39
	v_lshrrev_b32_e32 v3, s52, v3
	v_and_b32_e32 v148, s61, v3
	s_or_b32 exec_lo, exec_lo, s46
	s_and_saveexec_b32 s46, s23
	s_cbranch_execz .LBB1355_513
.LBB1355_579:                           ;   in Loop: Header=BB1355_398 Depth=2
	ds_read_b32 v3, v66 offset:1536
	s_waitcnt lgkmcnt(0)
	v_cmp_ne_u32_e64 s39, 0x80000000, v3
	v_cndmask_b32_e64 v3, 0x7fffffff, v3, s39
	v_lshrrev_b32_e32 v3, s52, v3
	v_and_b32_e32 v147, s61, v3
	s_or_b32 exec_lo, exec_lo, s46
	s_and_saveexec_b32 s46, s24
	s_cbranch_execz .LBB1355_514
.LBB1355_580:                           ;   in Loop: Header=BB1355_398 Depth=2
	ds_read_b32 v3, v66 offset:2560
	s_waitcnt lgkmcnt(0)
	v_cmp_ne_u32_e64 s39, 0x80000000, v3
	v_cndmask_b32_e64 v3, 0x7fffffff, v3, s39
	v_lshrrev_b32_e32 v3, s52, v3
	v_and_b32_e32 v146, s61, v3
	s_or_b32 exec_lo, exec_lo, s46
	s_and_saveexec_b32 s46, s25
	s_cbranch_execz .LBB1355_515
.LBB1355_581:                           ;   in Loop: Header=BB1355_398 Depth=2
	ds_read_b32 v3, v66 offset:3584
	s_waitcnt lgkmcnt(0)
	v_cmp_ne_u32_e64 s39, 0x80000000, v3
	v_cndmask_b32_e64 v3, 0x7fffffff, v3, s39
	v_lshrrev_b32_e32 v3, s52, v3
	v_and_b32_e32 v145, s61, v3
	s_or_b32 exec_lo, exec_lo, s46
	s_and_saveexec_b32 s46, s26
	s_cbranch_execz .LBB1355_516
.LBB1355_582:                           ;   in Loop: Header=BB1355_398 Depth=2
	ds_read_b32 v3, v66 offset:4608
	s_waitcnt lgkmcnt(0)
	v_cmp_ne_u32_e64 s39, 0x80000000, v3
	v_cndmask_b32_e64 v3, 0x7fffffff, v3, s39
	v_lshrrev_b32_e32 v3, s52, v3
	v_and_b32_e32 v143, s61, v3
	s_or_b32 exec_lo, exec_lo, s46
	s_and_saveexec_b32 s46, s27
	s_cbranch_execz .LBB1355_517
.LBB1355_583:                           ;   in Loop: Header=BB1355_398 Depth=2
	ds_read_b32 v3, v66 offset:5632
	s_waitcnt lgkmcnt(0)
	v_cmp_ne_u32_e64 s39, 0x80000000, v3
	v_cndmask_b32_e64 v3, 0x7fffffff, v3, s39
	v_lshrrev_b32_e32 v3, s52, v3
	v_and_b32_e32 v142, s61, v3
	s_or_b32 exec_lo, exec_lo, s46
	s_and_saveexec_b32 s46, s28
	s_cbranch_execz .LBB1355_518
.LBB1355_584:                           ;   in Loop: Header=BB1355_398 Depth=2
	ds_read_b32 v3, v66 offset:6656
	s_waitcnt lgkmcnt(0)
	v_cmp_ne_u32_e64 s39, 0x80000000, v3
	v_cndmask_b32_e64 v3, 0x7fffffff, v3, s39
	v_lshrrev_b32_e32 v3, s52, v3
	v_and_b32_e32 v141, s61, v3
	s_or_b32 exec_lo, exec_lo, s46
	s_and_saveexec_b32 s46, s29
	s_cbranch_execz .LBB1355_519
.LBB1355_585:                           ;   in Loop: Header=BB1355_398 Depth=2
	ds_read_b32 v3, v66 offset:7680
	s_waitcnt lgkmcnt(0)
	v_cmp_ne_u32_e64 s39, 0x80000000, v3
	v_cndmask_b32_e64 v3, 0x7fffffff, v3, s39
	v_lshrrev_b32_e32 v3, s52, v3
	v_and_b32_e32 v140, s61, v3
	s_or_b32 exec_lo, exec_lo, s46
	s_and_saveexec_b32 s46, s30
	s_cbranch_execz .LBB1355_520
.LBB1355_586:                           ;   in Loop: Header=BB1355_398 Depth=2
	ds_read_b32 v3, v66 offset:8704
	s_waitcnt lgkmcnt(0)
	v_cmp_ne_u32_e64 s39, 0x80000000, v3
	v_cndmask_b32_e64 v3, 0x7fffffff, v3, s39
	v_lshrrev_b32_e32 v3, s52, v3
	v_and_b32_e32 v139, s61, v3
	s_or_b32 exec_lo, exec_lo, s46
	s_and_saveexec_b32 s46, s31
	s_cbranch_execz .LBB1355_521
.LBB1355_587:                           ;   in Loop: Header=BB1355_398 Depth=2
	ds_read_b32 v3, v66 offset:9728
	s_waitcnt lgkmcnt(0)
	v_cmp_ne_u32_e64 s39, 0x80000000, v3
	v_cndmask_b32_e64 v3, 0x7fffffff, v3, s39
	v_lshrrev_b32_e32 v3, s52, v3
	v_and_b32_e32 v138, s61, v3
	s_or_b32 exec_lo, exec_lo, s46
	s_and_saveexec_b32 s46, s33
	s_cbranch_execz .LBB1355_522
.LBB1355_588:                           ;   in Loop: Header=BB1355_398 Depth=2
	ds_read_b32 v3, v66 offset:10752
	s_waitcnt lgkmcnt(0)
	v_cmp_ne_u32_e64 s39, 0x80000000, v3
	v_cndmask_b32_e64 v3, 0x7fffffff, v3, s39
	v_lshrrev_b32_e32 v3, s52, v3
	v_and_b32_e32 v137, s61, v3
	s_or_b32 exec_lo, exec_lo, s46
	s_and_saveexec_b32 s46, s34
	s_cbranch_execz .LBB1355_523
.LBB1355_589:                           ;   in Loop: Header=BB1355_398 Depth=2
	ds_read_b32 v3, v66 offset:11776
	s_waitcnt lgkmcnt(0)
	v_cmp_ne_u32_e64 s39, 0x80000000, v3
	v_cndmask_b32_e64 v3, 0x7fffffff, v3, s39
	v_lshrrev_b32_e32 v3, s52, v3
	v_and_b32_e32 v136, s61, v3
	s_or_b32 exec_lo, exec_lo, s46
	s_and_saveexec_b32 s46, s35
	s_cbranch_execz .LBB1355_524
.LBB1355_590:                           ;   in Loop: Header=BB1355_398 Depth=2
	ds_read_b32 v3, v66 offset:12800
	s_waitcnt lgkmcnt(0)
	v_cmp_ne_u32_e64 s39, 0x80000000, v3
	v_cndmask_b32_e64 v3, 0x7fffffff, v3, s39
	v_lshrrev_b32_e32 v3, s52, v3
	v_and_b32_e32 v135, s61, v3
	s_or_b32 exec_lo, exec_lo, s46
	s_and_saveexec_b32 s46, s36
	s_cbranch_execz .LBB1355_525
.LBB1355_591:                           ;   in Loop: Header=BB1355_398 Depth=2
	ds_read_b32 v3, v66 offset:13824
	s_waitcnt lgkmcnt(0)
	v_cmp_ne_u32_e64 s39, 0x80000000, v3
	v_cndmask_b32_e64 v3, 0x7fffffff, v3, s39
	v_lshrrev_b32_e32 v3, s52, v3
	v_and_b32_e32 v134, s61, v3
	s_or_b32 exec_lo, exec_lo, s46
	s_and_saveexec_b32 s46, s37
	s_cbranch_execz .LBB1355_526
.LBB1355_592:                           ;   in Loop: Header=BB1355_398 Depth=2
	ds_read_b32 v3, v66 offset:14848
	s_waitcnt lgkmcnt(0)
	v_cmp_ne_u32_e64 s39, 0x80000000, v3
	v_cndmask_b32_e64 v3, 0x7fffffff, v3, s39
	v_lshrrev_b32_e32 v3, s52, v3
	v_and_b32_e32 v133, s61, v3
	s_or_b32 exec_lo, exec_lo, s46
	s_and_saveexec_b32 s46, s38
	s_cbranch_execnz .LBB1355_527
	s_branch .LBB1355_528
.LBB1355_593:                           ;   in Loop: Header=BB1355_398 Depth=2
	v_lshlrev_b32_e32 v3, 2, v148
	v_add_nc_u32_e32 v37, v66, v41
	ds_read_b32 v3, v3
	ds_read_b64 v[37:38], v37 offset:512
	s_waitcnt lgkmcnt(1)
	v_add_nc_u32_e32 v3, v3, v0
	v_lshlrev_b64 v[39:40], 3, v[3:4]
	v_add_co_u32 v39, vcc_lo, s50, v39
	v_add_co_ci_u32_e64 v40, null, s51, v40, vcc_lo
	s_waitcnt lgkmcnt(0)
	global_store_dwordx2 v[39:40], v[37:38], off
	s_or_b32 exec_lo, exec_lo, s39
	s_and_saveexec_b32 s39, s23
	s_cbranch_execz .LBB1355_530
.LBB1355_594:                           ;   in Loop: Header=BB1355_398 Depth=2
	v_lshlrev_b32_e32 v3, 2, v147
	v_add_nc_u32_e32 v37, v66, v41
	ds_read_b32 v3, v3
	ds_read_b64 v[37:38], v37 offset:2560
	s_waitcnt lgkmcnt(1)
	v_add_nc_u32_e32 v3, v3, v42
	v_lshlrev_b64 v[39:40], 3, v[3:4]
	v_add_co_u32 v39, vcc_lo, s50, v39
	v_add_co_ci_u32_e64 v40, null, s51, v40, vcc_lo
	s_waitcnt lgkmcnt(0)
	global_store_dwordx2 v[39:40], v[37:38], off
	s_or_b32 exec_lo, exec_lo, s39
	s_and_saveexec_b32 s23, s24
	s_cbranch_execz .LBB1355_531
.LBB1355_595:                           ;   in Loop: Header=BB1355_398 Depth=2
	v_lshlrev_b32_e32 v3, 2, v146
	v_add_nc_u32_e32 v37, v66, v41
	ds_read_b32 v3, v3
	ds_read_b64 v[37:38], v37 offset:4608
	s_waitcnt lgkmcnt(1)
	v_add_nc_u32_e32 v3, v3, v45
	v_lshlrev_b64 v[39:40], 3, v[3:4]
	v_add_co_u32 v39, vcc_lo, s50, v39
	v_add_co_ci_u32_e64 v40, null, s51, v40, vcc_lo
	s_waitcnt lgkmcnt(0)
	global_store_dwordx2 v[39:40], v[37:38], off
	s_or_b32 exec_lo, exec_lo, s23
	s_and_saveexec_b32 s23, s25
	s_cbranch_execz .LBB1355_532
.LBB1355_596:                           ;   in Loop: Header=BB1355_398 Depth=2
	v_lshlrev_b32_e32 v3, 2, v145
	v_add_nc_u32_e32 v37, v66, v41
	ds_read_b32 v3, v3
	ds_read_b64 v[37:38], v37 offset:6656
	s_waitcnt lgkmcnt(1)
	v_add_nc_u32_e32 v3, v3, v46
	v_lshlrev_b64 v[39:40], 3, v[3:4]
	v_add_co_u32 v39, vcc_lo, s50, v39
	v_add_co_ci_u32_e64 v40, null, s51, v40, vcc_lo
	s_waitcnt lgkmcnt(0)
	global_store_dwordx2 v[39:40], v[37:38], off
	s_or_b32 exec_lo, exec_lo, s23
	s_and_saveexec_b32 s23, s26
	s_cbranch_execz .LBB1355_533
.LBB1355_597:                           ;   in Loop: Header=BB1355_398 Depth=2
	v_lshlrev_b32_e32 v3, 2, v143
	v_add_nc_u32_e32 v37, v66, v41
	ds_read_b32 v3, v3
	ds_read_b64 v[37:38], v37 offset:8704
	s_waitcnt lgkmcnt(1)
	v_add_nc_u32_e32 v3, v3, v47
	v_lshlrev_b64 v[39:40], 3, v[3:4]
	v_add_co_u32 v39, vcc_lo, s50, v39
	v_add_co_ci_u32_e64 v40, null, s51, v40, vcc_lo
	s_waitcnt lgkmcnt(0)
	global_store_dwordx2 v[39:40], v[37:38], off
	s_or_b32 exec_lo, exec_lo, s23
	s_and_saveexec_b32 s23, s27
	s_cbranch_execz .LBB1355_534
.LBB1355_598:                           ;   in Loop: Header=BB1355_398 Depth=2
	v_lshlrev_b32_e32 v3, 2, v142
	v_add_nc_u32_e32 v37, v66, v41
	ds_read_b32 v3, v3
	ds_read_b64 v[37:38], v37 offset:10752
	s_waitcnt lgkmcnt(1)
	v_add_nc_u32_e32 v3, v3, v48
	v_lshlrev_b64 v[39:40], 3, v[3:4]
	v_add_co_u32 v39, vcc_lo, s50, v39
	v_add_co_ci_u32_e64 v40, null, s51, v40, vcc_lo
	s_waitcnt lgkmcnt(0)
	global_store_dwordx2 v[39:40], v[37:38], off
	s_or_b32 exec_lo, exec_lo, s23
	s_and_saveexec_b32 s23, s28
	s_cbranch_execz .LBB1355_535
.LBB1355_599:                           ;   in Loop: Header=BB1355_398 Depth=2
	v_lshlrev_b32_e32 v3, 2, v141
	v_add_nc_u32_e32 v37, v66, v41
	ds_read_b32 v3, v3
	ds_read_b64 v[37:38], v37 offset:12800
	s_waitcnt lgkmcnt(1)
	v_add_nc_u32_e32 v3, v3, v49
	v_lshlrev_b64 v[39:40], 3, v[3:4]
	v_add_co_u32 v39, vcc_lo, s50, v39
	v_add_co_ci_u32_e64 v40, null, s51, v40, vcc_lo
	s_waitcnt lgkmcnt(0)
	global_store_dwordx2 v[39:40], v[37:38], off
	s_or_b32 exec_lo, exec_lo, s23
	s_and_saveexec_b32 s23, s29
	s_cbranch_execz .LBB1355_536
.LBB1355_600:                           ;   in Loop: Header=BB1355_398 Depth=2
	v_lshlrev_b32_e32 v3, 2, v140
	v_add_nc_u32_e32 v37, v66, v41
	ds_read_b32 v3, v3
	ds_read_b64 v[37:38], v37 offset:14848
	s_waitcnt lgkmcnt(1)
	v_add_nc_u32_e32 v3, v3, v50
	v_lshlrev_b64 v[39:40], 3, v[3:4]
	v_add_co_u32 v39, vcc_lo, s50, v39
	v_add_co_ci_u32_e64 v40, null, s51, v40, vcc_lo
	s_waitcnt lgkmcnt(0)
	global_store_dwordx2 v[39:40], v[37:38], off
	s_or_b32 exec_lo, exec_lo, s23
	s_and_saveexec_b32 s23, s30
	s_cbranch_execz .LBB1355_537
.LBB1355_601:                           ;   in Loop: Header=BB1355_398 Depth=2
	v_lshlrev_b32_e32 v3, 2, v139
	v_add_nc_u32_e32 v37, v66, v41
	ds_read_b32 v3, v3
	ds_read_b64 v[37:38], v37 offset:16896
	s_waitcnt lgkmcnt(1)
	v_add_nc_u32_e32 v3, v3, v51
	v_lshlrev_b64 v[39:40], 3, v[3:4]
	v_add_co_u32 v39, vcc_lo, s50, v39
	v_add_co_ci_u32_e64 v40, null, s51, v40, vcc_lo
	s_waitcnt lgkmcnt(0)
	global_store_dwordx2 v[39:40], v[37:38], off
	s_or_b32 exec_lo, exec_lo, s23
	s_and_saveexec_b32 s23, s31
	s_cbranch_execz .LBB1355_538
.LBB1355_602:                           ;   in Loop: Header=BB1355_398 Depth=2
	v_lshlrev_b32_e32 v3, 2, v138
	v_add_nc_u32_e32 v37, v66, v41
	ds_read_b32 v3, v3
	ds_read_b64 v[37:38], v37 offset:18944
	s_waitcnt lgkmcnt(1)
	v_add_nc_u32_e32 v3, v3, v52
	v_lshlrev_b64 v[39:40], 3, v[3:4]
	v_add_co_u32 v39, vcc_lo, s50, v39
	v_add_co_ci_u32_e64 v40, null, s51, v40, vcc_lo
	s_waitcnt lgkmcnt(0)
	global_store_dwordx2 v[39:40], v[37:38], off
	s_or_b32 exec_lo, exec_lo, s23
	s_and_saveexec_b32 s23, s33
	s_cbranch_execz .LBB1355_539
.LBB1355_603:                           ;   in Loop: Header=BB1355_398 Depth=2
	v_lshlrev_b32_e32 v3, 2, v137
	v_add_nc_u32_e32 v37, v66, v41
	ds_read_b32 v3, v3
	ds_read_b64 v[37:38], v37 offset:20992
	s_waitcnt lgkmcnt(1)
	v_add_nc_u32_e32 v3, v3, v53
	v_lshlrev_b64 v[39:40], 3, v[3:4]
	v_add_co_u32 v39, vcc_lo, s50, v39
	v_add_co_ci_u32_e64 v40, null, s51, v40, vcc_lo
	s_waitcnt lgkmcnt(0)
	global_store_dwordx2 v[39:40], v[37:38], off
	s_or_b32 exec_lo, exec_lo, s23
	s_and_saveexec_b32 s23, s34
	s_cbranch_execz .LBB1355_540
.LBB1355_604:                           ;   in Loop: Header=BB1355_398 Depth=2
	v_lshlrev_b32_e32 v3, 2, v136
	v_add_nc_u32_e32 v37, v66, v41
	ds_read_b32 v3, v3
	ds_read_b64 v[37:38], v37 offset:23040
	s_waitcnt lgkmcnt(1)
	v_add_nc_u32_e32 v3, v3, v54
	v_lshlrev_b64 v[39:40], 3, v[3:4]
	v_add_co_u32 v39, vcc_lo, s50, v39
	v_add_co_ci_u32_e64 v40, null, s51, v40, vcc_lo
	s_waitcnt lgkmcnt(0)
	global_store_dwordx2 v[39:40], v[37:38], off
	s_or_b32 exec_lo, exec_lo, s23
	s_and_saveexec_b32 s23, s35
	s_cbranch_execz .LBB1355_541
.LBB1355_605:                           ;   in Loop: Header=BB1355_398 Depth=2
	v_lshlrev_b32_e32 v3, 2, v135
	v_add_nc_u32_e32 v37, v66, v41
	ds_read_b32 v3, v3
	ds_read_b64 v[37:38], v37 offset:25088
	s_waitcnt lgkmcnt(1)
	v_add_nc_u32_e32 v3, v3, v55
	v_lshlrev_b64 v[39:40], 3, v[3:4]
	v_add_co_u32 v39, vcc_lo, s50, v39
	v_add_co_ci_u32_e64 v40, null, s51, v40, vcc_lo
	s_waitcnt lgkmcnt(0)
	global_store_dwordx2 v[39:40], v[37:38], off
	s_or_b32 exec_lo, exec_lo, s23
	s_and_saveexec_b32 s23, s36
	s_cbranch_execz .LBB1355_542
.LBB1355_606:                           ;   in Loop: Header=BB1355_398 Depth=2
	v_lshlrev_b32_e32 v3, 2, v134
	v_add_nc_u32_e32 v37, v66, v41
	ds_read_b32 v3, v3
	ds_read_b64 v[37:38], v37 offset:27136
	s_waitcnt lgkmcnt(1)
	v_add_nc_u32_e32 v3, v3, v56
	v_lshlrev_b64 v[39:40], 3, v[3:4]
	v_add_co_u32 v39, vcc_lo, s50, v39
	v_add_co_ci_u32_e64 v40, null, s51, v40, vcc_lo
	s_waitcnt lgkmcnt(0)
	global_store_dwordx2 v[39:40], v[37:38], off
	s_or_b32 exec_lo, exec_lo, s23
	s_and_saveexec_b32 s23, s37
	s_cbranch_execz .LBB1355_543
.LBB1355_607:                           ;   in Loop: Header=BB1355_398 Depth=2
	v_lshlrev_b32_e32 v3, 2, v133
	v_add_nc_u32_e32 v37, v66, v41
	ds_read_b32 v3, v3
	ds_read_b64 v[37:38], v37 offset:29184
	s_waitcnt lgkmcnt(1)
	v_add_nc_u32_e32 v3, v3, v57
	v_lshlrev_b64 v[39:40], 3, v[3:4]
	v_add_co_u32 v39, vcc_lo, s50, v39
	v_add_co_ci_u32_e64 v40, null, s51, v40, vcc_lo
	s_waitcnt lgkmcnt(0)
	global_store_dwordx2 v[39:40], v[37:38], off
	s_or_b32 exec_lo, exec_lo, s23
	s_and_saveexec_b32 s23, s38
	s_cbranch_execnz .LBB1355_544
	s_branch .LBB1355_545
.LBB1355_608:                           ;   in Loop: Header=BB1355_20 Depth=1
	s_waitcnt lgkmcnt(0)
	s_barrier
.LBB1355_609:                           ;   in Loop: Header=BB1355_20 Depth=1
	s_mov_b32 s5, 0
.LBB1355_610:                           ;   in Loop: Header=BB1355_20 Depth=1
	s_andn2_b32 vcc_lo, exec_lo, s5
	s_cbranch_vccnz .LBB1355_19
; %bb.611:                              ;   in Loop: Header=BB1355_20 Depth=1
	s_and_b32 vcc_lo, exec_lo, s55
	s_mov_b32 s5, -1
	s_cbranch_vccz .LBB1355_905
; %bb.612:                              ;   in Loop: Header=BB1355_20 Depth=1
	s_mov_b32 s5, s60
	s_mov_b32 s46, s58
	s_barrier
	buffer_gl0_inv
                                        ; implicit-def: $vgpr3
                                        ; implicit-def: $vgpr5
                                        ; implicit-def: $vgpr6
                                        ; implicit-def: $vgpr7
                                        ; implicit-def: $vgpr8
                                        ; implicit-def: $vgpr9
                                        ; implicit-def: $vgpr10
                                        ; implicit-def: $vgpr11
                                        ; implicit-def: $vgpr12
                                        ; implicit-def: $vgpr13
                                        ; implicit-def: $vgpr14
                                        ; implicit-def: $vgpr15
                                        ; implicit-def: $vgpr16
                                        ; implicit-def: $vgpr17
                                        ; implicit-def: $vgpr18
                                        ; implicit-def: $vgpr19
	s_branch .LBB1355_614
.LBB1355_613:                           ;   in Loop: Header=BB1355_614 Depth=2
	s_or_b32 exec_lo, exec_lo, s16
	s_addk_i32 s5, 0xf000
	s_cmp_ge_u32 s18, s59
	s_mov_b32 s46, s18
	s_cbranch_scc1 .LBB1355_682
.LBB1355_614:                           ;   Parent Loop BB1355_20 Depth=1
                                        ; =>  This Inner Loop Header: Depth=2
	s_add_i32 s18, s46, 0x1000
	s_mov_b32 s16, -1
	s_cmp_gt_u32 s18, s59
                                        ; implicit-def: $vgpr20
                                        ; implicit-def: $vgpr21
                                        ; implicit-def: $vgpr24
                                        ; implicit-def: $vgpr22
                                        ; implicit-def: $vgpr26
                                        ; implicit-def: $vgpr23
                                        ; implicit-def: $vgpr28
                                        ; implicit-def: $vgpr25
                                        ; implicit-def: $vgpr30
                                        ; implicit-def: $vgpr27
                                        ; implicit-def: $vgpr31
                                        ; implicit-def: $vgpr29
                                        ; implicit-def: $vgpr33
                                        ; implicit-def: $vgpr32
                                        ; implicit-def: $vgpr34
                                        ; implicit-def: $vgpr35
	s_cbranch_scc1 .LBB1355_616
; %bb.615:                              ;   in Loop: Header=BB1355_614 Depth=2
	s_lshl_b64 s[16:17], s[46:47], 2
	v_add_co_u32 v30, vcc_lo, v75, s16
	v_add_co_ci_u32_e64 v31, null, s17, v76, vcc_lo
	s_mov_b32 s16, 0
	v_add_co_u32 v22, vcc_lo, 0x800, v30
	v_add_co_ci_u32_e64 v23, null, 0, v31, vcc_lo
	v_add_co_u32 v33, vcc_lo, v30, 0x1000
	v_add_co_ci_u32_e64 v34, null, 0, v31, vcc_lo
	;; [unrolled: 2-line block ×9, first 2 shown]
	s_clause 0x7
	global_load_dword v20, v[30:31], off
	global_load_dword v21, v[30:31], off offset:1024
	global_load_dword v22, v[22:23], off offset:1024
	;; [unrolled: 1-line block ×7, first 2 shown]
	v_add_co_u32 v37, vcc_lo, 0x3800, v30
	v_add_co_ci_u32_e64 v38, null, 0, v31, vcc_lo
	s_clause 0x7
	global_load_dword v24, v[33:34], off offset:-2048
	global_load_dword v26, v[33:34], off
	global_load_dword v28, v[35:36], off offset:-2048
	global_load_dword v30, v[35:36], off
	;; [unrolled: 2-line block ×3, first 2 shown]
	global_load_dword v34, v[37:38], off
	global_load_dword v35, v[37:38], off offset:1024
.LBB1355_616:                           ;   in Loop: Header=BB1355_614 Depth=2
	s_andn2_b32 vcc_lo, exec_lo, s16
	s_movk_i32 s16, 0x1000
	s_cbranch_vccnz .LBB1355_635
; %bb.617:                              ;   in Loop: Header=BB1355_614 Depth=2
	s_lshl_b64 s[16:17], s[46:47], 2
	s_mov_b32 s19, exec_lo
	s_add_u32 s16, s40, s16
	s_addc_u32 s17, s41, s17
	v_cmpx_gt_u32_e64 s5, v0
	s_cbranch_execnz .LBB1355_667
; %bb.618:                              ;   in Loop: Header=BB1355_614 Depth=2
	s_or_b32 exec_lo, exec_lo, s19
	s_mov_b32 s19, exec_lo
	v_cmpx_gt_u32_e64 s5, v42
	s_cbranch_execnz .LBB1355_668
.LBB1355_619:                           ;   in Loop: Header=BB1355_614 Depth=2
	s_or_b32 exec_lo, exec_lo, s19
	s_mov_b32 s19, exec_lo
	v_cmpx_gt_u32_e64 s5, v45
	s_cbranch_execnz .LBB1355_669
.LBB1355_620:                           ;   in Loop: Header=BB1355_614 Depth=2
	s_or_b32 exec_lo, exec_lo, s19
	s_mov_b32 s19, exec_lo
	v_cmpx_gt_u32_e64 s5, v46
	s_cbranch_execnz .LBB1355_670
.LBB1355_621:                           ;   in Loop: Header=BB1355_614 Depth=2
	s_or_b32 exec_lo, exec_lo, s19
	s_mov_b32 s19, exec_lo
	v_cmpx_gt_u32_e64 s5, v47
	s_cbranch_execnz .LBB1355_671
.LBB1355_622:                           ;   in Loop: Header=BB1355_614 Depth=2
	s_or_b32 exec_lo, exec_lo, s19
	s_mov_b32 s19, exec_lo
	v_cmpx_gt_u32_e64 s5, v48
	s_cbranch_execnz .LBB1355_672
.LBB1355_623:                           ;   in Loop: Header=BB1355_614 Depth=2
	s_or_b32 exec_lo, exec_lo, s19
	s_mov_b32 s19, exec_lo
	v_cmpx_gt_u32_e64 s5, v49
	s_cbranch_execnz .LBB1355_673
.LBB1355_624:                           ;   in Loop: Header=BB1355_614 Depth=2
	s_or_b32 exec_lo, exec_lo, s19
	s_mov_b32 s19, exec_lo
	v_cmpx_gt_u32_e64 s5, v50
	s_cbranch_execnz .LBB1355_674
.LBB1355_625:                           ;   in Loop: Header=BB1355_614 Depth=2
	s_or_b32 exec_lo, exec_lo, s19
	s_mov_b32 s19, exec_lo
	v_cmpx_gt_u32_e64 s5, v51
	s_cbranch_execnz .LBB1355_675
.LBB1355_626:                           ;   in Loop: Header=BB1355_614 Depth=2
	s_or_b32 exec_lo, exec_lo, s19
	s_mov_b32 s19, exec_lo
	v_cmpx_gt_u32_e64 s5, v52
	s_cbranch_execnz .LBB1355_676
.LBB1355_627:                           ;   in Loop: Header=BB1355_614 Depth=2
	s_or_b32 exec_lo, exec_lo, s19
	s_mov_b32 s19, exec_lo
	v_cmpx_gt_u32_e64 s5, v53
	s_cbranch_execnz .LBB1355_677
.LBB1355_628:                           ;   in Loop: Header=BB1355_614 Depth=2
	s_or_b32 exec_lo, exec_lo, s19
	s_mov_b32 s19, exec_lo
	v_cmpx_gt_u32_e64 s5, v54
	s_cbranch_execnz .LBB1355_678
.LBB1355_629:                           ;   in Loop: Header=BB1355_614 Depth=2
	s_or_b32 exec_lo, exec_lo, s19
	s_mov_b32 s19, exec_lo
	v_cmpx_gt_u32_e64 s5, v55
	s_cbranch_execnz .LBB1355_679
.LBB1355_630:                           ;   in Loop: Header=BB1355_614 Depth=2
	s_or_b32 exec_lo, exec_lo, s19
	s_mov_b32 s19, exec_lo
	v_cmpx_gt_u32_e64 s5, v56
	s_cbranch_execnz .LBB1355_680
.LBB1355_631:                           ;   in Loop: Header=BB1355_614 Depth=2
	s_or_b32 exec_lo, exec_lo, s19
	s_mov_b32 s19, exec_lo
	v_cmpx_gt_u32_e64 s5, v57
	s_cbranch_execnz .LBB1355_681
.LBB1355_632:                           ;   in Loop: Header=BB1355_614 Depth=2
	s_or_b32 exec_lo, exec_lo, s19
	s_mov_b32 s19, exec_lo
	v_cmpx_gt_u32_e64 s5, v58
	s_cbranch_execz .LBB1355_634
.LBB1355_633:                           ;   in Loop: Header=BB1355_614 Depth=2
	global_load_dword v3, v100, s[16:17]
.LBB1355_634:                           ;   in Loop: Header=BB1355_614 Depth=2
	s_or_b32 exec_lo, exec_lo, s19
	s_waitcnt vmcnt(0)
	v_mov_b32_e32 v20, v19
	v_mov_b32_e32 v21, v18
	;; [unrolled: 1-line block ×16, first 2 shown]
	s_mov_b32 s16, s5
.LBB1355_635:                           ;   in Loop: Header=BB1355_614 Depth=2
	s_waitcnt vmcnt(0)
	v_mov_b32_e32 v3, v35
	v_mov_b32_e32 v5, v34
	;; [unrolled: 1-line block ×16, first 2 shown]
	s_mov_b32 s17, exec_lo
	v_cmpx_gt_u32_e64 s16, v0
	s_cbranch_execnz .LBB1355_651
; %bb.636:                              ;   in Loop: Header=BB1355_614 Depth=2
	s_or_b32 exec_lo, exec_lo, s17
	s_mov_b32 s17, exec_lo
	v_cmpx_gt_u32_e64 s16, v42
	s_cbranch_execnz .LBB1355_652
.LBB1355_637:                           ;   in Loop: Header=BB1355_614 Depth=2
	s_or_b32 exec_lo, exec_lo, s17
	s_mov_b32 s17, exec_lo
	v_cmpx_gt_u32_e64 s16, v45
	s_cbranch_execnz .LBB1355_653
.LBB1355_638:                           ;   in Loop: Header=BB1355_614 Depth=2
	s_or_b32 exec_lo, exec_lo, s17
	s_mov_b32 s17, exec_lo
	v_cmpx_gt_u32_e64 s16, v46
	s_cbranch_execnz .LBB1355_654
.LBB1355_639:                           ;   in Loop: Header=BB1355_614 Depth=2
	s_or_b32 exec_lo, exec_lo, s17
	s_mov_b32 s17, exec_lo
	v_cmpx_gt_u32_e64 s16, v47
	s_cbranch_execnz .LBB1355_655
.LBB1355_640:                           ;   in Loop: Header=BB1355_614 Depth=2
	s_or_b32 exec_lo, exec_lo, s17
	s_mov_b32 s17, exec_lo
	v_cmpx_gt_u32_e64 s16, v48
	s_cbranch_execnz .LBB1355_656
.LBB1355_641:                           ;   in Loop: Header=BB1355_614 Depth=2
	s_or_b32 exec_lo, exec_lo, s17
	s_mov_b32 s17, exec_lo
	v_cmpx_gt_u32_e64 s16, v49
	s_cbranch_execnz .LBB1355_657
.LBB1355_642:                           ;   in Loop: Header=BB1355_614 Depth=2
	s_or_b32 exec_lo, exec_lo, s17
	s_mov_b32 s17, exec_lo
	v_cmpx_gt_u32_e64 s16, v50
	s_cbranch_execnz .LBB1355_658
.LBB1355_643:                           ;   in Loop: Header=BB1355_614 Depth=2
	s_or_b32 exec_lo, exec_lo, s17
	s_mov_b32 s17, exec_lo
	v_cmpx_gt_u32_e64 s16, v51
	s_cbranch_execnz .LBB1355_659
.LBB1355_644:                           ;   in Loop: Header=BB1355_614 Depth=2
	s_or_b32 exec_lo, exec_lo, s17
	s_mov_b32 s17, exec_lo
	v_cmpx_gt_u32_e64 s16, v52
	s_cbranch_execnz .LBB1355_660
.LBB1355_645:                           ;   in Loop: Header=BB1355_614 Depth=2
	s_or_b32 exec_lo, exec_lo, s17
	s_mov_b32 s17, exec_lo
	v_cmpx_gt_u32_e64 s16, v53
	s_cbranch_execnz .LBB1355_661
.LBB1355_646:                           ;   in Loop: Header=BB1355_614 Depth=2
	s_or_b32 exec_lo, exec_lo, s17
	s_mov_b32 s17, exec_lo
	v_cmpx_gt_u32_e64 s16, v54
	s_cbranch_execnz .LBB1355_662
.LBB1355_647:                           ;   in Loop: Header=BB1355_614 Depth=2
	s_or_b32 exec_lo, exec_lo, s17
	s_mov_b32 s17, exec_lo
	v_cmpx_gt_u32_e64 s16, v55
	s_cbranch_execnz .LBB1355_663
.LBB1355_648:                           ;   in Loop: Header=BB1355_614 Depth=2
	s_or_b32 exec_lo, exec_lo, s17
	s_mov_b32 s17, exec_lo
	v_cmpx_gt_u32_e64 s16, v56
	s_cbranch_execnz .LBB1355_664
.LBB1355_649:                           ;   in Loop: Header=BB1355_614 Depth=2
	s_or_b32 exec_lo, exec_lo, s17
	s_mov_b32 s17, exec_lo
	v_cmpx_gt_u32_e64 s16, v57
	s_cbranch_execnz .LBB1355_665
.LBB1355_650:                           ;   in Loop: Header=BB1355_614 Depth=2
	s_or_b32 exec_lo, exec_lo, s17
	v_cmp_gt_u32_e32 vcc_lo, s16, v58
	s_and_saveexec_b32 s16, vcc_lo
	s_cbranch_execz .LBB1355_613
	s_branch .LBB1355_666
.LBB1355_651:                           ;   in Loop: Header=BB1355_614 Depth=2
	v_cmp_gt_i32_e32 vcc_lo, 0, v19
	v_cndmask_b32_e64 v20, 0x7fffffff, 0, vcc_lo
	v_xor_b32_e32 v20, v20, v19
	v_cmp_ne_u32_e32 vcc_lo, 0x80000000, v20
	v_cndmask_b32_e32 v20, 0x7fffffff, v20, vcc_lo
	v_lshrrev_b32_e32 v20, s53, v20
	v_and_b32_e32 v20, s61, v20
	v_lshl_or_b32 v20, v20, 4, v59
	ds_add_u32 v20, v82
	s_or_b32 exec_lo, exec_lo, s17
	s_mov_b32 s17, exec_lo
	v_cmpx_gt_u32_e64 s16, v42
	s_cbranch_execz .LBB1355_637
.LBB1355_652:                           ;   in Loop: Header=BB1355_614 Depth=2
	v_cmp_gt_i32_e32 vcc_lo, 0, v18
	v_cndmask_b32_e64 v20, 0x7fffffff, 0, vcc_lo
	v_xor_b32_e32 v20, v20, v18
	v_cmp_ne_u32_e32 vcc_lo, 0x80000000, v20
	v_cndmask_b32_e32 v20, 0x7fffffff, v20, vcc_lo
	v_lshrrev_b32_e32 v20, s53, v20
	v_and_b32_e32 v20, s61, v20
	v_lshl_or_b32 v20, v20, 4, v59
	ds_add_u32 v20, v82
	s_or_b32 exec_lo, exec_lo, s17
	s_mov_b32 s17, exec_lo
	v_cmpx_gt_u32_e64 s16, v45
	s_cbranch_execz .LBB1355_638
.LBB1355_653:                           ;   in Loop: Header=BB1355_614 Depth=2
	v_cmp_gt_i32_e32 vcc_lo, 0, v17
	v_cndmask_b32_e64 v20, 0x7fffffff, 0, vcc_lo
	v_xor_b32_e32 v20, v20, v17
	v_cmp_ne_u32_e32 vcc_lo, 0x80000000, v20
	v_cndmask_b32_e32 v20, 0x7fffffff, v20, vcc_lo
	v_lshrrev_b32_e32 v20, s53, v20
	v_and_b32_e32 v20, s61, v20
	v_lshl_or_b32 v20, v20, 4, v59
	ds_add_u32 v20, v82
	s_or_b32 exec_lo, exec_lo, s17
	s_mov_b32 s17, exec_lo
	v_cmpx_gt_u32_e64 s16, v46
	s_cbranch_execz .LBB1355_639
.LBB1355_654:                           ;   in Loop: Header=BB1355_614 Depth=2
	v_cmp_gt_i32_e32 vcc_lo, 0, v16
	v_cndmask_b32_e64 v20, 0x7fffffff, 0, vcc_lo
	v_xor_b32_e32 v20, v20, v16
	v_cmp_ne_u32_e32 vcc_lo, 0x80000000, v20
	v_cndmask_b32_e32 v20, 0x7fffffff, v20, vcc_lo
	v_lshrrev_b32_e32 v20, s53, v20
	v_and_b32_e32 v20, s61, v20
	v_lshl_or_b32 v20, v20, 4, v59
	ds_add_u32 v20, v82
	s_or_b32 exec_lo, exec_lo, s17
	s_mov_b32 s17, exec_lo
	v_cmpx_gt_u32_e64 s16, v47
	s_cbranch_execz .LBB1355_640
.LBB1355_655:                           ;   in Loop: Header=BB1355_614 Depth=2
	v_cmp_gt_i32_e32 vcc_lo, 0, v15
	v_cndmask_b32_e64 v20, 0x7fffffff, 0, vcc_lo
	v_xor_b32_e32 v20, v20, v15
	v_cmp_ne_u32_e32 vcc_lo, 0x80000000, v20
	v_cndmask_b32_e32 v20, 0x7fffffff, v20, vcc_lo
	v_lshrrev_b32_e32 v20, s53, v20
	v_and_b32_e32 v20, s61, v20
	v_lshl_or_b32 v20, v20, 4, v59
	ds_add_u32 v20, v82
	s_or_b32 exec_lo, exec_lo, s17
	s_mov_b32 s17, exec_lo
	v_cmpx_gt_u32_e64 s16, v48
	s_cbranch_execz .LBB1355_641
.LBB1355_656:                           ;   in Loop: Header=BB1355_614 Depth=2
	v_cmp_gt_i32_e32 vcc_lo, 0, v14
	v_cndmask_b32_e64 v20, 0x7fffffff, 0, vcc_lo
	v_xor_b32_e32 v20, v20, v14
	v_cmp_ne_u32_e32 vcc_lo, 0x80000000, v20
	v_cndmask_b32_e32 v20, 0x7fffffff, v20, vcc_lo
	v_lshrrev_b32_e32 v20, s53, v20
	v_and_b32_e32 v20, s61, v20
	v_lshl_or_b32 v20, v20, 4, v59
	ds_add_u32 v20, v82
	s_or_b32 exec_lo, exec_lo, s17
	s_mov_b32 s17, exec_lo
	v_cmpx_gt_u32_e64 s16, v49
	s_cbranch_execz .LBB1355_642
.LBB1355_657:                           ;   in Loop: Header=BB1355_614 Depth=2
	v_cmp_gt_i32_e32 vcc_lo, 0, v13
	v_cndmask_b32_e64 v20, 0x7fffffff, 0, vcc_lo
	v_xor_b32_e32 v20, v20, v13
	v_cmp_ne_u32_e32 vcc_lo, 0x80000000, v20
	v_cndmask_b32_e32 v20, 0x7fffffff, v20, vcc_lo
	v_lshrrev_b32_e32 v20, s53, v20
	v_and_b32_e32 v20, s61, v20
	v_lshl_or_b32 v20, v20, 4, v59
	ds_add_u32 v20, v82
	s_or_b32 exec_lo, exec_lo, s17
	s_mov_b32 s17, exec_lo
	v_cmpx_gt_u32_e64 s16, v50
	s_cbranch_execz .LBB1355_643
.LBB1355_658:                           ;   in Loop: Header=BB1355_614 Depth=2
	v_cmp_gt_i32_e32 vcc_lo, 0, v12
	v_cndmask_b32_e64 v20, 0x7fffffff, 0, vcc_lo
	v_xor_b32_e32 v20, v20, v12
	v_cmp_ne_u32_e32 vcc_lo, 0x80000000, v20
	v_cndmask_b32_e32 v20, 0x7fffffff, v20, vcc_lo
	v_lshrrev_b32_e32 v20, s53, v20
	v_and_b32_e32 v20, s61, v20
	v_lshl_or_b32 v20, v20, 4, v59
	ds_add_u32 v20, v82
	s_or_b32 exec_lo, exec_lo, s17
	s_mov_b32 s17, exec_lo
	v_cmpx_gt_u32_e64 s16, v51
	s_cbranch_execz .LBB1355_644
.LBB1355_659:                           ;   in Loop: Header=BB1355_614 Depth=2
	v_cmp_gt_i32_e32 vcc_lo, 0, v11
	v_cndmask_b32_e64 v20, 0x7fffffff, 0, vcc_lo
	v_xor_b32_e32 v20, v20, v11
	v_cmp_ne_u32_e32 vcc_lo, 0x80000000, v20
	v_cndmask_b32_e32 v20, 0x7fffffff, v20, vcc_lo
	v_lshrrev_b32_e32 v20, s53, v20
	v_and_b32_e32 v20, s61, v20
	v_lshl_or_b32 v20, v20, 4, v59
	ds_add_u32 v20, v82
	s_or_b32 exec_lo, exec_lo, s17
	s_mov_b32 s17, exec_lo
	v_cmpx_gt_u32_e64 s16, v52
	s_cbranch_execz .LBB1355_645
.LBB1355_660:                           ;   in Loop: Header=BB1355_614 Depth=2
	v_cmp_gt_i32_e32 vcc_lo, 0, v10
	v_cndmask_b32_e64 v20, 0x7fffffff, 0, vcc_lo
	v_xor_b32_e32 v20, v20, v10
	v_cmp_ne_u32_e32 vcc_lo, 0x80000000, v20
	v_cndmask_b32_e32 v20, 0x7fffffff, v20, vcc_lo
	v_lshrrev_b32_e32 v20, s53, v20
	v_and_b32_e32 v20, s61, v20
	v_lshl_or_b32 v20, v20, 4, v59
	ds_add_u32 v20, v82
	s_or_b32 exec_lo, exec_lo, s17
	s_mov_b32 s17, exec_lo
	v_cmpx_gt_u32_e64 s16, v53
	s_cbranch_execz .LBB1355_646
.LBB1355_661:                           ;   in Loop: Header=BB1355_614 Depth=2
	v_cmp_gt_i32_e32 vcc_lo, 0, v9
	v_cndmask_b32_e64 v20, 0x7fffffff, 0, vcc_lo
	v_xor_b32_e32 v20, v20, v9
	v_cmp_ne_u32_e32 vcc_lo, 0x80000000, v20
	v_cndmask_b32_e32 v20, 0x7fffffff, v20, vcc_lo
	v_lshrrev_b32_e32 v20, s53, v20
	v_and_b32_e32 v20, s61, v20
	v_lshl_or_b32 v20, v20, 4, v59
	ds_add_u32 v20, v82
	s_or_b32 exec_lo, exec_lo, s17
	s_mov_b32 s17, exec_lo
	v_cmpx_gt_u32_e64 s16, v54
	s_cbranch_execz .LBB1355_647
.LBB1355_662:                           ;   in Loop: Header=BB1355_614 Depth=2
	v_cmp_gt_i32_e32 vcc_lo, 0, v8
	v_cndmask_b32_e64 v20, 0x7fffffff, 0, vcc_lo
	v_xor_b32_e32 v20, v20, v8
	v_cmp_ne_u32_e32 vcc_lo, 0x80000000, v20
	v_cndmask_b32_e32 v20, 0x7fffffff, v20, vcc_lo
	v_lshrrev_b32_e32 v20, s53, v20
	v_and_b32_e32 v20, s61, v20
	v_lshl_or_b32 v20, v20, 4, v59
	ds_add_u32 v20, v82
	s_or_b32 exec_lo, exec_lo, s17
	s_mov_b32 s17, exec_lo
	v_cmpx_gt_u32_e64 s16, v55
	s_cbranch_execz .LBB1355_648
.LBB1355_663:                           ;   in Loop: Header=BB1355_614 Depth=2
	v_cmp_gt_i32_e32 vcc_lo, 0, v7
	v_cndmask_b32_e64 v20, 0x7fffffff, 0, vcc_lo
	v_xor_b32_e32 v20, v20, v7
	v_cmp_ne_u32_e32 vcc_lo, 0x80000000, v20
	v_cndmask_b32_e32 v20, 0x7fffffff, v20, vcc_lo
	v_lshrrev_b32_e32 v20, s53, v20
	v_and_b32_e32 v20, s61, v20
	v_lshl_or_b32 v20, v20, 4, v59
	ds_add_u32 v20, v82
	s_or_b32 exec_lo, exec_lo, s17
	s_mov_b32 s17, exec_lo
	v_cmpx_gt_u32_e64 s16, v56
	s_cbranch_execz .LBB1355_649
.LBB1355_664:                           ;   in Loop: Header=BB1355_614 Depth=2
	v_cmp_gt_i32_e32 vcc_lo, 0, v6
	v_cndmask_b32_e64 v20, 0x7fffffff, 0, vcc_lo
	v_xor_b32_e32 v20, v20, v6
	v_cmp_ne_u32_e32 vcc_lo, 0x80000000, v20
	v_cndmask_b32_e32 v20, 0x7fffffff, v20, vcc_lo
	v_lshrrev_b32_e32 v20, s53, v20
	v_and_b32_e32 v20, s61, v20
	v_lshl_or_b32 v20, v20, 4, v59
	ds_add_u32 v20, v82
	s_or_b32 exec_lo, exec_lo, s17
	s_mov_b32 s17, exec_lo
	v_cmpx_gt_u32_e64 s16, v57
	s_cbranch_execz .LBB1355_650
.LBB1355_665:                           ;   in Loop: Header=BB1355_614 Depth=2
	v_cmp_gt_i32_e32 vcc_lo, 0, v5
	v_cndmask_b32_e64 v20, 0x7fffffff, 0, vcc_lo
	v_xor_b32_e32 v20, v20, v5
	v_cmp_ne_u32_e32 vcc_lo, 0x80000000, v20
	v_cndmask_b32_e32 v20, 0x7fffffff, v20, vcc_lo
	v_lshrrev_b32_e32 v20, s53, v20
	v_and_b32_e32 v20, s61, v20
	v_lshl_or_b32 v20, v20, 4, v59
	ds_add_u32 v20, v82
	s_or_b32 exec_lo, exec_lo, s17
	v_cmp_gt_u32_e32 vcc_lo, s16, v58
	s_and_saveexec_b32 s16, vcc_lo
	s_cbranch_execz .LBB1355_613
.LBB1355_666:                           ;   in Loop: Header=BB1355_614 Depth=2
	v_cmp_gt_i32_e32 vcc_lo, 0, v3
	v_cndmask_b32_e64 v20, 0x7fffffff, 0, vcc_lo
	v_xor_b32_e32 v20, v20, v3
	v_cmp_ne_u32_e32 vcc_lo, 0x80000000, v20
	v_cndmask_b32_e32 v20, 0x7fffffff, v20, vcc_lo
	v_lshrrev_b32_e32 v20, s53, v20
	v_and_b32_e32 v20, s61, v20
	v_lshl_or_b32 v20, v20, 4, v59
	ds_add_u32 v20, v82
	s_branch .LBB1355_613
.LBB1355_667:                           ;   in Loop: Header=BB1355_614 Depth=2
	global_load_dword v19, v86, s[16:17]
	s_or_b32 exec_lo, exec_lo, s19
	s_mov_b32 s19, exec_lo
	v_cmpx_gt_u32_e64 s5, v42
	s_cbranch_execz .LBB1355_619
.LBB1355_668:                           ;   in Loop: Header=BB1355_614 Depth=2
	global_load_dword v18, v86, s[16:17] offset:1024
	s_or_b32 exec_lo, exec_lo, s19
	s_mov_b32 s19, exec_lo
	v_cmpx_gt_u32_e64 s5, v45
	s_cbranch_execz .LBB1355_620
.LBB1355_669:                           ;   in Loop: Header=BB1355_614 Depth=2
	global_load_dword v17, v87, s[16:17]
	s_or_b32 exec_lo, exec_lo, s19
	s_mov_b32 s19, exec_lo
	v_cmpx_gt_u32_e64 s5, v46
	s_cbranch_execz .LBB1355_621
.LBB1355_670:                           ;   in Loop: Header=BB1355_614 Depth=2
	global_load_dword v16, v88, s[16:17]
	s_or_b32 exec_lo, exec_lo, s19
	s_mov_b32 s19, exec_lo
	v_cmpx_gt_u32_e64 s5, v47
	s_cbranch_execz .LBB1355_622
.LBB1355_671:                           ;   in Loop: Header=BB1355_614 Depth=2
	global_load_dword v15, v89, s[16:17]
	s_or_b32 exec_lo, exec_lo, s19
	s_mov_b32 s19, exec_lo
	v_cmpx_gt_u32_e64 s5, v48
	s_cbranch_execz .LBB1355_623
.LBB1355_672:                           ;   in Loop: Header=BB1355_614 Depth=2
	global_load_dword v14, v90, s[16:17]
	s_or_b32 exec_lo, exec_lo, s19
	s_mov_b32 s19, exec_lo
	v_cmpx_gt_u32_e64 s5, v49
	s_cbranch_execz .LBB1355_624
.LBB1355_673:                           ;   in Loop: Header=BB1355_614 Depth=2
	global_load_dword v13, v91, s[16:17]
	s_or_b32 exec_lo, exec_lo, s19
	s_mov_b32 s19, exec_lo
	v_cmpx_gt_u32_e64 s5, v50
	s_cbranch_execz .LBB1355_625
.LBB1355_674:                           ;   in Loop: Header=BB1355_614 Depth=2
	global_load_dword v12, v92, s[16:17]
	s_or_b32 exec_lo, exec_lo, s19
	s_mov_b32 s19, exec_lo
	v_cmpx_gt_u32_e64 s5, v51
	s_cbranch_execz .LBB1355_626
.LBB1355_675:                           ;   in Loop: Header=BB1355_614 Depth=2
	global_load_dword v11, v93, s[16:17]
	s_or_b32 exec_lo, exec_lo, s19
	s_mov_b32 s19, exec_lo
	v_cmpx_gt_u32_e64 s5, v52
	s_cbranch_execz .LBB1355_627
.LBB1355_676:                           ;   in Loop: Header=BB1355_614 Depth=2
	global_load_dword v10, v94, s[16:17]
	s_or_b32 exec_lo, exec_lo, s19
	s_mov_b32 s19, exec_lo
	v_cmpx_gt_u32_e64 s5, v53
	s_cbranch_execz .LBB1355_628
.LBB1355_677:                           ;   in Loop: Header=BB1355_614 Depth=2
	global_load_dword v9, v95, s[16:17]
	s_or_b32 exec_lo, exec_lo, s19
	s_mov_b32 s19, exec_lo
	v_cmpx_gt_u32_e64 s5, v54
	s_cbranch_execz .LBB1355_629
.LBB1355_678:                           ;   in Loop: Header=BB1355_614 Depth=2
	global_load_dword v8, v96, s[16:17]
	s_or_b32 exec_lo, exec_lo, s19
	s_mov_b32 s19, exec_lo
	v_cmpx_gt_u32_e64 s5, v55
	s_cbranch_execz .LBB1355_630
.LBB1355_679:                           ;   in Loop: Header=BB1355_614 Depth=2
	global_load_dword v7, v97, s[16:17]
	s_or_b32 exec_lo, exec_lo, s19
	s_mov_b32 s19, exec_lo
	v_cmpx_gt_u32_e64 s5, v56
	s_cbranch_execz .LBB1355_631
.LBB1355_680:                           ;   in Loop: Header=BB1355_614 Depth=2
	global_load_dword v6, v98, s[16:17]
	s_or_b32 exec_lo, exec_lo, s19
	s_mov_b32 s19, exec_lo
	v_cmpx_gt_u32_e64 s5, v57
	s_cbranch_execz .LBB1355_632
.LBB1355_681:                           ;   in Loop: Header=BB1355_614 Depth=2
	global_load_dword v5, v99, s[16:17]
	s_or_b32 exec_lo, exec_lo, s19
	s_mov_b32 s19, exec_lo
	v_cmpx_gt_u32_e64 s5, v58
	s_cbranch_execnz .LBB1355_633
	s_branch .LBB1355_634
.LBB1355_682:                           ;   in Loop: Header=BB1355_20 Depth=1
	v_mov_b32_e32 v3, 0
	s_waitcnt lgkmcnt(0)
	s_barrier
	buffer_gl0_inv
	s_and_saveexec_b32 s5, s8
	s_cbranch_execz .LBB1355_684
; %bb.683:                              ;   in Loop: Header=BB1355_20 Depth=1
	ds_read2_b64 v[5:8], v61 offset1:1
	s_waitcnt lgkmcnt(0)
	v_add_nc_u32_e32 v3, v6, v5
	v_add3_u32 v3, v3, v7, v8
.LBB1355_684:                           ;   in Loop: Header=BB1355_20 Depth=1
	s_or_b32 exec_lo, exec_lo, s5
	v_mov_b32_dpp v5, v3 row_shr:1 row_mask:0xf bank_mask:0xf
	v_cmp_eq_u32_e64 s5, 0, v83
	v_cmp_lt_u32_e64 s16, 1, v83
	v_cmp_lt_u32_e64 s17, 3, v83
	;; [unrolled: 1-line block ×3, first 2 shown]
	v_cmp_eq_u32_e64 s19, 0, v85
	v_cndmask_b32_e64 v5, v5, 0, s5
	v_add_nc_u32_e32 v3, v5, v3
	v_mov_b32_dpp v5, v3 row_shr:2 row_mask:0xf bank_mask:0xf
	v_cndmask_b32_e64 v5, 0, v5, s16
	v_add_nc_u32_e32 v3, v3, v5
	v_mov_b32_dpp v5, v3 row_shr:4 row_mask:0xf bank_mask:0xf
	;; [unrolled: 3-line block ×3, first 2 shown]
	v_cndmask_b32_e64 v5, 0, v5, s18
	v_add_nc_u32_e32 v3, v3, v5
	ds_swizzle_b32 v5, v3 offset:swizzle(BROADCAST,32,15)
	s_waitcnt lgkmcnt(0)
	v_and_b32_e32 v5, v84, v5
	v_add_nc_u32_e32 v3, v3, v5
	s_and_saveexec_b32 s20, s9
; %bb.685:                              ;   in Loop: Header=BB1355_20 Depth=1
	ds_write_b32 v62, v3
; %bb.686:                              ;   in Loop: Header=BB1355_20 Depth=1
	s_or_b32 exec_lo, exec_lo, s20
	s_waitcnt lgkmcnt(0)
	s_barrier
	buffer_gl0_inv
	s_and_saveexec_b32 s20, s10
	s_cbranch_execz .LBB1355_688
; %bb.687:                              ;   in Loop: Header=BB1355_20 Depth=1
	ds_read_b32 v5, v63
	v_cmp_ne_u32_e32 vcc_lo, 0, v101
	s_waitcnt lgkmcnt(0)
	v_mov_b32_dpp v6, v5 row_shr:1 row_mask:0xf bank_mask:0xf
	v_cndmask_b32_e32 v6, 0, v6, vcc_lo
	v_cmp_lt_u32_e32 vcc_lo, 1, v101
	v_add_nc_u32_e32 v5, v6, v5
	v_mov_b32_dpp v6, v5 row_shr:2 row_mask:0xf bank_mask:0xf
	v_cndmask_b32_e32 v6, 0, v6, vcc_lo
	v_add_nc_u32_e32 v5, v5, v6
	ds_write_b32 v63, v5
.LBB1355_688:                           ;   in Loop: Header=BB1355_20 Depth=1
	s_or_b32 exec_lo, exec_lo, s20
	v_mov_b32_e32 v5, 0
	s_waitcnt lgkmcnt(0)
	s_barrier
	buffer_gl0_inv
	s_and_saveexec_b32 s20, s11
; %bb.689:                              ;   in Loop: Header=BB1355_20 Depth=1
	ds_read_b32 v5, v64
; %bb.690:                              ;   in Loop: Header=BB1355_20 Depth=1
	s_or_b32 exec_lo, exec_lo, s20
	v_cmp_gt_i32_e32 vcc_lo, 0, v103
	s_waitcnt lgkmcnt(0)
	v_add_nc_u32_e32 v3, v5, v3
	s_barrier
	buffer_gl0_inv
	v_cndmask_b32_e32 v6, v103, v79, vcc_lo
	v_lshlrev_b32_e32 v126, 2, v6
	ds_bpermute_b32 v3, v126, v3
	s_and_saveexec_b32 s20, s8
	s_cbranch_execz .LBB1355_692
; %bb.691:                              ;   in Loop: Header=BB1355_20 Depth=1
	s_waitcnt lgkmcnt(0)
	v_cndmask_b32_e64 v3, v3, v5, s15
	v_add_nc_u32_e32 v3, s58, v3
	ds_write_b32 v41, v3
.LBB1355_692:                           ;   in Loop: Header=BB1355_20 Depth=1
	s_or_b32 exec_lo, exec_lo, s20
	s_load_dwordx2 s[20:21], s[56:57], 0x0
	v_add_co_u32 v127, vcc_lo, v77, v102
	v_add_co_ci_u32_e64 v128, null, 0, v78, vcc_lo
	v_add_co_u32 v129, vcc_lo, v80, v120
	v_add_co_ci_u32_e64 v130, null, 0, v81, vcc_lo
	s_mov_b32 s62, s60
	s_mov_b32 s46, s58
                                        ; implicit-def: $vgpr7_vgpr8
                                        ; implicit-def: $vgpr9_vgpr10
                                        ; implicit-def: $vgpr11_vgpr12
                                        ; implicit-def: $vgpr13_vgpr14
                                        ; implicit-def: $vgpr17_vgpr18
                                        ; implicit-def: $vgpr21_vgpr22
                                        ; implicit-def: $vgpr25_vgpr26
                                        ; implicit-def: $vgpr15_vgpr16
                                        ; implicit-def: $vgpr19_vgpr20
                                        ; implicit-def: $vgpr23_vgpr24
                                        ; implicit-def: $vgpr27_vgpr28
                                        ; implicit-def: $vgpr29_vgpr30
                                        ; implicit-def: $vgpr31_vgpr32
                                        ; implicit-def: $vgpr33_vgpr34
                                        ; implicit-def: $vgpr35_vgpr36
                                        ; implicit-def: $vgpr132
                                        ; implicit-def: $vgpr133
                                        ; implicit-def: $vgpr134
                                        ; implicit-def: $vgpr135
                                        ; implicit-def: $vgpr136
                                        ; implicit-def: $vgpr137
                                        ; implicit-def: $vgpr138
                                        ; implicit-def: $vgpr139
                                        ; implicit-def: $vgpr140
                                        ; implicit-def: $vgpr141
                                        ; implicit-def: $vgpr142
                                        ; implicit-def: $vgpr143
                                        ; implicit-def: $vgpr145
                                        ; implicit-def: $vgpr146
                                        ; implicit-def: $vgpr147
                                        ; implicit-def: $vgpr148
                                        ; implicit-def: $vgpr144
                                        ; implicit-def: $vgpr149
	s_waitcnt lgkmcnt(0)
	s_cmp_lt_u32 s7, s21
	s_cselect_b32 s21, 14, 20
	s_add_u32 s22, s56, s21
	s_addc_u32 s23, s57, 0
	s_cmp_lt_u32 s6, s20
	global_load_ushort v3, v4, s[22:23]
	s_cselect_b32 s20, 12, 18
	s_add_u32 s20, s56, s20
	s_addc_u32 s21, s57, 0
	global_load_ushort v5, v4, s[20:21]
	v_cmp_eq_u32_e64 s20, 0, v104
	v_cmp_lt_u32_e64 s21, 1, v104
	v_cmp_lt_u32_e64 s22, 3, v104
	s_waitcnt vmcnt(1)
	v_mad_u32_u24 v3, v2, v3, v1
	s_waitcnt vmcnt(0)
	v_mad_u64_u32 v[5:6], null, v3, v5, v[0:1]
	v_lshrrev_b32_e32 v3, 3, v5
                                        ; implicit-def: $vgpr5_vgpr6
	v_and_b32_e32 v131, 0x1ffffffc, v3
	s_branch .LBB1355_694
.LBB1355_693:                           ;   in Loop: Header=BB1355_694 Depth=2
	s_or_b32 exec_lo, exec_lo, s23
	s_addk_i32 s62, 0xf000
	s_cmp_lt_u32 s63, s59
	s_mov_b32 s46, s63
	s_cbranch_scc0 .LBB1355_904
.LBB1355_694:                           ;   Parent Loop BB1355_20 Depth=1
                                        ; =>  This Inner Loop Header: Depth=2
	s_add_i32 s63, s46, 0x1000
	s_cmp_gt_u32 s63, s59
	s_cbranch_scc1 .LBB1355_696
; %bb.695:                              ;   in Loop: Header=BB1355_694 Depth=2
	s_lshl_b64 s[24:25], s[46:47], 2
	s_mov_b32 s23, -1
	v_add_co_u32 v37, vcc_lo, v129, s24
	v_add_co_ci_u32_e64 v38, null, s25, v130, vcc_lo
	s_clause 0xe
	global_load_dword v3, v[37:38], off
	global_load_dword v151, v[37:38], off offset:128
	global_load_dword v154, v[37:38], off offset:256
	;; [unrolled: 1-line block ×14, first 2 shown]
	s_movk_i32 s24, 0x1000
	s_cbranch_execz .LBB1355_697
	s_branch .LBB1355_728
.LBB1355_696:                           ;   in Loop: Header=BB1355_694 Depth=2
	s_mov_b32 s23, 0
                                        ; implicit-def: $vgpr3
                                        ; implicit-def: $vgpr151
                                        ; implicit-def: $vgpr154
                                        ; implicit-def: $vgpr158
                                        ; implicit-def: $vgpr162
                                        ; implicit-def: $vgpr168
                                        ; implicit-def: $vgpr173
                                        ; implicit-def: $vgpr178
                                        ; implicit-def: $vgpr181
                                        ; implicit-def: $vgpr176
                                        ; implicit-def: $vgpr172
                                        ; implicit-def: $vgpr167
                                        ; implicit-def: $vgpr164
                                        ; implicit-def: $vgpr40
                                        ; implicit-def: $vgpr39
	s_movk_i32 s24, 0x1000
.LBB1355_697:                           ;   in Loop: Header=BB1355_694 Depth=2
	s_lshl_b64 s[24:25], s[46:47], 2
	s_waitcnt vmcnt(13)
	v_mov_b32_e32 v151, -1
	v_add_co_u32 v37, vcc_lo, v129, s24
	v_add_co_ci_u32_e64 v38, null, s25, v130, vcc_lo
	v_mov_b32_e32 v3, -1
	s_mov_b32 s23, exec_lo
	v_cmpx_gt_u32_e64 s62, v105
	s_cbranch_execz .LBB1355_699
; %bb.698:                              ;   in Loop: Header=BB1355_694 Depth=2
	global_load_dword v3, v[37:38], off
.LBB1355_699:                           ;   in Loop: Header=BB1355_694 Depth=2
	s_or_b32 exec_lo, exec_lo, s23
	s_mov_b32 s23, exec_lo
	v_cmpx_gt_u32_e64 s62, v108
	s_cbranch_execz .LBB1355_701
; %bb.700:                              ;   in Loop: Header=BB1355_694 Depth=2
	global_load_dword v151, v[37:38], off offset:128
.LBB1355_701:                           ;   in Loop: Header=BB1355_694 Depth=2
	s_or_b32 exec_lo, exec_lo, s23
	s_waitcnt vmcnt(11)
	v_mov_b32_e32 v158, -1
	v_mov_b32_e32 v154, -1
	s_mov_b32 s23, exec_lo
	v_cmpx_gt_u32_e64 s62, v109
	s_cbranch_execz .LBB1355_703
; %bb.702:                              ;   in Loop: Header=BB1355_694 Depth=2
	global_load_dword v154, v[37:38], off offset:256
.LBB1355_703:                           ;   in Loop: Header=BB1355_694 Depth=2
	s_or_b32 exec_lo, exec_lo, s23
	s_mov_b32 s23, exec_lo
	v_cmpx_gt_u32_e64 s62, v110
	s_cbranch_execz .LBB1355_705
; %bb.704:                              ;   in Loop: Header=BB1355_694 Depth=2
	global_load_dword v158, v[37:38], off offset:384
.LBB1355_705:                           ;   in Loop: Header=BB1355_694 Depth=2
	s_or_b32 exec_lo, exec_lo, s23
	s_waitcnt vmcnt(9)
	v_mov_b32_e32 v168, -1
	v_mov_b32_e32 v162, -1
	s_mov_b32 s23, exec_lo
	v_cmpx_gt_u32_e64 s62, v111
	s_cbranch_execz .LBB1355_707
; %bb.706:                              ;   in Loop: Header=BB1355_694 Depth=2
	global_load_dword v162, v[37:38], off offset:512
.LBB1355_707:                           ;   in Loop: Header=BB1355_694 Depth=2
	;; [unrolled: 17-line block ×6, first 2 shown]
	s_or_b32 exec_lo, exec_lo, s23
	s_mov_b32 s23, exec_lo
	v_cmpx_gt_u32_e64 s62, v121
	s_cbranch_execz .LBB1355_725
; %bb.724:                              ;   in Loop: Header=BB1355_694 Depth=2
	global_load_dword v40, v[37:38], off offset:1664
.LBB1355_725:                           ;   in Loop: Header=BB1355_694 Depth=2
	s_or_b32 exec_lo, exec_lo, s23
	s_waitcnt vmcnt(0)
	v_mov_b32_e32 v39, -1
	s_mov_b32 s23, exec_lo
	v_cmpx_gt_u32_e64 s62, v122
	s_cbranch_execz .LBB1355_727
; %bb.726:                              ;   in Loop: Header=BB1355_694 Depth=2
	global_load_dword v39, v[37:38], off offset:1792
.LBB1355_727:                           ;   in Loop: Header=BB1355_694 Depth=2
	s_or_b32 exec_lo, exec_lo, s23
	v_cmp_gt_u32_e64 s23, s62, v123
	s_sub_i32 s24, s59, s46
.LBB1355_728:                           ;   in Loop: Header=BB1355_694 Depth=2
	v_mov_b32_e32 v37, -1
	v_mov_b32_e32 v150, s62
	s_and_saveexec_b32 s25, s23
	s_cbranch_execz .LBB1355_730
; %bb.729:                              ;   in Loop: Header=BB1355_694 Depth=2
	s_lshl_b64 s[26:27], s[46:47], 2
	v_mov_b32_e32 v150, s24
	v_add_co_u32 v37, vcc_lo, v129, s26
	v_add_co_ci_u32_e64 v38, null, s27, v130, vcc_lo
	global_load_dword v37, v[37:38], off offset:1920
.LBB1355_730:                           ;   in Loop: Header=BB1355_694 Depth=2
	s_or_b32 exec_lo, exec_lo, s25
	s_waitcnt vmcnt(14)
	v_cmp_gt_i32_e32 vcc_lo, 0, v3
	ds_write2_b32 v65, v4, v4 offset0:136 offset1:137
	ds_write2_b32 v65, v4, v4 offset0:138 offset1:139
	ds_write_b32 v65, v4 offset:560
	s_waitcnt vmcnt(0) lgkmcnt(0)
	s_barrier
	v_cndmask_b32_e64 v38, 0x7fffffff, 0, vcc_lo
	buffer_gl0_inv
	; wave barrier
	v_xor_b32_e32 v3, v38, v3
	v_cmp_ne_u32_e32 vcc_lo, 0x80000000, v3
	v_cndmask_b32_e32 v38, 0x7fffffff, v3, vcc_lo
	v_lshrrev_b32_e32 v38, s53, v38
	v_and_b32_e32 v153, s61, v38
	v_and_b32_e32 v38, 1, v153
	v_lshlrev_b32_e32 v152, 30, v153
	v_lshlrev_b32_e32 v155, 29, v153
	;; [unrolled: 1-line block ×4, first 2 shown]
	v_add_co_u32 v38, s23, v38, -1
	v_cndmask_b32_e64 v156, 0, 1, s23
	v_not_b32_e32 v161, v152
	v_cmp_gt_i32_e64 s23, 0, v152
	v_not_b32_e32 v152, v155
	v_lshlrev_b32_e32 v160, 26, v153
	v_cmp_ne_u32_e32 vcc_lo, 0, v156
	v_ashrrev_i32_e32 v161, 31, v161
	v_lshlrev_b32_e32 v156, 25, v153
	v_ashrrev_i32_e32 v152, 31, v152
	v_mul_u32_u24_e32 v153, 36, v153
	v_xor_b32_e32 v38, vcc_lo, v38
	v_cmp_gt_i32_e32 vcc_lo, 0, v155
	v_not_b32_e32 v155, v157
	v_xor_b32_e32 v161, s23, v161
	v_cmp_gt_i32_e64 s23, 0, v157
	v_and_b32_e32 v38, exec_lo, v38
	v_not_b32_e32 v157, v159
	v_ashrrev_i32_e32 v155, 31, v155
	v_xor_b32_e32 v152, vcc_lo, v152
	v_cmp_gt_i32_e32 vcc_lo, 0, v159
	v_and_b32_e32 v38, v38, v161
	v_not_b32_e32 v159, v160
	v_ashrrev_i32_e32 v157, 31, v157
	v_xor_b32_e32 v155, s23, v155
	v_cmp_gt_i32_e64 s23, 0, v160
	v_and_b32_e32 v38, v38, v152
	v_not_b32_e32 v152, v156
	v_ashrrev_i32_e32 v159, 31, v159
	v_xor_b32_e32 v157, vcc_lo, v157
	v_cmp_gt_i32_e32 vcc_lo, 0, v156
	v_and_b32_e32 v38, v38, v155
	v_ashrrev_i32_e32 v152, 31, v152
	v_xor_b32_e32 v155, s23, v159
	v_add_nc_u32_e32 v153, v131, v153
	v_and_b32_e32 v38, v38, v157
	v_xor_b32_e32 v152, vcc_lo, v152
	v_and_b32_e32 v38, v38, v155
	v_and_b32_e32 v38, v38, v152
	v_mbcnt_lo_u32_b32 v152, v38, 0
	v_cmp_ne_u32_e64 s23, 0, v38
	v_cmp_eq_u32_e32 vcc_lo, 0, v152
	s_and_b32 s24, s23, vcc_lo
	s_and_saveexec_b32 s23, s24
; %bb.731:                              ;   in Loop: Header=BB1355_694 Depth=2
	v_bcnt_u32_b32 v38, v38, 0
	ds_write_b32 v153, v38 offset:544
; %bb.732:                              ;   in Loop: Header=BB1355_694 Depth=2
	s_or_b32 exec_lo, exec_lo, s23
	v_cmp_gt_i32_e32 vcc_lo, 0, v151
	; wave barrier
	v_cndmask_b32_e64 v38, 0x7fffffff, 0, vcc_lo
	v_xor_b32_e32 v151, v38, v151
	v_cmp_ne_u32_e32 vcc_lo, 0x80000000, v151
	v_cndmask_b32_e32 v38, 0x7fffffff, v151, vcc_lo
	v_lshrrev_b32_e32 v38, s53, v38
	v_and_b32_e32 v157, s61, v38
	v_and_b32_e32 v38, 1, v157
	v_lshlrev_b32_e32 v155, 30, v157
	v_lshlrev_b32_e32 v156, 29, v157
	;; [unrolled: 1-line block ×4, first 2 shown]
	v_add_co_u32 v38, s23, v38, -1
	v_cndmask_b32_e64 v159, 0, 1, s23
	v_not_b32_e32 v165, v155
	v_cmp_gt_i32_e64 s23, 0, v155
	v_not_b32_e32 v155, v156
	v_lshlrev_b32_e32 v163, 26, v157
	v_cmp_ne_u32_e32 vcc_lo, 0, v159
	v_ashrrev_i32_e32 v165, 31, v165
	v_lshlrev_b32_e32 v159, 25, v157
	v_ashrrev_i32_e32 v155, 31, v155
	v_xor_b32_e32 v38, vcc_lo, v38
	v_cmp_gt_i32_e32 vcc_lo, 0, v156
	v_not_b32_e32 v156, v160
	v_xor_b32_e32 v165, s23, v165
	v_cmp_gt_i32_e64 s23, 0, v160
	v_and_b32_e32 v38, exec_lo, v38
	v_not_b32_e32 v160, v161
	v_ashrrev_i32_e32 v156, 31, v156
	v_xor_b32_e32 v155, vcc_lo, v155
	v_cmp_gt_i32_e32 vcc_lo, 0, v161
	v_and_b32_e32 v38, v38, v165
	v_not_b32_e32 v161, v163
	v_ashrrev_i32_e32 v160, 31, v160
	v_xor_b32_e32 v156, s23, v156
	v_cmp_gt_i32_e64 s23, 0, v163
	v_and_b32_e32 v38, v38, v155
	v_not_b32_e32 v155, v159
	v_ashrrev_i32_e32 v161, 31, v161
	v_xor_b32_e32 v160, vcc_lo, v160
	v_cmp_gt_i32_e32 vcc_lo, 0, v159
	v_and_b32_e32 v38, v38, v156
	v_ashrrev_i32_e32 v155, 31, v155
	v_xor_b32_e32 v156, s23, v161
	v_mad_u32_u24 v159, v157, 36, v131
	v_mul_u32_u24_e32 v157, 36, v157
	v_and_b32_e32 v38, v38, v160
	v_xor_b32_e32 v160, vcc_lo, v155
	ds_read_b32 v155, v159 offset:544
	v_add_nc_u32_e32 v157, v131, v157
	v_and_b32_e32 v38, v38, v156
	; wave barrier
	v_and_b32_e32 v38, v38, v160
	v_mbcnt_lo_u32_b32 v156, v38, 0
	v_cmp_ne_u32_e64 s23, 0, v38
	v_cmp_eq_u32_e32 vcc_lo, 0, v156
	s_and_b32 s24, s23, vcc_lo
	s_and_saveexec_b32 s23, s24
	s_cbranch_execz .LBB1355_734
; %bb.733:                              ;   in Loop: Header=BB1355_694 Depth=2
	s_waitcnt lgkmcnt(0)
	v_bcnt_u32_b32 v38, v38, v155
	ds_write_b32 v157, v38 offset:544
.LBB1355_734:                           ;   in Loop: Header=BB1355_694 Depth=2
	s_or_b32 exec_lo, exec_lo, s23
	v_cmp_gt_i32_e32 vcc_lo, 0, v154
	; wave barrier
	v_cndmask_b32_e64 v38, 0x7fffffff, 0, vcc_lo
	v_xor_b32_e32 v154, v38, v154
	v_cmp_ne_u32_e32 vcc_lo, 0x80000000, v154
	v_cndmask_b32_e32 v38, 0x7fffffff, v154, vcc_lo
	v_lshrrev_b32_e32 v38, s53, v38
	v_and_b32_e32 v161, s61, v38
	v_and_b32_e32 v38, 1, v161
	v_lshlrev_b32_e32 v159, 30, v161
	v_lshlrev_b32_e32 v160, 29, v161
	;; [unrolled: 1-line block ×4, first 2 shown]
	v_add_co_u32 v38, s23, v38, -1
	v_cndmask_b32_e64 v163, 0, 1, s23
	v_not_b32_e32 v170, v159
	v_cmp_gt_i32_e64 s23, 0, v159
	v_not_b32_e32 v159, v160
	v_lshlrev_b32_e32 v169, 26, v161
	v_cmp_ne_u32_e32 vcc_lo, 0, v163
	v_ashrrev_i32_e32 v170, 31, v170
	v_lshlrev_b32_e32 v163, 25, v161
	v_ashrrev_i32_e32 v159, 31, v159
	v_xor_b32_e32 v38, vcc_lo, v38
	v_cmp_gt_i32_e32 vcc_lo, 0, v160
	v_not_b32_e32 v160, v165
	v_xor_b32_e32 v170, s23, v170
	v_cmp_gt_i32_e64 s23, 0, v165
	v_and_b32_e32 v38, exec_lo, v38
	v_not_b32_e32 v165, v166
	v_ashrrev_i32_e32 v160, 31, v160
	v_xor_b32_e32 v159, vcc_lo, v159
	v_cmp_gt_i32_e32 vcc_lo, 0, v166
	v_and_b32_e32 v38, v38, v170
	v_not_b32_e32 v166, v169
	v_ashrrev_i32_e32 v165, 31, v165
	v_xor_b32_e32 v160, s23, v160
	v_cmp_gt_i32_e64 s23, 0, v169
	v_and_b32_e32 v38, v38, v159
	v_not_b32_e32 v159, v163
	v_ashrrev_i32_e32 v166, 31, v166
	v_xor_b32_e32 v165, vcc_lo, v165
	v_cmp_gt_i32_e32 vcc_lo, 0, v163
	v_and_b32_e32 v38, v38, v160
	v_ashrrev_i32_e32 v159, 31, v159
	v_xor_b32_e32 v160, s23, v166
	v_mad_u32_u24 v163, v161, 36, v131
	v_mul_u32_u24_e32 v161, 36, v161
	v_and_b32_e32 v38, v38, v165
	v_xor_b32_e32 v165, vcc_lo, v159
	ds_read_b32 v159, v163 offset:544
	v_add_nc_u32_e32 v161, v131, v161
	v_and_b32_e32 v38, v38, v160
	; wave barrier
	v_and_b32_e32 v38, v38, v165
	v_mbcnt_lo_u32_b32 v160, v38, 0
	v_cmp_ne_u32_e64 s23, 0, v38
	v_cmp_eq_u32_e32 vcc_lo, 0, v160
	s_and_b32 s24, s23, vcc_lo
	s_and_saveexec_b32 s23, s24
	s_cbranch_execz .LBB1355_736
; %bb.735:                              ;   in Loop: Header=BB1355_694 Depth=2
	s_waitcnt lgkmcnt(0)
	v_bcnt_u32_b32 v38, v38, v159
	ds_write_b32 v161, v38 offset:544
.LBB1355_736:                           ;   in Loop: Header=BB1355_694 Depth=2
	s_or_b32 exec_lo, exec_lo, s23
	v_cmp_gt_i32_e32 vcc_lo, 0, v158
	; wave barrier
	v_cndmask_b32_e64 v38, 0x7fffffff, 0, vcc_lo
	v_xor_b32_e32 v158, v38, v158
	v_cmp_ne_u32_e32 vcc_lo, 0x80000000, v158
	v_cndmask_b32_e32 v38, 0x7fffffff, v158, vcc_lo
	v_lshrrev_b32_e32 v38, s53, v38
	v_and_b32_e32 v166, s61, v38
	v_and_b32_e32 v38, 1, v166
	v_lshlrev_b32_e32 v163, 30, v166
	v_lshlrev_b32_e32 v165, 29, v166
	;; [unrolled: 1-line block ×4, first 2 shown]
	v_add_co_u32 v38, s23, v38, -1
	v_cndmask_b32_e64 v169, 0, 1, s23
	v_not_b32_e32 v175, v163
	v_cmp_gt_i32_e64 s23, 0, v163
	v_not_b32_e32 v163, v165
	v_lshlrev_b32_e32 v174, 26, v166
	v_cmp_ne_u32_e32 vcc_lo, 0, v169
	v_ashrrev_i32_e32 v175, 31, v175
	v_lshlrev_b32_e32 v169, 25, v166
	v_ashrrev_i32_e32 v163, 31, v163
	v_xor_b32_e32 v38, vcc_lo, v38
	v_cmp_gt_i32_e32 vcc_lo, 0, v165
	v_not_b32_e32 v165, v170
	v_xor_b32_e32 v175, s23, v175
	v_cmp_gt_i32_e64 s23, 0, v170
	v_and_b32_e32 v38, exec_lo, v38
	v_not_b32_e32 v170, v171
	v_ashrrev_i32_e32 v165, 31, v165
	v_xor_b32_e32 v163, vcc_lo, v163
	v_cmp_gt_i32_e32 vcc_lo, 0, v171
	v_and_b32_e32 v38, v38, v175
	v_not_b32_e32 v171, v174
	v_ashrrev_i32_e32 v170, 31, v170
	v_xor_b32_e32 v165, s23, v165
	v_cmp_gt_i32_e64 s23, 0, v174
	v_and_b32_e32 v38, v38, v163
	v_not_b32_e32 v163, v169
	v_ashrrev_i32_e32 v171, 31, v171
	v_xor_b32_e32 v170, vcc_lo, v170
	v_cmp_gt_i32_e32 vcc_lo, 0, v169
	v_and_b32_e32 v38, v38, v165
	v_ashrrev_i32_e32 v163, 31, v163
	v_xor_b32_e32 v165, s23, v171
	v_mad_u32_u24 v169, v166, 36, v131
	v_mul_u32_u24_e32 v166, 36, v166
	v_and_b32_e32 v38, v38, v170
	v_xor_b32_e32 v170, vcc_lo, v163
	ds_read_b32 v163, v169 offset:544
	v_add_nc_u32_e32 v166, v131, v166
	v_and_b32_e32 v38, v38, v165
	; wave barrier
	v_and_b32_e32 v38, v38, v170
	v_mbcnt_lo_u32_b32 v165, v38, 0
	v_cmp_ne_u32_e64 s23, 0, v38
	v_cmp_eq_u32_e32 vcc_lo, 0, v165
	s_and_b32 s24, s23, vcc_lo
	s_and_saveexec_b32 s23, s24
	s_cbranch_execz .LBB1355_738
; %bb.737:                              ;   in Loop: Header=BB1355_694 Depth=2
	s_waitcnt lgkmcnt(0)
	v_bcnt_u32_b32 v38, v38, v163
	ds_write_b32 v166, v38 offset:544
.LBB1355_738:                           ;   in Loop: Header=BB1355_694 Depth=2
	s_or_b32 exec_lo, exec_lo, s23
	v_cmp_gt_i32_e32 vcc_lo, 0, v162
	; wave barrier
	v_cndmask_b32_e64 v38, 0x7fffffff, 0, vcc_lo
	v_xor_b32_e32 v162, v38, v162
	v_cmp_ne_u32_e32 vcc_lo, 0x80000000, v162
	v_cndmask_b32_e32 v38, 0x7fffffff, v162, vcc_lo
	v_lshrrev_b32_e32 v38, s53, v38
	v_and_b32_e32 v171, s61, v38
	v_and_b32_e32 v38, 1, v171
	v_lshlrev_b32_e32 v169, 30, v171
	v_lshlrev_b32_e32 v170, 29, v171
	;; [unrolled: 1-line block ×4, first 2 shown]
	v_add_co_u32 v38, s23, v38, -1
	v_cndmask_b32_e64 v174, 0, 1, s23
	v_not_b32_e32 v180, v169
	v_cmp_gt_i32_e64 s23, 0, v169
	v_not_b32_e32 v169, v170
	v_lshlrev_b32_e32 v179, 26, v171
	v_cmp_ne_u32_e32 vcc_lo, 0, v174
	v_ashrrev_i32_e32 v180, 31, v180
	v_lshlrev_b32_e32 v174, 25, v171
	v_ashrrev_i32_e32 v169, 31, v169
	v_xor_b32_e32 v38, vcc_lo, v38
	v_cmp_gt_i32_e32 vcc_lo, 0, v170
	v_not_b32_e32 v170, v175
	v_xor_b32_e32 v180, s23, v180
	v_cmp_gt_i32_e64 s23, 0, v175
	v_and_b32_e32 v38, exec_lo, v38
	v_not_b32_e32 v175, v177
	v_ashrrev_i32_e32 v170, 31, v170
	v_xor_b32_e32 v169, vcc_lo, v169
	v_cmp_gt_i32_e32 vcc_lo, 0, v177
	v_and_b32_e32 v38, v38, v180
	v_not_b32_e32 v177, v179
	v_ashrrev_i32_e32 v175, 31, v175
	v_xor_b32_e32 v170, s23, v170
	v_cmp_gt_i32_e64 s23, 0, v179
	v_and_b32_e32 v38, v38, v169
	v_not_b32_e32 v169, v174
	v_ashrrev_i32_e32 v177, 31, v177
	v_xor_b32_e32 v175, vcc_lo, v175
	v_cmp_gt_i32_e32 vcc_lo, 0, v174
	v_and_b32_e32 v38, v38, v170
	v_ashrrev_i32_e32 v169, 31, v169
	v_xor_b32_e32 v170, s23, v177
	v_mad_u32_u24 v174, v171, 36, v131
	v_mul_u32_u24_e32 v171, 36, v171
	v_and_b32_e32 v38, v38, v175
	v_xor_b32_e32 v175, vcc_lo, v169
	ds_read_b32 v169, v174 offset:544
	v_add_nc_u32_e32 v171, v131, v171
	v_and_b32_e32 v38, v38, v170
	; wave barrier
	v_and_b32_e32 v38, v38, v175
	v_mbcnt_lo_u32_b32 v170, v38, 0
	v_cmp_ne_u32_e64 s23, 0, v38
	v_cmp_eq_u32_e32 vcc_lo, 0, v170
	s_and_b32 s24, s23, vcc_lo
	s_and_saveexec_b32 s23, s24
	s_cbranch_execz .LBB1355_740
; %bb.739:                              ;   in Loop: Header=BB1355_694 Depth=2
	s_waitcnt lgkmcnt(0)
	v_bcnt_u32_b32 v38, v38, v169
	ds_write_b32 v171, v38 offset:544
.LBB1355_740:                           ;   in Loop: Header=BB1355_694 Depth=2
	s_or_b32 exec_lo, exec_lo, s23
	v_cmp_gt_i32_e32 vcc_lo, 0, v168
	; wave barrier
	v_cndmask_b32_e64 v38, 0x7fffffff, 0, vcc_lo
	v_xor_b32_e32 v168, v38, v168
	v_cmp_ne_u32_e32 vcc_lo, 0x80000000, v168
	v_cndmask_b32_e32 v38, 0x7fffffff, v168, vcc_lo
	v_lshrrev_b32_e32 v38, s53, v38
	v_and_b32_e32 v177, s61, v38
	v_and_b32_e32 v38, 1, v177
	v_lshlrev_b32_e32 v174, 30, v177
	v_lshlrev_b32_e32 v175, 29, v177
	;; [unrolled: 1-line block ×4, first 2 shown]
	v_add_co_u32 v38, s23, v38, -1
	v_cndmask_b32_e64 v179, 0, 1, s23
	v_not_b32_e32 v184, v174
	v_cmp_gt_i32_e64 s23, 0, v174
	v_not_b32_e32 v174, v175
	v_lshlrev_b32_e32 v183, 26, v177
	v_cmp_ne_u32_e32 vcc_lo, 0, v179
	v_ashrrev_i32_e32 v184, 31, v184
	v_lshlrev_b32_e32 v179, 25, v177
	v_ashrrev_i32_e32 v174, 31, v174
	v_xor_b32_e32 v38, vcc_lo, v38
	v_cmp_gt_i32_e32 vcc_lo, 0, v175
	v_not_b32_e32 v175, v180
	v_xor_b32_e32 v184, s23, v184
	v_cmp_gt_i32_e64 s23, 0, v180
	v_and_b32_e32 v38, exec_lo, v38
	v_not_b32_e32 v180, v182
	v_ashrrev_i32_e32 v175, 31, v175
	v_xor_b32_e32 v174, vcc_lo, v174
	v_cmp_gt_i32_e32 vcc_lo, 0, v182
	v_and_b32_e32 v38, v38, v184
	v_not_b32_e32 v182, v183
	v_ashrrev_i32_e32 v180, 31, v180
	v_xor_b32_e32 v175, s23, v175
	v_cmp_gt_i32_e64 s23, 0, v183
	v_and_b32_e32 v38, v38, v174
	v_not_b32_e32 v174, v179
	v_ashrrev_i32_e32 v182, 31, v182
	v_xor_b32_e32 v180, vcc_lo, v180
	v_cmp_gt_i32_e32 vcc_lo, 0, v179
	v_and_b32_e32 v38, v38, v175
	v_ashrrev_i32_e32 v174, 31, v174
	v_xor_b32_e32 v175, s23, v182
	v_mad_u32_u24 v179, v177, 36, v131
	v_mul_u32_u24_e32 v177, 36, v177
	v_and_b32_e32 v38, v38, v180
	v_xor_b32_e32 v180, vcc_lo, v174
	ds_read_b32 v174, v179 offset:544
	v_add_nc_u32_e32 v177, v131, v177
	v_and_b32_e32 v38, v38, v175
	; wave barrier
	v_and_b32_e32 v38, v38, v180
	v_mbcnt_lo_u32_b32 v175, v38, 0
	v_cmp_ne_u32_e64 s23, 0, v38
	v_cmp_eq_u32_e32 vcc_lo, 0, v175
	s_and_b32 s24, s23, vcc_lo
	s_and_saveexec_b32 s23, s24
	s_cbranch_execz .LBB1355_742
; %bb.741:                              ;   in Loop: Header=BB1355_694 Depth=2
	s_waitcnt lgkmcnt(0)
	v_bcnt_u32_b32 v38, v38, v174
	ds_write_b32 v177, v38 offset:544
.LBB1355_742:                           ;   in Loop: Header=BB1355_694 Depth=2
	s_or_b32 exec_lo, exec_lo, s23
	v_cmp_gt_i32_e32 vcc_lo, 0, v173
	; wave barrier
	v_cndmask_b32_e64 v38, 0x7fffffff, 0, vcc_lo
	v_xor_b32_e32 v173, v38, v173
	v_cmp_ne_u32_e32 vcc_lo, 0x80000000, v173
	v_cndmask_b32_e32 v38, 0x7fffffff, v173, vcc_lo
	v_lshrrev_b32_e32 v38, s53, v38
	v_and_b32_e32 v182, s61, v38
	v_and_b32_e32 v38, 1, v182
	v_lshlrev_b32_e32 v179, 30, v182
	v_lshlrev_b32_e32 v180, 29, v182
	;; [unrolled: 1-line block ×4, first 2 shown]
	v_add_co_u32 v38, s23, v38, -1
	v_cndmask_b32_e64 v183, 0, 1, s23
	v_not_b32_e32 v187, v179
	v_cmp_gt_i32_e64 s23, 0, v179
	v_not_b32_e32 v179, v180
	v_lshlrev_b32_e32 v186, 26, v182
	v_cmp_ne_u32_e32 vcc_lo, 0, v183
	v_ashrrev_i32_e32 v187, 31, v187
	v_lshlrev_b32_e32 v183, 25, v182
	v_ashrrev_i32_e32 v179, 31, v179
	v_xor_b32_e32 v38, vcc_lo, v38
	v_cmp_gt_i32_e32 vcc_lo, 0, v180
	v_not_b32_e32 v180, v184
	v_xor_b32_e32 v187, s23, v187
	v_cmp_gt_i32_e64 s23, 0, v184
	v_and_b32_e32 v38, exec_lo, v38
	v_not_b32_e32 v184, v185
	v_ashrrev_i32_e32 v180, 31, v180
	v_xor_b32_e32 v179, vcc_lo, v179
	v_cmp_gt_i32_e32 vcc_lo, 0, v185
	v_and_b32_e32 v38, v38, v187
	v_not_b32_e32 v185, v186
	v_ashrrev_i32_e32 v184, 31, v184
	v_xor_b32_e32 v180, s23, v180
	v_cmp_gt_i32_e64 s23, 0, v186
	v_and_b32_e32 v38, v38, v179
	v_not_b32_e32 v179, v183
	v_ashrrev_i32_e32 v185, 31, v185
	v_xor_b32_e32 v184, vcc_lo, v184
	v_cmp_gt_i32_e32 vcc_lo, 0, v183
	v_and_b32_e32 v38, v38, v180
	v_ashrrev_i32_e32 v179, 31, v179
	v_xor_b32_e32 v180, s23, v185
	v_mad_u32_u24 v183, v182, 36, v131
	v_mul_u32_u24_e32 v182, 36, v182
	v_and_b32_e32 v38, v38, v184
	v_xor_b32_e32 v184, vcc_lo, v179
	ds_read_b32 v179, v183 offset:544
	v_add_nc_u32_e32 v182, v131, v182
	v_and_b32_e32 v38, v38, v180
	; wave barrier
	v_and_b32_e32 v38, v38, v184
	v_mbcnt_lo_u32_b32 v180, v38, 0
	v_cmp_ne_u32_e64 s23, 0, v38
	v_cmp_eq_u32_e32 vcc_lo, 0, v180
	s_and_b32 s24, s23, vcc_lo
	s_and_saveexec_b32 s23, s24
	s_cbranch_execz .LBB1355_744
; %bb.743:                              ;   in Loop: Header=BB1355_694 Depth=2
	s_waitcnt lgkmcnt(0)
	v_bcnt_u32_b32 v38, v38, v179
	ds_write_b32 v182, v38 offset:544
.LBB1355_744:                           ;   in Loop: Header=BB1355_694 Depth=2
	s_or_b32 exec_lo, exec_lo, s23
	v_cmp_gt_i32_e32 vcc_lo, 0, v178
	; wave barrier
	v_cndmask_b32_e64 v38, 0x7fffffff, 0, vcc_lo
	v_xor_b32_e32 v178, v38, v178
	v_cmp_ne_u32_e32 vcc_lo, 0x80000000, v178
	v_cndmask_b32_e32 v38, 0x7fffffff, v178, vcc_lo
	v_lshrrev_b32_e32 v38, s53, v38
	v_and_b32_e32 v185, s61, v38
	v_and_b32_e32 v38, 1, v185
	v_lshlrev_b32_e32 v183, 30, v185
	v_lshlrev_b32_e32 v184, 29, v185
	;; [unrolled: 1-line block ×4, first 2 shown]
	v_add_co_u32 v38, s23, v38, -1
	v_cndmask_b32_e64 v186, 0, 1, s23
	v_not_b32_e32 v190, v183
	v_cmp_gt_i32_e64 s23, 0, v183
	v_not_b32_e32 v183, v184
	v_lshlrev_b32_e32 v189, 26, v185
	v_cmp_ne_u32_e32 vcc_lo, 0, v186
	v_ashrrev_i32_e32 v190, 31, v190
	v_lshlrev_b32_e32 v186, 25, v185
	v_ashrrev_i32_e32 v183, 31, v183
	v_xor_b32_e32 v38, vcc_lo, v38
	v_cmp_gt_i32_e32 vcc_lo, 0, v184
	v_not_b32_e32 v184, v187
	v_xor_b32_e32 v190, s23, v190
	v_cmp_gt_i32_e64 s23, 0, v187
	v_and_b32_e32 v38, exec_lo, v38
	v_not_b32_e32 v187, v188
	v_ashrrev_i32_e32 v184, 31, v184
	v_xor_b32_e32 v183, vcc_lo, v183
	v_cmp_gt_i32_e32 vcc_lo, 0, v188
	v_and_b32_e32 v38, v38, v190
	v_not_b32_e32 v188, v189
	v_ashrrev_i32_e32 v187, 31, v187
	v_xor_b32_e32 v184, s23, v184
	v_cmp_gt_i32_e64 s23, 0, v189
	v_and_b32_e32 v38, v38, v183
	v_not_b32_e32 v183, v186
	v_ashrrev_i32_e32 v188, 31, v188
	v_xor_b32_e32 v187, vcc_lo, v187
	v_cmp_gt_i32_e32 vcc_lo, 0, v186
	v_and_b32_e32 v38, v38, v184
	v_ashrrev_i32_e32 v183, 31, v183
	v_xor_b32_e32 v184, s23, v188
	v_mad_u32_u24 v186, v185, 36, v131
	v_mul_u32_u24_e32 v185, 36, v185
	v_and_b32_e32 v38, v38, v187
	v_xor_b32_e32 v187, vcc_lo, v183
	ds_read_b32 v183, v186 offset:544
	v_add_nc_u32_e32 v185, v131, v185
	v_and_b32_e32 v38, v38, v184
	; wave barrier
	v_and_b32_e32 v38, v38, v187
	v_mbcnt_lo_u32_b32 v184, v38, 0
	v_cmp_ne_u32_e64 s23, 0, v38
	v_cmp_eq_u32_e32 vcc_lo, 0, v184
	s_and_b32 s24, s23, vcc_lo
	s_and_saveexec_b32 s23, s24
	s_cbranch_execz .LBB1355_746
; %bb.745:                              ;   in Loop: Header=BB1355_694 Depth=2
	s_waitcnt lgkmcnt(0)
	v_bcnt_u32_b32 v38, v38, v183
	ds_write_b32 v185, v38 offset:544
.LBB1355_746:                           ;   in Loop: Header=BB1355_694 Depth=2
	s_or_b32 exec_lo, exec_lo, s23
	v_cmp_gt_i32_e32 vcc_lo, 0, v181
	; wave barrier
	v_cndmask_b32_e64 v38, 0x7fffffff, 0, vcc_lo
	v_xor_b32_e32 v181, v38, v181
	v_cmp_ne_u32_e32 vcc_lo, 0x80000000, v181
	v_cndmask_b32_e32 v38, 0x7fffffff, v181, vcc_lo
	v_lshrrev_b32_e32 v38, s53, v38
	v_and_b32_e32 v188, s61, v38
	v_and_b32_e32 v38, 1, v188
	v_lshlrev_b32_e32 v186, 30, v188
	v_lshlrev_b32_e32 v187, 29, v188
	;; [unrolled: 1-line block ×4, first 2 shown]
	v_add_co_u32 v38, s23, v38, -1
	v_cndmask_b32_e64 v189, 0, 1, s23
	v_not_b32_e32 v193, v186
	v_cmp_gt_i32_e64 s23, 0, v186
	v_not_b32_e32 v186, v187
	v_lshlrev_b32_e32 v192, 26, v188
	v_cmp_ne_u32_e32 vcc_lo, 0, v189
	v_ashrrev_i32_e32 v193, 31, v193
	v_lshlrev_b32_e32 v189, 25, v188
	v_ashrrev_i32_e32 v186, 31, v186
	v_xor_b32_e32 v38, vcc_lo, v38
	v_cmp_gt_i32_e32 vcc_lo, 0, v187
	v_not_b32_e32 v187, v190
	v_xor_b32_e32 v193, s23, v193
	v_cmp_gt_i32_e64 s23, 0, v190
	v_and_b32_e32 v38, exec_lo, v38
	v_not_b32_e32 v190, v191
	v_ashrrev_i32_e32 v187, 31, v187
	v_xor_b32_e32 v186, vcc_lo, v186
	v_cmp_gt_i32_e32 vcc_lo, 0, v191
	v_and_b32_e32 v38, v38, v193
	v_not_b32_e32 v191, v192
	v_ashrrev_i32_e32 v190, 31, v190
	v_xor_b32_e32 v187, s23, v187
	v_cmp_gt_i32_e64 s23, 0, v192
	v_and_b32_e32 v38, v38, v186
	v_not_b32_e32 v186, v189
	v_ashrrev_i32_e32 v191, 31, v191
	v_xor_b32_e32 v190, vcc_lo, v190
	v_cmp_gt_i32_e32 vcc_lo, 0, v189
	v_and_b32_e32 v38, v38, v187
	v_ashrrev_i32_e32 v186, 31, v186
	v_xor_b32_e32 v187, s23, v191
	v_mad_u32_u24 v189, v188, 36, v131
	v_mul_u32_u24_e32 v188, 36, v188
	v_and_b32_e32 v38, v38, v190
	v_xor_b32_e32 v190, vcc_lo, v186
	ds_read_b32 v186, v189 offset:544
	v_add_nc_u32_e32 v188, v131, v188
	v_and_b32_e32 v38, v38, v187
	; wave barrier
	v_and_b32_e32 v38, v38, v190
	v_mbcnt_lo_u32_b32 v187, v38, 0
	v_cmp_ne_u32_e64 s23, 0, v38
	v_cmp_eq_u32_e32 vcc_lo, 0, v187
	s_and_b32 s24, s23, vcc_lo
	s_and_saveexec_b32 s23, s24
	s_cbranch_execz .LBB1355_748
; %bb.747:                              ;   in Loop: Header=BB1355_694 Depth=2
	s_waitcnt lgkmcnt(0)
	v_bcnt_u32_b32 v38, v38, v186
	ds_write_b32 v188, v38 offset:544
.LBB1355_748:                           ;   in Loop: Header=BB1355_694 Depth=2
	s_or_b32 exec_lo, exec_lo, s23
	v_cmp_gt_i32_e32 vcc_lo, 0, v176
	; wave barrier
	v_cndmask_b32_e64 v38, 0x7fffffff, 0, vcc_lo
	v_xor_b32_e32 v176, v38, v176
	v_cmp_ne_u32_e32 vcc_lo, 0x80000000, v176
	v_cndmask_b32_e32 v38, 0x7fffffff, v176, vcc_lo
	v_lshrrev_b32_e32 v38, s53, v38
	v_and_b32_e32 v191, s61, v38
	v_and_b32_e32 v38, 1, v191
	v_lshlrev_b32_e32 v189, 30, v191
	v_lshlrev_b32_e32 v190, 29, v191
	;; [unrolled: 1-line block ×4, first 2 shown]
	v_add_co_u32 v38, s23, v38, -1
	v_cndmask_b32_e64 v192, 0, 1, s23
	v_not_b32_e32 v196, v189
	v_cmp_gt_i32_e64 s23, 0, v189
	v_not_b32_e32 v189, v190
	v_lshlrev_b32_e32 v195, 26, v191
	v_cmp_ne_u32_e32 vcc_lo, 0, v192
	v_ashrrev_i32_e32 v196, 31, v196
	v_lshlrev_b32_e32 v192, 25, v191
	v_ashrrev_i32_e32 v189, 31, v189
	v_xor_b32_e32 v38, vcc_lo, v38
	v_cmp_gt_i32_e32 vcc_lo, 0, v190
	v_not_b32_e32 v190, v193
	v_xor_b32_e32 v196, s23, v196
	v_cmp_gt_i32_e64 s23, 0, v193
	v_and_b32_e32 v38, exec_lo, v38
	v_not_b32_e32 v193, v194
	v_ashrrev_i32_e32 v190, 31, v190
	v_xor_b32_e32 v189, vcc_lo, v189
	v_cmp_gt_i32_e32 vcc_lo, 0, v194
	v_and_b32_e32 v38, v38, v196
	v_not_b32_e32 v194, v195
	v_ashrrev_i32_e32 v193, 31, v193
	v_xor_b32_e32 v190, s23, v190
	v_cmp_gt_i32_e64 s23, 0, v195
	v_and_b32_e32 v38, v38, v189
	v_not_b32_e32 v189, v192
	v_ashrrev_i32_e32 v194, 31, v194
	v_xor_b32_e32 v193, vcc_lo, v193
	v_cmp_gt_i32_e32 vcc_lo, 0, v192
	v_and_b32_e32 v38, v38, v190
	v_ashrrev_i32_e32 v189, 31, v189
	v_xor_b32_e32 v190, s23, v194
	v_mad_u32_u24 v192, v191, 36, v131
	v_mul_u32_u24_e32 v191, 36, v191
	v_and_b32_e32 v38, v38, v193
	v_xor_b32_e32 v193, vcc_lo, v189
	ds_read_b32 v189, v192 offset:544
	v_add_nc_u32_e32 v191, v131, v191
	v_and_b32_e32 v38, v38, v190
	; wave barrier
	v_and_b32_e32 v38, v38, v193
	v_mbcnt_lo_u32_b32 v190, v38, 0
	v_cmp_ne_u32_e64 s23, 0, v38
	v_cmp_eq_u32_e32 vcc_lo, 0, v190
	s_and_b32 s24, s23, vcc_lo
	s_and_saveexec_b32 s23, s24
	s_cbranch_execz .LBB1355_750
; %bb.749:                              ;   in Loop: Header=BB1355_694 Depth=2
	s_waitcnt lgkmcnt(0)
	v_bcnt_u32_b32 v38, v38, v189
	ds_write_b32 v191, v38 offset:544
.LBB1355_750:                           ;   in Loop: Header=BB1355_694 Depth=2
	s_or_b32 exec_lo, exec_lo, s23
	v_cmp_gt_i32_e32 vcc_lo, 0, v172
	; wave barrier
	v_cndmask_b32_e64 v38, 0x7fffffff, 0, vcc_lo
	v_xor_b32_e32 v172, v38, v172
	v_cmp_ne_u32_e32 vcc_lo, 0x80000000, v172
	v_cndmask_b32_e32 v38, 0x7fffffff, v172, vcc_lo
	v_lshrrev_b32_e32 v38, s53, v38
	v_and_b32_e32 v192, s61, v38
	v_and_b32_e32 v38, 1, v192
	v_lshlrev_b32_e32 v193, 30, v192
	v_lshlrev_b32_e32 v194, 29, v192
	;; [unrolled: 1-line block ×4, first 2 shown]
	v_add_co_u32 v38, s23, v38, -1
	v_cndmask_b32_e64 v195, 0, 1, s23
	v_not_b32_e32 v199, v193
	v_cmp_gt_i32_e64 s23, 0, v193
	v_not_b32_e32 v193, v194
	v_lshlrev_b32_e32 v198, 26, v192
	v_cmp_ne_u32_e32 vcc_lo, 0, v195
	v_ashrrev_i32_e32 v199, 31, v199
	v_lshlrev_b32_e32 v195, 25, v192
	v_ashrrev_i32_e32 v193, 31, v193
	v_xor_b32_e32 v38, vcc_lo, v38
	v_cmp_gt_i32_e32 vcc_lo, 0, v194
	v_not_b32_e32 v194, v196
	v_xor_b32_e32 v199, s23, v199
	v_cmp_gt_i32_e64 s23, 0, v196
	v_and_b32_e32 v38, exec_lo, v38
	v_not_b32_e32 v196, v197
	v_ashrrev_i32_e32 v194, 31, v194
	v_xor_b32_e32 v193, vcc_lo, v193
	v_cmp_gt_i32_e32 vcc_lo, 0, v197
	v_and_b32_e32 v38, v38, v199
	v_not_b32_e32 v197, v198
	v_ashrrev_i32_e32 v196, 31, v196
	v_xor_b32_e32 v194, s23, v194
	v_cmp_gt_i32_e64 s23, 0, v198
	v_and_b32_e32 v38, v38, v193
	v_not_b32_e32 v193, v195
	v_ashrrev_i32_e32 v197, 31, v197
	v_xor_b32_e32 v196, vcc_lo, v196
	v_cmp_gt_i32_e32 vcc_lo, 0, v195
	v_and_b32_e32 v38, v38, v194
	v_ashrrev_i32_e32 v193, 31, v193
	v_xor_b32_e32 v194, s23, v197
	v_mad_u32_u24 v195, v192, 36, v131
	v_mul_u32_u24_e32 v192, 36, v192
	v_and_b32_e32 v38, v38, v196
	v_xor_b32_e32 v196, vcc_lo, v193
	ds_read_b32 v193, v195 offset:544
	v_add_nc_u32_e32 v195, v131, v192
	v_and_b32_e32 v38, v38, v194
	; wave barrier
	v_and_b32_e32 v38, v38, v196
	v_mbcnt_lo_u32_b32 v194, v38, 0
	v_cmp_ne_u32_e64 s23, 0, v38
	v_cmp_eq_u32_e32 vcc_lo, 0, v194
	s_and_b32 s24, s23, vcc_lo
	s_and_saveexec_b32 s23, s24
	s_cbranch_execz .LBB1355_752
; %bb.751:                              ;   in Loop: Header=BB1355_694 Depth=2
	s_waitcnt lgkmcnt(0)
	v_bcnt_u32_b32 v38, v38, v193
	ds_write_b32 v195, v38 offset:544
.LBB1355_752:                           ;   in Loop: Header=BB1355_694 Depth=2
	s_or_b32 exec_lo, exec_lo, s23
	v_cmp_gt_i32_e32 vcc_lo, 0, v167
	; wave barrier
	v_cndmask_b32_e64 v38, 0x7fffffff, 0, vcc_lo
	v_xor_b32_e32 v192, v38, v167
	v_cmp_ne_u32_e32 vcc_lo, 0x80000000, v192
	v_cndmask_b32_e32 v38, 0x7fffffff, v192, vcc_lo
	v_lshrrev_b32_e32 v38, s53, v38
	v_and_b32_e32 v167, s61, v38
	v_and_b32_e32 v38, 1, v167
	v_lshlrev_b32_e32 v196, 30, v167
	v_lshlrev_b32_e32 v197, 29, v167
	;; [unrolled: 1-line block ×4, first 2 shown]
	v_add_co_u32 v38, s23, v38, -1
	v_cndmask_b32_e64 v198, 0, 1, s23
	v_not_b32_e32 v202, v196
	v_cmp_gt_i32_e64 s23, 0, v196
	v_not_b32_e32 v196, v197
	v_lshlrev_b32_e32 v201, 26, v167
	v_cmp_ne_u32_e32 vcc_lo, 0, v198
	v_ashrrev_i32_e32 v202, 31, v202
	v_lshlrev_b32_e32 v198, 25, v167
	v_ashrrev_i32_e32 v196, 31, v196
	v_xor_b32_e32 v38, vcc_lo, v38
	v_cmp_gt_i32_e32 vcc_lo, 0, v197
	v_not_b32_e32 v197, v199
	v_xor_b32_e32 v202, s23, v202
	v_cmp_gt_i32_e64 s23, 0, v199
	v_and_b32_e32 v38, exec_lo, v38
	v_not_b32_e32 v199, v200
	v_ashrrev_i32_e32 v197, 31, v197
	v_xor_b32_e32 v196, vcc_lo, v196
	v_cmp_gt_i32_e32 vcc_lo, 0, v200
	v_and_b32_e32 v38, v38, v202
	v_not_b32_e32 v200, v201
	v_ashrrev_i32_e32 v199, 31, v199
	v_xor_b32_e32 v197, s23, v197
	v_cmp_gt_i32_e64 s23, 0, v201
	v_and_b32_e32 v38, v38, v196
	v_not_b32_e32 v196, v198
	v_ashrrev_i32_e32 v200, 31, v200
	v_xor_b32_e32 v199, vcc_lo, v199
	v_cmp_gt_i32_e32 vcc_lo, 0, v198
	v_and_b32_e32 v38, v38, v197
	v_ashrrev_i32_e32 v196, 31, v196
	v_xor_b32_e32 v197, s23, v200
	v_mad_u32_u24 v198, v167, 36, v131
	v_mul_u32_u24_e32 v167, 36, v167
	v_and_b32_e32 v38, v38, v199
	v_xor_b32_e32 v196, vcc_lo, v196
	v_add_nc_u32_e32 v167, v131, v167
	v_and_b32_e32 v38, v38, v197
	ds_read_b32 v197, v198 offset:544
	; wave barrier
	v_and_b32_e32 v38, v38, v196
	v_mbcnt_lo_u32_b32 v198, v38, 0
	v_cmp_ne_u32_e64 s23, 0, v38
	v_cmp_eq_u32_e32 vcc_lo, 0, v198
	s_and_b32 s24, s23, vcc_lo
	s_and_saveexec_b32 s23, s24
	s_cbranch_execz .LBB1355_754
; %bb.753:                              ;   in Loop: Header=BB1355_694 Depth=2
	s_waitcnt lgkmcnt(0)
	v_bcnt_u32_b32 v38, v38, v197
	ds_write_b32 v167, v38 offset:544
.LBB1355_754:                           ;   in Loop: Header=BB1355_694 Depth=2
	s_or_b32 exec_lo, exec_lo, s23
	v_cmp_gt_i32_e32 vcc_lo, 0, v164
	; wave barrier
	v_cndmask_b32_e64 v38, 0x7fffffff, 0, vcc_lo
	v_xor_b32_e32 v196, v38, v164
	v_cmp_ne_u32_e32 vcc_lo, 0x80000000, v196
	v_cndmask_b32_e32 v38, 0x7fffffff, v196, vcc_lo
	v_lshrrev_b32_e32 v38, s53, v38
	v_and_b32_e32 v164, s61, v38
	v_and_b32_e32 v38, 1, v164
	v_lshlrev_b32_e32 v199, 30, v164
	v_lshlrev_b32_e32 v200, 29, v164
	;; [unrolled: 1-line block ×4, first 2 shown]
	v_add_co_u32 v38, s23, v38, -1
	v_cndmask_b32_e64 v201, 0, 1, s23
	v_not_b32_e32 v205, v199
	v_cmp_gt_i32_e64 s23, 0, v199
	v_not_b32_e32 v199, v200
	v_lshlrev_b32_e32 v204, 26, v164
	v_cmp_ne_u32_e32 vcc_lo, 0, v201
	v_ashrrev_i32_e32 v205, 31, v205
	v_lshlrev_b32_e32 v201, 25, v164
	v_ashrrev_i32_e32 v199, 31, v199
	v_xor_b32_e32 v38, vcc_lo, v38
	v_cmp_gt_i32_e32 vcc_lo, 0, v200
	v_not_b32_e32 v200, v202
	v_xor_b32_e32 v205, s23, v205
	v_cmp_gt_i32_e64 s23, 0, v202
	v_and_b32_e32 v38, exec_lo, v38
	v_not_b32_e32 v202, v203
	v_ashrrev_i32_e32 v200, 31, v200
	v_xor_b32_e32 v199, vcc_lo, v199
	v_cmp_gt_i32_e32 vcc_lo, 0, v203
	v_and_b32_e32 v38, v38, v205
	v_not_b32_e32 v203, v204
	v_ashrrev_i32_e32 v202, 31, v202
	v_xor_b32_e32 v200, s23, v200
	v_cmp_gt_i32_e64 s23, 0, v204
	v_and_b32_e32 v38, v38, v199
	v_not_b32_e32 v199, v201
	v_ashrrev_i32_e32 v203, 31, v203
	v_xor_b32_e32 v202, vcc_lo, v202
	v_cmp_gt_i32_e32 vcc_lo, 0, v201
	v_and_b32_e32 v38, v38, v200
	v_ashrrev_i32_e32 v199, 31, v199
	v_xor_b32_e32 v200, s23, v203
	v_mad_u32_u24 v201, v164, 36, v131
	v_mul_u32_u24_e32 v164, 36, v164
	v_and_b32_e32 v38, v38, v202
	v_xor_b32_e32 v199, vcc_lo, v199
	v_add_nc_u32_e32 v164, v131, v164
	v_and_b32_e32 v38, v38, v200
	ds_read_b32 v200, v201 offset:544
	; wave barrier
	v_and_b32_e32 v38, v38, v199
	v_mbcnt_lo_u32_b32 v201, v38, 0
	v_cmp_ne_u32_e64 s23, 0, v38
	v_cmp_eq_u32_e32 vcc_lo, 0, v201
	s_and_b32 s24, s23, vcc_lo
	s_and_saveexec_b32 s23, s24
	s_cbranch_execz .LBB1355_756
; %bb.755:                              ;   in Loop: Header=BB1355_694 Depth=2
	s_waitcnt lgkmcnt(0)
	v_bcnt_u32_b32 v38, v38, v200
	ds_write_b32 v164, v38 offset:544
.LBB1355_756:                           ;   in Loop: Header=BB1355_694 Depth=2
	s_or_b32 exec_lo, exec_lo, s23
	v_cmp_gt_i32_e32 vcc_lo, 0, v40
	; wave barrier
	v_cndmask_b32_e64 v38, 0x7fffffff, 0, vcc_lo
	v_xor_b32_e32 v199, v38, v40
	v_cmp_ne_u32_e32 vcc_lo, 0x80000000, v199
	v_cndmask_b32_e32 v38, 0x7fffffff, v199, vcc_lo
	v_lshrrev_b32_e32 v38, s53, v38
	v_and_b32_e32 v40, s61, v38
	v_and_b32_e32 v38, 1, v40
	v_lshlrev_b32_e32 v202, 30, v40
	v_lshlrev_b32_e32 v203, 29, v40
	;; [unrolled: 1-line block ×4, first 2 shown]
	v_add_co_u32 v38, s23, v38, -1
	v_cndmask_b32_e64 v204, 0, 1, s23
	v_not_b32_e32 v208, v202
	v_cmp_gt_i32_e64 s23, 0, v202
	v_not_b32_e32 v202, v203
	v_lshlrev_b32_e32 v207, 26, v40
	v_cmp_ne_u32_e32 vcc_lo, 0, v204
	v_ashrrev_i32_e32 v208, 31, v208
	v_lshlrev_b32_e32 v204, 25, v40
	v_ashrrev_i32_e32 v202, 31, v202
	v_xor_b32_e32 v38, vcc_lo, v38
	v_cmp_gt_i32_e32 vcc_lo, 0, v203
	v_not_b32_e32 v203, v205
	v_xor_b32_e32 v208, s23, v208
	v_cmp_gt_i32_e64 s23, 0, v205
	v_and_b32_e32 v38, exec_lo, v38
	v_not_b32_e32 v205, v206
	v_ashrrev_i32_e32 v203, 31, v203
	v_xor_b32_e32 v202, vcc_lo, v202
	v_cmp_gt_i32_e32 vcc_lo, 0, v206
	v_and_b32_e32 v38, v38, v208
	v_not_b32_e32 v206, v207
	v_ashrrev_i32_e32 v205, 31, v205
	v_xor_b32_e32 v203, s23, v203
	v_cmp_gt_i32_e64 s23, 0, v207
	v_and_b32_e32 v38, v38, v202
	v_not_b32_e32 v202, v204
	v_ashrrev_i32_e32 v206, 31, v206
	v_xor_b32_e32 v205, vcc_lo, v205
	v_cmp_gt_i32_e32 vcc_lo, 0, v204
	v_and_b32_e32 v38, v38, v203
	v_ashrrev_i32_e32 v202, 31, v202
	v_xor_b32_e32 v203, s23, v206
	v_mad_u32_u24 v204, v40, 36, v131
	v_mul_u32_u24_e32 v40, 36, v40
	v_and_b32_e32 v38, v38, v205
	v_xor_b32_e32 v202, vcc_lo, v202
	v_add_nc_u32_e32 v205, v131, v40
	v_and_b32_e32 v38, v38, v203
	ds_read_b32 v203, v204 offset:544
	; wave barrier
	v_and_b32_e32 v38, v38, v202
	v_mbcnt_lo_u32_b32 v204, v38, 0
	v_cmp_ne_u32_e64 s23, 0, v38
	v_cmp_eq_u32_e32 vcc_lo, 0, v204
	s_and_b32 s24, s23, vcc_lo
	s_and_saveexec_b32 s23, s24
	s_cbranch_execz .LBB1355_758
; %bb.757:                              ;   in Loop: Header=BB1355_694 Depth=2
	s_waitcnt lgkmcnt(0)
	v_bcnt_u32_b32 v38, v38, v203
	ds_write_b32 v205, v38 offset:544
.LBB1355_758:                           ;   in Loop: Header=BB1355_694 Depth=2
	s_or_b32 exec_lo, exec_lo, s23
	v_cmp_gt_i32_e32 vcc_lo, 0, v39
	; wave barrier
	v_cndmask_b32_e64 v38, 0x7fffffff, 0, vcc_lo
	v_xor_b32_e32 v202, v38, v39
	v_cmp_ne_u32_e32 vcc_lo, 0x80000000, v202
	v_cndmask_b32_e32 v38, 0x7fffffff, v202, vcc_lo
	v_lshrrev_b32_e32 v38, s53, v38
	v_and_b32_e32 v39, s61, v38
	v_and_b32_e32 v38, 1, v39
	v_lshlrev_b32_e32 v40, 30, v39
	v_lshlrev_b32_e32 v206, 29, v39
	;; [unrolled: 1-line block ×4, first 2 shown]
	v_add_co_u32 v38, s23, v38, -1
	v_cndmask_b32_e64 v207, 0, 1, s23
	v_not_b32_e32 v211, v40
	v_cmp_gt_i32_e64 s23, 0, v40
	v_not_b32_e32 v40, v206
	v_lshlrev_b32_e32 v210, 26, v39
	v_cmp_ne_u32_e32 vcc_lo, 0, v207
	v_ashrrev_i32_e32 v211, 31, v211
	v_lshlrev_b32_e32 v207, 25, v39
	v_ashrrev_i32_e32 v40, 31, v40
	v_xor_b32_e32 v38, vcc_lo, v38
	v_cmp_gt_i32_e32 vcc_lo, 0, v206
	v_not_b32_e32 v206, v208
	v_xor_b32_e32 v211, s23, v211
	v_cmp_gt_i32_e64 s23, 0, v208
	v_and_b32_e32 v38, exec_lo, v38
	v_not_b32_e32 v208, v209
	v_ashrrev_i32_e32 v206, 31, v206
	v_xor_b32_e32 v40, vcc_lo, v40
	v_cmp_gt_i32_e32 vcc_lo, 0, v209
	v_and_b32_e32 v38, v38, v211
	v_not_b32_e32 v209, v210
	v_ashrrev_i32_e32 v208, 31, v208
	v_xor_b32_e32 v206, s23, v206
	v_cmp_gt_i32_e64 s23, 0, v210
	v_and_b32_e32 v38, v38, v40
	v_not_b32_e32 v40, v207
	v_ashrrev_i32_e32 v209, 31, v209
	v_xor_b32_e32 v208, vcc_lo, v208
	v_cmp_gt_i32_e32 vcc_lo, 0, v207
	v_and_b32_e32 v38, v38, v206
	v_ashrrev_i32_e32 v40, 31, v40
	v_xor_b32_e32 v206, s23, v209
	v_mad_u32_u24 v207, v39, 36, v131
	v_mul_u32_u24_e32 v39, 36, v39
	v_and_b32_e32 v38, v38, v208
	v_xor_b32_e32 v40, vcc_lo, v40
	ds_read_b32 v207, v207 offset:544
	v_add_nc_u32_e32 v209, v131, v39
	v_and_b32_e32 v38, v38, v206
	; wave barrier
	v_and_b32_e32 v38, v38, v40
	v_mbcnt_lo_u32_b32 v208, v38, 0
	v_cmp_ne_u32_e64 s23, 0, v38
	v_cmp_eq_u32_e32 vcc_lo, 0, v208
	s_and_b32 s24, s23, vcc_lo
	s_and_saveexec_b32 s23, s24
	s_cbranch_execz .LBB1355_760
; %bb.759:                              ;   in Loop: Header=BB1355_694 Depth=2
	s_waitcnt lgkmcnt(0)
	v_bcnt_u32_b32 v38, v38, v207
	ds_write_b32 v209, v38 offset:544
.LBB1355_760:                           ;   in Loop: Header=BB1355_694 Depth=2
	s_or_b32 exec_lo, exec_lo, s23
	v_cmp_gt_i32_e32 vcc_lo, 0, v37
	; wave barrier
	v_cndmask_b32_e64 v38, 0x7fffffff, 0, vcc_lo
	v_xor_b32_e32 v206, v38, v37
	v_cmp_ne_u32_e32 vcc_lo, 0x80000000, v206
	v_cndmask_b32_e32 v37, 0x7fffffff, v206, vcc_lo
	v_lshrrev_b32_e32 v37, s53, v37
	v_and_b32_e32 v38, s61, v37
	v_and_b32_e32 v37, 1, v38
	v_lshlrev_b32_e32 v39, 30, v38
	v_lshlrev_b32_e32 v40, 29, v38
	;; [unrolled: 1-line block ×4, first 2 shown]
	v_add_co_u32 v37, s23, v37, -1
	v_cndmask_b32_e64 v210, 0, 1, s23
	v_not_b32_e32 v214, v39
	v_cmp_gt_i32_e64 s23, 0, v39
	v_not_b32_e32 v39, v40
	v_lshlrev_b32_e32 v213, 26, v38
	v_cmp_ne_u32_e32 vcc_lo, 0, v210
	v_ashrrev_i32_e32 v214, 31, v214
	v_lshlrev_b32_e32 v210, 25, v38
	v_ashrrev_i32_e32 v39, 31, v39
	v_xor_b32_e32 v37, vcc_lo, v37
	v_cmp_gt_i32_e32 vcc_lo, 0, v40
	v_not_b32_e32 v40, v211
	v_xor_b32_e32 v214, s23, v214
	v_cmp_gt_i32_e64 s23, 0, v211
	v_and_b32_e32 v37, exec_lo, v37
	v_not_b32_e32 v211, v212
	v_ashrrev_i32_e32 v40, 31, v40
	v_xor_b32_e32 v39, vcc_lo, v39
	v_cmp_gt_i32_e32 vcc_lo, 0, v212
	v_and_b32_e32 v37, v37, v214
	v_not_b32_e32 v212, v213
	v_ashrrev_i32_e32 v211, 31, v211
	v_xor_b32_e32 v40, s23, v40
	v_cmp_gt_i32_e64 s23, 0, v213
	v_and_b32_e32 v37, v37, v39
	v_not_b32_e32 v39, v210
	v_ashrrev_i32_e32 v212, 31, v212
	v_xor_b32_e32 v211, vcc_lo, v211
	v_cmp_gt_i32_e32 vcc_lo, 0, v210
	v_and_b32_e32 v37, v37, v40
	v_ashrrev_i32_e32 v39, 31, v39
	v_xor_b32_e32 v40, s23, v212
	v_mad_u32_u24 v210, v38, 36, v131
	v_mul_u32_u24_e32 v38, 36, v38
	v_and_b32_e32 v37, v37, v211
	v_xor_b32_e32 v39, vcc_lo, v39
	ds_read_b32 v210, v210 offset:544
	v_add_nc_u32_e32 v212, v131, v38
	v_and_b32_e32 v37, v37, v40
	; wave barrier
	v_and_b32_e32 v37, v37, v39
	v_mbcnt_lo_u32_b32 v211, v37, 0
	v_cmp_ne_u32_e64 s23, 0, v37
	v_cmp_eq_u32_e32 vcc_lo, 0, v211
	s_and_b32 s24, s23, vcc_lo
	s_and_saveexec_b32 s23, s24
	s_cbranch_execz .LBB1355_762
; %bb.761:                              ;   in Loop: Header=BB1355_694 Depth=2
	s_waitcnt lgkmcnt(0)
	v_bcnt_u32_b32 v37, v37, v210
	ds_write_b32 v212, v37 offset:544
.LBB1355_762:                           ;   in Loop: Header=BB1355_694 Depth=2
	s_or_b32 exec_lo, exec_lo, s23
	; wave barrier
	s_waitcnt lgkmcnt(0)
	s_barrier
	buffer_gl0_inv
	ds_read2_b32 v[39:40], v65 offset0:136 offset1:137
	ds_read2_b32 v[37:38], v65 offset0:138 offset1:139
	ds_read_b32 v213, v65 offset:560
	s_waitcnt lgkmcnt(1)
	v_add3_u32 v214, v40, v39, v37
	s_waitcnt lgkmcnt(0)
	v_add3_u32 v213, v214, v38, v213
	v_mov_b32_dpp v214, v213 row_shr:1 row_mask:0xf bank_mask:0xf
	v_cndmask_b32_e64 v214, v214, 0, s5
	v_add_nc_u32_e32 v213, v214, v213
	v_mov_b32_dpp v214, v213 row_shr:2 row_mask:0xf bank_mask:0xf
	v_cndmask_b32_e64 v214, 0, v214, s16
	v_add_nc_u32_e32 v213, v213, v214
	;; [unrolled: 3-line block ×4, first 2 shown]
	ds_swizzle_b32 v214, v213 offset:swizzle(BROADCAST,32,15)
	s_waitcnt lgkmcnt(0)
	v_cndmask_b32_e64 v214, v214, 0, s19
	v_add_nc_u32_e32 v213, v213, v214
	s_and_saveexec_b32 s23, s4
; %bb.763:                              ;   in Loop: Header=BB1355_694 Depth=2
	ds_write_b32 v60, v213 offset:512
; %bb.764:                              ;   in Loop: Header=BB1355_694 Depth=2
	s_or_b32 exec_lo, exec_lo, s23
	s_waitcnt lgkmcnt(0)
	s_barrier
	buffer_gl0_inv
	s_and_saveexec_b32 s23, s12
	s_cbranch_execz .LBB1355_766
; %bb.765:                              ;   in Loop: Header=BB1355_694 Depth=2
	ds_read_b32 v214, v66 offset:512
	s_waitcnt lgkmcnt(0)
	v_mov_b32_dpp v215, v214 row_shr:1 row_mask:0xf bank_mask:0xf
	v_cndmask_b32_e64 v215, v215, 0, s20
	v_add_nc_u32_e32 v214, v215, v214
	v_mov_b32_dpp v215, v214 row_shr:2 row_mask:0xf bank_mask:0xf
	v_cndmask_b32_e64 v215, 0, v215, s21
	v_add_nc_u32_e32 v214, v214, v215
	;; [unrolled: 3-line block ×3, first 2 shown]
	ds_write_b32 v66, v214 offset:512
.LBB1355_766:                           ;   in Loop: Header=BB1355_694 Depth=2
	s_or_b32 exec_lo, exec_lo, s23
	v_mov_b32_e32 v214, 0
	s_waitcnt lgkmcnt(0)
	s_barrier
	buffer_gl0_inv
	s_and_saveexec_b32 s23, s11
; %bb.767:                              ;   in Loop: Header=BB1355_694 Depth=2
	ds_read_b32 v214, v60 offset:508
; %bb.768:                              ;   in Loop: Header=BB1355_694 Depth=2
	s_or_b32 exec_lo, exec_lo, s23
	s_waitcnt lgkmcnt(0)
	v_add_nc_u32_e32 v213, v214, v213
	ds_bpermute_b32 v213, v126, v213
	s_waitcnt lgkmcnt(0)
	v_cndmask_b32_e64 v213, v213, v214, s15
	v_cndmask_b32_e64 v213, v213, 0, s13
	v_add_nc_u32_e32 v39, v213, v39
	v_add_nc_u32_e32 v40, v39, v40
	;; [unrolled: 1-line block ×4, first 2 shown]
	ds_write2_b32 v65, v213, v39 offset0:136 offset1:137
	ds_write2_b32 v65, v40, v37 offset0:138 offset1:139
	ds_write_b32 v65, v38 offset:560
	s_waitcnt lgkmcnt(0)
	s_barrier
	buffer_gl0_inv
	ds_read_b32 v39, v153 offset:544
	ds_read_b32 v40, v157 offset:544
	;; [unrolled: 1-line block ×16, first 2 shown]
	s_and_saveexec_b32 s23, s8
	s_cbranch_execz .LBB1355_772
; %bb.769:                              ;   in Loop: Header=BB1355_694 Depth=2
	ds_read_b32 v144, v68 offset:544
	v_mov_b32_e32 v149, 0x1000
	s_and_saveexec_b32 s24, s14
; %bb.770:                              ;   in Loop: Header=BB1355_694 Depth=2
	ds_read_b32 v149, v67 offset:544
; %bb.771:                              ;   in Loop: Header=BB1355_694 Depth=2
	s_or_b32 exec_lo, exec_lo, s24
	s_waitcnt lgkmcnt(0)
	v_sub_nc_u32_e32 v149, v149, v144
.LBB1355_772:                           ;   in Loop: Header=BB1355_694 Depth=2
	s_or_b32 exec_lo, exec_lo, s23
	s_waitcnt lgkmcnt(0)
	s_barrier
	buffer_gl0_inv
	s_and_saveexec_b32 s23, s8
	s_cbranch_execz .LBB1355_774
; %bb.773:                              ;   in Loop: Header=BB1355_694 Depth=2
	ds_read_b32 v164, v41
	s_waitcnt lgkmcnt(0)
	v_sub_nc_u32_e32 v164, v164, v144
	ds_write_b32 v41, v164
.LBB1355_774:                           ;   in Loop: Header=BB1355_694 Depth=2
	s_or_b32 exec_lo, exec_lo, s23
	v_add_nc_u32_e32 v171, v39, v152
	v_add3_u32 v167, v156, v155, v40
	v_add3_u32 v166, v160, v159, v153
	;; [unrolled: 1-line block ×5, first 2 shown]
	v_lshlrev_b32_e32 v169, 2, v171
	v_add3_u32 v155, v204, v203, v37
	v_lshlrev_b32_e32 v37, 2, v167
	v_add3_u32 v161, v180, v179, v182
	v_add3_u32 v160, v184, v183, v185
	ds_write_b32 v169, v3 offset:512
	v_lshlrev_b32_e32 v3, 2, v166
	ds_write_b32 v37, v151 offset:512
	v_lshlrev_b32_e32 v37, 2, v163
	v_add3_u32 v159, v187, v186, v188
	v_add3_u32 v153, v208, v207, v38
	v_lshlrev_b32_e32 v38, 2, v165
	v_add3_u32 v157, v190, v189, v191
	v_lshlrev_b32_e32 v169, 2, v164
	v_add3_u32 v156, v194, v193, v195
	v_add3_u32 v40, v198, v197, v214
	ds_write_b32 v3, v154 offset:512
	ds_write_b32 v38, v158 offset:512
	;; [unrolled: 1-line block ×3, first 2 shown]
	v_lshlrev_b32_e32 v3, 2, v161
	ds_write_b32 v37, v168 offset:512
	v_lshlrev_b32_e32 v37, 2, v160
	v_lshlrev_b32_e32 v38, 2, v159
	;; [unrolled: 1-line block ×3, first 2 shown]
	v_add3_u32 v39, v201, v200, v215
	v_add3_u32 v152, v211, v210, v177
	ds_write_b32 v3, v173 offset:512
	v_lshlrev_b32_e32 v3, 2, v156
	ds_write_b32 v37, v178 offset:512
	ds_write_b32 v38, v181 offset:512
	;; [unrolled: 1-line block ×3, first 2 shown]
	v_lshlrev_b32_e32 v37, 2, v40
	v_cmp_lt_u32_e32 vcc_lo, v0, v150
	v_lshlrev_b32_e32 v38, 2, v155
	ds_write_b32 v3, v172 offset:512
	v_lshlrev_b32_e32 v3, 2, v39
	ds_write_b32 v37, v192 offset:512
	v_lshlrev_b32_e32 v37, 2, v152
	v_lshlrev_b32_e32 v151, 2, v153
	ds_write_b32 v3, v196 offset:512
	ds_write_b32 v38, v199 offset:512
	;; [unrolled: 1-line block ×4, first 2 shown]
	s_waitcnt lgkmcnt(0)
	s_barrier
	buffer_gl0_inv
	s_and_saveexec_b32 s24, vcc_lo
	s_cbranch_execnz .LBB1355_843
; %bb.775:                              ;   in Loop: Header=BB1355_694 Depth=2
	s_or_b32 exec_lo, exec_lo, s24
	v_cmp_lt_u32_e64 s23, v42, v150
	s_and_saveexec_b32 s25, s23
	s_cbranch_execnz .LBB1355_844
.LBB1355_776:                           ;   in Loop: Header=BB1355_694 Depth=2
	s_or_b32 exec_lo, exec_lo, s25
	v_cmp_lt_u32_e64 s24, v45, v150
	s_and_saveexec_b32 s26, s24
	s_cbranch_execnz .LBB1355_845
.LBB1355_777:                           ;   in Loop: Header=BB1355_694 Depth=2
	s_or_b32 exec_lo, exec_lo, s26
	v_cmp_lt_u32_e64 s25, v46, v150
	s_and_saveexec_b32 s27, s25
	s_cbranch_execnz .LBB1355_846
.LBB1355_778:                           ;   in Loop: Header=BB1355_694 Depth=2
	s_or_b32 exec_lo, exec_lo, s27
	v_cmp_lt_u32_e64 s26, v47, v150
	s_and_saveexec_b32 s28, s26
	s_cbranch_execnz .LBB1355_847
.LBB1355_779:                           ;   in Loop: Header=BB1355_694 Depth=2
	s_or_b32 exec_lo, exec_lo, s28
	v_cmp_lt_u32_e64 s27, v48, v150
	s_and_saveexec_b32 s29, s27
	s_cbranch_execnz .LBB1355_848
.LBB1355_780:                           ;   in Loop: Header=BB1355_694 Depth=2
	s_or_b32 exec_lo, exec_lo, s29
	v_cmp_lt_u32_e64 s28, v49, v150
	s_and_saveexec_b32 s30, s28
	s_cbranch_execnz .LBB1355_849
.LBB1355_781:                           ;   in Loop: Header=BB1355_694 Depth=2
	s_or_b32 exec_lo, exec_lo, s30
	v_cmp_lt_u32_e64 s29, v50, v150
	s_and_saveexec_b32 s31, s29
	s_cbranch_execnz .LBB1355_850
.LBB1355_782:                           ;   in Loop: Header=BB1355_694 Depth=2
	s_or_b32 exec_lo, exec_lo, s31
	v_cmp_lt_u32_e64 s30, v51, v150
	s_and_saveexec_b32 s33, s30
	s_cbranch_execnz .LBB1355_851
.LBB1355_783:                           ;   in Loop: Header=BB1355_694 Depth=2
	s_or_b32 exec_lo, exec_lo, s33
	v_cmp_lt_u32_e64 s31, v52, v150
	s_and_saveexec_b32 s34, s31
	s_cbranch_execnz .LBB1355_852
.LBB1355_784:                           ;   in Loop: Header=BB1355_694 Depth=2
	s_or_b32 exec_lo, exec_lo, s34
	v_cmp_lt_u32_e64 s33, v53, v150
	s_and_saveexec_b32 s35, s33
	s_cbranch_execnz .LBB1355_853
.LBB1355_785:                           ;   in Loop: Header=BB1355_694 Depth=2
	s_or_b32 exec_lo, exec_lo, s35
	v_cmp_lt_u32_e64 s34, v54, v150
	s_and_saveexec_b32 s36, s34
	s_cbranch_execnz .LBB1355_854
.LBB1355_786:                           ;   in Loop: Header=BB1355_694 Depth=2
	s_or_b32 exec_lo, exec_lo, s36
	v_cmp_lt_u32_e64 s35, v55, v150
	s_and_saveexec_b32 s37, s35
	s_cbranch_execnz .LBB1355_855
.LBB1355_787:                           ;   in Loop: Header=BB1355_694 Depth=2
	s_or_b32 exec_lo, exec_lo, s37
	v_cmp_lt_u32_e64 s36, v56, v150
	s_and_saveexec_b32 s38, s36
	s_cbranch_execnz .LBB1355_856
.LBB1355_788:                           ;   in Loop: Header=BB1355_694 Depth=2
	s_or_b32 exec_lo, exec_lo, s38
	v_cmp_lt_u32_e64 s37, v57, v150
	s_and_saveexec_b32 s39, s37
	s_cbranch_execnz .LBB1355_857
.LBB1355_789:                           ;   in Loop: Header=BB1355_694 Depth=2
	s_or_b32 exec_lo, exec_lo, s39
	v_cmp_lt_u32_e64 s38, v58, v150
	s_and_saveexec_b32 s64, s38
	s_cbranch_execz .LBB1355_791
.LBB1355_790:                           ;   in Loop: Header=BB1355_694 Depth=2
	ds_read_b32 v151, v66 offset:15872
	s_waitcnt lgkmcnt(0)
	v_cmp_ne_u32_e64 s39, 0x80000000, v151
	v_cndmask_b32_e64 v3, 0x7fffffff, v151, s39
	v_cmp_gt_i32_e64 s39, 0, v151
	v_lshrrev_b32_e32 v3, s53, v3
	v_cndmask_b32_e64 v154, 0x7fffffff, 0, s39
	v_and_b32_e32 v3, s61, v3
	v_lshlrev_b32_e32 v3, 2, v3
	ds_read_b32 v3, v3
	s_waitcnt lgkmcnt(0)
	v_add_nc_u32_e32 v3, v3, v58
	v_lshlrev_b64 v[37:38], 2, v[3:4]
	v_xor_b32_e32 v3, v154, v151
	v_add_co_u32 v37, s39, s42, v37
	v_add_co_ci_u32_e64 v38, null, s43, v38, s39
	global_store_dword v[37:38], v3, off
.LBB1355_791:                           ;   in Loop: Header=BB1355_694 Depth=2
	s_or_b32 exec_lo, exec_lo, s64
	s_lshl_b64 s[64:65], s[46:47], 3
	v_add_co_u32 v37, s39, v127, s64
	v_add_co_ci_u32_e64 v38, null, s65, v128, s39
	v_cmp_lt_u32_e64 s39, v105, v150
	s_and_saveexec_b32 s46, s39
	s_xor_b32 s39, exec_lo, s46
	s_cbranch_execnz .LBB1355_858
; %bb.792:                              ;   in Loop: Header=BB1355_694 Depth=2
	s_or_b32 exec_lo, exec_lo, s39
	s_mov_b32 s46, exec_lo
	v_cmpx_lt_u32_e64 v108, v150
	s_cbranch_execnz .LBB1355_859
.LBB1355_793:                           ;   in Loop: Header=BB1355_694 Depth=2
	s_or_b32 exec_lo, exec_lo, s46
	s_mov_b32 s46, exec_lo
	v_cmpx_lt_u32_e64 v109, v150
	s_cbranch_execnz .LBB1355_860
.LBB1355_794:                           ;   in Loop: Header=BB1355_694 Depth=2
	s_or_b32 exec_lo, exec_lo, s46
	s_mov_b32 s46, exec_lo
	v_cmpx_lt_u32_e64 v110, v150
	s_cbranch_execnz .LBB1355_861
.LBB1355_795:                           ;   in Loop: Header=BB1355_694 Depth=2
	s_or_b32 exec_lo, exec_lo, s46
	s_mov_b32 s46, exec_lo
	v_cmpx_lt_u32_e64 v111, v150
	s_cbranch_execnz .LBB1355_862
.LBB1355_796:                           ;   in Loop: Header=BB1355_694 Depth=2
	s_or_b32 exec_lo, exec_lo, s46
	s_mov_b32 s46, exec_lo
	v_cmpx_lt_u32_e64 v112, v150
	s_cbranch_execnz .LBB1355_863
.LBB1355_797:                           ;   in Loop: Header=BB1355_694 Depth=2
	s_or_b32 exec_lo, exec_lo, s46
	s_mov_b32 s46, exec_lo
	v_cmpx_lt_u32_e64 v113, v150
	s_cbranch_execnz .LBB1355_864
.LBB1355_798:                           ;   in Loop: Header=BB1355_694 Depth=2
	s_or_b32 exec_lo, exec_lo, s46
	s_mov_b32 s46, exec_lo
	v_cmpx_lt_u32_e64 v114, v150
	s_cbranch_execnz .LBB1355_865
.LBB1355_799:                           ;   in Loop: Header=BB1355_694 Depth=2
	s_or_b32 exec_lo, exec_lo, s46
	s_mov_b32 s46, exec_lo
	v_cmpx_lt_u32_e64 v115, v150
	s_cbranch_execnz .LBB1355_866
.LBB1355_800:                           ;   in Loop: Header=BB1355_694 Depth=2
	s_or_b32 exec_lo, exec_lo, s46
	s_mov_b32 s46, exec_lo
	v_cmpx_lt_u32_e64 v116, v150
	s_cbranch_execnz .LBB1355_867
.LBB1355_801:                           ;   in Loop: Header=BB1355_694 Depth=2
	s_or_b32 exec_lo, exec_lo, s46
	s_mov_b32 s46, exec_lo
	v_cmpx_lt_u32_e64 v117, v150
	s_cbranch_execnz .LBB1355_868
.LBB1355_802:                           ;   in Loop: Header=BB1355_694 Depth=2
	s_or_b32 exec_lo, exec_lo, s46
	s_mov_b32 s46, exec_lo
	v_cmpx_lt_u32_e64 v118, v150
	s_cbranch_execnz .LBB1355_869
.LBB1355_803:                           ;   in Loop: Header=BB1355_694 Depth=2
	s_or_b32 exec_lo, exec_lo, s46
	s_mov_b32 s46, exec_lo
	v_cmpx_lt_u32_e64 v119, v150
	s_cbranch_execnz .LBB1355_870
.LBB1355_804:                           ;   in Loop: Header=BB1355_694 Depth=2
	s_or_b32 exec_lo, exec_lo, s46
	s_mov_b32 s46, exec_lo
	v_cmpx_lt_u32_e64 v121, v150
	s_cbranch_execnz .LBB1355_871
.LBB1355_805:                           ;   in Loop: Header=BB1355_694 Depth=2
	s_or_b32 exec_lo, exec_lo, s46
	s_mov_b32 s46, exec_lo
	v_cmpx_lt_u32_e64 v122, v150
	s_cbranch_execnz .LBB1355_872
.LBB1355_806:                           ;   in Loop: Header=BB1355_694 Depth=2
	s_or_b32 exec_lo, exec_lo, s46
	s_mov_b32 s46, exec_lo
	v_cmpx_lt_u32_e64 v123, v150
	s_cbranch_execnz .LBB1355_873
.LBB1355_807:                           ;   in Loop: Header=BB1355_694 Depth=2
	s_or_b32 exec_lo, exec_lo, s46
	s_and_saveexec_b32 s46, vcc_lo
	s_cbranch_execnz .LBB1355_874
.LBB1355_808:                           ;   in Loop: Header=BB1355_694 Depth=2
	s_or_b32 exec_lo, exec_lo, s46
	s_and_saveexec_b32 s46, s23
	s_cbranch_execnz .LBB1355_875
.LBB1355_809:                           ;   in Loop: Header=BB1355_694 Depth=2
	s_or_b32 exec_lo, exec_lo, s46
	s_and_saveexec_b32 s46, s24
	s_cbranch_execnz .LBB1355_876
.LBB1355_810:                           ;   in Loop: Header=BB1355_694 Depth=2
	s_or_b32 exec_lo, exec_lo, s46
	s_and_saveexec_b32 s46, s25
	s_cbranch_execnz .LBB1355_877
.LBB1355_811:                           ;   in Loop: Header=BB1355_694 Depth=2
	s_or_b32 exec_lo, exec_lo, s46
	s_and_saveexec_b32 s46, s26
	s_cbranch_execnz .LBB1355_878
.LBB1355_812:                           ;   in Loop: Header=BB1355_694 Depth=2
	s_or_b32 exec_lo, exec_lo, s46
	s_and_saveexec_b32 s46, s27
	s_cbranch_execnz .LBB1355_879
.LBB1355_813:                           ;   in Loop: Header=BB1355_694 Depth=2
	s_or_b32 exec_lo, exec_lo, s46
	s_and_saveexec_b32 s46, s28
	s_cbranch_execnz .LBB1355_880
.LBB1355_814:                           ;   in Loop: Header=BB1355_694 Depth=2
	s_or_b32 exec_lo, exec_lo, s46
	s_and_saveexec_b32 s46, s29
	s_cbranch_execnz .LBB1355_881
.LBB1355_815:                           ;   in Loop: Header=BB1355_694 Depth=2
	s_or_b32 exec_lo, exec_lo, s46
	s_and_saveexec_b32 s46, s30
	s_cbranch_execnz .LBB1355_882
.LBB1355_816:                           ;   in Loop: Header=BB1355_694 Depth=2
	s_or_b32 exec_lo, exec_lo, s46
	s_and_saveexec_b32 s46, s31
	s_cbranch_execnz .LBB1355_883
.LBB1355_817:                           ;   in Loop: Header=BB1355_694 Depth=2
	s_or_b32 exec_lo, exec_lo, s46
	s_and_saveexec_b32 s46, s33
	s_cbranch_execnz .LBB1355_884
.LBB1355_818:                           ;   in Loop: Header=BB1355_694 Depth=2
	s_or_b32 exec_lo, exec_lo, s46
	s_and_saveexec_b32 s46, s34
	s_cbranch_execnz .LBB1355_885
.LBB1355_819:                           ;   in Loop: Header=BB1355_694 Depth=2
	s_or_b32 exec_lo, exec_lo, s46
	s_and_saveexec_b32 s46, s35
	s_cbranch_execnz .LBB1355_886
.LBB1355_820:                           ;   in Loop: Header=BB1355_694 Depth=2
	s_or_b32 exec_lo, exec_lo, s46
	s_and_saveexec_b32 s46, s36
	s_cbranch_execnz .LBB1355_887
.LBB1355_821:                           ;   in Loop: Header=BB1355_694 Depth=2
	s_or_b32 exec_lo, exec_lo, s46
	s_and_saveexec_b32 s46, s37
	s_cbranch_execnz .LBB1355_888
.LBB1355_822:                           ;   in Loop: Header=BB1355_694 Depth=2
	s_or_b32 exec_lo, exec_lo, s46
	s_and_saveexec_b32 s46, s38
	s_cbranch_execz .LBB1355_824
.LBB1355_823:                           ;   in Loop: Header=BB1355_694 Depth=2
	ds_read_b32 v3, v66 offset:15872
	s_waitcnt lgkmcnt(0)
	v_cmp_ne_u32_e64 s39, 0x80000000, v3
	v_cndmask_b32_e64 v3, 0x7fffffff, v3, s39
	v_lshrrev_b32_e32 v3, s53, v3
	v_and_b32_e32 v132, s61, v3
.LBB1355_824:                           ;   in Loop: Header=BB1355_694 Depth=2
	s_or_b32 exec_lo, exec_lo, s46
	v_lshlrev_b32_e32 v3, 3, v171
	v_lshlrev_b32_e32 v37, 3, v167
	s_waitcnt vmcnt(0)
	s_waitcnt_vscnt null, 0x0
	s_barrier
	buffer_gl0_inv
	ds_write_b64 v3, v[35:36] offset:512
	v_lshlrev_b32_e32 v3, 3, v166
	v_lshlrev_b32_e32 v38, 3, v165
	;; [unrolled: 1-line block ×4, first 2 shown]
	ds_write_b64 v37, v[33:34] offset:512
	ds_write_b64 v3, v[31:32] offset:512
	ds_write_b64 v38, v[29:30] offset:512
	ds_write_b64 v150, v[27:28] offset:512
	ds_write_b64 v151, v[23:24] offset:512
	v_lshlrev_b32_e32 v3, 3, v161
	v_lshlrev_b32_e32 v37, 3, v160
	;; [unrolled: 1-line block ×5, first 2 shown]
	ds_write_b64 v3, v[19:20] offset:512
	ds_write_b64 v37, v[15:16] offset:512
	;; [unrolled: 1-line block ×5, first 2 shown]
	v_lshlrev_b32_e32 v3, 3, v40
	v_lshlrev_b32_e32 v37, 3, v39
	v_lshlrev_b32_e32 v38, 3, v155
	v_lshlrev_b32_e32 v39, 3, v153
	v_lshlrev_b32_e32 v40, 3, v152
	ds_write_b64 v3, v[13:14] offset:512
	ds_write_b64 v37, v[11:12] offset:512
	;; [unrolled: 1-line block ×5, first 2 shown]
	s_waitcnt lgkmcnt(0)
	s_barrier
	buffer_gl0_inv
	s_and_saveexec_b32 s39, vcc_lo
	s_cbranch_execnz .LBB1355_889
; %bb.825:                              ;   in Loop: Header=BB1355_694 Depth=2
	s_or_b32 exec_lo, exec_lo, s39
	s_and_saveexec_b32 s39, s23
	s_cbranch_execnz .LBB1355_890
.LBB1355_826:                           ;   in Loop: Header=BB1355_694 Depth=2
	s_or_b32 exec_lo, exec_lo, s39
	s_and_saveexec_b32 s23, s24
	s_cbranch_execnz .LBB1355_891
.LBB1355_827:                           ;   in Loop: Header=BB1355_694 Depth=2
	s_or_b32 exec_lo, exec_lo, s23
	s_and_saveexec_b32 s23, s25
	s_cbranch_execnz .LBB1355_892
.LBB1355_828:                           ;   in Loop: Header=BB1355_694 Depth=2
	s_or_b32 exec_lo, exec_lo, s23
	s_and_saveexec_b32 s23, s26
	s_cbranch_execnz .LBB1355_893
.LBB1355_829:                           ;   in Loop: Header=BB1355_694 Depth=2
	s_or_b32 exec_lo, exec_lo, s23
	s_and_saveexec_b32 s23, s27
	s_cbranch_execnz .LBB1355_894
.LBB1355_830:                           ;   in Loop: Header=BB1355_694 Depth=2
	s_or_b32 exec_lo, exec_lo, s23
	s_and_saveexec_b32 s23, s28
	s_cbranch_execnz .LBB1355_895
.LBB1355_831:                           ;   in Loop: Header=BB1355_694 Depth=2
	s_or_b32 exec_lo, exec_lo, s23
	s_and_saveexec_b32 s23, s29
	s_cbranch_execnz .LBB1355_896
.LBB1355_832:                           ;   in Loop: Header=BB1355_694 Depth=2
	s_or_b32 exec_lo, exec_lo, s23
	s_and_saveexec_b32 s23, s30
	s_cbranch_execnz .LBB1355_897
.LBB1355_833:                           ;   in Loop: Header=BB1355_694 Depth=2
	s_or_b32 exec_lo, exec_lo, s23
	s_and_saveexec_b32 s23, s31
	s_cbranch_execnz .LBB1355_898
.LBB1355_834:                           ;   in Loop: Header=BB1355_694 Depth=2
	s_or_b32 exec_lo, exec_lo, s23
	s_and_saveexec_b32 s23, s33
	s_cbranch_execnz .LBB1355_899
.LBB1355_835:                           ;   in Loop: Header=BB1355_694 Depth=2
	s_or_b32 exec_lo, exec_lo, s23
	s_and_saveexec_b32 s23, s34
	s_cbranch_execnz .LBB1355_900
.LBB1355_836:                           ;   in Loop: Header=BB1355_694 Depth=2
	s_or_b32 exec_lo, exec_lo, s23
	s_and_saveexec_b32 s23, s35
	s_cbranch_execnz .LBB1355_901
.LBB1355_837:                           ;   in Loop: Header=BB1355_694 Depth=2
	s_or_b32 exec_lo, exec_lo, s23
	s_and_saveexec_b32 s23, s36
	s_cbranch_execnz .LBB1355_902
.LBB1355_838:                           ;   in Loop: Header=BB1355_694 Depth=2
	s_or_b32 exec_lo, exec_lo, s23
	s_and_saveexec_b32 s23, s37
	s_cbranch_execnz .LBB1355_903
.LBB1355_839:                           ;   in Loop: Header=BB1355_694 Depth=2
	s_or_b32 exec_lo, exec_lo, s23
	s_and_saveexec_b32 s23, s38
	s_cbranch_execz .LBB1355_841
.LBB1355_840:                           ;   in Loop: Header=BB1355_694 Depth=2
	v_lshlrev_b32_e32 v3, 2, v132
	v_add_nc_u32_e32 v37, v66, v41
	ds_read_b32 v3, v3
	ds_read_b64 v[37:38], v37 offset:31232
	s_waitcnt lgkmcnt(1)
	v_add_nc_u32_e32 v3, v3, v58
	v_lshlrev_b64 v[39:40], 3, v[3:4]
	v_add_co_u32 v39, vcc_lo, s48, v39
	v_add_co_ci_u32_e64 v40, null, s49, v40, vcc_lo
	s_waitcnt lgkmcnt(0)
	global_store_dwordx2 v[39:40], v[37:38], off
.LBB1355_841:                           ;   in Loop: Header=BB1355_694 Depth=2
	s_or_b32 exec_lo, exec_lo, s23
	s_waitcnt_vscnt null, 0x0
	s_barrier
	buffer_gl0_inv
	s_and_saveexec_b32 s23, s8
	s_cbranch_execz .LBB1355_693
; %bb.842:                              ;   in Loop: Header=BB1355_694 Depth=2
	ds_read_b32 v3, v41
	s_waitcnt lgkmcnt(0)
	v_add3_u32 v3, v144, v149, v3
	ds_write_b32 v41, v3
	s_branch .LBB1355_693
.LBB1355_843:                           ;   in Loop: Header=BB1355_694 Depth=2
	ds_read_b32 v151, v66 offset:512
	s_waitcnt lgkmcnt(0)
	v_cmp_ne_u32_e64 s23, 0x80000000, v151
	v_cndmask_b32_e64 v3, 0x7fffffff, v151, s23
	v_cmp_gt_i32_e64 s23, 0, v151
	v_lshrrev_b32_e32 v3, s53, v3
	v_cndmask_b32_e64 v154, 0x7fffffff, 0, s23
	v_and_b32_e32 v3, s61, v3
	v_lshlrev_b32_e32 v3, 2, v3
	ds_read_b32 v3, v3
	s_waitcnt lgkmcnt(0)
	v_add_nc_u32_e32 v3, v3, v0
	v_lshlrev_b64 v[37:38], 2, v[3:4]
	v_xor_b32_e32 v3, v154, v151
	v_add_co_u32 v37, s23, s42, v37
	v_add_co_ci_u32_e64 v38, null, s43, v38, s23
	global_store_dword v[37:38], v3, off
	s_or_b32 exec_lo, exec_lo, s24
	v_cmp_lt_u32_e64 s23, v42, v150
	s_and_saveexec_b32 s25, s23
	s_cbranch_execz .LBB1355_776
.LBB1355_844:                           ;   in Loop: Header=BB1355_694 Depth=2
	ds_read_b32 v151, v66 offset:1536
	s_waitcnt lgkmcnt(0)
	v_cmp_ne_u32_e64 s24, 0x80000000, v151
	v_cndmask_b32_e64 v3, 0x7fffffff, v151, s24
	v_cmp_gt_i32_e64 s24, 0, v151
	v_lshrrev_b32_e32 v3, s53, v3
	v_cndmask_b32_e64 v154, 0x7fffffff, 0, s24
	v_and_b32_e32 v3, s61, v3
	v_lshlrev_b32_e32 v3, 2, v3
	ds_read_b32 v3, v3
	s_waitcnt lgkmcnt(0)
	v_add_nc_u32_e32 v3, v3, v42
	v_lshlrev_b64 v[37:38], 2, v[3:4]
	v_xor_b32_e32 v3, v154, v151
	v_add_co_u32 v37, s24, s42, v37
	v_add_co_ci_u32_e64 v38, null, s43, v38, s24
	global_store_dword v[37:38], v3, off
	s_or_b32 exec_lo, exec_lo, s25
	v_cmp_lt_u32_e64 s24, v45, v150
	s_and_saveexec_b32 s26, s24
	s_cbranch_execz .LBB1355_777
.LBB1355_845:                           ;   in Loop: Header=BB1355_694 Depth=2
	ds_read_b32 v151, v66 offset:2560
	s_waitcnt lgkmcnt(0)
	v_cmp_ne_u32_e64 s25, 0x80000000, v151
	v_cndmask_b32_e64 v3, 0x7fffffff, v151, s25
	v_cmp_gt_i32_e64 s25, 0, v151
	v_lshrrev_b32_e32 v3, s53, v3
	v_cndmask_b32_e64 v154, 0x7fffffff, 0, s25
	v_and_b32_e32 v3, s61, v3
	v_lshlrev_b32_e32 v3, 2, v3
	ds_read_b32 v3, v3
	s_waitcnt lgkmcnt(0)
	v_add_nc_u32_e32 v3, v3, v45
	v_lshlrev_b64 v[37:38], 2, v[3:4]
	v_xor_b32_e32 v3, v154, v151
	v_add_co_u32 v37, s25, s42, v37
	v_add_co_ci_u32_e64 v38, null, s43, v38, s25
	global_store_dword v[37:38], v3, off
	s_or_b32 exec_lo, exec_lo, s26
	v_cmp_lt_u32_e64 s25, v46, v150
	s_and_saveexec_b32 s27, s25
	s_cbranch_execz .LBB1355_778
.LBB1355_846:                           ;   in Loop: Header=BB1355_694 Depth=2
	ds_read_b32 v151, v66 offset:3584
	s_waitcnt lgkmcnt(0)
	v_cmp_ne_u32_e64 s26, 0x80000000, v151
	v_cndmask_b32_e64 v3, 0x7fffffff, v151, s26
	v_cmp_gt_i32_e64 s26, 0, v151
	v_lshrrev_b32_e32 v3, s53, v3
	v_cndmask_b32_e64 v154, 0x7fffffff, 0, s26
	v_and_b32_e32 v3, s61, v3
	v_lshlrev_b32_e32 v3, 2, v3
	ds_read_b32 v3, v3
	s_waitcnt lgkmcnt(0)
	v_add_nc_u32_e32 v3, v3, v46
	v_lshlrev_b64 v[37:38], 2, v[3:4]
	v_xor_b32_e32 v3, v154, v151
	v_add_co_u32 v37, s26, s42, v37
	v_add_co_ci_u32_e64 v38, null, s43, v38, s26
	global_store_dword v[37:38], v3, off
	s_or_b32 exec_lo, exec_lo, s27
	v_cmp_lt_u32_e64 s26, v47, v150
	s_and_saveexec_b32 s28, s26
	s_cbranch_execz .LBB1355_779
.LBB1355_847:                           ;   in Loop: Header=BB1355_694 Depth=2
	ds_read_b32 v151, v66 offset:4608
	s_waitcnt lgkmcnt(0)
	v_cmp_ne_u32_e64 s27, 0x80000000, v151
	v_cndmask_b32_e64 v3, 0x7fffffff, v151, s27
	v_cmp_gt_i32_e64 s27, 0, v151
	v_lshrrev_b32_e32 v3, s53, v3
	v_cndmask_b32_e64 v154, 0x7fffffff, 0, s27
	v_and_b32_e32 v3, s61, v3
	v_lshlrev_b32_e32 v3, 2, v3
	ds_read_b32 v3, v3
	s_waitcnt lgkmcnt(0)
	v_add_nc_u32_e32 v3, v3, v47
	v_lshlrev_b64 v[37:38], 2, v[3:4]
	v_xor_b32_e32 v3, v154, v151
	v_add_co_u32 v37, s27, s42, v37
	v_add_co_ci_u32_e64 v38, null, s43, v38, s27
	global_store_dword v[37:38], v3, off
	s_or_b32 exec_lo, exec_lo, s28
	v_cmp_lt_u32_e64 s27, v48, v150
	s_and_saveexec_b32 s29, s27
	s_cbranch_execz .LBB1355_780
.LBB1355_848:                           ;   in Loop: Header=BB1355_694 Depth=2
	ds_read_b32 v151, v66 offset:5632
	s_waitcnt lgkmcnt(0)
	v_cmp_ne_u32_e64 s28, 0x80000000, v151
	v_cndmask_b32_e64 v3, 0x7fffffff, v151, s28
	v_cmp_gt_i32_e64 s28, 0, v151
	v_lshrrev_b32_e32 v3, s53, v3
	v_cndmask_b32_e64 v154, 0x7fffffff, 0, s28
	v_and_b32_e32 v3, s61, v3
	v_lshlrev_b32_e32 v3, 2, v3
	ds_read_b32 v3, v3
	s_waitcnt lgkmcnt(0)
	v_add_nc_u32_e32 v3, v3, v48
	v_lshlrev_b64 v[37:38], 2, v[3:4]
	v_xor_b32_e32 v3, v154, v151
	v_add_co_u32 v37, s28, s42, v37
	v_add_co_ci_u32_e64 v38, null, s43, v38, s28
	global_store_dword v[37:38], v3, off
	s_or_b32 exec_lo, exec_lo, s29
	v_cmp_lt_u32_e64 s28, v49, v150
	s_and_saveexec_b32 s30, s28
	s_cbranch_execz .LBB1355_781
.LBB1355_849:                           ;   in Loop: Header=BB1355_694 Depth=2
	ds_read_b32 v151, v66 offset:6656
	s_waitcnt lgkmcnt(0)
	v_cmp_ne_u32_e64 s29, 0x80000000, v151
	v_cndmask_b32_e64 v3, 0x7fffffff, v151, s29
	v_cmp_gt_i32_e64 s29, 0, v151
	v_lshrrev_b32_e32 v3, s53, v3
	v_cndmask_b32_e64 v154, 0x7fffffff, 0, s29
	v_and_b32_e32 v3, s61, v3
	v_lshlrev_b32_e32 v3, 2, v3
	ds_read_b32 v3, v3
	s_waitcnt lgkmcnt(0)
	v_add_nc_u32_e32 v3, v3, v49
	v_lshlrev_b64 v[37:38], 2, v[3:4]
	v_xor_b32_e32 v3, v154, v151
	v_add_co_u32 v37, s29, s42, v37
	v_add_co_ci_u32_e64 v38, null, s43, v38, s29
	global_store_dword v[37:38], v3, off
	s_or_b32 exec_lo, exec_lo, s30
	v_cmp_lt_u32_e64 s29, v50, v150
	s_and_saveexec_b32 s31, s29
	s_cbranch_execz .LBB1355_782
.LBB1355_850:                           ;   in Loop: Header=BB1355_694 Depth=2
	ds_read_b32 v151, v66 offset:7680
	s_waitcnt lgkmcnt(0)
	v_cmp_ne_u32_e64 s30, 0x80000000, v151
	v_cndmask_b32_e64 v3, 0x7fffffff, v151, s30
	v_cmp_gt_i32_e64 s30, 0, v151
	v_lshrrev_b32_e32 v3, s53, v3
	v_cndmask_b32_e64 v154, 0x7fffffff, 0, s30
	v_and_b32_e32 v3, s61, v3
	v_lshlrev_b32_e32 v3, 2, v3
	ds_read_b32 v3, v3
	s_waitcnt lgkmcnt(0)
	v_add_nc_u32_e32 v3, v3, v50
	v_lshlrev_b64 v[37:38], 2, v[3:4]
	v_xor_b32_e32 v3, v154, v151
	v_add_co_u32 v37, s30, s42, v37
	v_add_co_ci_u32_e64 v38, null, s43, v38, s30
	global_store_dword v[37:38], v3, off
	s_or_b32 exec_lo, exec_lo, s31
	v_cmp_lt_u32_e64 s30, v51, v150
	s_and_saveexec_b32 s33, s30
	s_cbranch_execz .LBB1355_783
.LBB1355_851:                           ;   in Loop: Header=BB1355_694 Depth=2
	ds_read_b32 v151, v66 offset:8704
	s_waitcnt lgkmcnt(0)
	v_cmp_ne_u32_e64 s31, 0x80000000, v151
	v_cndmask_b32_e64 v3, 0x7fffffff, v151, s31
	v_cmp_gt_i32_e64 s31, 0, v151
	v_lshrrev_b32_e32 v3, s53, v3
	v_cndmask_b32_e64 v154, 0x7fffffff, 0, s31
	v_and_b32_e32 v3, s61, v3
	v_lshlrev_b32_e32 v3, 2, v3
	ds_read_b32 v3, v3
	s_waitcnt lgkmcnt(0)
	v_add_nc_u32_e32 v3, v3, v51
	v_lshlrev_b64 v[37:38], 2, v[3:4]
	v_xor_b32_e32 v3, v154, v151
	v_add_co_u32 v37, s31, s42, v37
	v_add_co_ci_u32_e64 v38, null, s43, v38, s31
	global_store_dword v[37:38], v3, off
	s_or_b32 exec_lo, exec_lo, s33
	v_cmp_lt_u32_e64 s31, v52, v150
	s_and_saveexec_b32 s34, s31
	s_cbranch_execz .LBB1355_784
.LBB1355_852:                           ;   in Loop: Header=BB1355_694 Depth=2
	ds_read_b32 v151, v66 offset:9728
	s_waitcnt lgkmcnt(0)
	v_cmp_ne_u32_e64 s33, 0x80000000, v151
	v_cndmask_b32_e64 v3, 0x7fffffff, v151, s33
	v_cmp_gt_i32_e64 s33, 0, v151
	v_lshrrev_b32_e32 v3, s53, v3
	v_cndmask_b32_e64 v154, 0x7fffffff, 0, s33
	v_and_b32_e32 v3, s61, v3
	v_lshlrev_b32_e32 v3, 2, v3
	ds_read_b32 v3, v3
	s_waitcnt lgkmcnt(0)
	v_add_nc_u32_e32 v3, v3, v52
	v_lshlrev_b64 v[37:38], 2, v[3:4]
	v_xor_b32_e32 v3, v154, v151
	v_add_co_u32 v37, s33, s42, v37
	v_add_co_ci_u32_e64 v38, null, s43, v38, s33
	global_store_dword v[37:38], v3, off
	s_or_b32 exec_lo, exec_lo, s34
	v_cmp_lt_u32_e64 s33, v53, v150
	s_and_saveexec_b32 s35, s33
	s_cbranch_execz .LBB1355_785
.LBB1355_853:                           ;   in Loop: Header=BB1355_694 Depth=2
	ds_read_b32 v151, v66 offset:10752
	s_waitcnt lgkmcnt(0)
	v_cmp_ne_u32_e64 s34, 0x80000000, v151
	v_cndmask_b32_e64 v3, 0x7fffffff, v151, s34
	v_cmp_gt_i32_e64 s34, 0, v151
	v_lshrrev_b32_e32 v3, s53, v3
	v_cndmask_b32_e64 v154, 0x7fffffff, 0, s34
	v_and_b32_e32 v3, s61, v3
	v_lshlrev_b32_e32 v3, 2, v3
	ds_read_b32 v3, v3
	s_waitcnt lgkmcnt(0)
	v_add_nc_u32_e32 v3, v3, v53
	v_lshlrev_b64 v[37:38], 2, v[3:4]
	v_xor_b32_e32 v3, v154, v151
	v_add_co_u32 v37, s34, s42, v37
	v_add_co_ci_u32_e64 v38, null, s43, v38, s34
	global_store_dword v[37:38], v3, off
	s_or_b32 exec_lo, exec_lo, s35
	v_cmp_lt_u32_e64 s34, v54, v150
	s_and_saveexec_b32 s36, s34
	s_cbranch_execz .LBB1355_786
.LBB1355_854:                           ;   in Loop: Header=BB1355_694 Depth=2
	ds_read_b32 v151, v66 offset:11776
	s_waitcnt lgkmcnt(0)
	v_cmp_ne_u32_e64 s35, 0x80000000, v151
	v_cndmask_b32_e64 v3, 0x7fffffff, v151, s35
	v_cmp_gt_i32_e64 s35, 0, v151
	v_lshrrev_b32_e32 v3, s53, v3
	v_cndmask_b32_e64 v154, 0x7fffffff, 0, s35
	v_and_b32_e32 v3, s61, v3
	v_lshlrev_b32_e32 v3, 2, v3
	ds_read_b32 v3, v3
	s_waitcnt lgkmcnt(0)
	v_add_nc_u32_e32 v3, v3, v54
	v_lshlrev_b64 v[37:38], 2, v[3:4]
	v_xor_b32_e32 v3, v154, v151
	v_add_co_u32 v37, s35, s42, v37
	v_add_co_ci_u32_e64 v38, null, s43, v38, s35
	global_store_dword v[37:38], v3, off
	s_or_b32 exec_lo, exec_lo, s36
	v_cmp_lt_u32_e64 s35, v55, v150
	s_and_saveexec_b32 s37, s35
	s_cbranch_execz .LBB1355_787
.LBB1355_855:                           ;   in Loop: Header=BB1355_694 Depth=2
	ds_read_b32 v151, v66 offset:12800
	s_waitcnt lgkmcnt(0)
	v_cmp_ne_u32_e64 s36, 0x80000000, v151
	v_cndmask_b32_e64 v3, 0x7fffffff, v151, s36
	v_cmp_gt_i32_e64 s36, 0, v151
	v_lshrrev_b32_e32 v3, s53, v3
	v_cndmask_b32_e64 v154, 0x7fffffff, 0, s36
	v_and_b32_e32 v3, s61, v3
	v_lshlrev_b32_e32 v3, 2, v3
	ds_read_b32 v3, v3
	s_waitcnt lgkmcnt(0)
	v_add_nc_u32_e32 v3, v3, v55
	v_lshlrev_b64 v[37:38], 2, v[3:4]
	v_xor_b32_e32 v3, v154, v151
	v_add_co_u32 v37, s36, s42, v37
	v_add_co_ci_u32_e64 v38, null, s43, v38, s36
	global_store_dword v[37:38], v3, off
	s_or_b32 exec_lo, exec_lo, s37
	v_cmp_lt_u32_e64 s36, v56, v150
	s_and_saveexec_b32 s38, s36
	s_cbranch_execz .LBB1355_788
.LBB1355_856:                           ;   in Loop: Header=BB1355_694 Depth=2
	ds_read_b32 v151, v66 offset:13824
	s_waitcnt lgkmcnt(0)
	v_cmp_ne_u32_e64 s37, 0x80000000, v151
	v_cndmask_b32_e64 v3, 0x7fffffff, v151, s37
	v_cmp_gt_i32_e64 s37, 0, v151
	v_lshrrev_b32_e32 v3, s53, v3
	v_cndmask_b32_e64 v154, 0x7fffffff, 0, s37
	v_and_b32_e32 v3, s61, v3
	v_lshlrev_b32_e32 v3, 2, v3
	ds_read_b32 v3, v3
	s_waitcnt lgkmcnt(0)
	v_add_nc_u32_e32 v3, v3, v56
	v_lshlrev_b64 v[37:38], 2, v[3:4]
	v_xor_b32_e32 v3, v154, v151
	v_add_co_u32 v37, s37, s42, v37
	v_add_co_ci_u32_e64 v38, null, s43, v38, s37
	global_store_dword v[37:38], v3, off
	s_or_b32 exec_lo, exec_lo, s38
	v_cmp_lt_u32_e64 s37, v57, v150
	s_and_saveexec_b32 s39, s37
	s_cbranch_execz .LBB1355_789
.LBB1355_857:                           ;   in Loop: Header=BB1355_694 Depth=2
	ds_read_b32 v151, v66 offset:14848
	s_waitcnt lgkmcnt(0)
	v_cmp_ne_u32_e64 s38, 0x80000000, v151
	v_cndmask_b32_e64 v3, 0x7fffffff, v151, s38
	v_cmp_gt_i32_e64 s38, 0, v151
	v_lshrrev_b32_e32 v3, s53, v3
	v_cndmask_b32_e64 v154, 0x7fffffff, 0, s38
	v_and_b32_e32 v3, s61, v3
	v_lshlrev_b32_e32 v3, 2, v3
	ds_read_b32 v3, v3
	s_waitcnt lgkmcnt(0)
	v_add_nc_u32_e32 v3, v3, v57
	v_lshlrev_b64 v[37:38], 2, v[3:4]
	v_xor_b32_e32 v3, v154, v151
	v_add_co_u32 v37, s38, s42, v37
	v_add_co_ci_u32_e64 v38, null, s43, v38, s38
	global_store_dword v[37:38], v3, off
	s_or_b32 exec_lo, exec_lo, s39
	v_cmp_lt_u32_e64 s38, v58, v150
	s_and_saveexec_b32 s64, s38
	s_cbranch_execnz .LBB1355_790
	s_branch .LBB1355_791
.LBB1355_858:                           ;   in Loop: Header=BB1355_694 Depth=2
	global_load_dwordx2 v[35:36], v[37:38], off
	s_or_b32 exec_lo, exec_lo, s39
	s_mov_b32 s46, exec_lo
	v_cmpx_lt_u32_e64 v108, v150
	s_cbranch_execz .LBB1355_793
.LBB1355_859:                           ;   in Loop: Header=BB1355_694 Depth=2
	global_load_dwordx2 v[33:34], v[37:38], off offset:256
	s_or_b32 exec_lo, exec_lo, s46
	s_mov_b32 s46, exec_lo
	v_cmpx_lt_u32_e64 v109, v150
	s_cbranch_execz .LBB1355_794
.LBB1355_860:                           ;   in Loop: Header=BB1355_694 Depth=2
	global_load_dwordx2 v[31:32], v[37:38], off offset:512
	s_or_b32 exec_lo, exec_lo, s46
	s_mov_b32 s46, exec_lo
	v_cmpx_lt_u32_e64 v110, v150
	s_cbranch_execz .LBB1355_795
.LBB1355_861:                           ;   in Loop: Header=BB1355_694 Depth=2
	global_load_dwordx2 v[29:30], v[37:38], off offset:768
	s_or_b32 exec_lo, exec_lo, s46
	s_mov_b32 s46, exec_lo
	v_cmpx_lt_u32_e64 v111, v150
	s_cbranch_execz .LBB1355_796
.LBB1355_862:                           ;   in Loop: Header=BB1355_694 Depth=2
	global_load_dwordx2 v[27:28], v[37:38], off offset:1024
	s_or_b32 exec_lo, exec_lo, s46
	s_mov_b32 s46, exec_lo
	v_cmpx_lt_u32_e64 v112, v150
	s_cbranch_execz .LBB1355_797
.LBB1355_863:                           ;   in Loop: Header=BB1355_694 Depth=2
	global_load_dwordx2 v[23:24], v[37:38], off offset:1280
	s_or_b32 exec_lo, exec_lo, s46
	s_mov_b32 s46, exec_lo
	v_cmpx_lt_u32_e64 v113, v150
	s_cbranch_execz .LBB1355_798
.LBB1355_864:                           ;   in Loop: Header=BB1355_694 Depth=2
	global_load_dwordx2 v[19:20], v[37:38], off offset:1536
	s_or_b32 exec_lo, exec_lo, s46
	s_mov_b32 s46, exec_lo
	v_cmpx_lt_u32_e64 v114, v150
	s_cbranch_execz .LBB1355_799
.LBB1355_865:                           ;   in Loop: Header=BB1355_694 Depth=2
	global_load_dwordx2 v[15:16], v[37:38], off offset:1792
	s_or_b32 exec_lo, exec_lo, s46
	s_mov_b32 s46, exec_lo
	v_cmpx_lt_u32_e64 v115, v150
	s_cbranch_execz .LBB1355_800
.LBB1355_866:                           ;   in Loop: Header=BB1355_694 Depth=2
	v_add_co_u32 v25, s39, 0x800, v37
	v_add_co_ci_u32_e64 v26, null, 0, v38, s39
	global_load_dwordx2 v[25:26], v[25:26], off
	s_or_b32 exec_lo, exec_lo, s46
	s_mov_b32 s46, exec_lo
	v_cmpx_lt_u32_e64 v116, v150
	s_cbranch_execz .LBB1355_801
.LBB1355_867:                           ;   in Loop: Header=BB1355_694 Depth=2
	v_add_co_u32 v21, s39, 0x800, v37
	v_add_co_ci_u32_e64 v22, null, 0, v38, s39
	global_load_dwordx2 v[21:22], v[21:22], off offset:256
	s_or_b32 exec_lo, exec_lo, s46
	s_mov_b32 s46, exec_lo
	v_cmpx_lt_u32_e64 v117, v150
	s_cbranch_execz .LBB1355_802
.LBB1355_868:                           ;   in Loop: Header=BB1355_694 Depth=2
	v_add_co_u32 v17, s39, 0x800, v37
	v_add_co_ci_u32_e64 v18, null, 0, v38, s39
	global_load_dwordx2 v[17:18], v[17:18], off offset:512
	s_or_b32 exec_lo, exec_lo, s46
	s_mov_b32 s46, exec_lo
	v_cmpx_lt_u32_e64 v118, v150
	s_cbranch_execz .LBB1355_803
.LBB1355_869:                           ;   in Loop: Header=BB1355_694 Depth=2
	v_add_co_u32 v13, s39, 0x800, v37
	v_add_co_ci_u32_e64 v14, null, 0, v38, s39
	global_load_dwordx2 v[13:14], v[13:14], off offset:768
	s_or_b32 exec_lo, exec_lo, s46
	s_mov_b32 s46, exec_lo
	v_cmpx_lt_u32_e64 v119, v150
	s_cbranch_execz .LBB1355_804
.LBB1355_870:                           ;   in Loop: Header=BB1355_694 Depth=2
	v_add_co_u32 v11, s39, 0x800, v37
	v_add_co_ci_u32_e64 v12, null, 0, v38, s39
	global_load_dwordx2 v[11:12], v[11:12], off offset:1024
	s_or_b32 exec_lo, exec_lo, s46
	s_mov_b32 s46, exec_lo
	v_cmpx_lt_u32_e64 v121, v150
	s_cbranch_execz .LBB1355_805
.LBB1355_871:                           ;   in Loop: Header=BB1355_694 Depth=2
	v_add_co_u32 v9, s39, 0x800, v37
	v_add_co_ci_u32_e64 v10, null, 0, v38, s39
	global_load_dwordx2 v[9:10], v[9:10], off offset:1280
	s_or_b32 exec_lo, exec_lo, s46
	s_mov_b32 s46, exec_lo
	v_cmpx_lt_u32_e64 v122, v150
	s_cbranch_execz .LBB1355_806
.LBB1355_872:                           ;   in Loop: Header=BB1355_694 Depth=2
	v_add_co_u32 v7, s39, 0x800, v37
	v_add_co_ci_u32_e64 v8, null, 0, v38, s39
	global_load_dwordx2 v[7:8], v[7:8], off offset:1536
	s_or_b32 exec_lo, exec_lo, s46
	s_mov_b32 s46, exec_lo
	v_cmpx_lt_u32_e64 v123, v150
	s_cbranch_execz .LBB1355_807
.LBB1355_873:                           ;   in Loop: Header=BB1355_694 Depth=2
	v_add_co_u32 v5, s39, 0x800, v37
	v_add_co_ci_u32_e64 v6, null, 0, v38, s39
	global_load_dwordx2 v[5:6], v[5:6], off offset:1792
	s_or_b32 exec_lo, exec_lo, s46
	s_and_saveexec_b32 s46, vcc_lo
	s_cbranch_execz .LBB1355_808
.LBB1355_874:                           ;   in Loop: Header=BB1355_694 Depth=2
	ds_read_b32 v3, v66 offset:512
	s_waitcnt lgkmcnt(0)
	v_cmp_ne_u32_e64 s39, 0x80000000, v3
	v_cndmask_b32_e64 v3, 0x7fffffff, v3, s39
	v_lshrrev_b32_e32 v3, s53, v3
	v_and_b32_e32 v148, s61, v3
	s_or_b32 exec_lo, exec_lo, s46
	s_and_saveexec_b32 s46, s23
	s_cbranch_execz .LBB1355_809
.LBB1355_875:                           ;   in Loop: Header=BB1355_694 Depth=2
	ds_read_b32 v3, v66 offset:1536
	s_waitcnt lgkmcnt(0)
	v_cmp_ne_u32_e64 s39, 0x80000000, v3
	v_cndmask_b32_e64 v3, 0x7fffffff, v3, s39
	v_lshrrev_b32_e32 v3, s53, v3
	v_and_b32_e32 v147, s61, v3
	s_or_b32 exec_lo, exec_lo, s46
	s_and_saveexec_b32 s46, s24
	s_cbranch_execz .LBB1355_810
.LBB1355_876:                           ;   in Loop: Header=BB1355_694 Depth=2
	ds_read_b32 v3, v66 offset:2560
	s_waitcnt lgkmcnt(0)
	v_cmp_ne_u32_e64 s39, 0x80000000, v3
	v_cndmask_b32_e64 v3, 0x7fffffff, v3, s39
	v_lshrrev_b32_e32 v3, s53, v3
	v_and_b32_e32 v146, s61, v3
	s_or_b32 exec_lo, exec_lo, s46
	s_and_saveexec_b32 s46, s25
	s_cbranch_execz .LBB1355_811
.LBB1355_877:                           ;   in Loop: Header=BB1355_694 Depth=2
	ds_read_b32 v3, v66 offset:3584
	s_waitcnt lgkmcnt(0)
	v_cmp_ne_u32_e64 s39, 0x80000000, v3
	v_cndmask_b32_e64 v3, 0x7fffffff, v3, s39
	v_lshrrev_b32_e32 v3, s53, v3
	v_and_b32_e32 v145, s61, v3
	s_or_b32 exec_lo, exec_lo, s46
	s_and_saveexec_b32 s46, s26
	s_cbranch_execz .LBB1355_812
.LBB1355_878:                           ;   in Loop: Header=BB1355_694 Depth=2
	ds_read_b32 v3, v66 offset:4608
	s_waitcnt lgkmcnt(0)
	v_cmp_ne_u32_e64 s39, 0x80000000, v3
	v_cndmask_b32_e64 v3, 0x7fffffff, v3, s39
	v_lshrrev_b32_e32 v3, s53, v3
	v_and_b32_e32 v143, s61, v3
	s_or_b32 exec_lo, exec_lo, s46
	s_and_saveexec_b32 s46, s27
	s_cbranch_execz .LBB1355_813
.LBB1355_879:                           ;   in Loop: Header=BB1355_694 Depth=2
	ds_read_b32 v3, v66 offset:5632
	s_waitcnt lgkmcnt(0)
	v_cmp_ne_u32_e64 s39, 0x80000000, v3
	v_cndmask_b32_e64 v3, 0x7fffffff, v3, s39
	v_lshrrev_b32_e32 v3, s53, v3
	v_and_b32_e32 v142, s61, v3
	s_or_b32 exec_lo, exec_lo, s46
	s_and_saveexec_b32 s46, s28
	s_cbranch_execz .LBB1355_814
.LBB1355_880:                           ;   in Loop: Header=BB1355_694 Depth=2
	ds_read_b32 v3, v66 offset:6656
	s_waitcnt lgkmcnt(0)
	v_cmp_ne_u32_e64 s39, 0x80000000, v3
	v_cndmask_b32_e64 v3, 0x7fffffff, v3, s39
	v_lshrrev_b32_e32 v3, s53, v3
	v_and_b32_e32 v141, s61, v3
	s_or_b32 exec_lo, exec_lo, s46
	s_and_saveexec_b32 s46, s29
	s_cbranch_execz .LBB1355_815
.LBB1355_881:                           ;   in Loop: Header=BB1355_694 Depth=2
	ds_read_b32 v3, v66 offset:7680
	s_waitcnt lgkmcnt(0)
	v_cmp_ne_u32_e64 s39, 0x80000000, v3
	v_cndmask_b32_e64 v3, 0x7fffffff, v3, s39
	v_lshrrev_b32_e32 v3, s53, v3
	v_and_b32_e32 v140, s61, v3
	s_or_b32 exec_lo, exec_lo, s46
	s_and_saveexec_b32 s46, s30
	s_cbranch_execz .LBB1355_816
.LBB1355_882:                           ;   in Loop: Header=BB1355_694 Depth=2
	ds_read_b32 v3, v66 offset:8704
	s_waitcnt lgkmcnt(0)
	v_cmp_ne_u32_e64 s39, 0x80000000, v3
	v_cndmask_b32_e64 v3, 0x7fffffff, v3, s39
	v_lshrrev_b32_e32 v3, s53, v3
	v_and_b32_e32 v139, s61, v3
	s_or_b32 exec_lo, exec_lo, s46
	s_and_saveexec_b32 s46, s31
	s_cbranch_execz .LBB1355_817
.LBB1355_883:                           ;   in Loop: Header=BB1355_694 Depth=2
	ds_read_b32 v3, v66 offset:9728
	s_waitcnt lgkmcnt(0)
	v_cmp_ne_u32_e64 s39, 0x80000000, v3
	v_cndmask_b32_e64 v3, 0x7fffffff, v3, s39
	v_lshrrev_b32_e32 v3, s53, v3
	v_and_b32_e32 v138, s61, v3
	s_or_b32 exec_lo, exec_lo, s46
	s_and_saveexec_b32 s46, s33
	s_cbranch_execz .LBB1355_818
.LBB1355_884:                           ;   in Loop: Header=BB1355_694 Depth=2
	ds_read_b32 v3, v66 offset:10752
	s_waitcnt lgkmcnt(0)
	v_cmp_ne_u32_e64 s39, 0x80000000, v3
	v_cndmask_b32_e64 v3, 0x7fffffff, v3, s39
	v_lshrrev_b32_e32 v3, s53, v3
	v_and_b32_e32 v137, s61, v3
	s_or_b32 exec_lo, exec_lo, s46
	s_and_saveexec_b32 s46, s34
	s_cbranch_execz .LBB1355_819
.LBB1355_885:                           ;   in Loop: Header=BB1355_694 Depth=2
	ds_read_b32 v3, v66 offset:11776
	s_waitcnt lgkmcnt(0)
	v_cmp_ne_u32_e64 s39, 0x80000000, v3
	v_cndmask_b32_e64 v3, 0x7fffffff, v3, s39
	v_lshrrev_b32_e32 v3, s53, v3
	v_and_b32_e32 v136, s61, v3
	s_or_b32 exec_lo, exec_lo, s46
	s_and_saveexec_b32 s46, s35
	s_cbranch_execz .LBB1355_820
.LBB1355_886:                           ;   in Loop: Header=BB1355_694 Depth=2
	ds_read_b32 v3, v66 offset:12800
	s_waitcnt lgkmcnt(0)
	v_cmp_ne_u32_e64 s39, 0x80000000, v3
	v_cndmask_b32_e64 v3, 0x7fffffff, v3, s39
	v_lshrrev_b32_e32 v3, s53, v3
	v_and_b32_e32 v135, s61, v3
	s_or_b32 exec_lo, exec_lo, s46
	s_and_saveexec_b32 s46, s36
	s_cbranch_execz .LBB1355_821
.LBB1355_887:                           ;   in Loop: Header=BB1355_694 Depth=2
	ds_read_b32 v3, v66 offset:13824
	s_waitcnt lgkmcnt(0)
	v_cmp_ne_u32_e64 s39, 0x80000000, v3
	v_cndmask_b32_e64 v3, 0x7fffffff, v3, s39
	v_lshrrev_b32_e32 v3, s53, v3
	v_and_b32_e32 v134, s61, v3
	s_or_b32 exec_lo, exec_lo, s46
	s_and_saveexec_b32 s46, s37
	s_cbranch_execz .LBB1355_822
.LBB1355_888:                           ;   in Loop: Header=BB1355_694 Depth=2
	ds_read_b32 v3, v66 offset:14848
	s_waitcnt lgkmcnt(0)
	v_cmp_ne_u32_e64 s39, 0x80000000, v3
	v_cndmask_b32_e64 v3, 0x7fffffff, v3, s39
	v_lshrrev_b32_e32 v3, s53, v3
	v_and_b32_e32 v133, s61, v3
	s_or_b32 exec_lo, exec_lo, s46
	s_and_saveexec_b32 s46, s38
	s_cbranch_execnz .LBB1355_823
	s_branch .LBB1355_824
.LBB1355_889:                           ;   in Loop: Header=BB1355_694 Depth=2
	v_lshlrev_b32_e32 v3, 2, v148
	v_add_nc_u32_e32 v37, v66, v41
	ds_read_b32 v3, v3
	ds_read_b64 v[37:38], v37 offset:512
	s_waitcnt lgkmcnt(1)
	v_add_nc_u32_e32 v3, v3, v0
	v_lshlrev_b64 v[39:40], 3, v[3:4]
	v_add_co_u32 v39, vcc_lo, s48, v39
	v_add_co_ci_u32_e64 v40, null, s49, v40, vcc_lo
	s_waitcnt lgkmcnt(0)
	global_store_dwordx2 v[39:40], v[37:38], off
	s_or_b32 exec_lo, exec_lo, s39
	s_and_saveexec_b32 s39, s23
	s_cbranch_execz .LBB1355_826
.LBB1355_890:                           ;   in Loop: Header=BB1355_694 Depth=2
	v_lshlrev_b32_e32 v3, 2, v147
	v_add_nc_u32_e32 v37, v66, v41
	ds_read_b32 v3, v3
	ds_read_b64 v[37:38], v37 offset:2560
	s_waitcnt lgkmcnt(1)
	v_add_nc_u32_e32 v3, v3, v42
	v_lshlrev_b64 v[39:40], 3, v[3:4]
	v_add_co_u32 v39, vcc_lo, s48, v39
	v_add_co_ci_u32_e64 v40, null, s49, v40, vcc_lo
	s_waitcnt lgkmcnt(0)
	global_store_dwordx2 v[39:40], v[37:38], off
	s_or_b32 exec_lo, exec_lo, s39
	s_and_saveexec_b32 s23, s24
	s_cbranch_execz .LBB1355_827
.LBB1355_891:                           ;   in Loop: Header=BB1355_694 Depth=2
	v_lshlrev_b32_e32 v3, 2, v146
	v_add_nc_u32_e32 v37, v66, v41
	ds_read_b32 v3, v3
	ds_read_b64 v[37:38], v37 offset:4608
	s_waitcnt lgkmcnt(1)
	v_add_nc_u32_e32 v3, v3, v45
	v_lshlrev_b64 v[39:40], 3, v[3:4]
	v_add_co_u32 v39, vcc_lo, s48, v39
	v_add_co_ci_u32_e64 v40, null, s49, v40, vcc_lo
	s_waitcnt lgkmcnt(0)
	global_store_dwordx2 v[39:40], v[37:38], off
	s_or_b32 exec_lo, exec_lo, s23
	s_and_saveexec_b32 s23, s25
	s_cbranch_execz .LBB1355_828
.LBB1355_892:                           ;   in Loop: Header=BB1355_694 Depth=2
	v_lshlrev_b32_e32 v3, 2, v145
	v_add_nc_u32_e32 v37, v66, v41
	ds_read_b32 v3, v3
	ds_read_b64 v[37:38], v37 offset:6656
	s_waitcnt lgkmcnt(1)
	v_add_nc_u32_e32 v3, v3, v46
	v_lshlrev_b64 v[39:40], 3, v[3:4]
	v_add_co_u32 v39, vcc_lo, s48, v39
	v_add_co_ci_u32_e64 v40, null, s49, v40, vcc_lo
	s_waitcnt lgkmcnt(0)
	global_store_dwordx2 v[39:40], v[37:38], off
	s_or_b32 exec_lo, exec_lo, s23
	s_and_saveexec_b32 s23, s26
	s_cbranch_execz .LBB1355_829
.LBB1355_893:                           ;   in Loop: Header=BB1355_694 Depth=2
	v_lshlrev_b32_e32 v3, 2, v143
	v_add_nc_u32_e32 v37, v66, v41
	ds_read_b32 v3, v3
	ds_read_b64 v[37:38], v37 offset:8704
	s_waitcnt lgkmcnt(1)
	v_add_nc_u32_e32 v3, v3, v47
	v_lshlrev_b64 v[39:40], 3, v[3:4]
	v_add_co_u32 v39, vcc_lo, s48, v39
	v_add_co_ci_u32_e64 v40, null, s49, v40, vcc_lo
	s_waitcnt lgkmcnt(0)
	global_store_dwordx2 v[39:40], v[37:38], off
	s_or_b32 exec_lo, exec_lo, s23
	s_and_saveexec_b32 s23, s27
	s_cbranch_execz .LBB1355_830
.LBB1355_894:                           ;   in Loop: Header=BB1355_694 Depth=2
	v_lshlrev_b32_e32 v3, 2, v142
	v_add_nc_u32_e32 v37, v66, v41
	ds_read_b32 v3, v3
	ds_read_b64 v[37:38], v37 offset:10752
	s_waitcnt lgkmcnt(1)
	v_add_nc_u32_e32 v3, v3, v48
	v_lshlrev_b64 v[39:40], 3, v[3:4]
	v_add_co_u32 v39, vcc_lo, s48, v39
	v_add_co_ci_u32_e64 v40, null, s49, v40, vcc_lo
	s_waitcnt lgkmcnt(0)
	global_store_dwordx2 v[39:40], v[37:38], off
	s_or_b32 exec_lo, exec_lo, s23
	s_and_saveexec_b32 s23, s28
	s_cbranch_execz .LBB1355_831
.LBB1355_895:                           ;   in Loop: Header=BB1355_694 Depth=2
	v_lshlrev_b32_e32 v3, 2, v141
	v_add_nc_u32_e32 v37, v66, v41
	ds_read_b32 v3, v3
	ds_read_b64 v[37:38], v37 offset:12800
	s_waitcnt lgkmcnt(1)
	v_add_nc_u32_e32 v3, v3, v49
	v_lshlrev_b64 v[39:40], 3, v[3:4]
	v_add_co_u32 v39, vcc_lo, s48, v39
	v_add_co_ci_u32_e64 v40, null, s49, v40, vcc_lo
	s_waitcnt lgkmcnt(0)
	global_store_dwordx2 v[39:40], v[37:38], off
	s_or_b32 exec_lo, exec_lo, s23
	s_and_saveexec_b32 s23, s29
	s_cbranch_execz .LBB1355_832
.LBB1355_896:                           ;   in Loop: Header=BB1355_694 Depth=2
	v_lshlrev_b32_e32 v3, 2, v140
	v_add_nc_u32_e32 v37, v66, v41
	ds_read_b32 v3, v3
	ds_read_b64 v[37:38], v37 offset:14848
	s_waitcnt lgkmcnt(1)
	v_add_nc_u32_e32 v3, v3, v50
	v_lshlrev_b64 v[39:40], 3, v[3:4]
	v_add_co_u32 v39, vcc_lo, s48, v39
	v_add_co_ci_u32_e64 v40, null, s49, v40, vcc_lo
	s_waitcnt lgkmcnt(0)
	global_store_dwordx2 v[39:40], v[37:38], off
	s_or_b32 exec_lo, exec_lo, s23
	s_and_saveexec_b32 s23, s30
	s_cbranch_execz .LBB1355_833
.LBB1355_897:                           ;   in Loop: Header=BB1355_694 Depth=2
	v_lshlrev_b32_e32 v3, 2, v139
	v_add_nc_u32_e32 v37, v66, v41
	ds_read_b32 v3, v3
	ds_read_b64 v[37:38], v37 offset:16896
	s_waitcnt lgkmcnt(1)
	v_add_nc_u32_e32 v3, v3, v51
	v_lshlrev_b64 v[39:40], 3, v[3:4]
	v_add_co_u32 v39, vcc_lo, s48, v39
	v_add_co_ci_u32_e64 v40, null, s49, v40, vcc_lo
	s_waitcnt lgkmcnt(0)
	global_store_dwordx2 v[39:40], v[37:38], off
	s_or_b32 exec_lo, exec_lo, s23
	s_and_saveexec_b32 s23, s31
	s_cbranch_execz .LBB1355_834
.LBB1355_898:                           ;   in Loop: Header=BB1355_694 Depth=2
	v_lshlrev_b32_e32 v3, 2, v138
	v_add_nc_u32_e32 v37, v66, v41
	ds_read_b32 v3, v3
	ds_read_b64 v[37:38], v37 offset:18944
	s_waitcnt lgkmcnt(1)
	v_add_nc_u32_e32 v3, v3, v52
	v_lshlrev_b64 v[39:40], 3, v[3:4]
	v_add_co_u32 v39, vcc_lo, s48, v39
	v_add_co_ci_u32_e64 v40, null, s49, v40, vcc_lo
	s_waitcnt lgkmcnt(0)
	global_store_dwordx2 v[39:40], v[37:38], off
	s_or_b32 exec_lo, exec_lo, s23
	s_and_saveexec_b32 s23, s33
	s_cbranch_execz .LBB1355_835
.LBB1355_899:                           ;   in Loop: Header=BB1355_694 Depth=2
	v_lshlrev_b32_e32 v3, 2, v137
	v_add_nc_u32_e32 v37, v66, v41
	ds_read_b32 v3, v3
	ds_read_b64 v[37:38], v37 offset:20992
	s_waitcnt lgkmcnt(1)
	v_add_nc_u32_e32 v3, v3, v53
	v_lshlrev_b64 v[39:40], 3, v[3:4]
	v_add_co_u32 v39, vcc_lo, s48, v39
	v_add_co_ci_u32_e64 v40, null, s49, v40, vcc_lo
	s_waitcnt lgkmcnt(0)
	global_store_dwordx2 v[39:40], v[37:38], off
	s_or_b32 exec_lo, exec_lo, s23
	s_and_saveexec_b32 s23, s34
	s_cbranch_execz .LBB1355_836
.LBB1355_900:                           ;   in Loop: Header=BB1355_694 Depth=2
	v_lshlrev_b32_e32 v3, 2, v136
	v_add_nc_u32_e32 v37, v66, v41
	ds_read_b32 v3, v3
	ds_read_b64 v[37:38], v37 offset:23040
	s_waitcnt lgkmcnt(1)
	v_add_nc_u32_e32 v3, v3, v54
	v_lshlrev_b64 v[39:40], 3, v[3:4]
	v_add_co_u32 v39, vcc_lo, s48, v39
	v_add_co_ci_u32_e64 v40, null, s49, v40, vcc_lo
	s_waitcnt lgkmcnt(0)
	global_store_dwordx2 v[39:40], v[37:38], off
	s_or_b32 exec_lo, exec_lo, s23
	s_and_saveexec_b32 s23, s35
	s_cbranch_execz .LBB1355_837
.LBB1355_901:                           ;   in Loop: Header=BB1355_694 Depth=2
	v_lshlrev_b32_e32 v3, 2, v135
	v_add_nc_u32_e32 v37, v66, v41
	ds_read_b32 v3, v3
	ds_read_b64 v[37:38], v37 offset:25088
	s_waitcnt lgkmcnt(1)
	v_add_nc_u32_e32 v3, v3, v55
	v_lshlrev_b64 v[39:40], 3, v[3:4]
	v_add_co_u32 v39, vcc_lo, s48, v39
	v_add_co_ci_u32_e64 v40, null, s49, v40, vcc_lo
	s_waitcnt lgkmcnt(0)
	global_store_dwordx2 v[39:40], v[37:38], off
	s_or_b32 exec_lo, exec_lo, s23
	s_and_saveexec_b32 s23, s36
	s_cbranch_execz .LBB1355_838
.LBB1355_902:                           ;   in Loop: Header=BB1355_694 Depth=2
	v_lshlrev_b32_e32 v3, 2, v134
	v_add_nc_u32_e32 v37, v66, v41
	ds_read_b32 v3, v3
	ds_read_b64 v[37:38], v37 offset:27136
	s_waitcnt lgkmcnt(1)
	v_add_nc_u32_e32 v3, v3, v56
	v_lshlrev_b64 v[39:40], 3, v[3:4]
	v_add_co_u32 v39, vcc_lo, s48, v39
	v_add_co_ci_u32_e64 v40, null, s49, v40, vcc_lo
	s_waitcnt lgkmcnt(0)
	global_store_dwordx2 v[39:40], v[37:38], off
	s_or_b32 exec_lo, exec_lo, s23
	s_and_saveexec_b32 s23, s37
	s_cbranch_execz .LBB1355_839
.LBB1355_903:                           ;   in Loop: Header=BB1355_694 Depth=2
	v_lshlrev_b32_e32 v3, 2, v133
	v_add_nc_u32_e32 v37, v66, v41
	ds_read_b32 v3, v3
	ds_read_b64 v[37:38], v37 offset:29184
	s_waitcnt lgkmcnt(1)
	v_add_nc_u32_e32 v3, v3, v57
	v_lshlrev_b64 v[39:40], 3, v[3:4]
	v_add_co_u32 v39, vcc_lo, s48, v39
	v_add_co_ci_u32_e64 v40, null, s49, v40, vcc_lo
	s_waitcnt lgkmcnt(0)
	global_store_dwordx2 v[39:40], v[37:38], off
	s_or_b32 exec_lo, exec_lo, s23
	s_and_saveexec_b32 s23, s38
	s_cbranch_execnz .LBB1355_840
	s_branch .LBB1355_841
.LBB1355_904:                           ;   in Loop: Header=BB1355_20 Depth=1
	s_waitcnt lgkmcnt(0)
	s_mov_b32 s5, 0
	s_barrier
.LBB1355_905:                           ;   in Loop: Header=BB1355_20 Depth=1
	s_and_b32 vcc_lo, exec_lo, s5
	s_cbranch_vccz .LBB1355_19
; %bb.906:                              ;   in Loop: Header=BB1355_20 Depth=1
	s_mov_b32 s5, s60
	s_mov_b32 s46, s58
	s_barrier
	buffer_gl0_inv
                                        ; implicit-def: $vgpr3
                                        ; implicit-def: $vgpr5
                                        ; implicit-def: $vgpr6
                                        ; implicit-def: $vgpr7
                                        ; implicit-def: $vgpr8
                                        ; implicit-def: $vgpr9
                                        ; implicit-def: $vgpr10
                                        ; implicit-def: $vgpr11
                                        ; implicit-def: $vgpr12
                                        ; implicit-def: $vgpr13
                                        ; implicit-def: $vgpr14
                                        ; implicit-def: $vgpr15
                                        ; implicit-def: $vgpr16
                                        ; implicit-def: $vgpr17
                                        ; implicit-def: $vgpr18
                                        ; implicit-def: $vgpr19
	s_branch .LBB1355_908
.LBB1355_907:                           ;   in Loop: Header=BB1355_908 Depth=2
	s_or_b32 exec_lo, exec_lo, s16
	s_addk_i32 s5, 0xf000
	s_cmp_ge_u32 s18, s59
	s_mov_b32 s46, s18
	s_cbranch_scc1 .LBB1355_976
.LBB1355_908:                           ;   Parent Loop BB1355_20 Depth=1
                                        ; =>  This Inner Loop Header: Depth=2
	s_add_i32 s18, s46, 0x1000
	s_mov_b32 s16, -1
	s_cmp_gt_u32 s18, s59
                                        ; implicit-def: $vgpr20
                                        ; implicit-def: $vgpr21
                                        ; implicit-def: $vgpr24
                                        ; implicit-def: $vgpr22
                                        ; implicit-def: $vgpr26
                                        ; implicit-def: $vgpr23
                                        ; implicit-def: $vgpr28
                                        ; implicit-def: $vgpr25
                                        ; implicit-def: $vgpr30
                                        ; implicit-def: $vgpr27
                                        ; implicit-def: $vgpr31
                                        ; implicit-def: $vgpr29
                                        ; implicit-def: $vgpr33
                                        ; implicit-def: $vgpr32
                                        ; implicit-def: $vgpr34
                                        ; implicit-def: $vgpr35
	s_cbranch_scc1 .LBB1355_910
; %bb.909:                              ;   in Loop: Header=BB1355_908 Depth=2
	s_lshl_b64 s[16:17], s[46:47], 2
	v_add_co_u32 v30, vcc_lo, v75, s16
	v_add_co_ci_u32_e64 v31, null, s17, v76, vcc_lo
	s_mov_b32 s16, 0
	v_add_co_u32 v22, vcc_lo, 0x800, v30
	v_add_co_ci_u32_e64 v23, null, 0, v31, vcc_lo
	v_add_co_u32 v33, vcc_lo, v30, 0x1000
	v_add_co_ci_u32_e64 v34, null, 0, v31, vcc_lo
	;; [unrolled: 2-line block ×9, first 2 shown]
	s_clause 0x7
	global_load_dword v20, v[30:31], off
	global_load_dword v21, v[30:31], off offset:1024
	global_load_dword v22, v[22:23], off offset:1024
	;; [unrolled: 1-line block ×7, first 2 shown]
	v_add_co_u32 v37, vcc_lo, 0x3800, v30
	v_add_co_ci_u32_e64 v38, null, 0, v31, vcc_lo
	s_clause 0x7
	global_load_dword v24, v[33:34], off offset:-2048
	global_load_dword v26, v[33:34], off
	global_load_dword v28, v[35:36], off offset:-2048
	global_load_dword v30, v[35:36], off
	;; [unrolled: 2-line block ×3, first 2 shown]
	global_load_dword v34, v[37:38], off
	global_load_dword v35, v[37:38], off offset:1024
.LBB1355_910:                           ;   in Loop: Header=BB1355_908 Depth=2
	s_andn2_b32 vcc_lo, exec_lo, s16
	s_movk_i32 s16, 0x1000
	s_cbranch_vccnz .LBB1355_929
; %bb.911:                              ;   in Loop: Header=BB1355_908 Depth=2
	s_lshl_b64 s[16:17], s[46:47], 2
	s_mov_b32 s19, exec_lo
	s_add_u32 s16, s40, s16
	s_addc_u32 s17, s41, s17
	v_cmpx_gt_u32_e64 s5, v0
	s_cbranch_execnz .LBB1355_961
; %bb.912:                              ;   in Loop: Header=BB1355_908 Depth=2
	s_or_b32 exec_lo, exec_lo, s19
	s_mov_b32 s19, exec_lo
	v_cmpx_gt_u32_e64 s5, v42
	s_cbranch_execnz .LBB1355_962
.LBB1355_913:                           ;   in Loop: Header=BB1355_908 Depth=2
	s_or_b32 exec_lo, exec_lo, s19
	s_mov_b32 s19, exec_lo
	v_cmpx_gt_u32_e64 s5, v45
	s_cbranch_execnz .LBB1355_963
.LBB1355_914:                           ;   in Loop: Header=BB1355_908 Depth=2
	s_or_b32 exec_lo, exec_lo, s19
	s_mov_b32 s19, exec_lo
	v_cmpx_gt_u32_e64 s5, v46
	s_cbranch_execnz .LBB1355_964
.LBB1355_915:                           ;   in Loop: Header=BB1355_908 Depth=2
	s_or_b32 exec_lo, exec_lo, s19
	s_mov_b32 s19, exec_lo
	v_cmpx_gt_u32_e64 s5, v47
	s_cbranch_execnz .LBB1355_965
.LBB1355_916:                           ;   in Loop: Header=BB1355_908 Depth=2
	s_or_b32 exec_lo, exec_lo, s19
	s_mov_b32 s19, exec_lo
	v_cmpx_gt_u32_e64 s5, v48
	s_cbranch_execnz .LBB1355_966
.LBB1355_917:                           ;   in Loop: Header=BB1355_908 Depth=2
	s_or_b32 exec_lo, exec_lo, s19
	s_mov_b32 s19, exec_lo
	v_cmpx_gt_u32_e64 s5, v49
	s_cbranch_execnz .LBB1355_967
.LBB1355_918:                           ;   in Loop: Header=BB1355_908 Depth=2
	s_or_b32 exec_lo, exec_lo, s19
	s_mov_b32 s19, exec_lo
	v_cmpx_gt_u32_e64 s5, v50
	s_cbranch_execnz .LBB1355_968
.LBB1355_919:                           ;   in Loop: Header=BB1355_908 Depth=2
	s_or_b32 exec_lo, exec_lo, s19
	s_mov_b32 s19, exec_lo
	v_cmpx_gt_u32_e64 s5, v51
	s_cbranch_execnz .LBB1355_969
.LBB1355_920:                           ;   in Loop: Header=BB1355_908 Depth=2
	s_or_b32 exec_lo, exec_lo, s19
	s_mov_b32 s19, exec_lo
	v_cmpx_gt_u32_e64 s5, v52
	s_cbranch_execnz .LBB1355_970
.LBB1355_921:                           ;   in Loop: Header=BB1355_908 Depth=2
	s_or_b32 exec_lo, exec_lo, s19
	s_mov_b32 s19, exec_lo
	v_cmpx_gt_u32_e64 s5, v53
	s_cbranch_execnz .LBB1355_971
.LBB1355_922:                           ;   in Loop: Header=BB1355_908 Depth=2
	s_or_b32 exec_lo, exec_lo, s19
	s_mov_b32 s19, exec_lo
	v_cmpx_gt_u32_e64 s5, v54
	s_cbranch_execnz .LBB1355_972
.LBB1355_923:                           ;   in Loop: Header=BB1355_908 Depth=2
	s_or_b32 exec_lo, exec_lo, s19
	s_mov_b32 s19, exec_lo
	v_cmpx_gt_u32_e64 s5, v55
	s_cbranch_execnz .LBB1355_973
.LBB1355_924:                           ;   in Loop: Header=BB1355_908 Depth=2
	s_or_b32 exec_lo, exec_lo, s19
	s_mov_b32 s19, exec_lo
	v_cmpx_gt_u32_e64 s5, v56
	s_cbranch_execnz .LBB1355_974
.LBB1355_925:                           ;   in Loop: Header=BB1355_908 Depth=2
	s_or_b32 exec_lo, exec_lo, s19
	s_mov_b32 s19, exec_lo
	v_cmpx_gt_u32_e64 s5, v57
	s_cbranch_execnz .LBB1355_975
.LBB1355_926:                           ;   in Loop: Header=BB1355_908 Depth=2
	s_or_b32 exec_lo, exec_lo, s19
	s_mov_b32 s19, exec_lo
	v_cmpx_gt_u32_e64 s5, v58
	s_cbranch_execz .LBB1355_928
.LBB1355_927:                           ;   in Loop: Header=BB1355_908 Depth=2
	global_load_dword v3, v100, s[16:17]
.LBB1355_928:                           ;   in Loop: Header=BB1355_908 Depth=2
	s_or_b32 exec_lo, exec_lo, s19
	s_waitcnt vmcnt(0)
	v_mov_b32_e32 v20, v19
	v_mov_b32_e32 v21, v18
	;; [unrolled: 1-line block ×16, first 2 shown]
	s_mov_b32 s16, s5
.LBB1355_929:                           ;   in Loop: Header=BB1355_908 Depth=2
	s_waitcnt vmcnt(0)
	v_mov_b32_e32 v3, v35
	v_mov_b32_e32 v5, v34
	v_mov_b32_e32 v6, v32
	v_mov_b32_e32 v7, v33
	v_mov_b32_e32 v8, v29
	v_mov_b32_e32 v9, v31
	v_mov_b32_e32 v10, v27
	v_mov_b32_e32 v11, v30
	v_mov_b32_e32 v12, v25
	v_mov_b32_e32 v13, v28
	v_mov_b32_e32 v14, v23
	v_mov_b32_e32 v15, v26
	v_mov_b32_e32 v16, v22
	v_mov_b32_e32 v17, v24
	v_mov_b32_e32 v18, v21
	v_mov_b32_e32 v19, v20
	s_mov_b32 s17, exec_lo
	v_cmpx_gt_u32_e64 s16, v0
	s_cbranch_execnz .LBB1355_945
; %bb.930:                              ;   in Loop: Header=BB1355_908 Depth=2
	s_or_b32 exec_lo, exec_lo, s17
	s_mov_b32 s17, exec_lo
	v_cmpx_gt_u32_e64 s16, v42
	s_cbranch_execnz .LBB1355_946
.LBB1355_931:                           ;   in Loop: Header=BB1355_908 Depth=2
	s_or_b32 exec_lo, exec_lo, s17
	s_mov_b32 s17, exec_lo
	v_cmpx_gt_u32_e64 s16, v45
	s_cbranch_execnz .LBB1355_947
.LBB1355_932:                           ;   in Loop: Header=BB1355_908 Depth=2
	s_or_b32 exec_lo, exec_lo, s17
	s_mov_b32 s17, exec_lo
	v_cmpx_gt_u32_e64 s16, v46
	s_cbranch_execnz .LBB1355_948
.LBB1355_933:                           ;   in Loop: Header=BB1355_908 Depth=2
	s_or_b32 exec_lo, exec_lo, s17
	s_mov_b32 s17, exec_lo
	v_cmpx_gt_u32_e64 s16, v47
	s_cbranch_execnz .LBB1355_949
.LBB1355_934:                           ;   in Loop: Header=BB1355_908 Depth=2
	s_or_b32 exec_lo, exec_lo, s17
	s_mov_b32 s17, exec_lo
	v_cmpx_gt_u32_e64 s16, v48
	s_cbranch_execnz .LBB1355_950
.LBB1355_935:                           ;   in Loop: Header=BB1355_908 Depth=2
	s_or_b32 exec_lo, exec_lo, s17
	s_mov_b32 s17, exec_lo
	v_cmpx_gt_u32_e64 s16, v49
	s_cbranch_execnz .LBB1355_951
.LBB1355_936:                           ;   in Loop: Header=BB1355_908 Depth=2
	s_or_b32 exec_lo, exec_lo, s17
	s_mov_b32 s17, exec_lo
	v_cmpx_gt_u32_e64 s16, v50
	s_cbranch_execnz .LBB1355_952
.LBB1355_937:                           ;   in Loop: Header=BB1355_908 Depth=2
	s_or_b32 exec_lo, exec_lo, s17
	s_mov_b32 s17, exec_lo
	v_cmpx_gt_u32_e64 s16, v51
	s_cbranch_execnz .LBB1355_953
.LBB1355_938:                           ;   in Loop: Header=BB1355_908 Depth=2
	s_or_b32 exec_lo, exec_lo, s17
	s_mov_b32 s17, exec_lo
	v_cmpx_gt_u32_e64 s16, v52
	s_cbranch_execnz .LBB1355_954
.LBB1355_939:                           ;   in Loop: Header=BB1355_908 Depth=2
	s_or_b32 exec_lo, exec_lo, s17
	s_mov_b32 s17, exec_lo
	v_cmpx_gt_u32_e64 s16, v53
	s_cbranch_execnz .LBB1355_955
.LBB1355_940:                           ;   in Loop: Header=BB1355_908 Depth=2
	s_or_b32 exec_lo, exec_lo, s17
	s_mov_b32 s17, exec_lo
	v_cmpx_gt_u32_e64 s16, v54
	s_cbranch_execnz .LBB1355_956
.LBB1355_941:                           ;   in Loop: Header=BB1355_908 Depth=2
	s_or_b32 exec_lo, exec_lo, s17
	s_mov_b32 s17, exec_lo
	v_cmpx_gt_u32_e64 s16, v55
	s_cbranch_execnz .LBB1355_957
.LBB1355_942:                           ;   in Loop: Header=BB1355_908 Depth=2
	s_or_b32 exec_lo, exec_lo, s17
	s_mov_b32 s17, exec_lo
	v_cmpx_gt_u32_e64 s16, v56
	s_cbranch_execnz .LBB1355_958
.LBB1355_943:                           ;   in Loop: Header=BB1355_908 Depth=2
	s_or_b32 exec_lo, exec_lo, s17
	s_mov_b32 s17, exec_lo
	v_cmpx_gt_u32_e64 s16, v57
	s_cbranch_execnz .LBB1355_959
.LBB1355_944:                           ;   in Loop: Header=BB1355_908 Depth=2
	s_or_b32 exec_lo, exec_lo, s17
	v_cmp_gt_u32_e32 vcc_lo, s16, v58
	s_and_saveexec_b32 s16, vcc_lo
	s_cbranch_execz .LBB1355_907
	s_branch .LBB1355_960
.LBB1355_945:                           ;   in Loop: Header=BB1355_908 Depth=2
	v_cmp_gt_i32_e32 vcc_lo, 0, v19
	v_cndmask_b32_e64 v20, 0x7fffffff, 0, vcc_lo
	v_xor_b32_e32 v20, v20, v19
	v_cmp_ne_u32_e32 vcc_lo, 0x80000000, v20
	v_cndmask_b32_e32 v20, 0x7fffffff, v20, vcc_lo
	v_lshrrev_b32_e32 v20, s53, v20
	v_and_b32_e32 v20, s61, v20
	v_lshl_or_b32 v20, v20, 4, v59
	ds_add_u32 v20, v82
	s_or_b32 exec_lo, exec_lo, s17
	s_mov_b32 s17, exec_lo
	v_cmpx_gt_u32_e64 s16, v42
	s_cbranch_execz .LBB1355_931
.LBB1355_946:                           ;   in Loop: Header=BB1355_908 Depth=2
	v_cmp_gt_i32_e32 vcc_lo, 0, v18
	v_cndmask_b32_e64 v20, 0x7fffffff, 0, vcc_lo
	v_xor_b32_e32 v20, v20, v18
	v_cmp_ne_u32_e32 vcc_lo, 0x80000000, v20
	v_cndmask_b32_e32 v20, 0x7fffffff, v20, vcc_lo
	v_lshrrev_b32_e32 v20, s53, v20
	v_and_b32_e32 v20, s61, v20
	v_lshl_or_b32 v20, v20, 4, v59
	ds_add_u32 v20, v82
	s_or_b32 exec_lo, exec_lo, s17
	s_mov_b32 s17, exec_lo
	v_cmpx_gt_u32_e64 s16, v45
	s_cbranch_execz .LBB1355_932
.LBB1355_947:                           ;   in Loop: Header=BB1355_908 Depth=2
	v_cmp_gt_i32_e32 vcc_lo, 0, v17
	v_cndmask_b32_e64 v20, 0x7fffffff, 0, vcc_lo
	v_xor_b32_e32 v20, v20, v17
	v_cmp_ne_u32_e32 vcc_lo, 0x80000000, v20
	v_cndmask_b32_e32 v20, 0x7fffffff, v20, vcc_lo
	v_lshrrev_b32_e32 v20, s53, v20
	v_and_b32_e32 v20, s61, v20
	v_lshl_or_b32 v20, v20, 4, v59
	ds_add_u32 v20, v82
	s_or_b32 exec_lo, exec_lo, s17
	s_mov_b32 s17, exec_lo
	v_cmpx_gt_u32_e64 s16, v46
	s_cbranch_execz .LBB1355_933
.LBB1355_948:                           ;   in Loop: Header=BB1355_908 Depth=2
	v_cmp_gt_i32_e32 vcc_lo, 0, v16
	v_cndmask_b32_e64 v20, 0x7fffffff, 0, vcc_lo
	v_xor_b32_e32 v20, v20, v16
	v_cmp_ne_u32_e32 vcc_lo, 0x80000000, v20
	v_cndmask_b32_e32 v20, 0x7fffffff, v20, vcc_lo
	v_lshrrev_b32_e32 v20, s53, v20
	v_and_b32_e32 v20, s61, v20
	v_lshl_or_b32 v20, v20, 4, v59
	ds_add_u32 v20, v82
	s_or_b32 exec_lo, exec_lo, s17
	s_mov_b32 s17, exec_lo
	v_cmpx_gt_u32_e64 s16, v47
	s_cbranch_execz .LBB1355_934
.LBB1355_949:                           ;   in Loop: Header=BB1355_908 Depth=2
	v_cmp_gt_i32_e32 vcc_lo, 0, v15
	v_cndmask_b32_e64 v20, 0x7fffffff, 0, vcc_lo
	v_xor_b32_e32 v20, v20, v15
	v_cmp_ne_u32_e32 vcc_lo, 0x80000000, v20
	v_cndmask_b32_e32 v20, 0x7fffffff, v20, vcc_lo
	v_lshrrev_b32_e32 v20, s53, v20
	v_and_b32_e32 v20, s61, v20
	v_lshl_or_b32 v20, v20, 4, v59
	ds_add_u32 v20, v82
	s_or_b32 exec_lo, exec_lo, s17
	s_mov_b32 s17, exec_lo
	v_cmpx_gt_u32_e64 s16, v48
	s_cbranch_execz .LBB1355_935
.LBB1355_950:                           ;   in Loop: Header=BB1355_908 Depth=2
	v_cmp_gt_i32_e32 vcc_lo, 0, v14
	v_cndmask_b32_e64 v20, 0x7fffffff, 0, vcc_lo
	v_xor_b32_e32 v20, v20, v14
	v_cmp_ne_u32_e32 vcc_lo, 0x80000000, v20
	v_cndmask_b32_e32 v20, 0x7fffffff, v20, vcc_lo
	v_lshrrev_b32_e32 v20, s53, v20
	v_and_b32_e32 v20, s61, v20
	v_lshl_or_b32 v20, v20, 4, v59
	ds_add_u32 v20, v82
	s_or_b32 exec_lo, exec_lo, s17
	s_mov_b32 s17, exec_lo
	v_cmpx_gt_u32_e64 s16, v49
	s_cbranch_execz .LBB1355_936
.LBB1355_951:                           ;   in Loop: Header=BB1355_908 Depth=2
	v_cmp_gt_i32_e32 vcc_lo, 0, v13
	v_cndmask_b32_e64 v20, 0x7fffffff, 0, vcc_lo
	v_xor_b32_e32 v20, v20, v13
	v_cmp_ne_u32_e32 vcc_lo, 0x80000000, v20
	v_cndmask_b32_e32 v20, 0x7fffffff, v20, vcc_lo
	v_lshrrev_b32_e32 v20, s53, v20
	v_and_b32_e32 v20, s61, v20
	v_lshl_or_b32 v20, v20, 4, v59
	ds_add_u32 v20, v82
	s_or_b32 exec_lo, exec_lo, s17
	s_mov_b32 s17, exec_lo
	v_cmpx_gt_u32_e64 s16, v50
	s_cbranch_execz .LBB1355_937
.LBB1355_952:                           ;   in Loop: Header=BB1355_908 Depth=2
	v_cmp_gt_i32_e32 vcc_lo, 0, v12
	v_cndmask_b32_e64 v20, 0x7fffffff, 0, vcc_lo
	v_xor_b32_e32 v20, v20, v12
	v_cmp_ne_u32_e32 vcc_lo, 0x80000000, v20
	v_cndmask_b32_e32 v20, 0x7fffffff, v20, vcc_lo
	v_lshrrev_b32_e32 v20, s53, v20
	v_and_b32_e32 v20, s61, v20
	v_lshl_or_b32 v20, v20, 4, v59
	ds_add_u32 v20, v82
	s_or_b32 exec_lo, exec_lo, s17
	s_mov_b32 s17, exec_lo
	v_cmpx_gt_u32_e64 s16, v51
	s_cbranch_execz .LBB1355_938
.LBB1355_953:                           ;   in Loop: Header=BB1355_908 Depth=2
	v_cmp_gt_i32_e32 vcc_lo, 0, v11
	v_cndmask_b32_e64 v20, 0x7fffffff, 0, vcc_lo
	v_xor_b32_e32 v20, v20, v11
	v_cmp_ne_u32_e32 vcc_lo, 0x80000000, v20
	v_cndmask_b32_e32 v20, 0x7fffffff, v20, vcc_lo
	v_lshrrev_b32_e32 v20, s53, v20
	v_and_b32_e32 v20, s61, v20
	v_lshl_or_b32 v20, v20, 4, v59
	ds_add_u32 v20, v82
	s_or_b32 exec_lo, exec_lo, s17
	s_mov_b32 s17, exec_lo
	v_cmpx_gt_u32_e64 s16, v52
	s_cbranch_execz .LBB1355_939
.LBB1355_954:                           ;   in Loop: Header=BB1355_908 Depth=2
	v_cmp_gt_i32_e32 vcc_lo, 0, v10
	v_cndmask_b32_e64 v20, 0x7fffffff, 0, vcc_lo
	v_xor_b32_e32 v20, v20, v10
	v_cmp_ne_u32_e32 vcc_lo, 0x80000000, v20
	v_cndmask_b32_e32 v20, 0x7fffffff, v20, vcc_lo
	v_lshrrev_b32_e32 v20, s53, v20
	v_and_b32_e32 v20, s61, v20
	v_lshl_or_b32 v20, v20, 4, v59
	ds_add_u32 v20, v82
	s_or_b32 exec_lo, exec_lo, s17
	s_mov_b32 s17, exec_lo
	v_cmpx_gt_u32_e64 s16, v53
	s_cbranch_execz .LBB1355_940
.LBB1355_955:                           ;   in Loop: Header=BB1355_908 Depth=2
	v_cmp_gt_i32_e32 vcc_lo, 0, v9
	v_cndmask_b32_e64 v20, 0x7fffffff, 0, vcc_lo
	v_xor_b32_e32 v20, v20, v9
	v_cmp_ne_u32_e32 vcc_lo, 0x80000000, v20
	v_cndmask_b32_e32 v20, 0x7fffffff, v20, vcc_lo
	v_lshrrev_b32_e32 v20, s53, v20
	v_and_b32_e32 v20, s61, v20
	v_lshl_or_b32 v20, v20, 4, v59
	ds_add_u32 v20, v82
	s_or_b32 exec_lo, exec_lo, s17
	s_mov_b32 s17, exec_lo
	v_cmpx_gt_u32_e64 s16, v54
	s_cbranch_execz .LBB1355_941
.LBB1355_956:                           ;   in Loop: Header=BB1355_908 Depth=2
	v_cmp_gt_i32_e32 vcc_lo, 0, v8
	v_cndmask_b32_e64 v20, 0x7fffffff, 0, vcc_lo
	v_xor_b32_e32 v20, v20, v8
	v_cmp_ne_u32_e32 vcc_lo, 0x80000000, v20
	v_cndmask_b32_e32 v20, 0x7fffffff, v20, vcc_lo
	v_lshrrev_b32_e32 v20, s53, v20
	v_and_b32_e32 v20, s61, v20
	v_lshl_or_b32 v20, v20, 4, v59
	ds_add_u32 v20, v82
	s_or_b32 exec_lo, exec_lo, s17
	s_mov_b32 s17, exec_lo
	v_cmpx_gt_u32_e64 s16, v55
	s_cbranch_execz .LBB1355_942
.LBB1355_957:                           ;   in Loop: Header=BB1355_908 Depth=2
	v_cmp_gt_i32_e32 vcc_lo, 0, v7
	v_cndmask_b32_e64 v20, 0x7fffffff, 0, vcc_lo
	v_xor_b32_e32 v20, v20, v7
	v_cmp_ne_u32_e32 vcc_lo, 0x80000000, v20
	v_cndmask_b32_e32 v20, 0x7fffffff, v20, vcc_lo
	v_lshrrev_b32_e32 v20, s53, v20
	v_and_b32_e32 v20, s61, v20
	v_lshl_or_b32 v20, v20, 4, v59
	ds_add_u32 v20, v82
	s_or_b32 exec_lo, exec_lo, s17
	s_mov_b32 s17, exec_lo
	v_cmpx_gt_u32_e64 s16, v56
	s_cbranch_execz .LBB1355_943
.LBB1355_958:                           ;   in Loop: Header=BB1355_908 Depth=2
	v_cmp_gt_i32_e32 vcc_lo, 0, v6
	v_cndmask_b32_e64 v20, 0x7fffffff, 0, vcc_lo
	v_xor_b32_e32 v20, v20, v6
	v_cmp_ne_u32_e32 vcc_lo, 0x80000000, v20
	v_cndmask_b32_e32 v20, 0x7fffffff, v20, vcc_lo
	v_lshrrev_b32_e32 v20, s53, v20
	v_and_b32_e32 v20, s61, v20
	v_lshl_or_b32 v20, v20, 4, v59
	ds_add_u32 v20, v82
	s_or_b32 exec_lo, exec_lo, s17
	s_mov_b32 s17, exec_lo
	v_cmpx_gt_u32_e64 s16, v57
	s_cbranch_execz .LBB1355_944
.LBB1355_959:                           ;   in Loop: Header=BB1355_908 Depth=2
	v_cmp_gt_i32_e32 vcc_lo, 0, v5
	v_cndmask_b32_e64 v20, 0x7fffffff, 0, vcc_lo
	v_xor_b32_e32 v20, v20, v5
	v_cmp_ne_u32_e32 vcc_lo, 0x80000000, v20
	v_cndmask_b32_e32 v20, 0x7fffffff, v20, vcc_lo
	v_lshrrev_b32_e32 v20, s53, v20
	v_and_b32_e32 v20, s61, v20
	v_lshl_or_b32 v20, v20, 4, v59
	ds_add_u32 v20, v82
	s_or_b32 exec_lo, exec_lo, s17
	v_cmp_gt_u32_e32 vcc_lo, s16, v58
	s_and_saveexec_b32 s16, vcc_lo
	s_cbranch_execz .LBB1355_907
.LBB1355_960:                           ;   in Loop: Header=BB1355_908 Depth=2
	v_cmp_gt_i32_e32 vcc_lo, 0, v3
	v_cndmask_b32_e64 v20, 0x7fffffff, 0, vcc_lo
	v_xor_b32_e32 v20, v20, v3
	v_cmp_ne_u32_e32 vcc_lo, 0x80000000, v20
	v_cndmask_b32_e32 v20, 0x7fffffff, v20, vcc_lo
	v_lshrrev_b32_e32 v20, s53, v20
	v_and_b32_e32 v20, s61, v20
	v_lshl_or_b32 v20, v20, 4, v59
	ds_add_u32 v20, v82
	s_branch .LBB1355_907
.LBB1355_961:                           ;   in Loop: Header=BB1355_908 Depth=2
	global_load_dword v19, v86, s[16:17]
	s_or_b32 exec_lo, exec_lo, s19
	s_mov_b32 s19, exec_lo
	v_cmpx_gt_u32_e64 s5, v42
	s_cbranch_execz .LBB1355_913
.LBB1355_962:                           ;   in Loop: Header=BB1355_908 Depth=2
	global_load_dword v18, v86, s[16:17] offset:1024
	s_or_b32 exec_lo, exec_lo, s19
	s_mov_b32 s19, exec_lo
	v_cmpx_gt_u32_e64 s5, v45
	s_cbranch_execz .LBB1355_914
.LBB1355_963:                           ;   in Loop: Header=BB1355_908 Depth=2
	global_load_dword v17, v87, s[16:17]
	s_or_b32 exec_lo, exec_lo, s19
	s_mov_b32 s19, exec_lo
	v_cmpx_gt_u32_e64 s5, v46
	s_cbranch_execz .LBB1355_915
.LBB1355_964:                           ;   in Loop: Header=BB1355_908 Depth=2
	global_load_dword v16, v88, s[16:17]
	s_or_b32 exec_lo, exec_lo, s19
	s_mov_b32 s19, exec_lo
	v_cmpx_gt_u32_e64 s5, v47
	s_cbranch_execz .LBB1355_916
.LBB1355_965:                           ;   in Loop: Header=BB1355_908 Depth=2
	global_load_dword v15, v89, s[16:17]
	s_or_b32 exec_lo, exec_lo, s19
	s_mov_b32 s19, exec_lo
	v_cmpx_gt_u32_e64 s5, v48
	s_cbranch_execz .LBB1355_917
.LBB1355_966:                           ;   in Loop: Header=BB1355_908 Depth=2
	global_load_dword v14, v90, s[16:17]
	s_or_b32 exec_lo, exec_lo, s19
	s_mov_b32 s19, exec_lo
	v_cmpx_gt_u32_e64 s5, v49
	s_cbranch_execz .LBB1355_918
.LBB1355_967:                           ;   in Loop: Header=BB1355_908 Depth=2
	global_load_dword v13, v91, s[16:17]
	s_or_b32 exec_lo, exec_lo, s19
	s_mov_b32 s19, exec_lo
	v_cmpx_gt_u32_e64 s5, v50
	s_cbranch_execz .LBB1355_919
.LBB1355_968:                           ;   in Loop: Header=BB1355_908 Depth=2
	global_load_dword v12, v92, s[16:17]
	s_or_b32 exec_lo, exec_lo, s19
	s_mov_b32 s19, exec_lo
	v_cmpx_gt_u32_e64 s5, v51
	s_cbranch_execz .LBB1355_920
.LBB1355_969:                           ;   in Loop: Header=BB1355_908 Depth=2
	global_load_dword v11, v93, s[16:17]
	s_or_b32 exec_lo, exec_lo, s19
	s_mov_b32 s19, exec_lo
	v_cmpx_gt_u32_e64 s5, v52
	s_cbranch_execz .LBB1355_921
.LBB1355_970:                           ;   in Loop: Header=BB1355_908 Depth=2
	global_load_dword v10, v94, s[16:17]
	s_or_b32 exec_lo, exec_lo, s19
	s_mov_b32 s19, exec_lo
	v_cmpx_gt_u32_e64 s5, v53
	s_cbranch_execz .LBB1355_922
.LBB1355_971:                           ;   in Loop: Header=BB1355_908 Depth=2
	global_load_dword v9, v95, s[16:17]
	s_or_b32 exec_lo, exec_lo, s19
	s_mov_b32 s19, exec_lo
	v_cmpx_gt_u32_e64 s5, v54
	s_cbranch_execz .LBB1355_923
.LBB1355_972:                           ;   in Loop: Header=BB1355_908 Depth=2
	global_load_dword v8, v96, s[16:17]
	s_or_b32 exec_lo, exec_lo, s19
	s_mov_b32 s19, exec_lo
	v_cmpx_gt_u32_e64 s5, v55
	s_cbranch_execz .LBB1355_924
.LBB1355_973:                           ;   in Loop: Header=BB1355_908 Depth=2
	global_load_dword v7, v97, s[16:17]
	s_or_b32 exec_lo, exec_lo, s19
	s_mov_b32 s19, exec_lo
	v_cmpx_gt_u32_e64 s5, v56
	s_cbranch_execz .LBB1355_925
.LBB1355_974:                           ;   in Loop: Header=BB1355_908 Depth=2
	global_load_dword v6, v98, s[16:17]
	s_or_b32 exec_lo, exec_lo, s19
	s_mov_b32 s19, exec_lo
	v_cmpx_gt_u32_e64 s5, v57
	s_cbranch_execz .LBB1355_926
.LBB1355_975:                           ;   in Loop: Header=BB1355_908 Depth=2
	global_load_dword v5, v99, s[16:17]
	s_or_b32 exec_lo, exec_lo, s19
	s_mov_b32 s19, exec_lo
	v_cmpx_gt_u32_e64 s5, v58
	s_cbranch_execnz .LBB1355_927
	s_branch .LBB1355_928
.LBB1355_976:                           ;   in Loop: Header=BB1355_20 Depth=1
	v_mov_b32_e32 v3, 0
	s_waitcnt lgkmcnt(0)
	s_barrier
	buffer_gl0_inv
	s_and_saveexec_b32 s5, s8
	s_cbranch_execz .LBB1355_978
; %bb.977:                              ;   in Loop: Header=BB1355_20 Depth=1
	ds_read2_b64 v[5:8], v61 offset1:1
	s_waitcnt lgkmcnt(0)
	v_add_nc_u32_e32 v3, v6, v5
	v_add3_u32 v3, v3, v7, v8
.LBB1355_978:                           ;   in Loop: Header=BB1355_20 Depth=1
	s_or_b32 exec_lo, exec_lo, s5
	v_mov_b32_dpp v5, v3 row_shr:1 row_mask:0xf bank_mask:0xf
	v_cmp_eq_u32_e64 s5, 0, v83
	v_cmp_lt_u32_e64 s16, 1, v83
	v_cmp_lt_u32_e64 s17, 3, v83
	;; [unrolled: 1-line block ×3, first 2 shown]
	v_cmp_eq_u32_e64 s19, 0, v85
	v_cndmask_b32_e64 v5, v5, 0, s5
	v_add_nc_u32_e32 v3, v5, v3
	v_mov_b32_dpp v5, v3 row_shr:2 row_mask:0xf bank_mask:0xf
	v_cndmask_b32_e64 v5, 0, v5, s16
	v_add_nc_u32_e32 v3, v3, v5
	v_mov_b32_dpp v5, v3 row_shr:4 row_mask:0xf bank_mask:0xf
	;; [unrolled: 3-line block ×3, first 2 shown]
	v_cndmask_b32_e64 v5, 0, v5, s18
	v_add_nc_u32_e32 v3, v3, v5
	ds_swizzle_b32 v5, v3 offset:swizzle(BROADCAST,32,15)
	s_waitcnt lgkmcnt(0)
	v_and_b32_e32 v5, v84, v5
	v_add_nc_u32_e32 v3, v3, v5
	s_and_saveexec_b32 s20, s9
; %bb.979:                              ;   in Loop: Header=BB1355_20 Depth=1
	ds_write_b32 v62, v3
; %bb.980:                              ;   in Loop: Header=BB1355_20 Depth=1
	s_or_b32 exec_lo, exec_lo, s20
	s_waitcnt lgkmcnt(0)
	s_barrier
	buffer_gl0_inv
	s_and_saveexec_b32 s20, s10
	s_cbranch_execz .LBB1355_982
; %bb.981:                              ;   in Loop: Header=BB1355_20 Depth=1
	ds_read_b32 v5, v63
	v_cmp_ne_u32_e32 vcc_lo, 0, v101
	s_waitcnt lgkmcnt(0)
	v_mov_b32_dpp v6, v5 row_shr:1 row_mask:0xf bank_mask:0xf
	v_cndmask_b32_e32 v6, 0, v6, vcc_lo
	v_cmp_lt_u32_e32 vcc_lo, 1, v101
	v_add_nc_u32_e32 v5, v6, v5
	v_mov_b32_dpp v6, v5 row_shr:2 row_mask:0xf bank_mask:0xf
	v_cndmask_b32_e32 v6, 0, v6, vcc_lo
	v_add_nc_u32_e32 v5, v5, v6
	ds_write_b32 v63, v5
.LBB1355_982:                           ;   in Loop: Header=BB1355_20 Depth=1
	s_or_b32 exec_lo, exec_lo, s20
	v_mov_b32_e32 v5, 0
	s_waitcnt lgkmcnt(0)
	s_barrier
	buffer_gl0_inv
	s_and_saveexec_b32 s20, s11
; %bb.983:                              ;   in Loop: Header=BB1355_20 Depth=1
	ds_read_b32 v5, v64
; %bb.984:                              ;   in Loop: Header=BB1355_20 Depth=1
	s_or_b32 exec_lo, exec_lo, s20
	v_cmp_gt_i32_e32 vcc_lo, 0, v103
	s_waitcnt lgkmcnt(0)
	v_add_nc_u32_e32 v3, v5, v3
	s_barrier
	buffer_gl0_inv
	v_cndmask_b32_e32 v6, v103, v79, vcc_lo
	v_lshlrev_b32_e32 v126, 2, v6
	ds_bpermute_b32 v3, v126, v3
	s_and_saveexec_b32 s20, s8
	s_cbranch_execz .LBB1355_986
; %bb.985:                              ;   in Loop: Header=BB1355_20 Depth=1
	s_waitcnt lgkmcnt(0)
	v_cndmask_b32_e64 v3, v3, v5, s15
	v_add_nc_u32_e32 v3, s58, v3
	ds_write_b32 v41, v3
.LBB1355_986:                           ;   in Loop: Header=BB1355_20 Depth=1
	s_or_b32 exec_lo, exec_lo, s20
	s_load_dwordx2 s[20:21], s[56:57], 0x0
	v_add_co_u32 v127, vcc_lo, v77, v102
	v_add_co_ci_u32_e64 v128, null, 0, v78, vcc_lo
	v_add_co_u32 v129, vcc_lo, v80, v120
	v_add_co_ci_u32_e64 v130, null, 0, v81, vcc_lo
	s_mov_b32 s62, s60
	s_mov_b32 s46, s58
                                        ; implicit-def: $vgpr7_vgpr8
                                        ; implicit-def: $vgpr9_vgpr10
                                        ; implicit-def: $vgpr11_vgpr12
                                        ; implicit-def: $vgpr13_vgpr14
                                        ; implicit-def: $vgpr17_vgpr18
                                        ; implicit-def: $vgpr21_vgpr22
                                        ; implicit-def: $vgpr25_vgpr26
                                        ; implicit-def: $vgpr15_vgpr16
                                        ; implicit-def: $vgpr19_vgpr20
                                        ; implicit-def: $vgpr23_vgpr24
                                        ; implicit-def: $vgpr27_vgpr28
                                        ; implicit-def: $vgpr29_vgpr30
                                        ; implicit-def: $vgpr31_vgpr32
                                        ; implicit-def: $vgpr33_vgpr34
                                        ; implicit-def: $vgpr35_vgpr36
                                        ; implicit-def: $vgpr132
                                        ; implicit-def: $vgpr133
                                        ; implicit-def: $vgpr134
                                        ; implicit-def: $vgpr135
                                        ; implicit-def: $vgpr136
                                        ; implicit-def: $vgpr137
                                        ; implicit-def: $vgpr138
                                        ; implicit-def: $vgpr139
                                        ; implicit-def: $vgpr140
                                        ; implicit-def: $vgpr141
                                        ; implicit-def: $vgpr142
                                        ; implicit-def: $vgpr143
                                        ; implicit-def: $vgpr145
                                        ; implicit-def: $vgpr146
                                        ; implicit-def: $vgpr147
                                        ; implicit-def: $vgpr148
                                        ; implicit-def: $vgpr144
                                        ; implicit-def: $vgpr149
	s_waitcnt lgkmcnt(0)
	s_cmp_lt_u32 s7, s21
	s_cselect_b32 s21, 14, 20
	s_add_u32 s22, s56, s21
	s_addc_u32 s23, s57, 0
	s_cmp_lt_u32 s6, s20
	global_load_ushort v3, v4, s[22:23]
	s_cselect_b32 s20, 12, 18
	s_add_u32 s20, s56, s20
	s_addc_u32 s21, s57, 0
	global_load_ushort v5, v4, s[20:21]
	v_cmp_eq_u32_e64 s20, 0, v104
	v_cmp_lt_u32_e64 s21, 1, v104
	v_cmp_lt_u32_e64 s22, 3, v104
	s_waitcnt vmcnt(1)
	v_mad_u32_u24 v3, v2, v3, v1
	s_waitcnt vmcnt(0)
	v_mad_u64_u32 v[5:6], null, v3, v5, v[0:1]
	v_lshrrev_b32_e32 v3, 3, v5
                                        ; implicit-def: $vgpr5_vgpr6
	v_and_b32_e32 v131, 0x1ffffffc, v3
	s_branch .LBB1355_988
.LBB1355_987:                           ;   in Loop: Header=BB1355_988 Depth=2
	s_or_b32 exec_lo, exec_lo, s23
	s_addk_i32 s62, 0xf000
	s_cmp_lt_u32 s63, s59
	s_mov_b32 s46, s63
	s_cbranch_scc0 .LBB1355_18
.LBB1355_988:                           ;   Parent Loop BB1355_20 Depth=1
                                        ; =>  This Inner Loop Header: Depth=2
	s_add_i32 s63, s46, 0x1000
	s_cmp_gt_u32 s63, s59
	s_cbranch_scc1 .LBB1355_990
; %bb.989:                              ;   in Loop: Header=BB1355_988 Depth=2
	s_lshl_b64 s[24:25], s[46:47], 2
	s_mov_b32 s23, -1
	v_add_co_u32 v37, vcc_lo, v129, s24
	v_add_co_ci_u32_e64 v38, null, s25, v130, vcc_lo
	s_clause 0xe
	global_load_dword v3, v[37:38], off
	global_load_dword v151, v[37:38], off offset:128
	global_load_dword v154, v[37:38], off offset:256
	;; [unrolled: 1-line block ×14, first 2 shown]
	s_movk_i32 s24, 0x1000
	s_cbranch_execz .LBB1355_991
	s_branch .LBB1355_1022
.LBB1355_990:                           ;   in Loop: Header=BB1355_988 Depth=2
	s_mov_b32 s23, 0
                                        ; implicit-def: $vgpr3
                                        ; implicit-def: $vgpr151
                                        ; implicit-def: $vgpr154
                                        ; implicit-def: $vgpr158
                                        ; implicit-def: $vgpr162
                                        ; implicit-def: $vgpr168
                                        ; implicit-def: $vgpr173
                                        ; implicit-def: $vgpr178
                                        ; implicit-def: $vgpr181
                                        ; implicit-def: $vgpr176
                                        ; implicit-def: $vgpr172
                                        ; implicit-def: $vgpr167
                                        ; implicit-def: $vgpr164
                                        ; implicit-def: $vgpr40
                                        ; implicit-def: $vgpr39
	s_movk_i32 s24, 0x1000
.LBB1355_991:                           ;   in Loop: Header=BB1355_988 Depth=2
	s_lshl_b64 s[24:25], s[46:47], 2
	s_waitcnt vmcnt(13)
	v_mov_b32_e32 v151, -1
	v_add_co_u32 v37, vcc_lo, v129, s24
	v_add_co_ci_u32_e64 v38, null, s25, v130, vcc_lo
	v_mov_b32_e32 v3, -1
	s_mov_b32 s23, exec_lo
	v_cmpx_gt_u32_e64 s62, v105
	s_cbranch_execz .LBB1355_993
; %bb.992:                              ;   in Loop: Header=BB1355_988 Depth=2
	global_load_dword v3, v[37:38], off
.LBB1355_993:                           ;   in Loop: Header=BB1355_988 Depth=2
	s_or_b32 exec_lo, exec_lo, s23
	s_mov_b32 s23, exec_lo
	v_cmpx_gt_u32_e64 s62, v108
	s_cbranch_execz .LBB1355_995
; %bb.994:                              ;   in Loop: Header=BB1355_988 Depth=2
	global_load_dword v151, v[37:38], off offset:128
.LBB1355_995:                           ;   in Loop: Header=BB1355_988 Depth=2
	s_or_b32 exec_lo, exec_lo, s23
	s_waitcnt vmcnt(11)
	v_mov_b32_e32 v158, -1
	v_mov_b32_e32 v154, -1
	s_mov_b32 s23, exec_lo
	v_cmpx_gt_u32_e64 s62, v109
	s_cbranch_execz .LBB1355_997
; %bb.996:                              ;   in Loop: Header=BB1355_988 Depth=2
	global_load_dword v154, v[37:38], off offset:256
.LBB1355_997:                           ;   in Loop: Header=BB1355_988 Depth=2
	s_or_b32 exec_lo, exec_lo, s23
	s_mov_b32 s23, exec_lo
	v_cmpx_gt_u32_e64 s62, v110
	s_cbranch_execz .LBB1355_999
; %bb.998:                              ;   in Loop: Header=BB1355_988 Depth=2
	global_load_dword v158, v[37:38], off offset:384
.LBB1355_999:                           ;   in Loop: Header=BB1355_988 Depth=2
	s_or_b32 exec_lo, exec_lo, s23
	s_waitcnt vmcnt(9)
	v_mov_b32_e32 v168, -1
	v_mov_b32_e32 v162, -1
	s_mov_b32 s23, exec_lo
	v_cmpx_gt_u32_e64 s62, v111
	s_cbranch_execz .LBB1355_1001
; %bb.1000:                             ;   in Loop: Header=BB1355_988 Depth=2
	global_load_dword v162, v[37:38], off offset:512
.LBB1355_1001:                          ;   in Loop: Header=BB1355_988 Depth=2
	s_or_b32 exec_lo, exec_lo, s23
	s_mov_b32 s23, exec_lo
	v_cmpx_gt_u32_e64 s62, v112
	s_cbranch_execz .LBB1355_1003
; %bb.1002:                             ;   in Loop: Header=BB1355_988 Depth=2
	global_load_dword v168, v[37:38], off offset:640
.LBB1355_1003:                          ;   in Loop: Header=BB1355_988 Depth=2
	s_or_b32 exec_lo, exec_lo, s23
	s_waitcnt vmcnt(7)
	v_mov_b32_e32 v178, -1
	v_mov_b32_e32 v173, -1
	s_mov_b32 s23, exec_lo
	v_cmpx_gt_u32_e64 s62, v113
	s_cbranch_execz .LBB1355_1005
; %bb.1004:                             ;   in Loop: Header=BB1355_988 Depth=2
	global_load_dword v173, v[37:38], off offset:768
.LBB1355_1005:                          ;   in Loop: Header=BB1355_988 Depth=2
	s_or_b32 exec_lo, exec_lo, s23
	s_mov_b32 s23, exec_lo
	v_cmpx_gt_u32_e64 s62, v114
	s_cbranch_execz .LBB1355_1007
; %bb.1006:                             ;   in Loop: Header=BB1355_988 Depth=2
	global_load_dword v178, v[37:38], off offset:896
.LBB1355_1007:                          ;   in Loop: Header=BB1355_988 Depth=2
	;; [unrolled: 17-line block ×5, first 2 shown]
	s_or_b32 exec_lo, exec_lo, s23
	s_waitcnt vmcnt(0)
	v_mov_b32_e32 v39, -1
	s_mov_b32 s23, exec_lo
	v_cmpx_gt_u32_e64 s62, v122
	s_cbranch_execz .LBB1355_1021
; %bb.1020:                             ;   in Loop: Header=BB1355_988 Depth=2
	global_load_dword v39, v[37:38], off offset:1792
.LBB1355_1021:                          ;   in Loop: Header=BB1355_988 Depth=2
	s_or_b32 exec_lo, exec_lo, s23
	v_cmp_gt_u32_e64 s23, s62, v123
	s_sub_i32 s24, s59, s46
.LBB1355_1022:                          ;   in Loop: Header=BB1355_988 Depth=2
	v_mov_b32_e32 v37, -1
	v_mov_b32_e32 v150, s62
	s_and_saveexec_b32 s25, s23
	s_cbranch_execz .LBB1355_1024
; %bb.1023:                             ;   in Loop: Header=BB1355_988 Depth=2
	s_lshl_b64 s[26:27], s[46:47], 2
	v_mov_b32_e32 v150, s24
	v_add_co_u32 v37, vcc_lo, v129, s26
	v_add_co_ci_u32_e64 v38, null, s27, v130, vcc_lo
	global_load_dword v37, v[37:38], off offset:1920
.LBB1355_1024:                          ;   in Loop: Header=BB1355_988 Depth=2
	s_or_b32 exec_lo, exec_lo, s25
	s_waitcnt vmcnt(14)
	v_cmp_gt_i32_e32 vcc_lo, 0, v3
	ds_write2_b32 v65, v4, v4 offset0:136 offset1:137
	ds_write2_b32 v65, v4, v4 offset0:138 offset1:139
	ds_write_b32 v65, v4 offset:560
	s_waitcnt vmcnt(0) lgkmcnt(0)
	s_barrier
	v_cndmask_b32_e64 v38, 0x7fffffff, 0, vcc_lo
	buffer_gl0_inv
	; wave barrier
	v_xor_b32_e32 v3, v38, v3
	v_cmp_ne_u32_e32 vcc_lo, 0x80000000, v3
	v_cndmask_b32_e32 v38, 0x7fffffff, v3, vcc_lo
	v_lshrrev_b32_e32 v38, s53, v38
	v_and_b32_e32 v153, s61, v38
	v_and_b32_e32 v38, 1, v153
	v_lshlrev_b32_e32 v152, 30, v153
	v_lshlrev_b32_e32 v155, 29, v153
	;; [unrolled: 1-line block ×4, first 2 shown]
	v_add_co_u32 v38, s23, v38, -1
	v_cndmask_b32_e64 v156, 0, 1, s23
	v_not_b32_e32 v161, v152
	v_cmp_gt_i32_e64 s23, 0, v152
	v_not_b32_e32 v152, v155
	v_lshlrev_b32_e32 v160, 26, v153
	v_cmp_ne_u32_e32 vcc_lo, 0, v156
	v_ashrrev_i32_e32 v161, 31, v161
	v_lshlrev_b32_e32 v156, 25, v153
	v_ashrrev_i32_e32 v152, 31, v152
	v_mul_u32_u24_e32 v153, 36, v153
	v_xor_b32_e32 v38, vcc_lo, v38
	v_cmp_gt_i32_e32 vcc_lo, 0, v155
	v_not_b32_e32 v155, v157
	v_xor_b32_e32 v161, s23, v161
	v_cmp_gt_i32_e64 s23, 0, v157
	v_and_b32_e32 v38, exec_lo, v38
	v_not_b32_e32 v157, v159
	v_ashrrev_i32_e32 v155, 31, v155
	v_xor_b32_e32 v152, vcc_lo, v152
	v_cmp_gt_i32_e32 vcc_lo, 0, v159
	v_and_b32_e32 v38, v38, v161
	v_not_b32_e32 v159, v160
	v_ashrrev_i32_e32 v157, 31, v157
	v_xor_b32_e32 v155, s23, v155
	v_cmp_gt_i32_e64 s23, 0, v160
	v_and_b32_e32 v38, v38, v152
	v_not_b32_e32 v152, v156
	v_ashrrev_i32_e32 v159, 31, v159
	v_xor_b32_e32 v157, vcc_lo, v157
	v_cmp_gt_i32_e32 vcc_lo, 0, v156
	v_and_b32_e32 v38, v38, v155
	v_ashrrev_i32_e32 v152, 31, v152
	v_xor_b32_e32 v155, s23, v159
	v_add_nc_u32_e32 v153, v131, v153
	v_and_b32_e32 v38, v38, v157
	v_xor_b32_e32 v152, vcc_lo, v152
	v_and_b32_e32 v38, v38, v155
	v_and_b32_e32 v38, v38, v152
	v_mbcnt_lo_u32_b32 v152, v38, 0
	v_cmp_ne_u32_e64 s23, 0, v38
	v_cmp_eq_u32_e32 vcc_lo, 0, v152
	s_and_b32 s24, s23, vcc_lo
	s_and_saveexec_b32 s23, s24
; %bb.1025:                             ;   in Loop: Header=BB1355_988 Depth=2
	v_bcnt_u32_b32 v38, v38, 0
	ds_write_b32 v153, v38 offset:544
; %bb.1026:                             ;   in Loop: Header=BB1355_988 Depth=2
	s_or_b32 exec_lo, exec_lo, s23
	v_cmp_gt_i32_e32 vcc_lo, 0, v151
	; wave barrier
	v_cndmask_b32_e64 v38, 0x7fffffff, 0, vcc_lo
	v_xor_b32_e32 v151, v38, v151
	v_cmp_ne_u32_e32 vcc_lo, 0x80000000, v151
	v_cndmask_b32_e32 v38, 0x7fffffff, v151, vcc_lo
	v_lshrrev_b32_e32 v38, s53, v38
	v_and_b32_e32 v157, s61, v38
	v_and_b32_e32 v38, 1, v157
	v_lshlrev_b32_e32 v155, 30, v157
	v_lshlrev_b32_e32 v156, 29, v157
	;; [unrolled: 1-line block ×4, first 2 shown]
	v_add_co_u32 v38, s23, v38, -1
	v_cndmask_b32_e64 v159, 0, 1, s23
	v_not_b32_e32 v165, v155
	v_cmp_gt_i32_e64 s23, 0, v155
	v_not_b32_e32 v155, v156
	v_lshlrev_b32_e32 v163, 26, v157
	v_cmp_ne_u32_e32 vcc_lo, 0, v159
	v_ashrrev_i32_e32 v165, 31, v165
	v_lshlrev_b32_e32 v159, 25, v157
	v_ashrrev_i32_e32 v155, 31, v155
	v_xor_b32_e32 v38, vcc_lo, v38
	v_cmp_gt_i32_e32 vcc_lo, 0, v156
	v_not_b32_e32 v156, v160
	v_xor_b32_e32 v165, s23, v165
	v_cmp_gt_i32_e64 s23, 0, v160
	v_and_b32_e32 v38, exec_lo, v38
	v_not_b32_e32 v160, v161
	v_ashrrev_i32_e32 v156, 31, v156
	v_xor_b32_e32 v155, vcc_lo, v155
	v_cmp_gt_i32_e32 vcc_lo, 0, v161
	v_and_b32_e32 v38, v38, v165
	v_not_b32_e32 v161, v163
	v_ashrrev_i32_e32 v160, 31, v160
	v_xor_b32_e32 v156, s23, v156
	v_cmp_gt_i32_e64 s23, 0, v163
	v_and_b32_e32 v38, v38, v155
	v_not_b32_e32 v155, v159
	v_ashrrev_i32_e32 v161, 31, v161
	v_xor_b32_e32 v160, vcc_lo, v160
	v_cmp_gt_i32_e32 vcc_lo, 0, v159
	v_and_b32_e32 v38, v38, v156
	v_ashrrev_i32_e32 v155, 31, v155
	v_xor_b32_e32 v156, s23, v161
	v_mad_u32_u24 v159, v157, 36, v131
	v_mul_u32_u24_e32 v157, 36, v157
	v_and_b32_e32 v38, v38, v160
	v_xor_b32_e32 v160, vcc_lo, v155
	ds_read_b32 v155, v159 offset:544
	v_add_nc_u32_e32 v157, v131, v157
	v_and_b32_e32 v38, v38, v156
	; wave barrier
	v_and_b32_e32 v38, v38, v160
	v_mbcnt_lo_u32_b32 v156, v38, 0
	v_cmp_ne_u32_e64 s23, 0, v38
	v_cmp_eq_u32_e32 vcc_lo, 0, v156
	s_and_b32 s24, s23, vcc_lo
	s_and_saveexec_b32 s23, s24
	s_cbranch_execz .LBB1355_1028
; %bb.1027:                             ;   in Loop: Header=BB1355_988 Depth=2
	s_waitcnt lgkmcnt(0)
	v_bcnt_u32_b32 v38, v38, v155
	ds_write_b32 v157, v38 offset:544
.LBB1355_1028:                          ;   in Loop: Header=BB1355_988 Depth=2
	s_or_b32 exec_lo, exec_lo, s23
	v_cmp_gt_i32_e32 vcc_lo, 0, v154
	; wave barrier
	v_cndmask_b32_e64 v38, 0x7fffffff, 0, vcc_lo
	v_xor_b32_e32 v154, v38, v154
	v_cmp_ne_u32_e32 vcc_lo, 0x80000000, v154
	v_cndmask_b32_e32 v38, 0x7fffffff, v154, vcc_lo
	v_lshrrev_b32_e32 v38, s53, v38
	v_and_b32_e32 v161, s61, v38
	v_and_b32_e32 v38, 1, v161
	v_lshlrev_b32_e32 v159, 30, v161
	v_lshlrev_b32_e32 v160, 29, v161
	;; [unrolled: 1-line block ×4, first 2 shown]
	v_add_co_u32 v38, s23, v38, -1
	v_cndmask_b32_e64 v163, 0, 1, s23
	v_not_b32_e32 v170, v159
	v_cmp_gt_i32_e64 s23, 0, v159
	v_not_b32_e32 v159, v160
	v_lshlrev_b32_e32 v169, 26, v161
	v_cmp_ne_u32_e32 vcc_lo, 0, v163
	v_ashrrev_i32_e32 v170, 31, v170
	v_lshlrev_b32_e32 v163, 25, v161
	v_ashrrev_i32_e32 v159, 31, v159
	v_xor_b32_e32 v38, vcc_lo, v38
	v_cmp_gt_i32_e32 vcc_lo, 0, v160
	v_not_b32_e32 v160, v165
	v_xor_b32_e32 v170, s23, v170
	v_cmp_gt_i32_e64 s23, 0, v165
	v_and_b32_e32 v38, exec_lo, v38
	v_not_b32_e32 v165, v166
	v_ashrrev_i32_e32 v160, 31, v160
	v_xor_b32_e32 v159, vcc_lo, v159
	v_cmp_gt_i32_e32 vcc_lo, 0, v166
	v_and_b32_e32 v38, v38, v170
	v_not_b32_e32 v166, v169
	v_ashrrev_i32_e32 v165, 31, v165
	v_xor_b32_e32 v160, s23, v160
	v_cmp_gt_i32_e64 s23, 0, v169
	v_and_b32_e32 v38, v38, v159
	v_not_b32_e32 v159, v163
	v_ashrrev_i32_e32 v166, 31, v166
	v_xor_b32_e32 v165, vcc_lo, v165
	v_cmp_gt_i32_e32 vcc_lo, 0, v163
	v_and_b32_e32 v38, v38, v160
	v_ashrrev_i32_e32 v159, 31, v159
	v_xor_b32_e32 v160, s23, v166
	v_mad_u32_u24 v163, v161, 36, v131
	v_mul_u32_u24_e32 v161, 36, v161
	v_and_b32_e32 v38, v38, v165
	v_xor_b32_e32 v165, vcc_lo, v159
	ds_read_b32 v159, v163 offset:544
	v_add_nc_u32_e32 v161, v131, v161
	v_and_b32_e32 v38, v38, v160
	; wave barrier
	v_and_b32_e32 v38, v38, v165
	v_mbcnt_lo_u32_b32 v160, v38, 0
	v_cmp_ne_u32_e64 s23, 0, v38
	v_cmp_eq_u32_e32 vcc_lo, 0, v160
	s_and_b32 s24, s23, vcc_lo
	s_and_saveexec_b32 s23, s24
	s_cbranch_execz .LBB1355_1030
; %bb.1029:                             ;   in Loop: Header=BB1355_988 Depth=2
	s_waitcnt lgkmcnt(0)
	v_bcnt_u32_b32 v38, v38, v159
	ds_write_b32 v161, v38 offset:544
.LBB1355_1030:                          ;   in Loop: Header=BB1355_988 Depth=2
	s_or_b32 exec_lo, exec_lo, s23
	v_cmp_gt_i32_e32 vcc_lo, 0, v158
	; wave barrier
	v_cndmask_b32_e64 v38, 0x7fffffff, 0, vcc_lo
	v_xor_b32_e32 v158, v38, v158
	v_cmp_ne_u32_e32 vcc_lo, 0x80000000, v158
	v_cndmask_b32_e32 v38, 0x7fffffff, v158, vcc_lo
	v_lshrrev_b32_e32 v38, s53, v38
	v_and_b32_e32 v166, s61, v38
	v_and_b32_e32 v38, 1, v166
	v_lshlrev_b32_e32 v163, 30, v166
	v_lshlrev_b32_e32 v165, 29, v166
	;; [unrolled: 1-line block ×4, first 2 shown]
	v_add_co_u32 v38, s23, v38, -1
	v_cndmask_b32_e64 v169, 0, 1, s23
	v_not_b32_e32 v175, v163
	v_cmp_gt_i32_e64 s23, 0, v163
	v_not_b32_e32 v163, v165
	v_lshlrev_b32_e32 v174, 26, v166
	v_cmp_ne_u32_e32 vcc_lo, 0, v169
	v_ashrrev_i32_e32 v175, 31, v175
	v_lshlrev_b32_e32 v169, 25, v166
	v_ashrrev_i32_e32 v163, 31, v163
	v_xor_b32_e32 v38, vcc_lo, v38
	v_cmp_gt_i32_e32 vcc_lo, 0, v165
	v_not_b32_e32 v165, v170
	v_xor_b32_e32 v175, s23, v175
	v_cmp_gt_i32_e64 s23, 0, v170
	v_and_b32_e32 v38, exec_lo, v38
	v_not_b32_e32 v170, v171
	v_ashrrev_i32_e32 v165, 31, v165
	v_xor_b32_e32 v163, vcc_lo, v163
	v_cmp_gt_i32_e32 vcc_lo, 0, v171
	v_and_b32_e32 v38, v38, v175
	v_not_b32_e32 v171, v174
	v_ashrrev_i32_e32 v170, 31, v170
	v_xor_b32_e32 v165, s23, v165
	v_cmp_gt_i32_e64 s23, 0, v174
	v_and_b32_e32 v38, v38, v163
	v_not_b32_e32 v163, v169
	v_ashrrev_i32_e32 v171, 31, v171
	v_xor_b32_e32 v170, vcc_lo, v170
	v_cmp_gt_i32_e32 vcc_lo, 0, v169
	v_and_b32_e32 v38, v38, v165
	v_ashrrev_i32_e32 v163, 31, v163
	v_xor_b32_e32 v165, s23, v171
	v_mad_u32_u24 v169, v166, 36, v131
	v_mul_u32_u24_e32 v166, 36, v166
	v_and_b32_e32 v38, v38, v170
	v_xor_b32_e32 v170, vcc_lo, v163
	ds_read_b32 v163, v169 offset:544
	v_add_nc_u32_e32 v166, v131, v166
	v_and_b32_e32 v38, v38, v165
	; wave barrier
	v_and_b32_e32 v38, v38, v170
	v_mbcnt_lo_u32_b32 v165, v38, 0
	v_cmp_ne_u32_e64 s23, 0, v38
	v_cmp_eq_u32_e32 vcc_lo, 0, v165
	s_and_b32 s24, s23, vcc_lo
	s_and_saveexec_b32 s23, s24
	s_cbranch_execz .LBB1355_1032
; %bb.1031:                             ;   in Loop: Header=BB1355_988 Depth=2
	s_waitcnt lgkmcnt(0)
	v_bcnt_u32_b32 v38, v38, v163
	ds_write_b32 v166, v38 offset:544
.LBB1355_1032:                          ;   in Loop: Header=BB1355_988 Depth=2
	s_or_b32 exec_lo, exec_lo, s23
	v_cmp_gt_i32_e32 vcc_lo, 0, v162
	; wave barrier
	v_cndmask_b32_e64 v38, 0x7fffffff, 0, vcc_lo
	v_xor_b32_e32 v162, v38, v162
	v_cmp_ne_u32_e32 vcc_lo, 0x80000000, v162
	v_cndmask_b32_e32 v38, 0x7fffffff, v162, vcc_lo
	v_lshrrev_b32_e32 v38, s53, v38
	v_and_b32_e32 v171, s61, v38
	v_and_b32_e32 v38, 1, v171
	v_lshlrev_b32_e32 v169, 30, v171
	v_lshlrev_b32_e32 v170, 29, v171
	;; [unrolled: 1-line block ×4, first 2 shown]
	v_add_co_u32 v38, s23, v38, -1
	v_cndmask_b32_e64 v174, 0, 1, s23
	v_not_b32_e32 v180, v169
	v_cmp_gt_i32_e64 s23, 0, v169
	v_not_b32_e32 v169, v170
	v_lshlrev_b32_e32 v179, 26, v171
	v_cmp_ne_u32_e32 vcc_lo, 0, v174
	v_ashrrev_i32_e32 v180, 31, v180
	v_lshlrev_b32_e32 v174, 25, v171
	v_ashrrev_i32_e32 v169, 31, v169
	v_xor_b32_e32 v38, vcc_lo, v38
	v_cmp_gt_i32_e32 vcc_lo, 0, v170
	v_not_b32_e32 v170, v175
	v_xor_b32_e32 v180, s23, v180
	v_cmp_gt_i32_e64 s23, 0, v175
	v_and_b32_e32 v38, exec_lo, v38
	v_not_b32_e32 v175, v177
	v_ashrrev_i32_e32 v170, 31, v170
	v_xor_b32_e32 v169, vcc_lo, v169
	v_cmp_gt_i32_e32 vcc_lo, 0, v177
	v_and_b32_e32 v38, v38, v180
	v_not_b32_e32 v177, v179
	v_ashrrev_i32_e32 v175, 31, v175
	v_xor_b32_e32 v170, s23, v170
	v_cmp_gt_i32_e64 s23, 0, v179
	v_and_b32_e32 v38, v38, v169
	v_not_b32_e32 v169, v174
	v_ashrrev_i32_e32 v177, 31, v177
	v_xor_b32_e32 v175, vcc_lo, v175
	v_cmp_gt_i32_e32 vcc_lo, 0, v174
	v_and_b32_e32 v38, v38, v170
	v_ashrrev_i32_e32 v169, 31, v169
	v_xor_b32_e32 v170, s23, v177
	v_mad_u32_u24 v174, v171, 36, v131
	v_mul_u32_u24_e32 v171, 36, v171
	v_and_b32_e32 v38, v38, v175
	v_xor_b32_e32 v175, vcc_lo, v169
	ds_read_b32 v169, v174 offset:544
	v_add_nc_u32_e32 v171, v131, v171
	v_and_b32_e32 v38, v38, v170
	; wave barrier
	v_and_b32_e32 v38, v38, v175
	v_mbcnt_lo_u32_b32 v170, v38, 0
	v_cmp_ne_u32_e64 s23, 0, v38
	v_cmp_eq_u32_e32 vcc_lo, 0, v170
	s_and_b32 s24, s23, vcc_lo
	s_and_saveexec_b32 s23, s24
	s_cbranch_execz .LBB1355_1034
; %bb.1033:                             ;   in Loop: Header=BB1355_988 Depth=2
	s_waitcnt lgkmcnt(0)
	v_bcnt_u32_b32 v38, v38, v169
	ds_write_b32 v171, v38 offset:544
.LBB1355_1034:                          ;   in Loop: Header=BB1355_988 Depth=2
	s_or_b32 exec_lo, exec_lo, s23
	v_cmp_gt_i32_e32 vcc_lo, 0, v168
	; wave barrier
	v_cndmask_b32_e64 v38, 0x7fffffff, 0, vcc_lo
	v_xor_b32_e32 v168, v38, v168
	v_cmp_ne_u32_e32 vcc_lo, 0x80000000, v168
	v_cndmask_b32_e32 v38, 0x7fffffff, v168, vcc_lo
	v_lshrrev_b32_e32 v38, s53, v38
	v_and_b32_e32 v177, s61, v38
	v_and_b32_e32 v38, 1, v177
	v_lshlrev_b32_e32 v174, 30, v177
	v_lshlrev_b32_e32 v175, 29, v177
	;; [unrolled: 1-line block ×4, first 2 shown]
	v_add_co_u32 v38, s23, v38, -1
	v_cndmask_b32_e64 v179, 0, 1, s23
	v_not_b32_e32 v184, v174
	v_cmp_gt_i32_e64 s23, 0, v174
	v_not_b32_e32 v174, v175
	v_lshlrev_b32_e32 v183, 26, v177
	v_cmp_ne_u32_e32 vcc_lo, 0, v179
	v_ashrrev_i32_e32 v184, 31, v184
	v_lshlrev_b32_e32 v179, 25, v177
	v_ashrrev_i32_e32 v174, 31, v174
	v_xor_b32_e32 v38, vcc_lo, v38
	v_cmp_gt_i32_e32 vcc_lo, 0, v175
	v_not_b32_e32 v175, v180
	v_xor_b32_e32 v184, s23, v184
	v_cmp_gt_i32_e64 s23, 0, v180
	v_and_b32_e32 v38, exec_lo, v38
	v_not_b32_e32 v180, v182
	v_ashrrev_i32_e32 v175, 31, v175
	v_xor_b32_e32 v174, vcc_lo, v174
	v_cmp_gt_i32_e32 vcc_lo, 0, v182
	v_and_b32_e32 v38, v38, v184
	v_not_b32_e32 v182, v183
	v_ashrrev_i32_e32 v180, 31, v180
	v_xor_b32_e32 v175, s23, v175
	v_cmp_gt_i32_e64 s23, 0, v183
	v_and_b32_e32 v38, v38, v174
	v_not_b32_e32 v174, v179
	v_ashrrev_i32_e32 v182, 31, v182
	v_xor_b32_e32 v180, vcc_lo, v180
	v_cmp_gt_i32_e32 vcc_lo, 0, v179
	v_and_b32_e32 v38, v38, v175
	v_ashrrev_i32_e32 v174, 31, v174
	v_xor_b32_e32 v175, s23, v182
	v_mad_u32_u24 v179, v177, 36, v131
	v_mul_u32_u24_e32 v177, 36, v177
	v_and_b32_e32 v38, v38, v180
	v_xor_b32_e32 v180, vcc_lo, v174
	ds_read_b32 v174, v179 offset:544
	v_add_nc_u32_e32 v177, v131, v177
	v_and_b32_e32 v38, v38, v175
	; wave barrier
	v_and_b32_e32 v38, v38, v180
	v_mbcnt_lo_u32_b32 v175, v38, 0
	v_cmp_ne_u32_e64 s23, 0, v38
	v_cmp_eq_u32_e32 vcc_lo, 0, v175
	s_and_b32 s24, s23, vcc_lo
	s_and_saveexec_b32 s23, s24
	s_cbranch_execz .LBB1355_1036
; %bb.1035:                             ;   in Loop: Header=BB1355_988 Depth=2
	s_waitcnt lgkmcnt(0)
	v_bcnt_u32_b32 v38, v38, v174
	ds_write_b32 v177, v38 offset:544
.LBB1355_1036:                          ;   in Loop: Header=BB1355_988 Depth=2
	s_or_b32 exec_lo, exec_lo, s23
	v_cmp_gt_i32_e32 vcc_lo, 0, v173
	; wave barrier
	v_cndmask_b32_e64 v38, 0x7fffffff, 0, vcc_lo
	v_xor_b32_e32 v173, v38, v173
	v_cmp_ne_u32_e32 vcc_lo, 0x80000000, v173
	v_cndmask_b32_e32 v38, 0x7fffffff, v173, vcc_lo
	v_lshrrev_b32_e32 v38, s53, v38
	v_and_b32_e32 v182, s61, v38
	v_and_b32_e32 v38, 1, v182
	v_lshlrev_b32_e32 v179, 30, v182
	v_lshlrev_b32_e32 v180, 29, v182
	;; [unrolled: 1-line block ×4, first 2 shown]
	v_add_co_u32 v38, s23, v38, -1
	v_cndmask_b32_e64 v183, 0, 1, s23
	v_not_b32_e32 v187, v179
	v_cmp_gt_i32_e64 s23, 0, v179
	v_not_b32_e32 v179, v180
	v_lshlrev_b32_e32 v186, 26, v182
	v_cmp_ne_u32_e32 vcc_lo, 0, v183
	v_ashrrev_i32_e32 v187, 31, v187
	v_lshlrev_b32_e32 v183, 25, v182
	v_ashrrev_i32_e32 v179, 31, v179
	v_xor_b32_e32 v38, vcc_lo, v38
	v_cmp_gt_i32_e32 vcc_lo, 0, v180
	v_not_b32_e32 v180, v184
	v_xor_b32_e32 v187, s23, v187
	v_cmp_gt_i32_e64 s23, 0, v184
	v_and_b32_e32 v38, exec_lo, v38
	v_not_b32_e32 v184, v185
	v_ashrrev_i32_e32 v180, 31, v180
	v_xor_b32_e32 v179, vcc_lo, v179
	v_cmp_gt_i32_e32 vcc_lo, 0, v185
	v_and_b32_e32 v38, v38, v187
	v_not_b32_e32 v185, v186
	v_ashrrev_i32_e32 v184, 31, v184
	v_xor_b32_e32 v180, s23, v180
	v_cmp_gt_i32_e64 s23, 0, v186
	v_and_b32_e32 v38, v38, v179
	v_not_b32_e32 v179, v183
	v_ashrrev_i32_e32 v185, 31, v185
	v_xor_b32_e32 v184, vcc_lo, v184
	v_cmp_gt_i32_e32 vcc_lo, 0, v183
	v_and_b32_e32 v38, v38, v180
	v_ashrrev_i32_e32 v179, 31, v179
	v_xor_b32_e32 v180, s23, v185
	v_mad_u32_u24 v183, v182, 36, v131
	v_mul_u32_u24_e32 v182, 36, v182
	v_and_b32_e32 v38, v38, v184
	v_xor_b32_e32 v184, vcc_lo, v179
	ds_read_b32 v179, v183 offset:544
	v_add_nc_u32_e32 v182, v131, v182
	v_and_b32_e32 v38, v38, v180
	; wave barrier
	v_and_b32_e32 v38, v38, v184
	v_mbcnt_lo_u32_b32 v180, v38, 0
	v_cmp_ne_u32_e64 s23, 0, v38
	v_cmp_eq_u32_e32 vcc_lo, 0, v180
	s_and_b32 s24, s23, vcc_lo
	s_and_saveexec_b32 s23, s24
	s_cbranch_execz .LBB1355_1038
; %bb.1037:                             ;   in Loop: Header=BB1355_988 Depth=2
	s_waitcnt lgkmcnt(0)
	v_bcnt_u32_b32 v38, v38, v179
	ds_write_b32 v182, v38 offset:544
.LBB1355_1038:                          ;   in Loop: Header=BB1355_988 Depth=2
	s_or_b32 exec_lo, exec_lo, s23
	v_cmp_gt_i32_e32 vcc_lo, 0, v178
	; wave barrier
	v_cndmask_b32_e64 v38, 0x7fffffff, 0, vcc_lo
	v_xor_b32_e32 v178, v38, v178
	v_cmp_ne_u32_e32 vcc_lo, 0x80000000, v178
	v_cndmask_b32_e32 v38, 0x7fffffff, v178, vcc_lo
	v_lshrrev_b32_e32 v38, s53, v38
	v_and_b32_e32 v185, s61, v38
	v_and_b32_e32 v38, 1, v185
	v_lshlrev_b32_e32 v183, 30, v185
	v_lshlrev_b32_e32 v184, 29, v185
	;; [unrolled: 1-line block ×4, first 2 shown]
	v_add_co_u32 v38, s23, v38, -1
	v_cndmask_b32_e64 v186, 0, 1, s23
	v_not_b32_e32 v190, v183
	v_cmp_gt_i32_e64 s23, 0, v183
	v_not_b32_e32 v183, v184
	v_lshlrev_b32_e32 v189, 26, v185
	v_cmp_ne_u32_e32 vcc_lo, 0, v186
	v_ashrrev_i32_e32 v190, 31, v190
	v_lshlrev_b32_e32 v186, 25, v185
	v_ashrrev_i32_e32 v183, 31, v183
	v_xor_b32_e32 v38, vcc_lo, v38
	v_cmp_gt_i32_e32 vcc_lo, 0, v184
	v_not_b32_e32 v184, v187
	v_xor_b32_e32 v190, s23, v190
	v_cmp_gt_i32_e64 s23, 0, v187
	v_and_b32_e32 v38, exec_lo, v38
	v_not_b32_e32 v187, v188
	v_ashrrev_i32_e32 v184, 31, v184
	v_xor_b32_e32 v183, vcc_lo, v183
	v_cmp_gt_i32_e32 vcc_lo, 0, v188
	v_and_b32_e32 v38, v38, v190
	v_not_b32_e32 v188, v189
	v_ashrrev_i32_e32 v187, 31, v187
	v_xor_b32_e32 v184, s23, v184
	v_cmp_gt_i32_e64 s23, 0, v189
	v_and_b32_e32 v38, v38, v183
	v_not_b32_e32 v183, v186
	v_ashrrev_i32_e32 v188, 31, v188
	v_xor_b32_e32 v187, vcc_lo, v187
	v_cmp_gt_i32_e32 vcc_lo, 0, v186
	v_and_b32_e32 v38, v38, v184
	v_ashrrev_i32_e32 v183, 31, v183
	v_xor_b32_e32 v184, s23, v188
	v_mad_u32_u24 v186, v185, 36, v131
	v_mul_u32_u24_e32 v185, 36, v185
	v_and_b32_e32 v38, v38, v187
	v_xor_b32_e32 v187, vcc_lo, v183
	ds_read_b32 v183, v186 offset:544
	v_add_nc_u32_e32 v185, v131, v185
	v_and_b32_e32 v38, v38, v184
	; wave barrier
	v_and_b32_e32 v38, v38, v187
	v_mbcnt_lo_u32_b32 v184, v38, 0
	v_cmp_ne_u32_e64 s23, 0, v38
	v_cmp_eq_u32_e32 vcc_lo, 0, v184
	s_and_b32 s24, s23, vcc_lo
	s_and_saveexec_b32 s23, s24
	s_cbranch_execz .LBB1355_1040
; %bb.1039:                             ;   in Loop: Header=BB1355_988 Depth=2
	s_waitcnt lgkmcnt(0)
	v_bcnt_u32_b32 v38, v38, v183
	ds_write_b32 v185, v38 offset:544
.LBB1355_1040:                          ;   in Loop: Header=BB1355_988 Depth=2
	s_or_b32 exec_lo, exec_lo, s23
	v_cmp_gt_i32_e32 vcc_lo, 0, v181
	; wave barrier
	v_cndmask_b32_e64 v38, 0x7fffffff, 0, vcc_lo
	v_xor_b32_e32 v181, v38, v181
	v_cmp_ne_u32_e32 vcc_lo, 0x80000000, v181
	v_cndmask_b32_e32 v38, 0x7fffffff, v181, vcc_lo
	v_lshrrev_b32_e32 v38, s53, v38
	v_and_b32_e32 v188, s61, v38
	v_and_b32_e32 v38, 1, v188
	v_lshlrev_b32_e32 v186, 30, v188
	v_lshlrev_b32_e32 v187, 29, v188
	;; [unrolled: 1-line block ×4, first 2 shown]
	v_add_co_u32 v38, s23, v38, -1
	v_cndmask_b32_e64 v189, 0, 1, s23
	v_not_b32_e32 v193, v186
	v_cmp_gt_i32_e64 s23, 0, v186
	v_not_b32_e32 v186, v187
	v_lshlrev_b32_e32 v192, 26, v188
	v_cmp_ne_u32_e32 vcc_lo, 0, v189
	v_ashrrev_i32_e32 v193, 31, v193
	v_lshlrev_b32_e32 v189, 25, v188
	v_ashrrev_i32_e32 v186, 31, v186
	v_xor_b32_e32 v38, vcc_lo, v38
	v_cmp_gt_i32_e32 vcc_lo, 0, v187
	v_not_b32_e32 v187, v190
	v_xor_b32_e32 v193, s23, v193
	v_cmp_gt_i32_e64 s23, 0, v190
	v_and_b32_e32 v38, exec_lo, v38
	v_not_b32_e32 v190, v191
	v_ashrrev_i32_e32 v187, 31, v187
	v_xor_b32_e32 v186, vcc_lo, v186
	v_cmp_gt_i32_e32 vcc_lo, 0, v191
	v_and_b32_e32 v38, v38, v193
	v_not_b32_e32 v191, v192
	v_ashrrev_i32_e32 v190, 31, v190
	v_xor_b32_e32 v187, s23, v187
	v_cmp_gt_i32_e64 s23, 0, v192
	v_and_b32_e32 v38, v38, v186
	v_not_b32_e32 v186, v189
	v_ashrrev_i32_e32 v191, 31, v191
	v_xor_b32_e32 v190, vcc_lo, v190
	v_cmp_gt_i32_e32 vcc_lo, 0, v189
	v_and_b32_e32 v38, v38, v187
	v_ashrrev_i32_e32 v186, 31, v186
	v_xor_b32_e32 v187, s23, v191
	v_mad_u32_u24 v189, v188, 36, v131
	v_mul_u32_u24_e32 v188, 36, v188
	v_and_b32_e32 v38, v38, v190
	v_xor_b32_e32 v190, vcc_lo, v186
	ds_read_b32 v186, v189 offset:544
	v_add_nc_u32_e32 v188, v131, v188
	v_and_b32_e32 v38, v38, v187
	; wave barrier
	v_and_b32_e32 v38, v38, v190
	v_mbcnt_lo_u32_b32 v187, v38, 0
	v_cmp_ne_u32_e64 s23, 0, v38
	v_cmp_eq_u32_e32 vcc_lo, 0, v187
	s_and_b32 s24, s23, vcc_lo
	s_and_saveexec_b32 s23, s24
	s_cbranch_execz .LBB1355_1042
; %bb.1041:                             ;   in Loop: Header=BB1355_988 Depth=2
	s_waitcnt lgkmcnt(0)
	v_bcnt_u32_b32 v38, v38, v186
	ds_write_b32 v188, v38 offset:544
.LBB1355_1042:                          ;   in Loop: Header=BB1355_988 Depth=2
	s_or_b32 exec_lo, exec_lo, s23
	v_cmp_gt_i32_e32 vcc_lo, 0, v176
	; wave barrier
	v_cndmask_b32_e64 v38, 0x7fffffff, 0, vcc_lo
	v_xor_b32_e32 v176, v38, v176
	v_cmp_ne_u32_e32 vcc_lo, 0x80000000, v176
	v_cndmask_b32_e32 v38, 0x7fffffff, v176, vcc_lo
	v_lshrrev_b32_e32 v38, s53, v38
	v_and_b32_e32 v191, s61, v38
	v_and_b32_e32 v38, 1, v191
	v_lshlrev_b32_e32 v189, 30, v191
	v_lshlrev_b32_e32 v190, 29, v191
	;; [unrolled: 1-line block ×4, first 2 shown]
	v_add_co_u32 v38, s23, v38, -1
	v_cndmask_b32_e64 v192, 0, 1, s23
	v_not_b32_e32 v196, v189
	v_cmp_gt_i32_e64 s23, 0, v189
	v_not_b32_e32 v189, v190
	v_lshlrev_b32_e32 v195, 26, v191
	v_cmp_ne_u32_e32 vcc_lo, 0, v192
	v_ashrrev_i32_e32 v196, 31, v196
	v_lshlrev_b32_e32 v192, 25, v191
	v_ashrrev_i32_e32 v189, 31, v189
	v_xor_b32_e32 v38, vcc_lo, v38
	v_cmp_gt_i32_e32 vcc_lo, 0, v190
	v_not_b32_e32 v190, v193
	v_xor_b32_e32 v196, s23, v196
	v_cmp_gt_i32_e64 s23, 0, v193
	v_and_b32_e32 v38, exec_lo, v38
	v_not_b32_e32 v193, v194
	v_ashrrev_i32_e32 v190, 31, v190
	v_xor_b32_e32 v189, vcc_lo, v189
	v_cmp_gt_i32_e32 vcc_lo, 0, v194
	v_and_b32_e32 v38, v38, v196
	v_not_b32_e32 v194, v195
	v_ashrrev_i32_e32 v193, 31, v193
	v_xor_b32_e32 v190, s23, v190
	v_cmp_gt_i32_e64 s23, 0, v195
	v_and_b32_e32 v38, v38, v189
	v_not_b32_e32 v189, v192
	v_ashrrev_i32_e32 v194, 31, v194
	v_xor_b32_e32 v193, vcc_lo, v193
	v_cmp_gt_i32_e32 vcc_lo, 0, v192
	v_and_b32_e32 v38, v38, v190
	v_ashrrev_i32_e32 v189, 31, v189
	v_xor_b32_e32 v190, s23, v194
	v_mad_u32_u24 v192, v191, 36, v131
	v_mul_u32_u24_e32 v191, 36, v191
	v_and_b32_e32 v38, v38, v193
	v_xor_b32_e32 v193, vcc_lo, v189
	ds_read_b32 v189, v192 offset:544
	v_add_nc_u32_e32 v191, v131, v191
	v_and_b32_e32 v38, v38, v190
	; wave barrier
	v_and_b32_e32 v38, v38, v193
	v_mbcnt_lo_u32_b32 v190, v38, 0
	v_cmp_ne_u32_e64 s23, 0, v38
	v_cmp_eq_u32_e32 vcc_lo, 0, v190
	s_and_b32 s24, s23, vcc_lo
	s_and_saveexec_b32 s23, s24
	s_cbranch_execz .LBB1355_1044
; %bb.1043:                             ;   in Loop: Header=BB1355_988 Depth=2
	s_waitcnt lgkmcnt(0)
	v_bcnt_u32_b32 v38, v38, v189
	ds_write_b32 v191, v38 offset:544
.LBB1355_1044:                          ;   in Loop: Header=BB1355_988 Depth=2
	s_or_b32 exec_lo, exec_lo, s23
	v_cmp_gt_i32_e32 vcc_lo, 0, v172
	; wave barrier
	v_cndmask_b32_e64 v38, 0x7fffffff, 0, vcc_lo
	v_xor_b32_e32 v172, v38, v172
	v_cmp_ne_u32_e32 vcc_lo, 0x80000000, v172
	v_cndmask_b32_e32 v38, 0x7fffffff, v172, vcc_lo
	v_lshrrev_b32_e32 v38, s53, v38
	v_and_b32_e32 v192, s61, v38
	v_and_b32_e32 v38, 1, v192
	v_lshlrev_b32_e32 v193, 30, v192
	v_lshlrev_b32_e32 v194, 29, v192
	;; [unrolled: 1-line block ×4, first 2 shown]
	v_add_co_u32 v38, s23, v38, -1
	v_cndmask_b32_e64 v195, 0, 1, s23
	v_not_b32_e32 v199, v193
	v_cmp_gt_i32_e64 s23, 0, v193
	v_not_b32_e32 v193, v194
	v_lshlrev_b32_e32 v198, 26, v192
	v_cmp_ne_u32_e32 vcc_lo, 0, v195
	v_ashrrev_i32_e32 v199, 31, v199
	v_lshlrev_b32_e32 v195, 25, v192
	v_ashrrev_i32_e32 v193, 31, v193
	v_xor_b32_e32 v38, vcc_lo, v38
	v_cmp_gt_i32_e32 vcc_lo, 0, v194
	v_not_b32_e32 v194, v196
	v_xor_b32_e32 v199, s23, v199
	v_cmp_gt_i32_e64 s23, 0, v196
	v_and_b32_e32 v38, exec_lo, v38
	v_not_b32_e32 v196, v197
	v_ashrrev_i32_e32 v194, 31, v194
	v_xor_b32_e32 v193, vcc_lo, v193
	v_cmp_gt_i32_e32 vcc_lo, 0, v197
	v_and_b32_e32 v38, v38, v199
	v_not_b32_e32 v197, v198
	v_ashrrev_i32_e32 v196, 31, v196
	v_xor_b32_e32 v194, s23, v194
	v_cmp_gt_i32_e64 s23, 0, v198
	v_and_b32_e32 v38, v38, v193
	v_not_b32_e32 v193, v195
	v_ashrrev_i32_e32 v197, 31, v197
	v_xor_b32_e32 v196, vcc_lo, v196
	v_cmp_gt_i32_e32 vcc_lo, 0, v195
	v_and_b32_e32 v38, v38, v194
	v_ashrrev_i32_e32 v193, 31, v193
	v_xor_b32_e32 v194, s23, v197
	v_mad_u32_u24 v195, v192, 36, v131
	v_mul_u32_u24_e32 v192, 36, v192
	v_and_b32_e32 v38, v38, v196
	v_xor_b32_e32 v196, vcc_lo, v193
	ds_read_b32 v193, v195 offset:544
	v_add_nc_u32_e32 v195, v131, v192
	v_and_b32_e32 v38, v38, v194
	; wave barrier
	v_and_b32_e32 v38, v38, v196
	v_mbcnt_lo_u32_b32 v194, v38, 0
	v_cmp_ne_u32_e64 s23, 0, v38
	v_cmp_eq_u32_e32 vcc_lo, 0, v194
	s_and_b32 s24, s23, vcc_lo
	s_and_saveexec_b32 s23, s24
	s_cbranch_execz .LBB1355_1046
; %bb.1045:                             ;   in Loop: Header=BB1355_988 Depth=2
	s_waitcnt lgkmcnt(0)
	v_bcnt_u32_b32 v38, v38, v193
	ds_write_b32 v195, v38 offset:544
.LBB1355_1046:                          ;   in Loop: Header=BB1355_988 Depth=2
	s_or_b32 exec_lo, exec_lo, s23
	v_cmp_gt_i32_e32 vcc_lo, 0, v167
	; wave barrier
	v_cndmask_b32_e64 v38, 0x7fffffff, 0, vcc_lo
	v_xor_b32_e32 v192, v38, v167
	v_cmp_ne_u32_e32 vcc_lo, 0x80000000, v192
	v_cndmask_b32_e32 v38, 0x7fffffff, v192, vcc_lo
	v_lshrrev_b32_e32 v38, s53, v38
	v_and_b32_e32 v167, s61, v38
	v_and_b32_e32 v38, 1, v167
	v_lshlrev_b32_e32 v196, 30, v167
	v_lshlrev_b32_e32 v197, 29, v167
	;; [unrolled: 1-line block ×4, first 2 shown]
	v_add_co_u32 v38, s23, v38, -1
	v_cndmask_b32_e64 v198, 0, 1, s23
	v_not_b32_e32 v202, v196
	v_cmp_gt_i32_e64 s23, 0, v196
	v_not_b32_e32 v196, v197
	v_lshlrev_b32_e32 v201, 26, v167
	v_cmp_ne_u32_e32 vcc_lo, 0, v198
	v_ashrrev_i32_e32 v202, 31, v202
	v_lshlrev_b32_e32 v198, 25, v167
	v_ashrrev_i32_e32 v196, 31, v196
	v_xor_b32_e32 v38, vcc_lo, v38
	v_cmp_gt_i32_e32 vcc_lo, 0, v197
	v_not_b32_e32 v197, v199
	v_xor_b32_e32 v202, s23, v202
	v_cmp_gt_i32_e64 s23, 0, v199
	v_and_b32_e32 v38, exec_lo, v38
	v_not_b32_e32 v199, v200
	v_ashrrev_i32_e32 v197, 31, v197
	v_xor_b32_e32 v196, vcc_lo, v196
	v_cmp_gt_i32_e32 vcc_lo, 0, v200
	v_and_b32_e32 v38, v38, v202
	v_not_b32_e32 v200, v201
	v_ashrrev_i32_e32 v199, 31, v199
	v_xor_b32_e32 v197, s23, v197
	v_cmp_gt_i32_e64 s23, 0, v201
	v_and_b32_e32 v38, v38, v196
	v_not_b32_e32 v196, v198
	v_ashrrev_i32_e32 v200, 31, v200
	v_xor_b32_e32 v199, vcc_lo, v199
	v_cmp_gt_i32_e32 vcc_lo, 0, v198
	v_and_b32_e32 v38, v38, v197
	v_ashrrev_i32_e32 v196, 31, v196
	v_xor_b32_e32 v197, s23, v200
	v_mad_u32_u24 v198, v167, 36, v131
	v_mul_u32_u24_e32 v167, 36, v167
	v_and_b32_e32 v38, v38, v199
	v_xor_b32_e32 v196, vcc_lo, v196
	v_add_nc_u32_e32 v167, v131, v167
	v_and_b32_e32 v38, v38, v197
	ds_read_b32 v197, v198 offset:544
	; wave barrier
	v_and_b32_e32 v38, v38, v196
	v_mbcnt_lo_u32_b32 v198, v38, 0
	v_cmp_ne_u32_e64 s23, 0, v38
	v_cmp_eq_u32_e32 vcc_lo, 0, v198
	s_and_b32 s24, s23, vcc_lo
	s_and_saveexec_b32 s23, s24
	s_cbranch_execz .LBB1355_1048
; %bb.1047:                             ;   in Loop: Header=BB1355_988 Depth=2
	s_waitcnt lgkmcnt(0)
	v_bcnt_u32_b32 v38, v38, v197
	ds_write_b32 v167, v38 offset:544
.LBB1355_1048:                          ;   in Loop: Header=BB1355_988 Depth=2
	s_or_b32 exec_lo, exec_lo, s23
	v_cmp_gt_i32_e32 vcc_lo, 0, v164
	; wave barrier
	v_cndmask_b32_e64 v38, 0x7fffffff, 0, vcc_lo
	v_xor_b32_e32 v196, v38, v164
	v_cmp_ne_u32_e32 vcc_lo, 0x80000000, v196
	v_cndmask_b32_e32 v38, 0x7fffffff, v196, vcc_lo
	v_lshrrev_b32_e32 v38, s53, v38
	v_and_b32_e32 v164, s61, v38
	v_and_b32_e32 v38, 1, v164
	v_lshlrev_b32_e32 v199, 30, v164
	v_lshlrev_b32_e32 v200, 29, v164
	;; [unrolled: 1-line block ×4, first 2 shown]
	v_add_co_u32 v38, s23, v38, -1
	v_cndmask_b32_e64 v201, 0, 1, s23
	v_not_b32_e32 v205, v199
	v_cmp_gt_i32_e64 s23, 0, v199
	v_not_b32_e32 v199, v200
	v_lshlrev_b32_e32 v204, 26, v164
	v_cmp_ne_u32_e32 vcc_lo, 0, v201
	v_ashrrev_i32_e32 v205, 31, v205
	v_lshlrev_b32_e32 v201, 25, v164
	v_ashrrev_i32_e32 v199, 31, v199
	v_xor_b32_e32 v38, vcc_lo, v38
	v_cmp_gt_i32_e32 vcc_lo, 0, v200
	v_not_b32_e32 v200, v202
	v_xor_b32_e32 v205, s23, v205
	v_cmp_gt_i32_e64 s23, 0, v202
	v_and_b32_e32 v38, exec_lo, v38
	v_not_b32_e32 v202, v203
	v_ashrrev_i32_e32 v200, 31, v200
	v_xor_b32_e32 v199, vcc_lo, v199
	v_cmp_gt_i32_e32 vcc_lo, 0, v203
	v_and_b32_e32 v38, v38, v205
	v_not_b32_e32 v203, v204
	v_ashrrev_i32_e32 v202, 31, v202
	v_xor_b32_e32 v200, s23, v200
	v_cmp_gt_i32_e64 s23, 0, v204
	v_and_b32_e32 v38, v38, v199
	v_not_b32_e32 v199, v201
	v_ashrrev_i32_e32 v203, 31, v203
	v_xor_b32_e32 v202, vcc_lo, v202
	v_cmp_gt_i32_e32 vcc_lo, 0, v201
	v_and_b32_e32 v38, v38, v200
	v_ashrrev_i32_e32 v199, 31, v199
	v_xor_b32_e32 v200, s23, v203
	v_mad_u32_u24 v201, v164, 36, v131
	v_mul_u32_u24_e32 v164, 36, v164
	v_and_b32_e32 v38, v38, v202
	v_xor_b32_e32 v199, vcc_lo, v199
	v_add_nc_u32_e32 v164, v131, v164
	v_and_b32_e32 v38, v38, v200
	ds_read_b32 v200, v201 offset:544
	; wave barrier
	v_and_b32_e32 v38, v38, v199
	v_mbcnt_lo_u32_b32 v201, v38, 0
	v_cmp_ne_u32_e64 s23, 0, v38
	v_cmp_eq_u32_e32 vcc_lo, 0, v201
	s_and_b32 s24, s23, vcc_lo
	s_and_saveexec_b32 s23, s24
	s_cbranch_execz .LBB1355_1050
; %bb.1049:                             ;   in Loop: Header=BB1355_988 Depth=2
	s_waitcnt lgkmcnt(0)
	v_bcnt_u32_b32 v38, v38, v200
	ds_write_b32 v164, v38 offset:544
.LBB1355_1050:                          ;   in Loop: Header=BB1355_988 Depth=2
	s_or_b32 exec_lo, exec_lo, s23
	v_cmp_gt_i32_e32 vcc_lo, 0, v40
	; wave barrier
	v_cndmask_b32_e64 v38, 0x7fffffff, 0, vcc_lo
	v_xor_b32_e32 v199, v38, v40
	v_cmp_ne_u32_e32 vcc_lo, 0x80000000, v199
	v_cndmask_b32_e32 v38, 0x7fffffff, v199, vcc_lo
	v_lshrrev_b32_e32 v38, s53, v38
	v_and_b32_e32 v40, s61, v38
	v_and_b32_e32 v38, 1, v40
	v_lshlrev_b32_e32 v202, 30, v40
	v_lshlrev_b32_e32 v203, 29, v40
	;; [unrolled: 1-line block ×4, first 2 shown]
	v_add_co_u32 v38, s23, v38, -1
	v_cndmask_b32_e64 v204, 0, 1, s23
	v_not_b32_e32 v208, v202
	v_cmp_gt_i32_e64 s23, 0, v202
	v_not_b32_e32 v202, v203
	v_lshlrev_b32_e32 v207, 26, v40
	v_cmp_ne_u32_e32 vcc_lo, 0, v204
	v_ashrrev_i32_e32 v208, 31, v208
	v_lshlrev_b32_e32 v204, 25, v40
	v_ashrrev_i32_e32 v202, 31, v202
	v_xor_b32_e32 v38, vcc_lo, v38
	v_cmp_gt_i32_e32 vcc_lo, 0, v203
	v_not_b32_e32 v203, v205
	v_xor_b32_e32 v208, s23, v208
	v_cmp_gt_i32_e64 s23, 0, v205
	v_and_b32_e32 v38, exec_lo, v38
	v_not_b32_e32 v205, v206
	v_ashrrev_i32_e32 v203, 31, v203
	v_xor_b32_e32 v202, vcc_lo, v202
	v_cmp_gt_i32_e32 vcc_lo, 0, v206
	v_and_b32_e32 v38, v38, v208
	v_not_b32_e32 v206, v207
	v_ashrrev_i32_e32 v205, 31, v205
	v_xor_b32_e32 v203, s23, v203
	v_cmp_gt_i32_e64 s23, 0, v207
	v_and_b32_e32 v38, v38, v202
	v_not_b32_e32 v202, v204
	v_ashrrev_i32_e32 v206, 31, v206
	v_xor_b32_e32 v205, vcc_lo, v205
	v_cmp_gt_i32_e32 vcc_lo, 0, v204
	v_and_b32_e32 v38, v38, v203
	v_ashrrev_i32_e32 v202, 31, v202
	v_xor_b32_e32 v203, s23, v206
	v_mad_u32_u24 v204, v40, 36, v131
	v_mul_u32_u24_e32 v40, 36, v40
	v_and_b32_e32 v38, v38, v205
	v_xor_b32_e32 v202, vcc_lo, v202
	v_add_nc_u32_e32 v205, v131, v40
	v_and_b32_e32 v38, v38, v203
	ds_read_b32 v203, v204 offset:544
	; wave barrier
	v_and_b32_e32 v38, v38, v202
	v_mbcnt_lo_u32_b32 v204, v38, 0
	v_cmp_ne_u32_e64 s23, 0, v38
	v_cmp_eq_u32_e32 vcc_lo, 0, v204
	s_and_b32 s24, s23, vcc_lo
	s_and_saveexec_b32 s23, s24
	s_cbranch_execz .LBB1355_1052
; %bb.1051:                             ;   in Loop: Header=BB1355_988 Depth=2
	s_waitcnt lgkmcnt(0)
	v_bcnt_u32_b32 v38, v38, v203
	ds_write_b32 v205, v38 offset:544
.LBB1355_1052:                          ;   in Loop: Header=BB1355_988 Depth=2
	s_or_b32 exec_lo, exec_lo, s23
	v_cmp_gt_i32_e32 vcc_lo, 0, v39
	; wave barrier
	v_cndmask_b32_e64 v38, 0x7fffffff, 0, vcc_lo
	v_xor_b32_e32 v202, v38, v39
	v_cmp_ne_u32_e32 vcc_lo, 0x80000000, v202
	v_cndmask_b32_e32 v38, 0x7fffffff, v202, vcc_lo
	v_lshrrev_b32_e32 v38, s53, v38
	v_and_b32_e32 v39, s61, v38
	v_and_b32_e32 v38, 1, v39
	v_lshlrev_b32_e32 v40, 30, v39
	v_lshlrev_b32_e32 v206, 29, v39
	;; [unrolled: 1-line block ×4, first 2 shown]
	v_add_co_u32 v38, s23, v38, -1
	v_cndmask_b32_e64 v207, 0, 1, s23
	v_not_b32_e32 v211, v40
	v_cmp_gt_i32_e64 s23, 0, v40
	v_not_b32_e32 v40, v206
	v_lshlrev_b32_e32 v210, 26, v39
	v_cmp_ne_u32_e32 vcc_lo, 0, v207
	v_ashrrev_i32_e32 v211, 31, v211
	v_lshlrev_b32_e32 v207, 25, v39
	v_ashrrev_i32_e32 v40, 31, v40
	v_xor_b32_e32 v38, vcc_lo, v38
	v_cmp_gt_i32_e32 vcc_lo, 0, v206
	v_not_b32_e32 v206, v208
	v_xor_b32_e32 v211, s23, v211
	v_cmp_gt_i32_e64 s23, 0, v208
	v_and_b32_e32 v38, exec_lo, v38
	v_not_b32_e32 v208, v209
	v_ashrrev_i32_e32 v206, 31, v206
	v_xor_b32_e32 v40, vcc_lo, v40
	v_cmp_gt_i32_e32 vcc_lo, 0, v209
	v_and_b32_e32 v38, v38, v211
	v_not_b32_e32 v209, v210
	v_ashrrev_i32_e32 v208, 31, v208
	v_xor_b32_e32 v206, s23, v206
	v_cmp_gt_i32_e64 s23, 0, v210
	v_and_b32_e32 v38, v38, v40
	v_not_b32_e32 v40, v207
	v_ashrrev_i32_e32 v209, 31, v209
	v_xor_b32_e32 v208, vcc_lo, v208
	v_cmp_gt_i32_e32 vcc_lo, 0, v207
	v_and_b32_e32 v38, v38, v206
	v_ashrrev_i32_e32 v40, 31, v40
	v_xor_b32_e32 v206, s23, v209
	v_mad_u32_u24 v207, v39, 36, v131
	v_mul_u32_u24_e32 v39, 36, v39
	v_and_b32_e32 v38, v38, v208
	v_xor_b32_e32 v40, vcc_lo, v40
	ds_read_b32 v207, v207 offset:544
	v_add_nc_u32_e32 v209, v131, v39
	v_and_b32_e32 v38, v38, v206
	; wave barrier
	v_and_b32_e32 v38, v38, v40
	v_mbcnt_lo_u32_b32 v208, v38, 0
	v_cmp_ne_u32_e64 s23, 0, v38
	v_cmp_eq_u32_e32 vcc_lo, 0, v208
	s_and_b32 s24, s23, vcc_lo
	s_and_saveexec_b32 s23, s24
	s_cbranch_execz .LBB1355_1054
; %bb.1053:                             ;   in Loop: Header=BB1355_988 Depth=2
	s_waitcnt lgkmcnt(0)
	v_bcnt_u32_b32 v38, v38, v207
	ds_write_b32 v209, v38 offset:544
.LBB1355_1054:                          ;   in Loop: Header=BB1355_988 Depth=2
	s_or_b32 exec_lo, exec_lo, s23
	v_cmp_gt_i32_e32 vcc_lo, 0, v37
	; wave barrier
	v_cndmask_b32_e64 v38, 0x7fffffff, 0, vcc_lo
	v_xor_b32_e32 v206, v38, v37
	v_cmp_ne_u32_e32 vcc_lo, 0x80000000, v206
	v_cndmask_b32_e32 v37, 0x7fffffff, v206, vcc_lo
	v_lshrrev_b32_e32 v37, s53, v37
	v_and_b32_e32 v38, s61, v37
	v_and_b32_e32 v37, 1, v38
	v_lshlrev_b32_e32 v39, 30, v38
	v_lshlrev_b32_e32 v40, 29, v38
	;; [unrolled: 1-line block ×4, first 2 shown]
	v_add_co_u32 v37, s23, v37, -1
	v_cndmask_b32_e64 v210, 0, 1, s23
	v_not_b32_e32 v214, v39
	v_cmp_gt_i32_e64 s23, 0, v39
	v_not_b32_e32 v39, v40
	v_lshlrev_b32_e32 v213, 26, v38
	v_cmp_ne_u32_e32 vcc_lo, 0, v210
	v_ashrrev_i32_e32 v214, 31, v214
	v_lshlrev_b32_e32 v210, 25, v38
	v_ashrrev_i32_e32 v39, 31, v39
	v_xor_b32_e32 v37, vcc_lo, v37
	v_cmp_gt_i32_e32 vcc_lo, 0, v40
	v_not_b32_e32 v40, v211
	v_xor_b32_e32 v214, s23, v214
	v_cmp_gt_i32_e64 s23, 0, v211
	v_and_b32_e32 v37, exec_lo, v37
	v_not_b32_e32 v211, v212
	v_ashrrev_i32_e32 v40, 31, v40
	v_xor_b32_e32 v39, vcc_lo, v39
	v_cmp_gt_i32_e32 vcc_lo, 0, v212
	v_and_b32_e32 v37, v37, v214
	v_not_b32_e32 v212, v213
	v_ashrrev_i32_e32 v211, 31, v211
	v_xor_b32_e32 v40, s23, v40
	v_cmp_gt_i32_e64 s23, 0, v213
	v_and_b32_e32 v37, v37, v39
	v_not_b32_e32 v39, v210
	v_ashrrev_i32_e32 v212, 31, v212
	v_xor_b32_e32 v211, vcc_lo, v211
	v_cmp_gt_i32_e32 vcc_lo, 0, v210
	v_and_b32_e32 v37, v37, v40
	v_ashrrev_i32_e32 v39, 31, v39
	v_xor_b32_e32 v40, s23, v212
	v_mad_u32_u24 v210, v38, 36, v131
	v_mul_u32_u24_e32 v38, 36, v38
	v_and_b32_e32 v37, v37, v211
	v_xor_b32_e32 v39, vcc_lo, v39
	ds_read_b32 v210, v210 offset:544
	v_add_nc_u32_e32 v212, v131, v38
	v_and_b32_e32 v37, v37, v40
	; wave barrier
	v_and_b32_e32 v37, v37, v39
	v_mbcnt_lo_u32_b32 v211, v37, 0
	v_cmp_ne_u32_e64 s23, 0, v37
	v_cmp_eq_u32_e32 vcc_lo, 0, v211
	s_and_b32 s24, s23, vcc_lo
	s_and_saveexec_b32 s23, s24
	s_cbranch_execz .LBB1355_1056
; %bb.1055:                             ;   in Loop: Header=BB1355_988 Depth=2
	s_waitcnt lgkmcnt(0)
	v_bcnt_u32_b32 v37, v37, v210
	ds_write_b32 v212, v37 offset:544
.LBB1355_1056:                          ;   in Loop: Header=BB1355_988 Depth=2
	s_or_b32 exec_lo, exec_lo, s23
	; wave barrier
	s_waitcnt lgkmcnt(0)
	s_barrier
	buffer_gl0_inv
	ds_read2_b32 v[39:40], v65 offset0:136 offset1:137
	ds_read2_b32 v[37:38], v65 offset0:138 offset1:139
	ds_read_b32 v213, v65 offset:560
	s_waitcnt lgkmcnt(1)
	v_add3_u32 v214, v40, v39, v37
	s_waitcnt lgkmcnt(0)
	v_add3_u32 v213, v214, v38, v213
	v_mov_b32_dpp v214, v213 row_shr:1 row_mask:0xf bank_mask:0xf
	v_cndmask_b32_e64 v214, v214, 0, s5
	v_add_nc_u32_e32 v213, v214, v213
	v_mov_b32_dpp v214, v213 row_shr:2 row_mask:0xf bank_mask:0xf
	v_cndmask_b32_e64 v214, 0, v214, s16
	v_add_nc_u32_e32 v213, v213, v214
	;; [unrolled: 3-line block ×4, first 2 shown]
	ds_swizzle_b32 v214, v213 offset:swizzle(BROADCAST,32,15)
	s_waitcnt lgkmcnt(0)
	v_cndmask_b32_e64 v214, v214, 0, s19
	v_add_nc_u32_e32 v213, v213, v214
	s_and_saveexec_b32 s23, s4
; %bb.1057:                             ;   in Loop: Header=BB1355_988 Depth=2
	ds_write_b32 v60, v213 offset:512
; %bb.1058:                             ;   in Loop: Header=BB1355_988 Depth=2
	s_or_b32 exec_lo, exec_lo, s23
	s_waitcnt lgkmcnt(0)
	s_barrier
	buffer_gl0_inv
	s_and_saveexec_b32 s23, s12
	s_cbranch_execz .LBB1355_1060
; %bb.1059:                             ;   in Loop: Header=BB1355_988 Depth=2
	ds_read_b32 v214, v66 offset:512
	s_waitcnt lgkmcnt(0)
	v_mov_b32_dpp v215, v214 row_shr:1 row_mask:0xf bank_mask:0xf
	v_cndmask_b32_e64 v215, v215, 0, s20
	v_add_nc_u32_e32 v214, v215, v214
	v_mov_b32_dpp v215, v214 row_shr:2 row_mask:0xf bank_mask:0xf
	v_cndmask_b32_e64 v215, 0, v215, s21
	v_add_nc_u32_e32 v214, v214, v215
	v_mov_b32_dpp v215, v214 row_shr:4 row_mask:0xf bank_mask:0xf
	v_cndmask_b32_e64 v215, 0, v215, s22
	v_add_nc_u32_e32 v214, v214, v215
	ds_write_b32 v66, v214 offset:512
.LBB1355_1060:                          ;   in Loop: Header=BB1355_988 Depth=2
	s_or_b32 exec_lo, exec_lo, s23
	v_mov_b32_e32 v214, 0
	s_waitcnt lgkmcnt(0)
	s_barrier
	buffer_gl0_inv
	s_and_saveexec_b32 s23, s11
; %bb.1061:                             ;   in Loop: Header=BB1355_988 Depth=2
	ds_read_b32 v214, v60 offset:508
; %bb.1062:                             ;   in Loop: Header=BB1355_988 Depth=2
	s_or_b32 exec_lo, exec_lo, s23
	s_waitcnt lgkmcnt(0)
	v_add_nc_u32_e32 v213, v214, v213
	ds_bpermute_b32 v213, v126, v213
	s_waitcnt lgkmcnt(0)
	v_cndmask_b32_e64 v213, v213, v214, s15
	v_cndmask_b32_e64 v213, v213, 0, s13
	v_add_nc_u32_e32 v39, v213, v39
	v_add_nc_u32_e32 v40, v39, v40
	;; [unrolled: 1-line block ×4, first 2 shown]
	ds_write2_b32 v65, v213, v39 offset0:136 offset1:137
	ds_write2_b32 v65, v40, v37 offset0:138 offset1:139
	ds_write_b32 v65, v38 offset:560
	s_waitcnt lgkmcnt(0)
	s_barrier
	buffer_gl0_inv
	ds_read_b32 v39, v153 offset:544
	ds_read_b32 v153, v157 offset:544
	;; [unrolled: 1-line block ×16, first 2 shown]
	s_and_saveexec_b32 s23, s8
	s_cbranch_execz .LBB1355_1066
; %bb.1063:                             ;   in Loop: Header=BB1355_988 Depth=2
	ds_read_b32 v144, v68 offset:544
	v_mov_b32_e32 v149, 0x1000
	s_and_saveexec_b32 s24, s14
; %bb.1064:                             ;   in Loop: Header=BB1355_988 Depth=2
	ds_read_b32 v149, v67 offset:544
; %bb.1065:                             ;   in Loop: Header=BB1355_988 Depth=2
	s_or_b32 exec_lo, exec_lo, s24
	s_waitcnt lgkmcnt(0)
	v_sub_nc_u32_e32 v149, v149, v144
.LBB1355_1066:                          ;   in Loop: Header=BB1355_988 Depth=2
	s_or_b32 exec_lo, exec_lo, s23
	s_waitcnt lgkmcnt(0)
	s_barrier
	buffer_gl0_inv
	s_and_saveexec_b32 s23, s8
	s_cbranch_execz .LBB1355_1068
; %bb.1067:                             ;   in Loop: Header=BB1355_988 Depth=2
	ds_read_b32 v164, v41
	s_waitcnt lgkmcnt(0)
	v_sub_nc_u32_e32 v164, v164, v144
	ds_write_b32 v41, v164
.LBB1355_1068:                          ;   in Loop: Header=BB1355_988 Depth=2
	s_or_b32 exec_lo, exec_lo, s23
	v_add_nc_u32_e32 v171, v39, v152
	v_add3_u32 v167, v156, v155, v153
	v_add3_u32 v166, v160, v159, v157
	;; [unrolled: 1-line block ×5, first 2 shown]
	v_lshlrev_b32_e32 v169, 2, v171
	v_add3_u32 v155, v204, v203, v37
	v_lshlrev_b32_e32 v37, 2, v167
	v_add3_u32 v161, v180, v179, v182
	v_add3_u32 v160, v184, v183, v185
	ds_write_b32 v169, v3 offset:512
	v_lshlrev_b32_e32 v3, 2, v166
	ds_write_b32 v37, v151 offset:512
	v_lshlrev_b32_e32 v37, 2, v163
	v_add3_u32 v159, v187, v186, v188
	v_add3_u32 v153, v208, v207, v38
	v_lshlrev_b32_e32 v38, 2, v165
	v_add3_u32 v157, v190, v189, v191
	v_lshlrev_b32_e32 v169, 2, v164
	v_add3_u32 v156, v194, v193, v195
	v_add3_u32 v152, v198, v197, v214
	ds_write_b32 v3, v154 offset:512
	ds_write_b32 v38, v158 offset:512
	;; [unrolled: 1-line block ×3, first 2 shown]
	v_lshlrev_b32_e32 v3, 2, v161
	ds_write_b32 v37, v168 offset:512
	v_lshlrev_b32_e32 v37, 2, v160
	v_lshlrev_b32_e32 v38, 2, v159
	;; [unrolled: 1-line block ×3, first 2 shown]
	v_add3_u32 v39, v201, v200, v215
	v_add3_u32 v40, v211, v210, v40
	ds_write_b32 v3, v173 offset:512
	v_lshlrev_b32_e32 v3, 2, v156
	ds_write_b32 v37, v178 offset:512
	ds_write_b32 v38, v181 offset:512
	;; [unrolled: 1-line block ×3, first 2 shown]
	v_lshlrev_b32_e32 v37, 2, v152
	v_cmp_lt_u32_e32 vcc_lo, v0, v150
	v_lshlrev_b32_e32 v38, 2, v155
	ds_write_b32 v3, v172 offset:512
	v_lshlrev_b32_e32 v3, 2, v39
	ds_write_b32 v37, v192 offset:512
	v_lshlrev_b32_e32 v37, 2, v40
	v_lshlrev_b32_e32 v151, 2, v153
	ds_write_b32 v3, v196 offset:512
	ds_write_b32 v38, v199 offset:512
	;; [unrolled: 1-line block ×4, first 2 shown]
	s_waitcnt lgkmcnt(0)
	s_barrier
	buffer_gl0_inv
	s_and_saveexec_b32 s24, vcc_lo
	s_cbranch_execnz .LBB1355_1137
; %bb.1069:                             ;   in Loop: Header=BB1355_988 Depth=2
	s_or_b32 exec_lo, exec_lo, s24
	v_cmp_lt_u32_e64 s23, v42, v150
	s_and_saveexec_b32 s25, s23
	s_cbranch_execnz .LBB1355_1138
.LBB1355_1070:                          ;   in Loop: Header=BB1355_988 Depth=2
	s_or_b32 exec_lo, exec_lo, s25
	v_cmp_lt_u32_e64 s24, v45, v150
	s_and_saveexec_b32 s26, s24
	s_cbranch_execnz .LBB1355_1139
.LBB1355_1071:                          ;   in Loop: Header=BB1355_988 Depth=2
	s_or_b32 exec_lo, exec_lo, s26
	v_cmp_lt_u32_e64 s25, v46, v150
	s_and_saveexec_b32 s27, s25
	s_cbranch_execnz .LBB1355_1140
.LBB1355_1072:                          ;   in Loop: Header=BB1355_988 Depth=2
	s_or_b32 exec_lo, exec_lo, s27
	v_cmp_lt_u32_e64 s26, v47, v150
	s_and_saveexec_b32 s28, s26
	s_cbranch_execnz .LBB1355_1141
.LBB1355_1073:                          ;   in Loop: Header=BB1355_988 Depth=2
	s_or_b32 exec_lo, exec_lo, s28
	v_cmp_lt_u32_e64 s27, v48, v150
	s_and_saveexec_b32 s29, s27
	s_cbranch_execnz .LBB1355_1142
.LBB1355_1074:                          ;   in Loop: Header=BB1355_988 Depth=2
	s_or_b32 exec_lo, exec_lo, s29
	v_cmp_lt_u32_e64 s28, v49, v150
	s_and_saveexec_b32 s30, s28
	s_cbranch_execnz .LBB1355_1143
.LBB1355_1075:                          ;   in Loop: Header=BB1355_988 Depth=2
	s_or_b32 exec_lo, exec_lo, s30
	v_cmp_lt_u32_e64 s29, v50, v150
	s_and_saveexec_b32 s31, s29
	s_cbranch_execnz .LBB1355_1144
.LBB1355_1076:                          ;   in Loop: Header=BB1355_988 Depth=2
	s_or_b32 exec_lo, exec_lo, s31
	v_cmp_lt_u32_e64 s30, v51, v150
	s_and_saveexec_b32 s33, s30
	s_cbranch_execnz .LBB1355_1145
.LBB1355_1077:                          ;   in Loop: Header=BB1355_988 Depth=2
	s_or_b32 exec_lo, exec_lo, s33
	v_cmp_lt_u32_e64 s31, v52, v150
	s_and_saveexec_b32 s34, s31
	s_cbranch_execnz .LBB1355_1146
.LBB1355_1078:                          ;   in Loop: Header=BB1355_988 Depth=2
	s_or_b32 exec_lo, exec_lo, s34
	v_cmp_lt_u32_e64 s33, v53, v150
	s_and_saveexec_b32 s35, s33
	s_cbranch_execnz .LBB1355_1147
.LBB1355_1079:                          ;   in Loop: Header=BB1355_988 Depth=2
	s_or_b32 exec_lo, exec_lo, s35
	v_cmp_lt_u32_e64 s34, v54, v150
	s_and_saveexec_b32 s36, s34
	s_cbranch_execnz .LBB1355_1148
.LBB1355_1080:                          ;   in Loop: Header=BB1355_988 Depth=2
	s_or_b32 exec_lo, exec_lo, s36
	v_cmp_lt_u32_e64 s35, v55, v150
	s_and_saveexec_b32 s37, s35
	s_cbranch_execnz .LBB1355_1149
.LBB1355_1081:                          ;   in Loop: Header=BB1355_988 Depth=2
	s_or_b32 exec_lo, exec_lo, s37
	v_cmp_lt_u32_e64 s36, v56, v150
	s_and_saveexec_b32 s38, s36
	s_cbranch_execnz .LBB1355_1150
.LBB1355_1082:                          ;   in Loop: Header=BB1355_988 Depth=2
	s_or_b32 exec_lo, exec_lo, s38
	v_cmp_lt_u32_e64 s37, v57, v150
	s_and_saveexec_b32 s39, s37
	s_cbranch_execnz .LBB1355_1151
.LBB1355_1083:                          ;   in Loop: Header=BB1355_988 Depth=2
	s_or_b32 exec_lo, exec_lo, s39
	v_cmp_lt_u32_e64 s38, v58, v150
	s_and_saveexec_b32 s64, s38
	s_cbranch_execz .LBB1355_1085
.LBB1355_1084:                          ;   in Loop: Header=BB1355_988 Depth=2
	ds_read_b32 v151, v66 offset:15872
	s_waitcnt lgkmcnt(0)
	v_cmp_ne_u32_e64 s39, 0x80000000, v151
	v_cndmask_b32_e64 v3, 0x7fffffff, v151, s39
	v_cmp_gt_i32_e64 s39, 0, v151
	v_lshrrev_b32_e32 v3, s53, v3
	v_cndmask_b32_e64 v154, 0x7fffffff, 0, s39
	v_and_b32_e32 v3, s61, v3
	v_lshlrev_b32_e32 v3, 2, v3
	ds_read_b32 v3, v3
	s_waitcnt lgkmcnt(0)
	v_add_nc_u32_e32 v3, v3, v58
	v_lshlrev_b64 v[37:38], 2, v[3:4]
	v_xor_b32_e32 v3, v154, v151
	v_add_co_u32 v37, s39, s44, v37
	v_add_co_ci_u32_e64 v38, null, s45, v38, s39
	global_store_dword v[37:38], v3, off
.LBB1355_1085:                          ;   in Loop: Header=BB1355_988 Depth=2
	s_or_b32 exec_lo, exec_lo, s64
	s_lshl_b64 s[64:65], s[46:47], 3
	v_add_co_u32 v37, s39, v127, s64
	v_add_co_ci_u32_e64 v38, null, s65, v128, s39
	v_cmp_lt_u32_e64 s39, v105, v150
	s_and_saveexec_b32 s46, s39
	s_xor_b32 s39, exec_lo, s46
	s_cbranch_execnz .LBB1355_1152
; %bb.1086:                             ;   in Loop: Header=BB1355_988 Depth=2
	s_or_b32 exec_lo, exec_lo, s39
	s_mov_b32 s46, exec_lo
	v_cmpx_lt_u32_e64 v108, v150
	s_cbranch_execnz .LBB1355_1153
.LBB1355_1087:                          ;   in Loop: Header=BB1355_988 Depth=2
	s_or_b32 exec_lo, exec_lo, s46
	s_mov_b32 s46, exec_lo
	v_cmpx_lt_u32_e64 v109, v150
	s_cbranch_execnz .LBB1355_1154
.LBB1355_1088:                          ;   in Loop: Header=BB1355_988 Depth=2
	s_or_b32 exec_lo, exec_lo, s46
	s_mov_b32 s46, exec_lo
	v_cmpx_lt_u32_e64 v110, v150
	s_cbranch_execnz .LBB1355_1155
.LBB1355_1089:                          ;   in Loop: Header=BB1355_988 Depth=2
	s_or_b32 exec_lo, exec_lo, s46
	s_mov_b32 s46, exec_lo
	v_cmpx_lt_u32_e64 v111, v150
	s_cbranch_execnz .LBB1355_1156
.LBB1355_1090:                          ;   in Loop: Header=BB1355_988 Depth=2
	s_or_b32 exec_lo, exec_lo, s46
	s_mov_b32 s46, exec_lo
	v_cmpx_lt_u32_e64 v112, v150
	s_cbranch_execnz .LBB1355_1157
.LBB1355_1091:                          ;   in Loop: Header=BB1355_988 Depth=2
	s_or_b32 exec_lo, exec_lo, s46
	s_mov_b32 s46, exec_lo
	v_cmpx_lt_u32_e64 v113, v150
	s_cbranch_execnz .LBB1355_1158
.LBB1355_1092:                          ;   in Loop: Header=BB1355_988 Depth=2
	s_or_b32 exec_lo, exec_lo, s46
	s_mov_b32 s46, exec_lo
	v_cmpx_lt_u32_e64 v114, v150
	s_cbranch_execnz .LBB1355_1159
.LBB1355_1093:                          ;   in Loop: Header=BB1355_988 Depth=2
	s_or_b32 exec_lo, exec_lo, s46
	s_mov_b32 s46, exec_lo
	v_cmpx_lt_u32_e64 v115, v150
	s_cbranch_execnz .LBB1355_1160
.LBB1355_1094:                          ;   in Loop: Header=BB1355_988 Depth=2
	s_or_b32 exec_lo, exec_lo, s46
	s_mov_b32 s46, exec_lo
	v_cmpx_lt_u32_e64 v116, v150
	s_cbranch_execnz .LBB1355_1161
.LBB1355_1095:                          ;   in Loop: Header=BB1355_988 Depth=2
	s_or_b32 exec_lo, exec_lo, s46
	s_mov_b32 s46, exec_lo
	v_cmpx_lt_u32_e64 v117, v150
	s_cbranch_execnz .LBB1355_1162
.LBB1355_1096:                          ;   in Loop: Header=BB1355_988 Depth=2
	s_or_b32 exec_lo, exec_lo, s46
	s_mov_b32 s46, exec_lo
	v_cmpx_lt_u32_e64 v118, v150
	s_cbranch_execnz .LBB1355_1163
.LBB1355_1097:                          ;   in Loop: Header=BB1355_988 Depth=2
	s_or_b32 exec_lo, exec_lo, s46
	s_mov_b32 s46, exec_lo
	v_cmpx_lt_u32_e64 v119, v150
	s_cbranch_execnz .LBB1355_1164
.LBB1355_1098:                          ;   in Loop: Header=BB1355_988 Depth=2
	s_or_b32 exec_lo, exec_lo, s46
	s_mov_b32 s46, exec_lo
	v_cmpx_lt_u32_e64 v121, v150
	s_cbranch_execnz .LBB1355_1165
.LBB1355_1099:                          ;   in Loop: Header=BB1355_988 Depth=2
	s_or_b32 exec_lo, exec_lo, s46
	s_mov_b32 s46, exec_lo
	v_cmpx_lt_u32_e64 v122, v150
	s_cbranch_execnz .LBB1355_1166
.LBB1355_1100:                          ;   in Loop: Header=BB1355_988 Depth=2
	s_or_b32 exec_lo, exec_lo, s46
	s_mov_b32 s46, exec_lo
	v_cmpx_lt_u32_e64 v123, v150
	s_cbranch_execnz .LBB1355_1167
.LBB1355_1101:                          ;   in Loop: Header=BB1355_988 Depth=2
	s_or_b32 exec_lo, exec_lo, s46
	s_and_saveexec_b32 s46, vcc_lo
	s_cbranch_execnz .LBB1355_1168
.LBB1355_1102:                          ;   in Loop: Header=BB1355_988 Depth=2
	s_or_b32 exec_lo, exec_lo, s46
	s_and_saveexec_b32 s46, s23
	s_cbranch_execnz .LBB1355_1169
.LBB1355_1103:                          ;   in Loop: Header=BB1355_988 Depth=2
	s_or_b32 exec_lo, exec_lo, s46
	s_and_saveexec_b32 s46, s24
	s_cbranch_execnz .LBB1355_1170
.LBB1355_1104:                          ;   in Loop: Header=BB1355_988 Depth=2
	s_or_b32 exec_lo, exec_lo, s46
	s_and_saveexec_b32 s46, s25
	s_cbranch_execnz .LBB1355_1171
.LBB1355_1105:                          ;   in Loop: Header=BB1355_988 Depth=2
	s_or_b32 exec_lo, exec_lo, s46
	s_and_saveexec_b32 s46, s26
	s_cbranch_execnz .LBB1355_1172
.LBB1355_1106:                          ;   in Loop: Header=BB1355_988 Depth=2
	s_or_b32 exec_lo, exec_lo, s46
	s_and_saveexec_b32 s46, s27
	s_cbranch_execnz .LBB1355_1173
.LBB1355_1107:                          ;   in Loop: Header=BB1355_988 Depth=2
	s_or_b32 exec_lo, exec_lo, s46
	s_and_saveexec_b32 s46, s28
	s_cbranch_execnz .LBB1355_1174
.LBB1355_1108:                          ;   in Loop: Header=BB1355_988 Depth=2
	s_or_b32 exec_lo, exec_lo, s46
	s_and_saveexec_b32 s46, s29
	s_cbranch_execnz .LBB1355_1175
.LBB1355_1109:                          ;   in Loop: Header=BB1355_988 Depth=2
	s_or_b32 exec_lo, exec_lo, s46
	s_and_saveexec_b32 s46, s30
	s_cbranch_execnz .LBB1355_1176
.LBB1355_1110:                          ;   in Loop: Header=BB1355_988 Depth=2
	s_or_b32 exec_lo, exec_lo, s46
	s_and_saveexec_b32 s46, s31
	s_cbranch_execnz .LBB1355_1177
.LBB1355_1111:                          ;   in Loop: Header=BB1355_988 Depth=2
	s_or_b32 exec_lo, exec_lo, s46
	s_and_saveexec_b32 s46, s33
	s_cbranch_execnz .LBB1355_1178
.LBB1355_1112:                          ;   in Loop: Header=BB1355_988 Depth=2
	s_or_b32 exec_lo, exec_lo, s46
	s_and_saveexec_b32 s46, s34
	s_cbranch_execnz .LBB1355_1179
.LBB1355_1113:                          ;   in Loop: Header=BB1355_988 Depth=2
	s_or_b32 exec_lo, exec_lo, s46
	s_and_saveexec_b32 s46, s35
	s_cbranch_execnz .LBB1355_1180
.LBB1355_1114:                          ;   in Loop: Header=BB1355_988 Depth=2
	s_or_b32 exec_lo, exec_lo, s46
	s_and_saveexec_b32 s46, s36
	s_cbranch_execnz .LBB1355_1181
.LBB1355_1115:                          ;   in Loop: Header=BB1355_988 Depth=2
	s_or_b32 exec_lo, exec_lo, s46
	s_and_saveexec_b32 s46, s37
	s_cbranch_execnz .LBB1355_1182
.LBB1355_1116:                          ;   in Loop: Header=BB1355_988 Depth=2
	s_or_b32 exec_lo, exec_lo, s46
	s_and_saveexec_b32 s46, s38
	s_cbranch_execz .LBB1355_1118
.LBB1355_1117:                          ;   in Loop: Header=BB1355_988 Depth=2
	ds_read_b32 v3, v66 offset:15872
	s_waitcnt lgkmcnt(0)
	v_cmp_ne_u32_e64 s39, 0x80000000, v3
	v_cndmask_b32_e64 v3, 0x7fffffff, v3, s39
	v_lshrrev_b32_e32 v3, s53, v3
	v_and_b32_e32 v132, s61, v3
.LBB1355_1118:                          ;   in Loop: Header=BB1355_988 Depth=2
	s_or_b32 exec_lo, exec_lo, s46
	v_lshlrev_b32_e32 v3, 3, v171
	v_lshlrev_b32_e32 v37, 3, v167
	s_waitcnt vmcnt(0)
	s_waitcnt_vscnt null, 0x0
	s_barrier
	buffer_gl0_inv
	ds_write_b64 v3, v[35:36] offset:512
	v_lshlrev_b32_e32 v3, 3, v166
	ds_write_b64 v37, v[33:34] offset:512
	v_lshlrev_b32_e32 v37, 3, v163
	v_lshlrev_b32_e32 v38, 3, v165
	;; [unrolled: 1-line block ×3, first 2 shown]
	ds_write_b64 v3, v[31:32] offset:512
	ds_write_b64 v38, v[29:30] offset:512
	;; [unrolled: 1-line block ×3, first 2 shown]
	v_lshlrev_b32_e32 v3, 3, v161
	ds_write_b64 v37, v[23:24] offset:512
	v_lshlrev_b32_e32 v37, 3, v160
	v_lshlrev_b32_e32 v38, 3, v159
	;; [unrolled: 1-line block ×3, first 2 shown]
	ds_write_b64 v3, v[19:20] offset:512
	v_lshlrev_b32_e32 v3, 3, v156
	ds_write_b64 v37, v[15:16] offset:512
	ds_write_b64 v38, v[25:26] offset:512
	;; [unrolled: 1-line block ×3, first 2 shown]
	v_lshlrev_b32_e32 v37, 3, v152
	v_lshlrev_b32_e32 v40, 3, v40
	v_lshlrev_b32_e32 v38, 3, v155
	ds_write_b64 v3, v[17:18] offset:512
	v_lshlrev_b32_e32 v3, 3, v39
	ds_write_b64 v37, v[13:14] offset:512
	v_add_nc_u32_e32 v37, v66, v41
	v_lshlrev_b32_e32 v39, 3, v153
	ds_write_b64 v3, v[11:12] offset:512
	ds_write_b64 v38, v[9:10] offset:512
	;; [unrolled: 1-line block ×4, first 2 shown]
	s_waitcnt lgkmcnt(0)
	s_barrier
	buffer_gl0_inv
	s_and_saveexec_b32 s39, vcc_lo
	s_cbranch_execnz .LBB1355_1183
; %bb.1119:                             ;   in Loop: Header=BB1355_988 Depth=2
	s_or_b32 exec_lo, exec_lo, s39
	s_and_saveexec_b32 s39, s23
	s_cbranch_execnz .LBB1355_1184
.LBB1355_1120:                          ;   in Loop: Header=BB1355_988 Depth=2
	s_or_b32 exec_lo, exec_lo, s39
	s_and_saveexec_b32 s23, s24
	s_cbranch_execnz .LBB1355_1185
.LBB1355_1121:                          ;   in Loop: Header=BB1355_988 Depth=2
	s_or_b32 exec_lo, exec_lo, s23
	s_and_saveexec_b32 s23, s25
	s_cbranch_execnz .LBB1355_1186
.LBB1355_1122:                          ;   in Loop: Header=BB1355_988 Depth=2
	s_or_b32 exec_lo, exec_lo, s23
	s_and_saveexec_b32 s23, s26
	s_cbranch_execnz .LBB1355_1187
.LBB1355_1123:                          ;   in Loop: Header=BB1355_988 Depth=2
	s_or_b32 exec_lo, exec_lo, s23
	s_and_saveexec_b32 s23, s27
	s_cbranch_execnz .LBB1355_1188
.LBB1355_1124:                          ;   in Loop: Header=BB1355_988 Depth=2
	s_or_b32 exec_lo, exec_lo, s23
	s_and_saveexec_b32 s23, s28
	s_cbranch_execnz .LBB1355_1189
.LBB1355_1125:                          ;   in Loop: Header=BB1355_988 Depth=2
	s_or_b32 exec_lo, exec_lo, s23
	s_and_saveexec_b32 s23, s29
	s_cbranch_execnz .LBB1355_1190
.LBB1355_1126:                          ;   in Loop: Header=BB1355_988 Depth=2
	s_or_b32 exec_lo, exec_lo, s23
	s_and_saveexec_b32 s23, s30
	s_cbranch_execnz .LBB1355_1191
.LBB1355_1127:                          ;   in Loop: Header=BB1355_988 Depth=2
	s_or_b32 exec_lo, exec_lo, s23
	s_and_saveexec_b32 s23, s31
	s_cbranch_execnz .LBB1355_1192
.LBB1355_1128:                          ;   in Loop: Header=BB1355_988 Depth=2
	s_or_b32 exec_lo, exec_lo, s23
	s_and_saveexec_b32 s23, s33
	s_cbranch_execnz .LBB1355_1193
.LBB1355_1129:                          ;   in Loop: Header=BB1355_988 Depth=2
	s_or_b32 exec_lo, exec_lo, s23
	s_and_saveexec_b32 s23, s34
	s_cbranch_execnz .LBB1355_1194
.LBB1355_1130:                          ;   in Loop: Header=BB1355_988 Depth=2
	s_or_b32 exec_lo, exec_lo, s23
	s_and_saveexec_b32 s23, s35
	s_cbranch_execnz .LBB1355_1195
.LBB1355_1131:                          ;   in Loop: Header=BB1355_988 Depth=2
	s_or_b32 exec_lo, exec_lo, s23
	s_and_saveexec_b32 s23, s36
	s_cbranch_execnz .LBB1355_1196
.LBB1355_1132:                          ;   in Loop: Header=BB1355_988 Depth=2
	s_or_b32 exec_lo, exec_lo, s23
	s_and_saveexec_b32 s23, s37
	s_cbranch_execnz .LBB1355_1197
.LBB1355_1133:                          ;   in Loop: Header=BB1355_988 Depth=2
	s_or_b32 exec_lo, exec_lo, s23
	s_and_saveexec_b32 s23, s38
	s_cbranch_execz .LBB1355_1135
.LBB1355_1134:                          ;   in Loop: Header=BB1355_988 Depth=2
	v_lshlrev_b32_e32 v3, 2, v132
	ds_read_b32 v3, v3
	ds_read_b64 v[37:38], v37 offset:31232
	s_waitcnt lgkmcnt(1)
	v_add_nc_u32_e32 v3, v3, v58
	v_lshlrev_b64 v[39:40], 3, v[3:4]
	v_add_co_u32 v39, vcc_lo, s50, v39
	v_add_co_ci_u32_e64 v40, null, s51, v40, vcc_lo
	s_waitcnt lgkmcnt(0)
	global_store_dwordx2 v[39:40], v[37:38], off
.LBB1355_1135:                          ;   in Loop: Header=BB1355_988 Depth=2
	s_or_b32 exec_lo, exec_lo, s23
	s_waitcnt_vscnt null, 0x0
	s_barrier
	buffer_gl0_inv
	s_and_saveexec_b32 s23, s8
	s_cbranch_execz .LBB1355_987
; %bb.1136:                             ;   in Loop: Header=BB1355_988 Depth=2
	ds_read_b32 v3, v41
	s_waitcnt lgkmcnt(0)
	v_add3_u32 v3, v144, v149, v3
	ds_write_b32 v41, v3
	s_branch .LBB1355_987
.LBB1355_1137:                          ;   in Loop: Header=BB1355_988 Depth=2
	ds_read_b32 v151, v66 offset:512
	s_waitcnt lgkmcnt(0)
	v_cmp_ne_u32_e64 s23, 0x80000000, v151
	v_cndmask_b32_e64 v3, 0x7fffffff, v151, s23
	v_cmp_gt_i32_e64 s23, 0, v151
	v_lshrrev_b32_e32 v3, s53, v3
	v_cndmask_b32_e64 v154, 0x7fffffff, 0, s23
	v_and_b32_e32 v3, s61, v3
	v_lshlrev_b32_e32 v3, 2, v3
	ds_read_b32 v3, v3
	s_waitcnt lgkmcnt(0)
	v_add_nc_u32_e32 v3, v3, v0
	v_lshlrev_b64 v[37:38], 2, v[3:4]
	v_xor_b32_e32 v3, v154, v151
	v_add_co_u32 v37, s23, s44, v37
	v_add_co_ci_u32_e64 v38, null, s45, v38, s23
	global_store_dword v[37:38], v3, off
	s_or_b32 exec_lo, exec_lo, s24
	v_cmp_lt_u32_e64 s23, v42, v150
	s_and_saveexec_b32 s25, s23
	s_cbranch_execz .LBB1355_1070
.LBB1355_1138:                          ;   in Loop: Header=BB1355_988 Depth=2
	ds_read_b32 v151, v66 offset:1536
	s_waitcnt lgkmcnt(0)
	v_cmp_ne_u32_e64 s24, 0x80000000, v151
	v_cndmask_b32_e64 v3, 0x7fffffff, v151, s24
	v_cmp_gt_i32_e64 s24, 0, v151
	v_lshrrev_b32_e32 v3, s53, v3
	v_cndmask_b32_e64 v154, 0x7fffffff, 0, s24
	v_and_b32_e32 v3, s61, v3
	v_lshlrev_b32_e32 v3, 2, v3
	ds_read_b32 v3, v3
	s_waitcnt lgkmcnt(0)
	v_add_nc_u32_e32 v3, v3, v42
	v_lshlrev_b64 v[37:38], 2, v[3:4]
	v_xor_b32_e32 v3, v154, v151
	v_add_co_u32 v37, s24, s44, v37
	v_add_co_ci_u32_e64 v38, null, s45, v38, s24
	global_store_dword v[37:38], v3, off
	s_or_b32 exec_lo, exec_lo, s25
	v_cmp_lt_u32_e64 s24, v45, v150
	s_and_saveexec_b32 s26, s24
	s_cbranch_execz .LBB1355_1071
.LBB1355_1139:                          ;   in Loop: Header=BB1355_988 Depth=2
	ds_read_b32 v151, v66 offset:2560
	s_waitcnt lgkmcnt(0)
	v_cmp_ne_u32_e64 s25, 0x80000000, v151
	v_cndmask_b32_e64 v3, 0x7fffffff, v151, s25
	v_cmp_gt_i32_e64 s25, 0, v151
	v_lshrrev_b32_e32 v3, s53, v3
	v_cndmask_b32_e64 v154, 0x7fffffff, 0, s25
	v_and_b32_e32 v3, s61, v3
	v_lshlrev_b32_e32 v3, 2, v3
	ds_read_b32 v3, v3
	s_waitcnt lgkmcnt(0)
	v_add_nc_u32_e32 v3, v3, v45
	v_lshlrev_b64 v[37:38], 2, v[3:4]
	v_xor_b32_e32 v3, v154, v151
	v_add_co_u32 v37, s25, s44, v37
	v_add_co_ci_u32_e64 v38, null, s45, v38, s25
	global_store_dword v[37:38], v3, off
	s_or_b32 exec_lo, exec_lo, s26
	v_cmp_lt_u32_e64 s25, v46, v150
	s_and_saveexec_b32 s27, s25
	s_cbranch_execz .LBB1355_1072
.LBB1355_1140:                          ;   in Loop: Header=BB1355_988 Depth=2
	ds_read_b32 v151, v66 offset:3584
	s_waitcnt lgkmcnt(0)
	v_cmp_ne_u32_e64 s26, 0x80000000, v151
	v_cndmask_b32_e64 v3, 0x7fffffff, v151, s26
	v_cmp_gt_i32_e64 s26, 0, v151
	v_lshrrev_b32_e32 v3, s53, v3
	v_cndmask_b32_e64 v154, 0x7fffffff, 0, s26
	v_and_b32_e32 v3, s61, v3
	v_lshlrev_b32_e32 v3, 2, v3
	ds_read_b32 v3, v3
	s_waitcnt lgkmcnt(0)
	v_add_nc_u32_e32 v3, v3, v46
	v_lshlrev_b64 v[37:38], 2, v[3:4]
	v_xor_b32_e32 v3, v154, v151
	v_add_co_u32 v37, s26, s44, v37
	v_add_co_ci_u32_e64 v38, null, s45, v38, s26
	global_store_dword v[37:38], v3, off
	s_or_b32 exec_lo, exec_lo, s27
	v_cmp_lt_u32_e64 s26, v47, v150
	s_and_saveexec_b32 s28, s26
	s_cbranch_execz .LBB1355_1073
.LBB1355_1141:                          ;   in Loop: Header=BB1355_988 Depth=2
	ds_read_b32 v151, v66 offset:4608
	s_waitcnt lgkmcnt(0)
	v_cmp_ne_u32_e64 s27, 0x80000000, v151
	v_cndmask_b32_e64 v3, 0x7fffffff, v151, s27
	v_cmp_gt_i32_e64 s27, 0, v151
	v_lshrrev_b32_e32 v3, s53, v3
	v_cndmask_b32_e64 v154, 0x7fffffff, 0, s27
	v_and_b32_e32 v3, s61, v3
	v_lshlrev_b32_e32 v3, 2, v3
	ds_read_b32 v3, v3
	s_waitcnt lgkmcnt(0)
	v_add_nc_u32_e32 v3, v3, v47
	v_lshlrev_b64 v[37:38], 2, v[3:4]
	v_xor_b32_e32 v3, v154, v151
	v_add_co_u32 v37, s27, s44, v37
	v_add_co_ci_u32_e64 v38, null, s45, v38, s27
	global_store_dword v[37:38], v3, off
	s_or_b32 exec_lo, exec_lo, s28
	v_cmp_lt_u32_e64 s27, v48, v150
	s_and_saveexec_b32 s29, s27
	s_cbranch_execz .LBB1355_1074
.LBB1355_1142:                          ;   in Loop: Header=BB1355_988 Depth=2
	ds_read_b32 v151, v66 offset:5632
	s_waitcnt lgkmcnt(0)
	v_cmp_ne_u32_e64 s28, 0x80000000, v151
	v_cndmask_b32_e64 v3, 0x7fffffff, v151, s28
	v_cmp_gt_i32_e64 s28, 0, v151
	v_lshrrev_b32_e32 v3, s53, v3
	v_cndmask_b32_e64 v154, 0x7fffffff, 0, s28
	v_and_b32_e32 v3, s61, v3
	v_lshlrev_b32_e32 v3, 2, v3
	ds_read_b32 v3, v3
	s_waitcnt lgkmcnt(0)
	v_add_nc_u32_e32 v3, v3, v48
	v_lshlrev_b64 v[37:38], 2, v[3:4]
	v_xor_b32_e32 v3, v154, v151
	v_add_co_u32 v37, s28, s44, v37
	v_add_co_ci_u32_e64 v38, null, s45, v38, s28
	global_store_dword v[37:38], v3, off
	s_or_b32 exec_lo, exec_lo, s29
	v_cmp_lt_u32_e64 s28, v49, v150
	s_and_saveexec_b32 s30, s28
	s_cbranch_execz .LBB1355_1075
.LBB1355_1143:                          ;   in Loop: Header=BB1355_988 Depth=2
	ds_read_b32 v151, v66 offset:6656
	s_waitcnt lgkmcnt(0)
	v_cmp_ne_u32_e64 s29, 0x80000000, v151
	v_cndmask_b32_e64 v3, 0x7fffffff, v151, s29
	v_cmp_gt_i32_e64 s29, 0, v151
	v_lshrrev_b32_e32 v3, s53, v3
	v_cndmask_b32_e64 v154, 0x7fffffff, 0, s29
	v_and_b32_e32 v3, s61, v3
	v_lshlrev_b32_e32 v3, 2, v3
	ds_read_b32 v3, v3
	s_waitcnt lgkmcnt(0)
	v_add_nc_u32_e32 v3, v3, v49
	v_lshlrev_b64 v[37:38], 2, v[3:4]
	v_xor_b32_e32 v3, v154, v151
	v_add_co_u32 v37, s29, s44, v37
	v_add_co_ci_u32_e64 v38, null, s45, v38, s29
	global_store_dword v[37:38], v3, off
	s_or_b32 exec_lo, exec_lo, s30
	v_cmp_lt_u32_e64 s29, v50, v150
	s_and_saveexec_b32 s31, s29
	s_cbranch_execz .LBB1355_1076
.LBB1355_1144:                          ;   in Loop: Header=BB1355_988 Depth=2
	ds_read_b32 v151, v66 offset:7680
	s_waitcnt lgkmcnt(0)
	v_cmp_ne_u32_e64 s30, 0x80000000, v151
	v_cndmask_b32_e64 v3, 0x7fffffff, v151, s30
	v_cmp_gt_i32_e64 s30, 0, v151
	v_lshrrev_b32_e32 v3, s53, v3
	v_cndmask_b32_e64 v154, 0x7fffffff, 0, s30
	v_and_b32_e32 v3, s61, v3
	v_lshlrev_b32_e32 v3, 2, v3
	ds_read_b32 v3, v3
	s_waitcnt lgkmcnt(0)
	v_add_nc_u32_e32 v3, v3, v50
	v_lshlrev_b64 v[37:38], 2, v[3:4]
	v_xor_b32_e32 v3, v154, v151
	v_add_co_u32 v37, s30, s44, v37
	v_add_co_ci_u32_e64 v38, null, s45, v38, s30
	global_store_dword v[37:38], v3, off
	s_or_b32 exec_lo, exec_lo, s31
	v_cmp_lt_u32_e64 s30, v51, v150
	s_and_saveexec_b32 s33, s30
	s_cbranch_execz .LBB1355_1077
.LBB1355_1145:                          ;   in Loop: Header=BB1355_988 Depth=2
	ds_read_b32 v151, v66 offset:8704
	s_waitcnt lgkmcnt(0)
	v_cmp_ne_u32_e64 s31, 0x80000000, v151
	v_cndmask_b32_e64 v3, 0x7fffffff, v151, s31
	v_cmp_gt_i32_e64 s31, 0, v151
	v_lshrrev_b32_e32 v3, s53, v3
	v_cndmask_b32_e64 v154, 0x7fffffff, 0, s31
	v_and_b32_e32 v3, s61, v3
	v_lshlrev_b32_e32 v3, 2, v3
	ds_read_b32 v3, v3
	s_waitcnt lgkmcnt(0)
	v_add_nc_u32_e32 v3, v3, v51
	v_lshlrev_b64 v[37:38], 2, v[3:4]
	v_xor_b32_e32 v3, v154, v151
	v_add_co_u32 v37, s31, s44, v37
	v_add_co_ci_u32_e64 v38, null, s45, v38, s31
	global_store_dword v[37:38], v3, off
	s_or_b32 exec_lo, exec_lo, s33
	v_cmp_lt_u32_e64 s31, v52, v150
	s_and_saveexec_b32 s34, s31
	s_cbranch_execz .LBB1355_1078
.LBB1355_1146:                          ;   in Loop: Header=BB1355_988 Depth=2
	ds_read_b32 v151, v66 offset:9728
	s_waitcnt lgkmcnt(0)
	v_cmp_ne_u32_e64 s33, 0x80000000, v151
	v_cndmask_b32_e64 v3, 0x7fffffff, v151, s33
	v_cmp_gt_i32_e64 s33, 0, v151
	v_lshrrev_b32_e32 v3, s53, v3
	v_cndmask_b32_e64 v154, 0x7fffffff, 0, s33
	v_and_b32_e32 v3, s61, v3
	v_lshlrev_b32_e32 v3, 2, v3
	ds_read_b32 v3, v3
	s_waitcnt lgkmcnt(0)
	v_add_nc_u32_e32 v3, v3, v52
	v_lshlrev_b64 v[37:38], 2, v[3:4]
	v_xor_b32_e32 v3, v154, v151
	v_add_co_u32 v37, s33, s44, v37
	v_add_co_ci_u32_e64 v38, null, s45, v38, s33
	global_store_dword v[37:38], v3, off
	s_or_b32 exec_lo, exec_lo, s34
	v_cmp_lt_u32_e64 s33, v53, v150
	s_and_saveexec_b32 s35, s33
	s_cbranch_execz .LBB1355_1079
.LBB1355_1147:                          ;   in Loop: Header=BB1355_988 Depth=2
	ds_read_b32 v151, v66 offset:10752
	s_waitcnt lgkmcnt(0)
	v_cmp_ne_u32_e64 s34, 0x80000000, v151
	v_cndmask_b32_e64 v3, 0x7fffffff, v151, s34
	v_cmp_gt_i32_e64 s34, 0, v151
	v_lshrrev_b32_e32 v3, s53, v3
	v_cndmask_b32_e64 v154, 0x7fffffff, 0, s34
	v_and_b32_e32 v3, s61, v3
	v_lshlrev_b32_e32 v3, 2, v3
	ds_read_b32 v3, v3
	s_waitcnt lgkmcnt(0)
	v_add_nc_u32_e32 v3, v3, v53
	v_lshlrev_b64 v[37:38], 2, v[3:4]
	v_xor_b32_e32 v3, v154, v151
	v_add_co_u32 v37, s34, s44, v37
	v_add_co_ci_u32_e64 v38, null, s45, v38, s34
	global_store_dword v[37:38], v3, off
	s_or_b32 exec_lo, exec_lo, s35
	v_cmp_lt_u32_e64 s34, v54, v150
	s_and_saveexec_b32 s36, s34
	s_cbranch_execz .LBB1355_1080
.LBB1355_1148:                          ;   in Loop: Header=BB1355_988 Depth=2
	ds_read_b32 v151, v66 offset:11776
	s_waitcnt lgkmcnt(0)
	v_cmp_ne_u32_e64 s35, 0x80000000, v151
	v_cndmask_b32_e64 v3, 0x7fffffff, v151, s35
	v_cmp_gt_i32_e64 s35, 0, v151
	v_lshrrev_b32_e32 v3, s53, v3
	v_cndmask_b32_e64 v154, 0x7fffffff, 0, s35
	v_and_b32_e32 v3, s61, v3
	v_lshlrev_b32_e32 v3, 2, v3
	ds_read_b32 v3, v3
	s_waitcnt lgkmcnt(0)
	v_add_nc_u32_e32 v3, v3, v54
	v_lshlrev_b64 v[37:38], 2, v[3:4]
	v_xor_b32_e32 v3, v154, v151
	v_add_co_u32 v37, s35, s44, v37
	v_add_co_ci_u32_e64 v38, null, s45, v38, s35
	global_store_dword v[37:38], v3, off
	s_or_b32 exec_lo, exec_lo, s36
	v_cmp_lt_u32_e64 s35, v55, v150
	s_and_saveexec_b32 s37, s35
	s_cbranch_execz .LBB1355_1081
.LBB1355_1149:                          ;   in Loop: Header=BB1355_988 Depth=2
	ds_read_b32 v151, v66 offset:12800
	s_waitcnt lgkmcnt(0)
	v_cmp_ne_u32_e64 s36, 0x80000000, v151
	v_cndmask_b32_e64 v3, 0x7fffffff, v151, s36
	v_cmp_gt_i32_e64 s36, 0, v151
	v_lshrrev_b32_e32 v3, s53, v3
	v_cndmask_b32_e64 v154, 0x7fffffff, 0, s36
	v_and_b32_e32 v3, s61, v3
	v_lshlrev_b32_e32 v3, 2, v3
	ds_read_b32 v3, v3
	s_waitcnt lgkmcnt(0)
	v_add_nc_u32_e32 v3, v3, v55
	v_lshlrev_b64 v[37:38], 2, v[3:4]
	v_xor_b32_e32 v3, v154, v151
	v_add_co_u32 v37, s36, s44, v37
	v_add_co_ci_u32_e64 v38, null, s45, v38, s36
	global_store_dword v[37:38], v3, off
	s_or_b32 exec_lo, exec_lo, s37
	v_cmp_lt_u32_e64 s36, v56, v150
	s_and_saveexec_b32 s38, s36
	s_cbranch_execz .LBB1355_1082
.LBB1355_1150:                          ;   in Loop: Header=BB1355_988 Depth=2
	ds_read_b32 v151, v66 offset:13824
	s_waitcnt lgkmcnt(0)
	v_cmp_ne_u32_e64 s37, 0x80000000, v151
	v_cndmask_b32_e64 v3, 0x7fffffff, v151, s37
	v_cmp_gt_i32_e64 s37, 0, v151
	v_lshrrev_b32_e32 v3, s53, v3
	v_cndmask_b32_e64 v154, 0x7fffffff, 0, s37
	v_and_b32_e32 v3, s61, v3
	v_lshlrev_b32_e32 v3, 2, v3
	ds_read_b32 v3, v3
	s_waitcnt lgkmcnt(0)
	v_add_nc_u32_e32 v3, v3, v56
	v_lshlrev_b64 v[37:38], 2, v[3:4]
	v_xor_b32_e32 v3, v154, v151
	v_add_co_u32 v37, s37, s44, v37
	v_add_co_ci_u32_e64 v38, null, s45, v38, s37
	global_store_dword v[37:38], v3, off
	s_or_b32 exec_lo, exec_lo, s38
	v_cmp_lt_u32_e64 s37, v57, v150
	s_and_saveexec_b32 s39, s37
	s_cbranch_execz .LBB1355_1083
.LBB1355_1151:                          ;   in Loop: Header=BB1355_988 Depth=2
	ds_read_b32 v151, v66 offset:14848
	s_waitcnt lgkmcnt(0)
	v_cmp_ne_u32_e64 s38, 0x80000000, v151
	v_cndmask_b32_e64 v3, 0x7fffffff, v151, s38
	v_cmp_gt_i32_e64 s38, 0, v151
	v_lshrrev_b32_e32 v3, s53, v3
	v_cndmask_b32_e64 v154, 0x7fffffff, 0, s38
	v_and_b32_e32 v3, s61, v3
	v_lshlrev_b32_e32 v3, 2, v3
	ds_read_b32 v3, v3
	s_waitcnt lgkmcnt(0)
	v_add_nc_u32_e32 v3, v3, v57
	v_lshlrev_b64 v[37:38], 2, v[3:4]
	v_xor_b32_e32 v3, v154, v151
	v_add_co_u32 v37, s38, s44, v37
	v_add_co_ci_u32_e64 v38, null, s45, v38, s38
	global_store_dword v[37:38], v3, off
	s_or_b32 exec_lo, exec_lo, s39
	v_cmp_lt_u32_e64 s38, v58, v150
	s_and_saveexec_b32 s64, s38
	s_cbranch_execnz .LBB1355_1084
	s_branch .LBB1355_1085
.LBB1355_1152:                          ;   in Loop: Header=BB1355_988 Depth=2
	global_load_dwordx2 v[35:36], v[37:38], off
	s_or_b32 exec_lo, exec_lo, s39
	s_mov_b32 s46, exec_lo
	v_cmpx_lt_u32_e64 v108, v150
	s_cbranch_execz .LBB1355_1087
.LBB1355_1153:                          ;   in Loop: Header=BB1355_988 Depth=2
	global_load_dwordx2 v[33:34], v[37:38], off offset:256
	s_or_b32 exec_lo, exec_lo, s46
	s_mov_b32 s46, exec_lo
	v_cmpx_lt_u32_e64 v109, v150
	s_cbranch_execz .LBB1355_1088
.LBB1355_1154:                          ;   in Loop: Header=BB1355_988 Depth=2
	global_load_dwordx2 v[31:32], v[37:38], off offset:512
	s_or_b32 exec_lo, exec_lo, s46
	s_mov_b32 s46, exec_lo
	v_cmpx_lt_u32_e64 v110, v150
	s_cbranch_execz .LBB1355_1089
.LBB1355_1155:                          ;   in Loop: Header=BB1355_988 Depth=2
	global_load_dwordx2 v[29:30], v[37:38], off offset:768
	s_or_b32 exec_lo, exec_lo, s46
	s_mov_b32 s46, exec_lo
	v_cmpx_lt_u32_e64 v111, v150
	s_cbranch_execz .LBB1355_1090
.LBB1355_1156:                          ;   in Loop: Header=BB1355_988 Depth=2
	global_load_dwordx2 v[27:28], v[37:38], off offset:1024
	s_or_b32 exec_lo, exec_lo, s46
	s_mov_b32 s46, exec_lo
	v_cmpx_lt_u32_e64 v112, v150
	s_cbranch_execz .LBB1355_1091
.LBB1355_1157:                          ;   in Loop: Header=BB1355_988 Depth=2
	global_load_dwordx2 v[23:24], v[37:38], off offset:1280
	s_or_b32 exec_lo, exec_lo, s46
	s_mov_b32 s46, exec_lo
	v_cmpx_lt_u32_e64 v113, v150
	s_cbranch_execz .LBB1355_1092
.LBB1355_1158:                          ;   in Loop: Header=BB1355_988 Depth=2
	global_load_dwordx2 v[19:20], v[37:38], off offset:1536
	s_or_b32 exec_lo, exec_lo, s46
	s_mov_b32 s46, exec_lo
	v_cmpx_lt_u32_e64 v114, v150
	s_cbranch_execz .LBB1355_1093
.LBB1355_1159:                          ;   in Loop: Header=BB1355_988 Depth=2
	global_load_dwordx2 v[15:16], v[37:38], off offset:1792
	s_or_b32 exec_lo, exec_lo, s46
	s_mov_b32 s46, exec_lo
	v_cmpx_lt_u32_e64 v115, v150
	s_cbranch_execz .LBB1355_1094
.LBB1355_1160:                          ;   in Loop: Header=BB1355_988 Depth=2
	v_add_co_u32 v25, s39, 0x800, v37
	v_add_co_ci_u32_e64 v26, null, 0, v38, s39
	global_load_dwordx2 v[25:26], v[25:26], off
	s_or_b32 exec_lo, exec_lo, s46
	s_mov_b32 s46, exec_lo
	v_cmpx_lt_u32_e64 v116, v150
	s_cbranch_execz .LBB1355_1095
.LBB1355_1161:                          ;   in Loop: Header=BB1355_988 Depth=2
	v_add_co_u32 v21, s39, 0x800, v37
	v_add_co_ci_u32_e64 v22, null, 0, v38, s39
	global_load_dwordx2 v[21:22], v[21:22], off offset:256
	s_or_b32 exec_lo, exec_lo, s46
	s_mov_b32 s46, exec_lo
	v_cmpx_lt_u32_e64 v117, v150
	s_cbranch_execz .LBB1355_1096
.LBB1355_1162:                          ;   in Loop: Header=BB1355_988 Depth=2
	v_add_co_u32 v17, s39, 0x800, v37
	v_add_co_ci_u32_e64 v18, null, 0, v38, s39
	global_load_dwordx2 v[17:18], v[17:18], off offset:512
	s_or_b32 exec_lo, exec_lo, s46
	s_mov_b32 s46, exec_lo
	v_cmpx_lt_u32_e64 v118, v150
	s_cbranch_execz .LBB1355_1097
.LBB1355_1163:                          ;   in Loop: Header=BB1355_988 Depth=2
	v_add_co_u32 v13, s39, 0x800, v37
	v_add_co_ci_u32_e64 v14, null, 0, v38, s39
	global_load_dwordx2 v[13:14], v[13:14], off offset:768
	s_or_b32 exec_lo, exec_lo, s46
	s_mov_b32 s46, exec_lo
	v_cmpx_lt_u32_e64 v119, v150
	s_cbranch_execz .LBB1355_1098
.LBB1355_1164:                          ;   in Loop: Header=BB1355_988 Depth=2
	v_add_co_u32 v11, s39, 0x800, v37
	v_add_co_ci_u32_e64 v12, null, 0, v38, s39
	global_load_dwordx2 v[11:12], v[11:12], off offset:1024
	s_or_b32 exec_lo, exec_lo, s46
	s_mov_b32 s46, exec_lo
	v_cmpx_lt_u32_e64 v121, v150
	s_cbranch_execz .LBB1355_1099
.LBB1355_1165:                          ;   in Loop: Header=BB1355_988 Depth=2
	v_add_co_u32 v9, s39, 0x800, v37
	v_add_co_ci_u32_e64 v10, null, 0, v38, s39
	global_load_dwordx2 v[9:10], v[9:10], off offset:1280
	s_or_b32 exec_lo, exec_lo, s46
	s_mov_b32 s46, exec_lo
	v_cmpx_lt_u32_e64 v122, v150
	s_cbranch_execz .LBB1355_1100
.LBB1355_1166:                          ;   in Loop: Header=BB1355_988 Depth=2
	v_add_co_u32 v7, s39, 0x800, v37
	v_add_co_ci_u32_e64 v8, null, 0, v38, s39
	global_load_dwordx2 v[7:8], v[7:8], off offset:1536
	s_or_b32 exec_lo, exec_lo, s46
	s_mov_b32 s46, exec_lo
	v_cmpx_lt_u32_e64 v123, v150
	s_cbranch_execz .LBB1355_1101
.LBB1355_1167:                          ;   in Loop: Header=BB1355_988 Depth=2
	v_add_co_u32 v5, s39, 0x800, v37
	v_add_co_ci_u32_e64 v6, null, 0, v38, s39
	global_load_dwordx2 v[5:6], v[5:6], off offset:1792
	s_or_b32 exec_lo, exec_lo, s46
	s_and_saveexec_b32 s46, vcc_lo
	s_cbranch_execz .LBB1355_1102
.LBB1355_1168:                          ;   in Loop: Header=BB1355_988 Depth=2
	ds_read_b32 v3, v66 offset:512
	s_waitcnt lgkmcnt(0)
	v_cmp_ne_u32_e64 s39, 0x80000000, v3
	v_cndmask_b32_e64 v3, 0x7fffffff, v3, s39
	v_lshrrev_b32_e32 v3, s53, v3
	v_and_b32_e32 v148, s61, v3
	s_or_b32 exec_lo, exec_lo, s46
	s_and_saveexec_b32 s46, s23
	s_cbranch_execz .LBB1355_1103
.LBB1355_1169:                          ;   in Loop: Header=BB1355_988 Depth=2
	ds_read_b32 v3, v66 offset:1536
	s_waitcnt lgkmcnt(0)
	v_cmp_ne_u32_e64 s39, 0x80000000, v3
	v_cndmask_b32_e64 v3, 0x7fffffff, v3, s39
	v_lshrrev_b32_e32 v3, s53, v3
	v_and_b32_e32 v147, s61, v3
	s_or_b32 exec_lo, exec_lo, s46
	s_and_saveexec_b32 s46, s24
	s_cbranch_execz .LBB1355_1104
.LBB1355_1170:                          ;   in Loop: Header=BB1355_988 Depth=2
	ds_read_b32 v3, v66 offset:2560
	s_waitcnt lgkmcnt(0)
	v_cmp_ne_u32_e64 s39, 0x80000000, v3
	v_cndmask_b32_e64 v3, 0x7fffffff, v3, s39
	v_lshrrev_b32_e32 v3, s53, v3
	v_and_b32_e32 v146, s61, v3
	s_or_b32 exec_lo, exec_lo, s46
	s_and_saveexec_b32 s46, s25
	s_cbranch_execz .LBB1355_1105
.LBB1355_1171:                          ;   in Loop: Header=BB1355_988 Depth=2
	ds_read_b32 v3, v66 offset:3584
	s_waitcnt lgkmcnt(0)
	v_cmp_ne_u32_e64 s39, 0x80000000, v3
	v_cndmask_b32_e64 v3, 0x7fffffff, v3, s39
	v_lshrrev_b32_e32 v3, s53, v3
	v_and_b32_e32 v145, s61, v3
	s_or_b32 exec_lo, exec_lo, s46
	s_and_saveexec_b32 s46, s26
	s_cbranch_execz .LBB1355_1106
.LBB1355_1172:                          ;   in Loop: Header=BB1355_988 Depth=2
	ds_read_b32 v3, v66 offset:4608
	s_waitcnt lgkmcnt(0)
	v_cmp_ne_u32_e64 s39, 0x80000000, v3
	v_cndmask_b32_e64 v3, 0x7fffffff, v3, s39
	v_lshrrev_b32_e32 v3, s53, v3
	v_and_b32_e32 v143, s61, v3
	s_or_b32 exec_lo, exec_lo, s46
	s_and_saveexec_b32 s46, s27
	s_cbranch_execz .LBB1355_1107
.LBB1355_1173:                          ;   in Loop: Header=BB1355_988 Depth=2
	ds_read_b32 v3, v66 offset:5632
	s_waitcnt lgkmcnt(0)
	v_cmp_ne_u32_e64 s39, 0x80000000, v3
	v_cndmask_b32_e64 v3, 0x7fffffff, v3, s39
	v_lshrrev_b32_e32 v3, s53, v3
	v_and_b32_e32 v142, s61, v3
	s_or_b32 exec_lo, exec_lo, s46
	s_and_saveexec_b32 s46, s28
	s_cbranch_execz .LBB1355_1108
.LBB1355_1174:                          ;   in Loop: Header=BB1355_988 Depth=2
	ds_read_b32 v3, v66 offset:6656
	s_waitcnt lgkmcnt(0)
	v_cmp_ne_u32_e64 s39, 0x80000000, v3
	v_cndmask_b32_e64 v3, 0x7fffffff, v3, s39
	v_lshrrev_b32_e32 v3, s53, v3
	v_and_b32_e32 v141, s61, v3
	s_or_b32 exec_lo, exec_lo, s46
	s_and_saveexec_b32 s46, s29
	s_cbranch_execz .LBB1355_1109
.LBB1355_1175:                          ;   in Loop: Header=BB1355_988 Depth=2
	ds_read_b32 v3, v66 offset:7680
	s_waitcnt lgkmcnt(0)
	v_cmp_ne_u32_e64 s39, 0x80000000, v3
	v_cndmask_b32_e64 v3, 0x7fffffff, v3, s39
	v_lshrrev_b32_e32 v3, s53, v3
	v_and_b32_e32 v140, s61, v3
	s_or_b32 exec_lo, exec_lo, s46
	s_and_saveexec_b32 s46, s30
	s_cbranch_execz .LBB1355_1110
.LBB1355_1176:                          ;   in Loop: Header=BB1355_988 Depth=2
	ds_read_b32 v3, v66 offset:8704
	s_waitcnt lgkmcnt(0)
	v_cmp_ne_u32_e64 s39, 0x80000000, v3
	v_cndmask_b32_e64 v3, 0x7fffffff, v3, s39
	v_lshrrev_b32_e32 v3, s53, v3
	v_and_b32_e32 v139, s61, v3
	s_or_b32 exec_lo, exec_lo, s46
	s_and_saveexec_b32 s46, s31
	s_cbranch_execz .LBB1355_1111
.LBB1355_1177:                          ;   in Loop: Header=BB1355_988 Depth=2
	ds_read_b32 v3, v66 offset:9728
	s_waitcnt lgkmcnt(0)
	v_cmp_ne_u32_e64 s39, 0x80000000, v3
	v_cndmask_b32_e64 v3, 0x7fffffff, v3, s39
	v_lshrrev_b32_e32 v3, s53, v3
	v_and_b32_e32 v138, s61, v3
	s_or_b32 exec_lo, exec_lo, s46
	s_and_saveexec_b32 s46, s33
	s_cbranch_execz .LBB1355_1112
.LBB1355_1178:                          ;   in Loop: Header=BB1355_988 Depth=2
	ds_read_b32 v3, v66 offset:10752
	s_waitcnt lgkmcnt(0)
	v_cmp_ne_u32_e64 s39, 0x80000000, v3
	v_cndmask_b32_e64 v3, 0x7fffffff, v3, s39
	v_lshrrev_b32_e32 v3, s53, v3
	v_and_b32_e32 v137, s61, v3
	s_or_b32 exec_lo, exec_lo, s46
	s_and_saveexec_b32 s46, s34
	s_cbranch_execz .LBB1355_1113
.LBB1355_1179:                          ;   in Loop: Header=BB1355_988 Depth=2
	ds_read_b32 v3, v66 offset:11776
	s_waitcnt lgkmcnt(0)
	v_cmp_ne_u32_e64 s39, 0x80000000, v3
	v_cndmask_b32_e64 v3, 0x7fffffff, v3, s39
	v_lshrrev_b32_e32 v3, s53, v3
	v_and_b32_e32 v136, s61, v3
	s_or_b32 exec_lo, exec_lo, s46
	s_and_saveexec_b32 s46, s35
	s_cbranch_execz .LBB1355_1114
.LBB1355_1180:                          ;   in Loop: Header=BB1355_988 Depth=2
	ds_read_b32 v3, v66 offset:12800
	s_waitcnt lgkmcnt(0)
	v_cmp_ne_u32_e64 s39, 0x80000000, v3
	v_cndmask_b32_e64 v3, 0x7fffffff, v3, s39
	v_lshrrev_b32_e32 v3, s53, v3
	v_and_b32_e32 v135, s61, v3
	s_or_b32 exec_lo, exec_lo, s46
	s_and_saveexec_b32 s46, s36
	s_cbranch_execz .LBB1355_1115
.LBB1355_1181:                          ;   in Loop: Header=BB1355_988 Depth=2
	ds_read_b32 v3, v66 offset:13824
	s_waitcnt lgkmcnt(0)
	v_cmp_ne_u32_e64 s39, 0x80000000, v3
	v_cndmask_b32_e64 v3, 0x7fffffff, v3, s39
	v_lshrrev_b32_e32 v3, s53, v3
	v_and_b32_e32 v134, s61, v3
	s_or_b32 exec_lo, exec_lo, s46
	s_and_saveexec_b32 s46, s37
	s_cbranch_execz .LBB1355_1116
.LBB1355_1182:                          ;   in Loop: Header=BB1355_988 Depth=2
	ds_read_b32 v3, v66 offset:14848
	s_waitcnt lgkmcnt(0)
	v_cmp_ne_u32_e64 s39, 0x80000000, v3
	v_cndmask_b32_e64 v3, 0x7fffffff, v3, s39
	v_lshrrev_b32_e32 v3, s53, v3
	v_and_b32_e32 v133, s61, v3
	s_or_b32 exec_lo, exec_lo, s46
	s_and_saveexec_b32 s46, s38
	s_cbranch_execnz .LBB1355_1117
	s_branch .LBB1355_1118
.LBB1355_1183:                          ;   in Loop: Header=BB1355_988 Depth=2
	v_lshlrev_b32_e32 v3, 2, v148
	ds_read_b32 v3, v3
	ds_read_b64 v[38:39], v37 offset:512
	s_waitcnt lgkmcnt(1)
	v_add_nc_u32_e32 v3, v3, v0
	v_lshlrev_b64 v[150:151], 3, v[3:4]
	v_add_co_u32 v150, vcc_lo, s50, v150
	v_add_co_ci_u32_e64 v151, null, s51, v151, vcc_lo
	s_waitcnt lgkmcnt(0)
	global_store_dwordx2 v[150:151], v[38:39], off
	s_or_b32 exec_lo, exec_lo, s39
	s_and_saveexec_b32 s39, s23
	s_cbranch_execz .LBB1355_1120
.LBB1355_1184:                          ;   in Loop: Header=BB1355_988 Depth=2
	v_lshlrev_b32_e32 v3, 2, v147
	ds_read_b32 v3, v3
	ds_read_b64 v[38:39], v37 offset:2560
	s_waitcnt lgkmcnt(1)
	v_add_nc_u32_e32 v3, v3, v42
	v_lshlrev_b64 v[150:151], 3, v[3:4]
	v_add_co_u32 v150, vcc_lo, s50, v150
	v_add_co_ci_u32_e64 v151, null, s51, v151, vcc_lo
	s_waitcnt lgkmcnt(0)
	global_store_dwordx2 v[150:151], v[38:39], off
	s_or_b32 exec_lo, exec_lo, s39
	s_and_saveexec_b32 s23, s24
	s_cbranch_execz .LBB1355_1121
.LBB1355_1185:                          ;   in Loop: Header=BB1355_988 Depth=2
	v_lshlrev_b32_e32 v3, 2, v146
	ds_read_b32 v3, v3
	ds_read_b64 v[38:39], v37 offset:4608
	s_waitcnt lgkmcnt(1)
	v_add_nc_u32_e32 v3, v3, v45
	v_lshlrev_b64 v[150:151], 3, v[3:4]
	v_add_co_u32 v150, vcc_lo, s50, v150
	v_add_co_ci_u32_e64 v151, null, s51, v151, vcc_lo
	s_waitcnt lgkmcnt(0)
	global_store_dwordx2 v[150:151], v[38:39], off
	s_or_b32 exec_lo, exec_lo, s23
	s_and_saveexec_b32 s23, s25
	s_cbranch_execz .LBB1355_1122
.LBB1355_1186:                          ;   in Loop: Header=BB1355_988 Depth=2
	v_lshlrev_b32_e32 v3, 2, v145
	ds_read_b32 v3, v3
	ds_read_b64 v[38:39], v37 offset:6656
	s_waitcnt lgkmcnt(1)
	v_add_nc_u32_e32 v3, v3, v46
	v_lshlrev_b64 v[150:151], 3, v[3:4]
	v_add_co_u32 v150, vcc_lo, s50, v150
	v_add_co_ci_u32_e64 v151, null, s51, v151, vcc_lo
	s_waitcnt lgkmcnt(0)
	global_store_dwordx2 v[150:151], v[38:39], off
	s_or_b32 exec_lo, exec_lo, s23
	s_and_saveexec_b32 s23, s26
	s_cbranch_execz .LBB1355_1123
.LBB1355_1187:                          ;   in Loop: Header=BB1355_988 Depth=2
	v_lshlrev_b32_e32 v3, 2, v143
	ds_read_b32 v3, v3
	ds_read_b64 v[38:39], v37 offset:8704
	s_waitcnt lgkmcnt(1)
	v_add_nc_u32_e32 v3, v3, v47
	v_lshlrev_b64 v[150:151], 3, v[3:4]
	v_add_co_u32 v150, vcc_lo, s50, v150
	v_add_co_ci_u32_e64 v151, null, s51, v151, vcc_lo
	s_waitcnt lgkmcnt(0)
	global_store_dwordx2 v[150:151], v[38:39], off
	s_or_b32 exec_lo, exec_lo, s23
	s_and_saveexec_b32 s23, s27
	s_cbranch_execz .LBB1355_1124
.LBB1355_1188:                          ;   in Loop: Header=BB1355_988 Depth=2
	v_lshlrev_b32_e32 v3, 2, v142
	ds_read_b32 v3, v3
	ds_read_b64 v[38:39], v37 offset:10752
	s_waitcnt lgkmcnt(1)
	v_add_nc_u32_e32 v3, v3, v48
	v_lshlrev_b64 v[150:151], 3, v[3:4]
	v_add_co_u32 v150, vcc_lo, s50, v150
	v_add_co_ci_u32_e64 v151, null, s51, v151, vcc_lo
	s_waitcnt lgkmcnt(0)
	global_store_dwordx2 v[150:151], v[38:39], off
	s_or_b32 exec_lo, exec_lo, s23
	s_and_saveexec_b32 s23, s28
	s_cbranch_execz .LBB1355_1125
.LBB1355_1189:                          ;   in Loop: Header=BB1355_988 Depth=2
	v_lshlrev_b32_e32 v3, 2, v141
	ds_read_b32 v3, v3
	ds_read_b64 v[38:39], v37 offset:12800
	s_waitcnt lgkmcnt(1)
	v_add_nc_u32_e32 v3, v3, v49
	v_lshlrev_b64 v[150:151], 3, v[3:4]
	v_add_co_u32 v150, vcc_lo, s50, v150
	v_add_co_ci_u32_e64 v151, null, s51, v151, vcc_lo
	s_waitcnt lgkmcnt(0)
	global_store_dwordx2 v[150:151], v[38:39], off
	s_or_b32 exec_lo, exec_lo, s23
	s_and_saveexec_b32 s23, s29
	s_cbranch_execz .LBB1355_1126
.LBB1355_1190:                          ;   in Loop: Header=BB1355_988 Depth=2
	v_lshlrev_b32_e32 v3, 2, v140
	ds_read_b32 v3, v3
	ds_read_b64 v[38:39], v37 offset:14848
	s_waitcnt lgkmcnt(1)
	v_add_nc_u32_e32 v3, v3, v50
	v_lshlrev_b64 v[150:151], 3, v[3:4]
	v_add_co_u32 v150, vcc_lo, s50, v150
	v_add_co_ci_u32_e64 v151, null, s51, v151, vcc_lo
	s_waitcnt lgkmcnt(0)
	global_store_dwordx2 v[150:151], v[38:39], off
	s_or_b32 exec_lo, exec_lo, s23
	s_and_saveexec_b32 s23, s30
	s_cbranch_execz .LBB1355_1127
.LBB1355_1191:                          ;   in Loop: Header=BB1355_988 Depth=2
	v_lshlrev_b32_e32 v3, 2, v139
	ds_read_b32 v3, v3
	ds_read_b64 v[38:39], v37 offset:16896
	s_waitcnt lgkmcnt(1)
	v_add_nc_u32_e32 v3, v3, v51
	v_lshlrev_b64 v[150:151], 3, v[3:4]
	v_add_co_u32 v150, vcc_lo, s50, v150
	v_add_co_ci_u32_e64 v151, null, s51, v151, vcc_lo
	s_waitcnt lgkmcnt(0)
	global_store_dwordx2 v[150:151], v[38:39], off
	s_or_b32 exec_lo, exec_lo, s23
	s_and_saveexec_b32 s23, s31
	s_cbranch_execz .LBB1355_1128
.LBB1355_1192:                          ;   in Loop: Header=BB1355_988 Depth=2
	v_lshlrev_b32_e32 v3, 2, v138
	ds_read_b32 v3, v3
	ds_read_b64 v[38:39], v37 offset:18944
	s_waitcnt lgkmcnt(1)
	v_add_nc_u32_e32 v3, v3, v52
	v_lshlrev_b64 v[150:151], 3, v[3:4]
	v_add_co_u32 v150, vcc_lo, s50, v150
	v_add_co_ci_u32_e64 v151, null, s51, v151, vcc_lo
	s_waitcnt lgkmcnt(0)
	global_store_dwordx2 v[150:151], v[38:39], off
	s_or_b32 exec_lo, exec_lo, s23
	s_and_saveexec_b32 s23, s33
	s_cbranch_execz .LBB1355_1129
.LBB1355_1193:                          ;   in Loop: Header=BB1355_988 Depth=2
	v_lshlrev_b32_e32 v3, 2, v137
	ds_read_b32 v3, v3
	ds_read_b64 v[38:39], v37 offset:20992
	s_waitcnt lgkmcnt(1)
	v_add_nc_u32_e32 v3, v3, v53
	v_lshlrev_b64 v[150:151], 3, v[3:4]
	v_add_co_u32 v150, vcc_lo, s50, v150
	v_add_co_ci_u32_e64 v151, null, s51, v151, vcc_lo
	s_waitcnt lgkmcnt(0)
	global_store_dwordx2 v[150:151], v[38:39], off
	s_or_b32 exec_lo, exec_lo, s23
	s_and_saveexec_b32 s23, s34
	s_cbranch_execz .LBB1355_1130
.LBB1355_1194:                          ;   in Loop: Header=BB1355_988 Depth=2
	v_lshlrev_b32_e32 v3, 2, v136
	ds_read_b32 v3, v3
	ds_read_b64 v[38:39], v37 offset:23040
	s_waitcnt lgkmcnt(1)
	v_add_nc_u32_e32 v3, v3, v54
	v_lshlrev_b64 v[150:151], 3, v[3:4]
	v_add_co_u32 v150, vcc_lo, s50, v150
	v_add_co_ci_u32_e64 v151, null, s51, v151, vcc_lo
	s_waitcnt lgkmcnt(0)
	global_store_dwordx2 v[150:151], v[38:39], off
	s_or_b32 exec_lo, exec_lo, s23
	s_and_saveexec_b32 s23, s35
	s_cbranch_execz .LBB1355_1131
.LBB1355_1195:                          ;   in Loop: Header=BB1355_988 Depth=2
	v_lshlrev_b32_e32 v3, 2, v135
	ds_read_b32 v3, v3
	ds_read_b64 v[38:39], v37 offset:25088
	s_waitcnt lgkmcnt(1)
	v_add_nc_u32_e32 v3, v3, v55
	v_lshlrev_b64 v[150:151], 3, v[3:4]
	v_add_co_u32 v150, vcc_lo, s50, v150
	v_add_co_ci_u32_e64 v151, null, s51, v151, vcc_lo
	s_waitcnt lgkmcnt(0)
	global_store_dwordx2 v[150:151], v[38:39], off
	s_or_b32 exec_lo, exec_lo, s23
	s_and_saveexec_b32 s23, s36
	s_cbranch_execz .LBB1355_1132
.LBB1355_1196:                          ;   in Loop: Header=BB1355_988 Depth=2
	v_lshlrev_b32_e32 v3, 2, v134
	ds_read_b32 v3, v3
	ds_read_b64 v[38:39], v37 offset:27136
	s_waitcnt lgkmcnt(1)
	v_add_nc_u32_e32 v3, v3, v56
	v_lshlrev_b64 v[150:151], 3, v[3:4]
	v_add_co_u32 v150, vcc_lo, s50, v150
	v_add_co_ci_u32_e64 v151, null, s51, v151, vcc_lo
	s_waitcnt lgkmcnt(0)
	global_store_dwordx2 v[150:151], v[38:39], off
	s_or_b32 exec_lo, exec_lo, s23
	s_and_saveexec_b32 s23, s37
	s_cbranch_execz .LBB1355_1133
.LBB1355_1197:                          ;   in Loop: Header=BB1355_988 Depth=2
	v_lshlrev_b32_e32 v3, 2, v133
	ds_read_b32 v3, v3
	ds_read_b64 v[38:39], v37 offset:29184
	s_waitcnt lgkmcnt(1)
	v_add_nc_u32_e32 v3, v3, v57
	v_lshlrev_b64 v[150:151], 3, v[3:4]
	v_add_co_u32 v150, vcc_lo, s50, v150
	v_add_co_ci_u32_e64 v151, null, s51, v151, vcc_lo
	s_waitcnt lgkmcnt(0)
	global_store_dwordx2 v[150:151], v[38:39], off
	s_or_b32 exec_lo, exec_lo, s23
	s_and_saveexec_b32 s23, s38
	s_cbranch_execnz .LBB1355_1134
	s_branch .LBB1355_1135
.LBB1355_1198:
	s_endpgm
	.section	.rodata,"a",@progbits
	.p2align	6, 0x0
	.amdhsa_kernel _ZN7rocprim17ROCPRIM_400000_NS6detail17trampoline_kernelINS0_14default_configENS1_36segmented_radix_sort_config_selectorIflEEZNS1_25segmented_radix_sort_implIS3_Lb1EPKfPfPKlPlN2at6native12_GLOBAL__N_18offset_tEEE10hipError_tPvRmT1_PNSt15iterator_traitsISK_E10value_typeET2_T3_PNSL_ISQ_E10value_typeET4_jRbjT5_SW_jjP12ihipStream_tbEUlT_E2_NS1_11comp_targetILNS1_3genE8ELNS1_11target_archE1030ELNS1_3gpuE2ELNS1_3repE0EEENS1_30default_config_static_selectorELNS0_4arch9wavefront6targetE0EEEvSK_
		.amdhsa_group_segment_fixed_size 33296
		.amdhsa_private_segment_fixed_size 68
		.amdhsa_kernarg_size 336
		.amdhsa_user_sgpr_count 6
		.amdhsa_user_sgpr_private_segment_buffer 1
		.amdhsa_user_sgpr_dispatch_ptr 0
		.amdhsa_user_sgpr_queue_ptr 0
		.amdhsa_user_sgpr_kernarg_segment_ptr 1
		.amdhsa_user_sgpr_dispatch_id 0
		.amdhsa_user_sgpr_flat_scratch_init 0
		.amdhsa_user_sgpr_private_segment_size 0
		.amdhsa_wavefront_size32 1
		.amdhsa_uses_dynamic_stack 0
		.amdhsa_system_sgpr_private_segment_wavefront_offset 1
		.amdhsa_system_sgpr_workgroup_id_x 1
		.amdhsa_system_sgpr_workgroup_id_y 1
		.amdhsa_system_sgpr_workgroup_id_z 0
		.amdhsa_system_sgpr_workgroup_info 0
		.amdhsa_system_vgpr_workitem_id 2
		.amdhsa_next_free_vgpr 248
		.amdhsa_next_free_sgpr 66
		.amdhsa_reserve_vcc 1
		.amdhsa_reserve_flat_scratch 0
		.amdhsa_float_round_mode_32 0
		.amdhsa_float_round_mode_16_64 0
		.amdhsa_float_denorm_mode_32 3
		.amdhsa_float_denorm_mode_16_64 3
		.amdhsa_dx10_clamp 1
		.amdhsa_ieee_mode 1
		.amdhsa_fp16_overflow 0
		.amdhsa_workgroup_processor_mode 1
		.amdhsa_memory_ordered 1
		.amdhsa_forward_progress 1
		.amdhsa_shared_vgpr_count 0
		.amdhsa_exception_fp_ieee_invalid_op 0
		.amdhsa_exception_fp_denorm_src 0
		.amdhsa_exception_fp_ieee_div_zero 0
		.amdhsa_exception_fp_ieee_overflow 0
		.amdhsa_exception_fp_ieee_underflow 0
		.amdhsa_exception_fp_ieee_inexact 0
		.amdhsa_exception_int_div_zero 0
	.end_amdhsa_kernel
	.section	.text._ZN7rocprim17ROCPRIM_400000_NS6detail17trampoline_kernelINS0_14default_configENS1_36segmented_radix_sort_config_selectorIflEEZNS1_25segmented_radix_sort_implIS3_Lb1EPKfPfPKlPlN2at6native12_GLOBAL__N_18offset_tEEE10hipError_tPvRmT1_PNSt15iterator_traitsISK_E10value_typeET2_T3_PNSL_ISQ_E10value_typeET4_jRbjT5_SW_jjP12ihipStream_tbEUlT_E2_NS1_11comp_targetILNS1_3genE8ELNS1_11target_archE1030ELNS1_3gpuE2ELNS1_3repE0EEENS1_30default_config_static_selectorELNS0_4arch9wavefront6targetE0EEEvSK_,"axG",@progbits,_ZN7rocprim17ROCPRIM_400000_NS6detail17trampoline_kernelINS0_14default_configENS1_36segmented_radix_sort_config_selectorIflEEZNS1_25segmented_radix_sort_implIS3_Lb1EPKfPfPKlPlN2at6native12_GLOBAL__N_18offset_tEEE10hipError_tPvRmT1_PNSt15iterator_traitsISK_E10value_typeET2_T3_PNSL_ISQ_E10value_typeET4_jRbjT5_SW_jjP12ihipStream_tbEUlT_E2_NS1_11comp_targetILNS1_3genE8ELNS1_11target_archE1030ELNS1_3gpuE2ELNS1_3repE0EEENS1_30default_config_static_selectorELNS0_4arch9wavefront6targetE0EEEvSK_,comdat
.Lfunc_end1355:
	.size	_ZN7rocprim17ROCPRIM_400000_NS6detail17trampoline_kernelINS0_14default_configENS1_36segmented_radix_sort_config_selectorIflEEZNS1_25segmented_radix_sort_implIS3_Lb1EPKfPfPKlPlN2at6native12_GLOBAL__N_18offset_tEEE10hipError_tPvRmT1_PNSt15iterator_traitsISK_E10value_typeET2_T3_PNSL_ISQ_E10value_typeET4_jRbjT5_SW_jjP12ihipStream_tbEUlT_E2_NS1_11comp_targetILNS1_3genE8ELNS1_11target_archE1030ELNS1_3gpuE2ELNS1_3repE0EEENS1_30default_config_static_selectorELNS0_4arch9wavefront6targetE0EEEvSK_, .Lfunc_end1355-_ZN7rocprim17ROCPRIM_400000_NS6detail17trampoline_kernelINS0_14default_configENS1_36segmented_radix_sort_config_selectorIflEEZNS1_25segmented_radix_sort_implIS3_Lb1EPKfPfPKlPlN2at6native12_GLOBAL__N_18offset_tEEE10hipError_tPvRmT1_PNSt15iterator_traitsISK_E10value_typeET2_T3_PNSL_ISQ_E10value_typeET4_jRbjT5_SW_jjP12ihipStream_tbEUlT_E2_NS1_11comp_targetILNS1_3genE8ELNS1_11target_archE1030ELNS1_3gpuE2ELNS1_3repE0EEENS1_30default_config_static_selectorELNS0_4arch9wavefront6targetE0EEEvSK_
                                        ; -- End function
	.set _ZN7rocprim17ROCPRIM_400000_NS6detail17trampoline_kernelINS0_14default_configENS1_36segmented_radix_sort_config_selectorIflEEZNS1_25segmented_radix_sort_implIS3_Lb1EPKfPfPKlPlN2at6native12_GLOBAL__N_18offset_tEEE10hipError_tPvRmT1_PNSt15iterator_traitsISK_E10value_typeET2_T3_PNSL_ISQ_E10value_typeET4_jRbjT5_SW_jjP12ihipStream_tbEUlT_E2_NS1_11comp_targetILNS1_3genE8ELNS1_11target_archE1030ELNS1_3gpuE2ELNS1_3repE0EEENS1_30default_config_static_selectorELNS0_4arch9wavefront6targetE0EEEvSK_.num_vgpr, max(216, .L_ZN7rocprim17ROCPRIM_400000_NS6detail26segmented_warp_sort_helperINS1_20WarpSortHelperConfigILj8ELj8ELj256EEEflLi256ELb1EvE4sortIPKfPfPKlPlEEvT_T0_T1_T2_jjjjRNS5_12storage_typeE.num_vgpr, .L_ZN7rocprim17ROCPRIM_400000_NS6detail40segmented_radix_sort_single_block_helperIflLj256ELj16ELb1EE4sortIPKfPfPKlPlEEbT_T0_T1_T2_jjjjRNS3_12storage_typeE.num_vgpr)
	.set _ZN7rocprim17ROCPRIM_400000_NS6detail17trampoline_kernelINS0_14default_configENS1_36segmented_radix_sort_config_selectorIflEEZNS1_25segmented_radix_sort_implIS3_Lb1EPKfPfPKlPlN2at6native12_GLOBAL__N_18offset_tEEE10hipError_tPvRmT1_PNSt15iterator_traitsISK_E10value_typeET2_T3_PNSL_ISQ_E10value_typeET4_jRbjT5_SW_jjP12ihipStream_tbEUlT_E2_NS1_11comp_targetILNS1_3genE8ELNS1_11target_archE1030ELNS1_3gpuE2ELNS1_3repE0EEENS1_30default_config_static_selectorELNS0_4arch9wavefront6targetE0EEEvSK_.num_agpr, max(0, .L_ZN7rocprim17ROCPRIM_400000_NS6detail26segmented_warp_sort_helperINS1_20WarpSortHelperConfigILj8ELj8ELj256EEEflLi256ELb1EvE4sortIPKfPfPKlPlEEvT_T0_T1_T2_jjjjRNS5_12storage_typeE.num_agpr, .L_ZN7rocprim17ROCPRIM_400000_NS6detail40segmented_radix_sort_single_block_helperIflLj256ELj16ELb1EE4sortIPKfPfPKlPlEEbT_T0_T1_T2_jjjjRNS3_12storage_typeE.num_agpr)
	.set _ZN7rocprim17ROCPRIM_400000_NS6detail17trampoline_kernelINS0_14default_configENS1_36segmented_radix_sort_config_selectorIflEEZNS1_25segmented_radix_sort_implIS3_Lb1EPKfPfPKlPlN2at6native12_GLOBAL__N_18offset_tEEE10hipError_tPvRmT1_PNSt15iterator_traitsISK_E10value_typeET2_T3_PNSL_ISQ_E10value_typeET4_jRbjT5_SW_jjP12ihipStream_tbEUlT_E2_NS1_11comp_targetILNS1_3genE8ELNS1_11target_archE1030ELNS1_3gpuE2ELNS1_3repE0EEENS1_30default_config_static_selectorELNS0_4arch9wavefront6targetE0EEEvSK_.numbered_sgpr, max(66, .L_ZN7rocprim17ROCPRIM_400000_NS6detail26segmented_warp_sort_helperINS1_20WarpSortHelperConfigILj8ELj8ELj256EEEflLi256ELb1EvE4sortIPKfPfPKlPlEEvT_T0_T1_T2_jjjjRNS5_12storage_typeE.numbered_sgpr, .L_ZN7rocprim17ROCPRIM_400000_NS6detail40segmented_radix_sort_single_block_helperIflLj256ELj16ELb1EE4sortIPKfPfPKlPlEEbT_T0_T1_T2_jjjjRNS3_12storage_typeE.numbered_sgpr)
	.set _ZN7rocprim17ROCPRIM_400000_NS6detail17trampoline_kernelINS0_14default_configENS1_36segmented_radix_sort_config_selectorIflEEZNS1_25segmented_radix_sort_implIS3_Lb1EPKfPfPKlPlN2at6native12_GLOBAL__N_18offset_tEEE10hipError_tPvRmT1_PNSt15iterator_traitsISK_E10value_typeET2_T3_PNSL_ISQ_E10value_typeET4_jRbjT5_SW_jjP12ihipStream_tbEUlT_E2_NS1_11comp_targetILNS1_3genE8ELNS1_11target_archE1030ELNS1_3gpuE2ELNS1_3repE0EEENS1_30default_config_static_selectorELNS0_4arch9wavefront6targetE0EEEvSK_.num_named_barrier, max(0, .L_ZN7rocprim17ROCPRIM_400000_NS6detail26segmented_warp_sort_helperINS1_20WarpSortHelperConfigILj8ELj8ELj256EEEflLi256ELb1EvE4sortIPKfPfPKlPlEEvT_T0_T1_T2_jjjjRNS5_12storage_typeE.num_named_barrier, .L_ZN7rocprim17ROCPRIM_400000_NS6detail40segmented_radix_sort_single_block_helperIflLj256ELj16ELb1EE4sortIPKfPfPKlPlEEbT_T0_T1_T2_jjjjRNS3_12storage_typeE.num_named_barrier)
	.set _ZN7rocprim17ROCPRIM_400000_NS6detail17trampoline_kernelINS0_14default_configENS1_36segmented_radix_sort_config_selectorIflEEZNS1_25segmented_radix_sort_implIS3_Lb1EPKfPfPKlPlN2at6native12_GLOBAL__N_18offset_tEEE10hipError_tPvRmT1_PNSt15iterator_traitsISK_E10value_typeET2_T3_PNSL_ISQ_E10value_typeET4_jRbjT5_SW_jjP12ihipStream_tbEUlT_E2_NS1_11comp_targetILNS1_3genE8ELNS1_11target_archE1030ELNS1_3gpuE2ELNS1_3repE0EEENS1_30default_config_static_selectorELNS0_4arch9wavefront6targetE0EEEvSK_.private_seg_size, 0+max(.L_ZN7rocprim17ROCPRIM_400000_NS6detail26segmented_warp_sort_helperINS1_20WarpSortHelperConfigILj8ELj8ELj256EEEflLi256ELb1EvE4sortIPKfPfPKlPlEEvT_T0_T1_T2_jjjjRNS5_12storage_typeE.private_seg_size, .L_ZN7rocprim17ROCPRIM_400000_NS6detail40segmented_radix_sort_single_block_helperIflLj256ELj16ELb1EE4sortIPKfPfPKlPlEEbT_T0_T1_T2_jjjjRNS3_12storage_typeE.private_seg_size)
	.set _ZN7rocprim17ROCPRIM_400000_NS6detail17trampoline_kernelINS0_14default_configENS1_36segmented_radix_sort_config_selectorIflEEZNS1_25segmented_radix_sort_implIS3_Lb1EPKfPfPKlPlN2at6native12_GLOBAL__N_18offset_tEEE10hipError_tPvRmT1_PNSt15iterator_traitsISK_E10value_typeET2_T3_PNSL_ISQ_E10value_typeET4_jRbjT5_SW_jjP12ihipStream_tbEUlT_E2_NS1_11comp_targetILNS1_3genE8ELNS1_11target_archE1030ELNS1_3gpuE2ELNS1_3repE0EEENS1_30default_config_static_selectorELNS0_4arch9wavefront6targetE0EEEvSK_.uses_vcc, or(1, .L_ZN7rocprim17ROCPRIM_400000_NS6detail26segmented_warp_sort_helperINS1_20WarpSortHelperConfigILj8ELj8ELj256EEEflLi256ELb1EvE4sortIPKfPfPKlPlEEvT_T0_T1_T2_jjjjRNS5_12storage_typeE.uses_vcc, .L_ZN7rocprim17ROCPRIM_400000_NS6detail40segmented_radix_sort_single_block_helperIflLj256ELj16ELb1EE4sortIPKfPfPKlPlEEbT_T0_T1_T2_jjjjRNS3_12storage_typeE.uses_vcc)
	.set _ZN7rocprim17ROCPRIM_400000_NS6detail17trampoline_kernelINS0_14default_configENS1_36segmented_radix_sort_config_selectorIflEEZNS1_25segmented_radix_sort_implIS3_Lb1EPKfPfPKlPlN2at6native12_GLOBAL__N_18offset_tEEE10hipError_tPvRmT1_PNSt15iterator_traitsISK_E10value_typeET2_T3_PNSL_ISQ_E10value_typeET4_jRbjT5_SW_jjP12ihipStream_tbEUlT_E2_NS1_11comp_targetILNS1_3genE8ELNS1_11target_archE1030ELNS1_3gpuE2ELNS1_3repE0EEENS1_30default_config_static_selectorELNS0_4arch9wavefront6targetE0EEEvSK_.uses_flat_scratch, or(0, .L_ZN7rocprim17ROCPRIM_400000_NS6detail26segmented_warp_sort_helperINS1_20WarpSortHelperConfigILj8ELj8ELj256EEEflLi256ELb1EvE4sortIPKfPfPKlPlEEvT_T0_T1_T2_jjjjRNS5_12storage_typeE.uses_flat_scratch, .L_ZN7rocprim17ROCPRIM_400000_NS6detail40segmented_radix_sort_single_block_helperIflLj256ELj16ELb1EE4sortIPKfPfPKlPlEEbT_T0_T1_T2_jjjjRNS3_12storage_typeE.uses_flat_scratch)
	.set _ZN7rocprim17ROCPRIM_400000_NS6detail17trampoline_kernelINS0_14default_configENS1_36segmented_radix_sort_config_selectorIflEEZNS1_25segmented_radix_sort_implIS3_Lb1EPKfPfPKlPlN2at6native12_GLOBAL__N_18offset_tEEE10hipError_tPvRmT1_PNSt15iterator_traitsISK_E10value_typeET2_T3_PNSL_ISQ_E10value_typeET4_jRbjT5_SW_jjP12ihipStream_tbEUlT_E2_NS1_11comp_targetILNS1_3genE8ELNS1_11target_archE1030ELNS1_3gpuE2ELNS1_3repE0EEENS1_30default_config_static_selectorELNS0_4arch9wavefront6targetE0EEEvSK_.has_dyn_sized_stack, or(0, .L_ZN7rocprim17ROCPRIM_400000_NS6detail26segmented_warp_sort_helperINS1_20WarpSortHelperConfigILj8ELj8ELj256EEEflLi256ELb1EvE4sortIPKfPfPKlPlEEvT_T0_T1_T2_jjjjRNS5_12storage_typeE.has_dyn_sized_stack, .L_ZN7rocprim17ROCPRIM_400000_NS6detail40segmented_radix_sort_single_block_helperIflLj256ELj16ELb1EE4sortIPKfPfPKlPlEEbT_T0_T1_T2_jjjjRNS3_12storage_typeE.has_dyn_sized_stack)
	.set _ZN7rocprim17ROCPRIM_400000_NS6detail17trampoline_kernelINS0_14default_configENS1_36segmented_radix_sort_config_selectorIflEEZNS1_25segmented_radix_sort_implIS3_Lb1EPKfPfPKlPlN2at6native12_GLOBAL__N_18offset_tEEE10hipError_tPvRmT1_PNSt15iterator_traitsISK_E10value_typeET2_T3_PNSL_ISQ_E10value_typeET4_jRbjT5_SW_jjP12ihipStream_tbEUlT_E2_NS1_11comp_targetILNS1_3genE8ELNS1_11target_archE1030ELNS1_3gpuE2ELNS1_3repE0EEENS1_30default_config_static_selectorELNS0_4arch9wavefront6targetE0EEEvSK_.has_recursion, or(0, .L_ZN7rocprim17ROCPRIM_400000_NS6detail26segmented_warp_sort_helperINS1_20WarpSortHelperConfigILj8ELj8ELj256EEEflLi256ELb1EvE4sortIPKfPfPKlPlEEvT_T0_T1_T2_jjjjRNS5_12storage_typeE.has_recursion, .L_ZN7rocprim17ROCPRIM_400000_NS6detail40segmented_radix_sort_single_block_helperIflLj256ELj16ELb1EE4sortIPKfPfPKlPlEEbT_T0_T1_T2_jjjjRNS3_12storage_typeE.has_recursion)
	.set _ZN7rocprim17ROCPRIM_400000_NS6detail17trampoline_kernelINS0_14default_configENS1_36segmented_radix_sort_config_selectorIflEEZNS1_25segmented_radix_sort_implIS3_Lb1EPKfPfPKlPlN2at6native12_GLOBAL__N_18offset_tEEE10hipError_tPvRmT1_PNSt15iterator_traitsISK_E10value_typeET2_T3_PNSL_ISQ_E10value_typeET4_jRbjT5_SW_jjP12ihipStream_tbEUlT_E2_NS1_11comp_targetILNS1_3genE8ELNS1_11target_archE1030ELNS1_3gpuE2ELNS1_3repE0EEENS1_30default_config_static_selectorELNS0_4arch9wavefront6targetE0EEEvSK_.has_indirect_call, or(0, .L_ZN7rocprim17ROCPRIM_400000_NS6detail26segmented_warp_sort_helperINS1_20WarpSortHelperConfigILj8ELj8ELj256EEEflLi256ELb1EvE4sortIPKfPfPKlPlEEvT_T0_T1_T2_jjjjRNS5_12storage_typeE.has_indirect_call, .L_ZN7rocprim17ROCPRIM_400000_NS6detail40segmented_radix_sort_single_block_helperIflLj256ELj16ELb1EE4sortIPKfPfPKlPlEEbT_T0_T1_T2_jjjjRNS3_12storage_typeE.has_indirect_call)
	.section	.AMDGPU.csdata,"",@progbits
; Kernel info:
; codeLenInByte = 68132
; TotalNumSgprs: 68
; NumVgprs: 248
; ScratchSize: 68
; MemoryBound: 0
; FloatMode: 240
; IeeeMode: 1
; LDSByteSize: 33296 bytes/workgroup (compile time only)
; SGPRBlocks: 0
; VGPRBlocks: 30
; NumSGPRsForWavesPerEU: 68
; NumVGPRsForWavesPerEU: 248
; Occupancy: 4
; WaveLimiterHint : 1
; COMPUTE_PGM_RSRC2:SCRATCH_EN: 1
; COMPUTE_PGM_RSRC2:USER_SGPR: 6
; COMPUTE_PGM_RSRC2:TRAP_HANDLER: 0
; COMPUTE_PGM_RSRC2:TGID_X_EN: 1
; COMPUTE_PGM_RSRC2:TGID_Y_EN: 1
; COMPUTE_PGM_RSRC2:TGID_Z_EN: 0
; COMPUTE_PGM_RSRC2:TIDIG_COMP_CNT: 2
	.section	.text._ZN7rocprim17ROCPRIM_400000_NS6detail17trampoline_kernelINS0_13select_configILj256ELj13ELNS0_17block_load_methodE3ELS4_3ELS4_3ELNS0_20block_scan_algorithmE0ELj4294967295EEENS1_25partition_config_selectorILNS1_17partition_subalgoE4EjNS0_10empty_typeEbEEZZNS1_14partition_implILS8_4ELb0ES6_15HIP_vector_typeIjLj2EENS0_17counting_iteratorIjlEEPS9_SG_NS0_5tupleIJPjSI_NS0_16reverse_iteratorISI_EEEEENSH_IJSG_SG_SG_EEES9_SI_JZNS1_25segmented_radix_sort_implINS0_14default_configELb0EPKfPfPKlPlN2at6native12_GLOBAL__N_18offset_tEEE10hipError_tPvRmT1_PNSt15iterator_traitsIS12_E10value_typeET2_T3_PNS13_IS18_E10value_typeET4_jRbjT5_S1E_jjP12ihipStream_tbEUljE_ZNSN_ISO_Lb0ESQ_SR_ST_SU_SY_EESZ_S10_S11_S12_S16_S17_S18_S1B_S1C_jS1D_jS1E_S1E_jjS1G_bEUljE0_EEESZ_S10_S11_S18_S1C_S1E_T6_T7_T9_mT8_S1G_bDpT10_ENKUlT_T0_E_clISt17integral_constantIbLb0EES1U_EEDaS1P_S1Q_EUlS1P_E_NS1_11comp_targetILNS1_3genE0ELNS1_11target_archE4294967295ELNS1_3gpuE0ELNS1_3repE0EEENS1_30default_config_static_selectorELNS0_4arch9wavefront6targetE0EEEvS12_,"axG",@progbits,_ZN7rocprim17ROCPRIM_400000_NS6detail17trampoline_kernelINS0_13select_configILj256ELj13ELNS0_17block_load_methodE3ELS4_3ELS4_3ELNS0_20block_scan_algorithmE0ELj4294967295EEENS1_25partition_config_selectorILNS1_17partition_subalgoE4EjNS0_10empty_typeEbEEZZNS1_14partition_implILS8_4ELb0ES6_15HIP_vector_typeIjLj2EENS0_17counting_iteratorIjlEEPS9_SG_NS0_5tupleIJPjSI_NS0_16reverse_iteratorISI_EEEEENSH_IJSG_SG_SG_EEES9_SI_JZNS1_25segmented_radix_sort_implINS0_14default_configELb0EPKfPfPKlPlN2at6native12_GLOBAL__N_18offset_tEEE10hipError_tPvRmT1_PNSt15iterator_traitsIS12_E10value_typeET2_T3_PNS13_IS18_E10value_typeET4_jRbjT5_S1E_jjP12ihipStream_tbEUljE_ZNSN_ISO_Lb0ESQ_SR_ST_SU_SY_EESZ_S10_S11_S12_S16_S17_S18_S1B_S1C_jS1D_jS1E_S1E_jjS1G_bEUljE0_EEESZ_S10_S11_S18_S1C_S1E_T6_T7_T9_mT8_S1G_bDpT10_ENKUlT_T0_E_clISt17integral_constantIbLb0EES1U_EEDaS1P_S1Q_EUlS1P_E_NS1_11comp_targetILNS1_3genE0ELNS1_11target_archE4294967295ELNS1_3gpuE0ELNS1_3repE0EEENS1_30default_config_static_selectorELNS0_4arch9wavefront6targetE0EEEvS12_,comdat
	.globl	_ZN7rocprim17ROCPRIM_400000_NS6detail17trampoline_kernelINS0_13select_configILj256ELj13ELNS0_17block_load_methodE3ELS4_3ELS4_3ELNS0_20block_scan_algorithmE0ELj4294967295EEENS1_25partition_config_selectorILNS1_17partition_subalgoE4EjNS0_10empty_typeEbEEZZNS1_14partition_implILS8_4ELb0ES6_15HIP_vector_typeIjLj2EENS0_17counting_iteratorIjlEEPS9_SG_NS0_5tupleIJPjSI_NS0_16reverse_iteratorISI_EEEEENSH_IJSG_SG_SG_EEES9_SI_JZNS1_25segmented_radix_sort_implINS0_14default_configELb0EPKfPfPKlPlN2at6native12_GLOBAL__N_18offset_tEEE10hipError_tPvRmT1_PNSt15iterator_traitsIS12_E10value_typeET2_T3_PNS13_IS18_E10value_typeET4_jRbjT5_S1E_jjP12ihipStream_tbEUljE_ZNSN_ISO_Lb0ESQ_SR_ST_SU_SY_EESZ_S10_S11_S12_S16_S17_S18_S1B_S1C_jS1D_jS1E_S1E_jjS1G_bEUljE0_EEESZ_S10_S11_S18_S1C_S1E_T6_T7_T9_mT8_S1G_bDpT10_ENKUlT_T0_E_clISt17integral_constantIbLb0EES1U_EEDaS1P_S1Q_EUlS1P_E_NS1_11comp_targetILNS1_3genE0ELNS1_11target_archE4294967295ELNS1_3gpuE0ELNS1_3repE0EEENS1_30default_config_static_selectorELNS0_4arch9wavefront6targetE0EEEvS12_ ; -- Begin function _ZN7rocprim17ROCPRIM_400000_NS6detail17trampoline_kernelINS0_13select_configILj256ELj13ELNS0_17block_load_methodE3ELS4_3ELS4_3ELNS0_20block_scan_algorithmE0ELj4294967295EEENS1_25partition_config_selectorILNS1_17partition_subalgoE4EjNS0_10empty_typeEbEEZZNS1_14partition_implILS8_4ELb0ES6_15HIP_vector_typeIjLj2EENS0_17counting_iteratorIjlEEPS9_SG_NS0_5tupleIJPjSI_NS0_16reverse_iteratorISI_EEEEENSH_IJSG_SG_SG_EEES9_SI_JZNS1_25segmented_radix_sort_implINS0_14default_configELb0EPKfPfPKlPlN2at6native12_GLOBAL__N_18offset_tEEE10hipError_tPvRmT1_PNSt15iterator_traitsIS12_E10value_typeET2_T3_PNS13_IS18_E10value_typeET4_jRbjT5_S1E_jjP12ihipStream_tbEUljE_ZNSN_ISO_Lb0ESQ_SR_ST_SU_SY_EESZ_S10_S11_S12_S16_S17_S18_S1B_S1C_jS1D_jS1E_S1E_jjS1G_bEUljE0_EEESZ_S10_S11_S18_S1C_S1E_T6_T7_T9_mT8_S1G_bDpT10_ENKUlT_T0_E_clISt17integral_constantIbLb0EES1U_EEDaS1P_S1Q_EUlS1P_E_NS1_11comp_targetILNS1_3genE0ELNS1_11target_archE4294967295ELNS1_3gpuE0ELNS1_3repE0EEENS1_30default_config_static_selectorELNS0_4arch9wavefront6targetE0EEEvS12_
	.p2align	8
	.type	_ZN7rocprim17ROCPRIM_400000_NS6detail17trampoline_kernelINS0_13select_configILj256ELj13ELNS0_17block_load_methodE3ELS4_3ELS4_3ELNS0_20block_scan_algorithmE0ELj4294967295EEENS1_25partition_config_selectorILNS1_17partition_subalgoE4EjNS0_10empty_typeEbEEZZNS1_14partition_implILS8_4ELb0ES6_15HIP_vector_typeIjLj2EENS0_17counting_iteratorIjlEEPS9_SG_NS0_5tupleIJPjSI_NS0_16reverse_iteratorISI_EEEEENSH_IJSG_SG_SG_EEES9_SI_JZNS1_25segmented_radix_sort_implINS0_14default_configELb0EPKfPfPKlPlN2at6native12_GLOBAL__N_18offset_tEEE10hipError_tPvRmT1_PNSt15iterator_traitsIS12_E10value_typeET2_T3_PNS13_IS18_E10value_typeET4_jRbjT5_S1E_jjP12ihipStream_tbEUljE_ZNSN_ISO_Lb0ESQ_SR_ST_SU_SY_EESZ_S10_S11_S12_S16_S17_S18_S1B_S1C_jS1D_jS1E_S1E_jjS1G_bEUljE0_EEESZ_S10_S11_S18_S1C_S1E_T6_T7_T9_mT8_S1G_bDpT10_ENKUlT_T0_E_clISt17integral_constantIbLb0EES1U_EEDaS1P_S1Q_EUlS1P_E_NS1_11comp_targetILNS1_3genE0ELNS1_11target_archE4294967295ELNS1_3gpuE0ELNS1_3repE0EEENS1_30default_config_static_selectorELNS0_4arch9wavefront6targetE0EEEvS12_,@function
_ZN7rocprim17ROCPRIM_400000_NS6detail17trampoline_kernelINS0_13select_configILj256ELj13ELNS0_17block_load_methodE3ELS4_3ELS4_3ELNS0_20block_scan_algorithmE0ELj4294967295EEENS1_25partition_config_selectorILNS1_17partition_subalgoE4EjNS0_10empty_typeEbEEZZNS1_14partition_implILS8_4ELb0ES6_15HIP_vector_typeIjLj2EENS0_17counting_iteratorIjlEEPS9_SG_NS0_5tupleIJPjSI_NS0_16reverse_iteratorISI_EEEEENSH_IJSG_SG_SG_EEES9_SI_JZNS1_25segmented_radix_sort_implINS0_14default_configELb0EPKfPfPKlPlN2at6native12_GLOBAL__N_18offset_tEEE10hipError_tPvRmT1_PNSt15iterator_traitsIS12_E10value_typeET2_T3_PNS13_IS18_E10value_typeET4_jRbjT5_S1E_jjP12ihipStream_tbEUljE_ZNSN_ISO_Lb0ESQ_SR_ST_SU_SY_EESZ_S10_S11_S12_S16_S17_S18_S1B_S1C_jS1D_jS1E_S1E_jjS1G_bEUljE0_EEESZ_S10_S11_S18_S1C_S1E_T6_T7_T9_mT8_S1G_bDpT10_ENKUlT_T0_E_clISt17integral_constantIbLb0EES1U_EEDaS1P_S1Q_EUlS1P_E_NS1_11comp_targetILNS1_3genE0ELNS1_11target_archE4294967295ELNS1_3gpuE0ELNS1_3repE0EEENS1_30default_config_static_selectorELNS0_4arch9wavefront6targetE0EEEvS12_: ; @_ZN7rocprim17ROCPRIM_400000_NS6detail17trampoline_kernelINS0_13select_configILj256ELj13ELNS0_17block_load_methodE3ELS4_3ELS4_3ELNS0_20block_scan_algorithmE0ELj4294967295EEENS1_25partition_config_selectorILNS1_17partition_subalgoE4EjNS0_10empty_typeEbEEZZNS1_14partition_implILS8_4ELb0ES6_15HIP_vector_typeIjLj2EENS0_17counting_iteratorIjlEEPS9_SG_NS0_5tupleIJPjSI_NS0_16reverse_iteratorISI_EEEEENSH_IJSG_SG_SG_EEES9_SI_JZNS1_25segmented_radix_sort_implINS0_14default_configELb0EPKfPfPKlPlN2at6native12_GLOBAL__N_18offset_tEEE10hipError_tPvRmT1_PNSt15iterator_traitsIS12_E10value_typeET2_T3_PNS13_IS18_E10value_typeET4_jRbjT5_S1E_jjP12ihipStream_tbEUljE_ZNSN_ISO_Lb0ESQ_SR_ST_SU_SY_EESZ_S10_S11_S12_S16_S17_S18_S1B_S1C_jS1D_jS1E_S1E_jjS1G_bEUljE0_EEESZ_S10_S11_S18_S1C_S1E_T6_T7_T9_mT8_S1G_bDpT10_ENKUlT_T0_E_clISt17integral_constantIbLb0EES1U_EEDaS1P_S1Q_EUlS1P_E_NS1_11comp_targetILNS1_3genE0ELNS1_11target_archE4294967295ELNS1_3gpuE0ELNS1_3repE0EEENS1_30default_config_static_selectorELNS0_4arch9wavefront6targetE0EEEvS12_
; %bb.0:
	.section	.rodata,"a",@progbits
	.p2align	6, 0x0
	.amdhsa_kernel _ZN7rocprim17ROCPRIM_400000_NS6detail17trampoline_kernelINS0_13select_configILj256ELj13ELNS0_17block_load_methodE3ELS4_3ELS4_3ELNS0_20block_scan_algorithmE0ELj4294967295EEENS1_25partition_config_selectorILNS1_17partition_subalgoE4EjNS0_10empty_typeEbEEZZNS1_14partition_implILS8_4ELb0ES6_15HIP_vector_typeIjLj2EENS0_17counting_iteratorIjlEEPS9_SG_NS0_5tupleIJPjSI_NS0_16reverse_iteratorISI_EEEEENSH_IJSG_SG_SG_EEES9_SI_JZNS1_25segmented_radix_sort_implINS0_14default_configELb0EPKfPfPKlPlN2at6native12_GLOBAL__N_18offset_tEEE10hipError_tPvRmT1_PNSt15iterator_traitsIS12_E10value_typeET2_T3_PNS13_IS18_E10value_typeET4_jRbjT5_S1E_jjP12ihipStream_tbEUljE_ZNSN_ISO_Lb0ESQ_SR_ST_SU_SY_EESZ_S10_S11_S12_S16_S17_S18_S1B_S1C_jS1D_jS1E_S1E_jjS1G_bEUljE0_EEESZ_S10_S11_S18_S1C_S1E_T6_T7_T9_mT8_S1G_bDpT10_ENKUlT_T0_E_clISt17integral_constantIbLb0EES1U_EEDaS1P_S1Q_EUlS1P_E_NS1_11comp_targetILNS1_3genE0ELNS1_11target_archE4294967295ELNS1_3gpuE0ELNS1_3repE0EEENS1_30default_config_static_selectorELNS0_4arch9wavefront6targetE0EEEvS12_
		.amdhsa_group_segment_fixed_size 0
		.amdhsa_private_segment_fixed_size 0
		.amdhsa_kernarg_size 176
		.amdhsa_user_sgpr_count 6
		.amdhsa_user_sgpr_private_segment_buffer 1
		.amdhsa_user_sgpr_dispatch_ptr 0
		.amdhsa_user_sgpr_queue_ptr 0
		.amdhsa_user_sgpr_kernarg_segment_ptr 1
		.amdhsa_user_sgpr_dispatch_id 0
		.amdhsa_user_sgpr_flat_scratch_init 0
		.amdhsa_user_sgpr_private_segment_size 0
		.amdhsa_wavefront_size32 1
		.amdhsa_uses_dynamic_stack 0
		.amdhsa_system_sgpr_private_segment_wavefront_offset 0
		.amdhsa_system_sgpr_workgroup_id_x 1
		.amdhsa_system_sgpr_workgroup_id_y 0
		.amdhsa_system_sgpr_workgroup_id_z 0
		.amdhsa_system_sgpr_workgroup_info 0
		.amdhsa_system_vgpr_workitem_id 0
		.amdhsa_next_free_vgpr 1
		.amdhsa_next_free_sgpr 1
		.amdhsa_reserve_vcc 0
		.amdhsa_reserve_flat_scratch 0
		.amdhsa_float_round_mode_32 0
		.amdhsa_float_round_mode_16_64 0
		.amdhsa_float_denorm_mode_32 3
		.amdhsa_float_denorm_mode_16_64 3
		.amdhsa_dx10_clamp 1
		.amdhsa_ieee_mode 1
		.amdhsa_fp16_overflow 0
		.amdhsa_workgroup_processor_mode 1
		.amdhsa_memory_ordered 1
		.amdhsa_forward_progress 1
		.amdhsa_shared_vgpr_count 0
		.amdhsa_exception_fp_ieee_invalid_op 0
		.amdhsa_exception_fp_denorm_src 0
		.amdhsa_exception_fp_ieee_div_zero 0
		.amdhsa_exception_fp_ieee_overflow 0
		.amdhsa_exception_fp_ieee_underflow 0
		.amdhsa_exception_fp_ieee_inexact 0
		.amdhsa_exception_int_div_zero 0
	.end_amdhsa_kernel
	.section	.text._ZN7rocprim17ROCPRIM_400000_NS6detail17trampoline_kernelINS0_13select_configILj256ELj13ELNS0_17block_load_methodE3ELS4_3ELS4_3ELNS0_20block_scan_algorithmE0ELj4294967295EEENS1_25partition_config_selectorILNS1_17partition_subalgoE4EjNS0_10empty_typeEbEEZZNS1_14partition_implILS8_4ELb0ES6_15HIP_vector_typeIjLj2EENS0_17counting_iteratorIjlEEPS9_SG_NS0_5tupleIJPjSI_NS0_16reverse_iteratorISI_EEEEENSH_IJSG_SG_SG_EEES9_SI_JZNS1_25segmented_radix_sort_implINS0_14default_configELb0EPKfPfPKlPlN2at6native12_GLOBAL__N_18offset_tEEE10hipError_tPvRmT1_PNSt15iterator_traitsIS12_E10value_typeET2_T3_PNS13_IS18_E10value_typeET4_jRbjT5_S1E_jjP12ihipStream_tbEUljE_ZNSN_ISO_Lb0ESQ_SR_ST_SU_SY_EESZ_S10_S11_S12_S16_S17_S18_S1B_S1C_jS1D_jS1E_S1E_jjS1G_bEUljE0_EEESZ_S10_S11_S18_S1C_S1E_T6_T7_T9_mT8_S1G_bDpT10_ENKUlT_T0_E_clISt17integral_constantIbLb0EES1U_EEDaS1P_S1Q_EUlS1P_E_NS1_11comp_targetILNS1_3genE0ELNS1_11target_archE4294967295ELNS1_3gpuE0ELNS1_3repE0EEENS1_30default_config_static_selectorELNS0_4arch9wavefront6targetE0EEEvS12_,"axG",@progbits,_ZN7rocprim17ROCPRIM_400000_NS6detail17trampoline_kernelINS0_13select_configILj256ELj13ELNS0_17block_load_methodE3ELS4_3ELS4_3ELNS0_20block_scan_algorithmE0ELj4294967295EEENS1_25partition_config_selectorILNS1_17partition_subalgoE4EjNS0_10empty_typeEbEEZZNS1_14partition_implILS8_4ELb0ES6_15HIP_vector_typeIjLj2EENS0_17counting_iteratorIjlEEPS9_SG_NS0_5tupleIJPjSI_NS0_16reverse_iteratorISI_EEEEENSH_IJSG_SG_SG_EEES9_SI_JZNS1_25segmented_radix_sort_implINS0_14default_configELb0EPKfPfPKlPlN2at6native12_GLOBAL__N_18offset_tEEE10hipError_tPvRmT1_PNSt15iterator_traitsIS12_E10value_typeET2_T3_PNS13_IS18_E10value_typeET4_jRbjT5_S1E_jjP12ihipStream_tbEUljE_ZNSN_ISO_Lb0ESQ_SR_ST_SU_SY_EESZ_S10_S11_S12_S16_S17_S18_S1B_S1C_jS1D_jS1E_S1E_jjS1G_bEUljE0_EEESZ_S10_S11_S18_S1C_S1E_T6_T7_T9_mT8_S1G_bDpT10_ENKUlT_T0_E_clISt17integral_constantIbLb0EES1U_EEDaS1P_S1Q_EUlS1P_E_NS1_11comp_targetILNS1_3genE0ELNS1_11target_archE4294967295ELNS1_3gpuE0ELNS1_3repE0EEENS1_30default_config_static_selectorELNS0_4arch9wavefront6targetE0EEEvS12_,comdat
.Lfunc_end1356:
	.size	_ZN7rocprim17ROCPRIM_400000_NS6detail17trampoline_kernelINS0_13select_configILj256ELj13ELNS0_17block_load_methodE3ELS4_3ELS4_3ELNS0_20block_scan_algorithmE0ELj4294967295EEENS1_25partition_config_selectorILNS1_17partition_subalgoE4EjNS0_10empty_typeEbEEZZNS1_14partition_implILS8_4ELb0ES6_15HIP_vector_typeIjLj2EENS0_17counting_iteratorIjlEEPS9_SG_NS0_5tupleIJPjSI_NS0_16reverse_iteratorISI_EEEEENSH_IJSG_SG_SG_EEES9_SI_JZNS1_25segmented_radix_sort_implINS0_14default_configELb0EPKfPfPKlPlN2at6native12_GLOBAL__N_18offset_tEEE10hipError_tPvRmT1_PNSt15iterator_traitsIS12_E10value_typeET2_T3_PNS13_IS18_E10value_typeET4_jRbjT5_S1E_jjP12ihipStream_tbEUljE_ZNSN_ISO_Lb0ESQ_SR_ST_SU_SY_EESZ_S10_S11_S12_S16_S17_S18_S1B_S1C_jS1D_jS1E_S1E_jjS1G_bEUljE0_EEESZ_S10_S11_S18_S1C_S1E_T6_T7_T9_mT8_S1G_bDpT10_ENKUlT_T0_E_clISt17integral_constantIbLb0EES1U_EEDaS1P_S1Q_EUlS1P_E_NS1_11comp_targetILNS1_3genE0ELNS1_11target_archE4294967295ELNS1_3gpuE0ELNS1_3repE0EEENS1_30default_config_static_selectorELNS0_4arch9wavefront6targetE0EEEvS12_, .Lfunc_end1356-_ZN7rocprim17ROCPRIM_400000_NS6detail17trampoline_kernelINS0_13select_configILj256ELj13ELNS0_17block_load_methodE3ELS4_3ELS4_3ELNS0_20block_scan_algorithmE0ELj4294967295EEENS1_25partition_config_selectorILNS1_17partition_subalgoE4EjNS0_10empty_typeEbEEZZNS1_14partition_implILS8_4ELb0ES6_15HIP_vector_typeIjLj2EENS0_17counting_iteratorIjlEEPS9_SG_NS0_5tupleIJPjSI_NS0_16reverse_iteratorISI_EEEEENSH_IJSG_SG_SG_EEES9_SI_JZNS1_25segmented_radix_sort_implINS0_14default_configELb0EPKfPfPKlPlN2at6native12_GLOBAL__N_18offset_tEEE10hipError_tPvRmT1_PNSt15iterator_traitsIS12_E10value_typeET2_T3_PNS13_IS18_E10value_typeET4_jRbjT5_S1E_jjP12ihipStream_tbEUljE_ZNSN_ISO_Lb0ESQ_SR_ST_SU_SY_EESZ_S10_S11_S12_S16_S17_S18_S1B_S1C_jS1D_jS1E_S1E_jjS1G_bEUljE0_EEESZ_S10_S11_S18_S1C_S1E_T6_T7_T9_mT8_S1G_bDpT10_ENKUlT_T0_E_clISt17integral_constantIbLb0EES1U_EEDaS1P_S1Q_EUlS1P_E_NS1_11comp_targetILNS1_3genE0ELNS1_11target_archE4294967295ELNS1_3gpuE0ELNS1_3repE0EEENS1_30default_config_static_selectorELNS0_4arch9wavefront6targetE0EEEvS12_
                                        ; -- End function
	.set _ZN7rocprim17ROCPRIM_400000_NS6detail17trampoline_kernelINS0_13select_configILj256ELj13ELNS0_17block_load_methodE3ELS4_3ELS4_3ELNS0_20block_scan_algorithmE0ELj4294967295EEENS1_25partition_config_selectorILNS1_17partition_subalgoE4EjNS0_10empty_typeEbEEZZNS1_14partition_implILS8_4ELb0ES6_15HIP_vector_typeIjLj2EENS0_17counting_iteratorIjlEEPS9_SG_NS0_5tupleIJPjSI_NS0_16reverse_iteratorISI_EEEEENSH_IJSG_SG_SG_EEES9_SI_JZNS1_25segmented_radix_sort_implINS0_14default_configELb0EPKfPfPKlPlN2at6native12_GLOBAL__N_18offset_tEEE10hipError_tPvRmT1_PNSt15iterator_traitsIS12_E10value_typeET2_T3_PNS13_IS18_E10value_typeET4_jRbjT5_S1E_jjP12ihipStream_tbEUljE_ZNSN_ISO_Lb0ESQ_SR_ST_SU_SY_EESZ_S10_S11_S12_S16_S17_S18_S1B_S1C_jS1D_jS1E_S1E_jjS1G_bEUljE0_EEESZ_S10_S11_S18_S1C_S1E_T6_T7_T9_mT8_S1G_bDpT10_ENKUlT_T0_E_clISt17integral_constantIbLb0EES1U_EEDaS1P_S1Q_EUlS1P_E_NS1_11comp_targetILNS1_3genE0ELNS1_11target_archE4294967295ELNS1_3gpuE0ELNS1_3repE0EEENS1_30default_config_static_selectorELNS0_4arch9wavefront6targetE0EEEvS12_.num_vgpr, 0
	.set _ZN7rocprim17ROCPRIM_400000_NS6detail17trampoline_kernelINS0_13select_configILj256ELj13ELNS0_17block_load_methodE3ELS4_3ELS4_3ELNS0_20block_scan_algorithmE0ELj4294967295EEENS1_25partition_config_selectorILNS1_17partition_subalgoE4EjNS0_10empty_typeEbEEZZNS1_14partition_implILS8_4ELb0ES6_15HIP_vector_typeIjLj2EENS0_17counting_iteratorIjlEEPS9_SG_NS0_5tupleIJPjSI_NS0_16reverse_iteratorISI_EEEEENSH_IJSG_SG_SG_EEES9_SI_JZNS1_25segmented_radix_sort_implINS0_14default_configELb0EPKfPfPKlPlN2at6native12_GLOBAL__N_18offset_tEEE10hipError_tPvRmT1_PNSt15iterator_traitsIS12_E10value_typeET2_T3_PNS13_IS18_E10value_typeET4_jRbjT5_S1E_jjP12ihipStream_tbEUljE_ZNSN_ISO_Lb0ESQ_SR_ST_SU_SY_EESZ_S10_S11_S12_S16_S17_S18_S1B_S1C_jS1D_jS1E_S1E_jjS1G_bEUljE0_EEESZ_S10_S11_S18_S1C_S1E_T6_T7_T9_mT8_S1G_bDpT10_ENKUlT_T0_E_clISt17integral_constantIbLb0EES1U_EEDaS1P_S1Q_EUlS1P_E_NS1_11comp_targetILNS1_3genE0ELNS1_11target_archE4294967295ELNS1_3gpuE0ELNS1_3repE0EEENS1_30default_config_static_selectorELNS0_4arch9wavefront6targetE0EEEvS12_.num_agpr, 0
	.set _ZN7rocprim17ROCPRIM_400000_NS6detail17trampoline_kernelINS0_13select_configILj256ELj13ELNS0_17block_load_methodE3ELS4_3ELS4_3ELNS0_20block_scan_algorithmE0ELj4294967295EEENS1_25partition_config_selectorILNS1_17partition_subalgoE4EjNS0_10empty_typeEbEEZZNS1_14partition_implILS8_4ELb0ES6_15HIP_vector_typeIjLj2EENS0_17counting_iteratorIjlEEPS9_SG_NS0_5tupleIJPjSI_NS0_16reverse_iteratorISI_EEEEENSH_IJSG_SG_SG_EEES9_SI_JZNS1_25segmented_radix_sort_implINS0_14default_configELb0EPKfPfPKlPlN2at6native12_GLOBAL__N_18offset_tEEE10hipError_tPvRmT1_PNSt15iterator_traitsIS12_E10value_typeET2_T3_PNS13_IS18_E10value_typeET4_jRbjT5_S1E_jjP12ihipStream_tbEUljE_ZNSN_ISO_Lb0ESQ_SR_ST_SU_SY_EESZ_S10_S11_S12_S16_S17_S18_S1B_S1C_jS1D_jS1E_S1E_jjS1G_bEUljE0_EEESZ_S10_S11_S18_S1C_S1E_T6_T7_T9_mT8_S1G_bDpT10_ENKUlT_T0_E_clISt17integral_constantIbLb0EES1U_EEDaS1P_S1Q_EUlS1P_E_NS1_11comp_targetILNS1_3genE0ELNS1_11target_archE4294967295ELNS1_3gpuE0ELNS1_3repE0EEENS1_30default_config_static_selectorELNS0_4arch9wavefront6targetE0EEEvS12_.numbered_sgpr, 0
	.set _ZN7rocprim17ROCPRIM_400000_NS6detail17trampoline_kernelINS0_13select_configILj256ELj13ELNS0_17block_load_methodE3ELS4_3ELS4_3ELNS0_20block_scan_algorithmE0ELj4294967295EEENS1_25partition_config_selectorILNS1_17partition_subalgoE4EjNS0_10empty_typeEbEEZZNS1_14partition_implILS8_4ELb0ES6_15HIP_vector_typeIjLj2EENS0_17counting_iteratorIjlEEPS9_SG_NS0_5tupleIJPjSI_NS0_16reverse_iteratorISI_EEEEENSH_IJSG_SG_SG_EEES9_SI_JZNS1_25segmented_radix_sort_implINS0_14default_configELb0EPKfPfPKlPlN2at6native12_GLOBAL__N_18offset_tEEE10hipError_tPvRmT1_PNSt15iterator_traitsIS12_E10value_typeET2_T3_PNS13_IS18_E10value_typeET4_jRbjT5_S1E_jjP12ihipStream_tbEUljE_ZNSN_ISO_Lb0ESQ_SR_ST_SU_SY_EESZ_S10_S11_S12_S16_S17_S18_S1B_S1C_jS1D_jS1E_S1E_jjS1G_bEUljE0_EEESZ_S10_S11_S18_S1C_S1E_T6_T7_T9_mT8_S1G_bDpT10_ENKUlT_T0_E_clISt17integral_constantIbLb0EES1U_EEDaS1P_S1Q_EUlS1P_E_NS1_11comp_targetILNS1_3genE0ELNS1_11target_archE4294967295ELNS1_3gpuE0ELNS1_3repE0EEENS1_30default_config_static_selectorELNS0_4arch9wavefront6targetE0EEEvS12_.num_named_barrier, 0
	.set _ZN7rocprim17ROCPRIM_400000_NS6detail17trampoline_kernelINS0_13select_configILj256ELj13ELNS0_17block_load_methodE3ELS4_3ELS4_3ELNS0_20block_scan_algorithmE0ELj4294967295EEENS1_25partition_config_selectorILNS1_17partition_subalgoE4EjNS0_10empty_typeEbEEZZNS1_14partition_implILS8_4ELb0ES6_15HIP_vector_typeIjLj2EENS0_17counting_iteratorIjlEEPS9_SG_NS0_5tupleIJPjSI_NS0_16reverse_iteratorISI_EEEEENSH_IJSG_SG_SG_EEES9_SI_JZNS1_25segmented_radix_sort_implINS0_14default_configELb0EPKfPfPKlPlN2at6native12_GLOBAL__N_18offset_tEEE10hipError_tPvRmT1_PNSt15iterator_traitsIS12_E10value_typeET2_T3_PNS13_IS18_E10value_typeET4_jRbjT5_S1E_jjP12ihipStream_tbEUljE_ZNSN_ISO_Lb0ESQ_SR_ST_SU_SY_EESZ_S10_S11_S12_S16_S17_S18_S1B_S1C_jS1D_jS1E_S1E_jjS1G_bEUljE0_EEESZ_S10_S11_S18_S1C_S1E_T6_T7_T9_mT8_S1G_bDpT10_ENKUlT_T0_E_clISt17integral_constantIbLb0EES1U_EEDaS1P_S1Q_EUlS1P_E_NS1_11comp_targetILNS1_3genE0ELNS1_11target_archE4294967295ELNS1_3gpuE0ELNS1_3repE0EEENS1_30default_config_static_selectorELNS0_4arch9wavefront6targetE0EEEvS12_.private_seg_size, 0
	.set _ZN7rocprim17ROCPRIM_400000_NS6detail17trampoline_kernelINS0_13select_configILj256ELj13ELNS0_17block_load_methodE3ELS4_3ELS4_3ELNS0_20block_scan_algorithmE0ELj4294967295EEENS1_25partition_config_selectorILNS1_17partition_subalgoE4EjNS0_10empty_typeEbEEZZNS1_14partition_implILS8_4ELb0ES6_15HIP_vector_typeIjLj2EENS0_17counting_iteratorIjlEEPS9_SG_NS0_5tupleIJPjSI_NS0_16reverse_iteratorISI_EEEEENSH_IJSG_SG_SG_EEES9_SI_JZNS1_25segmented_radix_sort_implINS0_14default_configELb0EPKfPfPKlPlN2at6native12_GLOBAL__N_18offset_tEEE10hipError_tPvRmT1_PNSt15iterator_traitsIS12_E10value_typeET2_T3_PNS13_IS18_E10value_typeET4_jRbjT5_S1E_jjP12ihipStream_tbEUljE_ZNSN_ISO_Lb0ESQ_SR_ST_SU_SY_EESZ_S10_S11_S12_S16_S17_S18_S1B_S1C_jS1D_jS1E_S1E_jjS1G_bEUljE0_EEESZ_S10_S11_S18_S1C_S1E_T6_T7_T9_mT8_S1G_bDpT10_ENKUlT_T0_E_clISt17integral_constantIbLb0EES1U_EEDaS1P_S1Q_EUlS1P_E_NS1_11comp_targetILNS1_3genE0ELNS1_11target_archE4294967295ELNS1_3gpuE0ELNS1_3repE0EEENS1_30default_config_static_selectorELNS0_4arch9wavefront6targetE0EEEvS12_.uses_vcc, 0
	.set _ZN7rocprim17ROCPRIM_400000_NS6detail17trampoline_kernelINS0_13select_configILj256ELj13ELNS0_17block_load_methodE3ELS4_3ELS4_3ELNS0_20block_scan_algorithmE0ELj4294967295EEENS1_25partition_config_selectorILNS1_17partition_subalgoE4EjNS0_10empty_typeEbEEZZNS1_14partition_implILS8_4ELb0ES6_15HIP_vector_typeIjLj2EENS0_17counting_iteratorIjlEEPS9_SG_NS0_5tupleIJPjSI_NS0_16reverse_iteratorISI_EEEEENSH_IJSG_SG_SG_EEES9_SI_JZNS1_25segmented_radix_sort_implINS0_14default_configELb0EPKfPfPKlPlN2at6native12_GLOBAL__N_18offset_tEEE10hipError_tPvRmT1_PNSt15iterator_traitsIS12_E10value_typeET2_T3_PNS13_IS18_E10value_typeET4_jRbjT5_S1E_jjP12ihipStream_tbEUljE_ZNSN_ISO_Lb0ESQ_SR_ST_SU_SY_EESZ_S10_S11_S12_S16_S17_S18_S1B_S1C_jS1D_jS1E_S1E_jjS1G_bEUljE0_EEESZ_S10_S11_S18_S1C_S1E_T6_T7_T9_mT8_S1G_bDpT10_ENKUlT_T0_E_clISt17integral_constantIbLb0EES1U_EEDaS1P_S1Q_EUlS1P_E_NS1_11comp_targetILNS1_3genE0ELNS1_11target_archE4294967295ELNS1_3gpuE0ELNS1_3repE0EEENS1_30default_config_static_selectorELNS0_4arch9wavefront6targetE0EEEvS12_.uses_flat_scratch, 0
	.set _ZN7rocprim17ROCPRIM_400000_NS6detail17trampoline_kernelINS0_13select_configILj256ELj13ELNS0_17block_load_methodE3ELS4_3ELS4_3ELNS0_20block_scan_algorithmE0ELj4294967295EEENS1_25partition_config_selectorILNS1_17partition_subalgoE4EjNS0_10empty_typeEbEEZZNS1_14partition_implILS8_4ELb0ES6_15HIP_vector_typeIjLj2EENS0_17counting_iteratorIjlEEPS9_SG_NS0_5tupleIJPjSI_NS0_16reverse_iteratorISI_EEEEENSH_IJSG_SG_SG_EEES9_SI_JZNS1_25segmented_radix_sort_implINS0_14default_configELb0EPKfPfPKlPlN2at6native12_GLOBAL__N_18offset_tEEE10hipError_tPvRmT1_PNSt15iterator_traitsIS12_E10value_typeET2_T3_PNS13_IS18_E10value_typeET4_jRbjT5_S1E_jjP12ihipStream_tbEUljE_ZNSN_ISO_Lb0ESQ_SR_ST_SU_SY_EESZ_S10_S11_S12_S16_S17_S18_S1B_S1C_jS1D_jS1E_S1E_jjS1G_bEUljE0_EEESZ_S10_S11_S18_S1C_S1E_T6_T7_T9_mT8_S1G_bDpT10_ENKUlT_T0_E_clISt17integral_constantIbLb0EES1U_EEDaS1P_S1Q_EUlS1P_E_NS1_11comp_targetILNS1_3genE0ELNS1_11target_archE4294967295ELNS1_3gpuE0ELNS1_3repE0EEENS1_30default_config_static_selectorELNS0_4arch9wavefront6targetE0EEEvS12_.has_dyn_sized_stack, 0
	.set _ZN7rocprim17ROCPRIM_400000_NS6detail17trampoline_kernelINS0_13select_configILj256ELj13ELNS0_17block_load_methodE3ELS4_3ELS4_3ELNS0_20block_scan_algorithmE0ELj4294967295EEENS1_25partition_config_selectorILNS1_17partition_subalgoE4EjNS0_10empty_typeEbEEZZNS1_14partition_implILS8_4ELb0ES6_15HIP_vector_typeIjLj2EENS0_17counting_iteratorIjlEEPS9_SG_NS0_5tupleIJPjSI_NS0_16reverse_iteratorISI_EEEEENSH_IJSG_SG_SG_EEES9_SI_JZNS1_25segmented_radix_sort_implINS0_14default_configELb0EPKfPfPKlPlN2at6native12_GLOBAL__N_18offset_tEEE10hipError_tPvRmT1_PNSt15iterator_traitsIS12_E10value_typeET2_T3_PNS13_IS18_E10value_typeET4_jRbjT5_S1E_jjP12ihipStream_tbEUljE_ZNSN_ISO_Lb0ESQ_SR_ST_SU_SY_EESZ_S10_S11_S12_S16_S17_S18_S1B_S1C_jS1D_jS1E_S1E_jjS1G_bEUljE0_EEESZ_S10_S11_S18_S1C_S1E_T6_T7_T9_mT8_S1G_bDpT10_ENKUlT_T0_E_clISt17integral_constantIbLb0EES1U_EEDaS1P_S1Q_EUlS1P_E_NS1_11comp_targetILNS1_3genE0ELNS1_11target_archE4294967295ELNS1_3gpuE0ELNS1_3repE0EEENS1_30default_config_static_selectorELNS0_4arch9wavefront6targetE0EEEvS12_.has_recursion, 0
	.set _ZN7rocprim17ROCPRIM_400000_NS6detail17trampoline_kernelINS0_13select_configILj256ELj13ELNS0_17block_load_methodE3ELS4_3ELS4_3ELNS0_20block_scan_algorithmE0ELj4294967295EEENS1_25partition_config_selectorILNS1_17partition_subalgoE4EjNS0_10empty_typeEbEEZZNS1_14partition_implILS8_4ELb0ES6_15HIP_vector_typeIjLj2EENS0_17counting_iteratorIjlEEPS9_SG_NS0_5tupleIJPjSI_NS0_16reverse_iteratorISI_EEEEENSH_IJSG_SG_SG_EEES9_SI_JZNS1_25segmented_radix_sort_implINS0_14default_configELb0EPKfPfPKlPlN2at6native12_GLOBAL__N_18offset_tEEE10hipError_tPvRmT1_PNSt15iterator_traitsIS12_E10value_typeET2_T3_PNS13_IS18_E10value_typeET4_jRbjT5_S1E_jjP12ihipStream_tbEUljE_ZNSN_ISO_Lb0ESQ_SR_ST_SU_SY_EESZ_S10_S11_S12_S16_S17_S18_S1B_S1C_jS1D_jS1E_S1E_jjS1G_bEUljE0_EEESZ_S10_S11_S18_S1C_S1E_T6_T7_T9_mT8_S1G_bDpT10_ENKUlT_T0_E_clISt17integral_constantIbLb0EES1U_EEDaS1P_S1Q_EUlS1P_E_NS1_11comp_targetILNS1_3genE0ELNS1_11target_archE4294967295ELNS1_3gpuE0ELNS1_3repE0EEENS1_30default_config_static_selectorELNS0_4arch9wavefront6targetE0EEEvS12_.has_indirect_call, 0
	.section	.AMDGPU.csdata,"",@progbits
; Kernel info:
; codeLenInByte = 0
; TotalNumSgprs: 0
; NumVgprs: 0
; ScratchSize: 0
; MemoryBound: 0
; FloatMode: 240
; IeeeMode: 1
; LDSByteSize: 0 bytes/workgroup (compile time only)
; SGPRBlocks: 0
; VGPRBlocks: 0
; NumSGPRsForWavesPerEU: 1
; NumVGPRsForWavesPerEU: 1
; Occupancy: 16
; WaveLimiterHint : 0
; COMPUTE_PGM_RSRC2:SCRATCH_EN: 0
; COMPUTE_PGM_RSRC2:USER_SGPR: 6
; COMPUTE_PGM_RSRC2:TRAP_HANDLER: 0
; COMPUTE_PGM_RSRC2:TGID_X_EN: 1
; COMPUTE_PGM_RSRC2:TGID_Y_EN: 0
; COMPUTE_PGM_RSRC2:TGID_Z_EN: 0
; COMPUTE_PGM_RSRC2:TIDIG_COMP_CNT: 0
	.section	.text._ZN7rocprim17ROCPRIM_400000_NS6detail17trampoline_kernelINS0_13select_configILj256ELj13ELNS0_17block_load_methodE3ELS4_3ELS4_3ELNS0_20block_scan_algorithmE0ELj4294967295EEENS1_25partition_config_selectorILNS1_17partition_subalgoE4EjNS0_10empty_typeEbEEZZNS1_14partition_implILS8_4ELb0ES6_15HIP_vector_typeIjLj2EENS0_17counting_iteratorIjlEEPS9_SG_NS0_5tupleIJPjSI_NS0_16reverse_iteratorISI_EEEEENSH_IJSG_SG_SG_EEES9_SI_JZNS1_25segmented_radix_sort_implINS0_14default_configELb0EPKfPfPKlPlN2at6native12_GLOBAL__N_18offset_tEEE10hipError_tPvRmT1_PNSt15iterator_traitsIS12_E10value_typeET2_T3_PNS13_IS18_E10value_typeET4_jRbjT5_S1E_jjP12ihipStream_tbEUljE_ZNSN_ISO_Lb0ESQ_SR_ST_SU_SY_EESZ_S10_S11_S12_S16_S17_S18_S1B_S1C_jS1D_jS1E_S1E_jjS1G_bEUljE0_EEESZ_S10_S11_S18_S1C_S1E_T6_T7_T9_mT8_S1G_bDpT10_ENKUlT_T0_E_clISt17integral_constantIbLb0EES1U_EEDaS1P_S1Q_EUlS1P_E_NS1_11comp_targetILNS1_3genE5ELNS1_11target_archE942ELNS1_3gpuE9ELNS1_3repE0EEENS1_30default_config_static_selectorELNS0_4arch9wavefront6targetE0EEEvS12_,"axG",@progbits,_ZN7rocprim17ROCPRIM_400000_NS6detail17trampoline_kernelINS0_13select_configILj256ELj13ELNS0_17block_load_methodE3ELS4_3ELS4_3ELNS0_20block_scan_algorithmE0ELj4294967295EEENS1_25partition_config_selectorILNS1_17partition_subalgoE4EjNS0_10empty_typeEbEEZZNS1_14partition_implILS8_4ELb0ES6_15HIP_vector_typeIjLj2EENS0_17counting_iteratorIjlEEPS9_SG_NS0_5tupleIJPjSI_NS0_16reverse_iteratorISI_EEEEENSH_IJSG_SG_SG_EEES9_SI_JZNS1_25segmented_radix_sort_implINS0_14default_configELb0EPKfPfPKlPlN2at6native12_GLOBAL__N_18offset_tEEE10hipError_tPvRmT1_PNSt15iterator_traitsIS12_E10value_typeET2_T3_PNS13_IS18_E10value_typeET4_jRbjT5_S1E_jjP12ihipStream_tbEUljE_ZNSN_ISO_Lb0ESQ_SR_ST_SU_SY_EESZ_S10_S11_S12_S16_S17_S18_S1B_S1C_jS1D_jS1E_S1E_jjS1G_bEUljE0_EEESZ_S10_S11_S18_S1C_S1E_T6_T7_T9_mT8_S1G_bDpT10_ENKUlT_T0_E_clISt17integral_constantIbLb0EES1U_EEDaS1P_S1Q_EUlS1P_E_NS1_11comp_targetILNS1_3genE5ELNS1_11target_archE942ELNS1_3gpuE9ELNS1_3repE0EEENS1_30default_config_static_selectorELNS0_4arch9wavefront6targetE0EEEvS12_,comdat
	.globl	_ZN7rocprim17ROCPRIM_400000_NS6detail17trampoline_kernelINS0_13select_configILj256ELj13ELNS0_17block_load_methodE3ELS4_3ELS4_3ELNS0_20block_scan_algorithmE0ELj4294967295EEENS1_25partition_config_selectorILNS1_17partition_subalgoE4EjNS0_10empty_typeEbEEZZNS1_14partition_implILS8_4ELb0ES6_15HIP_vector_typeIjLj2EENS0_17counting_iteratorIjlEEPS9_SG_NS0_5tupleIJPjSI_NS0_16reverse_iteratorISI_EEEEENSH_IJSG_SG_SG_EEES9_SI_JZNS1_25segmented_radix_sort_implINS0_14default_configELb0EPKfPfPKlPlN2at6native12_GLOBAL__N_18offset_tEEE10hipError_tPvRmT1_PNSt15iterator_traitsIS12_E10value_typeET2_T3_PNS13_IS18_E10value_typeET4_jRbjT5_S1E_jjP12ihipStream_tbEUljE_ZNSN_ISO_Lb0ESQ_SR_ST_SU_SY_EESZ_S10_S11_S12_S16_S17_S18_S1B_S1C_jS1D_jS1E_S1E_jjS1G_bEUljE0_EEESZ_S10_S11_S18_S1C_S1E_T6_T7_T9_mT8_S1G_bDpT10_ENKUlT_T0_E_clISt17integral_constantIbLb0EES1U_EEDaS1P_S1Q_EUlS1P_E_NS1_11comp_targetILNS1_3genE5ELNS1_11target_archE942ELNS1_3gpuE9ELNS1_3repE0EEENS1_30default_config_static_selectorELNS0_4arch9wavefront6targetE0EEEvS12_ ; -- Begin function _ZN7rocprim17ROCPRIM_400000_NS6detail17trampoline_kernelINS0_13select_configILj256ELj13ELNS0_17block_load_methodE3ELS4_3ELS4_3ELNS0_20block_scan_algorithmE0ELj4294967295EEENS1_25partition_config_selectorILNS1_17partition_subalgoE4EjNS0_10empty_typeEbEEZZNS1_14partition_implILS8_4ELb0ES6_15HIP_vector_typeIjLj2EENS0_17counting_iteratorIjlEEPS9_SG_NS0_5tupleIJPjSI_NS0_16reverse_iteratorISI_EEEEENSH_IJSG_SG_SG_EEES9_SI_JZNS1_25segmented_radix_sort_implINS0_14default_configELb0EPKfPfPKlPlN2at6native12_GLOBAL__N_18offset_tEEE10hipError_tPvRmT1_PNSt15iterator_traitsIS12_E10value_typeET2_T3_PNS13_IS18_E10value_typeET4_jRbjT5_S1E_jjP12ihipStream_tbEUljE_ZNSN_ISO_Lb0ESQ_SR_ST_SU_SY_EESZ_S10_S11_S12_S16_S17_S18_S1B_S1C_jS1D_jS1E_S1E_jjS1G_bEUljE0_EEESZ_S10_S11_S18_S1C_S1E_T6_T7_T9_mT8_S1G_bDpT10_ENKUlT_T0_E_clISt17integral_constantIbLb0EES1U_EEDaS1P_S1Q_EUlS1P_E_NS1_11comp_targetILNS1_3genE5ELNS1_11target_archE942ELNS1_3gpuE9ELNS1_3repE0EEENS1_30default_config_static_selectorELNS0_4arch9wavefront6targetE0EEEvS12_
	.p2align	8
	.type	_ZN7rocprim17ROCPRIM_400000_NS6detail17trampoline_kernelINS0_13select_configILj256ELj13ELNS0_17block_load_methodE3ELS4_3ELS4_3ELNS0_20block_scan_algorithmE0ELj4294967295EEENS1_25partition_config_selectorILNS1_17partition_subalgoE4EjNS0_10empty_typeEbEEZZNS1_14partition_implILS8_4ELb0ES6_15HIP_vector_typeIjLj2EENS0_17counting_iteratorIjlEEPS9_SG_NS0_5tupleIJPjSI_NS0_16reverse_iteratorISI_EEEEENSH_IJSG_SG_SG_EEES9_SI_JZNS1_25segmented_radix_sort_implINS0_14default_configELb0EPKfPfPKlPlN2at6native12_GLOBAL__N_18offset_tEEE10hipError_tPvRmT1_PNSt15iterator_traitsIS12_E10value_typeET2_T3_PNS13_IS18_E10value_typeET4_jRbjT5_S1E_jjP12ihipStream_tbEUljE_ZNSN_ISO_Lb0ESQ_SR_ST_SU_SY_EESZ_S10_S11_S12_S16_S17_S18_S1B_S1C_jS1D_jS1E_S1E_jjS1G_bEUljE0_EEESZ_S10_S11_S18_S1C_S1E_T6_T7_T9_mT8_S1G_bDpT10_ENKUlT_T0_E_clISt17integral_constantIbLb0EES1U_EEDaS1P_S1Q_EUlS1P_E_NS1_11comp_targetILNS1_3genE5ELNS1_11target_archE942ELNS1_3gpuE9ELNS1_3repE0EEENS1_30default_config_static_selectorELNS0_4arch9wavefront6targetE0EEEvS12_,@function
_ZN7rocprim17ROCPRIM_400000_NS6detail17trampoline_kernelINS0_13select_configILj256ELj13ELNS0_17block_load_methodE3ELS4_3ELS4_3ELNS0_20block_scan_algorithmE0ELj4294967295EEENS1_25partition_config_selectorILNS1_17partition_subalgoE4EjNS0_10empty_typeEbEEZZNS1_14partition_implILS8_4ELb0ES6_15HIP_vector_typeIjLj2EENS0_17counting_iteratorIjlEEPS9_SG_NS0_5tupleIJPjSI_NS0_16reverse_iteratorISI_EEEEENSH_IJSG_SG_SG_EEES9_SI_JZNS1_25segmented_radix_sort_implINS0_14default_configELb0EPKfPfPKlPlN2at6native12_GLOBAL__N_18offset_tEEE10hipError_tPvRmT1_PNSt15iterator_traitsIS12_E10value_typeET2_T3_PNS13_IS18_E10value_typeET4_jRbjT5_S1E_jjP12ihipStream_tbEUljE_ZNSN_ISO_Lb0ESQ_SR_ST_SU_SY_EESZ_S10_S11_S12_S16_S17_S18_S1B_S1C_jS1D_jS1E_S1E_jjS1G_bEUljE0_EEESZ_S10_S11_S18_S1C_S1E_T6_T7_T9_mT8_S1G_bDpT10_ENKUlT_T0_E_clISt17integral_constantIbLb0EES1U_EEDaS1P_S1Q_EUlS1P_E_NS1_11comp_targetILNS1_3genE5ELNS1_11target_archE942ELNS1_3gpuE9ELNS1_3repE0EEENS1_30default_config_static_selectorELNS0_4arch9wavefront6targetE0EEEvS12_: ; @_ZN7rocprim17ROCPRIM_400000_NS6detail17trampoline_kernelINS0_13select_configILj256ELj13ELNS0_17block_load_methodE3ELS4_3ELS4_3ELNS0_20block_scan_algorithmE0ELj4294967295EEENS1_25partition_config_selectorILNS1_17partition_subalgoE4EjNS0_10empty_typeEbEEZZNS1_14partition_implILS8_4ELb0ES6_15HIP_vector_typeIjLj2EENS0_17counting_iteratorIjlEEPS9_SG_NS0_5tupleIJPjSI_NS0_16reverse_iteratorISI_EEEEENSH_IJSG_SG_SG_EEES9_SI_JZNS1_25segmented_radix_sort_implINS0_14default_configELb0EPKfPfPKlPlN2at6native12_GLOBAL__N_18offset_tEEE10hipError_tPvRmT1_PNSt15iterator_traitsIS12_E10value_typeET2_T3_PNS13_IS18_E10value_typeET4_jRbjT5_S1E_jjP12ihipStream_tbEUljE_ZNSN_ISO_Lb0ESQ_SR_ST_SU_SY_EESZ_S10_S11_S12_S16_S17_S18_S1B_S1C_jS1D_jS1E_S1E_jjS1G_bEUljE0_EEESZ_S10_S11_S18_S1C_S1E_T6_T7_T9_mT8_S1G_bDpT10_ENKUlT_T0_E_clISt17integral_constantIbLb0EES1U_EEDaS1P_S1Q_EUlS1P_E_NS1_11comp_targetILNS1_3genE5ELNS1_11target_archE942ELNS1_3gpuE9ELNS1_3repE0EEENS1_30default_config_static_selectorELNS0_4arch9wavefront6targetE0EEEvS12_
; %bb.0:
	.section	.rodata,"a",@progbits
	.p2align	6, 0x0
	.amdhsa_kernel _ZN7rocprim17ROCPRIM_400000_NS6detail17trampoline_kernelINS0_13select_configILj256ELj13ELNS0_17block_load_methodE3ELS4_3ELS4_3ELNS0_20block_scan_algorithmE0ELj4294967295EEENS1_25partition_config_selectorILNS1_17partition_subalgoE4EjNS0_10empty_typeEbEEZZNS1_14partition_implILS8_4ELb0ES6_15HIP_vector_typeIjLj2EENS0_17counting_iteratorIjlEEPS9_SG_NS0_5tupleIJPjSI_NS0_16reverse_iteratorISI_EEEEENSH_IJSG_SG_SG_EEES9_SI_JZNS1_25segmented_radix_sort_implINS0_14default_configELb0EPKfPfPKlPlN2at6native12_GLOBAL__N_18offset_tEEE10hipError_tPvRmT1_PNSt15iterator_traitsIS12_E10value_typeET2_T3_PNS13_IS18_E10value_typeET4_jRbjT5_S1E_jjP12ihipStream_tbEUljE_ZNSN_ISO_Lb0ESQ_SR_ST_SU_SY_EESZ_S10_S11_S12_S16_S17_S18_S1B_S1C_jS1D_jS1E_S1E_jjS1G_bEUljE0_EEESZ_S10_S11_S18_S1C_S1E_T6_T7_T9_mT8_S1G_bDpT10_ENKUlT_T0_E_clISt17integral_constantIbLb0EES1U_EEDaS1P_S1Q_EUlS1P_E_NS1_11comp_targetILNS1_3genE5ELNS1_11target_archE942ELNS1_3gpuE9ELNS1_3repE0EEENS1_30default_config_static_selectorELNS0_4arch9wavefront6targetE0EEEvS12_
		.amdhsa_group_segment_fixed_size 0
		.amdhsa_private_segment_fixed_size 0
		.amdhsa_kernarg_size 176
		.amdhsa_user_sgpr_count 6
		.amdhsa_user_sgpr_private_segment_buffer 1
		.amdhsa_user_sgpr_dispatch_ptr 0
		.amdhsa_user_sgpr_queue_ptr 0
		.amdhsa_user_sgpr_kernarg_segment_ptr 1
		.amdhsa_user_sgpr_dispatch_id 0
		.amdhsa_user_sgpr_flat_scratch_init 0
		.amdhsa_user_sgpr_private_segment_size 0
		.amdhsa_wavefront_size32 1
		.amdhsa_uses_dynamic_stack 0
		.amdhsa_system_sgpr_private_segment_wavefront_offset 0
		.amdhsa_system_sgpr_workgroup_id_x 1
		.amdhsa_system_sgpr_workgroup_id_y 0
		.amdhsa_system_sgpr_workgroup_id_z 0
		.amdhsa_system_sgpr_workgroup_info 0
		.amdhsa_system_vgpr_workitem_id 0
		.amdhsa_next_free_vgpr 1
		.amdhsa_next_free_sgpr 1
		.amdhsa_reserve_vcc 0
		.amdhsa_reserve_flat_scratch 0
		.amdhsa_float_round_mode_32 0
		.amdhsa_float_round_mode_16_64 0
		.amdhsa_float_denorm_mode_32 3
		.amdhsa_float_denorm_mode_16_64 3
		.amdhsa_dx10_clamp 1
		.amdhsa_ieee_mode 1
		.amdhsa_fp16_overflow 0
		.amdhsa_workgroup_processor_mode 1
		.amdhsa_memory_ordered 1
		.amdhsa_forward_progress 1
		.amdhsa_shared_vgpr_count 0
		.amdhsa_exception_fp_ieee_invalid_op 0
		.amdhsa_exception_fp_denorm_src 0
		.amdhsa_exception_fp_ieee_div_zero 0
		.amdhsa_exception_fp_ieee_overflow 0
		.amdhsa_exception_fp_ieee_underflow 0
		.amdhsa_exception_fp_ieee_inexact 0
		.amdhsa_exception_int_div_zero 0
	.end_amdhsa_kernel
	.section	.text._ZN7rocprim17ROCPRIM_400000_NS6detail17trampoline_kernelINS0_13select_configILj256ELj13ELNS0_17block_load_methodE3ELS4_3ELS4_3ELNS0_20block_scan_algorithmE0ELj4294967295EEENS1_25partition_config_selectorILNS1_17partition_subalgoE4EjNS0_10empty_typeEbEEZZNS1_14partition_implILS8_4ELb0ES6_15HIP_vector_typeIjLj2EENS0_17counting_iteratorIjlEEPS9_SG_NS0_5tupleIJPjSI_NS0_16reverse_iteratorISI_EEEEENSH_IJSG_SG_SG_EEES9_SI_JZNS1_25segmented_radix_sort_implINS0_14default_configELb0EPKfPfPKlPlN2at6native12_GLOBAL__N_18offset_tEEE10hipError_tPvRmT1_PNSt15iterator_traitsIS12_E10value_typeET2_T3_PNS13_IS18_E10value_typeET4_jRbjT5_S1E_jjP12ihipStream_tbEUljE_ZNSN_ISO_Lb0ESQ_SR_ST_SU_SY_EESZ_S10_S11_S12_S16_S17_S18_S1B_S1C_jS1D_jS1E_S1E_jjS1G_bEUljE0_EEESZ_S10_S11_S18_S1C_S1E_T6_T7_T9_mT8_S1G_bDpT10_ENKUlT_T0_E_clISt17integral_constantIbLb0EES1U_EEDaS1P_S1Q_EUlS1P_E_NS1_11comp_targetILNS1_3genE5ELNS1_11target_archE942ELNS1_3gpuE9ELNS1_3repE0EEENS1_30default_config_static_selectorELNS0_4arch9wavefront6targetE0EEEvS12_,"axG",@progbits,_ZN7rocprim17ROCPRIM_400000_NS6detail17trampoline_kernelINS0_13select_configILj256ELj13ELNS0_17block_load_methodE3ELS4_3ELS4_3ELNS0_20block_scan_algorithmE0ELj4294967295EEENS1_25partition_config_selectorILNS1_17partition_subalgoE4EjNS0_10empty_typeEbEEZZNS1_14partition_implILS8_4ELb0ES6_15HIP_vector_typeIjLj2EENS0_17counting_iteratorIjlEEPS9_SG_NS0_5tupleIJPjSI_NS0_16reverse_iteratorISI_EEEEENSH_IJSG_SG_SG_EEES9_SI_JZNS1_25segmented_radix_sort_implINS0_14default_configELb0EPKfPfPKlPlN2at6native12_GLOBAL__N_18offset_tEEE10hipError_tPvRmT1_PNSt15iterator_traitsIS12_E10value_typeET2_T3_PNS13_IS18_E10value_typeET4_jRbjT5_S1E_jjP12ihipStream_tbEUljE_ZNSN_ISO_Lb0ESQ_SR_ST_SU_SY_EESZ_S10_S11_S12_S16_S17_S18_S1B_S1C_jS1D_jS1E_S1E_jjS1G_bEUljE0_EEESZ_S10_S11_S18_S1C_S1E_T6_T7_T9_mT8_S1G_bDpT10_ENKUlT_T0_E_clISt17integral_constantIbLb0EES1U_EEDaS1P_S1Q_EUlS1P_E_NS1_11comp_targetILNS1_3genE5ELNS1_11target_archE942ELNS1_3gpuE9ELNS1_3repE0EEENS1_30default_config_static_selectorELNS0_4arch9wavefront6targetE0EEEvS12_,comdat
.Lfunc_end1357:
	.size	_ZN7rocprim17ROCPRIM_400000_NS6detail17trampoline_kernelINS0_13select_configILj256ELj13ELNS0_17block_load_methodE3ELS4_3ELS4_3ELNS0_20block_scan_algorithmE0ELj4294967295EEENS1_25partition_config_selectorILNS1_17partition_subalgoE4EjNS0_10empty_typeEbEEZZNS1_14partition_implILS8_4ELb0ES6_15HIP_vector_typeIjLj2EENS0_17counting_iteratorIjlEEPS9_SG_NS0_5tupleIJPjSI_NS0_16reverse_iteratorISI_EEEEENSH_IJSG_SG_SG_EEES9_SI_JZNS1_25segmented_radix_sort_implINS0_14default_configELb0EPKfPfPKlPlN2at6native12_GLOBAL__N_18offset_tEEE10hipError_tPvRmT1_PNSt15iterator_traitsIS12_E10value_typeET2_T3_PNS13_IS18_E10value_typeET4_jRbjT5_S1E_jjP12ihipStream_tbEUljE_ZNSN_ISO_Lb0ESQ_SR_ST_SU_SY_EESZ_S10_S11_S12_S16_S17_S18_S1B_S1C_jS1D_jS1E_S1E_jjS1G_bEUljE0_EEESZ_S10_S11_S18_S1C_S1E_T6_T7_T9_mT8_S1G_bDpT10_ENKUlT_T0_E_clISt17integral_constantIbLb0EES1U_EEDaS1P_S1Q_EUlS1P_E_NS1_11comp_targetILNS1_3genE5ELNS1_11target_archE942ELNS1_3gpuE9ELNS1_3repE0EEENS1_30default_config_static_selectorELNS0_4arch9wavefront6targetE0EEEvS12_, .Lfunc_end1357-_ZN7rocprim17ROCPRIM_400000_NS6detail17trampoline_kernelINS0_13select_configILj256ELj13ELNS0_17block_load_methodE3ELS4_3ELS4_3ELNS0_20block_scan_algorithmE0ELj4294967295EEENS1_25partition_config_selectorILNS1_17partition_subalgoE4EjNS0_10empty_typeEbEEZZNS1_14partition_implILS8_4ELb0ES6_15HIP_vector_typeIjLj2EENS0_17counting_iteratorIjlEEPS9_SG_NS0_5tupleIJPjSI_NS0_16reverse_iteratorISI_EEEEENSH_IJSG_SG_SG_EEES9_SI_JZNS1_25segmented_radix_sort_implINS0_14default_configELb0EPKfPfPKlPlN2at6native12_GLOBAL__N_18offset_tEEE10hipError_tPvRmT1_PNSt15iterator_traitsIS12_E10value_typeET2_T3_PNS13_IS18_E10value_typeET4_jRbjT5_S1E_jjP12ihipStream_tbEUljE_ZNSN_ISO_Lb0ESQ_SR_ST_SU_SY_EESZ_S10_S11_S12_S16_S17_S18_S1B_S1C_jS1D_jS1E_S1E_jjS1G_bEUljE0_EEESZ_S10_S11_S18_S1C_S1E_T6_T7_T9_mT8_S1G_bDpT10_ENKUlT_T0_E_clISt17integral_constantIbLb0EES1U_EEDaS1P_S1Q_EUlS1P_E_NS1_11comp_targetILNS1_3genE5ELNS1_11target_archE942ELNS1_3gpuE9ELNS1_3repE0EEENS1_30default_config_static_selectorELNS0_4arch9wavefront6targetE0EEEvS12_
                                        ; -- End function
	.set _ZN7rocprim17ROCPRIM_400000_NS6detail17trampoline_kernelINS0_13select_configILj256ELj13ELNS0_17block_load_methodE3ELS4_3ELS4_3ELNS0_20block_scan_algorithmE0ELj4294967295EEENS1_25partition_config_selectorILNS1_17partition_subalgoE4EjNS0_10empty_typeEbEEZZNS1_14partition_implILS8_4ELb0ES6_15HIP_vector_typeIjLj2EENS0_17counting_iteratorIjlEEPS9_SG_NS0_5tupleIJPjSI_NS0_16reverse_iteratorISI_EEEEENSH_IJSG_SG_SG_EEES9_SI_JZNS1_25segmented_radix_sort_implINS0_14default_configELb0EPKfPfPKlPlN2at6native12_GLOBAL__N_18offset_tEEE10hipError_tPvRmT1_PNSt15iterator_traitsIS12_E10value_typeET2_T3_PNS13_IS18_E10value_typeET4_jRbjT5_S1E_jjP12ihipStream_tbEUljE_ZNSN_ISO_Lb0ESQ_SR_ST_SU_SY_EESZ_S10_S11_S12_S16_S17_S18_S1B_S1C_jS1D_jS1E_S1E_jjS1G_bEUljE0_EEESZ_S10_S11_S18_S1C_S1E_T6_T7_T9_mT8_S1G_bDpT10_ENKUlT_T0_E_clISt17integral_constantIbLb0EES1U_EEDaS1P_S1Q_EUlS1P_E_NS1_11comp_targetILNS1_3genE5ELNS1_11target_archE942ELNS1_3gpuE9ELNS1_3repE0EEENS1_30default_config_static_selectorELNS0_4arch9wavefront6targetE0EEEvS12_.num_vgpr, 0
	.set _ZN7rocprim17ROCPRIM_400000_NS6detail17trampoline_kernelINS0_13select_configILj256ELj13ELNS0_17block_load_methodE3ELS4_3ELS4_3ELNS0_20block_scan_algorithmE0ELj4294967295EEENS1_25partition_config_selectorILNS1_17partition_subalgoE4EjNS0_10empty_typeEbEEZZNS1_14partition_implILS8_4ELb0ES6_15HIP_vector_typeIjLj2EENS0_17counting_iteratorIjlEEPS9_SG_NS0_5tupleIJPjSI_NS0_16reverse_iteratorISI_EEEEENSH_IJSG_SG_SG_EEES9_SI_JZNS1_25segmented_radix_sort_implINS0_14default_configELb0EPKfPfPKlPlN2at6native12_GLOBAL__N_18offset_tEEE10hipError_tPvRmT1_PNSt15iterator_traitsIS12_E10value_typeET2_T3_PNS13_IS18_E10value_typeET4_jRbjT5_S1E_jjP12ihipStream_tbEUljE_ZNSN_ISO_Lb0ESQ_SR_ST_SU_SY_EESZ_S10_S11_S12_S16_S17_S18_S1B_S1C_jS1D_jS1E_S1E_jjS1G_bEUljE0_EEESZ_S10_S11_S18_S1C_S1E_T6_T7_T9_mT8_S1G_bDpT10_ENKUlT_T0_E_clISt17integral_constantIbLb0EES1U_EEDaS1P_S1Q_EUlS1P_E_NS1_11comp_targetILNS1_3genE5ELNS1_11target_archE942ELNS1_3gpuE9ELNS1_3repE0EEENS1_30default_config_static_selectorELNS0_4arch9wavefront6targetE0EEEvS12_.num_agpr, 0
	.set _ZN7rocprim17ROCPRIM_400000_NS6detail17trampoline_kernelINS0_13select_configILj256ELj13ELNS0_17block_load_methodE3ELS4_3ELS4_3ELNS0_20block_scan_algorithmE0ELj4294967295EEENS1_25partition_config_selectorILNS1_17partition_subalgoE4EjNS0_10empty_typeEbEEZZNS1_14partition_implILS8_4ELb0ES6_15HIP_vector_typeIjLj2EENS0_17counting_iteratorIjlEEPS9_SG_NS0_5tupleIJPjSI_NS0_16reverse_iteratorISI_EEEEENSH_IJSG_SG_SG_EEES9_SI_JZNS1_25segmented_radix_sort_implINS0_14default_configELb0EPKfPfPKlPlN2at6native12_GLOBAL__N_18offset_tEEE10hipError_tPvRmT1_PNSt15iterator_traitsIS12_E10value_typeET2_T3_PNS13_IS18_E10value_typeET4_jRbjT5_S1E_jjP12ihipStream_tbEUljE_ZNSN_ISO_Lb0ESQ_SR_ST_SU_SY_EESZ_S10_S11_S12_S16_S17_S18_S1B_S1C_jS1D_jS1E_S1E_jjS1G_bEUljE0_EEESZ_S10_S11_S18_S1C_S1E_T6_T7_T9_mT8_S1G_bDpT10_ENKUlT_T0_E_clISt17integral_constantIbLb0EES1U_EEDaS1P_S1Q_EUlS1P_E_NS1_11comp_targetILNS1_3genE5ELNS1_11target_archE942ELNS1_3gpuE9ELNS1_3repE0EEENS1_30default_config_static_selectorELNS0_4arch9wavefront6targetE0EEEvS12_.numbered_sgpr, 0
	.set _ZN7rocprim17ROCPRIM_400000_NS6detail17trampoline_kernelINS0_13select_configILj256ELj13ELNS0_17block_load_methodE3ELS4_3ELS4_3ELNS0_20block_scan_algorithmE0ELj4294967295EEENS1_25partition_config_selectorILNS1_17partition_subalgoE4EjNS0_10empty_typeEbEEZZNS1_14partition_implILS8_4ELb0ES6_15HIP_vector_typeIjLj2EENS0_17counting_iteratorIjlEEPS9_SG_NS0_5tupleIJPjSI_NS0_16reverse_iteratorISI_EEEEENSH_IJSG_SG_SG_EEES9_SI_JZNS1_25segmented_radix_sort_implINS0_14default_configELb0EPKfPfPKlPlN2at6native12_GLOBAL__N_18offset_tEEE10hipError_tPvRmT1_PNSt15iterator_traitsIS12_E10value_typeET2_T3_PNS13_IS18_E10value_typeET4_jRbjT5_S1E_jjP12ihipStream_tbEUljE_ZNSN_ISO_Lb0ESQ_SR_ST_SU_SY_EESZ_S10_S11_S12_S16_S17_S18_S1B_S1C_jS1D_jS1E_S1E_jjS1G_bEUljE0_EEESZ_S10_S11_S18_S1C_S1E_T6_T7_T9_mT8_S1G_bDpT10_ENKUlT_T0_E_clISt17integral_constantIbLb0EES1U_EEDaS1P_S1Q_EUlS1P_E_NS1_11comp_targetILNS1_3genE5ELNS1_11target_archE942ELNS1_3gpuE9ELNS1_3repE0EEENS1_30default_config_static_selectorELNS0_4arch9wavefront6targetE0EEEvS12_.num_named_barrier, 0
	.set _ZN7rocprim17ROCPRIM_400000_NS6detail17trampoline_kernelINS0_13select_configILj256ELj13ELNS0_17block_load_methodE3ELS4_3ELS4_3ELNS0_20block_scan_algorithmE0ELj4294967295EEENS1_25partition_config_selectorILNS1_17partition_subalgoE4EjNS0_10empty_typeEbEEZZNS1_14partition_implILS8_4ELb0ES6_15HIP_vector_typeIjLj2EENS0_17counting_iteratorIjlEEPS9_SG_NS0_5tupleIJPjSI_NS0_16reverse_iteratorISI_EEEEENSH_IJSG_SG_SG_EEES9_SI_JZNS1_25segmented_radix_sort_implINS0_14default_configELb0EPKfPfPKlPlN2at6native12_GLOBAL__N_18offset_tEEE10hipError_tPvRmT1_PNSt15iterator_traitsIS12_E10value_typeET2_T3_PNS13_IS18_E10value_typeET4_jRbjT5_S1E_jjP12ihipStream_tbEUljE_ZNSN_ISO_Lb0ESQ_SR_ST_SU_SY_EESZ_S10_S11_S12_S16_S17_S18_S1B_S1C_jS1D_jS1E_S1E_jjS1G_bEUljE0_EEESZ_S10_S11_S18_S1C_S1E_T6_T7_T9_mT8_S1G_bDpT10_ENKUlT_T0_E_clISt17integral_constantIbLb0EES1U_EEDaS1P_S1Q_EUlS1P_E_NS1_11comp_targetILNS1_3genE5ELNS1_11target_archE942ELNS1_3gpuE9ELNS1_3repE0EEENS1_30default_config_static_selectorELNS0_4arch9wavefront6targetE0EEEvS12_.private_seg_size, 0
	.set _ZN7rocprim17ROCPRIM_400000_NS6detail17trampoline_kernelINS0_13select_configILj256ELj13ELNS0_17block_load_methodE3ELS4_3ELS4_3ELNS0_20block_scan_algorithmE0ELj4294967295EEENS1_25partition_config_selectorILNS1_17partition_subalgoE4EjNS0_10empty_typeEbEEZZNS1_14partition_implILS8_4ELb0ES6_15HIP_vector_typeIjLj2EENS0_17counting_iteratorIjlEEPS9_SG_NS0_5tupleIJPjSI_NS0_16reverse_iteratorISI_EEEEENSH_IJSG_SG_SG_EEES9_SI_JZNS1_25segmented_radix_sort_implINS0_14default_configELb0EPKfPfPKlPlN2at6native12_GLOBAL__N_18offset_tEEE10hipError_tPvRmT1_PNSt15iterator_traitsIS12_E10value_typeET2_T3_PNS13_IS18_E10value_typeET4_jRbjT5_S1E_jjP12ihipStream_tbEUljE_ZNSN_ISO_Lb0ESQ_SR_ST_SU_SY_EESZ_S10_S11_S12_S16_S17_S18_S1B_S1C_jS1D_jS1E_S1E_jjS1G_bEUljE0_EEESZ_S10_S11_S18_S1C_S1E_T6_T7_T9_mT8_S1G_bDpT10_ENKUlT_T0_E_clISt17integral_constantIbLb0EES1U_EEDaS1P_S1Q_EUlS1P_E_NS1_11comp_targetILNS1_3genE5ELNS1_11target_archE942ELNS1_3gpuE9ELNS1_3repE0EEENS1_30default_config_static_selectorELNS0_4arch9wavefront6targetE0EEEvS12_.uses_vcc, 0
	.set _ZN7rocprim17ROCPRIM_400000_NS6detail17trampoline_kernelINS0_13select_configILj256ELj13ELNS0_17block_load_methodE3ELS4_3ELS4_3ELNS0_20block_scan_algorithmE0ELj4294967295EEENS1_25partition_config_selectorILNS1_17partition_subalgoE4EjNS0_10empty_typeEbEEZZNS1_14partition_implILS8_4ELb0ES6_15HIP_vector_typeIjLj2EENS0_17counting_iteratorIjlEEPS9_SG_NS0_5tupleIJPjSI_NS0_16reverse_iteratorISI_EEEEENSH_IJSG_SG_SG_EEES9_SI_JZNS1_25segmented_radix_sort_implINS0_14default_configELb0EPKfPfPKlPlN2at6native12_GLOBAL__N_18offset_tEEE10hipError_tPvRmT1_PNSt15iterator_traitsIS12_E10value_typeET2_T3_PNS13_IS18_E10value_typeET4_jRbjT5_S1E_jjP12ihipStream_tbEUljE_ZNSN_ISO_Lb0ESQ_SR_ST_SU_SY_EESZ_S10_S11_S12_S16_S17_S18_S1B_S1C_jS1D_jS1E_S1E_jjS1G_bEUljE0_EEESZ_S10_S11_S18_S1C_S1E_T6_T7_T9_mT8_S1G_bDpT10_ENKUlT_T0_E_clISt17integral_constantIbLb0EES1U_EEDaS1P_S1Q_EUlS1P_E_NS1_11comp_targetILNS1_3genE5ELNS1_11target_archE942ELNS1_3gpuE9ELNS1_3repE0EEENS1_30default_config_static_selectorELNS0_4arch9wavefront6targetE0EEEvS12_.uses_flat_scratch, 0
	.set _ZN7rocprim17ROCPRIM_400000_NS6detail17trampoline_kernelINS0_13select_configILj256ELj13ELNS0_17block_load_methodE3ELS4_3ELS4_3ELNS0_20block_scan_algorithmE0ELj4294967295EEENS1_25partition_config_selectorILNS1_17partition_subalgoE4EjNS0_10empty_typeEbEEZZNS1_14partition_implILS8_4ELb0ES6_15HIP_vector_typeIjLj2EENS0_17counting_iteratorIjlEEPS9_SG_NS0_5tupleIJPjSI_NS0_16reverse_iteratorISI_EEEEENSH_IJSG_SG_SG_EEES9_SI_JZNS1_25segmented_radix_sort_implINS0_14default_configELb0EPKfPfPKlPlN2at6native12_GLOBAL__N_18offset_tEEE10hipError_tPvRmT1_PNSt15iterator_traitsIS12_E10value_typeET2_T3_PNS13_IS18_E10value_typeET4_jRbjT5_S1E_jjP12ihipStream_tbEUljE_ZNSN_ISO_Lb0ESQ_SR_ST_SU_SY_EESZ_S10_S11_S12_S16_S17_S18_S1B_S1C_jS1D_jS1E_S1E_jjS1G_bEUljE0_EEESZ_S10_S11_S18_S1C_S1E_T6_T7_T9_mT8_S1G_bDpT10_ENKUlT_T0_E_clISt17integral_constantIbLb0EES1U_EEDaS1P_S1Q_EUlS1P_E_NS1_11comp_targetILNS1_3genE5ELNS1_11target_archE942ELNS1_3gpuE9ELNS1_3repE0EEENS1_30default_config_static_selectorELNS0_4arch9wavefront6targetE0EEEvS12_.has_dyn_sized_stack, 0
	.set _ZN7rocprim17ROCPRIM_400000_NS6detail17trampoline_kernelINS0_13select_configILj256ELj13ELNS0_17block_load_methodE3ELS4_3ELS4_3ELNS0_20block_scan_algorithmE0ELj4294967295EEENS1_25partition_config_selectorILNS1_17partition_subalgoE4EjNS0_10empty_typeEbEEZZNS1_14partition_implILS8_4ELb0ES6_15HIP_vector_typeIjLj2EENS0_17counting_iteratorIjlEEPS9_SG_NS0_5tupleIJPjSI_NS0_16reverse_iteratorISI_EEEEENSH_IJSG_SG_SG_EEES9_SI_JZNS1_25segmented_radix_sort_implINS0_14default_configELb0EPKfPfPKlPlN2at6native12_GLOBAL__N_18offset_tEEE10hipError_tPvRmT1_PNSt15iterator_traitsIS12_E10value_typeET2_T3_PNS13_IS18_E10value_typeET4_jRbjT5_S1E_jjP12ihipStream_tbEUljE_ZNSN_ISO_Lb0ESQ_SR_ST_SU_SY_EESZ_S10_S11_S12_S16_S17_S18_S1B_S1C_jS1D_jS1E_S1E_jjS1G_bEUljE0_EEESZ_S10_S11_S18_S1C_S1E_T6_T7_T9_mT8_S1G_bDpT10_ENKUlT_T0_E_clISt17integral_constantIbLb0EES1U_EEDaS1P_S1Q_EUlS1P_E_NS1_11comp_targetILNS1_3genE5ELNS1_11target_archE942ELNS1_3gpuE9ELNS1_3repE0EEENS1_30default_config_static_selectorELNS0_4arch9wavefront6targetE0EEEvS12_.has_recursion, 0
	.set _ZN7rocprim17ROCPRIM_400000_NS6detail17trampoline_kernelINS0_13select_configILj256ELj13ELNS0_17block_load_methodE3ELS4_3ELS4_3ELNS0_20block_scan_algorithmE0ELj4294967295EEENS1_25partition_config_selectorILNS1_17partition_subalgoE4EjNS0_10empty_typeEbEEZZNS1_14partition_implILS8_4ELb0ES6_15HIP_vector_typeIjLj2EENS0_17counting_iteratorIjlEEPS9_SG_NS0_5tupleIJPjSI_NS0_16reverse_iteratorISI_EEEEENSH_IJSG_SG_SG_EEES9_SI_JZNS1_25segmented_radix_sort_implINS0_14default_configELb0EPKfPfPKlPlN2at6native12_GLOBAL__N_18offset_tEEE10hipError_tPvRmT1_PNSt15iterator_traitsIS12_E10value_typeET2_T3_PNS13_IS18_E10value_typeET4_jRbjT5_S1E_jjP12ihipStream_tbEUljE_ZNSN_ISO_Lb0ESQ_SR_ST_SU_SY_EESZ_S10_S11_S12_S16_S17_S18_S1B_S1C_jS1D_jS1E_S1E_jjS1G_bEUljE0_EEESZ_S10_S11_S18_S1C_S1E_T6_T7_T9_mT8_S1G_bDpT10_ENKUlT_T0_E_clISt17integral_constantIbLb0EES1U_EEDaS1P_S1Q_EUlS1P_E_NS1_11comp_targetILNS1_3genE5ELNS1_11target_archE942ELNS1_3gpuE9ELNS1_3repE0EEENS1_30default_config_static_selectorELNS0_4arch9wavefront6targetE0EEEvS12_.has_indirect_call, 0
	.section	.AMDGPU.csdata,"",@progbits
; Kernel info:
; codeLenInByte = 0
; TotalNumSgprs: 0
; NumVgprs: 0
; ScratchSize: 0
; MemoryBound: 0
; FloatMode: 240
; IeeeMode: 1
; LDSByteSize: 0 bytes/workgroup (compile time only)
; SGPRBlocks: 0
; VGPRBlocks: 0
; NumSGPRsForWavesPerEU: 1
; NumVGPRsForWavesPerEU: 1
; Occupancy: 16
; WaveLimiterHint : 0
; COMPUTE_PGM_RSRC2:SCRATCH_EN: 0
; COMPUTE_PGM_RSRC2:USER_SGPR: 6
; COMPUTE_PGM_RSRC2:TRAP_HANDLER: 0
; COMPUTE_PGM_RSRC2:TGID_X_EN: 1
; COMPUTE_PGM_RSRC2:TGID_Y_EN: 0
; COMPUTE_PGM_RSRC2:TGID_Z_EN: 0
; COMPUTE_PGM_RSRC2:TIDIG_COMP_CNT: 0
	.section	.text._ZN7rocprim17ROCPRIM_400000_NS6detail17trampoline_kernelINS0_13select_configILj256ELj13ELNS0_17block_load_methodE3ELS4_3ELS4_3ELNS0_20block_scan_algorithmE0ELj4294967295EEENS1_25partition_config_selectorILNS1_17partition_subalgoE4EjNS0_10empty_typeEbEEZZNS1_14partition_implILS8_4ELb0ES6_15HIP_vector_typeIjLj2EENS0_17counting_iteratorIjlEEPS9_SG_NS0_5tupleIJPjSI_NS0_16reverse_iteratorISI_EEEEENSH_IJSG_SG_SG_EEES9_SI_JZNS1_25segmented_radix_sort_implINS0_14default_configELb0EPKfPfPKlPlN2at6native12_GLOBAL__N_18offset_tEEE10hipError_tPvRmT1_PNSt15iterator_traitsIS12_E10value_typeET2_T3_PNS13_IS18_E10value_typeET4_jRbjT5_S1E_jjP12ihipStream_tbEUljE_ZNSN_ISO_Lb0ESQ_SR_ST_SU_SY_EESZ_S10_S11_S12_S16_S17_S18_S1B_S1C_jS1D_jS1E_S1E_jjS1G_bEUljE0_EEESZ_S10_S11_S18_S1C_S1E_T6_T7_T9_mT8_S1G_bDpT10_ENKUlT_T0_E_clISt17integral_constantIbLb0EES1U_EEDaS1P_S1Q_EUlS1P_E_NS1_11comp_targetILNS1_3genE4ELNS1_11target_archE910ELNS1_3gpuE8ELNS1_3repE0EEENS1_30default_config_static_selectorELNS0_4arch9wavefront6targetE0EEEvS12_,"axG",@progbits,_ZN7rocprim17ROCPRIM_400000_NS6detail17trampoline_kernelINS0_13select_configILj256ELj13ELNS0_17block_load_methodE3ELS4_3ELS4_3ELNS0_20block_scan_algorithmE0ELj4294967295EEENS1_25partition_config_selectorILNS1_17partition_subalgoE4EjNS0_10empty_typeEbEEZZNS1_14partition_implILS8_4ELb0ES6_15HIP_vector_typeIjLj2EENS0_17counting_iteratorIjlEEPS9_SG_NS0_5tupleIJPjSI_NS0_16reverse_iteratorISI_EEEEENSH_IJSG_SG_SG_EEES9_SI_JZNS1_25segmented_radix_sort_implINS0_14default_configELb0EPKfPfPKlPlN2at6native12_GLOBAL__N_18offset_tEEE10hipError_tPvRmT1_PNSt15iterator_traitsIS12_E10value_typeET2_T3_PNS13_IS18_E10value_typeET4_jRbjT5_S1E_jjP12ihipStream_tbEUljE_ZNSN_ISO_Lb0ESQ_SR_ST_SU_SY_EESZ_S10_S11_S12_S16_S17_S18_S1B_S1C_jS1D_jS1E_S1E_jjS1G_bEUljE0_EEESZ_S10_S11_S18_S1C_S1E_T6_T7_T9_mT8_S1G_bDpT10_ENKUlT_T0_E_clISt17integral_constantIbLb0EES1U_EEDaS1P_S1Q_EUlS1P_E_NS1_11comp_targetILNS1_3genE4ELNS1_11target_archE910ELNS1_3gpuE8ELNS1_3repE0EEENS1_30default_config_static_selectorELNS0_4arch9wavefront6targetE0EEEvS12_,comdat
	.globl	_ZN7rocprim17ROCPRIM_400000_NS6detail17trampoline_kernelINS0_13select_configILj256ELj13ELNS0_17block_load_methodE3ELS4_3ELS4_3ELNS0_20block_scan_algorithmE0ELj4294967295EEENS1_25partition_config_selectorILNS1_17partition_subalgoE4EjNS0_10empty_typeEbEEZZNS1_14partition_implILS8_4ELb0ES6_15HIP_vector_typeIjLj2EENS0_17counting_iteratorIjlEEPS9_SG_NS0_5tupleIJPjSI_NS0_16reverse_iteratorISI_EEEEENSH_IJSG_SG_SG_EEES9_SI_JZNS1_25segmented_radix_sort_implINS0_14default_configELb0EPKfPfPKlPlN2at6native12_GLOBAL__N_18offset_tEEE10hipError_tPvRmT1_PNSt15iterator_traitsIS12_E10value_typeET2_T3_PNS13_IS18_E10value_typeET4_jRbjT5_S1E_jjP12ihipStream_tbEUljE_ZNSN_ISO_Lb0ESQ_SR_ST_SU_SY_EESZ_S10_S11_S12_S16_S17_S18_S1B_S1C_jS1D_jS1E_S1E_jjS1G_bEUljE0_EEESZ_S10_S11_S18_S1C_S1E_T6_T7_T9_mT8_S1G_bDpT10_ENKUlT_T0_E_clISt17integral_constantIbLb0EES1U_EEDaS1P_S1Q_EUlS1P_E_NS1_11comp_targetILNS1_3genE4ELNS1_11target_archE910ELNS1_3gpuE8ELNS1_3repE0EEENS1_30default_config_static_selectorELNS0_4arch9wavefront6targetE0EEEvS12_ ; -- Begin function _ZN7rocprim17ROCPRIM_400000_NS6detail17trampoline_kernelINS0_13select_configILj256ELj13ELNS0_17block_load_methodE3ELS4_3ELS4_3ELNS0_20block_scan_algorithmE0ELj4294967295EEENS1_25partition_config_selectorILNS1_17partition_subalgoE4EjNS0_10empty_typeEbEEZZNS1_14partition_implILS8_4ELb0ES6_15HIP_vector_typeIjLj2EENS0_17counting_iteratorIjlEEPS9_SG_NS0_5tupleIJPjSI_NS0_16reverse_iteratorISI_EEEEENSH_IJSG_SG_SG_EEES9_SI_JZNS1_25segmented_radix_sort_implINS0_14default_configELb0EPKfPfPKlPlN2at6native12_GLOBAL__N_18offset_tEEE10hipError_tPvRmT1_PNSt15iterator_traitsIS12_E10value_typeET2_T3_PNS13_IS18_E10value_typeET4_jRbjT5_S1E_jjP12ihipStream_tbEUljE_ZNSN_ISO_Lb0ESQ_SR_ST_SU_SY_EESZ_S10_S11_S12_S16_S17_S18_S1B_S1C_jS1D_jS1E_S1E_jjS1G_bEUljE0_EEESZ_S10_S11_S18_S1C_S1E_T6_T7_T9_mT8_S1G_bDpT10_ENKUlT_T0_E_clISt17integral_constantIbLb0EES1U_EEDaS1P_S1Q_EUlS1P_E_NS1_11comp_targetILNS1_3genE4ELNS1_11target_archE910ELNS1_3gpuE8ELNS1_3repE0EEENS1_30default_config_static_selectorELNS0_4arch9wavefront6targetE0EEEvS12_
	.p2align	8
	.type	_ZN7rocprim17ROCPRIM_400000_NS6detail17trampoline_kernelINS0_13select_configILj256ELj13ELNS0_17block_load_methodE3ELS4_3ELS4_3ELNS0_20block_scan_algorithmE0ELj4294967295EEENS1_25partition_config_selectorILNS1_17partition_subalgoE4EjNS0_10empty_typeEbEEZZNS1_14partition_implILS8_4ELb0ES6_15HIP_vector_typeIjLj2EENS0_17counting_iteratorIjlEEPS9_SG_NS0_5tupleIJPjSI_NS0_16reverse_iteratorISI_EEEEENSH_IJSG_SG_SG_EEES9_SI_JZNS1_25segmented_radix_sort_implINS0_14default_configELb0EPKfPfPKlPlN2at6native12_GLOBAL__N_18offset_tEEE10hipError_tPvRmT1_PNSt15iterator_traitsIS12_E10value_typeET2_T3_PNS13_IS18_E10value_typeET4_jRbjT5_S1E_jjP12ihipStream_tbEUljE_ZNSN_ISO_Lb0ESQ_SR_ST_SU_SY_EESZ_S10_S11_S12_S16_S17_S18_S1B_S1C_jS1D_jS1E_S1E_jjS1G_bEUljE0_EEESZ_S10_S11_S18_S1C_S1E_T6_T7_T9_mT8_S1G_bDpT10_ENKUlT_T0_E_clISt17integral_constantIbLb0EES1U_EEDaS1P_S1Q_EUlS1P_E_NS1_11comp_targetILNS1_3genE4ELNS1_11target_archE910ELNS1_3gpuE8ELNS1_3repE0EEENS1_30default_config_static_selectorELNS0_4arch9wavefront6targetE0EEEvS12_,@function
_ZN7rocprim17ROCPRIM_400000_NS6detail17trampoline_kernelINS0_13select_configILj256ELj13ELNS0_17block_load_methodE3ELS4_3ELS4_3ELNS0_20block_scan_algorithmE0ELj4294967295EEENS1_25partition_config_selectorILNS1_17partition_subalgoE4EjNS0_10empty_typeEbEEZZNS1_14partition_implILS8_4ELb0ES6_15HIP_vector_typeIjLj2EENS0_17counting_iteratorIjlEEPS9_SG_NS0_5tupleIJPjSI_NS0_16reverse_iteratorISI_EEEEENSH_IJSG_SG_SG_EEES9_SI_JZNS1_25segmented_radix_sort_implINS0_14default_configELb0EPKfPfPKlPlN2at6native12_GLOBAL__N_18offset_tEEE10hipError_tPvRmT1_PNSt15iterator_traitsIS12_E10value_typeET2_T3_PNS13_IS18_E10value_typeET4_jRbjT5_S1E_jjP12ihipStream_tbEUljE_ZNSN_ISO_Lb0ESQ_SR_ST_SU_SY_EESZ_S10_S11_S12_S16_S17_S18_S1B_S1C_jS1D_jS1E_S1E_jjS1G_bEUljE0_EEESZ_S10_S11_S18_S1C_S1E_T6_T7_T9_mT8_S1G_bDpT10_ENKUlT_T0_E_clISt17integral_constantIbLb0EES1U_EEDaS1P_S1Q_EUlS1P_E_NS1_11comp_targetILNS1_3genE4ELNS1_11target_archE910ELNS1_3gpuE8ELNS1_3repE0EEENS1_30default_config_static_selectorELNS0_4arch9wavefront6targetE0EEEvS12_: ; @_ZN7rocprim17ROCPRIM_400000_NS6detail17trampoline_kernelINS0_13select_configILj256ELj13ELNS0_17block_load_methodE3ELS4_3ELS4_3ELNS0_20block_scan_algorithmE0ELj4294967295EEENS1_25partition_config_selectorILNS1_17partition_subalgoE4EjNS0_10empty_typeEbEEZZNS1_14partition_implILS8_4ELb0ES6_15HIP_vector_typeIjLj2EENS0_17counting_iteratorIjlEEPS9_SG_NS0_5tupleIJPjSI_NS0_16reverse_iteratorISI_EEEEENSH_IJSG_SG_SG_EEES9_SI_JZNS1_25segmented_radix_sort_implINS0_14default_configELb0EPKfPfPKlPlN2at6native12_GLOBAL__N_18offset_tEEE10hipError_tPvRmT1_PNSt15iterator_traitsIS12_E10value_typeET2_T3_PNS13_IS18_E10value_typeET4_jRbjT5_S1E_jjP12ihipStream_tbEUljE_ZNSN_ISO_Lb0ESQ_SR_ST_SU_SY_EESZ_S10_S11_S12_S16_S17_S18_S1B_S1C_jS1D_jS1E_S1E_jjS1G_bEUljE0_EEESZ_S10_S11_S18_S1C_S1E_T6_T7_T9_mT8_S1G_bDpT10_ENKUlT_T0_E_clISt17integral_constantIbLb0EES1U_EEDaS1P_S1Q_EUlS1P_E_NS1_11comp_targetILNS1_3genE4ELNS1_11target_archE910ELNS1_3gpuE8ELNS1_3repE0EEENS1_30default_config_static_selectorELNS0_4arch9wavefront6targetE0EEEvS12_
; %bb.0:
	.section	.rodata,"a",@progbits
	.p2align	6, 0x0
	.amdhsa_kernel _ZN7rocprim17ROCPRIM_400000_NS6detail17trampoline_kernelINS0_13select_configILj256ELj13ELNS0_17block_load_methodE3ELS4_3ELS4_3ELNS0_20block_scan_algorithmE0ELj4294967295EEENS1_25partition_config_selectorILNS1_17partition_subalgoE4EjNS0_10empty_typeEbEEZZNS1_14partition_implILS8_4ELb0ES6_15HIP_vector_typeIjLj2EENS0_17counting_iteratorIjlEEPS9_SG_NS0_5tupleIJPjSI_NS0_16reverse_iteratorISI_EEEEENSH_IJSG_SG_SG_EEES9_SI_JZNS1_25segmented_radix_sort_implINS0_14default_configELb0EPKfPfPKlPlN2at6native12_GLOBAL__N_18offset_tEEE10hipError_tPvRmT1_PNSt15iterator_traitsIS12_E10value_typeET2_T3_PNS13_IS18_E10value_typeET4_jRbjT5_S1E_jjP12ihipStream_tbEUljE_ZNSN_ISO_Lb0ESQ_SR_ST_SU_SY_EESZ_S10_S11_S12_S16_S17_S18_S1B_S1C_jS1D_jS1E_S1E_jjS1G_bEUljE0_EEESZ_S10_S11_S18_S1C_S1E_T6_T7_T9_mT8_S1G_bDpT10_ENKUlT_T0_E_clISt17integral_constantIbLb0EES1U_EEDaS1P_S1Q_EUlS1P_E_NS1_11comp_targetILNS1_3genE4ELNS1_11target_archE910ELNS1_3gpuE8ELNS1_3repE0EEENS1_30default_config_static_selectorELNS0_4arch9wavefront6targetE0EEEvS12_
		.amdhsa_group_segment_fixed_size 0
		.amdhsa_private_segment_fixed_size 0
		.amdhsa_kernarg_size 176
		.amdhsa_user_sgpr_count 6
		.amdhsa_user_sgpr_private_segment_buffer 1
		.amdhsa_user_sgpr_dispatch_ptr 0
		.amdhsa_user_sgpr_queue_ptr 0
		.amdhsa_user_sgpr_kernarg_segment_ptr 1
		.amdhsa_user_sgpr_dispatch_id 0
		.amdhsa_user_sgpr_flat_scratch_init 0
		.amdhsa_user_sgpr_private_segment_size 0
		.amdhsa_wavefront_size32 1
		.amdhsa_uses_dynamic_stack 0
		.amdhsa_system_sgpr_private_segment_wavefront_offset 0
		.amdhsa_system_sgpr_workgroup_id_x 1
		.amdhsa_system_sgpr_workgroup_id_y 0
		.amdhsa_system_sgpr_workgroup_id_z 0
		.amdhsa_system_sgpr_workgroup_info 0
		.amdhsa_system_vgpr_workitem_id 0
		.amdhsa_next_free_vgpr 1
		.amdhsa_next_free_sgpr 1
		.amdhsa_reserve_vcc 0
		.amdhsa_reserve_flat_scratch 0
		.amdhsa_float_round_mode_32 0
		.amdhsa_float_round_mode_16_64 0
		.amdhsa_float_denorm_mode_32 3
		.amdhsa_float_denorm_mode_16_64 3
		.amdhsa_dx10_clamp 1
		.amdhsa_ieee_mode 1
		.amdhsa_fp16_overflow 0
		.amdhsa_workgroup_processor_mode 1
		.amdhsa_memory_ordered 1
		.amdhsa_forward_progress 1
		.amdhsa_shared_vgpr_count 0
		.amdhsa_exception_fp_ieee_invalid_op 0
		.amdhsa_exception_fp_denorm_src 0
		.amdhsa_exception_fp_ieee_div_zero 0
		.amdhsa_exception_fp_ieee_overflow 0
		.amdhsa_exception_fp_ieee_underflow 0
		.amdhsa_exception_fp_ieee_inexact 0
		.amdhsa_exception_int_div_zero 0
	.end_amdhsa_kernel
	.section	.text._ZN7rocprim17ROCPRIM_400000_NS6detail17trampoline_kernelINS0_13select_configILj256ELj13ELNS0_17block_load_methodE3ELS4_3ELS4_3ELNS0_20block_scan_algorithmE0ELj4294967295EEENS1_25partition_config_selectorILNS1_17partition_subalgoE4EjNS0_10empty_typeEbEEZZNS1_14partition_implILS8_4ELb0ES6_15HIP_vector_typeIjLj2EENS0_17counting_iteratorIjlEEPS9_SG_NS0_5tupleIJPjSI_NS0_16reverse_iteratorISI_EEEEENSH_IJSG_SG_SG_EEES9_SI_JZNS1_25segmented_radix_sort_implINS0_14default_configELb0EPKfPfPKlPlN2at6native12_GLOBAL__N_18offset_tEEE10hipError_tPvRmT1_PNSt15iterator_traitsIS12_E10value_typeET2_T3_PNS13_IS18_E10value_typeET4_jRbjT5_S1E_jjP12ihipStream_tbEUljE_ZNSN_ISO_Lb0ESQ_SR_ST_SU_SY_EESZ_S10_S11_S12_S16_S17_S18_S1B_S1C_jS1D_jS1E_S1E_jjS1G_bEUljE0_EEESZ_S10_S11_S18_S1C_S1E_T6_T7_T9_mT8_S1G_bDpT10_ENKUlT_T0_E_clISt17integral_constantIbLb0EES1U_EEDaS1P_S1Q_EUlS1P_E_NS1_11comp_targetILNS1_3genE4ELNS1_11target_archE910ELNS1_3gpuE8ELNS1_3repE0EEENS1_30default_config_static_selectorELNS0_4arch9wavefront6targetE0EEEvS12_,"axG",@progbits,_ZN7rocprim17ROCPRIM_400000_NS6detail17trampoline_kernelINS0_13select_configILj256ELj13ELNS0_17block_load_methodE3ELS4_3ELS4_3ELNS0_20block_scan_algorithmE0ELj4294967295EEENS1_25partition_config_selectorILNS1_17partition_subalgoE4EjNS0_10empty_typeEbEEZZNS1_14partition_implILS8_4ELb0ES6_15HIP_vector_typeIjLj2EENS0_17counting_iteratorIjlEEPS9_SG_NS0_5tupleIJPjSI_NS0_16reverse_iteratorISI_EEEEENSH_IJSG_SG_SG_EEES9_SI_JZNS1_25segmented_radix_sort_implINS0_14default_configELb0EPKfPfPKlPlN2at6native12_GLOBAL__N_18offset_tEEE10hipError_tPvRmT1_PNSt15iterator_traitsIS12_E10value_typeET2_T3_PNS13_IS18_E10value_typeET4_jRbjT5_S1E_jjP12ihipStream_tbEUljE_ZNSN_ISO_Lb0ESQ_SR_ST_SU_SY_EESZ_S10_S11_S12_S16_S17_S18_S1B_S1C_jS1D_jS1E_S1E_jjS1G_bEUljE0_EEESZ_S10_S11_S18_S1C_S1E_T6_T7_T9_mT8_S1G_bDpT10_ENKUlT_T0_E_clISt17integral_constantIbLb0EES1U_EEDaS1P_S1Q_EUlS1P_E_NS1_11comp_targetILNS1_3genE4ELNS1_11target_archE910ELNS1_3gpuE8ELNS1_3repE0EEENS1_30default_config_static_selectorELNS0_4arch9wavefront6targetE0EEEvS12_,comdat
.Lfunc_end1358:
	.size	_ZN7rocprim17ROCPRIM_400000_NS6detail17trampoline_kernelINS0_13select_configILj256ELj13ELNS0_17block_load_methodE3ELS4_3ELS4_3ELNS0_20block_scan_algorithmE0ELj4294967295EEENS1_25partition_config_selectorILNS1_17partition_subalgoE4EjNS0_10empty_typeEbEEZZNS1_14partition_implILS8_4ELb0ES6_15HIP_vector_typeIjLj2EENS0_17counting_iteratorIjlEEPS9_SG_NS0_5tupleIJPjSI_NS0_16reverse_iteratorISI_EEEEENSH_IJSG_SG_SG_EEES9_SI_JZNS1_25segmented_radix_sort_implINS0_14default_configELb0EPKfPfPKlPlN2at6native12_GLOBAL__N_18offset_tEEE10hipError_tPvRmT1_PNSt15iterator_traitsIS12_E10value_typeET2_T3_PNS13_IS18_E10value_typeET4_jRbjT5_S1E_jjP12ihipStream_tbEUljE_ZNSN_ISO_Lb0ESQ_SR_ST_SU_SY_EESZ_S10_S11_S12_S16_S17_S18_S1B_S1C_jS1D_jS1E_S1E_jjS1G_bEUljE0_EEESZ_S10_S11_S18_S1C_S1E_T6_T7_T9_mT8_S1G_bDpT10_ENKUlT_T0_E_clISt17integral_constantIbLb0EES1U_EEDaS1P_S1Q_EUlS1P_E_NS1_11comp_targetILNS1_3genE4ELNS1_11target_archE910ELNS1_3gpuE8ELNS1_3repE0EEENS1_30default_config_static_selectorELNS0_4arch9wavefront6targetE0EEEvS12_, .Lfunc_end1358-_ZN7rocprim17ROCPRIM_400000_NS6detail17trampoline_kernelINS0_13select_configILj256ELj13ELNS0_17block_load_methodE3ELS4_3ELS4_3ELNS0_20block_scan_algorithmE0ELj4294967295EEENS1_25partition_config_selectorILNS1_17partition_subalgoE4EjNS0_10empty_typeEbEEZZNS1_14partition_implILS8_4ELb0ES6_15HIP_vector_typeIjLj2EENS0_17counting_iteratorIjlEEPS9_SG_NS0_5tupleIJPjSI_NS0_16reverse_iteratorISI_EEEEENSH_IJSG_SG_SG_EEES9_SI_JZNS1_25segmented_radix_sort_implINS0_14default_configELb0EPKfPfPKlPlN2at6native12_GLOBAL__N_18offset_tEEE10hipError_tPvRmT1_PNSt15iterator_traitsIS12_E10value_typeET2_T3_PNS13_IS18_E10value_typeET4_jRbjT5_S1E_jjP12ihipStream_tbEUljE_ZNSN_ISO_Lb0ESQ_SR_ST_SU_SY_EESZ_S10_S11_S12_S16_S17_S18_S1B_S1C_jS1D_jS1E_S1E_jjS1G_bEUljE0_EEESZ_S10_S11_S18_S1C_S1E_T6_T7_T9_mT8_S1G_bDpT10_ENKUlT_T0_E_clISt17integral_constantIbLb0EES1U_EEDaS1P_S1Q_EUlS1P_E_NS1_11comp_targetILNS1_3genE4ELNS1_11target_archE910ELNS1_3gpuE8ELNS1_3repE0EEENS1_30default_config_static_selectorELNS0_4arch9wavefront6targetE0EEEvS12_
                                        ; -- End function
	.set _ZN7rocprim17ROCPRIM_400000_NS6detail17trampoline_kernelINS0_13select_configILj256ELj13ELNS0_17block_load_methodE3ELS4_3ELS4_3ELNS0_20block_scan_algorithmE0ELj4294967295EEENS1_25partition_config_selectorILNS1_17partition_subalgoE4EjNS0_10empty_typeEbEEZZNS1_14partition_implILS8_4ELb0ES6_15HIP_vector_typeIjLj2EENS0_17counting_iteratorIjlEEPS9_SG_NS0_5tupleIJPjSI_NS0_16reverse_iteratorISI_EEEEENSH_IJSG_SG_SG_EEES9_SI_JZNS1_25segmented_radix_sort_implINS0_14default_configELb0EPKfPfPKlPlN2at6native12_GLOBAL__N_18offset_tEEE10hipError_tPvRmT1_PNSt15iterator_traitsIS12_E10value_typeET2_T3_PNS13_IS18_E10value_typeET4_jRbjT5_S1E_jjP12ihipStream_tbEUljE_ZNSN_ISO_Lb0ESQ_SR_ST_SU_SY_EESZ_S10_S11_S12_S16_S17_S18_S1B_S1C_jS1D_jS1E_S1E_jjS1G_bEUljE0_EEESZ_S10_S11_S18_S1C_S1E_T6_T7_T9_mT8_S1G_bDpT10_ENKUlT_T0_E_clISt17integral_constantIbLb0EES1U_EEDaS1P_S1Q_EUlS1P_E_NS1_11comp_targetILNS1_3genE4ELNS1_11target_archE910ELNS1_3gpuE8ELNS1_3repE0EEENS1_30default_config_static_selectorELNS0_4arch9wavefront6targetE0EEEvS12_.num_vgpr, 0
	.set _ZN7rocprim17ROCPRIM_400000_NS6detail17trampoline_kernelINS0_13select_configILj256ELj13ELNS0_17block_load_methodE3ELS4_3ELS4_3ELNS0_20block_scan_algorithmE0ELj4294967295EEENS1_25partition_config_selectorILNS1_17partition_subalgoE4EjNS0_10empty_typeEbEEZZNS1_14partition_implILS8_4ELb0ES6_15HIP_vector_typeIjLj2EENS0_17counting_iteratorIjlEEPS9_SG_NS0_5tupleIJPjSI_NS0_16reverse_iteratorISI_EEEEENSH_IJSG_SG_SG_EEES9_SI_JZNS1_25segmented_radix_sort_implINS0_14default_configELb0EPKfPfPKlPlN2at6native12_GLOBAL__N_18offset_tEEE10hipError_tPvRmT1_PNSt15iterator_traitsIS12_E10value_typeET2_T3_PNS13_IS18_E10value_typeET4_jRbjT5_S1E_jjP12ihipStream_tbEUljE_ZNSN_ISO_Lb0ESQ_SR_ST_SU_SY_EESZ_S10_S11_S12_S16_S17_S18_S1B_S1C_jS1D_jS1E_S1E_jjS1G_bEUljE0_EEESZ_S10_S11_S18_S1C_S1E_T6_T7_T9_mT8_S1G_bDpT10_ENKUlT_T0_E_clISt17integral_constantIbLb0EES1U_EEDaS1P_S1Q_EUlS1P_E_NS1_11comp_targetILNS1_3genE4ELNS1_11target_archE910ELNS1_3gpuE8ELNS1_3repE0EEENS1_30default_config_static_selectorELNS0_4arch9wavefront6targetE0EEEvS12_.num_agpr, 0
	.set _ZN7rocprim17ROCPRIM_400000_NS6detail17trampoline_kernelINS0_13select_configILj256ELj13ELNS0_17block_load_methodE3ELS4_3ELS4_3ELNS0_20block_scan_algorithmE0ELj4294967295EEENS1_25partition_config_selectorILNS1_17partition_subalgoE4EjNS0_10empty_typeEbEEZZNS1_14partition_implILS8_4ELb0ES6_15HIP_vector_typeIjLj2EENS0_17counting_iteratorIjlEEPS9_SG_NS0_5tupleIJPjSI_NS0_16reverse_iteratorISI_EEEEENSH_IJSG_SG_SG_EEES9_SI_JZNS1_25segmented_radix_sort_implINS0_14default_configELb0EPKfPfPKlPlN2at6native12_GLOBAL__N_18offset_tEEE10hipError_tPvRmT1_PNSt15iterator_traitsIS12_E10value_typeET2_T3_PNS13_IS18_E10value_typeET4_jRbjT5_S1E_jjP12ihipStream_tbEUljE_ZNSN_ISO_Lb0ESQ_SR_ST_SU_SY_EESZ_S10_S11_S12_S16_S17_S18_S1B_S1C_jS1D_jS1E_S1E_jjS1G_bEUljE0_EEESZ_S10_S11_S18_S1C_S1E_T6_T7_T9_mT8_S1G_bDpT10_ENKUlT_T0_E_clISt17integral_constantIbLb0EES1U_EEDaS1P_S1Q_EUlS1P_E_NS1_11comp_targetILNS1_3genE4ELNS1_11target_archE910ELNS1_3gpuE8ELNS1_3repE0EEENS1_30default_config_static_selectorELNS0_4arch9wavefront6targetE0EEEvS12_.numbered_sgpr, 0
	.set _ZN7rocprim17ROCPRIM_400000_NS6detail17trampoline_kernelINS0_13select_configILj256ELj13ELNS0_17block_load_methodE3ELS4_3ELS4_3ELNS0_20block_scan_algorithmE0ELj4294967295EEENS1_25partition_config_selectorILNS1_17partition_subalgoE4EjNS0_10empty_typeEbEEZZNS1_14partition_implILS8_4ELb0ES6_15HIP_vector_typeIjLj2EENS0_17counting_iteratorIjlEEPS9_SG_NS0_5tupleIJPjSI_NS0_16reverse_iteratorISI_EEEEENSH_IJSG_SG_SG_EEES9_SI_JZNS1_25segmented_radix_sort_implINS0_14default_configELb0EPKfPfPKlPlN2at6native12_GLOBAL__N_18offset_tEEE10hipError_tPvRmT1_PNSt15iterator_traitsIS12_E10value_typeET2_T3_PNS13_IS18_E10value_typeET4_jRbjT5_S1E_jjP12ihipStream_tbEUljE_ZNSN_ISO_Lb0ESQ_SR_ST_SU_SY_EESZ_S10_S11_S12_S16_S17_S18_S1B_S1C_jS1D_jS1E_S1E_jjS1G_bEUljE0_EEESZ_S10_S11_S18_S1C_S1E_T6_T7_T9_mT8_S1G_bDpT10_ENKUlT_T0_E_clISt17integral_constantIbLb0EES1U_EEDaS1P_S1Q_EUlS1P_E_NS1_11comp_targetILNS1_3genE4ELNS1_11target_archE910ELNS1_3gpuE8ELNS1_3repE0EEENS1_30default_config_static_selectorELNS0_4arch9wavefront6targetE0EEEvS12_.num_named_barrier, 0
	.set _ZN7rocprim17ROCPRIM_400000_NS6detail17trampoline_kernelINS0_13select_configILj256ELj13ELNS0_17block_load_methodE3ELS4_3ELS4_3ELNS0_20block_scan_algorithmE0ELj4294967295EEENS1_25partition_config_selectorILNS1_17partition_subalgoE4EjNS0_10empty_typeEbEEZZNS1_14partition_implILS8_4ELb0ES6_15HIP_vector_typeIjLj2EENS0_17counting_iteratorIjlEEPS9_SG_NS0_5tupleIJPjSI_NS0_16reverse_iteratorISI_EEEEENSH_IJSG_SG_SG_EEES9_SI_JZNS1_25segmented_radix_sort_implINS0_14default_configELb0EPKfPfPKlPlN2at6native12_GLOBAL__N_18offset_tEEE10hipError_tPvRmT1_PNSt15iterator_traitsIS12_E10value_typeET2_T3_PNS13_IS18_E10value_typeET4_jRbjT5_S1E_jjP12ihipStream_tbEUljE_ZNSN_ISO_Lb0ESQ_SR_ST_SU_SY_EESZ_S10_S11_S12_S16_S17_S18_S1B_S1C_jS1D_jS1E_S1E_jjS1G_bEUljE0_EEESZ_S10_S11_S18_S1C_S1E_T6_T7_T9_mT8_S1G_bDpT10_ENKUlT_T0_E_clISt17integral_constantIbLb0EES1U_EEDaS1P_S1Q_EUlS1P_E_NS1_11comp_targetILNS1_3genE4ELNS1_11target_archE910ELNS1_3gpuE8ELNS1_3repE0EEENS1_30default_config_static_selectorELNS0_4arch9wavefront6targetE0EEEvS12_.private_seg_size, 0
	.set _ZN7rocprim17ROCPRIM_400000_NS6detail17trampoline_kernelINS0_13select_configILj256ELj13ELNS0_17block_load_methodE3ELS4_3ELS4_3ELNS0_20block_scan_algorithmE0ELj4294967295EEENS1_25partition_config_selectorILNS1_17partition_subalgoE4EjNS0_10empty_typeEbEEZZNS1_14partition_implILS8_4ELb0ES6_15HIP_vector_typeIjLj2EENS0_17counting_iteratorIjlEEPS9_SG_NS0_5tupleIJPjSI_NS0_16reverse_iteratorISI_EEEEENSH_IJSG_SG_SG_EEES9_SI_JZNS1_25segmented_radix_sort_implINS0_14default_configELb0EPKfPfPKlPlN2at6native12_GLOBAL__N_18offset_tEEE10hipError_tPvRmT1_PNSt15iterator_traitsIS12_E10value_typeET2_T3_PNS13_IS18_E10value_typeET4_jRbjT5_S1E_jjP12ihipStream_tbEUljE_ZNSN_ISO_Lb0ESQ_SR_ST_SU_SY_EESZ_S10_S11_S12_S16_S17_S18_S1B_S1C_jS1D_jS1E_S1E_jjS1G_bEUljE0_EEESZ_S10_S11_S18_S1C_S1E_T6_T7_T9_mT8_S1G_bDpT10_ENKUlT_T0_E_clISt17integral_constantIbLb0EES1U_EEDaS1P_S1Q_EUlS1P_E_NS1_11comp_targetILNS1_3genE4ELNS1_11target_archE910ELNS1_3gpuE8ELNS1_3repE0EEENS1_30default_config_static_selectorELNS0_4arch9wavefront6targetE0EEEvS12_.uses_vcc, 0
	.set _ZN7rocprim17ROCPRIM_400000_NS6detail17trampoline_kernelINS0_13select_configILj256ELj13ELNS0_17block_load_methodE3ELS4_3ELS4_3ELNS0_20block_scan_algorithmE0ELj4294967295EEENS1_25partition_config_selectorILNS1_17partition_subalgoE4EjNS0_10empty_typeEbEEZZNS1_14partition_implILS8_4ELb0ES6_15HIP_vector_typeIjLj2EENS0_17counting_iteratorIjlEEPS9_SG_NS0_5tupleIJPjSI_NS0_16reverse_iteratorISI_EEEEENSH_IJSG_SG_SG_EEES9_SI_JZNS1_25segmented_radix_sort_implINS0_14default_configELb0EPKfPfPKlPlN2at6native12_GLOBAL__N_18offset_tEEE10hipError_tPvRmT1_PNSt15iterator_traitsIS12_E10value_typeET2_T3_PNS13_IS18_E10value_typeET4_jRbjT5_S1E_jjP12ihipStream_tbEUljE_ZNSN_ISO_Lb0ESQ_SR_ST_SU_SY_EESZ_S10_S11_S12_S16_S17_S18_S1B_S1C_jS1D_jS1E_S1E_jjS1G_bEUljE0_EEESZ_S10_S11_S18_S1C_S1E_T6_T7_T9_mT8_S1G_bDpT10_ENKUlT_T0_E_clISt17integral_constantIbLb0EES1U_EEDaS1P_S1Q_EUlS1P_E_NS1_11comp_targetILNS1_3genE4ELNS1_11target_archE910ELNS1_3gpuE8ELNS1_3repE0EEENS1_30default_config_static_selectorELNS0_4arch9wavefront6targetE0EEEvS12_.uses_flat_scratch, 0
	.set _ZN7rocprim17ROCPRIM_400000_NS6detail17trampoline_kernelINS0_13select_configILj256ELj13ELNS0_17block_load_methodE3ELS4_3ELS4_3ELNS0_20block_scan_algorithmE0ELj4294967295EEENS1_25partition_config_selectorILNS1_17partition_subalgoE4EjNS0_10empty_typeEbEEZZNS1_14partition_implILS8_4ELb0ES6_15HIP_vector_typeIjLj2EENS0_17counting_iteratorIjlEEPS9_SG_NS0_5tupleIJPjSI_NS0_16reverse_iteratorISI_EEEEENSH_IJSG_SG_SG_EEES9_SI_JZNS1_25segmented_radix_sort_implINS0_14default_configELb0EPKfPfPKlPlN2at6native12_GLOBAL__N_18offset_tEEE10hipError_tPvRmT1_PNSt15iterator_traitsIS12_E10value_typeET2_T3_PNS13_IS18_E10value_typeET4_jRbjT5_S1E_jjP12ihipStream_tbEUljE_ZNSN_ISO_Lb0ESQ_SR_ST_SU_SY_EESZ_S10_S11_S12_S16_S17_S18_S1B_S1C_jS1D_jS1E_S1E_jjS1G_bEUljE0_EEESZ_S10_S11_S18_S1C_S1E_T6_T7_T9_mT8_S1G_bDpT10_ENKUlT_T0_E_clISt17integral_constantIbLb0EES1U_EEDaS1P_S1Q_EUlS1P_E_NS1_11comp_targetILNS1_3genE4ELNS1_11target_archE910ELNS1_3gpuE8ELNS1_3repE0EEENS1_30default_config_static_selectorELNS0_4arch9wavefront6targetE0EEEvS12_.has_dyn_sized_stack, 0
	.set _ZN7rocprim17ROCPRIM_400000_NS6detail17trampoline_kernelINS0_13select_configILj256ELj13ELNS0_17block_load_methodE3ELS4_3ELS4_3ELNS0_20block_scan_algorithmE0ELj4294967295EEENS1_25partition_config_selectorILNS1_17partition_subalgoE4EjNS0_10empty_typeEbEEZZNS1_14partition_implILS8_4ELb0ES6_15HIP_vector_typeIjLj2EENS0_17counting_iteratorIjlEEPS9_SG_NS0_5tupleIJPjSI_NS0_16reverse_iteratorISI_EEEEENSH_IJSG_SG_SG_EEES9_SI_JZNS1_25segmented_radix_sort_implINS0_14default_configELb0EPKfPfPKlPlN2at6native12_GLOBAL__N_18offset_tEEE10hipError_tPvRmT1_PNSt15iterator_traitsIS12_E10value_typeET2_T3_PNS13_IS18_E10value_typeET4_jRbjT5_S1E_jjP12ihipStream_tbEUljE_ZNSN_ISO_Lb0ESQ_SR_ST_SU_SY_EESZ_S10_S11_S12_S16_S17_S18_S1B_S1C_jS1D_jS1E_S1E_jjS1G_bEUljE0_EEESZ_S10_S11_S18_S1C_S1E_T6_T7_T9_mT8_S1G_bDpT10_ENKUlT_T0_E_clISt17integral_constantIbLb0EES1U_EEDaS1P_S1Q_EUlS1P_E_NS1_11comp_targetILNS1_3genE4ELNS1_11target_archE910ELNS1_3gpuE8ELNS1_3repE0EEENS1_30default_config_static_selectorELNS0_4arch9wavefront6targetE0EEEvS12_.has_recursion, 0
	.set _ZN7rocprim17ROCPRIM_400000_NS6detail17trampoline_kernelINS0_13select_configILj256ELj13ELNS0_17block_load_methodE3ELS4_3ELS4_3ELNS0_20block_scan_algorithmE0ELj4294967295EEENS1_25partition_config_selectorILNS1_17partition_subalgoE4EjNS0_10empty_typeEbEEZZNS1_14partition_implILS8_4ELb0ES6_15HIP_vector_typeIjLj2EENS0_17counting_iteratorIjlEEPS9_SG_NS0_5tupleIJPjSI_NS0_16reverse_iteratorISI_EEEEENSH_IJSG_SG_SG_EEES9_SI_JZNS1_25segmented_radix_sort_implINS0_14default_configELb0EPKfPfPKlPlN2at6native12_GLOBAL__N_18offset_tEEE10hipError_tPvRmT1_PNSt15iterator_traitsIS12_E10value_typeET2_T3_PNS13_IS18_E10value_typeET4_jRbjT5_S1E_jjP12ihipStream_tbEUljE_ZNSN_ISO_Lb0ESQ_SR_ST_SU_SY_EESZ_S10_S11_S12_S16_S17_S18_S1B_S1C_jS1D_jS1E_S1E_jjS1G_bEUljE0_EEESZ_S10_S11_S18_S1C_S1E_T6_T7_T9_mT8_S1G_bDpT10_ENKUlT_T0_E_clISt17integral_constantIbLb0EES1U_EEDaS1P_S1Q_EUlS1P_E_NS1_11comp_targetILNS1_3genE4ELNS1_11target_archE910ELNS1_3gpuE8ELNS1_3repE0EEENS1_30default_config_static_selectorELNS0_4arch9wavefront6targetE0EEEvS12_.has_indirect_call, 0
	.section	.AMDGPU.csdata,"",@progbits
; Kernel info:
; codeLenInByte = 0
; TotalNumSgprs: 0
; NumVgprs: 0
; ScratchSize: 0
; MemoryBound: 0
; FloatMode: 240
; IeeeMode: 1
; LDSByteSize: 0 bytes/workgroup (compile time only)
; SGPRBlocks: 0
; VGPRBlocks: 0
; NumSGPRsForWavesPerEU: 1
; NumVGPRsForWavesPerEU: 1
; Occupancy: 16
; WaveLimiterHint : 0
; COMPUTE_PGM_RSRC2:SCRATCH_EN: 0
; COMPUTE_PGM_RSRC2:USER_SGPR: 6
; COMPUTE_PGM_RSRC2:TRAP_HANDLER: 0
; COMPUTE_PGM_RSRC2:TGID_X_EN: 1
; COMPUTE_PGM_RSRC2:TGID_Y_EN: 0
; COMPUTE_PGM_RSRC2:TGID_Z_EN: 0
; COMPUTE_PGM_RSRC2:TIDIG_COMP_CNT: 0
	.section	.text._ZN7rocprim17ROCPRIM_400000_NS6detail17trampoline_kernelINS0_13select_configILj256ELj13ELNS0_17block_load_methodE3ELS4_3ELS4_3ELNS0_20block_scan_algorithmE0ELj4294967295EEENS1_25partition_config_selectorILNS1_17partition_subalgoE4EjNS0_10empty_typeEbEEZZNS1_14partition_implILS8_4ELb0ES6_15HIP_vector_typeIjLj2EENS0_17counting_iteratorIjlEEPS9_SG_NS0_5tupleIJPjSI_NS0_16reverse_iteratorISI_EEEEENSH_IJSG_SG_SG_EEES9_SI_JZNS1_25segmented_radix_sort_implINS0_14default_configELb0EPKfPfPKlPlN2at6native12_GLOBAL__N_18offset_tEEE10hipError_tPvRmT1_PNSt15iterator_traitsIS12_E10value_typeET2_T3_PNS13_IS18_E10value_typeET4_jRbjT5_S1E_jjP12ihipStream_tbEUljE_ZNSN_ISO_Lb0ESQ_SR_ST_SU_SY_EESZ_S10_S11_S12_S16_S17_S18_S1B_S1C_jS1D_jS1E_S1E_jjS1G_bEUljE0_EEESZ_S10_S11_S18_S1C_S1E_T6_T7_T9_mT8_S1G_bDpT10_ENKUlT_T0_E_clISt17integral_constantIbLb0EES1U_EEDaS1P_S1Q_EUlS1P_E_NS1_11comp_targetILNS1_3genE3ELNS1_11target_archE908ELNS1_3gpuE7ELNS1_3repE0EEENS1_30default_config_static_selectorELNS0_4arch9wavefront6targetE0EEEvS12_,"axG",@progbits,_ZN7rocprim17ROCPRIM_400000_NS6detail17trampoline_kernelINS0_13select_configILj256ELj13ELNS0_17block_load_methodE3ELS4_3ELS4_3ELNS0_20block_scan_algorithmE0ELj4294967295EEENS1_25partition_config_selectorILNS1_17partition_subalgoE4EjNS0_10empty_typeEbEEZZNS1_14partition_implILS8_4ELb0ES6_15HIP_vector_typeIjLj2EENS0_17counting_iteratorIjlEEPS9_SG_NS0_5tupleIJPjSI_NS0_16reverse_iteratorISI_EEEEENSH_IJSG_SG_SG_EEES9_SI_JZNS1_25segmented_radix_sort_implINS0_14default_configELb0EPKfPfPKlPlN2at6native12_GLOBAL__N_18offset_tEEE10hipError_tPvRmT1_PNSt15iterator_traitsIS12_E10value_typeET2_T3_PNS13_IS18_E10value_typeET4_jRbjT5_S1E_jjP12ihipStream_tbEUljE_ZNSN_ISO_Lb0ESQ_SR_ST_SU_SY_EESZ_S10_S11_S12_S16_S17_S18_S1B_S1C_jS1D_jS1E_S1E_jjS1G_bEUljE0_EEESZ_S10_S11_S18_S1C_S1E_T6_T7_T9_mT8_S1G_bDpT10_ENKUlT_T0_E_clISt17integral_constantIbLb0EES1U_EEDaS1P_S1Q_EUlS1P_E_NS1_11comp_targetILNS1_3genE3ELNS1_11target_archE908ELNS1_3gpuE7ELNS1_3repE0EEENS1_30default_config_static_selectorELNS0_4arch9wavefront6targetE0EEEvS12_,comdat
	.globl	_ZN7rocprim17ROCPRIM_400000_NS6detail17trampoline_kernelINS0_13select_configILj256ELj13ELNS0_17block_load_methodE3ELS4_3ELS4_3ELNS0_20block_scan_algorithmE0ELj4294967295EEENS1_25partition_config_selectorILNS1_17partition_subalgoE4EjNS0_10empty_typeEbEEZZNS1_14partition_implILS8_4ELb0ES6_15HIP_vector_typeIjLj2EENS0_17counting_iteratorIjlEEPS9_SG_NS0_5tupleIJPjSI_NS0_16reverse_iteratorISI_EEEEENSH_IJSG_SG_SG_EEES9_SI_JZNS1_25segmented_radix_sort_implINS0_14default_configELb0EPKfPfPKlPlN2at6native12_GLOBAL__N_18offset_tEEE10hipError_tPvRmT1_PNSt15iterator_traitsIS12_E10value_typeET2_T3_PNS13_IS18_E10value_typeET4_jRbjT5_S1E_jjP12ihipStream_tbEUljE_ZNSN_ISO_Lb0ESQ_SR_ST_SU_SY_EESZ_S10_S11_S12_S16_S17_S18_S1B_S1C_jS1D_jS1E_S1E_jjS1G_bEUljE0_EEESZ_S10_S11_S18_S1C_S1E_T6_T7_T9_mT8_S1G_bDpT10_ENKUlT_T0_E_clISt17integral_constantIbLb0EES1U_EEDaS1P_S1Q_EUlS1P_E_NS1_11comp_targetILNS1_3genE3ELNS1_11target_archE908ELNS1_3gpuE7ELNS1_3repE0EEENS1_30default_config_static_selectorELNS0_4arch9wavefront6targetE0EEEvS12_ ; -- Begin function _ZN7rocprim17ROCPRIM_400000_NS6detail17trampoline_kernelINS0_13select_configILj256ELj13ELNS0_17block_load_methodE3ELS4_3ELS4_3ELNS0_20block_scan_algorithmE0ELj4294967295EEENS1_25partition_config_selectorILNS1_17partition_subalgoE4EjNS0_10empty_typeEbEEZZNS1_14partition_implILS8_4ELb0ES6_15HIP_vector_typeIjLj2EENS0_17counting_iteratorIjlEEPS9_SG_NS0_5tupleIJPjSI_NS0_16reverse_iteratorISI_EEEEENSH_IJSG_SG_SG_EEES9_SI_JZNS1_25segmented_radix_sort_implINS0_14default_configELb0EPKfPfPKlPlN2at6native12_GLOBAL__N_18offset_tEEE10hipError_tPvRmT1_PNSt15iterator_traitsIS12_E10value_typeET2_T3_PNS13_IS18_E10value_typeET4_jRbjT5_S1E_jjP12ihipStream_tbEUljE_ZNSN_ISO_Lb0ESQ_SR_ST_SU_SY_EESZ_S10_S11_S12_S16_S17_S18_S1B_S1C_jS1D_jS1E_S1E_jjS1G_bEUljE0_EEESZ_S10_S11_S18_S1C_S1E_T6_T7_T9_mT8_S1G_bDpT10_ENKUlT_T0_E_clISt17integral_constantIbLb0EES1U_EEDaS1P_S1Q_EUlS1P_E_NS1_11comp_targetILNS1_3genE3ELNS1_11target_archE908ELNS1_3gpuE7ELNS1_3repE0EEENS1_30default_config_static_selectorELNS0_4arch9wavefront6targetE0EEEvS12_
	.p2align	8
	.type	_ZN7rocprim17ROCPRIM_400000_NS6detail17trampoline_kernelINS0_13select_configILj256ELj13ELNS0_17block_load_methodE3ELS4_3ELS4_3ELNS0_20block_scan_algorithmE0ELj4294967295EEENS1_25partition_config_selectorILNS1_17partition_subalgoE4EjNS0_10empty_typeEbEEZZNS1_14partition_implILS8_4ELb0ES6_15HIP_vector_typeIjLj2EENS0_17counting_iteratorIjlEEPS9_SG_NS0_5tupleIJPjSI_NS0_16reverse_iteratorISI_EEEEENSH_IJSG_SG_SG_EEES9_SI_JZNS1_25segmented_radix_sort_implINS0_14default_configELb0EPKfPfPKlPlN2at6native12_GLOBAL__N_18offset_tEEE10hipError_tPvRmT1_PNSt15iterator_traitsIS12_E10value_typeET2_T3_PNS13_IS18_E10value_typeET4_jRbjT5_S1E_jjP12ihipStream_tbEUljE_ZNSN_ISO_Lb0ESQ_SR_ST_SU_SY_EESZ_S10_S11_S12_S16_S17_S18_S1B_S1C_jS1D_jS1E_S1E_jjS1G_bEUljE0_EEESZ_S10_S11_S18_S1C_S1E_T6_T7_T9_mT8_S1G_bDpT10_ENKUlT_T0_E_clISt17integral_constantIbLb0EES1U_EEDaS1P_S1Q_EUlS1P_E_NS1_11comp_targetILNS1_3genE3ELNS1_11target_archE908ELNS1_3gpuE7ELNS1_3repE0EEENS1_30default_config_static_selectorELNS0_4arch9wavefront6targetE0EEEvS12_,@function
_ZN7rocprim17ROCPRIM_400000_NS6detail17trampoline_kernelINS0_13select_configILj256ELj13ELNS0_17block_load_methodE3ELS4_3ELS4_3ELNS0_20block_scan_algorithmE0ELj4294967295EEENS1_25partition_config_selectorILNS1_17partition_subalgoE4EjNS0_10empty_typeEbEEZZNS1_14partition_implILS8_4ELb0ES6_15HIP_vector_typeIjLj2EENS0_17counting_iteratorIjlEEPS9_SG_NS0_5tupleIJPjSI_NS0_16reverse_iteratorISI_EEEEENSH_IJSG_SG_SG_EEES9_SI_JZNS1_25segmented_radix_sort_implINS0_14default_configELb0EPKfPfPKlPlN2at6native12_GLOBAL__N_18offset_tEEE10hipError_tPvRmT1_PNSt15iterator_traitsIS12_E10value_typeET2_T3_PNS13_IS18_E10value_typeET4_jRbjT5_S1E_jjP12ihipStream_tbEUljE_ZNSN_ISO_Lb0ESQ_SR_ST_SU_SY_EESZ_S10_S11_S12_S16_S17_S18_S1B_S1C_jS1D_jS1E_S1E_jjS1G_bEUljE0_EEESZ_S10_S11_S18_S1C_S1E_T6_T7_T9_mT8_S1G_bDpT10_ENKUlT_T0_E_clISt17integral_constantIbLb0EES1U_EEDaS1P_S1Q_EUlS1P_E_NS1_11comp_targetILNS1_3genE3ELNS1_11target_archE908ELNS1_3gpuE7ELNS1_3repE0EEENS1_30default_config_static_selectorELNS0_4arch9wavefront6targetE0EEEvS12_: ; @_ZN7rocprim17ROCPRIM_400000_NS6detail17trampoline_kernelINS0_13select_configILj256ELj13ELNS0_17block_load_methodE3ELS4_3ELS4_3ELNS0_20block_scan_algorithmE0ELj4294967295EEENS1_25partition_config_selectorILNS1_17partition_subalgoE4EjNS0_10empty_typeEbEEZZNS1_14partition_implILS8_4ELb0ES6_15HIP_vector_typeIjLj2EENS0_17counting_iteratorIjlEEPS9_SG_NS0_5tupleIJPjSI_NS0_16reverse_iteratorISI_EEEEENSH_IJSG_SG_SG_EEES9_SI_JZNS1_25segmented_radix_sort_implINS0_14default_configELb0EPKfPfPKlPlN2at6native12_GLOBAL__N_18offset_tEEE10hipError_tPvRmT1_PNSt15iterator_traitsIS12_E10value_typeET2_T3_PNS13_IS18_E10value_typeET4_jRbjT5_S1E_jjP12ihipStream_tbEUljE_ZNSN_ISO_Lb0ESQ_SR_ST_SU_SY_EESZ_S10_S11_S12_S16_S17_S18_S1B_S1C_jS1D_jS1E_S1E_jjS1G_bEUljE0_EEESZ_S10_S11_S18_S1C_S1E_T6_T7_T9_mT8_S1G_bDpT10_ENKUlT_T0_E_clISt17integral_constantIbLb0EES1U_EEDaS1P_S1Q_EUlS1P_E_NS1_11comp_targetILNS1_3genE3ELNS1_11target_archE908ELNS1_3gpuE7ELNS1_3repE0EEENS1_30default_config_static_selectorELNS0_4arch9wavefront6targetE0EEEvS12_
; %bb.0:
	.section	.rodata,"a",@progbits
	.p2align	6, 0x0
	.amdhsa_kernel _ZN7rocprim17ROCPRIM_400000_NS6detail17trampoline_kernelINS0_13select_configILj256ELj13ELNS0_17block_load_methodE3ELS4_3ELS4_3ELNS0_20block_scan_algorithmE0ELj4294967295EEENS1_25partition_config_selectorILNS1_17partition_subalgoE4EjNS0_10empty_typeEbEEZZNS1_14partition_implILS8_4ELb0ES6_15HIP_vector_typeIjLj2EENS0_17counting_iteratorIjlEEPS9_SG_NS0_5tupleIJPjSI_NS0_16reverse_iteratorISI_EEEEENSH_IJSG_SG_SG_EEES9_SI_JZNS1_25segmented_radix_sort_implINS0_14default_configELb0EPKfPfPKlPlN2at6native12_GLOBAL__N_18offset_tEEE10hipError_tPvRmT1_PNSt15iterator_traitsIS12_E10value_typeET2_T3_PNS13_IS18_E10value_typeET4_jRbjT5_S1E_jjP12ihipStream_tbEUljE_ZNSN_ISO_Lb0ESQ_SR_ST_SU_SY_EESZ_S10_S11_S12_S16_S17_S18_S1B_S1C_jS1D_jS1E_S1E_jjS1G_bEUljE0_EEESZ_S10_S11_S18_S1C_S1E_T6_T7_T9_mT8_S1G_bDpT10_ENKUlT_T0_E_clISt17integral_constantIbLb0EES1U_EEDaS1P_S1Q_EUlS1P_E_NS1_11comp_targetILNS1_3genE3ELNS1_11target_archE908ELNS1_3gpuE7ELNS1_3repE0EEENS1_30default_config_static_selectorELNS0_4arch9wavefront6targetE0EEEvS12_
		.amdhsa_group_segment_fixed_size 0
		.amdhsa_private_segment_fixed_size 0
		.amdhsa_kernarg_size 176
		.amdhsa_user_sgpr_count 6
		.amdhsa_user_sgpr_private_segment_buffer 1
		.amdhsa_user_sgpr_dispatch_ptr 0
		.amdhsa_user_sgpr_queue_ptr 0
		.amdhsa_user_sgpr_kernarg_segment_ptr 1
		.amdhsa_user_sgpr_dispatch_id 0
		.amdhsa_user_sgpr_flat_scratch_init 0
		.amdhsa_user_sgpr_private_segment_size 0
		.amdhsa_wavefront_size32 1
		.amdhsa_uses_dynamic_stack 0
		.amdhsa_system_sgpr_private_segment_wavefront_offset 0
		.amdhsa_system_sgpr_workgroup_id_x 1
		.amdhsa_system_sgpr_workgroup_id_y 0
		.amdhsa_system_sgpr_workgroup_id_z 0
		.amdhsa_system_sgpr_workgroup_info 0
		.amdhsa_system_vgpr_workitem_id 0
		.amdhsa_next_free_vgpr 1
		.amdhsa_next_free_sgpr 1
		.amdhsa_reserve_vcc 0
		.amdhsa_reserve_flat_scratch 0
		.amdhsa_float_round_mode_32 0
		.amdhsa_float_round_mode_16_64 0
		.amdhsa_float_denorm_mode_32 3
		.amdhsa_float_denorm_mode_16_64 3
		.amdhsa_dx10_clamp 1
		.amdhsa_ieee_mode 1
		.amdhsa_fp16_overflow 0
		.amdhsa_workgroup_processor_mode 1
		.amdhsa_memory_ordered 1
		.amdhsa_forward_progress 1
		.amdhsa_shared_vgpr_count 0
		.amdhsa_exception_fp_ieee_invalid_op 0
		.amdhsa_exception_fp_denorm_src 0
		.amdhsa_exception_fp_ieee_div_zero 0
		.amdhsa_exception_fp_ieee_overflow 0
		.amdhsa_exception_fp_ieee_underflow 0
		.amdhsa_exception_fp_ieee_inexact 0
		.amdhsa_exception_int_div_zero 0
	.end_amdhsa_kernel
	.section	.text._ZN7rocprim17ROCPRIM_400000_NS6detail17trampoline_kernelINS0_13select_configILj256ELj13ELNS0_17block_load_methodE3ELS4_3ELS4_3ELNS0_20block_scan_algorithmE0ELj4294967295EEENS1_25partition_config_selectorILNS1_17partition_subalgoE4EjNS0_10empty_typeEbEEZZNS1_14partition_implILS8_4ELb0ES6_15HIP_vector_typeIjLj2EENS0_17counting_iteratorIjlEEPS9_SG_NS0_5tupleIJPjSI_NS0_16reverse_iteratorISI_EEEEENSH_IJSG_SG_SG_EEES9_SI_JZNS1_25segmented_radix_sort_implINS0_14default_configELb0EPKfPfPKlPlN2at6native12_GLOBAL__N_18offset_tEEE10hipError_tPvRmT1_PNSt15iterator_traitsIS12_E10value_typeET2_T3_PNS13_IS18_E10value_typeET4_jRbjT5_S1E_jjP12ihipStream_tbEUljE_ZNSN_ISO_Lb0ESQ_SR_ST_SU_SY_EESZ_S10_S11_S12_S16_S17_S18_S1B_S1C_jS1D_jS1E_S1E_jjS1G_bEUljE0_EEESZ_S10_S11_S18_S1C_S1E_T6_T7_T9_mT8_S1G_bDpT10_ENKUlT_T0_E_clISt17integral_constantIbLb0EES1U_EEDaS1P_S1Q_EUlS1P_E_NS1_11comp_targetILNS1_3genE3ELNS1_11target_archE908ELNS1_3gpuE7ELNS1_3repE0EEENS1_30default_config_static_selectorELNS0_4arch9wavefront6targetE0EEEvS12_,"axG",@progbits,_ZN7rocprim17ROCPRIM_400000_NS6detail17trampoline_kernelINS0_13select_configILj256ELj13ELNS0_17block_load_methodE3ELS4_3ELS4_3ELNS0_20block_scan_algorithmE0ELj4294967295EEENS1_25partition_config_selectorILNS1_17partition_subalgoE4EjNS0_10empty_typeEbEEZZNS1_14partition_implILS8_4ELb0ES6_15HIP_vector_typeIjLj2EENS0_17counting_iteratorIjlEEPS9_SG_NS0_5tupleIJPjSI_NS0_16reverse_iteratorISI_EEEEENSH_IJSG_SG_SG_EEES9_SI_JZNS1_25segmented_radix_sort_implINS0_14default_configELb0EPKfPfPKlPlN2at6native12_GLOBAL__N_18offset_tEEE10hipError_tPvRmT1_PNSt15iterator_traitsIS12_E10value_typeET2_T3_PNS13_IS18_E10value_typeET4_jRbjT5_S1E_jjP12ihipStream_tbEUljE_ZNSN_ISO_Lb0ESQ_SR_ST_SU_SY_EESZ_S10_S11_S12_S16_S17_S18_S1B_S1C_jS1D_jS1E_S1E_jjS1G_bEUljE0_EEESZ_S10_S11_S18_S1C_S1E_T6_T7_T9_mT8_S1G_bDpT10_ENKUlT_T0_E_clISt17integral_constantIbLb0EES1U_EEDaS1P_S1Q_EUlS1P_E_NS1_11comp_targetILNS1_3genE3ELNS1_11target_archE908ELNS1_3gpuE7ELNS1_3repE0EEENS1_30default_config_static_selectorELNS0_4arch9wavefront6targetE0EEEvS12_,comdat
.Lfunc_end1359:
	.size	_ZN7rocprim17ROCPRIM_400000_NS6detail17trampoline_kernelINS0_13select_configILj256ELj13ELNS0_17block_load_methodE3ELS4_3ELS4_3ELNS0_20block_scan_algorithmE0ELj4294967295EEENS1_25partition_config_selectorILNS1_17partition_subalgoE4EjNS0_10empty_typeEbEEZZNS1_14partition_implILS8_4ELb0ES6_15HIP_vector_typeIjLj2EENS0_17counting_iteratorIjlEEPS9_SG_NS0_5tupleIJPjSI_NS0_16reverse_iteratorISI_EEEEENSH_IJSG_SG_SG_EEES9_SI_JZNS1_25segmented_radix_sort_implINS0_14default_configELb0EPKfPfPKlPlN2at6native12_GLOBAL__N_18offset_tEEE10hipError_tPvRmT1_PNSt15iterator_traitsIS12_E10value_typeET2_T3_PNS13_IS18_E10value_typeET4_jRbjT5_S1E_jjP12ihipStream_tbEUljE_ZNSN_ISO_Lb0ESQ_SR_ST_SU_SY_EESZ_S10_S11_S12_S16_S17_S18_S1B_S1C_jS1D_jS1E_S1E_jjS1G_bEUljE0_EEESZ_S10_S11_S18_S1C_S1E_T6_T7_T9_mT8_S1G_bDpT10_ENKUlT_T0_E_clISt17integral_constantIbLb0EES1U_EEDaS1P_S1Q_EUlS1P_E_NS1_11comp_targetILNS1_3genE3ELNS1_11target_archE908ELNS1_3gpuE7ELNS1_3repE0EEENS1_30default_config_static_selectorELNS0_4arch9wavefront6targetE0EEEvS12_, .Lfunc_end1359-_ZN7rocprim17ROCPRIM_400000_NS6detail17trampoline_kernelINS0_13select_configILj256ELj13ELNS0_17block_load_methodE3ELS4_3ELS4_3ELNS0_20block_scan_algorithmE0ELj4294967295EEENS1_25partition_config_selectorILNS1_17partition_subalgoE4EjNS0_10empty_typeEbEEZZNS1_14partition_implILS8_4ELb0ES6_15HIP_vector_typeIjLj2EENS0_17counting_iteratorIjlEEPS9_SG_NS0_5tupleIJPjSI_NS0_16reverse_iteratorISI_EEEEENSH_IJSG_SG_SG_EEES9_SI_JZNS1_25segmented_radix_sort_implINS0_14default_configELb0EPKfPfPKlPlN2at6native12_GLOBAL__N_18offset_tEEE10hipError_tPvRmT1_PNSt15iterator_traitsIS12_E10value_typeET2_T3_PNS13_IS18_E10value_typeET4_jRbjT5_S1E_jjP12ihipStream_tbEUljE_ZNSN_ISO_Lb0ESQ_SR_ST_SU_SY_EESZ_S10_S11_S12_S16_S17_S18_S1B_S1C_jS1D_jS1E_S1E_jjS1G_bEUljE0_EEESZ_S10_S11_S18_S1C_S1E_T6_T7_T9_mT8_S1G_bDpT10_ENKUlT_T0_E_clISt17integral_constantIbLb0EES1U_EEDaS1P_S1Q_EUlS1P_E_NS1_11comp_targetILNS1_3genE3ELNS1_11target_archE908ELNS1_3gpuE7ELNS1_3repE0EEENS1_30default_config_static_selectorELNS0_4arch9wavefront6targetE0EEEvS12_
                                        ; -- End function
	.set _ZN7rocprim17ROCPRIM_400000_NS6detail17trampoline_kernelINS0_13select_configILj256ELj13ELNS0_17block_load_methodE3ELS4_3ELS4_3ELNS0_20block_scan_algorithmE0ELj4294967295EEENS1_25partition_config_selectorILNS1_17partition_subalgoE4EjNS0_10empty_typeEbEEZZNS1_14partition_implILS8_4ELb0ES6_15HIP_vector_typeIjLj2EENS0_17counting_iteratorIjlEEPS9_SG_NS0_5tupleIJPjSI_NS0_16reverse_iteratorISI_EEEEENSH_IJSG_SG_SG_EEES9_SI_JZNS1_25segmented_radix_sort_implINS0_14default_configELb0EPKfPfPKlPlN2at6native12_GLOBAL__N_18offset_tEEE10hipError_tPvRmT1_PNSt15iterator_traitsIS12_E10value_typeET2_T3_PNS13_IS18_E10value_typeET4_jRbjT5_S1E_jjP12ihipStream_tbEUljE_ZNSN_ISO_Lb0ESQ_SR_ST_SU_SY_EESZ_S10_S11_S12_S16_S17_S18_S1B_S1C_jS1D_jS1E_S1E_jjS1G_bEUljE0_EEESZ_S10_S11_S18_S1C_S1E_T6_T7_T9_mT8_S1G_bDpT10_ENKUlT_T0_E_clISt17integral_constantIbLb0EES1U_EEDaS1P_S1Q_EUlS1P_E_NS1_11comp_targetILNS1_3genE3ELNS1_11target_archE908ELNS1_3gpuE7ELNS1_3repE0EEENS1_30default_config_static_selectorELNS0_4arch9wavefront6targetE0EEEvS12_.num_vgpr, 0
	.set _ZN7rocprim17ROCPRIM_400000_NS6detail17trampoline_kernelINS0_13select_configILj256ELj13ELNS0_17block_load_methodE3ELS4_3ELS4_3ELNS0_20block_scan_algorithmE0ELj4294967295EEENS1_25partition_config_selectorILNS1_17partition_subalgoE4EjNS0_10empty_typeEbEEZZNS1_14partition_implILS8_4ELb0ES6_15HIP_vector_typeIjLj2EENS0_17counting_iteratorIjlEEPS9_SG_NS0_5tupleIJPjSI_NS0_16reverse_iteratorISI_EEEEENSH_IJSG_SG_SG_EEES9_SI_JZNS1_25segmented_radix_sort_implINS0_14default_configELb0EPKfPfPKlPlN2at6native12_GLOBAL__N_18offset_tEEE10hipError_tPvRmT1_PNSt15iterator_traitsIS12_E10value_typeET2_T3_PNS13_IS18_E10value_typeET4_jRbjT5_S1E_jjP12ihipStream_tbEUljE_ZNSN_ISO_Lb0ESQ_SR_ST_SU_SY_EESZ_S10_S11_S12_S16_S17_S18_S1B_S1C_jS1D_jS1E_S1E_jjS1G_bEUljE0_EEESZ_S10_S11_S18_S1C_S1E_T6_T7_T9_mT8_S1G_bDpT10_ENKUlT_T0_E_clISt17integral_constantIbLb0EES1U_EEDaS1P_S1Q_EUlS1P_E_NS1_11comp_targetILNS1_3genE3ELNS1_11target_archE908ELNS1_3gpuE7ELNS1_3repE0EEENS1_30default_config_static_selectorELNS0_4arch9wavefront6targetE0EEEvS12_.num_agpr, 0
	.set _ZN7rocprim17ROCPRIM_400000_NS6detail17trampoline_kernelINS0_13select_configILj256ELj13ELNS0_17block_load_methodE3ELS4_3ELS4_3ELNS0_20block_scan_algorithmE0ELj4294967295EEENS1_25partition_config_selectorILNS1_17partition_subalgoE4EjNS0_10empty_typeEbEEZZNS1_14partition_implILS8_4ELb0ES6_15HIP_vector_typeIjLj2EENS0_17counting_iteratorIjlEEPS9_SG_NS0_5tupleIJPjSI_NS0_16reverse_iteratorISI_EEEEENSH_IJSG_SG_SG_EEES9_SI_JZNS1_25segmented_radix_sort_implINS0_14default_configELb0EPKfPfPKlPlN2at6native12_GLOBAL__N_18offset_tEEE10hipError_tPvRmT1_PNSt15iterator_traitsIS12_E10value_typeET2_T3_PNS13_IS18_E10value_typeET4_jRbjT5_S1E_jjP12ihipStream_tbEUljE_ZNSN_ISO_Lb0ESQ_SR_ST_SU_SY_EESZ_S10_S11_S12_S16_S17_S18_S1B_S1C_jS1D_jS1E_S1E_jjS1G_bEUljE0_EEESZ_S10_S11_S18_S1C_S1E_T6_T7_T9_mT8_S1G_bDpT10_ENKUlT_T0_E_clISt17integral_constantIbLb0EES1U_EEDaS1P_S1Q_EUlS1P_E_NS1_11comp_targetILNS1_3genE3ELNS1_11target_archE908ELNS1_3gpuE7ELNS1_3repE0EEENS1_30default_config_static_selectorELNS0_4arch9wavefront6targetE0EEEvS12_.numbered_sgpr, 0
	.set _ZN7rocprim17ROCPRIM_400000_NS6detail17trampoline_kernelINS0_13select_configILj256ELj13ELNS0_17block_load_methodE3ELS4_3ELS4_3ELNS0_20block_scan_algorithmE0ELj4294967295EEENS1_25partition_config_selectorILNS1_17partition_subalgoE4EjNS0_10empty_typeEbEEZZNS1_14partition_implILS8_4ELb0ES6_15HIP_vector_typeIjLj2EENS0_17counting_iteratorIjlEEPS9_SG_NS0_5tupleIJPjSI_NS0_16reverse_iteratorISI_EEEEENSH_IJSG_SG_SG_EEES9_SI_JZNS1_25segmented_radix_sort_implINS0_14default_configELb0EPKfPfPKlPlN2at6native12_GLOBAL__N_18offset_tEEE10hipError_tPvRmT1_PNSt15iterator_traitsIS12_E10value_typeET2_T3_PNS13_IS18_E10value_typeET4_jRbjT5_S1E_jjP12ihipStream_tbEUljE_ZNSN_ISO_Lb0ESQ_SR_ST_SU_SY_EESZ_S10_S11_S12_S16_S17_S18_S1B_S1C_jS1D_jS1E_S1E_jjS1G_bEUljE0_EEESZ_S10_S11_S18_S1C_S1E_T6_T7_T9_mT8_S1G_bDpT10_ENKUlT_T0_E_clISt17integral_constantIbLb0EES1U_EEDaS1P_S1Q_EUlS1P_E_NS1_11comp_targetILNS1_3genE3ELNS1_11target_archE908ELNS1_3gpuE7ELNS1_3repE0EEENS1_30default_config_static_selectorELNS0_4arch9wavefront6targetE0EEEvS12_.num_named_barrier, 0
	.set _ZN7rocprim17ROCPRIM_400000_NS6detail17trampoline_kernelINS0_13select_configILj256ELj13ELNS0_17block_load_methodE3ELS4_3ELS4_3ELNS0_20block_scan_algorithmE0ELj4294967295EEENS1_25partition_config_selectorILNS1_17partition_subalgoE4EjNS0_10empty_typeEbEEZZNS1_14partition_implILS8_4ELb0ES6_15HIP_vector_typeIjLj2EENS0_17counting_iteratorIjlEEPS9_SG_NS0_5tupleIJPjSI_NS0_16reverse_iteratorISI_EEEEENSH_IJSG_SG_SG_EEES9_SI_JZNS1_25segmented_radix_sort_implINS0_14default_configELb0EPKfPfPKlPlN2at6native12_GLOBAL__N_18offset_tEEE10hipError_tPvRmT1_PNSt15iterator_traitsIS12_E10value_typeET2_T3_PNS13_IS18_E10value_typeET4_jRbjT5_S1E_jjP12ihipStream_tbEUljE_ZNSN_ISO_Lb0ESQ_SR_ST_SU_SY_EESZ_S10_S11_S12_S16_S17_S18_S1B_S1C_jS1D_jS1E_S1E_jjS1G_bEUljE0_EEESZ_S10_S11_S18_S1C_S1E_T6_T7_T9_mT8_S1G_bDpT10_ENKUlT_T0_E_clISt17integral_constantIbLb0EES1U_EEDaS1P_S1Q_EUlS1P_E_NS1_11comp_targetILNS1_3genE3ELNS1_11target_archE908ELNS1_3gpuE7ELNS1_3repE0EEENS1_30default_config_static_selectorELNS0_4arch9wavefront6targetE0EEEvS12_.private_seg_size, 0
	.set _ZN7rocprim17ROCPRIM_400000_NS6detail17trampoline_kernelINS0_13select_configILj256ELj13ELNS0_17block_load_methodE3ELS4_3ELS4_3ELNS0_20block_scan_algorithmE0ELj4294967295EEENS1_25partition_config_selectorILNS1_17partition_subalgoE4EjNS0_10empty_typeEbEEZZNS1_14partition_implILS8_4ELb0ES6_15HIP_vector_typeIjLj2EENS0_17counting_iteratorIjlEEPS9_SG_NS0_5tupleIJPjSI_NS0_16reverse_iteratorISI_EEEEENSH_IJSG_SG_SG_EEES9_SI_JZNS1_25segmented_radix_sort_implINS0_14default_configELb0EPKfPfPKlPlN2at6native12_GLOBAL__N_18offset_tEEE10hipError_tPvRmT1_PNSt15iterator_traitsIS12_E10value_typeET2_T3_PNS13_IS18_E10value_typeET4_jRbjT5_S1E_jjP12ihipStream_tbEUljE_ZNSN_ISO_Lb0ESQ_SR_ST_SU_SY_EESZ_S10_S11_S12_S16_S17_S18_S1B_S1C_jS1D_jS1E_S1E_jjS1G_bEUljE0_EEESZ_S10_S11_S18_S1C_S1E_T6_T7_T9_mT8_S1G_bDpT10_ENKUlT_T0_E_clISt17integral_constantIbLb0EES1U_EEDaS1P_S1Q_EUlS1P_E_NS1_11comp_targetILNS1_3genE3ELNS1_11target_archE908ELNS1_3gpuE7ELNS1_3repE0EEENS1_30default_config_static_selectorELNS0_4arch9wavefront6targetE0EEEvS12_.uses_vcc, 0
	.set _ZN7rocprim17ROCPRIM_400000_NS6detail17trampoline_kernelINS0_13select_configILj256ELj13ELNS0_17block_load_methodE3ELS4_3ELS4_3ELNS0_20block_scan_algorithmE0ELj4294967295EEENS1_25partition_config_selectorILNS1_17partition_subalgoE4EjNS0_10empty_typeEbEEZZNS1_14partition_implILS8_4ELb0ES6_15HIP_vector_typeIjLj2EENS0_17counting_iteratorIjlEEPS9_SG_NS0_5tupleIJPjSI_NS0_16reverse_iteratorISI_EEEEENSH_IJSG_SG_SG_EEES9_SI_JZNS1_25segmented_radix_sort_implINS0_14default_configELb0EPKfPfPKlPlN2at6native12_GLOBAL__N_18offset_tEEE10hipError_tPvRmT1_PNSt15iterator_traitsIS12_E10value_typeET2_T3_PNS13_IS18_E10value_typeET4_jRbjT5_S1E_jjP12ihipStream_tbEUljE_ZNSN_ISO_Lb0ESQ_SR_ST_SU_SY_EESZ_S10_S11_S12_S16_S17_S18_S1B_S1C_jS1D_jS1E_S1E_jjS1G_bEUljE0_EEESZ_S10_S11_S18_S1C_S1E_T6_T7_T9_mT8_S1G_bDpT10_ENKUlT_T0_E_clISt17integral_constantIbLb0EES1U_EEDaS1P_S1Q_EUlS1P_E_NS1_11comp_targetILNS1_3genE3ELNS1_11target_archE908ELNS1_3gpuE7ELNS1_3repE0EEENS1_30default_config_static_selectorELNS0_4arch9wavefront6targetE0EEEvS12_.uses_flat_scratch, 0
	.set _ZN7rocprim17ROCPRIM_400000_NS6detail17trampoline_kernelINS0_13select_configILj256ELj13ELNS0_17block_load_methodE3ELS4_3ELS4_3ELNS0_20block_scan_algorithmE0ELj4294967295EEENS1_25partition_config_selectorILNS1_17partition_subalgoE4EjNS0_10empty_typeEbEEZZNS1_14partition_implILS8_4ELb0ES6_15HIP_vector_typeIjLj2EENS0_17counting_iteratorIjlEEPS9_SG_NS0_5tupleIJPjSI_NS0_16reverse_iteratorISI_EEEEENSH_IJSG_SG_SG_EEES9_SI_JZNS1_25segmented_radix_sort_implINS0_14default_configELb0EPKfPfPKlPlN2at6native12_GLOBAL__N_18offset_tEEE10hipError_tPvRmT1_PNSt15iterator_traitsIS12_E10value_typeET2_T3_PNS13_IS18_E10value_typeET4_jRbjT5_S1E_jjP12ihipStream_tbEUljE_ZNSN_ISO_Lb0ESQ_SR_ST_SU_SY_EESZ_S10_S11_S12_S16_S17_S18_S1B_S1C_jS1D_jS1E_S1E_jjS1G_bEUljE0_EEESZ_S10_S11_S18_S1C_S1E_T6_T7_T9_mT8_S1G_bDpT10_ENKUlT_T0_E_clISt17integral_constantIbLb0EES1U_EEDaS1P_S1Q_EUlS1P_E_NS1_11comp_targetILNS1_3genE3ELNS1_11target_archE908ELNS1_3gpuE7ELNS1_3repE0EEENS1_30default_config_static_selectorELNS0_4arch9wavefront6targetE0EEEvS12_.has_dyn_sized_stack, 0
	.set _ZN7rocprim17ROCPRIM_400000_NS6detail17trampoline_kernelINS0_13select_configILj256ELj13ELNS0_17block_load_methodE3ELS4_3ELS4_3ELNS0_20block_scan_algorithmE0ELj4294967295EEENS1_25partition_config_selectorILNS1_17partition_subalgoE4EjNS0_10empty_typeEbEEZZNS1_14partition_implILS8_4ELb0ES6_15HIP_vector_typeIjLj2EENS0_17counting_iteratorIjlEEPS9_SG_NS0_5tupleIJPjSI_NS0_16reverse_iteratorISI_EEEEENSH_IJSG_SG_SG_EEES9_SI_JZNS1_25segmented_radix_sort_implINS0_14default_configELb0EPKfPfPKlPlN2at6native12_GLOBAL__N_18offset_tEEE10hipError_tPvRmT1_PNSt15iterator_traitsIS12_E10value_typeET2_T3_PNS13_IS18_E10value_typeET4_jRbjT5_S1E_jjP12ihipStream_tbEUljE_ZNSN_ISO_Lb0ESQ_SR_ST_SU_SY_EESZ_S10_S11_S12_S16_S17_S18_S1B_S1C_jS1D_jS1E_S1E_jjS1G_bEUljE0_EEESZ_S10_S11_S18_S1C_S1E_T6_T7_T9_mT8_S1G_bDpT10_ENKUlT_T0_E_clISt17integral_constantIbLb0EES1U_EEDaS1P_S1Q_EUlS1P_E_NS1_11comp_targetILNS1_3genE3ELNS1_11target_archE908ELNS1_3gpuE7ELNS1_3repE0EEENS1_30default_config_static_selectorELNS0_4arch9wavefront6targetE0EEEvS12_.has_recursion, 0
	.set _ZN7rocprim17ROCPRIM_400000_NS6detail17trampoline_kernelINS0_13select_configILj256ELj13ELNS0_17block_load_methodE3ELS4_3ELS4_3ELNS0_20block_scan_algorithmE0ELj4294967295EEENS1_25partition_config_selectorILNS1_17partition_subalgoE4EjNS0_10empty_typeEbEEZZNS1_14partition_implILS8_4ELb0ES6_15HIP_vector_typeIjLj2EENS0_17counting_iteratorIjlEEPS9_SG_NS0_5tupleIJPjSI_NS0_16reverse_iteratorISI_EEEEENSH_IJSG_SG_SG_EEES9_SI_JZNS1_25segmented_radix_sort_implINS0_14default_configELb0EPKfPfPKlPlN2at6native12_GLOBAL__N_18offset_tEEE10hipError_tPvRmT1_PNSt15iterator_traitsIS12_E10value_typeET2_T3_PNS13_IS18_E10value_typeET4_jRbjT5_S1E_jjP12ihipStream_tbEUljE_ZNSN_ISO_Lb0ESQ_SR_ST_SU_SY_EESZ_S10_S11_S12_S16_S17_S18_S1B_S1C_jS1D_jS1E_S1E_jjS1G_bEUljE0_EEESZ_S10_S11_S18_S1C_S1E_T6_T7_T9_mT8_S1G_bDpT10_ENKUlT_T0_E_clISt17integral_constantIbLb0EES1U_EEDaS1P_S1Q_EUlS1P_E_NS1_11comp_targetILNS1_3genE3ELNS1_11target_archE908ELNS1_3gpuE7ELNS1_3repE0EEENS1_30default_config_static_selectorELNS0_4arch9wavefront6targetE0EEEvS12_.has_indirect_call, 0
	.section	.AMDGPU.csdata,"",@progbits
; Kernel info:
; codeLenInByte = 0
; TotalNumSgprs: 0
; NumVgprs: 0
; ScratchSize: 0
; MemoryBound: 0
; FloatMode: 240
; IeeeMode: 1
; LDSByteSize: 0 bytes/workgroup (compile time only)
; SGPRBlocks: 0
; VGPRBlocks: 0
; NumSGPRsForWavesPerEU: 1
; NumVGPRsForWavesPerEU: 1
; Occupancy: 16
; WaveLimiterHint : 0
; COMPUTE_PGM_RSRC2:SCRATCH_EN: 0
; COMPUTE_PGM_RSRC2:USER_SGPR: 6
; COMPUTE_PGM_RSRC2:TRAP_HANDLER: 0
; COMPUTE_PGM_RSRC2:TGID_X_EN: 1
; COMPUTE_PGM_RSRC2:TGID_Y_EN: 0
; COMPUTE_PGM_RSRC2:TGID_Z_EN: 0
; COMPUTE_PGM_RSRC2:TIDIG_COMP_CNT: 0
	.section	.text._ZN7rocprim17ROCPRIM_400000_NS6detail17trampoline_kernelINS0_13select_configILj256ELj13ELNS0_17block_load_methodE3ELS4_3ELS4_3ELNS0_20block_scan_algorithmE0ELj4294967295EEENS1_25partition_config_selectorILNS1_17partition_subalgoE4EjNS0_10empty_typeEbEEZZNS1_14partition_implILS8_4ELb0ES6_15HIP_vector_typeIjLj2EENS0_17counting_iteratorIjlEEPS9_SG_NS0_5tupleIJPjSI_NS0_16reverse_iteratorISI_EEEEENSH_IJSG_SG_SG_EEES9_SI_JZNS1_25segmented_radix_sort_implINS0_14default_configELb0EPKfPfPKlPlN2at6native12_GLOBAL__N_18offset_tEEE10hipError_tPvRmT1_PNSt15iterator_traitsIS12_E10value_typeET2_T3_PNS13_IS18_E10value_typeET4_jRbjT5_S1E_jjP12ihipStream_tbEUljE_ZNSN_ISO_Lb0ESQ_SR_ST_SU_SY_EESZ_S10_S11_S12_S16_S17_S18_S1B_S1C_jS1D_jS1E_S1E_jjS1G_bEUljE0_EEESZ_S10_S11_S18_S1C_S1E_T6_T7_T9_mT8_S1G_bDpT10_ENKUlT_T0_E_clISt17integral_constantIbLb0EES1U_EEDaS1P_S1Q_EUlS1P_E_NS1_11comp_targetILNS1_3genE2ELNS1_11target_archE906ELNS1_3gpuE6ELNS1_3repE0EEENS1_30default_config_static_selectorELNS0_4arch9wavefront6targetE0EEEvS12_,"axG",@progbits,_ZN7rocprim17ROCPRIM_400000_NS6detail17trampoline_kernelINS0_13select_configILj256ELj13ELNS0_17block_load_methodE3ELS4_3ELS4_3ELNS0_20block_scan_algorithmE0ELj4294967295EEENS1_25partition_config_selectorILNS1_17partition_subalgoE4EjNS0_10empty_typeEbEEZZNS1_14partition_implILS8_4ELb0ES6_15HIP_vector_typeIjLj2EENS0_17counting_iteratorIjlEEPS9_SG_NS0_5tupleIJPjSI_NS0_16reverse_iteratorISI_EEEEENSH_IJSG_SG_SG_EEES9_SI_JZNS1_25segmented_radix_sort_implINS0_14default_configELb0EPKfPfPKlPlN2at6native12_GLOBAL__N_18offset_tEEE10hipError_tPvRmT1_PNSt15iterator_traitsIS12_E10value_typeET2_T3_PNS13_IS18_E10value_typeET4_jRbjT5_S1E_jjP12ihipStream_tbEUljE_ZNSN_ISO_Lb0ESQ_SR_ST_SU_SY_EESZ_S10_S11_S12_S16_S17_S18_S1B_S1C_jS1D_jS1E_S1E_jjS1G_bEUljE0_EEESZ_S10_S11_S18_S1C_S1E_T6_T7_T9_mT8_S1G_bDpT10_ENKUlT_T0_E_clISt17integral_constantIbLb0EES1U_EEDaS1P_S1Q_EUlS1P_E_NS1_11comp_targetILNS1_3genE2ELNS1_11target_archE906ELNS1_3gpuE6ELNS1_3repE0EEENS1_30default_config_static_selectorELNS0_4arch9wavefront6targetE0EEEvS12_,comdat
	.globl	_ZN7rocprim17ROCPRIM_400000_NS6detail17trampoline_kernelINS0_13select_configILj256ELj13ELNS0_17block_load_methodE3ELS4_3ELS4_3ELNS0_20block_scan_algorithmE0ELj4294967295EEENS1_25partition_config_selectorILNS1_17partition_subalgoE4EjNS0_10empty_typeEbEEZZNS1_14partition_implILS8_4ELb0ES6_15HIP_vector_typeIjLj2EENS0_17counting_iteratorIjlEEPS9_SG_NS0_5tupleIJPjSI_NS0_16reverse_iteratorISI_EEEEENSH_IJSG_SG_SG_EEES9_SI_JZNS1_25segmented_radix_sort_implINS0_14default_configELb0EPKfPfPKlPlN2at6native12_GLOBAL__N_18offset_tEEE10hipError_tPvRmT1_PNSt15iterator_traitsIS12_E10value_typeET2_T3_PNS13_IS18_E10value_typeET4_jRbjT5_S1E_jjP12ihipStream_tbEUljE_ZNSN_ISO_Lb0ESQ_SR_ST_SU_SY_EESZ_S10_S11_S12_S16_S17_S18_S1B_S1C_jS1D_jS1E_S1E_jjS1G_bEUljE0_EEESZ_S10_S11_S18_S1C_S1E_T6_T7_T9_mT8_S1G_bDpT10_ENKUlT_T0_E_clISt17integral_constantIbLb0EES1U_EEDaS1P_S1Q_EUlS1P_E_NS1_11comp_targetILNS1_3genE2ELNS1_11target_archE906ELNS1_3gpuE6ELNS1_3repE0EEENS1_30default_config_static_selectorELNS0_4arch9wavefront6targetE0EEEvS12_ ; -- Begin function _ZN7rocprim17ROCPRIM_400000_NS6detail17trampoline_kernelINS0_13select_configILj256ELj13ELNS0_17block_load_methodE3ELS4_3ELS4_3ELNS0_20block_scan_algorithmE0ELj4294967295EEENS1_25partition_config_selectorILNS1_17partition_subalgoE4EjNS0_10empty_typeEbEEZZNS1_14partition_implILS8_4ELb0ES6_15HIP_vector_typeIjLj2EENS0_17counting_iteratorIjlEEPS9_SG_NS0_5tupleIJPjSI_NS0_16reverse_iteratorISI_EEEEENSH_IJSG_SG_SG_EEES9_SI_JZNS1_25segmented_radix_sort_implINS0_14default_configELb0EPKfPfPKlPlN2at6native12_GLOBAL__N_18offset_tEEE10hipError_tPvRmT1_PNSt15iterator_traitsIS12_E10value_typeET2_T3_PNS13_IS18_E10value_typeET4_jRbjT5_S1E_jjP12ihipStream_tbEUljE_ZNSN_ISO_Lb0ESQ_SR_ST_SU_SY_EESZ_S10_S11_S12_S16_S17_S18_S1B_S1C_jS1D_jS1E_S1E_jjS1G_bEUljE0_EEESZ_S10_S11_S18_S1C_S1E_T6_T7_T9_mT8_S1G_bDpT10_ENKUlT_T0_E_clISt17integral_constantIbLb0EES1U_EEDaS1P_S1Q_EUlS1P_E_NS1_11comp_targetILNS1_3genE2ELNS1_11target_archE906ELNS1_3gpuE6ELNS1_3repE0EEENS1_30default_config_static_selectorELNS0_4arch9wavefront6targetE0EEEvS12_
	.p2align	8
	.type	_ZN7rocprim17ROCPRIM_400000_NS6detail17trampoline_kernelINS0_13select_configILj256ELj13ELNS0_17block_load_methodE3ELS4_3ELS4_3ELNS0_20block_scan_algorithmE0ELj4294967295EEENS1_25partition_config_selectorILNS1_17partition_subalgoE4EjNS0_10empty_typeEbEEZZNS1_14partition_implILS8_4ELb0ES6_15HIP_vector_typeIjLj2EENS0_17counting_iteratorIjlEEPS9_SG_NS0_5tupleIJPjSI_NS0_16reverse_iteratorISI_EEEEENSH_IJSG_SG_SG_EEES9_SI_JZNS1_25segmented_radix_sort_implINS0_14default_configELb0EPKfPfPKlPlN2at6native12_GLOBAL__N_18offset_tEEE10hipError_tPvRmT1_PNSt15iterator_traitsIS12_E10value_typeET2_T3_PNS13_IS18_E10value_typeET4_jRbjT5_S1E_jjP12ihipStream_tbEUljE_ZNSN_ISO_Lb0ESQ_SR_ST_SU_SY_EESZ_S10_S11_S12_S16_S17_S18_S1B_S1C_jS1D_jS1E_S1E_jjS1G_bEUljE0_EEESZ_S10_S11_S18_S1C_S1E_T6_T7_T9_mT8_S1G_bDpT10_ENKUlT_T0_E_clISt17integral_constantIbLb0EES1U_EEDaS1P_S1Q_EUlS1P_E_NS1_11comp_targetILNS1_3genE2ELNS1_11target_archE906ELNS1_3gpuE6ELNS1_3repE0EEENS1_30default_config_static_selectorELNS0_4arch9wavefront6targetE0EEEvS12_,@function
_ZN7rocprim17ROCPRIM_400000_NS6detail17trampoline_kernelINS0_13select_configILj256ELj13ELNS0_17block_load_methodE3ELS4_3ELS4_3ELNS0_20block_scan_algorithmE0ELj4294967295EEENS1_25partition_config_selectorILNS1_17partition_subalgoE4EjNS0_10empty_typeEbEEZZNS1_14partition_implILS8_4ELb0ES6_15HIP_vector_typeIjLj2EENS0_17counting_iteratorIjlEEPS9_SG_NS0_5tupleIJPjSI_NS0_16reverse_iteratorISI_EEEEENSH_IJSG_SG_SG_EEES9_SI_JZNS1_25segmented_radix_sort_implINS0_14default_configELb0EPKfPfPKlPlN2at6native12_GLOBAL__N_18offset_tEEE10hipError_tPvRmT1_PNSt15iterator_traitsIS12_E10value_typeET2_T3_PNS13_IS18_E10value_typeET4_jRbjT5_S1E_jjP12ihipStream_tbEUljE_ZNSN_ISO_Lb0ESQ_SR_ST_SU_SY_EESZ_S10_S11_S12_S16_S17_S18_S1B_S1C_jS1D_jS1E_S1E_jjS1G_bEUljE0_EEESZ_S10_S11_S18_S1C_S1E_T6_T7_T9_mT8_S1G_bDpT10_ENKUlT_T0_E_clISt17integral_constantIbLb0EES1U_EEDaS1P_S1Q_EUlS1P_E_NS1_11comp_targetILNS1_3genE2ELNS1_11target_archE906ELNS1_3gpuE6ELNS1_3repE0EEENS1_30default_config_static_selectorELNS0_4arch9wavefront6targetE0EEEvS12_: ; @_ZN7rocprim17ROCPRIM_400000_NS6detail17trampoline_kernelINS0_13select_configILj256ELj13ELNS0_17block_load_methodE3ELS4_3ELS4_3ELNS0_20block_scan_algorithmE0ELj4294967295EEENS1_25partition_config_selectorILNS1_17partition_subalgoE4EjNS0_10empty_typeEbEEZZNS1_14partition_implILS8_4ELb0ES6_15HIP_vector_typeIjLj2EENS0_17counting_iteratorIjlEEPS9_SG_NS0_5tupleIJPjSI_NS0_16reverse_iteratorISI_EEEEENSH_IJSG_SG_SG_EEES9_SI_JZNS1_25segmented_radix_sort_implINS0_14default_configELb0EPKfPfPKlPlN2at6native12_GLOBAL__N_18offset_tEEE10hipError_tPvRmT1_PNSt15iterator_traitsIS12_E10value_typeET2_T3_PNS13_IS18_E10value_typeET4_jRbjT5_S1E_jjP12ihipStream_tbEUljE_ZNSN_ISO_Lb0ESQ_SR_ST_SU_SY_EESZ_S10_S11_S12_S16_S17_S18_S1B_S1C_jS1D_jS1E_S1E_jjS1G_bEUljE0_EEESZ_S10_S11_S18_S1C_S1E_T6_T7_T9_mT8_S1G_bDpT10_ENKUlT_T0_E_clISt17integral_constantIbLb0EES1U_EEDaS1P_S1Q_EUlS1P_E_NS1_11comp_targetILNS1_3genE2ELNS1_11target_archE906ELNS1_3gpuE6ELNS1_3repE0EEENS1_30default_config_static_selectorELNS0_4arch9wavefront6targetE0EEEvS12_
; %bb.0:
	.section	.rodata,"a",@progbits
	.p2align	6, 0x0
	.amdhsa_kernel _ZN7rocprim17ROCPRIM_400000_NS6detail17trampoline_kernelINS0_13select_configILj256ELj13ELNS0_17block_load_methodE3ELS4_3ELS4_3ELNS0_20block_scan_algorithmE0ELj4294967295EEENS1_25partition_config_selectorILNS1_17partition_subalgoE4EjNS0_10empty_typeEbEEZZNS1_14partition_implILS8_4ELb0ES6_15HIP_vector_typeIjLj2EENS0_17counting_iteratorIjlEEPS9_SG_NS0_5tupleIJPjSI_NS0_16reverse_iteratorISI_EEEEENSH_IJSG_SG_SG_EEES9_SI_JZNS1_25segmented_radix_sort_implINS0_14default_configELb0EPKfPfPKlPlN2at6native12_GLOBAL__N_18offset_tEEE10hipError_tPvRmT1_PNSt15iterator_traitsIS12_E10value_typeET2_T3_PNS13_IS18_E10value_typeET4_jRbjT5_S1E_jjP12ihipStream_tbEUljE_ZNSN_ISO_Lb0ESQ_SR_ST_SU_SY_EESZ_S10_S11_S12_S16_S17_S18_S1B_S1C_jS1D_jS1E_S1E_jjS1G_bEUljE0_EEESZ_S10_S11_S18_S1C_S1E_T6_T7_T9_mT8_S1G_bDpT10_ENKUlT_T0_E_clISt17integral_constantIbLb0EES1U_EEDaS1P_S1Q_EUlS1P_E_NS1_11comp_targetILNS1_3genE2ELNS1_11target_archE906ELNS1_3gpuE6ELNS1_3repE0EEENS1_30default_config_static_selectorELNS0_4arch9wavefront6targetE0EEEvS12_
		.amdhsa_group_segment_fixed_size 0
		.amdhsa_private_segment_fixed_size 0
		.amdhsa_kernarg_size 176
		.amdhsa_user_sgpr_count 6
		.amdhsa_user_sgpr_private_segment_buffer 1
		.amdhsa_user_sgpr_dispatch_ptr 0
		.amdhsa_user_sgpr_queue_ptr 0
		.amdhsa_user_sgpr_kernarg_segment_ptr 1
		.amdhsa_user_sgpr_dispatch_id 0
		.amdhsa_user_sgpr_flat_scratch_init 0
		.amdhsa_user_sgpr_private_segment_size 0
		.amdhsa_wavefront_size32 1
		.amdhsa_uses_dynamic_stack 0
		.amdhsa_system_sgpr_private_segment_wavefront_offset 0
		.amdhsa_system_sgpr_workgroup_id_x 1
		.amdhsa_system_sgpr_workgroup_id_y 0
		.amdhsa_system_sgpr_workgroup_id_z 0
		.amdhsa_system_sgpr_workgroup_info 0
		.amdhsa_system_vgpr_workitem_id 0
		.amdhsa_next_free_vgpr 1
		.amdhsa_next_free_sgpr 1
		.amdhsa_reserve_vcc 0
		.amdhsa_reserve_flat_scratch 0
		.amdhsa_float_round_mode_32 0
		.amdhsa_float_round_mode_16_64 0
		.amdhsa_float_denorm_mode_32 3
		.amdhsa_float_denorm_mode_16_64 3
		.amdhsa_dx10_clamp 1
		.amdhsa_ieee_mode 1
		.amdhsa_fp16_overflow 0
		.amdhsa_workgroup_processor_mode 1
		.amdhsa_memory_ordered 1
		.amdhsa_forward_progress 1
		.amdhsa_shared_vgpr_count 0
		.amdhsa_exception_fp_ieee_invalid_op 0
		.amdhsa_exception_fp_denorm_src 0
		.amdhsa_exception_fp_ieee_div_zero 0
		.amdhsa_exception_fp_ieee_overflow 0
		.amdhsa_exception_fp_ieee_underflow 0
		.amdhsa_exception_fp_ieee_inexact 0
		.amdhsa_exception_int_div_zero 0
	.end_amdhsa_kernel
	.section	.text._ZN7rocprim17ROCPRIM_400000_NS6detail17trampoline_kernelINS0_13select_configILj256ELj13ELNS0_17block_load_methodE3ELS4_3ELS4_3ELNS0_20block_scan_algorithmE0ELj4294967295EEENS1_25partition_config_selectorILNS1_17partition_subalgoE4EjNS0_10empty_typeEbEEZZNS1_14partition_implILS8_4ELb0ES6_15HIP_vector_typeIjLj2EENS0_17counting_iteratorIjlEEPS9_SG_NS0_5tupleIJPjSI_NS0_16reverse_iteratorISI_EEEEENSH_IJSG_SG_SG_EEES9_SI_JZNS1_25segmented_radix_sort_implINS0_14default_configELb0EPKfPfPKlPlN2at6native12_GLOBAL__N_18offset_tEEE10hipError_tPvRmT1_PNSt15iterator_traitsIS12_E10value_typeET2_T3_PNS13_IS18_E10value_typeET4_jRbjT5_S1E_jjP12ihipStream_tbEUljE_ZNSN_ISO_Lb0ESQ_SR_ST_SU_SY_EESZ_S10_S11_S12_S16_S17_S18_S1B_S1C_jS1D_jS1E_S1E_jjS1G_bEUljE0_EEESZ_S10_S11_S18_S1C_S1E_T6_T7_T9_mT8_S1G_bDpT10_ENKUlT_T0_E_clISt17integral_constantIbLb0EES1U_EEDaS1P_S1Q_EUlS1P_E_NS1_11comp_targetILNS1_3genE2ELNS1_11target_archE906ELNS1_3gpuE6ELNS1_3repE0EEENS1_30default_config_static_selectorELNS0_4arch9wavefront6targetE0EEEvS12_,"axG",@progbits,_ZN7rocprim17ROCPRIM_400000_NS6detail17trampoline_kernelINS0_13select_configILj256ELj13ELNS0_17block_load_methodE3ELS4_3ELS4_3ELNS0_20block_scan_algorithmE0ELj4294967295EEENS1_25partition_config_selectorILNS1_17partition_subalgoE4EjNS0_10empty_typeEbEEZZNS1_14partition_implILS8_4ELb0ES6_15HIP_vector_typeIjLj2EENS0_17counting_iteratorIjlEEPS9_SG_NS0_5tupleIJPjSI_NS0_16reverse_iteratorISI_EEEEENSH_IJSG_SG_SG_EEES9_SI_JZNS1_25segmented_radix_sort_implINS0_14default_configELb0EPKfPfPKlPlN2at6native12_GLOBAL__N_18offset_tEEE10hipError_tPvRmT1_PNSt15iterator_traitsIS12_E10value_typeET2_T3_PNS13_IS18_E10value_typeET4_jRbjT5_S1E_jjP12ihipStream_tbEUljE_ZNSN_ISO_Lb0ESQ_SR_ST_SU_SY_EESZ_S10_S11_S12_S16_S17_S18_S1B_S1C_jS1D_jS1E_S1E_jjS1G_bEUljE0_EEESZ_S10_S11_S18_S1C_S1E_T6_T7_T9_mT8_S1G_bDpT10_ENKUlT_T0_E_clISt17integral_constantIbLb0EES1U_EEDaS1P_S1Q_EUlS1P_E_NS1_11comp_targetILNS1_3genE2ELNS1_11target_archE906ELNS1_3gpuE6ELNS1_3repE0EEENS1_30default_config_static_selectorELNS0_4arch9wavefront6targetE0EEEvS12_,comdat
.Lfunc_end1360:
	.size	_ZN7rocprim17ROCPRIM_400000_NS6detail17trampoline_kernelINS0_13select_configILj256ELj13ELNS0_17block_load_methodE3ELS4_3ELS4_3ELNS0_20block_scan_algorithmE0ELj4294967295EEENS1_25partition_config_selectorILNS1_17partition_subalgoE4EjNS0_10empty_typeEbEEZZNS1_14partition_implILS8_4ELb0ES6_15HIP_vector_typeIjLj2EENS0_17counting_iteratorIjlEEPS9_SG_NS0_5tupleIJPjSI_NS0_16reverse_iteratorISI_EEEEENSH_IJSG_SG_SG_EEES9_SI_JZNS1_25segmented_radix_sort_implINS0_14default_configELb0EPKfPfPKlPlN2at6native12_GLOBAL__N_18offset_tEEE10hipError_tPvRmT1_PNSt15iterator_traitsIS12_E10value_typeET2_T3_PNS13_IS18_E10value_typeET4_jRbjT5_S1E_jjP12ihipStream_tbEUljE_ZNSN_ISO_Lb0ESQ_SR_ST_SU_SY_EESZ_S10_S11_S12_S16_S17_S18_S1B_S1C_jS1D_jS1E_S1E_jjS1G_bEUljE0_EEESZ_S10_S11_S18_S1C_S1E_T6_T7_T9_mT8_S1G_bDpT10_ENKUlT_T0_E_clISt17integral_constantIbLb0EES1U_EEDaS1P_S1Q_EUlS1P_E_NS1_11comp_targetILNS1_3genE2ELNS1_11target_archE906ELNS1_3gpuE6ELNS1_3repE0EEENS1_30default_config_static_selectorELNS0_4arch9wavefront6targetE0EEEvS12_, .Lfunc_end1360-_ZN7rocprim17ROCPRIM_400000_NS6detail17trampoline_kernelINS0_13select_configILj256ELj13ELNS0_17block_load_methodE3ELS4_3ELS4_3ELNS0_20block_scan_algorithmE0ELj4294967295EEENS1_25partition_config_selectorILNS1_17partition_subalgoE4EjNS0_10empty_typeEbEEZZNS1_14partition_implILS8_4ELb0ES6_15HIP_vector_typeIjLj2EENS0_17counting_iteratorIjlEEPS9_SG_NS0_5tupleIJPjSI_NS0_16reverse_iteratorISI_EEEEENSH_IJSG_SG_SG_EEES9_SI_JZNS1_25segmented_radix_sort_implINS0_14default_configELb0EPKfPfPKlPlN2at6native12_GLOBAL__N_18offset_tEEE10hipError_tPvRmT1_PNSt15iterator_traitsIS12_E10value_typeET2_T3_PNS13_IS18_E10value_typeET4_jRbjT5_S1E_jjP12ihipStream_tbEUljE_ZNSN_ISO_Lb0ESQ_SR_ST_SU_SY_EESZ_S10_S11_S12_S16_S17_S18_S1B_S1C_jS1D_jS1E_S1E_jjS1G_bEUljE0_EEESZ_S10_S11_S18_S1C_S1E_T6_T7_T9_mT8_S1G_bDpT10_ENKUlT_T0_E_clISt17integral_constantIbLb0EES1U_EEDaS1P_S1Q_EUlS1P_E_NS1_11comp_targetILNS1_3genE2ELNS1_11target_archE906ELNS1_3gpuE6ELNS1_3repE0EEENS1_30default_config_static_selectorELNS0_4arch9wavefront6targetE0EEEvS12_
                                        ; -- End function
	.set _ZN7rocprim17ROCPRIM_400000_NS6detail17trampoline_kernelINS0_13select_configILj256ELj13ELNS0_17block_load_methodE3ELS4_3ELS4_3ELNS0_20block_scan_algorithmE0ELj4294967295EEENS1_25partition_config_selectorILNS1_17partition_subalgoE4EjNS0_10empty_typeEbEEZZNS1_14partition_implILS8_4ELb0ES6_15HIP_vector_typeIjLj2EENS0_17counting_iteratorIjlEEPS9_SG_NS0_5tupleIJPjSI_NS0_16reverse_iteratorISI_EEEEENSH_IJSG_SG_SG_EEES9_SI_JZNS1_25segmented_radix_sort_implINS0_14default_configELb0EPKfPfPKlPlN2at6native12_GLOBAL__N_18offset_tEEE10hipError_tPvRmT1_PNSt15iterator_traitsIS12_E10value_typeET2_T3_PNS13_IS18_E10value_typeET4_jRbjT5_S1E_jjP12ihipStream_tbEUljE_ZNSN_ISO_Lb0ESQ_SR_ST_SU_SY_EESZ_S10_S11_S12_S16_S17_S18_S1B_S1C_jS1D_jS1E_S1E_jjS1G_bEUljE0_EEESZ_S10_S11_S18_S1C_S1E_T6_T7_T9_mT8_S1G_bDpT10_ENKUlT_T0_E_clISt17integral_constantIbLb0EES1U_EEDaS1P_S1Q_EUlS1P_E_NS1_11comp_targetILNS1_3genE2ELNS1_11target_archE906ELNS1_3gpuE6ELNS1_3repE0EEENS1_30default_config_static_selectorELNS0_4arch9wavefront6targetE0EEEvS12_.num_vgpr, 0
	.set _ZN7rocprim17ROCPRIM_400000_NS6detail17trampoline_kernelINS0_13select_configILj256ELj13ELNS0_17block_load_methodE3ELS4_3ELS4_3ELNS0_20block_scan_algorithmE0ELj4294967295EEENS1_25partition_config_selectorILNS1_17partition_subalgoE4EjNS0_10empty_typeEbEEZZNS1_14partition_implILS8_4ELb0ES6_15HIP_vector_typeIjLj2EENS0_17counting_iteratorIjlEEPS9_SG_NS0_5tupleIJPjSI_NS0_16reverse_iteratorISI_EEEEENSH_IJSG_SG_SG_EEES9_SI_JZNS1_25segmented_radix_sort_implINS0_14default_configELb0EPKfPfPKlPlN2at6native12_GLOBAL__N_18offset_tEEE10hipError_tPvRmT1_PNSt15iterator_traitsIS12_E10value_typeET2_T3_PNS13_IS18_E10value_typeET4_jRbjT5_S1E_jjP12ihipStream_tbEUljE_ZNSN_ISO_Lb0ESQ_SR_ST_SU_SY_EESZ_S10_S11_S12_S16_S17_S18_S1B_S1C_jS1D_jS1E_S1E_jjS1G_bEUljE0_EEESZ_S10_S11_S18_S1C_S1E_T6_T7_T9_mT8_S1G_bDpT10_ENKUlT_T0_E_clISt17integral_constantIbLb0EES1U_EEDaS1P_S1Q_EUlS1P_E_NS1_11comp_targetILNS1_3genE2ELNS1_11target_archE906ELNS1_3gpuE6ELNS1_3repE0EEENS1_30default_config_static_selectorELNS0_4arch9wavefront6targetE0EEEvS12_.num_agpr, 0
	.set _ZN7rocprim17ROCPRIM_400000_NS6detail17trampoline_kernelINS0_13select_configILj256ELj13ELNS0_17block_load_methodE3ELS4_3ELS4_3ELNS0_20block_scan_algorithmE0ELj4294967295EEENS1_25partition_config_selectorILNS1_17partition_subalgoE4EjNS0_10empty_typeEbEEZZNS1_14partition_implILS8_4ELb0ES6_15HIP_vector_typeIjLj2EENS0_17counting_iteratorIjlEEPS9_SG_NS0_5tupleIJPjSI_NS0_16reverse_iteratorISI_EEEEENSH_IJSG_SG_SG_EEES9_SI_JZNS1_25segmented_radix_sort_implINS0_14default_configELb0EPKfPfPKlPlN2at6native12_GLOBAL__N_18offset_tEEE10hipError_tPvRmT1_PNSt15iterator_traitsIS12_E10value_typeET2_T3_PNS13_IS18_E10value_typeET4_jRbjT5_S1E_jjP12ihipStream_tbEUljE_ZNSN_ISO_Lb0ESQ_SR_ST_SU_SY_EESZ_S10_S11_S12_S16_S17_S18_S1B_S1C_jS1D_jS1E_S1E_jjS1G_bEUljE0_EEESZ_S10_S11_S18_S1C_S1E_T6_T7_T9_mT8_S1G_bDpT10_ENKUlT_T0_E_clISt17integral_constantIbLb0EES1U_EEDaS1P_S1Q_EUlS1P_E_NS1_11comp_targetILNS1_3genE2ELNS1_11target_archE906ELNS1_3gpuE6ELNS1_3repE0EEENS1_30default_config_static_selectorELNS0_4arch9wavefront6targetE0EEEvS12_.numbered_sgpr, 0
	.set _ZN7rocprim17ROCPRIM_400000_NS6detail17trampoline_kernelINS0_13select_configILj256ELj13ELNS0_17block_load_methodE3ELS4_3ELS4_3ELNS0_20block_scan_algorithmE0ELj4294967295EEENS1_25partition_config_selectorILNS1_17partition_subalgoE4EjNS0_10empty_typeEbEEZZNS1_14partition_implILS8_4ELb0ES6_15HIP_vector_typeIjLj2EENS0_17counting_iteratorIjlEEPS9_SG_NS0_5tupleIJPjSI_NS0_16reverse_iteratorISI_EEEEENSH_IJSG_SG_SG_EEES9_SI_JZNS1_25segmented_radix_sort_implINS0_14default_configELb0EPKfPfPKlPlN2at6native12_GLOBAL__N_18offset_tEEE10hipError_tPvRmT1_PNSt15iterator_traitsIS12_E10value_typeET2_T3_PNS13_IS18_E10value_typeET4_jRbjT5_S1E_jjP12ihipStream_tbEUljE_ZNSN_ISO_Lb0ESQ_SR_ST_SU_SY_EESZ_S10_S11_S12_S16_S17_S18_S1B_S1C_jS1D_jS1E_S1E_jjS1G_bEUljE0_EEESZ_S10_S11_S18_S1C_S1E_T6_T7_T9_mT8_S1G_bDpT10_ENKUlT_T0_E_clISt17integral_constantIbLb0EES1U_EEDaS1P_S1Q_EUlS1P_E_NS1_11comp_targetILNS1_3genE2ELNS1_11target_archE906ELNS1_3gpuE6ELNS1_3repE0EEENS1_30default_config_static_selectorELNS0_4arch9wavefront6targetE0EEEvS12_.num_named_barrier, 0
	.set _ZN7rocprim17ROCPRIM_400000_NS6detail17trampoline_kernelINS0_13select_configILj256ELj13ELNS0_17block_load_methodE3ELS4_3ELS4_3ELNS0_20block_scan_algorithmE0ELj4294967295EEENS1_25partition_config_selectorILNS1_17partition_subalgoE4EjNS0_10empty_typeEbEEZZNS1_14partition_implILS8_4ELb0ES6_15HIP_vector_typeIjLj2EENS0_17counting_iteratorIjlEEPS9_SG_NS0_5tupleIJPjSI_NS0_16reverse_iteratorISI_EEEEENSH_IJSG_SG_SG_EEES9_SI_JZNS1_25segmented_radix_sort_implINS0_14default_configELb0EPKfPfPKlPlN2at6native12_GLOBAL__N_18offset_tEEE10hipError_tPvRmT1_PNSt15iterator_traitsIS12_E10value_typeET2_T3_PNS13_IS18_E10value_typeET4_jRbjT5_S1E_jjP12ihipStream_tbEUljE_ZNSN_ISO_Lb0ESQ_SR_ST_SU_SY_EESZ_S10_S11_S12_S16_S17_S18_S1B_S1C_jS1D_jS1E_S1E_jjS1G_bEUljE0_EEESZ_S10_S11_S18_S1C_S1E_T6_T7_T9_mT8_S1G_bDpT10_ENKUlT_T0_E_clISt17integral_constantIbLb0EES1U_EEDaS1P_S1Q_EUlS1P_E_NS1_11comp_targetILNS1_3genE2ELNS1_11target_archE906ELNS1_3gpuE6ELNS1_3repE0EEENS1_30default_config_static_selectorELNS0_4arch9wavefront6targetE0EEEvS12_.private_seg_size, 0
	.set _ZN7rocprim17ROCPRIM_400000_NS6detail17trampoline_kernelINS0_13select_configILj256ELj13ELNS0_17block_load_methodE3ELS4_3ELS4_3ELNS0_20block_scan_algorithmE0ELj4294967295EEENS1_25partition_config_selectorILNS1_17partition_subalgoE4EjNS0_10empty_typeEbEEZZNS1_14partition_implILS8_4ELb0ES6_15HIP_vector_typeIjLj2EENS0_17counting_iteratorIjlEEPS9_SG_NS0_5tupleIJPjSI_NS0_16reverse_iteratorISI_EEEEENSH_IJSG_SG_SG_EEES9_SI_JZNS1_25segmented_radix_sort_implINS0_14default_configELb0EPKfPfPKlPlN2at6native12_GLOBAL__N_18offset_tEEE10hipError_tPvRmT1_PNSt15iterator_traitsIS12_E10value_typeET2_T3_PNS13_IS18_E10value_typeET4_jRbjT5_S1E_jjP12ihipStream_tbEUljE_ZNSN_ISO_Lb0ESQ_SR_ST_SU_SY_EESZ_S10_S11_S12_S16_S17_S18_S1B_S1C_jS1D_jS1E_S1E_jjS1G_bEUljE0_EEESZ_S10_S11_S18_S1C_S1E_T6_T7_T9_mT8_S1G_bDpT10_ENKUlT_T0_E_clISt17integral_constantIbLb0EES1U_EEDaS1P_S1Q_EUlS1P_E_NS1_11comp_targetILNS1_3genE2ELNS1_11target_archE906ELNS1_3gpuE6ELNS1_3repE0EEENS1_30default_config_static_selectorELNS0_4arch9wavefront6targetE0EEEvS12_.uses_vcc, 0
	.set _ZN7rocprim17ROCPRIM_400000_NS6detail17trampoline_kernelINS0_13select_configILj256ELj13ELNS0_17block_load_methodE3ELS4_3ELS4_3ELNS0_20block_scan_algorithmE0ELj4294967295EEENS1_25partition_config_selectorILNS1_17partition_subalgoE4EjNS0_10empty_typeEbEEZZNS1_14partition_implILS8_4ELb0ES6_15HIP_vector_typeIjLj2EENS0_17counting_iteratorIjlEEPS9_SG_NS0_5tupleIJPjSI_NS0_16reverse_iteratorISI_EEEEENSH_IJSG_SG_SG_EEES9_SI_JZNS1_25segmented_radix_sort_implINS0_14default_configELb0EPKfPfPKlPlN2at6native12_GLOBAL__N_18offset_tEEE10hipError_tPvRmT1_PNSt15iterator_traitsIS12_E10value_typeET2_T3_PNS13_IS18_E10value_typeET4_jRbjT5_S1E_jjP12ihipStream_tbEUljE_ZNSN_ISO_Lb0ESQ_SR_ST_SU_SY_EESZ_S10_S11_S12_S16_S17_S18_S1B_S1C_jS1D_jS1E_S1E_jjS1G_bEUljE0_EEESZ_S10_S11_S18_S1C_S1E_T6_T7_T9_mT8_S1G_bDpT10_ENKUlT_T0_E_clISt17integral_constantIbLb0EES1U_EEDaS1P_S1Q_EUlS1P_E_NS1_11comp_targetILNS1_3genE2ELNS1_11target_archE906ELNS1_3gpuE6ELNS1_3repE0EEENS1_30default_config_static_selectorELNS0_4arch9wavefront6targetE0EEEvS12_.uses_flat_scratch, 0
	.set _ZN7rocprim17ROCPRIM_400000_NS6detail17trampoline_kernelINS0_13select_configILj256ELj13ELNS0_17block_load_methodE3ELS4_3ELS4_3ELNS0_20block_scan_algorithmE0ELj4294967295EEENS1_25partition_config_selectorILNS1_17partition_subalgoE4EjNS0_10empty_typeEbEEZZNS1_14partition_implILS8_4ELb0ES6_15HIP_vector_typeIjLj2EENS0_17counting_iteratorIjlEEPS9_SG_NS0_5tupleIJPjSI_NS0_16reverse_iteratorISI_EEEEENSH_IJSG_SG_SG_EEES9_SI_JZNS1_25segmented_radix_sort_implINS0_14default_configELb0EPKfPfPKlPlN2at6native12_GLOBAL__N_18offset_tEEE10hipError_tPvRmT1_PNSt15iterator_traitsIS12_E10value_typeET2_T3_PNS13_IS18_E10value_typeET4_jRbjT5_S1E_jjP12ihipStream_tbEUljE_ZNSN_ISO_Lb0ESQ_SR_ST_SU_SY_EESZ_S10_S11_S12_S16_S17_S18_S1B_S1C_jS1D_jS1E_S1E_jjS1G_bEUljE0_EEESZ_S10_S11_S18_S1C_S1E_T6_T7_T9_mT8_S1G_bDpT10_ENKUlT_T0_E_clISt17integral_constantIbLb0EES1U_EEDaS1P_S1Q_EUlS1P_E_NS1_11comp_targetILNS1_3genE2ELNS1_11target_archE906ELNS1_3gpuE6ELNS1_3repE0EEENS1_30default_config_static_selectorELNS0_4arch9wavefront6targetE0EEEvS12_.has_dyn_sized_stack, 0
	.set _ZN7rocprim17ROCPRIM_400000_NS6detail17trampoline_kernelINS0_13select_configILj256ELj13ELNS0_17block_load_methodE3ELS4_3ELS4_3ELNS0_20block_scan_algorithmE0ELj4294967295EEENS1_25partition_config_selectorILNS1_17partition_subalgoE4EjNS0_10empty_typeEbEEZZNS1_14partition_implILS8_4ELb0ES6_15HIP_vector_typeIjLj2EENS0_17counting_iteratorIjlEEPS9_SG_NS0_5tupleIJPjSI_NS0_16reverse_iteratorISI_EEEEENSH_IJSG_SG_SG_EEES9_SI_JZNS1_25segmented_radix_sort_implINS0_14default_configELb0EPKfPfPKlPlN2at6native12_GLOBAL__N_18offset_tEEE10hipError_tPvRmT1_PNSt15iterator_traitsIS12_E10value_typeET2_T3_PNS13_IS18_E10value_typeET4_jRbjT5_S1E_jjP12ihipStream_tbEUljE_ZNSN_ISO_Lb0ESQ_SR_ST_SU_SY_EESZ_S10_S11_S12_S16_S17_S18_S1B_S1C_jS1D_jS1E_S1E_jjS1G_bEUljE0_EEESZ_S10_S11_S18_S1C_S1E_T6_T7_T9_mT8_S1G_bDpT10_ENKUlT_T0_E_clISt17integral_constantIbLb0EES1U_EEDaS1P_S1Q_EUlS1P_E_NS1_11comp_targetILNS1_3genE2ELNS1_11target_archE906ELNS1_3gpuE6ELNS1_3repE0EEENS1_30default_config_static_selectorELNS0_4arch9wavefront6targetE0EEEvS12_.has_recursion, 0
	.set _ZN7rocprim17ROCPRIM_400000_NS6detail17trampoline_kernelINS0_13select_configILj256ELj13ELNS0_17block_load_methodE3ELS4_3ELS4_3ELNS0_20block_scan_algorithmE0ELj4294967295EEENS1_25partition_config_selectorILNS1_17partition_subalgoE4EjNS0_10empty_typeEbEEZZNS1_14partition_implILS8_4ELb0ES6_15HIP_vector_typeIjLj2EENS0_17counting_iteratorIjlEEPS9_SG_NS0_5tupleIJPjSI_NS0_16reverse_iteratorISI_EEEEENSH_IJSG_SG_SG_EEES9_SI_JZNS1_25segmented_radix_sort_implINS0_14default_configELb0EPKfPfPKlPlN2at6native12_GLOBAL__N_18offset_tEEE10hipError_tPvRmT1_PNSt15iterator_traitsIS12_E10value_typeET2_T3_PNS13_IS18_E10value_typeET4_jRbjT5_S1E_jjP12ihipStream_tbEUljE_ZNSN_ISO_Lb0ESQ_SR_ST_SU_SY_EESZ_S10_S11_S12_S16_S17_S18_S1B_S1C_jS1D_jS1E_S1E_jjS1G_bEUljE0_EEESZ_S10_S11_S18_S1C_S1E_T6_T7_T9_mT8_S1G_bDpT10_ENKUlT_T0_E_clISt17integral_constantIbLb0EES1U_EEDaS1P_S1Q_EUlS1P_E_NS1_11comp_targetILNS1_3genE2ELNS1_11target_archE906ELNS1_3gpuE6ELNS1_3repE0EEENS1_30default_config_static_selectorELNS0_4arch9wavefront6targetE0EEEvS12_.has_indirect_call, 0
	.section	.AMDGPU.csdata,"",@progbits
; Kernel info:
; codeLenInByte = 0
; TotalNumSgprs: 0
; NumVgprs: 0
; ScratchSize: 0
; MemoryBound: 0
; FloatMode: 240
; IeeeMode: 1
; LDSByteSize: 0 bytes/workgroup (compile time only)
; SGPRBlocks: 0
; VGPRBlocks: 0
; NumSGPRsForWavesPerEU: 1
; NumVGPRsForWavesPerEU: 1
; Occupancy: 16
; WaveLimiterHint : 0
; COMPUTE_PGM_RSRC2:SCRATCH_EN: 0
; COMPUTE_PGM_RSRC2:USER_SGPR: 6
; COMPUTE_PGM_RSRC2:TRAP_HANDLER: 0
; COMPUTE_PGM_RSRC2:TGID_X_EN: 1
; COMPUTE_PGM_RSRC2:TGID_Y_EN: 0
; COMPUTE_PGM_RSRC2:TGID_Z_EN: 0
; COMPUTE_PGM_RSRC2:TIDIG_COMP_CNT: 0
	.section	.text._ZN7rocprim17ROCPRIM_400000_NS6detail17trampoline_kernelINS0_13select_configILj256ELj13ELNS0_17block_load_methodE3ELS4_3ELS4_3ELNS0_20block_scan_algorithmE0ELj4294967295EEENS1_25partition_config_selectorILNS1_17partition_subalgoE4EjNS0_10empty_typeEbEEZZNS1_14partition_implILS8_4ELb0ES6_15HIP_vector_typeIjLj2EENS0_17counting_iteratorIjlEEPS9_SG_NS0_5tupleIJPjSI_NS0_16reverse_iteratorISI_EEEEENSH_IJSG_SG_SG_EEES9_SI_JZNS1_25segmented_radix_sort_implINS0_14default_configELb0EPKfPfPKlPlN2at6native12_GLOBAL__N_18offset_tEEE10hipError_tPvRmT1_PNSt15iterator_traitsIS12_E10value_typeET2_T3_PNS13_IS18_E10value_typeET4_jRbjT5_S1E_jjP12ihipStream_tbEUljE_ZNSN_ISO_Lb0ESQ_SR_ST_SU_SY_EESZ_S10_S11_S12_S16_S17_S18_S1B_S1C_jS1D_jS1E_S1E_jjS1G_bEUljE0_EEESZ_S10_S11_S18_S1C_S1E_T6_T7_T9_mT8_S1G_bDpT10_ENKUlT_T0_E_clISt17integral_constantIbLb0EES1U_EEDaS1P_S1Q_EUlS1P_E_NS1_11comp_targetILNS1_3genE10ELNS1_11target_archE1200ELNS1_3gpuE4ELNS1_3repE0EEENS1_30default_config_static_selectorELNS0_4arch9wavefront6targetE0EEEvS12_,"axG",@progbits,_ZN7rocprim17ROCPRIM_400000_NS6detail17trampoline_kernelINS0_13select_configILj256ELj13ELNS0_17block_load_methodE3ELS4_3ELS4_3ELNS0_20block_scan_algorithmE0ELj4294967295EEENS1_25partition_config_selectorILNS1_17partition_subalgoE4EjNS0_10empty_typeEbEEZZNS1_14partition_implILS8_4ELb0ES6_15HIP_vector_typeIjLj2EENS0_17counting_iteratorIjlEEPS9_SG_NS0_5tupleIJPjSI_NS0_16reverse_iteratorISI_EEEEENSH_IJSG_SG_SG_EEES9_SI_JZNS1_25segmented_radix_sort_implINS0_14default_configELb0EPKfPfPKlPlN2at6native12_GLOBAL__N_18offset_tEEE10hipError_tPvRmT1_PNSt15iterator_traitsIS12_E10value_typeET2_T3_PNS13_IS18_E10value_typeET4_jRbjT5_S1E_jjP12ihipStream_tbEUljE_ZNSN_ISO_Lb0ESQ_SR_ST_SU_SY_EESZ_S10_S11_S12_S16_S17_S18_S1B_S1C_jS1D_jS1E_S1E_jjS1G_bEUljE0_EEESZ_S10_S11_S18_S1C_S1E_T6_T7_T9_mT8_S1G_bDpT10_ENKUlT_T0_E_clISt17integral_constantIbLb0EES1U_EEDaS1P_S1Q_EUlS1P_E_NS1_11comp_targetILNS1_3genE10ELNS1_11target_archE1200ELNS1_3gpuE4ELNS1_3repE0EEENS1_30default_config_static_selectorELNS0_4arch9wavefront6targetE0EEEvS12_,comdat
	.globl	_ZN7rocprim17ROCPRIM_400000_NS6detail17trampoline_kernelINS0_13select_configILj256ELj13ELNS0_17block_load_methodE3ELS4_3ELS4_3ELNS0_20block_scan_algorithmE0ELj4294967295EEENS1_25partition_config_selectorILNS1_17partition_subalgoE4EjNS0_10empty_typeEbEEZZNS1_14partition_implILS8_4ELb0ES6_15HIP_vector_typeIjLj2EENS0_17counting_iteratorIjlEEPS9_SG_NS0_5tupleIJPjSI_NS0_16reverse_iteratorISI_EEEEENSH_IJSG_SG_SG_EEES9_SI_JZNS1_25segmented_radix_sort_implINS0_14default_configELb0EPKfPfPKlPlN2at6native12_GLOBAL__N_18offset_tEEE10hipError_tPvRmT1_PNSt15iterator_traitsIS12_E10value_typeET2_T3_PNS13_IS18_E10value_typeET4_jRbjT5_S1E_jjP12ihipStream_tbEUljE_ZNSN_ISO_Lb0ESQ_SR_ST_SU_SY_EESZ_S10_S11_S12_S16_S17_S18_S1B_S1C_jS1D_jS1E_S1E_jjS1G_bEUljE0_EEESZ_S10_S11_S18_S1C_S1E_T6_T7_T9_mT8_S1G_bDpT10_ENKUlT_T0_E_clISt17integral_constantIbLb0EES1U_EEDaS1P_S1Q_EUlS1P_E_NS1_11comp_targetILNS1_3genE10ELNS1_11target_archE1200ELNS1_3gpuE4ELNS1_3repE0EEENS1_30default_config_static_selectorELNS0_4arch9wavefront6targetE0EEEvS12_ ; -- Begin function _ZN7rocprim17ROCPRIM_400000_NS6detail17trampoline_kernelINS0_13select_configILj256ELj13ELNS0_17block_load_methodE3ELS4_3ELS4_3ELNS0_20block_scan_algorithmE0ELj4294967295EEENS1_25partition_config_selectorILNS1_17partition_subalgoE4EjNS0_10empty_typeEbEEZZNS1_14partition_implILS8_4ELb0ES6_15HIP_vector_typeIjLj2EENS0_17counting_iteratorIjlEEPS9_SG_NS0_5tupleIJPjSI_NS0_16reverse_iteratorISI_EEEEENSH_IJSG_SG_SG_EEES9_SI_JZNS1_25segmented_radix_sort_implINS0_14default_configELb0EPKfPfPKlPlN2at6native12_GLOBAL__N_18offset_tEEE10hipError_tPvRmT1_PNSt15iterator_traitsIS12_E10value_typeET2_T3_PNS13_IS18_E10value_typeET4_jRbjT5_S1E_jjP12ihipStream_tbEUljE_ZNSN_ISO_Lb0ESQ_SR_ST_SU_SY_EESZ_S10_S11_S12_S16_S17_S18_S1B_S1C_jS1D_jS1E_S1E_jjS1G_bEUljE0_EEESZ_S10_S11_S18_S1C_S1E_T6_T7_T9_mT8_S1G_bDpT10_ENKUlT_T0_E_clISt17integral_constantIbLb0EES1U_EEDaS1P_S1Q_EUlS1P_E_NS1_11comp_targetILNS1_3genE10ELNS1_11target_archE1200ELNS1_3gpuE4ELNS1_3repE0EEENS1_30default_config_static_selectorELNS0_4arch9wavefront6targetE0EEEvS12_
	.p2align	8
	.type	_ZN7rocprim17ROCPRIM_400000_NS6detail17trampoline_kernelINS0_13select_configILj256ELj13ELNS0_17block_load_methodE3ELS4_3ELS4_3ELNS0_20block_scan_algorithmE0ELj4294967295EEENS1_25partition_config_selectorILNS1_17partition_subalgoE4EjNS0_10empty_typeEbEEZZNS1_14partition_implILS8_4ELb0ES6_15HIP_vector_typeIjLj2EENS0_17counting_iteratorIjlEEPS9_SG_NS0_5tupleIJPjSI_NS0_16reverse_iteratorISI_EEEEENSH_IJSG_SG_SG_EEES9_SI_JZNS1_25segmented_radix_sort_implINS0_14default_configELb0EPKfPfPKlPlN2at6native12_GLOBAL__N_18offset_tEEE10hipError_tPvRmT1_PNSt15iterator_traitsIS12_E10value_typeET2_T3_PNS13_IS18_E10value_typeET4_jRbjT5_S1E_jjP12ihipStream_tbEUljE_ZNSN_ISO_Lb0ESQ_SR_ST_SU_SY_EESZ_S10_S11_S12_S16_S17_S18_S1B_S1C_jS1D_jS1E_S1E_jjS1G_bEUljE0_EEESZ_S10_S11_S18_S1C_S1E_T6_T7_T9_mT8_S1G_bDpT10_ENKUlT_T0_E_clISt17integral_constantIbLb0EES1U_EEDaS1P_S1Q_EUlS1P_E_NS1_11comp_targetILNS1_3genE10ELNS1_11target_archE1200ELNS1_3gpuE4ELNS1_3repE0EEENS1_30default_config_static_selectorELNS0_4arch9wavefront6targetE0EEEvS12_,@function
_ZN7rocprim17ROCPRIM_400000_NS6detail17trampoline_kernelINS0_13select_configILj256ELj13ELNS0_17block_load_methodE3ELS4_3ELS4_3ELNS0_20block_scan_algorithmE0ELj4294967295EEENS1_25partition_config_selectorILNS1_17partition_subalgoE4EjNS0_10empty_typeEbEEZZNS1_14partition_implILS8_4ELb0ES6_15HIP_vector_typeIjLj2EENS0_17counting_iteratorIjlEEPS9_SG_NS0_5tupleIJPjSI_NS0_16reverse_iteratorISI_EEEEENSH_IJSG_SG_SG_EEES9_SI_JZNS1_25segmented_radix_sort_implINS0_14default_configELb0EPKfPfPKlPlN2at6native12_GLOBAL__N_18offset_tEEE10hipError_tPvRmT1_PNSt15iterator_traitsIS12_E10value_typeET2_T3_PNS13_IS18_E10value_typeET4_jRbjT5_S1E_jjP12ihipStream_tbEUljE_ZNSN_ISO_Lb0ESQ_SR_ST_SU_SY_EESZ_S10_S11_S12_S16_S17_S18_S1B_S1C_jS1D_jS1E_S1E_jjS1G_bEUljE0_EEESZ_S10_S11_S18_S1C_S1E_T6_T7_T9_mT8_S1G_bDpT10_ENKUlT_T0_E_clISt17integral_constantIbLb0EES1U_EEDaS1P_S1Q_EUlS1P_E_NS1_11comp_targetILNS1_3genE10ELNS1_11target_archE1200ELNS1_3gpuE4ELNS1_3repE0EEENS1_30default_config_static_selectorELNS0_4arch9wavefront6targetE0EEEvS12_: ; @_ZN7rocprim17ROCPRIM_400000_NS6detail17trampoline_kernelINS0_13select_configILj256ELj13ELNS0_17block_load_methodE3ELS4_3ELS4_3ELNS0_20block_scan_algorithmE0ELj4294967295EEENS1_25partition_config_selectorILNS1_17partition_subalgoE4EjNS0_10empty_typeEbEEZZNS1_14partition_implILS8_4ELb0ES6_15HIP_vector_typeIjLj2EENS0_17counting_iteratorIjlEEPS9_SG_NS0_5tupleIJPjSI_NS0_16reverse_iteratorISI_EEEEENSH_IJSG_SG_SG_EEES9_SI_JZNS1_25segmented_radix_sort_implINS0_14default_configELb0EPKfPfPKlPlN2at6native12_GLOBAL__N_18offset_tEEE10hipError_tPvRmT1_PNSt15iterator_traitsIS12_E10value_typeET2_T3_PNS13_IS18_E10value_typeET4_jRbjT5_S1E_jjP12ihipStream_tbEUljE_ZNSN_ISO_Lb0ESQ_SR_ST_SU_SY_EESZ_S10_S11_S12_S16_S17_S18_S1B_S1C_jS1D_jS1E_S1E_jjS1G_bEUljE0_EEESZ_S10_S11_S18_S1C_S1E_T6_T7_T9_mT8_S1G_bDpT10_ENKUlT_T0_E_clISt17integral_constantIbLb0EES1U_EEDaS1P_S1Q_EUlS1P_E_NS1_11comp_targetILNS1_3genE10ELNS1_11target_archE1200ELNS1_3gpuE4ELNS1_3repE0EEENS1_30default_config_static_selectorELNS0_4arch9wavefront6targetE0EEEvS12_
; %bb.0:
	.section	.rodata,"a",@progbits
	.p2align	6, 0x0
	.amdhsa_kernel _ZN7rocprim17ROCPRIM_400000_NS6detail17trampoline_kernelINS0_13select_configILj256ELj13ELNS0_17block_load_methodE3ELS4_3ELS4_3ELNS0_20block_scan_algorithmE0ELj4294967295EEENS1_25partition_config_selectorILNS1_17partition_subalgoE4EjNS0_10empty_typeEbEEZZNS1_14partition_implILS8_4ELb0ES6_15HIP_vector_typeIjLj2EENS0_17counting_iteratorIjlEEPS9_SG_NS0_5tupleIJPjSI_NS0_16reverse_iteratorISI_EEEEENSH_IJSG_SG_SG_EEES9_SI_JZNS1_25segmented_radix_sort_implINS0_14default_configELb0EPKfPfPKlPlN2at6native12_GLOBAL__N_18offset_tEEE10hipError_tPvRmT1_PNSt15iterator_traitsIS12_E10value_typeET2_T3_PNS13_IS18_E10value_typeET4_jRbjT5_S1E_jjP12ihipStream_tbEUljE_ZNSN_ISO_Lb0ESQ_SR_ST_SU_SY_EESZ_S10_S11_S12_S16_S17_S18_S1B_S1C_jS1D_jS1E_S1E_jjS1G_bEUljE0_EEESZ_S10_S11_S18_S1C_S1E_T6_T7_T9_mT8_S1G_bDpT10_ENKUlT_T0_E_clISt17integral_constantIbLb0EES1U_EEDaS1P_S1Q_EUlS1P_E_NS1_11comp_targetILNS1_3genE10ELNS1_11target_archE1200ELNS1_3gpuE4ELNS1_3repE0EEENS1_30default_config_static_selectorELNS0_4arch9wavefront6targetE0EEEvS12_
		.amdhsa_group_segment_fixed_size 0
		.amdhsa_private_segment_fixed_size 0
		.amdhsa_kernarg_size 176
		.amdhsa_user_sgpr_count 6
		.amdhsa_user_sgpr_private_segment_buffer 1
		.amdhsa_user_sgpr_dispatch_ptr 0
		.amdhsa_user_sgpr_queue_ptr 0
		.amdhsa_user_sgpr_kernarg_segment_ptr 1
		.amdhsa_user_sgpr_dispatch_id 0
		.amdhsa_user_sgpr_flat_scratch_init 0
		.amdhsa_user_sgpr_private_segment_size 0
		.amdhsa_wavefront_size32 1
		.amdhsa_uses_dynamic_stack 0
		.amdhsa_system_sgpr_private_segment_wavefront_offset 0
		.amdhsa_system_sgpr_workgroup_id_x 1
		.amdhsa_system_sgpr_workgroup_id_y 0
		.amdhsa_system_sgpr_workgroup_id_z 0
		.amdhsa_system_sgpr_workgroup_info 0
		.amdhsa_system_vgpr_workitem_id 0
		.amdhsa_next_free_vgpr 1
		.amdhsa_next_free_sgpr 1
		.amdhsa_reserve_vcc 0
		.amdhsa_reserve_flat_scratch 0
		.amdhsa_float_round_mode_32 0
		.amdhsa_float_round_mode_16_64 0
		.amdhsa_float_denorm_mode_32 3
		.amdhsa_float_denorm_mode_16_64 3
		.amdhsa_dx10_clamp 1
		.amdhsa_ieee_mode 1
		.amdhsa_fp16_overflow 0
		.amdhsa_workgroup_processor_mode 1
		.amdhsa_memory_ordered 1
		.amdhsa_forward_progress 1
		.amdhsa_shared_vgpr_count 0
		.amdhsa_exception_fp_ieee_invalid_op 0
		.amdhsa_exception_fp_denorm_src 0
		.amdhsa_exception_fp_ieee_div_zero 0
		.amdhsa_exception_fp_ieee_overflow 0
		.amdhsa_exception_fp_ieee_underflow 0
		.amdhsa_exception_fp_ieee_inexact 0
		.amdhsa_exception_int_div_zero 0
	.end_amdhsa_kernel
	.section	.text._ZN7rocprim17ROCPRIM_400000_NS6detail17trampoline_kernelINS0_13select_configILj256ELj13ELNS0_17block_load_methodE3ELS4_3ELS4_3ELNS0_20block_scan_algorithmE0ELj4294967295EEENS1_25partition_config_selectorILNS1_17partition_subalgoE4EjNS0_10empty_typeEbEEZZNS1_14partition_implILS8_4ELb0ES6_15HIP_vector_typeIjLj2EENS0_17counting_iteratorIjlEEPS9_SG_NS0_5tupleIJPjSI_NS0_16reverse_iteratorISI_EEEEENSH_IJSG_SG_SG_EEES9_SI_JZNS1_25segmented_radix_sort_implINS0_14default_configELb0EPKfPfPKlPlN2at6native12_GLOBAL__N_18offset_tEEE10hipError_tPvRmT1_PNSt15iterator_traitsIS12_E10value_typeET2_T3_PNS13_IS18_E10value_typeET4_jRbjT5_S1E_jjP12ihipStream_tbEUljE_ZNSN_ISO_Lb0ESQ_SR_ST_SU_SY_EESZ_S10_S11_S12_S16_S17_S18_S1B_S1C_jS1D_jS1E_S1E_jjS1G_bEUljE0_EEESZ_S10_S11_S18_S1C_S1E_T6_T7_T9_mT8_S1G_bDpT10_ENKUlT_T0_E_clISt17integral_constantIbLb0EES1U_EEDaS1P_S1Q_EUlS1P_E_NS1_11comp_targetILNS1_3genE10ELNS1_11target_archE1200ELNS1_3gpuE4ELNS1_3repE0EEENS1_30default_config_static_selectorELNS0_4arch9wavefront6targetE0EEEvS12_,"axG",@progbits,_ZN7rocprim17ROCPRIM_400000_NS6detail17trampoline_kernelINS0_13select_configILj256ELj13ELNS0_17block_load_methodE3ELS4_3ELS4_3ELNS0_20block_scan_algorithmE0ELj4294967295EEENS1_25partition_config_selectorILNS1_17partition_subalgoE4EjNS0_10empty_typeEbEEZZNS1_14partition_implILS8_4ELb0ES6_15HIP_vector_typeIjLj2EENS0_17counting_iteratorIjlEEPS9_SG_NS0_5tupleIJPjSI_NS0_16reverse_iteratorISI_EEEEENSH_IJSG_SG_SG_EEES9_SI_JZNS1_25segmented_radix_sort_implINS0_14default_configELb0EPKfPfPKlPlN2at6native12_GLOBAL__N_18offset_tEEE10hipError_tPvRmT1_PNSt15iterator_traitsIS12_E10value_typeET2_T3_PNS13_IS18_E10value_typeET4_jRbjT5_S1E_jjP12ihipStream_tbEUljE_ZNSN_ISO_Lb0ESQ_SR_ST_SU_SY_EESZ_S10_S11_S12_S16_S17_S18_S1B_S1C_jS1D_jS1E_S1E_jjS1G_bEUljE0_EEESZ_S10_S11_S18_S1C_S1E_T6_T7_T9_mT8_S1G_bDpT10_ENKUlT_T0_E_clISt17integral_constantIbLb0EES1U_EEDaS1P_S1Q_EUlS1P_E_NS1_11comp_targetILNS1_3genE10ELNS1_11target_archE1200ELNS1_3gpuE4ELNS1_3repE0EEENS1_30default_config_static_selectorELNS0_4arch9wavefront6targetE0EEEvS12_,comdat
.Lfunc_end1361:
	.size	_ZN7rocprim17ROCPRIM_400000_NS6detail17trampoline_kernelINS0_13select_configILj256ELj13ELNS0_17block_load_methodE3ELS4_3ELS4_3ELNS0_20block_scan_algorithmE0ELj4294967295EEENS1_25partition_config_selectorILNS1_17partition_subalgoE4EjNS0_10empty_typeEbEEZZNS1_14partition_implILS8_4ELb0ES6_15HIP_vector_typeIjLj2EENS0_17counting_iteratorIjlEEPS9_SG_NS0_5tupleIJPjSI_NS0_16reverse_iteratorISI_EEEEENSH_IJSG_SG_SG_EEES9_SI_JZNS1_25segmented_radix_sort_implINS0_14default_configELb0EPKfPfPKlPlN2at6native12_GLOBAL__N_18offset_tEEE10hipError_tPvRmT1_PNSt15iterator_traitsIS12_E10value_typeET2_T3_PNS13_IS18_E10value_typeET4_jRbjT5_S1E_jjP12ihipStream_tbEUljE_ZNSN_ISO_Lb0ESQ_SR_ST_SU_SY_EESZ_S10_S11_S12_S16_S17_S18_S1B_S1C_jS1D_jS1E_S1E_jjS1G_bEUljE0_EEESZ_S10_S11_S18_S1C_S1E_T6_T7_T9_mT8_S1G_bDpT10_ENKUlT_T0_E_clISt17integral_constantIbLb0EES1U_EEDaS1P_S1Q_EUlS1P_E_NS1_11comp_targetILNS1_3genE10ELNS1_11target_archE1200ELNS1_3gpuE4ELNS1_3repE0EEENS1_30default_config_static_selectorELNS0_4arch9wavefront6targetE0EEEvS12_, .Lfunc_end1361-_ZN7rocprim17ROCPRIM_400000_NS6detail17trampoline_kernelINS0_13select_configILj256ELj13ELNS0_17block_load_methodE3ELS4_3ELS4_3ELNS0_20block_scan_algorithmE0ELj4294967295EEENS1_25partition_config_selectorILNS1_17partition_subalgoE4EjNS0_10empty_typeEbEEZZNS1_14partition_implILS8_4ELb0ES6_15HIP_vector_typeIjLj2EENS0_17counting_iteratorIjlEEPS9_SG_NS0_5tupleIJPjSI_NS0_16reverse_iteratorISI_EEEEENSH_IJSG_SG_SG_EEES9_SI_JZNS1_25segmented_radix_sort_implINS0_14default_configELb0EPKfPfPKlPlN2at6native12_GLOBAL__N_18offset_tEEE10hipError_tPvRmT1_PNSt15iterator_traitsIS12_E10value_typeET2_T3_PNS13_IS18_E10value_typeET4_jRbjT5_S1E_jjP12ihipStream_tbEUljE_ZNSN_ISO_Lb0ESQ_SR_ST_SU_SY_EESZ_S10_S11_S12_S16_S17_S18_S1B_S1C_jS1D_jS1E_S1E_jjS1G_bEUljE0_EEESZ_S10_S11_S18_S1C_S1E_T6_T7_T9_mT8_S1G_bDpT10_ENKUlT_T0_E_clISt17integral_constantIbLb0EES1U_EEDaS1P_S1Q_EUlS1P_E_NS1_11comp_targetILNS1_3genE10ELNS1_11target_archE1200ELNS1_3gpuE4ELNS1_3repE0EEENS1_30default_config_static_selectorELNS0_4arch9wavefront6targetE0EEEvS12_
                                        ; -- End function
	.set _ZN7rocprim17ROCPRIM_400000_NS6detail17trampoline_kernelINS0_13select_configILj256ELj13ELNS0_17block_load_methodE3ELS4_3ELS4_3ELNS0_20block_scan_algorithmE0ELj4294967295EEENS1_25partition_config_selectorILNS1_17partition_subalgoE4EjNS0_10empty_typeEbEEZZNS1_14partition_implILS8_4ELb0ES6_15HIP_vector_typeIjLj2EENS0_17counting_iteratorIjlEEPS9_SG_NS0_5tupleIJPjSI_NS0_16reverse_iteratorISI_EEEEENSH_IJSG_SG_SG_EEES9_SI_JZNS1_25segmented_radix_sort_implINS0_14default_configELb0EPKfPfPKlPlN2at6native12_GLOBAL__N_18offset_tEEE10hipError_tPvRmT1_PNSt15iterator_traitsIS12_E10value_typeET2_T3_PNS13_IS18_E10value_typeET4_jRbjT5_S1E_jjP12ihipStream_tbEUljE_ZNSN_ISO_Lb0ESQ_SR_ST_SU_SY_EESZ_S10_S11_S12_S16_S17_S18_S1B_S1C_jS1D_jS1E_S1E_jjS1G_bEUljE0_EEESZ_S10_S11_S18_S1C_S1E_T6_T7_T9_mT8_S1G_bDpT10_ENKUlT_T0_E_clISt17integral_constantIbLb0EES1U_EEDaS1P_S1Q_EUlS1P_E_NS1_11comp_targetILNS1_3genE10ELNS1_11target_archE1200ELNS1_3gpuE4ELNS1_3repE0EEENS1_30default_config_static_selectorELNS0_4arch9wavefront6targetE0EEEvS12_.num_vgpr, 0
	.set _ZN7rocprim17ROCPRIM_400000_NS6detail17trampoline_kernelINS0_13select_configILj256ELj13ELNS0_17block_load_methodE3ELS4_3ELS4_3ELNS0_20block_scan_algorithmE0ELj4294967295EEENS1_25partition_config_selectorILNS1_17partition_subalgoE4EjNS0_10empty_typeEbEEZZNS1_14partition_implILS8_4ELb0ES6_15HIP_vector_typeIjLj2EENS0_17counting_iteratorIjlEEPS9_SG_NS0_5tupleIJPjSI_NS0_16reverse_iteratorISI_EEEEENSH_IJSG_SG_SG_EEES9_SI_JZNS1_25segmented_radix_sort_implINS0_14default_configELb0EPKfPfPKlPlN2at6native12_GLOBAL__N_18offset_tEEE10hipError_tPvRmT1_PNSt15iterator_traitsIS12_E10value_typeET2_T3_PNS13_IS18_E10value_typeET4_jRbjT5_S1E_jjP12ihipStream_tbEUljE_ZNSN_ISO_Lb0ESQ_SR_ST_SU_SY_EESZ_S10_S11_S12_S16_S17_S18_S1B_S1C_jS1D_jS1E_S1E_jjS1G_bEUljE0_EEESZ_S10_S11_S18_S1C_S1E_T6_T7_T9_mT8_S1G_bDpT10_ENKUlT_T0_E_clISt17integral_constantIbLb0EES1U_EEDaS1P_S1Q_EUlS1P_E_NS1_11comp_targetILNS1_3genE10ELNS1_11target_archE1200ELNS1_3gpuE4ELNS1_3repE0EEENS1_30default_config_static_selectorELNS0_4arch9wavefront6targetE0EEEvS12_.num_agpr, 0
	.set _ZN7rocprim17ROCPRIM_400000_NS6detail17trampoline_kernelINS0_13select_configILj256ELj13ELNS0_17block_load_methodE3ELS4_3ELS4_3ELNS0_20block_scan_algorithmE0ELj4294967295EEENS1_25partition_config_selectorILNS1_17partition_subalgoE4EjNS0_10empty_typeEbEEZZNS1_14partition_implILS8_4ELb0ES6_15HIP_vector_typeIjLj2EENS0_17counting_iteratorIjlEEPS9_SG_NS0_5tupleIJPjSI_NS0_16reverse_iteratorISI_EEEEENSH_IJSG_SG_SG_EEES9_SI_JZNS1_25segmented_radix_sort_implINS0_14default_configELb0EPKfPfPKlPlN2at6native12_GLOBAL__N_18offset_tEEE10hipError_tPvRmT1_PNSt15iterator_traitsIS12_E10value_typeET2_T3_PNS13_IS18_E10value_typeET4_jRbjT5_S1E_jjP12ihipStream_tbEUljE_ZNSN_ISO_Lb0ESQ_SR_ST_SU_SY_EESZ_S10_S11_S12_S16_S17_S18_S1B_S1C_jS1D_jS1E_S1E_jjS1G_bEUljE0_EEESZ_S10_S11_S18_S1C_S1E_T6_T7_T9_mT8_S1G_bDpT10_ENKUlT_T0_E_clISt17integral_constantIbLb0EES1U_EEDaS1P_S1Q_EUlS1P_E_NS1_11comp_targetILNS1_3genE10ELNS1_11target_archE1200ELNS1_3gpuE4ELNS1_3repE0EEENS1_30default_config_static_selectorELNS0_4arch9wavefront6targetE0EEEvS12_.numbered_sgpr, 0
	.set _ZN7rocprim17ROCPRIM_400000_NS6detail17trampoline_kernelINS0_13select_configILj256ELj13ELNS0_17block_load_methodE3ELS4_3ELS4_3ELNS0_20block_scan_algorithmE0ELj4294967295EEENS1_25partition_config_selectorILNS1_17partition_subalgoE4EjNS0_10empty_typeEbEEZZNS1_14partition_implILS8_4ELb0ES6_15HIP_vector_typeIjLj2EENS0_17counting_iteratorIjlEEPS9_SG_NS0_5tupleIJPjSI_NS0_16reverse_iteratorISI_EEEEENSH_IJSG_SG_SG_EEES9_SI_JZNS1_25segmented_radix_sort_implINS0_14default_configELb0EPKfPfPKlPlN2at6native12_GLOBAL__N_18offset_tEEE10hipError_tPvRmT1_PNSt15iterator_traitsIS12_E10value_typeET2_T3_PNS13_IS18_E10value_typeET4_jRbjT5_S1E_jjP12ihipStream_tbEUljE_ZNSN_ISO_Lb0ESQ_SR_ST_SU_SY_EESZ_S10_S11_S12_S16_S17_S18_S1B_S1C_jS1D_jS1E_S1E_jjS1G_bEUljE0_EEESZ_S10_S11_S18_S1C_S1E_T6_T7_T9_mT8_S1G_bDpT10_ENKUlT_T0_E_clISt17integral_constantIbLb0EES1U_EEDaS1P_S1Q_EUlS1P_E_NS1_11comp_targetILNS1_3genE10ELNS1_11target_archE1200ELNS1_3gpuE4ELNS1_3repE0EEENS1_30default_config_static_selectorELNS0_4arch9wavefront6targetE0EEEvS12_.num_named_barrier, 0
	.set _ZN7rocprim17ROCPRIM_400000_NS6detail17trampoline_kernelINS0_13select_configILj256ELj13ELNS0_17block_load_methodE3ELS4_3ELS4_3ELNS0_20block_scan_algorithmE0ELj4294967295EEENS1_25partition_config_selectorILNS1_17partition_subalgoE4EjNS0_10empty_typeEbEEZZNS1_14partition_implILS8_4ELb0ES6_15HIP_vector_typeIjLj2EENS0_17counting_iteratorIjlEEPS9_SG_NS0_5tupleIJPjSI_NS0_16reverse_iteratorISI_EEEEENSH_IJSG_SG_SG_EEES9_SI_JZNS1_25segmented_radix_sort_implINS0_14default_configELb0EPKfPfPKlPlN2at6native12_GLOBAL__N_18offset_tEEE10hipError_tPvRmT1_PNSt15iterator_traitsIS12_E10value_typeET2_T3_PNS13_IS18_E10value_typeET4_jRbjT5_S1E_jjP12ihipStream_tbEUljE_ZNSN_ISO_Lb0ESQ_SR_ST_SU_SY_EESZ_S10_S11_S12_S16_S17_S18_S1B_S1C_jS1D_jS1E_S1E_jjS1G_bEUljE0_EEESZ_S10_S11_S18_S1C_S1E_T6_T7_T9_mT8_S1G_bDpT10_ENKUlT_T0_E_clISt17integral_constantIbLb0EES1U_EEDaS1P_S1Q_EUlS1P_E_NS1_11comp_targetILNS1_3genE10ELNS1_11target_archE1200ELNS1_3gpuE4ELNS1_3repE0EEENS1_30default_config_static_selectorELNS0_4arch9wavefront6targetE0EEEvS12_.private_seg_size, 0
	.set _ZN7rocprim17ROCPRIM_400000_NS6detail17trampoline_kernelINS0_13select_configILj256ELj13ELNS0_17block_load_methodE3ELS4_3ELS4_3ELNS0_20block_scan_algorithmE0ELj4294967295EEENS1_25partition_config_selectorILNS1_17partition_subalgoE4EjNS0_10empty_typeEbEEZZNS1_14partition_implILS8_4ELb0ES6_15HIP_vector_typeIjLj2EENS0_17counting_iteratorIjlEEPS9_SG_NS0_5tupleIJPjSI_NS0_16reverse_iteratorISI_EEEEENSH_IJSG_SG_SG_EEES9_SI_JZNS1_25segmented_radix_sort_implINS0_14default_configELb0EPKfPfPKlPlN2at6native12_GLOBAL__N_18offset_tEEE10hipError_tPvRmT1_PNSt15iterator_traitsIS12_E10value_typeET2_T3_PNS13_IS18_E10value_typeET4_jRbjT5_S1E_jjP12ihipStream_tbEUljE_ZNSN_ISO_Lb0ESQ_SR_ST_SU_SY_EESZ_S10_S11_S12_S16_S17_S18_S1B_S1C_jS1D_jS1E_S1E_jjS1G_bEUljE0_EEESZ_S10_S11_S18_S1C_S1E_T6_T7_T9_mT8_S1G_bDpT10_ENKUlT_T0_E_clISt17integral_constantIbLb0EES1U_EEDaS1P_S1Q_EUlS1P_E_NS1_11comp_targetILNS1_3genE10ELNS1_11target_archE1200ELNS1_3gpuE4ELNS1_3repE0EEENS1_30default_config_static_selectorELNS0_4arch9wavefront6targetE0EEEvS12_.uses_vcc, 0
	.set _ZN7rocprim17ROCPRIM_400000_NS6detail17trampoline_kernelINS0_13select_configILj256ELj13ELNS0_17block_load_methodE3ELS4_3ELS4_3ELNS0_20block_scan_algorithmE0ELj4294967295EEENS1_25partition_config_selectorILNS1_17partition_subalgoE4EjNS0_10empty_typeEbEEZZNS1_14partition_implILS8_4ELb0ES6_15HIP_vector_typeIjLj2EENS0_17counting_iteratorIjlEEPS9_SG_NS0_5tupleIJPjSI_NS0_16reverse_iteratorISI_EEEEENSH_IJSG_SG_SG_EEES9_SI_JZNS1_25segmented_radix_sort_implINS0_14default_configELb0EPKfPfPKlPlN2at6native12_GLOBAL__N_18offset_tEEE10hipError_tPvRmT1_PNSt15iterator_traitsIS12_E10value_typeET2_T3_PNS13_IS18_E10value_typeET4_jRbjT5_S1E_jjP12ihipStream_tbEUljE_ZNSN_ISO_Lb0ESQ_SR_ST_SU_SY_EESZ_S10_S11_S12_S16_S17_S18_S1B_S1C_jS1D_jS1E_S1E_jjS1G_bEUljE0_EEESZ_S10_S11_S18_S1C_S1E_T6_T7_T9_mT8_S1G_bDpT10_ENKUlT_T0_E_clISt17integral_constantIbLb0EES1U_EEDaS1P_S1Q_EUlS1P_E_NS1_11comp_targetILNS1_3genE10ELNS1_11target_archE1200ELNS1_3gpuE4ELNS1_3repE0EEENS1_30default_config_static_selectorELNS0_4arch9wavefront6targetE0EEEvS12_.uses_flat_scratch, 0
	.set _ZN7rocprim17ROCPRIM_400000_NS6detail17trampoline_kernelINS0_13select_configILj256ELj13ELNS0_17block_load_methodE3ELS4_3ELS4_3ELNS0_20block_scan_algorithmE0ELj4294967295EEENS1_25partition_config_selectorILNS1_17partition_subalgoE4EjNS0_10empty_typeEbEEZZNS1_14partition_implILS8_4ELb0ES6_15HIP_vector_typeIjLj2EENS0_17counting_iteratorIjlEEPS9_SG_NS0_5tupleIJPjSI_NS0_16reverse_iteratorISI_EEEEENSH_IJSG_SG_SG_EEES9_SI_JZNS1_25segmented_radix_sort_implINS0_14default_configELb0EPKfPfPKlPlN2at6native12_GLOBAL__N_18offset_tEEE10hipError_tPvRmT1_PNSt15iterator_traitsIS12_E10value_typeET2_T3_PNS13_IS18_E10value_typeET4_jRbjT5_S1E_jjP12ihipStream_tbEUljE_ZNSN_ISO_Lb0ESQ_SR_ST_SU_SY_EESZ_S10_S11_S12_S16_S17_S18_S1B_S1C_jS1D_jS1E_S1E_jjS1G_bEUljE0_EEESZ_S10_S11_S18_S1C_S1E_T6_T7_T9_mT8_S1G_bDpT10_ENKUlT_T0_E_clISt17integral_constantIbLb0EES1U_EEDaS1P_S1Q_EUlS1P_E_NS1_11comp_targetILNS1_3genE10ELNS1_11target_archE1200ELNS1_3gpuE4ELNS1_3repE0EEENS1_30default_config_static_selectorELNS0_4arch9wavefront6targetE0EEEvS12_.has_dyn_sized_stack, 0
	.set _ZN7rocprim17ROCPRIM_400000_NS6detail17trampoline_kernelINS0_13select_configILj256ELj13ELNS0_17block_load_methodE3ELS4_3ELS4_3ELNS0_20block_scan_algorithmE0ELj4294967295EEENS1_25partition_config_selectorILNS1_17partition_subalgoE4EjNS0_10empty_typeEbEEZZNS1_14partition_implILS8_4ELb0ES6_15HIP_vector_typeIjLj2EENS0_17counting_iteratorIjlEEPS9_SG_NS0_5tupleIJPjSI_NS0_16reverse_iteratorISI_EEEEENSH_IJSG_SG_SG_EEES9_SI_JZNS1_25segmented_radix_sort_implINS0_14default_configELb0EPKfPfPKlPlN2at6native12_GLOBAL__N_18offset_tEEE10hipError_tPvRmT1_PNSt15iterator_traitsIS12_E10value_typeET2_T3_PNS13_IS18_E10value_typeET4_jRbjT5_S1E_jjP12ihipStream_tbEUljE_ZNSN_ISO_Lb0ESQ_SR_ST_SU_SY_EESZ_S10_S11_S12_S16_S17_S18_S1B_S1C_jS1D_jS1E_S1E_jjS1G_bEUljE0_EEESZ_S10_S11_S18_S1C_S1E_T6_T7_T9_mT8_S1G_bDpT10_ENKUlT_T0_E_clISt17integral_constantIbLb0EES1U_EEDaS1P_S1Q_EUlS1P_E_NS1_11comp_targetILNS1_3genE10ELNS1_11target_archE1200ELNS1_3gpuE4ELNS1_3repE0EEENS1_30default_config_static_selectorELNS0_4arch9wavefront6targetE0EEEvS12_.has_recursion, 0
	.set _ZN7rocprim17ROCPRIM_400000_NS6detail17trampoline_kernelINS0_13select_configILj256ELj13ELNS0_17block_load_methodE3ELS4_3ELS4_3ELNS0_20block_scan_algorithmE0ELj4294967295EEENS1_25partition_config_selectorILNS1_17partition_subalgoE4EjNS0_10empty_typeEbEEZZNS1_14partition_implILS8_4ELb0ES6_15HIP_vector_typeIjLj2EENS0_17counting_iteratorIjlEEPS9_SG_NS0_5tupleIJPjSI_NS0_16reverse_iteratorISI_EEEEENSH_IJSG_SG_SG_EEES9_SI_JZNS1_25segmented_radix_sort_implINS0_14default_configELb0EPKfPfPKlPlN2at6native12_GLOBAL__N_18offset_tEEE10hipError_tPvRmT1_PNSt15iterator_traitsIS12_E10value_typeET2_T3_PNS13_IS18_E10value_typeET4_jRbjT5_S1E_jjP12ihipStream_tbEUljE_ZNSN_ISO_Lb0ESQ_SR_ST_SU_SY_EESZ_S10_S11_S12_S16_S17_S18_S1B_S1C_jS1D_jS1E_S1E_jjS1G_bEUljE0_EEESZ_S10_S11_S18_S1C_S1E_T6_T7_T9_mT8_S1G_bDpT10_ENKUlT_T0_E_clISt17integral_constantIbLb0EES1U_EEDaS1P_S1Q_EUlS1P_E_NS1_11comp_targetILNS1_3genE10ELNS1_11target_archE1200ELNS1_3gpuE4ELNS1_3repE0EEENS1_30default_config_static_selectorELNS0_4arch9wavefront6targetE0EEEvS12_.has_indirect_call, 0
	.section	.AMDGPU.csdata,"",@progbits
; Kernel info:
; codeLenInByte = 0
; TotalNumSgprs: 0
; NumVgprs: 0
; ScratchSize: 0
; MemoryBound: 0
; FloatMode: 240
; IeeeMode: 1
; LDSByteSize: 0 bytes/workgroup (compile time only)
; SGPRBlocks: 0
; VGPRBlocks: 0
; NumSGPRsForWavesPerEU: 1
; NumVGPRsForWavesPerEU: 1
; Occupancy: 16
; WaveLimiterHint : 0
; COMPUTE_PGM_RSRC2:SCRATCH_EN: 0
; COMPUTE_PGM_RSRC2:USER_SGPR: 6
; COMPUTE_PGM_RSRC2:TRAP_HANDLER: 0
; COMPUTE_PGM_RSRC2:TGID_X_EN: 1
; COMPUTE_PGM_RSRC2:TGID_Y_EN: 0
; COMPUTE_PGM_RSRC2:TGID_Z_EN: 0
; COMPUTE_PGM_RSRC2:TIDIG_COMP_CNT: 0
	.section	.text._ZN7rocprim17ROCPRIM_400000_NS6detail17trampoline_kernelINS0_13select_configILj256ELj13ELNS0_17block_load_methodE3ELS4_3ELS4_3ELNS0_20block_scan_algorithmE0ELj4294967295EEENS1_25partition_config_selectorILNS1_17partition_subalgoE4EjNS0_10empty_typeEbEEZZNS1_14partition_implILS8_4ELb0ES6_15HIP_vector_typeIjLj2EENS0_17counting_iteratorIjlEEPS9_SG_NS0_5tupleIJPjSI_NS0_16reverse_iteratorISI_EEEEENSH_IJSG_SG_SG_EEES9_SI_JZNS1_25segmented_radix_sort_implINS0_14default_configELb0EPKfPfPKlPlN2at6native12_GLOBAL__N_18offset_tEEE10hipError_tPvRmT1_PNSt15iterator_traitsIS12_E10value_typeET2_T3_PNS13_IS18_E10value_typeET4_jRbjT5_S1E_jjP12ihipStream_tbEUljE_ZNSN_ISO_Lb0ESQ_SR_ST_SU_SY_EESZ_S10_S11_S12_S16_S17_S18_S1B_S1C_jS1D_jS1E_S1E_jjS1G_bEUljE0_EEESZ_S10_S11_S18_S1C_S1E_T6_T7_T9_mT8_S1G_bDpT10_ENKUlT_T0_E_clISt17integral_constantIbLb0EES1U_EEDaS1P_S1Q_EUlS1P_E_NS1_11comp_targetILNS1_3genE9ELNS1_11target_archE1100ELNS1_3gpuE3ELNS1_3repE0EEENS1_30default_config_static_selectorELNS0_4arch9wavefront6targetE0EEEvS12_,"axG",@progbits,_ZN7rocprim17ROCPRIM_400000_NS6detail17trampoline_kernelINS0_13select_configILj256ELj13ELNS0_17block_load_methodE3ELS4_3ELS4_3ELNS0_20block_scan_algorithmE0ELj4294967295EEENS1_25partition_config_selectorILNS1_17partition_subalgoE4EjNS0_10empty_typeEbEEZZNS1_14partition_implILS8_4ELb0ES6_15HIP_vector_typeIjLj2EENS0_17counting_iteratorIjlEEPS9_SG_NS0_5tupleIJPjSI_NS0_16reverse_iteratorISI_EEEEENSH_IJSG_SG_SG_EEES9_SI_JZNS1_25segmented_radix_sort_implINS0_14default_configELb0EPKfPfPKlPlN2at6native12_GLOBAL__N_18offset_tEEE10hipError_tPvRmT1_PNSt15iterator_traitsIS12_E10value_typeET2_T3_PNS13_IS18_E10value_typeET4_jRbjT5_S1E_jjP12ihipStream_tbEUljE_ZNSN_ISO_Lb0ESQ_SR_ST_SU_SY_EESZ_S10_S11_S12_S16_S17_S18_S1B_S1C_jS1D_jS1E_S1E_jjS1G_bEUljE0_EEESZ_S10_S11_S18_S1C_S1E_T6_T7_T9_mT8_S1G_bDpT10_ENKUlT_T0_E_clISt17integral_constantIbLb0EES1U_EEDaS1P_S1Q_EUlS1P_E_NS1_11comp_targetILNS1_3genE9ELNS1_11target_archE1100ELNS1_3gpuE3ELNS1_3repE0EEENS1_30default_config_static_selectorELNS0_4arch9wavefront6targetE0EEEvS12_,comdat
	.globl	_ZN7rocprim17ROCPRIM_400000_NS6detail17trampoline_kernelINS0_13select_configILj256ELj13ELNS0_17block_load_methodE3ELS4_3ELS4_3ELNS0_20block_scan_algorithmE0ELj4294967295EEENS1_25partition_config_selectorILNS1_17partition_subalgoE4EjNS0_10empty_typeEbEEZZNS1_14partition_implILS8_4ELb0ES6_15HIP_vector_typeIjLj2EENS0_17counting_iteratorIjlEEPS9_SG_NS0_5tupleIJPjSI_NS0_16reverse_iteratorISI_EEEEENSH_IJSG_SG_SG_EEES9_SI_JZNS1_25segmented_radix_sort_implINS0_14default_configELb0EPKfPfPKlPlN2at6native12_GLOBAL__N_18offset_tEEE10hipError_tPvRmT1_PNSt15iterator_traitsIS12_E10value_typeET2_T3_PNS13_IS18_E10value_typeET4_jRbjT5_S1E_jjP12ihipStream_tbEUljE_ZNSN_ISO_Lb0ESQ_SR_ST_SU_SY_EESZ_S10_S11_S12_S16_S17_S18_S1B_S1C_jS1D_jS1E_S1E_jjS1G_bEUljE0_EEESZ_S10_S11_S18_S1C_S1E_T6_T7_T9_mT8_S1G_bDpT10_ENKUlT_T0_E_clISt17integral_constantIbLb0EES1U_EEDaS1P_S1Q_EUlS1P_E_NS1_11comp_targetILNS1_3genE9ELNS1_11target_archE1100ELNS1_3gpuE3ELNS1_3repE0EEENS1_30default_config_static_selectorELNS0_4arch9wavefront6targetE0EEEvS12_ ; -- Begin function _ZN7rocprim17ROCPRIM_400000_NS6detail17trampoline_kernelINS0_13select_configILj256ELj13ELNS0_17block_load_methodE3ELS4_3ELS4_3ELNS0_20block_scan_algorithmE0ELj4294967295EEENS1_25partition_config_selectorILNS1_17partition_subalgoE4EjNS0_10empty_typeEbEEZZNS1_14partition_implILS8_4ELb0ES6_15HIP_vector_typeIjLj2EENS0_17counting_iteratorIjlEEPS9_SG_NS0_5tupleIJPjSI_NS0_16reverse_iteratorISI_EEEEENSH_IJSG_SG_SG_EEES9_SI_JZNS1_25segmented_radix_sort_implINS0_14default_configELb0EPKfPfPKlPlN2at6native12_GLOBAL__N_18offset_tEEE10hipError_tPvRmT1_PNSt15iterator_traitsIS12_E10value_typeET2_T3_PNS13_IS18_E10value_typeET4_jRbjT5_S1E_jjP12ihipStream_tbEUljE_ZNSN_ISO_Lb0ESQ_SR_ST_SU_SY_EESZ_S10_S11_S12_S16_S17_S18_S1B_S1C_jS1D_jS1E_S1E_jjS1G_bEUljE0_EEESZ_S10_S11_S18_S1C_S1E_T6_T7_T9_mT8_S1G_bDpT10_ENKUlT_T0_E_clISt17integral_constantIbLb0EES1U_EEDaS1P_S1Q_EUlS1P_E_NS1_11comp_targetILNS1_3genE9ELNS1_11target_archE1100ELNS1_3gpuE3ELNS1_3repE0EEENS1_30default_config_static_selectorELNS0_4arch9wavefront6targetE0EEEvS12_
	.p2align	8
	.type	_ZN7rocprim17ROCPRIM_400000_NS6detail17trampoline_kernelINS0_13select_configILj256ELj13ELNS0_17block_load_methodE3ELS4_3ELS4_3ELNS0_20block_scan_algorithmE0ELj4294967295EEENS1_25partition_config_selectorILNS1_17partition_subalgoE4EjNS0_10empty_typeEbEEZZNS1_14partition_implILS8_4ELb0ES6_15HIP_vector_typeIjLj2EENS0_17counting_iteratorIjlEEPS9_SG_NS0_5tupleIJPjSI_NS0_16reverse_iteratorISI_EEEEENSH_IJSG_SG_SG_EEES9_SI_JZNS1_25segmented_radix_sort_implINS0_14default_configELb0EPKfPfPKlPlN2at6native12_GLOBAL__N_18offset_tEEE10hipError_tPvRmT1_PNSt15iterator_traitsIS12_E10value_typeET2_T3_PNS13_IS18_E10value_typeET4_jRbjT5_S1E_jjP12ihipStream_tbEUljE_ZNSN_ISO_Lb0ESQ_SR_ST_SU_SY_EESZ_S10_S11_S12_S16_S17_S18_S1B_S1C_jS1D_jS1E_S1E_jjS1G_bEUljE0_EEESZ_S10_S11_S18_S1C_S1E_T6_T7_T9_mT8_S1G_bDpT10_ENKUlT_T0_E_clISt17integral_constantIbLb0EES1U_EEDaS1P_S1Q_EUlS1P_E_NS1_11comp_targetILNS1_3genE9ELNS1_11target_archE1100ELNS1_3gpuE3ELNS1_3repE0EEENS1_30default_config_static_selectorELNS0_4arch9wavefront6targetE0EEEvS12_,@function
_ZN7rocprim17ROCPRIM_400000_NS6detail17trampoline_kernelINS0_13select_configILj256ELj13ELNS0_17block_load_methodE3ELS4_3ELS4_3ELNS0_20block_scan_algorithmE0ELj4294967295EEENS1_25partition_config_selectorILNS1_17partition_subalgoE4EjNS0_10empty_typeEbEEZZNS1_14partition_implILS8_4ELb0ES6_15HIP_vector_typeIjLj2EENS0_17counting_iteratorIjlEEPS9_SG_NS0_5tupleIJPjSI_NS0_16reverse_iteratorISI_EEEEENSH_IJSG_SG_SG_EEES9_SI_JZNS1_25segmented_radix_sort_implINS0_14default_configELb0EPKfPfPKlPlN2at6native12_GLOBAL__N_18offset_tEEE10hipError_tPvRmT1_PNSt15iterator_traitsIS12_E10value_typeET2_T3_PNS13_IS18_E10value_typeET4_jRbjT5_S1E_jjP12ihipStream_tbEUljE_ZNSN_ISO_Lb0ESQ_SR_ST_SU_SY_EESZ_S10_S11_S12_S16_S17_S18_S1B_S1C_jS1D_jS1E_S1E_jjS1G_bEUljE0_EEESZ_S10_S11_S18_S1C_S1E_T6_T7_T9_mT8_S1G_bDpT10_ENKUlT_T0_E_clISt17integral_constantIbLb0EES1U_EEDaS1P_S1Q_EUlS1P_E_NS1_11comp_targetILNS1_3genE9ELNS1_11target_archE1100ELNS1_3gpuE3ELNS1_3repE0EEENS1_30default_config_static_selectorELNS0_4arch9wavefront6targetE0EEEvS12_: ; @_ZN7rocprim17ROCPRIM_400000_NS6detail17trampoline_kernelINS0_13select_configILj256ELj13ELNS0_17block_load_methodE3ELS4_3ELS4_3ELNS0_20block_scan_algorithmE0ELj4294967295EEENS1_25partition_config_selectorILNS1_17partition_subalgoE4EjNS0_10empty_typeEbEEZZNS1_14partition_implILS8_4ELb0ES6_15HIP_vector_typeIjLj2EENS0_17counting_iteratorIjlEEPS9_SG_NS0_5tupleIJPjSI_NS0_16reverse_iteratorISI_EEEEENSH_IJSG_SG_SG_EEES9_SI_JZNS1_25segmented_radix_sort_implINS0_14default_configELb0EPKfPfPKlPlN2at6native12_GLOBAL__N_18offset_tEEE10hipError_tPvRmT1_PNSt15iterator_traitsIS12_E10value_typeET2_T3_PNS13_IS18_E10value_typeET4_jRbjT5_S1E_jjP12ihipStream_tbEUljE_ZNSN_ISO_Lb0ESQ_SR_ST_SU_SY_EESZ_S10_S11_S12_S16_S17_S18_S1B_S1C_jS1D_jS1E_S1E_jjS1G_bEUljE0_EEESZ_S10_S11_S18_S1C_S1E_T6_T7_T9_mT8_S1G_bDpT10_ENKUlT_T0_E_clISt17integral_constantIbLb0EES1U_EEDaS1P_S1Q_EUlS1P_E_NS1_11comp_targetILNS1_3genE9ELNS1_11target_archE1100ELNS1_3gpuE3ELNS1_3repE0EEENS1_30default_config_static_selectorELNS0_4arch9wavefront6targetE0EEEvS12_
; %bb.0:
	.section	.rodata,"a",@progbits
	.p2align	6, 0x0
	.amdhsa_kernel _ZN7rocprim17ROCPRIM_400000_NS6detail17trampoline_kernelINS0_13select_configILj256ELj13ELNS0_17block_load_methodE3ELS4_3ELS4_3ELNS0_20block_scan_algorithmE0ELj4294967295EEENS1_25partition_config_selectorILNS1_17partition_subalgoE4EjNS0_10empty_typeEbEEZZNS1_14partition_implILS8_4ELb0ES6_15HIP_vector_typeIjLj2EENS0_17counting_iteratorIjlEEPS9_SG_NS0_5tupleIJPjSI_NS0_16reverse_iteratorISI_EEEEENSH_IJSG_SG_SG_EEES9_SI_JZNS1_25segmented_radix_sort_implINS0_14default_configELb0EPKfPfPKlPlN2at6native12_GLOBAL__N_18offset_tEEE10hipError_tPvRmT1_PNSt15iterator_traitsIS12_E10value_typeET2_T3_PNS13_IS18_E10value_typeET4_jRbjT5_S1E_jjP12ihipStream_tbEUljE_ZNSN_ISO_Lb0ESQ_SR_ST_SU_SY_EESZ_S10_S11_S12_S16_S17_S18_S1B_S1C_jS1D_jS1E_S1E_jjS1G_bEUljE0_EEESZ_S10_S11_S18_S1C_S1E_T6_T7_T9_mT8_S1G_bDpT10_ENKUlT_T0_E_clISt17integral_constantIbLb0EES1U_EEDaS1P_S1Q_EUlS1P_E_NS1_11comp_targetILNS1_3genE9ELNS1_11target_archE1100ELNS1_3gpuE3ELNS1_3repE0EEENS1_30default_config_static_selectorELNS0_4arch9wavefront6targetE0EEEvS12_
		.amdhsa_group_segment_fixed_size 0
		.amdhsa_private_segment_fixed_size 0
		.amdhsa_kernarg_size 176
		.amdhsa_user_sgpr_count 6
		.amdhsa_user_sgpr_private_segment_buffer 1
		.amdhsa_user_sgpr_dispatch_ptr 0
		.amdhsa_user_sgpr_queue_ptr 0
		.amdhsa_user_sgpr_kernarg_segment_ptr 1
		.amdhsa_user_sgpr_dispatch_id 0
		.amdhsa_user_sgpr_flat_scratch_init 0
		.amdhsa_user_sgpr_private_segment_size 0
		.amdhsa_wavefront_size32 1
		.amdhsa_uses_dynamic_stack 0
		.amdhsa_system_sgpr_private_segment_wavefront_offset 0
		.amdhsa_system_sgpr_workgroup_id_x 1
		.amdhsa_system_sgpr_workgroup_id_y 0
		.amdhsa_system_sgpr_workgroup_id_z 0
		.amdhsa_system_sgpr_workgroup_info 0
		.amdhsa_system_vgpr_workitem_id 0
		.amdhsa_next_free_vgpr 1
		.amdhsa_next_free_sgpr 1
		.amdhsa_reserve_vcc 0
		.amdhsa_reserve_flat_scratch 0
		.amdhsa_float_round_mode_32 0
		.amdhsa_float_round_mode_16_64 0
		.amdhsa_float_denorm_mode_32 3
		.amdhsa_float_denorm_mode_16_64 3
		.amdhsa_dx10_clamp 1
		.amdhsa_ieee_mode 1
		.amdhsa_fp16_overflow 0
		.amdhsa_workgroup_processor_mode 1
		.amdhsa_memory_ordered 1
		.amdhsa_forward_progress 1
		.amdhsa_shared_vgpr_count 0
		.amdhsa_exception_fp_ieee_invalid_op 0
		.amdhsa_exception_fp_denorm_src 0
		.amdhsa_exception_fp_ieee_div_zero 0
		.amdhsa_exception_fp_ieee_overflow 0
		.amdhsa_exception_fp_ieee_underflow 0
		.amdhsa_exception_fp_ieee_inexact 0
		.amdhsa_exception_int_div_zero 0
	.end_amdhsa_kernel
	.section	.text._ZN7rocprim17ROCPRIM_400000_NS6detail17trampoline_kernelINS0_13select_configILj256ELj13ELNS0_17block_load_methodE3ELS4_3ELS4_3ELNS0_20block_scan_algorithmE0ELj4294967295EEENS1_25partition_config_selectorILNS1_17partition_subalgoE4EjNS0_10empty_typeEbEEZZNS1_14partition_implILS8_4ELb0ES6_15HIP_vector_typeIjLj2EENS0_17counting_iteratorIjlEEPS9_SG_NS0_5tupleIJPjSI_NS0_16reverse_iteratorISI_EEEEENSH_IJSG_SG_SG_EEES9_SI_JZNS1_25segmented_radix_sort_implINS0_14default_configELb0EPKfPfPKlPlN2at6native12_GLOBAL__N_18offset_tEEE10hipError_tPvRmT1_PNSt15iterator_traitsIS12_E10value_typeET2_T3_PNS13_IS18_E10value_typeET4_jRbjT5_S1E_jjP12ihipStream_tbEUljE_ZNSN_ISO_Lb0ESQ_SR_ST_SU_SY_EESZ_S10_S11_S12_S16_S17_S18_S1B_S1C_jS1D_jS1E_S1E_jjS1G_bEUljE0_EEESZ_S10_S11_S18_S1C_S1E_T6_T7_T9_mT8_S1G_bDpT10_ENKUlT_T0_E_clISt17integral_constantIbLb0EES1U_EEDaS1P_S1Q_EUlS1P_E_NS1_11comp_targetILNS1_3genE9ELNS1_11target_archE1100ELNS1_3gpuE3ELNS1_3repE0EEENS1_30default_config_static_selectorELNS0_4arch9wavefront6targetE0EEEvS12_,"axG",@progbits,_ZN7rocprim17ROCPRIM_400000_NS6detail17trampoline_kernelINS0_13select_configILj256ELj13ELNS0_17block_load_methodE3ELS4_3ELS4_3ELNS0_20block_scan_algorithmE0ELj4294967295EEENS1_25partition_config_selectorILNS1_17partition_subalgoE4EjNS0_10empty_typeEbEEZZNS1_14partition_implILS8_4ELb0ES6_15HIP_vector_typeIjLj2EENS0_17counting_iteratorIjlEEPS9_SG_NS0_5tupleIJPjSI_NS0_16reverse_iteratorISI_EEEEENSH_IJSG_SG_SG_EEES9_SI_JZNS1_25segmented_radix_sort_implINS0_14default_configELb0EPKfPfPKlPlN2at6native12_GLOBAL__N_18offset_tEEE10hipError_tPvRmT1_PNSt15iterator_traitsIS12_E10value_typeET2_T3_PNS13_IS18_E10value_typeET4_jRbjT5_S1E_jjP12ihipStream_tbEUljE_ZNSN_ISO_Lb0ESQ_SR_ST_SU_SY_EESZ_S10_S11_S12_S16_S17_S18_S1B_S1C_jS1D_jS1E_S1E_jjS1G_bEUljE0_EEESZ_S10_S11_S18_S1C_S1E_T6_T7_T9_mT8_S1G_bDpT10_ENKUlT_T0_E_clISt17integral_constantIbLb0EES1U_EEDaS1P_S1Q_EUlS1P_E_NS1_11comp_targetILNS1_3genE9ELNS1_11target_archE1100ELNS1_3gpuE3ELNS1_3repE0EEENS1_30default_config_static_selectorELNS0_4arch9wavefront6targetE0EEEvS12_,comdat
.Lfunc_end1362:
	.size	_ZN7rocprim17ROCPRIM_400000_NS6detail17trampoline_kernelINS0_13select_configILj256ELj13ELNS0_17block_load_methodE3ELS4_3ELS4_3ELNS0_20block_scan_algorithmE0ELj4294967295EEENS1_25partition_config_selectorILNS1_17partition_subalgoE4EjNS0_10empty_typeEbEEZZNS1_14partition_implILS8_4ELb0ES6_15HIP_vector_typeIjLj2EENS0_17counting_iteratorIjlEEPS9_SG_NS0_5tupleIJPjSI_NS0_16reverse_iteratorISI_EEEEENSH_IJSG_SG_SG_EEES9_SI_JZNS1_25segmented_radix_sort_implINS0_14default_configELb0EPKfPfPKlPlN2at6native12_GLOBAL__N_18offset_tEEE10hipError_tPvRmT1_PNSt15iterator_traitsIS12_E10value_typeET2_T3_PNS13_IS18_E10value_typeET4_jRbjT5_S1E_jjP12ihipStream_tbEUljE_ZNSN_ISO_Lb0ESQ_SR_ST_SU_SY_EESZ_S10_S11_S12_S16_S17_S18_S1B_S1C_jS1D_jS1E_S1E_jjS1G_bEUljE0_EEESZ_S10_S11_S18_S1C_S1E_T6_T7_T9_mT8_S1G_bDpT10_ENKUlT_T0_E_clISt17integral_constantIbLb0EES1U_EEDaS1P_S1Q_EUlS1P_E_NS1_11comp_targetILNS1_3genE9ELNS1_11target_archE1100ELNS1_3gpuE3ELNS1_3repE0EEENS1_30default_config_static_selectorELNS0_4arch9wavefront6targetE0EEEvS12_, .Lfunc_end1362-_ZN7rocprim17ROCPRIM_400000_NS6detail17trampoline_kernelINS0_13select_configILj256ELj13ELNS0_17block_load_methodE3ELS4_3ELS4_3ELNS0_20block_scan_algorithmE0ELj4294967295EEENS1_25partition_config_selectorILNS1_17partition_subalgoE4EjNS0_10empty_typeEbEEZZNS1_14partition_implILS8_4ELb0ES6_15HIP_vector_typeIjLj2EENS0_17counting_iteratorIjlEEPS9_SG_NS0_5tupleIJPjSI_NS0_16reverse_iteratorISI_EEEEENSH_IJSG_SG_SG_EEES9_SI_JZNS1_25segmented_radix_sort_implINS0_14default_configELb0EPKfPfPKlPlN2at6native12_GLOBAL__N_18offset_tEEE10hipError_tPvRmT1_PNSt15iterator_traitsIS12_E10value_typeET2_T3_PNS13_IS18_E10value_typeET4_jRbjT5_S1E_jjP12ihipStream_tbEUljE_ZNSN_ISO_Lb0ESQ_SR_ST_SU_SY_EESZ_S10_S11_S12_S16_S17_S18_S1B_S1C_jS1D_jS1E_S1E_jjS1G_bEUljE0_EEESZ_S10_S11_S18_S1C_S1E_T6_T7_T9_mT8_S1G_bDpT10_ENKUlT_T0_E_clISt17integral_constantIbLb0EES1U_EEDaS1P_S1Q_EUlS1P_E_NS1_11comp_targetILNS1_3genE9ELNS1_11target_archE1100ELNS1_3gpuE3ELNS1_3repE0EEENS1_30default_config_static_selectorELNS0_4arch9wavefront6targetE0EEEvS12_
                                        ; -- End function
	.set _ZN7rocprim17ROCPRIM_400000_NS6detail17trampoline_kernelINS0_13select_configILj256ELj13ELNS0_17block_load_methodE3ELS4_3ELS4_3ELNS0_20block_scan_algorithmE0ELj4294967295EEENS1_25partition_config_selectorILNS1_17partition_subalgoE4EjNS0_10empty_typeEbEEZZNS1_14partition_implILS8_4ELb0ES6_15HIP_vector_typeIjLj2EENS0_17counting_iteratorIjlEEPS9_SG_NS0_5tupleIJPjSI_NS0_16reverse_iteratorISI_EEEEENSH_IJSG_SG_SG_EEES9_SI_JZNS1_25segmented_radix_sort_implINS0_14default_configELb0EPKfPfPKlPlN2at6native12_GLOBAL__N_18offset_tEEE10hipError_tPvRmT1_PNSt15iterator_traitsIS12_E10value_typeET2_T3_PNS13_IS18_E10value_typeET4_jRbjT5_S1E_jjP12ihipStream_tbEUljE_ZNSN_ISO_Lb0ESQ_SR_ST_SU_SY_EESZ_S10_S11_S12_S16_S17_S18_S1B_S1C_jS1D_jS1E_S1E_jjS1G_bEUljE0_EEESZ_S10_S11_S18_S1C_S1E_T6_T7_T9_mT8_S1G_bDpT10_ENKUlT_T0_E_clISt17integral_constantIbLb0EES1U_EEDaS1P_S1Q_EUlS1P_E_NS1_11comp_targetILNS1_3genE9ELNS1_11target_archE1100ELNS1_3gpuE3ELNS1_3repE0EEENS1_30default_config_static_selectorELNS0_4arch9wavefront6targetE0EEEvS12_.num_vgpr, 0
	.set _ZN7rocprim17ROCPRIM_400000_NS6detail17trampoline_kernelINS0_13select_configILj256ELj13ELNS0_17block_load_methodE3ELS4_3ELS4_3ELNS0_20block_scan_algorithmE0ELj4294967295EEENS1_25partition_config_selectorILNS1_17partition_subalgoE4EjNS0_10empty_typeEbEEZZNS1_14partition_implILS8_4ELb0ES6_15HIP_vector_typeIjLj2EENS0_17counting_iteratorIjlEEPS9_SG_NS0_5tupleIJPjSI_NS0_16reverse_iteratorISI_EEEEENSH_IJSG_SG_SG_EEES9_SI_JZNS1_25segmented_radix_sort_implINS0_14default_configELb0EPKfPfPKlPlN2at6native12_GLOBAL__N_18offset_tEEE10hipError_tPvRmT1_PNSt15iterator_traitsIS12_E10value_typeET2_T3_PNS13_IS18_E10value_typeET4_jRbjT5_S1E_jjP12ihipStream_tbEUljE_ZNSN_ISO_Lb0ESQ_SR_ST_SU_SY_EESZ_S10_S11_S12_S16_S17_S18_S1B_S1C_jS1D_jS1E_S1E_jjS1G_bEUljE0_EEESZ_S10_S11_S18_S1C_S1E_T6_T7_T9_mT8_S1G_bDpT10_ENKUlT_T0_E_clISt17integral_constantIbLb0EES1U_EEDaS1P_S1Q_EUlS1P_E_NS1_11comp_targetILNS1_3genE9ELNS1_11target_archE1100ELNS1_3gpuE3ELNS1_3repE0EEENS1_30default_config_static_selectorELNS0_4arch9wavefront6targetE0EEEvS12_.num_agpr, 0
	.set _ZN7rocprim17ROCPRIM_400000_NS6detail17trampoline_kernelINS0_13select_configILj256ELj13ELNS0_17block_load_methodE3ELS4_3ELS4_3ELNS0_20block_scan_algorithmE0ELj4294967295EEENS1_25partition_config_selectorILNS1_17partition_subalgoE4EjNS0_10empty_typeEbEEZZNS1_14partition_implILS8_4ELb0ES6_15HIP_vector_typeIjLj2EENS0_17counting_iteratorIjlEEPS9_SG_NS0_5tupleIJPjSI_NS0_16reverse_iteratorISI_EEEEENSH_IJSG_SG_SG_EEES9_SI_JZNS1_25segmented_radix_sort_implINS0_14default_configELb0EPKfPfPKlPlN2at6native12_GLOBAL__N_18offset_tEEE10hipError_tPvRmT1_PNSt15iterator_traitsIS12_E10value_typeET2_T3_PNS13_IS18_E10value_typeET4_jRbjT5_S1E_jjP12ihipStream_tbEUljE_ZNSN_ISO_Lb0ESQ_SR_ST_SU_SY_EESZ_S10_S11_S12_S16_S17_S18_S1B_S1C_jS1D_jS1E_S1E_jjS1G_bEUljE0_EEESZ_S10_S11_S18_S1C_S1E_T6_T7_T9_mT8_S1G_bDpT10_ENKUlT_T0_E_clISt17integral_constantIbLb0EES1U_EEDaS1P_S1Q_EUlS1P_E_NS1_11comp_targetILNS1_3genE9ELNS1_11target_archE1100ELNS1_3gpuE3ELNS1_3repE0EEENS1_30default_config_static_selectorELNS0_4arch9wavefront6targetE0EEEvS12_.numbered_sgpr, 0
	.set _ZN7rocprim17ROCPRIM_400000_NS6detail17trampoline_kernelINS0_13select_configILj256ELj13ELNS0_17block_load_methodE3ELS4_3ELS4_3ELNS0_20block_scan_algorithmE0ELj4294967295EEENS1_25partition_config_selectorILNS1_17partition_subalgoE4EjNS0_10empty_typeEbEEZZNS1_14partition_implILS8_4ELb0ES6_15HIP_vector_typeIjLj2EENS0_17counting_iteratorIjlEEPS9_SG_NS0_5tupleIJPjSI_NS0_16reverse_iteratorISI_EEEEENSH_IJSG_SG_SG_EEES9_SI_JZNS1_25segmented_radix_sort_implINS0_14default_configELb0EPKfPfPKlPlN2at6native12_GLOBAL__N_18offset_tEEE10hipError_tPvRmT1_PNSt15iterator_traitsIS12_E10value_typeET2_T3_PNS13_IS18_E10value_typeET4_jRbjT5_S1E_jjP12ihipStream_tbEUljE_ZNSN_ISO_Lb0ESQ_SR_ST_SU_SY_EESZ_S10_S11_S12_S16_S17_S18_S1B_S1C_jS1D_jS1E_S1E_jjS1G_bEUljE0_EEESZ_S10_S11_S18_S1C_S1E_T6_T7_T9_mT8_S1G_bDpT10_ENKUlT_T0_E_clISt17integral_constantIbLb0EES1U_EEDaS1P_S1Q_EUlS1P_E_NS1_11comp_targetILNS1_3genE9ELNS1_11target_archE1100ELNS1_3gpuE3ELNS1_3repE0EEENS1_30default_config_static_selectorELNS0_4arch9wavefront6targetE0EEEvS12_.num_named_barrier, 0
	.set _ZN7rocprim17ROCPRIM_400000_NS6detail17trampoline_kernelINS0_13select_configILj256ELj13ELNS0_17block_load_methodE3ELS4_3ELS4_3ELNS0_20block_scan_algorithmE0ELj4294967295EEENS1_25partition_config_selectorILNS1_17partition_subalgoE4EjNS0_10empty_typeEbEEZZNS1_14partition_implILS8_4ELb0ES6_15HIP_vector_typeIjLj2EENS0_17counting_iteratorIjlEEPS9_SG_NS0_5tupleIJPjSI_NS0_16reverse_iteratorISI_EEEEENSH_IJSG_SG_SG_EEES9_SI_JZNS1_25segmented_radix_sort_implINS0_14default_configELb0EPKfPfPKlPlN2at6native12_GLOBAL__N_18offset_tEEE10hipError_tPvRmT1_PNSt15iterator_traitsIS12_E10value_typeET2_T3_PNS13_IS18_E10value_typeET4_jRbjT5_S1E_jjP12ihipStream_tbEUljE_ZNSN_ISO_Lb0ESQ_SR_ST_SU_SY_EESZ_S10_S11_S12_S16_S17_S18_S1B_S1C_jS1D_jS1E_S1E_jjS1G_bEUljE0_EEESZ_S10_S11_S18_S1C_S1E_T6_T7_T9_mT8_S1G_bDpT10_ENKUlT_T0_E_clISt17integral_constantIbLb0EES1U_EEDaS1P_S1Q_EUlS1P_E_NS1_11comp_targetILNS1_3genE9ELNS1_11target_archE1100ELNS1_3gpuE3ELNS1_3repE0EEENS1_30default_config_static_selectorELNS0_4arch9wavefront6targetE0EEEvS12_.private_seg_size, 0
	.set _ZN7rocprim17ROCPRIM_400000_NS6detail17trampoline_kernelINS0_13select_configILj256ELj13ELNS0_17block_load_methodE3ELS4_3ELS4_3ELNS0_20block_scan_algorithmE0ELj4294967295EEENS1_25partition_config_selectorILNS1_17partition_subalgoE4EjNS0_10empty_typeEbEEZZNS1_14partition_implILS8_4ELb0ES6_15HIP_vector_typeIjLj2EENS0_17counting_iteratorIjlEEPS9_SG_NS0_5tupleIJPjSI_NS0_16reverse_iteratorISI_EEEEENSH_IJSG_SG_SG_EEES9_SI_JZNS1_25segmented_radix_sort_implINS0_14default_configELb0EPKfPfPKlPlN2at6native12_GLOBAL__N_18offset_tEEE10hipError_tPvRmT1_PNSt15iterator_traitsIS12_E10value_typeET2_T3_PNS13_IS18_E10value_typeET4_jRbjT5_S1E_jjP12ihipStream_tbEUljE_ZNSN_ISO_Lb0ESQ_SR_ST_SU_SY_EESZ_S10_S11_S12_S16_S17_S18_S1B_S1C_jS1D_jS1E_S1E_jjS1G_bEUljE0_EEESZ_S10_S11_S18_S1C_S1E_T6_T7_T9_mT8_S1G_bDpT10_ENKUlT_T0_E_clISt17integral_constantIbLb0EES1U_EEDaS1P_S1Q_EUlS1P_E_NS1_11comp_targetILNS1_3genE9ELNS1_11target_archE1100ELNS1_3gpuE3ELNS1_3repE0EEENS1_30default_config_static_selectorELNS0_4arch9wavefront6targetE0EEEvS12_.uses_vcc, 0
	.set _ZN7rocprim17ROCPRIM_400000_NS6detail17trampoline_kernelINS0_13select_configILj256ELj13ELNS0_17block_load_methodE3ELS4_3ELS4_3ELNS0_20block_scan_algorithmE0ELj4294967295EEENS1_25partition_config_selectorILNS1_17partition_subalgoE4EjNS0_10empty_typeEbEEZZNS1_14partition_implILS8_4ELb0ES6_15HIP_vector_typeIjLj2EENS0_17counting_iteratorIjlEEPS9_SG_NS0_5tupleIJPjSI_NS0_16reverse_iteratorISI_EEEEENSH_IJSG_SG_SG_EEES9_SI_JZNS1_25segmented_radix_sort_implINS0_14default_configELb0EPKfPfPKlPlN2at6native12_GLOBAL__N_18offset_tEEE10hipError_tPvRmT1_PNSt15iterator_traitsIS12_E10value_typeET2_T3_PNS13_IS18_E10value_typeET4_jRbjT5_S1E_jjP12ihipStream_tbEUljE_ZNSN_ISO_Lb0ESQ_SR_ST_SU_SY_EESZ_S10_S11_S12_S16_S17_S18_S1B_S1C_jS1D_jS1E_S1E_jjS1G_bEUljE0_EEESZ_S10_S11_S18_S1C_S1E_T6_T7_T9_mT8_S1G_bDpT10_ENKUlT_T0_E_clISt17integral_constantIbLb0EES1U_EEDaS1P_S1Q_EUlS1P_E_NS1_11comp_targetILNS1_3genE9ELNS1_11target_archE1100ELNS1_3gpuE3ELNS1_3repE0EEENS1_30default_config_static_selectorELNS0_4arch9wavefront6targetE0EEEvS12_.uses_flat_scratch, 0
	.set _ZN7rocprim17ROCPRIM_400000_NS6detail17trampoline_kernelINS0_13select_configILj256ELj13ELNS0_17block_load_methodE3ELS4_3ELS4_3ELNS0_20block_scan_algorithmE0ELj4294967295EEENS1_25partition_config_selectorILNS1_17partition_subalgoE4EjNS0_10empty_typeEbEEZZNS1_14partition_implILS8_4ELb0ES6_15HIP_vector_typeIjLj2EENS0_17counting_iteratorIjlEEPS9_SG_NS0_5tupleIJPjSI_NS0_16reverse_iteratorISI_EEEEENSH_IJSG_SG_SG_EEES9_SI_JZNS1_25segmented_radix_sort_implINS0_14default_configELb0EPKfPfPKlPlN2at6native12_GLOBAL__N_18offset_tEEE10hipError_tPvRmT1_PNSt15iterator_traitsIS12_E10value_typeET2_T3_PNS13_IS18_E10value_typeET4_jRbjT5_S1E_jjP12ihipStream_tbEUljE_ZNSN_ISO_Lb0ESQ_SR_ST_SU_SY_EESZ_S10_S11_S12_S16_S17_S18_S1B_S1C_jS1D_jS1E_S1E_jjS1G_bEUljE0_EEESZ_S10_S11_S18_S1C_S1E_T6_T7_T9_mT8_S1G_bDpT10_ENKUlT_T0_E_clISt17integral_constantIbLb0EES1U_EEDaS1P_S1Q_EUlS1P_E_NS1_11comp_targetILNS1_3genE9ELNS1_11target_archE1100ELNS1_3gpuE3ELNS1_3repE0EEENS1_30default_config_static_selectorELNS0_4arch9wavefront6targetE0EEEvS12_.has_dyn_sized_stack, 0
	.set _ZN7rocprim17ROCPRIM_400000_NS6detail17trampoline_kernelINS0_13select_configILj256ELj13ELNS0_17block_load_methodE3ELS4_3ELS4_3ELNS0_20block_scan_algorithmE0ELj4294967295EEENS1_25partition_config_selectorILNS1_17partition_subalgoE4EjNS0_10empty_typeEbEEZZNS1_14partition_implILS8_4ELb0ES6_15HIP_vector_typeIjLj2EENS0_17counting_iteratorIjlEEPS9_SG_NS0_5tupleIJPjSI_NS0_16reverse_iteratorISI_EEEEENSH_IJSG_SG_SG_EEES9_SI_JZNS1_25segmented_radix_sort_implINS0_14default_configELb0EPKfPfPKlPlN2at6native12_GLOBAL__N_18offset_tEEE10hipError_tPvRmT1_PNSt15iterator_traitsIS12_E10value_typeET2_T3_PNS13_IS18_E10value_typeET4_jRbjT5_S1E_jjP12ihipStream_tbEUljE_ZNSN_ISO_Lb0ESQ_SR_ST_SU_SY_EESZ_S10_S11_S12_S16_S17_S18_S1B_S1C_jS1D_jS1E_S1E_jjS1G_bEUljE0_EEESZ_S10_S11_S18_S1C_S1E_T6_T7_T9_mT8_S1G_bDpT10_ENKUlT_T0_E_clISt17integral_constantIbLb0EES1U_EEDaS1P_S1Q_EUlS1P_E_NS1_11comp_targetILNS1_3genE9ELNS1_11target_archE1100ELNS1_3gpuE3ELNS1_3repE0EEENS1_30default_config_static_selectorELNS0_4arch9wavefront6targetE0EEEvS12_.has_recursion, 0
	.set _ZN7rocprim17ROCPRIM_400000_NS6detail17trampoline_kernelINS0_13select_configILj256ELj13ELNS0_17block_load_methodE3ELS4_3ELS4_3ELNS0_20block_scan_algorithmE0ELj4294967295EEENS1_25partition_config_selectorILNS1_17partition_subalgoE4EjNS0_10empty_typeEbEEZZNS1_14partition_implILS8_4ELb0ES6_15HIP_vector_typeIjLj2EENS0_17counting_iteratorIjlEEPS9_SG_NS0_5tupleIJPjSI_NS0_16reverse_iteratorISI_EEEEENSH_IJSG_SG_SG_EEES9_SI_JZNS1_25segmented_radix_sort_implINS0_14default_configELb0EPKfPfPKlPlN2at6native12_GLOBAL__N_18offset_tEEE10hipError_tPvRmT1_PNSt15iterator_traitsIS12_E10value_typeET2_T3_PNS13_IS18_E10value_typeET4_jRbjT5_S1E_jjP12ihipStream_tbEUljE_ZNSN_ISO_Lb0ESQ_SR_ST_SU_SY_EESZ_S10_S11_S12_S16_S17_S18_S1B_S1C_jS1D_jS1E_S1E_jjS1G_bEUljE0_EEESZ_S10_S11_S18_S1C_S1E_T6_T7_T9_mT8_S1G_bDpT10_ENKUlT_T0_E_clISt17integral_constantIbLb0EES1U_EEDaS1P_S1Q_EUlS1P_E_NS1_11comp_targetILNS1_3genE9ELNS1_11target_archE1100ELNS1_3gpuE3ELNS1_3repE0EEENS1_30default_config_static_selectorELNS0_4arch9wavefront6targetE0EEEvS12_.has_indirect_call, 0
	.section	.AMDGPU.csdata,"",@progbits
; Kernel info:
; codeLenInByte = 0
; TotalNumSgprs: 0
; NumVgprs: 0
; ScratchSize: 0
; MemoryBound: 0
; FloatMode: 240
; IeeeMode: 1
; LDSByteSize: 0 bytes/workgroup (compile time only)
; SGPRBlocks: 0
; VGPRBlocks: 0
; NumSGPRsForWavesPerEU: 1
; NumVGPRsForWavesPerEU: 1
; Occupancy: 16
; WaveLimiterHint : 0
; COMPUTE_PGM_RSRC2:SCRATCH_EN: 0
; COMPUTE_PGM_RSRC2:USER_SGPR: 6
; COMPUTE_PGM_RSRC2:TRAP_HANDLER: 0
; COMPUTE_PGM_RSRC2:TGID_X_EN: 1
; COMPUTE_PGM_RSRC2:TGID_Y_EN: 0
; COMPUTE_PGM_RSRC2:TGID_Z_EN: 0
; COMPUTE_PGM_RSRC2:TIDIG_COMP_CNT: 0
	.section	.text._ZN7rocprim17ROCPRIM_400000_NS6detail17trampoline_kernelINS0_13select_configILj256ELj13ELNS0_17block_load_methodE3ELS4_3ELS4_3ELNS0_20block_scan_algorithmE0ELj4294967295EEENS1_25partition_config_selectorILNS1_17partition_subalgoE4EjNS0_10empty_typeEbEEZZNS1_14partition_implILS8_4ELb0ES6_15HIP_vector_typeIjLj2EENS0_17counting_iteratorIjlEEPS9_SG_NS0_5tupleIJPjSI_NS0_16reverse_iteratorISI_EEEEENSH_IJSG_SG_SG_EEES9_SI_JZNS1_25segmented_radix_sort_implINS0_14default_configELb0EPKfPfPKlPlN2at6native12_GLOBAL__N_18offset_tEEE10hipError_tPvRmT1_PNSt15iterator_traitsIS12_E10value_typeET2_T3_PNS13_IS18_E10value_typeET4_jRbjT5_S1E_jjP12ihipStream_tbEUljE_ZNSN_ISO_Lb0ESQ_SR_ST_SU_SY_EESZ_S10_S11_S12_S16_S17_S18_S1B_S1C_jS1D_jS1E_S1E_jjS1G_bEUljE0_EEESZ_S10_S11_S18_S1C_S1E_T6_T7_T9_mT8_S1G_bDpT10_ENKUlT_T0_E_clISt17integral_constantIbLb0EES1U_EEDaS1P_S1Q_EUlS1P_E_NS1_11comp_targetILNS1_3genE8ELNS1_11target_archE1030ELNS1_3gpuE2ELNS1_3repE0EEENS1_30default_config_static_selectorELNS0_4arch9wavefront6targetE0EEEvS12_,"axG",@progbits,_ZN7rocprim17ROCPRIM_400000_NS6detail17trampoline_kernelINS0_13select_configILj256ELj13ELNS0_17block_load_methodE3ELS4_3ELS4_3ELNS0_20block_scan_algorithmE0ELj4294967295EEENS1_25partition_config_selectorILNS1_17partition_subalgoE4EjNS0_10empty_typeEbEEZZNS1_14partition_implILS8_4ELb0ES6_15HIP_vector_typeIjLj2EENS0_17counting_iteratorIjlEEPS9_SG_NS0_5tupleIJPjSI_NS0_16reverse_iteratorISI_EEEEENSH_IJSG_SG_SG_EEES9_SI_JZNS1_25segmented_radix_sort_implINS0_14default_configELb0EPKfPfPKlPlN2at6native12_GLOBAL__N_18offset_tEEE10hipError_tPvRmT1_PNSt15iterator_traitsIS12_E10value_typeET2_T3_PNS13_IS18_E10value_typeET4_jRbjT5_S1E_jjP12ihipStream_tbEUljE_ZNSN_ISO_Lb0ESQ_SR_ST_SU_SY_EESZ_S10_S11_S12_S16_S17_S18_S1B_S1C_jS1D_jS1E_S1E_jjS1G_bEUljE0_EEESZ_S10_S11_S18_S1C_S1E_T6_T7_T9_mT8_S1G_bDpT10_ENKUlT_T0_E_clISt17integral_constantIbLb0EES1U_EEDaS1P_S1Q_EUlS1P_E_NS1_11comp_targetILNS1_3genE8ELNS1_11target_archE1030ELNS1_3gpuE2ELNS1_3repE0EEENS1_30default_config_static_selectorELNS0_4arch9wavefront6targetE0EEEvS12_,comdat
	.globl	_ZN7rocprim17ROCPRIM_400000_NS6detail17trampoline_kernelINS0_13select_configILj256ELj13ELNS0_17block_load_methodE3ELS4_3ELS4_3ELNS0_20block_scan_algorithmE0ELj4294967295EEENS1_25partition_config_selectorILNS1_17partition_subalgoE4EjNS0_10empty_typeEbEEZZNS1_14partition_implILS8_4ELb0ES6_15HIP_vector_typeIjLj2EENS0_17counting_iteratorIjlEEPS9_SG_NS0_5tupleIJPjSI_NS0_16reverse_iteratorISI_EEEEENSH_IJSG_SG_SG_EEES9_SI_JZNS1_25segmented_radix_sort_implINS0_14default_configELb0EPKfPfPKlPlN2at6native12_GLOBAL__N_18offset_tEEE10hipError_tPvRmT1_PNSt15iterator_traitsIS12_E10value_typeET2_T3_PNS13_IS18_E10value_typeET4_jRbjT5_S1E_jjP12ihipStream_tbEUljE_ZNSN_ISO_Lb0ESQ_SR_ST_SU_SY_EESZ_S10_S11_S12_S16_S17_S18_S1B_S1C_jS1D_jS1E_S1E_jjS1G_bEUljE0_EEESZ_S10_S11_S18_S1C_S1E_T6_T7_T9_mT8_S1G_bDpT10_ENKUlT_T0_E_clISt17integral_constantIbLb0EES1U_EEDaS1P_S1Q_EUlS1P_E_NS1_11comp_targetILNS1_3genE8ELNS1_11target_archE1030ELNS1_3gpuE2ELNS1_3repE0EEENS1_30default_config_static_selectorELNS0_4arch9wavefront6targetE0EEEvS12_ ; -- Begin function _ZN7rocprim17ROCPRIM_400000_NS6detail17trampoline_kernelINS0_13select_configILj256ELj13ELNS0_17block_load_methodE3ELS4_3ELS4_3ELNS0_20block_scan_algorithmE0ELj4294967295EEENS1_25partition_config_selectorILNS1_17partition_subalgoE4EjNS0_10empty_typeEbEEZZNS1_14partition_implILS8_4ELb0ES6_15HIP_vector_typeIjLj2EENS0_17counting_iteratorIjlEEPS9_SG_NS0_5tupleIJPjSI_NS0_16reverse_iteratorISI_EEEEENSH_IJSG_SG_SG_EEES9_SI_JZNS1_25segmented_radix_sort_implINS0_14default_configELb0EPKfPfPKlPlN2at6native12_GLOBAL__N_18offset_tEEE10hipError_tPvRmT1_PNSt15iterator_traitsIS12_E10value_typeET2_T3_PNS13_IS18_E10value_typeET4_jRbjT5_S1E_jjP12ihipStream_tbEUljE_ZNSN_ISO_Lb0ESQ_SR_ST_SU_SY_EESZ_S10_S11_S12_S16_S17_S18_S1B_S1C_jS1D_jS1E_S1E_jjS1G_bEUljE0_EEESZ_S10_S11_S18_S1C_S1E_T6_T7_T9_mT8_S1G_bDpT10_ENKUlT_T0_E_clISt17integral_constantIbLb0EES1U_EEDaS1P_S1Q_EUlS1P_E_NS1_11comp_targetILNS1_3genE8ELNS1_11target_archE1030ELNS1_3gpuE2ELNS1_3repE0EEENS1_30default_config_static_selectorELNS0_4arch9wavefront6targetE0EEEvS12_
	.p2align	8
	.type	_ZN7rocprim17ROCPRIM_400000_NS6detail17trampoline_kernelINS0_13select_configILj256ELj13ELNS0_17block_load_methodE3ELS4_3ELS4_3ELNS0_20block_scan_algorithmE0ELj4294967295EEENS1_25partition_config_selectorILNS1_17partition_subalgoE4EjNS0_10empty_typeEbEEZZNS1_14partition_implILS8_4ELb0ES6_15HIP_vector_typeIjLj2EENS0_17counting_iteratorIjlEEPS9_SG_NS0_5tupleIJPjSI_NS0_16reverse_iteratorISI_EEEEENSH_IJSG_SG_SG_EEES9_SI_JZNS1_25segmented_radix_sort_implINS0_14default_configELb0EPKfPfPKlPlN2at6native12_GLOBAL__N_18offset_tEEE10hipError_tPvRmT1_PNSt15iterator_traitsIS12_E10value_typeET2_T3_PNS13_IS18_E10value_typeET4_jRbjT5_S1E_jjP12ihipStream_tbEUljE_ZNSN_ISO_Lb0ESQ_SR_ST_SU_SY_EESZ_S10_S11_S12_S16_S17_S18_S1B_S1C_jS1D_jS1E_S1E_jjS1G_bEUljE0_EEESZ_S10_S11_S18_S1C_S1E_T6_T7_T9_mT8_S1G_bDpT10_ENKUlT_T0_E_clISt17integral_constantIbLb0EES1U_EEDaS1P_S1Q_EUlS1P_E_NS1_11comp_targetILNS1_3genE8ELNS1_11target_archE1030ELNS1_3gpuE2ELNS1_3repE0EEENS1_30default_config_static_selectorELNS0_4arch9wavefront6targetE0EEEvS12_,@function
_ZN7rocprim17ROCPRIM_400000_NS6detail17trampoline_kernelINS0_13select_configILj256ELj13ELNS0_17block_load_methodE3ELS4_3ELS4_3ELNS0_20block_scan_algorithmE0ELj4294967295EEENS1_25partition_config_selectorILNS1_17partition_subalgoE4EjNS0_10empty_typeEbEEZZNS1_14partition_implILS8_4ELb0ES6_15HIP_vector_typeIjLj2EENS0_17counting_iteratorIjlEEPS9_SG_NS0_5tupleIJPjSI_NS0_16reverse_iteratorISI_EEEEENSH_IJSG_SG_SG_EEES9_SI_JZNS1_25segmented_radix_sort_implINS0_14default_configELb0EPKfPfPKlPlN2at6native12_GLOBAL__N_18offset_tEEE10hipError_tPvRmT1_PNSt15iterator_traitsIS12_E10value_typeET2_T3_PNS13_IS18_E10value_typeET4_jRbjT5_S1E_jjP12ihipStream_tbEUljE_ZNSN_ISO_Lb0ESQ_SR_ST_SU_SY_EESZ_S10_S11_S12_S16_S17_S18_S1B_S1C_jS1D_jS1E_S1E_jjS1G_bEUljE0_EEESZ_S10_S11_S18_S1C_S1E_T6_T7_T9_mT8_S1G_bDpT10_ENKUlT_T0_E_clISt17integral_constantIbLb0EES1U_EEDaS1P_S1Q_EUlS1P_E_NS1_11comp_targetILNS1_3genE8ELNS1_11target_archE1030ELNS1_3gpuE2ELNS1_3repE0EEENS1_30default_config_static_selectorELNS0_4arch9wavefront6targetE0EEEvS12_: ; @_ZN7rocprim17ROCPRIM_400000_NS6detail17trampoline_kernelINS0_13select_configILj256ELj13ELNS0_17block_load_methodE3ELS4_3ELS4_3ELNS0_20block_scan_algorithmE0ELj4294967295EEENS1_25partition_config_selectorILNS1_17partition_subalgoE4EjNS0_10empty_typeEbEEZZNS1_14partition_implILS8_4ELb0ES6_15HIP_vector_typeIjLj2EENS0_17counting_iteratorIjlEEPS9_SG_NS0_5tupleIJPjSI_NS0_16reverse_iteratorISI_EEEEENSH_IJSG_SG_SG_EEES9_SI_JZNS1_25segmented_radix_sort_implINS0_14default_configELb0EPKfPfPKlPlN2at6native12_GLOBAL__N_18offset_tEEE10hipError_tPvRmT1_PNSt15iterator_traitsIS12_E10value_typeET2_T3_PNS13_IS18_E10value_typeET4_jRbjT5_S1E_jjP12ihipStream_tbEUljE_ZNSN_ISO_Lb0ESQ_SR_ST_SU_SY_EESZ_S10_S11_S12_S16_S17_S18_S1B_S1C_jS1D_jS1E_S1E_jjS1G_bEUljE0_EEESZ_S10_S11_S18_S1C_S1E_T6_T7_T9_mT8_S1G_bDpT10_ENKUlT_T0_E_clISt17integral_constantIbLb0EES1U_EEDaS1P_S1Q_EUlS1P_E_NS1_11comp_targetILNS1_3genE8ELNS1_11target_archE1030ELNS1_3gpuE2ELNS1_3repE0EEENS1_30default_config_static_selectorELNS0_4arch9wavefront6targetE0EEEvS12_
; %bb.0:
	s_clause 0x6
	s_load_dword s3, s[4:5], 0x80
	s_load_dwordx2 s[34:35], s[4:5], 0x10
	s_load_dwordx2 s[0:1], s[4:5], 0x68
	s_load_dword s7, s[4:5], 0x8
	s_load_dwordx4 s[24:27], s[4:5], 0x58
	s_load_dwordx2 s[40:41], s[4:5], 0xa8
	s_load_dwordx8 s[16:23], s[4:5], 0x88
	s_mul_i32 s42, s6, 0xd00
	s_waitcnt lgkmcnt(0)
	s_mul_i32 s2, s3, 0xd00
	s_add_i32 s3, s3, -1
	s_add_u32 s8, s34, s2
	s_addc_u32 s9, s35, 0
	s_load_dwordx4 s[28:31], s[26:27], 0x0
	s_cmp_eq_u32 s6, s3
	v_cmp_gt_u64_e64 s1, s[0:1], s[8:9]
	s_cselect_b32 s33, -1, 0
	s_cmp_lg_u32 s6, s3
	s_cselect_b32 s3, -1, 0
	s_add_i32 s7, s7, s42
	s_or_b32 s1, s3, s1
	s_add_i32 s7, s7, s34
	s_and_b32 vcc_lo, exec_lo, s1
	v_add_nc_u32_e32 v1, s7, v0
	s_mov_b32 s3, -1
	v_add_nc_u32_e32 v2, 0x100, v1
	v_add_nc_u32_e32 v3, 0x200, v1
	;; [unrolled: 1-line block ×12, first 2 shown]
	s_cbranch_vccz .LBB1363_2
; %bb.1:
	v_lshlrev_b32_e32 v14, 2, v0
	s_mov_b32 s3, 0
	ds_write2st64_b32 v14, v1, v2 offset1:4
	ds_write2st64_b32 v14, v3, v4 offset0:8 offset1:12
	ds_write2st64_b32 v14, v5, v6 offset0:16 offset1:20
	;; [unrolled: 1-line block ×5, first 2 shown]
	ds_write_b32 v14, v13 offset:12288
	s_waitcnt lgkmcnt(0)
	s_barrier
.LBB1363_2:
	s_andn2_b32 vcc_lo, exec_lo, s3
	s_add_i32 s2, s2, s34
	s_cbranch_vccnz .LBB1363_4
; %bb.3:
	v_lshlrev_b32_e32 v14, 2, v0
	ds_write2st64_b32 v14, v1, v2 offset1:4
	ds_write2st64_b32 v14, v3, v4 offset0:8 offset1:12
	ds_write2st64_b32 v14, v5, v6 offset0:16 offset1:20
	;; [unrolled: 1-line block ×5, first 2 shown]
	ds_write_b32 v14, v13 offset:12288
	s_waitcnt lgkmcnt(0)
	s_barrier
.LBB1363_4:
	v_mul_u32_u24_e32 v29, 13, v0
	s_clause 0x1
	s_load_dwordx4 s[36:39], s[4:5], 0x28
	s_load_dwordx2 s[26:27], s[4:5], 0x38
	s_waitcnt lgkmcnt(0)
	buffer_gl0_inv
	v_cndmask_b32_e64 v27, 0, 1, s1
	s_sub_i32 s43, s0, s2
	v_lshlrev_b32_e32 v1, 2, v29
	s_andn2_b32 vcc_lo, exec_lo, s1
	ds_read_b32 v28, v1 offset:48
	ds_read2_b32 v[9:10], v1 offset0:10 offset1:11
	ds_read2_b32 v[11:12], v1 offset0:8 offset1:9
	;; [unrolled: 1-line block ×4, first 2 shown]
	ds_read2_b32 v[19:20], v1 offset1:1
	ds_read2_b32 v[17:18], v1 offset0:2 offset1:3
	s_waitcnt lgkmcnt(0)
	s_barrier
	buffer_gl0_inv
	s_cbranch_vccnz .LBB1363_32
; %bb.5:
	v_add_nc_u32_e32 v1, s17, v19
	v_add_nc_u32_e32 v2, s19, v19
	s_mov_b32 s45, 0
	s_mov_b32 s44, 0
	s_mov_b32 s1, exec_lo
	v_mul_lo_u32 v1, v1, s16
	v_mul_lo_u32 v2, v2, s18
	v_sub_nc_u32_e32 v1, v1, v2
	v_cmp_lt_u32_e32 vcc_lo, s20, v1
	v_cmpx_ge_u32_e64 s20, v1
	s_cbranch_execz .LBB1363_7
; %bb.6:
	v_add_nc_u32_e32 v1, s22, v19
	v_add_nc_u32_e32 v2, s40, v19
	v_mul_lo_u32 v1, v1, s21
	v_mul_lo_u32 v2, v2, s23
	v_sub_nc_u32_e32 v1, v1, v2
	v_cmp_lt_u32_e64 s0, s41, v1
	s_and_b32 s44, s0, exec_lo
.LBB1363_7:
	s_or_b32 exec_lo, exec_lo, s1
	v_add_nc_u32_e32 v1, s17, v20
	v_add_nc_u32_e32 v2, s19, v20
	s_mov_b32 s2, exec_lo
	v_mul_lo_u32 v1, v1, s16
	v_mul_lo_u32 v2, v2, s18
	v_sub_nc_u32_e32 v1, v1, v2
	v_cmp_lt_u32_e64 s0, s20, v1
	v_cmpx_ge_u32_e64 s20, v1
	s_cbranch_execz .LBB1363_9
; %bb.8:
	v_add_nc_u32_e32 v1, s22, v20
	v_add_nc_u32_e32 v2, s40, v20
	v_mul_lo_u32 v1, v1, s21
	v_mul_lo_u32 v2, v2, s23
	v_sub_nc_u32_e32 v1, v1, v2
	v_cmp_lt_u32_e64 s1, s41, v1
	s_and_b32 s45, s1, exec_lo
.LBB1363_9:
	s_or_b32 exec_lo, exec_lo, s2
	v_add_nc_u32_e32 v1, s17, v17
	v_add_nc_u32_e32 v2, s19, v17
	s_mov_b32 s47, 0
	s_mov_b32 s46, 0
	s_mov_b32 s3, exec_lo
	v_mul_lo_u32 v1, v1, s16
	v_mul_lo_u32 v2, v2, s18
	v_sub_nc_u32_e32 v1, v1, v2
	v_cmp_lt_u32_e64 s1, s20, v1
	v_cmpx_ge_u32_e64 s20, v1
	s_cbranch_execz .LBB1363_11
; %bb.10:
	v_add_nc_u32_e32 v1, s22, v17
	v_add_nc_u32_e32 v2, s40, v17
	v_mul_lo_u32 v1, v1, s21
	v_mul_lo_u32 v2, v2, s23
	v_sub_nc_u32_e32 v1, v1, v2
	v_cmp_lt_u32_e64 s2, s41, v1
	s_and_b32 s46, s2, exec_lo
.LBB1363_11:
	s_or_b32 exec_lo, exec_lo, s3
	v_add_nc_u32_e32 v1, s17, v18
	v_add_nc_u32_e32 v2, s19, v18
	s_mov_b32 s7, exec_lo
	v_mul_lo_u32 v1, v1, s16
	v_mul_lo_u32 v2, v2, s18
	v_sub_nc_u32_e32 v1, v1, v2
	v_cmp_lt_u32_e64 s2, s20, v1
	v_cmpx_ge_u32_e64 s20, v1
	s_cbranch_execz .LBB1363_13
; %bb.12:
	v_add_nc_u32_e32 v1, s22, v18
	v_add_nc_u32_e32 v2, s40, v18
	v_mul_lo_u32 v1, v1, s21
	v_mul_lo_u32 v2, v2, s23
	v_sub_nc_u32_e32 v1, v1, v2
	v_cmp_lt_u32_e64 s3, s41, v1
	s_and_b32 s47, s3, exec_lo
.LBB1363_13:
	s_or_b32 exec_lo, exec_lo, s7
	v_add_nc_u32_e32 v1, s17, v15
	v_add_nc_u32_e32 v2, s19, v15
	s_mov_b32 s49, 0
	s_mov_b32 s48, 0
	s_mov_b32 s8, exec_lo
	v_mul_lo_u32 v1, v1, s16
	v_mul_lo_u32 v2, v2, s18
	v_sub_nc_u32_e32 v1, v1, v2
	v_cmp_lt_u32_e64 s3, s20, v1
	;; [unrolled: 40-line block ×6, first 2 shown]
	v_cmpx_ge_u32_e64 s20, v1
	s_cbranch_execz .LBB1363_31
; %bb.30:
	v_add_nc_u32_e32 v1, s22, v28
	v_add_nc_u32_e32 v2, s40, v28
	v_mul_lo_u32 v1, v1, s21
	v_mul_lo_u32 v2, v2, s23
	v_sub_nc_u32_e32 v1, v1, v2
	v_cmp_lt_u32_e64 s15, s41, v1
	s_and_b32 s57, s15, exec_lo
.LBB1363_31:
	s_or_b32 exec_lo, exec_lo, s58
	v_cndmask_b32_e64 v2, 0, 1, s0
	v_cndmask_b32_e64 v4, 0, 1, s2
	v_cndmask_b32_e64 v1, 0, 1, vcc_lo
	v_cndmask_b32_e64 v3, 0, 1, s1
	v_cndmask_b32_e64 v6, 0, 1, s7
	v_lshlrev_b16 v2, 8, v2
	v_lshlrev_b16 v4, 8, v4
	v_cndmask_b32_e64 v8, 0, 1, s9
	v_cndmask_b32_e64 v22, 0, 1, s11
	;; [unrolled: 1-line block ×3, first 2 shown]
	v_or_b32_e32 v1, v1, v2
	v_or_b32_sdwa v2, v3, v4 dst_sel:WORD_1 dst_unused:UNUSED_PAD src0_sel:DWORD src1_sel:DWORD
	v_cndmask_b32_e64 v3, 0, 1, s44
	v_cndmask_b32_e64 v5, 0, 1, s3
	;; [unrolled: 1-line block ×11, first 2 shown]
	v_or_b32_sdwa v30, v1, v2 dst_sel:DWORD dst_unused:UNUSED_PAD src0_sel:WORD_0 src1_sel:DWORD
	v_lshlrev_b16 v1, 8, v6
	v_lshlrev_b16 v2, 8, v8
	;; [unrolled: 1-line block ×5, first 2 shown]
	v_cndmask_b32_e64 v26, 0, 1, s53
	v_cndmask_b32_e64 v32, 0, 1, s51
	v_cndmask_b32_e64 v35, 0, 1, s49
	v_cndmask_b32_e64 v38, 0, 1, s47
	v_cndmask_b32_e64 v40, 0, 1, s45
	v_or_b32_e32 v1, v5, v1
	v_or_b32_sdwa v2, v7, v2 dst_sel:WORD_1 dst_unused:UNUSED_PAD src0_sel:DWORD src1_sel:DWORD
	v_or_b32_e32 v5, v21, v6
	v_or_b32_sdwa v6, v23, v8 dst_sel:WORD_1 dst_unused:UNUSED_PAD src0_sel:DWORD src1_sel:DWORD
	v_or_b32_e32 v3, v4, v3
	v_lshlrev_b16 v4, 8, v39
	v_lshlrev_b16 v7, 8, v36
	;; [unrolled: 1-line block ×5, first 2 shown]
	v_or_b32_sdwa v4, v40, v4 dst_sel:WORD_1 dst_unused:UNUSED_PAD src0_sel:DWORD src1_sel:DWORD
	v_or_b32_e32 v7, v38, v7
	v_or_b32_sdwa v8, v35, v8 dst_sel:WORD_1 dst_unused:UNUSED_PAD src0_sel:DWORD src1_sel:DWORD
	v_or_b32_e32 v21, v32, v21
	v_or_b32_sdwa v22, v26, v22 dst_sel:WORD_1 dst_unused:UNUSED_PAD src0_sel:DWORD src1_sel:DWORD
	v_cndmask_b32_e64 v34, 0, 1, s55
	v_cndmask_b32_e64 v37, 0, 1, s57
	v_or_b32_sdwa v32, v1, v2 dst_sel:DWORD dst_unused:UNUSED_PAD src0_sel:WORD_0 src1_sel:DWORD
	v_or_b32_sdwa v35, v5, v6 dst_sel:DWORD dst_unused:UNUSED_PAD src0_sel:WORD_0 src1_sel:DWORD
	;; [unrolled: 1-line block ×5, first 2 shown]
	s_load_dwordx2 s[4:5], s[4:5], 0x78
	s_and_b32 vcc_lo, exec_lo, s54
	s_add_i32 s7, s43, 0xd00
	s_cbranch_vccnz .LBB1363_33
	s_branch .LBB1363_110
.LBB1363_32:
                                        ; implicit-def: $vgpr37
                                        ; implicit-def: $vgpr34
                                        ; implicit-def: $vgpr33
                                        ; implicit-def: $vgpr31
                                        ; implicit-def: $vgpr36
                                        ; implicit-def: $vgpr35
                                        ; implicit-def: $vgpr32
                                        ; implicit-def: $vgpr30
	s_load_dwordx2 s[4:5], s[4:5], 0x78
	s_add_i32 s7, s43, 0xd00
	s_cbranch_execz .LBB1363_110
.LBB1363_33:
	v_mov_b32_e32 v2, 0
	v_mov_b32_e32 v1, 0
	s_mov_b32 s1, exec_lo
	v_cmpx_gt_u32_e64 s7, v29
	s_cbranch_execz .LBB1363_37
; %bb.34:
	v_add_nc_u32_e32 v1, s17, v19
	v_add_nc_u32_e32 v2, s19, v19
	s_mov_b32 s3, 0
	s_mov_b32 s2, exec_lo
	v_mul_lo_u32 v1, v1, s16
	v_mul_lo_u32 v2, v2, s18
	v_sub_nc_u32_e32 v1, v1, v2
	v_cmp_lt_u32_e32 vcc_lo, s20, v1
	v_cmpx_ge_u32_e64 s20, v1
	s_cbranch_execz .LBB1363_36
; %bb.35:
	v_add_nc_u32_e32 v1, s22, v19
	v_add_nc_u32_e32 v2, s40, v19
	v_mul_lo_u32 v1, v1, s21
	v_mul_lo_u32 v2, v2, s23
	v_sub_nc_u32_e32 v1, v1, v2
	v_cmp_lt_u32_e64 s0, s41, v1
	s_and_b32 s3, s0, exec_lo
.LBB1363_36:
	s_or_b32 exec_lo, exec_lo, s2
	v_cndmask_b32_e64 v2, 0, 1, s3
	v_cndmask_b32_e64 v1, 0, 1, vcc_lo
.LBB1363_37:
	s_or_b32 exec_lo, exec_lo, s1
	v_add_nc_u32_e32 v3, 1, v29
	v_lshlrev_b16 v21, 8, v2
	v_and_b32_e32 v6, 0xff, v1
	v_lshlrev_b16 v7, 8, 0
                                        ; implicit-def: $vgpr5
                                        ; implicit-def: $vgpr8
                                        ; implicit-def: $vgpr2
                                        ; implicit-def: $vgpr4
	v_cmp_le_u32_e32 vcc_lo, s7, v3
                                        ; implicit-def: $vgpr3
	s_and_saveexec_b32 s0, vcc_lo
	s_xor_b32 s0, exec_lo, s0
	s_cbranch_execz .LBB1363_39
; %bb.38:
	v_mov_b32_e32 v1, 8
	v_mov_b32_e32 v2, 0xff
	;; [unrolled: 1-line block ×3, first 2 shown]
	v_and_b32_e32 v4, 0xffff, v7
	v_and_b32_e32 v3, 0xffff, v7
	v_lshrrev_b32_sdwa v1, v1, v21 dst_sel:BYTE_1 dst_unused:UNUSED_PAD src0_sel:DWORD src1_sel:WORD_0
	v_and_b32_sdwa v2, v21, v2 dst_sel:DWORD dst_unused:UNUSED_PAD src0_sel:WORD_0 src1_sel:DWORD
                                        ; implicit-def: $vgpr21
	v_or_b32_e32 v1, v2, v1
	v_and_b32_e32 v2, 0xffff, v7
                                        ; implicit-def: $vgpr7
	v_and_b32_e32 v8, 0xffff, v1
                                        ; implicit-def: $vgpr1
.LBB1363_39:
	s_andn2_saveexec_b32 s1, s0
	s_cbranch_execz .LBB1363_43
; %bb.40:
	v_add_nc_u32_e32 v2, s17, v20
	v_add_nc_u32_e32 v3, s19, v20
	s_mov_b32 s2, 0
	s_mov_b32 s3, exec_lo
	v_mul_lo_u32 v2, v2, s16
	v_mul_lo_u32 v3, v3, s18
	v_sub_nc_u32_e32 v2, v2, v3
	v_cmp_lt_u32_e32 vcc_lo, s20, v2
	v_cmpx_ge_u32_e64 s20, v2
	s_cbranch_execz .LBB1363_42
; %bb.41:
	v_add_nc_u32_e32 v2, s22, v20
	v_add_nc_u32_e32 v3, s40, v20
	v_mul_lo_u32 v2, v2, s21
	v_mul_lo_u32 v3, v3, s23
	v_sub_nc_u32_e32 v2, v2, v3
	v_cmp_lt_u32_e64 s0, s41, v2
	s_and_b32 s2, s0, exec_lo
.LBB1363_42:
	s_or_b32 exec_lo, exec_lo, s3
	v_mov_b32_e32 v2, 0xff
	v_mov_b32_e32 v3, 8
	v_cndmask_b32_e64 v4, 0, 1, vcc_lo
	v_mov_b32_e32 v5, 0
	v_and_b32_sdwa v2, v21, v2 dst_sel:DWORD dst_unused:UNUSED_PAD src0_sel:WORD_0 src1_sel:DWORD
	v_lshrrev_b32_sdwa v3, v3, v21 dst_sel:BYTE_1 dst_unused:UNUSED_PAD src0_sel:DWORD src1_sel:WORD_0
	v_lshlrev_b16 v4, 8, v4
	v_or_b32_e32 v2, v2, v3
	v_cndmask_b32_e64 v3, 0, 1, s2
	v_or_b32_sdwa v1, v1, v4 dst_sel:DWORD dst_unused:UNUSED_PAD src0_sel:BYTE_0 src1_sel:DWORD
	v_and_b32_e32 v4, 0xffff, v7
	v_and_b32_e32 v8, 0xffff, v2
	v_mov_b32_e32 v2, 0
	v_and_b32_e32 v6, 0xffff, v1
	v_lshl_or_b32 v8, v3, 16, v8
	v_and_b32_e32 v3, 0xffff, v7
.LBB1363_43:
	s_or_b32 exec_lo, exec_lo, s1
	v_add_nc_u32_e32 v1, 2, v29
                                        ; implicit-def: $vgpr7
	v_cmp_le_u32_e32 vcc_lo, s7, v1
                                        ; implicit-def: $vgpr1
	s_and_saveexec_b32 s0, vcc_lo
	s_xor_b32 s0, exec_lo, s0
	s_cbranch_execz .LBB1363_45
; %bb.44:
	v_lshrrev_b32_e32 v1, 24, v6
	v_mov_b32_e32 v7, 8
	v_and_b32_e32 v21, 0xff0000, v8
	v_perm_b32 v4, v4, v4, 0x3060504
	v_perm_b32 v1, v1, v6, 0x40c0100
	v_lshrrev_b32_sdwa v6, v7, v1 dst_sel:BYTE_1 dst_unused:UNUSED_PAD src0_sel:DWORD src1_sel:DWORD
	v_or_b32_sdwa v6, v1, v6 dst_sel:DWORD dst_unused:UNUSED_PAD src0_sel:BYTE_0 src1_sel:DWORD
	v_and_b32_e32 v6, 0xffff, v6
	v_and_or_b32 v7, 0xff000000, v1, v6
	v_perm_b32 v1, v8, v21, 0x3020504
                                        ; implicit-def: $vgpr6
                                        ; implicit-def: $vgpr8
.LBB1363_45:
	s_andn2_saveexec_b32 s1, s0
	s_cbranch_execz .LBB1363_49
; %bb.46:
	v_add_nc_u32_e32 v1, s17, v17
	v_add_nc_u32_e32 v7, s19, v17
	s_mov_b32 s2, 0
	s_mov_b32 s3, exec_lo
	v_mul_lo_u32 v1, v1, s16
	v_mul_lo_u32 v7, v7, s18
	v_sub_nc_u32_e32 v1, v1, v7
	v_cmp_lt_u32_e32 vcc_lo, s20, v1
	v_cmpx_ge_u32_e64 s20, v1
	s_cbranch_execz .LBB1363_48
; %bb.47:
	v_add_nc_u32_e32 v1, s22, v17
	v_add_nc_u32_e32 v7, s40, v17
	v_mul_lo_u32 v1, v1, s21
	v_mul_lo_u32 v7, v7, s23
	v_sub_nc_u32_e32 v1, v1, v7
	v_cmp_lt_u32_e64 s0, s41, v1
	s_and_b32 s2, s0, exec_lo
.LBB1363_48:
	s_or_b32 exec_lo, exec_lo, s3
	v_mov_b32_e32 v1, 8
	v_mov_b32_e32 v7, 24
	v_cndmask_b32_e64 v22, 0, 1, s2
	v_mov_b32_e32 v23, 0xff
	v_cndmask_b32_e64 v21, 0, 1, vcc_lo
	v_lshrrev_b32_sdwa v24, v1, v6 dst_sel:BYTE_1 dst_unused:UNUSED_PAD src0_sel:DWORD src1_sel:DWORD
	v_lshrrev_b32_sdwa v7, v7, v6 dst_sel:BYTE_1 dst_unused:UNUSED_PAD src0_sel:DWORD src1_sel:DWORD
	;; [unrolled: 1-line block ×3, first 2 shown]
	v_lshlrev_b16 v22, 8, v22
	v_and_b32_sdwa v23, v8, v23 dst_sel:DWORD dst_unused:UNUSED_PAD src0_sel:WORD_1 src1_sel:DWORD
	v_or_b32_sdwa v6, v6, v24 dst_sel:DWORD dst_unused:UNUSED_PAD src0_sel:BYTE_0 src1_sel:DWORD
	v_or_b32_sdwa v7, v21, v7 dst_sel:WORD_1 dst_unused:UNUSED_PAD src0_sel:DWORD src1_sel:DWORD
	v_or_b32_sdwa v1, v8, v1 dst_sel:DWORD dst_unused:UNUSED_PAD src0_sel:BYTE_0 src1_sel:DWORD
	v_or_b32_sdwa v8, v23, v22 dst_sel:WORD_1 dst_unused:UNUSED_PAD src0_sel:DWORD src1_sel:DWORD
	v_or_b32_sdwa v7, v6, v7 dst_sel:DWORD dst_unused:UNUSED_PAD src0_sel:WORD_0 src1_sel:DWORD
	v_or_b32_sdwa v1, v1, v8 dst_sel:DWORD dst_unused:UNUSED_PAD src0_sel:WORD_0 src1_sel:DWORD
.LBB1363_49:
	s_or_b32 exec_lo, exec_lo, s1
	v_add_nc_u32_e32 v6, 3, v29
                                        ; implicit-def: $vgpr30
	v_cmp_le_u32_e32 vcc_lo, s7, v6
                                        ; implicit-def: $vgpr6
	s_and_saveexec_b32 s0, vcc_lo
	s_xor_b32 s0, exec_lo, s0
	s_cbranch_execz .LBB1363_51
; %bb.50:
	v_mov_b32_e32 v6, 24
	v_mov_b32_e32 v8, 0xff
	v_mov_b32_e32 v21, 8
	v_and_b32_e32 v22, 0xff0000, v7
	v_perm_b32 v4, v4, v4, 0x3060504
	v_lshrrev_b32_sdwa v6, v6, v5 dst_sel:BYTE_1 dst_unused:UNUSED_PAD src0_sel:DWORD src1_sel:DWORD
	v_and_b32_sdwa v8, v5, v8 dst_sel:DWORD dst_unused:UNUSED_PAD src0_sel:WORD_1 src1_sel:DWORD
	v_lshrrev_b32_sdwa v5, v21, v5 dst_sel:BYTE_1 dst_unused:UNUSED_PAD src0_sel:DWORD src1_sel:DWORD
	v_perm_b32 v30, v7, v22, 0x3020504
	v_perm_b32 v3, v3, v3, 0x3060504
                                        ; implicit-def: $vgpr7
	v_or_b32_sdwa v6, v8, v6 dst_sel:WORD_1 dst_unused:UNUSED_PAD src0_sel:DWORD src1_sel:DWORD
	v_or_b32_sdwa v6, v5, v6 dst_sel:DWORD dst_unused:UNUSED_PAD src0_sel:WORD_0 src1_sel:DWORD
                                        ; implicit-def: $vgpr5
.LBB1363_51:
	s_andn2_saveexec_b32 s1, s0
	s_cbranch_execz .LBB1363_55
; %bb.52:
	v_add_nc_u32_e32 v6, s17, v18
	v_add_nc_u32_e32 v8, s19, v18
	s_mov_b32 s2, 0
	s_mov_b32 s3, exec_lo
	v_mul_lo_u32 v6, v6, s16
	v_mul_lo_u32 v8, v8, s18
	v_sub_nc_u32_e32 v6, v6, v8
	v_cmp_lt_u32_e32 vcc_lo, s20, v6
	v_cmpx_ge_u32_e64 s20, v6
	s_cbranch_execz .LBB1363_54
; %bb.53:
	v_add_nc_u32_e32 v6, s22, v18
	v_add_nc_u32_e32 v8, s40, v18
	v_mul_lo_u32 v6, v6, s21
	v_mul_lo_u32 v8, v8, s23
	v_sub_nc_u32_e32 v6, v6, v8
	v_cmp_lt_u32_e64 s0, s41, v6
	s_and_b32 s2, s0, exec_lo
.LBB1363_54:
	s_or_b32 exec_lo, exec_lo, s3
	v_mov_b32_e32 v6, 8
	v_cndmask_b32_e64 v8, 0, 1, vcc_lo
	v_mov_b32_e32 v21, 0xff
	v_mov_b32_e32 v22, 24
	v_cndmask_b32_e64 v23, 0, 1, s2
	v_lshrrev_b32_sdwa v24, v6, v7 dst_sel:BYTE_1 dst_unused:UNUSED_PAD src0_sel:DWORD src1_sel:DWORD
	v_lshlrev_b16 v8, 8, v8
	v_and_b32_sdwa v25, v7, v21 dst_sel:DWORD dst_unused:UNUSED_PAD src0_sel:WORD_1 src1_sel:DWORD
	v_lshrrev_b32_sdwa v22, v22, v5 dst_sel:BYTE_1 dst_unused:UNUSED_PAD src0_sel:DWORD src1_sel:DWORD
	v_and_b32_sdwa v21, v5, v21 dst_sel:DWORD dst_unused:UNUSED_PAD src0_sel:WORD_1 src1_sel:DWORD
	v_lshrrev_b32_sdwa v5, v6, v5 dst_sel:BYTE_1 dst_unused:UNUSED_PAD src0_sel:DWORD src1_sel:DWORD
	v_or_b32_sdwa v6, v7, v24 dst_sel:DWORD dst_unused:UNUSED_PAD src0_sel:BYTE_0 src1_sel:DWORD
	v_or_b32_sdwa v7, v25, v8 dst_sel:WORD_1 dst_unused:UNUSED_PAD src0_sel:DWORD src1_sel:DWORD
	v_or_b32_sdwa v8, v21, v22 dst_sel:WORD_1 dst_unused:UNUSED_PAD src0_sel:DWORD src1_sel:DWORD
	v_or_b32_e32 v5, v23, v5
	v_or_b32_sdwa v30, v6, v7 dst_sel:DWORD dst_unused:UNUSED_PAD src0_sel:WORD_0 src1_sel:DWORD
	v_or_b32_sdwa v6, v5, v8 dst_sel:DWORD dst_unused:UNUSED_PAD src0_sel:WORD_0 src1_sel:DWORD
.LBB1363_55:
	s_or_b32 exec_lo, exec_lo, s1
	v_add_nc_u32_e32 v5, 4, v29
                                        ; implicit-def: $vgpr7
	v_cmp_le_u32_e32 vcc_lo, s7, v5
                                        ; implicit-def: $vgpr5
	s_and_saveexec_b32 s0, vcc_lo
	s_xor_b32 s0, exec_lo, s0
	s_cbranch_execz .LBB1363_57
; %bb.56:
	v_mov_b32_e32 v5, 24
	v_mov_b32_e32 v7, 0xff
	v_mov_b32_e32 v8, 8
	v_perm_b32 v3, v3, v3, 0x3060504
	v_lshrrev_b32_sdwa v21, v5, v4 dst_sel:BYTE_1 dst_unused:UNUSED_PAD src0_sel:DWORD src1_sel:DWORD
	v_and_b32_sdwa v22, v4, v7 dst_sel:DWORD dst_unused:UNUSED_PAD src0_sel:WORD_1 src1_sel:DWORD
	v_lshrrev_b32_sdwa v5, v5, v6 dst_sel:BYTE_1 dst_unused:UNUSED_PAD src0_sel:DWORD src1_sel:DWORD
	v_and_b32_sdwa v7, v6, v7 dst_sel:DWORD dst_unused:UNUSED_PAD src0_sel:WORD_1 src1_sel:DWORD
	v_lshrrev_b32_sdwa v4, v8, v4 dst_sel:BYTE_1 dst_unused:UNUSED_PAD src0_sel:DWORD src1_sel:DWORD
	v_or_b32_sdwa v8, v22, v21 dst_sel:WORD_1 dst_unused:UNUSED_PAD src0_sel:DWORD src1_sel:DWORD
	v_or_b32_e32 v7, v7, v5
	v_or_b32_sdwa v5, v4, v8 dst_sel:DWORD dst_unused:UNUSED_PAD src0_sel:WORD_0 src1_sel:DWORD
                                        ; implicit-def: $vgpr4
	v_perm_b32 v7, v7, v6, 0x5040c00
                                        ; implicit-def: $vgpr6
.LBB1363_57:
	s_andn2_saveexec_b32 s1, s0
	s_cbranch_execz .LBB1363_61
; %bb.58:
	v_add_nc_u32_e32 v5, s17, v15
	v_add_nc_u32_e32 v7, s19, v15
	s_mov_b32 s2, 0
	s_mov_b32 s3, exec_lo
	v_mul_lo_u32 v5, v5, s16
	v_mul_lo_u32 v7, v7, s18
	v_sub_nc_u32_e32 v5, v5, v7
	v_cmp_lt_u32_e32 vcc_lo, s20, v5
	v_cmpx_ge_u32_e64 s20, v5
	s_cbranch_execz .LBB1363_60
; %bb.59:
	v_add_nc_u32_e32 v5, s22, v15
	v_add_nc_u32_e32 v7, s40, v15
	v_mul_lo_u32 v5, v5, s21
	v_mul_lo_u32 v7, v7, s23
	v_sub_nc_u32_e32 v5, v5, v7
	v_cmp_lt_u32_e64 s0, s41, v5
	s_and_b32 s2, s0, exec_lo
.LBB1363_60:
	s_or_b32 exec_lo, exec_lo, s3
	v_mov_b32_e32 v5, 24
	v_mov_b32_e32 v7, 0xff
	;; [unrolled: 1-line block ×3, first 2 shown]
	v_cndmask_b32_e64 v21, 0, 1, s2
	v_cndmask_b32_e64 v22, 0, 1, vcc_lo
	v_lshrrev_b32_sdwa v23, v5, v4 dst_sel:BYTE_1 dst_unused:UNUSED_PAD src0_sel:DWORD src1_sel:DWORD
	v_and_b32_sdwa v24, v4, v7 dst_sel:DWORD dst_unused:UNUSED_PAD src0_sel:WORD_1 src1_sel:DWORD
	v_lshrrev_b32_sdwa v4, v8, v4 dst_sel:BYTE_1 dst_unused:UNUSED_PAD src0_sel:DWORD src1_sel:DWORD
	v_lshlrev_b16 v8, 8, v21
	v_lshrrev_b32_sdwa v5, v5, v6 dst_sel:BYTE_1 dst_unused:UNUSED_PAD src0_sel:DWORD src1_sel:DWORD
	v_and_b32_sdwa v7, v6, v7 dst_sel:DWORD dst_unused:UNUSED_PAD src0_sel:WORD_1 src1_sel:DWORD
	v_or_b32_sdwa v21, v24, v23 dst_sel:WORD_1 dst_unused:UNUSED_PAD src0_sel:DWORD src1_sel:DWORD
	v_or_b32_e32 v4, v22, v4
	v_or_b32_sdwa v6, v6, v8 dst_sel:DWORD dst_unused:UNUSED_PAD src0_sel:BYTE_0 src1_sel:DWORD
	v_or_b32_sdwa v7, v7, v5 dst_sel:WORD_1 dst_unused:UNUSED_PAD src0_sel:DWORD src1_sel:DWORD
	v_or_b32_sdwa v5, v4, v21 dst_sel:DWORD dst_unused:UNUSED_PAD src0_sel:WORD_0 src1_sel:DWORD
	v_or_b32_sdwa v7, v6, v7 dst_sel:DWORD dst_unused:UNUSED_PAD src0_sel:WORD_0 src1_sel:DWORD
.LBB1363_61:
	s_or_b32 exec_lo, exec_lo, s1
	v_add_nc_u32_e32 v4, 5, v29
                                        ; implicit-def: $vgpr6
	v_cmp_le_u32_e32 vcc_lo, s7, v4
                                        ; implicit-def: $vgpr4
	s_and_saveexec_b32 s0, vcc_lo
	s_xor_b32 s0, exec_lo, s0
	s_cbranch_execz .LBB1363_63
; %bb.62:
	v_lshrrev_b32_e32 v4, 24, v7
	v_mov_b32_e32 v6, 8
	v_mov_b32_e32 v8, 0xff
	v_perm_b32 v3, v3, v3, 0x3060504
	v_perm_b32 v4, v4, v7, 0x40c0100
	v_mov_b32_e32 v7, 24
	v_and_b32_sdwa v8, v5, v8 dst_sel:DWORD dst_unused:UNUSED_PAD src0_sel:WORD_1 src1_sel:DWORD
	v_lshrrev_b32_sdwa v6, v6, v4 dst_sel:BYTE_1 dst_unused:UNUSED_PAD src0_sel:DWORD src1_sel:DWORD
	v_lshrrev_b32_sdwa v7, v7, v5 dst_sel:BYTE_1 dst_unused:UNUSED_PAD src0_sel:DWORD src1_sel:DWORD
	v_or_b32_sdwa v6, v4, v6 dst_sel:DWORD dst_unused:UNUSED_PAD src0_sel:BYTE_0 src1_sel:DWORD
	v_or_b32_e32 v7, v8, v7
	v_and_b32_e32 v8, 0xffff, v6
	v_perm_b32 v6, v7, v5, 0x5040c00
                                        ; implicit-def: $vgpr5
                                        ; implicit-def: $vgpr7
	v_and_or_b32 v4, 0xff000000, v4, v8
.LBB1363_63:
	s_andn2_saveexec_b32 s1, s0
	s_cbranch_execz .LBB1363_67
; %bb.64:
	v_add_nc_u32_e32 v4, s17, v16
	v_add_nc_u32_e32 v6, s19, v16
	s_mov_b32 s2, 0
	s_mov_b32 s3, exec_lo
	v_mul_lo_u32 v4, v4, s16
	v_mul_lo_u32 v6, v6, s18
	v_sub_nc_u32_e32 v4, v4, v6
	v_cmp_lt_u32_e32 vcc_lo, s20, v4
	v_cmpx_ge_u32_e64 s20, v4
	s_cbranch_execz .LBB1363_66
; %bb.65:
	v_add_nc_u32_e32 v4, s22, v16
	v_add_nc_u32_e32 v6, s40, v16
	v_mul_lo_u32 v4, v4, s21
	v_mul_lo_u32 v6, v6, s23
	v_sub_nc_u32_e32 v4, v4, v6
	v_cmp_lt_u32_e64 s0, s41, v4
	s_and_b32 s2, s0, exec_lo
.LBB1363_66:
	s_or_b32 exec_lo, exec_lo, s3
	v_cndmask_b32_e64 v4, 0, 1, vcc_lo
	v_mov_b32_e32 v6, 24
	v_mov_b32_e32 v8, 0xff
	;; [unrolled: 1-line block ×3, first 2 shown]
	v_cndmask_b32_e64 v22, 0, 1, s2
	v_lshlrev_b16 v4, 8, v4
	v_lshrrev_b32_sdwa v23, v6, v5 dst_sel:BYTE_1 dst_unused:UNUSED_PAD src0_sel:DWORD src1_sel:DWORD
	v_and_b32_sdwa v8, v5, v8 dst_sel:DWORD dst_unused:UNUSED_PAD src0_sel:WORD_1 src1_sel:DWORD
	v_lshrrev_b32_sdwa v21, v21, v7 dst_sel:BYTE_1 dst_unused:UNUSED_PAD src0_sel:DWORD src1_sel:DWORD
	v_lshrrev_b32_sdwa v6, v6, v7 dst_sel:BYTE_1 dst_unused:UNUSED_PAD src0_sel:DWORD src1_sel:DWORD
	v_or_b32_sdwa v4, v5, v4 dst_sel:DWORD dst_unused:UNUSED_PAD src0_sel:BYTE_0 src1_sel:DWORD
	v_or_b32_sdwa v5, v8, v23 dst_sel:WORD_1 dst_unused:UNUSED_PAD src0_sel:DWORD src1_sel:DWORD
	v_or_b32_sdwa v7, v7, v21 dst_sel:DWORD dst_unused:UNUSED_PAD src0_sel:BYTE_0 src1_sel:DWORD
	v_or_b32_sdwa v8, v22, v6 dst_sel:WORD_1 dst_unused:UNUSED_PAD src0_sel:DWORD src1_sel:DWORD
	v_or_b32_sdwa v6, v4, v5 dst_sel:DWORD dst_unused:UNUSED_PAD src0_sel:WORD_0 src1_sel:DWORD
	v_or_b32_sdwa v4, v7, v8 dst_sel:DWORD dst_unused:UNUSED_PAD src0_sel:WORD_0 src1_sel:DWORD
.LBB1363_67:
	s_or_b32 exec_lo, exec_lo, s1
	v_add_nc_u32_e32 v5, 6, v29
                                        ; implicit-def: $vgpr31
	v_cmp_le_u32_e32 vcc_lo, s7, v5
                                        ; implicit-def: $vgpr5
	s_and_saveexec_b32 s0, vcc_lo
	s_xor_b32 s0, exec_lo, s0
	s_cbranch_execz .LBB1363_69
; %bb.68:
	v_lshrrev_b32_e32 v5, 24, v6
	v_mov_b32_e32 v7, 8
	v_perm_b32 v3, v3, v3, 0x3060504
	v_perm_b32 v5, v5, v6, 0x40c0100
	v_lshrrev_b32_sdwa v6, v7, v5 dst_sel:BYTE_1 dst_unused:UNUSED_PAD src0_sel:DWORD src1_sel:DWORD
	v_and_b32_e32 v7, 0xff0000, v4
	v_or_b32_sdwa v6, v5, v6 dst_sel:DWORD dst_unused:UNUSED_PAD src0_sel:BYTE_0 src1_sel:DWORD
	v_perm_b32 v31, v4, v7, 0x3020504
                                        ; implicit-def: $vgpr4
	v_and_b32_e32 v6, 0xffff, v6
	v_and_or_b32 v5, 0xff000000, v5, v6
                                        ; implicit-def: $vgpr6
.LBB1363_69:
	s_andn2_saveexec_b32 s1, s0
	s_cbranch_execz .LBB1363_73
; %bb.70:
	v_add_nc_u32_e32 v5, s17, v13
	v_add_nc_u32_e32 v7, s19, v13
	s_mov_b32 s2, 0
	s_mov_b32 s3, exec_lo
	v_mul_lo_u32 v5, v5, s16
	v_mul_lo_u32 v7, v7, s18
	v_sub_nc_u32_e32 v5, v5, v7
	v_cmp_lt_u32_e32 vcc_lo, s20, v5
	v_cmpx_ge_u32_e64 s20, v5
	s_cbranch_execz .LBB1363_72
; %bb.71:
	v_add_nc_u32_e32 v5, s22, v13
	v_add_nc_u32_e32 v7, s40, v13
	v_mul_lo_u32 v5, v5, s21
	v_mul_lo_u32 v7, v7, s23
	v_sub_nc_u32_e32 v5, v5, v7
	v_cmp_lt_u32_e64 s0, s41, v5
	s_and_b32 s2, s0, exec_lo
.LBB1363_72:
	s_or_b32 exec_lo, exec_lo, s3
	v_mov_b32_e32 v5, 8
	v_mov_b32_e32 v7, 24
	v_cndmask_b32_e64 v21, 0, 1, s2
	v_mov_b32_e32 v22, 0xff
	v_cndmask_b32_e64 v8, 0, 1, vcc_lo
	v_lshrrev_b32_sdwa v23, v5, v6 dst_sel:BYTE_1 dst_unused:UNUSED_PAD src0_sel:DWORD src1_sel:DWORD
	v_lshrrev_b32_sdwa v7, v7, v6 dst_sel:BYTE_1 dst_unused:UNUSED_PAD src0_sel:DWORD src1_sel:DWORD
	;; [unrolled: 1-line block ×3, first 2 shown]
	v_lshlrev_b16 v21, 8, v21
	v_and_b32_sdwa v22, v4, v22 dst_sel:DWORD dst_unused:UNUSED_PAD src0_sel:WORD_1 src1_sel:DWORD
	v_or_b32_sdwa v6, v6, v23 dst_sel:DWORD dst_unused:UNUSED_PAD src0_sel:BYTE_0 src1_sel:DWORD
	v_or_b32_sdwa v7, v8, v7 dst_sel:WORD_1 dst_unused:UNUSED_PAD src0_sel:DWORD src1_sel:DWORD
	v_or_b32_sdwa v4, v4, v5 dst_sel:DWORD dst_unused:UNUSED_PAD src0_sel:BYTE_0 src1_sel:DWORD
	v_or_b32_sdwa v8, v22, v21 dst_sel:WORD_1 dst_unused:UNUSED_PAD src0_sel:DWORD src1_sel:DWORD
	v_or_b32_sdwa v5, v6, v7 dst_sel:DWORD dst_unused:UNUSED_PAD src0_sel:WORD_0 src1_sel:DWORD
	v_or_b32_sdwa v31, v4, v8 dst_sel:DWORD dst_unused:UNUSED_PAD src0_sel:WORD_0 src1_sel:DWORD
.LBB1363_73:
	s_or_b32 exec_lo, exec_lo, s1
	v_add_nc_u32_e32 v4, 7, v29
                                        ; implicit-def: $vgpr32
	v_cmp_le_u32_e32 vcc_lo, s7, v4
                                        ; implicit-def: $vgpr4
	s_and_saveexec_b32 s0, vcc_lo
	s_xor_b32 s0, exec_lo, s0
	s_cbranch_execz .LBB1363_75
; %bb.74:
	v_mov_b32_e32 v4, 24
	v_mov_b32_e32 v6, 0xff
	;; [unrolled: 1-line block ×3, first 2 shown]
	v_lshrrev_b32_sdwa v4, v4, v3 dst_sel:BYTE_1 dst_unused:UNUSED_PAD src0_sel:DWORD src1_sel:DWORD
	v_and_b32_sdwa v6, v3, v6 dst_sel:DWORD dst_unused:UNUSED_PAD src0_sel:WORD_1 src1_sel:DWORD
	v_lshrrev_b32_sdwa v3, v7, v3 dst_sel:BYTE_1 dst_unused:UNUSED_PAD src0_sel:DWORD src1_sel:DWORD
	v_and_b32_e32 v7, 0xff0000, v5
	v_or_b32_sdwa v4, v6, v4 dst_sel:WORD_1 dst_unused:UNUSED_PAD src0_sel:DWORD src1_sel:DWORD
	v_perm_b32 v32, v5, v7, 0x3020504
                                        ; implicit-def: $vgpr5
	v_or_b32_sdwa v4, v3, v4 dst_sel:DWORD dst_unused:UNUSED_PAD src0_sel:WORD_0 src1_sel:DWORD
                                        ; implicit-def: $vgpr3
.LBB1363_75:
	s_andn2_saveexec_b32 s1, s0
	s_cbranch_execz .LBB1363_79
; %bb.76:
	v_add_nc_u32_e32 v4, s17, v14
	v_add_nc_u32_e32 v6, s19, v14
	s_mov_b32 s2, 0
	s_mov_b32 s3, exec_lo
	v_mul_lo_u32 v4, v4, s16
	v_mul_lo_u32 v6, v6, s18
	v_sub_nc_u32_e32 v4, v4, v6
	v_cmp_lt_u32_e32 vcc_lo, s20, v4
	v_cmpx_ge_u32_e64 s20, v4
	s_cbranch_execz .LBB1363_78
; %bb.77:
	v_add_nc_u32_e32 v4, s22, v14
	v_add_nc_u32_e32 v6, s40, v14
	v_mul_lo_u32 v4, v4, s21
	v_mul_lo_u32 v6, v6, s23
	v_sub_nc_u32_e32 v4, v4, v6
	v_cmp_lt_u32_e64 s0, s41, v4
	s_and_b32 s2, s0, exec_lo
.LBB1363_78:
	s_or_b32 exec_lo, exec_lo, s3
	v_mov_b32_e32 v4, 8
	v_cndmask_b32_e64 v6, 0, 1, vcc_lo
	v_mov_b32_e32 v7, 0xff
	v_mov_b32_e32 v8, 24
	v_cndmask_b32_e64 v21, 0, 1, s2
	v_lshrrev_b32_sdwa v22, v4, v5 dst_sel:BYTE_1 dst_unused:UNUSED_PAD src0_sel:DWORD src1_sel:DWORD
	v_lshlrev_b16 v6, 8, v6
	v_and_b32_sdwa v23, v5, v7 dst_sel:DWORD dst_unused:UNUSED_PAD src0_sel:WORD_1 src1_sel:DWORD
	v_lshrrev_b32_sdwa v8, v8, v3 dst_sel:BYTE_1 dst_unused:UNUSED_PAD src0_sel:DWORD src1_sel:DWORD
	v_and_b32_sdwa v7, v3, v7 dst_sel:DWORD dst_unused:UNUSED_PAD src0_sel:WORD_1 src1_sel:DWORD
	v_lshrrev_b32_sdwa v3, v4, v3 dst_sel:BYTE_1 dst_unused:UNUSED_PAD src0_sel:DWORD src1_sel:DWORD
	v_or_b32_sdwa v4, v5, v22 dst_sel:DWORD dst_unused:UNUSED_PAD src0_sel:BYTE_0 src1_sel:DWORD
	v_or_b32_sdwa v5, v23, v6 dst_sel:WORD_1 dst_unused:UNUSED_PAD src0_sel:DWORD src1_sel:DWORD
	v_or_b32_sdwa v6, v7, v8 dst_sel:WORD_1 dst_unused:UNUSED_PAD src0_sel:DWORD src1_sel:DWORD
	v_or_b32_e32 v3, v21, v3
	v_or_b32_sdwa v32, v4, v5 dst_sel:DWORD dst_unused:UNUSED_PAD src0_sel:WORD_0 src1_sel:DWORD
	v_or_b32_sdwa v4, v3, v6 dst_sel:DWORD dst_unused:UNUSED_PAD src0_sel:WORD_0 src1_sel:DWORD
.LBB1363_79:
	s_or_b32 exec_lo, exec_lo, s1
	v_add_nc_u32_e32 v3, 8, v29
                                        ; implicit-def: $vgpr5
	v_cmp_le_u32_e32 vcc_lo, s7, v3
                                        ; implicit-def: $vgpr3
	s_and_saveexec_b32 s0, vcc_lo
	s_xor_b32 s0, exec_lo, s0
	s_cbranch_execz .LBB1363_81
; %bb.80:
	v_mov_b32_e32 v3, 24
	v_mov_b32_e32 v5, 0xff
	;; [unrolled: 1-line block ×3, first 2 shown]
	v_perm_b32 v1, v1, v1, 0x3060504
	v_lshrrev_b32_sdwa v7, v3, v4 dst_sel:BYTE_1 dst_unused:UNUSED_PAD src0_sel:DWORD src1_sel:DWORD
	v_lshrrev_b32_sdwa v3, v3, v2 dst_sel:BYTE_1 dst_unused:UNUSED_PAD src0_sel:DWORD src1_sel:DWORD
	v_and_b32_sdwa v8, v2, v5 dst_sel:DWORD dst_unused:UNUSED_PAD src0_sel:WORD_1 src1_sel:DWORD
	v_and_b32_sdwa v5, v4, v5 dst_sel:DWORD dst_unused:UNUSED_PAD src0_sel:WORD_1 src1_sel:DWORD
	v_lshrrev_b32_sdwa v2, v6, v2 dst_sel:BYTE_1 dst_unused:UNUSED_PAD src0_sel:DWORD src1_sel:DWORD
	v_or_b32_sdwa v3, v8, v3 dst_sel:WORD_1 dst_unused:UNUSED_PAD src0_sel:DWORD src1_sel:DWORD
	v_or_b32_e32 v5, v5, v7
	v_or_b32_sdwa v3, v2, v3 dst_sel:DWORD dst_unused:UNUSED_PAD src0_sel:WORD_0 src1_sel:DWORD
	v_perm_b32 v5, v5, v4, 0x5040c00
                                        ; implicit-def: $vgpr2
                                        ; implicit-def: $vgpr4
.LBB1363_81:
	s_andn2_saveexec_b32 s1, s0
	s_cbranch_execz .LBB1363_85
; %bb.82:
	v_add_nc_u32_e32 v3, s17, v11
	v_add_nc_u32_e32 v5, s19, v11
	s_mov_b32 s2, 0
	s_mov_b32 s3, exec_lo
	v_mul_lo_u32 v3, v3, s16
	v_mul_lo_u32 v5, v5, s18
	v_sub_nc_u32_e32 v3, v3, v5
	v_cmp_lt_u32_e32 vcc_lo, s20, v3
	v_cmpx_ge_u32_e64 s20, v3
	s_cbranch_execz .LBB1363_84
; %bb.83:
	v_add_nc_u32_e32 v3, s22, v11
	v_add_nc_u32_e32 v5, s40, v11
	v_mul_lo_u32 v3, v3, s21
	v_mul_lo_u32 v5, v5, s23
	v_sub_nc_u32_e32 v3, v3, v5
	v_cmp_lt_u32_e64 s0, s41, v3
	s_and_b32 s2, s0, exec_lo
.LBB1363_84:
	s_or_b32 exec_lo, exec_lo, s3
	v_mov_b32_e32 v3, 24
	v_mov_b32_e32 v5, 0xff
	;; [unrolled: 1-line block ×3, first 2 shown]
	v_cndmask_b32_e64 v7, 0, 1, s2
	v_cndmask_b32_e64 v8, 0, 1, vcc_lo
	v_lshrrev_b32_sdwa v21, v3, v2 dst_sel:BYTE_1 dst_unused:UNUSED_PAD src0_sel:DWORD src1_sel:DWORD
	v_and_b32_sdwa v22, v2, v5 dst_sel:DWORD dst_unused:UNUSED_PAD src0_sel:WORD_1 src1_sel:DWORD
	v_lshrrev_b32_sdwa v2, v6, v2 dst_sel:BYTE_1 dst_unused:UNUSED_PAD src0_sel:DWORD src1_sel:DWORD
	v_lshlrev_b16 v6, 8, v7
	v_lshrrev_b32_sdwa v3, v3, v4 dst_sel:BYTE_1 dst_unused:UNUSED_PAD src0_sel:DWORD src1_sel:DWORD
	v_and_b32_sdwa v5, v4, v5 dst_sel:DWORD dst_unused:UNUSED_PAD src0_sel:WORD_1 src1_sel:DWORD
	v_or_b32_sdwa v7, v22, v21 dst_sel:WORD_1 dst_unused:UNUSED_PAD src0_sel:DWORD src1_sel:DWORD
	v_or_b32_e32 v2, v8, v2
	v_or_b32_sdwa v4, v4, v6 dst_sel:DWORD dst_unused:UNUSED_PAD src0_sel:BYTE_0 src1_sel:DWORD
	v_or_b32_sdwa v5, v5, v3 dst_sel:WORD_1 dst_unused:UNUSED_PAD src0_sel:DWORD src1_sel:DWORD
	v_or_b32_sdwa v3, v2, v7 dst_sel:DWORD dst_unused:UNUSED_PAD src0_sel:WORD_0 src1_sel:DWORD
	v_or_b32_sdwa v5, v4, v5 dst_sel:DWORD dst_unused:UNUSED_PAD src0_sel:WORD_0 src1_sel:DWORD
.LBB1363_85:
	s_or_b32 exec_lo, exec_lo, s1
	v_add_nc_u32_e32 v2, 9, v29
                                        ; implicit-def: $vgpr4
	v_cmp_le_u32_e32 vcc_lo, s7, v2
                                        ; implicit-def: $vgpr2
	s_and_saveexec_b32 s0, vcc_lo
	s_xor_b32 s0, exec_lo, s0
	s_cbranch_execz .LBB1363_87
; %bb.86:
	v_lshrrev_b32_e32 v2, 24, v5
	v_mov_b32_e32 v4, 8
	v_mov_b32_e32 v6, 0xff
	v_perm_b32 v1, v1, v1, 0x3060504
	v_perm_b32 v2, v2, v5, 0x40c0100
	v_mov_b32_e32 v5, 24
	v_and_b32_sdwa v6, v3, v6 dst_sel:DWORD dst_unused:UNUSED_PAD src0_sel:WORD_1 src1_sel:DWORD
	v_lshrrev_b32_sdwa v4, v4, v2 dst_sel:BYTE_1 dst_unused:UNUSED_PAD src0_sel:DWORD src1_sel:DWORD
	v_lshrrev_b32_sdwa v5, v5, v3 dst_sel:BYTE_1 dst_unused:UNUSED_PAD src0_sel:DWORD src1_sel:DWORD
	v_or_b32_sdwa v4, v2, v4 dst_sel:DWORD dst_unused:UNUSED_PAD src0_sel:BYTE_0 src1_sel:DWORD
	v_or_b32_e32 v5, v6, v5
	v_and_b32_e32 v6, 0xffff, v4
	v_perm_b32 v4, v5, v3, 0x5040c00
                                        ; implicit-def: $vgpr3
                                        ; implicit-def: $vgpr5
	v_and_or_b32 v2, 0xff000000, v2, v6
.LBB1363_87:
	s_andn2_saveexec_b32 s1, s0
	s_cbranch_execz .LBB1363_91
; %bb.88:
	v_add_nc_u32_e32 v2, s17, v12
	v_add_nc_u32_e32 v4, s19, v12
	s_mov_b32 s2, 0
	s_mov_b32 s3, exec_lo
	v_mul_lo_u32 v2, v2, s16
	v_mul_lo_u32 v4, v4, s18
	v_sub_nc_u32_e32 v2, v2, v4
	v_cmp_lt_u32_e32 vcc_lo, s20, v2
	v_cmpx_ge_u32_e64 s20, v2
	s_cbranch_execz .LBB1363_90
; %bb.89:
	v_add_nc_u32_e32 v2, s22, v12
	v_add_nc_u32_e32 v4, s40, v12
	v_mul_lo_u32 v2, v2, s21
	v_mul_lo_u32 v4, v4, s23
	v_sub_nc_u32_e32 v2, v2, v4
	v_cmp_lt_u32_e64 s0, s41, v2
	s_and_b32 s2, s0, exec_lo
.LBB1363_90:
	s_or_b32 exec_lo, exec_lo, s3
	v_cndmask_b32_e64 v2, 0, 1, vcc_lo
	v_mov_b32_e32 v4, 24
	v_mov_b32_e32 v6, 0xff
	;; [unrolled: 1-line block ×3, first 2 shown]
	v_cndmask_b32_e64 v8, 0, 1, s2
	v_lshlrev_b16 v2, 8, v2
	v_lshrrev_b32_sdwa v21, v4, v3 dst_sel:BYTE_1 dst_unused:UNUSED_PAD src0_sel:DWORD src1_sel:DWORD
	v_and_b32_sdwa v6, v3, v6 dst_sel:DWORD dst_unused:UNUSED_PAD src0_sel:WORD_1 src1_sel:DWORD
	v_lshrrev_b32_sdwa v7, v7, v5 dst_sel:BYTE_1 dst_unused:UNUSED_PAD src0_sel:DWORD src1_sel:DWORD
	v_lshrrev_b32_sdwa v4, v4, v5 dst_sel:BYTE_1 dst_unused:UNUSED_PAD src0_sel:DWORD src1_sel:DWORD
	v_or_b32_sdwa v2, v3, v2 dst_sel:DWORD dst_unused:UNUSED_PAD src0_sel:BYTE_0 src1_sel:DWORD
	v_or_b32_sdwa v3, v6, v21 dst_sel:WORD_1 dst_unused:UNUSED_PAD src0_sel:DWORD src1_sel:DWORD
	v_or_b32_sdwa v5, v5, v7 dst_sel:DWORD dst_unused:UNUSED_PAD src0_sel:BYTE_0 src1_sel:DWORD
	v_or_b32_sdwa v6, v8, v4 dst_sel:WORD_1 dst_unused:UNUSED_PAD src0_sel:DWORD src1_sel:DWORD
	v_or_b32_sdwa v4, v2, v3 dst_sel:DWORD dst_unused:UNUSED_PAD src0_sel:WORD_0 src1_sel:DWORD
	v_or_b32_sdwa v2, v5, v6 dst_sel:DWORD dst_unused:UNUSED_PAD src0_sel:WORD_0 src1_sel:DWORD
.LBB1363_91:
	s_or_b32 exec_lo, exec_lo, s1
	v_add_nc_u32_e32 v3, 10, v29
                                        ; implicit-def: $vgpr33
	v_cmp_le_u32_e32 vcc_lo, s7, v3
                                        ; implicit-def: $vgpr3
	s_and_saveexec_b32 s0, vcc_lo
	s_xor_b32 s0, exec_lo, s0
	s_cbranch_execz .LBB1363_93
; %bb.92:
	v_lshrrev_b32_e32 v3, 24, v4
	v_mov_b32_e32 v5, 8
	v_perm_b32 v1, v1, v1, 0x3060504
	v_perm_b32 v3, v3, v4, 0x40c0100
	v_lshrrev_b32_sdwa v4, v5, v3 dst_sel:BYTE_1 dst_unused:UNUSED_PAD src0_sel:DWORD src1_sel:DWORD
	v_and_b32_e32 v5, 0xff0000, v2
	v_or_b32_sdwa v4, v3, v4 dst_sel:DWORD dst_unused:UNUSED_PAD src0_sel:BYTE_0 src1_sel:DWORD
	v_perm_b32 v33, v2, v5, 0x3020504
                                        ; implicit-def: $vgpr2
	v_and_b32_e32 v4, 0xffff, v4
	v_and_or_b32 v3, 0xff000000, v3, v4
                                        ; implicit-def: $vgpr4
.LBB1363_93:
	s_andn2_saveexec_b32 s1, s0
	s_cbranch_execz .LBB1363_97
; %bb.94:
	v_add_nc_u32_e32 v3, s17, v9
	v_add_nc_u32_e32 v5, s19, v9
	s_mov_b32 s2, 0
	s_mov_b32 s3, exec_lo
	v_mul_lo_u32 v3, v3, s16
	v_mul_lo_u32 v5, v5, s18
	v_sub_nc_u32_e32 v3, v3, v5
	v_cmp_lt_u32_e32 vcc_lo, s20, v3
	v_cmpx_ge_u32_e64 s20, v3
	s_cbranch_execz .LBB1363_96
; %bb.95:
	v_add_nc_u32_e32 v3, s22, v9
	v_add_nc_u32_e32 v5, s40, v9
	v_mul_lo_u32 v3, v3, s21
	v_mul_lo_u32 v5, v5, s23
	v_sub_nc_u32_e32 v3, v3, v5
	v_cmp_lt_u32_e64 s0, s41, v3
	s_and_b32 s2, s0, exec_lo
.LBB1363_96:
	s_or_b32 exec_lo, exec_lo, s3
	v_mov_b32_e32 v3, 8
	v_mov_b32_e32 v5, 24
	v_cndmask_b32_e64 v7, 0, 1, s2
	v_mov_b32_e32 v8, 0xff
	v_cndmask_b32_e64 v6, 0, 1, vcc_lo
	v_lshrrev_b32_sdwa v21, v3, v4 dst_sel:BYTE_1 dst_unused:UNUSED_PAD src0_sel:DWORD src1_sel:DWORD
	v_lshrrev_b32_sdwa v5, v5, v4 dst_sel:BYTE_1 dst_unused:UNUSED_PAD src0_sel:DWORD src1_sel:DWORD
	v_lshrrev_b32_sdwa v3, v3, v2 dst_sel:BYTE_1 dst_unused:UNUSED_PAD src0_sel:DWORD src1_sel:DWORD
	v_lshlrev_b16 v7, 8, v7
	v_and_b32_sdwa v8, v2, v8 dst_sel:DWORD dst_unused:UNUSED_PAD src0_sel:WORD_1 src1_sel:DWORD
	v_or_b32_sdwa v4, v4, v21 dst_sel:DWORD dst_unused:UNUSED_PAD src0_sel:BYTE_0 src1_sel:DWORD
	v_or_b32_sdwa v5, v6, v5 dst_sel:WORD_1 dst_unused:UNUSED_PAD src0_sel:DWORD src1_sel:DWORD
	v_or_b32_sdwa v2, v2, v3 dst_sel:DWORD dst_unused:UNUSED_PAD src0_sel:BYTE_0 src1_sel:DWORD
	v_or_b32_sdwa v6, v8, v7 dst_sel:WORD_1 dst_unused:UNUSED_PAD src0_sel:DWORD src1_sel:DWORD
	v_or_b32_sdwa v3, v4, v5 dst_sel:DWORD dst_unused:UNUSED_PAD src0_sel:WORD_0 src1_sel:DWORD
	v_or_b32_sdwa v33, v2, v6 dst_sel:DWORD dst_unused:UNUSED_PAD src0_sel:WORD_0 src1_sel:DWORD
.LBB1363_97:
	s_or_b32 exec_lo, exec_lo, s1
	v_add_nc_u32_e32 v2, 11, v29
	v_mov_b32_e32 v34, 0
	s_mov_b32 s0, exec_lo
                                        ; implicit-def: $vgpr35
	v_cmpx_le_u32_e64 s7, v2
	s_xor_b32 s0, exec_lo, s0
; %bb.98:
	v_and_b32_e32 v2, 0xff0000, v3
	v_perm_b32 v1, v1, v1, 0x3060504
	v_perm_b32 v35, v3, v2, 0x3020504
                                        ; implicit-def: $vgpr3
; %bb.99:
	s_andn2_saveexec_b32 s1, s0
	s_cbranch_execz .LBB1363_103
; %bb.100:
	v_add_nc_u32_e32 v2, s17, v10
	v_add_nc_u32_e32 v4, s19, v10
	s_mov_b32 s2, 0
	s_mov_b32 s3, exec_lo
	v_mul_lo_u32 v2, v2, s16
	v_mul_lo_u32 v4, v4, s18
	v_sub_nc_u32_e32 v2, v2, v4
	v_cmp_lt_u32_e32 vcc_lo, s20, v2
	v_cmpx_ge_u32_e64 s20, v2
	s_cbranch_execz .LBB1363_102
; %bb.101:
	v_add_nc_u32_e32 v2, s22, v10
	v_add_nc_u32_e32 v4, s40, v10
	v_mul_lo_u32 v2, v2, s21
	v_mul_lo_u32 v4, v4, s23
	v_sub_nc_u32_e32 v2, v2, v4
	v_cmp_lt_u32_e64 s0, s41, v2
	s_and_b32 s2, s0, exec_lo
.LBB1363_102:
	s_or_b32 exec_lo, exec_lo, s3
	v_mov_b32_e32 v2, 8
	v_cndmask_b32_e64 v4, 0, 1, vcc_lo
	v_mov_b32_e32 v5, 0xff
	v_cndmask_b32_e64 v34, 0, 1, s2
	v_lshrrev_b32_sdwa v2, v2, v3 dst_sel:BYTE_1 dst_unused:UNUSED_PAD src0_sel:DWORD src1_sel:DWORD
	v_lshlrev_b16 v4, 8, v4
	v_and_b32_sdwa v5, v3, v5 dst_sel:DWORD dst_unused:UNUSED_PAD src0_sel:WORD_1 src1_sel:DWORD
	v_or_b32_sdwa v2, v3, v2 dst_sel:DWORD dst_unused:UNUSED_PAD src0_sel:BYTE_0 src1_sel:DWORD
	v_or_b32_sdwa v3, v5, v4 dst_sel:WORD_1 dst_unused:UNUSED_PAD src0_sel:DWORD src1_sel:DWORD
	v_or_b32_sdwa v35, v2, v3 dst_sel:DWORD dst_unused:UNUSED_PAD src0_sel:WORD_0 src1_sel:DWORD
.LBB1363_103:
	s_or_b32 exec_lo, exec_lo, s1
	v_add_nc_u32_e32 v2, 12, v29
	s_mov_b32 s0, exec_lo
                                        ; implicit-def: $vgpr36
	v_cmpx_le_u32_e64 s7, v2
	s_xor_b32 s0, exec_lo, s0
	s_cbranch_execz .LBB1363_105
; %bb.104:
	v_mov_b32_e32 v2, 24
	v_mov_b32_e32 v3, 0xff
	;; [unrolled: 1-line block ×3, first 2 shown]
	v_lshrrev_b32_sdwa v2, v2, v1 dst_sel:BYTE_1 dst_unused:UNUSED_PAD src0_sel:DWORD src1_sel:DWORD
	v_and_b32_sdwa v3, v1, v3 dst_sel:DWORD dst_unused:UNUSED_PAD src0_sel:WORD_1 src1_sel:DWORD
	v_lshrrev_b32_sdwa v1, v4, v1 dst_sel:BYTE_1 dst_unused:UNUSED_PAD src0_sel:DWORD src1_sel:DWORD
	v_or_b32_sdwa v2, v3, v2 dst_sel:WORD_1 dst_unused:UNUSED_PAD src0_sel:DWORD src1_sel:DWORD
	v_or_b32_sdwa v36, v1, v2 dst_sel:DWORD dst_unused:UNUSED_PAD src0_sel:WORD_0 src1_sel:DWORD
                                        ; implicit-def: $vgpr1
.LBB1363_105:
	s_or_saveexec_b32 s1, s0
	v_mov_b32_e32 v37, 0
	s_xor_b32 exec_lo, exec_lo, s1
	s_cbranch_execz .LBB1363_109
; %bb.106:
	v_add_nc_u32_e32 v2, s17, v28
	v_add_nc_u32_e32 v3, s19, v28
	s_mov_b32 s2, 0
	s_mov_b32 s3, exec_lo
	v_mul_lo_u32 v2, v2, s16
	v_mul_lo_u32 v3, v3, s18
	v_sub_nc_u32_e32 v2, v2, v3
	v_cmp_lt_u32_e32 vcc_lo, s20, v2
	v_cmpx_ge_u32_e64 s20, v2
	s_cbranch_execz .LBB1363_108
; %bb.107:
	v_add_nc_u32_e32 v2, s22, v28
	v_add_nc_u32_e32 v3, s40, v28
	v_mul_lo_u32 v2, v2, s21
	v_mul_lo_u32 v3, v3, s23
	v_sub_nc_u32_e32 v2, v2, v3
	v_cmp_lt_u32_e64 s0, s41, v2
	s_and_b32 s2, s0, exec_lo
.LBB1363_108:
	s_or_b32 exec_lo, exec_lo, s3
	v_mov_b32_e32 v2, 24
	v_mov_b32_e32 v3, 0xff
	;; [unrolled: 1-line block ×3, first 2 shown]
	v_cndmask_b32_e64 v5, 0, 1, vcc_lo
	v_cndmask_b32_e64 v37, 0, 1, s2
	v_lshrrev_b32_sdwa v2, v2, v1 dst_sel:BYTE_1 dst_unused:UNUSED_PAD src0_sel:DWORD src1_sel:DWORD
	v_and_b32_sdwa v3, v1, v3 dst_sel:DWORD dst_unused:UNUSED_PAD src0_sel:WORD_1 src1_sel:DWORD
	v_lshrrev_b32_sdwa v1, v4, v1 dst_sel:BYTE_1 dst_unused:UNUSED_PAD src0_sel:DWORD src1_sel:DWORD
	v_or_b32_sdwa v2, v3, v2 dst_sel:WORD_1 dst_unused:UNUSED_PAD src0_sel:DWORD src1_sel:DWORD
	v_or_b32_e32 v1, v5, v1
	v_or_b32_sdwa v36, v1, v2 dst_sel:DWORD dst_unused:UNUSED_PAD src0_sel:WORD_0 src1_sel:DWORD
.LBB1363_109:
	s_or_b32 exec_lo, exec_lo, s1
.LBB1363_110:
	v_and_b32_e32 v60, 0xff, v30
	v_bfe_u32 v61, v36, 8, 8
	v_bfe_u32 v57, v30, 8, 8
	;; [unrolled: 1-line block ×4, first 2 shown]
	v_lshrrev_b32_e32 v43, 24, v36
	v_lshrrev_b32_e32 v42, 24, v30
	v_and_b32_e32 v56, 0xff, v31
	v_and_b32_e32 v54, 0xff, v32
	v_bfe_u32 v55, v31, 8, 8
	v_add3_u32 v1, v57, v60, v59
	v_add3_u32 v2, v58, v61, v43
	v_bfe_u32 v52, v32, 8, 8
	v_bfe_u32 v53, v31, 16, 8
	;; [unrolled: 1-line block ×3, first 2 shown]
	v_lshrrev_b32_e32 v41, 24, v31
	v_add3_u32 v1, v1, v42, v54
	v_add3_u32 v2, v2, v56, v55
	v_lshrrev_b32_e32 v40, 24, v32
	v_and_b32_e32 v51, 0xff, v33
	v_and_b32_e32 v49, 0xff, v35
	v_bfe_u32 v50, v33, 8, 8
	v_add3_u32 v1, v1, v52, v46
	v_add3_u32 v2, v2, v53, v41
	v_bfe_u32 v47, v35, 8, 8
	v_bfe_u32 v48, v33, 16, 8
	;; [unrolled: 1-line block ×3, first 2 shown]
	v_lshrrev_b32_e32 v39, 24, v33
	v_add3_u32 v1, v1, v40, v49
	v_add3_u32 v2, v2, v51, v50
	v_mbcnt_lo_u32_b32 v62, -1, 0
	v_lshrrev_b32_e32 v38, 24, v35
	v_and_b32_e32 v44, 0xff, v34
	v_and_b32_e32 v3, 0xff, v36
	;; [unrolled: 1-line block ×3, first 2 shown]
	v_add3_u32 v1, v1, v47, v45
	v_add3_u32 v2, v2, v48, v39
	v_and_b32_e32 v64, 15, v62
	v_and_b32_e32 v66, 16, v62
	v_lshrrev_b32_e32 v63, 5, v0
	v_add3_u32 v67, v1, v38, v3
	v_add3_u32 v68, v2, v44, v4
	v_cmp_eq_u32_e64 s1, 0, v64
	v_cmp_lt_u32_e64 s0, 1, v64
	v_cmp_lt_u32_e64 s2, 3, v64
	v_or_b32_e32 v65, 31, v0
	s_cmp_lg_u32 s6, 0
	s_mov_b32 s3, -1
	v_cmp_lt_u32_e32 vcc_lo, 7, v64
	s_cbranch_scc0 .LBB1363_132
; %bb.111:
	v_mov_b32_dpp v1, v68 row_shr:1 row_mask:0xf bank_mask:0xf
	v_mov_b32_dpp v2, v67 row_shr:1 row_mask:0xf bank_mask:0xf
	s_mov_b32 s3, exec_lo
	v_add_nc_u32_e32 v1, v1, v68
	v_add_nc_u32_e32 v2, v2, v67
	v_cndmask_b32_e64 v1, v1, v68, s1
	v_cndmask_b32_e64 v2, v2, v67, s1
	v_mov_b32_dpp v3, v1 row_shr:2 row_mask:0xf bank_mask:0xf
	v_mov_b32_dpp v4, v2 row_shr:2 row_mask:0xf bank_mask:0xf
	v_add_nc_u32_e32 v3, v1, v3
	v_add_nc_u32_e32 v4, v2, v4
	v_cndmask_b32_e64 v1, v1, v3, s0
	v_cndmask_b32_e64 v2, v2, v4, s0
	v_mov_b32_dpp v3, v1 row_shr:4 row_mask:0xf bank_mask:0xf
	v_mov_b32_dpp v4, v2 row_shr:4 row_mask:0xf bank_mask:0xf
	;; [unrolled: 6-line block ×3, first 2 shown]
	v_add_nc_u32_e32 v3, v1, v3
	v_add_nc_u32_e32 v4, v2, v4
	v_cndmask_b32_e32 v1, v1, v3, vcc_lo
	v_cndmask_b32_e32 v2, v2, v4, vcc_lo
	v_cmp_eq_u32_e32 vcc_lo, 0, v66
	ds_swizzle_b32 v3, v1 offset:swizzle(BROADCAST,32,15)
	ds_swizzle_b32 v4, v2 offset:swizzle(BROADCAST,32,15)
	s_waitcnt lgkmcnt(0)
	v_add_nc_u32_e32 v3, v1, v3
	v_add_nc_u32_e32 v4, v2, v4
	v_cmpx_eq_u32_e64 v0, v65
	s_cbranch_execz .LBB1363_113
; %bb.112:
	v_lshlrev_b32_e32 v7, 3, v63
	v_cndmask_b32_e32 v6, v3, v1, vcc_lo
	v_cndmask_b32_e32 v5, v4, v2, vcc_lo
	ds_write_b64 v7, v[5:6]
.LBB1363_113:
	s_or_b32 exec_lo, exec_lo, s3
	s_mov_b32 s3, exec_lo
	s_waitcnt lgkmcnt(0)
	s_barrier
	buffer_gl0_inv
	v_cmpx_gt_u32_e32 8, v0
	s_cbranch_execz .LBB1363_115
; %bb.114:
	v_lshlrev_b32_e32 v7, 3, v0
	v_and_b32_e32 v22, 7, v62
	ds_read_b64 v[5:6], v7
	v_cmp_eq_u32_e64 s2, 0, v22
	s_waitcnt lgkmcnt(0)
	v_mov_b32_dpp v8, v5 row_shr:1 row_mask:0xf bank_mask:0xf
	v_mov_b32_dpp v21, v6 row_shr:1 row_mask:0xf bank_mask:0xf
	v_add_nc_u32_e32 v8, v8, v5
	v_add_nc_u32_e32 v21, v21, v6
	v_cndmask_b32_e64 v5, v8, v5, s2
	v_cndmask_b32_e64 v6, v21, v6, s2
	v_cmp_lt_u32_e64 s2, 1, v22
	v_mov_b32_dpp v8, v5 row_shr:2 row_mask:0xf bank_mask:0xf
	v_mov_b32_dpp v21, v6 row_shr:2 row_mask:0xf bank_mask:0xf
	v_add_nc_u32_e32 v8, v5, v8
	v_add_nc_u32_e32 v21, v6, v21
	v_cndmask_b32_e64 v5, v5, v8, s2
	v_cndmask_b32_e64 v6, v6, v21, s2
	v_cmp_lt_u32_e64 s2, 3, v22
	v_mov_b32_dpp v8, v5 row_shr:4 row_mask:0xf bank_mask:0xf
	v_mov_b32_dpp v21, v6 row_shr:4 row_mask:0xf bank_mask:0xf
	v_cndmask_b32_e64 v8, 0, v8, s2
	v_cndmask_b32_e64 v21, 0, v21, s2
	v_add_nc_u32_e32 v5, v8, v5
	v_add_nc_u32_e32 v6, v21, v6
	ds_write_b64 v7, v[5:6]
.LBB1363_115:
	s_or_b32 exec_lo, exec_lo, s3
	v_cndmask_b32_e32 v1, v3, v1, vcc_lo
	v_cndmask_b32_e32 v2, v4, v2, vcc_lo
	s_mov_b32 s3, exec_lo
	v_cmp_gt_u32_e32 vcc_lo, 32, v0
	s_waitcnt lgkmcnt(0)
	s_barrier
	buffer_gl0_inv
                                        ; implicit-def: $vgpr21
	v_cmpx_lt_u32_e32 31, v0
	s_cbranch_execz .LBB1363_117
; %bb.116:
	v_lshl_add_u32 v3, v63, 3, -8
	ds_read_b64 v[21:22], v3
	s_waitcnt lgkmcnt(0)
	v_add_nc_u32_e32 v1, v22, v1
	v_add_nc_u32_e32 v2, v21, v2
.LBB1363_117:
	s_or_b32 exec_lo, exec_lo, s3
	v_sub_co_u32 v3, s2, v62, 1
	v_cmp_gt_i32_e64 s3, 0, v3
	v_cndmask_b32_e64 v3, v3, v62, s3
	v_lshlrev_b32_e32 v3, 2, v3
	ds_bpermute_b32 v69, v3, v2
	ds_bpermute_b32 v70, v3, v1
	s_and_saveexec_b32 s3, vcc_lo
	s_cbranch_execz .LBB1363_137
; %bb.118:
	v_mov_b32_e32 v4, 0
	ds_read_b64 v[1:2], v4 offset:56
	s_and_saveexec_b32 s8, s2
	s_cbranch_execz .LBB1363_120
; %bb.119:
	s_add_i32 s10, s6, 32
	s_mov_b32 s11, 0
	v_mov_b32_e32 v3, 1
	s_lshl_b64 s[10:11], s[10:11], 4
	s_add_u32 s10, s4, s10
	s_addc_u32 s11, s5, s11
	v_mov_b32_e32 v5, s10
	v_mov_b32_e32 v6, s11
	s_waitcnt lgkmcnt(0)
	;;#ASMSTART
	global_store_dwordx4 v[5:6], v[1:4] off	
s_waitcnt vmcnt(0)
	;;#ASMEND
.LBB1363_120:
	s_or_b32 exec_lo, exec_lo, s8
	v_xad_u32 v23, v62, -1, s6
	s_mov_b32 s9, 0
	v_add_nc_u32_e32 v3, 32, v23
	v_lshlrev_b64 v[5:6], 4, v[3:4]
	v_add_co_u32 v24, vcc_lo, s4, v5
	v_add_co_ci_u32_e64 v25, null, s5, v6, vcc_lo
	;;#ASMSTART
	global_load_dwordx4 v[5:8], v[24:25] off glc dlc	
s_waitcnt vmcnt(0)
	;;#ASMEND
	v_cmp_eq_u16_sdwa s10, v7, v4 src0_sel:BYTE_0 src1_sel:DWORD
	s_and_saveexec_b32 s8, s10
	s_cbranch_execz .LBB1363_124
; %bb.121:
	v_mov_b32_e32 v3, 0
.LBB1363_122:                           ; =>This Inner Loop Header: Depth=1
	;;#ASMSTART
	global_load_dwordx4 v[5:8], v[24:25] off glc dlc	
s_waitcnt vmcnt(0)
	;;#ASMEND
	v_cmp_ne_u16_sdwa s10, v7, v3 src0_sel:BYTE_0 src1_sel:DWORD
	s_or_b32 s9, s10, s9
	s_andn2_b32 exec_lo, exec_lo, s9
	s_cbranch_execnz .LBB1363_122
; %bb.123:
	s_or_b32 exec_lo, exec_lo, s9
.LBB1363_124:
	s_or_b32 exec_lo, exec_lo, s8
	v_cmp_ne_u32_e32 vcc_lo, 31, v62
	v_mov_b32_e32 v72, 2
	v_lshlrev_b32_e64 v73, v62, -1
	v_add_nc_u32_e32 v75, 2, v62
	v_add_nc_u32_e32 v77, 4, v62
	v_add_co_ci_u32_e64 v3, null, 0, v62, vcc_lo
	v_cmp_eq_u16_sdwa s8, v7, v72 src0_sel:BYTE_0 src1_sel:DWORD
	v_cmp_gt_u32_e32 vcc_lo, 30, v62
	v_add_nc_u32_e32 v79, 8, v62
	v_lshlrev_b32_e32 v71, 2, v3
	v_lshl_or_b32 v80, v62, 2, 64
	v_and_b32_e32 v8, s8, v73
	v_cndmask_b32_e64 v24, 0, 2, vcc_lo
	v_add_nc_u32_e32 v81, 16, v62
	ds_bpermute_b32 v3, v71, v6
	ds_bpermute_b32 v4, v71, v5
	v_or_b32_e32 v8, 0x80000000, v8
	v_add_lshl_u32 v74, v24, v62, 2
	v_ffbl_b32_e32 v8, v8
	v_cmp_lt_u32_e32 vcc_lo, v62, v8
	s_waitcnt lgkmcnt(1)
	v_add_nc_u32_e32 v3, v3, v6
	s_waitcnt lgkmcnt(0)
	v_add_nc_u32_e32 v4, v4, v5
	v_cndmask_b32_e32 v3, v6, v3, vcc_lo
	v_cndmask_b32_e32 v4, v5, v4, vcc_lo
	v_cmp_gt_u32_e32 vcc_lo, 28, v62
	ds_bpermute_b32 v5, v74, v3
	ds_bpermute_b32 v6, v74, v4
	v_cndmask_b32_e64 v24, 0, 4, vcc_lo
	v_cmp_gt_u32_e32 vcc_lo, v75, v8
	v_add_lshl_u32 v76, v24, v62, 2
	s_waitcnt lgkmcnt(1)
	v_add_nc_u32_e32 v5, v3, v5
	s_waitcnt lgkmcnt(0)
	v_add_nc_u32_e32 v6, v4, v6
	v_cndmask_b32_e32 v3, v5, v3, vcc_lo
	v_cndmask_b32_e32 v4, v6, v4, vcc_lo
	v_cmp_gt_u32_e32 vcc_lo, 24, v62
	ds_bpermute_b32 v5, v76, v3
	ds_bpermute_b32 v6, v76, v4
	v_cndmask_b32_e64 v24, 0, 8, vcc_lo
	v_cmp_gt_u32_e32 vcc_lo, v77, v8
	v_add_lshl_u32 v78, v24, v62, 2
	v_mov_b32_e32 v24, 0
	s_waitcnt lgkmcnt(1)
	v_add_nc_u32_e32 v5, v3, v5
	s_waitcnt lgkmcnt(0)
	v_add_nc_u32_e32 v6, v4, v6
	v_cndmask_b32_e32 v3, v5, v3, vcc_lo
	v_cndmask_b32_e32 v4, v6, v4, vcc_lo
	v_cmp_gt_u32_e32 vcc_lo, v79, v8
	ds_bpermute_b32 v5, v78, v3
	ds_bpermute_b32 v6, v78, v4
	s_waitcnt lgkmcnt(1)
	v_add_nc_u32_e32 v5, v3, v5
	s_waitcnt lgkmcnt(0)
	v_add_nc_u32_e32 v6, v4, v6
	v_cndmask_b32_e32 v3, v5, v3, vcc_lo
	v_cndmask_b32_e32 v4, v6, v4, vcc_lo
	v_cmp_le_u32_e32 vcc_lo, v81, v8
	ds_bpermute_b32 v6, v80, v3
	ds_bpermute_b32 v5, v80, v4
	s_waitcnt lgkmcnt(1)
	v_cndmask_b32_e32 v6, 0, v6, vcc_lo
	s_waitcnt lgkmcnt(0)
	v_cndmask_b32_e32 v5, 0, v5, vcc_lo
	v_add_nc_u32_e32 v6, v6, v3
	v_add_nc_u32_e32 v5, v5, v4
	s_branch .LBB1363_128
.LBB1363_125:                           ;   in Loop: Header=BB1363_128 Depth=1
	s_or_b32 exec_lo, exec_lo, s9
.LBB1363_126:                           ;   in Loop: Header=BB1363_128 Depth=1
	s_or_b32 exec_lo, exec_lo, s8
	ds_bpermute_b32 v8, v71, v5
	ds_bpermute_b32 v25, v71, v6
	v_cmp_eq_u16_sdwa s8, v7, v72 src0_sel:BYTE_0 src1_sel:DWORD
	v_subrev_nc_u32_e32 v23, 32, v23
	v_and_or_b32 v26, s8, v73, 0x80000000
	s_mov_b32 s8, 0
	v_ffbl_b32_e32 v26, v26
	v_cmp_lt_u32_e32 vcc_lo, v62, v26
	s_waitcnt lgkmcnt(1)
	v_add_nc_u32_e32 v8, v8, v5
	s_waitcnt lgkmcnt(0)
	v_add_nc_u32_e32 v25, v25, v6
	v_cndmask_b32_e32 v5, v5, v8, vcc_lo
	v_cndmask_b32_e32 v6, v6, v25, vcc_lo
	v_cmp_gt_u32_e32 vcc_lo, v75, v26
	ds_bpermute_b32 v8, v74, v5
	ds_bpermute_b32 v25, v74, v6
	s_waitcnt lgkmcnt(1)
	v_add_nc_u32_e32 v8, v5, v8
	s_waitcnt lgkmcnt(0)
	v_add_nc_u32_e32 v25, v6, v25
	v_cndmask_b32_e32 v5, v8, v5, vcc_lo
	v_cndmask_b32_e32 v6, v25, v6, vcc_lo
	v_cmp_gt_u32_e32 vcc_lo, v77, v26
	ds_bpermute_b32 v8, v76, v5
	ds_bpermute_b32 v25, v76, v6
	;; [unrolled: 9-line block ×3, first 2 shown]
	s_waitcnt lgkmcnt(1)
	v_add_nc_u32_e32 v8, v5, v8
	s_waitcnt lgkmcnt(0)
	v_add_nc_u32_e32 v25, v6, v25
	v_cndmask_b32_e32 v5, v8, v5, vcc_lo
	v_cndmask_b32_e32 v6, v25, v6, vcc_lo
	v_cmp_le_u32_e32 vcc_lo, v81, v26
	ds_bpermute_b32 v8, v80, v5
	ds_bpermute_b32 v25, v80, v6
	s_waitcnt lgkmcnt(1)
	v_cndmask_b32_e32 v8, 0, v8, vcc_lo
	s_waitcnt lgkmcnt(0)
	v_cndmask_b32_e32 v25, 0, v25, vcc_lo
	v_add3_u32 v5, v5, v3, v8
	v_add3_u32 v6, v6, v4, v25
.LBB1363_127:                           ;   in Loop: Header=BB1363_128 Depth=1
	s_and_b32 vcc_lo, exec_lo, s8
	s_cbranch_vccnz .LBB1363_133
.LBB1363_128:                           ; =>This Loop Header: Depth=1
                                        ;     Child Loop BB1363_131 Depth 2
	v_cmp_ne_u16_sdwa s8, v7, v72 src0_sel:BYTE_0 src1_sel:DWORD
	v_mov_b32_e32 v3, v5
	v_mov_b32_e32 v4, v6
                                        ; implicit-def: $vgpr7
                                        ; implicit-def: $vgpr5_vgpr6
	s_cmp_lg_u32 s8, exec_lo
	s_mov_b32 s8, -1
	s_cbranch_scc1 .LBB1363_127
; %bb.129:                              ;   in Loop: Header=BB1363_128 Depth=1
	v_lshlrev_b64 v[5:6], 4, v[23:24]
	v_add_co_u32 v25, vcc_lo, s4, v5
	v_add_co_ci_u32_e64 v26, null, s5, v6, vcc_lo
	;;#ASMSTART
	global_load_dwordx4 v[5:8], v[25:26] off glc dlc	
s_waitcnt vmcnt(0)
	;;#ASMEND
	v_cmp_eq_u16_sdwa s9, v7, v24 src0_sel:BYTE_0 src1_sel:DWORD
	s_and_saveexec_b32 s8, s9
	s_cbranch_execz .LBB1363_126
; %bb.130:                              ;   in Loop: Header=BB1363_128 Depth=1
	s_mov_b32 s9, 0
.LBB1363_131:                           ;   Parent Loop BB1363_128 Depth=1
                                        ; =>  This Inner Loop Header: Depth=2
	;;#ASMSTART
	global_load_dwordx4 v[5:8], v[25:26] off glc dlc	
s_waitcnt vmcnt(0)
	;;#ASMEND
	v_cmp_ne_u16_sdwa s10, v7, v24 src0_sel:BYTE_0 src1_sel:DWORD
	s_or_b32 s9, s10, s9
	s_andn2_b32 exec_lo, exec_lo, s9
	s_cbranch_execnz .LBB1363_131
	s_branch .LBB1363_125
.LBB1363_132:
                                        ; implicit-def: $vgpr23
                                        ; implicit-def: $vgpr3
                                        ; implicit-def: $vgpr24
	s_and_b32 vcc_lo, exec_lo, s3
	s_cbranch_vccnz .LBB1363_138
	s_branch .LBB1363_147
.LBB1363_133:
	s_and_saveexec_b32 s8, s2
	s_cbranch_execnz .LBB1363_375
; %bb.134:
	s_or_b32 exec_lo, exec_lo, s8
	s_and_saveexec_b32 s6, s2
	s_cbranch_execnz .LBB1363_376
.LBB1363_135:
	s_or_b32 exec_lo, exec_lo, s6
	v_cmp_eq_u32_e32 vcc_lo, 0, v0
	s_and_b32 exec_lo, exec_lo, vcc_lo
.LBB1363_136:
	v_mov_b32_e32 v1, 0
	ds_write_b64 v1, v[3:4] offset:56
.LBB1363_137:
	s_or_b32 exec_lo, exec_lo, s3
	v_mov_b32_e32 v1, 0
	s_waitcnt lgkmcnt(0)
	s_barrier
	buffer_gl0_inv
	v_cndmask_b32_e64 v7, v69, v21, s2
	ds_read_b64 v[5:6], v1 offset:56
	s_waitcnt lgkmcnt(0)
	s_barrier
	buffer_gl0_inv
	ds_read_b128 v[1:4], v1 offset:13312
	v_cndmask_b32_e64 v8, v70, v22, s2
	v_cmp_eq_u32_e32 vcc_lo, 0, v0
	v_add_nc_u32_e32 v7, v5, v7
	v_add_nc_u32_e32 v8, v6, v8
	v_cndmask_b32_e32 v24, v7, v5, vcc_lo
	v_cndmask_b32_e32 v23, v8, v6, vcc_lo
	s_branch .LBB1363_147
.LBB1363_138:
	s_waitcnt lgkmcnt(0)
	v_mov_b32_dpp v1, v67 row_shr:1 row_mask:0xf bank_mask:0xf
	v_mov_b32_dpp v2, v68 row_shr:1 row_mask:0xf bank_mask:0xf
	v_cmp_lt_u32_e32 vcc_lo, 3, v64
	v_add_nc_u32_e32 v1, v1, v67
	v_add_nc_u32_e32 v2, v2, v68
	v_cndmask_b32_e64 v1, v1, v67, s1
	v_cndmask_b32_e64 v2, v2, v68, s1
	s_mov_b32 s1, exec_lo
	v_mov_b32_dpp v3, v1 row_shr:2 row_mask:0xf bank_mask:0xf
	v_mov_b32_dpp v4, v2 row_shr:2 row_mask:0xf bank_mask:0xf
	v_add_nc_u32_e32 v3, v1, v3
	v_add_nc_u32_e32 v4, v2, v4
	v_cndmask_b32_e64 v1, v1, v3, s0
	v_cndmask_b32_e64 v2, v2, v4, s0
	v_mov_b32_dpp v3, v1 row_shr:4 row_mask:0xf bank_mask:0xf
	v_mov_b32_dpp v4, v2 row_shr:4 row_mask:0xf bank_mask:0xf
	v_add_nc_u32_e32 v3, v1, v3
	v_add_nc_u32_e32 v4, v2, v4
	v_cndmask_b32_e32 v3, v1, v3, vcc_lo
	v_cndmask_b32_e32 v2, v2, v4, vcc_lo
	v_cmp_lt_u32_e32 vcc_lo, 7, v64
	v_mov_b32_dpp v1, v3 row_shr:8 row_mask:0xf bank_mask:0xf
	v_mov_b32_dpp v4, v2 row_shr:8 row_mask:0xf bank_mask:0xf
	v_add_nc_u32_e32 v5, v3, v1
	v_add_nc_u32_e32 v1, v2, v4
	v_cndmask_b32_e32 v1, v2, v1, vcc_lo
	v_cndmask_b32_e32 v2, v3, v5, vcc_lo
	v_cmp_eq_u32_e32 vcc_lo, 0, v66
	ds_swizzle_b32 v3, v1 offset:swizzle(BROADCAST,32,15)
	ds_swizzle_b32 v4, v2 offset:swizzle(BROADCAST,32,15)
	s_waitcnt lgkmcnt(1)
	v_add_nc_u32_e32 v3, v1, v3
	s_waitcnt lgkmcnt(0)
	v_add_nc_u32_e32 v4, v2, v4
	v_cmpx_eq_u32_e64 v0, v65
	s_cbranch_execz .LBB1363_140
; %bb.139:
	v_cndmask_b32_e32 v5, v4, v2, vcc_lo
	v_cndmask_b32_e32 v6, v3, v1, vcc_lo
	v_lshlrev_b32_e32 v7, 3, v63
	ds_write_b64 v7, v[5:6]
.LBB1363_140:
	s_or_b32 exec_lo, exec_lo, s1
	s_mov_b32 s1, exec_lo
	s_waitcnt lgkmcnt(0)
	s_barrier
	buffer_gl0_inv
	v_cmpx_gt_u32_e32 8, v0
	s_cbranch_execz .LBB1363_142
; %bb.141:
	v_lshlrev_b32_e32 v7, 3, v0
	v_and_b32_e32 v22, 7, v62
	ds_read_b64 v[5:6], v7
	v_cmp_eq_u32_e64 s0, 0, v22
	s_waitcnt lgkmcnt(0)
	v_mov_b32_dpp v8, v5 row_shr:1 row_mask:0xf bank_mask:0xf
	v_mov_b32_dpp v21, v6 row_shr:1 row_mask:0xf bank_mask:0xf
	v_add_nc_u32_e32 v8, v8, v5
	v_add_nc_u32_e32 v21, v21, v6
	v_cndmask_b32_e64 v5, v8, v5, s0
	v_cndmask_b32_e64 v6, v21, v6, s0
	v_cmp_lt_u32_e64 s0, 1, v22
	v_mov_b32_dpp v8, v5 row_shr:2 row_mask:0xf bank_mask:0xf
	v_mov_b32_dpp v21, v6 row_shr:2 row_mask:0xf bank_mask:0xf
	v_add_nc_u32_e32 v8, v5, v8
	v_add_nc_u32_e32 v21, v6, v21
	v_cndmask_b32_e64 v5, v5, v8, s0
	v_cndmask_b32_e64 v6, v6, v21, s0
	v_cmp_lt_u32_e64 s0, 3, v22
	v_mov_b32_dpp v8, v5 row_shr:4 row_mask:0xf bank_mask:0xf
	v_mov_b32_dpp v21, v6 row_shr:4 row_mask:0xf bank_mask:0xf
	v_cndmask_b32_e64 v8, 0, v8, s0
	v_cndmask_b32_e64 v21, 0, v21, s0
	v_add_nc_u32_e32 v5, v8, v5
	v_add_nc_u32_e32 v6, v21, v6
	ds_write_b64 v7, v[5:6]
.LBB1363_142:
	s_or_b32 exec_lo, exec_lo, s1
	v_mov_b32_e32 v7, 0
	v_mov_b32_e32 v5, 0
	;; [unrolled: 1-line block ×3, first 2 shown]
	s_mov_b32 s1, exec_lo
	s_waitcnt lgkmcnt(0)
	s_barrier
	buffer_gl0_inv
	v_cmpx_lt_u32_e32 31, v0
; %bb.143:
	v_lshl_add_u32 v5, v63, 3, -8
	ds_read_b64 v[5:6], v5
; %bb.144:
	s_or_b32 exec_lo, exec_lo, s1
	v_sub_co_u32 v8, s0, v62, 1
	v_cndmask_b32_e32 v2, v4, v2, vcc_lo
	v_cndmask_b32_e32 v1, v3, v1, vcc_lo
	v_cmp_eq_u32_e32 vcc_lo, 0, v0
	v_cmp_gt_i32_e64 s1, 0, v8
	s_waitcnt lgkmcnt(0)
	v_add_nc_u32_e32 v2, v5, v2
	v_add_nc_u32_e32 v1, v6, v1
	v_cndmask_b32_e64 v4, v8, v62, s1
	v_lshlrev_b32_e32 v3, 2, v4
	ds_bpermute_b32 v8, v3, v2
	ds_bpermute_b32 v21, v3, v1
	ds_read_b64 v[1:2], v7 offset:56
	s_and_saveexec_b32 s1, vcc_lo
	s_cbranch_execz .LBB1363_146
; %bb.145:
	s_add_u32 s2, s4, 0x200
	s_addc_u32 s3, s5, 0
	v_mov_b32_e32 v3, 2
	v_mov_b32_e32 v23, s3
	;; [unrolled: 1-line block ×4, first 2 shown]
	s_waitcnt lgkmcnt(0)
	;;#ASMSTART
	global_store_dwordx4 v[22:23], v[1:4] off	
s_waitcnt vmcnt(0)
	;;#ASMEND
.LBB1363_146:
	s_or_b32 exec_lo, exec_lo, s1
	s_waitcnt lgkmcnt(1)
	v_cndmask_b32_e64 v3, v21, v6, s0
	v_cndmask_b32_e64 v5, v8, v5, s0
	v_mov_b32_e32 v4, 0
	s_waitcnt lgkmcnt(0)
	s_barrier
	v_cndmask_b32_e64 v23, v3, 0, vcc_lo
	v_cndmask_b32_e64 v24, v5, 0, vcc_lo
	v_mov_b32_e32 v3, 0
	buffer_gl0_inv
.LBB1363_147:
	v_add_nc_u32_e32 v61, v23, v61
	v_add_nc_u32_e32 v60, v24, v60
	s_waitcnt lgkmcnt(0)
	v_sub_nc_u32_e32 v23, v23, v4
	v_lshrrev_b32_e32 v26, 8, v36
	v_lshlrev_b32_e32 v66, 1, v1
	v_add_nc_u32_e32 v58, v61, v58
	v_sub_nc_u32_e32 v61, v61, v4
	v_add_nc_u32_e32 v57, v60, v57
	v_sub_nc_u32_e32 v24, v24, v3
	v_sub_nc_u32_e32 v60, v60, v3
	v_add_nc_u32_e32 v23, v23, v1
	v_add_nc_u32_e32 v61, v61, v1
	v_and_b32_e32 v26, 1, v26
	v_mov_b32_e32 v68, 1
	v_add3_u32 v29, v66, v2, v29
	v_add_nc_u32_e32 v73, v24, v23
	v_add_nc_u32_e32 v72, v61, v60
	v_cmp_eq_u32_e32 vcc_lo, 1, v26
	v_and_b32_sdwa v71, v68, v36 dst_sel:DWORD dst_unused:UNUSED_PAD src0_sel:DWORD src1_sel:WORD_1
	v_lshrrev_b32_e32 v25, 8, v30
	v_sub_nc_u32_e32 v73, v29, v73
	v_sub_nc_u32_e32 v72, v29, v72
	v_and_b32_e32 v67, 1, v30
	v_add_nc_u32_e32 v62, v58, v43
	v_and_b32_e32 v25, 1, v25
	v_cndmask_b32_e32 v23, v73, v23, vcc_lo
	v_add_nc_u32_e32 v72, 1, v72
	v_cmp_eq_u32_e32 vcc_lo, 1, v71
	v_sub_nc_u32_e32 v58, v58, v4
	v_add_nc_u32_e32 v59, v57, v59
	v_sub_nc_u32_e32 v57, v57, v3
	v_add_co_u32 v5, s0, s28, v3
	v_cndmask_b32_e32 v26, v72, v61, vcc_lo
	v_cmp_eq_u32_e32 vcc_lo, 1, v67
	v_add_nc_u32_e32 v58, v58, v1
	v_add_co_ci_u32_e64 v6, null, s29, 0, s0
	v_sub_co_u32 v64, s0, s30, v1
	v_cndmask_b32_e32 v67, v23, v24, vcc_lo
	v_cmp_eq_u32_e32 vcc_lo, 1, v25
	v_sub_co_ci_u32_e64 v65, null, s31, 0, s0
	v_and_b32_e32 v43, 1, v43
	v_add_nc_u32_e32 v56, v62, v56
	v_cndmask_b32_e32 v25, v26, v60, vcc_lo
	v_add_nc_u32_e32 v26, v58, v57
	v_add_co_u32 v23, vcc_lo, v64, v4
	v_add_co_ci_u32_e64 v24, null, 0, v65, vcc_lo
	v_sub_nc_u32_e32 v26, v29, v26
	v_sub_nc_u32_e32 v62, v62, v4
	v_and_b32_sdwa v30, v68, v30 dst_sel:DWORD dst_unused:UNUSED_PAD src0_sel:DWORD src1_sel:WORD_1
	v_cmp_eq_u32_e32 vcc_lo, 1, v43
	v_add_nc_u32_e32 v63, v59, v42
	v_add_nc_u32_e32 v26, 2, v26
	v_sub_nc_u32_e32 v59, v59, v3
	v_add_nc_u32_e32 v62, v62, v1
	v_add_nc_u32_e32 v55, v56, v55
	v_lshlrev_b32_e32 v60, 2, v67
	v_cndmask_b32_e32 v26, v26, v58, vcc_lo
	v_cmp_eq_u32_e32 vcc_lo, 1, v30
	v_lshlrev_b32_e32 v25, 2, v25
	v_sub_nc_u32_e32 v56, v56, v4
	v_add_nc_u32_e32 v43, v59, v62
	v_sub_nc_u32_e32 v58, v63, v3
	v_cndmask_b32_e32 v26, v26, v57, vcc_lo
	ds_write_b32 v60, v19
	v_add_nc_u32_e32 v56, v56, v1
	v_sub_nc_u32_e32 v19, v29, v43
	ds_write_b32 v25, v20
	v_lshlrev_b32_e32 v25, 2, v26
	v_and_b32_e32 v26, 1, v31
	v_lshrrev_b32_e32 v22, 8, v31
	v_add_nc_u32_e32 v54, v63, v54
	v_add_nc_u32_e32 v20, v58, v56
	;; [unrolled: 1-line block ×3, first 2 shown]
	v_and_b32_e32 v30, 1, v42
	v_sub_nc_u32_e32 v42, v55, v4
	v_cmp_eq_u32_e32 vcc_lo, 1, v26
	v_sub_nc_u32_e32 v20, v29, v20
	v_and_b32_e32 v22, 1, v22
	v_sub_nc_u32_e32 v26, v54, v3
	v_add_nc_u32_e32 v42, v42, v1
	v_cndmask_b32_e32 v19, v19, v62, vcc_lo
	v_cmp_eq_u32_e32 vcc_lo, 1, v30
	v_add_nc_u32_e32 v20, 4, v20
	v_and_b32_e32 v30, 1, v32
	v_add_nc_u32_e32 v43, v26, v42
	v_lshrrev_b32_e32 v21, 8, v32
	v_cndmask_b32_e32 v19, v19, v59, vcc_lo
	v_cmp_eq_u32_e32 vcc_lo, 1, v22
	v_add_nc_u32_e32 v53, v55, v53
	ds_write_b32 v25, v17
	v_and_b32_sdwa v25, v68, v31 dst_sel:DWORD dst_unused:UNUSED_PAD src0_sel:DWORD src1_sel:WORD_1
	v_lshlrev_b32_e32 v17, 2, v19
	v_cndmask_b32_e32 v20, v20, v56, vcc_lo
	v_sub_nc_u32_e32 v19, v29, v43
	v_cmp_eq_u32_e32 vcc_lo, 1, v30
	v_add_nc_u32_e32 v52, v54, v52
	v_add_nc_u32_e32 v69, v53, v41
	v_and_b32_e32 v21, 1, v21
	v_sub_nc_u32_e32 v22, v53, v4
	v_cndmask_b32_e32 v20, v20, v58, vcc_lo
	v_add_nc_u32_e32 v19, 5, v19
	v_cmp_eq_u32_e32 vcc_lo, 1, v25
	v_add_nc_u32_e32 v46, v52, v46
	v_sub_nc_u32_e32 v30, v52, v3
	v_sub_nc_u32_e32 v31, v69, v4
	v_add_nc_u32_e32 v22, v22, v1
	v_cndmask_b32_e32 v19, v19, v42, vcc_lo
	v_cmp_eq_u32_e32 vcc_lo, 1, v21
	v_sub_nc_u32_e32 v25, v46, v3
	v_add_nc_u32_e32 v31, v31, v1
	v_lshlrev_b32_e32 v20, 2, v20
	v_add_nc_u32_e32 v42, v30, v22
	v_cndmask_b32_e32 v19, v19, v26, vcc_lo
	ds_write_b32 v17, v18
	v_add_nc_u32_e32 v21, v25, v31
	ds_write_b32 v20, v15
	v_sub_nc_u32_e32 v17, v29, v42
	v_lshlrev_b32_e32 v15, 2, v19
	v_and_b32_e32 v19, 1, v41
	v_sub_nc_u32_e32 v18, v29, v21
	v_and_b32_e32 v21, 1, v33
	v_add_nc_u32_e32 v17, 6, v17
	v_add_nc_u32_e32 v51, v69, v51
	v_cmp_eq_u32_e32 vcc_lo, 1, v19
	v_and_b32_sdwa v20, v68, v32 dst_sel:DWORD dst_unused:UNUSED_PAD src0_sel:DWORD src1_sel:WORD_1
	v_add_nc_u32_e32 v18, 7, v18
	v_add_nc_u32_e32 v70, v46, v40
	v_sub_nc_u32_e32 v19, v51, v4
	v_cndmask_b32_e32 v17, v17, v22, vcc_lo
	v_cmp_eq_u32_e32 vcc_lo, 1, v21
	v_and_b32_e32 v22, 1, v40
	v_add_nc_u32_e32 v50, v51, v50
	v_sub_nc_u32_e32 v21, v70, v3
	v_add_nc_u32_e32 v19, v19, v1
	v_cndmask_b32_e32 v18, v18, v31, vcc_lo
	v_cmp_eq_u32_e32 vcc_lo, 1, v20
	v_lshrrev_b32_e32 v8, 8, v33
	v_add_nc_u32_e32 v49, v70, v49
	v_add_nc_u32_e32 v20, v21, v19
	ds_write_b32 v15, v16
	v_cndmask_b32_e32 v17, v17, v30, vcc_lo
	v_cmp_eq_u32_e32 vcc_lo, 1, v22
	v_sub_nc_u32_e32 v15, v50, v4
	v_add_nc_u32_e32 v48, v50, v48
	v_and_b32_e32 v8, 1, v8
	v_lshlrev_b32_e32 v16, 2, v17
	v_cndmask_b32_e32 v18, v18, v25, vcc_lo
	v_add_nc_u32_e32 v15, v15, v1
	v_add_nc_u32_e32 v47, v49, v47
	v_cmp_eq_u32_e32 vcc_lo, 1, v8
	v_lshrrev_b32_e32 v7, 8, v35
	v_lshlrev_b32_e32 v17, 2, v18
	v_sub_nc_u32_e32 v18, v29, v20
	v_sub_nc_u32_e32 v20, v49, v3
	ds_write_b32 v16, v13
	ds_write_b32 v17, v14
	v_and_b32_e32 v16, 1, v35
	v_add_nc_u32_e32 v13, 8, v18
	v_add_nc_u32_e32 v14, v20, v15
	v_sub_nc_u32_e32 v17, v48, v4
	v_add_nc_u32_e32 v74, v48, v39
	v_add_nc_u32_e32 v45, v47, v45
	v_cndmask_b32_e32 v8, v13, v19, vcc_lo
	v_sub_nc_u32_e32 v13, v29, v14
	v_sub_nc_u32_e32 v14, v47, v3
	v_add_nc_u32_e32 v17, v17, v1
	v_cmp_eq_u32_e32 vcc_lo, 1, v16
	v_and_b32_sdwa v16, v68, v33 dst_sel:DWORD dst_unused:UNUSED_PAD src0_sel:DWORD src1_sel:WORD_1
	v_add_nc_u32_e32 v44, v74, v44
	v_add_nc_u32_e32 v13, 9, v13
	v_and_b32_e32 v7, 1, v7
	v_cndmask_b32_e32 v8, v8, v21, vcc_lo
	v_add_nc_u32_e32 v18, v14, v17
	v_sub_nc_u32_e32 v19, v74, v4
	v_cmp_eq_u32_e32 vcc_lo, 1, v16
	v_add_nc_u32_e32 v61, v45, v38
	v_and_b32_e32 v25, 1, v37
	v_sub_nc_u32_e32 v16, v29, v18
	v_sub_nc_u32_e32 v18, v45, v3
	v_cndmask_b32_e32 v13, v13, v15, vcc_lo
	v_sub_nc_u32_e32 v15, v44, v4
	v_add_nc_u32_e32 v19, v19, v1
	v_cmp_eq_u32_e32 vcc_lo, 1, v7
	v_sub_nc_u32_e32 v3, v61, v3
	v_add_nc_u32_e32 v16, 10, v16
	v_add_nc_u32_e32 v15, v15, v1
	v_and_b32_sdwa v22, v68, v35 dst_sel:DWORD dst_unused:UNUSED_PAD src0_sel:DWORD src1_sel:WORD_1
	v_cndmask_b32_e32 v7, v13, v20, vcc_lo
	v_add_nc_u32_e32 v13, v18, v19
	v_and_b32_e32 v20, 1, v39
	v_add_nc_u32_e32 v21, v3, v15
	v_lshlrev_b32_e32 v8, 2, v8
	v_lshlrev_b32_e32 v7, 2, v7
	v_sub_nc_u32_e32 v13, v29, v13
	v_cmp_eq_u32_e32 vcc_lo, 1, v20
	v_and_b32_e32 v20, 1, v34
	v_add_nc_u32_e32 v13, 11, v13
	v_cndmask_b32_e32 v16, v16, v17, vcc_lo
	v_sub_nc_u32_e32 v17, v29, v21
	v_cmp_eq_u32_e32 vcc_lo, 1, v20
	v_and_b32_e32 v21, 1, v38
	v_add_nc_u32_e32 v17, 12, v17
	v_cndmask_b32_e32 v13, v13, v19, vcc_lo
	v_cmp_eq_u32_e32 vcc_lo, 1, v25
	v_and_b32_e32 v19, 1, v36
	v_cndmask_b32_e32 v15, v17, v15, vcc_lo
	v_cmp_eq_u32_e32 vcc_lo, 1, v22
	v_cndmask_b32_e32 v14, v16, v14, vcc_lo
	v_cmp_eq_u32_e32 vcc_lo, 1, v21
	v_lshlrev_b32_e32 v14, 2, v14
	v_cndmask_b32_e32 v13, v13, v18, vcc_lo
	v_cmp_eq_u32_e32 vcc_lo, 1, v19
	v_lshlrev_b32_e32 v13, 2, v13
	v_cndmask_b32_e32 v3, v15, v3, vcc_lo
	v_lshlrev_b32_e32 v3, 2, v3
	ds_write_b32 v8, v11
	ds_write_b32 v7, v12
	;; [unrolled: 1-line block ×5, first 2 shown]
	v_add_co_u32 v3, s0, v2, v66
	v_add_co_ci_u32_e64 v7, null, 0, 0, s0
	s_add_u32 s0, s34, s42
	v_add_co_u32 v3, vcc_lo, v3, v23
	v_add_co_ci_u32_e64 v7, null, v7, v24, vcc_lo
	s_addc_u32 s1, s35, 0
	v_add_co_u32 v3, vcc_lo, v3, v5
	v_add_co_ci_u32_e64 v9, null, v7, v6, vcc_lo
	v_lshlrev_b64 v[7:8], 2, v[23:24]
	v_sub_co_u32 v3, vcc_lo, s0, v3
	v_sub_co_ci_u32_e64 v11, null, s1, v9, vcc_lo
	v_lshlrev_b64 v[9:10], 2, v[5:6]
	v_add_co_u32 v7, vcc_lo, s38, v7
	v_add_co_ci_u32_e64 v8, null, s39, v8, vcc_lo
	v_cmp_ne_u32_e32 vcc_lo, 1, v27
	v_add_co_u32 v9, s0, s36, v9
	v_add_nc_u32_e32 v12, v1, v2
	v_add_co_ci_u32_e64 v10, null, s37, v10, s0
	s_and_b32 vcc_lo, exec_lo, vcc_lo
	s_mov_b32 s0, -1
	s_waitcnt lgkmcnt(0)
	s_barrier
	buffer_gl0_inv
	s_cbranch_vccz .LBB1363_151
; %bb.148:
	s_and_b32 vcc_lo, exec_lo, s0
	s_cbranch_vccnz .LBB1363_256
.LBB1363_149:
	v_cmp_eq_u32_e32 vcc_lo, 0, v0
	s_and_b32 s0, vcc_lo, s33
	s_and_saveexec_b32 s1, s0
	s_cbranch_execnz .LBB1363_374
.LBB1363_150:
	s_endpgm
.LBB1363_151:
	s_mov_b32 s0, exec_lo
	v_cmpx_ge_u32_e64 v0, v1
	s_xor_b32 s0, exec_lo, s0
	s_cbranch_execz .LBB1363_157
; %bb.152:
	s_mov_b32 s1, exec_lo
	v_cmpx_ge_u32_e64 v0, v12
	s_xor_b32 s1, exec_lo, s1
	s_cbranch_execz .LBB1363_154
; %bb.153:
	v_lshlrev_b32_e32 v13, 2, v0
	ds_read_b32 v15, v13
	v_add_co_u32 v13, vcc_lo, v3, v0
	v_add_co_ci_u32_e64 v14, null, 0, v11, vcc_lo
	v_lshlrev_b64 v[13:14], 2, v[13:14]
	v_sub_co_u32 v13, vcc_lo, s26, v13
	v_sub_co_ci_u32_e64 v14, null, s27, v14, vcc_lo
	s_waitcnt lgkmcnt(0)
	global_store_dword v[13:14], v15, off offset:-4
.LBB1363_154:
	s_andn2_saveexec_b32 s1, s1
	s_cbranch_execz .LBB1363_156
; %bb.155:
	v_lshlrev_b32_e32 v13, 2, v0
	v_readfirstlane_b32 s2, v7
	v_readfirstlane_b32 s3, v8
	ds_read_b32 v14, v13
	s_waitcnt lgkmcnt(0)
	global_store_dword v13, v14, s[2:3]
.LBB1363_156:
	s_or_b32 exec_lo, exec_lo, s1
.LBB1363_157:
	s_andn2_saveexec_b32 s0, s0
	s_cbranch_execz .LBB1363_159
; %bb.158:
	v_lshlrev_b32_e32 v13, 2, v0
	v_readfirstlane_b32 s2, v9
	v_readfirstlane_b32 s3, v10
	ds_read_b32 v14, v13
	s_waitcnt lgkmcnt(0)
	global_store_dword v13, v14, s[2:3]
.LBB1363_159:
	s_or_b32 exec_lo, exec_lo, s0
	v_or_b32_e32 v13, 0x100, v0
	s_mov_b32 s0, exec_lo
	v_cmpx_ge_u32_e64 v13, v1
	s_xor_b32 s0, exec_lo, s0
	s_cbranch_execz .LBB1363_165
; %bb.160:
	s_mov_b32 s1, exec_lo
	v_cmpx_ge_u32_e64 v13, v12
	s_xor_b32 s1, exec_lo, s1
	s_cbranch_execz .LBB1363_162
; %bb.161:
	v_lshlrev_b32_e32 v13, 2, v0
	ds_read_b32 v15, v13 offset:1024
	v_add_co_u32 v13, vcc_lo, v3, v0
	v_add_co_ci_u32_e64 v14, null, 0, v11, vcc_lo
	v_lshlrev_b64 v[13:14], 2, v[13:14]
	v_sub_co_u32 v13, vcc_lo, s26, v13
	v_sub_co_ci_u32_e64 v14, null, s27, v14, vcc_lo
	s_waitcnt lgkmcnt(0)
	global_store_dword v[13:14], v15, off offset:-1028
.LBB1363_162:
	s_andn2_saveexec_b32 s1, s1
	s_cbranch_execz .LBB1363_164
; %bb.163:
	v_lshlrev_b32_e32 v13, 2, v0
	v_readfirstlane_b32 s2, v7
	v_readfirstlane_b32 s3, v8
	ds_read_b32 v14, v13 offset:1024
	s_waitcnt lgkmcnt(0)
	global_store_dword v13, v14, s[2:3] offset:1024
.LBB1363_164:
	s_or_b32 exec_lo, exec_lo, s1
.LBB1363_165:
	s_andn2_saveexec_b32 s0, s0
	s_cbranch_execz .LBB1363_167
; %bb.166:
	v_lshlrev_b32_e32 v13, 2, v0
	v_readfirstlane_b32 s2, v9
	v_readfirstlane_b32 s3, v10
	ds_read_b32 v14, v13 offset:1024
	s_waitcnt lgkmcnt(0)
	global_store_dword v13, v14, s[2:3] offset:1024
.LBB1363_167:
	s_or_b32 exec_lo, exec_lo, s0
	v_or_b32_e32 v13, 0x200, v0
	s_mov_b32 s0, exec_lo
	v_cmpx_ge_u32_e64 v13, v1
	s_xor_b32 s0, exec_lo, s0
	s_cbranch_execz .LBB1363_173
; %bb.168:
	s_mov_b32 s1, exec_lo
	v_cmpx_ge_u32_e64 v13, v12
	s_xor_b32 s1, exec_lo, s1
	s_cbranch_execz .LBB1363_170
; %bb.169:
	v_lshlrev_b32_e32 v15, 2, v0
	v_add_co_u32 v13, vcc_lo, v3, v0
	v_add_co_ci_u32_e64 v14, null, 0, v11, vcc_lo
	ds_read_b32 v15, v15 offset:2048
	v_lshlrev_b64 v[13:14], 2, v[13:14]
	v_sub_co_u32 v13, vcc_lo, s26, v13
	v_sub_co_ci_u32_e64 v14, null, s27, v14, vcc_lo
	v_add_co_u32 v13, vcc_lo, 0xfffff800, v13
	v_add_co_ci_u32_e64 v14, null, -1, v14, vcc_lo
	s_waitcnt lgkmcnt(0)
	global_store_dword v[13:14], v15, off offset:-4
                                        ; implicit-def: $vgpr13
.LBB1363_170:
	s_andn2_saveexec_b32 s1, s1
	s_cbranch_execz .LBB1363_172
; %bb.171:
	v_lshlrev_b32_e32 v14, 2, v0
	v_lshlrev_b32_e32 v13, 2, v13
	v_readfirstlane_b32 s2, v7
	v_readfirstlane_b32 s3, v8
	ds_read_b32 v14, v14 offset:2048
	s_waitcnt lgkmcnt(0)
	global_store_dword v13, v14, s[2:3]
.LBB1363_172:
	s_or_b32 exec_lo, exec_lo, s1
                                        ; implicit-def: $vgpr13
.LBB1363_173:
	s_andn2_saveexec_b32 s0, s0
	s_cbranch_execz .LBB1363_175
; %bb.174:
	v_lshlrev_b32_e32 v14, 2, v0
	v_lshlrev_b32_e32 v13, 2, v13
	v_readfirstlane_b32 s2, v9
	v_readfirstlane_b32 s3, v10
	ds_read_b32 v14, v14 offset:2048
	s_waitcnt lgkmcnt(0)
	global_store_dword v13, v14, s[2:3]
.LBB1363_175:
	s_or_b32 exec_lo, exec_lo, s0
	v_or_b32_e32 v13, 0x300, v0
	s_mov_b32 s0, exec_lo
	v_cmpx_ge_u32_e64 v13, v1
	s_xor_b32 s0, exec_lo, s0
	s_cbranch_execz .LBB1363_181
; %bb.176:
	s_mov_b32 s1, exec_lo
	v_cmpx_ge_u32_e64 v13, v12
	s_xor_b32 s1, exec_lo, s1
	s_cbranch_execz .LBB1363_178
; %bb.177:
	v_lshlrev_b32_e32 v14, 2, v0
	v_add_co_u32 v13, vcc_lo, v3, v13
	ds_read_b32 v15, v14 offset:3072
	v_add_co_ci_u32_e64 v14, null, 0, v11, vcc_lo
	v_lshlrev_b64 v[13:14], 2, v[13:14]
	v_sub_co_u32 v13, vcc_lo, s26, v13
	v_sub_co_ci_u32_e64 v14, null, s27, v14, vcc_lo
	s_waitcnt lgkmcnt(0)
	global_store_dword v[13:14], v15, off offset:-4
                                        ; implicit-def: $vgpr13
.LBB1363_178:
	s_andn2_saveexec_b32 s1, s1
	s_cbranch_execz .LBB1363_180
; %bb.179:
	v_lshlrev_b32_e32 v14, 2, v0
	v_lshlrev_b32_e32 v13, 2, v13
	v_readfirstlane_b32 s2, v7
	v_readfirstlane_b32 s3, v8
	ds_read_b32 v14, v14 offset:3072
	s_waitcnt lgkmcnt(0)
	global_store_dword v13, v14, s[2:3]
.LBB1363_180:
	s_or_b32 exec_lo, exec_lo, s1
                                        ; implicit-def: $vgpr13
.LBB1363_181:
	s_andn2_saveexec_b32 s0, s0
	s_cbranch_execz .LBB1363_183
; %bb.182:
	v_lshlrev_b32_e32 v14, 2, v0
	v_lshlrev_b32_e32 v13, 2, v13
	v_readfirstlane_b32 s2, v9
	v_readfirstlane_b32 s3, v10
	ds_read_b32 v14, v14 offset:3072
	s_waitcnt lgkmcnt(0)
	global_store_dword v13, v14, s[2:3]
.LBB1363_183:
	s_or_b32 exec_lo, exec_lo, s0
	v_or_b32_e32 v13, 0x400, v0
	s_mov_b32 s0, exec_lo
	v_cmpx_ge_u32_e64 v13, v1
	s_xor_b32 s0, exec_lo, s0
	s_cbranch_execz .LBB1363_189
; %bb.184:
	s_mov_b32 s1, exec_lo
	v_cmpx_ge_u32_e64 v13, v12
	s_xor_b32 s1, exec_lo, s1
	s_cbranch_execz .LBB1363_186
; %bb.185:
	v_lshlrev_b32_e32 v14, 2, v0
	v_add_co_u32 v13, vcc_lo, v3, v13
	ds_read_b32 v15, v14 offset:4096
	v_add_co_ci_u32_e64 v14, null, 0, v11, vcc_lo
	v_lshlrev_b64 v[13:14], 2, v[13:14]
	v_sub_co_u32 v13, vcc_lo, s26, v13
	v_sub_co_ci_u32_e64 v14, null, s27, v14, vcc_lo
	s_waitcnt lgkmcnt(0)
	global_store_dword v[13:14], v15, off offset:-4
                                        ; implicit-def: $vgpr13
.LBB1363_186:
	s_andn2_saveexec_b32 s1, s1
	s_cbranch_execz .LBB1363_188
; %bb.187:
	v_lshlrev_b32_e32 v14, 2, v0
	v_lshlrev_b32_e32 v13, 2, v13
	v_readfirstlane_b32 s2, v7
	v_readfirstlane_b32 s3, v8
	ds_read_b32 v14, v14 offset:4096
	s_waitcnt lgkmcnt(0)
	global_store_dword v13, v14, s[2:3]
.LBB1363_188:
	s_or_b32 exec_lo, exec_lo, s1
                                        ; implicit-def: $vgpr13
.LBB1363_189:
	;; [unrolled: 48-line block ×10, first 2 shown]
	s_andn2_saveexec_b32 s0, s0
	s_cbranch_execz .LBB1363_255
; %bb.254:
	v_lshlrev_b32_e32 v14, 2, v0
	v_lshlrev_b32_e32 v13, 2, v13
	v_readfirstlane_b32 s2, v9
	v_readfirstlane_b32 s3, v10
	ds_read_b32 v14, v14 offset:12288
	s_waitcnt lgkmcnt(0)
	global_store_dword v13, v14, s[2:3]
.LBB1363_255:
	s_or_b32 exec_lo, exec_lo, s0
	s_branch .LBB1363_149
.LBB1363_256:
	s_mov_b32 s0, exec_lo
	v_cmpx_gt_u32_e64 s7, v0
	s_cbranch_execz .LBB1363_265
; %bb.257:
	s_mov_b32 s1, exec_lo
	v_cmpx_ge_u32_e64 v0, v1
	s_xor_b32 s1, exec_lo, s1
	s_cbranch_execz .LBB1363_263
; %bb.258:
	s_mov_b32 s2, exec_lo
	v_cmpx_ge_u32_e64 v0, v12
	s_xor_b32 s2, exec_lo, s2
	s_cbranch_execz .LBB1363_260
; %bb.259:
	v_lshlrev_b32_e32 v13, 2, v0
	ds_read_b32 v15, v13
	v_add_co_u32 v13, vcc_lo, v3, v0
	v_add_co_ci_u32_e64 v14, null, 0, v11, vcc_lo
	v_lshlrev_b64 v[13:14], 2, v[13:14]
	v_sub_co_u32 v13, vcc_lo, s26, v13
	v_sub_co_ci_u32_e64 v14, null, s27, v14, vcc_lo
	s_waitcnt lgkmcnt(0)
	global_store_dword v[13:14], v15, off offset:-4
.LBB1363_260:
	s_andn2_saveexec_b32 s2, s2
	s_cbranch_execz .LBB1363_262
; %bb.261:
	v_lshlrev_b32_e32 v13, 2, v0
	v_readfirstlane_b32 s4, v7
	v_readfirstlane_b32 s5, v8
	ds_read_b32 v14, v13
	s_waitcnt lgkmcnt(0)
	global_store_dword v13, v14, s[4:5]
.LBB1363_262:
	s_or_b32 exec_lo, exec_lo, s2
.LBB1363_263:
	s_andn2_saveexec_b32 s1, s1
	s_cbranch_execz .LBB1363_265
; %bb.264:
	v_lshlrev_b32_e32 v13, 2, v0
	v_readfirstlane_b32 s2, v9
	v_readfirstlane_b32 s3, v10
	ds_read_b32 v14, v13
	s_waitcnt lgkmcnt(0)
	global_store_dword v13, v14, s[2:3]
.LBB1363_265:
	s_or_b32 exec_lo, exec_lo, s0
	v_or_b32_e32 v13, 0x100, v0
	s_mov_b32 s0, exec_lo
	v_cmpx_gt_u32_e64 s7, v13
	s_cbranch_execz .LBB1363_274
; %bb.266:
	s_mov_b32 s1, exec_lo
	v_cmpx_ge_u32_e64 v13, v1
	s_xor_b32 s1, exec_lo, s1
	s_cbranch_execz .LBB1363_272
; %bb.267:
	s_mov_b32 s2, exec_lo
	v_cmpx_ge_u32_e64 v13, v12
	s_xor_b32 s2, exec_lo, s2
	s_cbranch_execz .LBB1363_269
; %bb.268:
	v_lshlrev_b32_e32 v13, 2, v0
	ds_read_b32 v15, v13 offset:1024
	v_add_co_u32 v13, vcc_lo, v3, v0
	v_add_co_ci_u32_e64 v14, null, 0, v11, vcc_lo
	v_lshlrev_b64 v[13:14], 2, v[13:14]
	v_sub_co_u32 v13, vcc_lo, s26, v13
	v_sub_co_ci_u32_e64 v14, null, s27, v14, vcc_lo
	s_waitcnt lgkmcnt(0)
	global_store_dword v[13:14], v15, off offset:-1028
.LBB1363_269:
	s_andn2_saveexec_b32 s2, s2
	s_cbranch_execz .LBB1363_271
; %bb.270:
	v_lshlrev_b32_e32 v13, 2, v0
	v_readfirstlane_b32 s4, v7
	v_readfirstlane_b32 s5, v8
	ds_read_b32 v14, v13 offset:1024
	s_waitcnt lgkmcnt(0)
	global_store_dword v13, v14, s[4:5] offset:1024
.LBB1363_271:
	s_or_b32 exec_lo, exec_lo, s2
.LBB1363_272:
	s_andn2_saveexec_b32 s1, s1
	s_cbranch_execz .LBB1363_274
; %bb.273:
	v_lshlrev_b32_e32 v13, 2, v0
	v_readfirstlane_b32 s2, v9
	v_readfirstlane_b32 s3, v10
	ds_read_b32 v14, v13 offset:1024
	s_waitcnt lgkmcnt(0)
	global_store_dword v13, v14, s[2:3] offset:1024
.LBB1363_274:
	s_or_b32 exec_lo, exec_lo, s0
	v_or_b32_e32 v13, 0x200, v0
	s_mov_b32 s0, exec_lo
	v_cmpx_gt_u32_e64 s7, v13
	s_cbranch_execz .LBB1363_283
; %bb.275:
	s_mov_b32 s1, exec_lo
	v_cmpx_ge_u32_e64 v13, v1
	s_xor_b32 s1, exec_lo, s1
	s_cbranch_execz .LBB1363_281
; %bb.276:
	s_mov_b32 s2, exec_lo
	v_cmpx_ge_u32_e64 v13, v12
	s_xor_b32 s2, exec_lo, s2
	s_cbranch_execz .LBB1363_278
; %bb.277:
	v_lshlrev_b32_e32 v15, 2, v0
	v_add_co_u32 v13, vcc_lo, v3, v0
	v_add_co_ci_u32_e64 v14, null, 0, v11, vcc_lo
	ds_read_b32 v15, v15 offset:2048
	v_lshlrev_b64 v[13:14], 2, v[13:14]
	v_sub_co_u32 v13, vcc_lo, s26, v13
	v_sub_co_ci_u32_e64 v14, null, s27, v14, vcc_lo
	v_add_co_u32 v13, vcc_lo, 0xfffff800, v13
	v_add_co_ci_u32_e64 v14, null, -1, v14, vcc_lo
	s_waitcnt lgkmcnt(0)
	global_store_dword v[13:14], v15, off offset:-4
                                        ; implicit-def: $vgpr13
.LBB1363_278:
	s_andn2_saveexec_b32 s2, s2
	s_cbranch_execz .LBB1363_280
; %bb.279:
	v_lshlrev_b32_e32 v14, 2, v0
	v_lshlrev_b32_e32 v13, 2, v13
	v_readfirstlane_b32 s4, v7
	v_readfirstlane_b32 s5, v8
	ds_read_b32 v14, v14 offset:2048
	s_waitcnt lgkmcnt(0)
	global_store_dword v13, v14, s[4:5]
.LBB1363_280:
	s_or_b32 exec_lo, exec_lo, s2
                                        ; implicit-def: $vgpr13
.LBB1363_281:
	s_andn2_saveexec_b32 s1, s1
	s_cbranch_execz .LBB1363_283
; %bb.282:
	v_lshlrev_b32_e32 v14, 2, v0
	v_lshlrev_b32_e32 v13, 2, v13
	v_readfirstlane_b32 s2, v9
	v_readfirstlane_b32 s3, v10
	ds_read_b32 v14, v14 offset:2048
	s_waitcnt lgkmcnt(0)
	global_store_dword v13, v14, s[2:3]
.LBB1363_283:
	s_or_b32 exec_lo, exec_lo, s0
	v_or_b32_e32 v13, 0x300, v0
	s_mov_b32 s0, exec_lo
	v_cmpx_gt_u32_e64 s7, v13
	s_cbranch_execz .LBB1363_292
; %bb.284:
	s_mov_b32 s1, exec_lo
	v_cmpx_ge_u32_e64 v13, v1
	s_xor_b32 s1, exec_lo, s1
	s_cbranch_execz .LBB1363_290
; %bb.285:
	s_mov_b32 s2, exec_lo
	v_cmpx_ge_u32_e64 v13, v12
	s_xor_b32 s2, exec_lo, s2
	s_cbranch_execz .LBB1363_287
; %bb.286:
	v_lshlrev_b32_e32 v14, 2, v0
	v_add_co_u32 v13, vcc_lo, v3, v13
	ds_read_b32 v15, v14 offset:3072
	v_add_co_ci_u32_e64 v14, null, 0, v11, vcc_lo
	v_lshlrev_b64 v[13:14], 2, v[13:14]
	v_sub_co_u32 v13, vcc_lo, s26, v13
	v_sub_co_ci_u32_e64 v14, null, s27, v14, vcc_lo
	s_waitcnt lgkmcnt(0)
	global_store_dword v[13:14], v15, off offset:-4
                                        ; implicit-def: $vgpr13
.LBB1363_287:
	s_andn2_saveexec_b32 s2, s2
	s_cbranch_execz .LBB1363_289
; %bb.288:
	v_lshlrev_b32_e32 v14, 2, v0
	v_lshlrev_b32_e32 v13, 2, v13
	v_readfirstlane_b32 s4, v7
	v_readfirstlane_b32 s5, v8
	ds_read_b32 v14, v14 offset:3072
	s_waitcnt lgkmcnt(0)
	global_store_dword v13, v14, s[4:5]
.LBB1363_289:
	s_or_b32 exec_lo, exec_lo, s2
                                        ; implicit-def: $vgpr13
.LBB1363_290:
	s_andn2_saveexec_b32 s1, s1
	s_cbranch_execz .LBB1363_292
; %bb.291:
	v_lshlrev_b32_e32 v14, 2, v0
	v_lshlrev_b32_e32 v13, 2, v13
	v_readfirstlane_b32 s2, v9
	v_readfirstlane_b32 s3, v10
	ds_read_b32 v14, v14 offset:3072
	s_waitcnt lgkmcnt(0)
	global_store_dword v13, v14, s[2:3]
.LBB1363_292:
	s_or_b32 exec_lo, exec_lo, s0
	v_or_b32_e32 v13, 0x400, v0
	s_mov_b32 s0, exec_lo
	v_cmpx_gt_u32_e64 s7, v13
	s_cbranch_execz .LBB1363_301
; %bb.293:
	s_mov_b32 s1, exec_lo
	v_cmpx_ge_u32_e64 v13, v1
	s_xor_b32 s1, exec_lo, s1
	s_cbranch_execz .LBB1363_299
; %bb.294:
	s_mov_b32 s2, exec_lo
	v_cmpx_ge_u32_e64 v13, v12
	s_xor_b32 s2, exec_lo, s2
	s_cbranch_execz .LBB1363_296
; %bb.295:
	v_lshlrev_b32_e32 v14, 2, v0
	v_add_co_u32 v13, vcc_lo, v3, v13
	ds_read_b32 v15, v14 offset:4096
	v_add_co_ci_u32_e64 v14, null, 0, v11, vcc_lo
	v_lshlrev_b64 v[13:14], 2, v[13:14]
	v_sub_co_u32 v13, vcc_lo, s26, v13
	v_sub_co_ci_u32_e64 v14, null, s27, v14, vcc_lo
	s_waitcnt lgkmcnt(0)
	global_store_dword v[13:14], v15, off offset:-4
                                        ; implicit-def: $vgpr13
.LBB1363_296:
	s_andn2_saveexec_b32 s2, s2
	s_cbranch_execz .LBB1363_298
; %bb.297:
	v_lshlrev_b32_e32 v14, 2, v0
	v_lshlrev_b32_e32 v13, 2, v13
	v_readfirstlane_b32 s4, v7
	v_readfirstlane_b32 s5, v8
	ds_read_b32 v14, v14 offset:4096
	s_waitcnt lgkmcnt(0)
	global_store_dword v13, v14, s[4:5]
.LBB1363_298:
	s_or_b32 exec_lo, exec_lo, s2
                                        ; implicit-def: $vgpr13
.LBB1363_299:
	s_andn2_saveexec_b32 s1, s1
	s_cbranch_execz .LBB1363_301
; %bb.300:
	v_lshlrev_b32_e32 v14, 2, v0
	v_lshlrev_b32_e32 v13, 2, v13
	v_readfirstlane_b32 s2, v9
	v_readfirstlane_b32 s3, v10
	ds_read_b32 v14, v14 offset:4096
	s_waitcnt lgkmcnt(0)
	global_store_dword v13, v14, s[2:3]
.LBB1363_301:
	;; [unrolled: 52-line block ×9, first 2 shown]
	s_or_b32 exec_lo, exec_lo, s0
	v_or_b32_e32 v13, 0xc00, v0
	s_mov_b32 s0, exec_lo
	v_cmpx_gt_u32_e64 s7, v13
	s_cbranch_execz .LBB1363_373
; %bb.365:
	s_mov_b32 s1, exec_lo
	v_cmpx_ge_u32_e64 v13, v1
	s_xor_b32 s1, exec_lo, s1
	s_cbranch_execz .LBB1363_371
; %bb.366:
	s_mov_b32 s2, exec_lo
	v_cmpx_ge_u32_e64 v13, v12
	s_xor_b32 s2, exec_lo, s2
	s_cbranch_execz .LBB1363_368
; %bb.367:
	v_lshlrev_b32_e32 v7, 2, v0
	ds_read_b32 v9, v7 offset:12288
	v_add_co_u32 v7, vcc_lo, v3, v13
	v_add_co_ci_u32_e64 v8, null, 0, v11, vcc_lo
                                        ; implicit-def: $vgpr13
	v_lshlrev_b64 v[7:8], 2, v[7:8]
	v_sub_co_u32 v7, vcc_lo, s26, v7
	v_sub_co_ci_u32_e64 v8, null, s27, v8, vcc_lo
	s_waitcnt lgkmcnt(0)
	global_store_dword v[7:8], v9, off offset:-4
                                        ; implicit-def: $vgpr7_vgpr8
.LBB1363_368:
	s_andn2_saveexec_b32 s2, s2
	s_cbranch_execz .LBB1363_370
; %bb.369:
	v_lshlrev_b32_e32 v3, 2, v0
	v_lshlrev_b32_e32 v9, 2, v13
	v_readfirstlane_b32 s4, v7
	v_readfirstlane_b32 s5, v8
	ds_read_b32 v3, v3 offset:12288
	s_waitcnt lgkmcnt(0)
	global_store_dword v9, v3, s[4:5]
.LBB1363_370:
	s_or_b32 exec_lo, exec_lo, s2
                                        ; implicit-def: $vgpr13
                                        ; implicit-def: $vgpr9_vgpr10
.LBB1363_371:
	s_andn2_saveexec_b32 s1, s1
	s_cbranch_execz .LBB1363_373
; %bb.372:
	v_lshlrev_b32_e32 v3, 2, v0
	v_lshlrev_b32_e32 v7, 2, v13
	v_readfirstlane_b32 s2, v9
	v_readfirstlane_b32 s3, v10
	ds_read_b32 v3, v3 offset:12288
	s_waitcnt lgkmcnt(0)
	global_store_dword v7, v3, s[2:3]
.LBB1363_373:
	s_or_b32 exec_lo, exec_lo, s0
	v_cmp_eq_u32_e32 vcc_lo, 0, v0
	s_and_b32 s0, vcc_lo, s33
	s_and_saveexec_b32 s1, s0
	s_cbranch_execz .LBB1363_150
.LBB1363_374:
	v_add_co_u32 v0, s0, s30, v2
	v_add_co_ci_u32_e64 v3, null, s31, 0, s0
	v_mov_b32_e32 v7, 0
	v_add_co_u32 v2, vcc_lo, v0, v4
	v_add_co_ci_u32_e64 v3, null, 0, v3, vcc_lo
	v_add_co_u32 v0, vcc_lo, v5, v1
	v_add_co_ci_u32_e64 v1, null, 0, v6, vcc_lo
	global_store_dwordx4 v7, v[0:3], s[24:25]
	s_endpgm
.LBB1363_375:
	s_add_i32 s10, s6, 32
	s_mov_b32 s11, 0
	v_add_nc_u32_e32 v6, v4, v2
	s_lshl_b64 s[10:11], s[10:11], 4
	v_add_nc_u32_e32 v5, v3, v1
	s_add_u32 s10, s4, s10
	s_addc_u32 s11, s5, s11
	v_mov_b32_e32 v7, 2
	v_mov_b32_e32 v24, s11
	;; [unrolled: 1-line block ×4, first 2 shown]
	;;#ASMSTART
	global_store_dwordx4 v[23:24], v[5:8] off	
s_waitcnt vmcnt(0)
	;;#ASMEND
	s_or_b32 exec_lo, exec_lo, s8
	s_and_saveexec_b32 s6, s2
	s_cbranch_execz .LBB1363_135
.LBB1363_376:
	v_mov_b32_e32 v5, 0
	ds_write_b128 v5, v[1:4] offset:13312
	s_or_b32 exec_lo, exec_lo, s6
	v_cmp_eq_u32_e32 vcc_lo, 0, v0
	s_and_b32 exec_lo, exec_lo, vcc_lo
	s_cbranch_execnz .LBB1363_136
	s_branch .LBB1363_137
	.section	.rodata,"a",@progbits
	.p2align	6, 0x0
	.amdhsa_kernel _ZN7rocprim17ROCPRIM_400000_NS6detail17trampoline_kernelINS0_13select_configILj256ELj13ELNS0_17block_load_methodE3ELS4_3ELS4_3ELNS0_20block_scan_algorithmE0ELj4294967295EEENS1_25partition_config_selectorILNS1_17partition_subalgoE4EjNS0_10empty_typeEbEEZZNS1_14partition_implILS8_4ELb0ES6_15HIP_vector_typeIjLj2EENS0_17counting_iteratorIjlEEPS9_SG_NS0_5tupleIJPjSI_NS0_16reverse_iteratorISI_EEEEENSH_IJSG_SG_SG_EEES9_SI_JZNS1_25segmented_radix_sort_implINS0_14default_configELb0EPKfPfPKlPlN2at6native12_GLOBAL__N_18offset_tEEE10hipError_tPvRmT1_PNSt15iterator_traitsIS12_E10value_typeET2_T3_PNS13_IS18_E10value_typeET4_jRbjT5_S1E_jjP12ihipStream_tbEUljE_ZNSN_ISO_Lb0ESQ_SR_ST_SU_SY_EESZ_S10_S11_S12_S16_S17_S18_S1B_S1C_jS1D_jS1E_S1E_jjS1G_bEUljE0_EEESZ_S10_S11_S18_S1C_S1E_T6_T7_T9_mT8_S1G_bDpT10_ENKUlT_T0_E_clISt17integral_constantIbLb0EES1U_EEDaS1P_S1Q_EUlS1P_E_NS1_11comp_targetILNS1_3genE8ELNS1_11target_archE1030ELNS1_3gpuE2ELNS1_3repE0EEENS1_30default_config_static_selectorELNS0_4arch9wavefront6targetE0EEEvS12_
		.amdhsa_group_segment_fixed_size 13328
		.amdhsa_private_segment_fixed_size 0
		.amdhsa_kernarg_size 176
		.amdhsa_user_sgpr_count 6
		.amdhsa_user_sgpr_private_segment_buffer 1
		.amdhsa_user_sgpr_dispatch_ptr 0
		.amdhsa_user_sgpr_queue_ptr 0
		.amdhsa_user_sgpr_kernarg_segment_ptr 1
		.amdhsa_user_sgpr_dispatch_id 0
		.amdhsa_user_sgpr_flat_scratch_init 0
		.amdhsa_user_sgpr_private_segment_size 0
		.amdhsa_wavefront_size32 1
		.amdhsa_uses_dynamic_stack 0
		.amdhsa_system_sgpr_private_segment_wavefront_offset 0
		.amdhsa_system_sgpr_workgroup_id_x 1
		.amdhsa_system_sgpr_workgroup_id_y 0
		.amdhsa_system_sgpr_workgroup_id_z 0
		.amdhsa_system_sgpr_workgroup_info 0
		.amdhsa_system_vgpr_workitem_id 0
		.amdhsa_next_free_vgpr 82
		.amdhsa_next_free_sgpr 59
		.amdhsa_reserve_vcc 1
		.amdhsa_reserve_flat_scratch 0
		.amdhsa_float_round_mode_32 0
		.amdhsa_float_round_mode_16_64 0
		.amdhsa_float_denorm_mode_32 3
		.amdhsa_float_denorm_mode_16_64 3
		.amdhsa_dx10_clamp 1
		.amdhsa_ieee_mode 1
		.amdhsa_fp16_overflow 0
		.amdhsa_workgroup_processor_mode 1
		.amdhsa_memory_ordered 1
		.amdhsa_forward_progress 1
		.amdhsa_shared_vgpr_count 0
		.amdhsa_exception_fp_ieee_invalid_op 0
		.amdhsa_exception_fp_denorm_src 0
		.amdhsa_exception_fp_ieee_div_zero 0
		.amdhsa_exception_fp_ieee_overflow 0
		.amdhsa_exception_fp_ieee_underflow 0
		.amdhsa_exception_fp_ieee_inexact 0
		.amdhsa_exception_int_div_zero 0
	.end_amdhsa_kernel
	.section	.text._ZN7rocprim17ROCPRIM_400000_NS6detail17trampoline_kernelINS0_13select_configILj256ELj13ELNS0_17block_load_methodE3ELS4_3ELS4_3ELNS0_20block_scan_algorithmE0ELj4294967295EEENS1_25partition_config_selectorILNS1_17partition_subalgoE4EjNS0_10empty_typeEbEEZZNS1_14partition_implILS8_4ELb0ES6_15HIP_vector_typeIjLj2EENS0_17counting_iteratorIjlEEPS9_SG_NS0_5tupleIJPjSI_NS0_16reverse_iteratorISI_EEEEENSH_IJSG_SG_SG_EEES9_SI_JZNS1_25segmented_radix_sort_implINS0_14default_configELb0EPKfPfPKlPlN2at6native12_GLOBAL__N_18offset_tEEE10hipError_tPvRmT1_PNSt15iterator_traitsIS12_E10value_typeET2_T3_PNS13_IS18_E10value_typeET4_jRbjT5_S1E_jjP12ihipStream_tbEUljE_ZNSN_ISO_Lb0ESQ_SR_ST_SU_SY_EESZ_S10_S11_S12_S16_S17_S18_S1B_S1C_jS1D_jS1E_S1E_jjS1G_bEUljE0_EEESZ_S10_S11_S18_S1C_S1E_T6_T7_T9_mT8_S1G_bDpT10_ENKUlT_T0_E_clISt17integral_constantIbLb0EES1U_EEDaS1P_S1Q_EUlS1P_E_NS1_11comp_targetILNS1_3genE8ELNS1_11target_archE1030ELNS1_3gpuE2ELNS1_3repE0EEENS1_30default_config_static_selectorELNS0_4arch9wavefront6targetE0EEEvS12_,"axG",@progbits,_ZN7rocprim17ROCPRIM_400000_NS6detail17trampoline_kernelINS0_13select_configILj256ELj13ELNS0_17block_load_methodE3ELS4_3ELS4_3ELNS0_20block_scan_algorithmE0ELj4294967295EEENS1_25partition_config_selectorILNS1_17partition_subalgoE4EjNS0_10empty_typeEbEEZZNS1_14partition_implILS8_4ELb0ES6_15HIP_vector_typeIjLj2EENS0_17counting_iteratorIjlEEPS9_SG_NS0_5tupleIJPjSI_NS0_16reverse_iteratorISI_EEEEENSH_IJSG_SG_SG_EEES9_SI_JZNS1_25segmented_radix_sort_implINS0_14default_configELb0EPKfPfPKlPlN2at6native12_GLOBAL__N_18offset_tEEE10hipError_tPvRmT1_PNSt15iterator_traitsIS12_E10value_typeET2_T3_PNS13_IS18_E10value_typeET4_jRbjT5_S1E_jjP12ihipStream_tbEUljE_ZNSN_ISO_Lb0ESQ_SR_ST_SU_SY_EESZ_S10_S11_S12_S16_S17_S18_S1B_S1C_jS1D_jS1E_S1E_jjS1G_bEUljE0_EEESZ_S10_S11_S18_S1C_S1E_T6_T7_T9_mT8_S1G_bDpT10_ENKUlT_T0_E_clISt17integral_constantIbLb0EES1U_EEDaS1P_S1Q_EUlS1P_E_NS1_11comp_targetILNS1_3genE8ELNS1_11target_archE1030ELNS1_3gpuE2ELNS1_3repE0EEENS1_30default_config_static_selectorELNS0_4arch9wavefront6targetE0EEEvS12_,comdat
.Lfunc_end1363:
	.size	_ZN7rocprim17ROCPRIM_400000_NS6detail17trampoline_kernelINS0_13select_configILj256ELj13ELNS0_17block_load_methodE3ELS4_3ELS4_3ELNS0_20block_scan_algorithmE0ELj4294967295EEENS1_25partition_config_selectorILNS1_17partition_subalgoE4EjNS0_10empty_typeEbEEZZNS1_14partition_implILS8_4ELb0ES6_15HIP_vector_typeIjLj2EENS0_17counting_iteratorIjlEEPS9_SG_NS0_5tupleIJPjSI_NS0_16reverse_iteratorISI_EEEEENSH_IJSG_SG_SG_EEES9_SI_JZNS1_25segmented_radix_sort_implINS0_14default_configELb0EPKfPfPKlPlN2at6native12_GLOBAL__N_18offset_tEEE10hipError_tPvRmT1_PNSt15iterator_traitsIS12_E10value_typeET2_T3_PNS13_IS18_E10value_typeET4_jRbjT5_S1E_jjP12ihipStream_tbEUljE_ZNSN_ISO_Lb0ESQ_SR_ST_SU_SY_EESZ_S10_S11_S12_S16_S17_S18_S1B_S1C_jS1D_jS1E_S1E_jjS1G_bEUljE0_EEESZ_S10_S11_S18_S1C_S1E_T6_T7_T9_mT8_S1G_bDpT10_ENKUlT_T0_E_clISt17integral_constantIbLb0EES1U_EEDaS1P_S1Q_EUlS1P_E_NS1_11comp_targetILNS1_3genE8ELNS1_11target_archE1030ELNS1_3gpuE2ELNS1_3repE0EEENS1_30default_config_static_selectorELNS0_4arch9wavefront6targetE0EEEvS12_, .Lfunc_end1363-_ZN7rocprim17ROCPRIM_400000_NS6detail17trampoline_kernelINS0_13select_configILj256ELj13ELNS0_17block_load_methodE3ELS4_3ELS4_3ELNS0_20block_scan_algorithmE0ELj4294967295EEENS1_25partition_config_selectorILNS1_17partition_subalgoE4EjNS0_10empty_typeEbEEZZNS1_14partition_implILS8_4ELb0ES6_15HIP_vector_typeIjLj2EENS0_17counting_iteratorIjlEEPS9_SG_NS0_5tupleIJPjSI_NS0_16reverse_iteratorISI_EEEEENSH_IJSG_SG_SG_EEES9_SI_JZNS1_25segmented_radix_sort_implINS0_14default_configELb0EPKfPfPKlPlN2at6native12_GLOBAL__N_18offset_tEEE10hipError_tPvRmT1_PNSt15iterator_traitsIS12_E10value_typeET2_T3_PNS13_IS18_E10value_typeET4_jRbjT5_S1E_jjP12ihipStream_tbEUljE_ZNSN_ISO_Lb0ESQ_SR_ST_SU_SY_EESZ_S10_S11_S12_S16_S17_S18_S1B_S1C_jS1D_jS1E_S1E_jjS1G_bEUljE0_EEESZ_S10_S11_S18_S1C_S1E_T6_T7_T9_mT8_S1G_bDpT10_ENKUlT_T0_E_clISt17integral_constantIbLb0EES1U_EEDaS1P_S1Q_EUlS1P_E_NS1_11comp_targetILNS1_3genE8ELNS1_11target_archE1030ELNS1_3gpuE2ELNS1_3repE0EEENS1_30default_config_static_selectorELNS0_4arch9wavefront6targetE0EEEvS12_
                                        ; -- End function
	.set _ZN7rocprim17ROCPRIM_400000_NS6detail17trampoline_kernelINS0_13select_configILj256ELj13ELNS0_17block_load_methodE3ELS4_3ELS4_3ELNS0_20block_scan_algorithmE0ELj4294967295EEENS1_25partition_config_selectorILNS1_17partition_subalgoE4EjNS0_10empty_typeEbEEZZNS1_14partition_implILS8_4ELb0ES6_15HIP_vector_typeIjLj2EENS0_17counting_iteratorIjlEEPS9_SG_NS0_5tupleIJPjSI_NS0_16reverse_iteratorISI_EEEEENSH_IJSG_SG_SG_EEES9_SI_JZNS1_25segmented_radix_sort_implINS0_14default_configELb0EPKfPfPKlPlN2at6native12_GLOBAL__N_18offset_tEEE10hipError_tPvRmT1_PNSt15iterator_traitsIS12_E10value_typeET2_T3_PNS13_IS18_E10value_typeET4_jRbjT5_S1E_jjP12ihipStream_tbEUljE_ZNSN_ISO_Lb0ESQ_SR_ST_SU_SY_EESZ_S10_S11_S12_S16_S17_S18_S1B_S1C_jS1D_jS1E_S1E_jjS1G_bEUljE0_EEESZ_S10_S11_S18_S1C_S1E_T6_T7_T9_mT8_S1G_bDpT10_ENKUlT_T0_E_clISt17integral_constantIbLb0EES1U_EEDaS1P_S1Q_EUlS1P_E_NS1_11comp_targetILNS1_3genE8ELNS1_11target_archE1030ELNS1_3gpuE2ELNS1_3repE0EEENS1_30default_config_static_selectorELNS0_4arch9wavefront6targetE0EEEvS12_.num_vgpr, 82
	.set _ZN7rocprim17ROCPRIM_400000_NS6detail17trampoline_kernelINS0_13select_configILj256ELj13ELNS0_17block_load_methodE3ELS4_3ELS4_3ELNS0_20block_scan_algorithmE0ELj4294967295EEENS1_25partition_config_selectorILNS1_17partition_subalgoE4EjNS0_10empty_typeEbEEZZNS1_14partition_implILS8_4ELb0ES6_15HIP_vector_typeIjLj2EENS0_17counting_iteratorIjlEEPS9_SG_NS0_5tupleIJPjSI_NS0_16reverse_iteratorISI_EEEEENSH_IJSG_SG_SG_EEES9_SI_JZNS1_25segmented_radix_sort_implINS0_14default_configELb0EPKfPfPKlPlN2at6native12_GLOBAL__N_18offset_tEEE10hipError_tPvRmT1_PNSt15iterator_traitsIS12_E10value_typeET2_T3_PNS13_IS18_E10value_typeET4_jRbjT5_S1E_jjP12ihipStream_tbEUljE_ZNSN_ISO_Lb0ESQ_SR_ST_SU_SY_EESZ_S10_S11_S12_S16_S17_S18_S1B_S1C_jS1D_jS1E_S1E_jjS1G_bEUljE0_EEESZ_S10_S11_S18_S1C_S1E_T6_T7_T9_mT8_S1G_bDpT10_ENKUlT_T0_E_clISt17integral_constantIbLb0EES1U_EEDaS1P_S1Q_EUlS1P_E_NS1_11comp_targetILNS1_3genE8ELNS1_11target_archE1030ELNS1_3gpuE2ELNS1_3repE0EEENS1_30default_config_static_selectorELNS0_4arch9wavefront6targetE0EEEvS12_.num_agpr, 0
	.set _ZN7rocprim17ROCPRIM_400000_NS6detail17trampoline_kernelINS0_13select_configILj256ELj13ELNS0_17block_load_methodE3ELS4_3ELS4_3ELNS0_20block_scan_algorithmE0ELj4294967295EEENS1_25partition_config_selectorILNS1_17partition_subalgoE4EjNS0_10empty_typeEbEEZZNS1_14partition_implILS8_4ELb0ES6_15HIP_vector_typeIjLj2EENS0_17counting_iteratorIjlEEPS9_SG_NS0_5tupleIJPjSI_NS0_16reverse_iteratorISI_EEEEENSH_IJSG_SG_SG_EEES9_SI_JZNS1_25segmented_radix_sort_implINS0_14default_configELb0EPKfPfPKlPlN2at6native12_GLOBAL__N_18offset_tEEE10hipError_tPvRmT1_PNSt15iterator_traitsIS12_E10value_typeET2_T3_PNS13_IS18_E10value_typeET4_jRbjT5_S1E_jjP12ihipStream_tbEUljE_ZNSN_ISO_Lb0ESQ_SR_ST_SU_SY_EESZ_S10_S11_S12_S16_S17_S18_S1B_S1C_jS1D_jS1E_S1E_jjS1G_bEUljE0_EEESZ_S10_S11_S18_S1C_S1E_T6_T7_T9_mT8_S1G_bDpT10_ENKUlT_T0_E_clISt17integral_constantIbLb0EES1U_EEDaS1P_S1Q_EUlS1P_E_NS1_11comp_targetILNS1_3genE8ELNS1_11target_archE1030ELNS1_3gpuE2ELNS1_3repE0EEENS1_30default_config_static_selectorELNS0_4arch9wavefront6targetE0EEEvS12_.numbered_sgpr, 59
	.set _ZN7rocprim17ROCPRIM_400000_NS6detail17trampoline_kernelINS0_13select_configILj256ELj13ELNS0_17block_load_methodE3ELS4_3ELS4_3ELNS0_20block_scan_algorithmE0ELj4294967295EEENS1_25partition_config_selectorILNS1_17partition_subalgoE4EjNS0_10empty_typeEbEEZZNS1_14partition_implILS8_4ELb0ES6_15HIP_vector_typeIjLj2EENS0_17counting_iteratorIjlEEPS9_SG_NS0_5tupleIJPjSI_NS0_16reverse_iteratorISI_EEEEENSH_IJSG_SG_SG_EEES9_SI_JZNS1_25segmented_radix_sort_implINS0_14default_configELb0EPKfPfPKlPlN2at6native12_GLOBAL__N_18offset_tEEE10hipError_tPvRmT1_PNSt15iterator_traitsIS12_E10value_typeET2_T3_PNS13_IS18_E10value_typeET4_jRbjT5_S1E_jjP12ihipStream_tbEUljE_ZNSN_ISO_Lb0ESQ_SR_ST_SU_SY_EESZ_S10_S11_S12_S16_S17_S18_S1B_S1C_jS1D_jS1E_S1E_jjS1G_bEUljE0_EEESZ_S10_S11_S18_S1C_S1E_T6_T7_T9_mT8_S1G_bDpT10_ENKUlT_T0_E_clISt17integral_constantIbLb0EES1U_EEDaS1P_S1Q_EUlS1P_E_NS1_11comp_targetILNS1_3genE8ELNS1_11target_archE1030ELNS1_3gpuE2ELNS1_3repE0EEENS1_30default_config_static_selectorELNS0_4arch9wavefront6targetE0EEEvS12_.num_named_barrier, 0
	.set _ZN7rocprim17ROCPRIM_400000_NS6detail17trampoline_kernelINS0_13select_configILj256ELj13ELNS0_17block_load_methodE3ELS4_3ELS4_3ELNS0_20block_scan_algorithmE0ELj4294967295EEENS1_25partition_config_selectorILNS1_17partition_subalgoE4EjNS0_10empty_typeEbEEZZNS1_14partition_implILS8_4ELb0ES6_15HIP_vector_typeIjLj2EENS0_17counting_iteratorIjlEEPS9_SG_NS0_5tupleIJPjSI_NS0_16reverse_iteratorISI_EEEEENSH_IJSG_SG_SG_EEES9_SI_JZNS1_25segmented_radix_sort_implINS0_14default_configELb0EPKfPfPKlPlN2at6native12_GLOBAL__N_18offset_tEEE10hipError_tPvRmT1_PNSt15iterator_traitsIS12_E10value_typeET2_T3_PNS13_IS18_E10value_typeET4_jRbjT5_S1E_jjP12ihipStream_tbEUljE_ZNSN_ISO_Lb0ESQ_SR_ST_SU_SY_EESZ_S10_S11_S12_S16_S17_S18_S1B_S1C_jS1D_jS1E_S1E_jjS1G_bEUljE0_EEESZ_S10_S11_S18_S1C_S1E_T6_T7_T9_mT8_S1G_bDpT10_ENKUlT_T0_E_clISt17integral_constantIbLb0EES1U_EEDaS1P_S1Q_EUlS1P_E_NS1_11comp_targetILNS1_3genE8ELNS1_11target_archE1030ELNS1_3gpuE2ELNS1_3repE0EEENS1_30default_config_static_selectorELNS0_4arch9wavefront6targetE0EEEvS12_.private_seg_size, 0
	.set _ZN7rocprim17ROCPRIM_400000_NS6detail17trampoline_kernelINS0_13select_configILj256ELj13ELNS0_17block_load_methodE3ELS4_3ELS4_3ELNS0_20block_scan_algorithmE0ELj4294967295EEENS1_25partition_config_selectorILNS1_17partition_subalgoE4EjNS0_10empty_typeEbEEZZNS1_14partition_implILS8_4ELb0ES6_15HIP_vector_typeIjLj2EENS0_17counting_iteratorIjlEEPS9_SG_NS0_5tupleIJPjSI_NS0_16reverse_iteratorISI_EEEEENSH_IJSG_SG_SG_EEES9_SI_JZNS1_25segmented_radix_sort_implINS0_14default_configELb0EPKfPfPKlPlN2at6native12_GLOBAL__N_18offset_tEEE10hipError_tPvRmT1_PNSt15iterator_traitsIS12_E10value_typeET2_T3_PNS13_IS18_E10value_typeET4_jRbjT5_S1E_jjP12ihipStream_tbEUljE_ZNSN_ISO_Lb0ESQ_SR_ST_SU_SY_EESZ_S10_S11_S12_S16_S17_S18_S1B_S1C_jS1D_jS1E_S1E_jjS1G_bEUljE0_EEESZ_S10_S11_S18_S1C_S1E_T6_T7_T9_mT8_S1G_bDpT10_ENKUlT_T0_E_clISt17integral_constantIbLb0EES1U_EEDaS1P_S1Q_EUlS1P_E_NS1_11comp_targetILNS1_3genE8ELNS1_11target_archE1030ELNS1_3gpuE2ELNS1_3repE0EEENS1_30default_config_static_selectorELNS0_4arch9wavefront6targetE0EEEvS12_.uses_vcc, 1
	.set _ZN7rocprim17ROCPRIM_400000_NS6detail17trampoline_kernelINS0_13select_configILj256ELj13ELNS0_17block_load_methodE3ELS4_3ELS4_3ELNS0_20block_scan_algorithmE0ELj4294967295EEENS1_25partition_config_selectorILNS1_17partition_subalgoE4EjNS0_10empty_typeEbEEZZNS1_14partition_implILS8_4ELb0ES6_15HIP_vector_typeIjLj2EENS0_17counting_iteratorIjlEEPS9_SG_NS0_5tupleIJPjSI_NS0_16reverse_iteratorISI_EEEEENSH_IJSG_SG_SG_EEES9_SI_JZNS1_25segmented_radix_sort_implINS0_14default_configELb0EPKfPfPKlPlN2at6native12_GLOBAL__N_18offset_tEEE10hipError_tPvRmT1_PNSt15iterator_traitsIS12_E10value_typeET2_T3_PNS13_IS18_E10value_typeET4_jRbjT5_S1E_jjP12ihipStream_tbEUljE_ZNSN_ISO_Lb0ESQ_SR_ST_SU_SY_EESZ_S10_S11_S12_S16_S17_S18_S1B_S1C_jS1D_jS1E_S1E_jjS1G_bEUljE0_EEESZ_S10_S11_S18_S1C_S1E_T6_T7_T9_mT8_S1G_bDpT10_ENKUlT_T0_E_clISt17integral_constantIbLb0EES1U_EEDaS1P_S1Q_EUlS1P_E_NS1_11comp_targetILNS1_3genE8ELNS1_11target_archE1030ELNS1_3gpuE2ELNS1_3repE0EEENS1_30default_config_static_selectorELNS0_4arch9wavefront6targetE0EEEvS12_.uses_flat_scratch, 0
	.set _ZN7rocprim17ROCPRIM_400000_NS6detail17trampoline_kernelINS0_13select_configILj256ELj13ELNS0_17block_load_methodE3ELS4_3ELS4_3ELNS0_20block_scan_algorithmE0ELj4294967295EEENS1_25partition_config_selectorILNS1_17partition_subalgoE4EjNS0_10empty_typeEbEEZZNS1_14partition_implILS8_4ELb0ES6_15HIP_vector_typeIjLj2EENS0_17counting_iteratorIjlEEPS9_SG_NS0_5tupleIJPjSI_NS0_16reverse_iteratorISI_EEEEENSH_IJSG_SG_SG_EEES9_SI_JZNS1_25segmented_radix_sort_implINS0_14default_configELb0EPKfPfPKlPlN2at6native12_GLOBAL__N_18offset_tEEE10hipError_tPvRmT1_PNSt15iterator_traitsIS12_E10value_typeET2_T3_PNS13_IS18_E10value_typeET4_jRbjT5_S1E_jjP12ihipStream_tbEUljE_ZNSN_ISO_Lb0ESQ_SR_ST_SU_SY_EESZ_S10_S11_S12_S16_S17_S18_S1B_S1C_jS1D_jS1E_S1E_jjS1G_bEUljE0_EEESZ_S10_S11_S18_S1C_S1E_T6_T7_T9_mT8_S1G_bDpT10_ENKUlT_T0_E_clISt17integral_constantIbLb0EES1U_EEDaS1P_S1Q_EUlS1P_E_NS1_11comp_targetILNS1_3genE8ELNS1_11target_archE1030ELNS1_3gpuE2ELNS1_3repE0EEENS1_30default_config_static_selectorELNS0_4arch9wavefront6targetE0EEEvS12_.has_dyn_sized_stack, 0
	.set _ZN7rocprim17ROCPRIM_400000_NS6detail17trampoline_kernelINS0_13select_configILj256ELj13ELNS0_17block_load_methodE3ELS4_3ELS4_3ELNS0_20block_scan_algorithmE0ELj4294967295EEENS1_25partition_config_selectorILNS1_17partition_subalgoE4EjNS0_10empty_typeEbEEZZNS1_14partition_implILS8_4ELb0ES6_15HIP_vector_typeIjLj2EENS0_17counting_iteratorIjlEEPS9_SG_NS0_5tupleIJPjSI_NS0_16reverse_iteratorISI_EEEEENSH_IJSG_SG_SG_EEES9_SI_JZNS1_25segmented_radix_sort_implINS0_14default_configELb0EPKfPfPKlPlN2at6native12_GLOBAL__N_18offset_tEEE10hipError_tPvRmT1_PNSt15iterator_traitsIS12_E10value_typeET2_T3_PNS13_IS18_E10value_typeET4_jRbjT5_S1E_jjP12ihipStream_tbEUljE_ZNSN_ISO_Lb0ESQ_SR_ST_SU_SY_EESZ_S10_S11_S12_S16_S17_S18_S1B_S1C_jS1D_jS1E_S1E_jjS1G_bEUljE0_EEESZ_S10_S11_S18_S1C_S1E_T6_T7_T9_mT8_S1G_bDpT10_ENKUlT_T0_E_clISt17integral_constantIbLb0EES1U_EEDaS1P_S1Q_EUlS1P_E_NS1_11comp_targetILNS1_3genE8ELNS1_11target_archE1030ELNS1_3gpuE2ELNS1_3repE0EEENS1_30default_config_static_selectorELNS0_4arch9wavefront6targetE0EEEvS12_.has_recursion, 0
	.set _ZN7rocprim17ROCPRIM_400000_NS6detail17trampoline_kernelINS0_13select_configILj256ELj13ELNS0_17block_load_methodE3ELS4_3ELS4_3ELNS0_20block_scan_algorithmE0ELj4294967295EEENS1_25partition_config_selectorILNS1_17partition_subalgoE4EjNS0_10empty_typeEbEEZZNS1_14partition_implILS8_4ELb0ES6_15HIP_vector_typeIjLj2EENS0_17counting_iteratorIjlEEPS9_SG_NS0_5tupleIJPjSI_NS0_16reverse_iteratorISI_EEEEENSH_IJSG_SG_SG_EEES9_SI_JZNS1_25segmented_radix_sort_implINS0_14default_configELb0EPKfPfPKlPlN2at6native12_GLOBAL__N_18offset_tEEE10hipError_tPvRmT1_PNSt15iterator_traitsIS12_E10value_typeET2_T3_PNS13_IS18_E10value_typeET4_jRbjT5_S1E_jjP12ihipStream_tbEUljE_ZNSN_ISO_Lb0ESQ_SR_ST_SU_SY_EESZ_S10_S11_S12_S16_S17_S18_S1B_S1C_jS1D_jS1E_S1E_jjS1G_bEUljE0_EEESZ_S10_S11_S18_S1C_S1E_T6_T7_T9_mT8_S1G_bDpT10_ENKUlT_T0_E_clISt17integral_constantIbLb0EES1U_EEDaS1P_S1Q_EUlS1P_E_NS1_11comp_targetILNS1_3genE8ELNS1_11target_archE1030ELNS1_3gpuE2ELNS1_3repE0EEENS1_30default_config_static_selectorELNS0_4arch9wavefront6targetE0EEEvS12_.has_indirect_call, 0
	.section	.AMDGPU.csdata,"",@progbits
; Kernel info:
; codeLenInByte = 16236
; TotalNumSgprs: 61
; NumVgprs: 82
; ScratchSize: 0
; MemoryBound: 0
; FloatMode: 240
; IeeeMode: 1
; LDSByteSize: 13328 bytes/workgroup (compile time only)
; SGPRBlocks: 0
; VGPRBlocks: 10
; NumSGPRsForWavesPerEU: 61
; NumVGPRsForWavesPerEU: 82
; Occupancy: 10
; WaveLimiterHint : 1
; COMPUTE_PGM_RSRC2:SCRATCH_EN: 0
; COMPUTE_PGM_RSRC2:USER_SGPR: 6
; COMPUTE_PGM_RSRC2:TRAP_HANDLER: 0
; COMPUTE_PGM_RSRC2:TGID_X_EN: 1
; COMPUTE_PGM_RSRC2:TGID_Y_EN: 0
; COMPUTE_PGM_RSRC2:TGID_Z_EN: 0
; COMPUTE_PGM_RSRC2:TIDIG_COMP_CNT: 0
	.section	.text._ZN7rocprim17ROCPRIM_400000_NS6detail17trampoline_kernelINS0_13select_configILj256ELj13ELNS0_17block_load_methodE3ELS4_3ELS4_3ELNS0_20block_scan_algorithmE0ELj4294967295EEENS1_25partition_config_selectorILNS1_17partition_subalgoE4EjNS0_10empty_typeEbEEZZNS1_14partition_implILS8_4ELb0ES6_15HIP_vector_typeIjLj2EENS0_17counting_iteratorIjlEEPS9_SG_NS0_5tupleIJPjSI_NS0_16reverse_iteratorISI_EEEEENSH_IJSG_SG_SG_EEES9_SI_JZNS1_25segmented_radix_sort_implINS0_14default_configELb0EPKfPfPKlPlN2at6native12_GLOBAL__N_18offset_tEEE10hipError_tPvRmT1_PNSt15iterator_traitsIS12_E10value_typeET2_T3_PNS13_IS18_E10value_typeET4_jRbjT5_S1E_jjP12ihipStream_tbEUljE_ZNSN_ISO_Lb0ESQ_SR_ST_SU_SY_EESZ_S10_S11_S12_S16_S17_S18_S1B_S1C_jS1D_jS1E_S1E_jjS1G_bEUljE0_EEESZ_S10_S11_S18_S1C_S1E_T6_T7_T9_mT8_S1G_bDpT10_ENKUlT_T0_E_clISt17integral_constantIbLb1EES1U_EEDaS1P_S1Q_EUlS1P_E_NS1_11comp_targetILNS1_3genE0ELNS1_11target_archE4294967295ELNS1_3gpuE0ELNS1_3repE0EEENS1_30default_config_static_selectorELNS0_4arch9wavefront6targetE0EEEvS12_,"axG",@progbits,_ZN7rocprim17ROCPRIM_400000_NS6detail17trampoline_kernelINS0_13select_configILj256ELj13ELNS0_17block_load_methodE3ELS4_3ELS4_3ELNS0_20block_scan_algorithmE0ELj4294967295EEENS1_25partition_config_selectorILNS1_17partition_subalgoE4EjNS0_10empty_typeEbEEZZNS1_14partition_implILS8_4ELb0ES6_15HIP_vector_typeIjLj2EENS0_17counting_iteratorIjlEEPS9_SG_NS0_5tupleIJPjSI_NS0_16reverse_iteratorISI_EEEEENSH_IJSG_SG_SG_EEES9_SI_JZNS1_25segmented_radix_sort_implINS0_14default_configELb0EPKfPfPKlPlN2at6native12_GLOBAL__N_18offset_tEEE10hipError_tPvRmT1_PNSt15iterator_traitsIS12_E10value_typeET2_T3_PNS13_IS18_E10value_typeET4_jRbjT5_S1E_jjP12ihipStream_tbEUljE_ZNSN_ISO_Lb0ESQ_SR_ST_SU_SY_EESZ_S10_S11_S12_S16_S17_S18_S1B_S1C_jS1D_jS1E_S1E_jjS1G_bEUljE0_EEESZ_S10_S11_S18_S1C_S1E_T6_T7_T9_mT8_S1G_bDpT10_ENKUlT_T0_E_clISt17integral_constantIbLb1EES1U_EEDaS1P_S1Q_EUlS1P_E_NS1_11comp_targetILNS1_3genE0ELNS1_11target_archE4294967295ELNS1_3gpuE0ELNS1_3repE0EEENS1_30default_config_static_selectorELNS0_4arch9wavefront6targetE0EEEvS12_,comdat
	.globl	_ZN7rocprim17ROCPRIM_400000_NS6detail17trampoline_kernelINS0_13select_configILj256ELj13ELNS0_17block_load_methodE3ELS4_3ELS4_3ELNS0_20block_scan_algorithmE0ELj4294967295EEENS1_25partition_config_selectorILNS1_17partition_subalgoE4EjNS0_10empty_typeEbEEZZNS1_14partition_implILS8_4ELb0ES6_15HIP_vector_typeIjLj2EENS0_17counting_iteratorIjlEEPS9_SG_NS0_5tupleIJPjSI_NS0_16reverse_iteratorISI_EEEEENSH_IJSG_SG_SG_EEES9_SI_JZNS1_25segmented_radix_sort_implINS0_14default_configELb0EPKfPfPKlPlN2at6native12_GLOBAL__N_18offset_tEEE10hipError_tPvRmT1_PNSt15iterator_traitsIS12_E10value_typeET2_T3_PNS13_IS18_E10value_typeET4_jRbjT5_S1E_jjP12ihipStream_tbEUljE_ZNSN_ISO_Lb0ESQ_SR_ST_SU_SY_EESZ_S10_S11_S12_S16_S17_S18_S1B_S1C_jS1D_jS1E_S1E_jjS1G_bEUljE0_EEESZ_S10_S11_S18_S1C_S1E_T6_T7_T9_mT8_S1G_bDpT10_ENKUlT_T0_E_clISt17integral_constantIbLb1EES1U_EEDaS1P_S1Q_EUlS1P_E_NS1_11comp_targetILNS1_3genE0ELNS1_11target_archE4294967295ELNS1_3gpuE0ELNS1_3repE0EEENS1_30default_config_static_selectorELNS0_4arch9wavefront6targetE0EEEvS12_ ; -- Begin function _ZN7rocprim17ROCPRIM_400000_NS6detail17trampoline_kernelINS0_13select_configILj256ELj13ELNS0_17block_load_methodE3ELS4_3ELS4_3ELNS0_20block_scan_algorithmE0ELj4294967295EEENS1_25partition_config_selectorILNS1_17partition_subalgoE4EjNS0_10empty_typeEbEEZZNS1_14partition_implILS8_4ELb0ES6_15HIP_vector_typeIjLj2EENS0_17counting_iteratorIjlEEPS9_SG_NS0_5tupleIJPjSI_NS0_16reverse_iteratorISI_EEEEENSH_IJSG_SG_SG_EEES9_SI_JZNS1_25segmented_radix_sort_implINS0_14default_configELb0EPKfPfPKlPlN2at6native12_GLOBAL__N_18offset_tEEE10hipError_tPvRmT1_PNSt15iterator_traitsIS12_E10value_typeET2_T3_PNS13_IS18_E10value_typeET4_jRbjT5_S1E_jjP12ihipStream_tbEUljE_ZNSN_ISO_Lb0ESQ_SR_ST_SU_SY_EESZ_S10_S11_S12_S16_S17_S18_S1B_S1C_jS1D_jS1E_S1E_jjS1G_bEUljE0_EEESZ_S10_S11_S18_S1C_S1E_T6_T7_T9_mT8_S1G_bDpT10_ENKUlT_T0_E_clISt17integral_constantIbLb1EES1U_EEDaS1P_S1Q_EUlS1P_E_NS1_11comp_targetILNS1_3genE0ELNS1_11target_archE4294967295ELNS1_3gpuE0ELNS1_3repE0EEENS1_30default_config_static_selectorELNS0_4arch9wavefront6targetE0EEEvS12_
	.p2align	8
	.type	_ZN7rocprim17ROCPRIM_400000_NS6detail17trampoline_kernelINS0_13select_configILj256ELj13ELNS0_17block_load_methodE3ELS4_3ELS4_3ELNS0_20block_scan_algorithmE0ELj4294967295EEENS1_25partition_config_selectorILNS1_17partition_subalgoE4EjNS0_10empty_typeEbEEZZNS1_14partition_implILS8_4ELb0ES6_15HIP_vector_typeIjLj2EENS0_17counting_iteratorIjlEEPS9_SG_NS0_5tupleIJPjSI_NS0_16reverse_iteratorISI_EEEEENSH_IJSG_SG_SG_EEES9_SI_JZNS1_25segmented_radix_sort_implINS0_14default_configELb0EPKfPfPKlPlN2at6native12_GLOBAL__N_18offset_tEEE10hipError_tPvRmT1_PNSt15iterator_traitsIS12_E10value_typeET2_T3_PNS13_IS18_E10value_typeET4_jRbjT5_S1E_jjP12ihipStream_tbEUljE_ZNSN_ISO_Lb0ESQ_SR_ST_SU_SY_EESZ_S10_S11_S12_S16_S17_S18_S1B_S1C_jS1D_jS1E_S1E_jjS1G_bEUljE0_EEESZ_S10_S11_S18_S1C_S1E_T6_T7_T9_mT8_S1G_bDpT10_ENKUlT_T0_E_clISt17integral_constantIbLb1EES1U_EEDaS1P_S1Q_EUlS1P_E_NS1_11comp_targetILNS1_3genE0ELNS1_11target_archE4294967295ELNS1_3gpuE0ELNS1_3repE0EEENS1_30default_config_static_selectorELNS0_4arch9wavefront6targetE0EEEvS12_,@function
_ZN7rocprim17ROCPRIM_400000_NS6detail17trampoline_kernelINS0_13select_configILj256ELj13ELNS0_17block_load_methodE3ELS4_3ELS4_3ELNS0_20block_scan_algorithmE0ELj4294967295EEENS1_25partition_config_selectorILNS1_17partition_subalgoE4EjNS0_10empty_typeEbEEZZNS1_14partition_implILS8_4ELb0ES6_15HIP_vector_typeIjLj2EENS0_17counting_iteratorIjlEEPS9_SG_NS0_5tupleIJPjSI_NS0_16reverse_iteratorISI_EEEEENSH_IJSG_SG_SG_EEES9_SI_JZNS1_25segmented_radix_sort_implINS0_14default_configELb0EPKfPfPKlPlN2at6native12_GLOBAL__N_18offset_tEEE10hipError_tPvRmT1_PNSt15iterator_traitsIS12_E10value_typeET2_T3_PNS13_IS18_E10value_typeET4_jRbjT5_S1E_jjP12ihipStream_tbEUljE_ZNSN_ISO_Lb0ESQ_SR_ST_SU_SY_EESZ_S10_S11_S12_S16_S17_S18_S1B_S1C_jS1D_jS1E_S1E_jjS1G_bEUljE0_EEESZ_S10_S11_S18_S1C_S1E_T6_T7_T9_mT8_S1G_bDpT10_ENKUlT_T0_E_clISt17integral_constantIbLb1EES1U_EEDaS1P_S1Q_EUlS1P_E_NS1_11comp_targetILNS1_3genE0ELNS1_11target_archE4294967295ELNS1_3gpuE0ELNS1_3repE0EEENS1_30default_config_static_selectorELNS0_4arch9wavefront6targetE0EEEvS12_: ; @_ZN7rocprim17ROCPRIM_400000_NS6detail17trampoline_kernelINS0_13select_configILj256ELj13ELNS0_17block_load_methodE3ELS4_3ELS4_3ELNS0_20block_scan_algorithmE0ELj4294967295EEENS1_25partition_config_selectorILNS1_17partition_subalgoE4EjNS0_10empty_typeEbEEZZNS1_14partition_implILS8_4ELb0ES6_15HIP_vector_typeIjLj2EENS0_17counting_iteratorIjlEEPS9_SG_NS0_5tupleIJPjSI_NS0_16reverse_iteratorISI_EEEEENSH_IJSG_SG_SG_EEES9_SI_JZNS1_25segmented_radix_sort_implINS0_14default_configELb0EPKfPfPKlPlN2at6native12_GLOBAL__N_18offset_tEEE10hipError_tPvRmT1_PNSt15iterator_traitsIS12_E10value_typeET2_T3_PNS13_IS18_E10value_typeET4_jRbjT5_S1E_jjP12ihipStream_tbEUljE_ZNSN_ISO_Lb0ESQ_SR_ST_SU_SY_EESZ_S10_S11_S12_S16_S17_S18_S1B_S1C_jS1D_jS1E_S1E_jjS1G_bEUljE0_EEESZ_S10_S11_S18_S1C_S1E_T6_T7_T9_mT8_S1G_bDpT10_ENKUlT_T0_E_clISt17integral_constantIbLb1EES1U_EEDaS1P_S1Q_EUlS1P_E_NS1_11comp_targetILNS1_3genE0ELNS1_11target_archE4294967295ELNS1_3gpuE0ELNS1_3repE0EEENS1_30default_config_static_selectorELNS0_4arch9wavefront6targetE0EEEvS12_
; %bb.0:
	.section	.rodata,"a",@progbits
	.p2align	6, 0x0
	.amdhsa_kernel _ZN7rocprim17ROCPRIM_400000_NS6detail17trampoline_kernelINS0_13select_configILj256ELj13ELNS0_17block_load_methodE3ELS4_3ELS4_3ELNS0_20block_scan_algorithmE0ELj4294967295EEENS1_25partition_config_selectorILNS1_17partition_subalgoE4EjNS0_10empty_typeEbEEZZNS1_14partition_implILS8_4ELb0ES6_15HIP_vector_typeIjLj2EENS0_17counting_iteratorIjlEEPS9_SG_NS0_5tupleIJPjSI_NS0_16reverse_iteratorISI_EEEEENSH_IJSG_SG_SG_EEES9_SI_JZNS1_25segmented_radix_sort_implINS0_14default_configELb0EPKfPfPKlPlN2at6native12_GLOBAL__N_18offset_tEEE10hipError_tPvRmT1_PNSt15iterator_traitsIS12_E10value_typeET2_T3_PNS13_IS18_E10value_typeET4_jRbjT5_S1E_jjP12ihipStream_tbEUljE_ZNSN_ISO_Lb0ESQ_SR_ST_SU_SY_EESZ_S10_S11_S12_S16_S17_S18_S1B_S1C_jS1D_jS1E_S1E_jjS1G_bEUljE0_EEESZ_S10_S11_S18_S1C_S1E_T6_T7_T9_mT8_S1G_bDpT10_ENKUlT_T0_E_clISt17integral_constantIbLb1EES1U_EEDaS1P_S1Q_EUlS1P_E_NS1_11comp_targetILNS1_3genE0ELNS1_11target_archE4294967295ELNS1_3gpuE0ELNS1_3repE0EEENS1_30default_config_static_selectorELNS0_4arch9wavefront6targetE0EEEvS12_
		.amdhsa_group_segment_fixed_size 0
		.amdhsa_private_segment_fixed_size 0
		.amdhsa_kernarg_size 184
		.amdhsa_user_sgpr_count 6
		.amdhsa_user_sgpr_private_segment_buffer 1
		.amdhsa_user_sgpr_dispatch_ptr 0
		.amdhsa_user_sgpr_queue_ptr 0
		.amdhsa_user_sgpr_kernarg_segment_ptr 1
		.amdhsa_user_sgpr_dispatch_id 0
		.amdhsa_user_sgpr_flat_scratch_init 0
		.amdhsa_user_sgpr_private_segment_size 0
		.amdhsa_wavefront_size32 1
		.amdhsa_uses_dynamic_stack 0
		.amdhsa_system_sgpr_private_segment_wavefront_offset 0
		.amdhsa_system_sgpr_workgroup_id_x 1
		.amdhsa_system_sgpr_workgroup_id_y 0
		.amdhsa_system_sgpr_workgroup_id_z 0
		.amdhsa_system_sgpr_workgroup_info 0
		.amdhsa_system_vgpr_workitem_id 0
		.amdhsa_next_free_vgpr 1
		.amdhsa_next_free_sgpr 1
		.amdhsa_reserve_vcc 0
		.amdhsa_reserve_flat_scratch 0
		.amdhsa_float_round_mode_32 0
		.amdhsa_float_round_mode_16_64 0
		.amdhsa_float_denorm_mode_32 3
		.amdhsa_float_denorm_mode_16_64 3
		.amdhsa_dx10_clamp 1
		.amdhsa_ieee_mode 1
		.amdhsa_fp16_overflow 0
		.amdhsa_workgroup_processor_mode 1
		.amdhsa_memory_ordered 1
		.amdhsa_forward_progress 1
		.amdhsa_shared_vgpr_count 0
		.amdhsa_exception_fp_ieee_invalid_op 0
		.amdhsa_exception_fp_denorm_src 0
		.amdhsa_exception_fp_ieee_div_zero 0
		.amdhsa_exception_fp_ieee_overflow 0
		.amdhsa_exception_fp_ieee_underflow 0
		.amdhsa_exception_fp_ieee_inexact 0
		.amdhsa_exception_int_div_zero 0
	.end_amdhsa_kernel
	.section	.text._ZN7rocprim17ROCPRIM_400000_NS6detail17trampoline_kernelINS0_13select_configILj256ELj13ELNS0_17block_load_methodE3ELS4_3ELS4_3ELNS0_20block_scan_algorithmE0ELj4294967295EEENS1_25partition_config_selectorILNS1_17partition_subalgoE4EjNS0_10empty_typeEbEEZZNS1_14partition_implILS8_4ELb0ES6_15HIP_vector_typeIjLj2EENS0_17counting_iteratorIjlEEPS9_SG_NS0_5tupleIJPjSI_NS0_16reverse_iteratorISI_EEEEENSH_IJSG_SG_SG_EEES9_SI_JZNS1_25segmented_radix_sort_implINS0_14default_configELb0EPKfPfPKlPlN2at6native12_GLOBAL__N_18offset_tEEE10hipError_tPvRmT1_PNSt15iterator_traitsIS12_E10value_typeET2_T3_PNS13_IS18_E10value_typeET4_jRbjT5_S1E_jjP12ihipStream_tbEUljE_ZNSN_ISO_Lb0ESQ_SR_ST_SU_SY_EESZ_S10_S11_S12_S16_S17_S18_S1B_S1C_jS1D_jS1E_S1E_jjS1G_bEUljE0_EEESZ_S10_S11_S18_S1C_S1E_T6_T7_T9_mT8_S1G_bDpT10_ENKUlT_T0_E_clISt17integral_constantIbLb1EES1U_EEDaS1P_S1Q_EUlS1P_E_NS1_11comp_targetILNS1_3genE0ELNS1_11target_archE4294967295ELNS1_3gpuE0ELNS1_3repE0EEENS1_30default_config_static_selectorELNS0_4arch9wavefront6targetE0EEEvS12_,"axG",@progbits,_ZN7rocprim17ROCPRIM_400000_NS6detail17trampoline_kernelINS0_13select_configILj256ELj13ELNS0_17block_load_methodE3ELS4_3ELS4_3ELNS0_20block_scan_algorithmE0ELj4294967295EEENS1_25partition_config_selectorILNS1_17partition_subalgoE4EjNS0_10empty_typeEbEEZZNS1_14partition_implILS8_4ELb0ES6_15HIP_vector_typeIjLj2EENS0_17counting_iteratorIjlEEPS9_SG_NS0_5tupleIJPjSI_NS0_16reverse_iteratorISI_EEEEENSH_IJSG_SG_SG_EEES9_SI_JZNS1_25segmented_radix_sort_implINS0_14default_configELb0EPKfPfPKlPlN2at6native12_GLOBAL__N_18offset_tEEE10hipError_tPvRmT1_PNSt15iterator_traitsIS12_E10value_typeET2_T3_PNS13_IS18_E10value_typeET4_jRbjT5_S1E_jjP12ihipStream_tbEUljE_ZNSN_ISO_Lb0ESQ_SR_ST_SU_SY_EESZ_S10_S11_S12_S16_S17_S18_S1B_S1C_jS1D_jS1E_S1E_jjS1G_bEUljE0_EEESZ_S10_S11_S18_S1C_S1E_T6_T7_T9_mT8_S1G_bDpT10_ENKUlT_T0_E_clISt17integral_constantIbLb1EES1U_EEDaS1P_S1Q_EUlS1P_E_NS1_11comp_targetILNS1_3genE0ELNS1_11target_archE4294967295ELNS1_3gpuE0ELNS1_3repE0EEENS1_30default_config_static_selectorELNS0_4arch9wavefront6targetE0EEEvS12_,comdat
.Lfunc_end1364:
	.size	_ZN7rocprim17ROCPRIM_400000_NS6detail17trampoline_kernelINS0_13select_configILj256ELj13ELNS0_17block_load_methodE3ELS4_3ELS4_3ELNS0_20block_scan_algorithmE0ELj4294967295EEENS1_25partition_config_selectorILNS1_17partition_subalgoE4EjNS0_10empty_typeEbEEZZNS1_14partition_implILS8_4ELb0ES6_15HIP_vector_typeIjLj2EENS0_17counting_iteratorIjlEEPS9_SG_NS0_5tupleIJPjSI_NS0_16reverse_iteratorISI_EEEEENSH_IJSG_SG_SG_EEES9_SI_JZNS1_25segmented_radix_sort_implINS0_14default_configELb0EPKfPfPKlPlN2at6native12_GLOBAL__N_18offset_tEEE10hipError_tPvRmT1_PNSt15iterator_traitsIS12_E10value_typeET2_T3_PNS13_IS18_E10value_typeET4_jRbjT5_S1E_jjP12ihipStream_tbEUljE_ZNSN_ISO_Lb0ESQ_SR_ST_SU_SY_EESZ_S10_S11_S12_S16_S17_S18_S1B_S1C_jS1D_jS1E_S1E_jjS1G_bEUljE0_EEESZ_S10_S11_S18_S1C_S1E_T6_T7_T9_mT8_S1G_bDpT10_ENKUlT_T0_E_clISt17integral_constantIbLb1EES1U_EEDaS1P_S1Q_EUlS1P_E_NS1_11comp_targetILNS1_3genE0ELNS1_11target_archE4294967295ELNS1_3gpuE0ELNS1_3repE0EEENS1_30default_config_static_selectorELNS0_4arch9wavefront6targetE0EEEvS12_, .Lfunc_end1364-_ZN7rocprim17ROCPRIM_400000_NS6detail17trampoline_kernelINS0_13select_configILj256ELj13ELNS0_17block_load_methodE3ELS4_3ELS4_3ELNS0_20block_scan_algorithmE0ELj4294967295EEENS1_25partition_config_selectorILNS1_17partition_subalgoE4EjNS0_10empty_typeEbEEZZNS1_14partition_implILS8_4ELb0ES6_15HIP_vector_typeIjLj2EENS0_17counting_iteratorIjlEEPS9_SG_NS0_5tupleIJPjSI_NS0_16reverse_iteratorISI_EEEEENSH_IJSG_SG_SG_EEES9_SI_JZNS1_25segmented_radix_sort_implINS0_14default_configELb0EPKfPfPKlPlN2at6native12_GLOBAL__N_18offset_tEEE10hipError_tPvRmT1_PNSt15iterator_traitsIS12_E10value_typeET2_T3_PNS13_IS18_E10value_typeET4_jRbjT5_S1E_jjP12ihipStream_tbEUljE_ZNSN_ISO_Lb0ESQ_SR_ST_SU_SY_EESZ_S10_S11_S12_S16_S17_S18_S1B_S1C_jS1D_jS1E_S1E_jjS1G_bEUljE0_EEESZ_S10_S11_S18_S1C_S1E_T6_T7_T9_mT8_S1G_bDpT10_ENKUlT_T0_E_clISt17integral_constantIbLb1EES1U_EEDaS1P_S1Q_EUlS1P_E_NS1_11comp_targetILNS1_3genE0ELNS1_11target_archE4294967295ELNS1_3gpuE0ELNS1_3repE0EEENS1_30default_config_static_selectorELNS0_4arch9wavefront6targetE0EEEvS12_
                                        ; -- End function
	.set _ZN7rocprim17ROCPRIM_400000_NS6detail17trampoline_kernelINS0_13select_configILj256ELj13ELNS0_17block_load_methodE3ELS4_3ELS4_3ELNS0_20block_scan_algorithmE0ELj4294967295EEENS1_25partition_config_selectorILNS1_17partition_subalgoE4EjNS0_10empty_typeEbEEZZNS1_14partition_implILS8_4ELb0ES6_15HIP_vector_typeIjLj2EENS0_17counting_iteratorIjlEEPS9_SG_NS0_5tupleIJPjSI_NS0_16reverse_iteratorISI_EEEEENSH_IJSG_SG_SG_EEES9_SI_JZNS1_25segmented_radix_sort_implINS0_14default_configELb0EPKfPfPKlPlN2at6native12_GLOBAL__N_18offset_tEEE10hipError_tPvRmT1_PNSt15iterator_traitsIS12_E10value_typeET2_T3_PNS13_IS18_E10value_typeET4_jRbjT5_S1E_jjP12ihipStream_tbEUljE_ZNSN_ISO_Lb0ESQ_SR_ST_SU_SY_EESZ_S10_S11_S12_S16_S17_S18_S1B_S1C_jS1D_jS1E_S1E_jjS1G_bEUljE0_EEESZ_S10_S11_S18_S1C_S1E_T6_T7_T9_mT8_S1G_bDpT10_ENKUlT_T0_E_clISt17integral_constantIbLb1EES1U_EEDaS1P_S1Q_EUlS1P_E_NS1_11comp_targetILNS1_3genE0ELNS1_11target_archE4294967295ELNS1_3gpuE0ELNS1_3repE0EEENS1_30default_config_static_selectorELNS0_4arch9wavefront6targetE0EEEvS12_.num_vgpr, 0
	.set _ZN7rocprim17ROCPRIM_400000_NS6detail17trampoline_kernelINS0_13select_configILj256ELj13ELNS0_17block_load_methodE3ELS4_3ELS4_3ELNS0_20block_scan_algorithmE0ELj4294967295EEENS1_25partition_config_selectorILNS1_17partition_subalgoE4EjNS0_10empty_typeEbEEZZNS1_14partition_implILS8_4ELb0ES6_15HIP_vector_typeIjLj2EENS0_17counting_iteratorIjlEEPS9_SG_NS0_5tupleIJPjSI_NS0_16reverse_iteratorISI_EEEEENSH_IJSG_SG_SG_EEES9_SI_JZNS1_25segmented_radix_sort_implINS0_14default_configELb0EPKfPfPKlPlN2at6native12_GLOBAL__N_18offset_tEEE10hipError_tPvRmT1_PNSt15iterator_traitsIS12_E10value_typeET2_T3_PNS13_IS18_E10value_typeET4_jRbjT5_S1E_jjP12ihipStream_tbEUljE_ZNSN_ISO_Lb0ESQ_SR_ST_SU_SY_EESZ_S10_S11_S12_S16_S17_S18_S1B_S1C_jS1D_jS1E_S1E_jjS1G_bEUljE0_EEESZ_S10_S11_S18_S1C_S1E_T6_T7_T9_mT8_S1G_bDpT10_ENKUlT_T0_E_clISt17integral_constantIbLb1EES1U_EEDaS1P_S1Q_EUlS1P_E_NS1_11comp_targetILNS1_3genE0ELNS1_11target_archE4294967295ELNS1_3gpuE0ELNS1_3repE0EEENS1_30default_config_static_selectorELNS0_4arch9wavefront6targetE0EEEvS12_.num_agpr, 0
	.set _ZN7rocprim17ROCPRIM_400000_NS6detail17trampoline_kernelINS0_13select_configILj256ELj13ELNS0_17block_load_methodE3ELS4_3ELS4_3ELNS0_20block_scan_algorithmE0ELj4294967295EEENS1_25partition_config_selectorILNS1_17partition_subalgoE4EjNS0_10empty_typeEbEEZZNS1_14partition_implILS8_4ELb0ES6_15HIP_vector_typeIjLj2EENS0_17counting_iteratorIjlEEPS9_SG_NS0_5tupleIJPjSI_NS0_16reverse_iteratorISI_EEEEENSH_IJSG_SG_SG_EEES9_SI_JZNS1_25segmented_radix_sort_implINS0_14default_configELb0EPKfPfPKlPlN2at6native12_GLOBAL__N_18offset_tEEE10hipError_tPvRmT1_PNSt15iterator_traitsIS12_E10value_typeET2_T3_PNS13_IS18_E10value_typeET4_jRbjT5_S1E_jjP12ihipStream_tbEUljE_ZNSN_ISO_Lb0ESQ_SR_ST_SU_SY_EESZ_S10_S11_S12_S16_S17_S18_S1B_S1C_jS1D_jS1E_S1E_jjS1G_bEUljE0_EEESZ_S10_S11_S18_S1C_S1E_T6_T7_T9_mT8_S1G_bDpT10_ENKUlT_T0_E_clISt17integral_constantIbLb1EES1U_EEDaS1P_S1Q_EUlS1P_E_NS1_11comp_targetILNS1_3genE0ELNS1_11target_archE4294967295ELNS1_3gpuE0ELNS1_3repE0EEENS1_30default_config_static_selectorELNS0_4arch9wavefront6targetE0EEEvS12_.numbered_sgpr, 0
	.set _ZN7rocprim17ROCPRIM_400000_NS6detail17trampoline_kernelINS0_13select_configILj256ELj13ELNS0_17block_load_methodE3ELS4_3ELS4_3ELNS0_20block_scan_algorithmE0ELj4294967295EEENS1_25partition_config_selectorILNS1_17partition_subalgoE4EjNS0_10empty_typeEbEEZZNS1_14partition_implILS8_4ELb0ES6_15HIP_vector_typeIjLj2EENS0_17counting_iteratorIjlEEPS9_SG_NS0_5tupleIJPjSI_NS0_16reverse_iteratorISI_EEEEENSH_IJSG_SG_SG_EEES9_SI_JZNS1_25segmented_radix_sort_implINS0_14default_configELb0EPKfPfPKlPlN2at6native12_GLOBAL__N_18offset_tEEE10hipError_tPvRmT1_PNSt15iterator_traitsIS12_E10value_typeET2_T3_PNS13_IS18_E10value_typeET4_jRbjT5_S1E_jjP12ihipStream_tbEUljE_ZNSN_ISO_Lb0ESQ_SR_ST_SU_SY_EESZ_S10_S11_S12_S16_S17_S18_S1B_S1C_jS1D_jS1E_S1E_jjS1G_bEUljE0_EEESZ_S10_S11_S18_S1C_S1E_T6_T7_T9_mT8_S1G_bDpT10_ENKUlT_T0_E_clISt17integral_constantIbLb1EES1U_EEDaS1P_S1Q_EUlS1P_E_NS1_11comp_targetILNS1_3genE0ELNS1_11target_archE4294967295ELNS1_3gpuE0ELNS1_3repE0EEENS1_30default_config_static_selectorELNS0_4arch9wavefront6targetE0EEEvS12_.num_named_barrier, 0
	.set _ZN7rocprim17ROCPRIM_400000_NS6detail17trampoline_kernelINS0_13select_configILj256ELj13ELNS0_17block_load_methodE3ELS4_3ELS4_3ELNS0_20block_scan_algorithmE0ELj4294967295EEENS1_25partition_config_selectorILNS1_17partition_subalgoE4EjNS0_10empty_typeEbEEZZNS1_14partition_implILS8_4ELb0ES6_15HIP_vector_typeIjLj2EENS0_17counting_iteratorIjlEEPS9_SG_NS0_5tupleIJPjSI_NS0_16reverse_iteratorISI_EEEEENSH_IJSG_SG_SG_EEES9_SI_JZNS1_25segmented_radix_sort_implINS0_14default_configELb0EPKfPfPKlPlN2at6native12_GLOBAL__N_18offset_tEEE10hipError_tPvRmT1_PNSt15iterator_traitsIS12_E10value_typeET2_T3_PNS13_IS18_E10value_typeET4_jRbjT5_S1E_jjP12ihipStream_tbEUljE_ZNSN_ISO_Lb0ESQ_SR_ST_SU_SY_EESZ_S10_S11_S12_S16_S17_S18_S1B_S1C_jS1D_jS1E_S1E_jjS1G_bEUljE0_EEESZ_S10_S11_S18_S1C_S1E_T6_T7_T9_mT8_S1G_bDpT10_ENKUlT_T0_E_clISt17integral_constantIbLb1EES1U_EEDaS1P_S1Q_EUlS1P_E_NS1_11comp_targetILNS1_3genE0ELNS1_11target_archE4294967295ELNS1_3gpuE0ELNS1_3repE0EEENS1_30default_config_static_selectorELNS0_4arch9wavefront6targetE0EEEvS12_.private_seg_size, 0
	.set _ZN7rocprim17ROCPRIM_400000_NS6detail17trampoline_kernelINS0_13select_configILj256ELj13ELNS0_17block_load_methodE3ELS4_3ELS4_3ELNS0_20block_scan_algorithmE0ELj4294967295EEENS1_25partition_config_selectorILNS1_17partition_subalgoE4EjNS0_10empty_typeEbEEZZNS1_14partition_implILS8_4ELb0ES6_15HIP_vector_typeIjLj2EENS0_17counting_iteratorIjlEEPS9_SG_NS0_5tupleIJPjSI_NS0_16reverse_iteratorISI_EEEEENSH_IJSG_SG_SG_EEES9_SI_JZNS1_25segmented_radix_sort_implINS0_14default_configELb0EPKfPfPKlPlN2at6native12_GLOBAL__N_18offset_tEEE10hipError_tPvRmT1_PNSt15iterator_traitsIS12_E10value_typeET2_T3_PNS13_IS18_E10value_typeET4_jRbjT5_S1E_jjP12ihipStream_tbEUljE_ZNSN_ISO_Lb0ESQ_SR_ST_SU_SY_EESZ_S10_S11_S12_S16_S17_S18_S1B_S1C_jS1D_jS1E_S1E_jjS1G_bEUljE0_EEESZ_S10_S11_S18_S1C_S1E_T6_T7_T9_mT8_S1G_bDpT10_ENKUlT_T0_E_clISt17integral_constantIbLb1EES1U_EEDaS1P_S1Q_EUlS1P_E_NS1_11comp_targetILNS1_3genE0ELNS1_11target_archE4294967295ELNS1_3gpuE0ELNS1_3repE0EEENS1_30default_config_static_selectorELNS0_4arch9wavefront6targetE0EEEvS12_.uses_vcc, 0
	.set _ZN7rocprim17ROCPRIM_400000_NS6detail17trampoline_kernelINS0_13select_configILj256ELj13ELNS0_17block_load_methodE3ELS4_3ELS4_3ELNS0_20block_scan_algorithmE0ELj4294967295EEENS1_25partition_config_selectorILNS1_17partition_subalgoE4EjNS0_10empty_typeEbEEZZNS1_14partition_implILS8_4ELb0ES6_15HIP_vector_typeIjLj2EENS0_17counting_iteratorIjlEEPS9_SG_NS0_5tupleIJPjSI_NS0_16reverse_iteratorISI_EEEEENSH_IJSG_SG_SG_EEES9_SI_JZNS1_25segmented_radix_sort_implINS0_14default_configELb0EPKfPfPKlPlN2at6native12_GLOBAL__N_18offset_tEEE10hipError_tPvRmT1_PNSt15iterator_traitsIS12_E10value_typeET2_T3_PNS13_IS18_E10value_typeET4_jRbjT5_S1E_jjP12ihipStream_tbEUljE_ZNSN_ISO_Lb0ESQ_SR_ST_SU_SY_EESZ_S10_S11_S12_S16_S17_S18_S1B_S1C_jS1D_jS1E_S1E_jjS1G_bEUljE0_EEESZ_S10_S11_S18_S1C_S1E_T6_T7_T9_mT8_S1G_bDpT10_ENKUlT_T0_E_clISt17integral_constantIbLb1EES1U_EEDaS1P_S1Q_EUlS1P_E_NS1_11comp_targetILNS1_3genE0ELNS1_11target_archE4294967295ELNS1_3gpuE0ELNS1_3repE0EEENS1_30default_config_static_selectorELNS0_4arch9wavefront6targetE0EEEvS12_.uses_flat_scratch, 0
	.set _ZN7rocprim17ROCPRIM_400000_NS6detail17trampoline_kernelINS0_13select_configILj256ELj13ELNS0_17block_load_methodE3ELS4_3ELS4_3ELNS0_20block_scan_algorithmE0ELj4294967295EEENS1_25partition_config_selectorILNS1_17partition_subalgoE4EjNS0_10empty_typeEbEEZZNS1_14partition_implILS8_4ELb0ES6_15HIP_vector_typeIjLj2EENS0_17counting_iteratorIjlEEPS9_SG_NS0_5tupleIJPjSI_NS0_16reverse_iteratorISI_EEEEENSH_IJSG_SG_SG_EEES9_SI_JZNS1_25segmented_radix_sort_implINS0_14default_configELb0EPKfPfPKlPlN2at6native12_GLOBAL__N_18offset_tEEE10hipError_tPvRmT1_PNSt15iterator_traitsIS12_E10value_typeET2_T3_PNS13_IS18_E10value_typeET4_jRbjT5_S1E_jjP12ihipStream_tbEUljE_ZNSN_ISO_Lb0ESQ_SR_ST_SU_SY_EESZ_S10_S11_S12_S16_S17_S18_S1B_S1C_jS1D_jS1E_S1E_jjS1G_bEUljE0_EEESZ_S10_S11_S18_S1C_S1E_T6_T7_T9_mT8_S1G_bDpT10_ENKUlT_T0_E_clISt17integral_constantIbLb1EES1U_EEDaS1P_S1Q_EUlS1P_E_NS1_11comp_targetILNS1_3genE0ELNS1_11target_archE4294967295ELNS1_3gpuE0ELNS1_3repE0EEENS1_30default_config_static_selectorELNS0_4arch9wavefront6targetE0EEEvS12_.has_dyn_sized_stack, 0
	.set _ZN7rocprim17ROCPRIM_400000_NS6detail17trampoline_kernelINS0_13select_configILj256ELj13ELNS0_17block_load_methodE3ELS4_3ELS4_3ELNS0_20block_scan_algorithmE0ELj4294967295EEENS1_25partition_config_selectorILNS1_17partition_subalgoE4EjNS0_10empty_typeEbEEZZNS1_14partition_implILS8_4ELb0ES6_15HIP_vector_typeIjLj2EENS0_17counting_iteratorIjlEEPS9_SG_NS0_5tupleIJPjSI_NS0_16reverse_iteratorISI_EEEEENSH_IJSG_SG_SG_EEES9_SI_JZNS1_25segmented_radix_sort_implINS0_14default_configELb0EPKfPfPKlPlN2at6native12_GLOBAL__N_18offset_tEEE10hipError_tPvRmT1_PNSt15iterator_traitsIS12_E10value_typeET2_T3_PNS13_IS18_E10value_typeET4_jRbjT5_S1E_jjP12ihipStream_tbEUljE_ZNSN_ISO_Lb0ESQ_SR_ST_SU_SY_EESZ_S10_S11_S12_S16_S17_S18_S1B_S1C_jS1D_jS1E_S1E_jjS1G_bEUljE0_EEESZ_S10_S11_S18_S1C_S1E_T6_T7_T9_mT8_S1G_bDpT10_ENKUlT_T0_E_clISt17integral_constantIbLb1EES1U_EEDaS1P_S1Q_EUlS1P_E_NS1_11comp_targetILNS1_3genE0ELNS1_11target_archE4294967295ELNS1_3gpuE0ELNS1_3repE0EEENS1_30default_config_static_selectorELNS0_4arch9wavefront6targetE0EEEvS12_.has_recursion, 0
	.set _ZN7rocprim17ROCPRIM_400000_NS6detail17trampoline_kernelINS0_13select_configILj256ELj13ELNS0_17block_load_methodE3ELS4_3ELS4_3ELNS0_20block_scan_algorithmE0ELj4294967295EEENS1_25partition_config_selectorILNS1_17partition_subalgoE4EjNS0_10empty_typeEbEEZZNS1_14partition_implILS8_4ELb0ES6_15HIP_vector_typeIjLj2EENS0_17counting_iteratorIjlEEPS9_SG_NS0_5tupleIJPjSI_NS0_16reverse_iteratorISI_EEEEENSH_IJSG_SG_SG_EEES9_SI_JZNS1_25segmented_radix_sort_implINS0_14default_configELb0EPKfPfPKlPlN2at6native12_GLOBAL__N_18offset_tEEE10hipError_tPvRmT1_PNSt15iterator_traitsIS12_E10value_typeET2_T3_PNS13_IS18_E10value_typeET4_jRbjT5_S1E_jjP12ihipStream_tbEUljE_ZNSN_ISO_Lb0ESQ_SR_ST_SU_SY_EESZ_S10_S11_S12_S16_S17_S18_S1B_S1C_jS1D_jS1E_S1E_jjS1G_bEUljE0_EEESZ_S10_S11_S18_S1C_S1E_T6_T7_T9_mT8_S1G_bDpT10_ENKUlT_T0_E_clISt17integral_constantIbLb1EES1U_EEDaS1P_S1Q_EUlS1P_E_NS1_11comp_targetILNS1_3genE0ELNS1_11target_archE4294967295ELNS1_3gpuE0ELNS1_3repE0EEENS1_30default_config_static_selectorELNS0_4arch9wavefront6targetE0EEEvS12_.has_indirect_call, 0
	.section	.AMDGPU.csdata,"",@progbits
; Kernel info:
; codeLenInByte = 0
; TotalNumSgprs: 0
; NumVgprs: 0
; ScratchSize: 0
; MemoryBound: 0
; FloatMode: 240
; IeeeMode: 1
; LDSByteSize: 0 bytes/workgroup (compile time only)
; SGPRBlocks: 0
; VGPRBlocks: 0
; NumSGPRsForWavesPerEU: 1
; NumVGPRsForWavesPerEU: 1
; Occupancy: 16
; WaveLimiterHint : 0
; COMPUTE_PGM_RSRC2:SCRATCH_EN: 0
; COMPUTE_PGM_RSRC2:USER_SGPR: 6
; COMPUTE_PGM_RSRC2:TRAP_HANDLER: 0
; COMPUTE_PGM_RSRC2:TGID_X_EN: 1
; COMPUTE_PGM_RSRC2:TGID_Y_EN: 0
; COMPUTE_PGM_RSRC2:TGID_Z_EN: 0
; COMPUTE_PGM_RSRC2:TIDIG_COMP_CNT: 0
	.section	.text._ZN7rocprim17ROCPRIM_400000_NS6detail17trampoline_kernelINS0_13select_configILj256ELj13ELNS0_17block_load_methodE3ELS4_3ELS4_3ELNS0_20block_scan_algorithmE0ELj4294967295EEENS1_25partition_config_selectorILNS1_17partition_subalgoE4EjNS0_10empty_typeEbEEZZNS1_14partition_implILS8_4ELb0ES6_15HIP_vector_typeIjLj2EENS0_17counting_iteratorIjlEEPS9_SG_NS0_5tupleIJPjSI_NS0_16reverse_iteratorISI_EEEEENSH_IJSG_SG_SG_EEES9_SI_JZNS1_25segmented_radix_sort_implINS0_14default_configELb0EPKfPfPKlPlN2at6native12_GLOBAL__N_18offset_tEEE10hipError_tPvRmT1_PNSt15iterator_traitsIS12_E10value_typeET2_T3_PNS13_IS18_E10value_typeET4_jRbjT5_S1E_jjP12ihipStream_tbEUljE_ZNSN_ISO_Lb0ESQ_SR_ST_SU_SY_EESZ_S10_S11_S12_S16_S17_S18_S1B_S1C_jS1D_jS1E_S1E_jjS1G_bEUljE0_EEESZ_S10_S11_S18_S1C_S1E_T6_T7_T9_mT8_S1G_bDpT10_ENKUlT_T0_E_clISt17integral_constantIbLb1EES1U_EEDaS1P_S1Q_EUlS1P_E_NS1_11comp_targetILNS1_3genE5ELNS1_11target_archE942ELNS1_3gpuE9ELNS1_3repE0EEENS1_30default_config_static_selectorELNS0_4arch9wavefront6targetE0EEEvS12_,"axG",@progbits,_ZN7rocprim17ROCPRIM_400000_NS6detail17trampoline_kernelINS0_13select_configILj256ELj13ELNS0_17block_load_methodE3ELS4_3ELS4_3ELNS0_20block_scan_algorithmE0ELj4294967295EEENS1_25partition_config_selectorILNS1_17partition_subalgoE4EjNS0_10empty_typeEbEEZZNS1_14partition_implILS8_4ELb0ES6_15HIP_vector_typeIjLj2EENS0_17counting_iteratorIjlEEPS9_SG_NS0_5tupleIJPjSI_NS0_16reverse_iteratorISI_EEEEENSH_IJSG_SG_SG_EEES9_SI_JZNS1_25segmented_radix_sort_implINS0_14default_configELb0EPKfPfPKlPlN2at6native12_GLOBAL__N_18offset_tEEE10hipError_tPvRmT1_PNSt15iterator_traitsIS12_E10value_typeET2_T3_PNS13_IS18_E10value_typeET4_jRbjT5_S1E_jjP12ihipStream_tbEUljE_ZNSN_ISO_Lb0ESQ_SR_ST_SU_SY_EESZ_S10_S11_S12_S16_S17_S18_S1B_S1C_jS1D_jS1E_S1E_jjS1G_bEUljE0_EEESZ_S10_S11_S18_S1C_S1E_T6_T7_T9_mT8_S1G_bDpT10_ENKUlT_T0_E_clISt17integral_constantIbLb1EES1U_EEDaS1P_S1Q_EUlS1P_E_NS1_11comp_targetILNS1_3genE5ELNS1_11target_archE942ELNS1_3gpuE9ELNS1_3repE0EEENS1_30default_config_static_selectorELNS0_4arch9wavefront6targetE0EEEvS12_,comdat
	.globl	_ZN7rocprim17ROCPRIM_400000_NS6detail17trampoline_kernelINS0_13select_configILj256ELj13ELNS0_17block_load_methodE3ELS4_3ELS4_3ELNS0_20block_scan_algorithmE0ELj4294967295EEENS1_25partition_config_selectorILNS1_17partition_subalgoE4EjNS0_10empty_typeEbEEZZNS1_14partition_implILS8_4ELb0ES6_15HIP_vector_typeIjLj2EENS0_17counting_iteratorIjlEEPS9_SG_NS0_5tupleIJPjSI_NS0_16reverse_iteratorISI_EEEEENSH_IJSG_SG_SG_EEES9_SI_JZNS1_25segmented_radix_sort_implINS0_14default_configELb0EPKfPfPKlPlN2at6native12_GLOBAL__N_18offset_tEEE10hipError_tPvRmT1_PNSt15iterator_traitsIS12_E10value_typeET2_T3_PNS13_IS18_E10value_typeET4_jRbjT5_S1E_jjP12ihipStream_tbEUljE_ZNSN_ISO_Lb0ESQ_SR_ST_SU_SY_EESZ_S10_S11_S12_S16_S17_S18_S1B_S1C_jS1D_jS1E_S1E_jjS1G_bEUljE0_EEESZ_S10_S11_S18_S1C_S1E_T6_T7_T9_mT8_S1G_bDpT10_ENKUlT_T0_E_clISt17integral_constantIbLb1EES1U_EEDaS1P_S1Q_EUlS1P_E_NS1_11comp_targetILNS1_3genE5ELNS1_11target_archE942ELNS1_3gpuE9ELNS1_3repE0EEENS1_30default_config_static_selectorELNS0_4arch9wavefront6targetE0EEEvS12_ ; -- Begin function _ZN7rocprim17ROCPRIM_400000_NS6detail17trampoline_kernelINS0_13select_configILj256ELj13ELNS0_17block_load_methodE3ELS4_3ELS4_3ELNS0_20block_scan_algorithmE0ELj4294967295EEENS1_25partition_config_selectorILNS1_17partition_subalgoE4EjNS0_10empty_typeEbEEZZNS1_14partition_implILS8_4ELb0ES6_15HIP_vector_typeIjLj2EENS0_17counting_iteratorIjlEEPS9_SG_NS0_5tupleIJPjSI_NS0_16reverse_iteratorISI_EEEEENSH_IJSG_SG_SG_EEES9_SI_JZNS1_25segmented_radix_sort_implINS0_14default_configELb0EPKfPfPKlPlN2at6native12_GLOBAL__N_18offset_tEEE10hipError_tPvRmT1_PNSt15iterator_traitsIS12_E10value_typeET2_T3_PNS13_IS18_E10value_typeET4_jRbjT5_S1E_jjP12ihipStream_tbEUljE_ZNSN_ISO_Lb0ESQ_SR_ST_SU_SY_EESZ_S10_S11_S12_S16_S17_S18_S1B_S1C_jS1D_jS1E_S1E_jjS1G_bEUljE0_EEESZ_S10_S11_S18_S1C_S1E_T6_T7_T9_mT8_S1G_bDpT10_ENKUlT_T0_E_clISt17integral_constantIbLb1EES1U_EEDaS1P_S1Q_EUlS1P_E_NS1_11comp_targetILNS1_3genE5ELNS1_11target_archE942ELNS1_3gpuE9ELNS1_3repE0EEENS1_30default_config_static_selectorELNS0_4arch9wavefront6targetE0EEEvS12_
	.p2align	8
	.type	_ZN7rocprim17ROCPRIM_400000_NS6detail17trampoline_kernelINS0_13select_configILj256ELj13ELNS0_17block_load_methodE3ELS4_3ELS4_3ELNS0_20block_scan_algorithmE0ELj4294967295EEENS1_25partition_config_selectorILNS1_17partition_subalgoE4EjNS0_10empty_typeEbEEZZNS1_14partition_implILS8_4ELb0ES6_15HIP_vector_typeIjLj2EENS0_17counting_iteratorIjlEEPS9_SG_NS0_5tupleIJPjSI_NS0_16reverse_iteratorISI_EEEEENSH_IJSG_SG_SG_EEES9_SI_JZNS1_25segmented_radix_sort_implINS0_14default_configELb0EPKfPfPKlPlN2at6native12_GLOBAL__N_18offset_tEEE10hipError_tPvRmT1_PNSt15iterator_traitsIS12_E10value_typeET2_T3_PNS13_IS18_E10value_typeET4_jRbjT5_S1E_jjP12ihipStream_tbEUljE_ZNSN_ISO_Lb0ESQ_SR_ST_SU_SY_EESZ_S10_S11_S12_S16_S17_S18_S1B_S1C_jS1D_jS1E_S1E_jjS1G_bEUljE0_EEESZ_S10_S11_S18_S1C_S1E_T6_T7_T9_mT8_S1G_bDpT10_ENKUlT_T0_E_clISt17integral_constantIbLb1EES1U_EEDaS1P_S1Q_EUlS1P_E_NS1_11comp_targetILNS1_3genE5ELNS1_11target_archE942ELNS1_3gpuE9ELNS1_3repE0EEENS1_30default_config_static_selectorELNS0_4arch9wavefront6targetE0EEEvS12_,@function
_ZN7rocprim17ROCPRIM_400000_NS6detail17trampoline_kernelINS0_13select_configILj256ELj13ELNS0_17block_load_methodE3ELS4_3ELS4_3ELNS0_20block_scan_algorithmE0ELj4294967295EEENS1_25partition_config_selectorILNS1_17partition_subalgoE4EjNS0_10empty_typeEbEEZZNS1_14partition_implILS8_4ELb0ES6_15HIP_vector_typeIjLj2EENS0_17counting_iteratorIjlEEPS9_SG_NS0_5tupleIJPjSI_NS0_16reverse_iteratorISI_EEEEENSH_IJSG_SG_SG_EEES9_SI_JZNS1_25segmented_radix_sort_implINS0_14default_configELb0EPKfPfPKlPlN2at6native12_GLOBAL__N_18offset_tEEE10hipError_tPvRmT1_PNSt15iterator_traitsIS12_E10value_typeET2_T3_PNS13_IS18_E10value_typeET4_jRbjT5_S1E_jjP12ihipStream_tbEUljE_ZNSN_ISO_Lb0ESQ_SR_ST_SU_SY_EESZ_S10_S11_S12_S16_S17_S18_S1B_S1C_jS1D_jS1E_S1E_jjS1G_bEUljE0_EEESZ_S10_S11_S18_S1C_S1E_T6_T7_T9_mT8_S1G_bDpT10_ENKUlT_T0_E_clISt17integral_constantIbLb1EES1U_EEDaS1P_S1Q_EUlS1P_E_NS1_11comp_targetILNS1_3genE5ELNS1_11target_archE942ELNS1_3gpuE9ELNS1_3repE0EEENS1_30default_config_static_selectorELNS0_4arch9wavefront6targetE0EEEvS12_: ; @_ZN7rocprim17ROCPRIM_400000_NS6detail17trampoline_kernelINS0_13select_configILj256ELj13ELNS0_17block_load_methodE3ELS4_3ELS4_3ELNS0_20block_scan_algorithmE0ELj4294967295EEENS1_25partition_config_selectorILNS1_17partition_subalgoE4EjNS0_10empty_typeEbEEZZNS1_14partition_implILS8_4ELb0ES6_15HIP_vector_typeIjLj2EENS0_17counting_iteratorIjlEEPS9_SG_NS0_5tupleIJPjSI_NS0_16reverse_iteratorISI_EEEEENSH_IJSG_SG_SG_EEES9_SI_JZNS1_25segmented_radix_sort_implINS0_14default_configELb0EPKfPfPKlPlN2at6native12_GLOBAL__N_18offset_tEEE10hipError_tPvRmT1_PNSt15iterator_traitsIS12_E10value_typeET2_T3_PNS13_IS18_E10value_typeET4_jRbjT5_S1E_jjP12ihipStream_tbEUljE_ZNSN_ISO_Lb0ESQ_SR_ST_SU_SY_EESZ_S10_S11_S12_S16_S17_S18_S1B_S1C_jS1D_jS1E_S1E_jjS1G_bEUljE0_EEESZ_S10_S11_S18_S1C_S1E_T6_T7_T9_mT8_S1G_bDpT10_ENKUlT_T0_E_clISt17integral_constantIbLb1EES1U_EEDaS1P_S1Q_EUlS1P_E_NS1_11comp_targetILNS1_3genE5ELNS1_11target_archE942ELNS1_3gpuE9ELNS1_3repE0EEENS1_30default_config_static_selectorELNS0_4arch9wavefront6targetE0EEEvS12_
; %bb.0:
	.section	.rodata,"a",@progbits
	.p2align	6, 0x0
	.amdhsa_kernel _ZN7rocprim17ROCPRIM_400000_NS6detail17trampoline_kernelINS0_13select_configILj256ELj13ELNS0_17block_load_methodE3ELS4_3ELS4_3ELNS0_20block_scan_algorithmE0ELj4294967295EEENS1_25partition_config_selectorILNS1_17partition_subalgoE4EjNS0_10empty_typeEbEEZZNS1_14partition_implILS8_4ELb0ES6_15HIP_vector_typeIjLj2EENS0_17counting_iteratorIjlEEPS9_SG_NS0_5tupleIJPjSI_NS0_16reverse_iteratorISI_EEEEENSH_IJSG_SG_SG_EEES9_SI_JZNS1_25segmented_radix_sort_implINS0_14default_configELb0EPKfPfPKlPlN2at6native12_GLOBAL__N_18offset_tEEE10hipError_tPvRmT1_PNSt15iterator_traitsIS12_E10value_typeET2_T3_PNS13_IS18_E10value_typeET4_jRbjT5_S1E_jjP12ihipStream_tbEUljE_ZNSN_ISO_Lb0ESQ_SR_ST_SU_SY_EESZ_S10_S11_S12_S16_S17_S18_S1B_S1C_jS1D_jS1E_S1E_jjS1G_bEUljE0_EEESZ_S10_S11_S18_S1C_S1E_T6_T7_T9_mT8_S1G_bDpT10_ENKUlT_T0_E_clISt17integral_constantIbLb1EES1U_EEDaS1P_S1Q_EUlS1P_E_NS1_11comp_targetILNS1_3genE5ELNS1_11target_archE942ELNS1_3gpuE9ELNS1_3repE0EEENS1_30default_config_static_selectorELNS0_4arch9wavefront6targetE0EEEvS12_
		.amdhsa_group_segment_fixed_size 0
		.amdhsa_private_segment_fixed_size 0
		.amdhsa_kernarg_size 184
		.amdhsa_user_sgpr_count 6
		.amdhsa_user_sgpr_private_segment_buffer 1
		.amdhsa_user_sgpr_dispatch_ptr 0
		.amdhsa_user_sgpr_queue_ptr 0
		.amdhsa_user_sgpr_kernarg_segment_ptr 1
		.amdhsa_user_sgpr_dispatch_id 0
		.amdhsa_user_sgpr_flat_scratch_init 0
		.amdhsa_user_sgpr_private_segment_size 0
		.amdhsa_wavefront_size32 1
		.amdhsa_uses_dynamic_stack 0
		.amdhsa_system_sgpr_private_segment_wavefront_offset 0
		.amdhsa_system_sgpr_workgroup_id_x 1
		.amdhsa_system_sgpr_workgroup_id_y 0
		.amdhsa_system_sgpr_workgroup_id_z 0
		.amdhsa_system_sgpr_workgroup_info 0
		.amdhsa_system_vgpr_workitem_id 0
		.amdhsa_next_free_vgpr 1
		.amdhsa_next_free_sgpr 1
		.amdhsa_reserve_vcc 0
		.amdhsa_reserve_flat_scratch 0
		.amdhsa_float_round_mode_32 0
		.amdhsa_float_round_mode_16_64 0
		.amdhsa_float_denorm_mode_32 3
		.amdhsa_float_denorm_mode_16_64 3
		.amdhsa_dx10_clamp 1
		.amdhsa_ieee_mode 1
		.amdhsa_fp16_overflow 0
		.amdhsa_workgroup_processor_mode 1
		.amdhsa_memory_ordered 1
		.amdhsa_forward_progress 1
		.amdhsa_shared_vgpr_count 0
		.amdhsa_exception_fp_ieee_invalid_op 0
		.amdhsa_exception_fp_denorm_src 0
		.amdhsa_exception_fp_ieee_div_zero 0
		.amdhsa_exception_fp_ieee_overflow 0
		.amdhsa_exception_fp_ieee_underflow 0
		.amdhsa_exception_fp_ieee_inexact 0
		.amdhsa_exception_int_div_zero 0
	.end_amdhsa_kernel
	.section	.text._ZN7rocprim17ROCPRIM_400000_NS6detail17trampoline_kernelINS0_13select_configILj256ELj13ELNS0_17block_load_methodE3ELS4_3ELS4_3ELNS0_20block_scan_algorithmE0ELj4294967295EEENS1_25partition_config_selectorILNS1_17partition_subalgoE4EjNS0_10empty_typeEbEEZZNS1_14partition_implILS8_4ELb0ES6_15HIP_vector_typeIjLj2EENS0_17counting_iteratorIjlEEPS9_SG_NS0_5tupleIJPjSI_NS0_16reverse_iteratorISI_EEEEENSH_IJSG_SG_SG_EEES9_SI_JZNS1_25segmented_radix_sort_implINS0_14default_configELb0EPKfPfPKlPlN2at6native12_GLOBAL__N_18offset_tEEE10hipError_tPvRmT1_PNSt15iterator_traitsIS12_E10value_typeET2_T3_PNS13_IS18_E10value_typeET4_jRbjT5_S1E_jjP12ihipStream_tbEUljE_ZNSN_ISO_Lb0ESQ_SR_ST_SU_SY_EESZ_S10_S11_S12_S16_S17_S18_S1B_S1C_jS1D_jS1E_S1E_jjS1G_bEUljE0_EEESZ_S10_S11_S18_S1C_S1E_T6_T7_T9_mT8_S1G_bDpT10_ENKUlT_T0_E_clISt17integral_constantIbLb1EES1U_EEDaS1P_S1Q_EUlS1P_E_NS1_11comp_targetILNS1_3genE5ELNS1_11target_archE942ELNS1_3gpuE9ELNS1_3repE0EEENS1_30default_config_static_selectorELNS0_4arch9wavefront6targetE0EEEvS12_,"axG",@progbits,_ZN7rocprim17ROCPRIM_400000_NS6detail17trampoline_kernelINS0_13select_configILj256ELj13ELNS0_17block_load_methodE3ELS4_3ELS4_3ELNS0_20block_scan_algorithmE0ELj4294967295EEENS1_25partition_config_selectorILNS1_17partition_subalgoE4EjNS0_10empty_typeEbEEZZNS1_14partition_implILS8_4ELb0ES6_15HIP_vector_typeIjLj2EENS0_17counting_iteratorIjlEEPS9_SG_NS0_5tupleIJPjSI_NS0_16reverse_iteratorISI_EEEEENSH_IJSG_SG_SG_EEES9_SI_JZNS1_25segmented_radix_sort_implINS0_14default_configELb0EPKfPfPKlPlN2at6native12_GLOBAL__N_18offset_tEEE10hipError_tPvRmT1_PNSt15iterator_traitsIS12_E10value_typeET2_T3_PNS13_IS18_E10value_typeET4_jRbjT5_S1E_jjP12ihipStream_tbEUljE_ZNSN_ISO_Lb0ESQ_SR_ST_SU_SY_EESZ_S10_S11_S12_S16_S17_S18_S1B_S1C_jS1D_jS1E_S1E_jjS1G_bEUljE0_EEESZ_S10_S11_S18_S1C_S1E_T6_T7_T9_mT8_S1G_bDpT10_ENKUlT_T0_E_clISt17integral_constantIbLb1EES1U_EEDaS1P_S1Q_EUlS1P_E_NS1_11comp_targetILNS1_3genE5ELNS1_11target_archE942ELNS1_3gpuE9ELNS1_3repE0EEENS1_30default_config_static_selectorELNS0_4arch9wavefront6targetE0EEEvS12_,comdat
.Lfunc_end1365:
	.size	_ZN7rocprim17ROCPRIM_400000_NS6detail17trampoline_kernelINS0_13select_configILj256ELj13ELNS0_17block_load_methodE3ELS4_3ELS4_3ELNS0_20block_scan_algorithmE0ELj4294967295EEENS1_25partition_config_selectorILNS1_17partition_subalgoE4EjNS0_10empty_typeEbEEZZNS1_14partition_implILS8_4ELb0ES6_15HIP_vector_typeIjLj2EENS0_17counting_iteratorIjlEEPS9_SG_NS0_5tupleIJPjSI_NS0_16reverse_iteratorISI_EEEEENSH_IJSG_SG_SG_EEES9_SI_JZNS1_25segmented_radix_sort_implINS0_14default_configELb0EPKfPfPKlPlN2at6native12_GLOBAL__N_18offset_tEEE10hipError_tPvRmT1_PNSt15iterator_traitsIS12_E10value_typeET2_T3_PNS13_IS18_E10value_typeET4_jRbjT5_S1E_jjP12ihipStream_tbEUljE_ZNSN_ISO_Lb0ESQ_SR_ST_SU_SY_EESZ_S10_S11_S12_S16_S17_S18_S1B_S1C_jS1D_jS1E_S1E_jjS1G_bEUljE0_EEESZ_S10_S11_S18_S1C_S1E_T6_T7_T9_mT8_S1G_bDpT10_ENKUlT_T0_E_clISt17integral_constantIbLb1EES1U_EEDaS1P_S1Q_EUlS1P_E_NS1_11comp_targetILNS1_3genE5ELNS1_11target_archE942ELNS1_3gpuE9ELNS1_3repE0EEENS1_30default_config_static_selectorELNS0_4arch9wavefront6targetE0EEEvS12_, .Lfunc_end1365-_ZN7rocprim17ROCPRIM_400000_NS6detail17trampoline_kernelINS0_13select_configILj256ELj13ELNS0_17block_load_methodE3ELS4_3ELS4_3ELNS0_20block_scan_algorithmE0ELj4294967295EEENS1_25partition_config_selectorILNS1_17partition_subalgoE4EjNS0_10empty_typeEbEEZZNS1_14partition_implILS8_4ELb0ES6_15HIP_vector_typeIjLj2EENS0_17counting_iteratorIjlEEPS9_SG_NS0_5tupleIJPjSI_NS0_16reverse_iteratorISI_EEEEENSH_IJSG_SG_SG_EEES9_SI_JZNS1_25segmented_radix_sort_implINS0_14default_configELb0EPKfPfPKlPlN2at6native12_GLOBAL__N_18offset_tEEE10hipError_tPvRmT1_PNSt15iterator_traitsIS12_E10value_typeET2_T3_PNS13_IS18_E10value_typeET4_jRbjT5_S1E_jjP12ihipStream_tbEUljE_ZNSN_ISO_Lb0ESQ_SR_ST_SU_SY_EESZ_S10_S11_S12_S16_S17_S18_S1B_S1C_jS1D_jS1E_S1E_jjS1G_bEUljE0_EEESZ_S10_S11_S18_S1C_S1E_T6_T7_T9_mT8_S1G_bDpT10_ENKUlT_T0_E_clISt17integral_constantIbLb1EES1U_EEDaS1P_S1Q_EUlS1P_E_NS1_11comp_targetILNS1_3genE5ELNS1_11target_archE942ELNS1_3gpuE9ELNS1_3repE0EEENS1_30default_config_static_selectorELNS0_4arch9wavefront6targetE0EEEvS12_
                                        ; -- End function
	.set _ZN7rocprim17ROCPRIM_400000_NS6detail17trampoline_kernelINS0_13select_configILj256ELj13ELNS0_17block_load_methodE3ELS4_3ELS4_3ELNS0_20block_scan_algorithmE0ELj4294967295EEENS1_25partition_config_selectorILNS1_17partition_subalgoE4EjNS0_10empty_typeEbEEZZNS1_14partition_implILS8_4ELb0ES6_15HIP_vector_typeIjLj2EENS0_17counting_iteratorIjlEEPS9_SG_NS0_5tupleIJPjSI_NS0_16reverse_iteratorISI_EEEEENSH_IJSG_SG_SG_EEES9_SI_JZNS1_25segmented_radix_sort_implINS0_14default_configELb0EPKfPfPKlPlN2at6native12_GLOBAL__N_18offset_tEEE10hipError_tPvRmT1_PNSt15iterator_traitsIS12_E10value_typeET2_T3_PNS13_IS18_E10value_typeET4_jRbjT5_S1E_jjP12ihipStream_tbEUljE_ZNSN_ISO_Lb0ESQ_SR_ST_SU_SY_EESZ_S10_S11_S12_S16_S17_S18_S1B_S1C_jS1D_jS1E_S1E_jjS1G_bEUljE0_EEESZ_S10_S11_S18_S1C_S1E_T6_T7_T9_mT8_S1G_bDpT10_ENKUlT_T0_E_clISt17integral_constantIbLb1EES1U_EEDaS1P_S1Q_EUlS1P_E_NS1_11comp_targetILNS1_3genE5ELNS1_11target_archE942ELNS1_3gpuE9ELNS1_3repE0EEENS1_30default_config_static_selectorELNS0_4arch9wavefront6targetE0EEEvS12_.num_vgpr, 0
	.set _ZN7rocprim17ROCPRIM_400000_NS6detail17trampoline_kernelINS0_13select_configILj256ELj13ELNS0_17block_load_methodE3ELS4_3ELS4_3ELNS0_20block_scan_algorithmE0ELj4294967295EEENS1_25partition_config_selectorILNS1_17partition_subalgoE4EjNS0_10empty_typeEbEEZZNS1_14partition_implILS8_4ELb0ES6_15HIP_vector_typeIjLj2EENS0_17counting_iteratorIjlEEPS9_SG_NS0_5tupleIJPjSI_NS0_16reverse_iteratorISI_EEEEENSH_IJSG_SG_SG_EEES9_SI_JZNS1_25segmented_radix_sort_implINS0_14default_configELb0EPKfPfPKlPlN2at6native12_GLOBAL__N_18offset_tEEE10hipError_tPvRmT1_PNSt15iterator_traitsIS12_E10value_typeET2_T3_PNS13_IS18_E10value_typeET4_jRbjT5_S1E_jjP12ihipStream_tbEUljE_ZNSN_ISO_Lb0ESQ_SR_ST_SU_SY_EESZ_S10_S11_S12_S16_S17_S18_S1B_S1C_jS1D_jS1E_S1E_jjS1G_bEUljE0_EEESZ_S10_S11_S18_S1C_S1E_T6_T7_T9_mT8_S1G_bDpT10_ENKUlT_T0_E_clISt17integral_constantIbLb1EES1U_EEDaS1P_S1Q_EUlS1P_E_NS1_11comp_targetILNS1_3genE5ELNS1_11target_archE942ELNS1_3gpuE9ELNS1_3repE0EEENS1_30default_config_static_selectorELNS0_4arch9wavefront6targetE0EEEvS12_.num_agpr, 0
	.set _ZN7rocprim17ROCPRIM_400000_NS6detail17trampoline_kernelINS0_13select_configILj256ELj13ELNS0_17block_load_methodE3ELS4_3ELS4_3ELNS0_20block_scan_algorithmE0ELj4294967295EEENS1_25partition_config_selectorILNS1_17partition_subalgoE4EjNS0_10empty_typeEbEEZZNS1_14partition_implILS8_4ELb0ES6_15HIP_vector_typeIjLj2EENS0_17counting_iteratorIjlEEPS9_SG_NS0_5tupleIJPjSI_NS0_16reverse_iteratorISI_EEEEENSH_IJSG_SG_SG_EEES9_SI_JZNS1_25segmented_radix_sort_implINS0_14default_configELb0EPKfPfPKlPlN2at6native12_GLOBAL__N_18offset_tEEE10hipError_tPvRmT1_PNSt15iterator_traitsIS12_E10value_typeET2_T3_PNS13_IS18_E10value_typeET4_jRbjT5_S1E_jjP12ihipStream_tbEUljE_ZNSN_ISO_Lb0ESQ_SR_ST_SU_SY_EESZ_S10_S11_S12_S16_S17_S18_S1B_S1C_jS1D_jS1E_S1E_jjS1G_bEUljE0_EEESZ_S10_S11_S18_S1C_S1E_T6_T7_T9_mT8_S1G_bDpT10_ENKUlT_T0_E_clISt17integral_constantIbLb1EES1U_EEDaS1P_S1Q_EUlS1P_E_NS1_11comp_targetILNS1_3genE5ELNS1_11target_archE942ELNS1_3gpuE9ELNS1_3repE0EEENS1_30default_config_static_selectorELNS0_4arch9wavefront6targetE0EEEvS12_.numbered_sgpr, 0
	.set _ZN7rocprim17ROCPRIM_400000_NS6detail17trampoline_kernelINS0_13select_configILj256ELj13ELNS0_17block_load_methodE3ELS4_3ELS4_3ELNS0_20block_scan_algorithmE0ELj4294967295EEENS1_25partition_config_selectorILNS1_17partition_subalgoE4EjNS0_10empty_typeEbEEZZNS1_14partition_implILS8_4ELb0ES6_15HIP_vector_typeIjLj2EENS0_17counting_iteratorIjlEEPS9_SG_NS0_5tupleIJPjSI_NS0_16reverse_iteratorISI_EEEEENSH_IJSG_SG_SG_EEES9_SI_JZNS1_25segmented_radix_sort_implINS0_14default_configELb0EPKfPfPKlPlN2at6native12_GLOBAL__N_18offset_tEEE10hipError_tPvRmT1_PNSt15iterator_traitsIS12_E10value_typeET2_T3_PNS13_IS18_E10value_typeET4_jRbjT5_S1E_jjP12ihipStream_tbEUljE_ZNSN_ISO_Lb0ESQ_SR_ST_SU_SY_EESZ_S10_S11_S12_S16_S17_S18_S1B_S1C_jS1D_jS1E_S1E_jjS1G_bEUljE0_EEESZ_S10_S11_S18_S1C_S1E_T6_T7_T9_mT8_S1G_bDpT10_ENKUlT_T0_E_clISt17integral_constantIbLb1EES1U_EEDaS1P_S1Q_EUlS1P_E_NS1_11comp_targetILNS1_3genE5ELNS1_11target_archE942ELNS1_3gpuE9ELNS1_3repE0EEENS1_30default_config_static_selectorELNS0_4arch9wavefront6targetE0EEEvS12_.num_named_barrier, 0
	.set _ZN7rocprim17ROCPRIM_400000_NS6detail17trampoline_kernelINS0_13select_configILj256ELj13ELNS0_17block_load_methodE3ELS4_3ELS4_3ELNS0_20block_scan_algorithmE0ELj4294967295EEENS1_25partition_config_selectorILNS1_17partition_subalgoE4EjNS0_10empty_typeEbEEZZNS1_14partition_implILS8_4ELb0ES6_15HIP_vector_typeIjLj2EENS0_17counting_iteratorIjlEEPS9_SG_NS0_5tupleIJPjSI_NS0_16reverse_iteratorISI_EEEEENSH_IJSG_SG_SG_EEES9_SI_JZNS1_25segmented_radix_sort_implINS0_14default_configELb0EPKfPfPKlPlN2at6native12_GLOBAL__N_18offset_tEEE10hipError_tPvRmT1_PNSt15iterator_traitsIS12_E10value_typeET2_T3_PNS13_IS18_E10value_typeET4_jRbjT5_S1E_jjP12ihipStream_tbEUljE_ZNSN_ISO_Lb0ESQ_SR_ST_SU_SY_EESZ_S10_S11_S12_S16_S17_S18_S1B_S1C_jS1D_jS1E_S1E_jjS1G_bEUljE0_EEESZ_S10_S11_S18_S1C_S1E_T6_T7_T9_mT8_S1G_bDpT10_ENKUlT_T0_E_clISt17integral_constantIbLb1EES1U_EEDaS1P_S1Q_EUlS1P_E_NS1_11comp_targetILNS1_3genE5ELNS1_11target_archE942ELNS1_3gpuE9ELNS1_3repE0EEENS1_30default_config_static_selectorELNS0_4arch9wavefront6targetE0EEEvS12_.private_seg_size, 0
	.set _ZN7rocprim17ROCPRIM_400000_NS6detail17trampoline_kernelINS0_13select_configILj256ELj13ELNS0_17block_load_methodE3ELS4_3ELS4_3ELNS0_20block_scan_algorithmE0ELj4294967295EEENS1_25partition_config_selectorILNS1_17partition_subalgoE4EjNS0_10empty_typeEbEEZZNS1_14partition_implILS8_4ELb0ES6_15HIP_vector_typeIjLj2EENS0_17counting_iteratorIjlEEPS9_SG_NS0_5tupleIJPjSI_NS0_16reverse_iteratorISI_EEEEENSH_IJSG_SG_SG_EEES9_SI_JZNS1_25segmented_radix_sort_implINS0_14default_configELb0EPKfPfPKlPlN2at6native12_GLOBAL__N_18offset_tEEE10hipError_tPvRmT1_PNSt15iterator_traitsIS12_E10value_typeET2_T3_PNS13_IS18_E10value_typeET4_jRbjT5_S1E_jjP12ihipStream_tbEUljE_ZNSN_ISO_Lb0ESQ_SR_ST_SU_SY_EESZ_S10_S11_S12_S16_S17_S18_S1B_S1C_jS1D_jS1E_S1E_jjS1G_bEUljE0_EEESZ_S10_S11_S18_S1C_S1E_T6_T7_T9_mT8_S1G_bDpT10_ENKUlT_T0_E_clISt17integral_constantIbLb1EES1U_EEDaS1P_S1Q_EUlS1P_E_NS1_11comp_targetILNS1_3genE5ELNS1_11target_archE942ELNS1_3gpuE9ELNS1_3repE0EEENS1_30default_config_static_selectorELNS0_4arch9wavefront6targetE0EEEvS12_.uses_vcc, 0
	.set _ZN7rocprim17ROCPRIM_400000_NS6detail17trampoline_kernelINS0_13select_configILj256ELj13ELNS0_17block_load_methodE3ELS4_3ELS4_3ELNS0_20block_scan_algorithmE0ELj4294967295EEENS1_25partition_config_selectorILNS1_17partition_subalgoE4EjNS0_10empty_typeEbEEZZNS1_14partition_implILS8_4ELb0ES6_15HIP_vector_typeIjLj2EENS0_17counting_iteratorIjlEEPS9_SG_NS0_5tupleIJPjSI_NS0_16reverse_iteratorISI_EEEEENSH_IJSG_SG_SG_EEES9_SI_JZNS1_25segmented_radix_sort_implINS0_14default_configELb0EPKfPfPKlPlN2at6native12_GLOBAL__N_18offset_tEEE10hipError_tPvRmT1_PNSt15iterator_traitsIS12_E10value_typeET2_T3_PNS13_IS18_E10value_typeET4_jRbjT5_S1E_jjP12ihipStream_tbEUljE_ZNSN_ISO_Lb0ESQ_SR_ST_SU_SY_EESZ_S10_S11_S12_S16_S17_S18_S1B_S1C_jS1D_jS1E_S1E_jjS1G_bEUljE0_EEESZ_S10_S11_S18_S1C_S1E_T6_T7_T9_mT8_S1G_bDpT10_ENKUlT_T0_E_clISt17integral_constantIbLb1EES1U_EEDaS1P_S1Q_EUlS1P_E_NS1_11comp_targetILNS1_3genE5ELNS1_11target_archE942ELNS1_3gpuE9ELNS1_3repE0EEENS1_30default_config_static_selectorELNS0_4arch9wavefront6targetE0EEEvS12_.uses_flat_scratch, 0
	.set _ZN7rocprim17ROCPRIM_400000_NS6detail17trampoline_kernelINS0_13select_configILj256ELj13ELNS0_17block_load_methodE3ELS4_3ELS4_3ELNS0_20block_scan_algorithmE0ELj4294967295EEENS1_25partition_config_selectorILNS1_17partition_subalgoE4EjNS0_10empty_typeEbEEZZNS1_14partition_implILS8_4ELb0ES6_15HIP_vector_typeIjLj2EENS0_17counting_iteratorIjlEEPS9_SG_NS0_5tupleIJPjSI_NS0_16reverse_iteratorISI_EEEEENSH_IJSG_SG_SG_EEES9_SI_JZNS1_25segmented_radix_sort_implINS0_14default_configELb0EPKfPfPKlPlN2at6native12_GLOBAL__N_18offset_tEEE10hipError_tPvRmT1_PNSt15iterator_traitsIS12_E10value_typeET2_T3_PNS13_IS18_E10value_typeET4_jRbjT5_S1E_jjP12ihipStream_tbEUljE_ZNSN_ISO_Lb0ESQ_SR_ST_SU_SY_EESZ_S10_S11_S12_S16_S17_S18_S1B_S1C_jS1D_jS1E_S1E_jjS1G_bEUljE0_EEESZ_S10_S11_S18_S1C_S1E_T6_T7_T9_mT8_S1G_bDpT10_ENKUlT_T0_E_clISt17integral_constantIbLb1EES1U_EEDaS1P_S1Q_EUlS1P_E_NS1_11comp_targetILNS1_3genE5ELNS1_11target_archE942ELNS1_3gpuE9ELNS1_3repE0EEENS1_30default_config_static_selectorELNS0_4arch9wavefront6targetE0EEEvS12_.has_dyn_sized_stack, 0
	.set _ZN7rocprim17ROCPRIM_400000_NS6detail17trampoline_kernelINS0_13select_configILj256ELj13ELNS0_17block_load_methodE3ELS4_3ELS4_3ELNS0_20block_scan_algorithmE0ELj4294967295EEENS1_25partition_config_selectorILNS1_17partition_subalgoE4EjNS0_10empty_typeEbEEZZNS1_14partition_implILS8_4ELb0ES6_15HIP_vector_typeIjLj2EENS0_17counting_iteratorIjlEEPS9_SG_NS0_5tupleIJPjSI_NS0_16reverse_iteratorISI_EEEEENSH_IJSG_SG_SG_EEES9_SI_JZNS1_25segmented_radix_sort_implINS0_14default_configELb0EPKfPfPKlPlN2at6native12_GLOBAL__N_18offset_tEEE10hipError_tPvRmT1_PNSt15iterator_traitsIS12_E10value_typeET2_T3_PNS13_IS18_E10value_typeET4_jRbjT5_S1E_jjP12ihipStream_tbEUljE_ZNSN_ISO_Lb0ESQ_SR_ST_SU_SY_EESZ_S10_S11_S12_S16_S17_S18_S1B_S1C_jS1D_jS1E_S1E_jjS1G_bEUljE0_EEESZ_S10_S11_S18_S1C_S1E_T6_T7_T9_mT8_S1G_bDpT10_ENKUlT_T0_E_clISt17integral_constantIbLb1EES1U_EEDaS1P_S1Q_EUlS1P_E_NS1_11comp_targetILNS1_3genE5ELNS1_11target_archE942ELNS1_3gpuE9ELNS1_3repE0EEENS1_30default_config_static_selectorELNS0_4arch9wavefront6targetE0EEEvS12_.has_recursion, 0
	.set _ZN7rocprim17ROCPRIM_400000_NS6detail17trampoline_kernelINS0_13select_configILj256ELj13ELNS0_17block_load_methodE3ELS4_3ELS4_3ELNS0_20block_scan_algorithmE0ELj4294967295EEENS1_25partition_config_selectorILNS1_17partition_subalgoE4EjNS0_10empty_typeEbEEZZNS1_14partition_implILS8_4ELb0ES6_15HIP_vector_typeIjLj2EENS0_17counting_iteratorIjlEEPS9_SG_NS0_5tupleIJPjSI_NS0_16reverse_iteratorISI_EEEEENSH_IJSG_SG_SG_EEES9_SI_JZNS1_25segmented_radix_sort_implINS0_14default_configELb0EPKfPfPKlPlN2at6native12_GLOBAL__N_18offset_tEEE10hipError_tPvRmT1_PNSt15iterator_traitsIS12_E10value_typeET2_T3_PNS13_IS18_E10value_typeET4_jRbjT5_S1E_jjP12ihipStream_tbEUljE_ZNSN_ISO_Lb0ESQ_SR_ST_SU_SY_EESZ_S10_S11_S12_S16_S17_S18_S1B_S1C_jS1D_jS1E_S1E_jjS1G_bEUljE0_EEESZ_S10_S11_S18_S1C_S1E_T6_T7_T9_mT8_S1G_bDpT10_ENKUlT_T0_E_clISt17integral_constantIbLb1EES1U_EEDaS1P_S1Q_EUlS1P_E_NS1_11comp_targetILNS1_3genE5ELNS1_11target_archE942ELNS1_3gpuE9ELNS1_3repE0EEENS1_30default_config_static_selectorELNS0_4arch9wavefront6targetE0EEEvS12_.has_indirect_call, 0
	.section	.AMDGPU.csdata,"",@progbits
; Kernel info:
; codeLenInByte = 0
; TotalNumSgprs: 0
; NumVgprs: 0
; ScratchSize: 0
; MemoryBound: 0
; FloatMode: 240
; IeeeMode: 1
; LDSByteSize: 0 bytes/workgroup (compile time only)
; SGPRBlocks: 0
; VGPRBlocks: 0
; NumSGPRsForWavesPerEU: 1
; NumVGPRsForWavesPerEU: 1
; Occupancy: 16
; WaveLimiterHint : 0
; COMPUTE_PGM_RSRC2:SCRATCH_EN: 0
; COMPUTE_PGM_RSRC2:USER_SGPR: 6
; COMPUTE_PGM_RSRC2:TRAP_HANDLER: 0
; COMPUTE_PGM_RSRC2:TGID_X_EN: 1
; COMPUTE_PGM_RSRC2:TGID_Y_EN: 0
; COMPUTE_PGM_RSRC2:TGID_Z_EN: 0
; COMPUTE_PGM_RSRC2:TIDIG_COMP_CNT: 0
	.section	.text._ZN7rocprim17ROCPRIM_400000_NS6detail17trampoline_kernelINS0_13select_configILj256ELj13ELNS0_17block_load_methodE3ELS4_3ELS4_3ELNS0_20block_scan_algorithmE0ELj4294967295EEENS1_25partition_config_selectorILNS1_17partition_subalgoE4EjNS0_10empty_typeEbEEZZNS1_14partition_implILS8_4ELb0ES6_15HIP_vector_typeIjLj2EENS0_17counting_iteratorIjlEEPS9_SG_NS0_5tupleIJPjSI_NS0_16reverse_iteratorISI_EEEEENSH_IJSG_SG_SG_EEES9_SI_JZNS1_25segmented_radix_sort_implINS0_14default_configELb0EPKfPfPKlPlN2at6native12_GLOBAL__N_18offset_tEEE10hipError_tPvRmT1_PNSt15iterator_traitsIS12_E10value_typeET2_T3_PNS13_IS18_E10value_typeET4_jRbjT5_S1E_jjP12ihipStream_tbEUljE_ZNSN_ISO_Lb0ESQ_SR_ST_SU_SY_EESZ_S10_S11_S12_S16_S17_S18_S1B_S1C_jS1D_jS1E_S1E_jjS1G_bEUljE0_EEESZ_S10_S11_S18_S1C_S1E_T6_T7_T9_mT8_S1G_bDpT10_ENKUlT_T0_E_clISt17integral_constantIbLb1EES1U_EEDaS1P_S1Q_EUlS1P_E_NS1_11comp_targetILNS1_3genE4ELNS1_11target_archE910ELNS1_3gpuE8ELNS1_3repE0EEENS1_30default_config_static_selectorELNS0_4arch9wavefront6targetE0EEEvS12_,"axG",@progbits,_ZN7rocprim17ROCPRIM_400000_NS6detail17trampoline_kernelINS0_13select_configILj256ELj13ELNS0_17block_load_methodE3ELS4_3ELS4_3ELNS0_20block_scan_algorithmE0ELj4294967295EEENS1_25partition_config_selectorILNS1_17partition_subalgoE4EjNS0_10empty_typeEbEEZZNS1_14partition_implILS8_4ELb0ES6_15HIP_vector_typeIjLj2EENS0_17counting_iteratorIjlEEPS9_SG_NS0_5tupleIJPjSI_NS0_16reverse_iteratorISI_EEEEENSH_IJSG_SG_SG_EEES9_SI_JZNS1_25segmented_radix_sort_implINS0_14default_configELb0EPKfPfPKlPlN2at6native12_GLOBAL__N_18offset_tEEE10hipError_tPvRmT1_PNSt15iterator_traitsIS12_E10value_typeET2_T3_PNS13_IS18_E10value_typeET4_jRbjT5_S1E_jjP12ihipStream_tbEUljE_ZNSN_ISO_Lb0ESQ_SR_ST_SU_SY_EESZ_S10_S11_S12_S16_S17_S18_S1B_S1C_jS1D_jS1E_S1E_jjS1G_bEUljE0_EEESZ_S10_S11_S18_S1C_S1E_T6_T7_T9_mT8_S1G_bDpT10_ENKUlT_T0_E_clISt17integral_constantIbLb1EES1U_EEDaS1P_S1Q_EUlS1P_E_NS1_11comp_targetILNS1_3genE4ELNS1_11target_archE910ELNS1_3gpuE8ELNS1_3repE0EEENS1_30default_config_static_selectorELNS0_4arch9wavefront6targetE0EEEvS12_,comdat
	.globl	_ZN7rocprim17ROCPRIM_400000_NS6detail17trampoline_kernelINS0_13select_configILj256ELj13ELNS0_17block_load_methodE3ELS4_3ELS4_3ELNS0_20block_scan_algorithmE0ELj4294967295EEENS1_25partition_config_selectorILNS1_17partition_subalgoE4EjNS0_10empty_typeEbEEZZNS1_14partition_implILS8_4ELb0ES6_15HIP_vector_typeIjLj2EENS0_17counting_iteratorIjlEEPS9_SG_NS0_5tupleIJPjSI_NS0_16reverse_iteratorISI_EEEEENSH_IJSG_SG_SG_EEES9_SI_JZNS1_25segmented_radix_sort_implINS0_14default_configELb0EPKfPfPKlPlN2at6native12_GLOBAL__N_18offset_tEEE10hipError_tPvRmT1_PNSt15iterator_traitsIS12_E10value_typeET2_T3_PNS13_IS18_E10value_typeET4_jRbjT5_S1E_jjP12ihipStream_tbEUljE_ZNSN_ISO_Lb0ESQ_SR_ST_SU_SY_EESZ_S10_S11_S12_S16_S17_S18_S1B_S1C_jS1D_jS1E_S1E_jjS1G_bEUljE0_EEESZ_S10_S11_S18_S1C_S1E_T6_T7_T9_mT8_S1G_bDpT10_ENKUlT_T0_E_clISt17integral_constantIbLb1EES1U_EEDaS1P_S1Q_EUlS1P_E_NS1_11comp_targetILNS1_3genE4ELNS1_11target_archE910ELNS1_3gpuE8ELNS1_3repE0EEENS1_30default_config_static_selectorELNS0_4arch9wavefront6targetE0EEEvS12_ ; -- Begin function _ZN7rocprim17ROCPRIM_400000_NS6detail17trampoline_kernelINS0_13select_configILj256ELj13ELNS0_17block_load_methodE3ELS4_3ELS4_3ELNS0_20block_scan_algorithmE0ELj4294967295EEENS1_25partition_config_selectorILNS1_17partition_subalgoE4EjNS0_10empty_typeEbEEZZNS1_14partition_implILS8_4ELb0ES6_15HIP_vector_typeIjLj2EENS0_17counting_iteratorIjlEEPS9_SG_NS0_5tupleIJPjSI_NS0_16reverse_iteratorISI_EEEEENSH_IJSG_SG_SG_EEES9_SI_JZNS1_25segmented_radix_sort_implINS0_14default_configELb0EPKfPfPKlPlN2at6native12_GLOBAL__N_18offset_tEEE10hipError_tPvRmT1_PNSt15iterator_traitsIS12_E10value_typeET2_T3_PNS13_IS18_E10value_typeET4_jRbjT5_S1E_jjP12ihipStream_tbEUljE_ZNSN_ISO_Lb0ESQ_SR_ST_SU_SY_EESZ_S10_S11_S12_S16_S17_S18_S1B_S1C_jS1D_jS1E_S1E_jjS1G_bEUljE0_EEESZ_S10_S11_S18_S1C_S1E_T6_T7_T9_mT8_S1G_bDpT10_ENKUlT_T0_E_clISt17integral_constantIbLb1EES1U_EEDaS1P_S1Q_EUlS1P_E_NS1_11comp_targetILNS1_3genE4ELNS1_11target_archE910ELNS1_3gpuE8ELNS1_3repE0EEENS1_30default_config_static_selectorELNS0_4arch9wavefront6targetE0EEEvS12_
	.p2align	8
	.type	_ZN7rocprim17ROCPRIM_400000_NS6detail17trampoline_kernelINS0_13select_configILj256ELj13ELNS0_17block_load_methodE3ELS4_3ELS4_3ELNS0_20block_scan_algorithmE0ELj4294967295EEENS1_25partition_config_selectorILNS1_17partition_subalgoE4EjNS0_10empty_typeEbEEZZNS1_14partition_implILS8_4ELb0ES6_15HIP_vector_typeIjLj2EENS0_17counting_iteratorIjlEEPS9_SG_NS0_5tupleIJPjSI_NS0_16reverse_iteratorISI_EEEEENSH_IJSG_SG_SG_EEES9_SI_JZNS1_25segmented_radix_sort_implINS0_14default_configELb0EPKfPfPKlPlN2at6native12_GLOBAL__N_18offset_tEEE10hipError_tPvRmT1_PNSt15iterator_traitsIS12_E10value_typeET2_T3_PNS13_IS18_E10value_typeET4_jRbjT5_S1E_jjP12ihipStream_tbEUljE_ZNSN_ISO_Lb0ESQ_SR_ST_SU_SY_EESZ_S10_S11_S12_S16_S17_S18_S1B_S1C_jS1D_jS1E_S1E_jjS1G_bEUljE0_EEESZ_S10_S11_S18_S1C_S1E_T6_T7_T9_mT8_S1G_bDpT10_ENKUlT_T0_E_clISt17integral_constantIbLb1EES1U_EEDaS1P_S1Q_EUlS1P_E_NS1_11comp_targetILNS1_3genE4ELNS1_11target_archE910ELNS1_3gpuE8ELNS1_3repE0EEENS1_30default_config_static_selectorELNS0_4arch9wavefront6targetE0EEEvS12_,@function
_ZN7rocprim17ROCPRIM_400000_NS6detail17trampoline_kernelINS0_13select_configILj256ELj13ELNS0_17block_load_methodE3ELS4_3ELS4_3ELNS0_20block_scan_algorithmE0ELj4294967295EEENS1_25partition_config_selectorILNS1_17partition_subalgoE4EjNS0_10empty_typeEbEEZZNS1_14partition_implILS8_4ELb0ES6_15HIP_vector_typeIjLj2EENS0_17counting_iteratorIjlEEPS9_SG_NS0_5tupleIJPjSI_NS0_16reverse_iteratorISI_EEEEENSH_IJSG_SG_SG_EEES9_SI_JZNS1_25segmented_radix_sort_implINS0_14default_configELb0EPKfPfPKlPlN2at6native12_GLOBAL__N_18offset_tEEE10hipError_tPvRmT1_PNSt15iterator_traitsIS12_E10value_typeET2_T3_PNS13_IS18_E10value_typeET4_jRbjT5_S1E_jjP12ihipStream_tbEUljE_ZNSN_ISO_Lb0ESQ_SR_ST_SU_SY_EESZ_S10_S11_S12_S16_S17_S18_S1B_S1C_jS1D_jS1E_S1E_jjS1G_bEUljE0_EEESZ_S10_S11_S18_S1C_S1E_T6_T7_T9_mT8_S1G_bDpT10_ENKUlT_T0_E_clISt17integral_constantIbLb1EES1U_EEDaS1P_S1Q_EUlS1P_E_NS1_11comp_targetILNS1_3genE4ELNS1_11target_archE910ELNS1_3gpuE8ELNS1_3repE0EEENS1_30default_config_static_selectorELNS0_4arch9wavefront6targetE0EEEvS12_: ; @_ZN7rocprim17ROCPRIM_400000_NS6detail17trampoline_kernelINS0_13select_configILj256ELj13ELNS0_17block_load_methodE3ELS4_3ELS4_3ELNS0_20block_scan_algorithmE0ELj4294967295EEENS1_25partition_config_selectorILNS1_17partition_subalgoE4EjNS0_10empty_typeEbEEZZNS1_14partition_implILS8_4ELb0ES6_15HIP_vector_typeIjLj2EENS0_17counting_iteratorIjlEEPS9_SG_NS0_5tupleIJPjSI_NS0_16reverse_iteratorISI_EEEEENSH_IJSG_SG_SG_EEES9_SI_JZNS1_25segmented_radix_sort_implINS0_14default_configELb0EPKfPfPKlPlN2at6native12_GLOBAL__N_18offset_tEEE10hipError_tPvRmT1_PNSt15iterator_traitsIS12_E10value_typeET2_T3_PNS13_IS18_E10value_typeET4_jRbjT5_S1E_jjP12ihipStream_tbEUljE_ZNSN_ISO_Lb0ESQ_SR_ST_SU_SY_EESZ_S10_S11_S12_S16_S17_S18_S1B_S1C_jS1D_jS1E_S1E_jjS1G_bEUljE0_EEESZ_S10_S11_S18_S1C_S1E_T6_T7_T9_mT8_S1G_bDpT10_ENKUlT_T0_E_clISt17integral_constantIbLb1EES1U_EEDaS1P_S1Q_EUlS1P_E_NS1_11comp_targetILNS1_3genE4ELNS1_11target_archE910ELNS1_3gpuE8ELNS1_3repE0EEENS1_30default_config_static_selectorELNS0_4arch9wavefront6targetE0EEEvS12_
; %bb.0:
	.section	.rodata,"a",@progbits
	.p2align	6, 0x0
	.amdhsa_kernel _ZN7rocprim17ROCPRIM_400000_NS6detail17trampoline_kernelINS0_13select_configILj256ELj13ELNS0_17block_load_methodE3ELS4_3ELS4_3ELNS0_20block_scan_algorithmE0ELj4294967295EEENS1_25partition_config_selectorILNS1_17partition_subalgoE4EjNS0_10empty_typeEbEEZZNS1_14partition_implILS8_4ELb0ES6_15HIP_vector_typeIjLj2EENS0_17counting_iteratorIjlEEPS9_SG_NS0_5tupleIJPjSI_NS0_16reverse_iteratorISI_EEEEENSH_IJSG_SG_SG_EEES9_SI_JZNS1_25segmented_radix_sort_implINS0_14default_configELb0EPKfPfPKlPlN2at6native12_GLOBAL__N_18offset_tEEE10hipError_tPvRmT1_PNSt15iterator_traitsIS12_E10value_typeET2_T3_PNS13_IS18_E10value_typeET4_jRbjT5_S1E_jjP12ihipStream_tbEUljE_ZNSN_ISO_Lb0ESQ_SR_ST_SU_SY_EESZ_S10_S11_S12_S16_S17_S18_S1B_S1C_jS1D_jS1E_S1E_jjS1G_bEUljE0_EEESZ_S10_S11_S18_S1C_S1E_T6_T7_T9_mT8_S1G_bDpT10_ENKUlT_T0_E_clISt17integral_constantIbLb1EES1U_EEDaS1P_S1Q_EUlS1P_E_NS1_11comp_targetILNS1_3genE4ELNS1_11target_archE910ELNS1_3gpuE8ELNS1_3repE0EEENS1_30default_config_static_selectorELNS0_4arch9wavefront6targetE0EEEvS12_
		.amdhsa_group_segment_fixed_size 0
		.amdhsa_private_segment_fixed_size 0
		.amdhsa_kernarg_size 184
		.amdhsa_user_sgpr_count 6
		.amdhsa_user_sgpr_private_segment_buffer 1
		.amdhsa_user_sgpr_dispatch_ptr 0
		.amdhsa_user_sgpr_queue_ptr 0
		.amdhsa_user_sgpr_kernarg_segment_ptr 1
		.amdhsa_user_sgpr_dispatch_id 0
		.amdhsa_user_sgpr_flat_scratch_init 0
		.amdhsa_user_sgpr_private_segment_size 0
		.amdhsa_wavefront_size32 1
		.amdhsa_uses_dynamic_stack 0
		.amdhsa_system_sgpr_private_segment_wavefront_offset 0
		.amdhsa_system_sgpr_workgroup_id_x 1
		.amdhsa_system_sgpr_workgroup_id_y 0
		.amdhsa_system_sgpr_workgroup_id_z 0
		.amdhsa_system_sgpr_workgroup_info 0
		.amdhsa_system_vgpr_workitem_id 0
		.amdhsa_next_free_vgpr 1
		.amdhsa_next_free_sgpr 1
		.amdhsa_reserve_vcc 0
		.amdhsa_reserve_flat_scratch 0
		.amdhsa_float_round_mode_32 0
		.amdhsa_float_round_mode_16_64 0
		.amdhsa_float_denorm_mode_32 3
		.amdhsa_float_denorm_mode_16_64 3
		.amdhsa_dx10_clamp 1
		.amdhsa_ieee_mode 1
		.amdhsa_fp16_overflow 0
		.amdhsa_workgroup_processor_mode 1
		.amdhsa_memory_ordered 1
		.amdhsa_forward_progress 1
		.amdhsa_shared_vgpr_count 0
		.amdhsa_exception_fp_ieee_invalid_op 0
		.amdhsa_exception_fp_denorm_src 0
		.amdhsa_exception_fp_ieee_div_zero 0
		.amdhsa_exception_fp_ieee_overflow 0
		.amdhsa_exception_fp_ieee_underflow 0
		.amdhsa_exception_fp_ieee_inexact 0
		.amdhsa_exception_int_div_zero 0
	.end_amdhsa_kernel
	.section	.text._ZN7rocprim17ROCPRIM_400000_NS6detail17trampoline_kernelINS0_13select_configILj256ELj13ELNS0_17block_load_methodE3ELS4_3ELS4_3ELNS0_20block_scan_algorithmE0ELj4294967295EEENS1_25partition_config_selectorILNS1_17partition_subalgoE4EjNS0_10empty_typeEbEEZZNS1_14partition_implILS8_4ELb0ES6_15HIP_vector_typeIjLj2EENS0_17counting_iteratorIjlEEPS9_SG_NS0_5tupleIJPjSI_NS0_16reverse_iteratorISI_EEEEENSH_IJSG_SG_SG_EEES9_SI_JZNS1_25segmented_radix_sort_implINS0_14default_configELb0EPKfPfPKlPlN2at6native12_GLOBAL__N_18offset_tEEE10hipError_tPvRmT1_PNSt15iterator_traitsIS12_E10value_typeET2_T3_PNS13_IS18_E10value_typeET4_jRbjT5_S1E_jjP12ihipStream_tbEUljE_ZNSN_ISO_Lb0ESQ_SR_ST_SU_SY_EESZ_S10_S11_S12_S16_S17_S18_S1B_S1C_jS1D_jS1E_S1E_jjS1G_bEUljE0_EEESZ_S10_S11_S18_S1C_S1E_T6_T7_T9_mT8_S1G_bDpT10_ENKUlT_T0_E_clISt17integral_constantIbLb1EES1U_EEDaS1P_S1Q_EUlS1P_E_NS1_11comp_targetILNS1_3genE4ELNS1_11target_archE910ELNS1_3gpuE8ELNS1_3repE0EEENS1_30default_config_static_selectorELNS0_4arch9wavefront6targetE0EEEvS12_,"axG",@progbits,_ZN7rocprim17ROCPRIM_400000_NS6detail17trampoline_kernelINS0_13select_configILj256ELj13ELNS0_17block_load_methodE3ELS4_3ELS4_3ELNS0_20block_scan_algorithmE0ELj4294967295EEENS1_25partition_config_selectorILNS1_17partition_subalgoE4EjNS0_10empty_typeEbEEZZNS1_14partition_implILS8_4ELb0ES6_15HIP_vector_typeIjLj2EENS0_17counting_iteratorIjlEEPS9_SG_NS0_5tupleIJPjSI_NS0_16reverse_iteratorISI_EEEEENSH_IJSG_SG_SG_EEES9_SI_JZNS1_25segmented_radix_sort_implINS0_14default_configELb0EPKfPfPKlPlN2at6native12_GLOBAL__N_18offset_tEEE10hipError_tPvRmT1_PNSt15iterator_traitsIS12_E10value_typeET2_T3_PNS13_IS18_E10value_typeET4_jRbjT5_S1E_jjP12ihipStream_tbEUljE_ZNSN_ISO_Lb0ESQ_SR_ST_SU_SY_EESZ_S10_S11_S12_S16_S17_S18_S1B_S1C_jS1D_jS1E_S1E_jjS1G_bEUljE0_EEESZ_S10_S11_S18_S1C_S1E_T6_T7_T9_mT8_S1G_bDpT10_ENKUlT_T0_E_clISt17integral_constantIbLb1EES1U_EEDaS1P_S1Q_EUlS1P_E_NS1_11comp_targetILNS1_3genE4ELNS1_11target_archE910ELNS1_3gpuE8ELNS1_3repE0EEENS1_30default_config_static_selectorELNS0_4arch9wavefront6targetE0EEEvS12_,comdat
.Lfunc_end1366:
	.size	_ZN7rocprim17ROCPRIM_400000_NS6detail17trampoline_kernelINS0_13select_configILj256ELj13ELNS0_17block_load_methodE3ELS4_3ELS4_3ELNS0_20block_scan_algorithmE0ELj4294967295EEENS1_25partition_config_selectorILNS1_17partition_subalgoE4EjNS0_10empty_typeEbEEZZNS1_14partition_implILS8_4ELb0ES6_15HIP_vector_typeIjLj2EENS0_17counting_iteratorIjlEEPS9_SG_NS0_5tupleIJPjSI_NS0_16reverse_iteratorISI_EEEEENSH_IJSG_SG_SG_EEES9_SI_JZNS1_25segmented_radix_sort_implINS0_14default_configELb0EPKfPfPKlPlN2at6native12_GLOBAL__N_18offset_tEEE10hipError_tPvRmT1_PNSt15iterator_traitsIS12_E10value_typeET2_T3_PNS13_IS18_E10value_typeET4_jRbjT5_S1E_jjP12ihipStream_tbEUljE_ZNSN_ISO_Lb0ESQ_SR_ST_SU_SY_EESZ_S10_S11_S12_S16_S17_S18_S1B_S1C_jS1D_jS1E_S1E_jjS1G_bEUljE0_EEESZ_S10_S11_S18_S1C_S1E_T6_T7_T9_mT8_S1G_bDpT10_ENKUlT_T0_E_clISt17integral_constantIbLb1EES1U_EEDaS1P_S1Q_EUlS1P_E_NS1_11comp_targetILNS1_3genE4ELNS1_11target_archE910ELNS1_3gpuE8ELNS1_3repE0EEENS1_30default_config_static_selectorELNS0_4arch9wavefront6targetE0EEEvS12_, .Lfunc_end1366-_ZN7rocprim17ROCPRIM_400000_NS6detail17trampoline_kernelINS0_13select_configILj256ELj13ELNS0_17block_load_methodE3ELS4_3ELS4_3ELNS0_20block_scan_algorithmE0ELj4294967295EEENS1_25partition_config_selectorILNS1_17partition_subalgoE4EjNS0_10empty_typeEbEEZZNS1_14partition_implILS8_4ELb0ES6_15HIP_vector_typeIjLj2EENS0_17counting_iteratorIjlEEPS9_SG_NS0_5tupleIJPjSI_NS0_16reverse_iteratorISI_EEEEENSH_IJSG_SG_SG_EEES9_SI_JZNS1_25segmented_radix_sort_implINS0_14default_configELb0EPKfPfPKlPlN2at6native12_GLOBAL__N_18offset_tEEE10hipError_tPvRmT1_PNSt15iterator_traitsIS12_E10value_typeET2_T3_PNS13_IS18_E10value_typeET4_jRbjT5_S1E_jjP12ihipStream_tbEUljE_ZNSN_ISO_Lb0ESQ_SR_ST_SU_SY_EESZ_S10_S11_S12_S16_S17_S18_S1B_S1C_jS1D_jS1E_S1E_jjS1G_bEUljE0_EEESZ_S10_S11_S18_S1C_S1E_T6_T7_T9_mT8_S1G_bDpT10_ENKUlT_T0_E_clISt17integral_constantIbLb1EES1U_EEDaS1P_S1Q_EUlS1P_E_NS1_11comp_targetILNS1_3genE4ELNS1_11target_archE910ELNS1_3gpuE8ELNS1_3repE0EEENS1_30default_config_static_selectorELNS0_4arch9wavefront6targetE0EEEvS12_
                                        ; -- End function
	.set _ZN7rocprim17ROCPRIM_400000_NS6detail17trampoline_kernelINS0_13select_configILj256ELj13ELNS0_17block_load_methodE3ELS4_3ELS4_3ELNS0_20block_scan_algorithmE0ELj4294967295EEENS1_25partition_config_selectorILNS1_17partition_subalgoE4EjNS0_10empty_typeEbEEZZNS1_14partition_implILS8_4ELb0ES6_15HIP_vector_typeIjLj2EENS0_17counting_iteratorIjlEEPS9_SG_NS0_5tupleIJPjSI_NS0_16reverse_iteratorISI_EEEEENSH_IJSG_SG_SG_EEES9_SI_JZNS1_25segmented_radix_sort_implINS0_14default_configELb0EPKfPfPKlPlN2at6native12_GLOBAL__N_18offset_tEEE10hipError_tPvRmT1_PNSt15iterator_traitsIS12_E10value_typeET2_T3_PNS13_IS18_E10value_typeET4_jRbjT5_S1E_jjP12ihipStream_tbEUljE_ZNSN_ISO_Lb0ESQ_SR_ST_SU_SY_EESZ_S10_S11_S12_S16_S17_S18_S1B_S1C_jS1D_jS1E_S1E_jjS1G_bEUljE0_EEESZ_S10_S11_S18_S1C_S1E_T6_T7_T9_mT8_S1G_bDpT10_ENKUlT_T0_E_clISt17integral_constantIbLb1EES1U_EEDaS1P_S1Q_EUlS1P_E_NS1_11comp_targetILNS1_3genE4ELNS1_11target_archE910ELNS1_3gpuE8ELNS1_3repE0EEENS1_30default_config_static_selectorELNS0_4arch9wavefront6targetE0EEEvS12_.num_vgpr, 0
	.set _ZN7rocprim17ROCPRIM_400000_NS6detail17trampoline_kernelINS0_13select_configILj256ELj13ELNS0_17block_load_methodE3ELS4_3ELS4_3ELNS0_20block_scan_algorithmE0ELj4294967295EEENS1_25partition_config_selectorILNS1_17partition_subalgoE4EjNS0_10empty_typeEbEEZZNS1_14partition_implILS8_4ELb0ES6_15HIP_vector_typeIjLj2EENS0_17counting_iteratorIjlEEPS9_SG_NS0_5tupleIJPjSI_NS0_16reverse_iteratorISI_EEEEENSH_IJSG_SG_SG_EEES9_SI_JZNS1_25segmented_radix_sort_implINS0_14default_configELb0EPKfPfPKlPlN2at6native12_GLOBAL__N_18offset_tEEE10hipError_tPvRmT1_PNSt15iterator_traitsIS12_E10value_typeET2_T3_PNS13_IS18_E10value_typeET4_jRbjT5_S1E_jjP12ihipStream_tbEUljE_ZNSN_ISO_Lb0ESQ_SR_ST_SU_SY_EESZ_S10_S11_S12_S16_S17_S18_S1B_S1C_jS1D_jS1E_S1E_jjS1G_bEUljE0_EEESZ_S10_S11_S18_S1C_S1E_T6_T7_T9_mT8_S1G_bDpT10_ENKUlT_T0_E_clISt17integral_constantIbLb1EES1U_EEDaS1P_S1Q_EUlS1P_E_NS1_11comp_targetILNS1_3genE4ELNS1_11target_archE910ELNS1_3gpuE8ELNS1_3repE0EEENS1_30default_config_static_selectorELNS0_4arch9wavefront6targetE0EEEvS12_.num_agpr, 0
	.set _ZN7rocprim17ROCPRIM_400000_NS6detail17trampoline_kernelINS0_13select_configILj256ELj13ELNS0_17block_load_methodE3ELS4_3ELS4_3ELNS0_20block_scan_algorithmE0ELj4294967295EEENS1_25partition_config_selectorILNS1_17partition_subalgoE4EjNS0_10empty_typeEbEEZZNS1_14partition_implILS8_4ELb0ES6_15HIP_vector_typeIjLj2EENS0_17counting_iteratorIjlEEPS9_SG_NS0_5tupleIJPjSI_NS0_16reverse_iteratorISI_EEEEENSH_IJSG_SG_SG_EEES9_SI_JZNS1_25segmented_radix_sort_implINS0_14default_configELb0EPKfPfPKlPlN2at6native12_GLOBAL__N_18offset_tEEE10hipError_tPvRmT1_PNSt15iterator_traitsIS12_E10value_typeET2_T3_PNS13_IS18_E10value_typeET4_jRbjT5_S1E_jjP12ihipStream_tbEUljE_ZNSN_ISO_Lb0ESQ_SR_ST_SU_SY_EESZ_S10_S11_S12_S16_S17_S18_S1B_S1C_jS1D_jS1E_S1E_jjS1G_bEUljE0_EEESZ_S10_S11_S18_S1C_S1E_T6_T7_T9_mT8_S1G_bDpT10_ENKUlT_T0_E_clISt17integral_constantIbLb1EES1U_EEDaS1P_S1Q_EUlS1P_E_NS1_11comp_targetILNS1_3genE4ELNS1_11target_archE910ELNS1_3gpuE8ELNS1_3repE0EEENS1_30default_config_static_selectorELNS0_4arch9wavefront6targetE0EEEvS12_.numbered_sgpr, 0
	.set _ZN7rocprim17ROCPRIM_400000_NS6detail17trampoline_kernelINS0_13select_configILj256ELj13ELNS0_17block_load_methodE3ELS4_3ELS4_3ELNS0_20block_scan_algorithmE0ELj4294967295EEENS1_25partition_config_selectorILNS1_17partition_subalgoE4EjNS0_10empty_typeEbEEZZNS1_14partition_implILS8_4ELb0ES6_15HIP_vector_typeIjLj2EENS0_17counting_iteratorIjlEEPS9_SG_NS0_5tupleIJPjSI_NS0_16reverse_iteratorISI_EEEEENSH_IJSG_SG_SG_EEES9_SI_JZNS1_25segmented_radix_sort_implINS0_14default_configELb0EPKfPfPKlPlN2at6native12_GLOBAL__N_18offset_tEEE10hipError_tPvRmT1_PNSt15iterator_traitsIS12_E10value_typeET2_T3_PNS13_IS18_E10value_typeET4_jRbjT5_S1E_jjP12ihipStream_tbEUljE_ZNSN_ISO_Lb0ESQ_SR_ST_SU_SY_EESZ_S10_S11_S12_S16_S17_S18_S1B_S1C_jS1D_jS1E_S1E_jjS1G_bEUljE0_EEESZ_S10_S11_S18_S1C_S1E_T6_T7_T9_mT8_S1G_bDpT10_ENKUlT_T0_E_clISt17integral_constantIbLb1EES1U_EEDaS1P_S1Q_EUlS1P_E_NS1_11comp_targetILNS1_3genE4ELNS1_11target_archE910ELNS1_3gpuE8ELNS1_3repE0EEENS1_30default_config_static_selectorELNS0_4arch9wavefront6targetE0EEEvS12_.num_named_barrier, 0
	.set _ZN7rocprim17ROCPRIM_400000_NS6detail17trampoline_kernelINS0_13select_configILj256ELj13ELNS0_17block_load_methodE3ELS4_3ELS4_3ELNS0_20block_scan_algorithmE0ELj4294967295EEENS1_25partition_config_selectorILNS1_17partition_subalgoE4EjNS0_10empty_typeEbEEZZNS1_14partition_implILS8_4ELb0ES6_15HIP_vector_typeIjLj2EENS0_17counting_iteratorIjlEEPS9_SG_NS0_5tupleIJPjSI_NS0_16reverse_iteratorISI_EEEEENSH_IJSG_SG_SG_EEES9_SI_JZNS1_25segmented_radix_sort_implINS0_14default_configELb0EPKfPfPKlPlN2at6native12_GLOBAL__N_18offset_tEEE10hipError_tPvRmT1_PNSt15iterator_traitsIS12_E10value_typeET2_T3_PNS13_IS18_E10value_typeET4_jRbjT5_S1E_jjP12ihipStream_tbEUljE_ZNSN_ISO_Lb0ESQ_SR_ST_SU_SY_EESZ_S10_S11_S12_S16_S17_S18_S1B_S1C_jS1D_jS1E_S1E_jjS1G_bEUljE0_EEESZ_S10_S11_S18_S1C_S1E_T6_T7_T9_mT8_S1G_bDpT10_ENKUlT_T0_E_clISt17integral_constantIbLb1EES1U_EEDaS1P_S1Q_EUlS1P_E_NS1_11comp_targetILNS1_3genE4ELNS1_11target_archE910ELNS1_3gpuE8ELNS1_3repE0EEENS1_30default_config_static_selectorELNS0_4arch9wavefront6targetE0EEEvS12_.private_seg_size, 0
	.set _ZN7rocprim17ROCPRIM_400000_NS6detail17trampoline_kernelINS0_13select_configILj256ELj13ELNS0_17block_load_methodE3ELS4_3ELS4_3ELNS0_20block_scan_algorithmE0ELj4294967295EEENS1_25partition_config_selectorILNS1_17partition_subalgoE4EjNS0_10empty_typeEbEEZZNS1_14partition_implILS8_4ELb0ES6_15HIP_vector_typeIjLj2EENS0_17counting_iteratorIjlEEPS9_SG_NS0_5tupleIJPjSI_NS0_16reverse_iteratorISI_EEEEENSH_IJSG_SG_SG_EEES9_SI_JZNS1_25segmented_radix_sort_implINS0_14default_configELb0EPKfPfPKlPlN2at6native12_GLOBAL__N_18offset_tEEE10hipError_tPvRmT1_PNSt15iterator_traitsIS12_E10value_typeET2_T3_PNS13_IS18_E10value_typeET4_jRbjT5_S1E_jjP12ihipStream_tbEUljE_ZNSN_ISO_Lb0ESQ_SR_ST_SU_SY_EESZ_S10_S11_S12_S16_S17_S18_S1B_S1C_jS1D_jS1E_S1E_jjS1G_bEUljE0_EEESZ_S10_S11_S18_S1C_S1E_T6_T7_T9_mT8_S1G_bDpT10_ENKUlT_T0_E_clISt17integral_constantIbLb1EES1U_EEDaS1P_S1Q_EUlS1P_E_NS1_11comp_targetILNS1_3genE4ELNS1_11target_archE910ELNS1_3gpuE8ELNS1_3repE0EEENS1_30default_config_static_selectorELNS0_4arch9wavefront6targetE0EEEvS12_.uses_vcc, 0
	.set _ZN7rocprim17ROCPRIM_400000_NS6detail17trampoline_kernelINS0_13select_configILj256ELj13ELNS0_17block_load_methodE3ELS4_3ELS4_3ELNS0_20block_scan_algorithmE0ELj4294967295EEENS1_25partition_config_selectorILNS1_17partition_subalgoE4EjNS0_10empty_typeEbEEZZNS1_14partition_implILS8_4ELb0ES6_15HIP_vector_typeIjLj2EENS0_17counting_iteratorIjlEEPS9_SG_NS0_5tupleIJPjSI_NS0_16reverse_iteratorISI_EEEEENSH_IJSG_SG_SG_EEES9_SI_JZNS1_25segmented_radix_sort_implINS0_14default_configELb0EPKfPfPKlPlN2at6native12_GLOBAL__N_18offset_tEEE10hipError_tPvRmT1_PNSt15iterator_traitsIS12_E10value_typeET2_T3_PNS13_IS18_E10value_typeET4_jRbjT5_S1E_jjP12ihipStream_tbEUljE_ZNSN_ISO_Lb0ESQ_SR_ST_SU_SY_EESZ_S10_S11_S12_S16_S17_S18_S1B_S1C_jS1D_jS1E_S1E_jjS1G_bEUljE0_EEESZ_S10_S11_S18_S1C_S1E_T6_T7_T9_mT8_S1G_bDpT10_ENKUlT_T0_E_clISt17integral_constantIbLb1EES1U_EEDaS1P_S1Q_EUlS1P_E_NS1_11comp_targetILNS1_3genE4ELNS1_11target_archE910ELNS1_3gpuE8ELNS1_3repE0EEENS1_30default_config_static_selectorELNS0_4arch9wavefront6targetE0EEEvS12_.uses_flat_scratch, 0
	.set _ZN7rocprim17ROCPRIM_400000_NS6detail17trampoline_kernelINS0_13select_configILj256ELj13ELNS0_17block_load_methodE3ELS4_3ELS4_3ELNS0_20block_scan_algorithmE0ELj4294967295EEENS1_25partition_config_selectorILNS1_17partition_subalgoE4EjNS0_10empty_typeEbEEZZNS1_14partition_implILS8_4ELb0ES6_15HIP_vector_typeIjLj2EENS0_17counting_iteratorIjlEEPS9_SG_NS0_5tupleIJPjSI_NS0_16reverse_iteratorISI_EEEEENSH_IJSG_SG_SG_EEES9_SI_JZNS1_25segmented_radix_sort_implINS0_14default_configELb0EPKfPfPKlPlN2at6native12_GLOBAL__N_18offset_tEEE10hipError_tPvRmT1_PNSt15iterator_traitsIS12_E10value_typeET2_T3_PNS13_IS18_E10value_typeET4_jRbjT5_S1E_jjP12ihipStream_tbEUljE_ZNSN_ISO_Lb0ESQ_SR_ST_SU_SY_EESZ_S10_S11_S12_S16_S17_S18_S1B_S1C_jS1D_jS1E_S1E_jjS1G_bEUljE0_EEESZ_S10_S11_S18_S1C_S1E_T6_T7_T9_mT8_S1G_bDpT10_ENKUlT_T0_E_clISt17integral_constantIbLb1EES1U_EEDaS1P_S1Q_EUlS1P_E_NS1_11comp_targetILNS1_3genE4ELNS1_11target_archE910ELNS1_3gpuE8ELNS1_3repE0EEENS1_30default_config_static_selectorELNS0_4arch9wavefront6targetE0EEEvS12_.has_dyn_sized_stack, 0
	.set _ZN7rocprim17ROCPRIM_400000_NS6detail17trampoline_kernelINS0_13select_configILj256ELj13ELNS0_17block_load_methodE3ELS4_3ELS4_3ELNS0_20block_scan_algorithmE0ELj4294967295EEENS1_25partition_config_selectorILNS1_17partition_subalgoE4EjNS0_10empty_typeEbEEZZNS1_14partition_implILS8_4ELb0ES6_15HIP_vector_typeIjLj2EENS0_17counting_iteratorIjlEEPS9_SG_NS0_5tupleIJPjSI_NS0_16reverse_iteratorISI_EEEEENSH_IJSG_SG_SG_EEES9_SI_JZNS1_25segmented_radix_sort_implINS0_14default_configELb0EPKfPfPKlPlN2at6native12_GLOBAL__N_18offset_tEEE10hipError_tPvRmT1_PNSt15iterator_traitsIS12_E10value_typeET2_T3_PNS13_IS18_E10value_typeET4_jRbjT5_S1E_jjP12ihipStream_tbEUljE_ZNSN_ISO_Lb0ESQ_SR_ST_SU_SY_EESZ_S10_S11_S12_S16_S17_S18_S1B_S1C_jS1D_jS1E_S1E_jjS1G_bEUljE0_EEESZ_S10_S11_S18_S1C_S1E_T6_T7_T9_mT8_S1G_bDpT10_ENKUlT_T0_E_clISt17integral_constantIbLb1EES1U_EEDaS1P_S1Q_EUlS1P_E_NS1_11comp_targetILNS1_3genE4ELNS1_11target_archE910ELNS1_3gpuE8ELNS1_3repE0EEENS1_30default_config_static_selectorELNS0_4arch9wavefront6targetE0EEEvS12_.has_recursion, 0
	.set _ZN7rocprim17ROCPRIM_400000_NS6detail17trampoline_kernelINS0_13select_configILj256ELj13ELNS0_17block_load_methodE3ELS4_3ELS4_3ELNS0_20block_scan_algorithmE0ELj4294967295EEENS1_25partition_config_selectorILNS1_17partition_subalgoE4EjNS0_10empty_typeEbEEZZNS1_14partition_implILS8_4ELb0ES6_15HIP_vector_typeIjLj2EENS0_17counting_iteratorIjlEEPS9_SG_NS0_5tupleIJPjSI_NS0_16reverse_iteratorISI_EEEEENSH_IJSG_SG_SG_EEES9_SI_JZNS1_25segmented_radix_sort_implINS0_14default_configELb0EPKfPfPKlPlN2at6native12_GLOBAL__N_18offset_tEEE10hipError_tPvRmT1_PNSt15iterator_traitsIS12_E10value_typeET2_T3_PNS13_IS18_E10value_typeET4_jRbjT5_S1E_jjP12ihipStream_tbEUljE_ZNSN_ISO_Lb0ESQ_SR_ST_SU_SY_EESZ_S10_S11_S12_S16_S17_S18_S1B_S1C_jS1D_jS1E_S1E_jjS1G_bEUljE0_EEESZ_S10_S11_S18_S1C_S1E_T6_T7_T9_mT8_S1G_bDpT10_ENKUlT_T0_E_clISt17integral_constantIbLb1EES1U_EEDaS1P_S1Q_EUlS1P_E_NS1_11comp_targetILNS1_3genE4ELNS1_11target_archE910ELNS1_3gpuE8ELNS1_3repE0EEENS1_30default_config_static_selectorELNS0_4arch9wavefront6targetE0EEEvS12_.has_indirect_call, 0
	.section	.AMDGPU.csdata,"",@progbits
; Kernel info:
; codeLenInByte = 0
; TotalNumSgprs: 0
; NumVgprs: 0
; ScratchSize: 0
; MemoryBound: 0
; FloatMode: 240
; IeeeMode: 1
; LDSByteSize: 0 bytes/workgroup (compile time only)
; SGPRBlocks: 0
; VGPRBlocks: 0
; NumSGPRsForWavesPerEU: 1
; NumVGPRsForWavesPerEU: 1
; Occupancy: 16
; WaveLimiterHint : 0
; COMPUTE_PGM_RSRC2:SCRATCH_EN: 0
; COMPUTE_PGM_RSRC2:USER_SGPR: 6
; COMPUTE_PGM_RSRC2:TRAP_HANDLER: 0
; COMPUTE_PGM_RSRC2:TGID_X_EN: 1
; COMPUTE_PGM_RSRC2:TGID_Y_EN: 0
; COMPUTE_PGM_RSRC2:TGID_Z_EN: 0
; COMPUTE_PGM_RSRC2:TIDIG_COMP_CNT: 0
	.section	.text._ZN7rocprim17ROCPRIM_400000_NS6detail17trampoline_kernelINS0_13select_configILj256ELj13ELNS0_17block_load_methodE3ELS4_3ELS4_3ELNS0_20block_scan_algorithmE0ELj4294967295EEENS1_25partition_config_selectorILNS1_17partition_subalgoE4EjNS0_10empty_typeEbEEZZNS1_14partition_implILS8_4ELb0ES6_15HIP_vector_typeIjLj2EENS0_17counting_iteratorIjlEEPS9_SG_NS0_5tupleIJPjSI_NS0_16reverse_iteratorISI_EEEEENSH_IJSG_SG_SG_EEES9_SI_JZNS1_25segmented_radix_sort_implINS0_14default_configELb0EPKfPfPKlPlN2at6native12_GLOBAL__N_18offset_tEEE10hipError_tPvRmT1_PNSt15iterator_traitsIS12_E10value_typeET2_T3_PNS13_IS18_E10value_typeET4_jRbjT5_S1E_jjP12ihipStream_tbEUljE_ZNSN_ISO_Lb0ESQ_SR_ST_SU_SY_EESZ_S10_S11_S12_S16_S17_S18_S1B_S1C_jS1D_jS1E_S1E_jjS1G_bEUljE0_EEESZ_S10_S11_S18_S1C_S1E_T6_T7_T9_mT8_S1G_bDpT10_ENKUlT_T0_E_clISt17integral_constantIbLb1EES1U_EEDaS1P_S1Q_EUlS1P_E_NS1_11comp_targetILNS1_3genE3ELNS1_11target_archE908ELNS1_3gpuE7ELNS1_3repE0EEENS1_30default_config_static_selectorELNS0_4arch9wavefront6targetE0EEEvS12_,"axG",@progbits,_ZN7rocprim17ROCPRIM_400000_NS6detail17trampoline_kernelINS0_13select_configILj256ELj13ELNS0_17block_load_methodE3ELS4_3ELS4_3ELNS0_20block_scan_algorithmE0ELj4294967295EEENS1_25partition_config_selectorILNS1_17partition_subalgoE4EjNS0_10empty_typeEbEEZZNS1_14partition_implILS8_4ELb0ES6_15HIP_vector_typeIjLj2EENS0_17counting_iteratorIjlEEPS9_SG_NS0_5tupleIJPjSI_NS0_16reverse_iteratorISI_EEEEENSH_IJSG_SG_SG_EEES9_SI_JZNS1_25segmented_radix_sort_implINS0_14default_configELb0EPKfPfPKlPlN2at6native12_GLOBAL__N_18offset_tEEE10hipError_tPvRmT1_PNSt15iterator_traitsIS12_E10value_typeET2_T3_PNS13_IS18_E10value_typeET4_jRbjT5_S1E_jjP12ihipStream_tbEUljE_ZNSN_ISO_Lb0ESQ_SR_ST_SU_SY_EESZ_S10_S11_S12_S16_S17_S18_S1B_S1C_jS1D_jS1E_S1E_jjS1G_bEUljE0_EEESZ_S10_S11_S18_S1C_S1E_T6_T7_T9_mT8_S1G_bDpT10_ENKUlT_T0_E_clISt17integral_constantIbLb1EES1U_EEDaS1P_S1Q_EUlS1P_E_NS1_11comp_targetILNS1_3genE3ELNS1_11target_archE908ELNS1_3gpuE7ELNS1_3repE0EEENS1_30default_config_static_selectorELNS0_4arch9wavefront6targetE0EEEvS12_,comdat
	.globl	_ZN7rocprim17ROCPRIM_400000_NS6detail17trampoline_kernelINS0_13select_configILj256ELj13ELNS0_17block_load_methodE3ELS4_3ELS4_3ELNS0_20block_scan_algorithmE0ELj4294967295EEENS1_25partition_config_selectorILNS1_17partition_subalgoE4EjNS0_10empty_typeEbEEZZNS1_14partition_implILS8_4ELb0ES6_15HIP_vector_typeIjLj2EENS0_17counting_iteratorIjlEEPS9_SG_NS0_5tupleIJPjSI_NS0_16reverse_iteratorISI_EEEEENSH_IJSG_SG_SG_EEES9_SI_JZNS1_25segmented_radix_sort_implINS0_14default_configELb0EPKfPfPKlPlN2at6native12_GLOBAL__N_18offset_tEEE10hipError_tPvRmT1_PNSt15iterator_traitsIS12_E10value_typeET2_T3_PNS13_IS18_E10value_typeET4_jRbjT5_S1E_jjP12ihipStream_tbEUljE_ZNSN_ISO_Lb0ESQ_SR_ST_SU_SY_EESZ_S10_S11_S12_S16_S17_S18_S1B_S1C_jS1D_jS1E_S1E_jjS1G_bEUljE0_EEESZ_S10_S11_S18_S1C_S1E_T6_T7_T9_mT8_S1G_bDpT10_ENKUlT_T0_E_clISt17integral_constantIbLb1EES1U_EEDaS1P_S1Q_EUlS1P_E_NS1_11comp_targetILNS1_3genE3ELNS1_11target_archE908ELNS1_3gpuE7ELNS1_3repE0EEENS1_30default_config_static_selectorELNS0_4arch9wavefront6targetE0EEEvS12_ ; -- Begin function _ZN7rocprim17ROCPRIM_400000_NS6detail17trampoline_kernelINS0_13select_configILj256ELj13ELNS0_17block_load_methodE3ELS4_3ELS4_3ELNS0_20block_scan_algorithmE0ELj4294967295EEENS1_25partition_config_selectorILNS1_17partition_subalgoE4EjNS0_10empty_typeEbEEZZNS1_14partition_implILS8_4ELb0ES6_15HIP_vector_typeIjLj2EENS0_17counting_iteratorIjlEEPS9_SG_NS0_5tupleIJPjSI_NS0_16reverse_iteratorISI_EEEEENSH_IJSG_SG_SG_EEES9_SI_JZNS1_25segmented_radix_sort_implINS0_14default_configELb0EPKfPfPKlPlN2at6native12_GLOBAL__N_18offset_tEEE10hipError_tPvRmT1_PNSt15iterator_traitsIS12_E10value_typeET2_T3_PNS13_IS18_E10value_typeET4_jRbjT5_S1E_jjP12ihipStream_tbEUljE_ZNSN_ISO_Lb0ESQ_SR_ST_SU_SY_EESZ_S10_S11_S12_S16_S17_S18_S1B_S1C_jS1D_jS1E_S1E_jjS1G_bEUljE0_EEESZ_S10_S11_S18_S1C_S1E_T6_T7_T9_mT8_S1G_bDpT10_ENKUlT_T0_E_clISt17integral_constantIbLb1EES1U_EEDaS1P_S1Q_EUlS1P_E_NS1_11comp_targetILNS1_3genE3ELNS1_11target_archE908ELNS1_3gpuE7ELNS1_3repE0EEENS1_30default_config_static_selectorELNS0_4arch9wavefront6targetE0EEEvS12_
	.p2align	8
	.type	_ZN7rocprim17ROCPRIM_400000_NS6detail17trampoline_kernelINS0_13select_configILj256ELj13ELNS0_17block_load_methodE3ELS4_3ELS4_3ELNS0_20block_scan_algorithmE0ELj4294967295EEENS1_25partition_config_selectorILNS1_17partition_subalgoE4EjNS0_10empty_typeEbEEZZNS1_14partition_implILS8_4ELb0ES6_15HIP_vector_typeIjLj2EENS0_17counting_iteratorIjlEEPS9_SG_NS0_5tupleIJPjSI_NS0_16reverse_iteratorISI_EEEEENSH_IJSG_SG_SG_EEES9_SI_JZNS1_25segmented_radix_sort_implINS0_14default_configELb0EPKfPfPKlPlN2at6native12_GLOBAL__N_18offset_tEEE10hipError_tPvRmT1_PNSt15iterator_traitsIS12_E10value_typeET2_T3_PNS13_IS18_E10value_typeET4_jRbjT5_S1E_jjP12ihipStream_tbEUljE_ZNSN_ISO_Lb0ESQ_SR_ST_SU_SY_EESZ_S10_S11_S12_S16_S17_S18_S1B_S1C_jS1D_jS1E_S1E_jjS1G_bEUljE0_EEESZ_S10_S11_S18_S1C_S1E_T6_T7_T9_mT8_S1G_bDpT10_ENKUlT_T0_E_clISt17integral_constantIbLb1EES1U_EEDaS1P_S1Q_EUlS1P_E_NS1_11comp_targetILNS1_3genE3ELNS1_11target_archE908ELNS1_3gpuE7ELNS1_3repE0EEENS1_30default_config_static_selectorELNS0_4arch9wavefront6targetE0EEEvS12_,@function
_ZN7rocprim17ROCPRIM_400000_NS6detail17trampoline_kernelINS0_13select_configILj256ELj13ELNS0_17block_load_methodE3ELS4_3ELS4_3ELNS0_20block_scan_algorithmE0ELj4294967295EEENS1_25partition_config_selectorILNS1_17partition_subalgoE4EjNS0_10empty_typeEbEEZZNS1_14partition_implILS8_4ELb0ES6_15HIP_vector_typeIjLj2EENS0_17counting_iteratorIjlEEPS9_SG_NS0_5tupleIJPjSI_NS0_16reverse_iteratorISI_EEEEENSH_IJSG_SG_SG_EEES9_SI_JZNS1_25segmented_radix_sort_implINS0_14default_configELb0EPKfPfPKlPlN2at6native12_GLOBAL__N_18offset_tEEE10hipError_tPvRmT1_PNSt15iterator_traitsIS12_E10value_typeET2_T3_PNS13_IS18_E10value_typeET4_jRbjT5_S1E_jjP12ihipStream_tbEUljE_ZNSN_ISO_Lb0ESQ_SR_ST_SU_SY_EESZ_S10_S11_S12_S16_S17_S18_S1B_S1C_jS1D_jS1E_S1E_jjS1G_bEUljE0_EEESZ_S10_S11_S18_S1C_S1E_T6_T7_T9_mT8_S1G_bDpT10_ENKUlT_T0_E_clISt17integral_constantIbLb1EES1U_EEDaS1P_S1Q_EUlS1P_E_NS1_11comp_targetILNS1_3genE3ELNS1_11target_archE908ELNS1_3gpuE7ELNS1_3repE0EEENS1_30default_config_static_selectorELNS0_4arch9wavefront6targetE0EEEvS12_: ; @_ZN7rocprim17ROCPRIM_400000_NS6detail17trampoline_kernelINS0_13select_configILj256ELj13ELNS0_17block_load_methodE3ELS4_3ELS4_3ELNS0_20block_scan_algorithmE0ELj4294967295EEENS1_25partition_config_selectorILNS1_17partition_subalgoE4EjNS0_10empty_typeEbEEZZNS1_14partition_implILS8_4ELb0ES6_15HIP_vector_typeIjLj2EENS0_17counting_iteratorIjlEEPS9_SG_NS0_5tupleIJPjSI_NS0_16reverse_iteratorISI_EEEEENSH_IJSG_SG_SG_EEES9_SI_JZNS1_25segmented_radix_sort_implINS0_14default_configELb0EPKfPfPKlPlN2at6native12_GLOBAL__N_18offset_tEEE10hipError_tPvRmT1_PNSt15iterator_traitsIS12_E10value_typeET2_T3_PNS13_IS18_E10value_typeET4_jRbjT5_S1E_jjP12ihipStream_tbEUljE_ZNSN_ISO_Lb0ESQ_SR_ST_SU_SY_EESZ_S10_S11_S12_S16_S17_S18_S1B_S1C_jS1D_jS1E_S1E_jjS1G_bEUljE0_EEESZ_S10_S11_S18_S1C_S1E_T6_T7_T9_mT8_S1G_bDpT10_ENKUlT_T0_E_clISt17integral_constantIbLb1EES1U_EEDaS1P_S1Q_EUlS1P_E_NS1_11comp_targetILNS1_3genE3ELNS1_11target_archE908ELNS1_3gpuE7ELNS1_3repE0EEENS1_30default_config_static_selectorELNS0_4arch9wavefront6targetE0EEEvS12_
; %bb.0:
	.section	.rodata,"a",@progbits
	.p2align	6, 0x0
	.amdhsa_kernel _ZN7rocprim17ROCPRIM_400000_NS6detail17trampoline_kernelINS0_13select_configILj256ELj13ELNS0_17block_load_methodE3ELS4_3ELS4_3ELNS0_20block_scan_algorithmE0ELj4294967295EEENS1_25partition_config_selectorILNS1_17partition_subalgoE4EjNS0_10empty_typeEbEEZZNS1_14partition_implILS8_4ELb0ES6_15HIP_vector_typeIjLj2EENS0_17counting_iteratorIjlEEPS9_SG_NS0_5tupleIJPjSI_NS0_16reverse_iteratorISI_EEEEENSH_IJSG_SG_SG_EEES9_SI_JZNS1_25segmented_radix_sort_implINS0_14default_configELb0EPKfPfPKlPlN2at6native12_GLOBAL__N_18offset_tEEE10hipError_tPvRmT1_PNSt15iterator_traitsIS12_E10value_typeET2_T3_PNS13_IS18_E10value_typeET4_jRbjT5_S1E_jjP12ihipStream_tbEUljE_ZNSN_ISO_Lb0ESQ_SR_ST_SU_SY_EESZ_S10_S11_S12_S16_S17_S18_S1B_S1C_jS1D_jS1E_S1E_jjS1G_bEUljE0_EEESZ_S10_S11_S18_S1C_S1E_T6_T7_T9_mT8_S1G_bDpT10_ENKUlT_T0_E_clISt17integral_constantIbLb1EES1U_EEDaS1P_S1Q_EUlS1P_E_NS1_11comp_targetILNS1_3genE3ELNS1_11target_archE908ELNS1_3gpuE7ELNS1_3repE0EEENS1_30default_config_static_selectorELNS0_4arch9wavefront6targetE0EEEvS12_
		.amdhsa_group_segment_fixed_size 0
		.amdhsa_private_segment_fixed_size 0
		.amdhsa_kernarg_size 184
		.amdhsa_user_sgpr_count 6
		.amdhsa_user_sgpr_private_segment_buffer 1
		.amdhsa_user_sgpr_dispatch_ptr 0
		.amdhsa_user_sgpr_queue_ptr 0
		.amdhsa_user_sgpr_kernarg_segment_ptr 1
		.amdhsa_user_sgpr_dispatch_id 0
		.amdhsa_user_sgpr_flat_scratch_init 0
		.amdhsa_user_sgpr_private_segment_size 0
		.amdhsa_wavefront_size32 1
		.amdhsa_uses_dynamic_stack 0
		.amdhsa_system_sgpr_private_segment_wavefront_offset 0
		.amdhsa_system_sgpr_workgroup_id_x 1
		.amdhsa_system_sgpr_workgroup_id_y 0
		.amdhsa_system_sgpr_workgroup_id_z 0
		.amdhsa_system_sgpr_workgroup_info 0
		.amdhsa_system_vgpr_workitem_id 0
		.amdhsa_next_free_vgpr 1
		.amdhsa_next_free_sgpr 1
		.amdhsa_reserve_vcc 0
		.amdhsa_reserve_flat_scratch 0
		.amdhsa_float_round_mode_32 0
		.amdhsa_float_round_mode_16_64 0
		.amdhsa_float_denorm_mode_32 3
		.amdhsa_float_denorm_mode_16_64 3
		.amdhsa_dx10_clamp 1
		.amdhsa_ieee_mode 1
		.amdhsa_fp16_overflow 0
		.amdhsa_workgroup_processor_mode 1
		.amdhsa_memory_ordered 1
		.amdhsa_forward_progress 1
		.amdhsa_shared_vgpr_count 0
		.amdhsa_exception_fp_ieee_invalid_op 0
		.amdhsa_exception_fp_denorm_src 0
		.amdhsa_exception_fp_ieee_div_zero 0
		.amdhsa_exception_fp_ieee_overflow 0
		.amdhsa_exception_fp_ieee_underflow 0
		.amdhsa_exception_fp_ieee_inexact 0
		.amdhsa_exception_int_div_zero 0
	.end_amdhsa_kernel
	.section	.text._ZN7rocprim17ROCPRIM_400000_NS6detail17trampoline_kernelINS0_13select_configILj256ELj13ELNS0_17block_load_methodE3ELS4_3ELS4_3ELNS0_20block_scan_algorithmE0ELj4294967295EEENS1_25partition_config_selectorILNS1_17partition_subalgoE4EjNS0_10empty_typeEbEEZZNS1_14partition_implILS8_4ELb0ES6_15HIP_vector_typeIjLj2EENS0_17counting_iteratorIjlEEPS9_SG_NS0_5tupleIJPjSI_NS0_16reverse_iteratorISI_EEEEENSH_IJSG_SG_SG_EEES9_SI_JZNS1_25segmented_radix_sort_implINS0_14default_configELb0EPKfPfPKlPlN2at6native12_GLOBAL__N_18offset_tEEE10hipError_tPvRmT1_PNSt15iterator_traitsIS12_E10value_typeET2_T3_PNS13_IS18_E10value_typeET4_jRbjT5_S1E_jjP12ihipStream_tbEUljE_ZNSN_ISO_Lb0ESQ_SR_ST_SU_SY_EESZ_S10_S11_S12_S16_S17_S18_S1B_S1C_jS1D_jS1E_S1E_jjS1G_bEUljE0_EEESZ_S10_S11_S18_S1C_S1E_T6_T7_T9_mT8_S1G_bDpT10_ENKUlT_T0_E_clISt17integral_constantIbLb1EES1U_EEDaS1P_S1Q_EUlS1P_E_NS1_11comp_targetILNS1_3genE3ELNS1_11target_archE908ELNS1_3gpuE7ELNS1_3repE0EEENS1_30default_config_static_selectorELNS0_4arch9wavefront6targetE0EEEvS12_,"axG",@progbits,_ZN7rocprim17ROCPRIM_400000_NS6detail17trampoline_kernelINS0_13select_configILj256ELj13ELNS0_17block_load_methodE3ELS4_3ELS4_3ELNS0_20block_scan_algorithmE0ELj4294967295EEENS1_25partition_config_selectorILNS1_17partition_subalgoE4EjNS0_10empty_typeEbEEZZNS1_14partition_implILS8_4ELb0ES6_15HIP_vector_typeIjLj2EENS0_17counting_iteratorIjlEEPS9_SG_NS0_5tupleIJPjSI_NS0_16reverse_iteratorISI_EEEEENSH_IJSG_SG_SG_EEES9_SI_JZNS1_25segmented_radix_sort_implINS0_14default_configELb0EPKfPfPKlPlN2at6native12_GLOBAL__N_18offset_tEEE10hipError_tPvRmT1_PNSt15iterator_traitsIS12_E10value_typeET2_T3_PNS13_IS18_E10value_typeET4_jRbjT5_S1E_jjP12ihipStream_tbEUljE_ZNSN_ISO_Lb0ESQ_SR_ST_SU_SY_EESZ_S10_S11_S12_S16_S17_S18_S1B_S1C_jS1D_jS1E_S1E_jjS1G_bEUljE0_EEESZ_S10_S11_S18_S1C_S1E_T6_T7_T9_mT8_S1G_bDpT10_ENKUlT_T0_E_clISt17integral_constantIbLb1EES1U_EEDaS1P_S1Q_EUlS1P_E_NS1_11comp_targetILNS1_3genE3ELNS1_11target_archE908ELNS1_3gpuE7ELNS1_3repE0EEENS1_30default_config_static_selectorELNS0_4arch9wavefront6targetE0EEEvS12_,comdat
.Lfunc_end1367:
	.size	_ZN7rocprim17ROCPRIM_400000_NS6detail17trampoline_kernelINS0_13select_configILj256ELj13ELNS0_17block_load_methodE3ELS4_3ELS4_3ELNS0_20block_scan_algorithmE0ELj4294967295EEENS1_25partition_config_selectorILNS1_17partition_subalgoE4EjNS0_10empty_typeEbEEZZNS1_14partition_implILS8_4ELb0ES6_15HIP_vector_typeIjLj2EENS0_17counting_iteratorIjlEEPS9_SG_NS0_5tupleIJPjSI_NS0_16reverse_iteratorISI_EEEEENSH_IJSG_SG_SG_EEES9_SI_JZNS1_25segmented_radix_sort_implINS0_14default_configELb0EPKfPfPKlPlN2at6native12_GLOBAL__N_18offset_tEEE10hipError_tPvRmT1_PNSt15iterator_traitsIS12_E10value_typeET2_T3_PNS13_IS18_E10value_typeET4_jRbjT5_S1E_jjP12ihipStream_tbEUljE_ZNSN_ISO_Lb0ESQ_SR_ST_SU_SY_EESZ_S10_S11_S12_S16_S17_S18_S1B_S1C_jS1D_jS1E_S1E_jjS1G_bEUljE0_EEESZ_S10_S11_S18_S1C_S1E_T6_T7_T9_mT8_S1G_bDpT10_ENKUlT_T0_E_clISt17integral_constantIbLb1EES1U_EEDaS1P_S1Q_EUlS1P_E_NS1_11comp_targetILNS1_3genE3ELNS1_11target_archE908ELNS1_3gpuE7ELNS1_3repE0EEENS1_30default_config_static_selectorELNS0_4arch9wavefront6targetE0EEEvS12_, .Lfunc_end1367-_ZN7rocprim17ROCPRIM_400000_NS6detail17trampoline_kernelINS0_13select_configILj256ELj13ELNS0_17block_load_methodE3ELS4_3ELS4_3ELNS0_20block_scan_algorithmE0ELj4294967295EEENS1_25partition_config_selectorILNS1_17partition_subalgoE4EjNS0_10empty_typeEbEEZZNS1_14partition_implILS8_4ELb0ES6_15HIP_vector_typeIjLj2EENS0_17counting_iteratorIjlEEPS9_SG_NS0_5tupleIJPjSI_NS0_16reverse_iteratorISI_EEEEENSH_IJSG_SG_SG_EEES9_SI_JZNS1_25segmented_radix_sort_implINS0_14default_configELb0EPKfPfPKlPlN2at6native12_GLOBAL__N_18offset_tEEE10hipError_tPvRmT1_PNSt15iterator_traitsIS12_E10value_typeET2_T3_PNS13_IS18_E10value_typeET4_jRbjT5_S1E_jjP12ihipStream_tbEUljE_ZNSN_ISO_Lb0ESQ_SR_ST_SU_SY_EESZ_S10_S11_S12_S16_S17_S18_S1B_S1C_jS1D_jS1E_S1E_jjS1G_bEUljE0_EEESZ_S10_S11_S18_S1C_S1E_T6_T7_T9_mT8_S1G_bDpT10_ENKUlT_T0_E_clISt17integral_constantIbLb1EES1U_EEDaS1P_S1Q_EUlS1P_E_NS1_11comp_targetILNS1_3genE3ELNS1_11target_archE908ELNS1_3gpuE7ELNS1_3repE0EEENS1_30default_config_static_selectorELNS0_4arch9wavefront6targetE0EEEvS12_
                                        ; -- End function
	.set _ZN7rocprim17ROCPRIM_400000_NS6detail17trampoline_kernelINS0_13select_configILj256ELj13ELNS0_17block_load_methodE3ELS4_3ELS4_3ELNS0_20block_scan_algorithmE0ELj4294967295EEENS1_25partition_config_selectorILNS1_17partition_subalgoE4EjNS0_10empty_typeEbEEZZNS1_14partition_implILS8_4ELb0ES6_15HIP_vector_typeIjLj2EENS0_17counting_iteratorIjlEEPS9_SG_NS0_5tupleIJPjSI_NS0_16reverse_iteratorISI_EEEEENSH_IJSG_SG_SG_EEES9_SI_JZNS1_25segmented_radix_sort_implINS0_14default_configELb0EPKfPfPKlPlN2at6native12_GLOBAL__N_18offset_tEEE10hipError_tPvRmT1_PNSt15iterator_traitsIS12_E10value_typeET2_T3_PNS13_IS18_E10value_typeET4_jRbjT5_S1E_jjP12ihipStream_tbEUljE_ZNSN_ISO_Lb0ESQ_SR_ST_SU_SY_EESZ_S10_S11_S12_S16_S17_S18_S1B_S1C_jS1D_jS1E_S1E_jjS1G_bEUljE0_EEESZ_S10_S11_S18_S1C_S1E_T6_T7_T9_mT8_S1G_bDpT10_ENKUlT_T0_E_clISt17integral_constantIbLb1EES1U_EEDaS1P_S1Q_EUlS1P_E_NS1_11comp_targetILNS1_3genE3ELNS1_11target_archE908ELNS1_3gpuE7ELNS1_3repE0EEENS1_30default_config_static_selectorELNS0_4arch9wavefront6targetE0EEEvS12_.num_vgpr, 0
	.set _ZN7rocprim17ROCPRIM_400000_NS6detail17trampoline_kernelINS0_13select_configILj256ELj13ELNS0_17block_load_methodE3ELS4_3ELS4_3ELNS0_20block_scan_algorithmE0ELj4294967295EEENS1_25partition_config_selectorILNS1_17partition_subalgoE4EjNS0_10empty_typeEbEEZZNS1_14partition_implILS8_4ELb0ES6_15HIP_vector_typeIjLj2EENS0_17counting_iteratorIjlEEPS9_SG_NS0_5tupleIJPjSI_NS0_16reverse_iteratorISI_EEEEENSH_IJSG_SG_SG_EEES9_SI_JZNS1_25segmented_radix_sort_implINS0_14default_configELb0EPKfPfPKlPlN2at6native12_GLOBAL__N_18offset_tEEE10hipError_tPvRmT1_PNSt15iterator_traitsIS12_E10value_typeET2_T3_PNS13_IS18_E10value_typeET4_jRbjT5_S1E_jjP12ihipStream_tbEUljE_ZNSN_ISO_Lb0ESQ_SR_ST_SU_SY_EESZ_S10_S11_S12_S16_S17_S18_S1B_S1C_jS1D_jS1E_S1E_jjS1G_bEUljE0_EEESZ_S10_S11_S18_S1C_S1E_T6_T7_T9_mT8_S1G_bDpT10_ENKUlT_T0_E_clISt17integral_constantIbLb1EES1U_EEDaS1P_S1Q_EUlS1P_E_NS1_11comp_targetILNS1_3genE3ELNS1_11target_archE908ELNS1_3gpuE7ELNS1_3repE0EEENS1_30default_config_static_selectorELNS0_4arch9wavefront6targetE0EEEvS12_.num_agpr, 0
	.set _ZN7rocprim17ROCPRIM_400000_NS6detail17trampoline_kernelINS0_13select_configILj256ELj13ELNS0_17block_load_methodE3ELS4_3ELS4_3ELNS0_20block_scan_algorithmE0ELj4294967295EEENS1_25partition_config_selectorILNS1_17partition_subalgoE4EjNS0_10empty_typeEbEEZZNS1_14partition_implILS8_4ELb0ES6_15HIP_vector_typeIjLj2EENS0_17counting_iteratorIjlEEPS9_SG_NS0_5tupleIJPjSI_NS0_16reverse_iteratorISI_EEEEENSH_IJSG_SG_SG_EEES9_SI_JZNS1_25segmented_radix_sort_implINS0_14default_configELb0EPKfPfPKlPlN2at6native12_GLOBAL__N_18offset_tEEE10hipError_tPvRmT1_PNSt15iterator_traitsIS12_E10value_typeET2_T3_PNS13_IS18_E10value_typeET4_jRbjT5_S1E_jjP12ihipStream_tbEUljE_ZNSN_ISO_Lb0ESQ_SR_ST_SU_SY_EESZ_S10_S11_S12_S16_S17_S18_S1B_S1C_jS1D_jS1E_S1E_jjS1G_bEUljE0_EEESZ_S10_S11_S18_S1C_S1E_T6_T7_T9_mT8_S1G_bDpT10_ENKUlT_T0_E_clISt17integral_constantIbLb1EES1U_EEDaS1P_S1Q_EUlS1P_E_NS1_11comp_targetILNS1_3genE3ELNS1_11target_archE908ELNS1_3gpuE7ELNS1_3repE0EEENS1_30default_config_static_selectorELNS0_4arch9wavefront6targetE0EEEvS12_.numbered_sgpr, 0
	.set _ZN7rocprim17ROCPRIM_400000_NS6detail17trampoline_kernelINS0_13select_configILj256ELj13ELNS0_17block_load_methodE3ELS4_3ELS4_3ELNS0_20block_scan_algorithmE0ELj4294967295EEENS1_25partition_config_selectorILNS1_17partition_subalgoE4EjNS0_10empty_typeEbEEZZNS1_14partition_implILS8_4ELb0ES6_15HIP_vector_typeIjLj2EENS0_17counting_iteratorIjlEEPS9_SG_NS0_5tupleIJPjSI_NS0_16reverse_iteratorISI_EEEEENSH_IJSG_SG_SG_EEES9_SI_JZNS1_25segmented_radix_sort_implINS0_14default_configELb0EPKfPfPKlPlN2at6native12_GLOBAL__N_18offset_tEEE10hipError_tPvRmT1_PNSt15iterator_traitsIS12_E10value_typeET2_T3_PNS13_IS18_E10value_typeET4_jRbjT5_S1E_jjP12ihipStream_tbEUljE_ZNSN_ISO_Lb0ESQ_SR_ST_SU_SY_EESZ_S10_S11_S12_S16_S17_S18_S1B_S1C_jS1D_jS1E_S1E_jjS1G_bEUljE0_EEESZ_S10_S11_S18_S1C_S1E_T6_T7_T9_mT8_S1G_bDpT10_ENKUlT_T0_E_clISt17integral_constantIbLb1EES1U_EEDaS1P_S1Q_EUlS1P_E_NS1_11comp_targetILNS1_3genE3ELNS1_11target_archE908ELNS1_3gpuE7ELNS1_3repE0EEENS1_30default_config_static_selectorELNS0_4arch9wavefront6targetE0EEEvS12_.num_named_barrier, 0
	.set _ZN7rocprim17ROCPRIM_400000_NS6detail17trampoline_kernelINS0_13select_configILj256ELj13ELNS0_17block_load_methodE3ELS4_3ELS4_3ELNS0_20block_scan_algorithmE0ELj4294967295EEENS1_25partition_config_selectorILNS1_17partition_subalgoE4EjNS0_10empty_typeEbEEZZNS1_14partition_implILS8_4ELb0ES6_15HIP_vector_typeIjLj2EENS0_17counting_iteratorIjlEEPS9_SG_NS0_5tupleIJPjSI_NS0_16reverse_iteratorISI_EEEEENSH_IJSG_SG_SG_EEES9_SI_JZNS1_25segmented_radix_sort_implINS0_14default_configELb0EPKfPfPKlPlN2at6native12_GLOBAL__N_18offset_tEEE10hipError_tPvRmT1_PNSt15iterator_traitsIS12_E10value_typeET2_T3_PNS13_IS18_E10value_typeET4_jRbjT5_S1E_jjP12ihipStream_tbEUljE_ZNSN_ISO_Lb0ESQ_SR_ST_SU_SY_EESZ_S10_S11_S12_S16_S17_S18_S1B_S1C_jS1D_jS1E_S1E_jjS1G_bEUljE0_EEESZ_S10_S11_S18_S1C_S1E_T6_T7_T9_mT8_S1G_bDpT10_ENKUlT_T0_E_clISt17integral_constantIbLb1EES1U_EEDaS1P_S1Q_EUlS1P_E_NS1_11comp_targetILNS1_3genE3ELNS1_11target_archE908ELNS1_3gpuE7ELNS1_3repE0EEENS1_30default_config_static_selectorELNS0_4arch9wavefront6targetE0EEEvS12_.private_seg_size, 0
	.set _ZN7rocprim17ROCPRIM_400000_NS6detail17trampoline_kernelINS0_13select_configILj256ELj13ELNS0_17block_load_methodE3ELS4_3ELS4_3ELNS0_20block_scan_algorithmE0ELj4294967295EEENS1_25partition_config_selectorILNS1_17partition_subalgoE4EjNS0_10empty_typeEbEEZZNS1_14partition_implILS8_4ELb0ES6_15HIP_vector_typeIjLj2EENS0_17counting_iteratorIjlEEPS9_SG_NS0_5tupleIJPjSI_NS0_16reverse_iteratorISI_EEEEENSH_IJSG_SG_SG_EEES9_SI_JZNS1_25segmented_radix_sort_implINS0_14default_configELb0EPKfPfPKlPlN2at6native12_GLOBAL__N_18offset_tEEE10hipError_tPvRmT1_PNSt15iterator_traitsIS12_E10value_typeET2_T3_PNS13_IS18_E10value_typeET4_jRbjT5_S1E_jjP12ihipStream_tbEUljE_ZNSN_ISO_Lb0ESQ_SR_ST_SU_SY_EESZ_S10_S11_S12_S16_S17_S18_S1B_S1C_jS1D_jS1E_S1E_jjS1G_bEUljE0_EEESZ_S10_S11_S18_S1C_S1E_T6_T7_T9_mT8_S1G_bDpT10_ENKUlT_T0_E_clISt17integral_constantIbLb1EES1U_EEDaS1P_S1Q_EUlS1P_E_NS1_11comp_targetILNS1_3genE3ELNS1_11target_archE908ELNS1_3gpuE7ELNS1_3repE0EEENS1_30default_config_static_selectorELNS0_4arch9wavefront6targetE0EEEvS12_.uses_vcc, 0
	.set _ZN7rocprim17ROCPRIM_400000_NS6detail17trampoline_kernelINS0_13select_configILj256ELj13ELNS0_17block_load_methodE3ELS4_3ELS4_3ELNS0_20block_scan_algorithmE0ELj4294967295EEENS1_25partition_config_selectorILNS1_17partition_subalgoE4EjNS0_10empty_typeEbEEZZNS1_14partition_implILS8_4ELb0ES6_15HIP_vector_typeIjLj2EENS0_17counting_iteratorIjlEEPS9_SG_NS0_5tupleIJPjSI_NS0_16reverse_iteratorISI_EEEEENSH_IJSG_SG_SG_EEES9_SI_JZNS1_25segmented_radix_sort_implINS0_14default_configELb0EPKfPfPKlPlN2at6native12_GLOBAL__N_18offset_tEEE10hipError_tPvRmT1_PNSt15iterator_traitsIS12_E10value_typeET2_T3_PNS13_IS18_E10value_typeET4_jRbjT5_S1E_jjP12ihipStream_tbEUljE_ZNSN_ISO_Lb0ESQ_SR_ST_SU_SY_EESZ_S10_S11_S12_S16_S17_S18_S1B_S1C_jS1D_jS1E_S1E_jjS1G_bEUljE0_EEESZ_S10_S11_S18_S1C_S1E_T6_T7_T9_mT8_S1G_bDpT10_ENKUlT_T0_E_clISt17integral_constantIbLb1EES1U_EEDaS1P_S1Q_EUlS1P_E_NS1_11comp_targetILNS1_3genE3ELNS1_11target_archE908ELNS1_3gpuE7ELNS1_3repE0EEENS1_30default_config_static_selectorELNS0_4arch9wavefront6targetE0EEEvS12_.uses_flat_scratch, 0
	.set _ZN7rocprim17ROCPRIM_400000_NS6detail17trampoline_kernelINS0_13select_configILj256ELj13ELNS0_17block_load_methodE3ELS4_3ELS4_3ELNS0_20block_scan_algorithmE0ELj4294967295EEENS1_25partition_config_selectorILNS1_17partition_subalgoE4EjNS0_10empty_typeEbEEZZNS1_14partition_implILS8_4ELb0ES6_15HIP_vector_typeIjLj2EENS0_17counting_iteratorIjlEEPS9_SG_NS0_5tupleIJPjSI_NS0_16reverse_iteratorISI_EEEEENSH_IJSG_SG_SG_EEES9_SI_JZNS1_25segmented_radix_sort_implINS0_14default_configELb0EPKfPfPKlPlN2at6native12_GLOBAL__N_18offset_tEEE10hipError_tPvRmT1_PNSt15iterator_traitsIS12_E10value_typeET2_T3_PNS13_IS18_E10value_typeET4_jRbjT5_S1E_jjP12ihipStream_tbEUljE_ZNSN_ISO_Lb0ESQ_SR_ST_SU_SY_EESZ_S10_S11_S12_S16_S17_S18_S1B_S1C_jS1D_jS1E_S1E_jjS1G_bEUljE0_EEESZ_S10_S11_S18_S1C_S1E_T6_T7_T9_mT8_S1G_bDpT10_ENKUlT_T0_E_clISt17integral_constantIbLb1EES1U_EEDaS1P_S1Q_EUlS1P_E_NS1_11comp_targetILNS1_3genE3ELNS1_11target_archE908ELNS1_3gpuE7ELNS1_3repE0EEENS1_30default_config_static_selectorELNS0_4arch9wavefront6targetE0EEEvS12_.has_dyn_sized_stack, 0
	.set _ZN7rocprim17ROCPRIM_400000_NS6detail17trampoline_kernelINS0_13select_configILj256ELj13ELNS0_17block_load_methodE3ELS4_3ELS4_3ELNS0_20block_scan_algorithmE0ELj4294967295EEENS1_25partition_config_selectorILNS1_17partition_subalgoE4EjNS0_10empty_typeEbEEZZNS1_14partition_implILS8_4ELb0ES6_15HIP_vector_typeIjLj2EENS0_17counting_iteratorIjlEEPS9_SG_NS0_5tupleIJPjSI_NS0_16reverse_iteratorISI_EEEEENSH_IJSG_SG_SG_EEES9_SI_JZNS1_25segmented_radix_sort_implINS0_14default_configELb0EPKfPfPKlPlN2at6native12_GLOBAL__N_18offset_tEEE10hipError_tPvRmT1_PNSt15iterator_traitsIS12_E10value_typeET2_T3_PNS13_IS18_E10value_typeET4_jRbjT5_S1E_jjP12ihipStream_tbEUljE_ZNSN_ISO_Lb0ESQ_SR_ST_SU_SY_EESZ_S10_S11_S12_S16_S17_S18_S1B_S1C_jS1D_jS1E_S1E_jjS1G_bEUljE0_EEESZ_S10_S11_S18_S1C_S1E_T6_T7_T9_mT8_S1G_bDpT10_ENKUlT_T0_E_clISt17integral_constantIbLb1EES1U_EEDaS1P_S1Q_EUlS1P_E_NS1_11comp_targetILNS1_3genE3ELNS1_11target_archE908ELNS1_3gpuE7ELNS1_3repE0EEENS1_30default_config_static_selectorELNS0_4arch9wavefront6targetE0EEEvS12_.has_recursion, 0
	.set _ZN7rocprim17ROCPRIM_400000_NS6detail17trampoline_kernelINS0_13select_configILj256ELj13ELNS0_17block_load_methodE3ELS4_3ELS4_3ELNS0_20block_scan_algorithmE0ELj4294967295EEENS1_25partition_config_selectorILNS1_17partition_subalgoE4EjNS0_10empty_typeEbEEZZNS1_14partition_implILS8_4ELb0ES6_15HIP_vector_typeIjLj2EENS0_17counting_iteratorIjlEEPS9_SG_NS0_5tupleIJPjSI_NS0_16reverse_iteratorISI_EEEEENSH_IJSG_SG_SG_EEES9_SI_JZNS1_25segmented_radix_sort_implINS0_14default_configELb0EPKfPfPKlPlN2at6native12_GLOBAL__N_18offset_tEEE10hipError_tPvRmT1_PNSt15iterator_traitsIS12_E10value_typeET2_T3_PNS13_IS18_E10value_typeET4_jRbjT5_S1E_jjP12ihipStream_tbEUljE_ZNSN_ISO_Lb0ESQ_SR_ST_SU_SY_EESZ_S10_S11_S12_S16_S17_S18_S1B_S1C_jS1D_jS1E_S1E_jjS1G_bEUljE0_EEESZ_S10_S11_S18_S1C_S1E_T6_T7_T9_mT8_S1G_bDpT10_ENKUlT_T0_E_clISt17integral_constantIbLb1EES1U_EEDaS1P_S1Q_EUlS1P_E_NS1_11comp_targetILNS1_3genE3ELNS1_11target_archE908ELNS1_3gpuE7ELNS1_3repE0EEENS1_30default_config_static_selectorELNS0_4arch9wavefront6targetE0EEEvS12_.has_indirect_call, 0
	.section	.AMDGPU.csdata,"",@progbits
; Kernel info:
; codeLenInByte = 0
; TotalNumSgprs: 0
; NumVgprs: 0
; ScratchSize: 0
; MemoryBound: 0
; FloatMode: 240
; IeeeMode: 1
; LDSByteSize: 0 bytes/workgroup (compile time only)
; SGPRBlocks: 0
; VGPRBlocks: 0
; NumSGPRsForWavesPerEU: 1
; NumVGPRsForWavesPerEU: 1
; Occupancy: 16
; WaveLimiterHint : 0
; COMPUTE_PGM_RSRC2:SCRATCH_EN: 0
; COMPUTE_PGM_RSRC2:USER_SGPR: 6
; COMPUTE_PGM_RSRC2:TRAP_HANDLER: 0
; COMPUTE_PGM_RSRC2:TGID_X_EN: 1
; COMPUTE_PGM_RSRC2:TGID_Y_EN: 0
; COMPUTE_PGM_RSRC2:TGID_Z_EN: 0
; COMPUTE_PGM_RSRC2:TIDIG_COMP_CNT: 0
	.section	.text._ZN7rocprim17ROCPRIM_400000_NS6detail17trampoline_kernelINS0_13select_configILj256ELj13ELNS0_17block_load_methodE3ELS4_3ELS4_3ELNS0_20block_scan_algorithmE0ELj4294967295EEENS1_25partition_config_selectorILNS1_17partition_subalgoE4EjNS0_10empty_typeEbEEZZNS1_14partition_implILS8_4ELb0ES6_15HIP_vector_typeIjLj2EENS0_17counting_iteratorIjlEEPS9_SG_NS0_5tupleIJPjSI_NS0_16reverse_iteratorISI_EEEEENSH_IJSG_SG_SG_EEES9_SI_JZNS1_25segmented_radix_sort_implINS0_14default_configELb0EPKfPfPKlPlN2at6native12_GLOBAL__N_18offset_tEEE10hipError_tPvRmT1_PNSt15iterator_traitsIS12_E10value_typeET2_T3_PNS13_IS18_E10value_typeET4_jRbjT5_S1E_jjP12ihipStream_tbEUljE_ZNSN_ISO_Lb0ESQ_SR_ST_SU_SY_EESZ_S10_S11_S12_S16_S17_S18_S1B_S1C_jS1D_jS1E_S1E_jjS1G_bEUljE0_EEESZ_S10_S11_S18_S1C_S1E_T6_T7_T9_mT8_S1G_bDpT10_ENKUlT_T0_E_clISt17integral_constantIbLb1EES1U_EEDaS1P_S1Q_EUlS1P_E_NS1_11comp_targetILNS1_3genE2ELNS1_11target_archE906ELNS1_3gpuE6ELNS1_3repE0EEENS1_30default_config_static_selectorELNS0_4arch9wavefront6targetE0EEEvS12_,"axG",@progbits,_ZN7rocprim17ROCPRIM_400000_NS6detail17trampoline_kernelINS0_13select_configILj256ELj13ELNS0_17block_load_methodE3ELS4_3ELS4_3ELNS0_20block_scan_algorithmE0ELj4294967295EEENS1_25partition_config_selectorILNS1_17partition_subalgoE4EjNS0_10empty_typeEbEEZZNS1_14partition_implILS8_4ELb0ES6_15HIP_vector_typeIjLj2EENS0_17counting_iteratorIjlEEPS9_SG_NS0_5tupleIJPjSI_NS0_16reverse_iteratorISI_EEEEENSH_IJSG_SG_SG_EEES9_SI_JZNS1_25segmented_radix_sort_implINS0_14default_configELb0EPKfPfPKlPlN2at6native12_GLOBAL__N_18offset_tEEE10hipError_tPvRmT1_PNSt15iterator_traitsIS12_E10value_typeET2_T3_PNS13_IS18_E10value_typeET4_jRbjT5_S1E_jjP12ihipStream_tbEUljE_ZNSN_ISO_Lb0ESQ_SR_ST_SU_SY_EESZ_S10_S11_S12_S16_S17_S18_S1B_S1C_jS1D_jS1E_S1E_jjS1G_bEUljE0_EEESZ_S10_S11_S18_S1C_S1E_T6_T7_T9_mT8_S1G_bDpT10_ENKUlT_T0_E_clISt17integral_constantIbLb1EES1U_EEDaS1P_S1Q_EUlS1P_E_NS1_11comp_targetILNS1_3genE2ELNS1_11target_archE906ELNS1_3gpuE6ELNS1_3repE0EEENS1_30default_config_static_selectorELNS0_4arch9wavefront6targetE0EEEvS12_,comdat
	.globl	_ZN7rocprim17ROCPRIM_400000_NS6detail17trampoline_kernelINS0_13select_configILj256ELj13ELNS0_17block_load_methodE3ELS4_3ELS4_3ELNS0_20block_scan_algorithmE0ELj4294967295EEENS1_25partition_config_selectorILNS1_17partition_subalgoE4EjNS0_10empty_typeEbEEZZNS1_14partition_implILS8_4ELb0ES6_15HIP_vector_typeIjLj2EENS0_17counting_iteratorIjlEEPS9_SG_NS0_5tupleIJPjSI_NS0_16reverse_iteratorISI_EEEEENSH_IJSG_SG_SG_EEES9_SI_JZNS1_25segmented_radix_sort_implINS0_14default_configELb0EPKfPfPKlPlN2at6native12_GLOBAL__N_18offset_tEEE10hipError_tPvRmT1_PNSt15iterator_traitsIS12_E10value_typeET2_T3_PNS13_IS18_E10value_typeET4_jRbjT5_S1E_jjP12ihipStream_tbEUljE_ZNSN_ISO_Lb0ESQ_SR_ST_SU_SY_EESZ_S10_S11_S12_S16_S17_S18_S1B_S1C_jS1D_jS1E_S1E_jjS1G_bEUljE0_EEESZ_S10_S11_S18_S1C_S1E_T6_T7_T9_mT8_S1G_bDpT10_ENKUlT_T0_E_clISt17integral_constantIbLb1EES1U_EEDaS1P_S1Q_EUlS1P_E_NS1_11comp_targetILNS1_3genE2ELNS1_11target_archE906ELNS1_3gpuE6ELNS1_3repE0EEENS1_30default_config_static_selectorELNS0_4arch9wavefront6targetE0EEEvS12_ ; -- Begin function _ZN7rocprim17ROCPRIM_400000_NS6detail17trampoline_kernelINS0_13select_configILj256ELj13ELNS0_17block_load_methodE3ELS4_3ELS4_3ELNS0_20block_scan_algorithmE0ELj4294967295EEENS1_25partition_config_selectorILNS1_17partition_subalgoE4EjNS0_10empty_typeEbEEZZNS1_14partition_implILS8_4ELb0ES6_15HIP_vector_typeIjLj2EENS0_17counting_iteratorIjlEEPS9_SG_NS0_5tupleIJPjSI_NS0_16reverse_iteratorISI_EEEEENSH_IJSG_SG_SG_EEES9_SI_JZNS1_25segmented_radix_sort_implINS0_14default_configELb0EPKfPfPKlPlN2at6native12_GLOBAL__N_18offset_tEEE10hipError_tPvRmT1_PNSt15iterator_traitsIS12_E10value_typeET2_T3_PNS13_IS18_E10value_typeET4_jRbjT5_S1E_jjP12ihipStream_tbEUljE_ZNSN_ISO_Lb0ESQ_SR_ST_SU_SY_EESZ_S10_S11_S12_S16_S17_S18_S1B_S1C_jS1D_jS1E_S1E_jjS1G_bEUljE0_EEESZ_S10_S11_S18_S1C_S1E_T6_T7_T9_mT8_S1G_bDpT10_ENKUlT_T0_E_clISt17integral_constantIbLb1EES1U_EEDaS1P_S1Q_EUlS1P_E_NS1_11comp_targetILNS1_3genE2ELNS1_11target_archE906ELNS1_3gpuE6ELNS1_3repE0EEENS1_30default_config_static_selectorELNS0_4arch9wavefront6targetE0EEEvS12_
	.p2align	8
	.type	_ZN7rocprim17ROCPRIM_400000_NS6detail17trampoline_kernelINS0_13select_configILj256ELj13ELNS0_17block_load_methodE3ELS4_3ELS4_3ELNS0_20block_scan_algorithmE0ELj4294967295EEENS1_25partition_config_selectorILNS1_17partition_subalgoE4EjNS0_10empty_typeEbEEZZNS1_14partition_implILS8_4ELb0ES6_15HIP_vector_typeIjLj2EENS0_17counting_iteratorIjlEEPS9_SG_NS0_5tupleIJPjSI_NS0_16reverse_iteratorISI_EEEEENSH_IJSG_SG_SG_EEES9_SI_JZNS1_25segmented_radix_sort_implINS0_14default_configELb0EPKfPfPKlPlN2at6native12_GLOBAL__N_18offset_tEEE10hipError_tPvRmT1_PNSt15iterator_traitsIS12_E10value_typeET2_T3_PNS13_IS18_E10value_typeET4_jRbjT5_S1E_jjP12ihipStream_tbEUljE_ZNSN_ISO_Lb0ESQ_SR_ST_SU_SY_EESZ_S10_S11_S12_S16_S17_S18_S1B_S1C_jS1D_jS1E_S1E_jjS1G_bEUljE0_EEESZ_S10_S11_S18_S1C_S1E_T6_T7_T9_mT8_S1G_bDpT10_ENKUlT_T0_E_clISt17integral_constantIbLb1EES1U_EEDaS1P_S1Q_EUlS1P_E_NS1_11comp_targetILNS1_3genE2ELNS1_11target_archE906ELNS1_3gpuE6ELNS1_3repE0EEENS1_30default_config_static_selectorELNS0_4arch9wavefront6targetE0EEEvS12_,@function
_ZN7rocprim17ROCPRIM_400000_NS6detail17trampoline_kernelINS0_13select_configILj256ELj13ELNS0_17block_load_methodE3ELS4_3ELS4_3ELNS0_20block_scan_algorithmE0ELj4294967295EEENS1_25partition_config_selectorILNS1_17partition_subalgoE4EjNS0_10empty_typeEbEEZZNS1_14partition_implILS8_4ELb0ES6_15HIP_vector_typeIjLj2EENS0_17counting_iteratorIjlEEPS9_SG_NS0_5tupleIJPjSI_NS0_16reverse_iteratorISI_EEEEENSH_IJSG_SG_SG_EEES9_SI_JZNS1_25segmented_radix_sort_implINS0_14default_configELb0EPKfPfPKlPlN2at6native12_GLOBAL__N_18offset_tEEE10hipError_tPvRmT1_PNSt15iterator_traitsIS12_E10value_typeET2_T3_PNS13_IS18_E10value_typeET4_jRbjT5_S1E_jjP12ihipStream_tbEUljE_ZNSN_ISO_Lb0ESQ_SR_ST_SU_SY_EESZ_S10_S11_S12_S16_S17_S18_S1B_S1C_jS1D_jS1E_S1E_jjS1G_bEUljE0_EEESZ_S10_S11_S18_S1C_S1E_T6_T7_T9_mT8_S1G_bDpT10_ENKUlT_T0_E_clISt17integral_constantIbLb1EES1U_EEDaS1P_S1Q_EUlS1P_E_NS1_11comp_targetILNS1_3genE2ELNS1_11target_archE906ELNS1_3gpuE6ELNS1_3repE0EEENS1_30default_config_static_selectorELNS0_4arch9wavefront6targetE0EEEvS12_: ; @_ZN7rocprim17ROCPRIM_400000_NS6detail17trampoline_kernelINS0_13select_configILj256ELj13ELNS0_17block_load_methodE3ELS4_3ELS4_3ELNS0_20block_scan_algorithmE0ELj4294967295EEENS1_25partition_config_selectorILNS1_17partition_subalgoE4EjNS0_10empty_typeEbEEZZNS1_14partition_implILS8_4ELb0ES6_15HIP_vector_typeIjLj2EENS0_17counting_iteratorIjlEEPS9_SG_NS0_5tupleIJPjSI_NS0_16reverse_iteratorISI_EEEEENSH_IJSG_SG_SG_EEES9_SI_JZNS1_25segmented_radix_sort_implINS0_14default_configELb0EPKfPfPKlPlN2at6native12_GLOBAL__N_18offset_tEEE10hipError_tPvRmT1_PNSt15iterator_traitsIS12_E10value_typeET2_T3_PNS13_IS18_E10value_typeET4_jRbjT5_S1E_jjP12ihipStream_tbEUljE_ZNSN_ISO_Lb0ESQ_SR_ST_SU_SY_EESZ_S10_S11_S12_S16_S17_S18_S1B_S1C_jS1D_jS1E_S1E_jjS1G_bEUljE0_EEESZ_S10_S11_S18_S1C_S1E_T6_T7_T9_mT8_S1G_bDpT10_ENKUlT_T0_E_clISt17integral_constantIbLb1EES1U_EEDaS1P_S1Q_EUlS1P_E_NS1_11comp_targetILNS1_3genE2ELNS1_11target_archE906ELNS1_3gpuE6ELNS1_3repE0EEENS1_30default_config_static_selectorELNS0_4arch9wavefront6targetE0EEEvS12_
; %bb.0:
	.section	.rodata,"a",@progbits
	.p2align	6, 0x0
	.amdhsa_kernel _ZN7rocprim17ROCPRIM_400000_NS6detail17trampoline_kernelINS0_13select_configILj256ELj13ELNS0_17block_load_methodE3ELS4_3ELS4_3ELNS0_20block_scan_algorithmE0ELj4294967295EEENS1_25partition_config_selectorILNS1_17partition_subalgoE4EjNS0_10empty_typeEbEEZZNS1_14partition_implILS8_4ELb0ES6_15HIP_vector_typeIjLj2EENS0_17counting_iteratorIjlEEPS9_SG_NS0_5tupleIJPjSI_NS0_16reverse_iteratorISI_EEEEENSH_IJSG_SG_SG_EEES9_SI_JZNS1_25segmented_radix_sort_implINS0_14default_configELb0EPKfPfPKlPlN2at6native12_GLOBAL__N_18offset_tEEE10hipError_tPvRmT1_PNSt15iterator_traitsIS12_E10value_typeET2_T3_PNS13_IS18_E10value_typeET4_jRbjT5_S1E_jjP12ihipStream_tbEUljE_ZNSN_ISO_Lb0ESQ_SR_ST_SU_SY_EESZ_S10_S11_S12_S16_S17_S18_S1B_S1C_jS1D_jS1E_S1E_jjS1G_bEUljE0_EEESZ_S10_S11_S18_S1C_S1E_T6_T7_T9_mT8_S1G_bDpT10_ENKUlT_T0_E_clISt17integral_constantIbLb1EES1U_EEDaS1P_S1Q_EUlS1P_E_NS1_11comp_targetILNS1_3genE2ELNS1_11target_archE906ELNS1_3gpuE6ELNS1_3repE0EEENS1_30default_config_static_selectorELNS0_4arch9wavefront6targetE0EEEvS12_
		.amdhsa_group_segment_fixed_size 0
		.amdhsa_private_segment_fixed_size 0
		.amdhsa_kernarg_size 184
		.amdhsa_user_sgpr_count 6
		.amdhsa_user_sgpr_private_segment_buffer 1
		.amdhsa_user_sgpr_dispatch_ptr 0
		.amdhsa_user_sgpr_queue_ptr 0
		.amdhsa_user_sgpr_kernarg_segment_ptr 1
		.amdhsa_user_sgpr_dispatch_id 0
		.amdhsa_user_sgpr_flat_scratch_init 0
		.amdhsa_user_sgpr_private_segment_size 0
		.amdhsa_wavefront_size32 1
		.amdhsa_uses_dynamic_stack 0
		.amdhsa_system_sgpr_private_segment_wavefront_offset 0
		.amdhsa_system_sgpr_workgroup_id_x 1
		.amdhsa_system_sgpr_workgroup_id_y 0
		.amdhsa_system_sgpr_workgroup_id_z 0
		.amdhsa_system_sgpr_workgroup_info 0
		.amdhsa_system_vgpr_workitem_id 0
		.amdhsa_next_free_vgpr 1
		.amdhsa_next_free_sgpr 1
		.amdhsa_reserve_vcc 0
		.amdhsa_reserve_flat_scratch 0
		.amdhsa_float_round_mode_32 0
		.amdhsa_float_round_mode_16_64 0
		.amdhsa_float_denorm_mode_32 3
		.amdhsa_float_denorm_mode_16_64 3
		.amdhsa_dx10_clamp 1
		.amdhsa_ieee_mode 1
		.amdhsa_fp16_overflow 0
		.amdhsa_workgroup_processor_mode 1
		.amdhsa_memory_ordered 1
		.amdhsa_forward_progress 1
		.amdhsa_shared_vgpr_count 0
		.amdhsa_exception_fp_ieee_invalid_op 0
		.amdhsa_exception_fp_denorm_src 0
		.amdhsa_exception_fp_ieee_div_zero 0
		.amdhsa_exception_fp_ieee_overflow 0
		.amdhsa_exception_fp_ieee_underflow 0
		.amdhsa_exception_fp_ieee_inexact 0
		.amdhsa_exception_int_div_zero 0
	.end_amdhsa_kernel
	.section	.text._ZN7rocprim17ROCPRIM_400000_NS6detail17trampoline_kernelINS0_13select_configILj256ELj13ELNS0_17block_load_methodE3ELS4_3ELS4_3ELNS0_20block_scan_algorithmE0ELj4294967295EEENS1_25partition_config_selectorILNS1_17partition_subalgoE4EjNS0_10empty_typeEbEEZZNS1_14partition_implILS8_4ELb0ES6_15HIP_vector_typeIjLj2EENS0_17counting_iteratorIjlEEPS9_SG_NS0_5tupleIJPjSI_NS0_16reverse_iteratorISI_EEEEENSH_IJSG_SG_SG_EEES9_SI_JZNS1_25segmented_radix_sort_implINS0_14default_configELb0EPKfPfPKlPlN2at6native12_GLOBAL__N_18offset_tEEE10hipError_tPvRmT1_PNSt15iterator_traitsIS12_E10value_typeET2_T3_PNS13_IS18_E10value_typeET4_jRbjT5_S1E_jjP12ihipStream_tbEUljE_ZNSN_ISO_Lb0ESQ_SR_ST_SU_SY_EESZ_S10_S11_S12_S16_S17_S18_S1B_S1C_jS1D_jS1E_S1E_jjS1G_bEUljE0_EEESZ_S10_S11_S18_S1C_S1E_T6_T7_T9_mT8_S1G_bDpT10_ENKUlT_T0_E_clISt17integral_constantIbLb1EES1U_EEDaS1P_S1Q_EUlS1P_E_NS1_11comp_targetILNS1_3genE2ELNS1_11target_archE906ELNS1_3gpuE6ELNS1_3repE0EEENS1_30default_config_static_selectorELNS0_4arch9wavefront6targetE0EEEvS12_,"axG",@progbits,_ZN7rocprim17ROCPRIM_400000_NS6detail17trampoline_kernelINS0_13select_configILj256ELj13ELNS0_17block_load_methodE3ELS4_3ELS4_3ELNS0_20block_scan_algorithmE0ELj4294967295EEENS1_25partition_config_selectorILNS1_17partition_subalgoE4EjNS0_10empty_typeEbEEZZNS1_14partition_implILS8_4ELb0ES6_15HIP_vector_typeIjLj2EENS0_17counting_iteratorIjlEEPS9_SG_NS0_5tupleIJPjSI_NS0_16reverse_iteratorISI_EEEEENSH_IJSG_SG_SG_EEES9_SI_JZNS1_25segmented_radix_sort_implINS0_14default_configELb0EPKfPfPKlPlN2at6native12_GLOBAL__N_18offset_tEEE10hipError_tPvRmT1_PNSt15iterator_traitsIS12_E10value_typeET2_T3_PNS13_IS18_E10value_typeET4_jRbjT5_S1E_jjP12ihipStream_tbEUljE_ZNSN_ISO_Lb0ESQ_SR_ST_SU_SY_EESZ_S10_S11_S12_S16_S17_S18_S1B_S1C_jS1D_jS1E_S1E_jjS1G_bEUljE0_EEESZ_S10_S11_S18_S1C_S1E_T6_T7_T9_mT8_S1G_bDpT10_ENKUlT_T0_E_clISt17integral_constantIbLb1EES1U_EEDaS1P_S1Q_EUlS1P_E_NS1_11comp_targetILNS1_3genE2ELNS1_11target_archE906ELNS1_3gpuE6ELNS1_3repE0EEENS1_30default_config_static_selectorELNS0_4arch9wavefront6targetE0EEEvS12_,comdat
.Lfunc_end1368:
	.size	_ZN7rocprim17ROCPRIM_400000_NS6detail17trampoline_kernelINS0_13select_configILj256ELj13ELNS0_17block_load_methodE3ELS4_3ELS4_3ELNS0_20block_scan_algorithmE0ELj4294967295EEENS1_25partition_config_selectorILNS1_17partition_subalgoE4EjNS0_10empty_typeEbEEZZNS1_14partition_implILS8_4ELb0ES6_15HIP_vector_typeIjLj2EENS0_17counting_iteratorIjlEEPS9_SG_NS0_5tupleIJPjSI_NS0_16reverse_iteratorISI_EEEEENSH_IJSG_SG_SG_EEES9_SI_JZNS1_25segmented_radix_sort_implINS0_14default_configELb0EPKfPfPKlPlN2at6native12_GLOBAL__N_18offset_tEEE10hipError_tPvRmT1_PNSt15iterator_traitsIS12_E10value_typeET2_T3_PNS13_IS18_E10value_typeET4_jRbjT5_S1E_jjP12ihipStream_tbEUljE_ZNSN_ISO_Lb0ESQ_SR_ST_SU_SY_EESZ_S10_S11_S12_S16_S17_S18_S1B_S1C_jS1D_jS1E_S1E_jjS1G_bEUljE0_EEESZ_S10_S11_S18_S1C_S1E_T6_T7_T9_mT8_S1G_bDpT10_ENKUlT_T0_E_clISt17integral_constantIbLb1EES1U_EEDaS1P_S1Q_EUlS1P_E_NS1_11comp_targetILNS1_3genE2ELNS1_11target_archE906ELNS1_3gpuE6ELNS1_3repE0EEENS1_30default_config_static_selectorELNS0_4arch9wavefront6targetE0EEEvS12_, .Lfunc_end1368-_ZN7rocprim17ROCPRIM_400000_NS6detail17trampoline_kernelINS0_13select_configILj256ELj13ELNS0_17block_load_methodE3ELS4_3ELS4_3ELNS0_20block_scan_algorithmE0ELj4294967295EEENS1_25partition_config_selectorILNS1_17partition_subalgoE4EjNS0_10empty_typeEbEEZZNS1_14partition_implILS8_4ELb0ES6_15HIP_vector_typeIjLj2EENS0_17counting_iteratorIjlEEPS9_SG_NS0_5tupleIJPjSI_NS0_16reverse_iteratorISI_EEEEENSH_IJSG_SG_SG_EEES9_SI_JZNS1_25segmented_radix_sort_implINS0_14default_configELb0EPKfPfPKlPlN2at6native12_GLOBAL__N_18offset_tEEE10hipError_tPvRmT1_PNSt15iterator_traitsIS12_E10value_typeET2_T3_PNS13_IS18_E10value_typeET4_jRbjT5_S1E_jjP12ihipStream_tbEUljE_ZNSN_ISO_Lb0ESQ_SR_ST_SU_SY_EESZ_S10_S11_S12_S16_S17_S18_S1B_S1C_jS1D_jS1E_S1E_jjS1G_bEUljE0_EEESZ_S10_S11_S18_S1C_S1E_T6_T7_T9_mT8_S1G_bDpT10_ENKUlT_T0_E_clISt17integral_constantIbLb1EES1U_EEDaS1P_S1Q_EUlS1P_E_NS1_11comp_targetILNS1_3genE2ELNS1_11target_archE906ELNS1_3gpuE6ELNS1_3repE0EEENS1_30default_config_static_selectorELNS0_4arch9wavefront6targetE0EEEvS12_
                                        ; -- End function
	.set _ZN7rocprim17ROCPRIM_400000_NS6detail17trampoline_kernelINS0_13select_configILj256ELj13ELNS0_17block_load_methodE3ELS4_3ELS4_3ELNS0_20block_scan_algorithmE0ELj4294967295EEENS1_25partition_config_selectorILNS1_17partition_subalgoE4EjNS0_10empty_typeEbEEZZNS1_14partition_implILS8_4ELb0ES6_15HIP_vector_typeIjLj2EENS0_17counting_iteratorIjlEEPS9_SG_NS0_5tupleIJPjSI_NS0_16reverse_iteratorISI_EEEEENSH_IJSG_SG_SG_EEES9_SI_JZNS1_25segmented_radix_sort_implINS0_14default_configELb0EPKfPfPKlPlN2at6native12_GLOBAL__N_18offset_tEEE10hipError_tPvRmT1_PNSt15iterator_traitsIS12_E10value_typeET2_T3_PNS13_IS18_E10value_typeET4_jRbjT5_S1E_jjP12ihipStream_tbEUljE_ZNSN_ISO_Lb0ESQ_SR_ST_SU_SY_EESZ_S10_S11_S12_S16_S17_S18_S1B_S1C_jS1D_jS1E_S1E_jjS1G_bEUljE0_EEESZ_S10_S11_S18_S1C_S1E_T6_T7_T9_mT8_S1G_bDpT10_ENKUlT_T0_E_clISt17integral_constantIbLb1EES1U_EEDaS1P_S1Q_EUlS1P_E_NS1_11comp_targetILNS1_3genE2ELNS1_11target_archE906ELNS1_3gpuE6ELNS1_3repE0EEENS1_30default_config_static_selectorELNS0_4arch9wavefront6targetE0EEEvS12_.num_vgpr, 0
	.set _ZN7rocprim17ROCPRIM_400000_NS6detail17trampoline_kernelINS0_13select_configILj256ELj13ELNS0_17block_load_methodE3ELS4_3ELS4_3ELNS0_20block_scan_algorithmE0ELj4294967295EEENS1_25partition_config_selectorILNS1_17partition_subalgoE4EjNS0_10empty_typeEbEEZZNS1_14partition_implILS8_4ELb0ES6_15HIP_vector_typeIjLj2EENS0_17counting_iteratorIjlEEPS9_SG_NS0_5tupleIJPjSI_NS0_16reverse_iteratorISI_EEEEENSH_IJSG_SG_SG_EEES9_SI_JZNS1_25segmented_radix_sort_implINS0_14default_configELb0EPKfPfPKlPlN2at6native12_GLOBAL__N_18offset_tEEE10hipError_tPvRmT1_PNSt15iterator_traitsIS12_E10value_typeET2_T3_PNS13_IS18_E10value_typeET4_jRbjT5_S1E_jjP12ihipStream_tbEUljE_ZNSN_ISO_Lb0ESQ_SR_ST_SU_SY_EESZ_S10_S11_S12_S16_S17_S18_S1B_S1C_jS1D_jS1E_S1E_jjS1G_bEUljE0_EEESZ_S10_S11_S18_S1C_S1E_T6_T7_T9_mT8_S1G_bDpT10_ENKUlT_T0_E_clISt17integral_constantIbLb1EES1U_EEDaS1P_S1Q_EUlS1P_E_NS1_11comp_targetILNS1_3genE2ELNS1_11target_archE906ELNS1_3gpuE6ELNS1_3repE0EEENS1_30default_config_static_selectorELNS0_4arch9wavefront6targetE0EEEvS12_.num_agpr, 0
	.set _ZN7rocprim17ROCPRIM_400000_NS6detail17trampoline_kernelINS0_13select_configILj256ELj13ELNS0_17block_load_methodE3ELS4_3ELS4_3ELNS0_20block_scan_algorithmE0ELj4294967295EEENS1_25partition_config_selectorILNS1_17partition_subalgoE4EjNS0_10empty_typeEbEEZZNS1_14partition_implILS8_4ELb0ES6_15HIP_vector_typeIjLj2EENS0_17counting_iteratorIjlEEPS9_SG_NS0_5tupleIJPjSI_NS0_16reverse_iteratorISI_EEEEENSH_IJSG_SG_SG_EEES9_SI_JZNS1_25segmented_radix_sort_implINS0_14default_configELb0EPKfPfPKlPlN2at6native12_GLOBAL__N_18offset_tEEE10hipError_tPvRmT1_PNSt15iterator_traitsIS12_E10value_typeET2_T3_PNS13_IS18_E10value_typeET4_jRbjT5_S1E_jjP12ihipStream_tbEUljE_ZNSN_ISO_Lb0ESQ_SR_ST_SU_SY_EESZ_S10_S11_S12_S16_S17_S18_S1B_S1C_jS1D_jS1E_S1E_jjS1G_bEUljE0_EEESZ_S10_S11_S18_S1C_S1E_T6_T7_T9_mT8_S1G_bDpT10_ENKUlT_T0_E_clISt17integral_constantIbLb1EES1U_EEDaS1P_S1Q_EUlS1P_E_NS1_11comp_targetILNS1_3genE2ELNS1_11target_archE906ELNS1_3gpuE6ELNS1_3repE0EEENS1_30default_config_static_selectorELNS0_4arch9wavefront6targetE0EEEvS12_.numbered_sgpr, 0
	.set _ZN7rocprim17ROCPRIM_400000_NS6detail17trampoline_kernelINS0_13select_configILj256ELj13ELNS0_17block_load_methodE3ELS4_3ELS4_3ELNS0_20block_scan_algorithmE0ELj4294967295EEENS1_25partition_config_selectorILNS1_17partition_subalgoE4EjNS0_10empty_typeEbEEZZNS1_14partition_implILS8_4ELb0ES6_15HIP_vector_typeIjLj2EENS0_17counting_iteratorIjlEEPS9_SG_NS0_5tupleIJPjSI_NS0_16reverse_iteratorISI_EEEEENSH_IJSG_SG_SG_EEES9_SI_JZNS1_25segmented_radix_sort_implINS0_14default_configELb0EPKfPfPKlPlN2at6native12_GLOBAL__N_18offset_tEEE10hipError_tPvRmT1_PNSt15iterator_traitsIS12_E10value_typeET2_T3_PNS13_IS18_E10value_typeET4_jRbjT5_S1E_jjP12ihipStream_tbEUljE_ZNSN_ISO_Lb0ESQ_SR_ST_SU_SY_EESZ_S10_S11_S12_S16_S17_S18_S1B_S1C_jS1D_jS1E_S1E_jjS1G_bEUljE0_EEESZ_S10_S11_S18_S1C_S1E_T6_T7_T9_mT8_S1G_bDpT10_ENKUlT_T0_E_clISt17integral_constantIbLb1EES1U_EEDaS1P_S1Q_EUlS1P_E_NS1_11comp_targetILNS1_3genE2ELNS1_11target_archE906ELNS1_3gpuE6ELNS1_3repE0EEENS1_30default_config_static_selectorELNS0_4arch9wavefront6targetE0EEEvS12_.num_named_barrier, 0
	.set _ZN7rocprim17ROCPRIM_400000_NS6detail17trampoline_kernelINS0_13select_configILj256ELj13ELNS0_17block_load_methodE3ELS4_3ELS4_3ELNS0_20block_scan_algorithmE0ELj4294967295EEENS1_25partition_config_selectorILNS1_17partition_subalgoE4EjNS0_10empty_typeEbEEZZNS1_14partition_implILS8_4ELb0ES6_15HIP_vector_typeIjLj2EENS0_17counting_iteratorIjlEEPS9_SG_NS0_5tupleIJPjSI_NS0_16reverse_iteratorISI_EEEEENSH_IJSG_SG_SG_EEES9_SI_JZNS1_25segmented_radix_sort_implINS0_14default_configELb0EPKfPfPKlPlN2at6native12_GLOBAL__N_18offset_tEEE10hipError_tPvRmT1_PNSt15iterator_traitsIS12_E10value_typeET2_T3_PNS13_IS18_E10value_typeET4_jRbjT5_S1E_jjP12ihipStream_tbEUljE_ZNSN_ISO_Lb0ESQ_SR_ST_SU_SY_EESZ_S10_S11_S12_S16_S17_S18_S1B_S1C_jS1D_jS1E_S1E_jjS1G_bEUljE0_EEESZ_S10_S11_S18_S1C_S1E_T6_T7_T9_mT8_S1G_bDpT10_ENKUlT_T0_E_clISt17integral_constantIbLb1EES1U_EEDaS1P_S1Q_EUlS1P_E_NS1_11comp_targetILNS1_3genE2ELNS1_11target_archE906ELNS1_3gpuE6ELNS1_3repE0EEENS1_30default_config_static_selectorELNS0_4arch9wavefront6targetE0EEEvS12_.private_seg_size, 0
	.set _ZN7rocprim17ROCPRIM_400000_NS6detail17trampoline_kernelINS0_13select_configILj256ELj13ELNS0_17block_load_methodE3ELS4_3ELS4_3ELNS0_20block_scan_algorithmE0ELj4294967295EEENS1_25partition_config_selectorILNS1_17partition_subalgoE4EjNS0_10empty_typeEbEEZZNS1_14partition_implILS8_4ELb0ES6_15HIP_vector_typeIjLj2EENS0_17counting_iteratorIjlEEPS9_SG_NS0_5tupleIJPjSI_NS0_16reverse_iteratorISI_EEEEENSH_IJSG_SG_SG_EEES9_SI_JZNS1_25segmented_radix_sort_implINS0_14default_configELb0EPKfPfPKlPlN2at6native12_GLOBAL__N_18offset_tEEE10hipError_tPvRmT1_PNSt15iterator_traitsIS12_E10value_typeET2_T3_PNS13_IS18_E10value_typeET4_jRbjT5_S1E_jjP12ihipStream_tbEUljE_ZNSN_ISO_Lb0ESQ_SR_ST_SU_SY_EESZ_S10_S11_S12_S16_S17_S18_S1B_S1C_jS1D_jS1E_S1E_jjS1G_bEUljE0_EEESZ_S10_S11_S18_S1C_S1E_T6_T7_T9_mT8_S1G_bDpT10_ENKUlT_T0_E_clISt17integral_constantIbLb1EES1U_EEDaS1P_S1Q_EUlS1P_E_NS1_11comp_targetILNS1_3genE2ELNS1_11target_archE906ELNS1_3gpuE6ELNS1_3repE0EEENS1_30default_config_static_selectorELNS0_4arch9wavefront6targetE0EEEvS12_.uses_vcc, 0
	.set _ZN7rocprim17ROCPRIM_400000_NS6detail17trampoline_kernelINS0_13select_configILj256ELj13ELNS0_17block_load_methodE3ELS4_3ELS4_3ELNS0_20block_scan_algorithmE0ELj4294967295EEENS1_25partition_config_selectorILNS1_17partition_subalgoE4EjNS0_10empty_typeEbEEZZNS1_14partition_implILS8_4ELb0ES6_15HIP_vector_typeIjLj2EENS0_17counting_iteratorIjlEEPS9_SG_NS0_5tupleIJPjSI_NS0_16reverse_iteratorISI_EEEEENSH_IJSG_SG_SG_EEES9_SI_JZNS1_25segmented_radix_sort_implINS0_14default_configELb0EPKfPfPKlPlN2at6native12_GLOBAL__N_18offset_tEEE10hipError_tPvRmT1_PNSt15iterator_traitsIS12_E10value_typeET2_T3_PNS13_IS18_E10value_typeET4_jRbjT5_S1E_jjP12ihipStream_tbEUljE_ZNSN_ISO_Lb0ESQ_SR_ST_SU_SY_EESZ_S10_S11_S12_S16_S17_S18_S1B_S1C_jS1D_jS1E_S1E_jjS1G_bEUljE0_EEESZ_S10_S11_S18_S1C_S1E_T6_T7_T9_mT8_S1G_bDpT10_ENKUlT_T0_E_clISt17integral_constantIbLb1EES1U_EEDaS1P_S1Q_EUlS1P_E_NS1_11comp_targetILNS1_3genE2ELNS1_11target_archE906ELNS1_3gpuE6ELNS1_3repE0EEENS1_30default_config_static_selectorELNS0_4arch9wavefront6targetE0EEEvS12_.uses_flat_scratch, 0
	.set _ZN7rocprim17ROCPRIM_400000_NS6detail17trampoline_kernelINS0_13select_configILj256ELj13ELNS0_17block_load_methodE3ELS4_3ELS4_3ELNS0_20block_scan_algorithmE0ELj4294967295EEENS1_25partition_config_selectorILNS1_17partition_subalgoE4EjNS0_10empty_typeEbEEZZNS1_14partition_implILS8_4ELb0ES6_15HIP_vector_typeIjLj2EENS0_17counting_iteratorIjlEEPS9_SG_NS0_5tupleIJPjSI_NS0_16reverse_iteratorISI_EEEEENSH_IJSG_SG_SG_EEES9_SI_JZNS1_25segmented_radix_sort_implINS0_14default_configELb0EPKfPfPKlPlN2at6native12_GLOBAL__N_18offset_tEEE10hipError_tPvRmT1_PNSt15iterator_traitsIS12_E10value_typeET2_T3_PNS13_IS18_E10value_typeET4_jRbjT5_S1E_jjP12ihipStream_tbEUljE_ZNSN_ISO_Lb0ESQ_SR_ST_SU_SY_EESZ_S10_S11_S12_S16_S17_S18_S1B_S1C_jS1D_jS1E_S1E_jjS1G_bEUljE0_EEESZ_S10_S11_S18_S1C_S1E_T6_T7_T9_mT8_S1G_bDpT10_ENKUlT_T0_E_clISt17integral_constantIbLb1EES1U_EEDaS1P_S1Q_EUlS1P_E_NS1_11comp_targetILNS1_3genE2ELNS1_11target_archE906ELNS1_3gpuE6ELNS1_3repE0EEENS1_30default_config_static_selectorELNS0_4arch9wavefront6targetE0EEEvS12_.has_dyn_sized_stack, 0
	.set _ZN7rocprim17ROCPRIM_400000_NS6detail17trampoline_kernelINS0_13select_configILj256ELj13ELNS0_17block_load_methodE3ELS4_3ELS4_3ELNS0_20block_scan_algorithmE0ELj4294967295EEENS1_25partition_config_selectorILNS1_17partition_subalgoE4EjNS0_10empty_typeEbEEZZNS1_14partition_implILS8_4ELb0ES6_15HIP_vector_typeIjLj2EENS0_17counting_iteratorIjlEEPS9_SG_NS0_5tupleIJPjSI_NS0_16reverse_iteratorISI_EEEEENSH_IJSG_SG_SG_EEES9_SI_JZNS1_25segmented_radix_sort_implINS0_14default_configELb0EPKfPfPKlPlN2at6native12_GLOBAL__N_18offset_tEEE10hipError_tPvRmT1_PNSt15iterator_traitsIS12_E10value_typeET2_T3_PNS13_IS18_E10value_typeET4_jRbjT5_S1E_jjP12ihipStream_tbEUljE_ZNSN_ISO_Lb0ESQ_SR_ST_SU_SY_EESZ_S10_S11_S12_S16_S17_S18_S1B_S1C_jS1D_jS1E_S1E_jjS1G_bEUljE0_EEESZ_S10_S11_S18_S1C_S1E_T6_T7_T9_mT8_S1G_bDpT10_ENKUlT_T0_E_clISt17integral_constantIbLb1EES1U_EEDaS1P_S1Q_EUlS1P_E_NS1_11comp_targetILNS1_3genE2ELNS1_11target_archE906ELNS1_3gpuE6ELNS1_3repE0EEENS1_30default_config_static_selectorELNS0_4arch9wavefront6targetE0EEEvS12_.has_recursion, 0
	.set _ZN7rocprim17ROCPRIM_400000_NS6detail17trampoline_kernelINS0_13select_configILj256ELj13ELNS0_17block_load_methodE3ELS4_3ELS4_3ELNS0_20block_scan_algorithmE0ELj4294967295EEENS1_25partition_config_selectorILNS1_17partition_subalgoE4EjNS0_10empty_typeEbEEZZNS1_14partition_implILS8_4ELb0ES6_15HIP_vector_typeIjLj2EENS0_17counting_iteratorIjlEEPS9_SG_NS0_5tupleIJPjSI_NS0_16reverse_iteratorISI_EEEEENSH_IJSG_SG_SG_EEES9_SI_JZNS1_25segmented_radix_sort_implINS0_14default_configELb0EPKfPfPKlPlN2at6native12_GLOBAL__N_18offset_tEEE10hipError_tPvRmT1_PNSt15iterator_traitsIS12_E10value_typeET2_T3_PNS13_IS18_E10value_typeET4_jRbjT5_S1E_jjP12ihipStream_tbEUljE_ZNSN_ISO_Lb0ESQ_SR_ST_SU_SY_EESZ_S10_S11_S12_S16_S17_S18_S1B_S1C_jS1D_jS1E_S1E_jjS1G_bEUljE0_EEESZ_S10_S11_S18_S1C_S1E_T6_T7_T9_mT8_S1G_bDpT10_ENKUlT_T0_E_clISt17integral_constantIbLb1EES1U_EEDaS1P_S1Q_EUlS1P_E_NS1_11comp_targetILNS1_3genE2ELNS1_11target_archE906ELNS1_3gpuE6ELNS1_3repE0EEENS1_30default_config_static_selectorELNS0_4arch9wavefront6targetE0EEEvS12_.has_indirect_call, 0
	.section	.AMDGPU.csdata,"",@progbits
; Kernel info:
; codeLenInByte = 0
; TotalNumSgprs: 0
; NumVgprs: 0
; ScratchSize: 0
; MemoryBound: 0
; FloatMode: 240
; IeeeMode: 1
; LDSByteSize: 0 bytes/workgroup (compile time only)
; SGPRBlocks: 0
; VGPRBlocks: 0
; NumSGPRsForWavesPerEU: 1
; NumVGPRsForWavesPerEU: 1
; Occupancy: 16
; WaveLimiterHint : 0
; COMPUTE_PGM_RSRC2:SCRATCH_EN: 0
; COMPUTE_PGM_RSRC2:USER_SGPR: 6
; COMPUTE_PGM_RSRC2:TRAP_HANDLER: 0
; COMPUTE_PGM_RSRC2:TGID_X_EN: 1
; COMPUTE_PGM_RSRC2:TGID_Y_EN: 0
; COMPUTE_PGM_RSRC2:TGID_Z_EN: 0
; COMPUTE_PGM_RSRC2:TIDIG_COMP_CNT: 0
	.section	.text._ZN7rocprim17ROCPRIM_400000_NS6detail17trampoline_kernelINS0_13select_configILj256ELj13ELNS0_17block_load_methodE3ELS4_3ELS4_3ELNS0_20block_scan_algorithmE0ELj4294967295EEENS1_25partition_config_selectorILNS1_17partition_subalgoE4EjNS0_10empty_typeEbEEZZNS1_14partition_implILS8_4ELb0ES6_15HIP_vector_typeIjLj2EENS0_17counting_iteratorIjlEEPS9_SG_NS0_5tupleIJPjSI_NS0_16reverse_iteratorISI_EEEEENSH_IJSG_SG_SG_EEES9_SI_JZNS1_25segmented_radix_sort_implINS0_14default_configELb0EPKfPfPKlPlN2at6native12_GLOBAL__N_18offset_tEEE10hipError_tPvRmT1_PNSt15iterator_traitsIS12_E10value_typeET2_T3_PNS13_IS18_E10value_typeET4_jRbjT5_S1E_jjP12ihipStream_tbEUljE_ZNSN_ISO_Lb0ESQ_SR_ST_SU_SY_EESZ_S10_S11_S12_S16_S17_S18_S1B_S1C_jS1D_jS1E_S1E_jjS1G_bEUljE0_EEESZ_S10_S11_S18_S1C_S1E_T6_T7_T9_mT8_S1G_bDpT10_ENKUlT_T0_E_clISt17integral_constantIbLb1EES1U_EEDaS1P_S1Q_EUlS1P_E_NS1_11comp_targetILNS1_3genE10ELNS1_11target_archE1200ELNS1_3gpuE4ELNS1_3repE0EEENS1_30default_config_static_selectorELNS0_4arch9wavefront6targetE0EEEvS12_,"axG",@progbits,_ZN7rocprim17ROCPRIM_400000_NS6detail17trampoline_kernelINS0_13select_configILj256ELj13ELNS0_17block_load_methodE3ELS4_3ELS4_3ELNS0_20block_scan_algorithmE0ELj4294967295EEENS1_25partition_config_selectorILNS1_17partition_subalgoE4EjNS0_10empty_typeEbEEZZNS1_14partition_implILS8_4ELb0ES6_15HIP_vector_typeIjLj2EENS0_17counting_iteratorIjlEEPS9_SG_NS0_5tupleIJPjSI_NS0_16reverse_iteratorISI_EEEEENSH_IJSG_SG_SG_EEES9_SI_JZNS1_25segmented_radix_sort_implINS0_14default_configELb0EPKfPfPKlPlN2at6native12_GLOBAL__N_18offset_tEEE10hipError_tPvRmT1_PNSt15iterator_traitsIS12_E10value_typeET2_T3_PNS13_IS18_E10value_typeET4_jRbjT5_S1E_jjP12ihipStream_tbEUljE_ZNSN_ISO_Lb0ESQ_SR_ST_SU_SY_EESZ_S10_S11_S12_S16_S17_S18_S1B_S1C_jS1D_jS1E_S1E_jjS1G_bEUljE0_EEESZ_S10_S11_S18_S1C_S1E_T6_T7_T9_mT8_S1G_bDpT10_ENKUlT_T0_E_clISt17integral_constantIbLb1EES1U_EEDaS1P_S1Q_EUlS1P_E_NS1_11comp_targetILNS1_3genE10ELNS1_11target_archE1200ELNS1_3gpuE4ELNS1_3repE0EEENS1_30default_config_static_selectorELNS0_4arch9wavefront6targetE0EEEvS12_,comdat
	.globl	_ZN7rocprim17ROCPRIM_400000_NS6detail17trampoline_kernelINS0_13select_configILj256ELj13ELNS0_17block_load_methodE3ELS4_3ELS4_3ELNS0_20block_scan_algorithmE0ELj4294967295EEENS1_25partition_config_selectorILNS1_17partition_subalgoE4EjNS0_10empty_typeEbEEZZNS1_14partition_implILS8_4ELb0ES6_15HIP_vector_typeIjLj2EENS0_17counting_iteratorIjlEEPS9_SG_NS0_5tupleIJPjSI_NS0_16reverse_iteratorISI_EEEEENSH_IJSG_SG_SG_EEES9_SI_JZNS1_25segmented_radix_sort_implINS0_14default_configELb0EPKfPfPKlPlN2at6native12_GLOBAL__N_18offset_tEEE10hipError_tPvRmT1_PNSt15iterator_traitsIS12_E10value_typeET2_T3_PNS13_IS18_E10value_typeET4_jRbjT5_S1E_jjP12ihipStream_tbEUljE_ZNSN_ISO_Lb0ESQ_SR_ST_SU_SY_EESZ_S10_S11_S12_S16_S17_S18_S1B_S1C_jS1D_jS1E_S1E_jjS1G_bEUljE0_EEESZ_S10_S11_S18_S1C_S1E_T6_T7_T9_mT8_S1G_bDpT10_ENKUlT_T0_E_clISt17integral_constantIbLb1EES1U_EEDaS1P_S1Q_EUlS1P_E_NS1_11comp_targetILNS1_3genE10ELNS1_11target_archE1200ELNS1_3gpuE4ELNS1_3repE0EEENS1_30default_config_static_selectorELNS0_4arch9wavefront6targetE0EEEvS12_ ; -- Begin function _ZN7rocprim17ROCPRIM_400000_NS6detail17trampoline_kernelINS0_13select_configILj256ELj13ELNS0_17block_load_methodE3ELS4_3ELS4_3ELNS0_20block_scan_algorithmE0ELj4294967295EEENS1_25partition_config_selectorILNS1_17partition_subalgoE4EjNS0_10empty_typeEbEEZZNS1_14partition_implILS8_4ELb0ES6_15HIP_vector_typeIjLj2EENS0_17counting_iteratorIjlEEPS9_SG_NS0_5tupleIJPjSI_NS0_16reverse_iteratorISI_EEEEENSH_IJSG_SG_SG_EEES9_SI_JZNS1_25segmented_radix_sort_implINS0_14default_configELb0EPKfPfPKlPlN2at6native12_GLOBAL__N_18offset_tEEE10hipError_tPvRmT1_PNSt15iterator_traitsIS12_E10value_typeET2_T3_PNS13_IS18_E10value_typeET4_jRbjT5_S1E_jjP12ihipStream_tbEUljE_ZNSN_ISO_Lb0ESQ_SR_ST_SU_SY_EESZ_S10_S11_S12_S16_S17_S18_S1B_S1C_jS1D_jS1E_S1E_jjS1G_bEUljE0_EEESZ_S10_S11_S18_S1C_S1E_T6_T7_T9_mT8_S1G_bDpT10_ENKUlT_T0_E_clISt17integral_constantIbLb1EES1U_EEDaS1P_S1Q_EUlS1P_E_NS1_11comp_targetILNS1_3genE10ELNS1_11target_archE1200ELNS1_3gpuE4ELNS1_3repE0EEENS1_30default_config_static_selectorELNS0_4arch9wavefront6targetE0EEEvS12_
	.p2align	8
	.type	_ZN7rocprim17ROCPRIM_400000_NS6detail17trampoline_kernelINS0_13select_configILj256ELj13ELNS0_17block_load_methodE3ELS4_3ELS4_3ELNS0_20block_scan_algorithmE0ELj4294967295EEENS1_25partition_config_selectorILNS1_17partition_subalgoE4EjNS0_10empty_typeEbEEZZNS1_14partition_implILS8_4ELb0ES6_15HIP_vector_typeIjLj2EENS0_17counting_iteratorIjlEEPS9_SG_NS0_5tupleIJPjSI_NS0_16reverse_iteratorISI_EEEEENSH_IJSG_SG_SG_EEES9_SI_JZNS1_25segmented_radix_sort_implINS0_14default_configELb0EPKfPfPKlPlN2at6native12_GLOBAL__N_18offset_tEEE10hipError_tPvRmT1_PNSt15iterator_traitsIS12_E10value_typeET2_T3_PNS13_IS18_E10value_typeET4_jRbjT5_S1E_jjP12ihipStream_tbEUljE_ZNSN_ISO_Lb0ESQ_SR_ST_SU_SY_EESZ_S10_S11_S12_S16_S17_S18_S1B_S1C_jS1D_jS1E_S1E_jjS1G_bEUljE0_EEESZ_S10_S11_S18_S1C_S1E_T6_T7_T9_mT8_S1G_bDpT10_ENKUlT_T0_E_clISt17integral_constantIbLb1EES1U_EEDaS1P_S1Q_EUlS1P_E_NS1_11comp_targetILNS1_3genE10ELNS1_11target_archE1200ELNS1_3gpuE4ELNS1_3repE0EEENS1_30default_config_static_selectorELNS0_4arch9wavefront6targetE0EEEvS12_,@function
_ZN7rocprim17ROCPRIM_400000_NS6detail17trampoline_kernelINS0_13select_configILj256ELj13ELNS0_17block_load_methodE3ELS4_3ELS4_3ELNS0_20block_scan_algorithmE0ELj4294967295EEENS1_25partition_config_selectorILNS1_17partition_subalgoE4EjNS0_10empty_typeEbEEZZNS1_14partition_implILS8_4ELb0ES6_15HIP_vector_typeIjLj2EENS0_17counting_iteratorIjlEEPS9_SG_NS0_5tupleIJPjSI_NS0_16reverse_iteratorISI_EEEEENSH_IJSG_SG_SG_EEES9_SI_JZNS1_25segmented_radix_sort_implINS0_14default_configELb0EPKfPfPKlPlN2at6native12_GLOBAL__N_18offset_tEEE10hipError_tPvRmT1_PNSt15iterator_traitsIS12_E10value_typeET2_T3_PNS13_IS18_E10value_typeET4_jRbjT5_S1E_jjP12ihipStream_tbEUljE_ZNSN_ISO_Lb0ESQ_SR_ST_SU_SY_EESZ_S10_S11_S12_S16_S17_S18_S1B_S1C_jS1D_jS1E_S1E_jjS1G_bEUljE0_EEESZ_S10_S11_S18_S1C_S1E_T6_T7_T9_mT8_S1G_bDpT10_ENKUlT_T0_E_clISt17integral_constantIbLb1EES1U_EEDaS1P_S1Q_EUlS1P_E_NS1_11comp_targetILNS1_3genE10ELNS1_11target_archE1200ELNS1_3gpuE4ELNS1_3repE0EEENS1_30default_config_static_selectorELNS0_4arch9wavefront6targetE0EEEvS12_: ; @_ZN7rocprim17ROCPRIM_400000_NS6detail17trampoline_kernelINS0_13select_configILj256ELj13ELNS0_17block_load_methodE3ELS4_3ELS4_3ELNS0_20block_scan_algorithmE0ELj4294967295EEENS1_25partition_config_selectorILNS1_17partition_subalgoE4EjNS0_10empty_typeEbEEZZNS1_14partition_implILS8_4ELb0ES6_15HIP_vector_typeIjLj2EENS0_17counting_iteratorIjlEEPS9_SG_NS0_5tupleIJPjSI_NS0_16reverse_iteratorISI_EEEEENSH_IJSG_SG_SG_EEES9_SI_JZNS1_25segmented_radix_sort_implINS0_14default_configELb0EPKfPfPKlPlN2at6native12_GLOBAL__N_18offset_tEEE10hipError_tPvRmT1_PNSt15iterator_traitsIS12_E10value_typeET2_T3_PNS13_IS18_E10value_typeET4_jRbjT5_S1E_jjP12ihipStream_tbEUljE_ZNSN_ISO_Lb0ESQ_SR_ST_SU_SY_EESZ_S10_S11_S12_S16_S17_S18_S1B_S1C_jS1D_jS1E_S1E_jjS1G_bEUljE0_EEESZ_S10_S11_S18_S1C_S1E_T6_T7_T9_mT8_S1G_bDpT10_ENKUlT_T0_E_clISt17integral_constantIbLb1EES1U_EEDaS1P_S1Q_EUlS1P_E_NS1_11comp_targetILNS1_3genE10ELNS1_11target_archE1200ELNS1_3gpuE4ELNS1_3repE0EEENS1_30default_config_static_selectorELNS0_4arch9wavefront6targetE0EEEvS12_
; %bb.0:
	.section	.rodata,"a",@progbits
	.p2align	6, 0x0
	.amdhsa_kernel _ZN7rocprim17ROCPRIM_400000_NS6detail17trampoline_kernelINS0_13select_configILj256ELj13ELNS0_17block_load_methodE3ELS4_3ELS4_3ELNS0_20block_scan_algorithmE0ELj4294967295EEENS1_25partition_config_selectorILNS1_17partition_subalgoE4EjNS0_10empty_typeEbEEZZNS1_14partition_implILS8_4ELb0ES6_15HIP_vector_typeIjLj2EENS0_17counting_iteratorIjlEEPS9_SG_NS0_5tupleIJPjSI_NS0_16reverse_iteratorISI_EEEEENSH_IJSG_SG_SG_EEES9_SI_JZNS1_25segmented_radix_sort_implINS0_14default_configELb0EPKfPfPKlPlN2at6native12_GLOBAL__N_18offset_tEEE10hipError_tPvRmT1_PNSt15iterator_traitsIS12_E10value_typeET2_T3_PNS13_IS18_E10value_typeET4_jRbjT5_S1E_jjP12ihipStream_tbEUljE_ZNSN_ISO_Lb0ESQ_SR_ST_SU_SY_EESZ_S10_S11_S12_S16_S17_S18_S1B_S1C_jS1D_jS1E_S1E_jjS1G_bEUljE0_EEESZ_S10_S11_S18_S1C_S1E_T6_T7_T9_mT8_S1G_bDpT10_ENKUlT_T0_E_clISt17integral_constantIbLb1EES1U_EEDaS1P_S1Q_EUlS1P_E_NS1_11comp_targetILNS1_3genE10ELNS1_11target_archE1200ELNS1_3gpuE4ELNS1_3repE0EEENS1_30default_config_static_selectorELNS0_4arch9wavefront6targetE0EEEvS12_
		.amdhsa_group_segment_fixed_size 0
		.amdhsa_private_segment_fixed_size 0
		.amdhsa_kernarg_size 184
		.amdhsa_user_sgpr_count 6
		.amdhsa_user_sgpr_private_segment_buffer 1
		.amdhsa_user_sgpr_dispatch_ptr 0
		.amdhsa_user_sgpr_queue_ptr 0
		.amdhsa_user_sgpr_kernarg_segment_ptr 1
		.amdhsa_user_sgpr_dispatch_id 0
		.amdhsa_user_sgpr_flat_scratch_init 0
		.amdhsa_user_sgpr_private_segment_size 0
		.amdhsa_wavefront_size32 1
		.amdhsa_uses_dynamic_stack 0
		.amdhsa_system_sgpr_private_segment_wavefront_offset 0
		.amdhsa_system_sgpr_workgroup_id_x 1
		.amdhsa_system_sgpr_workgroup_id_y 0
		.amdhsa_system_sgpr_workgroup_id_z 0
		.amdhsa_system_sgpr_workgroup_info 0
		.amdhsa_system_vgpr_workitem_id 0
		.amdhsa_next_free_vgpr 1
		.amdhsa_next_free_sgpr 1
		.amdhsa_reserve_vcc 0
		.amdhsa_reserve_flat_scratch 0
		.amdhsa_float_round_mode_32 0
		.amdhsa_float_round_mode_16_64 0
		.amdhsa_float_denorm_mode_32 3
		.amdhsa_float_denorm_mode_16_64 3
		.amdhsa_dx10_clamp 1
		.amdhsa_ieee_mode 1
		.amdhsa_fp16_overflow 0
		.amdhsa_workgroup_processor_mode 1
		.amdhsa_memory_ordered 1
		.amdhsa_forward_progress 1
		.amdhsa_shared_vgpr_count 0
		.amdhsa_exception_fp_ieee_invalid_op 0
		.amdhsa_exception_fp_denorm_src 0
		.amdhsa_exception_fp_ieee_div_zero 0
		.amdhsa_exception_fp_ieee_overflow 0
		.amdhsa_exception_fp_ieee_underflow 0
		.amdhsa_exception_fp_ieee_inexact 0
		.amdhsa_exception_int_div_zero 0
	.end_amdhsa_kernel
	.section	.text._ZN7rocprim17ROCPRIM_400000_NS6detail17trampoline_kernelINS0_13select_configILj256ELj13ELNS0_17block_load_methodE3ELS4_3ELS4_3ELNS0_20block_scan_algorithmE0ELj4294967295EEENS1_25partition_config_selectorILNS1_17partition_subalgoE4EjNS0_10empty_typeEbEEZZNS1_14partition_implILS8_4ELb0ES6_15HIP_vector_typeIjLj2EENS0_17counting_iteratorIjlEEPS9_SG_NS0_5tupleIJPjSI_NS0_16reverse_iteratorISI_EEEEENSH_IJSG_SG_SG_EEES9_SI_JZNS1_25segmented_radix_sort_implINS0_14default_configELb0EPKfPfPKlPlN2at6native12_GLOBAL__N_18offset_tEEE10hipError_tPvRmT1_PNSt15iterator_traitsIS12_E10value_typeET2_T3_PNS13_IS18_E10value_typeET4_jRbjT5_S1E_jjP12ihipStream_tbEUljE_ZNSN_ISO_Lb0ESQ_SR_ST_SU_SY_EESZ_S10_S11_S12_S16_S17_S18_S1B_S1C_jS1D_jS1E_S1E_jjS1G_bEUljE0_EEESZ_S10_S11_S18_S1C_S1E_T6_T7_T9_mT8_S1G_bDpT10_ENKUlT_T0_E_clISt17integral_constantIbLb1EES1U_EEDaS1P_S1Q_EUlS1P_E_NS1_11comp_targetILNS1_3genE10ELNS1_11target_archE1200ELNS1_3gpuE4ELNS1_3repE0EEENS1_30default_config_static_selectorELNS0_4arch9wavefront6targetE0EEEvS12_,"axG",@progbits,_ZN7rocprim17ROCPRIM_400000_NS6detail17trampoline_kernelINS0_13select_configILj256ELj13ELNS0_17block_load_methodE3ELS4_3ELS4_3ELNS0_20block_scan_algorithmE0ELj4294967295EEENS1_25partition_config_selectorILNS1_17partition_subalgoE4EjNS0_10empty_typeEbEEZZNS1_14partition_implILS8_4ELb0ES6_15HIP_vector_typeIjLj2EENS0_17counting_iteratorIjlEEPS9_SG_NS0_5tupleIJPjSI_NS0_16reverse_iteratorISI_EEEEENSH_IJSG_SG_SG_EEES9_SI_JZNS1_25segmented_radix_sort_implINS0_14default_configELb0EPKfPfPKlPlN2at6native12_GLOBAL__N_18offset_tEEE10hipError_tPvRmT1_PNSt15iterator_traitsIS12_E10value_typeET2_T3_PNS13_IS18_E10value_typeET4_jRbjT5_S1E_jjP12ihipStream_tbEUljE_ZNSN_ISO_Lb0ESQ_SR_ST_SU_SY_EESZ_S10_S11_S12_S16_S17_S18_S1B_S1C_jS1D_jS1E_S1E_jjS1G_bEUljE0_EEESZ_S10_S11_S18_S1C_S1E_T6_T7_T9_mT8_S1G_bDpT10_ENKUlT_T0_E_clISt17integral_constantIbLb1EES1U_EEDaS1P_S1Q_EUlS1P_E_NS1_11comp_targetILNS1_3genE10ELNS1_11target_archE1200ELNS1_3gpuE4ELNS1_3repE0EEENS1_30default_config_static_selectorELNS0_4arch9wavefront6targetE0EEEvS12_,comdat
.Lfunc_end1369:
	.size	_ZN7rocprim17ROCPRIM_400000_NS6detail17trampoline_kernelINS0_13select_configILj256ELj13ELNS0_17block_load_methodE3ELS4_3ELS4_3ELNS0_20block_scan_algorithmE0ELj4294967295EEENS1_25partition_config_selectorILNS1_17partition_subalgoE4EjNS0_10empty_typeEbEEZZNS1_14partition_implILS8_4ELb0ES6_15HIP_vector_typeIjLj2EENS0_17counting_iteratorIjlEEPS9_SG_NS0_5tupleIJPjSI_NS0_16reverse_iteratorISI_EEEEENSH_IJSG_SG_SG_EEES9_SI_JZNS1_25segmented_radix_sort_implINS0_14default_configELb0EPKfPfPKlPlN2at6native12_GLOBAL__N_18offset_tEEE10hipError_tPvRmT1_PNSt15iterator_traitsIS12_E10value_typeET2_T3_PNS13_IS18_E10value_typeET4_jRbjT5_S1E_jjP12ihipStream_tbEUljE_ZNSN_ISO_Lb0ESQ_SR_ST_SU_SY_EESZ_S10_S11_S12_S16_S17_S18_S1B_S1C_jS1D_jS1E_S1E_jjS1G_bEUljE0_EEESZ_S10_S11_S18_S1C_S1E_T6_T7_T9_mT8_S1G_bDpT10_ENKUlT_T0_E_clISt17integral_constantIbLb1EES1U_EEDaS1P_S1Q_EUlS1P_E_NS1_11comp_targetILNS1_3genE10ELNS1_11target_archE1200ELNS1_3gpuE4ELNS1_3repE0EEENS1_30default_config_static_selectorELNS0_4arch9wavefront6targetE0EEEvS12_, .Lfunc_end1369-_ZN7rocprim17ROCPRIM_400000_NS6detail17trampoline_kernelINS0_13select_configILj256ELj13ELNS0_17block_load_methodE3ELS4_3ELS4_3ELNS0_20block_scan_algorithmE0ELj4294967295EEENS1_25partition_config_selectorILNS1_17partition_subalgoE4EjNS0_10empty_typeEbEEZZNS1_14partition_implILS8_4ELb0ES6_15HIP_vector_typeIjLj2EENS0_17counting_iteratorIjlEEPS9_SG_NS0_5tupleIJPjSI_NS0_16reverse_iteratorISI_EEEEENSH_IJSG_SG_SG_EEES9_SI_JZNS1_25segmented_radix_sort_implINS0_14default_configELb0EPKfPfPKlPlN2at6native12_GLOBAL__N_18offset_tEEE10hipError_tPvRmT1_PNSt15iterator_traitsIS12_E10value_typeET2_T3_PNS13_IS18_E10value_typeET4_jRbjT5_S1E_jjP12ihipStream_tbEUljE_ZNSN_ISO_Lb0ESQ_SR_ST_SU_SY_EESZ_S10_S11_S12_S16_S17_S18_S1B_S1C_jS1D_jS1E_S1E_jjS1G_bEUljE0_EEESZ_S10_S11_S18_S1C_S1E_T6_T7_T9_mT8_S1G_bDpT10_ENKUlT_T0_E_clISt17integral_constantIbLb1EES1U_EEDaS1P_S1Q_EUlS1P_E_NS1_11comp_targetILNS1_3genE10ELNS1_11target_archE1200ELNS1_3gpuE4ELNS1_3repE0EEENS1_30default_config_static_selectorELNS0_4arch9wavefront6targetE0EEEvS12_
                                        ; -- End function
	.set _ZN7rocprim17ROCPRIM_400000_NS6detail17trampoline_kernelINS0_13select_configILj256ELj13ELNS0_17block_load_methodE3ELS4_3ELS4_3ELNS0_20block_scan_algorithmE0ELj4294967295EEENS1_25partition_config_selectorILNS1_17partition_subalgoE4EjNS0_10empty_typeEbEEZZNS1_14partition_implILS8_4ELb0ES6_15HIP_vector_typeIjLj2EENS0_17counting_iteratorIjlEEPS9_SG_NS0_5tupleIJPjSI_NS0_16reverse_iteratorISI_EEEEENSH_IJSG_SG_SG_EEES9_SI_JZNS1_25segmented_radix_sort_implINS0_14default_configELb0EPKfPfPKlPlN2at6native12_GLOBAL__N_18offset_tEEE10hipError_tPvRmT1_PNSt15iterator_traitsIS12_E10value_typeET2_T3_PNS13_IS18_E10value_typeET4_jRbjT5_S1E_jjP12ihipStream_tbEUljE_ZNSN_ISO_Lb0ESQ_SR_ST_SU_SY_EESZ_S10_S11_S12_S16_S17_S18_S1B_S1C_jS1D_jS1E_S1E_jjS1G_bEUljE0_EEESZ_S10_S11_S18_S1C_S1E_T6_T7_T9_mT8_S1G_bDpT10_ENKUlT_T0_E_clISt17integral_constantIbLb1EES1U_EEDaS1P_S1Q_EUlS1P_E_NS1_11comp_targetILNS1_3genE10ELNS1_11target_archE1200ELNS1_3gpuE4ELNS1_3repE0EEENS1_30default_config_static_selectorELNS0_4arch9wavefront6targetE0EEEvS12_.num_vgpr, 0
	.set _ZN7rocprim17ROCPRIM_400000_NS6detail17trampoline_kernelINS0_13select_configILj256ELj13ELNS0_17block_load_methodE3ELS4_3ELS4_3ELNS0_20block_scan_algorithmE0ELj4294967295EEENS1_25partition_config_selectorILNS1_17partition_subalgoE4EjNS0_10empty_typeEbEEZZNS1_14partition_implILS8_4ELb0ES6_15HIP_vector_typeIjLj2EENS0_17counting_iteratorIjlEEPS9_SG_NS0_5tupleIJPjSI_NS0_16reverse_iteratorISI_EEEEENSH_IJSG_SG_SG_EEES9_SI_JZNS1_25segmented_radix_sort_implINS0_14default_configELb0EPKfPfPKlPlN2at6native12_GLOBAL__N_18offset_tEEE10hipError_tPvRmT1_PNSt15iterator_traitsIS12_E10value_typeET2_T3_PNS13_IS18_E10value_typeET4_jRbjT5_S1E_jjP12ihipStream_tbEUljE_ZNSN_ISO_Lb0ESQ_SR_ST_SU_SY_EESZ_S10_S11_S12_S16_S17_S18_S1B_S1C_jS1D_jS1E_S1E_jjS1G_bEUljE0_EEESZ_S10_S11_S18_S1C_S1E_T6_T7_T9_mT8_S1G_bDpT10_ENKUlT_T0_E_clISt17integral_constantIbLb1EES1U_EEDaS1P_S1Q_EUlS1P_E_NS1_11comp_targetILNS1_3genE10ELNS1_11target_archE1200ELNS1_3gpuE4ELNS1_3repE0EEENS1_30default_config_static_selectorELNS0_4arch9wavefront6targetE0EEEvS12_.num_agpr, 0
	.set _ZN7rocprim17ROCPRIM_400000_NS6detail17trampoline_kernelINS0_13select_configILj256ELj13ELNS0_17block_load_methodE3ELS4_3ELS4_3ELNS0_20block_scan_algorithmE0ELj4294967295EEENS1_25partition_config_selectorILNS1_17partition_subalgoE4EjNS0_10empty_typeEbEEZZNS1_14partition_implILS8_4ELb0ES6_15HIP_vector_typeIjLj2EENS0_17counting_iteratorIjlEEPS9_SG_NS0_5tupleIJPjSI_NS0_16reverse_iteratorISI_EEEEENSH_IJSG_SG_SG_EEES9_SI_JZNS1_25segmented_radix_sort_implINS0_14default_configELb0EPKfPfPKlPlN2at6native12_GLOBAL__N_18offset_tEEE10hipError_tPvRmT1_PNSt15iterator_traitsIS12_E10value_typeET2_T3_PNS13_IS18_E10value_typeET4_jRbjT5_S1E_jjP12ihipStream_tbEUljE_ZNSN_ISO_Lb0ESQ_SR_ST_SU_SY_EESZ_S10_S11_S12_S16_S17_S18_S1B_S1C_jS1D_jS1E_S1E_jjS1G_bEUljE0_EEESZ_S10_S11_S18_S1C_S1E_T6_T7_T9_mT8_S1G_bDpT10_ENKUlT_T0_E_clISt17integral_constantIbLb1EES1U_EEDaS1P_S1Q_EUlS1P_E_NS1_11comp_targetILNS1_3genE10ELNS1_11target_archE1200ELNS1_3gpuE4ELNS1_3repE0EEENS1_30default_config_static_selectorELNS0_4arch9wavefront6targetE0EEEvS12_.numbered_sgpr, 0
	.set _ZN7rocprim17ROCPRIM_400000_NS6detail17trampoline_kernelINS0_13select_configILj256ELj13ELNS0_17block_load_methodE3ELS4_3ELS4_3ELNS0_20block_scan_algorithmE0ELj4294967295EEENS1_25partition_config_selectorILNS1_17partition_subalgoE4EjNS0_10empty_typeEbEEZZNS1_14partition_implILS8_4ELb0ES6_15HIP_vector_typeIjLj2EENS0_17counting_iteratorIjlEEPS9_SG_NS0_5tupleIJPjSI_NS0_16reverse_iteratorISI_EEEEENSH_IJSG_SG_SG_EEES9_SI_JZNS1_25segmented_radix_sort_implINS0_14default_configELb0EPKfPfPKlPlN2at6native12_GLOBAL__N_18offset_tEEE10hipError_tPvRmT1_PNSt15iterator_traitsIS12_E10value_typeET2_T3_PNS13_IS18_E10value_typeET4_jRbjT5_S1E_jjP12ihipStream_tbEUljE_ZNSN_ISO_Lb0ESQ_SR_ST_SU_SY_EESZ_S10_S11_S12_S16_S17_S18_S1B_S1C_jS1D_jS1E_S1E_jjS1G_bEUljE0_EEESZ_S10_S11_S18_S1C_S1E_T6_T7_T9_mT8_S1G_bDpT10_ENKUlT_T0_E_clISt17integral_constantIbLb1EES1U_EEDaS1P_S1Q_EUlS1P_E_NS1_11comp_targetILNS1_3genE10ELNS1_11target_archE1200ELNS1_3gpuE4ELNS1_3repE0EEENS1_30default_config_static_selectorELNS0_4arch9wavefront6targetE0EEEvS12_.num_named_barrier, 0
	.set _ZN7rocprim17ROCPRIM_400000_NS6detail17trampoline_kernelINS0_13select_configILj256ELj13ELNS0_17block_load_methodE3ELS4_3ELS4_3ELNS0_20block_scan_algorithmE0ELj4294967295EEENS1_25partition_config_selectorILNS1_17partition_subalgoE4EjNS0_10empty_typeEbEEZZNS1_14partition_implILS8_4ELb0ES6_15HIP_vector_typeIjLj2EENS0_17counting_iteratorIjlEEPS9_SG_NS0_5tupleIJPjSI_NS0_16reverse_iteratorISI_EEEEENSH_IJSG_SG_SG_EEES9_SI_JZNS1_25segmented_radix_sort_implINS0_14default_configELb0EPKfPfPKlPlN2at6native12_GLOBAL__N_18offset_tEEE10hipError_tPvRmT1_PNSt15iterator_traitsIS12_E10value_typeET2_T3_PNS13_IS18_E10value_typeET4_jRbjT5_S1E_jjP12ihipStream_tbEUljE_ZNSN_ISO_Lb0ESQ_SR_ST_SU_SY_EESZ_S10_S11_S12_S16_S17_S18_S1B_S1C_jS1D_jS1E_S1E_jjS1G_bEUljE0_EEESZ_S10_S11_S18_S1C_S1E_T6_T7_T9_mT8_S1G_bDpT10_ENKUlT_T0_E_clISt17integral_constantIbLb1EES1U_EEDaS1P_S1Q_EUlS1P_E_NS1_11comp_targetILNS1_3genE10ELNS1_11target_archE1200ELNS1_3gpuE4ELNS1_3repE0EEENS1_30default_config_static_selectorELNS0_4arch9wavefront6targetE0EEEvS12_.private_seg_size, 0
	.set _ZN7rocprim17ROCPRIM_400000_NS6detail17trampoline_kernelINS0_13select_configILj256ELj13ELNS0_17block_load_methodE3ELS4_3ELS4_3ELNS0_20block_scan_algorithmE0ELj4294967295EEENS1_25partition_config_selectorILNS1_17partition_subalgoE4EjNS0_10empty_typeEbEEZZNS1_14partition_implILS8_4ELb0ES6_15HIP_vector_typeIjLj2EENS0_17counting_iteratorIjlEEPS9_SG_NS0_5tupleIJPjSI_NS0_16reverse_iteratorISI_EEEEENSH_IJSG_SG_SG_EEES9_SI_JZNS1_25segmented_radix_sort_implINS0_14default_configELb0EPKfPfPKlPlN2at6native12_GLOBAL__N_18offset_tEEE10hipError_tPvRmT1_PNSt15iterator_traitsIS12_E10value_typeET2_T3_PNS13_IS18_E10value_typeET4_jRbjT5_S1E_jjP12ihipStream_tbEUljE_ZNSN_ISO_Lb0ESQ_SR_ST_SU_SY_EESZ_S10_S11_S12_S16_S17_S18_S1B_S1C_jS1D_jS1E_S1E_jjS1G_bEUljE0_EEESZ_S10_S11_S18_S1C_S1E_T6_T7_T9_mT8_S1G_bDpT10_ENKUlT_T0_E_clISt17integral_constantIbLb1EES1U_EEDaS1P_S1Q_EUlS1P_E_NS1_11comp_targetILNS1_3genE10ELNS1_11target_archE1200ELNS1_3gpuE4ELNS1_3repE0EEENS1_30default_config_static_selectorELNS0_4arch9wavefront6targetE0EEEvS12_.uses_vcc, 0
	.set _ZN7rocprim17ROCPRIM_400000_NS6detail17trampoline_kernelINS0_13select_configILj256ELj13ELNS0_17block_load_methodE3ELS4_3ELS4_3ELNS0_20block_scan_algorithmE0ELj4294967295EEENS1_25partition_config_selectorILNS1_17partition_subalgoE4EjNS0_10empty_typeEbEEZZNS1_14partition_implILS8_4ELb0ES6_15HIP_vector_typeIjLj2EENS0_17counting_iteratorIjlEEPS9_SG_NS0_5tupleIJPjSI_NS0_16reverse_iteratorISI_EEEEENSH_IJSG_SG_SG_EEES9_SI_JZNS1_25segmented_radix_sort_implINS0_14default_configELb0EPKfPfPKlPlN2at6native12_GLOBAL__N_18offset_tEEE10hipError_tPvRmT1_PNSt15iterator_traitsIS12_E10value_typeET2_T3_PNS13_IS18_E10value_typeET4_jRbjT5_S1E_jjP12ihipStream_tbEUljE_ZNSN_ISO_Lb0ESQ_SR_ST_SU_SY_EESZ_S10_S11_S12_S16_S17_S18_S1B_S1C_jS1D_jS1E_S1E_jjS1G_bEUljE0_EEESZ_S10_S11_S18_S1C_S1E_T6_T7_T9_mT8_S1G_bDpT10_ENKUlT_T0_E_clISt17integral_constantIbLb1EES1U_EEDaS1P_S1Q_EUlS1P_E_NS1_11comp_targetILNS1_3genE10ELNS1_11target_archE1200ELNS1_3gpuE4ELNS1_3repE0EEENS1_30default_config_static_selectorELNS0_4arch9wavefront6targetE0EEEvS12_.uses_flat_scratch, 0
	.set _ZN7rocprim17ROCPRIM_400000_NS6detail17trampoline_kernelINS0_13select_configILj256ELj13ELNS0_17block_load_methodE3ELS4_3ELS4_3ELNS0_20block_scan_algorithmE0ELj4294967295EEENS1_25partition_config_selectorILNS1_17partition_subalgoE4EjNS0_10empty_typeEbEEZZNS1_14partition_implILS8_4ELb0ES6_15HIP_vector_typeIjLj2EENS0_17counting_iteratorIjlEEPS9_SG_NS0_5tupleIJPjSI_NS0_16reverse_iteratorISI_EEEEENSH_IJSG_SG_SG_EEES9_SI_JZNS1_25segmented_radix_sort_implINS0_14default_configELb0EPKfPfPKlPlN2at6native12_GLOBAL__N_18offset_tEEE10hipError_tPvRmT1_PNSt15iterator_traitsIS12_E10value_typeET2_T3_PNS13_IS18_E10value_typeET4_jRbjT5_S1E_jjP12ihipStream_tbEUljE_ZNSN_ISO_Lb0ESQ_SR_ST_SU_SY_EESZ_S10_S11_S12_S16_S17_S18_S1B_S1C_jS1D_jS1E_S1E_jjS1G_bEUljE0_EEESZ_S10_S11_S18_S1C_S1E_T6_T7_T9_mT8_S1G_bDpT10_ENKUlT_T0_E_clISt17integral_constantIbLb1EES1U_EEDaS1P_S1Q_EUlS1P_E_NS1_11comp_targetILNS1_3genE10ELNS1_11target_archE1200ELNS1_3gpuE4ELNS1_3repE0EEENS1_30default_config_static_selectorELNS0_4arch9wavefront6targetE0EEEvS12_.has_dyn_sized_stack, 0
	.set _ZN7rocprim17ROCPRIM_400000_NS6detail17trampoline_kernelINS0_13select_configILj256ELj13ELNS0_17block_load_methodE3ELS4_3ELS4_3ELNS0_20block_scan_algorithmE0ELj4294967295EEENS1_25partition_config_selectorILNS1_17partition_subalgoE4EjNS0_10empty_typeEbEEZZNS1_14partition_implILS8_4ELb0ES6_15HIP_vector_typeIjLj2EENS0_17counting_iteratorIjlEEPS9_SG_NS0_5tupleIJPjSI_NS0_16reverse_iteratorISI_EEEEENSH_IJSG_SG_SG_EEES9_SI_JZNS1_25segmented_radix_sort_implINS0_14default_configELb0EPKfPfPKlPlN2at6native12_GLOBAL__N_18offset_tEEE10hipError_tPvRmT1_PNSt15iterator_traitsIS12_E10value_typeET2_T3_PNS13_IS18_E10value_typeET4_jRbjT5_S1E_jjP12ihipStream_tbEUljE_ZNSN_ISO_Lb0ESQ_SR_ST_SU_SY_EESZ_S10_S11_S12_S16_S17_S18_S1B_S1C_jS1D_jS1E_S1E_jjS1G_bEUljE0_EEESZ_S10_S11_S18_S1C_S1E_T6_T7_T9_mT8_S1G_bDpT10_ENKUlT_T0_E_clISt17integral_constantIbLb1EES1U_EEDaS1P_S1Q_EUlS1P_E_NS1_11comp_targetILNS1_3genE10ELNS1_11target_archE1200ELNS1_3gpuE4ELNS1_3repE0EEENS1_30default_config_static_selectorELNS0_4arch9wavefront6targetE0EEEvS12_.has_recursion, 0
	.set _ZN7rocprim17ROCPRIM_400000_NS6detail17trampoline_kernelINS0_13select_configILj256ELj13ELNS0_17block_load_methodE3ELS4_3ELS4_3ELNS0_20block_scan_algorithmE0ELj4294967295EEENS1_25partition_config_selectorILNS1_17partition_subalgoE4EjNS0_10empty_typeEbEEZZNS1_14partition_implILS8_4ELb0ES6_15HIP_vector_typeIjLj2EENS0_17counting_iteratorIjlEEPS9_SG_NS0_5tupleIJPjSI_NS0_16reverse_iteratorISI_EEEEENSH_IJSG_SG_SG_EEES9_SI_JZNS1_25segmented_radix_sort_implINS0_14default_configELb0EPKfPfPKlPlN2at6native12_GLOBAL__N_18offset_tEEE10hipError_tPvRmT1_PNSt15iterator_traitsIS12_E10value_typeET2_T3_PNS13_IS18_E10value_typeET4_jRbjT5_S1E_jjP12ihipStream_tbEUljE_ZNSN_ISO_Lb0ESQ_SR_ST_SU_SY_EESZ_S10_S11_S12_S16_S17_S18_S1B_S1C_jS1D_jS1E_S1E_jjS1G_bEUljE0_EEESZ_S10_S11_S18_S1C_S1E_T6_T7_T9_mT8_S1G_bDpT10_ENKUlT_T0_E_clISt17integral_constantIbLb1EES1U_EEDaS1P_S1Q_EUlS1P_E_NS1_11comp_targetILNS1_3genE10ELNS1_11target_archE1200ELNS1_3gpuE4ELNS1_3repE0EEENS1_30default_config_static_selectorELNS0_4arch9wavefront6targetE0EEEvS12_.has_indirect_call, 0
	.section	.AMDGPU.csdata,"",@progbits
; Kernel info:
; codeLenInByte = 0
; TotalNumSgprs: 0
; NumVgprs: 0
; ScratchSize: 0
; MemoryBound: 0
; FloatMode: 240
; IeeeMode: 1
; LDSByteSize: 0 bytes/workgroup (compile time only)
; SGPRBlocks: 0
; VGPRBlocks: 0
; NumSGPRsForWavesPerEU: 1
; NumVGPRsForWavesPerEU: 1
; Occupancy: 16
; WaveLimiterHint : 0
; COMPUTE_PGM_RSRC2:SCRATCH_EN: 0
; COMPUTE_PGM_RSRC2:USER_SGPR: 6
; COMPUTE_PGM_RSRC2:TRAP_HANDLER: 0
; COMPUTE_PGM_RSRC2:TGID_X_EN: 1
; COMPUTE_PGM_RSRC2:TGID_Y_EN: 0
; COMPUTE_PGM_RSRC2:TGID_Z_EN: 0
; COMPUTE_PGM_RSRC2:TIDIG_COMP_CNT: 0
	.section	.text._ZN7rocprim17ROCPRIM_400000_NS6detail17trampoline_kernelINS0_13select_configILj256ELj13ELNS0_17block_load_methodE3ELS4_3ELS4_3ELNS0_20block_scan_algorithmE0ELj4294967295EEENS1_25partition_config_selectorILNS1_17partition_subalgoE4EjNS0_10empty_typeEbEEZZNS1_14partition_implILS8_4ELb0ES6_15HIP_vector_typeIjLj2EENS0_17counting_iteratorIjlEEPS9_SG_NS0_5tupleIJPjSI_NS0_16reverse_iteratorISI_EEEEENSH_IJSG_SG_SG_EEES9_SI_JZNS1_25segmented_radix_sort_implINS0_14default_configELb0EPKfPfPKlPlN2at6native12_GLOBAL__N_18offset_tEEE10hipError_tPvRmT1_PNSt15iterator_traitsIS12_E10value_typeET2_T3_PNS13_IS18_E10value_typeET4_jRbjT5_S1E_jjP12ihipStream_tbEUljE_ZNSN_ISO_Lb0ESQ_SR_ST_SU_SY_EESZ_S10_S11_S12_S16_S17_S18_S1B_S1C_jS1D_jS1E_S1E_jjS1G_bEUljE0_EEESZ_S10_S11_S18_S1C_S1E_T6_T7_T9_mT8_S1G_bDpT10_ENKUlT_T0_E_clISt17integral_constantIbLb1EES1U_EEDaS1P_S1Q_EUlS1P_E_NS1_11comp_targetILNS1_3genE9ELNS1_11target_archE1100ELNS1_3gpuE3ELNS1_3repE0EEENS1_30default_config_static_selectorELNS0_4arch9wavefront6targetE0EEEvS12_,"axG",@progbits,_ZN7rocprim17ROCPRIM_400000_NS6detail17trampoline_kernelINS0_13select_configILj256ELj13ELNS0_17block_load_methodE3ELS4_3ELS4_3ELNS0_20block_scan_algorithmE0ELj4294967295EEENS1_25partition_config_selectorILNS1_17partition_subalgoE4EjNS0_10empty_typeEbEEZZNS1_14partition_implILS8_4ELb0ES6_15HIP_vector_typeIjLj2EENS0_17counting_iteratorIjlEEPS9_SG_NS0_5tupleIJPjSI_NS0_16reverse_iteratorISI_EEEEENSH_IJSG_SG_SG_EEES9_SI_JZNS1_25segmented_radix_sort_implINS0_14default_configELb0EPKfPfPKlPlN2at6native12_GLOBAL__N_18offset_tEEE10hipError_tPvRmT1_PNSt15iterator_traitsIS12_E10value_typeET2_T3_PNS13_IS18_E10value_typeET4_jRbjT5_S1E_jjP12ihipStream_tbEUljE_ZNSN_ISO_Lb0ESQ_SR_ST_SU_SY_EESZ_S10_S11_S12_S16_S17_S18_S1B_S1C_jS1D_jS1E_S1E_jjS1G_bEUljE0_EEESZ_S10_S11_S18_S1C_S1E_T6_T7_T9_mT8_S1G_bDpT10_ENKUlT_T0_E_clISt17integral_constantIbLb1EES1U_EEDaS1P_S1Q_EUlS1P_E_NS1_11comp_targetILNS1_3genE9ELNS1_11target_archE1100ELNS1_3gpuE3ELNS1_3repE0EEENS1_30default_config_static_selectorELNS0_4arch9wavefront6targetE0EEEvS12_,comdat
	.globl	_ZN7rocprim17ROCPRIM_400000_NS6detail17trampoline_kernelINS0_13select_configILj256ELj13ELNS0_17block_load_methodE3ELS4_3ELS4_3ELNS0_20block_scan_algorithmE0ELj4294967295EEENS1_25partition_config_selectorILNS1_17partition_subalgoE4EjNS0_10empty_typeEbEEZZNS1_14partition_implILS8_4ELb0ES6_15HIP_vector_typeIjLj2EENS0_17counting_iteratorIjlEEPS9_SG_NS0_5tupleIJPjSI_NS0_16reverse_iteratorISI_EEEEENSH_IJSG_SG_SG_EEES9_SI_JZNS1_25segmented_radix_sort_implINS0_14default_configELb0EPKfPfPKlPlN2at6native12_GLOBAL__N_18offset_tEEE10hipError_tPvRmT1_PNSt15iterator_traitsIS12_E10value_typeET2_T3_PNS13_IS18_E10value_typeET4_jRbjT5_S1E_jjP12ihipStream_tbEUljE_ZNSN_ISO_Lb0ESQ_SR_ST_SU_SY_EESZ_S10_S11_S12_S16_S17_S18_S1B_S1C_jS1D_jS1E_S1E_jjS1G_bEUljE0_EEESZ_S10_S11_S18_S1C_S1E_T6_T7_T9_mT8_S1G_bDpT10_ENKUlT_T0_E_clISt17integral_constantIbLb1EES1U_EEDaS1P_S1Q_EUlS1P_E_NS1_11comp_targetILNS1_3genE9ELNS1_11target_archE1100ELNS1_3gpuE3ELNS1_3repE0EEENS1_30default_config_static_selectorELNS0_4arch9wavefront6targetE0EEEvS12_ ; -- Begin function _ZN7rocprim17ROCPRIM_400000_NS6detail17trampoline_kernelINS0_13select_configILj256ELj13ELNS0_17block_load_methodE3ELS4_3ELS4_3ELNS0_20block_scan_algorithmE0ELj4294967295EEENS1_25partition_config_selectorILNS1_17partition_subalgoE4EjNS0_10empty_typeEbEEZZNS1_14partition_implILS8_4ELb0ES6_15HIP_vector_typeIjLj2EENS0_17counting_iteratorIjlEEPS9_SG_NS0_5tupleIJPjSI_NS0_16reverse_iteratorISI_EEEEENSH_IJSG_SG_SG_EEES9_SI_JZNS1_25segmented_radix_sort_implINS0_14default_configELb0EPKfPfPKlPlN2at6native12_GLOBAL__N_18offset_tEEE10hipError_tPvRmT1_PNSt15iterator_traitsIS12_E10value_typeET2_T3_PNS13_IS18_E10value_typeET4_jRbjT5_S1E_jjP12ihipStream_tbEUljE_ZNSN_ISO_Lb0ESQ_SR_ST_SU_SY_EESZ_S10_S11_S12_S16_S17_S18_S1B_S1C_jS1D_jS1E_S1E_jjS1G_bEUljE0_EEESZ_S10_S11_S18_S1C_S1E_T6_T7_T9_mT8_S1G_bDpT10_ENKUlT_T0_E_clISt17integral_constantIbLb1EES1U_EEDaS1P_S1Q_EUlS1P_E_NS1_11comp_targetILNS1_3genE9ELNS1_11target_archE1100ELNS1_3gpuE3ELNS1_3repE0EEENS1_30default_config_static_selectorELNS0_4arch9wavefront6targetE0EEEvS12_
	.p2align	8
	.type	_ZN7rocprim17ROCPRIM_400000_NS6detail17trampoline_kernelINS0_13select_configILj256ELj13ELNS0_17block_load_methodE3ELS4_3ELS4_3ELNS0_20block_scan_algorithmE0ELj4294967295EEENS1_25partition_config_selectorILNS1_17partition_subalgoE4EjNS0_10empty_typeEbEEZZNS1_14partition_implILS8_4ELb0ES6_15HIP_vector_typeIjLj2EENS0_17counting_iteratorIjlEEPS9_SG_NS0_5tupleIJPjSI_NS0_16reverse_iteratorISI_EEEEENSH_IJSG_SG_SG_EEES9_SI_JZNS1_25segmented_radix_sort_implINS0_14default_configELb0EPKfPfPKlPlN2at6native12_GLOBAL__N_18offset_tEEE10hipError_tPvRmT1_PNSt15iterator_traitsIS12_E10value_typeET2_T3_PNS13_IS18_E10value_typeET4_jRbjT5_S1E_jjP12ihipStream_tbEUljE_ZNSN_ISO_Lb0ESQ_SR_ST_SU_SY_EESZ_S10_S11_S12_S16_S17_S18_S1B_S1C_jS1D_jS1E_S1E_jjS1G_bEUljE0_EEESZ_S10_S11_S18_S1C_S1E_T6_T7_T9_mT8_S1G_bDpT10_ENKUlT_T0_E_clISt17integral_constantIbLb1EES1U_EEDaS1P_S1Q_EUlS1P_E_NS1_11comp_targetILNS1_3genE9ELNS1_11target_archE1100ELNS1_3gpuE3ELNS1_3repE0EEENS1_30default_config_static_selectorELNS0_4arch9wavefront6targetE0EEEvS12_,@function
_ZN7rocprim17ROCPRIM_400000_NS6detail17trampoline_kernelINS0_13select_configILj256ELj13ELNS0_17block_load_methodE3ELS4_3ELS4_3ELNS0_20block_scan_algorithmE0ELj4294967295EEENS1_25partition_config_selectorILNS1_17partition_subalgoE4EjNS0_10empty_typeEbEEZZNS1_14partition_implILS8_4ELb0ES6_15HIP_vector_typeIjLj2EENS0_17counting_iteratorIjlEEPS9_SG_NS0_5tupleIJPjSI_NS0_16reverse_iteratorISI_EEEEENSH_IJSG_SG_SG_EEES9_SI_JZNS1_25segmented_radix_sort_implINS0_14default_configELb0EPKfPfPKlPlN2at6native12_GLOBAL__N_18offset_tEEE10hipError_tPvRmT1_PNSt15iterator_traitsIS12_E10value_typeET2_T3_PNS13_IS18_E10value_typeET4_jRbjT5_S1E_jjP12ihipStream_tbEUljE_ZNSN_ISO_Lb0ESQ_SR_ST_SU_SY_EESZ_S10_S11_S12_S16_S17_S18_S1B_S1C_jS1D_jS1E_S1E_jjS1G_bEUljE0_EEESZ_S10_S11_S18_S1C_S1E_T6_T7_T9_mT8_S1G_bDpT10_ENKUlT_T0_E_clISt17integral_constantIbLb1EES1U_EEDaS1P_S1Q_EUlS1P_E_NS1_11comp_targetILNS1_3genE9ELNS1_11target_archE1100ELNS1_3gpuE3ELNS1_3repE0EEENS1_30default_config_static_selectorELNS0_4arch9wavefront6targetE0EEEvS12_: ; @_ZN7rocprim17ROCPRIM_400000_NS6detail17trampoline_kernelINS0_13select_configILj256ELj13ELNS0_17block_load_methodE3ELS4_3ELS4_3ELNS0_20block_scan_algorithmE0ELj4294967295EEENS1_25partition_config_selectorILNS1_17partition_subalgoE4EjNS0_10empty_typeEbEEZZNS1_14partition_implILS8_4ELb0ES6_15HIP_vector_typeIjLj2EENS0_17counting_iteratorIjlEEPS9_SG_NS0_5tupleIJPjSI_NS0_16reverse_iteratorISI_EEEEENSH_IJSG_SG_SG_EEES9_SI_JZNS1_25segmented_radix_sort_implINS0_14default_configELb0EPKfPfPKlPlN2at6native12_GLOBAL__N_18offset_tEEE10hipError_tPvRmT1_PNSt15iterator_traitsIS12_E10value_typeET2_T3_PNS13_IS18_E10value_typeET4_jRbjT5_S1E_jjP12ihipStream_tbEUljE_ZNSN_ISO_Lb0ESQ_SR_ST_SU_SY_EESZ_S10_S11_S12_S16_S17_S18_S1B_S1C_jS1D_jS1E_S1E_jjS1G_bEUljE0_EEESZ_S10_S11_S18_S1C_S1E_T6_T7_T9_mT8_S1G_bDpT10_ENKUlT_T0_E_clISt17integral_constantIbLb1EES1U_EEDaS1P_S1Q_EUlS1P_E_NS1_11comp_targetILNS1_3genE9ELNS1_11target_archE1100ELNS1_3gpuE3ELNS1_3repE0EEENS1_30default_config_static_selectorELNS0_4arch9wavefront6targetE0EEEvS12_
; %bb.0:
	.section	.rodata,"a",@progbits
	.p2align	6, 0x0
	.amdhsa_kernel _ZN7rocprim17ROCPRIM_400000_NS6detail17trampoline_kernelINS0_13select_configILj256ELj13ELNS0_17block_load_methodE3ELS4_3ELS4_3ELNS0_20block_scan_algorithmE0ELj4294967295EEENS1_25partition_config_selectorILNS1_17partition_subalgoE4EjNS0_10empty_typeEbEEZZNS1_14partition_implILS8_4ELb0ES6_15HIP_vector_typeIjLj2EENS0_17counting_iteratorIjlEEPS9_SG_NS0_5tupleIJPjSI_NS0_16reverse_iteratorISI_EEEEENSH_IJSG_SG_SG_EEES9_SI_JZNS1_25segmented_radix_sort_implINS0_14default_configELb0EPKfPfPKlPlN2at6native12_GLOBAL__N_18offset_tEEE10hipError_tPvRmT1_PNSt15iterator_traitsIS12_E10value_typeET2_T3_PNS13_IS18_E10value_typeET4_jRbjT5_S1E_jjP12ihipStream_tbEUljE_ZNSN_ISO_Lb0ESQ_SR_ST_SU_SY_EESZ_S10_S11_S12_S16_S17_S18_S1B_S1C_jS1D_jS1E_S1E_jjS1G_bEUljE0_EEESZ_S10_S11_S18_S1C_S1E_T6_T7_T9_mT8_S1G_bDpT10_ENKUlT_T0_E_clISt17integral_constantIbLb1EES1U_EEDaS1P_S1Q_EUlS1P_E_NS1_11comp_targetILNS1_3genE9ELNS1_11target_archE1100ELNS1_3gpuE3ELNS1_3repE0EEENS1_30default_config_static_selectorELNS0_4arch9wavefront6targetE0EEEvS12_
		.amdhsa_group_segment_fixed_size 0
		.amdhsa_private_segment_fixed_size 0
		.amdhsa_kernarg_size 184
		.amdhsa_user_sgpr_count 6
		.amdhsa_user_sgpr_private_segment_buffer 1
		.amdhsa_user_sgpr_dispatch_ptr 0
		.amdhsa_user_sgpr_queue_ptr 0
		.amdhsa_user_sgpr_kernarg_segment_ptr 1
		.amdhsa_user_sgpr_dispatch_id 0
		.amdhsa_user_sgpr_flat_scratch_init 0
		.amdhsa_user_sgpr_private_segment_size 0
		.amdhsa_wavefront_size32 1
		.amdhsa_uses_dynamic_stack 0
		.amdhsa_system_sgpr_private_segment_wavefront_offset 0
		.amdhsa_system_sgpr_workgroup_id_x 1
		.amdhsa_system_sgpr_workgroup_id_y 0
		.amdhsa_system_sgpr_workgroup_id_z 0
		.amdhsa_system_sgpr_workgroup_info 0
		.amdhsa_system_vgpr_workitem_id 0
		.amdhsa_next_free_vgpr 1
		.amdhsa_next_free_sgpr 1
		.amdhsa_reserve_vcc 0
		.amdhsa_reserve_flat_scratch 0
		.amdhsa_float_round_mode_32 0
		.amdhsa_float_round_mode_16_64 0
		.amdhsa_float_denorm_mode_32 3
		.amdhsa_float_denorm_mode_16_64 3
		.amdhsa_dx10_clamp 1
		.amdhsa_ieee_mode 1
		.amdhsa_fp16_overflow 0
		.amdhsa_workgroup_processor_mode 1
		.amdhsa_memory_ordered 1
		.amdhsa_forward_progress 1
		.amdhsa_shared_vgpr_count 0
		.amdhsa_exception_fp_ieee_invalid_op 0
		.amdhsa_exception_fp_denorm_src 0
		.amdhsa_exception_fp_ieee_div_zero 0
		.amdhsa_exception_fp_ieee_overflow 0
		.amdhsa_exception_fp_ieee_underflow 0
		.amdhsa_exception_fp_ieee_inexact 0
		.amdhsa_exception_int_div_zero 0
	.end_amdhsa_kernel
	.section	.text._ZN7rocprim17ROCPRIM_400000_NS6detail17trampoline_kernelINS0_13select_configILj256ELj13ELNS0_17block_load_methodE3ELS4_3ELS4_3ELNS0_20block_scan_algorithmE0ELj4294967295EEENS1_25partition_config_selectorILNS1_17partition_subalgoE4EjNS0_10empty_typeEbEEZZNS1_14partition_implILS8_4ELb0ES6_15HIP_vector_typeIjLj2EENS0_17counting_iteratorIjlEEPS9_SG_NS0_5tupleIJPjSI_NS0_16reverse_iteratorISI_EEEEENSH_IJSG_SG_SG_EEES9_SI_JZNS1_25segmented_radix_sort_implINS0_14default_configELb0EPKfPfPKlPlN2at6native12_GLOBAL__N_18offset_tEEE10hipError_tPvRmT1_PNSt15iterator_traitsIS12_E10value_typeET2_T3_PNS13_IS18_E10value_typeET4_jRbjT5_S1E_jjP12ihipStream_tbEUljE_ZNSN_ISO_Lb0ESQ_SR_ST_SU_SY_EESZ_S10_S11_S12_S16_S17_S18_S1B_S1C_jS1D_jS1E_S1E_jjS1G_bEUljE0_EEESZ_S10_S11_S18_S1C_S1E_T6_T7_T9_mT8_S1G_bDpT10_ENKUlT_T0_E_clISt17integral_constantIbLb1EES1U_EEDaS1P_S1Q_EUlS1P_E_NS1_11comp_targetILNS1_3genE9ELNS1_11target_archE1100ELNS1_3gpuE3ELNS1_3repE0EEENS1_30default_config_static_selectorELNS0_4arch9wavefront6targetE0EEEvS12_,"axG",@progbits,_ZN7rocprim17ROCPRIM_400000_NS6detail17trampoline_kernelINS0_13select_configILj256ELj13ELNS0_17block_load_methodE3ELS4_3ELS4_3ELNS0_20block_scan_algorithmE0ELj4294967295EEENS1_25partition_config_selectorILNS1_17partition_subalgoE4EjNS0_10empty_typeEbEEZZNS1_14partition_implILS8_4ELb0ES6_15HIP_vector_typeIjLj2EENS0_17counting_iteratorIjlEEPS9_SG_NS0_5tupleIJPjSI_NS0_16reverse_iteratorISI_EEEEENSH_IJSG_SG_SG_EEES9_SI_JZNS1_25segmented_radix_sort_implINS0_14default_configELb0EPKfPfPKlPlN2at6native12_GLOBAL__N_18offset_tEEE10hipError_tPvRmT1_PNSt15iterator_traitsIS12_E10value_typeET2_T3_PNS13_IS18_E10value_typeET4_jRbjT5_S1E_jjP12ihipStream_tbEUljE_ZNSN_ISO_Lb0ESQ_SR_ST_SU_SY_EESZ_S10_S11_S12_S16_S17_S18_S1B_S1C_jS1D_jS1E_S1E_jjS1G_bEUljE0_EEESZ_S10_S11_S18_S1C_S1E_T6_T7_T9_mT8_S1G_bDpT10_ENKUlT_T0_E_clISt17integral_constantIbLb1EES1U_EEDaS1P_S1Q_EUlS1P_E_NS1_11comp_targetILNS1_3genE9ELNS1_11target_archE1100ELNS1_3gpuE3ELNS1_3repE0EEENS1_30default_config_static_selectorELNS0_4arch9wavefront6targetE0EEEvS12_,comdat
.Lfunc_end1370:
	.size	_ZN7rocprim17ROCPRIM_400000_NS6detail17trampoline_kernelINS0_13select_configILj256ELj13ELNS0_17block_load_methodE3ELS4_3ELS4_3ELNS0_20block_scan_algorithmE0ELj4294967295EEENS1_25partition_config_selectorILNS1_17partition_subalgoE4EjNS0_10empty_typeEbEEZZNS1_14partition_implILS8_4ELb0ES6_15HIP_vector_typeIjLj2EENS0_17counting_iteratorIjlEEPS9_SG_NS0_5tupleIJPjSI_NS0_16reverse_iteratorISI_EEEEENSH_IJSG_SG_SG_EEES9_SI_JZNS1_25segmented_radix_sort_implINS0_14default_configELb0EPKfPfPKlPlN2at6native12_GLOBAL__N_18offset_tEEE10hipError_tPvRmT1_PNSt15iterator_traitsIS12_E10value_typeET2_T3_PNS13_IS18_E10value_typeET4_jRbjT5_S1E_jjP12ihipStream_tbEUljE_ZNSN_ISO_Lb0ESQ_SR_ST_SU_SY_EESZ_S10_S11_S12_S16_S17_S18_S1B_S1C_jS1D_jS1E_S1E_jjS1G_bEUljE0_EEESZ_S10_S11_S18_S1C_S1E_T6_T7_T9_mT8_S1G_bDpT10_ENKUlT_T0_E_clISt17integral_constantIbLb1EES1U_EEDaS1P_S1Q_EUlS1P_E_NS1_11comp_targetILNS1_3genE9ELNS1_11target_archE1100ELNS1_3gpuE3ELNS1_3repE0EEENS1_30default_config_static_selectorELNS0_4arch9wavefront6targetE0EEEvS12_, .Lfunc_end1370-_ZN7rocprim17ROCPRIM_400000_NS6detail17trampoline_kernelINS0_13select_configILj256ELj13ELNS0_17block_load_methodE3ELS4_3ELS4_3ELNS0_20block_scan_algorithmE0ELj4294967295EEENS1_25partition_config_selectorILNS1_17partition_subalgoE4EjNS0_10empty_typeEbEEZZNS1_14partition_implILS8_4ELb0ES6_15HIP_vector_typeIjLj2EENS0_17counting_iteratorIjlEEPS9_SG_NS0_5tupleIJPjSI_NS0_16reverse_iteratorISI_EEEEENSH_IJSG_SG_SG_EEES9_SI_JZNS1_25segmented_radix_sort_implINS0_14default_configELb0EPKfPfPKlPlN2at6native12_GLOBAL__N_18offset_tEEE10hipError_tPvRmT1_PNSt15iterator_traitsIS12_E10value_typeET2_T3_PNS13_IS18_E10value_typeET4_jRbjT5_S1E_jjP12ihipStream_tbEUljE_ZNSN_ISO_Lb0ESQ_SR_ST_SU_SY_EESZ_S10_S11_S12_S16_S17_S18_S1B_S1C_jS1D_jS1E_S1E_jjS1G_bEUljE0_EEESZ_S10_S11_S18_S1C_S1E_T6_T7_T9_mT8_S1G_bDpT10_ENKUlT_T0_E_clISt17integral_constantIbLb1EES1U_EEDaS1P_S1Q_EUlS1P_E_NS1_11comp_targetILNS1_3genE9ELNS1_11target_archE1100ELNS1_3gpuE3ELNS1_3repE0EEENS1_30default_config_static_selectorELNS0_4arch9wavefront6targetE0EEEvS12_
                                        ; -- End function
	.set _ZN7rocprim17ROCPRIM_400000_NS6detail17trampoline_kernelINS0_13select_configILj256ELj13ELNS0_17block_load_methodE3ELS4_3ELS4_3ELNS0_20block_scan_algorithmE0ELj4294967295EEENS1_25partition_config_selectorILNS1_17partition_subalgoE4EjNS0_10empty_typeEbEEZZNS1_14partition_implILS8_4ELb0ES6_15HIP_vector_typeIjLj2EENS0_17counting_iteratorIjlEEPS9_SG_NS0_5tupleIJPjSI_NS0_16reverse_iteratorISI_EEEEENSH_IJSG_SG_SG_EEES9_SI_JZNS1_25segmented_radix_sort_implINS0_14default_configELb0EPKfPfPKlPlN2at6native12_GLOBAL__N_18offset_tEEE10hipError_tPvRmT1_PNSt15iterator_traitsIS12_E10value_typeET2_T3_PNS13_IS18_E10value_typeET4_jRbjT5_S1E_jjP12ihipStream_tbEUljE_ZNSN_ISO_Lb0ESQ_SR_ST_SU_SY_EESZ_S10_S11_S12_S16_S17_S18_S1B_S1C_jS1D_jS1E_S1E_jjS1G_bEUljE0_EEESZ_S10_S11_S18_S1C_S1E_T6_T7_T9_mT8_S1G_bDpT10_ENKUlT_T0_E_clISt17integral_constantIbLb1EES1U_EEDaS1P_S1Q_EUlS1P_E_NS1_11comp_targetILNS1_3genE9ELNS1_11target_archE1100ELNS1_3gpuE3ELNS1_3repE0EEENS1_30default_config_static_selectorELNS0_4arch9wavefront6targetE0EEEvS12_.num_vgpr, 0
	.set _ZN7rocprim17ROCPRIM_400000_NS6detail17trampoline_kernelINS0_13select_configILj256ELj13ELNS0_17block_load_methodE3ELS4_3ELS4_3ELNS0_20block_scan_algorithmE0ELj4294967295EEENS1_25partition_config_selectorILNS1_17partition_subalgoE4EjNS0_10empty_typeEbEEZZNS1_14partition_implILS8_4ELb0ES6_15HIP_vector_typeIjLj2EENS0_17counting_iteratorIjlEEPS9_SG_NS0_5tupleIJPjSI_NS0_16reverse_iteratorISI_EEEEENSH_IJSG_SG_SG_EEES9_SI_JZNS1_25segmented_radix_sort_implINS0_14default_configELb0EPKfPfPKlPlN2at6native12_GLOBAL__N_18offset_tEEE10hipError_tPvRmT1_PNSt15iterator_traitsIS12_E10value_typeET2_T3_PNS13_IS18_E10value_typeET4_jRbjT5_S1E_jjP12ihipStream_tbEUljE_ZNSN_ISO_Lb0ESQ_SR_ST_SU_SY_EESZ_S10_S11_S12_S16_S17_S18_S1B_S1C_jS1D_jS1E_S1E_jjS1G_bEUljE0_EEESZ_S10_S11_S18_S1C_S1E_T6_T7_T9_mT8_S1G_bDpT10_ENKUlT_T0_E_clISt17integral_constantIbLb1EES1U_EEDaS1P_S1Q_EUlS1P_E_NS1_11comp_targetILNS1_3genE9ELNS1_11target_archE1100ELNS1_3gpuE3ELNS1_3repE0EEENS1_30default_config_static_selectorELNS0_4arch9wavefront6targetE0EEEvS12_.num_agpr, 0
	.set _ZN7rocprim17ROCPRIM_400000_NS6detail17trampoline_kernelINS0_13select_configILj256ELj13ELNS0_17block_load_methodE3ELS4_3ELS4_3ELNS0_20block_scan_algorithmE0ELj4294967295EEENS1_25partition_config_selectorILNS1_17partition_subalgoE4EjNS0_10empty_typeEbEEZZNS1_14partition_implILS8_4ELb0ES6_15HIP_vector_typeIjLj2EENS0_17counting_iteratorIjlEEPS9_SG_NS0_5tupleIJPjSI_NS0_16reverse_iteratorISI_EEEEENSH_IJSG_SG_SG_EEES9_SI_JZNS1_25segmented_radix_sort_implINS0_14default_configELb0EPKfPfPKlPlN2at6native12_GLOBAL__N_18offset_tEEE10hipError_tPvRmT1_PNSt15iterator_traitsIS12_E10value_typeET2_T3_PNS13_IS18_E10value_typeET4_jRbjT5_S1E_jjP12ihipStream_tbEUljE_ZNSN_ISO_Lb0ESQ_SR_ST_SU_SY_EESZ_S10_S11_S12_S16_S17_S18_S1B_S1C_jS1D_jS1E_S1E_jjS1G_bEUljE0_EEESZ_S10_S11_S18_S1C_S1E_T6_T7_T9_mT8_S1G_bDpT10_ENKUlT_T0_E_clISt17integral_constantIbLb1EES1U_EEDaS1P_S1Q_EUlS1P_E_NS1_11comp_targetILNS1_3genE9ELNS1_11target_archE1100ELNS1_3gpuE3ELNS1_3repE0EEENS1_30default_config_static_selectorELNS0_4arch9wavefront6targetE0EEEvS12_.numbered_sgpr, 0
	.set _ZN7rocprim17ROCPRIM_400000_NS6detail17trampoline_kernelINS0_13select_configILj256ELj13ELNS0_17block_load_methodE3ELS4_3ELS4_3ELNS0_20block_scan_algorithmE0ELj4294967295EEENS1_25partition_config_selectorILNS1_17partition_subalgoE4EjNS0_10empty_typeEbEEZZNS1_14partition_implILS8_4ELb0ES6_15HIP_vector_typeIjLj2EENS0_17counting_iteratorIjlEEPS9_SG_NS0_5tupleIJPjSI_NS0_16reverse_iteratorISI_EEEEENSH_IJSG_SG_SG_EEES9_SI_JZNS1_25segmented_radix_sort_implINS0_14default_configELb0EPKfPfPKlPlN2at6native12_GLOBAL__N_18offset_tEEE10hipError_tPvRmT1_PNSt15iterator_traitsIS12_E10value_typeET2_T3_PNS13_IS18_E10value_typeET4_jRbjT5_S1E_jjP12ihipStream_tbEUljE_ZNSN_ISO_Lb0ESQ_SR_ST_SU_SY_EESZ_S10_S11_S12_S16_S17_S18_S1B_S1C_jS1D_jS1E_S1E_jjS1G_bEUljE0_EEESZ_S10_S11_S18_S1C_S1E_T6_T7_T9_mT8_S1G_bDpT10_ENKUlT_T0_E_clISt17integral_constantIbLb1EES1U_EEDaS1P_S1Q_EUlS1P_E_NS1_11comp_targetILNS1_3genE9ELNS1_11target_archE1100ELNS1_3gpuE3ELNS1_3repE0EEENS1_30default_config_static_selectorELNS0_4arch9wavefront6targetE0EEEvS12_.num_named_barrier, 0
	.set _ZN7rocprim17ROCPRIM_400000_NS6detail17trampoline_kernelINS0_13select_configILj256ELj13ELNS0_17block_load_methodE3ELS4_3ELS4_3ELNS0_20block_scan_algorithmE0ELj4294967295EEENS1_25partition_config_selectorILNS1_17partition_subalgoE4EjNS0_10empty_typeEbEEZZNS1_14partition_implILS8_4ELb0ES6_15HIP_vector_typeIjLj2EENS0_17counting_iteratorIjlEEPS9_SG_NS0_5tupleIJPjSI_NS0_16reverse_iteratorISI_EEEEENSH_IJSG_SG_SG_EEES9_SI_JZNS1_25segmented_radix_sort_implINS0_14default_configELb0EPKfPfPKlPlN2at6native12_GLOBAL__N_18offset_tEEE10hipError_tPvRmT1_PNSt15iterator_traitsIS12_E10value_typeET2_T3_PNS13_IS18_E10value_typeET4_jRbjT5_S1E_jjP12ihipStream_tbEUljE_ZNSN_ISO_Lb0ESQ_SR_ST_SU_SY_EESZ_S10_S11_S12_S16_S17_S18_S1B_S1C_jS1D_jS1E_S1E_jjS1G_bEUljE0_EEESZ_S10_S11_S18_S1C_S1E_T6_T7_T9_mT8_S1G_bDpT10_ENKUlT_T0_E_clISt17integral_constantIbLb1EES1U_EEDaS1P_S1Q_EUlS1P_E_NS1_11comp_targetILNS1_3genE9ELNS1_11target_archE1100ELNS1_3gpuE3ELNS1_3repE0EEENS1_30default_config_static_selectorELNS0_4arch9wavefront6targetE0EEEvS12_.private_seg_size, 0
	.set _ZN7rocprim17ROCPRIM_400000_NS6detail17trampoline_kernelINS0_13select_configILj256ELj13ELNS0_17block_load_methodE3ELS4_3ELS4_3ELNS0_20block_scan_algorithmE0ELj4294967295EEENS1_25partition_config_selectorILNS1_17partition_subalgoE4EjNS0_10empty_typeEbEEZZNS1_14partition_implILS8_4ELb0ES6_15HIP_vector_typeIjLj2EENS0_17counting_iteratorIjlEEPS9_SG_NS0_5tupleIJPjSI_NS0_16reverse_iteratorISI_EEEEENSH_IJSG_SG_SG_EEES9_SI_JZNS1_25segmented_radix_sort_implINS0_14default_configELb0EPKfPfPKlPlN2at6native12_GLOBAL__N_18offset_tEEE10hipError_tPvRmT1_PNSt15iterator_traitsIS12_E10value_typeET2_T3_PNS13_IS18_E10value_typeET4_jRbjT5_S1E_jjP12ihipStream_tbEUljE_ZNSN_ISO_Lb0ESQ_SR_ST_SU_SY_EESZ_S10_S11_S12_S16_S17_S18_S1B_S1C_jS1D_jS1E_S1E_jjS1G_bEUljE0_EEESZ_S10_S11_S18_S1C_S1E_T6_T7_T9_mT8_S1G_bDpT10_ENKUlT_T0_E_clISt17integral_constantIbLb1EES1U_EEDaS1P_S1Q_EUlS1P_E_NS1_11comp_targetILNS1_3genE9ELNS1_11target_archE1100ELNS1_3gpuE3ELNS1_3repE0EEENS1_30default_config_static_selectorELNS0_4arch9wavefront6targetE0EEEvS12_.uses_vcc, 0
	.set _ZN7rocprim17ROCPRIM_400000_NS6detail17trampoline_kernelINS0_13select_configILj256ELj13ELNS0_17block_load_methodE3ELS4_3ELS4_3ELNS0_20block_scan_algorithmE0ELj4294967295EEENS1_25partition_config_selectorILNS1_17partition_subalgoE4EjNS0_10empty_typeEbEEZZNS1_14partition_implILS8_4ELb0ES6_15HIP_vector_typeIjLj2EENS0_17counting_iteratorIjlEEPS9_SG_NS0_5tupleIJPjSI_NS0_16reverse_iteratorISI_EEEEENSH_IJSG_SG_SG_EEES9_SI_JZNS1_25segmented_radix_sort_implINS0_14default_configELb0EPKfPfPKlPlN2at6native12_GLOBAL__N_18offset_tEEE10hipError_tPvRmT1_PNSt15iterator_traitsIS12_E10value_typeET2_T3_PNS13_IS18_E10value_typeET4_jRbjT5_S1E_jjP12ihipStream_tbEUljE_ZNSN_ISO_Lb0ESQ_SR_ST_SU_SY_EESZ_S10_S11_S12_S16_S17_S18_S1B_S1C_jS1D_jS1E_S1E_jjS1G_bEUljE0_EEESZ_S10_S11_S18_S1C_S1E_T6_T7_T9_mT8_S1G_bDpT10_ENKUlT_T0_E_clISt17integral_constantIbLb1EES1U_EEDaS1P_S1Q_EUlS1P_E_NS1_11comp_targetILNS1_3genE9ELNS1_11target_archE1100ELNS1_3gpuE3ELNS1_3repE0EEENS1_30default_config_static_selectorELNS0_4arch9wavefront6targetE0EEEvS12_.uses_flat_scratch, 0
	.set _ZN7rocprim17ROCPRIM_400000_NS6detail17trampoline_kernelINS0_13select_configILj256ELj13ELNS0_17block_load_methodE3ELS4_3ELS4_3ELNS0_20block_scan_algorithmE0ELj4294967295EEENS1_25partition_config_selectorILNS1_17partition_subalgoE4EjNS0_10empty_typeEbEEZZNS1_14partition_implILS8_4ELb0ES6_15HIP_vector_typeIjLj2EENS0_17counting_iteratorIjlEEPS9_SG_NS0_5tupleIJPjSI_NS0_16reverse_iteratorISI_EEEEENSH_IJSG_SG_SG_EEES9_SI_JZNS1_25segmented_radix_sort_implINS0_14default_configELb0EPKfPfPKlPlN2at6native12_GLOBAL__N_18offset_tEEE10hipError_tPvRmT1_PNSt15iterator_traitsIS12_E10value_typeET2_T3_PNS13_IS18_E10value_typeET4_jRbjT5_S1E_jjP12ihipStream_tbEUljE_ZNSN_ISO_Lb0ESQ_SR_ST_SU_SY_EESZ_S10_S11_S12_S16_S17_S18_S1B_S1C_jS1D_jS1E_S1E_jjS1G_bEUljE0_EEESZ_S10_S11_S18_S1C_S1E_T6_T7_T9_mT8_S1G_bDpT10_ENKUlT_T0_E_clISt17integral_constantIbLb1EES1U_EEDaS1P_S1Q_EUlS1P_E_NS1_11comp_targetILNS1_3genE9ELNS1_11target_archE1100ELNS1_3gpuE3ELNS1_3repE0EEENS1_30default_config_static_selectorELNS0_4arch9wavefront6targetE0EEEvS12_.has_dyn_sized_stack, 0
	.set _ZN7rocprim17ROCPRIM_400000_NS6detail17trampoline_kernelINS0_13select_configILj256ELj13ELNS0_17block_load_methodE3ELS4_3ELS4_3ELNS0_20block_scan_algorithmE0ELj4294967295EEENS1_25partition_config_selectorILNS1_17partition_subalgoE4EjNS0_10empty_typeEbEEZZNS1_14partition_implILS8_4ELb0ES6_15HIP_vector_typeIjLj2EENS0_17counting_iteratorIjlEEPS9_SG_NS0_5tupleIJPjSI_NS0_16reverse_iteratorISI_EEEEENSH_IJSG_SG_SG_EEES9_SI_JZNS1_25segmented_radix_sort_implINS0_14default_configELb0EPKfPfPKlPlN2at6native12_GLOBAL__N_18offset_tEEE10hipError_tPvRmT1_PNSt15iterator_traitsIS12_E10value_typeET2_T3_PNS13_IS18_E10value_typeET4_jRbjT5_S1E_jjP12ihipStream_tbEUljE_ZNSN_ISO_Lb0ESQ_SR_ST_SU_SY_EESZ_S10_S11_S12_S16_S17_S18_S1B_S1C_jS1D_jS1E_S1E_jjS1G_bEUljE0_EEESZ_S10_S11_S18_S1C_S1E_T6_T7_T9_mT8_S1G_bDpT10_ENKUlT_T0_E_clISt17integral_constantIbLb1EES1U_EEDaS1P_S1Q_EUlS1P_E_NS1_11comp_targetILNS1_3genE9ELNS1_11target_archE1100ELNS1_3gpuE3ELNS1_3repE0EEENS1_30default_config_static_selectorELNS0_4arch9wavefront6targetE0EEEvS12_.has_recursion, 0
	.set _ZN7rocprim17ROCPRIM_400000_NS6detail17trampoline_kernelINS0_13select_configILj256ELj13ELNS0_17block_load_methodE3ELS4_3ELS4_3ELNS0_20block_scan_algorithmE0ELj4294967295EEENS1_25partition_config_selectorILNS1_17partition_subalgoE4EjNS0_10empty_typeEbEEZZNS1_14partition_implILS8_4ELb0ES6_15HIP_vector_typeIjLj2EENS0_17counting_iteratorIjlEEPS9_SG_NS0_5tupleIJPjSI_NS0_16reverse_iteratorISI_EEEEENSH_IJSG_SG_SG_EEES9_SI_JZNS1_25segmented_radix_sort_implINS0_14default_configELb0EPKfPfPKlPlN2at6native12_GLOBAL__N_18offset_tEEE10hipError_tPvRmT1_PNSt15iterator_traitsIS12_E10value_typeET2_T3_PNS13_IS18_E10value_typeET4_jRbjT5_S1E_jjP12ihipStream_tbEUljE_ZNSN_ISO_Lb0ESQ_SR_ST_SU_SY_EESZ_S10_S11_S12_S16_S17_S18_S1B_S1C_jS1D_jS1E_S1E_jjS1G_bEUljE0_EEESZ_S10_S11_S18_S1C_S1E_T6_T7_T9_mT8_S1G_bDpT10_ENKUlT_T0_E_clISt17integral_constantIbLb1EES1U_EEDaS1P_S1Q_EUlS1P_E_NS1_11comp_targetILNS1_3genE9ELNS1_11target_archE1100ELNS1_3gpuE3ELNS1_3repE0EEENS1_30default_config_static_selectorELNS0_4arch9wavefront6targetE0EEEvS12_.has_indirect_call, 0
	.section	.AMDGPU.csdata,"",@progbits
; Kernel info:
; codeLenInByte = 0
; TotalNumSgprs: 0
; NumVgprs: 0
; ScratchSize: 0
; MemoryBound: 0
; FloatMode: 240
; IeeeMode: 1
; LDSByteSize: 0 bytes/workgroup (compile time only)
; SGPRBlocks: 0
; VGPRBlocks: 0
; NumSGPRsForWavesPerEU: 1
; NumVGPRsForWavesPerEU: 1
; Occupancy: 16
; WaveLimiterHint : 0
; COMPUTE_PGM_RSRC2:SCRATCH_EN: 0
; COMPUTE_PGM_RSRC2:USER_SGPR: 6
; COMPUTE_PGM_RSRC2:TRAP_HANDLER: 0
; COMPUTE_PGM_RSRC2:TGID_X_EN: 1
; COMPUTE_PGM_RSRC2:TGID_Y_EN: 0
; COMPUTE_PGM_RSRC2:TGID_Z_EN: 0
; COMPUTE_PGM_RSRC2:TIDIG_COMP_CNT: 0
	.section	.text._ZN7rocprim17ROCPRIM_400000_NS6detail17trampoline_kernelINS0_13select_configILj256ELj13ELNS0_17block_load_methodE3ELS4_3ELS4_3ELNS0_20block_scan_algorithmE0ELj4294967295EEENS1_25partition_config_selectorILNS1_17partition_subalgoE4EjNS0_10empty_typeEbEEZZNS1_14partition_implILS8_4ELb0ES6_15HIP_vector_typeIjLj2EENS0_17counting_iteratorIjlEEPS9_SG_NS0_5tupleIJPjSI_NS0_16reverse_iteratorISI_EEEEENSH_IJSG_SG_SG_EEES9_SI_JZNS1_25segmented_radix_sort_implINS0_14default_configELb0EPKfPfPKlPlN2at6native12_GLOBAL__N_18offset_tEEE10hipError_tPvRmT1_PNSt15iterator_traitsIS12_E10value_typeET2_T3_PNS13_IS18_E10value_typeET4_jRbjT5_S1E_jjP12ihipStream_tbEUljE_ZNSN_ISO_Lb0ESQ_SR_ST_SU_SY_EESZ_S10_S11_S12_S16_S17_S18_S1B_S1C_jS1D_jS1E_S1E_jjS1G_bEUljE0_EEESZ_S10_S11_S18_S1C_S1E_T6_T7_T9_mT8_S1G_bDpT10_ENKUlT_T0_E_clISt17integral_constantIbLb1EES1U_EEDaS1P_S1Q_EUlS1P_E_NS1_11comp_targetILNS1_3genE8ELNS1_11target_archE1030ELNS1_3gpuE2ELNS1_3repE0EEENS1_30default_config_static_selectorELNS0_4arch9wavefront6targetE0EEEvS12_,"axG",@progbits,_ZN7rocprim17ROCPRIM_400000_NS6detail17trampoline_kernelINS0_13select_configILj256ELj13ELNS0_17block_load_methodE3ELS4_3ELS4_3ELNS0_20block_scan_algorithmE0ELj4294967295EEENS1_25partition_config_selectorILNS1_17partition_subalgoE4EjNS0_10empty_typeEbEEZZNS1_14partition_implILS8_4ELb0ES6_15HIP_vector_typeIjLj2EENS0_17counting_iteratorIjlEEPS9_SG_NS0_5tupleIJPjSI_NS0_16reverse_iteratorISI_EEEEENSH_IJSG_SG_SG_EEES9_SI_JZNS1_25segmented_radix_sort_implINS0_14default_configELb0EPKfPfPKlPlN2at6native12_GLOBAL__N_18offset_tEEE10hipError_tPvRmT1_PNSt15iterator_traitsIS12_E10value_typeET2_T3_PNS13_IS18_E10value_typeET4_jRbjT5_S1E_jjP12ihipStream_tbEUljE_ZNSN_ISO_Lb0ESQ_SR_ST_SU_SY_EESZ_S10_S11_S12_S16_S17_S18_S1B_S1C_jS1D_jS1E_S1E_jjS1G_bEUljE0_EEESZ_S10_S11_S18_S1C_S1E_T6_T7_T9_mT8_S1G_bDpT10_ENKUlT_T0_E_clISt17integral_constantIbLb1EES1U_EEDaS1P_S1Q_EUlS1P_E_NS1_11comp_targetILNS1_3genE8ELNS1_11target_archE1030ELNS1_3gpuE2ELNS1_3repE0EEENS1_30default_config_static_selectorELNS0_4arch9wavefront6targetE0EEEvS12_,comdat
	.globl	_ZN7rocprim17ROCPRIM_400000_NS6detail17trampoline_kernelINS0_13select_configILj256ELj13ELNS0_17block_load_methodE3ELS4_3ELS4_3ELNS0_20block_scan_algorithmE0ELj4294967295EEENS1_25partition_config_selectorILNS1_17partition_subalgoE4EjNS0_10empty_typeEbEEZZNS1_14partition_implILS8_4ELb0ES6_15HIP_vector_typeIjLj2EENS0_17counting_iteratorIjlEEPS9_SG_NS0_5tupleIJPjSI_NS0_16reverse_iteratorISI_EEEEENSH_IJSG_SG_SG_EEES9_SI_JZNS1_25segmented_radix_sort_implINS0_14default_configELb0EPKfPfPKlPlN2at6native12_GLOBAL__N_18offset_tEEE10hipError_tPvRmT1_PNSt15iterator_traitsIS12_E10value_typeET2_T3_PNS13_IS18_E10value_typeET4_jRbjT5_S1E_jjP12ihipStream_tbEUljE_ZNSN_ISO_Lb0ESQ_SR_ST_SU_SY_EESZ_S10_S11_S12_S16_S17_S18_S1B_S1C_jS1D_jS1E_S1E_jjS1G_bEUljE0_EEESZ_S10_S11_S18_S1C_S1E_T6_T7_T9_mT8_S1G_bDpT10_ENKUlT_T0_E_clISt17integral_constantIbLb1EES1U_EEDaS1P_S1Q_EUlS1P_E_NS1_11comp_targetILNS1_3genE8ELNS1_11target_archE1030ELNS1_3gpuE2ELNS1_3repE0EEENS1_30default_config_static_selectorELNS0_4arch9wavefront6targetE0EEEvS12_ ; -- Begin function _ZN7rocprim17ROCPRIM_400000_NS6detail17trampoline_kernelINS0_13select_configILj256ELj13ELNS0_17block_load_methodE3ELS4_3ELS4_3ELNS0_20block_scan_algorithmE0ELj4294967295EEENS1_25partition_config_selectorILNS1_17partition_subalgoE4EjNS0_10empty_typeEbEEZZNS1_14partition_implILS8_4ELb0ES6_15HIP_vector_typeIjLj2EENS0_17counting_iteratorIjlEEPS9_SG_NS0_5tupleIJPjSI_NS0_16reverse_iteratorISI_EEEEENSH_IJSG_SG_SG_EEES9_SI_JZNS1_25segmented_radix_sort_implINS0_14default_configELb0EPKfPfPKlPlN2at6native12_GLOBAL__N_18offset_tEEE10hipError_tPvRmT1_PNSt15iterator_traitsIS12_E10value_typeET2_T3_PNS13_IS18_E10value_typeET4_jRbjT5_S1E_jjP12ihipStream_tbEUljE_ZNSN_ISO_Lb0ESQ_SR_ST_SU_SY_EESZ_S10_S11_S12_S16_S17_S18_S1B_S1C_jS1D_jS1E_S1E_jjS1G_bEUljE0_EEESZ_S10_S11_S18_S1C_S1E_T6_T7_T9_mT8_S1G_bDpT10_ENKUlT_T0_E_clISt17integral_constantIbLb1EES1U_EEDaS1P_S1Q_EUlS1P_E_NS1_11comp_targetILNS1_3genE8ELNS1_11target_archE1030ELNS1_3gpuE2ELNS1_3repE0EEENS1_30default_config_static_selectorELNS0_4arch9wavefront6targetE0EEEvS12_
	.p2align	8
	.type	_ZN7rocprim17ROCPRIM_400000_NS6detail17trampoline_kernelINS0_13select_configILj256ELj13ELNS0_17block_load_methodE3ELS4_3ELS4_3ELNS0_20block_scan_algorithmE0ELj4294967295EEENS1_25partition_config_selectorILNS1_17partition_subalgoE4EjNS0_10empty_typeEbEEZZNS1_14partition_implILS8_4ELb0ES6_15HIP_vector_typeIjLj2EENS0_17counting_iteratorIjlEEPS9_SG_NS0_5tupleIJPjSI_NS0_16reverse_iteratorISI_EEEEENSH_IJSG_SG_SG_EEES9_SI_JZNS1_25segmented_radix_sort_implINS0_14default_configELb0EPKfPfPKlPlN2at6native12_GLOBAL__N_18offset_tEEE10hipError_tPvRmT1_PNSt15iterator_traitsIS12_E10value_typeET2_T3_PNS13_IS18_E10value_typeET4_jRbjT5_S1E_jjP12ihipStream_tbEUljE_ZNSN_ISO_Lb0ESQ_SR_ST_SU_SY_EESZ_S10_S11_S12_S16_S17_S18_S1B_S1C_jS1D_jS1E_S1E_jjS1G_bEUljE0_EEESZ_S10_S11_S18_S1C_S1E_T6_T7_T9_mT8_S1G_bDpT10_ENKUlT_T0_E_clISt17integral_constantIbLb1EES1U_EEDaS1P_S1Q_EUlS1P_E_NS1_11comp_targetILNS1_3genE8ELNS1_11target_archE1030ELNS1_3gpuE2ELNS1_3repE0EEENS1_30default_config_static_selectorELNS0_4arch9wavefront6targetE0EEEvS12_,@function
_ZN7rocprim17ROCPRIM_400000_NS6detail17trampoline_kernelINS0_13select_configILj256ELj13ELNS0_17block_load_methodE3ELS4_3ELS4_3ELNS0_20block_scan_algorithmE0ELj4294967295EEENS1_25partition_config_selectorILNS1_17partition_subalgoE4EjNS0_10empty_typeEbEEZZNS1_14partition_implILS8_4ELb0ES6_15HIP_vector_typeIjLj2EENS0_17counting_iteratorIjlEEPS9_SG_NS0_5tupleIJPjSI_NS0_16reverse_iteratorISI_EEEEENSH_IJSG_SG_SG_EEES9_SI_JZNS1_25segmented_radix_sort_implINS0_14default_configELb0EPKfPfPKlPlN2at6native12_GLOBAL__N_18offset_tEEE10hipError_tPvRmT1_PNSt15iterator_traitsIS12_E10value_typeET2_T3_PNS13_IS18_E10value_typeET4_jRbjT5_S1E_jjP12ihipStream_tbEUljE_ZNSN_ISO_Lb0ESQ_SR_ST_SU_SY_EESZ_S10_S11_S12_S16_S17_S18_S1B_S1C_jS1D_jS1E_S1E_jjS1G_bEUljE0_EEESZ_S10_S11_S18_S1C_S1E_T6_T7_T9_mT8_S1G_bDpT10_ENKUlT_T0_E_clISt17integral_constantIbLb1EES1U_EEDaS1P_S1Q_EUlS1P_E_NS1_11comp_targetILNS1_3genE8ELNS1_11target_archE1030ELNS1_3gpuE2ELNS1_3repE0EEENS1_30default_config_static_selectorELNS0_4arch9wavefront6targetE0EEEvS12_: ; @_ZN7rocprim17ROCPRIM_400000_NS6detail17trampoline_kernelINS0_13select_configILj256ELj13ELNS0_17block_load_methodE3ELS4_3ELS4_3ELNS0_20block_scan_algorithmE0ELj4294967295EEENS1_25partition_config_selectorILNS1_17partition_subalgoE4EjNS0_10empty_typeEbEEZZNS1_14partition_implILS8_4ELb0ES6_15HIP_vector_typeIjLj2EENS0_17counting_iteratorIjlEEPS9_SG_NS0_5tupleIJPjSI_NS0_16reverse_iteratorISI_EEEEENSH_IJSG_SG_SG_EEES9_SI_JZNS1_25segmented_radix_sort_implINS0_14default_configELb0EPKfPfPKlPlN2at6native12_GLOBAL__N_18offset_tEEE10hipError_tPvRmT1_PNSt15iterator_traitsIS12_E10value_typeET2_T3_PNS13_IS18_E10value_typeET4_jRbjT5_S1E_jjP12ihipStream_tbEUljE_ZNSN_ISO_Lb0ESQ_SR_ST_SU_SY_EESZ_S10_S11_S12_S16_S17_S18_S1B_S1C_jS1D_jS1E_S1E_jjS1G_bEUljE0_EEESZ_S10_S11_S18_S1C_S1E_T6_T7_T9_mT8_S1G_bDpT10_ENKUlT_T0_E_clISt17integral_constantIbLb1EES1U_EEDaS1P_S1Q_EUlS1P_E_NS1_11comp_targetILNS1_3genE8ELNS1_11target_archE1030ELNS1_3gpuE2ELNS1_3repE0EEENS1_30default_config_static_selectorELNS0_4arch9wavefront6targetE0EEEvS12_
; %bb.0:
	s_endpgm
	.section	.rodata,"a",@progbits
	.p2align	6, 0x0
	.amdhsa_kernel _ZN7rocprim17ROCPRIM_400000_NS6detail17trampoline_kernelINS0_13select_configILj256ELj13ELNS0_17block_load_methodE3ELS4_3ELS4_3ELNS0_20block_scan_algorithmE0ELj4294967295EEENS1_25partition_config_selectorILNS1_17partition_subalgoE4EjNS0_10empty_typeEbEEZZNS1_14partition_implILS8_4ELb0ES6_15HIP_vector_typeIjLj2EENS0_17counting_iteratorIjlEEPS9_SG_NS0_5tupleIJPjSI_NS0_16reverse_iteratorISI_EEEEENSH_IJSG_SG_SG_EEES9_SI_JZNS1_25segmented_radix_sort_implINS0_14default_configELb0EPKfPfPKlPlN2at6native12_GLOBAL__N_18offset_tEEE10hipError_tPvRmT1_PNSt15iterator_traitsIS12_E10value_typeET2_T3_PNS13_IS18_E10value_typeET4_jRbjT5_S1E_jjP12ihipStream_tbEUljE_ZNSN_ISO_Lb0ESQ_SR_ST_SU_SY_EESZ_S10_S11_S12_S16_S17_S18_S1B_S1C_jS1D_jS1E_S1E_jjS1G_bEUljE0_EEESZ_S10_S11_S18_S1C_S1E_T6_T7_T9_mT8_S1G_bDpT10_ENKUlT_T0_E_clISt17integral_constantIbLb1EES1U_EEDaS1P_S1Q_EUlS1P_E_NS1_11comp_targetILNS1_3genE8ELNS1_11target_archE1030ELNS1_3gpuE2ELNS1_3repE0EEENS1_30default_config_static_selectorELNS0_4arch9wavefront6targetE0EEEvS12_
		.amdhsa_group_segment_fixed_size 0
		.amdhsa_private_segment_fixed_size 0
		.amdhsa_kernarg_size 184
		.amdhsa_user_sgpr_count 6
		.amdhsa_user_sgpr_private_segment_buffer 1
		.amdhsa_user_sgpr_dispatch_ptr 0
		.amdhsa_user_sgpr_queue_ptr 0
		.amdhsa_user_sgpr_kernarg_segment_ptr 1
		.amdhsa_user_sgpr_dispatch_id 0
		.amdhsa_user_sgpr_flat_scratch_init 0
		.amdhsa_user_sgpr_private_segment_size 0
		.amdhsa_wavefront_size32 1
		.amdhsa_uses_dynamic_stack 0
		.amdhsa_system_sgpr_private_segment_wavefront_offset 0
		.amdhsa_system_sgpr_workgroup_id_x 1
		.amdhsa_system_sgpr_workgroup_id_y 0
		.amdhsa_system_sgpr_workgroup_id_z 0
		.amdhsa_system_sgpr_workgroup_info 0
		.amdhsa_system_vgpr_workitem_id 0
		.amdhsa_next_free_vgpr 1
		.amdhsa_next_free_sgpr 1
		.amdhsa_reserve_vcc 0
		.amdhsa_reserve_flat_scratch 0
		.amdhsa_float_round_mode_32 0
		.amdhsa_float_round_mode_16_64 0
		.amdhsa_float_denorm_mode_32 3
		.amdhsa_float_denorm_mode_16_64 3
		.amdhsa_dx10_clamp 1
		.amdhsa_ieee_mode 1
		.amdhsa_fp16_overflow 0
		.amdhsa_workgroup_processor_mode 1
		.amdhsa_memory_ordered 1
		.amdhsa_forward_progress 1
		.amdhsa_shared_vgpr_count 0
		.amdhsa_exception_fp_ieee_invalid_op 0
		.amdhsa_exception_fp_denorm_src 0
		.amdhsa_exception_fp_ieee_div_zero 0
		.amdhsa_exception_fp_ieee_overflow 0
		.amdhsa_exception_fp_ieee_underflow 0
		.amdhsa_exception_fp_ieee_inexact 0
		.amdhsa_exception_int_div_zero 0
	.end_amdhsa_kernel
	.section	.text._ZN7rocprim17ROCPRIM_400000_NS6detail17trampoline_kernelINS0_13select_configILj256ELj13ELNS0_17block_load_methodE3ELS4_3ELS4_3ELNS0_20block_scan_algorithmE0ELj4294967295EEENS1_25partition_config_selectorILNS1_17partition_subalgoE4EjNS0_10empty_typeEbEEZZNS1_14partition_implILS8_4ELb0ES6_15HIP_vector_typeIjLj2EENS0_17counting_iteratorIjlEEPS9_SG_NS0_5tupleIJPjSI_NS0_16reverse_iteratorISI_EEEEENSH_IJSG_SG_SG_EEES9_SI_JZNS1_25segmented_radix_sort_implINS0_14default_configELb0EPKfPfPKlPlN2at6native12_GLOBAL__N_18offset_tEEE10hipError_tPvRmT1_PNSt15iterator_traitsIS12_E10value_typeET2_T3_PNS13_IS18_E10value_typeET4_jRbjT5_S1E_jjP12ihipStream_tbEUljE_ZNSN_ISO_Lb0ESQ_SR_ST_SU_SY_EESZ_S10_S11_S12_S16_S17_S18_S1B_S1C_jS1D_jS1E_S1E_jjS1G_bEUljE0_EEESZ_S10_S11_S18_S1C_S1E_T6_T7_T9_mT8_S1G_bDpT10_ENKUlT_T0_E_clISt17integral_constantIbLb1EES1U_EEDaS1P_S1Q_EUlS1P_E_NS1_11comp_targetILNS1_3genE8ELNS1_11target_archE1030ELNS1_3gpuE2ELNS1_3repE0EEENS1_30default_config_static_selectorELNS0_4arch9wavefront6targetE0EEEvS12_,"axG",@progbits,_ZN7rocprim17ROCPRIM_400000_NS6detail17trampoline_kernelINS0_13select_configILj256ELj13ELNS0_17block_load_methodE3ELS4_3ELS4_3ELNS0_20block_scan_algorithmE0ELj4294967295EEENS1_25partition_config_selectorILNS1_17partition_subalgoE4EjNS0_10empty_typeEbEEZZNS1_14partition_implILS8_4ELb0ES6_15HIP_vector_typeIjLj2EENS0_17counting_iteratorIjlEEPS9_SG_NS0_5tupleIJPjSI_NS0_16reverse_iteratorISI_EEEEENSH_IJSG_SG_SG_EEES9_SI_JZNS1_25segmented_radix_sort_implINS0_14default_configELb0EPKfPfPKlPlN2at6native12_GLOBAL__N_18offset_tEEE10hipError_tPvRmT1_PNSt15iterator_traitsIS12_E10value_typeET2_T3_PNS13_IS18_E10value_typeET4_jRbjT5_S1E_jjP12ihipStream_tbEUljE_ZNSN_ISO_Lb0ESQ_SR_ST_SU_SY_EESZ_S10_S11_S12_S16_S17_S18_S1B_S1C_jS1D_jS1E_S1E_jjS1G_bEUljE0_EEESZ_S10_S11_S18_S1C_S1E_T6_T7_T9_mT8_S1G_bDpT10_ENKUlT_T0_E_clISt17integral_constantIbLb1EES1U_EEDaS1P_S1Q_EUlS1P_E_NS1_11comp_targetILNS1_3genE8ELNS1_11target_archE1030ELNS1_3gpuE2ELNS1_3repE0EEENS1_30default_config_static_selectorELNS0_4arch9wavefront6targetE0EEEvS12_,comdat
.Lfunc_end1371:
	.size	_ZN7rocprim17ROCPRIM_400000_NS6detail17trampoline_kernelINS0_13select_configILj256ELj13ELNS0_17block_load_methodE3ELS4_3ELS4_3ELNS0_20block_scan_algorithmE0ELj4294967295EEENS1_25partition_config_selectorILNS1_17partition_subalgoE4EjNS0_10empty_typeEbEEZZNS1_14partition_implILS8_4ELb0ES6_15HIP_vector_typeIjLj2EENS0_17counting_iteratorIjlEEPS9_SG_NS0_5tupleIJPjSI_NS0_16reverse_iteratorISI_EEEEENSH_IJSG_SG_SG_EEES9_SI_JZNS1_25segmented_radix_sort_implINS0_14default_configELb0EPKfPfPKlPlN2at6native12_GLOBAL__N_18offset_tEEE10hipError_tPvRmT1_PNSt15iterator_traitsIS12_E10value_typeET2_T3_PNS13_IS18_E10value_typeET4_jRbjT5_S1E_jjP12ihipStream_tbEUljE_ZNSN_ISO_Lb0ESQ_SR_ST_SU_SY_EESZ_S10_S11_S12_S16_S17_S18_S1B_S1C_jS1D_jS1E_S1E_jjS1G_bEUljE0_EEESZ_S10_S11_S18_S1C_S1E_T6_T7_T9_mT8_S1G_bDpT10_ENKUlT_T0_E_clISt17integral_constantIbLb1EES1U_EEDaS1P_S1Q_EUlS1P_E_NS1_11comp_targetILNS1_3genE8ELNS1_11target_archE1030ELNS1_3gpuE2ELNS1_3repE0EEENS1_30default_config_static_selectorELNS0_4arch9wavefront6targetE0EEEvS12_, .Lfunc_end1371-_ZN7rocprim17ROCPRIM_400000_NS6detail17trampoline_kernelINS0_13select_configILj256ELj13ELNS0_17block_load_methodE3ELS4_3ELS4_3ELNS0_20block_scan_algorithmE0ELj4294967295EEENS1_25partition_config_selectorILNS1_17partition_subalgoE4EjNS0_10empty_typeEbEEZZNS1_14partition_implILS8_4ELb0ES6_15HIP_vector_typeIjLj2EENS0_17counting_iteratorIjlEEPS9_SG_NS0_5tupleIJPjSI_NS0_16reverse_iteratorISI_EEEEENSH_IJSG_SG_SG_EEES9_SI_JZNS1_25segmented_radix_sort_implINS0_14default_configELb0EPKfPfPKlPlN2at6native12_GLOBAL__N_18offset_tEEE10hipError_tPvRmT1_PNSt15iterator_traitsIS12_E10value_typeET2_T3_PNS13_IS18_E10value_typeET4_jRbjT5_S1E_jjP12ihipStream_tbEUljE_ZNSN_ISO_Lb0ESQ_SR_ST_SU_SY_EESZ_S10_S11_S12_S16_S17_S18_S1B_S1C_jS1D_jS1E_S1E_jjS1G_bEUljE0_EEESZ_S10_S11_S18_S1C_S1E_T6_T7_T9_mT8_S1G_bDpT10_ENKUlT_T0_E_clISt17integral_constantIbLb1EES1U_EEDaS1P_S1Q_EUlS1P_E_NS1_11comp_targetILNS1_3genE8ELNS1_11target_archE1030ELNS1_3gpuE2ELNS1_3repE0EEENS1_30default_config_static_selectorELNS0_4arch9wavefront6targetE0EEEvS12_
                                        ; -- End function
	.set _ZN7rocprim17ROCPRIM_400000_NS6detail17trampoline_kernelINS0_13select_configILj256ELj13ELNS0_17block_load_methodE3ELS4_3ELS4_3ELNS0_20block_scan_algorithmE0ELj4294967295EEENS1_25partition_config_selectorILNS1_17partition_subalgoE4EjNS0_10empty_typeEbEEZZNS1_14partition_implILS8_4ELb0ES6_15HIP_vector_typeIjLj2EENS0_17counting_iteratorIjlEEPS9_SG_NS0_5tupleIJPjSI_NS0_16reverse_iteratorISI_EEEEENSH_IJSG_SG_SG_EEES9_SI_JZNS1_25segmented_radix_sort_implINS0_14default_configELb0EPKfPfPKlPlN2at6native12_GLOBAL__N_18offset_tEEE10hipError_tPvRmT1_PNSt15iterator_traitsIS12_E10value_typeET2_T3_PNS13_IS18_E10value_typeET4_jRbjT5_S1E_jjP12ihipStream_tbEUljE_ZNSN_ISO_Lb0ESQ_SR_ST_SU_SY_EESZ_S10_S11_S12_S16_S17_S18_S1B_S1C_jS1D_jS1E_S1E_jjS1G_bEUljE0_EEESZ_S10_S11_S18_S1C_S1E_T6_T7_T9_mT8_S1G_bDpT10_ENKUlT_T0_E_clISt17integral_constantIbLb1EES1U_EEDaS1P_S1Q_EUlS1P_E_NS1_11comp_targetILNS1_3genE8ELNS1_11target_archE1030ELNS1_3gpuE2ELNS1_3repE0EEENS1_30default_config_static_selectorELNS0_4arch9wavefront6targetE0EEEvS12_.num_vgpr, 0
	.set _ZN7rocprim17ROCPRIM_400000_NS6detail17trampoline_kernelINS0_13select_configILj256ELj13ELNS0_17block_load_methodE3ELS4_3ELS4_3ELNS0_20block_scan_algorithmE0ELj4294967295EEENS1_25partition_config_selectorILNS1_17partition_subalgoE4EjNS0_10empty_typeEbEEZZNS1_14partition_implILS8_4ELb0ES6_15HIP_vector_typeIjLj2EENS0_17counting_iteratorIjlEEPS9_SG_NS0_5tupleIJPjSI_NS0_16reverse_iteratorISI_EEEEENSH_IJSG_SG_SG_EEES9_SI_JZNS1_25segmented_radix_sort_implINS0_14default_configELb0EPKfPfPKlPlN2at6native12_GLOBAL__N_18offset_tEEE10hipError_tPvRmT1_PNSt15iterator_traitsIS12_E10value_typeET2_T3_PNS13_IS18_E10value_typeET4_jRbjT5_S1E_jjP12ihipStream_tbEUljE_ZNSN_ISO_Lb0ESQ_SR_ST_SU_SY_EESZ_S10_S11_S12_S16_S17_S18_S1B_S1C_jS1D_jS1E_S1E_jjS1G_bEUljE0_EEESZ_S10_S11_S18_S1C_S1E_T6_T7_T9_mT8_S1G_bDpT10_ENKUlT_T0_E_clISt17integral_constantIbLb1EES1U_EEDaS1P_S1Q_EUlS1P_E_NS1_11comp_targetILNS1_3genE8ELNS1_11target_archE1030ELNS1_3gpuE2ELNS1_3repE0EEENS1_30default_config_static_selectorELNS0_4arch9wavefront6targetE0EEEvS12_.num_agpr, 0
	.set _ZN7rocprim17ROCPRIM_400000_NS6detail17trampoline_kernelINS0_13select_configILj256ELj13ELNS0_17block_load_methodE3ELS4_3ELS4_3ELNS0_20block_scan_algorithmE0ELj4294967295EEENS1_25partition_config_selectorILNS1_17partition_subalgoE4EjNS0_10empty_typeEbEEZZNS1_14partition_implILS8_4ELb0ES6_15HIP_vector_typeIjLj2EENS0_17counting_iteratorIjlEEPS9_SG_NS0_5tupleIJPjSI_NS0_16reverse_iteratorISI_EEEEENSH_IJSG_SG_SG_EEES9_SI_JZNS1_25segmented_radix_sort_implINS0_14default_configELb0EPKfPfPKlPlN2at6native12_GLOBAL__N_18offset_tEEE10hipError_tPvRmT1_PNSt15iterator_traitsIS12_E10value_typeET2_T3_PNS13_IS18_E10value_typeET4_jRbjT5_S1E_jjP12ihipStream_tbEUljE_ZNSN_ISO_Lb0ESQ_SR_ST_SU_SY_EESZ_S10_S11_S12_S16_S17_S18_S1B_S1C_jS1D_jS1E_S1E_jjS1G_bEUljE0_EEESZ_S10_S11_S18_S1C_S1E_T6_T7_T9_mT8_S1G_bDpT10_ENKUlT_T0_E_clISt17integral_constantIbLb1EES1U_EEDaS1P_S1Q_EUlS1P_E_NS1_11comp_targetILNS1_3genE8ELNS1_11target_archE1030ELNS1_3gpuE2ELNS1_3repE0EEENS1_30default_config_static_selectorELNS0_4arch9wavefront6targetE0EEEvS12_.numbered_sgpr, 0
	.set _ZN7rocprim17ROCPRIM_400000_NS6detail17trampoline_kernelINS0_13select_configILj256ELj13ELNS0_17block_load_methodE3ELS4_3ELS4_3ELNS0_20block_scan_algorithmE0ELj4294967295EEENS1_25partition_config_selectorILNS1_17partition_subalgoE4EjNS0_10empty_typeEbEEZZNS1_14partition_implILS8_4ELb0ES6_15HIP_vector_typeIjLj2EENS0_17counting_iteratorIjlEEPS9_SG_NS0_5tupleIJPjSI_NS0_16reverse_iteratorISI_EEEEENSH_IJSG_SG_SG_EEES9_SI_JZNS1_25segmented_radix_sort_implINS0_14default_configELb0EPKfPfPKlPlN2at6native12_GLOBAL__N_18offset_tEEE10hipError_tPvRmT1_PNSt15iterator_traitsIS12_E10value_typeET2_T3_PNS13_IS18_E10value_typeET4_jRbjT5_S1E_jjP12ihipStream_tbEUljE_ZNSN_ISO_Lb0ESQ_SR_ST_SU_SY_EESZ_S10_S11_S12_S16_S17_S18_S1B_S1C_jS1D_jS1E_S1E_jjS1G_bEUljE0_EEESZ_S10_S11_S18_S1C_S1E_T6_T7_T9_mT8_S1G_bDpT10_ENKUlT_T0_E_clISt17integral_constantIbLb1EES1U_EEDaS1P_S1Q_EUlS1P_E_NS1_11comp_targetILNS1_3genE8ELNS1_11target_archE1030ELNS1_3gpuE2ELNS1_3repE0EEENS1_30default_config_static_selectorELNS0_4arch9wavefront6targetE0EEEvS12_.num_named_barrier, 0
	.set _ZN7rocprim17ROCPRIM_400000_NS6detail17trampoline_kernelINS0_13select_configILj256ELj13ELNS0_17block_load_methodE3ELS4_3ELS4_3ELNS0_20block_scan_algorithmE0ELj4294967295EEENS1_25partition_config_selectorILNS1_17partition_subalgoE4EjNS0_10empty_typeEbEEZZNS1_14partition_implILS8_4ELb0ES6_15HIP_vector_typeIjLj2EENS0_17counting_iteratorIjlEEPS9_SG_NS0_5tupleIJPjSI_NS0_16reverse_iteratorISI_EEEEENSH_IJSG_SG_SG_EEES9_SI_JZNS1_25segmented_radix_sort_implINS0_14default_configELb0EPKfPfPKlPlN2at6native12_GLOBAL__N_18offset_tEEE10hipError_tPvRmT1_PNSt15iterator_traitsIS12_E10value_typeET2_T3_PNS13_IS18_E10value_typeET4_jRbjT5_S1E_jjP12ihipStream_tbEUljE_ZNSN_ISO_Lb0ESQ_SR_ST_SU_SY_EESZ_S10_S11_S12_S16_S17_S18_S1B_S1C_jS1D_jS1E_S1E_jjS1G_bEUljE0_EEESZ_S10_S11_S18_S1C_S1E_T6_T7_T9_mT8_S1G_bDpT10_ENKUlT_T0_E_clISt17integral_constantIbLb1EES1U_EEDaS1P_S1Q_EUlS1P_E_NS1_11comp_targetILNS1_3genE8ELNS1_11target_archE1030ELNS1_3gpuE2ELNS1_3repE0EEENS1_30default_config_static_selectorELNS0_4arch9wavefront6targetE0EEEvS12_.private_seg_size, 0
	.set _ZN7rocprim17ROCPRIM_400000_NS6detail17trampoline_kernelINS0_13select_configILj256ELj13ELNS0_17block_load_methodE3ELS4_3ELS4_3ELNS0_20block_scan_algorithmE0ELj4294967295EEENS1_25partition_config_selectorILNS1_17partition_subalgoE4EjNS0_10empty_typeEbEEZZNS1_14partition_implILS8_4ELb0ES6_15HIP_vector_typeIjLj2EENS0_17counting_iteratorIjlEEPS9_SG_NS0_5tupleIJPjSI_NS0_16reverse_iteratorISI_EEEEENSH_IJSG_SG_SG_EEES9_SI_JZNS1_25segmented_radix_sort_implINS0_14default_configELb0EPKfPfPKlPlN2at6native12_GLOBAL__N_18offset_tEEE10hipError_tPvRmT1_PNSt15iterator_traitsIS12_E10value_typeET2_T3_PNS13_IS18_E10value_typeET4_jRbjT5_S1E_jjP12ihipStream_tbEUljE_ZNSN_ISO_Lb0ESQ_SR_ST_SU_SY_EESZ_S10_S11_S12_S16_S17_S18_S1B_S1C_jS1D_jS1E_S1E_jjS1G_bEUljE0_EEESZ_S10_S11_S18_S1C_S1E_T6_T7_T9_mT8_S1G_bDpT10_ENKUlT_T0_E_clISt17integral_constantIbLb1EES1U_EEDaS1P_S1Q_EUlS1P_E_NS1_11comp_targetILNS1_3genE8ELNS1_11target_archE1030ELNS1_3gpuE2ELNS1_3repE0EEENS1_30default_config_static_selectorELNS0_4arch9wavefront6targetE0EEEvS12_.uses_vcc, 0
	.set _ZN7rocprim17ROCPRIM_400000_NS6detail17trampoline_kernelINS0_13select_configILj256ELj13ELNS0_17block_load_methodE3ELS4_3ELS4_3ELNS0_20block_scan_algorithmE0ELj4294967295EEENS1_25partition_config_selectorILNS1_17partition_subalgoE4EjNS0_10empty_typeEbEEZZNS1_14partition_implILS8_4ELb0ES6_15HIP_vector_typeIjLj2EENS0_17counting_iteratorIjlEEPS9_SG_NS0_5tupleIJPjSI_NS0_16reverse_iteratorISI_EEEEENSH_IJSG_SG_SG_EEES9_SI_JZNS1_25segmented_radix_sort_implINS0_14default_configELb0EPKfPfPKlPlN2at6native12_GLOBAL__N_18offset_tEEE10hipError_tPvRmT1_PNSt15iterator_traitsIS12_E10value_typeET2_T3_PNS13_IS18_E10value_typeET4_jRbjT5_S1E_jjP12ihipStream_tbEUljE_ZNSN_ISO_Lb0ESQ_SR_ST_SU_SY_EESZ_S10_S11_S12_S16_S17_S18_S1B_S1C_jS1D_jS1E_S1E_jjS1G_bEUljE0_EEESZ_S10_S11_S18_S1C_S1E_T6_T7_T9_mT8_S1G_bDpT10_ENKUlT_T0_E_clISt17integral_constantIbLb1EES1U_EEDaS1P_S1Q_EUlS1P_E_NS1_11comp_targetILNS1_3genE8ELNS1_11target_archE1030ELNS1_3gpuE2ELNS1_3repE0EEENS1_30default_config_static_selectorELNS0_4arch9wavefront6targetE0EEEvS12_.uses_flat_scratch, 0
	.set _ZN7rocprim17ROCPRIM_400000_NS6detail17trampoline_kernelINS0_13select_configILj256ELj13ELNS0_17block_load_methodE3ELS4_3ELS4_3ELNS0_20block_scan_algorithmE0ELj4294967295EEENS1_25partition_config_selectorILNS1_17partition_subalgoE4EjNS0_10empty_typeEbEEZZNS1_14partition_implILS8_4ELb0ES6_15HIP_vector_typeIjLj2EENS0_17counting_iteratorIjlEEPS9_SG_NS0_5tupleIJPjSI_NS0_16reverse_iteratorISI_EEEEENSH_IJSG_SG_SG_EEES9_SI_JZNS1_25segmented_radix_sort_implINS0_14default_configELb0EPKfPfPKlPlN2at6native12_GLOBAL__N_18offset_tEEE10hipError_tPvRmT1_PNSt15iterator_traitsIS12_E10value_typeET2_T3_PNS13_IS18_E10value_typeET4_jRbjT5_S1E_jjP12ihipStream_tbEUljE_ZNSN_ISO_Lb0ESQ_SR_ST_SU_SY_EESZ_S10_S11_S12_S16_S17_S18_S1B_S1C_jS1D_jS1E_S1E_jjS1G_bEUljE0_EEESZ_S10_S11_S18_S1C_S1E_T6_T7_T9_mT8_S1G_bDpT10_ENKUlT_T0_E_clISt17integral_constantIbLb1EES1U_EEDaS1P_S1Q_EUlS1P_E_NS1_11comp_targetILNS1_3genE8ELNS1_11target_archE1030ELNS1_3gpuE2ELNS1_3repE0EEENS1_30default_config_static_selectorELNS0_4arch9wavefront6targetE0EEEvS12_.has_dyn_sized_stack, 0
	.set _ZN7rocprim17ROCPRIM_400000_NS6detail17trampoline_kernelINS0_13select_configILj256ELj13ELNS0_17block_load_methodE3ELS4_3ELS4_3ELNS0_20block_scan_algorithmE0ELj4294967295EEENS1_25partition_config_selectorILNS1_17partition_subalgoE4EjNS0_10empty_typeEbEEZZNS1_14partition_implILS8_4ELb0ES6_15HIP_vector_typeIjLj2EENS0_17counting_iteratorIjlEEPS9_SG_NS0_5tupleIJPjSI_NS0_16reverse_iteratorISI_EEEEENSH_IJSG_SG_SG_EEES9_SI_JZNS1_25segmented_radix_sort_implINS0_14default_configELb0EPKfPfPKlPlN2at6native12_GLOBAL__N_18offset_tEEE10hipError_tPvRmT1_PNSt15iterator_traitsIS12_E10value_typeET2_T3_PNS13_IS18_E10value_typeET4_jRbjT5_S1E_jjP12ihipStream_tbEUljE_ZNSN_ISO_Lb0ESQ_SR_ST_SU_SY_EESZ_S10_S11_S12_S16_S17_S18_S1B_S1C_jS1D_jS1E_S1E_jjS1G_bEUljE0_EEESZ_S10_S11_S18_S1C_S1E_T6_T7_T9_mT8_S1G_bDpT10_ENKUlT_T0_E_clISt17integral_constantIbLb1EES1U_EEDaS1P_S1Q_EUlS1P_E_NS1_11comp_targetILNS1_3genE8ELNS1_11target_archE1030ELNS1_3gpuE2ELNS1_3repE0EEENS1_30default_config_static_selectorELNS0_4arch9wavefront6targetE0EEEvS12_.has_recursion, 0
	.set _ZN7rocprim17ROCPRIM_400000_NS6detail17trampoline_kernelINS0_13select_configILj256ELj13ELNS0_17block_load_methodE3ELS4_3ELS4_3ELNS0_20block_scan_algorithmE0ELj4294967295EEENS1_25partition_config_selectorILNS1_17partition_subalgoE4EjNS0_10empty_typeEbEEZZNS1_14partition_implILS8_4ELb0ES6_15HIP_vector_typeIjLj2EENS0_17counting_iteratorIjlEEPS9_SG_NS0_5tupleIJPjSI_NS0_16reverse_iteratorISI_EEEEENSH_IJSG_SG_SG_EEES9_SI_JZNS1_25segmented_radix_sort_implINS0_14default_configELb0EPKfPfPKlPlN2at6native12_GLOBAL__N_18offset_tEEE10hipError_tPvRmT1_PNSt15iterator_traitsIS12_E10value_typeET2_T3_PNS13_IS18_E10value_typeET4_jRbjT5_S1E_jjP12ihipStream_tbEUljE_ZNSN_ISO_Lb0ESQ_SR_ST_SU_SY_EESZ_S10_S11_S12_S16_S17_S18_S1B_S1C_jS1D_jS1E_S1E_jjS1G_bEUljE0_EEESZ_S10_S11_S18_S1C_S1E_T6_T7_T9_mT8_S1G_bDpT10_ENKUlT_T0_E_clISt17integral_constantIbLb1EES1U_EEDaS1P_S1Q_EUlS1P_E_NS1_11comp_targetILNS1_3genE8ELNS1_11target_archE1030ELNS1_3gpuE2ELNS1_3repE0EEENS1_30default_config_static_selectorELNS0_4arch9wavefront6targetE0EEEvS12_.has_indirect_call, 0
	.section	.AMDGPU.csdata,"",@progbits
; Kernel info:
; codeLenInByte = 4
; TotalNumSgprs: 0
; NumVgprs: 0
; ScratchSize: 0
; MemoryBound: 0
; FloatMode: 240
; IeeeMode: 1
; LDSByteSize: 0 bytes/workgroup (compile time only)
; SGPRBlocks: 0
; VGPRBlocks: 0
; NumSGPRsForWavesPerEU: 1
; NumVGPRsForWavesPerEU: 1
; Occupancy: 16
; WaveLimiterHint : 0
; COMPUTE_PGM_RSRC2:SCRATCH_EN: 0
; COMPUTE_PGM_RSRC2:USER_SGPR: 6
; COMPUTE_PGM_RSRC2:TRAP_HANDLER: 0
; COMPUTE_PGM_RSRC2:TGID_X_EN: 1
; COMPUTE_PGM_RSRC2:TGID_Y_EN: 0
; COMPUTE_PGM_RSRC2:TGID_Z_EN: 0
; COMPUTE_PGM_RSRC2:TIDIG_COMP_CNT: 0
	.section	.text._ZN7rocprim17ROCPRIM_400000_NS6detail17trampoline_kernelINS0_13select_configILj256ELj13ELNS0_17block_load_methodE3ELS4_3ELS4_3ELNS0_20block_scan_algorithmE0ELj4294967295EEENS1_25partition_config_selectorILNS1_17partition_subalgoE4EjNS0_10empty_typeEbEEZZNS1_14partition_implILS8_4ELb0ES6_15HIP_vector_typeIjLj2EENS0_17counting_iteratorIjlEEPS9_SG_NS0_5tupleIJPjSI_NS0_16reverse_iteratorISI_EEEEENSH_IJSG_SG_SG_EEES9_SI_JZNS1_25segmented_radix_sort_implINS0_14default_configELb0EPKfPfPKlPlN2at6native12_GLOBAL__N_18offset_tEEE10hipError_tPvRmT1_PNSt15iterator_traitsIS12_E10value_typeET2_T3_PNS13_IS18_E10value_typeET4_jRbjT5_S1E_jjP12ihipStream_tbEUljE_ZNSN_ISO_Lb0ESQ_SR_ST_SU_SY_EESZ_S10_S11_S12_S16_S17_S18_S1B_S1C_jS1D_jS1E_S1E_jjS1G_bEUljE0_EEESZ_S10_S11_S18_S1C_S1E_T6_T7_T9_mT8_S1G_bDpT10_ENKUlT_T0_E_clISt17integral_constantIbLb1EES1T_IbLb0EEEEDaS1P_S1Q_EUlS1P_E_NS1_11comp_targetILNS1_3genE0ELNS1_11target_archE4294967295ELNS1_3gpuE0ELNS1_3repE0EEENS1_30default_config_static_selectorELNS0_4arch9wavefront6targetE0EEEvS12_,"axG",@progbits,_ZN7rocprim17ROCPRIM_400000_NS6detail17trampoline_kernelINS0_13select_configILj256ELj13ELNS0_17block_load_methodE3ELS4_3ELS4_3ELNS0_20block_scan_algorithmE0ELj4294967295EEENS1_25partition_config_selectorILNS1_17partition_subalgoE4EjNS0_10empty_typeEbEEZZNS1_14partition_implILS8_4ELb0ES6_15HIP_vector_typeIjLj2EENS0_17counting_iteratorIjlEEPS9_SG_NS0_5tupleIJPjSI_NS0_16reverse_iteratorISI_EEEEENSH_IJSG_SG_SG_EEES9_SI_JZNS1_25segmented_radix_sort_implINS0_14default_configELb0EPKfPfPKlPlN2at6native12_GLOBAL__N_18offset_tEEE10hipError_tPvRmT1_PNSt15iterator_traitsIS12_E10value_typeET2_T3_PNS13_IS18_E10value_typeET4_jRbjT5_S1E_jjP12ihipStream_tbEUljE_ZNSN_ISO_Lb0ESQ_SR_ST_SU_SY_EESZ_S10_S11_S12_S16_S17_S18_S1B_S1C_jS1D_jS1E_S1E_jjS1G_bEUljE0_EEESZ_S10_S11_S18_S1C_S1E_T6_T7_T9_mT8_S1G_bDpT10_ENKUlT_T0_E_clISt17integral_constantIbLb1EES1T_IbLb0EEEEDaS1P_S1Q_EUlS1P_E_NS1_11comp_targetILNS1_3genE0ELNS1_11target_archE4294967295ELNS1_3gpuE0ELNS1_3repE0EEENS1_30default_config_static_selectorELNS0_4arch9wavefront6targetE0EEEvS12_,comdat
	.globl	_ZN7rocprim17ROCPRIM_400000_NS6detail17trampoline_kernelINS0_13select_configILj256ELj13ELNS0_17block_load_methodE3ELS4_3ELS4_3ELNS0_20block_scan_algorithmE0ELj4294967295EEENS1_25partition_config_selectorILNS1_17partition_subalgoE4EjNS0_10empty_typeEbEEZZNS1_14partition_implILS8_4ELb0ES6_15HIP_vector_typeIjLj2EENS0_17counting_iteratorIjlEEPS9_SG_NS0_5tupleIJPjSI_NS0_16reverse_iteratorISI_EEEEENSH_IJSG_SG_SG_EEES9_SI_JZNS1_25segmented_radix_sort_implINS0_14default_configELb0EPKfPfPKlPlN2at6native12_GLOBAL__N_18offset_tEEE10hipError_tPvRmT1_PNSt15iterator_traitsIS12_E10value_typeET2_T3_PNS13_IS18_E10value_typeET4_jRbjT5_S1E_jjP12ihipStream_tbEUljE_ZNSN_ISO_Lb0ESQ_SR_ST_SU_SY_EESZ_S10_S11_S12_S16_S17_S18_S1B_S1C_jS1D_jS1E_S1E_jjS1G_bEUljE0_EEESZ_S10_S11_S18_S1C_S1E_T6_T7_T9_mT8_S1G_bDpT10_ENKUlT_T0_E_clISt17integral_constantIbLb1EES1T_IbLb0EEEEDaS1P_S1Q_EUlS1P_E_NS1_11comp_targetILNS1_3genE0ELNS1_11target_archE4294967295ELNS1_3gpuE0ELNS1_3repE0EEENS1_30default_config_static_selectorELNS0_4arch9wavefront6targetE0EEEvS12_ ; -- Begin function _ZN7rocprim17ROCPRIM_400000_NS6detail17trampoline_kernelINS0_13select_configILj256ELj13ELNS0_17block_load_methodE3ELS4_3ELS4_3ELNS0_20block_scan_algorithmE0ELj4294967295EEENS1_25partition_config_selectorILNS1_17partition_subalgoE4EjNS0_10empty_typeEbEEZZNS1_14partition_implILS8_4ELb0ES6_15HIP_vector_typeIjLj2EENS0_17counting_iteratorIjlEEPS9_SG_NS0_5tupleIJPjSI_NS0_16reverse_iteratorISI_EEEEENSH_IJSG_SG_SG_EEES9_SI_JZNS1_25segmented_radix_sort_implINS0_14default_configELb0EPKfPfPKlPlN2at6native12_GLOBAL__N_18offset_tEEE10hipError_tPvRmT1_PNSt15iterator_traitsIS12_E10value_typeET2_T3_PNS13_IS18_E10value_typeET4_jRbjT5_S1E_jjP12ihipStream_tbEUljE_ZNSN_ISO_Lb0ESQ_SR_ST_SU_SY_EESZ_S10_S11_S12_S16_S17_S18_S1B_S1C_jS1D_jS1E_S1E_jjS1G_bEUljE0_EEESZ_S10_S11_S18_S1C_S1E_T6_T7_T9_mT8_S1G_bDpT10_ENKUlT_T0_E_clISt17integral_constantIbLb1EES1T_IbLb0EEEEDaS1P_S1Q_EUlS1P_E_NS1_11comp_targetILNS1_3genE0ELNS1_11target_archE4294967295ELNS1_3gpuE0ELNS1_3repE0EEENS1_30default_config_static_selectorELNS0_4arch9wavefront6targetE0EEEvS12_
	.p2align	8
	.type	_ZN7rocprim17ROCPRIM_400000_NS6detail17trampoline_kernelINS0_13select_configILj256ELj13ELNS0_17block_load_methodE3ELS4_3ELS4_3ELNS0_20block_scan_algorithmE0ELj4294967295EEENS1_25partition_config_selectorILNS1_17partition_subalgoE4EjNS0_10empty_typeEbEEZZNS1_14partition_implILS8_4ELb0ES6_15HIP_vector_typeIjLj2EENS0_17counting_iteratorIjlEEPS9_SG_NS0_5tupleIJPjSI_NS0_16reverse_iteratorISI_EEEEENSH_IJSG_SG_SG_EEES9_SI_JZNS1_25segmented_radix_sort_implINS0_14default_configELb0EPKfPfPKlPlN2at6native12_GLOBAL__N_18offset_tEEE10hipError_tPvRmT1_PNSt15iterator_traitsIS12_E10value_typeET2_T3_PNS13_IS18_E10value_typeET4_jRbjT5_S1E_jjP12ihipStream_tbEUljE_ZNSN_ISO_Lb0ESQ_SR_ST_SU_SY_EESZ_S10_S11_S12_S16_S17_S18_S1B_S1C_jS1D_jS1E_S1E_jjS1G_bEUljE0_EEESZ_S10_S11_S18_S1C_S1E_T6_T7_T9_mT8_S1G_bDpT10_ENKUlT_T0_E_clISt17integral_constantIbLb1EES1T_IbLb0EEEEDaS1P_S1Q_EUlS1P_E_NS1_11comp_targetILNS1_3genE0ELNS1_11target_archE4294967295ELNS1_3gpuE0ELNS1_3repE0EEENS1_30default_config_static_selectorELNS0_4arch9wavefront6targetE0EEEvS12_,@function
_ZN7rocprim17ROCPRIM_400000_NS6detail17trampoline_kernelINS0_13select_configILj256ELj13ELNS0_17block_load_methodE3ELS4_3ELS4_3ELNS0_20block_scan_algorithmE0ELj4294967295EEENS1_25partition_config_selectorILNS1_17partition_subalgoE4EjNS0_10empty_typeEbEEZZNS1_14partition_implILS8_4ELb0ES6_15HIP_vector_typeIjLj2EENS0_17counting_iteratorIjlEEPS9_SG_NS0_5tupleIJPjSI_NS0_16reverse_iteratorISI_EEEEENSH_IJSG_SG_SG_EEES9_SI_JZNS1_25segmented_radix_sort_implINS0_14default_configELb0EPKfPfPKlPlN2at6native12_GLOBAL__N_18offset_tEEE10hipError_tPvRmT1_PNSt15iterator_traitsIS12_E10value_typeET2_T3_PNS13_IS18_E10value_typeET4_jRbjT5_S1E_jjP12ihipStream_tbEUljE_ZNSN_ISO_Lb0ESQ_SR_ST_SU_SY_EESZ_S10_S11_S12_S16_S17_S18_S1B_S1C_jS1D_jS1E_S1E_jjS1G_bEUljE0_EEESZ_S10_S11_S18_S1C_S1E_T6_T7_T9_mT8_S1G_bDpT10_ENKUlT_T0_E_clISt17integral_constantIbLb1EES1T_IbLb0EEEEDaS1P_S1Q_EUlS1P_E_NS1_11comp_targetILNS1_3genE0ELNS1_11target_archE4294967295ELNS1_3gpuE0ELNS1_3repE0EEENS1_30default_config_static_selectorELNS0_4arch9wavefront6targetE0EEEvS12_: ; @_ZN7rocprim17ROCPRIM_400000_NS6detail17trampoline_kernelINS0_13select_configILj256ELj13ELNS0_17block_load_methodE3ELS4_3ELS4_3ELNS0_20block_scan_algorithmE0ELj4294967295EEENS1_25partition_config_selectorILNS1_17partition_subalgoE4EjNS0_10empty_typeEbEEZZNS1_14partition_implILS8_4ELb0ES6_15HIP_vector_typeIjLj2EENS0_17counting_iteratorIjlEEPS9_SG_NS0_5tupleIJPjSI_NS0_16reverse_iteratorISI_EEEEENSH_IJSG_SG_SG_EEES9_SI_JZNS1_25segmented_radix_sort_implINS0_14default_configELb0EPKfPfPKlPlN2at6native12_GLOBAL__N_18offset_tEEE10hipError_tPvRmT1_PNSt15iterator_traitsIS12_E10value_typeET2_T3_PNS13_IS18_E10value_typeET4_jRbjT5_S1E_jjP12ihipStream_tbEUljE_ZNSN_ISO_Lb0ESQ_SR_ST_SU_SY_EESZ_S10_S11_S12_S16_S17_S18_S1B_S1C_jS1D_jS1E_S1E_jjS1G_bEUljE0_EEESZ_S10_S11_S18_S1C_S1E_T6_T7_T9_mT8_S1G_bDpT10_ENKUlT_T0_E_clISt17integral_constantIbLb1EES1T_IbLb0EEEEDaS1P_S1Q_EUlS1P_E_NS1_11comp_targetILNS1_3genE0ELNS1_11target_archE4294967295ELNS1_3gpuE0ELNS1_3repE0EEENS1_30default_config_static_selectorELNS0_4arch9wavefront6targetE0EEEvS12_
; %bb.0:
	.section	.rodata,"a",@progbits
	.p2align	6, 0x0
	.amdhsa_kernel _ZN7rocprim17ROCPRIM_400000_NS6detail17trampoline_kernelINS0_13select_configILj256ELj13ELNS0_17block_load_methodE3ELS4_3ELS4_3ELNS0_20block_scan_algorithmE0ELj4294967295EEENS1_25partition_config_selectorILNS1_17partition_subalgoE4EjNS0_10empty_typeEbEEZZNS1_14partition_implILS8_4ELb0ES6_15HIP_vector_typeIjLj2EENS0_17counting_iteratorIjlEEPS9_SG_NS0_5tupleIJPjSI_NS0_16reverse_iteratorISI_EEEEENSH_IJSG_SG_SG_EEES9_SI_JZNS1_25segmented_radix_sort_implINS0_14default_configELb0EPKfPfPKlPlN2at6native12_GLOBAL__N_18offset_tEEE10hipError_tPvRmT1_PNSt15iterator_traitsIS12_E10value_typeET2_T3_PNS13_IS18_E10value_typeET4_jRbjT5_S1E_jjP12ihipStream_tbEUljE_ZNSN_ISO_Lb0ESQ_SR_ST_SU_SY_EESZ_S10_S11_S12_S16_S17_S18_S1B_S1C_jS1D_jS1E_S1E_jjS1G_bEUljE0_EEESZ_S10_S11_S18_S1C_S1E_T6_T7_T9_mT8_S1G_bDpT10_ENKUlT_T0_E_clISt17integral_constantIbLb1EES1T_IbLb0EEEEDaS1P_S1Q_EUlS1P_E_NS1_11comp_targetILNS1_3genE0ELNS1_11target_archE4294967295ELNS1_3gpuE0ELNS1_3repE0EEENS1_30default_config_static_selectorELNS0_4arch9wavefront6targetE0EEEvS12_
		.amdhsa_group_segment_fixed_size 0
		.amdhsa_private_segment_fixed_size 0
		.amdhsa_kernarg_size 176
		.amdhsa_user_sgpr_count 6
		.amdhsa_user_sgpr_private_segment_buffer 1
		.amdhsa_user_sgpr_dispatch_ptr 0
		.amdhsa_user_sgpr_queue_ptr 0
		.amdhsa_user_sgpr_kernarg_segment_ptr 1
		.amdhsa_user_sgpr_dispatch_id 0
		.amdhsa_user_sgpr_flat_scratch_init 0
		.amdhsa_user_sgpr_private_segment_size 0
		.amdhsa_wavefront_size32 1
		.amdhsa_uses_dynamic_stack 0
		.amdhsa_system_sgpr_private_segment_wavefront_offset 0
		.amdhsa_system_sgpr_workgroup_id_x 1
		.amdhsa_system_sgpr_workgroup_id_y 0
		.amdhsa_system_sgpr_workgroup_id_z 0
		.amdhsa_system_sgpr_workgroup_info 0
		.amdhsa_system_vgpr_workitem_id 0
		.amdhsa_next_free_vgpr 1
		.amdhsa_next_free_sgpr 1
		.amdhsa_reserve_vcc 0
		.amdhsa_reserve_flat_scratch 0
		.amdhsa_float_round_mode_32 0
		.amdhsa_float_round_mode_16_64 0
		.amdhsa_float_denorm_mode_32 3
		.amdhsa_float_denorm_mode_16_64 3
		.amdhsa_dx10_clamp 1
		.amdhsa_ieee_mode 1
		.amdhsa_fp16_overflow 0
		.amdhsa_workgroup_processor_mode 1
		.amdhsa_memory_ordered 1
		.amdhsa_forward_progress 1
		.amdhsa_shared_vgpr_count 0
		.amdhsa_exception_fp_ieee_invalid_op 0
		.amdhsa_exception_fp_denorm_src 0
		.amdhsa_exception_fp_ieee_div_zero 0
		.amdhsa_exception_fp_ieee_overflow 0
		.amdhsa_exception_fp_ieee_underflow 0
		.amdhsa_exception_fp_ieee_inexact 0
		.amdhsa_exception_int_div_zero 0
	.end_amdhsa_kernel
	.section	.text._ZN7rocprim17ROCPRIM_400000_NS6detail17trampoline_kernelINS0_13select_configILj256ELj13ELNS0_17block_load_methodE3ELS4_3ELS4_3ELNS0_20block_scan_algorithmE0ELj4294967295EEENS1_25partition_config_selectorILNS1_17partition_subalgoE4EjNS0_10empty_typeEbEEZZNS1_14partition_implILS8_4ELb0ES6_15HIP_vector_typeIjLj2EENS0_17counting_iteratorIjlEEPS9_SG_NS0_5tupleIJPjSI_NS0_16reverse_iteratorISI_EEEEENSH_IJSG_SG_SG_EEES9_SI_JZNS1_25segmented_radix_sort_implINS0_14default_configELb0EPKfPfPKlPlN2at6native12_GLOBAL__N_18offset_tEEE10hipError_tPvRmT1_PNSt15iterator_traitsIS12_E10value_typeET2_T3_PNS13_IS18_E10value_typeET4_jRbjT5_S1E_jjP12ihipStream_tbEUljE_ZNSN_ISO_Lb0ESQ_SR_ST_SU_SY_EESZ_S10_S11_S12_S16_S17_S18_S1B_S1C_jS1D_jS1E_S1E_jjS1G_bEUljE0_EEESZ_S10_S11_S18_S1C_S1E_T6_T7_T9_mT8_S1G_bDpT10_ENKUlT_T0_E_clISt17integral_constantIbLb1EES1T_IbLb0EEEEDaS1P_S1Q_EUlS1P_E_NS1_11comp_targetILNS1_3genE0ELNS1_11target_archE4294967295ELNS1_3gpuE0ELNS1_3repE0EEENS1_30default_config_static_selectorELNS0_4arch9wavefront6targetE0EEEvS12_,"axG",@progbits,_ZN7rocprim17ROCPRIM_400000_NS6detail17trampoline_kernelINS0_13select_configILj256ELj13ELNS0_17block_load_methodE3ELS4_3ELS4_3ELNS0_20block_scan_algorithmE0ELj4294967295EEENS1_25partition_config_selectorILNS1_17partition_subalgoE4EjNS0_10empty_typeEbEEZZNS1_14partition_implILS8_4ELb0ES6_15HIP_vector_typeIjLj2EENS0_17counting_iteratorIjlEEPS9_SG_NS0_5tupleIJPjSI_NS0_16reverse_iteratorISI_EEEEENSH_IJSG_SG_SG_EEES9_SI_JZNS1_25segmented_radix_sort_implINS0_14default_configELb0EPKfPfPKlPlN2at6native12_GLOBAL__N_18offset_tEEE10hipError_tPvRmT1_PNSt15iterator_traitsIS12_E10value_typeET2_T3_PNS13_IS18_E10value_typeET4_jRbjT5_S1E_jjP12ihipStream_tbEUljE_ZNSN_ISO_Lb0ESQ_SR_ST_SU_SY_EESZ_S10_S11_S12_S16_S17_S18_S1B_S1C_jS1D_jS1E_S1E_jjS1G_bEUljE0_EEESZ_S10_S11_S18_S1C_S1E_T6_T7_T9_mT8_S1G_bDpT10_ENKUlT_T0_E_clISt17integral_constantIbLb1EES1T_IbLb0EEEEDaS1P_S1Q_EUlS1P_E_NS1_11comp_targetILNS1_3genE0ELNS1_11target_archE4294967295ELNS1_3gpuE0ELNS1_3repE0EEENS1_30default_config_static_selectorELNS0_4arch9wavefront6targetE0EEEvS12_,comdat
.Lfunc_end1372:
	.size	_ZN7rocprim17ROCPRIM_400000_NS6detail17trampoline_kernelINS0_13select_configILj256ELj13ELNS0_17block_load_methodE3ELS4_3ELS4_3ELNS0_20block_scan_algorithmE0ELj4294967295EEENS1_25partition_config_selectorILNS1_17partition_subalgoE4EjNS0_10empty_typeEbEEZZNS1_14partition_implILS8_4ELb0ES6_15HIP_vector_typeIjLj2EENS0_17counting_iteratorIjlEEPS9_SG_NS0_5tupleIJPjSI_NS0_16reverse_iteratorISI_EEEEENSH_IJSG_SG_SG_EEES9_SI_JZNS1_25segmented_radix_sort_implINS0_14default_configELb0EPKfPfPKlPlN2at6native12_GLOBAL__N_18offset_tEEE10hipError_tPvRmT1_PNSt15iterator_traitsIS12_E10value_typeET2_T3_PNS13_IS18_E10value_typeET4_jRbjT5_S1E_jjP12ihipStream_tbEUljE_ZNSN_ISO_Lb0ESQ_SR_ST_SU_SY_EESZ_S10_S11_S12_S16_S17_S18_S1B_S1C_jS1D_jS1E_S1E_jjS1G_bEUljE0_EEESZ_S10_S11_S18_S1C_S1E_T6_T7_T9_mT8_S1G_bDpT10_ENKUlT_T0_E_clISt17integral_constantIbLb1EES1T_IbLb0EEEEDaS1P_S1Q_EUlS1P_E_NS1_11comp_targetILNS1_3genE0ELNS1_11target_archE4294967295ELNS1_3gpuE0ELNS1_3repE0EEENS1_30default_config_static_selectorELNS0_4arch9wavefront6targetE0EEEvS12_, .Lfunc_end1372-_ZN7rocprim17ROCPRIM_400000_NS6detail17trampoline_kernelINS0_13select_configILj256ELj13ELNS0_17block_load_methodE3ELS4_3ELS4_3ELNS0_20block_scan_algorithmE0ELj4294967295EEENS1_25partition_config_selectorILNS1_17partition_subalgoE4EjNS0_10empty_typeEbEEZZNS1_14partition_implILS8_4ELb0ES6_15HIP_vector_typeIjLj2EENS0_17counting_iteratorIjlEEPS9_SG_NS0_5tupleIJPjSI_NS0_16reverse_iteratorISI_EEEEENSH_IJSG_SG_SG_EEES9_SI_JZNS1_25segmented_radix_sort_implINS0_14default_configELb0EPKfPfPKlPlN2at6native12_GLOBAL__N_18offset_tEEE10hipError_tPvRmT1_PNSt15iterator_traitsIS12_E10value_typeET2_T3_PNS13_IS18_E10value_typeET4_jRbjT5_S1E_jjP12ihipStream_tbEUljE_ZNSN_ISO_Lb0ESQ_SR_ST_SU_SY_EESZ_S10_S11_S12_S16_S17_S18_S1B_S1C_jS1D_jS1E_S1E_jjS1G_bEUljE0_EEESZ_S10_S11_S18_S1C_S1E_T6_T7_T9_mT8_S1G_bDpT10_ENKUlT_T0_E_clISt17integral_constantIbLb1EES1T_IbLb0EEEEDaS1P_S1Q_EUlS1P_E_NS1_11comp_targetILNS1_3genE0ELNS1_11target_archE4294967295ELNS1_3gpuE0ELNS1_3repE0EEENS1_30default_config_static_selectorELNS0_4arch9wavefront6targetE0EEEvS12_
                                        ; -- End function
	.set _ZN7rocprim17ROCPRIM_400000_NS6detail17trampoline_kernelINS0_13select_configILj256ELj13ELNS0_17block_load_methodE3ELS4_3ELS4_3ELNS0_20block_scan_algorithmE0ELj4294967295EEENS1_25partition_config_selectorILNS1_17partition_subalgoE4EjNS0_10empty_typeEbEEZZNS1_14partition_implILS8_4ELb0ES6_15HIP_vector_typeIjLj2EENS0_17counting_iteratorIjlEEPS9_SG_NS0_5tupleIJPjSI_NS0_16reverse_iteratorISI_EEEEENSH_IJSG_SG_SG_EEES9_SI_JZNS1_25segmented_radix_sort_implINS0_14default_configELb0EPKfPfPKlPlN2at6native12_GLOBAL__N_18offset_tEEE10hipError_tPvRmT1_PNSt15iterator_traitsIS12_E10value_typeET2_T3_PNS13_IS18_E10value_typeET4_jRbjT5_S1E_jjP12ihipStream_tbEUljE_ZNSN_ISO_Lb0ESQ_SR_ST_SU_SY_EESZ_S10_S11_S12_S16_S17_S18_S1B_S1C_jS1D_jS1E_S1E_jjS1G_bEUljE0_EEESZ_S10_S11_S18_S1C_S1E_T6_T7_T9_mT8_S1G_bDpT10_ENKUlT_T0_E_clISt17integral_constantIbLb1EES1T_IbLb0EEEEDaS1P_S1Q_EUlS1P_E_NS1_11comp_targetILNS1_3genE0ELNS1_11target_archE4294967295ELNS1_3gpuE0ELNS1_3repE0EEENS1_30default_config_static_selectorELNS0_4arch9wavefront6targetE0EEEvS12_.num_vgpr, 0
	.set _ZN7rocprim17ROCPRIM_400000_NS6detail17trampoline_kernelINS0_13select_configILj256ELj13ELNS0_17block_load_methodE3ELS4_3ELS4_3ELNS0_20block_scan_algorithmE0ELj4294967295EEENS1_25partition_config_selectorILNS1_17partition_subalgoE4EjNS0_10empty_typeEbEEZZNS1_14partition_implILS8_4ELb0ES6_15HIP_vector_typeIjLj2EENS0_17counting_iteratorIjlEEPS9_SG_NS0_5tupleIJPjSI_NS0_16reverse_iteratorISI_EEEEENSH_IJSG_SG_SG_EEES9_SI_JZNS1_25segmented_radix_sort_implINS0_14default_configELb0EPKfPfPKlPlN2at6native12_GLOBAL__N_18offset_tEEE10hipError_tPvRmT1_PNSt15iterator_traitsIS12_E10value_typeET2_T3_PNS13_IS18_E10value_typeET4_jRbjT5_S1E_jjP12ihipStream_tbEUljE_ZNSN_ISO_Lb0ESQ_SR_ST_SU_SY_EESZ_S10_S11_S12_S16_S17_S18_S1B_S1C_jS1D_jS1E_S1E_jjS1G_bEUljE0_EEESZ_S10_S11_S18_S1C_S1E_T6_T7_T9_mT8_S1G_bDpT10_ENKUlT_T0_E_clISt17integral_constantIbLb1EES1T_IbLb0EEEEDaS1P_S1Q_EUlS1P_E_NS1_11comp_targetILNS1_3genE0ELNS1_11target_archE4294967295ELNS1_3gpuE0ELNS1_3repE0EEENS1_30default_config_static_selectorELNS0_4arch9wavefront6targetE0EEEvS12_.num_agpr, 0
	.set _ZN7rocprim17ROCPRIM_400000_NS6detail17trampoline_kernelINS0_13select_configILj256ELj13ELNS0_17block_load_methodE3ELS4_3ELS4_3ELNS0_20block_scan_algorithmE0ELj4294967295EEENS1_25partition_config_selectorILNS1_17partition_subalgoE4EjNS0_10empty_typeEbEEZZNS1_14partition_implILS8_4ELb0ES6_15HIP_vector_typeIjLj2EENS0_17counting_iteratorIjlEEPS9_SG_NS0_5tupleIJPjSI_NS0_16reverse_iteratorISI_EEEEENSH_IJSG_SG_SG_EEES9_SI_JZNS1_25segmented_radix_sort_implINS0_14default_configELb0EPKfPfPKlPlN2at6native12_GLOBAL__N_18offset_tEEE10hipError_tPvRmT1_PNSt15iterator_traitsIS12_E10value_typeET2_T3_PNS13_IS18_E10value_typeET4_jRbjT5_S1E_jjP12ihipStream_tbEUljE_ZNSN_ISO_Lb0ESQ_SR_ST_SU_SY_EESZ_S10_S11_S12_S16_S17_S18_S1B_S1C_jS1D_jS1E_S1E_jjS1G_bEUljE0_EEESZ_S10_S11_S18_S1C_S1E_T6_T7_T9_mT8_S1G_bDpT10_ENKUlT_T0_E_clISt17integral_constantIbLb1EES1T_IbLb0EEEEDaS1P_S1Q_EUlS1P_E_NS1_11comp_targetILNS1_3genE0ELNS1_11target_archE4294967295ELNS1_3gpuE0ELNS1_3repE0EEENS1_30default_config_static_selectorELNS0_4arch9wavefront6targetE0EEEvS12_.numbered_sgpr, 0
	.set _ZN7rocprim17ROCPRIM_400000_NS6detail17trampoline_kernelINS0_13select_configILj256ELj13ELNS0_17block_load_methodE3ELS4_3ELS4_3ELNS0_20block_scan_algorithmE0ELj4294967295EEENS1_25partition_config_selectorILNS1_17partition_subalgoE4EjNS0_10empty_typeEbEEZZNS1_14partition_implILS8_4ELb0ES6_15HIP_vector_typeIjLj2EENS0_17counting_iteratorIjlEEPS9_SG_NS0_5tupleIJPjSI_NS0_16reverse_iteratorISI_EEEEENSH_IJSG_SG_SG_EEES9_SI_JZNS1_25segmented_radix_sort_implINS0_14default_configELb0EPKfPfPKlPlN2at6native12_GLOBAL__N_18offset_tEEE10hipError_tPvRmT1_PNSt15iterator_traitsIS12_E10value_typeET2_T3_PNS13_IS18_E10value_typeET4_jRbjT5_S1E_jjP12ihipStream_tbEUljE_ZNSN_ISO_Lb0ESQ_SR_ST_SU_SY_EESZ_S10_S11_S12_S16_S17_S18_S1B_S1C_jS1D_jS1E_S1E_jjS1G_bEUljE0_EEESZ_S10_S11_S18_S1C_S1E_T6_T7_T9_mT8_S1G_bDpT10_ENKUlT_T0_E_clISt17integral_constantIbLb1EES1T_IbLb0EEEEDaS1P_S1Q_EUlS1P_E_NS1_11comp_targetILNS1_3genE0ELNS1_11target_archE4294967295ELNS1_3gpuE0ELNS1_3repE0EEENS1_30default_config_static_selectorELNS0_4arch9wavefront6targetE0EEEvS12_.num_named_barrier, 0
	.set _ZN7rocprim17ROCPRIM_400000_NS6detail17trampoline_kernelINS0_13select_configILj256ELj13ELNS0_17block_load_methodE3ELS4_3ELS4_3ELNS0_20block_scan_algorithmE0ELj4294967295EEENS1_25partition_config_selectorILNS1_17partition_subalgoE4EjNS0_10empty_typeEbEEZZNS1_14partition_implILS8_4ELb0ES6_15HIP_vector_typeIjLj2EENS0_17counting_iteratorIjlEEPS9_SG_NS0_5tupleIJPjSI_NS0_16reverse_iteratorISI_EEEEENSH_IJSG_SG_SG_EEES9_SI_JZNS1_25segmented_radix_sort_implINS0_14default_configELb0EPKfPfPKlPlN2at6native12_GLOBAL__N_18offset_tEEE10hipError_tPvRmT1_PNSt15iterator_traitsIS12_E10value_typeET2_T3_PNS13_IS18_E10value_typeET4_jRbjT5_S1E_jjP12ihipStream_tbEUljE_ZNSN_ISO_Lb0ESQ_SR_ST_SU_SY_EESZ_S10_S11_S12_S16_S17_S18_S1B_S1C_jS1D_jS1E_S1E_jjS1G_bEUljE0_EEESZ_S10_S11_S18_S1C_S1E_T6_T7_T9_mT8_S1G_bDpT10_ENKUlT_T0_E_clISt17integral_constantIbLb1EES1T_IbLb0EEEEDaS1P_S1Q_EUlS1P_E_NS1_11comp_targetILNS1_3genE0ELNS1_11target_archE4294967295ELNS1_3gpuE0ELNS1_3repE0EEENS1_30default_config_static_selectorELNS0_4arch9wavefront6targetE0EEEvS12_.private_seg_size, 0
	.set _ZN7rocprim17ROCPRIM_400000_NS6detail17trampoline_kernelINS0_13select_configILj256ELj13ELNS0_17block_load_methodE3ELS4_3ELS4_3ELNS0_20block_scan_algorithmE0ELj4294967295EEENS1_25partition_config_selectorILNS1_17partition_subalgoE4EjNS0_10empty_typeEbEEZZNS1_14partition_implILS8_4ELb0ES6_15HIP_vector_typeIjLj2EENS0_17counting_iteratorIjlEEPS9_SG_NS0_5tupleIJPjSI_NS0_16reverse_iteratorISI_EEEEENSH_IJSG_SG_SG_EEES9_SI_JZNS1_25segmented_radix_sort_implINS0_14default_configELb0EPKfPfPKlPlN2at6native12_GLOBAL__N_18offset_tEEE10hipError_tPvRmT1_PNSt15iterator_traitsIS12_E10value_typeET2_T3_PNS13_IS18_E10value_typeET4_jRbjT5_S1E_jjP12ihipStream_tbEUljE_ZNSN_ISO_Lb0ESQ_SR_ST_SU_SY_EESZ_S10_S11_S12_S16_S17_S18_S1B_S1C_jS1D_jS1E_S1E_jjS1G_bEUljE0_EEESZ_S10_S11_S18_S1C_S1E_T6_T7_T9_mT8_S1G_bDpT10_ENKUlT_T0_E_clISt17integral_constantIbLb1EES1T_IbLb0EEEEDaS1P_S1Q_EUlS1P_E_NS1_11comp_targetILNS1_3genE0ELNS1_11target_archE4294967295ELNS1_3gpuE0ELNS1_3repE0EEENS1_30default_config_static_selectorELNS0_4arch9wavefront6targetE0EEEvS12_.uses_vcc, 0
	.set _ZN7rocprim17ROCPRIM_400000_NS6detail17trampoline_kernelINS0_13select_configILj256ELj13ELNS0_17block_load_methodE3ELS4_3ELS4_3ELNS0_20block_scan_algorithmE0ELj4294967295EEENS1_25partition_config_selectorILNS1_17partition_subalgoE4EjNS0_10empty_typeEbEEZZNS1_14partition_implILS8_4ELb0ES6_15HIP_vector_typeIjLj2EENS0_17counting_iteratorIjlEEPS9_SG_NS0_5tupleIJPjSI_NS0_16reverse_iteratorISI_EEEEENSH_IJSG_SG_SG_EEES9_SI_JZNS1_25segmented_radix_sort_implINS0_14default_configELb0EPKfPfPKlPlN2at6native12_GLOBAL__N_18offset_tEEE10hipError_tPvRmT1_PNSt15iterator_traitsIS12_E10value_typeET2_T3_PNS13_IS18_E10value_typeET4_jRbjT5_S1E_jjP12ihipStream_tbEUljE_ZNSN_ISO_Lb0ESQ_SR_ST_SU_SY_EESZ_S10_S11_S12_S16_S17_S18_S1B_S1C_jS1D_jS1E_S1E_jjS1G_bEUljE0_EEESZ_S10_S11_S18_S1C_S1E_T6_T7_T9_mT8_S1G_bDpT10_ENKUlT_T0_E_clISt17integral_constantIbLb1EES1T_IbLb0EEEEDaS1P_S1Q_EUlS1P_E_NS1_11comp_targetILNS1_3genE0ELNS1_11target_archE4294967295ELNS1_3gpuE0ELNS1_3repE0EEENS1_30default_config_static_selectorELNS0_4arch9wavefront6targetE0EEEvS12_.uses_flat_scratch, 0
	.set _ZN7rocprim17ROCPRIM_400000_NS6detail17trampoline_kernelINS0_13select_configILj256ELj13ELNS0_17block_load_methodE3ELS4_3ELS4_3ELNS0_20block_scan_algorithmE0ELj4294967295EEENS1_25partition_config_selectorILNS1_17partition_subalgoE4EjNS0_10empty_typeEbEEZZNS1_14partition_implILS8_4ELb0ES6_15HIP_vector_typeIjLj2EENS0_17counting_iteratorIjlEEPS9_SG_NS0_5tupleIJPjSI_NS0_16reverse_iteratorISI_EEEEENSH_IJSG_SG_SG_EEES9_SI_JZNS1_25segmented_radix_sort_implINS0_14default_configELb0EPKfPfPKlPlN2at6native12_GLOBAL__N_18offset_tEEE10hipError_tPvRmT1_PNSt15iterator_traitsIS12_E10value_typeET2_T3_PNS13_IS18_E10value_typeET4_jRbjT5_S1E_jjP12ihipStream_tbEUljE_ZNSN_ISO_Lb0ESQ_SR_ST_SU_SY_EESZ_S10_S11_S12_S16_S17_S18_S1B_S1C_jS1D_jS1E_S1E_jjS1G_bEUljE0_EEESZ_S10_S11_S18_S1C_S1E_T6_T7_T9_mT8_S1G_bDpT10_ENKUlT_T0_E_clISt17integral_constantIbLb1EES1T_IbLb0EEEEDaS1P_S1Q_EUlS1P_E_NS1_11comp_targetILNS1_3genE0ELNS1_11target_archE4294967295ELNS1_3gpuE0ELNS1_3repE0EEENS1_30default_config_static_selectorELNS0_4arch9wavefront6targetE0EEEvS12_.has_dyn_sized_stack, 0
	.set _ZN7rocprim17ROCPRIM_400000_NS6detail17trampoline_kernelINS0_13select_configILj256ELj13ELNS0_17block_load_methodE3ELS4_3ELS4_3ELNS0_20block_scan_algorithmE0ELj4294967295EEENS1_25partition_config_selectorILNS1_17partition_subalgoE4EjNS0_10empty_typeEbEEZZNS1_14partition_implILS8_4ELb0ES6_15HIP_vector_typeIjLj2EENS0_17counting_iteratorIjlEEPS9_SG_NS0_5tupleIJPjSI_NS0_16reverse_iteratorISI_EEEEENSH_IJSG_SG_SG_EEES9_SI_JZNS1_25segmented_radix_sort_implINS0_14default_configELb0EPKfPfPKlPlN2at6native12_GLOBAL__N_18offset_tEEE10hipError_tPvRmT1_PNSt15iterator_traitsIS12_E10value_typeET2_T3_PNS13_IS18_E10value_typeET4_jRbjT5_S1E_jjP12ihipStream_tbEUljE_ZNSN_ISO_Lb0ESQ_SR_ST_SU_SY_EESZ_S10_S11_S12_S16_S17_S18_S1B_S1C_jS1D_jS1E_S1E_jjS1G_bEUljE0_EEESZ_S10_S11_S18_S1C_S1E_T6_T7_T9_mT8_S1G_bDpT10_ENKUlT_T0_E_clISt17integral_constantIbLb1EES1T_IbLb0EEEEDaS1P_S1Q_EUlS1P_E_NS1_11comp_targetILNS1_3genE0ELNS1_11target_archE4294967295ELNS1_3gpuE0ELNS1_3repE0EEENS1_30default_config_static_selectorELNS0_4arch9wavefront6targetE0EEEvS12_.has_recursion, 0
	.set _ZN7rocprim17ROCPRIM_400000_NS6detail17trampoline_kernelINS0_13select_configILj256ELj13ELNS0_17block_load_methodE3ELS4_3ELS4_3ELNS0_20block_scan_algorithmE0ELj4294967295EEENS1_25partition_config_selectorILNS1_17partition_subalgoE4EjNS0_10empty_typeEbEEZZNS1_14partition_implILS8_4ELb0ES6_15HIP_vector_typeIjLj2EENS0_17counting_iteratorIjlEEPS9_SG_NS0_5tupleIJPjSI_NS0_16reverse_iteratorISI_EEEEENSH_IJSG_SG_SG_EEES9_SI_JZNS1_25segmented_radix_sort_implINS0_14default_configELb0EPKfPfPKlPlN2at6native12_GLOBAL__N_18offset_tEEE10hipError_tPvRmT1_PNSt15iterator_traitsIS12_E10value_typeET2_T3_PNS13_IS18_E10value_typeET4_jRbjT5_S1E_jjP12ihipStream_tbEUljE_ZNSN_ISO_Lb0ESQ_SR_ST_SU_SY_EESZ_S10_S11_S12_S16_S17_S18_S1B_S1C_jS1D_jS1E_S1E_jjS1G_bEUljE0_EEESZ_S10_S11_S18_S1C_S1E_T6_T7_T9_mT8_S1G_bDpT10_ENKUlT_T0_E_clISt17integral_constantIbLb1EES1T_IbLb0EEEEDaS1P_S1Q_EUlS1P_E_NS1_11comp_targetILNS1_3genE0ELNS1_11target_archE4294967295ELNS1_3gpuE0ELNS1_3repE0EEENS1_30default_config_static_selectorELNS0_4arch9wavefront6targetE0EEEvS12_.has_indirect_call, 0
	.section	.AMDGPU.csdata,"",@progbits
; Kernel info:
; codeLenInByte = 0
; TotalNumSgprs: 0
; NumVgprs: 0
; ScratchSize: 0
; MemoryBound: 0
; FloatMode: 240
; IeeeMode: 1
; LDSByteSize: 0 bytes/workgroup (compile time only)
; SGPRBlocks: 0
; VGPRBlocks: 0
; NumSGPRsForWavesPerEU: 1
; NumVGPRsForWavesPerEU: 1
; Occupancy: 16
; WaveLimiterHint : 0
; COMPUTE_PGM_RSRC2:SCRATCH_EN: 0
; COMPUTE_PGM_RSRC2:USER_SGPR: 6
; COMPUTE_PGM_RSRC2:TRAP_HANDLER: 0
; COMPUTE_PGM_RSRC2:TGID_X_EN: 1
; COMPUTE_PGM_RSRC2:TGID_Y_EN: 0
; COMPUTE_PGM_RSRC2:TGID_Z_EN: 0
; COMPUTE_PGM_RSRC2:TIDIG_COMP_CNT: 0
	.section	.text._ZN7rocprim17ROCPRIM_400000_NS6detail17trampoline_kernelINS0_13select_configILj256ELj13ELNS0_17block_load_methodE3ELS4_3ELS4_3ELNS0_20block_scan_algorithmE0ELj4294967295EEENS1_25partition_config_selectorILNS1_17partition_subalgoE4EjNS0_10empty_typeEbEEZZNS1_14partition_implILS8_4ELb0ES6_15HIP_vector_typeIjLj2EENS0_17counting_iteratorIjlEEPS9_SG_NS0_5tupleIJPjSI_NS0_16reverse_iteratorISI_EEEEENSH_IJSG_SG_SG_EEES9_SI_JZNS1_25segmented_radix_sort_implINS0_14default_configELb0EPKfPfPKlPlN2at6native12_GLOBAL__N_18offset_tEEE10hipError_tPvRmT1_PNSt15iterator_traitsIS12_E10value_typeET2_T3_PNS13_IS18_E10value_typeET4_jRbjT5_S1E_jjP12ihipStream_tbEUljE_ZNSN_ISO_Lb0ESQ_SR_ST_SU_SY_EESZ_S10_S11_S12_S16_S17_S18_S1B_S1C_jS1D_jS1E_S1E_jjS1G_bEUljE0_EEESZ_S10_S11_S18_S1C_S1E_T6_T7_T9_mT8_S1G_bDpT10_ENKUlT_T0_E_clISt17integral_constantIbLb1EES1T_IbLb0EEEEDaS1P_S1Q_EUlS1P_E_NS1_11comp_targetILNS1_3genE5ELNS1_11target_archE942ELNS1_3gpuE9ELNS1_3repE0EEENS1_30default_config_static_selectorELNS0_4arch9wavefront6targetE0EEEvS12_,"axG",@progbits,_ZN7rocprim17ROCPRIM_400000_NS6detail17trampoline_kernelINS0_13select_configILj256ELj13ELNS0_17block_load_methodE3ELS4_3ELS4_3ELNS0_20block_scan_algorithmE0ELj4294967295EEENS1_25partition_config_selectorILNS1_17partition_subalgoE4EjNS0_10empty_typeEbEEZZNS1_14partition_implILS8_4ELb0ES6_15HIP_vector_typeIjLj2EENS0_17counting_iteratorIjlEEPS9_SG_NS0_5tupleIJPjSI_NS0_16reverse_iteratorISI_EEEEENSH_IJSG_SG_SG_EEES9_SI_JZNS1_25segmented_radix_sort_implINS0_14default_configELb0EPKfPfPKlPlN2at6native12_GLOBAL__N_18offset_tEEE10hipError_tPvRmT1_PNSt15iterator_traitsIS12_E10value_typeET2_T3_PNS13_IS18_E10value_typeET4_jRbjT5_S1E_jjP12ihipStream_tbEUljE_ZNSN_ISO_Lb0ESQ_SR_ST_SU_SY_EESZ_S10_S11_S12_S16_S17_S18_S1B_S1C_jS1D_jS1E_S1E_jjS1G_bEUljE0_EEESZ_S10_S11_S18_S1C_S1E_T6_T7_T9_mT8_S1G_bDpT10_ENKUlT_T0_E_clISt17integral_constantIbLb1EES1T_IbLb0EEEEDaS1P_S1Q_EUlS1P_E_NS1_11comp_targetILNS1_3genE5ELNS1_11target_archE942ELNS1_3gpuE9ELNS1_3repE0EEENS1_30default_config_static_selectorELNS0_4arch9wavefront6targetE0EEEvS12_,comdat
	.globl	_ZN7rocprim17ROCPRIM_400000_NS6detail17trampoline_kernelINS0_13select_configILj256ELj13ELNS0_17block_load_methodE3ELS4_3ELS4_3ELNS0_20block_scan_algorithmE0ELj4294967295EEENS1_25partition_config_selectorILNS1_17partition_subalgoE4EjNS0_10empty_typeEbEEZZNS1_14partition_implILS8_4ELb0ES6_15HIP_vector_typeIjLj2EENS0_17counting_iteratorIjlEEPS9_SG_NS0_5tupleIJPjSI_NS0_16reverse_iteratorISI_EEEEENSH_IJSG_SG_SG_EEES9_SI_JZNS1_25segmented_radix_sort_implINS0_14default_configELb0EPKfPfPKlPlN2at6native12_GLOBAL__N_18offset_tEEE10hipError_tPvRmT1_PNSt15iterator_traitsIS12_E10value_typeET2_T3_PNS13_IS18_E10value_typeET4_jRbjT5_S1E_jjP12ihipStream_tbEUljE_ZNSN_ISO_Lb0ESQ_SR_ST_SU_SY_EESZ_S10_S11_S12_S16_S17_S18_S1B_S1C_jS1D_jS1E_S1E_jjS1G_bEUljE0_EEESZ_S10_S11_S18_S1C_S1E_T6_T7_T9_mT8_S1G_bDpT10_ENKUlT_T0_E_clISt17integral_constantIbLb1EES1T_IbLb0EEEEDaS1P_S1Q_EUlS1P_E_NS1_11comp_targetILNS1_3genE5ELNS1_11target_archE942ELNS1_3gpuE9ELNS1_3repE0EEENS1_30default_config_static_selectorELNS0_4arch9wavefront6targetE0EEEvS12_ ; -- Begin function _ZN7rocprim17ROCPRIM_400000_NS6detail17trampoline_kernelINS0_13select_configILj256ELj13ELNS0_17block_load_methodE3ELS4_3ELS4_3ELNS0_20block_scan_algorithmE0ELj4294967295EEENS1_25partition_config_selectorILNS1_17partition_subalgoE4EjNS0_10empty_typeEbEEZZNS1_14partition_implILS8_4ELb0ES6_15HIP_vector_typeIjLj2EENS0_17counting_iteratorIjlEEPS9_SG_NS0_5tupleIJPjSI_NS0_16reverse_iteratorISI_EEEEENSH_IJSG_SG_SG_EEES9_SI_JZNS1_25segmented_radix_sort_implINS0_14default_configELb0EPKfPfPKlPlN2at6native12_GLOBAL__N_18offset_tEEE10hipError_tPvRmT1_PNSt15iterator_traitsIS12_E10value_typeET2_T3_PNS13_IS18_E10value_typeET4_jRbjT5_S1E_jjP12ihipStream_tbEUljE_ZNSN_ISO_Lb0ESQ_SR_ST_SU_SY_EESZ_S10_S11_S12_S16_S17_S18_S1B_S1C_jS1D_jS1E_S1E_jjS1G_bEUljE0_EEESZ_S10_S11_S18_S1C_S1E_T6_T7_T9_mT8_S1G_bDpT10_ENKUlT_T0_E_clISt17integral_constantIbLb1EES1T_IbLb0EEEEDaS1P_S1Q_EUlS1P_E_NS1_11comp_targetILNS1_3genE5ELNS1_11target_archE942ELNS1_3gpuE9ELNS1_3repE0EEENS1_30default_config_static_selectorELNS0_4arch9wavefront6targetE0EEEvS12_
	.p2align	8
	.type	_ZN7rocprim17ROCPRIM_400000_NS6detail17trampoline_kernelINS0_13select_configILj256ELj13ELNS0_17block_load_methodE3ELS4_3ELS4_3ELNS0_20block_scan_algorithmE0ELj4294967295EEENS1_25partition_config_selectorILNS1_17partition_subalgoE4EjNS0_10empty_typeEbEEZZNS1_14partition_implILS8_4ELb0ES6_15HIP_vector_typeIjLj2EENS0_17counting_iteratorIjlEEPS9_SG_NS0_5tupleIJPjSI_NS0_16reverse_iteratorISI_EEEEENSH_IJSG_SG_SG_EEES9_SI_JZNS1_25segmented_radix_sort_implINS0_14default_configELb0EPKfPfPKlPlN2at6native12_GLOBAL__N_18offset_tEEE10hipError_tPvRmT1_PNSt15iterator_traitsIS12_E10value_typeET2_T3_PNS13_IS18_E10value_typeET4_jRbjT5_S1E_jjP12ihipStream_tbEUljE_ZNSN_ISO_Lb0ESQ_SR_ST_SU_SY_EESZ_S10_S11_S12_S16_S17_S18_S1B_S1C_jS1D_jS1E_S1E_jjS1G_bEUljE0_EEESZ_S10_S11_S18_S1C_S1E_T6_T7_T9_mT8_S1G_bDpT10_ENKUlT_T0_E_clISt17integral_constantIbLb1EES1T_IbLb0EEEEDaS1P_S1Q_EUlS1P_E_NS1_11comp_targetILNS1_3genE5ELNS1_11target_archE942ELNS1_3gpuE9ELNS1_3repE0EEENS1_30default_config_static_selectorELNS0_4arch9wavefront6targetE0EEEvS12_,@function
_ZN7rocprim17ROCPRIM_400000_NS6detail17trampoline_kernelINS0_13select_configILj256ELj13ELNS0_17block_load_methodE3ELS4_3ELS4_3ELNS0_20block_scan_algorithmE0ELj4294967295EEENS1_25partition_config_selectorILNS1_17partition_subalgoE4EjNS0_10empty_typeEbEEZZNS1_14partition_implILS8_4ELb0ES6_15HIP_vector_typeIjLj2EENS0_17counting_iteratorIjlEEPS9_SG_NS0_5tupleIJPjSI_NS0_16reverse_iteratorISI_EEEEENSH_IJSG_SG_SG_EEES9_SI_JZNS1_25segmented_radix_sort_implINS0_14default_configELb0EPKfPfPKlPlN2at6native12_GLOBAL__N_18offset_tEEE10hipError_tPvRmT1_PNSt15iterator_traitsIS12_E10value_typeET2_T3_PNS13_IS18_E10value_typeET4_jRbjT5_S1E_jjP12ihipStream_tbEUljE_ZNSN_ISO_Lb0ESQ_SR_ST_SU_SY_EESZ_S10_S11_S12_S16_S17_S18_S1B_S1C_jS1D_jS1E_S1E_jjS1G_bEUljE0_EEESZ_S10_S11_S18_S1C_S1E_T6_T7_T9_mT8_S1G_bDpT10_ENKUlT_T0_E_clISt17integral_constantIbLb1EES1T_IbLb0EEEEDaS1P_S1Q_EUlS1P_E_NS1_11comp_targetILNS1_3genE5ELNS1_11target_archE942ELNS1_3gpuE9ELNS1_3repE0EEENS1_30default_config_static_selectorELNS0_4arch9wavefront6targetE0EEEvS12_: ; @_ZN7rocprim17ROCPRIM_400000_NS6detail17trampoline_kernelINS0_13select_configILj256ELj13ELNS0_17block_load_methodE3ELS4_3ELS4_3ELNS0_20block_scan_algorithmE0ELj4294967295EEENS1_25partition_config_selectorILNS1_17partition_subalgoE4EjNS0_10empty_typeEbEEZZNS1_14partition_implILS8_4ELb0ES6_15HIP_vector_typeIjLj2EENS0_17counting_iteratorIjlEEPS9_SG_NS0_5tupleIJPjSI_NS0_16reverse_iteratorISI_EEEEENSH_IJSG_SG_SG_EEES9_SI_JZNS1_25segmented_radix_sort_implINS0_14default_configELb0EPKfPfPKlPlN2at6native12_GLOBAL__N_18offset_tEEE10hipError_tPvRmT1_PNSt15iterator_traitsIS12_E10value_typeET2_T3_PNS13_IS18_E10value_typeET4_jRbjT5_S1E_jjP12ihipStream_tbEUljE_ZNSN_ISO_Lb0ESQ_SR_ST_SU_SY_EESZ_S10_S11_S12_S16_S17_S18_S1B_S1C_jS1D_jS1E_S1E_jjS1G_bEUljE0_EEESZ_S10_S11_S18_S1C_S1E_T6_T7_T9_mT8_S1G_bDpT10_ENKUlT_T0_E_clISt17integral_constantIbLb1EES1T_IbLb0EEEEDaS1P_S1Q_EUlS1P_E_NS1_11comp_targetILNS1_3genE5ELNS1_11target_archE942ELNS1_3gpuE9ELNS1_3repE0EEENS1_30default_config_static_selectorELNS0_4arch9wavefront6targetE0EEEvS12_
; %bb.0:
	.section	.rodata,"a",@progbits
	.p2align	6, 0x0
	.amdhsa_kernel _ZN7rocprim17ROCPRIM_400000_NS6detail17trampoline_kernelINS0_13select_configILj256ELj13ELNS0_17block_load_methodE3ELS4_3ELS4_3ELNS0_20block_scan_algorithmE0ELj4294967295EEENS1_25partition_config_selectorILNS1_17partition_subalgoE4EjNS0_10empty_typeEbEEZZNS1_14partition_implILS8_4ELb0ES6_15HIP_vector_typeIjLj2EENS0_17counting_iteratorIjlEEPS9_SG_NS0_5tupleIJPjSI_NS0_16reverse_iteratorISI_EEEEENSH_IJSG_SG_SG_EEES9_SI_JZNS1_25segmented_radix_sort_implINS0_14default_configELb0EPKfPfPKlPlN2at6native12_GLOBAL__N_18offset_tEEE10hipError_tPvRmT1_PNSt15iterator_traitsIS12_E10value_typeET2_T3_PNS13_IS18_E10value_typeET4_jRbjT5_S1E_jjP12ihipStream_tbEUljE_ZNSN_ISO_Lb0ESQ_SR_ST_SU_SY_EESZ_S10_S11_S12_S16_S17_S18_S1B_S1C_jS1D_jS1E_S1E_jjS1G_bEUljE0_EEESZ_S10_S11_S18_S1C_S1E_T6_T7_T9_mT8_S1G_bDpT10_ENKUlT_T0_E_clISt17integral_constantIbLb1EES1T_IbLb0EEEEDaS1P_S1Q_EUlS1P_E_NS1_11comp_targetILNS1_3genE5ELNS1_11target_archE942ELNS1_3gpuE9ELNS1_3repE0EEENS1_30default_config_static_selectorELNS0_4arch9wavefront6targetE0EEEvS12_
		.amdhsa_group_segment_fixed_size 0
		.amdhsa_private_segment_fixed_size 0
		.amdhsa_kernarg_size 176
		.amdhsa_user_sgpr_count 6
		.amdhsa_user_sgpr_private_segment_buffer 1
		.amdhsa_user_sgpr_dispatch_ptr 0
		.amdhsa_user_sgpr_queue_ptr 0
		.amdhsa_user_sgpr_kernarg_segment_ptr 1
		.amdhsa_user_sgpr_dispatch_id 0
		.amdhsa_user_sgpr_flat_scratch_init 0
		.amdhsa_user_sgpr_private_segment_size 0
		.amdhsa_wavefront_size32 1
		.amdhsa_uses_dynamic_stack 0
		.amdhsa_system_sgpr_private_segment_wavefront_offset 0
		.amdhsa_system_sgpr_workgroup_id_x 1
		.amdhsa_system_sgpr_workgroup_id_y 0
		.amdhsa_system_sgpr_workgroup_id_z 0
		.amdhsa_system_sgpr_workgroup_info 0
		.amdhsa_system_vgpr_workitem_id 0
		.amdhsa_next_free_vgpr 1
		.amdhsa_next_free_sgpr 1
		.amdhsa_reserve_vcc 0
		.amdhsa_reserve_flat_scratch 0
		.amdhsa_float_round_mode_32 0
		.amdhsa_float_round_mode_16_64 0
		.amdhsa_float_denorm_mode_32 3
		.amdhsa_float_denorm_mode_16_64 3
		.amdhsa_dx10_clamp 1
		.amdhsa_ieee_mode 1
		.amdhsa_fp16_overflow 0
		.amdhsa_workgroup_processor_mode 1
		.amdhsa_memory_ordered 1
		.amdhsa_forward_progress 1
		.amdhsa_shared_vgpr_count 0
		.amdhsa_exception_fp_ieee_invalid_op 0
		.amdhsa_exception_fp_denorm_src 0
		.amdhsa_exception_fp_ieee_div_zero 0
		.amdhsa_exception_fp_ieee_overflow 0
		.amdhsa_exception_fp_ieee_underflow 0
		.amdhsa_exception_fp_ieee_inexact 0
		.amdhsa_exception_int_div_zero 0
	.end_amdhsa_kernel
	.section	.text._ZN7rocprim17ROCPRIM_400000_NS6detail17trampoline_kernelINS0_13select_configILj256ELj13ELNS0_17block_load_methodE3ELS4_3ELS4_3ELNS0_20block_scan_algorithmE0ELj4294967295EEENS1_25partition_config_selectorILNS1_17partition_subalgoE4EjNS0_10empty_typeEbEEZZNS1_14partition_implILS8_4ELb0ES6_15HIP_vector_typeIjLj2EENS0_17counting_iteratorIjlEEPS9_SG_NS0_5tupleIJPjSI_NS0_16reverse_iteratorISI_EEEEENSH_IJSG_SG_SG_EEES9_SI_JZNS1_25segmented_radix_sort_implINS0_14default_configELb0EPKfPfPKlPlN2at6native12_GLOBAL__N_18offset_tEEE10hipError_tPvRmT1_PNSt15iterator_traitsIS12_E10value_typeET2_T3_PNS13_IS18_E10value_typeET4_jRbjT5_S1E_jjP12ihipStream_tbEUljE_ZNSN_ISO_Lb0ESQ_SR_ST_SU_SY_EESZ_S10_S11_S12_S16_S17_S18_S1B_S1C_jS1D_jS1E_S1E_jjS1G_bEUljE0_EEESZ_S10_S11_S18_S1C_S1E_T6_T7_T9_mT8_S1G_bDpT10_ENKUlT_T0_E_clISt17integral_constantIbLb1EES1T_IbLb0EEEEDaS1P_S1Q_EUlS1P_E_NS1_11comp_targetILNS1_3genE5ELNS1_11target_archE942ELNS1_3gpuE9ELNS1_3repE0EEENS1_30default_config_static_selectorELNS0_4arch9wavefront6targetE0EEEvS12_,"axG",@progbits,_ZN7rocprim17ROCPRIM_400000_NS6detail17trampoline_kernelINS0_13select_configILj256ELj13ELNS0_17block_load_methodE3ELS4_3ELS4_3ELNS0_20block_scan_algorithmE0ELj4294967295EEENS1_25partition_config_selectorILNS1_17partition_subalgoE4EjNS0_10empty_typeEbEEZZNS1_14partition_implILS8_4ELb0ES6_15HIP_vector_typeIjLj2EENS0_17counting_iteratorIjlEEPS9_SG_NS0_5tupleIJPjSI_NS0_16reverse_iteratorISI_EEEEENSH_IJSG_SG_SG_EEES9_SI_JZNS1_25segmented_radix_sort_implINS0_14default_configELb0EPKfPfPKlPlN2at6native12_GLOBAL__N_18offset_tEEE10hipError_tPvRmT1_PNSt15iterator_traitsIS12_E10value_typeET2_T3_PNS13_IS18_E10value_typeET4_jRbjT5_S1E_jjP12ihipStream_tbEUljE_ZNSN_ISO_Lb0ESQ_SR_ST_SU_SY_EESZ_S10_S11_S12_S16_S17_S18_S1B_S1C_jS1D_jS1E_S1E_jjS1G_bEUljE0_EEESZ_S10_S11_S18_S1C_S1E_T6_T7_T9_mT8_S1G_bDpT10_ENKUlT_T0_E_clISt17integral_constantIbLb1EES1T_IbLb0EEEEDaS1P_S1Q_EUlS1P_E_NS1_11comp_targetILNS1_3genE5ELNS1_11target_archE942ELNS1_3gpuE9ELNS1_3repE0EEENS1_30default_config_static_selectorELNS0_4arch9wavefront6targetE0EEEvS12_,comdat
.Lfunc_end1373:
	.size	_ZN7rocprim17ROCPRIM_400000_NS6detail17trampoline_kernelINS0_13select_configILj256ELj13ELNS0_17block_load_methodE3ELS4_3ELS4_3ELNS0_20block_scan_algorithmE0ELj4294967295EEENS1_25partition_config_selectorILNS1_17partition_subalgoE4EjNS0_10empty_typeEbEEZZNS1_14partition_implILS8_4ELb0ES6_15HIP_vector_typeIjLj2EENS0_17counting_iteratorIjlEEPS9_SG_NS0_5tupleIJPjSI_NS0_16reverse_iteratorISI_EEEEENSH_IJSG_SG_SG_EEES9_SI_JZNS1_25segmented_radix_sort_implINS0_14default_configELb0EPKfPfPKlPlN2at6native12_GLOBAL__N_18offset_tEEE10hipError_tPvRmT1_PNSt15iterator_traitsIS12_E10value_typeET2_T3_PNS13_IS18_E10value_typeET4_jRbjT5_S1E_jjP12ihipStream_tbEUljE_ZNSN_ISO_Lb0ESQ_SR_ST_SU_SY_EESZ_S10_S11_S12_S16_S17_S18_S1B_S1C_jS1D_jS1E_S1E_jjS1G_bEUljE0_EEESZ_S10_S11_S18_S1C_S1E_T6_T7_T9_mT8_S1G_bDpT10_ENKUlT_T0_E_clISt17integral_constantIbLb1EES1T_IbLb0EEEEDaS1P_S1Q_EUlS1P_E_NS1_11comp_targetILNS1_3genE5ELNS1_11target_archE942ELNS1_3gpuE9ELNS1_3repE0EEENS1_30default_config_static_selectorELNS0_4arch9wavefront6targetE0EEEvS12_, .Lfunc_end1373-_ZN7rocprim17ROCPRIM_400000_NS6detail17trampoline_kernelINS0_13select_configILj256ELj13ELNS0_17block_load_methodE3ELS4_3ELS4_3ELNS0_20block_scan_algorithmE0ELj4294967295EEENS1_25partition_config_selectorILNS1_17partition_subalgoE4EjNS0_10empty_typeEbEEZZNS1_14partition_implILS8_4ELb0ES6_15HIP_vector_typeIjLj2EENS0_17counting_iteratorIjlEEPS9_SG_NS0_5tupleIJPjSI_NS0_16reverse_iteratorISI_EEEEENSH_IJSG_SG_SG_EEES9_SI_JZNS1_25segmented_radix_sort_implINS0_14default_configELb0EPKfPfPKlPlN2at6native12_GLOBAL__N_18offset_tEEE10hipError_tPvRmT1_PNSt15iterator_traitsIS12_E10value_typeET2_T3_PNS13_IS18_E10value_typeET4_jRbjT5_S1E_jjP12ihipStream_tbEUljE_ZNSN_ISO_Lb0ESQ_SR_ST_SU_SY_EESZ_S10_S11_S12_S16_S17_S18_S1B_S1C_jS1D_jS1E_S1E_jjS1G_bEUljE0_EEESZ_S10_S11_S18_S1C_S1E_T6_T7_T9_mT8_S1G_bDpT10_ENKUlT_T0_E_clISt17integral_constantIbLb1EES1T_IbLb0EEEEDaS1P_S1Q_EUlS1P_E_NS1_11comp_targetILNS1_3genE5ELNS1_11target_archE942ELNS1_3gpuE9ELNS1_3repE0EEENS1_30default_config_static_selectorELNS0_4arch9wavefront6targetE0EEEvS12_
                                        ; -- End function
	.set _ZN7rocprim17ROCPRIM_400000_NS6detail17trampoline_kernelINS0_13select_configILj256ELj13ELNS0_17block_load_methodE3ELS4_3ELS4_3ELNS0_20block_scan_algorithmE0ELj4294967295EEENS1_25partition_config_selectorILNS1_17partition_subalgoE4EjNS0_10empty_typeEbEEZZNS1_14partition_implILS8_4ELb0ES6_15HIP_vector_typeIjLj2EENS0_17counting_iteratorIjlEEPS9_SG_NS0_5tupleIJPjSI_NS0_16reverse_iteratorISI_EEEEENSH_IJSG_SG_SG_EEES9_SI_JZNS1_25segmented_radix_sort_implINS0_14default_configELb0EPKfPfPKlPlN2at6native12_GLOBAL__N_18offset_tEEE10hipError_tPvRmT1_PNSt15iterator_traitsIS12_E10value_typeET2_T3_PNS13_IS18_E10value_typeET4_jRbjT5_S1E_jjP12ihipStream_tbEUljE_ZNSN_ISO_Lb0ESQ_SR_ST_SU_SY_EESZ_S10_S11_S12_S16_S17_S18_S1B_S1C_jS1D_jS1E_S1E_jjS1G_bEUljE0_EEESZ_S10_S11_S18_S1C_S1E_T6_T7_T9_mT8_S1G_bDpT10_ENKUlT_T0_E_clISt17integral_constantIbLb1EES1T_IbLb0EEEEDaS1P_S1Q_EUlS1P_E_NS1_11comp_targetILNS1_3genE5ELNS1_11target_archE942ELNS1_3gpuE9ELNS1_3repE0EEENS1_30default_config_static_selectorELNS0_4arch9wavefront6targetE0EEEvS12_.num_vgpr, 0
	.set _ZN7rocprim17ROCPRIM_400000_NS6detail17trampoline_kernelINS0_13select_configILj256ELj13ELNS0_17block_load_methodE3ELS4_3ELS4_3ELNS0_20block_scan_algorithmE0ELj4294967295EEENS1_25partition_config_selectorILNS1_17partition_subalgoE4EjNS0_10empty_typeEbEEZZNS1_14partition_implILS8_4ELb0ES6_15HIP_vector_typeIjLj2EENS0_17counting_iteratorIjlEEPS9_SG_NS0_5tupleIJPjSI_NS0_16reverse_iteratorISI_EEEEENSH_IJSG_SG_SG_EEES9_SI_JZNS1_25segmented_radix_sort_implINS0_14default_configELb0EPKfPfPKlPlN2at6native12_GLOBAL__N_18offset_tEEE10hipError_tPvRmT1_PNSt15iterator_traitsIS12_E10value_typeET2_T3_PNS13_IS18_E10value_typeET4_jRbjT5_S1E_jjP12ihipStream_tbEUljE_ZNSN_ISO_Lb0ESQ_SR_ST_SU_SY_EESZ_S10_S11_S12_S16_S17_S18_S1B_S1C_jS1D_jS1E_S1E_jjS1G_bEUljE0_EEESZ_S10_S11_S18_S1C_S1E_T6_T7_T9_mT8_S1G_bDpT10_ENKUlT_T0_E_clISt17integral_constantIbLb1EES1T_IbLb0EEEEDaS1P_S1Q_EUlS1P_E_NS1_11comp_targetILNS1_3genE5ELNS1_11target_archE942ELNS1_3gpuE9ELNS1_3repE0EEENS1_30default_config_static_selectorELNS0_4arch9wavefront6targetE0EEEvS12_.num_agpr, 0
	.set _ZN7rocprim17ROCPRIM_400000_NS6detail17trampoline_kernelINS0_13select_configILj256ELj13ELNS0_17block_load_methodE3ELS4_3ELS4_3ELNS0_20block_scan_algorithmE0ELj4294967295EEENS1_25partition_config_selectorILNS1_17partition_subalgoE4EjNS0_10empty_typeEbEEZZNS1_14partition_implILS8_4ELb0ES6_15HIP_vector_typeIjLj2EENS0_17counting_iteratorIjlEEPS9_SG_NS0_5tupleIJPjSI_NS0_16reverse_iteratorISI_EEEEENSH_IJSG_SG_SG_EEES9_SI_JZNS1_25segmented_radix_sort_implINS0_14default_configELb0EPKfPfPKlPlN2at6native12_GLOBAL__N_18offset_tEEE10hipError_tPvRmT1_PNSt15iterator_traitsIS12_E10value_typeET2_T3_PNS13_IS18_E10value_typeET4_jRbjT5_S1E_jjP12ihipStream_tbEUljE_ZNSN_ISO_Lb0ESQ_SR_ST_SU_SY_EESZ_S10_S11_S12_S16_S17_S18_S1B_S1C_jS1D_jS1E_S1E_jjS1G_bEUljE0_EEESZ_S10_S11_S18_S1C_S1E_T6_T7_T9_mT8_S1G_bDpT10_ENKUlT_T0_E_clISt17integral_constantIbLb1EES1T_IbLb0EEEEDaS1P_S1Q_EUlS1P_E_NS1_11comp_targetILNS1_3genE5ELNS1_11target_archE942ELNS1_3gpuE9ELNS1_3repE0EEENS1_30default_config_static_selectorELNS0_4arch9wavefront6targetE0EEEvS12_.numbered_sgpr, 0
	.set _ZN7rocprim17ROCPRIM_400000_NS6detail17trampoline_kernelINS0_13select_configILj256ELj13ELNS0_17block_load_methodE3ELS4_3ELS4_3ELNS0_20block_scan_algorithmE0ELj4294967295EEENS1_25partition_config_selectorILNS1_17partition_subalgoE4EjNS0_10empty_typeEbEEZZNS1_14partition_implILS8_4ELb0ES6_15HIP_vector_typeIjLj2EENS0_17counting_iteratorIjlEEPS9_SG_NS0_5tupleIJPjSI_NS0_16reverse_iteratorISI_EEEEENSH_IJSG_SG_SG_EEES9_SI_JZNS1_25segmented_radix_sort_implINS0_14default_configELb0EPKfPfPKlPlN2at6native12_GLOBAL__N_18offset_tEEE10hipError_tPvRmT1_PNSt15iterator_traitsIS12_E10value_typeET2_T3_PNS13_IS18_E10value_typeET4_jRbjT5_S1E_jjP12ihipStream_tbEUljE_ZNSN_ISO_Lb0ESQ_SR_ST_SU_SY_EESZ_S10_S11_S12_S16_S17_S18_S1B_S1C_jS1D_jS1E_S1E_jjS1G_bEUljE0_EEESZ_S10_S11_S18_S1C_S1E_T6_T7_T9_mT8_S1G_bDpT10_ENKUlT_T0_E_clISt17integral_constantIbLb1EES1T_IbLb0EEEEDaS1P_S1Q_EUlS1P_E_NS1_11comp_targetILNS1_3genE5ELNS1_11target_archE942ELNS1_3gpuE9ELNS1_3repE0EEENS1_30default_config_static_selectorELNS0_4arch9wavefront6targetE0EEEvS12_.num_named_barrier, 0
	.set _ZN7rocprim17ROCPRIM_400000_NS6detail17trampoline_kernelINS0_13select_configILj256ELj13ELNS0_17block_load_methodE3ELS4_3ELS4_3ELNS0_20block_scan_algorithmE0ELj4294967295EEENS1_25partition_config_selectorILNS1_17partition_subalgoE4EjNS0_10empty_typeEbEEZZNS1_14partition_implILS8_4ELb0ES6_15HIP_vector_typeIjLj2EENS0_17counting_iteratorIjlEEPS9_SG_NS0_5tupleIJPjSI_NS0_16reverse_iteratorISI_EEEEENSH_IJSG_SG_SG_EEES9_SI_JZNS1_25segmented_radix_sort_implINS0_14default_configELb0EPKfPfPKlPlN2at6native12_GLOBAL__N_18offset_tEEE10hipError_tPvRmT1_PNSt15iterator_traitsIS12_E10value_typeET2_T3_PNS13_IS18_E10value_typeET4_jRbjT5_S1E_jjP12ihipStream_tbEUljE_ZNSN_ISO_Lb0ESQ_SR_ST_SU_SY_EESZ_S10_S11_S12_S16_S17_S18_S1B_S1C_jS1D_jS1E_S1E_jjS1G_bEUljE0_EEESZ_S10_S11_S18_S1C_S1E_T6_T7_T9_mT8_S1G_bDpT10_ENKUlT_T0_E_clISt17integral_constantIbLb1EES1T_IbLb0EEEEDaS1P_S1Q_EUlS1P_E_NS1_11comp_targetILNS1_3genE5ELNS1_11target_archE942ELNS1_3gpuE9ELNS1_3repE0EEENS1_30default_config_static_selectorELNS0_4arch9wavefront6targetE0EEEvS12_.private_seg_size, 0
	.set _ZN7rocprim17ROCPRIM_400000_NS6detail17trampoline_kernelINS0_13select_configILj256ELj13ELNS0_17block_load_methodE3ELS4_3ELS4_3ELNS0_20block_scan_algorithmE0ELj4294967295EEENS1_25partition_config_selectorILNS1_17partition_subalgoE4EjNS0_10empty_typeEbEEZZNS1_14partition_implILS8_4ELb0ES6_15HIP_vector_typeIjLj2EENS0_17counting_iteratorIjlEEPS9_SG_NS0_5tupleIJPjSI_NS0_16reverse_iteratorISI_EEEEENSH_IJSG_SG_SG_EEES9_SI_JZNS1_25segmented_radix_sort_implINS0_14default_configELb0EPKfPfPKlPlN2at6native12_GLOBAL__N_18offset_tEEE10hipError_tPvRmT1_PNSt15iterator_traitsIS12_E10value_typeET2_T3_PNS13_IS18_E10value_typeET4_jRbjT5_S1E_jjP12ihipStream_tbEUljE_ZNSN_ISO_Lb0ESQ_SR_ST_SU_SY_EESZ_S10_S11_S12_S16_S17_S18_S1B_S1C_jS1D_jS1E_S1E_jjS1G_bEUljE0_EEESZ_S10_S11_S18_S1C_S1E_T6_T7_T9_mT8_S1G_bDpT10_ENKUlT_T0_E_clISt17integral_constantIbLb1EES1T_IbLb0EEEEDaS1P_S1Q_EUlS1P_E_NS1_11comp_targetILNS1_3genE5ELNS1_11target_archE942ELNS1_3gpuE9ELNS1_3repE0EEENS1_30default_config_static_selectorELNS0_4arch9wavefront6targetE0EEEvS12_.uses_vcc, 0
	.set _ZN7rocprim17ROCPRIM_400000_NS6detail17trampoline_kernelINS0_13select_configILj256ELj13ELNS0_17block_load_methodE3ELS4_3ELS4_3ELNS0_20block_scan_algorithmE0ELj4294967295EEENS1_25partition_config_selectorILNS1_17partition_subalgoE4EjNS0_10empty_typeEbEEZZNS1_14partition_implILS8_4ELb0ES6_15HIP_vector_typeIjLj2EENS0_17counting_iteratorIjlEEPS9_SG_NS0_5tupleIJPjSI_NS0_16reverse_iteratorISI_EEEEENSH_IJSG_SG_SG_EEES9_SI_JZNS1_25segmented_radix_sort_implINS0_14default_configELb0EPKfPfPKlPlN2at6native12_GLOBAL__N_18offset_tEEE10hipError_tPvRmT1_PNSt15iterator_traitsIS12_E10value_typeET2_T3_PNS13_IS18_E10value_typeET4_jRbjT5_S1E_jjP12ihipStream_tbEUljE_ZNSN_ISO_Lb0ESQ_SR_ST_SU_SY_EESZ_S10_S11_S12_S16_S17_S18_S1B_S1C_jS1D_jS1E_S1E_jjS1G_bEUljE0_EEESZ_S10_S11_S18_S1C_S1E_T6_T7_T9_mT8_S1G_bDpT10_ENKUlT_T0_E_clISt17integral_constantIbLb1EES1T_IbLb0EEEEDaS1P_S1Q_EUlS1P_E_NS1_11comp_targetILNS1_3genE5ELNS1_11target_archE942ELNS1_3gpuE9ELNS1_3repE0EEENS1_30default_config_static_selectorELNS0_4arch9wavefront6targetE0EEEvS12_.uses_flat_scratch, 0
	.set _ZN7rocprim17ROCPRIM_400000_NS6detail17trampoline_kernelINS0_13select_configILj256ELj13ELNS0_17block_load_methodE3ELS4_3ELS4_3ELNS0_20block_scan_algorithmE0ELj4294967295EEENS1_25partition_config_selectorILNS1_17partition_subalgoE4EjNS0_10empty_typeEbEEZZNS1_14partition_implILS8_4ELb0ES6_15HIP_vector_typeIjLj2EENS0_17counting_iteratorIjlEEPS9_SG_NS0_5tupleIJPjSI_NS0_16reverse_iteratorISI_EEEEENSH_IJSG_SG_SG_EEES9_SI_JZNS1_25segmented_radix_sort_implINS0_14default_configELb0EPKfPfPKlPlN2at6native12_GLOBAL__N_18offset_tEEE10hipError_tPvRmT1_PNSt15iterator_traitsIS12_E10value_typeET2_T3_PNS13_IS18_E10value_typeET4_jRbjT5_S1E_jjP12ihipStream_tbEUljE_ZNSN_ISO_Lb0ESQ_SR_ST_SU_SY_EESZ_S10_S11_S12_S16_S17_S18_S1B_S1C_jS1D_jS1E_S1E_jjS1G_bEUljE0_EEESZ_S10_S11_S18_S1C_S1E_T6_T7_T9_mT8_S1G_bDpT10_ENKUlT_T0_E_clISt17integral_constantIbLb1EES1T_IbLb0EEEEDaS1P_S1Q_EUlS1P_E_NS1_11comp_targetILNS1_3genE5ELNS1_11target_archE942ELNS1_3gpuE9ELNS1_3repE0EEENS1_30default_config_static_selectorELNS0_4arch9wavefront6targetE0EEEvS12_.has_dyn_sized_stack, 0
	.set _ZN7rocprim17ROCPRIM_400000_NS6detail17trampoline_kernelINS0_13select_configILj256ELj13ELNS0_17block_load_methodE3ELS4_3ELS4_3ELNS0_20block_scan_algorithmE0ELj4294967295EEENS1_25partition_config_selectorILNS1_17partition_subalgoE4EjNS0_10empty_typeEbEEZZNS1_14partition_implILS8_4ELb0ES6_15HIP_vector_typeIjLj2EENS0_17counting_iteratorIjlEEPS9_SG_NS0_5tupleIJPjSI_NS0_16reverse_iteratorISI_EEEEENSH_IJSG_SG_SG_EEES9_SI_JZNS1_25segmented_radix_sort_implINS0_14default_configELb0EPKfPfPKlPlN2at6native12_GLOBAL__N_18offset_tEEE10hipError_tPvRmT1_PNSt15iterator_traitsIS12_E10value_typeET2_T3_PNS13_IS18_E10value_typeET4_jRbjT5_S1E_jjP12ihipStream_tbEUljE_ZNSN_ISO_Lb0ESQ_SR_ST_SU_SY_EESZ_S10_S11_S12_S16_S17_S18_S1B_S1C_jS1D_jS1E_S1E_jjS1G_bEUljE0_EEESZ_S10_S11_S18_S1C_S1E_T6_T7_T9_mT8_S1G_bDpT10_ENKUlT_T0_E_clISt17integral_constantIbLb1EES1T_IbLb0EEEEDaS1P_S1Q_EUlS1P_E_NS1_11comp_targetILNS1_3genE5ELNS1_11target_archE942ELNS1_3gpuE9ELNS1_3repE0EEENS1_30default_config_static_selectorELNS0_4arch9wavefront6targetE0EEEvS12_.has_recursion, 0
	.set _ZN7rocprim17ROCPRIM_400000_NS6detail17trampoline_kernelINS0_13select_configILj256ELj13ELNS0_17block_load_methodE3ELS4_3ELS4_3ELNS0_20block_scan_algorithmE0ELj4294967295EEENS1_25partition_config_selectorILNS1_17partition_subalgoE4EjNS0_10empty_typeEbEEZZNS1_14partition_implILS8_4ELb0ES6_15HIP_vector_typeIjLj2EENS0_17counting_iteratorIjlEEPS9_SG_NS0_5tupleIJPjSI_NS0_16reverse_iteratorISI_EEEEENSH_IJSG_SG_SG_EEES9_SI_JZNS1_25segmented_radix_sort_implINS0_14default_configELb0EPKfPfPKlPlN2at6native12_GLOBAL__N_18offset_tEEE10hipError_tPvRmT1_PNSt15iterator_traitsIS12_E10value_typeET2_T3_PNS13_IS18_E10value_typeET4_jRbjT5_S1E_jjP12ihipStream_tbEUljE_ZNSN_ISO_Lb0ESQ_SR_ST_SU_SY_EESZ_S10_S11_S12_S16_S17_S18_S1B_S1C_jS1D_jS1E_S1E_jjS1G_bEUljE0_EEESZ_S10_S11_S18_S1C_S1E_T6_T7_T9_mT8_S1G_bDpT10_ENKUlT_T0_E_clISt17integral_constantIbLb1EES1T_IbLb0EEEEDaS1P_S1Q_EUlS1P_E_NS1_11comp_targetILNS1_3genE5ELNS1_11target_archE942ELNS1_3gpuE9ELNS1_3repE0EEENS1_30default_config_static_selectorELNS0_4arch9wavefront6targetE0EEEvS12_.has_indirect_call, 0
	.section	.AMDGPU.csdata,"",@progbits
; Kernel info:
; codeLenInByte = 0
; TotalNumSgprs: 0
; NumVgprs: 0
; ScratchSize: 0
; MemoryBound: 0
; FloatMode: 240
; IeeeMode: 1
; LDSByteSize: 0 bytes/workgroup (compile time only)
; SGPRBlocks: 0
; VGPRBlocks: 0
; NumSGPRsForWavesPerEU: 1
; NumVGPRsForWavesPerEU: 1
; Occupancy: 16
; WaveLimiterHint : 0
; COMPUTE_PGM_RSRC2:SCRATCH_EN: 0
; COMPUTE_PGM_RSRC2:USER_SGPR: 6
; COMPUTE_PGM_RSRC2:TRAP_HANDLER: 0
; COMPUTE_PGM_RSRC2:TGID_X_EN: 1
; COMPUTE_PGM_RSRC2:TGID_Y_EN: 0
; COMPUTE_PGM_RSRC2:TGID_Z_EN: 0
; COMPUTE_PGM_RSRC2:TIDIG_COMP_CNT: 0
	.section	.text._ZN7rocprim17ROCPRIM_400000_NS6detail17trampoline_kernelINS0_13select_configILj256ELj13ELNS0_17block_load_methodE3ELS4_3ELS4_3ELNS0_20block_scan_algorithmE0ELj4294967295EEENS1_25partition_config_selectorILNS1_17partition_subalgoE4EjNS0_10empty_typeEbEEZZNS1_14partition_implILS8_4ELb0ES6_15HIP_vector_typeIjLj2EENS0_17counting_iteratorIjlEEPS9_SG_NS0_5tupleIJPjSI_NS0_16reverse_iteratorISI_EEEEENSH_IJSG_SG_SG_EEES9_SI_JZNS1_25segmented_radix_sort_implINS0_14default_configELb0EPKfPfPKlPlN2at6native12_GLOBAL__N_18offset_tEEE10hipError_tPvRmT1_PNSt15iterator_traitsIS12_E10value_typeET2_T3_PNS13_IS18_E10value_typeET4_jRbjT5_S1E_jjP12ihipStream_tbEUljE_ZNSN_ISO_Lb0ESQ_SR_ST_SU_SY_EESZ_S10_S11_S12_S16_S17_S18_S1B_S1C_jS1D_jS1E_S1E_jjS1G_bEUljE0_EEESZ_S10_S11_S18_S1C_S1E_T6_T7_T9_mT8_S1G_bDpT10_ENKUlT_T0_E_clISt17integral_constantIbLb1EES1T_IbLb0EEEEDaS1P_S1Q_EUlS1P_E_NS1_11comp_targetILNS1_3genE4ELNS1_11target_archE910ELNS1_3gpuE8ELNS1_3repE0EEENS1_30default_config_static_selectorELNS0_4arch9wavefront6targetE0EEEvS12_,"axG",@progbits,_ZN7rocprim17ROCPRIM_400000_NS6detail17trampoline_kernelINS0_13select_configILj256ELj13ELNS0_17block_load_methodE3ELS4_3ELS4_3ELNS0_20block_scan_algorithmE0ELj4294967295EEENS1_25partition_config_selectorILNS1_17partition_subalgoE4EjNS0_10empty_typeEbEEZZNS1_14partition_implILS8_4ELb0ES6_15HIP_vector_typeIjLj2EENS0_17counting_iteratorIjlEEPS9_SG_NS0_5tupleIJPjSI_NS0_16reverse_iteratorISI_EEEEENSH_IJSG_SG_SG_EEES9_SI_JZNS1_25segmented_radix_sort_implINS0_14default_configELb0EPKfPfPKlPlN2at6native12_GLOBAL__N_18offset_tEEE10hipError_tPvRmT1_PNSt15iterator_traitsIS12_E10value_typeET2_T3_PNS13_IS18_E10value_typeET4_jRbjT5_S1E_jjP12ihipStream_tbEUljE_ZNSN_ISO_Lb0ESQ_SR_ST_SU_SY_EESZ_S10_S11_S12_S16_S17_S18_S1B_S1C_jS1D_jS1E_S1E_jjS1G_bEUljE0_EEESZ_S10_S11_S18_S1C_S1E_T6_T7_T9_mT8_S1G_bDpT10_ENKUlT_T0_E_clISt17integral_constantIbLb1EES1T_IbLb0EEEEDaS1P_S1Q_EUlS1P_E_NS1_11comp_targetILNS1_3genE4ELNS1_11target_archE910ELNS1_3gpuE8ELNS1_3repE0EEENS1_30default_config_static_selectorELNS0_4arch9wavefront6targetE0EEEvS12_,comdat
	.globl	_ZN7rocprim17ROCPRIM_400000_NS6detail17trampoline_kernelINS0_13select_configILj256ELj13ELNS0_17block_load_methodE3ELS4_3ELS4_3ELNS0_20block_scan_algorithmE0ELj4294967295EEENS1_25partition_config_selectorILNS1_17partition_subalgoE4EjNS0_10empty_typeEbEEZZNS1_14partition_implILS8_4ELb0ES6_15HIP_vector_typeIjLj2EENS0_17counting_iteratorIjlEEPS9_SG_NS0_5tupleIJPjSI_NS0_16reverse_iteratorISI_EEEEENSH_IJSG_SG_SG_EEES9_SI_JZNS1_25segmented_radix_sort_implINS0_14default_configELb0EPKfPfPKlPlN2at6native12_GLOBAL__N_18offset_tEEE10hipError_tPvRmT1_PNSt15iterator_traitsIS12_E10value_typeET2_T3_PNS13_IS18_E10value_typeET4_jRbjT5_S1E_jjP12ihipStream_tbEUljE_ZNSN_ISO_Lb0ESQ_SR_ST_SU_SY_EESZ_S10_S11_S12_S16_S17_S18_S1B_S1C_jS1D_jS1E_S1E_jjS1G_bEUljE0_EEESZ_S10_S11_S18_S1C_S1E_T6_T7_T9_mT8_S1G_bDpT10_ENKUlT_T0_E_clISt17integral_constantIbLb1EES1T_IbLb0EEEEDaS1P_S1Q_EUlS1P_E_NS1_11comp_targetILNS1_3genE4ELNS1_11target_archE910ELNS1_3gpuE8ELNS1_3repE0EEENS1_30default_config_static_selectorELNS0_4arch9wavefront6targetE0EEEvS12_ ; -- Begin function _ZN7rocprim17ROCPRIM_400000_NS6detail17trampoline_kernelINS0_13select_configILj256ELj13ELNS0_17block_load_methodE3ELS4_3ELS4_3ELNS0_20block_scan_algorithmE0ELj4294967295EEENS1_25partition_config_selectorILNS1_17partition_subalgoE4EjNS0_10empty_typeEbEEZZNS1_14partition_implILS8_4ELb0ES6_15HIP_vector_typeIjLj2EENS0_17counting_iteratorIjlEEPS9_SG_NS0_5tupleIJPjSI_NS0_16reverse_iteratorISI_EEEEENSH_IJSG_SG_SG_EEES9_SI_JZNS1_25segmented_radix_sort_implINS0_14default_configELb0EPKfPfPKlPlN2at6native12_GLOBAL__N_18offset_tEEE10hipError_tPvRmT1_PNSt15iterator_traitsIS12_E10value_typeET2_T3_PNS13_IS18_E10value_typeET4_jRbjT5_S1E_jjP12ihipStream_tbEUljE_ZNSN_ISO_Lb0ESQ_SR_ST_SU_SY_EESZ_S10_S11_S12_S16_S17_S18_S1B_S1C_jS1D_jS1E_S1E_jjS1G_bEUljE0_EEESZ_S10_S11_S18_S1C_S1E_T6_T7_T9_mT8_S1G_bDpT10_ENKUlT_T0_E_clISt17integral_constantIbLb1EES1T_IbLb0EEEEDaS1P_S1Q_EUlS1P_E_NS1_11comp_targetILNS1_3genE4ELNS1_11target_archE910ELNS1_3gpuE8ELNS1_3repE0EEENS1_30default_config_static_selectorELNS0_4arch9wavefront6targetE0EEEvS12_
	.p2align	8
	.type	_ZN7rocprim17ROCPRIM_400000_NS6detail17trampoline_kernelINS0_13select_configILj256ELj13ELNS0_17block_load_methodE3ELS4_3ELS4_3ELNS0_20block_scan_algorithmE0ELj4294967295EEENS1_25partition_config_selectorILNS1_17partition_subalgoE4EjNS0_10empty_typeEbEEZZNS1_14partition_implILS8_4ELb0ES6_15HIP_vector_typeIjLj2EENS0_17counting_iteratorIjlEEPS9_SG_NS0_5tupleIJPjSI_NS0_16reverse_iteratorISI_EEEEENSH_IJSG_SG_SG_EEES9_SI_JZNS1_25segmented_radix_sort_implINS0_14default_configELb0EPKfPfPKlPlN2at6native12_GLOBAL__N_18offset_tEEE10hipError_tPvRmT1_PNSt15iterator_traitsIS12_E10value_typeET2_T3_PNS13_IS18_E10value_typeET4_jRbjT5_S1E_jjP12ihipStream_tbEUljE_ZNSN_ISO_Lb0ESQ_SR_ST_SU_SY_EESZ_S10_S11_S12_S16_S17_S18_S1B_S1C_jS1D_jS1E_S1E_jjS1G_bEUljE0_EEESZ_S10_S11_S18_S1C_S1E_T6_T7_T9_mT8_S1G_bDpT10_ENKUlT_T0_E_clISt17integral_constantIbLb1EES1T_IbLb0EEEEDaS1P_S1Q_EUlS1P_E_NS1_11comp_targetILNS1_3genE4ELNS1_11target_archE910ELNS1_3gpuE8ELNS1_3repE0EEENS1_30default_config_static_selectorELNS0_4arch9wavefront6targetE0EEEvS12_,@function
_ZN7rocprim17ROCPRIM_400000_NS6detail17trampoline_kernelINS0_13select_configILj256ELj13ELNS0_17block_load_methodE3ELS4_3ELS4_3ELNS0_20block_scan_algorithmE0ELj4294967295EEENS1_25partition_config_selectorILNS1_17partition_subalgoE4EjNS0_10empty_typeEbEEZZNS1_14partition_implILS8_4ELb0ES6_15HIP_vector_typeIjLj2EENS0_17counting_iteratorIjlEEPS9_SG_NS0_5tupleIJPjSI_NS0_16reverse_iteratorISI_EEEEENSH_IJSG_SG_SG_EEES9_SI_JZNS1_25segmented_radix_sort_implINS0_14default_configELb0EPKfPfPKlPlN2at6native12_GLOBAL__N_18offset_tEEE10hipError_tPvRmT1_PNSt15iterator_traitsIS12_E10value_typeET2_T3_PNS13_IS18_E10value_typeET4_jRbjT5_S1E_jjP12ihipStream_tbEUljE_ZNSN_ISO_Lb0ESQ_SR_ST_SU_SY_EESZ_S10_S11_S12_S16_S17_S18_S1B_S1C_jS1D_jS1E_S1E_jjS1G_bEUljE0_EEESZ_S10_S11_S18_S1C_S1E_T6_T7_T9_mT8_S1G_bDpT10_ENKUlT_T0_E_clISt17integral_constantIbLb1EES1T_IbLb0EEEEDaS1P_S1Q_EUlS1P_E_NS1_11comp_targetILNS1_3genE4ELNS1_11target_archE910ELNS1_3gpuE8ELNS1_3repE0EEENS1_30default_config_static_selectorELNS0_4arch9wavefront6targetE0EEEvS12_: ; @_ZN7rocprim17ROCPRIM_400000_NS6detail17trampoline_kernelINS0_13select_configILj256ELj13ELNS0_17block_load_methodE3ELS4_3ELS4_3ELNS0_20block_scan_algorithmE0ELj4294967295EEENS1_25partition_config_selectorILNS1_17partition_subalgoE4EjNS0_10empty_typeEbEEZZNS1_14partition_implILS8_4ELb0ES6_15HIP_vector_typeIjLj2EENS0_17counting_iteratorIjlEEPS9_SG_NS0_5tupleIJPjSI_NS0_16reverse_iteratorISI_EEEEENSH_IJSG_SG_SG_EEES9_SI_JZNS1_25segmented_radix_sort_implINS0_14default_configELb0EPKfPfPKlPlN2at6native12_GLOBAL__N_18offset_tEEE10hipError_tPvRmT1_PNSt15iterator_traitsIS12_E10value_typeET2_T3_PNS13_IS18_E10value_typeET4_jRbjT5_S1E_jjP12ihipStream_tbEUljE_ZNSN_ISO_Lb0ESQ_SR_ST_SU_SY_EESZ_S10_S11_S12_S16_S17_S18_S1B_S1C_jS1D_jS1E_S1E_jjS1G_bEUljE0_EEESZ_S10_S11_S18_S1C_S1E_T6_T7_T9_mT8_S1G_bDpT10_ENKUlT_T0_E_clISt17integral_constantIbLb1EES1T_IbLb0EEEEDaS1P_S1Q_EUlS1P_E_NS1_11comp_targetILNS1_3genE4ELNS1_11target_archE910ELNS1_3gpuE8ELNS1_3repE0EEENS1_30default_config_static_selectorELNS0_4arch9wavefront6targetE0EEEvS12_
; %bb.0:
	.section	.rodata,"a",@progbits
	.p2align	6, 0x0
	.amdhsa_kernel _ZN7rocprim17ROCPRIM_400000_NS6detail17trampoline_kernelINS0_13select_configILj256ELj13ELNS0_17block_load_methodE3ELS4_3ELS4_3ELNS0_20block_scan_algorithmE0ELj4294967295EEENS1_25partition_config_selectorILNS1_17partition_subalgoE4EjNS0_10empty_typeEbEEZZNS1_14partition_implILS8_4ELb0ES6_15HIP_vector_typeIjLj2EENS0_17counting_iteratorIjlEEPS9_SG_NS0_5tupleIJPjSI_NS0_16reverse_iteratorISI_EEEEENSH_IJSG_SG_SG_EEES9_SI_JZNS1_25segmented_radix_sort_implINS0_14default_configELb0EPKfPfPKlPlN2at6native12_GLOBAL__N_18offset_tEEE10hipError_tPvRmT1_PNSt15iterator_traitsIS12_E10value_typeET2_T3_PNS13_IS18_E10value_typeET4_jRbjT5_S1E_jjP12ihipStream_tbEUljE_ZNSN_ISO_Lb0ESQ_SR_ST_SU_SY_EESZ_S10_S11_S12_S16_S17_S18_S1B_S1C_jS1D_jS1E_S1E_jjS1G_bEUljE0_EEESZ_S10_S11_S18_S1C_S1E_T6_T7_T9_mT8_S1G_bDpT10_ENKUlT_T0_E_clISt17integral_constantIbLb1EES1T_IbLb0EEEEDaS1P_S1Q_EUlS1P_E_NS1_11comp_targetILNS1_3genE4ELNS1_11target_archE910ELNS1_3gpuE8ELNS1_3repE0EEENS1_30default_config_static_selectorELNS0_4arch9wavefront6targetE0EEEvS12_
		.amdhsa_group_segment_fixed_size 0
		.amdhsa_private_segment_fixed_size 0
		.amdhsa_kernarg_size 176
		.amdhsa_user_sgpr_count 6
		.amdhsa_user_sgpr_private_segment_buffer 1
		.amdhsa_user_sgpr_dispatch_ptr 0
		.amdhsa_user_sgpr_queue_ptr 0
		.amdhsa_user_sgpr_kernarg_segment_ptr 1
		.amdhsa_user_sgpr_dispatch_id 0
		.amdhsa_user_sgpr_flat_scratch_init 0
		.amdhsa_user_sgpr_private_segment_size 0
		.amdhsa_wavefront_size32 1
		.amdhsa_uses_dynamic_stack 0
		.amdhsa_system_sgpr_private_segment_wavefront_offset 0
		.amdhsa_system_sgpr_workgroup_id_x 1
		.amdhsa_system_sgpr_workgroup_id_y 0
		.amdhsa_system_sgpr_workgroup_id_z 0
		.amdhsa_system_sgpr_workgroup_info 0
		.amdhsa_system_vgpr_workitem_id 0
		.amdhsa_next_free_vgpr 1
		.amdhsa_next_free_sgpr 1
		.amdhsa_reserve_vcc 0
		.amdhsa_reserve_flat_scratch 0
		.amdhsa_float_round_mode_32 0
		.amdhsa_float_round_mode_16_64 0
		.amdhsa_float_denorm_mode_32 3
		.amdhsa_float_denorm_mode_16_64 3
		.amdhsa_dx10_clamp 1
		.amdhsa_ieee_mode 1
		.amdhsa_fp16_overflow 0
		.amdhsa_workgroup_processor_mode 1
		.amdhsa_memory_ordered 1
		.amdhsa_forward_progress 1
		.amdhsa_shared_vgpr_count 0
		.amdhsa_exception_fp_ieee_invalid_op 0
		.amdhsa_exception_fp_denorm_src 0
		.amdhsa_exception_fp_ieee_div_zero 0
		.amdhsa_exception_fp_ieee_overflow 0
		.amdhsa_exception_fp_ieee_underflow 0
		.amdhsa_exception_fp_ieee_inexact 0
		.amdhsa_exception_int_div_zero 0
	.end_amdhsa_kernel
	.section	.text._ZN7rocprim17ROCPRIM_400000_NS6detail17trampoline_kernelINS0_13select_configILj256ELj13ELNS0_17block_load_methodE3ELS4_3ELS4_3ELNS0_20block_scan_algorithmE0ELj4294967295EEENS1_25partition_config_selectorILNS1_17partition_subalgoE4EjNS0_10empty_typeEbEEZZNS1_14partition_implILS8_4ELb0ES6_15HIP_vector_typeIjLj2EENS0_17counting_iteratorIjlEEPS9_SG_NS0_5tupleIJPjSI_NS0_16reverse_iteratorISI_EEEEENSH_IJSG_SG_SG_EEES9_SI_JZNS1_25segmented_radix_sort_implINS0_14default_configELb0EPKfPfPKlPlN2at6native12_GLOBAL__N_18offset_tEEE10hipError_tPvRmT1_PNSt15iterator_traitsIS12_E10value_typeET2_T3_PNS13_IS18_E10value_typeET4_jRbjT5_S1E_jjP12ihipStream_tbEUljE_ZNSN_ISO_Lb0ESQ_SR_ST_SU_SY_EESZ_S10_S11_S12_S16_S17_S18_S1B_S1C_jS1D_jS1E_S1E_jjS1G_bEUljE0_EEESZ_S10_S11_S18_S1C_S1E_T6_T7_T9_mT8_S1G_bDpT10_ENKUlT_T0_E_clISt17integral_constantIbLb1EES1T_IbLb0EEEEDaS1P_S1Q_EUlS1P_E_NS1_11comp_targetILNS1_3genE4ELNS1_11target_archE910ELNS1_3gpuE8ELNS1_3repE0EEENS1_30default_config_static_selectorELNS0_4arch9wavefront6targetE0EEEvS12_,"axG",@progbits,_ZN7rocprim17ROCPRIM_400000_NS6detail17trampoline_kernelINS0_13select_configILj256ELj13ELNS0_17block_load_methodE3ELS4_3ELS4_3ELNS0_20block_scan_algorithmE0ELj4294967295EEENS1_25partition_config_selectorILNS1_17partition_subalgoE4EjNS0_10empty_typeEbEEZZNS1_14partition_implILS8_4ELb0ES6_15HIP_vector_typeIjLj2EENS0_17counting_iteratorIjlEEPS9_SG_NS0_5tupleIJPjSI_NS0_16reverse_iteratorISI_EEEEENSH_IJSG_SG_SG_EEES9_SI_JZNS1_25segmented_radix_sort_implINS0_14default_configELb0EPKfPfPKlPlN2at6native12_GLOBAL__N_18offset_tEEE10hipError_tPvRmT1_PNSt15iterator_traitsIS12_E10value_typeET2_T3_PNS13_IS18_E10value_typeET4_jRbjT5_S1E_jjP12ihipStream_tbEUljE_ZNSN_ISO_Lb0ESQ_SR_ST_SU_SY_EESZ_S10_S11_S12_S16_S17_S18_S1B_S1C_jS1D_jS1E_S1E_jjS1G_bEUljE0_EEESZ_S10_S11_S18_S1C_S1E_T6_T7_T9_mT8_S1G_bDpT10_ENKUlT_T0_E_clISt17integral_constantIbLb1EES1T_IbLb0EEEEDaS1P_S1Q_EUlS1P_E_NS1_11comp_targetILNS1_3genE4ELNS1_11target_archE910ELNS1_3gpuE8ELNS1_3repE0EEENS1_30default_config_static_selectorELNS0_4arch9wavefront6targetE0EEEvS12_,comdat
.Lfunc_end1374:
	.size	_ZN7rocprim17ROCPRIM_400000_NS6detail17trampoline_kernelINS0_13select_configILj256ELj13ELNS0_17block_load_methodE3ELS4_3ELS4_3ELNS0_20block_scan_algorithmE0ELj4294967295EEENS1_25partition_config_selectorILNS1_17partition_subalgoE4EjNS0_10empty_typeEbEEZZNS1_14partition_implILS8_4ELb0ES6_15HIP_vector_typeIjLj2EENS0_17counting_iteratorIjlEEPS9_SG_NS0_5tupleIJPjSI_NS0_16reverse_iteratorISI_EEEEENSH_IJSG_SG_SG_EEES9_SI_JZNS1_25segmented_radix_sort_implINS0_14default_configELb0EPKfPfPKlPlN2at6native12_GLOBAL__N_18offset_tEEE10hipError_tPvRmT1_PNSt15iterator_traitsIS12_E10value_typeET2_T3_PNS13_IS18_E10value_typeET4_jRbjT5_S1E_jjP12ihipStream_tbEUljE_ZNSN_ISO_Lb0ESQ_SR_ST_SU_SY_EESZ_S10_S11_S12_S16_S17_S18_S1B_S1C_jS1D_jS1E_S1E_jjS1G_bEUljE0_EEESZ_S10_S11_S18_S1C_S1E_T6_T7_T9_mT8_S1G_bDpT10_ENKUlT_T0_E_clISt17integral_constantIbLb1EES1T_IbLb0EEEEDaS1P_S1Q_EUlS1P_E_NS1_11comp_targetILNS1_3genE4ELNS1_11target_archE910ELNS1_3gpuE8ELNS1_3repE0EEENS1_30default_config_static_selectorELNS0_4arch9wavefront6targetE0EEEvS12_, .Lfunc_end1374-_ZN7rocprim17ROCPRIM_400000_NS6detail17trampoline_kernelINS0_13select_configILj256ELj13ELNS0_17block_load_methodE3ELS4_3ELS4_3ELNS0_20block_scan_algorithmE0ELj4294967295EEENS1_25partition_config_selectorILNS1_17partition_subalgoE4EjNS0_10empty_typeEbEEZZNS1_14partition_implILS8_4ELb0ES6_15HIP_vector_typeIjLj2EENS0_17counting_iteratorIjlEEPS9_SG_NS0_5tupleIJPjSI_NS0_16reverse_iteratorISI_EEEEENSH_IJSG_SG_SG_EEES9_SI_JZNS1_25segmented_radix_sort_implINS0_14default_configELb0EPKfPfPKlPlN2at6native12_GLOBAL__N_18offset_tEEE10hipError_tPvRmT1_PNSt15iterator_traitsIS12_E10value_typeET2_T3_PNS13_IS18_E10value_typeET4_jRbjT5_S1E_jjP12ihipStream_tbEUljE_ZNSN_ISO_Lb0ESQ_SR_ST_SU_SY_EESZ_S10_S11_S12_S16_S17_S18_S1B_S1C_jS1D_jS1E_S1E_jjS1G_bEUljE0_EEESZ_S10_S11_S18_S1C_S1E_T6_T7_T9_mT8_S1G_bDpT10_ENKUlT_T0_E_clISt17integral_constantIbLb1EES1T_IbLb0EEEEDaS1P_S1Q_EUlS1P_E_NS1_11comp_targetILNS1_3genE4ELNS1_11target_archE910ELNS1_3gpuE8ELNS1_3repE0EEENS1_30default_config_static_selectorELNS0_4arch9wavefront6targetE0EEEvS12_
                                        ; -- End function
	.set _ZN7rocprim17ROCPRIM_400000_NS6detail17trampoline_kernelINS0_13select_configILj256ELj13ELNS0_17block_load_methodE3ELS4_3ELS4_3ELNS0_20block_scan_algorithmE0ELj4294967295EEENS1_25partition_config_selectorILNS1_17partition_subalgoE4EjNS0_10empty_typeEbEEZZNS1_14partition_implILS8_4ELb0ES6_15HIP_vector_typeIjLj2EENS0_17counting_iteratorIjlEEPS9_SG_NS0_5tupleIJPjSI_NS0_16reverse_iteratorISI_EEEEENSH_IJSG_SG_SG_EEES9_SI_JZNS1_25segmented_radix_sort_implINS0_14default_configELb0EPKfPfPKlPlN2at6native12_GLOBAL__N_18offset_tEEE10hipError_tPvRmT1_PNSt15iterator_traitsIS12_E10value_typeET2_T3_PNS13_IS18_E10value_typeET4_jRbjT5_S1E_jjP12ihipStream_tbEUljE_ZNSN_ISO_Lb0ESQ_SR_ST_SU_SY_EESZ_S10_S11_S12_S16_S17_S18_S1B_S1C_jS1D_jS1E_S1E_jjS1G_bEUljE0_EEESZ_S10_S11_S18_S1C_S1E_T6_T7_T9_mT8_S1G_bDpT10_ENKUlT_T0_E_clISt17integral_constantIbLb1EES1T_IbLb0EEEEDaS1P_S1Q_EUlS1P_E_NS1_11comp_targetILNS1_3genE4ELNS1_11target_archE910ELNS1_3gpuE8ELNS1_3repE0EEENS1_30default_config_static_selectorELNS0_4arch9wavefront6targetE0EEEvS12_.num_vgpr, 0
	.set _ZN7rocprim17ROCPRIM_400000_NS6detail17trampoline_kernelINS0_13select_configILj256ELj13ELNS0_17block_load_methodE3ELS4_3ELS4_3ELNS0_20block_scan_algorithmE0ELj4294967295EEENS1_25partition_config_selectorILNS1_17partition_subalgoE4EjNS0_10empty_typeEbEEZZNS1_14partition_implILS8_4ELb0ES6_15HIP_vector_typeIjLj2EENS0_17counting_iteratorIjlEEPS9_SG_NS0_5tupleIJPjSI_NS0_16reverse_iteratorISI_EEEEENSH_IJSG_SG_SG_EEES9_SI_JZNS1_25segmented_radix_sort_implINS0_14default_configELb0EPKfPfPKlPlN2at6native12_GLOBAL__N_18offset_tEEE10hipError_tPvRmT1_PNSt15iterator_traitsIS12_E10value_typeET2_T3_PNS13_IS18_E10value_typeET4_jRbjT5_S1E_jjP12ihipStream_tbEUljE_ZNSN_ISO_Lb0ESQ_SR_ST_SU_SY_EESZ_S10_S11_S12_S16_S17_S18_S1B_S1C_jS1D_jS1E_S1E_jjS1G_bEUljE0_EEESZ_S10_S11_S18_S1C_S1E_T6_T7_T9_mT8_S1G_bDpT10_ENKUlT_T0_E_clISt17integral_constantIbLb1EES1T_IbLb0EEEEDaS1P_S1Q_EUlS1P_E_NS1_11comp_targetILNS1_3genE4ELNS1_11target_archE910ELNS1_3gpuE8ELNS1_3repE0EEENS1_30default_config_static_selectorELNS0_4arch9wavefront6targetE0EEEvS12_.num_agpr, 0
	.set _ZN7rocprim17ROCPRIM_400000_NS6detail17trampoline_kernelINS0_13select_configILj256ELj13ELNS0_17block_load_methodE3ELS4_3ELS4_3ELNS0_20block_scan_algorithmE0ELj4294967295EEENS1_25partition_config_selectorILNS1_17partition_subalgoE4EjNS0_10empty_typeEbEEZZNS1_14partition_implILS8_4ELb0ES6_15HIP_vector_typeIjLj2EENS0_17counting_iteratorIjlEEPS9_SG_NS0_5tupleIJPjSI_NS0_16reverse_iteratorISI_EEEEENSH_IJSG_SG_SG_EEES9_SI_JZNS1_25segmented_radix_sort_implINS0_14default_configELb0EPKfPfPKlPlN2at6native12_GLOBAL__N_18offset_tEEE10hipError_tPvRmT1_PNSt15iterator_traitsIS12_E10value_typeET2_T3_PNS13_IS18_E10value_typeET4_jRbjT5_S1E_jjP12ihipStream_tbEUljE_ZNSN_ISO_Lb0ESQ_SR_ST_SU_SY_EESZ_S10_S11_S12_S16_S17_S18_S1B_S1C_jS1D_jS1E_S1E_jjS1G_bEUljE0_EEESZ_S10_S11_S18_S1C_S1E_T6_T7_T9_mT8_S1G_bDpT10_ENKUlT_T0_E_clISt17integral_constantIbLb1EES1T_IbLb0EEEEDaS1P_S1Q_EUlS1P_E_NS1_11comp_targetILNS1_3genE4ELNS1_11target_archE910ELNS1_3gpuE8ELNS1_3repE0EEENS1_30default_config_static_selectorELNS0_4arch9wavefront6targetE0EEEvS12_.numbered_sgpr, 0
	.set _ZN7rocprim17ROCPRIM_400000_NS6detail17trampoline_kernelINS0_13select_configILj256ELj13ELNS0_17block_load_methodE3ELS4_3ELS4_3ELNS0_20block_scan_algorithmE0ELj4294967295EEENS1_25partition_config_selectorILNS1_17partition_subalgoE4EjNS0_10empty_typeEbEEZZNS1_14partition_implILS8_4ELb0ES6_15HIP_vector_typeIjLj2EENS0_17counting_iteratorIjlEEPS9_SG_NS0_5tupleIJPjSI_NS0_16reverse_iteratorISI_EEEEENSH_IJSG_SG_SG_EEES9_SI_JZNS1_25segmented_radix_sort_implINS0_14default_configELb0EPKfPfPKlPlN2at6native12_GLOBAL__N_18offset_tEEE10hipError_tPvRmT1_PNSt15iterator_traitsIS12_E10value_typeET2_T3_PNS13_IS18_E10value_typeET4_jRbjT5_S1E_jjP12ihipStream_tbEUljE_ZNSN_ISO_Lb0ESQ_SR_ST_SU_SY_EESZ_S10_S11_S12_S16_S17_S18_S1B_S1C_jS1D_jS1E_S1E_jjS1G_bEUljE0_EEESZ_S10_S11_S18_S1C_S1E_T6_T7_T9_mT8_S1G_bDpT10_ENKUlT_T0_E_clISt17integral_constantIbLb1EES1T_IbLb0EEEEDaS1P_S1Q_EUlS1P_E_NS1_11comp_targetILNS1_3genE4ELNS1_11target_archE910ELNS1_3gpuE8ELNS1_3repE0EEENS1_30default_config_static_selectorELNS0_4arch9wavefront6targetE0EEEvS12_.num_named_barrier, 0
	.set _ZN7rocprim17ROCPRIM_400000_NS6detail17trampoline_kernelINS0_13select_configILj256ELj13ELNS0_17block_load_methodE3ELS4_3ELS4_3ELNS0_20block_scan_algorithmE0ELj4294967295EEENS1_25partition_config_selectorILNS1_17partition_subalgoE4EjNS0_10empty_typeEbEEZZNS1_14partition_implILS8_4ELb0ES6_15HIP_vector_typeIjLj2EENS0_17counting_iteratorIjlEEPS9_SG_NS0_5tupleIJPjSI_NS0_16reverse_iteratorISI_EEEEENSH_IJSG_SG_SG_EEES9_SI_JZNS1_25segmented_radix_sort_implINS0_14default_configELb0EPKfPfPKlPlN2at6native12_GLOBAL__N_18offset_tEEE10hipError_tPvRmT1_PNSt15iterator_traitsIS12_E10value_typeET2_T3_PNS13_IS18_E10value_typeET4_jRbjT5_S1E_jjP12ihipStream_tbEUljE_ZNSN_ISO_Lb0ESQ_SR_ST_SU_SY_EESZ_S10_S11_S12_S16_S17_S18_S1B_S1C_jS1D_jS1E_S1E_jjS1G_bEUljE0_EEESZ_S10_S11_S18_S1C_S1E_T6_T7_T9_mT8_S1G_bDpT10_ENKUlT_T0_E_clISt17integral_constantIbLb1EES1T_IbLb0EEEEDaS1P_S1Q_EUlS1P_E_NS1_11comp_targetILNS1_3genE4ELNS1_11target_archE910ELNS1_3gpuE8ELNS1_3repE0EEENS1_30default_config_static_selectorELNS0_4arch9wavefront6targetE0EEEvS12_.private_seg_size, 0
	.set _ZN7rocprim17ROCPRIM_400000_NS6detail17trampoline_kernelINS0_13select_configILj256ELj13ELNS0_17block_load_methodE3ELS4_3ELS4_3ELNS0_20block_scan_algorithmE0ELj4294967295EEENS1_25partition_config_selectorILNS1_17partition_subalgoE4EjNS0_10empty_typeEbEEZZNS1_14partition_implILS8_4ELb0ES6_15HIP_vector_typeIjLj2EENS0_17counting_iteratorIjlEEPS9_SG_NS0_5tupleIJPjSI_NS0_16reverse_iteratorISI_EEEEENSH_IJSG_SG_SG_EEES9_SI_JZNS1_25segmented_radix_sort_implINS0_14default_configELb0EPKfPfPKlPlN2at6native12_GLOBAL__N_18offset_tEEE10hipError_tPvRmT1_PNSt15iterator_traitsIS12_E10value_typeET2_T3_PNS13_IS18_E10value_typeET4_jRbjT5_S1E_jjP12ihipStream_tbEUljE_ZNSN_ISO_Lb0ESQ_SR_ST_SU_SY_EESZ_S10_S11_S12_S16_S17_S18_S1B_S1C_jS1D_jS1E_S1E_jjS1G_bEUljE0_EEESZ_S10_S11_S18_S1C_S1E_T6_T7_T9_mT8_S1G_bDpT10_ENKUlT_T0_E_clISt17integral_constantIbLb1EES1T_IbLb0EEEEDaS1P_S1Q_EUlS1P_E_NS1_11comp_targetILNS1_3genE4ELNS1_11target_archE910ELNS1_3gpuE8ELNS1_3repE0EEENS1_30default_config_static_selectorELNS0_4arch9wavefront6targetE0EEEvS12_.uses_vcc, 0
	.set _ZN7rocprim17ROCPRIM_400000_NS6detail17trampoline_kernelINS0_13select_configILj256ELj13ELNS0_17block_load_methodE3ELS4_3ELS4_3ELNS0_20block_scan_algorithmE0ELj4294967295EEENS1_25partition_config_selectorILNS1_17partition_subalgoE4EjNS0_10empty_typeEbEEZZNS1_14partition_implILS8_4ELb0ES6_15HIP_vector_typeIjLj2EENS0_17counting_iteratorIjlEEPS9_SG_NS0_5tupleIJPjSI_NS0_16reverse_iteratorISI_EEEEENSH_IJSG_SG_SG_EEES9_SI_JZNS1_25segmented_radix_sort_implINS0_14default_configELb0EPKfPfPKlPlN2at6native12_GLOBAL__N_18offset_tEEE10hipError_tPvRmT1_PNSt15iterator_traitsIS12_E10value_typeET2_T3_PNS13_IS18_E10value_typeET4_jRbjT5_S1E_jjP12ihipStream_tbEUljE_ZNSN_ISO_Lb0ESQ_SR_ST_SU_SY_EESZ_S10_S11_S12_S16_S17_S18_S1B_S1C_jS1D_jS1E_S1E_jjS1G_bEUljE0_EEESZ_S10_S11_S18_S1C_S1E_T6_T7_T9_mT8_S1G_bDpT10_ENKUlT_T0_E_clISt17integral_constantIbLb1EES1T_IbLb0EEEEDaS1P_S1Q_EUlS1P_E_NS1_11comp_targetILNS1_3genE4ELNS1_11target_archE910ELNS1_3gpuE8ELNS1_3repE0EEENS1_30default_config_static_selectorELNS0_4arch9wavefront6targetE0EEEvS12_.uses_flat_scratch, 0
	.set _ZN7rocprim17ROCPRIM_400000_NS6detail17trampoline_kernelINS0_13select_configILj256ELj13ELNS0_17block_load_methodE3ELS4_3ELS4_3ELNS0_20block_scan_algorithmE0ELj4294967295EEENS1_25partition_config_selectorILNS1_17partition_subalgoE4EjNS0_10empty_typeEbEEZZNS1_14partition_implILS8_4ELb0ES6_15HIP_vector_typeIjLj2EENS0_17counting_iteratorIjlEEPS9_SG_NS0_5tupleIJPjSI_NS0_16reverse_iteratorISI_EEEEENSH_IJSG_SG_SG_EEES9_SI_JZNS1_25segmented_radix_sort_implINS0_14default_configELb0EPKfPfPKlPlN2at6native12_GLOBAL__N_18offset_tEEE10hipError_tPvRmT1_PNSt15iterator_traitsIS12_E10value_typeET2_T3_PNS13_IS18_E10value_typeET4_jRbjT5_S1E_jjP12ihipStream_tbEUljE_ZNSN_ISO_Lb0ESQ_SR_ST_SU_SY_EESZ_S10_S11_S12_S16_S17_S18_S1B_S1C_jS1D_jS1E_S1E_jjS1G_bEUljE0_EEESZ_S10_S11_S18_S1C_S1E_T6_T7_T9_mT8_S1G_bDpT10_ENKUlT_T0_E_clISt17integral_constantIbLb1EES1T_IbLb0EEEEDaS1P_S1Q_EUlS1P_E_NS1_11comp_targetILNS1_3genE4ELNS1_11target_archE910ELNS1_3gpuE8ELNS1_3repE0EEENS1_30default_config_static_selectorELNS0_4arch9wavefront6targetE0EEEvS12_.has_dyn_sized_stack, 0
	.set _ZN7rocprim17ROCPRIM_400000_NS6detail17trampoline_kernelINS0_13select_configILj256ELj13ELNS0_17block_load_methodE3ELS4_3ELS4_3ELNS0_20block_scan_algorithmE0ELj4294967295EEENS1_25partition_config_selectorILNS1_17partition_subalgoE4EjNS0_10empty_typeEbEEZZNS1_14partition_implILS8_4ELb0ES6_15HIP_vector_typeIjLj2EENS0_17counting_iteratorIjlEEPS9_SG_NS0_5tupleIJPjSI_NS0_16reverse_iteratorISI_EEEEENSH_IJSG_SG_SG_EEES9_SI_JZNS1_25segmented_radix_sort_implINS0_14default_configELb0EPKfPfPKlPlN2at6native12_GLOBAL__N_18offset_tEEE10hipError_tPvRmT1_PNSt15iterator_traitsIS12_E10value_typeET2_T3_PNS13_IS18_E10value_typeET4_jRbjT5_S1E_jjP12ihipStream_tbEUljE_ZNSN_ISO_Lb0ESQ_SR_ST_SU_SY_EESZ_S10_S11_S12_S16_S17_S18_S1B_S1C_jS1D_jS1E_S1E_jjS1G_bEUljE0_EEESZ_S10_S11_S18_S1C_S1E_T6_T7_T9_mT8_S1G_bDpT10_ENKUlT_T0_E_clISt17integral_constantIbLb1EES1T_IbLb0EEEEDaS1P_S1Q_EUlS1P_E_NS1_11comp_targetILNS1_3genE4ELNS1_11target_archE910ELNS1_3gpuE8ELNS1_3repE0EEENS1_30default_config_static_selectorELNS0_4arch9wavefront6targetE0EEEvS12_.has_recursion, 0
	.set _ZN7rocprim17ROCPRIM_400000_NS6detail17trampoline_kernelINS0_13select_configILj256ELj13ELNS0_17block_load_methodE3ELS4_3ELS4_3ELNS0_20block_scan_algorithmE0ELj4294967295EEENS1_25partition_config_selectorILNS1_17partition_subalgoE4EjNS0_10empty_typeEbEEZZNS1_14partition_implILS8_4ELb0ES6_15HIP_vector_typeIjLj2EENS0_17counting_iteratorIjlEEPS9_SG_NS0_5tupleIJPjSI_NS0_16reverse_iteratorISI_EEEEENSH_IJSG_SG_SG_EEES9_SI_JZNS1_25segmented_radix_sort_implINS0_14default_configELb0EPKfPfPKlPlN2at6native12_GLOBAL__N_18offset_tEEE10hipError_tPvRmT1_PNSt15iterator_traitsIS12_E10value_typeET2_T3_PNS13_IS18_E10value_typeET4_jRbjT5_S1E_jjP12ihipStream_tbEUljE_ZNSN_ISO_Lb0ESQ_SR_ST_SU_SY_EESZ_S10_S11_S12_S16_S17_S18_S1B_S1C_jS1D_jS1E_S1E_jjS1G_bEUljE0_EEESZ_S10_S11_S18_S1C_S1E_T6_T7_T9_mT8_S1G_bDpT10_ENKUlT_T0_E_clISt17integral_constantIbLb1EES1T_IbLb0EEEEDaS1P_S1Q_EUlS1P_E_NS1_11comp_targetILNS1_3genE4ELNS1_11target_archE910ELNS1_3gpuE8ELNS1_3repE0EEENS1_30default_config_static_selectorELNS0_4arch9wavefront6targetE0EEEvS12_.has_indirect_call, 0
	.section	.AMDGPU.csdata,"",@progbits
; Kernel info:
; codeLenInByte = 0
; TotalNumSgprs: 0
; NumVgprs: 0
; ScratchSize: 0
; MemoryBound: 0
; FloatMode: 240
; IeeeMode: 1
; LDSByteSize: 0 bytes/workgroup (compile time only)
; SGPRBlocks: 0
; VGPRBlocks: 0
; NumSGPRsForWavesPerEU: 1
; NumVGPRsForWavesPerEU: 1
; Occupancy: 16
; WaveLimiterHint : 0
; COMPUTE_PGM_RSRC2:SCRATCH_EN: 0
; COMPUTE_PGM_RSRC2:USER_SGPR: 6
; COMPUTE_PGM_RSRC2:TRAP_HANDLER: 0
; COMPUTE_PGM_RSRC2:TGID_X_EN: 1
; COMPUTE_PGM_RSRC2:TGID_Y_EN: 0
; COMPUTE_PGM_RSRC2:TGID_Z_EN: 0
; COMPUTE_PGM_RSRC2:TIDIG_COMP_CNT: 0
	.section	.text._ZN7rocprim17ROCPRIM_400000_NS6detail17trampoline_kernelINS0_13select_configILj256ELj13ELNS0_17block_load_methodE3ELS4_3ELS4_3ELNS0_20block_scan_algorithmE0ELj4294967295EEENS1_25partition_config_selectorILNS1_17partition_subalgoE4EjNS0_10empty_typeEbEEZZNS1_14partition_implILS8_4ELb0ES6_15HIP_vector_typeIjLj2EENS0_17counting_iteratorIjlEEPS9_SG_NS0_5tupleIJPjSI_NS0_16reverse_iteratorISI_EEEEENSH_IJSG_SG_SG_EEES9_SI_JZNS1_25segmented_radix_sort_implINS0_14default_configELb0EPKfPfPKlPlN2at6native12_GLOBAL__N_18offset_tEEE10hipError_tPvRmT1_PNSt15iterator_traitsIS12_E10value_typeET2_T3_PNS13_IS18_E10value_typeET4_jRbjT5_S1E_jjP12ihipStream_tbEUljE_ZNSN_ISO_Lb0ESQ_SR_ST_SU_SY_EESZ_S10_S11_S12_S16_S17_S18_S1B_S1C_jS1D_jS1E_S1E_jjS1G_bEUljE0_EEESZ_S10_S11_S18_S1C_S1E_T6_T7_T9_mT8_S1G_bDpT10_ENKUlT_T0_E_clISt17integral_constantIbLb1EES1T_IbLb0EEEEDaS1P_S1Q_EUlS1P_E_NS1_11comp_targetILNS1_3genE3ELNS1_11target_archE908ELNS1_3gpuE7ELNS1_3repE0EEENS1_30default_config_static_selectorELNS0_4arch9wavefront6targetE0EEEvS12_,"axG",@progbits,_ZN7rocprim17ROCPRIM_400000_NS6detail17trampoline_kernelINS0_13select_configILj256ELj13ELNS0_17block_load_methodE3ELS4_3ELS4_3ELNS0_20block_scan_algorithmE0ELj4294967295EEENS1_25partition_config_selectorILNS1_17partition_subalgoE4EjNS0_10empty_typeEbEEZZNS1_14partition_implILS8_4ELb0ES6_15HIP_vector_typeIjLj2EENS0_17counting_iteratorIjlEEPS9_SG_NS0_5tupleIJPjSI_NS0_16reverse_iteratorISI_EEEEENSH_IJSG_SG_SG_EEES9_SI_JZNS1_25segmented_radix_sort_implINS0_14default_configELb0EPKfPfPKlPlN2at6native12_GLOBAL__N_18offset_tEEE10hipError_tPvRmT1_PNSt15iterator_traitsIS12_E10value_typeET2_T3_PNS13_IS18_E10value_typeET4_jRbjT5_S1E_jjP12ihipStream_tbEUljE_ZNSN_ISO_Lb0ESQ_SR_ST_SU_SY_EESZ_S10_S11_S12_S16_S17_S18_S1B_S1C_jS1D_jS1E_S1E_jjS1G_bEUljE0_EEESZ_S10_S11_S18_S1C_S1E_T6_T7_T9_mT8_S1G_bDpT10_ENKUlT_T0_E_clISt17integral_constantIbLb1EES1T_IbLb0EEEEDaS1P_S1Q_EUlS1P_E_NS1_11comp_targetILNS1_3genE3ELNS1_11target_archE908ELNS1_3gpuE7ELNS1_3repE0EEENS1_30default_config_static_selectorELNS0_4arch9wavefront6targetE0EEEvS12_,comdat
	.globl	_ZN7rocprim17ROCPRIM_400000_NS6detail17trampoline_kernelINS0_13select_configILj256ELj13ELNS0_17block_load_methodE3ELS4_3ELS4_3ELNS0_20block_scan_algorithmE0ELj4294967295EEENS1_25partition_config_selectorILNS1_17partition_subalgoE4EjNS0_10empty_typeEbEEZZNS1_14partition_implILS8_4ELb0ES6_15HIP_vector_typeIjLj2EENS0_17counting_iteratorIjlEEPS9_SG_NS0_5tupleIJPjSI_NS0_16reverse_iteratorISI_EEEEENSH_IJSG_SG_SG_EEES9_SI_JZNS1_25segmented_radix_sort_implINS0_14default_configELb0EPKfPfPKlPlN2at6native12_GLOBAL__N_18offset_tEEE10hipError_tPvRmT1_PNSt15iterator_traitsIS12_E10value_typeET2_T3_PNS13_IS18_E10value_typeET4_jRbjT5_S1E_jjP12ihipStream_tbEUljE_ZNSN_ISO_Lb0ESQ_SR_ST_SU_SY_EESZ_S10_S11_S12_S16_S17_S18_S1B_S1C_jS1D_jS1E_S1E_jjS1G_bEUljE0_EEESZ_S10_S11_S18_S1C_S1E_T6_T7_T9_mT8_S1G_bDpT10_ENKUlT_T0_E_clISt17integral_constantIbLb1EES1T_IbLb0EEEEDaS1P_S1Q_EUlS1P_E_NS1_11comp_targetILNS1_3genE3ELNS1_11target_archE908ELNS1_3gpuE7ELNS1_3repE0EEENS1_30default_config_static_selectorELNS0_4arch9wavefront6targetE0EEEvS12_ ; -- Begin function _ZN7rocprim17ROCPRIM_400000_NS6detail17trampoline_kernelINS0_13select_configILj256ELj13ELNS0_17block_load_methodE3ELS4_3ELS4_3ELNS0_20block_scan_algorithmE0ELj4294967295EEENS1_25partition_config_selectorILNS1_17partition_subalgoE4EjNS0_10empty_typeEbEEZZNS1_14partition_implILS8_4ELb0ES6_15HIP_vector_typeIjLj2EENS0_17counting_iteratorIjlEEPS9_SG_NS0_5tupleIJPjSI_NS0_16reverse_iteratorISI_EEEEENSH_IJSG_SG_SG_EEES9_SI_JZNS1_25segmented_radix_sort_implINS0_14default_configELb0EPKfPfPKlPlN2at6native12_GLOBAL__N_18offset_tEEE10hipError_tPvRmT1_PNSt15iterator_traitsIS12_E10value_typeET2_T3_PNS13_IS18_E10value_typeET4_jRbjT5_S1E_jjP12ihipStream_tbEUljE_ZNSN_ISO_Lb0ESQ_SR_ST_SU_SY_EESZ_S10_S11_S12_S16_S17_S18_S1B_S1C_jS1D_jS1E_S1E_jjS1G_bEUljE0_EEESZ_S10_S11_S18_S1C_S1E_T6_T7_T9_mT8_S1G_bDpT10_ENKUlT_T0_E_clISt17integral_constantIbLb1EES1T_IbLb0EEEEDaS1P_S1Q_EUlS1P_E_NS1_11comp_targetILNS1_3genE3ELNS1_11target_archE908ELNS1_3gpuE7ELNS1_3repE0EEENS1_30default_config_static_selectorELNS0_4arch9wavefront6targetE0EEEvS12_
	.p2align	8
	.type	_ZN7rocprim17ROCPRIM_400000_NS6detail17trampoline_kernelINS0_13select_configILj256ELj13ELNS0_17block_load_methodE3ELS4_3ELS4_3ELNS0_20block_scan_algorithmE0ELj4294967295EEENS1_25partition_config_selectorILNS1_17partition_subalgoE4EjNS0_10empty_typeEbEEZZNS1_14partition_implILS8_4ELb0ES6_15HIP_vector_typeIjLj2EENS0_17counting_iteratorIjlEEPS9_SG_NS0_5tupleIJPjSI_NS0_16reverse_iteratorISI_EEEEENSH_IJSG_SG_SG_EEES9_SI_JZNS1_25segmented_radix_sort_implINS0_14default_configELb0EPKfPfPKlPlN2at6native12_GLOBAL__N_18offset_tEEE10hipError_tPvRmT1_PNSt15iterator_traitsIS12_E10value_typeET2_T3_PNS13_IS18_E10value_typeET4_jRbjT5_S1E_jjP12ihipStream_tbEUljE_ZNSN_ISO_Lb0ESQ_SR_ST_SU_SY_EESZ_S10_S11_S12_S16_S17_S18_S1B_S1C_jS1D_jS1E_S1E_jjS1G_bEUljE0_EEESZ_S10_S11_S18_S1C_S1E_T6_T7_T9_mT8_S1G_bDpT10_ENKUlT_T0_E_clISt17integral_constantIbLb1EES1T_IbLb0EEEEDaS1P_S1Q_EUlS1P_E_NS1_11comp_targetILNS1_3genE3ELNS1_11target_archE908ELNS1_3gpuE7ELNS1_3repE0EEENS1_30default_config_static_selectorELNS0_4arch9wavefront6targetE0EEEvS12_,@function
_ZN7rocprim17ROCPRIM_400000_NS6detail17trampoline_kernelINS0_13select_configILj256ELj13ELNS0_17block_load_methodE3ELS4_3ELS4_3ELNS0_20block_scan_algorithmE0ELj4294967295EEENS1_25partition_config_selectorILNS1_17partition_subalgoE4EjNS0_10empty_typeEbEEZZNS1_14partition_implILS8_4ELb0ES6_15HIP_vector_typeIjLj2EENS0_17counting_iteratorIjlEEPS9_SG_NS0_5tupleIJPjSI_NS0_16reverse_iteratorISI_EEEEENSH_IJSG_SG_SG_EEES9_SI_JZNS1_25segmented_radix_sort_implINS0_14default_configELb0EPKfPfPKlPlN2at6native12_GLOBAL__N_18offset_tEEE10hipError_tPvRmT1_PNSt15iterator_traitsIS12_E10value_typeET2_T3_PNS13_IS18_E10value_typeET4_jRbjT5_S1E_jjP12ihipStream_tbEUljE_ZNSN_ISO_Lb0ESQ_SR_ST_SU_SY_EESZ_S10_S11_S12_S16_S17_S18_S1B_S1C_jS1D_jS1E_S1E_jjS1G_bEUljE0_EEESZ_S10_S11_S18_S1C_S1E_T6_T7_T9_mT8_S1G_bDpT10_ENKUlT_T0_E_clISt17integral_constantIbLb1EES1T_IbLb0EEEEDaS1P_S1Q_EUlS1P_E_NS1_11comp_targetILNS1_3genE3ELNS1_11target_archE908ELNS1_3gpuE7ELNS1_3repE0EEENS1_30default_config_static_selectorELNS0_4arch9wavefront6targetE0EEEvS12_: ; @_ZN7rocprim17ROCPRIM_400000_NS6detail17trampoline_kernelINS0_13select_configILj256ELj13ELNS0_17block_load_methodE3ELS4_3ELS4_3ELNS0_20block_scan_algorithmE0ELj4294967295EEENS1_25partition_config_selectorILNS1_17partition_subalgoE4EjNS0_10empty_typeEbEEZZNS1_14partition_implILS8_4ELb0ES6_15HIP_vector_typeIjLj2EENS0_17counting_iteratorIjlEEPS9_SG_NS0_5tupleIJPjSI_NS0_16reverse_iteratorISI_EEEEENSH_IJSG_SG_SG_EEES9_SI_JZNS1_25segmented_radix_sort_implINS0_14default_configELb0EPKfPfPKlPlN2at6native12_GLOBAL__N_18offset_tEEE10hipError_tPvRmT1_PNSt15iterator_traitsIS12_E10value_typeET2_T3_PNS13_IS18_E10value_typeET4_jRbjT5_S1E_jjP12ihipStream_tbEUljE_ZNSN_ISO_Lb0ESQ_SR_ST_SU_SY_EESZ_S10_S11_S12_S16_S17_S18_S1B_S1C_jS1D_jS1E_S1E_jjS1G_bEUljE0_EEESZ_S10_S11_S18_S1C_S1E_T6_T7_T9_mT8_S1G_bDpT10_ENKUlT_T0_E_clISt17integral_constantIbLb1EES1T_IbLb0EEEEDaS1P_S1Q_EUlS1P_E_NS1_11comp_targetILNS1_3genE3ELNS1_11target_archE908ELNS1_3gpuE7ELNS1_3repE0EEENS1_30default_config_static_selectorELNS0_4arch9wavefront6targetE0EEEvS12_
; %bb.0:
	.section	.rodata,"a",@progbits
	.p2align	6, 0x0
	.amdhsa_kernel _ZN7rocprim17ROCPRIM_400000_NS6detail17trampoline_kernelINS0_13select_configILj256ELj13ELNS0_17block_load_methodE3ELS4_3ELS4_3ELNS0_20block_scan_algorithmE0ELj4294967295EEENS1_25partition_config_selectorILNS1_17partition_subalgoE4EjNS0_10empty_typeEbEEZZNS1_14partition_implILS8_4ELb0ES6_15HIP_vector_typeIjLj2EENS0_17counting_iteratorIjlEEPS9_SG_NS0_5tupleIJPjSI_NS0_16reverse_iteratorISI_EEEEENSH_IJSG_SG_SG_EEES9_SI_JZNS1_25segmented_radix_sort_implINS0_14default_configELb0EPKfPfPKlPlN2at6native12_GLOBAL__N_18offset_tEEE10hipError_tPvRmT1_PNSt15iterator_traitsIS12_E10value_typeET2_T3_PNS13_IS18_E10value_typeET4_jRbjT5_S1E_jjP12ihipStream_tbEUljE_ZNSN_ISO_Lb0ESQ_SR_ST_SU_SY_EESZ_S10_S11_S12_S16_S17_S18_S1B_S1C_jS1D_jS1E_S1E_jjS1G_bEUljE0_EEESZ_S10_S11_S18_S1C_S1E_T6_T7_T9_mT8_S1G_bDpT10_ENKUlT_T0_E_clISt17integral_constantIbLb1EES1T_IbLb0EEEEDaS1P_S1Q_EUlS1P_E_NS1_11comp_targetILNS1_3genE3ELNS1_11target_archE908ELNS1_3gpuE7ELNS1_3repE0EEENS1_30default_config_static_selectorELNS0_4arch9wavefront6targetE0EEEvS12_
		.amdhsa_group_segment_fixed_size 0
		.amdhsa_private_segment_fixed_size 0
		.amdhsa_kernarg_size 176
		.amdhsa_user_sgpr_count 6
		.amdhsa_user_sgpr_private_segment_buffer 1
		.amdhsa_user_sgpr_dispatch_ptr 0
		.amdhsa_user_sgpr_queue_ptr 0
		.amdhsa_user_sgpr_kernarg_segment_ptr 1
		.amdhsa_user_sgpr_dispatch_id 0
		.amdhsa_user_sgpr_flat_scratch_init 0
		.amdhsa_user_sgpr_private_segment_size 0
		.amdhsa_wavefront_size32 1
		.amdhsa_uses_dynamic_stack 0
		.amdhsa_system_sgpr_private_segment_wavefront_offset 0
		.amdhsa_system_sgpr_workgroup_id_x 1
		.amdhsa_system_sgpr_workgroup_id_y 0
		.amdhsa_system_sgpr_workgroup_id_z 0
		.amdhsa_system_sgpr_workgroup_info 0
		.amdhsa_system_vgpr_workitem_id 0
		.amdhsa_next_free_vgpr 1
		.amdhsa_next_free_sgpr 1
		.amdhsa_reserve_vcc 0
		.amdhsa_reserve_flat_scratch 0
		.amdhsa_float_round_mode_32 0
		.amdhsa_float_round_mode_16_64 0
		.amdhsa_float_denorm_mode_32 3
		.amdhsa_float_denorm_mode_16_64 3
		.amdhsa_dx10_clamp 1
		.amdhsa_ieee_mode 1
		.amdhsa_fp16_overflow 0
		.amdhsa_workgroup_processor_mode 1
		.amdhsa_memory_ordered 1
		.amdhsa_forward_progress 1
		.amdhsa_shared_vgpr_count 0
		.amdhsa_exception_fp_ieee_invalid_op 0
		.amdhsa_exception_fp_denorm_src 0
		.amdhsa_exception_fp_ieee_div_zero 0
		.amdhsa_exception_fp_ieee_overflow 0
		.amdhsa_exception_fp_ieee_underflow 0
		.amdhsa_exception_fp_ieee_inexact 0
		.amdhsa_exception_int_div_zero 0
	.end_amdhsa_kernel
	.section	.text._ZN7rocprim17ROCPRIM_400000_NS6detail17trampoline_kernelINS0_13select_configILj256ELj13ELNS0_17block_load_methodE3ELS4_3ELS4_3ELNS0_20block_scan_algorithmE0ELj4294967295EEENS1_25partition_config_selectorILNS1_17partition_subalgoE4EjNS0_10empty_typeEbEEZZNS1_14partition_implILS8_4ELb0ES6_15HIP_vector_typeIjLj2EENS0_17counting_iteratorIjlEEPS9_SG_NS0_5tupleIJPjSI_NS0_16reverse_iteratorISI_EEEEENSH_IJSG_SG_SG_EEES9_SI_JZNS1_25segmented_radix_sort_implINS0_14default_configELb0EPKfPfPKlPlN2at6native12_GLOBAL__N_18offset_tEEE10hipError_tPvRmT1_PNSt15iterator_traitsIS12_E10value_typeET2_T3_PNS13_IS18_E10value_typeET4_jRbjT5_S1E_jjP12ihipStream_tbEUljE_ZNSN_ISO_Lb0ESQ_SR_ST_SU_SY_EESZ_S10_S11_S12_S16_S17_S18_S1B_S1C_jS1D_jS1E_S1E_jjS1G_bEUljE0_EEESZ_S10_S11_S18_S1C_S1E_T6_T7_T9_mT8_S1G_bDpT10_ENKUlT_T0_E_clISt17integral_constantIbLb1EES1T_IbLb0EEEEDaS1P_S1Q_EUlS1P_E_NS1_11comp_targetILNS1_3genE3ELNS1_11target_archE908ELNS1_3gpuE7ELNS1_3repE0EEENS1_30default_config_static_selectorELNS0_4arch9wavefront6targetE0EEEvS12_,"axG",@progbits,_ZN7rocprim17ROCPRIM_400000_NS6detail17trampoline_kernelINS0_13select_configILj256ELj13ELNS0_17block_load_methodE3ELS4_3ELS4_3ELNS0_20block_scan_algorithmE0ELj4294967295EEENS1_25partition_config_selectorILNS1_17partition_subalgoE4EjNS0_10empty_typeEbEEZZNS1_14partition_implILS8_4ELb0ES6_15HIP_vector_typeIjLj2EENS0_17counting_iteratorIjlEEPS9_SG_NS0_5tupleIJPjSI_NS0_16reverse_iteratorISI_EEEEENSH_IJSG_SG_SG_EEES9_SI_JZNS1_25segmented_radix_sort_implINS0_14default_configELb0EPKfPfPKlPlN2at6native12_GLOBAL__N_18offset_tEEE10hipError_tPvRmT1_PNSt15iterator_traitsIS12_E10value_typeET2_T3_PNS13_IS18_E10value_typeET4_jRbjT5_S1E_jjP12ihipStream_tbEUljE_ZNSN_ISO_Lb0ESQ_SR_ST_SU_SY_EESZ_S10_S11_S12_S16_S17_S18_S1B_S1C_jS1D_jS1E_S1E_jjS1G_bEUljE0_EEESZ_S10_S11_S18_S1C_S1E_T6_T7_T9_mT8_S1G_bDpT10_ENKUlT_T0_E_clISt17integral_constantIbLb1EES1T_IbLb0EEEEDaS1P_S1Q_EUlS1P_E_NS1_11comp_targetILNS1_3genE3ELNS1_11target_archE908ELNS1_3gpuE7ELNS1_3repE0EEENS1_30default_config_static_selectorELNS0_4arch9wavefront6targetE0EEEvS12_,comdat
.Lfunc_end1375:
	.size	_ZN7rocprim17ROCPRIM_400000_NS6detail17trampoline_kernelINS0_13select_configILj256ELj13ELNS0_17block_load_methodE3ELS4_3ELS4_3ELNS0_20block_scan_algorithmE0ELj4294967295EEENS1_25partition_config_selectorILNS1_17partition_subalgoE4EjNS0_10empty_typeEbEEZZNS1_14partition_implILS8_4ELb0ES6_15HIP_vector_typeIjLj2EENS0_17counting_iteratorIjlEEPS9_SG_NS0_5tupleIJPjSI_NS0_16reverse_iteratorISI_EEEEENSH_IJSG_SG_SG_EEES9_SI_JZNS1_25segmented_radix_sort_implINS0_14default_configELb0EPKfPfPKlPlN2at6native12_GLOBAL__N_18offset_tEEE10hipError_tPvRmT1_PNSt15iterator_traitsIS12_E10value_typeET2_T3_PNS13_IS18_E10value_typeET4_jRbjT5_S1E_jjP12ihipStream_tbEUljE_ZNSN_ISO_Lb0ESQ_SR_ST_SU_SY_EESZ_S10_S11_S12_S16_S17_S18_S1B_S1C_jS1D_jS1E_S1E_jjS1G_bEUljE0_EEESZ_S10_S11_S18_S1C_S1E_T6_T7_T9_mT8_S1G_bDpT10_ENKUlT_T0_E_clISt17integral_constantIbLb1EES1T_IbLb0EEEEDaS1P_S1Q_EUlS1P_E_NS1_11comp_targetILNS1_3genE3ELNS1_11target_archE908ELNS1_3gpuE7ELNS1_3repE0EEENS1_30default_config_static_selectorELNS0_4arch9wavefront6targetE0EEEvS12_, .Lfunc_end1375-_ZN7rocprim17ROCPRIM_400000_NS6detail17trampoline_kernelINS0_13select_configILj256ELj13ELNS0_17block_load_methodE3ELS4_3ELS4_3ELNS0_20block_scan_algorithmE0ELj4294967295EEENS1_25partition_config_selectorILNS1_17partition_subalgoE4EjNS0_10empty_typeEbEEZZNS1_14partition_implILS8_4ELb0ES6_15HIP_vector_typeIjLj2EENS0_17counting_iteratorIjlEEPS9_SG_NS0_5tupleIJPjSI_NS0_16reverse_iteratorISI_EEEEENSH_IJSG_SG_SG_EEES9_SI_JZNS1_25segmented_radix_sort_implINS0_14default_configELb0EPKfPfPKlPlN2at6native12_GLOBAL__N_18offset_tEEE10hipError_tPvRmT1_PNSt15iterator_traitsIS12_E10value_typeET2_T3_PNS13_IS18_E10value_typeET4_jRbjT5_S1E_jjP12ihipStream_tbEUljE_ZNSN_ISO_Lb0ESQ_SR_ST_SU_SY_EESZ_S10_S11_S12_S16_S17_S18_S1B_S1C_jS1D_jS1E_S1E_jjS1G_bEUljE0_EEESZ_S10_S11_S18_S1C_S1E_T6_T7_T9_mT8_S1G_bDpT10_ENKUlT_T0_E_clISt17integral_constantIbLb1EES1T_IbLb0EEEEDaS1P_S1Q_EUlS1P_E_NS1_11comp_targetILNS1_3genE3ELNS1_11target_archE908ELNS1_3gpuE7ELNS1_3repE0EEENS1_30default_config_static_selectorELNS0_4arch9wavefront6targetE0EEEvS12_
                                        ; -- End function
	.set _ZN7rocprim17ROCPRIM_400000_NS6detail17trampoline_kernelINS0_13select_configILj256ELj13ELNS0_17block_load_methodE3ELS4_3ELS4_3ELNS0_20block_scan_algorithmE0ELj4294967295EEENS1_25partition_config_selectorILNS1_17partition_subalgoE4EjNS0_10empty_typeEbEEZZNS1_14partition_implILS8_4ELb0ES6_15HIP_vector_typeIjLj2EENS0_17counting_iteratorIjlEEPS9_SG_NS0_5tupleIJPjSI_NS0_16reverse_iteratorISI_EEEEENSH_IJSG_SG_SG_EEES9_SI_JZNS1_25segmented_radix_sort_implINS0_14default_configELb0EPKfPfPKlPlN2at6native12_GLOBAL__N_18offset_tEEE10hipError_tPvRmT1_PNSt15iterator_traitsIS12_E10value_typeET2_T3_PNS13_IS18_E10value_typeET4_jRbjT5_S1E_jjP12ihipStream_tbEUljE_ZNSN_ISO_Lb0ESQ_SR_ST_SU_SY_EESZ_S10_S11_S12_S16_S17_S18_S1B_S1C_jS1D_jS1E_S1E_jjS1G_bEUljE0_EEESZ_S10_S11_S18_S1C_S1E_T6_T7_T9_mT8_S1G_bDpT10_ENKUlT_T0_E_clISt17integral_constantIbLb1EES1T_IbLb0EEEEDaS1P_S1Q_EUlS1P_E_NS1_11comp_targetILNS1_3genE3ELNS1_11target_archE908ELNS1_3gpuE7ELNS1_3repE0EEENS1_30default_config_static_selectorELNS0_4arch9wavefront6targetE0EEEvS12_.num_vgpr, 0
	.set _ZN7rocprim17ROCPRIM_400000_NS6detail17trampoline_kernelINS0_13select_configILj256ELj13ELNS0_17block_load_methodE3ELS4_3ELS4_3ELNS0_20block_scan_algorithmE0ELj4294967295EEENS1_25partition_config_selectorILNS1_17partition_subalgoE4EjNS0_10empty_typeEbEEZZNS1_14partition_implILS8_4ELb0ES6_15HIP_vector_typeIjLj2EENS0_17counting_iteratorIjlEEPS9_SG_NS0_5tupleIJPjSI_NS0_16reverse_iteratorISI_EEEEENSH_IJSG_SG_SG_EEES9_SI_JZNS1_25segmented_radix_sort_implINS0_14default_configELb0EPKfPfPKlPlN2at6native12_GLOBAL__N_18offset_tEEE10hipError_tPvRmT1_PNSt15iterator_traitsIS12_E10value_typeET2_T3_PNS13_IS18_E10value_typeET4_jRbjT5_S1E_jjP12ihipStream_tbEUljE_ZNSN_ISO_Lb0ESQ_SR_ST_SU_SY_EESZ_S10_S11_S12_S16_S17_S18_S1B_S1C_jS1D_jS1E_S1E_jjS1G_bEUljE0_EEESZ_S10_S11_S18_S1C_S1E_T6_T7_T9_mT8_S1G_bDpT10_ENKUlT_T0_E_clISt17integral_constantIbLb1EES1T_IbLb0EEEEDaS1P_S1Q_EUlS1P_E_NS1_11comp_targetILNS1_3genE3ELNS1_11target_archE908ELNS1_3gpuE7ELNS1_3repE0EEENS1_30default_config_static_selectorELNS0_4arch9wavefront6targetE0EEEvS12_.num_agpr, 0
	.set _ZN7rocprim17ROCPRIM_400000_NS6detail17trampoline_kernelINS0_13select_configILj256ELj13ELNS0_17block_load_methodE3ELS4_3ELS4_3ELNS0_20block_scan_algorithmE0ELj4294967295EEENS1_25partition_config_selectorILNS1_17partition_subalgoE4EjNS0_10empty_typeEbEEZZNS1_14partition_implILS8_4ELb0ES6_15HIP_vector_typeIjLj2EENS0_17counting_iteratorIjlEEPS9_SG_NS0_5tupleIJPjSI_NS0_16reverse_iteratorISI_EEEEENSH_IJSG_SG_SG_EEES9_SI_JZNS1_25segmented_radix_sort_implINS0_14default_configELb0EPKfPfPKlPlN2at6native12_GLOBAL__N_18offset_tEEE10hipError_tPvRmT1_PNSt15iterator_traitsIS12_E10value_typeET2_T3_PNS13_IS18_E10value_typeET4_jRbjT5_S1E_jjP12ihipStream_tbEUljE_ZNSN_ISO_Lb0ESQ_SR_ST_SU_SY_EESZ_S10_S11_S12_S16_S17_S18_S1B_S1C_jS1D_jS1E_S1E_jjS1G_bEUljE0_EEESZ_S10_S11_S18_S1C_S1E_T6_T7_T9_mT8_S1G_bDpT10_ENKUlT_T0_E_clISt17integral_constantIbLb1EES1T_IbLb0EEEEDaS1P_S1Q_EUlS1P_E_NS1_11comp_targetILNS1_3genE3ELNS1_11target_archE908ELNS1_3gpuE7ELNS1_3repE0EEENS1_30default_config_static_selectorELNS0_4arch9wavefront6targetE0EEEvS12_.numbered_sgpr, 0
	.set _ZN7rocprim17ROCPRIM_400000_NS6detail17trampoline_kernelINS0_13select_configILj256ELj13ELNS0_17block_load_methodE3ELS4_3ELS4_3ELNS0_20block_scan_algorithmE0ELj4294967295EEENS1_25partition_config_selectorILNS1_17partition_subalgoE4EjNS0_10empty_typeEbEEZZNS1_14partition_implILS8_4ELb0ES6_15HIP_vector_typeIjLj2EENS0_17counting_iteratorIjlEEPS9_SG_NS0_5tupleIJPjSI_NS0_16reverse_iteratorISI_EEEEENSH_IJSG_SG_SG_EEES9_SI_JZNS1_25segmented_radix_sort_implINS0_14default_configELb0EPKfPfPKlPlN2at6native12_GLOBAL__N_18offset_tEEE10hipError_tPvRmT1_PNSt15iterator_traitsIS12_E10value_typeET2_T3_PNS13_IS18_E10value_typeET4_jRbjT5_S1E_jjP12ihipStream_tbEUljE_ZNSN_ISO_Lb0ESQ_SR_ST_SU_SY_EESZ_S10_S11_S12_S16_S17_S18_S1B_S1C_jS1D_jS1E_S1E_jjS1G_bEUljE0_EEESZ_S10_S11_S18_S1C_S1E_T6_T7_T9_mT8_S1G_bDpT10_ENKUlT_T0_E_clISt17integral_constantIbLb1EES1T_IbLb0EEEEDaS1P_S1Q_EUlS1P_E_NS1_11comp_targetILNS1_3genE3ELNS1_11target_archE908ELNS1_3gpuE7ELNS1_3repE0EEENS1_30default_config_static_selectorELNS0_4arch9wavefront6targetE0EEEvS12_.num_named_barrier, 0
	.set _ZN7rocprim17ROCPRIM_400000_NS6detail17trampoline_kernelINS0_13select_configILj256ELj13ELNS0_17block_load_methodE3ELS4_3ELS4_3ELNS0_20block_scan_algorithmE0ELj4294967295EEENS1_25partition_config_selectorILNS1_17partition_subalgoE4EjNS0_10empty_typeEbEEZZNS1_14partition_implILS8_4ELb0ES6_15HIP_vector_typeIjLj2EENS0_17counting_iteratorIjlEEPS9_SG_NS0_5tupleIJPjSI_NS0_16reverse_iteratorISI_EEEEENSH_IJSG_SG_SG_EEES9_SI_JZNS1_25segmented_radix_sort_implINS0_14default_configELb0EPKfPfPKlPlN2at6native12_GLOBAL__N_18offset_tEEE10hipError_tPvRmT1_PNSt15iterator_traitsIS12_E10value_typeET2_T3_PNS13_IS18_E10value_typeET4_jRbjT5_S1E_jjP12ihipStream_tbEUljE_ZNSN_ISO_Lb0ESQ_SR_ST_SU_SY_EESZ_S10_S11_S12_S16_S17_S18_S1B_S1C_jS1D_jS1E_S1E_jjS1G_bEUljE0_EEESZ_S10_S11_S18_S1C_S1E_T6_T7_T9_mT8_S1G_bDpT10_ENKUlT_T0_E_clISt17integral_constantIbLb1EES1T_IbLb0EEEEDaS1P_S1Q_EUlS1P_E_NS1_11comp_targetILNS1_3genE3ELNS1_11target_archE908ELNS1_3gpuE7ELNS1_3repE0EEENS1_30default_config_static_selectorELNS0_4arch9wavefront6targetE0EEEvS12_.private_seg_size, 0
	.set _ZN7rocprim17ROCPRIM_400000_NS6detail17trampoline_kernelINS0_13select_configILj256ELj13ELNS0_17block_load_methodE3ELS4_3ELS4_3ELNS0_20block_scan_algorithmE0ELj4294967295EEENS1_25partition_config_selectorILNS1_17partition_subalgoE4EjNS0_10empty_typeEbEEZZNS1_14partition_implILS8_4ELb0ES6_15HIP_vector_typeIjLj2EENS0_17counting_iteratorIjlEEPS9_SG_NS0_5tupleIJPjSI_NS0_16reverse_iteratorISI_EEEEENSH_IJSG_SG_SG_EEES9_SI_JZNS1_25segmented_radix_sort_implINS0_14default_configELb0EPKfPfPKlPlN2at6native12_GLOBAL__N_18offset_tEEE10hipError_tPvRmT1_PNSt15iterator_traitsIS12_E10value_typeET2_T3_PNS13_IS18_E10value_typeET4_jRbjT5_S1E_jjP12ihipStream_tbEUljE_ZNSN_ISO_Lb0ESQ_SR_ST_SU_SY_EESZ_S10_S11_S12_S16_S17_S18_S1B_S1C_jS1D_jS1E_S1E_jjS1G_bEUljE0_EEESZ_S10_S11_S18_S1C_S1E_T6_T7_T9_mT8_S1G_bDpT10_ENKUlT_T0_E_clISt17integral_constantIbLb1EES1T_IbLb0EEEEDaS1P_S1Q_EUlS1P_E_NS1_11comp_targetILNS1_3genE3ELNS1_11target_archE908ELNS1_3gpuE7ELNS1_3repE0EEENS1_30default_config_static_selectorELNS0_4arch9wavefront6targetE0EEEvS12_.uses_vcc, 0
	.set _ZN7rocprim17ROCPRIM_400000_NS6detail17trampoline_kernelINS0_13select_configILj256ELj13ELNS0_17block_load_methodE3ELS4_3ELS4_3ELNS0_20block_scan_algorithmE0ELj4294967295EEENS1_25partition_config_selectorILNS1_17partition_subalgoE4EjNS0_10empty_typeEbEEZZNS1_14partition_implILS8_4ELb0ES6_15HIP_vector_typeIjLj2EENS0_17counting_iteratorIjlEEPS9_SG_NS0_5tupleIJPjSI_NS0_16reverse_iteratorISI_EEEEENSH_IJSG_SG_SG_EEES9_SI_JZNS1_25segmented_radix_sort_implINS0_14default_configELb0EPKfPfPKlPlN2at6native12_GLOBAL__N_18offset_tEEE10hipError_tPvRmT1_PNSt15iterator_traitsIS12_E10value_typeET2_T3_PNS13_IS18_E10value_typeET4_jRbjT5_S1E_jjP12ihipStream_tbEUljE_ZNSN_ISO_Lb0ESQ_SR_ST_SU_SY_EESZ_S10_S11_S12_S16_S17_S18_S1B_S1C_jS1D_jS1E_S1E_jjS1G_bEUljE0_EEESZ_S10_S11_S18_S1C_S1E_T6_T7_T9_mT8_S1G_bDpT10_ENKUlT_T0_E_clISt17integral_constantIbLb1EES1T_IbLb0EEEEDaS1P_S1Q_EUlS1P_E_NS1_11comp_targetILNS1_3genE3ELNS1_11target_archE908ELNS1_3gpuE7ELNS1_3repE0EEENS1_30default_config_static_selectorELNS0_4arch9wavefront6targetE0EEEvS12_.uses_flat_scratch, 0
	.set _ZN7rocprim17ROCPRIM_400000_NS6detail17trampoline_kernelINS0_13select_configILj256ELj13ELNS0_17block_load_methodE3ELS4_3ELS4_3ELNS0_20block_scan_algorithmE0ELj4294967295EEENS1_25partition_config_selectorILNS1_17partition_subalgoE4EjNS0_10empty_typeEbEEZZNS1_14partition_implILS8_4ELb0ES6_15HIP_vector_typeIjLj2EENS0_17counting_iteratorIjlEEPS9_SG_NS0_5tupleIJPjSI_NS0_16reverse_iteratorISI_EEEEENSH_IJSG_SG_SG_EEES9_SI_JZNS1_25segmented_radix_sort_implINS0_14default_configELb0EPKfPfPKlPlN2at6native12_GLOBAL__N_18offset_tEEE10hipError_tPvRmT1_PNSt15iterator_traitsIS12_E10value_typeET2_T3_PNS13_IS18_E10value_typeET4_jRbjT5_S1E_jjP12ihipStream_tbEUljE_ZNSN_ISO_Lb0ESQ_SR_ST_SU_SY_EESZ_S10_S11_S12_S16_S17_S18_S1B_S1C_jS1D_jS1E_S1E_jjS1G_bEUljE0_EEESZ_S10_S11_S18_S1C_S1E_T6_T7_T9_mT8_S1G_bDpT10_ENKUlT_T0_E_clISt17integral_constantIbLb1EES1T_IbLb0EEEEDaS1P_S1Q_EUlS1P_E_NS1_11comp_targetILNS1_3genE3ELNS1_11target_archE908ELNS1_3gpuE7ELNS1_3repE0EEENS1_30default_config_static_selectorELNS0_4arch9wavefront6targetE0EEEvS12_.has_dyn_sized_stack, 0
	.set _ZN7rocprim17ROCPRIM_400000_NS6detail17trampoline_kernelINS0_13select_configILj256ELj13ELNS0_17block_load_methodE3ELS4_3ELS4_3ELNS0_20block_scan_algorithmE0ELj4294967295EEENS1_25partition_config_selectorILNS1_17partition_subalgoE4EjNS0_10empty_typeEbEEZZNS1_14partition_implILS8_4ELb0ES6_15HIP_vector_typeIjLj2EENS0_17counting_iteratorIjlEEPS9_SG_NS0_5tupleIJPjSI_NS0_16reverse_iteratorISI_EEEEENSH_IJSG_SG_SG_EEES9_SI_JZNS1_25segmented_radix_sort_implINS0_14default_configELb0EPKfPfPKlPlN2at6native12_GLOBAL__N_18offset_tEEE10hipError_tPvRmT1_PNSt15iterator_traitsIS12_E10value_typeET2_T3_PNS13_IS18_E10value_typeET4_jRbjT5_S1E_jjP12ihipStream_tbEUljE_ZNSN_ISO_Lb0ESQ_SR_ST_SU_SY_EESZ_S10_S11_S12_S16_S17_S18_S1B_S1C_jS1D_jS1E_S1E_jjS1G_bEUljE0_EEESZ_S10_S11_S18_S1C_S1E_T6_T7_T9_mT8_S1G_bDpT10_ENKUlT_T0_E_clISt17integral_constantIbLb1EES1T_IbLb0EEEEDaS1P_S1Q_EUlS1P_E_NS1_11comp_targetILNS1_3genE3ELNS1_11target_archE908ELNS1_3gpuE7ELNS1_3repE0EEENS1_30default_config_static_selectorELNS0_4arch9wavefront6targetE0EEEvS12_.has_recursion, 0
	.set _ZN7rocprim17ROCPRIM_400000_NS6detail17trampoline_kernelINS0_13select_configILj256ELj13ELNS0_17block_load_methodE3ELS4_3ELS4_3ELNS0_20block_scan_algorithmE0ELj4294967295EEENS1_25partition_config_selectorILNS1_17partition_subalgoE4EjNS0_10empty_typeEbEEZZNS1_14partition_implILS8_4ELb0ES6_15HIP_vector_typeIjLj2EENS0_17counting_iteratorIjlEEPS9_SG_NS0_5tupleIJPjSI_NS0_16reverse_iteratorISI_EEEEENSH_IJSG_SG_SG_EEES9_SI_JZNS1_25segmented_radix_sort_implINS0_14default_configELb0EPKfPfPKlPlN2at6native12_GLOBAL__N_18offset_tEEE10hipError_tPvRmT1_PNSt15iterator_traitsIS12_E10value_typeET2_T3_PNS13_IS18_E10value_typeET4_jRbjT5_S1E_jjP12ihipStream_tbEUljE_ZNSN_ISO_Lb0ESQ_SR_ST_SU_SY_EESZ_S10_S11_S12_S16_S17_S18_S1B_S1C_jS1D_jS1E_S1E_jjS1G_bEUljE0_EEESZ_S10_S11_S18_S1C_S1E_T6_T7_T9_mT8_S1G_bDpT10_ENKUlT_T0_E_clISt17integral_constantIbLb1EES1T_IbLb0EEEEDaS1P_S1Q_EUlS1P_E_NS1_11comp_targetILNS1_3genE3ELNS1_11target_archE908ELNS1_3gpuE7ELNS1_3repE0EEENS1_30default_config_static_selectorELNS0_4arch9wavefront6targetE0EEEvS12_.has_indirect_call, 0
	.section	.AMDGPU.csdata,"",@progbits
; Kernel info:
; codeLenInByte = 0
; TotalNumSgprs: 0
; NumVgprs: 0
; ScratchSize: 0
; MemoryBound: 0
; FloatMode: 240
; IeeeMode: 1
; LDSByteSize: 0 bytes/workgroup (compile time only)
; SGPRBlocks: 0
; VGPRBlocks: 0
; NumSGPRsForWavesPerEU: 1
; NumVGPRsForWavesPerEU: 1
; Occupancy: 16
; WaveLimiterHint : 0
; COMPUTE_PGM_RSRC2:SCRATCH_EN: 0
; COMPUTE_PGM_RSRC2:USER_SGPR: 6
; COMPUTE_PGM_RSRC2:TRAP_HANDLER: 0
; COMPUTE_PGM_RSRC2:TGID_X_EN: 1
; COMPUTE_PGM_RSRC2:TGID_Y_EN: 0
; COMPUTE_PGM_RSRC2:TGID_Z_EN: 0
; COMPUTE_PGM_RSRC2:TIDIG_COMP_CNT: 0
	.section	.text._ZN7rocprim17ROCPRIM_400000_NS6detail17trampoline_kernelINS0_13select_configILj256ELj13ELNS0_17block_load_methodE3ELS4_3ELS4_3ELNS0_20block_scan_algorithmE0ELj4294967295EEENS1_25partition_config_selectorILNS1_17partition_subalgoE4EjNS0_10empty_typeEbEEZZNS1_14partition_implILS8_4ELb0ES6_15HIP_vector_typeIjLj2EENS0_17counting_iteratorIjlEEPS9_SG_NS0_5tupleIJPjSI_NS0_16reverse_iteratorISI_EEEEENSH_IJSG_SG_SG_EEES9_SI_JZNS1_25segmented_radix_sort_implINS0_14default_configELb0EPKfPfPKlPlN2at6native12_GLOBAL__N_18offset_tEEE10hipError_tPvRmT1_PNSt15iterator_traitsIS12_E10value_typeET2_T3_PNS13_IS18_E10value_typeET4_jRbjT5_S1E_jjP12ihipStream_tbEUljE_ZNSN_ISO_Lb0ESQ_SR_ST_SU_SY_EESZ_S10_S11_S12_S16_S17_S18_S1B_S1C_jS1D_jS1E_S1E_jjS1G_bEUljE0_EEESZ_S10_S11_S18_S1C_S1E_T6_T7_T9_mT8_S1G_bDpT10_ENKUlT_T0_E_clISt17integral_constantIbLb1EES1T_IbLb0EEEEDaS1P_S1Q_EUlS1P_E_NS1_11comp_targetILNS1_3genE2ELNS1_11target_archE906ELNS1_3gpuE6ELNS1_3repE0EEENS1_30default_config_static_selectorELNS0_4arch9wavefront6targetE0EEEvS12_,"axG",@progbits,_ZN7rocprim17ROCPRIM_400000_NS6detail17trampoline_kernelINS0_13select_configILj256ELj13ELNS0_17block_load_methodE3ELS4_3ELS4_3ELNS0_20block_scan_algorithmE0ELj4294967295EEENS1_25partition_config_selectorILNS1_17partition_subalgoE4EjNS0_10empty_typeEbEEZZNS1_14partition_implILS8_4ELb0ES6_15HIP_vector_typeIjLj2EENS0_17counting_iteratorIjlEEPS9_SG_NS0_5tupleIJPjSI_NS0_16reverse_iteratorISI_EEEEENSH_IJSG_SG_SG_EEES9_SI_JZNS1_25segmented_radix_sort_implINS0_14default_configELb0EPKfPfPKlPlN2at6native12_GLOBAL__N_18offset_tEEE10hipError_tPvRmT1_PNSt15iterator_traitsIS12_E10value_typeET2_T3_PNS13_IS18_E10value_typeET4_jRbjT5_S1E_jjP12ihipStream_tbEUljE_ZNSN_ISO_Lb0ESQ_SR_ST_SU_SY_EESZ_S10_S11_S12_S16_S17_S18_S1B_S1C_jS1D_jS1E_S1E_jjS1G_bEUljE0_EEESZ_S10_S11_S18_S1C_S1E_T6_T7_T9_mT8_S1G_bDpT10_ENKUlT_T0_E_clISt17integral_constantIbLb1EES1T_IbLb0EEEEDaS1P_S1Q_EUlS1P_E_NS1_11comp_targetILNS1_3genE2ELNS1_11target_archE906ELNS1_3gpuE6ELNS1_3repE0EEENS1_30default_config_static_selectorELNS0_4arch9wavefront6targetE0EEEvS12_,comdat
	.globl	_ZN7rocprim17ROCPRIM_400000_NS6detail17trampoline_kernelINS0_13select_configILj256ELj13ELNS0_17block_load_methodE3ELS4_3ELS4_3ELNS0_20block_scan_algorithmE0ELj4294967295EEENS1_25partition_config_selectorILNS1_17partition_subalgoE4EjNS0_10empty_typeEbEEZZNS1_14partition_implILS8_4ELb0ES6_15HIP_vector_typeIjLj2EENS0_17counting_iteratorIjlEEPS9_SG_NS0_5tupleIJPjSI_NS0_16reverse_iteratorISI_EEEEENSH_IJSG_SG_SG_EEES9_SI_JZNS1_25segmented_radix_sort_implINS0_14default_configELb0EPKfPfPKlPlN2at6native12_GLOBAL__N_18offset_tEEE10hipError_tPvRmT1_PNSt15iterator_traitsIS12_E10value_typeET2_T3_PNS13_IS18_E10value_typeET4_jRbjT5_S1E_jjP12ihipStream_tbEUljE_ZNSN_ISO_Lb0ESQ_SR_ST_SU_SY_EESZ_S10_S11_S12_S16_S17_S18_S1B_S1C_jS1D_jS1E_S1E_jjS1G_bEUljE0_EEESZ_S10_S11_S18_S1C_S1E_T6_T7_T9_mT8_S1G_bDpT10_ENKUlT_T0_E_clISt17integral_constantIbLb1EES1T_IbLb0EEEEDaS1P_S1Q_EUlS1P_E_NS1_11comp_targetILNS1_3genE2ELNS1_11target_archE906ELNS1_3gpuE6ELNS1_3repE0EEENS1_30default_config_static_selectorELNS0_4arch9wavefront6targetE0EEEvS12_ ; -- Begin function _ZN7rocprim17ROCPRIM_400000_NS6detail17trampoline_kernelINS0_13select_configILj256ELj13ELNS0_17block_load_methodE3ELS4_3ELS4_3ELNS0_20block_scan_algorithmE0ELj4294967295EEENS1_25partition_config_selectorILNS1_17partition_subalgoE4EjNS0_10empty_typeEbEEZZNS1_14partition_implILS8_4ELb0ES6_15HIP_vector_typeIjLj2EENS0_17counting_iteratorIjlEEPS9_SG_NS0_5tupleIJPjSI_NS0_16reverse_iteratorISI_EEEEENSH_IJSG_SG_SG_EEES9_SI_JZNS1_25segmented_radix_sort_implINS0_14default_configELb0EPKfPfPKlPlN2at6native12_GLOBAL__N_18offset_tEEE10hipError_tPvRmT1_PNSt15iterator_traitsIS12_E10value_typeET2_T3_PNS13_IS18_E10value_typeET4_jRbjT5_S1E_jjP12ihipStream_tbEUljE_ZNSN_ISO_Lb0ESQ_SR_ST_SU_SY_EESZ_S10_S11_S12_S16_S17_S18_S1B_S1C_jS1D_jS1E_S1E_jjS1G_bEUljE0_EEESZ_S10_S11_S18_S1C_S1E_T6_T7_T9_mT8_S1G_bDpT10_ENKUlT_T0_E_clISt17integral_constantIbLb1EES1T_IbLb0EEEEDaS1P_S1Q_EUlS1P_E_NS1_11comp_targetILNS1_3genE2ELNS1_11target_archE906ELNS1_3gpuE6ELNS1_3repE0EEENS1_30default_config_static_selectorELNS0_4arch9wavefront6targetE0EEEvS12_
	.p2align	8
	.type	_ZN7rocprim17ROCPRIM_400000_NS6detail17trampoline_kernelINS0_13select_configILj256ELj13ELNS0_17block_load_methodE3ELS4_3ELS4_3ELNS0_20block_scan_algorithmE0ELj4294967295EEENS1_25partition_config_selectorILNS1_17partition_subalgoE4EjNS0_10empty_typeEbEEZZNS1_14partition_implILS8_4ELb0ES6_15HIP_vector_typeIjLj2EENS0_17counting_iteratorIjlEEPS9_SG_NS0_5tupleIJPjSI_NS0_16reverse_iteratorISI_EEEEENSH_IJSG_SG_SG_EEES9_SI_JZNS1_25segmented_radix_sort_implINS0_14default_configELb0EPKfPfPKlPlN2at6native12_GLOBAL__N_18offset_tEEE10hipError_tPvRmT1_PNSt15iterator_traitsIS12_E10value_typeET2_T3_PNS13_IS18_E10value_typeET4_jRbjT5_S1E_jjP12ihipStream_tbEUljE_ZNSN_ISO_Lb0ESQ_SR_ST_SU_SY_EESZ_S10_S11_S12_S16_S17_S18_S1B_S1C_jS1D_jS1E_S1E_jjS1G_bEUljE0_EEESZ_S10_S11_S18_S1C_S1E_T6_T7_T9_mT8_S1G_bDpT10_ENKUlT_T0_E_clISt17integral_constantIbLb1EES1T_IbLb0EEEEDaS1P_S1Q_EUlS1P_E_NS1_11comp_targetILNS1_3genE2ELNS1_11target_archE906ELNS1_3gpuE6ELNS1_3repE0EEENS1_30default_config_static_selectorELNS0_4arch9wavefront6targetE0EEEvS12_,@function
_ZN7rocprim17ROCPRIM_400000_NS6detail17trampoline_kernelINS0_13select_configILj256ELj13ELNS0_17block_load_methodE3ELS4_3ELS4_3ELNS0_20block_scan_algorithmE0ELj4294967295EEENS1_25partition_config_selectorILNS1_17partition_subalgoE4EjNS0_10empty_typeEbEEZZNS1_14partition_implILS8_4ELb0ES6_15HIP_vector_typeIjLj2EENS0_17counting_iteratorIjlEEPS9_SG_NS0_5tupleIJPjSI_NS0_16reverse_iteratorISI_EEEEENSH_IJSG_SG_SG_EEES9_SI_JZNS1_25segmented_radix_sort_implINS0_14default_configELb0EPKfPfPKlPlN2at6native12_GLOBAL__N_18offset_tEEE10hipError_tPvRmT1_PNSt15iterator_traitsIS12_E10value_typeET2_T3_PNS13_IS18_E10value_typeET4_jRbjT5_S1E_jjP12ihipStream_tbEUljE_ZNSN_ISO_Lb0ESQ_SR_ST_SU_SY_EESZ_S10_S11_S12_S16_S17_S18_S1B_S1C_jS1D_jS1E_S1E_jjS1G_bEUljE0_EEESZ_S10_S11_S18_S1C_S1E_T6_T7_T9_mT8_S1G_bDpT10_ENKUlT_T0_E_clISt17integral_constantIbLb1EES1T_IbLb0EEEEDaS1P_S1Q_EUlS1P_E_NS1_11comp_targetILNS1_3genE2ELNS1_11target_archE906ELNS1_3gpuE6ELNS1_3repE0EEENS1_30default_config_static_selectorELNS0_4arch9wavefront6targetE0EEEvS12_: ; @_ZN7rocprim17ROCPRIM_400000_NS6detail17trampoline_kernelINS0_13select_configILj256ELj13ELNS0_17block_load_methodE3ELS4_3ELS4_3ELNS0_20block_scan_algorithmE0ELj4294967295EEENS1_25partition_config_selectorILNS1_17partition_subalgoE4EjNS0_10empty_typeEbEEZZNS1_14partition_implILS8_4ELb0ES6_15HIP_vector_typeIjLj2EENS0_17counting_iteratorIjlEEPS9_SG_NS0_5tupleIJPjSI_NS0_16reverse_iteratorISI_EEEEENSH_IJSG_SG_SG_EEES9_SI_JZNS1_25segmented_radix_sort_implINS0_14default_configELb0EPKfPfPKlPlN2at6native12_GLOBAL__N_18offset_tEEE10hipError_tPvRmT1_PNSt15iterator_traitsIS12_E10value_typeET2_T3_PNS13_IS18_E10value_typeET4_jRbjT5_S1E_jjP12ihipStream_tbEUljE_ZNSN_ISO_Lb0ESQ_SR_ST_SU_SY_EESZ_S10_S11_S12_S16_S17_S18_S1B_S1C_jS1D_jS1E_S1E_jjS1G_bEUljE0_EEESZ_S10_S11_S18_S1C_S1E_T6_T7_T9_mT8_S1G_bDpT10_ENKUlT_T0_E_clISt17integral_constantIbLb1EES1T_IbLb0EEEEDaS1P_S1Q_EUlS1P_E_NS1_11comp_targetILNS1_3genE2ELNS1_11target_archE906ELNS1_3gpuE6ELNS1_3repE0EEENS1_30default_config_static_selectorELNS0_4arch9wavefront6targetE0EEEvS12_
; %bb.0:
	.section	.rodata,"a",@progbits
	.p2align	6, 0x0
	.amdhsa_kernel _ZN7rocprim17ROCPRIM_400000_NS6detail17trampoline_kernelINS0_13select_configILj256ELj13ELNS0_17block_load_methodE3ELS4_3ELS4_3ELNS0_20block_scan_algorithmE0ELj4294967295EEENS1_25partition_config_selectorILNS1_17partition_subalgoE4EjNS0_10empty_typeEbEEZZNS1_14partition_implILS8_4ELb0ES6_15HIP_vector_typeIjLj2EENS0_17counting_iteratorIjlEEPS9_SG_NS0_5tupleIJPjSI_NS0_16reverse_iteratorISI_EEEEENSH_IJSG_SG_SG_EEES9_SI_JZNS1_25segmented_radix_sort_implINS0_14default_configELb0EPKfPfPKlPlN2at6native12_GLOBAL__N_18offset_tEEE10hipError_tPvRmT1_PNSt15iterator_traitsIS12_E10value_typeET2_T3_PNS13_IS18_E10value_typeET4_jRbjT5_S1E_jjP12ihipStream_tbEUljE_ZNSN_ISO_Lb0ESQ_SR_ST_SU_SY_EESZ_S10_S11_S12_S16_S17_S18_S1B_S1C_jS1D_jS1E_S1E_jjS1G_bEUljE0_EEESZ_S10_S11_S18_S1C_S1E_T6_T7_T9_mT8_S1G_bDpT10_ENKUlT_T0_E_clISt17integral_constantIbLb1EES1T_IbLb0EEEEDaS1P_S1Q_EUlS1P_E_NS1_11comp_targetILNS1_3genE2ELNS1_11target_archE906ELNS1_3gpuE6ELNS1_3repE0EEENS1_30default_config_static_selectorELNS0_4arch9wavefront6targetE0EEEvS12_
		.amdhsa_group_segment_fixed_size 0
		.amdhsa_private_segment_fixed_size 0
		.amdhsa_kernarg_size 176
		.amdhsa_user_sgpr_count 6
		.amdhsa_user_sgpr_private_segment_buffer 1
		.amdhsa_user_sgpr_dispatch_ptr 0
		.amdhsa_user_sgpr_queue_ptr 0
		.amdhsa_user_sgpr_kernarg_segment_ptr 1
		.amdhsa_user_sgpr_dispatch_id 0
		.amdhsa_user_sgpr_flat_scratch_init 0
		.amdhsa_user_sgpr_private_segment_size 0
		.amdhsa_wavefront_size32 1
		.amdhsa_uses_dynamic_stack 0
		.amdhsa_system_sgpr_private_segment_wavefront_offset 0
		.amdhsa_system_sgpr_workgroup_id_x 1
		.amdhsa_system_sgpr_workgroup_id_y 0
		.amdhsa_system_sgpr_workgroup_id_z 0
		.amdhsa_system_sgpr_workgroup_info 0
		.amdhsa_system_vgpr_workitem_id 0
		.amdhsa_next_free_vgpr 1
		.amdhsa_next_free_sgpr 1
		.amdhsa_reserve_vcc 0
		.amdhsa_reserve_flat_scratch 0
		.amdhsa_float_round_mode_32 0
		.amdhsa_float_round_mode_16_64 0
		.amdhsa_float_denorm_mode_32 3
		.amdhsa_float_denorm_mode_16_64 3
		.amdhsa_dx10_clamp 1
		.amdhsa_ieee_mode 1
		.amdhsa_fp16_overflow 0
		.amdhsa_workgroup_processor_mode 1
		.amdhsa_memory_ordered 1
		.amdhsa_forward_progress 1
		.amdhsa_shared_vgpr_count 0
		.amdhsa_exception_fp_ieee_invalid_op 0
		.amdhsa_exception_fp_denorm_src 0
		.amdhsa_exception_fp_ieee_div_zero 0
		.amdhsa_exception_fp_ieee_overflow 0
		.amdhsa_exception_fp_ieee_underflow 0
		.amdhsa_exception_fp_ieee_inexact 0
		.amdhsa_exception_int_div_zero 0
	.end_amdhsa_kernel
	.section	.text._ZN7rocprim17ROCPRIM_400000_NS6detail17trampoline_kernelINS0_13select_configILj256ELj13ELNS0_17block_load_methodE3ELS4_3ELS4_3ELNS0_20block_scan_algorithmE0ELj4294967295EEENS1_25partition_config_selectorILNS1_17partition_subalgoE4EjNS0_10empty_typeEbEEZZNS1_14partition_implILS8_4ELb0ES6_15HIP_vector_typeIjLj2EENS0_17counting_iteratorIjlEEPS9_SG_NS0_5tupleIJPjSI_NS0_16reverse_iteratorISI_EEEEENSH_IJSG_SG_SG_EEES9_SI_JZNS1_25segmented_radix_sort_implINS0_14default_configELb0EPKfPfPKlPlN2at6native12_GLOBAL__N_18offset_tEEE10hipError_tPvRmT1_PNSt15iterator_traitsIS12_E10value_typeET2_T3_PNS13_IS18_E10value_typeET4_jRbjT5_S1E_jjP12ihipStream_tbEUljE_ZNSN_ISO_Lb0ESQ_SR_ST_SU_SY_EESZ_S10_S11_S12_S16_S17_S18_S1B_S1C_jS1D_jS1E_S1E_jjS1G_bEUljE0_EEESZ_S10_S11_S18_S1C_S1E_T6_T7_T9_mT8_S1G_bDpT10_ENKUlT_T0_E_clISt17integral_constantIbLb1EES1T_IbLb0EEEEDaS1P_S1Q_EUlS1P_E_NS1_11comp_targetILNS1_3genE2ELNS1_11target_archE906ELNS1_3gpuE6ELNS1_3repE0EEENS1_30default_config_static_selectorELNS0_4arch9wavefront6targetE0EEEvS12_,"axG",@progbits,_ZN7rocprim17ROCPRIM_400000_NS6detail17trampoline_kernelINS0_13select_configILj256ELj13ELNS0_17block_load_methodE3ELS4_3ELS4_3ELNS0_20block_scan_algorithmE0ELj4294967295EEENS1_25partition_config_selectorILNS1_17partition_subalgoE4EjNS0_10empty_typeEbEEZZNS1_14partition_implILS8_4ELb0ES6_15HIP_vector_typeIjLj2EENS0_17counting_iteratorIjlEEPS9_SG_NS0_5tupleIJPjSI_NS0_16reverse_iteratorISI_EEEEENSH_IJSG_SG_SG_EEES9_SI_JZNS1_25segmented_radix_sort_implINS0_14default_configELb0EPKfPfPKlPlN2at6native12_GLOBAL__N_18offset_tEEE10hipError_tPvRmT1_PNSt15iterator_traitsIS12_E10value_typeET2_T3_PNS13_IS18_E10value_typeET4_jRbjT5_S1E_jjP12ihipStream_tbEUljE_ZNSN_ISO_Lb0ESQ_SR_ST_SU_SY_EESZ_S10_S11_S12_S16_S17_S18_S1B_S1C_jS1D_jS1E_S1E_jjS1G_bEUljE0_EEESZ_S10_S11_S18_S1C_S1E_T6_T7_T9_mT8_S1G_bDpT10_ENKUlT_T0_E_clISt17integral_constantIbLb1EES1T_IbLb0EEEEDaS1P_S1Q_EUlS1P_E_NS1_11comp_targetILNS1_3genE2ELNS1_11target_archE906ELNS1_3gpuE6ELNS1_3repE0EEENS1_30default_config_static_selectorELNS0_4arch9wavefront6targetE0EEEvS12_,comdat
.Lfunc_end1376:
	.size	_ZN7rocprim17ROCPRIM_400000_NS6detail17trampoline_kernelINS0_13select_configILj256ELj13ELNS0_17block_load_methodE3ELS4_3ELS4_3ELNS0_20block_scan_algorithmE0ELj4294967295EEENS1_25partition_config_selectorILNS1_17partition_subalgoE4EjNS0_10empty_typeEbEEZZNS1_14partition_implILS8_4ELb0ES6_15HIP_vector_typeIjLj2EENS0_17counting_iteratorIjlEEPS9_SG_NS0_5tupleIJPjSI_NS0_16reverse_iteratorISI_EEEEENSH_IJSG_SG_SG_EEES9_SI_JZNS1_25segmented_radix_sort_implINS0_14default_configELb0EPKfPfPKlPlN2at6native12_GLOBAL__N_18offset_tEEE10hipError_tPvRmT1_PNSt15iterator_traitsIS12_E10value_typeET2_T3_PNS13_IS18_E10value_typeET4_jRbjT5_S1E_jjP12ihipStream_tbEUljE_ZNSN_ISO_Lb0ESQ_SR_ST_SU_SY_EESZ_S10_S11_S12_S16_S17_S18_S1B_S1C_jS1D_jS1E_S1E_jjS1G_bEUljE0_EEESZ_S10_S11_S18_S1C_S1E_T6_T7_T9_mT8_S1G_bDpT10_ENKUlT_T0_E_clISt17integral_constantIbLb1EES1T_IbLb0EEEEDaS1P_S1Q_EUlS1P_E_NS1_11comp_targetILNS1_3genE2ELNS1_11target_archE906ELNS1_3gpuE6ELNS1_3repE0EEENS1_30default_config_static_selectorELNS0_4arch9wavefront6targetE0EEEvS12_, .Lfunc_end1376-_ZN7rocprim17ROCPRIM_400000_NS6detail17trampoline_kernelINS0_13select_configILj256ELj13ELNS0_17block_load_methodE3ELS4_3ELS4_3ELNS0_20block_scan_algorithmE0ELj4294967295EEENS1_25partition_config_selectorILNS1_17partition_subalgoE4EjNS0_10empty_typeEbEEZZNS1_14partition_implILS8_4ELb0ES6_15HIP_vector_typeIjLj2EENS0_17counting_iteratorIjlEEPS9_SG_NS0_5tupleIJPjSI_NS0_16reverse_iteratorISI_EEEEENSH_IJSG_SG_SG_EEES9_SI_JZNS1_25segmented_radix_sort_implINS0_14default_configELb0EPKfPfPKlPlN2at6native12_GLOBAL__N_18offset_tEEE10hipError_tPvRmT1_PNSt15iterator_traitsIS12_E10value_typeET2_T3_PNS13_IS18_E10value_typeET4_jRbjT5_S1E_jjP12ihipStream_tbEUljE_ZNSN_ISO_Lb0ESQ_SR_ST_SU_SY_EESZ_S10_S11_S12_S16_S17_S18_S1B_S1C_jS1D_jS1E_S1E_jjS1G_bEUljE0_EEESZ_S10_S11_S18_S1C_S1E_T6_T7_T9_mT8_S1G_bDpT10_ENKUlT_T0_E_clISt17integral_constantIbLb1EES1T_IbLb0EEEEDaS1P_S1Q_EUlS1P_E_NS1_11comp_targetILNS1_3genE2ELNS1_11target_archE906ELNS1_3gpuE6ELNS1_3repE0EEENS1_30default_config_static_selectorELNS0_4arch9wavefront6targetE0EEEvS12_
                                        ; -- End function
	.set _ZN7rocprim17ROCPRIM_400000_NS6detail17trampoline_kernelINS0_13select_configILj256ELj13ELNS0_17block_load_methodE3ELS4_3ELS4_3ELNS0_20block_scan_algorithmE0ELj4294967295EEENS1_25partition_config_selectorILNS1_17partition_subalgoE4EjNS0_10empty_typeEbEEZZNS1_14partition_implILS8_4ELb0ES6_15HIP_vector_typeIjLj2EENS0_17counting_iteratorIjlEEPS9_SG_NS0_5tupleIJPjSI_NS0_16reverse_iteratorISI_EEEEENSH_IJSG_SG_SG_EEES9_SI_JZNS1_25segmented_radix_sort_implINS0_14default_configELb0EPKfPfPKlPlN2at6native12_GLOBAL__N_18offset_tEEE10hipError_tPvRmT1_PNSt15iterator_traitsIS12_E10value_typeET2_T3_PNS13_IS18_E10value_typeET4_jRbjT5_S1E_jjP12ihipStream_tbEUljE_ZNSN_ISO_Lb0ESQ_SR_ST_SU_SY_EESZ_S10_S11_S12_S16_S17_S18_S1B_S1C_jS1D_jS1E_S1E_jjS1G_bEUljE0_EEESZ_S10_S11_S18_S1C_S1E_T6_T7_T9_mT8_S1G_bDpT10_ENKUlT_T0_E_clISt17integral_constantIbLb1EES1T_IbLb0EEEEDaS1P_S1Q_EUlS1P_E_NS1_11comp_targetILNS1_3genE2ELNS1_11target_archE906ELNS1_3gpuE6ELNS1_3repE0EEENS1_30default_config_static_selectorELNS0_4arch9wavefront6targetE0EEEvS12_.num_vgpr, 0
	.set _ZN7rocprim17ROCPRIM_400000_NS6detail17trampoline_kernelINS0_13select_configILj256ELj13ELNS0_17block_load_methodE3ELS4_3ELS4_3ELNS0_20block_scan_algorithmE0ELj4294967295EEENS1_25partition_config_selectorILNS1_17partition_subalgoE4EjNS0_10empty_typeEbEEZZNS1_14partition_implILS8_4ELb0ES6_15HIP_vector_typeIjLj2EENS0_17counting_iteratorIjlEEPS9_SG_NS0_5tupleIJPjSI_NS0_16reverse_iteratorISI_EEEEENSH_IJSG_SG_SG_EEES9_SI_JZNS1_25segmented_radix_sort_implINS0_14default_configELb0EPKfPfPKlPlN2at6native12_GLOBAL__N_18offset_tEEE10hipError_tPvRmT1_PNSt15iterator_traitsIS12_E10value_typeET2_T3_PNS13_IS18_E10value_typeET4_jRbjT5_S1E_jjP12ihipStream_tbEUljE_ZNSN_ISO_Lb0ESQ_SR_ST_SU_SY_EESZ_S10_S11_S12_S16_S17_S18_S1B_S1C_jS1D_jS1E_S1E_jjS1G_bEUljE0_EEESZ_S10_S11_S18_S1C_S1E_T6_T7_T9_mT8_S1G_bDpT10_ENKUlT_T0_E_clISt17integral_constantIbLb1EES1T_IbLb0EEEEDaS1P_S1Q_EUlS1P_E_NS1_11comp_targetILNS1_3genE2ELNS1_11target_archE906ELNS1_3gpuE6ELNS1_3repE0EEENS1_30default_config_static_selectorELNS0_4arch9wavefront6targetE0EEEvS12_.num_agpr, 0
	.set _ZN7rocprim17ROCPRIM_400000_NS6detail17trampoline_kernelINS0_13select_configILj256ELj13ELNS0_17block_load_methodE3ELS4_3ELS4_3ELNS0_20block_scan_algorithmE0ELj4294967295EEENS1_25partition_config_selectorILNS1_17partition_subalgoE4EjNS0_10empty_typeEbEEZZNS1_14partition_implILS8_4ELb0ES6_15HIP_vector_typeIjLj2EENS0_17counting_iteratorIjlEEPS9_SG_NS0_5tupleIJPjSI_NS0_16reverse_iteratorISI_EEEEENSH_IJSG_SG_SG_EEES9_SI_JZNS1_25segmented_radix_sort_implINS0_14default_configELb0EPKfPfPKlPlN2at6native12_GLOBAL__N_18offset_tEEE10hipError_tPvRmT1_PNSt15iterator_traitsIS12_E10value_typeET2_T3_PNS13_IS18_E10value_typeET4_jRbjT5_S1E_jjP12ihipStream_tbEUljE_ZNSN_ISO_Lb0ESQ_SR_ST_SU_SY_EESZ_S10_S11_S12_S16_S17_S18_S1B_S1C_jS1D_jS1E_S1E_jjS1G_bEUljE0_EEESZ_S10_S11_S18_S1C_S1E_T6_T7_T9_mT8_S1G_bDpT10_ENKUlT_T0_E_clISt17integral_constantIbLb1EES1T_IbLb0EEEEDaS1P_S1Q_EUlS1P_E_NS1_11comp_targetILNS1_3genE2ELNS1_11target_archE906ELNS1_3gpuE6ELNS1_3repE0EEENS1_30default_config_static_selectorELNS0_4arch9wavefront6targetE0EEEvS12_.numbered_sgpr, 0
	.set _ZN7rocprim17ROCPRIM_400000_NS6detail17trampoline_kernelINS0_13select_configILj256ELj13ELNS0_17block_load_methodE3ELS4_3ELS4_3ELNS0_20block_scan_algorithmE0ELj4294967295EEENS1_25partition_config_selectorILNS1_17partition_subalgoE4EjNS0_10empty_typeEbEEZZNS1_14partition_implILS8_4ELb0ES6_15HIP_vector_typeIjLj2EENS0_17counting_iteratorIjlEEPS9_SG_NS0_5tupleIJPjSI_NS0_16reverse_iteratorISI_EEEEENSH_IJSG_SG_SG_EEES9_SI_JZNS1_25segmented_radix_sort_implINS0_14default_configELb0EPKfPfPKlPlN2at6native12_GLOBAL__N_18offset_tEEE10hipError_tPvRmT1_PNSt15iterator_traitsIS12_E10value_typeET2_T3_PNS13_IS18_E10value_typeET4_jRbjT5_S1E_jjP12ihipStream_tbEUljE_ZNSN_ISO_Lb0ESQ_SR_ST_SU_SY_EESZ_S10_S11_S12_S16_S17_S18_S1B_S1C_jS1D_jS1E_S1E_jjS1G_bEUljE0_EEESZ_S10_S11_S18_S1C_S1E_T6_T7_T9_mT8_S1G_bDpT10_ENKUlT_T0_E_clISt17integral_constantIbLb1EES1T_IbLb0EEEEDaS1P_S1Q_EUlS1P_E_NS1_11comp_targetILNS1_3genE2ELNS1_11target_archE906ELNS1_3gpuE6ELNS1_3repE0EEENS1_30default_config_static_selectorELNS0_4arch9wavefront6targetE0EEEvS12_.num_named_barrier, 0
	.set _ZN7rocprim17ROCPRIM_400000_NS6detail17trampoline_kernelINS0_13select_configILj256ELj13ELNS0_17block_load_methodE3ELS4_3ELS4_3ELNS0_20block_scan_algorithmE0ELj4294967295EEENS1_25partition_config_selectorILNS1_17partition_subalgoE4EjNS0_10empty_typeEbEEZZNS1_14partition_implILS8_4ELb0ES6_15HIP_vector_typeIjLj2EENS0_17counting_iteratorIjlEEPS9_SG_NS0_5tupleIJPjSI_NS0_16reverse_iteratorISI_EEEEENSH_IJSG_SG_SG_EEES9_SI_JZNS1_25segmented_radix_sort_implINS0_14default_configELb0EPKfPfPKlPlN2at6native12_GLOBAL__N_18offset_tEEE10hipError_tPvRmT1_PNSt15iterator_traitsIS12_E10value_typeET2_T3_PNS13_IS18_E10value_typeET4_jRbjT5_S1E_jjP12ihipStream_tbEUljE_ZNSN_ISO_Lb0ESQ_SR_ST_SU_SY_EESZ_S10_S11_S12_S16_S17_S18_S1B_S1C_jS1D_jS1E_S1E_jjS1G_bEUljE0_EEESZ_S10_S11_S18_S1C_S1E_T6_T7_T9_mT8_S1G_bDpT10_ENKUlT_T0_E_clISt17integral_constantIbLb1EES1T_IbLb0EEEEDaS1P_S1Q_EUlS1P_E_NS1_11comp_targetILNS1_3genE2ELNS1_11target_archE906ELNS1_3gpuE6ELNS1_3repE0EEENS1_30default_config_static_selectorELNS0_4arch9wavefront6targetE0EEEvS12_.private_seg_size, 0
	.set _ZN7rocprim17ROCPRIM_400000_NS6detail17trampoline_kernelINS0_13select_configILj256ELj13ELNS0_17block_load_methodE3ELS4_3ELS4_3ELNS0_20block_scan_algorithmE0ELj4294967295EEENS1_25partition_config_selectorILNS1_17partition_subalgoE4EjNS0_10empty_typeEbEEZZNS1_14partition_implILS8_4ELb0ES6_15HIP_vector_typeIjLj2EENS0_17counting_iteratorIjlEEPS9_SG_NS0_5tupleIJPjSI_NS0_16reverse_iteratorISI_EEEEENSH_IJSG_SG_SG_EEES9_SI_JZNS1_25segmented_radix_sort_implINS0_14default_configELb0EPKfPfPKlPlN2at6native12_GLOBAL__N_18offset_tEEE10hipError_tPvRmT1_PNSt15iterator_traitsIS12_E10value_typeET2_T3_PNS13_IS18_E10value_typeET4_jRbjT5_S1E_jjP12ihipStream_tbEUljE_ZNSN_ISO_Lb0ESQ_SR_ST_SU_SY_EESZ_S10_S11_S12_S16_S17_S18_S1B_S1C_jS1D_jS1E_S1E_jjS1G_bEUljE0_EEESZ_S10_S11_S18_S1C_S1E_T6_T7_T9_mT8_S1G_bDpT10_ENKUlT_T0_E_clISt17integral_constantIbLb1EES1T_IbLb0EEEEDaS1P_S1Q_EUlS1P_E_NS1_11comp_targetILNS1_3genE2ELNS1_11target_archE906ELNS1_3gpuE6ELNS1_3repE0EEENS1_30default_config_static_selectorELNS0_4arch9wavefront6targetE0EEEvS12_.uses_vcc, 0
	.set _ZN7rocprim17ROCPRIM_400000_NS6detail17trampoline_kernelINS0_13select_configILj256ELj13ELNS0_17block_load_methodE3ELS4_3ELS4_3ELNS0_20block_scan_algorithmE0ELj4294967295EEENS1_25partition_config_selectorILNS1_17partition_subalgoE4EjNS0_10empty_typeEbEEZZNS1_14partition_implILS8_4ELb0ES6_15HIP_vector_typeIjLj2EENS0_17counting_iteratorIjlEEPS9_SG_NS0_5tupleIJPjSI_NS0_16reverse_iteratorISI_EEEEENSH_IJSG_SG_SG_EEES9_SI_JZNS1_25segmented_radix_sort_implINS0_14default_configELb0EPKfPfPKlPlN2at6native12_GLOBAL__N_18offset_tEEE10hipError_tPvRmT1_PNSt15iterator_traitsIS12_E10value_typeET2_T3_PNS13_IS18_E10value_typeET4_jRbjT5_S1E_jjP12ihipStream_tbEUljE_ZNSN_ISO_Lb0ESQ_SR_ST_SU_SY_EESZ_S10_S11_S12_S16_S17_S18_S1B_S1C_jS1D_jS1E_S1E_jjS1G_bEUljE0_EEESZ_S10_S11_S18_S1C_S1E_T6_T7_T9_mT8_S1G_bDpT10_ENKUlT_T0_E_clISt17integral_constantIbLb1EES1T_IbLb0EEEEDaS1P_S1Q_EUlS1P_E_NS1_11comp_targetILNS1_3genE2ELNS1_11target_archE906ELNS1_3gpuE6ELNS1_3repE0EEENS1_30default_config_static_selectorELNS0_4arch9wavefront6targetE0EEEvS12_.uses_flat_scratch, 0
	.set _ZN7rocprim17ROCPRIM_400000_NS6detail17trampoline_kernelINS0_13select_configILj256ELj13ELNS0_17block_load_methodE3ELS4_3ELS4_3ELNS0_20block_scan_algorithmE0ELj4294967295EEENS1_25partition_config_selectorILNS1_17partition_subalgoE4EjNS0_10empty_typeEbEEZZNS1_14partition_implILS8_4ELb0ES6_15HIP_vector_typeIjLj2EENS0_17counting_iteratorIjlEEPS9_SG_NS0_5tupleIJPjSI_NS0_16reverse_iteratorISI_EEEEENSH_IJSG_SG_SG_EEES9_SI_JZNS1_25segmented_radix_sort_implINS0_14default_configELb0EPKfPfPKlPlN2at6native12_GLOBAL__N_18offset_tEEE10hipError_tPvRmT1_PNSt15iterator_traitsIS12_E10value_typeET2_T3_PNS13_IS18_E10value_typeET4_jRbjT5_S1E_jjP12ihipStream_tbEUljE_ZNSN_ISO_Lb0ESQ_SR_ST_SU_SY_EESZ_S10_S11_S12_S16_S17_S18_S1B_S1C_jS1D_jS1E_S1E_jjS1G_bEUljE0_EEESZ_S10_S11_S18_S1C_S1E_T6_T7_T9_mT8_S1G_bDpT10_ENKUlT_T0_E_clISt17integral_constantIbLb1EES1T_IbLb0EEEEDaS1P_S1Q_EUlS1P_E_NS1_11comp_targetILNS1_3genE2ELNS1_11target_archE906ELNS1_3gpuE6ELNS1_3repE0EEENS1_30default_config_static_selectorELNS0_4arch9wavefront6targetE0EEEvS12_.has_dyn_sized_stack, 0
	.set _ZN7rocprim17ROCPRIM_400000_NS6detail17trampoline_kernelINS0_13select_configILj256ELj13ELNS0_17block_load_methodE3ELS4_3ELS4_3ELNS0_20block_scan_algorithmE0ELj4294967295EEENS1_25partition_config_selectorILNS1_17partition_subalgoE4EjNS0_10empty_typeEbEEZZNS1_14partition_implILS8_4ELb0ES6_15HIP_vector_typeIjLj2EENS0_17counting_iteratorIjlEEPS9_SG_NS0_5tupleIJPjSI_NS0_16reverse_iteratorISI_EEEEENSH_IJSG_SG_SG_EEES9_SI_JZNS1_25segmented_radix_sort_implINS0_14default_configELb0EPKfPfPKlPlN2at6native12_GLOBAL__N_18offset_tEEE10hipError_tPvRmT1_PNSt15iterator_traitsIS12_E10value_typeET2_T3_PNS13_IS18_E10value_typeET4_jRbjT5_S1E_jjP12ihipStream_tbEUljE_ZNSN_ISO_Lb0ESQ_SR_ST_SU_SY_EESZ_S10_S11_S12_S16_S17_S18_S1B_S1C_jS1D_jS1E_S1E_jjS1G_bEUljE0_EEESZ_S10_S11_S18_S1C_S1E_T6_T7_T9_mT8_S1G_bDpT10_ENKUlT_T0_E_clISt17integral_constantIbLb1EES1T_IbLb0EEEEDaS1P_S1Q_EUlS1P_E_NS1_11comp_targetILNS1_3genE2ELNS1_11target_archE906ELNS1_3gpuE6ELNS1_3repE0EEENS1_30default_config_static_selectorELNS0_4arch9wavefront6targetE0EEEvS12_.has_recursion, 0
	.set _ZN7rocprim17ROCPRIM_400000_NS6detail17trampoline_kernelINS0_13select_configILj256ELj13ELNS0_17block_load_methodE3ELS4_3ELS4_3ELNS0_20block_scan_algorithmE0ELj4294967295EEENS1_25partition_config_selectorILNS1_17partition_subalgoE4EjNS0_10empty_typeEbEEZZNS1_14partition_implILS8_4ELb0ES6_15HIP_vector_typeIjLj2EENS0_17counting_iteratorIjlEEPS9_SG_NS0_5tupleIJPjSI_NS0_16reverse_iteratorISI_EEEEENSH_IJSG_SG_SG_EEES9_SI_JZNS1_25segmented_radix_sort_implINS0_14default_configELb0EPKfPfPKlPlN2at6native12_GLOBAL__N_18offset_tEEE10hipError_tPvRmT1_PNSt15iterator_traitsIS12_E10value_typeET2_T3_PNS13_IS18_E10value_typeET4_jRbjT5_S1E_jjP12ihipStream_tbEUljE_ZNSN_ISO_Lb0ESQ_SR_ST_SU_SY_EESZ_S10_S11_S12_S16_S17_S18_S1B_S1C_jS1D_jS1E_S1E_jjS1G_bEUljE0_EEESZ_S10_S11_S18_S1C_S1E_T6_T7_T9_mT8_S1G_bDpT10_ENKUlT_T0_E_clISt17integral_constantIbLb1EES1T_IbLb0EEEEDaS1P_S1Q_EUlS1P_E_NS1_11comp_targetILNS1_3genE2ELNS1_11target_archE906ELNS1_3gpuE6ELNS1_3repE0EEENS1_30default_config_static_selectorELNS0_4arch9wavefront6targetE0EEEvS12_.has_indirect_call, 0
	.section	.AMDGPU.csdata,"",@progbits
; Kernel info:
; codeLenInByte = 0
; TotalNumSgprs: 0
; NumVgprs: 0
; ScratchSize: 0
; MemoryBound: 0
; FloatMode: 240
; IeeeMode: 1
; LDSByteSize: 0 bytes/workgroup (compile time only)
; SGPRBlocks: 0
; VGPRBlocks: 0
; NumSGPRsForWavesPerEU: 1
; NumVGPRsForWavesPerEU: 1
; Occupancy: 16
; WaveLimiterHint : 0
; COMPUTE_PGM_RSRC2:SCRATCH_EN: 0
; COMPUTE_PGM_RSRC2:USER_SGPR: 6
; COMPUTE_PGM_RSRC2:TRAP_HANDLER: 0
; COMPUTE_PGM_RSRC2:TGID_X_EN: 1
; COMPUTE_PGM_RSRC2:TGID_Y_EN: 0
; COMPUTE_PGM_RSRC2:TGID_Z_EN: 0
; COMPUTE_PGM_RSRC2:TIDIG_COMP_CNT: 0
	.section	.text._ZN7rocprim17ROCPRIM_400000_NS6detail17trampoline_kernelINS0_13select_configILj256ELj13ELNS0_17block_load_methodE3ELS4_3ELS4_3ELNS0_20block_scan_algorithmE0ELj4294967295EEENS1_25partition_config_selectorILNS1_17partition_subalgoE4EjNS0_10empty_typeEbEEZZNS1_14partition_implILS8_4ELb0ES6_15HIP_vector_typeIjLj2EENS0_17counting_iteratorIjlEEPS9_SG_NS0_5tupleIJPjSI_NS0_16reverse_iteratorISI_EEEEENSH_IJSG_SG_SG_EEES9_SI_JZNS1_25segmented_radix_sort_implINS0_14default_configELb0EPKfPfPKlPlN2at6native12_GLOBAL__N_18offset_tEEE10hipError_tPvRmT1_PNSt15iterator_traitsIS12_E10value_typeET2_T3_PNS13_IS18_E10value_typeET4_jRbjT5_S1E_jjP12ihipStream_tbEUljE_ZNSN_ISO_Lb0ESQ_SR_ST_SU_SY_EESZ_S10_S11_S12_S16_S17_S18_S1B_S1C_jS1D_jS1E_S1E_jjS1G_bEUljE0_EEESZ_S10_S11_S18_S1C_S1E_T6_T7_T9_mT8_S1G_bDpT10_ENKUlT_T0_E_clISt17integral_constantIbLb1EES1T_IbLb0EEEEDaS1P_S1Q_EUlS1P_E_NS1_11comp_targetILNS1_3genE10ELNS1_11target_archE1200ELNS1_3gpuE4ELNS1_3repE0EEENS1_30default_config_static_selectorELNS0_4arch9wavefront6targetE0EEEvS12_,"axG",@progbits,_ZN7rocprim17ROCPRIM_400000_NS6detail17trampoline_kernelINS0_13select_configILj256ELj13ELNS0_17block_load_methodE3ELS4_3ELS4_3ELNS0_20block_scan_algorithmE0ELj4294967295EEENS1_25partition_config_selectorILNS1_17partition_subalgoE4EjNS0_10empty_typeEbEEZZNS1_14partition_implILS8_4ELb0ES6_15HIP_vector_typeIjLj2EENS0_17counting_iteratorIjlEEPS9_SG_NS0_5tupleIJPjSI_NS0_16reverse_iteratorISI_EEEEENSH_IJSG_SG_SG_EEES9_SI_JZNS1_25segmented_radix_sort_implINS0_14default_configELb0EPKfPfPKlPlN2at6native12_GLOBAL__N_18offset_tEEE10hipError_tPvRmT1_PNSt15iterator_traitsIS12_E10value_typeET2_T3_PNS13_IS18_E10value_typeET4_jRbjT5_S1E_jjP12ihipStream_tbEUljE_ZNSN_ISO_Lb0ESQ_SR_ST_SU_SY_EESZ_S10_S11_S12_S16_S17_S18_S1B_S1C_jS1D_jS1E_S1E_jjS1G_bEUljE0_EEESZ_S10_S11_S18_S1C_S1E_T6_T7_T9_mT8_S1G_bDpT10_ENKUlT_T0_E_clISt17integral_constantIbLb1EES1T_IbLb0EEEEDaS1P_S1Q_EUlS1P_E_NS1_11comp_targetILNS1_3genE10ELNS1_11target_archE1200ELNS1_3gpuE4ELNS1_3repE0EEENS1_30default_config_static_selectorELNS0_4arch9wavefront6targetE0EEEvS12_,comdat
	.globl	_ZN7rocprim17ROCPRIM_400000_NS6detail17trampoline_kernelINS0_13select_configILj256ELj13ELNS0_17block_load_methodE3ELS4_3ELS4_3ELNS0_20block_scan_algorithmE0ELj4294967295EEENS1_25partition_config_selectorILNS1_17partition_subalgoE4EjNS0_10empty_typeEbEEZZNS1_14partition_implILS8_4ELb0ES6_15HIP_vector_typeIjLj2EENS0_17counting_iteratorIjlEEPS9_SG_NS0_5tupleIJPjSI_NS0_16reverse_iteratorISI_EEEEENSH_IJSG_SG_SG_EEES9_SI_JZNS1_25segmented_radix_sort_implINS0_14default_configELb0EPKfPfPKlPlN2at6native12_GLOBAL__N_18offset_tEEE10hipError_tPvRmT1_PNSt15iterator_traitsIS12_E10value_typeET2_T3_PNS13_IS18_E10value_typeET4_jRbjT5_S1E_jjP12ihipStream_tbEUljE_ZNSN_ISO_Lb0ESQ_SR_ST_SU_SY_EESZ_S10_S11_S12_S16_S17_S18_S1B_S1C_jS1D_jS1E_S1E_jjS1G_bEUljE0_EEESZ_S10_S11_S18_S1C_S1E_T6_T7_T9_mT8_S1G_bDpT10_ENKUlT_T0_E_clISt17integral_constantIbLb1EES1T_IbLb0EEEEDaS1P_S1Q_EUlS1P_E_NS1_11comp_targetILNS1_3genE10ELNS1_11target_archE1200ELNS1_3gpuE4ELNS1_3repE0EEENS1_30default_config_static_selectorELNS0_4arch9wavefront6targetE0EEEvS12_ ; -- Begin function _ZN7rocprim17ROCPRIM_400000_NS6detail17trampoline_kernelINS0_13select_configILj256ELj13ELNS0_17block_load_methodE3ELS4_3ELS4_3ELNS0_20block_scan_algorithmE0ELj4294967295EEENS1_25partition_config_selectorILNS1_17partition_subalgoE4EjNS0_10empty_typeEbEEZZNS1_14partition_implILS8_4ELb0ES6_15HIP_vector_typeIjLj2EENS0_17counting_iteratorIjlEEPS9_SG_NS0_5tupleIJPjSI_NS0_16reverse_iteratorISI_EEEEENSH_IJSG_SG_SG_EEES9_SI_JZNS1_25segmented_radix_sort_implINS0_14default_configELb0EPKfPfPKlPlN2at6native12_GLOBAL__N_18offset_tEEE10hipError_tPvRmT1_PNSt15iterator_traitsIS12_E10value_typeET2_T3_PNS13_IS18_E10value_typeET4_jRbjT5_S1E_jjP12ihipStream_tbEUljE_ZNSN_ISO_Lb0ESQ_SR_ST_SU_SY_EESZ_S10_S11_S12_S16_S17_S18_S1B_S1C_jS1D_jS1E_S1E_jjS1G_bEUljE0_EEESZ_S10_S11_S18_S1C_S1E_T6_T7_T9_mT8_S1G_bDpT10_ENKUlT_T0_E_clISt17integral_constantIbLb1EES1T_IbLb0EEEEDaS1P_S1Q_EUlS1P_E_NS1_11comp_targetILNS1_3genE10ELNS1_11target_archE1200ELNS1_3gpuE4ELNS1_3repE0EEENS1_30default_config_static_selectorELNS0_4arch9wavefront6targetE0EEEvS12_
	.p2align	8
	.type	_ZN7rocprim17ROCPRIM_400000_NS6detail17trampoline_kernelINS0_13select_configILj256ELj13ELNS0_17block_load_methodE3ELS4_3ELS4_3ELNS0_20block_scan_algorithmE0ELj4294967295EEENS1_25partition_config_selectorILNS1_17partition_subalgoE4EjNS0_10empty_typeEbEEZZNS1_14partition_implILS8_4ELb0ES6_15HIP_vector_typeIjLj2EENS0_17counting_iteratorIjlEEPS9_SG_NS0_5tupleIJPjSI_NS0_16reverse_iteratorISI_EEEEENSH_IJSG_SG_SG_EEES9_SI_JZNS1_25segmented_radix_sort_implINS0_14default_configELb0EPKfPfPKlPlN2at6native12_GLOBAL__N_18offset_tEEE10hipError_tPvRmT1_PNSt15iterator_traitsIS12_E10value_typeET2_T3_PNS13_IS18_E10value_typeET4_jRbjT5_S1E_jjP12ihipStream_tbEUljE_ZNSN_ISO_Lb0ESQ_SR_ST_SU_SY_EESZ_S10_S11_S12_S16_S17_S18_S1B_S1C_jS1D_jS1E_S1E_jjS1G_bEUljE0_EEESZ_S10_S11_S18_S1C_S1E_T6_T7_T9_mT8_S1G_bDpT10_ENKUlT_T0_E_clISt17integral_constantIbLb1EES1T_IbLb0EEEEDaS1P_S1Q_EUlS1P_E_NS1_11comp_targetILNS1_3genE10ELNS1_11target_archE1200ELNS1_3gpuE4ELNS1_3repE0EEENS1_30default_config_static_selectorELNS0_4arch9wavefront6targetE0EEEvS12_,@function
_ZN7rocprim17ROCPRIM_400000_NS6detail17trampoline_kernelINS0_13select_configILj256ELj13ELNS0_17block_load_methodE3ELS4_3ELS4_3ELNS0_20block_scan_algorithmE0ELj4294967295EEENS1_25partition_config_selectorILNS1_17partition_subalgoE4EjNS0_10empty_typeEbEEZZNS1_14partition_implILS8_4ELb0ES6_15HIP_vector_typeIjLj2EENS0_17counting_iteratorIjlEEPS9_SG_NS0_5tupleIJPjSI_NS0_16reverse_iteratorISI_EEEEENSH_IJSG_SG_SG_EEES9_SI_JZNS1_25segmented_radix_sort_implINS0_14default_configELb0EPKfPfPKlPlN2at6native12_GLOBAL__N_18offset_tEEE10hipError_tPvRmT1_PNSt15iterator_traitsIS12_E10value_typeET2_T3_PNS13_IS18_E10value_typeET4_jRbjT5_S1E_jjP12ihipStream_tbEUljE_ZNSN_ISO_Lb0ESQ_SR_ST_SU_SY_EESZ_S10_S11_S12_S16_S17_S18_S1B_S1C_jS1D_jS1E_S1E_jjS1G_bEUljE0_EEESZ_S10_S11_S18_S1C_S1E_T6_T7_T9_mT8_S1G_bDpT10_ENKUlT_T0_E_clISt17integral_constantIbLb1EES1T_IbLb0EEEEDaS1P_S1Q_EUlS1P_E_NS1_11comp_targetILNS1_3genE10ELNS1_11target_archE1200ELNS1_3gpuE4ELNS1_3repE0EEENS1_30default_config_static_selectorELNS0_4arch9wavefront6targetE0EEEvS12_: ; @_ZN7rocprim17ROCPRIM_400000_NS6detail17trampoline_kernelINS0_13select_configILj256ELj13ELNS0_17block_load_methodE3ELS4_3ELS4_3ELNS0_20block_scan_algorithmE0ELj4294967295EEENS1_25partition_config_selectorILNS1_17partition_subalgoE4EjNS0_10empty_typeEbEEZZNS1_14partition_implILS8_4ELb0ES6_15HIP_vector_typeIjLj2EENS0_17counting_iteratorIjlEEPS9_SG_NS0_5tupleIJPjSI_NS0_16reverse_iteratorISI_EEEEENSH_IJSG_SG_SG_EEES9_SI_JZNS1_25segmented_radix_sort_implINS0_14default_configELb0EPKfPfPKlPlN2at6native12_GLOBAL__N_18offset_tEEE10hipError_tPvRmT1_PNSt15iterator_traitsIS12_E10value_typeET2_T3_PNS13_IS18_E10value_typeET4_jRbjT5_S1E_jjP12ihipStream_tbEUljE_ZNSN_ISO_Lb0ESQ_SR_ST_SU_SY_EESZ_S10_S11_S12_S16_S17_S18_S1B_S1C_jS1D_jS1E_S1E_jjS1G_bEUljE0_EEESZ_S10_S11_S18_S1C_S1E_T6_T7_T9_mT8_S1G_bDpT10_ENKUlT_T0_E_clISt17integral_constantIbLb1EES1T_IbLb0EEEEDaS1P_S1Q_EUlS1P_E_NS1_11comp_targetILNS1_3genE10ELNS1_11target_archE1200ELNS1_3gpuE4ELNS1_3repE0EEENS1_30default_config_static_selectorELNS0_4arch9wavefront6targetE0EEEvS12_
; %bb.0:
	.section	.rodata,"a",@progbits
	.p2align	6, 0x0
	.amdhsa_kernel _ZN7rocprim17ROCPRIM_400000_NS6detail17trampoline_kernelINS0_13select_configILj256ELj13ELNS0_17block_load_methodE3ELS4_3ELS4_3ELNS0_20block_scan_algorithmE0ELj4294967295EEENS1_25partition_config_selectorILNS1_17partition_subalgoE4EjNS0_10empty_typeEbEEZZNS1_14partition_implILS8_4ELb0ES6_15HIP_vector_typeIjLj2EENS0_17counting_iteratorIjlEEPS9_SG_NS0_5tupleIJPjSI_NS0_16reverse_iteratorISI_EEEEENSH_IJSG_SG_SG_EEES9_SI_JZNS1_25segmented_radix_sort_implINS0_14default_configELb0EPKfPfPKlPlN2at6native12_GLOBAL__N_18offset_tEEE10hipError_tPvRmT1_PNSt15iterator_traitsIS12_E10value_typeET2_T3_PNS13_IS18_E10value_typeET4_jRbjT5_S1E_jjP12ihipStream_tbEUljE_ZNSN_ISO_Lb0ESQ_SR_ST_SU_SY_EESZ_S10_S11_S12_S16_S17_S18_S1B_S1C_jS1D_jS1E_S1E_jjS1G_bEUljE0_EEESZ_S10_S11_S18_S1C_S1E_T6_T7_T9_mT8_S1G_bDpT10_ENKUlT_T0_E_clISt17integral_constantIbLb1EES1T_IbLb0EEEEDaS1P_S1Q_EUlS1P_E_NS1_11comp_targetILNS1_3genE10ELNS1_11target_archE1200ELNS1_3gpuE4ELNS1_3repE0EEENS1_30default_config_static_selectorELNS0_4arch9wavefront6targetE0EEEvS12_
		.amdhsa_group_segment_fixed_size 0
		.amdhsa_private_segment_fixed_size 0
		.amdhsa_kernarg_size 176
		.amdhsa_user_sgpr_count 6
		.amdhsa_user_sgpr_private_segment_buffer 1
		.amdhsa_user_sgpr_dispatch_ptr 0
		.amdhsa_user_sgpr_queue_ptr 0
		.amdhsa_user_sgpr_kernarg_segment_ptr 1
		.amdhsa_user_sgpr_dispatch_id 0
		.amdhsa_user_sgpr_flat_scratch_init 0
		.amdhsa_user_sgpr_private_segment_size 0
		.amdhsa_wavefront_size32 1
		.amdhsa_uses_dynamic_stack 0
		.amdhsa_system_sgpr_private_segment_wavefront_offset 0
		.amdhsa_system_sgpr_workgroup_id_x 1
		.amdhsa_system_sgpr_workgroup_id_y 0
		.amdhsa_system_sgpr_workgroup_id_z 0
		.amdhsa_system_sgpr_workgroup_info 0
		.amdhsa_system_vgpr_workitem_id 0
		.amdhsa_next_free_vgpr 1
		.amdhsa_next_free_sgpr 1
		.amdhsa_reserve_vcc 0
		.amdhsa_reserve_flat_scratch 0
		.amdhsa_float_round_mode_32 0
		.amdhsa_float_round_mode_16_64 0
		.amdhsa_float_denorm_mode_32 3
		.amdhsa_float_denorm_mode_16_64 3
		.amdhsa_dx10_clamp 1
		.amdhsa_ieee_mode 1
		.amdhsa_fp16_overflow 0
		.amdhsa_workgroup_processor_mode 1
		.amdhsa_memory_ordered 1
		.amdhsa_forward_progress 1
		.amdhsa_shared_vgpr_count 0
		.amdhsa_exception_fp_ieee_invalid_op 0
		.amdhsa_exception_fp_denorm_src 0
		.amdhsa_exception_fp_ieee_div_zero 0
		.amdhsa_exception_fp_ieee_overflow 0
		.amdhsa_exception_fp_ieee_underflow 0
		.amdhsa_exception_fp_ieee_inexact 0
		.amdhsa_exception_int_div_zero 0
	.end_amdhsa_kernel
	.section	.text._ZN7rocprim17ROCPRIM_400000_NS6detail17trampoline_kernelINS0_13select_configILj256ELj13ELNS0_17block_load_methodE3ELS4_3ELS4_3ELNS0_20block_scan_algorithmE0ELj4294967295EEENS1_25partition_config_selectorILNS1_17partition_subalgoE4EjNS0_10empty_typeEbEEZZNS1_14partition_implILS8_4ELb0ES6_15HIP_vector_typeIjLj2EENS0_17counting_iteratorIjlEEPS9_SG_NS0_5tupleIJPjSI_NS0_16reverse_iteratorISI_EEEEENSH_IJSG_SG_SG_EEES9_SI_JZNS1_25segmented_radix_sort_implINS0_14default_configELb0EPKfPfPKlPlN2at6native12_GLOBAL__N_18offset_tEEE10hipError_tPvRmT1_PNSt15iterator_traitsIS12_E10value_typeET2_T3_PNS13_IS18_E10value_typeET4_jRbjT5_S1E_jjP12ihipStream_tbEUljE_ZNSN_ISO_Lb0ESQ_SR_ST_SU_SY_EESZ_S10_S11_S12_S16_S17_S18_S1B_S1C_jS1D_jS1E_S1E_jjS1G_bEUljE0_EEESZ_S10_S11_S18_S1C_S1E_T6_T7_T9_mT8_S1G_bDpT10_ENKUlT_T0_E_clISt17integral_constantIbLb1EES1T_IbLb0EEEEDaS1P_S1Q_EUlS1P_E_NS1_11comp_targetILNS1_3genE10ELNS1_11target_archE1200ELNS1_3gpuE4ELNS1_3repE0EEENS1_30default_config_static_selectorELNS0_4arch9wavefront6targetE0EEEvS12_,"axG",@progbits,_ZN7rocprim17ROCPRIM_400000_NS6detail17trampoline_kernelINS0_13select_configILj256ELj13ELNS0_17block_load_methodE3ELS4_3ELS4_3ELNS0_20block_scan_algorithmE0ELj4294967295EEENS1_25partition_config_selectorILNS1_17partition_subalgoE4EjNS0_10empty_typeEbEEZZNS1_14partition_implILS8_4ELb0ES6_15HIP_vector_typeIjLj2EENS0_17counting_iteratorIjlEEPS9_SG_NS0_5tupleIJPjSI_NS0_16reverse_iteratorISI_EEEEENSH_IJSG_SG_SG_EEES9_SI_JZNS1_25segmented_radix_sort_implINS0_14default_configELb0EPKfPfPKlPlN2at6native12_GLOBAL__N_18offset_tEEE10hipError_tPvRmT1_PNSt15iterator_traitsIS12_E10value_typeET2_T3_PNS13_IS18_E10value_typeET4_jRbjT5_S1E_jjP12ihipStream_tbEUljE_ZNSN_ISO_Lb0ESQ_SR_ST_SU_SY_EESZ_S10_S11_S12_S16_S17_S18_S1B_S1C_jS1D_jS1E_S1E_jjS1G_bEUljE0_EEESZ_S10_S11_S18_S1C_S1E_T6_T7_T9_mT8_S1G_bDpT10_ENKUlT_T0_E_clISt17integral_constantIbLb1EES1T_IbLb0EEEEDaS1P_S1Q_EUlS1P_E_NS1_11comp_targetILNS1_3genE10ELNS1_11target_archE1200ELNS1_3gpuE4ELNS1_3repE0EEENS1_30default_config_static_selectorELNS0_4arch9wavefront6targetE0EEEvS12_,comdat
.Lfunc_end1377:
	.size	_ZN7rocprim17ROCPRIM_400000_NS6detail17trampoline_kernelINS0_13select_configILj256ELj13ELNS0_17block_load_methodE3ELS4_3ELS4_3ELNS0_20block_scan_algorithmE0ELj4294967295EEENS1_25partition_config_selectorILNS1_17partition_subalgoE4EjNS0_10empty_typeEbEEZZNS1_14partition_implILS8_4ELb0ES6_15HIP_vector_typeIjLj2EENS0_17counting_iteratorIjlEEPS9_SG_NS0_5tupleIJPjSI_NS0_16reverse_iteratorISI_EEEEENSH_IJSG_SG_SG_EEES9_SI_JZNS1_25segmented_radix_sort_implINS0_14default_configELb0EPKfPfPKlPlN2at6native12_GLOBAL__N_18offset_tEEE10hipError_tPvRmT1_PNSt15iterator_traitsIS12_E10value_typeET2_T3_PNS13_IS18_E10value_typeET4_jRbjT5_S1E_jjP12ihipStream_tbEUljE_ZNSN_ISO_Lb0ESQ_SR_ST_SU_SY_EESZ_S10_S11_S12_S16_S17_S18_S1B_S1C_jS1D_jS1E_S1E_jjS1G_bEUljE0_EEESZ_S10_S11_S18_S1C_S1E_T6_T7_T9_mT8_S1G_bDpT10_ENKUlT_T0_E_clISt17integral_constantIbLb1EES1T_IbLb0EEEEDaS1P_S1Q_EUlS1P_E_NS1_11comp_targetILNS1_3genE10ELNS1_11target_archE1200ELNS1_3gpuE4ELNS1_3repE0EEENS1_30default_config_static_selectorELNS0_4arch9wavefront6targetE0EEEvS12_, .Lfunc_end1377-_ZN7rocprim17ROCPRIM_400000_NS6detail17trampoline_kernelINS0_13select_configILj256ELj13ELNS0_17block_load_methodE3ELS4_3ELS4_3ELNS0_20block_scan_algorithmE0ELj4294967295EEENS1_25partition_config_selectorILNS1_17partition_subalgoE4EjNS0_10empty_typeEbEEZZNS1_14partition_implILS8_4ELb0ES6_15HIP_vector_typeIjLj2EENS0_17counting_iteratorIjlEEPS9_SG_NS0_5tupleIJPjSI_NS0_16reverse_iteratorISI_EEEEENSH_IJSG_SG_SG_EEES9_SI_JZNS1_25segmented_radix_sort_implINS0_14default_configELb0EPKfPfPKlPlN2at6native12_GLOBAL__N_18offset_tEEE10hipError_tPvRmT1_PNSt15iterator_traitsIS12_E10value_typeET2_T3_PNS13_IS18_E10value_typeET4_jRbjT5_S1E_jjP12ihipStream_tbEUljE_ZNSN_ISO_Lb0ESQ_SR_ST_SU_SY_EESZ_S10_S11_S12_S16_S17_S18_S1B_S1C_jS1D_jS1E_S1E_jjS1G_bEUljE0_EEESZ_S10_S11_S18_S1C_S1E_T6_T7_T9_mT8_S1G_bDpT10_ENKUlT_T0_E_clISt17integral_constantIbLb1EES1T_IbLb0EEEEDaS1P_S1Q_EUlS1P_E_NS1_11comp_targetILNS1_3genE10ELNS1_11target_archE1200ELNS1_3gpuE4ELNS1_3repE0EEENS1_30default_config_static_selectorELNS0_4arch9wavefront6targetE0EEEvS12_
                                        ; -- End function
	.set _ZN7rocprim17ROCPRIM_400000_NS6detail17trampoline_kernelINS0_13select_configILj256ELj13ELNS0_17block_load_methodE3ELS4_3ELS4_3ELNS0_20block_scan_algorithmE0ELj4294967295EEENS1_25partition_config_selectorILNS1_17partition_subalgoE4EjNS0_10empty_typeEbEEZZNS1_14partition_implILS8_4ELb0ES6_15HIP_vector_typeIjLj2EENS0_17counting_iteratorIjlEEPS9_SG_NS0_5tupleIJPjSI_NS0_16reverse_iteratorISI_EEEEENSH_IJSG_SG_SG_EEES9_SI_JZNS1_25segmented_radix_sort_implINS0_14default_configELb0EPKfPfPKlPlN2at6native12_GLOBAL__N_18offset_tEEE10hipError_tPvRmT1_PNSt15iterator_traitsIS12_E10value_typeET2_T3_PNS13_IS18_E10value_typeET4_jRbjT5_S1E_jjP12ihipStream_tbEUljE_ZNSN_ISO_Lb0ESQ_SR_ST_SU_SY_EESZ_S10_S11_S12_S16_S17_S18_S1B_S1C_jS1D_jS1E_S1E_jjS1G_bEUljE0_EEESZ_S10_S11_S18_S1C_S1E_T6_T7_T9_mT8_S1G_bDpT10_ENKUlT_T0_E_clISt17integral_constantIbLb1EES1T_IbLb0EEEEDaS1P_S1Q_EUlS1P_E_NS1_11comp_targetILNS1_3genE10ELNS1_11target_archE1200ELNS1_3gpuE4ELNS1_3repE0EEENS1_30default_config_static_selectorELNS0_4arch9wavefront6targetE0EEEvS12_.num_vgpr, 0
	.set _ZN7rocprim17ROCPRIM_400000_NS6detail17trampoline_kernelINS0_13select_configILj256ELj13ELNS0_17block_load_methodE3ELS4_3ELS4_3ELNS0_20block_scan_algorithmE0ELj4294967295EEENS1_25partition_config_selectorILNS1_17partition_subalgoE4EjNS0_10empty_typeEbEEZZNS1_14partition_implILS8_4ELb0ES6_15HIP_vector_typeIjLj2EENS0_17counting_iteratorIjlEEPS9_SG_NS0_5tupleIJPjSI_NS0_16reverse_iteratorISI_EEEEENSH_IJSG_SG_SG_EEES9_SI_JZNS1_25segmented_radix_sort_implINS0_14default_configELb0EPKfPfPKlPlN2at6native12_GLOBAL__N_18offset_tEEE10hipError_tPvRmT1_PNSt15iterator_traitsIS12_E10value_typeET2_T3_PNS13_IS18_E10value_typeET4_jRbjT5_S1E_jjP12ihipStream_tbEUljE_ZNSN_ISO_Lb0ESQ_SR_ST_SU_SY_EESZ_S10_S11_S12_S16_S17_S18_S1B_S1C_jS1D_jS1E_S1E_jjS1G_bEUljE0_EEESZ_S10_S11_S18_S1C_S1E_T6_T7_T9_mT8_S1G_bDpT10_ENKUlT_T0_E_clISt17integral_constantIbLb1EES1T_IbLb0EEEEDaS1P_S1Q_EUlS1P_E_NS1_11comp_targetILNS1_3genE10ELNS1_11target_archE1200ELNS1_3gpuE4ELNS1_3repE0EEENS1_30default_config_static_selectorELNS0_4arch9wavefront6targetE0EEEvS12_.num_agpr, 0
	.set _ZN7rocprim17ROCPRIM_400000_NS6detail17trampoline_kernelINS0_13select_configILj256ELj13ELNS0_17block_load_methodE3ELS4_3ELS4_3ELNS0_20block_scan_algorithmE0ELj4294967295EEENS1_25partition_config_selectorILNS1_17partition_subalgoE4EjNS0_10empty_typeEbEEZZNS1_14partition_implILS8_4ELb0ES6_15HIP_vector_typeIjLj2EENS0_17counting_iteratorIjlEEPS9_SG_NS0_5tupleIJPjSI_NS0_16reverse_iteratorISI_EEEEENSH_IJSG_SG_SG_EEES9_SI_JZNS1_25segmented_radix_sort_implINS0_14default_configELb0EPKfPfPKlPlN2at6native12_GLOBAL__N_18offset_tEEE10hipError_tPvRmT1_PNSt15iterator_traitsIS12_E10value_typeET2_T3_PNS13_IS18_E10value_typeET4_jRbjT5_S1E_jjP12ihipStream_tbEUljE_ZNSN_ISO_Lb0ESQ_SR_ST_SU_SY_EESZ_S10_S11_S12_S16_S17_S18_S1B_S1C_jS1D_jS1E_S1E_jjS1G_bEUljE0_EEESZ_S10_S11_S18_S1C_S1E_T6_T7_T9_mT8_S1G_bDpT10_ENKUlT_T0_E_clISt17integral_constantIbLb1EES1T_IbLb0EEEEDaS1P_S1Q_EUlS1P_E_NS1_11comp_targetILNS1_3genE10ELNS1_11target_archE1200ELNS1_3gpuE4ELNS1_3repE0EEENS1_30default_config_static_selectorELNS0_4arch9wavefront6targetE0EEEvS12_.numbered_sgpr, 0
	.set _ZN7rocprim17ROCPRIM_400000_NS6detail17trampoline_kernelINS0_13select_configILj256ELj13ELNS0_17block_load_methodE3ELS4_3ELS4_3ELNS0_20block_scan_algorithmE0ELj4294967295EEENS1_25partition_config_selectorILNS1_17partition_subalgoE4EjNS0_10empty_typeEbEEZZNS1_14partition_implILS8_4ELb0ES6_15HIP_vector_typeIjLj2EENS0_17counting_iteratorIjlEEPS9_SG_NS0_5tupleIJPjSI_NS0_16reverse_iteratorISI_EEEEENSH_IJSG_SG_SG_EEES9_SI_JZNS1_25segmented_radix_sort_implINS0_14default_configELb0EPKfPfPKlPlN2at6native12_GLOBAL__N_18offset_tEEE10hipError_tPvRmT1_PNSt15iterator_traitsIS12_E10value_typeET2_T3_PNS13_IS18_E10value_typeET4_jRbjT5_S1E_jjP12ihipStream_tbEUljE_ZNSN_ISO_Lb0ESQ_SR_ST_SU_SY_EESZ_S10_S11_S12_S16_S17_S18_S1B_S1C_jS1D_jS1E_S1E_jjS1G_bEUljE0_EEESZ_S10_S11_S18_S1C_S1E_T6_T7_T9_mT8_S1G_bDpT10_ENKUlT_T0_E_clISt17integral_constantIbLb1EES1T_IbLb0EEEEDaS1P_S1Q_EUlS1P_E_NS1_11comp_targetILNS1_3genE10ELNS1_11target_archE1200ELNS1_3gpuE4ELNS1_3repE0EEENS1_30default_config_static_selectorELNS0_4arch9wavefront6targetE0EEEvS12_.num_named_barrier, 0
	.set _ZN7rocprim17ROCPRIM_400000_NS6detail17trampoline_kernelINS0_13select_configILj256ELj13ELNS0_17block_load_methodE3ELS4_3ELS4_3ELNS0_20block_scan_algorithmE0ELj4294967295EEENS1_25partition_config_selectorILNS1_17partition_subalgoE4EjNS0_10empty_typeEbEEZZNS1_14partition_implILS8_4ELb0ES6_15HIP_vector_typeIjLj2EENS0_17counting_iteratorIjlEEPS9_SG_NS0_5tupleIJPjSI_NS0_16reverse_iteratorISI_EEEEENSH_IJSG_SG_SG_EEES9_SI_JZNS1_25segmented_radix_sort_implINS0_14default_configELb0EPKfPfPKlPlN2at6native12_GLOBAL__N_18offset_tEEE10hipError_tPvRmT1_PNSt15iterator_traitsIS12_E10value_typeET2_T3_PNS13_IS18_E10value_typeET4_jRbjT5_S1E_jjP12ihipStream_tbEUljE_ZNSN_ISO_Lb0ESQ_SR_ST_SU_SY_EESZ_S10_S11_S12_S16_S17_S18_S1B_S1C_jS1D_jS1E_S1E_jjS1G_bEUljE0_EEESZ_S10_S11_S18_S1C_S1E_T6_T7_T9_mT8_S1G_bDpT10_ENKUlT_T0_E_clISt17integral_constantIbLb1EES1T_IbLb0EEEEDaS1P_S1Q_EUlS1P_E_NS1_11comp_targetILNS1_3genE10ELNS1_11target_archE1200ELNS1_3gpuE4ELNS1_3repE0EEENS1_30default_config_static_selectorELNS0_4arch9wavefront6targetE0EEEvS12_.private_seg_size, 0
	.set _ZN7rocprim17ROCPRIM_400000_NS6detail17trampoline_kernelINS0_13select_configILj256ELj13ELNS0_17block_load_methodE3ELS4_3ELS4_3ELNS0_20block_scan_algorithmE0ELj4294967295EEENS1_25partition_config_selectorILNS1_17partition_subalgoE4EjNS0_10empty_typeEbEEZZNS1_14partition_implILS8_4ELb0ES6_15HIP_vector_typeIjLj2EENS0_17counting_iteratorIjlEEPS9_SG_NS0_5tupleIJPjSI_NS0_16reverse_iteratorISI_EEEEENSH_IJSG_SG_SG_EEES9_SI_JZNS1_25segmented_radix_sort_implINS0_14default_configELb0EPKfPfPKlPlN2at6native12_GLOBAL__N_18offset_tEEE10hipError_tPvRmT1_PNSt15iterator_traitsIS12_E10value_typeET2_T3_PNS13_IS18_E10value_typeET4_jRbjT5_S1E_jjP12ihipStream_tbEUljE_ZNSN_ISO_Lb0ESQ_SR_ST_SU_SY_EESZ_S10_S11_S12_S16_S17_S18_S1B_S1C_jS1D_jS1E_S1E_jjS1G_bEUljE0_EEESZ_S10_S11_S18_S1C_S1E_T6_T7_T9_mT8_S1G_bDpT10_ENKUlT_T0_E_clISt17integral_constantIbLb1EES1T_IbLb0EEEEDaS1P_S1Q_EUlS1P_E_NS1_11comp_targetILNS1_3genE10ELNS1_11target_archE1200ELNS1_3gpuE4ELNS1_3repE0EEENS1_30default_config_static_selectorELNS0_4arch9wavefront6targetE0EEEvS12_.uses_vcc, 0
	.set _ZN7rocprim17ROCPRIM_400000_NS6detail17trampoline_kernelINS0_13select_configILj256ELj13ELNS0_17block_load_methodE3ELS4_3ELS4_3ELNS0_20block_scan_algorithmE0ELj4294967295EEENS1_25partition_config_selectorILNS1_17partition_subalgoE4EjNS0_10empty_typeEbEEZZNS1_14partition_implILS8_4ELb0ES6_15HIP_vector_typeIjLj2EENS0_17counting_iteratorIjlEEPS9_SG_NS0_5tupleIJPjSI_NS0_16reverse_iteratorISI_EEEEENSH_IJSG_SG_SG_EEES9_SI_JZNS1_25segmented_radix_sort_implINS0_14default_configELb0EPKfPfPKlPlN2at6native12_GLOBAL__N_18offset_tEEE10hipError_tPvRmT1_PNSt15iterator_traitsIS12_E10value_typeET2_T3_PNS13_IS18_E10value_typeET4_jRbjT5_S1E_jjP12ihipStream_tbEUljE_ZNSN_ISO_Lb0ESQ_SR_ST_SU_SY_EESZ_S10_S11_S12_S16_S17_S18_S1B_S1C_jS1D_jS1E_S1E_jjS1G_bEUljE0_EEESZ_S10_S11_S18_S1C_S1E_T6_T7_T9_mT8_S1G_bDpT10_ENKUlT_T0_E_clISt17integral_constantIbLb1EES1T_IbLb0EEEEDaS1P_S1Q_EUlS1P_E_NS1_11comp_targetILNS1_3genE10ELNS1_11target_archE1200ELNS1_3gpuE4ELNS1_3repE0EEENS1_30default_config_static_selectorELNS0_4arch9wavefront6targetE0EEEvS12_.uses_flat_scratch, 0
	.set _ZN7rocprim17ROCPRIM_400000_NS6detail17trampoline_kernelINS0_13select_configILj256ELj13ELNS0_17block_load_methodE3ELS4_3ELS4_3ELNS0_20block_scan_algorithmE0ELj4294967295EEENS1_25partition_config_selectorILNS1_17partition_subalgoE4EjNS0_10empty_typeEbEEZZNS1_14partition_implILS8_4ELb0ES6_15HIP_vector_typeIjLj2EENS0_17counting_iteratorIjlEEPS9_SG_NS0_5tupleIJPjSI_NS0_16reverse_iteratorISI_EEEEENSH_IJSG_SG_SG_EEES9_SI_JZNS1_25segmented_radix_sort_implINS0_14default_configELb0EPKfPfPKlPlN2at6native12_GLOBAL__N_18offset_tEEE10hipError_tPvRmT1_PNSt15iterator_traitsIS12_E10value_typeET2_T3_PNS13_IS18_E10value_typeET4_jRbjT5_S1E_jjP12ihipStream_tbEUljE_ZNSN_ISO_Lb0ESQ_SR_ST_SU_SY_EESZ_S10_S11_S12_S16_S17_S18_S1B_S1C_jS1D_jS1E_S1E_jjS1G_bEUljE0_EEESZ_S10_S11_S18_S1C_S1E_T6_T7_T9_mT8_S1G_bDpT10_ENKUlT_T0_E_clISt17integral_constantIbLb1EES1T_IbLb0EEEEDaS1P_S1Q_EUlS1P_E_NS1_11comp_targetILNS1_3genE10ELNS1_11target_archE1200ELNS1_3gpuE4ELNS1_3repE0EEENS1_30default_config_static_selectorELNS0_4arch9wavefront6targetE0EEEvS12_.has_dyn_sized_stack, 0
	.set _ZN7rocprim17ROCPRIM_400000_NS6detail17trampoline_kernelINS0_13select_configILj256ELj13ELNS0_17block_load_methodE3ELS4_3ELS4_3ELNS0_20block_scan_algorithmE0ELj4294967295EEENS1_25partition_config_selectorILNS1_17partition_subalgoE4EjNS0_10empty_typeEbEEZZNS1_14partition_implILS8_4ELb0ES6_15HIP_vector_typeIjLj2EENS0_17counting_iteratorIjlEEPS9_SG_NS0_5tupleIJPjSI_NS0_16reverse_iteratorISI_EEEEENSH_IJSG_SG_SG_EEES9_SI_JZNS1_25segmented_radix_sort_implINS0_14default_configELb0EPKfPfPKlPlN2at6native12_GLOBAL__N_18offset_tEEE10hipError_tPvRmT1_PNSt15iterator_traitsIS12_E10value_typeET2_T3_PNS13_IS18_E10value_typeET4_jRbjT5_S1E_jjP12ihipStream_tbEUljE_ZNSN_ISO_Lb0ESQ_SR_ST_SU_SY_EESZ_S10_S11_S12_S16_S17_S18_S1B_S1C_jS1D_jS1E_S1E_jjS1G_bEUljE0_EEESZ_S10_S11_S18_S1C_S1E_T6_T7_T9_mT8_S1G_bDpT10_ENKUlT_T0_E_clISt17integral_constantIbLb1EES1T_IbLb0EEEEDaS1P_S1Q_EUlS1P_E_NS1_11comp_targetILNS1_3genE10ELNS1_11target_archE1200ELNS1_3gpuE4ELNS1_3repE0EEENS1_30default_config_static_selectorELNS0_4arch9wavefront6targetE0EEEvS12_.has_recursion, 0
	.set _ZN7rocprim17ROCPRIM_400000_NS6detail17trampoline_kernelINS0_13select_configILj256ELj13ELNS0_17block_load_methodE3ELS4_3ELS4_3ELNS0_20block_scan_algorithmE0ELj4294967295EEENS1_25partition_config_selectorILNS1_17partition_subalgoE4EjNS0_10empty_typeEbEEZZNS1_14partition_implILS8_4ELb0ES6_15HIP_vector_typeIjLj2EENS0_17counting_iteratorIjlEEPS9_SG_NS0_5tupleIJPjSI_NS0_16reverse_iteratorISI_EEEEENSH_IJSG_SG_SG_EEES9_SI_JZNS1_25segmented_radix_sort_implINS0_14default_configELb0EPKfPfPKlPlN2at6native12_GLOBAL__N_18offset_tEEE10hipError_tPvRmT1_PNSt15iterator_traitsIS12_E10value_typeET2_T3_PNS13_IS18_E10value_typeET4_jRbjT5_S1E_jjP12ihipStream_tbEUljE_ZNSN_ISO_Lb0ESQ_SR_ST_SU_SY_EESZ_S10_S11_S12_S16_S17_S18_S1B_S1C_jS1D_jS1E_S1E_jjS1G_bEUljE0_EEESZ_S10_S11_S18_S1C_S1E_T6_T7_T9_mT8_S1G_bDpT10_ENKUlT_T0_E_clISt17integral_constantIbLb1EES1T_IbLb0EEEEDaS1P_S1Q_EUlS1P_E_NS1_11comp_targetILNS1_3genE10ELNS1_11target_archE1200ELNS1_3gpuE4ELNS1_3repE0EEENS1_30default_config_static_selectorELNS0_4arch9wavefront6targetE0EEEvS12_.has_indirect_call, 0
	.section	.AMDGPU.csdata,"",@progbits
; Kernel info:
; codeLenInByte = 0
; TotalNumSgprs: 0
; NumVgprs: 0
; ScratchSize: 0
; MemoryBound: 0
; FloatMode: 240
; IeeeMode: 1
; LDSByteSize: 0 bytes/workgroup (compile time only)
; SGPRBlocks: 0
; VGPRBlocks: 0
; NumSGPRsForWavesPerEU: 1
; NumVGPRsForWavesPerEU: 1
; Occupancy: 16
; WaveLimiterHint : 0
; COMPUTE_PGM_RSRC2:SCRATCH_EN: 0
; COMPUTE_PGM_RSRC2:USER_SGPR: 6
; COMPUTE_PGM_RSRC2:TRAP_HANDLER: 0
; COMPUTE_PGM_RSRC2:TGID_X_EN: 1
; COMPUTE_PGM_RSRC2:TGID_Y_EN: 0
; COMPUTE_PGM_RSRC2:TGID_Z_EN: 0
; COMPUTE_PGM_RSRC2:TIDIG_COMP_CNT: 0
	.section	.text._ZN7rocprim17ROCPRIM_400000_NS6detail17trampoline_kernelINS0_13select_configILj256ELj13ELNS0_17block_load_methodE3ELS4_3ELS4_3ELNS0_20block_scan_algorithmE0ELj4294967295EEENS1_25partition_config_selectorILNS1_17partition_subalgoE4EjNS0_10empty_typeEbEEZZNS1_14partition_implILS8_4ELb0ES6_15HIP_vector_typeIjLj2EENS0_17counting_iteratorIjlEEPS9_SG_NS0_5tupleIJPjSI_NS0_16reverse_iteratorISI_EEEEENSH_IJSG_SG_SG_EEES9_SI_JZNS1_25segmented_radix_sort_implINS0_14default_configELb0EPKfPfPKlPlN2at6native12_GLOBAL__N_18offset_tEEE10hipError_tPvRmT1_PNSt15iterator_traitsIS12_E10value_typeET2_T3_PNS13_IS18_E10value_typeET4_jRbjT5_S1E_jjP12ihipStream_tbEUljE_ZNSN_ISO_Lb0ESQ_SR_ST_SU_SY_EESZ_S10_S11_S12_S16_S17_S18_S1B_S1C_jS1D_jS1E_S1E_jjS1G_bEUljE0_EEESZ_S10_S11_S18_S1C_S1E_T6_T7_T9_mT8_S1G_bDpT10_ENKUlT_T0_E_clISt17integral_constantIbLb1EES1T_IbLb0EEEEDaS1P_S1Q_EUlS1P_E_NS1_11comp_targetILNS1_3genE9ELNS1_11target_archE1100ELNS1_3gpuE3ELNS1_3repE0EEENS1_30default_config_static_selectorELNS0_4arch9wavefront6targetE0EEEvS12_,"axG",@progbits,_ZN7rocprim17ROCPRIM_400000_NS6detail17trampoline_kernelINS0_13select_configILj256ELj13ELNS0_17block_load_methodE3ELS4_3ELS4_3ELNS0_20block_scan_algorithmE0ELj4294967295EEENS1_25partition_config_selectorILNS1_17partition_subalgoE4EjNS0_10empty_typeEbEEZZNS1_14partition_implILS8_4ELb0ES6_15HIP_vector_typeIjLj2EENS0_17counting_iteratorIjlEEPS9_SG_NS0_5tupleIJPjSI_NS0_16reverse_iteratorISI_EEEEENSH_IJSG_SG_SG_EEES9_SI_JZNS1_25segmented_radix_sort_implINS0_14default_configELb0EPKfPfPKlPlN2at6native12_GLOBAL__N_18offset_tEEE10hipError_tPvRmT1_PNSt15iterator_traitsIS12_E10value_typeET2_T3_PNS13_IS18_E10value_typeET4_jRbjT5_S1E_jjP12ihipStream_tbEUljE_ZNSN_ISO_Lb0ESQ_SR_ST_SU_SY_EESZ_S10_S11_S12_S16_S17_S18_S1B_S1C_jS1D_jS1E_S1E_jjS1G_bEUljE0_EEESZ_S10_S11_S18_S1C_S1E_T6_T7_T9_mT8_S1G_bDpT10_ENKUlT_T0_E_clISt17integral_constantIbLb1EES1T_IbLb0EEEEDaS1P_S1Q_EUlS1P_E_NS1_11comp_targetILNS1_3genE9ELNS1_11target_archE1100ELNS1_3gpuE3ELNS1_3repE0EEENS1_30default_config_static_selectorELNS0_4arch9wavefront6targetE0EEEvS12_,comdat
	.globl	_ZN7rocprim17ROCPRIM_400000_NS6detail17trampoline_kernelINS0_13select_configILj256ELj13ELNS0_17block_load_methodE3ELS4_3ELS4_3ELNS0_20block_scan_algorithmE0ELj4294967295EEENS1_25partition_config_selectorILNS1_17partition_subalgoE4EjNS0_10empty_typeEbEEZZNS1_14partition_implILS8_4ELb0ES6_15HIP_vector_typeIjLj2EENS0_17counting_iteratorIjlEEPS9_SG_NS0_5tupleIJPjSI_NS0_16reverse_iteratorISI_EEEEENSH_IJSG_SG_SG_EEES9_SI_JZNS1_25segmented_radix_sort_implINS0_14default_configELb0EPKfPfPKlPlN2at6native12_GLOBAL__N_18offset_tEEE10hipError_tPvRmT1_PNSt15iterator_traitsIS12_E10value_typeET2_T3_PNS13_IS18_E10value_typeET4_jRbjT5_S1E_jjP12ihipStream_tbEUljE_ZNSN_ISO_Lb0ESQ_SR_ST_SU_SY_EESZ_S10_S11_S12_S16_S17_S18_S1B_S1C_jS1D_jS1E_S1E_jjS1G_bEUljE0_EEESZ_S10_S11_S18_S1C_S1E_T6_T7_T9_mT8_S1G_bDpT10_ENKUlT_T0_E_clISt17integral_constantIbLb1EES1T_IbLb0EEEEDaS1P_S1Q_EUlS1P_E_NS1_11comp_targetILNS1_3genE9ELNS1_11target_archE1100ELNS1_3gpuE3ELNS1_3repE0EEENS1_30default_config_static_selectorELNS0_4arch9wavefront6targetE0EEEvS12_ ; -- Begin function _ZN7rocprim17ROCPRIM_400000_NS6detail17trampoline_kernelINS0_13select_configILj256ELj13ELNS0_17block_load_methodE3ELS4_3ELS4_3ELNS0_20block_scan_algorithmE0ELj4294967295EEENS1_25partition_config_selectorILNS1_17partition_subalgoE4EjNS0_10empty_typeEbEEZZNS1_14partition_implILS8_4ELb0ES6_15HIP_vector_typeIjLj2EENS0_17counting_iteratorIjlEEPS9_SG_NS0_5tupleIJPjSI_NS0_16reverse_iteratorISI_EEEEENSH_IJSG_SG_SG_EEES9_SI_JZNS1_25segmented_radix_sort_implINS0_14default_configELb0EPKfPfPKlPlN2at6native12_GLOBAL__N_18offset_tEEE10hipError_tPvRmT1_PNSt15iterator_traitsIS12_E10value_typeET2_T3_PNS13_IS18_E10value_typeET4_jRbjT5_S1E_jjP12ihipStream_tbEUljE_ZNSN_ISO_Lb0ESQ_SR_ST_SU_SY_EESZ_S10_S11_S12_S16_S17_S18_S1B_S1C_jS1D_jS1E_S1E_jjS1G_bEUljE0_EEESZ_S10_S11_S18_S1C_S1E_T6_T7_T9_mT8_S1G_bDpT10_ENKUlT_T0_E_clISt17integral_constantIbLb1EES1T_IbLb0EEEEDaS1P_S1Q_EUlS1P_E_NS1_11comp_targetILNS1_3genE9ELNS1_11target_archE1100ELNS1_3gpuE3ELNS1_3repE0EEENS1_30default_config_static_selectorELNS0_4arch9wavefront6targetE0EEEvS12_
	.p2align	8
	.type	_ZN7rocprim17ROCPRIM_400000_NS6detail17trampoline_kernelINS0_13select_configILj256ELj13ELNS0_17block_load_methodE3ELS4_3ELS4_3ELNS0_20block_scan_algorithmE0ELj4294967295EEENS1_25partition_config_selectorILNS1_17partition_subalgoE4EjNS0_10empty_typeEbEEZZNS1_14partition_implILS8_4ELb0ES6_15HIP_vector_typeIjLj2EENS0_17counting_iteratorIjlEEPS9_SG_NS0_5tupleIJPjSI_NS0_16reverse_iteratorISI_EEEEENSH_IJSG_SG_SG_EEES9_SI_JZNS1_25segmented_radix_sort_implINS0_14default_configELb0EPKfPfPKlPlN2at6native12_GLOBAL__N_18offset_tEEE10hipError_tPvRmT1_PNSt15iterator_traitsIS12_E10value_typeET2_T3_PNS13_IS18_E10value_typeET4_jRbjT5_S1E_jjP12ihipStream_tbEUljE_ZNSN_ISO_Lb0ESQ_SR_ST_SU_SY_EESZ_S10_S11_S12_S16_S17_S18_S1B_S1C_jS1D_jS1E_S1E_jjS1G_bEUljE0_EEESZ_S10_S11_S18_S1C_S1E_T6_T7_T9_mT8_S1G_bDpT10_ENKUlT_T0_E_clISt17integral_constantIbLb1EES1T_IbLb0EEEEDaS1P_S1Q_EUlS1P_E_NS1_11comp_targetILNS1_3genE9ELNS1_11target_archE1100ELNS1_3gpuE3ELNS1_3repE0EEENS1_30default_config_static_selectorELNS0_4arch9wavefront6targetE0EEEvS12_,@function
_ZN7rocprim17ROCPRIM_400000_NS6detail17trampoline_kernelINS0_13select_configILj256ELj13ELNS0_17block_load_methodE3ELS4_3ELS4_3ELNS0_20block_scan_algorithmE0ELj4294967295EEENS1_25partition_config_selectorILNS1_17partition_subalgoE4EjNS0_10empty_typeEbEEZZNS1_14partition_implILS8_4ELb0ES6_15HIP_vector_typeIjLj2EENS0_17counting_iteratorIjlEEPS9_SG_NS0_5tupleIJPjSI_NS0_16reverse_iteratorISI_EEEEENSH_IJSG_SG_SG_EEES9_SI_JZNS1_25segmented_radix_sort_implINS0_14default_configELb0EPKfPfPKlPlN2at6native12_GLOBAL__N_18offset_tEEE10hipError_tPvRmT1_PNSt15iterator_traitsIS12_E10value_typeET2_T3_PNS13_IS18_E10value_typeET4_jRbjT5_S1E_jjP12ihipStream_tbEUljE_ZNSN_ISO_Lb0ESQ_SR_ST_SU_SY_EESZ_S10_S11_S12_S16_S17_S18_S1B_S1C_jS1D_jS1E_S1E_jjS1G_bEUljE0_EEESZ_S10_S11_S18_S1C_S1E_T6_T7_T9_mT8_S1G_bDpT10_ENKUlT_T0_E_clISt17integral_constantIbLb1EES1T_IbLb0EEEEDaS1P_S1Q_EUlS1P_E_NS1_11comp_targetILNS1_3genE9ELNS1_11target_archE1100ELNS1_3gpuE3ELNS1_3repE0EEENS1_30default_config_static_selectorELNS0_4arch9wavefront6targetE0EEEvS12_: ; @_ZN7rocprim17ROCPRIM_400000_NS6detail17trampoline_kernelINS0_13select_configILj256ELj13ELNS0_17block_load_methodE3ELS4_3ELS4_3ELNS0_20block_scan_algorithmE0ELj4294967295EEENS1_25partition_config_selectorILNS1_17partition_subalgoE4EjNS0_10empty_typeEbEEZZNS1_14partition_implILS8_4ELb0ES6_15HIP_vector_typeIjLj2EENS0_17counting_iteratorIjlEEPS9_SG_NS0_5tupleIJPjSI_NS0_16reverse_iteratorISI_EEEEENSH_IJSG_SG_SG_EEES9_SI_JZNS1_25segmented_radix_sort_implINS0_14default_configELb0EPKfPfPKlPlN2at6native12_GLOBAL__N_18offset_tEEE10hipError_tPvRmT1_PNSt15iterator_traitsIS12_E10value_typeET2_T3_PNS13_IS18_E10value_typeET4_jRbjT5_S1E_jjP12ihipStream_tbEUljE_ZNSN_ISO_Lb0ESQ_SR_ST_SU_SY_EESZ_S10_S11_S12_S16_S17_S18_S1B_S1C_jS1D_jS1E_S1E_jjS1G_bEUljE0_EEESZ_S10_S11_S18_S1C_S1E_T6_T7_T9_mT8_S1G_bDpT10_ENKUlT_T0_E_clISt17integral_constantIbLb1EES1T_IbLb0EEEEDaS1P_S1Q_EUlS1P_E_NS1_11comp_targetILNS1_3genE9ELNS1_11target_archE1100ELNS1_3gpuE3ELNS1_3repE0EEENS1_30default_config_static_selectorELNS0_4arch9wavefront6targetE0EEEvS12_
; %bb.0:
	.section	.rodata,"a",@progbits
	.p2align	6, 0x0
	.amdhsa_kernel _ZN7rocprim17ROCPRIM_400000_NS6detail17trampoline_kernelINS0_13select_configILj256ELj13ELNS0_17block_load_methodE3ELS4_3ELS4_3ELNS0_20block_scan_algorithmE0ELj4294967295EEENS1_25partition_config_selectorILNS1_17partition_subalgoE4EjNS0_10empty_typeEbEEZZNS1_14partition_implILS8_4ELb0ES6_15HIP_vector_typeIjLj2EENS0_17counting_iteratorIjlEEPS9_SG_NS0_5tupleIJPjSI_NS0_16reverse_iteratorISI_EEEEENSH_IJSG_SG_SG_EEES9_SI_JZNS1_25segmented_radix_sort_implINS0_14default_configELb0EPKfPfPKlPlN2at6native12_GLOBAL__N_18offset_tEEE10hipError_tPvRmT1_PNSt15iterator_traitsIS12_E10value_typeET2_T3_PNS13_IS18_E10value_typeET4_jRbjT5_S1E_jjP12ihipStream_tbEUljE_ZNSN_ISO_Lb0ESQ_SR_ST_SU_SY_EESZ_S10_S11_S12_S16_S17_S18_S1B_S1C_jS1D_jS1E_S1E_jjS1G_bEUljE0_EEESZ_S10_S11_S18_S1C_S1E_T6_T7_T9_mT8_S1G_bDpT10_ENKUlT_T0_E_clISt17integral_constantIbLb1EES1T_IbLb0EEEEDaS1P_S1Q_EUlS1P_E_NS1_11comp_targetILNS1_3genE9ELNS1_11target_archE1100ELNS1_3gpuE3ELNS1_3repE0EEENS1_30default_config_static_selectorELNS0_4arch9wavefront6targetE0EEEvS12_
		.amdhsa_group_segment_fixed_size 0
		.amdhsa_private_segment_fixed_size 0
		.amdhsa_kernarg_size 176
		.amdhsa_user_sgpr_count 6
		.amdhsa_user_sgpr_private_segment_buffer 1
		.amdhsa_user_sgpr_dispatch_ptr 0
		.amdhsa_user_sgpr_queue_ptr 0
		.amdhsa_user_sgpr_kernarg_segment_ptr 1
		.amdhsa_user_sgpr_dispatch_id 0
		.amdhsa_user_sgpr_flat_scratch_init 0
		.amdhsa_user_sgpr_private_segment_size 0
		.amdhsa_wavefront_size32 1
		.amdhsa_uses_dynamic_stack 0
		.amdhsa_system_sgpr_private_segment_wavefront_offset 0
		.amdhsa_system_sgpr_workgroup_id_x 1
		.amdhsa_system_sgpr_workgroup_id_y 0
		.amdhsa_system_sgpr_workgroup_id_z 0
		.amdhsa_system_sgpr_workgroup_info 0
		.amdhsa_system_vgpr_workitem_id 0
		.amdhsa_next_free_vgpr 1
		.amdhsa_next_free_sgpr 1
		.amdhsa_reserve_vcc 0
		.amdhsa_reserve_flat_scratch 0
		.amdhsa_float_round_mode_32 0
		.amdhsa_float_round_mode_16_64 0
		.amdhsa_float_denorm_mode_32 3
		.amdhsa_float_denorm_mode_16_64 3
		.amdhsa_dx10_clamp 1
		.amdhsa_ieee_mode 1
		.amdhsa_fp16_overflow 0
		.amdhsa_workgroup_processor_mode 1
		.amdhsa_memory_ordered 1
		.amdhsa_forward_progress 1
		.amdhsa_shared_vgpr_count 0
		.amdhsa_exception_fp_ieee_invalid_op 0
		.amdhsa_exception_fp_denorm_src 0
		.amdhsa_exception_fp_ieee_div_zero 0
		.amdhsa_exception_fp_ieee_overflow 0
		.amdhsa_exception_fp_ieee_underflow 0
		.amdhsa_exception_fp_ieee_inexact 0
		.amdhsa_exception_int_div_zero 0
	.end_amdhsa_kernel
	.section	.text._ZN7rocprim17ROCPRIM_400000_NS6detail17trampoline_kernelINS0_13select_configILj256ELj13ELNS0_17block_load_methodE3ELS4_3ELS4_3ELNS0_20block_scan_algorithmE0ELj4294967295EEENS1_25partition_config_selectorILNS1_17partition_subalgoE4EjNS0_10empty_typeEbEEZZNS1_14partition_implILS8_4ELb0ES6_15HIP_vector_typeIjLj2EENS0_17counting_iteratorIjlEEPS9_SG_NS0_5tupleIJPjSI_NS0_16reverse_iteratorISI_EEEEENSH_IJSG_SG_SG_EEES9_SI_JZNS1_25segmented_radix_sort_implINS0_14default_configELb0EPKfPfPKlPlN2at6native12_GLOBAL__N_18offset_tEEE10hipError_tPvRmT1_PNSt15iterator_traitsIS12_E10value_typeET2_T3_PNS13_IS18_E10value_typeET4_jRbjT5_S1E_jjP12ihipStream_tbEUljE_ZNSN_ISO_Lb0ESQ_SR_ST_SU_SY_EESZ_S10_S11_S12_S16_S17_S18_S1B_S1C_jS1D_jS1E_S1E_jjS1G_bEUljE0_EEESZ_S10_S11_S18_S1C_S1E_T6_T7_T9_mT8_S1G_bDpT10_ENKUlT_T0_E_clISt17integral_constantIbLb1EES1T_IbLb0EEEEDaS1P_S1Q_EUlS1P_E_NS1_11comp_targetILNS1_3genE9ELNS1_11target_archE1100ELNS1_3gpuE3ELNS1_3repE0EEENS1_30default_config_static_selectorELNS0_4arch9wavefront6targetE0EEEvS12_,"axG",@progbits,_ZN7rocprim17ROCPRIM_400000_NS6detail17trampoline_kernelINS0_13select_configILj256ELj13ELNS0_17block_load_methodE3ELS4_3ELS4_3ELNS0_20block_scan_algorithmE0ELj4294967295EEENS1_25partition_config_selectorILNS1_17partition_subalgoE4EjNS0_10empty_typeEbEEZZNS1_14partition_implILS8_4ELb0ES6_15HIP_vector_typeIjLj2EENS0_17counting_iteratorIjlEEPS9_SG_NS0_5tupleIJPjSI_NS0_16reverse_iteratorISI_EEEEENSH_IJSG_SG_SG_EEES9_SI_JZNS1_25segmented_radix_sort_implINS0_14default_configELb0EPKfPfPKlPlN2at6native12_GLOBAL__N_18offset_tEEE10hipError_tPvRmT1_PNSt15iterator_traitsIS12_E10value_typeET2_T3_PNS13_IS18_E10value_typeET4_jRbjT5_S1E_jjP12ihipStream_tbEUljE_ZNSN_ISO_Lb0ESQ_SR_ST_SU_SY_EESZ_S10_S11_S12_S16_S17_S18_S1B_S1C_jS1D_jS1E_S1E_jjS1G_bEUljE0_EEESZ_S10_S11_S18_S1C_S1E_T6_T7_T9_mT8_S1G_bDpT10_ENKUlT_T0_E_clISt17integral_constantIbLb1EES1T_IbLb0EEEEDaS1P_S1Q_EUlS1P_E_NS1_11comp_targetILNS1_3genE9ELNS1_11target_archE1100ELNS1_3gpuE3ELNS1_3repE0EEENS1_30default_config_static_selectorELNS0_4arch9wavefront6targetE0EEEvS12_,comdat
.Lfunc_end1378:
	.size	_ZN7rocprim17ROCPRIM_400000_NS6detail17trampoline_kernelINS0_13select_configILj256ELj13ELNS0_17block_load_methodE3ELS4_3ELS4_3ELNS0_20block_scan_algorithmE0ELj4294967295EEENS1_25partition_config_selectorILNS1_17partition_subalgoE4EjNS0_10empty_typeEbEEZZNS1_14partition_implILS8_4ELb0ES6_15HIP_vector_typeIjLj2EENS0_17counting_iteratorIjlEEPS9_SG_NS0_5tupleIJPjSI_NS0_16reverse_iteratorISI_EEEEENSH_IJSG_SG_SG_EEES9_SI_JZNS1_25segmented_radix_sort_implINS0_14default_configELb0EPKfPfPKlPlN2at6native12_GLOBAL__N_18offset_tEEE10hipError_tPvRmT1_PNSt15iterator_traitsIS12_E10value_typeET2_T3_PNS13_IS18_E10value_typeET4_jRbjT5_S1E_jjP12ihipStream_tbEUljE_ZNSN_ISO_Lb0ESQ_SR_ST_SU_SY_EESZ_S10_S11_S12_S16_S17_S18_S1B_S1C_jS1D_jS1E_S1E_jjS1G_bEUljE0_EEESZ_S10_S11_S18_S1C_S1E_T6_T7_T9_mT8_S1G_bDpT10_ENKUlT_T0_E_clISt17integral_constantIbLb1EES1T_IbLb0EEEEDaS1P_S1Q_EUlS1P_E_NS1_11comp_targetILNS1_3genE9ELNS1_11target_archE1100ELNS1_3gpuE3ELNS1_3repE0EEENS1_30default_config_static_selectorELNS0_4arch9wavefront6targetE0EEEvS12_, .Lfunc_end1378-_ZN7rocprim17ROCPRIM_400000_NS6detail17trampoline_kernelINS0_13select_configILj256ELj13ELNS0_17block_load_methodE3ELS4_3ELS4_3ELNS0_20block_scan_algorithmE0ELj4294967295EEENS1_25partition_config_selectorILNS1_17partition_subalgoE4EjNS0_10empty_typeEbEEZZNS1_14partition_implILS8_4ELb0ES6_15HIP_vector_typeIjLj2EENS0_17counting_iteratorIjlEEPS9_SG_NS0_5tupleIJPjSI_NS0_16reverse_iteratorISI_EEEEENSH_IJSG_SG_SG_EEES9_SI_JZNS1_25segmented_radix_sort_implINS0_14default_configELb0EPKfPfPKlPlN2at6native12_GLOBAL__N_18offset_tEEE10hipError_tPvRmT1_PNSt15iterator_traitsIS12_E10value_typeET2_T3_PNS13_IS18_E10value_typeET4_jRbjT5_S1E_jjP12ihipStream_tbEUljE_ZNSN_ISO_Lb0ESQ_SR_ST_SU_SY_EESZ_S10_S11_S12_S16_S17_S18_S1B_S1C_jS1D_jS1E_S1E_jjS1G_bEUljE0_EEESZ_S10_S11_S18_S1C_S1E_T6_T7_T9_mT8_S1G_bDpT10_ENKUlT_T0_E_clISt17integral_constantIbLb1EES1T_IbLb0EEEEDaS1P_S1Q_EUlS1P_E_NS1_11comp_targetILNS1_3genE9ELNS1_11target_archE1100ELNS1_3gpuE3ELNS1_3repE0EEENS1_30default_config_static_selectorELNS0_4arch9wavefront6targetE0EEEvS12_
                                        ; -- End function
	.set _ZN7rocprim17ROCPRIM_400000_NS6detail17trampoline_kernelINS0_13select_configILj256ELj13ELNS0_17block_load_methodE3ELS4_3ELS4_3ELNS0_20block_scan_algorithmE0ELj4294967295EEENS1_25partition_config_selectorILNS1_17partition_subalgoE4EjNS0_10empty_typeEbEEZZNS1_14partition_implILS8_4ELb0ES6_15HIP_vector_typeIjLj2EENS0_17counting_iteratorIjlEEPS9_SG_NS0_5tupleIJPjSI_NS0_16reverse_iteratorISI_EEEEENSH_IJSG_SG_SG_EEES9_SI_JZNS1_25segmented_radix_sort_implINS0_14default_configELb0EPKfPfPKlPlN2at6native12_GLOBAL__N_18offset_tEEE10hipError_tPvRmT1_PNSt15iterator_traitsIS12_E10value_typeET2_T3_PNS13_IS18_E10value_typeET4_jRbjT5_S1E_jjP12ihipStream_tbEUljE_ZNSN_ISO_Lb0ESQ_SR_ST_SU_SY_EESZ_S10_S11_S12_S16_S17_S18_S1B_S1C_jS1D_jS1E_S1E_jjS1G_bEUljE0_EEESZ_S10_S11_S18_S1C_S1E_T6_T7_T9_mT8_S1G_bDpT10_ENKUlT_T0_E_clISt17integral_constantIbLb1EES1T_IbLb0EEEEDaS1P_S1Q_EUlS1P_E_NS1_11comp_targetILNS1_3genE9ELNS1_11target_archE1100ELNS1_3gpuE3ELNS1_3repE0EEENS1_30default_config_static_selectorELNS0_4arch9wavefront6targetE0EEEvS12_.num_vgpr, 0
	.set _ZN7rocprim17ROCPRIM_400000_NS6detail17trampoline_kernelINS0_13select_configILj256ELj13ELNS0_17block_load_methodE3ELS4_3ELS4_3ELNS0_20block_scan_algorithmE0ELj4294967295EEENS1_25partition_config_selectorILNS1_17partition_subalgoE4EjNS0_10empty_typeEbEEZZNS1_14partition_implILS8_4ELb0ES6_15HIP_vector_typeIjLj2EENS0_17counting_iteratorIjlEEPS9_SG_NS0_5tupleIJPjSI_NS0_16reverse_iteratorISI_EEEEENSH_IJSG_SG_SG_EEES9_SI_JZNS1_25segmented_radix_sort_implINS0_14default_configELb0EPKfPfPKlPlN2at6native12_GLOBAL__N_18offset_tEEE10hipError_tPvRmT1_PNSt15iterator_traitsIS12_E10value_typeET2_T3_PNS13_IS18_E10value_typeET4_jRbjT5_S1E_jjP12ihipStream_tbEUljE_ZNSN_ISO_Lb0ESQ_SR_ST_SU_SY_EESZ_S10_S11_S12_S16_S17_S18_S1B_S1C_jS1D_jS1E_S1E_jjS1G_bEUljE0_EEESZ_S10_S11_S18_S1C_S1E_T6_T7_T9_mT8_S1G_bDpT10_ENKUlT_T0_E_clISt17integral_constantIbLb1EES1T_IbLb0EEEEDaS1P_S1Q_EUlS1P_E_NS1_11comp_targetILNS1_3genE9ELNS1_11target_archE1100ELNS1_3gpuE3ELNS1_3repE0EEENS1_30default_config_static_selectorELNS0_4arch9wavefront6targetE0EEEvS12_.num_agpr, 0
	.set _ZN7rocprim17ROCPRIM_400000_NS6detail17trampoline_kernelINS0_13select_configILj256ELj13ELNS0_17block_load_methodE3ELS4_3ELS4_3ELNS0_20block_scan_algorithmE0ELj4294967295EEENS1_25partition_config_selectorILNS1_17partition_subalgoE4EjNS0_10empty_typeEbEEZZNS1_14partition_implILS8_4ELb0ES6_15HIP_vector_typeIjLj2EENS0_17counting_iteratorIjlEEPS9_SG_NS0_5tupleIJPjSI_NS0_16reverse_iteratorISI_EEEEENSH_IJSG_SG_SG_EEES9_SI_JZNS1_25segmented_radix_sort_implINS0_14default_configELb0EPKfPfPKlPlN2at6native12_GLOBAL__N_18offset_tEEE10hipError_tPvRmT1_PNSt15iterator_traitsIS12_E10value_typeET2_T3_PNS13_IS18_E10value_typeET4_jRbjT5_S1E_jjP12ihipStream_tbEUljE_ZNSN_ISO_Lb0ESQ_SR_ST_SU_SY_EESZ_S10_S11_S12_S16_S17_S18_S1B_S1C_jS1D_jS1E_S1E_jjS1G_bEUljE0_EEESZ_S10_S11_S18_S1C_S1E_T6_T7_T9_mT8_S1G_bDpT10_ENKUlT_T0_E_clISt17integral_constantIbLb1EES1T_IbLb0EEEEDaS1P_S1Q_EUlS1P_E_NS1_11comp_targetILNS1_3genE9ELNS1_11target_archE1100ELNS1_3gpuE3ELNS1_3repE0EEENS1_30default_config_static_selectorELNS0_4arch9wavefront6targetE0EEEvS12_.numbered_sgpr, 0
	.set _ZN7rocprim17ROCPRIM_400000_NS6detail17trampoline_kernelINS0_13select_configILj256ELj13ELNS0_17block_load_methodE3ELS4_3ELS4_3ELNS0_20block_scan_algorithmE0ELj4294967295EEENS1_25partition_config_selectorILNS1_17partition_subalgoE4EjNS0_10empty_typeEbEEZZNS1_14partition_implILS8_4ELb0ES6_15HIP_vector_typeIjLj2EENS0_17counting_iteratorIjlEEPS9_SG_NS0_5tupleIJPjSI_NS0_16reverse_iteratorISI_EEEEENSH_IJSG_SG_SG_EEES9_SI_JZNS1_25segmented_radix_sort_implINS0_14default_configELb0EPKfPfPKlPlN2at6native12_GLOBAL__N_18offset_tEEE10hipError_tPvRmT1_PNSt15iterator_traitsIS12_E10value_typeET2_T3_PNS13_IS18_E10value_typeET4_jRbjT5_S1E_jjP12ihipStream_tbEUljE_ZNSN_ISO_Lb0ESQ_SR_ST_SU_SY_EESZ_S10_S11_S12_S16_S17_S18_S1B_S1C_jS1D_jS1E_S1E_jjS1G_bEUljE0_EEESZ_S10_S11_S18_S1C_S1E_T6_T7_T9_mT8_S1G_bDpT10_ENKUlT_T0_E_clISt17integral_constantIbLb1EES1T_IbLb0EEEEDaS1P_S1Q_EUlS1P_E_NS1_11comp_targetILNS1_3genE9ELNS1_11target_archE1100ELNS1_3gpuE3ELNS1_3repE0EEENS1_30default_config_static_selectorELNS0_4arch9wavefront6targetE0EEEvS12_.num_named_barrier, 0
	.set _ZN7rocprim17ROCPRIM_400000_NS6detail17trampoline_kernelINS0_13select_configILj256ELj13ELNS0_17block_load_methodE3ELS4_3ELS4_3ELNS0_20block_scan_algorithmE0ELj4294967295EEENS1_25partition_config_selectorILNS1_17partition_subalgoE4EjNS0_10empty_typeEbEEZZNS1_14partition_implILS8_4ELb0ES6_15HIP_vector_typeIjLj2EENS0_17counting_iteratorIjlEEPS9_SG_NS0_5tupleIJPjSI_NS0_16reverse_iteratorISI_EEEEENSH_IJSG_SG_SG_EEES9_SI_JZNS1_25segmented_radix_sort_implINS0_14default_configELb0EPKfPfPKlPlN2at6native12_GLOBAL__N_18offset_tEEE10hipError_tPvRmT1_PNSt15iterator_traitsIS12_E10value_typeET2_T3_PNS13_IS18_E10value_typeET4_jRbjT5_S1E_jjP12ihipStream_tbEUljE_ZNSN_ISO_Lb0ESQ_SR_ST_SU_SY_EESZ_S10_S11_S12_S16_S17_S18_S1B_S1C_jS1D_jS1E_S1E_jjS1G_bEUljE0_EEESZ_S10_S11_S18_S1C_S1E_T6_T7_T9_mT8_S1G_bDpT10_ENKUlT_T0_E_clISt17integral_constantIbLb1EES1T_IbLb0EEEEDaS1P_S1Q_EUlS1P_E_NS1_11comp_targetILNS1_3genE9ELNS1_11target_archE1100ELNS1_3gpuE3ELNS1_3repE0EEENS1_30default_config_static_selectorELNS0_4arch9wavefront6targetE0EEEvS12_.private_seg_size, 0
	.set _ZN7rocprim17ROCPRIM_400000_NS6detail17trampoline_kernelINS0_13select_configILj256ELj13ELNS0_17block_load_methodE3ELS4_3ELS4_3ELNS0_20block_scan_algorithmE0ELj4294967295EEENS1_25partition_config_selectorILNS1_17partition_subalgoE4EjNS0_10empty_typeEbEEZZNS1_14partition_implILS8_4ELb0ES6_15HIP_vector_typeIjLj2EENS0_17counting_iteratorIjlEEPS9_SG_NS0_5tupleIJPjSI_NS0_16reverse_iteratorISI_EEEEENSH_IJSG_SG_SG_EEES9_SI_JZNS1_25segmented_radix_sort_implINS0_14default_configELb0EPKfPfPKlPlN2at6native12_GLOBAL__N_18offset_tEEE10hipError_tPvRmT1_PNSt15iterator_traitsIS12_E10value_typeET2_T3_PNS13_IS18_E10value_typeET4_jRbjT5_S1E_jjP12ihipStream_tbEUljE_ZNSN_ISO_Lb0ESQ_SR_ST_SU_SY_EESZ_S10_S11_S12_S16_S17_S18_S1B_S1C_jS1D_jS1E_S1E_jjS1G_bEUljE0_EEESZ_S10_S11_S18_S1C_S1E_T6_T7_T9_mT8_S1G_bDpT10_ENKUlT_T0_E_clISt17integral_constantIbLb1EES1T_IbLb0EEEEDaS1P_S1Q_EUlS1P_E_NS1_11comp_targetILNS1_3genE9ELNS1_11target_archE1100ELNS1_3gpuE3ELNS1_3repE0EEENS1_30default_config_static_selectorELNS0_4arch9wavefront6targetE0EEEvS12_.uses_vcc, 0
	.set _ZN7rocprim17ROCPRIM_400000_NS6detail17trampoline_kernelINS0_13select_configILj256ELj13ELNS0_17block_load_methodE3ELS4_3ELS4_3ELNS0_20block_scan_algorithmE0ELj4294967295EEENS1_25partition_config_selectorILNS1_17partition_subalgoE4EjNS0_10empty_typeEbEEZZNS1_14partition_implILS8_4ELb0ES6_15HIP_vector_typeIjLj2EENS0_17counting_iteratorIjlEEPS9_SG_NS0_5tupleIJPjSI_NS0_16reverse_iteratorISI_EEEEENSH_IJSG_SG_SG_EEES9_SI_JZNS1_25segmented_radix_sort_implINS0_14default_configELb0EPKfPfPKlPlN2at6native12_GLOBAL__N_18offset_tEEE10hipError_tPvRmT1_PNSt15iterator_traitsIS12_E10value_typeET2_T3_PNS13_IS18_E10value_typeET4_jRbjT5_S1E_jjP12ihipStream_tbEUljE_ZNSN_ISO_Lb0ESQ_SR_ST_SU_SY_EESZ_S10_S11_S12_S16_S17_S18_S1B_S1C_jS1D_jS1E_S1E_jjS1G_bEUljE0_EEESZ_S10_S11_S18_S1C_S1E_T6_T7_T9_mT8_S1G_bDpT10_ENKUlT_T0_E_clISt17integral_constantIbLb1EES1T_IbLb0EEEEDaS1P_S1Q_EUlS1P_E_NS1_11comp_targetILNS1_3genE9ELNS1_11target_archE1100ELNS1_3gpuE3ELNS1_3repE0EEENS1_30default_config_static_selectorELNS0_4arch9wavefront6targetE0EEEvS12_.uses_flat_scratch, 0
	.set _ZN7rocprim17ROCPRIM_400000_NS6detail17trampoline_kernelINS0_13select_configILj256ELj13ELNS0_17block_load_methodE3ELS4_3ELS4_3ELNS0_20block_scan_algorithmE0ELj4294967295EEENS1_25partition_config_selectorILNS1_17partition_subalgoE4EjNS0_10empty_typeEbEEZZNS1_14partition_implILS8_4ELb0ES6_15HIP_vector_typeIjLj2EENS0_17counting_iteratorIjlEEPS9_SG_NS0_5tupleIJPjSI_NS0_16reverse_iteratorISI_EEEEENSH_IJSG_SG_SG_EEES9_SI_JZNS1_25segmented_radix_sort_implINS0_14default_configELb0EPKfPfPKlPlN2at6native12_GLOBAL__N_18offset_tEEE10hipError_tPvRmT1_PNSt15iterator_traitsIS12_E10value_typeET2_T3_PNS13_IS18_E10value_typeET4_jRbjT5_S1E_jjP12ihipStream_tbEUljE_ZNSN_ISO_Lb0ESQ_SR_ST_SU_SY_EESZ_S10_S11_S12_S16_S17_S18_S1B_S1C_jS1D_jS1E_S1E_jjS1G_bEUljE0_EEESZ_S10_S11_S18_S1C_S1E_T6_T7_T9_mT8_S1G_bDpT10_ENKUlT_T0_E_clISt17integral_constantIbLb1EES1T_IbLb0EEEEDaS1P_S1Q_EUlS1P_E_NS1_11comp_targetILNS1_3genE9ELNS1_11target_archE1100ELNS1_3gpuE3ELNS1_3repE0EEENS1_30default_config_static_selectorELNS0_4arch9wavefront6targetE0EEEvS12_.has_dyn_sized_stack, 0
	.set _ZN7rocprim17ROCPRIM_400000_NS6detail17trampoline_kernelINS0_13select_configILj256ELj13ELNS0_17block_load_methodE3ELS4_3ELS4_3ELNS0_20block_scan_algorithmE0ELj4294967295EEENS1_25partition_config_selectorILNS1_17partition_subalgoE4EjNS0_10empty_typeEbEEZZNS1_14partition_implILS8_4ELb0ES6_15HIP_vector_typeIjLj2EENS0_17counting_iteratorIjlEEPS9_SG_NS0_5tupleIJPjSI_NS0_16reverse_iteratorISI_EEEEENSH_IJSG_SG_SG_EEES9_SI_JZNS1_25segmented_radix_sort_implINS0_14default_configELb0EPKfPfPKlPlN2at6native12_GLOBAL__N_18offset_tEEE10hipError_tPvRmT1_PNSt15iterator_traitsIS12_E10value_typeET2_T3_PNS13_IS18_E10value_typeET4_jRbjT5_S1E_jjP12ihipStream_tbEUljE_ZNSN_ISO_Lb0ESQ_SR_ST_SU_SY_EESZ_S10_S11_S12_S16_S17_S18_S1B_S1C_jS1D_jS1E_S1E_jjS1G_bEUljE0_EEESZ_S10_S11_S18_S1C_S1E_T6_T7_T9_mT8_S1G_bDpT10_ENKUlT_T0_E_clISt17integral_constantIbLb1EES1T_IbLb0EEEEDaS1P_S1Q_EUlS1P_E_NS1_11comp_targetILNS1_3genE9ELNS1_11target_archE1100ELNS1_3gpuE3ELNS1_3repE0EEENS1_30default_config_static_selectorELNS0_4arch9wavefront6targetE0EEEvS12_.has_recursion, 0
	.set _ZN7rocprim17ROCPRIM_400000_NS6detail17trampoline_kernelINS0_13select_configILj256ELj13ELNS0_17block_load_methodE3ELS4_3ELS4_3ELNS0_20block_scan_algorithmE0ELj4294967295EEENS1_25partition_config_selectorILNS1_17partition_subalgoE4EjNS0_10empty_typeEbEEZZNS1_14partition_implILS8_4ELb0ES6_15HIP_vector_typeIjLj2EENS0_17counting_iteratorIjlEEPS9_SG_NS0_5tupleIJPjSI_NS0_16reverse_iteratorISI_EEEEENSH_IJSG_SG_SG_EEES9_SI_JZNS1_25segmented_radix_sort_implINS0_14default_configELb0EPKfPfPKlPlN2at6native12_GLOBAL__N_18offset_tEEE10hipError_tPvRmT1_PNSt15iterator_traitsIS12_E10value_typeET2_T3_PNS13_IS18_E10value_typeET4_jRbjT5_S1E_jjP12ihipStream_tbEUljE_ZNSN_ISO_Lb0ESQ_SR_ST_SU_SY_EESZ_S10_S11_S12_S16_S17_S18_S1B_S1C_jS1D_jS1E_S1E_jjS1G_bEUljE0_EEESZ_S10_S11_S18_S1C_S1E_T6_T7_T9_mT8_S1G_bDpT10_ENKUlT_T0_E_clISt17integral_constantIbLb1EES1T_IbLb0EEEEDaS1P_S1Q_EUlS1P_E_NS1_11comp_targetILNS1_3genE9ELNS1_11target_archE1100ELNS1_3gpuE3ELNS1_3repE0EEENS1_30default_config_static_selectorELNS0_4arch9wavefront6targetE0EEEvS12_.has_indirect_call, 0
	.section	.AMDGPU.csdata,"",@progbits
; Kernel info:
; codeLenInByte = 0
; TotalNumSgprs: 0
; NumVgprs: 0
; ScratchSize: 0
; MemoryBound: 0
; FloatMode: 240
; IeeeMode: 1
; LDSByteSize: 0 bytes/workgroup (compile time only)
; SGPRBlocks: 0
; VGPRBlocks: 0
; NumSGPRsForWavesPerEU: 1
; NumVGPRsForWavesPerEU: 1
; Occupancy: 16
; WaveLimiterHint : 0
; COMPUTE_PGM_RSRC2:SCRATCH_EN: 0
; COMPUTE_PGM_RSRC2:USER_SGPR: 6
; COMPUTE_PGM_RSRC2:TRAP_HANDLER: 0
; COMPUTE_PGM_RSRC2:TGID_X_EN: 1
; COMPUTE_PGM_RSRC2:TGID_Y_EN: 0
; COMPUTE_PGM_RSRC2:TGID_Z_EN: 0
; COMPUTE_PGM_RSRC2:TIDIG_COMP_CNT: 0
	.section	.text._ZN7rocprim17ROCPRIM_400000_NS6detail17trampoline_kernelINS0_13select_configILj256ELj13ELNS0_17block_load_methodE3ELS4_3ELS4_3ELNS0_20block_scan_algorithmE0ELj4294967295EEENS1_25partition_config_selectorILNS1_17partition_subalgoE4EjNS0_10empty_typeEbEEZZNS1_14partition_implILS8_4ELb0ES6_15HIP_vector_typeIjLj2EENS0_17counting_iteratorIjlEEPS9_SG_NS0_5tupleIJPjSI_NS0_16reverse_iteratorISI_EEEEENSH_IJSG_SG_SG_EEES9_SI_JZNS1_25segmented_radix_sort_implINS0_14default_configELb0EPKfPfPKlPlN2at6native12_GLOBAL__N_18offset_tEEE10hipError_tPvRmT1_PNSt15iterator_traitsIS12_E10value_typeET2_T3_PNS13_IS18_E10value_typeET4_jRbjT5_S1E_jjP12ihipStream_tbEUljE_ZNSN_ISO_Lb0ESQ_SR_ST_SU_SY_EESZ_S10_S11_S12_S16_S17_S18_S1B_S1C_jS1D_jS1E_S1E_jjS1G_bEUljE0_EEESZ_S10_S11_S18_S1C_S1E_T6_T7_T9_mT8_S1G_bDpT10_ENKUlT_T0_E_clISt17integral_constantIbLb1EES1T_IbLb0EEEEDaS1P_S1Q_EUlS1P_E_NS1_11comp_targetILNS1_3genE8ELNS1_11target_archE1030ELNS1_3gpuE2ELNS1_3repE0EEENS1_30default_config_static_selectorELNS0_4arch9wavefront6targetE0EEEvS12_,"axG",@progbits,_ZN7rocprim17ROCPRIM_400000_NS6detail17trampoline_kernelINS0_13select_configILj256ELj13ELNS0_17block_load_methodE3ELS4_3ELS4_3ELNS0_20block_scan_algorithmE0ELj4294967295EEENS1_25partition_config_selectorILNS1_17partition_subalgoE4EjNS0_10empty_typeEbEEZZNS1_14partition_implILS8_4ELb0ES6_15HIP_vector_typeIjLj2EENS0_17counting_iteratorIjlEEPS9_SG_NS0_5tupleIJPjSI_NS0_16reverse_iteratorISI_EEEEENSH_IJSG_SG_SG_EEES9_SI_JZNS1_25segmented_radix_sort_implINS0_14default_configELb0EPKfPfPKlPlN2at6native12_GLOBAL__N_18offset_tEEE10hipError_tPvRmT1_PNSt15iterator_traitsIS12_E10value_typeET2_T3_PNS13_IS18_E10value_typeET4_jRbjT5_S1E_jjP12ihipStream_tbEUljE_ZNSN_ISO_Lb0ESQ_SR_ST_SU_SY_EESZ_S10_S11_S12_S16_S17_S18_S1B_S1C_jS1D_jS1E_S1E_jjS1G_bEUljE0_EEESZ_S10_S11_S18_S1C_S1E_T6_T7_T9_mT8_S1G_bDpT10_ENKUlT_T0_E_clISt17integral_constantIbLb1EES1T_IbLb0EEEEDaS1P_S1Q_EUlS1P_E_NS1_11comp_targetILNS1_3genE8ELNS1_11target_archE1030ELNS1_3gpuE2ELNS1_3repE0EEENS1_30default_config_static_selectorELNS0_4arch9wavefront6targetE0EEEvS12_,comdat
	.globl	_ZN7rocprim17ROCPRIM_400000_NS6detail17trampoline_kernelINS0_13select_configILj256ELj13ELNS0_17block_load_methodE3ELS4_3ELS4_3ELNS0_20block_scan_algorithmE0ELj4294967295EEENS1_25partition_config_selectorILNS1_17partition_subalgoE4EjNS0_10empty_typeEbEEZZNS1_14partition_implILS8_4ELb0ES6_15HIP_vector_typeIjLj2EENS0_17counting_iteratorIjlEEPS9_SG_NS0_5tupleIJPjSI_NS0_16reverse_iteratorISI_EEEEENSH_IJSG_SG_SG_EEES9_SI_JZNS1_25segmented_radix_sort_implINS0_14default_configELb0EPKfPfPKlPlN2at6native12_GLOBAL__N_18offset_tEEE10hipError_tPvRmT1_PNSt15iterator_traitsIS12_E10value_typeET2_T3_PNS13_IS18_E10value_typeET4_jRbjT5_S1E_jjP12ihipStream_tbEUljE_ZNSN_ISO_Lb0ESQ_SR_ST_SU_SY_EESZ_S10_S11_S12_S16_S17_S18_S1B_S1C_jS1D_jS1E_S1E_jjS1G_bEUljE0_EEESZ_S10_S11_S18_S1C_S1E_T6_T7_T9_mT8_S1G_bDpT10_ENKUlT_T0_E_clISt17integral_constantIbLb1EES1T_IbLb0EEEEDaS1P_S1Q_EUlS1P_E_NS1_11comp_targetILNS1_3genE8ELNS1_11target_archE1030ELNS1_3gpuE2ELNS1_3repE0EEENS1_30default_config_static_selectorELNS0_4arch9wavefront6targetE0EEEvS12_ ; -- Begin function _ZN7rocprim17ROCPRIM_400000_NS6detail17trampoline_kernelINS0_13select_configILj256ELj13ELNS0_17block_load_methodE3ELS4_3ELS4_3ELNS0_20block_scan_algorithmE0ELj4294967295EEENS1_25partition_config_selectorILNS1_17partition_subalgoE4EjNS0_10empty_typeEbEEZZNS1_14partition_implILS8_4ELb0ES6_15HIP_vector_typeIjLj2EENS0_17counting_iteratorIjlEEPS9_SG_NS0_5tupleIJPjSI_NS0_16reverse_iteratorISI_EEEEENSH_IJSG_SG_SG_EEES9_SI_JZNS1_25segmented_radix_sort_implINS0_14default_configELb0EPKfPfPKlPlN2at6native12_GLOBAL__N_18offset_tEEE10hipError_tPvRmT1_PNSt15iterator_traitsIS12_E10value_typeET2_T3_PNS13_IS18_E10value_typeET4_jRbjT5_S1E_jjP12ihipStream_tbEUljE_ZNSN_ISO_Lb0ESQ_SR_ST_SU_SY_EESZ_S10_S11_S12_S16_S17_S18_S1B_S1C_jS1D_jS1E_S1E_jjS1G_bEUljE0_EEESZ_S10_S11_S18_S1C_S1E_T6_T7_T9_mT8_S1G_bDpT10_ENKUlT_T0_E_clISt17integral_constantIbLb1EES1T_IbLb0EEEEDaS1P_S1Q_EUlS1P_E_NS1_11comp_targetILNS1_3genE8ELNS1_11target_archE1030ELNS1_3gpuE2ELNS1_3repE0EEENS1_30default_config_static_selectorELNS0_4arch9wavefront6targetE0EEEvS12_
	.p2align	8
	.type	_ZN7rocprim17ROCPRIM_400000_NS6detail17trampoline_kernelINS0_13select_configILj256ELj13ELNS0_17block_load_methodE3ELS4_3ELS4_3ELNS0_20block_scan_algorithmE0ELj4294967295EEENS1_25partition_config_selectorILNS1_17partition_subalgoE4EjNS0_10empty_typeEbEEZZNS1_14partition_implILS8_4ELb0ES6_15HIP_vector_typeIjLj2EENS0_17counting_iteratorIjlEEPS9_SG_NS0_5tupleIJPjSI_NS0_16reverse_iteratorISI_EEEEENSH_IJSG_SG_SG_EEES9_SI_JZNS1_25segmented_radix_sort_implINS0_14default_configELb0EPKfPfPKlPlN2at6native12_GLOBAL__N_18offset_tEEE10hipError_tPvRmT1_PNSt15iterator_traitsIS12_E10value_typeET2_T3_PNS13_IS18_E10value_typeET4_jRbjT5_S1E_jjP12ihipStream_tbEUljE_ZNSN_ISO_Lb0ESQ_SR_ST_SU_SY_EESZ_S10_S11_S12_S16_S17_S18_S1B_S1C_jS1D_jS1E_S1E_jjS1G_bEUljE0_EEESZ_S10_S11_S18_S1C_S1E_T6_T7_T9_mT8_S1G_bDpT10_ENKUlT_T0_E_clISt17integral_constantIbLb1EES1T_IbLb0EEEEDaS1P_S1Q_EUlS1P_E_NS1_11comp_targetILNS1_3genE8ELNS1_11target_archE1030ELNS1_3gpuE2ELNS1_3repE0EEENS1_30default_config_static_selectorELNS0_4arch9wavefront6targetE0EEEvS12_,@function
_ZN7rocprim17ROCPRIM_400000_NS6detail17trampoline_kernelINS0_13select_configILj256ELj13ELNS0_17block_load_methodE3ELS4_3ELS4_3ELNS0_20block_scan_algorithmE0ELj4294967295EEENS1_25partition_config_selectorILNS1_17partition_subalgoE4EjNS0_10empty_typeEbEEZZNS1_14partition_implILS8_4ELb0ES6_15HIP_vector_typeIjLj2EENS0_17counting_iteratorIjlEEPS9_SG_NS0_5tupleIJPjSI_NS0_16reverse_iteratorISI_EEEEENSH_IJSG_SG_SG_EEES9_SI_JZNS1_25segmented_radix_sort_implINS0_14default_configELb0EPKfPfPKlPlN2at6native12_GLOBAL__N_18offset_tEEE10hipError_tPvRmT1_PNSt15iterator_traitsIS12_E10value_typeET2_T3_PNS13_IS18_E10value_typeET4_jRbjT5_S1E_jjP12ihipStream_tbEUljE_ZNSN_ISO_Lb0ESQ_SR_ST_SU_SY_EESZ_S10_S11_S12_S16_S17_S18_S1B_S1C_jS1D_jS1E_S1E_jjS1G_bEUljE0_EEESZ_S10_S11_S18_S1C_S1E_T6_T7_T9_mT8_S1G_bDpT10_ENKUlT_T0_E_clISt17integral_constantIbLb1EES1T_IbLb0EEEEDaS1P_S1Q_EUlS1P_E_NS1_11comp_targetILNS1_3genE8ELNS1_11target_archE1030ELNS1_3gpuE2ELNS1_3repE0EEENS1_30default_config_static_selectorELNS0_4arch9wavefront6targetE0EEEvS12_: ; @_ZN7rocprim17ROCPRIM_400000_NS6detail17trampoline_kernelINS0_13select_configILj256ELj13ELNS0_17block_load_methodE3ELS4_3ELS4_3ELNS0_20block_scan_algorithmE0ELj4294967295EEENS1_25partition_config_selectorILNS1_17partition_subalgoE4EjNS0_10empty_typeEbEEZZNS1_14partition_implILS8_4ELb0ES6_15HIP_vector_typeIjLj2EENS0_17counting_iteratorIjlEEPS9_SG_NS0_5tupleIJPjSI_NS0_16reverse_iteratorISI_EEEEENSH_IJSG_SG_SG_EEES9_SI_JZNS1_25segmented_radix_sort_implINS0_14default_configELb0EPKfPfPKlPlN2at6native12_GLOBAL__N_18offset_tEEE10hipError_tPvRmT1_PNSt15iterator_traitsIS12_E10value_typeET2_T3_PNS13_IS18_E10value_typeET4_jRbjT5_S1E_jjP12ihipStream_tbEUljE_ZNSN_ISO_Lb0ESQ_SR_ST_SU_SY_EESZ_S10_S11_S12_S16_S17_S18_S1B_S1C_jS1D_jS1E_S1E_jjS1G_bEUljE0_EEESZ_S10_S11_S18_S1C_S1E_T6_T7_T9_mT8_S1G_bDpT10_ENKUlT_T0_E_clISt17integral_constantIbLb1EES1T_IbLb0EEEEDaS1P_S1Q_EUlS1P_E_NS1_11comp_targetILNS1_3genE8ELNS1_11target_archE1030ELNS1_3gpuE2ELNS1_3repE0EEENS1_30default_config_static_selectorELNS0_4arch9wavefront6targetE0EEEvS12_
; %bb.0:
	s_endpgm
	.section	.rodata,"a",@progbits
	.p2align	6, 0x0
	.amdhsa_kernel _ZN7rocprim17ROCPRIM_400000_NS6detail17trampoline_kernelINS0_13select_configILj256ELj13ELNS0_17block_load_methodE3ELS4_3ELS4_3ELNS0_20block_scan_algorithmE0ELj4294967295EEENS1_25partition_config_selectorILNS1_17partition_subalgoE4EjNS0_10empty_typeEbEEZZNS1_14partition_implILS8_4ELb0ES6_15HIP_vector_typeIjLj2EENS0_17counting_iteratorIjlEEPS9_SG_NS0_5tupleIJPjSI_NS0_16reverse_iteratorISI_EEEEENSH_IJSG_SG_SG_EEES9_SI_JZNS1_25segmented_radix_sort_implINS0_14default_configELb0EPKfPfPKlPlN2at6native12_GLOBAL__N_18offset_tEEE10hipError_tPvRmT1_PNSt15iterator_traitsIS12_E10value_typeET2_T3_PNS13_IS18_E10value_typeET4_jRbjT5_S1E_jjP12ihipStream_tbEUljE_ZNSN_ISO_Lb0ESQ_SR_ST_SU_SY_EESZ_S10_S11_S12_S16_S17_S18_S1B_S1C_jS1D_jS1E_S1E_jjS1G_bEUljE0_EEESZ_S10_S11_S18_S1C_S1E_T6_T7_T9_mT8_S1G_bDpT10_ENKUlT_T0_E_clISt17integral_constantIbLb1EES1T_IbLb0EEEEDaS1P_S1Q_EUlS1P_E_NS1_11comp_targetILNS1_3genE8ELNS1_11target_archE1030ELNS1_3gpuE2ELNS1_3repE0EEENS1_30default_config_static_selectorELNS0_4arch9wavefront6targetE0EEEvS12_
		.amdhsa_group_segment_fixed_size 0
		.amdhsa_private_segment_fixed_size 0
		.amdhsa_kernarg_size 176
		.amdhsa_user_sgpr_count 6
		.amdhsa_user_sgpr_private_segment_buffer 1
		.amdhsa_user_sgpr_dispatch_ptr 0
		.amdhsa_user_sgpr_queue_ptr 0
		.amdhsa_user_sgpr_kernarg_segment_ptr 1
		.amdhsa_user_sgpr_dispatch_id 0
		.amdhsa_user_sgpr_flat_scratch_init 0
		.amdhsa_user_sgpr_private_segment_size 0
		.amdhsa_wavefront_size32 1
		.amdhsa_uses_dynamic_stack 0
		.amdhsa_system_sgpr_private_segment_wavefront_offset 0
		.amdhsa_system_sgpr_workgroup_id_x 1
		.amdhsa_system_sgpr_workgroup_id_y 0
		.amdhsa_system_sgpr_workgroup_id_z 0
		.amdhsa_system_sgpr_workgroup_info 0
		.amdhsa_system_vgpr_workitem_id 0
		.amdhsa_next_free_vgpr 1
		.amdhsa_next_free_sgpr 1
		.amdhsa_reserve_vcc 0
		.amdhsa_reserve_flat_scratch 0
		.amdhsa_float_round_mode_32 0
		.amdhsa_float_round_mode_16_64 0
		.amdhsa_float_denorm_mode_32 3
		.amdhsa_float_denorm_mode_16_64 3
		.amdhsa_dx10_clamp 1
		.amdhsa_ieee_mode 1
		.amdhsa_fp16_overflow 0
		.amdhsa_workgroup_processor_mode 1
		.amdhsa_memory_ordered 1
		.amdhsa_forward_progress 1
		.amdhsa_shared_vgpr_count 0
		.amdhsa_exception_fp_ieee_invalid_op 0
		.amdhsa_exception_fp_denorm_src 0
		.amdhsa_exception_fp_ieee_div_zero 0
		.amdhsa_exception_fp_ieee_overflow 0
		.amdhsa_exception_fp_ieee_underflow 0
		.amdhsa_exception_fp_ieee_inexact 0
		.amdhsa_exception_int_div_zero 0
	.end_amdhsa_kernel
	.section	.text._ZN7rocprim17ROCPRIM_400000_NS6detail17trampoline_kernelINS0_13select_configILj256ELj13ELNS0_17block_load_methodE3ELS4_3ELS4_3ELNS0_20block_scan_algorithmE0ELj4294967295EEENS1_25partition_config_selectorILNS1_17partition_subalgoE4EjNS0_10empty_typeEbEEZZNS1_14partition_implILS8_4ELb0ES6_15HIP_vector_typeIjLj2EENS0_17counting_iteratorIjlEEPS9_SG_NS0_5tupleIJPjSI_NS0_16reverse_iteratorISI_EEEEENSH_IJSG_SG_SG_EEES9_SI_JZNS1_25segmented_radix_sort_implINS0_14default_configELb0EPKfPfPKlPlN2at6native12_GLOBAL__N_18offset_tEEE10hipError_tPvRmT1_PNSt15iterator_traitsIS12_E10value_typeET2_T3_PNS13_IS18_E10value_typeET4_jRbjT5_S1E_jjP12ihipStream_tbEUljE_ZNSN_ISO_Lb0ESQ_SR_ST_SU_SY_EESZ_S10_S11_S12_S16_S17_S18_S1B_S1C_jS1D_jS1E_S1E_jjS1G_bEUljE0_EEESZ_S10_S11_S18_S1C_S1E_T6_T7_T9_mT8_S1G_bDpT10_ENKUlT_T0_E_clISt17integral_constantIbLb1EES1T_IbLb0EEEEDaS1P_S1Q_EUlS1P_E_NS1_11comp_targetILNS1_3genE8ELNS1_11target_archE1030ELNS1_3gpuE2ELNS1_3repE0EEENS1_30default_config_static_selectorELNS0_4arch9wavefront6targetE0EEEvS12_,"axG",@progbits,_ZN7rocprim17ROCPRIM_400000_NS6detail17trampoline_kernelINS0_13select_configILj256ELj13ELNS0_17block_load_methodE3ELS4_3ELS4_3ELNS0_20block_scan_algorithmE0ELj4294967295EEENS1_25partition_config_selectorILNS1_17partition_subalgoE4EjNS0_10empty_typeEbEEZZNS1_14partition_implILS8_4ELb0ES6_15HIP_vector_typeIjLj2EENS0_17counting_iteratorIjlEEPS9_SG_NS0_5tupleIJPjSI_NS0_16reverse_iteratorISI_EEEEENSH_IJSG_SG_SG_EEES9_SI_JZNS1_25segmented_radix_sort_implINS0_14default_configELb0EPKfPfPKlPlN2at6native12_GLOBAL__N_18offset_tEEE10hipError_tPvRmT1_PNSt15iterator_traitsIS12_E10value_typeET2_T3_PNS13_IS18_E10value_typeET4_jRbjT5_S1E_jjP12ihipStream_tbEUljE_ZNSN_ISO_Lb0ESQ_SR_ST_SU_SY_EESZ_S10_S11_S12_S16_S17_S18_S1B_S1C_jS1D_jS1E_S1E_jjS1G_bEUljE0_EEESZ_S10_S11_S18_S1C_S1E_T6_T7_T9_mT8_S1G_bDpT10_ENKUlT_T0_E_clISt17integral_constantIbLb1EES1T_IbLb0EEEEDaS1P_S1Q_EUlS1P_E_NS1_11comp_targetILNS1_3genE8ELNS1_11target_archE1030ELNS1_3gpuE2ELNS1_3repE0EEENS1_30default_config_static_selectorELNS0_4arch9wavefront6targetE0EEEvS12_,comdat
.Lfunc_end1379:
	.size	_ZN7rocprim17ROCPRIM_400000_NS6detail17trampoline_kernelINS0_13select_configILj256ELj13ELNS0_17block_load_methodE3ELS4_3ELS4_3ELNS0_20block_scan_algorithmE0ELj4294967295EEENS1_25partition_config_selectorILNS1_17partition_subalgoE4EjNS0_10empty_typeEbEEZZNS1_14partition_implILS8_4ELb0ES6_15HIP_vector_typeIjLj2EENS0_17counting_iteratorIjlEEPS9_SG_NS0_5tupleIJPjSI_NS0_16reverse_iteratorISI_EEEEENSH_IJSG_SG_SG_EEES9_SI_JZNS1_25segmented_radix_sort_implINS0_14default_configELb0EPKfPfPKlPlN2at6native12_GLOBAL__N_18offset_tEEE10hipError_tPvRmT1_PNSt15iterator_traitsIS12_E10value_typeET2_T3_PNS13_IS18_E10value_typeET4_jRbjT5_S1E_jjP12ihipStream_tbEUljE_ZNSN_ISO_Lb0ESQ_SR_ST_SU_SY_EESZ_S10_S11_S12_S16_S17_S18_S1B_S1C_jS1D_jS1E_S1E_jjS1G_bEUljE0_EEESZ_S10_S11_S18_S1C_S1E_T6_T7_T9_mT8_S1G_bDpT10_ENKUlT_T0_E_clISt17integral_constantIbLb1EES1T_IbLb0EEEEDaS1P_S1Q_EUlS1P_E_NS1_11comp_targetILNS1_3genE8ELNS1_11target_archE1030ELNS1_3gpuE2ELNS1_3repE0EEENS1_30default_config_static_selectorELNS0_4arch9wavefront6targetE0EEEvS12_, .Lfunc_end1379-_ZN7rocprim17ROCPRIM_400000_NS6detail17trampoline_kernelINS0_13select_configILj256ELj13ELNS0_17block_load_methodE3ELS4_3ELS4_3ELNS0_20block_scan_algorithmE0ELj4294967295EEENS1_25partition_config_selectorILNS1_17partition_subalgoE4EjNS0_10empty_typeEbEEZZNS1_14partition_implILS8_4ELb0ES6_15HIP_vector_typeIjLj2EENS0_17counting_iteratorIjlEEPS9_SG_NS0_5tupleIJPjSI_NS0_16reverse_iteratorISI_EEEEENSH_IJSG_SG_SG_EEES9_SI_JZNS1_25segmented_radix_sort_implINS0_14default_configELb0EPKfPfPKlPlN2at6native12_GLOBAL__N_18offset_tEEE10hipError_tPvRmT1_PNSt15iterator_traitsIS12_E10value_typeET2_T3_PNS13_IS18_E10value_typeET4_jRbjT5_S1E_jjP12ihipStream_tbEUljE_ZNSN_ISO_Lb0ESQ_SR_ST_SU_SY_EESZ_S10_S11_S12_S16_S17_S18_S1B_S1C_jS1D_jS1E_S1E_jjS1G_bEUljE0_EEESZ_S10_S11_S18_S1C_S1E_T6_T7_T9_mT8_S1G_bDpT10_ENKUlT_T0_E_clISt17integral_constantIbLb1EES1T_IbLb0EEEEDaS1P_S1Q_EUlS1P_E_NS1_11comp_targetILNS1_3genE8ELNS1_11target_archE1030ELNS1_3gpuE2ELNS1_3repE0EEENS1_30default_config_static_selectorELNS0_4arch9wavefront6targetE0EEEvS12_
                                        ; -- End function
	.set _ZN7rocprim17ROCPRIM_400000_NS6detail17trampoline_kernelINS0_13select_configILj256ELj13ELNS0_17block_load_methodE3ELS4_3ELS4_3ELNS0_20block_scan_algorithmE0ELj4294967295EEENS1_25partition_config_selectorILNS1_17partition_subalgoE4EjNS0_10empty_typeEbEEZZNS1_14partition_implILS8_4ELb0ES6_15HIP_vector_typeIjLj2EENS0_17counting_iteratorIjlEEPS9_SG_NS0_5tupleIJPjSI_NS0_16reverse_iteratorISI_EEEEENSH_IJSG_SG_SG_EEES9_SI_JZNS1_25segmented_radix_sort_implINS0_14default_configELb0EPKfPfPKlPlN2at6native12_GLOBAL__N_18offset_tEEE10hipError_tPvRmT1_PNSt15iterator_traitsIS12_E10value_typeET2_T3_PNS13_IS18_E10value_typeET4_jRbjT5_S1E_jjP12ihipStream_tbEUljE_ZNSN_ISO_Lb0ESQ_SR_ST_SU_SY_EESZ_S10_S11_S12_S16_S17_S18_S1B_S1C_jS1D_jS1E_S1E_jjS1G_bEUljE0_EEESZ_S10_S11_S18_S1C_S1E_T6_T7_T9_mT8_S1G_bDpT10_ENKUlT_T0_E_clISt17integral_constantIbLb1EES1T_IbLb0EEEEDaS1P_S1Q_EUlS1P_E_NS1_11comp_targetILNS1_3genE8ELNS1_11target_archE1030ELNS1_3gpuE2ELNS1_3repE0EEENS1_30default_config_static_selectorELNS0_4arch9wavefront6targetE0EEEvS12_.num_vgpr, 0
	.set _ZN7rocprim17ROCPRIM_400000_NS6detail17trampoline_kernelINS0_13select_configILj256ELj13ELNS0_17block_load_methodE3ELS4_3ELS4_3ELNS0_20block_scan_algorithmE0ELj4294967295EEENS1_25partition_config_selectorILNS1_17partition_subalgoE4EjNS0_10empty_typeEbEEZZNS1_14partition_implILS8_4ELb0ES6_15HIP_vector_typeIjLj2EENS0_17counting_iteratorIjlEEPS9_SG_NS0_5tupleIJPjSI_NS0_16reverse_iteratorISI_EEEEENSH_IJSG_SG_SG_EEES9_SI_JZNS1_25segmented_radix_sort_implINS0_14default_configELb0EPKfPfPKlPlN2at6native12_GLOBAL__N_18offset_tEEE10hipError_tPvRmT1_PNSt15iterator_traitsIS12_E10value_typeET2_T3_PNS13_IS18_E10value_typeET4_jRbjT5_S1E_jjP12ihipStream_tbEUljE_ZNSN_ISO_Lb0ESQ_SR_ST_SU_SY_EESZ_S10_S11_S12_S16_S17_S18_S1B_S1C_jS1D_jS1E_S1E_jjS1G_bEUljE0_EEESZ_S10_S11_S18_S1C_S1E_T6_T7_T9_mT8_S1G_bDpT10_ENKUlT_T0_E_clISt17integral_constantIbLb1EES1T_IbLb0EEEEDaS1P_S1Q_EUlS1P_E_NS1_11comp_targetILNS1_3genE8ELNS1_11target_archE1030ELNS1_3gpuE2ELNS1_3repE0EEENS1_30default_config_static_selectorELNS0_4arch9wavefront6targetE0EEEvS12_.num_agpr, 0
	.set _ZN7rocprim17ROCPRIM_400000_NS6detail17trampoline_kernelINS0_13select_configILj256ELj13ELNS0_17block_load_methodE3ELS4_3ELS4_3ELNS0_20block_scan_algorithmE0ELj4294967295EEENS1_25partition_config_selectorILNS1_17partition_subalgoE4EjNS0_10empty_typeEbEEZZNS1_14partition_implILS8_4ELb0ES6_15HIP_vector_typeIjLj2EENS0_17counting_iteratorIjlEEPS9_SG_NS0_5tupleIJPjSI_NS0_16reverse_iteratorISI_EEEEENSH_IJSG_SG_SG_EEES9_SI_JZNS1_25segmented_radix_sort_implINS0_14default_configELb0EPKfPfPKlPlN2at6native12_GLOBAL__N_18offset_tEEE10hipError_tPvRmT1_PNSt15iterator_traitsIS12_E10value_typeET2_T3_PNS13_IS18_E10value_typeET4_jRbjT5_S1E_jjP12ihipStream_tbEUljE_ZNSN_ISO_Lb0ESQ_SR_ST_SU_SY_EESZ_S10_S11_S12_S16_S17_S18_S1B_S1C_jS1D_jS1E_S1E_jjS1G_bEUljE0_EEESZ_S10_S11_S18_S1C_S1E_T6_T7_T9_mT8_S1G_bDpT10_ENKUlT_T0_E_clISt17integral_constantIbLb1EES1T_IbLb0EEEEDaS1P_S1Q_EUlS1P_E_NS1_11comp_targetILNS1_3genE8ELNS1_11target_archE1030ELNS1_3gpuE2ELNS1_3repE0EEENS1_30default_config_static_selectorELNS0_4arch9wavefront6targetE0EEEvS12_.numbered_sgpr, 0
	.set _ZN7rocprim17ROCPRIM_400000_NS6detail17trampoline_kernelINS0_13select_configILj256ELj13ELNS0_17block_load_methodE3ELS4_3ELS4_3ELNS0_20block_scan_algorithmE0ELj4294967295EEENS1_25partition_config_selectorILNS1_17partition_subalgoE4EjNS0_10empty_typeEbEEZZNS1_14partition_implILS8_4ELb0ES6_15HIP_vector_typeIjLj2EENS0_17counting_iteratorIjlEEPS9_SG_NS0_5tupleIJPjSI_NS0_16reverse_iteratorISI_EEEEENSH_IJSG_SG_SG_EEES9_SI_JZNS1_25segmented_radix_sort_implINS0_14default_configELb0EPKfPfPKlPlN2at6native12_GLOBAL__N_18offset_tEEE10hipError_tPvRmT1_PNSt15iterator_traitsIS12_E10value_typeET2_T3_PNS13_IS18_E10value_typeET4_jRbjT5_S1E_jjP12ihipStream_tbEUljE_ZNSN_ISO_Lb0ESQ_SR_ST_SU_SY_EESZ_S10_S11_S12_S16_S17_S18_S1B_S1C_jS1D_jS1E_S1E_jjS1G_bEUljE0_EEESZ_S10_S11_S18_S1C_S1E_T6_T7_T9_mT8_S1G_bDpT10_ENKUlT_T0_E_clISt17integral_constantIbLb1EES1T_IbLb0EEEEDaS1P_S1Q_EUlS1P_E_NS1_11comp_targetILNS1_3genE8ELNS1_11target_archE1030ELNS1_3gpuE2ELNS1_3repE0EEENS1_30default_config_static_selectorELNS0_4arch9wavefront6targetE0EEEvS12_.num_named_barrier, 0
	.set _ZN7rocprim17ROCPRIM_400000_NS6detail17trampoline_kernelINS0_13select_configILj256ELj13ELNS0_17block_load_methodE3ELS4_3ELS4_3ELNS0_20block_scan_algorithmE0ELj4294967295EEENS1_25partition_config_selectorILNS1_17partition_subalgoE4EjNS0_10empty_typeEbEEZZNS1_14partition_implILS8_4ELb0ES6_15HIP_vector_typeIjLj2EENS0_17counting_iteratorIjlEEPS9_SG_NS0_5tupleIJPjSI_NS0_16reverse_iteratorISI_EEEEENSH_IJSG_SG_SG_EEES9_SI_JZNS1_25segmented_radix_sort_implINS0_14default_configELb0EPKfPfPKlPlN2at6native12_GLOBAL__N_18offset_tEEE10hipError_tPvRmT1_PNSt15iterator_traitsIS12_E10value_typeET2_T3_PNS13_IS18_E10value_typeET4_jRbjT5_S1E_jjP12ihipStream_tbEUljE_ZNSN_ISO_Lb0ESQ_SR_ST_SU_SY_EESZ_S10_S11_S12_S16_S17_S18_S1B_S1C_jS1D_jS1E_S1E_jjS1G_bEUljE0_EEESZ_S10_S11_S18_S1C_S1E_T6_T7_T9_mT8_S1G_bDpT10_ENKUlT_T0_E_clISt17integral_constantIbLb1EES1T_IbLb0EEEEDaS1P_S1Q_EUlS1P_E_NS1_11comp_targetILNS1_3genE8ELNS1_11target_archE1030ELNS1_3gpuE2ELNS1_3repE0EEENS1_30default_config_static_selectorELNS0_4arch9wavefront6targetE0EEEvS12_.private_seg_size, 0
	.set _ZN7rocprim17ROCPRIM_400000_NS6detail17trampoline_kernelINS0_13select_configILj256ELj13ELNS0_17block_load_methodE3ELS4_3ELS4_3ELNS0_20block_scan_algorithmE0ELj4294967295EEENS1_25partition_config_selectorILNS1_17partition_subalgoE4EjNS0_10empty_typeEbEEZZNS1_14partition_implILS8_4ELb0ES6_15HIP_vector_typeIjLj2EENS0_17counting_iteratorIjlEEPS9_SG_NS0_5tupleIJPjSI_NS0_16reverse_iteratorISI_EEEEENSH_IJSG_SG_SG_EEES9_SI_JZNS1_25segmented_radix_sort_implINS0_14default_configELb0EPKfPfPKlPlN2at6native12_GLOBAL__N_18offset_tEEE10hipError_tPvRmT1_PNSt15iterator_traitsIS12_E10value_typeET2_T3_PNS13_IS18_E10value_typeET4_jRbjT5_S1E_jjP12ihipStream_tbEUljE_ZNSN_ISO_Lb0ESQ_SR_ST_SU_SY_EESZ_S10_S11_S12_S16_S17_S18_S1B_S1C_jS1D_jS1E_S1E_jjS1G_bEUljE0_EEESZ_S10_S11_S18_S1C_S1E_T6_T7_T9_mT8_S1G_bDpT10_ENKUlT_T0_E_clISt17integral_constantIbLb1EES1T_IbLb0EEEEDaS1P_S1Q_EUlS1P_E_NS1_11comp_targetILNS1_3genE8ELNS1_11target_archE1030ELNS1_3gpuE2ELNS1_3repE0EEENS1_30default_config_static_selectorELNS0_4arch9wavefront6targetE0EEEvS12_.uses_vcc, 0
	.set _ZN7rocprim17ROCPRIM_400000_NS6detail17trampoline_kernelINS0_13select_configILj256ELj13ELNS0_17block_load_methodE3ELS4_3ELS4_3ELNS0_20block_scan_algorithmE0ELj4294967295EEENS1_25partition_config_selectorILNS1_17partition_subalgoE4EjNS0_10empty_typeEbEEZZNS1_14partition_implILS8_4ELb0ES6_15HIP_vector_typeIjLj2EENS0_17counting_iteratorIjlEEPS9_SG_NS0_5tupleIJPjSI_NS0_16reverse_iteratorISI_EEEEENSH_IJSG_SG_SG_EEES9_SI_JZNS1_25segmented_radix_sort_implINS0_14default_configELb0EPKfPfPKlPlN2at6native12_GLOBAL__N_18offset_tEEE10hipError_tPvRmT1_PNSt15iterator_traitsIS12_E10value_typeET2_T3_PNS13_IS18_E10value_typeET4_jRbjT5_S1E_jjP12ihipStream_tbEUljE_ZNSN_ISO_Lb0ESQ_SR_ST_SU_SY_EESZ_S10_S11_S12_S16_S17_S18_S1B_S1C_jS1D_jS1E_S1E_jjS1G_bEUljE0_EEESZ_S10_S11_S18_S1C_S1E_T6_T7_T9_mT8_S1G_bDpT10_ENKUlT_T0_E_clISt17integral_constantIbLb1EES1T_IbLb0EEEEDaS1P_S1Q_EUlS1P_E_NS1_11comp_targetILNS1_3genE8ELNS1_11target_archE1030ELNS1_3gpuE2ELNS1_3repE0EEENS1_30default_config_static_selectorELNS0_4arch9wavefront6targetE0EEEvS12_.uses_flat_scratch, 0
	.set _ZN7rocprim17ROCPRIM_400000_NS6detail17trampoline_kernelINS0_13select_configILj256ELj13ELNS0_17block_load_methodE3ELS4_3ELS4_3ELNS0_20block_scan_algorithmE0ELj4294967295EEENS1_25partition_config_selectorILNS1_17partition_subalgoE4EjNS0_10empty_typeEbEEZZNS1_14partition_implILS8_4ELb0ES6_15HIP_vector_typeIjLj2EENS0_17counting_iteratorIjlEEPS9_SG_NS0_5tupleIJPjSI_NS0_16reverse_iteratorISI_EEEEENSH_IJSG_SG_SG_EEES9_SI_JZNS1_25segmented_radix_sort_implINS0_14default_configELb0EPKfPfPKlPlN2at6native12_GLOBAL__N_18offset_tEEE10hipError_tPvRmT1_PNSt15iterator_traitsIS12_E10value_typeET2_T3_PNS13_IS18_E10value_typeET4_jRbjT5_S1E_jjP12ihipStream_tbEUljE_ZNSN_ISO_Lb0ESQ_SR_ST_SU_SY_EESZ_S10_S11_S12_S16_S17_S18_S1B_S1C_jS1D_jS1E_S1E_jjS1G_bEUljE0_EEESZ_S10_S11_S18_S1C_S1E_T6_T7_T9_mT8_S1G_bDpT10_ENKUlT_T0_E_clISt17integral_constantIbLb1EES1T_IbLb0EEEEDaS1P_S1Q_EUlS1P_E_NS1_11comp_targetILNS1_3genE8ELNS1_11target_archE1030ELNS1_3gpuE2ELNS1_3repE0EEENS1_30default_config_static_selectorELNS0_4arch9wavefront6targetE0EEEvS12_.has_dyn_sized_stack, 0
	.set _ZN7rocprim17ROCPRIM_400000_NS6detail17trampoline_kernelINS0_13select_configILj256ELj13ELNS0_17block_load_methodE3ELS4_3ELS4_3ELNS0_20block_scan_algorithmE0ELj4294967295EEENS1_25partition_config_selectorILNS1_17partition_subalgoE4EjNS0_10empty_typeEbEEZZNS1_14partition_implILS8_4ELb0ES6_15HIP_vector_typeIjLj2EENS0_17counting_iteratorIjlEEPS9_SG_NS0_5tupleIJPjSI_NS0_16reverse_iteratorISI_EEEEENSH_IJSG_SG_SG_EEES9_SI_JZNS1_25segmented_radix_sort_implINS0_14default_configELb0EPKfPfPKlPlN2at6native12_GLOBAL__N_18offset_tEEE10hipError_tPvRmT1_PNSt15iterator_traitsIS12_E10value_typeET2_T3_PNS13_IS18_E10value_typeET4_jRbjT5_S1E_jjP12ihipStream_tbEUljE_ZNSN_ISO_Lb0ESQ_SR_ST_SU_SY_EESZ_S10_S11_S12_S16_S17_S18_S1B_S1C_jS1D_jS1E_S1E_jjS1G_bEUljE0_EEESZ_S10_S11_S18_S1C_S1E_T6_T7_T9_mT8_S1G_bDpT10_ENKUlT_T0_E_clISt17integral_constantIbLb1EES1T_IbLb0EEEEDaS1P_S1Q_EUlS1P_E_NS1_11comp_targetILNS1_3genE8ELNS1_11target_archE1030ELNS1_3gpuE2ELNS1_3repE0EEENS1_30default_config_static_selectorELNS0_4arch9wavefront6targetE0EEEvS12_.has_recursion, 0
	.set _ZN7rocprim17ROCPRIM_400000_NS6detail17trampoline_kernelINS0_13select_configILj256ELj13ELNS0_17block_load_methodE3ELS4_3ELS4_3ELNS0_20block_scan_algorithmE0ELj4294967295EEENS1_25partition_config_selectorILNS1_17partition_subalgoE4EjNS0_10empty_typeEbEEZZNS1_14partition_implILS8_4ELb0ES6_15HIP_vector_typeIjLj2EENS0_17counting_iteratorIjlEEPS9_SG_NS0_5tupleIJPjSI_NS0_16reverse_iteratorISI_EEEEENSH_IJSG_SG_SG_EEES9_SI_JZNS1_25segmented_radix_sort_implINS0_14default_configELb0EPKfPfPKlPlN2at6native12_GLOBAL__N_18offset_tEEE10hipError_tPvRmT1_PNSt15iterator_traitsIS12_E10value_typeET2_T3_PNS13_IS18_E10value_typeET4_jRbjT5_S1E_jjP12ihipStream_tbEUljE_ZNSN_ISO_Lb0ESQ_SR_ST_SU_SY_EESZ_S10_S11_S12_S16_S17_S18_S1B_S1C_jS1D_jS1E_S1E_jjS1G_bEUljE0_EEESZ_S10_S11_S18_S1C_S1E_T6_T7_T9_mT8_S1G_bDpT10_ENKUlT_T0_E_clISt17integral_constantIbLb1EES1T_IbLb0EEEEDaS1P_S1Q_EUlS1P_E_NS1_11comp_targetILNS1_3genE8ELNS1_11target_archE1030ELNS1_3gpuE2ELNS1_3repE0EEENS1_30default_config_static_selectorELNS0_4arch9wavefront6targetE0EEEvS12_.has_indirect_call, 0
	.section	.AMDGPU.csdata,"",@progbits
; Kernel info:
; codeLenInByte = 4
; TotalNumSgprs: 0
; NumVgprs: 0
; ScratchSize: 0
; MemoryBound: 0
; FloatMode: 240
; IeeeMode: 1
; LDSByteSize: 0 bytes/workgroup (compile time only)
; SGPRBlocks: 0
; VGPRBlocks: 0
; NumSGPRsForWavesPerEU: 1
; NumVGPRsForWavesPerEU: 1
; Occupancy: 16
; WaveLimiterHint : 0
; COMPUTE_PGM_RSRC2:SCRATCH_EN: 0
; COMPUTE_PGM_RSRC2:USER_SGPR: 6
; COMPUTE_PGM_RSRC2:TRAP_HANDLER: 0
; COMPUTE_PGM_RSRC2:TGID_X_EN: 1
; COMPUTE_PGM_RSRC2:TGID_Y_EN: 0
; COMPUTE_PGM_RSRC2:TGID_Z_EN: 0
; COMPUTE_PGM_RSRC2:TIDIG_COMP_CNT: 0
	.section	.text._ZN7rocprim17ROCPRIM_400000_NS6detail17trampoline_kernelINS0_13select_configILj256ELj13ELNS0_17block_load_methodE3ELS4_3ELS4_3ELNS0_20block_scan_algorithmE0ELj4294967295EEENS1_25partition_config_selectorILNS1_17partition_subalgoE4EjNS0_10empty_typeEbEEZZNS1_14partition_implILS8_4ELb0ES6_15HIP_vector_typeIjLj2EENS0_17counting_iteratorIjlEEPS9_SG_NS0_5tupleIJPjSI_NS0_16reverse_iteratorISI_EEEEENSH_IJSG_SG_SG_EEES9_SI_JZNS1_25segmented_radix_sort_implINS0_14default_configELb0EPKfPfPKlPlN2at6native12_GLOBAL__N_18offset_tEEE10hipError_tPvRmT1_PNSt15iterator_traitsIS12_E10value_typeET2_T3_PNS13_IS18_E10value_typeET4_jRbjT5_S1E_jjP12ihipStream_tbEUljE_ZNSN_ISO_Lb0ESQ_SR_ST_SU_SY_EESZ_S10_S11_S12_S16_S17_S18_S1B_S1C_jS1D_jS1E_S1E_jjS1G_bEUljE0_EEESZ_S10_S11_S18_S1C_S1E_T6_T7_T9_mT8_S1G_bDpT10_ENKUlT_T0_E_clISt17integral_constantIbLb0EES1T_IbLb1EEEEDaS1P_S1Q_EUlS1P_E_NS1_11comp_targetILNS1_3genE0ELNS1_11target_archE4294967295ELNS1_3gpuE0ELNS1_3repE0EEENS1_30default_config_static_selectorELNS0_4arch9wavefront6targetE0EEEvS12_,"axG",@progbits,_ZN7rocprim17ROCPRIM_400000_NS6detail17trampoline_kernelINS0_13select_configILj256ELj13ELNS0_17block_load_methodE3ELS4_3ELS4_3ELNS0_20block_scan_algorithmE0ELj4294967295EEENS1_25partition_config_selectorILNS1_17partition_subalgoE4EjNS0_10empty_typeEbEEZZNS1_14partition_implILS8_4ELb0ES6_15HIP_vector_typeIjLj2EENS0_17counting_iteratorIjlEEPS9_SG_NS0_5tupleIJPjSI_NS0_16reverse_iteratorISI_EEEEENSH_IJSG_SG_SG_EEES9_SI_JZNS1_25segmented_radix_sort_implINS0_14default_configELb0EPKfPfPKlPlN2at6native12_GLOBAL__N_18offset_tEEE10hipError_tPvRmT1_PNSt15iterator_traitsIS12_E10value_typeET2_T3_PNS13_IS18_E10value_typeET4_jRbjT5_S1E_jjP12ihipStream_tbEUljE_ZNSN_ISO_Lb0ESQ_SR_ST_SU_SY_EESZ_S10_S11_S12_S16_S17_S18_S1B_S1C_jS1D_jS1E_S1E_jjS1G_bEUljE0_EEESZ_S10_S11_S18_S1C_S1E_T6_T7_T9_mT8_S1G_bDpT10_ENKUlT_T0_E_clISt17integral_constantIbLb0EES1T_IbLb1EEEEDaS1P_S1Q_EUlS1P_E_NS1_11comp_targetILNS1_3genE0ELNS1_11target_archE4294967295ELNS1_3gpuE0ELNS1_3repE0EEENS1_30default_config_static_selectorELNS0_4arch9wavefront6targetE0EEEvS12_,comdat
	.globl	_ZN7rocprim17ROCPRIM_400000_NS6detail17trampoline_kernelINS0_13select_configILj256ELj13ELNS0_17block_load_methodE3ELS4_3ELS4_3ELNS0_20block_scan_algorithmE0ELj4294967295EEENS1_25partition_config_selectorILNS1_17partition_subalgoE4EjNS0_10empty_typeEbEEZZNS1_14partition_implILS8_4ELb0ES6_15HIP_vector_typeIjLj2EENS0_17counting_iteratorIjlEEPS9_SG_NS0_5tupleIJPjSI_NS0_16reverse_iteratorISI_EEEEENSH_IJSG_SG_SG_EEES9_SI_JZNS1_25segmented_radix_sort_implINS0_14default_configELb0EPKfPfPKlPlN2at6native12_GLOBAL__N_18offset_tEEE10hipError_tPvRmT1_PNSt15iterator_traitsIS12_E10value_typeET2_T3_PNS13_IS18_E10value_typeET4_jRbjT5_S1E_jjP12ihipStream_tbEUljE_ZNSN_ISO_Lb0ESQ_SR_ST_SU_SY_EESZ_S10_S11_S12_S16_S17_S18_S1B_S1C_jS1D_jS1E_S1E_jjS1G_bEUljE0_EEESZ_S10_S11_S18_S1C_S1E_T6_T7_T9_mT8_S1G_bDpT10_ENKUlT_T0_E_clISt17integral_constantIbLb0EES1T_IbLb1EEEEDaS1P_S1Q_EUlS1P_E_NS1_11comp_targetILNS1_3genE0ELNS1_11target_archE4294967295ELNS1_3gpuE0ELNS1_3repE0EEENS1_30default_config_static_selectorELNS0_4arch9wavefront6targetE0EEEvS12_ ; -- Begin function _ZN7rocprim17ROCPRIM_400000_NS6detail17trampoline_kernelINS0_13select_configILj256ELj13ELNS0_17block_load_methodE3ELS4_3ELS4_3ELNS0_20block_scan_algorithmE0ELj4294967295EEENS1_25partition_config_selectorILNS1_17partition_subalgoE4EjNS0_10empty_typeEbEEZZNS1_14partition_implILS8_4ELb0ES6_15HIP_vector_typeIjLj2EENS0_17counting_iteratorIjlEEPS9_SG_NS0_5tupleIJPjSI_NS0_16reverse_iteratorISI_EEEEENSH_IJSG_SG_SG_EEES9_SI_JZNS1_25segmented_radix_sort_implINS0_14default_configELb0EPKfPfPKlPlN2at6native12_GLOBAL__N_18offset_tEEE10hipError_tPvRmT1_PNSt15iterator_traitsIS12_E10value_typeET2_T3_PNS13_IS18_E10value_typeET4_jRbjT5_S1E_jjP12ihipStream_tbEUljE_ZNSN_ISO_Lb0ESQ_SR_ST_SU_SY_EESZ_S10_S11_S12_S16_S17_S18_S1B_S1C_jS1D_jS1E_S1E_jjS1G_bEUljE0_EEESZ_S10_S11_S18_S1C_S1E_T6_T7_T9_mT8_S1G_bDpT10_ENKUlT_T0_E_clISt17integral_constantIbLb0EES1T_IbLb1EEEEDaS1P_S1Q_EUlS1P_E_NS1_11comp_targetILNS1_3genE0ELNS1_11target_archE4294967295ELNS1_3gpuE0ELNS1_3repE0EEENS1_30default_config_static_selectorELNS0_4arch9wavefront6targetE0EEEvS12_
	.p2align	8
	.type	_ZN7rocprim17ROCPRIM_400000_NS6detail17trampoline_kernelINS0_13select_configILj256ELj13ELNS0_17block_load_methodE3ELS4_3ELS4_3ELNS0_20block_scan_algorithmE0ELj4294967295EEENS1_25partition_config_selectorILNS1_17partition_subalgoE4EjNS0_10empty_typeEbEEZZNS1_14partition_implILS8_4ELb0ES6_15HIP_vector_typeIjLj2EENS0_17counting_iteratorIjlEEPS9_SG_NS0_5tupleIJPjSI_NS0_16reverse_iteratorISI_EEEEENSH_IJSG_SG_SG_EEES9_SI_JZNS1_25segmented_radix_sort_implINS0_14default_configELb0EPKfPfPKlPlN2at6native12_GLOBAL__N_18offset_tEEE10hipError_tPvRmT1_PNSt15iterator_traitsIS12_E10value_typeET2_T3_PNS13_IS18_E10value_typeET4_jRbjT5_S1E_jjP12ihipStream_tbEUljE_ZNSN_ISO_Lb0ESQ_SR_ST_SU_SY_EESZ_S10_S11_S12_S16_S17_S18_S1B_S1C_jS1D_jS1E_S1E_jjS1G_bEUljE0_EEESZ_S10_S11_S18_S1C_S1E_T6_T7_T9_mT8_S1G_bDpT10_ENKUlT_T0_E_clISt17integral_constantIbLb0EES1T_IbLb1EEEEDaS1P_S1Q_EUlS1P_E_NS1_11comp_targetILNS1_3genE0ELNS1_11target_archE4294967295ELNS1_3gpuE0ELNS1_3repE0EEENS1_30default_config_static_selectorELNS0_4arch9wavefront6targetE0EEEvS12_,@function
_ZN7rocprim17ROCPRIM_400000_NS6detail17trampoline_kernelINS0_13select_configILj256ELj13ELNS0_17block_load_methodE3ELS4_3ELS4_3ELNS0_20block_scan_algorithmE0ELj4294967295EEENS1_25partition_config_selectorILNS1_17partition_subalgoE4EjNS0_10empty_typeEbEEZZNS1_14partition_implILS8_4ELb0ES6_15HIP_vector_typeIjLj2EENS0_17counting_iteratorIjlEEPS9_SG_NS0_5tupleIJPjSI_NS0_16reverse_iteratorISI_EEEEENSH_IJSG_SG_SG_EEES9_SI_JZNS1_25segmented_radix_sort_implINS0_14default_configELb0EPKfPfPKlPlN2at6native12_GLOBAL__N_18offset_tEEE10hipError_tPvRmT1_PNSt15iterator_traitsIS12_E10value_typeET2_T3_PNS13_IS18_E10value_typeET4_jRbjT5_S1E_jjP12ihipStream_tbEUljE_ZNSN_ISO_Lb0ESQ_SR_ST_SU_SY_EESZ_S10_S11_S12_S16_S17_S18_S1B_S1C_jS1D_jS1E_S1E_jjS1G_bEUljE0_EEESZ_S10_S11_S18_S1C_S1E_T6_T7_T9_mT8_S1G_bDpT10_ENKUlT_T0_E_clISt17integral_constantIbLb0EES1T_IbLb1EEEEDaS1P_S1Q_EUlS1P_E_NS1_11comp_targetILNS1_3genE0ELNS1_11target_archE4294967295ELNS1_3gpuE0ELNS1_3repE0EEENS1_30default_config_static_selectorELNS0_4arch9wavefront6targetE0EEEvS12_: ; @_ZN7rocprim17ROCPRIM_400000_NS6detail17trampoline_kernelINS0_13select_configILj256ELj13ELNS0_17block_load_methodE3ELS4_3ELS4_3ELNS0_20block_scan_algorithmE0ELj4294967295EEENS1_25partition_config_selectorILNS1_17partition_subalgoE4EjNS0_10empty_typeEbEEZZNS1_14partition_implILS8_4ELb0ES6_15HIP_vector_typeIjLj2EENS0_17counting_iteratorIjlEEPS9_SG_NS0_5tupleIJPjSI_NS0_16reverse_iteratorISI_EEEEENSH_IJSG_SG_SG_EEES9_SI_JZNS1_25segmented_radix_sort_implINS0_14default_configELb0EPKfPfPKlPlN2at6native12_GLOBAL__N_18offset_tEEE10hipError_tPvRmT1_PNSt15iterator_traitsIS12_E10value_typeET2_T3_PNS13_IS18_E10value_typeET4_jRbjT5_S1E_jjP12ihipStream_tbEUljE_ZNSN_ISO_Lb0ESQ_SR_ST_SU_SY_EESZ_S10_S11_S12_S16_S17_S18_S1B_S1C_jS1D_jS1E_S1E_jjS1G_bEUljE0_EEESZ_S10_S11_S18_S1C_S1E_T6_T7_T9_mT8_S1G_bDpT10_ENKUlT_T0_E_clISt17integral_constantIbLb0EES1T_IbLb1EEEEDaS1P_S1Q_EUlS1P_E_NS1_11comp_targetILNS1_3genE0ELNS1_11target_archE4294967295ELNS1_3gpuE0ELNS1_3repE0EEENS1_30default_config_static_selectorELNS0_4arch9wavefront6targetE0EEEvS12_
; %bb.0:
	.section	.rodata,"a",@progbits
	.p2align	6, 0x0
	.amdhsa_kernel _ZN7rocprim17ROCPRIM_400000_NS6detail17trampoline_kernelINS0_13select_configILj256ELj13ELNS0_17block_load_methodE3ELS4_3ELS4_3ELNS0_20block_scan_algorithmE0ELj4294967295EEENS1_25partition_config_selectorILNS1_17partition_subalgoE4EjNS0_10empty_typeEbEEZZNS1_14partition_implILS8_4ELb0ES6_15HIP_vector_typeIjLj2EENS0_17counting_iteratorIjlEEPS9_SG_NS0_5tupleIJPjSI_NS0_16reverse_iteratorISI_EEEEENSH_IJSG_SG_SG_EEES9_SI_JZNS1_25segmented_radix_sort_implINS0_14default_configELb0EPKfPfPKlPlN2at6native12_GLOBAL__N_18offset_tEEE10hipError_tPvRmT1_PNSt15iterator_traitsIS12_E10value_typeET2_T3_PNS13_IS18_E10value_typeET4_jRbjT5_S1E_jjP12ihipStream_tbEUljE_ZNSN_ISO_Lb0ESQ_SR_ST_SU_SY_EESZ_S10_S11_S12_S16_S17_S18_S1B_S1C_jS1D_jS1E_S1E_jjS1G_bEUljE0_EEESZ_S10_S11_S18_S1C_S1E_T6_T7_T9_mT8_S1G_bDpT10_ENKUlT_T0_E_clISt17integral_constantIbLb0EES1T_IbLb1EEEEDaS1P_S1Q_EUlS1P_E_NS1_11comp_targetILNS1_3genE0ELNS1_11target_archE4294967295ELNS1_3gpuE0ELNS1_3repE0EEENS1_30default_config_static_selectorELNS0_4arch9wavefront6targetE0EEEvS12_
		.amdhsa_group_segment_fixed_size 0
		.amdhsa_private_segment_fixed_size 0
		.amdhsa_kernarg_size 184
		.amdhsa_user_sgpr_count 6
		.amdhsa_user_sgpr_private_segment_buffer 1
		.amdhsa_user_sgpr_dispatch_ptr 0
		.amdhsa_user_sgpr_queue_ptr 0
		.amdhsa_user_sgpr_kernarg_segment_ptr 1
		.amdhsa_user_sgpr_dispatch_id 0
		.amdhsa_user_sgpr_flat_scratch_init 0
		.amdhsa_user_sgpr_private_segment_size 0
		.amdhsa_wavefront_size32 1
		.amdhsa_uses_dynamic_stack 0
		.amdhsa_system_sgpr_private_segment_wavefront_offset 0
		.amdhsa_system_sgpr_workgroup_id_x 1
		.amdhsa_system_sgpr_workgroup_id_y 0
		.amdhsa_system_sgpr_workgroup_id_z 0
		.amdhsa_system_sgpr_workgroup_info 0
		.amdhsa_system_vgpr_workitem_id 0
		.amdhsa_next_free_vgpr 1
		.amdhsa_next_free_sgpr 1
		.amdhsa_reserve_vcc 0
		.amdhsa_reserve_flat_scratch 0
		.amdhsa_float_round_mode_32 0
		.amdhsa_float_round_mode_16_64 0
		.amdhsa_float_denorm_mode_32 3
		.amdhsa_float_denorm_mode_16_64 3
		.amdhsa_dx10_clamp 1
		.amdhsa_ieee_mode 1
		.amdhsa_fp16_overflow 0
		.amdhsa_workgroup_processor_mode 1
		.amdhsa_memory_ordered 1
		.amdhsa_forward_progress 1
		.amdhsa_shared_vgpr_count 0
		.amdhsa_exception_fp_ieee_invalid_op 0
		.amdhsa_exception_fp_denorm_src 0
		.amdhsa_exception_fp_ieee_div_zero 0
		.amdhsa_exception_fp_ieee_overflow 0
		.amdhsa_exception_fp_ieee_underflow 0
		.amdhsa_exception_fp_ieee_inexact 0
		.amdhsa_exception_int_div_zero 0
	.end_amdhsa_kernel
	.section	.text._ZN7rocprim17ROCPRIM_400000_NS6detail17trampoline_kernelINS0_13select_configILj256ELj13ELNS0_17block_load_methodE3ELS4_3ELS4_3ELNS0_20block_scan_algorithmE0ELj4294967295EEENS1_25partition_config_selectorILNS1_17partition_subalgoE4EjNS0_10empty_typeEbEEZZNS1_14partition_implILS8_4ELb0ES6_15HIP_vector_typeIjLj2EENS0_17counting_iteratorIjlEEPS9_SG_NS0_5tupleIJPjSI_NS0_16reverse_iteratorISI_EEEEENSH_IJSG_SG_SG_EEES9_SI_JZNS1_25segmented_radix_sort_implINS0_14default_configELb0EPKfPfPKlPlN2at6native12_GLOBAL__N_18offset_tEEE10hipError_tPvRmT1_PNSt15iterator_traitsIS12_E10value_typeET2_T3_PNS13_IS18_E10value_typeET4_jRbjT5_S1E_jjP12ihipStream_tbEUljE_ZNSN_ISO_Lb0ESQ_SR_ST_SU_SY_EESZ_S10_S11_S12_S16_S17_S18_S1B_S1C_jS1D_jS1E_S1E_jjS1G_bEUljE0_EEESZ_S10_S11_S18_S1C_S1E_T6_T7_T9_mT8_S1G_bDpT10_ENKUlT_T0_E_clISt17integral_constantIbLb0EES1T_IbLb1EEEEDaS1P_S1Q_EUlS1P_E_NS1_11comp_targetILNS1_3genE0ELNS1_11target_archE4294967295ELNS1_3gpuE0ELNS1_3repE0EEENS1_30default_config_static_selectorELNS0_4arch9wavefront6targetE0EEEvS12_,"axG",@progbits,_ZN7rocprim17ROCPRIM_400000_NS6detail17trampoline_kernelINS0_13select_configILj256ELj13ELNS0_17block_load_methodE3ELS4_3ELS4_3ELNS0_20block_scan_algorithmE0ELj4294967295EEENS1_25partition_config_selectorILNS1_17partition_subalgoE4EjNS0_10empty_typeEbEEZZNS1_14partition_implILS8_4ELb0ES6_15HIP_vector_typeIjLj2EENS0_17counting_iteratorIjlEEPS9_SG_NS0_5tupleIJPjSI_NS0_16reverse_iteratorISI_EEEEENSH_IJSG_SG_SG_EEES9_SI_JZNS1_25segmented_radix_sort_implINS0_14default_configELb0EPKfPfPKlPlN2at6native12_GLOBAL__N_18offset_tEEE10hipError_tPvRmT1_PNSt15iterator_traitsIS12_E10value_typeET2_T3_PNS13_IS18_E10value_typeET4_jRbjT5_S1E_jjP12ihipStream_tbEUljE_ZNSN_ISO_Lb0ESQ_SR_ST_SU_SY_EESZ_S10_S11_S12_S16_S17_S18_S1B_S1C_jS1D_jS1E_S1E_jjS1G_bEUljE0_EEESZ_S10_S11_S18_S1C_S1E_T6_T7_T9_mT8_S1G_bDpT10_ENKUlT_T0_E_clISt17integral_constantIbLb0EES1T_IbLb1EEEEDaS1P_S1Q_EUlS1P_E_NS1_11comp_targetILNS1_3genE0ELNS1_11target_archE4294967295ELNS1_3gpuE0ELNS1_3repE0EEENS1_30default_config_static_selectorELNS0_4arch9wavefront6targetE0EEEvS12_,comdat
.Lfunc_end1380:
	.size	_ZN7rocprim17ROCPRIM_400000_NS6detail17trampoline_kernelINS0_13select_configILj256ELj13ELNS0_17block_load_methodE3ELS4_3ELS4_3ELNS0_20block_scan_algorithmE0ELj4294967295EEENS1_25partition_config_selectorILNS1_17partition_subalgoE4EjNS0_10empty_typeEbEEZZNS1_14partition_implILS8_4ELb0ES6_15HIP_vector_typeIjLj2EENS0_17counting_iteratorIjlEEPS9_SG_NS0_5tupleIJPjSI_NS0_16reverse_iteratorISI_EEEEENSH_IJSG_SG_SG_EEES9_SI_JZNS1_25segmented_radix_sort_implINS0_14default_configELb0EPKfPfPKlPlN2at6native12_GLOBAL__N_18offset_tEEE10hipError_tPvRmT1_PNSt15iterator_traitsIS12_E10value_typeET2_T3_PNS13_IS18_E10value_typeET4_jRbjT5_S1E_jjP12ihipStream_tbEUljE_ZNSN_ISO_Lb0ESQ_SR_ST_SU_SY_EESZ_S10_S11_S12_S16_S17_S18_S1B_S1C_jS1D_jS1E_S1E_jjS1G_bEUljE0_EEESZ_S10_S11_S18_S1C_S1E_T6_T7_T9_mT8_S1G_bDpT10_ENKUlT_T0_E_clISt17integral_constantIbLb0EES1T_IbLb1EEEEDaS1P_S1Q_EUlS1P_E_NS1_11comp_targetILNS1_3genE0ELNS1_11target_archE4294967295ELNS1_3gpuE0ELNS1_3repE0EEENS1_30default_config_static_selectorELNS0_4arch9wavefront6targetE0EEEvS12_, .Lfunc_end1380-_ZN7rocprim17ROCPRIM_400000_NS6detail17trampoline_kernelINS0_13select_configILj256ELj13ELNS0_17block_load_methodE3ELS4_3ELS4_3ELNS0_20block_scan_algorithmE0ELj4294967295EEENS1_25partition_config_selectorILNS1_17partition_subalgoE4EjNS0_10empty_typeEbEEZZNS1_14partition_implILS8_4ELb0ES6_15HIP_vector_typeIjLj2EENS0_17counting_iteratorIjlEEPS9_SG_NS0_5tupleIJPjSI_NS0_16reverse_iteratorISI_EEEEENSH_IJSG_SG_SG_EEES9_SI_JZNS1_25segmented_radix_sort_implINS0_14default_configELb0EPKfPfPKlPlN2at6native12_GLOBAL__N_18offset_tEEE10hipError_tPvRmT1_PNSt15iterator_traitsIS12_E10value_typeET2_T3_PNS13_IS18_E10value_typeET4_jRbjT5_S1E_jjP12ihipStream_tbEUljE_ZNSN_ISO_Lb0ESQ_SR_ST_SU_SY_EESZ_S10_S11_S12_S16_S17_S18_S1B_S1C_jS1D_jS1E_S1E_jjS1G_bEUljE0_EEESZ_S10_S11_S18_S1C_S1E_T6_T7_T9_mT8_S1G_bDpT10_ENKUlT_T0_E_clISt17integral_constantIbLb0EES1T_IbLb1EEEEDaS1P_S1Q_EUlS1P_E_NS1_11comp_targetILNS1_3genE0ELNS1_11target_archE4294967295ELNS1_3gpuE0ELNS1_3repE0EEENS1_30default_config_static_selectorELNS0_4arch9wavefront6targetE0EEEvS12_
                                        ; -- End function
	.set _ZN7rocprim17ROCPRIM_400000_NS6detail17trampoline_kernelINS0_13select_configILj256ELj13ELNS0_17block_load_methodE3ELS4_3ELS4_3ELNS0_20block_scan_algorithmE0ELj4294967295EEENS1_25partition_config_selectorILNS1_17partition_subalgoE4EjNS0_10empty_typeEbEEZZNS1_14partition_implILS8_4ELb0ES6_15HIP_vector_typeIjLj2EENS0_17counting_iteratorIjlEEPS9_SG_NS0_5tupleIJPjSI_NS0_16reverse_iteratorISI_EEEEENSH_IJSG_SG_SG_EEES9_SI_JZNS1_25segmented_radix_sort_implINS0_14default_configELb0EPKfPfPKlPlN2at6native12_GLOBAL__N_18offset_tEEE10hipError_tPvRmT1_PNSt15iterator_traitsIS12_E10value_typeET2_T3_PNS13_IS18_E10value_typeET4_jRbjT5_S1E_jjP12ihipStream_tbEUljE_ZNSN_ISO_Lb0ESQ_SR_ST_SU_SY_EESZ_S10_S11_S12_S16_S17_S18_S1B_S1C_jS1D_jS1E_S1E_jjS1G_bEUljE0_EEESZ_S10_S11_S18_S1C_S1E_T6_T7_T9_mT8_S1G_bDpT10_ENKUlT_T0_E_clISt17integral_constantIbLb0EES1T_IbLb1EEEEDaS1P_S1Q_EUlS1P_E_NS1_11comp_targetILNS1_3genE0ELNS1_11target_archE4294967295ELNS1_3gpuE0ELNS1_3repE0EEENS1_30default_config_static_selectorELNS0_4arch9wavefront6targetE0EEEvS12_.num_vgpr, 0
	.set _ZN7rocprim17ROCPRIM_400000_NS6detail17trampoline_kernelINS0_13select_configILj256ELj13ELNS0_17block_load_methodE3ELS4_3ELS4_3ELNS0_20block_scan_algorithmE0ELj4294967295EEENS1_25partition_config_selectorILNS1_17partition_subalgoE4EjNS0_10empty_typeEbEEZZNS1_14partition_implILS8_4ELb0ES6_15HIP_vector_typeIjLj2EENS0_17counting_iteratorIjlEEPS9_SG_NS0_5tupleIJPjSI_NS0_16reverse_iteratorISI_EEEEENSH_IJSG_SG_SG_EEES9_SI_JZNS1_25segmented_radix_sort_implINS0_14default_configELb0EPKfPfPKlPlN2at6native12_GLOBAL__N_18offset_tEEE10hipError_tPvRmT1_PNSt15iterator_traitsIS12_E10value_typeET2_T3_PNS13_IS18_E10value_typeET4_jRbjT5_S1E_jjP12ihipStream_tbEUljE_ZNSN_ISO_Lb0ESQ_SR_ST_SU_SY_EESZ_S10_S11_S12_S16_S17_S18_S1B_S1C_jS1D_jS1E_S1E_jjS1G_bEUljE0_EEESZ_S10_S11_S18_S1C_S1E_T6_T7_T9_mT8_S1G_bDpT10_ENKUlT_T0_E_clISt17integral_constantIbLb0EES1T_IbLb1EEEEDaS1P_S1Q_EUlS1P_E_NS1_11comp_targetILNS1_3genE0ELNS1_11target_archE4294967295ELNS1_3gpuE0ELNS1_3repE0EEENS1_30default_config_static_selectorELNS0_4arch9wavefront6targetE0EEEvS12_.num_agpr, 0
	.set _ZN7rocprim17ROCPRIM_400000_NS6detail17trampoline_kernelINS0_13select_configILj256ELj13ELNS0_17block_load_methodE3ELS4_3ELS4_3ELNS0_20block_scan_algorithmE0ELj4294967295EEENS1_25partition_config_selectorILNS1_17partition_subalgoE4EjNS0_10empty_typeEbEEZZNS1_14partition_implILS8_4ELb0ES6_15HIP_vector_typeIjLj2EENS0_17counting_iteratorIjlEEPS9_SG_NS0_5tupleIJPjSI_NS0_16reverse_iteratorISI_EEEEENSH_IJSG_SG_SG_EEES9_SI_JZNS1_25segmented_radix_sort_implINS0_14default_configELb0EPKfPfPKlPlN2at6native12_GLOBAL__N_18offset_tEEE10hipError_tPvRmT1_PNSt15iterator_traitsIS12_E10value_typeET2_T3_PNS13_IS18_E10value_typeET4_jRbjT5_S1E_jjP12ihipStream_tbEUljE_ZNSN_ISO_Lb0ESQ_SR_ST_SU_SY_EESZ_S10_S11_S12_S16_S17_S18_S1B_S1C_jS1D_jS1E_S1E_jjS1G_bEUljE0_EEESZ_S10_S11_S18_S1C_S1E_T6_T7_T9_mT8_S1G_bDpT10_ENKUlT_T0_E_clISt17integral_constantIbLb0EES1T_IbLb1EEEEDaS1P_S1Q_EUlS1P_E_NS1_11comp_targetILNS1_3genE0ELNS1_11target_archE4294967295ELNS1_3gpuE0ELNS1_3repE0EEENS1_30default_config_static_selectorELNS0_4arch9wavefront6targetE0EEEvS12_.numbered_sgpr, 0
	.set _ZN7rocprim17ROCPRIM_400000_NS6detail17trampoline_kernelINS0_13select_configILj256ELj13ELNS0_17block_load_methodE3ELS4_3ELS4_3ELNS0_20block_scan_algorithmE0ELj4294967295EEENS1_25partition_config_selectorILNS1_17partition_subalgoE4EjNS0_10empty_typeEbEEZZNS1_14partition_implILS8_4ELb0ES6_15HIP_vector_typeIjLj2EENS0_17counting_iteratorIjlEEPS9_SG_NS0_5tupleIJPjSI_NS0_16reverse_iteratorISI_EEEEENSH_IJSG_SG_SG_EEES9_SI_JZNS1_25segmented_radix_sort_implINS0_14default_configELb0EPKfPfPKlPlN2at6native12_GLOBAL__N_18offset_tEEE10hipError_tPvRmT1_PNSt15iterator_traitsIS12_E10value_typeET2_T3_PNS13_IS18_E10value_typeET4_jRbjT5_S1E_jjP12ihipStream_tbEUljE_ZNSN_ISO_Lb0ESQ_SR_ST_SU_SY_EESZ_S10_S11_S12_S16_S17_S18_S1B_S1C_jS1D_jS1E_S1E_jjS1G_bEUljE0_EEESZ_S10_S11_S18_S1C_S1E_T6_T7_T9_mT8_S1G_bDpT10_ENKUlT_T0_E_clISt17integral_constantIbLb0EES1T_IbLb1EEEEDaS1P_S1Q_EUlS1P_E_NS1_11comp_targetILNS1_3genE0ELNS1_11target_archE4294967295ELNS1_3gpuE0ELNS1_3repE0EEENS1_30default_config_static_selectorELNS0_4arch9wavefront6targetE0EEEvS12_.num_named_barrier, 0
	.set _ZN7rocprim17ROCPRIM_400000_NS6detail17trampoline_kernelINS0_13select_configILj256ELj13ELNS0_17block_load_methodE3ELS4_3ELS4_3ELNS0_20block_scan_algorithmE0ELj4294967295EEENS1_25partition_config_selectorILNS1_17partition_subalgoE4EjNS0_10empty_typeEbEEZZNS1_14partition_implILS8_4ELb0ES6_15HIP_vector_typeIjLj2EENS0_17counting_iteratorIjlEEPS9_SG_NS0_5tupleIJPjSI_NS0_16reverse_iteratorISI_EEEEENSH_IJSG_SG_SG_EEES9_SI_JZNS1_25segmented_radix_sort_implINS0_14default_configELb0EPKfPfPKlPlN2at6native12_GLOBAL__N_18offset_tEEE10hipError_tPvRmT1_PNSt15iterator_traitsIS12_E10value_typeET2_T3_PNS13_IS18_E10value_typeET4_jRbjT5_S1E_jjP12ihipStream_tbEUljE_ZNSN_ISO_Lb0ESQ_SR_ST_SU_SY_EESZ_S10_S11_S12_S16_S17_S18_S1B_S1C_jS1D_jS1E_S1E_jjS1G_bEUljE0_EEESZ_S10_S11_S18_S1C_S1E_T6_T7_T9_mT8_S1G_bDpT10_ENKUlT_T0_E_clISt17integral_constantIbLb0EES1T_IbLb1EEEEDaS1P_S1Q_EUlS1P_E_NS1_11comp_targetILNS1_3genE0ELNS1_11target_archE4294967295ELNS1_3gpuE0ELNS1_3repE0EEENS1_30default_config_static_selectorELNS0_4arch9wavefront6targetE0EEEvS12_.private_seg_size, 0
	.set _ZN7rocprim17ROCPRIM_400000_NS6detail17trampoline_kernelINS0_13select_configILj256ELj13ELNS0_17block_load_methodE3ELS4_3ELS4_3ELNS0_20block_scan_algorithmE0ELj4294967295EEENS1_25partition_config_selectorILNS1_17partition_subalgoE4EjNS0_10empty_typeEbEEZZNS1_14partition_implILS8_4ELb0ES6_15HIP_vector_typeIjLj2EENS0_17counting_iteratorIjlEEPS9_SG_NS0_5tupleIJPjSI_NS0_16reverse_iteratorISI_EEEEENSH_IJSG_SG_SG_EEES9_SI_JZNS1_25segmented_radix_sort_implINS0_14default_configELb0EPKfPfPKlPlN2at6native12_GLOBAL__N_18offset_tEEE10hipError_tPvRmT1_PNSt15iterator_traitsIS12_E10value_typeET2_T3_PNS13_IS18_E10value_typeET4_jRbjT5_S1E_jjP12ihipStream_tbEUljE_ZNSN_ISO_Lb0ESQ_SR_ST_SU_SY_EESZ_S10_S11_S12_S16_S17_S18_S1B_S1C_jS1D_jS1E_S1E_jjS1G_bEUljE0_EEESZ_S10_S11_S18_S1C_S1E_T6_T7_T9_mT8_S1G_bDpT10_ENKUlT_T0_E_clISt17integral_constantIbLb0EES1T_IbLb1EEEEDaS1P_S1Q_EUlS1P_E_NS1_11comp_targetILNS1_3genE0ELNS1_11target_archE4294967295ELNS1_3gpuE0ELNS1_3repE0EEENS1_30default_config_static_selectorELNS0_4arch9wavefront6targetE0EEEvS12_.uses_vcc, 0
	.set _ZN7rocprim17ROCPRIM_400000_NS6detail17trampoline_kernelINS0_13select_configILj256ELj13ELNS0_17block_load_methodE3ELS4_3ELS4_3ELNS0_20block_scan_algorithmE0ELj4294967295EEENS1_25partition_config_selectorILNS1_17partition_subalgoE4EjNS0_10empty_typeEbEEZZNS1_14partition_implILS8_4ELb0ES6_15HIP_vector_typeIjLj2EENS0_17counting_iteratorIjlEEPS9_SG_NS0_5tupleIJPjSI_NS0_16reverse_iteratorISI_EEEEENSH_IJSG_SG_SG_EEES9_SI_JZNS1_25segmented_radix_sort_implINS0_14default_configELb0EPKfPfPKlPlN2at6native12_GLOBAL__N_18offset_tEEE10hipError_tPvRmT1_PNSt15iterator_traitsIS12_E10value_typeET2_T3_PNS13_IS18_E10value_typeET4_jRbjT5_S1E_jjP12ihipStream_tbEUljE_ZNSN_ISO_Lb0ESQ_SR_ST_SU_SY_EESZ_S10_S11_S12_S16_S17_S18_S1B_S1C_jS1D_jS1E_S1E_jjS1G_bEUljE0_EEESZ_S10_S11_S18_S1C_S1E_T6_T7_T9_mT8_S1G_bDpT10_ENKUlT_T0_E_clISt17integral_constantIbLb0EES1T_IbLb1EEEEDaS1P_S1Q_EUlS1P_E_NS1_11comp_targetILNS1_3genE0ELNS1_11target_archE4294967295ELNS1_3gpuE0ELNS1_3repE0EEENS1_30default_config_static_selectorELNS0_4arch9wavefront6targetE0EEEvS12_.uses_flat_scratch, 0
	.set _ZN7rocprim17ROCPRIM_400000_NS6detail17trampoline_kernelINS0_13select_configILj256ELj13ELNS0_17block_load_methodE3ELS4_3ELS4_3ELNS0_20block_scan_algorithmE0ELj4294967295EEENS1_25partition_config_selectorILNS1_17partition_subalgoE4EjNS0_10empty_typeEbEEZZNS1_14partition_implILS8_4ELb0ES6_15HIP_vector_typeIjLj2EENS0_17counting_iteratorIjlEEPS9_SG_NS0_5tupleIJPjSI_NS0_16reverse_iteratorISI_EEEEENSH_IJSG_SG_SG_EEES9_SI_JZNS1_25segmented_radix_sort_implINS0_14default_configELb0EPKfPfPKlPlN2at6native12_GLOBAL__N_18offset_tEEE10hipError_tPvRmT1_PNSt15iterator_traitsIS12_E10value_typeET2_T3_PNS13_IS18_E10value_typeET4_jRbjT5_S1E_jjP12ihipStream_tbEUljE_ZNSN_ISO_Lb0ESQ_SR_ST_SU_SY_EESZ_S10_S11_S12_S16_S17_S18_S1B_S1C_jS1D_jS1E_S1E_jjS1G_bEUljE0_EEESZ_S10_S11_S18_S1C_S1E_T6_T7_T9_mT8_S1G_bDpT10_ENKUlT_T0_E_clISt17integral_constantIbLb0EES1T_IbLb1EEEEDaS1P_S1Q_EUlS1P_E_NS1_11comp_targetILNS1_3genE0ELNS1_11target_archE4294967295ELNS1_3gpuE0ELNS1_3repE0EEENS1_30default_config_static_selectorELNS0_4arch9wavefront6targetE0EEEvS12_.has_dyn_sized_stack, 0
	.set _ZN7rocprim17ROCPRIM_400000_NS6detail17trampoline_kernelINS0_13select_configILj256ELj13ELNS0_17block_load_methodE3ELS4_3ELS4_3ELNS0_20block_scan_algorithmE0ELj4294967295EEENS1_25partition_config_selectorILNS1_17partition_subalgoE4EjNS0_10empty_typeEbEEZZNS1_14partition_implILS8_4ELb0ES6_15HIP_vector_typeIjLj2EENS0_17counting_iteratorIjlEEPS9_SG_NS0_5tupleIJPjSI_NS0_16reverse_iteratorISI_EEEEENSH_IJSG_SG_SG_EEES9_SI_JZNS1_25segmented_radix_sort_implINS0_14default_configELb0EPKfPfPKlPlN2at6native12_GLOBAL__N_18offset_tEEE10hipError_tPvRmT1_PNSt15iterator_traitsIS12_E10value_typeET2_T3_PNS13_IS18_E10value_typeET4_jRbjT5_S1E_jjP12ihipStream_tbEUljE_ZNSN_ISO_Lb0ESQ_SR_ST_SU_SY_EESZ_S10_S11_S12_S16_S17_S18_S1B_S1C_jS1D_jS1E_S1E_jjS1G_bEUljE0_EEESZ_S10_S11_S18_S1C_S1E_T6_T7_T9_mT8_S1G_bDpT10_ENKUlT_T0_E_clISt17integral_constantIbLb0EES1T_IbLb1EEEEDaS1P_S1Q_EUlS1P_E_NS1_11comp_targetILNS1_3genE0ELNS1_11target_archE4294967295ELNS1_3gpuE0ELNS1_3repE0EEENS1_30default_config_static_selectorELNS0_4arch9wavefront6targetE0EEEvS12_.has_recursion, 0
	.set _ZN7rocprim17ROCPRIM_400000_NS6detail17trampoline_kernelINS0_13select_configILj256ELj13ELNS0_17block_load_methodE3ELS4_3ELS4_3ELNS0_20block_scan_algorithmE0ELj4294967295EEENS1_25partition_config_selectorILNS1_17partition_subalgoE4EjNS0_10empty_typeEbEEZZNS1_14partition_implILS8_4ELb0ES6_15HIP_vector_typeIjLj2EENS0_17counting_iteratorIjlEEPS9_SG_NS0_5tupleIJPjSI_NS0_16reverse_iteratorISI_EEEEENSH_IJSG_SG_SG_EEES9_SI_JZNS1_25segmented_radix_sort_implINS0_14default_configELb0EPKfPfPKlPlN2at6native12_GLOBAL__N_18offset_tEEE10hipError_tPvRmT1_PNSt15iterator_traitsIS12_E10value_typeET2_T3_PNS13_IS18_E10value_typeET4_jRbjT5_S1E_jjP12ihipStream_tbEUljE_ZNSN_ISO_Lb0ESQ_SR_ST_SU_SY_EESZ_S10_S11_S12_S16_S17_S18_S1B_S1C_jS1D_jS1E_S1E_jjS1G_bEUljE0_EEESZ_S10_S11_S18_S1C_S1E_T6_T7_T9_mT8_S1G_bDpT10_ENKUlT_T0_E_clISt17integral_constantIbLb0EES1T_IbLb1EEEEDaS1P_S1Q_EUlS1P_E_NS1_11comp_targetILNS1_3genE0ELNS1_11target_archE4294967295ELNS1_3gpuE0ELNS1_3repE0EEENS1_30default_config_static_selectorELNS0_4arch9wavefront6targetE0EEEvS12_.has_indirect_call, 0
	.section	.AMDGPU.csdata,"",@progbits
; Kernel info:
; codeLenInByte = 0
; TotalNumSgprs: 0
; NumVgprs: 0
; ScratchSize: 0
; MemoryBound: 0
; FloatMode: 240
; IeeeMode: 1
; LDSByteSize: 0 bytes/workgroup (compile time only)
; SGPRBlocks: 0
; VGPRBlocks: 0
; NumSGPRsForWavesPerEU: 1
; NumVGPRsForWavesPerEU: 1
; Occupancy: 16
; WaveLimiterHint : 0
; COMPUTE_PGM_RSRC2:SCRATCH_EN: 0
; COMPUTE_PGM_RSRC2:USER_SGPR: 6
; COMPUTE_PGM_RSRC2:TRAP_HANDLER: 0
; COMPUTE_PGM_RSRC2:TGID_X_EN: 1
; COMPUTE_PGM_RSRC2:TGID_Y_EN: 0
; COMPUTE_PGM_RSRC2:TGID_Z_EN: 0
; COMPUTE_PGM_RSRC2:TIDIG_COMP_CNT: 0
	.section	.text._ZN7rocprim17ROCPRIM_400000_NS6detail17trampoline_kernelINS0_13select_configILj256ELj13ELNS0_17block_load_methodE3ELS4_3ELS4_3ELNS0_20block_scan_algorithmE0ELj4294967295EEENS1_25partition_config_selectorILNS1_17partition_subalgoE4EjNS0_10empty_typeEbEEZZNS1_14partition_implILS8_4ELb0ES6_15HIP_vector_typeIjLj2EENS0_17counting_iteratorIjlEEPS9_SG_NS0_5tupleIJPjSI_NS0_16reverse_iteratorISI_EEEEENSH_IJSG_SG_SG_EEES9_SI_JZNS1_25segmented_radix_sort_implINS0_14default_configELb0EPKfPfPKlPlN2at6native12_GLOBAL__N_18offset_tEEE10hipError_tPvRmT1_PNSt15iterator_traitsIS12_E10value_typeET2_T3_PNS13_IS18_E10value_typeET4_jRbjT5_S1E_jjP12ihipStream_tbEUljE_ZNSN_ISO_Lb0ESQ_SR_ST_SU_SY_EESZ_S10_S11_S12_S16_S17_S18_S1B_S1C_jS1D_jS1E_S1E_jjS1G_bEUljE0_EEESZ_S10_S11_S18_S1C_S1E_T6_T7_T9_mT8_S1G_bDpT10_ENKUlT_T0_E_clISt17integral_constantIbLb0EES1T_IbLb1EEEEDaS1P_S1Q_EUlS1P_E_NS1_11comp_targetILNS1_3genE5ELNS1_11target_archE942ELNS1_3gpuE9ELNS1_3repE0EEENS1_30default_config_static_selectorELNS0_4arch9wavefront6targetE0EEEvS12_,"axG",@progbits,_ZN7rocprim17ROCPRIM_400000_NS6detail17trampoline_kernelINS0_13select_configILj256ELj13ELNS0_17block_load_methodE3ELS4_3ELS4_3ELNS0_20block_scan_algorithmE0ELj4294967295EEENS1_25partition_config_selectorILNS1_17partition_subalgoE4EjNS0_10empty_typeEbEEZZNS1_14partition_implILS8_4ELb0ES6_15HIP_vector_typeIjLj2EENS0_17counting_iteratorIjlEEPS9_SG_NS0_5tupleIJPjSI_NS0_16reverse_iteratorISI_EEEEENSH_IJSG_SG_SG_EEES9_SI_JZNS1_25segmented_radix_sort_implINS0_14default_configELb0EPKfPfPKlPlN2at6native12_GLOBAL__N_18offset_tEEE10hipError_tPvRmT1_PNSt15iterator_traitsIS12_E10value_typeET2_T3_PNS13_IS18_E10value_typeET4_jRbjT5_S1E_jjP12ihipStream_tbEUljE_ZNSN_ISO_Lb0ESQ_SR_ST_SU_SY_EESZ_S10_S11_S12_S16_S17_S18_S1B_S1C_jS1D_jS1E_S1E_jjS1G_bEUljE0_EEESZ_S10_S11_S18_S1C_S1E_T6_T7_T9_mT8_S1G_bDpT10_ENKUlT_T0_E_clISt17integral_constantIbLb0EES1T_IbLb1EEEEDaS1P_S1Q_EUlS1P_E_NS1_11comp_targetILNS1_3genE5ELNS1_11target_archE942ELNS1_3gpuE9ELNS1_3repE0EEENS1_30default_config_static_selectorELNS0_4arch9wavefront6targetE0EEEvS12_,comdat
	.globl	_ZN7rocprim17ROCPRIM_400000_NS6detail17trampoline_kernelINS0_13select_configILj256ELj13ELNS0_17block_load_methodE3ELS4_3ELS4_3ELNS0_20block_scan_algorithmE0ELj4294967295EEENS1_25partition_config_selectorILNS1_17partition_subalgoE4EjNS0_10empty_typeEbEEZZNS1_14partition_implILS8_4ELb0ES6_15HIP_vector_typeIjLj2EENS0_17counting_iteratorIjlEEPS9_SG_NS0_5tupleIJPjSI_NS0_16reverse_iteratorISI_EEEEENSH_IJSG_SG_SG_EEES9_SI_JZNS1_25segmented_radix_sort_implINS0_14default_configELb0EPKfPfPKlPlN2at6native12_GLOBAL__N_18offset_tEEE10hipError_tPvRmT1_PNSt15iterator_traitsIS12_E10value_typeET2_T3_PNS13_IS18_E10value_typeET4_jRbjT5_S1E_jjP12ihipStream_tbEUljE_ZNSN_ISO_Lb0ESQ_SR_ST_SU_SY_EESZ_S10_S11_S12_S16_S17_S18_S1B_S1C_jS1D_jS1E_S1E_jjS1G_bEUljE0_EEESZ_S10_S11_S18_S1C_S1E_T6_T7_T9_mT8_S1G_bDpT10_ENKUlT_T0_E_clISt17integral_constantIbLb0EES1T_IbLb1EEEEDaS1P_S1Q_EUlS1P_E_NS1_11comp_targetILNS1_3genE5ELNS1_11target_archE942ELNS1_3gpuE9ELNS1_3repE0EEENS1_30default_config_static_selectorELNS0_4arch9wavefront6targetE0EEEvS12_ ; -- Begin function _ZN7rocprim17ROCPRIM_400000_NS6detail17trampoline_kernelINS0_13select_configILj256ELj13ELNS0_17block_load_methodE3ELS4_3ELS4_3ELNS0_20block_scan_algorithmE0ELj4294967295EEENS1_25partition_config_selectorILNS1_17partition_subalgoE4EjNS0_10empty_typeEbEEZZNS1_14partition_implILS8_4ELb0ES6_15HIP_vector_typeIjLj2EENS0_17counting_iteratorIjlEEPS9_SG_NS0_5tupleIJPjSI_NS0_16reverse_iteratorISI_EEEEENSH_IJSG_SG_SG_EEES9_SI_JZNS1_25segmented_radix_sort_implINS0_14default_configELb0EPKfPfPKlPlN2at6native12_GLOBAL__N_18offset_tEEE10hipError_tPvRmT1_PNSt15iterator_traitsIS12_E10value_typeET2_T3_PNS13_IS18_E10value_typeET4_jRbjT5_S1E_jjP12ihipStream_tbEUljE_ZNSN_ISO_Lb0ESQ_SR_ST_SU_SY_EESZ_S10_S11_S12_S16_S17_S18_S1B_S1C_jS1D_jS1E_S1E_jjS1G_bEUljE0_EEESZ_S10_S11_S18_S1C_S1E_T6_T7_T9_mT8_S1G_bDpT10_ENKUlT_T0_E_clISt17integral_constantIbLb0EES1T_IbLb1EEEEDaS1P_S1Q_EUlS1P_E_NS1_11comp_targetILNS1_3genE5ELNS1_11target_archE942ELNS1_3gpuE9ELNS1_3repE0EEENS1_30default_config_static_selectorELNS0_4arch9wavefront6targetE0EEEvS12_
	.p2align	8
	.type	_ZN7rocprim17ROCPRIM_400000_NS6detail17trampoline_kernelINS0_13select_configILj256ELj13ELNS0_17block_load_methodE3ELS4_3ELS4_3ELNS0_20block_scan_algorithmE0ELj4294967295EEENS1_25partition_config_selectorILNS1_17partition_subalgoE4EjNS0_10empty_typeEbEEZZNS1_14partition_implILS8_4ELb0ES6_15HIP_vector_typeIjLj2EENS0_17counting_iteratorIjlEEPS9_SG_NS0_5tupleIJPjSI_NS0_16reverse_iteratorISI_EEEEENSH_IJSG_SG_SG_EEES9_SI_JZNS1_25segmented_radix_sort_implINS0_14default_configELb0EPKfPfPKlPlN2at6native12_GLOBAL__N_18offset_tEEE10hipError_tPvRmT1_PNSt15iterator_traitsIS12_E10value_typeET2_T3_PNS13_IS18_E10value_typeET4_jRbjT5_S1E_jjP12ihipStream_tbEUljE_ZNSN_ISO_Lb0ESQ_SR_ST_SU_SY_EESZ_S10_S11_S12_S16_S17_S18_S1B_S1C_jS1D_jS1E_S1E_jjS1G_bEUljE0_EEESZ_S10_S11_S18_S1C_S1E_T6_T7_T9_mT8_S1G_bDpT10_ENKUlT_T0_E_clISt17integral_constantIbLb0EES1T_IbLb1EEEEDaS1P_S1Q_EUlS1P_E_NS1_11comp_targetILNS1_3genE5ELNS1_11target_archE942ELNS1_3gpuE9ELNS1_3repE0EEENS1_30default_config_static_selectorELNS0_4arch9wavefront6targetE0EEEvS12_,@function
_ZN7rocprim17ROCPRIM_400000_NS6detail17trampoline_kernelINS0_13select_configILj256ELj13ELNS0_17block_load_methodE3ELS4_3ELS4_3ELNS0_20block_scan_algorithmE0ELj4294967295EEENS1_25partition_config_selectorILNS1_17partition_subalgoE4EjNS0_10empty_typeEbEEZZNS1_14partition_implILS8_4ELb0ES6_15HIP_vector_typeIjLj2EENS0_17counting_iteratorIjlEEPS9_SG_NS0_5tupleIJPjSI_NS0_16reverse_iteratorISI_EEEEENSH_IJSG_SG_SG_EEES9_SI_JZNS1_25segmented_radix_sort_implINS0_14default_configELb0EPKfPfPKlPlN2at6native12_GLOBAL__N_18offset_tEEE10hipError_tPvRmT1_PNSt15iterator_traitsIS12_E10value_typeET2_T3_PNS13_IS18_E10value_typeET4_jRbjT5_S1E_jjP12ihipStream_tbEUljE_ZNSN_ISO_Lb0ESQ_SR_ST_SU_SY_EESZ_S10_S11_S12_S16_S17_S18_S1B_S1C_jS1D_jS1E_S1E_jjS1G_bEUljE0_EEESZ_S10_S11_S18_S1C_S1E_T6_T7_T9_mT8_S1G_bDpT10_ENKUlT_T0_E_clISt17integral_constantIbLb0EES1T_IbLb1EEEEDaS1P_S1Q_EUlS1P_E_NS1_11comp_targetILNS1_3genE5ELNS1_11target_archE942ELNS1_3gpuE9ELNS1_3repE0EEENS1_30default_config_static_selectorELNS0_4arch9wavefront6targetE0EEEvS12_: ; @_ZN7rocprim17ROCPRIM_400000_NS6detail17trampoline_kernelINS0_13select_configILj256ELj13ELNS0_17block_load_methodE3ELS4_3ELS4_3ELNS0_20block_scan_algorithmE0ELj4294967295EEENS1_25partition_config_selectorILNS1_17partition_subalgoE4EjNS0_10empty_typeEbEEZZNS1_14partition_implILS8_4ELb0ES6_15HIP_vector_typeIjLj2EENS0_17counting_iteratorIjlEEPS9_SG_NS0_5tupleIJPjSI_NS0_16reverse_iteratorISI_EEEEENSH_IJSG_SG_SG_EEES9_SI_JZNS1_25segmented_radix_sort_implINS0_14default_configELb0EPKfPfPKlPlN2at6native12_GLOBAL__N_18offset_tEEE10hipError_tPvRmT1_PNSt15iterator_traitsIS12_E10value_typeET2_T3_PNS13_IS18_E10value_typeET4_jRbjT5_S1E_jjP12ihipStream_tbEUljE_ZNSN_ISO_Lb0ESQ_SR_ST_SU_SY_EESZ_S10_S11_S12_S16_S17_S18_S1B_S1C_jS1D_jS1E_S1E_jjS1G_bEUljE0_EEESZ_S10_S11_S18_S1C_S1E_T6_T7_T9_mT8_S1G_bDpT10_ENKUlT_T0_E_clISt17integral_constantIbLb0EES1T_IbLb1EEEEDaS1P_S1Q_EUlS1P_E_NS1_11comp_targetILNS1_3genE5ELNS1_11target_archE942ELNS1_3gpuE9ELNS1_3repE0EEENS1_30default_config_static_selectorELNS0_4arch9wavefront6targetE0EEEvS12_
; %bb.0:
	.section	.rodata,"a",@progbits
	.p2align	6, 0x0
	.amdhsa_kernel _ZN7rocprim17ROCPRIM_400000_NS6detail17trampoline_kernelINS0_13select_configILj256ELj13ELNS0_17block_load_methodE3ELS4_3ELS4_3ELNS0_20block_scan_algorithmE0ELj4294967295EEENS1_25partition_config_selectorILNS1_17partition_subalgoE4EjNS0_10empty_typeEbEEZZNS1_14partition_implILS8_4ELb0ES6_15HIP_vector_typeIjLj2EENS0_17counting_iteratorIjlEEPS9_SG_NS0_5tupleIJPjSI_NS0_16reverse_iteratorISI_EEEEENSH_IJSG_SG_SG_EEES9_SI_JZNS1_25segmented_radix_sort_implINS0_14default_configELb0EPKfPfPKlPlN2at6native12_GLOBAL__N_18offset_tEEE10hipError_tPvRmT1_PNSt15iterator_traitsIS12_E10value_typeET2_T3_PNS13_IS18_E10value_typeET4_jRbjT5_S1E_jjP12ihipStream_tbEUljE_ZNSN_ISO_Lb0ESQ_SR_ST_SU_SY_EESZ_S10_S11_S12_S16_S17_S18_S1B_S1C_jS1D_jS1E_S1E_jjS1G_bEUljE0_EEESZ_S10_S11_S18_S1C_S1E_T6_T7_T9_mT8_S1G_bDpT10_ENKUlT_T0_E_clISt17integral_constantIbLb0EES1T_IbLb1EEEEDaS1P_S1Q_EUlS1P_E_NS1_11comp_targetILNS1_3genE5ELNS1_11target_archE942ELNS1_3gpuE9ELNS1_3repE0EEENS1_30default_config_static_selectorELNS0_4arch9wavefront6targetE0EEEvS12_
		.amdhsa_group_segment_fixed_size 0
		.amdhsa_private_segment_fixed_size 0
		.amdhsa_kernarg_size 184
		.amdhsa_user_sgpr_count 6
		.amdhsa_user_sgpr_private_segment_buffer 1
		.amdhsa_user_sgpr_dispatch_ptr 0
		.amdhsa_user_sgpr_queue_ptr 0
		.amdhsa_user_sgpr_kernarg_segment_ptr 1
		.amdhsa_user_sgpr_dispatch_id 0
		.amdhsa_user_sgpr_flat_scratch_init 0
		.amdhsa_user_sgpr_private_segment_size 0
		.amdhsa_wavefront_size32 1
		.amdhsa_uses_dynamic_stack 0
		.amdhsa_system_sgpr_private_segment_wavefront_offset 0
		.amdhsa_system_sgpr_workgroup_id_x 1
		.amdhsa_system_sgpr_workgroup_id_y 0
		.amdhsa_system_sgpr_workgroup_id_z 0
		.amdhsa_system_sgpr_workgroup_info 0
		.amdhsa_system_vgpr_workitem_id 0
		.amdhsa_next_free_vgpr 1
		.amdhsa_next_free_sgpr 1
		.amdhsa_reserve_vcc 0
		.amdhsa_reserve_flat_scratch 0
		.amdhsa_float_round_mode_32 0
		.amdhsa_float_round_mode_16_64 0
		.amdhsa_float_denorm_mode_32 3
		.amdhsa_float_denorm_mode_16_64 3
		.amdhsa_dx10_clamp 1
		.amdhsa_ieee_mode 1
		.amdhsa_fp16_overflow 0
		.amdhsa_workgroup_processor_mode 1
		.amdhsa_memory_ordered 1
		.amdhsa_forward_progress 1
		.amdhsa_shared_vgpr_count 0
		.amdhsa_exception_fp_ieee_invalid_op 0
		.amdhsa_exception_fp_denorm_src 0
		.amdhsa_exception_fp_ieee_div_zero 0
		.amdhsa_exception_fp_ieee_overflow 0
		.amdhsa_exception_fp_ieee_underflow 0
		.amdhsa_exception_fp_ieee_inexact 0
		.amdhsa_exception_int_div_zero 0
	.end_amdhsa_kernel
	.section	.text._ZN7rocprim17ROCPRIM_400000_NS6detail17trampoline_kernelINS0_13select_configILj256ELj13ELNS0_17block_load_methodE3ELS4_3ELS4_3ELNS0_20block_scan_algorithmE0ELj4294967295EEENS1_25partition_config_selectorILNS1_17partition_subalgoE4EjNS0_10empty_typeEbEEZZNS1_14partition_implILS8_4ELb0ES6_15HIP_vector_typeIjLj2EENS0_17counting_iteratorIjlEEPS9_SG_NS0_5tupleIJPjSI_NS0_16reverse_iteratorISI_EEEEENSH_IJSG_SG_SG_EEES9_SI_JZNS1_25segmented_radix_sort_implINS0_14default_configELb0EPKfPfPKlPlN2at6native12_GLOBAL__N_18offset_tEEE10hipError_tPvRmT1_PNSt15iterator_traitsIS12_E10value_typeET2_T3_PNS13_IS18_E10value_typeET4_jRbjT5_S1E_jjP12ihipStream_tbEUljE_ZNSN_ISO_Lb0ESQ_SR_ST_SU_SY_EESZ_S10_S11_S12_S16_S17_S18_S1B_S1C_jS1D_jS1E_S1E_jjS1G_bEUljE0_EEESZ_S10_S11_S18_S1C_S1E_T6_T7_T9_mT8_S1G_bDpT10_ENKUlT_T0_E_clISt17integral_constantIbLb0EES1T_IbLb1EEEEDaS1P_S1Q_EUlS1P_E_NS1_11comp_targetILNS1_3genE5ELNS1_11target_archE942ELNS1_3gpuE9ELNS1_3repE0EEENS1_30default_config_static_selectorELNS0_4arch9wavefront6targetE0EEEvS12_,"axG",@progbits,_ZN7rocprim17ROCPRIM_400000_NS6detail17trampoline_kernelINS0_13select_configILj256ELj13ELNS0_17block_load_methodE3ELS4_3ELS4_3ELNS0_20block_scan_algorithmE0ELj4294967295EEENS1_25partition_config_selectorILNS1_17partition_subalgoE4EjNS0_10empty_typeEbEEZZNS1_14partition_implILS8_4ELb0ES6_15HIP_vector_typeIjLj2EENS0_17counting_iteratorIjlEEPS9_SG_NS0_5tupleIJPjSI_NS0_16reverse_iteratorISI_EEEEENSH_IJSG_SG_SG_EEES9_SI_JZNS1_25segmented_radix_sort_implINS0_14default_configELb0EPKfPfPKlPlN2at6native12_GLOBAL__N_18offset_tEEE10hipError_tPvRmT1_PNSt15iterator_traitsIS12_E10value_typeET2_T3_PNS13_IS18_E10value_typeET4_jRbjT5_S1E_jjP12ihipStream_tbEUljE_ZNSN_ISO_Lb0ESQ_SR_ST_SU_SY_EESZ_S10_S11_S12_S16_S17_S18_S1B_S1C_jS1D_jS1E_S1E_jjS1G_bEUljE0_EEESZ_S10_S11_S18_S1C_S1E_T6_T7_T9_mT8_S1G_bDpT10_ENKUlT_T0_E_clISt17integral_constantIbLb0EES1T_IbLb1EEEEDaS1P_S1Q_EUlS1P_E_NS1_11comp_targetILNS1_3genE5ELNS1_11target_archE942ELNS1_3gpuE9ELNS1_3repE0EEENS1_30default_config_static_selectorELNS0_4arch9wavefront6targetE0EEEvS12_,comdat
.Lfunc_end1381:
	.size	_ZN7rocprim17ROCPRIM_400000_NS6detail17trampoline_kernelINS0_13select_configILj256ELj13ELNS0_17block_load_methodE3ELS4_3ELS4_3ELNS0_20block_scan_algorithmE0ELj4294967295EEENS1_25partition_config_selectorILNS1_17partition_subalgoE4EjNS0_10empty_typeEbEEZZNS1_14partition_implILS8_4ELb0ES6_15HIP_vector_typeIjLj2EENS0_17counting_iteratorIjlEEPS9_SG_NS0_5tupleIJPjSI_NS0_16reverse_iteratorISI_EEEEENSH_IJSG_SG_SG_EEES9_SI_JZNS1_25segmented_radix_sort_implINS0_14default_configELb0EPKfPfPKlPlN2at6native12_GLOBAL__N_18offset_tEEE10hipError_tPvRmT1_PNSt15iterator_traitsIS12_E10value_typeET2_T3_PNS13_IS18_E10value_typeET4_jRbjT5_S1E_jjP12ihipStream_tbEUljE_ZNSN_ISO_Lb0ESQ_SR_ST_SU_SY_EESZ_S10_S11_S12_S16_S17_S18_S1B_S1C_jS1D_jS1E_S1E_jjS1G_bEUljE0_EEESZ_S10_S11_S18_S1C_S1E_T6_T7_T9_mT8_S1G_bDpT10_ENKUlT_T0_E_clISt17integral_constantIbLb0EES1T_IbLb1EEEEDaS1P_S1Q_EUlS1P_E_NS1_11comp_targetILNS1_3genE5ELNS1_11target_archE942ELNS1_3gpuE9ELNS1_3repE0EEENS1_30default_config_static_selectorELNS0_4arch9wavefront6targetE0EEEvS12_, .Lfunc_end1381-_ZN7rocprim17ROCPRIM_400000_NS6detail17trampoline_kernelINS0_13select_configILj256ELj13ELNS0_17block_load_methodE3ELS4_3ELS4_3ELNS0_20block_scan_algorithmE0ELj4294967295EEENS1_25partition_config_selectorILNS1_17partition_subalgoE4EjNS0_10empty_typeEbEEZZNS1_14partition_implILS8_4ELb0ES6_15HIP_vector_typeIjLj2EENS0_17counting_iteratorIjlEEPS9_SG_NS0_5tupleIJPjSI_NS0_16reverse_iteratorISI_EEEEENSH_IJSG_SG_SG_EEES9_SI_JZNS1_25segmented_radix_sort_implINS0_14default_configELb0EPKfPfPKlPlN2at6native12_GLOBAL__N_18offset_tEEE10hipError_tPvRmT1_PNSt15iterator_traitsIS12_E10value_typeET2_T3_PNS13_IS18_E10value_typeET4_jRbjT5_S1E_jjP12ihipStream_tbEUljE_ZNSN_ISO_Lb0ESQ_SR_ST_SU_SY_EESZ_S10_S11_S12_S16_S17_S18_S1B_S1C_jS1D_jS1E_S1E_jjS1G_bEUljE0_EEESZ_S10_S11_S18_S1C_S1E_T6_T7_T9_mT8_S1G_bDpT10_ENKUlT_T0_E_clISt17integral_constantIbLb0EES1T_IbLb1EEEEDaS1P_S1Q_EUlS1P_E_NS1_11comp_targetILNS1_3genE5ELNS1_11target_archE942ELNS1_3gpuE9ELNS1_3repE0EEENS1_30default_config_static_selectorELNS0_4arch9wavefront6targetE0EEEvS12_
                                        ; -- End function
	.set _ZN7rocprim17ROCPRIM_400000_NS6detail17trampoline_kernelINS0_13select_configILj256ELj13ELNS0_17block_load_methodE3ELS4_3ELS4_3ELNS0_20block_scan_algorithmE0ELj4294967295EEENS1_25partition_config_selectorILNS1_17partition_subalgoE4EjNS0_10empty_typeEbEEZZNS1_14partition_implILS8_4ELb0ES6_15HIP_vector_typeIjLj2EENS0_17counting_iteratorIjlEEPS9_SG_NS0_5tupleIJPjSI_NS0_16reverse_iteratorISI_EEEEENSH_IJSG_SG_SG_EEES9_SI_JZNS1_25segmented_radix_sort_implINS0_14default_configELb0EPKfPfPKlPlN2at6native12_GLOBAL__N_18offset_tEEE10hipError_tPvRmT1_PNSt15iterator_traitsIS12_E10value_typeET2_T3_PNS13_IS18_E10value_typeET4_jRbjT5_S1E_jjP12ihipStream_tbEUljE_ZNSN_ISO_Lb0ESQ_SR_ST_SU_SY_EESZ_S10_S11_S12_S16_S17_S18_S1B_S1C_jS1D_jS1E_S1E_jjS1G_bEUljE0_EEESZ_S10_S11_S18_S1C_S1E_T6_T7_T9_mT8_S1G_bDpT10_ENKUlT_T0_E_clISt17integral_constantIbLb0EES1T_IbLb1EEEEDaS1P_S1Q_EUlS1P_E_NS1_11comp_targetILNS1_3genE5ELNS1_11target_archE942ELNS1_3gpuE9ELNS1_3repE0EEENS1_30default_config_static_selectorELNS0_4arch9wavefront6targetE0EEEvS12_.num_vgpr, 0
	.set _ZN7rocprim17ROCPRIM_400000_NS6detail17trampoline_kernelINS0_13select_configILj256ELj13ELNS0_17block_load_methodE3ELS4_3ELS4_3ELNS0_20block_scan_algorithmE0ELj4294967295EEENS1_25partition_config_selectorILNS1_17partition_subalgoE4EjNS0_10empty_typeEbEEZZNS1_14partition_implILS8_4ELb0ES6_15HIP_vector_typeIjLj2EENS0_17counting_iteratorIjlEEPS9_SG_NS0_5tupleIJPjSI_NS0_16reverse_iteratorISI_EEEEENSH_IJSG_SG_SG_EEES9_SI_JZNS1_25segmented_radix_sort_implINS0_14default_configELb0EPKfPfPKlPlN2at6native12_GLOBAL__N_18offset_tEEE10hipError_tPvRmT1_PNSt15iterator_traitsIS12_E10value_typeET2_T3_PNS13_IS18_E10value_typeET4_jRbjT5_S1E_jjP12ihipStream_tbEUljE_ZNSN_ISO_Lb0ESQ_SR_ST_SU_SY_EESZ_S10_S11_S12_S16_S17_S18_S1B_S1C_jS1D_jS1E_S1E_jjS1G_bEUljE0_EEESZ_S10_S11_S18_S1C_S1E_T6_T7_T9_mT8_S1G_bDpT10_ENKUlT_T0_E_clISt17integral_constantIbLb0EES1T_IbLb1EEEEDaS1P_S1Q_EUlS1P_E_NS1_11comp_targetILNS1_3genE5ELNS1_11target_archE942ELNS1_3gpuE9ELNS1_3repE0EEENS1_30default_config_static_selectorELNS0_4arch9wavefront6targetE0EEEvS12_.num_agpr, 0
	.set _ZN7rocprim17ROCPRIM_400000_NS6detail17trampoline_kernelINS0_13select_configILj256ELj13ELNS0_17block_load_methodE3ELS4_3ELS4_3ELNS0_20block_scan_algorithmE0ELj4294967295EEENS1_25partition_config_selectorILNS1_17partition_subalgoE4EjNS0_10empty_typeEbEEZZNS1_14partition_implILS8_4ELb0ES6_15HIP_vector_typeIjLj2EENS0_17counting_iteratorIjlEEPS9_SG_NS0_5tupleIJPjSI_NS0_16reverse_iteratorISI_EEEEENSH_IJSG_SG_SG_EEES9_SI_JZNS1_25segmented_radix_sort_implINS0_14default_configELb0EPKfPfPKlPlN2at6native12_GLOBAL__N_18offset_tEEE10hipError_tPvRmT1_PNSt15iterator_traitsIS12_E10value_typeET2_T3_PNS13_IS18_E10value_typeET4_jRbjT5_S1E_jjP12ihipStream_tbEUljE_ZNSN_ISO_Lb0ESQ_SR_ST_SU_SY_EESZ_S10_S11_S12_S16_S17_S18_S1B_S1C_jS1D_jS1E_S1E_jjS1G_bEUljE0_EEESZ_S10_S11_S18_S1C_S1E_T6_T7_T9_mT8_S1G_bDpT10_ENKUlT_T0_E_clISt17integral_constantIbLb0EES1T_IbLb1EEEEDaS1P_S1Q_EUlS1P_E_NS1_11comp_targetILNS1_3genE5ELNS1_11target_archE942ELNS1_3gpuE9ELNS1_3repE0EEENS1_30default_config_static_selectorELNS0_4arch9wavefront6targetE0EEEvS12_.numbered_sgpr, 0
	.set _ZN7rocprim17ROCPRIM_400000_NS6detail17trampoline_kernelINS0_13select_configILj256ELj13ELNS0_17block_load_methodE3ELS4_3ELS4_3ELNS0_20block_scan_algorithmE0ELj4294967295EEENS1_25partition_config_selectorILNS1_17partition_subalgoE4EjNS0_10empty_typeEbEEZZNS1_14partition_implILS8_4ELb0ES6_15HIP_vector_typeIjLj2EENS0_17counting_iteratorIjlEEPS9_SG_NS0_5tupleIJPjSI_NS0_16reverse_iteratorISI_EEEEENSH_IJSG_SG_SG_EEES9_SI_JZNS1_25segmented_radix_sort_implINS0_14default_configELb0EPKfPfPKlPlN2at6native12_GLOBAL__N_18offset_tEEE10hipError_tPvRmT1_PNSt15iterator_traitsIS12_E10value_typeET2_T3_PNS13_IS18_E10value_typeET4_jRbjT5_S1E_jjP12ihipStream_tbEUljE_ZNSN_ISO_Lb0ESQ_SR_ST_SU_SY_EESZ_S10_S11_S12_S16_S17_S18_S1B_S1C_jS1D_jS1E_S1E_jjS1G_bEUljE0_EEESZ_S10_S11_S18_S1C_S1E_T6_T7_T9_mT8_S1G_bDpT10_ENKUlT_T0_E_clISt17integral_constantIbLb0EES1T_IbLb1EEEEDaS1P_S1Q_EUlS1P_E_NS1_11comp_targetILNS1_3genE5ELNS1_11target_archE942ELNS1_3gpuE9ELNS1_3repE0EEENS1_30default_config_static_selectorELNS0_4arch9wavefront6targetE0EEEvS12_.num_named_barrier, 0
	.set _ZN7rocprim17ROCPRIM_400000_NS6detail17trampoline_kernelINS0_13select_configILj256ELj13ELNS0_17block_load_methodE3ELS4_3ELS4_3ELNS0_20block_scan_algorithmE0ELj4294967295EEENS1_25partition_config_selectorILNS1_17partition_subalgoE4EjNS0_10empty_typeEbEEZZNS1_14partition_implILS8_4ELb0ES6_15HIP_vector_typeIjLj2EENS0_17counting_iteratorIjlEEPS9_SG_NS0_5tupleIJPjSI_NS0_16reverse_iteratorISI_EEEEENSH_IJSG_SG_SG_EEES9_SI_JZNS1_25segmented_radix_sort_implINS0_14default_configELb0EPKfPfPKlPlN2at6native12_GLOBAL__N_18offset_tEEE10hipError_tPvRmT1_PNSt15iterator_traitsIS12_E10value_typeET2_T3_PNS13_IS18_E10value_typeET4_jRbjT5_S1E_jjP12ihipStream_tbEUljE_ZNSN_ISO_Lb0ESQ_SR_ST_SU_SY_EESZ_S10_S11_S12_S16_S17_S18_S1B_S1C_jS1D_jS1E_S1E_jjS1G_bEUljE0_EEESZ_S10_S11_S18_S1C_S1E_T6_T7_T9_mT8_S1G_bDpT10_ENKUlT_T0_E_clISt17integral_constantIbLb0EES1T_IbLb1EEEEDaS1P_S1Q_EUlS1P_E_NS1_11comp_targetILNS1_3genE5ELNS1_11target_archE942ELNS1_3gpuE9ELNS1_3repE0EEENS1_30default_config_static_selectorELNS0_4arch9wavefront6targetE0EEEvS12_.private_seg_size, 0
	.set _ZN7rocprim17ROCPRIM_400000_NS6detail17trampoline_kernelINS0_13select_configILj256ELj13ELNS0_17block_load_methodE3ELS4_3ELS4_3ELNS0_20block_scan_algorithmE0ELj4294967295EEENS1_25partition_config_selectorILNS1_17partition_subalgoE4EjNS0_10empty_typeEbEEZZNS1_14partition_implILS8_4ELb0ES6_15HIP_vector_typeIjLj2EENS0_17counting_iteratorIjlEEPS9_SG_NS0_5tupleIJPjSI_NS0_16reverse_iteratorISI_EEEEENSH_IJSG_SG_SG_EEES9_SI_JZNS1_25segmented_radix_sort_implINS0_14default_configELb0EPKfPfPKlPlN2at6native12_GLOBAL__N_18offset_tEEE10hipError_tPvRmT1_PNSt15iterator_traitsIS12_E10value_typeET2_T3_PNS13_IS18_E10value_typeET4_jRbjT5_S1E_jjP12ihipStream_tbEUljE_ZNSN_ISO_Lb0ESQ_SR_ST_SU_SY_EESZ_S10_S11_S12_S16_S17_S18_S1B_S1C_jS1D_jS1E_S1E_jjS1G_bEUljE0_EEESZ_S10_S11_S18_S1C_S1E_T6_T7_T9_mT8_S1G_bDpT10_ENKUlT_T0_E_clISt17integral_constantIbLb0EES1T_IbLb1EEEEDaS1P_S1Q_EUlS1P_E_NS1_11comp_targetILNS1_3genE5ELNS1_11target_archE942ELNS1_3gpuE9ELNS1_3repE0EEENS1_30default_config_static_selectorELNS0_4arch9wavefront6targetE0EEEvS12_.uses_vcc, 0
	.set _ZN7rocprim17ROCPRIM_400000_NS6detail17trampoline_kernelINS0_13select_configILj256ELj13ELNS0_17block_load_methodE3ELS4_3ELS4_3ELNS0_20block_scan_algorithmE0ELj4294967295EEENS1_25partition_config_selectorILNS1_17partition_subalgoE4EjNS0_10empty_typeEbEEZZNS1_14partition_implILS8_4ELb0ES6_15HIP_vector_typeIjLj2EENS0_17counting_iteratorIjlEEPS9_SG_NS0_5tupleIJPjSI_NS0_16reverse_iteratorISI_EEEEENSH_IJSG_SG_SG_EEES9_SI_JZNS1_25segmented_radix_sort_implINS0_14default_configELb0EPKfPfPKlPlN2at6native12_GLOBAL__N_18offset_tEEE10hipError_tPvRmT1_PNSt15iterator_traitsIS12_E10value_typeET2_T3_PNS13_IS18_E10value_typeET4_jRbjT5_S1E_jjP12ihipStream_tbEUljE_ZNSN_ISO_Lb0ESQ_SR_ST_SU_SY_EESZ_S10_S11_S12_S16_S17_S18_S1B_S1C_jS1D_jS1E_S1E_jjS1G_bEUljE0_EEESZ_S10_S11_S18_S1C_S1E_T6_T7_T9_mT8_S1G_bDpT10_ENKUlT_T0_E_clISt17integral_constantIbLb0EES1T_IbLb1EEEEDaS1P_S1Q_EUlS1P_E_NS1_11comp_targetILNS1_3genE5ELNS1_11target_archE942ELNS1_3gpuE9ELNS1_3repE0EEENS1_30default_config_static_selectorELNS0_4arch9wavefront6targetE0EEEvS12_.uses_flat_scratch, 0
	.set _ZN7rocprim17ROCPRIM_400000_NS6detail17trampoline_kernelINS0_13select_configILj256ELj13ELNS0_17block_load_methodE3ELS4_3ELS4_3ELNS0_20block_scan_algorithmE0ELj4294967295EEENS1_25partition_config_selectorILNS1_17partition_subalgoE4EjNS0_10empty_typeEbEEZZNS1_14partition_implILS8_4ELb0ES6_15HIP_vector_typeIjLj2EENS0_17counting_iteratorIjlEEPS9_SG_NS0_5tupleIJPjSI_NS0_16reverse_iteratorISI_EEEEENSH_IJSG_SG_SG_EEES9_SI_JZNS1_25segmented_radix_sort_implINS0_14default_configELb0EPKfPfPKlPlN2at6native12_GLOBAL__N_18offset_tEEE10hipError_tPvRmT1_PNSt15iterator_traitsIS12_E10value_typeET2_T3_PNS13_IS18_E10value_typeET4_jRbjT5_S1E_jjP12ihipStream_tbEUljE_ZNSN_ISO_Lb0ESQ_SR_ST_SU_SY_EESZ_S10_S11_S12_S16_S17_S18_S1B_S1C_jS1D_jS1E_S1E_jjS1G_bEUljE0_EEESZ_S10_S11_S18_S1C_S1E_T6_T7_T9_mT8_S1G_bDpT10_ENKUlT_T0_E_clISt17integral_constantIbLb0EES1T_IbLb1EEEEDaS1P_S1Q_EUlS1P_E_NS1_11comp_targetILNS1_3genE5ELNS1_11target_archE942ELNS1_3gpuE9ELNS1_3repE0EEENS1_30default_config_static_selectorELNS0_4arch9wavefront6targetE0EEEvS12_.has_dyn_sized_stack, 0
	.set _ZN7rocprim17ROCPRIM_400000_NS6detail17trampoline_kernelINS0_13select_configILj256ELj13ELNS0_17block_load_methodE3ELS4_3ELS4_3ELNS0_20block_scan_algorithmE0ELj4294967295EEENS1_25partition_config_selectorILNS1_17partition_subalgoE4EjNS0_10empty_typeEbEEZZNS1_14partition_implILS8_4ELb0ES6_15HIP_vector_typeIjLj2EENS0_17counting_iteratorIjlEEPS9_SG_NS0_5tupleIJPjSI_NS0_16reverse_iteratorISI_EEEEENSH_IJSG_SG_SG_EEES9_SI_JZNS1_25segmented_radix_sort_implINS0_14default_configELb0EPKfPfPKlPlN2at6native12_GLOBAL__N_18offset_tEEE10hipError_tPvRmT1_PNSt15iterator_traitsIS12_E10value_typeET2_T3_PNS13_IS18_E10value_typeET4_jRbjT5_S1E_jjP12ihipStream_tbEUljE_ZNSN_ISO_Lb0ESQ_SR_ST_SU_SY_EESZ_S10_S11_S12_S16_S17_S18_S1B_S1C_jS1D_jS1E_S1E_jjS1G_bEUljE0_EEESZ_S10_S11_S18_S1C_S1E_T6_T7_T9_mT8_S1G_bDpT10_ENKUlT_T0_E_clISt17integral_constantIbLb0EES1T_IbLb1EEEEDaS1P_S1Q_EUlS1P_E_NS1_11comp_targetILNS1_3genE5ELNS1_11target_archE942ELNS1_3gpuE9ELNS1_3repE0EEENS1_30default_config_static_selectorELNS0_4arch9wavefront6targetE0EEEvS12_.has_recursion, 0
	.set _ZN7rocprim17ROCPRIM_400000_NS6detail17trampoline_kernelINS0_13select_configILj256ELj13ELNS0_17block_load_methodE3ELS4_3ELS4_3ELNS0_20block_scan_algorithmE0ELj4294967295EEENS1_25partition_config_selectorILNS1_17partition_subalgoE4EjNS0_10empty_typeEbEEZZNS1_14partition_implILS8_4ELb0ES6_15HIP_vector_typeIjLj2EENS0_17counting_iteratorIjlEEPS9_SG_NS0_5tupleIJPjSI_NS0_16reverse_iteratorISI_EEEEENSH_IJSG_SG_SG_EEES9_SI_JZNS1_25segmented_radix_sort_implINS0_14default_configELb0EPKfPfPKlPlN2at6native12_GLOBAL__N_18offset_tEEE10hipError_tPvRmT1_PNSt15iterator_traitsIS12_E10value_typeET2_T3_PNS13_IS18_E10value_typeET4_jRbjT5_S1E_jjP12ihipStream_tbEUljE_ZNSN_ISO_Lb0ESQ_SR_ST_SU_SY_EESZ_S10_S11_S12_S16_S17_S18_S1B_S1C_jS1D_jS1E_S1E_jjS1G_bEUljE0_EEESZ_S10_S11_S18_S1C_S1E_T6_T7_T9_mT8_S1G_bDpT10_ENKUlT_T0_E_clISt17integral_constantIbLb0EES1T_IbLb1EEEEDaS1P_S1Q_EUlS1P_E_NS1_11comp_targetILNS1_3genE5ELNS1_11target_archE942ELNS1_3gpuE9ELNS1_3repE0EEENS1_30default_config_static_selectorELNS0_4arch9wavefront6targetE0EEEvS12_.has_indirect_call, 0
	.section	.AMDGPU.csdata,"",@progbits
; Kernel info:
; codeLenInByte = 0
; TotalNumSgprs: 0
; NumVgprs: 0
; ScratchSize: 0
; MemoryBound: 0
; FloatMode: 240
; IeeeMode: 1
; LDSByteSize: 0 bytes/workgroup (compile time only)
; SGPRBlocks: 0
; VGPRBlocks: 0
; NumSGPRsForWavesPerEU: 1
; NumVGPRsForWavesPerEU: 1
; Occupancy: 16
; WaveLimiterHint : 0
; COMPUTE_PGM_RSRC2:SCRATCH_EN: 0
; COMPUTE_PGM_RSRC2:USER_SGPR: 6
; COMPUTE_PGM_RSRC2:TRAP_HANDLER: 0
; COMPUTE_PGM_RSRC2:TGID_X_EN: 1
; COMPUTE_PGM_RSRC2:TGID_Y_EN: 0
; COMPUTE_PGM_RSRC2:TGID_Z_EN: 0
; COMPUTE_PGM_RSRC2:TIDIG_COMP_CNT: 0
	.section	.text._ZN7rocprim17ROCPRIM_400000_NS6detail17trampoline_kernelINS0_13select_configILj256ELj13ELNS0_17block_load_methodE3ELS4_3ELS4_3ELNS0_20block_scan_algorithmE0ELj4294967295EEENS1_25partition_config_selectorILNS1_17partition_subalgoE4EjNS0_10empty_typeEbEEZZNS1_14partition_implILS8_4ELb0ES6_15HIP_vector_typeIjLj2EENS0_17counting_iteratorIjlEEPS9_SG_NS0_5tupleIJPjSI_NS0_16reverse_iteratorISI_EEEEENSH_IJSG_SG_SG_EEES9_SI_JZNS1_25segmented_radix_sort_implINS0_14default_configELb0EPKfPfPKlPlN2at6native12_GLOBAL__N_18offset_tEEE10hipError_tPvRmT1_PNSt15iterator_traitsIS12_E10value_typeET2_T3_PNS13_IS18_E10value_typeET4_jRbjT5_S1E_jjP12ihipStream_tbEUljE_ZNSN_ISO_Lb0ESQ_SR_ST_SU_SY_EESZ_S10_S11_S12_S16_S17_S18_S1B_S1C_jS1D_jS1E_S1E_jjS1G_bEUljE0_EEESZ_S10_S11_S18_S1C_S1E_T6_T7_T9_mT8_S1G_bDpT10_ENKUlT_T0_E_clISt17integral_constantIbLb0EES1T_IbLb1EEEEDaS1P_S1Q_EUlS1P_E_NS1_11comp_targetILNS1_3genE4ELNS1_11target_archE910ELNS1_3gpuE8ELNS1_3repE0EEENS1_30default_config_static_selectorELNS0_4arch9wavefront6targetE0EEEvS12_,"axG",@progbits,_ZN7rocprim17ROCPRIM_400000_NS6detail17trampoline_kernelINS0_13select_configILj256ELj13ELNS0_17block_load_methodE3ELS4_3ELS4_3ELNS0_20block_scan_algorithmE0ELj4294967295EEENS1_25partition_config_selectorILNS1_17partition_subalgoE4EjNS0_10empty_typeEbEEZZNS1_14partition_implILS8_4ELb0ES6_15HIP_vector_typeIjLj2EENS0_17counting_iteratorIjlEEPS9_SG_NS0_5tupleIJPjSI_NS0_16reverse_iteratorISI_EEEEENSH_IJSG_SG_SG_EEES9_SI_JZNS1_25segmented_radix_sort_implINS0_14default_configELb0EPKfPfPKlPlN2at6native12_GLOBAL__N_18offset_tEEE10hipError_tPvRmT1_PNSt15iterator_traitsIS12_E10value_typeET2_T3_PNS13_IS18_E10value_typeET4_jRbjT5_S1E_jjP12ihipStream_tbEUljE_ZNSN_ISO_Lb0ESQ_SR_ST_SU_SY_EESZ_S10_S11_S12_S16_S17_S18_S1B_S1C_jS1D_jS1E_S1E_jjS1G_bEUljE0_EEESZ_S10_S11_S18_S1C_S1E_T6_T7_T9_mT8_S1G_bDpT10_ENKUlT_T0_E_clISt17integral_constantIbLb0EES1T_IbLb1EEEEDaS1P_S1Q_EUlS1P_E_NS1_11comp_targetILNS1_3genE4ELNS1_11target_archE910ELNS1_3gpuE8ELNS1_3repE0EEENS1_30default_config_static_selectorELNS0_4arch9wavefront6targetE0EEEvS12_,comdat
	.globl	_ZN7rocprim17ROCPRIM_400000_NS6detail17trampoline_kernelINS0_13select_configILj256ELj13ELNS0_17block_load_methodE3ELS4_3ELS4_3ELNS0_20block_scan_algorithmE0ELj4294967295EEENS1_25partition_config_selectorILNS1_17partition_subalgoE4EjNS0_10empty_typeEbEEZZNS1_14partition_implILS8_4ELb0ES6_15HIP_vector_typeIjLj2EENS0_17counting_iteratorIjlEEPS9_SG_NS0_5tupleIJPjSI_NS0_16reverse_iteratorISI_EEEEENSH_IJSG_SG_SG_EEES9_SI_JZNS1_25segmented_radix_sort_implINS0_14default_configELb0EPKfPfPKlPlN2at6native12_GLOBAL__N_18offset_tEEE10hipError_tPvRmT1_PNSt15iterator_traitsIS12_E10value_typeET2_T3_PNS13_IS18_E10value_typeET4_jRbjT5_S1E_jjP12ihipStream_tbEUljE_ZNSN_ISO_Lb0ESQ_SR_ST_SU_SY_EESZ_S10_S11_S12_S16_S17_S18_S1B_S1C_jS1D_jS1E_S1E_jjS1G_bEUljE0_EEESZ_S10_S11_S18_S1C_S1E_T6_T7_T9_mT8_S1G_bDpT10_ENKUlT_T0_E_clISt17integral_constantIbLb0EES1T_IbLb1EEEEDaS1P_S1Q_EUlS1P_E_NS1_11comp_targetILNS1_3genE4ELNS1_11target_archE910ELNS1_3gpuE8ELNS1_3repE0EEENS1_30default_config_static_selectorELNS0_4arch9wavefront6targetE0EEEvS12_ ; -- Begin function _ZN7rocprim17ROCPRIM_400000_NS6detail17trampoline_kernelINS0_13select_configILj256ELj13ELNS0_17block_load_methodE3ELS4_3ELS4_3ELNS0_20block_scan_algorithmE0ELj4294967295EEENS1_25partition_config_selectorILNS1_17partition_subalgoE4EjNS0_10empty_typeEbEEZZNS1_14partition_implILS8_4ELb0ES6_15HIP_vector_typeIjLj2EENS0_17counting_iteratorIjlEEPS9_SG_NS0_5tupleIJPjSI_NS0_16reverse_iteratorISI_EEEEENSH_IJSG_SG_SG_EEES9_SI_JZNS1_25segmented_radix_sort_implINS0_14default_configELb0EPKfPfPKlPlN2at6native12_GLOBAL__N_18offset_tEEE10hipError_tPvRmT1_PNSt15iterator_traitsIS12_E10value_typeET2_T3_PNS13_IS18_E10value_typeET4_jRbjT5_S1E_jjP12ihipStream_tbEUljE_ZNSN_ISO_Lb0ESQ_SR_ST_SU_SY_EESZ_S10_S11_S12_S16_S17_S18_S1B_S1C_jS1D_jS1E_S1E_jjS1G_bEUljE0_EEESZ_S10_S11_S18_S1C_S1E_T6_T7_T9_mT8_S1G_bDpT10_ENKUlT_T0_E_clISt17integral_constantIbLb0EES1T_IbLb1EEEEDaS1P_S1Q_EUlS1P_E_NS1_11comp_targetILNS1_3genE4ELNS1_11target_archE910ELNS1_3gpuE8ELNS1_3repE0EEENS1_30default_config_static_selectorELNS0_4arch9wavefront6targetE0EEEvS12_
	.p2align	8
	.type	_ZN7rocprim17ROCPRIM_400000_NS6detail17trampoline_kernelINS0_13select_configILj256ELj13ELNS0_17block_load_methodE3ELS4_3ELS4_3ELNS0_20block_scan_algorithmE0ELj4294967295EEENS1_25partition_config_selectorILNS1_17partition_subalgoE4EjNS0_10empty_typeEbEEZZNS1_14partition_implILS8_4ELb0ES6_15HIP_vector_typeIjLj2EENS0_17counting_iteratorIjlEEPS9_SG_NS0_5tupleIJPjSI_NS0_16reverse_iteratorISI_EEEEENSH_IJSG_SG_SG_EEES9_SI_JZNS1_25segmented_radix_sort_implINS0_14default_configELb0EPKfPfPKlPlN2at6native12_GLOBAL__N_18offset_tEEE10hipError_tPvRmT1_PNSt15iterator_traitsIS12_E10value_typeET2_T3_PNS13_IS18_E10value_typeET4_jRbjT5_S1E_jjP12ihipStream_tbEUljE_ZNSN_ISO_Lb0ESQ_SR_ST_SU_SY_EESZ_S10_S11_S12_S16_S17_S18_S1B_S1C_jS1D_jS1E_S1E_jjS1G_bEUljE0_EEESZ_S10_S11_S18_S1C_S1E_T6_T7_T9_mT8_S1G_bDpT10_ENKUlT_T0_E_clISt17integral_constantIbLb0EES1T_IbLb1EEEEDaS1P_S1Q_EUlS1P_E_NS1_11comp_targetILNS1_3genE4ELNS1_11target_archE910ELNS1_3gpuE8ELNS1_3repE0EEENS1_30default_config_static_selectorELNS0_4arch9wavefront6targetE0EEEvS12_,@function
_ZN7rocprim17ROCPRIM_400000_NS6detail17trampoline_kernelINS0_13select_configILj256ELj13ELNS0_17block_load_methodE3ELS4_3ELS4_3ELNS0_20block_scan_algorithmE0ELj4294967295EEENS1_25partition_config_selectorILNS1_17partition_subalgoE4EjNS0_10empty_typeEbEEZZNS1_14partition_implILS8_4ELb0ES6_15HIP_vector_typeIjLj2EENS0_17counting_iteratorIjlEEPS9_SG_NS0_5tupleIJPjSI_NS0_16reverse_iteratorISI_EEEEENSH_IJSG_SG_SG_EEES9_SI_JZNS1_25segmented_radix_sort_implINS0_14default_configELb0EPKfPfPKlPlN2at6native12_GLOBAL__N_18offset_tEEE10hipError_tPvRmT1_PNSt15iterator_traitsIS12_E10value_typeET2_T3_PNS13_IS18_E10value_typeET4_jRbjT5_S1E_jjP12ihipStream_tbEUljE_ZNSN_ISO_Lb0ESQ_SR_ST_SU_SY_EESZ_S10_S11_S12_S16_S17_S18_S1B_S1C_jS1D_jS1E_S1E_jjS1G_bEUljE0_EEESZ_S10_S11_S18_S1C_S1E_T6_T7_T9_mT8_S1G_bDpT10_ENKUlT_T0_E_clISt17integral_constantIbLb0EES1T_IbLb1EEEEDaS1P_S1Q_EUlS1P_E_NS1_11comp_targetILNS1_3genE4ELNS1_11target_archE910ELNS1_3gpuE8ELNS1_3repE0EEENS1_30default_config_static_selectorELNS0_4arch9wavefront6targetE0EEEvS12_: ; @_ZN7rocprim17ROCPRIM_400000_NS6detail17trampoline_kernelINS0_13select_configILj256ELj13ELNS0_17block_load_methodE3ELS4_3ELS4_3ELNS0_20block_scan_algorithmE0ELj4294967295EEENS1_25partition_config_selectorILNS1_17partition_subalgoE4EjNS0_10empty_typeEbEEZZNS1_14partition_implILS8_4ELb0ES6_15HIP_vector_typeIjLj2EENS0_17counting_iteratorIjlEEPS9_SG_NS0_5tupleIJPjSI_NS0_16reverse_iteratorISI_EEEEENSH_IJSG_SG_SG_EEES9_SI_JZNS1_25segmented_radix_sort_implINS0_14default_configELb0EPKfPfPKlPlN2at6native12_GLOBAL__N_18offset_tEEE10hipError_tPvRmT1_PNSt15iterator_traitsIS12_E10value_typeET2_T3_PNS13_IS18_E10value_typeET4_jRbjT5_S1E_jjP12ihipStream_tbEUljE_ZNSN_ISO_Lb0ESQ_SR_ST_SU_SY_EESZ_S10_S11_S12_S16_S17_S18_S1B_S1C_jS1D_jS1E_S1E_jjS1G_bEUljE0_EEESZ_S10_S11_S18_S1C_S1E_T6_T7_T9_mT8_S1G_bDpT10_ENKUlT_T0_E_clISt17integral_constantIbLb0EES1T_IbLb1EEEEDaS1P_S1Q_EUlS1P_E_NS1_11comp_targetILNS1_3genE4ELNS1_11target_archE910ELNS1_3gpuE8ELNS1_3repE0EEENS1_30default_config_static_selectorELNS0_4arch9wavefront6targetE0EEEvS12_
; %bb.0:
	.section	.rodata,"a",@progbits
	.p2align	6, 0x0
	.amdhsa_kernel _ZN7rocprim17ROCPRIM_400000_NS6detail17trampoline_kernelINS0_13select_configILj256ELj13ELNS0_17block_load_methodE3ELS4_3ELS4_3ELNS0_20block_scan_algorithmE0ELj4294967295EEENS1_25partition_config_selectorILNS1_17partition_subalgoE4EjNS0_10empty_typeEbEEZZNS1_14partition_implILS8_4ELb0ES6_15HIP_vector_typeIjLj2EENS0_17counting_iteratorIjlEEPS9_SG_NS0_5tupleIJPjSI_NS0_16reverse_iteratorISI_EEEEENSH_IJSG_SG_SG_EEES9_SI_JZNS1_25segmented_radix_sort_implINS0_14default_configELb0EPKfPfPKlPlN2at6native12_GLOBAL__N_18offset_tEEE10hipError_tPvRmT1_PNSt15iterator_traitsIS12_E10value_typeET2_T3_PNS13_IS18_E10value_typeET4_jRbjT5_S1E_jjP12ihipStream_tbEUljE_ZNSN_ISO_Lb0ESQ_SR_ST_SU_SY_EESZ_S10_S11_S12_S16_S17_S18_S1B_S1C_jS1D_jS1E_S1E_jjS1G_bEUljE0_EEESZ_S10_S11_S18_S1C_S1E_T6_T7_T9_mT8_S1G_bDpT10_ENKUlT_T0_E_clISt17integral_constantIbLb0EES1T_IbLb1EEEEDaS1P_S1Q_EUlS1P_E_NS1_11comp_targetILNS1_3genE4ELNS1_11target_archE910ELNS1_3gpuE8ELNS1_3repE0EEENS1_30default_config_static_selectorELNS0_4arch9wavefront6targetE0EEEvS12_
		.amdhsa_group_segment_fixed_size 0
		.amdhsa_private_segment_fixed_size 0
		.amdhsa_kernarg_size 184
		.amdhsa_user_sgpr_count 6
		.amdhsa_user_sgpr_private_segment_buffer 1
		.amdhsa_user_sgpr_dispatch_ptr 0
		.amdhsa_user_sgpr_queue_ptr 0
		.amdhsa_user_sgpr_kernarg_segment_ptr 1
		.amdhsa_user_sgpr_dispatch_id 0
		.amdhsa_user_sgpr_flat_scratch_init 0
		.amdhsa_user_sgpr_private_segment_size 0
		.amdhsa_wavefront_size32 1
		.amdhsa_uses_dynamic_stack 0
		.amdhsa_system_sgpr_private_segment_wavefront_offset 0
		.amdhsa_system_sgpr_workgroup_id_x 1
		.amdhsa_system_sgpr_workgroup_id_y 0
		.amdhsa_system_sgpr_workgroup_id_z 0
		.amdhsa_system_sgpr_workgroup_info 0
		.amdhsa_system_vgpr_workitem_id 0
		.amdhsa_next_free_vgpr 1
		.amdhsa_next_free_sgpr 1
		.amdhsa_reserve_vcc 0
		.amdhsa_reserve_flat_scratch 0
		.amdhsa_float_round_mode_32 0
		.amdhsa_float_round_mode_16_64 0
		.amdhsa_float_denorm_mode_32 3
		.amdhsa_float_denorm_mode_16_64 3
		.amdhsa_dx10_clamp 1
		.amdhsa_ieee_mode 1
		.amdhsa_fp16_overflow 0
		.amdhsa_workgroup_processor_mode 1
		.amdhsa_memory_ordered 1
		.amdhsa_forward_progress 1
		.amdhsa_shared_vgpr_count 0
		.amdhsa_exception_fp_ieee_invalid_op 0
		.amdhsa_exception_fp_denorm_src 0
		.amdhsa_exception_fp_ieee_div_zero 0
		.amdhsa_exception_fp_ieee_overflow 0
		.amdhsa_exception_fp_ieee_underflow 0
		.amdhsa_exception_fp_ieee_inexact 0
		.amdhsa_exception_int_div_zero 0
	.end_amdhsa_kernel
	.section	.text._ZN7rocprim17ROCPRIM_400000_NS6detail17trampoline_kernelINS0_13select_configILj256ELj13ELNS0_17block_load_methodE3ELS4_3ELS4_3ELNS0_20block_scan_algorithmE0ELj4294967295EEENS1_25partition_config_selectorILNS1_17partition_subalgoE4EjNS0_10empty_typeEbEEZZNS1_14partition_implILS8_4ELb0ES6_15HIP_vector_typeIjLj2EENS0_17counting_iteratorIjlEEPS9_SG_NS0_5tupleIJPjSI_NS0_16reverse_iteratorISI_EEEEENSH_IJSG_SG_SG_EEES9_SI_JZNS1_25segmented_radix_sort_implINS0_14default_configELb0EPKfPfPKlPlN2at6native12_GLOBAL__N_18offset_tEEE10hipError_tPvRmT1_PNSt15iterator_traitsIS12_E10value_typeET2_T3_PNS13_IS18_E10value_typeET4_jRbjT5_S1E_jjP12ihipStream_tbEUljE_ZNSN_ISO_Lb0ESQ_SR_ST_SU_SY_EESZ_S10_S11_S12_S16_S17_S18_S1B_S1C_jS1D_jS1E_S1E_jjS1G_bEUljE0_EEESZ_S10_S11_S18_S1C_S1E_T6_T7_T9_mT8_S1G_bDpT10_ENKUlT_T0_E_clISt17integral_constantIbLb0EES1T_IbLb1EEEEDaS1P_S1Q_EUlS1P_E_NS1_11comp_targetILNS1_3genE4ELNS1_11target_archE910ELNS1_3gpuE8ELNS1_3repE0EEENS1_30default_config_static_selectorELNS0_4arch9wavefront6targetE0EEEvS12_,"axG",@progbits,_ZN7rocprim17ROCPRIM_400000_NS6detail17trampoline_kernelINS0_13select_configILj256ELj13ELNS0_17block_load_methodE3ELS4_3ELS4_3ELNS0_20block_scan_algorithmE0ELj4294967295EEENS1_25partition_config_selectorILNS1_17partition_subalgoE4EjNS0_10empty_typeEbEEZZNS1_14partition_implILS8_4ELb0ES6_15HIP_vector_typeIjLj2EENS0_17counting_iteratorIjlEEPS9_SG_NS0_5tupleIJPjSI_NS0_16reverse_iteratorISI_EEEEENSH_IJSG_SG_SG_EEES9_SI_JZNS1_25segmented_radix_sort_implINS0_14default_configELb0EPKfPfPKlPlN2at6native12_GLOBAL__N_18offset_tEEE10hipError_tPvRmT1_PNSt15iterator_traitsIS12_E10value_typeET2_T3_PNS13_IS18_E10value_typeET4_jRbjT5_S1E_jjP12ihipStream_tbEUljE_ZNSN_ISO_Lb0ESQ_SR_ST_SU_SY_EESZ_S10_S11_S12_S16_S17_S18_S1B_S1C_jS1D_jS1E_S1E_jjS1G_bEUljE0_EEESZ_S10_S11_S18_S1C_S1E_T6_T7_T9_mT8_S1G_bDpT10_ENKUlT_T0_E_clISt17integral_constantIbLb0EES1T_IbLb1EEEEDaS1P_S1Q_EUlS1P_E_NS1_11comp_targetILNS1_3genE4ELNS1_11target_archE910ELNS1_3gpuE8ELNS1_3repE0EEENS1_30default_config_static_selectorELNS0_4arch9wavefront6targetE0EEEvS12_,comdat
.Lfunc_end1382:
	.size	_ZN7rocprim17ROCPRIM_400000_NS6detail17trampoline_kernelINS0_13select_configILj256ELj13ELNS0_17block_load_methodE3ELS4_3ELS4_3ELNS0_20block_scan_algorithmE0ELj4294967295EEENS1_25partition_config_selectorILNS1_17partition_subalgoE4EjNS0_10empty_typeEbEEZZNS1_14partition_implILS8_4ELb0ES6_15HIP_vector_typeIjLj2EENS0_17counting_iteratorIjlEEPS9_SG_NS0_5tupleIJPjSI_NS0_16reverse_iteratorISI_EEEEENSH_IJSG_SG_SG_EEES9_SI_JZNS1_25segmented_radix_sort_implINS0_14default_configELb0EPKfPfPKlPlN2at6native12_GLOBAL__N_18offset_tEEE10hipError_tPvRmT1_PNSt15iterator_traitsIS12_E10value_typeET2_T3_PNS13_IS18_E10value_typeET4_jRbjT5_S1E_jjP12ihipStream_tbEUljE_ZNSN_ISO_Lb0ESQ_SR_ST_SU_SY_EESZ_S10_S11_S12_S16_S17_S18_S1B_S1C_jS1D_jS1E_S1E_jjS1G_bEUljE0_EEESZ_S10_S11_S18_S1C_S1E_T6_T7_T9_mT8_S1G_bDpT10_ENKUlT_T0_E_clISt17integral_constantIbLb0EES1T_IbLb1EEEEDaS1P_S1Q_EUlS1P_E_NS1_11comp_targetILNS1_3genE4ELNS1_11target_archE910ELNS1_3gpuE8ELNS1_3repE0EEENS1_30default_config_static_selectorELNS0_4arch9wavefront6targetE0EEEvS12_, .Lfunc_end1382-_ZN7rocprim17ROCPRIM_400000_NS6detail17trampoline_kernelINS0_13select_configILj256ELj13ELNS0_17block_load_methodE3ELS4_3ELS4_3ELNS0_20block_scan_algorithmE0ELj4294967295EEENS1_25partition_config_selectorILNS1_17partition_subalgoE4EjNS0_10empty_typeEbEEZZNS1_14partition_implILS8_4ELb0ES6_15HIP_vector_typeIjLj2EENS0_17counting_iteratorIjlEEPS9_SG_NS0_5tupleIJPjSI_NS0_16reverse_iteratorISI_EEEEENSH_IJSG_SG_SG_EEES9_SI_JZNS1_25segmented_radix_sort_implINS0_14default_configELb0EPKfPfPKlPlN2at6native12_GLOBAL__N_18offset_tEEE10hipError_tPvRmT1_PNSt15iterator_traitsIS12_E10value_typeET2_T3_PNS13_IS18_E10value_typeET4_jRbjT5_S1E_jjP12ihipStream_tbEUljE_ZNSN_ISO_Lb0ESQ_SR_ST_SU_SY_EESZ_S10_S11_S12_S16_S17_S18_S1B_S1C_jS1D_jS1E_S1E_jjS1G_bEUljE0_EEESZ_S10_S11_S18_S1C_S1E_T6_T7_T9_mT8_S1G_bDpT10_ENKUlT_T0_E_clISt17integral_constantIbLb0EES1T_IbLb1EEEEDaS1P_S1Q_EUlS1P_E_NS1_11comp_targetILNS1_3genE4ELNS1_11target_archE910ELNS1_3gpuE8ELNS1_3repE0EEENS1_30default_config_static_selectorELNS0_4arch9wavefront6targetE0EEEvS12_
                                        ; -- End function
	.set _ZN7rocprim17ROCPRIM_400000_NS6detail17trampoline_kernelINS0_13select_configILj256ELj13ELNS0_17block_load_methodE3ELS4_3ELS4_3ELNS0_20block_scan_algorithmE0ELj4294967295EEENS1_25partition_config_selectorILNS1_17partition_subalgoE4EjNS0_10empty_typeEbEEZZNS1_14partition_implILS8_4ELb0ES6_15HIP_vector_typeIjLj2EENS0_17counting_iteratorIjlEEPS9_SG_NS0_5tupleIJPjSI_NS0_16reverse_iteratorISI_EEEEENSH_IJSG_SG_SG_EEES9_SI_JZNS1_25segmented_radix_sort_implINS0_14default_configELb0EPKfPfPKlPlN2at6native12_GLOBAL__N_18offset_tEEE10hipError_tPvRmT1_PNSt15iterator_traitsIS12_E10value_typeET2_T3_PNS13_IS18_E10value_typeET4_jRbjT5_S1E_jjP12ihipStream_tbEUljE_ZNSN_ISO_Lb0ESQ_SR_ST_SU_SY_EESZ_S10_S11_S12_S16_S17_S18_S1B_S1C_jS1D_jS1E_S1E_jjS1G_bEUljE0_EEESZ_S10_S11_S18_S1C_S1E_T6_T7_T9_mT8_S1G_bDpT10_ENKUlT_T0_E_clISt17integral_constantIbLb0EES1T_IbLb1EEEEDaS1P_S1Q_EUlS1P_E_NS1_11comp_targetILNS1_3genE4ELNS1_11target_archE910ELNS1_3gpuE8ELNS1_3repE0EEENS1_30default_config_static_selectorELNS0_4arch9wavefront6targetE0EEEvS12_.num_vgpr, 0
	.set _ZN7rocprim17ROCPRIM_400000_NS6detail17trampoline_kernelINS0_13select_configILj256ELj13ELNS0_17block_load_methodE3ELS4_3ELS4_3ELNS0_20block_scan_algorithmE0ELj4294967295EEENS1_25partition_config_selectorILNS1_17partition_subalgoE4EjNS0_10empty_typeEbEEZZNS1_14partition_implILS8_4ELb0ES6_15HIP_vector_typeIjLj2EENS0_17counting_iteratorIjlEEPS9_SG_NS0_5tupleIJPjSI_NS0_16reverse_iteratorISI_EEEEENSH_IJSG_SG_SG_EEES9_SI_JZNS1_25segmented_radix_sort_implINS0_14default_configELb0EPKfPfPKlPlN2at6native12_GLOBAL__N_18offset_tEEE10hipError_tPvRmT1_PNSt15iterator_traitsIS12_E10value_typeET2_T3_PNS13_IS18_E10value_typeET4_jRbjT5_S1E_jjP12ihipStream_tbEUljE_ZNSN_ISO_Lb0ESQ_SR_ST_SU_SY_EESZ_S10_S11_S12_S16_S17_S18_S1B_S1C_jS1D_jS1E_S1E_jjS1G_bEUljE0_EEESZ_S10_S11_S18_S1C_S1E_T6_T7_T9_mT8_S1G_bDpT10_ENKUlT_T0_E_clISt17integral_constantIbLb0EES1T_IbLb1EEEEDaS1P_S1Q_EUlS1P_E_NS1_11comp_targetILNS1_3genE4ELNS1_11target_archE910ELNS1_3gpuE8ELNS1_3repE0EEENS1_30default_config_static_selectorELNS0_4arch9wavefront6targetE0EEEvS12_.num_agpr, 0
	.set _ZN7rocprim17ROCPRIM_400000_NS6detail17trampoline_kernelINS0_13select_configILj256ELj13ELNS0_17block_load_methodE3ELS4_3ELS4_3ELNS0_20block_scan_algorithmE0ELj4294967295EEENS1_25partition_config_selectorILNS1_17partition_subalgoE4EjNS0_10empty_typeEbEEZZNS1_14partition_implILS8_4ELb0ES6_15HIP_vector_typeIjLj2EENS0_17counting_iteratorIjlEEPS9_SG_NS0_5tupleIJPjSI_NS0_16reverse_iteratorISI_EEEEENSH_IJSG_SG_SG_EEES9_SI_JZNS1_25segmented_radix_sort_implINS0_14default_configELb0EPKfPfPKlPlN2at6native12_GLOBAL__N_18offset_tEEE10hipError_tPvRmT1_PNSt15iterator_traitsIS12_E10value_typeET2_T3_PNS13_IS18_E10value_typeET4_jRbjT5_S1E_jjP12ihipStream_tbEUljE_ZNSN_ISO_Lb0ESQ_SR_ST_SU_SY_EESZ_S10_S11_S12_S16_S17_S18_S1B_S1C_jS1D_jS1E_S1E_jjS1G_bEUljE0_EEESZ_S10_S11_S18_S1C_S1E_T6_T7_T9_mT8_S1G_bDpT10_ENKUlT_T0_E_clISt17integral_constantIbLb0EES1T_IbLb1EEEEDaS1P_S1Q_EUlS1P_E_NS1_11comp_targetILNS1_3genE4ELNS1_11target_archE910ELNS1_3gpuE8ELNS1_3repE0EEENS1_30default_config_static_selectorELNS0_4arch9wavefront6targetE0EEEvS12_.numbered_sgpr, 0
	.set _ZN7rocprim17ROCPRIM_400000_NS6detail17trampoline_kernelINS0_13select_configILj256ELj13ELNS0_17block_load_methodE3ELS4_3ELS4_3ELNS0_20block_scan_algorithmE0ELj4294967295EEENS1_25partition_config_selectorILNS1_17partition_subalgoE4EjNS0_10empty_typeEbEEZZNS1_14partition_implILS8_4ELb0ES6_15HIP_vector_typeIjLj2EENS0_17counting_iteratorIjlEEPS9_SG_NS0_5tupleIJPjSI_NS0_16reverse_iteratorISI_EEEEENSH_IJSG_SG_SG_EEES9_SI_JZNS1_25segmented_radix_sort_implINS0_14default_configELb0EPKfPfPKlPlN2at6native12_GLOBAL__N_18offset_tEEE10hipError_tPvRmT1_PNSt15iterator_traitsIS12_E10value_typeET2_T3_PNS13_IS18_E10value_typeET4_jRbjT5_S1E_jjP12ihipStream_tbEUljE_ZNSN_ISO_Lb0ESQ_SR_ST_SU_SY_EESZ_S10_S11_S12_S16_S17_S18_S1B_S1C_jS1D_jS1E_S1E_jjS1G_bEUljE0_EEESZ_S10_S11_S18_S1C_S1E_T6_T7_T9_mT8_S1G_bDpT10_ENKUlT_T0_E_clISt17integral_constantIbLb0EES1T_IbLb1EEEEDaS1P_S1Q_EUlS1P_E_NS1_11comp_targetILNS1_3genE4ELNS1_11target_archE910ELNS1_3gpuE8ELNS1_3repE0EEENS1_30default_config_static_selectorELNS0_4arch9wavefront6targetE0EEEvS12_.num_named_barrier, 0
	.set _ZN7rocprim17ROCPRIM_400000_NS6detail17trampoline_kernelINS0_13select_configILj256ELj13ELNS0_17block_load_methodE3ELS4_3ELS4_3ELNS0_20block_scan_algorithmE0ELj4294967295EEENS1_25partition_config_selectorILNS1_17partition_subalgoE4EjNS0_10empty_typeEbEEZZNS1_14partition_implILS8_4ELb0ES6_15HIP_vector_typeIjLj2EENS0_17counting_iteratorIjlEEPS9_SG_NS0_5tupleIJPjSI_NS0_16reverse_iteratorISI_EEEEENSH_IJSG_SG_SG_EEES9_SI_JZNS1_25segmented_radix_sort_implINS0_14default_configELb0EPKfPfPKlPlN2at6native12_GLOBAL__N_18offset_tEEE10hipError_tPvRmT1_PNSt15iterator_traitsIS12_E10value_typeET2_T3_PNS13_IS18_E10value_typeET4_jRbjT5_S1E_jjP12ihipStream_tbEUljE_ZNSN_ISO_Lb0ESQ_SR_ST_SU_SY_EESZ_S10_S11_S12_S16_S17_S18_S1B_S1C_jS1D_jS1E_S1E_jjS1G_bEUljE0_EEESZ_S10_S11_S18_S1C_S1E_T6_T7_T9_mT8_S1G_bDpT10_ENKUlT_T0_E_clISt17integral_constantIbLb0EES1T_IbLb1EEEEDaS1P_S1Q_EUlS1P_E_NS1_11comp_targetILNS1_3genE4ELNS1_11target_archE910ELNS1_3gpuE8ELNS1_3repE0EEENS1_30default_config_static_selectorELNS0_4arch9wavefront6targetE0EEEvS12_.private_seg_size, 0
	.set _ZN7rocprim17ROCPRIM_400000_NS6detail17trampoline_kernelINS0_13select_configILj256ELj13ELNS0_17block_load_methodE3ELS4_3ELS4_3ELNS0_20block_scan_algorithmE0ELj4294967295EEENS1_25partition_config_selectorILNS1_17partition_subalgoE4EjNS0_10empty_typeEbEEZZNS1_14partition_implILS8_4ELb0ES6_15HIP_vector_typeIjLj2EENS0_17counting_iteratorIjlEEPS9_SG_NS0_5tupleIJPjSI_NS0_16reverse_iteratorISI_EEEEENSH_IJSG_SG_SG_EEES9_SI_JZNS1_25segmented_radix_sort_implINS0_14default_configELb0EPKfPfPKlPlN2at6native12_GLOBAL__N_18offset_tEEE10hipError_tPvRmT1_PNSt15iterator_traitsIS12_E10value_typeET2_T3_PNS13_IS18_E10value_typeET4_jRbjT5_S1E_jjP12ihipStream_tbEUljE_ZNSN_ISO_Lb0ESQ_SR_ST_SU_SY_EESZ_S10_S11_S12_S16_S17_S18_S1B_S1C_jS1D_jS1E_S1E_jjS1G_bEUljE0_EEESZ_S10_S11_S18_S1C_S1E_T6_T7_T9_mT8_S1G_bDpT10_ENKUlT_T0_E_clISt17integral_constantIbLb0EES1T_IbLb1EEEEDaS1P_S1Q_EUlS1P_E_NS1_11comp_targetILNS1_3genE4ELNS1_11target_archE910ELNS1_3gpuE8ELNS1_3repE0EEENS1_30default_config_static_selectorELNS0_4arch9wavefront6targetE0EEEvS12_.uses_vcc, 0
	.set _ZN7rocprim17ROCPRIM_400000_NS6detail17trampoline_kernelINS0_13select_configILj256ELj13ELNS0_17block_load_methodE3ELS4_3ELS4_3ELNS0_20block_scan_algorithmE0ELj4294967295EEENS1_25partition_config_selectorILNS1_17partition_subalgoE4EjNS0_10empty_typeEbEEZZNS1_14partition_implILS8_4ELb0ES6_15HIP_vector_typeIjLj2EENS0_17counting_iteratorIjlEEPS9_SG_NS0_5tupleIJPjSI_NS0_16reverse_iteratorISI_EEEEENSH_IJSG_SG_SG_EEES9_SI_JZNS1_25segmented_radix_sort_implINS0_14default_configELb0EPKfPfPKlPlN2at6native12_GLOBAL__N_18offset_tEEE10hipError_tPvRmT1_PNSt15iterator_traitsIS12_E10value_typeET2_T3_PNS13_IS18_E10value_typeET4_jRbjT5_S1E_jjP12ihipStream_tbEUljE_ZNSN_ISO_Lb0ESQ_SR_ST_SU_SY_EESZ_S10_S11_S12_S16_S17_S18_S1B_S1C_jS1D_jS1E_S1E_jjS1G_bEUljE0_EEESZ_S10_S11_S18_S1C_S1E_T6_T7_T9_mT8_S1G_bDpT10_ENKUlT_T0_E_clISt17integral_constantIbLb0EES1T_IbLb1EEEEDaS1P_S1Q_EUlS1P_E_NS1_11comp_targetILNS1_3genE4ELNS1_11target_archE910ELNS1_3gpuE8ELNS1_3repE0EEENS1_30default_config_static_selectorELNS0_4arch9wavefront6targetE0EEEvS12_.uses_flat_scratch, 0
	.set _ZN7rocprim17ROCPRIM_400000_NS6detail17trampoline_kernelINS0_13select_configILj256ELj13ELNS0_17block_load_methodE3ELS4_3ELS4_3ELNS0_20block_scan_algorithmE0ELj4294967295EEENS1_25partition_config_selectorILNS1_17partition_subalgoE4EjNS0_10empty_typeEbEEZZNS1_14partition_implILS8_4ELb0ES6_15HIP_vector_typeIjLj2EENS0_17counting_iteratorIjlEEPS9_SG_NS0_5tupleIJPjSI_NS0_16reverse_iteratorISI_EEEEENSH_IJSG_SG_SG_EEES9_SI_JZNS1_25segmented_radix_sort_implINS0_14default_configELb0EPKfPfPKlPlN2at6native12_GLOBAL__N_18offset_tEEE10hipError_tPvRmT1_PNSt15iterator_traitsIS12_E10value_typeET2_T3_PNS13_IS18_E10value_typeET4_jRbjT5_S1E_jjP12ihipStream_tbEUljE_ZNSN_ISO_Lb0ESQ_SR_ST_SU_SY_EESZ_S10_S11_S12_S16_S17_S18_S1B_S1C_jS1D_jS1E_S1E_jjS1G_bEUljE0_EEESZ_S10_S11_S18_S1C_S1E_T6_T7_T9_mT8_S1G_bDpT10_ENKUlT_T0_E_clISt17integral_constantIbLb0EES1T_IbLb1EEEEDaS1P_S1Q_EUlS1P_E_NS1_11comp_targetILNS1_3genE4ELNS1_11target_archE910ELNS1_3gpuE8ELNS1_3repE0EEENS1_30default_config_static_selectorELNS0_4arch9wavefront6targetE0EEEvS12_.has_dyn_sized_stack, 0
	.set _ZN7rocprim17ROCPRIM_400000_NS6detail17trampoline_kernelINS0_13select_configILj256ELj13ELNS0_17block_load_methodE3ELS4_3ELS4_3ELNS0_20block_scan_algorithmE0ELj4294967295EEENS1_25partition_config_selectorILNS1_17partition_subalgoE4EjNS0_10empty_typeEbEEZZNS1_14partition_implILS8_4ELb0ES6_15HIP_vector_typeIjLj2EENS0_17counting_iteratorIjlEEPS9_SG_NS0_5tupleIJPjSI_NS0_16reverse_iteratorISI_EEEEENSH_IJSG_SG_SG_EEES9_SI_JZNS1_25segmented_radix_sort_implINS0_14default_configELb0EPKfPfPKlPlN2at6native12_GLOBAL__N_18offset_tEEE10hipError_tPvRmT1_PNSt15iterator_traitsIS12_E10value_typeET2_T3_PNS13_IS18_E10value_typeET4_jRbjT5_S1E_jjP12ihipStream_tbEUljE_ZNSN_ISO_Lb0ESQ_SR_ST_SU_SY_EESZ_S10_S11_S12_S16_S17_S18_S1B_S1C_jS1D_jS1E_S1E_jjS1G_bEUljE0_EEESZ_S10_S11_S18_S1C_S1E_T6_T7_T9_mT8_S1G_bDpT10_ENKUlT_T0_E_clISt17integral_constantIbLb0EES1T_IbLb1EEEEDaS1P_S1Q_EUlS1P_E_NS1_11comp_targetILNS1_3genE4ELNS1_11target_archE910ELNS1_3gpuE8ELNS1_3repE0EEENS1_30default_config_static_selectorELNS0_4arch9wavefront6targetE0EEEvS12_.has_recursion, 0
	.set _ZN7rocprim17ROCPRIM_400000_NS6detail17trampoline_kernelINS0_13select_configILj256ELj13ELNS0_17block_load_methodE3ELS4_3ELS4_3ELNS0_20block_scan_algorithmE0ELj4294967295EEENS1_25partition_config_selectorILNS1_17partition_subalgoE4EjNS0_10empty_typeEbEEZZNS1_14partition_implILS8_4ELb0ES6_15HIP_vector_typeIjLj2EENS0_17counting_iteratorIjlEEPS9_SG_NS0_5tupleIJPjSI_NS0_16reverse_iteratorISI_EEEEENSH_IJSG_SG_SG_EEES9_SI_JZNS1_25segmented_radix_sort_implINS0_14default_configELb0EPKfPfPKlPlN2at6native12_GLOBAL__N_18offset_tEEE10hipError_tPvRmT1_PNSt15iterator_traitsIS12_E10value_typeET2_T3_PNS13_IS18_E10value_typeET4_jRbjT5_S1E_jjP12ihipStream_tbEUljE_ZNSN_ISO_Lb0ESQ_SR_ST_SU_SY_EESZ_S10_S11_S12_S16_S17_S18_S1B_S1C_jS1D_jS1E_S1E_jjS1G_bEUljE0_EEESZ_S10_S11_S18_S1C_S1E_T6_T7_T9_mT8_S1G_bDpT10_ENKUlT_T0_E_clISt17integral_constantIbLb0EES1T_IbLb1EEEEDaS1P_S1Q_EUlS1P_E_NS1_11comp_targetILNS1_3genE4ELNS1_11target_archE910ELNS1_3gpuE8ELNS1_3repE0EEENS1_30default_config_static_selectorELNS0_4arch9wavefront6targetE0EEEvS12_.has_indirect_call, 0
	.section	.AMDGPU.csdata,"",@progbits
; Kernel info:
; codeLenInByte = 0
; TotalNumSgprs: 0
; NumVgprs: 0
; ScratchSize: 0
; MemoryBound: 0
; FloatMode: 240
; IeeeMode: 1
; LDSByteSize: 0 bytes/workgroup (compile time only)
; SGPRBlocks: 0
; VGPRBlocks: 0
; NumSGPRsForWavesPerEU: 1
; NumVGPRsForWavesPerEU: 1
; Occupancy: 16
; WaveLimiterHint : 0
; COMPUTE_PGM_RSRC2:SCRATCH_EN: 0
; COMPUTE_PGM_RSRC2:USER_SGPR: 6
; COMPUTE_PGM_RSRC2:TRAP_HANDLER: 0
; COMPUTE_PGM_RSRC2:TGID_X_EN: 1
; COMPUTE_PGM_RSRC2:TGID_Y_EN: 0
; COMPUTE_PGM_RSRC2:TGID_Z_EN: 0
; COMPUTE_PGM_RSRC2:TIDIG_COMP_CNT: 0
	.section	.text._ZN7rocprim17ROCPRIM_400000_NS6detail17trampoline_kernelINS0_13select_configILj256ELj13ELNS0_17block_load_methodE3ELS4_3ELS4_3ELNS0_20block_scan_algorithmE0ELj4294967295EEENS1_25partition_config_selectorILNS1_17partition_subalgoE4EjNS0_10empty_typeEbEEZZNS1_14partition_implILS8_4ELb0ES6_15HIP_vector_typeIjLj2EENS0_17counting_iteratorIjlEEPS9_SG_NS0_5tupleIJPjSI_NS0_16reverse_iteratorISI_EEEEENSH_IJSG_SG_SG_EEES9_SI_JZNS1_25segmented_radix_sort_implINS0_14default_configELb0EPKfPfPKlPlN2at6native12_GLOBAL__N_18offset_tEEE10hipError_tPvRmT1_PNSt15iterator_traitsIS12_E10value_typeET2_T3_PNS13_IS18_E10value_typeET4_jRbjT5_S1E_jjP12ihipStream_tbEUljE_ZNSN_ISO_Lb0ESQ_SR_ST_SU_SY_EESZ_S10_S11_S12_S16_S17_S18_S1B_S1C_jS1D_jS1E_S1E_jjS1G_bEUljE0_EEESZ_S10_S11_S18_S1C_S1E_T6_T7_T9_mT8_S1G_bDpT10_ENKUlT_T0_E_clISt17integral_constantIbLb0EES1T_IbLb1EEEEDaS1P_S1Q_EUlS1P_E_NS1_11comp_targetILNS1_3genE3ELNS1_11target_archE908ELNS1_3gpuE7ELNS1_3repE0EEENS1_30default_config_static_selectorELNS0_4arch9wavefront6targetE0EEEvS12_,"axG",@progbits,_ZN7rocprim17ROCPRIM_400000_NS6detail17trampoline_kernelINS0_13select_configILj256ELj13ELNS0_17block_load_methodE3ELS4_3ELS4_3ELNS0_20block_scan_algorithmE0ELj4294967295EEENS1_25partition_config_selectorILNS1_17partition_subalgoE4EjNS0_10empty_typeEbEEZZNS1_14partition_implILS8_4ELb0ES6_15HIP_vector_typeIjLj2EENS0_17counting_iteratorIjlEEPS9_SG_NS0_5tupleIJPjSI_NS0_16reverse_iteratorISI_EEEEENSH_IJSG_SG_SG_EEES9_SI_JZNS1_25segmented_radix_sort_implINS0_14default_configELb0EPKfPfPKlPlN2at6native12_GLOBAL__N_18offset_tEEE10hipError_tPvRmT1_PNSt15iterator_traitsIS12_E10value_typeET2_T3_PNS13_IS18_E10value_typeET4_jRbjT5_S1E_jjP12ihipStream_tbEUljE_ZNSN_ISO_Lb0ESQ_SR_ST_SU_SY_EESZ_S10_S11_S12_S16_S17_S18_S1B_S1C_jS1D_jS1E_S1E_jjS1G_bEUljE0_EEESZ_S10_S11_S18_S1C_S1E_T6_T7_T9_mT8_S1G_bDpT10_ENKUlT_T0_E_clISt17integral_constantIbLb0EES1T_IbLb1EEEEDaS1P_S1Q_EUlS1P_E_NS1_11comp_targetILNS1_3genE3ELNS1_11target_archE908ELNS1_3gpuE7ELNS1_3repE0EEENS1_30default_config_static_selectorELNS0_4arch9wavefront6targetE0EEEvS12_,comdat
	.globl	_ZN7rocprim17ROCPRIM_400000_NS6detail17trampoline_kernelINS0_13select_configILj256ELj13ELNS0_17block_load_methodE3ELS4_3ELS4_3ELNS0_20block_scan_algorithmE0ELj4294967295EEENS1_25partition_config_selectorILNS1_17partition_subalgoE4EjNS0_10empty_typeEbEEZZNS1_14partition_implILS8_4ELb0ES6_15HIP_vector_typeIjLj2EENS0_17counting_iteratorIjlEEPS9_SG_NS0_5tupleIJPjSI_NS0_16reverse_iteratorISI_EEEEENSH_IJSG_SG_SG_EEES9_SI_JZNS1_25segmented_radix_sort_implINS0_14default_configELb0EPKfPfPKlPlN2at6native12_GLOBAL__N_18offset_tEEE10hipError_tPvRmT1_PNSt15iterator_traitsIS12_E10value_typeET2_T3_PNS13_IS18_E10value_typeET4_jRbjT5_S1E_jjP12ihipStream_tbEUljE_ZNSN_ISO_Lb0ESQ_SR_ST_SU_SY_EESZ_S10_S11_S12_S16_S17_S18_S1B_S1C_jS1D_jS1E_S1E_jjS1G_bEUljE0_EEESZ_S10_S11_S18_S1C_S1E_T6_T7_T9_mT8_S1G_bDpT10_ENKUlT_T0_E_clISt17integral_constantIbLb0EES1T_IbLb1EEEEDaS1P_S1Q_EUlS1P_E_NS1_11comp_targetILNS1_3genE3ELNS1_11target_archE908ELNS1_3gpuE7ELNS1_3repE0EEENS1_30default_config_static_selectorELNS0_4arch9wavefront6targetE0EEEvS12_ ; -- Begin function _ZN7rocprim17ROCPRIM_400000_NS6detail17trampoline_kernelINS0_13select_configILj256ELj13ELNS0_17block_load_methodE3ELS4_3ELS4_3ELNS0_20block_scan_algorithmE0ELj4294967295EEENS1_25partition_config_selectorILNS1_17partition_subalgoE4EjNS0_10empty_typeEbEEZZNS1_14partition_implILS8_4ELb0ES6_15HIP_vector_typeIjLj2EENS0_17counting_iteratorIjlEEPS9_SG_NS0_5tupleIJPjSI_NS0_16reverse_iteratorISI_EEEEENSH_IJSG_SG_SG_EEES9_SI_JZNS1_25segmented_radix_sort_implINS0_14default_configELb0EPKfPfPKlPlN2at6native12_GLOBAL__N_18offset_tEEE10hipError_tPvRmT1_PNSt15iterator_traitsIS12_E10value_typeET2_T3_PNS13_IS18_E10value_typeET4_jRbjT5_S1E_jjP12ihipStream_tbEUljE_ZNSN_ISO_Lb0ESQ_SR_ST_SU_SY_EESZ_S10_S11_S12_S16_S17_S18_S1B_S1C_jS1D_jS1E_S1E_jjS1G_bEUljE0_EEESZ_S10_S11_S18_S1C_S1E_T6_T7_T9_mT8_S1G_bDpT10_ENKUlT_T0_E_clISt17integral_constantIbLb0EES1T_IbLb1EEEEDaS1P_S1Q_EUlS1P_E_NS1_11comp_targetILNS1_3genE3ELNS1_11target_archE908ELNS1_3gpuE7ELNS1_3repE0EEENS1_30default_config_static_selectorELNS0_4arch9wavefront6targetE0EEEvS12_
	.p2align	8
	.type	_ZN7rocprim17ROCPRIM_400000_NS6detail17trampoline_kernelINS0_13select_configILj256ELj13ELNS0_17block_load_methodE3ELS4_3ELS4_3ELNS0_20block_scan_algorithmE0ELj4294967295EEENS1_25partition_config_selectorILNS1_17partition_subalgoE4EjNS0_10empty_typeEbEEZZNS1_14partition_implILS8_4ELb0ES6_15HIP_vector_typeIjLj2EENS0_17counting_iteratorIjlEEPS9_SG_NS0_5tupleIJPjSI_NS0_16reverse_iteratorISI_EEEEENSH_IJSG_SG_SG_EEES9_SI_JZNS1_25segmented_radix_sort_implINS0_14default_configELb0EPKfPfPKlPlN2at6native12_GLOBAL__N_18offset_tEEE10hipError_tPvRmT1_PNSt15iterator_traitsIS12_E10value_typeET2_T3_PNS13_IS18_E10value_typeET4_jRbjT5_S1E_jjP12ihipStream_tbEUljE_ZNSN_ISO_Lb0ESQ_SR_ST_SU_SY_EESZ_S10_S11_S12_S16_S17_S18_S1B_S1C_jS1D_jS1E_S1E_jjS1G_bEUljE0_EEESZ_S10_S11_S18_S1C_S1E_T6_T7_T9_mT8_S1G_bDpT10_ENKUlT_T0_E_clISt17integral_constantIbLb0EES1T_IbLb1EEEEDaS1P_S1Q_EUlS1P_E_NS1_11comp_targetILNS1_3genE3ELNS1_11target_archE908ELNS1_3gpuE7ELNS1_3repE0EEENS1_30default_config_static_selectorELNS0_4arch9wavefront6targetE0EEEvS12_,@function
_ZN7rocprim17ROCPRIM_400000_NS6detail17trampoline_kernelINS0_13select_configILj256ELj13ELNS0_17block_load_methodE3ELS4_3ELS4_3ELNS0_20block_scan_algorithmE0ELj4294967295EEENS1_25partition_config_selectorILNS1_17partition_subalgoE4EjNS0_10empty_typeEbEEZZNS1_14partition_implILS8_4ELb0ES6_15HIP_vector_typeIjLj2EENS0_17counting_iteratorIjlEEPS9_SG_NS0_5tupleIJPjSI_NS0_16reverse_iteratorISI_EEEEENSH_IJSG_SG_SG_EEES9_SI_JZNS1_25segmented_radix_sort_implINS0_14default_configELb0EPKfPfPKlPlN2at6native12_GLOBAL__N_18offset_tEEE10hipError_tPvRmT1_PNSt15iterator_traitsIS12_E10value_typeET2_T3_PNS13_IS18_E10value_typeET4_jRbjT5_S1E_jjP12ihipStream_tbEUljE_ZNSN_ISO_Lb0ESQ_SR_ST_SU_SY_EESZ_S10_S11_S12_S16_S17_S18_S1B_S1C_jS1D_jS1E_S1E_jjS1G_bEUljE0_EEESZ_S10_S11_S18_S1C_S1E_T6_T7_T9_mT8_S1G_bDpT10_ENKUlT_T0_E_clISt17integral_constantIbLb0EES1T_IbLb1EEEEDaS1P_S1Q_EUlS1P_E_NS1_11comp_targetILNS1_3genE3ELNS1_11target_archE908ELNS1_3gpuE7ELNS1_3repE0EEENS1_30default_config_static_selectorELNS0_4arch9wavefront6targetE0EEEvS12_: ; @_ZN7rocprim17ROCPRIM_400000_NS6detail17trampoline_kernelINS0_13select_configILj256ELj13ELNS0_17block_load_methodE3ELS4_3ELS4_3ELNS0_20block_scan_algorithmE0ELj4294967295EEENS1_25partition_config_selectorILNS1_17partition_subalgoE4EjNS0_10empty_typeEbEEZZNS1_14partition_implILS8_4ELb0ES6_15HIP_vector_typeIjLj2EENS0_17counting_iteratorIjlEEPS9_SG_NS0_5tupleIJPjSI_NS0_16reverse_iteratorISI_EEEEENSH_IJSG_SG_SG_EEES9_SI_JZNS1_25segmented_radix_sort_implINS0_14default_configELb0EPKfPfPKlPlN2at6native12_GLOBAL__N_18offset_tEEE10hipError_tPvRmT1_PNSt15iterator_traitsIS12_E10value_typeET2_T3_PNS13_IS18_E10value_typeET4_jRbjT5_S1E_jjP12ihipStream_tbEUljE_ZNSN_ISO_Lb0ESQ_SR_ST_SU_SY_EESZ_S10_S11_S12_S16_S17_S18_S1B_S1C_jS1D_jS1E_S1E_jjS1G_bEUljE0_EEESZ_S10_S11_S18_S1C_S1E_T6_T7_T9_mT8_S1G_bDpT10_ENKUlT_T0_E_clISt17integral_constantIbLb0EES1T_IbLb1EEEEDaS1P_S1Q_EUlS1P_E_NS1_11comp_targetILNS1_3genE3ELNS1_11target_archE908ELNS1_3gpuE7ELNS1_3repE0EEENS1_30default_config_static_selectorELNS0_4arch9wavefront6targetE0EEEvS12_
; %bb.0:
	.section	.rodata,"a",@progbits
	.p2align	6, 0x0
	.amdhsa_kernel _ZN7rocprim17ROCPRIM_400000_NS6detail17trampoline_kernelINS0_13select_configILj256ELj13ELNS0_17block_load_methodE3ELS4_3ELS4_3ELNS0_20block_scan_algorithmE0ELj4294967295EEENS1_25partition_config_selectorILNS1_17partition_subalgoE4EjNS0_10empty_typeEbEEZZNS1_14partition_implILS8_4ELb0ES6_15HIP_vector_typeIjLj2EENS0_17counting_iteratorIjlEEPS9_SG_NS0_5tupleIJPjSI_NS0_16reverse_iteratorISI_EEEEENSH_IJSG_SG_SG_EEES9_SI_JZNS1_25segmented_radix_sort_implINS0_14default_configELb0EPKfPfPKlPlN2at6native12_GLOBAL__N_18offset_tEEE10hipError_tPvRmT1_PNSt15iterator_traitsIS12_E10value_typeET2_T3_PNS13_IS18_E10value_typeET4_jRbjT5_S1E_jjP12ihipStream_tbEUljE_ZNSN_ISO_Lb0ESQ_SR_ST_SU_SY_EESZ_S10_S11_S12_S16_S17_S18_S1B_S1C_jS1D_jS1E_S1E_jjS1G_bEUljE0_EEESZ_S10_S11_S18_S1C_S1E_T6_T7_T9_mT8_S1G_bDpT10_ENKUlT_T0_E_clISt17integral_constantIbLb0EES1T_IbLb1EEEEDaS1P_S1Q_EUlS1P_E_NS1_11comp_targetILNS1_3genE3ELNS1_11target_archE908ELNS1_3gpuE7ELNS1_3repE0EEENS1_30default_config_static_selectorELNS0_4arch9wavefront6targetE0EEEvS12_
		.amdhsa_group_segment_fixed_size 0
		.amdhsa_private_segment_fixed_size 0
		.amdhsa_kernarg_size 184
		.amdhsa_user_sgpr_count 6
		.amdhsa_user_sgpr_private_segment_buffer 1
		.amdhsa_user_sgpr_dispatch_ptr 0
		.amdhsa_user_sgpr_queue_ptr 0
		.amdhsa_user_sgpr_kernarg_segment_ptr 1
		.amdhsa_user_sgpr_dispatch_id 0
		.amdhsa_user_sgpr_flat_scratch_init 0
		.amdhsa_user_sgpr_private_segment_size 0
		.amdhsa_wavefront_size32 1
		.amdhsa_uses_dynamic_stack 0
		.amdhsa_system_sgpr_private_segment_wavefront_offset 0
		.amdhsa_system_sgpr_workgroup_id_x 1
		.amdhsa_system_sgpr_workgroup_id_y 0
		.amdhsa_system_sgpr_workgroup_id_z 0
		.amdhsa_system_sgpr_workgroup_info 0
		.amdhsa_system_vgpr_workitem_id 0
		.amdhsa_next_free_vgpr 1
		.amdhsa_next_free_sgpr 1
		.amdhsa_reserve_vcc 0
		.amdhsa_reserve_flat_scratch 0
		.amdhsa_float_round_mode_32 0
		.amdhsa_float_round_mode_16_64 0
		.amdhsa_float_denorm_mode_32 3
		.amdhsa_float_denorm_mode_16_64 3
		.amdhsa_dx10_clamp 1
		.amdhsa_ieee_mode 1
		.amdhsa_fp16_overflow 0
		.amdhsa_workgroup_processor_mode 1
		.amdhsa_memory_ordered 1
		.amdhsa_forward_progress 1
		.amdhsa_shared_vgpr_count 0
		.amdhsa_exception_fp_ieee_invalid_op 0
		.amdhsa_exception_fp_denorm_src 0
		.amdhsa_exception_fp_ieee_div_zero 0
		.amdhsa_exception_fp_ieee_overflow 0
		.amdhsa_exception_fp_ieee_underflow 0
		.amdhsa_exception_fp_ieee_inexact 0
		.amdhsa_exception_int_div_zero 0
	.end_amdhsa_kernel
	.section	.text._ZN7rocprim17ROCPRIM_400000_NS6detail17trampoline_kernelINS0_13select_configILj256ELj13ELNS0_17block_load_methodE3ELS4_3ELS4_3ELNS0_20block_scan_algorithmE0ELj4294967295EEENS1_25partition_config_selectorILNS1_17partition_subalgoE4EjNS0_10empty_typeEbEEZZNS1_14partition_implILS8_4ELb0ES6_15HIP_vector_typeIjLj2EENS0_17counting_iteratorIjlEEPS9_SG_NS0_5tupleIJPjSI_NS0_16reverse_iteratorISI_EEEEENSH_IJSG_SG_SG_EEES9_SI_JZNS1_25segmented_radix_sort_implINS0_14default_configELb0EPKfPfPKlPlN2at6native12_GLOBAL__N_18offset_tEEE10hipError_tPvRmT1_PNSt15iterator_traitsIS12_E10value_typeET2_T3_PNS13_IS18_E10value_typeET4_jRbjT5_S1E_jjP12ihipStream_tbEUljE_ZNSN_ISO_Lb0ESQ_SR_ST_SU_SY_EESZ_S10_S11_S12_S16_S17_S18_S1B_S1C_jS1D_jS1E_S1E_jjS1G_bEUljE0_EEESZ_S10_S11_S18_S1C_S1E_T6_T7_T9_mT8_S1G_bDpT10_ENKUlT_T0_E_clISt17integral_constantIbLb0EES1T_IbLb1EEEEDaS1P_S1Q_EUlS1P_E_NS1_11comp_targetILNS1_3genE3ELNS1_11target_archE908ELNS1_3gpuE7ELNS1_3repE0EEENS1_30default_config_static_selectorELNS0_4arch9wavefront6targetE0EEEvS12_,"axG",@progbits,_ZN7rocprim17ROCPRIM_400000_NS6detail17trampoline_kernelINS0_13select_configILj256ELj13ELNS0_17block_load_methodE3ELS4_3ELS4_3ELNS0_20block_scan_algorithmE0ELj4294967295EEENS1_25partition_config_selectorILNS1_17partition_subalgoE4EjNS0_10empty_typeEbEEZZNS1_14partition_implILS8_4ELb0ES6_15HIP_vector_typeIjLj2EENS0_17counting_iteratorIjlEEPS9_SG_NS0_5tupleIJPjSI_NS0_16reverse_iteratorISI_EEEEENSH_IJSG_SG_SG_EEES9_SI_JZNS1_25segmented_radix_sort_implINS0_14default_configELb0EPKfPfPKlPlN2at6native12_GLOBAL__N_18offset_tEEE10hipError_tPvRmT1_PNSt15iterator_traitsIS12_E10value_typeET2_T3_PNS13_IS18_E10value_typeET4_jRbjT5_S1E_jjP12ihipStream_tbEUljE_ZNSN_ISO_Lb0ESQ_SR_ST_SU_SY_EESZ_S10_S11_S12_S16_S17_S18_S1B_S1C_jS1D_jS1E_S1E_jjS1G_bEUljE0_EEESZ_S10_S11_S18_S1C_S1E_T6_T7_T9_mT8_S1G_bDpT10_ENKUlT_T0_E_clISt17integral_constantIbLb0EES1T_IbLb1EEEEDaS1P_S1Q_EUlS1P_E_NS1_11comp_targetILNS1_3genE3ELNS1_11target_archE908ELNS1_3gpuE7ELNS1_3repE0EEENS1_30default_config_static_selectorELNS0_4arch9wavefront6targetE0EEEvS12_,comdat
.Lfunc_end1383:
	.size	_ZN7rocprim17ROCPRIM_400000_NS6detail17trampoline_kernelINS0_13select_configILj256ELj13ELNS0_17block_load_methodE3ELS4_3ELS4_3ELNS0_20block_scan_algorithmE0ELj4294967295EEENS1_25partition_config_selectorILNS1_17partition_subalgoE4EjNS0_10empty_typeEbEEZZNS1_14partition_implILS8_4ELb0ES6_15HIP_vector_typeIjLj2EENS0_17counting_iteratorIjlEEPS9_SG_NS0_5tupleIJPjSI_NS0_16reverse_iteratorISI_EEEEENSH_IJSG_SG_SG_EEES9_SI_JZNS1_25segmented_radix_sort_implINS0_14default_configELb0EPKfPfPKlPlN2at6native12_GLOBAL__N_18offset_tEEE10hipError_tPvRmT1_PNSt15iterator_traitsIS12_E10value_typeET2_T3_PNS13_IS18_E10value_typeET4_jRbjT5_S1E_jjP12ihipStream_tbEUljE_ZNSN_ISO_Lb0ESQ_SR_ST_SU_SY_EESZ_S10_S11_S12_S16_S17_S18_S1B_S1C_jS1D_jS1E_S1E_jjS1G_bEUljE0_EEESZ_S10_S11_S18_S1C_S1E_T6_T7_T9_mT8_S1G_bDpT10_ENKUlT_T0_E_clISt17integral_constantIbLb0EES1T_IbLb1EEEEDaS1P_S1Q_EUlS1P_E_NS1_11comp_targetILNS1_3genE3ELNS1_11target_archE908ELNS1_3gpuE7ELNS1_3repE0EEENS1_30default_config_static_selectorELNS0_4arch9wavefront6targetE0EEEvS12_, .Lfunc_end1383-_ZN7rocprim17ROCPRIM_400000_NS6detail17trampoline_kernelINS0_13select_configILj256ELj13ELNS0_17block_load_methodE3ELS4_3ELS4_3ELNS0_20block_scan_algorithmE0ELj4294967295EEENS1_25partition_config_selectorILNS1_17partition_subalgoE4EjNS0_10empty_typeEbEEZZNS1_14partition_implILS8_4ELb0ES6_15HIP_vector_typeIjLj2EENS0_17counting_iteratorIjlEEPS9_SG_NS0_5tupleIJPjSI_NS0_16reverse_iteratorISI_EEEEENSH_IJSG_SG_SG_EEES9_SI_JZNS1_25segmented_radix_sort_implINS0_14default_configELb0EPKfPfPKlPlN2at6native12_GLOBAL__N_18offset_tEEE10hipError_tPvRmT1_PNSt15iterator_traitsIS12_E10value_typeET2_T3_PNS13_IS18_E10value_typeET4_jRbjT5_S1E_jjP12ihipStream_tbEUljE_ZNSN_ISO_Lb0ESQ_SR_ST_SU_SY_EESZ_S10_S11_S12_S16_S17_S18_S1B_S1C_jS1D_jS1E_S1E_jjS1G_bEUljE0_EEESZ_S10_S11_S18_S1C_S1E_T6_T7_T9_mT8_S1G_bDpT10_ENKUlT_T0_E_clISt17integral_constantIbLb0EES1T_IbLb1EEEEDaS1P_S1Q_EUlS1P_E_NS1_11comp_targetILNS1_3genE3ELNS1_11target_archE908ELNS1_3gpuE7ELNS1_3repE0EEENS1_30default_config_static_selectorELNS0_4arch9wavefront6targetE0EEEvS12_
                                        ; -- End function
	.set _ZN7rocprim17ROCPRIM_400000_NS6detail17trampoline_kernelINS0_13select_configILj256ELj13ELNS0_17block_load_methodE3ELS4_3ELS4_3ELNS0_20block_scan_algorithmE0ELj4294967295EEENS1_25partition_config_selectorILNS1_17partition_subalgoE4EjNS0_10empty_typeEbEEZZNS1_14partition_implILS8_4ELb0ES6_15HIP_vector_typeIjLj2EENS0_17counting_iteratorIjlEEPS9_SG_NS0_5tupleIJPjSI_NS0_16reverse_iteratorISI_EEEEENSH_IJSG_SG_SG_EEES9_SI_JZNS1_25segmented_radix_sort_implINS0_14default_configELb0EPKfPfPKlPlN2at6native12_GLOBAL__N_18offset_tEEE10hipError_tPvRmT1_PNSt15iterator_traitsIS12_E10value_typeET2_T3_PNS13_IS18_E10value_typeET4_jRbjT5_S1E_jjP12ihipStream_tbEUljE_ZNSN_ISO_Lb0ESQ_SR_ST_SU_SY_EESZ_S10_S11_S12_S16_S17_S18_S1B_S1C_jS1D_jS1E_S1E_jjS1G_bEUljE0_EEESZ_S10_S11_S18_S1C_S1E_T6_T7_T9_mT8_S1G_bDpT10_ENKUlT_T0_E_clISt17integral_constantIbLb0EES1T_IbLb1EEEEDaS1P_S1Q_EUlS1P_E_NS1_11comp_targetILNS1_3genE3ELNS1_11target_archE908ELNS1_3gpuE7ELNS1_3repE0EEENS1_30default_config_static_selectorELNS0_4arch9wavefront6targetE0EEEvS12_.num_vgpr, 0
	.set _ZN7rocprim17ROCPRIM_400000_NS6detail17trampoline_kernelINS0_13select_configILj256ELj13ELNS0_17block_load_methodE3ELS4_3ELS4_3ELNS0_20block_scan_algorithmE0ELj4294967295EEENS1_25partition_config_selectorILNS1_17partition_subalgoE4EjNS0_10empty_typeEbEEZZNS1_14partition_implILS8_4ELb0ES6_15HIP_vector_typeIjLj2EENS0_17counting_iteratorIjlEEPS9_SG_NS0_5tupleIJPjSI_NS0_16reverse_iteratorISI_EEEEENSH_IJSG_SG_SG_EEES9_SI_JZNS1_25segmented_radix_sort_implINS0_14default_configELb0EPKfPfPKlPlN2at6native12_GLOBAL__N_18offset_tEEE10hipError_tPvRmT1_PNSt15iterator_traitsIS12_E10value_typeET2_T3_PNS13_IS18_E10value_typeET4_jRbjT5_S1E_jjP12ihipStream_tbEUljE_ZNSN_ISO_Lb0ESQ_SR_ST_SU_SY_EESZ_S10_S11_S12_S16_S17_S18_S1B_S1C_jS1D_jS1E_S1E_jjS1G_bEUljE0_EEESZ_S10_S11_S18_S1C_S1E_T6_T7_T9_mT8_S1G_bDpT10_ENKUlT_T0_E_clISt17integral_constantIbLb0EES1T_IbLb1EEEEDaS1P_S1Q_EUlS1P_E_NS1_11comp_targetILNS1_3genE3ELNS1_11target_archE908ELNS1_3gpuE7ELNS1_3repE0EEENS1_30default_config_static_selectorELNS0_4arch9wavefront6targetE0EEEvS12_.num_agpr, 0
	.set _ZN7rocprim17ROCPRIM_400000_NS6detail17trampoline_kernelINS0_13select_configILj256ELj13ELNS0_17block_load_methodE3ELS4_3ELS4_3ELNS0_20block_scan_algorithmE0ELj4294967295EEENS1_25partition_config_selectorILNS1_17partition_subalgoE4EjNS0_10empty_typeEbEEZZNS1_14partition_implILS8_4ELb0ES6_15HIP_vector_typeIjLj2EENS0_17counting_iteratorIjlEEPS9_SG_NS0_5tupleIJPjSI_NS0_16reverse_iteratorISI_EEEEENSH_IJSG_SG_SG_EEES9_SI_JZNS1_25segmented_radix_sort_implINS0_14default_configELb0EPKfPfPKlPlN2at6native12_GLOBAL__N_18offset_tEEE10hipError_tPvRmT1_PNSt15iterator_traitsIS12_E10value_typeET2_T3_PNS13_IS18_E10value_typeET4_jRbjT5_S1E_jjP12ihipStream_tbEUljE_ZNSN_ISO_Lb0ESQ_SR_ST_SU_SY_EESZ_S10_S11_S12_S16_S17_S18_S1B_S1C_jS1D_jS1E_S1E_jjS1G_bEUljE0_EEESZ_S10_S11_S18_S1C_S1E_T6_T7_T9_mT8_S1G_bDpT10_ENKUlT_T0_E_clISt17integral_constantIbLb0EES1T_IbLb1EEEEDaS1P_S1Q_EUlS1P_E_NS1_11comp_targetILNS1_3genE3ELNS1_11target_archE908ELNS1_3gpuE7ELNS1_3repE0EEENS1_30default_config_static_selectorELNS0_4arch9wavefront6targetE0EEEvS12_.numbered_sgpr, 0
	.set _ZN7rocprim17ROCPRIM_400000_NS6detail17trampoline_kernelINS0_13select_configILj256ELj13ELNS0_17block_load_methodE3ELS4_3ELS4_3ELNS0_20block_scan_algorithmE0ELj4294967295EEENS1_25partition_config_selectorILNS1_17partition_subalgoE4EjNS0_10empty_typeEbEEZZNS1_14partition_implILS8_4ELb0ES6_15HIP_vector_typeIjLj2EENS0_17counting_iteratorIjlEEPS9_SG_NS0_5tupleIJPjSI_NS0_16reverse_iteratorISI_EEEEENSH_IJSG_SG_SG_EEES9_SI_JZNS1_25segmented_radix_sort_implINS0_14default_configELb0EPKfPfPKlPlN2at6native12_GLOBAL__N_18offset_tEEE10hipError_tPvRmT1_PNSt15iterator_traitsIS12_E10value_typeET2_T3_PNS13_IS18_E10value_typeET4_jRbjT5_S1E_jjP12ihipStream_tbEUljE_ZNSN_ISO_Lb0ESQ_SR_ST_SU_SY_EESZ_S10_S11_S12_S16_S17_S18_S1B_S1C_jS1D_jS1E_S1E_jjS1G_bEUljE0_EEESZ_S10_S11_S18_S1C_S1E_T6_T7_T9_mT8_S1G_bDpT10_ENKUlT_T0_E_clISt17integral_constantIbLb0EES1T_IbLb1EEEEDaS1P_S1Q_EUlS1P_E_NS1_11comp_targetILNS1_3genE3ELNS1_11target_archE908ELNS1_3gpuE7ELNS1_3repE0EEENS1_30default_config_static_selectorELNS0_4arch9wavefront6targetE0EEEvS12_.num_named_barrier, 0
	.set _ZN7rocprim17ROCPRIM_400000_NS6detail17trampoline_kernelINS0_13select_configILj256ELj13ELNS0_17block_load_methodE3ELS4_3ELS4_3ELNS0_20block_scan_algorithmE0ELj4294967295EEENS1_25partition_config_selectorILNS1_17partition_subalgoE4EjNS0_10empty_typeEbEEZZNS1_14partition_implILS8_4ELb0ES6_15HIP_vector_typeIjLj2EENS0_17counting_iteratorIjlEEPS9_SG_NS0_5tupleIJPjSI_NS0_16reverse_iteratorISI_EEEEENSH_IJSG_SG_SG_EEES9_SI_JZNS1_25segmented_radix_sort_implINS0_14default_configELb0EPKfPfPKlPlN2at6native12_GLOBAL__N_18offset_tEEE10hipError_tPvRmT1_PNSt15iterator_traitsIS12_E10value_typeET2_T3_PNS13_IS18_E10value_typeET4_jRbjT5_S1E_jjP12ihipStream_tbEUljE_ZNSN_ISO_Lb0ESQ_SR_ST_SU_SY_EESZ_S10_S11_S12_S16_S17_S18_S1B_S1C_jS1D_jS1E_S1E_jjS1G_bEUljE0_EEESZ_S10_S11_S18_S1C_S1E_T6_T7_T9_mT8_S1G_bDpT10_ENKUlT_T0_E_clISt17integral_constantIbLb0EES1T_IbLb1EEEEDaS1P_S1Q_EUlS1P_E_NS1_11comp_targetILNS1_3genE3ELNS1_11target_archE908ELNS1_3gpuE7ELNS1_3repE0EEENS1_30default_config_static_selectorELNS0_4arch9wavefront6targetE0EEEvS12_.private_seg_size, 0
	.set _ZN7rocprim17ROCPRIM_400000_NS6detail17trampoline_kernelINS0_13select_configILj256ELj13ELNS0_17block_load_methodE3ELS4_3ELS4_3ELNS0_20block_scan_algorithmE0ELj4294967295EEENS1_25partition_config_selectorILNS1_17partition_subalgoE4EjNS0_10empty_typeEbEEZZNS1_14partition_implILS8_4ELb0ES6_15HIP_vector_typeIjLj2EENS0_17counting_iteratorIjlEEPS9_SG_NS0_5tupleIJPjSI_NS0_16reverse_iteratorISI_EEEEENSH_IJSG_SG_SG_EEES9_SI_JZNS1_25segmented_radix_sort_implINS0_14default_configELb0EPKfPfPKlPlN2at6native12_GLOBAL__N_18offset_tEEE10hipError_tPvRmT1_PNSt15iterator_traitsIS12_E10value_typeET2_T3_PNS13_IS18_E10value_typeET4_jRbjT5_S1E_jjP12ihipStream_tbEUljE_ZNSN_ISO_Lb0ESQ_SR_ST_SU_SY_EESZ_S10_S11_S12_S16_S17_S18_S1B_S1C_jS1D_jS1E_S1E_jjS1G_bEUljE0_EEESZ_S10_S11_S18_S1C_S1E_T6_T7_T9_mT8_S1G_bDpT10_ENKUlT_T0_E_clISt17integral_constantIbLb0EES1T_IbLb1EEEEDaS1P_S1Q_EUlS1P_E_NS1_11comp_targetILNS1_3genE3ELNS1_11target_archE908ELNS1_3gpuE7ELNS1_3repE0EEENS1_30default_config_static_selectorELNS0_4arch9wavefront6targetE0EEEvS12_.uses_vcc, 0
	.set _ZN7rocprim17ROCPRIM_400000_NS6detail17trampoline_kernelINS0_13select_configILj256ELj13ELNS0_17block_load_methodE3ELS4_3ELS4_3ELNS0_20block_scan_algorithmE0ELj4294967295EEENS1_25partition_config_selectorILNS1_17partition_subalgoE4EjNS0_10empty_typeEbEEZZNS1_14partition_implILS8_4ELb0ES6_15HIP_vector_typeIjLj2EENS0_17counting_iteratorIjlEEPS9_SG_NS0_5tupleIJPjSI_NS0_16reverse_iteratorISI_EEEEENSH_IJSG_SG_SG_EEES9_SI_JZNS1_25segmented_radix_sort_implINS0_14default_configELb0EPKfPfPKlPlN2at6native12_GLOBAL__N_18offset_tEEE10hipError_tPvRmT1_PNSt15iterator_traitsIS12_E10value_typeET2_T3_PNS13_IS18_E10value_typeET4_jRbjT5_S1E_jjP12ihipStream_tbEUljE_ZNSN_ISO_Lb0ESQ_SR_ST_SU_SY_EESZ_S10_S11_S12_S16_S17_S18_S1B_S1C_jS1D_jS1E_S1E_jjS1G_bEUljE0_EEESZ_S10_S11_S18_S1C_S1E_T6_T7_T9_mT8_S1G_bDpT10_ENKUlT_T0_E_clISt17integral_constantIbLb0EES1T_IbLb1EEEEDaS1P_S1Q_EUlS1P_E_NS1_11comp_targetILNS1_3genE3ELNS1_11target_archE908ELNS1_3gpuE7ELNS1_3repE0EEENS1_30default_config_static_selectorELNS0_4arch9wavefront6targetE0EEEvS12_.uses_flat_scratch, 0
	.set _ZN7rocprim17ROCPRIM_400000_NS6detail17trampoline_kernelINS0_13select_configILj256ELj13ELNS0_17block_load_methodE3ELS4_3ELS4_3ELNS0_20block_scan_algorithmE0ELj4294967295EEENS1_25partition_config_selectorILNS1_17partition_subalgoE4EjNS0_10empty_typeEbEEZZNS1_14partition_implILS8_4ELb0ES6_15HIP_vector_typeIjLj2EENS0_17counting_iteratorIjlEEPS9_SG_NS0_5tupleIJPjSI_NS0_16reverse_iteratorISI_EEEEENSH_IJSG_SG_SG_EEES9_SI_JZNS1_25segmented_radix_sort_implINS0_14default_configELb0EPKfPfPKlPlN2at6native12_GLOBAL__N_18offset_tEEE10hipError_tPvRmT1_PNSt15iterator_traitsIS12_E10value_typeET2_T3_PNS13_IS18_E10value_typeET4_jRbjT5_S1E_jjP12ihipStream_tbEUljE_ZNSN_ISO_Lb0ESQ_SR_ST_SU_SY_EESZ_S10_S11_S12_S16_S17_S18_S1B_S1C_jS1D_jS1E_S1E_jjS1G_bEUljE0_EEESZ_S10_S11_S18_S1C_S1E_T6_T7_T9_mT8_S1G_bDpT10_ENKUlT_T0_E_clISt17integral_constantIbLb0EES1T_IbLb1EEEEDaS1P_S1Q_EUlS1P_E_NS1_11comp_targetILNS1_3genE3ELNS1_11target_archE908ELNS1_3gpuE7ELNS1_3repE0EEENS1_30default_config_static_selectorELNS0_4arch9wavefront6targetE0EEEvS12_.has_dyn_sized_stack, 0
	.set _ZN7rocprim17ROCPRIM_400000_NS6detail17trampoline_kernelINS0_13select_configILj256ELj13ELNS0_17block_load_methodE3ELS4_3ELS4_3ELNS0_20block_scan_algorithmE0ELj4294967295EEENS1_25partition_config_selectorILNS1_17partition_subalgoE4EjNS0_10empty_typeEbEEZZNS1_14partition_implILS8_4ELb0ES6_15HIP_vector_typeIjLj2EENS0_17counting_iteratorIjlEEPS9_SG_NS0_5tupleIJPjSI_NS0_16reverse_iteratorISI_EEEEENSH_IJSG_SG_SG_EEES9_SI_JZNS1_25segmented_radix_sort_implINS0_14default_configELb0EPKfPfPKlPlN2at6native12_GLOBAL__N_18offset_tEEE10hipError_tPvRmT1_PNSt15iterator_traitsIS12_E10value_typeET2_T3_PNS13_IS18_E10value_typeET4_jRbjT5_S1E_jjP12ihipStream_tbEUljE_ZNSN_ISO_Lb0ESQ_SR_ST_SU_SY_EESZ_S10_S11_S12_S16_S17_S18_S1B_S1C_jS1D_jS1E_S1E_jjS1G_bEUljE0_EEESZ_S10_S11_S18_S1C_S1E_T6_T7_T9_mT8_S1G_bDpT10_ENKUlT_T0_E_clISt17integral_constantIbLb0EES1T_IbLb1EEEEDaS1P_S1Q_EUlS1P_E_NS1_11comp_targetILNS1_3genE3ELNS1_11target_archE908ELNS1_3gpuE7ELNS1_3repE0EEENS1_30default_config_static_selectorELNS0_4arch9wavefront6targetE0EEEvS12_.has_recursion, 0
	.set _ZN7rocprim17ROCPRIM_400000_NS6detail17trampoline_kernelINS0_13select_configILj256ELj13ELNS0_17block_load_methodE3ELS4_3ELS4_3ELNS0_20block_scan_algorithmE0ELj4294967295EEENS1_25partition_config_selectorILNS1_17partition_subalgoE4EjNS0_10empty_typeEbEEZZNS1_14partition_implILS8_4ELb0ES6_15HIP_vector_typeIjLj2EENS0_17counting_iteratorIjlEEPS9_SG_NS0_5tupleIJPjSI_NS0_16reverse_iteratorISI_EEEEENSH_IJSG_SG_SG_EEES9_SI_JZNS1_25segmented_radix_sort_implINS0_14default_configELb0EPKfPfPKlPlN2at6native12_GLOBAL__N_18offset_tEEE10hipError_tPvRmT1_PNSt15iterator_traitsIS12_E10value_typeET2_T3_PNS13_IS18_E10value_typeET4_jRbjT5_S1E_jjP12ihipStream_tbEUljE_ZNSN_ISO_Lb0ESQ_SR_ST_SU_SY_EESZ_S10_S11_S12_S16_S17_S18_S1B_S1C_jS1D_jS1E_S1E_jjS1G_bEUljE0_EEESZ_S10_S11_S18_S1C_S1E_T6_T7_T9_mT8_S1G_bDpT10_ENKUlT_T0_E_clISt17integral_constantIbLb0EES1T_IbLb1EEEEDaS1P_S1Q_EUlS1P_E_NS1_11comp_targetILNS1_3genE3ELNS1_11target_archE908ELNS1_3gpuE7ELNS1_3repE0EEENS1_30default_config_static_selectorELNS0_4arch9wavefront6targetE0EEEvS12_.has_indirect_call, 0
	.section	.AMDGPU.csdata,"",@progbits
; Kernel info:
; codeLenInByte = 0
; TotalNumSgprs: 0
; NumVgprs: 0
; ScratchSize: 0
; MemoryBound: 0
; FloatMode: 240
; IeeeMode: 1
; LDSByteSize: 0 bytes/workgroup (compile time only)
; SGPRBlocks: 0
; VGPRBlocks: 0
; NumSGPRsForWavesPerEU: 1
; NumVGPRsForWavesPerEU: 1
; Occupancy: 16
; WaveLimiterHint : 0
; COMPUTE_PGM_RSRC2:SCRATCH_EN: 0
; COMPUTE_PGM_RSRC2:USER_SGPR: 6
; COMPUTE_PGM_RSRC2:TRAP_HANDLER: 0
; COMPUTE_PGM_RSRC2:TGID_X_EN: 1
; COMPUTE_PGM_RSRC2:TGID_Y_EN: 0
; COMPUTE_PGM_RSRC2:TGID_Z_EN: 0
; COMPUTE_PGM_RSRC2:TIDIG_COMP_CNT: 0
	.section	.text._ZN7rocprim17ROCPRIM_400000_NS6detail17trampoline_kernelINS0_13select_configILj256ELj13ELNS0_17block_load_methodE3ELS4_3ELS4_3ELNS0_20block_scan_algorithmE0ELj4294967295EEENS1_25partition_config_selectorILNS1_17partition_subalgoE4EjNS0_10empty_typeEbEEZZNS1_14partition_implILS8_4ELb0ES6_15HIP_vector_typeIjLj2EENS0_17counting_iteratorIjlEEPS9_SG_NS0_5tupleIJPjSI_NS0_16reverse_iteratorISI_EEEEENSH_IJSG_SG_SG_EEES9_SI_JZNS1_25segmented_radix_sort_implINS0_14default_configELb0EPKfPfPKlPlN2at6native12_GLOBAL__N_18offset_tEEE10hipError_tPvRmT1_PNSt15iterator_traitsIS12_E10value_typeET2_T3_PNS13_IS18_E10value_typeET4_jRbjT5_S1E_jjP12ihipStream_tbEUljE_ZNSN_ISO_Lb0ESQ_SR_ST_SU_SY_EESZ_S10_S11_S12_S16_S17_S18_S1B_S1C_jS1D_jS1E_S1E_jjS1G_bEUljE0_EEESZ_S10_S11_S18_S1C_S1E_T6_T7_T9_mT8_S1G_bDpT10_ENKUlT_T0_E_clISt17integral_constantIbLb0EES1T_IbLb1EEEEDaS1P_S1Q_EUlS1P_E_NS1_11comp_targetILNS1_3genE2ELNS1_11target_archE906ELNS1_3gpuE6ELNS1_3repE0EEENS1_30default_config_static_selectorELNS0_4arch9wavefront6targetE0EEEvS12_,"axG",@progbits,_ZN7rocprim17ROCPRIM_400000_NS6detail17trampoline_kernelINS0_13select_configILj256ELj13ELNS0_17block_load_methodE3ELS4_3ELS4_3ELNS0_20block_scan_algorithmE0ELj4294967295EEENS1_25partition_config_selectorILNS1_17partition_subalgoE4EjNS0_10empty_typeEbEEZZNS1_14partition_implILS8_4ELb0ES6_15HIP_vector_typeIjLj2EENS0_17counting_iteratorIjlEEPS9_SG_NS0_5tupleIJPjSI_NS0_16reverse_iteratorISI_EEEEENSH_IJSG_SG_SG_EEES9_SI_JZNS1_25segmented_radix_sort_implINS0_14default_configELb0EPKfPfPKlPlN2at6native12_GLOBAL__N_18offset_tEEE10hipError_tPvRmT1_PNSt15iterator_traitsIS12_E10value_typeET2_T3_PNS13_IS18_E10value_typeET4_jRbjT5_S1E_jjP12ihipStream_tbEUljE_ZNSN_ISO_Lb0ESQ_SR_ST_SU_SY_EESZ_S10_S11_S12_S16_S17_S18_S1B_S1C_jS1D_jS1E_S1E_jjS1G_bEUljE0_EEESZ_S10_S11_S18_S1C_S1E_T6_T7_T9_mT8_S1G_bDpT10_ENKUlT_T0_E_clISt17integral_constantIbLb0EES1T_IbLb1EEEEDaS1P_S1Q_EUlS1P_E_NS1_11comp_targetILNS1_3genE2ELNS1_11target_archE906ELNS1_3gpuE6ELNS1_3repE0EEENS1_30default_config_static_selectorELNS0_4arch9wavefront6targetE0EEEvS12_,comdat
	.globl	_ZN7rocprim17ROCPRIM_400000_NS6detail17trampoline_kernelINS0_13select_configILj256ELj13ELNS0_17block_load_methodE3ELS4_3ELS4_3ELNS0_20block_scan_algorithmE0ELj4294967295EEENS1_25partition_config_selectorILNS1_17partition_subalgoE4EjNS0_10empty_typeEbEEZZNS1_14partition_implILS8_4ELb0ES6_15HIP_vector_typeIjLj2EENS0_17counting_iteratorIjlEEPS9_SG_NS0_5tupleIJPjSI_NS0_16reverse_iteratorISI_EEEEENSH_IJSG_SG_SG_EEES9_SI_JZNS1_25segmented_radix_sort_implINS0_14default_configELb0EPKfPfPKlPlN2at6native12_GLOBAL__N_18offset_tEEE10hipError_tPvRmT1_PNSt15iterator_traitsIS12_E10value_typeET2_T3_PNS13_IS18_E10value_typeET4_jRbjT5_S1E_jjP12ihipStream_tbEUljE_ZNSN_ISO_Lb0ESQ_SR_ST_SU_SY_EESZ_S10_S11_S12_S16_S17_S18_S1B_S1C_jS1D_jS1E_S1E_jjS1G_bEUljE0_EEESZ_S10_S11_S18_S1C_S1E_T6_T7_T9_mT8_S1G_bDpT10_ENKUlT_T0_E_clISt17integral_constantIbLb0EES1T_IbLb1EEEEDaS1P_S1Q_EUlS1P_E_NS1_11comp_targetILNS1_3genE2ELNS1_11target_archE906ELNS1_3gpuE6ELNS1_3repE0EEENS1_30default_config_static_selectorELNS0_4arch9wavefront6targetE0EEEvS12_ ; -- Begin function _ZN7rocprim17ROCPRIM_400000_NS6detail17trampoline_kernelINS0_13select_configILj256ELj13ELNS0_17block_load_methodE3ELS4_3ELS4_3ELNS0_20block_scan_algorithmE0ELj4294967295EEENS1_25partition_config_selectorILNS1_17partition_subalgoE4EjNS0_10empty_typeEbEEZZNS1_14partition_implILS8_4ELb0ES6_15HIP_vector_typeIjLj2EENS0_17counting_iteratorIjlEEPS9_SG_NS0_5tupleIJPjSI_NS0_16reverse_iteratorISI_EEEEENSH_IJSG_SG_SG_EEES9_SI_JZNS1_25segmented_radix_sort_implINS0_14default_configELb0EPKfPfPKlPlN2at6native12_GLOBAL__N_18offset_tEEE10hipError_tPvRmT1_PNSt15iterator_traitsIS12_E10value_typeET2_T3_PNS13_IS18_E10value_typeET4_jRbjT5_S1E_jjP12ihipStream_tbEUljE_ZNSN_ISO_Lb0ESQ_SR_ST_SU_SY_EESZ_S10_S11_S12_S16_S17_S18_S1B_S1C_jS1D_jS1E_S1E_jjS1G_bEUljE0_EEESZ_S10_S11_S18_S1C_S1E_T6_T7_T9_mT8_S1G_bDpT10_ENKUlT_T0_E_clISt17integral_constantIbLb0EES1T_IbLb1EEEEDaS1P_S1Q_EUlS1P_E_NS1_11comp_targetILNS1_3genE2ELNS1_11target_archE906ELNS1_3gpuE6ELNS1_3repE0EEENS1_30default_config_static_selectorELNS0_4arch9wavefront6targetE0EEEvS12_
	.p2align	8
	.type	_ZN7rocprim17ROCPRIM_400000_NS6detail17trampoline_kernelINS0_13select_configILj256ELj13ELNS0_17block_load_methodE3ELS4_3ELS4_3ELNS0_20block_scan_algorithmE0ELj4294967295EEENS1_25partition_config_selectorILNS1_17partition_subalgoE4EjNS0_10empty_typeEbEEZZNS1_14partition_implILS8_4ELb0ES6_15HIP_vector_typeIjLj2EENS0_17counting_iteratorIjlEEPS9_SG_NS0_5tupleIJPjSI_NS0_16reverse_iteratorISI_EEEEENSH_IJSG_SG_SG_EEES9_SI_JZNS1_25segmented_radix_sort_implINS0_14default_configELb0EPKfPfPKlPlN2at6native12_GLOBAL__N_18offset_tEEE10hipError_tPvRmT1_PNSt15iterator_traitsIS12_E10value_typeET2_T3_PNS13_IS18_E10value_typeET4_jRbjT5_S1E_jjP12ihipStream_tbEUljE_ZNSN_ISO_Lb0ESQ_SR_ST_SU_SY_EESZ_S10_S11_S12_S16_S17_S18_S1B_S1C_jS1D_jS1E_S1E_jjS1G_bEUljE0_EEESZ_S10_S11_S18_S1C_S1E_T6_T7_T9_mT8_S1G_bDpT10_ENKUlT_T0_E_clISt17integral_constantIbLb0EES1T_IbLb1EEEEDaS1P_S1Q_EUlS1P_E_NS1_11comp_targetILNS1_3genE2ELNS1_11target_archE906ELNS1_3gpuE6ELNS1_3repE0EEENS1_30default_config_static_selectorELNS0_4arch9wavefront6targetE0EEEvS12_,@function
_ZN7rocprim17ROCPRIM_400000_NS6detail17trampoline_kernelINS0_13select_configILj256ELj13ELNS0_17block_load_methodE3ELS4_3ELS4_3ELNS0_20block_scan_algorithmE0ELj4294967295EEENS1_25partition_config_selectorILNS1_17partition_subalgoE4EjNS0_10empty_typeEbEEZZNS1_14partition_implILS8_4ELb0ES6_15HIP_vector_typeIjLj2EENS0_17counting_iteratorIjlEEPS9_SG_NS0_5tupleIJPjSI_NS0_16reverse_iteratorISI_EEEEENSH_IJSG_SG_SG_EEES9_SI_JZNS1_25segmented_radix_sort_implINS0_14default_configELb0EPKfPfPKlPlN2at6native12_GLOBAL__N_18offset_tEEE10hipError_tPvRmT1_PNSt15iterator_traitsIS12_E10value_typeET2_T3_PNS13_IS18_E10value_typeET4_jRbjT5_S1E_jjP12ihipStream_tbEUljE_ZNSN_ISO_Lb0ESQ_SR_ST_SU_SY_EESZ_S10_S11_S12_S16_S17_S18_S1B_S1C_jS1D_jS1E_S1E_jjS1G_bEUljE0_EEESZ_S10_S11_S18_S1C_S1E_T6_T7_T9_mT8_S1G_bDpT10_ENKUlT_T0_E_clISt17integral_constantIbLb0EES1T_IbLb1EEEEDaS1P_S1Q_EUlS1P_E_NS1_11comp_targetILNS1_3genE2ELNS1_11target_archE906ELNS1_3gpuE6ELNS1_3repE0EEENS1_30default_config_static_selectorELNS0_4arch9wavefront6targetE0EEEvS12_: ; @_ZN7rocprim17ROCPRIM_400000_NS6detail17trampoline_kernelINS0_13select_configILj256ELj13ELNS0_17block_load_methodE3ELS4_3ELS4_3ELNS0_20block_scan_algorithmE0ELj4294967295EEENS1_25partition_config_selectorILNS1_17partition_subalgoE4EjNS0_10empty_typeEbEEZZNS1_14partition_implILS8_4ELb0ES6_15HIP_vector_typeIjLj2EENS0_17counting_iteratorIjlEEPS9_SG_NS0_5tupleIJPjSI_NS0_16reverse_iteratorISI_EEEEENSH_IJSG_SG_SG_EEES9_SI_JZNS1_25segmented_radix_sort_implINS0_14default_configELb0EPKfPfPKlPlN2at6native12_GLOBAL__N_18offset_tEEE10hipError_tPvRmT1_PNSt15iterator_traitsIS12_E10value_typeET2_T3_PNS13_IS18_E10value_typeET4_jRbjT5_S1E_jjP12ihipStream_tbEUljE_ZNSN_ISO_Lb0ESQ_SR_ST_SU_SY_EESZ_S10_S11_S12_S16_S17_S18_S1B_S1C_jS1D_jS1E_S1E_jjS1G_bEUljE0_EEESZ_S10_S11_S18_S1C_S1E_T6_T7_T9_mT8_S1G_bDpT10_ENKUlT_T0_E_clISt17integral_constantIbLb0EES1T_IbLb1EEEEDaS1P_S1Q_EUlS1P_E_NS1_11comp_targetILNS1_3genE2ELNS1_11target_archE906ELNS1_3gpuE6ELNS1_3repE0EEENS1_30default_config_static_selectorELNS0_4arch9wavefront6targetE0EEEvS12_
; %bb.0:
	.section	.rodata,"a",@progbits
	.p2align	6, 0x0
	.amdhsa_kernel _ZN7rocprim17ROCPRIM_400000_NS6detail17trampoline_kernelINS0_13select_configILj256ELj13ELNS0_17block_load_methodE3ELS4_3ELS4_3ELNS0_20block_scan_algorithmE0ELj4294967295EEENS1_25partition_config_selectorILNS1_17partition_subalgoE4EjNS0_10empty_typeEbEEZZNS1_14partition_implILS8_4ELb0ES6_15HIP_vector_typeIjLj2EENS0_17counting_iteratorIjlEEPS9_SG_NS0_5tupleIJPjSI_NS0_16reverse_iteratorISI_EEEEENSH_IJSG_SG_SG_EEES9_SI_JZNS1_25segmented_radix_sort_implINS0_14default_configELb0EPKfPfPKlPlN2at6native12_GLOBAL__N_18offset_tEEE10hipError_tPvRmT1_PNSt15iterator_traitsIS12_E10value_typeET2_T3_PNS13_IS18_E10value_typeET4_jRbjT5_S1E_jjP12ihipStream_tbEUljE_ZNSN_ISO_Lb0ESQ_SR_ST_SU_SY_EESZ_S10_S11_S12_S16_S17_S18_S1B_S1C_jS1D_jS1E_S1E_jjS1G_bEUljE0_EEESZ_S10_S11_S18_S1C_S1E_T6_T7_T9_mT8_S1G_bDpT10_ENKUlT_T0_E_clISt17integral_constantIbLb0EES1T_IbLb1EEEEDaS1P_S1Q_EUlS1P_E_NS1_11comp_targetILNS1_3genE2ELNS1_11target_archE906ELNS1_3gpuE6ELNS1_3repE0EEENS1_30default_config_static_selectorELNS0_4arch9wavefront6targetE0EEEvS12_
		.amdhsa_group_segment_fixed_size 0
		.amdhsa_private_segment_fixed_size 0
		.amdhsa_kernarg_size 184
		.amdhsa_user_sgpr_count 6
		.amdhsa_user_sgpr_private_segment_buffer 1
		.amdhsa_user_sgpr_dispatch_ptr 0
		.amdhsa_user_sgpr_queue_ptr 0
		.amdhsa_user_sgpr_kernarg_segment_ptr 1
		.amdhsa_user_sgpr_dispatch_id 0
		.amdhsa_user_sgpr_flat_scratch_init 0
		.amdhsa_user_sgpr_private_segment_size 0
		.amdhsa_wavefront_size32 1
		.amdhsa_uses_dynamic_stack 0
		.amdhsa_system_sgpr_private_segment_wavefront_offset 0
		.amdhsa_system_sgpr_workgroup_id_x 1
		.amdhsa_system_sgpr_workgroup_id_y 0
		.amdhsa_system_sgpr_workgroup_id_z 0
		.amdhsa_system_sgpr_workgroup_info 0
		.amdhsa_system_vgpr_workitem_id 0
		.amdhsa_next_free_vgpr 1
		.amdhsa_next_free_sgpr 1
		.amdhsa_reserve_vcc 0
		.amdhsa_reserve_flat_scratch 0
		.amdhsa_float_round_mode_32 0
		.amdhsa_float_round_mode_16_64 0
		.amdhsa_float_denorm_mode_32 3
		.amdhsa_float_denorm_mode_16_64 3
		.amdhsa_dx10_clamp 1
		.amdhsa_ieee_mode 1
		.amdhsa_fp16_overflow 0
		.amdhsa_workgroup_processor_mode 1
		.amdhsa_memory_ordered 1
		.amdhsa_forward_progress 1
		.amdhsa_shared_vgpr_count 0
		.amdhsa_exception_fp_ieee_invalid_op 0
		.amdhsa_exception_fp_denorm_src 0
		.amdhsa_exception_fp_ieee_div_zero 0
		.amdhsa_exception_fp_ieee_overflow 0
		.amdhsa_exception_fp_ieee_underflow 0
		.amdhsa_exception_fp_ieee_inexact 0
		.amdhsa_exception_int_div_zero 0
	.end_amdhsa_kernel
	.section	.text._ZN7rocprim17ROCPRIM_400000_NS6detail17trampoline_kernelINS0_13select_configILj256ELj13ELNS0_17block_load_methodE3ELS4_3ELS4_3ELNS0_20block_scan_algorithmE0ELj4294967295EEENS1_25partition_config_selectorILNS1_17partition_subalgoE4EjNS0_10empty_typeEbEEZZNS1_14partition_implILS8_4ELb0ES6_15HIP_vector_typeIjLj2EENS0_17counting_iteratorIjlEEPS9_SG_NS0_5tupleIJPjSI_NS0_16reverse_iteratorISI_EEEEENSH_IJSG_SG_SG_EEES9_SI_JZNS1_25segmented_radix_sort_implINS0_14default_configELb0EPKfPfPKlPlN2at6native12_GLOBAL__N_18offset_tEEE10hipError_tPvRmT1_PNSt15iterator_traitsIS12_E10value_typeET2_T3_PNS13_IS18_E10value_typeET4_jRbjT5_S1E_jjP12ihipStream_tbEUljE_ZNSN_ISO_Lb0ESQ_SR_ST_SU_SY_EESZ_S10_S11_S12_S16_S17_S18_S1B_S1C_jS1D_jS1E_S1E_jjS1G_bEUljE0_EEESZ_S10_S11_S18_S1C_S1E_T6_T7_T9_mT8_S1G_bDpT10_ENKUlT_T0_E_clISt17integral_constantIbLb0EES1T_IbLb1EEEEDaS1P_S1Q_EUlS1P_E_NS1_11comp_targetILNS1_3genE2ELNS1_11target_archE906ELNS1_3gpuE6ELNS1_3repE0EEENS1_30default_config_static_selectorELNS0_4arch9wavefront6targetE0EEEvS12_,"axG",@progbits,_ZN7rocprim17ROCPRIM_400000_NS6detail17trampoline_kernelINS0_13select_configILj256ELj13ELNS0_17block_load_methodE3ELS4_3ELS4_3ELNS0_20block_scan_algorithmE0ELj4294967295EEENS1_25partition_config_selectorILNS1_17partition_subalgoE4EjNS0_10empty_typeEbEEZZNS1_14partition_implILS8_4ELb0ES6_15HIP_vector_typeIjLj2EENS0_17counting_iteratorIjlEEPS9_SG_NS0_5tupleIJPjSI_NS0_16reverse_iteratorISI_EEEEENSH_IJSG_SG_SG_EEES9_SI_JZNS1_25segmented_radix_sort_implINS0_14default_configELb0EPKfPfPKlPlN2at6native12_GLOBAL__N_18offset_tEEE10hipError_tPvRmT1_PNSt15iterator_traitsIS12_E10value_typeET2_T3_PNS13_IS18_E10value_typeET4_jRbjT5_S1E_jjP12ihipStream_tbEUljE_ZNSN_ISO_Lb0ESQ_SR_ST_SU_SY_EESZ_S10_S11_S12_S16_S17_S18_S1B_S1C_jS1D_jS1E_S1E_jjS1G_bEUljE0_EEESZ_S10_S11_S18_S1C_S1E_T6_T7_T9_mT8_S1G_bDpT10_ENKUlT_T0_E_clISt17integral_constantIbLb0EES1T_IbLb1EEEEDaS1P_S1Q_EUlS1P_E_NS1_11comp_targetILNS1_3genE2ELNS1_11target_archE906ELNS1_3gpuE6ELNS1_3repE0EEENS1_30default_config_static_selectorELNS0_4arch9wavefront6targetE0EEEvS12_,comdat
.Lfunc_end1384:
	.size	_ZN7rocprim17ROCPRIM_400000_NS6detail17trampoline_kernelINS0_13select_configILj256ELj13ELNS0_17block_load_methodE3ELS4_3ELS4_3ELNS0_20block_scan_algorithmE0ELj4294967295EEENS1_25partition_config_selectorILNS1_17partition_subalgoE4EjNS0_10empty_typeEbEEZZNS1_14partition_implILS8_4ELb0ES6_15HIP_vector_typeIjLj2EENS0_17counting_iteratorIjlEEPS9_SG_NS0_5tupleIJPjSI_NS0_16reverse_iteratorISI_EEEEENSH_IJSG_SG_SG_EEES9_SI_JZNS1_25segmented_radix_sort_implINS0_14default_configELb0EPKfPfPKlPlN2at6native12_GLOBAL__N_18offset_tEEE10hipError_tPvRmT1_PNSt15iterator_traitsIS12_E10value_typeET2_T3_PNS13_IS18_E10value_typeET4_jRbjT5_S1E_jjP12ihipStream_tbEUljE_ZNSN_ISO_Lb0ESQ_SR_ST_SU_SY_EESZ_S10_S11_S12_S16_S17_S18_S1B_S1C_jS1D_jS1E_S1E_jjS1G_bEUljE0_EEESZ_S10_S11_S18_S1C_S1E_T6_T7_T9_mT8_S1G_bDpT10_ENKUlT_T0_E_clISt17integral_constantIbLb0EES1T_IbLb1EEEEDaS1P_S1Q_EUlS1P_E_NS1_11comp_targetILNS1_3genE2ELNS1_11target_archE906ELNS1_3gpuE6ELNS1_3repE0EEENS1_30default_config_static_selectorELNS0_4arch9wavefront6targetE0EEEvS12_, .Lfunc_end1384-_ZN7rocprim17ROCPRIM_400000_NS6detail17trampoline_kernelINS0_13select_configILj256ELj13ELNS0_17block_load_methodE3ELS4_3ELS4_3ELNS0_20block_scan_algorithmE0ELj4294967295EEENS1_25partition_config_selectorILNS1_17partition_subalgoE4EjNS0_10empty_typeEbEEZZNS1_14partition_implILS8_4ELb0ES6_15HIP_vector_typeIjLj2EENS0_17counting_iteratorIjlEEPS9_SG_NS0_5tupleIJPjSI_NS0_16reverse_iteratorISI_EEEEENSH_IJSG_SG_SG_EEES9_SI_JZNS1_25segmented_radix_sort_implINS0_14default_configELb0EPKfPfPKlPlN2at6native12_GLOBAL__N_18offset_tEEE10hipError_tPvRmT1_PNSt15iterator_traitsIS12_E10value_typeET2_T3_PNS13_IS18_E10value_typeET4_jRbjT5_S1E_jjP12ihipStream_tbEUljE_ZNSN_ISO_Lb0ESQ_SR_ST_SU_SY_EESZ_S10_S11_S12_S16_S17_S18_S1B_S1C_jS1D_jS1E_S1E_jjS1G_bEUljE0_EEESZ_S10_S11_S18_S1C_S1E_T6_T7_T9_mT8_S1G_bDpT10_ENKUlT_T0_E_clISt17integral_constantIbLb0EES1T_IbLb1EEEEDaS1P_S1Q_EUlS1P_E_NS1_11comp_targetILNS1_3genE2ELNS1_11target_archE906ELNS1_3gpuE6ELNS1_3repE0EEENS1_30default_config_static_selectorELNS0_4arch9wavefront6targetE0EEEvS12_
                                        ; -- End function
	.set _ZN7rocprim17ROCPRIM_400000_NS6detail17trampoline_kernelINS0_13select_configILj256ELj13ELNS0_17block_load_methodE3ELS4_3ELS4_3ELNS0_20block_scan_algorithmE0ELj4294967295EEENS1_25partition_config_selectorILNS1_17partition_subalgoE4EjNS0_10empty_typeEbEEZZNS1_14partition_implILS8_4ELb0ES6_15HIP_vector_typeIjLj2EENS0_17counting_iteratorIjlEEPS9_SG_NS0_5tupleIJPjSI_NS0_16reverse_iteratorISI_EEEEENSH_IJSG_SG_SG_EEES9_SI_JZNS1_25segmented_radix_sort_implINS0_14default_configELb0EPKfPfPKlPlN2at6native12_GLOBAL__N_18offset_tEEE10hipError_tPvRmT1_PNSt15iterator_traitsIS12_E10value_typeET2_T3_PNS13_IS18_E10value_typeET4_jRbjT5_S1E_jjP12ihipStream_tbEUljE_ZNSN_ISO_Lb0ESQ_SR_ST_SU_SY_EESZ_S10_S11_S12_S16_S17_S18_S1B_S1C_jS1D_jS1E_S1E_jjS1G_bEUljE0_EEESZ_S10_S11_S18_S1C_S1E_T6_T7_T9_mT8_S1G_bDpT10_ENKUlT_T0_E_clISt17integral_constantIbLb0EES1T_IbLb1EEEEDaS1P_S1Q_EUlS1P_E_NS1_11comp_targetILNS1_3genE2ELNS1_11target_archE906ELNS1_3gpuE6ELNS1_3repE0EEENS1_30default_config_static_selectorELNS0_4arch9wavefront6targetE0EEEvS12_.num_vgpr, 0
	.set _ZN7rocprim17ROCPRIM_400000_NS6detail17trampoline_kernelINS0_13select_configILj256ELj13ELNS0_17block_load_methodE3ELS4_3ELS4_3ELNS0_20block_scan_algorithmE0ELj4294967295EEENS1_25partition_config_selectorILNS1_17partition_subalgoE4EjNS0_10empty_typeEbEEZZNS1_14partition_implILS8_4ELb0ES6_15HIP_vector_typeIjLj2EENS0_17counting_iteratorIjlEEPS9_SG_NS0_5tupleIJPjSI_NS0_16reverse_iteratorISI_EEEEENSH_IJSG_SG_SG_EEES9_SI_JZNS1_25segmented_radix_sort_implINS0_14default_configELb0EPKfPfPKlPlN2at6native12_GLOBAL__N_18offset_tEEE10hipError_tPvRmT1_PNSt15iterator_traitsIS12_E10value_typeET2_T3_PNS13_IS18_E10value_typeET4_jRbjT5_S1E_jjP12ihipStream_tbEUljE_ZNSN_ISO_Lb0ESQ_SR_ST_SU_SY_EESZ_S10_S11_S12_S16_S17_S18_S1B_S1C_jS1D_jS1E_S1E_jjS1G_bEUljE0_EEESZ_S10_S11_S18_S1C_S1E_T6_T7_T9_mT8_S1G_bDpT10_ENKUlT_T0_E_clISt17integral_constantIbLb0EES1T_IbLb1EEEEDaS1P_S1Q_EUlS1P_E_NS1_11comp_targetILNS1_3genE2ELNS1_11target_archE906ELNS1_3gpuE6ELNS1_3repE0EEENS1_30default_config_static_selectorELNS0_4arch9wavefront6targetE0EEEvS12_.num_agpr, 0
	.set _ZN7rocprim17ROCPRIM_400000_NS6detail17trampoline_kernelINS0_13select_configILj256ELj13ELNS0_17block_load_methodE3ELS4_3ELS4_3ELNS0_20block_scan_algorithmE0ELj4294967295EEENS1_25partition_config_selectorILNS1_17partition_subalgoE4EjNS0_10empty_typeEbEEZZNS1_14partition_implILS8_4ELb0ES6_15HIP_vector_typeIjLj2EENS0_17counting_iteratorIjlEEPS9_SG_NS0_5tupleIJPjSI_NS0_16reverse_iteratorISI_EEEEENSH_IJSG_SG_SG_EEES9_SI_JZNS1_25segmented_radix_sort_implINS0_14default_configELb0EPKfPfPKlPlN2at6native12_GLOBAL__N_18offset_tEEE10hipError_tPvRmT1_PNSt15iterator_traitsIS12_E10value_typeET2_T3_PNS13_IS18_E10value_typeET4_jRbjT5_S1E_jjP12ihipStream_tbEUljE_ZNSN_ISO_Lb0ESQ_SR_ST_SU_SY_EESZ_S10_S11_S12_S16_S17_S18_S1B_S1C_jS1D_jS1E_S1E_jjS1G_bEUljE0_EEESZ_S10_S11_S18_S1C_S1E_T6_T7_T9_mT8_S1G_bDpT10_ENKUlT_T0_E_clISt17integral_constantIbLb0EES1T_IbLb1EEEEDaS1P_S1Q_EUlS1P_E_NS1_11comp_targetILNS1_3genE2ELNS1_11target_archE906ELNS1_3gpuE6ELNS1_3repE0EEENS1_30default_config_static_selectorELNS0_4arch9wavefront6targetE0EEEvS12_.numbered_sgpr, 0
	.set _ZN7rocprim17ROCPRIM_400000_NS6detail17trampoline_kernelINS0_13select_configILj256ELj13ELNS0_17block_load_methodE3ELS4_3ELS4_3ELNS0_20block_scan_algorithmE0ELj4294967295EEENS1_25partition_config_selectorILNS1_17partition_subalgoE4EjNS0_10empty_typeEbEEZZNS1_14partition_implILS8_4ELb0ES6_15HIP_vector_typeIjLj2EENS0_17counting_iteratorIjlEEPS9_SG_NS0_5tupleIJPjSI_NS0_16reverse_iteratorISI_EEEEENSH_IJSG_SG_SG_EEES9_SI_JZNS1_25segmented_radix_sort_implINS0_14default_configELb0EPKfPfPKlPlN2at6native12_GLOBAL__N_18offset_tEEE10hipError_tPvRmT1_PNSt15iterator_traitsIS12_E10value_typeET2_T3_PNS13_IS18_E10value_typeET4_jRbjT5_S1E_jjP12ihipStream_tbEUljE_ZNSN_ISO_Lb0ESQ_SR_ST_SU_SY_EESZ_S10_S11_S12_S16_S17_S18_S1B_S1C_jS1D_jS1E_S1E_jjS1G_bEUljE0_EEESZ_S10_S11_S18_S1C_S1E_T6_T7_T9_mT8_S1G_bDpT10_ENKUlT_T0_E_clISt17integral_constantIbLb0EES1T_IbLb1EEEEDaS1P_S1Q_EUlS1P_E_NS1_11comp_targetILNS1_3genE2ELNS1_11target_archE906ELNS1_3gpuE6ELNS1_3repE0EEENS1_30default_config_static_selectorELNS0_4arch9wavefront6targetE0EEEvS12_.num_named_barrier, 0
	.set _ZN7rocprim17ROCPRIM_400000_NS6detail17trampoline_kernelINS0_13select_configILj256ELj13ELNS0_17block_load_methodE3ELS4_3ELS4_3ELNS0_20block_scan_algorithmE0ELj4294967295EEENS1_25partition_config_selectorILNS1_17partition_subalgoE4EjNS0_10empty_typeEbEEZZNS1_14partition_implILS8_4ELb0ES6_15HIP_vector_typeIjLj2EENS0_17counting_iteratorIjlEEPS9_SG_NS0_5tupleIJPjSI_NS0_16reverse_iteratorISI_EEEEENSH_IJSG_SG_SG_EEES9_SI_JZNS1_25segmented_radix_sort_implINS0_14default_configELb0EPKfPfPKlPlN2at6native12_GLOBAL__N_18offset_tEEE10hipError_tPvRmT1_PNSt15iterator_traitsIS12_E10value_typeET2_T3_PNS13_IS18_E10value_typeET4_jRbjT5_S1E_jjP12ihipStream_tbEUljE_ZNSN_ISO_Lb0ESQ_SR_ST_SU_SY_EESZ_S10_S11_S12_S16_S17_S18_S1B_S1C_jS1D_jS1E_S1E_jjS1G_bEUljE0_EEESZ_S10_S11_S18_S1C_S1E_T6_T7_T9_mT8_S1G_bDpT10_ENKUlT_T0_E_clISt17integral_constantIbLb0EES1T_IbLb1EEEEDaS1P_S1Q_EUlS1P_E_NS1_11comp_targetILNS1_3genE2ELNS1_11target_archE906ELNS1_3gpuE6ELNS1_3repE0EEENS1_30default_config_static_selectorELNS0_4arch9wavefront6targetE0EEEvS12_.private_seg_size, 0
	.set _ZN7rocprim17ROCPRIM_400000_NS6detail17trampoline_kernelINS0_13select_configILj256ELj13ELNS0_17block_load_methodE3ELS4_3ELS4_3ELNS0_20block_scan_algorithmE0ELj4294967295EEENS1_25partition_config_selectorILNS1_17partition_subalgoE4EjNS0_10empty_typeEbEEZZNS1_14partition_implILS8_4ELb0ES6_15HIP_vector_typeIjLj2EENS0_17counting_iteratorIjlEEPS9_SG_NS0_5tupleIJPjSI_NS0_16reverse_iteratorISI_EEEEENSH_IJSG_SG_SG_EEES9_SI_JZNS1_25segmented_radix_sort_implINS0_14default_configELb0EPKfPfPKlPlN2at6native12_GLOBAL__N_18offset_tEEE10hipError_tPvRmT1_PNSt15iterator_traitsIS12_E10value_typeET2_T3_PNS13_IS18_E10value_typeET4_jRbjT5_S1E_jjP12ihipStream_tbEUljE_ZNSN_ISO_Lb0ESQ_SR_ST_SU_SY_EESZ_S10_S11_S12_S16_S17_S18_S1B_S1C_jS1D_jS1E_S1E_jjS1G_bEUljE0_EEESZ_S10_S11_S18_S1C_S1E_T6_T7_T9_mT8_S1G_bDpT10_ENKUlT_T0_E_clISt17integral_constantIbLb0EES1T_IbLb1EEEEDaS1P_S1Q_EUlS1P_E_NS1_11comp_targetILNS1_3genE2ELNS1_11target_archE906ELNS1_3gpuE6ELNS1_3repE0EEENS1_30default_config_static_selectorELNS0_4arch9wavefront6targetE0EEEvS12_.uses_vcc, 0
	.set _ZN7rocprim17ROCPRIM_400000_NS6detail17trampoline_kernelINS0_13select_configILj256ELj13ELNS0_17block_load_methodE3ELS4_3ELS4_3ELNS0_20block_scan_algorithmE0ELj4294967295EEENS1_25partition_config_selectorILNS1_17partition_subalgoE4EjNS0_10empty_typeEbEEZZNS1_14partition_implILS8_4ELb0ES6_15HIP_vector_typeIjLj2EENS0_17counting_iteratorIjlEEPS9_SG_NS0_5tupleIJPjSI_NS0_16reverse_iteratorISI_EEEEENSH_IJSG_SG_SG_EEES9_SI_JZNS1_25segmented_radix_sort_implINS0_14default_configELb0EPKfPfPKlPlN2at6native12_GLOBAL__N_18offset_tEEE10hipError_tPvRmT1_PNSt15iterator_traitsIS12_E10value_typeET2_T3_PNS13_IS18_E10value_typeET4_jRbjT5_S1E_jjP12ihipStream_tbEUljE_ZNSN_ISO_Lb0ESQ_SR_ST_SU_SY_EESZ_S10_S11_S12_S16_S17_S18_S1B_S1C_jS1D_jS1E_S1E_jjS1G_bEUljE0_EEESZ_S10_S11_S18_S1C_S1E_T6_T7_T9_mT8_S1G_bDpT10_ENKUlT_T0_E_clISt17integral_constantIbLb0EES1T_IbLb1EEEEDaS1P_S1Q_EUlS1P_E_NS1_11comp_targetILNS1_3genE2ELNS1_11target_archE906ELNS1_3gpuE6ELNS1_3repE0EEENS1_30default_config_static_selectorELNS0_4arch9wavefront6targetE0EEEvS12_.uses_flat_scratch, 0
	.set _ZN7rocprim17ROCPRIM_400000_NS6detail17trampoline_kernelINS0_13select_configILj256ELj13ELNS0_17block_load_methodE3ELS4_3ELS4_3ELNS0_20block_scan_algorithmE0ELj4294967295EEENS1_25partition_config_selectorILNS1_17partition_subalgoE4EjNS0_10empty_typeEbEEZZNS1_14partition_implILS8_4ELb0ES6_15HIP_vector_typeIjLj2EENS0_17counting_iteratorIjlEEPS9_SG_NS0_5tupleIJPjSI_NS0_16reverse_iteratorISI_EEEEENSH_IJSG_SG_SG_EEES9_SI_JZNS1_25segmented_radix_sort_implINS0_14default_configELb0EPKfPfPKlPlN2at6native12_GLOBAL__N_18offset_tEEE10hipError_tPvRmT1_PNSt15iterator_traitsIS12_E10value_typeET2_T3_PNS13_IS18_E10value_typeET4_jRbjT5_S1E_jjP12ihipStream_tbEUljE_ZNSN_ISO_Lb0ESQ_SR_ST_SU_SY_EESZ_S10_S11_S12_S16_S17_S18_S1B_S1C_jS1D_jS1E_S1E_jjS1G_bEUljE0_EEESZ_S10_S11_S18_S1C_S1E_T6_T7_T9_mT8_S1G_bDpT10_ENKUlT_T0_E_clISt17integral_constantIbLb0EES1T_IbLb1EEEEDaS1P_S1Q_EUlS1P_E_NS1_11comp_targetILNS1_3genE2ELNS1_11target_archE906ELNS1_3gpuE6ELNS1_3repE0EEENS1_30default_config_static_selectorELNS0_4arch9wavefront6targetE0EEEvS12_.has_dyn_sized_stack, 0
	.set _ZN7rocprim17ROCPRIM_400000_NS6detail17trampoline_kernelINS0_13select_configILj256ELj13ELNS0_17block_load_methodE3ELS4_3ELS4_3ELNS0_20block_scan_algorithmE0ELj4294967295EEENS1_25partition_config_selectorILNS1_17partition_subalgoE4EjNS0_10empty_typeEbEEZZNS1_14partition_implILS8_4ELb0ES6_15HIP_vector_typeIjLj2EENS0_17counting_iteratorIjlEEPS9_SG_NS0_5tupleIJPjSI_NS0_16reverse_iteratorISI_EEEEENSH_IJSG_SG_SG_EEES9_SI_JZNS1_25segmented_radix_sort_implINS0_14default_configELb0EPKfPfPKlPlN2at6native12_GLOBAL__N_18offset_tEEE10hipError_tPvRmT1_PNSt15iterator_traitsIS12_E10value_typeET2_T3_PNS13_IS18_E10value_typeET4_jRbjT5_S1E_jjP12ihipStream_tbEUljE_ZNSN_ISO_Lb0ESQ_SR_ST_SU_SY_EESZ_S10_S11_S12_S16_S17_S18_S1B_S1C_jS1D_jS1E_S1E_jjS1G_bEUljE0_EEESZ_S10_S11_S18_S1C_S1E_T6_T7_T9_mT8_S1G_bDpT10_ENKUlT_T0_E_clISt17integral_constantIbLb0EES1T_IbLb1EEEEDaS1P_S1Q_EUlS1P_E_NS1_11comp_targetILNS1_3genE2ELNS1_11target_archE906ELNS1_3gpuE6ELNS1_3repE0EEENS1_30default_config_static_selectorELNS0_4arch9wavefront6targetE0EEEvS12_.has_recursion, 0
	.set _ZN7rocprim17ROCPRIM_400000_NS6detail17trampoline_kernelINS0_13select_configILj256ELj13ELNS0_17block_load_methodE3ELS4_3ELS4_3ELNS0_20block_scan_algorithmE0ELj4294967295EEENS1_25partition_config_selectorILNS1_17partition_subalgoE4EjNS0_10empty_typeEbEEZZNS1_14partition_implILS8_4ELb0ES6_15HIP_vector_typeIjLj2EENS0_17counting_iteratorIjlEEPS9_SG_NS0_5tupleIJPjSI_NS0_16reverse_iteratorISI_EEEEENSH_IJSG_SG_SG_EEES9_SI_JZNS1_25segmented_radix_sort_implINS0_14default_configELb0EPKfPfPKlPlN2at6native12_GLOBAL__N_18offset_tEEE10hipError_tPvRmT1_PNSt15iterator_traitsIS12_E10value_typeET2_T3_PNS13_IS18_E10value_typeET4_jRbjT5_S1E_jjP12ihipStream_tbEUljE_ZNSN_ISO_Lb0ESQ_SR_ST_SU_SY_EESZ_S10_S11_S12_S16_S17_S18_S1B_S1C_jS1D_jS1E_S1E_jjS1G_bEUljE0_EEESZ_S10_S11_S18_S1C_S1E_T6_T7_T9_mT8_S1G_bDpT10_ENKUlT_T0_E_clISt17integral_constantIbLb0EES1T_IbLb1EEEEDaS1P_S1Q_EUlS1P_E_NS1_11comp_targetILNS1_3genE2ELNS1_11target_archE906ELNS1_3gpuE6ELNS1_3repE0EEENS1_30default_config_static_selectorELNS0_4arch9wavefront6targetE0EEEvS12_.has_indirect_call, 0
	.section	.AMDGPU.csdata,"",@progbits
; Kernel info:
; codeLenInByte = 0
; TotalNumSgprs: 0
; NumVgprs: 0
; ScratchSize: 0
; MemoryBound: 0
; FloatMode: 240
; IeeeMode: 1
; LDSByteSize: 0 bytes/workgroup (compile time only)
; SGPRBlocks: 0
; VGPRBlocks: 0
; NumSGPRsForWavesPerEU: 1
; NumVGPRsForWavesPerEU: 1
; Occupancy: 16
; WaveLimiterHint : 0
; COMPUTE_PGM_RSRC2:SCRATCH_EN: 0
; COMPUTE_PGM_RSRC2:USER_SGPR: 6
; COMPUTE_PGM_RSRC2:TRAP_HANDLER: 0
; COMPUTE_PGM_RSRC2:TGID_X_EN: 1
; COMPUTE_PGM_RSRC2:TGID_Y_EN: 0
; COMPUTE_PGM_RSRC2:TGID_Z_EN: 0
; COMPUTE_PGM_RSRC2:TIDIG_COMP_CNT: 0
	.section	.text._ZN7rocprim17ROCPRIM_400000_NS6detail17trampoline_kernelINS0_13select_configILj256ELj13ELNS0_17block_load_methodE3ELS4_3ELS4_3ELNS0_20block_scan_algorithmE0ELj4294967295EEENS1_25partition_config_selectorILNS1_17partition_subalgoE4EjNS0_10empty_typeEbEEZZNS1_14partition_implILS8_4ELb0ES6_15HIP_vector_typeIjLj2EENS0_17counting_iteratorIjlEEPS9_SG_NS0_5tupleIJPjSI_NS0_16reverse_iteratorISI_EEEEENSH_IJSG_SG_SG_EEES9_SI_JZNS1_25segmented_radix_sort_implINS0_14default_configELb0EPKfPfPKlPlN2at6native12_GLOBAL__N_18offset_tEEE10hipError_tPvRmT1_PNSt15iterator_traitsIS12_E10value_typeET2_T3_PNS13_IS18_E10value_typeET4_jRbjT5_S1E_jjP12ihipStream_tbEUljE_ZNSN_ISO_Lb0ESQ_SR_ST_SU_SY_EESZ_S10_S11_S12_S16_S17_S18_S1B_S1C_jS1D_jS1E_S1E_jjS1G_bEUljE0_EEESZ_S10_S11_S18_S1C_S1E_T6_T7_T9_mT8_S1G_bDpT10_ENKUlT_T0_E_clISt17integral_constantIbLb0EES1T_IbLb1EEEEDaS1P_S1Q_EUlS1P_E_NS1_11comp_targetILNS1_3genE10ELNS1_11target_archE1200ELNS1_3gpuE4ELNS1_3repE0EEENS1_30default_config_static_selectorELNS0_4arch9wavefront6targetE0EEEvS12_,"axG",@progbits,_ZN7rocprim17ROCPRIM_400000_NS6detail17trampoline_kernelINS0_13select_configILj256ELj13ELNS0_17block_load_methodE3ELS4_3ELS4_3ELNS0_20block_scan_algorithmE0ELj4294967295EEENS1_25partition_config_selectorILNS1_17partition_subalgoE4EjNS0_10empty_typeEbEEZZNS1_14partition_implILS8_4ELb0ES6_15HIP_vector_typeIjLj2EENS0_17counting_iteratorIjlEEPS9_SG_NS0_5tupleIJPjSI_NS0_16reverse_iteratorISI_EEEEENSH_IJSG_SG_SG_EEES9_SI_JZNS1_25segmented_radix_sort_implINS0_14default_configELb0EPKfPfPKlPlN2at6native12_GLOBAL__N_18offset_tEEE10hipError_tPvRmT1_PNSt15iterator_traitsIS12_E10value_typeET2_T3_PNS13_IS18_E10value_typeET4_jRbjT5_S1E_jjP12ihipStream_tbEUljE_ZNSN_ISO_Lb0ESQ_SR_ST_SU_SY_EESZ_S10_S11_S12_S16_S17_S18_S1B_S1C_jS1D_jS1E_S1E_jjS1G_bEUljE0_EEESZ_S10_S11_S18_S1C_S1E_T6_T7_T9_mT8_S1G_bDpT10_ENKUlT_T0_E_clISt17integral_constantIbLb0EES1T_IbLb1EEEEDaS1P_S1Q_EUlS1P_E_NS1_11comp_targetILNS1_3genE10ELNS1_11target_archE1200ELNS1_3gpuE4ELNS1_3repE0EEENS1_30default_config_static_selectorELNS0_4arch9wavefront6targetE0EEEvS12_,comdat
	.globl	_ZN7rocprim17ROCPRIM_400000_NS6detail17trampoline_kernelINS0_13select_configILj256ELj13ELNS0_17block_load_methodE3ELS4_3ELS4_3ELNS0_20block_scan_algorithmE0ELj4294967295EEENS1_25partition_config_selectorILNS1_17partition_subalgoE4EjNS0_10empty_typeEbEEZZNS1_14partition_implILS8_4ELb0ES6_15HIP_vector_typeIjLj2EENS0_17counting_iteratorIjlEEPS9_SG_NS0_5tupleIJPjSI_NS0_16reverse_iteratorISI_EEEEENSH_IJSG_SG_SG_EEES9_SI_JZNS1_25segmented_radix_sort_implINS0_14default_configELb0EPKfPfPKlPlN2at6native12_GLOBAL__N_18offset_tEEE10hipError_tPvRmT1_PNSt15iterator_traitsIS12_E10value_typeET2_T3_PNS13_IS18_E10value_typeET4_jRbjT5_S1E_jjP12ihipStream_tbEUljE_ZNSN_ISO_Lb0ESQ_SR_ST_SU_SY_EESZ_S10_S11_S12_S16_S17_S18_S1B_S1C_jS1D_jS1E_S1E_jjS1G_bEUljE0_EEESZ_S10_S11_S18_S1C_S1E_T6_T7_T9_mT8_S1G_bDpT10_ENKUlT_T0_E_clISt17integral_constantIbLb0EES1T_IbLb1EEEEDaS1P_S1Q_EUlS1P_E_NS1_11comp_targetILNS1_3genE10ELNS1_11target_archE1200ELNS1_3gpuE4ELNS1_3repE0EEENS1_30default_config_static_selectorELNS0_4arch9wavefront6targetE0EEEvS12_ ; -- Begin function _ZN7rocprim17ROCPRIM_400000_NS6detail17trampoline_kernelINS0_13select_configILj256ELj13ELNS0_17block_load_methodE3ELS4_3ELS4_3ELNS0_20block_scan_algorithmE0ELj4294967295EEENS1_25partition_config_selectorILNS1_17partition_subalgoE4EjNS0_10empty_typeEbEEZZNS1_14partition_implILS8_4ELb0ES6_15HIP_vector_typeIjLj2EENS0_17counting_iteratorIjlEEPS9_SG_NS0_5tupleIJPjSI_NS0_16reverse_iteratorISI_EEEEENSH_IJSG_SG_SG_EEES9_SI_JZNS1_25segmented_radix_sort_implINS0_14default_configELb0EPKfPfPKlPlN2at6native12_GLOBAL__N_18offset_tEEE10hipError_tPvRmT1_PNSt15iterator_traitsIS12_E10value_typeET2_T3_PNS13_IS18_E10value_typeET4_jRbjT5_S1E_jjP12ihipStream_tbEUljE_ZNSN_ISO_Lb0ESQ_SR_ST_SU_SY_EESZ_S10_S11_S12_S16_S17_S18_S1B_S1C_jS1D_jS1E_S1E_jjS1G_bEUljE0_EEESZ_S10_S11_S18_S1C_S1E_T6_T7_T9_mT8_S1G_bDpT10_ENKUlT_T0_E_clISt17integral_constantIbLb0EES1T_IbLb1EEEEDaS1P_S1Q_EUlS1P_E_NS1_11comp_targetILNS1_3genE10ELNS1_11target_archE1200ELNS1_3gpuE4ELNS1_3repE0EEENS1_30default_config_static_selectorELNS0_4arch9wavefront6targetE0EEEvS12_
	.p2align	8
	.type	_ZN7rocprim17ROCPRIM_400000_NS6detail17trampoline_kernelINS0_13select_configILj256ELj13ELNS0_17block_load_methodE3ELS4_3ELS4_3ELNS0_20block_scan_algorithmE0ELj4294967295EEENS1_25partition_config_selectorILNS1_17partition_subalgoE4EjNS0_10empty_typeEbEEZZNS1_14partition_implILS8_4ELb0ES6_15HIP_vector_typeIjLj2EENS0_17counting_iteratorIjlEEPS9_SG_NS0_5tupleIJPjSI_NS0_16reverse_iteratorISI_EEEEENSH_IJSG_SG_SG_EEES9_SI_JZNS1_25segmented_radix_sort_implINS0_14default_configELb0EPKfPfPKlPlN2at6native12_GLOBAL__N_18offset_tEEE10hipError_tPvRmT1_PNSt15iterator_traitsIS12_E10value_typeET2_T3_PNS13_IS18_E10value_typeET4_jRbjT5_S1E_jjP12ihipStream_tbEUljE_ZNSN_ISO_Lb0ESQ_SR_ST_SU_SY_EESZ_S10_S11_S12_S16_S17_S18_S1B_S1C_jS1D_jS1E_S1E_jjS1G_bEUljE0_EEESZ_S10_S11_S18_S1C_S1E_T6_T7_T9_mT8_S1G_bDpT10_ENKUlT_T0_E_clISt17integral_constantIbLb0EES1T_IbLb1EEEEDaS1P_S1Q_EUlS1P_E_NS1_11comp_targetILNS1_3genE10ELNS1_11target_archE1200ELNS1_3gpuE4ELNS1_3repE0EEENS1_30default_config_static_selectorELNS0_4arch9wavefront6targetE0EEEvS12_,@function
_ZN7rocprim17ROCPRIM_400000_NS6detail17trampoline_kernelINS0_13select_configILj256ELj13ELNS0_17block_load_methodE3ELS4_3ELS4_3ELNS0_20block_scan_algorithmE0ELj4294967295EEENS1_25partition_config_selectorILNS1_17partition_subalgoE4EjNS0_10empty_typeEbEEZZNS1_14partition_implILS8_4ELb0ES6_15HIP_vector_typeIjLj2EENS0_17counting_iteratorIjlEEPS9_SG_NS0_5tupleIJPjSI_NS0_16reverse_iteratorISI_EEEEENSH_IJSG_SG_SG_EEES9_SI_JZNS1_25segmented_radix_sort_implINS0_14default_configELb0EPKfPfPKlPlN2at6native12_GLOBAL__N_18offset_tEEE10hipError_tPvRmT1_PNSt15iterator_traitsIS12_E10value_typeET2_T3_PNS13_IS18_E10value_typeET4_jRbjT5_S1E_jjP12ihipStream_tbEUljE_ZNSN_ISO_Lb0ESQ_SR_ST_SU_SY_EESZ_S10_S11_S12_S16_S17_S18_S1B_S1C_jS1D_jS1E_S1E_jjS1G_bEUljE0_EEESZ_S10_S11_S18_S1C_S1E_T6_T7_T9_mT8_S1G_bDpT10_ENKUlT_T0_E_clISt17integral_constantIbLb0EES1T_IbLb1EEEEDaS1P_S1Q_EUlS1P_E_NS1_11comp_targetILNS1_3genE10ELNS1_11target_archE1200ELNS1_3gpuE4ELNS1_3repE0EEENS1_30default_config_static_selectorELNS0_4arch9wavefront6targetE0EEEvS12_: ; @_ZN7rocprim17ROCPRIM_400000_NS6detail17trampoline_kernelINS0_13select_configILj256ELj13ELNS0_17block_load_methodE3ELS4_3ELS4_3ELNS0_20block_scan_algorithmE0ELj4294967295EEENS1_25partition_config_selectorILNS1_17partition_subalgoE4EjNS0_10empty_typeEbEEZZNS1_14partition_implILS8_4ELb0ES6_15HIP_vector_typeIjLj2EENS0_17counting_iteratorIjlEEPS9_SG_NS0_5tupleIJPjSI_NS0_16reverse_iteratorISI_EEEEENSH_IJSG_SG_SG_EEES9_SI_JZNS1_25segmented_radix_sort_implINS0_14default_configELb0EPKfPfPKlPlN2at6native12_GLOBAL__N_18offset_tEEE10hipError_tPvRmT1_PNSt15iterator_traitsIS12_E10value_typeET2_T3_PNS13_IS18_E10value_typeET4_jRbjT5_S1E_jjP12ihipStream_tbEUljE_ZNSN_ISO_Lb0ESQ_SR_ST_SU_SY_EESZ_S10_S11_S12_S16_S17_S18_S1B_S1C_jS1D_jS1E_S1E_jjS1G_bEUljE0_EEESZ_S10_S11_S18_S1C_S1E_T6_T7_T9_mT8_S1G_bDpT10_ENKUlT_T0_E_clISt17integral_constantIbLb0EES1T_IbLb1EEEEDaS1P_S1Q_EUlS1P_E_NS1_11comp_targetILNS1_3genE10ELNS1_11target_archE1200ELNS1_3gpuE4ELNS1_3repE0EEENS1_30default_config_static_selectorELNS0_4arch9wavefront6targetE0EEEvS12_
; %bb.0:
	.section	.rodata,"a",@progbits
	.p2align	6, 0x0
	.amdhsa_kernel _ZN7rocprim17ROCPRIM_400000_NS6detail17trampoline_kernelINS0_13select_configILj256ELj13ELNS0_17block_load_methodE3ELS4_3ELS4_3ELNS0_20block_scan_algorithmE0ELj4294967295EEENS1_25partition_config_selectorILNS1_17partition_subalgoE4EjNS0_10empty_typeEbEEZZNS1_14partition_implILS8_4ELb0ES6_15HIP_vector_typeIjLj2EENS0_17counting_iteratorIjlEEPS9_SG_NS0_5tupleIJPjSI_NS0_16reverse_iteratorISI_EEEEENSH_IJSG_SG_SG_EEES9_SI_JZNS1_25segmented_radix_sort_implINS0_14default_configELb0EPKfPfPKlPlN2at6native12_GLOBAL__N_18offset_tEEE10hipError_tPvRmT1_PNSt15iterator_traitsIS12_E10value_typeET2_T3_PNS13_IS18_E10value_typeET4_jRbjT5_S1E_jjP12ihipStream_tbEUljE_ZNSN_ISO_Lb0ESQ_SR_ST_SU_SY_EESZ_S10_S11_S12_S16_S17_S18_S1B_S1C_jS1D_jS1E_S1E_jjS1G_bEUljE0_EEESZ_S10_S11_S18_S1C_S1E_T6_T7_T9_mT8_S1G_bDpT10_ENKUlT_T0_E_clISt17integral_constantIbLb0EES1T_IbLb1EEEEDaS1P_S1Q_EUlS1P_E_NS1_11comp_targetILNS1_3genE10ELNS1_11target_archE1200ELNS1_3gpuE4ELNS1_3repE0EEENS1_30default_config_static_selectorELNS0_4arch9wavefront6targetE0EEEvS12_
		.amdhsa_group_segment_fixed_size 0
		.amdhsa_private_segment_fixed_size 0
		.amdhsa_kernarg_size 184
		.amdhsa_user_sgpr_count 6
		.amdhsa_user_sgpr_private_segment_buffer 1
		.amdhsa_user_sgpr_dispatch_ptr 0
		.amdhsa_user_sgpr_queue_ptr 0
		.amdhsa_user_sgpr_kernarg_segment_ptr 1
		.amdhsa_user_sgpr_dispatch_id 0
		.amdhsa_user_sgpr_flat_scratch_init 0
		.amdhsa_user_sgpr_private_segment_size 0
		.amdhsa_wavefront_size32 1
		.amdhsa_uses_dynamic_stack 0
		.amdhsa_system_sgpr_private_segment_wavefront_offset 0
		.amdhsa_system_sgpr_workgroup_id_x 1
		.amdhsa_system_sgpr_workgroup_id_y 0
		.amdhsa_system_sgpr_workgroup_id_z 0
		.amdhsa_system_sgpr_workgroup_info 0
		.amdhsa_system_vgpr_workitem_id 0
		.amdhsa_next_free_vgpr 1
		.amdhsa_next_free_sgpr 1
		.amdhsa_reserve_vcc 0
		.amdhsa_reserve_flat_scratch 0
		.amdhsa_float_round_mode_32 0
		.amdhsa_float_round_mode_16_64 0
		.amdhsa_float_denorm_mode_32 3
		.amdhsa_float_denorm_mode_16_64 3
		.amdhsa_dx10_clamp 1
		.amdhsa_ieee_mode 1
		.amdhsa_fp16_overflow 0
		.amdhsa_workgroup_processor_mode 1
		.amdhsa_memory_ordered 1
		.amdhsa_forward_progress 1
		.amdhsa_shared_vgpr_count 0
		.amdhsa_exception_fp_ieee_invalid_op 0
		.amdhsa_exception_fp_denorm_src 0
		.amdhsa_exception_fp_ieee_div_zero 0
		.amdhsa_exception_fp_ieee_overflow 0
		.amdhsa_exception_fp_ieee_underflow 0
		.amdhsa_exception_fp_ieee_inexact 0
		.amdhsa_exception_int_div_zero 0
	.end_amdhsa_kernel
	.section	.text._ZN7rocprim17ROCPRIM_400000_NS6detail17trampoline_kernelINS0_13select_configILj256ELj13ELNS0_17block_load_methodE3ELS4_3ELS4_3ELNS0_20block_scan_algorithmE0ELj4294967295EEENS1_25partition_config_selectorILNS1_17partition_subalgoE4EjNS0_10empty_typeEbEEZZNS1_14partition_implILS8_4ELb0ES6_15HIP_vector_typeIjLj2EENS0_17counting_iteratorIjlEEPS9_SG_NS0_5tupleIJPjSI_NS0_16reverse_iteratorISI_EEEEENSH_IJSG_SG_SG_EEES9_SI_JZNS1_25segmented_radix_sort_implINS0_14default_configELb0EPKfPfPKlPlN2at6native12_GLOBAL__N_18offset_tEEE10hipError_tPvRmT1_PNSt15iterator_traitsIS12_E10value_typeET2_T3_PNS13_IS18_E10value_typeET4_jRbjT5_S1E_jjP12ihipStream_tbEUljE_ZNSN_ISO_Lb0ESQ_SR_ST_SU_SY_EESZ_S10_S11_S12_S16_S17_S18_S1B_S1C_jS1D_jS1E_S1E_jjS1G_bEUljE0_EEESZ_S10_S11_S18_S1C_S1E_T6_T7_T9_mT8_S1G_bDpT10_ENKUlT_T0_E_clISt17integral_constantIbLb0EES1T_IbLb1EEEEDaS1P_S1Q_EUlS1P_E_NS1_11comp_targetILNS1_3genE10ELNS1_11target_archE1200ELNS1_3gpuE4ELNS1_3repE0EEENS1_30default_config_static_selectorELNS0_4arch9wavefront6targetE0EEEvS12_,"axG",@progbits,_ZN7rocprim17ROCPRIM_400000_NS6detail17trampoline_kernelINS0_13select_configILj256ELj13ELNS0_17block_load_methodE3ELS4_3ELS4_3ELNS0_20block_scan_algorithmE0ELj4294967295EEENS1_25partition_config_selectorILNS1_17partition_subalgoE4EjNS0_10empty_typeEbEEZZNS1_14partition_implILS8_4ELb0ES6_15HIP_vector_typeIjLj2EENS0_17counting_iteratorIjlEEPS9_SG_NS0_5tupleIJPjSI_NS0_16reverse_iteratorISI_EEEEENSH_IJSG_SG_SG_EEES9_SI_JZNS1_25segmented_radix_sort_implINS0_14default_configELb0EPKfPfPKlPlN2at6native12_GLOBAL__N_18offset_tEEE10hipError_tPvRmT1_PNSt15iterator_traitsIS12_E10value_typeET2_T3_PNS13_IS18_E10value_typeET4_jRbjT5_S1E_jjP12ihipStream_tbEUljE_ZNSN_ISO_Lb0ESQ_SR_ST_SU_SY_EESZ_S10_S11_S12_S16_S17_S18_S1B_S1C_jS1D_jS1E_S1E_jjS1G_bEUljE0_EEESZ_S10_S11_S18_S1C_S1E_T6_T7_T9_mT8_S1G_bDpT10_ENKUlT_T0_E_clISt17integral_constantIbLb0EES1T_IbLb1EEEEDaS1P_S1Q_EUlS1P_E_NS1_11comp_targetILNS1_3genE10ELNS1_11target_archE1200ELNS1_3gpuE4ELNS1_3repE0EEENS1_30default_config_static_selectorELNS0_4arch9wavefront6targetE0EEEvS12_,comdat
.Lfunc_end1385:
	.size	_ZN7rocprim17ROCPRIM_400000_NS6detail17trampoline_kernelINS0_13select_configILj256ELj13ELNS0_17block_load_methodE3ELS4_3ELS4_3ELNS0_20block_scan_algorithmE0ELj4294967295EEENS1_25partition_config_selectorILNS1_17partition_subalgoE4EjNS0_10empty_typeEbEEZZNS1_14partition_implILS8_4ELb0ES6_15HIP_vector_typeIjLj2EENS0_17counting_iteratorIjlEEPS9_SG_NS0_5tupleIJPjSI_NS0_16reverse_iteratorISI_EEEEENSH_IJSG_SG_SG_EEES9_SI_JZNS1_25segmented_radix_sort_implINS0_14default_configELb0EPKfPfPKlPlN2at6native12_GLOBAL__N_18offset_tEEE10hipError_tPvRmT1_PNSt15iterator_traitsIS12_E10value_typeET2_T3_PNS13_IS18_E10value_typeET4_jRbjT5_S1E_jjP12ihipStream_tbEUljE_ZNSN_ISO_Lb0ESQ_SR_ST_SU_SY_EESZ_S10_S11_S12_S16_S17_S18_S1B_S1C_jS1D_jS1E_S1E_jjS1G_bEUljE0_EEESZ_S10_S11_S18_S1C_S1E_T6_T7_T9_mT8_S1G_bDpT10_ENKUlT_T0_E_clISt17integral_constantIbLb0EES1T_IbLb1EEEEDaS1P_S1Q_EUlS1P_E_NS1_11comp_targetILNS1_3genE10ELNS1_11target_archE1200ELNS1_3gpuE4ELNS1_3repE0EEENS1_30default_config_static_selectorELNS0_4arch9wavefront6targetE0EEEvS12_, .Lfunc_end1385-_ZN7rocprim17ROCPRIM_400000_NS6detail17trampoline_kernelINS0_13select_configILj256ELj13ELNS0_17block_load_methodE3ELS4_3ELS4_3ELNS0_20block_scan_algorithmE0ELj4294967295EEENS1_25partition_config_selectorILNS1_17partition_subalgoE4EjNS0_10empty_typeEbEEZZNS1_14partition_implILS8_4ELb0ES6_15HIP_vector_typeIjLj2EENS0_17counting_iteratorIjlEEPS9_SG_NS0_5tupleIJPjSI_NS0_16reverse_iteratorISI_EEEEENSH_IJSG_SG_SG_EEES9_SI_JZNS1_25segmented_radix_sort_implINS0_14default_configELb0EPKfPfPKlPlN2at6native12_GLOBAL__N_18offset_tEEE10hipError_tPvRmT1_PNSt15iterator_traitsIS12_E10value_typeET2_T3_PNS13_IS18_E10value_typeET4_jRbjT5_S1E_jjP12ihipStream_tbEUljE_ZNSN_ISO_Lb0ESQ_SR_ST_SU_SY_EESZ_S10_S11_S12_S16_S17_S18_S1B_S1C_jS1D_jS1E_S1E_jjS1G_bEUljE0_EEESZ_S10_S11_S18_S1C_S1E_T6_T7_T9_mT8_S1G_bDpT10_ENKUlT_T0_E_clISt17integral_constantIbLb0EES1T_IbLb1EEEEDaS1P_S1Q_EUlS1P_E_NS1_11comp_targetILNS1_3genE10ELNS1_11target_archE1200ELNS1_3gpuE4ELNS1_3repE0EEENS1_30default_config_static_selectorELNS0_4arch9wavefront6targetE0EEEvS12_
                                        ; -- End function
	.set _ZN7rocprim17ROCPRIM_400000_NS6detail17trampoline_kernelINS0_13select_configILj256ELj13ELNS0_17block_load_methodE3ELS4_3ELS4_3ELNS0_20block_scan_algorithmE0ELj4294967295EEENS1_25partition_config_selectorILNS1_17partition_subalgoE4EjNS0_10empty_typeEbEEZZNS1_14partition_implILS8_4ELb0ES6_15HIP_vector_typeIjLj2EENS0_17counting_iteratorIjlEEPS9_SG_NS0_5tupleIJPjSI_NS0_16reverse_iteratorISI_EEEEENSH_IJSG_SG_SG_EEES9_SI_JZNS1_25segmented_radix_sort_implINS0_14default_configELb0EPKfPfPKlPlN2at6native12_GLOBAL__N_18offset_tEEE10hipError_tPvRmT1_PNSt15iterator_traitsIS12_E10value_typeET2_T3_PNS13_IS18_E10value_typeET4_jRbjT5_S1E_jjP12ihipStream_tbEUljE_ZNSN_ISO_Lb0ESQ_SR_ST_SU_SY_EESZ_S10_S11_S12_S16_S17_S18_S1B_S1C_jS1D_jS1E_S1E_jjS1G_bEUljE0_EEESZ_S10_S11_S18_S1C_S1E_T6_T7_T9_mT8_S1G_bDpT10_ENKUlT_T0_E_clISt17integral_constantIbLb0EES1T_IbLb1EEEEDaS1P_S1Q_EUlS1P_E_NS1_11comp_targetILNS1_3genE10ELNS1_11target_archE1200ELNS1_3gpuE4ELNS1_3repE0EEENS1_30default_config_static_selectorELNS0_4arch9wavefront6targetE0EEEvS12_.num_vgpr, 0
	.set _ZN7rocprim17ROCPRIM_400000_NS6detail17trampoline_kernelINS0_13select_configILj256ELj13ELNS0_17block_load_methodE3ELS4_3ELS4_3ELNS0_20block_scan_algorithmE0ELj4294967295EEENS1_25partition_config_selectorILNS1_17partition_subalgoE4EjNS0_10empty_typeEbEEZZNS1_14partition_implILS8_4ELb0ES6_15HIP_vector_typeIjLj2EENS0_17counting_iteratorIjlEEPS9_SG_NS0_5tupleIJPjSI_NS0_16reverse_iteratorISI_EEEEENSH_IJSG_SG_SG_EEES9_SI_JZNS1_25segmented_radix_sort_implINS0_14default_configELb0EPKfPfPKlPlN2at6native12_GLOBAL__N_18offset_tEEE10hipError_tPvRmT1_PNSt15iterator_traitsIS12_E10value_typeET2_T3_PNS13_IS18_E10value_typeET4_jRbjT5_S1E_jjP12ihipStream_tbEUljE_ZNSN_ISO_Lb0ESQ_SR_ST_SU_SY_EESZ_S10_S11_S12_S16_S17_S18_S1B_S1C_jS1D_jS1E_S1E_jjS1G_bEUljE0_EEESZ_S10_S11_S18_S1C_S1E_T6_T7_T9_mT8_S1G_bDpT10_ENKUlT_T0_E_clISt17integral_constantIbLb0EES1T_IbLb1EEEEDaS1P_S1Q_EUlS1P_E_NS1_11comp_targetILNS1_3genE10ELNS1_11target_archE1200ELNS1_3gpuE4ELNS1_3repE0EEENS1_30default_config_static_selectorELNS0_4arch9wavefront6targetE0EEEvS12_.num_agpr, 0
	.set _ZN7rocprim17ROCPRIM_400000_NS6detail17trampoline_kernelINS0_13select_configILj256ELj13ELNS0_17block_load_methodE3ELS4_3ELS4_3ELNS0_20block_scan_algorithmE0ELj4294967295EEENS1_25partition_config_selectorILNS1_17partition_subalgoE4EjNS0_10empty_typeEbEEZZNS1_14partition_implILS8_4ELb0ES6_15HIP_vector_typeIjLj2EENS0_17counting_iteratorIjlEEPS9_SG_NS0_5tupleIJPjSI_NS0_16reverse_iteratorISI_EEEEENSH_IJSG_SG_SG_EEES9_SI_JZNS1_25segmented_radix_sort_implINS0_14default_configELb0EPKfPfPKlPlN2at6native12_GLOBAL__N_18offset_tEEE10hipError_tPvRmT1_PNSt15iterator_traitsIS12_E10value_typeET2_T3_PNS13_IS18_E10value_typeET4_jRbjT5_S1E_jjP12ihipStream_tbEUljE_ZNSN_ISO_Lb0ESQ_SR_ST_SU_SY_EESZ_S10_S11_S12_S16_S17_S18_S1B_S1C_jS1D_jS1E_S1E_jjS1G_bEUljE0_EEESZ_S10_S11_S18_S1C_S1E_T6_T7_T9_mT8_S1G_bDpT10_ENKUlT_T0_E_clISt17integral_constantIbLb0EES1T_IbLb1EEEEDaS1P_S1Q_EUlS1P_E_NS1_11comp_targetILNS1_3genE10ELNS1_11target_archE1200ELNS1_3gpuE4ELNS1_3repE0EEENS1_30default_config_static_selectorELNS0_4arch9wavefront6targetE0EEEvS12_.numbered_sgpr, 0
	.set _ZN7rocprim17ROCPRIM_400000_NS6detail17trampoline_kernelINS0_13select_configILj256ELj13ELNS0_17block_load_methodE3ELS4_3ELS4_3ELNS0_20block_scan_algorithmE0ELj4294967295EEENS1_25partition_config_selectorILNS1_17partition_subalgoE4EjNS0_10empty_typeEbEEZZNS1_14partition_implILS8_4ELb0ES6_15HIP_vector_typeIjLj2EENS0_17counting_iteratorIjlEEPS9_SG_NS0_5tupleIJPjSI_NS0_16reverse_iteratorISI_EEEEENSH_IJSG_SG_SG_EEES9_SI_JZNS1_25segmented_radix_sort_implINS0_14default_configELb0EPKfPfPKlPlN2at6native12_GLOBAL__N_18offset_tEEE10hipError_tPvRmT1_PNSt15iterator_traitsIS12_E10value_typeET2_T3_PNS13_IS18_E10value_typeET4_jRbjT5_S1E_jjP12ihipStream_tbEUljE_ZNSN_ISO_Lb0ESQ_SR_ST_SU_SY_EESZ_S10_S11_S12_S16_S17_S18_S1B_S1C_jS1D_jS1E_S1E_jjS1G_bEUljE0_EEESZ_S10_S11_S18_S1C_S1E_T6_T7_T9_mT8_S1G_bDpT10_ENKUlT_T0_E_clISt17integral_constantIbLb0EES1T_IbLb1EEEEDaS1P_S1Q_EUlS1P_E_NS1_11comp_targetILNS1_3genE10ELNS1_11target_archE1200ELNS1_3gpuE4ELNS1_3repE0EEENS1_30default_config_static_selectorELNS0_4arch9wavefront6targetE0EEEvS12_.num_named_barrier, 0
	.set _ZN7rocprim17ROCPRIM_400000_NS6detail17trampoline_kernelINS0_13select_configILj256ELj13ELNS0_17block_load_methodE3ELS4_3ELS4_3ELNS0_20block_scan_algorithmE0ELj4294967295EEENS1_25partition_config_selectorILNS1_17partition_subalgoE4EjNS0_10empty_typeEbEEZZNS1_14partition_implILS8_4ELb0ES6_15HIP_vector_typeIjLj2EENS0_17counting_iteratorIjlEEPS9_SG_NS0_5tupleIJPjSI_NS0_16reverse_iteratorISI_EEEEENSH_IJSG_SG_SG_EEES9_SI_JZNS1_25segmented_radix_sort_implINS0_14default_configELb0EPKfPfPKlPlN2at6native12_GLOBAL__N_18offset_tEEE10hipError_tPvRmT1_PNSt15iterator_traitsIS12_E10value_typeET2_T3_PNS13_IS18_E10value_typeET4_jRbjT5_S1E_jjP12ihipStream_tbEUljE_ZNSN_ISO_Lb0ESQ_SR_ST_SU_SY_EESZ_S10_S11_S12_S16_S17_S18_S1B_S1C_jS1D_jS1E_S1E_jjS1G_bEUljE0_EEESZ_S10_S11_S18_S1C_S1E_T6_T7_T9_mT8_S1G_bDpT10_ENKUlT_T0_E_clISt17integral_constantIbLb0EES1T_IbLb1EEEEDaS1P_S1Q_EUlS1P_E_NS1_11comp_targetILNS1_3genE10ELNS1_11target_archE1200ELNS1_3gpuE4ELNS1_3repE0EEENS1_30default_config_static_selectorELNS0_4arch9wavefront6targetE0EEEvS12_.private_seg_size, 0
	.set _ZN7rocprim17ROCPRIM_400000_NS6detail17trampoline_kernelINS0_13select_configILj256ELj13ELNS0_17block_load_methodE3ELS4_3ELS4_3ELNS0_20block_scan_algorithmE0ELj4294967295EEENS1_25partition_config_selectorILNS1_17partition_subalgoE4EjNS0_10empty_typeEbEEZZNS1_14partition_implILS8_4ELb0ES6_15HIP_vector_typeIjLj2EENS0_17counting_iteratorIjlEEPS9_SG_NS0_5tupleIJPjSI_NS0_16reverse_iteratorISI_EEEEENSH_IJSG_SG_SG_EEES9_SI_JZNS1_25segmented_radix_sort_implINS0_14default_configELb0EPKfPfPKlPlN2at6native12_GLOBAL__N_18offset_tEEE10hipError_tPvRmT1_PNSt15iterator_traitsIS12_E10value_typeET2_T3_PNS13_IS18_E10value_typeET4_jRbjT5_S1E_jjP12ihipStream_tbEUljE_ZNSN_ISO_Lb0ESQ_SR_ST_SU_SY_EESZ_S10_S11_S12_S16_S17_S18_S1B_S1C_jS1D_jS1E_S1E_jjS1G_bEUljE0_EEESZ_S10_S11_S18_S1C_S1E_T6_T7_T9_mT8_S1G_bDpT10_ENKUlT_T0_E_clISt17integral_constantIbLb0EES1T_IbLb1EEEEDaS1P_S1Q_EUlS1P_E_NS1_11comp_targetILNS1_3genE10ELNS1_11target_archE1200ELNS1_3gpuE4ELNS1_3repE0EEENS1_30default_config_static_selectorELNS0_4arch9wavefront6targetE0EEEvS12_.uses_vcc, 0
	.set _ZN7rocprim17ROCPRIM_400000_NS6detail17trampoline_kernelINS0_13select_configILj256ELj13ELNS0_17block_load_methodE3ELS4_3ELS4_3ELNS0_20block_scan_algorithmE0ELj4294967295EEENS1_25partition_config_selectorILNS1_17partition_subalgoE4EjNS0_10empty_typeEbEEZZNS1_14partition_implILS8_4ELb0ES6_15HIP_vector_typeIjLj2EENS0_17counting_iteratorIjlEEPS9_SG_NS0_5tupleIJPjSI_NS0_16reverse_iteratorISI_EEEEENSH_IJSG_SG_SG_EEES9_SI_JZNS1_25segmented_radix_sort_implINS0_14default_configELb0EPKfPfPKlPlN2at6native12_GLOBAL__N_18offset_tEEE10hipError_tPvRmT1_PNSt15iterator_traitsIS12_E10value_typeET2_T3_PNS13_IS18_E10value_typeET4_jRbjT5_S1E_jjP12ihipStream_tbEUljE_ZNSN_ISO_Lb0ESQ_SR_ST_SU_SY_EESZ_S10_S11_S12_S16_S17_S18_S1B_S1C_jS1D_jS1E_S1E_jjS1G_bEUljE0_EEESZ_S10_S11_S18_S1C_S1E_T6_T7_T9_mT8_S1G_bDpT10_ENKUlT_T0_E_clISt17integral_constantIbLb0EES1T_IbLb1EEEEDaS1P_S1Q_EUlS1P_E_NS1_11comp_targetILNS1_3genE10ELNS1_11target_archE1200ELNS1_3gpuE4ELNS1_3repE0EEENS1_30default_config_static_selectorELNS0_4arch9wavefront6targetE0EEEvS12_.uses_flat_scratch, 0
	.set _ZN7rocprim17ROCPRIM_400000_NS6detail17trampoline_kernelINS0_13select_configILj256ELj13ELNS0_17block_load_methodE3ELS4_3ELS4_3ELNS0_20block_scan_algorithmE0ELj4294967295EEENS1_25partition_config_selectorILNS1_17partition_subalgoE4EjNS0_10empty_typeEbEEZZNS1_14partition_implILS8_4ELb0ES6_15HIP_vector_typeIjLj2EENS0_17counting_iteratorIjlEEPS9_SG_NS0_5tupleIJPjSI_NS0_16reverse_iteratorISI_EEEEENSH_IJSG_SG_SG_EEES9_SI_JZNS1_25segmented_radix_sort_implINS0_14default_configELb0EPKfPfPKlPlN2at6native12_GLOBAL__N_18offset_tEEE10hipError_tPvRmT1_PNSt15iterator_traitsIS12_E10value_typeET2_T3_PNS13_IS18_E10value_typeET4_jRbjT5_S1E_jjP12ihipStream_tbEUljE_ZNSN_ISO_Lb0ESQ_SR_ST_SU_SY_EESZ_S10_S11_S12_S16_S17_S18_S1B_S1C_jS1D_jS1E_S1E_jjS1G_bEUljE0_EEESZ_S10_S11_S18_S1C_S1E_T6_T7_T9_mT8_S1G_bDpT10_ENKUlT_T0_E_clISt17integral_constantIbLb0EES1T_IbLb1EEEEDaS1P_S1Q_EUlS1P_E_NS1_11comp_targetILNS1_3genE10ELNS1_11target_archE1200ELNS1_3gpuE4ELNS1_3repE0EEENS1_30default_config_static_selectorELNS0_4arch9wavefront6targetE0EEEvS12_.has_dyn_sized_stack, 0
	.set _ZN7rocprim17ROCPRIM_400000_NS6detail17trampoline_kernelINS0_13select_configILj256ELj13ELNS0_17block_load_methodE3ELS4_3ELS4_3ELNS0_20block_scan_algorithmE0ELj4294967295EEENS1_25partition_config_selectorILNS1_17partition_subalgoE4EjNS0_10empty_typeEbEEZZNS1_14partition_implILS8_4ELb0ES6_15HIP_vector_typeIjLj2EENS0_17counting_iteratorIjlEEPS9_SG_NS0_5tupleIJPjSI_NS0_16reverse_iteratorISI_EEEEENSH_IJSG_SG_SG_EEES9_SI_JZNS1_25segmented_radix_sort_implINS0_14default_configELb0EPKfPfPKlPlN2at6native12_GLOBAL__N_18offset_tEEE10hipError_tPvRmT1_PNSt15iterator_traitsIS12_E10value_typeET2_T3_PNS13_IS18_E10value_typeET4_jRbjT5_S1E_jjP12ihipStream_tbEUljE_ZNSN_ISO_Lb0ESQ_SR_ST_SU_SY_EESZ_S10_S11_S12_S16_S17_S18_S1B_S1C_jS1D_jS1E_S1E_jjS1G_bEUljE0_EEESZ_S10_S11_S18_S1C_S1E_T6_T7_T9_mT8_S1G_bDpT10_ENKUlT_T0_E_clISt17integral_constantIbLb0EES1T_IbLb1EEEEDaS1P_S1Q_EUlS1P_E_NS1_11comp_targetILNS1_3genE10ELNS1_11target_archE1200ELNS1_3gpuE4ELNS1_3repE0EEENS1_30default_config_static_selectorELNS0_4arch9wavefront6targetE0EEEvS12_.has_recursion, 0
	.set _ZN7rocprim17ROCPRIM_400000_NS6detail17trampoline_kernelINS0_13select_configILj256ELj13ELNS0_17block_load_methodE3ELS4_3ELS4_3ELNS0_20block_scan_algorithmE0ELj4294967295EEENS1_25partition_config_selectorILNS1_17partition_subalgoE4EjNS0_10empty_typeEbEEZZNS1_14partition_implILS8_4ELb0ES6_15HIP_vector_typeIjLj2EENS0_17counting_iteratorIjlEEPS9_SG_NS0_5tupleIJPjSI_NS0_16reverse_iteratorISI_EEEEENSH_IJSG_SG_SG_EEES9_SI_JZNS1_25segmented_radix_sort_implINS0_14default_configELb0EPKfPfPKlPlN2at6native12_GLOBAL__N_18offset_tEEE10hipError_tPvRmT1_PNSt15iterator_traitsIS12_E10value_typeET2_T3_PNS13_IS18_E10value_typeET4_jRbjT5_S1E_jjP12ihipStream_tbEUljE_ZNSN_ISO_Lb0ESQ_SR_ST_SU_SY_EESZ_S10_S11_S12_S16_S17_S18_S1B_S1C_jS1D_jS1E_S1E_jjS1G_bEUljE0_EEESZ_S10_S11_S18_S1C_S1E_T6_T7_T9_mT8_S1G_bDpT10_ENKUlT_T0_E_clISt17integral_constantIbLb0EES1T_IbLb1EEEEDaS1P_S1Q_EUlS1P_E_NS1_11comp_targetILNS1_3genE10ELNS1_11target_archE1200ELNS1_3gpuE4ELNS1_3repE0EEENS1_30default_config_static_selectorELNS0_4arch9wavefront6targetE0EEEvS12_.has_indirect_call, 0
	.section	.AMDGPU.csdata,"",@progbits
; Kernel info:
; codeLenInByte = 0
; TotalNumSgprs: 0
; NumVgprs: 0
; ScratchSize: 0
; MemoryBound: 0
; FloatMode: 240
; IeeeMode: 1
; LDSByteSize: 0 bytes/workgroup (compile time only)
; SGPRBlocks: 0
; VGPRBlocks: 0
; NumSGPRsForWavesPerEU: 1
; NumVGPRsForWavesPerEU: 1
; Occupancy: 16
; WaveLimiterHint : 0
; COMPUTE_PGM_RSRC2:SCRATCH_EN: 0
; COMPUTE_PGM_RSRC2:USER_SGPR: 6
; COMPUTE_PGM_RSRC2:TRAP_HANDLER: 0
; COMPUTE_PGM_RSRC2:TGID_X_EN: 1
; COMPUTE_PGM_RSRC2:TGID_Y_EN: 0
; COMPUTE_PGM_RSRC2:TGID_Z_EN: 0
; COMPUTE_PGM_RSRC2:TIDIG_COMP_CNT: 0
	.section	.text._ZN7rocprim17ROCPRIM_400000_NS6detail17trampoline_kernelINS0_13select_configILj256ELj13ELNS0_17block_load_methodE3ELS4_3ELS4_3ELNS0_20block_scan_algorithmE0ELj4294967295EEENS1_25partition_config_selectorILNS1_17partition_subalgoE4EjNS0_10empty_typeEbEEZZNS1_14partition_implILS8_4ELb0ES6_15HIP_vector_typeIjLj2EENS0_17counting_iteratorIjlEEPS9_SG_NS0_5tupleIJPjSI_NS0_16reverse_iteratorISI_EEEEENSH_IJSG_SG_SG_EEES9_SI_JZNS1_25segmented_radix_sort_implINS0_14default_configELb0EPKfPfPKlPlN2at6native12_GLOBAL__N_18offset_tEEE10hipError_tPvRmT1_PNSt15iterator_traitsIS12_E10value_typeET2_T3_PNS13_IS18_E10value_typeET4_jRbjT5_S1E_jjP12ihipStream_tbEUljE_ZNSN_ISO_Lb0ESQ_SR_ST_SU_SY_EESZ_S10_S11_S12_S16_S17_S18_S1B_S1C_jS1D_jS1E_S1E_jjS1G_bEUljE0_EEESZ_S10_S11_S18_S1C_S1E_T6_T7_T9_mT8_S1G_bDpT10_ENKUlT_T0_E_clISt17integral_constantIbLb0EES1T_IbLb1EEEEDaS1P_S1Q_EUlS1P_E_NS1_11comp_targetILNS1_3genE9ELNS1_11target_archE1100ELNS1_3gpuE3ELNS1_3repE0EEENS1_30default_config_static_selectorELNS0_4arch9wavefront6targetE0EEEvS12_,"axG",@progbits,_ZN7rocprim17ROCPRIM_400000_NS6detail17trampoline_kernelINS0_13select_configILj256ELj13ELNS0_17block_load_methodE3ELS4_3ELS4_3ELNS0_20block_scan_algorithmE0ELj4294967295EEENS1_25partition_config_selectorILNS1_17partition_subalgoE4EjNS0_10empty_typeEbEEZZNS1_14partition_implILS8_4ELb0ES6_15HIP_vector_typeIjLj2EENS0_17counting_iteratorIjlEEPS9_SG_NS0_5tupleIJPjSI_NS0_16reverse_iteratorISI_EEEEENSH_IJSG_SG_SG_EEES9_SI_JZNS1_25segmented_radix_sort_implINS0_14default_configELb0EPKfPfPKlPlN2at6native12_GLOBAL__N_18offset_tEEE10hipError_tPvRmT1_PNSt15iterator_traitsIS12_E10value_typeET2_T3_PNS13_IS18_E10value_typeET4_jRbjT5_S1E_jjP12ihipStream_tbEUljE_ZNSN_ISO_Lb0ESQ_SR_ST_SU_SY_EESZ_S10_S11_S12_S16_S17_S18_S1B_S1C_jS1D_jS1E_S1E_jjS1G_bEUljE0_EEESZ_S10_S11_S18_S1C_S1E_T6_T7_T9_mT8_S1G_bDpT10_ENKUlT_T0_E_clISt17integral_constantIbLb0EES1T_IbLb1EEEEDaS1P_S1Q_EUlS1P_E_NS1_11comp_targetILNS1_3genE9ELNS1_11target_archE1100ELNS1_3gpuE3ELNS1_3repE0EEENS1_30default_config_static_selectorELNS0_4arch9wavefront6targetE0EEEvS12_,comdat
	.globl	_ZN7rocprim17ROCPRIM_400000_NS6detail17trampoline_kernelINS0_13select_configILj256ELj13ELNS0_17block_load_methodE3ELS4_3ELS4_3ELNS0_20block_scan_algorithmE0ELj4294967295EEENS1_25partition_config_selectorILNS1_17partition_subalgoE4EjNS0_10empty_typeEbEEZZNS1_14partition_implILS8_4ELb0ES6_15HIP_vector_typeIjLj2EENS0_17counting_iteratorIjlEEPS9_SG_NS0_5tupleIJPjSI_NS0_16reverse_iteratorISI_EEEEENSH_IJSG_SG_SG_EEES9_SI_JZNS1_25segmented_radix_sort_implINS0_14default_configELb0EPKfPfPKlPlN2at6native12_GLOBAL__N_18offset_tEEE10hipError_tPvRmT1_PNSt15iterator_traitsIS12_E10value_typeET2_T3_PNS13_IS18_E10value_typeET4_jRbjT5_S1E_jjP12ihipStream_tbEUljE_ZNSN_ISO_Lb0ESQ_SR_ST_SU_SY_EESZ_S10_S11_S12_S16_S17_S18_S1B_S1C_jS1D_jS1E_S1E_jjS1G_bEUljE0_EEESZ_S10_S11_S18_S1C_S1E_T6_T7_T9_mT8_S1G_bDpT10_ENKUlT_T0_E_clISt17integral_constantIbLb0EES1T_IbLb1EEEEDaS1P_S1Q_EUlS1P_E_NS1_11comp_targetILNS1_3genE9ELNS1_11target_archE1100ELNS1_3gpuE3ELNS1_3repE0EEENS1_30default_config_static_selectorELNS0_4arch9wavefront6targetE0EEEvS12_ ; -- Begin function _ZN7rocprim17ROCPRIM_400000_NS6detail17trampoline_kernelINS0_13select_configILj256ELj13ELNS0_17block_load_methodE3ELS4_3ELS4_3ELNS0_20block_scan_algorithmE0ELj4294967295EEENS1_25partition_config_selectorILNS1_17partition_subalgoE4EjNS0_10empty_typeEbEEZZNS1_14partition_implILS8_4ELb0ES6_15HIP_vector_typeIjLj2EENS0_17counting_iteratorIjlEEPS9_SG_NS0_5tupleIJPjSI_NS0_16reverse_iteratorISI_EEEEENSH_IJSG_SG_SG_EEES9_SI_JZNS1_25segmented_radix_sort_implINS0_14default_configELb0EPKfPfPKlPlN2at6native12_GLOBAL__N_18offset_tEEE10hipError_tPvRmT1_PNSt15iterator_traitsIS12_E10value_typeET2_T3_PNS13_IS18_E10value_typeET4_jRbjT5_S1E_jjP12ihipStream_tbEUljE_ZNSN_ISO_Lb0ESQ_SR_ST_SU_SY_EESZ_S10_S11_S12_S16_S17_S18_S1B_S1C_jS1D_jS1E_S1E_jjS1G_bEUljE0_EEESZ_S10_S11_S18_S1C_S1E_T6_T7_T9_mT8_S1G_bDpT10_ENKUlT_T0_E_clISt17integral_constantIbLb0EES1T_IbLb1EEEEDaS1P_S1Q_EUlS1P_E_NS1_11comp_targetILNS1_3genE9ELNS1_11target_archE1100ELNS1_3gpuE3ELNS1_3repE0EEENS1_30default_config_static_selectorELNS0_4arch9wavefront6targetE0EEEvS12_
	.p2align	8
	.type	_ZN7rocprim17ROCPRIM_400000_NS6detail17trampoline_kernelINS0_13select_configILj256ELj13ELNS0_17block_load_methodE3ELS4_3ELS4_3ELNS0_20block_scan_algorithmE0ELj4294967295EEENS1_25partition_config_selectorILNS1_17partition_subalgoE4EjNS0_10empty_typeEbEEZZNS1_14partition_implILS8_4ELb0ES6_15HIP_vector_typeIjLj2EENS0_17counting_iteratorIjlEEPS9_SG_NS0_5tupleIJPjSI_NS0_16reverse_iteratorISI_EEEEENSH_IJSG_SG_SG_EEES9_SI_JZNS1_25segmented_radix_sort_implINS0_14default_configELb0EPKfPfPKlPlN2at6native12_GLOBAL__N_18offset_tEEE10hipError_tPvRmT1_PNSt15iterator_traitsIS12_E10value_typeET2_T3_PNS13_IS18_E10value_typeET4_jRbjT5_S1E_jjP12ihipStream_tbEUljE_ZNSN_ISO_Lb0ESQ_SR_ST_SU_SY_EESZ_S10_S11_S12_S16_S17_S18_S1B_S1C_jS1D_jS1E_S1E_jjS1G_bEUljE0_EEESZ_S10_S11_S18_S1C_S1E_T6_T7_T9_mT8_S1G_bDpT10_ENKUlT_T0_E_clISt17integral_constantIbLb0EES1T_IbLb1EEEEDaS1P_S1Q_EUlS1P_E_NS1_11comp_targetILNS1_3genE9ELNS1_11target_archE1100ELNS1_3gpuE3ELNS1_3repE0EEENS1_30default_config_static_selectorELNS0_4arch9wavefront6targetE0EEEvS12_,@function
_ZN7rocprim17ROCPRIM_400000_NS6detail17trampoline_kernelINS0_13select_configILj256ELj13ELNS0_17block_load_methodE3ELS4_3ELS4_3ELNS0_20block_scan_algorithmE0ELj4294967295EEENS1_25partition_config_selectorILNS1_17partition_subalgoE4EjNS0_10empty_typeEbEEZZNS1_14partition_implILS8_4ELb0ES6_15HIP_vector_typeIjLj2EENS0_17counting_iteratorIjlEEPS9_SG_NS0_5tupleIJPjSI_NS0_16reverse_iteratorISI_EEEEENSH_IJSG_SG_SG_EEES9_SI_JZNS1_25segmented_radix_sort_implINS0_14default_configELb0EPKfPfPKlPlN2at6native12_GLOBAL__N_18offset_tEEE10hipError_tPvRmT1_PNSt15iterator_traitsIS12_E10value_typeET2_T3_PNS13_IS18_E10value_typeET4_jRbjT5_S1E_jjP12ihipStream_tbEUljE_ZNSN_ISO_Lb0ESQ_SR_ST_SU_SY_EESZ_S10_S11_S12_S16_S17_S18_S1B_S1C_jS1D_jS1E_S1E_jjS1G_bEUljE0_EEESZ_S10_S11_S18_S1C_S1E_T6_T7_T9_mT8_S1G_bDpT10_ENKUlT_T0_E_clISt17integral_constantIbLb0EES1T_IbLb1EEEEDaS1P_S1Q_EUlS1P_E_NS1_11comp_targetILNS1_3genE9ELNS1_11target_archE1100ELNS1_3gpuE3ELNS1_3repE0EEENS1_30default_config_static_selectorELNS0_4arch9wavefront6targetE0EEEvS12_: ; @_ZN7rocprim17ROCPRIM_400000_NS6detail17trampoline_kernelINS0_13select_configILj256ELj13ELNS0_17block_load_methodE3ELS4_3ELS4_3ELNS0_20block_scan_algorithmE0ELj4294967295EEENS1_25partition_config_selectorILNS1_17partition_subalgoE4EjNS0_10empty_typeEbEEZZNS1_14partition_implILS8_4ELb0ES6_15HIP_vector_typeIjLj2EENS0_17counting_iteratorIjlEEPS9_SG_NS0_5tupleIJPjSI_NS0_16reverse_iteratorISI_EEEEENSH_IJSG_SG_SG_EEES9_SI_JZNS1_25segmented_radix_sort_implINS0_14default_configELb0EPKfPfPKlPlN2at6native12_GLOBAL__N_18offset_tEEE10hipError_tPvRmT1_PNSt15iterator_traitsIS12_E10value_typeET2_T3_PNS13_IS18_E10value_typeET4_jRbjT5_S1E_jjP12ihipStream_tbEUljE_ZNSN_ISO_Lb0ESQ_SR_ST_SU_SY_EESZ_S10_S11_S12_S16_S17_S18_S1B_S1C_jS1D_jS1E_S1E_jjS1G_bEUljE0_EEESZ_S10_S11_S18_S1C_S1E_T6_T7_T9_mT8_S1G_bDpT10_ENKUlT_T0_E_clISt17integral_constantIbLb0EES1T_IbLb1EEEEDaS1P_S1Q_EUlS1P_E_NS1_11comp_targetILNS1_3genE9ELNS1_11target_archE1100ELNS1_3gpuE3ELNS1_3repE0EEENS1_30default_config_static_selectorELNS0_4arch9wavefront6targetE0EEEvS12_
; %bb.0:
	.section	.rodata,"a",@progbits
	.p2align	6, 0x0
	.amdhsa_kernel _ZN7rocprim17ROCPRIM_400000_NS6detail17trampoline_kernelINS0_13select_configILj256ELj13ELNS0_17block_load_methodE3ELS4_3ELS4_3ELNS0_20block_scan_algorithmE0ELj4294967295EEENS1_25partition_config_selectorILNS1_17partition_subalgoE4EjNS0_10empty_typeEbEEZZNS1_14partition_implILS8_4ELb0ES6_15HIP_vector_typeIjLj2EENS0_17counting_iteratorIjlEEPS9_SG_NS0_5tupleIJPjSI_NS0_16reverse_iteratorISI_EEEEENSH_IJSG_SG_SG_EEES9_SI_JZNS1_25segmented_radix_sort_implINS0_14default_configELb0EPKfPfPKlPlN2at6native12_GLOBAL__N_18offset_tEEE10hipError_tPvRmT1_PNSt15iterator_traitsIS12_E10value_typeET2_T3_PNS13_IS18_E10value_typeET4_jRbjT5_S1E_jjP12ihipStream_tbEUljE_ZNSN_ISO_Lb0ESQ_SR_ST_SU_SY_EESZ_S10_S11_S12_S16_S17_S18_S1B_S1C_jS1D_jS1E_S1E_jjS1G_bEUljE0_EEESZ_S10_S11_S18_S1C_S1E_T6_T7_T9_mT8_S1G_bDpT10_ENKUlT_T0_E_clISt17integral_constantIbLb0EES1T_IbLb1EEEEDaS1P_S1Q_EUlS1P_E_NS1_11comp_targetILNS1_3genE9ELNS1_11target_archE1100ELNS1_3gpuE3ELNS1_3repE0EEENS1_30default_config_static_selectorELNS0_4arch9wavefront6targetE0EEEvS12_
		.amdhsa_group_segment_fixed_size 0
		.amdhsa_private_segment_fixed_size 0
		.amdhsa_kernarg_size 184
		.amdhsa_user_sgpr_count 6
		.amdhsa_user_sgpr_private_segment_buffer 1
		.amdhsa_user_sgpr_dispatch_ptr 0
		.amdhsa_user_sgpr_queue_ptr 0
		.amdhsa_user_sgpr_kernarg_segment_ptr 1
		.amdhsa_user_sgpr_dispatch_id 0
		.amdhsa_user_sgpr_flat_scratch_init 0
		.amdhsa_user_sgpr_private_segment_size 0
		.amdhsa_wavefront_size32 1
		.amdhsa_uses_dynamic_stack 0
		.amdhsa_system_sgpr_private_segment_wavefront_offset 0
		.amdhsa_system_sgpr_workgroup_id_x 1
		.amdhsa_system_sgpr_workgroup_id_y 0
		.amdhsa_system_sgpr_workgroup_id_z 0
		.amdhsa_system_sgpr_workgroup_info 0
		.amdhsa_system_vgpr_workitem_id 0
		.amdhsa_next_free_vgpr 1
		.amdhsa_next_free_sgpr 1
		.amdhsa_reserve_vcc 0
		.amdhsa_reserve_flat_scratch 0
		.amdhsa_float_round_mode_32 0
		.amdhsa_float_round_mode_16_64 0
		.amdhsa_float_denorm_mode_32 3
		.amdhsa_float_denorm_mode_16_64 3
		.amdhsa_dx10_clamp 1
		.amdhsa_ieee_mode 1
		.amdhsa_fp16_overflow 0
		.amdhsa_workgroup_processor_mode 1
		.amdhsa_memory_ordered 1
		.amdhsa_forward_progress 1
		.amdhsa_shared_vgpr_count 0
		.amdhsa_exception_fp_ieee_invalid_op 0
		.amdhsa_exception_fp_denorm_src 0
		.amdhsa_exception_fp_ieee_div_zero 0
		.amdhsa_exception_fp_ieee_overflow 0
		.amdhsa_exception_fp_ieee_underflow 0
		.amdhsa_exception_fp_ieee_inexact 0
		.amdhsa_exception_int_div_zero 0
	.end_amdhsa_kernel
	.section	.text._ZN7rocprim17ROCPRIM_400000_NS6detail17trampoline_kernelINS0_13select_configILj256ELj13ELNS0_17block_load_methodE3ELS4_3ELS4_3ELNS0_20block_scan_algorithmE0ELj4294967295EEENS1_25partition_config_selectorILNS1_17partition_subalgoE4EjNS0_10empty_typeEbEEZZNS1_14partition_implILS8_4ELb0ES6_15HIP_vector_typeIjLj2EENS0_17counting_iteratorIjlEEPS9_SG_NS0_5tupleIJPjSI_NS0_16reverse_iteratorISI_EEEEENSH_IJSG_SG_SG_EEES9_SI_JZNS1_25segmented_radix_sort_implINS0_14default_configELb0EPKfPfPKlPlN2at6native12_GLOBAL__N_18offset_tEEE10hipError_tPvRmT1_PNSt15iterator_traitsIS12_E10value_typeET2_T3_PNS13_IS18_E10value_typeET4_jRbjT5_S1E_jjP12ihipStream_tbEUljE_ZNSN_ISO_Lb0ESQ_SR_ST_SU_SY_EESZ_S10_S11_S12_S16_S17_S18_S1B_S1C_jS1D_jS1E_S1E_jjS1G_bEUljE0_EEESZ_S10_S11_S18_S1C_S1E_T6_T7_T9_mT8_S1G_bDpT10_ENKUlT_T0_E_clISt17integral_constantIbLb0EES1T_IbLb1EEEEDaS1P_S1Q_EUlS1P_E_NS1_11comp_targetILNS1_3genE9ELNS1_11target_archE1100ELNS1_3gpuE3ELNS1_3repE0EEENS1_30default_config_static_selectorELNS0_4arch9wavefront6targetE0EEEvS12_,"axG",@progbits,_ZN7rocprim17ROCPRIM_400000_NS6detail17trampoline_kernelINS0_13select_configILj256ELj13ELNS0_17block_load_methodE3ELS4_3ELS4_3ELNS0_20block_scan_algorithmE0ELj4294967295EEENS1_25partition_config_selectorILNS1_17partition_subalgoE4EjNS0_10empty_typeEbEEZZNS1_14partition_implILS8_4ELb0ES6_15HIP_vector_typeIjLj2EENS0_17counting_iteratorIjlEEPS9_SG_NS0_5tupleIJPjSI_NS0_16reverse_iteratorISI_EEEEENSH_IJSG_SG_SG_EEES9_SI_JZNS1_25segmented_radix_sort_implINS0_14default_configELb0EPKfPfPKlPlN2at6native12_GLOBAL__N_18offset_tEEE10hipError_tPvRmT1_PNSt15iterator_traitsIS12_E10value_typeET2_T3_PNS13_IS18_E10value_typeET4_jRbjT5_S1E_jjP12ihipStream_tbEUljE_ZNSN_ISO_Lb0ESQ_SR_ST_SU_SY_EESZ_S10_S11_S12_S16_S17_S18_S1B_S1C_jS1D_jS1E_S1E_jjS1G_bEUljE0_EEESZ_S10_S11_S18_S1C_S1E_T6_T7_T9_mT8_S1G_bDpT10_ENKUlT_T0_E_clISt17integral_constantIbLb0EES1T_IbLb1EEEEDaS1P_S1Q_EUlS1P_E_NS1_11comp_targetILNS1_3genE9ELNS1_11target_archE1100ELNS1_3gpuE3ELNS1_3repE0EEENS1_30default_config_static_selectorELNS0_4arch9wavefront6targetE0EEEvS12_,comdat
.Lfunc_end1386:
	.size	_ZN7rocprim17ROCPRIM_400000_NS6detail17trampoline_kernelINS0_13select_configILj256ELj13ELNS0_17block_load_methodE3ELS4_3ELS4_3ELNS0_20block_scan_algorithmE0ELj4294967295EEENS1_25partition_config_selectorILNS1_17partition_subalgoE4EjNS0_10empty_typeEbEEZZNS1_14partition_implILS8_4ELb0ES6_15HIP_vector_typeIjLj2EENS0_17counting_iteratorIjlEEPS9_SG_NS0_5tupleIJPjSI_NS0_16reverse_iteratorISI_EEEEENSH_IJSG_SG_SG_EEES9_SI_JZNS1_25segmented_radix_sort_implINS0_14default_configELb0EPKfPfPKlPlN2at6native12_GLOBAL__N_18offset_tEEE10hipError_tPvRmT1_PNSt15iterator_traitsIS12_E10value_typeET2_T3_PNS13_IS18_E10value_typeET4_jRbjT5_S1E_jjP12ihipStream_tbEUljE_ZNSN_ISO_Lb0ESQ_SR_ST_SU_SY_EESZ_S10_S11_S12_S16_S17_S18_S1B_S1C_jS1D_jS1E_S1E_jjS1G_bEUljE0_EEESZ_S10_S11_S18_S1C_S1E_T6_T7_T9_mT8_S1G_bDpT10_ENKUlT_T0_E_clISt17integral_constantIbLb0EES1T_IbLb1EEEEDaS1P_S1Q_EUlS1P_E_NS1_11comp_targetILNS1_3genE9ELNS1_11target_archE1100ELNS1_3gpuE3ELNS1_3repE0EEENS1_30default_config_static_selectorELNS0_4arch9wavefront6targetE0EEEvS12_, .Lfunc_end1386-_ZN7rocprim17ROCPRIM_400000_NS6detail17trampoline_kernelINS0_13select_configILj256ELj13ELNS0_17block_load_methodE3ELS4_3ELS4_3ELNS0_20block_scan_algorithmE0ELj4294967295EEENS1_25partition_config_selectorILNS1_17partition_subalgoE4EjNS0_10empty_typeEbEEZZNS1_14partition_implILS8_4ELb0ES6_15HIP_vector_typeIjLj2EENS0_17counting_iteratorIjlEEPS9_SG_NS0_5tupleIJPjSI_NS0_16reverse_iteratorISI_EEEEENSH_IJSG_SG_SG_EEES9_SI_JZNS1_25segmented_radix_sort_implINS0_14default_configELb0EPKfPfPKlPlN2at6native12_GLOBAL__N_18offset_tEEE10hipError_tPvRmT1_PNSt15iterator_traitsIS12_E10value_typeET2_T3_PNS13_IS18_E10value_typeET4_jRbjT5_S1E_jjP12ihipStream_tbEUljE_ZNSN_ISO_Lb0ESQ_SR_ST_SU_SY_EESZ_S10_S11_S12_S16_S17_S18_S1B_S1C_jS1D_jS1E_S1E_jjS1G_bEUljE0_EEESZ_S10_S11_S18_S1C_S1E_T6_T7_T9_mT8_S1G_bDpT10_ENKUlT_T0_E_clISt17integral_constantIbLb0EES1T_IbLb1EEEEDaS1P_S1Q_EUlS1P_E_NS1_11comp_targetILNS1_3genE9ELNS1_11target_archE1100ELNS1_3gpuE3ELNS1_3repE0EEENS1_30default_config_static_selectorELNS0_4arch9wavefront6targetE0EEEvS12_
                                        ; -- End function
	.set _ZN7rocprim17ROCPRIM_400000_NS6detail17trampoline_kernelINS0_13select_configILj256ELj13ELNS0_17block_load_methodE3ELS4_3ELS4_3ELNS0_20block_scan_algorithmE0ELj4294967295EEENS1_25partition_config_selectorILNS1_17partition_subalgoE4EjNS0_10empty_typeEbEEZZNS1_14partition_implILS8_4ELb0ES6_15HIP_vector_typeIjLj2EENS0_17counting_iteratorIjlEEPS9_SG_NS0_5tupleIJPjSI_NS0_16reverse_iteratorISI_EEEEENSH_IJSG_SG_SG_EEES9_SI_JZNS1_25segmented_radix_sort_implINS0_14default_configELb0EPKfPfPKlPlN2at6native12_GLOBAL__N_18offset_tEEE10hipError_tPvRmT1_PNSt15iterator_traitsIS12_E10value_typeET2_T3_PNS13_IS18_E10value_typeET4_jRbjT5_S1E_jjP12ihipStream_tbEUljE_ZNSN_ISO_Lb0ESQ_SR_ST_SU_SY_EESZ_S10_S11_S12_S16_S17_S18_S1B_S1C_jS1D_jS1E_S1E_jjS1G_bEUljE0_EEESZ_S10_S11_S18_S1C_S1E_T6_T7_T9_mT8_S1G_bDpT10_ENKUlT_T0_E_clISt17integral_constantIbLb0EES1T_IbLb1EEEEDaS1P_S1Q_EUlS1P_E_NS1_11comp_targetILNS1_3genE9ELNS1_11target_archE1100ELNS1_3gpuE3ELNS1_3repE0EEENS1_30default_config_static_selectorELNS0_4arch9wavefront6targetE0EEEvS12_.num_vgpr, 0
	.set _ZN7rocprim17ROCPRIM_400000_NS6detail17trampoline_kernelINS0_13select_configILj256ELj13ELNS0_17block_load_methodE3ELS4_3ELS4_3ELNS0_20block_scan_algorithmE0ELj4294967295EEENS1_25partition_config_selectorILNS1_17partition_subalgoE4EjNS0_10empty_typeEbEEZZNS1_14partition_implILS8_4ELb0ES6_15HIP_vector_typeIjLj2EENS0_17counting_iteratorIjlEEPS9_SG_NS0_5tupleIJPjSI_NS0_16reverse_iteratorISI_EEEEENSH_IJSG_SG_SG_EEES9_SI_JZNS1_25segmented_radix_sort_implINS0_14default_configELb0EPKfPfPKlPlN2at6native12_GLOBAL__N_18offset_tEEE10hipError_tPvRmT1_PNSt15iterator_traitsIS12_E10value_typeET2_T3_PNS13_IS18_E10value_typeET4_jRbjT5_S1E_jjP12ihipStream_tbEUljE_ZNSN_ISO_Lb0ESQ_SR_ST_SU_SY_EESZ_S10_S11_S12_S16_S17_S18_S1B_S1C_jS1D_jS1E_S1E_jjS1G_bEUljE0_EEESZ_S10_S11_S18_S1C_S1E_T6_T7_T9_mT8_S1G_bDpT10_ENKUlT_T0_E_clISt17integral_constantIbLb0EES1T_IbLb1EEEEDaS1P_S1Q_EUlS1P_E_NS1_11comp_targetILNS1_3genE9ELNS1_11target_archE1100ELNS1_3gpuE3ELNS1_3repE0EEENS1_30default_config_static_selectorELNS0_4arch9wavefront6targetE0EEEvS12_.num_agpr, 0
	.set _ZN7rocprim17ROCPRIM_400000_NS6detail17trampoline_kernelINS0_13select_configILj256ELj13ELNS0_17block_load_methodE3ELS4_3ELS4_3ELNS0_20block_scan_algorithmE0ELj4294967295EEENS1_25partition_config_selectorILNS1_17partition_subalgoE4EjNS0_10empty_typeEbEEZZNS1_14partition_implILS8_4ELb0ES6_15HIP_vector_typeIjLj2EENS0_17counting_iteratorIjlEEPS9_SG_NS0_5tupleIJPjSI_NS0_16reverse_iteratorISI_EEEEENSH_IJSG_SG_SG_EEES9_SI_JZNS1_25segmented_radix_sort_implINS0_14default_configELb0EPKfPfPKlPlN2at6native12_GLOBAL__N_18offset_tEEE10hipError_tPvRmT1_PNSt15iterator_traitsIS12_E10value_typeET2_T3_PNS13_IS18_E10value_typeET4_jRbjT5_S1E_jjP12ihipStream_tbEUljE_ZNSN_ISO_Lb0ESQ_SR_ST_SU_SY_EESZ_S10_S11_S12_S16_S17_S18_S1B_S1C_jS1D_jS1E_S1E_jjS1G_bEUljE0_EEESZ_S10_S11_S18_S1C_S1E_T6_T7_T9_mT8_S1G_bDpT10_ENKUlT_T0_E_clISt17integral_constantIbLb0EES1T_IbLb1EEEEDaS1P_S1Q_EUlS1P_E_NS1_11comp_targetILNS1_3genE9ELNS1_11target_archE1100ELNS1_3gpuE3ELNS1_3repE0EEENS1_30default_config_static_selectorELNS0_4arch9wavefront6targetE0EEEvS12_.numbered_sgpr, 0
	.set _ZN7rocprim17ROCPRIM_400000_NS6detail17trampoline_kernelINS0_13select_configILj256ELj13ELNS0_17block_load_methodE3ELS4_3ELS4_3ELNS0_20block_scan_algorithmE0ELj4294967295EEENS1_25partition_config_selectorILNS1_17partition_subalgoE4EjNS0_10empty_typeEbEEZZNS1_14partition_implILS8_4ELb0ES6_15HIP_vector_typeIjLj2EENS0_17counting_iteratorIjlEEPS9_SG_NS0_5tupleIJPjSI_NS0_16reverse_iteratorISI_EEEEENSH_IJSG_SG_SG_EEES9_SI_JZNS1_25segmented_radix_sort_implINS0_14default_configELb0EPKfPfPKlPlN2at6native12_GLOBAL__N_18offset_tEEE10hipError_tPvRmT1_PNSt15iterator_traitsIS12_E10value_typeET2_T3_PNS13_IS18_E10value_typeET4_jRbjT5_S1E_jjP12ihipStream_tbEUljE_ZNSN_ISO_Lb0ESQ_SR_ST_SU_SY_EESZ_S10_S11_S12_S16_S17_S18_S1B_S1C_jS1D_jS1E_S1E_jjS1G_bEUljE0_EEESZ_S10_S11_S18_S1C_S1E_T6_T7_T9_mT8_S1G_bDpT10_ENKUlT_T0_E_clISt17integral_constantIbLb0EES1T_IbLb1EEEEDaS1P_S1Q_EUlS1P_E_NS1_11comp_targetILNS1_3genE9ELNS1_11target_archE1100ELNS1_3gpuE3ELNS1_3repE0EEENS1_30default_config_static_selectorELNS0_4arch9wavefront6targetE0EEEvS12_.num_named_barrier, 0
	.set _ZN7rocprim17ROCPRIM_400000_NS6detail17trampoline_kernelINS0_13select_configILj256ELj13ELNS0_17block_load_methodE3ELS4_3ELS4_3ELNS0_20block_scan_algorithmE0ELj4294967295EEENS1_25partition_config_selectorILNS1_17partition_subalgoE4EjNS0_10empty_typeEbEEZZNS1_14partition_implILS8_4ELb0ES6_15HIP_vector_typeIjLj2EENS0_17counting_iteratorIjlEEPS9_SG_NS0_5tupleIJPjSI_NS0_16reverse_iteratorISI_EEEEENSH_IJSG_SG_SG_EEES9_SI_JZNS1_25segmented_radix_sort_implINS0_14default_configELb0EPKfPfPKlPlN2at6native12_GLOBAL__N_18offset_tEEE10hipError_tPvRmT1_PNSt15iterator_traitsIS12_E10value_typeET2_T3_PNS13_IS18_E10value_typeET4_jRbjT5_S1E_jjP12ihipStream_tbEUljE_ZNSN_ISO_Lb0ESQ_SR_ST_SU_SY_EESZ_S10_S11_S12_S16_S17_S18_S1B_S1C_jS1D_jS1E_S1E_jjS1G_bEUljE0_EEESZ_S10_S11_S18_S1C_S1E_T6_T7_T9_mT8_S1G_bDpT10_ENKUlT_T0_E_clISt17integral_constantIbLb0EES1T_IbLb1EEEEDaS1P_S1Q_EUlS1P_E_NS1_11comp_targetILNS1_3genE9ELNS1_11target_archE1100ELNS1_3gpuE3ELNS1_3repE0EEENS1_30default_config_static_selectorELNS0_4arch9wavefront6targetE0EEEvS12_.private_seg_size, 0
	.set _ZN7rocprim17ROCPRIM_400000_NS6detail17trampoline_kernelINS0_13select_configILj256ELj13ELNS0_17block_load_methodE3ELS4_3ELS4_3ELNS0_20block_scan_algorithmE0ELj4294967295EEENS1_25partition_config_selectorILNS1_17partition_subalgoE4EjNS0_10empty_typeEbEEZZNS1_14partition_implILS8_4ELb0ES6_15HIP_vector_typeIjLj2EENS0_17counting_iteratorIjlEEPS9_SG_NS0_5tupleIJPjSI_NS0_16reverse_iteratorISI_EEEEENSH_IJSG_SG_SG_EEES9_SI_JZNS1_25segmented_radix_sort_implINS0_14default_configELb0EPKfPfPKlPlN2at6native12_GLOBAL__N_18offset_tEEE10hipError_tPvRmT1_PNSt15iterator_traitsIS12_E10value_typeET2_T3_PNS13_IS18_E10value_typeET4_jRbjT5_S1E_jjP12ihipStream_tbEUljE_ZNSN_ISO_Lb0ESQ_SR_ST_SU_SY_EESZ_S10_S11_S12_S16_S17_S18_S1B_S1C_jS1D_jS1E_S1E_jjS1G_bEUljE0_EEESZ_S10_S11_S18_S1C_S1E_T6_T7_T9_mT8_S1G_bDpT10_ENKUlT_T0_E_clISt17integral_constantIbLb0EES1T_IbLb1EEEEDaS1P_S1Q_EUlS1P_E_NS1_11comp_targetILNS1_3genE9ELNS1_11target_archE1100ELNS1_3gpuE3ELNS1_3repE0EEENS1_30default_config_static_selectorELNS0_4arch9wavefront6targetE0EEEvS12_.uses_vcc, 0
	.set _ZN7rocprim17ROCPRIM_400000_NS6detail17trampoline_kernelINS0_13select_configILj256ELj13ELNS0_17block_load_methodE3ELS4_3ELS4_3ELNS0_20block_scan_algorithmE0ELj4294967295EEENS1_25partition_config_selectorILNS1_17partition_subalgoE4EjNS0_10empty_typeEbEEZZNS1_14partition_implILS8_4ELb0ES6_15HIP_vector_typeIjLj2EENS0_17counting_iteratorIjlEEPS9_SG_NS0_5tupleIJPjSI_NS0_16reverse_iteratorISI_EEEEENSH_IJSG_SG_SG_EEES9_SI_JZNS1_25segmented_radix_sort_implINS0_14default_configELb0EPKfPfPKlPlN2at6native12_GLOBAL__N_18offset_tEEE10hipError_tPvRmT1_PNSt15iterator_traitsIS12_E10value_typeET2_T3_PNS13_IS18_E10value_typeET4_jRbjT5_S1E_jjP12ihipStream_tbEUljE_ZNSN_ISO_Lb0ESQ_SR_ST_SU_SY_EESZ_S10_S11_S12_S16_S17_S18_S1B_S1C_jS1D_jS1E_S1E_jjS1G_bEUljE0_EEESZ_S10_S11_S18_S1C_S1E_T6_T7_T9_mT8_S1G_bDpT10_ENKUlT_T0_E_clISt17integral_constantIbLb0EES1T_IbLb1EEEEDaS1P_S1Q_EUlS1P_E_NS1_11comp_targetILNS1_3genE9ELNS1_11target_archE1100ELNS1_3gpuE3ELNS1_3repE0EEENS1_30default_config_static_selectorELNS0_4arch9wavefront6targetE0EEEvS12_.uses_flat_scratch, 0
	.set _ZN7rocprim17ROCPRIM_400000_NS6detail17trampoline_kernelINS0_13select_configILj256ELj13ELNS0_17block_load_methodE3ELS4_3ELS4_3ELNS0_20block_scan_algorithmE0ELj4294967295EEENS1_25partition_config_selectorILNS1_17partition_subalgoE4EjNS0_10empty_typeEbEEZZNS1_14partition_implILS8_4ELb0ES6_15HIP_vector_typeIjLj2EENS0_17counting_iteratorIjlEEPS9_SG_NS0_5tupleIJPjSI_NS0_16reverse_iteratorISI_EEEEENSH_IJSG_SG_SG_EEES9_SI_JZNS1_25segmented_radix_sort_implINS0_14default_configELb0EPKfPfPKlPlN2at6native12_GLOBAL__N_18offset_tEEE10hipError_tPvRmT1_PNSt15iterator_traitsIS12_E10value_typeET2_T3_PNS13_IS18_E10value_typeET4_jRbjT5_S1E_jjP12ihipStream_tbEUljE_ZNSN_ISO_Lb0ESQ_SR_ST_SU_SY_EESZ_S10_S11_S12_S16_S17_S18_S1B_S1C_jS1D_jS1E_S1E_jjS1G_bEUljE0_EEESZ_S10_S11_S18_S1C_S1E_T6_T7_T9_mT8_S1G_bDpT10_ENKUlT_T0_E_clISt17integral_constantIbLb0EES1T_IbLb1EEEEDaS1P_S1Q_EUlS1P_E_NS1_11comp_targetILNS1_3genE9ELNS1_11target_archE1100ELNS1_3gpuE3ELNS1_3repE0EEENS1_30default_config_static_selectorELNS0_4arch9wavefront6targetE0EEEvS12_.has_dyn_sized_stack, 0
	.set _ZN7rocprim17ROCPRIM_400000_NS6detail17trampoline_kernelINS0_13select_configILj256ELj13ELNS0_17block_load_methodE3ELS4_3ELS4_3ELNS0_20block_scan_algorithmE0ELj4294967295EEENS1_25partition_config_selectorILNS1_17partition_subalgoE4EjNS0_10empty_typeEbEEZZNS1_14partition_implILS8_4ELb0ES6_15HIP_vector_typeIjLj2EENS0_17counting_iteratorIjlEEPS9_SG_NS0_5tupleIJPjSI_NS0_16reverse_iteratorISI_EEEEENSH_IJSG_SG_SG_EEES9_SI_JZNS1_25segmented_radix_sort_implINS0_14default_configELb0EPKfPfPKlPlN2at6native12_GLOBAL__N_18offset_tEEE10hipError_tPvRmT1_PNSt15iterator_traitsIS12_E10value_typeET2_T3_PNS13_IS18_E10value_typeET4_jRbjT5_S1E_jjP12ihipStream_tbEUljE_ZNSN_ISO_Lb0ESQ_SR_ST_SU_SY_EESZ_S10_S11_S12_S16_S17_S18_S1B_S1C_jS1D_jS1E_S1E_jjS1G_bEUljE0_EEESZ_S10_S11_S18_S1C_S1E_T6_T7_T9_mT8_S1G_bDpT10_ENKUlT_T0_E_clISt17integral_constantIbLb0EES1T_IbLb1EEEEDaS1P_S1Q_EUlS1P_E_NS1_11comp_targetILNS1_3genE9ELNS1_11target_archE1100ELNS1_3gpuE3ELNS1_3repE0EEENS1_30default_config_static_selectorELNS0_4arch9wavefront6targetE0EEEvS12_.has_recursion, 0
	.set _ZN7rocprim17ROCPRIM_400000_NS6detail17trampoline_kernelINS0_13select_configILj256ELj13ELNS0_17block_load_methodE3ELS4_3ELS4_3ELNS0_20block_scan_algorithmE0ELj4294967295EEENS1_25partition_config_selectorILNS1_17partition_subalgoE4EjNS0_10empty_typeEbEEZZNS1_14partition_implILS8_4ELb0ES6_15HIP_vector_typeIjLj2EENS0_17counting_iteratorIjlEEPS9_SG_NS0_5tupleIJPjSI_NS0_16reverse_iteratorISI_EEEEENSH_IJSG_SG_SG_EEES9_SI_JZNS1_25segmented_radix_sort_implINS0_14default_configELb0EPKfPfPKlPlN2at6native12_GLOBAL__N_18offset_tEEE10hipError_tPvRmT1_PNSt15iterator_traitsIS12_E10value_typeET2_T3_PNS13_IS18_E10value_typeET4_jRbjT5_S1E_jjP12ihipStream_tbEUljE_ZNSN_ISO_Lb0ESQ_SR_ST_SU_SY_EESZ_S10_S11_S12_S16_S17_S18_S1B_S1C_jS1D_jS1E_S1E_jjS1G_bEUljE0_EEESZ_S10_S11_S18_S1C_S1E_T6_T7_T9_mT8_S1G_bDpT10_ENKUlT_T0_E_clISt17integral_constantIbLb0EES1T_IbLb1EEEEDaS1P_S1Q_EUlS1P_E_NS1_11comp_targetILNS1_3genE9ELNS1_11target_archE1100ELNS1_3gpuE3ELNS1_3repE0EEENS1_30default_config_static_selectorELNS0_4arch9wavefront6targetE0EEEvS12_.has_indirect_call, 0
	.section	.AMDGPU.csdata,"",@progbits
; Kernel info:
; codeLenInByte = 0
; TotalNumSgprs: 0
; NumVgprs: 0
; ScratchSize: 0
; MemoryBound: 0
; FloatMode: 240
; IeeeMode: 1
; LDSByteSize: 0 bytes/workgroup (compile time only)
; SGPRBlocks: 0
; VGPRBlocks: 0
; NumSGPRsForWavesPerEU: 1
; NumVGPRsForWavesPerEU: 1
; Occupancy: 16
; WaveLimiterHint : 0
; COMPUTE_PGM_RSRC2:SCRATCH_EN: 0
; COMPUTE_PGM_RSRC2:USER_SGPR: 6
; COMPUTE_PGM_RSRC2:TRAP_HANDLER: 0
; COMPUTE_PGM_RSRC2:TGID_X_EN: 1
; COMPUTE_PGM_RSRC2:TGID_Y_EN: 0
; COMPUTE_PGM_RSRC2:TGID_Z_EN: 0
; COMPUTE_PGM_RSRC2:TIDIG_COMP_CNT: 0
	.section	.text._ZN7rocprim17ROCPRIM_400000_NS6detail17trampoline_kernelINS0_13select_configILj256ELj13ELNS0_17block_load_methodE3ELS4_3ELS4_3ELNS0_20block_scan_algorithmE0ELj4294967295EEENS1_25partition_config_selectorILNS1_17partition_subalgoE4EjNS0_10empty_typeEbEEZZNS1_14partition_implILS8_4ELb0ES6_15HIP_vector_typeIjLj2EENS0_17counting_iteratorIjlEEPS9_SG_NS0_5tupleIJPjSI_NS0_16reverse_iteratorISI_EEEEENSH_IJSG_SG_SG_EEES9_SI_JZNS1_25segmented_radix_sort_implINS0_14default_configELb0EPKfPfPKlPlN2at6native12_GLOBAL__N_18offset_tEEE10hipError_tPvRmT1_PNSt15iterator_traitsIS12_E10value_typeET2_T3_PNS13_IS18_E10value_typeET4_jRbjT5_S1E_jjP12ihipStream_tbEUljE_ZNSN_ISO_Lb0ESQ_SR_ST_SU_SY_EESZ_S10_S11_S12_S16_S17_S18_S1B_S1C_jS1D_jS1E_S1E_jjS1G_bEUljE0_EEESZ_S10_S11_S18_S1C_S1E_T6_T7_T9_mT8_S1G_bDpT10_ENKUlT_T0_E_clISt17integral_constantIbLb0EES1T_IbLb1EEEEDaS1P_S1Q_EUlS1P_E_NS1_11comp_targetILNS1_3genE8ELNS1_11target_archE1030ELNS1_3gpuE2ELNS1_3repE0EEENS1_30default_config_static_selectorELNS0_4arch9wavefront6targetE0EEEvS12_,"axG",@progbits,_ZN7rocprim17ROCPRIM_400000_NS6detail17trampoline_kernelINS0_13select_configILj256ELj13ELNS0_17block_load_methodE3ELS4_3ELS4_3ELNS0_20block_scan_algorithmE0ELj4294967295EEENS1_25partition_config_selectorILNS1_17partition_subalgoE4EjNS0_10empty_typeEbEEZZNS1_14partition_implILS8_4ELb0ES6_15HIP_vector_typeIjLj2EENS0_17counting_iteratorIjlEEPS9_SG_NS0_5tupleIJPjSI_NS0_16reverse_iteratorISI_EEEEENSH_IJSG_SG_SG_EEES9_SI_JZNS1_25segmented_radix_sort_implINS0_14default_configELb0EPKfPfPKlPlN2at6native12_GLOBAL__N_18offset_tEEE10hipError_tPvRmT1_PNSt15iterator_traitsIS12_E10value_typeET2_T3_PNS13_IS18_E10value_typeET4_jRbjT5_S1E_jjP12ihipStream_tbEUljE_ZNSN_ISO_Lb0ESQ_SR_ST_SU_SY_EESZ_S10_S11_S12_S16_S17_S18_S1B_S1C_jS1D_jS1E_S1E_jjS1G_bEUljE0_EEESZ_S10_S11_S18_S1C_S1E_T6_T7_T9_mT8_S1G_bDpT10_ENKUlT_T0_E_clISt17integral_constantIbLb0EES1T_IbLb1EEEEDaS1P_S1Q_EUlS1P_E_NS1_11comp_targetILNS1_3genE8ELNS1_11target_archE1030ELNS1_3gpuE2ELNS1_3repE0EEENS1_30default_config_static_selectorELNS0_4arch9wavefront6targetE0EEEvS12_,comdat
	.globl	_ZN7rocprim17ROCPRIM_400000_NS6detail17trampoline_kernelINS0_13select_configILj256ELj13ELNS0_17block_load_methodE3ELS4_3ELS4_3ELNS0_20block_scan_algorithmE0ELj4294967295EEENS1_25partition_config_selectorILNS1_17partition_subalgoE4EjNS0_10empty_typeEbEEZZNS1_14partition_implILS8_4ELb0ES6_15HIP_vector_typeIjLj2EENS0_17counting_iteratorIjlEEPS9_SG_NS0_5tupleIJPjSI_NS0_16reverse_iteratorISI_EEEEENSH_IJSG_SG_SG_EEES9_SI_JZNS1_25segmented_radix_sort_implINS0_14default_configELb0EPKfPfPKlPlN2at6native12_GLOBAL__N_18offset_tEEE10hipError_tPvRmT1_PNSt15iterator_traitsIS12_E10value_typeET2_T3_PNS13_IS18_E10value_typeET4_jRbjT5_S1E_jjP12ihipStream_tbEUljE_ZNSN_ISO_Lb0ESQ_SR_ST_SU_SY_EESZ_S10_S11_S12_S16_S17_S18_S1B_S1C_jS1D_jS1E_S1E_jjS1G_bEUljE0_EEESZ_S10_S11_S18_S1C_S1E_T6_T7_T9_mT8_S1G_bDpT10_ENKUlT_T0_E_clISt17integral_constantIbLb0EES1T_IbLb1EEEEDaS1P_S1Q_EUlS1P_E_NS1_11comp_targetILNS1_3genE8ELNS1_11target_archE1030ELNS1_3gpuE2ELNS1_3repE0EEENS1_30default_config_static_selectorELNS0_4arch9wavefront6targetE0EEEvS12_ ; -- Begin function _ZN7rocprim17ROCPRIM_400000_NS6detail17trampoline_kernelINS0_13select_configILj256ELj13ELNS0_17block_load_methodE3ELS4_3ELS4_3ELNS0_20block_scan_algorithmE0ELj4294967295EEENS1_25partition_config_selectorILNS1_17partition_subalgoE4EjNS0_10empty_typeEbEEZZNS1_14partition_implILS8_4ELb0ES6_15HIP_vector_typeIjLj2EENS0_17counting_iteratorIjlEEPS9_SG_NS0_5tupleIJPjSI_NS0_16reverse_iteratorISI_EEEEENSH_IJSG_SG_SG_EEES9_SI_JZNS1_25segmented_radix_sort_implINS0_14default_configELb0EPKfPfPKlPlN2at6native12_GLOBAL__N_18offset_tEEE10hipError_tPvRmT1_PNSt15iterator_traitsIS12_E10value_typeET2_T3_PNS13_IS18_E10value_typeET4_jRbjT5_S1E_jjP12ihipStream_tbEUljE_ZNSN_ISO_Lb0ESQ_SR_ST_SU_SY_EESZ_S10_S11_S12_S16_S17_S18_S1B_S1C_jS1D_jS1E_S1E_jjS1G_bEUljE0_EEESZ_S10_S11_S18_S1C_S1E_T6_T7_T9_mT8_S1G_bDpT10_ENKUlT_T0_E_clISt17integral_constantIbLb0EES1T_IbLb1EEEEDaS1P_S1Q_EUlS1P_E_NS1_11comp_targetILNS1_3genE8ELNS1_11target_archE1030ELNS1_3gpuE2ELNS1_3repE0EEENS1_30default_config_static_selectorELNS0_4arch9wavefront6targetE0EEEvS12_
	.p2align	8
	.type	_ZN7rocprim17ROCPRIM_400000_NS6detail17trampoline_kernelINS0_13select_configILj256ELj13ELNS0_17block_load_methodE3ELS4_3ELS4_3ELNS0_20block_scan_algorithmE0ELj4294967295EEENS1_25partition_config_selectorILNS1_17partition_subalgoE4EjNS0_10empty_typeEbEEZZNS1_14partition_implILS8_4ELb0ES6_15HIP_vector_typeIjLj2EENS0_17counting_iteratorIjlEEPS9_SG_NS0_5tupleIJPjSI_NS0_16reverse_iteratorISI_EEEEENSH_IJSG_SG_SG_EEES9_SI_JZNS1_25segmented_radix_sort_implINS0_14default_configELb0EPKfPfPKlPlN2at6native12_GLOBAL__N_18offset_tEEE10hipError_tPvRmT1_PNSt15iterator_traitsIS12_E10value_typeET2_T3_PNS13_IS18_E10value_typeET4_jRbjT5_S1E_jjP12ihipStream_tbEUljE_ZNSN_ISO_Lb0ESQ_SR_ST_SU_SY_EESZ_S10_S11_S12_S16_S17_S18_S1B_S1C_jS1D_jS1E_S1E_jjS1G_bEUljE0_EEESZ_S10_S11_S18_S1C_S1E_T6_T7_T9_mT8_S1G_bDpT10_ENKUlT_T0_E_clISt17integral_constantIbLb0EES1T_IbLb1EEEEDaS1P_S1Q_EUlS1P_E_NS1_11comp_targetILNS1_3genE8ELNS1_11target_archE1030ELNS1_3gpuE2ELNS1_3repE0EEENS1_30default_config_static_selectorELNS0_4arch9wavefront6targetE0EEEvS12_,@function
_ZN7rocprim17ROCPRIM_400000_NS6detail17trampoline_kernelINS0_13select_configILj256ELj13ELNS0_17block_load_methodE3ELS4_3ELS4_3ELNS0_20block_scan_algorithmE0ELj4294967295EEENS1_25partition_config_selectorILNS1_17partition_subalgoE4EjNS0_10empty_typeEbEEZZNS1_14partition_implILS8_4ELb0ES6_15HIP_vector_typeIjLj2EENS0_17counting_iteratorIjlEEPS9_SG_NS0_5tupleIJPjSI_NS0_16reverse_iteratorISI_EEEEENSH_IJSG_SG_SG_EEES9_SI_JZNS1_25segmented_radix_sort_implINS0_14default_configELb0EPKfPfPKlPlN2at6native12_GLOBAL__N_18offset_tEEE10hipError_tPvRmT1_PNSt15iterator_traitsIS12_E10value_typeET2_T3_PNS13_IS18_E10value_typeET4_jRbjT5_S1E_jjP12ihipStream_tbEUljE_ZNSN_ISO_Lb0ESQ_SR_ST_SU_SY_EESZ_S10_S11_S12_S16_S17_S18_S1B_S1C_jS1D_jS1E_S1E_jjS1G_bEUljE0_EEESZ_S10_S11_S18_S1C_S1E_T6_T7_T9_mT8_S1G_bDpT10_ENKUlT_T0_E_clISt17integral_constantIbLb0EES1T_IbLb1EEEEDaS1P_S1Q_EUlS1P_E_NS1_11comp_targetILNS1_3genE8ELNS1_11target_archE1030ELNS1_3gpuE2ELNS1_3repE0EEENS1_30default_config_static_selectorELNS0_4arch9wavefront6targetE0EEEvS12_: ; @_ZN7rocprim17ROCPRIM_400000_NS6detail17trampoline_kernelINS0_13select_configILj256ELj13ELNS0_17block_load_methodE3ELS4_3ELS4_3ELNS0_20block_scan_algorithmE0ELj4294967295EEENS1_25partition_config_selectorILNS1_17partition_subalgoE4EjNS0_10empty_typeEbEEZZNS1_14partition_implILS8_4ELb0ES6_15HIP_vector_typeIjLj2EENS0_17counting_iteratorIjlEEPS9_SG_NS0_5tupleIJPjSI_NS0_16reverse_iteratorISI_EEEEENSH_IJSG_SG_SG_EEES9_SI_JZNS1_25segmented_radix_sort_implINS0_14default_configELb0EPKfPfPKlPlN2at6native12_GLOBAL__N_18offset_tEEE10hipError_tPvRmT1_PNSt15iterator_traitsIS12_E10value_typeET2_T3_PNS13_IS18_E10value_typeET4_jRbjT5_S1E_jjP12ihipStream_tbEUljE_ZNSN_ISO_Lb0ESQ_SR_ST_SU_SY_EESZ_S10_S11_S12_S16_S17_S18_S1B_S1C_jS1D_jS1E_S1E_jjS1G_bEUljE0_EEESZ_S10_S11_S18_S1C_S1E_T6_T7_T9_mT8_S1G_bDpT10_ENKUlT_T0_E_clISt17integral_constantIbLb0EES1T_IbLb1EEEEDaS1P_S1Q_EUlS1P_E_NS1_11comp_targetILNS1_3genE8ELNS1_11target_archE1030ELNS1_3gpuE2ELNS1_3repE0EEENS1_30default_config_static_selectorELNS0_4arch9wavefront6targetE0EEEvS12_
; %bb.0:
	s_clause 0x7
	s_load_dwordx2 s[34:35], s[4:5], 0x10
	s_load_dwordx4 s[28:31], s[4:5], 0x28
	s_load_dwordx2 s[14:15], s[4:5], 0x38
	s_load_dwordx4 s[24:27], s[4:5], 0x58
	s_load_dwordx2 s[2:3], s[4:5], 0x68
	s_load_dwordx2 s[36:37], s[4:5], 0x78
	s_load_dwordx2 s[38:39], s[4:5], 0xb0
	s_load_dwordx8 s[16:23], s[4:5], 0x90
	v_cmp_eq_u32_e64 s0, 0, v0
	s_and_saveexec_b32 s1, s0
	s_cbranch_execz .LBB1387_4
; %bb.1:
	s_mov_b32 s7, exec_lo
	s_mov_b32 s6, exec_lo
	v_mbcnt_lo_u32_b32 v1, s7, 0
                                        ; implicit-def: $vgpr2
	v_cmpx_eq_u32_e32 0, v1
	s_cbranch_execz .LBB1387_3
; %bb.2:
	s_load_dwordx2 s[8:9], s[4:5], 0x88
	s_bcnt1_i32_b32 s7, s7
	v_mov_b32_e32 v2, 0
	v_mov_b32_e32 v3, s7
	s_waitcnt lgkmcnt(0)
	global_atomic_add v2, v2, v3, s[8:9] glc
.LBB1387_3:
	s_or_b32 exec_lo, exec_lo, s6
	s_waitcnt vmcnt(0)
	v_readfirstlane_b32 s6, v2
	v_mov_b32_e32 v2, 0
	v_add_nc_u32_e32 v1, s6, v1
	ds_write_b32 v2, v1
.LBB1387_4:
	s_or_b32 exec_lo, exec_lo, s1
	v_mov_b32_e32 v1, 0
	s_clause 0x1
	s_load_dword s6, s[4:5], 0x8
	s_load_dword s1, s[4:5], 0x80
	s_waitcnt lgkmcnt(0)
	s_barrier
	buffer_gl0_inv
	ds_read_b32 v5, v1
	s_waitcnt lgkmcnt(0)
	s_barrier
	buffer_gl0_inv
	global_load_dwordx4 v[1:4], v1, s[26:27]
	s_add_i32 s5, s6, s34
	s_mul_i32 s4, s1, 0xd00
	s_add_i32 s1, s1, -1
	s_add_u32 s6, s34, s4
	s_addc_u32 s7, s35, 0
	v_mul_lo_u32 v31, 0xd00, v5
	v_readfirstlane_b32 s27, v5
	v_cmp_gt_u64_e64 s3, s[2:3], s[6:7]
	v_cmp_ne_u32_e32 vcc_lo, s1, v5
	s_cmp_eq_u32 s27, s1
	s_cselect_b32 s26, -1, 0
	v_add3_u32 v5, v31, s5, v0
	s_or_b32 s1, s3, vcc_lo
	s_mov_b32 s3, -1
	s_and_b32 vcc_lo, exec_lo, s1
	v_add_nc_u32_e32 v6, 0x100, v5
	v_add_nc_u32_e32 v7, 0x200, v5
	;; [unrolled: 1-line block ×12, first 2 shown]
	s_cbranch_vccz .LBB1387_6
; %bb.5:
	v_lshlrev_b32_e32 v18, 2, v0
	s_mov_b32 s3, 0
	ds_write2st64_b32 v18, v5, v6 offset1:4
	ds_write2st64_b32 v18, v7, v8 offset0:8 offset1:12
	ds_write2st64_b32 v18, v9, v10 offset0:16 offset1:20
	;; [unrolled: 1-line block ×5, first 2 shown]
	ds_write_b32 v18, v17 offset:12288
	s_waitcnt vmcnt(0) lgkmcnt(0)
	s_barrier
.LBB1387_6:
	s_andn2_b32 vcc_lo, exec_lo, s3
	s_add_i32 s4, s4, s34
	s_cbranch_vccnz .LBB1387_8
; %bb.7:
	v_lshlrev_b32_e32 v18, 2, v0
	ds_write2st64_b32 v18, v5, v6 offset1:4
	ds_write2st64_b32 v18, v7, v8 offset0:8 offset1:12
	ds_write2st64_b32 v18, v9, v10 offset0:16 offset1:20
	;; [unrolled: 1-line block ×5, first 2 shown]
	ds_write_b32 v18, v17 offset:12288
	s_waitcnt vmcnt(0) lgkmcnt(0)
	s_barrier
.LBB1387_8:
	v_mul_u32_u24_e32 v34, 13, v0
	s_waitcnt vmcnt(0)
	buffer_gl0_inv
	v_cndmask_b32_e64 v32, 0, 1, s1
	s_sub_i32 s33, s2, s4
	s_andn2_b32 vcc_lo, exec_lo, s1
	v_lshlrev_b32_e32 v5, 2, v34
	ds_read_b32 v33, v5 offset:48
	ds_read2_b32 v[13:14], v5 offset0:10 offset1:11
	ds_read2_b32 v[15:16], v5 offset0:8 offset1:9
	;; [unrolled: 1-line block ×4, first 2 shown]
	ds_read2_b32 v[23:24], v5 offset1:1
	ds_read2_b32 v[21:22], v5 offset0:2 offset1:3
	s_waitcnt lgkmcnt(0)
	s_barrier
	buffer_gl0_inv
	s_cbranch_vccnz .LBB1387_36
; %bb.9:
	v_add_nc_u32_e32 v5, s17, v23
	v_add_nc_u32_e32 v6, s19, v23
	s_mov_b32 s41, 0
	s_mov_b32 s40, 0
	s_mov_b32 s2, exec_lo
	v_mul_lo_u32 v5, v5, s16
	v_mul_lo_u32 v6, v6, s18
	v_sub_nc_u32_e32 v5, v5, v6
	v_cmp_lt_u32_e32 vcc_lo, s20, v5
	v_cmpx_ge_u32_e64 s20, v5
	s_cbranch_execz .LBB1387_11
; %bb.10:
	v_add_nc_u32_e32 v5, s22, v23
	v_add_nc_u32_e32 v6, s38, v23
	v_mul_lo_u32 v5, v5, s21
	v_mul_lo_u32 v6, v6, s23
	v_sub_nc_u32_e32 v5, v5, v6
	v_cmp_lt_u32_e64 s1, s39, v5
	s_and_b32 s40, s1, exec_lo
.LBB1387_11:
	s_or_b32 exec_lo, exec_lo, s2
	v_add_nc_u32_e32 v5, s17, v24
	v_add_nc_u32_e32 v6, s19, v24
	s_mov_b32 s3, exec_lo
	v_mul_lo_u32 v5, v5, s16
	v_mul_lo_u32 v6, v6, s18
	v_sub_nc_u32_e32 v5, v5, v6
	v_cmp_lt_u32_e64 s1, s20, v5
	v_cmpx_ge_u32_e64 s20, v5
	s_cbranch_execz .LBB1387_13
; %bb.12:
	v_add_nc_u32_e32 v5, s22, v24
	v_add_nc_u32_e32 v6, s38, v24
	v_mul_lo_u32 v5, v5, s21
	v_mul_lo_u32 v6, v6, s23
	v_sub_nc_u32_e32 v5, v5, v6
	v_cmp_lt_u32_e64 s2, s39, v5
	s_and_b32 s41, s2, exec_lo
.LBB1387_13:
	s_or_b32 exec_lo, exec_lo, s3
	v_add_nc_u32_e32 v5, s17, v21
	v_add_nc_u32_e32 v6, s19, v21
	s_mov_b32 s43, 0
	s_mov_b32 s42, 0
	s_mov_b32 s4, exec_lo
	v_mul_lo_u32 v5, v5, s16
	v_mul_lo_u32 v6, v6, s18
	v_sub_nc_u32_e32 v5, v5, v6
	v_cmp_lt_u32_e64 s2, s20, v5
	v_cmpx_ge_u32_e64 s20, v5
	s_cbranch_execz .LBB1387_15
; %bb.14:
	v_add_nc_u32_e32 v5, s22, v21
	v_add_nc_u32_e32 v6, s38, v21
	v_mul_lo_u32 v5, v5, s21
	v_mul_lo_u32 v6, v6, s23
	v_sub_nc_u32_e32 v5, v5, v6
	v_cmp_lt_u32_e64 s3, s39, v5
	s_and_b32 s42, s3, exec_lo
.LBB1387_15:
	s_or_b32 exec_lo, exec_lo, s4
	v_add_nc_u32_e32 v5, s17, v22
	v_add_nc_u32_e32 v6, s19, v22
	s_mov_b32 s5, exec_lo
	v_mul_lo_u32 v5, v5, s16
	v_mul_lo_u32 v6, v6, s18
	v_sub_nc_u32_e32 v5, v5, v6
	v_cmp_lt_u32_e64 s3, s20, v5
	v_cmpx_ge_u32_e64 s20, v5
	s_cbranch_execz .LBB1387_17
; %bb.16:
	v_add_nc_u32_e32 v5, s22, v22
	v_add_nc_u32_e32 v6, s38, v22
	v_mul_lo_u32 v5, v5, s21
	v_mul_lo_u32 v6, v6, s23
	v_sub_nc_u32_e32 v5, v5, v6
	v_cmp_lt_u32_e64 s4, s39, v5
	s_and_b32 s43, s4, exec_lo
.LBB1387_17:
	s_or_b32 exec_lo, exec_lo, s5
	v_add_nc_u32_e32 v5, s17, v19
	v_add_nc_u32_e32 v6, s19, v19
	s_mov_b32 s45, 0
	s_mov_b32 s44, 0
	s_mov_b32 s6, exec_lo
	v_mul_lo_u32 v5, v5, s16
	v_mul_lo_u32 v6, v6, s18
	v_sub_nc_u32_e32 v5, v5, v6
	v_cmp_lt_u32_e64 s4, s20, v5
	;; [unrolled: 40-line block ×6, first 2 shown]
	v_cmpx_ge_u32_e64 s20, v5
	s_cbranch_execz .LBB1387_35
; %bb.34:
	v_add_nc_u32_e32 v5, s22, v33
	v_add_nc_u32_e32 v6, s38, v33
	v_mul_lo_u32 v5, v5, s21
	v_mul_lo_u32 v6, v6, s23
	v_sub_nc_u32_e32 v5, v5, v6
	v_cmp_lt_u32_e64 s13, s39, v5
	s_and_b32 s53, s13, exec_lo
.LBB1387_35:
	s_or_b32 exec_lo, exec_lo, s54
	v_cndmask_b32_e64 v6, 0, 1, s1
	v_cndmask_b32_e64 v8, 0, 1, s3
	v_cndmask_b32_e64 v5, 0, 1, vcc_lo
	v_cndmask_b32_e64 v7, 0, 1, s2
	v_cndmask_b32_e64 v10, 0, 1, s5
	v_lshlrev_b16 v6, 8, v6
	v_lshlrev_b16 v8, 8, v8
	v_cndmask_b32_e64 v12, 0, 1, s7
	v_cndmask_b32_e64 v26, 0, 1, s9
	;; [unrolled: 1-line block ×3, first 2 shown]
	v_or_b32_e32 v5, v5, v6
	v_or_b32_sdwa v6, v7, v8 dst_sel:WORD_1 dst_unused:UNUSED_PAD src0_sel:DWORD src1_sel:DWORD
	v_cndmask_b32_e64 v7, 0, 1, s40
	v_cndmask_b32_e64 v9, 0, 1, s4
	;; [unrolled: 1-line block ×11, first 2 shown]
	v_or_b32_sdwa v35, v5, v6 dst_sel:DWORD dst_unused:UNUSED_PAD src0_sel:WORD_0 src1_sel:DWORD
	v_lshlrev_b16 v5, 8, v10
	v_lshlrev_b16 v6, 8, v12
	;; [unrolled: 1-line block ×5, first 2 shown]
	v_cndmask_b32_e64 v30, 0, 1, s49
	v_cndmask_b32_e64 v37, 0, 1, s47
	;; [unrolled: 1-line block ×5, first 2 shown]
	v_or_b32_e32 v5, v9, v5
	v_or_b32_sdwa v6, v11, v6 dst_sel:WORD_1 dst_unused:UNUSED_PAD src0_sel:DWORD src1_sel:DWORD
	v_or_b32_e32 v9, v25, v10
	v_or_b32_sdwa v10, v27, v12 dst_sel:WORD_1 dst_unused:UNUSED_PAD src0_sel:DWORD src1_sel:DWORD
	v_or_b32_e32 v7, v8, v7
	v_lshlrev_b16 v8, 8, v44
	v_lshlrev_b16 v11, 8, v41
	;; [unrolled: 1-line block ×5, first 2 shown]
	v_or_b32_sdwa v8, v45, v8 dst_sel:WORD_1 dst_unused:UNUSED_PAD src0_sel:DWORD src1_sel:DWORD
	v_or_b32_e32 v11, v43, v11
	v_or_b32_sdwa v12, v40, v12 dst_sel:WORD_1 dst_unused:UNUSED_PAD src0_sel:DWORD src1_sel:DWORD
	v_or_b32_e32 v25, v37, v25
	v_or_b32_sdwa v26, v30, v26 dst_sel:WORD_1 dst_unused:UNUSED_PAD src0_sel:DWORD src1_sel:DWORD
	v_cndmask_b32_e64 v39, 0, 1, s51
	v_cndmask_b32_e64 v42, 0, 1, s53
	v_or_b32_sdwa v37, v5, v6 dst_sel:DWORD dst_unused:UNUSED_PAD src0_sel:WORD_0 src1_sel:DWORD
	v_or_b32_sdwa v40, v9, v10 dst_sel:DWORD dst_unused:UNUSED_PAD src0_sel:WORD_0 src1_sel:DWORD
	;; [unrolled: 1-line block ×5, first 2 shown]
	s_and_b32 vcc_lo, exec_lo, s50
	s_add_i32 s5, s33, 0xd00
	s_cbranch_vccnz .LBB1387_37
	s_branch .LBB1387_114
.LBB1387_36:
                                        ; implicit-def: $vgpr42
                                        ; implicit-def: $vgpr39
                                        ; implicit-def: $vgpr38
                                        ; implicit-def: $vgpr36
                                        ; implicit-def: $vgpr41
                                        ; implicit-def: $vgpr40
                                        ; implicit-def: $vgpr37
                                        ; implicit-def: $vgpr35
	s_add_i32 s5, s33, 0xd00
	s_cbranch_execz .LBB1387_114
.LBB1387_37:
	v_mov_b32_e32 v6, 0
	v_mov_b32_e32 v5, 0
	s_mov_b32 s2, exec_lo
	v_cmpx_gt_u32_e64 s5, v34
	s_cbranch_execz .LBB1387_41
; %bb.38:
	v_add_nc_u32_e32 v5, s17, v23
	v_add_nc_u32_e32 v6, s19, v23
	s_mov_b32 s4, 0
	s_mov_b32 s3, exec_lo
	v_mul_lo_u32 v5, v5, s16
	v_mul_lo_u32 v6, v6, s18
	v_sub_nc_u32_e32 v5, v5, v6
	v_cmp_lt_u32_e32 vcc_lo, s20, v5
	v_cmpx_ge_u32_e64 s20, v5
	s_cbranch_execz .LBB1387_40
; %bb.39:
	v_add_nc_u32_e32 v5, s22, v23
	v_add_nc_u32_e32 v6, s38, v23
	v_mul_lo_u32 v5, v5, s21
	v_mul_lo_u32 v6, v6, s23
	v_sub_nc_u32_e32 v5, v5, v6
	v_cmp_lt_u32_e64 s1, s39, v5
	s_and_b32 s4, s1, exec_lo
.LBB1387_40:
	s_or_b32 exec_lo, exec_lo, s3
	v_cndmask_b32_e64 v6, 0, 1, s4
	v_cndmask_b32_e64 v5, 0, 1, vcc_lo
.LBB1387_41:
	s_or_b32 exec_lo, exec_lo, s2
	v_add_nc_u32_e32 v7, 1, v34
	v_lshlrev_b16 v25, 8, v6
	v_and_b32_e32 v10, 0xff, v5
	v_lshlrev_b16 v11, 8, 0
                                        ; implicit-def: $vgpr9
                                        ; implicit-def: $vgpr12
                                        ; implicit-def: $vgpr6
                                        ; implicit-def: $vgpr8
	v_cmp_le_u32_e32 vcc_lo, s5, v7
                                        ; implicit-def: $vgpr7
	s_and_saveexec_b32 s1, vcc_lo
	s_xor_b32 s1, exec_lo, s1
	s_cbranch_execz .LBB1387_43
; %bb.42:
	v_mov_b32_e32 v5, 8
	v_mov_b32_e32 v6, 0xff
	;; [unrolled: 1-line block ×3, first 2 shown]
	v_and_b32_e32 v8, 0xffff, v11
	v_and_b32_e32 v7, 0xffff, v11
	v_lshrrev_b32_sdwa v5, v5, v25 dst_sel:BYTE_1 dst_unused:UNUSED_PAD src0_sel:DWORD src1_sel:WORD_0
	v_and_b32_sdwa v6, v25, v6 dst_sel:DWORD dst_unused:UNUSED_PAD src0_sel:WORD_0 src1_sel:DWORD
                                        ; implicit-def: $vgpr25
	v_or_b32_e32 v5, v6, v5
	v_and_b32_e32 v6, 0xffff, v11
                                        ; implicit-def: $vgpr11
	v_and_b32_e32 v12, 0xffff, v5
                                        ; implicit-def: $vgpr5
.LBB1387_43:
	s_andn2_saveexec_b32 s2, s1
	s_cbranch_execz .LBB1387_47
; %bb.44:
	v_add_nc_u32_e32 v6, s17, v24
	v_add_nc_u32_e32 v7, s19, v24
	s_mov_b32 s3, 0
	s_mov_b32 s4, exec_lo
	v_mul_lo_u32 v6, v6, s16
	v_mul_lo_u32 v7, v7, s18
	v_sub_nc_u32_e32 v6, v6, v7
	v_cmp_lt_u32_e32 vcc_lo, s20, v6
	v_cmpx_ge_u32_e64 s20, v6
	s_cbranch_execz .LBB1387_46
; %bb.45:
	v_add_nc_u32_e32 v6, s22, v24
	v_add_nc_u32_e32 v7, s38, v24
	v_mul_lo_u32 v6, v6, s21
	v_mul_lo_u32 v7, v7, s23
	v_sub_nc_u32_e32 v6, v6, v7
	v_cmp_lt_u32_e64 s1, s39, v6
	s_and_b32 s3, s1, exec_lo
.LBB1387_46:
	s_or_b32 exec_lo, exec_lo, s4
	v_mov_b32_e32 v6, 0xff
	v_mov_b32_e32 v7, 8
	v_cndmask_b32_e64 v8, 0, 1, vcc_lo
	v_mov_b32_e32 v9, 0
	v_and_b32_sdwa v6, v25, v6 dst_sel:DWORD dst_unused:UNUSED_PAD src0_sel:WORD_0 src1_sel:DWORD
	v_lshrrev_b32_sdwa v7, v7, v25 dst_sel:BYTE_1 dst_unused:UNUSED_PAD src0_sel:DWORD src1_sel:WORD_0
	v_lshlrev_b16 v8, 8, v8
	v_or_b32_e32 v6, v6, v7
	v_cndmask_b32_e64 v7, 0, 1, s3
	v_or_b32_sdwa v5, v5, v8 dst_sel:DWORD dst_unused:UNUSED_PAD src0_sel:BYTE_0 src1_sel:DWORD
	v_and_b32_e32 v8, 0xffff, v11
	v_and_b32_e32 v12, 0xffff, v6
	v_mov_b32_e32 v6, 0
	v_and_b32_e32 v10, 0xffff, v5
	v_lshl_or_b32 v12, v7, 16, v12
	v_and_b32_e32 v7, 0xffff, v11
.LBB1387_47:
	s_or_b32 exec_lo, exec_lo, s2
	v_add_nc_u32_e32 v5, 2, v34
                                        ; implicit-def: $vgpr11
	v_cmp_le_u32_e32 vcc_lo, s5, v5
                                        ; implicit-def: $vgpr5
	s_and_saveexec_b32 s1, vcc_lo
	s_xor_b32 s1, exec_lo, s1
	s_cbranch_execz .LBB1387_49
; %bb.48:
	v_lshrrev_b32_e32 v5, 24, v10
	v_mov_b32_e32 v11, 8
	v_and_b32_e32 v25, 0xff0000, v12
	v_perm_b32 v8, v8, v8, 0x3060504
	v_perm_b32 v5, v5, v10, 0x40c0100
	v_lshrrev_b32_sdwa v10, v11, v5 dst_sel:BYTE_1 dst_unused:UNUSED_PAD src0_sel:DWORD src1_sel:DWORD
	v_or_b32_sdwa v10, v5, v10 dst_sel:DWORD dst_unused:UNUSED_PAD src0_sel:BYTE_0 src1_sel:DWORD
	v_and_b32_e32 v10, 0xffff, v10
	v_and_or_b32 v11, 0xff000000, v5, v10
	v_perm_b32 v5, v12, v25, 0x3020504
                                        ; implicit-def: $vgpr10
                                        ; implicit-def: $vgpr12
.LBB1387_49:
	s_andn2_saveexec_b32 s2, s1
	s_cbranch_execz .LBB1387_53
; %bb.50:
	v_add_nc_u32_e32 v5, s17, v21
	v_add_nc_u32_e32 v11, s19, v21
	s_mov_b32 s3, 0
	s_mov_b32 s4, exec_lo
	v_mul_lo_u32 v5, v5, s16
	v_mul_lo_u32 v11, v11, s18
	v_sub_nc_u32_e32 v5, v5, v11
	v_cmp_lt_u32_e32 vcc_lo, s20, v5
	v_cmpx_ge_u32_e64 s20, v5
	s_cbranch_execz .LBB1387_52
; %bb.51:
	v_add_nc_u32_e32 v5, s22, v21
	v_add_nc_u32_e32 v11, s38, v21
	v_mul_lo_u32 v5, v5, s21
	v_mul_lo_u32 v11, v11, s23
	v_sub_nc_u32_e32 v5, v5, v11
	v_cmp_lt_u32_e64 s1, s39, v5
	s_and_b32 s3, s1, exec_lo
.LBB1387_52:
	s_or_b32 exec_lo, exec_lo, s4
	v_mov_b32_e32 v5, 8
	v_mov_b32_e32 v11, 24
	v_cndmask_b32_e64 v26, 0, 1, s3
	v_mov_b32_e32 v27, 0xff
	v_cndmask_b32_e64 v25, 0, 1, vcc_lo
	v_lshrrev_b32_sdwa v28, v5, v10 dst_sel:BYTE_1 dst_unused:UNUSED_PAD src0_sel:DWORD src1_sel:DWORD
	v_lshrrev_b32_sdwa v11, v11, v10 dst_sel:BYTE_1 dst_unused:UNUSED_PAD src0_sel:DWORD src1_sel:DWORD
	;; [unrolled: 1-line block ×3, first 2 shown]
	v_lshlrev_b16 v26, 8, v26
	v_and_b32_sdwa v27, v12, v27 dst_sel:DWORD dst_unused:UNUSED_PAD src0_sel:WORD_1 src1_sel:DWORD
	v_or_b32_sdwa v10, v10, v28 dst_sel:DWORD dst_unused:UNUSED_PAD src0_sel:BYTE_0 src1_sel:DWORD
	v_or_b32_sdwa v11, v25, v11 dst_sel:WORD_1 dst_unused:UNUSED_PAD src0_sel:DWORD src1_sel:DWORD
	v_or_b32_sdwa v5, v12, v5 dst_sel:DWORD dst_unused:UNUSED_PAD src0_sel:BYTE_0 src1_sel:DWORD
	v_or_b32_sdwa v12, v27, v26 dst_sel:WORD_1 dst_unused:UNUSED_PAD src0_sel:DWORD src1_sel:DWORD
	v_or_b32_sdwa v11, v10, v11 dst_sel:DWORD dst_unused:UNUSED_PAD src0_sel:WORD_0 src1_sel:DWORD
	v_or_b32_sdwa v5, v5, v12 dst_sel:DWORD dst_unused:UNUSED_PAD src0_sel:WORD_0 src1_sel:DWORD
.LBB1387_53:
	s_or_b32 exec_lo, exec_lo, s2
	v_add_nc_u32_e32 v10, 3, v34
                                        ; implicit-def: $vgpr35
	v_cmp_le_u32_e32 vcc_lo, s5, v10
                                        ; implicit-def: $vgpr10
	s_and_saveexec_b32 s1, vcc_lo
	s_xor_b32 s1, exec_lo, s1
	s_cbranch_execz .LBB1387_55
; %bb.54:
	v_mov_b32_e32 v10, 24
	v_mov_b32_e32 v12, 0xff
	;; [unrolled: 1-line block ×3, first 2 shown]
	v_and_b32_e32 v26, 0xff0000, v11
	v_perm_b32 v8, v8, v8, 0x3060504
	v_lshrrev_b32_sdwa v10, v10, v9 dst_sel:BYTE_1 dst_unused:UNUSED_PAD src0_sel:DWORD src1_sel:DWORD
	v_and_b32_sdwa v12, v9, v12 dst_sel:DWORD dst_unused:UNUSED_PAD src0_sel:WORD_1 src1_sel:DWORD
	v_lshrrev_b32_sdwa v9, v25, v9 dst_sel:BYTE_1 dst_unused:UNUSED_PAD src0_sel:DWORD src1_sel:DWORD
	v_perm_b32 v35, v11, v26, 0x3020504
	v_perm_b32 v7, v7, v7, 0x3060504
                                        ; implicit-def: $vgpr11
	v_or_b32_sdwa v10, v12, v10 dst_sel:WORD_1 dst_unused:UNUSED_PAD src0_sel:DWORD src1_sel:DWORD
	v_or_b32_sdwa v10, v9, v10 dst_sel:DWORD dst_unused:UNUSED_PAD src0_sel:WORD_0 src1_sel:DWORD
                                        ; implicit-def: $vgpr9
.LBB1387_55:
	s_andn2_saveexec_b32 s2, s1
	s_cbranch_execz .LBB1387_59
; %bb.56:
	v_add_nc_u32_e32 v10, s17, v22
	v_add_nc_u32_e32 v12, s19, v22
	s_mov_b32 s3, 0
	s_mov_b32 s4, exec_lo
	v_mul_lo_u32 v10, v10, s16
	v_mul_lo_u32 v12, v12, s18
	v_sub_nc_u32_e32 v10, v10, v12
	v_cmp_lt_u32_e32 vcc_lo, s20, v10
	v_cmpx_ge_u32_e64 s20, v10
	s_cbranch_execz .LBB1387_58
; %bb.57:
	v_add_nc_u32_e32 v10, s22, v22
	v_add_nc_u32_e32 v12, s38, v22
	v_mul_lo_u32 v10, v10, s21
	v_mul_lo_u32 v12, v12, s23
	v_sub_nc_u32_e32 v10, v10, v12
	v_cmp_lt_u32_e64 s1, s39, v10
	s_and_b32 s3, s1, exec_lo
.LBB1387_58:
	s_or_b32 exec_lo, exec_lo, s4
	v_mov_b32_e32 v10, 8
	v_cndmask_b32_e64 v12, 0, 1, vcc_lo
	v_mov_b32_e32 v25, 0xff
	v_mov_b32_e32 v26, 24
	v_cndmask_b32_e64 v27, 0, 1, s3
	v_lshrrev_b32_sdwa v28, v10, v11 dst_sel:BYTE_1 dst_unused:UNUSED_PAD src0_sel:DWORD src1_sel:DWORD
	v_lshlrev_b16 v12, 8, v12
	v_and_b32_sdwa v29, v11, v25 dst_sel:DWORD dst_unused:UNUSED_PAD src0_sel:WORD_1 src1_sel:DWORD
	v_lshrrev_b32_sdwa v26, v26, v9 dst_sel:BYTE_1 dst_unused:UNUSED_PAD src0_sel:DWORD src1_sel:DWORD
	v_and_b32_sdwa v25, v9, v25 dst_sel:DWORD dst_unused:UNUSED_PAD src0_sel:WORD_1 src1_sel:DWORD
	v_lshrrev_b32_sdwa v9, v10, v9 dst_sel:BYTE_1 dst_unused:UNUSED_PAD src0_sel:DWORD src1_sel:DWORD
	v_or_b32_sdwa v10, v11, v28 dst_sel:DWORD dst_unused:UNUSED_PAD src0_sel:BYTE_0 src1_sel:DWORD
	v_or_b32_sdwa v11, v29, v12 dst_sel:WORD_1 dst_unused:UNUSED_PAD src0_sel:DWORD src1_sel:DWORD
	v_or_b32_sdwa v12, v25, v26 dst_sel:WORD_1 dst_unused:UNUSED_PAD src0_sel:DWORD src1_sel:DWORD
	v_or_b32_e32 v9, v27, v9
	v_or_b32_sdwa v35, v10, v11 dst_sel:DWORD dst_unused:UNUSED_PAD src0_sel:WORD_0 src1_sel:DWORD
	v_or_b32_sdwa v10, v9, v12 dst_sel:DWORD dst_unused:UNUSED_PAD src0_sel:WORD_0 src1_sel:DWORD
.LBB1387_59:
	s_or_b32 exec_lo, exec_lo, s2
	v_add_nc_u32_e32 v9, 4, v34
                                        ; implicit-def: $vgpr11
	v_cmp_le_u32_e32 vcc_lo, s5, v9
                                        ; implicit-def: $vgpr9
	s_and_saveexec_b32 s1, vcc_lo
	s_xor_b32 s1, exec_lo, s1
	s_cbranch_execz .LBB1387_61
; %bb.60:
	v_mov_b32_e32 v9, 24
	v_mov_b32_e32 v11, 0xff
	;; [unrolled: 1-line block ×3, first 2 shown]
	v_perm_b32 v7, v7, v7, 0x3060504
	v_lshrrev_b32_sdwa v25, v9, v8 dst_sel:BYTE_1 dst_unused:UNUSED_PAD src0_sel:DWORD src1_sel:DWORD
	v_and_b32_sdwa v26, v8, v11 dst_sel:DWORD dst_unused:UNUSED_PAD src0_sel:WORD_1 src1_sel:DWORD
	v_lshrrev_b32_sdwa v9, v9, v10 dst_sel:BYTE_1 dst_unused:UNUSED_PAD src0_sel:DWORD src1_sel:DWORD
	v_and_b32_sdwa v11, v10, v11 dst_sel:DWORD dst_unused:UNUSED_PAD src0_sel:WORD_1 src1_sel:DWORD
	v_lshrrev_b32_sdwa v8, v12, v8 dst_sel:BYTE_1 dst_unused:UNUSED_PAD src0_sel:DWORD src1_sel:DWORD
	v_or_b32_sdwa v12, v26, v25 dst_sel:WORD_1 dst_unused:UNUSED_PAD src0_sel:DWORD src1_sel:DWORD
	v_or_b32_e32 v11, v11, v9
	v_or_b32_sdwa v9, v8, v12 dst_sel:DWORD dst_unused:UNUSED_PAD src0_sel:WORD_0 src1_sel:DWORD
                                        ; implicit-def: $vgpr8
	v_perm_b32 v11, v11, v10, 0x5040c00
                                        ; implicit-def: $vgpr10
.LBB1387_61:
	s_andn2_saveexec_b32 s2, s1
	s_cbranch_execz .LBB1387_65
; %bb.62:
	v_add_nc_u32_e32 v9, s17, v19
	v_add_nc_u32_e32 v11, s19, v19
	s_mov_b32 s3, 0
	s_mov_b32 s4, exec_lo
	v_mul_lo_u32 v9, v9, s16
	v_mul_lo_u32 v11, v11, s18
	v_sub_nc_u32_e32 v9, v9, v11
	v_cmp_lt_u32_e32 vcc_lo, s20, v9
	v_cmpx_ge_u32_e64 s20, v9
	s_cbranch_execz .LBB1387_64
; %bb.63:
	v_add_nc_u32_e32 v9, s22, v19
	v_add_nc_u32_e32 v11, s38, v19
	v_mul_lo_u32 v9, v9, s21
	v_mul_lo_u32 v11, v11, s23
	v_sub_nc_u32_e32 v9, v9, v11
	v_cmp_lt_u32_e64 s1, s39, v9
	s_and_b32 s3, s1, exec_lo
.LBB1387_64:
	s_or_b32 exec_lo, exec_lo, s4
	v_mov_b32_e32 v9, 24
	v_mov_b32_e32 v11, 0xff
	;; [unrolled: 1-line block ×3, first 2 shown]
	v_cndmask_b32_e64 v25, 0, 1, s3
	v_cndmask_b32_e64 v26, 0, 1, vcc_lo
	v_lshrrev_b32_sdwa v27, v9, v8 dst_sel:BYTE_1 dst_unused:UNUSED_PAD src0_sel:DWORD src1_sel:DWORD
	v_and_b32_sdwa v28, v8, v11 dst_sel:DWORD dst_unused:UNUSED_PAD src0_sel:WORD_1 src1_sel:DWORD
	v_lshrrev_b32_sdwa v8, v12, v8 dst_sel:BYTE_1 dst_unused:UNUSED_PAD src0_sel:DWORD src1_sel:DWORD
	v_lshlrev_b16 v12, 8, v25
	v_lshrrev_b32_sdwa v9, v9, v10 dst_sel:BYTE_1 dst_unused:UNUSED_PAD src0_sel:DWORD src1_sel:DWORD
	v_and_b32_sdwa v11, v10, v11 dst_sel:DWORD dst_unused:UNUSED_PAD src0_sel:WORD_1 src1_sel:DWORD
	v_or_b32_sdwa v25, v28, v27 dst_sel:WORD_1 dst_unused:UNUSED_PAD src0_sel:DWORD src1_sel:DWORD
	v_or_b32_e32 v8, v26, v8
	v_or_b32_sdwa v10, v10, v12 dst_sel:DWORD dst_unused:UNUSED_PAD src0_sel:BYTE_0 src1_sel:DWORD
	v_or_b32_sdwa v11, v11, v9 dst_sel:WORD_1 dst_unused:UNUSED_PAD src0_sel:DWORD src1_sel:DWORD
	v_or_b32_sdwa v9, v8, v25 dst_sel:DWORD dst_unused:UNUSED_PAD src0_sel:WORD_0 src1_sel:DWORD
	v_or_b32_sdwa v11, v10, v11 dst_sel:DWORD dst_unused:UNUSED_PAD src0_sel:WORD_0 src1_sel:DWORD
.LBB1387_65:
	s_or_b32 exec_lo, exec_lo, s2
	v_add_nc_u32_e32 v8, 5, v34
                                        ; implicit-def: $vgpr10
	v_cmp_le_u32_e32 vcc_lo, s5, v8
                                        ; implicit-def: $vgpr8
	s_and_saveexec_b32 s1, vcc_lo
	s_xor_b32 s1, exec_lo, s1
	s_cbranch_execz .LBB1387_67
; %bb.66:
	v_lshrrev_b32_e32 v8, 24, v11
	v_mov_b32_e32 v10, 8
	v_mov_b32_e32 v12, 0xff
	v_perm_b32 v7, v7, v7, 0x3060504
	v_perm_b32 v8, v8, v11, 0x40c0100
	v_mov_b32_e32 v11, 24
	v_and_b32_sdwa v12, v9, v12 dst_sel:DWORD dst_unused:UNUSED_PAD src0_sel:WORD_1 src1_sel:DWORD
	v_lshrrev_b32_sdwa v10, v10, v8 dst_sel:BYTE_1 dst_unused:UNUSED_PAD src0_sel:DWORD src1_sel:DWORD
	v_lshrrev_b32_sdwa v11, v11, v9 dst_sel:BYTE_1 dst_unused:UNUSED_PAD src0_sel:DWORD src1_sel:DWORD
	v_or_b32_sdwa v10, v8, v10 dst_sel:DWORD dst_unused:UNUSED_PAD src0_sel:BYTE_0 src1_sel:DWORD
	v_or_b32_e32 v11, v12, v11
	v_and_b32_e32 v12, 0xffff, v10
	v_perm_b32 v10, v11, v9, 0x5040c00
                                        ; implicit-def: $vgpr9
                                        ; implicit-def: $vgpr11
	v_and_or_b32 v8, 0xff000000, v8, v12
.LBB1387_67:
	s_andn2_saveexec_b32 s2, s1
	s_cbranch_execz .LBB1387_71
; %bb.68:
	v_add_nc_u32_e32 v8, s17, v20
	v_add_nc_u32_e32 v10, s19, v20
	s_mov_b32 s3, 0
	s_mov_b32 s4, exec_lo
	v_mul_lo_u32 v8, v8, s16
	v_mul_lo_u32 v10, v10, s18
	v_sub_nc_u32_e32 v8, v8, v10
	v_cmp_lt_u32_e32 vcc_lo, s20, v8
	v_cmpx_ge_u32_e64 s20, v8
	s_cbranch_execz .LBB1387_70
; %bb.69:
	v_add_nc_u32_e32 v8, s22, v20
	v_add_nc_u32_e32 v10, s38, v20
	v_mul_lo_u32 v8, v8, s21
	v_mul_lo_u32 v10, v10, s23
	v_sub_nc_u32_e32 v8, v8, v10
	v_cmp_lt_u32_e64 s1, s39, v8
	s_and_b32 s3, s1, exec_lo
.LBB1387_70:
	s_or_b32 exec_lo, exec_lo, s4
	v_cndmask_b32_e64 v8, 0, 1, vcc_lo
	v_mov_b32_e32 v10, 24
	v_mov_b32_e32 v12, 0xff
	;; [unrolled: 1-line block ×3, first 2 shown]
	v_cndmask_b32_e64 v26, 0, 1, s3
	v_lshlrev_b16 v8, 8, v8
	v_lshrrev_b32_sdwa v27, v10, v9 dst_sel:BYTE_1 dst_unused:UNUSED_PAD src0_sel:DWORD src1_sel:DWORD
	v_and_b32_sdwa v12, v9, v12 dst_sel:DWORD dst_unused:UNUSED_PAD src0_sel:WORD_1 src1_sel:DWORD
	v_lshrrev_b32_sdwa v25, v25, v11 dst_sel:BYTE_1 dst_unused:UNUSED_PAD src0_sel:DWORD src1_sel:DWORD
	v_lshrrev_b32_sdwa v10, v10, v11 dst_sel:BYTE_1 dst_unused:UNUSED_PAD src0_sel:DWORD src1_sel:DWORD
	v_or_b32_sdwa v8, v9, v8 dst_sel:DWORD dst_unused:UNUSED_PAD src0_sel:BYTE_0 src1_sel:DWORD
	v_or_b32_sdwa v9, v12, v27 dst_sel:WORD_1 dst_unused:UNUSED_PAD src0_sel:DWORD src1_sel:DWORD
	v_or_b32_sdwa v11, v11, v25 dst_sel:DWORD dst_unused:UNUSED_PAD src0_sel:BYTE_0 src1_sel:DWORD
	v_or_b32_sdwa v12, v26, v10 dst_sel:WORD_1 dst_unused:UNUSED_PAD src0_sel:DWORD src1_sel:DWORD
	v_or_b32_sdwa v10, v8, v9 dst_sel:DWORD dst_unused:UNUSED_PAD src0_sel:WORD_0 src1_sel:DWORD
	v_or_b32_sdwa v8, v11, v12 dst_sel:DWORD dst_unused:UNUSED_PAD src0_sel:WORD_0 src1_sel:DWORD
.LBB1387_71:
	s_or_b32 exec_lo, exec_lo, s2
	v_add_nc_u32_e32 v9, 6, v34
                                        ; implicit-def: $vgpr36
	v_cmp_le_u32_e32 vcc_lo, s5, v9
                                        ; implicit-def: $vgpr9
	s_and_saveexec_b32 s1, vcc_lo
	s_xor_b32 s1, exec_lo, s1
	s_cbranch_execz .LBB1387_73
; %bb.72:
	v_lshrrev_b32_e32 v9, 24, v10
	v_mov_b32_e32 v11, 8
	v_perm_b32 v7, v7, v7, 0x3060504
	v_perm_b32 v9, v9, v10, 0x40c0100
	v_lshrrev_b32_sdwa v10, v11, v9 dst_sel:BYTE_1 dst_unused:UNUSED_PAD src0_sel:DWORD src1_sel:DWORD
	v_and_b32_e32 v11, 0xff0000, v8
	v_or_b32_sdwa v10, v9, v10 dst_sel:DWORD dst_unused:UNUSED_PAD src0_sel:BYTE_0 src1_sel:DWORD
	v_perm_b32 v36, v8, v11, 0x3020504
                                        ; implicit-def: $vgpr8
	v_and_b32_e32 v10, 0xffff, v10
	v_and_or_b32 v9, 0xff000000, v9, v10
                                        ; implicit-def: $vgpr10
.LBB1387_73:
	s_andn2_saveexec_b32 s2, s1
	s_cbranch_execz .LBB1387_77
; %bb.74:
	v_add_nc_u32_e32 v9, s17, v17
	v_add_nc_u32_e32 v11, s19, v17
	s_mov_b32 s3, 0
	s_mov_b32 s4, exec_lo
	v_mul_lo_u32 v9, v9, s16
	v_mul_lo_u32 v11, v11, s18
	v_sub_nc_u32_e32 v9, v9, v11
	v_cmp_lt_u32_e32 vcc_lo, s20, v9
	v_cmpx_ge_u32_e64 s20, v9
	s_cbranch_execz .LBB1387_76
; %bb.75:
	v_add_nc_u32_e32 v9, s22, v17
	v_add_nc_u32_e32 v11, s38, v17
	v_mul_lo_u32 v9, v9, s21
	v_mul_lo_u32 v11, v11, s23
	v_sub_nc_u32_e32 v9, v9, v11
	v_cmp_lt_u32_e64 s1, s39, v9
	s_and_b32 s3, s1, exec_lo
.LBB1387_76:
	s_or_b32 exec_lo, exec_lo, s4
	v_mov_b32_e32 v9, 8
	v_mov_b32_e32 v11, 24
	v_cndmask_b32_e64 v25, 0, 1, s3
	v_mov_b32_e32 v26, 0xff
	v_cndmask_b32_e64 v12, 0, 1, vcc_lo
	v_lshrrev_b32_sdwa v27, v9, v10 dst_sel:BYTE_1 dst_unused:UNUSED_PAD src0_sel:DWORD src1_sel:DWORD
	v_lshrrev_b32_sdwa v11, v11, v10 dst_sel:BYTE_1 dst_unused:UNUSED_PAD src0_sel:DWORD src1_sel:DWORD
	;; [unrolled: 1-line block ×3, first 2 shown]
	v_lshlrev_b16 v25, 8, v25
	v_and_b32_sdwa v26, v8, v26 dst_sel:DWORD dst_unused:UNUSED_PAD src0_sel:WORD_1 src1_sel:DWORD
	v_or_b32_sdwa v10, v10, v27 dst_sel:DWORD dst_unused:UNUSED_PAD src0_sel:BYTE_0 src1_sel:DWORD
	v_or_b32_sdwa v11, v12, v11 dst_sel:WORD_1 dst_unused:UNUSED_PAD src0_sel:DWORD src1_sel:DWORD
	v_or_b32_sdwa v8, v8, v9 dst_sel:DWORD dst_unused:UNUSED_PAD src0_sel:BYTE_0 src1_sel:DWORD
	v_or_b32_sdwa v12, v26, v25 dst_sel:WORD_1 dst_unused:UNUSED_PAD src0_sel:DWORD src1_sel:DWORD
	v_or_b32_sdwa v9, v10, v11 dst_sel:DWORD dst_unused:UNUSED_PAD src0_sel:WORD_0 src1_sel:DWORD
	v_or_b32_sdwa v36, v8, v12 dst_sel:DWORD dst_unused:UNUSED_PAD src0_sel:WORD_0 src1_sel:DWORD
.LBB1387_77:
	s_or_b32 exec_lo, exec_lo, s2
	v_add_nc_u32_e32 v8, 7, v34
                                        ; implicit-def: $vgpr37
	v_cmp_le_u32_e32 vcc_lo, s5, v8
                                        ; implicit-def: $vgpr8
	s_and_saveexec_b32 s1, vcc_lo
	s_xor_b32 s1, exec_lo, s1
	s_cbranch_execz .LBB1387_79
; %bb.78:
	v_mov_b32_e32 v8, 24
	v_mov_b32_e32 v10, 0xff
	;; [unrolled: 1-line block ×3, first 2 shown]
	v_lshrrev_b32_sdwa v8, v8, v7 dst_sel:BYTE_1 dst_unused:UNUSED_PAD src0_sel:DWORD src1_sel:DWORD
	v_and_b32_sdwa v10, v7, v10 dst_sel:DWORD dst_unused:UNUSED_PAD src0_sel:WORD_1 src1_sel:DWORD
	v_lshrrev_b32_sdwa v7, v11, v7 dst_sel:BYTE_1 dst_unused:UNUSED_PAD src0_sel:DWORD src1_sel:DWORD
	v_and_b32_e32 v11, 0xff0000, v9
	v_or_b32_sdwa v8, v10, v8 dst_sel:WORD_1 dst_unused:UNUSED_PAD src0_sel:DWORD src1_sel:DWORD
	v_perm_b32 v37, v9, v11, 0x3020504
                                        ; implicit-def: $vgpr9
	v_or_b32_sdwa v8, v7, v8 dst_sel:DWORD dst_unused:UNUSED_PAD src0_sel:WORD_0 src1_sel:DWORD
                                        ; implicit-def: $vgpr7
.LBB1387_79:
	s_andn2_saveexec_b32 s2, s1
	s_cbranch_execz .LBB1387_83
; %bb.80:
	v_add_nc_u32_e32 v8, s17, v18
	v_add_nc_u32_e32 v10, s19, v18
	s_mov_b32 s3, 0
	s_mov_b32 s4, exec_lo
	v_mul_lo_u32 v8, v8, s16
	v_mul_lo_u32 v10, v10, s18
	v_sub_nc_u32_e32 v8, v8, v10
	v_cmp_lt_u32_e32 vcc_lo, s20, v8
	v_cmpx_ge_u32_e64 s20, v8
	s_cbranch_execz .LBB1387_82
; %bb.81:
	v_add_nc_u32_e32 v8, s22, v18
	v_add_nc_u32_e32 v10, s38, v18
	v_mul_lo_u32 v8, v8, s21
	v_mul_lo_u32 v10, v10, s23
	v_sub_nc_u32_e32 v8, v8, v10
	v_cmp_lt_u32_e64 s1, s39, v8
	s_and_b32 s3, s1, exec_lo
.LBB1387_82:
	s_or_b32 exec_lo, exec_lo, s4
	v_mov_b32_e32 v8, 8
	v_cndmask_b32_e64 v10, 0, 1, vcc_lo
	v_mov_b32_e32 v11, 0xff
	v_mov_b32_e32 v12, 24
	v_cndmask_b32_e64 v25, 0, 1, s3
	v_lshrrev_b32_sdwa v26, v8, v9 dst_sel:BYTE_1 dst_unused:UNUSED_PAD src0_sel:DWORD src1_sel:DWORD
	v_lshlrev_b16 v10, 8, v10
	v_and_b32_sdwa v27, v9, v11 dst_sel:DWORD dst_unused:UNUSED_PAD src0_sel:WORD_1 src1_sel:DWORD
	v_lshrrev_b32_sdwa v12, v12, v7 dst_sel:BYTE_1 dst_unused:UNUSED_PAD src0_sel:DWORD src1_sel:DWORD
	v_and_b32_sdwa v11, v7, v11 dst_sel:DWORD dst_unused:UNUSED_PAD src0_sel:WORD_1 src1_sel:DWORD
	v_lshrrev_b32_sdwa v7, v8, v7 dst_sel:BYTE_1 dst_unused:UNUSED_PAD src0_sel:DWORD src1_sel:DWORD
	v_or_b32_sdwa v8, v9, v26 dst_sel:DWORD dst_unused:UNUSED_PAD src0_sel:BYTE_0 src1_sel:DWORD
	v_or_b32_sdwa v9, v27, v10 dst_sel:WORD_1 dst_unused:UNUSED_PAD src0_sel:DWORD src1_sel:DWORD
	v_or_b32_sdwa v10, v11, v12 dst_sel:WORD_1 dst_unused:UNUSED_PAD src0_sel:DWORD src1_sel:DWORD
	v_or_b32_e32 v7, v25, v7
	v_or_b32_sdwa v37, v8, v9 dst_sel:DWORD dst_unused:UNUSED_PAD src0_sel:WORD_0 src1_sel:DWORD
	v_or_b32_sdwa v8, v7, v10 dst_sel:DWORD dst_unused:UNUSED_PAD src0_sel:WORD_0 src1_sel:DWORD
.LBB1387_83:
	s_or_b32 exec_lo, exec_lo, s2
	v_add_nc_u32_e32 v7, 8, v34
                                        ; implicit-def: $vgpr9
	v_cmp_le_u32_e32 vcc_lo, s5, v7
                                        ; implicit-def: $vgpr7
	s_and_saveexec_b32 s1, vcc_lo
	s_xor_b32 s1, exec_lo, s1
	s_cbranch_execz .LBB1387_85
; %bb.84:
	v_mov_b32_e32 v7, 24
	v_mov_b32_e32 v9, 0xff
	;; [unrolled: 1-line block ×3, first 2 shown]
	v_perm_b32 v5, v5, v5, 0x3060504
	v_lshrrev_b32_sdwa v11, v7, v8 dst_sel:BYTE_1 dst_unused:UNUSED_PAD src0_sel:DWORD src1_sel:DWORD
	v_lshrrev_b32_sdwa v7, v7, v6 dst_sel:BYTE_1 dst_unused:UNUSED_PAD src0_sel:DWORD src1_sel:DWORD
	v_and_b32_sdwa v12, v6, v9 dst_sel:DWORD dst_unused:UNUSED_PAD src0_sel:WORD_1 src1_sel:DWORD
	v_and_b32_sdwa v9, v8, v9 dst_sel:DWORD dst_unused:UNUSED_PAD src0_sel:WORD_1 src1_sel:DWORD
	v_lshrrev_b32_sdwa v6, v10, v6 dst_sel:BYTE_1 dst_unused:UNUSED_PAD src0_sel:DWORD src1_sel:DWORD
	v_or_b32_sdwa v7, v12, v7 dst_sel:WORD_1 dst_unused:UNUSED_PAD src0_sel:DWORD src1_sel:DWORD
	v_or_b32_e32 v9, v9, v11
	v_or_b32_sdwa v7, v6, v7 dst_sel:DWORD dst_unused:UNUSED_PAD src0_sel:WORD_0 src1_sel:DWORD
	v_perm_b32 v9, v9, v8, 0x5040c00
                                        ; implicit-def: $vgpr6
                                        ; implicit-def: $vgpr8
.LBB1387_85:
	s_andn2_saveexec_b32 s2, s1
	s_cbranch_execz .LBB1387_89
; %bb.86:
	v_add_nc_u32_e32 v7, s17, v15
	v_add_nc_u32_e32 v9, s19, v15
	s_mov_b32 s3, 0
	s_mov_b32 s4, exec_lo
	v_mul_lo_u32 v7, v7, s16
	v_mul_lo_u32 v9, v9, s18
	v_sub_nc_u32_e32 v7, v7, v9
	v_cmp_lt_u32_e32 vcc_lo, s20, v7
	v_cmpx_ge_u32_e64 s20, v7
	s_cbranch_execz .LBB1387_88
; %bb.87:
	v_add_nc_u32_e32 v7, s22, v15
	v_add_nc_u32_e32 v9, s38, v15
	v_mul_lo_u32 v7, v7, s21
	v_mul_lo_u32 v9, v9, s23
	v_sub_nc_u32_e32 v7, v7, v9
	v_cmp_lt_u32_e64 s1, s39, v7
	s_and_b32 s3, s1, exec_lo
.LBB1387_88:
	s_or_b32 exec_lo, exec_lo, s4
	v_mov_b32_e32 v7, 24
	v_mov_b32_e32 v9, 0xff
	;; [unrolled: 1-line block ×3, first 2 shown]
	v_cndmask_b32_e64 v11, 0, 1, s3
	v_cndmask_b32_e64 v12, 0, 1, vcc_lo
	v_lshrrev_b32_sdwa v25, v7, v6 dst_sel:BYTE_1 dst_unused:UNUSED_PAD src0_sel:DWORD src1_sel:DWORD
	v_and_b32_sdwa v26, v6, v9 dst_sel:DWORD dst_unused:UNUSED_PAD src0_sel:WORD_1 src1_sel:DWORD
	v_lshrrev_b32_sdwa v6, v10, v6 dst_sel:BYTE_1 dst_unused:UNUSED_PAD src0_sel:DWORD src1_sel:DWORD
	v_lshlrev_b16 v10, 8, v11
	v_lshrrev_b32_sdwa v7, v7, v8 dst_sel:BYTE_1 dst_unused:UNUSED_PAD src0_sel:DWORD src1_sel:DWORD
	v_and_b32_sdwa v9, v8, v9 dst_sel:DWORD dst_unused:UNUSED_PAD src0_sel:WORD_1 src1_sel:DWORD
	v_or_b32_sdwa v11, v26, v25 dst_sel:WORD_1 dst_unused:UNUSED_PAD src0_sel:DWORD src1_sel:DWORD
	v_or_b32_e32 v6, v12, v6
	v_or_b32_sdwa v8, v8, v10 dst_sel:DWORD dst_unused:UNUSED_PAD src0_sel:BYTE_0 src1_sel:DWORD
	v_or_b32_sdwa v9, v9, v7 dst_sel:WORD_1 dst_unused:UNUSED_PAD src0_sel:DWORD src1_sel:DWORD
	v_or_b32_sdwa v7, v6, v11 dst_sel:DWORD dst_unused:UNUSED_PAD src0_sel:WORD_0 src1_sel:DWORD
	v_or_b32_sdwa v9, v8, v9 dst_sel:DWORD dst_unused:UNUSED_PAD src0_sel:WORD_0 src1_sel:DWORD
.LBB1387_89:
	s_or_b32 exec_lo, exec_lo, s2
	v_add_nc_u32_e32 v6, 9, v34
                                        ; implicit-def: $vgpr8
	v_cmp_le_u32_e32 vcc_lo, s5, v6
                                        ; implicit-def: $vgpr6
	s_and_saveexec_b32 s1, vcc_lo
	s_xor_b32 s1, exec_lo, s1
	s_cbranch_execz .LBB1387_91
; %bb.90:
	v_lshrrev_b32_e32 v6, 24, v9
	v_mov_b32_e32 v8, 8
	v_mov_b32_e32 v10, 0xff
	v_perm_b32 v5, v5, v5, 0x3060504
	v_perm_b32 v6, v6, v9, 0x40c0100
	v_mov_b32_e32 v9, 24
	v_and_b32_sdwa v10, v7, v10 dst_sel:DWORD dst_unused:UNUSED_PAD src0_sel:WORD_1 src1_sel:DWORD
	v_lshrrev_b32_sdwa v8, v8, v6 dst_sel:BYTE_1 dst_unused:UNUSED_PAD src0_sel:DWORD src1_sel:DWORD
	v_lshrrev_b32_sdwa v9, v9, v7 dst_sel:BYTE_1 dst_unused:UNUSED_PAD src0_sel:DWORD src1_sel:DWORD
	v_or_b32_sdwa v8, v6, v8 dst_sel:DWORD dst_unused:UNUSED_PAD src0_sel:BYTE_0 src1_sel:DWORD
	v_or_b32_e32 v9, v10, v9
	v_and_b32_e32 v10, 0xffff, v8
	v_perm_b32 v8, v9, v7, 0x5040c00
                                        ; implicit-def: $vgpr7
                                        ; implicit-def: $vgpr9
	v_and_or_b32 v6, 0xff000000, v6, v10
.LBB1387_91:
	s_andn2_saveexec_b32 s2, s1
	s_cbranch_execz .LBB1387_95
; %bb.92:
	v_add_nc_u32_e32 v6, s17, v16
	v_add_nc_u32_e32 v8, s19, v16
	s_mov_b32 s3, 0
	s_mov_b32 s4, exec_lo
	v_mul_lo_u32 v6, v6, s16
	v_mul_lo_u32 v8, v8, s18
	v_sub_nc_u32_e32 v6, v6, v8
	v_cmp_lt_u32_e32 vcc_lo, s20, v6
	v_cmpx_ge_u32_e64 s20, v6
	s_cbranch_execz .LBB1387_94
; %bb.93:
	v_add_nc_u32_e32 v6, s22, v16
	v_add_nc_u32_e32 v8, s38, v16
	v_mul_lo_u32 v6, v6, s21
	v_mul_lo_u32 v8, v8, s23
	v_sub_nc_u32_e32 v6, v6, v8
	v_cmp_lt_u32_e64 s1, s39, v6
	s_and_b32 s3, s1, exec_lo
.LBB1387_94:
	s_or_b32 exec_lo, exec_lo, s4
	v_cndmask_b32_e64 v6, 0, 1, vcc_lo
	v_mov_b32_e32 v8, 24
	v_mov_b32_e32 v10, 0xff
	;; [unrolled: 1-line block ×3, first 2 shown]
	v_cndmask_b32_e64 v12, 0, 1, s3
	v_lshlrev_b16 v6, 8, v6
	v_lshrrev_b32_sdwa v25, v8, v7 dst_sel:BYTE_1 dst_unused:UNUSED_PAD src0_sel:DWORD src1_sel:DWORD
	v_and_b32_sdwa v10, v7, v10 dst_sel:DWORD dst_unused:UNUSED_PAD src0_sel:WORD_1 src1_sel:DWORD
	v_lshrrev_b32_sdwa v11, v11, v9 dst_sel:BYTE_1 dst_unused:UNUSED_PAD src0_sel:DWORD src1_sel:DWORD
	v_lshrrev_b32_sdwa v8, v8, v9 dst_sel:BYTE_1 dst_unused:UNUSED_PAD src0_sel:DWORD src1_sel:DWORD
	v_or_b32_sdwa v6, v7, v6 dst_sel:DWORD dst_unused:UNUSED_PAD src0_sel:BYTE_0 src1_sel:DWORD
	v_or_b32_sdwa v7, v10, v25 dst_sel:WORD_1 dst_unused:UNUSED_PAD src0_sel:DWORD src1_sel:DWORD
	v_or_b32_sdwa v9, v9, v11 dst_sel:DWORD dst_unused:UNUSED_PAD src0_sel:BYTE_0 src1_sel:DWORD
	v_or_b32_sdwa v10, v12, v8 dst_sel:WORD_1 dst_unused:UNUSED_PAD src0_sel:DWORD src1_sel:DWORD
	v_or_b32_sdwa v8, v6, v7 dst_sel:DWORD dst_unused:UNUSED_PAD src0_sel:WORD_0 src1_sel:DWORD
	v_or_b32_sdwa v6, v9, v10 dst_sel:DWORD dst_unused:UNUSED_PAD src0_sel:WORD_0 src1_sel:DWORD
.LBB1387_95:
	s_or_b32 exec_lo, exec_lo, s2
	v_add_nc_u32_e32 v7, 10, v34
                                        ; implicit-def: $vgpr38
	v_cmp_le_u32_e32 vcc_lo, s5, v7
                                        ; implicit-def: $vgpr7
	s_and_saveexec_b32 s1, vcc_lo
	s_xor_b32 s1, exec_lo, s1
	s_cbranch_execz .LBB1387_97
; %bb.96:
	v_lshrrev_b32_e32 v7, 24, v8
	v_mov_b32_e32 v9, 8
	v_perm_b32 v5, v5, v5, 0x3060504
	v_perm_b32 v7, v7, v8, 0x40c0100
	v_lshrrev_b32_sdwa v8, v9, v7 dst_sel:BYTE_1 dst_unused:UNUSED_PAD src0_sel:DWORD src1_sel:DWORD
	v_and_b32_e32 v9, 0xff0000, v6
	v_or_b32_sdwa v8, v7, v8 dst_sel:DWORD dst_unused:UNUSED_PAD src0_sel:BYTE_0 src1_sel:DWORD
	v_perm_b32 v38, v6, v9, 0x3020504
                                        ; implicit-def: $vgpr6
	v_and_b32_e32 v8, 0xffff, v8
	v_and_or_b32 v7, 0xff000000, v7, v8
                                        ; implicit-def: $vgpr8
.LBB1387_97:
	s_andn2_saveexec_b32 s2, s1
	s_cbranch_execz .LBB1387_101
; %bb.98:
	v_add_nc_u32_e32 v7, s17, v13
	v_add_nc_u32_e32 v9, s19, v13
	s_mov_b32 s3, 0
	s_mov_b32 s4, exec_lo
	v_mul_lo_u32 v7, v7, s16
	v_mul_lo_u32 v9, v9, s18
	v_sub_nc_u32_e32 v7, v7, v9
	v_cmp_lt_u32_e32 vcc_lo, s20, v7
	v_cmpx_ge_u32_e64 s20, v7
	s_cbranch_execz .LBB1387_100
; %bb.99:
	v_add_nc_u32_e32 v7, s22, v13
	v_add_nc_u32_e32 v9, s38, v13
	v_mul_lo_u32 v7, v7, s21
	v_mul_lo_u32 v9, v9, s23
	v_sub_nc_u32_e32 v7, v7, v9
	v_cmp_lt_u32_e64 s1, s39, v7
	s_and_b32 s3, s1, exec_lo
.LBB1387_100:
	s_or_b32 exec_lo, exec_lo, s4
	v_mov_b32_e32 v7, 8
	v_mov_b32_e32 v9, 24
	v_cndmask_b32_e64 v11, 0, 1, s3
	v_mov_b32_e32 v12, 0xff
	v_cndmask_b32_e64 v10, 0, 1, vcc_lo
	v_lshrrev_b32_sdwa v25, v7, v8 dst_sel:BYTE_1 dst_unused:UNUSED_PAD src0_sel:DWORD src1_sel:DWORD
	v_lshrrev_b32_sdwa v9, v9, v8 dst_sel:BYTE_1 dst_unused:UNUSED_PAD src0_sel:DWORD src1_sel:DWORD
	;; [unrolled: 1-line block ×3, first 2 shown]
	v_lshlrev_b16 v11, 8, v11
	v_and_b32_sdwa v12, v6, v12 dst_sel:DWORD dst_unused:UNUSED_PAD src0_sel:WORD_1 src1_sel:DWORD
	v_or_b32_sdwa v8, v8, v25 dst_sel:DWORD dst_unused:UNUSED_PAD src0_sel:BYTE_0 src1_sel:DWORD
	v_or_b32_sdwa v9, v10, v9 dst_sel:WORD_1 dst_unused:UNUSED_PAD src0_sel:DWORD src1_sel:DWORD
	v_or_b32_sdwa v6, v6, v7 dst_sel:DWORD dst_unused:UNUSED_PAD src0_sel:BYTE_0 src1_sel:DWORD
	v_or_b32_sdwa v10, v12, v11 dst_sel:WORD_1 dst_unused:UNUSED_PAD src0_sel:DWORD src1_sel:DWORD
	v_or_b32_sdwa v7, v8, v9 dst_sel:DWORD dst_unused:UNUSED_PAD src0_sel:WORD_0 src1_sel:DWORD
	v_or_b32_sdwa v38, v6, v10 dst_sel:DWORD dst_unused:UNUSED_PAD src0_sel:WORD_0 src1_sel:DWORD
.LBB1387_101:
	s_or_b32 exec_lo, exec_lo, s2
	v_add_nc_u32_e32 v6, 11, v34
	v_mov_b32_e32 v39, 0
	s_mov_b32 s1, exec_lo
                                        ; implicit-def: $vgpr40
	v_cmpx_le_u32_e64 s5, v6
	s_xor_b32 s1, exec_lo, s1
; %bb.102:
	v_and_b32_e32 v6, 0xff0000, v7
	v_perm_b32 v5, v5, v5, 0x3060504
	v_perm_b32 v40, v7, v6, 0x3020504
                                        ; implicit-def: $vgpr7
; %bb.103:
	s_andn2_saveexec_b32 s2, s1
	s_cbranch_execz .LBB1387_107
; %bb.104:
	v_add_nc_u32_e32 v6, s17, v14
	v_add_nc_u32_e32 v8, s19, v14
	s_mov_b32 s3, 0
	s_mov_b32 s4, exec_lo
	v_mul_lo_u32 v6, v6, s16
	v_mul_lo_u32 v8, v8, s18
	v_sub_nc_u32_e32 v6, v6, v8
	v_cmp_lt_u32_e32 vcc_lo, s20, v6
	v_cmpx_ge_u32_e64 s20, v6
	s_cbranch_execz .LBB1387_106
; %bb.105:
	v_add_nc_u32_e32 v6, s22, v14
	v_add_nc_u32_e32 v8, s38, v14
	v_mul_lo_u32 v6, v6, s21
	v_mul_lo_u32 v8, v8, s23
	v_sub_nc_u32_e32 v6, v6, v8
	v_cmp_lt_u32_e64 s1, s39, v6
	s_and_b32 s3, s1, exec_lo
.LBB1387_106:
	s_or_b32 exec_lo, exec_lo, s4
	v_mov_b32_e32 v6, 8
	v_cndmask_b32_e64 v8, 0, 1, vcc_lo
	v_mov_b32_e32 v9, 0xff
	v_cndmask_b32_e64 v39, 0, 1, s3
	v_lshrrev_b32_sdwa v6, v6, v7 dst_sel:BYTE_1 dst_unused:UNUSED_PAD src0_sel:DWORD src1_sel:DWORD
	v_lshlrev_b16 v8, 8, v8
	v_and_b32_sdwa v9, v7, v9 dst_sel:DWORD dst_unused:UNUSED_PAD src0_sel:WORD_1 src1_sel:DWORD
	v_or_b32_sdwa v6, v7, v6 dst_sel:DWORD dst_unused:UNUSED_PAD src0_sel:BYTE_0 src1_sel:DWORD
	v_or_b32_sdwa v7, v9, v8 dst_sel:WORD_1 dst_unused:UNUSED_PAD src0_sel:DWORD src1_sel:DWORD
	v_or_b32_sdwa v40, v6, v7 dst_sel:DWORD dst_unused:UNUSED_PAD src0_sel:WORD_0 src1_sel:DWORD
.LBB1387_107:
	s_or_b32 exec_lo, exec_lo, s2
	v_add_nc_u32_e32 v6, 12, v34
	s_mov_b32 s1, exec_lo
                                        ; implicit-def: $vgpr41
	v_cmpx_le_u32_e64 s5, v6
	s_xor_b32 s1, exec_lo, s1
	s_cbranch_execz .LBB1387_109
; %bb.108:
	v_mov_b32_e32 v6, 24
	v_mov_b32_e32 v7, 0xff
	;; [unrolled: 1-line block ×3, first 2 shown]
	v_lshrrev_b32_sdwa v6, v6, v5 dst_sel:BYTE_1 dst_unused:UNUSED_PAD src0_sel:DWORD src1_sel:DWORD
	v_and_b32_sdwa v7, v5, v7 dst_sel:DWORD dst_unused:UNUSED_PAD src0_sel:WORD_1 src1_sel:DWORD
	v_lshrrev_b32_sdwa v5, v8, v5 dst_sel:BYTE_1 dst_unused:UNUSED_PAD src0_sel:DWORD src1_sel:DWORD
	v_or_b32_sdwa v6, v7, v6 dst_sel:WORD_1 dst_unused:UNUSED_PAD src0_sel:DWORD src1_sel:DWORD
	v_or_b32_sdwa v41, v5, v6 dst_sel:DWORD dst_unused:UNUSED_PAD src0_sel:WORD_0 src1_sel:DWORD
                                        ; implicit-def: $vgpr5
.LBB1387_109:
	s_or_saveexec_b32 s2, s1
	v_mov_b32_e32 v42, 0
	s_xor_b32 exec_lo, exec_lo, s2
	s_cbranch_execz .LBB1387_113
; %bb.110:
	v_add_nc_u32_e32 v6, s17, v33
	v_add_nc_u32_e32 v7, s19, v33
	s_mov_b32 s3, 0
	s_mov_b32 s4, exec_lo
	v_mul_lo_u32 v6, v6, s16
	v_mul_lo_u32 v7, v7, s18
	v_sub_nc_u32_e32 v6, v6, v7
	v_cmp_lt_u32_e32 vcc_lo, s20, v6
	v_cmpx_ge_u32_e64 s20, v6
	s_cbranch_execz .LBB1387_112
; %bb.111:
	v_add_nc_u32_e32 v6, s22, v33
	v_add_nc_u32_e32 v7, s38, v33
	v_mul_lo_u32 v6, v6, s21
	v_mul_lo_u32 v7, v7, s23
	v_sub_nc_u32_e32 v6, v6, v7
	v_cmp_lt_u32_e64 s1, s39, v6
	s_and_b32 s3, s1, exec_lo
.LBB1387_112:
	s_or_b32 exec_lo, exec_lo, s4
	v_mov_b32_e32 v6, 24
	v_mov_b32_e32 v7, 0xff
	;; [unrolled: 1-line block ×3, first 2 shown]
	v_cndmask_b32_e64 v9, 0, 1, vcc_lo
	v_cndmask_b32_e64 v42, 0, 1, s3
	v_lshrrev_b32_sdwa v6, v6, v5 dst_sel:BYTE_1 dst_unused:UNUSED_PAD src0_sel:DWORD src1_sel:DWORD
	v_and_b32_sdwa v7, v5, v7 dst_sel:DWORD dst_unused:UNUSED_PAD src0_sel:WORD_1 src1_sel:DWORD
	v_lshrrev_b32_sdwa v5, v8, v5 dst_sel:BYTE_1 dst_unused:UNUSED_PAD src0_sel:DWORD src1_sel:DWORD
	v_or_b32_sdwa v6, v7, v6 dst_sel:WORD_1 dst_unused:UNUSED_PAD src0_sel:DWORD src1_sel:DWORD
	v_or_b32_e32 v5, v9, v5
	v_or_b32_sdwa v41, v5, v6 dst_sel:DWORD dst_unused:UNUSED_PAD src0_sel:WORD_0 src1_sel:DWORD
.LBB1387_113:
	s_or_b32 exec_lo, exec_lo, s2
.LBB1387_114:
	v_and_b32_e32 v65, 0xff, v35
	v_bfe_u32 v66, v41, 8, 8
	v_bfe_u32 v62, v35, 8, 8
	;; [unrolled: 1-line block ×4, first 2 shown]
	v_lshrrev_b32_e32 v48, 24, v41
	v_lshrrev_b32_e32 v47, 24, v35
	v_and_b32_e32 v61, 0xff, v36
	v_and_b32_e32 v59, 0xff, v37
	v_bfe_u32 v60, v36, 8, 8
	v_add3_u32 v5, v62, v65, v64
	v_add3_u32 v6, v63, v66, v48
	v_bfe_u32 v57, v37, 8, 8
	v_bfe_u32 v58, v36, 16, 8
	;; [unrolled: 1-line block ×3, first 2 shown]
	v_lshrrev_b32_e32 v46, 24, v36
	v_add3_u32 v5, v5, v47, v59
	v_add3_u32 v6, v6, v61, v60
	v_lshrrev_b32_e32 v45, 24, v37
	v_and_b32_e32 v56, 0xff, v38
	v_and_b32_e32 v54, 0xff, v40
	v_bfe_u32 v55, v38, 8, 8
	v_add3_u32 v5, v5, v57, v52
	v_add3_u32 v6, v6, v58, v46
	v_bfe_u32 v51, v40, 8, 8
	v_bfe_u32 v53, v38, 16, 8
	;; [unrolled: 1-line block ×3, first 2 shown]
	v_lshrrev_b32_e32 v44, 24, v38
	v_add3_u32 v5, v5, v45, v54
	v_add3_u32 v6, v6, v56, v55
	v_mbcnt_lo_u32_b32 v67, -1, 0
	v_lshrrev_b32_e32 v43, 24, v40
	v_and_b32_e32 v50, 0xff, v39
	v_and_b32_e32 v7, 0xff, v41
	;; [unrolled: 1-line block ×3, first 2 shown]
	v_add3_u32 v5, v5, v51, v49
	v_add3_u32 v6, v6, v53, v44
	v_and_b32_e32 v69, 15, v67
	v_and_b32_e32 v71, 16, v67
	v_lshrrev_b32_e32 v68, 5, v0
	v_add3_u32 v72, v5, v43, v7
	v_add3_u32 v73, v6, v50, v8
	v_cmp_eq_u32_e64 s2, 0, v69
	v_cmp_lt_u32_e64 s1, 1, v69
	v_cmp_lt_u32_e64 s3, 3, v69
	v_or_b32_e32 v70, 31, v0
	s_cmp_lg_u32 s27, 0
	s_mov_b32 s4, -1
	v_cmp_lt_u32_e32 vcc_lo, 7, v69
	s_cbranch_scc0 .LBB1387_136
; %bb.115:
	v_mov_b32_dpp v5, v73 row_shr:1 row_mask:0xf bank_mask:0xf
	v_mov_b32_dpp v6, v72 row_shr:1 row_mask:0xf bank_mask:0xf
	s_mov_b32 s4, exec_lo
	v_add_nc_u32_e32 v5, v5, v73
	v_add_nc_u32_e32 v6, v6, v72
	v_cndmask_b32_e64 v5, v5, v73, s2
	v_cndmask_b32_e64 v6, v6, v72, s2
	v_mov_b32_dpp v7, v5 row_shr:2 row_mask:0xf bank_mask:0xf
	v_mov_b32_dpp v8, v6 row_shr:2 row_mask:0xf bank_mask:0xf
	v_add_nc_u32_e32 v7, v5, v7
	v_add_nc_u32_e32 v8, v6, v8
	v_cndmask_b32_e64 v5, v5, v7, s1
	v_cndmask_b32_e64 v6, v6, v8, s1
	v_mov_b32_dpp v7, v5 row_shr:4 row_mask:0xf bank_mask:0xf
	v_mov_b32_dpp v8, v6 row_shr:4 row_mask:0xf bank_mask:0xf
	;; [unrolled: 6-line block ×3, first 2 shown]
	v_add_nc_u32_e32 v7, v5, v7
	v_add_nc_u32_e32 v8, v6, v8
	v_cndmask_b32_e32 v5, v5, v7, vcc_lo
	v_cndmask_b32_e32 v6, v6, v8, vcc_lo
	v_cmp_eq_u32_e32 vcc_lo, 0, v71
	ds_swizzle_b32 v7, v5 offset:swizzle(BROADCAST,32,15)
	ds_swizzle_b32 v8, v6 offset:swizzle(BROADCAST,32,15)
	s_waitcnt lgkmcnt(1)
	v_add_nc_u32_e32 v7, v5, v7
	s_waitcnt lgkmcnt(0)
	v_add_nc_u32_e32 v8, v6, v8
	v_cmpx_eq_u32_e64 v0, v70
	s_cbranch_execz .LBB1387_117
; %bb.116:
	v_lshlrev_b32_e32 v11, 3, v68
	v_cndmask_b32_e32 v10, v7, v5, vcc_lo
	v_cndmask_b32_e32 v9, v8, v6, vcc_lo
	ds_write_b64 v11, v[9:10]
.LBB1387_117:
	s_or_b32 exec_lo, exec_lo, s4
	s_mov_b32 s4, exec_lo
	s_waitcnt lgkmcnt(0)
	s_barrier
	buffer_gl0_inv
	v_cmpx_gt_u32_e32 8, v0
	s_cbranch_execz .LBB1387_119
; %bb.118:
	v_lshlrev_b32_e32 v11, 3, v0
	v_and_b32_e32 v26, 7, v67
	ds_read_b64 v[9:10], v11
	v_cmp_eq_u32_e64 s3, 0, v26
	s_waitcnt lgkmcnt(0)
	v_mov_b32_dpp v12, v9 row_shr:1 row_mask:0xf bank_mask:0xf
	v_mov_b32_dpp v25, v10 row_shr:1 row_mask:0xf bank_mask:0xf
	v_add_nc_u32_e32 v12, v12, v9
	v_add_nc_u32_e32 v25, v25, v10
	v_cndmask_b32_e64 v9, v12, v9, s3
	v_cndmask_b32_e64 v10, v25, v10, s3
	v_cmp_lt_u32_e64 s3, 1, v26
	v_mov_b32_dpp v12, v9 row_shr:2 row_mask:0xf bank_mask:0xf
	v_mov_b32_dpp v25, v10 row_shr:2 row_mask:0xf bank_mask:0xf
	v_add_nc_u32_e32 v12, v9, v12
	v_add_nc_u32_e32 v25, v10, v25
	v_cndmask_b32_e64 v9, v9, v12, s3
	v_cndmask_b32_e64 v10, v10, v25, s3
	v_cmp_lt_u32_e64 s3, 3, v26
	v_mov_b32_dpp v12, v9 row_shr:4 row_mask:0xf bank_mask:0xf
	v_mov_b32_dpp v25, v10 row_shr:4 row_mask:0xf bank_mask:0xf
	v_cndmask_b32_e64 v12, 0, v12, s3
	v_cndmask_b32_e64 v25, 0, v25, s3
	v_add_nc_u32_e32 v9, v12, v9
	v_add_nc_u32_e32 v10, v25, v10
	ds_write_b64 v11, v[9:10]
.LBB1387_119:
	s_or_b32 exec_lo, exec_lo, s4
	v_cndmask_b32_e32 v5, v7, v5, vcc_lo
	v_cndmask_b32_e32 v6, v8, v6, vcc_lo
	s_mov_b32 s4, exec_lo
	v_cmp_gt_u32_e32 vcc_lo, 32, v0
	s_waitcnt lgkmcnt(0)
	s_barrier
	buffer_gl0_inv
                                        ; implicit-def: $vgpr25
	v_cmpx_lt_u32_e32 31, v0
	s_cbranch_execz .LBB1387_121
; %bb.120:
	v_lshl_add_u32 v7, v68, 3, -8
	ds_read_b64 v[25:26], v7
	s_waitcnt lgkmcnt(0)
	v_add_nc_u32_e32 v5, v26, v5
	v_add_nc_u32_e32 v6, v25, v6
.LBB1387_121:
	s_or_b32 exec_lo, exec_lo, s4
	v_sub_co_u32 v7, s3, v67, 1
	v_cmp_gt_i32_e64 s4, 0, v7
	v_cndmask_b32_e64 v7, v7, v67, s4
	v_lshlrev_b32_e32 v7, 2, v7
	ds_bpermute_b32 v74, v7, v6
	ds_bpermute_b32 v75, v7, v5
	s_and_saveexec_b32 s4, vcc_lo
	s_cbranch_execz .LBB1387_141
; %bb.122:
	v_mov_b32_e32 v8, 0
	ds_read_b64 v[5:6], v8 offset:56
	s_and_saveexec_b32 s6, s3
	s_cbranch_execz .LBB1387_124
; %bb.123:
	s_add_i32 s8, s27, 32
	s_mov_b32 s9, 0
	v_mov_b32_e32 v7, 1
	s_lshl_b64 s[8:9], s[8:9], 4
	s_add_u32 s8, s36, s8
	s_addc_u32 s9, s37, s9
	v_mov_b32_e32 v10, s9
	v_mov_b32_e32 v9, s8
	s_waitcnt lgkmcnt(0)
	;;#ASMSTART
	global_store_dwordx4 v[9:10], v[5:8] off	
s_waitcnt vmcnt(0)
	;;#ASMEND
.LBB1387_124:
	s_or_b32 exec_lo, exec_lo, s6
	v_xad_u32 v27, v67, -1, s27
	s_mov_b32 s7, 0
	v_add_nc_u32_e32 v7, 32, v27
	v_lshlrev_b64 v[9:10], 4, v[7:8]
	v_add_co_u32 v28, vcc_lo, s36, v9
	v_add_co_ci_u32_e64 v29, null, s37, v10, vcc_lo
	;;#ASMSTART
	global_load_dwordx4 v[9:12], v[28:29] off glc dlc	
s_waitcnt vmcnt(0)
	;;#ASMEND
	v_cmp_eq_u16_sdwa s8, v11, v8 src0_sel:BYTE_0 src1_sel:DWORD
	s_and_saveexec_b32 s6, s8
	s_cbranch_execz .LBB1387_128
; %bb.125:
	v_mov_b32_e32 v7, 0
.LBB1387_126:                           ; =>This Inner Loop Header: Depth=1
	;;#ASMSTART
	global_load_dwordx4 v[9:12], v[28:29] off glc dlc	
s_waitcnt vmcnt(0)
	;;#ASMEND
	v_cmp_ne_u16_sdwa s8, v11, v7 src0_sel:BYTE_0 src1_sel:DWORD
	s_or_b32 s7, s8, s7
	s_andn2_b32 exec_lo, exec_lo, s7
	s_cbranch_execnz .LBB1387_126
; %bb.127:
	s_or_b32 exec_lo, exec_lo, s7
.LBB1387_128:
	s_or_b32 exec_lo, exec_lo, s6
	v_cmp_ne_u32_e32 vcc_lo, 31, v67
	v_mov_b32_e32 v77, 2
	v_lshlrev_b32_e64 v78, v67, -1
	v_add_nc_u32_e32 v80, 2, v67
	v_add_nc_u32_e32 v82, 4, v67
	v_add_co_ci_u32_e64 v7, null, 0, v67, vcc_lo
	v_cmp_eq_u16_sdwa s6, v11, v77 src0_sel:BYTE_0 src1_sel:DWORD
	v_cmp_gt_u32_e32 vcc_lo, 30, v67
	v_add_nc_u32_e32 v84, 8, v67
	v_lshlrev_b32_e32 v76, 2, v7
	v_lshl_or_b32 v85, v67, 2, 64
	v_and_b32_e32 v12, s6, v78
	v_cndmask_b32_e64 v28, 0, 2, vcc_lo
	v_add_nc_u32_e32 v86, 16, v67
	ds_bpermute_b32 v7, v76, v10
	ds_bpermute_b32 v8, v76, v9
	v_or_b32_e32 v12, 0x80000000, v12
	v_add_lshl_u32 v79, v28, v67, 2
	v_ffbl_b32_e32 v12, v12
	v_cmp_lt_u32_e32 vcc_lo, v67, v12
	s_waitcnt lgkmcnt(1)
	v_add_nc_u32_e32 v7, v7, v10
	s_waitcnt lgkmcnt(0)
	v_add_nc_u32_e32 v8, v8, v9
	v_cndmask_b32_e32 v7, v10, v7, vcc_lo
	v_cndmask_b32_e32 v8, v9, v8, vcc_lo
	v_cmp_gt_u32_e32 vcc_lo, 28, v67
	ds_bpermute_b32 v9, v79, v7
	ds_bpermute_b32 v10, v79, v8
	v_cndmask_b32_e64 v28, 0, 4, vcc_lo
	v_cmp_gt_u32_e32 vcc_lo, v80, v12
	v_add_lshl_u32 v81, v28, v67, 2
	s_waitcnt lgkmcnt(1)
	v_add_nc_u32_e32 v9, v7, v9
	s_waitcnt lgkmcnt(0)
	v_add_nc_u32_e32 v10, v8, v10
	v_cndmask_b32_e32 v7, v9, v7, vcc_lo
	v_cndmask_b32_e32 v8, v10, v8, vcc_lo
	v_cmp_gt_u32_e32 vcc_lo, 24, v67
	ds_bpermute_b32 v9, v81, v7
	ds_bpermute_b32 v10, v81, v8
	v_cndmask_b32_e64 v28, 0, 8, vcc_lo
	v_cmp_gt_u32_e32 vcc_lo, v82, v12
	v_add_lshl_u32 v83, v28, v67, 2
	v_mov_b32_e32 v28, 0
	s_waitcnt lgkmcnt(1)
	v_add_nc_u32_e32 v9, v7, v9
	s_waitcnt lgkmcnt(0)
	v_add_nc_u32_e32 v10, v8, v10
	v_cndmask_b32_e32 v7, v9, v7, vcc_lo
	v_cndmask_b32_e32 v8, v10, v8, vcc_lo
	v_cmp_gt_u32_e32 vcc_lo, v84, v12
	ds_bpermute_b32 v9, v83, v7
	ds_bpermute_b32 v10, v83, v8
	s_waitcnt lgkmcnt(1)
	v_add_nc_u32_e32 v9, v7, v9
	s_waitcnt lgkmcnt(0)
	v_add_nc_u32_e32 v10, v8, v10
	v_cndmask_b32_e32 v7, v9, v7, vcc_lo
	v_cndmask_b32_e32 v8, v10, v8, vcc_lo
	v_cmp_le_u32_e32 vcc_lo, v86, v12
	ds_bpermute_b32 v10, v85, v7
	ds_bpermute_b32 v9, v85, v8
	s_waitcnt lgkmcnt(1)
	v_cndmask_b32_e32 v10, 0, v10, vcc_lo
	s_waitcnt lgkmcnt(0)
	v_cndmask_b32_e32 v9, 0, v9, vcc_lo
	v_add_nc_u32_e32 v10, v10, v7
	v_add_nc_u32_e32 v9, v9, v8
	s_branch .LBB1387_132
.LBB1387_129:                           ;   in Loop: Header=BB1387_132 Depth=1
	s_or_b32 exec_lo, exec_lo, s7
.LBB1387_130:                           ;   in Loop: Header=BB1387_132 Depth=1
	s_or_b32 exec_lo, exec_lo, s6
	ds_bpermute_b32 v12, v76, v9
	ds_bpermute_b32 v29, v76, v10
	v_cmp_eq_u16_sdwa s6, v11, v77 src0_sel:BYTE_0 src1_sel:DWORD
	v_subrev_nc_u32_e32 v27, 32, v27
	v_and_or_b32 v30, s6, v78, 0x80000000
	s_mov_b32 s6, 0
	v_ffbl_b32_e32 v30, v30
	v_cmp_lt_u32_e32 vcc_lo, v67, v30
	s_waitcnt lgkmcnt(1)
	v_add_nc_u32_e32 v12, v12, v9
	s_waitcnt lgkmcnt(0)
	v_add_nc_u32_e32 v29, v29, v10
	v_cndmask_b32_e32 v9, v9, v12, vcc_lo
	v_cndmask_b32_e32 v10, v10, v29, vcc_lo
	v_cmp_gt_u32_e32 vcc_lo, v80, v30
	ds_bpermute_b32 v12, v79, v9
	ds_bpermute_b32 v29, v79, v10
	s_waitcnt lgkmcnt(1)
	v_add_nc_u32_e32 v12, v9, v12
	s_waitcnt lgkmcnt(0)
	v_add_nc_u32_e32 v29, v10, v29
	v_cndmask_b32_e32 v9, v12, v9, vcc_lo
	v_cndmask_b32_e32 v10, v29, v10, vcc_lo
	v_cmp_gt_u32_e32 vcc_lo, v82, v30
	ds_bpermute_b32 v12, v81, v9
	ds_bpermute_b32 v29, v81, v10
	;; [unrolled: 9-line block ×3, first 2 shown]
	s_waitcnt lgkmcnt(1)
	v_add_nc_u32_e32 v12, v9, v12
	s_waitcnt lgkmcnt(0)
	v_add_nc_u32_e32 v29, v10, v29
	v_cndmask_b32_e32 v9, v12, v9, vcc_lo
	v_cndmask_b32_e32 v10, v29, v10, vcc_lo
	v_cmp_le_u32_e32 vcc_lo, v86, v30
	ds_bpermute_b32 v12, v85, v9
	ds_bpermute_b32 v29, v85, v10
	s_waitcnt lgkmcnt(1)
	v_cndmask_b32_e32 v12, 0, v12, vcc_lo
	s_waitcnt lgkmcnt(0)
	v_cndmask_b32_e32 v29, 0, v29, vcc_lo
	v_add3_u32 v9, v9, v7, v12
	v_add3_u32 v10, v10, v8, v29
.LBB1387_131:                           ;   in Loop: Header=BB1387_132 Depth=1
	s_and_b32 vcc_lo, exec_lo, s6
	s_cbranch_vccnz .LBB1387_137
.LBB1387_132:                           ; =>This Loop Header: Depth=1
                                        ;     Child Loop BB1387_135 Depth 2
	v_cmp_ne_u16_sdwa s6, v11, v77 src0_sel:BYTE_0 src1_sel:DWORD
	v_mov_b32_e32 v7, v9
	v_mov_b32_e32 v8, v10
                                        ; implicit-def: $vgpr11
                                        ; implicit-def: $vgpr9_vgpr10
	s_cmp_lg_u32 s6, exec_lo
	s_mov_b32 s6, -1
	s_cbranch_scc1 .LBB1387_131
; %bb.133:                              ;   in Loop: Header=BB1387_132 Depth=1
	v_lshlrev_b64 v[9:10], 4, v[27:28]
	v_add_co_u32 v29, vcc_lo, s36, v9
	v_add_co_ci_u32_e64 v30, null, s37, v10, vcc_lo
	;;#ASMSTART
	global_load_dwordx4 v[9:12], v[29:30] off glc dlc	
s_waitcnt vmcnt(0)
	;;#ASMEND
	v_cmp_eq_u16_sdwa s7, v11, v28 src0_sel:BYTE_0 src1_sel:DWORD
	s_and_saveexec_b32 s6, s7
	s_cbranch_execz .LBB1387_130
; %bb.134:                              ;   in Loop: Header=BB1387_132 Depth=1
	s_mov_b32 s7, 0
.LBB1387_135:                           ;   Parent Loop BB1387_132 Depth=1
                                        ; =>  This Inner Loop Header: Depth=2
	;;#ASMSTART
	global_load_dwordx4 v[9:12], v[29:30] off glc dlc	
s_waitcnt vmcnt(0)
	;;#ASMEND
	v_cmp_ne_u16_sdwa s8, v11, v28 src0_sel:BYTE_0 src1_sel:DWORD
	s_or_b32 s7, s8, s7
	s_andn2_b32 exec_lo, exec_lo, s7
	s_cbranch_execnz .LBB1387_135
	s_branch .LBB1387_129
.LBB1387_136:
                                        ; implicit-def: $vgpr25
                                        ; implicit-def: $vgpr7
                                        ; implicit-def: $vgpr26
	s_and_b32 vcc_lo, exec_lo, s4
	s_cbranch_vccnz .LBB1387_142
	s_branch .LBB1387_151
.LBB1387_137:
	s_and_saveexec_b32 s6, s3
	s_cbranch_execnz .LBB1387_379
; %bb.138:
	s_or_b32 exec_lo, exec_lo, s6
	s_and_saveexec_b32 s6, s3
	s_cbranch_execnz .LBB1387_380
.LBB1387_139:
	s_or_b32 exec_lo, exec_lo, s6
	s_and_b32 exec_lo, exec_lo, s0
.LBB1387_140:
	v_mov_b32_e32 v5, 0
	ds_write_b64 v5, v[7:8] offset:56
.LBB1387_141:
	s_or_b32 exec_lo, exec_lo, s4
	v_mov_b32_e32 v5, 0
	s_waitcnt lgkmcnt(0)
	s_barrier
	buffer_gl0_inv
	v_cndmask_b32_e64 v11, v75, v26, s3
	ds_read_b64 v[9:10], v5 offset:56
	s_waitcnt lgkmcnt(0)
	s_barrier
	buffer_gl0_inv
	ds_read_b128 v[5:8], v5 offset:13312
	v_cndmask_b32_e64 v12, v74, v25, s3
	v_add_nc_u32_e32 v11, v10, v11
	v_add_nc_u32_e32 v12, v9, v12
	v_cndmask_b32_e64 v25, v11, v10, s0
	v_cndmask_b32_e64 v26, v12, v9, s0
	s_branch .LBB1387_151
.LBB1387_142:
	s_waitcnt lgkmcnt(0)
	v_mov_b32_dpp v5, v72 row_shr:1 row_mask:0xf bank_mask:0xf
	v_mov_b32_dpp v6, v73 row_shr:1 row_mask:0xf bank_mask:0xf
	v_cmp_lt_u32_e32 vcc_lo, 3, v69
	v_add_nc_u32_e32 v5, v5, v72
	v_add_nc_u32_e32 v6, v6, v73
	v_cndmask_b32_e64 v5, v5, v72, s2
	v_cndmask_b32_e64 v6, v6, v73, s2
	s_mov_b32 s2, exec_lo
	v_mov_b32_dpp v7, v5 row_shr:2 row_mask:0xf bank_mask:0xf
	v_mov_b32_dpp v8, v6 row_shr:2 row_mask:0xf bank_mask:0xf
	v_add_nc_u32_e32 v7, v5, v7
	v_add_nc_u32_e32 v8, v6, v8
	v_cndmask_b32_e64 v5, v5, v7, s1
	v_cndmask_b32_e64 v6, v6, v8, s1
	v_mov_b32_dpp v7, v5 row_shr:4 row_mask:0xf bank_mask:0xf
	v_mov_b32_dpp v8, v6 row_shr:4 row_mask:0xf bank_mask:0xf
	v_add_nc_u32_e32 v7, v5, v7
	v_add_nc_u32_e32 v8, v6, v8
	v_cndmask_b32_e32 v7, v5, v7, vcc_lo
	v_cndmask_b32_e32 v6, v6, v8, vcc_lo
	v_cmp_lt_u32_e32 vcc_lo, 7, v69
	v_mov_b32_dpp v5, v7 row_shr:8 row_mask:0xf bank_mask:0xf
	v_mov_b32_dpp v8, v6 row_shr:8 row_mask:0xf bank_mask:0xf
	v_add_nc_u32_e32 v9, v7, v5
	v_add_nc_u32_e32 v5, v6, v8
	v_cndmask_b32_e32 v5, v6, v5, vcc_lo
	v_cndmask_b32_e32 v6, v7, v9, vcc_lo
	v_cmp_eq_u32_e32 vcc_lo, 0, v71
	ds_swizzle_b32 v7, v5 offset:swizzle(BROADCAST,32,15)
	ds_swizzle_b32 v8, v6 offset:swizzle(BROADCAST,32,15)
	s_waitcnt lgkmcnt(1)
	v_add_nc_u32_e32 v7, v5, v7
	s_waitcnt lgkmcnt(0)
	v_add_nc_u32_e32 v8, v6, v8
	v_cmpx_eq_u32_e64 v0, v70
	s_cbranch_execz .LBB1387_144
; %bb.143:
	v_cndmask_b32_e32 v9, v8, v6, vcc_lo
	v_cndmask_b32_e32 v10, v7, v5, vcc_lo
	v_lshlrev_b32_e32 v11, 3, v68
	ds_write_b64 v11, v[9:10]
.LBB1387_144:
	s_or_b32 exec_lo, exec_lo, s2
	s_mov_b32 s2, exec_lo
	s_waitcnt lgkmcnt(0)
	s_barrier
	buffer_gl0_inv
	v_cmpx_gt_u32_e32 8, v0
	s_cbranch_execz .LBB1387_146
; %bb.145:
	v_lshlrev_b32_e32 v11, 3, v0
	v_and_b32_e32 v26, 7, v67
	ds_read_b64 v[9:10], v11
	v_cmp_eq_u32_e64 s1, 0, v26
	s_waitcnt lgkmcnt(0)
	v_mov_b32_dpp v12, v9 row_shr:1 row_mask:0xf bank_mask:0xf
	v_mov_b32_dpp v25, v10 row_shr:1 row_mask:0xf bank_mask:0xf
	v_add_nc_u32_e32 v12, v12, v9
	v_add_nc_u32_e32 v25, v25, v10
	v_cndmask_b32_e64 v9, v12, v9, s1
	v_cndmask_b32_e64 v10, v25, v10, s1
	v_cmp_lt_u32_e64 s1, 1, v26
	v_mov_b32_dpp v12, v9 row_shr:2 row_mask:0xf bank_mask:0xf
	v_mov_b32_dpp v25, v10 row_shr:2 row_mask:0xf bank_mask:0xf
	v_add_nc_u32_e32 v12, v9, v12
	v_add_nc_u32_e32 v25, v10, v25
	v_cndmask_b32_e64 v9, v9, v12, s1
	v_cndmask_b32_e64 v10, v10, v25, s1
	v_cmp_lt_u32_e64 s1, 3, v26
	v_mov_b32_dpp v12, v9 row_shr:4 row_mask:0xf bank_mask:0xf
	v_mov_b32_dpp v25, v10 row_shr:4 row_mask:0xf bank_mask:0xf
	v_cndmask_b32_e64 v12, 0, v12, s1
	v_cndmask_b32_e64 v25, 0, v25, s1
	v_add_nc_u32_e32 v9, v12, v9
	v_add_nc_u32_e32 v10, v25, v10
	ds_write_b64 v11, v[9:10]
.LBB1387_146:
	s_or_b32 exec_lo, exec_lo, s2
	v_mov_b32_e32 v11, 0
	v_mov_b32_e32 v9, 0
	;; [unrolled: 1-line block ×3, first 2 shown]
	s_mov_b32 s2, exec_lo
	s_waitcnt lgkmcnt(0)
	s_barrier
	buffer_gl0_inv
	v_cmpx_lt_u32_e32 31, v0
; %bb.147:
	v_lshl_add_u32 v9, v68, 3, -8
	ds_read_b64 v[9:10], v9
; %bb.148:
	s_or_b32 exec_lo, exec_lo, s2
	v_sub_co_u32 v12, s1, v67, 1
	v_cndmask_b32_e32 v6, v8, v6, vcc_lo
	v_cndmask_b32_e32 v5, v7, v5, vcc_lo
	v_cmp_gt_i32_e64 s2, 0, v12
	s_waitcnt lgkmcnt(0)
	v_add_nc_u32_e32 v6, v9, v6
	v_add_nc_u32_e32 v5, v10, v5
	v_cndmask_b32_e64 v8, v12, v67, s2
	v_lshlrev_b32_e32 v7, 2, v8
	ds_bpermute_b32 v12, v7, v6
	ds_bpermute_b32 v25, v7, v5
	ds_read_b64 v[5:6], v11 offset:56
	s_and_saveexec_b32 s2, s0
	s_cbranch_execz .LBB1387_150
; %bb.149:
	s_add_u32 s6, s36, 0x200
	s_addc_u32 s7, s37, 0
	v_mov_b32_e32 v7, 2
	v_mov_b32_e32 v27, s7
	;; [unrolled: 1-line block ×4, first 2 shown]
	s_waitcnt lgkmcnt(0)
	;;#ASMSTART
	global_store_dwordx4 v[26:27], v[5:8] off	
s_waitcnt vmcnt(0)
	;;#ASMEND
.LBB1387_150:
	s_or_b32 exec_lo, exec_lo, s2
	s_waitcnt lgkmcnt(1)
	v_cndmask_b32_e64 v7, v25, v10, s1
	v_cndmask_b32_e64 v9, v12, v9, s1
	v_mov_b32_e32 v8, 0
	s_waitcnt lgkmcnt(0)
	s_barrier
	v_cndmask_b32_e64 v25, v7, 0, s0
	v_cndmask_b32_e64 v26, v9, 0, s0
	v_mov_b32_e32 v7, 0
	buffer_gl0_inv
.LBB1387_151:
	v_add_nc_u32_e32 v30, v25, v66
	v_add_nc_u32_e32 v29, v26, v65
	s_waitcnt lgkmcnt(0)
	v_sub_nc_u32_e32 v25, v25, v8
	v_lshrrev_b32_e32 v28, 8, v41
	v_lshlrev_b32_e32 v69, 1, v5
	v_add_nc_u32_e32 v63, v30, v63
	v_sub_nc_u32_e32 v30, v30, v8
	v_add_nc_u32_e32 v62, v29, v62
	v_sub_nc_u32_e32 v26, v26, v7
	;; [unrolled: 2-line block ×3, first 2 shown]
	v_add_nc_u32_e32 v30, v30, v5
	v_and_b32_e32 v28, 1, v28
	v_mov_b32_e32 v71, 1
	v_add3_u32 v34, v69, v6, v34
	v_add_nc_u32_e32 v75, v26, v25
	v_add_nc_u32_e32 v76, v30, v29
	v_add_co_u32 v1, vcc_lo, v1, v7
	v_add_co_ci_u32_e64 v2, null, 0, v2, vcc_lo
	v_sub_co_u32 v67, vcc_lo, v3, v5
	v_subrev_co_ci_u32_e64 v68, null, 0, v4, vcc_lo
	v_and_b32_sdwa v74, v71, v41 dst_sel:DWORD dst_unused:UNUSED_PAD src0_sel:DWORD src1_sel:WORD_1
	v_sub_nc_u32_e32 v76, v34, v76
	v_sub_nc_u32_e32 v75, v34, v75
	v_cmp_eq_u32_e32 vcc_lo, 1, v28
	v_lshrrev_b32_e32 v27, 8, v35
	v_add_nc_u32_e32 v65, v63, v48
	v_and_b32_e32 v70, 1, v35
	v_sub_nc_u32_e32 v63, v63, v8
	v_add_nc_u32_e32 v76, 1, v76
	v_cndmask_b32_e32 v25, v75, v25, vcc_lo
	v_cmp_eq_u32_e32 vcc_lo, 1, v74
	v_add_nc_u32_e32 v64, v62, v64
	v_and_b32_e32 v27, 1, v27
	v_sub_nc_u32_e32 v62, v62, v7
	v_add_nc_u32_e32 v63, v63, v5
	v_cndmask_b32_e32 v30, v76, v30, vcc_lo
	v_cmp_eq_u32_e32 vcc_lo, 1, v70
	v_and_b32_e32 v48, 1, v48
	v_add_nc_u32_e32 v61, v65, v61
	v_add_nc_u32_e32 v74, v63, v62
	v_and_b32_sdwa v35, v71, v35 dst_sel:DWORD dst_unused:UNUSED_PAD src0_sel:DWORD src1_sel:WORD_1
	v_cndmask_b32_e32 v70, v25, v26, vcc_lo
	v_cmp_eq_u32_e32 vcc_lo, 1, v27
	v_sub_nc_u32_e32 v65, v65, v8
	v_add_nc_u32_e32 v66, v64, v47
	v_add_nc_u32_e32 v60, v61, v60
	v_sub_nc_u32_e32 v61, v61, v8
	v_cndmask_b32_e32 v27, v30, v29, vcc_lo
	v_sub_nc_u32_e32 v29, v34, v74
	v_add_co_u32 v25, vcc_lo, v67, v8
	v_add_co_ci_u32_e64 v26, null, 0, v68, vcc_lo
	v_add_nc_u32_e32 v29, 2, v29
	v_cmp_eq_u32_e32 vcc_lo, 1, v48
	v_sub_nc_u32_e32 v48, v64, v7
	v_lshlrev_b32_e32 v30, 2, v70
	v_add_nc_u32_e32 v61, v61, v5
	v_lshlrev_b32_e32 v27, 2, v27
	v_cndmask_b32_e32 v29, v29, v63, vcc_lo
	v_add_nc_u32_e32 v63, v65, v5
	v_cmp_eq_u32_e32 vcc_lo, 1, v35
	v_sub_nc_u32_e32 v35, v66, v7
	v_lshrrev_b32_e32 v12, 8, v36
	ds_write_b32 v30, v23
	ds_write_b32 v27, v24
	v_and_b32_e32 v30, 1, v36
	v_cndmask_b32_e32 v29, v29, v62, vcc_lo
	v_add_nc_u32_e32 v62, v48, v63
	v_add_nc_u32_e32 v24, v35, v61
	;; [unrolled: 1-line block ×3, first 2 shown]
	v_and_b32_e32 v12, 1, v12
	v_lshlrev_b32_e32 v23, 2, v29
	v_sub_nc_u32_e32 v27, v34, v62
	v_and_b32_e32 v29, 1, v47
	v_sub_nc_u32_e32 v47, v60, v8
	v_sub_nc_u32_e32 v24, v34, v24
	v_cmp_eq_u32_e32 vcc_lo, 1, v30
	v_add_nc_u32_e32 v27, 3, v27
	v_add_nc_u32_e32 v57, v59, v57
	v_sub_nc_u32_e32 v59, v59, v7
	v_add_nc_u32_e32 v47, v47, v5
	v_add_nc_u32_e32 v24, 4, v24
	v_cndmask_b32_e32 v27, v27, v63, vcc_lo
	v_cmp_eq_u32_e32 vcc_lo, 1, v12
	v_add_nc_u32_e32 v58, v60, v58
	v_and_b32_e32 v30, 1, v37
	v_add_nc_u32_e32 v60, v59, v47
	v_lshrrev_b32_e32 v11, 8, v37
	v_cndmask_b32_e32 v12, v24, v61, vcc_lo
	v_cmp_eq_u32_e32 vcc_lo, 1, v29
	ds_write_b32 v23, v21
	v_and_b32_sdwa v23, v71, v36 dst_sel:DWORD dst_unused:UNUSED_PAD src0_sel:DWORD src1_sel:WORD_1
	v_add_nc_u32_e32 v72, v58, v46
	v_and_b32_e32 v11, 1, v11
	v_cndmask_b32_e32 v24, v27, v48, vcc_lo
	v_sub_nc_u32_e32 v27, v34, v60
	v_cmp_eq_u32_e32 vcc_lo, 1, v30
	v_add_nc_u32_e32 v52, v57, v52
	v_sub_nc_u32_e32 v29, v72, v8
	v_lshlrev_b32_e32 v21, 2, v24
	v_add_nc_u32_e32 v24, 5, v27
	v_cndmask_b32_e32 v12, v12, v35, vcc_lo
	v_sub_nc_u32_e32 v27, v58, v8
	v_cmp_eq_u32_e32 vcc_lo, 1, v23
	v_add_nc_u32_e32 v29, v29, v5
	v_add_nc_u32_e32 v56, v72, v56
	v_lshlrev_b32_e32 v12, 2, v12
	v_add_nc_u32_e32 v27, v27, v5
	v_cndmask_b32_e32 v23, v24, v47, vcc_lo
	v_sub_nc_u32_e32 v24, v57, v7
	v_cmp_eq_u32_e32 vcc_lo, 1, v11
	ds_write_b32 v21, v22
	ds_write_b32 v12, v19
	v_and_b32_e32 v22, 1, v46
	v_and_b32_e32 v35, 1, v38
	v_add_nc_u32_e32 v30, v24, v27
	v_cndmask_b32_e32 v11, v23, v59, vcc_lo
	v_sub_nc_u32_e32 v23, v52, v7
	v_cmp_eq_u32_e32 vcc_lo, 1, v22
	v_add_nc_u32_e32 v73, v52, v45
	v_sub_nc_u32_e32 v19, v34, v30
	v_sub_nc_u32_e32 v30, v56, v8
	v_add_nc_u32_e32 v12, v23, v29
	v_and_b32_sdwa v21, v71, v37 dst_sel:DWORD dst_unused:UNUSED_PAD src0_sel:DWORD src1_sel:WORD_1
	v_sub_nc_u32_e32 v36, v73, v7
	v_add_nc_u32_e32 v19, 6, v19
	v_add_nc_u32_e32 v30, v30, v5
	v_sub_nc_u32_e32 v12, v34, v12
	v_and_b32_e32 v22, 1, v45
	v_lshrrev_b32_e32 v10, 8, v38
	v_cndmask_b32_e32 v19, v19, v27, vcc_lo
	v_cmp_eq_u32_e32 vcc_lo, 1, v35
	v_add_nc_u32_e32 v12, 7, v12
	v_add_nc_u32_e32 v55, v56, v55
	;; [unrolled: 1-line block ×4, first 2 shown]
	v_and_b32_e32 v10, 1, v10
	v_cndmask_b32_e32 v12, v12, v29, vcc_lo
	v_cmp_eq_u32_e32 vcc_lo, 1, v21
	v_sub_nc_u32_e32 v21, v34, v27
	v_add_nc_u32_e32 v53, v55, v53
	v_lshlrev_b32_e32 v11, 2, v11
	v_add_nc_u32_e32 v51, v54, v51
	v_cndmask_b32_e32 v19, v19, v24, vcc_lo
	v_cmp_eq_u32_e32 vcc_lo, 1, v22
	v_sub_nc_u32_e32 v22, v55, v8
	v_add_nc_u32_e32 v21, 8, v21
	v_sub_nc_u32_e32 v24, v54, v7
	v_lshlrev_b32_e32 v19, 2, v19
	v_cndmask_b32_e32 v12, v12, v23, vcc_lo
	v_add_nc_u32_e32 v22, v22, v5
	v_cmp_eq_u32_e32 vcc_lo, 1, v10
	v_add_nc_u32_e32 v77, v53, v44
	v_and_b32_e32 v23, 1, v40
	v_lshlrev_b32_e32 v12, 2, v12
	ds_write_b32 v11, v20
	ds_write_b32 v19, v17
	;; [unrolled: 1-line block ×3, first 2 shown]
	v_cndmask_b32_e32 v10, v21, v30, vcc_lo
	v_add_nc_u32_e32 v21, v24, v22
	v_sub_nc_u32_e32 v12, v53, v8
	v_lshrrev_b32_e32 v9, 8, v40
	v_add_nc_u32_e32 v49, v51, v49
	v_cmp_eq_u32_e32 vcc_lo, 1, v23
	v_sub_nc_u32_e32 v11, v34, v21
	v_and_b32_sdwa v17, v71, v38 dst_sel:DWORD dst_unused:UNUSED_PAD src0_sel:DWORD src1_sel:WORD_1
	v_sub_nc_u32_e32 v18, v51, v7
	v_sub_nc_u32_e32 v19, v77, v8
	v_add_nc_u32_e32 v12, v12, v5
	v_cndmask_b32_e32 v10, v10, v36, vcc_lo
	v_and_b32_e32 v9, 1, v9
	v_add_nc_u32_e32 v11, 9, v11
	v_cmp_eq_u32_e32 vcc_lo, 1, v17
	v_sub_nc_u32_e32 v17, v49, v7
	v_add_nc_u32_e32 v19, v19, v5
	v_add_nc_u32_e32 v20, v18, v12
	;; [unrolled: 1-line block ×3, first 2 shown]
	v_cndmask_b32_e32 v11, v11, v22, vcc_lo
	v_cmp_eq_u32_e32 vcc_lo, 1, v9
	v_add_nc_u32_e32 v21, v17, v19
	v_sub_nc_u32_e32 v20, v34, v20
	v_and_b32_e32 v23, 1, v44
	v_add_nc_u32_e32 v50, v49, v43
	v_cndmask_b32_e32 v9, v11, v24, vcc_lo
	v_sub_nc_u32_e32 v11, v28, v8
	v_sub_nc_u32_e32 v21, v34, v21
	v_add_nc_u32_e32 v20, 10, v20
	v_and_b32_e32 v24, 1, v39
	v_cmp_eq_u32_e32 vcc_lo, 1, v23
	v_and_b32_sdwa v22, v71, v40 dst_sel:DWORD dst_unused:UNUSED_PAD src0_sel:DWORD src1_sel:WORD_1
	v_sub_nc_u32_e32 v7, v50, v7
	v_add_nc_u32_e32 v11, v11, v5
	v_add_nc_u32_e32 v21, 11, v21
	v_cndmask_b32_e32 v12, v20, v12, vcc_lo
	v_cmp_eq_u32_e32 vcc_lo, 1, v24
	v_and_b32_e32 v20, 1, v43
	v_add_nc_u32_e32 v27, v7, v11
	v_lshlrev_b32_e32 v10, 2, v10
	v_lshlrev_b32_e32 v9, 2, v9
	v_cndmask_b32_e32 v19, v21, v19, vcc_lo
	v_cmp_eq_u32_e32 vcc_lo, 1, v22
	v_sub_nc_u32_e32 v23, v34, v27
	v_cndmask_b32_e32 v12, v12, v18, vcc_lo
	v_and_b32_e32 v18, 1, v42
	v_cmp_eq_u32_e32 vcc_lo, 1, v20
	v_add_nc_u32_e32 v21, 12, v23
	v_lshlrev_b32_e32 v12, 2, v12
	v_cndmask_b32_e32 v17, v19, v17, vcc_lo
	v_and_b32_e32 v19, 1, v41
	v_cmp_eq_u32_e32 vcc_lo, 1, v18
	v_lshlrev_b32_e32 v17, 2, v17
	ds_write_b32 v10, v15
	ds_write_b32 v9, v16
	;; [unrolled: 1-line block ×4, first 2 shown]
	v_cndmask_b32_e32 v11, v21, v11, vcc_lo
	v_cmp_eq_u32_e32 vcc_lo, 1, v19
	v_add_co_u32 v9, s1, v6, v69
	v_add_co_ci_u32_e64 v10, null, 0, 0, s1
	v_cndmask_b32_e32 v7, v11, v7, vcc_lo
	v_add_co_u32 v11, s1, s34, v31
	v_add_co_ci_u32_e64 v12, null, s35, 0, s1
	v_lshlrev_b32_e32 v7, 2, v7
	v_add_nc_u32_e32 v14, v5, v6
	ds_write_b32 v7, v33
	v_add_co_u32 v7, vcc_lo, v9, v25
	v_add_co_ci_u32_e64 v9, null, v10, v26, vcc_lo
	s_waitcnt lgkmcnt(0)
	v_add_co_u32 v7, vcc_lo, v7, v1
	v_add_co_ci_u32_e64 v13, null, v9, v2, vcc_lo
	v_lshlrev_b64 v[9:10], 2, v[25:26]
	v_sub_co_u32 v7, vcc_lo, v11, v7
	v_sub_co_ci_u32_e64 v13, null, v12, v13, vcc_lo
	v_lshlrev_b64 v[11:12], 2, v[1:2]
	v_add_co_u32 v9, vcc_lo, s30, v9
	v_add_co_ci_u32_e64 v10, null, s31, v10, vcc_lo
	v_cmp_ne_u32_e32 vcc_lo, 1, v32
	v_add_co_u32 v11, s1, s28, v11
	v_add_co_ci_u32_e64 v12, null, s29, v12, s1
	s_mov_b32 s1, -1
	s_barrier
	buffer_gl0_inv
	s_cbranch_vccz .LBB1387_155
; %bb.152:
	s_and_b32 vcc_lo, exec_lo, s1
	s_cbranch_vccnz .LBB1387_260
.LBB1387_153:
	s_and_b32 s0, s0, s26
	s_and_saveexec_b32 s1, s0
	s_cbranch_execnz .LBB1387_378
.LBB1387_154:
	s_endpgm
.LBB1387_155:
	s_mov_b32 s1, exec_lo
	v_cmpx_ge_u32_e64 v0, v5
	s_xor_b32 s1, exec_lo, s1
	s_cbranch_execz .LBB1387_161
; %bb.156:
	s_mov_b32 s2, exec_lo
	v_cmpx_ge_u32_e64 v0, v14
	s_xor_b32 s2, exec_lo, s2
	s_cbranch_execz .LBB1387_158
; %bb.157:
	v_lshlrev_b32_e32 v15, 2, v0
	ds_read_b32 v17, v15
	v_add_co_u32 v15, vcc_lo, v7, v0
	v_add_co_ci_u32_e64 v16, null, 0, v13, vcc_lo
	v_lshlrev_b64 v[15:16], 2, v[15:16]
	v_sub_co_u32 v15, vcc_lo, s14, v15
	v_sub_co_ci_u32_e64 v16, null, s15, v16, vcc_lo
	s_waitcnt lgkmcnt(0)
	global_store_dword v[15:16], v17, off offset:-4
.LBB1387_158:
	s_andn2_saveexec_b32 s2, s2
	s_cbranch_execz .LBB1387_160
; %bb.159:
	v_lshlrev_b32_e32 v15, 2, v0
	v_readfirstlane_b32 s6, v9
	v_readfirstlane_b32 s7, v10
	ds_read_b32 v16, v15
	s_waitcnt lgkmcnt(0)
	global_store_dword v15, v16, s[6:7]
.LBB1387_160:
	s_or_b32 exec_lo, exec_lo, s2
.LBB1387_161:
	s_andn2_saveexec_b32 s1, s1
	s_cbranch_execz .LBB1387_163
; %bb.162:
	v_lshlrev_b32_e32 v15, 2, v0
	v_readfirstlane_b32 s2, v11
	v_readfirstlane_b32 s3, v12
	ds_read_b32 v16, v15
	s_waitcnt lgkmcnt(0)
	global_store_dword v15, v16, s[2:3]
.LBB1387_163:
	s_or_b32 exec_lo, exec_lo, s1
	v_or_b32_e32 v15, 0x100, v0
	s_mov_b32 s1, exec_lo
	v_cmpx_ge_u32_e64 v15, v5
	s_xor_b32 s1, exec_lo, s1
	s_cbranch_execz .LBB1387_169
; %bb.164:
	s_mov_b32 s2, exec_lo
	v_cmpx_ge_u32_e64 v15, v14
	s_xor_b32 s2, exec_lo, s2
	s_cbranch_execz .LBB1387_166
; %bb.165:
	v_lshlrev_b32_e32 v15, 2, v0
	ds_read_b32 v17, v15 offset:1024
	v_add_co_u32 v15, vcc_lo, v7, v0
	v_add_co_ci_u32_e64 v16, null, 0, v13, vcc_lo
	v_lshlrev_b64 v[15:16], 2, v[15:16]
	v_sub_co_u32 v15, vcc_lo, s14, v15
	v_sub_co_ci_u32_e64 v16, null, s15, v16, vcc_lo
	s_waitcnt lgkmcnt(0)
	global_store_dword v[15:16], v17, off offset:-1028
.LBB1387_166:
	s_andn2_saveexec_b32 s2, s2
	s_cbranch_execz .LBB1387_168
; %bb.167:
	v_lshlrev_b32_e32 v15, 2, v0
	v_readfirstlane_b32 s6, v9
	v_readfirstlane_b32 s7, v10
	ds_read_b32 v16, v15 offset:1024
	s_waitcnt lgkmcnt(0)
	global_store_dword v15, v16, s[6:7] offset:1024
.LBB1387_168:
	s_or_b32 exec_lo, exec_lo, s2
.LBB1387_169:
	s_andn2_saveexec_b32 s1, s1
	s_cbranch_execz .LBB1387_171
; %bb.170:
	v_lshlrev_b32_e32 v15, 2, v0
	v_readfirstlane_b32 s2, v11
	v_readfirstlane_b32 s3, v12
	ds_read_b32 v16, v15 offset:1024
	s_waitcnt lgkmcnt(0)
	global_store_dword v15, v16, s[2:3] offset:1024
.LBB1387_171:
	s_or_b32 exec_lo, exec_lo, s1
	v_or_b32_e32 v15, 0x200, v0
	s_mov_b32 s1, exec_lo
	v_cmpx_ge_u32_e64 v15, v5
	s_xor_b32 s1, exec_lo, s1
	s_cbranch_execz .LBB1387_177
; %bb.172:
	s_mov_b32 s2, exec_lo
	v_cmpx_ge_u32_e64 v15, v14
	s_xor_b32 s2, exec_lo, s2
	s_cbranch_execz .LBB1387_174
; %bb.173:
	v_lshlrev_b32_e32 v17, 2, v0
	v_add_co_u32 v15, vcc_lo, v7, v0
	v_add_co_ci_u32_e64 v16, null, 0, v13, vcc_lo
	ds_read_b32 v17, v17 offset:2048
	v_lshlrev_b64 v[15:16], 2, v[15:16]
	v_sub_co_u32 v15, vcc_lo, s14, v15
	v_sub_co_ci_u32_e64 v16, null, s15, v16, vcc_lo
	v_add_co_u32 v15, vcc_lo, 0xfffff800, v15
	v_add_co_ci_u32_e64 v16, null, -1, v16, vcc_lo
	s_waitcnt lgkmcnt(0)
	global_store_dword v[15:16], v17, off offset:-4
                                        ; implicit-def: $vgpr15
.LBB1387_174:
	s_andn2_saveexec_b32 s2, s2
	s_cbranch_execz .LBB1387_176
; %bb.175:
	v_lshlrev_b32_e32 v16, 2, v0
	v_lshlrev_b32_e32 v15, 2, v15
	v_readfirstlane_b32 s6, v9
	v_readfirstlane_b32 s7, v10
	ds_read_b32 v16, v16 offset:2048
	s_waitcnt lgkmcnt(0)
	global_store_dword v15, v16, s[6:7]
.LBB1387_176:
	s_or_b32 exec_lo, exec_lo, s2
                                        ; implicit-def: $vgpr15
.LBB1387_177:
	s_andn2_saveexec_b32 s1, s1
	s_cbranch_execz .LBB1387_179
; %bb.178:
	v_lshlrev_b32_e32 v16, 2, v0
	v_lshlrev_b32_e32 v15, 2, v15
	v_readfirstlane_b32 s2, v11
	v_readfirstlane_b32 s3, v12
	ds_read_b32 v16, v16 offset:2048
	s_waitcnt lgkmcnt(0)
	global_store_dword v15, v16, s[2:3]
.LBB1387_179:
	s_or_b32 exec_lo, exec_lo, s1
	v_or_b32_e32 v15, 0x300, v0
	s_mov_b32 s1, exec_lo
	v_cmpx_ge_u32_e64 v15, v5
	s_xor_b32 s1, exec_lo, s1
	s_cbranch_execz .LBB1387_185
; %bb.180:
	s_mov_b32 s2, exec_lo
	v_cmpx_ge_u32_e64 v15, v14
	s_xor_b32 s2, exec_lo, s2
	s_cbranch_execz .LBB1387_182
; %bb.181:
	v_lshlrev_b32_e32 v16, 2, v0
	v_add_co_u32 v15, vcc_lo, v7, v15
	ds_read_b32 v17, v16 offset:3072
	v_add_co_ci_u32_e64 v16, null, 0, v13, vcc_lo
	v_lshlrev_b64 v[15:16], 2, v[15:16]
	v_sub_co_u32 v15, vcc_lo, s14, v15
	v_sub_co_ci_u32_e64 v16, null, s15, v16, vcc_lo
	s_waitcnt lgkmcnt(0)
	global_store_dword v[15:16], v17, off offset:-4
                                        ; implicit-def: $vgpr15
.LBB1387_182:
	s_andn2_saveexec_b32 s2, s2
	s_cbranch_execz .LBB1387_184
; %bb.183:
	v_lshlrev_b32_e32 v16, 2, v0
	v_lshlrev_b32_e32 v15, 2, v15
	v_readfirstlane_b32 s6, v9
	v_readfirstlane_b32 s7, v10
	ds_read_b32 v16, v16 offset:3072
	s_waitcnt lgkmcnt(0)
	global_store_dword v15, v16, s[6:7]
.LBB1387_184:
	s_or_b32 exec_lo, exec_lo, s2
                                        ; implicit-def: $vgpr15
.LBB1387_185:
	s_andn2_saveexec_b32 s1, s1
	s_cbranch_execz .LBB1387_187
; %bb.186:
	v_lshlrev_b32_e32 v16, 2, v0
	v_lshlrev_b32_e32 v15, 2, v15
	v_readfirstlane_b32 s2, v11
	v_readfirstlane_b32 s3, v12
	ds_read_b32 v16, v16 offset:3072
	s_waitcnt lgkmcnt(0)
	global_store_dword v15, v16, s[2:3]
.LBB1387_187:
	s_or_b32 exec_lo, exec_lo, s1
	v_or_b32_e32 v15, 0x400, v0
	s_mov_b32 s1, exec_lo
	v_cmpx_ge_u32_e64 v15, v5
	s_xor_b32 s1, exec_lo, s1
	s_cbranch_execz .LBB1387_193
; %bb.188:
	s_mov_b32 s2, exec_lo
	v_cmpx_ge_u32_e64 v15, v14
	s_xor_b32 s2, exec_lo, s2
	s_cbranch_execz .LBB1387_190
; %bb.189:
	v_lshlrev_b32_e32 v16, 2, v0
	v_add_co_u32 v15, vcc_lo, v7, v15
	ds_read_b32 v17, v16 offset:4096
	v_add_co_ci_u32_e64 v16, null, 0, v13, vcc_lo
	v_lshlrev_b64 v[15:16], 2, v[15:16]
	v_sub_co_u32 v15, vcc_lo, s14, v15
	v_sub_co_ci_u32_e64 v16, null, s15, v16, vcc_lo
	s_waitcnt lgkmcnt(0)
	global_store_dword v[15:16], v17, off offset:-4
                                        ; implicit-def: $vgpr15
.LBB1387_190:
	s_andn2_saveexec_b32 s2, s2
	s_cbranch_execz .LBB1387_192
; %bb.191:
	v_lshlrev_b32_e32 v16, 2, v0
	v_lshlrev_b32_e32 v15, 2, v15
	v_readfirstlane_b32 s6, v9
	v_readfirstlane_b32 s7, v10
	ds_read_b32 v16, v16 offset:4096
	s_waitcnt lgkmcnt(0)
	global_store_dword v15, v16, s[6:7]
.LBB1387_192:
	s_or_b32 exec_lo, exec_lo, s2
                                        ; implicit-def: $vgpr15
.LBB1387_193:
	;; [unrolled: 48-line block ×10, first 2 shown]
	s_andn2_saveexec_b32 s1, s1
	s_cbranch_execz .LBB1387_259
; %bb.258:
	v_lshlrev_b32_e32 v16, 2, v0
	v_lshlrev_b32_e32 v15, 2, v15
	v_readfirstlane_b32 s2, v11
	v_readfirstlane_b32 s3, v12
	ds_read_b32 v16, v16 offset:12288
	s_waitcnt lgkmcnt(0)
	global_store_dword v15, v16, s[2:3]
.LBB1387_259:
	s_or_b32 exec_lo, exec_lo, s1
	s_branch .LBB1387_153
.LBB1387_260:
	s_mov_b32 s1, exec_lo
	v_cmpx_gt_u32_e64 s5, v0
	s_cbranch_execz .LBB1387_269
; %bb.261:
	s_mov_b32 s2, exec_lo
	v_cmpx_ge_u32_e64 v0, v5
	s_xor_b32 s2, exec_lo, s2
	s_cbranch_execz .LBB1387_267
; %bb.262:
	s_mov_b32 s3, exec_lo
	v_cmpx_ge_u32_e64 v0, v14
	s_xor_b32 s3, exec_lo, s3
	s_cbranch_execz .LBB1387_264
; %bb.263:
	v_lshlrev_b32_e32 v15, 2, v0
	ds_read_b32 v17, v15
	v_add_co_u32 v15, vcc_lo, v7, v0
	v_add_co_ci_u32_e64 v16, null, 0, v13, vcc_lo
	v_lshlrev_b64 v[15:16], 2, v[15:16]
	v_sub_co_u32 v15, vcc_lo, s14, v15
	v_sub_co_ci_u32_e64 v16, null, s15, v16, vcc_lo
	s_waitcnt lgkmcnt(0)
	global_store_dword v[15:16], v17, off offset:-4
.LBB1387_264:
	s_andn2_saveexec_b32 s3, s3
	s_cbranch_execz .LBB1387_266
; %bb.265:
	v_lshlrev_b32_e32 v15, 2, v0
	v_readfirstlane_b32 s6, v9
	v_readfirstlane_b32 s7, v10
	ds_read_b32 v16, v15
	s_waitcnt lgkmcnt(0)
	global_store_dword v15, v16, s[6:7]
.LBB1387_266:
	s_or_b32 exec_lo, exec_lo, s3
.LBB1387_267:
	s_andn2_saveexec_b32 s2, s2
	s_cbranch_execz .LBB1387_269
; %bb.268:
	v_lshlrev_b32_e32 v15, 2, v0
	v_readfirstlane_b32 s2, v11
	v_readfirstlane_b32 s3, v12
	ds_read_b32 v16, v15
	s_waitcnt lgkmcnt(0)
	global_store_dword v15, v16, s[2:3]
.LBB1387_269:
	s_or_b32 exec_lo, exec_lo, s1
	v_or_b32_e32 v15, 0x100, v0
	s_mov_b32 s1, exec_lo
	v_cmpx_gt_u32_e64 s5, v15
	s_cbranch_execz .LBB1387_278
; %bb.270:
	s_mov_b32 s2, exec_lo
	v_cmpx_ge_u32_e64 v15, v5
	s_xor_b32 s2, exec_lo, s2
	s_cbranch_execz .LBB1387_276
; %bb.271:
	s_mov_b32 s3, exec_lo
	v_cmpx_ge_u32_e64 v15, v14
	s_xor_b32 s3, exec_lo, s3
	s_cbranch_execz .LBB1387_273
; %bb.272:
	v_lshlrev_b32_e32 v15, 2, v0
	ds_read_b32 v17, v15 offset:1024
	v_add_co_u32 v15, vcc_lo, v7, v0
	v_add_co_ci_u32_e64 v16, null, 0, v13, vcc_lo
	v_lshlrev_b64 v[15:16], 2, v[15:16]
	v_sub_co_u32 v15, vcc_lo, s14, v15
	v_sub_co_ci_u32_e64 v16, null, s15, v16, vcc_lo
	s_waitcnt lgkmcnt(0)
	global_store_dword v[15:16], v17, off offset:-1028
.LBB1387_273:
	s_andn2_saveexec_b32 s3, s3
	s_cbranch_execz .LBB1387_275
; %bb.274:
	v_lshlrev_b32_e32 v15, 2, v0
	v_readfirstlane_b32 s6, v9
	v_readfirstlane_b32 s7, v10
	ds_read_b32 v16, v15 offset:1024
	s_waitcnt lgkmcnt(0)
	global_store_dword v15, v16, s[6:7] offset:1024
.LBB1387_275:
	s_or_b32 exec_lo, exec_lo, s3
.LBB1387_276:
	s_andn2_saveexec_b32 s2, s2
	s_cbranch_execz .LBB1387_278
; %bb.277:
	v_lshlrev_b32_e32 v15, 2, v0
	v_readfirstlane_b32 s2, v11
	v_readfirstlane_b32 s3, v12
	ds_read_b32 v16, v15 offset:1024
	s_waitcnt lgkmcnt(0)
	global_store_dword v15, v16, s[2:3] offset:1024
.LBB1387_278:
	s_or_b32 exec_lo, exec_lo, s1
	v_or_b32_e32 v15, 0x200, v0
	s_mov_b32 s1, exec_lo
	v_cmpx_gt_u32_e64 s5, v15
	s_cbranch_execz .LBB1387_287
; %bb.279:
	s_mov_b32 s2, exec_lo
	v_cmpx_ge_u32_e64 v15, v5
	s_xor_b32 s2, exec_lo, s2
	s_cbranch_execz .LBB1387_285
; %bb.280:
	s_mov_b32 s3, exec_lo
	v_cmpx_ge_u32_e64 v15, v14
	s_xor_b32 s3, exec_lo, s3
	s_cbranch_execz .LBB1387_282
; %bb.281:
	v_lshlrev_b32_e32 v17, 2, v0
	v_add_co_u32 v15, vcc_lo, v7, v0
	v_add_co_ci_u32_e64 v16, null, 0, v13, vcc_lo
	ds_read_b32 v17, v17 offset:2048
	v_lshlrev_b64 v[15:16], 2, v[15:16]
	v_sub_co_u32 v15, vcc_lo, s14, v15
	v_sub_co_ci_u32_e64 v16, null, s15, v16, vcc_lo
	v_add_co_u32 v15, vcc_lo, 0xfffff800, v15
	v_add_co_ci_u32_e64 v16, null, -1, v16, vcc_lo
	s_waitcnt lgkmcnt(0)
	global_store_dword v[15:16], v17, off offset:-4
                                        ; implicit-def: $vgpr15
.LBB1387_282:
	s_andn2_saveexec_b32 s3, s3
	s_cbranch_execz .LBB1387_284
; %bb.283:
	v_lshlrev_b32_e32 v16, 2, v0
	v_lshlrev_b32_e32 v15, 2, v15
	v_readfirstlane_b32 s6, v9
	v_readfirstlane_b32 s7, v10
	ds_read_b32 v16, v16 offset:2048
	s_waitcnt lgkmcnt(0)
	global_store_dword v15, v16, s[6:7]
.LBB1387_284:
	s_or_b32 exec_lo, exec_lo, s3
                                        ; implicit-def: $vgpr15
.LBB1387_285:
	s_andn2_saveexec_b32 s2, s2
	s_cbranch_execz .LBB1387_287
; %bb.286:
	v_lshlrev_b32_e32 v16, 2, v0
	v_lshlrev_b32_e32 v15, 2, v15
	v_readfirstlane_b32 s2, v11
	v_readfirstlane_b32 s3, v12
	ds_read_b32 v16, v16 offset:2048
	s_waitcnt lgkmcnt(0)
	global_store_dword v15, v16, s[2:3]
.LBB1387_287:
	s_or_b32 exec_lo, exec_lo, s1
	v_or_b32_e32 v15, 0x300, v0
	s_mov_b32 s1, exec_lo
	v_cmpx_gt_u32_e64 s5, v15
	s_cbranch_execz .LBB1387_296
; %bb.288:
	s_mov_b32 s2, exec_lo
	v_cmpx_ge_u32_e64 v15, v5
	s_xor_b32 s2, exec_lo, s2
	s_cbranch_execz .LBB1387_294
; %bb.289:
	s_mov_b32 s3, exec_lo
	v_cmpx_ge_u32_e64 v15, v14
	s_xor_b32 s3, exec_lo, s3
	s_cbranch_execz .LBB1387_291
; %bb.290:
	v_lshlrev_b32_e32 v16, 2, v0
	v_add_co_u32 v15, vcc_lo, v7, v15
	ds_read_b32 v17, v16 offset:3072
	v_add_co_ci_u32_e64 v16, null, 0, v13, vcc_lo
	v_lshlrev_b64 v[15:16], 2, v[15:16]
	v_sub_co_u32 v15, vcc_lo, s14, v15
	v_sub_co_ci_u32_e64 v16, null, s15, v16, vcc_lo
	s_waitcnt lgkmcnt(0)
	global_store_dword v[15:16], v17, off offset:-4
                                        ; implicit-def: $vgpr15
.LBB1387_291:
	s_andn2_saveexec_b32 s3, s3
	s_cbranch_execz .LBB1387_293
; %bb.292:
	v_lshlrev_b32_e32 v16, 2, v0
	v_lshlrev_b32_e32 v15, 2, v15
	v_readfirstlane_b32 s6, v9
	v_readfirstlane_b32 s7, v10
	ds_read_b32 v16, v16 offset:3072
	s_waitcnt lgkmcnt(0)
	global_store_dword v15, v16, s[6:7]
.LBB1387_293:
	s_or_b32 exec_lo, exec_lo, s3
                                        ; implicit-def: $vgpr15
.LBB1387_294:
	s_andn2_saveexec_b32 s2, s2
	s_cbranch_execz .LBB1387_296
; %bb.295:
	v_lshlrev_b32_e32 v16, 2, v0
	v_lshlrev_b32_e32 v15, 2, v15
	v_readfirstlane_b32 s2, v11
	v_readfirstlane_b32 s3, v12
	ds_read_b32 v16, v16 offset:3072
	s_waitcnt lgkmcnt(0)
	global_store_dword v15, v16, s[2:3]
.LBB1387_296:
	s_or_b32 exec_lo, exec_lo, s1
	v_or_b32_e32 v15, 0x400, v0
	s_mov_b32 s1, exec_lo
	v_cmpx_gt_u32_e64 s5, v15
	s_cbranch_execz .LBB1387_305
; %bb.297:
	s_mov_b32 s2, exec_lo
	v_cmpx_ge_u32_e64 v15, v5
	s_xor_b32 s2, exec_lo, s2
	s_cbranch_execz .LBB1387_303
; %bb.298:
	s_mov_b32 s3, exec_lo
	v_cmpx_ge_u32_e64 v15, v14
	s_xor_b32 s3, exec_lo, s3
	s_cbranch_execz .LBB1387_300
; %bb.299:
	v_lshlrev_b32_e32 v16, 2, v0
	v_add_co_u32 v15, vcc_lo, v7, v15
	ds_read_b32 v17, v16 offset:4096
	v_add_co_ci_u32_e64 v16, null, 0, v13, vcc_lo
	v_lshlrev_b64 v[15:16], 2, v[15:16]
	v_sub_co_u32 v15, vcc_lo, s14, v15
	v_sub_co_ci_u32_e64 v16, null, s15, v16, vcc_lo
	s_waitcnt lgkmcnt(0)
	global_store_dword v[15:16], v17, off offset:-4
                                        ; implicit-def: $vgpr15
.LBB1387_300:
	s_andn2_saveexec_b32 s3, s3
	s_cbranch_execz .LBB1387_302
; %bb.301:
	v_lshlrev_b32_e32 v16, 2, v0
	v_lshlrev_b32_e32 v15, 2, v15
	v_readfirstlane_b32 s6, v9
	v_readfirstlane_b32 s7, v10
	ds_read_b32 v16, v16 offset:4096
	s_waitcnt lgkmcnt(0)
	global_store_dword v15, v16, s[6:7]
.LBB1387_302:
	s_or_b32 exec_lo, exec_lo, s3
                                        ; implicit-def: $vgpr15
.LBB1387_303:
	s_andn2_saveexec_b32 s2, s2
	s_cbranch_execz .LBB1387_305
; %bb.304:
	v_lshlrev_b32_e32 v16, 2, v0
	v_lshlrev_b32_e32 v15, 2, v15
	v_readfirstlane_b32 s2, v11
	v_readfirstlane_b32 s3, v12
	ds_read_b32 v16, v16 offset:4096
	s_waitcnt lgkmcnt(0)
	global_store_dword v15, v16, s[2:3]
.LBB1387_305:
	;; [unrolled: 52-line block ×9, first 2 shown]
	s_or_b32 exec_lo, exec_lo, s1
	v_or_b32_e32 v15, 0xc00, v0
	s_mov_b32 s1, exec_lo
	v_cmpx_gt_u32_e64 s5, v15
	s_cbranch_execz .LBB1387_377
; %bb.369:
	s_mov_b32 s2, exec_lo
	v_cmpx_ge_u32_e64 v15, v5
	s_xor_b32 s2, exec_lo, s2
	s_cbranch_execz .LBB1387_375
; %bb.370:
	s_mov_b32 s3, exec_lo
	v_cmpx_ge_u32_e64 v15, v14
	s_xor_b32 s3, exec_lo, s3
	s_cbranch_execz .LBB1387_372
; %bb.371:
	v_lshlrev_b32_e32 v0, 2, v0
	v_add_co_u32 v9, vcc_lo, v7, v15
	v_add_co_ci_u32_e64 v10, null, 0, v13, vcc_lo
	ds_read_b32 v0, v0 offset:12288
                                        ; implicit-def: $vgpr15
	v_lshlrev_b64 v[9:10], 2, v[9:10]
	v_sub_co_u32 v9, vcc_lo, s14, v9
	v_sub_co_ci_u32_e64 v10, null, s15, v10, vcc_lo
	s_waitcnt lgkmcnt(0)
	global_store_dword v[9:10], v0, off offset:-4
                                        ; implicit-def: $vgpr0
                                        ; implicit-def: $vgpr9_vgpr10
.LBB1387_372:
	s_andn2_saveexec_b32 s3, s3
	s_cbranch_execz .LBB1387_374
; %bb.373:
	v_lshlrev_b32_e32 v0, 2, v0
	v_lshlrev_b32_e32 v7, 2, v15
	v_readfirstlane_b32 s4, v9
	v_readfirstlane_b32 s5, v10
	ds_read_b32 v0, v0 offset:12288
	s_waitcnt lgkmcnt(0)
	global_store_dword v7, v0, s[4:5]
.LBB1387_374:
	s_or_b32 exec_lo, exec_lo, s3
                                        ; implicit-def: $vgpr0
                                        ; implicit-def: $vgpr15
                                        ; implicit-def: $vgpr11_vgpr12
.LBB1387_375:
	s_andn2_saveexec_b32 s2, s2
	s_cbranch_execz .LBB1387_377
; %bb.376:
	v_lshlrev_b32_e32 v0, 2, v0
	v_lshlrev_b32_e32 v7, 2, v15
	v_readfirstlane_b32 s2, v11
	v_readfirstlane_b32 s3, v12
	ds_read_b32 v0, v0 offset:12288
	s_waitcnt lgkmcnt(0)
	global_store_dword v7, v0, s[2:3]
.LBB1387_377:
	s_or_b32 exec_lo, exec_lo, s1
	s_and_b32 s0, s0, s26
	s_and_saveexec_b32 s1, s0
	s_cbranch_execz .LBB1387_154
.LBB1387_378:
	v_add_co_u32 v0, vcc_lo, v3, v6
	v_add_co_ci_u32_e64 v4, null, 0, v4, vcc_lo
	v_mov_b32_e32 v6, 0
	v_add_co_u32 v3, vcc_lo, v0, v8
	v_add_co_ci_u32_e64 v4, null, 0, v4, vcc_lo
	v_add_co_u32 v1, vcc_lo, v1, v5
	v_add_co_ci_u32_e64 v2, null, 0, v2, vcc_lo
	global_store_dwordx4 v6, v[1:4], s[24:25]
	s_endpgm
.LBB1387_379:
	s_add_i32 s8, s27, 32
	s_mov_b32 s9, 0
	v_add_nc_u32_e32 v10, v8, v6
	s_lshl_b64 s[8:9], s[8:9], 4
	v_add_nc_u32_e32 v9, v7, v5
	s_add_u32 s8, s36, s8
	s_addc_u32 s9, s37, s9
	v_mov_b32_e32 v11, 2
	v_mov_b32_e32 v28, s9
	;; [unrolled: 1-line block ×4, first 2 shown]
	;;#ASMSTART
	global_store_dwordx4 v[27:28], v[9:12] off	
s_waitcnt vmcnt(0)
	;;#ASMEND
	s_or_b32 exec_lo, exec_lo, s6
	s_and_saveexec_b32 s6, s3
	s_cbranch_execz .LBB1387_139
.LBB1387_380:
	v_mov_b32_e32 v9, 0
	ds_write_b128 v9, v[5:8] offset:13312
	s_or_b32 exec_lo, exec_lo, s6
	s_and_b32 exec_lo, exec_lo, s0
	s_cbranch_execnz .LBB1387_140
	s_branch .LBB1387_141
	.section	.rodata,"a",@progbits
	.p2align	6, 0x0
	.amdhsa_kernel _ZN7rocprim17ROCPRIM_400000_NS6detail17trampoline_kernelINS0_13select_configILj256ELj13ELNS0_17block_load_methodE3ELS4_3ELS4_3ELNS0_20block_scan_algorithmE0ELj4294967295EEENS1_25partition_config_selectorILNS1_17partition_subalgoE4EjNS0_10empty_typeEbEEZZNS1_14partition_implILS8_4ELb0ES6_15HIP_vector_typeIjLj2EENS0_17counting_iteratorIjlEEPS9_SG_NS0_5tupleIJPjSI_NS0_16reverse_iteratorISI_EEEEENSH_IJSG_SG_SG_EEES9_SI_JZNS1_25segmented_radix_sort_implINS0_14default_configELb0EPKfPfPKlPlN2at6native12_GLOBAL__N_18offset_tEEE10hipError_tPvRmT1_PNSt15iterator_traitsIS12_E10value_typeET2_T3_PNS13_IS18_E10value_typeET4_jRbjT5_S1E_jjP12ihipStream_tbEUljE_ZNSN_ISO_Lb0ESQ_SR_ST_SU_SY_EESZ_S10_S11_S12_S16_S17_S18_S1B_S1C_jS1D_jS1E_S1E_jjS1G_bEUljE0_EEESZ_S10_S11_S18_S1C_S1E_T6_T7_T9_mT8_S1G_bDpT10_ENKUlT_T0_E_clISt17integral_constantIbLb0EES1T_IbLb1EEEEDaS1P_S1Q_EUlS1P_E_NS1_11comp_targetILNS1_3genE8ELNS1_11target_archE1030ELNS1_3gpuE2ELNS1_3repE0EEENS1_30default_config_static_selectorELNS0_4arch9wavefront6targetE0EEEvS12_
		.amdhsa_group_segment_fixed_size 13328
		.amdhsa_private_segment_fixed_size 0
		.amdhsa_kernarg_size 184
		.amdhsa_user_sgpr_count 6
		.amdhsa_user_sgpr_private_segment_buffer 1
		.amdhsa_user_sgpr_dispatch_ptr 0
		.amdhsa_user_sgpr_queue_ptr 0
		.amdhsa_user_sgpr_kernarg_segment_ptr 1
		.amdhsa_user_sgpr_dispatch_id 0
		.amdhsa_user_sgpr_flat_scratch_init 0
		.amdhsa_user_sgpr_private_segment_size 0
		.amdhsa_wavefront_size32 1
		.amdhsa_uses_dynamic_stack 0
		.amdhsa_system_sgpr_private_segment_wavefront_offset 0
		.amdhsa_system_sgpr_workgroup_id_x 1
		.amdhsa_system_sgpr_workgroup_id_y 0
		.amdhsa_system_sgpr_workgroup_id_z 0
		.amdhsa_system_sgpr_workgroup_info 0
		.amdhsa_system_vgpr_workitem_id 0
		.amdhsa_next_free_vgpr 87
		.amdhsa_next_free_sgpr 55
		.amdhsa_reserve_vcc 1
		.amdhsa_reserve_flat_scratch 0
		.amdhsa_float_round_mode_32 0
		.amdhsa_float_round_mode_16_64 0
		.amdhsa_float_denorm_mode_32 3
		.amdhsa_float_denorm_mode_16_64 3
		.amdhsa_dx10_clamp 1
		.amdhsa_ieee_mode 1
		.amdhsa_fp16_overflow 0
		.amdhsa_workgroup_processor_mode 1
		.amdhsa_memory_ordered 1
		.amdhsa_forward_progress 1
		.amdhsa_shared_vgpr_count 0
		.amdhsa_exception_fp_ieee_invalid_op 0
		.amdhsa_exception_fp_denorm_src 0
		.amdhsa_exception_fp_ieee_div_zero 0
		.amdhsa_exception_fp_ieee_overflow 0
		.amdhsa_exception_fp_ieee_underflow 0
		.amdhsa_exception_fp_ieee_inexact 0
		.amdhsa_exception_int_div_zero 0
	.end_amdhsa_kernel
	.section	.text._ZN7rocprim17ROCPRIM_400000_NS6detail17trampoline_kernelINS0_13select_configILj256ELj13ELNS0_17block_load_methodE3ELS4_3ELS4_3ELNS0_20block_scan_algorithmE0ELj4294967295EEENS1_25partition_config_selectorILNS1_17partition_subalgoE4EjNS0_10empty_typeEbEEZZNS1_14partition_implILS8_4ELb0ES6_15HIP_vector_typeIjLj2EENS0_17counting_iteratorIjlEEPS9_SG_NS0_5tupleIJPjSI_NS0_16reverse_iteratorISI_EEEEENSH_IJSG_SG_SG_EEES9_SI_JZNS1_25segmented_radix_sort_implINS0_14default_configELb0EPKfPfPKlPlN2at6native12_GLOBAL__N_18offset_tEEE10hipError_tPvRmT1_PNSt15iterator_traitsIS12_E10value_typeET2_T3_PNS13_IS18_E10value_typeET4_jRbjT5_S1E_jjP12ihipStream_tbEUljE_ZNSN_ISO_Lb0ESQ_SR_ST_SU_SY_EESZ_S10_S11_S12_S16_S17_S18_S1B_S1C_jS1D_jS1E_S1E_jjS1G_bEUljE0_EEESZ_S10_S11_S18_S1C_S1E_T6_T7_T9_mT8_S1G_bDpT10_ENKUlT_T0_E_clISt17integral_constantIbLb0EES1T_IbLb1EEEEDaS1P_S1Q_EUlS1P_E_NS1_11comp_targetILNS1_3genE8ELNS1_11target_archE1030ELNS1_3gpuE2ELNS1_3repE0EEENS1_30default_config_static_selectorELNS0_4arch9wavefront6targetE0EEEvS12_,"axG",@progbits,_ZN7rocprim17ROCPRIM_400000_NS6detail17trampoline_kernelINS0_13select_configILj256ELj13ELNS0_17block_load_methodE3ELS4_3ELS4_3ELNS0_20block_scan_algorithmE0ELj4294967295EEENS1_25partition_config_selectorILNS1_17partition_subalgoE4EjNS0_10empty_typeEbEEZZNS1_14partition_implILS8_4ELb0ES6_15HIP_vector_typeIjLj2EENS0_17counting_iteratorIjlEEPS9_SG_NS0_5tupleIJPjSI_NS0_16reverse_iteratorISI_EEEEENSH_IJSG_SG_SG_EEES9_SI_JZNS1_25segmented_radix_sort_implINS0_14default_configELb0EPKfPfPKlPlN2at6native12_GLOBAL__N_18offset_tEEE10hipError_tPvRmT1_PNSt15iterator_traitsIS12_E10value_typeET2_T3_PNS13_IS18_E10value_typeET4_jRbjT5_S1E_jjP12ihipStream_tbEUljE_ZNSN_ISO_Lb0ESQ_SR_ST_SU_SY_EESZ_S10_S11_S12_S16_S17_S18_S1B_S1C_jS1D_jS1E_S1E_jjS1G_bEUljE0_EEESZ_S10_S11_S18_S1C_S1E_T6_T7_T9_mT8_S1G_bDpT10_ENKUlT_T0_E_clISt17integral_constantIbLb0EES1T_IbLb1EEEEDaS1P_S1Q_EUlS1P_E_NS1_11comp_targetILNS1_3genE8ELNS1_11target_archE1030ELNS1_3gpuE2ELNS1_3repE0EEENS1_30default_config_static_selectorELNS0_4arch9wavefront6targetE0EEEvS12_,comdat
.Lfunc_end1387:
	.size	_ZN7rocprim17ROCPRIM_400000_NS6detail17trampoline_kernelINS0_13select_configILj256ELj13ELNS0_17block_load_methodE3ELS4_3ELS4_3ELNS0_20block_scan_algorithmE0ELj4294967295EEENS1_25partition_config_selectorILNS1_17partition_subalgoE4EjNS0_10empty_typeEbEEZZNS1_14partition_implILS8_4ELb0ES6_15HIP_vector_typeIjLj2EENS0_17counting_iteratorIjlEEPS9_SG_NS0_5tupleIJPjSI_NS0_16reverse_iteratorISI_EEEEENSH_IJSG_SG_SG_EEES9_SI_JZNS1_25segmented_radix_sort_implINS0_14default_configELb0EPKfPfPKlPlN2at6native12_GLOBAL__N_18offset_tEEE10hipError_tPvRmT1_PNSt15iterator_traitsIS12_E10value_typeET2_T3_PNS13_IS18_E10value_typeET4_jRbjT5_S1E_jjP12ihipStream_tbEUljE_ZNSN_ISO_Lb0ESQ_SR_ST_SU_SY_EESZ_S10_S11_S12_S16_S17_S18_S1B_S1C_jS1D_jS1E_S1E_jjS1G_bEUljE0_EEESZ_S10_S11_S18_S1C_S1E_T6_T7_T9_mT8_S1G_bDpT10_ENKUlT_T0_E_clISt17integral_constantIbLb0EES1T_IbLb1EEEEDaS1P_S1Q_EUlS1P_E_NS1_11comp_targetILNS1_3genE8ELNS1_11target_archE1030ELNS1_3gpuE2ELNS1_3repE0EEENS1_30default_config_static_selectorELNS0_4arch9wavefront6targetE0EEEvS12_, .Lfunc_end1387-_ZN7rocprim17ROCPRIM_400000_NS6detail17trampoline_kernelINS0_13select_configILj256ELj13ELNS0_17block_load_methodE3ELS4_3ELS4_3ELNS0_20block_scan_algorithmE0ELj4294967295EEENS1_25partition_config_selectorILNS1_17partition_subalgoE4EjNS0_10empty_typeEbEEZZNS1_14partition_implILS8_4ELb0ES6_15HIP_vector_typeIjLj2EENS0_17counting_iteratorIjlEEPS9_SG_NS0_5tupleIJPjSI_NS0_16reverse_iteratorISI_EEEEENSH_IJSG_SG_SG_EEES9_SI_JZNS1_25segmented_radix_sort_implINS0_14default_configELb0EPKfPfPKlPlN2at6native12_GLOBAL__N_18offset_tEEE10hipError_tPvRmT1_PNSt15iterator_traitsIS12_E10value_typeET2_T3_PNS13_IS18_E10value_typeET4_jRbjT5_S1E_jjP12ihipStream_tbEUljE_ZNSN_ISO_Lb0ESQ_SR_ST_SU_SY_EESZ_S10_S11_S12_S16_S17_S18_S1B_S1C_jS1D_jS1E_S1E_jjS1G_bEUljE0_EEESZ_S10_S11_S18_S1C_S1E_T6_T7_T9_mT8_S1G_bDpT10_ENKUlT_T0_E_clISt17integral_constantIbLb0EES1T_IbLb1EEEEDaS1P_S1Q_EUlS1P_E_NS1_11comp_targetILNS1_3genE8ELNS1_11target_archE1030ELNS1_3gpuE2ELNS1_3repE0EEENS1_30default_config_static_selectorELNS0_4arch9wavefront6targetE0EEEvS12_
                                        ; -- End function
	.set _ZN7rocprim17ROCPRIM_400000_NS6detail17trampoline_kernelINS0_13select_configILj256ELj13ELNS0_17block_load_methodE3ELS4_3ELS4_3ELNS0_20block_scan_algorithmE0ELj4294967295EEENS1_25partition_config_selectorILNS1_17partition_subalgoE4EjNS0_10empty_typeEbEEZZNS1_14partition_implILS8_4ELb0ES6_15HIP_vector_typeIjLj2EENS0_17counting_iteratorIjlEEPS9_SG_NS0_5tupleIJPjSI_NS0_16reverse_iteratorISI_EEEEENSH_IJSG_SG_SG_EEES9_SI_JZNS1_25segmented_radix_sort_implINS0_14default_configELb0EPKfPfPKlPlN2at6native12_GLOBAL__N_18offset_tEEE10hipError_tPvRmT1_PNSt15iterator_traitsIS12_E10value_typeET2_T3_PNS13_IS18_E10value_typeET4_jRbjT5_S1E_jjP12ihipStream_tbEUljE_ZNSN_ISO_Lb0ESQ_SR_ST_SU_SY_EESZ_S10_S11_S12_S16_S17_S18_S1B_S1C_jS1D_jS1E_S1E_jjS1G_bEUljE0_EEESZ_S10_S11_S18_S1C_S1E_T6_T7_T9_mT8_S1G_bDpT10_ENKUlT_T0_E_clISt17integral_constantIbLb0EES1T_IbLb1EEEEDaS1P_S1Q_EUlS1P_E_NS1_11comp_targetILNS1_3genE8ELNS1_11target_archE1030ELNS1_3gpuE2ELNS1_3repE0EEENS1_30default_config_static_selectorELNS0_4arch9wavefront6targetE0EEEvS12_.num_vgpr, 87
	.set _ZN7rocprim17ROCPRIM_400000_NS6detail17trampoline_kernelINS0_13select_configILj256ELj13ELNS0_17block_load_methodE3ELS4_3ELS4_3ELNS0_20block_scan_algorithmE0ELj4294967295EEENS1_25partition_config_selectorILNS1_17partition_subalgoE4EjNS0_10empty_typeEbEEZZNS1_14partition_implILS8_4ELb0ES6_15HIP_vector_typeIjLj2EENS0_17counting_iteratorIjlEEPS9_SG_NS0_5tupleIJPjSI_NS0_16reverse_iteratorISI_EEEEENSH_IJSG_SG_SG_EEES9_SI_JZNS1_25segmented_radix_sort_implINS0_14default_configELb0EPKfPfPKlPlN2at6native12_GLOBAL__N_18offset_tEEE10hipError_tPvRmT1_PNSt15iterator_traitsIS12_E10value_typeET2_T3_PNS13_IS18_E10value_typeET4_jRbjT5_S1E_jjP12ihipStream_tbEUljE_ZNSN_ISO_Lb0ESQ_SR_ST_SU_SY_EESZ_S10_S11_S12_S16_S17_S18_S1B_S1C_jS1D_jS1E_S1E_jjS1G_bEUljE0_EEESZ_S10_S11_S18_S1C_S1E_T6_T7_T9_mT8_S1G_bDpT10_ENKUlT_T0_E_clISt17integral_constantIbLb0EES1T_IbLb1EEEEDaS1P_S1Q_EUlS1P_E_NS1_11comp_targetILNS1_3genE8ELNS1_11target_archE1030ELNS1_3gpuE2ELNS1_3repE0EEENS1_30default_config_static_selectorELNS0_4arch9wavefront6targetE0EEEvS12_.num_agpr, 0
	.set _ZN7rocprim17ROCPRIM_400000_NS6detail17trampoline_kernelINS0_13select_configILj256ELj13ELNS0_17block_load_methodE3ELS4_3ELS4_3ELNS0_20block_scan_algorithmE0ELj4294967295EEENS1_25partition_config_selectorILNS1_17partition_subalgoE4EjNS0_10empty_typeEbEEZZNS1_14partition_implILS8_4ELb0ES6_15HIP_vector_typeIjLj2EENS0_17counting_iteratorIjlEEPS9_SG_NS0_5tupleIJPjSI_NS0_16reverse_iteratorISI_EEEEENSH_IJSG_SG_SG_EEES9_SI_JZNS1_25segmented_radix_sort_implINS0_14default_configELb0EPKfPfPKlPlN2at6native12_GLOBAL__N_18offset_tEEE10hipError_tPvRmT1_PNSt15iterator_traitsIS12_E10value_typeET2_T3_PNS13_IS18_E10value_typeET4_jRbjT5_S1E_jjP12ihipStream_tbEUljE_ZNSN_ISO_Lb0ESQ_SR_ST_SU_SY_EESZ_S10_S11_S12_S16_S17_S18_S1B_S1C_jS1D_jS1E_S1E_jjS1G_bEUljE0_EEESZ_S10_S11_S18_S1C_S1E_T6_T7_T9_mT8_S1G_bDpT10_ENKUlT_T0_E_clISt17integral_constantIbLb0EES1T_IbLb1EEEEDaS1P_S1Q_EUlS1P_E_NS1_11comp_targetILNS1_3genE8ELNS1_11target_archE1030ELNS1_3gpuE2ELNS1_3repE0EEENS1_30default_config_static_selectorELNS0_4arch9wavefront6targetE0EEEvS12_.numbered_sgpr, 55
	.set _ZN7rocprim17ROCPRIM_400000_NS6detail17trampoline_kernelINS0_13select_configILj256ELj13ELNS0_17block_load_methodE3ELS4_3ELS4_3ELNS0_20block_scan_algorithmE0ELj4294967295EEENS1_25partition_config_selectorILNS1_17partition_subalgoE4EjNS0_10empty_typeEbEEZZNS1_14partition_implILS8_4ELb0ES6_15HIP_vector_typeIjLj2EENS0_17counting_iteratorIjlEEPS9_SG_NS0_5tupleIJPjSI_NS0_16reverse_iteratorISI_EEEEENSH_IJSG_SG_SG_EEES9_SI_JZNS1_25segmented_radix_sort_implINS0_14default_configELb0EPKfPfPKlPlN2at6native12_GLOBAL__N_18offset_tEEE10hipError_tPvRmT1_PNSt15iterator_traitsIS12_E10value_typeET2_T3_PNS13_IS18_E10value_typeET4_jRbjT5_S1E_jjP12ihipStream_tbEUljE_ZNSN_ISO_Lb0ESQ_SR_ST_SU_SY_EESZ_S10_S11_S12_S16_S17_S18_S1B_S1C_jS1D_jS1E_S1E_jjS1G_bEUljE0_EEESZ_S10_S11_S18_S1C_S1E_T6_T7_T9_mT8_S1G_bDpT10_ENKUlT_T0_E_clISt17integral_constantIbLb0EES1T_IbLb1EEEEDaS1P_S1Q_EUlS1P_E_NS1_11comp_targetILNS1_3genE8ELNS1_11target_archE1030ELNS1_3gpuE2ELNS1_3repE0EEENS1_30default_config_static_selectorELNS0_4arch9wavefront6targetE0EEEvS12_.num_named_barrier, 0
	.set _ZN7rocprim17ROCPRIM_400000_NS6detail17trampoline_kernelINS0_13select_configILj256ELj13ELNS0_17block_load_methodE3ELS4_3ELS4_3ELNS0_20block_scan_algorithmE0ELj4294967295EEENS1_25partition_config_selectorILNS1_17partition_subalgoE4EjNS0_10empty_typeEbEEZZNS1_14partition_implILS8_4ELb0ES6_15HIP_vector_typeIjLj2EENS0_17counting_iteratorIjlEEPS9_SG_NS0_5tupleIJPjSI_NS0_16reverse_iteratorISI_EEEEENSH_IJSG_SG_SG_EEES9_SI_JZNS1_25segmented_radix_sort_implINS0_14default_configELb0EPKfPfPKlPlN2at6native12_GLOBAL__N_18offset_tEEE10hipError_tPvRmT1_PNSt15iterator_traitsIS12_E10value_typeET2_T3_PNS13_IS18_E10value_typeET4_jRbjT5_S1E_jjP12ihipStream_tbEUljE_ZNSN_ISO_Lb0ESQ_SR_ST_SU_SY_EESZ_S10_S11_S12_S16_S17_S18_S1B_S1C_jS1D_jS1E_S1E_jjS1G_bEUljE0_EEESZ_S10_S11_S18_S1C_S1E_T6_T7_T9_mT8_S1G_bDpT10_ENKUlT_T0_E_clISt17integral_constantIbLb0EES1T_IbLb1EEEEDaS1P_S1Q_EUlS1P_E_NS1_11comp_targetILNS1_3genE8ELNS1_11target_archE1030ELNS1_3gpuE2ELNS1_3repE0EEENS1_30default_config_static_selectorELNS0_4arch9wavefront6targetE0EEEvS12_.private_seg_size, 0
	.set _ZN7rocprim17ROCPRIM_400000_NS6detail17trampoline_kernelINS0_13select_configILj256ELj13ELNS0_17block_load_methodE3ELS4_3ELS4_3ELNS0_20block_scan_algorithmE0ELj4294967295EEENS1_25partition_config_selectorILNS1_17partition_subalgoE4EjNS0_10empty_typeEbEEZZNS1_14partition_implILS8_4ELb0ES6_15HIP_vector_typeIjLj2EENS0_17counting_iteratorIjlEEPS9_SG_NS0_5tupleIJPjSI_NS0_16reverse_iteratorISI_EEEEENSH_IJSG_SG_SG_EEES9_SI_JZNS1_25segmented_radix_sort_implINS0_14default_configELb0EPKfPfPKlPlN2at6native12_GLOBAL__N_18offset_tEEE10hipError_tPvRmT1_PNSt15iterator_traitsIS12_E10value_typeET2_T3_PNS13_IS18_E10value_typeET4_jRbjT5_S1E_jjP12ihipStream_tbEUljE_ZNSN_ISO_Lb0ESQ_SR_ST_SU_SY_EESZ_S10_S11_S12_S16_S17_S18_S1B_S1C_jS1D_jS1E_S1E_jjS1G_bEUljE0_EEESZ_S10_S11_S18_S1C_S1E_T6_T7_T9_mT8_S1G_bDpT10_ENKUlT_T0_E_clISt17integral_constantIbLb0EES1T_IbLb1EEEEDaS1P_S1Q_EUlS1P_E_NS1_11comp_targetILNS1_3genE8ELNS1_11target_archE1030ELNS1_3gpuE2ELNS1_3repE0EEENS1_30default_config_static_selectorELNS0_4arch9wavefront6targetE0EEEvS12_.uses_vcc, 1
	.set _ZN7rocprim17ROCPRIM_400000_NS6detail17trampoline_kernelINS0_13select_configILj256ELj13ELNS0_17block_load_methodE3ELS4_3ELS4_3ELNS0_20block_scan_algorithmE0ELj4294967295EEENS1_25partition_config_selectorILNS1_17partition_subalgoE4EjNS0_10empty_typeEbEEZZNS1_14partition_implILS8_4ELb0ES6_15HIP_vector_typeIjLj2EENS0_17counting_iteratorIjlEEPS9_SG_NS0_5tupleIJPjSI_NS0_16reverse_iteratorISI_EEEEENSH_IJSG_SG_SG_EEES9_SI_JZNS1_25segmented_radix_sort_implINS0_14default_configELb0EPKfPfPKlPlN2at6native12_GLOBAL__N_18offset_tEEE10hipError_tPvRmT1_PNSt15iterator_traitsIS12_E10value_typeET2_T3_PNS13_IS18_E10value_typeET4_jRbjT5_S1E_jjP12ihipStream_tbEUljE_ZNSN_ISO_Lb0ESQ_SR_ST_SU_SY_EESZ_S10_S11_S12_S16_S17_S18_S1B_S1C_jS1D_jS1E_S1E_jjS1G_bEUljE0_EEESZ_S10_S11_S18_S1C_S1E_T6_T7_T9_mT8_S1G_bDpT10_ENKUlT_T0_E_clISt17integral_constantIbLb0EES1T_IbLb1EEEEDaS1P_S1Q_EUlS1P_E_NS1_11comp_targetILNS1_3genE8ELNS1_11target_archE1030ELNS1_3gpuE2ELNS1_3repE0EEENS1_30default_config_static_selectorELNS0_4arch9wavefront6targetE0EEEvS12_.uses_flat_scratch, 0
	.set _ZN7rocprim17ROCPRIM_400000_NS6detail17trampoline_kernelINS0_13select_configILj256ELj13ELNS0_17block_load_methodE3ELS4_3ELS4_3ELNS0_20block_scan_algorithmE0ELj4294967295EEENS1_25partition_config_selectorILNS1_17partition_subalgoE4EjNS0_10empty_typeEbEEZZNS1_14partition_implILS8_4ELb0ES6_15HIP_vector_typeIjLj2EENS0_17counting_iteratorIjlEEPS9_SG_NS0_5tupleIJPjSI_NS0_16reverse_iteratorISI_EEEEENSH_IJSG_SG_SG_EEES9_SI_JZNS1_25segmented_radix_sort_implINS0_14default_configELb0EPKfPfPKlPlN2at6native12_GLOBAL__N_18offset_tEEE10hipError_tPvRmT1_PNSt15iterator_traitsIS12_E10value_typeET2_T3_PNS13_IS18_E10value_typeET4_jRbjT5_S1E_jjP12ihipStream_tbEUljE_ZNSN_ISO_Lb0ESQ_SR_ST_SU_SY_EESZ_S10_S11_S12_S16_S17_S18_S1B_S1C_jS1D_jS1E_S1E_jjS1G_bEUljE0_EEESZ_S10_S11_S18_S1C_S1E_T6_T7_T9_mT8_S1G_bDpT10_ENKUlT_T0_E_clISt17integral_constantIbLb0EES1T_IbLb1EEEEDaS1P_S1Q_EUlS1P_E_NS1_11comp_targetILNS1_3genE8ELNS1_11target_archE1030ELNS1_3gpuE2ELNS1_3repE0EEENS1_30default_config_static_selectorELNS0_4arch9wavefront6targetE0EEEvS12_.has_dyn_sized_stack, 0
	.set _ZN7rocprim17ROCPRIM_400000_NS6detail17trampoline_kernelINS0_13select_configILj256ELj13ELNS0_17block_load_methodE3ELS4_3ELS4_3ELNS0_20block_scan_algorithmE0ELj4294967295EEENS1_25partition_config_selectorILNS1_17partition_subalgoE4EjNS0_10empty_typeEbEEZZNS1_14partition_implILS8_4ELb0ES6_15HIP_vector_typeIjLj2EENS0_17counting_iteratorIjlEEPS9_SG_NS0_5tupleIJPjSI_NS0_16reverse_iteratorISI_EEEEENSH_IJSG_SG_SG_EEES9_SI_JZNS1_25segmented_radix_sort_implINS0_14default_configELb0EPKfPfPKlPlN2at6native12_GLOBAL__N_18offset_tEEE10hipError_tPvRmT1_PNSt15iterator_traitsIS12_E10value_typeET2_T3_PNS13_IS18_E10value_typeET4_jRbjT5_S1E_jjP12ihipStream_tbEUljE_ZNSN_ISO_Lb0ESQ_SR_ST_SU_SY_EESZ_S10_S11_S12_S16_S17_S18_S1B_S1C_jS1D_jS1E_S1E_jjS1G_bEUljE0_EEESZ_S10_S11_S18_S1C_S1E_T6_T7_T9_mT8_S1G_bDpT10_ENKUlT_T0_E_clISt17integral_constantIbLb0EES1T_IbLb1EEEEDaS1P_S1Q_EUlS1P_E_NS1_11comp_targetILNS1_3genE8ELNS1_11target_archE1030ELNS1_3gpuE2ELNS1_3repE0EEENS1_30default_config_static_selectorELNS0_4arch9wavefront6targetE0EEEvS12_.has_recursion, 0
	.set _ZN7rocprim17ROCPRIM_400000_NS6detail17trampoline_kernelINS0_13select_configILj256ELj13ELNS0_17block_load_methodE3ELS4_3ELS4_3ELNS0_20block_scan_algorithmE0ELj4294967295EEENS1_25partition_config_selectorILNS1_17partition_subalgoE4EjNS0_10empty_typeEbEEZZNS1_14partition_implILS8_4ELb0ES6_15HIP_vector_typeIjLj2EENS0_17counting_iteratorIjlEEPS9_SG_NS0_5tupleIJPjSI_NS0_16reverse_iteratorISI_EEEEENSH_IJSG_SG_SG_EEES9_SI_JZNS1_25segmented_radix_sort_implINS0_14default_configELb0EPKfPfPKlPlN2at6native12_GLOBAL__N_18offset_tEEE10hipError_tPvRmT1_PNSt15iterator_traitsIS12_E10value_typeET2_T3_PNS13_IS18_E10value_typeET4_jRbjT5_S1E_jjP12ihipStream_tbEUljE_ZNSN_ISO_Lb0ESQ_SR_ST_SU_SY_EESZ_S10_S11_S12_S16_S17_S18_S1B_S1C_jS1D_jS1E_S1E_jjS1G_bEUljE0_EEESZ_S10_S11_S18_S1C_S1E_T6_T7_T9_mT8_S1G_bDpT10_ENKUlT_T0_E_clISt17integral_constantIbLb0EES1T_IbLb1EEEEDaS1P_S1Q_EUlS1P_E_NS1_11comp_targetILNS1_3genE8ELNS1_11target_archE1030ELNS1_3gpuE2ELNS1_3repE0EEENS1_30default_config_static_selectorELNS0_4arch9wavefront6targetE0EEEvS12_.has_indirect_call, 0
	.section	.AMDGPU.csdata,"",@progbits
; Kernel info:
; codeLenInByte = 16368
; TotalNumSgprs: 57
; NumVgprs: 87
; ScratchSize: 0
; MemoryBound: 0
; FloatMode: 240
; IeeeMode: 1
; LDSByteSize: 13328 bytes/workgroup (compile time only)
; SGPRBlocks: 0
; VGPRBlocks: 10
; NumSGPRsForWavesPerEU: 57
; NumVGPRsForWavesPerEU: 87
; Occupancy: 10
; WaveLimiterHint : 1
; COMPUTE_PGM_RSRC2:SCRATCH_EN: 0
; COMPUTE_PGM_RSRC2:USER_SGPR: 6
; COMPUTE_PGM_RSRC2:TRAP_HANDLER: 0
; COMPUTE_PGM_RSRC2:TGID_X_EN: 1
; COMPUTE_PGM_RSRC2:TGID_Y_EN: 0
; COMPUTE_PGM_RSRC2:TGID_Z_EN: 0
; COMPUTE_PGM_RSRC2:TIDIG_COMP_CNT: 0
	.section	.text._ZN7rocprim17ROCPRIM_400000_NS6detail17trampoline_kernelINS0_13select_configILj256ELj13ELNS0_17block_load_methodE3ELS4_3ELS4_3ELNS0_20block_scan_algorithmE0ELj4294967295EEENS1_25partition_config_selectorILNS1_17partition_subalgoE3EjNS0_10empty_typeEbEEZZNS1_14partition_implILS8_3ELb0ES6_jNS0_17counting_iteratorIjlEEPS9_SE_NS0_5tupleIJPjSE_EEENSF_IJSE_SE_EEES9_SG_JZNS1_25segmented_radix_sort_implINS0_14default_configELb0EPKfPfPKlPlN2at6native12_GLOBAL__N_18offset_tEEE10hipError_tPvRmT1_PNSt15iterator_traitsISY_E10value_typeET2_T3_PNSZ_IS14_E10value_typeET4_jRbjT5_S1A_jjP12ihipStream_tbEUljE_EEESV_SW_SX_S14_S18_S1A_T6_T7_T9_mT8_S1C_bDpT10_ENKUlT_T0_E_clISt17integral_constantIbLb0EES1P_EEDaS1K_S1L_EUlS1K_E_NS1_11comp_targetILNS1_3genE0ELNS1_11target_archE4294967295ELNS1_3gpuE0ELNS1_3repE0EEENS1_30default_config_static_selectorELNS0_4arch9wavefront6targetE0EEEvSY_,"axG",@progbits,_ZN7rocprim17ROCPRIM_400000_NS6detail17trampoline_kernelINS0_13select_configILj256ELj13ELNS0_17block_load_methodE3ELS4_3ELS4_3ELNS0_20block_scan_algorithmE0ELj4294967295EEENS1_25partition_config_selectorILNS1_17partition_subalgoE3EjNS0_10empty_typeEbEEZZNS1_14partition_implILS8_3ELb0ES6_jNS0_17counting_iteratorIjlEEPS9_SE_NS0_5tupleIJPjSE_EEENSF_IJSE_SE_EEES9_SG_JZNS1_25segmented_radix_sort_implINS0_14default_configELb0EPKfPfPKlPlN2at6native12_GLOBAL__N_18offset_tEEE10hipError_tPvRmT1_PNSt15iterator_traitsISY_E10value_typeET2_T3_PNSZ_IS14_E10value_typeET4_jRbjT5_S1A_jjP12ihipStream_tbEUljE_EEESV_SW_SX_S14_S18_S1A_T6_T7_T9_mT8_S1C_bDpT10_ENKUlT_T0_E_clISt17integral_constantIbLb0EES1P_EEDaS1K_S1L_EUlS1K_E_NS1_11comp_targetILNS1_3genE0ELNS1_11target_archE4294967295ELNS1_3gpuE0ELNS1_3repE0EEENS1_30default_config_static_selectorELNS0_4arch9wavefront6targetE0EEEvSY_,comdat
	.globl	_ZN7rocprim17ROCPRIM_400000_NS6detail17trampoline_kernelINS0_13select_configILj256ELj13ELNS0_17block_load_methodE3ELS4_3ELS4_3ELNS0_20block_scan_algorithmE0ELj4294967295EEENS1_25partition_config_selectorILNS1_17partition_subalgoE3EjNS0_10empty_typeEbEEZZNS1_14partition_implILS8_3ELb0ES6_jNS0_17counting_iteratorIjlEEPS9_SE_NS0_5tupleIJPjSE_EEENSF_IJSE_SE_EEES9_SG_JZNS1_25segmented_radix_sort_implINS0_14default_configELb0EPKfPfPKlPlN2at6native12_GLOBAL__N_18offset_tEEE10hipError_tPvRmT1_PNSt15iterator_traitsISY_E10value_typeET2_T3_PNSZ_IS14_E10value_typeET4_jRbjT5_S1A_jjP12ihipStream_tbEUljE_EEESV_SW_SX_S14_S18_S1A_T6_T7_T9_mT8_S1C_bDpT10_ENKUlT_T0_E_clISt17integral_constantIbLb0EES1P_EEDaS1K_S1L_EUlS1K_E_NS1_11comp_targetILNS1_3genE0ELNS1_11target_archE4294967295ELNS1_3gpuE0ELNS1_3repE0EEENS1_30default_config_static_selectorELNS0_4arch9wavefront6targetE0EEEvSY_ ; -- Begin function _ZN7rocprim17ROCPRIM_400000_NS6detail17trampoline_kernelINS0_13select_configILj256ELj13ELNS0_17block_load_methodE3ELS4_3ELS4_3ELNS0_20block_scan_algorithmE0ELj4294967295EEENS1_25partition_config_selectorILNS1_17partition_subalgoE3EjNS0_10empty_typeEbEEZZNS1_14partition_implILS8_3ELb0ES6_jNS0_17counting_iteratorIjlEEPS9_SE_NS0_5tupleIJPjSE_EEENSF_IJSE_SE_EEES9_SG_JZNS1_25segmented_radix_sort_implINS0_14default_configELb0EPKfPfPKlPlN2at6native12_GLOBAL__N_18offset_tEEE10hipError_tPvRmT1_PNSt15iterator_traitsISY_E10value_typeET2_T3_PNSZ_IS14_E10value_typeET4_jRbjT5_S1A_jjP12ihipStream_tbEUljE_EEESV_SW_SX_S14_S18_S1A_T6_T7_T9_mT8_S1C_bDpT10_ENKUlT_T0_E_clISt17integral_constantIbLb0EES1P_EEDaS1K_S1L_EUlS1K_E_NS1_11comp_targetILNS1_3genE0ELNS1_11target_archE4294967295ELNS1_3gpuE0ELNS1_3repE0EEENS1_30default_config_static_selectorELNS0_4arch9wavefront6targetE0EEEvSY_
	.p2align	8
	.type	_ZN7rocprim17ROCPRIM_400000_NS6detail17trampoline_kernelINS0_13select_configILj256ELj13ELNS0_17block_load_methodE3ELS4_3ELS4_3ELNS0_20block_scan_algorithmE0ELj4294967295EEENS1_25partition_config_selectorILNS1_17partition_subalgoE3EjNS0_10empty_typeEbEEZZNS1_14partition_implILS8_3ELb0ES6_jNS0_17counting_iteratorIjlEEPS9_SE_NS0_5tupleIJPjSE_EEENSF_IJSE_SE_EEES9_SG_JZNS1_25segmented_radix_sort_implINS0_14default_configELb0EPKfPfPKlPlN2at6native12_GLOBAL__N_18offset_tEEE10hipError_tPvRmT1_PNSt15iterator_traitsISY_E10value_typeET2_T3_PNSZ_IS14_E10value_typeET4_jRbjT5_S1A_jjP12ihipStream_tbEUljE_EEESV_SW_SX_S14_S18_S1A_T6_T7_T9_mT8_S1C_bDpT10_ENKUlT_T0_E_clISt17integral_constantIbLb0EES1P_EEDaS1K_S1L_EUlS1K_E_NS1_11comp_targetILNS1_3genE0ELNS1_11target_archE4294967295ELNS1_3gpuE0ELNS1_3repE0EEENS1_30default_config_static_selectorELNS0_4arch9wavefront6targetE0EEEvSY_,@function
_ZN7rocprim17ROCPRIM_400000_NS6detail17trampoline_kernelINS0_13select_configILj256ELj13ELNS0_17block_load_methodE3ELS4_3ELS4_3ELNS0_20block_scan_algorithmE0ELj4294967295EEENS1_25partition_config_selectorILNS1_17partition_subalgoE3EjNS0_10empty_typeEbEEZZNS1_14partition_implILS8_3ELb0ES6_jNS0_17counting_iteratorIjlEEPS9_SE_NS0_5tupleIJPjSE_EEENSF_IJSE_SE_EEES9_SG_JZNS1_25segmented_radix_sort_implINS0_14default_configELb0EPKfPfPKlPlN2at6native12_GLOBAL__N_18offset_tEEE10hipError_tPvRmT1_PNSt15iterator_traitsISY_E10value_typeET2_T3_PNSZ_IS14_E10value_typeET4_jRbjT5_S1A_jjP12ihipStream_tbEUljE_EEESV_SW_SX_S14_S18_S1A_T6_T7_T9_mT8_S1C_bDpT10_ENKUlT_T0_E_clISt17integral_constantIbLb0EES1P_EEDaS1K_S1L_EUlS1K_E_NS1_11comp_targetILNS1_3genE0ELNS1_11target_archE4294967295ELNS1_3gpuE0ELNS1_3repE0EEENS1_30default_config_static_selectorELNS0_4arch9wavefront6targetE0EEEvSY_: ; @_ZN7rocprim17ROCPRIM_400000_NS6detail17trampoline_kernelINS0_13select_configILj256ELj13ELNS0_17block_load_methodE3ELS4_3ELS4_3ELNS0_20block_scan_algorithmE0ELj4294967295EEENS1_25partition_config_selectorILNS1_17partition_subalgoE3EjNS0_10empty_typeEbEEZZNS1_14partition_implILS8_3ELb0ES6_jNS0_17counting_iteratorIjlEEPS9_SE_NS0_5tupleIJPjSE_EEENSF_IJSE_SE_EEES9_SG_JZNS1_25segmented_radix_sort_implINS0_14default_configELb0EPKfPfPKlPlN2at6native12_GLOBAL__N_18offset_tEEE10hipError_tPvRmT1_PNSt15iterator_traitsISY_E10value_typeET2_T3_PNSZ_IS14_E10value_typeET4_jRbjT5_S1A_jjP12ihipStream_tbEUljE_EEESV_SW_SX_S14_S18_S1A_T6_T7_T9_mT8_S1C_bDpT10_ENKUlT_T0_E_clISt17integral_constantIbLb0EES1P_EEDaS1K_S1L_EUlS1K_E_NS1_11comp_targetILNS1_3genE0ELNS1_11target_archE4294967295ELNS1_3gpuE0ELNS1_3repE0EEENS1_30default_config_static_selectorELNS0_4arch9wavefront6targetE0EEEvSY_
; %bb.0:
	.section	.rodata,"a",@progbits
	.p2align	6, 0x0
	.amdhsa_kernel _ZN7rocprim17ROCPRIM_400000_NS6detail17trampoline_kernelINS0_13select_configILj256ELj13ELNS0_17block_load_methodE3ELS4_3ELS4_3ELNS0_20block_scan_algorithmE0ELj4294967295EEENS1_25partition_config_selectorILNS1_17partition_subalgoE3EjNS0_10empty_typeEbEEZZNS1_14partition_implILS8_3ELb0ES6_jNS0_17counting_iteratorIjlEEPS9_SE_NS0_5tupleIJPjSE_EEENSF_IJSE_SE_EEES9_SG_JZNS1_25segmented_radix_sort_implINS0_14default_configELb0EPKfPfPKlPlN2at6native12_GLOBAL__N_18offset_tEEE10hipError_tPvRmT1_PNSt15iterator_traitsISY_E10value_typeET2_T3_PNSZ_IS14_E10value_typeET4_jRbjT5_S1A_jjP12ihipStream_tbEUljE_EEESV_SW_SX_S14_S18_S1A_T6_T7_T9_mT8_S1C_bDpT10_ENKUlT_T0_E_clISt17integral_constantIbLb0EES1P_EEDaS1K_S1L_EUlS1K_E_NS1_11comp_targetILNS1_3genE0ELNS1_11target_archE4294967295ELNS1_3gpuE0ELNS1_3repE0EEENS1_30default_config_static_selectorELNS0_4arch9wavefront6targetE0EEEvSY_
		.amdhsa_group_segment_fixed_size 0
		.amdhsa_private_segment_fixed_size 0
		.amdhsa_kernarg_size 144
		.amdhsa_user_sgpr_count 6
		.amdhsa_user_sgpr_private_segment_buffer 1
		.amdhsa_user_sgpr_dispatch_ptr 0
		.amdhsa_user_sgpr_queue_ptr 0
		.amdhsa_user_sgpr_kernarg_segment_ptr 1
		.amdhsa_user_sgpr_dispatch_id 0
		.amdhsa_user_sgpr_flat_scratch_init 0
		.amdhsa_user_sgpr_private_segment_size 0
		.amdhsa_wavefront_size32 1
		.amdhsa_uses_dynamic_stack 0
		.amdhsa_system_sgpr_private_segment_wavefront_offset 0
		.amdhsa_system_sgpr_workgroup_id_x 1
		.amdhsa_system_sgpr_workgroup_id_y 0
		.amdhsa_system_sgpr_workgroup_id_z 0
		.amdhsa_system_sgpr_workgroup_info 0
		.amdhsa_system_vgpr_workitem_id 0
		.amdhsa_next_free_vgpr 1
		.amdhsa_next_free_sgpr 1
		.amdhsa_reserve_vcc 0
		.amdhsa_reserve_flat_scratch 0
		.amdhsa_float_round_mode_32 0
		.amdhsa_float_round_mode_16_64 0
		.amdhsa_float_denorm_mode_32 3
		.amdhsa_float_denorm_mode_16_64 3
		.amdhsa_dx10_clamp 1
		.amdhsa_ieee_mode 1
		.amdhsa_fp16_overflow 0
		.amdhsa_workgroup_processor_mode 1
		.amdhsa_memory_ordered 1
		.amdhsa_forward_progress 1
		.amdhsa_shared_vgpr_count 0
		.amdhsa_exception_fp_ieee_invalid_op 0
		.amdhsa_exception_fp_denorm_src 0
		.amdhsa_exception_fp_ieee_div_zero 0
		.amdhsa_exception_fp_ieee_overflow 0
		.amdhsa_exception_fp_ieee_underflow 0
		.amdhsa_exception_fp_ieee_inexact 0
		.amdhsa_exception_int_div_zero 0
	.end_amdhsa_kernel
	.section	.text._ZN7rocprim17ROCPRIM_400000_NS6detail17trampoline_kernelINS0_13select_configILj256ELj13ELNS0_17block_load_methodE3ELS4_3ELS4_3ELNS0_20block_scan_algorithmE0ELj4294967295EEENS1_25partition_config_selectorILNS1_17partition_subalgoE3EjNS0_10empty_typeEbEEZZNS1_14partition_implILS8_3ELb0ES6_jNS0_17counting_iteratorIjlEEPS9_SE_NS0_5tupleIJPjSE_EEENSF_IJSE_SE_EEES9_SG_JZNS1_25segmented_radix_sort_implINS0_14default_configELb0EPKfPfPKlPlN2at6native12_GLOBAL__N_18offset_tEEE10hipError_tPvRmT1_PNSt15iterator_traitsISY_E10value_typeET2_T3_PNSZ_IS14_E10value_typeET4_jRbjT5_S1A_jjP12ihipStream_tbEUljE_EEESV_SW_SX_S14_S18_S1A_T6_T7_T9_mT8_S1C_bDpT10_ENKUlT_T0_E_clISt17integral_constantIbLb0EES1P_EEDaS1K_S1L_EUlS1K_E_NS1_11comp_targetILNS1_3genE0ELNS1_11target_archE4294967295ELNS1_3gpuE0ELNS1_3repE0EEENS1_30default_config_static_selectorELNS0_4arch9wavefront6targetE0EEEvSY_,"axG",@progbits,_ZN7rocprim17ROCPRIM_400000_NS6detail17trampoline_kernelINS0_13select_configILj256ELj13ELNS0_17block_load_methodE3ELS4_3ELS4_3ELNS0_20block_scan_algorithmE0ELj4294967295EEENS1_25partition_config_selectorILNS1_17partition_subalgoE3EjNS0_10empty_typeEbEEZZNS1_14partition_implILS8_3ELb0ES6_jNS0_17counting_iteratorIjlEEPS9_SE_NS0_5tupleIJPjSE_EEENSF_IJSE_SE_EEES9_SG_JZNS1_25segmented_radix_sort_implINS0_14default_configELb0EPKfPfPKlPlN2at6native12_GLOBAL__N_18offset_tEEE10hipError_tPvRmT1_PNSt15iterator_traitsISY_E10value_typeET2_T3_PNSZ_IS14_E10value_typeET4_jRbjT5_S1A_jjP12ihipStream_tbEUljE_EEESV_SW_SX_S14_S18_S1A_T6_T7_T9_mT8_S1C_bDpT10_ENKUlT_T0_E_clISt17integral_constantIbLb0EES1P_EEDaS1K_S1L_EUlS1K_E_NS1_11comp_targetILNS1_3genE0ELNS1_11target_archE4294967295ELNS1_3gpuE0ELNS1_3repE0EEENS1_30default_config_static_selectorELNS0_4arch9wavefront6targetE0EEEvSY_,comdat
.Lfunc_end1388:
	.size	_ZN7rocprim17ROCPRIM_400000_NS6detail17trampoline_kernelINS0_13select_configILj256ELj13ELNS0_17block_load_methodE3ELS4_3ELS4_3ELNS0_20block_scan_algorithmE0ELj4294967295EEENS1_25partition_config_selectorILNS1_17partition_subalgoE3EjNS0_10empty_typeEbEEZZNS1_14partition_implILS8_3ELb0ES6_jNS0_17counting_iteratorIjlEEPS9_SE_NS0_5tupleIJPjSE_EEENSF_IJSE_SE_EEES9_SG_JZNS1_25segmented_radix_sort_implINS0_14default_configELb0EPKfPfPKlPlN2at6native12_GLOBAL__N_18offset_tEEE10hipError_tPvRmT1_PNSt15iterator_traitsISY_E10value_typeET2_T3_PNSZ_IS14_E10value_typeET4_jRbjT5_S1A_jjP12ihipStream_tbEUljE_EEESV_SW_SX_S14_S18_S1A_T6_T7_T9_mT8_S1C_bDpT10_ENKUlT_T0_E_clISt17integral_constantIbLb0EES1P_EEDaS1K_S1L_EUlS1K_E_NS1_11comp_targetILNS1_3genE0ELNS1_11target_archE4294967295ELNS1_3gpuE0ELNS1_3repE0EEENS1_30default_config_static_selectorELNS0_4arch9wavefront6targetE0EEEvSY_, .Lfunc_end1388-_ZN7rocprim17ROCPRIM_400000_NS6detail17trampoline_kernelINS0_13select_configILj256ELj13ELNS0_17block_load_methodE3ELS4_3ELS4_3ELNS0_20block_scan_algorithmE0ELj4294967295EEENS1_25partition_config_selectorILNS1_17partition_subalgoE3EjNS0_10empty_typeEbEEZZNS1_14partition_implILS8_3ELb0ES6_jNS0_17counting_iteratorIjlEEPS9_SE_NS0_5tupleIJPjSE_EEENSF_IJSE_SE_EEES9_SG_JZNS1_25segmented_radix_sort_implINS0_14default_configELb0EPKfPfPKlPlN2at6native12_GLOBAL__N_18offset_tEEE10hipError_tPvRmT1_PNSt15iterator_traitsISY_E10value_typeET2_T3_PNSZ_IS14_E10value_typeET4_jRbjT5_S1A_jjP12ihipStream_tbEUljE_EEESV_SW_SX_S14_S18_S1A_T6_T7_T9_mT8_S1C_bDpT10_ENKUlT_T0_E_clISt17integral_constantIbLb0EES1P_EEDaS1K_S1L_EUlS1K_E_NS1_11comp_targetILNS1_3genE0ELNS1_11target_archE4294967295ELNS1_3gpuE0ELNS1_3repE0EEENS1_30default_config_static_selectorELNS0_4arch9wavefront6targetE0EEEvSY_
                                        ; -- End function
	.set _ZN7rocprim17ROCPRIM_400000_NS6detail17trampoline_kernelINS0_13select_configILj256ELj13ELNS0_17block_load_methodE3ELS4_3ELS4_3ELNS0_20block_scan_algorithmE0ELj4294967295EEENS1_25partition_config_selectorILNS1_17partition_subalgoE3EjNS0_10empty_typeEbEEZZNS1_14partition_implILS8_3ELb0ES6_jNS0_17counting_iteratorIjlEEPS9_SE_NS0_5tupleIJPjSE_EEENSF_IJSE_SE_EEES9_SG_JZNS1_25segmented_radix_sort_implINS0_14default_configELb0EPKfPfPKlPlN2at6native12_GLOBAL__N_18offset_tEEE10hipError_tPvRmT1_PNSt15iterator_traitsISY_E10value_typeET2_T3_PNSZ_IS14_E10value_typeET4_jRbjT5_S1A_jjP12ihipStream_tbEUljE_EEESV_SW_SX_S14_S18_S1A_T6_T7_T9_mT8_S1C_bDpT10_ENKUlT_T0_E_clISt17integral_constantIbLb0EES1P_EEDaS1K_S1L_EUlS1K_E_NS1_11comp_targetILNS1_3genE0ELNS1_11target_archE4294967295ELNS1_3gpuE0ELNS1_3repE0EEENS1_30default_config_static_selectorELNS0_4arch9wavefront6targetE0EEEvSY_.num_vgpr, 0
	.set _ZN7rocprim17ROCPRIM_400000_NS6detail17trampoline_kernelINS0_13select_configILj256ELj13ELNS0_17block_load_methodE3ELS4_3ELS4_3ELNS0_20block_scan_algorithmE0ELj4294967295EEENS1_25partition_config_selectorILNS1_17partition_subalgoE3EjNS0_10empty_typeEbEEZZNS1_14partition_implILS8_3ELb0ES6_jNS0_17counting_iteratorIjlEEPS9_SE_NS0_5tupleIJPjSE_EEENSF_IJSE_SE_EEES9_SG_JZNS1_25segmented_radix_sort_implINS0_14default_configELb0EPKfPfPKlPlN2at6native12_GLOBAL__N_18offset_tEEE10hipError_tPvRmT1_PNSt15iterator_traitsISY_E10value_typeET2_T3_PNSZ_IS14_E10value_typeET4_jRbjT5_S1A_jjP12ihipStream_tbEUljE_EEESV_SW_SX_S14_S18_S1A_T6_T7_T9_mT8_S1C_bDpT10_ENKUlT_T0_E_clISt17integral_constantIbLb0EES1P_EEDaS1K_S1L_EUlS1K_E_NS1_11comp_targetILNS1_3genE0ELNS1_11target_archE4294967295ELNS1_3gpuE0ELNS1_3repE0EEENS1_30default_config_static_selectorELNS0_4arch9wavefront6targetE0EEEvSY_.num_agpr, 0
	.set _ZN7rocprim17ROCPRIM_400000_NS6detail17trampoline_kernelINS0_13select_configILj256ELj13ELNS0_17block_load_methodE3ELS4_3ELS4_3ELNS0_20block_scan_algorithmE0ELj4294967295EEENS1_25partition_config_selectorILNS1_17partition_subalgoE3EjNS0_10empty_typeEbEEZZNS1_14partition_implILS8_3ELb0ES6_jNS0_17counting_iteratorIjlEEPS9_SE_NS0_5tupleIJPjSE_EEENSF_IJSE_SE_EEES9_SG_JZNS1_25segmented_radix_sort_implINS0_14default_configELb0EPKfPfPKlPlN2at6native12_GLOBAL__N_18offset_tEEE10hipError_tPvRmT1_PNSt15iterator_traitsISY_E10value_typeET2_T3_PNSZ_IS14_E10value_typeET4_jRbjT5_S1A_jjP12ihipStream_tbEUljE_EEESV_SW_SX_S14_S18_S1A_T6_T7_T9_mT8_S1C_bDpT10_ENKUlT_T0_E_clISt17integral_constantIbLb0EES1P_EEDaS1K_S1L_EUlS1K_E_NS1_11comp_targetILNS1_3genE0ELNS1_11target_archE4294967295ELNS1_3gpuE0ELNS1_3repE0EEENS1_30default_config_static_selectorELNS0_4arch9wavefront6targetE0EEEvSY_.numbered_sgpr, 0
	.set _ZN7rocprim17ROCPRIM_400000_NS6detail17trampoline_kernelINS0_13select_configILj256ELj13ELNS0_17block_load_methodE3ELS4_3ELS4_3ELNS0_20block_scan_algorithmE0ELj4294967295EEENS1_25partition_config_selectorILNS1_17partition_subalgoE3EjNS0_10empty_typeEbEEZZNS1_14partition_implILS8_3ELb0ES6_jNS0_17counting_iteratorIjlEEPS9_SE_NS0_5tupleIJPjSE_EEENSF_IJSE_SE_EEES9_SG_JZNS1_25segmented_radix_sort_implINS0_14default_configELb0EPKfPfPKlPlN2at6native12_GLOBAL__N_18offset_tEEE10hipError_tPvRmT1_PNSt15iterator_traitsISY_E10value_typeET2_T3_PNSZ_IS14_E10value_typeET4_jRbjT5_S1A_jjP12ihipStream_tbEUljE_EEESV_SW_SX_S14_S18_S1A_T6_T7_T9_mT8_S1C_bDpT10_ENKUlT_T0_E_clISt17integral_constantIbLb0EES1P_EEDaS1K_S1L_EUlS1K_E_NS1_11comp_targetILNS1_3genE0ELNS1_11target_archE4294967295ELNS1_3gpuE0ELNS1_3repE0EEENS1_30default_config_static_selectorELNS0_4arch9wavefront6targetE0EEEvSY_.num_named_barrier, 0
	.set _ZN7rocprim17ROCPRIM_400000_NS6detail17trampoline_kernelINS0_13select_configILj256ELj13ELNS0_17block_load_methodE3ELS4_3ELS4_3ELNS0_20block_scan_algorithmE0ELj4294967295EEENS1_25partition_config_selectorILNS1_17partition_subalgoE3EjNS0_10empty_typeEbEEZZNS1_14partition_implILS8_3ELb0ES6_jNS0_17counting_iteratorIjlEEPS9_SE_NS0_5tupleIJPjSE_EEENSF_IJSE_SE_EEES9_SG_JZNS1_25segmented_radix_sort_implINS0_14default_configELb0EPKfPfPKlPlN2at6native12_GLOBAL__N_18offset_tEEE10hipError_tPvRmT1_PNSt15iterator_traitsISY_E10value_typeET2_T3_PNSZ_IS14_E10value_typeET4_jRbjT5_S1A_jjP12ihipStream_tbEUljE_EEESV_SW_SX_S14_S18_S1A_T6_T7_T9_mT8_S1C_bDpT10_ENKUlT_T0_E_clISt17integral_constantIbLb0EES1P_EEDaS1K_S1L_EUlS1K_E_NS1_11comp_targetILNS1_3genE0ELNS1_11target_archE4294967295ELNS1_3gpuE0ELNS1_3repE0EEENS1_30default_config_static_selectorELNS0_4arch9wavefront6targetE0EEEvSY_.private_seg_size, 0
	.set _ZN7rocprim17ROCPRIM_400000_NS6detail17trampoline_kernelINS0_13select_configILj256ELj13ELNS0_17block_load_methodE3ELS4_3ELS4_3ELNS0_20block_scan_algorithmE0ELj4294967295EEENS1_25partition_config_selectorILNS1_17partition_subalgoE3EjNS0_10empty_typeEbEEZZNS1_14partition_implILS8_3ELb0ES6_jNS0_17counting_iteratorIjlEEPS9_SE_NS0_5tupleIJPjSE_EEENSF_IJSE_SE_EEES9_SG_JZNS1_25segmented_radix_sort_implINS0_14default_configELb0EPKfPfPKlPlN2at6native12_GLOBAL__N_18offset_tEEE10hipError_tPvRmT1_PNSt15iterator_traitsISY_E10value_typeET2_T3_PNSZ_IS14_E10value_typeET4_jRbjT5_S1A_jjP12ihipStream_tbEUljE_EEESV_SW_SX_S14_S18_S1A_T6_T7_T9_mT8_S1C_bDpT10_ENKUlT_T0_E_clISt17integral_constantIbLb0EES1P_EEDaS1K_S1L_EUlS1K_E_NS1_11comp_targetILNS1_3genE0ELNS1_11target_archE4294967295ELNS1_3gpuE0ELNS1_3repE0EEENS1_30default_config_static_selectorELNS0_4arch9wavefront6targetE0EEEvSY_.uses_vcc, 0
	.set _ZN7rocprim17ROCPRIM_400000_NS6detail17trampoline_kernelINS0_13select_configILj256ELj13ELNS0_17block_load_methodE3ELS4_3ELS4_3ELNS0_20block_scan_algorithmE0ELj4294967295EEENS1_25partition_config_selectorILNS1_17partition_subalgoE3EjNS0_10empty_typeEbEEZZNS1_14partition_implILS8_3ELb0ES6_jNS0_17counting_iteratorIjlEEPS9_SE_NS0_5tupleIJPjSE_EEENSF_IJSE_SE_EEES9_SG_JZNS1_25segmented_radix_sort_implINS0_14default_configELb0EPKfPfPKlPlN2at6native12_GLOBAL__N_18offset_tEEE10hipError_tPvRmT1_PNSt15iterator_traitsISY_E10value_typeET2_T3_PNSZ_IS14_E10value_typeET4_jRbjT5_S1A_jjP12ihipStream_tbEUljE_EEESV_SW_SX_S14_S18_S1A_T6_T7_T9_mT8_S1C_bDpT10_ENKUlT_T0_E_clISt17integral_constantIbLb0EES1P_EEDaS1K_S1L_EUlS1K_E_NS1_11comp_targetILNS1_3genE0ELNS1_11target_archE4294967295ELNS1_3gpuE0ELNS1_3repE0EEENS1_30default_config_static_selectorELNS0_4arch9wavefront6targetE0EEEvSY_.uses_flat_scratch, 0
	.set _ZN7rocprim17ROCPRIM_400000_NS6detail17trampoline_kernelINS0_13select_configILj256ELj13ELNS0_17block_load_methodE3ELS4_3ELS4_3ELNS0_20block_scan_algorithmE0ELj4294967295EEENS1_25partition_config_selectorILNS1_17partition_subalgoE3EjNS0_10empty_typeEbEEZZNS1_14partition_implILS8_3ELb0ES6_jNS0_17counting_iteratorIjlEEPS9_SE_NS0_5tupleIJPjSE_EEENSF_IJSE_SE_EEES9_SG_JZNS1_25segmented_radix_sort_implINS0_14default_configELb0EPKfPfPKlPlN2at6native12_GLOBAL__N_18offset_tEEE10hipError_tPvRmT1_PNSt15iterator_traitsISY_E10value_typeET2_T3_PNSZ_IS14_E10value_typeET4_jRbjT5_S1A_jjP12ihipStream_tbEUljE_EEESV_SW_SX_S14_S18_S1A_T6_T7_T9_mT8_S1C_bDpT10_ENKUlT_T0_E_clISt17integral_constantIbLb0EES1P_EEDaS1K_S1L_EUlS1K_E_NS1_11comp_targetILNS1_3genE0ELNS1_11target_archE4294967295ELNS1_3gpuE0ELNS1_3repE0EEENS1_30default_config_static_selectorELNS0_4arch9wavefront6targetE0EEEvSY_.has_dyn_sized_stack, 0
	.set _ZN7rocprim17ROCPRIM_400000_NS6detail17trampoline_kernelINS0_13select_configILj256ELj13ELNS0_17block_load_methodE3ELS4_3ELS4_3ELNS0_20block_scan_algorithmE0ELj4294967295EEENS1_25partition_config_selectorILNS1_17partition_subalgoE3EjNS0_10empty_typeEbEEZZNS1_14partition_implILS8_3ELb0ES6_jNS0_17counting_iteratorIjlEEPS9_SE_NS0_5tupleIJPjSE_EEENSF_IJSE_SE_EEES9_SG_JZNS1_25segmented_radix_sort_implINS0_14default_configELb0EPKfPfPKlPlN2at6native12_GLOBAL__N_18offset_tEEE10hipError_tPvRmT1_PNSt15iterator_traitsISY_E10value_typeET2_T3_PNSZ_IS14_E10value_typeET4_jRbjT5_S1A_jjP12ihipStream_tbEUljE_EEESV_SW_SX_S14_S18_S1A_T6_T7_T9_mT8_S1C_bDpT10_ENKUlT_T0_E_clISt17integral_constantIbLb0EES1P_EEDaS1K_S1L_EUlS1K_E_NS1_11comp_targetILNS1_3genE0ELNS1_11target_archE4294967295ELNS1_3gpuE0ELNS1_3repE0EEENS1_30default_config_static_selectorELNS0_4arch9wavefront6targetE0EEEvSY_.has_recursion, 0
	.set _ZN7rocprim17ROCPRIM_400000_NS6detail17trampoline_kernelINS0_13select_configILj256ELj13ELNS0_17block_load_methodE3ELS4_3ELS4_3ELNS0_20block_scan_algorithmE0ELj4294967295EEENS1_25partition_config_selectorILNS1_17partition_subalgoE3EjNS0_10empty_typeEbEEZZNS1_14partition_implILS8_3ELb0ES6_jNS0_17counting_iteratorIjlEEPS9_SE_NS0_5tupleIJPjSE_EEENSF_IJSE_SE_EEES9_SG_JZNS1_25segmented_radix_sort_implINS0_14default_configELb0EPKfPfPKlPlN2at6native12_GLOBAL__N_18offset_tEEE10hipError_tPvRmT1_PNSt15iterator_traitsISY_E10value_typeET2_T3_PNSZ_IS14_E10value_typeET4_jRbjT5_S1A_jjP12ihipStream_tbEUljE_EEESV_SW_SX_S14_S18_S1A_T6_T7_T9_mT8_S1C_bDpT10_ENKUlT_T0_E_clISt17integral_constantIbLb0EES1P_EEDaS1K_S1L_EUlS1K_E_NS1_11comp_targetILNS1_3genE0ELNS1_11target_archE4294967295ELNS1_3gpuE0ELNS1_3repE0EEENS1_30default_config_static_selectorELNS0_4arch9wavefront6targetE0EEEvSY_.has_indirect_call, 0
	.section	.AMDGPU.csdata,"",@progbits
; Kernel info:
; codeLenInByte = 0
; TotalNumSgprs: 0
; NumVgprs: 0
; ScratchSize: 0
; MemoryBound: 0
; FloatMode: 240
; IeeeMode: 1
; LDSByteSize: 0 bytes/workgroup (compile time only)
; SGPRBlocks: 0
; VGPRBlocks: 0
; NumSGPRsForWavesPerEU: 1
; NumVGPRsForWavesPerEU: 1
; Occupancy: 16
; WaveLimiterHint : 0
; COMPUTE_PGM_RSRC2:SCRATCH_EN: 0
; COMPUTE_PGM_RSRC2:USER_SGPR: 6
; COMPUTE_PGM_RSRC2:TRAP_HANDLER: 0
; COMPUTE_PGM_RSRC2:TGID_X_EN: 1
; COMPUTE_PGM_RSRC2:TGID_Y_EN: 0
; COMPUTE_PGM_RSRC2:TGID_Z_EN: 0
; COMPUTE_PGM_RSRC2:TIDIG_COMP_CNT: 0
	.section	.text._ZN7rocprim17ROCPRIM_400000_NS6detail17trampoline_kernelINS0_13select_configILj256ELj13ELNS0_17block_load_methodE3ELS4_3ELS4_3ELNS0_20block_scan_algorithmE0ELj4294967295EEENS1_25partition_config_selectorILNS1_17partition_subalgoE3EjNS0_10empty_typeEbEEZZNS1_14partition_implILS8_3ELb0ES6_jNS0_17counting_iteratorIjlEEPS9_SE_NS0_5tupleIJPjSE_EEENSF_IJSE_SE_EEES9_SG_JZNS1_25segmented_radix_sort_implINS0_14default_configELb0EPKfPfPKlPlN2at6native12_GLOBAL__N_18offset_tEEE10hipError_tPvRmT1_PNSt15iterator_traitsISY_E10value_typeET2_T3_PNSZ_IS14_E10value_typeET4_jRbjT5_S1A_jjP12ihipStream_tbEUljE_EEESV_SW_SX_S14_S18_S1A_T6_T7_T9_mT8_S1C_bDpT10_ENKUlT_T0_E_clISt17integral_constantIbLb0EES1P_EEDaS1K_S1L_EUlS1K_E_NS1_11comp_targetILNS1_3genE5ELNS1_11target_archE942ELNS1_3gpuE9ELNS1_3repE0EEENS1_30default_config_static_selectorELNS0_4arch9wavefront6targetE0EEEvSY_,"axG",@progbits,_ZN7rocprim17ROCPRIM_400000_NS6detail17trampoline_kernelINS0_13select_configILj256ELj13ELNS0_17block_load_methodE3ELS4_3ELS4_3ELNS0_20block_scan_algorithmE0ELj4294967295EEENS1_25partition_config_selectorILNS1_17partition_subalgoE3EjNS0_10empty_typeEbEEZZNS1_14partition_implILS8_3ELb0ES6_jNS0_17counting_iteratorIjlEEPS9_SE_NS0_5tupleIJPjSE_EEENSF_IJSE_SE_EEES9_SG_JZNS1_25segmented_radix_sort_implINS0_14default_configELb0EPKfPfPKlPlN2at6native12_GLOBAL__N_18offset_tEEE10hipError_tPvRmT1_PNSt15iterator_traitsISY_E10value_typeET2_T3_PNSZ_IS14_E10value_typeET4_jRbjT5_S1A_jjP12ihipStream_tbEUljE_EEESV_SW_SX_S14_S18_S1A_T6_T7_T9_mT8_S1C_bDpT10_ENKUlT_T0_E_clISt17integral_constantIbLb0EES1P_EEDaS1K_S1L_EUlS1K_E_NS1_11comp_targetILNS1_3genE5ELNS1_11target_archE942ELNS1_3gpuE9ELNS1_3repE0EEENS1_30default_config_static_selectorELNS0_4arch9wavefront6targetE0EEEvSY_,comdat
	.globl	_ZN7rocprim17ROCPRIM_400000_NS6detail17trampoline_kernelINS0_13select_configILj256ELj13ELNS0_17block_load_methodE3ELS4_3ELS4_3ELNS0_20block_scan_algorithmE0ELj4294967295EEENS1_25partition_config_selectorILNS1_17partition_subalgoE3EjNS0_10empty_typeEbEEZZNS1_14partition_implILS8_3ELb0ES6_jNS0_17counting_iteratorIjlEEPS9_SE_NS0_5tupleIJPjSE_EEENSF_IJSE_SE_EEES9_SG_JZNS1_25segmented_radix_sort_implINS0_14default_configELb0EPKfPfPKlPlN2at6native12_GLOBAL__N_18offset_tEEE10hipError_tPvRmT1_PNSt15iterator_traitsISY_E10value_typeET2_T3_PNSZ_IS14_E10value_typeET4_jRbjT5_S1A_jjP12ihipStream_tbEUljE_EEESV_SW_SX_S14_S18_S1A_T6_T7_T9_mT8_S1C_bDpT10_ENKUlT_T0_E_clISt17integral_constantIbLb0EES1P_EEDaS1K_S1L_EUlS1K_E_NS1_11comp_targetILNS1_3genE5ELNS1_11target_archE942ELNS1_3gpuE9ELNS1_3repE0EEENS1_30default_config_static_selectorELNS0_4arch9wavefront6targetE0EEEvSY_ ; -- Begin function _ZN7rocprim17ROCPRIM_400000_NS6detail17trampoline_kernelINS0_13select_configILj256ELj13ELNS0_17block_load_methodE3ELS4_3ELS4_3ELNS0_20block_scan_algorithmE0ELj4294967295EEENS1_25partition_config_selectorILNS1_17partition_subalgoE3EjNS0_10empty_typeEbEEZZNS1_14partition_implILS8_3ELb0ES6_jNS0_17counting_iteratorIjlEEPS9_SE_NS0_5tupleIJPjSE_EEENSF_IJSE_SE_EEES9_SG_JZNS1_25segmented_radix_sort_implINS0_14default_configELb0EPKfPfPKlPlN2at6native12_GLOBAL__N_18offset_tEEE10hipError_tPvRmT1_PNSt15iterator_traitsISY_E10value_typeET2_T3_PNSZ_IS14_E10value_typeET4_jRbjT5_S1A_jjP12ihipStream_tbEUljE_EEESV_SW_SX_S14_S18_S1A_T6_T7_T9_mT8_S1C_bDpT10_ENKUlT_T0_E_clISt17integral_constantIbLb0EES1P_EEDaS1K_S1L_EUlS1K_E_NS1_11comp_targetILNS1_3genE5ELNS1_11target_archE942ELNS1_3gpuE9ELNS1_3repE0EEENS1_30default_config_static_selectorELNS0_4arch9wavefront6targetE0EEEvSY_
	.p2align	8
	.type	_ZN7rocprim17ROCPRIM_400000_NS6detail17trampoline_kernelINS0_13select_configILj256ELj13ELNS0_17block_load_methodE3ELS4_3ELS4_3ELNS0_20block_scan_algorithmE0ELj4294967295EEENS1_25partition_config_selectorILNS1_17partition_subalgoE3EjNS0_10empty_typeEbEEZZNS1_14partition_implILS8_3ELb0ES6_jNS0_17counting_iteratorIjlEEPS9_SE_NS0_5tupleIJPjSE_EEENSF_IJSE_SE_EEES9_SG_JZNS1_25segmented_radix_sort_implINS0_14default_configELb0EPKfPfPKlPlN2at6native12_GLOBAL__N_18offset_tEEE10hipError_tPvRmT1_PNSt15iterator_traitsISY_E10value_typeET2_T3_PNSZ_IS14_E10value_typeET4_jRbjT5_S1A_jjP12ihipStream_tbEUljE_EEESV_SW_SX_S14_S18_S1A_T6_T7_T9_mT8_S1C_bDpT10_ENKUlT_T0_E_clISt17integral_constantIbLb0EES1P_EEDaS1K_S1L_EUlS1K_E_NS1_11comp_targetILNS1_3genE5ELNS1_11target_archE942ELNS1_3gpuE9ELNS1_3repE0EEENS1_30default_config_static_selectorELNS0_4arch9wavefront6targetE0EEEvSY_,@function
_ZN7rocprim17ROCPRIM_400000_NS6detail17trampoline_kernelINS0_13select_configILj256ELj13ELNS0_17block_load_methodE3ELS4_3ELS4_3ELNS0_20block_scan_algorithmE0ELj4294967295EEENS1_25partition_config_selectorILNS1_17partition_subalgoE3EjNS0_10empty_typeEbEEZZNS1_14partition_implILS8_3ELb0ES6_jNS0_17counting_iteratorIjlEEPS9_SE_NS0_5tupleIJPjSE_EEENSF_IJSE_SE_EEES9_SG_JZNS1_25segmented_radix_sort_implINS0_14default_configELb0EPKfPfPKlPlN2at6native12_GLOBAL__N_18offset_tEEE10hipError_tPvRmT1_PNSt15iterator_traitsISY_E10value_typeET2_T3_PNSZ_IS14_E10value_typeET4_jRbjT5_S1A_jjP12ihipStream_tbEUljE_EEESV_SW_SX_S14_S18_S1A_T6_T7_T9_mT8_S1C_bDpT10_ENKUlT_T0_E_clISt17integral_constantIbLb0EES1P_EEDaS1K_S1L_EUlS1K_E_NS1_11comp_targetILNS1_3genE5ELNS1_11target_archE942ELNS1_3gpuE9ELNS1_3repE0EEENS1_30default_config_static_selectorELNS0_4arch9wavefront6targetE0EEEvSY_: ; @_ZN7rocprim17ROCPRIM_400000_NS6detail17trampoline_kernelINS0_13select_configILj256ELj13ELNS0_17block_load_methodE3ELS4_3ELS4_3ELNS0_20block_scan_algorithmE0ELj4294967295EEENS1_25partition_config_selectorILNS1_17partition_subalgoE3EjNS0_10empty_typeEbEEZZNS1_14partition_implILS8_3ELb0ES6_jNS0_17counting_iteratorIjlEEPS9_SE_NS0_5tupleIJPjSE_EEENSF_IJSE_SE_EEES9_SG_JZNS1_25segmented_radix_sort_implINS0_14default_configELb0EPKfPfPKlPlN2at6native12_GLOBAL__N_18offset_tEEE10hipError_tPvRmT1_PNSt15iterator_traitsISY_E10value_typeET2_T3_PNSZ_IS14_E10value_typeET4_jRbjT5_S1A_jjP12ihipStream_tbEUljE_EEESV_SW_SX_S14_S18_S1A_T6_T7_T9_mT8_S1C_bDpT10_ENKUlT_T0_E_clISt17integral_constantIbLb0EES1P_EEDaS1K_S1L_EUlS1K_E_NS1_11comp_targetILNS1_3genE5ELNS1_11target_archE942ELNS1_3gpuE9ELNS1_3repE0EEENS1_30default_config_static_selectorELNS0_4arch9wavefront6targetE0EEEvSY_
; %bb.0:
	.section	.rodata,"a",@progbits
	.p2align	6, 0x0
	.amdhsa_kernel _ZN7rocprim17ROCPRIM_400000_NS6detail17trampoline_kernelINS0_13select_configILj256ELj13ELNS0_17block_load_methodE3ELS4_3ELS4_3ELNS0_20block_scan_algorithmE0ELj4294967295EEENS1_25partition_config_selectorILNS1_17partition_subalgoE3EjNS0_10empty_typeEbEEZZNS1_14partition_implILS8_3ELb0ES6_jNS0_17counting_iteratorIjlEEPS9_SE_NS0_5tupleIJPjSE_EEENSF_IJSE_SE_EEES9_SG_JZNS1_25segmented_radix_sort_implINS0_14default_configELb0EPKfPfPKlPlN2at6native12_GLOBAL__N_18offset_tEEE10hipError_tPvRmT1_PNSt15iterator_traitsISY_E10value_typeET2_T3_PNSZ_IS14_E10value_typeET4_jRbjT5_S1A_jjP12ihipStream_tbEUljE_EEESV_SW_SX_S14_S18_S1A_T6_T7_T9_mT8_S1C_bDpT10_ENKUlT_T0_E_clISt17integral_constantIbLb0EES1P_EEDaS1K_S1L_EUlS1K_E_NS1_11comp_targetILNS1_3genE5ELNS1_11target_archE942ELNS1_3gpuE9ELNS1_3repE0EEENS1_30default_config_static_selectorELNS0_4arch9wavefront6targetE0EEEvSY_
		.amdhsa_group_segment_fixed_size 0
		.amdhsa_private_segment_fixed_size 0
		.amdhsa_kernarg_size 144
		.amdhsa_user_sgpr_count 6
		.amdhsa_user_sgpr_private_segment_buffer 1
		.amdhsa_user_sgpr_dispatch_ptr 0
		.amdhsa_user_sgpr_queue_ptr 0
		.amdhsa_user_sgpr_kernarg_segment_ptr 1
		.amdhsa_user_sgpr_dispatch_id 0
		.amdhsa_user_sgpr_flat_scratch_init 0
		.amdhsa_user_sgpr_private_segment_size 0
		.amdhsa_wavefront_size32 1
		.amdhsa_uses_dynamic_stack 0
		.amdhsa_system_sgpr_private_segment_wavefront_offset 0
		.amdhsa_system_sgpr_workgroup_id_x 1
		.amdhsa_system_sgpr_workgroup_id_y 0
		.amdhsa_system_sgpr_workgroup_id_z 0
		.amdhsa_system_sgpr_workgroup_info 0
		.amdhsa_system_vgpr_workitem_id 0
		.amdhsa_next_free_vgpr 1
		.amdhsa_next_free_sgpr 1
		.amdhsa_reserve_vcc 0
		.amdhsa_reserve_flat_scratch 0
		.amdhsa_float_round_mode_32 0
		.amdhsa_float_round_mode_16_64 0
		.amdhsa_float_denorm_mode_32 3
		.amdhsa_float_denorm_mode_16_64 3
		.amdhsa_dx10_clamp 1
		.amdhsa_ieee_mode 1
		.amdhsa_fp16_overflow 0
		.amdhsa_workgroup_processor_mode 1
		.amdhsa_memory_ordered 1
		.amdhsa_forward_progress 1
		.amdhsa_shared_vgpr_count 0
		.amdhsa_exception_fp_ieee_invalid_op 0
		.amdhsa_exception_fp_denorm_src 0
		.amdhsa_exception_fp_ieee_div_zero 0
		.amdhsa_exception_fp_ieee_overflow 0
		.amdhsa_exception_fp_ieee_underflow 0
		.amdhsa_exception_fp_ieee_inexact 0
		.amdhsa_exception_int_div_zero 0
	.end_amdhsa_kernel
	.section	.text._ZN7rocprim17ROCPRIM_400000_NS6detail17trampoline_kernelINS0_13select_configILj256ELj13ELNS0_17block_load_methodE3ELS4_3ELS4_3ELNS0_20block_scan_algorithmE0ELj4294967295EEENS1_25partition_config_selectorILNS1_17partition_subalgoE3EjNS0_10empty_typeEbEEZZNS1_14partition_implILS8_3ELb0ES6_jNS0_17counting_iteratorIjlEEPS9_SE_NS0_5tupleIJPjSE_EEENSF_IJSE_SE_EEES9_SG_JZNS1_25segmented_radix_sort_implINS0_14default_configELb0EPKfPfPKlPlN2at6native12_GLOBAL__N_18offset_tEEE10hipError_tPvRmT1_PNSt15iterator_traitsISY_E10value_typeET2_T3_PNSZ_IS14_E10value_typeET4_jRbjT5_S1A_jjP12ihipStream_tbEUljE_EEESV_SW_SX_S14_S18_S1A_T6_T7_T9_mT8_S1C_bDpT10_ENKUlT_T0_E_clISt17integral_constantIbLb0EES1P_EEDaS1K_S1L_EUlS1K_E_NS1_11comp_targetILNS1_3genE5ELNS1_11target_archE942ELNS1_3gpuE9ELNS1_3repE0EEENS1_30default_config_static_selectorELNS0_4arch9wavefront6targetE0EEEvSY_,"axG",@progbits,_ZN7rocprim17ROCPRIM_400000_NS6detail17trampoline_kernelINS0_13select_configILj256ELj13ELNS0_17block_load_methodE3ELS4_3ELS4_3ELNS0_20block_scan_algorithmE0ELj4294967295EEENS1_25partition_config_selectorILNS1_17partition_subalgoE3EjNS0_10empty_typeEbEEZZNS1_14partition_implILS8_3ELb0ES6_jNS0_17counting_iteratorIjlEEPS9_SE_NS0_5tupleIJPjSE_EEENSF_IJSE_SE_EEES9_SG_JZNS1_25segmented_radix_sort_implINS0_14default_configELb0EPKfPfPKlPlN2at6native12_GLOBAL__N_18offset_tEEE10hipError_tPvRmT1_PNSt15iterator_traitsISY_E10value_typeET2_T3_PNSZ_IS14_E10value_typeET4_jRbjT5_S1A_jjP12ihipStream_tbEUljE_EEESV_SW_SX_S14_S18_S1A_T6_T7_T9_mT8_S1C_bDpT10_ENKUlT_T0_E_clISt17integral_constantIbLb0EES1P_EEDaS1K_S1L_EUlS1K_E_NS1_11comp_targetILNS1_3genE5ELNS1_11target_archE942ELNS1_3gpuE9ELNS1_3repE0EEENS1_30default_config_static_selectorELNS0_4arch9wavefront6targetE0EEEvSY_,comdat
.Lfunc_end1389:
	.size	_ZN7rocprim17ROCPRIM_400000_NS6detail17trampoline_kernelINS0_13select_configILj256ELj13ELNS0_17block_load_methodE3ELS4_3ELS4_3ELNS0_20block_scan_algorithmE0ELj4294967295EEENS1_25partition_config_selectorILNS1_17partition_subalgoE3EjNS0_10empty_typeEbEEZZNS1_14partition_implILS8_3ELb0ES6_jNS0_17counting_iteratorIjlEEPS9_SE_NS0_5tupleIJPjSE_EEENSF_IJSE_SE_EEES9_SG_JZNS1_25segmented_radix_sort_implINS0_14default_configELb0EPKfPfPKlPlN2at6native12_GLOBAL__N_18offset_tEEE10hipError_tPvRmT1_PNSt15iterator_traitsISY_E10value_typeET2_T3_PNSZ_IS14_E10value_typeET4_jRbjT5_S1A_jjP12ihipStream_tbEUljE_EEESV_SW_SX_S14_S18_S1A_T6_T7_T9_mT8_S1C_bDpT10_ENKUlT_T0_E_clISt17integral_constantIbLb0EES1P_EEDaS1K_S1L_EUlS1K_E_NS1_11comp_targetILNS1_3genE5ELNS1_11target_archE942ELNS1_3gpuE9ELNS1_3repE0EEENS1_30default_config_static_selectorELNS0_4arch9wavefront6targetE0EEEvSY_, .Lfunc_end1389-_ZN7rocprim17ROCPRIM_400000_NS6detail17trampoline_kernelINS0_13select_configILj256ELj13ELNS0_17block_load_methodE3ELS4_3ELS4_3ELNS0_20block_scan_algorithmE0ELj4294967295EEENS1_25partition_config_selectorILNS1_17partition_subalgoE3EjNS0_10empty_typeEbEEZZNS1_14partition_implILS8_3ELb0ES6_jNS0_17counting_iteratorIjlEEPS9_SE_NS0_5tupleIJPjSE_EEENSF_IJSE_SE_EEES9_SG_JZNS1_25segmented_radix_sort_implINS0_14default_configELb0EPKfPfPKlPlN2at6native12_GLOBAL__N_18offset_tEEE10hipError_tPvRmT1_PNSt15iterator_traitsISY_E10value_typeET2_T3_PNSZ_IS14_E10value_typeET4_jRbjT5_S1A_jjP12ihipStream_tbEUljE_EEESV_SW_SX_S14_S18_S1A_T6_T7_T9_mT8_S1C_bDpT10_ENKUlT_T0_E_clISt17integral_constantIbLb0EES1P_EEDaS1K_S1L_EUlS1K_E_NS1_11comp_targetILNS1_3genE5ELNS1_11target_archE942ELNS1_3gpuE9ELNS1_3repE0EEENS1_30default_config_static_selectorELNS0_4arch9wavefront6targetE0EEEvSY_
                                        ; -- End function
	.set _ZN7rocprim17ROCPRIM_400000_NS6detail17trampoline_kernelINS0_13select_configILj256ELj13ELNS0_17block_load_methodE3ELS4_3ELS4_3ELNS0_20block_scan_algorithmE0ELj4294967295EEENS1_25partition_config_selectorILNS1_17partition_subalgoE3EjNS0_10empty_typeEbEEZZNS1_14partition_implILS8_3ELb0ES6_jNS0_17counting_iteratorIjlEEPS9_SE_NS0_5tupleIJPjSE_EEENSF_IJSE_SE_EEES9_SG_JZNS1_25segmented_radix_sort_implINS0_14default_configELb0EPKfPfPKlPlN2at6native12_GLOBAL__N_18offset_tEEE10hipError_tPvRmT1_PNSt15iterator_traitsISY_E10value_typeET2_T3_PNSZ_IS14_E10value_typeET4_jRbjT5_S1A_jjP12ihipStream_tbEUljE_EEESV_SW_SX_S14_S18_S1A_T6_T7_T9_mT8_S1C_bDpT10_ENKUlT_T0_E_clISt17integral_constantIbLb0EES1P_EEDaS1K_S1L_EUlS1K_E_NS1_11comp_targetILNS1_3genE5ELNS1_11target_archE942ELNS1_3gpuE9ELNS1_3repE0EEENS1_30default_config_static_selectorELNS0_4arch9wavefront6targetE0EEEvSY_.num_vgpr, 0
	.set _ZN7rocprim17ROCPRIM_400000_NS6detail17trampoline_kernelINS0_13select_configILj256ELj13ELNS0_17block_load_methodE3ELS4_3ELS4_3ELNS0_20block_scan_algorithmE0ELj4294967295EEENS1_25partition_config_selectorILNS1_17partition_subalgoE3EjNS0_10empty_typeEbEEZZNS1_14partition_implILS8_3ELb0ES6_jNS0_17counting_iteratorIjlEEPS9_SE_NS0_5tupleIJPjSE_EEENSF_IJSE_SE_EEES9_SG_JZNS1_25segmented_radix_sort_implINS0_14default_configELb0EPKfPfPKlPlN2at6native12_GLOBAL__N_18offset_tEEE10hipError_tPvRmT1_PNSt15iterator_traitsISY_E10value_typeET2_T3_PNSZ_IS14_E10value_typeET4_jRbjT5_S1A_jjP12ihipStream_tbEUljE_EEESV_SW_SX_S14_S18_S1A_T6_T7_T9_mT8_S1C_bDpT10_ENKUlT_T0_E_clISt17integral_constantIbLb0EES1P_EEDaS1K_S1L_EUlS1K_E_NS1_11comp_targetILNS1_3genE5ELNS1_11target_archE942ELNS1_3gpuE9ELNS1_3repE0EEENS1_30default_config_static_selectorELNS0_4arch9wavefront6targetE0EEEvSY_.num_agpr, 0
	.set _ZN7rocprim17ROCPRIM_400000_NS6detail17trampoline_kernelINS0_13select_configILj256ELj13ELNS0_17block_load_methodE3ELS4_3ELS4_3ELNS0_20block_scan_algorithmE0ELj4294967295EEENS1_25partition_config_selectorILNS1_17partition_subalgoE3EjNS0_10empty_typeEbEEZZNS1_14partition_implILS8_3ELb0ES6_jNS0_17counting_iteratorIjlEEPS9_SE_NS0_5tupleIJPjSE_EEENSF_IJSE_SE_EEES9_SG_JZNS1_25segmented_radix_sort_implINS0_14default_configELb0EPKfPfPKlPlN2at6native12_GLOBAL__N_18offset_tEEE10hipError_tPvRmT1_PNSt15iterator_traitsISY_E10value_typeET2_T3_PNSZ_IS14_E10value_typeET4_jRbjT5_S1A_jjP12ihipStream_tbEUljE_EEESV_SW_SX_S14_S18_S1A_T6_T7_T9_mT8_S1C_bDpT10_ENKUlT_T0_E_clISt17integral_constantIbLb0EES1P_EEDaS1K_S1L_EUlS1K_E_NS1_11comp_targetILNS1_3genE5ELNS1_11target_archE942ELNS1_3gpuE9ELNS1_3repE0EEENS1_30default_config_static_selectorELNS0_4arch9wavefront6targetE0EEEvSY_.numbered_sgpr, 0
	.set _ZN7rocprim17ROCPRIM_400000_NS6detail17trampoline_kernelINS0_13select_configILj256ELj13ELNS0_17block_load_methodE3ELS4_3ELS4_3ELNS0_20block_scan_algorithmE0ELj4294967295EEENS1_25partition_config_selectorILNS1_17partition_subalgoE3EjNS0_10empty_typeEbEEZZNS1_14partition_implILS8_3ELb0ES6_jNS0_17counting_iteratorIjlEEPS9_SE_NS0_5tupleIJPjSE_EEENSF_IJSE_SE_EEES9_SG_JZNS1_25segmented_radix_sort_implINS0_14default_configELb0EPKfPfPKlPlN2at6native12_GLOBAL__N_18offset_tEEE10hipError_tPvRmT1_PNSt15iterator_traitsISY_E10value_typeET2_T3_PNSZ_IS14_E10value_typeET4_jRbjT5_S1A_jjP12ihipStream_tbEUljE_EEESV_SW_SX_S14_S18_S1A_T6_T7_T9_mT8_S1C_bDpT10_ENKUlT_T0_E_clISt17integral_constantIbLb0EES1P_EEDaS1K_S1L_EUlS1K_E_NS1_11comp_targetILNS1_3genE5ELNS1_11target_archE942ELNS1_3gpuE9ELNS1_3repE0EEENS1_30default_config_static_selectorELNS0_4arch9wavefront6targetE0EEEvSY_.num_named_barrier, 0
	.set _ZN7rocprim17ROCPRIM_400000_NS6detail17trampoline_kernelINS0_13select_configILj256ELj13ELNS0_17block_load_methodE3ELS4_3ELS4_3ELNS0_20block_scan_algorithmE0ELj4294967295EEENS1_25partition_config_selectorILNS1_17partition_subalgoE3EjNS0_10empty_typeEbEEZZNS1_14partition_implILS8_3ELb0ES6_jNS0_17counting_iteratorIjlEEPS9_SE_NS0_5tupleIJPjSE_EEENSF_IJSE_SE_EEES9_SG_JZNS1_25segmented_radix_sort_implINS0_14default_configELb0EPKfPfPKlPlN2at6native12_GLOBAL__N_18offset_tEEE10hipError_tPvRmT1_PNSt15iterator_traitsISY_E10value_typeET2_T3_PNSZ_IS14_E10value_typeET4_jRbjT5_S1A_jjP12ihipStream_tbEUljE_EEESV_SW_SX_S14_S18_S1A_T6_T7_T9_mT8_S1C_bDpT10_ENKUlT_T0_E_clISt17integral_constantIbLb0EES1P_EEDaS1K_S1L_EUlS1K_E_NS1_11comp_targetILNS1_3genE5ELNS1_11target_archE942ELNS1_3gpuE9ELNS1_3repE0EEENS1_30default_config_static_selectorELNS0_4arch9wavefront6targetE0EEEvSY_.private_seg_size, 0
	.set _ZN7rocprim17ROCPRIM_400000_NS6detail17trampoline_kernelINS0_13select_configILj256ELj13ELNS0_17block_load_methodE3ELS4_3ELS4_3ELNS0_20block_scan_algorithmE0ELj4294967295EEENS1_25partition_config_selectorILNS1_17partition_subalgoE3EjNS0_10empty_typeEbEEZZNS1_14partition_implILS8_3ELb0ES6_jNS0_17counting_iteratorIjlEEPS9_SE_NS0_5tupleIJPjSE_EEENSF_IJSE_SE_EEES9_SG_JZNS1_25segmented_radix_sort_implINS0_14default_configELb0EPKfPfPKlPlN2at6native12_GLOBAL__N_18offset_tEEE10hipError_tPvRmT1_PNSt15iterator_traitsISY_E10value_typeET2_T3_PNSZ_IS14_E10value_typeET4_jRbjT5_S1A_jjP12ihipStream_tbEUljE_EEESV_SW_SX_S14_S18_S1A_T6_T7_T9_mT8_S1C_bDpT10_ENKUlT_T0_E_clISt17integral_constantIbLb0EES1P_EEDaS1K_S1L_EUlS1K_E_NS1_11comp_targetILNS1_3genE5ELNS1_11target_archE942ELNS1_3gpuE9ELNS1_3repE0EEENS1_30default_config_static_selectorELNS0_4arch9wavefront6targetE0EEEvSY_.uses_vcc, 0
	.set _ZN7rocprim17ROCPRIM_400000_NS6detail17trampoline_kernelINS0_13select_configILj256ELj13ELNS0_17block_load_methodE3ELS4_3ELS4_3ELNS0_20block_scan_algorithmE0ELj4294967295EEENS1_25partition_config_selectorILNS1_17partition_subalgoE3EjNS0_10empty_typeEbEEZZNS1_14partition_implILS8_3ELb0ES6_jNS0_17counting_iteratorIjlEEPS9_SE_NS0_5tupleIJPjSE_EEENSF_IJSE_SE_EEES9_SG_JZNS1_25segmented_radix_sort_implINS0_14default_configELb0EPKfPfPKlPlN2at6native12_GLOBAL__N_18offset_tEEE10hipError_tPvRmT1_PNSt15iterator_traitsISY_E10value_typeET2_T3_PNSZ_IS14_E10value_typeET4_jRbjT5_S1A_jjP12ihipStream_tbEUljE_EEESV_SW_SX_S14_S18_S1A_T6_T7_T9_mT8_S1C_bDpT10_ENKUlT_T0_E_clISt17integral_constantIbLb0EES1P_EEDaS1K_S1L_EUlS1K_E_NS1_11comp_targetILNS1_3genE5ELNS1_11target_archE942ELNS1_3gpuE9ELNS1_3repE0EEENS1_30default_config_static_selectorELNS0_4arch9wavefront6targetE0EEEvSY_.uses_flat_scratch, 0
	.set _ZN7rocprim17ROCPRIM_400000_NS6detail17trampoline_kernelINS0_13select_configILj256ELj13ELNS0_17block_load_methodE3ELS4_3ELS4_3ELNS0_20block_scan_algorithmE0ELj4294967295EEENS1_25partition_config_selectorILNS1_17partition_subalgoE3EjNS0_10empty_typeEbEEZZNS1_14partition_implILS8_3ELb0ES6_jNS0_17counting_iteratorIjlEEPS9_SE_NS0_5tupleIJPjSE_EEENSF_IJSE_SE_EEES9_SG_JZNS1_25segmented_radix_sort_implINS0_14default_configELb0EPKfPfPKlPlN2at6native12_GLOBAL__N_18offset_tEEE10hipError_tPvRmT1_PNSt15iterator_traitsISY_E10value_typeET2_T3_PNSZ_IS14_E10value_typeET4_jRbjT5_S1A_jjP12ihipStream_tbEUljE_EEESV_SW_SX_S14_S18_S1A_T6_T7_T9_mT8_S1C_bDpT10_ENKUlT_T0_E_clISt17integral_constantIbLb0EES1P_EEDaS1K_S1L_EUlS1K_E_NS1_11comp_targetILNS1_3genE5ELNS1_11target_archE942ELNS1_3gpuE9ELNS1_3repE0EEENS1_30default_config_static_selectorELNS0_4arch9wavefront6targetE0EEEvSY_.has_dyn_sized_stack, 0
	.set _ZN7rocprim17ROCPRIM_400000_NS6detail17trampoline_kernelINS0_13select_configILj256ELj13ELNS0_17block_load_methodE3ELS4_3ELS4_3ELNS0_20block_scan_algorithmE0ELj4294967295EEENS1_25partition_config_selectorILNS1_17partition_subalgoE3EjNS0_10empty_typeEbEEZZNS1_14partition_implILS8_3ELb0ES6_jNS0_17counting_iteratorIjlEEPS9_SE_NS0_5tupleIJPjSE_EEENSF_IJSE_SE_EEES9_SG_JZNS1_25segmented_radix_sort_implINS0_14default_configELb0EPKfPfPKlPlN2at6native12_GLOBAL__N_18offset_tEEE10hipError_tPvRmT1_PNSt15iterator_traitsISY_E10value_typeET2_T3_PNSZ_IS14_E10value_typeET4_jRbjT5_S1A_jjP12ihipStream_tbEUljE_EEESV_SW_SX_S14_S18_S1A_T6_T7_T9_mT8_S1C_bDpT10_ENKUlT_T0_E_clISt17integral_constantIbLb0EES1P_EEDaS1K_S1L_EUlS1K_E_NS1_11comp_targetILNS1_3genE5ELNS1_11target_archE942ELNS1_3gpuE9ELNS1_3repE0EEENS1_30default_config_static_selectorELNS0_4arch9wavefront6targetE0EEEvSY_.has_recursion, 0
	.set _ZN7rocprim17ROCPRIM_400000_NS6detail17trampoline_kernelINS0_13select_configILj256ELj13ELNS0_17block_load_methodE3ELS4_3ELS4_3ELNS0_20block_scan_algorithmE0ELj4294967295EEENS1_25partition_config_selectorILNS1_17partition_subalgoE3EjNS0_10empty_typeEbEEZZNS1_14partition_implILS8_3ELb0ES6_jNS0_17counting_iteratorIjlEEPS9_SE_NS0_5tupleIJPjSE_EEENSF_IJSE_SE_EEES9_SG_JZNS1_25segmented_radix_sort_implINS0_14default_configELb0EPKfPfPKlPlN2at6native12_GLOBAL__N_18offset_tEEE10hipError_tPvRmT1_PNSt15iterator_traitsISY_E10value_typeET2_T3_PNSZ_IS14_E10value_typeET4_jRbjT5_S1A_jjP12ihipStream_tbEUljE_EEESV_SW_SX_S14_S18_S1A_T6_T7_T9_mT8_S1C_bDpT10_ENKUlT_T0_E_clISt17integral_constantIbLb0EES1P_EEDaS1K_S1L_EUlS1K_E_NS1_11comp_targetILNS1_3genE5ELNS1_11target_archE942ELNS1_3gpuE9ELNS1_3repE0EEENS1_30default_config_static_selectorELNS0_4arch9wavefront6targetE0EEEvSY_.has_indirect_call, 0
	.section	.AMDGPU.csdata,"",@progbits
; Kernel info:
; codeLenInByte = 0
; TotalNumSgprs: 0
; NumVgprs: 0
; ScratchSize: 0
; MemoryBound: 0
; FloatMode: 240
; IeeeMode: 1
; LDSByteSize: 0 bytes/workgroup (compile time only)
; SGPRBlocks: 0
; VGPRBlocks: 0
; NumSGPRsForWavesPerEU: 1
; NumVGPRsForWavesPerEU: 1
; Occupancy: 16
; WaveLimiterHint : 0
; COMPUTE_PGM_RSRC2:SCRATCH_EN: 0
; COMPUTE_PGM_RSRC2:USER_SGPR: 6
; COMPUTE_PGM_RSRC2:TRAP_HANDLER: 0
; COMPUTE_PGM_RSRC2:TGID_X_EN: 1
; COMPUTE_PGM_RSRC2:TGID_Y_EN: 0
; COMPUTE_PGM_RSRC2:TGID_Z_EN: 0
; COMPUTE_PGM_RSRC2:TIDIG_COMP_CNT: 0
	.section	.text._ZN7rocprim17ROCPRIM_400000_NS6detail17trampoline_kernelINS0_13select_configILj256ELj13ELNS0_17block_load_methodE3ELS4_3ELS4_3ELNS0_20block_scan_algorithmE0ELj4294967295EEENS1_25partition_config_selectorILNS1_17partition_subalgoE3EjNS0_10empty_typeEbEEZZNS1_14partition_implILS8_3ELb0ES6_jNS0_17counting_iteratorIjlEEPS9_SE_NS0_5tupleIJPjSE_EEENSF_IJSE_SE_EEES9_SG_JZNS1_25segmented_radix_sort_implINS0_14default_configELb0EPKfPfPKlPlN2at6native12_GLOBAL__N_18offset_tEEE10hipError_tPvRmT1_PNSt15iterator_traitsISY_E10value_typeET2_T3_PNSZ_IS14_E10value_typeET4_jRbjT5_S1A_jjP12ihipStream_tbEUljE_EEESV_SW_SX_S14_S18_S1A_T6_T7_T9_mT8_S1C_bDpT10_ENKUlT_T0_E_clISt17integral_constantIbLb0EES1P_EEDaS1K_S1L_EUlS1K_E_NS1_11comp_targetILNS1_3genE4ELNS1_11target_archE910ELNS1_3gpuE8ELNS1_3repE0EEENS1_30default_config_static_selectorELNS0_4arch9wavefront6targetE0EEEvSY_,"axG",@progbits,_ZN7rocprim17ROCPRIM_400000_NS6detail17trampoline_kernelINS0_13select_configILj256ELj13ELNS0_17block_load_methodE3ELS4_3ELS4_3ELNS0_20block_scan_algorithmE0ELj4294967295EEENS1_25partition_config_selectorILNS1_17partition_subalgoE3EjNS0_10empty_typeEbEEZZNS1_14partition_implILS8_3ELb0ES6_jNS0_17counting_iteratorIjlEEPS9_SE_NS0_5tupleIJPjSE_EEENSF_IJSE_SE_EEES9_SG_JZNS1_25segmented_radix_sort_implINS0_14default_configELb0EPKfPfPKlPlN2at6native12_GLOBAL__N_18offset_tEEE10hipError_tPvRmT1_PNSt15iterator_traitsISY_E10value_typeET2_T3_PNSZ_IS14_E10value_typeET4_jRbjT5_S1A_jjP12ihipStream_tbEUljE_EEESV_SW_SX_S14_S18_S1A_T6_T7_T9_mT8_S1C_bDpT10_ENKUlT_T0_E_clISt17integral_constantIbLb0EES1P_EEDaS1K_S1L_EUlS1K_E_NS1_11comp_targetILNS1_3genE4ELNS1_11target_archE910ELNS1_3gpuE8ELNS1_3repE0EEENS1_30default_config_static_selectorELNS0_4arch9wavefront6targetE0EEEvSY_,comdat
	.globl	_ZN7rocprim17ROCPRIM_400000_NS6detail17trampoline_kernelINS0_13select_configILj256ELj13ELNS0_17block_load_methodE3ELS4_3ELS4_3ELNS0_20block_scan_algorithmE0ELj4294967295EEENS1_25partition_config_selectorILNS1_17partition_subalgoE3EjNS0_10empty_typeEbEEZZNS1_14partition_implILS8_3ELb0ES6_jNS0_17counting_iteratorIjlEEPS9_SE_NS0_5tupleIJPjSE_EEENSF_IJSE_SE_EEES9_SG_JZNS1_25segmented_radix_sort_implINS0_14default_configELb0EPKfPfPKlPlN2at6native12_GLOBAL__N_18offset_tEEE10hipError_tPvRmT1_PNSt15iterator_traitsISY_E10value_typeET2_T3_PNSZ_IS14_E10value_typeET4_jRbjT5_S1A_jjP12ihipStream_tbEUljE_EEESV_SW_SX_S14_S18_S1A_T6_T7_T9_mT8_S1C_bDpT10_ENKUlT_T0_E_clISt17integral_constantIbLb0EES1P_EEDaS1K_S1L_EUlS1K_E_NS1_11comp_targetILNS1_3genE4ELNS1_11target_archE910ELNS1_3gpuE8ELNS1_3repE0EEENS1_30default_config_static_selectorELNS0_4arch9wavefront6targetE0EEEvSY_ ; -- Begin function _ZN7rocprim17ROCPRIM_400000_NS6detail17trampoline_kernelINS0_13select_configILj256ELj13ELNS0_17block_load_methodE3ELS4_3ELS4_3ELNS0_20block_scan_algorithmE0ELj4294967295EEENS1_25partition_config_selectorILNS1_17partition_subalgoE3EjNS0_10empty_typeEbEEZZNS1_14partition_implILS8_3ELb0ES6_jNS0_17counting_iteratorIjlEEPS9_SE_NS0_5tupleIJPjSE_EEENSF_IJSE_SE_EEES9_SG_JZNS1_25segmented_radix_sort_implINS0_14default_configELb0EPKfPfPKlPlN2at6native12_GLOBAL__N_18offset_tEEE10hipError_tPvRmT1_PNSt15iterator_traitsISY_E10value_typeET2_T3_PNSZ_IS14_E10value_typeET4_jRbjT5_S1A_jjP12ihipStream_tbEUljE_EEESV_SW_SX_S14_S18_S1A_T6_T7_T9_mT8_S1C_bDpT10_ENKUlT_T0_E_clISt17integral_constantIbLb0EES1P_EEDaS1K_S1L_EUlS1K_E_NS1_11comp_targetILNS1_3genE4ELNS1_11target_archE910ELNS1_3gpuE8ELNS1_3repE0EEENS1_30default_config_static_selectorELNS0_4arch9wavefront6targetE0EEEvSY_
	.p2align	8
	.type	_ZN7rocprim17ROCPRIM_400000_NS6detail17trampoline_kernelINS0_13select_configILj256ELj13ELNS0_17block_load_methodE3ELS4_3ELS4_3ELNS0_20block_scan_algorithmE0ELj4294967295EEENS1_25partition_config_selectorILNS1_17partition_subalgoE3EjNS0_10empty_typeEbEEZZNS1_14partition_implILS8_3ELb0ES6_jNS0_17counting_iteratorIjlEEPS9_SE_NS0_5tupleIJPjSE_EEENSF_IJSE_SE_EEES9_SG_JZNS1_25segmented_radix_sort_implINS0_14default_configELb0EPKfPfPKlPlN2at6native12_GLOBAL__N_18offset_tEEE10hipError_tPvRmT1_PNSt15iterator_traitsISY_E10value_typeET2_T3_PNSZ_IS14_E10value_typeET4_jRbjT5_S1A_jjP12ihipStream_tbEUljE_EEESV_SW_SX_S14_S18_S1A_T6_T7_T9_mT8_S1C_bDpT10_ENKUlT_T0_E_clISt17integral_constantIbLb0EES1P_EEDaS1K_S1L_EUlS1K_E_NS1_11comp_targetILNS1_3genE4ELNS1_11target_archE910ELNS1_3gpuE8ELNS1_3repE0EEENS1_30default_config_static_selectorELNS0_4arch9wavefront6targetE0EEEvSY_,@function
_ZN7rocprim17ROCPRIM_400000_NS6detail17trampoline_kernelINS0_13select_configILj256ELj13ELNS0_17block_load_methodE3ELS4_3ELS4_3ELNS0_20block_scan_algorithmE0ELj4294967295EEENS1_25partition_config_selectorILNS1_17partition_subalgoE3EjNS0_10empty_typeEbEEZZNS1_14partition_implILS8_3ELb0ES6_jNS0_17counting_iteratorIjlEEPS9_SE_NS0_5tupleIJPjSE_EEENSF_IJSE_SE_EEES9_SG_JZNS1_25segmented_radix_sort_implINS0_14default_configELb0EPKfPfPKlPlN2at6native12_GLOBAL__N_18offset_tEEE10hipError_tPvRmT1_PNSt15iterator_traitsISY_E10value_typeET2_T3_PNSZ_IS14_E10value_typeET4_jRbjT5_S1A_jjP12ihipStream_tbEUljE_EEESV_SW_SX_S14_S18_S1A_T6_T7_T9_mT8_S1C_bDpT10_ENKUlT_T0_E_clISt17integral_constantIbLb0EES1P_EEDaS1K_S1L_EUlS1K_E_NS1_11comp_targetILNS1_3genE4ELNS1_11target_archE910ELNS1_3gpuE8ELNS1_3repE0EEENS1_30default_config_static_selectorELNS0_4arch9wavefront6targetE0EEEvSY_: ; @_ZN7rocprim17ROCPRIM_400000_NS6detail17trampoline_kernelINS0_13select_configILj256ELj13ELNS0_17block_load_methodE3ELS4_3ELS4_3ELNS0_20block_scan_algorithmE0ELj4294967295EEENS1_25partition_config_selectorILNS1_17partition_subalgoE3EjNS0_10empty_typeEbEEZZNS1_14partition_implILS8_3ELb0ES6_jNS0_17counting_iteratorIjlEEPS9_SE_NS0_5tupleIJPjSE_EEENSF_IJSE_SE_EEES9_SG_JZNS1_25segmented_radix_sort_implINS0_14default_configELb0EPKfPfPKlPlN2at6native12_GLOBAL__N_18offset_tEEE10hipError_tPvRmT1_PNSt15iterator_traitsISY_E10value_typeET2_T3_PNSZ_IS14_E10value_typeET4_jRbjT5_S1A_jjP12ihipStream_tbEUljE_EEESV_SW_SX_S14_S18_S1A_T6_T7_T9_mT8_S1C_bDpT10_ENKUlT_T0_E_clISt17integral_constantIbLb0EES1P_EEDaS1K_S1L_EUlS1K_E_NS1_11comp_targetILNS1_3genE4ELNS1_11target_archE910ELNS1_3gpuE8ELNS1_3repE0EEENS1_30default_config_static_selectorELNS0_4arch9wavefront6targetE0EEEvSY_
; %bb.0:
	.section	.rodata,"a",@progbits
	.p2align	6, 0x0
	.amdhsa_kernel _ZN7rocprim17ROCPRIM_400000_NS6detail17trampoline_kernelINS0_13select_configILj256ELj13ELNS0_17block_load_methodE3ELS4_3ELS4_3ELNS0_20block_scan_algorithmE0ELj4294967295EEENS1_25partition_config_selectorILNS1_17partition_subalgoE3EjNS0_10empty_typeEbEEZZNS1_14partition_implILS8_3ELb0ES6_jNS0_17counting_iteratorIjlEEPS9_SE_NS0_5tupleIJPjSE_EEENSF_IJSE_SE_EEES9_SG_JZNS1_25segmented_radix_sort_implINS0_14default_configELb0EPKfPfPKlPlN2at6native12_GLOBAL__N_18offset_tEEE10hipError_tPvRmT1_PNSt15iterator_traitsISY_E10value_typeET2_T3_PNSZ_IS14_E10value_typeET4_jRbjT5_S1A_jjP12ihipStream_tbEUljE_EEESV_SW_SX_S14_S18_S1A_T6_T7_T9_mT8_S1C_bDpT10_ENKUlT_T0_E_clISt17integral_constantIbLb0EES1P_EEDaS1K_S1L_EUlS1K_E_NS1_11comp_targetILNS1_3genE4ELNS1_11target_archE910ELNS1_3gpuE8ELNS1_3repE0EEENS1_30default_config_static_selectorELNS0_4arch9wavefront6targetE0EEEvSY_
		.amdhsa_group_segment_fixed_size 0
		.amdhsa_private_segment_fixed_size 0
		.amdhsa_kernarg_size 144
		.amdhsa_user_sgpr_count 6
		.amdhsa_user_sgpr_private_segment_buffer 1
		.amdhsa_user_sgpr_dispatch_ptr 0
		.amdhsa_user_sgpr_queue_ptr 0
		.amdhsa_user_sgpr_kernarg_segment_ptr 1
		.amdhsa_user_sgpr_dispatch_id 0
		.amdhsa_user_sgpr_flat_scratch_init 0
		.amdhsa_user_sgpr_private_segment_size 0
		.amdhsa_wavefront_size32 1
		.amdhsa_uses_dynamic_stack 0
		.amdhsa_system_sgpr_private_segment_wavefront_offset 0
		.amdhsa_system_sgpr_workgroup_id_x 1
		.amdhsa_system_sgpr_workgroup_id_y 0
		.amdhsa_system_sgpr_workgroup_id_z 0
		.amdhsa_system_sgpr_workgroup_info 0
		.amdhsa_system_vgpr_workitem_id 0
		.amdhsa_next_free_vgpr 1
		.amdhsa_next_free_sgpr 1
		.amdhsa_reserve_vcc 0
		.amdhsa_reserve_flat_scratch 0
		.amdhsa_float_round_mode_32 0
		.amdhsa_float_round_mode_16_64 0
		.amdhsa_float_denorm_mode_32 3
		.amdhsa_float_denorm_mode_16_64 3
		.amdhsa_dx10_clamp 1
		.amdhsa_ieee_mode 1
		.amdhsa_fp16_overflow 0
		.amdhsa_workgroup_processor_mode 1
		.amdhsa_memory_ordered 1
		.amdhsa_forward_progress 1
		.amdhsa_shared_vgpr_count 0
		.amdhsa_exception_fp_ieee_invalid_op 0
		.amdhsa_exception_fp_denorm_src 0
		.amdhsa_exception_fp_ieee_div_zero 0
		.amdhsa_exception_fp_ieee_overflow 0
		.amdhsa_exception_fp_ieee_underflow 0
		.amdhsa_exception_fp_ieee_inexact 0
		.amdhsa_exception_int_div_zero 0
	.end_amdhsa_kernel
	.section	.text._ZN7rocprim17ROCPRIM_400000_NS6detail17trampoline_kernelINS0_13select_configILj256ELj13ELNS0_17block_load_methodE3ELS4_3ELS4_3ELNS0_20block_scan_algorithmE0ELj4294967295EEENS1_25partition_config_selectorILNS1_17partition_subalgoE3EjNS0_10empty_typeEbEEZZNS1_14partition_implILS8_3ELb0ES6_jNS0_17counting_iteratorIjlEEPS9_SE_NS0_5tupleIJPjSE_EEENSF_IJSE_SE_EEES9_SG_JZNS1_25segmented_radix_sort_implINS0_14default_configELb0EPKfPfPKlPlN2at6native12_GLOBAL__N_18offset_tEEE10hipError_tPvRmT1_PNSt15iterator_traitsISY_E10value_typeET2_T3_PNSZ_IS14_E10value_typeET4_jRbjT5_S1A_jjP12ihipStream_tbEUljE_EEESV_SW_SX_S14_S18_S1A_T6_T7_T9_mT8_S1C_bDpT10_ENKUlT_T0_E_clISt17integral_constantIbLb0EES1P_EEDaS1K_S1L_EUlS1K_E_NS1_11comp_targetILNS1_3genE4ELNS1_11target_archE910ELNS1_3gpuE8ELNS1_3repE0EEENS1_30default_config_static_selectorELNS0_4arch9wavefront6targetE0EEEvSY_,"axG",@progbits,_ZN7rocprim17ROCPRIM_400000_NS6detail17trampoline_kernelINS0_13select_configILj256ELj13ELNS0_17block_load_methodE3ELS4_3ELS4_3ELNS0_20block_scan_algorithmE0ELj4294967295EEENS1_25partition_config_selectorILNS1_17partition_subalgoE3EjNS0_10empty_typeEbEEZZNS1_14partition_implILS8_3ELb0ES6_jNS0_17counting_iteratorIjlEEPS9_SE_NS0_5tupleIJPjSE_EEENSF_IJSE_SE_EEES9_SG_JZNS1_25segmented_radix_sort_implINS0_14default_configELb0EPKfPfPKlPlN2at6native12_GLOBAL__N_18offset_tEEE10hipError_tPvRmT1_PNSt15iterator_traitsISY_E10value_typeET2_T3_PNSZ_IS14_E10value_typeET4_jRbjT5_S1A_jjP12ihipStream_tbEUljE_EEESV_SW_SX_S14_S18_S1A_T6_T7_T9_mT8_S1C_bDpT10_ENKUlT_T0_E_clISt17integral_constantIbLb0EES1P_EEDaS1K_S1L_EUlS1K_E_NS1_11comp_targetILNS1_3genE4ELNS1_11target_archE910ELNS1_3gpuE8ELNS1_3repE0EEENS1_30default_config_static_selectorELNS0_4arch9wavefront6targetE0EEEvSY_,comdat
.Lfunc_end1390:
	.size	_ZN7rocprim17ROCPRIM_400000_NS6detail17trampoline_kernelINS0_13select_configILj256ELj13ELNS0_17block_load_methodE3ELS4_3ELS4_3ELNS0_20block_scan_algorithmE0ELj4294967295EEENS1_25partition_config_selectorILNS1_17partition_subalgoE3EjNS0_10empty_typeEbEEZZNS1_14partition_implILS8_3ELb0ES6_jNS0_17counting_iteratorIjlEEPS9_SE_NS0_5tupleIJPjSE_EEENSF_IJSE_SE_EEES9_SG_JZNS1_25segmented_radix_sort_implINS0_14default_configELb0EPKfPfPKlPlN2at6native12_GLOBAL__N_18offset_tEEE10hipError_tPvRmT1_PNSt15iterator_traitsISY_E10value_typeET2_T3_PNSZ_IS14_E10value_typeET4_jRbjT5_S1A_jjP12ihipStream_tbEUljE_EEESV_SW_SX_S14_S18_S1A_T6_T7_T9_mT8_S1C_bDpT10_ENKUlT_T0_E_clISt17integral_constantIbLb0EES1P_EEDaS1K_S1L_EUlS1K_E_NS1_11comp_targetILNS1_3genE4ELNS1_11target_archE910ELNS1_3gpuE8ELNS1_3repE0EEENS1_30default_config_static_selectorELNS0_4arch9wavefront6targetE0EEEvSY_, .Lfunc_end1390-_ZN7rocprim17ROCPRIM_400000_NS6detail17trampoline_kernelINS0_13select_configILj256ELj13ELNS0_17block_load_methodE3ELS4_3ELS4_3ELNS0_20block_scan_algorithmE0ELj4294967295EEENS1_25partition_config_selectorILNS1_17partition_subalgoE3EjNS0_10empty_typeEbEEZZNS1_14partition_implILS8_3ELb0ES6_jNS0_17counting_iteratorIjlEEPS9_SE_NS0_5tupleIJPjSE_EEENSF_IJSE_SE_EEES9_SG_JZNS1_25segmented_radix_sort_implINS0_14default_configELb0EPKfPfPKlPlN2at6native12_GLOBAL__N_18offset_tEEE10hipError_tPvRmT1_PNSt15iterator_traitsISY_E10value_typeET2_T3_PNSZ_IS14_E10value_typeET4_jRbjT5_S1A_jjP12ihipStream_tbEUljE_EEESV_SW_SX_S14_S18_S1A_T6_T7_T9_mT8_S1C_bDpT10_ENKUlT_T0_E_clISt17integral_constantIbLb0EES1P_EEDaS1K_S1L_EUlS1K_E_NS1_11comp_targetILNS1_3genE4ELNS1_11target_archE910ELNS1_3gpuE8ELNS1_3repE0EEENS1_30default_config_static_selectorELNS0_4arch9wavefront6targetE0EEEvSY_
                                        ; -- End function
	.set _ZN7rocprim17ROCPRIM_400000_NS6detail17trampoline_kernelINS0_13select_configILj256ELj13ELNS0_17block_load_methodE3ELS4_3ELS4_3ELNS0_20block_scan_algorithmE0ELj4294967295EEENS1_25partition_config_selectorILNS1_17partition_subalgoE3EjNS0_10empty_typeEbEEZZNS1_14partition_implILS8_3ELb0ES6_jNS0_17counting_iteratorIjlEEPS9_SE_NS0_5tupleIJPjSE_EEENSF_IJSE_SE_EEES9_SG_JZNS1_25segmented_radix_sort_implINS0_14default_configELb0EPKfPfPKlPlN2at6native12_GLOBAL__N_18offset_tEEE10hipError_tPvRmT1_PNSt15iterator_traitsISY_E10value_typeET2_T3_PNSZ_IS14_E10value_typeET4_jRbjT5_S1A_jjP12ihipStream_tbEUljE_EEESV_SW_SX_S14_S18_S1A_T6_T7_T9_mT8_S1C_bDpT10_ENKUlT_T0_E_clISt17integral_constantIbLb0EES1P_EEDaS1K_S1L_EUlS1K_E_NS1_11comp_targetILNS1_3genE4ELNS1_11target_archE910ELNS1_3gpuE8ELNS1_3repE0EEENS1_30default_config_static_selectorELNS0_4arch9wavefront6targetE0EEEvSY_.num_vgpr, 0
	.set _ZN7rocprim17ROCPRIM_400000_NS6detail17trampoline_kernelINS0_13select_configILj256ELj13ELNS0_17block_load_methodE3ELS4_3ELS4_3ELNS0_20block_scan_algorithmE0ELj4294967295EEENS1_25partition_config_selectorILNS1_17partition_subalgoE3EjNS0_10empty_typeEbEEZZNS1_14partition_implILS8_3ELb0ES6_jNS0_17counting_iteratorIjlEEPS9_SE_NS0_5tupleIJPjSE_EEENSF_IJSE_SE_EEES9_SG_JZNS1_25segmented_radix_sort_implINS0_14default_configELb0EPKfPfPKlPlN2at6native12_GLOBAL__N_18offset_tEEE10hipError_tPvRmT1_PNSt15iterator_traitsISY_E10value_typeET2_T3_PNSZ_IS14_E10value_typeET4_jRbjT5_S1A_jjP12ihipStream_tbEUljE_EEESV_SW_SX_S14_S18_S1A_T6_T7_T9_mT8_S1C_bDpT10_ENKUlT_T0_E_clISt17integral_constantIbLb0EES1P_EEDaS1K_S1L_EUlS1K_E_NS1_11comp_targetILNS1_3genE4ELNS1_11target_archE910ELNS1_3gpuE8ELNS1_3repE0EEENS1_30default_config_static_selectorELNS0_4arch9wavefront6targetE0EEEvSY_.num_agpr, 0
	.set _ZN7rocprim17ROCPRIM_400000_NS6detail17trampoline_kernelINS0_13select_configILj256ELj13ELNS0_17block_load_methodE3ELS4_3ELS4_3ELNS0_20block_scan_algorithmE0ELj4294967295EEENS1_25partition_config_selectorILNS1_17partition_subalgoE3EjNS0_10empty_typeEbEEZZNS1_14partition_implILS8_3ELb0ES6_jNS0_17counting_iteratorIjlEEPS9_SE_NS0_5tupleIJPjSE_EEENSF_IJSE_SE_EEES9_SG_JZNS1_25segmented_radix_sort_implINS0_14default_configELb0EPKfPfPKlPlN2at6native12_GLOBAL__N_18offset_tEEE10hipError_tPvRmT1_PNSt15iterator_traitsISY_E10value_typeET2_T3_PNSZ_IS14_E10value_typeET4_jRbjT5_S1A_jjP12ihipStream_tbEUljE_EEESV_SW_SX_S14_S18_S1A_T6_T7_T9_mT8_S1C_bDpT10_ENKUlT_T0_E_clISt17integral_constantIbLb0EES1P_EEDaS1K_S1L_EUlS1K_E_NS1_11comp_targetILNS1_3genE4ELNS1_11target_archE910ELNS1_3gpuE8ELNS1_3repE0EEENS1_30default_config_static_selectorELNS0_4arch9wavefront6targetE0EEEvSY_.numbered_sgpr, 0
	.set _ZN7rocprim17ROCPRIM_400000_NS6detail17trampoline_kernelINS0_13select_configILj256ELj13ELNS0_17block_load_methodE3ELS4_3ELS4_3ELNS0_20block_scan_algorithmE0ELj4294967295EEENS1_25partition_config_selectorILNS1_17partition_subalgoE3EjNS0_10empty_typeEbEEZZNS1_14partition_implILS8_3ELb0ES6_jNS0_17counting_iteratorIjlEEPS9_SE_NS0_5tupleIJPjSE_EEENSF_IJSE_SE_EEES9_SG_JZNS1_25segmented_radix_sort_implINS0_14default_configELb0EPKfPfPKlPlN2at6native12_GLOBAL__N_18offset_tEEE10hipError_tPvRmT1_PNSt15iterator_traitsISY_E10value_typeET2_T3_PNSZ_IS14_E10value_typeET4_jRbjT5_S1A_jjP12ihipStream_tbEUljE_EEESV_SW_SX_S14_S18_S1A_T6_T7_T9_mT8_S1C_bDpT10_ENKUlT_T0_E_clISt17integral_constantIbLb0EES1P_EEDaS1K_S1L_EUlS1K_E_NS1_11comp_targetILNS1_3genE4ELNS1_11target_archE910ELNS1_3gpuE8ELNS1_3repE0EEENS1_30default_config_static_selectorELNS0_4arch9wavefront6targetE0EEEvSY_.num_named_barrier, 0
	.set _ZN7rocprim17ROCPRIM_400000_NS6detail17trampoline_kernelINS0_13select_configILj256ELj13ELNS0_17block_load_methodE3ELS4_3ELS4_3ELNS0_20block_scan_algorithmE0ELj4294967295EEENS1_25partition_config_selectorILNS1_17partition_subalgoE3EjNS0_10empty_typeEbEEZZNS1_14partition_implILS8_3ELb0ES6_jNS0_17counting_iteratorIjlEEPS9_SE_NS0_5tupleIJPjSE_EEENSF_IJSE_SE_EEES9_SG_JZNS1_25segmented_radix_sort_implINS0_14default_configELb0EPKfPfPKlPlN2at6native12_GLOBAL__N_18offset_tEEE10hipError_tPvRmT1_PNSt15iterator_traitsISY_E10value_typeET2_T3_PNSZ_IS14_E10value_typeET4_jRbjT5_S1A_jjP12ihipStream_tbEUljE_EEESV_SW_SX_S14_S18_S1A_T6_T7_T9_mT8_S1C_bDpT10_ENKUlT_T0_E_clISt17integral_constantIbLb0EES1P_EEDaS1K_S1L_EUlS1K_E_NS1_11comp_targetILNS1_3genE4ELNS1_11target_archE910ELNS1_3gpuE8ELNS1_3repE0EEENS1_30default_config_static_selectorELNS0_4arch9wavefront6targetE0EEEvSY_.private_seg_size, 0
	.set _ZN7rocprim17ROCPRIM_400000_NS6detail17trampoline_kernelINS0_13select_configILj256ELj13ELNS0_17block_load_methodE3ELS4_3ELS4_3ELNS0_20block_scan_algorithmE0ELj4294967295EEENS1_25partition_config_selectorILNS1_17partition_subalgoE3EjNS0_10empty_typeEbEEZZNS1_14partition_implILS8_3ELb0ES6_jNS0_17counting_iteratorIjlEEPS9_SE_NS0_5tupleIJPjSE_EEENSF_IJSE_SE_EEES9_SG_JZNS1_25segmented_radix_sort_implINS0_14default_configELb0EPKfPfPKlPlN2at6native12_GLOBAL__N_18offset_tEEE10hipError_tPvRmT1_PNSt15iterator_traitsISY_E10value_typeET2_T3_PNSZ_IS14_E10value_typeET4_jRbjT5_S1A_jjP12ihipStream_tbEUljE_EEESV_SW_SX_S14_S18_S1A_T6_T7_T9_mT8_S1C_bDpT10_ENKUlT_T0_E_clISt17integral_constantIbLb0EES1P_EEDaS1K_S1L_EUlS1K_E_NS1_11comp_targetILNS1_3genE4ELNS1_11target_archE910ELNS1_3gpuE8ELNS1_3repE0EEENS1_30default_config_static_selectorELNS0_4arch9wavefront6targetE0EEEvSY_.uses_vcc, 0
	.set _ZN7rocprim17ROCPRIM_400000_NS6detail17trampoline_kernelINS0_13select_configILj256ELj13ELNS0_17block_load_methodE3ELS4_3ELS4_3ELNS0_20block_scan_algorithmE0ELj4294967295EEENS1_25partition_config_selectorILNS1_17partition_subalgoE3EjNS0_10empty_typeEbEEZZNS1_14partition_implILS8_3ELb0ES6_jNS0_17counting_iteratorIjlEEPS9_SE_NS0_5tupleIJPjSE_EEENSF_IJSE_SE_EEES9_SG_JZNS1_25segmented_radix_sort_implINS0_14default_configELb0EPKfPfPKlPlN2at6native12_GLOBAL__N_18offset_tEEE10hipError_tPvRmT1_PNSt15iterator_traitsISY_E10value_typeET2_T3_PNSZ_IS14_E10value_typeET4_jRbjT5_S1A_jjP12ihipStream_tbEUljE_EEESV_SW_SX_S14_S18_S1A_T6_T7_T9_mT8_S1C_bDpT10_ENKUlT_T0_E_clISt17integral_constantIbLb0EES1P_EEDaS1K_S1L_EUlS1K_E_NS1_11comp_targetILNS1_3genE4ELNS1_11target_archE910ELNS1_3gpuE8ELNS1_3repE0EEENS1_30default_config_static_selectorELNS0_4arch9wavefront6targetE0EEEvSY_.uses_flat_scratch, 0
	.set _ZN7rocprim17ROCPRIM_400000_NS6detail17trampoline_kernelINS0_13select_configILj256ELj13ELNS0_17block_load_methodE3ELS4_3ELS4_3ELNS0_20block_scan_algorithmE0ELj4294967295EEENS1_25partition_config_selectorILNS1_17partition_subalgoE3EjNS0_10empty_typeEbEEZZNS1_14partition_implILS8_3ELb0ES6_jNS0_17counting_iteratorIjlEEPS9_SE_NS0_5tupleIJPjSE_EEENSF_IJSE_SE_EEES9_SG_JZNS1_25segmented_radix_sort_implINS0_14default_configELb0EPKfPfPKlPlN2at6native12_GLOBAL__N_18offset_tEEE10hipError_tPvRmT1_PNSt15iterator_traitsISY_E10value_typeET2_T3_PNSZ_IS14_E10value_typeET4_jRbjT5_S1A_jjP12ihipStream_tbEUljE_EEESV_SW_SX_S14_S18_S1A_T6_T7_T9_mT8_S1C_bDpT10_ENKUlT_T0_E_clISt17integral_constantIbLb0EES1P_EEDaS1K_S1L_EUlS1K_E_NS1_11comp_targetILNS1_3genE4ELNS1_11target_archE910ELNS1_3gpuE8ELNS1_3repE0EEENS1_30default_config_static_selectorELNS0_4arch9wavefront6targetE0EEEvSY_.has_dyn_sized_stack, 0
	.set _ZN7rocprim17ROCPRIM_400000_NS6detail17trampoline_kernelINS0_13select_configILj256ELj13ELNS0_17block_load_methodE3ELS4_3ELS4_3ELNS0_20block_scan_algorithmE0ELj4294967295EEENS1_25partition_config_selectorILNS1_17partition_subalgoE3EjNS0_10empty_typeEbEEZZNS1_14partition_implILS8_3ELb0ES6_jNS0_17counting_iteratorIjlEEPS9_SE_NS0_5tupleIJPjSE_EEENSF_IJSE_SE_EEES9_SG_JZNS1_25segmented_radix_sort_implINS0_14default_configELb0EPKfPfPKlPlN2at6native12_GLOBAL__N_18offset_tEEE10hipError_tPvRmT1_PNSt15iterator_traitsISY_E10value_typeET2_T3_PNSZ_IS14_E10value_typeET4_jRbjT5_S1A_jjP12ihipStream_tbEUljE_EEESV_SW_SX_S14_S18_S1A_T6_T7_T9_mT8_S1C_bDpT10_ENKUlT_T0_E_clISt17integral_constantIbLb0EES1P_EEDaS1K_S1L_EUlS1K_E_NS1_11comp_targetILNS1_3genE4ELNS1_11target_archE910ELNS1_3gpuE8ELNS1_3repE0EEENS1_30default_config_static_selectorELNS0_4arch9wavefront6targetE0EEEvSY_.has_recursion, 0
	.set _ZN7rocprim17ROCPRIM_400000_NS6detail17trampoline_kernelINS0_13select_configILj256ELj13ELNS0_17block_load_methodE3ELS4_3ELS4_3ELNS0_20block_scan_algorithmE0ELj4294967295EEENS1_25partition_config_selectorILNS1_17partition_subalgoE3EjNS0_10empty_typeEbEEZZNS1_14partition_implILS8_3ELb0ES6_jNS0_17counting_iteratorIjlEEPS9_SE_NS0_5tupleIJPjSE_EEENSF_IJSE_SE_EEES9_SG_JZNS1_25segmented_radix_sort_implINS0_14default_configELb0EPKfPfPKlPlN2at6native12_GLOBAL__N_18offset_tEEE10hipError_tPvRmT1_PNSt15iterator_traitsISY_E10value_typeET2_T3_PNSZ_IS14_E10value_typeET4_jRbjT5_S1A_jjP12ihipStream_tbEUljE_EEESV_SW_SX_S14_S18_S1A_T6_T7_T9_mT8_S1C_bDpT10_ENKUlT_T0_E_clISt17integral_constantIbLb0EES1P_EEDaS1K_S1L_EUlS1K_E_NS1_11comp_targetILNS1_3genE4ELNS1_11target_archE910ELNS1_3gpuE8ELNS1_3repE0EEENS1_30default_config_static_selectorELNS0_4arch9wavefront6targetE0EEEvSY_.has_indirect_call, 0
	.section	.AMDGPU.csdata,"",@progbits
; Kernel info:
; codeLenInByte = 0
; TotalNumSgprs: 0
; NumVgprs: 0
; ScratchSize: 0
; MemoryBound: 0
; FloatMode: 240
; IeeeMode: 1
; LDSByteSize: 0 bytes/workgroup (compile time only)
; SGPRBlocks: 0
; VGPRBlocks: 0
; NumSGPRsForWavesPerEU: 1
; NumVGPRsForWavesPerEU: 1
; Occupancy: 16
; WaveLimiterHint : 0
; COMPUTE_PGM_RSRC2:SCRATCH_EN: 0
; COMPUTE_PGM_RSRC2:USER_SGPR: 6
; COMPUTE_PGM_RSRC2:TRAP_HANDLER: 0
; COMPUTE_PGM_RSRC2:TGID_X_EN: 1
; COMPUTE_PGM_RSRC2:TGID_Y_EN: 0
; COMPUTE_PGM_RSRC2:TGID_Z_EN: 0
; COMPUTE_PGM_RSRC2:TIDIG_COMP_CNT: 0
	.section	.text._ZN7rocprim17ROCPRIM_400000_NS6detail17trampoline_kernelINS0_13select_configILj256ELj13ELNS0_17block_load_methodE3ELS4_3ELS4_3ELNS0_20block_scan_algorithmE0ELj4294967295EEENS1_25partition_config_selectorILNS1_17partition_subalgoE3EjNS0_10empty_typeEbEEZZNS1_14partition_implILS8_3ELb0ES6_jNS0_17counting_iteratorIjlEEPS9_SE_NS0_5tupleIJPjSE_EEENSF_IJSE_SE_EEES9_SG_JZNS1_25segmented_radix_sort_implINS0_14default_configELb0EPKfPfPKlPlN2at6native12_GLOBAL__N_18offset_tEEE10hipError_tPvRmT1_PNSt15iterator_traitsISY_E10value_typeET2_T3_PNSZ_IS14_E10value_typeET4_jRbjT5_S1A_jjP12ihipStream_tbEUljE_EEESV_SW_SX_S14_S18_S1A_T6_T7_T9_mT8_S1C_bDpT10_ENKUlT_T0_E_clISt17integral_constantIbLb0EES1P_EEDaS1K_S1L_EUlS1K_E_NS1_11comp_targetILNS1_3genE3ELNS1_11target_archE908ELNS1_3gpuE7ELNS1_3repE0EEENS1_30default_config_static_selectorELNS0_4arch9wavefront6targetE0EEEvSY_,"axG",@progbits,_ZN7rocprim17ROCPRIM_400000_NS6detail17trampoline_kernelINS0_13select_configILj256ELj13ELNS0_17block_load_methodE3ELS4_3ELS4_3ELNS0_20block_scan_algorithmE0ELj4294967295EEENS1_25partition_config_selectorILNS1_17partition_subalgoE3EjNS0_10empty_typeEbEEZZNS1_14partition_implILS8_3ELb0ES6_jNS0_17counting_iteratorIjlEEPS9_SE_NS0_5tupleIJPjSE_EEENSF_IJSE_SE_EEES9_SG_JZNS1_25segmented_radix_sort_implINS0_14default_configELb0EPKfPfPKlPlN2at6native12_GLOBAL__N_18offset_tEEE10hipError_tPvRmT1_PNSt15iterator_traitsISY_E10value_typeET2_T3_PNSZ_IS14_E10value_typeET4_jRbjT5_S1A_jjP12ihipStream_tbEUljE_EEESV_SW_SX_S14_S18_S1A_T6_T7_T9_mT8_S1C_bDpT10_ENKUlT_T0_E_clISt17integral_constantIbLb0EES1P_EEDaS1K_S1L_EUlS1K_E_NS1_11comp_targetILNS1_3genE3ELNS1_11target_archE908ELNS1_3gpuE7ELNS1_3repE0EEENS1_30default_config_static_selectorELNS0_4arch9wavefront6targetE0EEEvSY_,comdat
	.globl	_ZN7rocprim17ROCPRIM_400000_NS6detail17trampoline_kernelINS0_13select_configILj256ELj13ELNS0_17block_load_methodE3ELS4_3ELS4_3ELNS0_20block_scan_algorithmE0ELj4294967295EEENS1_25partition_config_selectorILNS1_17partition_subalgoE3EjNS0_10empty_typeEbEEZZNS1_14partition_implILS8_3ELb0ES6_jNS0_17counting_iteratorIjlEEPS9_SE_NS0_5tupleIJPjSE_EEENSF_IJSE_SE_EEES9_SG_JZNS1_25segmented_radix_sort_implINS0_14default_configELb0EPKfPfPKlPlN2at6native12_GLOBAL__N_18offset_tEEE10hipError_tPvRmT1_PNSt15iterator_traitsISY_E10value_typeET2_T3_PNSZ_IS14_E10value_typeET4_jRbjT5_S1A_jjP12ihipStream_tbEUljE_EEESV_SW_SX_S14_S18_S1A_T6_T7_T9_mT8_S1C_bDpT10_ENKUlT_T0_E_clISt17integral_constantIbLb0EES1P_EEDaS1K_S1L_EUlS1K_E_NS1_11comp_targetILNS1_3genE3ELNS1_11target_archE908ELNS1_3gpuE7ELNS1_3repE0EEENS1_30default_config_static_selectorELNS0_4arch9wavefront6targetE0EEEvSY_ ; -- Begin function _ZN7rocprim17ROCPRIM_400000_NS6detail17trampoline_kernelINS0_13select_configILj256ELj13ELNS0_17block_load_methodE3ELS4_3ELS4_3ELNS0_20block_scan_algorithmE0ELj4294967295EEENS1_25partition_config_selectorILNS1_17partition_subalgoE3EjNS0_10empty_typeEbEEZZNS1_14partition_implILS8_3ELb0ES6_jNS0_17counting_iteratorIjlEEPS9_SE_NS0_5tupleIJPjSE_EEENSF_IJSE_SE_EEES9_SG_JZNS1_25segmented_radix_sort_implINS0_14default_configELb0EPKfPfPKlPlN2at6native12_GLOBAL__N_18offset_tEEE10hipError_tPvRmT1_PNSt15iterator_traitsISY_E10value_typeET2_T3_PNSZ_IS14_E10value_typeET4_jRbjT5_S1A_jjP12ihipStream_tbEUljE_EEESV_SW_SX_S14_S18_S1A_T6_T7_T9_mT8_S1C_bDpT10_ENKUlT_T0_E_clISt17integral_constantIbLb0EES1P_EEDaS1K_S1L_EUlS1K_E_NS1_11comp_targetILNS1_3genE3ELNS1_11target_archE908ELNS1_3gpuE7ELNS1_3repE0EEENS1_30default_config_static_selectorELNS0_4arch9wavefront6targetE0EEEvSY_
	.p2align	8
	.type	_ZN7rocprim17ROCPRIM_400000_NS6detail17trampoline_kernelINS0_13select_configILj256ELj13ELNS0_17block_load_methodE3ELS4_3ELS4_3ELNS0_20block_scan_algorithmE0ELj4294967295EEENS1_25partition_config_selectorILNS1_17partition_subalgoE3EjNS0_10empty_typeEbEEZZNS1_14partition_implILS8_3ELb0ES6_jNS0_17counting_iteratorIjlEEPS9_SE_NS0_5tupleIJPjSE_EEENSF_IJSE_SE_EEES9_SG_JZNS1_25segmented_radix_sort_implINS0_14default_configELb0EPKfPfPKlPlN2at6native12_GLOBAL__N_18offset_tEEE10hipError_tPvRmT1_PNSt15iterator_traitsISY_E10value_typeET2_T3_PNSZ_IS14_E10value_typeET4_jRbjT5_S1A_jjP12ihipStream_tbEUljE_EEESV_SW_SX_S14_S18_S1A_T6_T7_T9_mT8_S1C_bDpT10_ENKUlT_T0_E_clISt17integral_constantIbLb0EES1P_EEDaS1K_S1L_EUlS1K_E_NS1_11comp_targetILNS1_3genE3ELNS1_11target_archE908ELNS1_3gpuE7ELNS1_3repE0EEENS1_30default_config_static_selectorELNS0_4arch9wavefront6targetE0EEEvSY_,@function
_ZN7rocprim17ROCPRIM_400000_NS6detail17trampoline_kernelINS0_13select_configILj256ELj13ELNS0_17block_load_methodE3ELS4_3ELS4_3ELNS0_20block_scan_algorithmE0ELj4294967295EEENS1_25partition_config_selectorILNS1_17partition_subalgoE3EjNS0_10empty_typeEbEEZZNS1_14partition_implILS8_3ELb0ES6_jNS0_17counting_iteratorIjlEEPS9_SE_NS0_5tupleIJPjSE_EEENSF_IJSE_SE_EEES9_SG_JZNS1_25segmented_radix_sort_implINS0_14default_configELb0EPKfPfPKlPlN2at6native12_GLOBAL__N_18offset_tEEE10hipError_tPvRmT1_PNSt15iterator_traitsISY_E10value_typeET2_T3_PNSZ_IS14_E10value_typeET4_jRbjT5_S1A_jjP12ihipStream_tbEUljE_EEESV_SW_SX_S14_S18_S1A_T6_T7_T9_mT8_S1C_bDpT10_ENKUlT_T0_E_clISt17integral_constantIbLb0EES1P_EEDaS1K_S1L_EUlS1K_E_NS1_11comp_targetILNS1_3genE3ELNS1_11target_archE908ELNS1_3gpuE7ELNS1_3repE0EEENS1_30default_config_static_selectorELNS0_4arch9wavefront6targetE0EEEvSY_: ; @_ZN7rocprim17ROCPRIM_400000_NS6detail17trampoline_kernelINS0_13select_configILj256ELj13ELNS0_17block_load_methodE3ELS4_3ELS4_3ELNS0_20block_scan_algorithmE0ELj4294967295EEENS1_25partition_config_selectorILNS1_17partition_subalgoE3EjNS0_10empty_typeEbEEZZNS1_14partition_implILS8_3ELb0ES6_jNS0_17counting_iteratorIjlEEPS9_SE_NS0_5tupleIJPjSE_EEENSF_IJSE_SE_EEES9_SG_JZNS1_25segmented_radix_sort_implINS0_14default_configELb0EPKfPfPKlPlN2at6native12_GLOBAL__N_18offset_tEEE10hipError_tPvRmT1_PNSt15iterator_traitsISY_E10value_typeET2_T3_PNSZ_IS14_E10value_typeET4_jRbjT5_S1A_jjP12ihipStream_tbEUljE_EEESV_SW_SX_S14_S18_S1A_T6_T7_T9_mT8_S1C_bDpT10_ENKUlT_T0_E_clISt17integral_constantIbLb0EES1P_EEDaS1K_S1L_EUlS1K_E_NS1_11comp_targetILNS1_3genE3ELNS1_11target_archE908ELNS1_3gpuE7ELNS1_3repE0EEENS1_30default_config_static_selectorELNS0_4arch9wavefront6targetE0EEEvSY_
; %bb.0:
	.section	.rodata,"a",@progbits
	.p2align	6, 0x0
	.amdhsa_kernel _ZN7rocprim17ROCPRIM_400000_NS6detail17trampoline_kernelINS0_13select_configILj256ELj13ELNS0_17block_load_methodE3ELS4_3ELS4_3ELNS0_20block_scan_algorithmE0ELj4294967295EEENS1_25partition_config_selectorILNS1_17partition_subalgoE3EjNS0_10empty_typeEbEEZZNS1_14partition_implILS8_3ELb0ES6_jNS0_17counting_iteratorIjlEEPS9_SE_NS0_5tupleIJPjSE_EEENSF_IJSE_SE_EEES9_SG_JZNS1_25segmented_radix_sort_implINS0_14default_configELb0EPKfPfPKlPlN2at6native12_GLOBAL__N_18offset_tEEE10hipError_tPvRmT1_PNSt15iterator_traitsISY_E10value_typeET2_T3_PNSZ_IS14_E10value_typeET4_jRbjT5_S1A_jjP12ihipStream_tbEUljE_EEESV_SW_SX_S14_S18_S1A_T6_T7_T9_mT8_S1C_bDpT10_ENKUlT_T0_E_clISt17integral_constantIbLb0EES1P_EEDaS1K_S1L_EUlS1K_E_NS1_11comp_targetILNS1_3genE3ELNS1_11target_archE908ELNS1_3gpuE7ELNS1_3repE0EEENS1_30default_config_static_selectorELNS0_4arch9wavefront6targetE0EEEvSY_
		.amdhsa_group_segment_fixed_size 0
		.amdhsa_private_segment_fixed_size 0
		.amdhsa_kernarg_size 144
		.amdhsa_user_sgpr_count 6
		.amdhsa_user_sgpr_private_segment_buffer 1
		.amdhsa_user_sgpr_dispatch_ptr 0
		.amdhsa_user_sgpr_queue_ptr 0
		.amdhsa_user_sgpr_kernarg_segment_ptr 1
		.amdhsa_user_sgpr_dispatch_id 0
		.amdhsa_user_sgpr_flat_scratch_init 0
		.amdhsa_user_sgpr_private_segment_size 0
		.amdhsa_wavefront_size32 1
		.amdhsa_uses_dynamic_stack 0
		.amdhsa_system_sgpr_private_segment_wavefront_offset 0
		.amdhsa_system_sgpr_workgroup_id_x 1
		.amdhsa_system_sgpr_workgroup_id_y 0
		.amdhsa_system_sgpr_workgroup_id_z 0
		.amdhsa_system_sgpr_workgroup_info 0
		.amdhsa_system_vgpr_workitem_id 0
		.amdhsa_next_free_vgpr 1
		.amdhsa_next_free_sgpr 1
		.amdhsa_reserve_vcc 0
		.amdhsa_reserve_flat_scratch 0
		.amdhsa_float_round_mode_32 0
		.amdhsa_float_round_mode_16_64 0
		.amdhsa_float_denorm_mode_32 3
		.amdhsa_float_denorm_mode_16_64 3
		.amdhsa_dx10_clamp 1
		.amdhsa_ieee_mode 1
		.amdhsa_fp16_overflow 0
		.amdhsa_workgroup_processor_mode 1
		.amdhsa_memory_ordered 1
		.amdhsa_forward_progress 1
		.amdhsa_shared_vgpr_count 0
		.amdhsa_exception_fp_ieee_invalid_op 0
		.amdhsa_exception_fp_denorm_src 0
		.amdhsa_exception_fp_ieee_div_zero 0
		.amdhsa_exception_fp_ieee_overflow 0
		.amdhsa_exception_fp_ieee_underflow 0
		.amdhsa_exception_fp_ieee_inexact 0
		.amdhsa_exception_int_div_zero 0
	.end_amdhsa_kernel
	.section	.text._ZN7rocprim17ROCPRIM_400000_NS6detail17trampoline_kernelINS0_13select_configILj256ELj13ELNS0_17block_load_methodE3ELS4_3ELS4_3ELNS0_20block_scan_algorithmE0ELj4294967295EEENS1_25partition_config_selectorILNS1_17partition_subalgoE3EjNS0_10empty_typeEbEEZZNS1_14partition_implILS8_3ELb0ES6_jNS0_17counting_iteratorIjlEEPS9_SE_NS0_5tupleIJPjSE_EEENSF_IJSE_SE_EEES9_SG_JZNS1_25segmented_radix_sort_implINS0_14default_configELb0EPKfPfPKlPlN2at6native12_GLOBAL__N_18offset_tEEE10hipError_tPvRmT1_PNSt15iterator_traitsISY_E10value_typeET2_T3_PNSZ_IS14_E10value_typeET4_jRbjT5_S1A_jjP12ihipStream_tbEUljE_EEESV_SW_SX_S14_S18_S1A_T6_T7_T9_mT8_S1C_bDpT10_ENKUlT_T0_E_clISt17integral_constantIbLb0EES1P_EEDaS1K_S1L_EUlS1K_E_NS1_11comp_targetILNS1_3genE3ELNS1_11target_archE908ELNS1_3gpuE7ELNS1_3repE0EEENS1_30default_config_static_selectorELNS0_4arch9wavefront6targetE0EEEvSY_,"axG",@progbits,_ZN7rocprim17ROCPRIM_400000_NS6detail17trampoline_kernelINS0_13select_configILj256ELj13ELNS0_17block_load_methodE3ELS4_3ELS4_3ELNS0_20block_scan_algorithmE0ELj4294967295EEENS1_25partition_config_selectorILNS1_17partition_subalgoE3EjNS0_10empty_typeEbEEZZNS1_14partition_implILS8_3ELb0ES6_jNS0_17counting_iteratorIjlEEPS9_SE_NS0_5tupleIJPjSE_EEENSF_IJSE_SE_EEES9_SG_JZNS1_25segmented_radix_sort_implINS0_14default_configELb0EPKfPfPKlPlN2at6native12_GLOBAL__N_18offset_tEEE10hipError_tPvRmT1_PNSt15iterator_traitsISY_E10value_typeET2_T3_PNSZ_IS14_E10value_typeET4_jRbjT5_S1A_jjP12ihipStream_tbEUljE_EEESV_SW_SX_S14_S18_S1A_T6_T7_T9_mT8_S1C_bDpT10_ENKUlT_T0_E_clISt17integral_constantIbLb0EES1P_EEDaS1K_S1L_EUlS1K_E_NS1_11comp_targetILNS1_3genE3ELNS1_11target_archE908ELNS1_3gpuE7ELNS1_3repE0EEENS1_30default_config_static_selectorELNS0_4arch9wavefront6targetE0EEEvSY_,comdat
.Lfunc_end1391:
	.size	_ZN7rocprim17ROCPRIM_400000_NS6detail17trampoline_kernelINS0_13select_configILj256ELj13ELNS0_17block_load_methodE3ELS4_3ELS4_3ELNS0_20block_scan_algorithmE0ELj4294967295EEENS1_25partition_config_selectorILNS1_17partition_subalgoE3EjNS0_10empty_typeEbEEZZNS1_14partition_implILS8_3ELb0ES6_jNS0_17counting_iteratorIjlEEPS9_SE_NS0_5tupleIJPjSE_EEENSF_IJSE_SE_EEES9_SG_JZNS1_25segmented_radix_sort_implINS0_14default_configELb0EPKfPfPKlPlN2at6native12_GLOBAL__N_18offset_tEEE10hipError_tPvRmT1_PNSt15iterator_traitsISY_E10value_typeET2_T3_PNSZ_IS14_E10value_typeET4_jRbjT5_S1A_jjP12ihipStream_tbEUljE_EEESV_SW_SX_S14_S18_S1A_T6_T7_T9_mT8_S1C_bDpT10_ENKUlT_T0_E_clISt17integral_constantIbLb0EES1P_EEDaS1K_S1L_EUlS1K_E_NS1_11comp_targetILNS1_3genE3ELNS1_11target_archE908ELNS1_3gpuE7ELNS1_3repE0EEENS1_30default_config_static_selectorELNS0_4arch9wavefront6targetE0EEEvSY_, .Lfunc_end1391-_ZN7rocprim17ROCPRIM_400000_NS6detail17trampoline_kernelINS0_13select_configILj256ELj13ELNS0_17block_load_methodE3ELS4_3ELS4_3ELNS0_20block_scan_algorithmE0ELj4294967295EEENS1_25partition_config_selectorILNS1_17partition_subalgoE3EjNS0_10empty_typeEbEEZZNS1_14partition_implILS8_3ELb0ES6_jNS0_17counting_iteratorIjlEEPS9_SE_NS0_5tupleIJPjSE_EEENSF_IJSE_SE_EEES9_SG_JZNS1_25segmented_radix_sort_implINS0_14default_configELb0EPKfPfPKlPlN2at6native12_GLOBAL__N_18offset_tEEE10hipError_tPvRmT1_PNSt15iterator_traitsISY_E10value_typeET2_T3_PNSZ_IS14_E10value_typeET4_jRbjT5_S1A_jjP12ihipStream_tbEUljE_EEESV_SW_SX_S14_S18_S1A_T6_T7_T9_mT8_S1C_bDpT10_ENKUlT_T0_E_clISt17integral_constantIbLb0EES1P_EEDaS1K_S1L_EUlS1K_E_NS1_11comp_targetILNS1_3genE3ELNS1_11target_archE908ELNS1_3gpuE7ELNS1_3repE0EEENS1_30default_config_static_selectorELNS0_4arch9wavefront6targetE0EEEvSY_
                                        ; -- End function
	.set _ZN7rocprim17ROCPRIM_400000_NS6detail17trampoline_kernelINS0_13select_configILj256ELj13ELNS0_17block_load_methodE3ELS4_3ELS4_3ELNS0_20block_scan_algorithmE0ELj4294967295EEENS1_25partition_config_selectorILNS1_17partition_subalgoE3EjNS0_10empty_typeEbEEZZNS1_14partition_implILS8_3ELb0ES6_jNS0_17counting_iteratorIjlEEPS9_SE_NS0_5tupleIJPjSE_EEENSF_IJSE_SE_EEES9_SG_JZNS1_25segmented_radix_sort_implINS0_14default_configELb0EPKfPfPKlPlN2at6native12_GLOBAL__N_18offset_tEEE10hipError_tPvRmT1_PNSt15iterator_traitsISY_E10value_typeET2_T3_PNSZ_IS14_E10value_typeET4_jRbjT5_S1A_jjP12ihipStream_tbEUljE_EEESV_SW_SX_S14_S18_S1A_T6_T7_T9_mT8_S1C_bDpT10_ENKUlT_T0_E_clISt17integral_constantIbLb0EES1P_EEDaS1K_S1L_EUlS1K_E_NS1_11comp_targetILNS1_3genE3ELNS1_11target_archE908ELNS1_3gpuE7ELNS1_3repE0EEENS1_30default_config_static_selectorELNS0_4arch9wavefront6targetE0EEEvSY_.num_vgpr, 0
	.set _ZN7rocprim17ROCPRIM_400000_NS6detail17trampoline_kernelINS0_13select_configILj256ELj13ELNS0_17block_load_methodE3ELS4_3ELS4_3ELNS0_20block_scan_algorithmE0ELj4294967295EEENS1_25partition_config_selectorILNS1_17partition_subalgoE3EjNS0_10empty_typeEbEEZZNS1_14partition_implILS8_3ELb0ES6_jNS0_17counting_iteratorIjlEEPS9_SE_NS0_5tupleIJPjSE_EEENSF_IJSE_SE_EEES9_SG_JZNS1_25segmented_radix_sort_implINS0_14default_configELb0EPKfPfPKlPlN2at6native12_GLOBAL__N_18offset_tEEE10hipError_tPvRmT1_PNSt15iterator_traitsISY_E10value_typeET2_T3_PNSZ_IS14_E10value_typeET4_jRbjT5_S1A_jjP12ihipStream_tbEUljE_EEESV_SW_SX_S14_S18_S1A_T6_T7_T9_mT8_S1C_bDpT10_ENKUlT_T0_E_clISt17integral_constantIbLb0EES1P_EEDaS1K_S1L_EUlS1K_E_NS1_11comp_targetILNS1_3genE3ELNS1_11target_archE908ELNS1_3gpuE7ELNS1_3repE0EEENS1_30default_config_static_selectorELNS0_4arch9wavefront6targetE0EEEvSY_.num_agpr, 0
	.set _ZN7rocprim17ROCPRIM_400000_NS6detail17trampoline_kernelINS0_13select_configILj256ELj13ELNS0_17block_load_methodE3ELS4_3ELS4_3ELNS0_20block_scan_algorithmE0ELj4294967295EEENS1_25partition_config_selectorILNS1_17partition_subalgoE3EjNS0_10empty_typeEbEEZZNS1_14partition_implILS8_3ELb0ES6_jNS0_17counting_iteratorIjlEEPS9_SE_NS0_5tupleIJPjSE_EEENSF_IJSE_SE_EEES9_SG_JZNS1_25segmented_radix_sort_implINS0_14default_configELb0EPKfPfPKlPlN2at6native12_GLOBAL__N_18offset_tEEE10hipError_tPvRmT1_PNSt15iterator_traitsISY_E10value_typeET2_T3_PNSZ_IS14_E10value_typeET4_jRbjT5_S1A_jjP12ihipStream_tbEUljE_EEESV_SW_SX_S14_S18_S1A_T6_T7_T9_mT8_S1C_bDpT10_ENKUlT_T0_E_clISt17integral_constantIbLb0EES1P_EEDaS1K_S1L_EUlS1K_E_NS1_11comp_targetILNS1_3genE3ELNS1_11target_archE908ELNS1_3gpuE7ELNS1_3repE0EEENS1_30default_config_static_selectorELNS0_4arch9wavefront6targetE0EEEvSY_.numbered_sgpr, 0
	.set _ZN7rocprim17ROCPRIM_400000_NS6detail17trampoline_kernelINS0_13select_configILj256ELj13ELNS0_17block_load_methodE3ELS4_3ELS4_3ELNS0_20block_scan_algorithmE0ELj4294967295EEENS1_25partition_config_selectorILNS1_17partition_subalgoE3EjNS0_10empty_typeEbEEZZNS1_14partition_implILS8_3ELb0ES6_jNS0_17counting_iteratorIjlEEPS9_SE_NS0_5tupleIJPjSE_EEENSF_IJSE_SE_EEES9_SG_JZNS1_25segmented_radix_sort_implINS0_14default_configELb0EPKfPfPKlPlN2at6native12_GLOBAL__N_18offset_tEEE10hipError_tPvRmT1_PNSt15iterator_traitsISY_E10value_typeET2_T3_PNSZ_IS14_E10value_typeET4_jRbjT5_S1A_jjP12ihipStream_tbEUljE_EEESV_SW_SX_S14_S18_S1A_T6_T7_T9_mT8_S1C_bDpT10_ENKUlT_T0_E_clISt17integral_constantIbLb0EES1P_EEDaS1K_S1L_EUlS1K_E_NS1_11comp_targetILNS1_3genE3ELNS1_11target_archE908ELNS1_3gpuE7ELNS1_3repE0EEENS1_30default_config_static_selectorELNS0_4arch9wavefront6targetE0EEEvSY_.num_named_barrier, 0
	.set _ZN7rocprim17ROCPRIM_400000_NS6detail17trampoline_kernelINS0_13select_configILj256ELj13ELNS0_17block_load_methodE3ELS4_3ELS4_3ELNS0_20block_scan_algorithmE0ELj4294967295EEENS1_25partition_config_selectorILNS1_17partition_subalgoE3EjNS0_10empty_typeEbEEZZNS1_14partition_implILS8_3ELb0ES6_jNS0_17counting_iteratorIjlEEPS9_SE_NS0_5tupleIJPjSE_EEENSF_IJSE_SE_EEES9_SG_JZNS1_25segmented_radix_sort_implINS0_14default_configELb0EPKfPfPKlPlN2at6native12_GLOBAL__N_18offset_tEEE10hipError_tPvRmT1_PNSt15iterator_traitsISY_E10value_typeET2_T3_PNSZ_IS14_E10value_typeET4_jRbjT5_S1A_jjP12ihipStream_tbEUljE_EEESV_SW_SX_S14_S18_S1A_T6_T7_T9_mT8_S1C_bDpT10_ENKUlT_T0_E_clISt17integral_constantIbLb0EES1P_EEDaS1K_S1L_EUlS1K_E_NS1_11comp_targetILNS1_3genE3ELNS1_11target_archE908ELNS1_3gpuE7ELNS1_3repE0EEENS1_30default_config_static_selectorELNS0_4arch9wavefront6targetE0EEEvSY_.private_seg_size, 0
	.set _ZN7rocprim17ROCPRIM_400000_NS6detail17trampoline_kernelINS0_13select_configILj256ELj13ELNS0_17block_load_methodE3ELS4_3ELS4_3ELNS0_20block_scan_algorithmE0ELj4294967295EEENS1_25partition_config_selectorILNS1_17partition_subalgoE3EjNS0_10empty_typeEbEEZZNS1_14partition_implILS8_3ELb0ES6_jNS0_17counting_iteratorIjlEEPS9_SE_NS0_5tupleIJPjSE_EEENSF_IJSE_SE_EEES9_SG_JZNS1_25segmented_radix_sort_implINS0_14default_configELb0EPKfPfPKlPlN2at6native12_GLOBAL__N_18offset_tEEE10hipError_tPvRmT1_PNSt15iterator_traitsISY_E10value_typeET2_T3_PNSZ_IS14_E10value_typeET4_jRbjT5_S1A_jjP12ihipStream_tbEUljE_EEESV_SW_SX_S14_S18_S1A_T6_T7_T9_mT8_S1C_bDpT10_ENKUlT_T0_E_clISt17integral_constantIbLb0EES1P_EEDaS1K_S1L_EUlS1K_E_NS1_11comp_targetILNS1_3genE3ELNS1_11target_archE908ELNS1_3gpuE7ELNS1_3repE0EEENS1_30default_config_static_selectorELNS0_4arch9wavefront6targetE0EEEvSY_.uses_vcc, 0
	.set _ZN7rocprim17ROCPRIM_400000_NS6detail17trampoline_kernelINS0_13select_configILj256ELj13ELNS0_17block_load_methodE3ELS4_3ELS4_3ELNS0_20block_scan_algorithmE0ELj4294967295EEENS1_25partition_config_selectorILNS1_17partition_subalgoE3EjNS0_10empty_typeEbEEZZNS1_14partition_implILS8_3ELb0ES6_jNS0_17counting_iteratorIjlEEPS9_SE_NS0_5tupleIJPjSE_EEENSF_IJSE_SE_EEES9_SG_JZNS1_25segmented_radix_sort_implINS0_14default_configELb0EPKfPfPKlPlN2at6native12_GLOBAL__N_18offset_tEEE10hipError_tPvRmT1_PNSt15iterator_traitsISY_E10value_typeET2_T3_PNSZ_IS14_E10value_typeET4_jRbjT5_S1A_jjP12ihipStream_tbEUljE_EEESV_SW_SX_S14_S18_S1A_T6_T7_T9_mT8_S1C_bDpT10_ENKUlT_T0_E_clISt17integral_constantIbLb0EES1P_EEDaS1K_S1L_EUlS1K_E_NS1_11comp_targetILNS1_3genE3ELNS1_11target_archE908ELNS1_3gpuE7ELNS1_3repE0EEENS1_30default_config_static_selectorELNS0_4arch9wavefront6targetE0EEEvSY_.uses_flat_scratch, 0
	.set _ZN7rocprim17ROCPRIM_400000_NS6detail17trampoline_kernelINS0_13select_configILj256ELj13ELNS0_17block_load_methodE3ELS4_3ELS4_3ELNS0_20block_scan_algorithmE0ELj4294967295EEENS1_25partition_config_selectorILNS1_17partition_subalgoE3EjNS0_10empty_typeEbEEZZNS1_14partition_implILS8_3ELb0ES6_jNS0_17counting_iteratorIjlEEPS9_SE_NS0_5tupleIJPjSE_EEENSF_IJSE_SE_EEES9_SG_JZNS1_25segmented_radix_sort_implINS0_14default_configELb0EPKfPfPKlPlN2at6native12_GLOBAL__N_18offset_tEEE10hipError_tPvRmT1_PNSt15iterator_traitsISY_E10value_typeET2_T3_PNSZ_IS14_E10value_typeET4_jRbjT5_S1A_jjP12ihipStream_tbEUljE_EEESV_SW_SX_S14_S18_S1A_T6_T7_T9_mT8_S1C_bDpT10_ENKUlT_T0_E_clISt17integral_constantIbLb0EES1P_EEDaS1K_S1L_EUlS1K_E_NS1_11comp_targetILNS1_3genE3ELNS1_11target_archE908ELNS1_3gpuE7ELNS1_3repE0EEENS1_30default_config_static_selectorELNS0_4arch9wavefront6targetE0EEEvSY_.has_dyn_sized_stack, 0
	.set _ZN7rocprim17ROCPRIM_400000_NS6detail17trampoline_kernelINS0_13select_configILj256ELj13ELNS0_17block_load_methodE3ELS4_3ELS4_3ELNS0_20block_scan_algorithmE0ELj4294967295EEENS1_25partition_config_selectorILNS1_17partition_subalgoE3EjNS0_10empty_typeEbEEZZNS1_14partition_implILS8_3ELb0ES6_jNS0_17counting_iteratorIjlEEPS9_SE_NS0_5tupleIJPjSE_EEENSF_IJSE_SE_EEES9_SG_JZNS1_25segmented_radix_sort_implINS0_14default_configELb0EPKfPfPKlPlN2at6native12_GLOBAL__N_18offset_tEEE10hipError_tPvRmT1_PNSt15iterator_traitsISY_E10value_typeET2_T3_PNSZ_IS14_E10value_typeET4_jRbjT5_S1A_jjP12ihipStream_tbEUljE_EEESV_SW_SX_S14_S18_S1A_T6_T7_T9_mT8_S1C_bDpT10_ENKUlT_T0_E_clISt17integral_constantIbLb0EES1P_EEDaS1K_S1L_EUlS1K_E_NS1_11comp_targetILNS1_3genE3ELNS1_11target_archE908ELNS1_3gpuE7ELNS1_3repE0EEENS1_30default_config_static_selectorELNS0_4arch9wavefront6targetE0EEEvSY_.has_recursion, 0
	.set _ZN7rocprim17ROCPRIM_400000_NS6detail17trampoline_kernelINS0_13select_configILj256ELj13ELNS0_17block_load_methodE3ELS4_3ELS4_3ELNS0_20block_scan_algorithmE0ELj4294967295EEENS1_25partition_config_selectorILNS1_17partition_subalgoE3EjNS0_10empty_typeEbEEZZNS1_14partition_implILS8_3ELb0ES6_jNS0_17counting_iteratorIjlEEPS9_SE_NS0_5tupleIJPjSE_EEENSF_IJSE_SE_EEES9_SG_JZNS1_25segmented_radix_sort_implINS0_14default_configELb0EPKfPfPKlPlN2at6native12_GLOBAL__N_18offset_tEEE10hipError_tPvRmT1_PNSt15iterator_traitsISY_E10value_typeET2_T3_PNSZ_IS14_E10value_typeET4_jRbjT5_S1A_jjP12ihipStream_tbEUljE_EEESV_SW_SX_S14_S18_S1A_T6_T7_T9_mT8_S1C_bDpT10_ENKUlT_T0_E_clISt17integral_constantIbLb0EES1P_EEDaS1K_S1L_EUlS1K_E_NS1_11comp_targetILNS1_3genE3ELNS1_11target_archE908ELNS1_3gpuE7ELNS1_3repE0EEENS1_30default_config_static_selectorELNS0_4arch9wavefront6targetE0EEEvSY_.has_indirect_call, 0
	.section	.AMDGPU.csdata,"",@progbits
; Kernel info:
; codeLenInByte = 0
; TotalNumSgprs: 0
; NumVgprs: 0
; ScratchSize: 0
; MemoryBound: 0
; FloatMode: 240
; IeeeMode: 1
; LDSByteSize: 0 bytes/workgroup (compile time only)
; SGPRBlocks: 0
; VGPRBlocks: 0
; NumSGPRsForWavesPerEU: 1
; NumVGPRsForWavesPerEU: 1
; Occupancy: 16
; WaveLimiterHint : 0
; COMPUTE_PGM_RSRC2:SCRATCH_EN: 0
; COMPUTE_PGM_RSRC2:USER_SGPR: 6
; COMPUTE_PGM_RSRC2:TRAP_HANDLER: 0
; COMPUTE_PGM_RSRC2:TGID_X_EN: 1
; COMPUTE_PGM_RSRC2:TGID_Y_EN: 0
; COMPUTE_PGM_RSRC2:TGID_Z_EN: 0
; COMPUTE_PGM_RSRC2:TIDIG_COMP_CNT: 0
	.section	.text._ZN7rocprim17ROCPRIM_400000_NS6detail17trampoline_kernelINS0_13select_configILj256ELj13ELNS0_17block_load_methodE3ELS4_3ELS4_3ELNS0_20block_scan_algorithmE0ELj4294967295EEENS1_25partition_config_selectorILNS1_17partition_subalgoE3EjNS0_10empty_typeEbEEZZNS1_14partition_implILS8_3ELb0ES6_jNS0_17counting_iteratorIjlEEPS9_SE_NS0_5tupleIJPjSE_EEENSF_IJSE_SE_EEES9_SG_JZNS1_25segmented_radix_sort_implINS0_14default_configELb0EPKfPfPKlPlN2at6native12_GLOBAL__N_18offset_tEEE10hipError_tPvRmT1_PNSt15iterator_traitsISY_E10value_typeET2_T3_PNSZ_IS14_E10value_typeET4_jRbjT5_S1A_jjP12ihipStream_tbEUljE_EEESV_SW_SX_S14_S18_S1A_T6_T7_T9_mT8_S1C_bDpT10_ENKUlT_T0_E_clISt17integral_constantIbLb0EES1P_EEDaS1K_S1L_EUlS1K_E_NS1_11comp_targetILNS1_3genE2ELNS1_11target_archE906ELNS1_3gpuE6ELNS1_3repE0EEENS1_30default_config_static_selectorELNS0_4arch9wavefront6targetE0EEEvSY_,"axG",@progbits,_ZN7rocprim17ROCPRIM_400000_NS6detail17trampoline_kernelINS0_13select_configILj256ELj13ELNS0_17block_load_methodE3ELS4_3ELS4_3ELNS0_20block_scan_algorithmE0ELj4294967295EEENS1_25partition_config_selectorILNS1_17partition_subalgoE3EjNS0_10empty_typeEbEEZZNS1_14partition_implILS8_3ELb0ES6_jNS0_17counting_iteratorIjlEEPS9_SE_NS0_5tupleIJPjSE_EEENSF_IJSE_SE_EEES9_SG_JZNS1_25segmented_radix_sort_implINS0_14default_configELb0EPKfPfPKlPlN2at6native12_GLOBAL__N_18offset_tEEE10hipError_tPvRmT1_PNSt15iterator_traitsISY_E10value_typeET2_T3_PNSZ_IS14_E10value_typeET4_jRbjT5_S1A_jjP12ihipStream_tbEUljE_EEESV_SW_SX_S14_S18_S1A_T6_T7_T9_mT8_S1C_bDpT10_ENKUlT_T0_E_clISt17integral_constantIbLb0EES1P_EEDaS1K_S1L_EUlS1K_E_NS1_11comp_targetILNS1_3genE2ELNS1_11target_archE906ELNS1_3gpuE6ELNS1_3repE0EEENS1_30default_config_static_selectorELNS0_4arch9wavefront6targetE0EEEvSY_,comdat
	.globl	_ZN7rocprim17ROCPRIM_400000_NS6detail17trampoline_kernelINS0_13select_configILj256ELj13ELNS0_17block_load_methodE3ELS4_3ELS4_3ELNS0_20block_scan_algorithmE0ELj4294967295EEENS1_25partition_config_selectorILNS1_17partition_subalgoE3EjNS0_10empty_typeEbEEZZNS1_14partition_implILS8_3ELb0ES6_jNS0_17counting_iteratorIjlEEPS9_SE_NS0_5tupleIJPjSE_EEENSF_IJSE_SE_EEES9_SG_JZNS1_25segmented_radix_sort_implINS0_14default_configELb0EPKfPfPKlPlN2at6native12_GLOBAL__N_18offset_tEEE10hipError_tPvRmT1_PNSt15iterator_traitsISY_E10value_typeET2_T3_PNSZ_IS14_E10value_typeET4_jRbjT5_S1A_jjP12ihipStream_tbEUljE_EEESV_SW_SX_S14_S18_S1A_T6_T7_T9_mT8_S1C_bDpT10_ENKUlT_T0_E_clISt17integral_constantIbLb0EES1P_EEDaS1K_S1L_EUlS1K_E_NS1_11comp_targetILNS1_3genE2ELNS1_11target_archE906ELNS1_3gpuE6ELNS1_3repE0EEENS1_30default_config_static_selectorELNS0_4arch9wavefront6targetE0EEEvSY_ ; -- Begin function _ZN7rocprim17ROCPRIM_400000_NS6detail17trampoline_kernelINS0_13select_configILj256ELj13ELNS0_17block_load_methodE3ELS4_3ELS4_3ELNS0_20block_scan_algorithmE0ELj4294967295EEENS1_25partition_config_selectorILNS1_17partition_subalgoE3EjNS0_10empty_typeEbEEZZNS1_14partition_implILS8_3ELb0ES6_jNS0_17counting_iteratorIjlEEPS9_SE_NS0_5tupleIJPjSE_EEENSF_IJSE_SE_EEES9_SG_JZNS1_25segmented_radix_sort_implINS0_14default_configELb0EPKfPfPKlPlN2at6native12_GLOBAL__N_18offset_tEEE10hipError_tPvRmT1_PNSt15iterator_traitsISY_E10value_typeET2_T3_PNSZ_IS14_E10value_typeET4_jRbjT5_S1A_jjP12ihipStream_tbEUljE_EEESV_SW_SX_S14_S18_S1A_T6_T7_T9_mT8_S1C_bDpT10_ENKUlT_T0_E_clISt17integral_constantIbLb0EES1P_EEDaS1K_S1L_EUlS1K_E_NS1_11comp_targetILNS1_3genE2ELNS1_11target_archE906ELNS1_3gpuE6ELNS1_3repE0EEENS1_30default_config_static_selectorELNS0_4arch9wavefront6targetE0EEEvSY_
	.p2align	8
	.type	_ZN7rocprim17ROCPRIM_400000_NS6detail17trampoline_kernelINS0_13select_configILj256ELj13ELNS0_17block_load_methodE3ELS4_3ELS4_3ELNS0_20block_scan_algorithmE0ELj4294967295EEENS1_25partition_config_selectorILNS1_17partition_subalgoE3EjNS0_10empty_typeEbEEZZNS1_14partition_implILS8_3ELb0ES6_jNS0_17counting_iteratorIjlEEPS9_SE_NS0_5tupleIJPjSE_EEENSF_IJSE_SE_EEES9_SG_JZNS1_25segmented_radix_sort_implINS0_14default_configELb0EPKfPfPKlPlN2at6native12_GLOBAL__N_18offset_tEEE10hipError_tPvRmT1_PNSt15iterator_traitsISY_E10value_typeET2_T3_PNSZ_IS14_E10value_typeET4_jRbjT5_S1A_jjP12ihipStream_tbEUljE_EEESV_SW_SX_S14_S18_S1A_T6_T7_T9_mT8_S1C_bDpT10_ENKUlT_T0_E_clISt17integral_constantIbLb0EES1P_EEDaS1K_S1L_EUlS1K_E_NS1_11comp_targetILNS1_3genE2ELNS1_11target_archE906ELNS1_3gpuE6ELNS1_3repE0EEENS1_30default_config_static_selectorELNS0_4arch9wavefront6targetE0EEEvSY_,@function
_ZN7rocprim17ROCPRIM_400000_NS6detail17trampoline_kernelINS0_13select_configILj256ELj13ELNS0_17block_load_methodE3ELS4_3ELS4_3ELNS0_20block_scan_algorithmE0ELj4294967295EEENS1_25partition_config_selectorILNS1_17partition_subalgoE3EjNS0_10empty_typeEbEEZZNS1_14partition_implILS8_3ELb0ES6_jNS0_17counting_iteratorIjlEEPS9_SE_NS0_5tupleIJPjSE_EEENSF_IJSE_SE_EEES9_SG_JZNS1_25segmented_radix_sort_implINS0_14default_configELb0EPKfPfPKlPlN2at6native12_GLOBAL__N_18offset_tEEE10hipError_tPvRmT1_PNSt15iterator_traitsISY_E10value_typeET2_T3_PNSZ_IS14_E10value_typeET4_jRbjT5_S1A_jjP12ihipStream_tbEUljE_EEESV_SW_SX_S14_S18_S1A_T6_T7_T9_mT8_S1C_bDpT10_ENKUlT_T0_E_clISt17integral_constantIbLb0EES1P_EEDaS1K_S1L_EUlS1K_E_NS1_11comp_targetILNS1_3genE2ELNS1_11target_archE906ELNS1_3gpuE6ELNS1_3repE0EEENS1_30default_config_static_selectorELNS0_4arch9wavefront6targetE0EEEvSY_: ; @_ZN7rocprim17ROCPRIM_400000_NS6detail17trampoline_kernelINS0_13select_configILj256ELj13ELNS0_17block_load_methodE3ELS4_3ELS4_3ELNS0_20block_scan_algorithmE0ELj4294967295EEENS1_25partition_config_selectorILNS1_17partition_subalgoE3EjNS0_10empty_typeEbEEZZNS1_14partition_implILS8_3ELb0ES6_jNS0_17counting_iteratorIjlEEPS9_SE_NS0_5tupleIJPjSE_EEENSF_IJSE_SE_EEES9_SG_JZNS1_25segmented_radix_sort_implINS0_14default_configELb0EPKfPfPKlPlN2at6native12_GLOBAL__N_18offset_tEEE10hipError_tPvRmT1_PNSt15iterator_traitsISY_E10value_typeET2_T3_PNSZ_IS14_E10value_typeET4_jRbjT5_S1A_jjP12ihipStream_tbEUljE_EEESV_SW_SX_S14_S18_S1A_T6_T7_T9_mT8_S1C_bDpT10_ENKUlT_T0_E_clISt17integral_constantIbLb0EES1P_EEDaS1K_S1L_EUlS1K_E_NS1_11comp_targetILNS1_3genE2ELNS1_11target_archE906ELNS1_3gpuE6ELNS1_3repE0EEENS1_30default_config_static_selectorELNS0_4arch9wavefront6targetE0EEEvSY_
; %bb.0:
	.section	.rodata,"a",@progbits
	.p2align	6, 0x0
	.amdhsa_kernel _ZN7rocprim17ROCPRIM_400000_NS6detail17trampoline_kernelINS0_13select_configILj256ELj13ELNS0_17block_load_methodE3ELS4_3ELS4_3ELNS0_20block_scan_algorithmE0ELj4294967295EEENS1_25partition_config_selectorILNS1_17partition_subalgoE3EjNS0_10empty_typeEbEEZZNS1_14partition_implILS8_3ELb0ES6_jNS0_17counting_iteratorIjlEEPS9_SE_NS0_5tupleIJPjSE_EEENSF_IJSE_SE_EEES9_SG_JZNS1_25segmented_radix_sort_implINS0_14default_configELb0EPKfPfPKlPlN2at6native12_GLOBAL__N_18offset_tEEE10hipError_tPvRmT1_PNSt15iterator_traitsISY_E10value_typeET2_T3_PNSZ_IS14_E10value_typeET4_jRbjT5_S1A_jjP12ihipStream_tbEUljE_EEESV_SW_SX_S14_S18_S1A_T6_T7_T9_mT8_S1C_bDpT10_ENKUlT_T0_E_clISt17integral_constantIbLb0EES1P_EEDaS1K_S1L_EUlS1K_E_NS1_11comp_targetILNS1_3genE2ELNS1_11target_archE906ELNS1_3gpuE6ELNS1_3repE0EEENS1_30default_config_static_selectorELNS0_4arch9wavefront6targetE0EEEvSY_
		.amdhsa_group_segment_fixed_size 0
		.amdhsa_private_segment_fixed_size 0
		.amdhsa_kernarg_size 144
		.amdhsa_user_sgpr_count 6
		.amdhsa_user_sgpr_private_segment_buffer 1
		.amdhsa_user_sgpr_dispatch_ptr 0
		.amdhsa_user_sgpr_queue_ptr 0
		.amdhsa_user_sgpr_kernarg_segment_ptr 1
		.amdhsa_user_sgpr_dispatch_id 0
		.amdhsa_user_sgpr_flat_scratch_init 0
		.amdhsa_user_sgpr_private_segment_size 0
		.amdhsa_wavefront_size32 1
		.amdhsa_uses_dynamic_stack 0
		.amdhsa_system_sgpr_private_segment_wavefront_offset 0
		.amdhsa_system_sgpr_workgroup_id_x 1
		.amdhsa_system_sgpr_workgroup_id_y 0
		.amdhsa_system_sgpr_workgroup_id_z 0
		.amdhsa_system_sgpr_workgroup_info 0
		.amdhsa_system_vgpr_workitem_id 0
		.amdhsa_next_free_vgpr 1
		.amdhsa_next_free_sgpr 1
		.amdhsa_reserve_vcc 0
		.amdhsa_reserve_flat_scratch 0
		.amdhsa_float_round_mode_32 0
		.amdhsa_float_round_mode_16_64 0
		.amdhsa_float_denorm_mode_32 3
		.amdhsa_float_denorm_mode_16_64 3
		.amdhsa_dx10_clamp 1
		.amdhsa_ieee_mode 1
		.amdhsa_fp16_overflow 0
		.amdhsa_workgroup_processor_mode 1
		.amdhsa_memory_ordered 1
		.amdhsa_forward_progress 1
		.amdhsa_shared_vgpr_count 0
		.amdhsa_exception_fp_ieee_invalid_op 0
		.amdhsa_exception_fp_denorm_src 0
		.amdhsa_exception_fp_ieee_div_zero 0
		.amdhsa_exception_fp_ieee_overflow 0
		.amdhsa_exception_fp_ieee_underflow 0
		.amdhsa_exception_fp_ieee_inexact 0
		.amdhsa_exception_int_div_zero 0
	.end_amdhsa_kernel
	.section	.text._ZN7rocprim17ROCPRIM_400000_NS6detail17trampoline_kernelINS0_13select_configILj256ELj13ELNS0_17block_load_methodE3ELS4_3ELS4_3ELNS0_20block_scan_algorithmE0ELj4294967295EEENS1_25partition_config_selectorILNS1_17partition_subalgoE3EjNS0_10empty_typeEbEEZZNS1_14partition_implILS8_3ELb0ES6_jNS0_17counting_iteratorIjlEEPS9_SE_NS0_5tupleIJPjSE_EEENSF_IJSE_SE_EEES9_SG_JZNS1_25segmented_radix_sort_implINS0_14default_configELb0EPKfPfPKlPlN2at6native12_GLOBAL__N_18offset_tEEE10hipError_tPvRmT1_PNSt15iterator_traitsISY_E10value_typeET2_T3_PNSZ_IS14_E10value_typeET4_jRbjT5_S1A_jjP12ihipStream_tbEUljE_EEESV_SW_SX_S14_S18_S1A_T6_T7_T9_mT8_S1C_bDpT10_ENKUlT_T0_E_clISt17integral_constantIbLb0EES1P_EEDaS1K_S1L_EUlS1K_E_NS1_11comp_targetILNS1_3genE2ELNS1_11target_archE906ELNS1_3gpuE6ELNS1_3repE0EEENS1_30default_config_static_selectorELNS0_4arch9wavefront6targetE0EEEvSY_,"axG",@progbits,_ZN7rocprim17ROCPRIM_400000_NS6detail17trampoline_kernelINS0_13select_configILj256ELj13ELNS0_17block_load_methodE3ELS4_3ELS4_3ELNS0_20block_scan_algorithmE0ELj4294967295EEENS1_25partition_config_selectorILNS1_17partition_subalgoE3EjNS0_10empty_typeEbEEZZNS1_14partition_implILS8_3ELb0ES6_jNS0_17counting_iteratorIjlEEPS9_SE_NS0_5tupleIJPjSE_EEENSF_IJSE_SE_EEES9_SG_JZNS1_25segmented_radix_sort_implINS0_14default_configELb0EPKfPfPKlPlN2at6native12_GLOBAL__N_18offset_tEEE10hipError_tPvRmT1_PNSt15iterator_traitsISY_E10value_typeET2_T3_PNSZ_IS14_E10value_typeET4_jRbjT5_S1A_jjP12ihipStream_tbEUljE_EEESV_SW_SX_S14_S18_S1A_T6_T7_T9_mT8_S1C_bDpT10_ENKUlT_T0_E_clISt17integral_constantIbLb0EES1P_EEDaS1K_S1L_EUlS1K_E_NS1_11comp_targetILNS1_3genE2ELNS1_11target_archE906ELNS1_3gpuE6ELNS1_3repE0EEENS1_30default_config_static_selectorELNS0_4arch9wavefront6targetE0EEEvSY_,comdat
.Lfunc_end1392:
	.size	_ZN7rocprim17ROCPRIM_400000_NS6detail17trampoline_kernelINS0_13select_configILj256ELj13ELNS0_17block_load_methodE3ELS4_3ELS4_3ELNS0_20block_scan_algorithmE0ELj4294967295EEENS1_25partition_config_selectorILNS1_17partition_subalgoE3EjNS0_10empty_typeEbEEZZNS1_14partition_implILS8_3ELb0ES6_jNS0_17counting_iteratorIjlEEPS9_SE_NS0_5tupleIJPjSE_EEENSF_IJSE_SE_EEES9_SG_JZNS1_25segmented_radix_sort_implINS0_14default_configELb0EPKfPfPKlPlN2at6native12_GLOBAL__N_18offset_tEEE10hipError_tPvRmT1_PNSt15iterator_traitsISY_E10value_typeET2_T3_PNSZ_IS14_E10value_typeET4_jRbjT5_S1A_jjP12ihipStream_tbEUljE_EEESV_SW_SX_S14_S18_S1A_T6_T7_T9_mT8_S1C_bDpT10_ENKUlT_T0_E_clISt17integral_constantIbLb0EES1P_EEDaS1K_S1L_EUlS1K_E_NS1_11comp_targetILNS1_3genE2ELNS1_11target_archE906ELNS1_3gpuE6ELNS1_3repE0EEENS1_30default_config_static_selectorELNS0_4arch9wavefront6targetE0EEEvSY_, .Lfunc_end1392-_ZN7rocprim17ROCPRIM_400000_NS6detail17trampoline_kernelINS0_13select_configILj256ELj13ELNS0_17block_load_methodE3ELS4_3ELS4_3ELNS0_20block_scan_algorithmE0ELj4294967295EEENS1_25partition_config_selectorILNS1_17partition_subalgoE3EjNS0_10empty_typeEbEEZZNS1_14partition_implILS8_3ELb0ES6_jNS0_17counting_iteratorIjlEEPS9_SE_NS0_5tupleIJPjSE_EEENSF_IJSE_SE_EEES9_SG_JZNS1_25segmented_radix_sort_implINS0_14default_configELb0EPKfPfPKlPlN2at6native12_GLOBAL__N_18offset_tEEE10hipError_tPvRmT1_PNSt15iterator_traitsISY_E10value_typeET2_T3_PNSZ_IS14_E10value_typeET4_jRbjT5_S1A_jjP12ihipStream_tbEUljE_EEESV_SW_SX_S14_S18_S1A_T6_T7_T9_mT8_S1C_bDpT10_ENKUlT_T0_E_clISt17integral_constantIbLb0EES1P_EEDaS1K_S1L_EUlS1K_E_NS1_11comp_targetILNS1_3genE2ELNS1_11target_archE906ELNS1_3gpuE6ELNS1_3repE0EEENS1_30default_config_static_selectorELNS0_4arch9wavefront6targetE0EEEvSY_
                                        ; -- End function
	.set _ZN7rocprim17ROCPRIM_400000_NS6detail17trampoline_kernelINS0_13select_configILj256ELj13ELNS0_17block_load_methodE3ELS4_3ELS4_3ELNS0_20block_scan_algorithmE0ELj4294967295EEENS1_25partition_config_selectorILNS1_17partition_subalgoE3EjNS0_10empty_typeEbEEZZNS1_14partition_implILS8_3ELb0ES6_jNS0_17counting_iteratorIjlEEPS9_SE_NS0_5tupleIJPjSE_EEENSF_IJSE_SE_EEES9_SG_JZNS1_25segmented_radix_sort_implINS0_14default_configELb0EPKfPfPKlPlN2at6native12_GLOBAL__N_18offset_tEEE10hipError_tPvRmT1_PNSt15iterator_traitsISY_E10value_typeET2_T3_PNSZ_IS14_E10value_typeET4_jRbjT5_S1A_jjP12ihipStream_tbEUljE_EEESV_SW_SX_S14_S18_S1A_T6_T7_T9_mT8_S1C_bDpT10_ENKUlT_T0_E_clISt17integral_constantIbLb0EES1P_EEDaS1K_S1L_EUlS1K_E_NS1_11comp_targetILNS1_3genE2ELNS1_11target_archE906ELNS1_3gpuE6ELNS1_3repE0EEENS1_30default_config_static_selectorELNS0_4arch9wavefront6targetE0EEEvSY_.num_vgpr, 0
	.set _ZN7rocprim17ROCPRIM_400000_NS6detail17trampoline_kernelINS0_13select_configILj256ELj13ELNS0_17block_load_methodE3ELS4_3ELS4_3ELNS0_20block_scan_algorithmE0ELj4294967295EEENS1_25partition_config_selectorILNS1_17partition_subalgoE3EjNS0_10empty_typeEbEEZZNS1_14partition_implILS8_3ELb0ES6_jNS0_17counting_iteratorIjlEEPS9_SE_NS0_5tupleIJPjSE_EEENSF_IJSE_SE_EEES9_SG_JZNS1_25segmented_radix_sort_implINS0_14default_configELb0EPKfPfPKlPlN2at6native12_GLOBAL__N_18offset_tEEE10hipError_tPvRmT1_PNSt15iterator_traitsISY_E10value_typeET2_T3_PNSZ_IS14_E10value_typeET4_jRbjT5_S1A_jjP12ihipStream_tbEUljE_EEESV_SW_SX_S14_S18_S1A_T6_T7_T9_mT8_S1C_bDpT10_ENKUlT_T0_E_clISt17integral_constantIbLb0EES1P_EEDaS1K_S1L_EUlS1K_E_NS1_11comp_targetILNS1_3genE2ELNS1_11target_archE906ELNS1_3gpuE6ELNS1_3repE0EEENS1_30default_config_static_selectorELNS0_4arch9wavefront6targetE0EEEvSY_.num_agpr, 0
	.set _ZN7rocprim17ROCPRIM_400000_NS6detail17trampoline_kernelINS0_13select_configILj256ELj13ELNS0_17block_load_methodE3ELS4_3ELS4_3ELNS0_20block_scan_algorithmE0ELj4294967295EEENS1_25partition_config_selectorILNS1_17partition_subalgoE3EjNS0_10empty_typeEbEEZZNS1_14partition_implILS8_3ELb0ES6_jNS0_17counting_iteratorIjlEEPS9_SE_NS0_5tupleIJPjSE_EEENSF_IJSE_SE_EEES9_SG_JZNS1_25segmented_radix_sort_implINS0_14default_configELb0EPKfPfPKlPlN2at6native12_GLOBAL__N_18offset_tEEE10hipError_tPvRmT1_PNSt15iterator_traitsISY_E10value_typeET2_T3_PNSZ_IS14_E10value_typeET4_jRbjT5_S1A_jjP12ihipStream_tbEUljE_EEESV_SW_SX_S14_S18_S1A_T6_T7_T9_mT8_S1C_bDpT10_ENKUlT_T0_E_clISt17integral_constantIbLb0EES1P_EEDaS1K_S1L_EUlS1K_E_NS1_11comp_targetILNS1_3genE2ELNS1_11target_archE906ELNS1_3gpuE6ELNS1_3repE0EEENS1_30default_config_static_selectorELNS0_4arch9wavefront6targetE0EEEvSY_.numbered_sgpr, 0
	.set _ZN7rocprim17ROCPRIM_400000_NS6detail17trampoline_kernelINS0_13select_configILj256ELj13ELNS0_17block_load_methodE3ELS4_3ELS4_3ELNS0_20block_scan_algorithmE0ELj4294967295EEENS1_25partition_config_selectorILNS1_17partition_subalgoE3EjNS0_10empty_typeEbEEZZNS1_14partition_implILS8_3ELb0ES6_jNS0_17counting_iteratorIjlEEPS9_SE_NS0_5tupleIJPjSE_EEENSF_IJSE_SE_EEES9_SG_JZNS1_25segmented_radix_sort_implINS0_14default_configELb0EPKfPfPKlPlN2at6native12_GLOBAL__N_18offset_tEEE10hipError_tPvRmT1_PNSt15iterator_traitsISY_E10value_typeET2_T3_PNSZ_IS14_E10value_typeET4_jRbjT5_S1A_jjP12ihipStream_tbEUljE_EEESV_SW_SX_S14_S18_S1A_T6_T7_T9_mT8_S1C_bDpT10_ENKUlT_T0_E_clISt17integral_constantIbLb0EES1P_EEDaS1K_S1L_EUlS1K_E_NS1_11comp_targetILNS1_3genE2ELNS1_11target_archE906ELNS1_3gpuE6ELNS1_3repE0EEENS1_30default_config_static_selectorELNS0_4arch9wavefront6targetE0EEEvSY_.num_named_barrier, 0
	.set _ZN7rocprim17ROCPRIM_400000_NS6detail17trampoline_kernelINS0_13select_configILj256ELj13ELNS0_17block_load_methodE3ELS4_3ELS4_3ELNS0_20block_scan_algorithmE0ELj4294967295EEENS1_25partition_config_selectorILNS1_17partition_subalgoE3EjNS0_10empty_typeEbEEZZNS1_14partition_implILS8_3ELb0ES6_jNS0_17counting_iteratorIjlEEPS9_SE_NS0_5tupleIJPjSE_EEENSF_IJSE_SE_EEES9_SG_JZNS1_25segmented_radix_sort_implINS0_14default_configELb0EPKfPfPKlPlN2at6native12_GLOBAL__N_18offset_tEEE10hipError_tPvRmT1_PNSt15iterator_traitsISY_E10value_typeET2_T3_PNSZ_IS14_E10value_typeET4_jRbjT5_S1A_jjP12ihipStream_tbEUljE_EEESV_SW_SX_S14_S18_S1A_T6_T7_T9_mT8_S1C_bDpT10_ENKUlT_T0_E_clISt17integral_constantIbLb0EES1P_EEDaS1K_S1L_EUlS1K_E_NS1_11comp_targetILNS1_3genE2ELNS1_11target_archE906ELNS1_3gpuE6ELNS1_3repE0EEENS1_30default_config_static_selectorELNS0_4arch9wavefront6targetE0EEEvSY_.private_seg_size, 0
	.set _ZN7rocprim17ROCPRIM_400000_NS6detail17trampoline_kernelINS0_13select_configILj256ELj13ELNS0_17block_load_methodE3ELS4_3ELS4_3ELNS0_20block_scan_algorithmE0ELj4294967295EEENS1_25partition_config_selectorILNS1_17partition_subalgoE3EjNS0_10empty_typeEbEEZZNS1_14partition_implILS8_3ELb0ES6_jNS0_17counting_iteratorIjlEEPS9_SE_NS0_5tupleIJPjSE_EEENSF_IJSE_SE_EEES9_SG_JZNS1_25segmented_radix_sort_implINS0_14default_configELb0EPKfPfPKlPlN2at6native12_GLOBAL__N_18offset_tEEE10hipError_tPvRmT1_PNSt15iterator_traitsISY_E10value_typeET2_T3_PNSZ_IS14_E10value_typeET4_jRbjT5_S1A_jjP12ihipStream_tbEUljE_EEESV_SW_SX_S14_S18_S1A_T6_T7_T9_mT8_S1C_bDpT10_ENKUlT_T0_E_clISt17integral_constantIbLb0EES1P_EEDaS1K_S1L_EUlS1K_E_NS1_11comp_targetILNS1_3genE2ELNS1_11target_archE906ELNS1_3gpuE6ELNS1_3repE0EEENS1_30default_config_static_selectorELNS0_4arch9wavefront6targetE0EEEvSY_.uses_vcc, 0
	.set _ZN7rocprim17ROCPRIM_400000_NS6detail17trampoline_kernelINS0_13select_configILj256ELj13ELNS0_17block_load_methodE3ELS4_3ELS4_3ELNS0_20block_scan_algorithmE0ELj4294967295EEENS1_25partition_config_selectorILNS1_17partition_subalgoE3EjNS0_10empty_typeEbEEZZNS1_14partition_implILS8_3ELb0ES6_jNS0_17counting_iteratorIjlEEPS9_SE_NS0_5tupleIJPjSE_EEENSF_IJSE_SE_EEES9_SG_JZNS1_25segmented_radix_sort_implINS0_14default_configELb0EPKfPfPKlPlN2at6native12_GLOBAL__N_18offset_tEEE10hipError_tPvRmT1_PNSt15iterator_traitsISY_E10value_typeET2_T3_PNSZ_IS14_E10value_typeET4_jRbjT5_S1A_jjP12ihipStream_tbEUljE_EEESV_SW_SX_S14_S18_S1A_T6_T7_T9_mT8_S1C_bDpT10_ENKUlT_T0_E_clISt17integral_constantIbLb0EES1P_EEDaS1K_S1L_EUlS1K_E_NS1_11comp_targetILNS1_3genE2ELNS1_11target_archE906ELNS1_3gpuE6ELNS1_3repE0EEENS1_30default_config_static_selectorELNS0_4arch9wavefront6targetE0EEEvSY_.uses_flat_scratch, 0
	.set _ZN7rocprim17ROCPRIM_400000_NS6detail17trampoline_kernelINS0_13select_configILj256ELj13ELNS0_17block_load_methodE3ELS4_3ELS4_3ELNS0_20block_scan_algorithmE0ELj4294967295EEENS1_25partition_config_selectorILNS1_17partition_subalgoE3EjNS0_10empty_typeEbEEZZNS1_14partition_implILS8_3ELb0ES6_jNS0_17counting_iteratorIjlEEPS9_SE_NS0_5tupleIJPjSE_EEENSF_IJSE_SE_EEES9_SG_JZNS1_25segmented_radix_sort_implINS0_14default_configELb0EPKfPfPKlPlN2at6native12_GLOBAL__N_18offset_tEEE10hipError_tPvRmT1_PNSt15iterator_traitsISY_E10value_typeET2_T3_PNSZ_IS14_E10value_typeET4_jRbjT5_S1A_jjP12ihipStream_tbEUljE_EEESV_SW_SX_S14_S18_S1A_T6_T7_T9_mT8_S1C_bDpT10_ENKUlT_T0_E_clISt17integral_constantIbLb0EES1P_EEDaS1K_S1L_EUlS1K_E_NS1_11comp_targetILNS1_3genE2ELNS1_11target_archE906ELNS1_3gpuE6ELNS1_3repE0EEENS1_30default_config_static_selectorELNS0_4arch9wavefront6targetE0EEEvSY_.has_dyn_sized_stack, 0
	.set _ZN7rocprim17ROCPRIM_400000_NS6detail17trampoline_kernelINS0_13select_configILj256ELj13ELNS0_17block_load_methodE3ELS4_3ELS4_3ELNS0_20block_scan_algorithmE0ELj4294967295EEENS1_25partition_config_selectorILNS1_17partition_subalgoE3EjNS0_10empty_typeEbEEZZNS1_14partition_implILS8_3ELb0ES6_jNS0_17counting_iteratorIjlEEPS9_SE_NS0_5tupleIJPjSE_EEENSF_IJSE_SE_EEES9_SG_JZNS1_25segmented_radix_sort_implINS0_14default_configELb0EPKfPfPKlPlN2at6native12_GLOBAL__N_18offset_tEEE10hipError_tPvRmT1_PNSt15iterator_traitsISY_E10value_typeET2_T3_PNSZ_IS14_E10value_typeET4_jRbjT5_S1A_jjP12ihipStream_tbEUljE_EEESV_SW_SX_S14_S18_S1A_T6_T7_T9_mT8_S1C_bDpT10_ENKUlT_T0_E_clISt17integral_constantIbLb0EES1P_EEDaS1K_S1L_EUlS1K_E_NS1_11comp_targetILNS1_3genE2ELNS1_11target_archE906ELNS1_3gpuE6ELNS1_3repE0EEENS1_30default_config_static_selectorELNS0_4arch9wavefront6targetE0EEEvSY_.has_recursion, 0
	.set _ZN7rocprim17ROCPRIM_400000_NS6detail17trampoline_kernelINS0_13select_configILj256ELj13ELNS0_17block_load_methodE3ELS4_3ELS4_3ELNS0_20block_scan_algorithmE0ELj4294967295EEENS1_25partition_config_selectorILNS1_17partition_subalgoE3EjNS0_10empty_typeEbEEZZNS1_14partition_implILS8_3ELb0ES6_jNS0_17counting_iteratorIjlEEPS9_SE_NS0_5tupleIJPjSE_EEENSF_IJSE_SE_EEES9_SG_JZNS1_25segmented_radix_sort_implINS0_14default_configELb0EPKfPfPKlPlN2at6native12_GLOBAL__N_18offset_tEEE10hipError_tPvRmT1_PNSt15iterator_traitsISY_E10value_typeET2_T3_PNSZ_IS14_E10value_typeET4_jRbjT5_S1A_jjP12ihipStream_tbEUljE_EEESV_SW_SX_S14_S18_S1A_T6_T7_T9_mT8_S1C_bDpT10_ENKUlT_T0_E_clISt17integral_constantIbLb0EES1P_EEDaS1K_S1L_EUlS1K_E_NS1_11comp_targetILNS1_3genE2ELNS1_11target_archE906ELNS1_3gpuE6ELNS1_3repE0EEENS1_30default_config_static_selectorELNS0_4arch9wavefront6targetE0EEEvSY_.has_indirect_call, 0
	.section	.AMDGPU.csdata,"",@progbits
; Kernel info:
; codeLenInByte = 0
; TotalNumSgprs: 0
; NumVgprs: 0
; ScratchSize: 0
; MemoryBound: 0
; FloatMode: 240
; IeeeMode: 1
; LDSByteSize: 0 bytes/workgroup (compile time only)
; SGPRBlocks: 0
; VGPRBlocks: 0
; NumSGPRsForWavesPerEU: 1
; NumVGPRsForWavesPerEU: 1
; Occupancy: 16
; WaveLimiterHint : 0
; COMPUTE_PGM_RSRC2:SCRATCH_EN: 0
; COMPUTE_PGM_RSRC2:USER_SGPR: 6
; COMPUTE_PGM_RSRC2:TRAP_HANDLER: 0
; COMPUTE_PGM_RSRC2:TGID_X_EN: 1
; COMPUTE_PGM_RSRC2:TGID_Y_EN: 0
; COMPUTE_PGM_RSRC2:TGID_Z_EN: 0
; COMPUTE_PGM_RSRC2:TIDIG_COMP_CNT: 0
	.section	.text._ZN7rocprim17ROCPRIM_400000_NS6detail17trampoline_kernelINS0_13select_configILj256ELj13ELNS0_17block_load_methodE3ELS4_3ELS4_3ELNS0_20block_scan_algorithmE0ELj4294967295EEENS1_25partition_config_selectorILNS1_17partition_subalgoE3EjNS0_10empty_typeEbEEZZNS1_14partition_implILS8_3ELb0ES6_jNS0_17counting_iteratorIjlEEPS9_SE_NS0_5tupleIJPjSE_EEENSF_IJSE_SE_EEES9_SG_JZNS1_25segmented_radix_sort_implINS0_14default_configELb0EPKfPfPKlPlN2at6native12_GLOBAL__N_18offset_tEEE10hipError_tPvRmT1_PNSt15iterator_traitsISY_E10value_typeET2_T3_PNSZ_IS14_E10value_typeET4_jRbjT5_S1A_jjP12ihipStream_tbEUljE_EEESV_SW_SX_S14_S18_S1A_T6_T7_T9_mT8_S1C_bDpT10_ENKUlT_T0_E_clISt17integral_constantIbLb0EES1P_EEDaS1K_S1L_EUlS1K_E_NS1_11comp_targetILNS1_3genE10ELNS1_11target_archE1200ELNS1_3gpuE4ELNS1_3repE0EEENS1_30default_config_static_selectorELNS0_4arch9wavefront6targetE0EEEvSY_,"axG",@progbits,_ZN7rocprim17ROCPRIM_400000_NS6detail17trampoline_kernelINS0_13select_configILj256ELj13ELNS0_17block_load_methodE3ELS4_3ELS4_3ELNS0_20block_scan_algorithmE0ELj4294967295EEENS1_25partition_config_selectorILNS1_17partition_subalgoE3EjNS0_10empty_typeEbEEZZNS1_14partition_implILS8_3ELb0ES6_jNS0_17counting_iteratorIjlEEPS9_SE_NS0_5tupleIJPjSE_EEENSF_IJSE_SE_EEES9_SG_JZNS1_25segmented_radix_sort_implINS0_14default_configELb0EPKfPfPKlPlN2at6native12_GLOBAL__N_18offset_tEEE10hipError_tPvRmT1_PNSt15iterator_traitsISY_E10value_typeET2_T3_PNSZ_IS14_E10value_typeET4_jRbjT5_S1A_jjP12ihipStream_tbEUljE_EEESV_SW_SX_S14_S18_S1A_T6_T7_T9_mT8_S1C_bDpT10_ENKUlT_T0_E_clISt17integral_constantIbLb0EES1P_EEDaS1K_S1L_EUlS1K_E_NS1_11comp_targetILNS1_3genE10ELNS1_11target_archE1200ELNS1_3gpuE4ELNS1_3repE0EEENS1_30default_config_static_selectorELNS0_4arch9wavefront6targetE0EEEvSY_,comdat
	.globl	_ZN7rocprim17ROCPRIM_400000_NS6detail17trampoline_kernelINS0_13select_configILj256ELj13ELNS0_17block_load_methodE3ELS4_3ELS4_3ELNS0_20block_scan_algorithmE0ELj4294967295EEENS1_25partition_config_selectorILNS1_17partition_subalgoE3EjNS0_10empty_typeEbEEZZNS1_14partition_implILS8_3ELb0ES6_jNS0_17counting_iteratorIjlEEPS9_SE_NS0_5tupleIJPjSE_EEENSF_IJSE_SE_EEES9_SG_JZNS1_25segmented_radix_sort_implINS0_14default_configELb0EPKfPfPKlPlN2at6native12_GLOBAL__N_18offset_tEEE10hipError_tPvRmT1_PNSt15iterator_traitsISY_E10value_typeET2_T3_PNSZ_IS14_E10value_typeET4_jRbjT5_S1A_jjP12ihipStream_tbEUljE_EEESV_SW_SX_S14_S18_S1A_T6_T7_T9_mT8_S1C_bDpT10_ENKUlT_T0_E_clISt17integral_constantIbLb0EES1P_EEDaS1K_S1L_EUlS1K_E_NS1_11comp_targetILNS1_3genE10ELNS1_11target_archE1200ELNS1_3gpuE4ELNS1_3repE0EEENS1_30default_config_static_selectorELNS0_4arch9wavefront6targetE0EEEvSY_ ; -- Begin function _ZN7rocprim17ROCPRIM_400000_NS6detail17trampoline_kernelINS0_13select_configILj256ELj13ELNS0_17block_load_methodE3ELS4_3ELS4_3ELNS0_20block_scan_algorithmE0ELj4294967295EEENS1_25partition_config_selectorILNS1_17partition_subalgoE3EjNS0_10empty_typeEbEEZZNS1_14partition_implILS8_3ELb0ES6_jNS0_17counting_iteratorIjlEEPS9_SE_NS0_5tupleIJPjSE_EEENSF_IJSE_SE_EEES9_SG_JZNS1_25segmented_radix_sort_implINS0_14default_configELb0EPKfPfPKlPlN2at6native12_GLOBAL__N_18offset_tEEE10hipError_tPvRmT1_PNSt15iterator_traitsISY_E10value_typeET2_T3_PNSZ_IS14_E10value_typeET4_jRbjT5_S1A_jjP12ihipStream_tbEUljE_EEESV_SW_SX_S14_S18_S1A_T6_T7_T9_mT8_S1C_bDpT10_ENKUlT_T0_E_clISt17integral_constantIbLb0EES1P_EEDaS1K_S1L_EUlS1K_E_NS1_11comp_targetILNS1_3genE10ELNS1_11target_archE1200ELNS1_3gpuE4ELNS1_3repE0EEENS1_30default_config_static_selectorELNS0_4arch9wavefront6targetE0EEEvSY_
	.p2align	8
	.type	_ZN7rocprim17ROCPRIM_400000_NS6detail17trampoline_kernelINS0_13select_configILj256ELj13ELNS0_17block_load_methodE3ELS4_3ELS4_3ELNS0_20block_scan_algorithmE0ELj4294967295EEENS1_25partition_config_selectorILNS1_17partition_subalgoE3EjNS0_10empty_typeEbEEZZNS1_14partition_implILS8_3ELb0ES6_jNS0_17counting_iteratorIjlEEPS9_SE_NS0_5tupleIJPjSE_EEENSF_IJSE_SE_EEES9_SG_JZNS1_25segmented_radix_sort_implINS0_14default_configELb0EPKfPfPKlPlN2at6native12_GLOBAL__N_18offset_tEEE10hipError_tPvRmT1_PNSt15iterator_traitsISY_E10value_typeET2_T3_PNSZ_IS14_E10value_typeET4_jRbjT5_S1A_jjP12ihipStream_tbEUljE_EEESV_SW_SX_S14_S18_S1A_T6_T7_T9_mT8_S1C_bDpT10_ENKUlT_T0_E_clISt17integral_constantIbLb0EES1P_EEDaS1K_S1L_EUlS1K_E_NS1_11comp_targetILNS1_3genE10ELNS1_11target_archE1200ELNS1_3gpuE4ELNS1_3repE0EEENS1_30default_config_static_selectorELNS0_4arch9wavefront6targetE0EEEvSY_,@function
_ZN7rocprim17ROCPRIM_400000_NS6detail17trampoline_kernelINS0_13select_configILj256ELj13ELNS0_17block_load_methodE3ELS4_3ELS4_3ELNS0_20block_scan_algorithmE0ELj4294967295EEENS1_25partition_config_selectorILNS1_17partition_subalgoE3EjNS0_10empty_typeEbEEZZNS1_14partition_implILS8_3ELb0ES6_jNS0_17counting_iteratorIjlEEPS9_SE_NS0_5tupleIJPjSE_EEENSF_IJSE_SE_EEES9_SG_JZNS1_25segmented_radix_sort_implINS0_14default_configELb0EPKfPfPKlPlN2at6native12_GLOBAL__N_18offset_tEEE10hipError_tPvRmT1_PNSt15iterator_traitsISY_E10value_typeET2_T3_PNSZ_IS14_E10value_typeET4_jRbjT5_S1A_jjP12ihipStream_tbEUljE_EEESV_SW_SX_S14_S18_S1A_T6_T7_T9_mT8_S1C_bDpT10_ENKUlT_T0_E_clISt17integral_constantIbLb0EES1P_EEDaS1K_S1L_EUlS1K_E_NS1_11comp_targetILNS1_3genE10ELNS1_11target_archE1200ELNS1_3gpuE4ELNS1_3repE0EEENS1_30default_config_static_selectorELNS0_4arch9wavefront6targetE0EEEvSY_: ; @_ZN7rocprim17ROCPRIM_400000_NS6detail17trampoline_kernelINS0_13select_configILj256ELj13ELNS0_17block_load_methodE3ELS4_3ELS4_3ELNS0_20block_scan_algorithmE0ELj4294967295EEENS1_25partition_config_selectorILNS1_17partition_subalgoE3EjNS0_10empty_typeEbEEZZNS1_14partition_implILS8_3ELb0ES6_jNS0_17counting_iteratorIjlEEPS9_SE_NS0_5tupleIJPjSE_EEENSF_IJSE_SE_EEES9_SG_JZNS1_25segmented_radix_sort_implINS0_14default_configELb0EPKfPfPKlPlN2at6native12_GLOBAL__N_18offset_tEEE10hipError_tPvRmT1_PNSt15iterator_traitsISY_E10value_typeET2_T3_PNSZ_IS14_E10value_typeET4_jRbjT5_S1A_jjP12ihipStream_tbEUljE_EEESV_SW_SX_S14_S18_S1A_T6_T7_T9_mT8_S1C_bDpT10_ENKUlT_T0_E_clISt17integral_constantIbLb0EES1P_EEDaS1K_S1L_EUlS1K_E_NS1_11comp_targetILNS1_3genE10ELNS1_11target_archE1200ELNS1_3gpuE4ELNS1_3repE0EEENS1_30default_config_static_selectorELNS0_4arch9wavefront6targetE0EEEvSY_
; %bb.0:
	.section	.rodata,"a",@progbits
	.p2align	6, 0x0
	.amdhsa_kernel _ZN7rocprim17ROCPRIM_400000_NS6detail17trampoline_kernelINS0_13select_configILj256ELj13ELNS0_17block_load_methodE3ELS4_3ELS4_3ELNS0_20block_scan_algorithmE0ELj4294967295EEENS1_25partition_config_selectorILNS1_17partition_subalgoE3EjNS0_10empty_typeEbEEZZNS1_14partition_implILS8_3ELb0ES6_jNS0_17counting_iteratorIjlEEPS9_SE_NS0_5tupleIJPjSE_EEENSF_IJSE_SE_EEES9_SG_JZNS1_25segmented_radix_sort_implINS0_14default_configELb0EPKfPfPKlPlN2at6native12_GLOBAL__N_18offset_tEEE10hipError_tPvRmT1_PNSt15iterator_traitsISY_E10value_typeET2_T3_PNSZ_IS14_E10value_typeET4_jRbjT5_S1A_jjP12ihipStream_tbEUljE_EEESV_SW_SX_S14_S18_S1A_T6_T7_T9_mT8_S1C_bDpT10_ENKUlT_T0_E_clISt17integral_constantIbLb0EES1P_EEDaS1K_S1L_EUlS1K_E_NS1_11comp_targetILNS1_3genE10ELNS1_11target_archE1200ELNS1_3gpuE4ELNS1_3repE0EEENS1_30default_config_static_selectorELNS0_4arch9wavefront6targetE0EEEvSY_
		.amdhsa_group_segment_fixed_size 0
		.amdhsa_private_segment_fixed_size 0
		.amdhsa_kernarg_size 144
		.amdhsa_user_sgpr_count 6
		.amdhsa_user_sgpr_private_segment_buffer 1
		.amdhsa_user_sgpr_dispatch_ptr 0
		.amdhsa_user_sgpr_queue_ptr 0
		.amdhsa_user_sgpr_kernarg_segment_ptr 1
		.amdhsa_user_sgpr_dispatch_id 0
		.amdhsa_user_sgpr_flat_scratch_init 0
		.amdhsa_user_sgpr_private_segment_size 0
		.amdhsa_wavefront_size32 1
		.amdhsa_uses_dynamic_stack 0
		.amdhsa_system_sgpr_private_segment_wavefront_offset 0
		.amdhsa_system_sgpr_workgroup_id_x 1
		.amdhsa_system_sgpr_workgroup_id_y 0
		.amdhsa_system_sgpr_workgroup_id_z 0
		.amdhsa_system_sgpr_workgroup_info 0
		.amdhsa_system_vgpr_workitem_id 0
		.amdhsa_next_free_vgpr 1
		.amdhsa_next_free_sgpr 1
		.amdhsa_reserve_vcc 0
		.amdhsa_reserve_flat_scratch 0
		.amdhsa_float_round_mode_32 0
		.amdhsa_float_round_mode_16_64 0
		.amdhsa_float_denorm_mode_32 3
		.amdhsa_float_denorm_mode_16_64 3
		.amdhsa_dx10_clamp 1
		.amdhsa_ieee_mode 1
		.amdhsa_fp16_overflow 0
		.amdhsa_workgroup_processor_mode 1
		.amdhsa_memory_ordered 1
		.amdhsa_forward_progress 1
		.amdhsa_shared_vgpr_count 0
		.amdhsa_exception_fp_ieee_invalid_op 0
		.amdhsa_exception_fp_denorm_src 0
		.amdhsa_exception_fp_ieee_div_zero 0
		.amdhsa_exception_fp_ieee_overflow 0
		.amdhsa_exception_fp_ieee_underflow 0
		.amdhsa_exception_fp_ieee_inexact 0
		.amdhsa_exception_int_div_zero 0
	.end_amdhsa_kernel
	.section	.text._ZN7rocprim17ROCPRIM_400000_NS6detail17trampoline_kernelINS0_13select_configILj256ELj13ELNS0_17block_load_methodE3ELS4_3ELS4_3ELNS0_20block_scan_algorithmE0ELj4294967295EEENS1_25partition_config_selectorILNS1_17partition_subalgoE3EjNS0_10empty_typeEbEEZZNS1_14partition_implILS8_3ELb0ES6_jNS0_17counting_iteratorIjlEEPS9_SE_NS0_5tupleIJPjSE_EEENSF_IJSE_SE_EEES9_SG_JZNS1_25segmented_radix_sort_implINS0_14default_configELb0EPKfPfPKlPlN2at6native12_GLOBAL__N_18offset_tEEE10hipError_tPvRmT1_PNSt15iterator_traitsISY_E10value_typeET2_T3_PNSZ_IS14_E10value_typeET4_jRbjT5_S1A_jjP12ihipStream_tbEUljE_EEESV_SW_SX_S14_S18_S1A_T6_T7_T9_mT8_S1C_bDpT10_ENKUlT_T0_E_clISt17integral_constantIbLb0EES1P_EEDaS1K_S1L_EUlS1K_E_NS1_11comp_targetILNS1_3genE10ELNS1_11target_archE1200ELNS1_3gpuE4ELNS1_3repE0EEENS1_30default_config_static_selectorELNS0_4arch9wavefront6targetE0EEEvSY_,"axG",@progbits,_ZN7rocprim17ROCPRIM_400000_NS6detail17trampoline_kernelINS0_13select_configILj256ELj13ELNS0_17block_load_methodE3ELS4_3ELS4_3ELNS0_20block_scan_algorithmE0ELj4294967295EEENS1_25partition_config_selectorILNS1_17partition_subalgoE3EjNS0_10empty_typeEbEEZZNS1_14partition_implILS8_3ELb0ES6_jNS0_17counting_iteratorIjlEEPS9_SE_NS0_5tupleIJPjSE_EEENSF_IJSE_SE_EEES9_SG_JZNS1_25segmented_radix_sort_implINS0_14default_configELb0EPKfPfPKlPlN2at6native12_GLOBAL__N_18offset_tEEE10hipError_tPvRmT1_PNSt15iterator_traitsISY_E10value_typeET2_T3_PNSZ_IS14_E10value_typeET4_jRbjT5_S1A_jjP12ihipStream_tbEUljE_EEESV_SW_SX_S14_S18_S1A_T6_T7_T9_mT8_S1C_bDpT10_ENKUlT_T0_E_clISt17integral_constantIbLb0EES1P_EEDaS1K_S1L_EUlS1K_E_NS1_11comp_targetILNS1_3genE10ELNS1_11target_archE1200ELNS1_3gpuE4ELNS1_3repE0EEENS1_30default_config_static_selectorELNS0_4arch9wavefront6targetE0EEEvSY_,comdat
.Lfunc_end1393:
	.size	_ZN7rocprim17ROCPRIM_400000_NS6detail17trampoline_kernelINS0_13select_configILj256ELj13ELNS0_17block_load_methodE3ELS4_3ELS4_3ELNS0_20block_scan_algorithmE0ELj4294967295EEENS1_25partition_config_selectorILNS1_17partition_subalgoE3EjNS0_10empty_typeEbEEZZNS1_14partition_implILS8_3ELb0ES6_jNS0_17counting_iteratorIjlEEPS9_SE_NS0_5tupleIJPjSE_EEENSF_IJSE_SE_EEES9_SG_JZNS1_25segmented_radix_sort_implINS0_14default_configELb0EPKfPfPKlPlN2at6native12_GLOBAL__N_18offset_tEEE10hipError_tPvRmT1_PNSt15iterator_traitsISY_E10value_typeET2_T3_PNSZ_IS14_E10value_typeET4_jRbjT5_S1A_jjP12ihipStream_tbEUljE_EEESV_SW_SX_S14_S18_S1A_T6_T7_T9_mT8_S1C_bDpT10_ENKUlT_T0_E_clISt17integral_constantIbLb0EES1P_EEDaS1K_S1L_EUlS1K_E_NS1_11comp_targetILNS1_3genE10ELNS1_11target_archE1200ELNS1_3gpuE4ELNS1_3repE0EEENS1_30default_config_static_selectorELNS0_4arch9wavefront6targetE0EEEvSY_, .Lfunc_end1393-_ZN7rocprim17ROCPRIM_400000_NS6detail17trampoline_kernelINS0_13select_configILj256ELj13ELNS0_17block_load_methodE3ELS4_3ELS4_3ELNS0_20block_scan_algorithmE0ELj4294967295EEENS1_25partition_config_selectorILNS1_17partition_subalgoE3EjNS0_10empty_typeEbEEZZNS1_14partition_implILS8_3ELb0ES6_jNS0_17counting_iteratorIjlEEPS9_SE_NS0_5tupleIJPjSE_EEENSF_IJSE_SE_EEES9_SG_JZNS1_25segmented_radix_sort_implINS0_14default_configELb0EPKfPfPKlPlN2at6native12_GLOBAL__N_18offset_tEEE10hipError_tPvRmT1_PNSt15iterator_traitsISY_E10value_typeET2_T3_PNSZ_IS14_E10value_typeET4_jRbjT5_S1A_jjP12ihipStream_tbEUljE_EEESV_SW_SX_S14_S18_S1A_T6_T7_T9_mT8_S1C_bDpT10_ENKUlT_T0_E_clISt17integral_constantIbLb0EES1P_EEDaS1K_S1L_EUlS1K_E_NS1_11comp_targetILNS1_3genE10ELNS1_11target_archE1200ELNS1_3gpuE4ELNS1_3repE0EEENS1_30default_config_static_selectorELNS0_4arch9wavefront6targetE0EEEvSY_
                                        ; -- End function
	.set _ZN7rocprim17ROCPRIM_400000_NS6detail17trampoline_kernelINS0_13select_configILj256ELj13ELNS0_17block_load_methodE3ELS4_3ELS4_3ELNS0_20block_scan_algorithmE0ELj4294967295EEENS1_25partition_config_selectorILNS1_17partition_subalgoE3EjNS0_10empty_typeEbEEZZNS1_14partition_implILS8_3ELb0ES6_jNS0_17counting_iteratorIjlEEPS9_SE_NS0_5tupleIJPjSE_EEENSF_IJSE_SE_EEES9_SG_JZNS1_25segmented_radix_sort_implINS0_14default_configELb0EPKfPfPKlPlN2at6native12_GLOBAL__N_18offset_tEEE10hipError_tPvRmT1_PNSt15iterator_traitsISY_E10value_typeET2_T3_PNSZ_IS14_E10value_typeET4_jRbjT5_S1A_jjP12ihipStream_tbEUljE_EEESV_SW_SX_S14_S18_S1A_T6_T7_T9_mT8_S1C_bDpT10_ENKUlT_T0_E_clISt17integral_constantIbLb0EES1P_EEDaS1K_S1L_EUlS1K_E_NS1_11comp_targetILNS1_3genE10ELNS1_11target_archE1200ELNS1_3gpuE4ELNS1_3repE0EEENS1_30default_config_static_selectorELNS0_4arch9wavefront6targetE0EEEvSY_.num_vgpr, 0
	.set _ZN7rocprim17ROCPRIM_400000_NS6detail17trampoline_kernelINS0_13select_configILj256ELj13ELNS0_17block_load_methodE3ELS4_3ELS4_3ELNS0_20block_scan_algorithmE0ELj4294967295EEENS1_25partition_config_selectorILNS1_17partition_subalgoE3EjNS0_10empty_typeEbEEZZNS1_14partition_implILS8_3ELb0ES6_jNS0_17counting_iteratorIjlEEPS9_SE_NS0_5tupleIJPjSE_EEENSF_IJSE_SE_EEES9_SG_JZNS1_25segmented_radix_sort_implINS0_14default_configELb0EPKfPfPKlPlN2at6native12_GLOBAL__N_18offset_tEEE10hipError_tPvRmT1_PNSt15iterator_traitsISY_E10value_typeET2_T3_PNSZ_IS14_E10value_typeET4_jRbjT5_S1A_jjP12ihipStream_tbEUljE_EEESV_SW_SX_S14_S18_S1A_T6_T7_T9_mT8_S1C_bDpT10_ENKUlT_T0_E_clISt17integral_constantIbLb0EES1P_EEDaS1K_S1L_EUlS1K_E_NS1_11comp_targetILNS1_3genE10ELNS1_11target_archE1200ELNS1_3gpuE4ELNS1_3repE0EEENS1_30default_config_static_selectorELNS0_4arch9wavefront6targetE0EEEvSY_.num_agpr, 0
	.set _ZN7rocprim17ROCPRIM_400000_NS6detail17trampoline_kernelINS0_13select_configILj256ELj13ELNS0_17block_load_methodE3ELS4_3ELS4_3ELNS0_20block_scan_algorithmE0ELj4294967295EEENS1_25partition_config_selectorILNS1_17partition_subalgoE3EjNS0_10empty_typeEbEEZZNS1_14partition_implILS8_3ELb0ES6_jNS0_17counting_iteratorIjlEEPS9_SE_NS0_5tupleIJPjSE_EEENSF_IJSE_SE_EEES9_SG_JZNS1_25segmented_radix_sort_implINS0_14default_configELb0EPKfPfPKlPlN2at6native12_GLOBAL__N_18offset_tEEE10hipError_tPvRmT1_PNSt15iterator_traitsISY_E10value_typeET2_T3_PNSZ_IS14_E10value_typeET4_jRbjT5_S1A_jjP12ihipStream_tbEUljE_EEESV_SW_SX_S14_S18_S1A_T6_T7_T9_mT8_S1C_bDpT10_ENKUlT_T0_E_clISt17integral_constantIbLb0EES1P_EEDaS1K_S1L_EUlS1K_E_NS1_11comp_targetILNS1_3genE10ELNS1_11target_archE1200ELNS1_3gpuE4ELNS1_3repE0EEENS1_30default_config_static_selectorELNS0_4arch9wavefront6targetE0EEEvSY_.numbered_sgpr, 0
	.set _ZN7rocprim17ROCPRIM_400000_NS6detail17trampoline_kernelINS0_13select_configILj256ELj13ELNS0_17block_load_methodE3ELS4_3ELS4_3ELNS0_20block_scan_algorithmE0ELj4294967295EEENS1_25partition_config_selectorILNS1_17partition_subalgoE3EjNS0_10empty_typeEbEEZZNS1_14partition_implILS8_3ELb0ES6_jNS0_17counting_iteratorIjlEEPS9_SE_NS0_5tupleIJPjSE_EEENSF_IJSE_SE_EEES9_SG_JZNS1_25segmented_radix_sort_implINS0_14default_configELb0EPKfPfPKlPlN2at6native12_GLOBAL__N_18offset_tEEE10hipError_tPvRmT1_PNSt15iterator_traitsISY_E10value_typeET2_T3_PNSZ_IS14_E10value_typeET4_jRbjT5_S1A_jjP12ihipStream_tbEUljE_EEESV_SW_SX_S14_S18_S1A_T6_T7_T9_mT8_S1C_bDpT10_ENKUlT_T0_E_clISt17integral_constantIbLb0EES1P_EEDaS1K_S1L_EUlS1K_E_NS1_11comp_targetILNS1_3genE10ELNS1_11target_archE1200ELNS1_3gpuE4ELNS1_3repE0EEENS1_30default_config_static_selectorELNS0_4arch9wavefront6targetE0EEEvSY_.num_named_barrier, 0
	.set _ZN7rocprim17ROCPRIM_400000_NS6detail17trampoline_kernelINS0_13select_configILj256ELj13ELNS0_17block_load_methodE3ELS4_3ELS4_3ELNS0_20block_scan_algorithmE0ELj4294967295EEENS1_25partition_config_selectorILNS1_17partition_subalgoE3EjNS0_10empty_typeEbEEZZNS1_14partition_implILS8_3ELb0ES6_jNS0_17counting_iteratorIjlEEPS9_SE_NS0_5tupleIJPjSE_EEENSF_IJSE_SE_EEES9_SG_JZNS1_25segmented_radix_sort_implINS0_14default_configELb0EPKfPfPKlPlN2at6native12_GLOBAL__N_18offset_tEEE10hipError_tPvRmT1_PNSt15iterator_traitsISY_E10value_typeET2_T3_PNSZ_IS14_E10value_typeET4_jRbjT5_S1A_jjP12ihipStream_tbEUljE_EEESV_SW_SX_S14_S18_S1A_T6_T7_T9_mT8_S1C_bDpT10_ENKUlT_T0_E_clISt17integral_constantIbLb0EES1P_EEDaS1K_S1L_EUlS1K_E_NS1_11comp_targetILNS1_3genE10ELNS1_11target_archE1200ELNS1_3gpuE4ELNS1_3repE0EEENS1_30default_config_static_selectorELNS0_4arch9wavefront6targetE0EEEvSY_.private_seg_size, 0
	.set _ZN7rocprim17ROCPRIM_400000_NS6detail17trampoline_kernelINS0_13select_configILj256ELj13ELNS0_17block_load_methodE3ELS4_3ELS4_3ELNS0_20block_scan_algorithmE0ELj4294967295EEENS1_25partition_config_selectorILNS1_17partition_subalgoE3EjNS0_10empty_typeEbEEZZNS1_14partition_implILS8_3ELb0ES6_jNS0_17counting_iteratorIjlEEPS9_SE_NS0_5tupleIJPjSE_EEENSF_IJSE_SE_EEES9_SG_JZNS1_25segmented_radix_sort_implINS0_14default_configELb0EPKfPfPKlPlN2at6native12_GLOBAL__N_18offset_tEEE10hipError_tPvRmT1_PNSt15iterator_traitsISY_E10value_typeET2_T3_PNSZ_IS14_E10value_typeET4_jRbjT5_S1A_jjP12ihipStream_tbEUljE_EEESV_SW_SX_S14_S18_S1A_T6_T7_T9_mT8_S1C_bDpT10_ENKUlT_T0_E_clISt17integral_constantIbLb0EES1P_EEDaS1K_S1L_EUlS1K_E_NS1_11comp_targetILNS1_3genE10ELNS1_11target_archE1200ELNS1_3gpuE4ELNS1_3repE0EEENS1_30default_config_static_selectorELNS0_4arch9wavefront6targetE0EEEvSY_.uses_vcc, 0
	.set _ZN7rocprim17ROCPRIM_400000_NS6detail17trampoline_kernelINS0_13select_configILj256ELj13ELNS0_17block_load_methodE3ELS4_3ELS4_3ELNS0_20block_scan_algorithmE0ELj4294967295EEENS1_25partition_config_selectorILNS1_17partition_subalgoE3EjNS0_10empty_typeEbEEZZNS1_14partition_implILS8_3ELb0ES6_jNS0_17counting_iteratorIjlEEPS9_SE_NS0_5tupleIJPjSE_EEENSF_IJSE_SE_EEES9_SG_JZNS1_25segmented_radix_sort_implINS0_14default_configELb0EPKfPfPKlPlN2at6native12_GLOBAL__N_18offset_tEEE10hipError_tPvRmT1_PNSt15iterator_traitsISY_E10value_typeET2_T3_PNSZ_IS14_E10value_typeET4_jRbjT5_S1A_jjP12ihipStream_tbEUljE_EEESV_SW_SX_S14_S18_S1A_T6_T7_T9_mT8_S1C_bDpT10_ENKUlT_T0_E_clISt17integral_constantIbLb0EES1P_EEDaS1K_S1L_EUlS1K_E_NS1_11comp_targetILNS1_3genE10ELNS1_11target_archE1200ELNS1_3gpuE4ELNS1_3repE0EEENS1_30default_config_static_selectorELNS0_4arch9wavefront6targetE0EEEvSY_.uses_flat_scratch, 0
	.set _ZN7rocprim17ROCPRIM_400000_NS6detail17trampoline_kernelINS0_13select_configILj256ELj13ELNS0_17block_load_methodE3ELS4_3ELS4_3ELNS0_20block_scan_algorithmE0ELj4294967295EEENS1_25partition_config_selectorILNS1_17partition_subalgoE3EjNS0_10empty_typeEbEEZZNS1_14partition_implILS8_3ELb0ES6_jNS0_17counting_iteratorIjlEEPS9_SE_NS0_5tupleIJPjSE_EEENSF_IJSE_SE_EEES9_SG_JZNS1_25segmented_radix_sort_implINS0_14default_configELb0EPKfPfPKlPlN2at6native12_GLOBAL__N_18offset_tEEE10hipError_tPvRmT1_PNSt15iterator_traitsISY_E10value_typeET2_T3_PNSZ_IS14_E10value_typeET4_jRbjT5_S1A_jjP12ihipStream_tbEUljE_EEESV_SW_SX_S14_S18_S1A_T6_T7_T9_mT8_S1C_bDpT10_ENKUlT_T0_E_clISt17integral_constantIbLb0EES1P_EEDaS1K_S1L_EUlS1K_E_NS1_11comp_targetILNS1_3genE10ELNS1_11target_archE1200ELNS1_3gpuE4ELNS1_3repE0EEENS1_30default_config_static_selectorELNS0_4arch9wavefront6targetE0EEEvSY_.has_dyn_sized_stack, 0
	.set _ZN7rocprim17ROCPRIM_400000_NS6detail17trampoline_kernelINS0_13select_configILj256ELj13ELNS0_17block_load_methodE3ELS4_3ELS4_3ELNS0_20block_scan_algorithmE0ELj4294967295EEENS1_25partition_config_selectorILNS1_17partition_subalgoE3EjNS0_10empty_typeEbEEZZNS1_14partition_implILS8_3ELb0ES6_jNS0_17counting_iteratorIjlEEPS9_SE_NS0_5tupleIJPjSE_EEENSF_IJSE_SE_EEES9_SG_JZNS1_25segmented_radix_sort_implINS0_14default_configELb0EPKfPfPKlPlN2at6native12_GLOBAL__N_18offset_tEEE10hipError_tPvRmT1_PNSt15iterator_traitsISY_E10value_typeET2_T3_PNSZ_IS14_E10value_typeET4_jRbjT5_S1A_jjP12ihipStream_tbEUljE_EEESV_SW_SX_S14_S18_S1A_T6_T7_T9_mT8_S1C_bDpT10_ENKUlT_T0_E_clISt17integral_constantIbLb0EES1P_EEDaS1K_S1L_EUlS1K_E_NS1_11comp_targetILNS1_3genE10ELNS1_11target_archE1200ELNS1_3gpuE4ELNS1_3repE0EEENS1_30default_config_static_selectorELNS0_4arch9wavefront6targetE0EEEvSY_.has_recursion, 0
	.set _ZN7rocprim17ROCPRIM_400000_NS6detail17trampoline_kernelINS0_13select_configILj256ELj13ELNS0_17block_load_methodE3ELS4_3ELS4_3ELNS0_20block_scan_algorithmE0ELj4294967295EEENS1_25partition_config_selectorILNS1_17partition_subalgoE3EjNS0_10empty_typeEbEEZZNS1_14partition_implILS8_3ELb0ES6_jNS0_17counting_iteratorIjlEEPS9_SE_NS0_5tupleIJPjSE_EEENSF_IJSE_SE_EEES9_SG_JZNS1_25segmented_radix_sort_implINS0_14default_configELb0EPKfPfPKlPlN2at6native12_GLOBAL__N_18offset_tEEE10hipError_tPvRmT1_PNSt15iterator_traitsISY_E10value_typeET2_T3_PNSZ_IS14_E10value_typeET4_jRbjT5_S1A_jjP12ihipStream_tbEUljE_EEESV_SW_SX_S14_S18_S1A_T6_T7_T9_mT8_S1C_bDpT10_ENKUlT_T0_E_clISt17integral_constantIbLb0EES1P_EEDaS1K_S1L_EUlS1K_E_NS1_11comp_targetILNS1_3genE10ELNS1_11target_archE1200ELNS1_3gpuE4ELNS1_3repE0EEENS1_30default_config_static_selectorELNS0_4arch9wavefront6targetE0EEEvSY_.has_indirect_call, 0
	.section	.AMDGPU.csdata,"",@progbits
; Kernel info:
; codeLenInByte = 0
; TotalNumSgprs: 0
; NumVgprs: 0
; ScratchSize: 0
; MemoryBound: 0
; FloatMode: 240
; IeeeMode: 1
; LDSByteSize: 0 bytes/workgroup (compile time only)
; SGPRBlocks: 0
; VGPRBlocks: 0
; NumSGPRsForWavesPerEU: 1
; NumVGPRsForWavesPerEU: 1
; Occupancy: 16
; WaveLimiterHint : 0
; COMPUTE_PGM_RSRC2:SCRATCH_EN: 0
; COMPUTE_PGM_RSRC2:USER_SGPR: 6
; COMPUTE_PGM_RSRC2:TRAP_HANDLER: 0
; COMPUTE_PGM_RSRC2:TGID_X_EN: 1
; COMPUTE_PGM_RSRC2:TGID_Y_EN: 0
; COMPUTE_PGM_RSRC2:TGID_Z_EN: 0
; COMPUTE_PGM_RSRC2:TIDIG_COMP_CNT: 0
	.section	.text._ZN7rocprim17ROCPRIM_400000_NS6detail17trampoline_kernelINS0_13select_configILj256ELj13ELNS0_17block_load_methodE3ELS4_3ELS4_3ELNS0_20block_scan_algorithmE0ELj4294967295EEENS1_25partition_config_selectorILNS1_17partition_subalgoE3EjNS0_10empty_typeEbEEZZNS1_14partition_implILS8_3ELb0ES6_jNS0_17counting_iteratorIjlEEPS9_SE_NS0_5tupleIJPjSE_EEENSF_IJSE_SE_EEES9_SG_JZNS1_25segmented_radix_sort_implINS0_14default_configELb0EPKfPfPKlPlN2at6native12_GLOBAL__N_18offset_tEEE10hipError_tPvRmT1_PNSt15iterator_traitsISY_E10value_typeET2_T3_PNSZ_IS14_E10value_typeET4_jRbjT5_S1A_jjP12ihipStream_tbEUljE_EEESV_SW_SX_S14_S18_S1A_T6_T7_T9_mT8_S1C_bDpT10_ENKUlT_T0_E_clISt17integral_constantIbLb0EES1P_EEDaS1K_S1L_EUlS1K_E_NS1_11comp_targetILNS1_3genE9ELNS1_11target_archE1100ELNS1_3gpuE3ELNS1_3repE0EEENS1_30default_config_static_selectorELNS0_4arch9wavefront6targetE0EEEvSY_,"axG",@progbits,_ZN7rocprim17ROCPRIM_400000_NS6detail17trampoline_kernelINS0_13select_configILj256ELj13ELNS0_17block_load_methodE3ELS4_3ELS4_3ELNS0_20block_scan_algorithmE0ELj4294967295EEENS1_25partition_config_selectorILNS1_17partition_subalgoE3EjNS0_10empty_typeEbEEZZNS1_14partition_implILS8_3ELb0ES6_jNS0_17counting_iteratorIjlEEPS9_SE_NS0_5tupleIJPjSE_EEENSF_IJSE_SE_EEES9_SG_JZNS1_25segmented_radix_sort_implINS0_14default_configELb0EPKfPfPKlPlN2at6native12_GLOBAL__N_18offset_tEEE10hipError_tPvRmT1_PNSt15iterator_traitsISY_E10value_typeET2_T3_PNSZ_IS14_E10value_typeET4_jRbjT5_S1A_jjP12ihipStream_tbEUljE_EEESV_SW_SX_S14_S18_S1A_T6_T7_T9_mT8_S1C_bDpT10_ENKUlT_T0_E_clISt17integral_constantIbLb0EES1P_EEDaS1K_S1L_EUlS1K_E_NS1_11comp_targetILNS1_3genE9ELNS1_11target_archE1100ELNS1_3gpuE3ELNS1_3repE0EEENS1_30default_config_static_selectorELNS0_4arch9wavefront6targetE0EEEvSY_,comdat
	.globl	_ZN7rocprim17ROCPRIM_400000_NS6detail17trampoline_kernelINS0_13select_configILj256ELj13ELNS0_17block_load_methodE3ELS4_3ELS4_3ELNS0_20block_scan_algorithmE0ELj4294967295EEENS1_25partition_config_selectorILNS1_17partition_subalgoE3EjNS0_10empty_typeEbEEZZNS1_14partition_implILS8_3ELb0ES6_jNS0_17counting_iteratorIjlEEPS9_SE_NS0_5tupleIJPjSE_EEENSF_IJSE_SE_EEES9_SG_JZNS1_25segmented_radix_sort_implINS0_14default_configELb0EPKfPfPKlPlN2at6native12_GLOBAL__N_18offset_tEEE10hipError_tPvRmT1_PNSt15iterator_traitsISY_E10value_typeET2_T3_PNSZ_IS14_E10value_typeET4_jRbjT5_S1A_jjP12ihipStream_tbEUljE_EEESV_SW_SX_S14_S18_S1A_T6_T7_T9_mT8_S1C_bDpT10_ENKUlT_T0_E_clISt17integral_constantIbLb0EES1P_EEDaS1K_S1L_EUlS1K_E_NS1_11comp_targetILNS1_3genE9ELNS1_11target_archE1100ELNS1_3gpuE3ELNS1_3repE0EEENS1_30default_config_static_selectorELNS0_4arch9wavefront6targetE0EEEvSY_ ; -- Begin function _ZN7rocprim17ROCPRIM_400000_NS6detail17trampoline_kernelINS0_13select_configILj256ELj13ELNS0_17block_load_methodE3ELS4_3ELS4_3ELNS0_20block_scan_algorithmE0ELj4294967295EEENS1_25partition_config_selectorILNS1_17partition_subalgoE3EjNS0_10empty_typeEbEEZZNS1_14partition_implILS8_3ELb0ES6_jNS0_17counting_iteratorIjlEEPS9_SE_NS0_5tupleIJPjSE_EEENSF_IJSE_SE_EEES9_SG_JZNS1_25segmented_radix_sort_implINS0_14default_configELb0EPKfPfPKlPlN2at6native12_GLOBAL__N_18offset_tEEE10hipError_tPvRmT1_PNSt15iterator_traitsISY_E10value_typeET2_T3_PNSZ_IS14_E10value_typeET4_jRbjT5_S1A_jjP12ihipStream_tbEUljE_EEESV_SW_SX_S14_S18_S1A_T6_T7_T9_mT8_S1C_bDpT10_ENKUlT_T0_E_clISt17integral_constantIbLb0EES1P_EEDaS1K_S1L_EUlS1K_E_NS1_11comp_targetILNS1_3genE9ELNS1_11target_archE1100ELNS1_3gpuE3ELNS1_3repE0EEENS1_30default_config_static_selectorELNS0_4arch9wavefront6targetE0EEEvSY_
	.p2align	8
	.type	_ZN7rocprim17ROCPRIM_400000_NS6detail17trampoline_kernelINS0_13select_configILj256ELj13ELNS0_17block_load_methodE3ELS4_3ELS4_3ELNS0_20block_scan_algorithmE0ELj4294967295EEENS1_25partition_config_selectorILNS1_17partition_subalgoE3EjNS0_10empty_typeEbEEZZNS1_14partition_implILS8_3ELb0ES6_jNS0_17counting_iteratorIjlEEPS9_SE_NS0_5tupleIJPjSE_EEENSF_IJSE_SE_EEES9_SG_JZNS1_25segmented_radix_sort_implINS0_14default_configELb0EPKfPfPKlPlN2at6native12_GLOBAL__N_18offset_tEEE10hipError_tPvRmT1_PNSt15iterator_traitsISY_E10value_typeET2_T3_PNSZ_IS14_E10value_typeET4_jRbjT5_S1A_jjP12ihipStream_tbEUljE_EEESV_SW_SX_S14_S18_S1A_T6_T7_T9_mT8_S1C_bDpT10_ENKUlT_T0_E_clISt17integral_constantIbLb0EES1P_EEDaS1K_S1L_EUlS1K_E_NS1_11comp_targetILNS1_3genE9ELNS1_11target_archE1100ELNS1_3gpuE3ELNS1_3repE0EEENS1_30default_config_static_selectorELNS0_4arch9wavefront6targetE0EEEvSY_,@function
_ZN7rocprim17ROCPRIM_400000_NS6detail17trampoline_kernelINS0_13select_configILj256ELj13ELNS0_17block_load_methodE3ELS4_3ELS4_3ELNS0_20block_scan_algorithmE0ELj4294967295EEENS1_25partition_config_selectorILNS1_17partition_subalgoE3EjNS0_10empty_typeEbEEZZNS1_14partition_implILS8_3ELb0ES6_jNS0_17counting_iteratorIjlEEPS9_SE_NS0_5tupleIJPjSE_EEENSF_IJSE_SE_EEES9_SG_JZNS1_25segmented_radix_sort_implINS0_14default_configELb0EPKfPfPKlPlN2at6native12_GLOBAL__N_18offset_tEEE10hipError_tPvRmT1_PNSt15iterator_traitsISY_E10value_typeET2_T3_PNSZ_IS14_E10value_typeET4_jRbjT5_S1A_jjP12ihipStream_tbEUljE_EEESV_SW_SX_S14_S18_S1A_T6_T7_T9_mT8_S1C_bDpT10_ENKUlT_T0_E_clISt17integral_constantIbLb0EES1P_EEDaS1K_S1L_EUlS1K_E_NS1_11comp_targetILNS1_3genE9ELNS1_11target_archE1100ELNS1_3gpuE3ELNS1_3repE0EEENS1_30default_config_static_selectorELNS0_4arch9wavefront6targetE0EEEvSY_: ; @_ZN7rocprim17ROCPRIM_400000_NS6detail17trampoline_kernelINS0_13select_configILj256ELj13ELNS0_17block_load_methodE3ELS4_3ELS4_3ELNS0_20block_scan_algorithmE0ELj4294967295EEENS1_25partition_config_selectorILNS1_17partition_subalgoE3EjNS0_10empty_typeEbEEZZNS1_14partition_implILS8_3ELb0ES6_jNS0_17counting_iteratorIjlEEPS9_SE_NS0_5tupleIJPjSE_EEENSF_IJSE_SE_EEES9_SG_JZNS1_25segmented_radix_sort_implINS0_14default_configELb0EPKfPfPKlPlN2at6native12_GLOBAL__N_18offset_tEEE10hipError_tPvRmT1_PNSt15iterator_traitsISY_E10value_typeET2_T3_PNSZ_IS14_E10value_typeET4_jRbjT5_S1A_jjP12ihipStream_tbEUljE_EEESV_SW_SX_S14_S18_S1A_T6_T7_T9_mT8_S1C_bDpT10_ENKUlT_T0_E_clISt17integral_constantIbLb0EES1P_EEDaS1K_S1L_EUlS1K_E_NS1_11comp_targetILNS1_3genE9ELNS1_11target_archE1100ELNS1_3gpuE3ELNS1_3repE0EEENS1_30default_config_static_selectorELNS0_4arch9wavefront6targetE0EEEvSY_
; %bb.0:
	.section	.rodata,"a",@progbits
	.p2align	6, 0x0
	.amdhsa_kernel _ZN7rocprim17ROCPRIM_400000_NS6detail17trampoline_kernelINS0_13select_configILj256ELj13ELNS0_17block_load_methodE3ELS4_3ELS4_3ELNS0_20block_scan_algorithmE0ELj4294967295EEENS1_25partition_config_selectorILNS1_17partition_subalgoE3EjNS0_10empty_typeEbEEZZNS1_14partition_implILS8_3ELb0ES6_jNS0_17counting_iteratorIjlEEPS9_SE_NS0_5tupleIJPjSE_EEENSF_IJSE_SE_EEES9_SG_JZNS1_25segmented_radix_sort_implINS0_14default_configELb0EPKfPfPKlPlN2at6native12_GLOBAL__N_18offset_tEEE10hipError_tPvRmT1_PNSt15iterator_traitsISY_E10value_typeET2_T3_PNSZ_IS14_E10value_typeET4_jRbjT5_S1A_jjP12ihipStream_tbEUljE_EEESV_SW_SX_S14_S18_S1A_T6_T7_T9_mT8_S1C_bDpT10_ENKUlT_T0_E_clISt17integral_constantIbLb0EES1P_EEDaS1K_S1L_EUlS1K_E_NS1_11comp_targetILNS1_3genE9ELNS1_11target_archE1100ELNS1_3gpuE3ELNS1_3repE0EEENS1_30default_config_static_selectorELNS0_4arch9wavefront6targetE0EEEvSY_
		.amdhsa_group_segment_fixed_size 0
		.amdhsa_private_segment_fixed_size 0
		.amdhsa_kernarg_size 144
		.amdhsa_user_sgpr_count 6
		.amdhsa_user_sgpr_private_segment_buffer 1
		.amdhsa_user_sgpr_dispatch_ptr 0
		.amdhsa_user_sgpr_queue_ptr 0
		.amdhsa_user_sgpr_kernarg_segment_ptr 1
		.amdhsa_user_sgpr_dispatch_id 0
		.amdhsa_user_sgpr_flat_scratch_init 0
		.amdhsa_user_sgpr_private_segment_size 0
		.amdhsa_wavefront_size32 1
		.amdhsa_uses_dynamic_stack 0
		.amdhsa_system_sgpr_private_segment_wavefront_offset 0
		.amdhsa_system_sgpr_workgroup_id_x 1
		.amdhsa_system_sgpr_workgroup_id_y 0
		.amdhsa_system_sgpr_workgroup_id_z 0
		.amdhsa_system_sgpr_workgroup_info 0
		.amdhsa_system_vgpr_workitem_id 0
		.amdhsa_next_free_vgpr 1
		.amdhsa_next_free_sgpr 1
		.amdhsa_reserve_vcc 0
		.amdhsa_reserve_flat_scratch 0
		.amdhsa_float_round_mode_32 0
		.amdhsa_float_round_mode_16_64 0
		.amdhsa_float_denorm_mode_32 3
		.amdhsa_float_denorm_mode_16_64 3
		.amdhsa_dx10_clamp 1
		.amdhsa_ieee_mode 1
		.amdhsa_fp16_overflow 0
		.amdhsa_workgroup_processor_mode 1
		.amdhsa_memory_ordered 1
		.amdhsa_forward_progress 1
		.amdhsa_shared_vgpr_count 0
		.amdhsa_exception_fp_ieee_invalid_op 0
		.amdhsa_exception_fp_denorm_src 0
		.amdhsa_exception_fp_ieee_div_zero 0
		.amdhsa_exception_fp_ieee_overflow 0
		.amdhsa_exception_fp_ieee_underflow 0
		.amdhsa_exception_fp_ieee_inexact 0
		.amdhsa_exception_int_div_zero 0
	.end_amdhsa_kernel
	.section	.text._ZN7rocprim17ROCPRIM_400000_NS6detail17trampoline_kernelINS0_13select_configILj256ELj13ELNS0_17block_load_methodE3ELS4_3ELS4_3ELNS0_20block_scan_algorithmE0ELj4294967295EEENS1_25partition_config_selectorILNS1_17partition_subalgoE3EjNS0_10empty_typeEbEEZZNS1_14partition_implILS8_3ELb0ES6_jNS0_17counting_iteratorIjlEEPS9_SE_NS0_5tupleIJPjSE_EEENSF_IJSE_SE_EEES9_SG_JZNS1_25segmented_radix_sort_implINS0_14default_configELb0EPKfPfPKlPlN2at6native12_GLOBAL__N_18offset_tEEE10hipError_tPvRmT1_PNSt15iterator_traitsISY_E10value_typeET2_T3_PNSZ_IS14_E10value_typeET4_jRbjT5_S1A_jjP12ihipStream_tbEUljE_EEESV_SW_SX_S14_S18_S1A_T6_T7_T9_mT8_S1C_bDpT10_ENKUlT_T0_E_clISt17integral_constantIbLb0EES1P_EEDaS1K_S1L_EUlS1K_E_NS1_11comp_targetILNS1_3genE9ELNS1_11target_archE1100ELNS1_3gpuE3ELNS1_3repE0EEENS1_30default_config_static_selectorELNS0_4arch9wavefront6targetE0EEEvSY_,"axG",@progbits,_ZN7rocprim17ROCPRIM_400000_NS6detail17trampoline_kernelINS0_13select_configILj256ELj13ELNS0_17block_load_methodE3ELS4_3ELS4_3ELNS0_20block_scan_algorithmE0ELj4294967295EEENS1_25partition_config_selectorILNS1_17partition_subalgoE3EjNS0_10empty_typeEbEEZZNS1_14partition_implILS8_3ELb0ES6_jNS0_17counting_iteratorIjlEEPS9_SE_NS0_5tupleIJPjSE_EEENSF_IJSE_SE_EEES9_SG_JZNS1_25segmented_radix_sort_implINS0_14default_configELb0EPKfPfPKlPlN2at6native12_GLOBAL__N_18offset_tEEE10hipError_tPvRmT1_PNSt15iterator_traitsISY_E10value_typeET2_T3_PNSZ_IS14_E10value_typeET4_jRbjT5_S1A_jjP12ihipStream_tbEUljE_EEESV_SW_SX_S14_S18_S1A_T6_T7_T9_mT8_S1C_bDpT10_ENKUlT_T0_E_clISt17integral_constantIbLb0EES1P_EEDaS1K_S1L_EUlS1K_E_NS1_11comp_targetILNS1_3genE9ELNS1_11target_archE1100ELNS1_3gpuE3ELNS1_3repE0EEENS1_30default_config_static_selectorELNS0_4arch9wavefront6targetE0EEEvSY_,comdat
.Lfunc_end1394:
	.size	_ZN7rocprim17ROCPRIM_400000_NS6detail17trampoline_kernelINS0_13select_configILj256ELj13ELNS0_17block_load_methodE3ELS4_3ELS4_3ELNS0_20block_scan_algorithmE0ELj4294967295EEENS1_25partition_config_selectorILNS1_17partition_subalgoE3EjNS0_10empty_typeEbEEZZNS1_14partition_implILS8_3ELb0ES6_jNS0_17counting_iteratorIjlEEPS9_SE_NS0_5tupleIJPjSE_EEENSF_IJSE_SE_EEES9_SG_JZNS1_25segmented_radix_sort_implINS0_14default_configELb0EPKfPfPKlPlN2at6native12_GLOBAL__N_18offset_tEEE10hipError_tPvRmT1_PNSt15iterator_traitsISY_E10value_typeET2_T3_PNSZ_IS14_E10value_typeET4_jRbjT5_S1A_jjP12ihipStream_tbEUljE_EEESV_SW_SX_S14_S18_S1A_T6_T7_T9_mT8_S1C_bDpT10_ENKUlT_T0_E_clISt17integral_constantIbLb0EES1P_EEDaS1K_S1L_EUlS1K_E_NS1_11comp_targetILNS1_3genE9ELNS1_11target_archE1100ELNS1_3gpuE3ELNS1_3repE0EEENS1_30default_config_static_selectorELNS0_4arch9wavefront6targetE0EEEvSY_, .Lfunc_end1394-_ZN7rocprim17ROCPRIM_400000_NS6detail17trampoline_kernelINS0_13select_configILj256ELj13ELNS0_17block_load_methodE3ELS4_3ELS4_3ELNS0_20block_scan_algorithmE0ELj4294967295EEENS1_25partition_config_selectorILNS1_17partition_subalgoE3EjNS0_10empty_typeEbEEZZNS1_14partition_implILS8_3ELb0ES6_jNS0_17counting_iteratorIjlEEPS9_SE_NS0_5tupleIJPjSE_EEENSF_IJSE_SE_EEES9_SG_JZNS1_25segmented_radix_sort_implINS0_14default_configELb0EPKfPfPKlPlN2at6native12_GLOBAL__N_18offset_tEEE10hipError_tPvRmT1_PNSt15iterator_traitsISY_E10value_typeET2_T3_PNSZ_IS14_E10value_typeET4_jRbjT5_S1A_jjP12ihipStream_tbEUljE_EEESV_SW_SX_S14_S18_S1A_T6_T7_T9_mT8_S1C_bDpT10_ENKUlT_T0_E_clISt17integral_constantIbLb0EES1P_EEDaS1K_S1L_EUlS1K_E_NS1_11comp_targetILNS1_3genE9ELNS1_11target_archE1100ELNS1_3gpuE3ELNS1_3repE0EEENS1_30default_config_static_selectorELNS0_4arch9wavefront6targetE0EEEvSY_
                                        ; -- End function
	.set _ZN7rocprim17ROCPRIM_400000_NS6detail17trampoline_kernelINS0_13select_configILj256ELj13ELNS0_17block_load_methodE3ELS4_3ELS4_3ELNS0_20block_scan_algorithmE0ELj4294967295EEENS1_25partition_config_selectorILNS1_17partition_subalgoE3EjNS0_10empty_typeEbEEZZNS1_14partition_implILS8_3ELb0ES6_jNS0_17counting_iteratorIjlEEPS9_SE_NS0_5tupleIJPjSE_EEENSF_IJSE_SE_EEES9_SG_JZNS1_25segmented_radix_sort_implINS0_14default_configELb0EPKfPfPKlPlN2at6native12_GLOBAL__N_18offset_tEEE10hipError_tPvRmT1_PNSt15iterator_traitsISY_E10value_typeET2_T3_PNSZ_IS14_E10value_typeET4_jRbjT5_S1A_jjP12ihipStream_tbEUljE_EEESV_SW_SX_S14_S18_S1A_T6_T7_T9_mT8_S1C_bDpT10_ENKUlT_T0_E_clISt17integral_constantIbLb0EES1P_EEDaS1K_S1L_EUlS1K_E_NS1_11comp_targetILNS1_3genE9ELNS1_11target_archE1100ELNS1_3gpuE3ELNS1_3repE0EEENS1_30default_config_static_selectorELNS0_4arch9wavefront6targetE0EEEvSY_.num_vgpr, 0
	.set _ZN7rocprim17ROCPRIM_400000_NS6detail17trampoline_kernelINS0_13select_configILj256ELj13ELNS0_17block_load_methodE3ELS4_3ELS4_3ELNS0_20block_scan_algorithmE0ELj4294967295EEENS1_25partition_config_selectorILNS1_17partition_subalgoE3EjNS0_10empty_typeEbEEZZNS1_14partition_implILS8_3ELb0ES6_jNS0_17counting_iteratorIjlEEPS9_SE_NS0_5tupleIJPjSE_EEENSF_IJSE_SE_EEES9_SG_JZNS1_25segmented_radix_sort_implINS0_14default_configELb0EPKfPfPKlPlN2at6native12_GLOBAL__N_18offset_tEEE10hipError_tPvRmT1_PNSt15iterator_traitsISY_E10value_typeET2_T3_PNSZ_IS14_E10value_typeET4_jRbjT5_S1A_jjP12ihipStream_tbEUljE_EEESV_SW_SX_S14_S18_S1A_T6_T7_T9_mT8_S1C_bDpT10_ENKUlT_T0_E_clISt17integral_constantIbLb0EES1P_EEDaS1K_S1L_EUlS1K_E_NS1_11comp_targetILNS1_3genE9ELNS1_11target_archE1100ELNS1_3gpuE3ELNS1_3repE0EEENS1_30default_config_static_selectorELNS0_4arch9wavefront6targetE0EEEvSY_.num_agpr, 0
	.set _ZN7rocprim17ROCPRIM_400000_NS6detail17trampoline_kernelINS0_13select_configILj256ELj13ELNS0_17block_load_methodE3ELS4_3ELS4_3ELNS0_20block_scan_algorithmE0ELj4294967295EEENS1_25partition_config_selectorILNS1_17partition_subalgoE3EjNS0_10empty_typeEbEEZZNS1_14partition_implILS8_3ELb0ES6_jNS0_17counting_iteratorIjlEEPS9_SE_NS0_5tupleIJPjSE_EEENSF_IJSE_SE_EEES9_SG_JZNS1_25segmented_radix_sort_implINS0_14default_configELb0EPKfPfPKlPlN2at6native12_GLOBAL__N_18offset_tEEE10hipError_tPvRmT1_PNSt15iterator_traitsISY_E10value_typeET2_T3_PNSZ_IS14_E10value_typeET4_jRbjT5_S1A_jjP12ihipStream_tbEUljE_EEESV_SW_SX_S14_S18_S1A_T6_T7_T9_mT8_S1C_bDpT10_ENKUlT_T0_E_clISt17integral_constantIbLb0EES1P_EEDaS1K_S1L_EUlS1K_E_NS1_11comp_targetILNS1_3genE9ELNS1_11target_archE1100ELNS1_3gpuE3ELNS1_3repE0EEENS1_30default_config_static_selectorELNS0_4arch9wavefront6targetE0EEEvSY_.numbered_sgpr, 0
	.set _ZN7rocprim17ROCPRIM_400000_NS6detail17trampoline_kernelINS0_13select_configILj256ELj13ELNS0_17block_load_methodE3ELS4_3ELS4_3ELNS0_20block_scan_algorithmE0ELj4294967295EEENS1_25partition_config_selectorILNS1_17partition_subalgoE3EjNS0_10empty_typeEbEEZZNS1_14partition_implILS8_3ELb0ES6_jNS0_17counting_iteratorIjlEEPS9_SE_NS0_5tupleIJPjSE_EEENSF_IJSE_SE_EEES9_SG_JZNS1_25segmented_radix_sort_implINS0_14default_configELb0EPKfPfPKlPlN2at6native12_GLOBAL__N_18offset_tEEE10hipError_tPvRmT1_PNSt15iterator_traitsISY_E10value_typeET2_T3_PNSZ_IS14_E10value_typeET4_jRbjT5_S1A_jjP12ihipStream_tbEUljE_EEESV_SW_SX_S14_S18_S1A_T6_T7_T9_mT8_S1C_bDpT10_ENKUlT_T0_E_clISt17integral_constantIbLb0EES1P_EEDaS1K_S1L_EUlS1K_E_NS1_11comp_targetILNS1_3genE9ELNS1_11target_archE1100ELNS1_3gpuE3ELNS1_3repE0EEENS1_30default_config_static_selectorELNS0_4arch9wavefront6targetE0EEEvSY_.num_named_barrier, 0
	.set _ZN7rocprim17ROCPRIM_400000_NS6detail17trampoline_kernelINS0_13select_configILj256ELj13ELNS0_17block_load_methodE3ELS4_3ELS4_3ELNS0_20block_scan_algorithmE0ELj4294967295EEENS1_25partition_config_selectorILNS1_17partition_subalgoE3EjNS0_10empty_typeEbEEZZNS1_14partition_implILS8_3ELb0ES6_jNS0_17counting_iteratorIjlEEPS9_SE_NS0_5tupleIJPjSE_EEENSF_IJSE_SE_EEES9_SG_JZNS1_25segmented_radix_sort_implINS0_14default_configELb0EPKfPfPKlPlN2at6native12_GLOBAL__N_18offset_tEEE10hipError_tPvRmT1_PNSt15iterator_traitsISY_E10value_typeET2_T3_PNSZ_IS14_E10value_typeET4_jRbjT5_S1A_jjP12ihipStream_tbEUljE_EEESV_SW_SX_S14_S18_S1A_T6_T7_T9_mT8_S1C_bDpT10_ENKUlT_T0_E_clISt17integral_constantIbLb0EES1P_EEDaS1K_S1L_EUlS1K_E_NS1_11comp_targetILNS1_3genE9ELNS1_11target_archE1100ELNS1_3gpuE3ELNS1_3repE0EEENS1_30default_config_static_selectorELNS0_4arch9wavefront6targetE0EEEvSY_.private_seg_size, 0
	.set _ZN7rocprim17ROCPRIM_400000_NS6detail17trampoline_kernelINS0_13select_configILj256ELj13ELNS0_17block_load_methodE3ELS4_3ELS4_3ELNS0_20block_scan_algorithmE0ELj4294967295EEENS1_25partition_config_selectorILNS1_17partition_subalgoE3EjNS0_10empty_typeEbEEZZNS1_14partition_implILS8_3ELb0ES6_jNS0_17counting_iteratorIjlEEPS9_SE_NS0_5tupleIJPjSE_EEENSF_IJSE_SE_EEES9_SG_JZNS1_25segmented_radix_sort_implINS0_14default_configELb0EPKfPfPKlPlN2at6native12_GLOBAL__N_18offset_tEEE10hipError_tPvRmT1_PNSt15iterator_traitsISY_E10value_typeET2_T3_PNSZ_IS14_E10value_typeET4_jRbjT5_S1A_jjP12ihipStream_tbEUljE_EEESV_SW_SX_S14_S18_S1A_T6_T7_T9_mT8_S1C_bDpT10_ENKUlT_T0_E_clISt17integral_constantIbLb0EES1P_EEDaS1K_S1L_EUlS1K_E_NS1_11comp_targetILNS1_3genE9ELNS1_11target_archE1100ELNS1_3gpuE3ELNS1_3repE0EEENS1_30default_config_static_selectorELNS0_4arch9wavefront6targetE0EEEvSY_.uses_vcc, 0
	.set _ZN7rocprim17ROCPRIM_400000_NS6detail17trampoline_kernelINS0_13select_configILj256ELj13ELNS0_17block_load_methodE3ELS4_3ELS4_3ELNS0_20block_scan_algorithmE0ELj4294967295EEENS1_25partition_config_selectorILNS1_17partition_subalgoE3EjNS0_10empty_typeEbEEZZNS1_14partition_implILS8_3ELb0ES6_jNS0_17counting_iteratorIjlEEPS9_SE_NS0_5tupleIJPjSE_EEENSF_IJSE_SE_EEES9_SG_JZNS1_25segmented_radix_sort_implINS0_14default_configELb0EPKfPfPKlPlN2at6native12_GLOBAL__N_18offset_tEEE10hipError_tPvRmT1_PNSt15iterator_traitsISY_E10value_typeET2_T3_PNSZ_IS14_E10value_typeET4_jRbjT5_S1A_jjP12ihipStream_tbEUljE_EEESV_SW_SX_S14_S18_S1A_T6_T7_T9_mT8_S1C_bDpT10_ENKUlT_T0_E_clISt17integral_constantIbLb0EES1P_EEDaS1K_S1L_EUlS1K_E_NS1_11comp_targetILNS1_3genE9ELNS1_11target_archE1100ELNS1_3gpuE3ELNS1_3repE0EEENS1_30default_config_static_selectorELNS0_4arch9wavefront6targetE0EEEvSY_.uses_flat_scratch, 0
	.set _ZN7rocprim17ROCPRIM_400000_NS6detail17trampoline_kernelINS0_13select_configILj256ELj13ELNS0_17block_load_methodE3ELS4_3ELS4_3ELNS0_20block_scan_algorithmE0ELj4294967295EEENS1_25partition_config_selectorILNS1_17partition_subalgoE3EjNS0_10empty_typeEbEEZZNS1_14partition_implILS8_3ELb0ES6_jNS0_17counting_iteratorIjlEEPS9_SE_NS0_5tupleIJPjSE_EEENSF_IJSE_SE_EEES9_SG_JZNS1_25segmented_radix_sort_implINS0_14default_configELb0EPKfPfPKlPlN2at6native12_GLOBAL__N_18offset_tEEE10hipError_tPvRmT1_PNSt15iterator_traitsISY_E10value_typeET2_T3_PNSZ_IS14_E10value_typeET4_jRbjT5_S1A_jjP12ihipStream_tbEUljE_EEESV_SW_SX_S14_S18_S1A_T6_T7_T9_mT8_S1C_bDpT10_ENKUlT_T0_E_clISt17integral_constantIbLb0EES1P_EEDaS1K_S1L_EUlS1K_E_NS1_11comp_targetILNS1_3genE9ELNS1_11target_archE1100ELNS1_3gpuE3ELNS1_3repE0EEENS1_30default_config_static_selectorELNS0_4arch9wavefront6targetE0EEEvSY_.has_dyn_sized_stack, 0
	.set _ZN7rocprim17ROCPRIM_400000_NS6detail17trampoline_kernelINS0_13select_configILj256ELj13ELNS0_17block_load_methodE3ELS4_3ELS4_3ELNS0_20block_scan_algorithmE0ELj4294967295EEENS1_25partition_config_selectorILNS1_17partition_subalgoE3EjNS0_10empty_typeEbEEZZNS1_14partition_implILS8_3ELb0ES6_jNS0_17counting_iteratorIjlEEPS9_SE_NS0_5tupleIJPjSE_EEENSF_IJSE_SE_EEES9_SG_JZNS1_25segmented_radix_sort_implINS0_14default_configELb0EPKfPfPKlPlN2at6native12_GLOBAL__N_18offset_tEEE10hipError_tPvRmT1_PNSt15iterator_traitsISY_E10value_typeET2_T3_PNSZ_IS14_E10value_typeET4_jRbjT5_S1A_jjP12ihipStream_tbEUljE_EEESV_SW_SX_S14_S18_S1A_T6_T7_T9_mT8_S1C_bDpT10_ENKUlT_T0_E_clISt17integral_constantIbLb0EES1P_EEDaS1K_S1L_EUlS1K_E_NS1_11comp_targetILNS1_3genE9ELNS1_11target_archE1100ELNS1_3gpuE3ELNS1_3repE0EEENS1_30default_config_static_selectorELNS0_4arch9wavefront6targetE0EEEvSY_.has_recursion, 0
	.set _ZN7rocprim17ROCPRIM_400000_NS6detail17trampoline_kernelINS0_13select_configILj256ELj13ELNS0_17block_load_methodE3ELS4_3ELS4_3ELNS0_20block_scan_algorithmE0ELj4294967295EEENS1_25partition_config_selectorILNS1_17partition_subalgoE3EjNS0_10empty_typeEbEEZZNS1_14partition_implILS8_3ELb0ES6_jNS0_17counting_iteratorIjlEEPS9_SE_NS0_5tupleIJPjSE_EEENSF_IJSE_SE_EEES9_SG_JZNS1_25segmented_radix_sort_implINS0_14default_configELb0EPKfPfPKlPlN2at6native12_GLOBAL__N_18offset_tEEE10hipError_tPvRmT1_PNSt15iterator_traitsISY_E10value_typeET2_T3_PNSZ_IS14_E10value_typeET4_jRbjT5_S1A_jjP12ihipStream_tbEUljE_EEESV_SW_SX_S14_S18_S1A_T6_T7_T9_mT8_S1C_bDpT10_ENKUlT_T0_E_clISt17integral_constantIbLb0EES1P_EEDaS1K_S1L_EUlS1K_E_NS1_11comp_targetILNS1_3genE9ELNS1_11target_archE1100ELNS1_3gpuE3ELNS1_3repE0EEENS1_30default_config_static_selectorELNS0_4arch9wavefront6targetE0EEEvSY_.has_indirect_call, 0
	.section	.AMDGPU.csdata,"",@progbits
; Kernel info:
; codeLenInByte = 0
; TotalNumSgprs: 0
; NumVgprs: 0
; ScratchSize: 0
; MemoryBound: 0
; FloatMode: 240
; IeeeMode: 1
; LDSByteSize: 0 bytes/workgroup (compile time only)
; SGPRBlocks: 0
; VGPRBlocks: 0
; NumSGPRsForWavesPerEU: 1
; NumVGPRsForWavesPerEU: 1
; Occupancy: 16
; WaveLimiterHint : 0
; COMPUTE_PGM_RSRC2:SCRATCH_EN: 0
; COMPUTE_PGM_RSRC2:USER_SGPR: 6
; COMPUTE_PGM_RSRC2:TRAP_HANDLER: 0
; COMPUTE_PGM_RSRC2:TGID_X_EN: 1
; COMPUTE_PGM_RSRC2:TGID_Y_EN: 0
; COMPUTE_PGM_RSRC2:TGID_Z_EN: 0
; COMPUTE_PGM_RSRC2:TIDIG_COMP_CNT: 0
	.section	.text._ZN7rocprim17ROCPRIM_400000_NS6detail17trampoline_kernelINS0_13select_configILj256ELj13ELNS0_17block_load_methodE3ELS4_3ELS4_3ELNS0_20block_scan_algorithmE0ELj4294967295EEENS1_25partition_config_selectorILNS1_17partition_subalgoE3EjNS0_10empty_typeEbEEZZNS1_14partition_implILS8_3ELb0ES6_jNS0_17counting_iteratorIjlEEPS9_SE_NS0_5tupleIJPjSE_EEENSF_IJSE_SE_EEES9_SG_JZNS1_25segmented_radix_sort_implINS0_14default_configELb0EPKfPfPKlPlN2at6native12_GLOBAL__N_18offset_tEEE10hipError_tPvRmT1_PNSt15iterator_traitsISY_E10value_typeET2_T3_PNSZ_IS14_E10value_typeET4_jRbjT5_S1A_jjP12ihipStream_tbEUljE_EEESV_SW_SX_S14_S18_S1A_T6_T7_T9_mT8_S1C_bDpT10_ENKUlT_T0_E_clISt17integral_constantIbLb0EES1P_EEDaS1K_S1L_EUlS1K_E_NS1_11comp_targetILNS1_3genE8ELNS1_11target_archE1030ELNS1_3gpuE2ELNS1_3repE0EEENS1_30default_config_static_selectorELNS0_4arch9wavefront6targetE0EEEvSY_,"axG",@progbits,_ZN7rocprim17ROCPRIM_400000_NS6detail17trampoline_kernelINS0_13select_configILj256ELj13ELNS0_17block_load_methodE3ELS4_3ELS4_3ELNS0_20block_scan_algorithmE0ELj4294967295EEENS1_25partition_config_selectorILNS1_17partition_subalgoE3EjNS0_10empty_typeEbEEZZNS1_14partition_implILS8_3ELb0ES6_jNS0_17counting_iteratorIjlEEPS9_SE_NS0_5tupleIJPjSE_EEENSF_IJSE_SE_EEES9_SG_JZNS1_25segmented_radix_sort_implINS0_14default_configELb0EPKfPfPKlPlN2at6native12_GLOBAL__N_18offset_tEEE10hipError_tPvRmT1_PNSt15iterator_traitsISY_E10value_typeET2_T3_PNSZ_IS14_E10value_typeET4_jRbjT5_S1A_jjP12ihipStream_tbEUljE_EEESV_SW_SX_S14_S18_S1A_T6_T7_T9_mT8_S1C_bDpT10_ENKUlT_T0_E_clISt17integral_constantIbLb0EES1P_EEDaS1K_S1L_EUlS1K_E_NS1_11comp_targetILNS1_3genE8ELNS1_11target_archE1030ELNS1_3gpuE2ELNS1_3repE0EEENS1_30default_config_static_selectorELNS0_4arch9wavefront6targetE0EEEvSY_,comdat
	.globl	_ZN7rocprim17ROCPRIM_400000_NS6detail17trampoline_kernelINS0_13select_configILj256ELj13ELNS0_17block_load_methodE3ELS4_3ELS4_3ELNS0_20block_scan_algorithmE0ELj4294967295EEENS1_25partition_config_selectorILNS1_17partition_subalgoE3EjNS0_10empty_typeEbEEZZNS1_14partition_implILS8_3ELb0ES6_jNS0_17counting_iteratorIjlEEPS9_SE_NS0_5tupleIJPjSE_EEENSF_IJSE_SE_EEES9_SG_JZNS1_25segmented_radix_sort_implINS0_14default_configELb0EPKfPfPKlPlN2at6native12_GLOBAL__N_18offset_tEEE10hipError_tPvRmT1_PNSt15iterator_traitsISY_E10value_typeET2_T3_PNSZ_IS14_E10value_typeET4_jRbjT5_S1A_jjP12ihipStream_tbEUljE_EEESV_SW_SX_S14_S18_S1A_T6_T7_T9_mT8_S1C_bDpT10_ENKUlT_T0_E_clISt17integral_constantIbLb0EES1P_EEDaS1K_S1L_EUlS1K_E_NS1_11comp_targetILNS1_3genE8ELNS1_11target_archE1030ELNS1_3gpuE2ELNS1_3repE0EEENS1_30default_config_static_selectorELNS0_4arch9wavefront6targetE0EEEvSY_ ; -- Begin function _ZN7rocprim17ROCPRIM_400000_NS6detail17trampoline_kernelINS0_13select_configILj256ELj13ELNS0_17block_load_methodE3ELS4_3ELS4_3ELNS0_20block_scan_algorithmE0ELj4294967295EEENS1_25partition_config_selectorILNS1_17partition_subalgoE3EjNS0_10empty_typeEbEEZZNS1_14partition_implILS8_3ELb0ES6_jNS0_17counting_iteratorIjlEEPS9_SE_NS0_5tupleIJPjSE_EEENSF_IJSE_SE_EEES9_SG_JZNS1_25segmented_radix_sort_implINS0_14default_configELb0EPKfPfPKlPlN2at6native12_GLOBAL__N_18offset_tEEE10hipError_tPvRmT1_PNSt15iterator_traitsISY_E10value_typeET2_T3_PNSZ_IS14_E10value_typeET4_jRbjT5_S1A_jjP12ihipStream_tbEUljE_EEESV_SW_SX_S14_S18_S1A_T6_T7_T9_mT8_S1C_bDpT10_ENKUlT_T0_E_clISt17integral_constantIbLb0EES1P_EEDaS1K_S1L_EUlS1K_E_NS1_11comp_targetILNS1_3genE8ELNS1_11target_archE1030ELNS1_3gpuE2ELNS1_3repE0EEENS1_30default_config_static_selectorELNS0_4arch9wavefront6targetE0EEEvSY_
	.p2align	8
	.type	_ZN7rocprim17ROCPRIM_400000_NS6detail17trampoline_kernelINS0_13select_configILj256ELj13ELNS0_17block_load_methodE3ELS4_3ELS4_3ELNS0_20block_scan_algorithmE0ELj4294967295EEENS1_25partition_config_selectorILNS1_17partition_subalgoE3EjNS0_10empty_typeEbEEZZNS1_14partition_implILS8_3ELb0ES6_jNS0_17counting_iteratorIjlEEPS9_SE_NS0_5tupleIJPjSE_EEENSF_IJSE_SE_EEES9_SG_JZNS1_25segmented_radix_sort_implINS0_14default_configELb0EPKfPfPKlPlN2at6native12_GLOBAL__N_18offset_tEEE10hipError_tPvRmT1_PNSt15iterator_traitsISY_E10value_typeET2_T3_PNSZ_IS14_E10value_typeET4_jRbjT5_S1A_jjP12ihipStream_tbEUljE_EEESV_SW_SX_S14_S18_S1A_T6_T7_T9_mT8_S1C_bDpT10_ENKUlT_T0_E_clISt17integral_constantIbLb0EES1P_EEDaS1K_S1L_EUlS1K_E_NS1_11comp_targetILNS1_3genE8ELNS1_11target_archE1030ELNS1_3gpuE2ELNS1_3repE0EEENS1_30default_config_static_selectorELNS0_4arch9wavefront6targetE0EEEvSY_,@function
_ZN7rocprim17ROCPRIM_400000_NS6detail17trampoline_kernelINS0_13select_configILj256ELj13ELNS0_17block_load_methodE3ELS4_3ELS4_3ELNS0_20block_scan_algorithmE0ELj4294967295EEENS1_25partition_config_selectorILNS1_17partition_subalgoE3EjNS0_10empty_typeEbEEZZNS1_14partition_implILS8_3ELb0ES6_jNS0_17counting_iteratorIjlEEPS9_SE_NS0_5tupleIJPjSE_EEENSF_IJSE_SE_EEES9_SG_JZNS1_25segmented_radix_sort_implINS0_14default_configELb0EPKfPfPKlPlN2at6native12_GLOBAL__N_18offset_tEEE10hipError_tPvRmT1_PNSt15iterator_traitsISY_E10value_typeET2_T3_PNSZ_IS14_E10value_typeET4_jRbjT5_S1A_jjP12ihipStream_tbEUljE_EEESV_SW_SX_S14_S18_S1A_T6_T7_T9_mT8_S1C_bDpT10_ENKUlT_T0_E_clISt17integral_constantIbLb0EES1P_EEDaS1K_S1L_EUlS1K_E_NS1_11comp_targetILNS1_3genE8ELNS1_11target_archE1030ELNS1_3gpuE2ELNS1_3repE0EEENS1_30default_config_static_selectorELNS0_4arch9wavefront6targetE0EEEvSY_: ; @_ZN7rocprim17ROCPRIM_400000_NS6detail17trampoline_kernelINS0_13select_configILj256ELj13ELNS0_17block_load_methodE3ELS4_3ELS4_3ELNS0_20block_scan_algorithmE0ELj4294967295EEENS1_25partition_config_selectorILNS1_17partition_subalgoE3EjNS0_10empty_typeEbEEZZNS1_14partition_implILS8_3ELb0ES6_jNS0_17counting_iteratorIjlEEPS9_SE_NS0_5tupleIJPjSE_EEENSF_IJSE_SE_EEES9_SG_JZNS1_25segmented_radix_sort_implINS0_14default_configELb0EPKfPfPKlPlN2at6native12_GLOBAL__N_18offset_tEEE10hipError_tPvRmT1_PNSt15iterator_traitsISY_E10value_typeET2_T3_PNSZ_IS14_E10value_typeET4_jRbjT5_S1A_jjP12ihipStream_tbEUljE_EEESV_SW_SX_S14_S18_S1A_T6_T7_T9_mT8_S1C_bDpT10_ENKUlT_T0_E_clISt17integral_constantIbLb0EES1P_EEDaS1K_S1L_EUlS1K_E_NS1_11comp_targetILNS1_3genE8ELNS1_11target_archE1030ELNS1_3gpuE2ELNS1_3repE0EEENS1_30default_config_static_selectorELNS0_4arch9wavefront6targetE0EEEvSY_
; %bb.0:
	s_clause 0x6
	s_load_dword s0, s[4:5], 0x70
	s_load_dwordx2 s[16:17], s[4:5], 0x10
	s_load_dwordx4 s[12:15], s[4:5], 0x48
	s_load_dwordx2 s[18:19], s[4:5], 0x58
	s_load_dword s7, s[4:5], 0x8
	s_load_dwordx4 s[8:11], s[4:5], 0x78
	s_load_dword s1, s[4:5], 0x88
	s_mul_i32 s26, s6, 0xd00
	v_lshlrev_b32_e32 v42, 2, v0
	s_waitcnt lgkmcnt(0)
	s_mul_i32 s2, s0, 0xd00
	s_add_i32 s0, s0, -1
	s_add_i32 s3, s2, s16
	s_load_dwordx2 s[20:21], s[14:15], 0x0
	s_sub_i32 s25, s18, s3
	s_addk_i32 s25, 0xd00
	s_add_u32 s2, s16, s2
	s_addc_u32 s3, s17, 0
	s_cmp_eq_u32 s6, s0
	v_cmp_gt_u64_e64 s2, s[18:19], s[2:3]
	s_cselect_b32 s24, -1, 0
	s_cmp_lg_u32 s6, s0
	s_cselect_b32 s0, -1, 0
	s_add_i32 s3, s7, s26
	s_or_b32 s2, s0, s2
	s_add_i32 s3, s3, s16
	s_and_b32 vcc_lo, exec_lo, s2
	v_add_nc_u32_e32 v1, s3, v0
	s_mov_b32 s7, -1
	s_cbranch_vccz .LBB1395_2
; %bb.1:
	v_add_nc_u32_e32 v2, 0x100, v1
	v_add_nc_u32_e32 v3, 0x200, v1
	;; [unrolled: 1-line block ×12, first 2 shown]
	ds_write2st64_b32 v42, v1, v2 offset1:4
	ds_write2st64_b32 v42, v3, v4 offset0:8 offset1:12
	ds_write2st64_b32 v42, v5, v6 offset0:16 offset1:20
	;; [unrolled: 1-line block ×5, first 2 shown]
	ds_write_b32 v42, v13 offset:12288
	s_waitcnt lgkmcnt(0)
	s_mov_b32 s7, 0
	s_barrier
.LBB1395_2:
	v_cmp_gt_u32_e64 s0, s25, v0
	v_or_b32_e32 v41, 0x100, v0
	v_or_b32_e32 v40, 0x200, v0
	;; [unrolled: 1-line block ×12, first 2 shown]
	s_andn2_b32 vcc_lo, exec_lo, s7
	s_cbranch_vccnz .LBB1395_4
; %bb.3:
	v_add_nc_u32_e32 v2, s3, v41
	v_cmp_gt_u32_e32 vcc_lo, s25, v41
	v_add_nc_u32_e32 v3, s3, v40
	v_add_nc_u32_e32 v4, s3, v39
	;; [unrolled: 1-line block ×4, first 2 shown]
	v_cndmask_b32_e32 v2, 0, v2, vcc_lo
	v_cmp_gt_u32_e32 vcc_lo, s25, v40
	v_add_nc_u32_e32 v7, s3, v36
	v_add_nc_u32_e32 v8, s3, v35
	;; [unrolled: 1-line block ×4, first 2 shown]
	v_cndmask_b32_e32 v3, 0, v3, vcc_lo
	v_cmp_gt_u32_e32 vcc_lo, s25, v39
	v_add_nc_u32_e32 v11, s3, v32
	v_add_nc_u32_e32 v12, s3, v31
	v_cndmask_b32_e64 v1, 0, v1, s0
	v_add_nc_u32_e32 v13, s3, v30
	v_cndmask_b32_e32 v4, 0, v4, vcc_lo
	v_cmp_gt_u32_e32 vcc_lo, s25, v38
	v_cndmask_b32_e32 v5, 0, v5, vcc_lo
	v_cmp_gt_u32_e32 vcc_lo, s25, v37
	;; [unrolled: 2-line block ×9, first 2 shown]
	v_cndmask_b32_e32 v13, 0, v13, vcc_lo
	ds_write2st64_b32 v42, v1, v2 offset1:4
	ds_write2st64_b32 v42, v3, v4 offset0:8 offset1:12
	ds_write2st64_b32 v42, v5, v6 offset0:16 offset1:20
	;; [unrolled: 1-line block ×5, first 2 shown]
	ds_write_b32 v42, v13 offset:12288
	s_waitcnt lgkmcnt(0)
	s_barrier
.LBB1395_4:
	v_mul_u32_u24_e32 v45, 13, v0
	s_waitcnt lgkmcnt(0)
	buffer_gl0_inv
	v_cndmask_b32_e64 v43, 0, 1, s2
	s_andn2_b32 vcc_lo, exec_lo, s2
	v_lshlrev_b32_e32 v1, 2, v45
	ds_read2_b32 v[26:27], v1 offset0:2 offset1:3
	ds_read2_b32 v[22:23], v1 offset0:6 offset1:7
	;; [unrolled: 1-line block ×3, first 2 shown]
	ds_read2_b32 v[28:29], v1 offset1:1
	ds_read2_b32 v[18:19], v1 offset0:10 offset1:11
	ds_read_b32 v44, v1 offset:48
	ds_read2_b32 v[20:21], v1 offset0:8 offset1:9
	s_waitcnt lgkmcnt(0)
	s_barrier
	buffer_gl0_inv
	s_cbranch_vccnz .LBB1395_6
; %bb.5:
	v_add_nc_u32_e32 v1, s9, v27
	v_add_nc_u32_e32 v4, s9, v26
	;; [unrolled: 1-line block ×6, first 2 shown]
	v_mul_lo_u32 v4, v4, s8
	v_mul_lo_u32 v1, v1, s8
	;; [unrolled: 1-line block ×4, first 2 shown]
	v_add_nc_u32_e32 v3, s9, v28
	v_add_nc_u32_e32 v7, s11, v28
	v_mul_lo_u32 v2, v2, s8
	v_mul_lo_u32 v6, v6, s10
	v_add_nc_u32_e32 v10, s11, v25
	v_mul_lo_u32 v3, v3, s8
	v_mul_lo_u32 v7, v7, s10
	v_sub_nc_u32_e32 v1, v1, v5
	v_sub_nc_u32_e32 v4, v4, v8
	v_add_nc_u32_e32 v5, s9, v23
	v_add_nc_u32_e32 v8, s11, v23
	v_sub_nc_u32_e32 v2, v2, v6
	v_add_nc_u32_e32 v6, s9, v25
	v_add_nc_u32_e32 v9, s9, v22
	v_mul_lo_u32 v5, v5, s8
	v_mul_lo_u32 v8, v8, s10
	v_sub_nc_u32_e32 v3, v3, v7
	v_add_nc_u32_e32 v7, s9, v24
	v_add_nc_u32_e32 v11, s11, v22
	v_mul_lo_u32 v6, v6, s8
	v_mul_lo_u32 v10, v10, s10
	v_add_nc_u32_e32 v12, s11, v24
	v_mul_lo_u32 v9, v9, s8
	v_mul_lo_u32 v7, v7, s8
	;; [unrolled: 1-line block ×3, first 2 shown]
	v_sub_nc_u32_e32 v5, v5, v8
	v_mul_lo_u32 v8, v12, s10
	v_cmp_lt_u32_e32 vcc_lo, s1, v1
	v_sub_nc_u32_e32 v6, v6, v10
	v_add_nc_u32_e32 v10, s9, v19
	v_add_nc_u32_e32 v14, s11, v19
	;; [unrolled: 1-line block ×3, first 2 shown]
	v_cndmask_b32_e64 v1, 0, 1, vcc_lo
	v_cmp_lt_u32_e32 vcc_lo, s1, v2
	v_sub_nc_u32_e32 v7, v7, v8
	v_sub_nc_u32_e32 v8, v9, v11
	v_add_nc_u32_e32 v11, s9, v21
	v_mul_lo_u32 v10, v10, s8
	v_mul_lo_u32 v14, v14, s10
	v_cndmask_b32_e64 v2, 0, 1, vcc_lo
	v_cmp_lt_u32_e32 vcc_lo, s1, v5
	v_mul_lo_u32 v11, v11, s8
	v_mul_lo_u32 v15, v15, s10
	v_mov_b32_e32 v9, 8
	v_lshlrev_b16 v2, 8, v2
	v_cndmask_b32_e64 v5, 0, 1, vcc_lo
	v_cmp_lt_u32_e32 vcc_lo, s1, v6
	v_sub_nc_u32_e32 v10, v10, v14
	v_add_nc_u32_e32 v12, s9, v20
	v_add_nc_u32_e32 v16, s11, v20
	v_sub_nc_u32_e32 v11, v11, v15
	v_cndmask_b32_e64 v6, 0, 1, vcc_lo
	v_cmp_lt_u32_e32 vcc_lo, s1, v10
	v_lshrrev_b32_sdwa v2, v9, v2 dst_sel:BYTE_1 dst_unused:UNUSED_PAD src0_sel:DWORD src1_sel:DWORD
	v_add_nc_u32_e32 v13, s9, v18
	v_add_nc_u32_e32 v17, s11, v18
	v_mul_lo_u32 v12, v12, s8
	v_cndmask_b32_e64 v10, 0, 1, vcc_lo
	v_cmp_lt_u32_e32 vcc_lo, s1, v11
	v_mul_lo_u32 v16, v16, s10
	v_mul_lo_u32 v13, v13, s8
	;; [unrolled: 1-line block ×3, first 2 shown]
	v_add_nc_u32_e32 v14, s9, v44
	v_cndmask_b32_e64 v11, 0, 1, vcc_lo
	v_cmp_lt_u32_e32 vcc_lo, s1, v3
	v_add_nc_u32_e32 v15, s11, v44
	v_lshlrev_b16 v1, 8, v1
	v_sub_nc_u32_e32 v12, v12, v16
	v_lshlrev_b16 v11, 8, v11
	v_cndmask_b32_e64 v3, 0, 1, vcc_lo
	v_cmp_lt_u32_e32 vcc_lo, s1, v4
	v_sub_nc_u32_e32 v13, v13, v17
	v_mul_lo_u32 v14, v14, s8
	v_mul_lo_u32 v15, v15, s10
	v_or_b32_e32 v2, v3, v2
	v_cndmask_b32_e64 v3, 0, 1, vcc_lo
	v_cmp_lt_u32_e32 vcc_lo, s1, v7
	v_lshlrev_b16 v6, 8, v6
	v_lshlrev_b16 v10, 8, v10
	;; [unrolled: 1-line block ×3, first 2 shown]
	v_lshrrev_b32_sdwa v1, v9, v1 dst_sel:BYTE_1 dst_unused:UNUSED_PAD src0_sel:DWORD src1_sel:DWORD
	v_cndmask_b32_e64 v4, 0, 1, vcc_lo
	v_cmp_lt_u32_e32 vcc_lo, s1, v8
	v_lshrrev_b32_sdwa v8, v9, v11 dst_sel:BYTE_1 dst_unused:UNUSED_PAD src0_sel:DWORD src1_sel:DWORD
	v_lshrrev_b32_sdwa v6, v9, v6 dst_sel:BYTE_1 dst_unused:UNUSED_PAD src0_sel:DWORD src1_sel:DWORD
	v_sub_nc_u32_e32 v14, v14, v15
	v_lshrrev_b32_sdwa v9, v9, v10 dst_sel:BYTE_1 dst_unused:UNUSED_PAD src0_sel:DWORD src1_sel:DWORD
	v_cndmask_b32_e64 v7, 0, 1, vcc_lo
	v_cmp_lt_u32_e32 vcc_lo, s1, v12
	v_or_b32_sdwa v1, v3, v1 dst_sel:WORD_1 dst_unused:UNUSED_PAD src0_sel:DWORD src1_sel:DWORD
	v_or_b32_e32 v3, v4, v6
	v_or_b32_sdwa v4, v7, v5 dst_sel:WORD_1 dst_unused:UNUSED_PAD src0_sel:DWORD src1_sel:DWORD
	v_cndmask_b32_e64 v11, 0, 1, vcc_lo
	v_cmp_lt_u32_e32 vcc_lo, s1, v13
	v_or_b32_sdwa v50, v2, v1 dst_sel:DWORD dst_unused:UNUSED_PAD src0_sel:WORD_0 src1_sel:DWORD
	v_or_b32_sdwa v48, v3, v4 dst_sel:DWORD dst_unused:UNUSED_PAD src0_sel:WORD_0 src1_sel:DWORD
	v_or_b32_e32 v5, v11, v8
	v_cndmask_b32_e64 v10, 0, 1, vcc_lo
	v_cmp_lt_u32_e32 vcc_lo, s1, v14
	v_or_b32_sdwa v6, v10, v9 dst_sel:WORD_1 dst_unused:UNUSED_PAD src0_sel:DWORD src1_sel:DWORD
	v_cndmask_b32_e64 v46, 0, 1, vcc_lo
	v_or_b32_sdwa v47, v5, v6 dst_sel:DWORD dst_unused:UNUSED_PAD src0_sel:WORD_0 src1_sel:DWORD
	s_clause 0x1
	s_load_dwordx2 s[14:15], s[4:5], 0x28
	s_load_dwordx2 s[22:23], s[4:5], 0x68
	s_cbranch_execz .LBB1395_7
	s_branch .LBB1395_34
.LBB1395_6:
                                        ; implicit-def: $vgpr46
                                        ; implicit-def: $vgpr47
                                        ; implicit-def: $vgpr48
                                        ; implicit-def: $vgpr50
	s_clause 0x1
	s_load_dwordx2 s[14:15], s[4:5], 0x28
	s_load_dwordx2 s[22:23], s[4:5], 0x68
.LBB1395_7:
	v_mov_b32_e32 v2, 0
	v_mov_b32_e32 v1, 0
	s_mov_b32 s0, exec_lo
	v_cmpx_gt_u32_e64 s25, v45
	s_cbranch_execz .LBB1395_9
; %bb.8:
	v_add_nc_u32_e32 v1, s9, v28
	v_add_nc_u32_e32 v3, s11, v28
	v_mul_lo_u32 v1, v1, s8
	v_mul_lo_u32 v3, v3, s10
	v_sub_nc_u32_e32 v1, v1, v3
	v_cmp_lt_u32_e32 vcc_lo, s1, v1
	v_cndmask_b32_e64 v1, 0, 1, vcc_lo
.LBB1395_9:
	s_or_b32 exec_lo, exec_lo, s0
	v_add_nc_u32_e32 v3, 1, v45
	s_mov_b32 s0, exec_lo
	v_cmpx_gt_u32_e64 s25, v3
	s_cbranch_execz .LBB1395_11
; %bb.10:
	v_add_nc_u32_e32 v2, s9, v29
	v_add_nc_u32_e32 v3, s11, v29
	v_mul_lo_u32 v2, v2, s8
	v_mul_lo_u32 v3, v3, s10
	v_sub_nc_u32_e32 v2, v2, v3
	v_cmp_lt_u32_e32 vcc_lo, s1, v2
	v_cndmask_b32_e64 v2, 0, 1, vcc_lo
.LBB1395_11:
	s_or_b32 exec_lo, exec_lo, s0
	v_add_nc_u32_e32 v3, 2, v45
	v_mov_b32_e32 v4, 0
	v_cmp_gt_u32_e32 vcc_lo, s25, v3
	v_mov_b32_e32 v3, 0
	s_and_saveexec_b32 s0, vcc_lo
	s_cbranch_execz .LBB1395_13
; %bb.12:
	v_add_nc_u32_e32 v3, s9, v26
	v_add_nc_u32_e32 v5, s11, v26
	v_mul_lo_u32 v3, v3, s8
	v_mul_lo_u32 v5, v5, s10
	v_sub_nc_u32_e32 v3, v3, v5
	v_cmp_lt_u32_e32 vcc_lo, s1, v3
	v_cndmask_b32_e64 v3, 0, 1, vcc_lo
.LBB1395_13:
	s_or_b32 exec_lo, exec_lo, s0
	v_add_nc_u32_e32 v5, 3, v45
	s_mov_b32 s0, exec_lo
	v_cmpx_gt_u32_e64 s25, v5
	s_cbranch_execz .LBB1395_15
; %bb.14:
	v_add_nc_u32_e32 v4, s9, v27
	v_add_nc_u32_e32 v5, s11, v27
	v_mul_lo_u32 v4, v4, s8
	v_mul_lo_u32 v5, v5, s10
	v_sub_nc_u32_e32 v4, v4, v5
	v_cmp_lt_u32_e32 vcc_lo, s1, v4
	v_cndmask_b32_e64 v4, 0, 1, vcc_lo
.LBB1395_15:
	s_or_b32 exec_lo, exec_lo, s0
	v_add_nc_u32_e32 v5, 4, v45
	v_mov_b32_e32 v6, 0
	v_cmp_gt_u32_e32 vcc_lo, s25, v5
	v_mov_b32_e32 v5, 0
	s_and_saveexec_b32 s0, vcc_lo
	;; [unrolled: 30-line block ×5, first 2 shown]
	s_cbranch_execz .LBB1395_29
; %bb.28:
	v_add_nc_u32_e32 v11, s9, v18
	v_add_nc_u32_e32 v13, s11, v18
	v_mul_lo_u32 v11, v11, s8
	v_mul_lo_u32 v13, v13, s10
	v_sub_nc_u32_e32 v11, v11, v13
	v_cmp_lt_u32_e32 vcc_lo, s1, v11
	v_cndmask_b32_e64 v11, 0, 1, vcc_lo
.LBB1395_29:
	s_or_b32 exec_lo, exec_lo, s0
	v_add_nc_u32_e32 v13, 11, v45
	s_mov_b32 s0, exec_lo
	v_cmpx_gt_u32_e64 s25, v13
	s_cbranch_execz .LBB1395_31
; %bb.30:
	v_add_nc_u32_e32 v12, s9, v19
	v_add_nc_u32_e32 v13, s11, v19
	v_mul_lo_u32 v12, v12, s8
	v_mul_lo_u32 v13, v13, s10
	v_sub_nc_u32_e32 v12, v12, v13
	v_cmp_lt_u32_e32 vcc_lo, s1, v12
	v_cndmask_b32_e64 v12, 0, 1, vcc_lo
.LBB1395_31:
	s_or_b32 exec_lo, exec_lo, s0
	v_add_nc_u32_e32 v13, 12, v45
	v_mov_b32_e32 v46, 0
	s_mov_b32 s0, exec_lo
	v_cmpx_gt_u32_e64 s25, v13
	s_cbranch_execz .LBB1395_33
; %bb.32:
	v_add_nc_u32_e32 v13, s9, v44
	v_add_nc_u32_e32 v14, s11, v44
	v_mul_lo_u32 v13, v13, s8
	v_mul_lo_u32 v14, v14, s10
	v_sub_nc_u32_e32 v13, v13, v14
	v_cmp_lt_u32_e32 vcc_lo, s1, v13
	v_cndmask_b32_e64 v46, 0, 1, vcc_lo
.LBB1395_33:
	s_or_b32 exec_lo, exec_lo, s0
	v_lshlrev_b16 v2, 8, v2
	v_lshlrev_b16 v4, 8, v4
	;; [unrolled: 1-line block ×5, first 2 shown]
	v_or_b32_e32 v1, v1, v2
	v_lshlrev_b16 v2, 8, v12
	v_or_b32_sdwa v3, v3, v4 dst_sel:WORD_1 dst_unused:UNUSED_PAD src0_sel:DWORD src1_sel:DWORD
	v_or_b32_e32 v4, v5, v6
	v_or_b32_sdwa v5, v7, v8 dst_sel:WORD_1 dst_unused:UNUSED_PAD src0_sel:DWORD src1_sel:DWORD
	v_or_b32_e32 v6, v9, v10
	v_or_b32_sdwa v2, v11, v2 dst_sel:WORD_1 dst_unused:UNUSED_PAD src0_sel:DWORD src1_sel:DWORD
	v_or_b32_sdwa v50, v1, v3 dst_sel:DWORD dst_unused:UNUSED_PAD src0_sel:WORD_0 src1_sel:DWORD
	v_or_b32_sdwa v48, v4, v5 dst_sel:DWORD dst_unused:UNUSED_PAD src0_sel:WORD_0 src1_sel:DWORD
	;; [unrolled: 1-line block ×3, first 2 shown]
.LBB1395_34:
	v_and_b32_e32 v53, 0xff, v50
	v_bfe_u32 v54, v50, 8, 8
	v_bfe_u32 v55, v50, 16, 8
	v_lshrrev_b32_e32 v52, 24, v50
	v_and_b32_e32 v56, 0xff, v48
	v_bfe_u32 v57, v48, 8, 8
	v_bfe_u32 v58, v48, 16, 8
	v_add3_u32 v1, v54, v53, v55
	v_lshrrev_b32_e32 v51, 24, v48
	v_and_b32_e32 v59, 0xff, v47
	v_bfe_u32 v60, v47, 8, 8
	v_mbcnt_lo_u32_b32 v62, -1, 0
	v_add3_u32 v1, v1, v52, v56
	v_bfe_u32 v61, v47, 16, 8
	v_lshrrev_b32_e32 v49, 24, v47
	v_and_b32_e32 v2, 0xff, v46
	v_and_b32_e32 v3, 15, v62
	v_add3_u32 v1, v1, v57, v58
	v_or_b32_e32 v4, 31, v0
	v_and_b32_e32 v5, 16, v62
	v_lshrrev_b32_e32 v63, 5, v0
	v_cmp_eq_u32_e64 s5, 0, v3
	v_add3_u32 v1, v1, v51, v59
	v_cmp_lt_u32_e64 s4, 1, v3
	v_cmp_lt_u32_e64 s3, 3, v3
	;; [unrolled: 1-line block ×3, first 2 shown]
	v_cmp_eq_u32_e64 s1, 0, v5
	v_add3_u32 v1, v1, v60, v61
	v_cmp_eq_u32_e64 s0, v0, v4
	s_cmp_lg_u32 s6, 0
	s_mov_b32 s7, -1
	v_add3_u32 v64, v1, v49, v2
	s_cbranch_scc0 .LBB1395_56
; %bb.35:
	v_mov_b32_dpp v1, v64 row_shr:1 row_mask:0xf bank_mask:0xf
	v_cndmask_b32_e64 v1, v1, 0, s5
	v_add_nc_u32_e32 v1, v1, v64
	v_mov_b32_dpp v2, v1 row_shr:2 row_mask:0xf bank_mask:0xf
	v_cndmask_b32_e64 v2, 0, v2, s4
	v_add_nc_u32_e32 v1, v1, v2
	;; [unrolled: 3-line block ×4, first 2 shown]
	ds_swizzle_b32 v2, v1 offset:swizzle(BROADCAST,32,15)
	s_waitcnt lgkmcnt(0)
	v_cndmask_b32_e64 v2, v2, 0, s1
	v_add_nc_u32_e32 v1, v1, v2
	s_and_saveexec_b32 s7, s0
; %bb.36:
	v_lshlrev_b32_e32 v2, 2, v63
	ds_write_b32 v2, v1
; %bb.37:
	s_or_b32 exec_lo, exec_lo, s7
	s_mov_b32 s7, exec_lo
	s_waitcnt lgkmcnt(0)
	s_barrier
	buffer_gl0_inv
	v_cmpx_gt_u32_e32 8, v0
	s_cbranch_execz .LBB1395_39
; %bb.38:
	ds_read_b32 v2, v42
	v_and_b32_e32 v3, 7, v62
	v_cmp_ne_u32_e32 vcc_lo, 0, v3
	s_waitcnt lgkmcnt(0)
	v_mov_b32_dpp v4, v2 row_shr:1 row_mask:0xf bank_mask:0xf
	v_cndmask_b32_e32 v4, 0, v4, vcc_lo
	v_cmp_lt_u32_e32 vcc_lo, 1, v3
	v_add_nc_u32_e32 v2, v4, v2
	v_mov_b32_dpp v4, v2 row_shr:2 row_mask:0xf bank_mask:0xf
	v_cndmask_b32_e32 v4, 0, v4, vcc_lo
	v_cmp_lt_u32_e32 vcc_lo, 3, v3
	v_add_nc_u32_e32 v2, v2, v4
	v_mov_b32_dpp v4, v2 row_shr:4 row_mask:0xf bank_mask:0xf
	v_cndmask_b32_e32 v3, 0, v4, vcc_lo
	v_add_nc_u32_e32 v2, v2, v3
	ds_write_b32 v42, v2
.LBB1395_39:
	s_or_b32 exec_lo, exec_lo, s7
	s_mov_b32 s8, exec_lo
	v_cmp_gt_u32_e32 vcc_lo, 32, v0
	s_waitcnt lgkmcnt(0)
	s_barrier
	buffer_gl0_inv
                                        ; implicit-def: $vgpr10
	v_cmpx_lt_u32_e32 31, v0
	s_cbranch_execz .LBB1395_41
; %bb.40:
	v_lshl_add_u32 v2, v63, 2, -4
	ds_read_b32 v10, v2
	s_waitcnt lgkmcnt(0)
	v_add_nc_u32_e32 v1, v10, v1
.LBB1395_41:
	s_or_b32 exec_lo, exec_lo, s8
	v_sub_co_u32 v2, s7, v62, 1
	v_cmp_gt_i32_e64 s8, 0, v2
	v_cndmask_b32_e64 v2, v2, v62, s8
	v_lshlrev_b32_e32 v2, 2, v2
	ds_bpermute_b32 v11, v2, v1
	s_and_saveexec_b32 s8, vcc_lo
	s_cbranch_execz .LBB1395_61
; %bb.42:
	v_mov_b32_e32 v7, 0
	ds_read_b32 v1, v7 offset:28
	s_and_saveexec_b32 s9, s7
	s_cbranch_execz .LBB1395_44
; %bb.43:
	s_add_i32 s10, s6, 32
	s_mov_b32 s11, 0
	v_mov_b32_e32 v2, 1
	s_lshl_b64 s[10:11], s[10:11], 3
	s_add_u32 s10, s22, s10
	s_addc_u32 s11, s23, s11
	s_waitcnt lgkmcnt(0)
	global_store_dwordx2 v7, v[1:2], s[10:11]
.LBB1395_44:
	s_or_b32 exec_lo, exec_lo, s9
	v_xad_u32 v3, v62, -1, s6
	s_mov_b32 s10, 0
	v_add_nc_u32_e32 v6, 32, v3
	v_lshlrev_b64 v[4:5], 3, v[6:7]
	v_add_co_u32 v8, vcc_lo, s22, v4
	v_add_co_ci_u32_e64 v9, null, s23, v5, vcc_lo
	global_load_dwordx2 v[5:6], v[8:9], off glc dlc
	s_waitcnt vmcnt(0)
	v_cmp_eq_u16_sdwa s11, v6, v7 src0_sel:BYTE_0 src1_sel:DWORD
	s_and_saveexec_b32 s9, s11
	s_cbranch_execz .LBB1395_48
; %bb.45:
	v_mov_b32_e32 v2, 0
.LBB1395_46:                            ; =>This Inner Loop Header: Depth=1
	global_load_dwordx2 v[5:6], v[8:9], off glc dlc
	s_waitcnt vmcnt(0)
	v_cmp_ne_u16_sdwa s11, v6, v2 src0_sel:BYTE_0 src1_sel:DWORD
	s_or_b32 s10, s11, s10
	s_andn2_b32 exec_lo, exec_lo, s10
	s_cbranch_execnz .LBB1395_46
; %bb.47:
	s_or_b32 exec_lo, exec_lo, s10
.LBB1395_48:
	s_or_b32 exec_lo, exec_lo, s9
	v_cmp_ne_u32_e32 vcc_lo, 31, v62
	v_mov_b32_e32 v12, 2
	v_lshlrev_b32_e64 v13, v62, -1
	v_add_nc_u32_e32 v15, 2, v62
	v_add_nc_u32_e32 v17, 4, v62
	v_add_co_ci_u32_e64 v2, null, 0, v62, vcc_lo
	v_cmp_eq_u16_sdwa s9, v6, v12 src0_sel:BYTE_0 src1_sel:DWORD
	v_cmp_gt_u32_e32 vcc_lo, 30, v62
	v_add_nc_u32_e32 v66, 8, v62
	v_lshlrev_b32_e32 v9, 2, v2
	v_lshl_or_b32 v67, v62, 2, 64
	v_and_or_b32 v4, s9, v13, 0x80000000
	v_cndmask_b32_e64 v7, 0, 2, vcc_lo
	v_add_nc_u32_e32 v68, 16, v62
	ds_bpermute_b32 v2, v9, v5
	v_ffbl_b32_e32 v4, v4
	v_add_lshl_u32 v14, v7, v62, 2
	v_cmp_lt_u32_e32 vcc_lo, v62, v4
	s_waitcnt lgkmcnt(0)
	v_cndmask_b32_e32 v2, 0, v2, vcc_lo
	v_cmp_gt_u32_e32 vcc_lo, 28, v62
	v_add_nc_u32_e32 v2, v2, v5
	v_cndmask_b32_e64 v7, 0, 4, vcc_lo
	v_cmp_le_u32_e32 vcc_lo, v15, v4
	ds_bpermute_b32 v5, v14, v2
	v_add_lshl_u32 v16, v7, v62, 2
	s_waitcnt lgkmcnt(0)
	v_cndmask_b32_e32 v5, 0, v5, vcc_lo
	v_cmp_gt_u32_e32 vcc_lo, 24, v62
	v_add_nc_u32_e32 v2, v2, v5
	v_cndmask_b32_e64 v7, 0, 8, vcc_lo
	v_cmp_le_u32_e32 vcc_lo, v17, v4
	ds_bpermute_b32 v5, v16, v2
	v_add_lshl_u32 v65, v7, v62, 2
	s_waitcnt lgkmcnt(0)
	v_cndmask_b32_e32 v5, 0, v5, vcc_lo
	v_cmp_le_u32_e32 vcc_lo, v66, v4
	v_add_nc_u32_e32 v2, v2, v5
	ds_bpermute_b32 v5, v65, v2
	s_waitcnt lgkmcnt(0)
	v_cndmask_b32_e32 v5, 0, v5, vcc_lo
	v_cmp_le_u32_e32 vcc_lo, v68, v4
	v_add_nc_u32_e32 v2, v2, v5
	ds_bpermute_b32 v5, v67, v2
	s_waitcnt lgkmcnt(0)
	v_cndmask_b32_e32 v4, 0, v5, vcc_lo
	v_add_nc_u32_e32 v5, v2, v4
	v_mov_b32_e32 v4, 0
	s_branch .LBB1395_52
.LBB1395_49:                            ;   in Loop: Header=BB1395_52 Depth=1
	s_or_b32 exec_lo, exec_lo, s10
.LBB1395_50:                            ;   in Loop: Header=BB1395_52 Depth=1
	s_or_b32 exec_lo, exec_lo, s9
	ds_bpermute_b32 v7, v9, v5
	v_cmp_eq_u16_sdwa s9, v6, v12 src0_sel:BYTE_0 src1_sel:DWORD
	v_subrev_nc_u32_e32 v3, 32, v3
	v_and_or_b32 v8, s9, v13, 0x80000000
	s_mov_b32 s9, 0
	v_ffbl_b32_e32 v8, v8
	v_cmp_lt_u32_e32 vcc_lo, v62, v8
	s_waitcnt lgkmcnt(0)
	v_cndmask_b32_e32 v7, 0, v7, vcc_lo
	v_cmp_le_u32_e32 vcc_lo, v15, v8
	v_add_nc_u32_e32 v5, v7, v5
	ds_bpermute_b32 v7, v14, v5
	s_waitcnt lgkmcnt(0)
	v_cndmask_b32_e32 v7, 0, v7, vcc_lo
	v_cmp_le_u32_e32 vcc_lo, v17, v8
	v_add_nc_u32_e32 v5, v5, v7
	ds_bpermute_b32 v7, v16, v5
	;; [unrolled: 5-line block ×4, first 2 shown]
	s_waitcnt lgkmcnt(0)
	v_cndmask_b32_e32 v7, 0, v7, vcc_lo
	v_add3_u32 v5, v7, v2, v5
.LBB1395_51:                            ;   in Loop: Header=BB1395_52 Depth=1
	s_and_b32 vcc_lo, exec_lo, s9
	s_cbranch_vccnz .LBB1395_57
.LBB1395_52:                            ; =>This Loop Header: Depth=1
                                        ;     Child Loop BB1395_55 Depth 2
	v_cmp_ne_u16_sdwa s9, v6, v12 src0_sel:BYTE_0 src1_sel:DWORD
	v_mov_b32_e32 v2, v5
                                        ; implicit-def: $vgpr5
                                        ; implicit-def: $vgpr6
	s_cmp_lg_u32 s9, exec_lo
	s_mov_b32 s9, -1
	s_cbranch_scc1 .LBB1395_51
; %bb.53:                               ;   in Loop: Header=BB1395_52 Depth=1
	v_lshlrev_b64 v[5:6], 3, v[3:4]
	v_add_co_u32 v7, vcc_lo, s22, v5
	v_add_co_ci_u32_e64 v8, null, s23, v6, vcc_lo
	global_load_dwordx2 v[5:6], v[7:8], off glc dlc
	s_waitcnt vmcnt(0)
	v_cmp_eq_u16_sdwa s10, v6, v4 src0_sel:BYTE_0 src1_sel:DWORD
	s_and_saveexec_b32 s9, s10
	s_cbranch_execz .LBB1395_50
; %bb.54:                               ;   in Loop: Header=BB1395_52 Depth=1
	s_mov_b32 s10, 0
.LBB1395_55:                            ;   Parent Loop BB1395_52 Depth=1
                                        ; =>  This Inner Loop Header: Depth=2
	global_load_dwordx2 v[5:6], v[7:8], off glc dlc
	s_waitcnt vmcnt(0)
	v_cmp_ne_u16_sdwa s11, v6, v4 src0_sel:BYTE_0 src1_sel:DWORD
	s_or_b32 s10, s11, s10
	s_andn2_b32 exec_lo, exec_lo, s10
	s_cbranch_execnz .LBB1395_55
	s_branch .LBB1395_49
.LBB1395_56:
                                        ; implicit-def: $vgpr17
                                        ; implicit-def: $vgpr1_vgpr2_vgpr3_vgpr4_vgpr5_vgpr6_vgpr7_vgpr8_vgpr9_vgpr10_vgpr11_vgpr12_vgpr13_vgpr14_vgpr15_vgpr16
	s_and_b32 vcc_lo, exec_lo, s7
	s_cbranch_vccnz .LBB1395_62
	s_branch .LBB1395_71
.LBB1395_57:
	s_and_saveexec_b32 s9, s7
	s_cbranch_execz .LBB1395_59
; %bb.58:
	s_add_i32 s10, s6, 32
	s_mov_b32 s11, 0
	v_add_nc_u32_e32 v3, v2, v1
	v_mov_b32_e32 v4, 2
	s_lshl_b64 s[10:11], s[10:11], 3
	v_mov_b32_e32 v5, 0
	s_add_u32 s10, s22, s10
	s_addc_u32 s11, s23, s11
	global_store_dwordx2 v5, v[3:4], s[10:11]
	ds_write_b64 v5, v[1:2] offset:13312
.LBB1395_59:
	s_or_b32 exec_lo, exec_lo, s9
	v_cmp_eq_u32_e32 vcc_lo, 0, v0
	s_and_b32 exec_lo, exec_lo, vcc_lo
; %bb.60:
	v_mov_b32_e32 v1, 0
	ds_write_b32 v1, v2 offset:28
.LBB1395_61:
	s_or_b32 exec_lo, exec_lo, s8
	v_mov_b32_e32 v12, 0
	s_waitcnt lgkmcnt(0)
	s_waitcnt_vscnt null, 0x0
	s_barrier
	buffer_gl0_inv
	v_cndmask_b32_e64 v2, v11, v10, s7
	ds_read_b32 v1, v12 offset:28
	v_cmp_ne_u32_e32 vcc_lo, 0, v0
	s_waitcnt lgkmcnt(0)
	s_barrier
	buffer_gl0_inv
	ds_read_b64 v[16:17], v12 offset:13312
	v_cndmask_b32_e32 v2, 0, v2, vcc_lo
	v_add_nc_u32_e32 v1, v1, v2
	v_add_nc_u32_e32 v2, v1, v53
	;; [unrolled: 1-line block ×13, first 2 shown]
	s_branch .LBB1395_71
.LBB1395_62:
	v_mov_b32_dpp v1, v64 row_shr:1 row_mask:0xf bank_mask:0xf
	v_cndmask_b32_e64 v1, v1, 0, s5
	v_add_nc_u32_e32 v1, v1, v64
	v_mov_b32_dpp v2, v1 row_shr:2 row_mask:0xf bank_mask:0xf
	v_cndmask_b32_e64 v2, 0, v2, s4
	v_add_nc_u32_e32 v1, v1, v2
	;; [unrolled: 3-line block ×4, first 2 shown]
	ds_swizzle_b32 v2, v1 offset:swizzle(BROADCAST,32,15)
	s_waitcnt lgkmcnt(0)
	v_cndmask_b32_e64 v2, v2, 0, s1
	v_add_nc_u32_e32 v1, v1, v2
	s_and_saveexec_b32 s1, s0
; %bb.63:
	v_lshlrev_b32_e32 v2, 2, v63
	ds_write_b32 v2, v1
; %bb.64:
	s_or_b32 exec_lo, exec_lo, s1
	s_mov_b32 s0, exec_lo
	s_waitcnt lgkmcnt(0)
	s_barrier
	buffer_gl0_inv
	v_cmpx_gt_u32_e32 8, v0
	s_cbranch_execz .LBB1395_66
; %bb.65:
	ds_read_b32 v2, v42
	v_and_b32_e32 v3, 7, v62
	v_cmp_ne_u32_e32 vcc_lo, 0, v3
	s_waitcnt lgkmcnt(0)
	v_mov_b32_dpp v4, v2 row_shr:1 row_mask:0xf bank_mask:0xf
	v_cndmask_b32_e32 v4, 0, v4, vcc_lo
	v_cmp_lt_u32_e32 vcc_lo, 1, v3
	v_add_nc_u32_e32 v2, v4, v2
	v_mov_b32_dpp v4, v2 row_shr:2 row_mask:0xf bank_mask:0xf
	v_cndmask_b32_e32 v4, 0, v4, vcc_lo
	v_cmp_lt_u32_e32 vcc_lo, 3, v3
	v_add_nc_u32_e32 v2, v2, v4
	v_mov_b32_dpp v4, v2 row_shr:4 row_mask:0xf bank_mask:0xf
	v_cndmask_b32_e32 v3, 0, v4, vcc_lo
	v_add_nc_u32_e32 v2, v2, v3
	ds_write_b32 v42, v2
.LBB1395_66:
	s_or_b32 exec_lo, exec_lo, s0
	v_mov_b32_e32 v3, 0
	v_mov_b32_e32 v2, 0
	s_mov_b32 s0, exec_lo
	s_waitcnt lgkmcnt(0)
	s_barrier
	buffer_gl0_inv
	v_cmpx_lt_u32_e32 31, v0
; %bb.67:
	v_lshl_add_u32 v2, v63, 2, -4
	ds_read_b32 v2, v2
; %bb.68:
	s_or_b32 exec_lo, exec_lo, s0
	v_sub_co_u32 v4, vcc_lo, v62, 1
	s_waitcnt lgkmcnt(0)
	v_add_nc_u32_e32 v1, v2, v1
	ds_read_b32 v16, v3 offset:28
	v_cmp_gt_i32_e64 s0, 0, v4
	v_cndmask_b32_e64 v4, v4, v62, s0
	v_cmp_eq_u32_e64 s0, 0, v0
	v_lshlrev_b32_e32 v4, 2, v4
	ds_bpermute_b32 v1, v4, v1
	s_and_saveexec_b32 s1, s0
	s_cbranch_execz .LBB1395_70
; %bb.69:
	v_mov_b32_e32 v3, 0
	v_mov_b32_e32 v17, 2
	s_waitcnt lgkmcnt(1)
	global_store_dwordx2 v3, v[16:17], s[22:23] offset:256
.LBB1395_70:
	s_or_b32 exec_lo, exec_lo, s1
	s_waitcnt lgkmcnt(0)
	v_cndmask_b32_e32 v1, v1, v2, vcc_lo
	v_mov_b32_e32 v17, 0
	s_waitcnt_vscnt null, 0x0
	s_barrier
	buffer_gl0_inv
	v_cndmask_b32_e64 v1, v1, 0, s0
	v_add_nc_u32_e32 v2, v1, v53
	v_add_nc_u32_e32 v3, v2, v54
	;; [unrolled: 1-line block ×12, first 2 shown]
.LBB1395_71:
	s_waitcnt lgkmcnt(0)
	v_add_nc_u32_e32 v45, v16, v45
	v_sub_nc_u32_e32 v1, v1, v17
	v_and_b32_e32 v54, 1, v50
	v_lshrrev_b32_e32 v53, 8, v50
	v_sub_nc_u32_e32 v2, v2, v17
	v_sub_nc_u32_e32 v3, v3, v17
	;; [unrolled: 1-line block ×3, first 2 shown]
	v_cmp_eq_u32_e32 vcc_lo, 1, v54
	v_and_b32_e32 v53, 1, v53
	v_mov_b32_e32 v56, 1
	v_sub_nc_u32_e32 v54, v45, v2
	v_sub_nc_u32_e32 v4, v4, v17
	v_cndmask_b32_e32 v1, v55, v1, vcc_lo
	v_sub_nc_u32_e32 v55, v45, v3
	v_and_b32_sdwa v50, v56, v50 dst_sel:DWORD dst_unused:UNUSED_PAD src0_sel:DWORD src1_sel:WORD_1
	v_add_nc_u32_e32 v54, 1, v54
	v_cmp_eq_u32_e32 vcc_lo, 1, v53
	v_lshlrev_b32_e32 v1, 2, v1
	v_and_b32_e32 v52, 1, v52
	v_sub_nc_u32_e32 v57, v45, v4
	v_add_nc_u32_e32 v55, 2, v55
	v_lshrrev_b32_e32 v15, 8, v48
	ds_write_b32 v1, v28
	v_cndmask_b32_e32 v1, v54, v2, vcc_lo
	v_cmp_eq_u32_e32 vcc_lo, 1, v50
	v_add_nc_u32_e32 v57, 3, v57
	v_lshrrev_b32_e32 v14, 8, v47
	v_lshlrev_b32_e32 v1, 2, v1
	v_cndmask_b32_e32 v2, v55, v3, vcc_lo
	v_cmp_eq_u32_e32 vcc_lo, 1, v52
	ds_write_b32 v1, v29
	v_lshlrev_b32_e32 v2, 2, v2
	v_cndmask_b32_e32 v3, v57, v4, vcc_lo
	v_sub_nc_u32_e32 v4, v5, v17
	v_sub_nc_u32_e32 v5, v6, v17
	v_lshlrev_b32_e32 v3, 2, v3
	v_sub_nc_u32_e32 v1, v45, v4
	v_sub_nc_u32_e32 v6, v45, v5
	ds_write_b32 v2, v26
	ds_write_b32 v3, v27
	v_and_b32_e32 v2, 1, v48
	v_add_nc_u32_e32 v1, 4, v1
	v_add_nc_u32_e32 v3, 5, v6
	v_sub_nc_u32_e32 v6, v7, v17
	v_and_b32_e32 v7, 1, v15
	v_cmp_eq_u32_e32 vcc_lo, 1, v2
	v_sub_nc_u32_e32 v2, v8, v17
	v_and_b32_e32 v8, 1, v51
	v_add_co_u32 v15, s0, s20, v17
	v_cndmask_b32_e32 v1, v1, v4, vcc_lo
	v_sub_nc_u32_e32 v4, v45, v6
	v_cmp_eq_u32_e32 vcc_lo, 1, v7
	v_and_b32_sdwa v7, v56, v48 dst_sel:DWORD dst_unused:UNUSED_PAD src0_sel:DWORD src1_sel:WORD_1
	v_lshlrev_b32_e32 v1, 2, v1
	v_add_nc_u32_e32 v4, 6, v4
	v_cndmask_b32_e32 v3, v3, v5, vcc_lo
	v_sub_nc_u32_e32 v5, v45, v2
	v_cmp_eq_u32_e32 vcc_lo, 1, v7
	v_sub_nc_u32_e32 v7, v13, v17
	v_lshlrev_b32_e32 v3, 2, v3
	v_add_nc_u32_e32 v5, 7, v5
	v_cndmask_b32_e32 v4, v4, v6, vcc_lo
	v_cmp_eq_u32_e32 vcc_lo, 1, v8
	v_sub_nc_u32_e32 v6, v9, v17
	ds_write_b32 v1, v24
	ds_write_b32 v3, v25
	v_lshlrev_b32_e32 v3, 2, v4
	v_cndmask_b32_e32 v2, v5, v2, vcc_lo
	v_sub_nc_u32_e32 v1, v45, v6
	v_and_b32_e32 v5, 1, v47
	v_sub_nc_u32_e32 v4, v10, v17
	v_and_b32_e32 v10, 1, v49
	v_lshlrev_b32_e32 v2, 2, v2
	v_add_nc_u32_e32 v1, 8, v1
	ds_write_b32 v3, v22
	ds_write_b32 v2, v23
	v_cmp_eq_u32_e32 vcc_lo, 1, v5
	v_sub_nc_u32_e32 v3, v11, v17
	v_sub_nc_u32_e32 v2, v45, v4
	;; [unrolled: 1-line block ×3, first 2 shown]
	v_and_b32_e32 v11, 1, v46
	v_cndmask_b32_e32 v1, v1, v6, vcc_lo
	v_and_b32_e32 v6, 1, v14
	v_sub_nc_u32_e32 v8, v45, v3
	v_add_nc_u32_e32 v2, 9, v2
	v_sub_nc_u32_e32 v9, v45, v5
	v_lshlrev_b32_e32 v1, 2, v1
	v_cmp_eq_u32_e32 vcc_lo, 1, v6
	v_add_nc_u32_e32 v6, 10, v8
	v_and_b32_sdwa v8, v56, v47 dst_sel:DWORD dst_unused:UNUSED_PAD src0_sel:DWORD src1_sel:WORD_1
	v_add_nc_u32_e32 v9, 11, v9
	v_add_co_ci_u32_e64 v17, null, s21, 0, s0
	v_cndmask_b32_e32 v2, v2, v4, vcc_lo
	v_cmp_eq_u32_e32 vcc_lo, 1, v8
	v_sub_nc_u32_e32 v4, v45, v7
	v_lshlrev_b32_e32 v2, 2, v2
	v_cndmask_b32_e32 v3, v6, v3, vcc_lo
	v_cmp_eq_u32_e32 vcc_lo, 1, v10
	v_add_nc_u32_e32 v4, 12, v4
	v_lshlrev_b32_e32 v3, 2, v3
	v_cndmask_b32_e32 v5, v9, v5, vcc_lo
	v_cmp_eq_u32_e32 vcc_lo, 1, v11
	v_lshlrev_b32_e32 v5, 2, v5
	v_cndmask_b32_e32 v4, v4, v7, vcc_lo
	v_cmp_ne_u32_e32 vcc_lo, 1, v43
	v_lshlrev_b32_e32 v4, 2, v4
	ds_write_b32 v1, v20
	ds_write_b32 v2, v21
	;; [unrolled: 1-line block ×5, first 2 shown]
	s_waitcnt lgkmcnt(0)
	s_barrier
	buffer_gl0_inv
	ds_read2st64_b32 v[11:12], v42 offset1:4
	ds_read2st64_b32 v[9:10], v42 offset0:8 offset1:12
	ds_read2st64_b32 v[7:8], v42 offset0:16 offset1:20
	ds_read2st64_b32 v[5:6], v42 offset0:24 offset1:28
	ds_read2st64_b32 v[3:4], v42 offset0:32 offset1:36
	ds_read2st64_b32 v[1:2], v42 offset0:40 offset1:44
	ds_read_b32 v18, v42 offset:12288
	s_cbranch_vccnz .LBB1395_125
; %bb.72:
	s_sub_u32 s0, s18, s26
	v_sub_co_u32 v13, vcc_lo, v15, s16
	s_subb_u32 s1, s19, 0
	v_add_co_u32 v19, s0, s0, v16
	v_subrev_co_ci_u32_e64 v14, null, s17, v17, vcc_lo
	v_add_co_ci_u32_e64 v20, null, s1, 0, s0
	v_add_co_u32 v19, vcc_lo, v19, v13
	s_mov_b32 s0, exec_lo
	v_add_co_ci_u32_e64 v20, null, v20, v14, vcc_lo
                                        ; implicit-def: $vgpr13_vgpr14
	v_cmpx_ge_u32_e64 v0, v16
	s_xor_b32 s0, exec_lo, s0
; %bb.73:
	v_not_b32_e32 v13, v0
	v_ashrrev_i32_e32 v14, 31, v13
	v_add_co_u32 v13, vcc_lo, v19, v13
	v_add_co_ci_u32_e64 v14, null, v20, v14, vcc_lo
; %bb.74:
	s_andn2_saveexec_b32 s0, s0
; %bb.75:
	v_add_co_u32 v13, vcc_lo, v15, v0
	v_add_co_ci_u32_e64 v14, null, 0, v17, vcc_lo
; %bb.76:
	s_or_b32 exec_lo, exec_lo, s0
	v_lshlrev_b64 v[13:14], 2, v[13:14]
	s_mov_b32 s0, exec_lo
	v_add_co_u32 v13, vcc_lo, s14, v13
	v_add_co_ci_u32_e64 v14, null, s15, v14, vcc_lo
	s_waitcnt lgkmcnt(6)
	global_store_dword v[13:14], v11, off
                                        ; implicit-def: $vgpr13_vgpr14
	v_cmpx_ge_u32_e64 v41, v16
	s_xor_b32 s0, exec_lo, s0
; %bb.77:
	v_xor_b32_e32 v13, 0xfffffeff, v0
	v_ashrrev_i32_e32 v14, 31, v13
	v_add_co_u32 v13, vcc_lo, v19, v13
	v_add_co_ci_u32_e64 v14, null, v20, v14, vcc_lo
; %bb.78:
	s_andn2_saveexec_b32 s0, s0
; %bb.79:
	v_add_co_u32 v13, vcc_lo, v15, v41
	v_add_co_ci_u32_e64 v14, null, 0, v17, vcc_lo
; %bb.80:
	s_or_b32 exec_lo, exec_lo, s0
	v_lshlrev_b64 v[13:14], 2, v[13:14]
	s_mov_b32 s0, exec_lo
	v_add_co_u32 v13, vcc_lo, s14, v13
	v_add_co_ci_u32_e64 v14, null, s15, v14, vcc_lo
	global_store_dword v[13:14], v12, off
                                        ; implicit-def: $vgpr13_vgpr14
	v_cmpx_ge_u32_e64 v40, v16
	s_xor_b32 s0, exec_lo, s0
; %bb.81:
	v_xor_b32_e32 v13, 0xfffffdff, v0
	v_ashrrev_i32_e32 v14, 31, v13
	v_add_co_u32 v13, vcc_lo, v19, v13
	v_add_co_ci_u32_e64 v14, null, v20, v14, vcc_lo
; %bb.82:
	s_andn2_saveexec_b32 s0, s0
; %bb.83:
	v_add_co_u32 v13, vcc_lo, v15, v40
	v_add_co_ci_u32_e64 v14, null, 0, v17, vcc_lo
; %bb.84:
	s_or_b32 exec_lo, exec_lo, s0
	v_lshlrev_b64 v[13:14], 2, v[13:14]
	s_mov_b32 s0, exec_lo
	v_add_co_u32 v13, vcc_lo, s14, v13
	v_add_co_ci_u32_e64 v14, null, s15, v14, vcc_lo
	s_waitcnt lgkmcnt(5)
	global_store_dword v[13:14], v9, off
                                        ; implicit-def: $vgpr13_vgpr14
	v_cmpx_ge_u32_e64 v39, v16
	s_xor_b32 s0, exec_lo, s0
; %bb.85:
	v_xor_b32_e32 v13, 0xfffffcff, v0
	v_ashrrev_i32_e32 v14, 31, v13
	v_add_co_u32 v13, vcc_lo, v19, v13
	v_add_co_ci_u32_e64 v14, null, v20, v14, vcc_lo
; %bb.86:
	s_andn2_saveexec_b32 s0, s0
; %bb.87:
	v_add_co_u32 v13, vcc_lo, v15, v39
	v_add_co_ci_u32_e64 v14, null, 0, v17, vcc_lo
; %bb.88:
	s_or_b32 exec_lo, exec_lo, s0
	v_lshlrev_b64 v[13:14], 2, v[13:14]
	s_mov_b32 s0, exec_lo
	v_add_co_u32 v13, vcc_lo, s14, v13
	v_add_co_ci_u32_e64 v14, null, s15, v14, vcc_lo
	global_store_dword v[13:14], v10, off
                                        ; implicit-def: $vgpr13_vgpr14
	v_cmpx_ge_u32_e64 v38, v16
	s_xor_b32 s0, exec_lo, s0
; %bb.89:
	v_xor_b32_e32 v13, 0xfffffbff, v0
	;; [unrolled: 41-line block ×6, first 2 shown]
	v_ashrrev_i32_e32 v14, 31, v13
	v_add_co_u32 v13, vcc_lo, v19, v13
	v_add_co_ci_u32_e64 v14, null, v20, v14, vcc_lo
; %bb.122:
	s_andn2_saveexec_b32 s0, s0
; %bb.123:
	v_add_co_u32 v13, vcc_lo, v15, v30
	v_add_co_ci_u32_e64 v14, null, 0, v17, vcc_lo
; %bb.124:
	s_or_b32 exec_lo, exec_lo, s0
	s_mov_b32 s0, -1
	s_branch .LBB1395_205
.LBB1395_125:
	s_mov_b32 s0, 0
                                        ; implicit-def: $vgpr13_vgpr14
	s_cbranch_execz .LBB1395_205
; %bb.126:
	s_add_u32 s1, s16, s26
	s_addc_u32 s2, s17, 0
	s_sub_u32 s1, s18, s1
	s_subb_u32 s2, s19, s2
	v_add_co_u32 v13, s1, s1, v16
	v_add_co_ci_u32_e64 v14, null, s2, 0, s1
	s_mov_b32 s1, exec_lo
	v_add_co_u32 v19, vcc_lo, v13, v15
	v_add_co_ci_u32_e64 v20, null, v14, v17, vcc_lo
	v_cmpx_gt_u32_e64 s25, v0
	s_cbranch_execz .LBB1395_162
; %bb.127:
	s_mov_b32 s2, exec_lo
                                        ; implicit-def: $vgpr13_vgpr14
	v_cmpx_ge_u32_e64 v0, v16
	s_xor_b32 s2, exec_lo, s2
; %bb.128:
	v_not_b32_e32 v13, v0
	v_ashrrev_i32_e32 v14, 31, v13
	v_add_co_u32 v13, vcc_lo, v19, v13
	v_add_co_ci_u32_e64 v14, null, v20, v14, vcc_lo
; %bb.129:
	s_andn2_saveexec_b32 s2, s2
; %bb.130:
	v_add_co_u32 v13, vcc_lo, v15, v0
	v_add_co_ci_u32_e64 v14, null, 0, v17, vcc_lo
; %bb.131:
	s_or_b32 exec_lo, exec_lo, s2
	v_lshlrev_b64 v[13:14], 2, v[13:14]
	v_add_co_u32 v13, vcc_lo, s14, v13
	v_add_co_ci_u32_e64 v14, null, s15, v14, vcc_lo
	s_waitcnt lgkmcnt(6)
	global_store_dword v[13:14], v11, off
	s_or_b32 exec_lo, exec_lo, s1
	s_mov_b32 s1, exec_lo
	v_cmpx_gt_u32_e64 s25, v41
	s_cbranch_execnz .LBB1395_163
.LBB1395_132:
	s_or_b32 exec_lo, exec_lo, s1
	s_mov_b32 s1, exec_lo
	v_cmpx_gt_u32_e64 s25, v40
	s_cbranch_execz .LBB1395_168
.LBB1395_133:
	s_mov_b32 s2, exec_lo
                                        ; implicit-def: $vgpr11_vgpr12
	v_cmpx_ge_u32_e64 v40, v16
	s_xor_b32 s2, exec_lo, s2
	s_cbranch_execz .LBB1395_135
; %bb.134:
	s_waitcnt lgkmcnt(6)
	v_xor_b32_e32 v11, 0xfffffdff, v0
                                        ; implicit-def: $vgpr40
	v_ashrrev_i32_e32 v12, 31, v11
	v_add_co_u32 v11, vcc_lo, v19, v11
	v_add_co_ci_u32_e64 v12, null, v20, v12, vcc_lo
.LBB1395_135:
	s_andn2_saveexec_b32 s2, s2
	s_cbranch_execz .LBB1395_137
; %bb.136:
	s_waitcnt lgkmcnt(6)
	v_add_co_u32 v11, vcc_lo, v15, v40
	v_add_co_ci_u32_e64 v12, null, 0, v17, vcc_lo
.LBB1395_137:
	s_or_b32 exec_lo, exec_lo, s2
	s_waitcnt lgkmcnt(6)
	v_lshlrev_b64 v[11:12], 2, v[11:12]
	v_add_co_u32 v11, vcc_lo, s14, v11
	v_add_co_ci_u32_e64 v12, null, s15, v12, vcc_lo
	s_waitcnt lgkmcnt(5)
	global_store_dword v[11:12], v9, off
	s_or_b32 exec_lo, exec_lo, s1
	s_mov_b32 s1, exec_lo
	v_cmpx_gt_u32_e64 s25, v39
	s_cbranch_execnz .LBB1395_169
.LBB1395_138:
	s_or_b32 exec_lo, exec_lo, s1
	s_mov_b32 s1, exec_lo
	v_cmpx_gt_u32_e64 s25, v38
	s_cbranch_execz .LBB1395_174
.LBB1395_139:
	s_mov_b32 s2, exec_lo
                                        ; implicit-def: $vgpr9_vgpr10
	v_cmpx_ge_u32_e64 v38, v16
	s_xor_b32 s2, exec_lo, s2
	s_cbranch_execz .LBB1395_141
; %bb.140:
	s_waitcnt lgkmcnt(5)
	v_xor_b32_e32 v9, 0xfffffbff, v0
                                        ; implicit-def: $vgpr38
	v_ashrrev_i32_e32 v10, 31, v9
	v_add_co_u32 v9, vcc_lo, v19, v9
	v_add_co_ci_u32_e64 v10, null, v20, v10, vcc_lo
.LBB1395_141:
	s_andn2_saveexec_b32 s2, s2
	s_cbranch_execz .LBB1395_143
; %bb.142:
	s_waitcnt lgkmcnt(5)
	v_add_co_u32 v9, vcc_lo, v15, v38
	v_add_co_ci_u32_e64 v10, null, 0, v17, vcc_lo
.LBB1395_143:
	s_or_b32 exec_lo, exec_lo, s2
	s_waitcnt lgkmcnt(5)
	v_lshlrev_b64 v[9:10], 2, v[9:10]
	v_add_co_u32 v9, vcc_lo, s14, v9
	v_add_co_ci_u32_e64 v10, null, s15, v10, vcc_lo
	s_waitcnt lgkmcnt(4)
	global_store_dword v[9:10], v7, off
	s_or_b32 exec_lo, exec_lo, s1
	s_mov_b32 s1, exec_lo
	v_cmpx_gt_u32_e64 s25, v37
	s_cbranch_execnz .LBB1395_175
.LBB1395_144:
	s_or_b32 exec_lo, exec_lo, s1
	s_mov_b32 s1, exec_lo
	v_cmpx_gt_u32_e64 s25, v36
	s_cbranch_execz .LBB1395_180
.LBB1395_145:
	s_mov_b32 s2, exec_lo
                                        ; implicit-def: $vgpr7_vgpr8
	v_cmpx_ge_u32_e64 v36, v16
	s_xor_b32 s2, exec_lo, s2
	s_cbranch_execz .LBB1395_147
; %bb.146:
	s_waitcnt lgkmcnt(4)
	v_xor_b32_e32 v7, 0xfffff9ff, v0
                                        ; implicit-def: $vgpr36
	v_ashrrev_i32_e32 v8, 31, v7
	v_add_co_u32 v7, vcc_lo, v19, v7
	v_add_co_ci_u32_e64 v8, null, v20, v8, vcc_lo
.LBB1395_147:
	s_andn2_saveexec_b32 s2, s2
	s_cbranch_execz .LBB1395_149
; %bb.148:
	s_waitcnt lgkmcnt(4)
	v_add_co_u32 v7, vcc_lo, v15, v36
	v_add_co_ci_u32_e64 v8, null, 0, v17, vcc_lo
.LBB1395_149:
	s_or_b32 exec_lo, exec_lo, s2
	s_waitcnt lgkmcnt(4)
	v_lshlrev_b64 v[7:8], 2, v[7:8]
	v_add_co_u32 v7, vcc_lo, s14, v7
	v_add_co_ci_u32_e64 v8, null, s15, v8, vcc_lo
	s_waitcnt lgkmcnt(3)
	global_store_dword v[7:8], v5, off
	s_or_b32 exec_lo, exec_lo, s1
	s_mov_b32 s1, exec_lo
	v_cmpx_gt_u32_e64 s25, v35
	s_cbranch_execnz .LBB1395_181
.LBB1395_150:
	s_or_b32 exec_lo, exec_lo, s1
	s_mov_b32 s1, exec_lo
	v_cmpx_gt_u32_e64 s25, v34
	s_cbranch_execz .LBB1395_186
.LBB1395_151:
	s_mov_b32 s2, exec_lo
                                        ; implicit-def: $vgpr5_vgpr6
	v_cmpx_ge_u32_e64 v34, v16
	s_xor_b32 s2, exec_lo, s2
	s_cbranch_execz .LBB1395_153
; %bb.152:
	s_waitcnt lgkmcnt(3)
	v_xor_b32_e32 v5, 0xfffff7ff, v0
                                        ; implicit-def: $vgpr34
	v_ashrrev_i32_e32 v6, 31, v5
	v_add_co_u32 v5, vcc_lo, v19, v5
	v_add_co_ci_u32_e64 v6, null, v20, v6, vcc_lo
.LBB1395_153:
	s_andn2_saveexec_b32 s2, s2
	s_cbranch_execz .LBB1395_155
; %bb.154:
	s_waitcnt lgkmcnt(3)
	v_add_co_u32 v5, vcc_lo, v15, v34
	v_add_co_ci_u32_e64 v6, null, 0, v17, vcc_lo
.LBB1395_155:
	s_or_b32 exec_lo, exec_lo, s2
	s_waitcnt lgkmcnt(3)
	v_lshlrev_b64 v[5:6], 2, v[5:6]
	v_add_co_u32 v5, vcc_lo, s14, v5
	v_add_co_ci_u32_e64 v6, null, s15, v6, vcc_lo
	s_waitcnt lgkmcnt(2)
	global_store_dword v[5:6], v3, off
	s_or_b32 exec_lo, exec_lo, s1
	s_mov_b32 s1, exec_lo
	v_cmpx_gt_u32_e64 s25, v33
	s_cbranch_execnz .LBB1395_187
.LBB1395_156:
	s_or_b32 exec_lo, exec_lo, s1
	s_mov_b32 s1, exec_lo
	v_cmpx_gt_u32_e64 s25, v32
	s_cbranch_execz .LBB1395_192
.LBB1395_157:
	s_mov_b32 s2, exec_lo
                                        ; implicit-def: $vgpr3_vgpr4
	v_cmpx_ge_u32_e64 v32, v16
	s_xor_b32 s2, exec_lo, s2
	s_cbranch_execz .LBB1395_159
; %bb.158:
	s_waitcnt lgkmcnt(2)
	v_xor_b32_e32 v3, 0xfffff5ff, v0
                                        ; implicit-def: $vgpr32
	v_ashrrev_i32_e32 v4, 31, v3
	v_add_co_u32 v3, vcc_lo, v19, v3
	v_add_co_ci_u32_e64 v4, null, v20, v4, vcc_lo
.LBB1395_159:
	s_andn2_saveexec_b32 s2, s2
	s_cbranch_execz .LBB1395_161
; %bb.160:
	s_waitcnt lgkmcnt(2)
	v_add_co_u32 v3, vcc_lo, v15, v32
	v_add_co_ci_u32_e64 v4, null, 0, v17, vcc_lo
.LBB1395_161:
	s_or_b32 exec_lo, exec_lo, s2
	s_waitcnt lgkmcnt(2)
	v_lshlrev_b64 v[3:4], 2, v[3:4]
	v_add_co_u32 v3, vcc_lo, s14, v3
	v_add_co_ci_u32_e64 v4, null, s15, v4, vcc_lo
	s_waitcnt lgkmcnt(1)
	global_store_dword v[3:4], v1, off
	s_or_b32 exec_lo, exec_lo, s1
	s_mov_b32 s1, exec_lo
	v_cmpx_gt_u32_e64 s25, v31
	s_cbranch_execz .LBB1395_198
	s_branch .LBB1395_193
.LBB1395_162:
	s_or_b32 exec_lo, exec_lo, s1
	s_mov_b32 s1, exec_lo
	v_cmpx_gt_u32_e64 s25, v41
	s_cbranch_execz .LBB1395_132
.LBB1395_163:
	s_mov_b32 s2, exec_lo
                                        ; implicit-def: $vgpr13_vgpr14
	v_cmpx_ge_u32_e64 v41, v16
	s_xor_b32 s2, exec_lo, s2
	s_cbranch_execz .LBB1395_165
; %bb.164:
	s_waitcnt lgkmcnt(6)
	v_xor_b32_e32 v11, 0xfffffeff, v0
                                        ; implicit-def: $vgpr41
	v_ashrrev_i32_e32 v14, 31, v11
	v_add_co_u32 v13, vcc_lo, v19, v11
	v_add_co_ci_u32_e64 v14, null, v20, v14, vcc_lo
.LBB1395_165:
	s_andn2_saveexec_b32 s2, s2
; %bb.166:
	v_add_co_u32 v13, vcc_lo, v15, v41
	v_add_co_ci_u32_e64 v14, null, 0, v17, vcc_lo
; %bb.167:
	s_or_b32 exec_lo, exec_lo, s2
	v_lshlrev_b64 v[13:14], 2, v[13:14]
	v_add_co_u32 v13, vcc_lo, s14, v13
	v_add_co_ci_u32_e64 v14, null, s15, v14, vcc_lo
	s_waitcnt lgkmcnt(6)
	global_store_dword v[13:14], v12, off
	s_or_b32 exec_lo, exec_lo, s1
	s_mov_b32 s1, exec_lo
	v_cmpx_gt_u32_e64 s25, v40
	s_cbranch_execnz .LBB1395_133
.LBB1395_168:
	s_or_b32 exec_lo, exec_lo, s1
	s_mov_b32 s1, exec_lo
	v_cmpx_gt_u32_e64 s25, v39
	s_cbranch_execz .LBB1395_138
.LBB1395_169:
	s_mov_b32 s2, exec_lo
                                        ; implicit-def: $vgpr11_vgpr12
	v_cmpx_ge_u32_e64 v39, v16
	s_xor_b32 s2, exec_lo, s2
	s_cbranch_execz .LBB1395_171
; %bb.170:
	s_waitcnt lgkmcnt(5)
	v_xor_b32_e32 v9, 0xfffffcff, v0
                                        ; implicit-def: $vgpr39
	v_ashrrev_i32_e32 v12, 31, v9
	v_add_co_u32 v11, vcc_lo, v19, v9
	v_add_co_ci_u32_e64 v12, null, v20, v12, vcc_lo
.LBB1395_171:
	s_andn2_saveexec_b32 s2, s2
	s_cbranch_execz .LBB1395_173
; %bb.172:
	s_waitcnt lgkmcnt(6)
	v_add_co_u32 v11, vcc_lo, v15, v39
	v_add_co_ci_u32_e64 v12, null, 0, v17, vcc_lo
.LBB1395_173:
	s_or_b32 exec_lo, exec_lo, s2
	s_waitcnt lgkmcnt(6)
	v_lshlrev_b64 v[11:12], 2, v[11:12]
	v_add_co_u32 v11, vcc_lo, s14, v11
	v_add_co_ci_u32_e64 v12, null, s15, v12, vcc_lo
	s_waitcnt lgkmcnt(5)
	global_store_dword v[11:12], v10, off
	s_or_b32 exec_lo, exec_lo, s1
	s_mov_b32 s1, exec_lo
	v_cmpx_gt_u32_e64 s25, v38
	s_cbranch_execnz .LBB1395_139
.LBB1395_174:
	s_or_b32 exec_lo, exec_lo, s1
	s_mov_b32 s1, exec_lo
	v_cmpx_gt_u32_e64 s25, v37
	s_cbranch_execz .LBB1395_144
.LBB1395_175:
	s_mov_b32 s2, exec_lo
                                        ; implicit-def: $vgpr9_vgpr10
	v_cmpx_ge_u32_e64 v37, v16
	s_xor_b32 s2, exec_lo, s2
	s_cbranch_execz .LBB1395_177
; %bb.176:
	s_waitcnt lgkmcnt(4)
	v_xor_b32_e32 v7, 0xfffffaff, v0
                                        ; implicit-def: $vgpr37
	v_ashrrev_i32_e32 v10, 31, v7
	v_add_co_u32 v9, vcc_lo, v19, v7
	v_add_co_ci_u32_e64 v10, null, v20, v10, vcc_lo
.LBB1395_177:
	s_andn2_saveexec_b32 s2, s2
	s_cbranch_execz .LBB1395_179
; %bb.178:
	s_waitcnt lgkmcnt(5)
	v_add_co_u32 v9, vcc_lo, v15, v37
	v_add_co_ci_u32_e64 v10, null, 0, v17, vcc_lo
.LBB1395_179:
	s_or_b32 exec_lo, exec_lo, s2
	s_waitcnt lgkmcnt(5)
	v_lshlrev_b64 v[9:10], 2, v[9:10]
	v_add_co_u32 v9, vcc_lo, s14, v9
	v_add_co_ci_u32_e64 v10, null, s15, v10, vcc_lo
	s_waitcnt lgkmcnt(4)
	global_store_dword v[9:10], v8, off
	s_or_b32 exec_lo, exec_lo, s1
	s_mov_b32 s1, exec_lo
	v_cmpx_gt_u32_e64 s25, v36
	s_cbranch_execnz .LBB1395_145
.LBB1395_180:
	s_or_b32 exec_lo, exec_lo, s1
	s_mov_b32 s1, exec_lo
	v_cmpx_gt_u32_e64 s25, v35
	s_cbranch_execz .LBB1395_150
.LBB1395_181:
	s_mov_b32 s2, exec_lo
                                        ; implicit-def: $vgpr7_vgpr8
	v_cmpx_ge_u32_e64 v35, v16
	s_xor_b32 s2, exec_lo, s2
	s_cbranch_execz .LBB1395_183
; %bb.182:
	s_waitcnt lgkmcnt(3)
	v_xor_b32_e32 v5, 0xfffff8ff, v0
                                        ; implicit-def: $vgpr35
	v_ashrrev_i32_e32 v8, 31, v5
	v_add_co_u32 v7, vcc_lo, v19, v5
	v_add_co_ci_u32_e64 v8, null, v20, v8, vcc_lo
.LBB1395_183:
	s_andn2_saveexec_b32 s2, s2
	s_cbranch_execz .LBB1395_185
; %bb.184:
	s_waitcnt lgkmcnt(4)
	v_add_co_u32 v7, vcc_lo, v15, v35
	v_add_co_ci_u32_e64 v8, null, 0, v17, vcc_lo
.LBB1395_185:
	s_or_b32 exec_lo, exec_lo, s2
	s_waitcnt lgkmcnt(4)
	v_lshlrev_b64 v[7:8], 2, v[7:8]
	v_add_co_u32 v7, vcc_lo, s14, v7
	v_add_co_ci_u32_e64 v8, null, s15, v8, vcc_lo
	s_waitcnt lgkmcnt(3)
	global_store_dword v[7:8], v6, off
	s_or_b32 exec_lo, exec_lo, s1
	s_mov_b32 s1, exec_lo
	v_cmpx_gt_u32_e64 s25, v34
	s_cbranch_execnz .LBB1395_151
.LBB1395_186:
	s_or_b32 exec_lo, exec_lo, s1
	s_mov_b32 s1, exec_lo
	v_cmpx_gt_u32_e64 s25, v33
	s_cbranch_execz .LBB1395_156
.LBB1395_187:
	s_mov_b32 s2, exec_lo
                                        ; implicit-def: $vgpr5_vgpr6
	v_cmpx_ge_u32_e64 v33, v16
	s_xor_b32 s2, exec_lo, s2
	s_cbranch_execz .LBB1395_189
; %bb.188:
	s_waitcnt lgkmcnt(2)
	v_xor_b32_e32 v3, 0xfffff6ff, v0
                                        ; implicit-def: $vgpr33
	v_ashrrev_i32_e32 v6, 31, v3
	v_add_co_u32 v5, vcc_lo, v19, v3
	v_add_co_ci_u32_e64 v6, null, v20, v6, vcc_lo
.LBB1395_189:
	s_andn2_saveexec_b32 s2, s2
	s_cbranch_execz .LBB1395_191
; %bb.190:
	s_waitcnt lgkmcnt(3)
	v_add_co_u32 v5, vcc_lo, v15, v33
	v_add_co_ci_u32_e64 v6, null, 0, v17, vcc_lo
.LBB1395_191:
	s_or_b32 exec_lo, exec_lo, s2
	s_waitcnt lgkmcnt(3)
	v_lshlrev_b64 v[5:6], 2, v[5:6]
	v_add_co_u32 v5, vcc_lo, s14, v5
	v_add_co_ci_u32_e64 v6, null, s15, v6, vcc_lo
	s_waitcnt lgkmcnt(2)
	global_store_dword v[5:6], v4, off
	s_or_b32 exec_lo, exec_lo, s1
	s_mov_b32 s1, exec_lo
	v_cmpx_gt_u32_e64 s25, v32
	s_cbranch_execnz .LBB1395_157
.LBB1395_192:
	s_or_b32 exec_lo, exec_lo, s1
	s_mov_b32 s1, exec_lo
	v_cmpx_gt_u32_e64 s25, v31
	s_cbranch_execz .LBB1395_198
.LBB1395_193:
	s_mov_b32 s2, exec_lo
                                        ; implicit-def: $vgpr3_vgpr4
	v_cmpx_ge_u32_e64 v31, v16
	s_xor_b32 s2, exec_lo, s2
	s_cbranch_execz .LBB1395_195
; %bb.194:
	s_waitcnt lgkmcnt(1)
	v_xor_b32_e32 v1, 0xfffff4ff, v0
                                        ; implicit-def: $vgpr31
	v_ashrrev_i32_e32 v4, 31, v1
	v_add_co_u32 v3, vcc_lo, v19, v1
	v_add_co_ci_u32_e64 v4, null, v20, v4, vcc_lo
.LBB1395_195:
	s_andn2_saveexec_b32 s2, s2
	s_cbranch_execz .LBB1395_197
; %bb.196:
	s_waitcnt lgkmcnt(2)
	v_add_co_u32 v3, vcc_lo, v15, v31
	v_add_co_ci_u32_e64 v4, null, 0, v17, vcc_lo
.LBB1395_197:
	s_or_b32 exec_lo, exec_lo, s2
	s_waitcnt lgkmcnt(2)
	v_lshlrev_b64 v[3:4], 2, v[3:4]
	v_add_co_u32 v3, vcc_lo, s14, v3
	v_add_co_ci_u32_e64 v4, null, s15, v4, vcc_lo
	s_waitcnt lgkmcnt(1)
	global_store_dword v[3:4], v2, off
.LBB1395_198:
	s_or_b32 exec_lo, exec_lo, s1
	s_mov_b32 s1, exec_lo
                                        ; implicit-def: $vgpr13_vgpr14
	v_cmpx_gt_u32_e64 s25, v30
	s_cbranch_execz .LBB1395_204
; %bb.199:
	s_mov_b32 s2, exec_lo
                                        ; implicit-def: $vgpr13_vgpr14
	v_cmpx_ge_u32_e64 v30, v16
	s_xor_b32 s2, exec_lo, s2
	s_cbranch_execz .LBB1395_201
; %bb.200:
	s_waitcnt lgkmcnt(1)
	v_xor_b32_e32 v1, 0xfffff3ff, v0
                                        ; implicit-def: $vgpr30
	v_ashrrev_i32_e32 v2, 31, v1
	v_add_co_u32 v13, vcc_lo, v19, v1
	v_add_co_ci_u32_e64 v14, null, v20, v2, vcc_lo
.LBB1395_201:
	s_andn2_saveexec_b32 s2, s2
; %bb.202:
	v_add_co_u32 v13, vcc_lo, v15, v30
	v_add_co_ci_u32_e64 v14, null, 0, v17, vcc_lo
; %bb.203:
	s_or_b32 exec_lo, exec_lo, s2
	s_or_b32 s0, s0, exec_lo
.LBB1395_204:
	s_or_b32 exec_lo, exec_lo, s1
.LBB1395_205:
	s_and_saveexec_b32 s1, s0
	s_cbranch_execz .LBB1395_207
; %bb.206:
	s_waitcnt lgkmcnt(1)
	v_lshlrev_b64 v[1:2], 2, v[13:14]
	v_add_co_u32 v1, vcc_lo, s14, v1
	v_add_co_ci_u32_e64 v2, null, s15, v2, vcc_lo
	s_waitcnt lgkmcnt(0)
	global_store_dword v[1:2], v18, off
.LBB1395_207:
	s_or_b32 exec_lo, exec_lo, s1
	v_cmp_eq_u32_e32 vcc_lo, 0, v0
	s_and_b32 s0, vcc_lo, s24
	s_and_saveexec_b32 s1, s0
	s_cbranch_execz .LBB1395_209
; %bb.208:
	v_add_co_u32 v0, vcc_lo, v15, v16
	s_waitcnt lgkmcnt(1)
	v_mov_b32_e32 v2, 0
	v_add_co_ci_u32_e64 v1, null, 0, v17, vcc_lo
	global_store_dwordx2 v2, v[0:1], s[12:13]
.LBB1395_209:
	s_endpgm
	.section	.rodata,"a",@progbits
	.p2align	6, 0x0
	.amdhsa_kernel _ZN7rocprim17ROCPRIM_400000_NS6detail17trampoline_kernelINS0_13select_configILj256ELj13ELNS0_17block_load_methodE3ELS4_3ELS4_3ELNS0_20block_scan_algorithmE0ELj4294967295EEENS1_25partition_config_selectorILNS1_17partition_subalgoE3EjNS0_10empty_typeEbEEZZNS1_14partition_implILS8_3ELb0ES6_jNS0_17counting_iteratorIjlEEPS9_SE_NS0_5tupleIJPjSE_EEENSF_IJSE_SE_EEES9_SG_JZNS1_25segmented_radix_sort_implINS0_14default_configELb0EPKfPfPKlPlN2at6native12_GLOBAL__N_18offset_tEEE10hipError_tPvRmT1_PNSt15iterator_traitsISY_E10value_typeET2_T3_PNSZ_IS14_E10value_typeET4_jRbjT5_S1A_jjP12ihipStream_tbEUljE_EEESV_SW_SX_S14_S18_S1A_T6_T7_T9_mT8_S1C_bDpT10_ENKUlT_T0_E_clISt17integral_constantIbLb0EES1P_EEDaS1K_S1L_EUlS1K_E_NS1_11comp_targetILNS1_3genE8ELNS1_11target_archE1030ELNS1_3gpuE2ELNS1_3repE0EEENS1_30default_config_static_selectorELNS0_4arch9wavefront6targetE0EEEvSY_
		.amdhsa_group_segment_fixed_size 13320
		.amdhsa_private_segment_fixed_size 0
		.amdhsa_kernarg_size 144
		.amdhsa_user_sgpr_count 6
		.amdhsa_user_sgpr_private_segment_buffer 1
		.amdhsa_user_sgpr_dispatch_ptr 0
		.amdhsa_user_sgpr_queue_ptr 0
		.amdhsa_user_sgpr_kernarg_segment_ptr 1
		.amdhsa_user_sgpr_dispatch_id 0
		.amdhsa_user_sgpr_flat_scratch_init 0
		.amdhsa_user_sgpr_private_segment_size 0
		.amdhsa_wavefront_size32 1
		.amdhsa_uses_dynamic_stack 0
		.amdhsa_system_sgpr_private_segment_wavefront_offset 0
		.amdhsa_system_sgpr_workgroup_id_x 1
		.amdhsa_system_sgpr_workgroup_id_y 0
		.amdhsa_system_sgpr_workgroup_id_z 0
		.amdhsa_system_sgpr_workgroup_info 0
		.amdhsa_system_vgpr_workitem_id 0
		.amdhsa_next_free_vgpr 69
		.amdhsa_next_free_sgpr 27
		.amdhsa_reserve_vcc 1
		.amdhsa_reserve_flat_scratch 0
		.amdhsa_float_round_mode_32 0
		.amdhsa_float_round_mode_16_64 0
		.amdhsa_float_denorm_mode_32 3
		.amdhsa_float_denorm_mode_16_64 3
		.amdhsa_dx10_clamp 1
		.amdhsa_ieee_mode 1
		.amdhsa_fp16_overflow 0
		.amdhsa_workgroup_processor_mode 1
		.amdhsa_memory_ordered 1
		.amdhsa_forward_progress 1
		.amdhsa_shared_vgpr_count 0
		.amdhsa_exception_fp_ieee_invalid_op 0
		.amdhsa_exception_fp_denorm_src 0
		.amdhsa_exception_fp_ieee_div_zero 0
		.amdhsa_exception_fp_ieee_overflow 0
		.amdhsa_exception_fp_ieee_underflow 0
		.amdhsa_exception_fp_ieee_inexact 0
		.amdhsa_exception_int_div_zero 0
	.end_amdhsa_kernel
	.section	.text._ZN7rocprim17ROCPRIM_400000_NS6detail17trampoline_kernelINS0_13select_configILj256ELj13ELNS0_17block_load_methodE3ELS4_3ELS4_3ELNS0_20block_scan_algorithmE0ELj4294967295EEENS1_25partition_config_selectorILNS1_17partition_subalgoE3EjNS0_10empty_typeEbEEZZNS1_14partition_implILS8_3ELb0ES6_jNS0_17counting_iteratorIjlEEPS9_SE_NS0_5tupleIJPjSE_EEENSF_IJSE_SE_EEES9_SG_JZNS1_25segmented_radix_sort_implINS0_14default_configELb0EPKfPfPKlPlN2at6native12_GLOBAL__N_18offset_tEEE10hipError_tPvRmT1_PNSt15iterator_traitsISY_E10value_typeET2_T3_PNSZ_IS14_E10value_typeET4_jRbjT5_S1A_jjP12ihipStream_tbEUljE_EEESV_SW_SX_S14_S18_S1A_T6_T7_T9_mT8_S1C_bDpT10_ENKUlT_T0_E_clISt17integral_constantIbLb0EES1P_EEDaS1K_S1L_EUlS1K_E_NS1_11comp_targetILNS1_3genE8ELNS1_11target_archE1030ELNS1_3gpuE2ELNS1_3repE0EEENS1_30default_config_static_selectorELNS0_4arch9wavefront6targetE0EEEvSY_,"axG",@progbits,_ZN7rocprim17ROCPRIM_400000_NS6detail17trampoline_kernelINS0_13select_configILj256ELj13ELNS0_17block_load_methodE3ELS4_3ELS4_3ELNS0_20block_scan_algorithmE0ELj4294967295EEENS1_25partition_config_selectorILNS1_17partition_subalgoE3EjNS0_10empty_typeEbEEZZNS1_14partition_implILS8_3ELb0ES6_jNS0_17counting_iteratorIjlEEPS9_SE_NS0_5tupleIJPjSE_EEENSF_IJSE_SE_EEES9_SG_JZNS1_25segmented_radix_sort_implINS0_14default_configELb0EPKfPfPKlPlN2at6native12_GLOBAL__N_18offset_tEEE10hipError_tPvRmT1_PNSt15iterator_traitsISY_E10value_typeET2_T3_PNSZ_IS14_E10value_typeET4_jRbjT5_S1A_jjP12ihipStream_tbEUljE_EEESV_SW_SX_S14_S18_S1A_T6_T7_T9_mT8_S1C_bDpT10_ENKUlT_T0_E_clISt17integral_constantIbLb0EES1P_EEDaS1K_S1L_EUlS1K_E_NS1_11comp_targetILNS1_3genE8ELNS1_11target_archE1030ELNS1_3gpuE2ELNS1_3repE0EEENS1_30default_config_static_selectorELNS0_4arch9wavefront6targetE0EEEvSY_,comdat
.Lfunc_end1395:
	.size	_ZN7rocprim17ROCPRIM_400000_NS6detail17trampoline_kernelINS0_13select_configILj256ELj13ELNS0_17block_load_methodE3ELS4_3ELS4_3ELNS0_20block_scan_algorithmE0ELj4294967295EEENS1_25partition_config_selectorILNS1_17partition_subalgoE3EjNS0_10empty_typeEbEEZZNS1_14partition_implILS8_3ELb0ES6_jNS0_17counting_iteratorIjlEEPS9_SE_NS0_5tupleIJPjSE_EEENSF_IJSE_SE_EEES9_SG_JZNS1_25segmented_radix_sort_implINS0_14default_configELb0EPKfPfPKlPlN2at6native12_GLOBAL__N_18offset_tEEE10hipError_tPvRmT1_PNSt15iterator_traitsISY_E10value_typeET2_T3_PNSZ_IS14_E10value_typeET4_jRbjT5_S1A_jjP12ihipStream_tbEUljE_EEESV_SW_SX_S14_S18_S1A_T6_T7_T9_mT8_S1C_bDpT10_ENKUlT_T0_E_clISt17integral_constantIbLb0EES1P_EEDaS1K_S1L_EUlS1K_E_NS1_11comp_targetILNS1_3genE8ELNS1_11target_archE1030ELNS1_3gpuE2ELNS1_3repE0EEENS1_30default_config_static_selectorELNS0_4arch9wavefront6targetE0EEEvSY_, .Lfunc_end1395-_ZN7rocprim17ROCPRIM_400000_NS6detail17trampoline_kernelINS0_13select_configILj256ELj13ELNS0_17block_load_methodE3ELS4_3ELS4_3ELNS0_20block_scan_algorithmE0ELj4294967295EEENS1_25partition_config_selectorILNS1_17partition_subalgoE3EjNS0_10empty_typeEbEEZZNS1_14partition_implILS8_3ELb0ES6_jNS0_17counting_iteratorIjlEEPS9_SE_NS0_5tupleIJPjSE_EEENSF_IJSE_SE_EEES9_SG_JZNS1_25segmented_radix_sort_implINS0_14default_configELb0EPKfPfPKlPlN2at6native12_GLOBAL__N_18offset_tEEE10hipError_tPvRmT1_PNSt15iterator_traitsISY_E10value_typeET2_T3_PNSZ_IS14_E10value_typeET4_jRbjT5_S1A_jjP12ihipStream_tbEUljE_EEESV_SW_SX_S14_S18_S1A_T6_T7_T9_mT8_S1C_bDpT10_ENKUlT_T0_E_clISt17integral_constantIbLb0EES1P_EEDaS1K_S1L_EUlS1K_E_NS1_11comp_targetILNS1_3genE8ELNS1_11target_archE1030ELNS1_3gpuE2ELNS1_3repE0EEENS1_30default_config_static_selectorELNS0_4arch9wavefront6targetE0EEEvSY_
                                        ; -- End function
	.set _ZN7rocprim17ROCPRIM_400000_NS6detail17trampoline_kernelINS0_13select_configILj256ELj13ELNS0_17block_load_methodE3ELS4_3ELS4_3ELNS0_20block_scan_algorithmE0ELj4294967295EEENS1_25partition_config_selectorILNS1_17partition_subalgoE3EjNS0_10empty_typeEbEEZZNS1_14partition_implILS8_3ELb0ES6_jNS0_17counting_iteratorIjlEEPS9_SE_NS0_5tupleIJPjSE_EEENSF_IJSE_SE_EEES9_SG_JZNS1_25segmented_radix_sort_implINS0_14default_configELb0EPKfPfPKlPlN2at6native12_GLOBAL__N_18offset_tEEE10hipError_tPvRmT1_PNSt15iterator_traitsISY_E10value_typeET2_T3_PNSZ_IS14_E10value_typeET4_jRbjT5_S1A_jjP12ihipStream_tbEUljE_EEESV_SW_SX_S14_S18_S1A_T6_T7_T9_mT8_S1C_bDpT10_ENKUlT_T0_E_clISt17integral_constantIbLb0EES1P_EEDaS1K_S1L_EUlS1K_E_NS1_11comp_targetILNS1_3genE8ELNS1_11target_archE1030ELNS1_3gpuE2ELNS1_3repE0EEENS1_30default_config_static_selectorELNS0_4arch9wavefront6targetE0EEEvSY_.num_vgpr, 69
	.set _ZN7rocprim17ROCPRIM_400000_NS6detail17trampoline_kernelINS0_13select_configILj256ELj13ELNS0_17block_load_methodE3ELS4_3ELS4_3ELNS0_20block_scan_algorithmE0ELj4294967295EEENS1_25partition_config_selectorILNS1_17partition_subalgoE3EjNS0_10empty_typeEbEEZZNS1_14partition_implILS8_3ELb0ES6_jNS0_17counting_iteratorIjlEEPS9_SE_NS0_5tupleIJPjSE_EEENSF_IJSE_SE_EEES9_SG_JZNS1_25segmented_radix_sort_implINS0_14default_configELb0EPKfPfPKlPlN2at6native12_GLOBAL__N_18offset_tEEE10hipError_tPvRmT1_PNSt15iterator_traitsISY_E10value_typeET2_T3_PNSZ_IS14_E10value_typeET4_jRbjT5_S1A_jjP12ihipStream_tbEUljE_EEESV_SW_SX_S14_S18_S1A_T6_T7_T9_mT8_S1C_bDpT10_ENKUlT_T0_E_clISt17integral_constantIbLb0EES1P_EEDaS1K_S1L_EUlS1K_E_NS1_11comp_targetILNS1_3genE8ELNS1_11target_archE1030ELNS1_3gpuE2ELNS1_3repE0EEENS1_30default_config_static_selectorELNS0_4arch9wavefront6targetE0EEEvSY_.num_agpr, 0
	.set _ZN7rocprim17ROCPRIM_400000_NS6detail17trampoline_kernelINS0_13select_configILj256ELj13ELNS0_17block_load_methodE3ELS4_3ELS4_3ELNS0_20block_scan_algorithmE0ELj4294967295EEENS1_25partition_config_selectorILNS1_17partition_subalgoE3EjNS0_10empty_typeEbEEZZNS1_14partition_implILS8_3ELb0ES6_jNS0_17counting_iteratorIjlEEPS9_SE_NS0_5tupleIJPjSE_EEENSF_IJSE_SE_EEES9_SG_JZNS1_25segmented_radix_sort_implINS0_14default_configELb0EPKfPfPKlPlN2at6native12_GLOBAL__N_18offset_tEEE10hipError_tPvRmT1_PNSt15iterator_traitsISY_E10value_typeET2_T3_PNSZ_IS14_E10value_typeET4_jRbjT5_S1A_jjP12ihipStream_tbEUljE_EEESV_SW_SX_S14_S18_S1A_T6_T7_T9_mT8_S1C_bDpT10_ENKUlT_T0_E_clISt17integral_constantIbLb0EES1P_EEDaS1K_S1L_EUlS1K_E_NS1_11comp_targetILNS1_3genE8ELNS1_11target_archE1030ELNS1_3gpuE2ELNS1_3repE0EEENS1_30default_config_static_selectorELNS0_4arch9wavefront6targetE0EEEvSY_.numbered_sgpr, 27
	.set _ZN7rocprim17ROCPRIM_400000_NS6detail17trampoline_kernelINS0_13select_configILj256ELj13ELNS0_17block_load_methodE3ELS4_3ELS4_3ELNS0_20block_scan_algorithmE0ELj4294967295EEENS1_25partition_config_selectorILNS1_17partition_subalgoE3EjNS0_10empty_typeEbEEZZNS1_14partition_implILS8_3ELb0ES6_jNS0_17counting_iteratorIjlEEPS9_SE_NS0_5tupleIJPjSE_EEENSF_IJSE_SE_EEES9_SG_JZNS1_25segmented_radix_sort_implINS0_14default_configELb0EPKfPfPKlPlN2at6native12_GLOBAL__N_18offset_tEEE10hipError_tPvRmT1_PNSt15iterator_traitsISY_E10value_typeET2_T3_PNSZ_IS14_E10value_typeET4_jRbjT5_S1A_jjP12ihipStream_tbEUljE_EEESV_SW_SX_S14_S18_S1A_T6_T7_T9_mT8_S1C_bDpT10_ENKUlT_T0_E_clISt17integral_constantIbLb0EES1P_EEDaS1K_S1L_EUlS1K_E_NS1_11comp_targetILNS1_3genE8ELNS1_11target_archE1030ELNS1_3gpuE2ELNS1_3repE0EEENS1_30default_config_static_selectorELNS0_4arch9wavefront6targetE0EEEvSY_.num_named_barrier, 0
	.set _ZN7rocprim17ROCPRIM_400000_NS6detail17trampoline_kernelINS0_13select_configILj256ELj13ELNS0_17block_load_methodE3ELS4_3ELS4_3ELNS0_20block_scan_algorithmE0ELj4294967295EEENS1_25partition_config_selectorILNS1_17partition_subalgoE3EjNS0_10empty_typeEbEEZZNS1_14partition_implILS8_3ELb0ES6_jNS0_17counting_iteratorIjlEEPS9_SE_NS0_5tupleIJPjSE_EEENSF_IJSE_SE_EEES9_SG_JZNS1_25segmented_radix_sort_implINS0_14default_configELb0EPKfPfPKlPlN2at6native12_GLOBAL__N_18offset_tEEE10hipError_tPvRmT1_PNSt15iterator_traitsISY_E10value_typeET2_T3_PNSZ_IS14_E10value_typeET4_jRbjT5_S1A_jjP12ihipStream_tbEUljE_EEESV_SW_SX_S14_S18_S1A_T6_T7_T9_mT8_S1C_bDpT10_ENKUlT_T0_E_clISt17integral_constantIbLb0EES1P_EEDaS1K_S1L_EUlS1K_E_NS1_11comp_targetILNS1_3genE8ELNS1_11target_archE1030ELNS1_3gpuE2ELNS1_3repE0EEENS1_30default_config_static_selectorELNS0_4arch9wavefront6targetE0EEEvSY_.private_seg_size, 0
	.set _ZN7rocprim17ROCPRIM_400000_NS6detail17trampoline_kernelINS0_13select_configILj256ELj13ELNS0_17block_load_methodE3ELS4_3ELS4_3ELNS0_20block_scan_algorithmE0ELj4294967295EEENS1_25partition_config_selectorILNS1_17partition_subalgoE3EjNS0_10empty_typeEbEEZZNS1_14partition_implILS8_3ELb0ES6_jNS0_17counting_iteratorIjlEEPS9_SE_NS0_5tupleIJPjSE_EEENSF_IJSE_SE_EEES9_SG_JZNS1_25segmented_radix_sort_implINS0_14default_configELb0EPKfPfPKlPlN2at6native12_GLOBAL__N_18offset_tEEE10hipError_tPvRmT1_PNSt15iterator_traitsISY_E10value_typeET2_T3_PNSZ_IS14_E10value_typeET4_jRbjT5_S1A_jjP12ihipStream_tbEUljE_EEESV_SW_SX_S14_S18_S1A_T6_T7_T9_mT8_S1C_bDpT10_ENKUlT_T0_E_clISt17integral_constantIbLb0EES1P_EEDaS1K_S1L_EUlS1K_E_NS1_11comp_targetILNS1_3genE8ELNS1_11target_archE1030ELNS1_3gpuE2ELNS1_3repE0EEENS1_30default_config_static_selectorELNS0_4arch9wavefront6targetE0EEEvSY_.uses_vcc, 1
	.set _ZN7rocprim17ROCPRIM_400000_NS6detail17trampoline_kernelINS0_13select_configILj256ELj13ELNS0_17block_load_methodE3ELS4_3ELS4_3ELNS0_20block_scan_algorithmE0ELj4294967295EEENS1_25partition_config_selectorILNS1_17partition_subalgoE3EjNS0_10empty_typeEbEEZZNS1_14partition_implILS8_3ELb0ES6_jNS0_17counting_iteratorIjlEEPS9_SE_NS0_5tupleIJPjSE_EEENSF_IJSE_SE_EEES9_SG_JZNS1_25segmented_radix_sort_implINS0_14default_configELb0EPKfPfPKlPlN2at6native12_GLOBAL__N_18offset_tEEE10hipError_tPvRmT1_PNSt15iterator_traitsISY_E10value_typeET2_T3_PNSZ_IS14_E10value_typeET4_jRbjT5_S1A_jjP12ihipStream_tbEUljE_EEESV_SW_SX_S14_S18_S1A_T6_T7_T9_mT8_S1C_bDpT10_ENKUlT_T0_E_clISt17integral_constantIbLb0EES1P_EEDaS1K_S1L_EUlS1K_E_NS1_11comp_targetILNS1_3genE8ELNS1_11target_archE1030ELNS1_3gpuE2ELNS1_3repE0EEENS1_30default_config_static_selectorELNS0_4arch9wavefront6targetE0EEEvSY_.uses_flat_scratch, 0
	.set _ZN7rocprim17ROCPRIM_400000_NS6detail17trampoline_kernelINS0_13select_configILj256ELj13ELNS0_17block_load_methodE3ELS4_3ELS4_3ELNS0_20block_scan_algorithmE0ELj4294967295EEENS1_25partition_config_selectorILNS1_17partition_subalgoE3EjNS0_10empty_typeEbEEZZNS1_14partition_implILS8_3ELb0ES6_jNS0_17counting_iteratorIjlEEPS9_SE_NS0_5tupleIJPjSE_EEENSF_IJSE_SE_EEES9_SG_JZNS1_25segmented_radix_sort_implINS0_14default_configELb0EPKfPfPKlPlN2at6native12_GLOBAL__N_18offset_tEEE10hipError_tPvRmT1_PNSt15iterator_traitsISY_E10value_typeET2_T3_PNSZ_IS14_E10value_typeET4_jRbjT5_S1A_jjP12ihipStream_tbEUljE_EEESV_SW_SX_S14_S18_S1A_T6_T7_T9_mT8_S1C_bDpT10_ENKUlT_T0_E_clISt17integral_constantIbLb0EES1P_EEDaS1K_S1L_EUlS1K_E_NS1_11comp_targetILNS1_3genE8ELNS1_11target_archE1030ELNS1_3gpuE2ELNS1_3repE0EEENS1_30default_config_static_selectorELNS0_4arch9wavefront6targetE0EEEvSY_.has_dyn_sized_stack, 0
	.set _ZN7rocprim17ROCPRIM_400000_NS6detail17trampoline_kernelINS0_13select_configILj256ELj13ELNS0_17block_load_methodE3ELS4_3ELS4_3ELNS0_20block_scan_algorithmE0ELj4294967295EEENS1_25partition_config_selectorILNS1_17partition_subalgoE3EjNS0_10empty_typeEbEEZZNS1_14partition_implILS8_3ELb0ES6_jNS0_17counting_iteratorIjlEEPS9_SE_NS0_5tupleIJPjSE_EEENSF_IJSE_SE_EEES9_SG_JZNS1_25segmented_radix_sort_implINS0_14default_configELb0EPKfPfPKlPlN2at6native12_GLOBAL__N_18offset_tEEE10hipError_tPvRmT1_PNSt15iterator_traitsISY_E10value_typeET2_T3_PNSZ_IS14_E10value_typeET4_jRbjT5_S1A_jjP12ihipStream_tbEUljE_EEESV_SW_SX_S14_S18_S1A_T6_T7_T9_mT8_S1C_bDpT10_ENKUlT_T0_E_clISt17integral_constantIbLb0EES1P_EEDaS1K_S1L_EUlS1K_E_NS1_11comp_targetILNS1_3genE8ELNS1_11target_archE1030ELNS1_3gpuE2ELNS1_3repE0EEENS1_30default_config_static_selectorELNS0_4arch9wavefront6targetE0EEEvSY_.has_recursion, 0
	.set _ZN7rocprim17ROCPRIM_400000_NS6detail17trampoline_kernelINS0_13select_configILj256ELj13ELNS0_17block_load_methodE3ELS4_3ELS4_3ELNS0_20block_scan_algorithmE0ELj4294967295EEENS1_25partition_config_selectorILNS1_17partition_subalgoE3EjNS0_10empty_typeEbEEZZNS1_14partition_implILS8_3ELb0ES6_jNS0_17counting_iteratorIjlEEPS9_SE_NS0_5tupleIJPjSE_EEENSF_IJSE_SE_EEES9_SG_JZNS1_25segmented_radix_sort_implINS0_14default_configELb0EPKfPfPKlPlN2at6native12_GLOBAL__N_18offset_tEEE10hipError_tPvRmT1_PNSt15iterator_traitsISY_E10value_typeET2_T3_PNSZ_IS14_E10value_typeET4_jRbjT5_S1A_jjP12ihipStream_tbEUljE_EEESV_SW_SX_S14_S18_S1A_T6_T7_T9_mT8_S1C_bDpT10_ENKUlT_T0_E_clISt17integral_constantIbLb0EES1P_EEDaS1K_S1L_EUlS1K_E_NS1_11comp_targetILNS1_3genE8ELNS1_11target_archE1030ELNS1_3gpuE2ELNS1_3repE0EEENS1_30default_config_static_selectorELNS0_4arch9wavefront6targetE0EEEvSY_.has_indirect_call, 0
	.section	.AMDGPU.csdata,"",@progbits
; Kernel info:
; codeLenInByte = 8564
; TotalNumSgprs: 29
; NumVgprs: 69
; ScratchSize: 0
; MemoryBound: 0
; FloatMode: 240
; IeeeMode: 1
; LDSByteSize: 13320 bytes/workgroup (compile time only)
; SGPRBlocks: 0
; VGPRBlocks: 8
; NumSGPRsForWavesPerEU: 29
; NumVGPRsForWavesPerEU: 69
; Occupancy: 12
; WaveLimiterHint : 0
; COMPUTE_PGM_RSRC2:SCRATCH_EN: 0
; COMPUTE_PGM_RSRC2:USER_SGPR: 6
; COMPUTE_PGM_RSRC2:TRAP_HANDLER: 0
; COMPUTE_PGM_RSRC2:TGID_X_EN: 1
; COMPUTE_PGM_RSRC2:TGID_Y_EN: 0
; COMPUTE_PGM_RSRC2:TGID_Z_EN: 0
; COMPUTE_PGM_RSRC2:TIDIG_COMP_CNT: 0
	.section	.text._ZN7rocprim17ROCPRIM_400000_NS6detail17trampoline_kernelINS0_13select_configILj256ELj13ELNS0_17block_load_methodE3ELS4_3ELS4_3ELNS0_20block_scan_algorithmE0ELj4294967295EEENS1_25partition_config_selectorILNS1_17partition_subalgoE3EjNS0_10empty_typeEbEEZZNS1_14partition_implILS8_3ELb0ES6_jNS0_17counting_iteratorIjlEEPS9_SE_NS0_5tupleIJPjSE_EEENSF_IJSE_SE_EEES9_SG_JZNS1_25segmented_radix_sort_implINS0_14default_configELb0EPKfPfPKlPlN2at6native12_GLOBAL__N_18offset_tEEE10hipError_tPvRmT1_PNSt15iterator_traitsISY_E10value_typeET2_T3_PNSZ_IS14_E10value_typeET4_jRbjT5_S1A_jjP12ihipStream_tbEUljE_EEESV_SW_SX_S14_S18_S1A_T6_T7_T9_mT8_S1C_bDpT10_ENKUlT_T0_E_clISt17integral_constantIbLb1EES1P_EEDaS1K_S1L_EUlS1K_E_NS1_11comp_targetILNS1_3genE0ELNS1_11target_archE4294967295ELNS1_3gpuE0ELNS1_3repE0EEENS1_30default_config_static_selectorELNS0_4arch9wavefront6targetE0EEEvSY_,"axG",@progbits,_ZN7rocprim17ROCPRIM_400000_NS6detail17trampoline_kernelINS0_13select_configILj256ELj13ELNS0_17block_load_methodE3ELS4_3ELS4_3ELNS0_20block_scan_algorithmE0ELj4294967295EEENS1_25partition_config_selectorILNS1_17partition_subalgoE3EjNS0_10empty_typeEbEEZZNS1_14partition_implILS8_3ELb0ES6_jNS0_17counting_iteratorIjlEEPS9_SE_NS0_5tupleIJPjSE_EEENSF_IJSE_SE_EEES9_SG_JZNS1_25segmented_radix_sort_implINS0_14default_configELb0EPKfPfPKlPlN2at6native12_GLOBAL__N_18offset_tEEE10hipError_tPvRmT1_PNSt15iterator_traitsISY_E10value_typeET2_T3_PNSZ_IS14_E10value_typeET4_jRbjT5_S1A_jjP12ihipStream_tbEUljE_EEESV_SW_SX_S14_S18_S1A_T6_T7_T9_mT8_S1C_bDpT10_ENKUlT_T0_E_clISt17integral_constantIbLb1EES1P_EEDaS1K_S1L_EUlS1K_E_NS1_11comp_targetILNS1_3genE0ELNS1_11target_archE4294967295ELNS1_3gpuE0ELNS1_3repE0EEENS1_30default_config_static_selectorELNS0_4arch9wavefront6targetE0EEEvSY_,comdat
	.globl	_ZN7rocprim17ROCPRIM_400000_NS6detail17trampoline_kernelINS0_13select_configILj256ELj13ELNS0_17block_load_methodE3ELS4_3ELS4_3ELNS0_20block_scan_algorithmE0ELj4294967295EEENS1_25partition_config_selectorILNS1_17partition_subalgoE3EjNS0_10empty_typeEbEEZZNS1_14partition_implILS8_3ELb0ES6_jNS0_17counting_iteratorIjlEEPS9_SE_NS0_5tupleIJPjSE_EEENSF_IJSE_SE_EEES9_SG_JZNS1_25segmented_radix_sort_implINS0_14default_configELb0EPKfPfPKlPlN2at6native12_GLOBAL__N_18offset_tEEE10hipError_tPvRmT1_PNSt15iterator_traitsISY_E10value_typeET2_T3_PNSZ_IS14_E10value_typeET4_jRbjT5_S1A_jjP12ihipStream_tbEUljE_EEESV_SW_SX_S14_S18_S1A_T6_T7_T9_mT8_S1C_bDpT10_ENKUlT_T0_E_clISt17integral_constantIbLb1EES1P_EEDaS1K_S1L_EUlS1K_E_NS1_11comp_targetILNS1_3genE0ELNS1_11target_archE4294967295ELNS1_3gpuE0ELNS1_3repE0EEENS1_30default_config_static_selectorELNS0_4arch9wavefront6targetE0EEEvSY_ ; -- Begin function _ZN7rocprim17ROCPRIM_400000_NS6detail17trampoline_kernelINS0_13select_configILj256ELj13ELNS0_17block_load_methodE3ELS4_3ELS4_3ELNS0_20block_scan_algorithmE0ELj4294967295EEENS1_25partition_config_selectorILNS1_17partition_subalgoE3EjNS0_10empty_typeEbEEZZNS1_14partition_implILS8_3ELb0ES6_jNS0_17counting_iteratorIjlEEPS9_SE_NS0_5tupleIJPjSE_EEENSF_IJSE_SE_EEES9_SG_JZNS1_25segmented_radix_sort_implINS0_14default_configELb0EPKfPfPKlPlN2at6native12_GLOBAL__N_18offset_tEEE10hipError_tPvRmT1_PNSt15iterator_traitsISY_E10value_typeET2_T3_PNSZ_IS14_E10value_typeET4_jRbjT5_S1A_jjP12ihipStream_tbEUljE_EEESV_SW_SX_S14_S18_S1A_T6_T7_T9_mT8_S1C_bDpT10_ENKUlT_T0_E_clISt17integral_constantIbLb1EES1P_EEDaS1K_S1L_EUlS1K_E_NS1_11comp_targetILNS1_3genE0ELNS1_11target_archE4294967295ELNS1_3gpuE0ELNS1_3repE0EEENS1_30default_config_static_selectorELNS0_4arch9wavefront6targetE0EEEvSY_
	.p2align	8
	.type	_ZN7rocprim17ROCPRIM_400000_NS6detail17trampoline_kernelINS0_13select_configILj256ELj13ELNS0_17block_load_methodE3ELS4_3ELS4_3ELNS0_20block_scan_algorithmE0ELj4294967295EEENS1_25partition_config_selectorILNS1_17partition_subalgoE3EjNS0_10empty_typeEbEEZZNS1_14partition_implILS8_3ELb0ES6_jNS0_17counting_iteratorIjlEEPS9_SE_NS0_5tupleIJPjSE_EEENSF_IJSE_SE_EEES9_SG_JZNS1_25segmented_radix_sort_implINS0_14default_configELb0EPKfPfPKlPlN2at6native12_GLOBAL__N_18offset_tEEE10hipError_tPvRmT1_PNSt15iterator_traitsISY_E10value_typeET2_T3_PNSZ_IS14_E10value_typeET4_jRbjT5_S1A_jjP12ihipStream_tbEUljE_EEESV_SW_SX_S14_S18_S1A_T6_T7_T9_mT8_S1C_bDpT10_ENKUlT_T0_E_clISt17integral_constantIbLb1EES1P_EEDaS1K_S1L_EUlS1K_E_NS1_11comp_targetILNS1_3genE0ELNS1_11target_archE4294967295ELNS1_3gpuE0ELNS1_3repE0EEENS1_30default_config_static_selectorELNS0_4arch9wavefront6targetE0EEEvSY_,@function
_ZN7rocprim17ROCPRIM_400000_NS6detail17trampoline_kernelINS0_13select_configILj256ELj13ELNS0_17block_load_methodE3ELS4_3ELS4_3ELNS0_20block_scan_algorithmE0ELj4294967295EEENS1_25partition_config_selectorILNS1_17partition_subalgoE3EjNS0_10empty_typeEbEEZZNS1_14partition_implILS8_3ELb0ES6_jNS0_17counting_iteratorIjlEEPS9_SE_NS0_5tupleIJPjSE_EEENSF_IJSE_SE_EEES9_SG_JZNS1_25segmented_radix_sort_implINS0_14default_configELb0EPKfPfPKlPlN2at6native12_GLOBAL__N_18offset_tEEE10hipError_tPvRmT1_PNSt15iterator_traitsISY_E10value_typeET2_T3_PNSZ_IS14_E10value_typeET4_jRbjT5_S1A_jjP12ihipStream_tbEUljE_EEESV_SW_SX_S14_S18_S1A_T6_T7_T9_mT8_S1C_bDpT10_ENKUlT_T0_E_clISt17integral_constantIbLb1EES1P_EEDaS1K_S1L_EUlS1K_E_NS1_11comp_targetILNS1_3genE0ELNS1_11target_archE4294967295ELNS1_3gpuE0ELNS1_3repE0EEENS1_30default_config_static_selectorELNS0_4arch9wavefront6targetE0EEEvSY_: ; @_ZN7rocprim17ROCPRIM_400000_NS6detail17trampoline_kernelINS0_13select_configILj256ELj13ELNS0_17block_load_methodE3ELS4_3ELS4_3ELNS0_20block_scan_algorithmE0ELj4294967295EEENS1_25partition_config_selectorILNS1_17partition_subalgoE3EjNS0_10empty_typeEbEEZZNS1_14partition_implILS8_3ELb0ES6_jNS0_17counting_iteratorIjlEEPS9_SE_NS0_5tupleIJPjSE_EEENSF_IJSE_SE_EEES9_SG_JZNS1_25segmented_radix_sort_implINS0_14default_configELb0EPKfPfPKlPlN2at6native12_GLOBAL__N_18offset_tEEE10hipError_tPvRmT1_PNSt15iterator_traitsISY_E10value_typeET2_T3_PNSZ_IS14_E10value_typeET4_jRbjT5_S1A_jjP12ihipStream_tbEUljE_EEESV_SW_SX_S14_S18_S1A_T6_T7_T9_mT8_S1C_bDpT10_ENKUlT_T0_E_clISt17integral_constantIbLb1EES1P_EEDaS1K_S1L_EUlS1K_E_NS1_11comp_targetILNS1_3genE0ELNS1_11target_archE4294967295ELNS1_3gpuE0ELNS1_3repE0EEENS1_30default_config_static_selectorELNS0_4arch9wavefront6targetE0EEEvSY_
; %bb.0:
	.section	.rodata,"a",@progbits
	.p2align	6, 0x0
	.amdhsa_kernel _ZN7rocprim17ROCPRIM_400000_NS6detail17trampoline_kernelINS0_13select_configILj256ELj13ELNS0_17block_load_methodE3ELS4_3ELS4_3ELNS0_20block_scan_algorithmE0ELj4294967295EEENS1_25partition_config_selectorILNS1_17partition_subalgoE3EjNS0_10empty_typeEbEEZZNS1_14partition_implILS8_3ELb0ES6_jNS0_17counting_iteratorIjlEEPS9_SE_NS0_5tupleIJPjSE_EEENSF_IJSE_SE_EEES9_SG_JZNS1_25segmented_radix_sort_implINS0_14default_configELb0EPKfPfPKlPlN2at6native12_GLOBAL__N_18offset_tEEE10hipError_tPvRmT1_PNSt15iterator_traitsISY_E10value_typeET2_T3_PNSZ_IS14_E10value_typeET4_jRbjT5_S1A_jjP12ihipStream_tbEUljE_EEESV_SW_SX_S14_S18_S1A_T6_T7_T9_mT8_S1C_bDpT10_ENKUlT_T0_E_clISt17integral_constantIbLb1EES1P_EEDaS1K_S1L_EUlS1K_E_NS1_11comp_targetILNS1_3genE0ELNS1_11target_archE4294967295ELNS1_3gpuE0ELNS1_3repE0EEENS1_30default_config_static_selectorELNS0_4arch9wavefront6targetE0EEEvSY_
		.amdhsa_group_segment_fixed_size 0
		.amdhsa_private_segment_fixed_size 0
		.amdhsa_kernarg_size 152
		.amdhsa_user_sgpr_count 6
		.amdhsa_user_sgpr_private_segment_buffer 1
		.amdhsa_user_sgpr_dispatch_ptr 0
		.amdhsa_user_sgpr_queue_ptr 0
		.amdhsa_user_sgpr_kernarg_segment_ptr 1
		.amdhsa_user_sgpr_dispatch_id 0
		.amdhsa_user_sgpr_flat_scratch_init 0
		.amdhsa_user_sgpr_private_segment_size 0
		.amdhsa_wavefront_size32 1
		.amdhsa_uses_dynamic_stack 0
		.amdhsa_system_sgpr_private_segment_wavefront_offset 0
		.amdhsa_system_sgpr_workgroup_id_x 1
		.amdhsa_system_sgpr_workgroup_id_y 0
		.amdhsa_system_sgpr_workgroup_id_z 0
		.amdhsa_system_sgpr_workgroup_info 0
		.amdhsa_system_vgpr_workitem_id 0
		.amdhsa_next_free_vgpr 1
		.amdhsa_next_free_sgpr 1
		.amdhsa_reserve_vcc 0
		.amdhsa_reserve_flat_scratch 0
		.amdhsa_float_round_mode_32 0
		.amdhsa_float_round_mode_16_64 0
		.amdhsa_float_denorm_mode_32 3
		.amdhsa_float_denorm_mode_16_64 3
		.amdhsa_dx10_clamp 1
		.amdhsa_ieee_mode 1
		.amdhsa_fp16_overflow 0
		.amdhsa_workgroup_processor_mode 1
		.amdhsa_memory_ordered 1
		.amdhsa_forward_progress 1
		.amdhsa_shared_vgpr_count 0
		.amdhsa_exception_fp_ieee_invalid_op 0
		.amdhsa_exception_fp_denorm_src 0
		.amdhsa_exception_fp_ieee_div_zero 0
		.amdhsa_exception_fp_ieee_overflow 0
		.amdhsa_exception_fp_ieee_underflow 0
		.amdhsa_exception_fp_ieee_inexact 0
		.amdhsa_exception_int_div_zero 0
	.end_amdhsa_kernel
	.section	.text._ZN7rocprim17ROCPRIM_400000_NS6detail17trampoline_kernelINS0_13select_configILj256ELj13ELNS0_17block_load_methodE3ELS4_3ELS4_3ELNS0_20block_scan_algorithmE0ELj4294967295EEENS1_25partition_config_selectorILNS1_17partition_subalgoE3EjNS0_10empty_typeEbEEZZNS1_14partition_implILS8_3ELb0ES6_jNS0_17counting_iteratorIjlEEPS9_SE_NS0_5tupleIJPjSE_EEENSF_IJSE_SE_EEES9_SG_JZNS1_25segmented_radix_sort_implINS0_14default_configELb0EPKfPfPKlPlN2at6native12_GLOBAL__N_18offset_tEEE10hipError_tPvRmT1_PNSt15iterator_traitsISY_E10value_typeET2_T3_PNSZ_IS14_E10value_typeET4_jRbjT5_S1A_jjP12ihipStream_tbEUljE_EEESV_SW_SX_S14_S18_S1A_T6_T7_T9_mT8_S1C_bDpT10_ENKUlT_T0_E_clISt17integral_constantIbLb1EES1P_EEDaS1K_S1L_EUlS1K_E_NS1_11comp_targetILNS1_3genE0ELNS1_11target_archE4294967295ELNS1_3gpuE0ELNS1_3repE0EEENS1_30default_config_static_selectorELNS0_4arch9wavefront6targetE0EEEvSY_,"axG",@progbits,_ZN7rocprim17ROCPRIM_400000_NS6detail17trampoline_kernelINS0_13select_configILj256ELj13ELNS0_17block_load_methodE3ELS4_3ELS4_3ELNS0_20block_scan_algorithmE0ELj4294967295EEENS1_25partition_config_selectorILNS1_17partition_subalgoE3EjNS0_10empty_typeEbEEZZNS1_14partition_implILS8_3ELb0ES6_jNS0_17counting_iteratorIjlEEPS9_SE_NS0_5tupleIJPjSE_EEENSF_IJSE_SE_EEES9_SG_JZNS1_25segmented_radix_sort_implINS0_14default_configELb0EPKfPfPKlPlN2at6native12_GLOBAL__N_18offset_tEEE10hipError_tPvRmT1_PNSt15iterator_traitsISY_E10value_typeET2_T3_PNSZ_IS14_E10value_typeET4_jRbjT5_S1A_jjP12ihipStream_tbEUljE_EEESV_SW_SX_S14_S18_S1A_T6_T7_T9_mT8_S1C_bDpT10_ENKUlT_T0_E_clISt17integral_constantIbLb1EES1P_EEDaS1K_S1L_EUlS1K_E_NS1_11comp_targetILNS1_3genE0ELNS1_11target_archE4294967295ELNS1_3gpuE0ELNS1_3repE0EEENS1_30default_config_static_selectorELNS0_4arch9wavefront6targetE0EEEvSY_,comdat
.Lfunc_end1396:
	.size	_ZN7rocprim17ROCPRIM_400000_NS6detail17trampoline_kernelINS0_13select_configILj256ELj13ELNS0_17block_load_methodE3ELS4_3ELS4_3ELNS0_20block_scan_algorithmE0ELj4294967295EEENS1_25partition_config_selectorILNS1_17partition_subalgoE3EjNS0_10empty_typeEbEEZZNS1_14partition_implILS8_3ELb0ES6_jNS0_17counting_iteratorIjlEEPS9_SE_NS0_5tupleIJPjSE_EEENSF_IJSE_SE_EEES9_SG_JZNS1_25segmented_radix_sort_implINS0_14default_configELb0EPKfPfPKlPlN2at6native12_GLOBAL__N_18offset_tEEE10hipError_tPvRmT1_PNSt15iterator_traitsISY_E10value_typeET2_T3_PNSZ_IS14_E10value_typeET4_jRbjT5_S1A_jjP12ihipStream_tbEUljE_EEESV_SW_SX_S14_S18_S1A_T6_T7_T9_mT8_S1C_bDpT10_ENKUlT_T0_E_clISt17integral_constantIbLb1EES1P_EEDaS1K_S1L_EUlS1K_E_NS1_11comp_targetILNS1_3genE0ELNS1_11target_archE4294967295ELNS1_3gpuE0ELNS1_3repE0EEENS1_30default_config_static_selectorELNS0_4arch9wavefront6targetE0EEEvSY_, .Lfunc_end1396-_ZN7rocprim17ROCPRIM_400000_NS6detail17trampoline_kernelINS0_13select_configILj256ELj13ELNS0_17block_load_methodE3ELS4_3ELS4_3ELNS0_20block_scan_algorithmE0ELj4294967295EEENS1_25partition_config_selectorILNS1_17partition_subalgoE3EjNS0_10empty_typeEbEEZZNS1_14partition_implILS8_3ELb0ES6_jNS0_17counting_iteratorIjlEEPS9_SE_NS0_5tupleIJPjSE_EEENSF_IJSE_SE_EEES9_SG_JZNS1_25segmented_radix_sort_implINS0_14default_configELb0EPKfPfPKlPlN2at6native12_GLOBAL__N_18offset_tEEE10hipError_tPvRmT1_PNSt15iterator_traitsISY_E10value_typeET2_T3_PNSZ_IS14_E10value_typeET4_jRbjT5_S1A_jjP12ihipStream_tbEUljE_EEESV_SW_SX_S14_S18_S1A_T6_T7_T9_mT8_S1C_bDpT10_ENKUlT_T0_E_clISt17integral_constantIbLb1EES1P_EEDaS1K_S1L_EUlS1K_E_NS1_11comp_targetILNS1_3genE0ELNS1_11target_archE4294967295ELNS1_3gpuE0ELNS1_3repE0EEENS1_30default_config_static_selectorELNS0_4arch9wavefront6targetE0EEEvSY_
                                        ; -- End function
	.set _ZN7rocprim17ROCPRIM_400000_NS6detail17trampoline_kernelINS0_13select_configILj256ELj13ELNS0_17block_load_methodE3ELS4_3ELS4_3ELNS0_20block_scan_algorithmE0ELj4294967295EEENS1_25partition_config_selectorILNS1_17partition_subalgoE3EjNS0_10empty_typeEbEEZZNS1_14partition_implILS8_3ELb0ES6_jNS0_17counting_iteratorIjlEEPS9_SE_NS0_5tupleIJPjSE_EEENSF_IJSE_SE_EEES9_SG_JZNS1_25segmented_radix_sort_implINS0_14default_configELb0EPKfPfPKlPlN2at6native12_GLOBAL__N_18offset_tEEE10hipError_tPvRmT1_PNSt15iterator_traitsISY_E10value_typeET2_T3_PNSZ_IS14_E10value_typeET4_jRbjT5_S1A_jjP12ihipStream_tbEUljE_EEESV_SW_SX_S14_S18_S1A_T6_T7_T9_mT8_S1C_bDpT10_ENKUlT_T0_E_clISt17integral_constantIbLb1EES1P_EEDaS1K_S1L_EUlS1K_E_NS1_11comp_targetILNS1_3genE0ELNS1_11target_archE4294967295ELNS1_3gpuE0ELNS1_3repE0EEENS1_30default_config_static_selectorELNS0_4arch9wavefront6targetE0EEEvSY_.num_vgpr, 0
	.set _ZN7rocprim17ROCPRIM_400000_NS6detail17trampoline_kernelINS0_13select_configILj256ELj13ELNS0_17block_load_methodE3ELS4_3ELS4_3ELNS0_20block_scan_algorithmE0ELj4294967295EEENS1_25partition_config_selectorILNS1_17partition_subalgoE3EjNS0_10empty_typeEbEEZZNS1_14partition_implILS8_3ELb0ES6_jNS0_17counting_iteratorIjlEEPS9_SE_NS0_5tupleIJPjSE_EEENSF_IJSE_SE_EEES9_SG_JZNS1_25segmented_radix_sort_implINS0_14default_configELb0EPKfPfPKlPlN2at6native12_GLOBAL__N_18offset_tEEE10hipError_tPvRmT1_PNSt15iterator_traitsISY_E10value_typeET2_T3_PNSZ_IS14_E10value_typeET4_jRbjT5_S1A_jjP12ihipStream_tbEUljE_EEESV_SW_SX_S14_S18_S1A_T6_T7_T9_mT8_S1C_bDpT10_ENKUlT_T0_E_clISt17integral_constantIbLb1EES1P_EEDaS1K_S1L_EUlS1K_E_NS1_11comp_targetILNS1_3genE0ELNS1_11target_archE4294967295ELNS1_3gpuE0ELNS1_3repE0EEENS1_30default_config_static_selectorELNS0_4arch9wavefront6targetE0EEEvSY_.num_agpr, 0
	.set _ZN7rocprim17ROCPRIM_400000_NS6detail17trampoline_kernelINS0_13select_configILj256ELj13ELNS0_17block_load_methodE3ELS4_3ELS4_3ELNS0_20block_scan_algorithmE0ELj4294967295EEENS1_25partition_config_selectorILNS1_17partition_subalgoE3EjNS0_10empty_typeEbEEZZNS1_14partition_implILS8_3ELb0ES6_jNS0_17counting_iteratorIjlEEPS9_SE_NS0_5tupleIJPjSE_EEENSF_IJSE_SE_EEES9_SG_JZNS1_25segmented_radix_sort_implINS0_14default_configELb0EPKfPfPKlPlN2at6native12_GLOBAL__N_18offset_tEEE10hipError_tPvRmT1_PNSt15iterator_traitsISY_E10value_typeET2_T3_PNSZ_IS14_E10value_typeET4_jRbjT5_S1A_jjP12ihipStream_tbEUljE_EEESV_SW_SX_S14_S18_S1A_T6_T7_T9_mT8_S1C_bDpT10_ENKUlT_T0_E_clISt17integral_constantIbLb1EES1P_EEDaS1K_S1L_EUlS1K_E_NS1_11comp_targetILNS1_3genE0ELNS1_11target_archE4294967295ELNS1_3gpuE0ELNS1_3repE0EEENS1_30default_config_static_selectorELNS0_4arch9wavefront6targetE0EEEvSY_.numbered_sgpr, 0
	.set _ZN7rocprim17ROCPRIM_400000_NS6detail17trampoline_kernelINS0_13select_configILj256ELj13ELNS0_17block_load_methodE3ELS4_3ELS4_3ELNS0_20block_scan_algorithmE0ELj4294967295EEENS1_25partition_config_selectorILNS1_17partition_subalgoE3EjNS0_10empty_typeEbEEZZNS1_14partition_implILS8_3ELb0ES6_jNS0_17counting_iteratorIjlEEPS9_SE_NS0_5tupleIJPjSE_EEENSF_IJSE_SE_EEES9_SG_JZNS1_25segmented_radix_sort_implINS0_14default_configELb0EPKfPfPKlPlN2at6native12_GLOBAL__N_18offset_tEEE10hipError_tPvRmT1_PNSt15iterator_traitsISY_E10value_typeET2_T3_PNSZ_IS14_E10value_typeET4_jRbjT5_S1A_jjP12ihipStream_tbEUljE_EEESV_SW_SX_S14_S18_S1A_T6_T7_T9_mT8_S1C_bDpT10_ENKUlT_T0_E_clISt17integral_constantIbLb1EES1P_EEDaS1K_S1L_EUlS1K_E_NS1_11comp_targetILNS1_3genE0ELNS1_11target_archE4294967295ELNS1_3gpuE0ELNS1_3repE0EEENS1_30default_config_static_selectorELNS0_4arch9wavefront6targetE0EEEvSY_.num_named_barrier, 0
	.set _ZN7rocprim17ROCPRIM_400000_NS6detail17trampoline_kernelINS0_13select_configILj256ELj13ELNS0_17block_load_methodE3ELS4_3ELS4_3ELNS0_20block_scan_algorithmE0ELj4294967295EEENS1_25partition_config_selectorILNS1_17partition_subalgoE3EjNS0_10empty_typeEbEEZZNS1_14partition_implILS8_3ELb0ES6_jNS0_17counting_iteratorIjlEEPS9_SE_NS0_5tupleIJPjSE_EEENSF_IJSE_SE_EEES9_SG_JZNS1_25segmented_radix_sort_implINS0_14default_configELb0EPKfPfPKlPlN2at6native12_GLOBAL__N_18offset_tEEE10hipError_tPvRmT1_PNSt15iterator_traitsISY_E10value_typeET2_T3_PNSZ_IS14_E10value_typeET4_jRbjT5_S1A_jjP12ihipStream_tbEUljE_EEESV_SW_SX_S14_S18_S1A_T6_T7_T9_mT8_S1C_bDpT10_ENKUlT_T0_E_clISt17integral_constantIbLb1EES1P_EEDaS1K_S1L_EUlS1K_E_NS1_11comp_targetILNS1_3genE0ELNS1_11target_archE4294967295ELNS1_3gpuE0ELNS1_3repE0EEENS1_30default_config_static_selectorELNS0_4arch9wavefront6targetE0EEEvSY_.private_seg_size, 0
	.set _ZN7rocprim17ROCPRIM_400000_NS6detail17trampoline_kernelINS0_13select_configILj256ELj13ELNS0_17block_load_methodE3ELS4_3ELS4_3ELNS0_20block_scan_algorithmE0ELj4294967295EEENS1_25partition_config_selectorILNS1_17partition_subalgoE3EjNS0_10empty_typeEbEEZZNS1_14partition_implILS8_3ELb0ES6_jNS0_17counting_iteratorIjlEEPS9_SE_NS0_5tupleIJPjSE_EEENSF_IJSE_SE_EEES9_SG_JZNS1_25segmented_radix_sort_implINS0_14default_configELb0EPKfPfPKlPlN2at6native12_GLOBAL__N_18offset_tEEE10hipError_tPvRmT1_PNSt15iterator_traitsISY_E10value_typeET2_T3_PNSZ_IS14_E10value_typeET4_jRbjT5_S1A_jjP12ihipStream_tbEUljE_EEESV_SW_SX_S14_S18_S1A_T6_T7_T9_mT8_S1C_bDpT10_ENKUlT_T0_E_clISt17integral_constantIbLb1EES1P_EEDaS1K_S1L_EUlS1K_E_NS1_11comp_targetILNS1_3genE0ELNS1_11target_archE4294967295ELNS1_3gpuE0ELNS1_3repE0EEENS1_30default_config_static_selectorELNS0_4arch9wavefront6targetE0EEEvSY_.uses_vcc, 0
	.set _ZN7rocprim17ROCPRIM_400000_NS6detail17trampoline_kernelINS0_13select_configILj256ELj13ELNS0_17block_load_methodE3ELS4_3ELS4_3ELNS0_20block_scan_algorithmE0ELj4294967295EEENS1_25partition_config_selectorILNS1_17partition_subalgoE3EjNS0_10empty_typeEbEEZZNS1_14partition_implILS8_3ELb0ES6_jNS0_17counting_iteratorIjlEEPS9_SE_NS0_5tupleIJPjSE_EEENSF_IJSE_SE_EEES9_SG_JZNS1_25segmented_radix_sort_implINS0_14default_configELb0EPKfPfPKlPlN2at6native12_GLOBAL__N_18offset_tEEE10hipError_tPvRmT1_PNSt15iterator_traitsISY_E10value_typeET2_T3_PNSZ_IS14_E10value_typeET4_jRbjT5_S1A_jjP12ihipStream_tbEUljE_EEESV_SW_SX_S14_S18_S1A_T6_T7_T9_mT8_S1C_bDpT10_ENKUlT_T0_E_clISt17integral_constantIbLb1EES1P_EEDaS1K_S1L_EUlS1K_E_NS1_11comp_targetILNS1_3genE0ELNS1_11target_archE4294967295ELNS1_3gpuE0ELNS1_3repE0EEENS1_30default_config_static_selectorELNS0_4arch9wavefront6targetE0EEEvSY_.uses_flat_scratch, 0
	.set _ZN7rocprim17ROCPRIM_400000_NS6detail17trampoline_kernelINS0_13select_configILj256ELj13ELNS0_17block_load_methodE3ELS4_3ELS4_3ELNS0_20block_scan_algorithmE0ELj4294967295EEENS1_25partition_config_selectorILNS1_17partition_subalgoE3EjNS0_10empty_typeEbEEZZNS1_14partition_implILS8_3ELb0ES6_jNS0_17counting_iteratorIjlEEPS9_SE_NS0_5tupleIJPjSE_EEENSF_IJSE_SE_EEES9_SG_JZNS1_25segmented_radix_sort_implINS0_14default_configELb0EPKfPfPKlPlN2at6native12_GLOBAL__N_18offset_tEEE10hipError_tPvRmT1_PNSt15iterator_traitsISY_E10value_typeET2_T3_PNSZ_IS14_E10value_typeET4_jRbjT5_S1A_jjP12ihipStream_tbEUljE_EEESV_SW_SX_S14_S18_S1A_T6_T7_T9_mT8_S1C_bDpT10_ENKUlT_T0_E_clISt17integral_constantIbLb1EES1P_EEDaS1K_S1L_EUlS1K_E_NS1_11comp_targetILNS1_3genE0ELNS1_11target_archE4294967295ELNS1_3gpuE0ELNS1_3repE0EEENS1_30default_config_static_selectorELNS0_4arch9wavefront6targetE0EEEvSY_.has_dyn_sized_stack, 0
	.set _ZN7rocprim17ROCPRIM_400000_NS6detail17trampoline_kernelINS0_13select_configILj256ELj13ELNS0_17block_load_methodE3ELS4_3ELS4_3ELNS0_20block_scan_algorithmE0ELj4294967295EEENS1_25partition_config_selectorILNS1_17partition_subalgoE3EjNS0_10empty_typeEbEEZZNS1_14partition_implILS8_3ELb0ES6_jNS0_17counting_iteratorIjlEEPS9_SE_NS0_5tupleIJPjSE_EEENSF_IJSE_SE_EEES9_SG_JZNS1_25segmented_radix_sort_implINS0_14default_configELb0EPKfPfPKlPlN2at6native12_GLOBAL__N_18offset_tEEE10hipError_tPvRmT1_PNSt15iterator_traitsISY_E10value_typeET2_T3_PNSZ_IS14_E10value_typeET4_jRbjT5_S1A_jjP12ihipStream_tbEUljE_EEESV_SW_SX_S14_S18_S1A_T6_T7_T9_mT8_S1C_bDpT10_ENKUlT_T0_E_clISt17integral_constantIbLb1EES1P_EEDaS1K_S1L_EUlS1K_E_NS1_11comp_targetILNS1_3genE0ELNS1_11target_archE4294967295ELNS1_3gpuE0ELNS1_3repE0EEENS1_30default_config_static_selectorELNS0_4arch9wavefront6targetE0EEEvSY_.has_recursion, 0
	.set _ZN7rocprim17ROCPRIM_400000_NS6detail17trampoline_kernelINS0_13select_configILj256ELj13ELNS0_17block_load_methodE3ELS4_3ELS4_3ELNS0_20block_scan_algorithmE0ELj4294967295EEENS1_25partition_config_selectorILNS1_17partition_subalgoE3EjNS0_10empty_typeEbEEZZNS1_14partition_implILS8_3ELb0ES6_jNS0_17counting_iteratorIjlEEPS9_SE_NS0_5tupleIJPjSE_EEENSF_IJSE_SE_EEES9_SG_JZNS1_25segmented_radix_sort_implINS0_14default_configELb0EPKfPfPKlPlN2at6native12_GLOBAL__N_18offset_tEEE10hipError_tPvRmT1_PNSt15iterator_traitsISY_E10value_typeET2_T3_PNSZ_IS14_E10value_typeET4_jRbjT5_S1A_jjP12ihipStream_tbEUljE_EEESV_SW_SX_S14_S18_S1A_T6_T7_T9_mT8_S1C_bDpT10_ENKUlT_T0_E_clISt17integral_constantIbLb1EES1P_EEDaS1K_S1L_EUlS1K_E_NS1_11comp_targetILNS1_3genE0ELNS1_11target_archE4294967295ELNS1_3gpuE0ELNS1_3repE0EEENS1_30default_config_static_selectorELNS0_4arch9wavefront6targetE0EEEvSY_.has_indirect_call, 0
	.section	.AMDGPU.csdata,"",@progbits
; Kernel info:
; codeLenInByte = 0
; TotalNumSgprs: 0
; NumVgprs: 0
; ScratchSize: 0
; MemoryBound: 0
; FloatMode: 240
; IeeeMode: 1
; LDSByteSize: 0 bytes/workgroup (compile time only)
; SGPRBlocks: 0
; VGPRBlocks: 0
; NumSGPRsForWavesPerEU: 1
; NumVGPRsForWavesPerEU: 1
; Occupancy: 16
; WaveLimiterHint : 0
; COMPUTE_PGM_RSRC2:SCRATCH_EN: 0
; COMPUTE_PGM_RSRC2:USER_SGPR: 6
; COMPUTE_PGM_RSRC2:TRAP_HANDLER: 0
; COMPUTE_PGM_RSRC2:TGID_X_EN: 1
; COMPUTE_PGM_RSRC2:TGID_Y_EN: 0
; COMPUTE_PGM_RSRC2:TGID_Z_EN: 0
; COMPUTE_PGM_RSRC2:TIDIG_COMP_CNT: 0
	.section	.text._ZN7rocprim17ROCPRIM_400000_NS6detail17trampoline_kernelINS0_13select_configILj256ELj13ELNS0_17block_load_methodE3ELS4_3ELS4_3ELNS0_20block_scan_algorithmE0ELj4294967295EEENS1_25partition_config_selectorILNS1_17partition_subalgoE3EjNS0_10empty_typeEbEEZZNS1_14partition_implILS8_3ELb0ES6_jNS0_17counting_iteratorIjlEEPS9_SE_NS0_5tupleIJPjSE_EEENSF_IJSE_SE_EEES9_SG_JZNS1_25segmented_radix_sort_implINS0_14default_configELb0EPKfPfPKlPlN2at6native12_GLOBAL__N_18offset_tEEE10hipError_tPvRmT1_PNSt15iterator_traitsISY_E10value_typeET2_T3_PNSZ_IS14_E10value_typeET4_jRbjT5_S1A_jjP12ihipStream_tbEUljE_EEESV_SW_SX_S14_S18_S1A_T6_T7_T9_mT8_S1C_bDpT10_ENKUlT_T0_E_clISt17integral_constantIbLb1EES1P_EEDaS1K_S1L_EUlS1K_E_NS1_11comp_targetILNS1_3genE5ELNS1_11target_archE942ELNS1_3gpuE9ELNS1_3repE0EEENS1_30default_config_static_selectorELNS0_4arch9wavefront6targetE0EEEvSY_,"axG",@progbits,_ZN7rocprim17ROCPRIM_400000_NS6detail17trampoline_kernelINS0_13select_configILj256ELj13ELNS0_17block_load_methodE3ELS4_3ELS4_3ELNS0_20block_scan_algorithmE0ELj4294967295EEENS1_25partition_config_selectorILNS1_17partition_subalgoE3EjNS0_10empty_typeEbEEZZNS1_14partition_implILS8_3ELb0ES6_jNS0_17counting_iteratorIjlEEPS9_SE_NS0_5tupleIJPjSE_EEENSF_IJSE_SE_EEES9_SG_JZNS1_25segmented_radix_sort_implINS0_14default_configELb0EPKfPfPKlPlN2at6native12_GLOBAL__N_18offset_tEEE10hipError_tPvRmT1_PNSt15iterator_traitsISY_E10value_typeET2_T3_PNSZ_IS14_E10value_typeET4_jRbjT5_S1A_jjP12ihipStream_tbEUljE_EEESV_SW_SX_S14_S18_S1A_T6_T7_T9_mT8_S1C_bDpT10_ENKUlT_T0_E_clISt17integral_constantIbLb1EES1P_EEDaS1K_S1L_EUlS1K_E_NS1_11comp_targetILNS1_3genE5ELNS1_11target_archE942ELNS1_3gpuE9ELNS1_3repE0EEENS1_30default_config_static_selectorELNS0_4arch9wavefront6targetE0EEEvSY_,comdat
	.globl	_ZN7rocprim17ROCPRIM_400000_NS6detail17trampoline_kernelINS0_13select_configILj256ELj13ELNS0_17block_load_methodE3ELS4_3ELS4_3ELNS0_20block_scan_algorithmE0ELj4294967295EEENS1_25partition_config_selectorILNS1_17partition_subalgoE3EjNS0_10empty_typeEbEEZZNS1_14partition_implILS8_3ELb0ES6_jNS0_17counting_iteratorIjlEEPS9_SE_NS0_5tupleIJPjSE_EEENSF_IJSE_SE_EEES9_SG_JZNS1_25segmented_radix_sort_implINS0_14default_configELb0EPKfPfPKlPlN2at6native12_GLOBAL__N_18offset_tEEE10hipError_tPvRmT1_PNSt15iterator_traitsISY_E10value_typeET2_T3_PNSZ_IS14_E10value_typeET4_jRbjT5_S1A_jjP12ihipStream_tbEUljE_EEESV_SW_SX_S14_S18_S1A_T6_T7_T9_mT8_S1C_bDpT10_ENKUlT_T0_E_clISt17integral_constantIbLb1EES1P_EEDaS1K_S1L_EUlS1K_E_NS1_11comp_targetILNS1_3genE5ELNS1_11target_archE942ELNS1_3gpuE9ELNS1_3repE0EEENS1_30default_config_static_selectorELNS0_4arch9wavefront6targetE0EEEvSY_ ; -- Begin function _ZN7rocprim17ROCPRIM_400000_NS6detail17trampoline_kernelINS0_13select_configILj256ELj13ELNS0_17block_load_methodE3ELS4_3ELS4_3ELNS0_20block_scan_algorithmE0ELj4294967295EEENS1_25partition_config_selectorILNS1_17partition_subalgoE3EjNS0_10empty_typeEbEEZZNS1_14partition_implILS8_3ELb0ES6_jNS0_17counting_iteratorIjlEEPS9_SE_NS0_5tupleIJPjSE_EEENSF_IJSE_SE_EEES9_SG_JZNS1_25segmented_radix_sort_implINS0_14default_configELb0EPKfPfPKlPlN2at6native12_GLOBAL__N_18offset_tEEE10hipError_tPvRmT1_PNSt15iterator_traitsISY_E10value_typeET2_T3_PNSZ_IS14_E10value_typeET4_jRbjT5_S1A_jjP12ihipStream_tbEUljE_EEESV_SW_SX_S14_S18_S1A_T6_T7_T9_mT8_S1C_bDpT10_ENKUlT_T0_E_clISt17integral_constantIbLb1EES1P_EEDaS1K_S1L_EUlS1K_E_NS1_11comp_targetILNS1_3genE5ELNS1_11target_archE942ELNS1_3gpuE9ELNS1_3repE0EEENS1_30default_config_static_selectorELNS0_4arch9wavefront6targetE0EEEvSY_
	.p2align	8
	.type	_ZN7rocprim17ROCPRIM_400000_NS6detail17trampoline_kernelINS0_13select_configILj256ELj13ELNS0_17block_load_methodE3ELS4_3ELS4_3ELNS0_20block_scan_algorithmE0ELj4294967295EEENS1_25partition_config_selectorILNS1_17partition_subalgoE3EjNS0_10empty_typeEbEEZZNS1_14partition_implILS8_3ELb0ES6_jNS0_17counting_iteratorIjlEEPS9_SE_NS0_5tupleIJPjSE_EEENSF_IJSE_SE_EEES9_SG_JZNS1_25segmented_radix_sort_implINS0_14default_configELb0EPKfPfPKlPlN2at6native12_GLOBAL__N_18offset_tEEE10hipError_tPvRmT1_PNSt15iterator_traitsISY_E10value_typeET2_T3_PNSZ_IS14_E10value_typeET4_jRbjT5_S1A_jjP12ihipStream_tbEUljE_EEESV_SW_SX_S14_S18_S1A_T6_T7_T9_mT8_S1C_bDpT10_ENKUlT_T0_E_clISt17integral_constantIbLb1EES1P_EEDaS1K_S1L_EUlS1K_E_NS1_11comp_targetILNS1_3genE5ELNS1_11target_archE942ELNS1_3gpuE9ELNS1_3repE0EEENS1_30default_config_static_selectorELNS0_4arch9wavefront6targetE0EEEvSY_,@function
_ZN7rocprim17ROCPRIM_400000_NS6detail17trampoline_kernelINS0_13select_configILj256ELj13ELNS0_17block_load_methodE3ELS4_3ELS4_3ELNS0_20block_scan_algorithmE0ELj4294967295EEENS1_25partition_config_selectorILNS1_17partition_subalgoE3EjNS0_10empty_typeEbEEZZNS1_14partition_implILS8_3ELb0ES6_jNS0_17counting_iteratorIjlEEPS9_SE_NS0_5tupleIJPjSE_EEENSF_IJSE_SE_EEES9_SG_JZNS1_25segmented_radix_sort_implINS0_14default_configELb0EPKfPfPKlPlN2at6native12_GLOBAL__N_18offset_tEEE10hipError_tPvRmT1_PNSt15iterator_traitsISY_E10value_typeET2_T3_PNSZ_IS14_E10value_typeET4_jRbjT5_S1A_jjP12ihipStream_tbEUljE_EEESV_SW_SX_S14_S18_S1A_T6_T7_T9_mT8_S1C_bDpT10_ENKUlT_T0_E_clISt17integral_constantIbLb1EES1P_EEDaS1K_S1L_EUlS1K_E_NS1_11comp_targetILNS1_3genE5ELNS1_11target_archE942ELNS1_3gpuE9ELNS1_3repE0EEENS1_30default_config_static_selectorELNS0_4arch9wavefront6targetE0EEEvSY_: ; @_ZN7rocprim17ROCPRIM_400000_NS6detail17trampoline_kernelINS0_13select_configILj256ELj13ELNS0_17block_load_methodE3ELS4_3ELS4_3ELNS0_20block_scan_algorithmE0ELj4294967295EEENS1_25partition_config_selectorILNS1_17partition_subalgoE3EjNS0_10empty_typeEbEEZZNS1_14partition_implILS8_3ELb0ES6_jNS0_17counting_iteratorIjlEEPS9_SE_NS0_5tupleIJPjSE_EEENSF_IJSE_SE_EEES9_SG_JZNS1_25segmented_radix_sort_implINS0_14default_configELb0EPKfPfPKlPlN2at6native12_GLOBAL__N_18offset_tEEE10hipError_tPvRmT1_PNSt15iterator_traitsISY_E10value_typeET2_T3_PNSZ_IS14_E10value_typeET4_jRbjT5_S1A_jjP12ihipStream_tbEUljE_EEESV_SW_SX_S14_S18_S1A_T6_T7_T9_mT8_S1C_bDpT10_ENKUlT_T0_E_clISt17integral_constantIbLb1EES1P_EEDaS1K_S1L_EUlS1K_E_NS1_11comp_targetILNS1_3genE5ELNS1_11target_archE942ELNS1_3gpuE9ELNS1_3repE0EEENS1_30default_config_static_selectorELNS0_4arch9wavefront6targetE0EEEvSY_
; %bb.0:
	.section	.rodata,"a",@progbits
	.p2align	6, 0x0
	.amdhsa_kernel _ZN7rocprim17ROCPRIM_400000_NS6detail17trampoline_kernelINS0_13select_configILj256ELj13ELNS0_17block_load_methodE3ELS4_3ELS4_3ELNS0_20block_scan_algorithmE0ELj4294967295EEENS1_25partition_config_selectorILNS1_17partition_subalgoE3EjNS0_10empty_typeEbEEZZNS1_14partition_implILS8_3ELb0ES6_jNS0_17counting_iteratorIjlEEPS9_SE_NS0_5tupleIJPjSE_EEENSF_IJSE_SE_EEES9_SG_JZNS1_25segmented_radix_sort_implINS0_14default_configELb0EPKfPfPKlPlN2at6native12_GLOBAL__N_18offset_tEEE10hipError_tPvRmT1_PNSt15iterator_traitsISY_E10value_typeET2_T3_PNSZ_IS14_E10value_typeET4_jRbjT5_S1A_jjP12ihipStream_tbEUljE_EEESV_SW_SX_S14_S18_S1A_T6_T7_T9_mT8_S1C_bDpT10_ENKUlT_T0_E_clISt17integral_constantIbLb1EES1P_EEDaS1K_S1L_EUlS1K_E_NS1_11comp_targetILNS1_3genE5ELNS1_11target_archE942ELNS1_3gpuE9ELNS1_3repE0EEENS1_30default_config_static_selectorELNS0_4arch9wavefront6targetE0EEEvSY_
		.amdhsa_group_segment_fixed_size 0
		.amdhsa_private_segment_fixed_size 0
		.amdhsa_kernarg_size 152
		.amdhsa_user_sgpr_count 6
		.amdhsa_user_sgpr_private_segment_buffer 1
		.amdhsa_user_sgpr_dispatch_ptr 0
		.amdhsa_user_sgpr_queue_ptr 0
		.amdhsa_user_sgpr_kernarg_segment_ptr 1
		.amdhsa_user_sgpr_dispatch_id 0
		.amdhsa_user_sgpr_flat_scratch_init 0
		.amdhsa_user_sgpr_private_segment_size 0
		.amdhsa_wavefront_size32 1
		.amdhsa_uses_dynamic_stack 0
		.amdhsa_system_sgpr_private_segment_wavefront_offset 0
		.amdhsa_system_sgpr_workgroup_id_x 1
		.amdhsa_system_sgpr_workgroup_id_y 0
		.amdhsa_system_sgpr_workgroup_id_z 0
		.amdhsa_system_sgpr_workgroup_info 0
		.amdhsa_system_vgpr_workitem_id 0
		.amdhsa_next_free_vgpr 1
		.amdhsa_next_free_sgpr 1
		.amdhsa_reserve_vcc 0
		.amdhsa_reserve_flat_scratch 0
		.amdhsa_float_round_mode_32 0
		.amdhsa_float_round_mode_16_64 0
		.amdhsa_float_denorm_mode_32 3
		.amdhsa_float_denorm_mode_16_64 3
		.amdhsa_dx10_clamp 1
		.amdhsa_ieee_mode 1
		.amdhsa_fp16_overflow 0
		.amdhsa_workgroup_processor_mode 1
		.amdhsa_memory_ordered 1
		.amdhsa_forward_progress 1
		.amdhsa_shared_vgpr_count 0
		.amdhsa_exception_fp_ieee_invalid_op 0
		.amdhsa_exception_fp_denorm_src 0
		.amdhsa_exception_fp_ieee_div_zero 0
		.amdhsa_exception_fp_ieee_overflow 0
		.amdhsa_exception_fp_ieee_underflow 0
		.amdhsa_exception_fp_ieee_inexact 0
		.amdhsa_exception_int_div_zero 0
	.end_amdhsa_kernel
	.section	.text._ZN7rocprim17ROCPRIM_400000_NS6detail17trampoline_kernelINS0_13select_configILj256ELj13ELNS0_17block_load_methodE3ELS4_3ELS4_3ELNS0_20block_scan_algorithmE0ELj4294967295EEENS1_25partition_config_selectorILNS1_17partition_subalgoE3EjNS0_10empty_typeEbEEZZNS1_14partition_implILS8_3ELb0ES6_jNS0_17counting_iteratorIjlEEPS9_SE_NS0_5tupleIJPjSE_EEENSF_IJSE_SE_EEES9_SG_JZNS1_25segmented_radix_sort_implINS0_14default_configELb0EPKfPfPKlPlN2at6native12_GLOBAL__N_18offset_tEEE10hipError_tPvRmT1_PNSt15iterator_traitsISY_E10value_typeET2_T3_PNSZ_IS14_E10value_typeET4_jRbjT5_S1A_jjP12ihipStream_tbEUljE_EEESV_SW_SX_S14_S18_S1A_T6_T7_T9_mT8_S1C_bDpT10_ENKUlT_T0_E_clISt17integral_constantIbLb1EES1P_EEDaS1K_S1L_EUlS1K_E_NS1_11comp_targetILNS1_3genE5ELNS1_11target_archE942ELNS1_3gpuE9ELNS1_3repE0EEENS1_30default_config_static_selectorELNS0_4arch9wavefront6targetE0EEEvSY_,"axG",@progbits,_ZN7rocprim17ROCPRIM_400000_NS6detail17trampoline_kernelINS0_13select_configILj256ELj13ELNS0_17block_load_methodE3ELS4_3ELS4_3ELNS0_20block_scan_algorithmE0ELj4294967295EEENS1_25partition_config_selectorILNS1_17partition_subalgoE3EjNS0_10empty_typeEbEEZZNS1_14partition_implILS8_3ELb0ES6_jNS0_17counting_iteratorIjlEEPS9_SE_NS0_5tupleIJPjSE_EEENSF_IJSE_SE_EEES9_SG_JZNS1_25segmented_radix_sort_implINS0_14default_configELb0EPKfPfPKlPlN2at6native12_GLOBAL__N_18offset_tEEE10hipError_tPvRmT1_PNSt15iterator_traitsISY_E10value_typeET2_T3_PNSZ_IS14_E10value_typeET4_jRbjT5_S1A_jjP12ihipStream_tbEUljE_EEESV_SW_SX_S14_S18_S1A_T6_T7_T9_mT8_S1C_bDpT10_ENKUlT_T0_E_clISt17integral_constantIbLb1EES1P_EEDaS1K_S1L_EUlS1K_E_NS1_11comp_targetILNS1_3genE5ELNS1_11target_archE942ELNS1_3gpuE9ELNS1_3repE0EEENS1_30default_config_static_selectorELNS0_4arch9wavefront6targetE0EEEvSY_,comdat
.Lfunc_end1397:
	.size	_ZN7rocprim17ROCPRIM_400000_NS6detail17trampoline_kernelINS0_13select_configILj256ELj13ELNS0_17block_load_methodE3ELS4_3ELS4_3ELNS0_20block_scan_algorithmE0ELj4294967295EEENS1_25partition_config_selectorILNS1_17partition_subalgoE3EjNS0_10empty_typeEbEEZZNS1_14partition_implILS8_3ELb0ES6_jNS0_17counting_iteratorIjlEEPS9_SE_NS0_5tupleIJPjSE_EEENSF_IJSE_SE_EEES9_SG_JZNS1_25segmented_radix_sort_implINS0_14default_configELb0EPKfPfPKlPlN2at6native12_GLOBAL__N_18offset_tEEE10hipError_tPvRmT1_PNSt15iterator_traitsISY_E10value_typeET2_T3_PNSZ_IS14_E10value_typeET4_jRbjT5_S1A_jjP12ihipStream_tbEUljE_EEESV_SW_SX_S14_S18_S1A_T6_T7_T9_mT8_S1C_bDpT10_ENKUlT_T0_E_clISt17integral_constantIbLb1EES1P_EEDaS1K_S1L_EUlS1K_E_NS1_11comp_targetILNS1_3genE5ELNS1_11target_archE942ELNS1_3gpuE9ELNS1_3repE0EEENS1_30default_config_static_selectorELNS0_4arch9wavefront6targetE0EEEvSY_, .Lfunc_end1397-_ZN7rocprim17ROCPRIM_400000_NS6detail17trampoline_kernelINS0_13select_configILj256ELj13ELNS0_17block_load_methodE3ELS4_3ELS4_3ELNS0_20block_scan_algorithmE0ELj4294967295EEENS1_25partition_config_selectorILNS1_17partition_subalgoE3EjNS0_10empty_typeEbEEZZNS1_14partition_implILS8_3ELb0ES6_jNS0_17counting_iteratorIjlEEPS9_SE_NS0_5tupleIJPjSE_EEENSF_IJSE_SE_EEES9_SG_JZNS1_25segmented_radix_sort_implINS0_14default_configELb0EPKfPfPKlPlN2at6native12_GLOBAL__N_18offset_tEEE10hipError_tPvRmT1_PNSt15iterator_traitsISY_E10value_typeET2_T3_PNSZ_IS14_E10value_typeET4_jRbjT5_S1A_jjP12ihipStream_tbEUljE_EEESV_SW_SX_S14_S18_S1A_T6_T7_T9_mT8_S1C_bDpT10_ENKUlT_T0_E_clISt17integral_constantIbLb1EES1P_EEDaS1K_S1L_EUlS1K_E_NS1_11comp_targetILNS1_3genE5ELNS1_11target_archE942ELNS1_3gpuE9ELNS1_3repE0EEENS1_30default_config_static_selectorELNS0_4arch9wavefront6targetE0EEEvSY_
                                        ; -- End function
	.set _ZN7rocprim17ROCPRIM_400000_NS6detail17trampoline_kernelINS0_13select_configILj256ELj13ELNS0_17block_load_methodE3ELS4_3ELS4_3ELNS0_20block_scan_algorithmE0ELj4294967295EEENS1_25partition_config_selectorILNS1_17partition_subalgoE3EjNS0_10empty_typeEbEEZZNS1_14partition_implILS8_3ELb0ES6_jNS0_17counting_iteratorIjlEEPS9_SE_NS0_5tupleIJPjSE_EEENSF_IJSE_SE_EEES9_SG_JZNS1_25segmented_radix_sort_implINS0_14default_configELb0EPKfPfPKlPlN2at6native12_GLOBAL__N_18offset_tEEE10hipError_tPvRmT1_PNSt15iterator_traitsISY_E10value_typeET2_T3_PNSZ_IS14_E10value_typeET4_jRbjT5_S1A_jjP12ihipStream_tbEUljE_EEESV_SW_SX_S14_S18_S1A_T6_T7_T9_mT8_S1C_bDpT10_ENKUlT_T0_E_clISt17integral_constantIbLb1EES1P_EEDaS1K_S1L_EUlS1K_E_NS1_11comp_targetILNS1_3genE5ELNS1_11target_archE942ELNS1_3gpuE9ELNS1_3repE0EEENS1_30default_config_static_selectorELNS0_4arch9wavefront6targetE0EEEvSY_.num_vgpr, 0
	.set _ZN7rocprim17ROCPRIM_400000_NS6detail17trampoline_kernelINS0_13select_configILj256ELj13ELNS0_17block_load_methodE3ELS4_3ELS4_3ELNS0_20block_scan_algorithmE0ELj4294967295EEENS1_25partition_config_selectorILNS1_17partition_subalgoE3EjNS0_10empty_typeEbEEZZNS1_14partition_implILS8_3ELb0ES6_jNS0_17counting_iteratorIjlEEPS9_SE_NS0_5tupleIJPjSE_EEENSF_IJSE_SE_EEES9_SG_JZNS1_25segmented_radix_sort_implINS0_14default_configELb0EPKfPfPKlPlN2at6native12_GLOBAL__N_18offset_tEEE10hipError_tPvRmT1_PNSt15iterator_traitsISY_E10value_typeET2_T3_PNSZ_IS14_E10value_typeET4_jRbjT5_S1A_jjP12ihipStream_tbEUljE_EEESV_SW_SX_S14_S18_S1A_T6_T7_T9_mT8_S1C_bDpT10_ENKUlT_T0_E_clISt17integral_constantIbLb1EES1P_EEDaS1K_S1L_EUlS1K_E_NS1_11comp_targetILNS1_3genE5ELNS1_11target_archE942ELNS1_3gpuE9ELNS1_3repE0EEENS1_30default_config_static_selectorELNS0_4arch9wavefront6targetE0EEEvSY_.num_agpr, 0
	.set _ZN7rocprim17ROCPRIM_400000_NS6detail17trampoline_kernelINS0_13select_configILj256ELj13ELNS0_17block_load_methodE3ELS4_3ELS4_3ELNS0_20block_scan_algorithmE0ELj4294967295EEENS1_25partition_config_selectorILNS1_17partition_subalgoE3EjNS0_10empty_typeEbEEZZNS1_14partition_implILS8_3ELb0ES6_jNS0_17counting_iteratorIjlEEPS9_SE_NS0_5tupleIJPjSE_EEENSF_IJSE_SE_EEES9_SG_JZNS1_25segmented_radix_sort_implINS0_14default_configELb0EPKfPfPKlPlN2at6native12_GLOBAL__N_18offset_tEEE10hipError_tPvRmT1_PNSt15iterator_traitsISY_E10value_typeET2_T3_PNSZ_IS14_E10value_typeET4_jRbjT5_S1A_jjP12ihipStream_tbEUljE_EEESV_SW_SX_S14_S18_S1A_T6_T7_T9_mT8_S1C_bDpT10_ENKUlT_T0_E_clISt17integral_constantIbLb1EES1P_EEDaS1K_S1L_EUlS1K_E_NS1_11comp_targetILNS1_3genE5ELNS1_11target_archE942ELNS1_3gpuE9ELNS1_3repE0EEENS1_30default_config_static_selectorELNS0_4arch9wavefront6targetE0EEEvSY_.numbered_sgpr, 0
	.set _ZN7rocprim17ROCPRIM_400000_NS6detail17trampoline_kernelINS0_13select_configILj256ELj13ELNS0_17block_load_methodE3ELS4_3ELS4_3ELNS0_20block_scan_algorithmE0ELj4294967295EEENS1_25partition_config_selectorILNS1_17partition_subalgoE3EjNS0_10empty_typeEbEEZZNS1_14partition_implILS8_3ELb0ES6_jNS0_17counting_iteratorIjlEEPS9_SE_NS0_5tupleIJPjSE_EEENSF_IJSE_SE_EEES9_SG_JZNS1_25segmented_radix_sort_implINS0_14default_configELb0EPKfPfPKlPlN2at6native12_GLOBAL__N_18offset_tEEE10hipError_tPvRmT1_PNSt15iterator_traitsISY_E10value_typeET2_T3_PNSZ_IS14_E10value_typeET4_jRbjT5_S1A_jjP12ihipStream_tbEUljE_EEESV_SW_SX_S14_S18_S1A_T6_T7_T9_mT8_S1C_bDpT10_ENKUlT_T0_E_clISt17integral_constantIbLb1EES1P_EEDaS1K_S1L_EUlS1K_E_NS1_11comp_targetILNS1_3genE5ELNS1_11target_archE942ELNS1_3gpuE9ELNS1_3repE0EEENS1_30default_config_static_selectorELNS0_4arch9wavefront6targetE0EEEvSY_.num_named_barrier, 0
	.set _ZN7rocprim17ROCPRIM_400000_NS6detail17trampoline_kernelINS0_13select_configILj256ELj13ELNS0_17block_load_methodE3ELS4_3ELS4_3ELNS0_20block_scan_algorithmE0ELj4294967295EEENS1_25partition_config_selectorILNS1_17partition_subalgoE3EjNS0_10empty_typeEbEEZZNS1_14partition_implILS8_3ELb0ES6_jNS0_17counting_iteratorIjlEEPS9_SE_NS0_5tupleIJPjSE_EEENSF_IJSE_SE_EEES9_SG_JZNS1_25segmented_radix_sort_implINS0_14default_configELb0EPKfPfPKlPlN2at6native12_GLOBAL__N_18offset_tEEE10hipError_tPvRmT1_PNSt15iterator_traitsISY_E10value_typeET2_T3_PNSZ_IS14_E10value_typeET4_jRbjT5_S1A_jjP12ihipStream_tbEUljE_EEESV_SW_SX_S14_S18_S1A_T6_T7_T9_mT8_S1C_bDpT10_ENKUlT_T0_E_clISt17integral_constantIbLb1EES1P_EEDaS1K_S1L_EUlS1K_E_NS1_11comp_targetILNS1_3genE5ELNS1_11target_archE942ELNS1_3gpuE9ELNS1_3repE0EEENS1_30default_config_static_selectorELNS0_4arch9wavefront6targetE0EEEvSY_.private_seg_size, 0
	.set _ZN7rocprim17ROCPRIM_400000_NS6detail17trampoline_kernelINS0_13select_configILj256ELj13ELNS0_17block_load_methodE3ELS4_3ELS4_3ELNS0_20block_scan_algorithmE0ELj4294967295EEENS1_25partition_config_selectorILNS1_17partition_subalgoE3EjNS0_10empty_typeEbEEZZNS1_14partition_implILS8_3ELb0ES6_jNS0_17counting_iteratorIjlEEPS9_SE_NS0_5tupleIJPjSE_EEENSF_IJSE_SE_EEES9_SG_JZNS1_25segmented_radix_sort_implINS0_14default_configELb0EPKfPfPKlPlN2at6native12_GLOBAL__N_18offset_tEEE10hipError_tPvRmT1_PNSt15iterator_traitsISY_E10value_typeET2_T3_PNSZ_IS14_E10value_typeET4_jRbjT5_S1A_jjP12ihipStream_tbEUljE_EEESV_SW_SX_S14_S18_S1A_T6_T7_T9_mT8_S1C_bDpT10_ENKUlT_T0_E_clISt17integral_constantIbLb1EES1P_EEDaS1K_S1L_EUlS1K_E_NS1_11comp_targetILNS1_3genE5ELNS1_11target_archE942ELNS1_3gpuE9ELNS1_3repE0EEENS1_30default_config_static_selectorELNS0_4arch9wavefront6targetE0EEEvSY_.uses_vcc, 0
	.set _ZN7rocprim17ROCPRIM_400000_NS6detail17trampoline_kernelINS0_13select_configILj256ELj13ELNS0_17block_load_methodE3ELS4_3ELS4_3ELNS0_20block_scan_algorithmE0ELj4294967295EEENS1_25partition_config_selectorILNS1_17partition_subalgoE3EjNS0_10empty_typeEbEEZZNS1_14partition_implILS8_3ELb0ES6_jNS0_17counting_iteratorIjlEEPS9_SE_NS0_5tupleIJPjSE_EEENSF_IJSE_SE_EEES9_SG_JZNS1_25segmented_radix_sort_implINS0_14default_configELb0EPKfPfPKlPlN2at6native12_GLOBAL__N_18offset_tEEE10hipError_tPvRmT1_PNSt15iterator_traitsISY_E10value_typeET2_T3_PNSZ_IS14_E10value_typeET4_jRbjT5_S1A_jjP12ihipStream_tbEUljE_EEESV_SW_SX_S14_S18_S1A_T6_T7_T9_mT8_S1C_bDpT10_ENKUlT_T0_E_clISt17integral_constantIbLb1EES1P_EEDaS1K_S1L_EUlS1K_E_NS1_11comp_targetILNS1_3genE5ELNS1_11target_archE942ELNS1_3gpuE9ELNS1_3repE0EEENS1_30default_config_static_selectorELNS0_4arch9wavefront6targetE0EEEvSY_.uses_flat_scratch, 0
	.set _ZN7rocprim17ROCPRIM_400000_NS6detail17trampoline_kernelINS0_13select_configILj256ELj13ELNS0_17block_load_methodE3ELS4_3ELS4_3ELNS0_20block_scan_algorithmE0ELj4294967295EEENS1_25partition_config_selectorILNS1_17partition_subalgoE3EjNS0_10empty_typeEbEEZZNS1_14partition_implILS8_3ELb0ES6_jNS0_17counting_iteratorIjlEEPS9_SE_NS0_5tupleIJPjSE_EEENSF_IJSE_SE_EEES9_SG_JZNS1_25segmented_radix_sort_implINS0_14default_configELb0EPKfPfPKlPlN2at6native12_GLOBAL__N_18offset_tEEE10hipError_tPvRmT1_PNSt15iterator_traitsISY_E10value_typeET2_T3_PNSZ_IS14_E10value_typeET4_jRbjT5_S1A_jjP12ihipStream_tbEUljE_EEESV_SW_SX_S14_S18_S1A_T6_T7_T9_mT8_S1C_bDpT10_ENKUlT_T0_E_clISt17integral_constantIbLb1EES1P_EEDaS1K_S1L_EUlS1K_E_NS1_11comp_targetILNS1_3genE5ELNS1_11target_archE942ELNS1_3gpuE9ELNS1_3repE0EEENS1_30default_config_static_selectorELNS0_4arch9wavefront6targetE0EEEvSY_.has_dyn_sized_stack, 0
	.set _ZN7rocprim17ROCPRIM_400000_NS6detail17trampoline_kernelINS0_13select_configILj256ELj13ELNS0_17block_load_methodE3ELS4_3ELS4_3ELNS0_20block_scan_algorithmE0ELj4294967295EEENS1_25partition_config_selectorILNS1_17partition_subalgoE3EjNS0_10empty_typeEbEEZZNS1_14partition_implILS8_3ELb0ES6_jNS0_17counting_iteratorIjlEEPS9_SE_NS0_5tupleIJPjSE_EEENSF_IJSE_SE_EEES9_SG_JZNS1_25segmented_radix_sort_implINS0_14default_configELb0EPKfPfPKlPlN2at6native12_GLOBAL__N_18offset_tEEE10hipError_tPvRmT1_PNSt15iterator_traitsISY_E10value_typeET2_T3_PNSZ_IS14_E10value_typeET4_jRbjT5_S1A_jjP12ihipStream_tbEUljE_EEESV_SW_SX_S14_S18_S1A_T6_T7_T9_mT8_S1C_bDpT10_ENKUlT_T0_E_clISt17integral_constantIbLb1EES1P_EEDaS1K_S1L_EUlS1K_E_NS1_11comp_targetILNS1_3genE5ELNS1_11target_archE942ELNS1_3gpuE9ELNS1_3repE0EEENS1_30default_config_static_selectorELNS0_4arch9wavefront6targetE0EEEvSY_.has_recursion, 0
	.set _ZN7rocprim17ROCPRIM_400000_NS6detail17trampoline_kernelINS0_13select_configILj256ELj13ELNS0_17block_load_methodE3ELS4_3ELS4_3ELNS0_20block_scan_algorithmE0ELj4294967295EEENS1_25partition_config_selectorILNS1_17partition_subalgoE3EjNS0_10empty_typeEbEEZZNS1_14partition_implILS8_3ELb0ES6_jNS0_17counting_iteratorIjlEEPS9_SE_NS0_5tupleIJPjSE_EEENSF_IJSE_SE_EEES9_SG_JZNS1_25segmented_radix_sort_implINS0_14default_configELb0EPKfPfPKlPlN2at6native12_GLOBAL__N_18offset_tEEE10hipError_tPvRmT1_PNSt15iterator_traitsISY_E10value_typeET2_T3_PNSZ_IS14_E10value_typeET4_jRbjT5_S1A_jjP12ihipStream_tbEUljE_EEESV_SW_SX_S14_S18_S1A_T6_T7_T9_mT8_S1C_bDpT10_ENKUlT_T0_E_clISt17integral_constantIbLb1EES1P_EEDaS1K_S1L_EUlS1K_E_NS1_11comp_targetILNS1_3genE5ELNS1_11target_archE942ELNS1_3gpuE9ELNS1_3repE0EEENS1_30default_config_static_selectorELNS0_4arch9wavefront6targetE0EEEvSY_.has_indirect_call, 0
	.section	.AMDGPU.csdata,"",@progbits
; Kernel info:
; codeLenInByte = 0
; TotalNumSgprs: 0
; NumVgprs: 0
; ScratchSize: 0
; MemoryBound: 0
; FloatMode: 240
; IeeeMode: 1
; LDSByteSize: 0 bytes/workgroup (compile time only)
; SGPRBlocks: 0
; VGPRBlocks: 0
; NumSGPRsForWavesPerEU: 1
; NumVGPRsForWavesPerEU: 1
; Occupancy: 16
; WaveLimiterHint : 0
; COMPUTE_PGM_RSRC2:SCRATCH_EN: 0
; COMPUTE_PGM_RSRC2:USER_SGPR: 6
; COMPUTE_PGM_RSRC2:TRAP_HANDLER: 0
; COMPUTE_PGM_RSRC2:TGID_X_EN: 1
; COMPUTE_PGM_RSRC2:TGID_Y_EN: 0
; COMPUTE_PGM_RSRC2:TGID_Z_EN: 0
; COMPUTE_PGM_RSRC2:TIDIG_COMP_CNT: 0
	.section	.text._ZN7rocprim17ROCPRIM_400000_NS6detail17trampoline_kernelINS0_13select_configILj256ELj13ELNS0_17block_load_methodE3ELS4_3ELS4_3ELNS0_20block_scan_algorithmE0ELj4294967295EEENS1_25partition_config_selectorILNS1_17partition_subalgoE3EjNS0_10empty_typeEbEEZZNS1_14partition_implILS8_3ELb0ES6_jNS0_17counting_iteratorIjlEEPS9_SE_NS0_5tupleIJPjSE_EEENSF_IJSE_SE_EEES9_SG_JZNS1_25segmented_radix_sort_implINS0_14default_configELb0EPKfPfPKlPlN2at6native12_GLOBAL__N_18offset_tEEE10hipError_tPvRmT1_PNSt15iterator_traitsISY_E10value_typeET2_T3_PNSZ_IS14_E10value_typeET4_jRbjT5_S1A_jjP12ihipStream_tbEUljE_EEESV_SW_SX_S14_S18_S1A_T6_T7_T9_mT8_S1C_bDpT10_ENKUlT_T0_E_clISt17integral_constantIbLb1EES1P_EEDaS1K_S1L_EUlS1K_E_NS1_11comp_targetILNS1_3genE4ELNS1_11target_archE910ELNS1_3gpuE8ELNS1_3repE0EEENS1_30default_config_static_selectorELNS0_4arch9wavefront6targetE0EEEvSY_,"axG",@progbits,_ZN7rocprim17ROCPRIM_400000_NS6detail17trampoline_kernelINS0_13select_configILj256ELj13ELNS0_17block_load_methodE3ELS4_3ELS4_3ELNS0_20block_scan_algorithmE0ELj4294967295EEENS1_25partition_config_selectorILNS1_17partition_subalgoE3EjNS0_10empty_typeEbEEZZNS1_14partition_implILS8_3ELb0ES6_jNS0_17counting_iteratorIjlEEPS9_SE_NS0_5tupleIJPjSE_EEENSF_IJSE_SE_EEES9_SG_JZNS1_25segmented_radix_sort_implINS0_14default_configELb0EPKfPfPKlPlN2at6native12_GLOBAL__N_18offset_tEEE10hipError_tPvRmT1_PNSt15iterator_traitsISY_E10value_typeET2_T3_PNSZ_IS14_E10value_typeET4_jRbjT5_S1A_jjP12ihipStream_tbEUljE_EEESV_SW_SX_S14_S18_S1A_T6_T7_T9_mT8_S1C_bDpT10_ENKUlT_T0_E_clISt17integral_constantIbLb1EES1P_EEDaS1K_S1L_EUlS1K_E_NS1_11comp_targetILNS1_3genE4ELNS1_11target_archE910ELNS1_3gpuE8ELNS1_3repE0EEENS1_30default_config_static_selectorELNS0_4arch9wavefront6targetE0EEEvSY_,comdat
	.globl	_ZN7rocprim17ROCPRIM_400000_NS6detail17trampoline_kernelINS0_13select_configILj256ELj13ELNS0_17block_load_methodE3ELS4_3ELS4_3ELNS0_20block_scan_algorithmE0ELj4294967295EEENS1_25partition_config_selectorILNS1_17partition_subalgoE3EjNS0_10empty_typeEbEEZZNS1_14partition_implILS8_3ELb0ES6_jNS0_17counting_iteratorIjlEEPS9_SE_NS0_5tupleIJPjSE_EEENSF_IJSE_SE_EEES9_SG_JZNS1_25segmented_radix_sort_implINS0_14default_configELb0EPKfPfPKlPlN2at6native12_GLOBAL__N_18offset_tEEE10hipError_tPvRmT1_PNSt15iterator_traitsISY_E10value_typeET2_T3_PNSZ_IS14_E10value_typeET4_jRbjT5_S1A_jjP12ihipStream_tbEUljE_EEESV_SW_SX_S14_S18_S1A_T6_T7_T9_mT8_S1C_bDpT10_ENKUlT_T0_E_clISt17integral_constantIbLb1EES1P_EEDaS1K_S1L_EUlS1K_E_NS1_11comp_targetILNS1_3genE4ELNS1_11target_archE910ELNS1_3gpuE8ELNS1_3repE0EEENS1_30default_config_static_selectorELNS0_4arch9wavefront6targetE0EEEvSY_ ; -- Begin function _ZN7rocprim17ROCPRIM_400000_NS6detail17trampoline_kernelINS0_13select_configILj256ELj13ELNS0_17block_load_methodE3ELS4_3ELS4_3ELNS0_20block_scan_algorithmE0ELj4294967295EEENS1_25partition_config_selectorILNS1_17partition_subalgoE3EjNS0_10empty_typeEbEEZZNS1_14partition_implILS8_3ELb0ES6_jNS0_17counting_iteratorIjlEEPS9_SE_NS0_5tupleIJPjSE_EEENSF_IJSE_SE_EEES9_SG_JZNS1_25segmented_radix_sort_implINS0_14default_configELb0EPKfPfPKlPlN2at6native12_GLOBAL__N_18offset_tEEE10hipError_tPvRmT1_PNSt15iterator_traitsISY_E10value_typeET2_T3_PNSZ_IS14_E10value_typeET4_jRbjT5_S1A_jjP12ihipStream_tbEUljE_EEESV_SW_SX_S14_S18_S1A_T6_T7_T9_mT8_S1C_bDpT10_ENKUlT_T0_E_clISt17integral_constantIbLb1EES1P_EEDaS1K_S1L_EUlS1K_E_NS1_11comp_targetILNS1_3genE4ELNS1_11target_archE910ELNS1_3gpuE8ELNS1_3repE0EEENS1_30default_config_static_selectorELNS0_4arch9wavefront6targetE0EEEvSY_
	.p2align	8
	.type	_ZN7rocprim17ROCPRIM_400000_NS6detail17trampoline_kernelINS0_13select_configILj256ELj13ELNS0_17block_load_methodE3ELS4_3ELS4_3ELNS0_20block_scan_algorithmE0ELj4294967295EEENS1_25partition_config_selectorILNS1_17partition_subalgoE3EjNS0_10empty_typeEbEEZZNS1_14partition_implILS8_3ELb0ES6_jNS0_17counting_iteratorIjlEEPS9_SE_NS0_5tupleIJPjSE_EEENSF_IJSE_SE_EEES9_SG_JZNS1_25segmented_radix_sort_implINS0_14default_configELb0EPKfPfPKlPlN2at6native12_GLOBAL__N_18offset_tEEE10hipError_tPvRmT1_PNSt15iterator_traitsISY_E10value_typeET2_T3_PNSZ_IS14_E10value_typeET4_jRbjT5_S1A_jjP12ihipStream_tbEUljE_EEESV_SW_SX_S14_S18_S1A_T6_T7_T9_mT8_S1C_bDpT10_ENKUlT_T0_E_clISt17integral_constantIbLb1EES1P_EEDaS1K_S1L_EUlS1K_E_NS1_11comp_targetILNS1_3genE4ELNS1_11target_archE910ELNS1_3gpuE8ELNS1_3repE0EEENS1_30default_config_static_selectorELNS0_4arch9wavefront6targetE0EEEvSY_,@function
_ZN7rocprim17ROCPRIM_400000_NS6detail17trampoline_kernelINS0_13select_configILj256ELj13ELNS0_17block_load_methodE3ELS4_3ELS4_3ELNS0_20block_scan_algorithmE0ELj4294967295EEENS1_25partition_config_selectorILNS1_17partition_subalgoE3EjNS0_10empty_typeEbEEZZNS1_14partition_implILS8_3ELb0ES6_jNS0_17counting_iteratorIjlEEPS9_SE_NS0_5tupleIJPjSE_EEENSF_IJSE_SE_EEES9_SG_JZNS1_25segmented_radix_sort_implINS0_14default_configELb0EPKfPfPKlPlN2at6native12_GLOBAL__N_18offset_tEEE10hipError_tPvRmT1_PNSt15iterator_traitsISY_E10value_typeET2_T3_PNSZ_IS14_E10value_typeET4_jRbjT5_S1A_jjP12ihipStream_tbEUljE_EEESV_SW_SX_S14_S18_S1A_T6_T7_T9_mT8_S1C_bDpT10_ENKUlT_T0_E_clISt17integral_constantIbLb1EES1P_EEDaS1K_S1L_EUlS1K_E_NS1_11comp_targetILNS1_3genE4ELNS1_11target_archE910ELNS1_3gpuE8ELNS1_3repE0EEENS1_30default_config_static_selectorELNS0_4arch9wavefront6targetE0EEEvSY_: ; @_ZN7rocprim17ROCPRIM_400000_NS6detail17trampoline_kernelINS0_13select_configILj256ELj13ELNS0_17block_load_methodE3ELS4_3ELS4_3ELNS0_20block_scan_algorithmE0ELj4294967295EEENS1_25partition_config_selectorILNS1_17partition_subalgoE3EjNS0_10empty_typeEbEEZZNS1_14partition_implILS8_3ELb0ES6_jNS0_17counting_iteratorIjlEEPS9_SE_NS0_5tupleIJPjSE_EEENSF_IJSE_SE_EEES9_SG_JZNS1_25segmented_radix_sort_implINS0_14default_configELb0EPKfPfPKlPlN2at6native12_GLOBAL__N_18offset_tEEE10hipError_tPvRmT1_PNSt15iterator_traitsISY_E10value_typeET2_T3_PNSZ_IS14_E10value_typeET4_jRbjT5_S1A_jjP12ihipStream_tbEUljE_EEESV_SW_SX_S14_S18_S1A_T6_T7_T9_mT8_S1C_bDpT10_ENKUlT_T0_E_clISt17integral_constantIbLb1EES1P_EEDaS1K_S1L_EUlS1K_E_NS1_11comp_targetILNS1_3genE4ELNS1_11target_archE910ELNS1_3gpuE8ELNS1_3repE0EEENS1_30default_config_static_selectorELNS0_4arch9wavefront6targetE0EEEvSY_
; %bb.0:
	.section	.rodata,"a",@progbits
	.p2align	6, 0x0
	.amdhsa_kernel _ZN7rocprim17ROCPRIM_400000_NS6detail17trampoline_kernelINS0_13select_configILj256ELj13ELNS0_17block_load_methodE3ELS4_3ELS4_3ELNS0_20block_scan_algorithmE0ELj4294967295EEENS1_25partition_config_selectorILNS1_17partition_subalgoE3EjNS0_10empty_typeEbEEZZNS1_14partition_implILS8_3ELb0ES6_jNS0_17counting_iteratorIjlEEPS9_SE_NS0_5tupleIJPjSE_EEENSF_IJSE_SE_EEES9_SG_JZNS1_25segmented_radix_sort_implINS0_14default_configELb0EPKfPfPKlPlN2at6native12_GLOBAL__N_18offset_tEEE10hipError_tPvRmT1_PNSt15iterator_traitsISY_E10value_typeET2_T3_PNSZ_IS14_E10value_typeET4_jRbjT5_S1A_jjP12ihipStream_tbEUljE_EEESV_SW_SX_S14_S18_S1A_T6_T7_T9_mT8_S1C_bDpT10_ENKUlT_T0_E_clISt17integral_constantIbLb1EES1P_EEDaS1K_S1L_EUlS1K_E_NS1_11comp_targetILNS1_3genE4ELNS1_11target_archE910ELNS1_3gpuE8ELNS1_3repE0EEENS1_30default_config_static_selectorELNS0_4arch9wavefront6targetE0EEEvSY_
		.amdhsa_group_segment_fixed_size 0
		.amdhsa_private_segment_fixed_size 0
		.amdhsa_kernarg_size 152
		.amdhsa_user_sgpr_count 6
		.amdhsa_user_sgpr_private_segment_buffer 1
		.amdhsa_user_sgpr_dispatch_ptr 0
		.amdhsa_user_sgpr_queue_ptr 0
		.amdhsa_user_sgpr_kernarg_segment_ptr 1
		.amdhsa_user_sgpr_dispatch_id 0
		.amdhsa_user_sgpr_flat_scratch_init 0
		.amdhsa_user_sgpr_private_segment_size 0
		.amdhsa_wavefront_size32 1
		.amdhsa_uses_dynamic_stack 0
		.amdhsa_system_sgpr_private_segment_wavefront_offset 0
		.amdhsa_system_sgpr_workgroup_id_x 1
		.amdhsa_system_sgpr_workgroup_id_y 0
		.amdhsa_system_sgpr_workgroup_id_z 0
		.amdhsa_system_sgpr_workgroup_info 0
		.amdhsa_system_vgpr_workitem_id 0
		.amdhsa_next_free_vgpr 1
		.amdhsa_next_free_sgpr 1
		.amdhsa_reserve_vcc 0
		.amdhsa_reserve_flat_scratch 0
		.amdhsa_float_round_mode_32 0
		.amdhsa_float_round_mode_16_64 0
		.amdhsa_float_denorm_mode_32 3
		.amdhsa_float_denorm_mode_16_64 3
		.amdhsa_dx10_clamp 1
		.amdhsa_ieee_mode 1
		.amdhsa_fp16_overflow 0
		.amdhsa_workgroup_processor_mode 1
		.amdhsa_memory_ordered 1
		.amdhsa_forward_progress 1
		.amdhsa_shared_vgpr_count 0
		.amdhsa_exception_fp_ieee_invalid_op 0
		.amdhsa_exception_fp_denorm_src 0
		.amdhsa_exception_fp_ieee_div_zero 0
		.amdhsa_exception_fp_ieee_overflow 0
		.amdhsa_exception_fp_ieee_underflow 0
		.amdhsa_exception_fp_ieee_inexact 0
		.amdhsa_exception_int_div_zero 0
	.end_amdhsa_kernel
	.section	.text._ZN7rocprim17ROCPRIM_400000_NS6detail17trampoline_kernelINS0_13select_configILj256ELj13ELNS0_17block_load_methodE3ELS4_3ELS4_3ELNS0_20block_scan_algorithmE0ELj4294967295EEENS1_25partition_config_selectorILNS1_17partition_subalgoE3EjNS0_10empty_typeEbEEZZNS1_14partition_implILS8_3ELb0ES6_jNS0_17counting_iteratorIjlEEPS9_SE_NS0_5tupleIJPjSE_EEENSF_IJSE_SE_EEES9_SG_JZNS1_25segmented_radix_sort_implINS0_14default_configELb0EPKfPfPKlPlN2at6native12_GLOBAL__N_18offset_tEEE10hipError_tPvRmT1_PNSt15iterator_traitsISY_E10value_typeET2_T3_PNSZ_IS14_E10value_typeET4_jRbjT5_S1A_jjP12ihipStream_tbEUljE_EEESV_SW_SX_S14_S18_S1A_T6_T7_T9_mT8_S1C_bDpT10_ENKUlT_T0_E_clISt17integral_constantIbLb1EES1P_EEDaS1K_S1L_EUlS1K_E_NS1_11comp_targetILNS1_3genE4ELNS1_11target_archE910ELNS1_3gpuE8ELNS1_3repE0EEENS1_30default_config_static_selectorELNS0_4arch9wavefront6targetE0EEEvSY_,"axG",@progbits,_ZN7rocprim17ROCPRIM_400000_NS6detail17trampoline_kernelINS0_13select_configILj256ELj13ELNS0_17block_load_methodE3ELS4_3ELS4_3ELNS0_20block_scan_algorithmE0ELj4294967295EEENS1_25partition_config_selectorILNS1_17partition_subalgoE3EjNS0_10empty_typeEbEEZZNS1_14partition_implILS8_3ELb0ES6_jNS0_17counting_iteratorIjlEEPS9_SE_NS0_5tupleIJPjSE_EEENSF_IJSE_SE_EEES9_SG_JZNS1_25segmented_radix_sort_implINS0_14default_configELb0EPKfPfPKlPlN2at6native12_GLOBAL__N_18offset_tEEE10hipError_tPvRmT1_PNSt15iterator_traitsISY_E10value_typeET2_T3_PNSZ_IS14_E10value_typeET4_jRbjT5_S1A_jjP12ihipStream_tbEUljE_EEESV_SW_SX_S14_S18_S1A_T6_T7_T9_mT8_S1C_bDpT10_ENKUlT_T0_E_clISt17integral_constantIbLb1EES1P_EEDaS1K_S1L_EUlS1K_E_NS1_11comp_targetILNS1_3genE4ELNS1_11target_archE910ELNS1_3gpuE8ELNS1_3repE0EEENS1_30default_config_static_selectorELNS0_4arch9wavefront6targetE0EEEvSY_,comdat
.Lfunc_end1398:
	.size	_ZN7rocprim17ROCPRIM_400000_NS6detail17trampoline_kernelINS0_13select_configILj256ELj13ELNS0_17block_load_methodE3ELS4_3ELS4_3ELNS0_20block_scan_algorithmE0ELj4294967295EEENS1_25partition_config_selectorILNS1_17partition_subalgoE3EjNS0_10empty_typeEbEEZZNS1_14partition_implILS8_3ELb0ES6_jNS0_17counting_iteratorIjlEEPS9_SE_NS0_5tupleIJPjSE_EEENSF_IJSE_SE_EEES9_SG_JZNS1_25segmented_radix_sort_implINS0_14default_configELb0EPKfPfPKlPlN2at6native12_GLOBAL__N_18offset_tEEE10hipError_tPvRmT1_PNSt15iterator_traitsISY_E10value_typeET2_T3_PNSZ_IS14_E10value_typeET4_jRbjT5_S1A_jjP12ihipStream_tbEUljE_EEESV_SW_SX_S14_S18_S1A_T6_T7_T9_mT8_S1C_bDpT10_ENKUlT_T0_E_clISt17integral_constantIbLb1EES1P_EEDaS1K_S1L_EUlS1K_E_NS1_11comp_targetILNS1_3genE4ELNS1_11target_archE910ELNS1_3gpuE8ELNS1_3repE0EEENS1_30default_config_static_selectorELNS0_4arch9wavefront6targetE0EEEvSY_, .Lfunc_end1398-_ZN7rocprim17ROCPRIM_400000_NS6detail17trampoline_kernelINS0_13select_configILj256ELj13ELNS0_17block_load_methodE3ELS4_3ELS4_3ELNS0_20block_scan_algorithmE0ELj4294967295EEENS1_25partition_config_selectorILNS1_17partition_subalgoE3EjNS0_10empty_typeEbEEZZNS1_14partition_implILS8_3ELb0ES6_jNS0_17counting_iteratorIjlEEPS9_SE_NS0_5tupleIJPjSE_EEENSF_IJSE_SE_EEES9_SG_JZNS1_25segmented_radix_sort_implINS0_14default_configELb0EPKfPfPKlPlN2at6native12_GLOBAL__N_18offset_tEEE10hipError_tPvRmT1_PNSt15iterator_traitsISY_E10value_typeET2_T3_PNSZ_IS14_E10value_typeET4_jRbjT5_S1A_jjP12ihipStream_tbEUljE_EEESV_SW_SX_S14_S18_S1A_T6_T7_T9_mT8_S1C_bDpT10_ENKUlT_T0_E_clISt17integral_constantIbLb1EES1P_EEDaS1K_S1L_EUlS1K_E_NS1_11comp_targetILNS1_3genE4ELNS1_11target_archE910ELNS1_3gpuE8ELNS1_3repE0EEENS1_30default_config_static_selectorELNS0_4arch9wavefront6targetE0EEEvSY_
                                        ; -- End function
	.set _ZN7rocprim17ROCPRIM_400000_NS6detail17trampoline_kernelINS0_13select_configILj256ELj13ELNS0_17block_load_methodE3ELS4_3ELS4_3ELNS0_20block_scan_algorithmE0ELj4294967295EEENS1_25partition_config_selectorILNS1_17partition_subalgoE3EjNS0_10empty_typeEbEEZZNS1_14partition_implILS8_3ELb0ES6_jNS0_17counting_iteratorIjlEEPS9_SE_NS0_5tupleIJPjSE_EEENSF_IJSE_SE_EEES9_SG_JZNS1_25segmented_radix_sort_implINS0_14default_configELb0EPKfPfPKlPlN2at6native12_GLOBAL__N_18offset_tEEE10hipError_tPvRmT1_PNSt15iterator_traitsISY_E10value_typeET2_T3_PNSZ_IS14_E10value_typeET4_jRbjT5_S1A_jjP12ihipStream_tbEUljE_EEESV_SW_SX_S14_S18_S1A_T6_T7_T9_mT8_S1C_bDpT10_ENKUlT_T0_E_clISt17integral_constantIbLb1EES1P_EEDaS1K_S1L_EUlS1K_E_NS1_11comp_targetILNS1_3genE4ELNS1_11target_archE910ELNS1_3gpuE8ELNS1_3repE0EEENS1_30default_config_static_selectorELNS0_4arch9wavefront6targetE0EEEvSY_.num_vgpr, 0
	.set _ZN7rocprim17ROCPRIM_400000_NS6detail17trampoline_kernelINS0_13select_configILj256ELj13ELNS0_17block_load_methodE3ELS4_3ELS4_3ELNS0_20block_scan_algorithmE0ELj4294967295EEENS1_25partition_config_selectorILNS1_17partition_subalgoE3EjNS0_10empty_typeEbEEZZNS1_14partition_implILS8_3ELb0ES6_jNS0_17counting_iteratorIjlEEPS9_SE_NS0_5tupleIJPjSE_EEENSF_IJSE_SE_EEES9_SG_JZNS1_25segmented_radix_sort_implINS0_14default_configELb0EPKfPfPKlPlN2at6native12_GLOBAL__N_18offset_tEEE10hipError_tPvRmT1_PNSt15iterator_traitsISY_E10value_typeET2_T3_PNSZ_IS14_E10value_typeET4_jRbjT5_S1A_jjP12ihipStream_tbEUljE_EEESV_SW_SX_S14_S18_S1A_T6_T7_T9_mT8_S1C_bDpT10_ENKUlT_T0_E_clISt17integral_constantIbLb1EES1P_EEDaS1K_S1L_EUlS1K_E_NS1_11comp_targetILNS1_3genE4ELNS1_11target_archE910ELNS1_3gpuE8ELNS1_3repE0EEENS1_30default_config_static_selectorELNS0_4arch9wavefront6targetE0EEEvSY_.num_agpr, 0
	.set _ZN7rocprim17ROCPRIM_400000_NS6detail17trampoline_kernelINS0_13select_configILj256ELj13ELNS0_17block_load_methodE3ELS4_3ELS4_3ELNS0_20block_scan_algorithmE0ELj4294967295EEENS1_25partition_config_selectorILNS1_17partition_subalgoE3EjNS0_10empty_typeEbEEZZNS1_14partition_implILS8_3ELb0ES6_jNS0_17counting_iteratorIjlEEPS9_SE_NS0_5tupleIJPjSE_EEENSF_IJSE_SE_EEES9_SG_JZNS1_25segmented_radix_sort_implINS0_14default_configELb0EPKfPfPKlPlN2at6native12_GLOBAL__N_18offset_tEEE10hipError_tPvRmT1_PNSt15iterator_traitsISY_E10value_typeET2_T3_PNSZ_IS14_E10value_typeET4_jRbjT5_S1A_jjP12ihipStream_tbEUljE_EEESV_SW_SX_S14_S18_S1A_T6_T7_T9_mT8_S1C_bDpT10_ENKUlT_T0_E_clISt17integral_constantIbLb1EES1P_EEDaS1K_S1L_EUlS1K_E_NS1_11comp_targetILNS1_3genE4ELNS1_11target_archE910ELNS1_3gpuE8ELNS1_3repE0EEENS1_30default_config_static_selectorELNS0_4arch9wavefront6targetE0EEEvSY_.numbered_sgpr, 0
	.set _ZN7rocprim17ROCPRIM_400000_NS6detail17trampoline_kernelINS0_13select_configILj256ELj13ELNS0_17block_load_methodE3ELS4_3ELS4_3ELNS0_20block_scan_algorithmE0ELj4294967295EEENS1_25partition_config_selectorILNS1_17partition_subalgoE3EjNS0_10empty_typeEbEEZZNS1_14partition_implILS8_3ELb0ES6_jNS0_17counting_iteratorIjlEEPS9_SE_NS0_5tupleIJPjSE_EEENSF_IJSE_SE_EEES9_SG_JZNS1_25segmented_radix_sort_implINS0_14default_configELb0EPKfPfPKlPlN2at6native12_GLOBAL__N_18offset_tEEE10hipError_tPvRmT1_PNSt15iterator_traitsISY_E10value_typeET2_T3_PNSZ_IS14_E10value_typeET4_jRbjT5_S1A_jjP12ihipStream_tbEUljE_EEESV_SW_SX_S14_S18_S1A_T6_T7_T9_mT8_S1C_bDpT10_ENKUlT_T0_E_clISt17integral_constantIbLb1EES1P_EEDaS1K_S1L_EUlS1K_E_NS1_11comp_targetILNS1_3genE4ELNS1_11target_archE910ELNS1_3gpuE8ELNS1_3repE0EEENS1_30default_config_static_selectorELNS0_4arch9wavefront6targetE0EEEvSY_.num_named_barrier, 0
	.set _ZN7rocprim17ROCPRIM_400000_NS6detail17trampoline_kernelINS0_13select_configILj256ELj13ELNS0_17block_load_methodE3ELS4_3ELS4_3ELNS0_20block_scan_algorithmE0ELj4294967295EEENS1_25partition_config_selectorILNS1_17partition_subalgoE3EjNS0_10empty_typeEbEEZZNS1_14partition_implILS8_3ELb0ES6_jNS0_17counting_iteratorIjlEEPS9_SE_NS0_5tupleIJPjSE_EEENSF_IJSE_SE_EEES9_SG_JZNS1_25segmented_radix_sort_implINS0_14default_configELb0EPKfPfPKlPlN2at6native12_GLOBAL__N_18offset_tEEE10hipError_tPvRmT1_PNSt15iterator_traitsISY_E10value_typeET2_T3_PNSZ_IS14_E10value_typeET4_jRbjT5_S1A_jjP12ihipStream_tbEUljE_EEESV_SW_SX_S14_S18_S1A_T6_T7_T9_mT8_S1C_bDpT10_ENKUlT_T0_E_clISt17integral_constantIbLb1EES1P_EEDaS1K_S1L_EUlS1K_E_NS1_11comp_targetILNS1_3genE4ELNS1_11target_archE910ELNS1_3gpuE8ELNS1_3repE0EEENS1_30default_config_static_selectorELNS0_4arch9wavefront6targetE0EEEvSY_.private_seg_size, 0
	.set _ZN7rocprim17ROCPRIM_400000_NS6detail17trampoline_kernelINS0_13select_configILj256ELj13ELNS0_17block_load_methodE3ELS4_3ELS4_3ELNS0_20block_scan_algorithmE0ELj4294967295EEENS1_25partition_config_selectorILNS1_17partition_subalgoE3EjNS0_10empty_typeEbEEZZNS1_14partition_implILS8_3ELb0ES6_jNS0_17counting_iteratorIjlEEPS9_SE_NS0_5tupleIJPjSE_EEENSF_IJSE_SE_EEES9_SG_JZNS1_25segmented_radix_sort_implINS0_14default_configELb0EPKfPfPKlPlN2at6native12_GLOBAL__N_18offset_tEEE10hipError_tPvRmT1_PNSt15iterator_traitsISY_E10value_typeET2_T3_PNSZ_IS14_E10value_typeET4_jRbjT5_S1A_jjP12ihipStream_tbEUljE_EEESV_SW_SX_S14_S18_S1A_T6_T7_T9_mT8_S1C_bDpT10_ENKUlT_T0_E_clISt17integral_constantIbLb1EES1P_EEDaS1K_S1L_EUlS1K_E_NS1_11comp_targetILNS1_3genE4ELNS1_11target_archE910ELNS1_3gpuE8ELNS1_3repE0EEENS1_30default_config_static_selectorELNS0_4arch9wavefront6targetE0EEEvSY_.uses_vcc, 0
	.set _ZN7rocprim17ROCPRIM_400000_NS6detail17trampoline_kernelINS0_13select_configILj256ELj13ELNS0_17block_load_methodE3ELS4_3ELS4_3ELNS0_20block_scan_algorithmE0ELj4294967295EEENS1_25partition_config_selectorILNS1_17partition_subalgoE3EjNS0_10empty_typeEbEEZZNS1_14partition_implILS8_3ELb0ES6_jNS0_17counting_iteratorIjlEEPS9_SE_NS0_5tupleIJPjSE_EEENSF_IJSE_SE_EEES9_SG_JZNS1_25segmented_radix_sort_implINS0_14default_configELb0EPKfPfPKlPlN2at6native12_GLOBAL__N_18offset_tEEE10hipError_tPvRmT1_PNSt15iterator_traitsISY_E10value_typeET2_T3_PNSZ_IS14_E10value_typeET4_jRbjT5_S1A_jjP12ihipStream_tbEUljE_EEESV_SW_SX_S14_S18_S1A_T6_T7_T9_mT8_S1C_bDpT10_ENKUlT_T0_E_clISt17integral_constantIbLb1EES1P_EEDaS1K_S1L_EUlS1K_E_NS1_11comp_targetILNS1_3genE4ELNS1_11target_archE910ELNS1_3gpuE8ELNS1_3repE0EEENS1_30default_config_static_selectorELNS0_4arch9wavefront6targetE0EEEvSY_.uses_flat_scratch, 0
	.set _ZN7rocprim17ROCPRIM_400000_NS6detail17trampoline_kernelINS0_13select_configILj256ELj13ELNS0_17block_load_methodE3ELS4_3ELS4_3ELNS0_20block_scan_algorithmE0ELj4294967295EEENS1_25partition_config_selectorILNS1_17partition_subalgoE3EjNS0_10empty_typeEbEEZZNS1_14partition_implILS8_3ELb0ES6_jNS0_17counting_iteratorIjlEEPS9_SE_NS0_5tupleIJPjSE_EEENSF_IJSE_SE_EEES9_SG_JZNS1_25segmented_radix_sort_implINS0_14default_configELb0EPKfPfPKlPlN2at6native12_GLOBAL__N_18offset_tEEE10hipError_tPvRmT1_PNSt15iterator_traitsISY_E10value_typeET2_T3_PNSZ_IS14_E10value_typeET4_jRbjT5_S1A_jjP12ihipStream_tbEUljE_EEESV_SW_SX_S14_S18_S1A_T6_T7_T9_mT8_S1C_bDpT10_ENKUlT_T0_E_clISt17integral_constantIbLb1EES1P_EEDaS1K_S1L_EUlS1K_E_NS1_11comp_targetILNS1_3genE4ELNS1_11target_archE910ELNS1_3gpuE8ELNS1_3repE0EEENS1_30default_config_static_selectorELNS0_4arch9wavefront6targetE0EEEvSY_.has_dyn_sized_stack, 0
	.set _ZN7rocprim17ROCPRIM_400000_NS6detail17trampoline_kernelINS0_13select_configILj256ELj13ELNS0_17block_load_methodE3ELS4_3ELS4_3ELNS0_20block_scan_algorithmE0ELj4294967295EEENS1_25partition_config_selectorILNS1_17partition_subalgoE3EjNS0_10empty_typeEbEEZZNS1_14partition_implILS8_3ELb0ES6_jNS0_17counting_iteratorIjlEEPS9_SE_NS0_5tupleIJPjSE_EEENSF_IJSE_SE_EEES9_SG_JZNS1_25segmented_radix_sort_implINS0_14default_configELb0EPKfPfPKlPlN2at6native12_GLOBAL__N_18offset_tEEE10hipError_tPvRmT1_PNSt15iterator_traitsISY_E10value_typeET2_T3_PNSZ_IS14_E10value_typeET4_jRbjT5_S1A_jjP12ihipStream_tbEUljE_EEESV_SW_SX_S14_S18_S1A_T6_T7_T9_mT8_S1C_bDpT10_ENKUlT_T0_E_clISt17integral_constantIbLb1EES1P_EEDaS1K_S1L_EUlS1K_E_NS1_11comp_targetILNS1_3genE4ELNS1_11target_archE910ELNS1_3gpuE8ELNS1_3repE0EEENS1_30default_config_static_selectorELNS0_4arch9wavefront6targetE0EEEvSY_.has_recursion, 0
	.set _ZN7rocprim17ROCPRIM_400000_NS6detail17trampoline_kernelINS0_13select_configILj256ELj13ELNS0_17block_load_methodE3ELS4_3ELS4_3ELNS0_20block_scan_algorithmE0ELj4294967295EEENS1_25partition_config_selectorILNS1_17partition_subalgoE3EjNS0_10empty_typeEbEEZZNS1_14partition_implILS8_3ELb0ES6_jNS0_17counting_iteratorIjlEEPS9_SE_NS0_5tupleIJPjSE_EEENSF_IJSE_SE_EEES9_SG_JZNS1_25segmented_radix_sort_implINS0_14default_configELb0EPKfPfPKlPlN2at6native12_GLOBAL__N_18offset_tEEE10hipError_tPvRmT1_PNSt15iterator_traitsISY_E10value_typeET2_T3_PNSZ_IS14_E10value_typeET4_jRbjT5_S1A_jjP12ihipStream_tbEUljE_EEESV_SW_SX_S14_S18_S1A_T6_T7_T9_mT8_S1C_bDpT10_ENKUlT_T0_E_clISt17integral_constantIbLb1EES1P_EEDaS1K_S1L_EUlS1K_E_NS1_11comp_targetILNS1_3genE4ELNS1_11target_archE910ELNS1_3gpuE8ELNS1_3repE0EEENS1_30default_config_static_selectorELNS0_4arch9wavefront6targetE0EEEvSY_.has_indirect_call, 0
	.section	.AMDGPU.csdata,"",@progbits
; Kernel info:
; codeLenInByte = 0
; TotalNumSgprs: 0
; NumVgprs: 0
; ScratchSize: 0
; MemoryBound: 0
; FloatMode: 240
; IeeeMode: 1
; LDSByteSize: 0 bytes/workgroup (compile time only)
; SGPRBlocks: 0
; VGPRBlocks: 0
; NumSGPRsForWavesPerEU: 1
; NumVGPRsForWavesPerEU: 1
; Occupancy: 16
; WaveLimiterHint : 0
; COMPUTE_PGM_RSRC2:SCRATCH_EN: 0
; COMPUTE_PGM_RSRC2:USER_SGPR: 6
; COMPUTE_PGM_RSRC2:TRAP_HANDLER: 0
; COMPUTE_PGM_RSRC2:TGID_X_EN: 1
; COMPUTE_PGM_RSRC2:TGID_Y_EN: 0
; COMPUTE_PGM_RSRC2:TGID_Z_EN: 0
; COMPUTE_PGM_RSRC2:TIDIG_COMP_CNT: 0
	.section	.text._ZN7rocprim17ROCPRIM_400000_NS6detail17trampoline_kernelINS0_13select_configILj256ELj13ELNS0_17block_load_methodE3ELS4_3ELS4_3ELNS0_20block_scan_algorithmE0ELj4294967295EEENS1_25partition_config_selectorILNS1_17partition_subalgoE3EjNS0_10empty_typeEbEEZZNS1_14partition_implILS8_3ELb0ES6_jNS0_17counting_iteratorIjlEEPS9_SE_NS0_5tupleIJPjSE_EEENSF_IJSE_SE_EEES9_SG_JZNS1_25segmented_radix_sort_implINS0_14default_configELb0EPKfPfPKlPlN2at6native12_GLOBAL__N_18offset_tEEE10hipError_tPvRmT1_PNSt15iterator_traitsISY_E10value_typeET2_T3_PNSZ_IS14_E10value_typeET4_jRbjT5_S1A_jjP12ihipStream_tbEUljE_EEESV_SW_SX_S14_S18_S1A_T6_T7_T9_mT8_S1C_bDpT10_ENKUlT_T0_E_clISt17integral_constantIbLb1EES1P_EEDaS1K_S1L_EUlS1K_E_NS1_11comp_targetILNS1_3genE3ELNS1_11target_archE908ELNS1_3gpuE7ELNS1_3repE0EEENS1_30default_config_static_selectorELNS0_4arch9wavefront6targetE0EEEvSY_,"axG",@progbits,_ZN7rocprim17ROCPRIM_400000_NS6detail17trampoline_kernelINS0_13select_configILj256ELj13ELNS0_17block_load_methodE3ELS4_3ELS4_3ELNS0_20block_scan_algorithmE0ELj4294967295EEENS1_25partition_config_selectorILNS1_17partition_subalgoE3EjNS0_10empty_typeEbEEZZNS1_14partition_implILS8_3ELb0ES6_jNS0_17counting_iteratorIjlEEPS9_SE_NS0_5tupleIJPjSE_EEENSF_IJSE_SE_EEES9_SG_JZNS1_25segmented_radix_sort_implINS0_14default_configELb0EPKfPfPKlPlN2at6native12_GLOBAL__N_18offset_tEEE10hipError_tPvRmT1_PNSt15iterator_traitsISY_E10value_typeET2_T3_PNSZ_IS14_E10value_typeET4_jRbjT5_S1A_jjP12ihipStream_tbEUljE_EEESV_SW_SX_S14_S18_S1A_T6_T7_T9_mT8_S1C_bDpT10_ENKUlT_T0_E_clISt17integral_constantIbLb1EES1P_EEDaS1K_S1L_EUlS1K_E_NS1_11comp_targetILNS1_3genE3ELNS1_11target_archE908ELNS1_3gpuE7ELNS1_3repE0EEENS1_30default_config_static_selectorELNS0_4arch9wavefront6targetE0EEEvSY_,comdat
	.globl	_ZN7rocprim17ROCPRIM_400000_NS6detail17trampoline_kernelINS0_13select_configILj256ELj13ELNS0_17block_load_methodE3ELS4_3ELS4_3ELNS0_20block_scan_algorithmE0ELj4294967295EEENS1_25partition_config_selectorILNS1_17partition_subalgoE3EjNS0_10empty_typeEbEEZZNS1_14partition_implILS8_3ELb0ES6_jNS0_17counting_iteratorIjlEEPS9_SE_NS0_5tupleIJPjSE_EEENSF_IJSE_SE_EEES9_SG_JZNS1_25segmented_radix_sort_implINS0_14default_configELb0EPKfPfPKlPlN2at6native12_GLOBAL__N_18offset_tEEE10hipError_tPvRmT1_PNSt15iterator_traitsISY_E10value_typeET2_T3_PNSZ_IS14_E10value_typeET4_jRbjT5_S1A_jjP12ihipStream_tbEUljE_EEESV_SW_SX_S14_S18_S1A_T6_T7_T9_mT8_S1C_bDpT10_ENKUlT_T0_E_clISt17integral_constantIbLb1EES1P_EEDaS1K_S1L_EUlS1K_E_NS1_11comp_targetILNS1_3genE3ELNS1_11target_archE908ELNS1_3gpuE7ELNS1_3repE0EEENS1_30default_config_static_selectorELNS0_4arch9wavefront6targetE0EEEvSY_ ; -- Begin function _ZN7rocprim17ROCPRIM_400000_NS6detail17trampoline_kernelINS0_13select_configILj256ELj13ELNS0_17block_load_methodE3ELS4_3ELS4_3ELNS0_20block_scan_algorithmE0ELj4294967295EEENS1_25partition_config_selectorILNS1_17partition_subalgoE3EjNS0_10empty_typeEbEEZZNS1_14partition_implILS8_3ELb0ES6_jNS0_17counting_iteratorIjlEEPS9_SE_NS0_5tupleIJPjSE_EEENSF_IJSE_SE_EEES9_SG_JZNS1_25segmented_radix_sort_implINS0_14default_configELb0EPKfPfPKlPlN2at6native12_GLOBAL__N_18offset_tEEE10hipError_tPvRmT1_PNSt15iterator_traitsISY_E10value_typeET2_T3_PNSZ_IS14_E10value_typeET4_jRbjT5_S1A_jjP12ihipStream_tbEUljE_EEESV_SW_SX_S14_S18_S1A_T6_T7_T9_mT8_S1C_bDpT10_ENKUlT_T0_E_clISt17integral_constantIbLb1EES1P_EEDaS1K_S1L_EUlS1K_E_NS1_11comp_targetILNS1_3genE3ELNS1_11target_archE908ELNS1_3gpuE7ELNS1_3repE0EEENS1_30default_config_static_selectorELNS0_4arch9wavefront6targetE0EEEvSY_
	.p2align	8
	.type	_ZN7rocprim17ROCPRIM_400000_NS6detail17trampoline_kernelINS0_13select_configILj256ELj13ELNS0_17block_load_methodE3ELS4_3ELS4_3ELNS0_20block_scan_algorithmE0ELj4294967295EEENS1_25partition_config_selectorILNS1_17partition_subalgoE3EjNS0_10empty_typeEbEEZZNS1_14partition_implILS8_3ELb0ES6_jNS0_17counting_iteratorIjlEEPS9_SE_NS0_5tupleIJPjSE_EEENSF_IJSE_SE_EEES9_SG_JZNS1_25segmented_radix_sort_implINS0_14default_configELb0EPKfPfPKlPlN2at6native12_GLOBAL__N_18offset_tEEE10hipError_tPvRmT1_PNSt15iterator_traitsISY_E10value_typeET2_T3_PNSZ_IS14_E10value_typeET4_jRbjT5_S1A_jjP12ihipStream_tbEUljE_EEESV_SW_SX_S14_S18_S1A_T6_T7_T9_mT8_S1C_bDpT10_ENKUlT_T0_E_clISt17integral_constantIbLb1EES1P_EEDaS1K_S1L_EUlS1K_E_NS1_11comp_targetILNS1_3genE3ELNS1_11target_archE908ELNS1_3gpuE7ELNS1_3repE0EEENS1_30default_config_static_selectorELNS0_4arch9wavefront6targetE0EEEvSY_,@function
_ZN7rocprim17ROCPRIM_400000_NS6detail17trampoline_kernelINS0_13select_configILj256ELj13ELNS0_17block_load_methodE3ELS4_3ELS4_3ELNS0_20block_scan_algorithmE0ELj4294967295EEENS1_25partition_config_selectorILNS1_17partition_subalgoE3EjNS0_10empty_typeEbEEZZNS1_14partition_implILS8_3ELb0ES6_jNS0_17counting_iteratorIjlEEPS9_SE_NS0_5tupleIJPjSE_EEENSF_IJSE_SE_EEES9_SG_JZNS1_25segmented_radix_sort_implINS0_14default_configELb0EPKfPfPKlPlN2at6native12_GLOBAL__N_18offset_tEEE10hipError_tPvRmT1_PNSt15iterator_traitsISY_E10value_typeET2_T3_PNSZ_IS14_E10value_typeET4_jRbjT5_S1A_jjP12ihipStream_tbEUljE_EEESV_SW_SX_S14_S18_S1A_T6_T7_T9_mT8_S1C_bDpT10_ENKUlT_T0_E_clISt17integral_constantIbLb1EES1P_EEDaS1K_S1L_EUlS1K_E_NS1_11comp_targetILNS1_3genE3ELNS1_11target_archE908ELNS1_3gpuE7ELNS1_3repE0EEENS1_30default_config_static_selectorELNS0_4arch9wavefront6targetE0EEEvSY_: ; @_ZN7rocprim17ROCPRIM_400000_NS6detail17trampoline_kernelINS0_13select_configILj256ELj13ELNS0_17block_load_methodE3ELS4_3ELS4_3ELNS0_20block_scan_algorithmE0ELj4294967295EEENS1_25partition_config_selectorILNS1_17partition_subalgoE3EjNS0_10empty_typeEbEEZZNS1_14partition_implILS8_3ELb0ES6_jNS0_17counting_iteratorIjlEEPS9_SE_NS0_5tupleIJPjSE_EEENSF_IJSE_SE_EEES9_SG_JZNS1_25segmented_radix_sort_implINS0_14default_configELb0EPKfPfPKlPlN2at6native12_GLOBAL__N_18offset_tEEE10hipError_tPvRmT1_PNSt15iterator_traitsISY_E10value_typeET2_T3_PNSZ_IS14_E10value_typeET4_jRbjT5_S1A_jjP12ihipStream_tbEUljE_EEESV_SW_SX_S14_S18_S1A_T6_T7_T9_mT8_S1C_bDpT10_ENKUlT_T0_E_clISt17integral_constantIbLb1EES1P_EEDaS1K_S1L_EUlS1K_E_NS1_11comp_targetILNS1_3genE3ELNS1_11target_archE908ELNS1_3gpuE7ELNS1_3repE0EEENS1_30default_config_static_selectorELNS0_4arch9wavefront6targetE0EEEvSY_
; %bb.0:
	.section	.rodata,"a",@progbits
	.p2align	6, 0x0
	.amdhsa_kernel _ZN7rocprim17ROCPRIM_400000_NS6detail17trampoline_kernelINS0_13select_configILj256ELj13ELNS0_17block_load_methodE3ELS4_3ELS4_3ELNS0_20block_scan_algorithmE0ELj4294967295EEENS1_25partition_config_selectorILNS1_17partition_subalgoE3EjNS0_10empty_typeEbEEZZNS1_14partition_implILS8_3ELb0ES6_jNS0_17counting_iteratorIjlEEPS9_SE_NS0_5tupleIJPjSE_EEENSF_IJSE_SE_EEES9_SG_JZNS1_25segmented_radix_sort_implINS0_14default_configELb0EPKfPfPKlPlN2at6native12_GLOBAL__N_18offset_tEEE10hipError_tPvRmT1_PNSt15iterator_traitsISY_E10value_typeET2_T3_PNSZ_IS14_E10value_typeET4_jRbjT5_S1A_jjP12ihipStream_tbEUljE_EEESV_SW_SX_S14_S18_S1A_T6_T7_T9_mT8_S1C_bDpT10_ENKUlT_T0_E_clISt17integral_constantIbLb1EES1P_EEDaS1K_S1L_EUlS1K_E_NS1_11comp_targetILNS1_3genE3ELNS1_11target_archE908ELNS1_3gpuE7ELNS1_3repE0EEENS1_30default_config_static_selectorELNS0_4arch9wavefront6targetE0EEEvSY_
		.amdhsa_group_segment_fixed_size 0
		.amdhsa_private_segment_fixed_size 0
		.amdhsa_kernarg_size 152
		.amdhsa_user_sgpr_count 6
		.amdhsa_user_sgpr_private_segment_buffer 1
		.amdhsa_user_sgpr_dispatch_ptr 0
		.amdhsa_user_sgpr_queue_ptr 0
		.amdhsa_user_sgpr_kernarg_segment_ptr 1
		.amdhsa_user_sgpr_dispatch_id 0
		.amdhsa_user_sgpr_flat_scratch_init 0
		.amdhsa_user_sgpr_private_segment_size 0
		.amdhsa_wavefront_size32 1
		.amdhsa_uses_dynamic_stack 0
		.amdhsa_system_sgpr_private_segment_wavefront_offset 0
		.amdhsa_system_sgpr_workgroup_id_x 1
		.amdhsa_system_sgpr_workgroup_id_y 0
		.amdhsa_system_sgpr_workgroup_id_z 0
		.amdhsa_system_sgpr_workgroup_info 0
		.amdhsa_system_vgpr_workitem_id 0
		.amdhsa_next_free_vgpr 1
		.amdhsa_next_free_sgpr 1
		.amdhsa_reserve_vcc 0
		.amdhsa_reserve_flat_scratch 0
		.amdhsa_float_round_mode_32 0
		.amdhsa_float_round_mode_16_64 0
		.amdhsa_float_denorm_mode_32 3
		.amdhsa_float_denorm_mode_16_64 3
		.amdhsa_dx10_clamp 1
		.amdhsa_ieee_mode 1
		.amdhsa_fp16_overflow 0
		.amdhsa_workgroup_processor_mode 1
		.amdhsa_memory_ordered 1
		.amdhsa_forward_progress 1
		.amdhsa_shared_vgpr_count 0
		.amdhsa_exception_fp_ieee_invalid_op 0
		.amdhsa_exception_fp_denorm_src 0
		.amdhsa_exception_fp_ieee_div_zero 0
		.amdhsa_exception_fp_ieee_overflow 0
		.amdhsa_exception_fp_ieee_underflow 0
		.amdhsa_exception_fp_ieee_inexact 0
		.amdhsa_exception_int_div_zero 0
	.end_amdhsa_kernel
	.section	.text._ZN7rocprim17ROCPRIM_400000_NS6detail17trampoline_kernelINS0_13select_configILj256ELj13ELNS0_17block_load_methodE3ELS4_3ELS4_3ELNS0_20block_scan_algorithmE0ELj4294967295EEENS1_25partition_config_selectorILNS1_17partition_subalgoE3EjNS0_10empty_typeEbEEZZNS1_14partition_implILS8_3ELb0ES6_jNS0_17counting_iteratorIjlEEPS9_SE_NS0_5tupleIJPjSE_EEENSF_IJSE_SE_EEES9_SG_JZNS1_25segmented_radix_sort_implINS0_14default_configELb0EPKfPfPKlPlN2at6native12_GLOBAL__N_18offset_tEEE10hipError_tPvRmT1_PNSt15iterator_traitsISY_E10value_typeET2_T3_PNSZ_IS14_E10value_typeET4_jRbjT5_S1A_jjP12ihipStream_tbEUljE_EEESV_SW_SX_S14_S18_S1A_T6_T7_T9_mT8_S1C_bDpT10_ENKUlT_T0_E_clISt17integral_constantIbLb1EES1P_EEDaS1K_S1L_EUlS1K_E_NS1_11comp_targetILNS1_3genE3ELNS1_11target_archE908ELNS1_3gpuE7ELNS1_3repE0EEENS1_30default_config_static_selectorELNS0_4arch9wavefront6targetE0EEEvSY_,"axG",@progbits,_ZN7rocprim17ROCPRIM_400000_NS6detail17trampoline_kernelINS0_13select_configILj256ELj13ELNS0_17block_load_methodE3ELS4_3ELS4_3ELNS0_20block_scan_algorithmE0ELj4294967295EEENS1_25partition_config_selectorILNS1_17partition_subalgoE3EjNS0_10empty_typeEbEEZZNS1_14partition_implILS8_3ELb0ES6_jNS0_17counting_iteratorIjlEEPS9_SE_NS0_5tupleIJPjSE_EEENSF_IJSE_SE_EEES9_SG_JZNS1_25segmented_radix_sort_implINS0_14default_configELb0EPKfPfPKlPlN2at6native12_GLOBAL__N_18offset_tEEE10hipError_tPvRmT1_PNSt15iterator_traitsISY_E10value_typeET2_T3_PNSZ_IS14_E10value_typeET4_jRbjT5_S1A_jjP12ihipStream_tbEUljE_EEESV_SW_SX_S14_S18_S1A_T6_T7_T9_mT8_S1C_bDpT10_ENKUlT_T0_E_clISt17integral_constantIbLb1EES1P_EEDaS1K_S1L_EUlS1K_E_NS1_11comp_targetILNS1_3genE3ELNS1_11target_archE908ELNS1_3gpuE7ELNS1_3repE0EEENS1_30default_config_static_selectorELNS0_4arch9wavefront6targetE0EEEvSY_,comdat
.Lfunc_end1399:
	.size	_ZN7rocprim17ROCPRIM_400000_NS6detail17trampoline_kernelINS0_13select_configILj256ELj13ELNS0_17block_load_methodE3ELS4_3ELS4_3ELNS0_20block_scan_algorithmE0ELj4294967295EEENS1_25partition_config_selectorILNS1_17partition_subalgoE3EjNS0_10empty_typeEbEEZZNS1_14partition_implILS8_3ELb0ES6_jNS0_17counting_iteratorIjlEEPS9_SE_NS0_5tupleIJPjSE_EEENSF_IJSE_SE_EEES9_SG_JZNS1_25segmented_radix_sort_implINS0_14default_configELb0EPKfPfPKlPlN2at6native12_GLOBAL__N_18offset_tEEE10hipError_tPvRmT1_PNSt15iterator_traitsISY_E10value_typeET2_T3_PNSZ_IS14_E10value_typeET4_jRbjT5_S1A_jjP12ihipStream_tbEUljE_EEESV_SW_SX_S14_S18_S1A_T6_T7_T9_mT8_S1C_bDpT10_ENKUlT_T0_E_clISt17integral_constantIbLb1EES1P_EEDaS1K_S1L_EUlS1K_E_NS1_11comp_targetILNS1_3genE3ELNS1_11target_archE908ELNS1_3gpuE7ELNS1_3repE0EEENS1_30default_config_static_selectorELNS0_4arch9wavefront6targetE0EEEvSY_, .Lfunc_end1399-_ZN7rocprim17ROCPRIM_400000_NS6detail17trampoline_kernelINS0_13select_configILj256ELj13ELNS0_17block_load_methodE3ELS4_3ELS4_3ELNS0_20block_scan_algorithmE0ELj4294967295EEENS1_25partition_config_selectorILNS1_17partition_subalgoE3EjNS0_10empty_typeEbEEZZNS1_14partition_implILS8_3ELb0ES6_jNS0_17counting_iteratorIjlEEPS9_SE_NS0_5tupleIJPjSE_EEENSF_IJSE_SE_EEES9_SG_JZNS1_25segmented_radix_sort_implINS0_14default_configELb0EPKfPfPKlPlN2at6native12_GLOBAL__N_18offset_tEEE10hipError_tPvRmT1_PNSt15iterator_traitsISY_E10value_typeET2_T3_PNSZ_IS14_E10value_typeET4_jRbjT5_S1A_jjP12ihipStream_tbEUljE_EEESV_SW_SX_S14_S18_S1A_T6_T7_T9_mT8_S1C_bDpT10_ENKUlT_T0_E_clISt17integral_constantIbLb1EES1P_EEDaS1K_S1L_EUlS1K_E_NS1_11comp_targetILNS1_3genE3ELNS1_11target_archE908ELNS1_3gpuE7ELNS1_3repE0EEENS1_30default_config_static_selectorELNS0_4arch9wavefront6targetE0EEEvSY_
                                        ; -- End function
	.set _ZN7rocprim17ROCPRIM_400000_NS6detail17trampoline_kernelINS0_13select_configILj256ELj13ELNS0_17block_load_methodE3ELS4_3ELS4_3ELNS0_20block_scan_algorithmE0ELj4294967295EEENS1_25partition_config_selectorILNS1_17partition_subalgoE3EjNS0_10empty_typeEbEEZZNS1_14partition_implILS8_3ELb0ES6_jNS0_17counting_iteratorIjlEEPS9_SE_NS0_5tupleIJPjSE_EEENSF_IJSE_SE_EEES9_SG_JZNS1_25segmented_radix_sort_implINS0_14default_configELb0EPKfPfPKlPlN2at6native12_GLOBAL__N_18offset_tEEE10hipError_tPvRmT1_PNSt15iterator_traitsISY_E10value_typeET2_T3_PNSZ_IS14_E10value_typeET4_jRbjT5_S1A_jjP12ihipStream_tbEUljE_EEESV_SW_SX_S14_S18_S1A_T6_T7_T9_mT8_S1C_bDpT10_ENKUlT_T0_E_clISt17integral_constantIbLb1EES1P_EEDaS1K_S1L_EUlS1K_E_NS1_11comp_targetILNS1_3genE3ELNS1_11target_archE908ELNS1_3gpuE7ELNS1_3repE0EEENS1_30default_config_static_selectorELNS0_4arch9wavefront6targetE0EEEvSY_.num_vgpr, 0
	.set _ZN7rocprim17ROCPRIM_400000_NS6detail17trampoline_kernelINS0_13select_configILj256ELj13ELNS0_17block_load_methodE3ELS4_3ELS4_3ELNS0_20block_scan_algorithmE0ELj4294967295EEENS1_25partition_config_selectorILNS1_17partition_subalgoE3EjNS0_10empty_typeEbEEZZNS1_14partition_implILS8_3ELb0ES6_jNS0_17counting_iteratorIjlEEPS9_SE_NS0_5tupleIJPjSE_EEENSF_IJSE_SE_EEES9_SG_JZNS1_25segmented_radix_sort_implINS0_14default_configELb0EPKfPfPKlPlN2at6native12_GLOBAL__N_18offset_tEEE10hipError_tPvRmT1_PNSt15iterator_traitsISY_E10value_typeET2_T3_PNSZ_IS14_E10value_typeET4_jRbjT5_S1A_jjP12ihipStream_tbEUljE_EEESV_SW_SX_S14_S18_S1A_T6_T7_T9_mT8_S1C_bDpT10_ENKUlT_T0_E_clISt17integral_constantIbLb1EES1P_EEDaS1K_S1L_EUlS1K_E_NS1_11comp_targetILNS1_3genE3ELNS1_11target_archE908ELNS1_3gpuE7ELNS1_3repE0EEENS1_30default_config_static_selectorELNS0_4arch9wavefront6targetE0EEEvSY_.num_agpr, 0
	.set _ZN7rocprim17ROCPRIM_400000_NS6detail17trampoline_kernelINS0_13select_configILj256ELj13ELNS0_17block_load_methodE3ELS4_3ELS4_3ELNS0_20block_scan_algorithmE0ELj4294967295EEENS1_25partition_config_selectorILNS1_17partition_subalgoE3EjNS0_10empty_typeEbEEZZNS1_14partition_implILS8_3ELb0ES6_jNS0_17counting_iteratorIjlEEPS9_SE_NS0_5tupleIJPjSE_EEENSF_IJSE_SE_EEES9_SG_JZNS1_25segmented_radix_sort_implINS0_14default_configELb0EPKfPfPKlPlN2at6native12_GLOBAL__N_18offset_tEEE10hipError_tPvRmT1_PNSt15iterator_traitsISY_E10value_typeET2_T3_PNSZ_IS14_E10value_typeET4_jRbjT5_S1A_jjP12ihipStream_tbEUljE_EEESV_SW_SX_S14_S18_S1A_T6_T7_T9_mT8_S1C_bDpT10_ENKUlT_T0_E_clISt17integral_constantIbLb1EES1P_EEDaS1K_S1L_EUlS1K_E_NS1_11comp_targetILNS1_3genE3ELNS1_11target_archE908ELNS1_3gpuE7ELNS1_3repE0EEENS1_30default_config_static_selectorELNS0_4arch9wavefront6targetE0EEEvSY_.numbered_sgpr, 0
	.set _ZN7rocprim17ROCPRIM_400000_NS6detail17trampoline_kernelINS0_13select_configILj256ELj13ELNS0_17block_load_methodE3ELS4_3ELS4_3ELNS0_20block_scan_algorithmE0ELj4294967295EEENS1_25partition_config_selectorILNS1_17partition_subalgoE3EjNS0_10empty_typeEbEEZZNS1_14partition_implILS8_3ELb0ES6_jNS0_17counting_iteratorIjlEEPS9_SE_NS0_5tupleIJPjSE_EEENSF_IJSE_SE_EEES9_SG_JZNS1_25segmented_radix_sort_implINS0_14default_configELb0EPKfPfPKlPlN2at6native12_GLOBAL__N_18offset_tEEE10hipError_tPvRmT1_PNSt15iterator_traitsISY_E10value_typeET2_T3_PNSZ_IS14_E10value_typeET4_jRbjT5_S1A_jjP12ihipStream_tbEUljE_EEESV_SW_SX_S14_S18_S1A_T6_T7_T9_mT8_S1C_bDpT10_ENKUlT_T0_E_clISt17integral_constantIbLb1EES1P_EEDaS1K_S1L_EUlS1K_E_NS1_11comp_targetILNS1_3genE3ELNS1_11target_archE908ELNS1_3gpuE7ELNS1_3repE0EEENS1_30default_config_static_selectorELNS0_4arch9wavefront6targetE0EEEvSY_.num_named_barrier, 0
	.set _ZN7rocprim17ROCPRIM_400000_NS6detail17trampoline_kernelINS0_13select_configILj256ELj13ELNS0_17block_load_methodE3ELS4_3ELS4_3ELNS0_20block_scan_algorithmE0ELj4294967295EEENS1_25partition_config_selectorILNS1_17partition_subalgoE3EjNS0_10empty_typeEbEEZZNS1_14partition_implILS8_3ELb0ES6_jNS0_17counting_iteratorIjlEEPS9_SE_NS0_5tupleIJPjSE_EEENSF_IJSE_SE_EEES9_SG_JZNS1_25segmented_radix_sort_implINS0_14default_configELb0EPKfPfPKlPlN2at6native12_GLOBAL__N_18offset_tEEE10hipError_tPvRmT1_PNSt15iterator_traitsISY_E10value_typeET2_T3_PNSZ_IS14_E10value_typeET4_jRbjT5_S1A_jjP12ihipStream_tbEUljE_EEESV_SW_SX_S14_S18_S1A_T6_T7_T9_mT8_S1C_bDpT10_ENKUlT_T0_E_clISt17integral_constantIbLb1EES1P_EEDaS1K_S1L_EUlS1K_E_NS1_11comp_targetILNS1_3genE3ELNS1_11target_archE908ELNS1_3gpuE7ELNS1_3repE0EEENS1_30default_config_static_selectorELNS0_4arch9wavefront6targetE0EEEvSY_.private_seg_size, 0
	.set _ZN7rocprim17ROCPRIM_400000_NS6detail17trampoline_kernelINS0_13select_configILj256ELj13ELNS0_17block_load_methodE3ELS4_3ELS4_3ELNS0_20block_scan_algorithmE0ELj4294967295EEENS1_25partition_config_selectorILNS1_17partition_subalgoE3EjNS0_10empty_typeEbEEZZNS1_14partition_implILS8_3ELb0ES6_jNS0_17counting_iteratorIjlEEPS9_SE_NS0_5tupleIJPjSE_EEENSF_IJSE_SE_EEES9_SG_JZNS1_25segmented_radix_sort_implINS0_14default_configELb0EPKfPfPKlPlN2at6native12_GLOBAL__N_18offset_tEEE10hipError_tPvRmT1_PNSt15iterator_traitsISY_E10value_typeET2_T3_PNSZ_IS14_E10value_typeET4_jRbjT5_S1A_jjP12ihipStream_tbEUljE_EEESV_SW_SX_S14_S18_S1A_T6_T7_T9_mT8_S1C_bDpT10_ENKUlT_T0_E_clISt17integral_constantIbLb1EES1P_EEDaS1K_S1L_EUlS1K_E_NS1_11comp_targetILNS1_3genE3ELNS1_11target_archE908ELNS1_3gpuE7ELNS1_3repE0EEENS1_30default_config_static_selectorELNS0_4arch9wavefront6targetE0EEEvSY_.uses_vcc, 0
	.set _ZN7rocprim17ROCPRIM_400000_NS6detail17trampoline_kernelINS0_13select_configILj256ELj13ELNS0_17block_load_methodE3ELS4_3ELS4_3ELNS0_20block_scan_algorithmE0ELj4294967295EEENS1_25partition_config_selectorILNS1_17partition_subalgoE3EjNS0_10empty_typeEbEEZZNS1_14partition_implILS8_3ELb0ES6_jNS0_17counting_iteratorIjlEEPS9_SE_NS0_5tupleIJPjSE_EEENSF_IJSE_SE_EEES9_SG_JZNS1_25segmented_radix_sort_implINS0_14default_configELb0EPKfPfPKlPlN2at6native12_GLOBAL__N_18offset_tEEE10hipError_tPvRmT1_PNSt15iterator_traitsISY_E10value_typeET2_T3_PNSZ_IS14_E10value_typeET4_jRbjT5_S1A_jjP12ihipStream_tbEUljE_EEESV_SW_SX_S14_S18_S1A_T6_T7_T9_mT8_S1C_bDpT10_ENKUlT_T0_E_clISt17integral_constantIbLb1EES1P_EEDaS1K_S1L_EUlS1K_E_NS1_11comp_targetILNS1_3genE3ELNS1_11target_archE908ELNS1_3gpuE7ELNS1_3repE0EEENS1_30default_config_static_selectorELNS0_4arch9wavefront6targetE0EEEvSY_.uses_flat_scratch, 0
	.set _ZN7rocprim17ROCPRIM_400000_NS6detail17trampoline_kernelINS0_13select_configILj256ELj13ELNS0_17block_load_methodE3ELS4_3ELS4_3ELNS0_20block_scan_algorithmE0ELj4294967295EEENS1_25partition_config_selectorILNS1_17partition_subalgoE3EjNS0_10empty_typeEbEEZZNS1_14partition_implILS8_3ELb0ES6_jNS0_17counting_iteratorIjlEEPS9_SE_NS0_5tupleIJPjSE_EEENSF_IJSE_SE_EEES9_SG_JZNS1_25segmented_radix_sort_implINS0_14default_configELb0EPKfPfPKlPlN2at6native12_GLOBAL__N_18offset_tEEE10hipError_tPvRmT1_PNSt15iterator_traitsISY_E10value_typeET2_T3_PNSZ_IS14_E10value_typeET4_jRbjT5_S1A_jjP12ihipStream_tbEUljE_EEESV_SW_SX_S14_S18_S1A_T6_T7_T9_mT8_S1C_bDpT10_ENKUlT_T0_E_clISt17integral_constantIbLb1EES1P_EEDaS1K_S1L_EUlS1K_E_NS1_11comp_targetILNS1_3genE3ELNS1_11target_archE908ELNS1_3gpuE7ELNS1_3repE0EEENS1_30default_config_static_selectorELNS0_4arch9wavefront6targetE0EEEvSY_.has_dyn_sized_stack, 0
	.set _ZN7rocprim17ROCPRIM_400000_NS6detail17trampoline_kernelINS0_13select_configILj256ELj13ELNS0_17block_load_methodE3ELS4_3ELS4_3ELNS0_20block_scan_algorithmE0ELj4294967295EEENS1_25partition_config_selectorILNS1_17partition_subalgoE3EjNS0_10empty_typeEbEEZZNS1_14partition_implILS8_3ELb0ES6_jNS0_17counting_iteratorIjlEEPS9_SE_NS0_5tupleIJPjSE_EEENSF_IJSE_SE_EEES9_SG_JZNS1_25segmented_radix_sort_implINS0_14default_configELb0EPKfPfPKlPlN2at6native12_GLOBAL__N_18offset_tEEE10hipError_tPvRmT1_PNSt15iterator_traitsISY_E10value_typeET2_T3_PNSZ_IS14_E10value_typeET4_jRbjT5_S1A_jjP12ihipStream_tbEUljE_EEESV_SW_SX_S14_S18_S1A_T6_T7_T9_mT8_S1C_bDpT10_ENKUlT_T0_E_clISt17integral_constantIbLb1EES1P_EEDaS1K_S1L_EUlS1K_E_NS1_11comp_targetILNS1_3genE3ELNS1_11target_archE908ELNS1_3gpuE7ELNS1_3repE0EEENS1_30default_config_static_selectorELNS0_4arch9wavefront6targetE0EEEvSY_.has_recursion, 0
	.set _ZN7rocprim17ROCPRIM_400000_NS6detail17trampoline_kernelINS0_13select_configILj256ELj13ELNS0_17block_load_methodE3ELS4_3ELS4_3ELNS0_20block_scan_algorithmE0ELj4294967295EEENS1_25partition_config_selectorILNS1_17partition_subalgoE3EjNS0_10empty_typeEbEEZZNS1_14partition_implILS8_3ELb0ES6_jNS0_17counting_iteratorIjlEEPS9_SE_NS0_5tupleIJPjSE_EEENSF_IJSE_SE_EEES9_SG_JZNS1_25segmented_radix_sort_implINS0_14default_configELb0EPKfPfPKlPlN2at6native12_GLOBAL__N_18offset_tEEE10hipError_tPvRmT1_PNSt15iterator_traitsISY_E10value_typeET2_T3_PNSZ_IS14_E10value_typeET4_jRbjT5_S1A_jjP12ihipStream_tbEUljE_EEESV_SW_SX_S14_S18_S1A_T6_T7_T9_mT8_S1C_bDpT10_ENKUlT_T0_E_clISt17integral_constantIbLb1EES1P_EEDaS1K_S1L_EUlS1K_E_NS1_11comp_targetILNS1_3genE3ELNS1_11target_archE908ELNS1_3gpuE7ELNS1_3repE0EEENS1_30default_config_static_selectorELNS0_4arch9wavefront6targetE0EEEvSY_.has_indirect_call, 0
	.section	.AMDGPU.csdata,"",@progbits
; Kernel info:
; codeLenInByte = 0
; TotalNumSgprs: 0
; NumVgprs: 0
; ScratchSize: 0
; MemoryBound: 0
; FloatMode: 240
; IeeeMode: 1
; LDSByteSize: 0 bytes/workgroup (compile time only)
; SGPRBlocks: 0
; VGPRBlocks: 0
; NumSGPRsForWavesPerEU: 1
; NumVGPRsForWavesPerEU: 1
; Occupancy: 16
; WaveLimiterHint : 0
; COMPUTE_PGM_RSRC2:SCRATCH_EN: 0
; COMPUTE_PGM_RSRC2:USER_SGPR: 6
; COMPUTE_PGM_RSRC2:TRAP_HANDLER: 0
; COMPUTE_PGM_RSRC2:TGID_X_EN: 1
; COMPUTE_PGM_RSRC2:TGID_Y_EN: 0
; COMPUTE_PGM_RSRC2:TGID_Z_EN: 0
; COMPUTE_PGM_RSRC2:TIDIG_COMP_CNT: 0
	.section	.text._ZN7rocprim17ROCPRIM_400000_NS6detail17trampoline_kernelINS0_13select_configILj256ELj13ELNS0_17block_load_methodE3ELS4_3ELS4_3ELNS0_20block_scan_algorithmE0ELj4294967295EEENS1_25partition_config_selectorILNS1_17partition_subalgoE3EjNS0_10empty_typeEbEEZZNS1_14partition_implILS8_3ELb0ES6_jNS0_17counting_iteratorIjlEEPS9_SE_NS0_5tupleIJPjSE_EEENSF_IJSE_SE_EEES9_SG_JZNS1_25segmented_radix_sort_implINS0_14default_configELb0EPKfPfPKlPlN2at6native12_GLOBAL__N_18offset_tEEE10hipError_tPvRmT1_PNSt15iterator_traitsISY_E10value_typeET2_T3_PNSZ_IS14_E10value_typeET4_jRbjT5_S1A_jjP12ihipStream_tbEUljE_EEESV_SW_SX_S14_S18_S1A_T6_T7_T9_mT8_S1C_bDpT10_ENKUlT_T0_E_clISt17integral_constantIbLb1EES1P_EEDaS1K_S1L_EUlS1K_E_NS1_11comp_targetILNS1_3genE2ELNS1_11target_archE906ELNS1_3gpuE6ELNS1_3repE0EEENS1_30default_config_static_selectorELNS0_4arch9wavefront6targetE0EEEvSY_,"axG",@progbits,_ZN7rocprim17ROCPRIM_400000_NS6detail17trampoline_kernelINS0_13select_configILj256ELj13ELNS0_17block_load_methodE3ELS4_3ELS4_3ELNS0_20block_scan_algorithmE0ELj4294967295EEENS1_25partition_config_selectorILNS1_17partition_subalgoE3EjNS0_10empty_typeEbEEZZNS1_14partition_implILS8_3ELb0ES6_jNS0_17counting_iteratorIjlEEPS9_SE_NS0_5tupleIJPjSE_EEENSF_IJSE_SE_EEES9_SG_JZNS1_25segmented_radix_sort_implINS0_14default_configELb0EPKfPfPKlPlN2at6native12_GLOBAL__N_18offset_tEEE10hipError_tPvRmT1_PNSt15iterator_traitsISY_E10value_typeET2_T3_PNSZ_IS14_E10value_typeET4_jRbjT5_S1A_jjP12ihipStream_tbEUljE_EEESV_SW_SX_S14_S18_S1A_T6_T7_T9_mT8_S1C_bDpT10_ENKUlT_T0_E_clISt17integral_constantIbLb1EES1P_EEDaS1K_S1L_EUlS1K_E_NS1_11comp_targetILNS1_3genE2ELNS1_11target_archE906ELNS1_3gpuE6ELNS1_3repE0EEENS1_30default_config_static_selectorELNS0_4arch9wavefront6targetE0EEEvSY_,comdat
	.globl	_ZN7rocprim17ROCPRIM_400000_NS6detail17trampoline_kernelINS0_13select_configILj256ELj13ELNS0_17block_load_methodE3ELS4_3ELS4_3ELNS0_20block_scan_algorithmE0ELj4294967295EEENS1_25partition_config_selectorILNS1_17partition_subalgoE3EjNS0_10empty_typeEbEEZZNS1_14partition_implILS8_3ELb0ES6_jNS0_17counting_iteratorIjlEEPS9_SE_NS0_5tupleIJPjSE_EEENSF_IJSE_SE_EEES9_SG_JZNS1_25segmented_radix_sort_implINS0_14default_configELb0EPKfPfPKlPlN2at6native12_GLOBAL__N_18offset_tEEE10hipError_tPvRmT1_PNSt15iterator_traitsISY_E10value_typeET2_T3_PNSZ_IS14_E10value_typeET4_jRbjT5_S1A_jjP12ihipStream_tbEUljE_EEESV_SW_SX_S14_S18_S1A_T6_T7_T9_mT8_S1C_bDpT10_ENKUlT_T0_E_clISt17integral_constantIbLb1EES1P_EEDaS1K_S1L_EUlS1K_E_NS1_11comp_targetILNS1_3genE2ELNS1_11target_archE906ELNS1_3gpuE6ELNS1_3repE0EEENS1_30default_config_static_selectorELNS0_4arch9wavefront6targetE0EEEvSY_ ; -- Begin function _ZN7rocprim17ROCPRIM_400000_NS6detail17trampoline_kernelINS0_13select_configILj256ELj13ELNS0_17block_load_methodE3ELS4_3ELS4_3ELNS0_20block_scan_algorithmE0ELj4294967295EEENS1_25partition_config_selectorILNS1_17partition_subalgoE3EjNS0_10empty_typeEbEEZZNS1_14partition_implILS8_3ELb0ES6_jNS0_17counting_iteratorIjlEEPS9_SE_NS0_5tupleIJPjSE_EEENSF_IJSE_SE_EEES9_SG_JZNS1_25segmented_radix_sort_implINS0_14default_configELb0EPKfPfPKlPlN2at6native12_GLOBAL__N_18offset_tEEE10hipError_tPvRmT1_PNSt15iterator_traitsISY_E10value_typeET2_T3_PNSZ_IS14_E10value_typeET4_jRbjT5_S1A_jjP12ihipStream_tbEUljE_EEESV_SW_SX_S14_S18_S1A_T6_T7_T9_mT8_S1C_bDpT10_ENKUlT_T0_E_clISt17integral_constantIbLb1EES1P_EEDaS1K_S1L_EUlS1K_E_NS1_11comp_targetILNS1_3genE2ELNS1_11target_archE906ELNS1_3gpuE6ELNS1_3repE0EEENS1_30default_config_static_selectorELNS0_4arch9wavefront6targetE0EEEvSY_
	.p2align	8
	.type	_ZN7rocprim17ROCPRIM_400000_NS6detail17trampoline_kernelINS0_13select_configILj256ELj13ELNS0_17block_load_methodE3ELS4_3ELS4_3ELNS0_20block_scan_algorithmE0ELj4294967295EEENS1_25partition_config_selectorILNS1_17partition_subalgoE3EjNS0_10empty_typeEbEEZZNS1_14partition_implILS8_3ELb0ES6_jNS0_17counting_iteratorIjlEEPS9_SE_NS0_5tupleIJPjSE_EEENSF_IJSE_SE_EEES9_SG_JZNS1_25segmented_radix_sort_implINS0_14default_configELb0EPKfPfPKlPlN2at6native12_GLOBAL__N_18offset_tEEE10hipError_tPvRmT1_PNSt15iterator_traitsISY_E10value_typeET2_T3_PNSZ_IS14_E10value_typeET4_jRbjT5_S1A_jjP12ihipStream_tbEUljE_EEESV_SW_SX_S14_S18_S1A_T6_T7_T9_mT8_S1C_bDpT10_ENKUlT_T0_E_clISt17integral_constantIbLb1EES1P_EEDaS1K_S1L_EUlS1K_E_NS1_11comp_targetILNS1_3genE2ELNS1_11target_archE906ELNS1_3gpuE6ELNS1_3repE0EEENS1_30default_config_static_selectorELNS0_4arch9wavefront6targetE0EEEvSY_,@function
_ZN7rocprim17ROCPRIM_400000_NS6detail17trampoline_kernelINS0_13select_configILj256ELj13ELNS0_17block_load_methodE3ELS4_3ELS4_3ELNS0_20block_scan_algorithmE0ELj4294967295EEENS1_25partition_config_selectorILNS1_17partition_subalgoE3EjNS0_10empty_typeEbEEZZNS1_14partition_implILS8_3ELb0ES6_jNS0_17counting_iteratorIjlEEPS9_SE_NS0_5tupleIJPjSE_EEENSF_IJSE_SE_EEES9_SG_JZNS1_25segmented_radix_sort_implINS0_14default_configELb0EPKfPfPKlPlN2at6native12_GLOBAL__N_18offset_tEEE10hipError_tPvRmT1_PNSt15iterator_traitsISY_E10value_typeET2_T3_PNSZ_IS14_E10value_typeET4_jRbjT5_S1A_jjP12ihipStream_tbEUljE_EEESV_SW_SX_S14_S18_S1A_T6_T7_T9_mT8_S1C_bDpT10_ENKUlT_T0_E_clISt17integral_constantIbLb1EES1P_EEDaS1K_S1L_EUlS1K_E_NS1_11comp_targetILNS1_3genE2ELNS1_11target_archE906ELNS1_3gpuE6ELNS1_3repE0EEENS1_30default_config_static_selectorELNS0_4arch9wavefront6targetE0EEEvSY_: ; @_ZN7rocprim17ROCPRIM_400000_NS6detail17trampoline_kernelINS0_13select_configILj256ELj13ELNS0_17block_load_methodE3ELS4_3ELS4_3ELNS0_20block_scan_algorithmE0ELj4294967295EEENS1_25partition_config_selectorILNS1_17partition_subalgoE3EjNS0_10empty_typeEbEEZZNS1_14partition_implILS8_3ELb0ES6_jNS0_17counting_iteratorIjlEEPS9_SE_NS0_5tupleIJPjSE_EEENSF_IJSE_SE_EEES9_SG_JZNS1_25segmented_radix_sort_implINS0_14default_configELb0EPKfPfPKlPlN2at6native12_GLOBAL__N_18offset_tEEE10hipError_tPvRmT1_PNSt15iterator_traitsISY_E10value_typeET2_T3_PNSZ_IS14_E10value_typeET4_jRbjT5_S1A_jjP12ihipStream_tbEUljE_EEESV_SW_SX_S14_S18_S1A_T6_T7_T9_mT8_S1C_bDpT10_ENKUlT_T0_E_clISt17integral_constantIbLb1EES1P_EEDaS1K_S1L_EUlS1K_E_NS1_11comp_targetILNS1_3genE2ELNS1_11target_archE906ELNS1_3gpuE6ELNS1_3repE0EEENS1_30default_config_static_selectorELNS0_4arch9wavefront6targetE0EEEvSY_
; %bb.0:
	.section	.rodata,"a",@progbits
	.p2align	6, 0x0
	.amdhsa_kernel _ZN7rocprim17ROCPRIM_400000_NS6detail17trampoline_kernelINS0_13select_configILj256ELj13ELNS0_17block_load_methodE3ELS4_3ELS4_3ELNS0_20block_scan_algorithmE0ELj4294967295EEENS1_25partition_config_selectorILNS1_17partition_subalgoE3EjNS0_10empty_typeEbEEZZNS1_14partition_implILS8_3ELb0ES6_jNS0_17counting_iteratorIjlEEPS9_SE_NS0_5tupleIJPjSE_EEENSF_IJSE_SE_EEES9_SG_JZNS1_25segmented_radix_sort_implINS0_14default_configELb0EPKfPfPKlPlN2at6native12_GLOBAL__N_18offset_tEEE10hipError_tPvRmT1_PNSt15iterator_traitsISY_E10value_typeET2_T3_PNSZ_IS14_E10value_typeET4_jRbjT5_S1A_jjP12ihipStream_tbEUljE_EEESV_SW_SX_S14_S18_S1A_T6_T7_T9_mT8_S1C_bDpT10_ENKUlT_T0_E_clISt17integral_constantIbLb1EES1P_EEDaS1K_S1L_EUlS1K_E_NS1_11comp_targetILNS1_3genE2ELNS1_11target_archE906ELNS1_3gpuE6ELNS1_3repE0EEENS1_30default_config_static_selectorELNS0_4arch9wavefront6targetE0EEEvSY_
		.amdhsa_group_segment_fixed_size 0
		.amdhsa_private_segment_fixed_size 0
		.amdhsa_kernarg_size 152
		.amdhsa_user_sgpr_count 6
		.amdhsa_user_sgpr_private_segment_buffer 1
		.amdhsa_user_sgpr_dispatch_ptr 0
		.amdhsa_user_sgpr_queue_ptr 0
		.amdhsa_user_sgpr_kernarg_segment_ptr 1
		.amdhsa_user_sgpr_dispatch_id 0
		.amdhsa_user_sgpr_flat_scratch_init 0
		.amdhsa_user_sgpr_private_segment_size 0
		.amdhsa_wavefront_size32 1
		.amdhsa_uses_dynamic_stack 0
		.amdhsa_system_sgpr_private_segment_wavefront_offset 0
		.amdhsa_system_sgpr_workgroup_id_x 1
		.amdhsa_system_sgpr_workgroup_id_y 0
		.amdhsa_system_sgpr_workgroup_id_z 0
		.amdhsa_system_sgpr_workgroup_info 0
		.amdhsa_system_vgpr_workitem_id 0
		.amdhsa_next_free_vgpr 1
		.amdhsa_next_free_sgpr 1
		.amdhsa_reserve_vcc 0
		.amdhsa_reserve_flat_scratch 0
		.amdhsa_float_round_mode_32 0
		.amdhsa_float_round_mode_16_64 0
		.amdhsa_float_denorm_mode_32 3
		.amdhsa_float_denorm_mode_16_64 3
		.amdhsa_dx10_clamp 1
		.amdhsa_ieee_mode 1
		.amdhsa_fp16_overflow 0
		.amdhsa_workgroup_processor_mode 1
		.amdhsa_memory_ordered 1
		.amdhsa_forward_progress 1
		.amdhsa_shared_vgpr_count 0
		.amdhsa_exception_fp_ieee_invalid_op 0
		.amdhsa_exception_fp_denorm_src 0
		.amdhsa_exception_fp_ieee_div_zero 0
		.amdhsa_exception_fp_ieee_overflow 0
		.amdhsa_exception_fp_ieee_underflow 0
		.amdhsa_exception_fp_ieee_inexact 0
		.amdhsa_exception_int_div_zero 0
	.end_amdhsa_kernel
	.section	.text._ZN7rocprim17ROCPRIM_400000_NS6detail17trampoline_kernelINS0_13select_configILj256ELj13ELNS0_17block_load_methodE3ELS4_3ELS4_3ELNS0_20block_scan_algorithmE0ELj4294967295EEENS1_25partition_config_selectorILNS1_17partition_subalgoE3EjNS0_10empty_typeEbEEZZNS1_14partition_implILS8_3ELb0ES6_jNS0_17counting_iteratorIjlEEPS9_SE_NS0_5tupleIJPjSE_EEENSF_IJSE_SE_EEES9_SG_JZNS1_25segmented_radix_sort_implINS0_14default_configELb0EPKfPfPKlPlN2at6native12_GLOBAL__N_18offset_tEEE10hipError_tPvRmT1_PNSt15iterator_traitsISY_E10value_typeET2_T3_PNSZ_IS14_E10value_typeET4_jRbjT5_S1A_jjP12ihipStream_tbEUljE_EEESV_SW_SX_S14_S18_S1A_T6_T7_T9_mT8_S1C_bDpT10_ENKUlT_T0_E_clISt17integral_constantIbLb1EES1P_EEDaS1K_S1L_EUlS1K_E_NS1_11comp_targetILNS1_3genE2ELNS1_11target_archE906ELNS1_3gpuE6ELNS1_3repE0EEENS1_30default_config_static_selectorELNS0_4arch9wavefront6targetE0EEEvSY_,"axG",@progbits,_ZN7rocprim17ROCPRIM_400000_NS6detail17trampoline_kernelINS0_13select_configILj256ELj13ELNS0_17block_load_methodE3ELS4_3ELS4_3ELNS0_20block_scan_algorithmE0ELj4294967295EEENS1_25partition_config_selectorILNS1_17partition_subalgoE3EjNS0_10empty_typeEbEEZZNS1_14partition_implILS8_3ELb0ES6_jNS0_17counting_iteratorIjlEEPS9_SE_NS0_5tupleIJPjSE_EEENSF_IJSE_SE_EEES9_SG_JZNS1_25segmented_radix_sort_implINS0_14default_configELb0EPKfPfPKlPlN2at6native12_GLOBAL__N_18offset_tEEE10hipError_tPvRmT1_PNSt15iterator_traitsISY_E10value_typeET2_T3_PNSZ_IS14_E10value_typeET4_jRbjT5_S1A_jjP12ihipStream_tbEUljE_EEESV_SW_SX_S14_S18_S1A_T6_T7_T9_mT8_S1C_bDpT10_ENKUlT_T0_E_clISt17integral_constantIbLb1EES1P_EEDaS1K_S1L_EUlS1K_E_NS1_11comp_targetILNS1_3genE2ELNS1_11target_archE906ELNS1_3gpuE6ELNS1_3repE0EEENS1_30default_config_static_selectorELNS0_4arch9wavefront6targetE0EEEvSY_,comdat
.Lfunc_end1400:
	.size	_ZN7rocprim17ROCPRIM_400000_NS6detail17trampoline_kernelINS0_13select_configILj256ELj13ELNS0_17block_load_methodE3ELS4_3ELS4_3ELNS0_20block_scan_algorithmE0ELj4294967295EEENS1_25partition_config_selectorILNS1_17partition_subalgoE3EjNS0_10empty_typeEbEEZZNS1_14partition_implILS8_3ELb0ES6_jNS0_17counting_iteratorIjlEEPS9_SE_NS0_5tupleIJPjSE_EEENSF_IJSE_SE_EEES9_SG_JZNS1_25segmented_radix_sort_implINS0_14default_configELb0EPKfPfPKlPlN2at6native12_GLOBAL__N_18offset_tEEE10hipError_tPvRmT1_PNSt15iterator_traitsISY_E10value_typeET2_T3_PNSZ_IS14_E10value_typeET4_jRbjT5_S1A_jjP12ihipStream_tbEUljE_EEESV_SW_SX_S14_S18_S1A_T6_T7_T9_mT8_S1C_bDpT10_ENKUlT_T0_E_clISt17integral_constantIbLb1EES1P_EEDaS1K_S1L_EUlS1K_E_NS1_11comp_targetILNS1_3genE2ELNS1_11target_archE906ELNS1_3gpuE6ELNS1_3repE0EEENS1_30default_config_static_selectorELNS0_4arch9wavefront6targetE0EEEvSY_, .Lfunc_end1400-_ZN7rocprim17ROCPRIM_400000_NS6detail17trampoline_kernelINS0_13select_configILj256ELj13ELNS0_17block_load_methodE3ELS4_3ELS4_3ELNS0_20block_scan_algorithmE0ELj4294967295EEENS1_25partition_config_selectorILNS1_17partition_subalgoE3EjNS0_10empty_typeEbEEZZNS1_14partition_implILS8_3ELb0ES6_jNS0_17counting_iteratorIjlEEPS9_SE_NS0_5tupleIJPjSE_EEENSF_IJSE_SE_EEES9_SG_JZNS1_25segmented_radix_sort_implINS0_14default_configELb0EPKfPfPKlPlN2at6native12_GLOBAL__N_18offset_tEEE10hipError_tPvRmT1_PNSt15iterator_traitsISY_E10value_typeET2_T3_PNSZ_IS14_E10value_typeET4_jRbjT5_S1A_jjP12ihipStream_tbEUljE_EEESV_SW_SX_S14_S18_S1A_T6_T7_T9_mT8_S1C_bDpT10_ENKUlT_T0_E_clISt17integral_constantIbLb1EES1P_EEDaS1K_S1L_EUlS1K_E_NS1_11comp_targetILNS1_3genE2ELNS1_11target_archE906ELNS1_3gpuE6ELNS1_3repE0EEENS1_30default_config_static_selectorELNS0_4arch9wavefront6targetE0EEEvSY_
                                        ; -- End function
	.set _ZN7rocprim17ROCPRIM_400000_NS6detail17trampoline_kernelINS0_13select_configILj256ELj13ELNS0_17block_load_methodE3ELS4_3ELS4_3ELNS0_20block_scan_algorithmE0ELj4294967295EEENS1_25partition_config_selectorILNS1_17partition_subalgoE3EjNS0_10empty_typeEbEEZZNS1_14partition_implILS8_3ELb0ES6_jNS0_17counting_iteratorIjlEEPS9_SE_NS0_5tupleIJPjSE_EEENSF_IJSE_SE_EEES9_SG_JZNS1_25segmented_radix_sort_implINS0_14default_configELb0EPKfPfPKlPlN2at6native12_GLOBAL__N_18offset_tEEE10hipError_tPvRmT1_PNSt15iterator_traitsISY_E10value_typeET2_T3_PNSZ_IS14_E10value_typeET4_jRbjT5_S1A_jjP12ihipStream_tbEUljE_EEESV_SW_SX_S14_S18_S1A_T6_T7_T9_mT8_S1C_bDpT10_ENKUlT_T0_E_clISt17integral_constantIbLb1EES1P_EEDaS1K_S1L_EUlS1K_E_NS1_11comp_targetILNS1_3genE2ELNS1_11target_archE906ELNS1_3gpuE6ELNS1_3repE0EEENS1_30default_config_static_selectorELNS0_4arch9wavefront6targetE0EEEvSY_.num_vgpr, 0
	.set _ZN7rocprim17ROCPRIM_400000_NS6detail17trampoline_kernelINS0_13select_configILj256ELj13ELNS0_17block_load_methodE3ELS4_3ELS4_3ELNS0_20block_scan_algorithmE0ELj4294967295EEENS1_25partition_config_selectorILNS1_17partition_subalgoE3EjNS0_10empty_typeEbEEZZNS1_14partition_implILS8_3ELb0ES6_jNS0_17counting_iteratorIjlEEPS9_SE_NS0_5tupleIJPjSE_EEENSF_IJSE_SE_EEES9_SG_JZNS1_25segmented_radix_sort_implINS0_14default_configELb0EPKfPfPKlPlN2at6native12_GLOBAL__N_18offset_tEEE10hipError_tPvRmT1_PNSt15iterator_traitsISY_E10value_typeET2_T3_PNSZ_IS14_E10value_typeET4_jRbjT5_S1A_jjP12ihipStream_tbEUljE_EEESV_SW_SX_S14_S18_S1A_T6_T7_T9_mT8_S1C_bDpT10_ENKUlT_T0_E_clISt17integral_constantIbLb1EES1P_EEDaS1K_S1L_EUlS1K_E_NS1_11comp_targetILNS1_3genE2ELNS1_11target_archE906ELNS1_3gpuE6ELNS1_3repE0EEENS1_30default_config_static_selectorELNS0_4arch9wavefront6targetE0EEEvSY_.num_agpr, 0
	.set _ZN7rocprim17ROCPRIM_400000_NS6detail17trampoline_kernelINS0_13select_configILj256ELj13ELNS0_17block_load_methodE3ELS4_3ELS4_3ELNS0_20block_scan_algorithmE0ELj4294967295EEENS1_25partition_config_selectorILNS1_17partition_subalgoE3EjNS0_10empty_typeEbEEZZNS1_14partition_implILS8_3ELb0ES6_jNS0_17counting_iteratorIjlEEPS9_SE_NS0_5tupleIJPjSE_EEENSF_IJSE_SE_EEES9_SG_JZNS1_25segmented_radix_sort_implINS0_14default_configELb0EPKfPfPKlPlN2at6native12_GLOBAL__N_18offset_tEEE10hipError_tPvRmT1_PNSt15iterator_traitsISY_E10value_typeET2_T3_PNSZ_IS14_E10value_typeET4_jRbjT5_S1A_jjP12ihipStream_tbEUljE_EEESV_SW_SX_S14_S18_S1A_T6_T7_T9_mT8_S1C_bDpT10_ENKUlT_T0_E_clISt17integral_constantIbLb1EES1P_EEDaS1K_S1L_EUlS1K_E_NS1_11comp_targetILNS1_3genE2ELNS1_11target_archE906ELNS1_3gpuE6ELNS1_3repE0EEENS1_30default_config_static_selectorELNS0_4arch9wavefront6targetE0EEEvSY_.numbered_sgpr, 0
	.set _ZN7rocprim17ROCPRIM_400000_NS6detail17trampoline_kernelINS0_13select_configILj256ELj13ELNS0_17block_load_methodE3ELS4_3ELS4_3ELNS0_20block_scan_algorithmE0ELj4294967295EEENS1_25partition_config_selectorILNS1_17partition_subalgoE3EjNS0_10empty_typeEbEEZZNS1_14partition_implILS8_3ELb0ES6_jNS0_17counting_iteratorIjlEEPS9_SE_NS0_5tupleIJPjSE_EEENSF_IJSE_SE_EEES9_SG_JZNS1_25segmented_radix_sort_implINS0_14default_configELb0EPKfPfPKlPlN2at6native12_GLOBAL__N_18offset_tEEE10hipError_tPvRmT1_PNSt15iterator_traitsISY_E10value_typeET2_T3_PNSZ_IS14_E10value_typeET4_jRbjT5_S1A_jjP12ihipStream_tbEUljE_EEESV_SW_SX_S14_S18_S1A_T6_T7_T9_mT8_S1C_bDpT10_ENKUlT_T0_E_clISt17integral_constantIbLb1EES1P_EEDaS1K_S1L_EUlS1K_E_NS1_11comp_targetILNS1_3genE2ELNS1_11target_archE906ELNS1_3gpuE6ELNS1_3repE0EEENS1_30default_config_static_selectorELNS0_4arch9wavefront6targetE0EEEvSY_.num_named_barrier, 0
	.set _ZN7rocprim17ROCPRIM_400000_NS6detail17trampoline_kernelINS0_13select_configILj256ELj13ELNS0_17block_load_methodE3ELS4_3ELS4_3ELNS0_20block_scan_algorithmE0ELj4294967295EEENS1_25partition_config_selectorILNS1_17partition_subalgoE3EjNS0_10empty_typeEbEEZZNS1_14partition_implILS8_3ELb0ES6_jNS0_17counting_iteratorIjlEEPS9_SE_NS0_5tupleIJPjSE_EEENSF_IJSE_SE_EEES9_SG_JZNS1_25segmented_radix_sort_implINS0_14default_configELb0EPKfPfPKlPlN2at6native12_GLOBAL__N_18offset_tEEE10hipError_tPvRmT1_PNSt15iterator_traitsISY_E10value_typeET2_T3_PNSZ_IS14_E10value_typeET4_jRbjT5_S1A_jjP12ihipStream_tbEUljE_EEESV_SW_SX_S14_S18_S1A_T6_T7_T9_mT8_S1C_bDpT10_ENKUlT_T0_E_clISt17integral_constantIbLb1EES1P_EEDaS1K_S1L_EUlS1K_E_NS1_11comp_targetILNS1_3genE2ELNS1_11target_archE906ELNS1_3gpuE6ELNS1_3repE0EEENS1_30default_config_static_selectorELNS0_4arch9wavefront6targetE0EEEvSY_.private_seg_size, 0
	.set _ZN7rocprim17ROCPRIM_400000_NS6detail17trampoline_kernelINS0_13select_configILj256ELj13ELNS0_17block_load_methodE3ELS4_3ELS4_3ELNS0_20block_scan_algorithmE0ELj4294967295EEENS1_25partition_config_selectorILNS1_17partition_subalgoE3EjNS0_10empty_typeEbEEZZNS1_14partition_implILS8_3ELb0ES6_jNS0_17counting_iteratorIjlEEPS9_SE_NS0_5tupleIJPjSE_EEENSF_IJSE_SE_EEES9_SG_JZNS1_25segmented_radix_sort_implINS0_14default_configELb0EPKfPfPKlPlN2at6native12_GLOBAL__N_18offset_tEEE10hipError_tPvRmT1_PNSt15iterator_traitsISY_E10value_typeET2_T3_PNSZ_IS14_E10value_typeET4_jRbjT5_S1A_jjP12ihipStream_tbEUljE_EEESV_SW_SX_S14_S18_S1A_T6_T7_T9_mT8_S1C_bDpT10_ENKUlT_T0_E_clISt17integral_constantIbLb1EES1P_EEDaS1K_S1L_EUlS1K_E_NS1_11comp_targetILNS1_3genE2ELNS1_11target_archE906ELNS1_3gpuE6ELNS1_3repE0EEENS1_30default_config_static_selectorELNS0_4arch9wavefront6targetE0EEEvSY_.uses_vcc, 0
	.set _ZN7rocprim17ROCPRIM_400000_NS6detail17trampoline_kernelINS0_13select_configILj256ELj13ELNS0_17block_load_methodE3ELS4_3ELS4_3ELNS0_20block_scan_algorithmE0ELj4294967295EEENS1_25partition_config_selectorILNS1_17partition_subalgoE3EjNS0_10empty_typeEbEEZZNS1_14partition_implILS8_3ELb0ES6_jNS0_17counting_iteratorIjlEEPS9_SE_NS0_5tupleIJPjSE_EEENSF_IJSE_SE_EEES9_SG_JZNS1_25segmented_radix_sort_implINS0_14default_configELb0EPKfPfPKlPlN2at6native12_GLOBAL__N_18offset_tEEE10hipError_tPvRmT1_PNSt15iterator_traitsISY_E10value_typeET2_T3_PNSZ_IS14_E10value_typeET4_jRbjT5_S1A_jjP12ihipStream_tbEUljE_EEESV_SW_SX_S14_S18_S1A_T6_T7_T9_mT8_S1C_bDpT10_ENKUlT_T0_E_clISt17integral_constantIbLb1EES1P_EEDaS1K_S1L_EUlS1K_E_NS1_11comp_targetILNS1_3genE2ELNS1_11target_archE906ELNS1_3gpuE6ELNS1_3repE0EEENS1_30default_config_static_selectorELNS0_4arch9wavefront6targetE0EEEvSY_.uses_flat_scratch, 0
	.set _ZN7rocprim17ROCPRIM_400000_NS6detail17trampoline_kernelINS0_13select_configILj256ELj13ELNS0_17block_load_methodE3ELS4_3ELS4_3ELNS0_20block_scan_algorithmE0ELj4294967295EEENS1_25partition_config_selectorILNS1_17partition_subalgoE3EjNS0_10empty_typeEbEEZZNS1_14partition_implILS8_3ELb0ES6_jNS0_17counting_iteratorIjlEEPS9_SE_NS0_5tupleIJPjSE_EEENSF_IJSE_SE_EEES9_SG_JZNS1_25segmented_radix_sort_implINS0_14default_configELb0EPKfPfPKlPlN2at6native12_GLOBAL__N_18offset_tEEE10hipError_tPvRmT1_PNSt15iterator_traitsISY_E10value_typeET2_T3_PNSZ_IS14_E10value_typeET4_jRbjT5_S1A_jjP12ihipStream_tbEUljE_EEESV_SW_SX_S14_S18_S1A_T6_T7_T9_mT8_S1C_bDpT10_ENKUlT_T0_E_clISt17integral_constantIbLb1EES1P_EEDaS1K_S1L_EUlS1K_E_NS1_11comp_targetILNS1_3genE2ELNS1_11target_archE906ELNS1_3gpuE6ELNS1_3repE0EEENS1_30default_config_static_selectorELNS0_4arch9wavefront6targetE0EEEvSY_.has_dyn_sized_stack, 0
	.set _ZN7rocprim17ROCPRIM_400000_NS6detail17trampoline_kernelINS0_13select_configILj256ELj13ELNS0_17block_load_methodE3ELS4_3ELS4_3ELNS0_20block_scan_algorithmE0ELj4294967295EEENS1_25partition_config_selectorILNS1_17partition_subalgoE3EjNS0_10empty_typeEbEEZZNS1_14partition_implILS8_3ELb0ES6_jNS0_17counting_iteratorIjlEEPS9_SE_NS0_5tupleIJPjSE_EEENSF_IJSE_SE_EEES9_SG_JZNS1_25segmented_radix_sort_implINS0_14default_configELb0EPKfPfPKlPlN2at6native12_GLOBAL__N_18offset_tEEE10hipError_tPvRmT1_PNSt15iterator_traitsISY_E10value_typeET2_T3_PNSZ_IS14_E10value_typeET4_jRbjT5_S1A_jjP12ihipStream_tbEUljE_EEESV_SW_SX_S14_S18_S1A_T6_T7_T9_mT8_S1C_bDpT10_ENKUlT_T0_E_clISt17integral_constantIbLb1EES1P_EEDaS1K_S1L_EUlS1K_E_NS1_11comp_targetILNS1_3genE2ELNS1_11target_archE906ELNS1_3gpuE6ELNS1_3repE0EEENS1_30default_config_static_selectorELNS0_4arch9wavefront6targetE0EEEvSY_.has_recursion, 0
	.set _ZN7rocprim17ROCPRIM_400000_NS6detail17trampoline_kernelINS0_13select_configILj256ELj13ELNS0_17block_load_methodE3ELS4_3ELS4_3ELNS0_20block_scan_algorithmE0ELj4294967295EEENS1_25partition_config_selectorILNS1_17partition_subalgoE3EjNS0_10empty_typeEbEEZZNS1_14partition_implILS8_3ELb0ES6_jNS0_17counting_iteratorIjlEEPS9_SE_NS0_5tupleIJPjSE_EEENSF_IJSE_SE_EEES9_SG_JZNS1_25segmented_radix_sort_implINS0_14default_configELb0EPKfPfPKlPlN2at6native12_GLOBAL__N_18offset_tEEE10hipError_tPvRmT1_PNSt15iterator_traitsISY_E10value_typeET2_T3_PNSZ_IS14_E10value_typeET4_jRbjT5_S1A_jjP12ihipStream_tbEUljE_EEESV_SW_SX_S14_S18_S1A_T6_T7_T9_mT8_S1C_bDpT10_ENKUlT_T0_E_clISt17integral_constantIbLb1EES1P_EEDaS1K_S1L_EUlS1K_E_NS1_11comp_targetILNS1_3genE2ELNS1_11target_archE906ELNS1_3gpuE6ELNS1_3repE0EEENS1_30default_config_static_selectorELNS0_4arch9wavefront6targetE0EEEvSY_.has_indirect_call, 0
	.section	.AMDGPU.csdata,"",@progbits
; Kernel info:
; codeLenInByte = 0
; TotalNumSgprs: 0
; NumVgprs: 0
; ScratchSize: 0
; MemoryBound: 0
; FloatMode: 240
; IeeeMode: 1
; LDSByteSize: 0 bytes/workgroup (compile time only)
; SGPRBlocks: 0
; VGPRBlocks: 0
; NumSGPRsForWavesPerEU: 1
; NumVGPRsForWavesPerEU: 1
; Occupancy: 16
; WaveLimiterHint : 0
; COMPUTE_PGM_RSRC2:SCRATCH_EN: 0
; COMPUTE_PGM_RSRC2:USER_SGPR: 6
; COMPUTE_PGM_RSRC2:TRAP_HANDLER: 0
; COMPUTE_PGM_RSRC2:TGID_X_EN: 1
; COMPUTE_PGM_RSRC2:TGID_Y_EN: 0
; COMPUTE_PGM_RSRC2:TGID_Z_EN: 0
; COMPUTE_PGM_RSRC2:TIDIG_COMP_CNT: 0
	.section	.text._ZN7rocprim17ROCPRIM_400000_NS6detail17trampoline_kernelINS0_13select_configILj256ELj13ELNS0_17block_load_methodE3ELS4_3ELS4_3ELNS0_20block_scan_algorithmE0ELj4294967295EEENS1_25partition_config_selectorILNS1_17partition_subalgoE3EjNS0_10empty_typeEbEEZZNS1_14partition_implILS8_3ELb0ES6_jNS0_17counting_iteratorIjlEEPS9_SE_NS0_5tupleIJPjSE_EEENSF_IJSE_SE_EEES9_SG_JZNS1_25segmented_radix_sort_implINS0_14default_configELb0EPKfPfPKlPlN2at6native12_GLOBAL__N_18offset_tEEE10hipError_tPvRmT1_PNSt15iterator_traitsISY_E10value_typeET2_T3_PNSZ_IS14_E10value_typeET4_jRbjT5_S1A_jjP12ihipStream_tbEUljE_EEESV_SW_SX_S14_S18_S1A_T6_T7_T9_mT8_S1C_bDpT10_ENKUlT_T0_E_clISt17integral_constantIbLb1EES1P_EEDaS1K_S1L_EUlS1K_E_NS1_11comp_targetILNS1_3genE10ELNS1_11target_archE1200ELNS1_3gpuE4ELNS1_3repE0EEENS1_30default_config_static_selectorELNS0_4arch9wavefront6targetE0EEEvSY_,"axG",@progbits,_ZN7rocprim17ROCPRIM_400000_NS6detail17trampoline_kernelINS0_13select_configILj256ELj13ELNS0_17block_load_methodE3ELS4_3ELS4_3ELNS0_20block_scan_algorithmE0ELj4294967295EEENS1_25partition_config_selectorILNS1_17partition_subalgoE3EjNS0_10empty_typeEbEEZZNS1_14partition_implILS8_3ELb0ES6_jNS0_17counting_iteratorIjlEEPS9_SE_NS0_5tupleIJPjSE_EEENSF_IJSE_SE_EEES9_SG_JZNS1_25segmented_radix_sort_implINS0_14default_configELb0EPKfPfPKlPlN2at6native12_GLOBAL__N_18offset_tEEE10hipError_tPvRmT1_PNSt15iterator_traitsISY_E10value_typeET2_T3_PNSZ_IS14_E10value_typeET4_jRbjT5_S1A_jjP12ihipStream_tbEUljE_EEESV_SW_SX_S14_S18_S1A_T6_T7_T9_mT8_S1C_bDpT10_ENKUlT_T0_E_clISt17integral_constantIbLb1EES1P_EEDaS1K_S1L_EUlS1K_E_NS1_11comp_targetILNS1_3genE10ELNS1_11target_archE1200ELNS1_3gpuE4ELNS1_3repE0EEENS1_30default_config_static_selectorELNS0_4arch9wavefront6targetE0EEEvSY_,comdat
	.globl	_ZN7rocprim17ROCPRIM_400000_NS6detail17trampoline_kernelINS0_13select_configILj256ELj13ELNS0_17block_load_methodE3ELS4_3ELS4_3ELNS0_20block_scan_algorithmE0ELj4294967295EEENS1_25partition_config_selectorILNS1_17partition_subalgoE3EjNS0_10empty_typeEbEEZZNS1_14partition_implILS8_3ELb0ES6_jNS0_17counting_iteratorIjlEEPS9_SE_NS0_5tupleIJPjSE_EEENSF_IJSE_SE_EEES9_SG_JZNS1_25segmented_radix_sort_implINS0_14default_configELb0EPKfPfPKlPlN2at6native12_GLOBAL__N_18offset_tEEE10hipError_tPvRmT1_PNSt15iterator_traitsISY_E10value_typeET2_T3_PNSZ_IS14_E10value_typeET4_jRbjT5_S1A_jjP12ihipStream_tbEUljE_EEESV_SW_SX_S14_S18_S1A_T6_T7_T9_mT8_S1C_bDpT10_ENKUlT_T0_E_clISt17integral_constantIbLb1EES1P_EEDaS1K_S1L_EUlS1K_E_NS1_11comp_targetILNS1_3genE10ELNS1_11target_archE1200ELNS1_3gpuE4ELNS1_3repE0EEENS1_30default_config_static_selectorELNS0_4arch9wavefront6targetE0EEEvSY_ ; -- Begin function _ZN7rocprim17ROCPRIM_400000_NS6detail17trampoline_kernelINS0_13select_configILj256ELj13ELNS0_17block_load_methodE3ELS4_3ELS4_3ELNS0_20block_scan_algorithmE0ELj4294967295EEENS1_25partition_config_selectorILNS1_17partition_subalgoE3EjNS0_10empty_typeEbEEZZNS1_14partition_implILS8_3ELb0ES6_jNS0_17counting_iteratorIjlEEPS9_SE_NS0_5tupleIJPjSE_EEENSF_IJSE_SE_EEES9_SG_JZNS1_25segmented_radix_sort_implINS0_14default_configELb0EPKfPfPKlPlN2at6native12_GLOBAL__N_18offset_tEEE10hipError_tPvRmT1_PNSt15iterator_traitsISY_E10value_typeET2_T3_PNSZ_IS14_E10value_typeET4_jRbjT5_S1A_jjP12ihipStream_tbEUljE_EEESV_SW_SX_S14_S18_S1A_T6_T7_T9_mT8_S1C_bDpT10_ENKUlT_T0_E_clISt17integral_constantIbLb1EES1P_EEDaS1K_S1L_EUlS1K_E_NS1_11comp_targetILNS1_3genE10ELNS1_11target_archE1200ELNS1_3gpuE4ELNS1_3repE0EEENS1_30default_config_static_selectorELNS0_4arch9wavefront6targetE0EEEvSY_
	.p2align	8
	.type	_ZN7rocprim17ROCPRIM_400000_NS6detail17trampoline_kernelINS0_13select_configILj256ELj13ELNS0_17block_load_methodE3ELS4_3ELS4_3ELNS0_20block_scan_algorithmE0ELj4294967295EEENS1_25partition_config_selectorILNS1_17partition_subalgoE3EjNS0_10empty_typeEbEEZZNS1_14partition_implILS8_3ELb0ES6_jNS0_17counting_iteratorIjlEEPS9_SE_NS0_5tupleIJPjSE_EEENSF_IJSE_SE_EEES9_SG_JZNS1_25segmented_radix_sort_implINS0_14default_configELb0EPKfPfPKlPlN2at6native12_GLOBAL__N_18offset_tEEE10hipError_tPvRmT1_PNSt15iterator_traitsISY_E10value_typeET2_T3_PNSZ_IS14_E10value_typeET4_jRbjT5_S1A_jjP12ihipStream_tbEUljE_EEESV_SW_SX_S14_S18_S1A_T6_T7_T9_mT8_S1C_bDpT10_ENKUlT_T0_E_clISt17integral_constantIbLb1EES1P_EEDaS1K_S1L_EUlS1K_E_NS1_11comp_targetILNS1_3genE10ELNS1_11target_archE1200ELNS1_3gpuE4ELNS1_3repE0EEENS1_30default_config_static_selectorELNS0_4arch9wavefront6targetE0EEEvSY_,@function
_ZN7rocprim17ROCPRIM_400000_NS6detail17trampoline_kernelINS0_13select_configILj256ELj13ELNS0_17block_load_methodE3ELS4_3ELS4_3ELNS0_20block_scan_algorithmE0ELj4294967295EEENS1_25partition_config_selectorILNS1_17partition_subalgoE3EjNS0_10empty_typeEbEEZZNS1_14partition_implILS8_3ELb0ES6_jNS0_17counting_iteratorIjlEEPS9_SE_NS0_5tupleIJPjSE_EEENSF_IJSE_SE_EEES9_SG_JZNS1_25segmented_radix_sort_implINS0_14default_configELb0EPKfPfPKlPlN2at6native12_GLOBAL__N_18offset_tEEE10hipError_tPvRmT1_PNSt15iterator_traitsISY_E10value_typeET2_T3_PNSZ_IS14_E10value_typeET4_jRbjT5_S1A_jjP12ihipStream_tbEUljE_EEESV_SW_SX_S14_S18_S1A_T6_T7_T9_mT8_S1C_bDpT10_ENKUlT_T0_E_clISt17integral_constantIbLb1EES1P_EEDaS1K_S1L_EUlS1K_E_NS1_11comp_targetILNS1_3genE10ELNS1_11target_archE1200ELNS1_3gpuE4ELNS1_3repE0EEENS1_30default_config_static_selectorELNS0_4arch9wavefront6targetE0EEEvSY_: ; @_ZN7rocprim17ROCPRIM_400000_NS6detail17trampoline_kernelINS0_13select_configILj256ELj13ELNS0_17block_load_methodE3ELS4_3ELS4_3ELNS0_20block_scan_algorithmE0ELj4294967295EEENS1_25partition_config_selectorILNS1_17partition_subalgoE3EjNS0_10empty_typeEbEEZZNS1_14partition_implILS8_3ELb0ES6_jNS0_17counting_iteratorIjlEEPS9_SE_NS0_5tupleIJPjSE_EEENSF_IJSE_SE_EEES9_SG_JZNS1_25segmented_radix_sort_implINS0_14default_configELb0EPKfPfPKlPlN2at6native12_GLOBAL__N_18offset_tEEE10hipError_tPvRmT1_PNSt15iterator_traitsISY_E10value_typeET2_T3_PNSZ_IS14_E10value_typeET4_jRbjT5_S1A_jjP12ihipStream_tbEUljE_EEESV_SW_SX_S14_S18_S1A_T6_T7_T9_mT8_S1C_bDpT10_ENKUlT_T0_E_clISt17integral_constantIbLb1EES1P_EEDaS1K_S1L_EUlS1K_E_NS1_11comp_targetILNS1_3genE10ELNS1_11target_archE1200ELNS1_3gpuE4ELNS1_3repE0EEENS1_30default_config_static_selectorELNS0_4arch9wavefront6targetE0EEEvSY_
; %bb.0:
	.section	.rodata,"a",@progbits
	.p2align	6, 0x0
	.amdhsa_kernel _ZN7rocprim17ROCPRIM_400000_NS6detail17trampoline_kernelINS0_13select_configILj256ELj13ELNS0_17block_load_methodE3ELS4_3ELS4_3ELNS0_20block_scan_algorithmE0ELj4294967295EEENS1_25partition_config_selectorILNS1_17partition_subalgoE3EjNS0_10empty_typeEbEEZZNS1_14partition_implILS8_3ELb0ES6_jNS0_17counting_iteratorIjlEEPS9_SE_NS0_5tupleIJPjSE_EEENSF_IJSE_SE_EEES9_SG_JZNS1_25segmented_radix_sort_implINS0_14default_configELb0EPKfPfPKlPlN2at6native12_GLOBAL__N_18offset_tEEE10hipError_tPvRmT1_PNSt15iterator_traitsISY_E10value_typeET2_T3_PNSZ_IS14_E10value_typeET4_jRbjT5_S1A_jjP12ihipStream_tbEUljE_EEESV_SW_SX_S14_S18_S1A_T6_T7_T9_mT8_S1C_bDpT10_ENKUlT_T0_E_clISt17integral_constantIbLb1EES1P_EEDaS1K_S1L_EUlS1K_E_NS1_11comp_targetILNS1_3genE10ELNS1_11target_archE1200ELNS1_3gpuE4ELNS1_3repE0EEENS1_30default_config_static_selectorELNS0_4arch9wavefront6targetE0EEEvSY_
		.amdhsa_group_segment_fixed_size 0
		.amdhsa_private_segment_fixed_size 0
		.amdhsa_kernarg_size 152
		.amdhsa_user_sgpr_count 6
		.amdhsa_user_sgpr_private_segment_buffer 1
		.amdhsa_user_sgpr_dispatch_ptr 0
		.amdhsa_user_sgpr_queue_ptr 0
		.amdhsa_user_sgpr_kernarg_segment_ptr 1
		.amdhsa_user_sgpr_dispatch_id 0
		.amdhsa_user_sgpr_flat_scratch_init 0
		.amdhsa_user_sgpr_private_segment_size 0
		.amdhsa_wavefront_size32 1
		.amdhsa_uses_dynamic_stack 0
		.amdhsa_system_sgpr_private_segment_wavefront_offset 0
		.amdhsa_system_sgpr_workgroup_id_x 1
		.amdhsa_system_sgpr_workgroup_id_y 0
		.amdhsa_system_sgpr_workgroup_id_z 0
		.amdhsa_system_sgpr_workgroup_info 0
		.amdhsa_system_vgpr_workitem_id 0
		.amdhsa_next_free_vgpr 1
		.amdhsa_next_free_sgpr 1
		.amdhsa_reserve_vcc 0
		.amdhsa_reserve_flat_scratch 0
		.amdhsa_float_round_mode_32 0
		.amdhsa_float_round_mode_16_64 0
		.amdhsa_float_denorm_mode_32 3
		.amdhsa_float_denorm_mode_16_64 3
		.amdhsa_dx10_clamp 1
		.amdhsa_ieee_mode 1
		.amdhsa_fp16_overflow 0
		.amdhsa_workgroup_processor_mode 1
		.amdhsa_memory_ordered 1
		.amdhsa_forward_progress 1
		.amdhsa_shared_vgpr_count 0
		.amdhsa_exception_fp_ieee_invalid_op 0
		.amdhsa_exception_fp_denorm_src 0
		.amdhsa_exception_fp_ieee_div_zero 0
		.amdhsa_exception_fp_ieee_overflow 0
		.amdhsa_exception_fp_ieee_underflow 0
		.amdhsa_exception_fp_ieee_inexact 0
		.amdhsa_exception_int_div_zero 0
	.end_amdhsa_kernel
	.section	.text._ZN7rocprim17ROCPRIM_400000_NS6detail17trampoline_kernelINS0_13select_configILj256ELj13ELNS0_17block_load_methodE3ELS4_3ELS4_3ELNS0_20block_scan_algorithmE0ELj4294967295EEENS1_25partition_config_selectorILNS1_17partition_subalgoE3EjNS0_10empty_typeEbEEZZNS1_14partition_implILS8_3ELb0ES6_jNS0_17counting_iteratorIjlEEPS9_SE_NS0_5tupleIJPjSE_EEENSF_IJSE_SE_EEES9_SG_JZNS1_25segmented_radix_sort_implINS0_14default_configELb0EPKfPfPKlPlN2at6native12_GLOBAL__N_18offset_tEEE10hipError_tPvRmT1_PNSt15iterator_traitsISY_E10value_typeET2_T3_PNSZ_IS14_E10value_typeET4_jRbjT5_S1A_jjP12ihipStream_tbEUljE_EEESV_SW_SX_S14_S18_S1A_T6_T7_T9_mT8_S1C_bDpT10_ENKUlT_T0_E_clISt17integral_constantIbLb1EES1P_EEDaS1K_S1L_EUlS1K_E_NS1_11comp_targetILNS1_3genE10ELNS1_11target_archE1200ELNS1_3gpuE4ELNS1_3repE0EEENS1_30default_config_static_selectorELNS0_4arch9wavefront6targetE0EEEvSY_,"axG",@progbits,_ZN7rocprim17ROCPRIM_400000_NS6detail17trampoline_kernelINS0_13select_configILj256ELj13ELNS0_17block_load_methodE3ELS4_3ELS4_3ELNS0_20block_scan_algorithmE0ELj4294967295EEENS1_25partition_config_selectorILNS1_17partition_subalgoE3EjNS0_10empty_typeEbEEZZNS1_14partition_implILS8_3ELb0ES6_jNS0_17counting_iteratorIjlEEPS9_SE_NS0_5tupleIJPjSE_EEENSF_IJSE_SE_EEES9_SG_JZNS1_25segmented_radix_sort_implINS0_14default_configELb0EPKfPfPKlPlN2at6native12_GLOBAL__N_18offset_tEEE10hipError_tPvRmT1_PNSt15iterator_traitsISY_E10value_typeET2_T3_PNSZ_IS14_E10value_typeET4_jRbjT5_S1A_jjP12ihipStream_tbEUljE_EEESV_SW_SX_S14_S18_S1A_T6_T7_T9_mT8_S1C_bDpT10_ENKUlT_T0_E_clISt17integral_constantIbLb1EES1P_EEDaS1K_S1L_EUlS1K_E_NS1_11comp_targetILNS1_3genE10ELNS1_11target_archE1200ELNS1_3gpuE4ELNS1_3repE0EEENS1_30default_config_static_selectorELNS0_4arch9wavefront6targetE0EEEvSY_,comdat
.Lfunc_end1401:
	.size	_ZN7rocprim17ROCPRIM_400000_NS6detail17trampoline_kernelINS0_13select_configILj256ELj13ELNS0_17block_load_methodE3ELS4_3ELS4_3ELNS0_20block_scan_algorithmE0ELj4294967295EEENS1_25partition_config_selectorILNS1_17partition_subalgoE3EjNS0_10empty_typeEbEEZZNS1_14partition_implILS8_3ELb0ES6_jNS0_17counting_iteratorIjlEEPS9_SE_NS0_5tupleIJPjSE_EEENSF_IJSE_SE_EEES9_SG_JZNS1_25segmented_radix_sort_implINS0_14default_configELb0EPKfPfPKlPlN2at6native12_GLOBAL__N_18offset_tEEE10hipError_tPvRmT1_PNSt15iterator_traitsISY_E10value_typeET2_T3_PNSZ_IS14_E10value_typeET4_jRbjT5_S1A_jjP12ihipStream_tbEUljE_EEESV_SW_SX_S14_S18_S1A_T6_T7_T9_mT8_S1C_bDpT10_ENKUlT_T0_E_clISt17integral_constantIbLb1EES1P_EEDaS1K_S1L_EUlS1K_E_NS1_11comp_targetILNS1_3genE10ELNS1_11target_archE1200ELNS1_3gpuE4ELNS1_3repE0EEENS1_30default_config_static_selectorELNS0_4arch9wavefront6targetE0EEEvSY_, .Lfunc_end1401-_ZN7rocprim17ROCPRIM_400000_NS6detail17trampoline_kernelINS0_13select_configILj256ELj13ELNS0_17block_load_methodE3ELS4_3ELS4_3ELNS0_20block_scan_algorithmE0ELj4294967295EEENS1_25partition_config_selectorILNS1_17partition_subalgoE3EjNS0_10empty_typeEbEEZZNS1_14partition_implILS8_3ELb0ES6_jNS0_17counting_iteratorIjlEEPS9_SE_NS0_5tupleIJPjSE_EEENSF_IJSE_SE_EEES9_SG_JZNS1_25segmented_radix_sort_implINS0_14default_configELb0EPKfPfPKlPlN2at6native12_GLOBAL__N_18offset_tEEE10hipError_tPvRmT1_PNSt15iterator_traitsISY_E10value_typeET2_T3_PNSZ_IS14_E10value_typeET4_jRbjT5_S1A_jjP12ihipStream_tbEUljE_EEESV_SW_SX_S14_S18_S1A_T6_T7_T9_mT8_S1C_bDpT10_ENKUlT_T0_E_clISt17integral_constantIbLb1EES1P_EEDaS1K_S1L_EUlS1K_E_NS1_11comp_targetILNS1_3genE10ELNS1_11target_archE1200ELNS1_3gpuE4ELNS1_3repE0EEENS1_30default_config_static_selectorELNS0_4arch9wavefront6targetE0EEEvSY_
                                        ; -- End function
	.set _ZN7rocprim17ROCPRIM_400000_NS6detail17trampoline_kernelINS0_13select_configILj256ELj13ELNS0_17block_load_methodE3ELS4_3ELS4_3ELNS0_20block_scan_algorithmE0ELj4294967295EEENS1_25partition_config_selectorILNS1_17partition_subalgoE3EjNS0_10empty_typeEbEEZZNS1_14partition_implILS8_3ELb0ES6_jNS0_17counting_iteratorIjlEEPS9_SE_NS0_5tupleIJPjSE_EEENSF_IJSE_SE_EEES9_SG_JZNS1_25segmented_radix_sort_implINS0_14default_configELb0EPKfPfPKlPlN2at6native12_GLOBAL__N_18offset_tEEE10hipError_tPvRmT1_PNSt15iterator_traitsISY_E10value_typeET2_T3_PNSZ_IS14_E10value_typeET4_jRbjT5_S1A_jjP12ihipStream_tbEUljE_EEESV_SW_SX_S14_S18_S1A_T6_T7_T9_mT8_S1C_bDpT10_ENKUlT_T0_E_clISt17integral_constantIbLb1EES1P_EEDaS1K_S1L_EUlS1K_E_NS1_11comp_targetILNS1_3genE10ELNS1_11target_archE1200ELNS1_3gpuE4ELNS1_3repE0EEENS1_30default_config_static_selectorELNS0_4arch9wavefront6targetE0EEEvSY_.num_vgpr, 0
	.set _ZN7rocprim17ROCPRIM_400000_NS6detail17trampoline_kernelINS0_13select_configILj256ELj13ELNS0_17block_load_methodE3ELS4_3ELS4_3ELNS0_20block_scan_algorithmE0ELj4294967295EEENS1_25partition_config_selectorILNS1_17partition_subalgoE3EjNS0_10empty_typeEbEEZZNS1_14partition_implILS8_3ELb0ES6_jNS0_17counting_iteratorIjlEEPS9_SE_NS0_5tupleIJPjSE_EEENSF_IJSE_SE_EEES9_SG_JZNS1_25segmented_radix_sort_implINS0_14default_configELb0EPKfPfPKlPlN2at6native12_GLOBAL__N_18offset_tEEE10hipError_tPvRmT1_PNSt15iterator_traitsISY_E10value_typeET2_T3_PNSZ_IS14_E10value_typeET4_jRbjT5_S1A_jjP12ihipStream_tbEUljE_EEESV_SW_SX_S14_S18_S1A_T6_T7_T9_mT8_S1C_bDpT10_ENKUlT_T0_E_clISt17integral_constantIbLb1EES1P_EEDaS1K_S1L_EUlS1K_E_NS1_11comp_targetILNS1_3genE10ELNS1_11target_archE1200ELNS1_3gpuE4ELNS1_3repE0EEENS1_30default_config_static_selectorELNS0_4arch9wavefront6targetE0EEEvSY_.num_agpr, 0
	.set _ZN7rocprim17ROCPRIM_400000_NS6detail17trampoline_kernelINS0_13select_configILj256ELj13ELNS0_17block_load_methodE3ELS4_3ELS4_3ELNS0_20block_scan_algorithmE0ELj4294967295EEENS1_25partition_config_selectorILNS1_17partition_subalgoE3EjNS0_10empty_typeEbEEZZNS1_14partition_implILS8_3ELb0ES6_jNS0_17counting_iteratorIjlEEPS9_SE_NS0_5tupleIJPjSE_EEENSF_IJSE_SE_EEES9_SG_JZNS1_25segmented_radix_sort_implINS0_14default_configELb0EPKfPfPKlPlN2at6native12_GLOBAL__N_18offset_tEEE10hipError_tPvRmT1_PNSt15iterator_traitsISY_E10value_typeET2_T3_PNSZ_IS14_E10value_typeET4_jRbjT5_S1A_jjP12ihipStream_tbEUljE_EEESV_SW_SX_S14_S18_S1A_T6_T7_T9_mT8_S1C_bDpT10_ENKUlT_T0_E_clISt17integral_constantIbLb1EES1P_EEDaS1K_S1L_EUlS1K_E_NS1_11comp_targetILNS1_3genE10ELNS1_11target_archE1200ELNS1_3gpuE4ELNS1_3repE0EEENS1_30default_config_static_selectorELNS0_4arch9wavefront6targetE0EEEvSY_.numbered_sgpr, 0
	.set _ZN7rocprim17ROCPRIM_400000_NS6detail17trampoline_kernelINS0_13select_configILj256ELj13ELNS0_17block_load_methodE3ELS4_3ELS4_3ELNS0_20block_scan_algorithmE0ELj4294967295EEENS1_25partition_config_selectorILNS1_17partition_subalgoE3EjNS0_10empty_typeEbEEZZNS1_14partition_implILS8_3ELb0ES6_jNS0_17counting_iteratorIjlEEPS9_SE_NS0_5tupleIJPjSE_EEENSF_IJSE_SE_EEES9_SG_JZNS1_25segmented_radix_sort_implINS0_14default_configELb0EPKfPfPKlPlN2at6native12_GLOBAL__N_18offset_tEEE10hipError_tPvRmT1_PNSt15iterator_traitsISY_E10value_typeET2_T3_PNSZ_IS14_E10value_typeET4_jRbjT5_S1A_jjP12ihipStream_tbEUljE_EEESV_SW_SX_S14_S18_S1A_T6_T7_T9_mT8_S1C_bDpT10_ENKUlT_T0_E_clISt17integral_constantIbLb1EES1P_EEDaS1K_S1L_EUlS1K_E_NS1_11comp_targetILNS1_3genE10ELNS1_11target_archE1200ELNS1_3gpuE4ELNS1_3repE0EEENS1_30default_config_static_selectorELNS0_4arch9wavefront6targetE0EEEvSY_.num_named_barrier, 0
	.set _ZN7rocprim17ROCPRIM_400000_NS6detail17trampoline_kernelINS0_13select_configILj256ELj13ELNS0_17block_load_methodE3ELS4_3ELS4_3ELNS0_20block_scan_algorithmE0ELj4294967295EEENS1_25partition_config_selectorILNS1_17partition_subalgoE3EjNS0_10empty_typeEbEEZZNS1_14partition_implILS8_3ELb0ES6_jNS0_17counting_iteratorIjlEEPS9_SE_NS0_5tupleIJPjSE_EEENSF_IJSE_SE_EEES9_SG_JZNS1_25segmented_radix_sort_implINS0_14default_configELb0EPKfPfPKlPlN2at6native12_GLOBAL__N_18offset_tEEE10hipError_tPvRmT1_PNSt15iterator_traitsISY_E10value_typeET2_T3_PNSZ_IS14_E10value_typeET4_jRbjT5_S1A_jjP12ihipStream_tbEUljE_EEESV_SW_SX_S14_S18_S1A_T6_T7_T9_mT8_S1C_bDpT10_ENKUlT_T0_E_clISt17integral_constantIbLb1EES1P_EEDaS1K_S1L_EUlS1K_E_NS1_11comp_targetILNS1_3genE10ELNS1_11target_archE1200ELNS1_3gpuE4ELNS1_3repE0EEENS1_30default_config_static_selectorELNS0_4arch9wavefront6targetE0EEEvSY_.private_seg_size, 0
	.set _ZN7rocprim17ROCPRIM_400000_NS6detail17trampoline_kernelINS0_13select_configILj256ELj13ELNS0_17block_load_methodE3ELS4_3ELS4_3ELNS0_20block_scan_algorithmE0ELj4294967295EEENS1_25partition_config_selectorILNS1_17partition_subalgoE3EjNS0_10empty_typeEbEEZZNS1_14partition_implILS8_3ELb0ES6_jNS0_17counting_iteratorIjlEEPS9_SE_NS0_5tupleIJPjSE_EEENSF_IJSE_SE_EEES9_SG_JZNS1_25segmented_radix_sort_implINS0_14default_configELb0EPKfPfPKlPlN2at6native12_GLOBAL__N_18offset_tEEE10hipError_tPvRmT1_PNSt15iterator_traitsISY_E10value_typeET2_T3_PNSZ_IS14_E10value_typeET4_jRbjT5_S1A_jjP12ihipStream_tbEUljE_EEESV_SW_SX_S14_S18_S1A_T6_T7_T9_mT8_S1C_bDpT10_ENKUlT_T0_E_clISt17integral_constantIbLb1EES1P_EEDaS1K_S1L_EUlS1K_E_NS1_11comp_targetILNS1_3genE10ELNS1_11target_archE1200ELNS1_3gpuE4ELNS1_3repE0EEENS1_30default_config_static_selectorELNS0_4arch9wavefront6targetE0EEEvSY_.uses_vcc, 0
	.set _ZN7rocprim17ROCPRIM_400000_NS6detail17trampoline_kernelINS0_13select_configILj256ELj13ELNS0_17block_load_methodE3ELS4_3ELS4_3ELNS0_20block_scan_algorithmE0ELj4294967295EEENS1_25partition_config_selectorILNS1_17partition_subalgoE3EjNS0_10empty_typeEbEEZZNS1_14partition_implILS8_3ELb0ES6_jNS0_17counting_iteratorIjlEEPS9_SE_NS0_5tupleIJPjSE_EEENSF_IJSE_SE_EEES9_SG_JZNS1_25segmented_radix_sort_implINS0_14default_configELb0EPKfPfPKlPlN2at6native12_GLOBAL__N_18offset_tEEE10hipError_tPvRmT1_PNSt15iterator_traitsISY_E10value_typeET2_T3_PNSZ_IS14_E10value_typeET4_jRbjT5_S1A_jjP12ihipStream_tbEUljE_EEESV_SW_SX_S14_S18_S1A_T6_T7_T9_mT8_S1C_bDpT10_ENKUlT_T0_E_clISt17integral_constantIbLb1EES1P_EEDaS1K_S1L_EUlS1K_E_NS1_11comp_targetILNS1_3genE10ELNS1_11target_archE1200ELNS1_3gpuE4ELNS1_3repE0EEENS1_30default_config_static_selectorELNS0_4arch9wavefront6targetE0EEEvSY_.uses_flat_scratch, 0
	.set _ZN7rocprim17ROCPRIM_400000_NS6detail17trampoline_kernelINS0_13select_configILj256ELj13ELNS0_17block_load_methodE3ELS4_3ELS4_3ELNS0_20block_scan_algorithmE0ELj4294967295EEENS1_25partition_config_selectorILNS1_17partition_subalgoE3EjNS0_10empty_typeEbEEZZNS1_14partition_implILS8_3ELb0ES6_jNS0_17counting_iteratorIjlEEPS9_SE_NS0_5tupleIJPjSE_EEENSF_IJSE_SE_EEES9_SG_JZNS1_25segmented_radix_sort_implINS0_14default_configELb0EPKfPfPKlPlN2at6native12_GLOBAL__N_18offset_tEEE10hipError_tPvRmT1_PNSt15iterator_traitsISY_E10value_typeET2_T3_PNSZ_IS14_E10value_typeET4_jRbjT5_S1A_jjP12ihipStream_tbEUljE_EEESV_SW_SX_S14_S18_S1A_T6_T7_T9_mT8_S1C_bDpT10_ENKUlT_T0_E_clISt17integral_constantIbLb1EES1P_EEDaS1K_S1L_EUlS1K_E_NS1_11comp_targetILNS1_3genE10ELNS1_11target_archE1200ELNS1_3gpuE4ELNS1_3repE0EEENS1_30default_config_static_selectorELNS0_4arch9wavefront6targetE0EEEvSY_.has_dyn_sized_stack, 0
	.set _ZN7rocprim17ROCPRIM_400000_NS6detail17trampoline_kernelINS0_13select_configILj256ELj13ELNS0_17block_load_methodE3ELS4_3ELS4_3ELNS0_20block_scan_algorithmE0ELj4294967295EEENS1_25partition_config_selectorILNS1_17partition_subalgoE3EjNS0_10empty_typeEbEEZZNS1_14partition_implILS8_3ELb0ES6_jNS0_17counting_iteratorIjlEEPS9_SE_NS0_5tupleIJPjSE_EEENSF_IJSE_SE_EEES9_SG_JZNS1_25segmented_radix_sort_implINS0_14default_configELb0EPKfPfPKlPlN2at6native12_GLOBAL__N_18offset_tEEE10hipError_tPvRmT1_PNSt15iterator_traitsISY_E10value_typeET2_T3_PNSZ_IS14_E10value_typeET4_jRbjT5_S1A_jjP12ihipStream_tbEUljE_EEESV_SW_SX_S14_S18_S1A_T6_T7_T9_mT8_S1C_bDpT10_ENKUlT_T0_E_clISt17integral_constantIbLb1EES1P_EEDaS1K_S1L_EUlS1K_E_NS1_11comp_targetILNS1_3genE10ELNS1_11target_archE1200ELNS1_3gpuE4ELNS1_3repE0EEENS1_30default_config_static_selectorELNS0_4arch9wavefront6targetE0EEEvSY_.has_recursion, 0
	.set _ZN7rocprim17ROCPRIM_400000_NS6detail17trampoline_kernelINS0_13select_configILj256ELj13ELNS0_17block_load_methodE3ELS4_3ELS4_3ELNS0_20block_scan_algorithmE0ELj4294967295EEENS1_25partition_config_selectorILNS1_17partition_subalgoE3EjNS0_10empty_typeEbEEZZNS1_14partition_implILS8_3ELb0ES6_jNS0_17counting_iteratorIjlEEPS9_SE_NS0_5tupleIJPjSE_EEENSF_IJSE_SE_EEES9_SG_JZNS1_25segmented_radix_sort_implINS0_14default_configELb0EPKfPfPKlPlN2at6native12_GLOBAL__N_18offset_tEEE10hipError_tPvRmT1_PNSt15iterator_traitsISY_E10value_typeET2_T3_PNSZ_IS14_E10value_typeET4_jRbjT5_S1A_jjP12ihipStream_tbEUljE_EEESV_SW_SX_S14_S18_S1A_T6_T7_T9_mT8_S1C_bDpT10_ENKUlT_T0_E_clISt17integral_constantIbLb1EES1P_EEDaS1K_S1L_EUlS1K_E_NS1_11comp_targetILNS1_3genE10ELNS1_11target_archE1200ELNS1_3gpuE4ELNS1_3repE0EEENS1_30default_config_static_selectorELNS0_4arch9wavefront6targetE0EEEvSY_.has_indirect_call, 0
	.section	.AMDGPU.csdata,"",@progbits
; Kernel info:
; codeLenInByte = 0
; TotalNumSgprs: 0
; NumVgprs: 0
; ScratchSize: 0
; MemoryBound: 0
; FloatMode: 240
; IeeeMode: 1
; LDSByteSize: 0 bytes/workgroup (compile time only)
; SGPRBlocks: 0
; VGPRBlocks: 0
; NumSGPRsForWavesPerEU: 1
; NumVGPRsForWavesPerEU: 1
; Occupancy: 16
; WaveLimiterHint : 0
; COMPUTE_PGM_RSRC2:SCRATCH_EN: 0
; COMPUTE_PGM_RSRC2:USER_SGPR: 6
; COMPUTE_PGM_RSRC2:TRAP_HANDLER: 0
; COMPUTE_PGM_RSRC2:TGID_X_EN: 1
; COMPUTE_PGM_RSRC2:TGID_Y_EN: 0
; COMPUTE_PGM_RSRC2:TGID_Z_EN: 0
; COMPUTE_PGM_RSRC2:TIDIG_COMP_CNT: 0
	.section	.text._ZN7rocprim17ROCPRIM_400000_NS6detail17trampoline_kernelINS0_13select_configILj256ELj13ELNS0_17block_load_methodE3ELS4_3ELS4_3ELNS0_20block_scan_algorithmE0ELj4294967295EEENS1_25partition_config_selectorILNS1_17partition_subalgoE3EjNS0_10empty_typeEbEEZZNS1_14partition_implILS8_3ELb0ES6_jNS0_17counting_iteratorIjlEEPS9_SE_NS0_5tupleIJPjSE_EEENSF_IJSE_SE_EEES9_SG_JZNS1_25segmented_radix_sort_implINS0_14default_configELb0EPKfPfPKlPlN2at6native12_GLOBAL__N_18offset_tEEE10hipError_tPvRmT1_PNSt15iterator_traitsISY_E10value_typeET2_T3_PNSZ_IS14_E10value_typeET4_jRbjT5_S1A_jjP12ihipStream_tbEUljE_EEESV_SW_SX_S14_S18_S1A_T6_T7_T9_mT8_S1C_bDpT10_ENKUlT_T0_E_clISt17integral_constantIbLb1EES1P_EEDaS1K_S1L_EUlS1K_E_NS1_11comp_targetILNS1_3genE9ELNS1_11target_archE1100ELNS1_3gpuE3ELNS1_3repE0EEENS1_30default_config_static_selectorELNS0_4arch9wavefront6targetE0EEEvSY_,"axG",@progbits,_ZN7rocprim17ROCPRIM_400000_NS6detail17trampoline_kernelINS0_13select_configILj256ELj13ELNS0_17block_load_methodE3ELS4_3ELS4_3ELNS0_20block_scan_algorithmE0ELj4294967295EEENS1_25partition_config_selectorILNS1_17partition_subalgoE3EjNS0_10empty_typeEbEEZZNS1_14partition_implILS8_3ELb0ES6_jNS0_17counting_iteratorIjlEEPS9_SE_NS0_5tupleIJPjSE_EEENSF_IJSE_SE_EEES9_SG_JZNS1_25segmented_radix_sort_implINS0_14default_configELb0EPKfPfPKlPlN2at6native12_GLOBAL__N_18offset_tEEE10hipError_tPvRmT1_PNSt15iterator_traitsISY_E10value_typeET2_T3_PNSZ_IS14_E10value_typeET4_jRbjT5_S1A_jjP12ihipStream_tbEUljE_EEESV_SW_SX_S14_S18_S1A_T6_T7_T9_mT8_S1C_bDpT10_ENKUlT_T0_E_clISt17integral_constantIbLb1EES1P_EEDaS1K_S1L_EUlS1K_E_NS1_11comp_targetILNS1_3genE9ELNS1_11target_archE1100ELNS1_3gpuE3ELNS1_3repE0EEENS1_30default_config_static_selectorELNS0_4arch9wavefront6targetE0EEEvSY_,comdat
	.globl	_ZN7rocprim17ROCPRIM_400000_NS6detail17trampoline_kernelINS0_13select_configILj256ELj13ELNS0_17block_load_methodE3ELS4_3ELS4_3ELNS0_20block_scan_algorithmE0ELj4294967295EEENS1_25partition_config_selectorILNS1_17partition_subalgoE3EjNS0_10empty_typeEbEEZZNS1_14partition_implILS8_3ELb0ES6_jNS0_17counting_iteratorIjlEEPS9_SE_NS0_5tupleIJPjSE_EEENSF_IJSE_SE_EEES9_SG_JZNS1_25segmented_radix_sort_implINS0_14default_configELb0EPKfPfPKlPlN2at6native12_GLOBAL__N_18offset_tEEE10hipError_tPvRmT1_PNSt15iterator_traitsISY_E10value_typeET2_T3_PNSZ_IS14_E10value_typeET4_jRbjT5_S1A_jjP12ihipStream_tbEUljE_EEESV_SW_SX_S14_S18_S1A_T6_T7_T9_mT8_S1C_bDpT10_ENKUlT_T0_E_clISt17integral_constantIbLb1EES1P_EEDaS1K_S1L_EUlS1K_E_NS1_11comp_targetILNS1_3genE9ELNS1_11target_archE1100ELNS1_3gpuE3ELNS1_3repE0EEENS1_30default_config_static_selectorELNS0_4arch9wavefront6targetE0EEEvSY_ ; -- Begin function _ZN7rocprim17ROCPRIM_400000_NS6detail17trampoline_kernelINS0_13select_configILj256ELj13ELNS0_17block_load_methodE3ELS4_3ELS4_3ELNS0_20block_scan_algorithmE0ELj4294967295EEENS1_25partition_config_selectorILNS1_17partition_subalgoE3EjNS0_10empty_typeEbEEZZNS1_14partition_implILS8_3ELb0ES6_jNS0_17counting_iteratorIjlEEPS9_SE_NS0_5tupleIJPjSE_EEENSF_IJSE_SE_EEES9_SG_JZNS1_25segmented_radix_sort_implINS0_14default_configELb0EPKfPfPKlPlN2at6native12_GLOBAL__N_18offset_tEEE10hipError_tPvRmT1_PNSt15iterator_traitsISY_E10value_typeET2_T3_PNSZ_IS14_E10value_typeET4_jRbjT5_S1A_jjP12ihipStream_tbEUljE_EEESV_SW_SX_S14_S18_S1A_T6_T7_T9_mT8_S1C_bDpT10_ENKUlT_T0_E_clISt17integral_constantIbLb1EES1P_EEDaS1K_S1L_EUlS1K_E_NS1_11comp_targetILNS1_3genE9ELNS1_11target_archE1100ELNS1_3gpuE3ELNS1_3repE0EEENS1_30default_config_static_selectorELNS0_4arch9wavefront6targetE0EEEvSY_
	.p2align	8
	.type	_ZN7rocprim17ROCPRIM_400000_NS6detail17trampoline_kernelINS0_13select_configILj256ELj13ELNS0_17block_load_methodE3ELS4_3ELS4_3ELNS0_20block_scan_algorithmE0ELj4294967295EEENS1_25partition_config_selectorILNS1_17partition_subalgoE3EjNS0_10empty_typeEbEEZZNS1_14partition_implILS8_3ELb0ES6_jNS0_17counting_iteratorIjlEEPS9_SE_NS0_5tupleIJPjSE_EEENSF_IJSE_SE_EEES9_SG_JZNS1_25segmented_radix_sort_implINS0_14default_configELb0EPKfPfPKlPlN2at6native12_GLOBAL__N_18offset_tEEE10hipError_tPvRmT1_PNSt15iterator_traitsISY_E10value_typeET2_T3_PNSZ_IS14_E10value_typeET4_jRbjT5_S1A_jjP12ihipStream_tbEUljE_EEESV_SW_SX_S14_S18_S1A_T6_T7_T9_mT8_S1C_bDpT10_ENKUlT_T0_E_clISt17integral_constantIbLb1EES1P_EEDaS1K_S1L_EUlS1K_E_NS1_11comp_targetILNS1_3genE9ELNS1_11target_archE1100ELNS1_3gpuE3ELNS1_3repE0EEENS1_30default_config_static_selectorELNS0_4arch9wavefront6targetE0EEEvSY_,@function
_ZN7rocprim17ROCPRIM_400000_NS6detail17trampoline_kernelINS0_13select_configILj256ELj13ELNS0_17block_load_methodE3ELS4_3ELS4_3ELNS0_20block_scan_algorithmE0ELj4294967295EEENS1_25partition_config_selectorILNS1_17partition_subalgoE3EjNS0_10empty_typeEbEEZZNS1_14partition_implILS8_3ELb0ES6_jNS0_17counting_iteratorIjlEEPS9_SE_NS0_5tupleIJPjSE_EEENSF_IJSE_SE_EEES9_SG_JZNS1_25segmented_radix_sort_implINS0_14default_configELb0EPKfPfPKlPlN2at6native12_GLOBAL__N_18offset_tEEE10hipError_tPvRmT1_PNSt15iterator_traitsISY_E10value_typeET2_T3_PNSZ_IS14_E10value_typeET4_jRbjT5_S1A_jjP12ihipStream_tbEUljE_EEESV_SW_SX_S14_S18_S1A_T6_T7_T9_mT8_S1C_bDpT10_ENKUlT_T0_E_clISt17integral_constantIbLb1EES1P_EEDaS1K_S1L_EUlS1K_E_NS1_11comp_targetILNS1_3genE9ELNS1_11target_archE1100ELNS1_3gpuE3ELNS1_3repE0EEENS1_30default_config_static_selectorELNS0_4arch9wavefront6targetE0EEEvSY_: ; @_ZN7rocprim17ROCPRIM_400000_NS6detail17trampoline_kernelINS0_13select_configILj256ELj13ELNS0_17block_load_methodE3ELS4_3ELS4_3ELNS0_20block_scan_algorithmE0ELj4294967295EEENS1_25partition_config_selectorILNS1_17partition_subalgoE3EjNS0_10empty_typeEbEEZZNS1_14partition_implILS8_3ELb0ES6_jNS0_17counting_iteratorIjlEEPS9_SE_NS0_5tupleIJPjSE_EEENSF_IJSE_SE_EEES9_SG_JZNS1_25segmented_radix_sort_implINS0_14default_configELb0EPKfPfPKlPlN2at6native12_GLOBAL__N_18offset_tEEE10hipError_tPvRmT1_PNSt15iterator_traitsISY_E10value_typeET2_T3_PNSZ_IS14_E10value_typeET4_jRbjT5_S1A_jjP12ihipStream_tbEUljE_EEESV_SW_SX_S14_S18_S1A_T6_T7_T9_mT8_S1C_bDpT10_ENKUlT_T0_E_clISt17integral_constantIbLb1EES1P_EEDaS1K_S1L_EUlS1K_E_NS1_11comp_targetILNS1_3genE9ELNS1_11target_archE1100ELNS1_3gpuE3ELNS1_3repE0EEENS1_30default_config_static_selectorELNS0_4arch9wavefront6targetE0EEEvSY_
; %bb.0:
	.section	.rodata,"a",@progbits
	.p2align	6, 0x0
	.amdhsa_kernel _ZN7rocprim17ROCPRIM_400000_NS6detail17trampoline_kernelINS0_13select_configILj256ELj13ELNS0_17block_load_methodE3ELS4_3ELS4_3ELNS0_20block_scan_algorithmE0ELj4294967295EEENS1_25partition_config_selectorILNS1_17partition_subalgoE3EjNS0_10empty_typeEbEEZZNS1_14partition_implILS8_3ELb0ES6_jNS0_17counting_iteratorIjlEEPS9_SE_NS0_5tupleIJPjSE_EEENSF_IJSE_SE_EEES9_SG_JZNS1_25segmented_radix_sort_implINS0_14default_configELb0EPKfPfPKlPlN2at6native12_GLOBAL__N_18offset_tEEE10hipError_tPvRmT1_PNSt15iterator_traitsISY_E10value_typeET2_T3_PNSZ_IS14_E10value_typeET4_jRbjT5_S1A_jjP12ihipStream_tbEUljE_EEESV_SW_SX_S14_S18_S1A_T6_T7_T9_mT8_S1C_bDpT10_ENKUlT_T0_E_clISt17integral_constantIbLb1EES1P_EEDaS1K_S1L_EUlS1K_E_NS1_11comp_targetILNS1_3genE9ELNS1_11target_archE1100ELNS1_3gpuE3ELNS1_3repE0EEENS1_30default_config_static_selectorELNS0_4arch9wavefront6targetE0EEEvSY_
		.amdhsa_group_segment_fixed_size 0
		.amdhsa_private_segment_fixed_size 0
		.amdhsa_kernarg_size 152
		.amdhsa_user_sgpr_count 6
		.amdhsa_user_sgpr_private_segment_buffer 1
		.amdhsa_user_sgpr_dispatch_ptr 0
		.amdhsa_user_sgpr_queue_ptr 0
		.amdhsa_user_sgpr_kernarg_segment_ptr 1
		.amdhsa_user_sgpr_dispatch_id 0
		.amdhsa_user_sgpr_flat_scratch_init 0
		.amdhsa_user_sgpr_private_segment_size 0
		.amdhsa_wavefront_size32 1
		.amdhsa_uses_dynamic_stack 0
		.amdhsa_system_sgpr_private_segment_wavefront_offset 0
		.amdhsa_system_sgpr_workgroup_id_x 1
		.amdhsa_system_sgpr_workgroup_id_y 0
		.amdhsa_system_sgpr_workgroup_id_z 0
		.amdhsa_system_sgpr_workgroup_info 0
		.amdhsa_system_vgpr_workitem_id 0
		.amdhsa_next_free_vgpr 1
		.amdhsa_next_free_sgpr 1
		.amdhsa_reserve_vcc 0
		.amdhsa_reserve_flat_scratch 0
		.amdhsa_float_round_mode_32 0
		.amdhsa_float_round_mode_16_64 0
		.amdhsa_float_denorm_mode_32 3
		.amdhsa_float_denorm_mode_16_64 3
		.amdhsa_dx10_clamp 1
		.amdhsa_ieee_mode 1
		.amdhsa_fp16_overflow 0
		.amdhsa_workgroup_processor_mode 1
		.amdhsa_memory_ordered 1
		.amdhsa_forward_progress 1
		.amdhsa_shared_vgpr_count 0
		.amdhsa_exception_fp_ieee_invalid_op 0
		.amdhsa_exception_fp_denorm_src 0
		.amdhsa_exception_fp_ieee_div_zero 0
		.amdhsa_exception_fp_ieee_overflow 0
		.amdhsa_exception_fp_ieee_underflow 0
		.amdhsa_exception_fp_ieee_inexact 0
		.amdhsa_exception_int_div_zero 0
	.end_amdhsa_kernel
	.section	.text._ZN7rocprim17ROCPRIM_400000_NS6detail17trampoline_kernelINS0_13select_configILj256ELj13ELNS0_17block_load_methodE3ELS4_3ELS4_3ELNS0_20block_scan_algorithmE0ELj4294967295EEENS1_25partition_config_selectorILNS1_17partition_subalgoE3EjNS0_10empty_typeEbEEZZNS1_14partition_implILS8_3ELb0ES6_jNS0_17counting_iteratorIjlEEPS9_SE_NS0_5tupleIJPjSE_EEENSF_IJSE_SE_EEES9_SG_JZNS1_25segmented_radix_sort_implINS0_14default_configELb0EPKfPfPKlPlN2at6native12_GLOBAL__N_18offset_tEEE10hipError_tPvRmT1_PNSt15iterator_traitsISY_E10value_typeET2_T3_PNSZ_IS14_E10value_typeET4_jRbjT5_S1A_jjP12ihipStream_tbEUljE_EEESV_SW_SX_S14_S18_S1A_T6_T7_T9_mT8_S1C_bDpT10_ENKUlT_T0_E_clISt17integral_constantIbLb1EES1P_EEDaS1K_S1L_EUlS1K_E_NS1_11comp_targetILNS1_3genE9ELNS1_11target_archE1100ELNS1_3gpuE3ELNS1_3repE0EEENS1_30default_config_static_selectorELNS0_4arch9wavefront6targetE0EEEvSY_,"axG",@progbits,_ZN7rocprim17ROCPRIM_400000_NS6detail17trampoline_kernelINS0_13select_configILj256ELj13ELNS0_17block_load_methodE3ELS4_3ELS4_3ELNS0_20block_scan_algorithmE0ELj4294967295EEENS1_25partition_config_selectorILNS1_17partition_subalgoE3EjNS0_10empty_typeEbEEZZNS1_14partition_implILS8_3ELb0ES6_jNS0_17counting_iteratorIjlEEPS9_SE_NS0_5tupleIJPjSE_EEENSF_IJSE_SE_EEES9_SG_JZNS1_25segmented_radix_sort_implINS0_14default_configELb0EPKfPfPKlPlN2at6native12_GLOBAL__N_18offset_tEEE10hipError_tPvRmT1_PNSt15iterator_traitsISY_E10value_typeET2_T3_PNSZ_IS14_E10value_typeET4_jRbjT5_S1A_jjP12ihipStream_tbEUljE_EEESV_SW_SX_S14_S18_S1A_T6_T7_T9_mT8_S1C_bDpT10_ENKUlT_T0_E_clISt17integral_constantIbLb1EES1P_EEDaS1K_S1L_EUlS1K_E_NS1_11comp_targetILNS1_3genE9ELNS1_11target_archE1100ELNS1_3gpuE3ELNS1_3repE0EEENS1_30default_config_static_selectorELNS0_4arch9wavefront6targetE0EEEvSY_,comdat
.Lfunc_end1402:
	.size	_ZN7rocprim17ROCPRIM_400000_NS6detail17trampoline_kernelINS0_13select_configILj256ELj13ELNS0_17block_load_methodE3ELS4_3ELS4_3ELNS0_20block_scan_algorithmE0ELj4294967295EEENS1_25partition_config_selectorILNS1_17partition_subalgoE3EjNS0_10empty_typeEbEEZZNS1_14partition_implILS8_3ELb0ES6_jNS0_17counting_iteratorIjlEEPS9_SE_NS0_5tupleIJPjSE_EEENSF_IJSE_SE_EEES9_SG_JZNS1_25segmented_radix_sort_implINS0_14default_configELb0EPKfPfPKlPlN2at6native12_GLOBAL__N_18offset_tEEE10hipError_tPvRmT1_PNSt15iterator_traitsISY_E10value_typeET2_T3_PNSZ_IS14_E10value_typeET4_jRbjT5_S1A_jjP12ihipStream_tbEUljE_EEESV_SW_SX_S14_S18_S1A_T6_T7_T9_mT8_S1C_bDpT10_ENKUlT_T0_E_clISt17integral_constantIbLb1EES1P_EEDaS1K_S1L_EUlS1K_E_NS1_11comp_targetILNS1_3genE9ELNS1_11target_archE1100ELNS1_3gpuE3ELNS1_3repE0EEENS1_30default_config_static_selectorELNS0_4arch9wavefront6targetE0EEEvSY_, .Lfunc_end1402-_ZN7rocprim17ROCPRIM_400000_NS6detail17trampoline_kernelINS0_13select_configILj256ELj13ELNS0_17block_load_methodE3ELS4_3ELS4_3ELNS0_20block_scan_algorithmE0ELj4294967295EEENS1_25partition_config_selectorILNS1_17partition_subalgoE3EjNS0_10empty_typeEbEEZZNS1_14partition_implILS8_3ELb0ES6_jNS0_17counting_iteratorIjlEEPS9_SE_NS0_5tupleIJPjSE_EEENSF_IJSE_SE_EEES9_SG_JZNS1_25segmented_radix_sort_implINS0_14default_configELb0EPKfPfPKlPlN2at6native12_GLOBAL__N_18offset_tEEE10hipError_tPvRmT1_PNSt15iterator_traitsISY_E10value_typeET2_T3_PNSZ_IS14_E10value_typeET4_jRbjT5_S1A_jjP12ihipStream_tbEUljE_EEESV_SW_SX_S14_S18_S1A_T6_T7_T9_mT8_S1C_bDpT10_ENKUlT_T0_E_clISt17integral_constantIbLb1EES1P_EEDaS1K_S1L_EUlS1K_E_NS1_11comp_targetILNS1_3genE9ELNS1_11target_archE1100ELNS1_3gpuE3ELNS1_3repE0EEENS1_30default_config_static_selectorELNS0_4arch9wavefront6targetE0EEEvSY_
                                        ; -- End function
	.set _ZN7rocprim17ROCPRIM_400000_NS6detail17trampoline_kernelINS0_13select_configILj256ELj13ELNS0_17block_load_methodE3ELS4_3ELS4_3ELNS0_20block_scan_algorithmE0ELj4294967295EEENS1_25partition_config_selectorILNS1_17partition_subalgoE3EjNS0_10empty_typeEbEEZZNS1_14partition_implILS8_3ELb0ES6_jNS0_17counting_iteratorIjlEEPS9_SE_NS0_5tupleIJPjSE_EEENSF_IJSE_SE_EEES9_SG_JZNS1_25segmented_radix_sort_implINS0_14default_configELb0EPKfPfPKlPlN2at6native12_GLOBAL__N_18offset_tEEE10hipError_tPvRmT1_PNSt15iterator_traitsISY_E10value_typeET2_T3_PNSZ_IS14_E10value_typeET4_jRbjT5_S1A_jjP12ihipStream_tbEUljE_EEESV_SW_SX_S14_S18_S1A_T6_T7_T9_mT8_S1C_bDpT10_ENKUlT_T0_E_clISt17integral_constantIbLb1EES1P_EEDaS1K_S1L_EUlS1K_E_NS1_11comp_targetILNS1_3genE9ELNS1_11target_archE1100ELNS1_3gpuE3ELNS1_3repE0EEENS1_30default_config_static_selectorELNS0_4arch9wavefront6targetE0EEEvSY_.num_vgpr, 0
	.set _ZN7rocprim17ROCPRIM_400000_NS6detail17trampoline_kernelINS0_13select_configILj256ELj13ELNS0_17block_load_methodE3ELS4_3ELS4_3ELNS0_20block_scan_algorithmE0ELj4294967295EEENS1_25partition_config_selectorILNS1_17partition_subalgoE3EjNS0_10empty_typeEbEEZZNS1_14partition_implILS8_3ELb0ES6_jNS0_17counting_iteratorIjlEEPS9_SE_NS0_5tupleIJPjSE_EEENSF_IJSE_SE_EEES9_SG_JZNS1_25segmented_radix_sort_implINS0_14default_configELb0EPKfPfPKlPlN2at6native12_GLOBAL__N_18offset_tEEE10hipError_tPvRmT1_PNSt15iterator_traitsISY_E10value_typeET2_T3_PNSZ_IS14_E10value_typeET4_jRbjT5_S1A_jjP12ihipStream_tbEUljE_EEESV_SW_SX_S14_S18_S1A_T6_T7_T9_mT8_S1C_bDpT10_ENKUlT_T0_E_clISt17integral_constantIbLb1EES1P_EEDaS1K_S1L_EUlS1K_E_NS1_11comp_targetILNS1_3genE9ELNS1_11target_archE1100ELNS1_3gpuE3ELNS1_3repE0EEENS1_30default_config_static_selectorELNS0_4arch9wavefront6targetE0EEEvSY_.num_agpr, 0
	.set _ZN7rocprim17ROCPRIM_400000_NS6detail17trampoline_kernelINS0_13select_configILj256ELj13ELNS0_17block_load_methodE3ELS4_3ELS4_3ELNS0_20block_scan_algorithmE0ELj4294967295EEENS1_25partition_config_selectorILNS1_17partition_subalgoE3EjNS0_10empty_typeEbEEZZNS1_14partition_implILS8_3ELb0ES6_jNS0_17counting_iteratorIjlEEPS9_SE_NS0_5tupleIJPjSE_EEENSF_IJSE_SE_EEES9_SG_JZNS1_25segmented_radix_sort_implINS0_14default_configELb0EPKfPfPKlPlN2at6native12_GLOBAL__N_18offset_tEEE10hipError_tPvRmT1_PNSt15iterator_traitsISY_E10value_typeET2_T3_PNSZ_IS14_E10value_typeET4_jRbjT5_S1A_jjP12ihipStream_tbEUljE_EEESV_SW_SX_S14_S18_S1A_T6_T7_T9_mT8_S1C_bDpT10_ENKUlT_T0_E_clISt17integral_constantIbLb1EES1P_EEDaS1K_S1L_EUlS1K_E_NS1_11comp_targetILNS1_3genE9ELNS1_11target_archE1100ELNS1_3gpuE3ELNS1_3repE0EEENS1_30default_config_static_selectorELNS0_4arch9wavefront6targetE0EEEvSY_.numbered_sgpr, 0
	.set _ZN7rocprim17ROCPRIM_400000_NS6detail17trampoline_kernelINS0_13select_configILj256ELj13ELNS0_17block_load_methodE3ELS4_3ELS4_3ELNS0_20block_scan_algorithmE0ELj4294967295EEENS1_25partition_config_selectorILNS1_17partition_subalgoE3EjNS0_10empty_typeEbEEZZNS1_14partition_implILS8_3ELb0ES6_jNS0_17counting_iteratorIjlEEPS9_SE_NS0_5tupleIJPjSE_EEENSF_IJSE_SE_EEES9_SG_JZNS1_25segmented_radix_sort_implINS0_14default_configELb0EPKfPfPKlPlN2at6native12_GLOBAL__N_18offset_tEEE10hipError_tPvRmT1_PNSt15iterator_traitsISY_E10value_typeET2_T3_PNSZ_IS14_E10value_typeET4_jRbjT5_S1A_jjP12ihipStream_tbEUljE_EEESV_SW_SX_S14_S18_S1A_T6_T7_T9_mT8_S1C_bDpT10_ENKUlT_T0_E_clISt17integral_constantIbLb1EES1P_EEDaS1K_S1L_EUlS1K_E_NS1_11comp_targetILNS1_3genE9ELNS1_11target_archE1100ELNS1_3gpuE3ELNS1_3repE0EEENS1_30default_config_static_selectorELNS0_4arch9wavefront6targetE0EEEvSY_.num_named_barrier, 0
	.set _ZN7rocprim17ROCPRIM_400000_NS6detail17trampoline_kernelINS0_13select_configILj256ELj13ELNS0_17block_load_methodE3ELS4_3ELS4_3ELNS0_20block_scan_algorithmE0ELj4294967295EEENS1_25partition_config_selectorILNS1_17partition_subalgoE3EjNS0_10empty_typeEbEEZZNS1_14partition_implILS8_3ELb0ES6_jNS0_17counting_iteratorIjlEEPS9_SE_NS0_5tupleIJPjSE_EEENSF_IJSE_SE_EEES9_SG_JZNS1_25segmented_radix_sort_implINS0_14default_configELb0EPKfPfPKlPlN2at6native12_GLOBAL__N_18offset_tEEE10hipError_tPvRmT1_PNSt15iterator_traitsISY_E10value_typeET2_T3_PNSZ_IS14_E10value_typeET4_jRbjT5_S1A_jjP12ihipStream_tbEUljE_EEESV_SW_SX_S14_S18_S1A_T6_T7_T9_mT8_S1C_bDpT10_ENKUlT_T0_E_clISt17integral_constantIbLb1EES1P_EEDaS1K_S1L_EUlS1K_E_NS1_11comp_targetILNS1_3genE9ELNS1_11target_archE1100ELNS1_3gpuE3ELNS1_3repE0EEENS1_30default_config_static_selectorELNS0_4arch9wavefront6targetE0EEEvSY_.private_seg_size, 0
	.set _ZN7rocprim17ROCPRIM_400000_NS6detail17trampoline_kernelINS0_13select_configILj256ELj13ELNS0_17block_load_methodE3ELS4_3ELS4_3ELNS0_20block_scan_algorithmE0ELj4294967295EEENS1_25partition_config_selectorILNS1_17partition_subalgoE3EjNS0_10empty_typeEbEEZZNS1_14partition_implILS8_3ELb0ES6_jNS0_17counting_iteratorIjlEEPS9_SE_NS0_5tupleIJPjSE_EEENSF_IJSE_SE_EEES9_SG_JZNS1_25segmented_radix_sort_implINS0_14default_configELb0EPKfPfPKlPlN2at6native12_GLOBAL__N_18offset_tEEE10hipError_tPvRmT1_PNSt15iterator_traitsISY_E10value_typeET2_T3_PNSZ_IS14_E10value_typeET4_jRbjT5_S1A_jjP12ihipStream_tbEUljE_EEESV_SW_SX_S14_S18_S1A_T6_T7_T9_mT8_S1C_bDpT10_ENKUlT_T0_E_clISt17integral_constantIbLb1EES1P_EEDaS1K_S1L_EUlS1K_E_NS1_11comp_targetILNS1_3genE9ELNS1_11target_archE1100ELNS1_3gpuE3ELNS1_3repE0EEENS1_30default_config_static_selectorELNS0_4arch9wavefront6targetE0EEEvSY_.uses_vcc, 0
	.set _ZN7rocprim17ROCPRIM_400000_NS6detail17trampoline_kernelINS0_13select_configILj256ELj13ELNS0_17block_load_methodE3ELS4_3ELS4_3ELNS0_20block_scan_algorithmE0ELj4294967295EEENS1_25partition_config_selectorILNS1_17partition_subalgoE3EjNS0_10empty_typeEbEEZZNS1_14partition_implILS8_3ELb0ES6_jNS0_17counting_iteratorIjlEEPS9_SE_NS0_5tupleIJPjSE_EEENSF_IJSE_SE_EEES9_SG_JZNS1_25segmented_radix_sort_implINS0_14default_configELb0EPKfPfPKlPlN2at6native12_GLOBAL__N_18offset_tEEE10hipError_tPvRmT1_PNSt15iterator_traitsISY_E10value_typeET2_T3_PNSZ_IS14_E10value_typeET4_jRbjT5_S1A_jjP12ihipStream_tbEUljE_EEESV_SW_SX_S14_S18_S1A_T6_T7_T9_mT8_S1C_bDpT10_ENKUlT_T0_E_clISt17integral_constantIbLb1EES1P_EEDaS1K_S1L_EUlS1K_E_NS1_11comp_targetILNS1_3genE9ELNS1_11target_archE1100ELNS1_3gpuE3ELNS1_3repE0EEENS1_30default_config_static_selectorELNS0_4arch9wavefront6targetE0EEEvSY_.uses_flat_scratch, 0
	.set _ZN7rocprim17ROCPRIM_400000_NS6detail17trampoline_kernelINS0_13select_configILj256ELj13ELNS0_17block_load_methodE3ELS4_3ELS4_3ELNS0_20block_scan_algorithmE0ELj4294967295EEENS1_25partition_config_selectorILNS1_17partition_subalgoE3EjNS0_10empty_typeEbEEZZNS1_14partition_implILS8_3ELb0ES6_jNS0_17counting_iteratorIjlEEPS9_SE_NS0_5tupleIJPjSE_EEENSF_IJSE_SE_EEES9_SG_JZNS1_25segmented_radix_sort_implINS0_14default_configELb0EPKfPfPKlPlN2at6native12_GLOBAL__N_18offset_tEEE10hipError_tPvRmT1_PNSt15iterator_traitsISY_E10value_typeET2_T3_PNSZ_IS14_E10value_typeET4_jRbjT5_S1A_jjP12ihipStream_tbEUljE_EEESV_SW_SX_S14_S18_S1A_T6_T7_T9_mT8_S1C_bDpT10_ENKUlT_T0_E_clISt17integral_constantIbLb1EES1P_EEDaS1K_S1L_EUlS1K_E_NS1_11comp_targetILNS1_3genE9ELNS1_11target_archE1100ELNS1_3gpuE3ELNS1_3repE0EEENS1_30default_config_static_selectorELNS0_4arch9wavefront6targetE0EEEvSY_.has_dyn_sized_stack, 0
	.set _ZN7rocprim17ROCPRIM_400000_NS6detail17trampoline_kernelINS0_13select_configILj256ELj13ELNS0_17block_load_methodE3ELS4_3ELS4_3ELNS0_20block_scan_algorithmE0ELj4294967295EEENS1_25partition_config_selectorILNS1_17partition_subalgoE3EjNS0_10empty_typeEbEEZZNS1_14partition_implILS8_3ELb0ES6_jNS0_17counting_iteratorIjlEEPS9_SE_NS0_5tupleIJPjSE_EEENSF_IJSE_SE_EEES9_SG_JZNS1_25segmented_radix_sort_implINS0_14default_configELb0EPKfPfPKlPlN2at6native12_GLOBAL__N_18offset_tEEE10hipError_tPvRmT1_PNSt15iterator_traitsISY_E10value_typeET2_T3_PNSZ_IS14_E10value_typeET4_jRbjT5_S1A_jjP12ihipStream_tbEUljE_EEESV_SW_SX_S14_S18_S1A_T6_T7_T9_mT8_S1C_bDpT10_ENKUlT_T0_E_clISt17integral_constantIbLb1EES1P_EEDaS1K_S1L_EUlS1K_E_NS1_11comp_targetILNS1_3genE9ELNS1_11target_archE1100ELNS1_3gpuE3ELNS1_3repE0EEENS1_30default_config_static_selectorELNS0_4arch9wavefront6targetE0EEEvSY_.has_recursion, 0
	.set _ZN7rocprim17ROCPRIM_400000_NS6detail17trampoline_kernelINS0_13select_configILj256ELj13ELNS0_17block_load_methodE3ELS4_3ELS4_3ELNS0_20block_scan_algorithmE0ELj4294967295EEENS1_25partition_config_selectorILNS1_17partition_subalgoE3EjNS0_10empty_typeEbEEZZNS1_14partition_implILS8_3ELb0ES6_jNS0_17counting_iteratorIjlEEPS9_SE_NS0_5tupleIJPjSE_EEENSF_IJSE_SE_EEES9_SG_JZNS1_25segmented_radix_sort_implINS0_14default_configELb0EPKfPfPKlPlN2at6native12_GLOBAL__N_18offset_tEEE10hipError_tPvRmT1_PNSt15iterator_traitsISY_E10value_typeET2_T3_PNSZ_IS14_E10value_typeET4_jRbjT5_S1A_jjP12ihipStream_tbEUljE_EEESV_SW_SX_S14_S18_S1A_T6_T7_T9_mT8_S1C_bDpT10_ENKUlT_T0_E_clISt17integral_constantIbLb1EES1P_EEDaS1K_S1L_EUlS1K_E_NS1_11comp_targetILNS1_3genE9ELNS1_11target_archE1100ELNS1_3gpuE3ELNS1_3repE0EEENS1_30default_config_static_selectorELNS0_4arch9wavefront6targetE0EEEvSY_.has_indirect_call, 0
	.section	.AMDGPU.csdata,"",@progbits
; Kernel info:
; codeLenInByte = 0
; TotalNumSgprs: 0
; NumVgprs: 0
; ScratchSize: 0
; MemoryBound: 0
; FloatMode: 240
; IeeeMode: 1
; LDSByteSize: 0 bytes/workgroup (compile time only)
; SGPRBlocks: 0
; VGPRBlocks: 0
; NumSGPRsForWavesPerEU: 1
; NumVGPRsForWavesPerEU: 1
; Occupancy: 16
; WaveLimiterHint : 0
; COMPUTE_PGM_RSRC2:SCRATCH_EN: 0
; COMPUTE_PGM_RSRC2:USER_SGPR: 6
; COMPUTE_PGM_RSRC2:TRAP_HANDLER: 0
; COMPUTE_PGM_RSRC2:TGID_X_EN: 1
; COMPUTE_PGM_RSRC2:TGID_Y_EN: 0
; COMPUTE_PGM_RSRC2:TGID_Z_EN: 0
; COMPUTE_PGM_RSRC2:TIDIG_COMP_CNT: 0
	.section	.text._ZN7rocprim17ROCPRIM_400000_NS6detail17trampoline_kernelINS0_13select_configILj256ELj13ELNS0_17block_load_methodE3ELS4_3ELS4_3ELNS0_20block_scan_algorithmE0ELj4294967295EEENS1_25partition_config_selectorILNS1_17partition_subalgoE3EjNS0_10empty_typeEbEEZZNS1_14partition_implILS8_3ELb0ES6_jNS0_17counting_iteratorIjlEEPS9_SE_NS0_5tupleIJPjSE_EEENSF_IJSE_SE_EEES9_SG_JZNS1_25segmented_radix_sort_implINS0_14default_configELb0EPKfPfPKlPlN2at6native12_GLOBAL__N_18offset_tEEE10hipError_tPvRmT1_PNSt15iterator_traitsISY_E10value_typeET2_T3_PNSZ_IS14_E10value_typeET4_jRbjT5_S1A_jjP12ihipStream_tbEUljE_EEESV_SW_SX_S14_S18_S1A_T6_T7_T9_mT8_S1C_bDpT10_ENKUlT_T0_E_clISt17integral_constantIbLb1EES1P_EEDaS1K_S1L_EUlS1K_E_NS1_11comp_targetILNS1_3genE8ELNS1_11target_archE1030ELNS1_3gpuE2ELNS1_3repE0EEENS1_30default_config_static_selectorELNS0_4arch9wavefront6targetE0EEEvSY_,"axG",@progbits,_ZN7rocprim17ROCPRIM_400000_NS6detail17trampoline_kernelINS0_13select_configILj256ELj13ELNS0_17block_load_methodE3ELS4_3ELS4_3ELNS0_20block_scan_algorithmE0ELj4294967295EEENS1_25partition_config_selectorILNS1_17partition_subalgoE3EjNS0_10empty_typeEbEEZZNS1_14partition_implILS8_3ELb0ES6_jNS0_17counting_iteratorIjlEEPS9_SE_NS0_5tupleIJPjSE_EEENSF_IJSE_SE_EEES9_SG_JZNS1_25segmented_radix_sort_implINS0_14default_configELb0EPKfPfPKlPlN2at6native12_GLOBAL__N_18offset_tEEE10hipError_tPvRmT1_PNSt15iterator_traitsISY_E10value_typeET2_T3_PNSZ_IS14_E10value_typeET4_jRbjT5_S1A_jjP12ihipStream_tbEUljE_EEESV_SW_SX_S14_S18_S1A_T6_T7_T9_mT8_S1C_bDpT10_ENKUlT_T0_E_clISt17integral_constantIbLb1EES1P_EEDaS1K_S1L_EUlS1K_E_NS1_11comp_targetILNS1_3genE8ELNS1_11target_archE1030ELNS1_3gpuE2ELNS1_3repE0EEENS1_30default_config_static_selectorELNS0_4arch9wavefront6targetE0EEEvSY_,comdat
	.globl	_ZN7rocprim17ROCPRIM_400000_NS6detail17trampoline_kernelINS0_13select_configILj256ELj13ELNS0_17block_load_methodE3ELS4_3ELS4_3ELNS0_20block_scan_algorithmE0ELj4294967295EEENS1_25partition_config_selectorILNS1_17partition_subalgoE3EjNS0_10empty_typeEbEEZZNS1_14partition_implILS8_3ELb0ES6_jNS0_17counting_iteratorIjlEEPS9_SE_NS0_5tupleIJPjSE_EEENSF_IJSE_SE_EEES9_SG_JZNS1_25segmented_radix_sort_implINS0_14default_configELb0EPKfPfPKlPlN2at6native12_GLOBAL__N_18offset_tEEE10hipError_tPvRmT1_PNSt15iterator_traitsISY_E10value_typeET2_T3_PNSZ_IS14_E10value_typeET4_jRbjT5_S1A_jjP12ihipStream_tbEUljE_EEESV_SW_SX_S14_S18_S1A_T6_T7_T9_mT8_S1C_bDpT10_ENKUlT_T0_E_clISt17integral_constantIbLb1EES1P_EEDaS1K_S1L_EUlS1K_E_NS1_11comp_targetILNS1_3genE8ELNS1_11target_archE1030ELNS1_3gpuE2ELNS1_3repE0EEENS1_30default_config_static_selectorELNS0_4arch9wavefront6targetE0EEEvSY_ ; -- Begin function _ZN7rocprim17ROCPRIM_400000_NS6detail17trampoline_kernelINS0_13select_configILj256ELj13ELNS0_17block_load_methodE3ELS4_3ELS4_3ELNS0_20block_scan_algorithmE0ELj4294967295EEENS1_25partition_config_selectorILNS1_17partition_subalgoE3EjNS0_10empty_typeEbEEZZNS1_14partition_implILS8_3ELb0ES6_jNS0_17counting_iteratorIjlEEPS9_SE_NS0_5tupleIJPjSE_EEENSF_IJSE_SE_EEES9_SG_JZNS1_25segmented_radix_sort_implINS0_14default_configELb0EPKfPfPKlPlN2at6native12_GLOBAL__N_18offset_tEEE10hipError_tPvRmT1_PNSt15iterator_traitsISY_E10value_typeET2_T3_PNSZ_IS14_E10value_typeET4_jRbjT5_S1A_jjP12ihipStream_tbEUljE_EEESV_SW_SX_S14_S18_S1A_T6_T7_T9_mT8_S1C_bDpT10_ENKUlT_T0_E_clISt17integral_constantIbLb1EES1P_EEDaS1K_S1L_EUlS1K_E_NS1_11comp_targetILNS1_3genE8ELNS1_11target_archE1030ELNS1_3gpuE2ELNS1_3repE0EEENS1_30default_config_static_selectorELNS0_4arch9wavefront6targetE0EEEvSY_
	.p2align	8
	.type	_ZN7rocprim17ROCPRIM_400000_NS6detail17trampoline_kernelINS0_13select_configILj256ELj13ELNS0_17block_load_methodE3ELS4_3ELS4_3ELNS0_20block_scan_algorithmE0ELj4294967295EEENS1_25partition_config_selectorILNS1_17partition_subalgoE3EjNS0_10empty_typeEbEEZZNS1_14partition_implILS8_3ELb0ES6_jNS0_17counting_iteratorIjlEEPS9_SE_NS0_5tupleIJPjSE_EEENSF_IJSE_SE_EEES9_SG_JZNS1_25segmented_radix_sort_implINS0_14default_configELb0EPKfPfPKlPlN2at6native12_GLOBAL__N_18offset_tEEE10hipError_tPvRmT1_PNSt15iterator_traitsISY_E10value_typeET2_T3_PNSZ_IS14_E10value_typeET4_jRbjT5_S1A_jjP12ihipStream_tbEUljE_EEESV_SW_SX_S14_S18_S1A_T6_T7_T9_mT8_S1C_bDpT10_ENKUlT_T0_E_clISt17integral_constantIbLb1EES1P_EEDaS1K_S1L_EUlS1K_E_NS1_11comp_targetILNS1_3genE8ELNS1_11target_archE1030ELNS1_3gpuE2ELNS1_3repE0EEENS1_30default_config_static_selectorELNS0_4arch9wavefront6targetE0EEEvSY_,@function
_ZN7rocprim17ROCPRIM_400000_NS6detail17trampoline_kernelINS0_13select_configILj256ELj13ELNS0_17block_load_methodE3ELS4_3ELS4_3ELNS0_20block_scan_algorithmE0ELj4294967295EEENS1_25partition_config_selectorILNS1_17partition_subalgoE3EjNS0_10empty_typeEbEEZZNS1_14partition_implILS8_3ELb0ES6_jNS0_17counting_iteratorIjlEEPS9_SE_NS0_5tupleIJPjSE_EEENSF_IJSE_SE_EEES9_SG_JZNS1_25segmented_radix_sort_implINS0_14default_configELb0EPKfPfPKlPlN2at6native12_GLOBAL__N_18offset_tEEE10hipError_tPvRmT1_PNSt15iterator_traitsISY_E10value_typeET2_T3_PNSZ_IS14_E10value_typeET4_jRbjT5_S1A_jjP12ihipStream_tbEUljE_EEESV_SW_SX_S14_S18_S1A_T6_T7_T9_mT8_S1C_bDpT10_ENKUlT_T0_E_clISt17integral_constantIbLb1EES1P_EEDaS1K_S1L_EUlS1K_E_NS1_11comp_targetILNS1_3genE8ELNS1_11target_archE1030ELNS1_3gpuE2ELNS1_3repE0EEENS1_30default_config_static_selectorELNS0_4arch9wavefront6targetE0EEEvSY_: ; @_ZN7rocprim17ROCPRIM_400000_NS6detail17trampoline_kernelINS0_13select_configILj256ELj13ELNS0_17block_load_methodE3ELS4_3ELS4_3ELNS0_20block_scan_algorithmE0ELj4294967295EEENS1_25partition_config_selectorILNS1_17partition_subalgoE3EjNS0_10empty_typeEbEEZZNS1_14partition_implILS8_3ELb0ES6_jNS0_17counting_iteratorIjlEEPS9_SE_NS0_5tupleIJPjSE_EEENSF_IJSE_SE_EEES9_SG_JZNS1_25segmented_radix_sort_implINS0_14default_configELb0EPKfPfPKlPlN2at6native12_GLOBAL__N_18offset_tEEE10hipError_tPvRmT1_PNSt15iterator_traitsISY_E10value_typeET2_T3_PNSZ_IS14_E10value_typeET4_jRbjT5_S1A_jjP12ihipStream_tbEUljE_EEESV_SW_SX_S14_S18_S1A_T6_T7_T9_mT8_S1C_bDpT10_ENKUlT_T0_E_clISt17integral_constantIbLb1EES1P_EEDaS1K_S1L_EUlS1K_E_NS1_11comp_targetILNS1_3genE8ELNS1_11target_archE1030ELNS1_3gpuE2ELNS1_3repE0EEENS1_30default_config_static_selectorELNS0_4arch9wavefront6targetE0EEEvSY_
; %bb.0:
	s_endpgm
	.section	.rodata,"a",@progbits
	.p2align	6, 0x0
	.amdhsa_kernel _ZN7rocprim17ROCPRIM_400000_NS6detail17trampoline_kernelINS0_13select_configILj256ELj13ELNS0_17block_load_methodE3ELS4_3ELS4_3ELNS0_20block_scan_algorithmE0ELj4294967295EEENS1_25partition_config_selectorILNS1_17partition_subalgoE3EjNS0_10empty_typeEbEEZZNS1_14partition_implILS8_3ELb0ES6_jNS0_17counting_iteratorIjlEEPS9_SE_NS0_5tupleIJPjSE_EEENSF_IJSE_SE_EEES9_SG_JZNS1_25segmented_radix_sort_implINS0_14default_configELb0EPKfPfPKlPlN2at6native12_GLOBAL__N_18offset_tEEE10hipError_tPvRmT1_PNSt15iterator_traitsISY_E10value_typeET2_T3_PNSZ_IS14_E10value_typeET4_jRbjT5_S1A_jjP12ihipStream_tbEUljE_EEESV_SW_SX_S14_S18_S1A_T6_T7_T9_mT8_S1C_bDpT10_ENKUlT_T0_E_clISt17integral_constantIbLb1EES1P_EEDaS1K_S1L_EUlS1K_E_NS1_11comp_targetILNS1_3genE8ELNS1_11target_archE1030ELNS1_3gpuE2ELNS1_3repE0EEENS1_30default_config_static_selectorELNS0_4arch9wavefront6targetE0EEEvSY_
		.amdhsa_group_segment_fixed_size 0
		.amdhsa_private_segment_fixed_size 0
		.amdhsa_kernarg_size 152
		.amdhsa_user_sgpr_count 6
		.amdhsa_user_sgpr_private_segment_buffer 1
		.amdhsa_user_sgpr_dispatch_ptr 0
		.amdhsa_user_sgpr_queue_ptr 0
		.amdhsa_user_sgpr_kernarg_segment_ptr 1
		.amdhsa_user_sgpr_dispatch_id 0
		.amdhsa_user_sgpr_flat_scratch_init 0
		.amdhsa_user_sgpr_private_segment_size 0
		.amdhsa_wavefront_size32 1
		.amdhsa_uses_dynamic_stack 0
		.amdhsa_system_sgpr_private_segment_wavefront_offset 0
		.amdhsa_system_sgpr_workgroup_id_x 1
		.amdhsa_system_sgpr_workgroup_id_y 0
		.amdhsa_system_sgpr_workgroup_id_z 0
		.amdhsa_system_sgpr_workgroup_info 0
		.amdhsa_system_vgpr_workitem_id 0
		.amdhsa_next_free_vgpr 1
		.amdhsa_next_free_sgpr 1
		.amdhsa_reserve_vcc 0
		.amdhsa_reserve_flat_scratch 0
		.amdhsa_float_round_mode_32 0
		.amdhsa_float_round_mode_16_64 0
		.amdhsa_float_denorm_mode_32 3
		.amdhsa_float_denorm_mode_16_64 3
		.amdhsa_dx10_clamp 1
		.amdhsa_ieee_mode 1
		.amdhsa_fp16_overflow 0
		.amdhsa_workgroup_processor_mode 1
		.amdhsa_memory_ordered 1
		.amdhsa_forward_progress 1
		.amdhsa_shared_vgpr_count 0
		.amdhsa_exception_fp_ieee_invalid_op 0
		.amdhsa_exception_fp_denorm_src 0
		.amdhsa_exception_fp_ieee_div_zero 0
		.amdhsa_exception_fp_ieee_overflow 0
		.amdhsa_exception_fp_ieee_underflow 0
		.amdhsa_exception_fp_ieee_inexact 0
		.amdhsa_exception_int_div_zero 0
	.end_amdhsa_kernel
	.section	.text._ZN7rocprim17ROCPRIM_400000_NS6detail17trampoline_kernelINS0_13select_configILj256ELj13ELNS0_17block_load_methodE3ELS4_3ELS4_3ELNS0_20block_scan_algorithmE0ELj4294967295EEENS1_25partition_config_selectorILNS1_17partition_subalgoE3EjNS0_10empty_typeEbEEZZNS1_14partition_implILS8_3ELb0ES6_jNS0_17counting_iteratorIjlEEPS9_SE_NS0_5tupleIJPjSE_EEENSF_IJSE_SE_EEES9_SG_JZNS1_25segmented_radix_sort_implINS0_14default_configELb0EPKfPfPKlPlN2at6native12_GLOBAL__N_18offset_tEEE10hipError_tPvRmT1_PNSt15iterator_traitsISY_E10value_typeET2_T3_PNSZ_IS14_E10value_typeET4_jRbjT5_S1A_jjP12ihipStream_tbEUljE_EEESV_SW_SX_S14_S18_S1A_T6_T7_T9_mT8_S1C_bDpT10_ENKUlT_T0_E_clISt17integral_constantIbLb1EES1P_EEDaS1K_S1L_EUlS1K_E_NS1_11comp_targetILNS1_3genE8ELNS1_11target_archE1030ELNS1_3gpuE2ELNS1_3repE0EEENS1_30default_config_static_selectorELNS0_4arch9wavefront6targetE0EEEvSY_,"axG",@progbits,_ZN7rocprim17ROCPRIM_400000_NS6detail17trampoline_kernelINS0_13select_configILj256ELj13ELNS0_17block_load_methodE3ELS4_3ELS4_3ELNS0_20block_scan_algorithmE0ELj4294967295EEENS1_25partition_config_selectorILNS1_17partition_subalgoE3EjNS0_10empty_typeEbEEZZNS1_14partition_implILS8_3ELb0ES6_jNS0_17counting_iteratorIjlEEPS9_SE_NS0_5tupleIJPjSE_EEENSF_IJSE_SE_EEES9_SG_JZNS1_25segmented_radix_sort_implINS0_14default_configELb0EPKfPfPKlPlN2at6native12_GLOBAL__N_18offset_tEEE10hipError_tPvRmT1_PNSt15iterator_traitsISY_E10value_typeET2_T3_PNSZ_IS14_E10value_typeET4_jRbjT5_S1A_jjP12ihipStream_tbEUljE_EEESV_SW_SX_S14_S18_S1A_T6_T7_T9_mT8_S1C_bDpT10_ENKUlT_T0_E_clISt17integral_constantIbLb1EES1P_EEDaS1K_S1L_EUlS1K_E_NS1_11comp_targetILNS1_3genE8ELNS1_11target_archE1030ELNS1_3gpuE2ELNS1_3repE0EEENS1_30default_config_static_selectorELNS0_4arch9wavefront6targetE0EEEvSY_,comdat
.Lfunc_end1403:
	.size	_ZN7rocprim17ROCPRIM_400000_NS6detail17trampoline_kernelINS0_13select_configILj256ELj13ELNS0_17block_load_methodE3ELS4_3ELS4_3ELNS0_20block_scan_algorithmE0ELj4294967295EEENS1_25partition_config_selectorILNS1_17partition_subalgoE3EjNS0_10empty_typeEbEEZZNS1_14partition_implILS8_3ELb0ES6_jNS0_17counting_iteratorIjlEEPS9_SE_NS0_5tupleIJPjSE_EEENSF_IJSE_SE_EEES9_SG_JZNS1_25segmented_radix_sort_implINS0_14default_configELb0EPKfPfPKlPlN2at6native12_GLOBAL__N_18offset_tEEE10hipError_tPvRmT1_PNSt15iterator_traitsISY_E10value_typeET2_T3_PNSZ_IS14_E10value_typeET4_jRbjT5_S1A_jjP12ihipStream_tbEUljE_EEESV_SW_SX_S14_S18_S1A_T6_T7_T9_mT8_S1C_bDpT10_ENKUlT_T0_E_clISt17integral_constantIbLb1EES1P_EEDaS1K_S1L_EUlS1K_E_NS1_11comp_targetILNS1_3genE8ELNS1_11target_archE1030ELNS1_3gpuE2ELNS1_3repE0EEENS1_30default_config_static_selectorELNS0_4arch9wavefront6targetE0EEEvSY_, .Lfunc_end1403-_ZN7rocprim17ROCPRIM_400000_NS6detail17trampoline_kernelINS0_13select_configILj256ELj13ELNS0_17block_load_methodE3ELS4_3ELS4_3ELNS0_20block_scan_algorithmE0ELj4294967295EEENS1_25partition_config_selectorILNS1_17partition_subalgoE3EjNS0_10empty_typeEbEEZZNS1_14partition_implILS8_3ELb0ES6_jNS0_17counting_iteratorIjlEEPS9_SE_NS0_5tupleIJPjSE_EEENSF_IJSE_SE_EEES9_SG_JZNS1_25segmented_radix_sort_implINS0_14default_configELb0EPKfPfPKlPlN2at6native12_GLOBAL__N_18offset_tEEE10hipError_tPvRmT1_PNSt15iterator_traitsISY_E10value_typeET2_T3_PNSZ_IS14_E10value_typeET4_jRbjT5_S1A_jjP12ihipStream_tbEUljE_EEESV_SW_SX_S14_S18_S1A_T6_T7_T9_mT8_S1C_bDpT10_ENKUlT_T0_E_clISt17integral_constantIbLb1EES1P_EEDaS1K_S1L_EUlS1K_E_NS1_11comp_targetILNS1_3genE8ELNS1_11target_archE1030ELNS1_3gpuE2ELNS1_3repE0EEENS1_30default_config_static_selectorELNS0_4arch9wavefront6targetE0EEEvSY_
                                        ; -- End function
	.set _ZN7rocprim17ROCPRIM_400000_NS6detail17trampoline_kernelINS0_13select_configILj256ELj13ELNS0_17block_load_methodE3ELS4_3ELS4_3ELNS0_20block_scan_algorithmE0ELj4294967295EEENS1_25partition_config_selectorILNS1_17partition_subalgoE3EjNS0_10empty_typeEbEEZZNS1_14partition_implILS8_3ELb0ES6_jNS0_17counting_iteratorIjlEEPS9_SE_NS0_5tupleIJPjSE_EEENSF_IJSE_SE_EEES9_SG_JZNS1_25segmented_radix_sort_implINS0_14default_configELb0EPKfPfPKlPlN2at6native12_GLOBAL__N_18offset_tEEE10hipError_tPvRmT1_PNSt15iterator_traitsISY_E10value_typeET2_T3_PNSZ_IS14_E10value_typeET4_jRbjT5_S1A_jjP12ihipStream_tbEUljE_EEESV_SW_SX_S14_S18_S1A_T6_T7_T9_mT8_S1C_bDpT10_ENKUlT_T0_E_clISt17integral_constantIbLb1EES1P_EEDaS1K_S1L_EUlS1K_E_NS1_11comp_targetILNS1_3genE8ELNS1_11target_archE1030ELNS1_3gpuE2ELNS1_3repE0EEENS1_30default_config_static_selectorELNS0_4arch9wavefront6targetE0EEEvSY_.num_vgpr, 0
	.set _ZN7rocprim17ROCPRIM_400000_NS6detail17trampoline_kernelINS0_13select_configILj256ELj13ELNS0_17block_load_methodE3ELS4_3ELS4_3ELNS0_20block_scan_algorithmE0ELj4294967295EEENS1_25partition_config_selectorILNS1_17partition_subalgoE3EjNS0_10empty_typeEbEEZZNS1_14partition_implILS8_3ELb0ES6_jNS0_17counting_iteratorIjlEEPS9_SE_NS0_5tupleIJPjSE_EEENSF_IJSE_SE_EEES9_SG_JZNS1_25segmented_radix_sort_implINS0_14default_configELb0EPKfPfPKlPlN2at6native12_GLOBAL__N_18offset_tEEE10hipError_tPvRmT1_PNSt15iterator_traitsISY_E10value_typeET2_T3_PNSZ_IS14_E10value_typeET4_jRbjT5_S1A_jjP12ihipStream_tbEUljE_EEESV_SW_SX_S14_S18_S1A_T6_T7_T9_mT8_S1C_bDpT10_ENKUlT_T0_E_clISt17integral_constantIbLb1EES1P_EEDaS1K_S1L_EUlS1K_E_NS1_11comp_targetILNS1_3genE8ELNS1_11target_archE1030ELNS1_3gpuE2ELNS1_3repE0EEENS1_30default_config_static_selectorELNS0_4arch9wavefront6targetE0EEEvSY_.num_agpr, 0
	.set _ZN7rocprim17ROCPRIM_400000_NS6detail17trampoline_kernelINS0_13select_configILj256ELj13ELNS0_17block_load_methodE3ELS4_3ELS4_3ELNS0_20block_scan_algorithmE0ELj4294967295EEENS1_25partition_config_selectorILNS1_17partition_subalgoE3EjNS0_10empty_typeEbEEZZNS1_14partition_implILS8_3ELb0ES6_jNS0_17counting_iteratorIjlEEPS9_SE_NS0_5tupleIJPjSE_EEENSF_IJSE_SE_EEES9_SG_JZNS1_25segmented_radix_sort_implINS0_14default_configELb0EPKfPfPKlPlN2at6native12_GLOBAL__N_18offset_tEEE10hipError_tPvRmT1_PNSt15iterator_traitsISY_E10value_typeET2_T3_PNSZ_IS14_E10value_typeET4_jRbjT5_S1A_jjP12ihipStream_tbEUljE_EEESV_SW_SX_S14_S18_S1A_T6_T7_T9_mT8_S1C_bDpT10_ENKUlT_T0_E_clISt17integral_constantIbLb1EES1P_EEDaS1K_S1L_EUlS1K_E_NS1_11comp_targetILNS1_3genE8ELNS1_11target_archE1030ELNS1_3gpuE2ELNS1_3repE0EEENS1_30default_config_static_selectorELNS0_4arch9wavefront6targetE0EEEvSY_.numbered_sgpr, 0
	.set _ZN7rocprim17ROCPRIM_400000_NS6detail17trampoline_kernelINS0_13select_configILj256ELj13ELNS0_17block_load_methodE3ELS4_3ELS4_3ELNS0_20block_scan_algorithmE0ELj4294967295EEENS1_25partition_config_selectorILNS1_17partition_subalgoE3EjNS0_10empty_typeEbEEZZNS1_14partition_implILS8_3ELb0ES6_jNS0_17counting_iteratorIjlEEPS9_SE_NS0_5tupleIJPjSE_EEENSF_IJSE_SE_EEES9_SG_JZNS1_25segmented_radix_sort_implINS0_14default_configELb0EPKfPfPKlPlN2at6native12_GLOBAL__N_18offset_tEEE10hipError_tPvRmT1_PNSt15iterator_traitsISY_E10value_typeET2_T3_PNSZ_IS14_E10value_typeET4_jRbjT5_S1A_jjP12ihipStream_tbEUljE_EEESV_SW_SX_S14_S18_S1A_T6_T7_T9_mT8_S1C_bDpT10_ENKUlT_T0_E_clISt17integral_constantIbLb1EES1P_EEDaS1K_S1L_EUlS1K_E_NS1_11comp_targetILNS1_3genE8ELNS1_11target_archE1030ELNS1_3gpuE2ELNS1_3repE0EEENS1_30default_config_static_selectorELNS0_4arch9wavefront6targetE0EEEvSY_.num_named_barrier, 0
	.set _ZN7rocprim17ROCPRIM_400000_NS6detail17trampoline_kernelINS0_13select_configILj256ELj13ELNS0_17block_load_methodE3ELS4_3ELS4_3ELNS0_20block_scan_algorithmE0ELj4294967295EEENS1_25partition_config_selectorILNS1_17partition_subalgoE3EjNS0_10empty_typeEbEEZZNS1_14partition_implILS8_3ELb0ES6_jNS0_17counting_iteratorIjlEEPS9_SE_NS0_5tupleIJPjSE_EEENSF_IJSE_SE_EEES9_SG_JZNS1_25segmented_radix_sort_implINS0_14default_configELb0EPKfPfPKlPlN2at6native12_GLOBAL__N_18offset_tEEE10hipError_tPvRmT1_PNSt15iterator_traitsISY_E10value_typeET2_T3_PNSZ_IS14_E10value_typeET4_jRbjT5_S1A_jjP12ihipStream_tbEUljE_EEESV_SW_SX_S14_S18_S1A_T6_T7_T9_mT8_S1C_bDpT10_ENKUlT_T0_E_clISt17integral_constantIbLb1EES1P_EEDaS1K_S1L_EUlS1K_E_NS1_11comp_targetILNS1_3genE8ELNS1_11target_archE1030ELNS1_3gpuE2ELNS1_3repE0EEENS1_30default_config_static_selectorELNS0_4arch9wavefront6targetE0EEEvSY_.private_seg_size, 0
	.set _ZN7rocprim17ROCPRIM_400000_NS6detail17trampoline_kernelINS0_13select_configILj256ELj13ELNS0_17block_load_methodE3ELS4_3ELS4_3ELNS0_20block_scan_algorithmE0ELj4294967295EEENS1_25partition_config_selectorILNS1_17partition_subalgoE3EjNS0_10empty_typeEbEEZZNS1_14partition_implILS8_3ELb0ES6_jNS0_17counting_iteratorIjlEEPS9_SE_NS0_5tupleIJPjSE_EEENSF_IJSE_SE_EEES9_SG_JZNS1_25segmented_radix_sort_implINS0_14default_configELb0EPKfPfPKlPlN2at6native12_GLOBAL__N_18offset_tEEE10hipError_tPvRmT1_PNSt15iterator_traitsISY_E10value_typeET2_T3_PNSZ_IS14_E10value_typeET4_jRbjT5_S1A_jjP12ihipStream_tbEUljE_EEESV_SW_SX_S14_S18_S1A_T6_T7_T9_mT8_S1C_bDpT10_ENKUlT_T0_E_clISt17integral_constantIbLb1EES1P_EEDaS1K_S1L_EUlS1K_E_NS1_11comp_targetILNS1_3genE8ELNS1_11target_archE1030ELNS1_3gpuE2ELNS1_3repE0EEENS1_30default_config_static_selectorELNS0_4arch9wavefront6targetE0EEEvSY_.uses_vcc, 0
	.set _ZN7rocprim17ROCPRIM_400000_NS6detail17trampoline_kernelINS0_13select_configILj256ELj13ELNS0_17block_load_methodE3ELS4_3ELS4_3ELNS0_20block_scan_algorithmE0ELj4294967295EEENS1_25partition_config_selectorILNS1_17partition_subalgoE3EjNS0_10empty_typeEbEEZZNS1_14partition_implILS8_3ELb0ES6_jNS0_17counting_iteratorIjlEEPS9_SE_NS0_5tupleIJPjSE_EEENSF_IJSE_SE_EEES9_SG_JZNS1_25segmented_radix_sort_implINS0_14default_configELb0EPKfPfPKlPlN2at6native12_GLOBAL__N_18offset_tEEE10hipError_tPvRmT1_PNSt15iterator_traitsISY_E10value_typeET2_T3_PNSZ_IS14_E10value_typeET4_jRbjT5_S1A_jjP12ihipStream_tbEUljE_EEESV_SW_SX_S14_S18_S1A_T6_T7_T9_mT8_S1C_bDpT10_ENKUlT_T0_E_clISt17integral_constantIbLb1EES1P_EEDaS1K_S1L_EUlS1K_E_NS1_11comp_targetILNS1_3genE8ELNS1_11target_archE1030ELNS1_3gpuE2ELNS1_3repE0EEENS1_30default_config_static_selectorELNS0_4arch9wavefront6targetE0EEEvSY_.uses_flat_scratch, 0
	.set _ZN7rocprim17ROCPRIM_400000_NS6detail17trampoline_kernelINS0_13select_configILj256ELj13ELNS0_17block_load_methodE3ELS4_3ELS4_3ELNS0_20block_scan_algorithmE0ELj4294967295EEENS1_25partition_config_selectorILNS1_17partition_subalgoE3EjNS0_10empty_typeEbEEZZNS1_14partition_implILS8_3ELb0ES6_jNS0_17counting_iteratorIjlEEPS9_SE_NS0_5tupleIJPjSE_EEENSF_IJSE_SE_EEES9_SG_JZNS1_25segmented_radix_sort_implINS0_14default_configELb0EPKfPfPKlPlN2at6native12_GLOBAL__N_18offset_tEEE10hipError_tPvRmT1_PNSt15iterator_traitsISY_E10value_typeET2_T3_PNSZ_IS14_E10value_typeET4_jRbjT5_S1A_jjP12ihipStream_tbEUljE_EEESV_SW_SX_S14_S18_S1A_T6_T7_T9_mT8_S1C_bDpT10_ENKUlT_T0_E_clISt17integral_constantIbLb1EES1P_EEDaS1K_S1L_EUlS1K_E_NS1_11comp_targetILNS1_3genE8ELNS1_11target_archE1030ELNS1_3gpuE2ELNS1_3repE0EEENS1_30default_config_static_selectorELNS0_4arch9wavefront6targetE0EEEvSY_.has_dyn_sized_stack, 0
	.set _ZN7rocprim17ROCPRIM_400000_NS6detail17trampoline_kernelINS0_13select_configILj256ELj13ELNS0_17block_load_methodE3ELS4_3ELS4_3ELNS0_20block_scan_algorithmE0ELj4294967295EEENS1_25partition_config_selectorILNS1_17partition_subalgoE3EjNS0_10empty_typeEbEEZZNS1_14partition_implILS8_3ELb0ES6_jNS0_17counting_iteratorIjlEEPS9_SE_NS0_5tupleIJPjSE_EEENSF_IJSE_SE_EEES9_SG_JZNS1_25segmented_radix_sort_implINS0_14default_configELb0EPKfPfPKlPlN2at6native12_GLOBAL__N_18offset_tEEE10hipError_tPvRmT1_PNSt15iterator_traitsISY_E10value_typeET2_T3_PNSZ_IS14_E10value_typeET4_jRbjT5_S1A_jjP12ihipStream_tbEUljE_EEESV_SW_SX_S14_S18_S1A_T6_T7_T9_mT8_S1C_bDpT10_ENKUlT_T0_E_clISt17integral_constantIbLb1EES1P_EEDaS1K_S1L_EUlS1K_E_NS1_11comp_targetILNS1_3genE8ELNS1_11target_archE1030ELNS1_3gpuE2ELNS1_3repE0EEENS1_30default_config_static_selectorELNS0_4arch9wavefront6targetE0EEEvSY_.has_recursion, 0
	.set _ZN7rocprim17ROCPRIM_400000_NS6detail17trampoline_kernelINS0_13select_configILj256ELj13ELNS0_17block_load_methodE3ELS4_3ELS4_3ELNS0_20block_scan_algorithmE0ELj4294967295EEENS1_25partition_config_selectorILNS1_17partition_subalgoE3EjNS0_10empty_typeEbEEZZNS1_14partition_implILS8_3ELb0ES6_jNS0_17counting_iteratorIjlEEPS9_SE_NS0_5tupleIJPjSE_EEENSF_IJSE_SE_EEES9_SG_JZNS1_25segmented_radix_sort_implINS0_14default_configELb0EPKfPfPKlPlN2at6native12_GLOBAL__N_18offset_tEEE10hipError_tPvRmT1_PNSt15iterator_traitsISY_E10value_typeET2_T3_PNSZ_IS14_E10value_typeET4_jRbjT5_S1A_jjP12ihipStream_tbEUljE_EEESV_SW_SX_S14_S18_S1A_T6_T7_T9_mT8_S1C_bDpT10_ENKUlT_T0_E_clISt17integral_constantIbLb1EES1P_EEDaS1K_S1L_EUlS1K_E_NS1_11comp_targetILNS1_3genE8ELNS1_11target_archE1030ELNS1_3gpuE2ELNS1_3repE0EEENS1_30default_config_static_selectorELNS0_4arch9wavefront6targetE0EEEvSY_.has_indirect_call, 0
	.section	.AMDGPU.csdata,"",@progbits
; Kernel info:
; codeLenInByte = 4
; TotalNumSgprs: 0
; NumVgprs: 0
; ScratchSize: 0
; MemoryBound: 0
; FloatMode: 240
; IeeeMode: 1
; LDSByteSize: 0 bytes/workgroup (compile time only)
; SGPRBlocks: 0
; VGPRBlocks: 0
; NumSGPRsForWavesPerEU: 1
; NumVGPRsForWavesPerEU: 1
; Occupancy: 16
; WaveLimiterHint : 0
; COMPUTE_PGM_RSRC2:SCRATCH_EN: 0
; COMPUTE_PGM_RSRC2:USER_SGPR: 6
; COMPUTE_PGM_RSRC2:TRAP_HANDLER: 0
; COMPUTE_PGM_RSRC2:TGID_X_EN: 1
; COMPUTE_PGM_RSRC2:TGID_Y_EN: 0
; COMPUTE_PGM_RSRC2:TGID_Z_EN: 0
; COMPUTE_PGM_RSRC2:TIDIG_COMP_CNT: 0
	.section	.text._ZN7rocprim17ROCPRIM_400000_NS6detail17trampoline_kernelINS0_13select_configILj256ELj13ELNS0_17block_load_methodE3ELS4_3ELS4_3ELNS0_20block_scan_algorithmE0ELj4294967295EEENS1_25partition_config_selectorILNS1_17partition_subalgoE3EjNS0_10empty_typeEbEEZZNS1_14partition_implILS8_3ELb0ES6_jNS0_17counting_iteratorIjlEEPS9_SE_NS0_5tupleIJPjSE_EEENSF_IJSE_SE_EEES9_SG_JZNS1_25segmented_radix_sort_implINS0_14default_configELb0EPKfPfPKlPlN2at6native12_GLOBAL__N_18offset_tEEE10hipError_tPvRmT1_PNSt15iterator_traitsISY_E10value_typeET2_T3_PNSZ_IS14_E10value_typeET4_jRbjT5_S1A_jjP12ihipStream_tbEUljE_EEESV_SW_SX_S14_S18_S1A_T6_T7_T9_mT8_S1C_bDpT10_ENKUlT_T0_E_clISt17integral_constantIbLb1EES1O_IbLb0EEEEDaS1K_S1L_EUlS1K_E_NS1_11comp_targetILNS1_3genE0ELNS1_11target_archE4294967295ELNS1_3gpuE0ELNS1_3repE0EEENS1_30default_config_static_selectorELNS0_4arch9wavefront6targetE0EEEvSY_,"axG",@progbits,_ZN7rocprim17ROCPRIM_400000_NS6detail17trampoline_kernelINS0_13select_configILj256ELj13ELNS0_17block_load_methodE3ELS4_3ELS4_3ELNS0_20block_scan_algorithmE0ELj4294967295EEENS1_25partition_config_selectorILNS1_17partition_subalgoE3EjNS0_10empty_typeEbEEZZNS1_14partition_implILS8_3ELb0ES6_jNS0_17counting_iteratorIjlEEPS9_SE_NS0_5tupleIJPjSE_EEENSF_IJSE_SE_EEES9_SG_JZNS1_25segmented_radix_sort_implINS0_14default_configELb0EPKfPfPKlPlN2at6native12_GLOBAL__N_18offset_tEEE10hipError_tPvRmT1_PNSt15iterator_traitsISY_E10value_typeET2_T3_PNSZ_IS14_E10value_typeET4_jRbjT5_S1A_jjP12ihipStream_tbEUljE_EEESV_SW_SX_S14_S18_S1A_T6_T7_T9_mT8_S1C_bDpT10_ENKUlT_T0_E_clISt17integral_constantIbLb1EES1O_IbLb0EEEEDaS1K_S1L_EUlS1K_E_NS1_11comp_targetILNS1_3genE0ELNS1_11target_archE4294967295ELNS1_3gpuE0ELNS1_3repE0EEENS1_30default_config_static_selectorELNS0_4arch9wavefront6targetE0EEEvSY_,comdat
	.globl	_ZN7rocprim17ROCPRIM_400000_NS6detail17trampoline_kernelINS0_13select_configILj256ELj13ELNS0_17block_load_methodE3ELS4_3ELS4_3ELNS0_20block_scan_algorithmE0ELj4294967295EEENS1_25partition_config_selectorILNS1_17partition_subalgoE3EjNS0_10empty_typeEbEEZZNS1_14partition_implILS8_3ELb0ES6_jNS0_17counting_iteratorIjlEEPS9_SE_NS0_5tupleIJPjSE_EEENSF_IJSE_SE_EEES9_SG_JZNS1_25segmented_radix_sort_implINS0_14default_configELb0EPKfPfPKlPlN2at6native12_GLOBAL__N_18offset_tEEE10hipError_tPvRmT1_PNSt15iterator_traitsISY_E10value_typeET2_T3_PNSZ_IS14_E10value_typeET4_jRbjT5_S1A_jjP12ihipStream_tbEUljE_EEESV_SW_SX_S14_S18_S1A_T6_T7_T9_mT8_S1C_bDpT10_ENKUlT_T0_E_clISt17integral_constantIbLb1EES1O_IbLb0EEEEDaS1K_S1L_EUlS1K_E_NS1_11comp_targetILNS1_3genE0ELNS1_11target_archE4294967295ELNS1_3gpuE0ELNS1_3repE0EEENS1_30default_config_static_selectorELNS0_4arch9wavefront6targetE0EEEvSY_ ; -- Begin function _ZN7rocprim17ROCPRIM_400000_NS6detail17trampoline_kernelINS0_13select_configILj256ELj13ELNS0_17block_load_methodE3ELS4_3ELS4_3ELNS0_20block_scan_algorithmE0ELj4294967295EEENS1_25partition_config_selectorILNS1_17partition_subalgoE3EjNS0_10empty_typeEbEEZZNS1_14partition_implILS8_3ELb0ES6_jNS0_17counting_iteratorIjlEEPS9_SE_NS0_5tupleIJPjSE_EEENSF_IJSE_SE_EEES9_SG_JZNS1_25segmented_radix_sort_implINS0_14default_configELb0EPKfPfPKlPlN2at6native12_GLOBAL__N_18offset_tEEE10hipError_tPvRmT1_PNSt15iterator_traitsISY_E10value_typeET2_T3_PNSZ_IS14_E10value_typeET4_jRbjT5_S1A_jjP12ihipStream_tbEUljE_EEESV_SW_SX_S14_S18_S1A_T6_T7_T9_mT8_S1C_bDpT10_ENKUlT_T0_E_clISt17integral_constantIbLb1EES1O_IbLb0EEEEDaS1K_S1L_EUlS1K_E_NS1_11comp_targetILNS1_3genE0ELNS1_11target_archE4294967295ELNS1_3gpuE0ELNS1_3repE0EEENS1_30default_config_static_selectorELNS0_4arch9wavefront6targetE0EEEvSY_
	.p2align	8
	.type	_ZN7rocprim17ROCPRIM_400000_NS6detail17trampoline_kernelINS0_13select_configILj256ELj13ELNS0_17block_load_methodE3ELS4_3ELS4_3ELNS0_20block_scan_algorithmE0ELj4294967295EEENS1_25partition_config_selectorILNS1_17partition_subalgoE3EjNS0_10empty_typeEbEEZZNS1_14partition_implILS8_3ELb0ES6_jNS0_17counting_iteratorIjlEEPS9_SE_NS0_5tupleIJPjSE_EEENSF_IJSE_SE_EEES9_SG_JZNS1_25segmented_radix_sort_implINS0_14default_configELb0EPKfPfPKlPlN2at6native12_GLOBAL__N_18offset_tEEE10hipError_tPvRmT1_PNSt15iterator_traitsISY_E10value_typeET2_T3_PNSZ_IS14_E10value_typeET4_jRbjT5_S1A_jjP12ihipStream_tbEUljE_EEESV_SW_SX_S14_S18_S1A_T6_T7_T9_mT8_S1C_bDpT10_ENKUlT_T0_E_clISt17integral_constantIbLb1EES1O_IbLb0EEEEDaS1K_S1L_EUlS1K_E_NS1_11comp_targetILNS1_3genE0ELNS1_11target_archE4294967295ELNS1_3gpuE0ELNS1_3repE0EEENS1_30default_config_static_selectorELNS0_4arch9wavefront6targetE0EEEvSY_,@function
_ZN7rocprim17ROCPRIM_400000_NS6detail17trampoline_kernelINS0_13select_configILj256ELj13ELNS0_17block_load_methodE3ELS4_3ELS4_3ELNS0_20block_scan_algorithmE0ELj4294967295EEENS1_25partition_config_selectorILNS1_17partition_subalgoE3EjNS0_10empty_typeEbEEZZNS1_14partition_implILS8_3ELb0ES6_jNS0_17counting_iteratorIjlEEPS9_SE_NS0_5tupleIJPjSE_EEENSF_IJSE_SE_EEES9_SG_JZNS1_25segmented_radix_sort_implINS0_14default_configELb0EPKfPfPKlPlN2at6native12_GLOBAL__N_18offset_tEEE10hipError_tPvRmT1_PNSt15iterator_traitsISY_E10value_typeET2_T3_PNSZ_IS14_E10value_typeET4_jRbjT5_S1A_jjP12ihipStream_tbEUljE_EEESV_SW_SX_S14_S18_S1A_T6_T7_T9_mT8_S1C_bDpT10_ENKUlT_T0_E_clISt17integral_constantIbLb1EES1O_IbLb0EEEEDaS1K_S1L_EUlS1K_E_NS1_11comp_targetILNS1_3genE0ELNS1_11target_archE4294967295ELNS1_3gpuE0ELNS1_3repE0EEENS1_30default_config_static_selectorELNS0_4arch9wavefront6targetE0EEEvSY_: ; @_ZN7rocprim17ROCPRIM_400000_NS6detail17trampoline_kernelINS0_13select_configILj256ELj13ELNS0_17block_load_methodE3ELS4_3ELS4_3ELNS0_20block_scan_algorithmE0ELj4294967295EEENS1_25partition_config_selectorILNS1_17partition_subalgoE3EjNS0_10empty_typeEbEEZZNS1_14partition_implILS8_3ELb0ES6_jNS0_17counting_iteratorIjlEEPS9_SE_NS0_5tupleIJPjSE_EEENSF_IJSE_SE_EEES9_SG_JZNS1_25segmented_radix_sort_implINS0_14default_configELb0EPKfPfPKlPlN2at6native12_GLOBAL__N_18offset_tEEE10hipError_tPvRmT1_PNSt15iterator_traitsISY_E10value_typeET2_T3_PNSZ_IS14_E10value_typeET4_jRbjT5_S1A_jjP12ihipStream_tbEUljE_EEESV_SW_SX_S14_S18_S1A_T6_T7_T9_mT8_S1C_bDpT10_ENKUlT_T0_E_clISt17integral_constantIbLb1EES1O_IbLb0EEEEDaS1K_S1L_EUlS1K_E_NS1_11comp_targetILNS1_3genE0ELNS1_11target_archE4294967295ELNS1_3gpuE0ELNS1_3repE0EEENS1_30default_config_static_selectorELNS0_4arch9wavefront6targetE0EEEvSY_
; %bb.0:
	.section	.rodata,"a",@progbits
	.p2align	6, 0x0
	.amdhsa_kernel _ZN7rocprim17ROCPRIM_400000_NS6detail17trampoline_kernelINS0_13select_configILj256ELj13ELNS0_17block_load_methodE3ELS4_3ELS4_3ELNS0_20block_scan_algorithmE0ELj4294967295EEENS1_25partition_config_selectorILNS1_17partition_subalgoE3EjNS0_10empty_typeEbEEZZNS1_14partition_implILS8_3ELb0ES6_jNS0_17counting_iteratorIjlEEPS9_SE_NS0_5tupleIJPjSE_EEENSF_IJSE_SE_EEES9_SG_JZNS1_25segmented_radix_sort_implINS0_14default_configELb0EPKfPfPKlPlN2at6native12_GLOBAL__N_18offset_tEEE10hipError_tPvRmT1_PNSt15iterator_traitsISY_E10value_typeET2_T3_PNSZ_IS14_E10value_typeET4_jRbjT5_S1A_jjP12ihipStream_tbEUljE_EEESV_SW_SX_S14_S18_S1A_T6_T7_T9_mT8_S1C_bDpT10_ENKUlT_T0_E_clISt17integral_constantIbLb1EES1O_IbLb0EEEEDaS1K_S1L_EUlS1K_E_NS1_11comp_targetILNS1_3genE0ELNS1_11target_archE4294967295ELNS1_3gpuE0ELNS1_3repE0EEENS1_30default_config_static_selectorELNS0_4arch9wavefront6targetE0EEEvSY_
		.amdhsa_group_segment_fixed_size 0
		.amdhsa_private_segment_fixed_size 0
		.amdhsa_kernarg_size 144
		.amdhsa_user_sgpr_count 6
		.amdhsa_user_sgpr_private_segment_buffer 1
		.amdhsa_user_sgpr_dispatch_ptr 0
		.amdhsa_user_sgpr_queue_ptr 0
		.amdhsa_user_sgpr_kernarg_segment_ptr 1
		.amdhsa_user_sgpr_dispatch_id 0
		.amdhsa_user_sgpr_flat_scratch_init 0
		.amdhsa_user_sgpr_private_segment_size 0
		.amdhsa_wavefront_size32 1
		.amdhsa_uses_dynamic_stack 0
		.amdhsa_system_sgpr_private_segment_wavefront_offset 0
		.amdhsa_system_sgpr_workgroup_id_x 1
		.amdhsa_system_sgpr_workgroup_id_y 0
		.amdhsa_system_sgpr_workgroup_id_z 0
		.amdhsa_system_sgpr_workgroup_info 0
		.amdhsa_system_vgpr_workitem_id 0
		.amdhsa_next_free_vgpr 1
		.amdhsa_next_free_sgpr 1
		.amdhsa_reserve_vcc 0
		.amdhsa_reserve_flat_scratch 0
		.amdhsa_float_round_mode_32 0
		.amdhsa_float_round_mode_16_64 0
		.amdhsa_float_denorm_mode_32 3
		.amdhsa_float_denorm_mode_16_64 3
		.amdhsa_dx10_clamp 1
		.amdhsa_ieee_mode 1
		.amdhsa_fp16_overflow 0
		.amdhsa_workgroup_processor_mode 1
		.amdhsa_memory_ordered 1
		.amdhsa_forward_progress 1
		.amdhsa_shared_vgpr_count 0
		.amdhsa_exception_fp_ieee_invalid_op 0
		.amdhsa_exception_fp_denorm_src 0
		.amdhsa_exception_fp_ieee_div_zero 0
		.amdhsa_exception_fp_ieee_overflow 0
		.amdhsa_exception_fp_ieee_underflow 0
		.amdhsa_exception_fp_ieee_inexact 0
		.amdhsa_exception_int_div_zero 0
	.end_amdhsa_kernel
	.section	.text._ZN7rocprim17ROCPRIM_400000_NS6detail17trampoline_kernelINS0_13select_configILj256ELj13ELNS0_17block_load_methodE3ELS4_3ELS4_3ELNS0_20block_scan_algorithmE0ELj4294967295EEENS1_25partition_config_selectorILNS1_17partition_subalgoE3EjNS0_10empty_typeEbEEZZNS1_14partition_implILS8_3ELb0ES6_jNS0_17counting_iteratorIjlEEPS9_SE_NS0_5tupleIJPjSE_EEENSF_IJSE_SE_EEES9_SG_JZNS1_25segmented_radix_sort_implINS0_14default_configELb0EPKfPfPKlPlN2at6native12_GLOBAL__N_18offset_tEEE10hipError_tPvRmT1_PNSt15iterator_traitsISY_E10value_typeET2_T3_PNSZ_IS14_E10value_typeET4_jRbjT5_S1A_jjP12ihipStream_tbEUljE_EEESV_SW_SX_S14_S18_S1A_T6_T7_T9_mT8_S1C_bDpT10_ENKUlT_T0_E_clISt17integral_constantIbLb1EES1O_IbLb0EEEEDaS1K_S1L_EUlS1K_E_NS1_11comp_targetILNS1_3genE0ELNS1_11target_archE4294967295ELNS1_3gpuE0ELNS1_3repE0EEENS1_30default_config_static_selectorELNS0_4arch9wavefront6targetE0EEEvSY_,"axG",@progbits,_ZN7rocprim17ROCPRIM_400000_NS6detail17trampoline_kernelINS0_13select_configILj256ELj13ELNS0_17block_load_methodE3ELS4_3ELS4_3ELNS0_20block_scan_algorithmE0ELj4294967295EEENS1_25partition_config_selectorILNS1_17partition_subalgoE3EjNS0_10empty_typeEbEEZZNS1_14partition_implILS8_3ELb0ES6_jNS0_17counting_iteratorIjlEEPS9_SE_NS0_5tupleIJPjSE_EEENSF_IJSE_SE_EEES9_SG_JZNS1_25segmented_radix_sort_implINS0_14default_configELb0EPKfPfPKlPlN2at6native12_GLOBAL__N_18offset_tEEE10hipError_tPvRmT1_PNSt15iterator_traitsISY_E10value_typeET2_T3_PNSZ_IS14_E10value_typeET4_jRbjT5_S1A_jjP12ihipStream_tbEUljE_EEESV_SW_SX_S14_S18_S1A_T6_T7_T9_mT8_S1C_bDpT10_ENKUlT_T0_E_clISt17integral_constantIbLb1EES1O_IbLb0EEEEDaS1K_S1L_EUlS1K_E_NS1_11comp_targetILNS1_3genE0ELNS1_11target_archE4294967295ELNS1_3gpuE0ELNS1_3repE0EEENS1_30default_config_static_selectorELNS0_4arch9wavefront6targetE0EEEvSY_,comdat
.Lfunc_end1404:
	.size	_ZN7rocprim17ROCPRIM_400000_NS6detail17trampoline_kernelINS0_13select_configILj256ELj13ELNS0_17block_load_methodE3ELS4_3ELS4_3ELNS0_20block_scan_algorithmE0ELj4294967295EEENS1_25partition_config_selectorILNS1_17partition_subalgoE3EjNS0_10empty_typeEbEEZZNS1_14partition_implILS8_3ELb0ES6_jNS0_17counting_iteratorIjlEEPS9_SE_NS0_5tupleIJPjSE_EEENSF_IJSE_SE_EEES9_SG_JZNS1_25segmented_radix_sort_implINS0_14default_configELb0EPKfPfPKlPlN2at6native12_GLOBAL__N_18offset_tEEE10hipError_tPvRmT1_PNSt15iterator_traitsISY_E10value_typeET2_T3_PNSZ_IS14_E10value_typeET4_jRbjT5_S1A_jjP12ihipStream_tbEUljE_EEESV_SW_SX_S14_S18_S1A_T6_T7_T9_mT8_S1C_bDpT10_ENKUlT_T0_E_clISt17integral_constantIbLb1EES1O_IbLb0EEEEDaS1K_S1L_EUlS1K_E_NS1_11comp_targetILNS1_3genE0ELNS1_11target_archE4294967295ELNS1_3gpuE0ELNS1_3repE0EEENS1_30default_config_static_selectorELNS0_4arch9wavefront6targetE0EEEvSY_, .Lfunc_end1404-_ZN7rocprim17ROCPRIM_400000_NS6detail17trampoline_kernelINS0_13select_configILj256ELj13ELNS0_17block_load_methodE3ELS4_3ELS4_3ELNS0_20block_scan_algorithmE0ELj4294967295EEENS1_25partition_config_selectorILNS1_17partition_subalgoE3EjNS0_10empty_typeEbEEZZNS1_14partition_implILS8_3ELb0ES6_jNS0_17counting_iteratorIjlEEPS9_SE_NS0_5tupleIJPjSE_EEENSF_IJSE_SE_EEES9_SG_JZNS1_25segmented_radix_sort_implINS0_14default_configELb0EPKfPfPKlPlN2at6native12_GLOBAL__N_18offset_tEEE10hipError_tPvRmT1_PNSt15iterator_traitsISY_E10value_typeET2_T3_PNSZ_IS14_E10value_typeET4_jRbjT5_S1A_jjP12ihipStream_tbEUljE_EEESV_SW_SX_S14_S18_S1A_T6_T7_T9_mT8_S1C_bDpT10_ENKUlT_T0_E_clISt17integral_constantIbLb1EES1O_IbLb0EEEEDaS1K_S1L_EUlS1K_E_NS1_11comp_targetILNS1_3genE0ELNS1_11target_archE4294967295ELNS1_3gpuE0ELNS1_3repE0EEENS1_30default_config_static_selectorELNS0_4arch9wavefront6targetE0EEEvSY_
                                        ; -- End function
	.set _ZN7rocprim17ROCPRIM_400000_NS6detail17trampoline_kernelINS0_13select_configILj256ELj13ELNS0_17block_load_methodE3ELS4_3ELS4_3ELNS0_20block_scan_algorithmE0ELj4294967295EEENS1_25partition_config_selectorILNS1_17partition_subalgoE3EjNS0_10empty_typeEbEEZZNS1_14partition_implILS8_3ELb0ES6_jNS0_17counting_iteratorIjlEEPS9_SE_NS0_5tupleIJPjSE_EEENSF_IJSE_SE_EEES9_SG_JZNS1_25segmented_radix_sort_implINS0_14default_configELb0EPKfPfPKlPlN2at6native12_GLOBAL__N_18offset_tEEE10hipError_tPvRmT1_PNSt15iterator_traitsISY_E10value_typeET2_T3_PNSZ_IS14_E10value_typeET4_jRbjT5_S1A_jjP12ihipStream_tbEUljE_EEESV_SW_SX_S14_S18_S1A_T6_T7_T9_mT8_S1C_bDpT10_ENKUlT_T0_E_clISt17integral_constantIbLb1EES1O_IbLb0EEEEDaS1K_S1L_EUlS1K_E_NS1_11comp_targetILNS1_3genE0ELNS1_11target_archE4294967295ELNS1_3gpuE0ELNS1_3repE0EEENS1_30default_config_static_selectorELNS0_4arch9wavefront6targetE0EEEvSY_.num_vgpr, 0
	.set _ZN7rocprim17ROCPRIM_400000_NS6detail17trampoline_kernelINS0_13select_configILj256ELj13ELNS0_17block_load_methodE3ELS4_3ELS4_3ELNS0_20block_scan_algorithmE0ELj4294967295EEENS1_25partition_config_selectorILNS1_17partition_subalgoE3EjNS0_10empty_typeEbEEZZNS1_14partition_implILS8_3ELb0ES6_jNS0_17counting_iteratorIjlEEPS9_SE_NS0_5tupleIJPjSE_EEENSF_IJSE_SE_EEES9_SG_JZNS1_25segmented_radix_sort_implINS0_14default_configELb0EPKfPfPKlPlN2at6native12_GLOBAL__N_18offset_tEEE10hipError_tPvRmT1_PNSt15iterator_traitsISY_E10value_typeET2_T3_PNSZ_IS14_E10value_typeET4_jRbjT5_S1A_jjP12ihipStream_tbEUljE_EEESV_SW_SX_S14_S18_S1A_T6_T7_T9_mT8_S1C_bDpT10_ENKUlT_T0_E_clISt17integral_constantIbLb1EES1O_IbLb0EEEEDaS1K_S1L_EUlS1K_E_NS1_11comp_targetILNS1_3genE0ELNS1_11target_archE4294967295ELNS1_3gpuE0ELNS1_3repE0EEENS1_30default_config_static_selectorELNS0_4arch9wavefront6targetE0EEEvSY_.num_agpr, 0
	.set _ZN7rocprim17ROCPRIM_400000_NS6detail17trampoline_kernelINS0_13select_configILj256ELj13ELNS0_17block_load_methodE3ELS4_3ELS4_3ELNS0_20block_scan_algorithmE0ELj4294967295EEENS1_25partition_config_selectorILNS1_17partition_subalgoE3EjNS0_10empty_typeEbEEZZNS1_14partition_implILS8_3ELb0ES6_jNS0_17counting_iteratorIjlEEPS9_SE_NS0_5tupleIJPjSE_EEENSF_IJSE_SE_EEES9_SG_JZNS1_25segmented_radix_sort_implINS0_14default_configELb0EPKfPfPKlPlN2at6native12_GLOBAL__N_18offset_tEEE10hipError_tPvRmT1_PNSt15iterator_traitsISY_E10value_typeET2_T3_PNSZ_IS14_E10value_typeET4_jRbjT5_S1A_jjP12ihipStream_tbEUljE_EEESV_SW_SX_S14_S18_S1A_T6_T7_T9_mT8_S1C_bDpT10_ENKUlT_T0_E_clISt17integral_constantIbLb1EES1O_IbLb0EEEEDaS1K_S1L_EUlS1K_E_NS1_11comp_targetILNS1_3genE0ELNS1_11target_archE4294967295ELNS1_3gpuE0ELNS1_3repE0EEENS1_30default_config_static_selectorELNS0_4arch9wavefront6targetE0EEEvSY_.numbered_sgpr, 0
	.set _ZN7rocprim17ROCPRIM_400000_NS6detail17trampoline_kernelINS0_13select_configILj256ELj13ELNS0_17block_load_methodE3ELS4_3ELS4_3ELNS0_20block_scan_algorithmE0ELj4294967295EEENS1_25partition_config_selectorILNS1_17partition_subalgoE3EjNS0_10empty_typeEbEEZZNS1_14partition_implILS8_3ELb0ES6_jNS0_17counting_iteratorIjlEEPS9_SE_NS0_5tupleIJPjSE_EEENSF_IJSE_SE_EEES9_SG_JZNS1_25segmented_radix_sort_implINS0_14default_configELb0EPKfPfPKlPlN2at6native12_GLOBAL__N_18offset_tEEE10hipError_tPvRmT1_PNSt15iterator_traitsISY_E10value_typeET2_T3_PNSZ_IS14_E10value_typeET4_jRbjT5_S1A_jjP12ihipStream_tbEUljE_EEESV_SW_SX_S14_S18_S1A_T6_T7_T9_mT8_S1C_bDpT10_ENKUlT_T0_E_clISt17integral_constantIbLb1EES1O_IbLb0EEEEDaS1K_S1L_EUlS1K_E_NS1_11comp_targetILNS1_3genE0ELNS1_11target_archE4294967295ELNS1_3gpuE0ELNS1_3repE0EEENS1_30default_config_static_selectorELNS0_4arch9wavefront6targetE0EEEvSY_.num_named_barrier, 0
	.set _ZN7rocprim17ROCPRIM_400000_NS6detail17trampoline_kernelINS0_13select_configILj256ELj13ELNS0_17block_load_methodE3ELS4_3ELS4_3ELNS0_20block_scan_algorithmE0ELj4294967295EEENS1_25partition_config_selectorILNS1_17partition_subalgoE3EjNS0_10empty_typeEbEEZZNS1_14partition_implILS8_3ELb0ES6_jNS0_17counting_iteratorIjlEEPS9_SE_NS0_5tupleIJPjSE_EEENSF_IJSE_SE_EEES9_SG_JZNS1_25segmented_radix_sort_implINS0_14default_configELb0EPKfPfPKlPlN2at6native12_GLOBAL__N_18offset_tEEE10hipError_tPvRmT1_PNSt15iterator_traitsISY_E10value_typeET2_T3_PNSZ_IS14_E10value_typeET4_jRbjT5_S1A_jjP12ihipStream_tbEUljE_EEESV_SW_SX_S14_S18_S1A_T6_T7_T9_mT8_S1C_bDpT10_ENKUlT_T0_E_clISt17integral_constantIbLb1EES1O_IbLb0EEEEDaS1K_S1L_EUlS1K_E_NS1_11comp_targetILNS1_3genE0ELNS1_11target_archE4294967295ELNS1_3gpuE0ELNS1_3repE0EEENS1_30default_config_static_selectorELNS0_4arch9wavefront6targetE0EEEvSY_.private_seg_size, 0
	.set _ZN7rocprim17ROCPRIM_400000_NS6detail17trampoline_kernelINS0_13select_configILj256ELj13ELNS0_17block_load_methodE3ELS4_3ELS4_3ELNS0_20block_scan_algorithmE0ELj4294967295EEENS1_25partition_config_selectorILNS1_17partition_subalgoE3EjNS0_10empty_typeEbEEZZNS1_14partition_implILS8_3ELb0ES6_jNS0_17counting_iteratorIjlEEPS9_SE_NS0_5tupleIJPjSE_EEENSF_IJSE_SE_EEES9_SG_JZNS1_25segmented_radix_sort_implINS0_14default_configELb0EPKfPfPKlPlN2at6native12_GLOBAL__N_18offset_tEEE10hipError_tPvRmT1_PNSt15iterator_traitsISY_E10value_typeET2_T3_PNSZ_IS14_E10value_typeET4_jRbjT5_S1A_jjP12ihipStream_tbEUljE_EEESV_SW_SX_S14_S18_S1A_T6_T7_T9_mT8_S1C_bDpT10_ENKUlT_T0_E_clISt17integral_constantIbLb1EES1O_IbLb0EEEEDaS1K_S1L_EUlS1K_E_NS1_11comp_targetILNS1_3genE0ELNS1_11target_archE4294967295ELNS1_3gpuE0ELNS1_3repE0EEENS1_30default_config_static_selectorELNS0_4arch9wavefront6targetE0EEEvSY_.uses_vcc, 0
	.set _ZN7rocprim17ROCPRIM_400000_NS6detail17trampoline_kernelINS0_13select_configILj256ELj13ELNS0_17block_load_methodE3ELS4_3ELS4_3ELNS0_20block_scan_algorithmE0ELj4294967295EEENS1_25partition_config_selectorILNS1_17partition_subalgoE3EjNS0_10empty_typeEbEEZZNS1_14partition_implILS8_3ELb0ES6_jNS0_17counting_iteratorIjlEEPS9_SE_NS0_5tupleIJPjSE_EEENSF_IJSE_SE_EEES9_SG_JZNS1_25segmented_radix_sort_implINS0_14default_configELb0EPKfPfPKlPlN2at6native12_GLOBAL__N_18offset_tEEE10hipError_tPvRmT1_PNSt15iterator_traitsISY_E10value_typeET2_T3_PNSZ_IS14_E10value_typeET4_jRbjT5_S1A_jjP12ihipStream_tbEUljE_EEESV_SW_SX_S14_S18_S1A_T6_T7_T9_mT8_S1C_bDpT10_ENKUlT_T0_E_clISt17integral_constantIbLb1EES1O_IbLb0EEEEDaS1K_S1L_EUlS1K_E_NS1_11comp_targetILNS1_3genE0ELNS1_11target_archE4294967295ELNS1_3gpuE0ELNS1_3repE0EEENS1_30default_config_static_selectorELNS0_4arch9wavefront6targetE0EEEvSY_.uses_flat_scratch, 0
	.set _ZN7rocprim17ROCPRIM_400000_NS6detail17trampoline_kernelINS0_13select_configILj256ELj13ELNS0_17block_load_methodE3ELS4_3ELS4_3ELNS0_20block_scan_algorithmE0ELj4294967295EEENS1_25partition_config_selectorILNS1_17partition_subalgoE3EjNS0_10empty_typeEbEEZZNS1_14partition_implILS8_3ELb0ES6_jNS0_17counting_iteratorIjlEEPS9_SE_NS0_5tupleIJPjSE_EEENSF_IJSE_SE_EEES9_SG_JZNS1_25segmented_radix_sort_implINS0_14default_configELb0EPKfPfPKlPlN2at6native12_GLOBAL__N_18offset_tEEE10hipError_tPvRmT1_PNSt15iterator_traitsISY_E10value_typeET2_T3_PNSZ_IS14_E10value_typeET4_jRbjT5_S1A_jjP12ihipStream_tbEUljE_EEESV_SW_SX_S14_S18_S1A_T6_T7_T9_mT8_S1C_bDpT10_ENKUlT_T0_E_clISt17integral_constantIbLb1EES1O_IbLb0EEEEDaS1K_S1L_EUlS1K_E_NS1_11comp_targetILNS1_3genE0ELNS1_11target_archE4294967295ELNS1_3gpuE0ELNS1_3repE0EEENS1_30default_config_static_selectorELNS0_4arch9wavefront6targetE0EEEvSY_.has_dyn_sized_stack, 0
	.set _ZN7rocprim17ROCPRIM_400000_NS6detail17trampoline_kernelINS0_13select_configILj256ELj13ELNS0_17block_load_methodE3ELS4_3ELS4_3ELNS0_20block_scan_algorithmE0ELj4294967295EEENS1_25partition_config_selectorILNS1_17partition_subalgoE3EjNS0_10empty_typeEbEEZZNS1_14partition_implILS8_3ELb0ES6_jNS0_17counting_iteratorIjlEEPS9_SE_NS0_5tupleIJPjSE_EEENSF_IJSE_SE_EEES9_SG_JZNS1_25segmented_radix_sort_implINS0_14default_configELb0EPKfPfPKlPlN2at6native12_GLOBAL__N_18offset_tEEE10hipError_tPvRmT1_PNSt15iterator_traitsISY_E10value_typeET2_T3_PNSZ_IS14_E10value_typeET4_jRbjT5_S1A_jjP12ihipStream_tbEUljE_EEESV_SW_SX_S14_S18_S1A_T6_T7_T9_mT8_S1C_bDpT10_ENKUlT_T0_E_clISt17integral_constantIbLb1EES1O_IbLb0EEEEDaS1K_S1L_EUlS1K_E_NS1_11comp_targetILNS1_3genE0ELNS1_11target_archE4294967295ELNS1_3gpuE0ELNS1_3repE0EEENS1_30default_config_static_selectorELNS0_4arch9wavefront6targetE0EEEvSY_.has_recursion, 0
	.set _ZN7rocprim17ROCPRIM_400000_NS6detail17trampoline_kernelINS0_13select_configILj256ELj13ELNS0_17block_load_methodE3ELS4_3ELS4_3ELNS0_20block_scan_algorithmE0ELj4294967295EEENS1_25partition_config_selectorILNS1_17partition_subalgoE3EjNS0_10empty_typeEbEEZZNS1_14partition_implILS8_3ELb0ES6_jNS0_17counting_iteratorIjlEEPS9_SE_NS0_5tupleIJPjSE_EEENSF_IJSE_SE_EEES9_SG_JZNS1_25segmented_radix_sort_implINS0_14default_configELb0EPKfPfPKlPlN2at6native12_GLOBAL__N_18offset_tEEE10hipError_tPvRmT1_PNSt15iterator_traitsISY_E10value_typeET2_T3_PNSZ_IS14_E10value_typeET4_jRbjT5_S1A_jjP12ihipStream_tbEUljE_EEESV_SW_SX_S14_S18_S1A_T6_T7_T9_mT8_S1C_bDpT10_ENKUlT_T0_E_clISt17integral_constantIbLb1EES1O_IbLb0EEEEDaS1K_S1L_EUlS1K_E_NS1_11comp_targetILNS1_3genE0ELNS1_11target_archE4294967295ELNS1_3gpuE0ELNS1_3repE0EEENS1_30default_config_static_selectorELNS0_4arch9wavefront6targetE0EEEvSY_.has_indirect_call, 0
	.section	.AMDGPU.csdata,"",@progbits
; Kernel info:
; codeLenInByte = 0
; TotalNumSgprs: 0
; NumVgprs: 0
; ScratchSize: 0
; MemoryBound: 0
; FloatMode: 240
; IeeeMode: 1
; LDSByteSize: 0 bytes/workgroup (compile time only)
; SGPRBlocks: 0
; VGPRBlocks: 0
; NumSGPRsForWavesPerEU: 1
; NumVGPRsForWavesPerEU: 1
; Occupancy: 16
; WaveLimiterHint : 0
; COMPUTE_PGM_RSRC2:SCRATCH_EN: 0
; COMPUTE_PGM_RSRC2:USER_SGPR: 6
; COMPUTE_PGM_RSRC2:TRAP_HANDLER: 0
; COMPUTE_PGM_RSRC2:TGID_X_EN: 1
; COMPUTE_PGM_RSRC2:TGID_Y_EN: 0
; COMPUTE_PGM_RSRC2:TGID_Z_EN: 0
; COMPUTE_PGM_RSRC2:TIDIG_COMP_CNT: 0
	.section	.text._ZN7rocprim17ROCPRIM_400000_NS6detail17trampoline_kernelINS0_13select_configILj256ELj13ELNS0_17block_load_methodE3ELS4_3ELS4_3ELNS0_20block_scan_algorithmE0ELj4294967295EEENS1_25partition_config_selectorILNS1_17partition_subalgoE3EjNS0_10empty_typeEbEEZZNS1_14partition_implILS8_3ELb0ES6_jNS0_17counting_iteratorIjlEEPS9_SE_NS0_5tupleIJPjSE_EEENSF_IJSE_SE_EEES9_SG_JZNS1_25segmented_radix_sort_implINS0_14default_configELb0EPKfPfPKlPlN2at6native12_GLOBAL__N_18offset_tEEE10hipError_tPvRmT1_PNSt15iterator_traitsISY_E10value_typeET2_T3_PNSZ_IS14_E10value_typeET4_jRbjT5_S1A_jjP12ihipStream_tbEUljE_EEESV_SW_SX_S14_S18_S1A_T6_T7_T9_mT8_S1C_bDpT10_ENKUlT_T0_E_clISt17integral_constantIbLb1EES1O_IbLb0EEEEDaS1K_S1L_EUlS1K_E_NS1_11comp_targetILNS1_3genE5ELNS1_11target_archE942ELNS1_3gpuE9ELNS1_3repE0EEENS1_30default_config_static_selectorELNS0_4arch9wavefront6targetE0EEEvSY_,"axG",@progbits,_ZN7rocprim17ROCPRIM_400000_NS6detail17trampoline_kernelINS0_13select_configILj256ELj13ELNS0_17block_load_methodE3ELS4_3ELS4_3ELNS0_20block_scan_algorithmE0ELj4294967295EEENS1_25partition_config_selectorILNS1_17partition_subalgoE3EjNS0_10empty_typeEbEEZZNS1_14partition_implILS8_3ELb0ES6_jNS0_17counting_iteratorIjlEEPS9_SE_NS0_5tupleIJPjSE_EEENSF_IJSE_SE_EEES9_SG_JZNS1_25segmented_radix_sort_implINS0_14default_configELb0EPKfPfPKlPlN2at6native12_GLOBAL__N_18offset_tEEE10hipError_tPvRmT1_PNSt15iterator_traitsISY_E10value_typeET2_T3_PNSZ_IS14_E10value_typeET4_jRbjT5_S1A_jjP12ihipStream_tbEUljE_EEESV_SW_SX_S14_S18_S1A_T6_T7_T9_mT8_S1C_bDpT10_ENKUlT_T0_E_clISt17integral_constantIbLb1EES1O_IbLb0EEEEDaS1K_S1L_EUlS1K_E_NS1_11comp_targetILNS1_3genE5ELNS1_11target_archE942ELNS1_3gpuE9ELNS1_3repE0EEENS1_30default_config_static_selectorELNS0_4arch9wavefront6targetE0EEEvSY_,comdat
	.globl	_ZN7rocprim17ROCPRIM_400000_NS6detail17trampoline_kernelINS0_13select_configILj256ELj13ELNS0_17block_load_methodE3ELS4_3ELS4_3ELNS0_20block_scan_algorithmE0ELj4294967295EEENS1_25partition_config_selectorILNS1_17partition_subalgoE3EjNS0_10empty_typeEbEEZZNS1_14partition_implILS8_3ELb0ES6_jNS0_17counting_iteratorIjlEEPS9_SE_NS0_5tupleIJPjSE_EEENSF_IJSE_SE_EEES9_SG_JZNS1_25segmented_radix_sort_implINS0_14default_configELb0EPKfPfPKlPlN2at6native12_GLOBAL__N_18offset_tEEE10hipError_tPvRmT1_PNSt15iterator_traitsISY_E10value_typeET2_T3_PNSZ_IS14_E10value_typeET4_jRbjT5_S1A_jjP12ihipStream_tbEUljE_EEESV_SW_SX_S14_S18_S1A_T6_T7_T9_mT8_S1C_bDpT10_ENKUlT_T0_E_clISt17integral_constantIbLb1EES1O_IbLb0EEEEDaS1K_S1L_EUlS1K_E_NS1_11comp_targetILNS1_3genE5ELNS1_11target_archE942ELNS1_3gpuE9ELNS1_3repE0EEENS1_30default_config_static_selectorELNS0_4arch9wavefront6targetE0EEEvSY_ ; -- Begin function _ZN7rocprim17ROCPRIM_400000_NS6detail17trampoline_kernelINS0_13select_configILj256ELj13ELNS0_17block_load_methodE3ELS4_3ELS4_3ELNS0_20block_scan_algorithmE0ELj4294967295EEENS1_25partition_config_selectorILNS1_17partition_subalgoE3EjNS0_10empty_typeEbEEZZNS1_14partition_implILS8_3ELb0ES6_jNS0_17counting_iteratorIjlEEPS9_SE_NS0_5tupleIJPjSE_EEENSF_IJSE_SE_EEES9_SG_JZNS1_25segmented_radix_sort_implINS0_14default_configELb0EPKfPfPKlPlN2at6native12_GLOBAL__N_18offset_tEEE10hipError_tPvRmT1_PNSt15iterator_traitsISY_E10value_typeET2_T3_PNSZ_IS14_E10value_typeET4_jRbjT5_S1A_jjP12ihipStream_tbEUljE_EEESV_SW_SX_S14_S18_S1A_T6_T7_T9_mT8_S1C_bDpT10_ENKUlT_T0_E_clISt17integral_constantIbLb1EES1O_IbLb0EEEEDaS1K_S1L_EUlS1K_E_NS1_11comp_targetILNS1_3genE5ELNS1_11target_archE942ELNS1_3gpuE9ELNS1_3repE0EEENS1_30default_config_static_selectorELNS0_4arch9wavefront6targetE0EEEvSY_
	.p2align	8
	.type	_ZN7rocprim17ROCPRIM_400000_NS6detail17trampoline_kernelINS0_13select_configILj256ELj13ELNS0_17block_load_methodE3ELS4_3ELS4_3ELNS0_20block_scan_algorithmE0ELj4294967295EEENS1_25partition_config_selectorILNS1_17partition_subalgoE3EjNS0_10empty_typeEbEEZZNS1_14partition_implILS8_3ELb0ES6_jNS0_17counting_iteratorIjlEEPS9_SE_NS0_5tupleIJPjSE_EEENSF_IJSE_SE_EEES9_SG_JZNS1_25segmented_radix_sort_implINS0_14default_configELb0EPKfPfPKlPlN2at6native12_GLOBAL__N_18offset_tEEE10hipError_tPvRmT1_PNSt15iterator_traitsISY_E10value_typeET2_T3_PNSZ_IS14_E10value_typeET4_jRbjT5_S1A_jjP12ihipStream_tbEUljE_EEESV_SW_SX_S14_S18_S1A_T6_T7_T9_mT8_S1C_bDpT10_ENKUlT_T0_E_clISt17integral_constantIbLb1EES1O_IbLb0EEEEDaS1K_S1L_EUlS1K_E_NS1_11comp_targetILNS1_3genE5ELNS1_11target_archE942ELNS1_3gpuE9ELNS1_3repE0EEENS1_30default_config_static_selectorELNS0_4arch9wavefront6targetE0EEEvSY_,@function
_ZN7rocprim17ROCPRIM_400000_NS6detail17trampoline_kernelINS0_13select_configILj256ELj13ELNS0_17block_load_methodE3ELS4_3ELS4_3ELNS0_20block_scan_algorithmE0ELj4294967295EEENS1_25partition_config_selectorILNS1_17partition_subalgoE3EjNS0_10empty_typeEbEEZZNS1_14partition_implILS8_3ELb0ES6_jNS0_17counting_iteratorIjlEEPS9_SE_NS0_5tupleIJPjSE_EEENSF_IJSE_SE_EEES9_SG_JZNS1_25segmented_radix_sort_implINS0_14default_configELb0EPKfPfPKlPlN2at6native12_GLOBAL__N_18offset_tEEE10hipError_tPvRmT1_PNSt15iterator_traitsISY_E10value_typeET2_T3_PNSZ_IS14_E10value_typeET4_jRbjT5_S1A_jjP12ihipStream_tbEUljE_EEESV_SW_SX_S14_S18_S1A_T6_T7_T9_mT8_S1C_bDpT10_ENKUlT_T0_E_clISt17integral_constantIbLb1EES1O_IbLb0EEEEDaS1K_S1L_EUlS1K_E_NS1_11comp_targetILNS1_3genE5ELNS1_11target_archE942ELNS1_3gpuE9ELNS1_3repE0EEENS1_30default_config_static_selectorELNS0_4arch9wavefront6targetE0EEEvSY_: ; @_ZN7rocprim17ROCPRIM_400000_NS6detail17trampoline_kernelINS0_13select_configILj256ELj13ELNS0_17block_load_methodE3ELS4_3ELS4_3ELNS0_20block_scan_algorithmE0ELj4294967295EEENS1_25partition_config_selectorILNS1_17partition_subalgoE3EjNS0_10empty_typeEbEEZZNS1_14partition_implILS8_3ELb0ES6_jNS0_17counting_iteratorIjlEEPS9_SE_NS0_5tupleIJPjSE_EEENSF_IJSE_SE_EEES9_SG_JZNS1_25segmented_radix_sort_implINS0_14default_configELb0EPKfPfPKlPlN2at6native12_GLOBAL__N_18offset_tEEE10hipError_tPvRmT1_PNSt15iterator_traitsISY_E10value_typeET2_T3_PNSZ_IS14_E10value_typeET4_jRbjT5_S1A_jjP12ihipStream_tbEUljE_EEESV_SW_SX_S14_S18_S1A_T6_T7_T9_mT8_S1C_bDpT10_ENKUlT_T0_E_clISt17integral_constantIbLb1EES1O_IbLb0EEEEDaS1K_S1L_EUlS1K_E_NS1_11comp_targetILNS1_3genE5ELNS1_11target_archE942ELNS1_3gpuE9ELNS1_3repE0EEENS1_30default_config_static_selectorELNS0_4arch9wavefront6targetE0EEEvSY_
; %bb.0:
	.section	.rodata,"a",@progbits
	.p2align	6, 0x0
	.amdhsa_kernel _ZN7rocprim17ROCPRIM_400000_NS6detail17trampoline_kernelINS0_13select_configILj256ELj13ELNS0_17block_load_methodE3ELS4_3ELS4_3ELNS0_20block_scan_algorithmE0ELj4294967295EEENS1_25partition_config_selectorILNS1_17partition_subalgoE3EjNS0_10empty_typeEbEEZZNS1_14partition_implILS8_3ELb0ES6_jNS0_17counting_iteratorIjlEEPS9_SE_NS0_5tupleIJPjSE_EEENSF_IJSE_SE_EEES9_SG_JZNS1_25segmented_radix_sort_implINS0_14default_configELb0EPKfPfPKlPlN2at6native12_GLOBAL__N_18offset_tEEE10hipError_tPvRmT1_PNSt15iterator_traitsISY_E10value_typeET2_T3_PNSZ_IS14_E10value_typeET4_jRbjT5_S1A_jjP12ihipStream_tbEUljE_EEESV_SW_SX_S14_S18_S1A_T6_T7_T9_mT8_S1C_bDpT10_ENKUlT_T0_E_clISt17integral_constantIbLb1EES1O_IbLb0EEEEDaS1K_S1L_EUlS1K_E_NS1_11comp_targetILNS1_3genE5ELNS1_11target_archE942ELNS1_3gpuE9ELNS1_3repE0EEENS1_30default_config_static_selectorELNS0_4arch9wavefront6targetE0EEEvSY_
		.amdhsa_group_segment_fixed_size 0
		.amdhsa_private_segment_fixed_size 0
		.amdhsa_kernarg_size 144
		.amdhsa_user_sgpr_count 6
		.amdhsa_user_sgpr_private_segment_buffer 1
		.amdhsa_user_sgpr_dispatch_ptr 0
		.amdhsa_user_sgpr_queue_ptr 0
		.amdhsa_user_sgpr_kernarg_segment_ptr 1
		.amdhsa_user_sgpr_dispatch_id 0
		.amdhsa_user_sgpr_flat_scratch_init 0
		.amdhsa_user_sgpr_private_segment_size 0
		.amdhsa_wavefront_size32 1
		.amdhsa_uses_dynamic_stack 0
		.amdhsa_system_sgpr_private_segment_wavefront_offset 0
		.amdhsa_system_sgpr_workgroup_id_x 1
		.amdhsa_system_sgpr_workgroup_id_y 0
		.amdhsa_system_sgpr_workgroup_id_z 0
		.amdhsa_system_sgpr_workgroup_info 0
		.amdhsa_system_vgpr_workitem_id 0
		.amdhsa_next_free_vgpr 1
		.amdhsa_next_free_sgpr 1
		.amdhsa_reserve_vcc 0
		.amdhsa_reserve_flat_scratch 0
		.amdhsa_float_round_mode_32 0
		.amdhsa_float_round_mode_16_64 0
		.amdhsa_float_denorm_mode_32 3
		.amdhsa_float_denorm_mode_16_64 3
		.amdhsa_dx10_clamp 1
		.amdhsa_ieee_mode 1
		.amdhsa_fp16_overflow 0
		.amdhsa_workgroup_processor_mode 1
		.amdhsa_memory_ordered 1
		.amdhsa_forward_progress 1
		.amdhsa_shared_vgpr_count 0
		.amdhsa_exception_fp_ieee_invalid_op 0
		.amdhsa_exception_fp_denorm_src 0
		.amdhsa_exception_fp_ieee_div_zero 0
		.amdhsa_exception_fp_ieee_overflow 0
		.amdhsa_exception_fp_ieee_underflow 0
		.amdhsa_exception_fp_ieee_inexact 0
		.amdhsa_exception_int_div_zero 0
	.end_amdhsa_kernel
	.section	.text._ZN7rocprim17ROCPRIM_400000_NS6detail17trampoline_kernelINS0_13select_configILj256ELj13ELNS0_17block_load_methodE3ELS4_3ELS4_3ELNS0_20block_scan_algorithmE0ELj4294967295EEENS1_25partition_config_selectorILNS1_17partition_subalgoE3EjNS0_10empty_typeEbEEZZNS1_14partition_implILS8_3ELb0ES6_jNS0_17counting_iteratorIjlEEPS9_SE_NS0_5tupleIJPjSE_EEENSF_IJSE_SE_EEES9_SG_JZNS1_25segmented_radix_sort_implINS0_14default_configELb0EPKfPfPKlPlN2at6native12_GLOBAL__N_18offset_tEEE10hipError_tPvRmT1_PNSt15iterator_traitsISY_E10value_typeET2_T3_PNSZ_IS14_E10value_typeET4_jRbjT5_S1A_jjP12ihipStream_tbEUljE_EEESV_SW_SX_S14_S18_S1A_T6_T7_T9_mT8_S1C_bDpT10_ENKUlT_T0_E_clISt17integral_constantIbLb1EES1O_IbLb0EEEEDaS1K_S1L_EUlS1K_E_NS1_11comp_targetILNS1_3genE5ELNS1_11target_archE942ELNS1_3gpuE9ELNS1_3repE0EEENS1_30default_config_static_selectorELNS0_4arch9wavefront6targetE0EEEvSY_,"axG",@progbits,_ZN7rocprim17ROCPRIM_400000_NS6detail17trampoline_kernelINS0_13select_configILj256ELj13ELNS0_17block_load_methodE3ELS4_3ELS4_3ELNS0_20block_scan_algorithmE0ELj4294967295EEENS1_25partition_config_selectorILNS1_17partition_subalgoE3EjNS0_10empty_typeEbEEZZNS1_14partition_implILS8_3ELb0ES6_jNS0_17counting_iteratorIjlEEPS9_SE_NS0_5tupleIJPjSE_EEENSF_IJSE_SE_EEES9_SG_JZNS1_25segmented_radix_sort_implINS0_14default_configELb0EPKfPfPKlPlN2at6native12_GLOBAL__N_18offset_tEEE10hipError_tPvRmT1_PNSt15iterator_traitsISY_E10value_typeET2_T3_PNSZ_IS14_E10value_typeET4_jRbjT5_S1A_jjP12ihipStream_tbEUljE_EEESV_SW_SX_S14_S18_S1A_T6_T7_T9_mT8_S1C_bDpT10_ENKUlT_T0_E_clISt17integral_constantIbLb1EES1O_IbLb0EEEEDaS1K_S1L_EUlS1K_E_NS1_11comp_targetILNS1_3genE5ELNS1_11target_archE942ELNS1_3gpuE9ELNS1_3repE0EEENS1_30default_config_static_selectorELNS0_4arch9wavefront6targetE0EEEvSY_,comdat
.Lfunc_end1405:
	.size	_ZN7rocprim17ROCPRIM_400000_NS6detail17trampoline_kernelINS0_13select_configILj256ELj13ELNS0_17block_load_methodE3ELS4_3ELS4_3ELNS0_20block_scan_algorithmE0ELj4294967295EEENS1_25partition_config_selectorILNS1_17partition_subalgoE3EjNS0_10empty_typeEbEEZZNS1_14partition_implILS8_3ELb0ES6_jNS0_17counting_iteratorIjlEEPS9_SE_NS0_5tupleIJPjSE_EEENSF_IJSE_SE_EEES9_SG_JZNS1_25segmented_radix_sort_implINS0_14default_configELb0EPKfPfPKlPlN2at6native12_GLOBAL__N_18offset_tEEE10hipError_tPvRmT1_PNSt15iterator_traitsISY_E10value_typeET2_T3_PNSZ_IS14_E10value_typeET4_jRbjT5_S1A_jjP12ihipStream_tbEUljE_EEESV_SW_SX_S14_S18_S1A_T6_T7_T9_mT8_S1C_bDpT10_ENKUlT_T0_E_clISt17integral_constantIbLb1EES1O_IbLb0EEEEDaS1K_S1L_EUlS1K_E_NS1_11comp_targetILNS1_3genE5ELNS1_11target_archE942ELNS1_3gpuE9ELNS1_3repE0EEENS1_30default_config_static_selectorELNS0_4arch9wavefront6targetE0EEEvSY_, .Lfunc_end1405-_ZN7rocprim17ROCPRIM_400000_NS6detail17trampoline_kernelINS0_13select_configILj256ELj13ELNS0_17block_load_methodE3ELS4_3ELS4_3ELNS0_20block_scan_algorithmE0ELj4294967295EEENS1_25partition_config_selectorILNS1_17partition_subalgoE3EjNS0_10empty_typeEbEEZZNS1_14partition_implILS8_3ELb0ES6_jNS0_17counting_iteratorIjlEEPS9_SE_NS0_5tupleIJPjSE_EEENSF_IJSE_SE_EEES9_SG_JZNS1_25segmented_radix_sort_implINS0_14default_configELb0EPKfPfPKlPlN2at6native12_GLOBAL__N_18offset_tEEE10hipError_tPvRmT1_PNSt15iterator_traitsISY_E10value_typeET2_T3_PNSZ_IS14_E10value_typeET4_jRbjT5_S1A_jjP12ihipStream_tbEUljE_EEESV_SW_SX_S14_S18_S1A_T6_T7_T9_mT8_S1C_bDpT10_ENKUlT_T0_E_clISt17integral_constantIbLb1EES1O_IbLb0EEEEDaS1K_S1L_EUlS1K_E_NS1_11comp_targetILNS1_3genE5ELNS1_11target_archE942ELNS1_3gpuE9ELNS1_3repE0EEENS1_30default_config_static_selectorELNS0_4arch9wavefront6targetE0EEEvSY_
                                        ; -- End function
	.set _ZN7rocprim17ROCPRIM_400000_NS6detail17trampoline_kernelINS0_13select_configILj256ELj13ELNS0_17block_load_methodE3ELS4_3ELS4_3ELNS0_20block_scan_algorithmE0ELj4294967295EEENS1_25partition_config_selectorILNS1_17partition_subalgoE3EjNS0_10empty_typeEbEEZZNS1_14partition_implILS8_3ELb0ES6_jNS0_17counting_iteratorIjlEEPS9_SE_NS0_5tupleIJPjSE_EEENSF_IJSE_SE_EEES9_SG_JZNS1_25segmented_radix_sort_implINS0_14default_configELb0EPKfPfPKlPlN2at6native12_GLOBAL__N_18offset_tEEE10hipError_tPvRmT1_PNSt15iterator_traitsISY_E10value_typeET2_T3_PNSZ_IS14_E10value_typeET4_jRbjT5_S1A_jjP12ihipStream_tbEUljE_EEESV_SW_SX_S14_S18_S1A_T6_T7_T9_mT8_S1C_bDpT10_ENKUlT_T0_E_clISt17integral_constantIbLb1EES1O_IbLb0EEEEDaS1K_S1L_EUlS1K_E_NS1_11comp_targetILNS1_3genE5ELNS1_11target_archE942ELNS1_3gpuE9ELNS1_3repE0EEENS1_30default_config_static_selectorELNS0_4arch9wavefront6targetE0EEEvSY_.num_vgpr, 0
	.set _ZN7rocprim17ROCPRIM_400000_NS6detail17trampoline_kernelINS0_13select_configILj256ELj13ELNS0_17block_load_methodE3ELS4_3ELS4_3ELNS0_20block_scan_algorithmE0ELj4294967295EEENS1_25partition_config_selectorILNS1_17partition_subalgoE3EjNS0_10empty_typeEbEEZZNS1_14partition_implILS8_3ELb0ES6_jNS0_17counting_iteratorIjlEEPS9_SE_NS0_5tupleIJPjSE_EEENSF_IJSE_SE_EEES9_SG_JZNS1_25segmented_radix_sort_implINS0_14default_configELb0EPKfPfPKlPlN2at6native12_GLOBAL__N_18offset_tEEE10hipError_tPvRmT1_PNSt15iterator_traitsISY_E10value_typeET2_T3_PNSZ_IS14_E10value_typeET4_jRbjT5_S1A_jjP12ihipStream_tbEUljE_EEESV_SW_SX_S14_S18_S1A_T6_T7_T9_mT8_S1C_bDpT10_ENKUlT_T0_E_clISt17integral_constantIbLb1EES1O_IbLb0EEEEDaS1K_S1L_EUlS1K_E_NS1_11comp_targetILNS1_3genE5ELNS1_11target_archE942ELNS1_3gpuE9ELNS1_3repE0EEENS1_30default_config_static_selectorELNS0_4arch9wavefront6targetE0EEEvSY_.num_agpr, 0
	.set _ZN7rocprim17ROCPRIM_400000_NS6detail17trampoline_kernelINS0_13select_configILj256ELj13ELNS0_17block_load_methodE3ELS4_3ELS4_3ELNS0_20block_scan_algorithmE0ELj4294967295EEENS1_25partition_config_selectorILNS1_17partition_subalgoE3EjNS0_10empty_typeEbEEZZNS1_14partition_implILS8_3ELb0ES6_jNS0_17counting_iteratorIjlEEPS9_SE_NS0_5tupleIJPjSE_EEENSF_IJSE_SE_EEES9_SG_JZNS1_25segmented_radix_sort_implINS0_14default_configELb0EPKfPfPKlPlN2at6native12_GLOBAL__N_18offset_tEEE10hipError_tPvRmT1_PNSt15iterator_traitsISY_E10value_typeET2_T3_PNSZ_IS14_E10value_typeET4_jRbjT5_S1A_jjP12ihipStream_tbEUljE_EEESV_SW_SX_S14_S18_S1A_T6_T7_T9_mT8_S1C_bDpT10_ENKUlT_T0_E_clISt17integral_constantIbLb1EES1O_IbLb0EEEEDaS1K_S1L_EUlS1K_E_NS1_11comp_targetILNS1_3genE5ELNS1_11target_archE942ELNS1_3gpuE9ELNS1_3repE0EEENS1_30default_config_static_selectorELNS0_4arch9wavefront6targetE0EEEvSY_.numbered_sgpr, 0
	.set _ZN7rocprim17ROCPRIM_400000_NS6detail17trampoline_kernelINS0_13select_configILj256ELj13ELNS0_17block_load_methodE3ELS4_3ELS4_3ELNS0_20block_scan_algorithmE0ELj4294967295EEENS1_25partition_config_selectorILNS1_17partition_subalgoE3EjNS0_10empty_typeEbEEZZNS1_14partition_implILS8_3ELb0ES6_jNS0_17counting_iteratorIjlEEPS9_SE_NS0_5tupleIJPjSE_EEENSF_IJSE_SE_EEES9_SG_JZNS1_25segmented_radix_sort_implINS0_14default_configELb0EPKfPfPKlPlN2at6native12_GLOBAL__N_18offset_tEEE10hipError_tPvRmT1_PNSt15iterator_traitsISY_E10value_typeET2_T3_PNSZ_IS14_E10value_typeET4_jRbjT5_S1A_jjP12ihipStream_tbEUljE_EEESV_SW_SX_S14_S18_S1A_T6_T7_T9_mT8_S1C_bDpT10_ENKUlT_T0_E_clISt17integral_constantIbLb1EES1O_IbLb0EEEEDaS1K_S1L_EUlS1K_E_NS1_11comp_targetILNS1_3genE5ELNS1_11target_archE942ELNS1_3gpuE9ELNS1_3repE0EEENS1_30default_config_static_selectorELNS0_4arch9wavefront6targetE0EEEvSY_.num_named_barrier, 0
	.set _ZN7rocprim17ROCPRIM_400000_NS6detail17trampoline_kernelINS0_13select_configILj256ELj13ELNS0_17block_load_methodE3ELS4_3ELS4_3ELNS0_20block_scan_algorithmE0ELj4294967295EEENS1_25partition_config_selectorILNS1_17partition_subalgoE3EjNS0_10empty_typeEbEEZZNS1_14partition_implILS8_3ELb0ES6_jNS0_17counting_iteratorIjlEEPS9_SE_NS0_5tupleIJPjSE_EEENSF_IJSE_SE_EEES9_SG_JZNS1_25segmented_radix_sort_implINS0_14default_configELb0EPKfPfPKlPlN2at6native12_GLOBAL__N_18offset_tEEE10hipError_tPvRmT1_PNSt15iterator_traitsISY_E10value_typeET2_T3_PNSZ_IS14_E10value_typeET4_jRbjT5_S1A_jjP12ihipStream_tbEUljE_EEESV_SW_SX_S14_S18_S1A_T6_T7_T9_mT8_S1C_bDpT10_ENKUlT_T0_E_clISt17integral_constantIbLb1EES1O_IbLb0EEEEDaS1K_S1L_EUlS1K_E_NS1_11comp_targetILNS1_3genE5ELNS1_11target_archE942ELNS1_3gpuE9ELNS1_3repE0EEENS1_30default_config_static_selectorELNS0_4arch9wavefront6targetE0EEEvSY_.private_seg_size, 0
	.set _ZN7rocprim17ROCPRIM_400000_NS6detail17trampoline_kernelINS0_13select_configILj256ELj13ELNS0_17block_load_methodE3ELS4_3ELS4_3ELNS0_20block_scan_algorithmE0ELj4294967295EEENS1_25partition_config_selectorILNS1_17partition_subalgoE3EjNS0_10empty_typeEbEEZZNS1_14partition_implILS8_3ELb0ES6_jNS0_17counting_iteratorIjlEEPS9_SE_NS0_5tupleIJPjSE_EEENSF_IJSE_SE_EEES9_SG_JZNS1_25segmented_radix_sort_implINS0_14default_configELb0EPKfPfPKlPlN2at6native12_GLOBAL__N_18offset_tEEE10hipError_tPvRmT1_PNSt15iterator_traitsISY_E10value_typeET2_T3_PNSZ_IS14_E10value_typeET4_jRbjT5_S1A_jjP12ihipStream_tbEUljE_EEESV_SW_SX_S14_S18_S1A_T6_T7_T9_mT8_S1C_bDpT10_ENKUlT_T0_E_clISt17integral_constantIbLb1EES1O_IbLb0EEEEDaS1K_S1L_EUlS1K_E_NS1_11comp_targetILNS1_3genE5ELNS1_11target_archE942ELNS1_3gpuE9ELNS1_3repE0EEENS1_30default_config_static_selectorELNS0_4arch9wavefront6targetE0EEEvSY_.uses_vcc, 0
	.set _ZN7rocprim17ROCPRIM_400000_NS6detail17trampoline_kernelINS0_13select_configILj256ELj13ELNS0_17block_load_methodE3ELS4_3ELS4_3ELNS0_20block_scan_algorithmE0ELj4294967295EEENS1_25partition_config_selectorILNS1_17partition_subalgoE3EjNS0_10empty_typeEbEEZZNS1_14partition_implILS8_3ELb0ES6_jNS0_17counting_iteratorIjlEEPS9_SE_NS0_5tupleIJPjSE_EEENSF_IJSE_SE_EEES9_SG_JZNS1_25segmented_radix_sort_implINS0_14default_configELb0EPKfPfPKlPlN2at6native12_GLOBAL__N_18offset_tEEE10hipError_tPvRmT1_PNSt15iterator_traitsISY_E10value_typeET2_T3_PNSZ_IS14_E10value_typeET4_jRbjT5_S1A_jjP12ihipStream_tbEUljE_EEESV_SW_SX_S14_S18_S1A_T6_T7_T9_mT8_S1C_bDpT10_ENKUlT_T0_E_clISt17integral_constantIbLb1EES1O_IbLb0EEEEDaS1K_S1L_EUlS1K_E_NS1_11comp_targetILNS1_3genE5ELNS1_11target_archE942ELNS1_3gpuE9ELNS1_3repE0EEENS1_30default_config_static_selectorELNS0_4arch9wavefront6targetE0EEEvSY_.uses_flat_scratch, 0
	.set _ZN7rocprim17ROCPRIM_400000_NS6detail17trampoline_kernelINS0_13select_configILj256ELj13ELNS0_17block_load_methodE3ELS4_3ELS4_3ELNS0_20block_scan_algorithmE0ELj4294967295EEENS1_25partition_config_selectorILNS1_17partition_subalgoE3EjNS0_10empty_typeEbEEZZNS1_14partition_implILS8_3ELb0ES6_jNS0_17counting_iteratorIjlEEPS9_SE_NS0_5tupleIJPjSE_EEENSF_IJSE_SE_EEES9_SG_JZNS1_25segmented_radix_sort_implINS0_14default_configELb0EPKfPfPKlPlN2at6native12_GLOBAL__N_18offset_tEEE10hipError_tPvRmT1_PNSt15iterator_traitsISY_E10value_typeET2_T3_PNSZ_IS14_E10value_typeET4_jRbjT5_S1A_jjP12ihipStream_tbEUljE_EEESV_SW_SX_S14_S18_S1A_T6_T7_T9_mT8_S1C_bDpT10_ENKUlT_T0_E_clISt17integral_constantIbLb1EES1O_IbLb0EEEEDaS1K_S1L_EUlS1K_E_NS1_11comp_targetILNS1_3genE5ELNS1_11target_archE942ELNS1_3gpuE9ELNS1_3repE0EEENS1_30default_config_static_selectorELNS0_4arch9wavefront6targetE0EEEvSY_.has_dyn_sized_stack, 0
	.set _ZN7rocprim17ROCPRIM_400000_NS6detail17trampoline_kernelINS0_13select_configILj256ELj13ELNS0_17block_load_methodE3ELS4_3ELS4_3ELNS0_20block_scan_algorithmE0ELj4294967295EEENS1_25partition_config_selectorILNS1_17partition_subalgoE3EjNS0_10empty_typeEbEEZZNS1_14partition_implILS8_3ELb0ES6_jNS0_17counting_iteratorIjlEEPS9_SE_NS0_5tupleIJPjSE_EEENSF_IJSE_SE_EEES9_SG_JZNS1_25segmented_radix_sort_implINS0_14default_configELb0EPKfPfPKlPlN2at6native12_GLOBAL__N_18offset_tEEE10hipError_tPvRmT1_PNSt15iterator_traitsISY_E10value_typeET2_T3_PNSZ_IS14_E10value_typeET4_jRbjT5_S1A_jjP12ihipStream_tbEUljE_EEESV_SW_SX_S14_S18_S1A_T6_T7_T9_mT8_S1C_bDpT10_ENKUlT_T0_E_clISt17integral_constantIbLb1EES1O_IbLb0EEEEDaS1K_S1L_EUlS1K_E_NS1_11comp_targetILNS1_3genE5ELNS1_11target_archE942ELNS1_3gpuE9ELNS1_3repE0EEENS1_30default_config_static_selectorELNS0_4arch9wavefront6targetE0EEEvSY_.has_recursion, 0
	.set _ZN7rocprim17ROCPRIM_400000_NS6detail17trampoline_kernelINS0_13select_configILj256ELj13ELNS0_17block_load_methodE3ELS4_3ELS4_3ELNS0_20block_scan_algorithmE0ELj4294967295EEENS1_25partition_config_selectorILNS1_17partition_subalgoE3EjNS0_10empty_typeEbEEZZNS1_14partition_implILS8_3ELb0ES6_jNS0_17counting_iteratorIjlEEPS9_SE_NS0_5tupleIJPjSE_EEENSF_IJSE_SE_EEES9_SG_JZNS1_25segmented_radix_sort_implINS0_14default_configELb0EPKfPfPKlPlN2at6native12_GLOBAL__N_18offset_tEEE10hipError_tPvRmT1_PNSt15iterator_traitsISY_E10value_typeET2_T3_PNSZ_IS14_E10value_typeET4_jRbjT5_S1A_jjP12ihipStream_tbEUljE_EEESV_SW_SX_S14_S18_S1A_T6_T7_T9_mT8_S1C_bDpT10_ENKUlT_T0_E_clISt17integral_constantIbLb1EES1O_IbLb0EEEEDaS1K_S1L_EUlS1K_E_NS1_11comp_targetILNS1_3genE5ELNS1_11target_archE942ELNS1_3gpuE9ELNS1_3repE0EEENS1_30default_config_static_selectorELNS0_4arch9wavefront6targetE0EEEvSY_.has_indirect_call, 0
	.section	.AMDGPU.csdata,"",@progbits
; Kernel info:
; codeLenInByte = 0
; TotalNumSgprs: 0
; NumVgprs: 0
; ScratchSize: 0
; MemoryBound: 0
; FloatMode: 240
; IeeeMode: 1
; LDSByteSize: 0 bytes/workgroup (compile time only)
; SGPRBlocks: 0
; VGPRBlocks: 0
; NumSGPRsForWavesPerEU: 1
; NumVGPRsForWavesPerEU: 1
; Occupancy: 16
; WaveLimiterHint : 0
; COMPUTE_PGM_RSRC2:SCRATCH_EN: 0
; COMPUTE_PGM_RSRC2:USER_SGPR: 6
; COMPUTE_PGM_RSRC2:TRAP_HANDLER: 0
; COMPUTE_PGM_RSRC2:TGID_X_EN: 1
; COMPUTE_PGM_RSRC2:TGID_Y_EN: 0
; COMPUTE_PGM_RSRC2:TGID_Z_EN: 0
; COMPUTE_PGM_RSRC2:TIDIG_COMP_CNT: 0
	.section	.text._ZN7rocprim17ROCPRIM_400000_NS6detail17trampoline_kernelINS0_13select_configILj256ELj13ELNS0_17block_load_methodE3ELS4_3ELS4_3ELNS0_20block_scan_algorithmE0ELj4294967295EEENS1_25partition_config_selectorILNS1_17partition_subalgoE3EjNS0_10empty_typeEbEEZZNS1_14partition_implILS8_3ELb0ES6_jNS0_17counting_iteratorIjlEEPS9_SE_NS0_5tupleIJPjSE_EEENSF_IJSE_SE_EEES9_SG_JZNS1_25segmented_radix_sort_implINS0_14default_configELb0EPKfPfPKlPlN2at6native12_GLOBAL__N_18offset_tEEE10hipError_tPvRmT1_PNSt15iterator_traitsISY_E10value_typeET2_T3_PNSZ_IS14_E10value_typeET4_jRbjT5_S1A_jjP12ihipStream_tbEUljE_EEESV_SW_SX_S14_S18_S1A_T6_T7_T9_mT8_S1C_bDpT10_ENKUlT_T0_E_clISt17integral_constantIbLb1EES1O_IbLb0EEEEDaS1K_S1L_EUlS1K_E_NS1_11comp_targetILNS1_3genE4ELNS1_11target_archE910ELNS1_3gpuE8ELNS1_3repE0EEENS1_30default_config_static_selectorELNS0_4arch9wavefront6targetE0EEEvSY_,"axG",@progbits,_ZN7rocprim17ROCPRIM_400000_NS6detail17trampoline_kernelINS0_13select_configILj256ELj13ELNS0_17block_load_methodE3ELS4_3ELS4_3ELNS0_20block_scan_algorithmE0ELj4294967295EEENS1_25partition_config_selectorILNS1_17partition_subalgoE3EjNS0_10empty_typeEbEEZZNS1_14partition_implILS8_3ELb0ES6_jNS0_17counting_iteratorIjlEEPS9_SE_NS0_5tupleIJPjSE_EEENSF_IJSE_SE_EEES9_SG_JZNS1_25segmented_radix_sort_implINS0_14default_configELb0EPKfPfPKlPlN2at6native12_GLOBAL__N_18offset_tEEE10hipError_tPvRmT1_PNSt15iterator_traitsISY_E10value_typeET2_T3_PNSZ_IS14_E10value_typeET4_jRbjT5_S1A_jjP12ihipStream_tbEUljE_EEESV_SW_SX_S14_S18_S1A_T6_T7_T9_mT8_S1C_bDpT10_ENKUlT_T0_E_clISt17integral_constantIbLb1EES1O_IbLb0EEEEDaS1K_S1L_EUlS1K_E_NS1_11comp_targetILNS1_3genE4ELNS1_11target_archE910ELNS1_3gpuE8ELNS1_3repE0EEENS1_30default_config_static_selectorELNS0_4arch9wavefront6targetE0EEEvSY_,comdat
	.globl	_ZN7rocprim17ROCPRIM_400000_NS6detail17trampoline_kernelINS0_13select_configILj256ELj13ELNS0_17block_load_methodE3ELS4_3ELS4_3ELNS0_20block_scan_algorithmE0ELj4294967295EEENS1_25partition_config_selectorILNS1_17partition_subalgoE3EjNS0_10empty_typeEbEEZZNS1_14partition_implILS8_3ELb0ES6_jNS0_17counting_iteratorIjlEEPS9_SE_NS0_5tupleIJPjSE_EEENSF_IJSE_SE_EEES9_SG_JZNS1_25segmented_radix_sort_implINS0_14default_configELb0EPKfPfPKlPlN2at6native12_GLOBAL__N_18offset_tEEE10hipError_tPvRmT1_PNSt15iterator_traitsISY_E10value_typeET2_T3_PNSZ_IS14_E10value_typeET4_jRbjT5_S1A_jjP12ihipStream_tbEUljE_EEESV_SW_SX_S14_S18_S1A_T6_T7_T9_mT8_S1C_bDpT10_ENKUlT_T0_E_clISt17integral_constantIbLb1EES1O_IbLb0EEEEDaS1K_S1L_EUlS1K_E_NS1_11comp_targetILNS1_3genE4ELNS1_11target_archE910ELNS1_3gpuE8ELNS1_3repE0EEENS1_30default_config_static_selectorELNS0_4arch9wavefront6targetE0EEEvSY_ ; -- Begin function _ZN7rocprim17ROCPRIM_400000_NS6detail17trampoline_kernelINS0_13select_configILj256ELj13ELNS0_17block_load_methodE3ELS4_3ELS4_3ELNS0_20block_scan_algorithmE0ELj4294967295EEENS1_25partition_config_selectorILNS1_17partition_subalgoE3EjNS0_10empty_typeEbEEZZNS1_14partition_implILS8_3ELb0ES6_jNS0_17counting_iteratorIjlEEPS9_SE_NS0_5tupleIJPjSE_EEENSF_IJSE_SE_EEES9_SG_JZNS1_25segmented_radix_sort_implINS0_14default_configELb0EPKfPfPKlPlN2at6native12_GLOBAL__N_18offset_tEEE10hipError_tPvRmT1_PNSt15iterator_traitsISY_E10value_typeET2_T3_PNSZ_IS14_E10value_typeET4_jRbjT5_S1A_jjP12ihipStream_tbEUljE_EEESV_SW_SX_S14_S18_S1A_T6_T7_T9_mT8_S1C_bDpT10_ENKUlT_T0_E_clISt17integral_constantIbLb1EES1O_IbLb0EEEEDaS1K_S1L_EUlS1K_E_NS1_11comp_targetILNS1_3genE4ELNS1_11target_archE910ELNS1_3gpuE8ELNS1_3repE0EEENS1_30default_config_static_selectorELNS0_4arch9wavefront6targetE0EEEvSY_
	.p2align	8
	.type	_ZN7rocprim17ROCPRIM_400000_NS6detail17trampoline_kernelINS0_13select_configILj256ELj13ELNS0_17block_load_methodE3ELS4_3ELS4_3ELNS0_20block_scan_algorithmE0ELj4294967295EEENS1_25partition_config_selectorILNS1_17partition_subalgoE3EjNS0_10empty_typeEbEEZZNS1_14partition_implILS8_3ELb0ES6_jNS0_17counting_iteratorIjlEEPS9_SE_NS0_5tupleIJPjSE_EEENSF_IJSE_SE_EEES9_SG_JZNS1_25segmented_radix_sort_implINS0_14default_configELb0EPKfPfPKlPlN2at6native12_GLOBAL__N_18offset_tEEE10hipError_tPvRmT1_PNSt15iterator_traitsISY_E10value_typeET2_T3_PNSZ_IS14_E10value_typeET4_jRbjT5_S1A_jjP12ihipStream_tbEUljE_EEESV_SW_SX_S14_S18_S1A_T6_T7_T9_mT8_S1C_bDpT10_ENKUlT_T0_E_clISt17integral_constantIbLb1EES1O_IbLb0EEEEDaS1K_S1L_EUlS1K_E_NS1_11comp_targetILNS1_3genE4ELNS1_11target_archE910ELNS1_3gpuE8ELNS1_3repE0EEENS1_30default_config_static_selectorELNS0_4arch9wavefront6targetE0EEEvSY_,@function
_ZN7rocprim17ROCPRIM_400000_NS6detail17trampoline_kernelINS0_13select_configILj256ELj13ELNS0_17block_load_methodE3ELS4_3ELS4_3ELNS0_20block_scan_algorithmE0ELj4294967295EEENS1_25partition_config_selectorILNS1_17partition_subalgoE3EjNS0_10empty_typeEbEEZZNS1_14partition_implILS8_3ELb0ES6_jNS0_17counting_iteratorIjlEEPS9_SE_NS0_5tupleIJPjSE_EEENSF_IJSE_SE_EEES9_SG_JZNS1_25segmented_radix_sort_implINS0_14default_configELb0EPKfPfPKlPlN2at6native12_GLOBAL__N_18offset_tEEE10hipError_tPvRmT1_PNSt15iterator_traitsISY_E10value_typeET2_T3_PNSZ_IS14_E10value_typeET4_jRbjT5_S1A_jjP12ihipStream_tbEUljE_EEESV_SW_SX_S14_S18_S1A_T6_T7_T9_mT8_S1C_bDpT10_ENKUlT_T0_E_clISt17integral_constantIbLb1EES1O_IbLb0EEEEDaS1K_S1L_EUlS1K_E_NS1_11comp_targetILNS1_3genE4ELNS1_11target_archE910ELNS1_3gpuE8ELNS1_3repE0EEENS1_30default_config_static_selectorELNS0_4arch9wavefront6targetE0EEEvSY_: ; @_ZN7rocprim17ROCPRIM_400000_NS6detail17trampoline_kernelINS0_13select_configILj256ELj13ELNS0_17block_load_methodE3ELS4_3ELS4_3ELNS0_20block_scan_algorithmE0ELj4294967295EEENS1_25partition_config_selectorILNS1_17partition_subalgoE3EjNS0_10empty_typeEbEEZZNS1_14partition_implILS8_3ELb0ES6_jNS0_17counting_iteratorIjlEEPS9_SE_NS0_5tupleIJPjSE_EEENSF_IJSE_SE_EEES9_SG_JZNS1_25segmented_radix_sort_implINS0_14default_configELb0EPKfPfPKlPlN2at6native12_GLOBAL__N_18offset_tEEE10hipError_tPvRmT1_PNSt15iterator_traitsISY_E10value_typeET2_T3_PNSZ_IS14_E10value_typeET4_jRbjT5_S1A_jjP12ihipStream_tbEUljE_EEESV_SW_SX_S14_S18_S1A_T6_T7_T9_mT8_S1C_bDpT10_ENKUlT_T0_E_clISt17integral_constantIbLb1EES1O_IbLb0EEEEDaS1K_S1L_EUlS1K_E_NS1_11comp_targetILNS1_3genE4ELNS1_11target_archE910ELNS1_3gpuE8ELNS1_3repE0EEENS1_30default_config_static_selectorELNS0_4arch9wavefront6targetE0EEEvSY_
; %bb.0:
	.section	.rodata,"a",@progbits
	.p2align	6, 0x0
	.amdhsa_kernel _ZN7rocprim17ROCPRIM_400000_NS6detail17trampoline_kernelINS0_13select_configILj256ELj13ELNS0_17block_load_methodE3ELS4_3ELS4_3ELNS0_20block_scan_algorithmE0ELj4294967295EEENS1_25partition_config_selectorILNS1_17partition_subalgoE3EjNS0_10empty_typeEbEEZZNS1_14partition_implILS8_3ELb0ES6_jNS0_17counting_iteratorIjlEEPS9_SE_NS0_5tupleIJPjSE_EEENSF_IJSE_SE_EEES9_SG_JZNS1_25segmented_radix_sort_implINS0_14default_configELb0EPKfPfPKlPlN2at6native12_GLOBAL__N_18offset_tEEE10hipError_tPvRmT1_PNSt15iterator_traitsISY_E10value_typeET2_T3_PNSZ_IS14_E10value_typeET4_jRbjT5_S1A_jjP12ihipStream_tbEUljE_EEESV_SW_SX_S14_S18_S1A_T6_T7_T9_mT8_S1C_bDpT10_ENKUlT_T0_E_clISt17integral_constantIbLb1EES1O_IbLb0EEEEDaS1K_S1L_EUlS1K_E_NS1_11comp_targetILNS1_3genE4ELNS1_11target_archE910ELNS1_3gpuE8ELNS1_3repE0EEENS1_30default_config_static_selectorELNS0_4arch9wavefront6targetE0EEEvSY_
		.amdhsa_group_segment_fixed_size 0
		.amdhsa_private_segment_fixed_size 0
		.amdhsa_kernarg_size 144
		.amdhsa_user_sgpr_count 6
		.amdhsa_user_sgpr_private_segment_buffer 1
		.amdhsa_user_sgpr_dispatch_ptr 0
		.amdhsa_user_sgpr_queue_ptr 0
		.amdhsa_user_sgpr_kernarg_segment_ptr 1
		.amdhsa_user_sgpr_dispatch_id 0
		.amdhsa_user_sgpr_flat_scratch_init 0
		.amdhsa_user_sgpr_private_segment_size 0
		.amdhsa_wavefront_size32 1
		.amdhsa_uses_dynamic_stack 0
		.amdhsa_system_sgpr_private_segment_wavefront_offset 0
		.amdhsa_system_sgpr_workgroup_id_x 1
		.amdhsa_system_sgpr_workgroup_id_y 0
		.amdhsa_system_sgpr_workgroup_id_z 0
		.amdhsa_system_sgpr_workgroup_info 0
		.amdhsa_system_vgpr_workitem_id 0
		.amdhsa_next_free_vgpr 1
		.amdhsa_next_free_sgpr 1
		.amdhsa_reserve_vcc 0
		.amdhsa_reserve_flat_scratch 0
		.amdhsa_float_round_mode_32 0
		.amdhsa_float_round_mode_16_64 0
		.amdhsa_float_denorm_mode_32 3
		.amdhsa_float_denorm_mode_16_64 3
		.amdhsa_dx10_clamp 1
		.amdhsa_ieee_mode 1
		.amdhsa_fp16_overflow 0
		.amdhsa_workgroup_processor_mode 1
		.amdhsa_memory_ordered 1
		.amdhsa_forward_progress 1
		.amdhsa_shared_vgpr_count 0
		.amdhsa_exception_fp_ieee_invalid_op 0
		.amdhsa_exception_fp_denorm_src 0
		.amdhsa_exception_fp_ieee_div_zero 0
		.amdhsa_exception_fp_ieee_overflow 0
		.amdhsa_exception_fp_ieee_underflow 0
		.amdhsa_exception_fp_ieee_inexact 0
		.amdhsa_exception_int_div_zero 0
	.end_amdhsa_kernel
	.section	.text._ZN7rocprim17ROCPRIM_400000_NS6detail17trampoline_kernelINS0_13select_configILj256ELj13ELNS0_17block_load_methodE3ELS4_3ELS4_3ELNS0_20block_scan_algorithmE0ELj4294967295EEENS1_25partition_config_selectorILNS1_17partition_subalgoE3EjNS0_10empty_typeEbEEZZNS1_14partition_implILS8_3ELb0ES6_jNS0_17counting_iteratorIjlEEPS9_SE_NS0_5tupleIJPjSE_EEENSF_IJSE_SE_EEES9_SG_JZNS1_25segmented_radix_sort_implINS0_14default_configELb0EPKfPfPKlPlN2at6native12_GLOBAL__N_18offset_tEEE10hipError_tPvRmT1_PNSt15iterator_traitsISY_E10value_typeET2_T3_PNSZ_IS14_E10value_typeET4_jRbjT5_S1A_jjP12ihipStream_tbEUljE_EEESV_SW_SX_S14_S18_S1A_T6_T7_T9_mT8_S1C_bDpT10_ENKUlT_T0_E_clISt17integral_constantIbLb1EES1O_IbLb0EEEEDaS1K_S1L_EUlS1K_E_NS1_11comp_targetILNS1_3genE4ELNS1_11target_archE910ELNS1_3gpuE8ELNS1_3repE0EEENS1_30default_config_static_selectorELNS0_4arch9wavefront6targetE0EEEvSY_,"axG",@progbits,_ZN7rocprim17ROCPRIM_400000_NS6detail17trampoline_kernelINS0_13select_configILj256ELj13ELNS0_17block_load_methodE3ELS4_3ELS4_3ELNS0_20block_scan_algorithmE0ELj4294967295EEENS1_25partition_config_selectorILNS1_17partition_subalgoE3EjNS0_10empty_typeEbEEZZNS1_14partition_implILS8_3ELb0ES6_jNS0_17counting_iteratorIjlEEPS9_SE_NS0_5tupleIJPjSE_EEENSF_IJSE_SE_EEES9_SG_JZNS1_25segmented_radix_sort_implINS0_14default_configELb0EPKfPfPKlPlN2at6native12_GLOBAL__N_18offset_tEEE10hipError_tPvRmT1_PNSt15iterator_traitsISY_E10value_typeET2_T3_PNSZ_IS14_E10value_typeET4_jRbjT5_S1A_jjP12ihipStream_tbEUljE_EEESV_SW_SX_S14_S18_S1A_T6_T7_T9_mT8_S1C_bDpT10_ENKUlT_T0_E_clISt17integral_constantIbLb1EES1O_IbLb0EEEEDaS1K_S1L_EUlS1K_E_NS1_11comp_targetILNS1_3genE4ELNS1_11target_archE910ELNS1_3gpuE8ELNS1_3repE0EEENS1_30default_config_static_selectorELNS0_4arch9wavefront6targetE0EEEvSY_,comdat
.Lfunc_end1406:
	.size	_ZN7rocprim17ROCPRIM_400000_NS6detail17trampoline_kernelINS0_13select_configILj256ELj13ELNS0_17block_load_methodE3ELS4_3ELS4_3ELNS0_20block_scan_algorithmE0ELj4294967295EEENS1_25partition_config_selectorILNS1_17partition_subalgoE3EjNS0_10empty_typeEbEEZZNS1_14partition_implILS8_3ELb0ES6_jNS0_17counting_iteratorIjlEEPS9_SE_NS0_5tupleIJPjSE_EEENSF_IJSE_SE_EEES9_SG_JZNS1_25segmented_radix_sort_implINS0_14default_configELb0EPKfPfPKlPlN2at6native12_GLOBAL__N_18offset_tEEE10hipError_tPvRmT1_PNSt15iterator_traitsISY_E10value_typeET2_T3_PNSZ_IS14_E10value_typeET4_jRbjT5_S1A_jjP12ihipStream_tbEUljE_EEESV_SW_SX_S14_S18_S1A_T6_T7_T9_mT8_S1C_bDpT10_ENKUlT_T0_E_clISt17integral_constantIbLb1EES1O_IbLb0EEEEDaS1K_S1L_EUlS1K_E_NS1_11comp_targetILNS1_3genE4ELNS1_11target_archE910ELNS1_3gpuE8ELNS1_3repE0EEENS1_30default_config_static_selectorELNS0_4arch9wavefront6targetE0EEEvSY_, .Lfunc_end1406-_ZN7rocprim17ROCPRIM_400000_NS6detail17trampoline_kernelINS0_13select_configILj256ELj13ELNS0_17block_load_methodE3ELS4_3ELS4_3ELNS0_20block_scan_algorithmE0ELj4294967295EEENS1_25partition_config_selectorILNS1_17partition_subalgoE3EjNS0_10empty_typeEbEEZZNS1_14partition_implILS8_3ELb0ES6_jNS0_17counting_iteratorIjlEEPS9_SE_NS0_5tupleIJPjSE_EEENSF_IJSE_SE_EEES9_SG_JZNS1_25segmented_radix_sort_implINS0_14default_configELb0EPKfPfPKlPlN2at6native12_GLOBAL__N_18offset_tEEE10hipError_tPvRmT1_PNSt15iterator_traitsISY_E10value_typeET2_T3_PNSZ_IS14_E10value_typeET4_jRbjT5_S1A_jjP12ihipStream_tbEUljE_EEESV_SW_SX_S14_S18_S1A_T6_T7_T9_mT8_S1C_bDpT10_ENKUlT_T0_E_clISt17integral_constantIbLb1EES1O_IbLb0EEEEDaS1K_S1L_EUlS1K_E_NS1_11comp_targetILNS1_3genE4ELNS1_11target_archE910ELNS1_3gpuE8ELNS1_3repE0EEENS1_30default_config_static_selectorELNS0_4arch9wavefront6targetE0EEEvSY_
                                        ; -- End function
	.set _ZN7rocprim17ROCPRIM_400000_NS6detail17trampoline_kernelINS0_13select_configILj256ELj13ELNS0_17block_load_methodE3ELS4_3ELS4_3ELNS0_20block_scan_algorithmE0ELj4294967295EEENS1_25partition_config_selectorILNS1_17partition_subalgoE3EjNS0_10empty_typeEbEEZZNS1_14partition_implILS8_3ELb0ES6_jNS0_17counting_iteratorIjlEEPS9_SE_NS0_5tupleIJPjSE_EEENSF_IJSE_SE_EEES9_SG_JZNS1_25segmented_radix_sort_implINS0_14default_configELb0EPKfPfPKlPlN2at6native12_GLOBAL__N_18offset_tEEE10hipError_tPvRmT1_PNSt15iterator_traitsISY_E10value_typeET2_T3_PNSZ_IS14_E10value_typeET4_jRbjT5_S1A_jjP12ihipStream_tbEUljE_EEESV_SW_SX_S14_S18_S1A_T6_T7_T9_mT8_S1C_bDpT10_ENKUlT_T0_E_clISt17integral_constantIbLb1EES1O_IbLb0EEEEDaS1K_S1L_EUlS1K_E_NS1_11comp_targetILNS1_3genE4ELNS1_11target_archE910ELNS1_3gpuE8ELNS1_3repE0EEENS1_30default_config_static_selectorELNS0_4arch9wavefront6targetE0EEEvSY_.num_vgpr, 0
	.set _ZN7rocprim17ROCPRIM_400000_NS6detail17trampoline_kernelINS0_13select_configILj256ELj13ELNS0_17block_load_methodE3ELS4_3ELS4_3ELNS0_20block_scan_algorithmE0ELj4294967295EEENS1_25partition_config_selectorILNS1_17partition_subalgoE3EjNS0_10empty_typeEbEEZZNS1_14partition_implILS8_3ELb0ES6_jNS0_17counting_iteratorIjlEEPS9_SE_NS0_5tupleIJPjSE_EEENSF_IJSE_SE_EEES9_SG_JZNS1_25segmented_radix_sort_implINS0_14default_configELb0EPKfPfPKlPlN2at6native12_GLOBAL__N_18offset_tEEE10hipError_tPvRmT1_PNSt15iterator_traitsISY_E10value_typeET2_T3_PNSZ_IS14_E10value_typeET4_jRbjT5_S1A_jjP12ihipStream_tbEUljE_EEESV_SW_SX_S14_S18_S1A_T6_T7_T9_mT8_S1C_bDpT10_ENKUlT_T0_E_clISt17integral_constantIbLb1EES1O_IbLb0EEEEDaS1K_S1L_EUlS1K_E_NS1_11comp_targetILNS1_3genE4ELNS1_11target_archE910ELNS1_3gpuE8ELNS1_3repE0EEENS1_30default_config_static_selectorELNS0_4arch9wavefront6targetE0EEEvSY_.num_agpr, 0
	.set _ZN7rocprim17ROCPRIM_400000_NS6detail17trampoline_kernelINS0_13select_configILj256ELj13ELNS0_17block_load_methodE3ELS4_3ELS4_3ELNS0_20block_scan_algorithmE0ELj4294967295EEENS1_25partition_config_selectorILNS1_17partition_subalgoE3EjNS0_10empty_typeEbEEZZNS1_14partition_implILS8_3ELb0ES6_jNS0_17counting_iteratorIjlEEPS9_SE_NS0_5tupleIJPjSE_EEENSF_IJSE_SE_EEES9_SG_JZNS1_25segmented_radix_sort_implINS0_14default_configELb0EPKfPfPKlPlN2at6native12_GLOBAL__N_18offset_tEEE10hipError_tPvRmT1_PNSt15iterator_traitsISY_E10value_typeET2_T3_PNSZ_IS14_E10value_typeET4_jRbjT5_S1A_jjP12ihipStream_tbEUljE_EEESV_SW_SX_S14_S18_S1A_T6_T7_T9_mT8_S1C_bDpT10_ENKUlT_T0_E_clISt17integral_constantIbLb1EES1O_IbLb0EEEEDaS1K_S1L_EUlS1K_E_NS1_11comp_targetILNS1_3genE4ELNS1_11target_archE910ELNS1_3gpuE8ELNS1_3repE0EEENS1_30default_config_static_selectorELNS0_4arch9wavefront6targetE0EEEvSY_.numbered_sgpr, 0
	.set _ZN7rocprim17ROCPRIM_400000_NS6detail17trampoline_kernelINS0_13select_configILj256ELj13ELNS0_17block_load_methodE3ELS4_3ELS4_3ELNS0_20block_scan_algorithmE0ELj4294967295EEENS1_25partition_config_selectorILNS1_17partition_subalgoE3EjNS0_10empty_typeEbEEZZNS1_14partition_implILS8_3ELb0ES6_jNS0_17counting_iteratorIjlEEPS9_SE_NS0_5tupleIJPjSE_EEENSF_IJSE_SE_EEES9_SG_JZNS1_25segmented_radix_sort_implINS0_14default_configELb0EPKfPfPKlPlN2at6native12_GLOBAL__N_18offset_tEEE10hipError_tPvRmT1_PNSt15iterator_traitsISY_E10value_typeET2_T3_PNSZ_IS14_E10value_typeET4_jRbjT5_S1A_jjP12ihipStream_tbEUljE_EEESV_SW_SX_S14_S18_S1A_T6_T7_T9_mT8_S1C_bDpT10_ENKUlT_T0_E_clISt17integral_constantIbLb1EES1O_IbLb0EEEEDaS1K_S1L_EUlS1K_E_NS1_11comp_targetILNS1_3genE4ELNS1_11target_archE910ELNS1_3gpuE8ELNS1_3repE0EEENS1_30default_config_static_selectorELNS0_4arch9wavefront6targetE0EEEvSY_.num_named_barrier, 0
	.set _ZN7rocprim17ROCPRIM_400000_NS6detail17trampoline_kernelINS0_13select_configILj256ELj13ELNS0_17block_load_methodE3ELS4_3ELS4_3ELNS0_20block_scan_algorithmE0ELj4294967295EEENS1_25partition_config_selectorILNS1_17partition_subalgoE3EjNS0_10empty_typeEbEEZZNS1_14partition_implILS8_3ELb0ES6_jNS0_17counting_iteratorIjlEEPS9_SE_NS0_5tupleIJPjSE_EEENSF_IJSE_SE_EEES9_SG_JZNS1_25segmented_radix_sort_implINS0_14default_configELb0EPKfPfPKlPlN2at6native12_GLOBAL__N_18offset_tEEE10hipError_tPvRmT1_PNSt15iterator_traitsISY_E10value_typeET2_T3_PNSZ_IS14_E10value_typeET4_jRbjT5_S1A_jjP12ihipStream_tbEUljE_EEESV_SW_SX_S14_S18_S1A_T6_T7_T9_mT8_S1C_bDpT10_ENKUlT_T0_E_clISt17integral_constantIbLb1EES1O_IbLb0EEEEDaS1K_S1L_EUlS1K_E_NS1_11comp_targetILNS1_3genE4ELNS1_11target_archE910ELNS1_3gpuE8ELNS1_3repE0EEENS1_30default_config_static_selectorELNS0_4arch9wavefront6targetE0EEEvSY_.private_seg_size, 0
	.set _ZN7rocprim17ROCPRIM_400000_NS6detail17trampoline_kernelINS0_13select_configILj256ELj13ELNS0_17block_load_methodE3ELS4_3ELS4_3ELNS0_20block_scan_algorithmE0ELj4294967295EEENS1_25partition_config_selectorILNS1_17partition_subalgoE3EjNS0_10empty_typeEbEEZZNS1_14partition_implILS8_3ELb0ES6_jNS0_17counting_iteratorIjlEEPS9_SE_NS0_5tupleIJPjSE_EEENSF_IJSE_SE_EEES9_SG_JZNS1_25segmented_radix_sort_implINS0_14default_configELb0EPKfPfPKlPlN2at6native12_GLOBAL__N_18offset_tEEE10hipError_tPvRmT1_PNSt15iterator_traitsISY_E10value_typeET2_T3_PNSZ_IS14_E10value_typeET4_jRbjT5_S1A_jjP12ihipStream_tbEUljE_EEESV_SW_SX_S14_S18_S1A_T6_T7_T9_mT8_S1C_bDpT10_ENKUlT_T0_E_clISt17integral_constantIbLb1EES1O_IbLb0EEEEDaS1K_S1L_EUlS1K_E_NS1_11comp_targetILNS1_3genE4ELNS1_11target_archE910ELNS1_3gpuE8ELNS1_3repE0EEENS1_30default_config_static_selectorELNS0_4arch9wavefront6targetE0EEEvSY_.uses_vcc, 0
	.set _ZN7rocprim17ROCPRIM_400000_NS6detail17trampoline_kernelINS0_13select_configILj256ELj13ELNS0_17block_load_methodE3ELS4_3ELS4_3ELNS0_20block_scan_algorithmE0ELj4294967295EEENS1_25partition_config_selectorILNS1_17partition_subalgoE3EjNS0_10empty_typeEbEEZZNS1_14partition_implILS8_3ELb0ES6_jNS0_17counting_iteratorIjlEEPS9_SE_NS0_5tupleIJPjSE_EEENSF_IJSE_SE_EEES9_SG_JZNS1_25segmented_radix_sort_implINS0_14default_configELb0EPKfPfPKlPlN2at6native12_GLOBAL__N_18offset_tEEE10hipError_tPvRmT1_PNSt15iterator_traitsISY_E10value_typeET2_T3_PNSZ_IS14_E10value_typeET4_jRbjT5_S1A_jjP12ihipStream_tbEUljE_EEESV_SW_SX_S14_S18_S1A_T6_T7_T9_mT8_S1C_bDpT10_ENKUlT_T0_E_clISt17integral_constantIbLb1EES1O_IbLb0EEEEDaS1K_S1L_EUlS1K_E_NS1_11comp_targetILNS1_3genE4ELNS1_11target_archE910ELNS1_3gpuE8ELNS1_3repE0EEENS1_30default_config_static_selectorELNS0_4arch9wavefront6targetE0EEEvSY_.uses_flat_scratch, 0
	.set _ZN7rocprim17ROCPRIM_400000_NS6detail17trampoline_kernelINS0_13select_configILj256ELj13ELNS0_17block_load_methodE3ELS4_3ELS4_3ELNS0_20block_scan_algorithmE0ELj4294967295EEENS1_25partition_config_selectorILNS1_17partition_subalgoE3EjNS0_10empty_typeEbEEZZNS1_14partition_implILS8_3ELb0ES6_jNS0_17counting_iteratorIjlEEPS9_SE_NS0_5tupleIJPjSE_EEENSF_IJSE_SE_EEES9_SG_JZNS1_25segmented_radix_sort_implINS0_14default_configELb0EPKfPfPKlPlN2at6native12_GLOBAL__N_18offset_tEEE10hipError_tPvRmT1_PNSt15iterator_traitsISY_E10value_typeET2_T3_PNSZ_IS14_E10value_typeET4_jRbjT5_S1A_jjP12ihipStream_tbEUljE_EEESV_SW_SX_S14_S18_S1A_T6_T7_T9_mT8_S1C_bDpT10_ENKUlT_T0_E_clISt17integral_constantIbLb1EES1O_IbLb0EEEEDaS1K_S1L_EUlS1K_E_NS1_11comp_targetILNS1_3genE4ELNS1_11target_archE910ELNS1_3gpuE8ELNS1_3repE0EEENS1_30default_config_static_selectorELNS0_4arch9wavefront6targetE0EEEvSY_.has_dyn_sized_stack, 0
	.set _ZN7rocprim17ROCPRIM_400000_NS6detail17trampoline_kernelINS0_13select_configILj256ELj13ELNS0_17block_load_methodE3ELS4_3ELS4_3ELNS0_20block_scan_algorithmE0ELj4294967295EEENS1_25partition_config_selectorILNS1_17partition_subalgoE3EjNS0_10empty_typeEbEEZZNS1_14partition_implILS8_3ELb0ES6_jNS0_17counting_iteratorIjlEEPS9_SE_NS0_5tupleIJPjSE_EEENSF_IJSE_SE_EEES9_SG_JZNS1_25segmented_radix_sort_implINS0_14default_configELb0EPKfPfPKlPlN2at6native12_GLOBAL__N_18offset_tEEE10hipError_tPvRmT1_PNSt15iterator_traitsISY_E10value_typeET2_T3_PNSZ_IS14_E10value_typeET4_jRbjT5_S1A_jjP12ihipStream_tbEUljE_EEESV_SW_SX_S14_S18_S1A_T6_T7_T9_mT8_S1C_bDpT10_ENKUlT_T0_E_clISt17integral_constantIbLb1EES1O_IbLb0EEEEDaS1K_S1L_EUlS1K_E_NS1_11comp_targetILNS1_3genE4ELNS1_11target_archE910ELNS1_3gpuE8ELNS1_3repE0EEENS1_30default_config_static_selectorELNS0_4arch9wavefront6targetE0EEEvSY_.has_recursion, 0
	.set _ZN7rocprim17ROCPRIM_400000_NS6detail17trampoline_kernelINS0_13select_configILj256ELj13ELNS0_17block_load_methodE3ELS4_3ELS4_3ELNS0_20block_scan_algorithmE0ELj4294967295EEENS1_25partition_config_selectorILNS1_17partition_subalgoE3EjNS0_10empty_typeEbEEZZNS1_14partition_implILS8_3ELb0ES6_jNS0_17counting_iteratorIjlEEPS9_SE_NS0_5tupleIJPjSE_EEENSF_IJSE_SE_EEES9_SG_JZNS1_25segmented_radix_sort_implINS0_14default_configELb0EPKfPfPKlPlN2at6native12_GLOBAL__N_18offset_tEEE10hipError_tPvRmT1_PNSt15iterator_traitsISY_E10value_typeET2_T3_PNSZ_IS14_E10value_typeET4_jRbjT5_S1A_jjP12ihipStream_tbEUljE_EEESV_SW_SX_S14_S18_S1A_T6_T7_T9_mT8_S1C_bDpT10_ENKUlT_T0_E_clISt17integral_constantIbLb1EES1O_IbLb0EEEEDaS1K_S1L_EUlS1K_E_NS1_11comp_targetILNS1_3genE4ELNS1_11target_archE910ELNS1_3gpuE8ELNS1_3repE0EEENS1_30default_config_static_selectorELNS0_4arch9wavefront6targetE0EEEvSY_.has_indirect_call, 0
	.section	.AMDGPU.csdata,"",@progbits
; Kernel info:
; codeLenInByte = 0
; TotalNumSgprs: 0
; NumVgprs: 0
; ScratchSize: 0
; MemoryBound: 0
; FloatMode: 240
; IeeeMode: 1
; LDSByteSize: 0 bytes/workgroup (compile time only)
; SGPRBlocks: 0
; VGPRBlocks: 0
; NumSGPRsForWavesPerEU: 1
; NumVGPRsForWavesPerEU: 1
; Occupancy: 16
; WaveLimiterHint : 0
; COMPUTE_PGM_RSRC2:SCRATCH_EN: 0
; COMPUTE_PGM_RSRC2:USER_SGPR: 6
; COMPUTE_PGM_RSRC2:TRAP_HANDLER: 0
; COMPUTE_PGM_RSRC2:TGID_X_EN: 1
; COMPUTE_PGM_RSRC2:TGID_Y_EN: 0
; COMPUTE_PGM_RSRC2:TGID_Z_EN: 0
; COMPUTE_PGM_RSRC2:TIDIG_COMP_CNT: 0
	.section	.text._ZN7rocprim17ROCPRIM_400000_NS6detail17trampoline_kernelINS0_13select_configILj256ELj13ELNS0_17block_load_methodE3ELS4_3ELS4_3ELNS0_20block_scan_algorithmE0ELj4294967295EEENS1_25partition_config_selectorILNS1_17partition_subalgoE3EjNS0_10empty_typeEbEEZZNS1_14partition_implILS8_3ELb0ES6_jNS0_17counting_iteratorIjlEEPS9_SE_NS0_5tupleIJPjSE_EEENSF_IJSE_SE_EEES9_SG_JZNS1_25segmented_radix_sort_implINS0_14default_configELb0EPKfPfPKlPlN2at6native12_GLOBAL__N_18offset_tEEE10hipError_tPvRmT1_PNSt15iterator_traitsISY_E10value_typeET2_T3_PNSZ_IS14_E10value_typeET4_jRbjT5_S1A_jjP12ihipStream_tbEUljE_EEESV_SW_SX_S14_S18_S1A_T6_T7_T9_mT8_S1C_bDpT10_ENKUlT_T0_E_clISt17integral_constantIbLb1EES1O_IbLb0EEEEDaS1K_S1L_EUlS1K_E_NS1_11comp_targetILNS1_3genE3ELNS1_11target_archE908ELNS1_3gpuE7ELNS1_3repE0EEENS1_30default_config_static_selectorELNS0_4arch9wavefront6targetE0EEEvSY_,"axG",@progbits,_ZN7rocprim17ROCPRIM_400000_NS6detail17trampoline_kernelINS0_13select_configILj256ELj13ELNS0_17block_load_methodE3ELS4_3ELS4_3ELNS0_20block_scan_algorithmE0ELj4294967295EEENS1_25partition_config_selectorILNS1_17partition_subalgoE3EjNS0_10empty_typeEbEEZZNS1_14partition_implILS8_3ELb0ES6_jNS0_17counting_iteratorIjlEEPS9_SE_NS0_5tupleIJPjSE_EEENSF_IJSE_SE_EEES9_SG_JZNS1_25segmented_radix_sort_implINS0_14default_configELb0EPKfPfPKlPlN2at6native12_GLOBAL__N_18offset_tEEE10hipError_tPvRmT1_PNSt15iterator_traitsISY_E10value_typeET2_T3_PNSZ_IS14_E10value_typeET4_jRbjT5_S1A_jjP12ihipStream_tbEUljE_EEESV_SW_SX_S14_S18_S1A_T6_T7_T9_mT8_S1C_bDpT10_ENKUlT_T0_E_clISt17integral_constantIbLb1EES1O_IbLb0EEEEDaS1K_S1L_EUlS1K_E_NS1_11comp_targetILNS1_3genE3ELNS1_11target_archE908ELNS1_3gpuE7ELNS1_3repE0EEENS1_30default_config_static_selectorELNS0_4arch9wavefront6targetE0EEEvSY_,comdat
	.globl	_ZN7rocprim17ROCPRIM_400000_NS6detail17trampoline_kernelINS0_13select_configILj256ELj13ELNS0_17block_load_methodE3ELS4_3ELS4_3ELNS0_20block_scan_algorithmE0ELj4294967295EEENS1_25partition_config_selectorILNS1_17partition_subalgoE3EjNS0_10empty_typeEbEEZZNS1_14partition_implILS8_3ELb0ES6_jNS0_17counting_iteratorIjlEEPS9_SE_NS0_5tupleIJPjSE_EEENSF_IJSE_SE_EEES9_SG_JZNS1_25segmented_radix_sort_implINS0_14default_configELb0EPKfPfPKlPlN2at6native12_GLOBAL__N_18offset_tEEE10hipError_tPvRmT1_PNSt15iterator_traitsISY_E10value_typeET2_T3_PNSZ_IS14_E10value_typeET4_jRbjT5_S1A_jjP12ihipStream_tbEUljE_EEESV_SW_SX_S14_S18_S1A_T6_T7_T9_mT8_S1C_bDpT10_ENKUlT_T0_E_clISt17integral_constantIbLb1EES1O_IbLb0EEEEDaS1K_S1L_EUlS1K_E_NS1_11comp_targetILNS1_3genE3ELNS1_11target_archE908ELNS1_3gpuE7ELNS1_3repE0EEENS1_30default_config_static_selectorELNS0_4arch9wavefront6targetE0EEEvSY_ ; -- Begin function _ZN7rocprim17ROCPRIM_400000_NS6detail17trampoline_kernelINS0_13select_configILj256ELj13ELNS0_17block_load_methodE3ELS4_3ELS4_3ELNS0_20block_scan_algorithmE0ELj4294967295EEENS1_25partition_config_selectorILNS1_17partition_subalgoE3EjNS0_10empty_typeEbEEZZNS1_14partition_implILS8_3ELb0ES6_jNS0_17counting_iteratorIjlEEPS9_SE_NS0_5tupleIJPjSE_EEENSF_IJSE_SE_EEES9_SG_JZNS1_25segmented_radix_sort_implINS0_14default_configELb0EPKfPfPKlPlN2at6native12_GLOBAL__N_18offset_tEEE10hipError_tPvRmT1_PNSt15iterator_traitsISY_E10value_typeET2_T3_PNSZ_IS14_E10value_typeET4_jRbjT5_S1A_jjP12ihipStream_tbEUljE_EEESV_SW_SX_S14_S18_S1A_T6_T7_T9_mT8_S1C_bDpT10_ENKUlT_T0_E_clISt17integral_constantIbLb1EES1O_IbLb0EEEEDaS1K_S1L_EUlS1K_E_NS1_11comp_targetILNS1_3genE3ELNS1_11target_archE908ELNS1_3gpuE7ELNS1_3repE0EEENS1_30default_config_static_selectorELNS0_4arch9wavefront6targetE0EEEvSY_
	.p2align	8
	.type	_ZN7rocprim17ROCPRIM_400000_NS6detail17trampoline_kernelINS0_13select_configILj256ELj13ELNS0_17block_load_methodE3ELS4_3ELS4_3ELNS0_20block_scan_algorithmE0ELj4294967295EEENS1_25partition_config_selectorILNS1_17partition_subalgoE3EjNS0_10empty_typeEbEEZZNS1_14partition_implILS8_3ELb0ES6_jNS0_17counting_iteratorIjlEEPS9_SE_NS0_5tupleIJPjSE_EEENSF_IJSE_SE_EEES9_SG_JZNS1_25segmented_radix_sort_implINS0_14default_configELb0EPKfPfPKlPlN2at6native12_GLOBAL__N_18offset_tEEE10hipError_tPvRmT1_PNSt15iterator_traitsISY_E10value_typeET2_T3_PNSZ_IS14_E10value_typeET4_jRbjT5_S1A_jjP12ihipStream_tbEUljE_EEESV_SW_SX_S14_S18_S1A_T6_T7_T9_mT8_S1C_bDpT10_ENKUlT_T0_E_clISt17integral_constantIbLb1EES1O_IbLb0EEEEDaS1K_S1L_EUlS1K_E_NS1_11comp_targetILNS1_3genE3ELNS1_11target_archE908ELNS1_3gpuE7ELNS1_3repE0EEENS1_30default_config_static_selectorELNS0_4arch9wavefront6targetE0EEEvSY_,@function
_ZN7rocprim17ROCPRIM_400000_NS6detail17trampoline_kernelINS0_13select_configILj256ELj13ELNS0_17block_load_methodE3ELS4_3ELS4_3ELNS0_20block_scan_algorithmE0ELj4294967295EEENS1_25partition_config_selectorILNS1_17partition_subalgoE3EjNS0_10empty_typeEbEEZZNS1_14partition_implILS8_3ELb0ES6_jNS0_17counting_iteratorIjlEEPS9_SE_NS0_5tupleIJPjSE_EEENSF_IJSE_SE_EEES9_SG_JZNS1_25segmented_radix_sort_implINS0_14default_configELb0EPKfPfPKlPlN2at6native12_GLOBAL__N_18offset_tEEE10hipError_tPvRmT1_PNSt15iterator_traitsISY_E10value_typeET2_T3_PNSZ_IS14_E10value_typeET4_jRbjT5_S1A_jjP12ihipStream_tbEUljE_EEESV_SW_SX_S14_S18_S1A_T6_T7_T9_mT8_S1C_bDpT10_ENKUlT_T0_E_clISt17integral_constantIbLb1EES1O_IbLb0EEEEDaS1K_S1L_EUlS1K_E_NS1_11comp_targetILNS1_3genE3ELNS1_11target_archE908ELNS1_3gpuE7ELNS1_3repE0EEENS1_30default_config_static_selectorELNS0_4arch9wavefront6targetE0EEEvSY_: ; @_ZN7rocprim17ROCPRIM_400000_NS6detail17trampoline_kernelINS0_13select_configILj256ELj13ELNS0_17block_load_methodE3ELS4_3ELS4_3ELNS0_20block_scan_algorithmE0ELj4294967295EEENS1_25partition_config_selectorILNS1_17partition_subalgoE3EjNS0_10empty_typeEbEEZZNS1_14partition_implILS8_3ELb0ES6_jNS0_17counting_iteratorIjlEEPS9_SE_NS0_5tupleIJPjSE_EEENSF_IJSE_SE_EEES9_SG_JZNS1_25segmented_radix_sort_implINS0_14default_configELb0EPKfPfPKlPlN2at6native12_GLOBAL__N_18offset_tEEE10hipError_tPvRmT1_PNSt15iterator_traitsISY_E10value_typeET2_T3_PNSZ_IS14_E10value_typeET4_jRbjT5_S1A_jjP12ihipStream_tbEUljE_EEESV_SW_SX_S14_S18_S1A_T6_T7_T9_mT8_S1C_bDpT10_ENKUlT_T0_E_clISt17integral_constantIbLb1EES1O_IbLb0EEEEDaS1K_S1L_EUlS1K_E_NS1_11comp_targetILNS1_3genE3ELNS1_11target_archE908ELNS1_3gpuE7ELNS1_3repE0EEENS1_30default_config_static_selectorELNS0_4arch9wavefront6targetE0EEEvSY_
; %bb.0:
	.section	.rodata,"a",@progbits
	.p2align	6, 0x0
	.amdhsa_kernel _ZN7rocprim17ROCPRIM_400000_NS6detail17trampoline_kernelINS0_13select_configILj256ELj13ELNS0_17block_load_methodE3ELS4_3ELS4_3ELNS0_20block_scan_algorithmE0ELj4294967295EEENS1_25partition_config_selectorILNS1_17partition_subalgoE3EjNS0_10empty_typeEbEEZZNS1_14partition_implILS8_3ELb0ES6_jNS0_17counting_iteratorIjlEEPS9_SE_NS0_5tupleIJPjSE_EEENSF_IJSE_SE_EEES9_SG_JZNS1_25segmented_radix_sort_implINS0_14default_configELb0EPKfPfPKlPlN2at6native12_GLOBAL__N_18offset_tEEE10hipError_tPvRmT1_PNSt15iterator_traitsISY_E10value_typeET2_T3_PNSZ_IS14_E10value_typeET4_jRbjT5_S1A_jjP12ihipStream_tbEUljE_EEESV_SW_SX_S14_S18_S1A_T6_T7_T9_mT8_S1C_bDpT10_ENKUlT_T0_E_clISt17integral_constantIbLb1EES1O_IbLb0EEEEDaS1K_S1L_EUlS1K_E_NS1_11comp_targetILNS1_3genE3ELNS1_11target_archE908ELNS1_3gpuE7ELNS1_3repE0EEENS1_30default_config_static_selectorELNS0_4arch9wavefront6targetE0EEEvSY_
		.amdhsa_group_segment_fixed_size 0
		.amdhsa_private_segment_fixed_size 0
		.amdhsa_kernarg_size 144
		.amdhsa_user_sgpr_count 6
		.amdhsa_user_sgpr_private_segment_buffer 1
		.amdhsa_user_sgpr_dispatch_ptr 0
		.amdhsa_user_sgpr_queue_ptr 0
		.amdhsa_user_sgpr_kernarg_segment_ptr 1
		.amdhsa_user_sgpr_dispatch_id 0
		.amdhsa_user_sgpr_flat_scratch_init 0
		.amdhsa_user_sgpr_private_segment_size 0
		.amdhsa_wavefront_size32 1
		.amdhsa_uses_dynamic_stack 0
		.amdhsa_system_sgpr_private_segment_wavefront_offset 0
		.amdhsa_system_sgpr_workgroup_id_x 1
		.amdhsa_system_sgpr_workgroup_id_y 0
		.amdhsa_system_sgpr_workgroup_id_z 0
		.amdhsa_system_sgpr_workgroup_info 0
		.amdhsa_system_vgpr_workitem_id 0
		.amdhsa_next_free_vgpr 1
		.amdhsa_next_free_sgpr 1
		.amdhsa_reserve_vcc 0
		.amdhsa_reserve_flat_scratch 0
		.amdhsa_float_round_mode_32 0
		.amdhsa_float_round_mode_16_64 0
		.amdhsa_float_denorm_mode_32 3
		.amdhsa_float_denorm_mode_16_64 3
		.amdhsa_dx10_clamp 1
		.amdhsa_ieee_mode 1
		.amdhsa_fp16_overflow 0
		.amdhsa_workgroup_processor_mode 1
		.amdhsa_memory_ordered 1
		.amdhsa_forward_progress 1
		.amdhsa_shared_vgpr_count 0
		.amdhsa_exception_fp_ieee_invalid_op 0
		.amdhsa_exception_fp_denorm_src 0
		.amdhsa_exception_fp_ieee_div_zero 0
		.amdhsa_exception_fp_ieee_overflow 0
		.amdhsa_exception_fp_ieee_underflow 0
		.amdhsa_exception_fp_ieee_inexact 0
		.amdhsa_exception_int_div_zero 0
	.end_amdhsa_kernel
	.section	.text._ZN7rocprim17ROCPRIM_400000_NS6detail17trampoline_kernelINS0_13select_configILj256ELj13ELNS0_17block_load_methodE3ELS4_3ELS4_3ELNS0_20block_scan_algorithmE0ELj4294967295EEENS1_25partition_config_selectorILNS1_17partition_subalgoE3EjNS0_10empty_typeEbEEZZNS1_14partition_implILS8_3ELb0ES6_jNS0_17counting_iteratorIjlEEPS9_SE_NS0_5tupleIJPjSE_EEENSF_IJSE_SE_EEES9_SG_JZNS1_25segmented_radix_sort_implINS0_14default_configELb0EPKfPfPKlPlN2at6native12_GLOBAL__N_18offset_tEEE10hipError_tPvRmT1_PNSt15iterator_traitsISY_E10value_typeET2_T3_PNSZ_IS14_E10value_typeET4_jRbjT5_S1A_jjP12ihipStream_tbEUljE_EEESV_SW_SX_S14_S18_S1A_T6_T7_T9_mT8_S1C_bDpT10_ENKUlT_T0_E_clISt17integral_constantIbLb1EES1O_IbLb0EEEEDaS1K_S1L_EUlS1K_E_NS1_11comp_targetILNS1_3genE3ELNS1_11target_archE908ELNS1_3gpuE7ELNS1_3repE0EEENS1_30default_config_static_selectorELNS0_4arch9wavefront6targetE0EEEvSY_,"axG",@progbits,_ZN7rocprim17ROCPRIM_400000_NS6detail17trampoline_kernelINS0_13select_configILj256ELj13ELNS0_17block_load_methodE3ELS4_3ELS4_3ELNS0_20block_scan_algorithmE0ELj4294967295EEENS1_25partition_config_selectorILNS1_17partition_subalgoE3EjNS0_10empty_typeEbEEZZNS1_14partition_implILS8_3ELb0ES6_jNS0_17counting_iteratorIjlEEPS9_SE_NS0_5tupleIJPjSE_EEENSF_IJSE_SE_EEES9_SG_JZNS1_25segmented_radix_sort_implINS0_14default_configELb0EPKfPfPKlPlN2at6native12_GLOBAL__N_18offset_tEEE10hipError_tPvRmT1_PNSt15iterator_traitsISY_E10value_typeET2_T3_PNSZ_IS14_E10value_typeET4_jRbjT5_S1A_jjP12ihipStream_tbEUljE_EEESV_SW_SX_S14_S18_S1A_T6_T7_T9_mT8_S1C_bDpT10_ENKUlT_T0_E_clISt17integral_constantIbLb1EES1O_IbLb0EEEEDaS1K_S1L_EUlS1K_E_NS1_11comp_targetILNS1_3genE3ELNS1_11target_archE908ELNS1_3gpuE7ELNS1_3repE0EEENS1_30default_config_static_selectorELNS0_4arch9wavefront6targetE0EEEvSY_,comdat
.Lfunc_end1407:
	.size	_ZN7rocprim17ROCPRIM_400000_NS6detail17trampoline_kernelINS0_13select_configILj256ELj13ELNS0_17block_load_methodE3ELS4_3ELS4_3ELNS0_20block_scan_algorithmE0ELj4294967295EEENS1_25partition_config_selectorILNS1_17partition_subalgoE3EjNS0_10empty_typeEbEEZZNS1_14partition_implILS8_3ELb0ES6_jNS0_17counting_iteratorIjlEEPS9_SE_NS0_5tupleIJPjSE_EEENSF_IJSE_SE_EEES9_SG_JZNS1_25segmented_radix_sort_implINS0_14default_configELb0EPKfPfPKlPlN2at6native12_GLOBAL__N_18offset_tEEE10hipError_tPvRmT1_PNSt15iterator_traitsISY_E10value_typeET2_T3_PNSZ_IS14_E10value_typeET4_jRbjT5_S1A_jjP12ihipStream_tbEUljE_EEESV_SW_SX_S14_S18_S1A_T6_T7_T9_mT8_S1C_bDpT10_ENKUlT_T0_E_clISt17integral_constantIbLb1EES1O_IbLb0EEEEDaS1K_S1L_EUlS1K_E_NS1_11comp_targetILNS1_3genE3ELNS1_11target_archE908ELNS1_3gpuE7ELNS1_3repE0EEENS1_30default_config_static_selectorELNS0_4arch9wavefront6targetE0EEEvSY_, .Lfunc_end1407-_ZN7rocprim17ROCPRIM_400000_NS6detail17trampoline_kernelINS0_13select_configILj256ELj13ELNS0_17block_load_methodE3ELS4_3ELS4_3ELNS0_20block_scan_algorithmE0ELj4294967295EEENS1_25partition_config_selectorILNS1_17partition_subalgoE3EjNS0_10empty_typeEbEEZZNS1_14partition_implILS8_3ELb0ES6_jNS0_17counting_iteratorIjlEEPS9_SE_NS0_5tupleIJPjSE_EEENSF_IJSE_SE_EEES9_SG_JZNS1_25segmented_radix_sort_implINS0_14default_configELb0EPKfPfPKlPlN2at6native12_GLOBAL__N_18offset_tEEE10hipError_tPvRmT1_PNSt15iterator_traitsISY_E10value_typeET2_T3_PNSZ_IS14_E10value_typeET4_jRbjT5_S1A_jjP12ihipStream_tbEUljE_EEESV_SW_SX_S14_S18_S1A_T6_T7_T9_mT8_S1C_bDpT10_ENKUlT_T0_E_clISt17integral_constantIbLb1EES1O_IbLb0EEEEDaS1K_S1L_EUlS1K_E_NS1_11comp_targetILNS1_3genE3ELNS1_11target_archE908ELNS1_3gpuE7ELNS1_3repE0EEENS1_30default_config_static_selectorELNS0_4arch9wavefront6targetE0EEEvSY_
                                        ; -- End function
	.set _ZN7rocprim17ROCPRIM_400000_NS6detail17trampoline_kernelINS0_13select_configILj256ELj13ELNS0_17block_load_methodE3ELS4_3ELS4_3ELNS0_20block_scan_algorithmE0ELj4294967295EEENS1_25partition_config_selectorILNS1_17partition_subalgoE3EjNS0_10empty_typeEbEEZZNS1_14partition_implILS8_3ELb0ES6_jNS0_17counting_iteratorIjlEEPS9_SE_NS0_5tupleIJPjSE_EEENSF_IJSE_SE_EEES9_SG_JZNS1_25segmented_radix_sort_implINS0_14default_configELb0EPKfPfPKlPlN2at6native12_GLOBAL__N_18offset_tEEE10hipError_tPvRmT1_PNSt15iterator_traitsISY_E10value_typeET2_T3_PNSZ_IS14_E10value_typeET4_jRbjT5_S1A_jjP12ihipStream_tbEUljE_EEESV_SW_SX_S14_S18_S1A_T6_T7_T9_mT8_S1C_bDpT10_ENKUlT_T0_E_clISt17integral_constantIbLb1EES1O_IbLb0EEEEDaS1K_S1L_EUlS1K_E_NS1_11comp_targetILNS1_3genE3ELNS1_11target_archE908ELNS1_3gpuE7ELNS1_3repE0EEENS1_30default_config_static_selectorELNS0_4arch9wavefront6targetE0EEEvSY_.num_vgpr, 0
	.set _ZN7rocprim17ROCPRIM_400000_NS6detail17trampoline_kernelINS0_13select_configILj256ELj13ELNS0_17block_load_methodE3ELS4_3ELS4_3ELNS0_20block_scan_algorithmE0ELj4294967295EEENS1_25partition_config_selectorILNS1_17partition_subalgoE3EjNS0_10empty_typeEbEEZZNS1_14partition_implILS8_3ELb0ES6_jNS0_17counting_iteratorIjlEEPS9_SE_NS0_5tupleIJPjSE_EEENSF_IJSE_SE_EEES9_SG_JZNS1_25segmented_radix_sort_implINS0_14default_configELb0EPKfPfPKlPlN2at6native12_GLOBAL__N_18offset_tEEE10hipError_tPvRmT1_PNSt15iterator_traitsISY_E10value_typeET2_T3_PNSZ_IS14_E10value_typeET4_jRbjT5_S1A_jjP12ihipStream_tbEUljE_EEESV_SW_SX_S14_S18_S1A_T6_T7_T9_mT8_S1C_bDpT10_ENKUlT_T0_E_clISt17integral_constantIbLb1EES1O_IbLb0EEEEDaS1K_S1L_EUlS1K_E_NS1_11comp_targetILNS1_3genE3ELNS1_11target_archE908ELNS1_3gpuE7ELNS1_3repE0EEENS1_30default_config_static_selectorELNS0_4arch9wavefront6targetE0EEEvSY_.num_agpr, 0
	.set _ZN7rocprim17ROCPRIM_400000_NS6detail17trampoline_kernelINS0_13select_configILj256ELj13ELNS0_17block_load_methodE3ELS4_3ELS4_3ELNS0_20block_scan_algorithmE0ELj4294967295EEENS1_25partition_config_selectorILNS1_17partition_subalgoE3EjNS0_10empty_typeEbEEZZNS1_14partition_implILS8_3ELb0ES6_jNS0_17counting_iteratorIjlEEPS9_SE_NS0_5tupleIJPjSE_EEENSF_IJSE_SE_EEES9_SG_JZNS1_25segmented_radix_sort_implINS0_14default_configELb0EPKfPfPKlPlN2at6native12_GLOBAL__N_18offset_tEEE10hipError_tPvRmT1_PNSt15iterator_traitsISY_E10value_typeET2_T3_PNSZ_IS14_E10value_typeET4_jRbjT5_S1A_jjP12ihipStream_tbEUljE_EEESV_SW_SX_S14_S18_S1A_T6_T7_T9_mT8_S1C_bDpT10_ENKUlT_T0_E_clISt17integral_constantIbLb1EES1O_IbLb0EEEEDaS1K_S1L_EUlS1K_E_NS1_11comp_targetILNS1_3genE3ELNS1_11target_archE908ELNS1_3gpuE7ELNS1_3repE0EEENS1_30default_config_static_selectorELNS0_4arch9wavefront6targetE0EEEvSY_.numbered_sgpr, 0
	.set _ZN7rocprim17ROCPRIM_400000_NS6detail17trampoline_kernelINS0_13select_configILj256ELj13ELNS0_17block_load_methodE3ELS4_3ELS4_3ELNS0_20block_scan_algorithmE0ELj4294967295EEENS1_25partition_config_selectorILNS1_17partition_subalgoE3EjNS0_10empty_typeEbEEZZNS1_14partition_implILS8_3ELb0ES6_jNS0_17counting_iteratorIjlEEPS9_SE_NS0_5tupleIJPjSE_EEENSF_IJSE_SE_EEES9_SG_JZNS1_25segmented_radix_sort_implINS0_14default_configELb0EPKfPfPKlPlN2at6native12_GLOBAL__N_18offset_tEEE10hipError_tPvRmT1_PNSt15iterator_traitsISY_E10value_typeET2_T3_PNSZ_IS14_E10value_typeET4_jRbjT5_S1A_jjP12ihipStream_tbEUljE_EEESV_SW_SX_S14_S18_S1A_T6_T7_T9_mT8_S1C_bDpT10_ENKUlT_T0_E_clISt17integral_constantIbLb1EES1O_IbLb0EEEEDaS1K_S1L_EUlS1K_E_NS1_11comp_targetILNS1_3genE3ELNS1_11target_archE908ELNS1_3gpuE7ELNS1_3repE0EEENS1_30default_config_static_selectorELNS0_4arch9wavefront6targetE0EEEvSY_.num_named_barrier, 0
	.set _ZN7rocprim17ROCPRIM_400000_NS6detail17trampoline_kernelINS0_13select_configILj256ELj13ELNS0_17block_load_methodE3ELS4_3ELS4_3ELNS0_20block_scan_algorithmE0ELj4294967295EEENS1_25partition_config_selectorILNS1_17partition_subalgoE3EjNS0_10empty_typeEbEEZZNS1_14partition_implILS8_3ELb0ES6_jNS0_17counting_iteratorIjlEEPS9_SE_NS0_5tupleIJPjSE_EEENSF_IJSE_SE_EEES9_SG_JZNS1_25segmented_radix_sort_implINS0_14default_configELb0EPKfPfPKlPlN2at6native12_GLOBAL__N_18offset_tEEE10hipError_tPvRmT1_PNSt15iterator_traitsISY_E10value_typeET2_T3_PNSZ_IS14_E10value_typeET4_jRbjT5_S1A_jjP12ihipStream_tbEUljE_EEESV_SW_SX_S14_S18_S1A_T6_T7_T9_mT8_S1C_bDpT10_ENKUlT_T0_E_clISt17integral_constantIbLb1EES1O_IbLb0EEEEDaS1K_S1L_EUlS1K_E_NS1_11comp_targetILNS1_3genE3ELNS1_11target_archE908ELNS1_3gpuE7ELNS1_3repE0EEENS1_30default_config_static_selectorELNS0_4arch9wavefront6targetE0EEEvSY_.private_seg_size, 0
	.set _ZN7rocprim17ROCPRIM_400000_NS6detail17trampoline_kernelINS0_13select_configILj256ELj13ELNS0_17block_load_methodE3ELS4_3ELS4_3ELNS0_20block_scan_algorithmE0ELj4294967295EEENS1_25partition_config_selectorILNS1_17partition_subalgoE3EjNS0_10empty_typeEbEEZZNS1_14partition_implILS8_3ELb0ES6_jNS0_17counting_iteratorIjlEEPS9_SE_NS0_5tupleIJPjSE_EEENSF_IJSE_SE_EEES9_SG_JZNS1_25segmented_radix_sort_implINS0_14default_configELb0EPKfPfPKlPlN2at6native12_GLOBAL__N_18offset_tEEE10hipError_tPvRmT1_PNSt15iterator_traitsISY_E10value_typeET2_T3_PNSZ_IS14_E10value_typeET4_jRbjT5_S1A_jjP12ihipStream_tbEUljE_EEESV_SW_SX_S14_S18_S1A_T6_T7_T9_mT8_S1C_bDpT10_ENKUlT_T0_E_clISt17integral_constantIbLb1EES1O_IbLb0EEEEDaS1K_S1L_EUlS1K_E_NS1_11comp_targetILNS1_3genE3ELNS1_11target_archE908ELNS1_3gpuE7ELNS1_3repE0EEENS1_30default_config_static_selectorELNS0_4arch9wavefront6targetE0EEEvSY_.uses_vcc, 0
	.set _ZN7rocprim17ROCPRIM_400000_NS6detail17trampoline_kernelINS0_13select_configILj256ELj13ELNS0_17block_load_methodE3ELS4_3ELS4_3ELNS0_20block_scan_algorithmE0ELj4294967295EEENS1_25partition_config_selectorILNS1_17partition_subalgoE3EjNS0_10empty_typeEbEEZZNS1_14partition_implILS8_3ELb0ES6_jNS0_17counting_iteratorIjlEEPS9_SE_NS0_5tupleIJPjSE_EEENSF_IJSE_SE_EEES9_SG_JZNS1_25segmented_radix_sort_implINS0_14default_configELb0EPKfPfPKlPlN2at6native12_GLOBAL__N_18offset_tEEE10hipError_tPvRmT1_PNSt15iterator_traitsISY_E10value_typeET2_T3_PNSZ_IS14_E10value_typeET4_jRbjT5_S1A_jjP12ihipStream_tbEUljE_EEESV_SW_SX_S14_S18_S1A_T6_T7_T9_mT8_S1C_bDpT10_ENKUlT_T0_E_clISt17integral_constantIbLb1EES1O_IbLb0EEEEDaS1K_S1L_EUlS1K_E_NS1_11comp_targetILNS1_3genE3ELNS1_11target_archE908ELNS1_3gpuE7ELNS1_3repE0EEENS1_30default_config_static_selectorELNS0_4arch9wavefront6targetE0EEEvSY_.uses_flat_scratch, 0
	.set _ZN7rocprim17ROCPRIM_400000_NS6detail17trampoline_kernelINS0_13select_configILj256ELj13ELNS0_17block_load_methodE3ELS4_3ELS4_3ELNS0_20block_scan_algorithmE0ELj4294967295EEENS1_25partition_config_selectorILNS1_17partition_subalgoE3EjNS0_10empty_typeEbEEZZNS1_14partition_implILS8_3ELb0ES6_jNS0_17counting_iteratorIjlEEPS9_SE_NS0_5tupleIJPjSE_EEENSF_IJSE_SE_EEES9_SG_JZNS1_25segmented_radix_sort_implINS0_14default_configELb0EPKfPfPKlPlN2at6native12_GLOBAL__N_18offset_tEEE10hipError_tPvRmT1_PNSt15iterator_traitsISY_E10value_typeET2_T3_PNSZ_IS14_E10value_typeET4_jRbjT5_S1A_jjP12ihipStream_tbEUljE_EEESV_SW_SX_S14_S18_S1A_T6_T7_T9_mT8_S1C_bDpT10_ENKUlT_T0_E_clISt17integral_constantIbLb1EES1O_IbLb0EEEEDaS1K_S1L_EUlS1K_E_NS1_11comp_targetILNS1_3genE3ELNS1_11target_archE908ELNS1_3gpuE7ELNS1_3repE0EEENS1_30default_config_static_selectorELNS0_4arch9wavefront6targetE0EEEvSY_.has_dyn_sized_stack, 0
	.set _ZN7rocprim17ROCPRIM_400000_NS6detail17trampoline_kernelINS0_13select_configILj256ELj13ELNS0_17block_load_methodE3ELS4_3ELS4_3ELNS0_20block_scan_algorithmE0ELj4294967295EEENS1_25partition_config_selectorILNS1_17partition_subalgoE3EjNS0_10empty_typeEbEEZZNS1_14partition_implILS8_3ELb0ES6_jNS0_17counting_iteratorIjlEEPS9_SE_NS0_5tupleIJPjSE_EEENSF_IJSE_SE_EEES9_SG_JZNS1_25segmented_radix_sort_implINS0_14default_configELb0EPKfPfPKlPlN2at6native12_GLOBAL__N_18offset_tEEE10hipError_tPvRmT1_PNSt15iterator_traitsISY_E10value_typeET2_T3_PNSZ_IS14_E10value_typeET4_jRbjT5_S1A_jjP12ihipStream_tbEUljE_EEESV_SW_SX_S14_S18_S1A_T6_T7_T9_mT8_S1C_bDpT10_ENKUlT_T0_E_clISt17integral_constantIbLb1EES1O_IbLb0EEEEDaS1K_S1L_EUlS1K_E_NS1_11comp_targetILNS1_3genE3ELNS1_11target_archE908ELNS1_3gpuE7ELNS1_3repE0EEENS1_30default_config_static_selectorELNS0_4arch9wavefront6targetE0EEEvSY_.has_recursion, 0
	.set _ZN7rocprim17ROCPRIM_400000_NS6detail17trampoline_kernelINS0_13select_configILj256ELj13ELNS0_17block_load_methodE3ELS4_3ELS4_3ELNS0_20block_scan_algorithmE0ELj4294967295EEENS1_25partition_config_selectorILNS1_17partition_subalgoE3EjNS0_10empty_typeEbEEZZNS1_14partition_implILS8_3ELb0ES6_jNS0_17counting_iteratorIjlEEPS9_SE_NS0_5tupleIJPjSE_EEENSF_IJSE_SE_EEES9_SG_JZNS1_25segmented_radix_sort_implINS0_14default_configELb0EPKfPfPKlPlN2at6native12_GLOBAL__N_18offset_tEEE10hipError_tPvRmT1_PNSt15iterator_traitsISY_E10value_typeET2_T3_PNSZ_IS14_E10value_typeET4_jRbjT5_S1A_jjP12ihipStream_tbEUljE_EEESV_SW_SX_S14_S18_S1A_T6_T7_T9_mT8_S1C_bDpT10_ENKUlT_T0_E_clISt17integral_constantIbLb1EES1O_IbLb0EEEEDaS1K_S1L_EUlS1K_E_NS1_11comp_targetILNS1_3genE3ELNS1_11target_archE908ELNS1_3gpuE7ELNS1_3repE0EEENS1_30default_config_static_selectorELNS0_4arch9wavefront6targetE0EEEvSY_.has_indirect_call, 0
	.section	.AMDGPU.csdata,"",@progbits
; Kernel info:
; codeLenInByte = 0
; TotalNumSgprs: 0
; NumVgprs: 0
; ScratchSize: 0
; MemoryBound: 0
; FloatMode: 240
; IeeeMode: 1
; LDSByteSize: 0 bytes/workgroup (compile time only)
; SGPRBlocks: 0
; VGPRBlocks: 0
; NumSGPRsForWavesPerEU: 1
; NumVGPRsForWavesPerEU: 1
; Occupancy: 16
; WaveLimiterHint : 0
; COMPUTE_PGM_RSRC2:SCRATCH_EN: 0
; COMPUTE_PGM_RSRC2:USER_SGPR: 6
; COMPUTE_PGM_RSRC2:TRAP_HANDLER: 0
; COMPUTE_PGM_RSRC2:TGID_X_EN: 1
; COMPUTE_PGM_RSRC2:TGID_Y_EN: 0
; COMPUTE_PGM_RSRC2:TGID_Z_EN: 0
; COMPUTE_PGM_RSRC2:TIDIG_COMP_CNT: 0
	.section	.text._ZN7rocprim17ROCPRIM_400000_NS6detail17trampoline_kernelINS0_13select_configILj256ELj13ELNS0_17block_load_methodE3ELS4_3ELS4_3ELNS0_20block_scan_algorithmE0ELj4294967295EEENS1_25partition_config_selectorILNS1_17partition_subalgoE3EjNS0_10empty_typeEbEEZZNS1_14partition_implILS8_3ELb0ES6_jNS0_17counting_iteratorIjlEEPS9_SE_NS0_5tupleIJPjSE_EEENSF_IJSE_SE_EEES9_SG_JZNS1_25segmented_radix_sort_implINS0_14default_configELb0EPKfPfPKlPlN2at6native12_GLOBAL__N_18offset_tEEE10hipError_tPvRmT1_PNSt15iterator_traitsISY_E10value_typeET2_T3_PNSZ_IS14_E10value_typeET4_jRbjT5_S1A_jjP12ihipStream_tbEUljE_EEESV_SW_SX_S14_S18_S1A_T6_T7_T9_mT8_S1C_bDpT10_ENKUlT_T0_E_clISt17integral_constantIbLb1EES1O_IbLb0EEEEDaS1K_S1L_EUlS1K_E_NS1_11comp_targetILNS1_3genE2ELNS1_11target_archE906ELNS1_3gpuE6ELNS1_3repE0EEENS1_30default_config_static_selectorELNS0_4arch9wavefront6targetE0EEEvSY_,"axG",@progbits,_ZN7rocprim17ROCPRIM_400000_NS6detail17trampoline_kernelINS0_13select_configILj256ELj13ELNS0_17block_load_methodE3ELS4_3ELS4_3ELNS0_20block_scan_algorithmE0ELj4294967295EEENS1_25partition_config_selectorILNS1_17partition_subalgoE3EjNS0_10empty_typeEbEEZZNS1_14partition_implILS8_3ELb0ES6_jNS0_17counting_iteratorIjlEEPS9_SE_NS0_5tupleIJPjSE_EEENSF_IJSE_SE_EEES9_SG_JZNS1_25segmented_radix_sort_implINS0_14default_configELb0EPKfPfPKlPlN2at6native12_GLOBAL__N_18offset_tEEE10hipError_tPvRmT1_PNSt15iterator_traitsISY_E10value_typeET2_T3_PNSZ_IS14_E10value_typeET4_jRbjT5_S1A_jjP12ihipStream_tbEUljE_EEESV_SW_SX_S14_S18_S1A_T6_T7_T9_mT8_S1C_bDpT10_ENKUlT_T0_E_clISt17integral_constantIbLb1EES1O_IbLb0EEEEDaS1K_S1L_EUlS1K_E_NS1_11comp_targetILNS1_3genE2ELNS1_11target_archE906ELNS1_3gpuE6ELNS1_3repE0EEENS1_30default_config_static_selectorELNS0_4arch9wavefront6targetE0EEEvSY_,comdat
	.globl	_ZN7rocprim17ROCPRIM_400000_NS6detail17trampoline_kernelINS0_13select_configILj256ELj13ELNS0_17block_load_methodE3ELS4_3ELS4_3ELNS0_20block_scan_algorithmE0ELj4294967295EEENS1_25partition_config_selectorILNS1_17partition_subalgoE3EjNS0_10empty_typeEbEEZZNS1_14partition_implILS8_3ELb0ES6_jNS0_17counting_iteratorIjlEEPS9_SE_NS0_5tupleIJPjSE_EEENSF_IJSE_SE_EEES9_SG_JZNS1_25segmented_radix_sort_implINS0_14default_configELb0EPKfPfPKlPlN2at6native12_GLOBAL__N_18offset_tEEE10hipError_tPvRmT1_PNSt15iterator_traitsISY_E10value_typeET2_T3_PNSZ_IS14_E10value_typeET4_jRbjT5_S1A_jjP12ihipStream_tbEUljE_EEESV_SW_SX_S14_S18_S1A_T6_T7_T9_mT8_S1C_bDpT10_ENKUlT_T0_E_clISt17integral_constantIbLb1EES1O_IbLb0EEEEDaS1K_S1L_EUlS1K_E_NS1_11comp_targetILNS1_3genE2ELNS1_11target_archE906ELNS1_3gpuE6ELNS1_3repE0EEENS1_30default_config_static_selectorELNS0_4arch9wavefront6targetE0EEEvSY_ ; -- Begin function _ZN7rocprim17ROCPRIM_400000_NS6detail17trampoline_kernelINS0_13select_configILj256ELj13ELNS0_17block_load_methodE3ELS4_3ELS4_3ELNS0_20block_scan_algorithmE0ELj4294967295EEENS1_25partition_config_selectorILNS1_17partition_subalgoE3EjNS0_10empty_typeEbEEZZNS1_14partition_implILS8_3ELb0ES6_jNS0_17counting_iteratorIjlEEPS9_SE_NS0_5tupleIJPjSE_EEENSF_IJSE_SE_EEES9_SG_JZNS1_25segmented_radix_sort_implINS0_14default_configELb0EPKfPfPKlPlN2at6native12_GLOBAL__N_18offset_tEEE10hipError_tPvRmT1_PNSt15iterator_traitsISY_E10value_typeET2_T3_PNSZ_IS14_E10value_typeET4_jRbjT5_S1A_jjP12ihipStream_tbEUljE_EEESV_SW_SX_S14_S18_S1A_T6_T7_T9_mT8_S1C_bDpT10_ENKUlT_T0_E_clISt17integral_constantIbLb1EES1O_IbLb0EEEEDaS1K_S1L_EUlS1K_E_NS1_11comp_targetILNS1_3genE2ELNS1_11target_archE906ELNS1_3gpuE6ELNS1_3repE0EEENS1_30default_config_static_selectorELNS0_4arch9wavefront6targetE0EEEvSY_
	.p2align	8
	.type	_ZN7rocprim17ROCPRIM_400000_NS6detail17trampoline_kernelINS0_13select_configILj256ELj13ELNS0_17block_load_methodE3ELS4_3ELS4_3ELNS0_20block_scan_algorithmE0ELj4294967295EEENS1_25partition_config_selectorILNS1_17partition_subalgoE3EjNS0_10empty_typeEbEEZZNS1_14partition_implILS8_3ELb0ES6_jNS0_17counting_iteratorIjlEEPS9_SE_NS0_5tupleIJPjSE_EEENSF_IJSE_SE_EEES9_SG_JZNS1_25segmented_radix_sort_implINS0_14default_configELb0EPKfPfPKlPlN2at6native12_GLOBAL__N_18offset_tEEE10hipError_tPvRmT1_PNSt15iterator_traitsISY_E10value_typeET2_T3_PNSZ_IS14_E10value_typeET4_jRbjT5_S1A_jjP12ihipStream_tbEUljE_EEESV_SW_SX_S14_S18_S1A_T6_T7_T9_mT8_S1C_bDpT10_ENKUlT_T0_E_clISt17integral_constantIbLb1EES1O_IbLb0EEEEDaS1K_S1L_EUlS1K_E_NS1_11comp_targetILNS1_3genE2ELNS1_11target_archE906ELNS1_3gpuE6ELNS1_3repE0EEENS1_30default_config_static_selectorELNS0_4arch9wavefront6targetE0EEEvSY_,@function
_ZN7rocprim17ROCPRIM_400000_NS6detail17trampoline_kernelINS0_13select_configILj256ELj13ELNS0_17block_load_methodE3ELS4_3ELS4_3ELNS0_20block_scan_algorithmE0ELj4294967295EEENS1_25partition_config_selectorILNS1_17partition_subalgoE3EjNS0_10empty_typeEbEEZZNS1_14partition_implILS8_3ELb0ES6_jNS0_17counting_iteratorIjlEEPS9_SE_NS0_5tupleIJPjSE_EEENSF_IJSE_SE_EEES9_SG_JZNS1_25segmented_radix_sort_implINS0_14default_configELb0EPKfPfPKlPlN2at6native12_GLOBAL__N_18offset_tEEE10hipError_tPvRmT1_PNSt15iterator_traitsISY_E10value_typeET2_T3_PNSZ_IS14_E10value_typeET4_jRbjT5_S1A_jjP12ihipStream_tbEUljE_EEESV_SW_SX_S14_S18_S1A_T6_T7_T9_mT8_S1C_bDpT10_ENKUlT_T0_E_clISt17integral_constantIbLb1EES1O_IbLb0EEEEDaS1K_S1L_EUlS1K_E_NS1_11comp_targetILNS1_3genE2ELNS1_11target_archE906ELNS1_3gpuE6ELNS1_3repE0EEENS1_30default_config_static_selectorELNS0_4arch9wavefront6targetE0EEEvSY_: ; @_ZN7rocprim17ROCPRIM_400000_NS6detail17trampoline_kernelINS0_13select_configILj256ELj13ELNS0_17block_load_methodE3ELS4_3ELS4_3ELNS0_20block_scan_algorithmE0ELj4294967295EEENS1_25partition_config_selectorILNS1_17partition_subalgoE3EjNS0_10empty_typeEbEEZZNS1_14partition_implILS8_3ELb0ES6_jNS0_17counting_iteratorIjlEEPS9_SE_NS0_5tupleIJPjSE_EEENSF_IJSE_SE_EEES9_SG_JZNS1_25segmented_radix_sort_implINS0_14default_configELb0EPKfPfPKlPlN2at6native12_GLOBAL__N_18offset_tEEE10hipError_tPvRmT1_PNSt15iterator_traitsISY_E10value_typeET2_T3_PNSZ_IS14_E10value_typeET4_jRbjT5_S1A_jjP12ihipStream_tbEUljE_EEESV_SW_SX_S14_S18_S1A_T6_T7_T9_mT8_S1C_bDpT10_ENKUlT_T0_E_clISt17integral_constantIbLb1EES1O_IbLb0EEEEDaS1K_S1L_EUlS1K_E_NS1_11comp_targetILNS1_3genE2ELNS1_11target_archE906ELNS1_3gpuE6ELNS1_3repE0EEENS1_30default_config_static_selectorELNS0_4arch9wavefront6targetE0EEEvSY_
; %bb.0:
	.section	.rodata,"a",@progbits
	.p2align	6, 0x0
	.amdhsa_kernel _ZN7rocprim17ROCPRIM_400000_NS6detail17trampoline_kernelINS0_13select_configILj256ELj13ELNS0_17block_load_methodE3ELS4_3ELS4_3ELNS0_20block_scan_algorithmE0ELj4294967295EEENS1_25partition_config_selectorILNS1_17partition_subalgoE3EjNS0_10empty_typeEbEEZZNS1_14partition_implILS8_3ELb0ES6_jNS0_17counting_iteratorIjlEEPS9_SE_NS0_5tupleIJPjSE_EEENSF_IJSE_SE_EEES9_SG_JZNS1_25segmented_radix_sort_implINS0_14default_configELb0EPKfPfPKlPlN2at6native12_GLOBAL__N_18offset_tEEE10hipError_tPvRmT1_PNSt15iterator_traitsISY_E10value_typeET2_T3_PNSZ_IS14_E10value_typeET4_jRbjT5_S1A_jjP12ihipStream_tbEUljE_EEESV_SW_SX_S14_S18_S1A_T6_T7_T9_mT8_S1C_bDpT10_ENKUlT_T0_E_clISt17integral_constantIbLb1EES1O_IbLb0EEEEDaS1K_S1L_EUlS1K_E_NS1_11comp_targetILNS1_3genE2ELNS1_11target_archE906ELNS1_3gpuE6ELNS1_3repE0EEENS1_30default_config_static_selectorELNS0_4arch9wavefront6targetE0EEEvSY_
		.amdhsa_group_segment_fixed_size 0
		.amdhsa_private_segment_fixed_size 0
		.amdhsa_kernarg_size 144
		.amdhsa_user_sgpr_count 6
		.amdhsa_user_sgpr_private_segment_buffer 1
		.amdhsa_user_sgpr_dispatch_ptr 0
		.amdhsa_user_sgpr_queue_ptr 0
		.amdhsa_user_sgpr_kernarg_segment_ptr 1
		.amdhsa_user_sgpr_dispatch_id 0
		.amdhsa_user_sgpr_flat_scratch_init 0
		.amdhsa_user_sgpr_private_segment_size 0
		.amdhsa_wavefront_size32 1
		.amdhsa_uses_dynamic_stack 0
		.amdhsa_system_sgpr_private_segment_wavefront_offset 0
		.amdhsa_system_sgpr_workgroup_id_x 1
		.amdhsa_system_sgpr_workgroup_id_y 0
		.amdhsa_system_sgpr_workgroup_id_z 0
		.amdhsa_system_sgpr_workgroup_info 0
		.amdhsa_system_vgpr_workitem_id 0
		.amdhsa_next_free_vgpr 1
		.amdhsa_next_free_sgpr 1
		.amdhsa_reserve_vcc 0
		.amdhsa_reserve_flat_scratch 0
		.amdhsa_float_round_mode_32 0
		.amdhsa_float_round_mode_16_64 0
		.amdhsa_float_denorm_mode_32 3
		.amdhsa_float_denorm_mode_16_64 3
		.amdhsa_dx10_clamp 1
		.amdhsa_ieee_mode 1
		.amdhsa_fp16_overflow 0
		.amdhsa_workgroup_processor_mode 1
		.amdhsa_memory_ordered 1
		.amdhsa_forward_progress 1
		.amdhsa_shared_vgpr_count 0
		.amdhsa_exception_fp_ieee_invalid_op 0
		.amdhsa_exception_fp_denorm_src 0
		.amdhsa_exception_fp_ieee_div_zero 0
		.amdhsa_exception_fp_ieee_overflow 0
		.amdhsa_exception_fp_ieee_underflow 0
		.amdhsa_exception_fp_ieee_inexact 0
		.amdhsa_exception_int_div_zero 0
	.end_amdhsa_kernel
	.section	.text._ZN7rocprim17ROCPRIM_400000_NS6detail17trampoline_kernelINS0_13select_configILj256ELj13ELNS0_17block_load_methodE3ELS4_3ELS4_3ELNS0_20block_scan_algorithmE0ELj4294967295EEENS1_25partition_config_selectorILNS1_17partition_subalgoE3EjNS0_10empty_typeEbEEZZNS1_14partition_implILS8_3ELb0ES6_jNS0_17counting_iteratorIjlEEPS9_SE_NS0_5tupleIJPjSE_EEENSF_IJSE_SE_EEES9_SG_JZNS1_25segmented_radix_sort_implINS0_14default_configELb0EPKfPfPKlPlN2at6native12_GLOBAL__N_18offset_tEEE10hipError_tPvRmT1_PNSt15iterator_traitsISY_E10value_typeET2_T3_PNSZ_IS14_E10value_typeET4_jRbjT5_S1A_jjP12ihipStream_tbEUljE_EEESV_SW_SX_S14_S18_S1A_T6_T7_T9_mT8_S1C_bDpT10_ENKUlT_T0_E_clISt17integral_constantIbLb1EES1O_IbLb0EEEEDaS1K_S1L_EUlS1K_E_NS1_11comp_targetILNS1_3genE2ELNS1_11target_archE906ELNS1_3gpuE6ELNS1_3repE0EEENS1_30default_config_static_selectorELNS0_4arch9wavefront6targetE0EEEvSY_,"axG",@progbits,_ZN7rocprim17ROCPRIM_400000_NS6detail17trampoline_kernelINS0_13select_configILj256ELj13ELNS0_17block_load_methodE3ELS4_3ELS4_3ELNS0_20block_scan_algorithmE0ELj4294967295EEENS1_25partition_config_selectorILNS1_17partition_subalgoE3EjNS0_10empty_typeEbEEZZNS1_14partition_implILS8_3ELb0ES6_jNS0_17counting_iteratorIjlEEPS9_SE_NS0_5tupleIJPjSE_EEENSF_IJSE_SE_EEES9_SG_JZNS1_25segmented_radix_sort_implINS0_14default_configELb0EPKfPfPKlPlN2at6native12_GLOBAL__N_18offset_tEEE10hipError_tPvRmT1_PNSt15iterator_traitsISY_E10value_typeET2_T3_PNSZ_IS14_E10value_typeET4_jRbjT5_S1A_jjP12ihipStream_tbEUljE_EEESV_SW_SX_S14_S18_S1A_T6_T7_T9_mT8_S1C_bDpT10_ENKUlT_T0_E_clISt17integral_constantIbLb1EES1O_IbLb0EEEEDaS1K_S1L_EUlS1K_E_NS1_11comp_targetILNS1_3genE2ELNS1_11target_archE906ELNS1_3gpuE6ELNS1_3repE0EEENS1_30default_config_static_selectorELNS0_4arch9wavefront6targetE0EEEvSY_,comdat
.Lfunc_end1408:
	.size	_ZN7rocprim17ROCPRIM_400000_NS6detail17trampoline_kernelINS0_13select_configILj256ELj13ELNS0_17block_load_methodE3ELS4_3ELS4_3ELNS0_20block_scan_algorithmE0ELj4294967295EEENS1_25partition_config_selectorILNS1_17partition_subalgoE3EjNS0_10empty_typeEbEEZZNS1_14partition_implILS8_3ELb0ES6_jNS0_17counting_iteratorIjlEEPS9_SE_NS0_5tupleIJPjSE_EEENSF_IJSE_SE_EEES9_SG_JZNS1_25segmented_radix_sort_implINS0_14default_configELb0EPKfPfPKlPlN2at6native12_GLOBAL__N_18offset_tEEE10hipError_tPvRmT1_PNSt15iterator_traitsISY_E10value_typeET2_T3_PNSZ_IS14_E10value_typeET4_jRbjT5_S1A_jjP12ihipStream_tbEUljE_EEESV_SW_SX_S14_S18_S1A_T6_T7_T9_mT8_S1C_bDpT10_ENKUlT_T0_E_clISt17integral_constantIbLb1EES1O_IbLb0EEEEDaS1K_S1L_EUlS1K_E_NS1_11comp_targetILNS1_3genE2ELNS1_11target_archE906ELNS1_3gpuE6ELNS1_3repE0EEENS1_30default_config_static_selectorELNS0_4arch9wavefront6targetE0EEEvSY_, .Lfunc_end1408-_ZN7rocprim17ROCPRIM_400000_NS6detail17trampoline_kernelINS0_13select_configILj256ELj13ELNS0_17block_load_methodE3ELS4_3ELS4_3ELNS0_20block_scan_algorithmE0ELj4294967295EEENS1_25partition_config_selectorILNS1_17partition_subalgoE3EjNS0_10empty_typeEbEEZZNS1_14partition_implILS8_3ELb0ES6_jNS0_17counting_iteratorIjlEEPS9_SE_NS0_5tupleIJPjSE_EEENSF_IJSE_SE_EEES9_SG_JZNS1_25segmented_radix_sort_implINS0_14default_configELb0EPKfPfPKlPlN2at6native12_GLOBAL__N_18offset_tEEE10hipError_tPvRmT1_PNSt15iterator_traitsISY_E10value_typeET2_T3_PNSZ_IS14_E10value_typeET4_jRbjT5_S1A_jjP12ihipStream_tbEUljE_EEESV_SW_SX_S14_S18_S1A_T6_T7_T9_mT8_S1C_bDpT10_ENKUlT_T0_E_clISt17integral_constantIbLb1EES1O_IbLb0EEEEDaS1K_S1L_EUlS1K_E_NS1_11comp_targetILNS1_3genE2ELNS1_11target_archE906ELNS1_3gpuE6ELNS1_3repE0EEENS1_30default_config_static_selectorELNS0_4arch9wavefront6targetE0EEEvSY_
                                        ; -- End function
	.set _ZN7rocprim17ROCPRIM_400000_NS6detail17trampoline_kernelINS0_13select_configILj256ELj13ELNS0_17block_load_methodE3ELS4_3ELS4_3ELNS0_20block_scan_algorithmE0ELj4294967295EEENS1_25partition_config_selectorILNS1_17partition_subalgoE3EjNS0_10empty_typeEbEEZZNS1_14partition_implILS8_3ELb0ES6_jNS0_17counting_iteratorIjlEEPS9_SE_NS0_5tupleIJPjSE_EEENSF_IJSE_SE_EEES9_SG_JZNS1_25segmented_radix_sort_implINS0_14default_configELb0EPKfPfPKlPlN2at6native12_GLOBAL__N_18offset_tEEE10hipError_tPvRmT1_PNSt15iterator_traitsISY_E10value_typeET2_T3_PNSZ_IS14_E10value_typeET4_jRbjT5_S1A_jjP12ihipStream_tbEUljE_EEESV_SW_SX_S14_S18_S1A_T6_T7_T9_mT8_S1C_bDpT10_ENKUlT_T0_E_clISt17integral_constantIbLb1EES1O_IbLb0EEEEDaS1K_S1L_EUlS1K_E_NS1_11comp_targetILNS1_3genE2ELNS1_11target_archE906ELNS1_3gpuE6ELNS1_3repE0EEENS1_30default_config_static_selectorELNS0_4arch9wavefront6targetE0EEEvSY_.num_vgpr, 0
	.set _ZN7rocprim17ROCPRIM_400000_NS6detail17trampoline_kernelINS0_13select_configILj256ELj13ELNS0_17block_load_methodE3ELS4_3ELS4_3ELNS0_20block_scan_algorithmE0ELj4294967295EEENS1_25partition_config_selectorILNS1_17partition_subalgoE3EjNS0_10empty_typeEbEEZZNS1_14partition_implILS8_3ELb0ES6_jNS0_17counting_iteratorIjlEEPS9_SE_NS0_5tupleIJPjSE_EEENSF_IJSE_SE_EEES9_SG_JZNS1_25segmented_radix_sort_implINS0_14default_configELb0EPKfPfPKlPlN2at6native12_GLOBAL__N_18offset_tEEE10hipError_tPvRmT1_PNSt15iterator_traitsISY_E10value_typeET2_T3_PNSZ_IS14_E10value_typeET4_jRbjT5_S1A_jjP12ihipStream_tbEUljE_EEESV_SW_SX_S14_S18_S1A_T6_T7_T9_mT8_S1C_bDpT10_ENKUlT_T0_E_clISt17integral_constantIbLb1EES1O_IbLb0EEEEDaS1K_S1L_EUlS1K_E_NS1_11comp_targetILNS1_3genE2ELNS1_11target_archE906ELNS1_3gpuE6ELNS1_3repE0EEENS1_30default_config_static_selectorELNS0_4arch9wavefront6targetE0EEEvSY_.num_agpr, 0
	.set _ZN7rocprim17ROCPRIM_400000_NS6detail17trampoline_kernelINS0_13select_configILj256ELj13ELNS0_17block_load_methodE3ELS4_3ELS4_3ELNS0_20block_scan_algorithmE0ELj4294967295EEENS1_25partition_config_selectorILNS1_17partition_subalgoE3EjNS0_10empty_typeEbEEZZNS1_14partition_implILS8_3ELb0ES6_jNS0_17counting_iteratorIjlEEPS9_SE_NS0_5tupleIJPjSE_EEENSF_IJSE_SE_EEES9_SG_JZNS1_25segmented_radix_sort_implINS0_14default_configELb0EPKfPfPKlPlN2at6native12_GLOBAL__N_18offset_tEEE10hipError_tPvRmT1_PNSt15iterator_traitsISY_E10value_typeET2_T3_PNSZ_IS14_E10value_typeET4_jRbjT5_S1A_jjP12ihipStream_tbEUljE_EEESV_SW_SX_S14_S18_S1A_T6_T7_T9_mT8_S1C_bDpT10_ENKUlT_T0_E_clISt17integral_constantIbLb1EES1O_IbLb0EEEEDaS1K_S1L_EUlS1K_E_NS1_11comp_targetILNS1_3genE2ELNS1_11target_archE906ELNS1_3gpuE6ELNS1_3repE0EEENS1_30default_config_static_selectorELNS0_4arch9wavefront6targetE0EEEvSY_.numbered_sgpr, 0
	.set _ZN7rocprim17ROCPRIM_400000_NS6detail17trampoline_kernelINS0_13select_configILj256ELj13ELNS0_17block_load_methodE3ELS4_3ELS4_3ELNS0_20block_scan_algorithmE0ELj4294967295EEENS1_25partition_config_selectorILNS1_17partition_subalgoE3EjNS0_10empty_typeEbEEZZNS1_14partition_implILS8_3ELb0ES6_jNS0_17counting_iteratorIjlEEPS9_SE_NS0_5tupleIJPjSE_EEENSF_IJSE_SE_EEES9_SG_JZNS1_25segmented_radix_sort_implINS0_14default_configELb0EPKfPfPKlPlN2at6native12_GLOBAL__N_18offset_tEEE10hipError_tPvRmT1_PNSt15iterator_traitsISY_E10value_typeET2_T3_PNSZ_IS14_E10value_typeET4_jRbjT5_S1A_jjP12ihipStream_tbEUljE_EEESV_SW_SX_S14_S18_S1A_T6_T7_T9_mT8_S1C_bDpT10_ENKUlT_T0_E_clISt17integral_constantIbLb1EES1O_IbLb0EEEEDaS1K_S1L_EUlS1K_E_NS1_11comp_targetILNS1_3genE2ELNS1_11target_archE906ELNS1_3gpuE6ELNS1_3repE0EEENS1_30default_config_static_selectorELNS0_4arch9wavefront6targetE0EEEvSY_.num_named_barrier, 0
	.set _ZN7rocprim17ROCPRIM_400000_NS6detail17trampoline_kernelINS0_13select_configILj256ELj13ELNS0_17block_load_methodE3ELS4_3ELS4_3ELNS0_20block_scan_algorithmE0ELj4294967295EEENS1_25partition_config_selectorILNS1_17partition_subalgoE3EjNS0_10empty_typeEbEEZZNS1_14partition_implILS8_3ELb0ES6_jNS0_17counting_iteratorIjlEEPS9_SE_NS0_5tupleIJPjSE_EEENSF_IJSE_SE_EEES9_SG_JZNS1_25segmented_radix_sort_implINS0_14default_configELb0EPKfPfPKlPlN2at6native12_GLOBAL__N_18offset_tEEE10hipError_tPvRmT1_PNSt15iterator_traitsISY_E10value_typeET2_T3_PNSZ_IS14_E10value_typeET4_jRbjT5_S1A_jjP12ihipStream_tbEUljE_EEESV_SW_SX_S14_S18_S1A_T6_T7_T9_mT8_S1C_bDpT10_ENKUlT_T0_E_clISt17integral_constantIbLb1EES1O_IbLb0EEEEDaS1K_S1L_EUlS1K_E_NS1_11comp_targetILNS1_3genE2ELNS1_11target_archE906ELNS1_3gpuE6ELNS1_3repE0EEENS1_30default_config_static_selectorELNS0_4arch9wavefront6targetE0EEEvSY_.private_seg_size, 0
	.set _ZN7rocprim17ROCPRIM_400000_NS6detail17trampoline_kernelINS0_13select_configILj256ELj13ELNS0_17block_load_methodE3ELS4_3ELS4_3ELNS0_20block_scan_algorithmE0ELj4294967295EEENS1_25partition_config_selectorILNS1_17partition_subalgoE3EjNS0_10empty_typeEbEEZZNS1_14partition_implILS8_3ELb0ES6_jNS0_17counting_iteratorIjlEEPS9_SE_NS0_5tupleIJPjSE_EEENSF_IJSE_SE_EEES9_SG_JZNS1_25segmented_radix_sort_implINS0_14default_configELb0EPKfPfPKlPlN2at6native12_GLOBAL__N_18offset_tEEE10hipError_tPvRmT1_PNSt15iterator_traitsISY_E10value_typeET2_T3_PNSZ_IS14_E10value_typeET4_jRbjT5_S1A_jjP12ihipStream_tbEUljE_EEESV_SW_SX_S14_S18_S1A_T6_T7_T9_mT8_S1C_bDpT10_ENKUlT_T0_E_clISt17integral_constantIbLb1EES1O_IbLb0EEEEDaS1K_S1L_EUlS1K_E_NS1_11comp_targetILNS1_3genE2ELNS1_11target_archE906ELNS1_3gpuE6ELNS1_3repE0EEENS1_30default_config_static_selectorELNS0_4arch9wavefront6targetE0EEEvSY_.uses_vcc, 0
	.set _ZN7rocprim17ROCPRIM_400000_NS6detail17trampoline_kernelINS0_13select_configILj256ELj13ELNS0_17block_load_methodE3ELS4_3ELS4_3ELNS0_20block_scan_algorithmE0ELj4294967295EEENS1_25partition_config_selectorILNS1_17partition_subalgoE3EjNS0_10empty_typeEbEEZZNS1_14partition_implILS8_3ELb0ES6_jNS0_17counting_iteratorIjlEEPS9_SE_NS0_5tupleIJPjSE_EEENSF_IJSE_SE_EEES9_SG_JZNS1_25segmented_radix_sort_implINS0_14default_configELb0EPKfPfPKlPlN2at6native12_GLOBAL__N_18offset_tEEE10hipError_tPvRmT1_PNSt15iterator_traitsISY_E10value_typeET2_T3_PNSZ_IS14_E10value_typeET4_jRbjT5_S1A_jjP12ihipStream_tbEUljE_EEESV_SW_SX_S14_S18_S1A_T6_T7_T9_mT8_S1C_bDpT10_ENKUlT_T0_E_clISt17integral_constantIbLb1EES1O_IbLb0EEEEDaS1K_S1L_EUlS1K_E_NS1_11comp_targetILNS1_3genE2ELNS1_11target_archE906ELNS1_3gpuE6ELNS1_3repE0EEENS1_30default_config_static_selectorELNS0_4arch9wavefront6targetE0EEEvSY_.uses_flat_scratch, 0
	.set _ZN7rocprim17ROCPRIM_400000_NS6detail17trampoline_kernelINS0_13select_configILj256ELj13ELNS0_17block_load_methodE3ELS4_3ELS4_3ELNS0_20block_scan_algorithmE0ELj4294967295EEENS1_25partition_config_selectorILNS1_17partition_subalgoE3EjNS0_10empty_typeEbEEZZNS1_14partition_implILS8_3ELb0ES6_jNS0_17counting_iteratorIjlEEPS9_SE_NS0_5tupleIJPjSE_EEENSF_IJSE_SE_EEES9_SG_JZNS1_25segmented_radix_sort_implINS0_14default_configELb0EPKfPfPKlPlN2at6native12_GLOBAL__N_18offset_tEEE10hipError_tPvRmT1_PNSt15iterator_traitsISY_E10value_typeET2_T3_PNSZ_IS14_E10value_typeET4_jRbjT5_S1A_jjP12ihipStream_tbEUljE_EEESV_SW_SX_S14_S18_S1A_T6_T7_T9_mT8_S1C_bDpT10_ENKUlT_T0_E_clISt17integral_constantIbLb1EES1O_IbLb0EEEEDaS1K_S1L_EUlS1K_E_NS1_11comp_targetILNS1_3genE2ELNS1_11target_archE906ELNS1_3gpuE6ELNS1_3repE0EEENS1_30default_config_static_selectorELNS0_4arch9wavefront6targetE0EEEvSY_.has_dyn_sized_stack, 0
	.set _ZN7rocprim17ROCPRIM_400000_NS6detail17trampoline_kernelINS0_13select_configILj256ELj13ELNS0_17block_load_methodE3ELS4_3ELS4_3ELNS0_20block_scan_algorithmE0ELj4294967295EEENS1_25partition_config_selectorILNS1_17partition_subalgoE3EjNS0_10empty_typeEbEEZZNS1_14partition_implILS8_3ELb0ES6_jNS0_17counting_iteratorIjlEEPS9_SE_NS0_5tupleIJPjSE_EEENSF_IJSE_SE_EEES9_SG_JZNS1_25segmented_radix_sort_implINS0_14default_configELb0EPKfPfPKlPlN2at6native12_GLOBAL__N_18offset_tEEE10hipError_tPvRmT1_PNSt15iterator_traitsISY_E10value_typeET2_T3_PNSZ_IS14_E10value_typeET4_jRbjT5_S1A_jjP12ihipStream_tbEUljE_EEESV_SW_SX_S14_S18_S1A_T6_T7_T9_mT8_S1C_bDpT10_ENKUlT_T0_E_clISt17integral_constantIbLb1EES1O_IbLb0EEEEDaS1K_S1L_EUlS1K_E_NS1_11comp_targetILNS1_3genE2ELNS1_11target_archE906ELNS1_3gpuE6ELNS1_3repE0EEENS1_30default_config_static_selectorELNS0_4arch9wavefront6targetE0EEEvSY_.has_recursion, 0
	.set _ZN7rocprim17ROCPRIM_400000_NS6detail17trampoline_kernelINS0_13select_configILj256ELj13ELNS0_17block_load_methodE3ELS4_3ELS4_3ELNS0_20block_scan_algorithmE0ELj4294967295EEENS1_25partition_config_selectorILNS1_17partition_subalgoE3EjNS0_10empty_typeEbEEZZNS1_14partition_implILS8_3ELb0ES6_jNS0_17counting_iteratorIjlEEPS9_SE_NS0_5tupleIJPjSE_EEENSF_IJSE_SE_EEES9_SG_JZNS1_25segmented_radix_sort_implINS0_14default_configELb0EPKfPfPKlPlN2at6native12_GLOBAL__N_18offset_tEEE10hipError_tPvRmT1_PNSt15iterator_traitsISY_E10value_typeET2_T3_PNSZ_IS14_E10value_typeET4_jRbjT5_S1A_jjP12ihipStream_tbEUljE_EEESV_SW_SX_S14_S18_S1A_T6_T7_T9_mT8_S1C_bDpT10_ENKUlT_T0_E_clISt17integral_constantIbLb1EES1O_IbLb0EEEEDaS1K_S1L_EUlS1K_E_NS1_11comp_targetILNS1_3genE2ELNS1_11target_archE906ELNS1_3gpuE6ELNS1_3repE0EEENS1_30default_config_static_selectorELNS0_4arch9wavefront6targetE0EEEvSY_.has_indirect_call, 0
	.section	.AMDGPU.csdata,"",@progbits
; Kernel info:
; codeLenInByte = 0
; TotalNumSgprs: 0
; NumVgprs: 0
; ScratchSize: 0
; MemoryBound: 0
; FloatMode: 240
; IeeeMode: 1
; LDSByteSize: 0 bytes/workgroup (compile time only)
; SGPRBlocks: 0
; VGPRBlocks: 0
; NumSGPRsForWavesPerEU: 1
; NumVGPRsForWavesPerEU: 1
; Occupancy: 16
; WaveLimiterHint : 0
; COMPUTE_PGM_RSRC2:SCRATCH_EN: 0
; COMPUTE_PGM_RSRC2:USER_SGPR: 6
; COMPUTE_PGM_RSRC2:TRAP_HANDLER: 0
; COMPUTE_PGM_RSRC2:TGID_X_EN: 1
; COMPUTE_PGM_RSRC2:TGID_Y_EN: 0
; COMPUTE_PGM_RSRC2:TGID_Z_EN: 0
; COMPUTE_PGM_RSRC2:TIDIG_COMP_CNT: 0
	.section	.text._ZN7rocprim17ROCPRIM_400000_NS6detail17trampoline_kernelINS0_13select_configILj256ELj13ELNS0_17block_load_methodE3ELS4_3ELS4_3ELNS0_20block_scan_algorithmE0ELj4294967295EEENS1_25partition_config_selectorILNS1_17partition_subalgoE3EjNS0_10empty_typeEbEEZZNS1_14partition_implILS8_3ELb0ES6_jNS0_17counting_iteratorIjlEEPS9_SE_NS0_5tupleIJPjSE_EEENSF_IJSE_SE_EEES9_SG_JZNS1_25segmented_radix_sort_implINS0_14default_configELb0EPKfPfPKlPlN2at6native12_GLOBAL__N_18offset_tEEE10hipError_tPvRmT1_PNSt15iterator_traitsISY_E10value_typeET2_T3_PNSZ_IS14_E10value_typeET4_jRbjT5_S1A_jjP12ihipStream_tbEUljE_EEESV_SW_SX_S14_S18_S1A_T6_T7_T9_mT8_S1C_bDpT10_ENKUlT_T0_E_clISt17integral_constantIbLb1EES1O_IbLb0EEEEDaS1K_S1L_EUlS1K_E_NS1_11comp_targetILNS1_3genE10ELNS1_11target_archE1200ELNS1_3gpuE4ELNS1_3repE0EEENS1_30default_config_static_selectorELNS0_4arch9wavefront6targetE0EEEvSY_,"axG",@progbits,_ZN7rocprim17ROCPRIM_400000_NS6detail17trampoline_kernelINS0_13select_configILj256ELj13ELNS0_17block_load_methodE3ELS4_3ELS4_3ELNS0_20block_scan_algorithmE0ELj4294967295EEENS1_25partition_config_selectorILNS1_17partition_subalgoE3EjNS0_10empty_typeEbEEZZNS1_14partition_implILS8_3ELb0ES6_jNS0_17counting_iteratorIjlEEPS9_SE_NS0_5tupleIJPjSE_EEENSF_IJSE_SE_EEES9_SG_JZNS1_25segmented_radix_sort_implINS0_14default_configELb0EPKfPfPKlPlN2at6native12_GLOBAL__N_18offset_tEEE10hipError_tPvRmT1_PNSt15iterator_traitsISY_E10value_typeET2_T3_PNSZ_IS14_E10value_typeET4_jRbjT5_S1A_jjP12ihipStream_tbEUljE_EEESV_SW_SX_S14_S18_S1A_T6_T7_T9_mT8_S1C_bDpT10_ENKUlT_T0_E_clISt17integral_constantIbLb1EES1O_IbLb0EEEEDaS1K_S1L_EUlS1K_E_NS1_11comp_targetILNS1_3genE10ELNS1_11target_archE1200ELNS1_3gpuE4ELNS1_3repE0EEENS1_30default_config_static_selectorELNS0_4arch9wavefront6targetE0EEEvSY_,comdat
	.globl	_ZN7rocprim17ROCPRIM_400000_NS6detail17trampoline_kernelINS0_13select_configILj256ELj13ELNS0_17block_load_methodE3ELS4_3ELS4_3ELNS0_20block_scan_algorithmE0ELj4294967295EEENS1_25partition_config_selectorILNS1_17partition_subalgoE3EjNS0_10empty_typeEbEEZZNS1_14partition_implILS8_3ELb0ES6_jNS0_17counting_iteratorIjlEEPS9_SE_NS0_5tupleIJPjSE_EEENSF_IJSE_SE_EEES9_SG_JZNS1_25segmented_radix_sort_implINS0_14default_configELb0EPKfPfPKlPlN2at6native12_GLOBAL__N_18offset_tEEE10hipError_tPvRmT1_PNSt15iterator_traitsISY_E10value_typeET2_T3_PNSZ_IS14_E10value_typeET4_jRbjT5_S1A_jjP12ihipStream_tbEUljE_EEESV_SW_SX_S14_S18_S1A_T6_T7_T9_mT8_S1C_bDpT10_ENKUlT_T0_E_clISt17integral_constantIbLb1EES1O_IbLb0EEEEDaS1K_S1L_EUlS1K_E_NS1_11comp_targetILNS1_3genE10ELNS1_11target_archE1200ELNS1_3gpuE4ELNS1_3repE0EEENS1_30default_config_static_selectorELNS0_4arch9wavefront6targetE0EEEvSY_ ; -- Begin function _ZN7rocprim17ROCPRIM_400000_NS6detail17trampoline_kernelINS0_13select_configILj256ELj13ELNS0_17block_load_methodE3ELS4_3ELS4_3ELNS0_20block_scan_algorithmE0ELj4294967295EEENS1_25partition_config_selectorILNS1_17partition_subalgoE3EjNS0_10empty_typeEbEEZZNS1_14partition_implILS8_3ELb0ES6_jNS0_17counting_iteratorIjlEEPS9_SE_NS0_5tupleIJPjSE_EEENSF_IJSE_SE_EEES9_SG_JZNS1_25segmented_radix_sort_implINS0_14default_configELb0EPKfPfPKlPlN2at6native12_GLOBAL__N_18offset_tEEE10hipError_tPvRmT1_PNSt15iterator_traitsISY_E10value_typeET2_T3_PNSZ_IS14_E10value_typeET4_jRbjT5_S1A_jjP12ihipStream_tbEUljE_EEESV_SW_SX_S14_S18_S1A_T6_T7_T9_mT8_S1C_bDpT10_ENKUlT_T0_E_clISt17integral_constantIbLb1EES1O_IbLb0EEEEDaS1K_S1L_EUlS1K_E_NS1_11comp_targetILNS1_3genE10ELNS1_11target_archE1200ELNS1_3gpuE4ELNS1_3repE0EEENS1_30default_config_static_selectorELNS0_4arch9wavefront6targetE0EEEvSY_
	.p2align	8
	.type	_ZN7rocprim17ROCPRIM_400000_NS6detail17trampoline_kernelINS0_13select_configILj256ELj13ELNS0_17block_load_methodE3ELS4_3ELS4_3ELNS0_20block_scan_algorithmE0ELj4294967295EEENS1_25partition_config_selectorILNS1_17partition_subalgoE3EjNS0_10empty_typeEbEEZZNS1_14partition_implILS8_3ELb0ES6_jNS0_17counting_iteratorIjlEEPS9_SE_NS0_5tupleIJPjSE_EEENSF_IJSE_SE_EEES9_SG_JZNS1_25segmented_radix_sort_implINS0_14default_configELb0EPKfPfPKlPlN2at6native12_GLOBAL__N_18offset_tEEE10hipError_tPvRmT1_PNSt15iterator_traitsISY_E10value_typeET2_T3_PNSZ_IS14_E10value_typeET4_jRbjT5_S1A_jjP12ihipStream_tbEUljE_EEESV_SW_SX_S14_S18_S1A_T6_T7_T9_mT8_S1C_bDpT10_ENKUlT_T0_E_clISt17integral_constantIbLb1EES1O_IbLb0EEEEDaS1K_S1L_EUlS1K_E_NS1_11comp_targetILNS1_3genE10ELNS1_11target_archE1200ELNS1_3gpuE4ELNS1_3repE0EEENS1_30default_config_static_selectorELNS0_4arch9wavefront6targetE0EEEvSY_,@function
_ZN7rocprim17ROCPRIM_400000_NS6detail17trampoline_kernelINS0_13select_configILj256ELj13ELNS0_17block_load_methodE3ELS4_3ELS4_3ELNS0_20block_scan_algorithmE0ELj4294967295EEENS1_25partition_config_selectorILNS1_17partition_subalgoE3EjNS0_10empty_typeEbEEZZNS1_14partition_implILS8_3ELb0ES6_jNS0_17counting_iteratorIjlEEPS9_SE_NS0_5tupleIJPjSE_EEENSF_IJSE_SE_EEES9_SG_JZNS1_25segmented_radix_sort_implINS0_14default_configELb0EPKfPfPKlPlN2at6native12_GLOBAL__N_18offset_tEEE10hipError_tPvRmT1_PNSt15iterator_traitsISY_E10value_typeET2_T3_PNSZ_IS14_E10value_typeET4_jRbjT5_S1A_jjP12ihipStream_tbEUljE_EEESV_SW_SX_S14_S18_S1A_T6_T7_T9_mT8_S1C_bDpT10_ENKUlT_T0_E_clISt17integral_constantIbLb1EES1O_IbLb0EEEEDaS1K_S1L_EUlS1K_E_NS1_11comp_targetILNS1_3genE10ELNS1_11target_archE1200ELNS1_3gpuE4ELNS1_3repE0EEENS1_30default_config_static_selectorELNS0_4arch9wavefront6targetE0EEEvSY_: ; @_ZN7rocprim17ROCPRIM_400000_NS6detail17trampoline_kernelINS0_13select_configILj256ELj13ELNS0_17block_load_methodE3ELS4_3ELS4_3ELNS0_20block_scan_algorithmE0ELj4294967295EEENS1_25partition_config_selectorILNS1_17partition_subalgoE3EjNS0_10empty_typeEbEEZZNS1_14partition_implILS8_3ELb0ES6_jNS0_17counting_iteratorIjlEEPS9_SE_NS0_5tupleIJPjSE_EEENSF_IJSE_SE_EEES9_SG_JZNS1_25segmented_radix_sort_implINS0_14default_configELb0EPKfPfPKlPlN2at6native12_GLOBAL__N_18offset_tEEE10hipError_tPvRmT1_PNSt15iterator_traitsISY_E10value_typeET2_T3_PNSZ_IS14_E10value_typeET4_jRbjT5_S1A_jjP12ihipStream_tbEUljE_EEESV_SW_SX_S14_S18_S1A_T6_T7_T9_mT8_S1C_bDpT10_ENKUlT_T0_E_clISt17integral_constantIbLb1EES1O_IbLb0EEEEDaS1K_S1L_EUlS1K_E_NS1_11comp_targetILNS1_3genE10ELNS1_11target_archE1200ELNS1_3gpuE4ELNS1_3repE0EEENS1_30default_config_static_selectorELNS0_4arch9wavefront6targetE0EEEvSY_
; %bb.0:
	.section	.rodata,"a",@progbits
	.p2align	6, 0x0
	.amdhsa_kernel _ZN7rocprim17ROCPRIM_400000_NS6detail17trampoline_kernelINS0_13select_configILj256ELj13ELNS0_17block_load_methodE3ELS4_3ELS4_3ELNS0_20block_scan_algorithmE0ELj4294967295EEENS1_25partition_config_selectorILNS1_17partition_subalgoE3EjNS0_10empty_typeEbEEZZNS1_14partition_implILS8_3ELb0ES6_jNS0_17counting_iteratorIjlEEPS9_SE_NS0_5tupleIJPjSE_EEENSF_IJSE_SE_EEES9_SG_JZNS1_25segmented_radix_sort_implINS0_14default_configELb0EPKfPfPKlPlN2at6native12_GLOBAL__N_18offset_tEEE10hipError_tPvRmT1_PNSt15iterator_traitsISY_E10value_typeET2_T3_PNSZ_IS14_E10value_typeET4_jRbjT5_S1A_jjP12ihipStream_tbEUljE_EEESV_SW_SX_S14_S18_S1A_T6_T7_T9_mT8_S1C_bDpT10_ENKUlT_T0_E_clISt17integral_constantIbLb1EES1O_IbLb0EEEEDaS1K_S1L_EUlS1K_E_NS1_11comp_targetILNS1_3genE10ELNS1_11target_archE1200ELNS1_3gpuE4ELNS1_3repE0EEENS1_30default_config_static_selectorELNS0_4arch9wavefront6targetE0EEEvSY_
		.amdhsa_group_segment_fixed_size 0
		.amdhsa_private_segment_fixed_size 0
		.amdhsa_kernarg_size 144
		.amdhsa_user_sgpr_count 6
		.amdhsa_user_sgpr_private_segment_buffer 1
		.amdhsa_user_sgpr_dispatch_ptr 0
		.amdhsa_user_sgpr_queue_ptr 0
		.amdhsa_user_sgpr_kernarg_segment_ptr 1
		.amdhsa_user_sgpr_dispatch_id 0
		.amdhsa_user_sgpr_flat_scratch_init 0
		.amdhsa_user_sgpr_private_segment_size 0
		.amdhsa_wavefront_size32 1
		.amdhsa_uses_dynamic_stack 0
		.amdhsa_system_sgpr_private_segment_wavefront_offset 0
		.amdhsa_system_sgpr_workgroup_id_x 1
		.amdhsa_system_sgpr_workgroup_id_y 0
		.amdhsa_system_sgpr_workgroup_id_z 0
		.amdhsa_system_sgpr_workgroup_info 0
		.amdhsa_system_vgpr_workitem_id 0
		.amdhsa_next_free_vgpr 1
		.amdhsa_next_free_sgpr 1
		.amdhsa_reserve_vcc 0
		.amdhsa_reserve_flat_scratch 0
		.amdhsa_float_round_mode_32 0
		.amdhsa_float_round_mode_16_64 0
		.amdhsa_float_denorm_mode_32 3
		.amdhsa_float_denorm_mode_16_64 3
		.amdhsa_dx10_clamp 1
		.amdhsa_ieee_mode 1
		.amdhsa_fp16_overflow 0
		.amdhsa_workgroup_processor_mode 1
		.amdhsa_memory_ordered 1
		.amdhsa_forward_progress 1
		.amdhsa_shared_vgpr_count 0
		.amdhsa_exception_fp_ieee_invalid_op 0
		.amdhsa_exception_fp_denorm_src 0
		.amdhsa_exception_fp_ieee_div_zero 0
		.amdhsa_exception_fp_ieee_overflow 0
		.amdhsa_exception_fp_ieee_underflow 0
		.amdhsa_exception_fp_ieee_inexact 0
		.amdhsa_exception_int_div_zero 0
	.end_amdhsa_kernel
	.section	.text._ZN7rocprim17ROCPRIM_400000_NS6detail17trampoline_kernelINS0_13select_configILj256ELj13ELNS0_17block_load_methodE3ELS4_3ELS4_3ELNS0_20block_scan_algorithmE0ELj4294967295EEENS1_25partition_config_selectorILNS1_17partition_subalgoE3EjNS0_10empty_typeEbEEZZNS1_14partition_implILS8_3ELb0ES6_jNS0_17counting_iteratorIjlEEPS9_SE_NS0_5tupleIJPjSE_EEENSF_IJSE_SE_EEES9_SG_JZNS1_25segmented_radix_sort_implINS0_14default_configELb0EPKfPfPKlPlN2at6native12_GLOBAL__N_18offset_tEEE10hipError_tPvRmT1_PNSt15iterator_traitsISY_E10value_typeET2_T3_PNSZ_IS14_E10value_typeET4_jRbjT5_S1A_jjP12ihipStream_tbEUljE_EEESV_SW_SX_S14_S18_S1A_T6_T7_T9_mT8_S1C_bDpT10_ENKUlT_T0_E_clISt17integral_constantIbLb1EES1O_IbLb0EEEEDaS1K_S1L_EUlS1K_E_NS1_11comp_targetILNS1_3genE10ELNS1_11target_archE1200ELNS1_3gpuE4ELNS1_3repE0EEENS1_30default_config_static_selectorELNS0_4arch9wavefront6targetE0EEEvSY_,"axG",@progbits,_ZN7rocprim17ROCPRIM_400000_NS6detail17trampoline_kernelINS0_13select_configILj256ELj13ELNS0_17block_load_methodE3ELS4_3ELS4_3ELNS0_20block_scan_algorithmE0ELj4294967295EEENS1_25partition_config_selectorILNS1_17partition_subalgoE3EjNS0_10empty_typeEbEEZZNS1_14partition_implILS8_3ELb0ES6_jNS0_17counting_iteratorIjlEEPS9_SE_NS0_5tupleIJPjSE_EEENSF_IJSE_SE_EEES9_SG_JZNS1_25segmented_radix_sort_implINS0_14default_configELb0EPKfPfPKlPlN2at6native12_GLOBAL__N_18offset_tEEE10hipError_tPvRmT1_PNSt15iterator_traitsISY_E10value_typeET2_T3_PNSZ_IS14_E10value_typeET4_jRbjT5_S1A_jjP12ihipStream_tbEUljE_EEESV_SW_SX_S14_S18_S1A_T6_T7_T9_mT8_S1C_bDpT10_ENKUlT_T0_E_clISt17integral_constantIbLb1EES1O_IbLb0EEEEDaS1K_S1L_EUlS1K_E_NS1_11comp_targetILNS1_3genE10ELNS1_11target_archE1200ELNS1_3gpuE4ELNS1_3repE0EEENS1_30default_config_static_selectorELNS0_4arch9wavefront6targetE0EEEvSY_,comdat
.Lfunc_end1409:
	.size	_ZN7rocprim17ROCPRIM_400000_NS6detail17trampoline_kernelINS0_13select_configILj256ELj13ELNS0_17block_load_methodE3ELS4_3ELS4_3ELNS0_20block_scan_algorithmE0ELj4294967295EEENS1_25partition_config_selectorILNS1_17partition_subalgoE3EjNS0_10empty_typeEbEEZZNS1_14partition_implILS8_3ELb0ES6_jNS0_17counting_iteratorIjlEEPS9_SE_NS0_5tupleIJPjSE_EEENSF_IJSE_SE_EEES9_SG_JZNS1_25segmented_radix_sort_implINS0_14default_configELb0EPKfPfPKlPlN2at6native12_GLOBAL__N_18offset_tEEE10hipError_tPvRmT1_PNSt15iterator_traitsISY_E10value_typeET2_T3_PNSZ_IS14_E10value_typeET4_jRbjT5_S1A_jjP12ihipStream_tbEUljE_EEESV_SW_SX_S14_S18_S1A_T6_T7_T9_mT8_S1C_bDpT10_ENKUlT_T0_E_clISt17integral_constantIbLb1EES1O_IbLb0EEEEDaS1K_S1L_EUlS1K_E_NS1_11comp_targetILNS1_3genE10ELNS1_11target_archE1200ELNS1_3gpuE4ELNS1_3repE0EEENS1_30default_config_static_selectorELNS0_4arch9wavefront6targetE0EEEvSY_, .Lfunc_end1409-_ZN7rocprim17ROCPRIM_400000_NS6detail17trampoline_kernelINS0_13select_configILj256ELj13ELNS0_17block_load_methodE3ELS4_3ELS4_3ELNS0_20block_scan_algorithmE0ELj4294967295EEENS1_25partition_config_selectorILNS1_17partition_subalgoE3EjNS0_10empty_typeEbEEZZNS1_14partition_implILS8_3ELb0ES6_jNS0_17counting_iteratorIjlEEPS9_SE_NS0_5tupleIJPjSE_EEENSF_IJSE_SE_EEES9_SG_JZNS1_25segmented_radix_sort_implINS0_14default_configELb0EPKfPfPKlPlN2at6native12_GLOBAL__N_18offset_tEEE10hipError_tPvRmT1_PNSt15iterator_traitsISY_E10value_typeET2_T3_PNSZ_IS14_E10value_typeET4_jRbjT5_S1A_jjP12ihipStream_tbEUljE_EEESV_SW_SX_S14_S18_S1A_T6_T7_T9_mT8_S1C_bDpT10_ENKUlT_T0_E_clISt17integral_constantIbLb1EES1O_IbLb0EEEEDaS1K_S1L_EUlS1K_E_NS1_11comp_targetILNS1_3genE10ELNS1_11target_archE1200ELNS1_3gpuE4ELNS1_3repE0EEENS1_30default_config_static_selectorELNS0_4arch9wavefront6targetE0EEEvSY_
                                        ; -- End function
	.set _ZN7rocprim17ROCPRIM_400000_NS6detail17trampoline_kernelINS0_13select_configILj256ELj13ELNS0_17block_load_methodE3ELS4_3ELS4_3ELNS0_20block_scan_algorithmE0ELj4294967295EEENS1_25partition_config_selectorILNS1_17partition_subalgoE3EjNS0_10empty_typeEbEEZZNS1_14partition_implILS8_3ELb0ES6_jNS0_17counting_iteratorIjlEEPS9_SE_NS0_5tupleIJPjSE_EEENSF_IJSE_SE_EEES9_SG_JZNS1_25segmented_radix_sort_implINS0_14default_configELb0EPKfPfPKlPlN2at6native12_GLOBAL__N_18offset_tEEE10hipError_tPvRmT1_PNSt15iterator_traitsISY_E10value_typeET2_T3_PNSZ_IS14_E10value_typeET4_jRbjT5_S1A_jjP12ihipStream_tbEUljE_EEESV_SW_SX_S14_S18_S1A_T6_T7_T9_mT8_S1C_bDpT10_ENKUlT_T0_E_clISt17integral_constantIbLb1EES1O_IbLb0EEEEDaS1K_S1L_EUlS1K_E_NS1_11comp_targetILNS1_3genE10ELNS1_11target_archE1200ELNS1_3gpuE4ELNS1_3repE0EEENS1_30default_config_static_selectorELNS0_4arch9wavefront6targetE0EEEvSY_.num_vgpr, 0
	.set _ZN7rocprim17ROCPRIM_400000_NS6detail17trampoline_kernelINS0_13select_configILj256ELj13ELNS0_17block_load_methodE3ELS4_3ELS4_3ELNS0_20block_scan_algorithmE0ELj4294967295EEENS1_25partition_config_selectorILNS1_17partition_subalgoE3EjNS0_10empty_typeEbEEZZNS1_14partition_implILS8_3ELb0ES6_jNS0_17counting_iteratorIjlEEPS9_SE_NS0_5tupleIJPjSE_EEENSF_IJSE_SE_EEES9_SG_JZNS1_25segmented_radix_sort_implINS0_14default_configELb0EPKfPfPKlPlN2at6native12_GLOBAL__N_18offset_tEEE10hipError_tPvRmT1_PNSt15iterator_traitsISY_E10value_typeET2_T3_PNSZ_IS14_E10value_typeET4_jRbjT5_S1A_jjP12ihipStream_tbEUljE_EEESV_SW_SX_S14_S18_S1A_T6_T7_T9_mT8_S1C_bDpT10_ENKUlT_T0_E_clISt17integral_constantIbLb1EES1O_IbLb0EEEEDaS1K_S1L_EUlS1K_E_NS1_11comp_targetILNS1_3genE10ELNS1_11target_archE1200ELNS1_3gpuE4ELNS1_3repE0EEENS1_30default_config_static_selectorELNS0_4arch9wavefront6targetE0EEEvSY_.num_agpr, 0
	.set _ZN7rocprim17ROCPRIM_400000_NS6detail17trampoline_kernelINS0_13select_configILj256ELj13ELNS0_17block_load_methodE3ELS4_3ELS4_3ELNS0_20block_scan_algorithmE0ELj4294967295EEENS1_25partition_config_selectorILNS1_17partition_subalgoE3EjNS0_10empty_typeEbEEZZNS1_14partition_implILS8_3ELb0ES6_jNS0_17counting_iteratorIjlEEPS9_SE_NS0_5tupleIJPjSE_EEENSF_IJSE_SE_EEES9_SG_JZNS1_25segmented_radix_sort_implINS0_14default_configELb0EPKfPfPKlPlN2at6native12_GLOBAL__N_18offset_tEEE10hipError_tPvRmT1_PNSt15iterator_traitsISY_E10value_typeET2_T3_PNSZ_IS14_E10value_typeET4_jRbjT5_S1A_jjP12ihipStream_tbEUljE_EEESV_SW_SX_S14_S18_S1A_T6_T7_T9_mT8_S1C_bDpT10_ENKUlT_T0_E_clISt17integral_constantIbLb1EES1O_IbLb0EEEEDaS1K_S1L_EUlS1K_E_NS1_11comp_targetILNS1_3genE10ELNS1_11target_archE1200ELNS1_3gpuE4ELNS1_3repE0EEENS1_30default_config_static_selectorELNS0_4arch9wavefront6targetE0EEEvSY_.numbered_sgpr, 0
	.set _ZN7rocprim17ROCPRIM_400000_NS6detail17trampoline_kernelINS0_13select_configILj256ELj13ELNS0_17block_load_methodE3ELS4_3ELS4_3ELNS0_20block_scan_algorithmE0ELj4294967295EEENS1_25partition_config_selectorILNS1_17partition_subalgoE3EjNS0_10empty_typeEbEEZZNS1_14partition_implILS8_3ELb0ES6_jNS0_17counting_iteratorIjlEEPS9_SE_NS0_5tupleIJPjSE_EEENSF_IJSE_SE_EEES9_SG_JZNS1_25segmented_radix_sort_implINS0_14default_configELb0EPKfPfPKlPlN2at6native12_GLOBAL__N_18offset_tEEE10hipError_tPvRmT1_PNSt15iterator_traitsISY_E10value_typeET2_T3_PNSZ_IS14_E10value_typeET4_jRbjT5_S1A_jjP12ihipStream_tbEUljE_EEESV_SW_SX_S14_S18_S1A_T6_T7_T9_mT8_S1C_bDpT10_ENKUlT_T0_E_clISt17integral_constantIbLb1EES1O_IbLb0EEEEDaS1K_S1L_EUlS1K_E_NS1_11comp_targetILNS1_3genE10ELNS1_11target_archE1200ELNS1_3gpuE4ELNS1_3repE0EEENS1_30default_config_static_selectorELNS0_4arch9wavefront6targetE0EEEvSY_.num_named_barrier, 0
	.set _ZN7rocprim17ROCPRIM_400000_NS6detail17trampoline_kernelINS0_13select_configILj256ELj13ELNS0_17block_load_methodE3ELS4_3ELS4_3ELNS0_20block_scan_algorithmE0ELj4294967295EEENS1_25partition_config_selectorILNS1_17partition_subalgoE3EjNS0_10empty_typeEbEEZZNS1_14partition_implILS8_3ELb0ES6_jNS0_17counting_iteratorIjlEEPS9_SE_NS0_5tupleIJPjSE_EEENSF_IJSE_SE_EEES9_SG_JZNS1_25segmented_radix_sort_implINS0_14default_configELb0EPKfPfPKlPlN2at6native12_GLOBAL__N_18offset_tEEE10hipError_tPvRmT1_PNSt15iterator_traitsISY_E10value_typeET2_T3_PNSZ_IS14_E10value_typeET4_jRbjT5_S1A_jjP12ihipStream_tbEUljE_EEESV_SW_SX_S14_S18_S1A_T6_T7_T9_mT8_S1C_bDpT10_ENKUlT_T0_E_clISt17integral_constantIbLb1EES1O_IbLb0EEEEDaS1K_S1L_EUlS1K_E_NS1_11comp_targetILNS1_3genE10ELNS1_11target_archE1200ELNS1_3gpuE4ELNS1_3repE0EEENS1_30default_config_static_selectorELNS0_4arch9wavefront6targetE0EEEvSY_.private_seg_size, 0
	.set _ZN7rocprim17ROCPRIM_400000_NS6detail17trampoline_kernelINS0_13select_configILj256ELj13ELNS0_17block_load_methodE3ELS4_3ELS4_3ELNS0_20block_scan_algorithmE0ELj4294967295EEENS1_25partition_config_selectorILNS1_17partition_subalgoE3EjNS0_10empty_typeEbEEZZNS1_14partition_implILS8_3ELb0ES6_jNS0_17counting_iteratorIjlEEPS9_SE_NS0_5tupleIJPjSE_EEENSF_IJSE_SE_EEES9_SG_JZNS1_25segmented_radix_sort_implINS0_14default_configELb0EPKfPfPKlPlN2at6native12_GLOBAL__N_18offset_tEEE10hipError_tPvRmT1_PNSt15iterator_traitsISY_E10value_typeET2_T3_PNSZ_IS14_E10value_typeET4_jRbjT5_S1A_jjP12ihipStream_tbEUljE_EEESV_SW_SX_S14_S18_S1A_T6_T7_T9_mT8_S1C_bDpT10_ENKUlT_T0_E_clISt17integral_constantIbLb1EES1O_IbLb0EEEEDaS1K_S1L_EUlS1K_E_NS1_11comp_targetILNS1_3genE10ELNS1_11target_archE1200ELNS1_3gpuE4ELNS1_3repE0EEENS1_30default_config_static_selectorELNS0_4arch9wavefront6targetE0EEEvSY_.uses_vcc, 0
	.set _ZN7rocprim17ROCPRIM_400000_NS6detail17trampoline_kernelINS0_13select_configILj256ELj13ELNS0_17block_load_methodE3ELS4_3ELS4_3ELNS0_20block_scan_algorithmE0ELj4294967295EEENS1_25partition_config_selectorILNS1_17partition_subalgoE3EjNS0_10empty_typeEbEEZZNS1_14partition_implILS8_3ELb0ES6_jNS0_17counting_iteratorIjlEEPS9_SE_NS0_5tupleIJPjSE_EEENSF_IJSE_SE_EEES9_SG_JZNS1_25segmented_radix_sort_implINS0_14default_configELb0EPKfPfPKlPlN2at6native12_GLOBAL__N_18offset_tEEE10hipError_tPvRmT1_PNSt15iterator_traitsISY_E10value_typeET2_T3_PNSZ_IS14_E10value_typeET4_jRbjT5_S1A_jjP12ihipStream_tbEUljE_EEESV_SW_SX_S14_S18_S1A_T6_T7_T9_mT8_S1C_bDpT10_ENKUlT_T0_E_clISt17integral_constantIbLb1EES1O_IbLb0EEEEDaS1K_S1L_EUlS1K_E_NS1_11comp_targetILNS1_3genE10ELNS1_11target_archE1200ELNS1_3gpuE4ELNS1_3repE0EEENS1_30default_config_static_selectorELNS0_4arch9wavefront6targetE0EEEvSY_.uses_flat_scratch, 0
	.set _ZN7rocprim17ROCPRIM_400000_NS6detail17trampoline_kernelINS0_13select_configILj256ELj13ELNS0_17block_load_methodE3ELS4_3ELS4_3ELNS0_20block_scan_algorithmE0ELj4294967295EEENS1_25partition_config_selectorILNS1_17partition_subalgoE3EjNS0_10empty_typeEbEEZZNS1_14partition_implILS8_3ELb0ES6_jNS0_17counting_iteratorIjlEEPS9_SE_NS0_5tupleIJPjSE_EEENSF_IJSE_SE_EEES9_SG_JZNS1_25segmented_radix_sort_implINS0_14default_configELb0EPKfPfPKlPlN2at6native12_GLOBAL__N_18offset_tEEE10hipError_tPvRmT1_PNSt15iterator_traitsISY_E10value_typeET2_T3_PNSZ_IS14_E10value_typeET4_jRbjT5_S1A_jjP12ihipStream_tbEUljE_EEESV_SW_SX_S14_S18_S1A_T6_T7_T9_mT8_S1C_bDpT10_ENKUlT_T0_E_clISt17integral_constantIbLb1EES1O_IbLb0EEEEDaS1K_S1L_EUlS1K_E_NS1_11comp_targetILNS1_3genE10ELNS1_11target_archE1200ELNS1_3gpuE4ELNS1_3repE0EEENS1_30default_config_static_selectorELNS0_4arch9wavefront6targetE0EEEvSY_.has_dyn_sized_stack, 0
	.set _ZN7rocprim17ROCPRIM_400000_NS6detail17trampoline_kernelINS0_13select_configILj256ELj13ELNS0_17block_load_methodE3ELS4_3ELS4_3ELNS0_20block_scan_algorithmE0ELj4294967295EEENS1_25partition_config_selectorILNS1_17partition_subalgoE3EjNS0_10empty_typeEbEEZZNS1_14partition_implILS8_3ELb0ES6_jNS0_17counting_iteratorIjlEEPS9_SE_NS0_5tupleIJPjSE_EEENSF_IJSE_SE_EEES9_SG_JZNS1_25segmented_radix_sort_implINS0_14default_configELb0EPKfPfPKlPlN2at6native12_GLOBAL__N_18offset_tEEE10hipError_tPvRmT1_PNSt15iterator_traitsISY_E10value_typeET2_T3_PNSZ_IS14_E10value_typeET4_jRbjT5_S1A_jjP12ihipStream_tbEUljE_EEESV_SW_SX_S14_S18_S1A_T6_T7_T9_mT8_S1C_bDpT10_ENKUlT_T0_E_clISt17integral_constantIbLb1EES1O_IbLb0EEEEDaS1K_S1L_EUlS1K_E_NS1_11comp_targetILNS1_3genE10ELNS1_11target_archE1200ELNS1_3gpuE4ELNS1_3repE0EEENS1_30default_config_static_selectorELNS0_4arch9wavefront6targetE0EEEvSY_.has_recursion, 0
	.set _ZN7rocprim17ROCPRIM_400000_NS6detail17trampoline_kernelINS0_13select_configILj256ELj13ELNS0_17block_load_methodE3ELS4_3ELS4_3ELNS0_20block_scan_algorithmE0ELj4294967295EEENS1_25partition_config_selectorILNS1_17partition_subalgoE3EjNS0_10empty_typeEbEEZZNS1_14partition_implILS8_3ELb0ES6_jNS0_17counting_iteratorIjlEEPS9_SE_NS0_5tupleIJPjSE_EEENSF_IJSE_SE_EEES9_SG_JZNS1_25segmented_radix_sort_implINS0_14default_configELb0EPKfPfPKlPlN2at6native12_GLOBAL__N_18offset_tEEE10hipError_tPvRmT1_PNSt15iterator_traitsISY_E10value_typeET2_T3_PNSZ_IS14_E10value_typeET4_jRbjT5_S1A_jjP12ihipStream_tbEUljE_EEESV_SW_SX_S14_S18_S1A_T6_T7_T9_mT8_S1C_bDpT10_ENKUlT_T0_E_clISt17integral_constantIbLb1EES1O_IbLb0EEEEDaS1K_S1L_EUlS1K_E_NS1_11comp_targetILNS1_3genE10ELNS1_11target_archE1200ELNS1_3gpuE4ELNS1_3repE0EEENS1_30default_config_static_selectorELNS0_4arch9wavefront6targetE0EEEvSY_.has_indirect_call, 0
	.section	.AMDGPU.csdata,"",@progbits
; Kernel info:
; codeLenInByte = 0
; TotalNumSgprs: 0
; NumVgprs: 0
; ScratchSize: 0
; MemoryBound: 0
; FloatMode: 240
; IeeeMode: 1
; LDSByteSize: 0 bytes/workgroup (compile time only)
; SGPRBlocks: 0
; VGPRBlocks: 0
; NumSGPRsForWavesPerEU: 1
; NumVGPRsForWavesPerEU: 1
; Occupancy: 16
; WaveLimiterHint : 0
; COMPUTE_PGM_RSRC2:SCRATCH_EN: 0
; COMPUTE_PGM_RSRC2:USER_SGPR: 6
; COMPUTE_PGM_RSRC2:TRAP_HANDLER: 0
; COMPUTE_PGM_RSRC2:TGID_X_EN: 1
; COMPUTE_PGM_RSRC2:TGID_Y_EN: 0
; COMPUTE_PGM_RSRC2:TGID_Z_EN: 0
; COMPUTE_PGM_RSRC2:TIDIG_COMP_CNT: 0
	.section	.text._ZN7rocprim17ROCPRIM_400000_NS6detail17trampoline_kernelINS0_13select_configILj256ELj13ELNS0_17block_load_methodE3ELS4_3ELS4_3ELNS0_20block_scan_algorithmE0ELj4294967295EEENS1_25partition_config_selectorILNS1_17partition_subalgoE3EjNS0_10empty_typeEbEEZZNS1_14partition_implILS8_3ELb0ES6_jNS0_17counting_iteratorIjlEEPS9_SE_NS0_5tupleIJPjSE_EEENSF_IJSE_SE_EEES9_SG_JZNS1_25segmented_radix_sort_implINS0_14default_configELb0EPKfPfPKlPlN2at6native12_GLOBAL__N_18offset_tEEE10hipError_tPvRmT1_PNSt15iterator_traitsISY_E10value_typeET2_T3_PNSZ_IS14_E10value_typeET4_jRbjT5_S1A_jjP12ihipStream_tbEUljE_EEESV_SW_SX_S14_S18_S1A_T6_T7_T9_mT8_S1C_bDpT10_ENKUlT_T0_E_clISt17integral_constantIbLb1EES1O_IbLb0EEEEDaS1K_S1L_EUlS1K_E_NS1_11comp_targetILNS1_3genE9ELNS1_11target_archE1100ELNS1_3gpuE3ELNS1_3repE0EEENS1_30default_config_static_selectorELNS0_4arch9wavefront6targetE0EEEvSY_,"axG",@progbits,_ZN7rocprim17ROCPRIM_400000_NS6detail17trampoline_kernelINS0_13select_configILj256ELj13ELNS0_17block_load_methodE3ELS4_3ELS4_3ELNS0_20block_scan_algorithmE0ELj4294967295EEENS1_25partition_config_selectorILNS1_17partition_subalgoE3EjNS0_10empty_typeEbEEZZNS1_14partition_implILS8_3ELb0ES6_jNS0_17counting_iteratorIjlEEPS9_SE_NS0_5tupleIJPjSE_EEENSF_IJSE_SE_EEES9_SG_JZNS1_25segmented_radix_sort_implINS0_14default_configELb0EPKfPfPKlPlN2at6native12_GLOBAL__N_18offset_tEEE10hipError_tPvRmT1_PNSt15iterator_traitsISY_E10value_typeET2_T3_PNSZ_IS14_E10value_typeET4_jRbjT5_S1A_jjP12ihipStream_tbEUljE_EEESV_SW_SX_S14_S18_S1A_T6_T7_T9_mT8_S1C_bDpT10_ENKUlT_T0_E_clISt17integral_constantIbLb1EES1O_IbLb0EEEEDaS1K_S1L_EUlS1K_E_NS1_11comp_targetILNS1_3genE9ELNS1_11target_archE1100ELNS1_3gpuE3ELNS1_3repE0EEENS1_30default_config_static_selectorELNS0_4arch9wavefront6targetE0EEEvSY_,comdat
	.globl	_ZN7rocprim17ROCPRIM_400000_NS6detail17trampoline_kernelINS0_13select_configILj256ELj13ELNS0_17block_load_methodE3ELS4_3ELS4_3ELNS0_20block_scan_algorithmE0ELj4294967295EEENS1_25partition_config_selectorILNS1_17partition_subalgoE3EjNS0_10empty_typeEbEEZZNS1_14partition_implILS8_3ELb0ES6_jNS0_17counting_iteratorIjlEEPS9_SE_NS0_5tupleIJPjSE_EEENSF_IJSE_SE_EEES9_SG_JZNS1_25segmented_radix_sort_implINS0_14default_configELb0EPKfPfPKlPlN2at6native12_GLOBAL__N_18offset_tEEE10hipError_tPvRmT1_PNSt15iterator_traitsISY_E10value_typeET2_T3_PNSZ_IS14_E10value_typeET4_jRbjT5_S1A_jjP12ihipStream_tbEUljE_EEESV_SW_SX_S14_S18_S1A_T6_T7_T9_mT8_S1C_bDpT10_ENKUlT_T0_E_clISt17integral_constantIbLb1EES1O_IbLb0EEEEDaS1K_S1L_EUlS1K_E_NS1_11comp_targetILNS1_3genE9ELNS1_11target_archE1100ELNS1_3gpuE3ELNS1_3repE0EEENS1_30default_config_static_selectorELNS0_4arch9wavefront6targetE0EEEvSY_ ; -- Begin function _ZN7rocprim17ROCPRIM_400000_NS6detail17trampoline_kernelINS0_13select_configILj256ELj13ELNS0_17block_load_methodE3ELS4_3ELS4_3ELNS0_20block_scan_algorithmE0ELj4294967295EEENS1_25partition_config_selectorILNS1_17partition_subalgoE3EjNS0_10empty_typeEbEEZZNS1_14partition_implILS8_3ELb0ES6_jNS0_17counting_iteratorIjlEEPS9_SE_NS0_5tupleIJPjSE_EEENSF_IJSE_SE_EEES9_SG_JZNS1_25segmented_radix_sort_implINS0_14default_configELb0EPKfPfPKlPlN2at6native12_GLOBAL__N_18offset_tEEE10hipError_tPvRmT1_PNSt15iterator_traitsISY_E10value_typeET2_T3_PNSZ_IS14_E10value_typeET4_jRbjT5_S1A_jjP12ihipStream_tbEUljE_EEESV_SW_SX_S14_S18_S1A_T6_T7_T9_mT8_S1C_bDpT10_ENKUlT_T0_E_clISt17integral_constantIbLb1EES1O_IbLb0EEEEDaS1K_S1L_EUlS1K_E_NS1_11comp_targetILNS1_3genE9ELNS1_11target_archE1100ELNS1_3gpuE3ELNS1_3repE0EEENS1_30default_config_static_selectorELNS0_4arch9wavefront6targetE0EEEvSY_
	.p2align	8
	.type	_ZN7rocprim17ROCPRIM_400000_NS6detail17trampoline_kernelINS0_13select_configILj256ELj13ELNS0_17block_load_methodE3ELS4_3ELS4_3ELNS0_20block_scan_algorithmE0ELj4294967295EEENS1_25partition_config_selectorILNS1_17partition_subalgoE3EjNS0_10empty_typeEbEEZZNS1_14partition_implILS8_3ELb0ES6_jNS0_17counting_iteratorIjlEEPS9_SE_NS0_5tupleIJPjSE_EEENSF_IJSE_SE_EEES9_SG_JZNS1_25segmented_radix_sort_implINS0_14default_configELb0EPKfPfPKlPlN2at6native12_GLOBAL__N_18offset_tEEE10hipError_tPvRmT1_PNSt15iterator_traitsISY_E10value_typeET2_T3_PNSZ_IS14_E10value_typeET4_jRbjT5_S1A_jjP12ihipStream_tbEUljE_EEESV_SW_SX_S14_S18_S1A_T6_T7_T9_mT8_S1C_bDpT10_ENKUlT_T0_E_clISt17integral_constantIbLb1EES1O_IbLb0EEEEDaS1K_S1L_EUlS1K_E_NS1_11comp_targetILNS1_3genE9ELNS1_11target_archE1100ELNS1_3gpuE3ELNS1_3repE0EEENS1_30default_config_static_selectorELNS0_4arch9wavefront6targetE0EEEvSY_,@function
_ZN7rocprim17ROCPRIM_400000_NS6detail17trampoline_kernelINS0_13select_configILj256ELj13ELNS0_17block_load_methodE3ELS4_3ELS4_3ELNS0_20block_scan_algorithmE0ELj4294967295EEENS1_25partition_config_selectorILNS1_17partition_subalgoE3EjNS0_10empty_typeEbEEZZNS1_14partition_implILS8_3ELb0ES6_jNS0_17counting_iteratorIjlEEPS9_SE_NS0_5tupleIJPjSE_EEENSF_IJSE_SE_EEES9_SG_JZNS1_25segmented_radix_sort_implINS0_14default_configELb0EPKfPfPKlPlN2at6native12_GLOBAL__N_18offset_tEEE10hipError_tPvRmT1_PNSt15iterator_traitsISY_E10value_typeET2_T3_PNSZ_IS14_E10value_typeET4_jRbjT5_S1A_jjP12ihipStream_tbEUljE_EEESV_SW_SX_S14_S18_S1A_T6_T7_T9_mT8_S1C_bDpT10_ENKUlT_T0_E_clISt17integral_constantIbLb1EES1O_IbLb0EEEEDaS1K_S1L_EUlS1K_E_NS1_11comp_targetILNS1_3genE9ELNS1_11target_archE1100ELNS1_3gpuE3ELNS1_3repE0EEENS1_30default_config_static_selectorELNS0_4arch9wavefront6targetE0EEEvSY_: ; @_ZN7rocprim17ROCPRIM_400000_NS6detail17trampoline_kernelINS0_13select_configILj256ELj13ELNS0_17block_load_methodE3ELS4_3ELS4_3ELNS0_20block_scan_algorithmE0ELj4294967295EEENS1_25partition_config_selectorILNS1_17partition_subalgoE3EjNS0_10empty_typeEbEEZZNS1_14partition_implILS8_3ELb0ES6_jNS0_17counting_iteratorIjlEEPS9_SE_NS0_5tupleIJPjSE_EEENSF_IJSE_SE_EEES9_SG_JZNS1_25segmented_radix_sort_implINS0_14default_configELb0EPKfPfPKlPlN2at6native12_GLOBAL__N_18offset_tEEE10hipError_tPvRmT1_PNSt15iterator_traitsISY_E10value_typeET2_T3_PNSZ_IS14_E10value_typeET4_jRbjT5_S1A_jjP12ihipStream_tbEUljE_EEESV_SW_SX_S14_S18_S1A_T6_T7_T9_mT8_S1C_bDpT10_ENKUlT_T0_E_clISt17integral_constantIbLb1EES1O_IbLb0EEEEDaS1K_S1L_EUlS1K_E_NS1_11comp_targetILNS1_3genE9ELNS1_11target_archE1100ELNS1_3gpuE3ELNS1_3repE0EEENS1_30default_config_static_selectorELNS0_4arch9wavefront6targetE0EEEvSY_
; %bb.0:
	.section	.rodata,"a",@progbits
	.p2align	6, 0x0
	.amdhsa_kernel _ZN7rocprim17ROCPRIM_400000_NS6detail17trampoline_kernelINS0_13select_configILj256ELj13ELNS0_17block_load_methodE3ELS4_3ELS4_3ELNS0_20block_scan_algorithmE0ELj4294967295EEENS1_25partition_config_selectorILNS1_17partition_subalgoE3EjNS0_10empty_typeEbEEZZNS1_14partition_implILS8_3ELb0ES6_jNS0_17counting_iteratorIjlEEPS9_SE_NS0_5tupleIJPjSE_EEENSF_IJSE_SE_EEES9_SG_JZNS1_25segmented_radix_sort_implINS0_14default_configELb0EPKfPfPKlPlN2at6native12_GLOBAL__N_18offset_tEEE10hipError_tPvRmT1_PNSt15iterator_traitsISY_E10value_typeET2_T3_PNSZ_IS14_E10value_typeET4_jRbjT5_S1A_jjP12ihipStream_tbEUljE_EEESV_SW_SX_S14_S18_S1A_T6_T7_T9_mT8_S1C_bDpT10_ENKUlT_T0_E_clISt17integral_constantIbLb1EES1O_IbLb0EEEEDaS1K_S1L_EUlS1K_E_NS1_11comp_targetILNS1_3genE9ELNS1_11target_archE1100ELNS1_3gpuE3ELNS1_3repE0EEENS1_30default_config_static_selectorELNS0_4arch9wavefront6targetE0EEEvSY_
		.amdhsa_group_segment_fixed_size 0
		.amdhsa_private_segment_fixed_size 0
		.amdhsa_kernarg_size 144
		.amdhsa_user_sgpr_count 6
		.amdhsa_user_sgpr_private_segment_buffer 1
		.amdhsa_user_sgpr_dispatch_ptr 0
		.amdhsa_user_sgpr_queue_ptr 0
		.amdhsa_user_sgpr_kernarg_segment_ptr 1
		.amdhsa_user_sgpr_dispatch_id 0
		.amdhsa_user_sgpr_flat_scratch_init 0
		.amdhsa_user_sgpr_private_segment_size 0
		.amdhsa_wavefront_size32 1
		.amdhsa_uses_dynamic_stack 0
		.amdhsa_system_sgpr_private_segment_wavefront_offset 0
		.amdhsa_system_sgpr_workgroup_id_x 1
		.amdhsa_system_sgpr_workgroup_id_y 0
		.amdhsa_system_sgpr_workgroup_id_z 0
		.amdhsa_system_sgpr_workgroup_info 0
		.amdhsa_system_vgpr_workitem_id 0
		.amdhsa_next_free_vgpr 1
		.amdhsa_next_free_sgpr 1
		.amdhsa_reserve_vcc 0
		.amdhsa_reserve_flat_scratch 0
		.amdhsa_float_round_mode_32 0
		.amdhsa_float_round_mode_16_64 0
		.amdhsa_float_denorm_mode_32 3
		.amdhsa_float_denorm_mode_16_64 3
		.amdhsa_dx10_clamp 1
		.amdhsa_ieee_mode 1
		.amdhsa_fp16_overflow 0
		.amdhsa_workgroup_processor_mode 1
		.amdhsa_memory_ordered 1
		.amdhsa_forward_progress 1
		.amdhsa_shared_vgpr_count 0
		.amdhsa_exception_fp_ieee_invalid_op 0
		.amdhsa_exception_fp_denorm_src 0
		.amdhsa_exception_fp_ieee_div_zero 0
		.amdhsa_exception_fp_ieee_overflow 0
		.amdhsa_exception_fp_ieee_underflow 0
		.amdhsa_exception_fp_ieee_inexact 0
		.amdhsa_exception_int_div_zero 0
	.end_amdhsa_kernel
	.section	.text._ZN7rocprim17ROCPRIM_400000_NS6detail17trampoline_kernelINS0_13select_configILj256ELj13ELNS0_17block_load_methodE3ELS4_3ELS4_3ELNS0_20block_scan_algorithmE0ELj4294967295EEENS1_25partition_config_selectorILNS1_17partition_subalgoE3EjNS0_10empty_typeEbEEZZNS1_14partition_implILS8_3ELb0ES6_jNS0_17counting_iteratorIjlEEPS9_SE_NS0_5tupleIJPjSE_EEENSF_IJSE_SE_EEES9_SG_JZNS1_25segmented_radix_sort_implINS0_14default_configELb0EPKfPfPKlPlN2at6native12_GLOBAL__N_18offset_tEEE10hipError_tPvRmT1_PNSt15iterator_traitsISY_E10value_typeET2_T3_PNSZ_IS14_E10value_typeET4_jRbjT5_S1A_jjP12ihipStream_tbEUljE_EEESV_SW_SX_S14_S18_S1A_T6_T7_T9_mT8_S1C_bDpT10_ENKUlT_T0_E_clISt17integral_constantIbLb1EES1O_IbLb0EEEEDaS1K_S1L_EUlS1K_E_NS1_11comp_targetILNS1_3genE9ELNS1_11target_archE1100ELNS1_3gpuE3ELNS1_3repE0EEENS1_30default_config_static_selectorELNS0_4arch9wavefront6targetE0EEEvSY_,"axG",@progbits,_ZN7rocprim17ROCPRIM_400000_NS6detail17trampoline_kernelINS0_13select_configILj256ELj13ELNS0_17block_load_methodE3ELS4_3ELS4_3ELNS0_20block_scan_algorithmE0ELj4294967295EEENS1_25partition_config_selectorILNS1_17partition_subalgoE3EjNS0_10empty_typeEbEEZZNS1_14partition_implILS8_3ELb0ES6_jNS0_17counting_iteratorIjlEEPS9_SE_NS0_5tupleIJPjSE_EEENSF_IJSE_SE_EEES9_SG_JZNS1_25segmented_radix_sort_implINS0_14default_configELb0EPKfPfPKlPlN2at6native12_GLOBAL__N_18offset_tEEE10hipError_tPvRmT1_PNSt15iterator_traitsISY_E10value_typeET2_T3_PNSZ_IS14_E10value_typeET4_jRbjT5_S1A_jjP12ihipStream_tbEUljE_EEESV_SW_SX_S14_S18_S1A_T6_T7_T9_mT8_S1C_bDpT10_ENKUlT_T0_E_clISt17integral_constantIbLb1EES1O_IbLb0EEEEDaS1K_S1L_EUlS1K_E_NS1_11comp_targetILNS1_3genE9ELNS1_11target_archE1100ELNS1_3gpuE3ELNS1_3repE0EEENS1_30default_config_static_selectorELNS0_4arch9wavefront6targetE0EEEvSY_,comdat
.Lfunc_end1410:
	.size	_ZN7rocprim17ROCPRIM_400000_NS6detail17trampoline_kernelINS0_13select_configILj256ELj13ELNS0_17block_load_methodE3ELS4_3ELS4_3ELNS0_20block_scan_algorithmE0ELj4294967295EEENS1_25partition_config_selectorILNS1_17partition_subalgoE3EjNS0_10empty_typeEbEEZZNS1_14partition_implILS8_3ELb0ES6_jNS0_17counting_iteratorIjlEEPS9_SE_NS0_5tupleIJPjSE_EEENSF_IJSE_SE_EEES9_SG_JZNS1_25segmented_radix_sort_implINS0_14default_configELb0EPKfPfPKlPlN2at6native12_GLOBAL__N_18offset_tEEE10hipError_tPvRmT1_PNSt15iterator_traitsISY_E10value_typeET2_T3_PNSZ_IS14_E10value_typeET4_jRbjT5_S1A_jjP12ihipStream_tbEUljE_EEESV_SW_SX_S14_S18_S1A_T6_T7_T9_mT8_S1C_bDpT10_ENKUlT_T0_E_clISt17integral_constantIbLb1EES1O_IbLb0EEEEDaS1K_S1L_EUlS1K_E_NS1_11comp_targetILNS1_3genE9ELNS1_11target_archE1100ELNS1_3gpuE3ELNS1_3repE0EEENS1_30default_config_static_selectorELNS0_4arch9wavefront6targetE0EEEvSY_, .Lfunc_end1410-_ZN7rocprim17ROCPRIM_400000_NS6detail17trampoline_kernelINS0_13select_configILj256ELj13ELNS0_17block_load_methodE3ELS4_3ELS4_3ELNS0_20block_scan_algorithmE0ELj4294967295EEENS1_25partition_config_selectorILNS1_17partition_subalgoE3EjNS0_10empty_typeEbEEZZNS1_14partition_implILS8_3ELb0ES6_jNS0_17counting_iteratorIjlEEPS9_SE_NS0_5tupleIJPjSE_EEENSF_IJSE_SE_EEES9_SG_JZNS1_25segmented_radix_sort_implINS0_14default_configELb0EPKfPfPKlPlN2at6native12_GLOBAL__N_18offset_tEEE10hipError_tPvRmT1_PNSt15iterator_traitsISY_E10value_typeET2_T3_PNSZ_IS14_E10value_typeET4_jRbjT5_S1A_jjP12ihipStream_tbEUljE_EEESV_SW_SX_S14_S18_S1A_T6_T7_T9_mT8_S1C_bDpT10_ENKUlT_T0_E_clISt17integral_constantIbLb1EES1O_IbLb0EEEEDaS1K_S1L_EUlS1K_E_NS1_11comp_targetILNS1_3genE9ELNS1_11target_archE1100ELNS1_3gpuE3ELNS1_3repE0EEENS1_30default_config_static_selectorELNS0_4arch9wavefront6targetE0EEEvSY_
                                        ; -- End function
	.set _ZN7rocprim17ROCPRIM_400000_NS6detail17trampoline_kernelINS0_13select_configILj256ELj13ELNS0_17block_load_methodE3ELS4_3ELS4_3ELNS0_20block_scan_algorithmE0ELj4294967295EEENS1_25partition_config_selectorILNS1_17partition_subalgoE3EjNS0_10empty_typeEbEEZZNS1_14partition_implILS8_3ELb0ES6_jNS0_17counting_iteratorIjlEEPS9_SE_NS0_5tupleIJPjSE_EEENSF_IJSE_SE_EEES9_SG_JZNS1_25segmented_radix_sort_implINS0_14default_configELb0EPKfPfPKlPlN2at6native12_GLOBAL__N_18offset_tEEE10hipError_tPvRmT1_PNSt15iterator_traitsISY_E10value_typeET2_T3_PNSZ_IS14_E10value_typeET4_jRbjT5_S1A_jjP12ihipStream_tbEUljE_EEESV_SW_SX_S14_S18_S1A_T6_T7_T9_mT8_S1C_bDpT10_ENKUlT_T0_E_clISt17integral_constantIbLb1EES1O_IbLb0EEEEDaS1K_S1L_EUlS1K_E_NS1_11comp_targetILNS1_3genE9ELNS1_11target_archE1100ELNS1_3gpuE3ELNS1_3repE0EEENS1_30default_config_static_selectorELNS0_4arch9wavefront6targetE0EEEvSY_.num_vgpr, 0
	.set _ZN7rocprim17ROCPRIM_400000_NS6detail17trampoline_kernelINS0_13select_configILj256ELj13ELNS0_17block_load_methodE3ELS4_3ELS4_3ELNS0_20block_scan_algorithmE0ELj4294967295EEENS1_25partition_config_selectorILNS1_17partition_subalgoE3EjNS0_10empty_typeEbEEZZNS1_14partition_implILS8_3ELb0ES6_jNS0_17counting_iteratorIjlEEPS9_SE_NS0_5tupleIJPjSE_EEENSF_IJSE_SE_EEES9_SG_JZNS1_25segmented_radix_sort_implINS0_14default_configELb0EPKfPfPKlPlN2at6native12_GLOBAL__N_18offset_tEEE10hipError_tPvRmT1_PNSt15iterator_traitsISY_E10value_typeET2_T3_PNSZ_IS14_E10value_typeET4_jRbjT5_S1A_jjP12ihipStream_tbEUljE_EEESV_SW_SX_S14_S18_S1A_T6_T7_T9_mT8_S1C_bDpT10_ENKUlT_T0_E_clISt17integral_constantIbLb1EES1O_IbLb0EEEEDaS1K_S1L_EUlS1K_E_NS1_11comp_targetILNS1_3genE9ELNS1_11target_archE1100ELNS1_3gpuE3ELNS1_3repE0EEENS1_30default_config_static_selectorELNS0_4arch9wavefront6targetE0EEEvSY_.num_agpr, 0
	.set _ZN7rocprim17ROCPRIM_400000_NS6detail17trampoline_kernelINS0_13select_configILj256ELj13ELNS0_17block_load_methodE3ELS4_3ELS4_3ELNS0_20block_scan_algorithmE0ELj4294967295EEENS1_25partition_config_selectorILNS1_17partition_subalgoE3EjNS0_10empty_typeEbEEZZNS1_14partition_implILS8_3ELb0ES6_jNS0_17counting_iteratorIjlEEPS9_SE_NS0_5tupleIJPjSE_EEENSF_IJSE_SE_EEES9_SG_JZNS1_25segmented_radix_sort_implINS0_14default_configELb0EPKfPfPKlPlN2at6native12_GLOBAL__N_18offset_tEEE10hipError_tPvRmT1_PNSt15iterator_traitsISY_E10value_typeET2_T3_PNSZ_IS14_E10value_typeET4_jRbjT5_S1A_jjP12ihipStream_tbEUljE_EEESV_SW_SX_S14_S18_S1A_T6_T7_T9_mT8_S1C_bDpT10_ENKUlT_T0_E_clISt17integral_constantIbLb1EES1O_IbLb0EEEEDaS1K_S1L_EUlS1K_E_NS1_11comp_targetILNS1_3genE9ELNS1_11target_archE1100ELNS1_3gpuE3ELNS1_3repE0EEENS1_30default_config_static_selectorELNS0_4arch9wavefront6targetE0EEEvSY_.numbered_sgpr, 0
	.set _ZN7rocprim17ROCPRIM_400000_NS6detail17trampoline_kernelINS0_13select_configILj256ELj13ELNS0_17block_load_methodE3ELS4_3ELS4_3ELNS0_20block_scan_algorithmE0ELj4294967295EEENS1_25partition_config_selectorILNS1_17partition_subalgoE3EjNS0_10empty_typeEbEEZZNS1_14partition_implILS8_3ELb0ES6_jNS0_17counting_iteratorIjlEEPS9_SE_NS0_5tupleIJPjSE_EEENSF_IJSE_SE_EEES9_SG_JZNS1_25segmented_radix_sort_implINS0_14default_configELb0EPKfPfPKlPlN2at6native12_GLOBAL__N_18offset_tEEE10hipError_tPvRmT1_PNSt15iterator_traitsISY_E10value_typeET2_T3_PNSZ_IS14_E10value_typeET4_jRbjT5_S1A_jjP12ihipStream_tbEUljE_EEESV_SW_SX_S14_S18_S1A_T6_T7_T9_mT8_S1C_bDpT10_ENKUlT_T0_E_clISt17integral_constantIbLb1EES1O_IbLb0EEEEDaS1K_S1L_EUlS1K_E_NS1_11comp_targetILNS1_3genE9ELNS1_11target_archE1100ELNS1_3gpuE3ELNS1_3repE0EEENS1_30default_config_static_selectorELNS0_4arch9wavefront6targetE0EEEvSY_.num_named_barrier, 0
	.set _ZN7rocprim17ROCPRIM_400000_NS6detail17trampoline_kernelINS0_13select_configILj256ELj13ELNS0_17block_load_methodE3ELS4_3ELS4_3ELNS0_20block_scan_algorithmE0ELj4294967295EEENS1_25partition_config_selectorILNS1_17partition_subalgoE3EjNS0_10empty_typeEbEEZZNS1_14partition_implILS8_3ELb0ES6_jNS0_17counting_iteratorIjlEEPS9_SE_NS0_5tupleIJPjSE_EEENSF_IJSE_SE_EEES9_SG_JZNS1_25segmented_radix_sort_implINS0_14default_configELb0EPKfPfPKlPlN2at6native12_GLOBAL__N_18offset_tEEE10hipError_tPvRmT1_PNSt15iterator_traitsISY_E10value_typeET2_T3_PNSZ_IS14_E10value_typeET4_jRbjT5_S1A_jjP12ihipStream_tbEUljE_EEESV_SW_SX_S14_S18_S1A_T6_T7_T9_mT8_S1C_bDpT10_ENKUlT_T0_E_clISt17integral_constantIbLb1EES1O_IbLb0EEEEDaS1K_S1L_EUlS1K_E_NS1_11comp_targetILNS1_3genE9ELNS1_11target_archE1100ELNS1_3gpuE3ELNS1_3repE0EEENS1_30default_config_static_selectorELNS0_4arch9wavefront6targetE0EEEvSY_.private_seg_size, 0
	.set _ZN7rocprim17ROCPRIM_400000_NS6detail17trampoline_kernelINS0_13select_configILj256ELj13ELNS0_17block_load_methodE3ELS4_3ELS4_3ELNS0_20block_scan_algorithmE0ELj4294967295EEENS1_25partition_config_selectorILNS1_17partition_subalgoE3EjNS0_10empty_typeEbEEZZNS1_14partition_implILS8_3ELb0ES6_jNS0_17counting_iteratorIjlEEPS9_SE_NS0_5tupleIJPjSE_EEENSF_IJSE_SE_EEES9_SG_JZNS1_25segmented_radix_sort_implINS0_14default_configELb0EPKfPfPKlPlN2at6native12_GLOBAL__N_18offset_tEEE10hipError_tPvRmT1_PNSt15iterator_traitsISY_E10value_typeET2_T3_PNSZ_IS14_E10value_typeET4_jRbjT5_S1A_jjP12ihipStream_tbEUljE_EEESV_SW_SX_S14_S18_S1A_T6_T7_T9_mT8_S1C_bDpT10_ENKUlT_T0_E_clISt17integral_constantIbLb1EES1O_IbLb0EEEEDaS1K_S1L_EUlS1K_E_NS1_11comp_targetILNS1_3genE9ELNS1_11target_archE1100ELNS1_3gpuE3ELNS1_3repE0EEENS1_30default_config_static_selectorELNS0_4arch9wavefront6targetE0EEEvSY_.uses_vcc, 0
	.set _ZN7rocprim17ROCPRIM_400000_NS6detail17trampoline_kernelINS0_13select_configILj256ELj13ELNS0_17block_load_methodE3ELS4_3ELS4_3ELNS0_20block_scan_algorithmE0ELj4294967295EEENS1_25partition_config_selectorILNS1_17partition_subalgoE3EjNS0_10empty_typeEbEEZZNS1_14partition_implILS8_3ELb0ES6_jNS0_17counting_iteratorIjlEEPS9_SE_NS0_5tupleIJPjSE_EEENSF_IJSE_SE_EEES9_SG_JZNS1_25segmented_radix_sort_implINS0_14default_configELb0EPKfPfPKlPlN2at6native12_GLOBAL__N_18offset_tEEE10hipError_tPvRmT1_PNSt15iterator_traitsISY_E10value_typeET2_T3_PNSZ_IS14_E10value_typeET4_jRbjT5_S1A_jjP12ihipStream_tbEUljE_EEESV_SW_SX_S14_S18_S1A_T6_T7_T9_mT8_S1C_bDpT10_ENKUlT_T0_E_clISt17integral_constantIbLb1EES1O_IbLb0EEEEDaS1K_S1L_EUlS1K_E_NS1_11comp_targetILNS1_3genE9ELNS1_11target_archE1100ELNS1_3gpuE3ELNS1_3repE0EEENS1_30default_config_static_selectorELNS0_4arch9wavefront6targetE0EEEvSY_.uses_flat_scratch, 0
	.set _ZN7rocprim17ROCPRIM_400000_NS6detail17trampoline_kernelINS0_13select_configILj256ELj13ELNS0_17block_load_methodE3ELS4_3ELS4_3ELNS0_20block_scan_algorithmE0ELj4294967295EEENS1_25partition_config_selectorILNS1_17partition_subalgoE3EjNS0_10empty_typeEbEEZZNS1_14partition_implILS8_3ELb0ES6_jNS0_17counting_iteratorIjlEEPS9_SE_NS0_5tupleIJPjSE_EEENSF_IJSE_SE_EEES9_SG_JZNS1_25segmented_radix_sort_implINS0_14default_configELb0EPKfPfPKlPlN2at6native12_GLOBAL__N_18offset_tEEE10hipError_tPvRmT1_PNSt15iterator_traitsISY_E10value_typeET2_T3_PNSZ_IS14_E10value_typeET4_jRbjT5_S1A_jjP12ihipStream_tbEUljE_EEESV_SW_SX_S14_S18_S1A_T6_T7_T9_mT8_S1C_bDpT10_ENKUlT_T0_E_clISt17integral_constantIbLb1EES1O_IbLb0EEEEDaS1K_S1L_EUlS1K_E_NS1_11comp_targetILNS1_3genE9ELNS1_11target_archE1100ELNS1_3gpuE3ELNS1_3repE0EEENS1_30default_config_static_selectorELNS0_4arch9wavefront6targetE0EEEvSY_.has_dyn_sized_stack, 0
	.set _ZN7rocprim17ROCPRIM_400000_NS6detail17trampoline_kernelINS0_13select_configILj256ELj13ELNS0_17block_load_methodE3ELS4_3ELS4_3ELNS0_20block_scan_algorithmE0ELj4294967295EEENS1_25partition_config_selectorILNS1_17partition_subalgoE3EjNS0_10empty_typeEbEEZZNS1_14partition_implILS8_3ELb0ES6_jNS0_17counting_iteratorIjlEEPS9_SE_NS0_5tupleIJPjSE_EEENSF_IJSE_SE_EEES9_SG_JZNS1_25segmented_radix_sort_implINS0_14default_configELb0EPKfPfPKlPlN2at6native12_GLOBAL__N_18offset_tEEE10hipError_tPvRmT1_PNSt15iterator_traitsISY_E10value_typeET2_T3_PNSZ_IS14_E10value_typeET4_jRbjT5_S1A_jjP12ihipStream_tbEUljE_EEESV_SW_SX_S14_S18_S1A_T6_T7_T9_mT8_S1C_bDpT10_ENKUlT_T0_E_clISt17integral_constantIbLb1EES1O_IbLb0EEEEDaS1K_S1L_EUlS1K_E_NS1_11comp_targetILNS1_3genE9ELNS1_11target_archE1100ELNS1_3gpuE3ELNS1_3repE0EEENS1_30default_config_static_selectorELNS0_4arch9wavefront6targetE0EEEvSY_.has_recursion, 0
	.set _ZN7rocprim17ROCPRIM_400000_NS6detail17trampoline_kernelINS0_13select_configILj256ELj13ELNS0_17block_load_methodE3ELS4_3ELS4_3ELNS0_20block_scan_algorithmE0ELj4294967295EEENS1_25partition_config_selectorILNS1_17partition_subalgoE3EjNS0_10empty_typeEbEEZZNS1_14partition_implILS8_3ELb0ES6_jNS0_17counting_iteratorIjlEEPS9_SE_NS0_5tupleIJPjSE_EEENSF_IJSE_SE_EEES9_SG_JZNS1_25segmented_radix_sort_implINS0_14default_configELb0EPKfPfPKlPlN2at6native12_GLOBAL__N_18offset_tEEE10hipError_tPvRmT1_PNSt15iterator_traitsISY_E10value_typeET2_T3_PNSZ_IS14_E10value_typeET4_jRbjT5_S1A_jjP12ihipStream_tbEUljE_EEESV_SW_SX_S14_S18_S1A_T6_T7_T9_mT8_S1C_bDpT10_ENKUlT_T0_E_clISt17integral_constantIbLb1EES1O_IbLb0EEEEDaS1K_S1L_EUlS1K_E_NS1_11comp_targetILNS1_3genE9ELNS1_11target_archE1100ELNS1_3gpuE3ELNS1_3repE0EEENS1_30default_config_static_selectorELNS0_4arch9wavefront6targetE0EEEvSY_.has_indirect_call, 0
	.section	.AMDGPU.csdata,"",@progbits
; Kernel info:
; codeLenInByte = 0
; TotalNumSgprs: 0
; NumVgprs: 0
; ScratchSize: 0
; MemoryBound: 0
; FloatMode: 240
; IeeeMode: 1
; LDSByteSize: 0 bytes/workgroup (compile time only)
; SGPRBlocks: 0
; VGPRBlocks: 0
; NumSGPRsForWavesPerEU: 1
; NumVGPRsForWavesPerEU: 1
; Occupancy: 16
; WaveLimiterHint : 0
; COMPUTE_PGM_RSRC2:SCRATCH_EN: 0
; COMPUTE_PGM_RSRC2:USER_SGPR: 6
; COMPUTE_PGM_RSRC2:TRAP_HANDLER: 0
; COMPUTE_PGM_RSRC2:TGID_X_EN: 1
; COMPUTE_PGM_RSRC2:TGID_Y_EN: 0
; COMPUTE_PGM_RSRC2:TGID_Z_EN: 0
; COMPUTE_PGM_RSRC2:TIDIG_COMP_CNT: 0
	.section	.text._ZN7rocprim17ROCPRIM_400000_NS6detail17trampoline_kernelINS0_13select_configILj256ELj13ELNS0_17block_load_methodE3ELS4_3ELS4_3ELNS0_20block_scan_algorithmE0ELj4294967295EEENS1_25partition_config_selectorILNS1_17partition_subalgoE3EjNS0_10empty_typeEbEEZZNS1_14partition_implILS8_3ELb0ES6_jNS0_17counting_iteratorIjlEEPS9_SE_NS0_5tupleIJPjSE_EEENSF_IJSE_SE_EEES9_SG_JZNS1_25segmented_radix_sort_implINS0_14default_configELb0EPKfPfPKlPlN2at6native12_GLOBAL__N_18offset_tEEE10hipError_tPvRmT1_PNSt15iterator_traitsISY_E10value_typeET2_T3_PNSZ_IS14_E10value_typeET4_jRbjT5_S1A_jjP12ihipStream_tbEUljE_EEESV_SW_SX_S14_S18_S1A_T6_T7_T9_mT8_S1C_bDpT10_ENKUlT_T0_E_clISt17integral_constantIbLb1EES1O_IbLb0EEEEDaS1K_S1L_EUlS1K_E_NS1_11comp_targetILNS1_3genE8ELNS1_11target_archE1030ELNS1_3gpuE2ELNS1_3repE0EEENS1_30default_config_static_selectorELNS0_4arch9wavefront6targetE0EEEvSY_,"axG",@progbits,_ZN7rocprim17ROCPRIM_400000_NS6detail17trampoline_kernelINS0_13select_configILj256ELj13ELNS0_17block_load_methodE3ELS4_3ELS4_3ELNS0_20block_scan_algorithmE0ELj4294967295EEENS1_25partition_config_selectorILNS1_17partition_subalgoE3EjNS0_10empty_typeEbEEZZNS1_14partition_implILS8_3ELb0ES6_jNS0_17counting_iteratorIjlEEPS9_SE_NS0_5tupleIJPjSE_EEENSF_IJSE_SE_EEES9_SG_JZNS1_25segmented_radix_sort_implINS0_14default_configELb0EPKfPfPKlPlN2at6native12_GLOBAL__N_18offset_tEEE10hipError_tPvRmT1_PNSt15iterator_traitsISY_E10value_typeET2_T3_PNSZ_IS14_E10value_typeET4_jRbjT5_S1A_jjP12ihipStream_tbEUljE_EEESV_SW_SX_S14_S18_S1A_T6_T7_T9_mT8_S1C_bDpT10_ENKUlT_T0_E_clISt17integral_constantIbLb1EES1O_IbLb0EEEEDaS1K_S1L_EUlS1K_E_NS1_11comp_targetILNS1_3genE8ELNS1_11target_archE1030ELNS1_3gpuE2ELNS1_3repE0EEENS1_30default_config_static_selectorELNS0_4arch9wavefront6targetE0EEEvSY_,comdat
	.globl	_ZN7rocprim17ROCPRIM_400000_NS6detail17trampoline_kernelINS0_13select_configILj256ELj13ELNS0_17block_load_methodE3ELS4_3ELS4_3ELNS0_20block_scan_algorithmE0ELj4294967295EEENS1_25partition_config_selectorILNS1_17partition_subalgoE3EjNS0_10empty_typeEbEEZZNS1_14partition_implILS8_3ELb0ES6_jNS0_17counting_iteratorIjlEEPS9_SE_NS0_5tupleIJPjSE_EEENSF_IJSE_SE_EEES9_SG_JZNS1_25segmented_radix_sort_implINS0_14default_configELb0EPKfPfPKlPlN2at6native12_GLOBAL__N_18offset_tEEE10hipError_tPvRmT1_PNSt15iterator_traitsISY_E10value_typeET2_T3_PNSZ_IS14_E10value_typeET4_jRbjT5_S1A_jjP12ihipStream_tbEUljE_EEESV_SW_SX_S14_S18_S1A_T6_T7_T9_mT8_S1C_bDpT10_ENKUlT_T0_E_clISt17integral_constantIbLb1EES1O_IbLb0EEEEDaS1K_S1L_EUlS1K_E_NS1_11comp_targetILNS1_3genE8ELNS1_11target_archE1030ELNS1_3gpuE2ELNS1_3repE0EEENS1_30default_config_static_selectorELNS0_4arch9wavefront6targetE0EEEvSY_ ; -- Begin function _ZN7rocprim17ROCPRIM_400000_NS6detail17trampoline_kernelINS0_13select_configILj256ELj13ELNS0_17block_load_methodE3ELS4_3ELS4_3ELNS0_20block_scan_algorithmE0ELj4294967295EEENS1_25partition_config_selectorILNS1_17partition_subalgoE3EjNS0_10empty_typeEbEEZZNS1_14partition_implILS8_3ELb0ES6_jNS0_17counting_iteratorIjlEEPS9_SE_NS0_5tupleIJPjSE_EEENSF_IJSE_SE_EEES9_SG_JZNS1_25segmented_radix_sort_implINS0_14default_configELb0EPKfPfPKlPlN2at6native12_GLOBAL__N_18offset_tEEE10hipError_tPvRmT1_PNSt15iterator_traitsISY_E10value_typeET2_T3_PNSZ_IS14_E10value_typeET4_jRbjT5_S1A_jjP12ihipStream_tbEUljE_EEESV_SW_SX_S14_S18_S1A_T6_T7_T9_mT8_S1C_bDpT10_ENKUlT_T0_E_clISt17integral_constantIbLb1EES1O_IbLb0EEEEDaS1K_S1L_EUlS1K_E_NS1_11comp_targetILNS1_3genE8ELNS1_11target_archE1030ELNS1_3gpuE2ELNS1_3repE0EEENS1_30default_config_static_selectorELNS0_4arch9wavefront6targetE0EEEvSY_
	.p2align	8
	.type	_ZN7rocprim17ROCPRIM_400000_NS6detail17trampoline_kernelINS0_13select_configILj256ELj13ELNS0_17block_load_methodE3ELS4_3ELS4_3ELNS0_20block_scan_algorithmE0ELj4294967295EEENS1_25partition_config_selectorILNS1_17partition_subalgoE3EjNS0_10empty_typeEbEEZZNS1_14partition_implILS8_3ELb0ES6_jNS0_17counting_iteratorIjlEEPS9_SE_NS0_5tupleIJPjSE_EEENSF_IJSE_SE_EEES9_SG_JZNS1_25segmented_radix_sort_implINS0_14default_configELb0EPKfPfPKlPlN2at6native12_GLOBAL__N_18offset_tEEE10hipError_tPvRmT1_PNSt15iterator_traitsISY_E10value_typeET2_T3_PNSZ_IS14_E10value_typeET4_jRbjT5_S1A_jjP12ihipStream_tbEUljE_EEESV_SW_SX_S14_S18_S1A_T6_T7_T9_mT8_S1C_bDpT10_ENKUlT_T0_E_clISt17integral_constantIbLb1EES1O_IbLb0EEEEDaS1K_S1L_EUlS1K_E_NS1_11comp_targetILNS1_3genE8ELNS1_11target_archE1030ELNS1_3gpuE2ELNS1_3repE0EEENS1_30default_config_static_selectorELNS0_4arch9wavefront6targetE0EEEvSY_,@function
_ZN7rocprim17ROCPRIM_400000_NS6detail17trampoline_kernelINS0_13select_configILj256ELj13ELNS0_17block_load_methodE3ELS4_3ELS4_3ELNS0_20block_scan_algorithmE0ELj4294967295EEENS1_25partition_config_selectorILNS1_17partition_subalgoE3EjNS0_10empty_typeEbEEZZNS1_14partition_implILS8_3ELb0ES6_jNS0_17counting_iteratorIjlEEPS9_SE_NS0_5tupleIJPjSE_EEENSF_IJSE_SE_EEES9_SG_JZNS1_25segmented_radix_sort_implINS0_14default_configELb0EPKfPfPKlPlN2at6native12_GLOBAL__N_18offset_tEEE10hipError_tPvRmT1_PNSt15iterator_traitsISY_E10value_typeET2_T3_PNSZ_IS14_E10value_typeET4_jRbjT5_S1A_jjP12ihipStream_tbEUljE_EEESV_SW_SX_S14_S18_S1A_T6_T7_T9_mT8_S1C_bDpT10_ENKUlT_T0_E_clISt17integral_constantIbLb1EES1O_IbLb0EEEEDaS1K_S1L_EUlS1K_E_NS1_11comp_targetILNS1_3genE8ELNS1_11target_archE1030ELNS1_3gpuE2ELNS1_3repE0EEENS1_30default_config_static_selectorELNS0_4arch9wavefront6targetE0EEEvSY_: ; @_ZN7rocprim17ROCPRIM_400000_NS6detail17trampoline_kernelINS0_13select_configILj256ELj13ELNS0_17block_load_methodE3ELS4_3ELS4_3ELNS0_20block_scan_algorithmE0ELj4294967295EEENS1_25partition_config_selectorILNS1_17partition_subalgoE3EjNS0_10empty_typeEbEEZZNS1_14partition_implILS8_3ELb0ES6_jNS0_17counting_iteratorIjlEEPS9_SE_NS0_5tupleIJPjSE_EEENSF_IJSE_SE_EEES9_SG_JZNS1_25segmented_radix_sort_implINS0_14default_configELb0EPKfPfPKlPlN2at6native12_GLOBAL__N_18offset_tEEE10hipError_tPvRmT1_PNSt15iterator_traitsISY_E10value_typeET2_T3_PNSZ_IS14_E10value_typeET4_jRbjT5_S1A_jjP12ihipStream_tbEUljE_EEESV_SW_SX_S14_S18_S1A_T6_T7_T9_mT8_S1C_bDpT10_ENKUlT_T0_E_clISt17integral_constantIbLb1EES1O_IbLb0EEEEDaS1K_S1L_EUlS1K_E_NS1_11comp_targetILNS1_3genE8ELNS1_11target_archE1030ELNS1_3gpuE2ELNS1_3repE0EEENS1_30default_config_static_selectorELNS0_4arch9wavefront6targetE0EEEvSY_
; %bb.0:
	s_endpgm
	.section	.rodata,"a",@progbits
	.p2align	6, 0x0
	.amdhsa_kernel _ZN7rocprim17ROCPRIM_400000_NS6detail17trampoline_kernelINS0_13select_configILj256ELj13ELNS0_17block_load_methodE3ELS4_3ELS4_3ELNS0_20block_scan_algorithmE0ELj4294967295EEENS1_25partition_config_selectorILNS1_17partition_subalgoE3EjNS0_10empty_typeEbEEZZNS1_14partition_implILS8_3ELb0ES6_jNS0_17counting_iteratorIjlEEPS9_SE_NS0_5tupleIJPjSE_EEENSF_IJSE_SE_EEES9_SG_JZNS1_25segmented_radix_sort_implINS0_14default_configELb0EPKfPfPKlPlN2at6native12_GLOBAL__N_18offset_tEEE10hipError_tPvRmT1_PNSt15iterator_traitsISY_E10value_typeET2_T3_PNSZ_IS14_E10value_typeET4_jRbjT5_S1A_jjP12ihipStream_tbEUljE_EEESV_SW_SX_S14_S18_S1A_T6_T7_T9_mT8_S1C_bDpT10_ENKUlT_T0_E_clISt17integral_constantIbLb1EES1O_IbLb0EEEEDaS1K_S1L_EUlS1K_E_NS1_11comp_targetILNS1_3genE8ELNS1_11target_archE1030ELNS1_3gpuE2ELNS1_3repE0EEENS1_30default_config_static_selectorELNS0_4arch9wavefront6targetE0EEEvSY_
		.amdhsa_group_segment_fixed_size 0
		.amdhsa_private_segment_fixed_size 0
		.amdhsa_kernarg_size 144
		.amdhsa_user_sgpr_count 6
		.amdhsa_user_sgpr_private_segment_buffer 1
		.amdhsa_user_sgpr_dispatch_ptr 0
		.amdhsa_user_sgpr_queue_ptr 0
		.amdhsa_user_sgpr_kernarg_segment_ptr 1
		.amdhsa_user_sgpr_dispatch_id 0
		.amdhsa_user_sgpr_flat_scratch_init 0
		.amdhsa_user_sgpr_private_segment_size 0
		.amdhsa_wavefront_size32 1
		.amdhsa_uses_dynamic_stack 0
		.amdhsa_system_sgpr_private_segment_wavefront_offset 0
		.amdhsa_system_sgpr_workgroup_id_x 1
		.amdhsa_system_sgpr_workgroup_id_y 0
		.amdhsa_system_sgpr_workgroup_id_z 0
		.amdhsa_system_sgpr_workgroup_info 0
		.amdhsa_system_vgpr_workitem_id 0
		.amdhsa_next_free_vgpr 1
		.amdhsa_next_free_sgpr 1
		.amdhsa_reserve_vcc 0
		.amdhsa_reserve_flat_scratch 0
		.amdhsa_float_round_mode_32 0
		.amdhsa_float_round_mode_16_64 0
		.amdhsa_float_denorm_mode_32 3
		.amdhsa_float_denorm_mode_16_64 3
		.amdhsa_dx10_clamp 1
		.amdhsa_ieee_mode 1
		.amdhsa_fp16_overflow 0
		.amdhsa_workgroup_processor_mode 1
		.amdhsa_memory_ordered 1
		.amdhsa_forward_progress 1
		.amdhsa_shared_vgpr_count 0
		.amdhsa_exception_fp_ieee_invalid_op 0
		.amdhsa_exception_fp_denorm_src 0
		.amdhsa_exception_fp_ieee_div_zero 0
		.amdhsa_exception_fp_ieee_overflow 0
		.amdhsa_exception_fp_ieee_underflow 0
		.amdhsa_exception_fp_ieee_inexact 0
		.amdhsa_exception_int_div_zero 0
	.end_amdhsa_kernel
	.section	.text._ZN7rocprim17ROCPRIM_400000_NS6detail17trampoline_kernelINS0_13select_configILj256ELj13ELNS0_17block_load_methodE3ELS4_3ELS4_3ELNS0_20block_scan_algorithmE0ELj4294967295EEENS1_25partition_config_selectorILNS1_17partition_subalgoE3EjNS0_10empty_typeEbEEZZNS1_14partition_implILS8_3ELb0ES6_jNS0_17counting_iteratorIjlEEPS9_SE_NS0_5tupleIJPjSE_EEENSF_IJSE_SE_EEES9_SG_JZNS1_25segmented_radix_sort_implINS0_14default_configELb0EPKfPfPKlPlN2at6native12_GLOBAL__N_18offset_tEEE10hipError_tPvRmT1_PNSt15iterator_traitsISY_E10value_typeET2_T3_PNSZ_IS14_E10value_typeET4_jRbjT5_S1A_jjP12ihipStream_tbEUljE_EEESV_SW_SX_S14_S18_S1A_T6_T7_T9_mT8_S1C_bDpT10_ENKUlT_T0_E_clISt17integral_constantIbLb1EES1O_IbLb0EEEEDaS1K_S1L_EUlS1K_E_NS1_11comp_targetILNS1_3genE8ELNS1_11target_archE1030ELNS1_3gpuE2ELNS1_3repE0EEENS1_30default_config_static_selectorELNS0_4arch9wavefront6targetE0EEEvSY_,"axG",@progbits,_ZN7rocprim17ROCPRIM_400000_NS6detail17trampoline_kernelINS0_13select_configILj256ELj13ELNS0_17block_load_methodE3ELS4_3ELS4_3ELNS0_20block_scan_algorithmE0ELj4294967295EEENS1_25partition_config_selectorILNS1_17partition_subalgoE3EjNS0_10empty_typeEbEEZZNS1_14partition_implILS8_3ELb0ES6_jNS0_17counting_iteratorIjlEEPS9_SE_NS0_5tupleIJPjSE_EEENSF_IJSE_SE_EEES9_SG_JZNS1_25segmented_radix_sort_implINS0_14default_configELb0EPKfPfPKlPlN2at6native12_GLOBAL__N_18offset_tEEE10hipError_tPvRmT1_PNSt15iterator_traitsISY_E10value_typeET2_T3_PNSZ_IS14_E10value_typeET4_jRbjT5_S1A_jjP12ihipStream_tbEUljE_EEESV_SW_SX_S14_S18_S1A_T6_T7_T9_mT8_S1C_bDpT10_ENKUlT_T0_E_clISt17integral_constantIbLb1EES1O_IbLb0EEEEDaS1K_S1L_EUlS1K_E_NS1_11comp_targetILNS1_3genE8ELNS1_11target_archE1030ELNS1_3gpuE2ELNS1_3repE0EEENS1_30default_config_static_selectorELNS0_4arch9wavefront6targetE0EEEvSY_,comdat
.Lfunc_end1411:
	.size	_ZN7rocprim17ROCPRIM_400000_NS6detail17trampoline_kernelINS0_13select_configILj256ELj13ELNS0_17block_load_methodE3ELS4_3ELS4_3ELNS0_20block_scan_algorithmE0ELj4294967295EEENS1_25partition_config_selectorILNS1_17partition_subalgoE3EjNS0_10empty_typeEbEEZZNS1_14partition_implILS8_3ELb0ES6_jNS0_17counting_iteratorIjlEEPS9_SE_NS0_5tupleIJPjSE_EEENSF_IJSE_SE_EEES9_SG_JZNS1_25segmented_radix_sort_implINS0_14default_configELb0EPKfPfPKlPlN2at6native12_GLOBAL__N_18offset_tEEE10hipError_tPvRmT1_PNSt15iterator_traitsISY_E10value_typeET2_T3_PNSZ_IS14_E10value_typeET4_jRbjT5_S1A_jjP12ihipStream_tbEUljE_EEESV_SW_SX_S14_S18_S1A_T6_T7_T9_mT8_S1C_bDpT10_ENKUlT_T0_E_clISt17integral_constantIbLb1EES1O_IbLb0EEEEDaS1K_S1L_EUlS1K_E_NS1_11comp_targetILNS1_3genE8ELNS1_11target_archE1030ELNS1_3gpuE2ELNS1_3repE0EEENS1_30default_config_static_selectorELNS0_4arch9wavefront6targetE0EEEvSY_, .Lfunc_end1411-_ZN7rocprim17ROCPRIM_400000_NS6detail17trampoline_kernelINS0_13select_configILj256ELj13ELNS0_17block_load_methodE3ELS4_3ELS4_3ELNS0_20block_scan_algorithmE0ELj4294967295EEENS1_25partition_config_selectorILNS1_17partition_subalgoE3EjNS0_10empty_typeEbEEZZNS1_14partition_implILS8_3ELb0ES6_jNS0_17counting_iteratorIjlEEPS9_SE_NS0_5tupleIJPjSE_EEENSF_IJSE_SE_EEES9_SG_JZNS1_25segmented_radix_sort_implINS0_14default_configELb0EPKfPfPKlPlN2at6native12_GLOBAL__N_18offset_tEEE10hipError_tPvRmT1_PNSt15iterator_traitsISY_E10value_typeET2_T3_PNSZ_IS14_E10value_typeET4_jRbjT5_S1A_jjP12ihipStream_tbEUljE_EEESV_SW_SX_S14_S18_S1A_T6_T7_T9_mT8_S1C_bDpT10_ENKUlT_T0_E_clISt17integral_constantIbLb1EES1O_IbLb0EEEEDaS1K_S1L_EUlS1K_E_NS1_11comp_targetILNS1_3genE8ELNS1_11target_archE1030ELNS1_3gpuE2ELNS1_3repE0EEENS1_30default_config_static_selectorELNS0_4arch9wavefront6targetE0EEEvSY_
                                        ; -- End function
	.set _ZN7rocprim17ROCPRIM_400000_NS6detail17trampoline_kernelINS0_13select_configILj256ELj13ELNS0_17block_load_methodE3ELS4_3ELS4_3ELNS0_20block_scan_algorithmE0ELj4294967295EEENS1_25partition_config_selectorILNS1_17partition_subalgoE3EjNS0_10empty_typeEbEEZZNS1_14partition_implILS8_3ELb0ES6_jNS0_17counting_iteratorIjlEEPS9_SE_NS0_5tupleIJPjSE_EEENSF_IJSE_SE_EEES9_SG_JZNS1_25segmented_radix_sort_implINS0_14default_configELb0EPKfPfPKlPlN2at6native12_GLOBAL__N_18offset_tEEE10hipError_tPvRmT1_PNSt15iterator_traitsISY_E10value_typeET2_T3_PNSZ_IS14_E10value_typeET4_jRbjT5_S1A_jjP12ihipStream_tbEUljE_EEESV_SW_SX_S14_S18_S1A_T6_T7_T9_mT8_S1C_bDpT10_ENKUlT_T0_E_clISt17integral_constantIbLb1EES1O_IbLb0EEEEDaS1K_S1L_EUlS1K_E_NS1_11comp_targetILNS1_3genE8ELNS1_11target_archE1030ELNS1_3gpuE2ELNS1_3repE0EEENS1_30default_config_static_selectorELNS0_4arch9wavefront6targetE0EEEvSY_.num_vgpr, 0
	.set _ZN7rocprim17ROCPRIM_400000_NS6detail17trampoline_kernelINS0_13select_configILj256ELj13ELNS0_17block_load_methodE3ELS4_3ELS4_3ELNS0_20block_scan_algorithmE0ELj4294967295EEENS1_25partition_config_selectorILNS1_17partition_subalgoE3EjNS0_10empty_typeEbEEZZNS1_14partition_implILS8_3ELb0ES6_jNS0_17counting_iteratorIjlEEPS9_SE_NS0_5tupleIJPjSE_EEENSF_IJSE_SE_EEES9_SG_JZNS1_25segmented_radix_sort_implINS0_14default_configELb0EPKfPfPKlPlN2at6native12_GLOBAL__N_18offset_tEEE10hipError_tPvRmT1_PNSt15iterator_traitsISY_E10value_typeET2_T3_PNSZ_IS14_E10value_typeET4_jRbjT5_S1A_jjP12ihipStream_tbEUljE_EEESV_SW_SX_S14_S18_S1A_T6_T7_T9_mT8_S1C_bDpT10_ENKUlT_T0_E_clISt17integral_constantIbLb1EES1O_IbLb0EEEEDaS1K_S1L_EUlS1K_E_NS1_11comp_targetILNS1_3genE8ELNS1_11target_archE1030ELNS1_3gpuE2ELNS1_3repE0EEENS1_30default_config_static_selectorELNS0_4arch9wavefront6targetE0EEEvSY_.num_agpr, 0
	.set _ZN7rocprim17ROCPRIM_400000_NS6detail17trampoline_kernelINS0_13select_configILj256ELj13ELNS0_17block_load_methodE3ELS4_3ELS4_3ELNS0_20block_scan_algorithmE0ELj4294967295EEENS1_25partition_config_selectorILNS1_17partition_subalgoE3EjNS0_10empty_typeEbEEZZNS1_14partition_implILS8_3ELb0ES6_jNS0_17counting_iteratorIjlEEPS9_SE_NS0_5tupleIJPjSE_EEENSF_IJSE_SE_EEES9_SG_JZNS1_25segmented_radix_sort_implINS0_14default_configELb0EPKfPfPKlPlN2at6native12_GLOBAL__N_18offset_tEEE10hipError_tPvRmT1_PNSt15iterator_traitsISY_E10value_typeET2_T3_PNSZ_IS14_E10value_typeET4_jRbjT5_S1A_jjP12ihipStream_tbEUljE_EEESV_SW_SX_S14_S18_S1A_T6_T7_T9_mT8_S1C_bDpT10_ENKUlT_T0_E_clISt17integral_constantIbLb1EES1O_IbLb0EEEEDaS1K_S1L_EUlS1K_E_NS1_11comp_targetILNS1_3genE8ELNS1_11target_archE1030ELNS1_3gpuE2ELNS1_3repE0EEENS1_30default_config_static_selectorELNS0_4arch9wavefront6targetE0EEEvSY_.numbered_sgpr, 0
	.set _ZN7rocprim17ROCPRIM_400000_NS6detail17trampoline_kernelINS0_13select_configILj256ELj13ELNS0_17block_load_methodE3ELS4_3ELS4_3ELNS0_20block_scan_algorithmE0ELj4294967295EEENS1_25partition_config_selectorILNS1_17partition_subalgoE3EjNS0_10empty_typeEbEEZZNS1_14partition_implILS8_3ELb0ES6_jNS0_17counting_iteratorIjlEEPS9_SE_NS0_5tupleIJPjSE_EEENSF_IJSE_SE_EEES9_SG_JZNS1_25segmented_radix_sort_implINS0_14default_configELb0EPKfPfPKlPlN2at6native12_GLOBAL__N_18offset_tEEE10hipError_tPvRmT1_PNSt15iterator_traitsISY_E10value_typeET2_T3_PNSZ_IS14_E10value_typeET4_jRbjT5_S1A_jjP12ihipStream_tbEUljE_EEESV_SW_SX_S14_S18_S1A_T6_T7_T9_mT8_S1C_bDpT10_ENKUlT_T0_E_clISt17integral_constantIbLb1EES1O_IbLb0EEEEDaS1K_S1L_EUlS1K_E_NS1_11comp_targetILNS1_3genE8ELNS1_11target_archE1030ELNS1_3gpuE2ELNS1_3repE0EEENS1_30default_config_static_selectorELNS0_4arch9wavefront6targetE0EEEvSY_.num_named_barrier, 0
	.set _ZN7rocprim17ROCPRIM_400000_NS6detail17trampoline_kernelINS0_13select_configILj256ELj13ELNS0_17block_load_methodE3ELS4_3ELS4_3ELNS0_20block_scan_algorithmE0ELj4294967295EEENS1_25partition_config_selectorILNS1_17partition_subalgoE3EjNS0_10empty_typeEbEEZZNS1_14partition_implILS8_3ELb0ES6_jNS0_17counting_iteratorIjlEEPS9_SE_NS0_5tupleIJPjSE_EEENSF_IJSE_SE_EEES9_SG_JZNS1_25segmented_radix_sort_implINS0_14default_configELb0EPKfPfPKlPlN2at6native12_GLOBAL__N_18offset_tEEE10hipError_tPvRmT1_PNSt15iterator_traitsISY_E10value_typeET2_T3_PNSZ_IS14_E10value_typeET4_jRbjT5_S1A_jjP12ihipStream_tbEUljE_EEESV_SW_SX_S14_S18_S1A_T6_T7_T9_mT8_S1C_bDpT10_ENKUlT_T0_E_clISt17integral_constantIbLb1EES1O_IbLb0EEEEDaS1K_S1L_EUlS1K_E_NS1_11comp_targetILNS1_3genE8ELNS1_11target_archE1030ELNS1_3gpuE2ELNS1_3repE0EEENS1_30default_config_static_selectorELNS0_4arch9wavefront6targetE0EEEvSY_.private_seg_size, 0
	.set _ZN7rocprim17ROCPRIM_400000_NS6detail17trampoline_kernelINS0_13select_configILj256ELj13ELNS0_17block_load_methodE3ELS4_3ELS4_3ELNS0_20block_scan_algorithmE0ELj4294967295EEENS1_25partition_config_selectorILNS1_17partition_subalgoE3EjNS0_10empty_typeEbEEZZNS1_14partition_implILS8_3ELb0ES6_jNS0_17counting_iteratorIjlEEPS9_SE_NS0_5tupleIJPjSE_EEENSF_IJSE_SE_EEES9_SG_JZNS1_25segmented_radix_sort_implINS0_14default_configELb0EPKfPfPKlPlN2at6native12_GLOBAL__N_18offset_tEEE10hipError_tPvRmT1_PNSt15iterator_traitsISY_E10value_typeET2_T3_PNSZ_IS14_E10value_typeET4_jRbjT5_S1A_jjP12ihipStream_tbEUljE_EEESV_SW_SX_S14_S18_S1A_T6_T7_T9_mT8_S1C_bDpT10_ENKUlT_T0_E_clISt17integral_constantIbLb1EES1O_IbLb0EEEEDaS1K_S1L_EUlS1K_E_NS1_11comp_targetILNS1_3genE8ELNS1_11target_archE1030ELNS1_3gpuE2ELNS1_3repE0EEENS1_30default_config_static_selectorELNS0_4arch9wavefront6targetE0EEEvSY_.uses_vcc, 0
	.set _ZN7rocprim17ROCPRIM_400000_NS6detail17trampoline_kernelINS0_13select_configILj256ELj13ELNS0_17block_load_methodE3ELS4_3ELS4_3ELNS0_20block_scan_algorithmE0ELj4294967295EEENS1_25partition_config_selectorILNS1_17partition_subalgoE3EjNS0_10empty_typeEbEEZZNS1_14partition_implILS8_3ELb0ES6_jNS0_17counting_iteratorIjlEEPS9_SE_NS0_5tupleIJPjSE_EEENSF_IJSE_SE_EEES9_SG_JZNS1_25segmented_radix_sort_implINS0_14default_configELb0EPKfPfPKlPlN2at6native12_GLOBAL__N_18offset_tEEE10hipError_tPvRmT1_PNSt15iterator_traitsISY_E10value_typeET2_T3_PNSZ_IS14_E10value_typeET4_jRbjT5_S1A_jjP12ihipStream_tbEUljE_EEESV_SW_SX_S14_S18_S1A_T6_T7_T9_mT8_S1C_bDpT10_ENKUlT_T0_E_clISt17integral_constantIbLb1EES1O_IbLb0EEEEDaS1K_S1L_EUlS1K_E_NS1_11comp_targetILNS1_3genE8ELNS1_11target_archE1030ELNS1_3gpuE2ELNS1_3repE0EEENS1_30default_config_static_selectorELNS0_4arch9wavefront6targetE0EEEvSY_.uses_flat_scratch, 0
	.set _ZN7rocprim17ROCPRIM_400000_NS6detail17trampoline_kernelINS0_13select_configILj256ELj13ELNS0_17block_load_methodE3ELS4_3ELS4_3ELNS0_20block_scan_algorithmE0ELj4294967295EEENS1_25partition_config_selectorILNS1_17partition_subalgoE3EjNS0_10empty_typeEbEEZZNS1_14partition_implILS8_3ELb0ES6_jNS0_17counting_iteratorIjlEEPS9_SE_NS0_5tupleIJPjSE_EEENSF_IJSE_SE_EEES9_SG_JZNS1_25segmented_radix_sort_implINS0_14default_configELb0EPKfPfPKlPlN2at6native12_GLOBAL__N_18offset_tEEE10hipError_tPvRmT1_PNSt15iterator_traitsISY_E10value_typeET2_T3_PNSZ_IS14_E10value_typeET4_jRbjT5_S1A_jjP12ihipStream_tbEUljE_EEESV_SW_SX_S14_S18_S1A_T6_T7_T9_mT8_S1C_bDpT10_ENKUlT_T0_E_clISt17integral_constantIbLb1EES1O_IbLb0EEEEDaS1K_S1L_EUlS1K_E_NS1_11comp_targetILNS1_3genE8ELNS1_11target_archE1030ELNS1_3gpuE2ELNS1_3repE0EEENS1_30default_config_static_selectorELNS0_4arch9wavefront6targetE0EEEvSY_.has_dyn_sized_stack, 0
	.set _ZN7rocprim17ROCPRIM_400000_NS6detail17trampoline_kernelINS0_13select_configILj256ELj13ELNS0_17block_load_methodE3ELS4_3ELS4_3ELNS0_20block_scan_algorithmE0ELj4294967295EEENS1_25partition_config_selectorILNS1_17partition_subalgoE3EjNS0_10empty_typeEbEEZZNS1_14partition_implILS8_3ELb0ES6_jNS0_17counting_iteratorIjlEEPS9_SE_NS0_5tupleIJPjSE_EEENSF_IJSE_SE_EEES9_SG_JZNS1_25segmented_radix_sort_implINS0_14default_configELb0EPKfPfPKlPlN2at6native12_GLOBAL__N_18offset_tEEE10hipError_tPvRmT1_PNSt15iterator_traitsISY_E10value_typeET2_T3_PNSZ_IS14_E10value_typeET4_jRbjT5_S1A_jjP12ihipStream_tbEUljE_EEESV_SW_SX_S14_S18_S1A_T6_T7_T9_mT8_S1C_bDpT10_ENKUlT_T0_E_clISt17integral_constantIbLb1EES1O_IbLb0EEEEDaS1K_S1L_EUlS1K_E_NS1_11comp_targetILNS1_3genE8ELNS1_11target_archE1030ELNS1_3gpuE2ELNS1_3repE0EEENS1_30default_config_static_selectorELNS0_4arch9wavefront6targetE0EEEvSY_.has_recursion, 0
	.set _ZN7rocprim17ROCPRIM_400000_NS6detail17trampoline_kernelINS0_13select_configILj256ELj13ELNS0_17block_load_methodE3ELS4_3ELS4_3ELNS0_20block_scan_algorithmE0ELj4294967295EEENS1_25partition_config_selectorILNS1_17partition_subalgoE3EjNS0_10empty_typeEbEEZZNS1_14partition_implILS8_3ELb0ES6_jNS0_17counting_iteratorIjlEEPS9_SE_NS0_5tupleIJPjSE_EEENSF_IJSE_SE_EEES9_SG_JZNS1_25segmented_radix_sort_implINS0_14default_configELb0EPKfPfPKlPlN2at6native12_GLOBAL__N_18offset_tEEE10hipError_tPvRmT1_PNSt15iterator_traitsISY_E10value_typeET2_T3_PNSZ_IS14_E10value_typeET4_jRbjT5_S1A_jjP12ihipStream_tbEUljE_EEESV_SW_SX_S14_S18_S1A_T6_T7_T9_mT8_S1C_bDpT10_ENKUlT_T0_E_clISt17integral_constantIbLb1EES1O_IbLb0EEEEDaS1K_S1L_EUlS1K_E_NS1_11comp_targetILNS1_3genE8ELNS1_11target_archE1030ELNS1_3gpuE2ELNS1_3repE0EEENS1_30default_config_static_selectorELNS0_4arch9wavefront6targetE0EEEvSY_.has_indirect_call, 0
	.section	.AMDGPU.csdata,"",@progbits
; Kernel info:
; codeLenInByte = 4
; TotalNumSgprs: 0
; NumVgprs: 0
; ScratchSize: 0
; MemoryBound: 0
; FloatMode: 240
; IeeeMode: 1
; LDSByteSize: 0 bytes/workgroup (compile time only)
; SGPRBlocks: 0
; VGPRBlocks: 0
; NumSGPRsForWavesPerEU: 1
; NumVGPRsForWavesPerEU: 1
; Occupancy: 16
; WaveLimiterHint : 0
; COMPUTE_PGM_RSRC2:SCRATCH_EN: 0
; COMPUTE_PGM_RSRC2:USER_SGPR: 6
; COMPUTE_PGM_RSRC2:TRAP_HANDLER: 0
; COMPUTE_PGM_RSRC2:TGID_X_EN: 1
; COMPUTE_PGM_RSRC2:TGID_Y_EN: 0
; COMPUTE_PGM_RSRC2:TGID_Z_EN: 0
; COMPUTE_PGM_RSRC2:TIDIG_COMP_CNT: 0
	.section	.text._ZN7rocprim17ROCPRIM_400000_NS6detail17trampoline_kernelINS0_13select_configILj256ELj13ELNS0_17block_load_methodE3ELS4_3ELS4_3ELNS0_20block_scan_algorithmE0ELj4294967295EEENS1_25partition_config_selectorILNS1_17partition_subalgoE3EjNS0_10empty_typeEbEEZZNS1_14partition_implILS8_3ELb0ES6_jNS0_17counting_iteratorIjlEEPS9_SE_NS0_5tupleIJPjSE_EEENSF_IJSE_SE_EEES9_SG_JZNS1_25segmented_radix_sort_implINS0_14default_configELb0EPKfPfPKlPlN2at6native12_GLOBAL__N_18offset_tEEE10hipError_tPvRmT1_PNSt15iterator_traitsISY_E10value_typeET2_T3_PNSZ_IS14_E10value_typeET4_jRbjT5_S1A_jjP12ihipStream_tbEUljE_EEESV_SW_SX_S14_S18_S1A_T6_T7_T9_mT8_S1C_bDpT10_ENKUlT_T0_E_clISt17integral_constantIbLb0EES1O_IbLb1EEEEDaS1K_S1L_EUlS1K_E_NS1_11comp_targetILNS1_3genE0ELNS1_11target_archE4294967295ELNS1_3gpuE0ELNS1_3repE0EEENS1_30default_config_static_selectorELNS0_4arch9wavefront6targetE0EEEvSY_,"axG",@progbits,_ZN7rocprim17ROCPRIM_400000_NS6detail17trampoline_kernelINS0_13select_configILj256ELj13ELNS0_17block_load_methodE3ELS4_3ELS4_3ELNS0_20block_scan_algorithmE0ELj4294967295EEENS1_25partition_config_selectorILNS1_17partition_subalgoE3EjNS0_10empty_typeEbEEZZNS1_14partition_implILS8_3ELb0ES6_jNS0_17counting_iteratorIjlEEPS9_SE_NS0_5tupleIJPjSE_EEENSF_IJSE_SE_EEES9_SG_JZNS1_25segmented_radix_sort_implINS0_14default_configELb0EPKfPfPKlPlN2at6native12_GLOBAL__N_18offset_tEEE10hipError_tPvRmT1_PNSt15iterator_traitsISY_E10value_typeET2_T3_PNSZ_IS14_E10value_typeET4_jRbjT5_S1A_jjP12ihipStream_tbEUljE_EEESV_SW_SX_S14_S18_S1A_T6_T7_T9_mT8_S1C_bDpT10_ENKUlT_T0_E_clISt17integral_constantIbLb0EES1O_IbLb1EEEEDaS1K_S1L_EUlS1K_E_NS1_11comp_targetILNS1_3genE0ELNS1_11target_archE4294967295ELNS1_3gpuE0ELNS1_3repE0EEENS1_30default_config_static_selectorELNS0_4arch9wavefront6targetE0EEEvSY_,comdat
	.globl	_ZN7rocprim17ROCPRIM_400000_NS6detail17trampoline_kernelINS0_13select_configILj256ELj13ELNS0_17block_load_methodE3ELS4_3ELS4_3ELNS0_20block_scan_algorithmE0ELj4294967295EEENS1_25partition_config_selectorILNS1_17partition_subalgoE3EjNS0_10empty_typeEbEEZZNS1_14partition_implILS8_3ELb0ES6_jNS0_17counting_iteratorIjlEEPS9_SE_NS0_5tupleIJPjSE_EEENSF_IJSE_SE_EEES9_SG_JZNS1_25segmented_radix_sort_implINS0_14default_configELb0EPKfPfPKlPlN2at6native12_GLOBAL__N_18offset_tEEE10hipError_tPvRmT1_PNSt15iterator_traitsISY_E10value_typeET2_T3_PNSZ_IS14_E10value_typeET4_jRbjT5_S1A_jjP12ihipStream_tbEUljE_EEESV_SW_SX_S14_S18_S1A_T6_T7_T9_mT8_S1C_bDpT10_ENKUlT_T0_E_clISt17integral_constantIbLb0EES1O_IbLb1EEEEDaS1K_S1L_EUlS1K_E_NS1_11comp_targetILNS1_3genE0ELNS1_11target_archE4294967295ELNS1_3gpuE0ELNS1_3repE0EEENS1_30default_config_static_selectorELNS0_4arch9wavefront6targetE0EEEvSY_ ; -- Begin function _ZN7rocprim17ROCPRIM_400000_NS6detail17trampoline_kernelINS0_13select_configILj256ELj13ELNS0_17block_load_methodE3ELS4_3ELS4_3ELNS0_20block_scan_algorithmE0ELj4294967295EEENS1_25partition_config_selectorILNS1_17partition_subalgoE3EjNS0_10empty_typeEbEEZZNS1_14partition_implILS8_3ELb0ES6_jNS0_17counting_iteratorIjlEEPS9_SE_NS0_5tupleIJPjSE_EEENSF_IJSE_SE_EEES9_SG_JZNS1_25segmented_radix_sort_implINS0_14default_configELb0EPKfPfPKlPlN2at6native12_GLOBAL__N_18offset_tEEE10hipError_tPvRmT1_PNSt15iterator_traitsISY_E10value_typeET2_T3_PNSZ_IS14_E10value_typeET4_jRbjT5_S1A_jjP12ihipStream_tbEUljE_EEESV_SW_SX_S14_S18_S1A_T6_T7_T9_mT8_S1C_bDpT10_ENKUlT_T0_E_clISt17integral_constantIbLb0EES1O_IbLb1EEEEDaS1K_S1L_EUlS1K_E_NS1_11comp_targetILNS1_3genE0ELNS1_11target_archE4294967295ELNS1_3gpuE0ELNS1_3repE0EEENS1_30default_config_static_selectorELNS0_4arch9wavefront6targetE0EEEvSY_
	.p2align	8
	.type	_ZN7rocprim17ROCPRIM_400000_NS6detail17trampoline_kernelINS0_13select_configILj256ELj13ELNS0_17block_load_methodE3ELS4_3ELS4_3ELNS0_20block_scan_algorithmE0ELj4294967295EEENS1_25partition_config_selectorILNS1_17partition_subalgoE3EjNS0_10empty_typeEbEEZZNS1_14partition_implILS8_3ELb0ES6_jNS0_17counting_iteratorIjlEEPS9_SE_NS0_5tupleIJPjSE_EEENSF_IJSE_SE_EEES9_SG_JZNS1_25segmented_radix_sort_implINS0_14default_configELb0EPKfPfPKlPlN2at6native12_GLOBAL__N_18offset_tEEE10hipError_tPvRmT1_PNSt15iterator_traitsISY_E10value_typeET2_T3_PNSZ_IS14_E10value_typeET4_jRbjT5_S1A_jjP12ihipStream_tbEUljE_EEESV_SW_SX_S14_S18_S1A_T6_T7_T9_mT8_S1C_bDpT10_ENKUlT_T0_E_clISt17integral_constantIbLb0EES1O_IbLb1EEEEDaS1K_S1L_EUlS1K_E_NS1_11comp_targetILNS1_3genE0ELNS1_11target_archE4294967295ELNS1_3gpuE0ELNS1_3repE0EEENS1_30default_config_static_selectorELNS0_4arch9wavefront6targetE0EEEvSY_,@function
_ZN7rocprim17ROCPRIM_400000_NS6detail17trampoline_kernelINS0_13select_configILj256ELj13ELNS0_17block_load_methodE3ELS4_3ELS4_3ELNS0_20block_scan_algorithmE0ELj4294967295EEENS1_25partition_config_selectorILNS1_17partition_subalgoE3EjNS0_10empty_typeEbEEZZNS1_14partition_implILS8_3ELb0ES6_jNS0_17counting_iteratorIjlEEPS9_SE_NS0_5tupleIJPjSE_EEENSF_IJSE_SE_EEES9_SG_JZNS1_25segmented_radix_sort_implINS0_14default_configELb0EPKfPfPKlPlN2at6native12_GLOBAL__N_18offset_tEEE10hipError_tPvRmT1_PNSt15iterator_traitsISY_E10value_typeET2_T3_PNSZ_IS14_E10value_typeET4_jRbjT5_S1A_jjP12ihipStream_tbEUljE_EEESV_SW_SX_S14_S18_S1A_T6_T7_T9_mT8_S1C_bDpT10_ENKUlT_T0_E_clISt17integral_constantIbLb0EES1O_IbLb1EEEEDaS1K_S1L_EUlS1K_E_NS1_11comp_targetILNS1_3genE0ELNS1_11target_archE4294967295ELNS1_3gpuE0ELNS1_3repE0EEENS1_30default_config_static_selectorELNS0_4arch9wavefront6targetE0EEEvSY_: ; @_ZN7rocprim17ROCPRIM_400000_NS6detail17trampoline_kernelINS0_13select_configILj256ELj13ELNS0_17block_load_methodE3ELS4_3ELS4_3ELNS0_20block_scan_algorithmE0ELj4294967295EEENS1_25partition_config_selectorILNS1_17partition_subalgoE3EjNS0_10empty_typeEbEEZZNS1_14partition_implILS8_3ELb0ES6_jNS0_17counting_iteratorIjlEEPS9_SE_NS0_5tupleIJPjSE_EEENSF_IJSE_SE_EEES9_SG_JZNS1_25segmented_radix_sort_implINS0_14default_configELb0EPKfPfPKlPlN2at6native12_GLOBAL__N_18offset_tEEE10hipError_tPvRmT1_PNSt15iterator_traitsISY_E10value_typeET2_T3_PNSZ_IS14_E10value_typeET4_jRbjT5_S1A_jjP12ihipStream_tbEUljE_EEESV_SW_SX_S14_S18_S1A_T6_T7_T9_mT8_S1C_bDpT10_ENKUlT_T0_E_clISt17integral_constantIbLb0EES1O_IbLb1EEEEDaS1K_S1L_EUlS1K_E_NS1_11comp_targetILNS1_3genE0ELNS1_11target_archE4294967295ELNS1_3gpuE0ELNS1_3repE0EEENS1_30default_config_static_selectorELNS0_4arch9wavefront6targetE0EEEvSY_
; %bb.0:
	.section	.rodata,"a",@progbits
	.p2align	6, 0x0
	.amdhsa_kernel _ZN7rocprim17ROCPRIM_400000_NS6detail17trampoline_kernelINS0_13select_configILj256ELj13ELNS0_17block_load_methodE3ELS4_3ELS4_3ELNS0_20block_scan_algorithmE0ELj4294967295EEENS1_25partition_config_selectorILNS1_17partition_subalgoE3EjNS0_10empty_typeEbEEZZNS1_14partition_implILS8_3ELb0ES6_jNS0_17counting_iteratorIjlEEPS9_SE_NS0_5tupleIJPjSE_EEENSF_IJSE_SE_EEES9_SG_JZNS1_25segmented_radix_sort_implINS0_14default_configELb0EPKfPfPKlPlN2at6native12_GLOBAL__N_18offset_tEEE10hipError_tPvRmT1_PNSt15iterator_traitsISY_E10value_typeET2_T3_PNSZ_IS14_E10value_typeET4_jRbjT5_S1A_jjP12ihipStream_tbEUljE_EEESV_SW_SX_S14_S18_S1A_T6_T7_T9_mT8_S1C_bDpT10_ENKUlT_T0_E_clISt17integral_constantIbLb0EES1O_IbLb1EEEEDaS1K_S1L_EUlS1K_E_NS1_11comp_targetILNS1_3genE0ELNS1_11target_archE4294967295ELNS1_3gpuE0ELNS1_3repE0EEENS1_30default_config_static_selectorELNS0_4arch9wavefront6targetE0EEEvSY_
		.amdhsa_group_segment_fixed_size 0
		.amdhsa_private_segment_fixed_size 0
		.amdhsa_kernarg_size 152
		.amdhsa_user_sgpr_count 6
		.amdhsa_user_sgpr_private_segment_buffer 1
		.amdhsa_user_sgpr_dispatch_ptr 0
		.amdhsa_user_sgpr_queue_ptr 0
		.amdhsa_user_sgpr_kernarg_segment_ptr 1
		.amdhsa_user_sgpr_dispatch_id 0
		.amdhsa_user_sgpr_flat_scratch_init 0
		.amdhsa_user_sgpr_private_segment_size 0
		.amdhsa_wavefront_size32 1
		.amdhsa_uses_dynamic_stack 0
		.amdhsa_system_sgpr_private_segment_wavefront_offset 0
		.amdhsa_system_sgpr_workgroup_id_x 1
		.amdhsa_system_sgpr_workgroup_id_y 0
		.amdhsa_system_sgpr_workgroup_id_z 0
		.amdhsa_system_sgpr_workgroup_info 0
		.amdhsa_system_vgpr_workitem_id 0
		.amdhsa_next_free_vgpr 1
		.amdhsa_next_free_sgpr 1
		.amdhsa_reserve_vcc 0
		.amdhsa_reserve_flat_scratch 0
		.amdhsa_float_round_mode_32 0
		.amdhsa_float_round_mode_16_64 0
		.amdhsa_float_denorm_mode_32 3
		.amdhsa_float_denorm_mode_16_64 3
		.amdhsa_dx10_clamp 1
		.amdhsa_ieee_mode 1
		.amdhsa_fp16_overflow 0
		.amdhsa_workgroup_processor_mode 1
		.amdhsa_memory_ordered 1
		.amdhsa_forward_progress 1
		.amdhsa_shared_vgpr_count 0
		.amdhsa_exception_fp_ieee_invalid_op 0
		.amdhsa_exception_fp_denorm_src 0
		.amdhsa_exception_fp_ieee_div_zero 0
		.amdhsa_exception_fp_ieee_overflow 0
		.amdhsa_exception_fp_ieee_underflow 0
		.amdhsa_exception_fp_ieee_inexact 0
		.amdhsa_exception_int_div_zero 0
	.end_amdhsa_kernel
	.section	.text._ZN7rocprim17ROCPRIM_400000_NS6detail17trampoline_kernelINS0_13select_configILj256ELj13ELNS0_17block_load_methodE3ELS4_3ELS4_3ELNS0_20block_scan_algorithmE0ELj4294967295EEENS1_25partition_config_selectorILNS1_17partition_subalgoE3EjNS0_10empty_typeEbEEZZNS1_14partition_implILS8_3ELb0ES6_jNS0_17counting_iteratorIjlEEPS9_SE_NS0_5tupleIJPjSE_EEENSF_IJSE_SE_EEES9_SG_JZNS1_25segmented_radix_sort_implINS0_14default_configELb0EPKfPfPKlPlN2at6native12_GLOBAL__N_18offset_tEEE10hipError_tPvRmT1_PNSt15iterator_traitsISY_E10value_typeET2_T3_PNSZ_IS14_E10value_typeET4_jRbjT5_S1A_jjP12ihipStream_tbEUljE_EEESV_SW_SX_S14_S18_S1A_T6_T7_T9_mT8_S1C_bDpT10_ENKUlT_T0_E_clISt17integral_constantIbLb0EES1O_IbLb1EEEEDaS1K_S1L_EUlS1K_E_NS1_11comp_targetILNS1_3genE0ELNS1_11target_archE4294967295ELNS1_3gpuE0ELNS1_3repE0EEENS1_30default_config_static_selectorELNS0_4arch9wavefront6targetE0EEEvSY_,"axG",@progbits,_ZN7rocprim17ROCPRIM_400000_NS6detail17trampoline_kernelINS0_13select_configILj256ELj13ELNS0_17block_load_methodE3ELS4_3ELS4_3ELNS0_20block_scan_algorithmE0ELj4294967295EEENS1_25partition_config_selectorILNS1_17partition_subalgoE3EjNS0_10empty_typeEbEEZZNS1_14partition_implILS8_3ELb0ES6_jNS0_17counting_iteratorIjlEEPS9_SE_NS0_5tupleIJPjSE_EEENSF_IJSE_SE_EEES9_SG_JZNS1_25segmented_radix_sort_implINS0_14default_configELb0EPKfPfPKlPlN2at6native12_GLOBAL__N_18offset_tEEE10hipError_tPvRmT1_PNSt15iterator_traitsISY_E10value_typeET2_T3_PNSZ_IS14_E10value_typeET4_jRbjT5_S1A_jjP12ihipStream_tbEUljE_EEESV_SW_SX_S14_S18_S1A_T6_T7_T9_mT8_S1C_bDpT10_ENKUlT_T0_E_clISt17integral_constantIbLb0EES1O_IbLb1EEEEDaS1K_S1L_EUlS1K_E_NS1_11comp_targetILNS1_3genE0ELNS1_11target_archE4294967295ELNS1_3gpuE0ELNS1_3repE0EEENS1_30default_config_static_selectorELNS0_4arch9wavefront6targetE0EEEvSY_,comdat
.Lfunc_end1412:
	.size	_ZN7rocprim17ROCPRIM_400000_NS6detail17trampoline_kernelINS0_13select_configILj256ELj13ELNS0_17block_load_methodE3ELS4_3ELS4_3ELNS0_20block_scan_algorithmE0ELj4294967295EEENS1_25partition_config_selectorILNS1_17partition_subalgoE3EjNS0_10empty_typeEbEEZZNS1_14partition_implILS8_3ELb0ES6_jNS0_17counting_iteratorIjlEEPS9_SE_NS0_5tupleIJPjSE_EEENSF_IJSE_SE_EEES9_SG_JZNS1_25segmented_radix_sort_implINS0_14default_configELb0EPKfPfPKlPlN2at6native12_GLOBAL__N_18offset_tEEE10hipError_tPvRmT1_PNSt15iterator_traitsISY_E10value_typeET2_T3_PNSZ_IS14_E10value_typeET4_jRbjT5_S1A_jjP12ihipStream_tbEUljE_EEESV_SW_SX_S14_S18_S1A_T6_T7_T9_mT8_S1C_bDpT10_ENKUlT_T0_E_clISt17integral_constantIbLb0EES1O_IbLb1EEEEDaS1K_S1L_EUlS1K_E_NS1_11comp_targetILNS1_3genE0ELNS1_11target_archE4294967295ELNS1_3gpuE0ELNS1_3repE0EEENS1_30default_config_static_selectorELNS0_4arch9wavefront6targetE0EEEvSY_, .Lfunc_end1412-_ZN7rocprim17ROCPRIM_400000_NS6detail17trampoline_kernelINS0_13select_configILj256ELj13ELNS0_17block_load_methodE3ELS4_3ELS4_3ELNS0_20block_scan_algorithmE0ELj4294967295EEENS1_25partition_config_selectorILNS1_17partition_subalgoE3EjNS0_10empty_typeEbEEZZNS1_14partition_implILS8_3ELb0ES6_jNS0_17counting_iteratorIjlEEPS9_SE_NS0_5tupleIJPjSE_EEENSF_IJSE_SE_EEES9_SG_JZNS1_25segmented_radix_sort_implINS0_14default_configELb0EPKfPfPKlPlN2at6native12_GLOBAL__N_18offset_tEEE10hipError_tPvRmT1_PNSt15iterator_traitsISY_E10value_typeET2_T3_PNSZ_IS14_E10value_typeET4_jRbjT5_S1A_jjP12ihipStream_tbEUljE_EEESV_SW_SX_S14_S18_S1A_T6_T7_T9_mT8_S1C_bDpT10_ENKUlT_T0_E_clISt17integral_constantIbLb0EES1O_IbLb1EEEEDaS1K_S1L_EUlS1K_E_NS1_11comp_targetILNS1_3genE0ELNS1_11target_archE4294967295ELNS1_3gpuE0ELNS1_3repE0EEENS1_30default_config_static_selectorELNS0_4arch9wavefront6targetE0EEEvSY_
                                        ; -- End function
	.set _ZN7rocprim17ROCPRIM_400000_NS6detail17trampoline_kernelINS0_13select_configILj256ELj13ELNS0_17block_load_methodE3ELS4_3ELS4_3ELNS0_20block_scan_algorithmE0ELj4294967295EEENS1_25partition_config_selectorILNS1_17partition_subalgoE3EjNS0_10empty_typeEbEEZZNS1_14partition_implILS8_3ELb0ES6_jNS0_17counting_iteratorIjlEEPS9_SE_NS0_5tupleIJPjSE_EEENSF_IJSE_SE_EEES9_SG_JZNS1_25segmented_radix_sort_implINS0_14default_configELb0EPKfPfPKlPlN2at6native12_GLOBAL__N_18offset_tEEE10hipError_tPvRmT1_PNSt15iterator_traitsISY_E10value_typeET2_T3_PNSZ_IS14_E10value_typeET4_jRbjT5_S1A_jjP12ihipStream_tbEUljE_EEESV_SW_SX_S14_S18_S1A_T6_T7_T9_mT8_S1C_bDpT10_ENKUlT_T0_E_clISt17integral_constantIbLb0EES1O_IbLb1EEEEDaS1K_S1L_EUlS1K_E_NS1_11comp_targetILNS1_3genE0ELNS1_11target_archE4294967295ELNS1_3gpuE0ELNS1_3repE0EEENS1_30default_config_static_selectorELNS0_4arch9wavefront6targetE0EEEvSY_.num_vgpr, 0
	.set _ZN7rocprim17ROCPRIM_400000_NS6detail17trampoline_kernelINS0_13select_configILj256ELj13ELNS0_17block_load_methodE3ELS4_3ELS4_3ELNS0_20block_scan_algorithmE0ELj4294967295EEENS1_25partition_config_selectorILNS1_17partition_subalgoE3EjNS0_10empty_typeEbEEZZNS1_14partition_implILS8_3ELb0ES6_jNS0_17counting_iteratorIjlEEPS9_SE_NS0_5tupleIJPjSE_EEENSF_IJSE_SE_EEES9_SG_JZNS1_25segmented_radix_sort_implINS0_14default_configELb0EPKfPfPKlPlN2at6native12_GLOBAL__N_18offset_tEEE10hipError_tPvRmT1_PNSt15iterator_traitsISY_E10value_typeET2_T3_PNSZ_IS14_E10value_typeET4_jRbjT5_S1A_jjP12ihipStream_tbEUljE_EEESV_SW_SX_S14_S18_S1A_T6_T7_T9_mT8_S1C_bDpT10_ENKUlT_T0_E_clISt17integral_constantIbLb0EES1O_IbLb1EEEEDaS1K_S1L_EUlS1K_E_NS1_11comp_targetILNS1_3genE0ELNS1_11target_archE4294967295ELNS1_3gpuE0ELNS1_3repE0EEENS1_30default_config_static_selectorELNS0_4arch9wavefront6targetE0EEEvSY_.num_agpr, 0
	.set _ZN7rocprim17ROCPRIM_400000_NS6detail17trampoline_kernelINS0_13select_configILj256ELj13ELNS0_17block_load_methodE3ELS4_3ELS4_3ELNS0_20block_scan_algorithmE0ELj4294967295EEENS1_25partition_config_selectorILNS1_17partition_subalgoE3EjNS0_10empty_typeEbEEZZNS1_14partition_implILS8_3ELb0ES6_jNS0_17counting_iteratorIjlEEPS9_SE_NS0_5tupleIJPjSE_EEENSF_IJSE_SE_EEES9_SG_JZNS1_25segmented_radix_sort_implINS0_14default_configELb0EPKfPfPKlPlN2at6native12_GLOBAL__N_18offset_tEEE10hipError_tPvRmT1_PNSt15iterator_traitsISY_E10value_typeET2_T3_PNSZ_IS14_E10value_typeET4_jRbjT5_S1A_jjP12ihipStream_tbEUljE_EEESV_SW_SX_S14_S18_S1A_T6_T7_T9_mT8_S1C_bDpT10_ENKUlT_T0_E_clISt17integral_constantIbLb0EES1O_IbLb1EEEEDaS1K_S1L_EUlS1K_E_NS1_11comp_targetILNS1_3genE0ELNS1_11target_archE4294967295ELNS1_3gpuE0ELNS1_3repE0EEENS1_30default_config_static_selectorELNS0_4arch9wavefront6targetE0EEEvSY_.numbered_sgpr, 0
	.set _ZN7rocprim17ROCPRIM_400000_NS6detail17trampoline_kernelINS0_13select_configILj256ELj13ELNS0_17block_load_methodE3ELS4_3ELS4_3ELNS0_20block_scan_algorithmE0ELj4294967295EEENS1_25partition_config_selectorILNS1_17partition_subalgoE3EjNS0_10empty_typeEbEEZZNS1_14partition_implILS8_3ELb0ES6_jNS0_17counting_iteratorIjlEEPS9_SE_NS0_5tupleIJPjSE_EEENSF_IJSE_SE_EEES9_SG_JZNS1_25segmented_radix_sort_implINS0_14default_configELb0EPKfPfPKlPlN2at6native12_GLOBAL__N_18offset_tEEE10hipError_tPvRmT1_PNSt15iterator_traitsISY_E10value_typeET2_T3_PNSZ_IS14_E10value_typeET4_jRbjT5_S1A_jjP12ihipStream_tbEUljE_EEESV_SW_SX_S14_S18_S1A_T6_T7_T9_mT8_S1C_bDpT10_ENKUlT_T0_E_clISt17integral_constantIbLb0EES1O_IbLb1EEEEDaS1K_S1L_EUlS1K_E_NS1_11comp_targetILNS1_3genE0ELNS1_11target_archE4294967295ELNS1_3gpuE0ELNS1_3repE0EEENS1_30default_config_static_selectorELNS0_4arch9wavefront6targetE0EEEvSY_.num_named_barrier, 0
	.set _ZN7rocprim17ROCPRIM_400000_NS6detail17trampoline_kernelINS0_13select_configILj256ELj13ELNS0_17block_load_methodE3ELS4_3ELS4_3ELNS0_20block_scan_algorithmE0ELj4294967295EEENS1_25partition_config_selectorILNS1_17partition_subalgoE3EjNS0_10empty_typeEbEEZZNS1_14partition_implILS8_3ELb0ES6_jNS0_17counting_iteratorIjlEEPS9_SE_NS0_5tupleIJPjSE_EEENSF_IJSE_SE_EEES9_SG_JZNS1_25segmented_radix_sort_implINS0_14default_configELb0EPKfPfPKlPlN2at6native12_GLOBAL__N_18offset_tEEE10hipError_tPvRmT1_PNSt15iterator_traitsISY_E10value_typeET2_T3_PNSZ_IS14_E10value_typeET4_jRbjT5_S1A_jjP12ihipStream_tbEUljE_EEESV_SW_SX_S14_S18_S1A_T6_T7_T9_mT8_S1C_bDpT10_ENKUlT_T0_E_clISt17integral_constantIbLb0EES1O_IbLb1EEEEDaS1K_S1L_EUlS1K_E_NS1_11comp_targetILNS1_3genE0ELNS1_11target_archE4294967295ELNS1_3gpuE0ELNS1_3repE0EEENS1_30default_config_static_selectorELNS0_4arch9wavefront6targetE0EEEvSY_.private_seg_size, 0
	.set _ZN7rocprim17ROCPRIM_400000_NS6detail17trampoline_kernelINS0_13select_configILj256ELj13ELNS0_17block_load_methodE3ELS4_3ELS4_3ELNS0_20block_scan_algorithmE0ELj4294967295EEENS1_25partition_config_selectorILNS1_17partition_subalgoE3EjNS0_10empty_typeEbEEZZNS1_14partition_implILS8_3ELb0ES6_jNS0_17counting_iteratorIjlEEPS9_SE_NS0_5tupleIJPjSE_EEENSF_IJSE_SE_EEES9_SG_JZNS1_25segmented_radix_sort_implINS0_14default_configELb0EPKfPfPKlPlN2at6native12_GLOBAL__N_18offset_tEEE10hipError_tPvRmT1_PNSt15iterator_traitsISY_E10value_typeET2_T3_PNSZ_IS14_E10value_typeET4_jRbjT5_S1A_jjP12ihipStream_tbEUljE_EEESV_SW_SX_S14_S18_S1A_T6_T7_T9_mT8_S1C_bDpT10_ENKUlT_T0_E_clISt17integral_constantIbLb0EES1O_IbLb1EEEEDaS1K_S1L_EUlS1K_E_NS1_11comp_targetILNS1_3genE0ELNS1_11target_archE4294967295ELNS1_3gpuE0ELNS1_3repE0EEENS1_30default_config_static_selectorELNS0_4arch9wavefront6targetE0EEEvSY_.uses_vcc, 0
	.set _ZN7rocprim17ROCPRIM_400000_NS6detail17trampoline_kernelINS0_13select_configILj256ELj13ELNS0_17block_load_methodE3ELS4_3ELS4_3ELNS0_20block_scan_algorithmE0ELj4294967295EEENS1_25partition_config_selectorILNS1_17partition_subalgoE3EjNS0_10empty_typeEbEEZZNS1_14partition_implILS8_3ELb0ES6_jNS0_17counting_iteratorIjlEEPS9_SE_NS0_5tupleIJPjSE_EEENSF_IJSE_SE_EEES9_SG_JZNS1_25segmented_radix_sort_implINS0_14default_configELb0EPKfPfPKlPlN2at6native12_GLOBAL__N_18offset_tEEE10hipError_tPvRmT1_PNSt15iterator_traitsISY_E10value_typeET2_T3_PNSZ_IS14_E10value_typeET4_jRbjT5_S1A_jjP12ihipStream_tbEUljE_EEESV_SW_SX_S14_S18_S1A_T6_T7_T9_mT8_S1C_bDpT10_ENKUlT_T0_E_clISt17integral_constantIbLb0EES1O_IbLb1EEEEDaS1K_S1L_EUlS1K_E_NS1_11comp_targetILNS1_3genE0ELNS1_11target_archE4294967295ELNS1_3gpuE0ELNS1_3repE0EEENS1_30default_config_static_selectorELNS0_4arch9wavefront6targetE0EEEvSY_.uses_flat_scratch, 0
	.set _ZN7rocprim17ROCPRIM_400000_NS6detail17trampoline_kernelINS0_13select_configILj256ELj13ELNS0_17block_load_methodE3ELS4_3ELS4_3ELNS0_20block_scan_algorithmE0ELj4294967295EEENS1_25partition_config_selectorILNS1_17partition_subalgoE3EjNS0_10empty_typeEbEEZZNS1_14partition_implILS8_3ELb0ES6_jNS0_17counting_iteratorIjlEEPS9_SE_NS0_5tupleIJPjSE_EEENSF_IJSE_SE_EEES9_SG_JZNS1_25segmented_radix_sort_implINS0_14default_configELb0EPKfPfPKlPlN2at6native12_GLOBAL__N_18offset_tEEE10hipError_tPvRmT1_PNSt15iterator_traitsISY_E10value_typeET2_T3_PNSZ_IS14_E10value_typeET4_jRbjT5_S1A_jjP12ihipStream_tbEUljE_EEESV_SW_SX_S14_S18_S1A_T6_T7_T9_mT8_S1C_bDpT10_ENKUlT_T0_E_clISt17integral_constantIbLb0EES1O_IbLb1EEEEDaS1K_S1L_EUlS1K_E_NS1_11comp_targetILNS1_3genE0ELNS1_11target_archE4294967295ELNS1_3gpuE0ELNS1_3repE0EEENS1_30default_config_static_selectorELNS0_4arch9wavefront6targetE0EEEvSY_.has_dyn_sized_stack, 0
	.set _ZN7rocprim17ROCPRIM_400000_NS6detail17trampoline_kernelINS0_13select_configILj256ELj13ELNS0_17block_load_methodE3ELS4_3ELS4_3ELNS0_20block_scan_algorithmE0ELj4294967295EEENS1_25partition_config_selectorILNS1_17partition_subalgoE3EjNS0_10empty_typeEbEEZZNS1_14partition_implILS8_3ELb0ES6_jNS0_17counting_iteratorIjlEEPS9_SE_NS0_5tupleIJPjSE_EEENSF_IJSE_SE_EEES9_SG_JZNS1_25segmented_radix_sort_implINS0_14default_configELb0EPKfPfPKlPlN2at6native12_GLOBAL__N_18offset_tEEE10hipError_tPvRmT1_PNSt15iterator_traitsISY_E10value_typeET2_T3_PNSZ_IS14_E10value_typeET4_jRbjT5_S1A_jjP12ihipStream_tbEUljE_EEESV_SW_SX_S14_S18_S1A_T6_T7_T9_mT8_S1C_bDpT10_ENKUlT_T0_E_clISt17integral_constantIbLb0EES1O_IbLb1EEEEDaS1K_S1L_EUlS1K_E_NS1_11comp_targetILNS1_3genE0ELNS1_11target_archE4294967295ELNS1_3gpuE0ELNS1_3repE0EEENS1_30default_config_static_selectorELNS0_4arch9wavefront6targetE0EEEvSY_.has_recursion, 0
	.set _ZN7rocprim17ROCPRIM_400000_NS6detail17trampoline_kernelINS0_13select_configILj256ELj13ELNS0_17block_load_methodE3ELS4_3ELS4_3ELNS0_20block_scan_algorithmE0ELj4294967295EEENS1_25partition_config_selectorILNS1_17partition_subalgoE3EjNS0_10empty_typeEbEEZZNS1_14partition_implILS8_3ELb0ES6_jNS0_17counting_iteratorIjlEEPS9_SE_NS0_5tupleIJPjSE_EEENSF_IJSE_SE_EEES9_SG_JZNS1_25segmented_radix_sort_implINS0_14default_configELb0EPKfPfPKlPlN2at6native12_GLOBAL__N_18offset_tEEE10hipError_tPvRmT1_PNSt15iterator_traitsISY_E10value_typeET2_T3_PNSZ_IS14_E10value_typeET4_jRbjT5_S1A_jjP12ihipStream_tbEUljE_EEESV_SW_SX_S14_S18_S1A_T6_T7_T9_mT8_S1C_bDpT10_ENKUlT_T0_E_clISt17integral_constantIbLb0EES1O_IbLb1EEEEDaS1K_S1L_EUlS1K_E_NS1_11comp_targetILNS1_3genE0ELNS1_11target_archE4294967295ELNS1_3gpuE0ELNS1_3repE0EEENS1_30default_config_static_selectorELNS0_4arch9wavefront6targetE0EEEvSY_.has_indirect_call, 0
	.section	.AMDGPU.csdata,"",@progbits
; Kernel info:
; codeLenInByte = 0
; TotalNumSgprs: 0
; NumVgprs: 0
; ScratchSize: 0
; MemoryBound: 0
; FloatMode: 240
; IeeeMode: 1
; LDSByteSize: 0 bytes/workgroup (compile time only)
; SGPRBlocks: 0
; VGPRBlocks: 0
; NumSGPRsForWavesPerEU: 1
; NumVGPRsForWavesPerEU: 1
; Occupancy: 16
; WaveLimiterHint : 0
; COMPUTE_PGM_RSRC2:SCRATCH_EN: 0
; COMPUTE_PGM_RSRC2:USER_SGPR: 6
; COMPUTE_PGM_RSRC2:TRAP_HANDLER: 0
; COMPUTE_PGM_RSRC2:TGID_X_EN: 1
; COMPUTE_PGM_RSRC2:TGID_Y_EN: 0
; COMPUTE_PGM_RSRC2:TGID_Z_EN: 0
; COMPUTE_PGM_RSRC2:TIDIG_COMP_CNT: 0
	.section	.text._ZN7rocprim17ROCPRIM_400000_NS6detail17trampoline_kernelINS0_13select_configILj256ELj13ELNS0_17block_load_methodE3ELS4_3ELS4_3ELNS0_20block_scan_algorithmE0ELj4294967295EEENS1_25partition_config_selectorILNS1_17partition_subalgoE3EjNS0_10empty_typeEbEEZZNS1_14partition_implILS8_3ELb0ES6_jNS0_17counting_iteratorIjlEEPS9_SE_NS0_5tupleIJPjSE_EEENSF_IJSE_SE_EEES9_SG_JZNS1_25segmented_radix_sort_implINS0_14default_configELb0EPKfPfPKlPlN2at6native12_GLOBAL__N_18offset_tEEE10hipError_tPvRmT1_PNSt15iterator_traitsISY_E10value_typeET2_T3_PNSZ_IS14_E10value_typeET4_jRbjT5_S1A_jjP12ihipStream_tbEUljE_EEESV_SW_SX_S14_S18_S1A_T6_T7_T9_mT8_S1C_bDpT10_ENKUlT_T0_E_clISt17integral_constantIbLb0EES1O_IbLb1EEEEDaS1K_S1L_EUlS1K_E_NS1_11comp_targetILNS1_3genE5ELNS1_11target_archE942ELNS1_3gpuE9ELNS1_3repE0EEENS1_30default_config_static_selectorELNS0_4arch9wavefront6targetE0EEEvSY_,"axG",@progbits,_ZN7rocprim17ROCPRIM_400000_NS6detail17trampoline_kernelINS0_13select_configILj256ELj13ELNS0_17block_load_methodE3ELS4_3ELS4_3ELNS0_20block_scan_algorithmE0ELj4294967295EEENS1_25partition_config_selectorILNS1_17partition_subalgoE3EjNS0_10empty_typeEbEEZZNS1_14partition_implILS8_3ELb0ES6_jNS0_17counting_iteratorIjlEEPS9_SE_NS0_5tupleIJPjSE_EEENSF_IJSE_SE_EEES9_SG_JZNS1_25segmented_radix_sort_implINS0_14default_configELb0EPKfPfPKlPlN2at6native12_GLOBAL__N_18offset_tEEE10hipError_tPvRmT1_PNSt15iterator_traitsISY_E10value_typeET2_T3_PNSZ_IS14_E10value_typeET4_jRbjT5_S1A_jjP12ihipStream_tbEUljE_EEESV_SW_SX_S14_S18_S1A_T6_T7_T9_mT8_S1C_bDpT10_ENKUlT_T0_E_clISt17integral_constantIbLb0EES1O_IbLb1EEEEDaS1K_S1L_EUlS1K_E_NS1_11comp_targetILNS1_3genE5ELNS1_11target_archE942ELNS1_3gpuE9ELNS1_3repE0EEENS1_30default_config_static_selectorELNS0_4arch9wavefront6targetE0EEEvSY_,comdat
	.globl	_ZN7rocprim17ROCPRIM_400000_NS6detail17trampoline_kernelINS0_13select_configILj256ELj13ELNS0_17block_load_methodE3ELS4_3ELS4_3ELNS0_20block_scan_algorithmE0ELj4294967295EEENS1_25partition_config_selectorILNS1_17partition_subalgoE3EjNS0_10empty_typeEbEEZZNS1_14partition_implILS8_3ELb0ES6_jNS0_17counting_iteratorIjlEEPS9_SE_NS0_5tupleIJPjSE_EEENSF_IJSE_SE_EEES9_SG_JZNS1_25segmented_radix_sort_implINS0_14default_configELb0EPKfPfPKlPlN2at6native12_GLOBAL__N_18offset_tEEE10hipError_tPvRmT1_PNSt15iterator_traitsISY_E10value_typeET2_T3_PNSZ_IS14_E10value_typeET4_jRbjT5_S1A_jjP12ihipStream_tbEUljE_EEESV_SW_SX_S14_S18_S1A_T6_T7_T9_mT8_S1C_bDpT10_ENKUlT_T0_E_clISt17integral_constantIbLb0EES1O_IbLb1EEEEDaS1K_S1L_EUlS1K_E_NS1_11comp_targetILNS1_3genE5ELNS1_11target_archE942ELNS1_3gpuE9ELNS1_3repE0EEENS1_30default_config_static_selectorELNS0_4arch9wavefront6targetE0EEEvSY_ ; -- Begin function _ZN7rocprim17ROCPRIM_400000_NS6detail17trampoline_kernelINS0_13select_configILj256ELj13ELNS0_17block_load_methodE3ELS4_3ELS4_3ELNS0_20block_scan_algorithmE0ELj4294967295EEENS1_25partition_config_selectorILNS1_17partition_subalgoE3EjNS0_10empty_typeEbEEZZNS1_14partition_implILS8_3ELb0ES6_jNS0_17counting_iteratorIjlEEPS9_SE_NS0_5tupleIJPjSE_EEENSF_IJSE_SE_EEES9_SG_JZNS1_25segmented_radix_sort_implINS0_14default_configELb0EPKfPfPKlPlN2at6native12_GLOBAL__N_18offset_tEEE10hipError_tPvRmT1_PNSt15iterator_traitsISY_E10value_typeET2_T3_PNSZ_IS14_E10value_typeET4_jRbjT5_S1A_jjP12ihipStream_tbEUljE_EEESV_SW_SX_S14_S18_S1A_T6_T7_T9_mT8_S1C_bDpT10_ENKUlT_T0_E_clISt17integral_constantIbLb0EES1O_IbLb1EEEEDaS1K_S1L_EUlS1K_E_NS1_11comp_targetILNS1_3genE5ELNS1_11target_archE942ELNS1_3gpuE9ELNS1_3repE0EEENS1_30default_config_static_selectorELNS0_4arch9wavefront6targetE0EEEvSY_
	.p2align	8
	.type	_ZN7rocprim17ROCPRIM_400000_NS6detail17trampoline_kernelINS0_13select_configILj256ELj13ELNS0_17block_load_methodE3ELS4_3ELS4_3ELNS0_20block_scan_algorithmE0ELj4294967295EEENS1_25partition_config_selectorILNS1_17partition_subalgoE3EjNS0_10empty_typeEbEEZZNS1_14partition_implILS8_3ELb0ES6_jNS0_17counting_iteratorIjlEEPS9_SE_NS0_5tupleIJPjSE_EEENSF_IJSE_SE_EEES9_SG_JZNS1_25segmented_radix_sort_implINS0_14default_configELb0EPKfPfPKlPlN2at6native12_GLOBAL__N_18offset_tEEE10hipError_tPvRmT1_PNSt15iterator_traitsISY_E10value_typeET2_T3_PNSZ_IS14_E10value_typeET4_jRbjT5_S1A_jjP12ihipStream_tbEUljE_EEESV_SW_SX_S14_S18_S1A_T6_T7_T9_mT8_S1C_bDpT10_ENKUlT_T0_E_clISt17integral_constantIbLb0EES1O_IbLb1EEEEDaS1K_S1L_EUlS1K_E_NS1_11comp_targetILNS1_3genE5ELNS1_11target_archE942ELNS1_3gpuE9ELNS1_3repE0EEENS1_30default_config_static_selectorELNS0_4arch9wavefront6targetE0EEEvSY_,@function
_ZN7rocprim17ROCPRIM_400000_NS6detail17trampoline_kernelINS0_13select_configILj256ELj13ELNS0_17block_load_methodE3ELS4_3ELS4_3ELNS0_20block_scan_algorithmE0ELj4294967295EEENS1_25partition_config_selectorILNS1_17partition_subalgoE3EjNS0_10empty_typeEbEEZZNS1_14partition_implILS8_3ELb0ES6_jNS0_17counting_iteratorIjlEEPS9_SE_NS0_5tupleIJPjSE_EEENSF_IJSE_SE_EEES9_SG_JZNS1_25segmented_radix_sort_implINS0_14default_configELb0EPKfPfPKlPlN2at6native12_GLOBAL__N_18offset_tEEE10hipError_tPvRmT1_PNSt15iterator_traitsISY_E10value_typeET2_T3_PNSZ_IS14_E10value_typeET4_jRbjT5_S1A_jjP12ihipStream_tbEUljE_EEESV_SW_SX_S14_S18_S1A_T6_T7_T9_mT8_S1C_bDpT10_ENKUlT_T0_E_clISt17integral_constantIbLb0EES1O_IbLb1EEEEDaS1K_S1L_EUlS1K_E_NS1_11comp_targetILNS1_3genE5ELNS1_11target_archE942ELNS1_3gpuE9ELNS1_3repE0EEENS1_30default_config_static_selectorELNS0_4arch9wavefront6targetE0EEEvSY_: ; @_ZN7rocprim17ROCPRIM_400000_NS6detail17trampoline_kernelINS0_13select_configILj256ELj13ELNS0_17block_load_methodE3ELS4_3ELS4_3ELNS0_20block_scan_algorithmE0ELj4294967295EEENS1_25partition_config_selectorILNS1_17partition_subalgoE3EjNS0_10empty_typeEbEEZZNS1_14partition_implILS8_3ELb0ES6_jNS0_17counting_iteratorIjlEEPS9_SE_NS0_5tupleIJPjSE_EEENSF_IJSE_SE_EEES9_SG_JZNS1_25segmented_radix_sort_implINS0_14default_configELb0EPKfPfPKlPlN2at6native12_GLOBAL__N_18offset_tEEE10hipError_tPvRmT1_PNSt15iterator_traitsISY_E10value_typeET2_T3_PNSZ_IS14_E10value_typeET4_jRbjT5_S1A_jjP12ihipStream_tbEUljE_EEESV_SW_SX_S14_S18_S1A_T6_T7_T9_mT8_S1C_bDpT10_ENKUlT_T0_E_clISt17integral_constantIbLb0EES1O_IbLb1EEEEDaS1K_S1L_EUlS1K_E_NS1_11comp_targetILNS1_3genE5ELNS1_11target_archE942ELNS1_3gpuE9ELNS1_3repE0EEENS1_30default_config_static_selectorELNS0_4arch9wavefront6targetE0EEEvSY_
; %bb.0:
	.section	.rodata,"a",@progbits
	.p2align	6, 0x0
	.amdhsa_kernel _ZN7rocprim17ROCPRIM_400000_NS6detail17trampoline_kernelINS0_13select_configILj256ELj13ELNS0_17block_load_methodE3ELS4_3ELS4_3ELNS0_20block_scan_algorithmE0ELj4294967295EEENS1_25partition_config_selectorILNS1_17partition_subalgoE3EjNS0_10empty_typeEbEEZZNS1_14partition_implILS8_3ELb0ES6_jNS0_17counting_iteratorIjlEEPS9_SE_NS0_5tupleIJPjSE_EEENSF_IJSE_SE_EEES9_SG_JZNS1_25segmented_radix_sort_implINS0_14default_configELb0EPKfPfPKlPlN2at6native12_GLOBAL__N_18offset_tEEE10hipError_tPvRmT1_PNSt15iterator_traitsISY_E10value_typeET2_T3_PNSZ_IS14_E10value_typeET4_jRbjT5_S1A_jjP12ihipStream_tbEUljE_EEESV_SW_SX_S14_S18_S1A_T6_T7_T9_mT8_S1C_bDpT10_ENKUlT_T0_E_clISt17integral_constantIbLb0EES1O_IbLb1EEEEDaS1K_S1L_EUlS1K_E_NS1_11comp_targetILNS1_3genE5ELNS1_11target_archE942ELNS1_3gpuE9ELNS1_3repE0EEENS1_30default_config_static_selectorELNS0_4arch9wavefront6targetE0EEEvSY_
		.amdhsa_group_segment_fixed_size 0
		.amdhsa_private_segment_fixed_size 0
		.amdhsa_kernarg_size 152
		.amdhsa_user_sgpr_count 6
		.amdhsa_user_sgpr_private_segment_buffer 1
		.amdhsa_user_sgpr_dispatch_ptr 0
		.amdhsa_user_sgpr_queue_ptr 0
		.amdhsa_user_sgpr_kernarg_segment_ptr 1
		.amdhsa_user_sgpr_dispatch_id 0
		.amdhsa_user_sgpr_flat_scratch_init 0
		.amdhsa_user_sgpr_private_segment_size 0
		.amdhsa_wavefront_size32 1
		.amdhsa_uses_dynamic_stack 0
		.amdhsa_system_sgpr_private_segment_wavefront_offset 0
		.amdhsa_system_sgpr_workgroup_id_x 1
		.amdhsa_system_sgpr_workgroup_id_y 0
		.amdhsa_system_sgpr_workgroup_id_z 0
		.amdhsa_system_sgpr_workgroup_info 0
		.amdhsa_system_vgpr_workitem_id 0
		.amdhsa_next_free_vgpr 1
		.amdhsa_next_free_sgpr 1
		.amdhsa_reserve_vcc 0
		.amdhsa_reserve_flat_scratch 0
		.amdhsa_float_round_mode_32 0
		.amdhsa_float_round_mode_16_64 0
		.amdhsa_float_denorm_mode_32 3
		.amdhsa_float_denorm_mode_16_64 3
		.amdhsa_dx10_clamp 1
		.amdhsa_ieee_mode 1
		.amdhsa_fp16_overflow 0
		.amdhsa_workgroup_processor_mode 1
		.amdhsa_memory_ordered 1
		.amdhsa_forward_progress 1
		.amdhsa_shared_vgpr_count 0
		.amdhsa_exception_fp_ieee_invalid_op 0
		.amdhsa_exception_fp_denorm_src 0
		.amdhsa_exception_fp_ieee_div_zero 0
		.amdhsa_exception_fp_ieee_overflow 0
		.amdhsa_exception_fp_ieee_underflow 0
		.amdhsa_exception_fp_ieee_inexact 0
		.amdhsa_exception_int_div_zero 0
	.end_amdhsa_kernel
	.section	.text._ZN7rocprim17ROCPRIM_400000_NS6detail17trampoline_kernelINS0_13select_configILj256ELj13ELNS0_17block_load_methodE3ELS4_3ELS4_3ELNS0_20block_scan_algorithmE0ELj4294967295EEENS1_25partition_config_selectorILNS1_17partition_subalgoE3EjNS0_10empty_typeEbEEZZNS1_14partition_implILS8_3ELb0ES6_jNS0_17counting_iteratorIjlEEPS9_SE_NS0_5tupleIJPjSE_EEENSF_IJSE_SE_EEES9_SG_JZNS1_25segmented_radix_sort_implINS0_14default_configELb0EPKfPfPKlPlN2at6native12_GLOBAL__N_18offset_tEEE10hipError_tPvRmT1_PNSt15iterator_traitsISY_E10value_typeET2_T3_PNSZ_IS14_E10value_typeET4_jRbjT5_S1A_jjP12ihipStream_tbEUljE_EEESV_SW_SX_S14_S18_S1A_T6_T7_T9_mT8_S1C_bDpT10_ENKUlT_T0_E_clISt17integral_constantIbLb0EES1O_IbLb1EEEEDaS1K_S1L_EUlS1K_E_NS1_11comp_targetILNS1_3genE5ELNS1_11target_archE942ELNS1_3gpuE9ELNS1_3repE0EEENS1_30default_config_static_selectorELNS0_4arch9wavefront6targetE0EEEvSY_,"axG",@progbits,_ZN7rocprim17ROCPRIM_400000_NS6detail17trampoline_kernelINS0_13select_configILj256ELj13ELNS0_17block_load_methodE3ELS4_3ELS4_3ELNS0_20block_scan_algorithmE0ELj4294967295EEENS1_25partition_config_selectorILNS1_17partition_subalgoE3EjNS0_10empty_typeEbEEZZNS1_14partition_implILS8_3ELb0ES6_jNS0_17counting_iteratorIjlEEPS9_SE_NS0_5tupleIJPjSE_EEENSF_IJSE_SE_EEES9_SG_JZNS1_25segmented_radix_sort_implINS0_14default_configELb0EPKfPfPKlPlN2at6native12_GLOBAL__N_18offset_tEEE10hipError_tPvRmT1_PNSt15iterator_traitsISY_E10value_typeET2_T3_PNSZ_IS14_E10value_typeET4_jRbjT5_S1A_jjP12ihipStream_tbEUljE_EEESV_SW_SX_S14_S18_S1A_T6_T7_T9_mT8_S1C_bDpT10_ENKUlT_T0_E_clISt17integral_constantIbLb0EES1O_IbLb1EEEEDaS1K_S1L_EUlS1K_E_NS1_11comp_targetILNS1_3genE5ELNS1_11target_archE942ELNS1_3gpuE9ELNS1_3repE0EEENS1_30default_config_static_selectorELNS0_4arch9wavefront6targetE0EEEvSY_,comdat
.Lfunc_end1413:
	.size	_ZN7rocprim17ROCPRIM_400000_NS6detail17trampoline_kernelINS0_13select_configILj256ELj13ELNS0_17block_load_methodE3ELS4_3ELS4_3ELNS0_20block_scan_algorithmE0ELj4294967295EEENS1_25partition_config_selectorILNS1_17partition_subalgoE3EjNS0_10empty_typeEbEEZZNS1_14partition_implILS8_3ELb0ES6_jNS0_17counting_iteratorIjlEEPS9_SE_NS0_5tupleIJPjSE_EEENSF_IJSE_SE_EEES9_SG_JZNS1_25segmented_radix_sort_implINS0_14default_configELb0EPKfPfPKlPlN2at6native12_GLOBAL__N_18offset_tEEE10hipError_tPvRmT1_PNSt15iterator_traitsISY_E10value_typeET2_T3_PNSZ_IS14_E10value_typeET4_jRbjT5_S1A_jjP12ihipStream_tbEUljE_EEESV_SW_SX_S14_S18_S1A_T6_T7_T9_mT8_S1C_bDpT10_ENKUlT_T0_E_clISt17integral_constantIbLb0EES1O_IbLb1EEEEDaS1K_S1L_EUlS1K_E_NS1_11comp_targetILNS1_3genE5ELNS1_11target_archE942ELNS1_3gpuE9ELNS1_3repE0EEENS1_30default_config_static_selectorELNS0_4arch9wavefront6targetE0EEEvSY_, .Lfunc_end1413-_ZN7rocprim17ROCPRIM_400000_NS6detail17trampoline_kernelINS0_13select_configILj256ELj13ELNS0_17block_load_methodE3ELS4_3ELS4_3ELNS0_20block_scan_algorithmE0ELj4294967295EEENS1_25partition_config_selectorILNS1_17partition_subalgoE3EjNS0_10empty_typeEbEEZZNS1_14partition_implILS8_3ELb0ES6_jNS0_17counting_iteratorIjlEEPS9_SE_NS0_5tupleIJPjSE_EEENSF_IJSE_SE_EEES9_SG_JZNS1_25segmented_radix_sort_implINS0_14default_configELb0EPKfPfPKlPlN2at6native12_GLOBAL__N_18offset_tEEE10hipError_tPvRmT1_PNSt15iterator_traitsISY_E10value_typeET2_T3_PNSZ_IS14_E10value_typeET4_jRbjT5_S1A_jjP12ihipStream_tbEUljE_EEESV_SW_SX_S14_S18_S1A_T6_T7_T9_mT8_S1C_bDpT10_ENKUlT_T0_E_clISt17integral_constantIbLb0EES1O_IbLb1EEEEDaS1K_S1L_EUlS1K_E_NS1_11comp_targetILNS1_3genE5ELNS1_11target_archE942ELNS1_3gpuE9ELNS1_3repE0EEENS1_30default_config_static_selectorELNS0_4arch9wavefront6targetE0EEEvSY_
                                        ; -- End function
	.set _ZN7rocprim17ROCPRIM_400000_NS6detail17trampoline_kernelINS0_13select_configILj256ELj13ELNS0_17block_load_methodE3ELS4_3ELS4_3ELNS0_20block_scan_algorithmE0ELj4294967295EEENS1_25partition_config_selectorILNS1_17partition_subalgoE3EjNS0_10empty_typeEbEEZZNS1_14partition_implILS8_3ELb0ES6_jNS0_17counting_iteratorIjlEEPS9_SE_NS0_5tupleIJPjSE_EEENSF_IJSE_SE_EEES9_SG_JZNS1_25segmented_radix_sort_implINS0_14default_configELb0EPKfPfPKlPlN2at6native12_GLOBAL__N_18offset_tEEE10hipError_tPvRmT1_PNSt15iterator_traitsISY_E10value_typeET2_T3_PNSZ_IS14_E10value_typeET4_jRbjT5_S1A_jjP12ihipStream_tbEUljE_EEESV_SW_SX_S14_S18_S1A_T6_T7_T9_mT8_S1C_bDpT10_ENKUlT_T0_E_clISt17integral_constantIbLb0EES1O_IbLb1EEEEDaS1K_S1L_EUlS1K_E_NS1_11comp_targetILNS1_3genE5ELNS1_11target_archE942ELNS1_3gpuE9ELNS1_3repE0EEENS1_30default_config_static_selectorELNS0_4arch9wavefront6targetE0EEEvSY_.num_vgpr, 0
	.set _ZN7rocprim17ROCPRIM_400000_NS6detail17trampoline_kernelINS0_13select_configILj256ELj13ELNS0_17block_load_methodE3ELS4_3ELS4_3ELNS0_20block_scan_algorithmE0ELj4294967295EEENS1_25partition_config_selectorILNS1_17partition_subalgoE3EjNS0_10empty_typeEbEEZZNS1_14partition_implILS8_3ELb0ES6_jNS0_17counting_iteratorIjlEEPS9_SE_NS0_5tupleIJPjSE_EEENSF_IJSE_SE_EEES9_SG_JZNS1_25segmented_radix_sort_implINS0_14default_configELb0EPKfPfPKlPlN2at6native12_GLOBAL__N_18offset_tEEE10hipError_tPvRmT1_PNSt15iterator_traitsISY_E10value_typeET2_T3_PNSZ_IS14_E10value_typeET4_jRbjT5_S1A_jjP12ihipStream_tbEUljE_EEESV_SW_SX_S14_S18_S1A_T6_T7_T9_mT8_S1C_bDpT10_ENKUlT_T0_E_clISt17integral_constantIbLb0EES1O_IbLb1EEEEDaS1K_S1L_EUlS1K_E_NS1_11comp_targetILNS1_3genE5ELNS1_11target_archE942ELNS1_3gpuE9ELNS1_3repE0EEENS1_30default_config_static_selectorELNS0_4arch9wavefront6targetE0EEEvSY_.num_agpr, 0
	.set _ZN7rocprim17ROCPRIM_400000_NS6detail17trampoline_kernelINS0_13select_configILj256ELj13ELNS0_17block_load_methodE3ELS4_3ELS4_3ELNS0_20block_scan_algorithmE0ELj4294967295EEENS1_25partition_config_selectorILNS1_17partition_subalgoE3EjNS0_10empty_typeEbEEZZNS1_14partition_implILS8_3ELb0ES6_jNS0_17counting_iteratorIjlEEPS9_SE_NS0_5tupleIJPjSE_EEENSF_IJSE_SE_EEES9_SG_JZNS1_25segmented_radix_sort_implINS0_14default_configELb0EPKfPfPKlPlN2at6native12_GLOBAL__N_18offset_tEEE10hipError_tPvRmT1_PNSt15iterator_traitsISY_E10value_typeET2_T3_PNSZ_IS14_E10value_typeET4_jRbjT5_S1A_jjP12ihipStream_tbEUljE_EEESV_SW_SX_S14_S18_S1A_T6_T7_T9_mT8_S1C_bDpT10_ENKUlT_T0_E_clISt17integral_constantIbLb0EES1O_IbLb1EEEEDaS1K_S1L_EUlS1K_E_NS1_11comp_targetILNS1_3genE5ELNS1_11target_archE942ELNS1_3gpuE9ELNS1_3repE0EEENS1_30default_config_static_selectorELNS0_4arch9wavefront6targetE0EEEvSY_.numbered_sgpr, 0
	.set _ZN7rocprim17ROCPRIM_400000_NS6detail17trampoline_kernelINS0_13select_configILj256ELj13ELNS0_17block_load_methodE3ELS4_3ELS4_3ELNS0_20block_scan_algorithmE0ELj4294967295EEENS1_25partition_config_selectorILNS1_17partition_subalgoE3EjNS0_10empty_typeEbEEZZNS1_14partition_implILS8_3ELb0ES6_jNS0_17counting_iteratorIjlEEPS9_SE_NS0_5tupleIJPjSE_EEENSF_IJSE_SE_EEES9_SG_JZNS1_25segmented_radix_sort_implINS0_14default_configELb0EPKfPfPKlPlN2at6native12_GLOBAL__N_18offset_tEEE10hipError_tPvRmT1_PNSt15iterator_traitsISY_E10value_typeET2_T3_PNSZ_IS14_E10value_typeET4_jRbjT5_S1A_jjP12ihipStream_tbEUljE_EEESV_SW_SX_S14_S18_S1A_T6_T7_T9_mT8_S1C_bDpT10_ENKUlT_T0_E_clISt17integral_constantIbLb0EES1O_IbLb1EEEEDaS1K_S1L_EUlS1K_E_NS1_11comp_targetILNS1_3genE5ELNS1_11target_archE942ELNS1_3gpuE9ELNS1_3repE0EEENS1_30default_config_static_selectorELNS0_4arch9wavefront6targetE0EEEvSY_.num_named_barrier, 0
	.set _ZN7rocprim17ROCPRIM_400000_NS6detail17trampoline_kernelINS0_13select_configILj256ELj13ELNS0_17block_load_methodE3ELS4_3ELS4_3ELNS0_20block_scan_algorithmE0ELj4294967295EEENS1_25partition_config_selectorILNS1_17partition_subalgoE3EjNS0_10empty_typeEbEEZZNS1_14partition_implILS8_3ELb0ES6_jNS0_17counting_iteratorIjlEEPS9_SE_NS0_5tupleIJPjSE_EEENSF_IJSE_SE_EEES9_SG_JZNS1_25segmented_radix_sort_implINS0_14default_configELb0EPKfPfPKlPlN2at6native12_GLOBAL__N_18offset_tEEE10hipError_tPvRmT1_PNSt15iterator_traitsISY_E10value_typeET2_T3_PNSZ_IS14_E10value_typeET4_jRbjT5_S1A_jjP12ihipStream_tbEUljE_EEESV_SW_SX_S14_S18_S1A_T6_T7_T9_mT8_S1C_bDpT10_ENKUlT_T0_E_clISt17integral_constantIbLb0EES1O_IbLb1EEEEDaS1K_S1L_EUlS1K_E_NS1_11comp_targetILNS1_3genE5ELNS1_11target_archE942ELNS1_3gpuE9ELNS1_3repE0EEENS1_30default_config_static_selectorELNS0_4arch9wavefront6targetE0EEEvSY_.private_seg_size, 0
	.set _ZN7rocprim17ROCPRIM_400000_NS6detail17trampoline_kernelINS0_13select_configILj256ELj13ELNS0_17block_load_methodE3ELS4_3ELS4_3ELNS0_20block_scan_algorithmE0ELj4294967295EEENS1_25partition_config_selectorILNS1_17partition_subalgoE3EjNS0_10empty_typeEbEEZZNS1_14partition_implILS8_3ELb0ES6_jNS0_17counting_iteratorIjlEEPS9_SE_NS0_5tupleIJPjSE_EEENSF_IJSE_SE_EEES9_SG_JZNS1_25segmented_radix_sort_implINS0_14default_configELb0EPKfPfPKlPlN2at6native12_GLOBAL__N_18offset_tEEE10hipError_tPvRmT1_PNSt15iterator_traitsISY_E10value_typeET2_T3_PNSZ_IS14_E10value_typeET4_jRbjT5_S1A_jjP12ihipStream_tbEUljE_EEESV_SW_SX_S14_S18_S1A_T6_T7_T9_mT8_S1C_bDpT10_ENKUlT_T0_E_clISt17integral_constantIbLb0EES1O_IbLb1EEEEDaS1K_S1L_EUlS1K_E_NS1_11comp_targetILNS1_3genE5ELNS1_11target_archE942ELNS1_3gpuE9ELNS1_3repE0EEENS1_30default_config_static_selectorELNS0_4arch9wavefront6targetE0EEEvSY_.uses_vcc, 0
	.set _ZN7rocprim17ROCPRIM_400000_NS6detail17trampoline_kernelINS0_13select_configILj256ELj13ELNS0_17block_load_methodE3ELS4_3ELS4_3ELNS0_20block_scan_algorithmE0ELj4294967295EEENS1_25partition_config_selectorILNS1_17partition_subalgoE3EjNS0_10empty_typeEbEEZZNS1_14partition_implILS8_3ELb0ES6_jNS0_17counting_iteratorIjlEEPS9_SE_NS0_5tupleIJPjSE_EEENSF_IJSE_SE_EEES9_SG_JZNS1_25segmented_radix_sort_implINS0_14default_configELb0EPKfPfPKlPlN2at6native12_GLOBAL__N_18offset_tEEE10hipError_tPvRmT1_PNSt15iterator_traitsISY_E10value_typeET2_T3_PNSZ_IS14_E10value_typeET4_jRbjT5_S1A_jjP12ihipStream_tbEUljE_EEESV_SW_SX_S14_S18_S1A_T6_T7_T9_mT8_S1C_bDpT10_ENKUlT_T0_E_clISt17integral_constantIbLb0EES1O_IbLb1EEEEDaS1K_S1L_EUlS1K_E_NS1_11comp_targetILNS1_3genE5ELNS1_11target_archE942ELNS1_3gpuE9ELNS1_3repE0EEENS1_30default_config_static_selectorELNS0_4arch9wavefront6targetE0EEEvSY_.uses_flat_scratch, 0
	.set _ZN7rocprim17ROCPRIM_400000_NS6detail17trampoline_kernelINS0_13select_configILj256ELj13ELNS0_17block_load_methodE3ELS4_3ELS4_3ELNS0_20block_scan_algorithmE0ELj4294967295EEENS1_25partition_config_selectorILNS1_17partition_subalgoE3EjNS0_10empty_typeEbEEZZNS1_14partition_implILS8_3ELb0ES6_jNS0_17counting_iteratorIjlEEPS9_SE_NS0_5tupleIJPjSE_EEENSF_IJSE_SE_EEES9_SG_JZNS1_25segmented_radix_sort_implINS0_14default_configELb0EPKfPfPKlPlN2at6native12_GLOBAL__N_18offset_tEEE10hipError_tPvRmT1_PNSt15iterator_traitsISY_E10value_typeET2_T3_PNSZ_IS14_E10value_typeET4_jRbjT5_S1A_jjP12ihipStream_tbEUljE_EEESV_SW_SX_S14_S18_S1A_T6_T7_T9_mT8_S1C_bDpT10_ENKUlT_T0_E_clISt17integral_constantIbLb0EES1O_IbLb1EEEEDaS1K_S1L_EUlS1K_E_NS1_11comp_targetILNS1_3genE5ELNS1_11target_archE942ELNS1_3gpuE9ELNS1_3repE0EEENS1_30default_config_static_selectorELNS0_4arch9wavefront6targetE0EEEvSY_.has_dyn_sized_stack, 0
	.set _ZN7rocprim17ROCPRIM_400000_NS6detail17trampoline_kernelINS0_13select_configILj256ELj13ELNS0_17block_load_methodE3ELS4_3ELS4_3ELNS0_20block_scan_algorithmE0ELj4294967295EEENS1_25partition_config_selectorILNS1_17partition_subalgoE3EjNS0_10empty_typeEbEEZZNS1_14partition_implILS8_3ELb0ES6_jNS0_17counting_iteratorIjlEEPS9_SE_NS0_5tupleIJPjSE_EEENSF_IJSE_SE_EEES9_SG_JZNS1_25segmented_radix_sort_implINS0_14default_configELb0EPKfPfPKlPlN2at6native12_GLOBAL__N_18offset_tEEE10hipError_tPvRmT1_PNSt15iterator_traitsISY_E10value_typeET2_T3_PNSZ_IS14_E10value_typeET4_jRbjT5_S1A_jjP12ihipStream_tbEUljE_EEESV_SW_SX_S14_S18_S1A_T6_T7_T9_mT8_S1C_bDpT10_ENKUlT_T0_E_clISt17integral_constantIbLb0EES1O_IbLb1EEEEDaS1K_S1L_EUlS1K_E_NS1_11comp_targetILNS1_3genE5ELNS1_11target_archE942ELNS1_3gpuE9ELNS1_3repE0EEENS1_30default_config_static_selectorELNS0_4arch9wavefront6targetE0EEEvSY_.has_recursion, 0
	.set _ZN7rocprim17ROCPRIM_400000_NS6detail17trampoline_kernelINS0_13select_configILj256ELj13ELNS0_17block_load_methodE3ELS4_3ELS4_3ELNS0_20block_scan_algorithmE0ELj4294967295EEENS1_25partition_config_selectorILNS1_17partition_subalgoE3EjNS0_10empty_typeEbEEZZNS1_14partition_implILS8_3ELb0ES6_jNS0_17counting_iteratorIjlEEPS9_SE_NS0_5tupleIJPjSE_EEENSF_IJSE_SE_EEES9_SG_JZNS1_25segmented_radix_sort_implINS0_14default_configELb0EPKfPfPKlPlN2at6native12_GLOBAL__N_18offset_tEEE10hipError_tPvRmT1_PNSt15iterator_traitsISY_E10value_typeET2_T3_PNSZ_IS14_E10value_typeET4_jRbjT5_S1A_jjP12ihipStream_tbEUljE_EEESV_SW_SX_S14_S18_S1A_T6_T7_T9_mT8_S1C_bDpT10_ENKUlT_T0_E_clISt17integral_constantIbLb0EES1O_IbLb1EEEEDaS1K_S1L_EUlS1K_E_NS1_11comp_targetILNS1_3genE5ELNS1_11target_archE942ELNS1_3gpuE9ELNS1_3repE0EEENS1_30default_config_static_selectorELNS0_4arch9wavefront6targetE0EEEvSY_.has_indirect_call, 0
	.section	.AMDGPU.csdata,"",@progbits
; Kernel info:
; codeLenInByte = 0
; TotalNumSgprs: 0
; NumVgprs: 0
; ScratchSize: 0
; MemoryBound: 0
; FloatMode: 240
; IeeeMode: 1
; LDSByteSize: 0 bytes/workgroup (compile time only)
; SGPRBlocks: 0
; VGPRBlocks: 0
; NumSGPRsForWavesPerEU: 1
; NumVGPRsForWavesPerEU: 1
; Occupancy: 16
; WaveLimiterHint : 0
; COMPUTE_PGM_RSRC2:SCRATCH_EN: 0
; COMPUTE_PGM_RSRC2:USER_SGPR: 6
; COMPUTE_PGM_RSRC2:TRAP_HANDLER: 0
; COMPUTE_PGM_RSRC2:TGID_X_EN: 1
; COMPUTE_PGM_RSRC2:TGID_Y_EN: 0
; COMPUTE_PGM_RSRC2:TGID_Z_EN: 0
; COMPUTE_PGM_RSRC2:TIDIG_COMP_CNT: 0
	.section	.text._ZN7rocprim17ROCPRIM_400000_NS6detail17trampoline_kernelINS0_13select_configILj256ELj13ELNS0_17block_load_methodE3ELS4_3ELS4_3ELNS0_20block_scan_algorithmE0ELj4294967295EEENS1_25partition_config_selectorILNS1_17partition_subalgoE3EjNS0_10empty_typeEbEEZZNS1_14partition_implILS8_3ELb0ES6_jNS0_17counting_iteratorIjlEEPS9_SE_NS0_5tupleIJPjSE_EEENSF_IJSE_SE_EEES9_SG_JZNS1_25segmented_radix_sort_implINS0_14default_configELb0EPKfPfPKlPlN2at6native12_GLOBAL__N_18offset_tEEE10hipError_tPvRmT1_PNSt15iterator_traitsISY_E10value_typeET2_T3_PNSZ_IS14_E10value_typeET4_jRbjT5_S1A_jjP12ihipStream_tbEUljE_EEESV_SW_SX_S14_S18_S1A_T6_T7_T9_mT8_S1C_bDpT10_ENKUlT_T0_E_clISt17integral_constantIbLb0EES1O_IbLb1EEEEDaS1K_S1L_EUlS1K_E_NS1_11comp_targetILNS1_3genE4ELNS1_11target_archE910ELNS1_3gpuE8ELNS1_3repE0EEENS1_30default_config_static_selectorELNS0_4arch9wavefront6targetE0EEEvSY_,"axG",@progbits,_ZN7rocprim17ROCPRIM_400000_NS6detail17trampoline_kernelINS0_13select_configILj256ELj13ELNS0_17block_load_methodE3ELS4_3ELS4_3ELNS0_20block_scan_algorithmE0ELj4294967295EEENS1_25partition_config_selectorILNS1_17partition_subalgoE3EjNS0_10empty_typeEbEEZZNS1_14partition_implILS8_3ELb0ES6_jNS0_17counting_iteratorIjlEEPS9_SE_NS0_5tupleIJPjSE_EEENSF_IJSE_SE_EEES9_SG_JZNS1_25segmented_radix_sort_implINS0_14default_configELb0EPKfPfPKlPlN2at6native12_GLOBAL__N_18offset_tEEE10hipError_tPvRmT1_PNSt15iterator_traitsISY_E10value_typeET2_T3_PNSZ_IS14_E10value_typeET4_jRbjT5_S1A_jjP12ihipStream_tbEUljE_EEESV_SW_SX_S14_S18_S1A_T6_T7_T9_mT8_S1C_bDpT10_ENKUlT_T0_E_clISt17integral_constantIbLb0EES1O_IbLb1EEEEDaS1K_S1L_EUlS1K_E_NS1_11comp_targetILNS1_3genE4ELNS1_11target_archE910ELNS1_3gpuE8ELNS1_3repE0EEENS1_30default_config_static_selectorELNS0_4arch9wavefront6targetE0EEEvSY_,comdat
	.globl	_ZN7rocprim17ROCPRIM_400000_NS6detail17trampoline_kernelINS0_13select_configILj256ELj13ELNS0_17block_load_methodE3ELS4_3ELS4_3ELNS0_20block_scan_algorithmE0ELj4294967295EEENS1_25partition_config_selectorILNS1_17partition_subalgoE3EjNS0_10empty_typeEbEEZZNS1_14partition_implILS8_3ELb0ES6_jNS0_17counting_iteratorIjlEEPS9_SE_NS0_5tupleIJPjSE_EEENSF_IJSE_SE_EEES9_SG_JZNS1_25segmented_radix_sort_implINS0_14default_configELb0EPKfPfPKlPlN2at6native12_GLOBAL__N_18offset_tEEE10hipError_tPvRmT1_PNSt15iterator_traitsISY_E10value_typeET2_T3_PNSZ_IS14_E10value_typeET4_jRbjT5_S1A_jjP12ihipStream_tbEUljE_EEESV_SW_SX_S14_S18_S1A_T6_T7_T9_mT8_S1C_bDpT10_ENKUlT_T0_E_clISt17integral_constantIbLb0EES1O_IbLb1EEEEDaS1K_S1L_EUlS1K_E_NS1_11comp_targetILNS1_3genE4ELNS1_11target_archE910ELNS1_3gpuE8ELNS1_3repE0EEENS1_30default_config_static_selectorELNS0_4arch9wavefront6targetE0EEEvSY_ ; -- Begin function _ZN7rocprim17ROCPRIM_400000_NS6detail17trampoline_kernelINS0_13select_configILj256ELj13ELNS0_17block_load_methodE3ELS4_3ELS4_3ELNS0_20block_scan_algorithmE0ELj4294967295EEENS1_25partition_config_selectorILNS1_17partition_subalgoE3EjNS0_10empty_typeEbEEZZNS1_14partition_implILS8_3ELb0ES6_jNS0_17counting_iteratorIjlEEPS9_SE_NS0_5tupleIJPjSE_EEENSF_IJSE_SE_EEES9_SG_JZNS1_25segmented_radix_sort_implINS0_14default_configELb0EPKfPfPKlPlN2at6native12_GLOBAL__N_18offset_tEEE10hipError_tPvRmT1_PNSt15iterator_traitsISY_E10value_typeET2_T3_PNSZ_IS14_E10value_typeET4_jRbjT5_S1A_jjP12ihipStream_tbEUljE_EEESV_SW_SX_S14_S18_S1A_T6_T7_T9_mT8_S1C_bDpT10_ENKUlT_T0_E_clISt17integral_constantIbLb0EES1O_IbLb1EEEEDaS1K_S1L_EUlS1K_E_NS1_11comp_targetILNS1_3genE4ELNS1_11target_archE910ELNS1_3gpuE8ELNS1_3repE0EEENS1_30default_config_static_selectorELNS0_4arch9wavefront6targetE0EEEvSY_
	.p2align	8
	.type	_ZN7rocprim17ROCPRIM_400000_NS6detail17trampoline_kernelINS0_13select_configILj256ELj13ELNS0_17block_load_methodE3ELS4_3ELS4_3ELNS0_20block_scan_algorithmE0ELj4294967295EEENS1_25partition_config_selectorILNS1_17partition_subalgoE3EjNS0_10empty_typeEbEEZZNS1_14partition_implILS8_3ELb0ES6_jNS0_17counting_iteratorIjlEEPS9_SE_NS0_5tupleIJPjSE_EEENSF_IJSE_SE_EEES9_SG_JZNS1_25segmented_radix_sort_implINS0_14default_configELb0EPKfPfPKlPlN2at6native12_GLOBAL__N_18offset_tEEE10hipError_tPvRmT1_PNSt15iterator_traitsISY_E10value_typeET2_T3_PNSZ_IS14_E10value_typeET4_jRbjT5_S1A_jjP12ihipStream_tbEUljE_EEESV_SW_SX_S14_S18_S1A_T6_T7_T9_mT8_S1C_bDpT10_ENKUlT_T0_E_clISt17integral_constantIbLb0EES1O_IbLb1EEEEDaS1K_S1L_EUlS1K_E_NS1_11comp_targetILNS1_3genE4ELNS1_11target_archE910ELNS1_3gpuE8ELNS1_3repE0EEENS1_30default_config_static_selectorELNS0_4arch9wavefront6targetE0EEEvSY_,@function
_ZN7rocprim17ROCPRIM_400000_NS6detail17trampoline_kernelINS0_13select_configILj256ELj13ELNS0_17block_load_methodE3ELS4_3ELS4_3ELNS0_20block_scan_algorithmE0ELj4294967295EEENS1_25partition_config_selectorILNS1_17partition_subalgoE3EjNS0_10empty_typeEbEEZZNS1_14partition_implILS8_3ELb0ES6_jNS0_17counting_iteratorIjlEEPS9_SE_NS0_5tupleIJPjSE_EEENSF_IJSE_SE_EEES9_SG_JZNS1_25segmented_radix_sort_implINS0_14default_configELb0EPKfPfPKlPlN2at6native12_GLOBAL__N_18offset_tEEE10hipError_tPvRmT1_PNSt15iterator_traitsISY_E10value_typeET2_T3_PNSZ_IS14_E10value_typeET4_jRbjT5_S1A_jjP12ihipStream_tbEUljE_EEESV_SW_SX_S14_S18_S1A_T6_T7_T9_mT8_S1C_bDpT10_ENKUlT_T0_E_clISt17integral_constantIbLb0EES1O_IbLb1EEEEDaS1K_S1L_EUlS1K_E_NS1_11comp_targetILNS1_3genE4ELNS1_11target_archE910ELNS1_3gpuE8ELNS1_3repE0EEENS1_30default_config_static_selectorELNS0_4arch9wavefront6targetE0EEEvSY_: ; @_ZN7rocprim17ROCPRIM_400000_NS6detail17trampoline_kernelINS0_13select_configILj256ELj13ELNS0_17block_load_methodE3ELS4_3ELS4_3ELNS0_20block_scan_algorithmE0ELj4294967295EEENS1_25partition_config_selectorILNS1_17partition_subalgoE3EjNS0_10empty_typeEbEEZZNS1_14partition_implILS8_3ELb0ES6_jNS0_17counting_iteratorIjlEEPS9_SE_NS0_5tupleIJPjSE_EEENSF_IJSE_SE_EEES9_SG_JZNS1_25segmented_radix_sort_implINS0_14default_configELb0EPKfPfPKlPlN2at6native12_GLOBAL__N_18offset_tEEE10hipError_tPvRmT1_PNSt15iterator_traitsISY_E10value_typeET2_T3_PNSZ_IS14_E10value_typeET4_jRbjT5_S1A_jjP12ihipStream_tbEUljE_EEESV_SW_SX_S14_S18_S1A_T6_T7_T9_mT8_S1C_bDpT10_ENKUlT_T0_E_clISt17integral_constantIbLb0EES1O_IbLb1EEEEDaS1K_S1L_EUlS1K_E_NS1_11comp_targetILNS1_3genE4ELNS1_11target_archE910ELNS1_3gpuE8ELNS1_3repE0EEENS1_30default_config_static_selectorELNS0_4arch9wavefront6targetE0EEEvSY_
; %bb.0:
	.section	.rodata,"a",@progbits
	.p2align	6, 0x0
	.amdhsa_kernel _ZN7rocprim17ROCPRIM_400000_NS6detail17trampoline_kernelINS0_13select_configILj256ELj13ELNS0_17block_load_methodE3ELS4_3ELS4_3ELNS0_20block_scan_algorithmE0ELj4294967295EEENS1_25partition_config_selectorILNS1_17partition_subalgoE3EjNS0_10empty_typeEbEEZZNS1_14partition_implILS8_3ELb0ES6_jNS0_17counting_iteratorIjlEEPS9_SE_NS0_5tupleIJPjSE_EEENSF_IJSE_SE_EEES9_SG_JZNS1_25segmented_radix_sort_implINS0_14default_configELb0EPKfPfPKlPlN2at6native12_GLOBAL__N_18offset_tEEE10hipError_tPvRmT1_PNSt15iterator_traitsISY_E10value_typeET2_T3_PNSZ_IS14_E10value_typeET4_jRbjT5_S1A_jjP12ihipStream_tbEUljE_EEESV_SW_SX_S14_S18_S1A_T6_T7_T9_mT8_S1C_bDpT10_ENKUlT_T0_E_clISt17integral_constantIbLb0EES1O_IbLb1EEEEDaS1K_S1L_EUlS1K_E_NS1_11comp_targetILNS1_3genE4ELNS1_11target_archE910ELNS1_3gpuE8ELNS1_3repE0EEENS1_30default_config_static_selectorELNS0_4arch9wavefront6targetE0EEEvSY_
		.amdhsa_group_segment_fixed_size 0
		.amdhsa_private_segment_fixed_size 0
		.amdhsa_kernarg_size 152
		.amdhsa_user_sgpr_count 6
		.amdhsa_user_sgpr_private_segment_buffer 1
		.amdhsa_user_sgpr_dispatch_ptr 0
		.amdhsa_user_sgpr_queue_ptr 0
		.amdhsa_user_sgpr_kernarg_segment_ptr 1
		.amdhsa_user_sgpr_dispatch_id 0
		.amdhsa_user_sgpr_flat_scratch_init 0
		.amdhsa_user_sgpr_private_segment_size 0
		.amdhsa_wavefront_size32 1
		.amdhsa_uses_dynamic_stack 0
		.amdhsa_system_sgpr_private_segment_wavefront_offset 0
		.amdhsa_system_sgpr_workgroup_id_x 1
		.amdhsa_system_sgpr_workgroup_id_y 0
		.amdhsa_system_sgpr_workgroup_id_z 0
		.amdhsa_system_sgpr_workgroup_info 0
		.amdhsa_system_vgpr_workitem_id 0
		.amdhsa_next_free_vgpr 1
		.amdhsa_next_free_sgpr 1
		.amdhsa_reserve_vcc 0
		.amdhsa_reserve_flat_scratch 0
		.amdhsa_float_round_mode_32 0
		.amdhsa_float_round_mode_16_64 0
		.amdhsa_float_denorm_mode_32 3
		.amdhsa_float_denorm_mode_16_64 3
		.amdhsa_dx10_clamp 1
		.amdhsa_ieee_mode 1
		.amdhsa_fp16_overflow 0
		.amdhsa_workgroup_processor_mode 1
		.amdhsa_memory_ordered 1
		.amdhsa_forward_progress 1
		.amdhsa_shared_vgpr_count 0
		.amdhsa_exception_fp_ieee_invalid_op 0
		.amdhsa_exception_fp_denorm_src 0
		.amdhsa_exception_fp_ieee_div_zero 0
		.amdhsa_exception_fp_ieee_overflow 0
		.amdhsa_exception_fp_ieee_underflow 0
		.amdhsa_exception_fp_ieee_inexact 0
		.amdhsa_exception_int_div_zero 0
	.end_amdhsa_kernel
	.section	.text._ZN7rocprim17ROCPRIM_400000_NS6detail17trampoline_kernelINS0_13select_configILj256ELj13ELNS0_17block_load_methodE3ELS4_3ELS4_3ELNS0_20block_scan_algorithmE0ELj4294967295EEENS1_25partition_config_selectorILNS1_17partition_subalgoE3EjNS0_10empty_typeEbEEZZNS1_14partition_implILS8_3ELb0ES6_jNS0_17counting_iteratorIjlEEPS9_SE_NS0_5tupleIJPjSE_EEENSF_IJSE_SE_EEES9_SG_JZNS1_25segmented_radix_sort_implINS0_14default_configELb0EPKfPfPKlPlN2at6native12_GLOBAL__N_18offset_tEEE10hipError_tPvRmT1_PNSt15iterator_traitsISY_E10value_typeET2_T3_PNSZ_IS14_E10value_typeET4_jRbjT5_S1A_jjP12ihipStream_tbEUljE_EEESV_SW_SX_S14_S18_S1A_T6_T7_T9_mT8_S1C_bDpT10_ENKUlT_T0_E_clISt17integral_constantIbLb0EES1O_IbLb1EEEEDaS1K_S1L_EUlS1K_E_NS1_11comp_targetILNS1_3genE4ELNS1_11target_archE910ELNS1_3gpuE8ELNS1_3repE0EEENS1_30default_config_static_selectorELNS0_4arch9wavefront6targetE0EEEvSY_,"axG",@progbits,_ZN7rocprim17ROCPRIM_400000_NS6detail17trampoline_kernelINS0_13select_configILj256ELj13ELNS0_17block_load_methodE3ELS4_3ELS4_3ELNS0_20block_scan_algorithmE0ELj4294967295EEENS1_25partition_config_selectorILNS1_17partition_subalgoE3EjNS0_10empty_typeEbEEZZNS1_14partition_implILS8_3ELb0ES6_jNS0_17counting_iteratorIjlEEPS9_SE_NS0_5tupleIJPjSE_EEENSF_IJSE_SE_EEES9_SG_JZNS1_25segmented_radix_sort_implINS0_14default_configELb0EPKfPfPKlPlN2at6native12_GLOBAL__N_18offset_tEEE10hipError_tPvRmT1_PNSt15iterator_traitsISY_E10value_typeET2_T3_PNSZ_IS14_E10value_typeET4_jRbjT5_S1A_jjP12ihipStream_tbEUljE_EEESV_SW_SX_S14_S18_S1A_T6_T7_T9_mT8_S1C_bDpT10_ENKUlT_T0_E_clISt17integral_constantIbLb0EES1O_IbLb1EEEEDaS1K_S1L_EUlS1K_E_NS1_11comp_targetILNS1_3genE4ELNS1_11target_archE910ELNS1_3gpuE8ELNS1_3repE0EEENS1_30default_config_static_selectorELNS0_4arch9wavefront6targetE0EEEvSY_,comdat
.Lfunc_end1414:
	.size	_ZN7rocprim17ROCPRIM_400000_NS6detail17trampoline_kernelINS0_13select_configILj256ELj13ELNS0_17block_load_methodE3ELS4_3ELS4_3ELNS0_20block_scan_algorithmE0ELj4294967295EEENS1_25partition_config_selectorILNS1_17partition_subalgoE3EjNS0_10empty_typeEbEEZZNS1_14partition_implILS8_3ELb0ES6_jNS0_17counting_iteratorIjlEEPS9_SE_NS0_5tupleIJPjSE_EEENSF_IJSE_SE_EEES9_SG_JZNS1_25segmented_radix_sort_implINS0_14default_configELb0EPKfPfPKlPlN2at6native12_GLOBAL__N_18offset_tEEE10hipError_tPvRmT1_PNSt15iterator_traitsISY_E10value_typeET2_T3_PNSZ_IS14_E10value_typeET4_jRbjT5_S1A_jjP12ihipStream_tbEUljE_EEESV_SW_SX_S14_S18_S1A_T6_T7_T9_mT8_S1C_bDpT10_ENKUlT_T0_E_clISt17integral_constantIbLb0EES1O_IbLb1EEEEDaS1K_S1L_EUlS1K_E_NS1_11comp_targetILNS1_3genE4ELNS1_11target_archE910ELNS1_3gpuE8ELNS1_3repE0EEENS1_30default_config_static_selectorELNS0_4arch9wavefront6targetE0EEEvSY_, .Lfunc_end1414-_ZN7rocprim17ROCPRIM_400000_NS6detail17trampoline_kernelINS0_13select_configILj256ELj13ELNS0_17block_load_methodE3ELS4_3ELS4_3ELNS0_20block_scan_algorithmE0ELj4294967295EEENS1_25partition_config_selectorILNS1_17partition_subalgoE3EjNS0_10empty_typeEbEEZZNS1_14partition_implILS8_3ELb0ES6_jNS0_17counting_iteratorIjlEEPS9_SE_NS0_5tupleIJPjSE_EEENSF_IJSE_SE_EEES9_SG_JZNS1_25segmented_radix_sort_implINS0_14default_configELb0EPKfPfPKlPlN2at6native12_GLOBAL__N_18offset_tEEE10hipError_tPvRmT1_PNSt15iterator_traitsISY_E10value_typeET2_T3_PNSZ_IS14_E10value_typeET4_jRbjT5_S1A_jjP12ihipStream_tbEUljE_EEESV_SW_SX_S14_S18_S1A_T6_T7_T9_mT8_S1C_bDpT10_ENKUlT_T0_E_clISt17integral_constantIbLb0EES1O_IbLb1EEEEDaS1K_S1L_EUlS1K_E_NS1_11comp_targetILNS1_3genE4ELNS1_11target_archE910ELNS1_3gpuE8ELNS1_3repE0EEENS1_30default_config_static_selectorELNS0_4arch9wavefront6targetE0EEEvSY_
                                        ; -- End function
	.set _ZN7rocprim17ROCPRIM_400000_NS6detail17trampoline_kernelINS0_13select_configILj256ELj13ELNS0_17block_load_methodE3ELS4_3ELS4_3ELNS0_20block_scan_algorithmE0ELj4294967295EEENS1_25partition_config_selectorILNS1_17partition_subalgoE3EjNS0_10empty_typeEbEEZZNS1_14partition_implILS8_3ELb0ES6_jNS0_17counting_iteratorIjlEEPS9_SE_NS0_5tupleIJPjSE_EEENSF_IJSE_SE_EEES9_SG_JZNS1_25segmented_radix_sort_implINS0_14default_configELb0EPKfPfPKlPlN2at6native12_GLOBAL__N_18offset_tEEE10hipError_tPvRmT1_PNSt15iterator_traitsISY_E10value_typeET2_T3_PNSZ_IS14_E10value_typeET4_jRbjT5_S1A_jjP12ihipStream_tbEUljE_EEESV_SW_SX_S14_S18_S1A_T6_T7_T9_mT8_S1C_bDpT10_ENKUlT_T0_E_clISt17integral_constantIbLb0EES1O_IbLb1EEEEDaS1K_S1L_EUlS1K_E_NS1_11comp_targetILNS1_3genE4ELNS1_11target_archE910ELNS1_3gpuE8ELNS1_3repE0EEENS1_30default_config_static_selectorELNS0_4arch9wavefront6targetE0EEEvSY_.num_vgpr, 0
	.set _ZN7rocprim17ROCPRIM_400000_NS6detail17trampoline_kernelINS0_13select_configILj256ELj13ELNS0_17block_load_methodE3ELS4_3ELS4_3ELNS0_20block_scan_algorithmE0ELj4294967295EEENS1_25partition_config_selectorILNS1_17partition_subalgoE3EjNS0_10empty_typeEbEEZZNS1_14partition_implILS8_3ELb0ES6_jNS0_17counting_iteratorIjlEEPS9_SE_NS0_5tupleIJPjSE_EEENSF_IJSE_SE_EEES9_SG_JZNS1_25segmented_radix_sort_implINS0_14default_configELb0EPKfPfPKlPlN2at6native12_GLOBAL__N_18offset_tEEE10hipError_tPvRmT1_PNSt15iterator_traitsISY_E10value_typeET2_T3_PNSZ_IS14_E10value_typeET4_jRbjT5_S1A_jjP12ihipStream_tbEUljE_EEESV_SW_SX_S14_S18_S1A_T6_T7_T9_mT8_S1C_bDpT10_ENKUlT_T0_E_clISt17integral_constantIbLb0EES1O_IbLb1EEEEDaS1K_S1L_EUlS1K_E_NS1_11comp_targetILNS1_3genE4ELNS1_11target_archE910ELNS1_3gpuE8ELNS1_3repE0EEENS1_30default_config_static_selectorELNS0_4arch9wavefront6targetE0EEEvSY_.num_agpr, 0
	.set _ZN7rocprim17ROCPRIM_400000_NS6detail17trampoline_kernelINS0_13select_configILj256ELj13ELNS0_17block_load_methodE3ELS4_3ELS4_3ELNS0_20block_scan_algorithmE0ELj4294967295EEENS1_25partition_config_selectorILNS1_17partition_subalgoE3EjNS0_10empty_typeEbEEZZNS1_14partition_implILS8_3ELb0ES6_jNS0_17counting_iteratorIjlEEPS9_SE_NS0_5tupleIJPjSE_EEENSF_IJSE_SE_EEES9_SG_JZNS1_25segmented_radix_sort_implINS0_14default_configELb0EPKfPfPKlPlN2at6native12_GLOBAL__N_18offset_tEEE10hipError_tPvRmT1_PNSt15iterator_traitsISY_E10value_typeET2_T3_PNSZ_IS14_E10value_typeET4_jRbjT5_S1A_jjP12ihipStream_tbEUljE_EEESV_SW_SX_S14_S18_S1A_T6_T7_T9_mT8_S1C_bDpT10_ENKUlT_T0_E_clISt17integral_constantIbLb0EES1O_IbLb1EEEEDaS1K_S1L_EUlS1K_E_NS1_11comp_targetILNS1_3genE4ELNS1_11target_archE910ELNS1_3gpuE8ELNS1_3repE0EEENS1_30default_config_static_selectorELNS0_4arch9wavefront6targetE0EEEvSY_.numbered_sgpr, 0
	.set _ZN7rocprim17ROCPRIM_400000_NS6detail17trampoline_kernelINS0_13select_configILj256ELj13ELNS0_17block_load_methodE3ELS4_3ELS4_3ELNS0_20block_scan_algorithmE0ELj4294967295EEENS1_25partition_config_selectorILNS1_17partition_subalgoE3EjNS0_10empty_typeEbEEZZNS1_14partition_implILS8_3ELb0ES6_jNS0_17counting_iteratorIjlEEPS9_SE_NS0_5tupleIJPjSE_EEENSF_IJSE_SE_EEES9_SG_JZNS1_25segmented_radix_sort_implINS0_14default_configELb0EPKfPfPKlPlN2at6native12_GLOBAL__N_18offset_tEEE10hipError_tPvRmT1_PNSt15iterator_traitsISY_E10value_typeET2_T3_PNSZ_IS14_E10value_typeET4_jRbjT5_S1A_jjP12ihipStream_tbEUljE_EEESV_SW_SX_S14_S18_S1A_T6_T7_T9_mT8_S1C_bDpT10_ENKUlT_T0_E_clISt17integral_constantIbLb0EES1O_IbLb1EEEEDaS1K_S1L_EUlS1K_E_NS1_11comp_targetILNS1_3genE4ELNS1_11target_archE910ELNS1_3gpuE8ELNS1_3repE0EEENS1_30default_config_static_selectorELNS0_4arch9wavefront6targetE0EEEvSY_.num_named_barrier, 0
	.set _ZN7rocprim17ROCPRIM_400000_NS6detail17trampoline_kernelINS0_13select_configILj256ELj13ELNS0_17block_load_methodE3ELS4_3ELS4_3ELNS0_20block_scan_algorithmE0ELj4294967295EEENS1_25partition_config_selectorILNS1_17partition_subalgoE3EjNS0_10empty_typeEbEEZZNS1_14partition_implILS8_3ELb0ES6_jNS0_17counting_iteratorIjlEEPS9_SE_NS0_5tupleIJPjSE_EEENSF_IJSE_SE_EEES9_SG_JZNS1_25segmented_radix_sort_implINS0_14default_configELb0EPKfPfPKlPlN2at6native12_GLOBAL__N_18offset_tEEE10hipError_tPvRmT1_PNSt15iterator_traitsISY_E10value_typeET2_T3_PNSZ_IS14_E10value_typeET4_jRbjT5_S1A_jjP12ihipStream_tbEUljE_EEESV_SW_SX_S14_S18_S1A_T6_T7_T9_mT8_S1C_bDpT10_ENKUlT_T0_E_clISt17integral_constantIbLb0EES1O_IbLb1EEEEDaS1K_S1L_EUlS1K_E_NS1_11comp_targetILNS1_3genE4ELNS1_11target_archE910ELNS1_3gpuE8ELNS1_3repE0EEENS1_30default_config_static_selectorELNS0_4arch9wavefront6targetE0EEEvSY_.private_seg_size, 0
	.set _ZN7rocprim17ROCPRIM_400000_NS6detail17trampoline_kernelINS0_13select_configILj256ELj13ELNS0_17block_load_methodE3ELS4_3ELS4_3ELNS0_20block_scan_algorithmE0ELj4294967295EEENS1_25partition_config_selectorILNS1_17partition_subalgoE3EjNS0_10empty_typeEbEEZZNS1_14partition_implILS8_3ELb0ES6_jNS0_17counting_iteratorIjlEEPS9_SE_NS0_5tupleIJPjSE_EEENSF_IJSE_SE_EEES9_SG_JZNS1_25segmented_radix_sort_implINS0_14default_configELb0EPKfPfPKlPlN2at6native12_GLOBAL__N_18offset_tEEE10hipError_tPvRmT1_PNSt15iterator_traitsISY_E10value_typeET2_T3_PNSZ_IS14_E10value_typeET4_jRbjT5_S1A_jjP12ihipStream_tbEUljE_EEESV_SW_SX_S14_S18_S1A_T6_T7_T9_mT8_S1C_bDpT10_ENKUlT_T0_E_clISt17integral_constantIbLb0EES1O_IbLb1EEEEDaS1K_S1L_EUlS1K_E_NS1_11comp_targetILNS1_3genE4ELNS1_11target_archE910ELNS1_3gpuE8ELNS1_3repE0EEENS1_30default_config_static_selectorELNS0_4arch9wavefront6targetE0EEEvSY_.uses_vcc, 0
	.set _ZN7rocprim17ROCPRIM_400000_NS6detail17trampoline_kernelINS0_13select_configILj256ELj13ELNS0_17block_load_methodE3ELS4_3ELS4_3ELNS0_20block_scan_algorithmE0ELj4294967295EEENS1_25partition_config_selectorILNS1_17partition_subalgoE3EjNS0_10empty_typeEbEEZZNS1_14partition_implILS8_3ELb0ES6_jNS0_17counting_iteratorIjlEEPS9_SE_NS0_5tupleIJPjSE_EEENSF_IJSE_SE_EEES9_SG_JZNS1_25segmented_radix_sort_implINS0_14default_configELb0EPKfPfPKlPlN2at6native12_GLOBAL__N_18offset_tEEE10hipError_tPvRmT1_PNSt15iterator_traitsISY_E10value_typeET2_T3_PNSZ_IS14_E10value_typeET4_jRbjT5_S1A_jjP12ihipStream_tbEUljE_EEESV_SW_SX_S14_S18_S1A_T6_T7_T9_mT8_S1C_bDpT10_ENKUlT_T0_E_clISt17integral_constantIbLb0EES1O_IbLb1EEEEDaS1K_S1L_EUlS1K_E_NS1_11comp_targetILNS1_3genE4ELNS1_11target_archE910ELNS1_3gpuE8ELNS1_3repE0EEENS1_30default_config_static_selectorELNS0_4arch9wavefront6targetE0EEEvSY_.uses_flat_scratch, 0
	.set _ZN7rocprim17ROCPRIM_400000_NS6detail17trampoline_kernelINS0_13select_configILj256ELj13ELNS0_17block_load_methodE3ELS4_3ELS4_3ELNS0_20block_scan_algorithmE0ELj4294967295EEENS1_25partition_config_selectorILNS1_17partition_subalgoE3EjNS0_10empty_typeEbEEZZNS1_14partition_implILS8_3ELb0ES6_jNS0_17counting_iteratorIjlEEPS9_SE_NS0_5tupleIJPjSE_EEENSF_IJSE_SE_EEES9_SG_JZNS1_25segmented_radix_sort_implINS0_14default_configELb0EPKfPfPKlPlN2at6native12_GLOBAL__N_18offset_tEEE10hipError_tPvRmT1_PNSt15iterator_traitsISY_E10value_typeET2_T3_PNSZ_IS14_E10value_typeET4_jRbjT5_S1A_jjP12ihipStream_tbEUljE_EEESV_SW_SX_S14_S18_S1A_T6_T7_T9_mT8_S1C_bDpT10_ENKUlT_T0_E_clISt17integral_constantIbLb0EES1O_IbLb1EEEEDaS1K_S1L_EUlS1K_E_NS1_11comp_targetILNS1_3genE4ELNS1_11target_archE910ELNS1_3gpuE8ELNS1_3repE0EEENS1_30default_config_static_selectorELNS0_4arch9wavefront6targetE0EEEvSY_.has_dyn_sized_stack, 0
	.set _ZN7rocprim17ROCPRIM_400000_NS6detail17trampoline_kernelINS0_13select_configILj256ELj13ELNS0_17block_load_methodE3ELS4_3ELS4_3ELNS0_20block_scan_algorithmE0ELj4294967295EEENS1_25partition_config_selectorILNS1_17partition_subalgoE3EjNS0_10empty_typeEbEEZZNS1_14partition_implILS8_3ELb0ES6_jNS0_17counting_iteratorIjlEEPS9_SE_NS0_5tupleIJPjSE_EEENSF_IJSE_SE_EEES9_SG_JZNS1_25segmented_radix_sort_implINS0_14default_configELb0EPKfPfPKlPlN2at6native12_GLOBAL__N_18offset_tEEE10hipError_tPvRmT1_PNSt15iterator_traitsISY_E10value_typeET2_T3_PNSZ_IS14_E10value_typeET4_jRbjT5_S1A_jjP12ihipStream_tbEUljE_EEESV_SW_SX_S14_S18_S1A_T6_T7_T9_mT8_S1C_bDpT10_ENKUlT_T0_E_clISt17integral_constantIbLb0EES1O_IbLb1EEEEDaS1K_S1L_EUlS1K_E_NS1_11comp_targetILNS1_3genE4ELNS1_11target_archE910ELNS1_3gpuE8ELNS1_3repE0EEENS1_30default_config_static_selectorELNS0_4arch9wavefront6targetE0EEEvSY_.has_recursion, 0
	.set _ZN7rocprim17ROCPRIM_400000_NS6detail17trampoline_kernelINS0_13select_configILj256ELj13ELNS0_17block_load_methodE3ELS4_3ELS4_3ELNS0_20block_scan_algorithmE0ELj4294967295EEENS1_25partition_config_selectorILNS1_17partition_subalgoE3EjNS0_10empty_typeEbEEZZNS1_14partition_implILS8_3ELb0ES6_jNS0_17counting_iteratorIjlEEPS9_SE_NS0_5tupleIJPjSE_EEENSF_IJSE_SE_EEES9_SG_JZNS1_25segmented_radix_sort_implINS0_14default_configELb0EPKfPfPKlPlN2at6native12_GLOBAL__N_18offset_tEEE10hipError_tPvRmT1_PNSt15iterator_traitsISY_E10value_typeET2_T3_PNSZ_IS14_E10value_typeET4_jRbjT5_S1A_jjP12ihipStream_tbEUljE_EEESV_SW_SX_S14_S18_S1A_T6_T7_T9_mT8_S1C_bDpT10_ENKUlT_T0_E_clISt17integral_constantIbLb0EES1O_IbLb1EEEEDaS1K_S1L_EUlS1K_E_NS1_11comp_targetILNS1_3genE4ELNS1_11target_archE910ELNS1_3gpuE8ELNS1_3repE0EEENS1_30default_config_static_selectorELNS0_4arch9wavefront6targetE0EEEvSY_.has_indirect_call, 0
	.section	.AMDGPU.csdata,"",@progbits
; Kernel info:
; codeLenInByte = 0
; TotalNumSgprs: 0
; NumVgprs: 0
; ScratchSize: 0
; MemoryBound: 0
; FloatMode: 240
; IeeeMode: 1
; LDSByteSize: 0 bytes/workgroup (compile time only)
; SGPRBlocks: 0
; VGPRBlocks: 0
; NumSGPRsForWavesPerEU: 1
; NumVGPRsForWavesPerEU: 1
; Occupancy: 16
; WaveLimiterHint : 0
; COMPUTE_PGM_RSRC2:SCRATCH_EN: 0
; COMPUTE_PGM_RSRC2:USER_SGPR: 6
; COMPUTE_PGM_RSRC2:TRAP_HANDLER: 0
; COMPUTE_PGM_RSRC2:TGID_X_EN: 1
; COMPUTE_PGM_RSRC2:TGID_Y_EN: 0
; COMPUTE_PGM_RSRC2:TGID_Z_EN: 0
; COMPUTE_PGM_RSRC2:TIDIG_COMP_CNT: 0
	.section	.text._ZN7rocprim17ROCPRIM_400000_NS6detail17trampoline_kernelINS0_13select_configILj256ELj13ELNS0_17block_load_methodE3ELS4_3ELS4_3ELNS0_20block_scan_algorithmE0ELj4294967295EEENS1_25partition_config_selectorILNS1_17partition_subalgoE3EjNS0_10empty_typeEbEEZZNS1_14partition_implILS8_3ELb0ES6_jNS0_17counting_iteratorIjlEEPS9_SE_NS0_5tupleIJPjSE_EEENSF_IJSE_SE_EEES9_SG_JZNS1_25segmented_radix_sort_implINS0_14default_configELb0EPKfPfPKlPlN2at6native12_GLOBAL__N_18offset_tEEE10hipError_tPvRmT1_PNSt15iterator_traitsISY_E10value_typeET2_T3_PNSZ_IS14_E10value_typeET4_jRbjT5_S1A_jjP12ihipStream_tbEUljE_EEESV_SW_SX_S14_S18_S1A_T6_T7_T9_mT8_S1C_bDpT10_ENKUlT_T0_E_clISt17integral_constantIbLb0EES1O_IbLb1EEEEDaS1K_S1L_EUlS1K_E_NS1_11comp_targetILNS1_3genE3ELNS1_11target_archE908ELNS1_3gpuE7ELNS1_3repE0EEENS1_30default_config_static_selectorELNS0_4arch9wavefront6targetE0EEEvSY_,"axG",@progbits,_ZN7rocprim17ROCPRIM_400000_NS6detail17trampoline_kernelINS0_13select_configILj256ELj13ELNS0_17block_load_methodE3ELS4_3ELS4_3ELNS0_20block_scan_algorithmE0ELj4294967295EEENS1_25partition_config_selectorILNS1_17partition_subalgoE3EjNS0_10empty_typeEbEEZZNS1_14partition_implILS8_3ELb0ES6_jNS0_17counting_iteratorIjlEEPS9_SE_NS0_5tupleIJPjSE_EEENSF_IJSE_SE_EEES9_SG_JZNS1_25segmented_radix_sort_implINS0_14default_configELb0EPKfPfPKlPlN2at6native12_GLOBAL__N_18offset_tEEE10hipError_tPvRmT1_PNSt15iterator_traitsISY_E10value_typeET2_T3_PNSZ_IS14_E10value_typeET4_jRbjT5_S1A_jjP12ihipStream_tbEUljE_EEESV_SW_SX_S14_S18_S1A_T6_T7_T9_mT8_S1C_bDpT10_ENKUlT_T0_E_clISt17integral_constantIbLb0EES1O_IbLb1EEEEDaS1K_S1L_EUlS1K_E_NS1_11comp_targetILNS1_3genE3ELNS1_11target_archE908ELNS1_3gpuE7ELNS1_3repE0EEENS1_30default_config_static_selectorELNS0_4arch9wavefront6targetE0EEEvSY_,comdat
	.globl	_ZN7rocprim17ROCPRIM_400000_NS6detail17trampoline_kernelINS0_13select_configILj256ELj13ELNS0_17block_load_methodE3ELS4_3ELS4_3ELNS0_20block_scan_algorithmE0ELj4294967295EEENS1_25partition_config_selectorILNS1_17partition_subalgoE3EjNS0_10empty_typeEbEEZZNS1_14partition_implILS8_3ELb0ES6_jNS0_17counting_iteratorIjlEEPS9_SE_NS0_5tupleIJPjSE_EEENSF_IJSE_SE_EEES9_SG_JZNS1_25segmented_radix_sort_implINS0_14default_configELb0EPKfPfPKlPlN2at6native12_GLOBAL__N_18offset_tEEE10hipError_tPvRmT1_PNSt15iterator_traitsISY_E10value_typeET2_T3_PNSZ_IS14_E10value_typeET4_jRbjT5_S1A_jjP12ihipStream_tbEUljE_EEESV_SW_SX_S14_S18_S1A_T6_T7_T9_mT8_S1C_bDpT10_ENKUlT_T0_E_clISt17integral_constantIbLb0EES1O_IbLb1EEEEDaS1K_S1L_EUlS1K_E_NS1_11comp_targetILNS1_3genE3ELNS1_11target_archE908ELNS1_3gpuE7ELNS1_3repE0EEENS1_30default_config_static_selectorELNS0_4arch9wavefront6targetE0EEEvSY_ ; -- Begin function _ZN7rocprim17ROCPRIM_400000_NS6detail17trampoline_kernelINS0_13select_configILj256ELj13ELNS0_17block_load_methodE3ELS4_3ELS4_3ELNS0_20block_scan_algorithmE0ELj4294967295EEENS1_25partition_config_selectorILNS1_17partition_subalgoE3EjNS0_10empty_typeEbEEZZNS1_14partition_implILS8_3ELb0ES6_jNS0_17counting_iteratorIjlEEPS9_SE_NS0_5tupleIJPjSE_EEENSF_IJSE_SE_EEES9_SG_JZNS1_25segmented_radix_sort_implINS0_14default_configELb0EPKfPfPKlPlN2at6native12_GLOBAL__N_18offset_tEEE10hipError_tPvRmT1_PNSt15iterator_traitsISY_E10value_typeET2_T3_PNSZ_IS14_E10value_typeET4_jRbjT5_S1A_jjP12ihipStream_tbEUljE_EEESV_SW_SX_S14_S18_S1A_T6_T7_T9_mT8_S1C_bDpT10_ENKUlT_T0_E_clISt17integral_constantIbLb0EES1O_IbLb1EEEEDaS1K_S1L_EUlS1K_E_NS1_11comp_targetILNS1_3genE3ELNS1_11target_archE908ELNS1_3gpuE7ELNS1_3repE0EEENS1_30default_config_static_selectorELNS0_4arch9wavefront6targetE0EEEvSY_
	.p2align	8
	.type	_ZN7rocprim17ROCPRIM_400000_NS6detail17trampoline_kernelINS0_13select_configILj256ELj13ELNS0_17block_load_methodE3ELS4_3ELS4_3ELNS0_20block_scan_algorithmE0ELj4294967295EEENS1_25partition_config_selectorILNS1_17partition_subalgoE3EjNS0_10empty_typeEbEEZZNS1_14partition_implILS8_3ELb0ES6_jNS0_17counting_iteratorIjlEEPS9_SE_NS0_5tupleIJPjSE_EEENSF_IJSE_SE_EEES9_SG_JZNS1_25segmented_radix_sort_implINS0_14default_configELb0EPKfPfPKlPlN2at6native12_GLOBAL__N_18offset_tEEE10hipError_tPvRmT1_PNSt15iterator_traitsISY_E10value_typeET2_T3_PNSZ_IS14_E10value_typeET4_jRbjT5_S1A_jjP12ihipStream_tbEUljE_EEESV_SW_SX_S14_S18_S1A_T6_T7_T9_mT8_S1C_bDpT10_ENKUlT_T0_E_clISt17integral_constantIbLb0EES1O_IbLb1EEEEDaS1K_S1L_EUlS1K_E_NS1_11comp_targetILNS1_3genE3ELNS1_11target_archE908ELNS1_3gpuE7ELNS1_3repE0EEENS1_30default_config_static_selectorELNS0_4arch9wavefront6targetE0EEEvSY_,@function
_ZN7rocprim17ROCPRIM_400000_NS6detail17trampoline_kernelINS0_13select_configILj256ELj13ELNS0_17block_load_methodE3ELS4_3ELS4_3ELNS0_20block_scan_algorithmE0ELj4294967295EEENS1_25partition_config_selectorILNS1_17partition_subalgoE3EjNS0_10empty_typeEbEEZZNS1_14partition_implILS8_3ELb0ES6_jNS0_17counting_iteratorIjlEEPS9_SE_NS0_5tupleIJPjSE_EEENSF_IJSE_SE_EEES9_SG_JZNS1_25segmented_radix_sort_implINS0_14default_configELb0EPKfPfPKlPlN2at6native12_GLOBAL__N_18offset_tEEE10hipError_tPvRmT1_PNSt15iterator_traitsISY_E10value_typeET2_T3_PNSZ_IS14_E10value_typeET4_jRbjT5_S1A_jjP12ihipStream_tbEUljE_EEESV_SW_SX_S14_S18_S1A_T6_T7_T9_mT8_S1C_bDpT10_ENKUlT_T0_E_clISt17integral_constantIbLb0EES1O_IbLb1EEEEDaS1K_S1L_EUlS1K_E_NS1_11comp_targetILNS1_3genE3ELNS1_11target_archE908ELNS1_3gpuE7ELNS1_3repE0EEENS1_30default_config_static_selectorELNS0_4arch9wavefront6targetE0EEEvSY_: ; @_ZN7rocprim17ROCPRIM_400000_NS6detail17trampoline_kernelINS0_13select_configILj256ELj13ELNS0_17block_load_methodE3ELS4_3ELS4_3ELNS0_20block_scan_algorithmE0ELj4294967295EEENS1_25partition_config_selectorILNS1_17partition_subalgoE3EjNS0_10empty_typeEbEEZZNS1_14partition_implILS8_3ELb0ES6_jNS0_17counting_iteratorIjlEEPS9_SE_NS0_5tupleIJPjSE_EEENSF_IJSE_SE_EEES9_SG_JZNS1_25segmented_radix_sort_implINS0_14default_configELb0EPKfPfPKlPlN2at6native12_GLOBAL__N_18offset_tEEE10hipError_tPvRmT1_PNSt15iterator_traitsISY_E10value_typeET2_T3_PNSZ_IS14_E10value_typeET4_jRbjT5_S1A_jjP12ihipStream_tbEUljE_EEESV_SW_SX_S14_S18_S1A_T6_T7_T9_mT8_S1C_bDpT10_ENKUlT_T0_E_clISt17integral_constantIbLb0EES1O_IbLb1EEEEDaS1K_S1L_EUlS1K_E_NS1_11comp_targetILNS1_3genE3ELNS1_11target_archE908ELNS1_3gpuE7ELNS1_3repE0EEENS1_30default_config_static_selectorELNS0_4arch9wavefront6targetE0EEEvSY_
; %bb.0:
	.section	.rodata,"a",@progbits
	.p2align	6, 0x0
	.amdhsa_kernel _ZN7rocprim17ROCPRIM_400000_NS6detail17trampoline_kernelINS0_13select_configILj256ELj13ELNS0_17block_load_methodE3ELS4_3ELS4_3ELNS0_20block_scan_algorithmE0ELj4294967295EEENS1_25partition_config_selectorILNS1_17partition_subalgoE3EjNS0_10empty_typeEbEEZZNS1_14partition_implILS8_3ELb0ES6_jNS0_17counting_iteratorIjlEEPS9_SE_NS0_5tupleIJPjSE_EEENSF_IJSE_SE_EEES9_SG_JZNS1_25segmented_radix_sort_implINS0_14default_configELb0EPKfPfPKlPlN2at6native12_GLOBAL__N_18offset_tEEE10hipError_tPvRmT1_PNSt15iterator_traitsISY_E10value_typeET2_T3_PNSZ_IS14_E10value_typeET4_jRbjT5_S1A_jjP12ihipStream_tbEUljE_EEESV_SW_SX_S14_S18_S1A_T6_T7_T9_mT8_S1C_bDpT10_ENKUlT_T0_E_clISt17integral_constantIbLb0EES1O_IbLb1EEEEDaS1K_S1L_EUlS1K_E_NS1_11comp_targetILNS1_3genE3ELNS1_11target_archE908ELNS1_3gpuE7ELNS1_3repE0EEENS1_30default_config_static_selectorELNS0_4arch9wavefront6targetE0EEEvSY_
		.amdhsa_group_segment_fixed_size 0
		.amdhsa_private_segment_fixed_size 0
		.amdhsa_kernarg_size 152
		.amdhsa_user_sgpr_count 6
		.amdhsa_user_sgpr_private_segment_buffer 1
		.amdhsa_user_sgpr_dispatch_ptr 0
		.amdhsa_user_sgpr_queue_ptr 0
		.amdhsa_user_sgpr_kernarg_segment_ptr 1
		.amdhsa_user_sgpr_dispatch_id 0
		.amdhsa_user_sgpr_flat_scratch_init 0
		.amdhsa_user_sgpr_private_segment_size 0
		.amdhsa_wavefront_size32 1
		.amdhsa_uses_dynamic_stack 0
		.amdhsa_system_sgpr_private_segment_wavefront_offset 0
		.amdhsa_system_sgpr_workgroup_id_x 1
		.amdhsa_system_sgpr_workgroup_id_y 0
		.amdhsa_system_sgpr_workgroup_id_z 0
		.amdhsa_system_sgpr_workgroup_info 0
		.amdhsa_system_vgpr_workitem_id 0
		.amdhsa_next_free_vgpr 1
		.amdhsa_next_free_sgpr 1
		.amdhsa_reserve_vcc 0
		.amdhsa_reserve_flat_scratch 0
		.amdhsa_float_round_mode_32 0
		.amdhsa_float_round_mode_16_64 0
		.amdhsa_float_denorm_mode_32 3
		.amdhsa_float_denorm_mode_16_64 3
		.amdhsa_dx10_clamp 1
		.amdhsa_ieee_mode 1
		.amdhsa_fp16_overflow 0
		.amdhsa_workgroup_processor_mode 1
		.amdhsa_memory_ordered 1
		.amdhsa_forward_progress 1
		.amdhsa_shared_vgpr_count 0
		.amdhsa_exception_fp_ieee_invalid_op 0
		.amdhsa_exception_fp_denorm_src 0
		.amdhsa_exception_fp_ieee_div_zero 0
		.amdhsa_exception_fp_ieee_overflow 0
		.amdhsa_exception_fp_ieee_underflow 0
		.amdhsa_exception_fp_ieee_inexact 0
		.amdhsa_exception_int_div_zero 0
	.end_amdhsa_kernel
	.section	.text._ZN7rocprim17ROCPRIM_400000_NS6detail17trampoline_kernelINS0_13select_configILj256ELj13ELNS0_17block_load_methodE3ELS4_3ELS4_3ELNS0_20block_scan_algorithmE0ELj4294967295EEENS1_25partition_config_selectorILNS1_17partition_subalgoE3EjNS0_10empty_typeEbEEZZNS1_14partition_implILS8_3ELb0ES6_jNS0_17counting_iteratorIjlEEPS9_SE_NS0_5tupleIJPjSE_EEENSF_IJSE_SE_EEES9_SG_JZNS1_25segmented_radix_sort_implINS0_14default_configELb0EPKfPfPKlPlN2at6native12_GLOBAL__N_18offset_tEEE10hipError_tPvRmT1_PNSt15iterator_traitsISY_E10value_typeET2_T3_PNSZ_IS14_E10value_typeET4_jRbjT5_S1A_jjP12ihipStream_tbEUljE_EEESV_SW_SX_S14_S18_S1A_T6_T7_T9_mT8_S1C_bDpT10_ENKUlT_T0_E_clISt17integral_constantIbLb0EES1O_IbLb1EEEEDaS1K_S1L_EUlS1K_E_NS1_11comp_targetILNS1_3genE3ELNS1_11target_archE908ELNS1_3gpuE7ELNS1_3repE0EEENS1_30default_config_static_selectorELNS0_4arch9wavefront6targetE0EEEvSY_,"axG",@progbits,_ZN7rocprim17ROCPRIM_400000_NS6detail17trampoline_kernelINS0_13select_configILj256ELj13ELNS0_17block_load_methodE3ELS4_3ELS4_3ELNS0_20block_scan_algorithmE0ELj4294967295EEENS1_25partition_config_selectorILNS1_17partition_subalgoE3EjNS0_10empty_typeEbEEZZNS1_14partition_implILS8_3ELb0ES6_jNS0_17counting_iteratorIjlEEPS9_SE_NS0_5tupleIJPjSE_EEENSF_IJSE_SE_EEES9_SG_JZNS1_25segmented_radix_sort_implINS0_14default_configELb0EPKfPfPKlPlN2at6native12_GLOBAL__N_18offset_tEEE10hipError_tPvRmT1_PNSt15iterator_traitsISY_E10value_typeET2_T3_PNSZ_IS14_E10value_typeET4_jRbjT5_S1A_jjP12ihipStream_tbEUljE_EEESV_SW_SX_S14_S18_S1A_T6_T7_T9_mT8_S1C_bDpT10_ENKUlT_T0_E_clISt17integral_constantIbLb0EES1O_IbLb1EEEEDaS1K_S1L_EUlS1K_E_NS1_11comp_targetILNS1_3genE3ELNS1_11target_archE908ELNS1_3gpuE7ELNS1_3repE0EEENS1_30default_config_static_selectorELNS0_4arch9wavefront6targetE0EEEvSY_,comdat
.Lfunc_end1415:
	.size	_ZN7rocprim17ROCPRIM_400000_NS6detail17trampoline_kernelINS0_13select_configILj256ELj13ELNS0_17block_load_methodE3ELS4_3ELS4_3ELNS0_20block_scan_algorithmE0ELj4294967295EEENS1_25partition_config_selectorILNS1_17partition_subalgoE3EjNS0_10empty_typeEbEEZZNS1_14partition_implILS8_3ELb0ES6_jNS0_17counting_iteratorIjlEEPS9_SE_NS0_5tupleIJPjSE_EEENSF_IJSE_SE_EEES9_SG_JZNS1_25segmented_radix_sort_implINS0_14default_configELb0EPKfPfPKlPlN2at6native12_GLOBAL__N_18offset_tEEE10hipError_tPvRmT1_PNSt15iterator_traitsISY_E10value_typeET2_T3_PNSZ_IS14_E10value_typeET4_jRbjT5_S1A_jjP12ihipStream_tbEUljE_EEESV_SW_SX_S14_S18_S1A_T6_T7_T9_mT8_S1C_bDpT10_ENKUlT_T0_E_clISt17integral_constantIbLb0EES1O_IbLb1EEEEDaS1K_S1L_EUlS1K_E_NS1_11comp_targetILNS1_3genE3ELNS1_11target_archE908ELNS1_3gpuE7ELNS1_3repE0EEENS1_30default_config_static_selectorELNS0_4arch9wavefront6targetE0EEEvSY_, .Lfunc_end1415-_ZN7rocprim17ROCPRIM_400000_NS6detail17trampoline_kernelINS0_13select_configILj256ELj13ELNS0_17block_load_methodE3ELS4_3ELS4_3ELNS0_20block_scan_algorithmE0ELj4294967295EEENS1_25partition_config_selectorILNS1_17partition_subalgoE3EjNS0_10empty_typeEbEEZZNS1_14partition_implILS8_3ELb0ES6_jNS0_17counting_iteratorIjlEEPS9_SE_NS0_5tupleIJPjSE_EEENSF_IJSE_SE_EEES9_SG_JZNS1_25segmented_radix_sort_implINS0_14default_configELb0EPKfPfPKlPlN2at6native12_GLOBAL__N_18offset_tEEE10hipError_tPvRmT1_PNSt15iterator_traitsISY_E10value_typeET2_T3_PNSZ_IS14_E10value_typeET4_jRbjT5_S1A_jjP12ihipStream_tbEUljE_EEESV_SW_SX_S14_S18_S1A_T6_T7_T9_mT8_S1C_bDpT10_ENKUlT_T0_E_clISt17integral_constantIbLb0EES1O_IbLb1EEEEDaS1K_S1L_EUlS1K_E_NS1_11comp_targetILNS1_3genE3ELNS1_11target_archE908ELNS1_3gpuE7ELNS1_3repE0EEENS1_30default_config_static_selectorELNS0_4arch9wavefront6targetE0EEEvSY_
                                        ; -- End function
	.set _ZN7rocprim17ROCPRIM_400000_NS6detail17trampoline_kernelINS0_13select_configILj256ELj13ELNS0_17block_load_methodE3ELS4_3ELS4_3ELNS0_20block_scan_algorithmE0ELj4294967295EEENS1_25partition_config_selectorILNS1_17partition_subalgoE3EjNS0_10empty_typeEbEEZZNS1_14partition_implILS8_3ELb0ES6_jNS0_17counting_iteratorIjlEEPS9_SE_NS0_5tupleIJPjSE_EEENSF_IJSE_SE_EEES9_SG_JZNS1_25segmented_radix_sort_implINS0_14default_configELb0EPKfPfPKlPlN2at6native12_GLOBAL__N_18offset_tEEE10hipError_tPvRmT1_PNSt15iterator_traitsISY_E10value_typeET2_T3_PNSZ_IS14_E10value_typeET4_jRbjT5_S1A_jjP12ihipStream_tbEUljE_EEESV_SW_SX_S14_S18_S1A_T6_T7_T9_mT8_S1C_bDpT10_ENKUlT_T0_E_clISt17integral_constantIbLb0EES1O_IbLb1EEEEDaS1K_S1L_EUlS1K_E_NS1_11comp_targetILNS1_3genE3ELNS1_11target_archE908ELNS1_3gpuE7ELNS1_3repE0EEENS1_30default_config_static_selectorELNS0_4arch9wavefront6targetE0EEEvSY_.num_vgpr, 0
	.set _ZN7rocprim17ROCPRIM_400000_NS6detail17trampoline_kernelINS0_13select_configILj256ELj13ELNS0_17block_load_methodE3ELS4_3ELS4_3ELNS0_20block_scan_algorithmE0ELj4294967295EEENS1_25partition_config_selectorILNS1_17partition_subalgoE3EjNS0_10empty_typeEbEEZZNS1_14partition_implILS8_3ELb0ES6_jNS0_17counting_iteratorIjlEEPS9_SE_NS0_5tupleIJPjSE_EEENSF_IJSE_SE_EEES9_SG_JZNS1_25segmented_radix_sort_implINS0_14default_configELb0EPKfPfPKlPlN2at6native12_GLOBAL__N_18offset_tEEE10hipError_tPvRmT1_PNSt15iterator_traitsISY_E10value_typeET2_T3_PNSZ_IS14_E10value_typeET4_jRbjT5_S1A_jjP12ihipStream_tbEUljE_EEESV_SW_SX_S14_S18_S1A_T6_T7_T9_mT8_S1C_bDpT10_ENKUlT_T0_E_clISt17integral_constantIbLb0EES1O_IbLb1EEEEDaS1K_S1L_EUlS1K_E_NS1_11comp_targetILNS1_3genE3ELNS1_11target_archE908ELNS1_3gpuE7ELNS1_3repE0EEENS1_30default_config_static_selectorELNS0_4arch9wavefront6targetE0EEEvSY_.num_agpr, 0
	.set _ZN7rocprim17ROCPRIM_400000_NS6detail17trampoline_kernelINS0_13select_configILj256ELj13ELNS0_17block_load_methodE3ELS4_3ELS4_3ELNS0_20block_scan_algorithmE0ELj4294967295EEENS1_25partition_config_selectorILNS1_17partition_subalgoE3EjNS0_10empty_typeEbEEZZNS1_14partition_implILS8_3ELb0ES6_jNS0_17counting_iteratorIjlEEPS9_SE_NS0_5tupleIJPjSE_EEENSF_IJSE_SE_EEES9_SG_JZNS1_25segmented_radix_sort_implINS0_14default_configELb0EPKfPfPKlPlN2at6native12_GLOBAL__N_18offset_tEEE10hipError_tPvRmT1_PNSt15iterator_traitsISY_E10value_typeET2_T3_PNSZ_IS14_E10value_typeET4_jRbjT5_S1A_jjP12ihipStream_tbEUljE_EEESV_SW_SX_S14_S18_S1A_T6_T7_T9_mT8_S1C_bDpT10_ENKUlT_T0_E_clISt17integral_constantIbLb0EES1O_IbLb1EEEEDaS1K_S1L_EUlS1K_E_NS1_11comp_targetILNS1_3genE3ELNS1_11target_archE908ELNS1_3gpuE7ELNS1_3repE0EEENS1_30default_config_static_selectorELNS0_4arch9wavefront6targetE0EEEvSY_.numbered_sgpr, 0
	.set _ZN7rocprim17ROCPRIM_400000_NS6detail17trampoline_kernelINS0_13select_configILj256ELj13ELNS0_17block_load_methodE3ELS4_3ELS4_3ELNS0_20block_scan_algorithmE0ELj4294967295EEENS1_25partition_config_selectorILNS1_17partition_subalgoE3EjNS0_10empty_typeEbEEZZNS1_14partition_implILS8_3ELb0ES6_jNS0_17counting_iteratorIjlEEPS9_SE_NS0_5tupleIJPjSE_EEENSF_IJSE_SE_EEES9_SG_JZNS1_25segmented_radix_sort_implINS0_14default_configELb0EPKfPfPKlPlN2at6native12_GLOBAL__N_18offset_tEEE10hipError_tPvRmT1_PNSt15iterator_traitsISY_E10value_typeET2_T3_PNSZ_IS14_E10value_typeET4_jRbjT5_S1A_jjP12ihipStream_tbEUljE_EEESV_SW_SX_S14_S18_S1A_T6_T7_T9_mT8_S1C_bDpT10_ENKUlT_T0_E_clISt17integral_constantIbLb0EES1O_IbLb1EEEEDaS1K_S1L_EUlS1K_E_NS1_11comp_targetILNS1_3genE3ELNS1_11target_archE908ELNS1_3gpuE7ELNS1_3repE0EEENS1_30default_config_static_selectorELNS0_4arch9wavefront6targetE0EEEvSY_.num_named_barrier, 0
	.set _ZN7rocprim17ROCPRIM_400000_NS6detail17trampoline_kernelINS0_13select_configILj256ELj13ELNS0_17block_load_methodE3ELS4_3ELS4_3ELNS0_20block_scan_algorithmE0ELj4294967295EEENS1_25partition_config_selectorILNS1_17partition_subalgoE3EjNS0_10empty_typeEbEEZZNS1_14partition_implILS8_3ELb0ES6_jNS0_17counting_iteratorIjlEEPS9_SE_NS0_5tupleIJPjSE_EEENSF_IJSE_SE_EEES9_SG_JZNS1_25segmented_radix_sort_implINS0_14default_configELb0EPKfPfPKlPlN2at6native12_GLOBAL__N_18offset_tEEE10hipError_tPvRmT1_PNSt15iterator_traitsISY_E10value_typeET2_T3_PNSZ_IS14_E10value_typeET4_jRbjT5_S1A_jjP12ihipStream_tbEUljE_EEESV_SW_SX_S14_S18_S1A_T6_T7_T9_mT8_S1C_bDpT10_ENKUlT_T0_E_clISt17integral_constantIbLb0EES1O_IbLb1EEEEDaS1K_S1L_EUlS1K_E_NS1_11comp_targetILNS1_3genE3ELNS1_11target_archE908ELNS1_3gpuE7ELNS1_3repE0EEENS1_30default_config_static_selectorELNS0_4arch9wavefront6targetE0EEEvSY_.private_seg_size, 0
	.set _ZN7rocprim17ROCPRIM_400000_NS6detail17trampoline_kernelINS0_13select_configILj256ELj13ELNS0_17block_load_methodE3ELS4_3ELS4_3ELNS0_20block_scan_algorithmE0ELj4294967295EEENS1_25partition_config_selectorILNS1_17partition_subalgoE3EjNS0_10empty_typeEbEEZZNS1_14partition_implILS8_3ELb0ES6_jNS0_17counting_iteratorIjlEEPS9_SE_NS0_5tupleIJPjSE_EEENSF_IJSE_SE_EEES9_SG_JZNS1_25segmented_radix_sort_implINS0_14default_configELb0EPKfPfPKlPlN2at6native12_GLOBAL__N_18offset_tEEE10hipError_tPvRmT1_PNSt15iterator_traitsISY_E10value_typeET2_T3_PNSZ_IS14_E10value_typeET4_jRbjT5_S1A_jjP12ihipStream_tbEUljE_EEESV_SW_SX_S14_S18_S1A_T6_T7_T9_mT8_S1C_bDpT10_ENKUlT_T0_E_clISt17integral_constantIbLb0EES1O_IbLb1EEEEDaS1K_S1L_EUlS1K_E_NS1_11comp_targetILNS1_3genE3ELNS1_11target_archE908ELNS1_3gpuE7ELNS1_3repE0EEENS1_30default_config_static_selectorELNS0_4arch9wavefront6targetE0EEEvSY_.uses_vcc, 0
	.set _ZN7rocprim17ROCPRIM_400000_NS6detail17trampoline_kernelINS0_13select_configILj256ELj13ELNS0_17block_load_methodE3ELS4_3ELS4_3ELNS0_20block_scan_algorithmE0ELj4294967295EEENS1_25partition_config_selectorILNS1_17partition_subalgoE3EjNS0_10empty_typeEbEEZZNS1_14partition_implILS8_3ELb0ES6_jNS0_17counting_iteratorIjlEEPS9_SE_NS0_5tupleIJPjSE_EEENSF_IJSE_SE_EEES9_SG_JZNS1_25segmented_radix_sort_implINS0_14default_configELb0EPKfPfPKlPlN2at6native12_GLOBAL__N_18offset_tEEE10hipError_tPvRmT1_PNSt15iterator_traitsISY_E10value_typeET2_T3_PNSZ_IS14_E10value_typeET4_jRbjT5_S1A_jjP12ihipStream_tbEUljE_EEESV_SW_SX_S14_S18_S1A_T6_T7_T9_mT8_S1C_bDpT10_ENKUlT_T0_E_clISt17integral_constantIbLb0EES1O_IbLb1EEEEDaS1K_S1L_EUlS1K_E_NS1_11comp_targetILNS1_3genE3ELNS1_11target_archE908ELNS1_3gpuE7ELNS1_3repE0EEENS1_30default_config_static_selectorELNS0_4arch9wavefront6targetE0EEEvSY_.uses_flat_scratch, 0
	.set _ZN7rocprim17ROCPRIM_400000_NS6detail17trampoline_kernelINS0_13select_configILj256ELj13ELNS0_17block_load_methodE3ELS4_3ELS4_3ELNS0_20block_scan_algorithmE0ELj4294967295EEENS1_25partition_config_selectorILNS1_17partition_subalgoE3EjNS0_10empty_typeEbEEZZNS1_14partition_implILS8_3ELb0ES6_jNS0_17counting_iteratorIjlEEPS9_SE_NS0_5tupleIJPjSE_EEENSF_IJSE_SE_EEES9_SG_JZNS1_25segmented_radix_sort_implINS0_14default_configELb0EPKfPfPKlPlN2at6native12_GLOBAL__N_18offset_tEEE10hipError_tPvRmT1_PNSt15iterator_traitsISY_E10value_typeET2_T3_PNSZ_IS14_E10value_typeET4_jRbjT5_S1A_jjP12ihipStream_tbEUljE_EEESV_SW_SX_S14_S18_S1A_T6_T7_T9_mT8_S1C_bDpT10_ENKUlT_T0_E_clISt17integral_constantIbLb0EES1O_IbLb1EEEEDaS1K_S1L_EUlS1K_E_NS1_11comp_targetILNS1_3genE3ELNS1_11target_archE908ELNS1_3gpuE7ELNS1_3repE0EEENS1_30default_config_static_selectorELNS0_4arch9wavefront6targetE0EEEvSY_.has_dyn_sized_stack, 0
	.set _ZN7rocprim17ROCPRIM_400000_NS6detail17trampoline_kernelINS0_13select_configILj256ELj13ELNS0_17block_load_methodE3ELS4_3ELS4_3ELNS0_20block_scan_algorithmE0ELj4294967295EEENS1_25partition_config_selectorILNS1_17partition_subalgoE3EjNS0_10empty_typeEbEEZZNS1_14partition_implILS8_3ELb0ES6_jNS0_17counting_iteratorIjlEEPS9_SE_NS0_5tupleIJPjSE_EEENSF_IJSE_SE_EEES9_SG_JZNS1_25segmented_radix_sort_implINS0_14default_configELb0EPKfPfPKlPlN2at6native12_GLOBAL__N_18offset_tEEE10hipError_tPvRmT1_PNSt15iterator_traitsISY_E10value_typeET2_T3_PNSZ_IS14_E10value_typeET4_jRbjT5_S1A_jjP12ihipStream_tbEUljE_EEESV_SW_SX_S14_S18_S1A_T6_T7_T9_mT8_S1C_bDpT10_ENKUlT_T0_E_clISt17integral_constantIbLb0EES1O_IbLb1EEEEDaS1K_S1L_EUlS1K_E_NS1_11comp_targetILNS1_3genE3ELNS1_11target_archE908ELNS1_3gpuE7ELNS1_3repE0EEENS1_30default_config_static_selectorELNS0_4arch9wavefront6targetE0EEEvSY_.has_recursion, 0
	.set _ZN7rocprim17ROCPRIM_400000_NS6detail17trampoline_kernelINS0_13select_configILj256ELj13ELNS0_17block_load_methodE3ELS4_3ELS4_3ELNS0_20block_scan_algorithmE0ELj4294967295EEENS1_25partition_config_selectorILNS1_17partition_subalgoE3EjNS0_10empty_typeEbEEZZNS1_14partition_implILS8_3ELb0ES6_jNS0_17counting_iteratorIjlEEPS9_SE_NS0_5tupleIJPjSE_EEENSF_IJSE_SE_EEES9_SG_JZNS1_25segmented_radix_sort_implINS0_14default_configELb0EPKfPfPKlPlN2at6native12_GLOBAL__N_18offset_tEEE10hipError_tPvRmT1_PNSt15iterator_traitsISY_E10value_typeET2_T3_PNSZ_IS14_E10value_typeET4_jRbjT5_S1A_jjP12ihipStream_tbEUljE_EEESV_SW_SX_S14_S18_S1A_T6_T7_T9_mT8_S1C_bDpT10_ENKUlT_T0_E_clISt17integral_constantIbLb0EES1O_IbLb1EEEEDaS1K_S1L_EUlS1K_E_NS1_11comp_targetILNS1_3genE3ELNS1_11target_archE908ELNS1_3gpuE7ELNS1_3repE0EEENS1_30default_config_static_selectorELNS0_4arch9wavefront6targetE0EEEvSY_.has_indirect_call, 0
	.section	.AMDGPU.csdata,"",@progbits
; Kernel info:
; codeLenInByte = 0
; TotalNumSgprs: 0
; NumVgprs: 0
; ScratchSize: 0
; MemoryBound: 0
; FloatMode: 240
; IeeeMode: 1
; LDSByteSize: 0 bytes/workgroup (compile time only)
; SGPRBlocks: 0
; VGPRBlocks: 0
; NumSGPRsForWavesPerEU: 1
; NumVGPRsForWavesPerEU: 1
; Occupancy: 16
; WaveLimiterHint : 0
; COMPUTE_PGM_RSRC2:SCRATCH_EN: 0
; COMPUTE_PGM_RSRC2:USER_SGPR: 6
; COMPUTE_PGM_RSRC2:TRAP_HANDLER: 0
; COMPUTE_PGM_RSRC2:TGID_X_EN: 1
; COMPUTE_PGM_RSRC2:TGID_Y_EN: 0
; COMPUTE_PGM_RSRC2:TGID_Z_EN: 0
; COMPUTE_PGM_RSRC2:TIDIG_COMP_CNT: 0
	.section	.text._ZN7rocprim17ROCPRIM_400000_NS6detail17trampoline_kernelINS0_13select_configILj256ELj13ELNS0_17block_load_methodE3ELS4_3ELS4_3ELNS0_20block_scan_algorithmE0ELj4294967295EEENS1_25partition_config_selectorILNS1_17partition_subalgoE3EjNS0_10empty_typeEbEEZZNS1_14partition_implILS8_3ELb0ES6_jNS0_17counting_iteratorIjlEEPS9_SE_NS0_5tupleIJPjSE_EEENSF_IJSE_SE_EEES9_SG_JZNS1_25segmented_radix_sort_implINS0_14default_configELb0EPKfPfPKlPlN2at6native12_GLOBAL__N_18offset_tEEE10hipError_tPvRmT1_PNSt15iterator_traitsISY_E10value_typeET2_T3_PNSZ_IS14_E10value_typeET4_jRbjT5_S1A_jjP12ihipStream_tbEUljE_EEESV_SW_SX_S14_S18_S1A_T6_T7_T9_mT8_S1C_bDpT10_ENKUlT_T0_E_clISt17integral_constantIbLb0EES1O_IbLb1EEEEDaS1K_S1L_EUlS1K_E_NS1_11comp_targetILNS1_3genE2ELNS1_11target_archE906ELNS1_3gpuE6ELNS1_3repE0EEENS1_30default_config_static_selectorELNS0_4arch9wavefront6targetE0EEEvSY_,"axG",@progbits,_ZN7rocprim17ROCPRIM_400000_NS6detail17trampoline_kernelINS0_13select_configILj256ELj13ELNS0_17block_load_methodE3ELS4_3ELS4_3ELNS0_20block_scan_algorithmE0ELj4294967295EEENS1_25partition_config_selectorILNS1_17partition_subalgoE3EjNS0_10empty_typeEbEEZZNS1_14partition_implILS8_3ELb0ES6_jNS0_17counting_iteratorIjlEEPS9_SE_NS0_5tupleIJPjSE_EEENSF_IJSE_SE_EEES9_SG_JZNS1_25segmented_radix_sort_implINS0_14default_configELb0EPKfPfPKlPlN2at6native12_GLOBAL__N_18offset_tEEE10hipError_tPvRmT1_PNSt15iterator_traitsISY_E10value_typeET2_T3_PNSZ_IS14_E10value_typeET4_jRbjT5_S1A_jjP12ihipStream_tbEUljE_EEESV_SW_SX_S14_S18_S1A_T6_T7_T9_mT8_S1C_bDpT10_ENKUlT_T0_E_clISt17integral_constantIbLb0EES1O_IbLb1EEEEDaS1K_S1L_EUlS1K_E_NS1_11comp_targetILNS1_3genE2ELNS1_11target_archE906ELNS1_3gpuE6ELNS1_3repE0EEENS1_30default_config_static_selectorELNS0_4arch9wavefront6targetE0EEEvSY_,comdat
	.globl	_ZN7rocprim17ROCPRIM_400000_NS6detail17trampoline_kernelINS0_13select_configILj256ELj13ELNS0_17block_load_methodE3ELS4_3ELS4_3ELNS0_20block_scan_algorithmE0ELj4294967295EEENS1_25partition_config_selectorILNS1_17partition_subalgoE3EjNS0_10empty_typeEbEEZZNS1_14partition_implILS8_3ELb0ES6_jNS0_17counting_iteratorIjlEEPS9_SE_NS0_5tupleIJPjSE_EEENSF_IJSE_SE_EEES9_SG_JZNS1_25segmented_radix_sort_implINS0_14default_configELb0EPKfPfPKlPlN2at6native12_GLOBAL__N_18offset_tEEE10hipError_tPvRmT1_PNSt15iterator_traitsISY_E10value_typeET2_T3_PNSZ_IS14_E10value_typeET4_jRbjT5_S1A_jjP12ihipStream_tbEUljE_EEESV_SW_SX_S14_S18_S1A_T6_T7_T9_mT8_S1C_bDpT10_ENKUlT_T0_E_clISt17integral_constantIbLb0EES1O_IbLb1EEEEDaS1K_S1L_EUlS1K_E_NS1_11comp_targetILNS1_3genE2ELNS1_11target_archE906ELNS1_3gpuE6ELNS1_3repE0EEENS1_30default_config_static_selectorELNS0_4arch9wavefront6targetE0EEEvSY_ ; -- Begin function _ZN7rocprim17ROCPRIM_400000_NS6detail17trampoline_kernelINS0_13select_configILj256ELj13ELNS0_17block_load_methodE3ELS4_3ELS4_3ELNS0_20block_scan_algorithmE0ELj4294967295EEENS1_25partition_config_selectorILNS1_17partition_subalgoE3EjNS0_10empty_typeEbEEZZNS1_14partition_implILS8_3ELb0ES6_jNS0_17counting_iteratorIjlEEPS9_SE_NS0_5tupleIJPjSE_EEENSF_IJSE_SE_EEES9_SG_JZNS1_25segmented_radix_sort_implINS0_14default_configELb0EPKfPfPKlPlN2at6native12_GLOBAL__N_18offset_tEEE10hipError_tPvRmT1_PNSt15iterator_traitsISY_E10value_typeET2_T3_PNSZ_IS14_E10value_typeET4_jRbjT5_S1A_jjP12ihipStream_tbEUljE_EEESV_SW_SX_S14_S18_S1A_T6_T7_T9_mT8_S1C_bDpT10_ENKUlT_T0_E_clISt17integral_constantIbLb0EES1O_IbLb1EEEEDaS1K_S1L_EUlS1K_E_NS1_11comp_targetILNS1_3genE2ELNS1_11target_archE906ELNS1_3gpuE6ELNS1_3repE0EEENS1_30default_config_static_selectorELNS0_4arch9wavefront6targetE0EEEvSY_
	.p2align	8
	.type	_ZN7rocprim17ROCPRIM_400000_NS6detail17trampoline_kernelINS0_13select_configILj256ELj13ELNS0_17block_load_methodE3ELS4_3ELS4_3ELNS0_20block_scan_algorithmE0ELj4294967295EEENS1_25partition_config_selectorILNS1_17partition_subalgoE3EjNS0_10empty_typeEbEEZZNS1_14partition_implILS8_3ELb0ES6_jNS0_17counting_iteratorIjlEEPS9_SE_NS0_5tupleIJPjSE_EEENSF_IJSE_SE_EEES9_SG_JZNS1_25segmented_radix_sort_implINS0_14default_configELb0EPKfPfPKlPlN2at6native12_GLOBAL__N_18offset_tEEE10hipError_tPvRmT1_PNSt15iterator_traitsISY_E10value_typeET2_T3_PNSZ_IS14_E10value_typeET4_jRbjT5_S1A_jjP12ihipStream_tbEUljE_EEESV_SW_SX_S14_S18_S1A_T6_T7_T9_mT8_S1C_bDpT10_ENKUlT_T0_E_clISt17integral_constantIbLb0EES1O_IbLb1EEEEDaS1K_S1L_EUlS1K_E_NS1_11comp_targetILNS1_3genE2ELNS1_11target_archE906ELNS1_3gpuE6ELNS1_3repE0EEENS1_30default_config_static_selectorELNS0_4arch9wavefront6targetE0EEEvSY_,@function
_ZN7rocprim17ROCPRIM_400000_NS6detail17trampoline_kernelINS0_13select_configILj256ELj13ELNS0_17block_load_methodE3ELS4_3ELS4_3ELNS0_20block_scan_algorithmE0ELj4294967295EEENS1_25partition_config_selectorILNS1_17partition_subalgoE3EjNS0_10empty_typeEbEEZZNS1_14partition_implILS8_3ELb0ES6_jNS0_17counting_iteratorIjlEEPS9_SE_NS0_5tupleIJPjSE_EEENSF_IJSE_SE_EEES9_SG_JZNS1_25segmented_radix_sort_implINS0_14default_configELb0EPKfPfPKlPlN2at6native12_GLOBAL__N_18offset_tEEE10hipError_tPvRmT1_PNSt15iterator_traitsISY_E10value_typeET2_T3_PNSZ_IS14_E10value_typeET4_jRbjT5_S1A_jjP12ihipStream_tbEUljE_EEESV_SW_SX_S14_S18_S1A_T6_T7_T9_mT8_S1C_bDpT10_ENKUlT_T0_E_clISt17integral_constantIbLb0EES1O_IbLb1EEEEDaS1K_S1L_EUlS1K_E_NS1_11comp_targetILNS1_3genE2ELNS1_11target_archE906ELNS1_3gpuE6ELNS1_3repE0EEENS1_30default_config_static_selectorELNS0_4arch9wavefront6targetE0EEEvSY_: ; @_ZN7rocprim17ROCPRIM_400000_NS6detail17trampoline_kernelINS0_13select_configILj256ELj13ELNS0_17block_load_methodE3ELS4_3ELS4_3ELNS0_20block_scan_algorithmE0ELj4294967295EEENS1_25partition_config_selectorILNS1_17partition_subalgoE3EjNS0_10empty_typeEbEEZZNS1_14partition_implILS8_3ELb0ES6_jNS0_17counting_iteratorIjlEEPS9_SE_NS0_5tupleIJPjSE_EEENSF_IJSE_SE_EEES9_SG_JZNS1_25segmented_radix_sort_implINS0_14default_configELb0EPKfPfPKlPlN2at6native12_GLOBAL__N_18offset_tEEE10hipError_tPvRmT1_PNSt15iterator_traitsISY_E10value_typeET2_T3_PNSZ_IS14_E10value_typeET4_jRbjT5_S1A_jjP12ihipStream_tbEUljE_EEESV_SW_SX_S14_S18_S1A_T6_T7_T9_mT8_S1C_bDpT10_ENKUlT_T0_E_clISt17integral_constantIbLb0EES1O_IbLb1EEEEDaS1K_S1L_EUlS1K_E_NS1_11comp_targetILNS1_3genE2ELNS1_11target_archE906ELNS1_3gpuE6ELNS1_3repE0EEENS1_30default_config_static_selectorELNS0_4arch9wavefront6targetE0EEEvSY_
; %bb.0:
	.section	.rodata,"a",@progbits
	.p2align	6, 0x0
	.amdhsa_kernel _ZN7rocprim17ROCPRIM_400000_NS6detail17trampoline_kernelINS0_13select_configILj256ELj13ELNS0_17block_load_methodE3ELS4_3ELS4_3ELNS0_20block_scan_algorithmE0ELj4294967295EEENS1_25partition_config_selectorILNS1_17partition_subalgoE3EjNS0_10empty_typeEbEEZZNS1_14partition_implILS8_3ELb0ES6_jNS0_17counting_iteratorIjlEEPS9_SE_NS0_5tupleIJPjSE_EEENSF_IJSE_SE_EEES9_SG_JZNS1_25segmented_radix_sort_implINS0_14default_configELb0EPKfPfPKlPlN2at6native12_GLOBAL__N_18offset_tEEE10hipError_tPvRmT1_PNSt15iterator_traitsISY_E10value_typeET2_T3_PNSZ_IS14_E10value_typeET4_jRbjT5_S1A_jjP12ihipStream_tbEUljE_EEESV_SW_SX_S14_S18_S1A_T6_T7_T9_mT8_S1C_bDpT10_ENKUlT_T0_E_clISt17integral_constantIbLb0EES1O_IbLb1EEEEDaS1K_S1L_EUlS1K_E_NS1_11comp_targetILNS1_3genE2ELNS1_11target_archE906ELNS1_3gpuE6ELNS1_3repE0EEENS1_30default_config_static_selectorELNS0_4arch9wavefront6targetE0EEEvSY_
		.amdhsa_group_segment_fixed_size 0
		.amdhsa_private_segment_fixed_size 0
		.amdhsa_kernarg_size 152
		.amdhsa_user_sgpr_count 6
		.amdhsa_user_sgpr_private_segment_buffer 1
		.amdhsa_user_sgpr_dispatch_ptr 0
		.amdhsa_user_sgpr_queue_ptr 0
		.amdhsa_user_sgpr_kernarg_segment_ptr 1
		.amdhsa_user_sgpr_dispatch_id 0
		.amdhsa_user_sgpr_flat_scratch_init 0
		.amdhsa_user_sgpr_private_segment_size 0
		.amdhsa_wavefront_size32 1
		.amdhsa_uses_dynamic_stack 0
		.amdhsa_system_sgpr_private_segment_wavefront_offset 0
		.amdhsa_system_sgpr_workgroup_id_x 1
		.amdhsa_system_sgpr_workgroup_id_y 0
		.amdhsa_system_sgpr_workgroup_id_z 0
		.amdhsa_system_sgpr_workgroup_info 0
		.amdhsa_system_vgpr_workitem_id 0
		.amdhsa_next_free_vgpr 1
		.amdhsa_next_free_sgpr 1
		.amdhsa_reserve_vcc 0
		.amdhsa_reserve_flat_scratch 0
		.amdhsa_float_round_mode_32 0
		.amdhsa_float_round_mode_16_64 0
		.amdhsa_float_denorm_mode_32 3
		.amdhsa_float_denorm_mode_16_64 3
		.amdhsa_dx10_clamp 1
		.amdhsa_ieee_mode 1
		.amdhsa_fp16_overflow 0
		.amdhsa_workgroup_processor_mode 1
		.amdhsa_memory_ordered 1
		.amdhsa_forward_progress 1
		.amdhsa_shared_vgpr_count 0
		.amdhsa_exception_fp_ieee_invalid_op 0
		.amdhsa_exception_fp_denorm_src 0
		.amdhsa_exception_fp_ieee_div_zero 0
		.amdhsa_exception_fp_ieee_overflow 0
		.amdhsa_exception_fp_ieee_underflow 0
		.amdhsa_exception_fp_ieee_inexact 0
		.amdhsa_exception_int_div_zero 0
	.end_amdhsa_kernel
	.section	.text._ZN7rocprim17ROCPRIM_400000_NS6detail17trampoline_kernelINS0_13select_configILj256ELj13ELNS0_17block_load_methodE3ELS4_3ELS4_3ELNS0_20block_scan_algorithmE0ELj4294967295EEENS1_25partition_config_selectorILNS1_17partition_subalgoE3EjNS0_10empty_typeEbEEZZNS1_14partition_implILS8_3ELb0ES6_jNS0_17counting_iteratorIjlEEPS9_SE_NS0_5tupleIJPjSE_EEENSF_IJSE_SE_EEES9_SG_JZNS1_25segmented_radix_sort_implINS0_14default_configELb0EPKfPfPKlPlN2at6native12_GLOBAL__N_18offset_tEEE10hipError_tPvRmT1_PNSt15iterator_traitsISY_E10value_typeET2_T3_PNSZ_IS14_E10value_typeET4_jRbjT5_S1A_jjP12ihipStream_tbEUljE_EEESV_SW_SX_S14_S18_S1A_T6_T7_T9_mT8_S1C_bDpT10_ENKUlT_T0_E_clISt17integral_constantIbLb0EES1O_IbLb1EEEEDaS1K_S1L_EUlS1K_E_NS1_11comp_targetILNS1_3genE2ELNS1_11target_archE906ELNS1_3gpuE6ELNS1_3repE0EEENS1_30default_config_static_selectorELNS0_4arch9wavefront6targetE0EEEvSY_,"axG",@progbits,_ZN7rocprim17ROCPRIM_400000_NS6detail17trampoline_kernelINS0_13select_configILj256ELj13ELNS0_17block_load_methodE3ELS4_3ELS4_3ELNS0_20block_scan_algorithmE0ELj4294967295EEENS1_25partition_config_selectorILNS1_17partition_subalgoE3EjNS0_10empty_typeEbEEZZNS1_14partition_implILS8_3ELb0ES6_jNS0_17counting_iteratorIjlEEPS9_SE_NS0_5tupleIJPjSE_EEENSF_IJSE_SE_EEES9_SG_JZNS1_25segmented_radix_sort_implINS0_14default_configELb0EPKfPfPKlPlN2at6native12_GLOBAL__N_18offset_tEEE10hipError_tPvRmT1_PNSt15iterator_traitsISY_E10value_typeET2_T3_PNSZ_IS14_E10value_typeET4_jRbjT5_S1A_jjP12ihipStream_tbEUljE_EEESV_SW_SX_S14_S18_S1A_T6_T7_T9_mT8_S1C_bDpT10_ENKUlT_T0_E_clISt17integral_constantIbLb0EES1O_IbLb1EEEEDaS1K_S1L_EUlS1K_E_NS1_11comp_targetILNS1_3genE2ELNS1_11target_archE906ELNS1_3gpuE6ELNS1_3repE0EEENS1_30default_config_static_selectorELNS0_4arch9wavefront6targetE0EEEvSY_,comdat
.Lfunc_end1416:
	.size	_ZN7rocprim17ROCPRIM_400000_NS6detail17trampoline_kernelINS0_13select_configILj256ELj13ELNS0_17block_load_methodE3ELS4_3ELS4_3ELNS0_20block_scan_algorithmE0ELj4294967295EEENS1_25partition_config_selectorILNS1_17partition_subalgoE3EjNS0_10empty_typeEbEEZZNS1_14partition_implILS8_3ELb0ES6_jNS0_17counting_iteratorIjlEEPS9_SE_NS0_5tupleIJPjSE_EEENSF_IJSE_SE_EEES9_SG_JZNS1_25segmented_radix_sort_implINS0_14default_configELb0EPKfPfPKlPlN2at6native12_GLOBAL__N_18offset_tEEE10hipError_tPvRmT1_PNSt15iterator_traitsISY_E10value_typeET2_T3_PNSZ_IS14_E10value_typeET4_jRbjT5_S1A_jjP12ihipStream_tbEUljE_EEESV_SW_SX_S14_S18_S1A_T6_T7_T9_mT8_S1C_bDpT10_ENKUlT_T0_E_clISt17integral_constantIbLb0EES1O_IbLb1EEEEDaS1K_S1L_EUlS1K_E_NS1_11comp_targetILNS1_3genE2ELNS1_11target_archE906ELNS1_3gpuE6ELNS1_3repE0EEENS1_30default_config_static_selectorELNS0_4arch9wavefront6targetE0EEEvSY_, .Lfunc_end1416-_ZN7rocprim17ROCPRIM_400000_NS6detail17trampoline_kernelINS0_13select_configILj256ELj13ELNS0_17block_load_methodE3ELS4_3ELS4_3ELNS0_20block_scan_algorithmE0ELj4294967295EEENS1_25partition_config_selectorILNS1_17partition_subalgoE3EjNS0_10empty_typeEbEEZZNS1_14partition_implILS8_3ELb0ES6_jNS0_17counting_iteratorIjlEEPS9_SE_NS0_5tupleIJPjSE_EEENSF_IJSE_SE_EEES9_SG_JZNS1_25segmented_radix_sort_implINS0_14default_configELb0EPKfPfPKlPlN2at6native12_GLOBAL__N_18offset_tEEE10hipError_tPvRmT1_PNSt15iterator_traitsISY_E10value_typeET2_T3_PNSZ_IS14_E10value_typeET4_jRbjT5_S1A_jjP12ihipStream_tbEUljE_EEESV_SW_SX_S14_S18_S1A_T6_T7_T9_mT8_S1C_bDpT10_ENKUlT_T0_E_clISt17integral_constantIbLb0EES1O_IbLb1EEEEDaS1K_S1L_EUlS1K_E_NS1_11comp_targetILNS1_3genE2ELNS1_11target_archE906ELNS1_3gpuE6ELNS1_3repE0EEENS1_30default_config_static_selectorELNS0_4arch9wavefront6targetE0EEEvSY_
                                        ; -- End function
	.set _ZN7rocprim17ROCPRIM_400000_NS6detail17trampoline_kernelINS0_13select_configILj256ELj13ELNS0_17block_load_methodE3ELS4_3ELS4_3ELNS0_20block_scan_algorithmE0ELj4294967295EEENS1_25partition_config_selectorILNS1_17partition_subalgoE3EjNS0_10empty_typeEbEEZZNS1_14partition_implILS8_3ELb0ES6_jNS0_17counting_iteratorIjlEEPS9_SE_NS0_5tupleIJPjSE_EEENSF_IJSE_SE_EEES9_SG_JZNS1_25segmented_radix_sort_implINS0_14default_configELb0EPKfPfPKlPlN2at6native12_GLOBAL__N_18offset_tEEE10hipError_tPvRmT1_PNSt15iterator_traitsISY_E10value_typeET2_T3_PNSZ_IS14_E10value_typeET4_jRbjT5_S1A_jjP12ihipStream_tbEUljE_EEESV_SW_SX_S14_S18_S1A_T6_T7_T9_mT8_S1C_bDpT10_ENKUlT_T0_E_clISt17integral_constantIbLb0EES1O_IbLb1EEEEDaS1K_S1L_EUlS1K_E_NS1_11comp_targetILNS1_3genE2ELNS1_11target_archE906ELNS1_3gpuE6ELNS1_3repE0EEENS1_30default_config_static_selectorELNS0_4arch9wavefront6targetE0EEEvSY_.num_vgpr, 0
	.set _ZN7rocprim17ROCPRIM_400000_NS6detail17trampoline_kernelINS0_13select_configILj256ELj13ELNS0_17block_load_methodE3ELS4_3ELS4_3ELNS0_20block_scan_algorithmE0ELj4294967295EEENS1_25partition_config_selectorILNS1_17partition_subalgoE3EjNS0_10empty_typeEbEEZZNS1_14partition_implILS8_3ELb0ES6_jNS0_17counting_iteratorIjlEEPS9_SE_NS0_5tupleIJPjSE_EEENSF_IJSE_SE_EEES9_SG_JZNS1_25segmented_radix_sort_implINS0_14default_configELb0EPKfPfPKlPlN2at6native12_GLOBAL__N_18offset_tEEE10hipError_tPvRmT1_PNSt15iterator_traitsISY_E10value_typeET2_T3_PNSZ_IS14_E10value_typeET4_jRbjT5_S1A_jjP12ihipStream_tbEUljE_EEESV_SW_SX_S14_S18_S1A_T6_T7_T9_mT8_S1C_bDpT10_ENKUlT_T0_E_clISt17integral_constantIbLb0EES1O_IbLb1EEEEDaS1K_S1L_EUlS1K_E_NS1_11comp_targetILNS1_3genE2ELNS1_11target_archE906ELNS1_3gpuE6ELNS1_3repE0EEENS1_30default_config_static_selectorELNS0_4arch9wavefront6targetE0EEEvSY_.num_agpr, 0
	.set _ZN7rocprim17ROCPRIM_400000_NS6detail17trampoline_kernelINS0_13select_configILj256ELj13ELNS0_17block_load_methodE3ELS4_3ELS4_3ELNS0_20block_scan_algorithmE0ELj4294967295EEENS1_25partition_config_selectorILNS1_17partition_subalgoE3EjNS0_10empty_typeEbEEZZNS1_14partition_implILS8_3ELb0ES6_jNS0_17counting_iteratorIjlEEPS9_SE_NS0_5tupleIJPjSE_EEENSF_IJSE_SE_EEES9_SG_JZNS1_25segmented_radix_sort_implINS0_14default_configELb0EPKfPfPKlPlN2at6native12_GLOBAL__N_18offset_tEEE10hipError_tPvRmT1_PNSt15iterator_traitsISY_E10value_typeET2_T3_PNSZ_IS14_E10value_typeET4_jRbjT5_S1A_jjP12ihipStream_tbEUljE_EEESV_SW_SX_S14_S18_S1A_T6_T7_T9_mT8_S1C_bDpT10_ENKUlT_T0_E_clISt17integral_constantIbLb0EES1O_IbLb1EEEEDaS1K_S1L_EUlS1K_E_NS1_11comp_targetILNS1_3genE2ELNS1_11target_archE906ELNS1_3gpuE6ELNS1_3repE0EEENS1_30default_config_static_selectorELNS0_4arch9wavefront6targetE0EEEvSY_.numbered_sgpr, 0
	.set _ZN7rocprim17ROCPRIM_400000_NS6detail17trampoline_kernelINS0_13select_configILj256ELj13ELNS0_17block_load_methodE3ELS4_3ELS4_3ELNS0_20block_scan_algorithmE0ELj4294967295EEENS1_25partition_config_selectorILNS1_17partition_subalgoE3EjNS0_10empty_typeEbEEZZNS1_14partition_implILS8_3ELb0ES6_jNS0_17counting_iteratorIjlEEPS9_SE_NS0_5tupleIJPjSE_EEENSF_IJSE_SE_EEES9_SG_JZNS1_25segmented_radix_sort_implINS0_14default_configELb0EPKfPfPKlPlN2at6native12_GLOBAL__N_18offset_tEEE10hipError_tPvRmT1_PNSt15iterator_traitsISY_E10value_typeET2_T3_PNSZ_IS14_E10value_typeET4_jRbjT5_S1A_jjP12ihipStream_tbEUljE_EEESV_SW_SX_S14_S18_S1A_T6_T7_T9_mT8_S1C_bDpT10_ENKUlT_T0_E_clISt17integral_constantIbLb0EES1O_IbLb1EEEEDaS1K_S1L_EUlS1K_E_NS1_11comp_targetILNS1_3genE2ELNS1_11target_archE906ELNS1_3gpuE6ELNS1_3repE0EEENS1_30default_config_static_selectorELNS0_4arch9wavefront6targetE0EEEvSY_.num_named_barrier, 0
	.set _ZN7rocprim17ROCPRIM_400000_NS6detail17trampoline_kernelINS0_13select_configILj256ELj13ELNS0_17block_load_methodE3ELS4_3ELS4_3ELNS0_20block_scan_algorithmE0ELj4294967295EEENS1_25partition_config_selectorILNS1_17partition_subalgoE3EjNS0_10empty_typeEbEEZZNS1_14partition_implILS8_3ELb0ES6_jNS0_17counting_iteratorIjlEEPS9_SE_NS0_5tupleIJPjSE_EEENSF_IJSE_SE_EEES9_SG_JZNS1_25segmented_radix_sort_implINS0_14default_configELb0EPKfPfPKlPlN2at6native12_GLOBAL__N_18offset_tEEE10hipError_tPvRmT1_PNSt15iterator_traitsISY_E10value_typeET2_T3_PNSZ_IS14_E10value_typeET4_jRbjT5_S1A_jjP12ihipStream_tbEUljE_EEESV_SW_SX_S14_S18_S1A_T6_T7_T9_mT8_S1C_bDpT10_ENKUlT_T0_E_clISt17integral_constantIbLb0EES1O_IbLb1EEEEDaS1K_S1L_EUlS1K_E_NS1_11comp_targetILNS1_3genE2ELNS1_11target_archE906ELNS1_3gpuE6ELNS1_3repE0EEENS1_30default_config_static_selectorELNS0_4arch9wavefront6targetE0EEEvSY_.private_seg_size, 0
	.set _ZN7rocprim17ROCPRIM_400000_NS6detail17trampoline_kernelINS0_13select_configILj256ELj13ELNS0_17block_load_methodE3ELS4_3ELS4_3ELNS0_20block_scan_algorithmE0ELj4294967295EEENS1_25partition_config_selectorILNS1_17partition_subalgoE3EjNS0_10empty_typeEbEEZZNS1_14partition_implILS8_3ELb0ES6_jNS0_17counting_iteratorIjlEEPS9_SE_NS0_5tupleIJPjSE_EEENSF_IJSE_SE_EEES9_SG_JZNS1_25segmented_radix_sort_implINS0_14default_configELb0EPKfPfPKlPlN2at6native12_GLOBAL__N_18offset_tEEE10hipError_tPvRmT1_PNSt15iterator_traitsISY_E10value_typeET2_T3_PNSZ_IS14_E10value_typeET4_jRbjT5_S1A_jjP12ihipStream_tbEUljE_EEESV_SW_SX_S14_S18_S1A_T6_T7_T9_mT8_S1C_bDpT10_ENKUlT_T0_E_clISt17integral_constantIbLb0EES1O_IbLb1EEEEDaS1K_S1L_EUlS1K_E_NS1_11comp_targetILNS1_3genE2ELNS1_11target_archE906ELNS1_3gpuE6ELNS1_3repE0EEENS1_30default_config_static_selectorELNS0_4arch9wavefront6targetE0EEEvSY_.uses_vcc, 0
	.set _ZN7rocprim17ROCPRIM_400000_NS6detail17trampoline_kernelINS0_13select_configILj256ELj13ELNS0_17block_load_methodE3ELS4_3ELS4_3ELNS0_20block_scan_algorithmE0ELj4294967295EEENS1_25partition_config_selectorILNS1_17partition_subalgoE3EjNS0_10empty_typeEbEEZZNS1_14partition_implILS8_3ELb0ES6_jNS0_17counting_iteratorIjlEEPS9_SE_NS0_5tupleIJPjSE_EEENSF_IJSE_SE_EEES9_SG_JZNS1_25segmented_radix_sort_implINS0_14default_configELb0EPKfPfPKlPlN2at6native12_GLOBAL__N_18offset_tEEE10hipError_tPvRmT1_PNSt15iterator_traitsISY_E10value_typeET2_T3_PNSZ_IS14_E10value_typeET4_jRbjT5_S1A_jjP12ihipStream_tbEUljE_EEESV_SW_SX_S14_S18_S1A_T6_T7_T9_mT8_S1C_bDpT10_ENKUlT_T0_E_clISt17integral_constantIbLb0EES1O_IbLb1EEEEDaS1K_S1L_EUlS1K_E_NS1_11comp_targetILNS1_3genE2ELNS1_11target_archE906ELNS1_3gpuE6ELNS1_3repE0EEENS1_30default_config_static_selectorELNS0_4arch9wavefront6targetE0EEEvSY_.uses_flat_scratch, 0
	.set _ZN7rocprim17ROCPRIM_400000_NS6detail17trampoline_kernelINS0_13select_configILj256ELj13ELNS0_17block_load_methodE3ELS4_3ELS4_3ELNS0_20block_scan_algorithmE0ELj4294967295EEENS1_25partition_config_selectorILNS1_17partition_subalgoE3EjNS0_10empty_typeEbEEZZNS1_14partition_implILS8_3ELb0ES6_jNS0_17counting_iteratorIjlEEPS9_SE_NS0_5tupleIJPjSE_EEENSF_IJSE_SE_EEES9_SG_JZNS1_25segmented_radix_sort_implINS0_14default_configELb0EPKfPfPKlPlN2at6native12_GLOBAL__N_18offset_tEEE10hipError_tPvRmT1_PNSt15iterator_traitsISY_E10value_typeET2_T3_PNSZ_IS14_E10value_typeET4_jRbjT5_S1A_jjP12ihipStream_tbEUljE_EEESV_SW_SX_S14_S18_S1A_T6_T7_T9_mT8_S1C_bDpT10_ENKUlT_T0_E_clISt17integral_constantIbLb0EES1O_IbLb1EEEEDaS1K_S1L_EUlS1K_E_NS1_11comp_targetILNS1_3genE2ELNS1_11target_archE906ELNS1_3gpuE6ELNS1_3repE0EEENS1_30default_config_static_selectorELNS0_4arch9wavefront6targetE0EEEvSY_.has_dyn_sized_stack, 0
	.set _ZN7rocprim17ROCPRIM_400000_NS6detail17trampoline_kernelINS0_13select_configILj256ELj13ELNS0_17block_load_methodE3ELS4_3ELS4_3ELNS0_20block_scan_algorithmE0ELj4294967295EEENS1_25partition_config_selectorILNS1_17partition_subalgoE3EjNS0_10empty_typeEbEEZZNS1_14partition_implILS8_3ELb0ES6_jNS0_17counting_iteratorIjlEEPS9_SE_NS0_5tupleIJPjSE_EEENSF_IJSE_SE_EEES9_SG_JZNS1_25segmented_radix_sort_implINS0_14default_configELb0EPKfPfPKlPlN2at6native12_GLOBAL__N_18offset_tEEE10hipError_tPvRmT1_PNSt15iterator_traitsISY_E10value_typeET2_T3_PNSZ_IS14_E10value_typeET4_jRbjT5_S1A_jjP12ihipStream_tbEUljE_EEESV_SW_SX_S14_S18_S1A_T6_T7_T9_mT8_S1C_bDpT10_ENKUlT_T0_E_clISt17integral_constantIbLb0EES1O_IbLb1EEEEDaS1K_S1L_EUlS1K_E_NS1_11comp_targetILNS1_3genE2ELNS1_11target_archE906ELNS1_3gpuE6ELNS1_3repE0EEENS1_30default_config_static_selectorELNS0_4arch9wavefront6targetE0EEEvSY_.has_recursion, 0
	.set _ZN7rocprim17ROCPRIM_400000_NS6detail17trampoline_kernelINS0_13select_configILj256ELj13ELNS0_17block_load_methodE3ELS4_3ELS4_3ELNS0_20block_scan_algorithmE0ELj4294967295EEENS1_25partition_config_selectorILNS1_17partition_subalgoE3EjNS0_10empty_typeEbEEZZNS1_14partition_implILS8_3ELb0ES6_jNS0_17counting_iteratorIjlEEPS9_SE_NS0_5tupleIJPjSE_EEENSF_IJSE_SE_EEES9_SG_JZNS1_25segmented_radix_sort_implINS0_14default_configELb0EPKfPfPKlPlN2at6native12_GLOBAL__N_18offset_tEEE10hipError_tPvRmT1_PNSt15iterator_traitsISY_E10value_typeET2_T3_PNSZ_IS14_E10value_typeET4_jRbjT5_S1A_jjP12ihipStream_tbEUljE_EEESV_SW_SX_S14_S18_S1A_T6_T7_T9_mT8_S1C_bDpT10_ENKUlT_T0_E_clISt17integral_constantIbLb0EES1O_IbLb1EEEEDaS1K_S1L_EUlS1K_E_NS1_11comp_targetILNS1_3genE2ELNS1_11target_archE906ELNS1_3gpuE6ELNS1_3repE0EEENS1_30default_config_static_selectorELNS0_4arch9wavefront6targetE0EEEvSY_.has_indirect_call, 0
	.section	.AMDGPU.csdata,"",@progbits
; Kernel info:
; codeLenInByte = 0
; TotalNumSgprs: 0
; NumVgprs: 0
; ScratchSize: 0
; MemoryBound: 0
; FloatMode: 240
; IeeeMode: 1
; LDSByteSize: 0 bytes/workgroup (compile time only)
; SGPRBlocks: 0
; VGPRBlocks: 0
; NumSGPRsForWavesPerEU: 1
; NumVGPRsForWavesPerEU: 1
; Occupancy: 16
; WaveLimiterHint : 0
; COMPUTE_PGM_RSRC2:SCRATCH_EN: 0
; COMPUTE_PGM_RSRC2:USER_SGPR: 6
; COMPUTE_PGM_RSRC2:TRAP_HANDLER: 0
; COMPUTE_PGM_RSRC2:TGID_X_EN: 1
; COMPUTE_PGM_RSRC2:TGID_Y_EN: 0
; COMPUTE_PGM_RSRC2:TGID_Z_EN: 0
; COMPUTE_PGM_RSRC2:TIDIG_COMP_CNT: 0
	.section	.text._ZN7rocprim17ROCPRIM_400000_NS6detail17trampoline_kernelINS0_13select_configILj256ELj13ELNS0_17block_load_methodE3ELS4_3ELS4_3ELNS0_20block_scan_algorithmE0ELj4294967295EEENS1_25partition_config_selectorILNS1_17partition_subalgoE3EjNS0_10empty_typeEbEEZZNS1_14partition_implILS8_3ELb0ES6_jNS0_17counting_iteratorIjlEEPS9_SE_NS0_5tupleIJPjSE_EEENSF_IJSE_SE_EEES9_SG_JZNS1_25segmented_radix_sort_implINS0_14default_configELb0EPKfPfPKlPlN2at6native12_GLOBAL__N_18offset_tEEE10hipError_tPvRmT1_PNSt15iterator_traitsISY_E10value_typeET2_T3_PNSZ_IS14_E10value_typeET4_jRbjT5_S1A_jjP12ihipStream_tbEUljE_EEESV_SW_SX_S14_S18_S1A_T6_T7_T9_mT8_S1C_bDpT10_ENKUlT_T0_E_clISt17integral_constantIbLb0EES1O_IbLb1EEEEDaS1K_S1L_EUlS1K_E_NS1_11comp_targetILNS1_3genE10ELNS1_11target_archE1200ELNS1_3gpuE4ELNS1_3repE0EEENS1_30default_config_static_selectorELNS0_4arch9wavefront6targetE0EEEvSY_,"axG",@progbits,_ZN7rocprim17ROCPRIM_400000_NS6detail17trampoline_kernelINS0_13select_configILj256ELj13ELNS0_17block_load_methodE3ELS4_3ELS4_3ELNS0_20block_scan_algorithmE0ELj4294967295EEENS1_25partition_config_selectorILNS1_17partition_subalgoE3EjNS0_10empty_typeEbEEZZNS1_14partition_implILS8_3ELb0ES6_jNS0_17counting_iteratorIjlEEPS9_SE_NS0_5tupleIJPjSE_EEENSF_IJSE_SE_EEES9_SG_JZNS1_25segmented_radix_sort_implINS0_14default_configELb0EPKfPfPKlPlN2at6native12_GLOBAL__N_18offset_tEEE10hipError_tPvRmT1_PNSt15iterator_traitsISY_E10value_typeET2_T3_PNSZ_IS14_E10value_typeET4_jRbjT5_S1A_jjP12ihipStream_tbEUljE_EEESV_SW_SX_S14_S18_S1A_T6_T7_T9_mT8_S1C_bDpT10_ENKUlT_T0_E_clISt17integral_constantIbLb0EES1O_IbLb1EEEEDaS1K_S1L_EUlS1K_E_NS1_11comp_targetILNS1_3genE10ELNS1_11target_archE1200ELNS1_3gpuE4ELNS1_3repE0EEENS1_30default_config_static_selectorELNS0_4arch9wavefront6targetE0EEEvSY_,comdat
	.globl	_ZN7rocprim17ROCPRIM_400000_NS6detail17trampoline_kernelINS0_13select_configILj256ELj13ELNS0_17block_load_methodE3ELS4_3ELS4_3ELNS0_20block_scan_algorithmE0ELj4294967295EEENS1_25partition_config_selectorILNS1_17partition_subalgoE3EjNS0_10empty_typeEbEEZZNS1_14partition_implILS8_3ELb0ES6_jNS0_17counting_iteratorIjlEEPS9_SE_NS0_5tupleIJPjSE_EEENSF_IJSE_SE_EEES9_SG_JZNS1_25segmented_radix_sort_implINS0_14default_configELb0EPKfPfPKlPlN2at6native12_GLOBAL__N_18offset_tEEE10hipError_tPvRmT1_PNSt15iterator_traitsISY_E10value_typeET2_T3_PNSZ_IS14_E10value_typeET4_jRbjT5_S1A_jjP12ihipStream_tbEUljE_EEESV_SW_SX_S14_S18_S1A_T6_T7_T9_mT8_S1C_bDpT10_ENKUlT_T0_E_clISt17integral_constantIbLb0EES1O_IbLb1EEEEDaS1K_S1L_EUlS1K_E_NS1_11comp_targetILNS1_3genE10ELNS1_11target_archE1200ELNS1_3gpuE4ELNS1_3repE0EEENS1_30default_config_static_selectorELNS0_4arch9wavefront6targetE0EEEvSY_ ; -- Begin function _ZN7rocprim17ROCPRIM_400000_NS6detail17trampoline_kernelINS0_13select_configILj256ELj13ELNS0_17block_load_methodE3ELS4_3ELS4_3ELNS0_20block_scan_algorithmE0ELj4294967295EEENS1_25partition_config_selectorILNS1_17partition_subalgoE3EjNS0_10empty_typeEbEEZZNS1_14partition_implILS8_3ELb0ES6_jNS0_17counting_iteratorIjlEEPS9_SE_NS0_5tupleIJPjSE_EEENSF_IJSE_SE_EEES9_SG_JZNS1_25segmented_radix_sort_implINS0_14default_configELb0EPKfPfPKlPlN2at6native12_GLOBAL__N_18offset_tEEE10hipError_tPvRmT1_PNSt15iterator_traitsISY_E10value_typeET2_T3_PNSZ_IS14_E10value_typeET4_jRbjT5_S1A_jjP12ihipStream_tbEUljE_EEESV_SW_SX_S14_S18_S1A_T6_T7_T9_mT8_S1C_bDpT10_ENKUlT_T0_E_clISt17integral_constantIbLb0EES1O_IbLb1EEEEDaS1K_S1L_EUlS1K_E_NS1_11comp_targetILNS1_3genE10ELNS1_11target_archE1200ELNS1_3gpuE4ELNS1_3repE0EEENS1_30default_config_static_selectorELNS0_4arch9wavefront6targetE0EEEvSY_
	.p2align	8
	.type	_ZN7rocprim17ROCPRIM_400000_NS6detail17trampoline_kernelINS0_13select_configILj256ELj13ELNS0_17block_load_methodE3ELS4_3ELS4_3ELNS0_20block_scan_algorithmE0ELj4294967295EEENS1_25partition_config_selectorILNS1_17partition_subalgoE3EjNS0_10empty_typeEbEEZZNS1_14partition_implILS8_3ELb0ES6_jNS0_17counting_iteratorIjlEEPS9_SE_NS0_5tupleIJPjSE_EEENSF_IJSE_SE_EEES9_SG_JZNS1_25segmented_radix_sort_implINS0_14default_configELb0EPKfPfPKlPlN2at6native12_GLOBAL__N_18offset_tEEE10hipError_tPvRmT1_PNSt15iterator_traitsISY_E10value_typeET2_T3_PNSZ_IS14_E10value_typeET4_jRbjT5_S1A_jjP12ihipStream_tbEUljE_EEESV_SW_SX_S14_S18_S1A_T6_T7_T9_mT8_S1C_bDpT10_ENKUlT_T0_E_clISt17integral_constantIbLb0EES1O_IbLb1EEEEDaS1K_S1L_EUlS1K_E_NS1_11comp_targetILNS1_3genE10ELNS1_11target_archE1200ELNS1_3gpuE4ELNS1_3repE0EEENS1_30default_config_static_selectorELNS0_4arch9wavefront6targetE0EEEvSY_,@function
_ZN7rocprim17ROCPRIM_400000_NS6detail17trampoline_kernelINS0_13select_configILj256ELj13ELNS0_17block_load_methodE3ELS4_3ELS4_3ELNS0_20block_scan_algorithmE0ELj4294967295EEENS1_25partition_config_selectorILNS1_17partition_subalgoE3EjNS0_10empty_typeEbEEZZNS1_14partition_implILS8_3ELb0ES6_jNS0_17counting_iteratorIjlEEPS9_SE_NS0_5tupleIJPjSE_EEENSF_IJSE_SE_EEES9_SG_JZNS1_25segmented_radix_sort_implINS0_14default_configELb0EPKfPfPKlPlN2at6native12_GLOBAL__N_18offset_tEEE10hipError_tPvRmT1_PNSt15iterator_traitsISY_E10value_typeET2_T3_PNSZ_IS14_E10value_typeET4_jRbjT5_S1A_jjP12ihipStream_tbEUljE_EEESV_SW_SX_S14_S18_S1A_T6_T7_T9_mT8_S1C_bDpT10_ENKUlT_T0_E_clISt17integral_constantIbLb0EES1O_IbLb1EEEEDaS1K_S1L_EUlS1K_E_NS1_11comp_targetILNS1_3genE10ELNS1_11target_archE1200ELNS1_3gpuE4ELNS1_3repE0EEENS1_30default_config_static_selectorELNS0_4arch9wavefront6targetE0EEEvSY_: ; @_ZN7rocprim17ROCPRIM_400000_NS6detail17trampoline_kernelINS0_13select_configILj256ELj13ELNS0_17block_load_methodE3ELS4_3ELS4_3ELNS0_20block_scan_algorithmE0ELj4294967295EEENS1_25partition_config_selectorILNS1_17partition_subalgoE3EjNS0_10empty_typeEbEEZZNS1_14partition_implILS8_3ELb0ES6_jNS0_17counting_iteratorIjlEEPS9_SE_NS0_5tupleIJPjSE_EEENSF_IJSE_SE_EEES9_SG_JZNS1_25segmented_radix_sort_implINS0_14default_configELb0EPKfPfPKlPlN2at6native12_GLOBAL__N_18offset_tEEE10hipError_tPvRmT1_PNSt15iterator_traitsISY_E10value_typeET2_T3_PNSZ_IS14_E10value_typeET4_jRbjT5_S1A_jjP12ihipStream_tbEUljE_EEESV_SW_SX_S14_S18_S1A_T6_T7_T9_mT8_S1C_bDpT10_ENKUlT_T0_E_clISt17integral_constantIbLb0EES1O_IbLb1EEEEDaS1K_S1L_EUlS1K_E_NS1_11comp_targetILNS1_3genE10ELNS1_11target_archE1200ELNS1_3gpuE4ELNS1_3repE0EEENS1_30default_config_static_selectorELNS0_4arch9wavefront6targetE0EEEvSY_
; %bb.0:
	.section	.rodata,"a",@progbits
	.p2align	6, 0x0
	.amdhsa_kernel _ZN7rocprim17ROCPRIM_400000_NS6detail17trampoline_kernelINS0_13select_configILj256ELj13ELNS0_17block_load_methodE3ELS4_3ELS4_3ELNS0_20block_scan_algorithmE0ELj4294967295EEENS1_25partition_config_selectorILNS1_17partition_subalgoE3EjNS0_10empty_typeEbEEZZNS1_14partition_implILS8_3ELb0ES6_jNS0_17counting_iteratorIjlEEPS9_SE_NS0_5tupleIJPjSE_EEENSF_IJSE_SE_EEES9_SG_JZNS1_25segmented_radix_sort_implINS0_14default_configELb0EPKfPfPKlPlN2at6native12_GLOBAL__N_18offset_tEEE10hipError_tPvRmT1_PNSt15iterator_traitsISY_E10value_typeET2_T3_PNSZ_IS14_E10value_typeET4_jRbjT5_S1A_jjP12ihipStream_tbEUljE_EEESV_SW_SX_S14_S18_S1A_T6_T7_T9_mT8_S1C_bDpT10_ENKUlT_T0_E_clISt17integral_constantIbLb0EES1O_IbLb1EEEEDaS1K_S1L_EUlS1K_E_NS1_11comp_targetILNS1_3genE10ELNS1_11target_archE1200ELNS1_3gpuE4ELNS1_3repE0EEENS1_30default_config_static_selectorELNS0_4arch9wavefront6targetE0EEEvSY_
		.amdhsa_group_segment_fixed_size 0
		.amdhsa_private_segment_fixed_size 0
		.amdhsa_kernarg_size 152
		.amdhsa_user_sgpr_count 6
		.amdhsa_user_sgpr_private_segment_buffer 1
		.amdhsa_user_sgpr_dispatch_ptr 0
		.amdhsa_user_sgpr_queue_ptr 0
		.amdhsa_user_sgpr_kernarg_segment_ptr 1
		.amdhsa_user_sgpr_dispatch_id 0
		.amdhsa_user_sgpr_flat_scratch_init 0
		.amdhsa_user_sgpr_private_segment_size 0
		.amdhsa_wavefront_size32 1
		.amdhsa_uses_dynamic_stack 0
		.amdhsa_system_sgpr_private_segment_wavefront_offset 0
		.amdhsa_system_sgpr_workgroup_id_x 1
		.amdhsa_system_sgpr_workgroup_id_y 0
		.amdhsa_system_sgpr_workgroup_id_z 0
		.amdhsa_system_sgpr_workgroup_info 0
		.amdhsa_system_vgpr_workitem_id 0
		.amdhsa_next_free_vgpr 1
		.amdhsa_next_free_sgpr 1
		.amdhsa_reserve_vcc 0
		.amdhsa_reserve_flat_scratch 0
		.amdhsa_float_round_mode_32 0
		.amdhsa_float_round_mode_16_64 0
		.amdhsa_float_denorm_mode_32 3
		.amdhsa_float_denorm_mode_16_64 3
		.amdhsa_dx10_clamp 1
		.amdhsa_ieee_mode 1
		.amdhsa_fp16_overflow 0
		.amdhsa_workgroup_processor_mode 1
		.amdhsa_memory_ordered 1
		.amdhsa_forward_progress 1
		.amdhsa_shared_vgpr_count 0
		.amdhsa_exception_fp_ieee_invalid_op 0
		.amdhsa_exception_fp_denorm_src 0
		.amdhsa_exception_fp_ieee_div_zero 0
		.amdhsa_exception_fp_ieee_overflow 0
		.amdhsa_exception_fp_ieee_underflow 0
		.amdhsa_exception_fp_ieee_inexact 0
		.amdhsa_exception_int_div_zero 0
	.end_amdhsa_kernel
	.section	.text._ZN7rocprim17ROCPRIM_400000_NS6detail17trampoline_kernelINS0_13select_configILj256ELj13ELNS0_17block_load_methodE3ELS4_3ELS4_3ELNS0_20block_scan_algorithmE0ELj4294967295EEENS1_25partition_config_selectorILNS1_17partition_subalgoE3EjNS0_10empty_typeEbEEZZNS1_14partition_implILS8_3ELb0ES6_jNS0_17counting_iteratorIjlEEPS9_SE_NS0_5tupleIJPjSE_EEENSF_IJSE_SE_EEES9_SG_JZNS1_25segmented_radix_sort_implINS0_14default_configELb0EPKfPfPKlPlN2at6native12_GLOBAL__N_18offset_tEEE10hipError_tPvRmT1_PNSt15iterator_traitsISY_E10value_typeET2_T3_PNSZ_IS14_E10value_typeET4_jRbjT5_S1A_jjP12ihipStream_tbEUljE_EEESV_SW_SX_S14_S18_S1A_T6_T7_T9_mT8_S1C_bDpT10_ENKUlT_T0_E_clISt17integral_constantIbLb0EES1O_IbLb1EEEEDaS1K_S1L_EUlS1K_E_NS1_11comp_targetILNS1_3genE10ELNS1_11target_archE1200ELNS1_3gpuE4ELNS1_3repE0EEENS1_30default_config_static_selectorELNS0_4arch9wavefront6targetE0EEEvSY_,"axG",@progbits,_ZN7rocprim17ROCPRIM_400000_NS6detail17trampoline_kernelINS0_13select_configILj256ELj13ELNS0_17block_load_methodE3ELS4_3ELS4_3ELNS0_20block_scan_algorithmE0ELj4294967295EEENS1_25partition_config_selectorILNS1_17partition_subalgoE3EjNS0_10empty_typeEbEEZZNS1_14partition_implILS8_3ELb0ES6_jNS0_17counting_iteratorIjlEEPS9_SE_NS0_5tupleIJPjSE_EEENSF_IJSE_SE_EEES9_SG_JZNS1_25segmented_radix_sort_implINS0_14default_configELb0EPKfPfPKlPlN2at6native12_GLOBAL__N_18offset_tEEE10hipError_tPvRmT1_PNSt15iterator_traitsISY_E10value_typeET2_T3_PNSZ_IS14_E10value_typeET4_jRbjT5_S1A_jjP12ihipStream_tbEUljE_EEESV_SW_SX_S14_S18_S1A_T6_T7_T9_mT8_S1C_bDpT10_ENKUlT_T0_E_clISt17integral_constantIbLb0EES1O_IbLb1EEEEDaS1K_S1L_EUlS1K_E_NS1_11comp_targetILNS1_3genE10ELNS1_11target_archE1200ELNS1_3gpuE4ELNS1_3repE0EEENS1_30default_config_static_selectorELNS0_4arch9wavefront6targetE0EEEvSY_,comdat
.Lfunc_end1417:
	.size	_ZN7rocprim17ROCPRIM_400000_NS6detail17trampoline_kernelINS0_13select_configILj256ELj13ELNS0_17block_load_methodE3ELS4_3ELS4_3ELNS0_20block_scan_algorithmE0ELj4294967295EEENS1_25partition_config_selectorILNS1_17partition_subalgoE3EjNS0_10empty_typeEbEEZZNS1_14partition_implILS8_3ELb0ES6_jNS0_17counting_iteratorIjlEEPS9_SE_NS0_5tupleIJPjSE_EEENSF_IJSE_SE_EEES9_SG_JZNS1_25segmented_radix_sort_implINS0_14default_configELb0EPKfPfPKlPlN2at6native12_GLOBAL__N_18offset_tEEE10hipError_tPvRmT1_PNSt15iterator_traitsISY_E10value_typeET2_T3_PNSZ_IS14_E10value_typeET4_jRbjT5_S1A_jjP12ihipStream_tbEUljE_EEESV_SW_SX_S14_S18_S1A_T6_T7_T9_mT8_S1C_bDpT10_ENKUlT_T0_E_clISt17integral_constantIbLb0EES1O_IbLb1EEEEDaS1K_S1L_EUlS1K_E_NS1_11comp_targetILNS1_3genE10ELNS1_11target_archE1200ELNS1_3gpuE4ELNS1_3repE0EEENS1_30default_config_static_selectorELNS0_4arch9wavefront6targetE0EEEvSY_, .Lfunc_end1417-_ZN7rocprim17ROCPRIM_400000_NS6detail17trampoline_kernelINS0_13select_configILj256ELj13ELNS0_17block_load_methodE3ELS4_3ELS4_3ELNS0_20block_scan_algorithmE0ELj4294967295EEENS1_25partition_config_selectorILNS1_17partition_subalgoE3EjNS0_10empty_typeEbEEZZNS1_14partition_implILS8_3ELb0ES6_jNS0_17counting_iteratorIjlEEPS9_SE_NS0_5tupleIJPjSE_EEENSF_IJSE_SE_EEES9_SG_JZNS1_25segmented_radix_sort_implINS0_14default_configELb0EPKfPfPKlPlN2at6native12_GLOBAL__N_18offset_tEEE10hipError_tPvRmT1_PNSt15iterator_traitsISY_E10value_typeET2_T3_PNSZ_IS14_E10value_typeET4_jRbjT5_S1A_jjP12ihipStream_tbEUljE_EEESV_SW_SX_S14_S18_S1A_T6_T7_T9_mT8_S1C_bDpT10_ENKUlT_T0_E_clISt17integral_constantIbLb0EES1O_IbLb1EEEEDaS1K_S1L_EUlS1K_E_NS1_11comp_targetILNS1_3genE10ELNS1_11target_archE1200ELNS1_3gpuE4ELNS1_3repE0EEENS1_30default_config_static_selectorELNS0_4arch9wavefront6targetE0EEEvSY_
                                        ; -- End function
	.set _ZN7rocprim17ROCPRIM_400000_NS6detail17trampoline_kernelINS0_13select_configILj256ELj13ELNS0_17block_load_methodE3ELS4_3ELS4_3ELNS0_20block_scan_algorithmE0ELj4294967295EEENS1_25partition_config_selectorILNS1_17partition_subalgoE3EjNS0_10empty_typeEbEEZZNS1_14partition_implILS8_3ELb0ES6_jNS0_17counting_iteratorIjlEEPS9_SE_NS0_5tupleIJPjSE_EEENSF_IJSE_SE_EEES9_SG_JZNS1_25segmented_radix_sort_implINS0_14default_configELb0EPKfPfPKlPlN2at6native12_GLOBAL__N_18offset_tEEE10hipError_tPvRmT1_PNSt15iterator_traitsISY_E10value_typeET2_T3_PNSZ_IS14_E10value_typeET4_jRbjT5_S1A_jjP12ihipStream_tbEUljE_EEESV_SW_SX_S14_S18_S1A_T6_T7_T9_mT8_S1C_bDpT10_ENKUlT_T0_E_clISt17integral_constantIbLb0EES1O_IbLb1EEEEDaS1K_S1L_EUlS1K_E_NS1_11comp_targetILNS1_3genE10ELNS1_11target_archE1200ELNS1_3gpuE4ELNS1_3repE0EEENS1_30default_config_static_selectorELNS0_4arch9wavefront6targetE0EEEvSY_.num_vgpr, 0
	.set _ZN7rocprim17ROCPRIM_400000_NS6detail17trampoline_kernelINS0_13select_configILj256ELj13ELNS0_17block_load_methodE3ELS4_3ELS4_3ELNS0_20block_scan_algorithmE0ELj4294967295EEENS1_25partition_config_selectorILNS1_17partition_subalgoE3EjNS0_10empty_typeEbEEZZNS1_14partition_implILS8_3ELb0ES6_jNS0_17counting_iteratorIjlEEPS9_SE_NS0_5tupleIJPjSE_EEENSF_IJSE_SE_EEES9_SG_JZNS1_25segmented_radix_sort_implINS0_14default_configELb0EPKfPfPKlPlN2at6native12_GLOBAL__N_18offset_tEEE10hipError_tPvRmT1_PNSt15iterator_traitsISY_E10value_typeET2_T3_PNSZ_IS14_E10value_typeET4_jRbjT5_S1A_jjP12ihipStream_tbEUljE_EEESV_SW_SX_S14_S18_S1A_T6_T7_T9_mT8_S1C_bDpT10_ENKUlT_T0_E_clISt17integral_constantIbLb0EES1O_IbLb1EEEEDaS1K_S1L_EUlS1K_E_NS1_11comp_targetILNS1_3genE10ELNS1_11target_archE1200ELNS1_3gpuE4ELNS1_3repE0EEENS1_30default_config_static_selectorELNS0_4arch9wavefront6targetE0EEEvSY_.num_agpr, 0
	.set _ZN7rocprim17ROCPRIM_400000_NS6detail17trampoline_kernelINS0_13select_configILj256ELj13ELNS0_17block_load_methodE3ELS4_3ELS4_3ELNS0_20block_scan_algorithmE0ELj4294967295EEENS1_25partition_config_selectorILNS1_17partition_subalgoE3EjNS0_10empty_typeEbEEZZNS1_14partition_implILS8_3ELb0ES6_jNS0_17counting_iteratorIjlEEPS9_SE_NS0_5tupleIJPjSE_EEENSF_IJSE_SE_EEES9_SG_JZNS1_25segmented_radix_sort_implINS0_14default_configELb0EPKfPfPKlPlN2at6native12_GLOBAL__N_18offset_tEEE10hipError_tPvRmT1_PNSt15iterator_traitsISY_E10value_typeET2_T3_PNSZ_IS14_E10value_typeET4_jRbjT5_S1A_jjP12ihipStream_tbEUljE_EEESV_SW_SX_S14_S18_S1A_T6_T7_T9_mT8_S1C_bDpT10_ENKUlT_T0_E_clISt17integral_constantIbLb0EES1O_IbLb1EEEEDaS1K_S1L_EUlS1K_E_NS1_11comp_targetILNS1_3genE10ELNS1_11target_archE1200ELNS1_3gpuE4ELNS1_3repE0EEENS1_30default_config_static_selectorELNS0_4arch9wavefront6targetE0EEEvSY_.numbered_sgpr, 0
	.set _ZN7rocprim17ROCPRIM_400000_NS6detail17trampoline_kernelINS0_13select_configILj256ELj13ELNS0_17block_load_methodE3ELS4_3ELS4_3ELNS0_20block_scan_algorithmE0ELj4294967295EEENS1_25partition_config_selectorILNS1_17partition_subalgoE3EjNS0_10empty_typeEbEEZZNS1_14partition_implILS8_3ELb0ES6_jNS0_17counting_iteratorIjlEEPS9_SE_NS0_5tupleIJPjSE_EEENSF_IJSE_SE_EEES9_SG_JZNS1_25segmented_radix_sort_implINS0_14default_configELb0EPKfPfPKlPlN2at6native12_GLOBAL__N_18offset_tEEE10hipError_tPvRmT1_PNSt15iterator_traitsISY_E10value_typeET2_T3_PNSZ_IS14_E10value_typeET4_jRbjT5_S1A_jjP12ihipStream_tbEUljE_EEESV_SW_SX_S14_S18_S1A_T6_T7_T9_mT8_S1C_bDpT10_ENKUlT_T0_E_clISt17integral_constantIbLb0EES1O_IbLb1EEEEDaS1K_S1L_EUlS1K_E_NS1_11comp_targetILNS1_3genE10ELNS1_11target_archE1200ELNS1_3gpuE4ELNS1_3repE0EEENS1_30default_config_static_selectorELNS0_4arch9wavefront6targetE0EEEvSY_.num_named_barrier, 0
	.set _ZN7rocprim17ROCPRIM_400000_NS6detail17trampoline_kernelINS0_13select_configILj256ELj13ELNS0_17block_load_methodE3ELS4_3ELS4_3ELNS0_20block_scan_algorithmE0ELj4294967295EEENS1_25partition_config_selectorILNS1_17partition_subalgoE3EjNS0_10empty_typeEbEEZZNS1_14partition_implILS8_3ELb0ES6_jNS0_17counting_iteratorIjlEEPS9_SE_NS0_5tupleIJPjSE_EEENSF_IJSE_SE_EEES9_SG_JZNS1_25segmented_radix_sort_implINS0_14default_configELb0EPKfPfPKlPlN2at6native12_GLOBAL__N_18offset_tEEE10hipError_tPvRmT1_PNSt15iterator_traitsISY_E10value_typeET2_T3_PNSZ_IS14_E10value_typeET4_jRbjT5_S1A_jjP12ihipStream_tbEUljE_EEESV_SW_SX_S14_S18_S1A_T6_T7_T9_mT8_S1C_bDpT10_ENKUlT_T0_E_clISt17integral_constantIbLb0EES1O_IbLb1EEEEDaS1K_S1L_EUlS1K_E_NS1_11comp_targetILNS1_3genE10ELNS1_11target_archE1200ELNS1_3gpuE4ELNS1_3repE0EEENS1_30default_config_static_selectorELNS0_4arch9wavefront6targetE0EEEvSY_.private_seg_size, 0
	.set _ZN7rocprim17ROCPRIM_400000_NS6detail17trampoline_kernelINS0_13select_configILj256ELj13ELNS0_17block_load_methodE3ELS4_3ELS4_3ELNS0_20block_scan_algorithmE0ELj4294967295EEENS1_25partition_config_selectorILNS1_17partition_subalgoE3EjNS0_10empty_typeEbEEZZNS1_14partition_implILS8_3ELb0ES6_jNS0_17counting_iteratorIjlEEPS9_SE_NS0_5tupleIJPjSE_EEENSF_IJSE_SE_EEES9_SG_JZNS1_25segmented_radix_sort_implINS0_14default_configELb0EPKfPfPKlPlN2at6native12_GLOBAL__N_18offset_tEEE10hipError_tPvRmT1_PNSt15iterator_traitsISY_E10value_typeET2_T3_PNSZ_IS14_E10value_typeET4_jRbjT5_S1A_jjP12ihipStream_tbEUljE_EEESV_SW_SX_S14_S18_S1A_T6_T7_T9_mT8_S1C_bDpT10_ENKUlT_T0_E_clISt17integral_constantIbLb0EES1O_IbLb1EEEEDaS1K_S1L_EUlS1K_E_NS1_11comp_targetILNS1_3genE10ELNS1_11target_archE1200ELNS1_3gpuE4ELNS1_3repE0EEENS1_30default_config_static_selectorELNS0_4arch9wavefront6targetE0EEEvSY_.uses_vcc, 0
	.set _ZN7rocprim17ROCPRIM_400000_NS6detail17trampoline_kernelINS0_13select_configILj256ELj13ELNS0_17block_load_methodE3ELS4_3ELS4_3ELNS0_20block_scan_algorithmE0ELj4294967295EEENS1_25partition_config_selectorILNS1_17partition_subalgoE3EjNS0_10empty_typeEbEEZZNS1_14partition_implILS8_3ELb0ES6_jNS0_17counting_iteratorIjlEEPS9_SE_NS0_5tupleIJPjSE_EEENSF_IJSE_SE_EEES9_SG_JZNS1_25segmented_radix_sort_implINS0_14default_configELb0EPKfPfPKlPlN2at6native12_GLOBAL__N_18offset_tEEE10hipError_tPvRmT1_PNSt15iterator_traitsISY_E10value_typeET2_T3_PNSZ_IS14_E10value_typeET4_jRbjT5_S1A_jjP12ihipStream_tbEUljE_EEESV_SW_SX_S14_S18_S1A_T6_T7_T9_mT8_S1C_bDpT10_ENKUlT_T0_E_clISt17integral_constantIbLb0EES1O_IbLb1EEEEDaS1K_S1L_EUlS1K_E_NS1_11comp_targetILNS1_3genE10ELNS1_11target_archE1200ELNS1_3gpuE4ELNS1_3repE0EEENS1_30default_config_static_selectorELNS0_4arch9wavefront6targetE0EEEvSY_.uses_flat_scratch, 0
	.set _ZN7rocprim17ROCPRIM_400000_NS6detail17trampoline_kernelINS0_13select_configILj256ELj13ELNS0_17block_load_methodE3ELS4_3ELS4_3ELNS0_20block_scan_algorithmE0ELj4294967295EEENS1_25partition_config_selectorILNS1_17partition_subalgoE3EjNS0_10empty_typeEbEEZZNS1_14partition_implILS8_3ELb0ES6_jNS0_17counting_iteratorIjlEEPS9_SE_NS0_5tupleIJPjSE_EEENSF_IJSE_SE_EEES9_SG_JZNS1_25segmented_radix_sort_implINS0_14default_configELb0EPKfPfPKlPlN2at6native12_GLOBAL__N_18offset_tEEE10hipError_tPvRmT1_PNSt15iterator_traitsISY_E10value_typeET2_T3_PNSZ_IS14_E10value_typeET4_jRbjT5_S1A_jjP12ihipStream_tbEUljE_EEESV_SW_SX_S14_S18_S1A_T6_T7_T9_mT8_S1C_bDpT10_ENKUlT_T0_E_clISt17integral_constantIbLb0EES1O_IbLb1EEEEDaS1K_S1L_EUlS1K_E_NS1_11comp_targetILNS1_3genE10ELNS1_11target_archE1200ELNS1_3gpuE4ELNS1_3repE0EEENS1_30default_config_static_selectorELNS0_4arch9wavefront6targetE0EEEvSY_.has_dyn_sized_stack, 0
	.set _ZN7rocprim17ROCPRIM_400000_NS6detail17trampoline_kernelINS0_13select_configILj256ELj13ELNS0_17block_load_methodE3ELS4_3ELS4_3ELNS0_20block_scan_algorithmE0ELj4294967295EEENS1_25partition_config_selectorILNS1_17partition_subalgoE3EjNS0_10empty_typeEbEEZZNS1_14partition_implILS8_3ELb0ES6_jNS0_17counting_iteratorIjlEEPS9_SE_NS0_5tupleIJPjSE_EEENSF_IJSE_SE_EEES9_SG_JZNS1_25segmented_radix_sort_implINS0_14default_configELb0EPKfPfPKlPlN2at6native12_GLOBAL__N_18offset_tEEE10hipError_tPvRmT1_PNSt15iterator_traitsISY_E10value_typeET2_T3_PNSZ_IS14_E10value_typeET4_jRbjT5_S1A_jjP12ihipStream_tbEUljE_EEESV_SW_SX_S14_S18_S1A_T6_T7_T9_mT8_S1C_bDpT10_ENKUlT_T0_E_clISt17integral_constantIbLb0EES1O_IbLb1EEEEDaS1K_S1L_EUlS1K_E_NS1_11comp_targetILNS1_3genE10ELNS1_11target_archE1200ELNS1_3gpuE4ELNS1_3repE0EEENS1_30default_config_static_selectorELNS0_4arch9wavefront6targetE0EEEvSY_.has_recursion, 0
	.set _ZN7rocprim17ROCPRIM_400000_NS6detail17trampoline_kernelINS0_13select_configILj256ELj13ELNS0_17block_load_methodE3ELS4_3ELS4_3ELNS0_20block_scan_algorithmE0ELj4294967295EEENS1_25partition_config_selectorILNS1_17partition_subalgoE3EjNS0_10empty_typeEbEEZZNS1_14partition_implILS8_3ELb0ES6_jNS0_17counting_iteratorIjlEEPS9_SE_NS0_5tupleIJPjSE_EEENSF_IJSE_SE_EEES9_SG_JZNS1_25segmented_radix_sort_implINS0_14default_configELb0EPKfPfPKlPlN2at6native12_GLOBAL__N_18offset_tEEE10hipError_tPvRmT1_PNSt15iterator_traitsISY_E10value_typeET2_T3_PNSZ_IS14_E10value_typeET4_jRbjT5_S1A_jjP12ihipStream_tbEUljE_EEESV_SW_SX_S14_S18_S1A_T6_T7_T9_mT8_S1C_bDpT10_ENKUlT_T0_E_clISt17integral_constantIbLb0EES1O_IbLb1EEEEDaS1K_S1L_EUlS1K_E_NS1_11comp_targetILNS1_3genE10ELNS1_11target_archE1200ELNS1_3gpuE4ELNS1_3repE0EEENS1_30default_config_static_selectorELNS0_4arch9wavefront6targetE0EEEvSY_.has_indirect_call, 0
	.section	.AMDGPU.csdata,"",@progbits
; Kernel info:
; codeLenInByte = 0
; TotalNumSgprs: 0
; NumVgprs: 0
; ScratchSize: 0
; MemoryBound: 0
; FloatMode: 240
; IeeeMode: 1
; LDSByteSize: 0 bytes/workgroup (compile time only)
; SGPRBlocks: 0
; VGPRBlocks: 0
; NumSGPRsForWavesPerEU: 1
; NumVGPRsForWavesPerEU: 1
; Occupancy: 16
; WaveLimiterHint : 0
; COMPUTE_PGM_RSRC2:SCRATCH_EN: 0
; COMPUTE_PGM_RSRC2:USER_SGPR: 6
; COMPUTE_PGM_RSRC2:TRAP_HANDLER: 0
; COMPUTE_PGM_RSRC2:TGID_X_EN: 1
; COMPUTE_PGM_RSRC2:TGID_Y_EN: 0
; COMPUTE_PGM_RSRC2:TGID_Z_EN: 0
; COMPUTE_PGM_RSRC2:TIDIG_COMP_CNT: 0
	.section	.text._ZN7rocprim17ROCPRIM_400000_NS6detail17trampoline_kernelINS0_13select_configILj256ELj13ELNS0_17block_load_methodE3ELS4_3ELS4_3ELNS0_20block_scan_algorithmE0ELj4294967295EEENS1_25partition_config_selectorILNS1_17partition_subalgoE3EjNS0_10empty_typeEbEEZZNS1_14partition_implILS8_3ELb0ES6_jNS0_17counting_iteratorIjlEEPS9_SE_NS0_5tupleIJPjSE_EEENSF_IJSE_SE_EEES9_SG_JZNS1_25segmented_radix_sort_implINS0_14default_configELb0EPKfPfPKlPlN2at6native12_GLOBAL__N_18offset_tEEE10hipError_tPvRmT1_PNSt15iterator_traitsISY_E10value_typeET2_T3_PNSZ_IS14_E10value_typeET4_jRbjT5_S1A_jjP12ihipStream_tbEUljE_EEESV_SW_SX_S14_S18_S1A_T6_T7_T9_mT8_S1C_bDpT10_ENKUlT_T0_E_clISt17integral_constantIbLb0EES1O_IbLb1EEEEDaS1K_S1L_EUlS1K_E_NS1_11comp_targetILNS1_3genE9ELNS1_11target_archE1100ELNS1_3gpuE3ELNS1_3repE0EEENS1_30default_config_static_selectorELNS0_4arch9wavefront6targetE0EEEvSY_,"axG",@progbits,_ZN7rocprim17ROCPRIM_400000_NS6detail17trampoline_kernelINS0_13select_configILj256ELj13ELNS0_17block_load_methodE3ELS4_3ELS4_3ELNS0_20block_scan_algorithmE0ELj4294967295EEENS1_25partition_config_selectorILNS1_17partition_subalgoE3EjNS0_10empty_typeEbEEZZNS1_14partition_implILS8_3ELb0ES6_jNS0_17counting_iteratorIjlEEPS9_SE_NS0_5tupleIJPjSE_EEENSF_IJSE_SE_EEES9_SG_JZNS1_25segmented_radix_sort_implINS0_14default_configELb0EPKfPfPKlPlN2at6native12_GLOBAL__N_18offset_tEEE10hipError_tPvRmT1_PNSt15iterator_traitsISY_E10value_typeET2_T3_PNSZ_IS14_E10value_typeET4_jRbjT5_S1A_jjP12ihipStream_tbEUljE_EEESV_SW_SX_S14_S18_S1A_T6_T7_T9_mT8_S1C_bDpT10_ENKUlT_T0_E_clISt17integral_constantIbLb0EES1O_IbLb1EEEEDaS1K_S1L_EUlS1K_E_NS1_11comp_targetILNS1_3genE9ELNS1_11target_archE1100ELNS1_3gpuE3ELNS1_3repE0EEENS1_30default_config_static_selectorELNS0_4arch9wavefront6targetE0EEEvSY_,comdat
	.globl	_ZN7rocprim17ROCPRIM_400000_NS6detail17trampoline_kernelINS0_13select_configILj256ELj13ELNS0_17block_load_methodE3ELS4_3ELS4_3ELNS0_20block_scan_algorithmE0ELj4294967295EEENS1_25partition_config_selectorILNS1_17partition_subalgoE3EjNS0_10empty_typeEbEEZZNS1_14partition_implILS8_3ELb0ES6_jNS0_17counting_iteratorIjlEEPS9_SE_NS0_5tupleIJPjSE_EEENSF_IJSE_SE_EEES9_SG_JZNS1_25segmented_radix_sort_implINS0_14default_configELb0EPKfPfPKlPlN2at6native12_GLOBAL__N_18offset_tEEE10hipError_tPvRmT1_PNSt15iterator_traitsISY_E10value_typeET2_T3_PNSZ_IS14_E10value_typeET4_jRbjT5_S1A_jjP12ihipStream_tbEUljE_EEESV_SW_SX_S14_S18_S1A_T6_T7_T9_mT8_S1C_bDpT10_ENKUlT_T0_E_clISt17integral_constantIbLb0EES1O_IbLb1EEEEDaS1K_S1L_EUlS1K_E_NS1_11comp_targetILNS1_3genE9ELNS1_11target_archE1100ELNS1_3gpuE3ELNS1_3repE0EEENS1_30default_config_static_selectorELNS0_4arch9wavefront6targetE0EEEvSY_ ; -- Begin function _ZN7rocprim17ROCPRIM_400000_NS6detail17trampoline_kernelINS0_13select_configILj256ELj13ELNS0_17block_load_methodE3ELS4_3ELS4_3ELNS0_20block_scan_algorithmE0ELj4294967295EEENS1_25partition_config_selectorILNS1_17partition_subalgoE3EjNS0_10empty_typeEbEEZZNS1_14partition_implILS8_3ELb0ES6_jNS0_17counting_iteratorIjlEEPS9_SE_NS0_5tupleIJPjSE_EEENSF_IJSE_SE_EEES9_SG_JZNS1_25segmented_radix_sort_implINS0_14default_configELb0EPKfPfPKlPlN2at6native12_GLOBAL__N_18offset_tEEE10hipError_tPvRmT1_PNSt15iterator_traitsISY_E10value_typeET2_T3_PNSZ_IS14_E10value_typeET4_jRbjT5_S1A_jjP12ihipStream_tbEUljE_EEESV_SW_SX_S14_S18_S1A_T6_T7_T9_mT8_S1C_bDpT10_ENKUlT_T0_E_clISt17integral_constantIbLb0EES1O_IbLb1EEEEDaS1K_S1L_EUlS1K_E_NS1_11comp_targetILNS1_3genE9ELNS1_11target_archE1100ELNS1_3gpuE3ELNS1_3repE0EEENS1_30default_config_static_selectorELNS0_4arch9wavefront6targetE0EEEvSY_
	.p2align	8
	.type	_ZN7rocprim17ROCPRIM_400000_NS6detail17trampoline_kernelINS0_13select_configILj256ELj13ELNS0_17block_load_methodE3ELS4_3ELS4_3ELNS0_20block_scan_algorithmE0ELj4294967295EEENS1_25partition_config_selectorILNS1_17partition_subalgoE3EjNS0_10empty_typeEbEEZZNS1_14partition_implILS8_3ELb0ES6_jNS0_17counting_iteratorIjlEEPS9_SE_NS0_5tupleIJPjSE_EEENSF_IJSE_SE_EEES9_SG_JZNS1_25segmented_radix_sort_implINS0_14default_configELb0EPKfPfPKlPlN2at6native12_GLOBAL__N_18offset_tEEE10hipError_tPvRmT1_PNSt15iterator_traitsISY_E10value_typeET2_T3_PNSZ_IS14_E10value_typeET4_jRbjT5_S1A_jjP12ihipStream_tbEUljE_EEESV_SW_SX_S14_S18_S1A_T6_T7_T9_mT8_S1C_bDpT10_ENKUlT_T0_E_clISt17integral_constantIbLb0EES1O_IbLb1EEEEDaS1K_S1L_EUlS1K_E_NS1_11comp_targetILNS1_3genE9ELNS1_11target_archE1100ELNS1_3gpuE3ELNS1_3repE0EEENS1_30default_config_static_selectorELNS0_4arch9wavefront6targetE0EEEvSY_,@function
_ZN7rocprim17ROCPRIM_400000_NS6detail17trampoline_kernelINS0_13select_configILj256ELj13ELNS0_17block_load_methodE3ELS4_3ELS4_3ELNS0_20block_scan_algorithmE0ELj4294967295EEENS1_25partition_config_selectorILNS1_17partition_subalgoE3EjNS0_10empty_typeEbEEZZNS1_14partition_implILS8_3ELb0ES6_jNS0_17counting_iteratorIjlEEPS9_SE_NS0_5tupleIJPjSE_EEENSF_IJSE_SE_EEES9_SG_JZNS1_25segmented_radix_sort_implINS0_14default_configELb0EPKfPfPKlPlN2at6native12_GLOBAL__N_18offset_tEEE10hipError_tPvRmT1_PNSt15iterator_traitsISY_E10value_typeET2_T3_PNSZ_IS14_E10value_typeET4_jRbjT5_S1A_jjP12ihipStream_tbEUljE_EEESV_SW_SX_S14_S18_S1A_T6_T7_T9_mT8_S1C_bDpT10_ENKUlT_T0_E_clISt17integral_constantIbLb0EES1O_IbLb1EEEEDaS1K_S1L_EUlS1K_E_NS1_11comp_targetILNS1_3genE9ELNS1_11target_archE1100ELNS1_3gpuE3ELNS1_3repE0EEENS1_30default_config_static_selectorELNS0_4arch9wavefront6targetE0EEEvSY_: ; @_ZN7rocprim17ROCPRIM_400000_NS6detail17trampoline_kernelINS0_13select_configILj256ELj13ELNS0_17block_load_methodE3ELS4_3ELS4_3ELNS0_20block_scan_algorithmE0ELj4294967295EEENS1_25partition_config_selectorILNS1_17partition_subalgoE3EjNS0_10empty_typeEbEEZZNS1_14partition_implILS8_3ELb0ES6_jNS0_17counting_iteratorIjlEEPS9_SE_NS0_5tupleIJPjSE_EEENSF_IJSE_SE_EEES9_SG_JZNS1_25segmented_radix_sort_implINS0_14default_configELb0EPKfPfPKlPlN2at6native12_GLOBAL__N_18offset_tEEE10hipError_tPvRmT1_PNSt15iterator_traitsISY_E10value_typeET2_T3_PNSZ_IS14_E10value_typeET4_jRbjT5_S1A_jjP12ihipStream_tbEUljE_EEESV_SW_SX_S14_S18_S1A_T6_T7_T9_mT8_S1C_bDpT10_ENKUlT_T0_E_clISt17integral_constantIbLb0EES1O_IbLb1EEEEDaS1K_S1L_EUlS1K_E_NS1_11comp_targetILNS1_3genE9ELNS1_11target_archE1100ELNS1_3gpuE3ELNS1_3repE0EEENS1_30default_config_static_selectorELNS0_4arch9wavefront6targetE0EEEvSY_
; %bb.0:
	.section	.rodata,"a",@progbits
	.p2align	6, 0x0
	.amdhsa_kernel _ZN7rocprim17ROCPRIM_400000_NS6detail17trampoline_kernelINS0_13select_configILj256ELj13ELNS0_17block_load_methodE3ELS4_3ELS4_3ELNS0_20block_scan_algorithmE0ELj4294967295EEENS1_25partition_config_selectorILNS1_17partition_subalgoE3EjNS0_10empty_typeEbEEZZNS1_14partition_implILS8_3ELb0ES6_jNS0_17counting_iteratorIjlEEPS9_SE_NS0_5tupleIJPjSE_EEENSF_IJSE_SE_EEES9_SG_JZNS1_25segmented_radix_sort_implINS0_14default_configELb0EPKfPfPKlPlN2at6native12_GLOBAL__N_18offset_tEEE10hipError_tPvRmT1_PNSt15iterator_traitsISY_E10value_typeET2_T3_PNSZ_IS14_E10value_typeET4_jRbjT5_S1A_jjP12ihipStream_tbEUljE_EEESV_SW_SX_S14_S18_S1A_T6_T7_T9_mT8_S1C_bDpT10_ENKUlT_T0_E_clISt17integral_constantIbLb0EES1O_IbLb1EEEEDaS1K_S1L_EUlS1K_E_NS1_11comp_targetILNS1_3genE9ELNS1_11target_archE1100ELNS1_3gpuE3ELNS1_3repE0EEENS1_30default_config_static_selectorELNS0_4arch9wavefront6targetE0EEEvSY_
		.amdhsa_group_segment_fixed_size 0
		.amdhsa_private_segment_fixed_size 0
		.amdhsa_kernarg_size 152
		.amdhsa_user_sgpr_count 6
		.amdhsa_user_sgpr_private_segment_buffer 1
		.amdhsa_user_sgpr_dispatch_ptr 0
		.amdhsa_user_sgpr_queue_ptr 0
		.amdhsa_user_sgpr_kernarg_segment_ptr 1
		.amdhsa_user_sgpr_dispatch_id 0
		.amdhsa_user_sgpr_flat_scratch_init 0
		.amdhsa_user_sgpr_private_segment_size 0
		.amdhsa_wavefront_size32 1
		.amdhsa_uses_dynamic_stack 0
		.amdhsa_system_sgpr_private_segment_wavefront_offset 0
		.amdhsa_system_sgpr_workgroup_id_x 1
		.amdhsa_system_sgpr_workgroup_id_y 0
		.amdhsa_system_sgpr_workgroup_id_z 0
		.amdhsa_system_sgpr_workgroup_info 0
		.amdhsa_system_vgpr_workitem_id 0
		.amdhsa_next_free_vgpr 1
		.amdhsa_next_free_sgpr 1
		.amdhsa_reserve_vcc 0
		.amdhsa_reserve_flat_scratch 0
		.amdhsa_float_round_mode_32 0
		.amdhsa_float_round_mode_16_64 0
		.amdhsa_float_denorm_mode_32 3
		.amdhsa_float_denorm_mode_16_64 3
		.amdhsa_dx10_clamp 1
		.amdhsa_ieee_mode 1
		.amdhsa_fp16_overflow 0
		.amdhsa_workgroup_processor_mode 1
		.amdhsa_memory_ordered 1
		.amdhsa_forward_progress 1
		.amdhsa_shared_vgpr_count 0
		.amdhsa_exception_fp_ieee_invalid_op 0
		.amdhsa_exception_fp_denorm_src 0
		.amdhsa_exception_fp_ieee_div_zero 0
		.amdhsa_exception_fp_ieee_overflow 0
		.amdhsa_exception_fp_ieee_underflow 0
		.amdhsa_exception_fp_ieee_inexact 0
		.amdhsa_exception_int_div_zero 0
	.end_amdhsa_kernel
	.section	.text._ZN7rocprim17ROCPRIM_400000_NS6detail17trampoline_kernelINS0_13select_configILj256ELj13ELNS0_17block_load_methodE3ELS4_3ELS4_3ELNS0_20block_scan_algorithmE0ELj4294967295EEENS1_25partition_config_selectorILNS1_17partition_subalgoE3EjNS0_10empty_typeEbEEZZNS1_14partition_implILS8_3ELb0ES6_jNS0_17counting_iteratorIjlEEPS9_SE_NS0_5tupleIJPjSE_EEENSF_IJSE_SE_EEES9_SG_JZNS1_25segmented_radix_sort_implINS0_14default_configELb0EPKfPfPKlPlN2at6native12_GLOBAL__N_18offset_tEEE10hipError_tPvRmT1_PNSt15iterator_traitsISY_E10value_typeET2_T3_PNSZ_IS14_E10value_typeET4_jRbjT5_S1A_jjP12ihipStream_tbEUljE_EEESV_SW_SX_S14_S18_S1A_T6_T7_T9_mT8_S1C_bDpT10_ENKUlT_T0_E_clISt17integral_constantIbLb0EES1O_IbLb1EEEEDaS1K_S1L_EUlS1K_E_NS1_11comp_targetILNS1_3genE9ELNS1_11target_archE1100ELNS1_3gpuE3ELNS1_3repE0EEENS1_30default_config_static_selectorELNS0_4arch9wavefront6targetE0EEEvSY_,"axG",@progbits,_ZN7rocprim17ROCPRIM_400000_NS6detail17trampoline_kernelINS0_13select_configILj256ELj13ELNS0_17block_load_methodE3ELS4_3ELS4_3ELNS0_20block_scan_algorithmE0ELj4294967295EEENS1_25partition_config_selectorILNS1_17partition_subalgoE3EjNS0_10empty_typeEbEEZZNS1_14partition_implILS8_3ELb0ES6_jNS0_17counting_iteratorIjlEEPS9_SE_NS0_5tupleIJPjSE_EEENSF_IJSE_SE_EEES9_SG_JZNS1_25segmented_radix_sort_implINS0_14default_configELb0EPKfPfPKlPlN2at6native12_GLOBAL__N_18offset_tEEE10hipError_tPvRmT1_PNSt15iterator_traitsISY_E10value_typeET2_T3_PNSZ_IS14_E10value_typeET4_jRbjT5_S1A_jjP12ihipStream_tbEUljE_EEESV_SW_SX_S14_S18_S1A_T6_T7_T9_mT8_S1C_bDpT10_ENKUlT_T0_E_clISt17integral_constantIbLb0EES1O_IbLb1EEEEDaS1K_S1L_EUlS1K_E_NS1_11comp_targetILNS1_3genE9ELNS1_11target_archE1100ELNS1_3gpuE3ELNS1_3repE0EEENS1_30default_config_static_selectorELNS0_4arch9wavefront6targetE0EEEvSY_,comdat
.Lfunc_end1418:
	.size	_ZN7rocprim17ROCPRIM_400000_NS6detail17trampoline_kernelINS0_13select_configILj256ELj13ELNS0_17block_load_methodE3ELS4_3ELS4_3ELNS0_20block_scan_algorithmE0ELj4294967295EEENS1_25partition_config_selectorILNS1_17partition_subalgoE3EjNS0_10empty_typeEbEEZZNS1_14partition_implILS8_3ELb0ES6_jNS0_17counting_iteratorIjlEEPS9_SE_NS0_5tupleIJPjSE_EEENSF_IJSE_SE_EEES9_SG_JZNS1_25segmented_radix_sort_implINS0_14default_configELb0EPKfPfPKlPlN2at6native12_GLOBAL__N_18offset_tEEE10hipError_tPvRmT1_PNSt15iterator_traitsISY_E10value_typeET2_T3_PNSZ_IS14_E10value_typeET4_jRbjT5_S1A_jjP12ihipStream_tbEUljE_EEESV_SW_SX_S14_S18_S1A_T6_T7_T9_mT8_S1C_bDpT10_ENKUlT_T0_E_clISt17integral_constantIbLb0EES1O_IbLb1EEEEDaS1K_S1L_EUlS1K_E_NS1_11comp_targetILNS1_3genE9ELNS1_11target_archE1100ELNS1_3gpuE3ELNS1_3repE0EEENS1_30default_config_static_selectorELNS0_4arch9wavefront6targetE0EEEvSY_, .Lfunc_end1418-_ZN7rocprim17ROCPRIM_400000_NS6detail17trampoline_kernelINS0_13select_configILj256ELj13ELNS0_17block_load_methodE3ELS4_3ELS4_3ELNS0_20block_scan_algorithmE0ELj4294967295EEENS1_25partition_config_selectorILNS1_17partition_subalgoE3EjNS0_10empty_typeEbEEZZNS1_14partition_implILS8_3ELb0ES6_jNS0_17counting_iteratorIjlEEPS9_SE_NS0_5tupleIJPjSE_EEENSF_IJSE_SE_EEES9_SG_JZNS1_25segmented_radix_sort_implINS0_14default_configELb0EPKfPfPKlPlN2at6native12_GLOBAL__N_18offset_tEEE10hipError_tPvRmT1_PNSt15iterator_traitsISY_E10value_typeET2_T3_PNSZ_IS14_E10value_typeET4_jRbjT5_S1A_jjP12ihipStream_tbEUljE_EEESV_SW_SX_S14_S18_S1A_T6_T7_T9_mT8_S1C_bDpT10_ENKUlT_T0_E_clISt17integral_constantIbLb0EES1O_IbLb1EEEEDaS1K_S1L_EUlS1K_E_NS1_11comp_targetILNS1_3genE9ELNS1_11target_archE1100ELNS1_3gpuE3ELNS1_3repE0EEENS1_30default_config_static_selectorELNS0_4arch9wavefront6targetE0EEEvSY_
                                        ; -- End function
	.set _ZN7rocprim17ROCPRIM_400000_NS6detail17trampoline_kernelINS0_13select_configILj256ELj13ELNS0_17block_load_methodE3ELS4_3ELS4_3ELNS0_20block_scan_algorithmE0ELj4294967295EEENS1_25partition_config_selectorILNS1_17partition_subalgoE3EjNS0_10empty_typeEbEEZZNS1_14partition_implILS8_3ELb0ES6_jNS0_17counting_iteratorIjlEEPS9_SE_NS0_5tupleIJPjSE_EEENSF_IJSE_SE_EEES9_SG_JZNS1_25segmented_radix_sort_implINS0_14default_configELb0EPKfPfPKlPlN2at6native12_GLOBAL__N_18offset_tEEE10hipError_tPvRmT1_PNSt15iterator_traitsISY_E10value_typeET2_T3_PNSZ_IS14_E10value_typeET4_jRbjT5_S1A_jjP12ihipStream_tbEUljE_EEESV_SW_SX_S14_S18_S1A_T6_T7_T9_mT8_S1C_bDpT10_ENKUlT_T0_E_clISt17integral_constantIbLb0EES1O_IbLb1EEEEDaS1K_S1L_EUlS1K_E_NS1_11comp_targetILNS1_3genE9ELNS1_11target_archE1100ELNS1_3gpuE3ELNS1_3repE0EEENS1_30default_config_static_selectorELNS0_4arch9wavefront6targetE0EEEvSY_.num_vgpr, 0
	.set _ZN7rocprim17ROCPRIM_400000_NS6detail17trampoline_kernelINS0_13select_configILj256ELj13ELNS0_17block_load_methodE3ELS4_3ELS4_3ELNS0_20block_scan_algorithmE0ELj4294967295EEENS1_25partition_config_selectorILNS1_17partition_subalgoE3EjNS0_10empty_typeEbEEZZNS1_14partition_implILS8_3ELb0ES6_jNS0_17counting_iteratorIjlEEPS9_SE_NS0_5tupleIJPjSE_EEENSF_IJSE_SE_EEES9_SG_JZNS1_25segmented_radix_sort_implINS0_14default_configELb0EPKfPfPKlPlN2at6native12_GLOBAL__N_18offset_tEEE10hipError_tPvRmT1_PNSt15iterator_traitsISY_E10value_typeET2_T3_PNSZ_IS14_E10value_typeET4_jRbjT5_S1A_jjP12ihipStream_tbEUljE_EEESV_SW_SX_S14_S18_S1A_T6_T7_T9_mT8_S1C_bDpT10_ENKUlT_T0_E_clISt17integral_constantIbLb0EES1O_IbLb1EEEEDaS1K_S1L_EUlS1K_E_NS1_11comp_targetILNS1_3genE9ELNS1_11target_archE1100ELNS1_3gpuE3ELNS1_3repE0EEENS1_30default_config_static_selectorELNS0_4arch9wavefront6targetE0EEEvSY_.num_agpr, 0
	.set _ZN7rocprim17ROCPRIM_400000_NS6detail17trampoline_kernelINS0_13select_configILj256ELj13ELNS0_17block_load_methodE3ELS4_3ELS4_3ELNS0_20block_scan_algorithmE0ELj4294967295EEENS1_25partition_config_selectorILNS1_17partition_subalgoE3EjNS0_10empty_typeEbEEZZNS1_14partition_implILS8_3ELb0ES6_jNS0_17counting_iteratorIjlEEPS9_SE_NS0_5tupleIJPjSE_EEENSF_IJSE_SE_EEES9_SG_JZNS1_25segmented_radix_sort_implINS0_14default_configELb0EPKfPfPKlPlN2at6native12_GLOBAL__N_18offset_tEEE10hipError_tPvRmT1_PNSt15iterator_traitsISY_E10value_typeET2_T3_PNSZ_IS14_E10value_typeET4_jRbjT5_S1A_jjP12ihipStream_tbEUljE_EEESV_SW_SX_S14_S18_S1A_T6_T7_T9_mT8_S1C_bDpT10_ENKUlT_T0_E_clISt17integral_constantIbLb0EES1O_IbLb1EEEEDaS1K_S1L_EUlS1K_E_NS1_11comp_targetILNS1_3genE9ELNS1_11target_archE1100ELNS1_3gpuE3ELNS1_3repE0EEENS1_30default_config_static_selectorELNS0_4arch9wavefront6targetE0EEEvSY_.numbered_sgpr, 0
	.set _ZN7rocprim17ROCPRIM_400000_NS6detail17trampoline_kernelINS0_13select_configILj256ELj13ELNS0_17block_load_methodE3ELS4_3ELS4_3ELNS0_20block_scan_algorithmE0ELj4294967295EEENS1_25partition_config_selectorILNS1_17partition_subalgoE3EjNS0_10empty_typeEbEEZZNS1_14partition_implILS8_3ELb0ES6_jNS0_17counting_iteratorIjlEEPS9_SE_NS0_5tupleIJPjSE_EEENSF_IJSE_SE_EEES9_SG_JZNS1_25segmented_radix_sort_implINS0_14default_configELb0EPKfPfPKlPlN2at6native12_GLOBAL__N_18offset_tEEE10hipError_tPvRmT1_PNSt15iterator_traitsISY_E10value_typeET2_T3_PNSZ_IS14_E10value_typeET4_jRbjT5_S1A_jjP12ihipStream_tbEUljE_EEESV_SW_SX_S14_S18_S1A_T6_T7_T9_mT8_S1C_bDpT10_ENKUlT_T0_E_clISt17integral_constantIbLb0EES1O_IbLb1EEEEDaS1K_S1L_EUlS1K_E_NS1_11comp_targetILNS1_3genE9ELNS1_11target_archE1100ELNS1_3gpuE3ELNS1_3repE0EEENS1_30default_config_static_selectorELNS0_4arch9wavefront6targetE0EEEvSY_.num_named_barrier, 0
	.set _ZN7rocprim17ROCPRIM_400000_NS6detail17trampoline_kernelINS0_13select_configILj256ELj13ELNS0_17block_load_methodE3ELS4_3ELS4_3ELNS0_20block_scan_algorithmE0ELj4294967295EEENS1_25partition_config_selectorILNS1_17partition_subalgoE3EjNS0_10empty_typeEbEEZZNS1_14partition_implILS8_3ELb0ES6_jNS0_17counting_iteratorIjlEEPS9_SE_NS0_5tupleIJPjSE_EEENSF_IJSE_SE_EEES9_SG_JZNS1_25segmented_radix_sort_implINS0_14default_configELb0EPKfPfPKlPlN2at6native12_GLOBAL__N_18offset_tEEE10hipError_tPvRmT1_PNSt15iterator_traitsISY_E10value_typeET2_T3_PNSZ_IS14_E10value_typeET4_jRbjT5_S1A_jjP12ihipStream_tbEUljE_EEESV_SW_SX_S14_S18_S1A_T6_T7_T9_mT8_S1C_bDpT10_ENKUlT_T0_E_clISt17integral_constantIbLb0EES1O_IbLb1EEEEDaS1K_S1L_EUlS1K_E_NS1_11comp_targetILNS1_3genE9ELNS1_11target_archE1100ELNS1_3gpuE3ELNS1_3repE0EEENS1_30default_config_static_selectorELNS0_4arch9wavefront6targetE0EEEvSY_.private_seg_size, 0
	.set _ZN7rocprim17ROCPRIM_400000_NS6detail17trampoline_kernelINS0_13select_configILj256ELj13ELNS0_17block_load_methodE3ELS4_3ELS4_3ELNS0_20block_scan_algorithmE0ELj4294967295EEENS1_25partition_config_selectorILNS1_17partition_subalgoE3EjNS0_10empty_typeEbEEZZNS1_14partition_implILS8_3ELb0ES6_jNS0_17counting_iteratorIjlEEPS9_SE_NS0_5tupleIJPjSE_EEENSF_IJSE_SE_EEES9_SG_JZNS1_25segmented_radix_sort_implINS0_14default_configELb0EPKfPfPKlPlN2at6native12_GLOBAL__N_18offset_tEEE10hipError_tPvRmT1_PNSt15iterator_traitsISY_E10value_typeET2_T3_PNSZ_IS14_E10value_typeET4_jRbjT5_S1A_jjP12ihipStream_tbEUljE_EEESV_SW_SX_S14_S18_S1A_T6_T7_T9_mT8_S1C_bDpT10_ENKUlT_T0_E_clISt17integral_constantIbLb0EES1O_IbLb1EEEEDaS1K_S1L_EUlS1K_E_NS1_11comp_targetILNS1_3genE9ELNS1_11target_archE1100ELNS1_3gpuE3ELNS1_3repE0EEENS1_30default_config_static_selectorELNS0_4arch9wavefront6targetE0EEEvSY_.uses_vcc, 0
	.set _ZN7rocprim17ROCPRIM_400000_NS6detail17trampoline_kernelINS0_13select_configILj256ELj13ELNS0_17block_load_methodE3ELS4_3ELS4_3ELNS0_20block_scan_algorithmE0ELj4294967295EEENS1_25partition_config_selectorILNS1_17partition_subalgoE3EjNS0_10empty_typeEbEEZZNS1_14partition_implILS8_3ELb0ES6_jNS0_17counting_iteratorIjlEEPS9_SE_NS0_5tupleIJPjSE_EEENSF_IJSE_SE_EEES9_SG_JZNS1_25segmented_radix_sort_implINS0_14default_configELb0EPKfPfPKlPlN2at6native12_GLOBAL__N_18offset_tEEE10hipError_tPvRmT1_PNSt15iterator_traitsISY_E10value_typeET2_T3_PNSZ_IS14_E10value_typeET4_jRbjT5_S1A_jjP12ihipStream_tbEUljE_EEESV_SW_SX_S14_S18_S1A_T6_T7_T9_mT8_S1C_bDpT10_ENKUlT_T0_E_clISt17integral_constantIbLb0EES1O_IbLb1EEEEDaS1K_S1L_EUlS1K_E_NS1_11comp_targetILNS1_3genE9ELNS1_11target_archE1100ELNS1_3gpuE3ELNS1_3repE0EEENS1_30default_config_static_selectorELNS0_4arch9wavefront6targetE0EEEvSY_.uses_flat_scratch, 0
	.set _ZN7rocprim17ROCPRIM_400000_NS6detail17trampoline_kernelINS0_13select_configILj256ELj13ELNS0_17block_load_methodE3ELS4_3ELS4_3ELNS0_20block_scan_algorithmE0ELj4294967295EEENS1_25partition_config_selectorILNS1_17partition_subalgoE3EjNS0_10empty_typeEbEEZZNS1_14partition_implILS8_3ELb0ES6_jNS0_17counting_iteratorIjlEEPS9_SE_NS0_5tupleIJPjSE_EEENSF_IJSE_SE_EEES9_SG_JZNS1_25segmented_radix_sort_implINS0_14default_configELb0EPKfPfPKlPlN2at6native12_GLOBAL__N_18offset_tEEE10hipError_tPvRmT1_PNSt15iterator_traitsISY_E10value_typeET2_T3_PNSZ_IS14_E10value_typeET4_jRbjT5_S1A_jjP12ihipStream_tbEUljE_EEESV_SW_SX_S14_S18_S1A_T6_T7_T9_mT8_S1C_bDpT10_ENKUlT_T0_E_clISt17integral_constantIbLb0EES1O_IbLb1EEEEDaS1K_S1L_EUlS1K_E_NS1_11comp_targetILNS1_3genE9ELNS1_11target_archE1100ELNS1_3gpuE3ELNS1_3repE0EEENS1_30default_config_static_selectorELNS0_4arch9wavefront6targetE0EEEvSY_.has_dyn_sized_stack, 0
	.set _ZN7rocprim17ROCPRIM_400000_NS6detail17trampoline_kernelINS0_13select_configILj256ELj13ELNS0_17block_load_methodE3ELS4_3ELS4_3ELNS0_20block_scan_algorithmE0ELj4294967295EEENS1_25partition_config_selectorILNS1_17partition_subalgoE3EjNS0_10empty_typeEbEEZZNS1_14partition_implILS8_3ELb0ES6_jNS0_17counting_iteratorIjlEEPS9_SE_NS0_5tupleIJPjSE_EEENSF_IJSE_SE_EEES9_SG_JZNS1_25segmented_radix_sort_implINS0_14default_configELb0EPKfPfPKlPlN2at6native12_GLOBAL__N_18offset_tEEE10hipError_tPvRmT1_PNSt15iterator_traitsISY_E10value_typeET2_T3_PNSZ_IS14_E10value_typeET4_jRbjT5_S1A_jjP12ihipStream_tbEUljE_EEESV_SW_SX_S14_S18_S1A_T6_T7_T9_mT8_S1C_bDpT10_ENKUlT_T0_E_clISt17integral_constantIbLb0EES1O_IbLb1EEEEDaS1K_S1L_EUlS1K_E_NS1_11comp_targetILNS1_3genE9ELNS1_11target_archE1100ELNS1_3gpuE3ELNS1_3repE0EEENS1_30default_config_static_selectorELNS0_4arch9wavefront6targetE0EEEvSY_.has_recursion, 0
	.set _ZN7rocprim17ROCPRIM_400000_NS6detail17trampoline_kernelINS0_13select_configILj256ELj13ELNS0_17block_load_methodE3ELS4_3ELS4_3ELNS0_20block_scan_algorithmE0ELj4294967295EEENS1_25partition_config_selectorILNS1_17partition_subalgoE3EjNS0_10empty_typeEbEEZZNS1_14partition_implILS8_3ELb0ES6_jNS0_17counting_iteratorIjlEEPS9_SE_NS0_5tupleIJPjSE_EEENSF_IJSE_SE_EEES9_SG_JZNS1_25segmented_radix_sort_implINS0_14default_configELb0EPKfPfPKlPlN2at6native12_GLOBAL__N_18offset_tEEE10hipError_tPvRmT1_PNSt15iterator_traitsISY_E10value_typeET2_T3_PNSZ_IS14_E10value_typeET4_jRbjT5_S1A_jjP12ihipStream_tbEUljE_EEESV_SW_SX_S14_S18_S1A_T6_T7_T9_mT8_S1C_bDpT10_ENKUlT_T0_E_clISt17integral_constantIbLb0EES1O_IbLb1EEEEDaS1K_S1L_EUlS1K_E_NS1_11comp_targetILNS1_3genE9ELNS1_11target_archE1100ELNS1_3gpuE3ELNS1_3repE0EEENS1_30default_config_static_selectorELNS0_4arch9wavefront6targetE0EEEvSY_.has_indirect_call, 0
	.section	.AMDGPU.csdata,"",@progbits
; Kernel info:
; codeLenInByte = 0
; TotalNumSgprs: 0
; NumVgprs: 0
; ScratchSize: 0
; MemoryBound: 0
; FloatMode: 240
; IeeeMode: 1
; LDSByteSize: 0 bytes/workgroup (compile time only)
; SGPRBlocks: 0
; VGPRBlocks: 0
; NumSGPRsForWavesPerEU: 1
; NumVGPRsForWavesPerEU: 1
; Occupancy: 16
; WaveLimiterHint : 0
; COMPUTE_PGM_RSRC2:SCRATCH_EN: 0
; COMPUTE_PGM_RSRC2:USER_SGPR: 6
; COMPUTE_PGM_RSRC2:TRAP_HANDLER: 0
; COMPUTE_PGM_RSRC2:TGID_X_EN: 1
; COMPUTE_PGM_RSRC2:TGID_Y_EN: 0
; COMPUTE_PGM_RSRC2:TGID_Z_EN: 0
; COMPUTE_PGM_RSRC2:TIDIG_COMP_CNT: 0
	.section	.text._ZN7rocprim17ROCPRIM_400000_NS6detail17trampoline_kernelINS0_13select_configILj256ELj13ELNS0_17block_load_methodE3ELS4_3ELS4_3ELNS0_20block_scan_algorithmE0ELj4294967295EEENS1_25partition_config_selectorILNS1_17partition_subalgoE3EjNS0_10empty_typeEbEEZZNS1_14partition_implILS8_3ELb0ES6_jNS0_17counting_iteratorIjlEEPS9_SE_NS0_5tupleIJPjSE_EEENSF_IJSE_SE_EEES9_SG_JZNS1_25segmented_radix_sort_implINS0_14default_configELb0EPKfPfPKlPlN2at6native12_GLOBAL__N_18offset_tEEE10hipError_tPvRmT1_PNSt15iterator_traitsISY_E10value_typeET2_T3_PNSZ_IS14_E10value_typeET4_jRbjT5_S1A_jjP12ihipStream_tbEUljE_EEESV_SW_SX_S14_S18_S1A_T6_T7_T9_mT8_S1C_bDpT10_ENKUlT_T0_E_clISt17integral_constantIbLb0EES1O_IbLb1EEEEDaS1K_S1L_EUlS1K_E_NS1_11comp_targetILNS1_3genE8ELNS1_11target_archE1030ELNS1_3gpuE2ELNS1_3repE0EEENS1_30default_config_static_selectorELNS0_4arch9wavefront6targetE0EEEvSY_,"axG",@progbits,_ZN7rocprim17ROCPRIM_400000_NS6detail17trampoline_kernelINS0_13select_configILj256ELj13ELNS0_17block_load_methodE3ELS4_3ELS4_3ELNS0_20block_scan_algorithmE0ELj4294967295EEENS1_25partition_config_selectorILNS1_17partition_subalgoE3EjNS0_10empty_typeEbEEZZNS1_14partition_implILS8_3ELb0ES6_jNS0_17counting_iteratorIjlEEPS9_SE_NS0_5tupleIJPjSE_EEENSF_IJSE_SE_EEES9_SG_JZNS1_25segmented_radix_sort_implINS0_14default_configELb0EPKfPfPKlPlN2at6native12_GLOBAL__N_18offset_tEEE10hipError_tPvRmT1_PNSt15iterator_traitsISY_E10value_typeET2_T3_PNSZ_IS14_E10value_typeET4_jRbjT5_S1A_jjP12ihipStream_tbEUljE_EEESV_SW_SX_S14_S18_S1A_T6_T7_T9_mT8_S1C_bDpT10_ENKUlT_T0_E_clISt17integral_constantIbLb0EES1O_IbLb1EEEEDaS1K_S1L_EUlS1K_E_NS1_11comp_targetILNS1_3genE8ELNS1_11target_archE1030ELNS1_3gpuE2ELNS1_3repE0EEENS1_30default_config_static_selectorELNS0_4arch9wavefront6targetE0EEEvSY_,comdat
	.globl	_ZN7rocprim17ROCPRIM_400000_NS6detail17trampoline_kernelINS0_13select_configILj256ELj13ELNS0_17block_load_methodE3ELS4_3ELS4_3ELNS0_20block_scan_algorithmE0ELj4294967295EEENS1_25partition_config_selectorILNS1_17partition_subalgoE3EjNS0_10empty_typeEbEEZZNS1_14partition_implILS8_3ELb0ES6_jNS0_17counting_iteratorIjlEEPS9_SE_NS0_5tupleIJPjSE_EEENSF_IJSE_SE_EEES9_SG_JZNS1_25segmented_radix_sort_implINS0_14default_configELb0EPKfPfPKlPlN2at6native12_GLOBAL__N_18offset_tEEE10hipError_tPvRmT1_PNSt15iterator_traitsISY_E10value_typeET2_T3_PNSZ_IS14_E10value_typeET4_jRbjT5_S1A_jjP12ihipStream_tbEUljE_EEESV_SW_SX_S14_S18_S1A_T6_T7_T9_mT8_S1C_bDpT10_ENKUlT_T0_E_clISt17integral_constantIbLb0EES1O_IbLb1EEEEDaS1K_S1L_EUlS1K_E_NS1_11comp_targetILNS1_3genE8ELNS1_11target_archE1030ELNS1_3gpuE2ELNS1_3repE0EEENS1_30default_config_static_selectorELNS0_4arch9wavefront6targetE0EEEvSY_ ; -- Begin function _ZN7rocprim17ROCPRIM_400000_NS6detail17trampoline_kernelINS0_13select_configILj256ELj13ELNS0_17block_load_methodE3ELS4_3ELS4_3ELNS0_20block_scan_algorithmE0ELj4294967295EEENS1_25partition_config_selectorILNS1_17partition_subalgoE3EjNS0_10empty_typeEbEEZZNS1_14partition_implILS8_3ELb0ES6_jNS0_17counting_iteratorIjlEEPS9_SE_NS0_5tupleIJPjSE_EEENSF_IJSE_SE_EEES9_SG_JZNS1_25segmented_radix_sort_implINS0_14default_configELb0EPKfPfPKlPlN2at6native12_GLOBAL__N_18offset_tEEE10hipError_tPvRmT1_PNSt15iterator_traitsISY_E10value_typeET2_T3_PNSZ_IS14_E10value_typeET4_jRbjT5_S1A_jjP12ihipStream_tbEUljE_EEESV_SW_SX_S14_S18_S1A_T6_T7_T9_mT8_S1C_bDpT10_ENKUlT_T0_E_clISt17integral_constantIbLb0EES1O_IbLb1EEEEDaS1K_S1L_EUlS1K_E_NS1_11comp_targetILNS1_3genE8ELNS1_11target_archE1030ELNS1_3gpuE2ELNS1_3repE0EEENS1_30default_config_static_selectorELNS0_4arch9wavefront6targetE0EEEvSY_
	.p2align	8
	.type	_ZN7rocprim17ROCPRIM_400000_NS6detail17trampoline_kernelINS0_13select_configILj256ELj13ELNS0_17block_load_methodE3ELS4_3ELS4_3ELNS0_20block_scan_algorithmE0ELj4294967295EEENS1_25partition_config_selectorILNS1_17partition_subalgoE3EjNS0_10empty_typeEbEEZZNS1_14partition_implILS8_3ELb0ES6_jNS0_17counting_iteratorIjlEEPS9_SE_NS0_5tupleIJPjSE_EEENSF_IJSE_SE_EEES9_SG_JZNS1_25segmented_radix_sort_implINS0_14default_configELb0EPKfPfPKlPlN2at6native12_GLOBAL__N_18offset_tEEE10hipError_tPvRmT1_PNSt15iterator_traitsISY_E10value_typeET2_T3_PNSZ_IS14_E10value_typeET4_jRbjT5_S1A_jjP12ihipStream_tbEUljE_EEESV_SW_SX_S14_S18_S1A_T6_T7_T9_mT8_S1C_bDpT10_ENKUlT_T0_E_clISt17integral_constantIbLb0EES1O_IbLb1EEEEDaS1K_S1L_EUlS1K_E_NS1_11comp_targetILNS1_3genE8ELNS1_11target_archE1030ELNS1_3gpuE2ELNS1_3repE0EEENS1_30default_config_static_selectorELNS0_4arch9wavefront6targetE0EEEvSY_,@function
_ZN7rocprim17ROCPRIM_400000_NS6detail17trampoline_kernelINS0_13select_configILj256ELj13ELNS0_17block_load_methodE3ELS4_3ELS4_3ELNS0_20block_scan_algorithmE0ELj4294967295EEENS1_25partition_config_selectorILNS1_17partition_subalgoE3EjNS0_10empty_typeEbEEZZNS1_14partition_implILS8_3ELb0ES6_jNS0_17counting_iteratorIjlEEPS9_SE_NS0_5tupleIJPjSE_EEENSF_IJSE_SE_EEES9_SG_JZNS1_25segmented_radix_sort_implINS0_14default_configELb0EPKfPfPKlPlN2at6native12_GLOBAL__N_18offset_tEEE10hipError_tPvRmT1_PNSt15iterator_traitsISY_E10value_typeET2_T3_PNSZ_IS14_E10value_typeET4_jRbjT5_S1A_jjP12ihipStream_tbEUljE_EEESV_SW_SX_S14_S18_S1A_T6_T7_T9_mT8_S1C_bDpT10_ENKUlT_T0_E_clISt17integral_constantIbLb0EES1O_IbLb1EEEEDaS1K_S1L_EUlS1K_E_NS1_11comp_targetILNS1_3genE8ELNS1_11target_archE1030ELNS1_3gpuE2ELNS1_3repE0EEENS1_30default_config_static_selectorELNS0_4arch9wavefront6targetE0EEEvSY_: ; @_ZN7rocprim17ROCPRIM_400000_NS6detail17trampoline_kernelINS0_13select_configILj256ELj13ELNS0_17block_load_methodE3ELS4_3ELS4_3ELNS0_20block_scan_algorithmE0ELj4294967295EEENS1_25partition_config_selectorILNS1_17partition_subalgoE3EjNS0_10empty_typeEbEEZZNS1_14partition_implILS8_3ELb0ES6_jNS0_17counting_iteratorIjlEEPS9_SE_NS0_5tupleIJPjSE_EEENSF_IJSE_SE_EEES9_SG_JZNS1_25segmented_radix_sort_implINS0_14default_configELb0EPKfPfPKlPlN2at6native12_GLOBAL__N_18offset_tEEE10hipError_tPvRmT1_PNSt15iterator_traitsISY_E10value_typeET2_T3_PNSZ_IS14_E10value_typeET4_jRbjT5_S1A_jjP12ihipStream_tbEUljE_EEESV_SW_SX_S14_S18_S1A_T6_T7_T9_mT8_S1C_bDpT10_ENKUlT_T0_E_clISt17integral_constantIbLb0EES1O_IbLb1EEEEDaS1K_S1L_EUlS1K_E_NS1_11comp_targetILNS1_3genE8ELNS1_11target_archE1030ELNS1_3gpuE2ELNS1_3repE0EEENS1_30default_config_static_selectorELNS0_4arch9wavefront6targetE0EEEvSY_
; %bb.0:
	s_clause 0x6
	s_load_dwordx2 s[18:19], s[4:5], 0x10
	s_load_dwordx2 s[16:17], s[4:5], 0x28
	;; [unrolled: 1-line block ×3, first 2 shown]
	s_load_dwordx4 s[12:15], s[4:5], 0x48
	s_load_dword s2, s[4:5], 0x90
	s_load_dwordx2 s[22:23], s[4:5], 0x68
	s_load_dwordx4 s[8:11], s[4:5], 0x80
	v_cmp_eq_u32_e64 s0, 0, v0
	s_and_saveexec_b32 s1, s0
	s_cbranch_execz .LBB1419_4
; %bb.1:
	s_mov_b32 s6, exec_lo
	s_mov_b32 s3, exec_lo
	v_mbcnt_lo_u32_b32 v1, s6, 0
                                        ; implicit-def: $vgpr2
	v_cmpx_eq_u32_e32 0, v1
	s_cbranch_execz .LBB1419_3
; %bb.2:
	s_load_dwordx2 s[24:25], s[4:5], 0x78
	s_bcnt1_i32_b32 s6, s6
	v_mov_b32_e32 v2, 0
	v_mov_b32_e32 v3, s6
	s_waitcnt lgkmcnt(0)
	global_atomic_add v2, v2, v3, s[24:25] glc
.LBB1419_3:
	s_or_b32 exec_lo, exec_lo, s3
	s_waitcnt vmcnt(0)
	v_readfirstlane_b32 s3, v2
	v_mov_b32_e32 v2, 0
	v_add_nc_u32_e32 v1, s3, v1
	ds_write_b32 v2, v1
.LBB1419_4:
	s_or_b32 exec_lo, exec_lo, s1
	v_mov_b32_e32 v1, 0
	s_clause 0x1
	s_load_dword s3, s[4:5], 0x8
	s_load_dword s1, s[4:5], 0x70
	s_waitcnt lgkmcnt(0)
	s_barrier
	buffer_gl0_inv
	ds_read_b32 v2, v1
	s_waitcnt lgkmcnt(0)
	s_barrier
	buffer_gl0_inv
	global_load_dwordx2 v[18:19], v1, s[14:15]
	v_lshlrev_b32_e32 v44, 2, v0
	s_add_i32 s4, s3, s18
	s_mul_i32 s5, s1, 0xd00
	s_add_i32 s1, s1, -1
	s_add_i32 s3, s5, s18
	s_sub_i32 s15, s20, s3
	v_readfirstlane_b32 s25, v2
	s_addk_i32 s15, 0xd00
	s_add_u32 s6, s18, s5
	s_addc_u32 s7, s19, 0
	v_cmp_ne_u32_e32 vcc_lo, s1, v2
	v_cmp_gt_u64_e64 s3, s[20:21], s[6:7]
	s_cmp_eq_u32 s25, s1
	s_mul_i32 s24, s25, 0xd00
	s_cselect_b32 s14, -1, 0
	s_mov_b32 s5, -1
	s_or_b32 s3, s3, vcc_lo
	s_and_b32 vcc_lo, exec_lo, s3
	s_cbranch_vccz .LBB1419_6
; %bb.5:
	v_add3_u32 v1, s24, s4, v0
	s_mov_b32 s5, 0
	v_add_nc_u32_e32 v2, 0x100, v1
	v_add_nc_u32_e32 v3, 0x200, v1
	;; [unrolled: 1-line block ×12, first 2 shown]
	ds_write2st64_b32 v44, v1, v2 offset1:4
	ds_write2st64_b32 v44, v3, v4 offset0:8 offset1:12
	ds_write2st64_b32 v44, v5, v6 offset0:16 offset1:20
	;; [unrolled: 1-line block ×5, first 2 shown]
	ds_write_b32 v44, v13 offset:12288
	s_waitcnt vmcnt(0) lgkmcnt(0)
	s_barrier
.LBB1419_6:
	v_cmp_gt_u32_e64 s1, s15, v0
	v_or_b32_e32 v43, 0x100, v0
	v_or_b32_e32 v42, 0x200, v0
	;; [unrolled: 1-line block ×12, first 2 shown]
	s_andn2_b32 vcc_lo, exec_lo, s5
	s_cbranch_vccnz .LBB1419_8
; %bb.7:
	s_add_i32 s4, s24, s4
	v_cmp_gt_u32_e32 vcc_lo, s15, v43
	v_add_nc_u32_e32 v2, s4, v43
	v_add_nc_u32_e32 v3, s4, v42
	;; [unrolled: 1-line block ×5, first 2 shown]
	v_cndmask_b32_e32 v2, 0, v2, vcc_lo
	v_cmp_gt_u32_e32 vcc_lo, s15, v42
	v_add_nc_u32_e32 v7, s4, v38
	v_add_nc_u32_e32 v8, s4, v37
	;; [unrolled: 1-line block ×4, first 2 shown]
	v_cndmask_b32_e32 v3, 0, v3, vcc_lo
	v_cmp_gt_u32_e32 vcc_lo, s15, v41
	v_add_nc_u32_e32 v11, s4, v34
	v_add_nc_u32_e32 v1, s4, v0
	;; [unrolled: 1-line block ×4, first 2 shown]
	v_cndmask_b32_e32 v4, 0, v4, vcc_lo
	v_cmp_gt_u32_e32 vcc_lo, s15, v40
	v_cndmask_b32_e64 v1, 0, v1, s1
	v_cndmask_b32_e32 v5, 0, v5, vcc_lo
	v_cmp_gt_u32_e32 vcc_lo, s15, v39
	v_cndmask_b32_e32 v6, 0, v6, vcc_lo
	v_cmp_gt_u32_e32 vcc_lo, s15, v38
	;; [unrolled: 2-line block ×8, first 2 shown]
	v_cndmask_b32_e32 v13, 0, v13, vcc_lo
	ds_write2st64_b32 v44, v1, v2 offset1:4
	ds_write2st64_b32 v44, v3, v4 offset0:8 offset1:12
	ds_write2st64_b32 v44, v5, v6 offset0:16 offset1:20
	ds_write2st64_b32 v44, v7, v8 offset0:24 offset1:28
	ds_write2st64_b32 v44, v9, v10 offset0:32 offset1:36
	ds_write2st64_b32 v44, v11, v12 offset0:40 offset1:44
	ds_write_b32 v44, v13 offset:12288
	s_waitcnt vmcnt(0) lgkmcnt(0)
	s_barrier
.LBB1419_8:
	v_mul_u32_u24_e32 v47, 13, v0
	s_waitcnt vmcnt(0)
	buffer_gl0_inv
	v_cndmask_b32_e64 v45, 0, 1, s3
	s_andn2_b32 vcc_lo, exec_lo, s3
	v_lshlrev_b32_e32 v1, 2, v47
	ds_read2_b32 v[28:29], v1 offset0:2 offset1:3
	ds_read2_b32 v[24:25], v1 offset0:6 offset1:7
	;; [unrolled: 1-line block ×3, first 2 shown]
	ds_read2_b32 v[30:31], v1 offset1:1
	ds_read2_b32 v[20:21], v1 offset0:10 offset1:11
	ds_read_b32 v46, v1 offset:48
	ds_read2_b32 v[22:23], v1 offset0:8 offset1:9
	s_waitcnt lgkmcnt(0)
	s_barrier
	buffer_gl0_inv
	s_cbranch_vccnz .LBB1419_10
; %bb.9:
	v_add_nc_u32_e32 v1, s9, v29
	v_add_nc_u32_e32 v4, s9, v28
	;; [unrolled: 1-line block ×6, first 2 shown]
	v_mul_lo_u32 v4, v4, s8
	v_mul_lo_u32 v1, v1, s8
	;; [unrolled: 1-line block ×4, first 2 shown]
	v_add_nc_u32_e32 v3, s9, v30
	v_add_nc_u32_e32 v7, s11, v30
	v_mul_lo_u32 v2, v2, s8
	v_mul_lo_u32 v6, v6, s10
	v_add_nc_u32_e32 v10, s11, v27
	v_mul_lo_u32 v3, v3, s8
	v_mul_lo_u32 v7, v7, s10
	v_sub_nc_u32_e32 v1, v1, v5
	v_sub_nc_u32_e32 v4, v4, v8
	v_add_nc_u32_e32 v5, s9, v25
	v_add_nc_u32_e32 v8, s11, v25
	v_sub_nc_u32_e32 v2, v2, v6
	v_add_nc_u32_e32 v6, s9, v27
	v_add_nc_u32_e32 v9, s9, v24
	v_mul_lo_u32 v5, v5, s8
	v_mul_lo_u32 v8, v8, s10
	v_sub_nc_u32_e32 v3, v3, v7
	v_add_nc_u32_e32 v7, s9, v26
	v_add_nc_u32_e32 v11, s11, v24
	v_mul_lo_u32 v6, v6, s8
	v_mul_lo_u32 v10, v10, s10
	v_add_nc_u32_e32 v12, s11, v26
	v_mul_lo_u32 v9, v9, s8
	v_mul_lo_u32 v7, v7, s8
	;; [unrolled: 1-line block ×3, first 2 shown]
	v_sub_nc_u32_e32 v5, v5, v8
	v_mul_lo_u32 v8, v12, s10
	v_cmp_lt_u32_e32 vcc_lo, s2, v1
	v_sub_nc_u32_e32 v6, v6, v10
	v_add_nc_u32_e32 v10, s9, v21
	v_add_nc_u32_e32 v14, s11, v21
	;; [unrolled: 1-line block ×3, first 2 shown]
	v_cndmask_b32_e64 v1, 0, 1, vcc_lo
	v_cmp_lt_u32_e32 vcc_lo, s2, v2
	v_sub_nc_u32_e32 v7, v7, v8
	v_sub_nc_u32_e32 v8, v9, v11
	v_add_nc_u32_e32 v11, s9, v23
	v_mul_lo_u32 v10, v10, s8
	v_mul_lo_u32 v14, v14, s10
	v_cndmask_b32_e64 v2, 0, 1, vcc_lo
	v_cmp_lt_u32_e32 vcc_lo, s2, v5
	v_mul_lo_u32 v11, v11, s8
	v_mul_lo_u32 v15, v15, s10
	v_mov_b32_e32 v9, 8
	v_lshlrev_b16 v2, 8, v2
	v_cndmask_b32_e64 v5, 0, 1, vcc_lo
	v_cmp_lt_u32_e32 vcc_lo, s2, v6
	v_sub_nc_u32_e32 v10, v10, v14
	v_add_nc_u32_e32 v12, s9, v22
	v_add_nc_u32_e32 v16, s11, v22
	v_sub_nc_u32_e32 v11, v11, v15
	v_cndmask_b32_e64 v6, 0, 1, vcc_lo
	v_cmp_lt_u32_e32 vcc_lo, s2, v10
	v_lshrrev_b32_sdwa v2, v9, v2 dst_sel:BYTE_1 dst_unused:UNUSED_PAD src0_sel:DWORD src1_sel:DWORD
	v_add_nc_u32_e32 v13, s9, v20
	v_add_nc_u32_e32 v17, s11, v20
	v_mul_lo_u32 v12, v12, s8
	v_cndmask_b32_e64 v10, 0, 1, vcc_lo
	v_cmp_lt_u32_e32 vcc_lo, s2, v11
	v_mul_lo_u32 v16, v16, s10
	v_mul_lo_u32 v13, v13, s8
	;; [unrolled: 1-line block ×3, first 2 shown]
	v_add_nc_u32_e32 v14, s9, v46
	v_cndmask_b32_e64 v11, 0, 1, vcc_lo
	v_cmp_lt_u32_e32 vcc_lo, s2, v3
	v_add_nc_u32_e32 v15, s11, v46
	v_lshlrev_b16 v1, 8, v1
	v_sub_nc_u32_e32 v12, v12, v16
	v_lshlrev_b16 v11, 8, v11
	v_cndmask_b32_e64 v3, 0, 1, vcc_lo
	v_cmp_lt_u32_e32 vcc_lo, s2, v4
	v_sub_nc_u32_e32 v13, v13, v17
	v_mul_lo_u32 v14, v14, s8
	v_mul_lo_u32 v15, v15, s10
	v_or_b32_e32 v2, v3, v2
	v_cndmask_b32_e64 v3, 0, 1, vcc_lo
	v_cmp_lt_u32_e32 vcc_lo, s2, v7
	v_lshlrev_b16 v6, 8, v6
	v_lshlrev_b16 v10, 8, v10
	;; [unrolled: 1-line block ×3, first 2 shown]
	v_lshrrev_b32_sdwa v1, v9, v1 dst_sel:BYTE_1 dst_unused:UNUSED_PAD src0_sel:DWORD src1_sel:DWORD
	v_cndmask_b32_e64 v4, 0, 1, vcc_lo
	v_cmp_lt_u32_e32 vcc_lo, s2, v8
	v_lshrrev_b32_sdwa v8, v9, v11 dst_sel:BYTE_1 dst_unused:UNUSED_PAD src0_sel:DWORD src1_sel:DWORD
	v_lshrrev_b32_sdwa v6, v9, v6 dst_sel:BYTE_1 dst_unused:UNUSED_PAD src0_sel:DWORD src1_sel:DWORD
	v_sub_nc_u32_e32 v14, v14, v15
	v_lshrrev_b32_sdwa v9, v9, v10 dst_sel:BYTE_1 dst_unused:UNUSED_PAD src0_sel:DWORD src1_sel:DWORD
	v_cndmask_b32_e64 v7, 0, 1, vcc_lo
	v_cmp_lt_u32_e32 vcc_lo, s2, v12
	v_or_b32_sdwa v1, v3, v1 dst_sel:WORD_1 dst_unused:UNUSED_PAD src0_sel:DWORD src1_sel:DWORD
	v_or_b32_e32 v3, v4, v6
	v_or_b32_sdwa v4, v7, v5 dst_sel:WORD_1 dst_unused:UNUSED_PAD src0_sel:DWORD src1_sel:DWORD
	v_cndmask_b32_e64 v11, 0, 1, vcc_lo
	v_cmp_lt_u32_e32 vcc_lo, s2, v13
	v_or_b32_sdwa v52, v2, v1 dst_sel:DWORD dst_unused:UNUSED_PAD src0_sel:WORD_0 src1_sel:DWORD
	v_or_b32_sdwa v50, v3, v4 dst_sel:DWORD dst_unused:UNUSED_PAD src0_sel:WORD_0 src1_sel:DWORD
	v_or_b32_e32 v5, v11, v8
	v_cndmask_b32_e64 v10, 0, 1, vcc_lo
	v_cmp_lt_u32_e32 vcc_lo, s2, v14
	v_or_b32_sdwa v6, v10, v9 dst_sel:WORD_1 dst_unused:UNUSED_PAD src0_sel:DWORD src1_sel:DWORD
	v_cndmask_b32_e64 v48, 0, 1, vcc_lo
	v_or_b32_sdwa v49, v5, v6 dst_sel:DWORD dst_unused:UNUSED_PAD src0_sel:WORD_0 src1_sel:DWORD
	s_cbranch_execz .LBB1419_11
	s_branch .LBB1419_38
.LBB1419_10:
                                        ; implicit-def: $vgpr48
                                        ; implicit-def: $vgpr49
                                        ; implicit-def: $vgpr50
                                        ; implicit-def: $vgpr52
.LBB1419_11:
	v_mov_b32_e32 v2, 0
	v_mov_b32_e32 v1, 0
	s_mov_b32 s1, exec_lo
	v_cmpx_gt_u32_e64 s15, v47
	s_cbranch_execz .LBB1419_13
; %bb.12:
	v_add_nc_u32_e32 v1, s9, v30
	v_add_nc_u32_e32 v3, s11, v30
	v_mul_lo_u32 v1, v1, s8
	v_mul_lo_u32 v3, v3, s10
	v_sub_nc_u32_e32 v1, v1, v3
	v_cmp_lt_u32_e32 vcc_lo, s2, v1
	v_cndmask_b32_e64 v1, 0, 1, vcc_lo
.LBB1419_13:
	s_or_b32 exec_lo, exec_lo, s1
	v_add_nc_u32_e32 v3, 1, v47
	s_mov_b32 s1, exec_lo
	v_cmpx_gt_u32_e64 s15, v3
	s_cbranch_execz .LBB1419_15
; %bb.14:
	v_add_nc_u32_e32 v2, s9, v31
	v_add_nc_u32_e32 v3, s11, v31
	v_mul_lo_u32 v2, v2, s8
	v_mul_lo_u32 v3, v3, s10
	v_sub_nc_u32_e32 v2, v2, v3
	v_cmp_lt_u32_e32 vcc_lo, s2, v2
	v_cndmask_b32_e64 v2, 0, 1, vcc_lo
.LBB1419_15:
	s_or_b32 exec_lo, exec_lo, s1
	v_add_nc_u32_e32 v3, 2, v47
	v_mov_b32_e32 v4, 0
	v_cmp_gt_u32_e32 vcc_lo, s15, v3
	v_mov_b32_e32 v3, 0
	s_and_saveexec_b32 s1, vcc_lo
	s_cbranch_execz .LBB1419_17
; %bb.16:
	v_add_nc_u32_e32 v3, s9, v28
	v_add_nc_u32_e32 v5, s11, v28
	v_mul_lo_u32 v3, v3, s8
	v_mul_lo_u32 v5, v5, s10
	v_sub_nc_u32_e32 v3, v3, v5
	v_cmp_lt_u32_e32 vcc_lo, s2, v3
	v_cndmask_b32_e64 v3, 0, 1, vcc_lo
.LBB1419_17:
	s_or_b32 exec_lo, exec_lo, s1
	v_add_nc_u32_e32 v5, 3, v47
	s_mov_b32 s1, exec_lo
	v_cmpx_gt_u32_e64 s15, v5
	s_cbranch_execz .LBB1419_19
; %bb.18:
	v_add_nc_u32_e32 v4, s9, v29
	v_add_nc_u32_e32 v5, s11, v29
	v_mul_lo_u32 v4, v4, s8
	v_mul_lo_u32 v5, v5, s10
	v_sub_nc_u32_e32 v4, v4, v5
	v_cmp_lt_u32_e32 vcc_lo, s2, v4
	v_cndmask_b32_e64 v4, 0, 1, vcc_lo
.LBB1419_19:
	s_or_b32 exec_lo, exec_lo, s1
	v_add_nc_u32_e32 v5, 4, v47
	v_mov_b32_e32 v6, 0
	v_cmp_gt_u32_e32 vcc_lo, s15, v5
	v_mov_b32_e32 v5, 0
	s_and_saveexec_b32 s1, vcc_lo
	;; [unrolled: 30-line block ×5, first 2 shown]
	s_cbranch_execz .LBB1419_33
; %bb.32:
	v_add_nc_u32_e32 v11, s9, v20
	v_add_nc_u32_e32 v13, s11, v20
	v_mul_lo_u32 v11, v11, s8
	v_mul_lo_u32 v13, v13, s10
	v_sub_nc_u32_e32 v11, v11, v13
	v_cmp_lt_u32_e32 vcc_lo, s2, v11
	v_cndmask_b32_e64 v11, 0, 1, vcc_lo
.LBB1419_33:
	s_or_b32 exec_lo, exec_lo, s1
	v_add_nc_u32_e32 v13, 11, v47
	s_mov_b32 s1, exec_lo
	v_cmpx_gt_u32_e64 s15, v13
	s_cbranch_execz .LBB1419_35
; %bb.34:
	v_add_nc_u32_e32 v12, s9, v21
	v_add_nc_u32_e32 v13, s11, v21
	v_mul_lo_u32 v12, v12, s8
	v_mul_lo_u32 v13, v13, s10
	v_sub_nc_u32_e32 v12, v12, v13
	v_cmp_lt_u32_e32 vcc_lo, s2, v12
	v_cndmask_b32_e64 v12, 0, 1, vcc_lo
.LBB1419_35:
	s_or_b32 exec_lo, exec_lo, s1
	v_add_nc_u32_e32 v13, 12, v47
	v_mov_b32_e32 v48, 0
	s_mov_b32 s1, exec_lo
	v_cmpx_gt_u32_e64 s15, v13
	s_cbranch_execz .LBB1419_37
; %bb.36:
	v_add_nc_u32_e32 v13, s9, v46
	v_add_nc_u32_e32 v14, s11, v46
	v_mul_lo_u32 v13, v13, s8
	v_mul_lo_u32 v14, v14, s10
	v_sub_nc_u32_e32 v13, v13, v14
	v_cmp_lt_u32_e32 vcc_lo, s2, v13
	v_cndmask_b32_e64 v48, 0, 1, vcc_lo
.LBB1419_37:
	s_or_b32 exec_lo, exec_lo, s1
	v_lshlrev_b16 v2, 8, v2
	v_lshlrev_b16 v4, 8, v4
	v_lshlrev_b16 v6, 8, v6
	v_lshlrev_b16 v8, 8, v8
	v_lshlrev_b16 v10, 8, v10
	v_or_b32_e32 v1, v1, v2
	v_lshlrev_b16 v2, 8, v12
	v_or_b32_sdwa v3, v3, v4 dst_sel:WORD_1 dst_unused:UNUSED_PAD src0_sel:DWORD src1_sel:DWORD
	v_or_b32_e32 v4, v5, v6
	v_or_b32_sdwa v5, v7, v8 dst_sel:WORD_1 dst_unused:UNUSED_PAD src0_sel:DWORD src1_sel:DWORD
	v_or_b32_e32 v6, v9, v10
	v_or_b32_sdwa v2, v11, v2 dst_sel:WORD_1 dst_unused:UNUSED_PAD src0_sel:DWORD src1_sel:DWORD
	v_or_b32_sdwa v52, v1, v3 dst_sel:DWORD dst_unused:UNUSED_PAD src0_sel:WORD_0 src1_sel:DWORD
	v_or_b32_sdwa v50, v4, v5 dst_sel:DWORD dst_unused:UNUSED_PAD src0_sel:WORD_0 src1_sel:DWORD
	;; [unrolled: 1-line block ×3, first 2 shown]
.LBB1419_38:
	v_and_b32_e32 v55, 0xff, v52
	v_bfe_u32 v56, v52, 8, 8
	v_bfe_u32 v57, v52, 16, 8
	v_lshrrev_b32_e32 v54, 24, v52
	v_and_b32_e32 v58, 0xff, v50
	v_bfe_u32 v59, v50, 8, 8
	v_bfe_u32 v60, v50, 16, 8
	v_add3_u32 v1, v56, v55, v57
	v_lshrrev_b32_e32 v53, 24, v50
	v_and_b32_e32 v61, 0xff, v49
	v_bfe_u32 v62, v49, 8, 8
	v_mbcnt_lo_u32_b32 v64, -1, 0
	v_add3_u32 v1, v1, v54, v58
	v_bfe_u32 v63, v49, 16, 8
	v_lshrrev_b32_e32 v51, 24, v49
	v_and_b32_e32 v2, 0xff, v48
	v_and_b32_e32 v3, 15, v64
	v_add3_u32 v1, v1, v59, v60
	v_or_b32_e32 v4, 31, v0
	v_and_b32_e32 v5, 16, v64
	v_lshrrev_b32_e32 v65, 5, v0
	v_cmp_eq_u32_e64 s6, 0, v3
	v_add3_u32 v1, v1, v53, v61
	v_cmp_lt_u32_e64 s5, 1, v3
	v_cmp_lt_u32_e64 s4, 3, v3
	;; [unrolled: 1-line block ×3, first 2 shown]
	v_cmp_eq_u32_e64 s2, 0, v5
	v_add3_u32 v1, v1, v62, v63
	v_cmp_eq_u32_e64 s1, v0, v4
	s_cmp_lg_u32 s25, 0
	s_mov_b32 s7, -1
	v_add3_u32 v66, v1, v51, v2
	s_cbranch_scc0 .LBB1419_60
; %bb.39:
	v_mov_b32_dpp v1, v66 row_shr:1 row_mask:0xf bank_mask:0xf
	v_cndmask_b32_e64 v1, v1, 0, s6
	v_add_nc_u32_e32 v1, v1, v66
	v_mov_b32_dpp v2, v1 row_shr:2 row_mask:0xf bank_mask:0xf
	v_cndmask_b32_e64 v2, 0, v2, s5
	v_add_nc_u32_e32 v1, v1, v2
	v_mov_b32_dpp v2, v1 row_shr:4 row_mask:0xf bank_mask:0xf
	v_cndmask_b32_e64 v2, 0, v2, s4
	v_add_nc_u32_e32 v1, v1, v2
	v_mov_b32_dpp v2, v1 row_shr:8 row_mask:0xf bank_mask:0xf
	v_cndmask_b32_e64 v2, 0, v2, s3
	v_add_nc_u32_e32 v1, v1, v2
	ds_swizzle_b32 v2, v1 offset:swizzle(BROADCAST,32,15)
	s_waitcnt lgkmcnt(0)
	v_cndmask_b32_e64 v2, v2, 0, s2
	v_add_nc_u32_e32 v1, v1, v2
	s_and_saveexec_b32 s7, s1
; %bb.40:
	v_lshlrev_b32_e32 v2, 2, v65
	ds_write_b32 v2, v1
; %bb.41:
	s_or_b32 exec_lo, exec_lo, s7
	s_mov_b32 s7, exec_lo
	s_waitcnt lgkmcnt(0)
	s_barrier
	buffer_gl0_inv
	v_cmpx_gt_u32_e32 8, v0
	s_cbranch_execz .LBB1419_43
; %bb.42:
	ds_read_b32 v2, v44
	v_and_b32_e32 v3, 7, v64
	v_cmp_ne_u32_e32 vcc_lo, 0, v3
	s_waitcnt lgkmcnt(0)
	v_mov_b32_dpp v4, v2 row_shr:1 row_mask:0xf bank_mask:0xf
	v_cndmask_b32_e32 v4, 0, v4, vcc_lo
	v_cmp_lt_u32_e32 vcc_lo, 1, v3
	v_add_nc_u32_e32 v2, v4, v2
	v_mov_b32_dpp v4, v2 row_shr:2 row_mask:0xf bank_mask:0xf
	v_cndmask_b32_e32 v4, 0, v4, vcc_lo
	v_cmp_lt_u32_e32 vcc_lo, 3, v3
	v_add_nc_u32_e32 v2, v2, v4
	v_mov_b32_dpp v4, v2 row_shr:4 row_mask:0xf bank_mask:0xf
	v_cndmask_b32_e32 v3, 0, v4, vcc_lo
	v_add_nc_u32_e32 v2, v2, v3
	ds_write_b32 v44, v2
.LBB1419_43:
	s_or_b32 exec_lo, exec_lo, s7
	s_mov_b32 s8, exec_lo
	v_cmp_gt_u32_e32 vcc_lo, 32, v0
	s_waitcnt lgkmcnt(0)
	s_barrier
	buffer_gl0_inv
                                        ; implicit-def: $vgpr10
	v_cmpx_lt_u32_e32 31, v0
	s_cbranch_execz .LBB1419_45
; %bb.44:
	v_lshl_add_u32 v2, v65, 2, -4
	ds_read_b32 v10, v2
	s_waitcnt lgkmcnt(0)
	v_add_nc_u32_e32 v1, v10, v1
.LBB1419_45:
	s_or_b32 exec_lo, exec_lo, s8
	v_sub_co_u32 v2, s7, v64, 1
	v_cmp_gt_i32_e64 s8, 0, v2
	v_cndmask_b32_e64 v2, v2, v64, s8
	v_lshlrev_b32_e32 v2, 2, v2
	ds_bpermute_b32 v11, v2, v1
	s_and_saveexec_b32 s8, vcc_lo
	s_cbranch_execz .LBB1419_65
; %bb.46:
	v_mov_b32_e32 v7, 0
	ds_read_b32 v1, v7 offset:28
	s_and_saveexec_b32 s9, s7
	s_cbranch_execz .LBB1419_48
; %bb.47:
	s_add_i32 s10, s25, 32
	s_mov_b32 s11, 0
	v_mov_b32_e32 v2, 1
	s_lshl_b64 s[10:11], s[10:11], 3
	s_add_u32 s10, s22, s10
	s_addc_u32 s11, s23, s11
	s_waitcnt lgkmcnt(0)
	global_store_dwordx2 v7, v[1:2], s[10:11]
.LBB1419_48:
	s_or_b32 exec_lo, exec_lo, s9
	v_xad_u32 v3, v64, -1, s25
	s_mov_b32 s10, 0
	v_add_nc_u32_e32 v6, 32, v3
	v_lshlrev_b64 v[4:5], 3, v[6:7]
	v_add_co_u32 v8, vcc_lo, s22, v4
	v_add_co_ci_u32_e64 v9, null, s23, v5, vcc_lo
	global_load_dwordx2 v[5:6], v[8:9], off glc dlc
	s_waitcnt vmcnt(0)
	v_cmp_eq_u16_sdwa s11, v6, v7 src0_sel:BYTE_0 src1_sel:DWORD
	s_and_saveexec_b32 s9, s11
	s_cbranch_execz .LBB1419_52
; %bb.49:
	v_mov_b32_e32 v2, 0
.LBB1419_50:                            ; =>This Inner Loop Header: Depth=1
	global_load_dwordx2 v[5:6], v[8:9], off glc dlc
	s_waitcnt vmcnt(0)
	v_cmp_ne_u16_sdwa s11, v6, v2 src0_sel:BYTE_0 src1_sel:DWORD
	s_or_b32 s10, s11, s10
	s_andn2_b32 exec_lo, exec_lo, s10
	s_cbranch_execnz .LBB1419_50
; %bb.51:
	s_or_b32 exec_lo, exec_lo, s10
.LBB1419_52:
	s_or_b32 exec_lo, exec_lo, s9
	v_cmp_ne_u32_e32 vcc_lo, 31, v64
	v_mov_b32_e32 v12, 2
	v_lshlrev_b32_e64 v13, v64, -1
	v_add_nc_u32_e32 v15, 2, v64
	v_add_nc_u32_e32 v17, 4, v64
	v_add_co_ci_u32_e64 v2, null, 0, v64, vcc_lo
	v_cmp_eq_u16_sdwa s9, v6, v12 src0_sel:BYTE_0 src1_sel:DWORD
	v_cmp_gt_u32_e32 vcc_lo, 30, v64
	v_add_nc_u32_e32 v68, 8, v64
	v_lshlrev_b32_e32 v9, 2, v2
	v_lshl_or_b32 v69, v64, 2, 64
	v_and_or_b32 v4, s9, v13, 0x80000000
	v_cndmask_b32_e64 v7, 0, 2, vcc_lo
	v_add_nc_u32_e32 v70, 16, v64
	ds_bpermute_b32 v2, v9, v5
	v_ffbl_b32_e32 v4, v4
	v_add_lshl_u32 v14, v7, v64, 2
	v_cmp_lt_u32_e32 vcc_lo, v64, v4
	s_waitcnt lgkmcnt(0)
	v_cndmask_b32_e32 v2, 0, v2, vcc_lo
	v_cmp_gt_u32_e32 vcc_lo, 28, v64
	v_add_nc_u32_e32 v2, v2, v5
	v_cndmask_b32_e64 v7, 0, 4, vcc_lo
	v_cmp_le_u32_e32 vcc_lo, v15, v4
	ds_bpermute_b32 v5, v14, v2
	v_add_lshl_u32 v16, v7, v64, 2
	s_waitcnt lgkmcnt(0)
	v_cndmask_b32_e32 v5, 0, v5, vcc_lo
	v_cmp_gt_u32_e32 vcc_lo, 24, v64
	v_add_nc_u32_e32 v2, v2, v5
	v_cndmask_b32_e64 v7, 0, 8, vcc_lo
	v_cmp_le_u32_e32 vcc_lo, v17, v4
	ds_bpermute_b32 v5, v16, v2
	v_add_lshl_u32 v67, v7, v64, 2
	s_waitcnt lgkmcnt(0)
	v_cndmask_b32_e32 v5, 0, v5, vcc_lo
	v_cmp_le_u32_e32 vcc_lo, v68, v4
	v_add_nc_u32_e32 v2, v2, v5
	ds_bpermute_b32 v5, v67, v2
	s_waitcnt lgkmcnt(0)
	v_cndmask_b32_e32 v5, 0, v5, vcc_lo
	v_cmp_le_u32_e32 vcc_lo, v70, v4
	v_add_nc_u32_e32 v2, v2, v5
	ds_bpermute_b32 v5, v69, v2
	s_waitcnt lgkmcnt(0)
	v_cndmask_b32_e32 v4, 0, v5, vcc_lo
	v_add_nc_u32_e32 v5, v2, v4
	v_mov_b32_e32 v4, 0
	s_branch .LBB1419_56
.LBB1419_53:                            ;   in Loop: Header=BB1419_56 Depth=1
	s_or_b32 exec_lo, exec_lo, s10
.LBB1419_54:                            ;   in Loop: Header=BB1419_56 Depth=1
	s_or_b32 exec_lo, exec_lo, s9
	ds_bpermute_b32 v7, v9, v5
	v_cmp_eq_u16_sdwa s9, v6, v12 src0_sel:BYTE_0 src1_sel:DWORD
	v_subrev_nc_u32_e32 v3, 32, v3
	v_and_or_b32 v8, s9, v13, 0x80000000
	s_mov_b32 s9, 0
	v_ffbl_b32_e32 v8, v8
	v_cmp_lt_u32_e32 vcc_lo, v64, v8
	s_waitcnt lgkmcnt(0)
	v_cndmask_b32_e32 v7, 0, v7, vcc_lo
	v_cmp_le_u32_e32 vcc_lo, v15, v8
	v_add_nc_u32_e32 v5, v7, v5
	ds_bpermute_b32 v7, v14, v5
	s_waitcnt lgkmcnt(0)
	v_cndmask_b32_e32 v7, 0, v7, vcc_lo
	v_cmp_le_u32_e32 vcc_lo, v17, v8
	v_add_nc_u32_e32 v5, v5, v7
	ds_bpermute_b32 v7, v16, v5
	;; [unrolled: 5-line block ×4, first 2 shown]
	s_waitcnt lgkmcnt(0)
	v_cndmask_b32_e32 v7, 0, v7, vcc_lo
	v_add3_u32 v5, v7, v2, v5
.LBB1419_55:                            ;   in Loop: Header=BB1419_56 Depth=1
	s_and_b32 vcc_lo, exec_lo, s9
	s_cbranch_vccnz .LBB1419_61
.LBB1419_56:                            ; =>This Loop Header: Depth=1
                                        ;     Child Loop BB1419_59 Depth 2
	v_cmp_ne_u16_sdwa s9, v6, v12 src0_sel:BYTE_0 src1_sel:DWORD
	v_mov_b32_e32 v2, v5
                                        ; implicit-def: $vgpr5
                                        ; implicit-def: $vgpr6
	s_cmp_lg_u32 s9, exec_lo
	s_mov_b32 s9, -1
	s_cbranch_scc1 .LBB1419_55
; %bb.57:                               ;   in Loop: Header=BB1419_56 Depth=1
	v_lshlrev_b64 v[5:6], 3, v[3:4]
	v_add_co_u32 v7, vcc_lo, s22, v5
	v_add_co_ci_u32_e64 v8, null, s23, v6, vcc_lo
	global_load_dwordx2 v[5:6], v[7:8], off glc dlc
	s_waitcnt vmcnt(0)
	v_cmp_eq_u16_sdwa s10, v6, v4 src0_sel:BYTE_0 src1_sel:DWORD
	s_and_saveexec_b32 s9, s10
	s_cbranch_execz .LBB1419_54
; %bb.58:                               ;   in Loop: Header=BB1419_56 Depth=1
	s_mov_b32 s10, 0
.LBB1419_59:                            ;   Parent Loop BB1419_56 Depth=1
                                        ; =>  This Inner Loop Header: Depth=2
	global_load_dwordx2 v[5:6], v[7:8], off glc dlc
	s_waitcnt vmcnt(0)
	v_cmp_ne_u16_sdwa s11, v6, v4 src0_sel:BYTE_0 src1_sel:DWORD
	s_or_b32 s10, s11, s10
	s_andn2_b32 exec_lo, exec_lo, s10
	s_cbranch_execnz .LBB1419_59
	s_branch .LBB1419_53
.LBB1419_60:
                                        ; implicit-def: $vgpr17
                                        ; implicit-def: $vgpr1_vgpr2_vgpr3_vgpr4_vgpr5_vgpr6_vgpr7_vgpr8_vgpr9_vgpr10_vgpr11_vgpr12_vgpr13_vgpr14_vgpr15_vgpr16
	s_and_b32 vcc_lo, exec_lo, s7
	s_cbranch_vccnz .LBB1419_66
	s_branch .LBB1419_75
.LBB1419_61:
	s_and_saveexec_b32 s9, s7
	s_cbranch_execz .LBB1419_63
; %bb.62:
	s_add_i32 s10, s25, 32
	s_mov_b32 s11, 0
	v_add_nc_u32_e32 v3, v2, v1
	v_mov_b32_e32 v4, 2
	s_lshl_b64 s[10:11], s[10:11], 3
	v_mov_b32_e32 v5, 0
	s_add_u32 s10, s22, s10
	s_addc_u32 s11, s23, s11
	global_store_dwordx2 v5, v[3:4], s[10:11]
	ds_write_b64 v5, v[1:2] offset:13312
.LBB1419_63:
	s_or_b32 exec_lo, exec_lo, s9
	s_and_b32 exec_lo, exec_lo, s0
; %bb.64:
	v_mov_b32_e32 v1, 0
	ds_write_b32 v1, v2 offset:28
.LBB1419_65:
	s_or_b32 exec_lo, exec_lo, s8
	v_mov_b32_e32 v12, 0
	s_waitcnt lgkmcnt(0)
	s_waitcnt_vscnt null, 0x0
	s_barrier
	buffer_gl0_inv
	v_cndmask_b32_e64 v2, v11, v10, s7
	ds_read_b32 v1, v12 offset:28
	s_waitcnt lgkmcnt(0)
	s_barrier
	buffer_gl0_inv
	v_cndmask_b32_e64 v2, v2, 0, s0
	ds_read_b64 v[16:17], v12 offset:13312
	v_add_nc_u32_e32 v1, v1, v2
	v_add_nc_u32_e32 v2, v1, v55
	;; [unrolled: 1-line block ×13, first 2 shown]
	s_branch .LBB1419_75
.LBB1419_66:
	v_mov_b32_dpp v1, v66 row_shr:1 row_mask:0xf bank_mask:0xf
	v_cndmask_b32_e64 v1, v1, 0, s6
	v_add_nc_u32_e32 v1, v1, v66
	v_mov_b32_dpp v2, v1 row_shr:2 row_mask:0xf bank_mask:0xf
	v_cndmask_b32_e64 v2, 0, v2, s5
	v_add_nc_u32_e32 v1, v1, v2
	v_mov_b32_dpp v2, v1 row_shr:4 row_mask:0xf bank_mask:0xf
	v_cndmask_b32_e64 v2, 0, v2, s4
	v_add_nc_u32_e32 v1, v1, v2
	v_mov_b32_dpp v2, v1 row_shr:8 row_mask:0xf bank_mask:0xf
	v_cndmask_b32_e64 v2, 0, v2, s3
	v_add_nc_u32_e32 v1, v1, v2
	ds_swizzle_b32 v2, v1 offset:swizzle(BROADCAST,32,15)
	s_waitcnt lgkmcnt(0)
	v_cndmask_b32_e64 v2, v2, 0, s2
	v_add_nc_u32_e32 v1, v1, v2
	s_and_saveexec_b32 s2, s1
; %bb.67:
	v_lshlrev_b32_e32 v2, 2, v65
	ds_write_b32 v2, v1
; %bb.68:
	s_or_b32 exec_lo, exec_lo, s2
	s_mov_b32 s1, exec_lo
	s_waitcnt lgkmcnt(0)
	s_barrier
	buffer_gl0_inv
	v_cmpx_gt_u32_e32 8, v0
	s_cbranch_execz .LBB1419_70
; %bb.69:
	ds_read_b32 v2, v44
	v_and_b32_e32 v3, 7, v64
	v_cmp_ne_u32_e32 vcc_lo, 0, v3
	s_waitcnt lgkmcnt(0)
	v_mov_b32_dpp v4, v2 row_shr:1 row_mask:0xf bank_mask:0xf
	v_cndmask_b32_e32 v4, 0, v4, vcc_lo
	v_cmp_lt_u32_e32 vcc_lo, 1, v3
	v_add_nc_u32_e32 v2, v4, v2
	v_mov_b32_dpp v4, v2 row_shr:2 row_mask:0xf bank_mask:0xf
	v_cndmask_b32_e32 v4, 0, v4, vcc_lo
	v_cmp_lt_u32_e32 vcc_lo, 3, v3
	v_add_nc_u32_e32 v2, v2, v4
	v_mov_b32_dpp v4, v2 row_shr:4 row_mask:0xf bank_mask:0xf
	v_cndmask_b32_e32 v3, 0, v4, vcc_lo
	v_add_nc_u32_e32 v2, v2, v3
	ds_write_b32 v44, v2
.LBB1419_70:
	s_or_b32 exec_lo, exec_lo, s1
	v_mov_b32_e32 v3, 0
	v_mov_b32_e32 v2, 0
	s_mov_b32 s1, exec_lo
	s_waitcnt lgkmcnt(0)
	s_barrier
	buffer_gl0_inv
	v_cmpx_lt_u32_e32 31, v0
; %bb.71:
	v_lshl_add_u32 v2, v65, 2, -4
	ds_read_b32 v2, v2
; %bb.72:
	s_or_b32 exec_lo, exec_lo, s1
	v_sub_co_u32 v4, vcc_lo, v64, 1
	s_waitcnt lgkmcnt(0)
	v_add_nc_u32_e32 v1, v2, v1
	ds_read_b32 v16, v3 offset:28
	v_cmp_gt_i32_e64 s1, 0, v4
	v_cndmask_b32_e64 v4, v4, v64, s1
	v_lshlrev_b32_e32 v4, 2, v4
	ds_bpermute_b32 v1, v4, v1
	s_and_saveexec_b32 s1, s0
	s_cbranch_execz .LBB1419_74
; %bb.73:
	v_mov_b32_e32 v3, 0
	v_mov_b32_e32 v17, 2
	s_waitcnt lgkmcnt(1)
	global_store_dwordx2 v3, v[16:17], s[22:23] offset:256
.LBB1419_74:
	s_or_b32 exec_lo, exec_lo, s1
	s_waitcnt lgkmcnt(0)
	v_cndmask_b32_e32 v1, v1, v2, vcc_lo
	v_mov_b32_e32 v17, 0
	s_waitcnt_vscnt null, 0x0
	s_barrier
	buffer_gl0_inv
	v_cndmask_b32_e64 v1, v1, 0, s0
	v_add_nc_u32_e32 v2, v1, v55
	v_add_nc_u32_e32 v3, v2, v56
	;; [unrolled: 1-line block ×12, first 2 shown]
.LBB1419_75:
	s_waitcnt lgkmcnt(0)
	v_add_nc_u32_e32 v47, v16, v47
	v_sub_nc_u32_e32 v1, v1, v17
	v_and_b32_e32 v56, 1, v52
	v_lshrrev_b32_e32 v55, 8, v52
	v_sub_nc_u32_e32 v2, v2, v17
	v_sub_nc_u32_e32 v3, v3, v17
	;; [unrolled: 1-line block ×3, first 2 shown]
	v_cmp_eq_u32_e32 vcc_lo, 1, v56
	v_and_b32_e32 v55, 1, v55
	v_mov_b32_e32 v58, 1
	v_sub_nc_u32_e32 v56, v47, v2
	v_sub_nc_u32_e32 v4, v4, v17
	v_cndmask_b32_e32 v1, v57, v1, vcc_lo
	v_sub_nc_u32_e32 v57, v47, v3
	v_and_b32_sdwa v52, v58, v52 dst_sel:DWORD dst_unused:UNUSED_PAD src0_sel:DWORD src1_sel:WORD_1
	v_add_nc_u32_e32 v56, 1, v56
	v_cmp_eq_u32_e32 vcc_lo, 1, v55
	v_lshlrev_b32_e32 v1, 2, v1
	v_and_b32_e32 v54, 1, v54
	v_sub_nc_u32_e32 v59, v47, v4
	v_add_nc_u32_e32 v57, 2, v57
	v_lshrrev_b32_e32 v15, 8, v50
	ds_write_b32 v1, v30
	v_cndmask_b32_e32 v1, v56, v2, vcc_lo
	v_cmp_eq_u32_e32 vcc_lo, 1, v52
	v_add_nc_u32_e32 v59, 3, v59
	v_lshrrev_b32_e32 v14, 8, v49
	v_lshlrev_b32_e32 v1, 2, v1
	v_cndmask_b32_e32 v2, v57, v3, vcc_lo
	v_cmp_eq_u32_e32 vcc_lo, 1, v54
	ds_write_b32 v1, v31
	v_lshlrev_b32_e32 v2, 2, v2
	v_cndmask_b32_e32 v3, v59, v4, vcc_lo
	v_sub_nc_u32_e32 v4, v5, v17
	v_sub_nc_u32_e32 v5, v6, v17
	v_lshlrev_b32_e32 v3, 2, v3
	v_sub_nc_u32_e32 v1, v47, v4
	v_sub_nc_u32_e32 v6, v47, v5
	ds_write_b32 v2, v28
	ds_write_b32 v3, v29
	v_and_b32_e32 v2, 1, v50
	v_add_nc_u32_e32 v1, 4, v1
	v_add_nc_u32_e32 v3, 5, v6
	v_sub_nc_u32_e32 v6, v7, v17
	v_and_b32_e32 v7, 1, v15
	v_cmp_eq_u32_e32 vcc_lo, 1, v2
	v_sub_nc_u32_e32 v2, v8, v17
	v_and_b32_e32 v8, 1, v53
	v_add_co_u32 v15, s1, v18, v17
	v_cndmask_b32_e32 v1, v1, v4, vcc_lo
	v_sub_nc_u32_e32 v4, v47, v6
	v_cmp_eq_u32_e32 vcc_lo, 1, v7
	v_and_b32_sdwa v7, v58, v50 dst_sel:DWORD dst_unused:UNUSED_PAD src0_sel:DWORD src1_sel:WORD_1
	v_lshlrev_b32_e32 v1, 2, v1
	v_add_nc_u32_e32 v4, 6, v4
	v_cndmask_b32_e32 v3, v3, v5, vcc_lo
	v_sub_nc_u32_e32 v5, v47, v2
	v_cmp_eq_u32_e32 vcc_lo, 1, v7
	v_sub_nc_u32_e32 v7, v13, v17
	v_lshlrev_b32_e32 v3, 2, v3
	v_add_nc_u32_e32 v5, 7, v5
	v_cndmask_b32_e32 v4, v4, v6, vcc_lo
	v_cmp_eq_u32_e32 vcc_lo, 1, v8
	v_sub_nc_u32_e32 v6, v9, v17
	ds_write_b32 v1, v26
	ds_write_b32 v3, v27
	v_lshlrev_b32_e32 v3, 2, v4
	v_cndmask_b32_e32 v2, v5, v2, vcc_lo
	v_sub_nc_u32_e32 v1, v47, v6
	v_and_b32_e32 v5, 1, v49
	v_sub_nc_u32_e32 v4, v10, v17
	v_and_b32_e32 v10, 1, v51
	v_lshlrev_b32_e32 v2, 2, v2
	v_add_nc_u32_e32 v1, 8, v1
	ds_write_b32 v3, v24
	ds_write_b32 v2, v25
	v_cmp_eq_u32_e32 vcc_lo, 1, v5
	v_sub_nc_u32_e32 v3, v11, v17
	v_sub_nc_u32_e32 v2, v47, v4
	;; [unrolled: 1-line block ×3, first 2 shown]
	v_and_b32_e32 v11, 1, v48
	v_cndmask_b32_e32 v1, v1, v6, vcc_lo
	v_and_b32_e32 v6, 1, v14
	v_sub_nc_u32_e32 v8, v47, v3
	v_add_nc_u32_e32 v2, 9, v2
	v_sub_nc_u32_e32 v9, v47, v5
	v_lshlrev_b32_e32 v1, 2, v1
	v_cmp_eq_u32_e32 vcc_lo, 1, v6
	v_add_nc_u32_e32 v6, 10, v8
	v_and_b32_sdwa v8, v58, v49 dst_sel:DWORD dst_unused:UNUSED_PAD src0_sel:DWORD src1_sel:WORD_1
	v_add_nc_u32_e32 v9, 11, v9
	v_add_co_ci_u32_e64 v17, null, 0, v19, s1
	v_cndmask_b32_e32 v2, v2, v4, vcc_lo
	v_cmp_eq_u32_e32 vcc_lo, 1, v8
	v_sub_nc_u32_e32 v4, v47, v7
	v_lshlrev_b32_e32 v2, 2, v2
	v_cndmask_b32_e32 v3, v6, v3, vcc_lo
	v_cmp_eq_u32_e32 vcc_lo, 1, v10
	v_add_nc_u32_e32 v4, 12, v4
	v_lshlrev_b32_e32 v3, 2, v3
	v_cndmask_b32_e32 v5, v9, v5, vcc_lo
	v_cmp_eq_u32_e32 vcc_lo, 1, v11
	v_lshlrev_b32_e32 v5, 2, v5
	v_cndmask_b32_e32 v4, v4, v7, vcc_lo
	v_cmp_ne_u32_e32 vcc_lo, 1, v45
	v_lshlrev_b32_e32 v4, 2, v4
	ds_write_b32 v1, v22
	ds_write_b32 v2, v23
	;; [unrolled: 1-line block ×5, first 2 shown]
	s_waitcnt lgkmcnt(0)
	s_barrier
	buffer_gl0_inv
	ds_read2st64_b32 v[11:12], v44 offset1:4
	ds_read2st64_b32 v[9:10], v44 offset0:8 offset1:12
	ds_read2st64_b32 v[7:8], v44 offset0:16 offset1:20
	;; [unrolled: 1-line block ×5, first 2 shown]
	ds_read_b32 v20, v44 offset:12288
	s_cbranch_vccnz .LBB1419_132
; %bb.76:
	s_sub_u32 s1, s20, s24
	v_sub_co_u32 v13, vcc_lo, v15, s18
	s_subb_u32 s2, s21, 0
	v_add_co_u32 v18, s1, s1, v16
	v_subrev_co_ci_u32_e64 v14, null, s19, v17, vcc_lo
	v_add_co_ci_u32_e64 v19, null, s2, 0, s1
	v_add_co_u32 v18, vcc_lo, v18, v13
	s_mov_b32 s1, exec_lo
	v_add_co_ci_u32_e64 v19, null, v19, v14, vcc_lo
                                        ; implicit-def: $vgpr13_vgpr14
	v_cmpx_ge_u32_e64 v0, v16
	s_xor_b32 s1, exec_lo, s1
; %bb.77:
	v_not_b32_e32 v13, v0
	v_ashrrev_i32_e32 v14, 31, v13
	v_add_co_u32 v13, vcc_lo, v18, v13
	v_add_co_ci_u32_e64 v14, null, v19, v14, vcc_lo
; %bb.78:
	s_andn2_saveexec_b32 s1, s1
; %bb.79:
	v_add_co_u32 v13, vcc_lo, v15, v0
	v_add_co_ci_u32_e64 v14, null, 0, v17, vcc_lo
; %bb.80:
	s_or_b32 exec_lo, exec_lo, s1
	v_lshlrev_b64 v[13:14], 2, v[13:14]
	s_mov_b32 s1, exec_lo
	v_add_co_u32 v13, vcc_lo, s16, v13
	v_add_co_ci_u32_e64 v14, null, s17, v14, vcc_lo
	s_waitcnt lgkmcnt(6)
	global_store_dword v[13:14], v11, off
                                        ; implicit-def: $vgpr13_vgpr14
	v_cmpx_ge_u32_e64 v43, v16
	s_xor_b32 s1, exec_lo, s1
; %bb.81:
	v_xor_b32_e32 v13, 0xfffffeff, v0
	v_ashrrev_i32_e32 v14, 31, v13
	v_add_co_u32 v13, vcc_lo, v18, v13
	v_add_co_ci_u32_e64 v14, null, v19, v14, vcc_lo
; %bb.82:
	s_andn2_saveexec_b32 s1, s1
; %bb.83:
	v_add_co_u32 v13, vcc_lo, v15, v43
	v_add_co_ci_u32_e64 v14, null, 0, v17, vcc_lo
; %bb.84:
	s_or_b32 exec_lo, exec_lo, s1
	v_lshlrev_b64 v[13:14], 2, v[13:14]
	s_mov_b32 s1, exec_lo
	v_add_co_u32 v13, vcc_lo, s16, v13
	v_add_co_ci_u32_e64 v14, null, s17, v14, vcc_lo
	global_store_dword v[13:14], v12, off
                                        ; implicit-def: $vgpr13_vgpr14
	v_cmpx_ge_u32_e64 v42, v16
	s_xor_b32 s1, exec_lo, s1
; %bb.85:
	v_xor_b32_e32 v13, 0xfffffdff, v0
	v_ashrrev_i32_e32 v14, 31, v13
	v_add_co_u32 v13, vcc_lo, v18, v13
	v_add_co_ci_u32_e64 v14, null, v19, v14, vcc_lo
; %bb.86:
	s_andn2_saveexec_b32 s1, s1
; %bb.87:
	v_add_co_u32 v13, vcc_lo, v15, v42
	v_add_co_ci_u32_e64 v14, null, 0, v17, vcc_lo
; %bb.88:
	s_or_b32 exec_lo, exec_lo, s1
	v_lshlrev_b64 v[13:14], 2, v[13:14]
	s_mov_b32 s1, exec_lo
	v_add_co_u32 v13, vcc_lo, s16, v13
	v_add_co_ci_u32_e64 v14, null, s17, v14, vcc_lo
	s_waitcnt lgkmcnt(5)
	global_store_dword v[13:14], v9, off
                                        ; implicit-def: $vgpr13_vgpr14
	v_cmpx_ge_u32_e64 v41, v16
	s_xor_b32 s1, exec_lo, s1
; %bb.89:
	v_xor_b32_e32 v13, 0xfffffcff, v0
	v_ashrrev_i32_e32 v14, 31, v13
	v_add_co_u32 v13, vcc_lo, v18, v13
	v_add_co_ci_u32_e64 v14, null, v19, v14, vcc_lo
; %bb.90:
	s_andn2_saveexec_b32 s1, s1
; %bb.91:
	v_add_co_u32 v13, vcc_lo, v15, v41
	v_add_co_ci_u32_e64 v14, null, 0, v17, vcc_lo
; %bb.92:
	s_or_b32 exec_lo, exec_lo, s1
	v_lshlrev_b64 v[13:14], 2, v[13:14]
	s_mov_b32 s1, exec_lo
	v_add_co_u32 v13, vcc_lo, s16, v13
	v_add_co_ci_u32_e64 v14, null, s17, v14, vcc_lo
	global_store_dword v[13:14], v10, off
                                        ; implicit-def: $vgpr13_vgpr14
	v_cmpx_ge_u32_e64 v40, v16
	s_xor_b32 s1, exec_lo, s1
; %bb.93:
	v_xor_b32_e32 v13, 0xfffffbff, v0
	;; [unrolled: 41-line block ×6, first 2 shown]
	v_ashrrev_i32_e32 v14, 31, v13
	v_add_co_u32 v13, vcc_lo, v18, v13
	v_add_co_ci_u32_e64 v14, null, v19, v14, vcc_lo
; %bb.126:
	s_andn2_saveexec_b32 s1, s1
; %bb.127:
	v_add_co_u32 v13, vcc_lo, v15, v32
	v_add_co_ci_u32_e64 v14, null, 0, v17, vcc_lo
; %bb.128:
	s_or_b32 exec_lo, exec_lo, s1
	s_mov_b32 s1, -1
.LBB1419_129:
	s_and_saveexec_b32 s2, s1
	s_cbranch_execz .LBB1419_212
.LBB1419_130:
	s_waitcnt lgkmcnt(1)
	v_lshlrev_b64 v[0:1], 2, v[13:14]
	v_add_co_u32 v0, vcc_lo, s16, v0
	v_add_co_ci_u32_e64 v1, null, s17, v1, vcc_lo
	s_waitcnt lgkmcnt(0)
	global_store_dword v[0:1], v20, off
	s_or_b32 exec_lo, exec_lo, s2
	s_and_b32 s0, s0, s14
	s_and_saveexec_b32 s1, s0
	s_cbranch_execnz .LBB1419_213
.LBB1419_131:
	s_endpgm
.LBB1419_132:
	s_mov_b32 s1, 0
                                        ; implicit-def: $vgpr13_vgpr14
	s_cbranch_execz .LBB1419_129
; %bb.133:
	s_add_u32 s2, s18, s24
	s_addc_u32 s3, s19, 0
	s_sub_u32 s2, s20, s2
	s_subb_u32 s3, s21, s3
	v_add_co_u32 v13, s2, s2, v16
	v_add_co_ci_u32_e64 v14, null, s3, 0, s2
	s_mov_b32 s2, exec_lo
	v_add_co_u32 v18, vcc_lo, v13, v15
	v_add_co_ci_u32_e64 v19, null, v14, v17, vcc_lo
	v_cmpx_gt_u32_e64 s15, v0
	s_cbranch_execz .LBB1419_169
; %bb.134:
	s_mov_b32 s3, exec_lo
                                        ; implicit-def: $vgpr13_vgpr14
	v_cmpx_ge_u32_e64 v0, v16
	s_xor_b32 s3, exec_lo, s3
; %bb.135:
	v_not_b32_e32 v13, v0
	v_ashrrev_i32_e32 v14, 31, v13
	v_add_co_u32 v13, vcc_lo, v18, v13
	v_add_co_ci_u32_e64 v14, null, v19, v14, vcc_lo
; %bb.136:
	s_andn2_saveexec_b32 s3, s3
; %bb.137:
	v_add_co_u32 v13, vcc_lo, v15, v0
	v_add_co_ci_u32_e64 v14, null, 0, v17, vcc_lo
; %bb.138:
	s_or_b32 exec_lo, exec_lo, s3
	v_lshlrev_b64 v[13:14], 2, v[13:14]
	v_add_co_u32 v13, vcc_lo, s16, v13
	v_add_co_ci_u32_e64 v14, null, s17, v14, vcc_lo
	s_waitcnt lgkmcnt(6)
	global_store_dword v[13:14], v11, off
	s_or_b32 exec_lo, exec_lo, s2
	s_mov_b32 s2, exec_lo
	v_cmpx_gt_u32_e64 s15, v43
	s_cbranch_execnz .LBB1419_170
.LBB1419_139:
	s_or_b32 exec_lo, exec_lo, s2
	s_mov_b32 s2, exec_lo
	v_cmpx_gt_u32_e64 s15, v42
	s_cbranch_execz .LBB1419_175
.LBB1419_140:
	s_mov_b32 s3, exec_lo
                                        ; implicit-def: $vgpr11_vgpr12
	v_cmpx_ge_u32_e64 v42, v16
	s_xor_b32 s3, exec_lo, s3
	s_cbranch_execz .LBB1419_142
; %bb.141:
	s_waitcnt lgkmcnt(6)
	v_xor_b32_e32 v11, 0xfffffdff, v0
                                        ; implicit-def: $vgpr42
	v_ashrrev_i32_e32 v12, 31, v11
	v_add_co_u32 v11, vcc_lo, v18, v11
	v_add_co_ci_u32_e64 v12, null, v19, v12, vcc_lo
.LBB1419_142:
	s_andn2_saveexec_b32 s3, s3
	s_cbranch_execz .LBB1419_144
; %bb.143:
	s_waitcnt lgkmcnt(6)
	v_add_co_u32 v11, vcc_lo, v15, v42
	v_add_co_ci_u32_e64 v12, null, 0, v17, vcc_lo
.LBB1419_144:
	s_or_b32 exec_lo, exec_lo, s3
	s_waitcnt lgkmcnt(6)
	v_lshlrev_b64 v[11:12], 2, v[11:12]
	v_add_co_u32 v11, vcc_lo, s16, v11
	v_add_co_ci_u32_e64 v12, null, s17, v12, vcc_lo
	s_waitcnt lgkmcnt(5)
	global_store_dword v[11:12], v9, off
	s_or_b32 exec_lo, exec_lo, s2
	s_mov_b32 s2, exec_lo
	v_cmpx_gt_u32_e64 s15, v41
	s_cbranch_execnz .LBB1419_176
.LBB1419_145:
	s_or_b32 exec_lo, exec_lo, s2
	s_mov_b32 s2, exec_lo
	v_cmpx_gt_u32_e64 s15, v40
	s_cbranch_execz .LBB1419_181
.LBB1419_146:
	s_mov_b32 s3, exec_lo
                                        ; implicit-def: $vgpr9_vgpr10
	v_cmpx_ge_u32_e64 v40, v16
	s_xor_b32 s3, exec_lo, s3
	s_cbranch_execz .LBB1419_148
; %bb.147:
	s_waitcnt lgkmcnt(5)
	v_xor_b32_e32 v9, 0xfffffbff, v0
                                        ; implicit-def: $vgpr40
	v_ashrrev_i32_e32 v10, 31, v9
	v_add_co_u32 v9, vcc_lo, v18, v9
	v_add_co_ci_u32_e64 v10, null, v19, v10, vcc_lo
.LBB1419_148:
	s_andn2_saveexec_b32 s3, s3
	s_cbranch_execz .LBB1419_150
; %bb.149:
	s_waitcnt lgkmcnt(5)
	v_add_co_u32 v9, vcc_lo, v15, v40
	v_add_co_ci_u32_e64 v10, null, 0, v17, vcc_lo
.LBB1419_150:
	s_or_b32 exec_lo, exec_lo, s3
	s_waitcnt lgkmcnt(5)
	v_lshlrev_b64 v[9:10], 2, v[9:10]
	v_add_co_u32 v9, vcc_lo, s16, v9
	v_add_co_ci_u32_e64 v10, null, s17, v10, vcc_lo
	s_waitcnt lgkmcnt(4)
	global_store_dword v[9:10], v7, off
	s_or_b32 exec_lo, exec_lo, s2
	s_mov_b32 s2, exec_lo
	v_cmpx_gt_u32_e64 s15, v39
	s_cbranch_execnz .LBB1419_182
.LBB1419_151:
	s_or_b32 exec_lo, exec_lo, s2
	s_mov_b32 s2, exec_lo
	v_cmpx_gt_u32_e64 s15, v38
	s_cbranch_execz .LBB1419_187
.LBB1419_152:
	s_mov_b32 s3, exec_lo
                                        ; implicit-def: $vgpr7_vgpr8
	v_cmpx_ge_u32_e64 v38, v16
	s_xor_b32 s3, exec_lo, s3
	s_cbranch_execz .LBB1419_154
; %bb.153:
	s_waitcnt lgkmcnt(4)
	v_xor_b32_e32 v7, 0xfffff9ff, v0
                                        ; implicit-def: $vgpr38
	v_ashrrev_i32_e32 v8, 31, v7
	v_add_co_u32 v7, vcc_lo, v18, v7
	v_add_co_ci_u32_e64 v8, null, v19, v8, vcc_lo
.LBB1419_154:
	s_andn2_saveexec_b32 s3, s3
	s_cbranch_execz .LBB1419_156
; %bb.155:
	s_waitcnt lgkmcnt(4)
	v_add_co_u32 v7, vcc_lo, v15, v38
	v_add_co_ci_u32_e64 v8, null, 0, v17, vcc_lo
.LBB1419_156:
	s_or_b32 exec_lo, exec_lo, s3
	s_waitcnt lgkmcnt(4)
	v_lshlrev_b64 v[7:8], 2, v[7:8]
	v_add_co_u32 v7, vcc_lo, s16, v7
	v_add_co_ci_u32_e64 v8, null, s17, v8, vcc_lo
	s_waitcnt lgkmcnt(3)
	global_store_dword v[7:8], v5, off
	s_or_b32 exec_lo, exec_lo, s2
	s_mov_b32 s2, exec_lo
	v_cmpx_gt_u32_e64 s15, v37
	s_cbranch_execnz .LBB1419_188
.LBB1419_157:
	s_or_b32 exec_lo, exec_lo, s2
	s_mov_b32 s2, exec_lo
	v_cmpx_gt_u32_e64 s15, v36
	s_cbranch_execz .LBB1419_193
.LBB1419_158:
	s_mov_b32 s3, exec_lo
                                        ; implicit-def: $vgpr5_vgpr6
	v_cmpx_ge_u32_e64 v36, v16
	s_xor_b32 s3, exec_lo, s3
	s_cbranch_execz .LBB1419_160
; %bb.159:
	s_waitcnt lgkmcnt(3)
	v_xor_b32_e32 v5, 0xfffff7ff, v0
                                        ; implicit-def: $vgpr36
	v_ashrrev_i32_e32 v6, 31, v5
	v_add_co_u32 v5, vcc_lo, v18, v5
	v_add_co_ci_u32_e64 v6, null, v19, v6, vcc_lo
.LBB1419_160:
	s_andn2_saveexec_b32 s3, s3
	s_cbranch_execz .LBB1419_162
; %bb.161:
	s_waitcnt lgkmcnt(3)
	v_add_co_u32 v5, vcc_lo, v15, v36
	v_add_co_ci_u32_e64 v6, null, 0, v17, vcc_lo
.LBB1419_162:
	s_or_b32 exec_lo, exec_lo, s3
	s_waitcnt lgkmcnt(3)
	v_lshlrev_b64 v[5:6], 2, v[5:6]
	v_add_co_u32 v5, vcc_lo, s16, v5
	v_add_co_ci_u32_e64 v6, null, s17, v6, vcc_lo
	s_waitcnt lgkmcnt(2)
	global_store_dword v[5:6], v3, off
	s_or_b32 exec_lo, exec_lo, s2
	s_mov_b32 s2, exec_lo
	v_cmpx_gt_u32_e64 s15, v35
	s_cbranch_execnz .LBB1419_194
.LBB1419_163:
	s_or_b32 exec_lo, exec_lo, s2
	s_mov_b32 s2, exec_lo
	v_cmpx_gt_u32_e64 s15, v34
	s_cbranch_execz .LBB1419_199
.LBB1419_164:
	s_mov_b32 s3, exec_lo
                                        ; implicit-def: $vgpr3_vgpr4
	v_cmpx_ge_u32_e64 v34, v16
	s_xor_b32 s3, exec_lo, s3
	s_cbranch_execz .LBB1419_166
; %bb.165:
	s_waitcnt lgkmcnt(2)
	v_xor_b32_e32 v3, 0xfffff5ff, v0
                                        ; implicit-def: $vgpr34
	v_ashrrev_i32_e32 v4, 31, v3
	v_add_co_u32 v3, vcc_lo, v18, v3
	v_add_co_ci_u32_e64 v4, null, v19, v4, vcc_lo
.LBB1419_166:
	s_andn2_saveexec_b32 s3, s3
	s_cbranch_execz .LBB1419_168
; %bb.167:
	s_waitcnt lgkmcnt(2)
	v_add_co_u32 v3, vcc_lo, v15, v34
	v_add_co_ci_u32_e64 v4, null, 0, v17, vcc_lo
.LBB1419_168:
	s_or_b32 exec_lo, exec_lo, s3
	s_waitcnt lgkmcnt(2)
	v_lshlrev_b64 v[3:4], 2, v[3:4]
	v_add_co_u32 v3, vcc_lo, s16, v3
	v_add_co_ci_u32_e64 v4, null, s17, v4, vcc_lo
	s_waitcnt lgkmcnt(1)
	global_store_dword v[3:4], v1, off
	s_or_b32 exec_lo, exec_lo, s2
	s_mov_b32 s2, exec_lo
	v_cmpx_gt_u32_e64 s15, v33
	s_cbranch_execz .LBB1419_205
	s_branch .LBB1419_200
.LBB1419_169:
	s_or_b32 exec_lo, exec_lo, s2
	s_mov_b32 s2, exec_lo
	v_cmpx_gt_u32_e64 s15, v43
	s_cbranch_execz .LBB1419_139
.LBB1419_170:
	s_mov_b32 s3, exec_lo
                                        ; implicit-def: $vgpr13_vgpr14
	v_cmpx_ge_u32_e64 v43, v16
	s_xor_b32 s3, exec_lo, s3
	s_cbranch_execz .LBB1419_172
; %bb.171:
	s_waitcnt lgkmcnt(6)
	v_xor_b32_e32 v11, 0xfffffeff, v0
                                        ; implicit-def: $vgpr43
	v_ashrrev_i32_e32 v14, 31, v11
	v_add_co_u32 v13, vcc_lo, v18, v11
	v_add_co_ci_u32_e64 v14, null, v19, v14, vcc_lo
.LBB1419_172:
	s_andn2_saveexec_b32 s3, s3
; %bb.173:
	v_add_co_u32 v13, vcc_lo, v15, v43
	v_add_co_ci_u32_e64 v14, null, 0, v17, vcc_lo
; %bb.174:
	s_or_b32 exec_lo, exec_lo, s3
	v_lshlrev_b64 v[13:14], 2, v[13:14]
	v_add_co_u32 v13, vcc_lo, s16, v13
	v_add_co_ci_u32_e64 v14, null, s17, v14, vcc_lo
	s_waitcnt lgkmcnt(6)
	global_store_dword v[13:14], v12, off
	s_or_b32 exec_lo, exec_lo, s2
	s_mov_b32 s2, exec_lo
	v_cmpx_gt_u32_e64 s15, v42
	s_cbranch_execnz .LBB1419_140
.LBB1419_175:
	s_or_b32 exec_lo, exec_lo, s2
	s_mov_b32 s2, exec_lo
	v_cmpx_gt_u32_e64 s15, v41
	s_cbranch_execz .LBB1419_145
.LBB1419_176:
	s_mov_b32 s3, exec_lo
                                        ; implicit-def: $vgpr11_vgpr12
	v_cmpx_ge_u32_e64 v41, v16
	s_xor_b32 s3, exec_lo, s3
	s_cbranch_execz .LBB1419_178
; %bb.177:
	s_waitcnt lgkmcnt(5)
	v_xor_b32_e32 v9, 0xfffffcff, v0
                                        ; implicit-def: $vgpr41
	v_ashrrev_i32_e32 v12, 31, v9
	v_add_co_u32 v11, vcc_lo, v18, v9
	v_add_co_ci_u32_e64 v12, null, v19, v12, vcc_lo
.LBB1419_178:
	s_andn2_saveexec_b32 s3, s3
	s_cbranch_execz .LBB1419_180
; %bb.179:
	s_waitcnt lgkmcnt(6)
	v_add_co_u32 v11, vcc_lo, v15, v41
	v_add_co_ci_u32_e64 v12, null, 0, v17, vcc_lo
.LBB1419_180:
	s_or_b32 exec_lo, exec_lo, s3
	s_waitcnt lgkmcnt(6)
	v_lshlrev_b64 v[11:12], 2, v[11:12]
	v_add_co_u32 v11, vcc_lo, s16, v11
	v_add_co_ci_u32_e64 v12, null, s17, v12, vcc_lo
	s_waitcnt lgkmcnt(5)
	global_store_dword v[11:12], v10, off
	s_or_b32 exec_lo, exec_lo, s2
	s_mov_b32 s2, exec_lo
	v_cmpx_gt_u32_e64 s15, v40
	s_cbranch_execnz .LBB1419_146
.LBB1419_181:
	s_or_b32 exec_lo, exec_lo, s2
	s_mov_b32 s2, exec_lo
	v_cmpx_gt_u32_e64 s15, v39
	s_cbranch_execz .LBB1419_151
.LBB1419_182:
	s_mov_b32 s3, exec_lo
                                        ; implicit-def: $vgpr9_vgpr10
	v_cmpx_ge_u32_e64 v39, v16
	s_xor_b32 s3, exec_lo, s3
	s_cbranch_execz .LBB1419_184
; %bb.183:
	s_waitcnt lgkmcnt(4)
	v_xor_b32_e32 v7, 0xfffffaff, v0
                                        ; implicit-def: $vgpr39
	v_ashrrev_i32_e32 v10, 31, v7
	v_add_co_u32 v9, vcc_lo, v18, v7
	v_add_co_ci_u32_e64 v10, null, v19, v10, vcc_lo
.LBB1419_184:
	s_andn2_saveexec_b32 s3, s3
	s_cbranch_execz .LBB1419_186
; %bb.185:
	s_waitcnt lgkmcnt(5)
	v_add_co_u32 v9, vcc_lo, v15, v39
	v_add_co_ci_u32_e64 v10, null, 0, v17, vcc_lo
.LBB1419_186:
	s_or_b32 exec_lo, exec_lo, s3
	s_waitcnt lgkmcnt(5)
	v_lshlrev_b64 v[9:10], 2, v[9:10]
	v_add_co_u32 v9, vcc_lo, s16, v9
	v_add_co_ci_u32_e64 v10, null, s17, v10, vcc_lo
	s_waitcnt lgkmcnt(4)
	global_store_dword v[9:10], v8, off
	s_or_b32 exec_lo, exec_lo, s2
	s_mov_b32 s2, exec_lo
	v_cmpx_gt_u32_e64 s15, v38
	s_cbranch_execnz .LBB1419_152
.LBB1419_187:
	s_or_b32 exec_lo, exec_lo, s2
	s_mov_b32 s2, exec_lo
	v_cmpx_gt_u32_e64 s15, v37
	s_cbranch_execz .LBB1419_157
.LBB1419_188:
	s_mov_b32 s3, exec_lo
                                        ; implicit-def: $vgpr7_vgpr8
	v_cmpx_ge_u32_e64 v37, v16
	s_xor_b32 s3, exec_lo, s3
	s_cbranch_execz .LBB1419_190
; %bb.189:
	s_waitcnt lgkmcnt(3)
	v_xor_b32_e32 v5, 0xfffff8ff, v0
                                        ; implicit-def: $vgpr37
	v_ashrrev_i32_e32 v8, 31, v5
	v_add_co_u32 v7, vcc_lo, v18, v5
	v_add_co_ci_u32_e64 v8, null, v19, v8, vcc_lo
.LBB1419_190:
	s_andn2_saveexec_b32 s3, s3
	s_cbranch_execz .LBB1419_192
; %bb.191:
	s_waitcnt lgkmcnt(4)
	v_add_co_u32 v7, vcc_lo, v15, v37
	v_add_co_ci_u32_e64 v8, null, 0, v17, vcc_lo
.LBB1419_192:
	s_or_b32 exec_lo, exec_lo, s3
	s_waitcnt lgkmcnt(4)
	v_lshlrev_b64 v[7:8], 2, v[7:8]
	v_add_co_u32 v7, vcc_lo, s16, v7
	v_add_co_ci_u32_e64 v8, null, s17, v8, vcc_lo
	s_waitcnt lgkmcnt(3)
	global_store_dword v[7:8], v6, off
	s_or_b32 exec_lo, exec_lo, s2
	s_mov_b32 s2, exec_lo
	v_cmpx_gt_u32_e64 s15, v36
	s_cbranch_execnz .LBB1419_158
.LBB1419_193:
	s_or_b32 exec_lo, exec_lo, s2
	s_mov_b32 s2, exec_lo
	v_cmpx_gt_u32_e64 s15, v35
	s_cbranch_execz .LBB1419_163
.LBB1419_194:
	s_mov_b32 s3, exec_lo
                                        ; implicit-def: $vgpr5_vgpr6
	v_cmpx_ge_u32_e64 v35, v16
	s_xor_b32 s3, exec_lo, s3
	s_cbranch_execz .LBB1419_196
; %bb.195:
	s_waitcnt lgkmcnt(2)
	v_xor_b32_e32 v3, 0xfffff6ff, v0
                                        ; implicit-def: $vgpr35
	v_ashrrev_i32_e32 v6, 31, v3
	v_add_co_u32 v5, vcc_lo, v18, v3
	v_add_co_ci_u32_e64 v6, null, v19, v6, vcc_lo
.LBB1419_196:
	s_andn2_saveexec_b32 s3, s3
	s_cbranch_execz .LBB1419_198
; %bb.197:
	s_waitcnt lgkmcnt(3)
	v_add_co_u32 v5, vcc_lo, v15, v35
	v_add_co_ci_u32_e64 v6, null, 0, v17, vcc_lo
.LBB1419_198:
	s_or_b32 exec_lo, exec_lo, s3
	s_waitcnt lgkmcnt(3)
	v_lshlrev_b64 v[5:6], 2, v[5:6]
	v_add_co_u32 v5, vcc_lo, s16, v5
	v_add_co_ci_u32_e64 v6, null, s17, v6, vcc_lo
	s_waitcnt lgkmcnt(2)
	global_store_dword v[5:6], v4, off
	s_or_b32 exec_lo, exec_lo, s2
	s_mov_b32 s2, exec_lo
	v_cmpx_gt_u32_e64 s15, v34
	s_cbranch_execnz .LBB1419_164
.LBB1419_199:
	s_or_b32 exec_lo, exec_lo, s2
	s_mov_b32 s2, exec_lo
	v_cmpx_gt_u32_e64 s15, v33
	s_cbranch_execz .LBB1419_205
.LBB1419_200:
	s_mov_b32 s3, exec_lo
                                        ; implicit-def: $vgpr3_vgpr4
	v_cmpx_ge_u32_e64 v33, v16
	s_xor_b32 s3, exec_lo, s3
	s_cbranch_execz .LBB1419_202
; %bb.201:
	s_waitcnt lgkmcnt(1)
	v_xor_b32_e32 v1, 0xfffff4ff, v0
                                        ; implicit-def: $vgpr33
	v_ashrrev_i32_e32 v4, 31, v1
	v_add_co_u32 v3, vcc_lo, v18, v1
	v_add_co_ci_u32_e64 v4, null, v19, v4, vcc_lo
.LBB1419_202:
	s_andn2_saveexec_b32 s3, s3
	s_cbranch_execz .LBB1419_204
; %bb.203:
	s_waitcnt lgkmcnt(2)
	v_add_co_u32 v3, vcc_lo, v15, v33
	v_add_co_ci_u32_e64 v4, null, 0, v17, vcc_lo
.LBB1419_204:
	s_or_b32 exec_lo, exec_lo, s3
	s_waitcnt lgkmcnt(2)
	v_lshlrev_b64 v[3:4], 2, v[3:4]
	v_add_co_u32 v3, vcc_lo, s16, v3
	v_add_co_ci_u32_e64 v4, null, s17, v4, vcc_lo
	s_waitcnt lgkmcnt(1)
	global_store_dword v[3:4], v2, off
.LBB1419_205:
	s_or_b32 exec_lo, exec_lo, s2
	s_mov_b32 s2, exec_lo
                                        ; implicit-def: $vgpr13_vgpr14
	v_cmpx_gt_u32_e64 s15, v32
	s_cbranch_execz .LBB1419_211
; %bb.206:
	s_mov_b32 s3, exec_lo
                                        ; implicit-def: $vgpr13_vgpr14
	v_cmpx_ge_u32_e64 v32, v16
	s_xor_b32 s3, exec_lo, s3
	s_cbranch_execz .LBB1419_208
; %bb.207:
	v_xor_b32_e32 v0, 0xfffff3ff, v0
                                        ; implicit-def: $vgpr32
	s_waitcnt lgkmcnt(1)
	v_ashrrev_i32_e32 v1, 31, v0
	v_add_co_u32 v13, vcc_lo, v18, v0
	v_add_co_ci_u32_e64 v14, null, v19, v1, vcc_lo
.LBB1419_208:
	s_andn2_saveexec_b32 s3, s3
; %bb.209:
	v_add_co_u32 v13, vcc_lo, v15, v32
	v_add_co_ci_u32_e64 v14, null, 0, v17, vcc_lo
; %bb.210:
	s_or_b32 exec_lo, exec_lo, s3
	s_or_b32 s1, s1, exec_lo
.LBB1419_211:
	s_or_b32 exec_lo, exec_lo, s2
	s_and_saveexec_b32 s2, s1
	s_cbranch_execnz .LBB1419_130
.LBB1419_212:
	s_or_b32 exec_lo, exec_lo, s2
	s_and_b32 s0, s0, s14
	s_and_saveexec_b32 s1, s0
	s_cbranch_execz .LBB1419_131
.LBB1419_213:
	v_add_co_u32 v0, vcc_lo, v15, v16
	s_waitcnt lgkmcnt(1)
	v_mov_b32_e32 v2, 0
	v_add_co_ci_u32_e64 v1, null, 0, v17, vcc_lo
	global_store_dwordx2 v2, v[0:1], s[12:13]
	s_endpgm
	.section	.rodata,"a",@progbits
	.p2align	6, 0x0
	.amdhsa_kernel _ZN7rocprim17ROCPRIM_400000_NS6detail17trampoline_kernelINS0_13select_configILj256ELj13ELNS0_17block_load_methodE3ELS4_3ELS4_3ELNS0_20block_scan_algorithmE0ELj4294967295EEENS1_25partition_config_selectorILNS1_17partition_subalgoE3EjNS0_10empty_typeEbEEZZNS1_14partition_implILS8_3ELb0ES6_jNS0_17counting_iteratorIjlEEPS9_SE_NS0_5tupleIJPjSE_EEENSF_IJSE_SE_EEES9_SG_JZNS1_25segmented_radix_sort_implINS0_14default_configELb0EPKfPfPKlPlN2at6native12_GLOBAL__N_18offset_tEEE10hipError_tPvRmT1_PNSt15iterator_traitsISY_E10value_typeET2_T3_PNSZ_IS14_E10value_typeET4_jRbjT5_S1A_jjP12ihipStream_tbEUljE_EEESV_SW_SX_S14_S18_S1A_T6_T7_T9_mT8_S1C_bDpT10_ENKUlT_T0_E_clISt17integral_constantIbLb0EES1O_IbLb1EEEEDaS1K_S1L_EUlS1K_E_NS1_11comp_targetILNS1_3genE8ELNS1_11target_archE1030ELNS1_3gpuE2ELNS1_3repE0EEENS1_30default_config_static_selectorELNS0_4arch9wavefront6targetE0EEEvSY_
		.amdhsa_group_segment_fixed_size 13320
		.amdhsa_private_segment_fixed_size 0
		.amdhsa_kernarg_size 152
		.amdhsa_user_sgpr_count 6
		.amdhsa_user_sgpr_private_segment_buffer 1
		.amdhsa_user_sgpr_dispatch_ptr 0
		.amdhsa_user_sgpr_queue_ptr 0
		.amdhsa_user_sgpr_kernarg_segment_ptr 1
		.amdhsa_user_sgpr_dispatch_id 0
		.amdhsa_user_sgpr_flat_scratch_init 0
		.amdhsa_user_sgpr_private_segment_size 0
		.amdhsa_wavefront_size32 1
		.amdhsa_uses_dynamic_stack 0
		.amdhsa_system_sgpr_private_segment_wavefront_offset 0
		.amdhsa_system_sgpr_workgroup_id_x 1
		.amdhsa_system_sgpr_workgroup_id_y 0
		.amdhsa_system_sgpr_workgroup_id_z 0
		.amdhsa_system_sgpr_workgroup_info 0
		.amdhsa_system_vgpr_workitem_id 0
		.amdhsa_next_free_vgpr 71
		.amdhsa_next_free_sgpr 26
		.amdhsa_reserve_vcc 1
		.amdhsa_reserve_flat_scratch 0
		.amdhsa_float_round_mode_32 0
		.amdhsa_float_round_mode_16_64 0
		.amdhsa_float_denorm_mode_32 3
		.amdhsa_float_denorm_mode_16_64 3
		.amdhsa_dx10_clamp 1
		.amdhsa_ieee_mode 1
		.amdhsa_fp16_overflow 0
		.amdhsa_workgroup_processor_mode 1
		.amdhsa_memory_ordered 1
		.amdhsa_forward_progress 1
		.amdhsa_shared_vgpr_count 0
		.amdhsa_exception_fp_ieee_invalid_op 0
		.amdhsa_exception_fp_denorm_src 0
		.amdhsa_exception_fp_ieee_div_zero 0
		.amdhsa_exception_fp_ieee_overflow 0
		.amdhsa_exception_fp_ieee_underflow 0
		.amdhsa_exception_fp_ieee_inexact 0
		.amdhsa_exception_int_div_zero 0
	.end_amdhsa_kernel
	.section	.text._ZN7rocprim17ROCPRIM_400000_NS6detail17trampoline_kernelINS0_13select_configILj256ELj13ELNS0_17block_load_methodE3ELS4_3ELS4_3ELNS0_20block_scan_algorithmE0ELj4294967295EEENS1_25partition_config_selectorILNS1_17partition_subalgoE3EjNS0_10empty_typeEbEEZZNS1_14partition_implILS8_3ELb0ES6_jNS0_17counting_iteratorIjlEEPS9_SE_NS0_5tupleIJPjSE_EEENSF_IJSE_SE_EEES9_SG_JZNS1_25segmented_radix_sort_implINS0_14default_configELb0EPKfPfPKlPlN2at6native12_GLOBAL__N_18offset_tEEE10hipError_tPvRmT1_PNSt15iterator_traitsISY_E10value_typeET2_T3_PNSZ_IS14_E10value_typeET4_jRbjT5_S1A_jjP12ihipStream_tbEUljE_EEESV_SW_SX_S14_S18_S1A_T6_T7_T9_mT8_S1C_bDpT10_ENKUlT_T0_E_clISt17integral_constantIbLb0EES1O_IbLb1EEEEDaS1K_S1L_EUlS1K_E_NS1_11comp_targetILNS1_3genE8ELNS1_11target_archE1030ELNS1_3gpuE2ELNS1_3repE0EEENS1_30default_config_static_selectorELNS0_4arch9wavefront6targetE0EEEvSY_,"axG",@progbits,_ZN7rocprim17ROCPRIM_400000_NS6detail17trampoline_kernelINS0_13select_configILj256ELj13ELNS0_17block_load_methodE3ELS4_3ELS4_3ELNS0_20block_scan_algorithmE0ELj4294967295EEENS1_25partition_config_selectorILNS1_17partition_subalgoE3EjNS0_10empty_typeEbEEZZNS1_14partition_implILS8_3ELb0ES6_jNS0_17counting_iteratorIjlEEPS9_SE_NS0_5tupleIJPjSE_EEENSF_IJSE_SE_EEES9_SG_JZNS1_25segmented_radix_sort_implINS0_14default_configELb0EPKfPfPKlPlN2at6native12_GLOBAL__N_18offset_tEEE10hipError_tPvRmT1_PNSt15iterator_traitsISY_E10value_typeET2_T3_PNSZ_IS14_E10value_typeET4_jRbjT5_S1A_jjP12ihipStream_tbEUljE_EEESV_SW_SX_S14_S18_S1A_T6_T7_T9_mT8_S1C_bDpT10_ENKUlT_T0_E_clISt17integral_constantIbLb0EES1O_IbLb1EEEEDaS1K_S1L_EUlS1K_E_NS1_11comp_targetILNS1_3genE8ELNS1_11target_archE1030ELNS1_3gpuE2ELNS1_3repE0EEENS1_30default_config_static_selectorELNS0_4arch9wavefront6targetE0EEEvSY_,comdat
.Lfunc_end1419:
	.size	_ZN7rocprim17ROCPRIM_400000_NS6detail17trampoline_kernelINS0_13select_configILj256ELj13ELNS0_17block_load_methodE3ELS4_3ELS4_3ELNS0_20block_scan_algorithmE0ELj4294967295EEENS1_25partition_config_selectorILNS1_17partition_subalgoE3EjNS0_10empty_typeEbEEZZNS1_14partition_implILS8_3ELb0ES6_jNS0_17counting_iteratorIjlEEPS9_SE_NS0_5tupleIJPjSE_EEENSF_IJSE_SE_EEES9_SG_JZNS1_25segmented_radix_sort_implINS0_14default_configELb0EPKfPfPKlPlN2at6native12_GLOBAL__N_18offset_tEEE10hipError_tPvRmT1_PNSt15iterator_traitsISY_E10value_typeET2_T3_PNSZ_IS14_E10value_typeET4_jRbjT5_S1A_jjP12ihipStream_tbEUljE_EEESV_SW_SX_S14_S18_S1A_T6_T7_T9_mT8_S1C_bDpT10_ENKUlT_T0_E_clISt17integral_constantIbLb0EES1O_IbLb1EEEEDaS1K_S1L_EUlS1K_E_NS1_11comp_targetILNS1_3genE8ELNS1_11target_archE1030ELNS1_3gpuE2ELNS1_3repE0EEENS1_30default_config_static_selectorELNS0_4arch9wavefront6targetE0EEEvSY_, .Lfunc_end1419-_ZN7rocprim17ROCPRIM_400000_NS6detail17trampoline_kernelINS0_13select_configILj256ELj13ELNS0_17block_load_methodE3ELS4_3ELS4_3ELNS0_20block_scan_algorithmE0ELj4294967295EEENS1_25partition_config_selectorILNS1_17partition_subalgoE3EjNS0_10empty_typeEbEEZZNS1_14partition_implILS8_3ELb0ES6_jNS0_17counting_iteratorIjlEEPS9_SE_NS0_5tupleIJPjSE_EEENSF_IJSE_SE_EEES9_SG_JZNS1_25segmented_radix_sort_implINS0_14default_configELb0EPKfPfPKlPlN2at6native12_GLOBAL__N_18offset_tEEE10hipError_tPvRmT1_PNSt15iterator_traitsISY_E10value_typeET2_T3_PNSZ_IS14_E10value_typeET4_jRbjT5_S1A_jjP12ihipStream_tbEUljE_EEESV_SW_SX_S14_S18_S1A_T6_T7_T9_mT8_S1C_bDpT10_ENKUlT_T0_E_clISt17integral_constantIbLb0EES1O_IbLb1EEEEDaS1K_S1L_EUlS1K_E_NS1_11comp_targetILNS1_3genE8ELNS1_11target_archE1030ELNS1_3gpuE2ELNS1_3repE0EEENS1_30default_config_static_selectorELNS0_4arch9wavefront6targetE0EEEvSY_
                                        ; -- End function
	.set _ZN7rocprim17ROCPRIM_400000_NS6detail17trampoline_kernelINS0_13select_configILj256ELj13ELNS0_17block_load_methodE3ELS4_3ELS4_3ELNS0_20block_scan_algorithmE0ELj4294967295EEENS1_25partition_config_selectorILNS1_17partition_subalgoE3EjNS0_10empty_typeEbEEZZNS1_14partition_implILS8_3ELb0ES6_jNS0_17counting_iteratorIjlEEPS9_SE_NS0_5tupleIJPjSE_EEENSF_IJSE_SE_EEES9_SG_JZNS1_25segmented_radix_sort_implINS0_14default_configELb0EPKfPfPKlPlN2at6native12_GLOBAL__N_18offset_tEEE10hipError_tPvRmT1_PNSt15iterator_traitsISY_E10value_typeET2_T3_PNSZ_IS14_E10value_typeET4_jRbjT5_S1A_jjP12ihipStream_tbEUljE_EEESV_SW_SX_S14_S18_S1A_T6_T7_T9_mT8_S1C_bDpT10_ENKUlT_T0_E_clISt17integral_constantIbLb0EES1O_IbLb1EEEEDaS1K_S1L_EUlS1K_E_NS1_11comp_targetILNS1_3genE8ELNS1_11target_archE1030ELNS1_3gpuE2ELNS1_3repE0EEENS1_30default_config_static_selectorELNS0_4arch9wavefront6targetE0EEEvSY_.num_vgpr, 71
	.set _ZN7rocprim17ROCPRIM_400000_NS6detail17trampoline_kernelINS0_13select_configILj256ELj13ELNS0_17block_load_methodE3ELS4_3ELS4_3ELNS0_20block_scan_algorithmE0ELj4294967295EEENS1_25partition_config_selectorILNS1_17partition_subalgoE3EjNS0_10empty_typeEbEEZZNS1_14partition_implILS8_3ELb0ES6_jNS0_17counting_iteratorIjlEEPS9_SE_NS0_5tupleIJPjSE_EEENSF_IJSE_SE_EEES9_SG_JZNS1_25segmented_radix_sort_implINS0_14default_configELb0EPKfPfPKlPlN2at6native12_GLOBAL__N_18offset_tEEE10hipError_tPvRmT1_PNSt15iterator_traitsISY_E10value_typeET2_T3_PNSZ_IS14_E10value_typeET4_jRbjT5_S1A_jjP12ihipStream_tbEUljE_EEESV_SW_SX_S14_S18_S1A_T6_T7_T9_mT8_S1C_bDpT10_ENKUlT_T0_E_clISt17integral_constantIbLb0EES1O_IbLb1EEEEDaS1K_S1L_EUlS1K_E_NS1_11comp_targetILNS1_3genE8ELNS1_11target_archE1030ELNS1_3gpuE2ELNS1_3repE0EEENS1_30default_config_static_selectorELNS0_4arch9wavefront6targetE0EEEvSY_.num_agpr, 0
	.set _ZN7rocprim17ROCPRIM_400000_NS6detail17trampoline_kernelINS0_13select_configILj256ELj13ELNS0_17block_load_methodE3ELS4_3ELS4_3ELNS0_20block_scan_algorithmE0ELj4294967295EEENS1_25partition_config_selectorILNS1_17partition_subalgoE3EjNS0_10empty_typeEbEEZZNS1_14partition_implILS8_3ELb0ES6_jNS0_17counting_iteratorIjlEEPS9_SE_NS0_5tupleIJPjSE_EEENSF_IJSE_SE_EEES9_SG_JZNS1_25segmented_radix_sort_implINS0_14default_configELb0EPKfPfPKlPlN2at6native12_GLOBAL__N_18offset_tEEE10hipError_tPvRmT1_PNSt15iterator_traitsISY_E10value_typeET2_T3_PNSZ_IS14_E10value_typeET4_jRbjT5_S1A_jjP12ihipStream_tbEUljE_EEESV_SW_SX_S14_S18_S1A_T6_T7_T9_mT8_S1C_bDpT10_ENKUlT_T0_E_clISt17integral_constantIbLb0EES1O_IbLb1EEEEDaS1K_S1L_EUlS1K_E_NS1_11comp_targetILNS1_3genE8ELNS1_11target_archE1030ELNS1_3gpuE2ELNS1_3repE0EEENS1_30default_config_static_selectorELNS0_4arch9wavefront6targetE0EEEvSY_.numbered_sgpr, 26
	.set _ZN7rocprim17ROCPRIM_400000_NS6detail17trampoline_kernelINS0_13select_configILj256ELj13ELNS0_17block_load_methodE3ELS4_3ELS4_3ELNS0_20block_scan_algorithmE0ELj4294967295EEENS1_25partition_config_selectorILNS1_17partition_subalgoE3EjNS0_10empty_typeEbEEZZNS1_14partition_implILS8_3ELb0ES6_jNS0_17counting_iteratorIjlEEPS9_SE_NS0_5tupleIJPjSE_EEENSF_IJSE_SE_EEES9_SG_JZNS1_25segmented_radix_sort_implINS0_14default_configELb0EPKfPfPKlPlN2at6native12_GLOBAL__N_18offset_tEEE10hipError_tPvRmT1_PNSt15iterator_traitsISY_E10value_typeET2_T3_PNSZ_IS14_E10value_typeET4_jRbjT5_S1A_jjP12ihipStream_tbEUljE_EEESV_SW_SX_S14_S18_S1A_T6_T7_T9_mT8_S1C_bDpT10_ENKUlT_T0_E_clISt17integral_constantIbLb0EES1O_IbLb1EEEEDaS1K_S1L_EUlS1K_E_NS1_11comp_targetILNS1_3genE8ELNS1_11target_archE1030ELNS1_3gpuE2ELNS1_3repE0EEENS1_30default_config_static_selectorELNS0_4arch9wavefront6targetE0EEEvSY_.num_named_barrier, 0
	.set _ZN7rocprim17ROCPRIM_400000_NS6detail17trampoline_kernelINS0_13select_configILj256ELj13ELNS0_17block_load_methodE3ELS4_3ELS4_3ELNS0_20block_scan_algorithmE0ELj4294967295EEENS1_25partition_config_selectorILNS1_17partition_subalgoE3EjNS0_10empty_typeEbEEZZNS1_14partition_implILS8_3ELb0ES6_jNS0_17counting_iteratorIjlEEPS9_SE_NS0_5tupleIJPjSE_EEENSF_IJSE_SE_EEES9_SG_JZNS1_25segmented_radix_sort_implINS0_14default_configELb0EPKfPfPKlPlN2at6native12_GLOBAL__N_18offset_tEEE10hipError_tPvRmT1_PNSt15iterator_traitsISY_E10value_typeET2_T3_PNSZ_IS14_E10value_typeET4_jRbjT5_S1A_jjP12ihipStream_tbEUljE_EEESV_SW_SX_S14_S18_S1A_T6_T7_T9_mT8_S1C_bDpT10_ENKUlT_T0_E_clISt17integral_constantIbLb0EES1O_IbLb1EEEEDaS1K_S1L_EUlS1K_E_NS1_11comp_targetILNS1_3genE8ELNS1_11target_archE1030ELNS1_3gpuE2ELNS1_3repE0EEENS1_30default_config_static_selectorELNS0_4arch9wavefront6targetE0EEEvSY_.private_seg_size, 0
	.set _ZN7rocprim17ROCPRIM_400000_NS6detail17trampoline_kernelINS0_13select_configILj256ELj13ELNS0_17block_load_methodE3ELS4_3ELS4_3ELNS0_20block_scan_algorithmE0ELj4294967295EEENS1_25partition_config_selectorILNS1_17partition_subalgoE3EjNS0_10empty_typeEbEEZZNS1_14partition_implILS8_3ELb0ES6_jNS0_17counting_iteratorIjlEEPS9_SE_NS0_5tupleIJPjSE_EEENSF_IJSE_SE_EEES9_SG_JZNS1_25segmented_radix_sort_implINS0_14default_configELb0EPKfPfPKlPlN2at6native12_GLOBAL__N_18offset_tEEE10hipError_tPvRmT1_PNSt15iterator_traitsISY_E10value_typeET2_T3_PNSZ_IS14_E10value_typeET4_jRbjT5_S1A_jjP12ihipStream_tbEUljE_EEESV_SW_SX_S14_S18_S1A_T6_T7_T9_mT8_S1C_bDpT10_ENKUlT_T0_E_clISt17integral_constantIbLb0EES1O_IbLb1EEEEDaS1K_S1L_EUlS1K_E_NS1_11comp_targetILNS1_3genE8ELNS1_11target_archE1030ELNS1_3gpuE2ELNS1_3repE0EEENS1_30default_config_static_selectorELNS0_4arch9wavefront6targetE0EEEvSY_.uses_vcc, 1
	.set _ZN7rocprim17ROCPRIM_400000_NS6detail17trampoline_kernelINS0_13select_configILj256ELj13ELNS0_17block_load_methodE3ELS4_3ELS4_3ELNS0_20block_scan_algorithmE0ELj4294967295EEENS1_25partition_config_selectorILNS1_17partition_subalgoE3EjNS0_10empty_typeEbEEZZNS1_14partition_implILS8_3ELb0ES6_jNS0_17counting_iteratorIjlEEPS9_SE_NS0_5tupleIJPjSE_EEENSF_IJSE_SE_EEES9_SG_JZNS1_25segmented_radix_sort_implINS0_14default_configELb0EPKfPfPKlPlN2at6native12_GLOBAL__N_18offset_tEEE10hipError_tPvRmT1_PNSt15iterator_traitsISY_E10value_typeET2_T3_PNSZ_IS14_E10value_typeET4_jRbjT5_S1A_jjP12ihipStream_tbEUljE_EEESV_SW_SX_S14_S18_S1A_T6_T7_T9_mT8_S1C_bDpT10_ENKUlT_T0_E_clISt17integral_constantIbLb0EES1O_IbLb1EEEEDaS1K_S1L_EUlS1K_E_NS1_11comp_targetILNS1_3genE8ELNS1_11target_archE1030ELNS1_3gpuE2ELNS1_3repE0EEENS1_30default_config_static_selectorELNS0_4arch9wavefront6targetE0EEEvSY_.uses_flat_scratch, 0
	.set _ZN7rocprim17ROCPRIM_400000_NS6detail17trampoline_kernelINS0_13select_configILj256ELj13ELNS0_17block_load_methodE3ELS4_3ELS4_3ELNS0_20block_scan_algorithmE0ELj4294967295EEENS1_25partition_config_selectorILNS1_17partition_subalgoE3EjNS0_10empty_typeEbEEZZNS1_14partition_implILS8_3ELb0ES6_jNS0_17counting_iteratorIjlEEPS9_SE_NS0_5tupleIJPjSE_EEENSF_IJSE_SE_EEES9_SG_JZNS1_25segmented_radix_sort_implINS0_14default_configELb0EPKfPfPKlPlN2at6native12_GLOBAL__N_18offset_tEEE10hipError_tPvRmT1_PNSt15iterator_traitsISY_E10value_typeET2_T3_PNSZ_IS14_E10value_typeET4_jRbjT5_S1A_jjP12ihipStream_tbEUljE_EEESV_SW_SX_S14_S18_S1A_T6_T7_T9_mT8_S1C_bDpT10_ENKUlT_T0_E_clISt17integral_constantIbLb0EES1O_IbLb1EEEEDaS1K_S1L_EUlS1K_E_NS1_11comp_targetILNS1_3genE8ELNS1_11target_archE1030ELNS1_3gpuE2ELNS1_3repE0EEENS1_30default_config_static_selectorELNS0_4arch9wavefront6targetE0EEEvSY_.has_dyn_sized_stack, 0
	.set _ZN7rocprim17ROCPRIM_400000_NS6detail17trampoline_kernelINS0_13select_configILj256ELj13ELNS0_17block_load_methodE3ELS4_3ELS4_3ELNS0_20block_scan_algorithmE0ELj4294967295EEENS1_25partition_config_selectorILNS1_17partition_subalgoE3EjNS0_10empty_typeEbEEZZNS1_14partition_implILS8_3ELb0ES6_jNS0_17counting_iteratorIjlEEPS9_SE_NS0_5tupleIJPjSE_EEENSF_IJSE_SE_EEES9_SG_JZNS1_25segmented_radix_sort_implINS0_14default_configELb0EPKfPfPKlPlN2at6native12_GLOBAL__N_18offset_tEEE10hipError_tPvRmT1_PNSt15iterator_traitsISY_E10value_typeET2_T3_PNSZ_IS14_E10value_typeET4_jRbjT5_S1A_jjP12ihipStream_tbEUljE_EEESV_SW_SX_S14_S18_S1A_T6_T7_T9_mT8_S1C_bDpT10_ENKUlT_T0_E_clISt17integral_constantIbLb0EES1O_IbLb1EEEEDaS1K_S1L_EUlS1K_E_NS1_11comp_targetILNS1_3genE8ELNS1_11target_archE1030ELNS1_3gpuE2ELNS1_3repE0EEENS1_30default_config_static_selectorELNS0_4arch9wavefront6targetE0EEEvSY_.has_recursion, 0
	.set _ZN7rocprim17ROCPRIM_400000_NS6detail17trampoline_kernelINS0_13select_configILj256ELj13ELNS0_17block_load_methodE3ELS4_3ELS4_3ELNS0_20block_scan_algorithmE0ELj4294967295EEENS1_25partition_config_selectorILNS1_17partition_subalgoE3EjNS0_10empty_typeEbEEZZNS1_14partition_implILS8_3ELb0ES6_jNS0_17counting_iteratorIjlEEPS9_SE_NS0_5tupleIJPjSE_EEENSF_IJSE_SE_EEES9_SG_JZNS1_25segmented_radix_sort_implINS0_14default_configELb0EPKfPfPKlPlN2at6native12_GLOBAL__N_18offset_tEEE10hipError_tPvRmT1_PNSt15iterator_traitsISY_E10value_typeET2_T3_PNSZ_IS14_E10value_typeET4_jRbjT5_S1A_jjP12ihipStream_tbEUljE_EEESV_SW_SX_S14_S18_S1A_T6_T7_T9_mT8_S1C_bDpT10_ENKUlT_T0_E_clISt17integral_constantIbLb0EES1O_IbLb1EEEEDaS1K_S1L_EUlS1K_E_NS1_11comp_targetILNS1_3genE8ELNS1_11target_archE1030ELNS1_3gpuE2ELNS1_3repE0EEENS1_30default_config_static_selectorELNS0_4arch9wavefront6targetE0EEEvSY_.has_indirect_call, 0
	.section	.AMDGPU.csdata,"",@progbits
; Kernel info:
; codeLenInByte = 8704
; TotalNumSgprs: 28
; NumVgprs: 71
; ScratchSize: 0
; MemoryBound: 0
; FloatMode: 240
; IeeeMode: 1
; LDSByteSize: 13320 bytes/workgroup (compile time only)
; SGPRBlocks: 0
; VGPRBlocks: 8
; NumSGPRsForWavesPerEU: 28
; NumVGPRsForWavesPerEU: 71
; Occupancy: 12
; WaveLimiterHint : 0
; COMPUTE_PGM_RSRC2:SCRATCH_EN: 0
; COMPUTE_PGM_RSRC2:USER_SGPR: 6
; COMPUTE_PGM_RSRC2:TRAP_HANDLER: 0
; COMPUTE_PGM_RSRC2:TGID_X_EN: 1
; COMPUTE_PGM_RSRC2:TGID_Y_EN: 0
; COMPUTE_PGM_RSRC2:TGID_Z_EN: 0
; COMPUTE_PGM_RSRC2:TIDIG_COMP_CNT: 0
	.section	.text._ZN7rocprim17ROCPRIM_400000_NS6detail17trampoline_kernelINS0_14default_configENS1_36segmented_radix_sort_config_selectorIflEEZNS1_25segmented_radix_sort_implIS3_Lb0EPKfPfPKlPlN2at6native12_GLOBAL__N_18offset_tEEE10hipError_tPvRmT1_PNSt15iterator_traitsISK_E10value_typeET2_T3_PNSL_ISQ_E10value_typeET4_jRbjT5_SW_jjP12ihipStream_tbEUlT_E_NS1_11comp_targetILNS1_3genE0ELNS1_11target_archE4294967295ELNS1_3gpuE0ELNS1_3repE0EEENS1_30default_config_static_selectorELNS0_4arch9wavefront6targetE0EEEvSK_,"axG",@progbits,_ZN7rocprim17ROCPRIM_400000_NS6detail17trampoline_kernelINS0_14default_configENS1_36segmented_radix_sort_config_selectorIflEEZNS1_25segmented_radix_sort_implIS3_Lb0EPKfPfPKlPlN2at6native12_GLOBAL__N_18offset_tEEE10hipError_tPvRmT1_PNSt15iterator_traitsISK_E10value_typeET2_T3_PNSL_ISQ_E10value_typeET4_jRbjT5_SW_jjP12ihipStream_tbEUlT_E_NS1_11comp_targetILNS1_3genE0ELNS1_11target_archE4294967295ELNS1_3gpuE0ELNS1_3repE0EEENS1_30default_config_static_selectorELNS0_4arch9wavefront6targetE0EEEvSK_,comdat
	.globl	_ZN7rocprim17ROCPRIM_400000_NS6detail17trampoline_kernelINS0_14default_configENS1_36segmented_radix_sort_config_selectorIflEEZNS1_25segmented_radix_sort_implIS3_Lb0EPKfPfPKlPlN2at6native12_GLOBAL__N_18offset_tEEE10hipError_tPvRmT1_PNSt15iterator_traitsISK_E10value_typeET2_T3_PNSL_ISQ_E10value_typeET4_jRbjT5_SW_jjP12ihipStream_tbEUlT_E_NS1_11comp_targetILNS1_3genE0ELNS1_11target_archE4294967295ELNS1_3gpuE0ELNS1_3repE0EEENS1_30default_config_static_selectorELNS0_4arch9wavefront6targetE0EEEvSK_ ; -- Begin function _ZN7rocprim17ROCPRIM_400000_NS6detail17trampoline_kernelINS0_14default_configENS1_36segmented_radix_sort_config_selectorIflEEZNS1_25segmented_radix_sort_implIS3_Lb0EPKfPfPKlPlN2at6native12_GLOBAL__N_18offset_tEEE10hipError_tPvRmT1_PNSt15iterator_traitsISK_E10value_typeET2_T3_PNSL_ISQ_E10value_typeET4_jRbjT5_SW_jjP12ihipStream_tbEUlT_E_NS1_11comp_targetILNS1_3genE0ELNS1_11target_archE4294967295ELNS1_3gpuE0ELNS1_3repE0EEENS1_30default_config_static_selectorELNS0_4arch9wavefront6targetE0EEEvSK_
	.p2align	8
	.type	_ZN7rocprim17ROCPRIM_400000_NS6detail17trampoline_kernelINS0_14default_configENS1_36segmented_radix_sort_config_selectorIflEEZNS1_25segmented_radix_sort_implIS3_Lb0EPKfPfPKlPlN2at6native12_GLOBAL__N_18offset_tEEE10hipError_tPvRmT1_PNSt15iterator_traitsISK_E10value_typeET2_T3_PNSL_ISQ_E10value_typeET4_jRbjT5_SW_jjP12ihipStream_tbEUlT_E_NS1_11comp_targetILNS1_3genE0ELNS1_11target_archE4294967295ELNS1_3gpuE0ELNS1_3repE0EEENS1_30default_config_static_selectorELNS0_4arch9wavefront6targetE0EEEvSK_,@function
_ZN7rocprim17ROCPRIM_400000_NS6detail17trampoline_kernelINS0_14default_configENS1_36segmented_radix_sort_config_selectorIflEEZNS1_25segmented_radix_sort_implIS3_Lb0EPKfPfPKlPlN2at6native12_GLOBAL__N_18offset_tEEE10hipError_tPvRmT1_PNSt15iterator_traitsISK_E10value_typeET2_T3_PNSL_ISQ_E10value_typeET4_jRbjT5_SW_jjP12ihipStream_tbEUlT_E_NS1_11comp_targetILNS1_3genE0ELNS1_11target_archE4294967295ELNS1_3gpuE0ELNS1_3repE0EEENS1_30default_config_static_selectorELNS0_4arch9wavefront6targetE0EEEvSK_: ; @_ZN7rocprim17ROCPRIM_400000_NS6detail17trampoline_kernelINS0_14default_configENS1_36segmented_radix_sort_config_selectorIflEEZNS1_25segmented_radix_sort_implIS3_Lb0EPKfPfPKlPlN2at6native12_GLOBAL__N_18offset_tEEE10hipError_tPvRmT1_PNSt15iterator_traitsISK_E10value_typeET2_T3_PNSL_ISQ_E10value_typeET4_jRbjT5_SW_jjP12ihipStream_tbEUlT_E_NS1_11comp_targetILNS1_3genE0ELNS1_11target_archE4294967295ELNS1_3gpuE0ELNS1_3repE0EEENS1_30default_config_static_selectorELNS0_4arch9wavefront6targetE0EEEvSK_
; %bb.0:
	.section	.rodata,"a",@progbits
	.p2align	6, 0x0
	.amdhsa_kernel _ZN7rocprim17ROCPRIM_400000_NS6detail17trampoline_kernelINS0_14default_configENS1_36segmented_radix_sort_config_selectorIflEEZNS1_25segmented_radix_sort_implIS3_Lb0EPKfPfPKlPlN2at6native12_GLOBAL__N_18offset_tEEE10hipError_tPvRmT1_PNSt15iterator_traitsISK_E10value_typeET2_T3_PNSL_ISQ_E10value_typeET4_jRbjT5_SW_jjP12ihipStream_tbEUlT_E_NS1_11comp_targetILNS1_3genE0ELNS1_11target_archE4294967295ELNS1_3gpuE0ELNS1_3repE0EEENS1_30default_config_static_selectorELNS0_4arch9wavefront6targetE0EEEvSK_
		.amdhsa_group_segment_fixed_size 0
		.amdhsa_private_segment_fixed_size 0
		.amdhsa_kernarg_size 96
		.amdhsa_user_sgpr_count 6
		.amdhsa_user_sgpr_private_segment_buffer 1
		.amdhsa_user_sgpr_dispatch_ptr 0
		.amdhsa_user_sgpr_queue_ptr 0
		.amdhsa_user_sgpr_kernarg_segment_ptr 1
		.amdhsa_user_sgpr_dispatch_id 0
		.amdhsa_user_sgpr_flat_scratch_init 0
		.amdhsa_user_sgpr_private_segment_size 0
		.amdhsa_wavefront_size32 1
		.amdhsa_uses_dynamic_stack 0
		.amdhsa_system_sgpr_private_segment_wavefront_offset 0
		.amdhsa_system_sgpr_workgroup_id_x 1
		.amdhsa_system_sgpr_workgroup_id_y 0
		.amdhsa_system_sgpr_workgroup_id_z 0
		.amdhsa_system_sgpr_workgroup_info 0
		.amdhsa_system_vgpr_workitem_id 0
		.amdhsa_next_free_vgpr 1
		.amdhsa_next_free_sgpr 1
		.amdhsa_reserve_vcc 0
		.amdhsa_reserve_flat_scratch 0
		.amdhsa_float_round_mode_32 0
		.amdhsa_float_round_mode_16_64 0
		.amdhsa_float_denorm_mode_32 3
		.amdhsa_float_denorm_mode_16_64 3
		.amdhsa_dx10_clamp 1
		.amdhsa_ieee_mode 1
		.amdhsa_fp16_overflow 0
		.amdhsa_workgroup_processor_mode 1
		.amdhsa_memory_ordered 1
		.amdhsa_forward_progress 1
		.amdhsa_shared_vgpr_count 0
		.amdhsa_exception_fp_ieee_invalid_op 0
		.amdhsa_exception_fp_denorm_src 0
		.amdhsa_exception_fp_ieee_div_zero 0
		.amdhsa_exception_fp_ieee_overflow 0
		.amdhsa_exception_fp_ieee_underflow 0
		.amdhsa_exception_fp_ieee_inexact 0
		.amdhsa_exception_int_div_zero 0
	.end_amdhsa_kernel
	.section	.text._ZN7rocprim17ROCPRIM_400000_NS6detail17trampoline_kernelINS0_14default_configENS1_36segmented_radix_sort_config_selectorIflEEZNS1_25segmented_radix_sort_implIS3_Lb0EPKfPfPKlPlN2at6native12_GLOBAL__N_18offset_tEEE10hipError_tPvRmT1_PNSt15iterator_traitsISK_E10value_typeET2_T3_PNSL_ISQ_E10value_typeET4_jRbjT5_SW_jjP12ihipStream_tbEUlT_E_NS1_11comp_targetILNS1_3genE0ELNS1_11target_archE4294967295ELNS1_3gpuE0ELNS1_3repE0EEENS1_30default_config_static_selectorELNS0_4arch9wavefront6targetE0EEEvSK_,"axG",@progbits,_ZN7rocprim17ROCPRIM_400000_NS6detail17trampoline_kernelINS0_14default_configENS1_36segmented_radix_sort_config_selectorIflEEZNS1_25segmented_radix_sort_implIS3_Lb0EPKfPfPKlPlN2at6native12_GLOBAL__N_18offset_tEEE10hipError_tPvRmT1_PNSt15iterator_traitsISK_E10value_typeET2_T3_PNSL_ISQ_E10value_typeET4_jRbjT5_SW_jjP12ihipStream_tbEUlT_E_NS1_11comp_targetILNS1_3genE0ELNS1_11target_archE4294967295ELNS1_3gpuE0ELNS1_3repE0EEENS1_30default_config_static_selectorELNS0_4arch9wavefront6targetE0EEEvSK_,comdat
.Lfunc_end1420:
	.size	_ZN7rocprim17ROCPRIM_400000_NS6detail17trampoline_kernelINS0_14default_configENS1_36segmented_radix_sort_config_selectorIflEEZNS1_25segmented_radix_sort_implIS3_Lb0EPKfPfPKlPlN2at6native12_GLOBAL__N_18offset_tEEE10hipError_tPvRmT1_PNSt15iterator_traitsISK_E10value_typeET2_T3_PNSL_ISQ_E10value_typeET4_jRbjT5_SW_jjP12ihipStream_tbEUlT_E_NS1_11comp_targetILNS1_3genE0ELNS1_11target_archE4294967295ELNS1_3gpuE0ELNS1_3repE0EEENS1_30default_config_static_selectorELNS0_4arch9wavefront6targetE0EEEvSK_, .Lfunc_end1420-_ZN7rocprim17ROCPRIM_400000_NS6detail17trampoline_kernelINS0_14default_configENS1_36segmented_radix_sort_config_selectorIflEEZNS1_25segmented_radix_sort_implIS3_Lb0EPKfPfPKlPlN2at6native12_GLOBAL__N_18offset_tEEE10hipError_tPvRmT1_PNSt15iterator_traitsISK_E10value_typeET2_T3_PNSL_ISQ_E10value_typeET4_jRbjT5_SW_jjP12ihipStream_tbEUlT_E_NS1_11comp_targetILNS1_3genE0ELNS1_11target_archE4294967295ELNS1_3gpuE0ELNS1_3repE0EEENS1_30default_config_static_selectorELNS0_4arch9wavefront6targetE0EEEvSK_
                                        ; -- End function
	.set _ZN7rocprim17ROCPRIM_400000_NS6detail17trampoline_kernelINS0_14default_configENS1_36segmented_radix_sort_config_selectorIflEEZNS1_25segmented_radix_sort_implIS3_Lb0EPKfPfPKlPlN2at6native12_GLOBAL__N_18offset_tEEE10hipError_tPvRmT1_PNSt15iterator_traitsISK_E10value_typeET2_T3_PNSL_ISQ_E10value_typeET4_jRbjT5_SW_jjP12ihipStream_tbEUlT_E_NS1_11comp_targetILNS1_3genE0ELNS1_11target_archE4294967295ELNS1_3gpuE0ELNS1_3repE0EEENS1_30default_config_static_selectorELNS0_4arch9wavefront6targetE0EEEvSK_.num_vgpr, 0
	.set _ZN7rocprim17ROCPRIM_400000_NS6detail17trampoline_kernelINS0_14default_configENS1_36segmented_radix_sort_config_selectorIflEEZNS1_25segmented_radix_sort_implIS3_Lb0EPKfPfPKlPlN2at6native12_GLOBAL__N_18offset_tEEE10hipError_tPvRmT1_PNSt15iterator_traitsISK_E10value_typeET2_T3_PNSL_ISQ_E10value_typeET4_jRbjT5_SW_jjP12ihipStream_tbEUlT_E_NS1_11comp_targetILNS1_3genE0ELNS1_11target_archE4294967295ELNS1_3gpuE0ELNS1_3repE0EEENS1_30default_config_static_selectorELNS0_4arch9wavefront6targetE0EEEvSK_.num_agpr, 0
	.set _ZN7rocprim17ROCPRIM_400000_NS6detail17trampoline_kernelINS0_14default_configENS1_36segmented_radix_sort_config_selectorIflEEZNS1_25segmented_radix_sort_implIS3_Lb0EPKfPfPKlPlN2at6native12_GLOBAL__N_18offset_tEEE10hipError_tPvRmT1_PNSt15iterator_traitsISK_E10value_typeET2_T3_PNSL_ISQ_E10value_typeET4_jRbjT5_SW_jjP12ihipStream_tbEUlT_E_NS1_11comp_targetILNS1_3genE0ELNS1_11target_archE4294967295ELNS1_3gpuE0ELNS1_3repE0EEENS1_30default_config_static_selectorELNS0_4arch9wavefront6targetE0EEEvSK_.numbered_sgpr, 0
	.set _ZN7rocprim17ROCPRIM_400000_NS6detail17trampoline_kernelINS0_14default_configENS1_36segmented_radix_sort_config_selectorIflEEZNS1_25segmented_radix_sort_implIS3_Lb0EPKfPfPKlPlN2at6native12_GLOBAL__N_18offset_tEEE10hipError_tPvRmT1_PNSt15iterator_traitsISK_E10value_typeET2_T3_PNSL_ISQ_E10value_typeET4_jRbjT5_SW_jjP12ihipStream_tbEUlT_E_NS1_11comp_targetILNS1_3genE0ELNS1_11target_archE4294967295ELNS1_3gpuE0ELNS1_3repE0EEENS1_30default_config_static_selectorELNS0_4arch9wavefront6targetE0EEEvSK_.num_named_barrier, 0
	.set _ZN7rocprim17ROCPRIM_400000_NS6detail17trampoline_kernelINS0_14default_configENS1_36segmented_radix_sort_config_selectorIflEEZNS1_25segmented_radix_sort_implIS3_Lb0EPKfPfPKlPlN2at6native12_GLOBAL__N_18offset_tEEE10hipError_tPvRmT1_PNSt15iterator_traitsISK_E10value_typeET2_T3_PNSL_ISQ_E10value_typeET4_jRbjT5_SW_jjP12ihipStream_tbEUlT_E_NS1_11comp_targetILNS1_3genE0ELNS1_11target_archE4294967295ELNS1_3gpuE0ELNS1_3repE0EEENS1_30default_config_static_selectorELNS0_4arch9wavefront6targetE0EEEvSK_.private_seg_size, 0
	.set _ZN7rocprim17ROCPRIM_400000_NS6detail17trampoline_kernelINS0_14default_configENS1_36segmented_radix_sort_config_selectorIflEEZNS1_25segmented_radix_sort_implIS3_Lb0EPKfPfPKlPlN2at6native12_GLOBAL__N_18offset_tEEE10hipError_tPvRmT1_PNSt15iterator_traitsISK_E10value_typeET2_T3_PNSL_ISQ_E10value_typeET4_jRbjT5_SW_jjP12ihipStream_tbEUlT_E_NS1_11comp_targetILNS1_3genE0ELNS1_11target_archE4294967295ELNS1_3gpuE0ELNS1_3repE0EEENS1_30default_config_static_selectorELNS0_4arch9wavefront6targetE0EEEvSK_.uses_vcc, 0
	.set _ZN7rocprim17ROCPRIM_400000_NS6detail17trampoline_kernelINS0_14default_configENS1_36segmented_radix_sort_config_selectorIflEEZNS1_25segmented_radix_sort_implIS3_Lb0EPKfPfPKlPlN2at6native12_GLOBAL__N_18offset_tEEE10hipError_tPvRmT1_PNSt15iterator_traitsISK_E10value_typeET2_T3_PNSL_ISQ_E10value_typeET4_jRbjT5_SW_jjP12ihipStream_tbEUlT_E_NS1_11comp_targetILNS1_3genE0ELNS1_11target_archE4294967295ELNS1_3gpuE0ELNS1_3repE0EEENS1_30default_config_static_selectorELNS0_4arch9wavefront6targetE0EEEvSK_.uses_flat_scratch, 0
	.set _ZN7rocprim17ROCPRIM_400000_NS6detail17trampoline_kernelINS0_14default_configENS1_36segmented_radix_sort_config_selectorIflEEZNS1_25segmented_radix_sort_implIS3_Lb0EPKfPfPKlPlN2at6native12_GLOBAL__N_18offset_tEEE10hipError_tPvRmT1_PNSt15iterator_traitsISK_E10value_typeET2_T3_PNSL_ISQ_E10value_typeET4_jRbjT5_SW_jjP12ihipStream_tbEUlT_E_NS1_11comp_targetILNS1_3genE0ELNS1_11target_archE4294967295ELNS1_3gpuE0ELNS1_3repE0EEENS1_30default_config_static_selectorELNS0_4arch9wavefront6targetE0EEEvSK_.has_dyn_sized_stack, 0
	.set _ZN7rocprim17ROCPRIM_400000_NS6detail17trampoline_kernelINS0_14default_configENS1_36segmented_radix_sort_config_selectorIflEEZNS1_25segmented_radix_sort_implIS3_Lb0EPKfPfPKlPlN2at6native12_GLOBAL__N_18offset_tEEE10hipError_tPvRmT1_PNSt15iterator_traitsISK_E10value_typeET2_T3_PNSL_ISQ_E10value_typeET4_jRbjT5_SW_jjP12ihipStream_tbEUlT_E_NS1_11comp_targetILNS1_3genE0ELNS1_11target_archE4294967295ELNS1_3gpuE0ELNS1_3repE0EEENS1_30default_config_static_selectorELNS0_4arch9wavefront6targetE0EEEvSK_.has_recursion, 0
	.set _ZN7rocprim17ROCPRIM_400000_NS6detail17trampoline_kernelINS0_14default_configENS1_36segmented_radix_sort_config_selectorIflEEZNS1_25segmented_radix_sort_implIS3_Lb0EPKfPfPKlPlN2at6native12_GLOBAL__N_18offset_tEEE10hipError_tPvRmT1_PNSt15iterator_traitsISK_E10value_typeET2_T3_PNSL_ISQ_E10value_typeET4_jRbjT5_SW_jjP12ihipStream_tbEUlT_E_NS1_11comp_targetILNS1_3genE0ELNS1_11target_archE4294967295ELNS1_3gpuE0ELNS1_3repE0EEENS1_30default_config_static_selectorELNS0_4arch9wavefront6targetE0EEEvSK_.has_indirect_call, 0
	.section	.AMDGPU.csdata,"",@progbits
; Kernel info:
; codeLenInByte = 0
; TotalNumSgprs: 0
; NumVgprs: 0
; ScratchSize: 0
; MemoryBound: 0
; FloatMode: 240
; IeeeMode: 1
; LDSByteSize: 0 bytes/workgroup (compile time only)
; SGPRBlocks: 0
; VGPRBlocks: 0
; NumSGPRsForWavesPerEU: 1
; NumVGPRsForWavesPerEU: 1
; Occupancy: 16
; WaveLimiterHint : 0
; COMPUTE_PGM_RSRC2:SCRATCH_EN: 0
; COMPUTE_PGM_RSRC2:USER_SGPR: 6
; COMPUTE_PGM_RSRC2:TRAP_HANDLER: 0
; COMPUTE_PGM_RSRC2:TGID_X_EN: 1
; COMPUTE_PGM_RSRC2:TGID_Y_EN: 0
; COMPUTE_PGM_RSRC2:TGID_Z_EN: 0
; COMPUTE_PGM_RSRC2:TIDIG_COMP_CNT: 0
	.section	.text._ZN7rocprim17ROCPRIM_400000_NS6detail17trampoline_kernelINS0_14default_configENS1_36segmented_radix_sort_config_selectorIflEEZNS1_25segmented_radix_sort_implIS3_Lb0EPKfPfPKlPlN2at6native12_GLOBAL__N_18offset_tEEE10hipError_tPvRmT1_PNSt15iterator_traitsISK_E10value_typeET2_T3_PNSL_ISQ_E10value_typeET4_jRbjT5_SW_jjP12ihipStream_tbEUlT_E_NS1_11comp_targetILNS1_3genE5ELNS1_11target_archE942ELNS1_3gpuE9ELNS1_3repE0EEENS1_30default_config_static_selectorELNS0_4arch9wavefront6targetE0EEEvSK_,"axG",@progbits,_ZN7rocprim17ROCPRIM_400000_NS6detail17trampoline_kernelINS0_14default_configENS1_36segmented_radix_sort_config_selectorIflEEZNS1_25segmented_radix_sort_implIS3_Lb0EPKfPfPKlPlN2at6native12_GLOBAL__N_18offset_tEEE10hipError_tPvRmT1_PNSt15iterator_traitsISK_E10value_typeET2_T3_PNSL_ISQ_E10value_typeET4_jRbjT5_SW_jjP12ihipStream_tbEUlT_E_NS1_11comp_targetILNS1_3genE5ELNS1_11target_archE942ELNS1_3gpuE9ELNS1_3repE0EEENS1_30default_config_static_selectorELNS0_4arch9wavefront6targetE0EEEvSK_,comdat
	.globl	_ZN7rocprim17ROCPRIM_400000_NS6detail17trampoline_kernelINS0_14default_configENS1_36segmented_radix_sort_config_selectorIflEEZNS1_25segmented_radix_sort_implIS3_Lb0EPKfPfPKlPlN2at6native12_GLOBAL__N_18offset_tEEE10hipError_tPvRmT1_PNSt15iterator_traitsISK_E10value_typeET2_T3_PNSL_ISQ_E10value_typeET4_jRbjT5_SW_jjP12ihipStream_tbEUlT_E_NS1_11comp_targetILNS1_3genE5ELNS1_11target_archE942ELNS1_3gpuE9ELNS1_3repE0EEENS1_30default_config_static_selectorELNS0_4arch9wavefront6targetE0EEEvSK_ ; -- Begin function _ZN7rocprim17ROCPRIM_400000_NS6detail17trampoline_kernelINS0_14default_configENS1_36segmented_radix_sort_config_selectorIflEEZNS1_25segmented_radix_sort_implIS3_Lb0EPKfPfPKlPlN2at6native12_GLOBAL__N_18offset_tEEE10hipError_tPvRmT1_PNSt15iterator_traitsISK_E10value_typeET2_T3_PNSL_ISQ_E10value_typeET4_jRbjT5_SW_jjP12ihipStream_tbEUlT_E_NS1_11comp_targetILNS1_3genE5ELNS1_11target_archE942ELNS1_3gpuE9ELNS1_3repE0EEENS1_30default_config_static_selectorELNS0_4arch9wavefront6targetE0EEEvSK_
	.p2align	8
	.type	_ZN7rocprim17ROCPRIM_400000_NS6detail17trampoline_kernelINS0_14default_configENS1_36segmented_radix_sort_config_selectorIflEEZNS1_25segmented_radix_sort_implIS3_Lb0EPKfPfPKlPlN2at6native12_GLOBAL__N_18offset_tEEE10hipError_tPvRmT1_PNSt15iterator_traitsISK_E10value_typeET2_T3_PNSL_ISQ_E10value_typeET4_jRbjT5_SW_jjP12ihipStream_tbEUlT_E_NS1_11comp_targetILNS1_3genE5ELNS1_11target_archE942ELNS1_3gpuE9ELNS1_3repE0EEENS1_30default_config_static_selectorELNS0_4arch9wavefront6targetE0EEEvSK_,@function
_ZN7rocprim17ROCPRIM_400000_NS6detail17trampoline_kernelINS0_14default_configENS1_36segmented_radix_sort_config_selectorIflEEZNS1_25segmented_radix_sort_implIS3_Lb0EPKfPfPKlPlN2at6native12_GLOBAL__N_18offset_tEEE10hipError_tPvRmT1_PNSt15iterator_traitsISK_E10value_typeET2_T3_PNSL_ISQ_E10value_typeET4_jRbjT5_SW_jjP12ihipStream_tbEUlT_E_NS1_11comp_targetILNS1_3genE5ELNS1_11target_archE942ELNS1_3gpuE9ELNS1_3repE0EEENS1_30default_config_static_selectorELNS0_4arch9wavefront6targetE0EEEvSK_: ; @_ZN7rocprim17ROCPRIM_400000_NS6detail17trampoline_kernelINS0_14default_configENS1_36segmented_radix_sort_config_selectorIflEEZNS1_25segmented_radix_sort_implIS3_Lb0EPKfPfPKlPlN2at6native12_GLOBAL__N_18offset_tEEE10hipError_tPvRmT1_PNSt15iterator_traitsISK_E10value_typeET2_T3_PNSL_ISQ_E10value_typeET4_jRbjT5_SW_jjP12ihipStream_tbEUlT_E_NS1_11comp_targetILNS1_3genE5ELNS1_11target_archE942ELNS1_3gpuE9ELNS1_3repE0EEENS1_30default_config_static_selectorELNS0_4arch9wavefront6targetE0EEEvSK_
; %bb.0:
	.section	.rodata,"a",@progbits
	.p2align	6, 0x0
	.amdhsa_kernel _ZN7rocprim17ROCPRIM_400000_NS6detail17trampoline_kernelINS0_14default_configENS1_36segmented_radix_sort_config_selectorIflEEZNS1_25segmented_radix_sort_implIS3_Lb0EPKfPfPKlPlN2at6native12_GLOBAL__N_18offset_tEEE10hipError_tPvRmT1_PNSt15iterator_traitsISK_E10value_typeET2_T3_PNSL_ISQ_E10value_typeET4_jRbjT5_SW_jjP12ihipStream_tbEUlT_E_NS1_11comp_targetILNS1_3genE5ELNS1_11target_archE942ELNS1_3gpuE9ELNS1_3repE0EEENS1_30default_config_static_selectorELNS0_4arch9wavefront6targetE0EEEvSK_
		.amdhsa_group_segment_fixed_size 0
		.amdhsa_private_segment_fixed_size 0
		.amdhsa_kernarg_size 96
		.amdhsa_user_sgpr_count 6
		.amdhsa_user_sgpr_private_segment_buffer 1
		.amdhsa_user_sgpr_dispatch_ptr 0
		.amdhsa_user_sgpr_queue_ptr 0
		.amdhsa_user_sgpr_kernarg_segment_ptr 1
		.amdhsa_user_sgpr_dispatch_id 0
		.amdhsa_user_sgpr_flat_scratch_init 0
		.amdhsa_user_sgpr_private_segment_size 0
		.amdhsa_wavefront_size32 1
		.amdhsa_uses_dynamic_stack 0
		.amdhsa_system_sgpr_private_segment_wavefront_offset 0
		.amdhsa_system_sgpr_workgroup_id_x 1
		.amdhsa_system_sgpr_workgroup_id_y 0
		.amdhsa_system_sgpr_workgroup_id_z 0
		.amdhsa_system_sgpr_workgroup_info 0
		.amdhsa_system_vgpr_workitem_id 0
		.amdhsa_next_free_vgpr 1
		.amdhsa_next_free_sgpr 1
		.amdhsa_reserve_vcc 0
		.amdhsa_reserve_flat_scratch 0
		.amdhsa_float_round_mode_32 0
		.amdhsa_float_round_mode_16_64 0
		.amdhsa_float_denorm_mode_32 3
		.amdhsa_float_denorm_mode_16_64 3
		.amdhsa_dx10_clamp 1
		.amdhsa_ieee_mode 1
		.amdhsa_fp16_overflow 0
		.amdhsa_workgroup_processor_mode 1
		.amdhsa_memory_ordered 1
		.amdhsa_forward_progress 1
		.amdhsa_shared_vgpr_count 0
		.amdhsa_exception_fp_ieee_invalid_op 0
		.amdhsa_exception_fp_denorm_src 0
		.amdhsa_exception_fp_ieee_div_zero 0
		.amdhsa_exception_fp_ieee_overflow 0
		.amdhsa_exception_fp_ieee_underflow 0
		.amdhsa_exception_fp_ieee_inexact 0
		.amdhsa_exception_int_div_zero 0
	.end_amdhsa_kernel
	.section	.text._ZN7rocprim17ROCPRIM_400000_NS6detail17trampoline_kernelINS0_14default_configENS1_36segmented_radix_sort_config_selectorIflEEZNS1_25segmented_radix_sort_implIS3_Lb0EPKfPfPKlPlN2at6native12_GLOBAL__N_18offset_tEEE10hipError_tPvRmT1_PNSt15iterator_traitsISK_E10value_typeET2_T3_PNSL_ISQ_E10value_typeET4_jRbjT5_SW_jjP12ihipStream_tbEUlT_E_NS1_11comp_targetILNS1_3genE5ELNS1_11target_archE942ELNS1_3gpuE9ELNS1_3repE0EEENS1_30default_config_static_selectorELNS0_4arch9wavefront6targetE0EEEvSK_,"axG",@progbits,_ZN7rocprim17ROCPRIM_400000_NS6detail17trampoline_kernelINS0_14default_configENS1_36segmented_radix_sort_config_selectorIflEEZNS1_25segmented_radix_sort_implIS3_Lb0EPKfPfPKlPlN2at6native12_GLOBAL__N_18offset_tEEE10hipError_tPvRmT1_PNSt15iterator_traitsISK_E10value_typeET2_T3_PNSL_ISQ_E10value_typeET4_jRbjT5_SW_jjP12ihipStream_tbEUlT_E_NS1_11comp_targetILNS1_3genE5ELNS1_11target_archE942ELNS1_3gpuE9ELNS1_3repE0EEENS1_30default_config_static_selectorELNS0_4arch9wavefront6targetE0EEEvSK_,comdat
.Lfunc_end1421:
	.size	_ZN7rocprim17ROCPRIM_400000_NS6detail17trampoline_kernelINS0_14default_configENS1_36segmented_radix_sort_config_selectorIflEEZNS1_25segmented_radix_sort_implIS3_Lb0EPKfPfPKlPlN2at6native12_GLOBAL__N_18offset_tEEE10hipError_tPvRmT1_PNSt15iterator_traitsISK_E10value_typeET2_T3_PNSL_ISQ_E10value_typeET4_jRbjT5_SW_jjP12ihipStream_tbEUlT_E_NS1_11comp_targetILNS1_3genE5ELNS1_11target_archE942ELNS1_3gpuE9ELNS1_3repE0EEENS1_30default_config_static_selectorELNS0_4arch9wavefront6targetE0EEEvSK_, .Lfunc_end1421-_ZN7rocprim17ROCPRIM_400000_NS6detail17trampoline_kernelINS0_14default_configENS1_36segmented_radix_sort_config_selectorIflEEZNS1_25segmented_radix_sort_implIS3_Lb0EPKfPfPKlPlN2at6native12_GLOBAL__N_18offset_tEEE10hipError_tPvRmT1_PNSt15iterator_traitsISK_E10value_typeET2_T3_PNSL_ISQ_E10value_typeET4_jRbjT5_SW_jjP12ihipStream_tbEUlT_E_NS1_11comp_targetILNS1_3genE5ELNS1_11target_archE942ELNS1_3gpuE9ELNS1_3repE0EEENS1_30default_config_static_selectorELNS0_4arch9wavefront6targetE0EEEvSK_
                                        ; -- End function
	.set _ZN7rocprim17ROCPRIM_400000_NS6detail17trampoline_kernelINS0_14default_configENS1_36segmented_radix_sort_config_selectorIflEEZNS1_25segmented_radix_sort_implIS3_Lb0EPKfPfPKlPlN2at6native12_GLOBAL__N_18offset_tEEE10hipError_tPvRmT1_PNSt15iterator_traitsISK_E10value_typeET2_T3_PNSL_ISQ_E10value_typeET4_jRbjT5_SW_jjP12ihipStream_tbEUlT_E_NS1_11comp_targetILNS1_3genE5ELNS1_11target_archE942ELNS1_3gpuE9ELNS1_3repE0EEENS1_30default_config_static_selectorELNS0_4arch9wavefront6targetE0EEEvSK_.num_vgpr, 0
	.set _ZN7rocprim17ROCPRIM_400000_NS6detail17trampoline_kernelINS0_14default_configENS1_36segmented_radix_sort_config_selectorIflEEZNS1_25segmented_radix_sort_implIS3_Lb0EPKfPfPKlPlN2at6native12_GLOBAL__N_18offset_tEEE10hipError_tPvRmT1_PNSt15iterator_traitsISK_E10value_typeET2_T3_PNSL_ISQ_E10value_typeET4_jRbjT5_SW_jjP12ihipStream_tbEUlT_E_NS1_11comp_targetILNS1_3genE5ELNS1_11target_archE942ELNS1_3gpuE9ELNS1_3repE0EEENS1_30default_config_static_selectorELNS0_4arch9wavefront6targetE0EEEvSK_.num_agpr, 0
	.set _ZN7rocprim17ROCPRIM_400000_NS6detail17trampoline_kernelINS0_14default_configENS1_36segmented_radix_sort_config_selectorIflEEZNS1_25segmented_radix_sort_implIS3_Lb0EPKfPfPKlPlN2at6native12_GLOBAL__N_18offset_tEEE10hipError_tPvRmT1_PNSt15iterator_traitsISK_E10value_typeET2_T3_PNSL_ISQ_E10value_typeET4_jRbjT5_SW_jjP12ihipStream_tbEUlT_E_NS1_11comp_targetILNS1_3genE5ELNS1_11target_archE942ELNS1_3gpuE9ELNS1_3repE0EEENS1_30default_config_static_selectorELNS0_4arch9wavefront6targetE0EEEvSK_.numbered_sgpr, 0
	.set _ZN7rocprim17ROCPRIM_400000_NS6detail17trampoline_kernelINS0_14default_configENS1_36segmented_radix_sort_config_selectorIflEEZNS1_25segmented_radix_sort_implIS3_Lb0EPKfPfPKlPlN2at6native12_GLOBAL__N_18offset_tEEE10hipError_tPvRmT1_PNSt15iterator_traitsISK_E10value_typeET2_T3_PNSL_ISQ_E10value_typeET4_jRbjT5_SW_jjP12ihipStream_tbEUlT_E_NS1_11comp_targetILNS1_3genE5ELNS1_11target_archE942ELNS1_3gpuE9ELNS1_3repE0EEENS1_30default_config_static_selectorELNS0_4arch9wavefront6targetE0EEEvSK_.num_named_barrier, 0
	.set _ZN7rocprim17ROCPRIM_400000_NS6detail17trampoline_kernelINS0_14default_configENS1_36segmented_radix_sort_config_selectorIflEEZNS1_25segmented_radix_sort_implIS3_Lb0EPKfPfPKlPlN2at6native12_GLOBAL__N_18offset_tEEE10hipError_tPvRmT1_PNSt15iterator_traitsISK_E10value_typeET2_T3_PNSL_ISQ_E10value_typeET4_jRbjT5_SW_jjP12ihipStream_tbEUlT_E_NS1_11comp_targetILNS1_3genE5ELNS1_11target_archE942ELNS1_3gpuE9ELNS1_3repE0EEENS1_30default_config_static_selectorELNS0_4arch9wavefront6targetE0EEEvSK_.private_seg_size, 0
	.set _ZN7rocprim17ROCPRIM_400000_NS6detail17trampoline_kernelINS0_14default_configENS1_36segmented_radix_sort_config_selectorIflEEZNS1_25segmented_radix_sort_implIS3_Lb0EPKfPfPKlPlN2at6native12_GLOBAL__N_18offset_tEEE10hipError_tPvRmT1_PNSt15iterator_traitsISK_E10value_typeET2_T3_PNSL_ISQ_E10value_typeET4_jRbjT5_SW_jjP12ihipStream_tbEUlT_E_NS1_11comp_targetILNS1_3genE5ELNS1_11target_archE942ELNS1_3gpuE9ELNS1_3repE0EEENS1_30default_config_static_selectorELNS0_4arch9wavefront6targetE0EEEvSK_.uses_vcc, 0
	.set _ZN7rocprim17ROCPRIM_400000_NS6detail17trampoline_kernelINS0_14default_configENS1_36segmented_radix_sort_config_selectorIflEEZNS1_25segmented_radix_sort_implIS3_Lb0EPKfPfPKlPlN2at6native12_GLOBAL__N_18offset_tEEE10hipError_tPvRmT1_PNSt15iterator_traitsISK_E10value_typeET2_T3_PNSL_ISQ_E10value_typeET4_jRbjT5_SW_jjP12ihipStream_tbEUlT_E_NS1_11comp_targetILNS1_3genE5ELNS1_11target_archE942ELNS1_3gpuE9ELNS1_3repE0EEENS1_30default_config_static_selectorELNS0_4arch9wavefront6targetE0EEEvSK_.uses_flat_scratch, 0
	.set _ZN7rocprim17ROCPRIM_400000_NS6detail17trampoline_kernelINS0_14default_configENS1_36segmented_radix_sort_config_selectorIflEEZNS1_25segmented_radix_sort_implIS3_Lb0EPKfPfPKlPlN2at6native12_GLOBAL__N_18offset_tEEE10hipError_tPvRmT1_PNSt15iterator_traitsISK_E10value_typeET2_T3_PNSL_ISQ_E10value_typeET4_jRbjT5_SW_jjP12ihipStream_tbEUlT_E_NS1_11comp_targetILNS1_3genE5ELNS1_11target_archE942ELNS1_3gpuE9ELNS1_3repE0EEENS1_30default_config_static_selectorELNS0_4arch9wavefront6targetE0EEEvSK_.has_dyn_sized_stack, 0
	.set _ZN7rocprim17ROCPRIM_400000_NS6detail17trampoline_kernelINS0_14default_configENS1_36segmented_radix_sort_config_selectorIflEEZNS1_25segmented_radix_sort_implIS3_Lb0EPKfPfPKlPlN2at6native12_GLOBAL__N_18offset_tEEE10hipError_tPvRmT1_PNSt15iterator_traitsISK_E10value_typeET2_T3_PNSL_ISQ_E10value_typeET4_jRbjT5_SW_jjP12ihipStream_tbEUlT_E_NS1_11comp_targetILNS1_3genE5ELNS1_11target_archE942ELNS1_3gpuE9ELNS1_3repE0EEENS1_30default_config_static_selectorELNS0_4arch9wavefront6targetE0EEEvSK_.has_recursion, 0
	.set _ZN7rocprim17ROCPRIM_400000_NS6detail17trampoline_kernelINS0_14default_configENS1_36segmented_radix_sort_config_selectorIflEEZNS1_25segmented_radix_sort_implIS3_Lb0EPKfPfPKlPlN2at6native12_GLOBAL__N_18offset_tEEE10hipError_tPvRmT1_PNSt15iterator_traitsISK_E10value_typeET2_T3_PNSL_ISQ_E10value_typeET4_jRbjT5_SW_jjP12ihipStream_tbEUlT_E_NS1_11comp_targetILNS1_3genE5ELNS1_11target_archE942ELNS1_3gpuE9ELNS1_3repE0EEENS1_30default_config_static_selectorELNS0_4arch9wavefront6targetE0EEEvSK_.has_indirect_call, 0
	.section	.AMDGPU.csdata,"",@progbits
; Kernel info:
; codeLenInByte = 0
; TotalNumSgprs: 0
; NumVgprs: 0
; ScratchSize: 0
; MemoryBound: 0
; FloatMode: 240
; IeeeMode: 1
; LDSByteSize: 0 bytes/workgroup (compile time only)
; SGPRBlocks: 0
; VGPRBlocks: 0
; NumSGPRsForWavesPerEU: 1
; NumVGPRsForWavesPerEU: 1
; Occupancy: 16
; WaveLimiterHint : 0
; COMPUTE_PGM_RSRC2:SCRATCH_EN: 0
; COMPUTE_PGM_RSRC2:USER_SGPR: 6
; COMPUTE_PGM_RSRC2:TRAP_HANDLER: 0
; COMPUTE_PGM_RSRC2:TGID_X_EN: 1
; COMPUTE_PGM_RSRC2:TGID_Y_EN: 0
; COMPUTE_PGM_RSRC2:TGID_Z_EN: 0
; COMPUTE_PGM_RSRC2:TIDIG_COMP_CNT: 0
	.section	.text._ZN7rocprim17ROCPRIM_400000_NS6detail17trampoline_kernelINS0_14default_configENS1_36segmented_radix_sort_config_selectorIflEEZNS1_25segmented_radix_sort_implIS3_Lb0EPKfPfPKlPlN2at6native12_GLOBAL__N_18offset_tEEE10hipError_tPvRmT1_PNSt15iterator_traitsISK_E10value_typeET2_T3_PNSL_ISQ_E10value_typeET4_jRbjT5_SW_jjP12ihipStream_tbEUlT_E_NS1_11comp_targetILNS1_3genE4ELNS1_11target_archE910ELNS1_3gpuE8ELNS1_3repE0EEENS1_30default_config_static_selectorELNS0_4arch9wavefront6targetE0EEEvSK_,"axG",@progbits,_ZN7rocprim17ROCPRIM_400000_NS6detail17trampoline_kernelINS0_14default_configENS1_36segmented_radix_sort_config_selectorIflEEZNS1_25segmented_radix_sort_implIS3_Lb0EPKfPfPKlPlN2at6native12_GLOBAL__N_18offset_tEEE10hipError_tPvRmT1_PNSt15iterator_traitsISK_E10value_typeET2_T3_PNSL_ISQ_E10value_typeET4_jRbjT5_SW_jjP12ihipStream_tbEUlT_E_NS1_11comp_targetILNS1_3genE4ELNS1_11target_archE910ELNS1_3gpuE8ELNS1_3repE0EEENS1_30default_config_static_selectorELNS0_4arch9wavefront6targetE0EEEvSK_,comdat
	.globl	_ZN7rocprim17ROCPRIM_400000_NS6detail17trampoline_kernelINS0_14default_configENS1_36segmented_radix_sort_config_selectorIflEEZNS1_25segmented_radix_sort_implIS3_Lb0EPKfPfPKlPlN2at6native12_GLOBAL__N_18offset_tEEE10hipError_tPvRmT1_PNSt15iterator_traitsISK_E10value_typeET2_T3_PNSL_ISQ_E10value_typeET4_jRbjT5_SW_jjP12ihipStream_tbEUlT_E_NS1_11comp_targetILNS1_3genE4ELNS1_11target_archE910ELNS1_3gpuE8ELNS1_3repE0EEENS1_30default_config_static_selectorELNS0_4arch9wavefront6targetE0EEEvSK_ ; -- Begin function _ZN7rocprim17ROCPRIM_400000_NS6detail17trampoline_kernelINS0_14default_configENS1_36segmented_radix_sort_config_selectorIflEEZNS1_25segmented_radix_sort_implIS3_Lb0EPKfPfPKlPlN2at6native12_GLOBAL__N_18offset_tEEE10hipError_tPvRmT1_PNSt15iterator_traitsISK_E10value_typeET2_T3_PNSL_ISQ_E10value_typeET4_jRbjT5_SW_jjP12ihipStream_tbEUlT_E_NS1_11comp_targetILNS1_3genE4ELNS1_11target_archE910ELNS1_3gpuE8ELNS1_3repE0EEENS1_30default_config_static_selectorELNS0_4arch9wavefront6targetE0EEEvSK_
	.p2align	8
	.type	_ZN7rocprim17ROCPRIM_400000_NS6detail17trampoline_kernelINS0_14default_configENS1_36segmented_radix_sort_config_selectorIflEEZNS1_25segmented_radix_sort_implIS3_Lb0EPKfPfPKlPlN2at6native12_GLOBAL__N_18offset_tEEE10hipError_tPvRmT1_PNSt15iterator_traitsISK_E10value_typeET2_T3_PNSL_ISQ_E10value_typeET4_jRbjT5_SW_jjP12ihipStream_tbEUlT_E_NS1_11comp_targetILNS1_3genE4ELNS1_11target_archE910ELNS1_3gpuE8ELNS1_3repE0EEENS1_30default_config_static_selectorELNS0_4arch9wavefront6targetE0EEEvSK_,@function
_ZN7rocprim17ROCPRIM_400000_NS6detail17trampoline_kernelINS0_14default_configENS1_36segmented_radix_sort_config_selectorIflEEZNS1_25segmented_radix_sort_implIS3_Lb0EPKfPfPKlPlN2at6native12_GLOBAL__N_18offset_tEEE10hipError_tPvRmT1_PNSt15iterator_traitsISK_E10value_typeET2_T3_PNSL_ISQ_E10value_typeET4_jRbjT5_SW_jjP12ihipStream_tbEUlT_E_NS1_11comp_targetILNS1_3genE4ELNS1_11target_archE910ELNS1_3gpuE8ELNS1_3repE0EEENS1_30default_config_static_selectorELNS0_4arch9wavefront6targetE0EEEvSK_: ; @_ZN7rocprim17ROCPRIM_400000_NS6detail17trampoline_kernelINS0_14default_configENS1_36segmented_radix_sort_config_selectorIflEEZNS1_25segmented_radix_sort_implIS3_Lb0EPKfPfPKlPlN2at6native12_GLOBAL__N_18offset_tEEE10hipError_tPvRmT1_PNSt15iterator_traitsISK_E10value_typeET2_T3_PNSL_ISQ_E10value_typeET4_jRbjT5_SW_jjP12ihipStream_tbEUlT_E_NS1_11comp_targetILNS1_3genE4ELNS1_11target_archE910ELNS1_3gpuE8ELNS1_3repE0EEENS1_30default_config_static_selectorELNS0_4arch9wavefront6targetE0EEEvSK_
; %bb.0:
	.section	.rodata,"a",@progbits
	.p2align	6, 0x0
	.amdhsa_kernel _ZN7rocprim17ROCPRIM_400000_NS6detail17trampoline_kernelINS0_14default_configENS1_36segmented_radix_sort_config_selectorIflEEZNS1_25segmented_radix_sort_implIS3_Lb0EPKfPfPKlPlN2at6native12_GLOBAL__N_18offset_tEEE10hipError_tPvRmT1_PNSt15iterator_traitsISK_E10value_typeET2_T3_PNSL_ISQ_E10value_typeET4_jRbjT5_SW_jjP12ihipStream_tbEUlT_E_NS1_11comp_targetILNS1_3genE4ELNS1_11target_archE910ELNS1_3gpuE8ELNS1_3repE0EEENS1_30default_config_static_selectorELNS0_4arch9wavefront6targetE0EEEvSK_
		.amdhsa_group_segment_fixed_size 0
		.amdhsa_private_segment_fixed_size 0
		.amdhsa_kernarg_size 96
		.amdhsa_user_sgpr_count 6
		.amdhsa_user_sgpr_private_segment_buffer 1
		.amdhsa_user_sgpr_dispatch_ptr 0
		.amdhsa_user_sgpr_queue_ptr 0
		.amdhsa_user_sgpr_kernarg_segment_ptr 1
		.amdhsa_user_sgpr_dispatch_id 0
		.amdhsa_user_sgpr_flat_scratch_init 0
		.amdhsa_user_sgpr_private_segment_size 0
		.amdhsa_wavefront_size32 1
		.amdhsa_uses_dynamic_stack 0
		.amdhsa_system_sgpr_private_segment_wavefront_offset 0
		.amdhsa_system_sgpr_workgroup_id_x 1
		.amdhsa_system_sgpr_workgroup_id_y 0
		.amdhsa_system_sgpr_workgroup_id_z 0
		.amdhsa_system_sgpr_workgroup_info 0
		.amdhsa_system_vgpr_workitem_id 0
		.amdhsa_next_free_vgpr 1
		.amdhsa_next_free_sgpr 1
		.amdhsa_reserve_vcc 0
		.amdhsa_reserve_flat_scratch 0
		.amdhsa_float_round_mode_32 0
		.amdhsa_float_round_mode_16_64 0
		.amdhsa_float_denorm_mode_32 3
		.amdhsa_float_denorm_mode_16_64 3
		.amdhsa_dx10_clamp 1
		.amdhsa_ieee_mode 1
		.amdhsa_fp16_overflow 0
		.amdhsa_workgroup_processor_mode 1
		.amdhsa_memory_ordered 1
		.amdhsa_forward_progress 1
		.amdhsa_shared_vgpr_count 0
		.amdhsa_exception_fp_ieee_invalid_op 0
		.amdhsa_exception_fp_denorm_src 0
		.amdhsa_exception_fp_ieee_div_zero 0
		.amdhsa_exception_fp_ieee_overflow 0
		.amdhsa_exception_fp_ieee_underflow 0
		.amdhsa_exception_fp_ieee_inexact 0
		.amdhsa_exception_int_div_zero 0
	.end_amdhsa_kernel
	.section	.text._ZN7rocprim17ROCPRIM_400000_NS6detail17trampoline_kernelINS0_14default_configENS1_36segmented_radix_sort_config_selectorIflEEZNS1_25segmented_radix_sort_implIS3_Lb0EPKfPfPKlPlN2at6native12_GLOBAL__N_18offset_tEEE10hipError_tPvRmT1_PNSt15iterator_traitsISK_E10value_typeET2_T3_PNSL_ISQ_E10value_typeET4_jRbjT5_SW_jjP12ihipStream_tbEUlT_E_NS1_11comp_targetILNS1_3genE4ELNS1_11target_archE910ELNS1_3gpuE8ELNS1_3repE0EEENS1_30default_config_static_selectorELNS0_4arch9wavefront6targetE0EEEvSK_,"axG",@progbits,_ZN7rocprim17ROCPRIM_400000_NS6detail17trampoline_kernelINS0_14default_configENS1_36segmented_radix_sort_config_selectorIflEEZNS1_25segmented_radix_sort_implIS3_Lb0EPKfPfPKlPlN2at6native12_GLOBAL__N_18offset_tEEE10hipError_tPvRmT1_PNSt15iterator_traitsISK_E10value_typeET2_T3_PNSL_ISQ_E10value_typeET4_jRbjT5_SW_jjP12ihipStream_tbEUlT_E_NS1_11comp_targetILNS1_3genE4ELNS1_11target_archE910ELNS1_3gpuE8ELNS1_3repE0EEENS1_30default_config_static_selectorELNS0_4arch9wavefront6targetE0EEEvSK_,comdat
.Lfunc_end1422:
	.size	_ZN7rocprim17ROCPRIM_400000_NS6detail17trampoline_kernelINS0_14default_configENS1_36segmented_radix_sort_config_selectorIflEEZNS1_25segmented_radix_sort_implIS3_Lb0EPKfPfPKlPlN2at6native12_GLOBAL__N_18offset_tEEE10hipError_tPvRmT1_PNSt15iterator_traitsISK_E10value_typeET2_T3_PNSL_ISQ_E10value_typeET4_jRbjT5_SW_jjP12ihipStream_tbEUlT_E_NS1_11comp_targetILNS1_3genE4ELNS1_11target_archE910ELNS1_3gpuE8ELNS1_3repE0EEENS1_30default_config_static_selectorELNS0_4arch9wavefront6targetE0EEEvSK_, .Lfunc_end1422-_ZN7rocprim17ROCPRIM_400000_NS6detail17trampoline_kernelINS0_14default_configENS1_36segmented_radix_sort_config_selectorIflEEZNS1_25segmented_radix_sort_implIS3_Lb0EPKfPfPKlPlN2at6native12_GLOBAL__N_18offset_tEEE10hipError_tPvRmT1_PNSt15iterator_traitsISK_E10value_typeET2_T3_PNSL_ISQ_E10value_typeET4_jRbjT5_SW_jjP12ihipStream_tbEUlT_E_NS1_11comp_targetILNS1_3genE4ELNS1_11target_archE910ELNS1_3gpuE8ELNS1_3repE0EEENS1_30default_config_static_selectorELNS0_4arch9wavefront6targetE0EEEvSK_
                                        ; -- End function
	.set _ZN7rocprim17ROCPRIM_400000_NS6detail17trampoline_kernelINS0_14default_configENS1_36segmented_radix_sort_config_selectorIflEEZNS1_25segmented_radix_sort_implIS3_Lb0EPKfPfPKlPlN2at6native12_GLOBAL__N_18offset_tEEE10hipError_tPvRmT1_PNSt15iterator_traitsISK_E10value_typeET2_T3_PNSL_ISQ_E10value_typeET4_jRbjT5_SW_jjP12ihipStream_tbEUlT_E_NS1_11comp_targetILNS1_3genE4ELNS1_11target_archE910ELNS1_3gpuE8ELNS1_3repE0EEENS1_30default_config_static_selectorELNS0_4arch9wavefront6targetE0EEEvSK_.num_vgpr, 0
	.set _ZN7rocprim17ROCPRIM_400000_NS6detail17trampoline_kernelINS0_14default_configENS1_36segmented_radix_sort_config_selectorIflEEZNS1_25segmented_radix_sort_implIS3_Lb0EPKfPfPKlPlN2at6native12_GLOBAL__N_18offset_tEEE10hipError_tPvRmT1_PNSt15iterator_traitsISK_E10value_typeET2_T3_PNSL_ISQ_E10value_typeET4_jRbjT5_SW_jjP12ihipStream_tbEUlT_E_NS1_11comp_targetILNS1_3genE4ELNS1_11target_archE910ELNS1_3gpuE8ELNS1_3repE0EEENS1_30default_config_static_selectorELNS0_4arch9wavefront6targetE0EEEvSK_.num_agpr, 0
	.set _ZN7rocprim17ROCPRIM_400000_NS6detail17trampoline_kernelINS0_14default_configENS1_36segmented_radix_sort_config_selectorIflEEZNS1_25segmented_radix_sort_implIS3_Lb0EPKfPfPKlPlN2at6native12_GLOBAL__N_18offset_tEEE10hipError_tPvRmT1_PNSt15iterator_traitsISK_E10value_typeET2_T3_PNSL_ISQ_E10value_typeET4_jRbjT5_SW_jjP12ihipStream_tbEUlT_E_NS1_11comp_targetILNS1_3genE4ELNS1_11target_archE910ELNS1_3gpuE8ELNS1_3repE0EEENS1_30default_config_static_selectorELNS0_4arch9wavefront6targetE0EEEvSK_.numbered_sgpr, 0
	.set _ZN7rocprim17ROCPRIM_400000_NS6detail17trampoline_kernelINS0_14default_configENS1_36segmented_radix_sort_config_selectorIflEEZNS1_25segmented_radix_sort_implIS3_Lb0EPKfPfPKlPlN2at6native12_GLOBAL__N_18offset_tEEE10hipError_tPvRmT1_PNSt15iterator_traitsISK_E10value_typeET2_T3_PNSL_ISQ_E10value_typeET4_jRbjT5_SW_jjP12ihipStream_tbEUlT_E_NS1_11comp_targetILNS1_3genE4ELNS1_11target_archE910ELNS1_3gpuE8ELNS1_3repE0EEENS1_30default_config_static_selectorELNS0_4arch9wavefront6targetE0EEEvSK_.num_named_barrier, 0
	.set _ZN7rocprim17ROCPRIM_400000_NS6detail17trampoline_kernelINS0_14default_configENS1_36segmented_radix_sort_config_selectorIflEEZNS1_25segmented_radix_sort_implIS3_Lb0EPKfPfPKlPlN2at6native12_GLOBAL__N_18offset_tEEE10hipError_tPvRmT1_PNSt15iterator_traitsISK_E10value_typeET2_T3_PNSL_ISQ_E10value_typeET4_jRbjT5_SW_jjP12ihipStream_tbEUlT_E_NS1_11comp_targetILNS1_3genE4ELNS1_11target_archE910ELNS1_3gpuE8ELNS1_3repE0EEENS1_30default_config_static_selectorELNS0_4arch9wavefront6targetE0EEEvSK_.private_seg_size, 0
	.set _ZN7rocprim17ROCPRIM_400000_NS6detail17trampoline_kernelINS0_14default_configENS1_36segmented_radix_sort_config_selectorIflEEZNS1_25segmented_radix_sort_implIS3_Lb0EPKfPfPKlPlN2at6native12_GLOBAL__N_18offset_tEEE10hipError_tPvRmT1_PNSt15iterator_traitsISK_E10value_typeET2_T3_PNSL_ISQ_E10value_typeET4_jRbjT5_SW_jjP12ihipStream_tbEUlT_E_NS1_11comp_targetILNS1_3genE4ELNS1_11target_archE910ELNS1_3gpuE8ELNS1_3repE0EEENS1_30default_config_static_selectorELNS0_4arch9wavefront6targetE0EEEvSK_.uses_vcc, 0
	.set _ZN7rocprim17ROCPRIM_400000_NS6detail17trampoline_kernelINS0_14default_configENS1_36segmented_radix_sort_config_selectorIflEEZNS1_25segmented_radix_sort_implIS3_Lb0EPKfPfPKlPlN2at6native12_GLOBAL__N_18offset_tEEE10hipError_tPvRmT1_PNSt15iterator_traitsISK_E10value_typeET2_T3_PNSL_ISQ_E10value_typeET4_jRbjT5_SW_jjP12ihipStream_tbEUlT_E_NS1_11comp_targetILNS1_3genE4ELNS1_11target_archE910ELNS1_3gpuE8ELNS1_3repE0EEENS1_30default_config_static_selectorELNS0_4arch9wavefront6targetE0EEEvSK_.uses_flat_scratch, 0
	.set _ZN7rocprim17ROCPRIM_400000_NS6detail17trampoline_kernelINS0_14default_configENS1_36segmented_radix_sort_config_selectorIflEEZNS1_25segmented_radix_sort_implIS3_Lb0EPKfPfPKlPlN2at6native12_GLOBAL__N_18offset_tEEE10hipError_tPvRmT1_PNSt15iterator_traitsISK_E10value_typeET2_T3_PNSL_ISQ_E10value_typeET4_jRbjT5_SW_jjP12ihipStream_tbEUlT_E_NS1_11comp_targetILNS1_3genE4ELNS1_11target_archE910ELNS1_3gpuE8ELNS1_3repE0EEENS1_30default_config_static_selectorELNS0_4arch9wavefront6targetE0EEEvSK_.has_dyn_sized_stack, 0
	.set _ZN7rocprim17ROCPRIM_400000_NS6detail17trampoline_kernelINS0_14default_configENS1_36segmented_radix_sort_config_selectorIflEEZNS1_25segmented_radix_sort_implIS3_Lb0EPKfPfPKlPlN2at6native12_GLOBAL__N_18offset_tEEE10hipError_tPvRmT1_PNSt15iterator_traitsISK_E10value_typeET2_T3_PNSL_ISQ_E10value_typeET4_jRbjT5_SW_jjP12ihipStream_tbEUlT_E_NS1_11comp_targetILNS1_3genE4ELNS1_11target_archE910ELNS1_3gpuE8ELNS1_3repE0EEENS1_30default_config_static_selectorELNS0_4arch9wavefront6targetE0EEEvSK_.has_recursion, 0
	.set _ZN7rocprim17ROCPRIM_400000_NS6detail17trampoline_kernelINS0_14default_configENS1_36segmented_radix_sort_config_selectorIflEEZNS1_25segmented_radix_sort_implIS3_Lb0EPKfPfPKlPlN2at6native12_GLOBAL__N_18offset_tEEE10hipError_tPvRmT1_PNSt15iterator_traitsISK_E10value_typeET2_T3_PNSL_ISQ_E10value_typeET4_jRbjT5_SW_jjP12ihipStream_tbEUlT_E_NS1_11comp_targetILNS1_3genE4ELNS1_11target_archE910ELNS1_3gpuE8ELNS1_3repE0EEENS1_30default_config_static_selectorELNS0_4arch9wavefront6targetE0EEEvSK_.has_indirect_call, 0
	.section	.AMDGPU.csdata,"",@progbits
; Kernel info:
; codeLenInByte = 0
; TotalNumSgprs: 0
; NumVgprs: 0
; ScratchSize: 0
; MemoryBound: 0
; FloatMode: 240
; IeeeMode: 1
; LDSByteSize: 0 bytes/workgroup (compile time only)
; SGPRBlocks: 0
; VGPRBlocks: 0
; NumSGPRsForWavesPerEU: 1
; NumVGPRsForWavesPerEU: 1
; Occupancy: 16
; WaveLimiterHint : 0
; COMPUTE_PGM_RSRC2:SCRATCH_EN: 0
; COMPUTE_PGM_RSRC2:USER_SGPR: 6
; COMPUTE_PGM_RSRC2:TRAP_HANDLER: 0
; COMPUTE_PGM_RSRC2:TGID_X_EN: 1
; COMPUTE_PGM_RSRC2:TGID_Y_EN: 0
; COMPUTE_PGM_RSRC2:TGID_Z_EN: 0
; COMPUTE_PGM_RSRC2:TIDIG_COMP_CNT: 0
	.section	.text._ZN7rocprim17ROCPRIM_400000_NS6detail17trampoline_kernelINS0_14default_configENS1_36segmented_radix_sort_config_selectorIflEEZNS1_25segmented_radix_sort_implIS3_Lb0EPKfPfPKlPlN2at6native12_GLOBAL__N_18offset_tEEE10hipError_tPvRmT1_PNSt15iterator_traitsISK_E10value_typeET2_T3_PNSL_ISQ_E10value_typeET4_jRbjT5_SW_jjP12ihipStream_tbEUlT_E_NS1_11comp_targetILNS1_3genE3ELNS1_11target_archE908ELNS1_3gpuE7ELNS1_3repE0EEENS1_30default_config_static_selectorELNS0_4arch9wavefront6targetE0EEEvSK_,"axG",@progbits,_ZN7rocprim17ROCPRIM_400000_NS6detail17trampoline_kernelINS0_14default_configENS1_36segmented_radix_sort_config_selectorIflEEZNS1_25segmented_radix_sort_implIS3_Lb0EPKfPfPKlPlN2at6native12_GLOBAL__N_18offset_tEEE10hipError_tPvRmT1_PNSt15iterator_traitsISK_E10value_typeET2_T3_PNSL_ISQ_E10value_typeET4_jRbjT5_SW_jjP12ihipStream_tbEUlT_E_NS1_11comp_targetILNS1_3genE3ELNS1_11target_archE908ELNS1_3gpuE7ELNS1_3repE0EEENS1_30default_config_static_selectorELNS0_4arch9wavefront6targetE0EEEvSK_,comdat
	.globl	_ZN7rocprim17ROCPRIM_400000_NS6detail17trampoline_kernelINS0_14default_configENS1_36segmented_radix_sort_config_selectorIflEEZNS1_25segmented_radix_sort_implIS3_Lb0EPKfPfPKlPlN2at6native12_GLOBAL__N_18offset_tEEE10hipError_tPvRmT1_PNSt15iterator_traitsISK_E10value_typeET2_T3_PNSL_ISQ_E10value_typeET4_jRbjT5_SW_jjP12ihipStream_tbEUlT_E_NS1_11comp_targetILNS1_3genE3ELNS1_11target_archE908ELNS1_3gpuE7ELNS1_3repE0EEENS1_30default_config_static_selectorELNS0_4arch9wavefront6targetE0EEEvSK_ ; -- Begin function _ZN7rocprim17ROCPRIM_400000_NS6detail17trampoline_kernelINS0_14default_configENS1_36segmented_radix_sort_config_selectorIflEEZNS1_25segmented_radix_sort_implIS3_Lb0EPKfPfPKlPlN2at6native12_GLOBAL__N_18offset_tEEE10hipError_tPvRmT1_PNSt15iterator_traitsISK_E10value_typeET2_T3_PNSL_ISQ_E10value_typeET4_jRbjT5_SW_jjP12ihipStream_tbEUlT_E_NS1_11comp_targetILNS1_3genE3ELNS1_11target_archE908ELNS1_3gpuE7ELNS1_3repE0EEENS1_30default_config_static_selectorELNS0_4arch9wavefront6targetE0EEEvSK_
	.p2align	8
	.type	_ZN7rocprim17ROCPRIM_400000_NS6detail17trampoline_kernelINS0_14default_configENS1_36segmented_radix_sort_config_selectorIflEEZNS1_25segmented_radix_sort_implIS3_Lb0EPKfPfPKlPlN2at6native12_GLOBAL__N_18offset_tEEE10hipError_tPvRmT1_PNSt15iterator_traitsISK_E10value_typeET2_T3_PNSL_ISQ_E10value_typeET4_jRbjT5_SW_jjP12ihipStream_tbEUlT_E_NS1_11comp_targetILNS1_3genE3ELNS1_11target_archE908ELNS1_3gpuE7ELNS1_3repE0EEENS1_30default_config_static_selectorELNS0_4arch9wavefront6targetE0EEEvSK_,@function
_ZN7rocprim17ROCPRIM_400000_NS6detail17trampoline_kernelINS0_14default_configENS1_36segmented_radix_sort_config_selectorIflEEZNS1_25segmented_radix_sort_implIS3_Lb0EPKfPfPKlPlN2at6native12_GLOBAL__N_18offset_tEEE10hipError_tPvRmT1_PNSt15iterator_traitsISK_E10value_typeET2_T3_PNSL_ISQ_E10value_typeET4_jRbjT5_SW_jjP12ihipStream_tbEUlT_E_NS1_11comp_targetILNS1_3genE3ELNS1_11target_archE908ELNS1_3gpuE7ELNS1_3repE0EEENS1_30default_config_static_selectorELNS0_4arch9wavefront6targetE0EEEvSK_: ; @_ZN7rocprim17ROCPRIM_400000_NS6detail17trampoline_kernelINS0_14default_configENS1_36segmented_radix_sort_config_selectorIflEEZNS1_25segmented_radix_sort_implIS3_Lb0EPKfPfPKlPlN2at6native12_GLOBAL__N_18offset_tEEE10hipError_tPvRmT1_PNSt15iterator_traitsISK_E10value_typeET2_T3_PNSL_ISQ_E10value_typeET4_jRbjT5_SW_jjP12ihipStream_tbEUlT_E_NS1_11comp_targetILNS1_3genE3ELNS1_11target_archE908ELNS1_3gpuE7ELNS1_3repE0EEENS1_30default_config_static_selectorELNS0_4arch9wavefront6targetE0EEEvSK_
; %bb.0:
	.section	.rodata,"a",@progbits
	.p2align	6, 0x0
	.amdhsa_kernel _ZN7rocprim17ROCPRIM_400000_NS6detail17trampoline_kernelINS0_14default_configENS1_36segmented_radix_sort_config_selectorIflEEZNS1_25segmented_radix_sort_implIS3_Lb0EPKfPfPKlPlN2at6native12_GLOBAL__N_18offset_tEEE10hipError_tPvRmT1_PNSt15iterator_traitsISK_E10value_typeET2_T3_PNSL_ISQ_E10value_typeET4_jRbjT5_SW_jjP12ihipStream_tbEUlT_E_NS1_11comp_targetILNS1_3genE3ELNS1_11target_archE908ELNS1_3gpuE7ELNS1_3repE0EEENS1_30default_config_static_selectorELNS0_4arch9wavefront6targetE0EEEvSK_
		.amdhsa_group_segment_fixed_size 0
		.amdhsa_private_segment_fixed_size 0
		.amdhsa_kernarg_size 96
		.amdhsa_user_sgpr_count 6
		.amdhsa_user_sgpr_private_segment_buffer 1
		.amdhsa_user_sgpr_dispatch_ptr 0
		.amdhsa_user_sgpr_queue_ptr 0
		.amdhsa_user_sgpr_kernarg_segment_ptr 1
		.amdhsa_user_sgpr_dispatch_id 0
		.amdhsa_user_sgpr_flat_scratch_init 0
		.amdhsa_user_sgpr_private_segment_size 0
		.amdhsa_wavefront_size32 1
		.amdhsa_uses_dynamic_stack 0
		.amdhsa_system_sgpr_private_segment_wavefront_offset 0
		.amdhsa_system_sgpr_workgroup_id_x 1
		.amdhsa_system_sgpr_workgroup_id_y 0
		.amdhsa_system_sgpr_workgroup_id_z 0
		.amdhsa_system_sgpr_workgroup_info 0
		.amdhsa_system_vgpr_workitem_id 0
		.amdhsa_next_free_vgpr 1
		.amdhsa_next_free_sgpr 1
		.amdhsa_reserve_vcc 0
		.amdhsa_reserve_flat_scratch 0
		.amdhsa_float_round_mode_32 0
		.amdhsa_float_round_mode_16_64 0
		.amdhsa_float_denorm_mode_32 3
		.amdhsa_float_denorm_mode_16_64 3
		.amdhsa_dx10_clamp 1
		.amdhsa_ieee_mode 1
		.amdhsa_fp16_overflow 0
		.amdhsa_workgroup_processor_mode 1
		.amdhsa_memory_ordered 1
		.amdhsa_forward_progress 1
		.amdhsa_shared_vgpr_count 0
		.amdhsa_exception_fp_ieee_invalid_op 0
		.amdhsa_exception_fp_denorm_src 0
		.amdhsa_exception_fp_ieee_div_zero 0
		.amdhsa_exception_fp_ieee_overflow 0
		.amdhsa_exception_fp_ieee_underflow 0
		.amdhsa_exception_fp_ieee_inexact 0
		.amdhsa_exception_int_div_zero 0
	.end_amdhsa_kernel
	.section	.text._ZN7rocprim17ROCPRIM_400000_NS6detail17trampoline_kernelINS0_14default_configENS1_36segmented_radix_sort_config_selectorIflEEZNS1_25segmented_radix_sort_implIS3_Lb0EPKfPfPKlPlN2at6native12_GLOBAL__N_18offset_tEEE10hipError_tPvRmT1_PNSt15iterator_traitsISK_E10value_typeET2_T3_PNSL_ISQ_E10value_typeET4_jRbjT5_SW_jjP12ihipStream_tbEUlT_E_NS1_11comp_targetILNS1_3genE3ELNS1_11target_archE908ELNS1_3gpuE7ELNS1_3repE0EEENS1_30default_config_static_selectorELNS0_4arch9wavefront6targetE0EEEvSK_,"axG",@progbits,_ZN7rocprim17ROCPRIM_400000_NS6detail17trampoline_kernelINS0_14default_configENS1_36segmented_radix_sort_config_selectorIflEEZNS1_25segmented_radix_sort_implIS3_Lb0EPKfPfPKlPlN2at6native12_GLOBAL__N_18offset_tEEE10hipError_tPvRmT1_PNSt15iterator_traitsISK_E10value_typeET2_T3_PNSL_ISQ_E10value_typeET4_jRbjT5_SW_jjP12ihipStream_tbEUlT_E_NS1_11comp_targetILNS1_3genE3ELNS1_11target_archE908ELNS1_3gpuE7ELNS1_3repE0EEENS1_30default_config_static_selectorELNS0_4arch9wavefront6targetE0EEEvSK_,comdat
.Lfunc_end1423:
	.size	_ZN7rocprim17ROCPRIM_400000_NS6detail17trampoline_kernelINS0_14default_configENS1_36segmented_radix_sort_config_selectorIflEEZNS1_25segmented_radix_sort_implIS3_Lb0EPKfPfPKlPlN2at6native12_GLOBAL__N_18offset_tEEE10hipError_tPvRmT1_PNSt15iterator_traitsISK_E10value_typeET2_T3_PNSL_ISQ_E10value_typeET4_jRbjT5_SW_jjP12ihipStream_tbEUlT_E_NS1_11comp_targetILNS1_3genE3ELNS1_11target_archE908ELNS1_3gpuE7ELNS1_3repE0EEENS1_30default_config_static_selectorELNS0_4arch9wavefront6targetE0EEEvSK_, .Lfunc_end1423-_ZN7rocprim17ROCPRIM_400000_NS6detail17trampoline_kernelINS0_14default_configENS1_36segmented_radix_sort_config_selectorIflEEZNS1_25segmented_radix_sort_implIS3_Lb0EPKfPfPKlPlN2at6native12_GLOBAL__N_18offset_tEEE10hipError_tPvRmT1_PNSt15iterator_traitsISK_E10value_typeET2_T3_PNSL_ISQ_E10value_typeET4_jRbjT5_SW_jjP12ihipStream_tbEUlT_E_NS1_11comp_targetILNS1_3genE3ELNS1_11target_archE908ELNS1_3gpuE7ELNS1_3repE0EEENS1_30default_config_static_selectorELNS0_4arch9wavefront6targetE0EEEvSK_
                                        ; -- End function
	.set _ZN7rocprim17ROCPRIM_400000_NS6detail17trampoline_kernelINS0_14default_configENS1_36segmented_radix_sort_config_selectorIflEEZNS1_25segmented_radix_sort_implIS3_Lb0EPKfPfPKlPlN2at6native12_GLOBAL__N_18offset_tEEE10hipError_tPvRmT1_PNSt15iterator_traitsISK_E10value_typeET2_T3_PNSL_ISQ_E10value_typeET4_jRbjT5_SW_jjP12ihipStream_tbEUlT_E_NS1_11comp_targetILNS1_3genE3ELNS1_11target_archE908ELNS1_3gpuE7ELNS1_3repE0EEENS1_30default_config_static_selectorELNS0_4arch9wavefront6targetE0EEEvSK_.num_vgpr, 0
	.set _ZN7rocprim17ROCPRIM_400000_NS6detail17trampoline_kernelINS0_14default_configENS1_36segmented_radix_sort_config_selectorIflEEZNS1_25segmented_radix_sort_implIS3_Lb0EPKfPfPKlPlN2at6native12_GLOBAL__N_18offset_tEEE10hipError_tPvRmT1_PNSt15iterator_traitsISK_E10value_typeET2_T3_PNSL_ISQ_E10value_typeET4_jRbjT5_SW_jjP12ihipStream_tbEUlT_E_NS1_11comp_targetILNS1_3genE3ELNS1_11target_archE908ELNS1_3gpuE7ELNS1_3repE0EEENS1_30default_config_static_selectorELNS0_4arch9wavefront6targetE0EEEvSK_.num_agpr, 0
	.set _ZN7rocprim17ROCPRIM_400000_NS6detail17trampoline_kernelINS0_14default_configENS1_36segmented_radix_sort_config_selectorIflEEZNS1_25segmented_radix_sort_implIS3_Lb0EPKfPfPKlPlN2at6native12_GLOBAL__N_18offset_tEEE10hipError_tPvRmT1_PNSt15iterator_traitsISK_E10value_typeET2_T3_PNSL_ISQ_E10value_typeET4_jRbjT5_SW_jjP12ihipStream_tbEUlT_E_NS1_11comp_targetILNS1_3genE3ELNS1_11target_archE908ELNS1_3gpuE7ELNS1_3repE0EEENS1_30default_config_static_selectorELNS0_4arch9wavefront6targetE0EEEvSK_.numbered_sgpr, 0
	.set _ZN7rocprim17ROCPRIM_400000_NS6detail17trampoline_kernelINS0_14default_configENS1_36segmented_radix_sort_config_selectorIflEEZNS1_25segmented_radix_sort_implIS3_Lb0EPKfPfPKlPlN2at6native12_GLOBAL__N_18offset_tEEE10hipError_tPvRmT1_PNSt15iterator_traitsISK_E10value_typeET2_T3_PNSL_ISQ_E10value_typeET4_jRbjT5_SW_jjP12ihipStream_tbEUlT_E_NS1_11comp_targetILNS1_3genE3ELNS1_11target_archE908ELNS1_3gpuE7ELNS1_3repE0EEENS1_30default_config_static_selectorELNS0_4arch9wavefront6targetE0EEEvSK_.num_named_barrier, 0
	.set _ZN7rocprim17ROCPRIM_400000_NS6detail17trampoline_kernelINS0_14default_configENS1_36segmented_radix_sort_config_selectorIflEEZNS1_25segmented_radix_sort_implIS3_Lb0EPKfPfPKlPlN2at6native12_GLOBAL__N_18offset_tEEE10hipError_tPvRmT1_PNSt15iterator_traitsISK_E10value_typeET2_T3_PNSL_ISQ_E10value_typeET4_jRbjT5_SW_jjP12ihipStream_tbEUlT_E_NS1_11comp_targetILNS1_3genE3ELNS1_11target_archE908ELNS1_3gpuE7ELNS1_3repE0EEENS1_30default_config_static_selectorELNS0_4arch9wavefront6targetE0EEEvSK_.private_seg_size, 0
	.set _ZN7rocprim17ROCPRIM_400000_NS6detail17trampoline_kernelINS0_14default_configENS1_36segmented_radix_sort_config_selectorIflEEZNS1_25segmented_radix_sort_implIS3_Lb0EPKfPfPKlPlN2at6native12_GLOBAL__N_18offset_tEEE10hipError_tPvRmT1_PNSt15iterator_traitsISK_E10value_typeET2_T3_PNSL_ISQ_E10value_typeET4_jRbjT5_SW_jjP12ihipStream_tbEUlT_E_NS1_11comp_targetILNS1_3genE3ELNS1_11target_archE908ELNS1_3gpuE7ELNS1_3repE0EEENS1_30default_config_static_selectorELNS0_4arch9wavefront6targetE0EEEvSK_.uses_vcc, 0
	.set _ZN7rocprim17ROCPRIM_400000_NS6detail17trampoline_kernelINS0_14default_configENS1_36segmented_radix_sort_config_selectorIflEEZNS1_25segmented_radix_sort_implIS3_Lb0EPKfPfPKlPlN2at6native12_GLOBAL__N_18offset_tEEE10hipError_tPvRmT1_PNSt15iterator_traitsISK_E10value_typeET2_T3_PNSL_ISQ_E10value_typeET4_jRbjT5_SW_jjP12ihipStream_tbEUlT_E_NS1_11comp_targetILNS1_3genE3ELNS1_11target_archE908ELNS1_3gpuE7ELNS1_3repE0EEENS1_30default_config_static_selectorELNS0_4arch9wavefront6targetE0EEEvSK_.uses_flat_scratch, 0
	.set _ZN7rocprim17ROCPRIM_400000_NS6detail17trampoline_kernelINS0_14default_configENS1_36segmented_radix_sort_config_selectorIflEEZNS1_25segmented_radix_sort_implIS3_Lb0EPKfPfPKlPlN2at6native12_GLOBAL__N_18offset_tEEE10hipError_tPvRmT1_PNSt15iterator_traitsISK_E10value_typeET2_T3_PNSL_ISQ_E10value_typeET4_jRbjT5_SW_jjP12ihipStream_tbEUlT_E_NS1_11comp_targetILNS1_3genE3ELNS1_11target_archE908ELNS1_3gpuE7ELNS1_3repE0EEENS1_30default_config_static_selectorELNS0_4arch9wavefront6targetE0EEEvSK_.has_dyn_sized_stack, 0
	.set _ZN7rocprim17ROCPRIM_400000_NS6detail17trampoline_kernelINS0_14default_configENS1_36segmented_radix_sort_config_selectorIflEEZNS1_25segmented_radix_sort_implIS3_Lb0EPKfPfPKlPlN2at6native12_GLOBAL__N_18offset_tEEE10hipError_tPvRmT1_PNSt15iterator_traitsISK_E10value_typeET2_T3_PNSL_ISQ_E10value_typeET4_jRbjT5_SW_jjP12ihipStream_tbEUlT_E_NS1_11comp_targetILNS1_3genE3ELNS1_11target_archE908ELNS1_3gpuE7ELNS1_3repE0EEENS1_30default_config_static_selectorELNS0_4arch9wavefront6targetE0EEEvSK_.has_recursion, 0
	.set _ZN7rocprim17ROCPRIM_400000_NS6detail17trampoline_kernelINS0_14default_configENS1_36segmented_radix_sort_config_selectorIflEEZNS1_25segmented_radix_sort_implIS3_Lb0EPKfPfPKlPlN2at6native12_GLOBAL__N_18offset_tEEE10hipError_tPvRmT1_PNSt15iterator_traitsISK_E10value_typeET2_T3_PNSL_ISQ_E10value_typeET4_jRbjT5_SW_jjP12ihipStream_tbEUlT_E_NS1_11comp_targetILNS1_3genE3ELNS1_11target_archE908ELNS1_3gpuE7ELNS1_3repE0EEENS1_30default_config_static_selectorELNS0_4arch9wavefront6targetE0EEEvSK_.has_indirect_call, 0
	.section	.AMDGPU.csdata,"",@progbits
; Kernel info:
; codeLenInByte = 0
; TotalNumSgprs: 0
; NumVgprs: 0
; ScratchSize: 0
; MemoryBound: 0
; FloatMode: 240
; IeeeMode: 1
; LDSByteSize: 0 bytes/workgroup (compile time only)
; SGPRBlocks: 0
; VGPRBlocks: 0
; NumSGPRsForWavesPerEU: 1
; NumVGPRsForWavesPerEU: 1
; Occupancy: 16
; WaveLimiterHint : 0
; COMPUTE_PGM_RSRC2:SCRATCH_EN: 0
; COMPUTE_PGM_RSRC2:USER_SGPR: 6
; COMPUTE_PGM_RSRC2:TRAP_HANDLER: 0
; COMPUTE_PGM_RSRC2:TGID_X_EN: 1
; COMPUTE_PGM_RSRC2:TGID_Y_EN: 0
; COMPUTE_PGM_RSRC2:TGID_Z_EN: 0
; COMPUTE_PGM_RSRC2:TIDIG_COMP_CNT: 0
	.section	.text._ZN7rocprim17ROCPRIM_400000_NS6detail17trampoline_kernelINS0_14default_configENS1_36segmented_radix_sort_config_selectorIflEEZNS1_25segmented_radix_sort_implIS3_Lb0EPKfPfPKlPlN2at6native12_GLOBAL__N_18offset_tEEE10hipError_tPvRmT1_PNSt15iterator_traitsISK_E10value_typeET2_T3_PNSL_ISQ_E10value_typeET4_jRbjT5_SW_jjP12ihipStream_tbEUlT_E_NS1_11comp_targetILNS1_3genE2ELNS1_11target_archE906ELNS1_3gpuE6ELNS1_3repE0EEENS1_30default_config_static_selectorELNS0_4arch9wavefront6targetE0EEEvSK_,"axG",@progbits,_ZN7rocprim17ROCPRIM_400000_NS6detail17trampoline_kernelINS0_14default_configENS1_36segmented_radix_sort_config_selectorIflEEZNS1_25segmented_radix_sort_implIS3_Lb0EPKfPfPKlPlN2at6native12_GLOBAL__N_18offset_tEEE10hipError_tPvRmT1_PNSt15iterator_traitsISK_E10value_typeET2_T3_PNSL_ISQ_E10value_typeET4_jRbjT5_SW_jjP12ihipStream_tbEUlT_E_NS1_11comp_targetILNS1_3genE2ELNS1_11target_archE906ELNS1_3gpuE6ELNS1_3repE0EEENS1_30default_config_static_selectorELNS0_4arch9wavefront6targetE0EEEvSK_,comdat
	.globl	_ZN7rocprim17ROCPRIM_400000_NS6detail17trampoline_kernelINS0_14default_configENS1_36segmented_radix_sort_config_selectorIflEEZNS1_25segmented_radix_sort_implIS3_Lb0EPKfPfPKlPlN2at6native12_GLOBAL__N_18offset_tEEE10hipError_tPvRmT1_PNSt15iterator_traitsISK_E10value_typeET2_T3_PNSL_ISQ_E10value_typeET4_jRbjT5_SW_jjP12ihipStream_tbEUlT_E_NS1_11comp_targetILNS1_3genE2ELNS1_11target_archE906ELNS1_3gpuE6ELNS1_3repE0EEENS1_30default_config_static_selectorELNS0_4arch9wavefront6targetE0EEEvSK_ ; -- Begin function _ZN7rocprim17ROCPRIM_400000_NS6detail17trampoline_kernelINS0_14default_configENS1_36segmented_radix_sort_config_selectorIflEEZNS1_25segmented_radix_sort_implIS3_Lb0EPKfPfPKlPlN2at6native12_GLOBAL__N_18offset_tEEE10hipError_tPvRmT1_PNSt15iterator_traitsISK_E10value_typeET2_T3_PNSL_ISQ_E10value_typeET4_jRbjT5_SW_jjP12ihipStream_tbEUlT_E_NS1_11comp_targetILNS1_3genE2ELNS1_11target_archE906ELNS1_3gpuE6ELNS1_3repE0EEENS1_30default_config_static_selectorELNS0_4arch9wavefront6targetE0EEEvSK_
	.p2align	8
	.type	_ZN7rocprim17ROCPRIM_400000_NS6detail17trampoline_kernelINS0_14default_configENS1_36segmented_radix_sort_config_selectorIflEEZNS1_25segmented_radix_sort_implIS3_Lb0EPKfPfPKlPlN2at6native12_GLOBAL__N_18offset_tEEE10hipError_tPvRmT1_PNSt15iterator_traitsISK_E10value_typeET2_T3_PNSL_ISQ_E10value_typeET4_jRbjT5_SW_jjP12ihipStream_tbEUlT_E_NS1_11comp_targetILNS1_3genE2ELNS1_11target_archE906ELNS1_3gpuE6ELNS1_3repE0EEENS1_30default_config_static_selectorELNS0_4arch9wavefront6targetE0EEEvSK_,@function
_ZN7rocprim17ROCPRIM_400000_NS6detail17trampoline_kernelINS0_14default_configENS1_36segmented_radix_sort_config_selectorIflEEZNS1_25segmented_radix_sort_implIS3_Lb0EPKfPfPKlPlN2at6native12_GLOBAL__N_18offset_tEEE10hipError_tPvRmT1_PNSt15iterator_traitsISK_E10value_typeET2_T3_PNSL_ISQ_E10value_typeET4_jRbjT5_SW_jjP12ihipStream_tbEUlT_E_NS1_11comp_targetILNS1_3genE2ELNS1_11target_archE906ELNS1_3gpuE6ELNS1_3repE0EEENS1_30default_config_static_selectorELNS0_4arch9wavefront6targetE0EEEvSK_: ; @_ZN7rocprim17ROCPRIM_400000_NS6detail17trampoline_kernelINS0_14default_configENS1_36segmented_radix_sort_config_selectorIflEEZNS1_25segmented_radix_sort_implIS3_Lb0EPKfPfPKlPlN2at6native12_GLOBAL__N_18offset_tEEE10hipError_tPvRmT1_PNSt15iterator_traitsISK_E10value_typeET2_T3_PNSL_ISQ_E10value_typeET4_jRbjT5_SW_jjP12ihipStream_tbEUlT_E_NS1_11comp_targetILNS1_3genE2ELNS1_11target_archE906ELNS1_3gpuE6ELNS1_3repE0EEENS1_30default_config_static_selectorELNS0_4arch9wavefront6targetE0EEEvSK_
; %bb.0:
	.section	.rodata,"a",@progbits
	.p2align	6, 0x0
	.amdhsa_kernel _ZN7rocprim17ROCPRIM_400000_NS6detail17trampoline_kernelINS0_14default_configENS1_36segmented_radix_sort_config_selectorIflEEZNS1_25segmented_radix_sort_implIS3_Lb0EPKfPfPKlPlN2at6native12_GLOBAL__N_18offset_tEEE10hipError_tPvRmT1_PNSt15iterator_traitsISK_E10value_typeET2_T3_PNSL_ISQ_E10value_typeET4_jRbjT5_SW_jjP12ihipStream_tbEUlT_E_NS1_11comp_targetILNS1_3genE2ELNS1_11target_archE906ELNS1_3gpuE6ELNS1_3repE0EEENS1_30default_config_static_selectorELNS0_4arch9wavefront6targetE0EEEvSK_
		.amdhsa_group_segment_fixed_size 0
		.amdhsa_private_segment_fixed_size 0
		.amdhsa_kernarg_size 96
		.amdhsa_user_sgpr_count 6
		.amdhsa_user_sgpr_private_segment_buffer 1
		.amdhsa_user_sgpr_dispatch_ptr 0
		.amdhsa_user_sgpr_queue_ptr 0
		.amdhsa_user_sgpr_kernarg_segment_ptr 1
		.amdhsa_user_sgpr_dispatch_id 0
		.amdhsa_user_sgpr_flat_scratch_init 0
		.amdhsa_user_sgpr_private_segment_size 0
		.amdhsa_wavefront_size32 1
		.amdhsa_uses_dynamic_stack 0
		.amdhsa_system_sgpr_private_segment_wavefront_offset 0
		.amdhsa_system_sgpr_workgroup_id_x 1
		.amdhsa_system_sgpr_workgroup_id_y 0
		.amdhsa_system_sgpr_workgroup_id_z 0
		.amdhsa_system_sgpr_workgroup_info 0
		.amdhsa_system_vgpr_workitem_id 0
		.amdhsa_next_free_vgpr 1
		.amdhsa_next_free_sgpr 1
		.amdhsa_reserve_vcc 0
		.amdhsa_reserve_flat_scratch 0
		.amdhsa_float_round_mode_32 0
		.amdhsa_float_round_mode_16_64 0
		.amdhsa_float_denorm_mode_32 3
		.amdhsa_float_denorm_mode_16_64 3
		.amdhsa_dx10_clamp 1
		.amdhsa_ieee_mode 1
		.amdhsa_fp16_overflow 0
		.amdhsa_workgroup_processor_mode 1
		.amdhsa_memory_ordered 1
		.amdhsa_forward_progress 1
		.amdhsa_shared_vgpr_count 0
		.amdhsa_exception_fp_ieee_invalid_op 0
		.amdhsa_exception_fp_denorm_src 0
		.amdhsa_exception_fp_ieee_div_zero 0
		.amdhsa_exception_fp_ieee_overflow 0
		.amdhsa_exception_fp_ieee_underflow 0
		.amdhsa_exception_fp_ieee_inexact 0
		.amdhsa_exception_int_div_zero 0
	.end_amdhsa_kernel
	.section	.text._ZN7rocprim17ROCPRIM_400000_NS6detail17trampoline_kernelINS0_14default_configENS1_36segmented_radix_sort_config_selectorIflEEZNS1_25segmented_radix_sort_implIS3_Lb0EPKfPfPKlPlN2at6native12_GLOBAL__N_18offset_tEEE10hipError_tPvRmT1_PNSt15iterator_traitsISK_E10value_typeET2_T3_PNSL_ISQ_E10value_typeET4_jRbjT5_SW_jjP12ihipStream_tbEUlT_E_NS1_11comp_targetILNS1_3genE2ELNS1_11target_archE906ELNS1_3gpuE6ELNS1_3repE0EEENS1_30default_config_static_selectorELNS0_4arch9wavefront6targetE0EEEvSK_,"axG",@progbits,_ZN7rocprim17ROCPRIM_400000_NS6detail17trampoline_kernelINS0_14default_configENS1_36segmented_radix_sort_config_selectorIflEEZNS1_25segmented_radix_sort_implIS3_Lb0EPKfPfPKlPlN2at6native12_GLOBAL__N_18offset_tEEE10hipError_tPvRmT1_PNSt15iterator_traitsISK_E10value_typeET2_T3_PNSL_ISQ_E10value_typeET4_jRbjT5_SW_jjP12ihipStream_tbEUlT_E_NS1_11comp_targetILNS1_3genE2ELNS1_11target_archE906ELNS1_3gpuE6ELNS1_3repE0EEENS1_30default_config_static_selectorELNS0_4arch9wavefront6targetE0EEEvSK_,comdat
.Lfunc_end1424:
	.size	_ZN7rocprim17ROCPRIM_400000_NS6detail17trampoline_kernelINS0_14default_configENS1_36segmented_radix_sort_config_selectorIflEEZNS1_25segmented_radix_sort_implIS3_Lb0EPKfPfPKlPlN2at6native12_GLOBAL__N_18offset_tEEE10hipError_tPvRmT1_PNSt15iterator_traitsISK_E10value_typeET2_T3_PNSL_ISQ_E10value_typeET4_jRbjT5_SW_jjP12ihipStream_tbEUlT_E_NS1_11comp_targetILNS1_3genE2ELNS1_11target_archE906ELNS1_3gpuE6ELNS1_3repE0EEENS1_30default_config_static_selectorELNS0_4arch9wavefront6targetE0EEEvSK_, .Lfunc_end1424-_ZN7rocprim17ROCPRIM_400000_NS6detail17trampoline_kernelINS0_14default_configENS1_36segmented_radix_sort_config_selectorIflEEZNS1_25segmented_radix_sort_implIS3_Lb0EPKfPfPKlPlN2at6native12_GLOBAL__N_18offset_tEEE10hipError_tPvRmT1_PNSt15iterator_traitsISK_E10value_typeET2_T3_PNSL_ISQ_E10value_typeET4_jRbjT5_SW_jjP12ihipStream_tbEUlT_E_NS1_11comp_targetILNS1_3genE2ELNS1_11target_archE906ELNS1_3gpuE6ELNS1_3repE0EEENS1_30default_config_static_selectorELNS0_4arch9wavefront6targetE0EEEvSK_
                                        ; -- End function
	.set _ZN7rocprim17ROCPRIM_400000_NS6detail17trampoline_kernelINS0_14default_configENS1_36segmented_radix_sort_config_selectorIflEEZNS1_25segmented_radix_sort_implIS3_Lb0EPKfPfPKlPlN2at6native12_GLOBAL__N_18offset_tEEE10hipError_tPvRmT1_PNSt15iterator_traitsISK_E10value_typeET2_T3_PNSL_ISQ_E10value_typeET4_jRbjT5_SW_jjP12ihipStream_tbEUlT_E_NS1_11comp_targetILNS1_3genE2ELNS1_11target_archE906ELNS1_3gpuE6ELNS1_3repE0EEENS1_30default_config_static_selectorELNS0_4arch9wavefront6targetE0EEEvSK_.num_vgpr, 0
	.set _ZN7rocprim17ROCPRIM_400000_NS6detail17trampoline_kernelINS0_14default_configENS1_36segmented_radix_sort_config_selectorIflEEZNS1_25segmented_radix_sort_implIS3_Lb0EPKfPfPKlPlN2at6native12_GLOBAL__N_18offset_tEEE10hipError_tPvRmT1_PNSt15iterator_traitsISK_E10value_typeET2_T3_PNSL_ISQ_E10value_typeET4_jRbjT5_SW_jjP12ihipStream_tbEUlT_E_NS1_11comp_targetILNS1_3genE2ELNS1_11target_archE906ELNS1_3gpuE6ELNS1_3repE0EEENS1_30default_config_static_selectorELNS0_4arch9wavefront6targetE0EEEvSK_.num_agpr, 0
	.set _ZN7rocprim17ROCPRIM_400000_NS6detail17trampoline_kernelINS0_14default_configENS1_36segmented_radix_sort_config_selectorIflEEZNS1_25segmented_radix_sort_implIS3_Lb0EPKfPfPKlPlN2at6native12_GLOBAL__N_18offset_tEEE10hipError_tPvRmT1_PNSt15iterator_traitsISK_E10value_typeET2_T3_PNSL_ISQ_E10value_typeET4_jRbjT5_SW_jjP12ihipStream_tbEUlT_E_NS1_11comp_targetILNS1_3genE2ELNS1_11target_archE906ELNS1_3gpuE6ELNS1_3repE0EEENS1_30default_config_static_selectorELNS0_4arch9wavefront6targetE0EEEvSK_.numbered_sgpr, 0
	.set _ZN7rocprim17ROCPRIM_400000_NS6detail17trampoline_kernelINS0_14default_configENS1_36segmented_radix_sort_config_selectorIflEEZNS1_25segmented_radix_sort_implIS3_Lb0EPKfPfPKlPlN2at6native12_GLOBAL__N_18offset_tEEE10hipError_tPvRmT1_PNSt15iterator_traitsISK_E10value_typeET2_T3_PNSL_ISQ_E10value_typeET4_jRbjT5_SW_jjP12ihipStream_tbEUlT_E_NS1_11comp_targetILNS1_3genE2ELNS1_11target_archE906ELNS1_3gpuE6ELNS1_3repE0EEENS1_30default_config_static_selectorELNS0_4arch9wavefront6targetE0EEEvSK_.num_named_barrier, 0
	.set _ZN7rocprim17ROCPRIM_400000_NS6detail17trampoline_kernelINS0_14default_configENS1_36segmented_radix_sort_config_selectorIflEEZNS1_25segmented_radix_sort_implIS3_Lb0EPKfPfPKlPlN2at6native12_GLOBAL__N_18offset_tEEE10hipError_tPvRmT1_PNSt15iterator_traitsISK_E10value_typeET2_T3_PNSL_ISQ_E10value_typeET4_jRbjT5_SW_jjP12ihipStream_tbEUlT_E_NS1_11comp_targetILNS1_3genE2ELNS1_11target_archE906ELNS1_3gpuE6ELNS1_3repE0EEENS1_30default_config_static_selectorELNS0_4arch9wavefront6targetE0EEEvSK_.private_seg_size, 0
	.set _ZN7rocprim17ROCPRIM_400000_NS6detail17trampoline_kernelINS0_14default_configENS1_36segmented_radix_sort_config_selectorIflEEZNS1_25segmented_radix_sort_implIS3_Lb0EPKfPfPKlPlN2at6native12_GLOBAL__N_18offset_tEEE10hipError_tPvRmT1_PNSt15iterator_traitsISK_E10value_typeET2_T3_PNSL_ISQ_E10value_typeET4_jRbjT5_SW_jjP12ihipStream_tbEUlT_E_NS1_11comp_targetILNS1_3genE2ELNS1_11target_archE906ELNS1_3gpuE6ELNS1_3repE0EEENS1_30default_config_static_selectorELNS0_4arch9wavefront6targetE0EEEvSK_.uses_vcc, 0
	.set _ZN7rocprim17ROCPRIM_400000_NS6detail17trampoline_kernelINS0_14default_configENS1_36segmented_radix_sort_config_selectorIflEEZNS1_25segmented_radix_sort_implIS3_Lb0EPKfPfPKlPlN2at6native12_GLOBAL__N_18offset_tEEE10hipError_tPvRmT1_PNSt15iterator_traitsISK_E10value_typeET2_T3_PNSL_ISQ_E10value_typeET4_jRbjT5_SW_jjP12ihipStream_tbEUlT_E_NS1_11comp_targetILNS1_3genE2ELNS1_11target_archE906ELNS1_3gpuE6ELNS1_3repE0EEENS1_30default_config_static_selectorELNS0_4arch9wavefront6targetE0EEEvSK_.uses_flat_scratch, 0
	.set _ZN7rocprim17ROCPRIM_400000_NS6detail17trampoline_kernelINS0_14default_configENS1_36segmented_radix_sort_config_selectorIflEEZNS1_25segmented_radix_sort_implIS3_Lb0EPKfPfPKlPlN2at6native12_GLOBAL__N_18offset_tEEE10hipError_tPvRmT1_PNSt15iterator_traitsISK_E10value_typeET2_T3_PNSL_ISQ_E10value_typeET4_jRbjT5_SW_jjP12ihipStream_tbEUlT_E_NS1_11comp_targetILNS1_3genE2ELNS1_11target_archE906ELNS1_3gpuE6ELNS1_3repE0EEENS1_30default_config_static_selectorELNS0_4arch9wavefront6targetE0EEEvSK_.has_dyn_sized_stack, 0
	.set _ZN7rocprim17ROCPRIM_400000_NS6detail17trampoline_kernelINS0_14default_configENS1_36segmented_radix_sort_config_selectorIflEEZNS1_25segmented_radix_sort_implIS3_Lb0EPKfPfPKlPlN2at6native12_GLOBAL__N_18offset_tEEE10hipError_tPvRmT1_PNSt15iterator_traitsISK_E10value_typeET2_T3_PNSL_ISQ_E10value_typeET4_jRbjT5_SW_jjP12ihipStream_tbEUlT_E_NS1_11comp_targetILNS1_3genE2ELNS1_11target_archE906ELNS1_3gpuE6ELNS1_3repE0EEENS1_30default_config_static_selectorELNS0_4arch9wavefront6targetE0EEEvSK_.has_recursion, 0
	.set _ZN7rocprim17ROCPRIM_400000_NS6detail17trampoline_kernelINS0_14default_configENS1_36segmented_radix_sort_config_selectorIflEEZNS1_25segmented_radix_sort_implIS3_Lb0EPKfPfPKlPlN2at6native12_GLOBAL__N_18offset_tEEE10hipError_tPvRmT1_PNSt15iterator_traitsISK_E10value_typeET2_T3_PNSL_ISQ_E10value_typeET4_jRbjT5_SW_jjP12ihipStream_tbEUlT_E_NS1_11comp_targetILNS1_3genE2ELNS1_11target_archE906ELNS1_3gpuE6ELNS1_3repE0EEENS1_30default_config_static_selectorELNS0_4arch9wavefront6targetE0EEEvSK_.has_indirect_call, 0
	.section	.AMDGPU.csdata,"",@progbits
; Kernel info:
; codeLenInByte = 0
; TotalNumSgprs: 0
; NumVgprs: 0
; ScratchSize: 0
; MemoryBound: 0
; FloatMode: 240
; IeeeMode: 1
; LDSByteSize: 0 bytes/workgroup (compile time only)
; SGPRBlocks: 0
; VGPRBlocks: 0
; NumSGPRsForWavesPerEU: 1
; NumVGPRsForWavesPerEU: 1
; Occupancy: 16
; WaveLimiterHint : 0
; COMPUTE_PGM_RSRC2:SCRATCH_EN: 0
; COMPUTE_PGM_RSRC2:USER_SGPR: 6
; COMPUTE_PGM_RSRC2:TRAP_HANDLER: 0
; COMPUTE_PGM_RSRC2:TGID_X_EN: 1
; COMPUTE_PGM_RSRC2:TGID_Y_EN: 0
; COMPUTE_PGM_RSRC2:TGID_Z_EN: 0
; COMPUTE_PGM_RSRC2:TIDIG_COMP_CNT: 0
	.section	.text._ZN7rocprim17ROCPRIM_400000_NS6detail17trampoline_kernelINS0_14default_configENS1_36segmented_radix_sort_config_selectorIflEEZNS1_25segmented_radix_sort_implIS3_Lb0EPKfPfPKlPlN2at6native12_GLOBAL__N_18offset_tEEE10hipError_tPvRmT1_PNSt15iterator_traitsISK_E10value_typeET2_T3_PNSL_ISQ_E10value_typeET4_jRbjT5_SW_jjP12ihipStream_tbEUlT_E_NS1_11comp_targetILNS1_3genE10ELNS1_11target_archE1201ELNS1_3gpuE5ELNS1_3repE0EEENS1_30default_config_static_selectorELNS0_4arch9wavefront6targetE0EEEvSK_,"axG",@progbits,_ZN7rocprim17ROCPRIM_400000_NS6detail17trampoline_kernelINS0_14default_configENS1_36segmented_radix_sort_config_selectorIflEEZNS1_25segmented_radix_sort_implIS3_Lb0EPKfPfPKlPlN2at6native12_GLOBAL__N_18offset_tEEE10hipError_tPvRmT1_PNSt15iterator_traitsISK_E10value_typeET2_T3_PNSL_ISQ_E10value_typeET4_jRbjT5_SW_jjP12ihipStream_tbEUlT_E_NS1_11comp_targetILNS1_3genE10ELNS1_11target_archE1201ELNS1_3gpuE5ELNS1_3repE0EEENS1_30default_config_static_selectorELNS0_4arch9wavefront6targetE0EEEvSK_,comdat
	.globl	_ZN7rocprim17ROCPRIM_400000_NS6detail17trampoline_kernelINS0_14default_configENS1_36segmented_radix_sort_config_selectorIflEEZNS1_25segmented_radix_sort_implIS3_Lb0EPKfPfPKlPlN2at6native12_GLOBAL__N_18offset_tEEE10hipError_tPvRmT1_PNSt15iterator_traitsISK_E10value_typeET2_T3_PNSL_ISQ_E10value_typeET4_jRbjT5_SW_jjP12ihipStream_tbEUlT_E_NS1_11comp_targetILNS1_3genE10ELNS1_11target_archE1201ELNS1_3gpuE5ELNS1_3repE0EEENS1_30default_config_static_selectorELNS0_4arch9wavefront6targetE0EEEvSK_ ; -- Begin function _ZN7rocprim17ROCPRIM_400000_NS6detail17trampoline_kernelINS0_14default_configENS1_36segmented_radix_sort_config_selectorIflEEZNS1_25segmented_radix_sort_implIS3_Lb0EPKfPfPKlPlN2at6native12_GLOBAL__N_18offset_tEEE10hipError_tPvRmT1_PNSt15iterator_traitsISK_E10value_typeET2_T3_PNSL_ISQ_E10value_typeET4_jRbjT5_SW_jjP12ihipStream_tbEUlT_E_NS1_11comp_targetILNS1_3genE10ELNS1_11target_archE1201ELNS1_3gpuE5ELNS1_3repE0EEENS1_30default_config_static_selectorELNS0_4arch9wavefront6targetE0EEEvSK_
	.p2align	8
	.type	_ZN7rocprim17ROCPRIM_400000_NS6detail17trampoline_kernelINS0_14default_configENS1_36segmented_radix_sort_config_selectorIflEEZNS1_25segmented_radix_sort_implIS3_Lb0EPKfPfPKlPlN2at6native12_GLOBAL__N_18offset_tEEE10hipError_tPvRmT1_PNSt15iterator_traitsISK_E10value_typeET2_T3_PNSL_ISQ_E10value_typeET4_jRbjT5_SW_jjP12ihipStream_tbEUlT_E_NS1_11comp_targetILNS1_3genE10ELNS1_11target_archE1201ELNS1_3gpuE5ELNS1_3repE0EEENS1_30default_config_static_selectorELNS0_4arch9wavefront6targetE0EEEvSK_,@function
_ZN7rocprim17ROCPRIM_400000_NS6detail17trampoline_kernelINS0_14default_configENS1_36segmented_radix_sort_config_selectorIflEEZNS1_25segmented_radix_sort_implIS3_Lb0EPKfPfPKlPlN2at6native12_GLOBAL__N_18offset_tEEE10hipError_tPvRmT1_PNSt15iterator_traitsISK_E10value_typeET2_T3_PNSL_ISQ_E10value_typeET4_jRbjT5_SW_jjP12ihipStream_tbEUlT_E_NS1_11comp_targetILNS1_3genE10ELNS1_11target_archE1201ELNS1_3gpuE5ELNS1_3repE0EEENS1_30default_config_static_selectorELNS0_4arch9wavefront6targetE0EEEvSK_: ; @_ZN7rocprim17ROCPRIM_400000_NS6detail17trampoline_kernelINS0_14default_configENS1_36segmented_radix_sort_config_selectorIflEEZNS1_25segmented_radix_sort_implIS3_Lb0EPKfPfPKlPlN2at6native12_GLOBAL__N_18offset_tEEE10hipError_tPvRmT1_PNSt15iterator_traitsISK_E10value_typeET2_T3_PNSL_ISQ_E10value_typeET4_jRbjT5_SW_jjP12ihipStream_tbEUlT_E_NS1_11comp_targetILNS1_3genE10ELNS1_11target_archE1201ELNS1_3gpuE5ELNS1_3repE0EEENS1_30default_config_static_selectorELNS0_4arch9wavefront6targetE0EEEvSK_
; %bb.0:
	.section	.rodata,"a",@progbits
	.p2align	6, 0x0
	.amdhsa_kernel _ZN7rocprim17ROCPRIM_400000_NS6detail17trampoline_kernelINS0_14default_configENS1_36segmented_radix_sort_config_selectorIflEEZNS1_25segmented_radix_sort_implIS3_Lb0EPKfPfPKlPlN2at6native12_GLOBAL__N_18offset_tEEE10hipError_tPvRmT1_PNSt15iterator_traitsISK_E10value_typeET2_T3_PNSL_ISQ_E10value_typeET4_jRbjT5_SW_jjP12ihipStream_tbEUlT_E_NS1_11comp_targetILNS1_3genE10ELNS1_11target_archE1201ELNS1_3gpuE5ELNS1_3repE0EEENS1_30default_config_static_selectorELNS0_4arch9wavefront6targetE0EEEvSK_
		.amdhsa_group_segment_fixed_size 0
		.amdhsa_private_segment_fixed_size 0
		.amdhsa_kernarg_size 96
		.amdhsa_user_sgpr_count 6
		.amdhsa_user_sgpr_private_segment_buffer 1
		.amdhsa_user_sgpr_dispatch_ptr 0
		.amdhsa_user_sgpr_queue_ptr 0
		.amdhsa_user_sgpr_kernarg_segment_ptr 1
		.amdhsa_user_sgpr_dispatch_id 0
		.amdhsa_user_sgpr_flat_scratch_init 0
		.amdhsa_user_sgpr_private_segment_size 0
		.amdhsa_wavefront_size32 1
		.amdhsa_uses_dynamic_stack 0
		.amdhsa_system_sgpr_private_segment_wavefront_offset 0
		.amdhsa_system_sgpr_workgroup_id_x 1
		.amdhsa_system_sgpr_workgroup_id_y 0
		.amdhsa_system_sgpr_workgroup_id_z 0
		.amdhsa_system_sgpr_workgroup_info 0
		.amdhsa_system_vgpr_workitem_id 0
		.amdhsa_next_free_vgpr 1
		.amdhsa_next_free_sgpr 1
		.amdhsa_reserve_vcc 0
		.amdhsa_reserve_flat_scratch 0
		.amdhsa_float_round_mode_32 0
		.amdhsa_float_round_mode_16_64 0
		.amdhsa_float_denorm_mode_32 3
		.amdhsa_float_denorm_mode_16_64 3
		.amdhsa_dx10_clamp 1
		.amdhsa_ieee_mode 1
		.amdhsa_fp16_overflow 0
		.amdhsa_workgroup_processor_mode 1
		.amdhsa_memory_ordered 1
		.amdhsa_forward_progress 1
		.amdhsa_shared_vgpr_count 0
		.amdhsa_exception_fp_ieee_invalid_op 0
		.amdhsa_exception_fp_denorm_src 0
		.amdhsa_exception_fp_ieee_div_zero 0
		.amdhsa_exception_fp_ieee_overflow 0
		.amdhsa_exception_fp_ieee_underflow 0
		.amdhsa_exception_fp_ieee_inexact 0
		.amdhsa_exception_int_div_zero 0
	.end_amdhsa_kernel
	.section	.text._ZN7rocprim17ROCPRIM_400000_NS6detail17trampoline_kernelINS0_14default_configENS1_36segmented_radix_sort_config_selectorIflEEZNS1_25segmented_radix_sort_implIS3_Lb0EPKfPfPKlPlN2at6native12_GLOBAL__N_18offset_tEEE10hipError_tPvRmT1_PNSt15iterator_traitsISK_E10value_typeET2_T3_PNSL_ISQ_E10value_typeET4_jRbjT5_SW_jjP12ihipStream_tbEUlT_E_NS1_11comp_targetILNS1_3genE10ELNS1_11target_archE1201ELNS1_3gpuE5ELNS1_3repE0EEENS1_30default_config_static_selectorELNS0_4arch9wavefront6targetE0EEEvSK_,"axG",@progbits,_ZN7rocprim17ROCPRIM_400000_NS6detail17trampoline_kernelINS0_14default_configENS1_36segmented_radix_sort_config_selectorIflEEZNS1_25segmented_radix_sort_implIS3_Lb0EPKfPfPKlPlN2at6native12_GLOBAL__N_18offset_tEEE10hipError_tPvRmT1_PNSt15iterator_traitsISK_E10value_typeET2_T3_PNSL_ISQ_E10value_typeET4_jRbjT5_SW_jjP12ihipStream_tbEUlT_E_NS1_11comp_targetILNS1_3genE10ELNS1_11target_archE1201ELNS1_3gpuE5ELNS1_3repE0EEENS1_30default_config_static_selectorELNS0_4arch9wavefront6targetE0EEEvSK_,comdat
.Lfunc_end1425:
	.size	_ZN7rocprim17ROCPRIM_400000_NS6detail17trampoline_kernelINS0_14default_configENS1_36segmented_radix_sort_config_selectorIflEEZNS1_25segmented_radix_sort_implIS3_Lb0EPKfPfPKlPlN2at6native12_GLOBAL__N_18offset_tEEE10hipError_tPvRmT1_PNSt15iterator_traitsISK_E10value_typeET2_T3_PNSL_ISQ_E10value_typeET4_jRbjT5_SW_jjP12ihipStream_tbEUlT_E_NS1_11comp_targetILNS1_3genE10ELNS1_11target_archE1201ELNS1_3gpuE5ELNS1_3repE0EEENS1_30default_config_static_selectorELNS0_4arch9wavefront6targetE0EEEvSK_, .Lfunc_end1425-_ZN7rocprim17ROCPRIM_400000_NS6detail17trampoline_kernelINS0_14default_configENS1_36segmented_radix_sort_config_selectorIflEEZNS1_25segmented_radix_sort_implIS3_Lb0EPKfPfPKlPlN2at6native12_GLOBAL__N_18offset_tEEE10hipError_tPvRmT1_PNSt15iterator_traitsISK_E10value_typeET2_T3_PNSL_ISQ_E10value_typeET4_jRbjT5_SW_jjP12ihipStream_tbEUlT_E_NS1_11comp_targetILNS1_3genE10ELNS1_11target_archE1201ELNS1_3gpuE5ELNS1_3repE0EEENS1_30default_config_static_selectorELNS0_4arch9wavefront6targetE0EEEvSK_
                                        ; -- End function
	.set _ZN7rocprim17ROCPRIM_400000_NS6detail17trampoline_kernelINS0_14default_configENS1_36segmented_radix_sort_config_selectorIflEEZNS1_25segmented_radix_sort_implIS3_Lb0EPKfPfPKlPlN2at6native12_GLOBAL__N_18offset_tEEE10hipError_tPvRmT1_PNSt15iterator_traitsISK_E10value_typeET2_T3_PNSL_ISQ_E10value_typeET4_jRbjT5_SW_jjP12ihipStream_tbEUlT_E_NS1_11comp_targetILNS1_3genE10ELNS1_11target_archE1201ELNS1_3gpuE5ELNS1_3repE0EEENS1_30default_config_static_selectorELNS0_4arch9wavefront6targetE0EEEvSK_.num_vgpr, 0
	.set _ZN7rocprim17ROCPRIM_400000_NS6detail17trampoline_kernelINS0_14default_configENS1_36segmented_radix_sort_config_selectorIflEEZNS1_25segmented_radix_sort_implIS3_Lb0EPKfPfPKlPlN2at6native12_GLOBAL__N_18offset_tEEE10hipError_tPvRmT1_PNSt15iterator_traitsISK_E10value_typeET2_T3_PNSL_ISQ_E10value_typeET4_jRbjT5_SW_jjP12ihipStream_tbEUlT_E_NS1_11comp_targetILNS1_3genE10ELNS1_11target_archE1201ELNS1_3gpuE5ELNS1_3repE0EEENS1_30default_config_static_selectorELNS0_4arch9wavefront6targetE0EEEvSK_.num_agpr, 0
	.set _ZN7rocprim17ROCPRIM_400000_NS6detail17trampoline_kernelINS0_14default_configENS1_36segmented_radix_sort_config_selectorIflEEZNS1_25segmented_radix_sort_implIS3_Lb0EPKfPfPKlPlN2at6native12_GLOBAL__N_18offset_tEEE10hipError_tPvRmT1_PNSt15iterator_traitsISK_E10value_typeET2_T3_PNSL_ISQ_E10value_typeET4_jRbjT5_SW_jjP12ihipStream_tbEUlT_E_NS1_11comp_targetILNS1_3genE10ELNS1_11target_archE1201ELNS1_3gpuE5ELNS1_3repE0EEENS1_30default_config_static_selectorELNS0_4arch9wavefront6targetE0EEEvSK_.numbered_sgpr, 0
	.set _ZN7rocprim17ROCPRIM_400000_NS6detail17trampoline_kernelINS0_14default_configENS1_36segmented_radix_sort_config_selectorIflEEZNS1_25segmented_radix_sort_implIS3_Lb0EPKfPfPKlPlN2at6native12_GLOBAL__N_18offset_tEEE10hipError_tPvRmT1_PNSt15iterator_traitsISK_E10value_typeET2_T3_PNSL_ISQ_E10value_typeET4_jRbjT5_SW_jjP12ihipStream_tbEUlT_E_NS1_11comp_targetILNS1_3genE10ELNS1_11target_archE1201ELNS1_3gpuE5ELNS1_3repE0EEENS1_30default_config_static_selectorELNS0_4arch9wavefront6targetE0EEEvSK_.num_named_barrier, 0
	.set _ZN7rocprim17ROCPRIM_400000_NS6detail17trampoline_kernelINS0_14default_configENS1_36segmented_radix_sort_config_selectorIflEEZNS1_25segmented_radix_sort_implIS3_Lb0EPKfPfPKlPlN2at6native12_GLOBAL__N_18offset_tEEE10hipError_tPvRmT1_PNSt15iterator_traitsISK_E10value_typeET2_T3_PNSL_ISQ_E10value_typeET4_jRbjT5_SW_jjP12ihipStream_tbEUlT_E_NS1_11comp_targetILNS1_3genE10ELNS1_11target_archE1201ELNS1_3gpuE5ELNS1_3repE0EEENS1_30default_config_static_selectorELNS0_4arch9wavefront6targetE0EEEvSK_.private_seg_size, 0
	.set _ZN7rocprim17ROCPRIM_400000_NS6detail17trampoline_kernelINS0_14default_configENS1_36segmented_radix_sort_config_selectorIflEEZNS1_25segmented_radix_sort_implIS3_Lb0EPKfPfPKlPlN2at6native12_GLOBAL__N_18offset_tEEE10hipError_tPvRmT1_PNSt15iterator_traitsISK_E10value_typeET2_T3_PNSL_ISQ_E10value_typeET4_jRbjT5_SW_jjP12ihipStream_tbEUlT_E_NS1_11comp_targetILNS1_3genE10ELNS1_11target_archE1201ELNS1_3gpuE5ELNS1_3repE0EEENS1_30default_config_static_selectorELNS0_4arch9wavefront6targetE0EEEvSK_.uses_vcc, 0
	.set _ZN7rocprim17ROCPRIM_400000_NS6detail17trampoline_kernelINS0_14default_configENS1_36segmented_radix_sort_config_selectorIflEEZNS1_25segmented_radix_sort_implIS3_Lb0EPKfPfPKlPlN2at6native12_GLOBAL__N_18offset_tEEE10hipError_tPvRmT1_PNSt15iterator_traitsISK_E10value_typeET2_T3_PNSL_ISQ_E10value_typeET4_jRbjT5_SW_jjP12ihipStream_tbEUlT_E_NS1_11comp_targetILNS1_3genE10ELNS1_11target_archE1201ELNS1_3gpuE5ELNS1_3repE0EEENS1_30default_config_static_selectorELNS0_4arch9wavefront6targetE0EEEvSK_.uses_flat_scratch, 0
	.set _ZN7rocprim17ROCPRIM_400000_NS6detail17trampoline_kernelINS0_14default_configENS1_36segmented_radix_sort_config_selectorIflEEZNS1_25segmented_radix_sort_implIS3_Lb0EPKfPfPKlPlN2at6native12_GLOBAL__N_18offset_tEEE10hipError_tPvRmT1_PNSt15iterator_traitsISK_E10value_typeET2_T3_PNSL_ISQ_E10value_typeET4_jRbjT5_SW_jjP12ihipStream_tbEUlT_E_NS1_11comp_targetILNS1_3genE10ELNS1_11target_archE1201ELNS1_3gpuE5ELNS1_3repE0EEENS1_30default_config_static_selectorELNS0_4arch9wavefront6targetE0EEEvSK_.has_dyn_sized_stack, 0
	.set _ZN7rocprim17ROCPRIM_400000_NS6detail17trampoline_kernelINS0_14default_configENS1_36segmented_radix_sort_config_selectorIflEEZNS1_25segmented_radix_sort_implIS3_Lb0EPKfPfPKlPlN2at6native12_GLOBAL__N_18offset_tEEE10hipError_tPvRmT1_PNSt15iterator_traitsISK_E10value_typeET2_T3_PNSL_ISQ_E10value_typeET4_jRbjT5_SW_jjP12ihipStream_tbEUlT_E_NS1_11comp_targetILNS1_3genE10ELNS1_11target_archE1201ELNS1_3gpuE5ELNS1_3repE0EEENS1_30default_config_static_selectorELNS0_4arch9wavefront6targetE0EEEvSK_.has_recursion, 0
	.set _ZN7rocprim17ROCPRIM_400000_NS6detail17trampoline_kernelINS0_14default_configENS1_36segmented_radix_sort_config_selectorIflEEZNS1_25segmented_radix_sort_implIS3_Lb0EPKfPfPKlPlN2at6native12_GLOBAL__N_18offset_tEEE10hipError_tPvRmT1_PNSt15iterator_traitsISK_E10value_typeET2_T3_PNSL_ISQ_E10value_typeET4_jRbjT5_SW_jjP12ihipStream_tbEUlT_E_NS1_11comp_targetILNS1_3genE10ELNS1_11target_archE1201ELNS1_3gpuE5ELNS1_3repE0EEENS1_30default_config_static_selectorELNS0_4arch9wavefront6targetE0EEEvSK_.has_indirect_call, 0
	.section	.AMDGPU.csdata,"",@progbits
; Kernel info:
; codeLenInByte = 0
; TotalNumSgprs: 0
; NumVgprs: 0
; ScratchSize: 0
; MemoryBound: 0
; FloatMode: 240
; IeeeMode: 1
; LDSByteSize: 0 bytes/workgroup (compile time only)
; SGPRBlocks: 0
; VGPRBlocks: 0
; NumSGPRsForWavesPerEU: 1
; NumVGPRsForWavesPerEU: 1
; Occupancy: 16
; WaveLimiterHint : 0
; COMPUTE_PGM_RSRC2:SCRATCH_EN: 0
; COMPUTE_PGM_RSRC2:USER_SGPR: 6
; COMPUTE_PGM_RSRC2:TRAP_HANDLER: 0
; COMPUTE_PGM_RSRC2:TGID_X_EN: 1
; COMPUTE_PGM_RSRC2:TGID_Y_EN: 0
; COMPUTE_PGM_RSRC2:TGID_Z_EN: 0
; COMPUTE_PGM_RSRC2:TIDIG_COMP_CNT: 0
	.section	.text._ZN7rocprim17ROCPRIM_400000_NS6detail17trampoline_kernelINS0_14default_configENS1_36segmented_radix_sort_config_selectorIflEEZNS1_25segmented_radix_sort_implIS3_Lb0EPKfPfPKlPlN2at6native12_GLOBAL__N_18offset_tEEE10hipError_tPvRmT1_PNSt15iterator_traitsISK_E10value_typeET2_T3_PNSL_ISQ_E10value_typeET4_jRbjT5_SW_jjP12ihipStream_tbEUlT_E_NS1_11comp_targetILNS1_3genE10ELNS1_11target_archE1200ELNS1_3gpuE4ELNS1_3repE0EEENS1_30default_config_static_selectorELNS0_4arch9wavefront6targetE0EEEvSK_,"axG",@progbits,_ZN7rocprim17ROCPRIM_400000_NS6detail17trampoline_kernelINS0_14default_configENS1_36segmented_radix_sort_config_selectorIflEEZNS1_25segmented_radix_sort_implIS3_Lb0EPKfPfPKlPlN2at6native12_GLOBAL__N_18offset_tEEE10hipError_tPvRmT1_PNSt15iterator_traitsISK_E10value_typeET2_T3_PNSL_ISQ_E10value_typeET4_jRbjT5_SW_jjP12ihipStream_tbEUlT_E_NS1_11comp_targetILNS1_3genE10ELNS1_11target_archE1200ELNS1_3gpuE4ELNS1_3repE0EEENS1_30default_config_static_selectorELNS0_4arch9wavefront6targetE0EEEvSK_,comdat
	.globl	_ZN7rocprim17ROCPRIM_400000_NS6detail17trampoline_kernelINS0_14default_configENS1_36segmented_radix_sort_config_selectorIflEEZNS1_25segmented_radix_sort_implIS3_Lb0EPKfPfPKlPlN2at6native12_GLOBAL__N_18offset_tEEE10hipError_tPvRmT1_PNSt15iterator_traitsISK_E10value_typeET2_T3_PNSL_ISQ_E10value_typeET4_jRbjT5_SW_jjP12ihipStream_tbEUlT_E_NS1_11comp_targetILNS1_3genE10ELNS1_11target_archE1200ELNS1_3gpuE4ELNS1_3repE0EEENS1_30default_config_static_selectorELNS0_4arch9wavefront6targetE0EEEvSK_ ; -- Begin function _ZN7rocprim17ROCPRIM_400000_NS6detail17trampoline_kernelINS0_14default_configENS1_36segmented_radix_sort_config_selectorIflEEZNS1_25segmented_radix_sort_implIS3_Lb0EPKfPfPKlPlN2at6native12_GLOBAL__N_18offset_tEEE10hipError_tPvRmT1_PNSt15iterator_traitsISK_E10value_typeET2_T3_PNSL_ISQ_E10value_typeET4_jRbjT5_SW_jjP12ihipStream_tbEUlT_E_NS1_11comp_targetILNS1_3genE10ELNS1_11target_archE1200ELNS1_3gpuE4ELNS1_3repE0EEENS1_30default_config_static_selectorELNS0_4arch9wavefront6targetE0EEEvSK_
	.p2align	8
	.type	_ZN7rocprim17ROCPRIM_400000_NS6detail17trampoline_kernelINS0_14default_configENS1_36segmented_radix_sort_config_selectorIflEEZNS1_25segmented_radix_sort_implIS3_Lb0EPKfPfPKlPlN2at6native12_GLOBAL__N_18offset_tEEE10hipError_tPvRmT1_PNSt15iterator_traitsISK_E10value_typeET2_T3_PNSL_ISQ_E10value_typeET4_jRbjT5_SW_jjP12ihipStream_tbEUlT_E_NS1_11comp_targetILNS1_3genE10ELNS1_11target_archE1200ELNS1_3gpuE4ELNS1_3repE0EEENS1_30default_config_static_selectorELNS0_4arch9wavefront6targetE0EEEvSK_,@function
_ZN7rocprim17ROCPRIM_400000_NS6detail17trampoline_kernelINS0_14default_configENS1_36segmented_radix_sort_config_selectorIflEEZNS1_25segmented_radix_sort_implIS3_Lb0EPKfPfPKlPlN2at6native12_GLOBAL__N_18offset_tEEE10hipError_tPvRmT1_PNSt15iterator_traitsISK_E10value_typeET2_T3_PNSL_ISQ_E10value_typeET4_jRbjT5_SW_jjP12ihipStream_tbEUlT_E_NS1_11comp_targetILNS1_3genE10ELNS1_11target_archE1200ELNS1_3gpuE4ELNS1_3repE0EEENS1_30default_config_static_selectorELNS0_4arch9wavefront6targetE0EEEvSK_: ; @_ZN7rocprim17ROCPRIM_400000_NS6detail17trampoline_kernelINS0_14default_configENS1_36segmented_radix_sort_config_selectorIflEEZNS1_25segmented_radix_sort_implIS3_Lb0EPKfPfPKlPlN2at6native12_GLOBAL__N_18offset_tEEE10hipError_tPvRmT1_PNSt15iterator_traitsISK_E10value_typeET2_T3_PNSL_ISQ_E10value_typeET4_jRbjT5_SW_jjP12ihipStream_tbEUlT_E_NS1_11comp_targetILNS1_3genE10ELNS1_11target_archE1200ELNS1_3gpuE4ELNS1_3repE0EEENS1_30default_config_static_selectorELNS0_4arch9wavefront6targetE0EEEvSK_
; %bb.0:
	.section	.rodata,"a",@progbits
	.p2align	6, 0x0
	.amdhsa_kernel _ZN7rocprim17ROCPRIM_400000_NS6detail17trampoline_kernelINS0_14default_configENS1_36segmented_radix_sort_config_selectorIflEEZNS1_25segmented_radix_sort_implIS3_Lb0EPKfPfPKlPlN2at6native12_GLOBAL__N_18offset_tEEE10hipError_tPvRmT1_PNSt15iterator_traitsISK_E10value_typeET2_T3_PNSL_ISQ_E10value_typeET4_jRbjT5_SW_jjP12ihipStream_tbEUlT_E_NS1_11comp_targetILNS1_3genE10ELNS1_11target_archE1200ELNS1_3gpuE4ELNS1_3repE0EEENS1_30default_config_static_selectorELNS0_4arch9wavefront6targetE0EEEvSK_
		.amdhsa_group_segment_fixed_size 0
		.amdhsa_private_segment_fixed_size 0
		.amdhsa_kernarg_size 96
		.amdhsa_user_sgpr_count 6
		.amdhsa_user_sgpr_private_segment_buffer 1
		.amdhsa_user_sgpr_dispatch_ptr 0
		.amdhsa_user_sgpr_queue_ptr 0
		.amdhsa_user_sgpr_kernarg_segment_ptr 1
		.amdhsa_user_sgpr_dispatch_id 0
		.amdhsa_user_sgpr_flat_scratch_init 0
		.amdhsa_user_sgpr_private_segment_size 0
		.amdhsa_wavefront_size32 1
		.amdhsa_uses_dynamic_stack 0
		.amdhsa_system_sgpr_private_segment_wavefront_offset 0
		.amdhsa_system_sgpr_workgroup_id_x 1
		.amdhsa_system_sgpr_workgroup_id_y 0
		.amdhsa_system_sgpr_workgroup_id_z 0
		.amdhsa_system_sgpr_workgroup_info 0
		.amdhsa_system_vgpr_workitem_id 0
		.amdhsa_next_free_vgpr 1
		.amdhsa_next_free_sgpr 1
		.amdhsa_reserve_vcc 0
		.amdhsa_reserve_flat_scratch 0
		.amdhsa_float_round_mode_32 0
		.amdhsa_float_round_mode_16_64 0
		.amdhsa_float_denorm_mode_32 3
		.amdhsa_float_denorm_mode_16_64 3
		.amdhsa_dx10_clamp 1
		.amdhsa_ieee_mode 1
		.amdhsa_fp16_overflow 0
		.amdhsa_workgroup_processor_mode 1
		.amdhsa_memory_ordered 1
		.amdhsa_forward_progress 1
		.amdhsa_shared_vgpr_count 0
		.amdhsa_exception_fp_ieee_invalid_op 0
		.amdhsa_exception_fp_denorm_src 0
		.amdhsa_exception_fp_ieee_div_zero 0
		.amdhsa_exception_fp_ieee_overflow 0
		.amdhsa_exception_fp_ieee_underflow 0
		.amdhsa_exception_fp_ieee_inexact 0
		.amdhsa_exception_int_div_zero 0
	.end_amdhsa_kernel
	.section	.text._ZN7rocprim17ROCPRIM_400000_NS6detail17trampoline_kernelINS0_14default_configENS1_36segmented_radix_sort_config_selectorIflEEZNS1_25segmented_radix_sort_implIS3_Lb0EPKfPfPKlPlN2at6native12_GLOBAL__N_18offset_tEEE10hipError_tPvRmT1_PNSt15iterator_traitsISK_E10value_typeET2_T3_PNSL_ISQ_E10value_typeET4_jRbjT5_SW_jjP12ihipStream_tbEUlT_E_NS1_11comp_targetILNS1_3genE10ELNS1_11target_archE1200ELNS1_3gpuE4ELNS1_3repE0EEENS1_30default_config_static_selectorELNS0_4arch9wavefront6targetE0EEEvSK_,"axG",@progbits,_ZN7rocprim17ROCPRIM_400000_NS6detail17trampoline_kernelINS0_14default_configENS1_36segmented_radix_sort_config_selectorIflEEZNS1_25segmented_radix_sort_implIS3_Lb0EPKfPfPKlPlN2at6native12_GLOBAL__N_18offset_tEEE10hipError_tPvRmT1_PNSt15iterator_traitsISK_E10value_typeET2_T3_PNSL_ISQ_E10value_typeET4_jRbjT5_SW_jjP12ihipStream_tbEUlT_E_NS1_11comp_targetILNS1_3genE10ELNS1_11target_archE1200ELNS1_3gpuE4ELNS1_3repE0EEENS1_30default_config_static_selectorELNS0_4arch9wavefront6targetE0EEEvSK_,comdat
.Lfunc_end1426:
	.size	_ZN7rocprim17ROCPRIM_400000_NS6detail17trampoline_kernelINS0_14default_configENS1_36segmented_radix_sort_config_selectorIflEEZNS1_25segmented_radix_sort_implIS3_Lb0EPKfPfPKlPlN2at6native12_GLOBAL__N_18offset_tEEE10hipError_tPvRmT1_PNSt15iterator_traitsISK_E10value_typeET2_T3_PNSL_ISQ_E10value_typeET4_jRbjT5_SW_jjP12ihipStream_tbEUlT_E_NS1_11comp_targetILNS1_3genE10ELNS1_11target_archE1200ELNS1_3gpuE4ELNS1_3repE0EEENS1_30default_config_static_selectorELNS0_4arch9wavefront6targetE0EEEvSK_, .Lfunc_end1426-_ZN7rocprim17ROCPRIM_400000_NS6detail17trampoline_kernelINS0_14default_configENS1_36segmented_radix_sort_config_selectorIflEEZNS1_25segmented_radix_sort_implIS3_Lb0EPKfPfPKlPlN2at6native12_GLOBAL__N_18offset_tEEE10hipError_tPvRmT1_PNSt15iterator_traitsISK_E10value_typeET2_T3_PNSL_ISQ_E10value_typeET4_jRbjT5_SW_jjP12ihipStream_tbEUlT_E_NS1_11comp_targetILNS1_3genE10ELNS1_11target_archE1200ELNS1_3gpuE4ELNS1_3repE0EEENS1_30default_config_static_selectorELNS0_4arch9wavefront6targetE0EEEvSK_
                                        ; -- End function
	.set _ZN7rocprim17ROCPRIM_400000_NS6detail17trampoline_kernelINS0_14default_configENS1_36segmented_radix_sort_config_selectorIflEEZNS1_25segmented_radix_sort_implIS3_Lb0EPKfPfPKlPlN2at6native12_GLOBAL__N_18offset_tEEE10hipError_tPvRmT1_PNSt15iterator_traitsISK_E10value_typeET2_T3_PNSL_ISQ_E10value_typeET4_jRbjT5_SW_jjP12ihipStream_tbEUlT_E_NS1_11comp_targetILNS1_3genE10ELNS1_11target_archE1200ELNS1_3gpuE4ELNS1_3repE0EEENS1_30default_config_static_selectorELNS0_4arch9wavefront6targetE0EEEvSK_.num_vgpr, 0
	.set _ZN7rocprim17ROCPRIM_400000_NS6detail17trampoline_kernelINS0_14default_configENS1_36segmented_radix_sort_config_selectorIflEEZNS1_25segmented_radix_sort_implIS3_Lb0EPKfPfPKlPlN2at6native12_GLOBAL__N_18offset_tEEE10hipError_tPvRmT1_PNSt15iterator_traitsISK_E10value_typeET2_T3_PNSL_ISQ_E10value_typeET4_jRbjT5_SW_jjP12ihipStream_tbEUlT_E_NS1_11comp_targetILNS1_3genE10ELNS1_11target_archE1200ELNS1_3gpuE4ELNS1_3repE0EEENS1_30default_config_static_selectorELNS0_4arch9wavefront6targetE0EEEvSK_.num_agpr, 0
	.set _ZN7rocprim17ROCPRIM_400000_NS6detail17trampoline_kernelINS0_14default_configENS1_36segmented_radix_sort_config_selectorIflEEZNS1_25segmented_radix_sort_implIS3_Lb0EPKfPfPKlPlN2at6native12_GLOBAL__N_18offset_tEEE10hipError_tPvRmT1_PNSt15iterator_traitsISK_E10value_typeET2_T3_PNSL_ISQ_E10value_typeET4_jRbjT5_SW_jjP12ihipStream_tbEUlT_E_NS1_11comp_targetILNS1_3genE10ELNS1_11target_archE1200ELNS1_3gpuE4ELNS1_3repE0EEENS1_30default_config_static_selectorELNS0_4arch9wavefront6targetE0EEEvSK_.numbered_sgpr, 0
	.set _ZN7rocprim17ROCPRIM_400000_NS6detail17trampoline_kernelINS0_14default_configENS1_36segmented_radix_sort_config_selectorIflEEZNS1_25segmented_radix_sort_implIS3_Lb0EPKfPfPKlPlN2at6native12_GLOBAL__N_18offset_tEEE10hipError_tPvRmT1_PNSt15iterator_traitsISK_E10value_typeET2_T3_PNSL_ISQ_E10value_typeET4_jRbjT5_SW_jjP12ihipStream_tbEUlT_E_NS1_11comp_targetILNS1_3genE10ELNS1_11target_archE1200ELNS1_3gpuE4ELNS1_3repE0EEENS1_30default_config_static_selectorELNS0_4arch9wavefront6targetE0EEEvSK_.num_named_barrier, 0
	.set _ZN7rocprim17ROCPRIM_400000_NS6detail17trampoline_kernelINS0_14default_configENS1_36segmented_radix_sort_config_selectorIflEEZNS1_25segmented_radix_sort_implIS3_Lb0EPKfPfPKlPlN2at6native12_GLOBAL__N_18offset_tEEE10hipError_tPvRmT1_PNSt15iterator_traitsISK_E10value_typeET2_T3_PNSL_ISQ_E10value_typeET4_jRbjT5_SW_jjP12ihipStream_tbEUlT_E_NS1_11comp_targetILNS1_3genE10ELNS1_11target_archE1200ELNS1_3gpuE4ELNS1_3repE0EEENS1_30default_config_static_selectorELNS0_4arch9wavefront6targetE0EEEvSK_.private_seg_size, 0
	.set _ZN7rocprim17ROCPRIM_400000_NS6detail17trampoline_kernelINS0_14default_configENS1_36segmented_radix_sort_config_selectorIflEEZNS1_25segmented_radix_sort_implIS3_Lb0EPKfPfPKlPlN2at6native12_GLOBAL__N_18offset_tEEE10hipError_tPvRmT1_PNSt15iterator_traitsISK_E10value_typeET2_T3_PNSL_ISQ_E10value_typeET4_jRbjT5_SW_jjP12ihipStream_tbEUlT_E_NS1_11comp_targetILNS1_3genE10ELNS1_11target_archE1200ELNS1_3gpuE4ELNS1_3repE0EEENS1_30default_config_static_selectorELNS0_4arch9wavefront6targetE0EEEvSK_.uses_vcc, 0
	.set _ZN7rocprim17ROCPRIM_400000_NS6detail17trampoline_kernelINS0_14default_configENS1_36segmented_radix_sort_config_selectorIflEEZNS1_25segmented_radix_sort_implIS3_Lb0EPKfPfPKlPlN2at6native12_GLOBAL__N_18offset_tEEE10hipError_tPvRmT1_PNSt15iterator_traitsISK_E10value_typeET2_T3_PNSL_ISQ_E10value_typeET4_jRbjT5_SW_jjP12ihipStream_tbEUlT_E_NS1_11comp_targetILNS1_3genE10ELNS1_11target_archE1200ELNS1_3gpuE4ELNS1_3repE0EEENS1_30default_config_static_selectorELNS0_4arch9wavefront6targetE0EEEvSK_.uses_flat_scratch, 0
	.set _ZN7rocprim17ROCPRIM_400000_NS6detail17trampoline_kernelINS0_14default_configENS1_36segmented_radix_sort_config_selectorIflEEZNS1_25segmented_radix_sort_implIS3_Lb0EPKfPfPKlPlN2at6native12_GLOBAL__N_18offset_tEEE10hipError_tPvRmT1_PNSt15iterator_traitsISK_E10value_typeET2_T3_PNSL_ISQ_E10value_typeET4_jRbjT5_SW_jjP12ihipStream_tbEUlT_E_NS1_11comp_targetILNS1_3genE10ELNS1_11target_archE1200ELNS1_3gpuE4ELNS1_3repE0EEENS1_30default_config_static_selectorELNS0_4arch9wavefront6targetE0EEEvSK_.has_dyn_sized_stack, 0
	.set _ZN7rocprim17ROCPRIM_400000_NS6detail17trampoline_kernelINS0_14default_configENS1_36segmented_radix_sort_config_selectorIflEEZNS1_25segmented_radix_sort_implIS3_Lb0EPKfPfPKlPlN2at6native12_GLOBAL__N_18offset_tEEE10hipError_tPvRmT1_PNSt15iterator_traitsISK_E10value_typeET2_T3_PNSL_ISQ_E10value_typeET4_jRbjT5_SW_jjP12ihipStream_tbEUlT_E_NS1_11comp_targetILNS1_3genE10ELNS1_11target_archE1200ELNS1_3gpuE4ELNS1_3repE0EEENS1_30default_config_static_selectorELNS0_4arch9wavefront6targetE0EEEvSK_.has_recursion, 0
	.set _ZN7rocprim17ROCPRIM_400000_NS6detail17trampoline_kernelINS0_14default_configENS1_36segmented_radix_sort_config_selectorIflEEZNS1_25segmented_radix_sort_implIS3_Lb0EPKfPfPKlPlN2at6native12_GLOBAL__N_18offset_tEEE10hipError_tPvRmT1_PNSt15iterator_traitsISK_E10value_typeET2_T3_PNSL_ISQ_E10value_typeET4_jRbjT5_SW_jjP12ihipStream_tbEUlT_E_NS1_11comp_targetILNS1_3genE10ELNS1_11target_archE1200ELNS1_3gpuE4ELNS1_3repE0EEENS1_30default_config_static_selectorELNS0_4arch9wavefront6targetE0EEEvSK_.has_indirect_call, 0
	.section	.AMDGPU.csdata,"",@progbits
; Kernel info:
; codeLenInByte = 0
; TotalNumSgprs: 0
; NumVgprs: 0
; ScratchSize: 0
; MemoryBound: 0
; FloatMode: 240
; IeeeMode: 1
; LDSByteSize: 0 bytes/workgroup (compile time only)
; SGPRBlocks: 0
; VGPRBlocks: 0
; NumSGPRsForWavesPerEU: 1
; NumVGPRsForWavesPerEU: 1
; Occupancy: 16
; WaveLimiterHint : 0
; COMPUTE_PGM_RSRC2:SCRATCH_EN: 0
; COMPUTE_PGM_RSRC2:USER_SGPR: 6
; COMPUTE_PGM_RSRC2:TRAP_HANDLER: 0
; COMPUTE_PGM_RSRC2:TGID_X_EN: 1
; COMPUTE_PGM_RSRC2:TGID_Y_EN: 0
; COMPUTE_PGM_RSRC2:TGID_Z_EN: 0
; COMPUTE_PGM_RSRC2:TIDIG_COMP_CNT: 0
	.section	.text._ZN7rocprim17ROCPRIM_400000_NS6detail17trampoline_kernelINS0_14default_configENS1_36segmented_radix_sort_config_selectorIflEEZNS1_25segmented_radix_sort_implIS3_Lb0EPKfPfPKlPlN2at6native12_GLOBAL__N_18offset_tEEE10hipError_tPvRmT1_PNSt15iterator_traitsISK_E10value_typeET2_T3_PNSL_ISQ_E10value_typeET4_jRbjT5_SW_jjP12ihipStream_tbEUlT_E_NS1_11comp_targetILNS1_3genE9ELNS1_11target_archE1100ELNS1_3gpuE3ELNS1_3repE0EEENS1_30default_config_static_selectorELNS0_4arch9wavefront6targetE0EEEvSK_,"axG",@progbits,_ZN7rocprim17ROCPRIM_400000_NS6detail17trampoline_kernelINS0_14default_configENS1_36segmented_radix_sort_config_selectorIflEEZNS1_25segmented_radix_sort_implIS3_Lb0EPKfPfPKlPlN2at6native12_GLOBAL__N_18offset_tEEE10hipError_tPvRmT1_PNSt15iterator_traitsISK_E10value_typeET2_T3_PNSL_ISQ_E10value_typeET4_jRbjT5_SW_jjP12ihipStream_tbEUlT_E_NS1_11comp_targetILNS1_3genE9ELNS1_11target_archE1100ELNS1_3gpuE3ELNS1_3repE0EEENS1_30default_config_static_selectorELNS0_4arch9wavefront6targetE0EEEvSK_,comdat
	.globl	_ZN7rocprim17ROCPRIM_400000_NS6detail17trampoline_kernelINS0_14default_configENS1_36segmented_radix_sort_config_selectorIflEEZNS1_25segmented_radix_sort_implIS3_Lb0EPKfPfPKlPlN2at6native12_GLOBAL__N_18offset_tEEE10hipError_tPvRmT1_PNSt15iterator_traitsISK_E10value_typeET2_T3_PNSL_ISQ_E10value_typeET4_jRbjT5_SW_jjP12ihipStream_tbEUlT_E_NS1_11comp_targetILNS1_3genE9ELNS1_11target_archE1100ELNS1_3gpuE3ELNS1_3repE0EEENS1_30default_config_static_selectorELNS0_4arch9wavefront6targetE0EEEvSK_ ; -- Begin function _ZN7rocprim17ROCPRIM_400000_NS6detail17trampoline_kernelINS0_14default_configENS1_36segmented_radix_sort_config_selectorIflEEZNS1_25segmented_radix_sort_implIS3_Lb0EPKfPfPKlPlN2at6native12_GLOBAL__N_18offset_tEEE10hipError_tPvRmT1_PNSt15iterator_traitsISK_E10value_typeET2_T3_PNSL_ISQ_E10value_typeET4_jRbjT5_SW_jjP12ihipStream_tbEUlT_E_NS1_11comp_targetILNS1_3genE9ELNS1_11target_archE1100ELNS1_3gpuE3ELNS1_3repE0EEENS1_30default_config_static_selectorELNS0_4arch9wavefront6targetE0EEEvSK_
	.p2align	8
	.type	_ZN7rocprim17ROCPRIM_400000_NS6detail17trampoline_kernelINS0_14default_configENS1_36segmented_radix_sort_config_selectorIflEEZNS1_25segmented_radix_sort_implIS3_Lb0EPKfPfPKlPlN2at6native12_GLOBAL__N_18offset_tEEE10hipError_tPvRmT1_PNSt15iterator_traitsISK_E10value_typeET2_T3_PNSL_ISQ_E10value_typeET4_jRbjT5_SW_jjP12ihipStream_tbEUlT_E_NS1_11comp_targetILNS1_3genE9ELNS1_11target_archE1100ELNS1_3gpuE3ELNS1_3repE0EEENS1_30default_config_static_selectorELNS0_4arch9wavefront6targetE0EEEvSK_,@function
_ZN7rocprim17ROCPRIM_400000_NS6detail17trampoline_kernelINS0_14default_configENS1_36segmented_radix_sort_config_selectorIflEEZNS1_25segmented_radix_sort_implIS3_Lb0EPKfPfPKlPlN2at6native12_GLOBAL__N_18offset_tEEE10hipError_tPvRmT1_PNSt15iterator_traitsISK_E10value_typeET2_T3_PNSL_ISQ_E10value_typeET4_jRbjT5_SW_jjP12ihipStream_tbEUlT_E_NS1_11comp_targetILNS1_3genE9ELNS1_11target_archE1100ELNS1_3gpuE3ELNS1_3repE0EEENS1_30default_config_static_selectorELNS0_4arch9wavefront6targetE0EEEvSK_: ; @_ZN7rocprim17ROCPRIM_400000_NS6detail17trampoline_kernelINS0_14default_configENS1_36segmented_radix_sort_config_selectorIflEEZNS1_25segmented_radix_sort_implIS3_Lb0EPKfPfPKlPlN2at6native12_GLOBAL__N_18offset_tEEE10hipError_tPvRmT1_PNSt15iterator_traitsISK_E10value_typeET2_T3_PNSL_ISQ_E10value_typeET4_jRbjT5_SW_jjP12ihipStream_tbEUlT_E_NS1_11comp_targetILNS1_3genE9ELNS1_11target_archE1100ELNS1_3gpuE3ELNS1_3repE0EEENS1_30default_config_static_selectorELNS0_4arch9wavefront6targetE0EEEvSK_
; %bb.0:
	.section	.rodata,"a",@progbits
	.p2align	6, 0x0
	.amdhsa_kernel _ZN7rocprim17ROCPRIM_400000_NS6detail17trampoline_kernelINS0_14default_configENS1_36segmented_radix_sort_config_selectorIflEEZNS1_25segmented_radix_sort_implIS3_Lb0EPKfPfPKlPlN2at6native12_GLOBAL__N_18offset_tEEE10hipError_tPvRmT1_PNSt15iterator_traitsISK_E10value_typeET2_T3_PNSL_ISQ_E10value_typeET4_jRbjT5_SW_jjP12ihipStream_tbEUlT_E_NS1_11comp_targetILNS1_3genE9ELNS1_11target_archE1100ELNS1_3gpuE3ELNS1_3repE0EEENS1_30default_config_static_selectorELNS0_4arch9wavefront6targetE0EEEvSK_
		.amdhsa_group_segment_fixed_size 0
		.amdhsa_private_segment_fixed_size 0
		.amdhsa_kernarg_size 96
		.amdhsa_user_sgpr_count 6
		.amdhsa_user_sgpr_private_segment_buffer 1
		.amdhsa_user_sgpr_dispatch_ptr 0
		.amdhsa_user_sgpr_queue_ptr 0
		.amdhsa_user_sgpr_kernarg_segment_ptr 1
		.amdhsa_user_sgpr_dispatch_id 0
		.amdhsa_user_sgpr_flat_scratch_init 0
		.amdhsa_user_sgpr_private_segment_size 0
		.amdhsa_wavefront_size32 1
		.amdhsa_uses_dynamic_stack 0
		.amdhsa_system_sgpr_private_segment_wavefront_offset 0
		.amdhsa_system_sgpr_workgroup_id_x 1
		.amdhsa_system_sgpr_workgroup_id_y 0
		.amdhsa_system_sgpr_workgroup_id_z 0
		.amdhsa_system_sgpr_workgroup_info 0
		.amdhsa_system_vgpr_workitem_id 0
		.amdhsa_next_free_vgpr 1
		.amdhsa_next_free_sgpr 1
		.amdhsa_reserve_vcc 0
		.amdhsa_reserve_flat_scratch 0
		.amdhsa_float_round_mode_32 0
		.amdhsa_float_round_mode_16_64 0
		.amdhsa_float_denorm_mode_32 3
		.amdhsa_float_denorm_mode_16_64 3
		.amdhsa_dx10_clamp 1
		.amdhsa_ieee_mode 1
		.amdhsa_fp16_overflow 0
		.amdhsa_workgroup_processor_mode 1
		.amdhsa_memory_ordered 1
		.amdhsa_forward_progress 1
		.amdhsa_shared_vgpr_count 0
		.amdhsa_exception_fp_ieee_invalid_op 0
		.amdhsa_exception_fp_denorm_src 0
		.amdhsa_exception_fp_ieee_div_zero 0
		.amdhsa_exception_fp_ieee_overflow 0
		.amdhsa_exception_fp_ieee_underflow 0
		.amdhsa_exception_fp_ieee_inexact 0
		.amdhsa_exception_int_div_zero 0
	.end_amdhsa_kernel
	.section	.text._ZN7rocprim17ROCPRIM_400000_NS6detail17trampoline_kernelINS0_14default_configENS1_36segmented_radix_sort_config_selectorIflEEZNS1_25segmented_radix_sort_implIS3_Lb0EPKfPfPKlPlN2at6native12_GLOBAL__N_18offset_tEEE10hipError_tPvRmT1_PNSt15iterator_traitsISK_E10value_typeET2_T3_PNSL_ISQ_E10value_typeET4_jRbjT5_SW_jjP12ihipStream_tbEUlT_E_NS1_11comp_targetILNS1_3genE9ELNS1_11target_archE1100ELNS1_3gpuE3ELNS1_3repE0EEENS1_30default_config_static_selectorELNS0_4arch9wavefront6targetE0EEEvSK_,"axG",@progbits,_ZN7rocprim17ROCPRIM_400000_NS6detail17trampoline_kernelINS0_14default_configENS1_36segmented_radix_sort_config_selectorIflEEZNS1_25segmented_radix_sort_implIS3_Lb0EPKfPfPKlPlN2at6native12_GLOBAL__N_18offset_tEEE10hipError_tPvRmT1_PNSt15iterator_traitsISK_E10value_typeET2_T3_PNSL_ISQ_E10value_typeET4_jRbjT5_SW_jjP12ihipStream_tbEUlT_E_NS1_11comp_targetILNS1_3genE9ELNS1_11target_archE1100ELNS1_3gpuE3ELNS1_3repE0EEENS1_30default_config_static_selectorELNS0_4arch9wavefront6targetE0EEEvSK_,comdat
.Lfunc_end1427:
	.size	_ZN7rocprim17ROCPRIM_400000_NS6detail17trampoline_kernelINS0_14default_configENS1_36segmented_radix_sort_config_selectorIflEEZNS1_25segmented_radix_sort_implIS3_Lb0EPKfPfPKlPlN2at6native12_GLOBAL__N_18offset_tEEE10hipError_tPvRmT1_PNSt15iterator_traitsISK_E10value_typeET2_T3_PNSL_ISQ_E10value_typeET4_jRbjT5_SW_jjP12ihipStream_tbEUlT_E_NS1_11comp_targetILNS1_3genE9ELNS1_11target_archE1100ELNS1_3gpuE3ELNS1_3repE0EEENS1_30default_config_static_selectorELNS0_4arch9wavefront6targetE0EEEvSK_, .Lfunc_end1427-_ZN7rocprim17ROCPRIM_400000_NS6detail17trampoline_kernelINS0_14default_configENS1_36segmented_radix_sort_config_selectorIflEEZNS1_25segmented_radix_sort_implIS3_Lb0EPKfPfPKlPlN2at6native12_GLOBAL__N_18offset_tEEE10hipError_tPvRmT1_PNSt15iterator_traitsISK_E10value_typeET2_T3_PNSL_ISQ_E10value_typeET4_jRbjT5_SW_jjP12ihipStream_tbEUlT_E_NS1_11comp_targetILNS1_3genE9ELNS1_11target_archE1100ELNS1_3gpuE3ELNS1_3repE0EEENS1_30default_config_static_selectorELNS0_4arch9wavefront6targetE0EEEvSK_
                                        ; -- End function
	.set _ZN7rocprim17ROCPRIM_400000_NS6detail17trampoline_kernelINS0_14default_configENS1_36segmented_radix_sort_config_selectorIflEEZNS1_25segmented_radix_sort_implIS3_Lb0EPKfPfPKlPlN2at6native12_GLOBAL__N_18offset_tEEE10hipError_tPvRmT1_PNSt15iterator_traitsISK_E10value_typeET2_T3_PNSL_ISQ_E10value_typeET4_jRbjT5_SW_jjP12ihipStream_tbEUlT_E_NS1_11comp_targetILNS1_3genE9ELNS1_11target_archE1100ELNS1_3gpuE3ELNS1_3repE0EEENS1_30default_config_static_selectorELNS0_4arch9wavefront6targetE0EEEvSK_.num_vgpr, 0
	.set _ZN7rocprim17ROCPRIM_400000_NS6detail17trampoline_kernelINS0_14default_configENS1_36segmented_radix_sort_config_selectorIflEEZNS1_25segmented_radix_sort_implIS3_Lb0EPKfPfPKlPlN2at6native12_GLOBAL__N_18offset_tEEE10hipError_tPvRmT1_PNSt15iterator_traitsISK_E10value_typeET2_T3_PNSL_ISQ_E10value_typeET4_jRbjT5_SW_jjP12ihipStream_tbEUlT_E_NS1_11comp_targetILNS1_3genE9ELNS1_11target_archE1100ELNS1_3gpuE3ELNS1_3repE0EEENS1_30default_config_static_selectorELNS0_4arch9wavefront6targetE0EEEvSK_.num_agpr, 0
	.set _ZN7rocprim17ROCPRIM_400000_NS6detail17trampoline_kernelINS0_14default_configENS1_36segmented_radix_sort_config_selectorIflEEZNS1_25segmented_radix_sort_implIS3_Lb0EPKfPfPKlPlN2at6native12_GLOBAL__N_18offset_tEEE10hipError_tPvRmT1_PNSt15iterator_traitsISK_E10value_typeET2_T3_PNSL_ISQ_E10value_typeET4_jRbjT5_SW_jjP12ihipStream_tbEUlT_E_NS1_11comp_targetILNS1_3genE9ELNS1_11target_archE1100ELNS1_3gpuE3ELNS1_3repE0EEENS1_30default_config_static_selectorELNS0_4arch9wavefront6targetE0EEEvSK_.numbered_sgpr, 0
	.set _ZN7rocprim17ROCPRIM_400000_NS6detail17trampoline_kernelINS0_14default_configENS1_36segmented_radix_sort_config_selectorIflEEZNS1_25segmented_radix_sort_implIS3_Lb0EPKfPfPKlPlN2at6native12_GLOBAL__N_18offset_tEEE10hipError_tPvRmT1_PNSt15iterator_traitsISK_E10value_typeET2_T3_PNSL_ISQ_E10value_typeET4_jRbjT5_SW_jjP12ihipStream_tbEUlT_E_NS1_11comp_targetILNS1_3genE9ELNS1_11target_archE1100ELNS1_3gpuE3ELNS1_3repE0EEENS1_30default_config_static_selectorELNS0_4arch9wavefront6targetE0EEEvSK_.num_named_barrier, 0
	.set _ZN7rocprim17ROCPRIM_400000_NS6detail17trampoline_kernelINS0_14default_configENS1_36segmented_radix_sort_config_selectorIflEEZNS1_25segmented_radix_sort_implIS3_Lb0EPKfPfPKlPlN2at6native12_GLOBAL__N_18offset_tEEE10hipError_tPvRmT1_PNSt15iterator_traitsISK_E10value_typeET2_T3_PNSL_ISQ_E10value_typeET4_jRbjT5_SW_jjP12ihipStream_tbEUlT_E_NS1_11comp_targetILNS1_3genE9ELNS1_11target_archE1100ELNS1_3gpuE3ELNS1_3repE0EEENS1_30default_config_static_selectorELNS0_4arch9wavefront6targetE0EEEvSK_.private_seg_size, 0
	.set _ZN7rocprim17ROCPRIM_400000_NS6detail17trampoline_kernelINS0_14default_configENS1_36segmented_radix_sort_config_selectorIflEEZNS1_25segmented_radix_sort_implIS3_Lb0EPKfPfPKlPlN2at6native12_GLOBAL__N_18offset_tEEE10hipError_tPvRmT1_PNSt15iterator_traitsISK_E10value_typeET2_T3_PNSL_ISQ_E10value_typeET4_jRbjT5_SW_jjP12ihipStream_tbEUlT_E_NS1_11comp_targetILNS1_3genE9ELNS1_11target_archE1100ELNS1_3gpuE3ELNS1_3repE0EEENS1_30default_config_static_selectorELNS0_4arch9wavefront6targetE0EEEvSK_.uses_vcc, 0
	.set _ZN7rocprim17ROCPRIM_400000_NS6detail17trampoline_kernelINS0_14default_configENS1_36segmented_radix_sort_config_selectorIflEEZNS1_25segmented_radix_sort_implIS3_Lb0EPKfPfPKlPlN2at6native12_GLOBAL__N_18offset_tEEE10hipError_tPvRmT1_PNSt15iterator_traitsISK_E10value_typeET2_T3_PNSL_ISQ_E10value_typeET4_jRbjT5_SW_jjP12ihipStream_tbEUlT_E_NS1_11comp_targetILNS1_3genE9ELNS1_11target_archE1100ELNS1_3gpuE3ELNS1_3repE0EEENS1_30default_config_static_selectorELNS0_4arch9wavefront6targetE0EEEvSK_.uses_flat_scratch, 0
	.set _ZN7rocprim17ROCPRIM_400000_NS6detail17trampoline_kernelINS0_14default_configENS1_36segmented_radix_sort_config_selectorIflEEZNS1_25segmented_radix_sort_implIS3_Lb0EPKfPfPKlPlN2at6native12_GLOBAL__N_18offset_tEEE10hipError_tPvRmT1_PNSt15iterator_traitsISK_E10value_typeET2_T3_PNSL_ISQ_E10value_typeET4_jRbjT5_SW_jjP12ihipStream_tbEUlT_E_NS1_11comp_targetILNS1_3genE9ELNS1_11target_archE1100ELNS1_3gpuE3ELNS1_3repE0EEENS1_30default_config_static_selectorELNS0_4arch9wavefront6targetE0EEEvSK_.has_dyn_sized_stack, 0
	.set _ZN7rocprim17ROCPRIM_400000_NS6detail17trampoline_kernelINS0_14default_configENS1_36segmented_radix_sort_config_selectorIflEEZNS1_25segmented_radix_sort_implIS3_Lb0EPKfPfPKlPlN2at6native12_GLOBAL__N_18offset_tEEE10hipError_tPvRmT1_PNSt15iterator_traitsISK_E10value_typeET2_T3_PNSL_ISQ_E10value_typeET4_jRbjT5_SW_jjP12ihipStream_tbEUlT_E_NS1_11comp_targetILNS1_3genE9ELNS1_11target_archE1100ELNS1_3gpuE3ELNS1_3repE0EEENS1_30default_config_static_selectorELNS0_4arch9wavefront6targetE0EEEvSK_.has_recursion, 0
	.set _ZN7rocprim17ROCPRIM_400000_NS6detail17trampoline_kernelINS0_14default_configENS1_36segmented_radix_sort_config_selectorIflEEZNS1_25segmented_radix_sort_implIS3_Lb0EPKfPfPKlPlN2at6native12_GLOBAL__N_18offset_tEEE10hipError_tPvRmT1_PNSt15iterator_traitsISK_E10value_typeET2_T3_PNSL_ISQ_E10value_typeET4_jRbjT5_SW_jjP12ihipStream_tbEUlT_E_NS1_11comp_targetILNS1_3genE9ELNS1_11target_archE1100ELNS1_3gpuE3ELNS1_3repE0EEENS1_30default_config_static_selectorELNS0_4arch9wavefront6targetE0EEEvSK_.has_indirect_call, 0
	.section	.AMDGPU.csdata,"",@progbits
; Kernel info:
; codeLenInByte = 0
; TotalNumSgprs: 0
; NumVgprs: 0
; ScratchSize: 0
; MemoryBound: 0
; FloatMode: 240
; IeeeMode: 1
; LDSByteSize: 0 bytes/workgroup (compile time only)
; SGPRBlocks: 0
; VGPRBlocks: 0
; NumSGPRsForWavesPerEU: 1
; NumVGPRsForWavesPerEU: 1
; Occupancy: 16
; WaveLimiterHint : 0
; COMPUTE_PGM_RSRC2:SCRATCH_EN: 0
; COMPUTE_PGM_RSRC2:USER_SGPR: 6
; COMPUTE_PGM_RSRC2:TRAP_HANDLER: 0
; COMPUTE_PGM_RSRC2:TGID_X_EN: 1
; COMPUTE_PGM_RSRC2:TGID_Y_EN: 0
; COMPUTE_PGM_RSRC2:TGID_Z_EN: 0
; COMPUTE_PGM_RSRC2:TIDIG_COMP_CNT: 0
	.text
	.p2align	2                               ; -- Begin function _ZN7rocprim17ROCPRIM_400000_NS6detail40segmented_radix_sort_single_block_helperIflLj256ELj16ELb0EE4sortIPKfPfPKlPlEEbT_T0_T1_T2_jjjjRNS3_12storage_typeE
	.type	_ZN7rocprim17ROCPRIM_400000_NS6detail40segmented_radix_sort_single_block_helperIflLj256ELj16ELb0EE4sortIPKfPfPKlPlEEbT_T0_T1_T2_jjjjRNS3_12storage_typeE,@function
_ZN7rocprim17ROCPRIM_400000_NS6detail40segmented_radix_sort_single_block_helperIflLj256ELj16ELb0EE4sortIPKfPfPKlPlEEbT_T0_T1_T2_jjjjRNS3_12storage_typeE: ; @_ZN7rocprim17ROCPRIM_400000_NS6detail40segmented_radix_sort_single_block_helperIflLj256ELj16ELb0EE4sortIPKfPfPKlPlEEbT_T0_T1_T2_jjjjRNS3_12storage_typeE
; %bb.0:
	s_waitcnt vmcnt(0) expcnt(0) lgkmcnt(0)
	buffer_store_dword v40, off, s[0:3], s32 offset:60 ; 4-byte Folded Spill
	buffer_store_dword v41, off, s[0:3], s32 offset:56 ; 4-byte Folded Spill
	;; [unrolled: 1-line block ×15, first 2 shown]
	buffer_store_dword v63, off, s[0:3], s32 ; 4-byte Folded Spill
	v_sub_nc_u32_e32 v151, v9, v8
	s_mov_b32 s24, exec_lo
	v_cmpx_gt_u32_e32 0x1001, v151
	s_cbranch_execz .LBB1428_372
; %bb.1:
	v_bfe_u32 v13, v31, 10, 10
	v_bfe_u32 v14, v31, 20, 10
	v_and_b32_e32 v21, 0x3ff, v31
	v_mbcnt_lo_u32_b32 v114, -1, 0
	s_mov_b32 s4, exec_lo
	v_cmpx_lt_u32_e32 0x800, v151
	s_xor_b32 s25, exec_lo, s4
	s_cbranch_execz .LBB1428_143
; %bb.2:
	s_load_dwordx2 s[4:5], s[8:9], 0x0
	v_mov_b32_e32 v9, 0
	v_lshlrev_b64 v[50:51], 2, v[8:9]
	v_add_co_u32 v17, vcc_lo, v0, v50
	v_add_co_ci_u32_e64 v18, null, v1, v51, vcc_lo
	s_waitcnt lgkmcnt(0)
	s_cmp_lt_u32 s13, s5
	s_cselect_b32 s5, 14, 20
	s_add_u32 s6, s8, s5
	s_addc_u32 s7, s9, 0
	s_cmp_lt_u32 s12, s4
	global_load_ushort v15, v9, s[6:7]
	s_cselect_b32 s4, 12, 18
	s_add_u32 s4, s8, s4
	s_addc_u32 s5, s9, 0
	global_load_ushort v16, v9, s[4:5]
	s_waitcnt vmcnt(1)
	v_mad_u32_u24 v13, v14, v15, v13
	v_mov_b32_e32 v14, v9
	v_bfrev_b32_e32 v15, -2
	s_waitcnt vmcnt(0)
	v_mad_u64_u32 v[48:49], null, v13, v16, v[21:22]
	v_lshlrev_b32_e32 v16, 2, v114
	v_add_co_u32 v16, vcc_lo, v17, v16
	v_lshlrev_b32_e32 v13, 4, v48
	v_add_co_ci_u32_e64 v17, null, 0, v18, vcc_lo
	v_and_b32_e32 v13, 0xfffffe00, v13
	v_lshlrev_b64 v[0:1], 2, v[13:14]
	v_or_b32_e32 v32, v13, v114
	v_cmp_lt_u32_e32 vcc_lo, v32, v151
	v_add_co_u32 v0, s4, v16, v0
	v_add_co_ci_u32_e64 v1, null, v17, v1, s4
	v_bfrev_b32_e32 v16, -2
	s_and_saveexec_b32 s4, vcc_lo
	s_cbranch_execz .LBB1428_4
; %bb.3:
	flat_load_dword v16, v[0:1]
.LBB1428_4:
	s_or_b32 exec_lo, exec_lo, s4
	v_or_b32_e32 v17, 32, v32
	v_cmp_lt_u32_e64 s4, v17, v151
	s_and_saveexec_b32 s5, s4
	s_cbranch_execz .LBB1428_6
; %bb.5:
	flat_load_dword v15, v[0:1] offset:128
.LBB1428_6:
	s_or_b32 exec_lo, exec_lo, s5
	v_or_b32_e32 v18, 64, v32
	v_bfrev_b32_e32 v17, -2
	v_cmp_lt_u32_e64 s5, v18, v151
	v_bfrev_b32_e32 v18, -2
	s_and_saveexec_b32 s6, s5
	s_cbranch_execz .LBB1428_8
; %bb.7:
	flat_load_dword v18, v[0:1] offset:256
.LBB1428_8:
	s_or_b32 exec_lo, exec_lo, s6
	v_or_b32_e32 v19, 0x60, v32
	v_cmp_lt_u32_e64 s6, v19, v151
	s_and_saveexec_b32 s7, s6
	s_cbranch_execz .LBB1428_10
; %bb.9:
	flat_load_dword v17, v[0:1] offset:384
.LBB1428_10:
	s_or_b32 exec_lo, exec_lo, s7
	v_or_b32_e32 v20, 0x80, v32
	v_bfrev_b32_e32 v19, -2
	v_cmp_lt_u32_e64 s7, v20, v151
	v_bfrev_b32_e32 v20, -2
	s_and_saveexec_b32 s10, s7
	s_cbranch_execz .LBB1428_12
; %bb.11:
	flat_load_dword v20, v[0:1] offset:512
.LBB1428_12:
	;; [unrolled: 18-line block ×7, first 2 shown]
	s_or_b32 exec_lo, exec_lo, s11
	v_or_b32_e32 v32, 0x1e0, v32
	v_cmp_lt_u32_e64 s11, v32, v151
	s_and_saveexec_b32 s23, s11
	s_cbranch_execz .LBB1428_34
; %bb.33:
	flat_load_dword v30, v[0:1] offset:1920
.LBB1428_34:
	s_or_b32 exec_lo, exec_lo, s23
	v_lshlrev_b64 v[0:1], 3, v[8:9]
	v_lshlrev_b32_e32 v8, 3, v114
                                        ; implicit-def: $vgpr68_vgpr69
	v_add_co_u32 v9, s23, v4, v0
	v_add_co_ci_u32_e64 v32, null, v5, v1, s23
	v_lshlrev_b64 v[4:5], 3, v[13:14]
	v_add_co_u32 v8, s23, v9, v8
	v_add_co_ci_u32_e64 v9, null, 0, v32, s23
	v_add_co_u32 v4, s23, v8, v4
	v_add_co_ci_u32_e64 v5, null, v9, v5, s23
	s_and_saveexec_b32 s23, vcc_lo
	s_cbranch_execnz .LBB1428_196
; %bb.35:
	s_or_b32 exec_lo, exec_lo, s23
                                        ; implicit-def: $vgpr64_vgpr65
	s_and_saveexec_b32 s23, s4
	s_cbranch_execnz .LBB1428_197
.LBB1428_36:
	s_or_b32 exec_lo, exec_lo, s23
                                        ; implicit-def: $vgpr66_vgpr67
	s_and_saveexec_b32 s4, s5
	s_cbranch_execnz .LBB1428_198
.LBB1428_37:
	s_or_b32 exec_lo, exec_lo, s4
                                        ; implicit-def: $vgpr70_vgpr71
	s_and_saveexec_b32 s4, s6
	s_cbranch_execnz .LBB1428_199
.LBB1428_38:
	s_or_b32 exec_lo, exec_lo, s4
                                        ; implicit-def: $vgpr80_vgpr81
	s_and_saveexec_b32 s4, s7
	s_cbranch_execnz .LBB1428_200
.LBB1428_39:
	s_or_b32 exec_lo, exec_lo, s4
                                        ; implicit-def: $vgpr82_vgpr83
	s_and_saveexec_b32 s4, s10
	s_cbranch_execnz .LBB1428_201
.LBB1428_40:
	s_or_b32 exec_lo, exec_lo, s4
                                        ; implicit-def: $vgpr84_vgpr85
	s_and_saveexec_b32 s4, s14
	s_cbranch_execnz .LBB1428_202
.LBB1428_41:
	s_or_b32 exec_lo, exec_lo, s4
                                        ; implicit-def: $vgpr86_vgpr87
	s_and_saveexec_b32 s4, s17
	s_cbranch_execnz .LBB1428_203
.LBB1428_42:
	s_or_b32 exec_lo, exec_lo, s4
                                        ; implicit-def: $vgpr96_vgpr97
	s_and_saveexec_b32 s4, s22
	s_cbranch_execnz .LBB1428_204
.LBB1428_43:
	s_or_b32 exec_lo, exec_lo, s4
                                        ; implicit-def: $vgpr98_vgpr99
	s_and_saveexec_b32 s4, s20
	s_cbranch_execnz .LBB1428_205
.LBB1428_44:
	s_or_b32 exec_lo, exec_lo, s4
                                        ; implicit-def: $vgpr100_vgpr101
	s_and_saveexec_b32 s4, s21
	s_cbranch_execnz .LBB1428_206
.LBB1428_45:
	s_or_b32 exec_lo, exec_lo, s4
                                        ; implicit-def: $vgpr102_vgpr103
	s_and_saveexec_b32 s4, s18
	s_cbranch_execnz .LBB1428_207
.LBB1428_46:
	s_or_b32 exec_lo, exec_lo, s4
                                        ; implicit-def: $vgpr112_vgpr113
	s_and_saveexec_b32 s4, s19
	s_cbranch_execnz .LBB1428_208
.LBB1428_47:
	s_or_b32 exec_lo, exec_lo, s4
                                        ; implicit-def: $vgpr144_vgpr145
	s_and_saveexec_b32 s4, s15
	s_cbranch_execnz .LBB1428_209
.LBB1428_48:
	s_or_b32 exec_lo, exec_lo, s4
                                        ; implicit-def: $vgpr149_vgpr150
	s_and_saveexec_b32 s4, s16
	s_cbranch_execnz .LBB1428_210
.LBB1428_49:
	s_or_b32 exec_lo, exec_lo, s4
                                        ; implicit-def: $vgpr160_vgpr161
	s_and_saveexec_b32 s4, s11
	s_cbranch_execz .LBB1428_51
.LBB1428_50:
	v_add_co_u32 v4, vcc_lo, 0x800, v4
	v_add_co_ci_u32_e64 v5, null, 0, v5, vcc_lo
	flat_load_dwordx2 v[160:161], v[4:5] offset:1792
.LBB1428_51:
	s_or_b32 exec_lo, exec_lo, s4
	s_waitcnt vmcnt(0) lgkmcnt(0)
	v_cmp_lt_i32_e32 vcc_lo, -1, v16
	s_getpc_b64 s[4:5]
	s_add_u32 s4, s4, _ZN7rocprim17ROCPRIM_400000_NS16block_radix_sortIfLj256ELj16ElLj1ELj1ELj8ELNS0_26block_radix_rank_algorithmE2ELNS0_18block_padding_hintE2ELNS0_4arch9wavefront6targetE0EE19radix_bits_per_passE@rel32@lo+4
	s_addc_u32 s5, s5, _ZN7rocprim17ROCPRIM_400000_NS16block_radix_sortIfLj256ELj16ElLj1ELj1ELj8ELNS0_26block_radix_rank_algorithmE2ELNS0_18block_padding_hintE2ELNS0_4arch9wavefront6targetE0EE19radix_bits_per_passE@rel32@hi+12
	v_lshrrev_b32_e32 v197, 5, v48
	s_load_dword s22, s[4:5], 0x0
	v_cmp_lt_u32_e64 s15, 31, v21
	v_cndmask_b32_e64 v4, -1, 0x80000000, vcc_lo
	v_cmp_lt_i32_e32 vcc_lo, -1, v15
	v_cmp_eq_u32_e64 s16, 0, v21
	v_sub_nc_u32_e32 v213, v11, v10
	s_mov_b32 s23, 0
	v_xor_b32_e32 v246, v4, v16
	v_cndmask_b32_e64 v5, -1, 0x80000000, vcc_lo
	v_cmp_lt_i32_e32 vcc_lo, -1, v18
	s_waitcnt lgkmcnt(0)
	s_waitcnt_vscnt null, 0x0
	s_barrier
	buffer_gl0_inv
	v_xor_b32_e32 v115, v5, v15
	v_cndmask_b32_e64 v8, -1, 0x80000000, vcc_lo
	v_cmp_lt_i32_e32 vcc_lo, -1, v17
	v_xor_b32_e32 v117, v8, v18
	v_cndmask_b32_e64 v4, -1, 0x80000000, vcc_lo
	v_cmp_lt_i32_e32 vcc_lo, -1, v20
	;; [unrolled: 3-line block ×11, first 2 shown]
	v_lshl_add_u32 v9, v21, 5, v12
	v_xor_b32_e32 v133, v13, v29
	v_cndmask_b32_e64 v4, -1, 0x80000000, vcc_lo
	v_cmp_lt_i32_e32 vcc_lo, -1, v31
	v_add_nc_u32_e32 v49, 32, v9
	v_add_nc_u32_e32 v182, 36, v9
	;; [unrolled: 1-line block ×3, first 2 shown]
	v_xor_b32_e32 v167, v4, v28
	v_cndmask_b32_e64 v5, -1, 0x80000000, vcc_lo
	v_and_b32_e32 v4, 0x3e0, v21
	v_cmp_lt_i32_e32 vcc_lo, -1, v30
	v_add_nc_u32_e32 v192, 44, v9
	v_add_nc_u32_e32 v193, 48, v9
	v_xor_b32_e32 v165, v5, v31
	v_and_b32_e32 v5, 15, v114
	v_min_u32_e32 v4, 0xe0, v4
	v_cndmask_b32_e64 v8, -1, 0x80000000, vcc_lo
	v_add_nc_u32_e32 v194, 52, v9
	v_add_nc_u32_e32 v195, 56, v9
	v_cmp_eq_u32_e32 vcc_lo, 0, v5
	v_cmp_lt_u32_e64 s4, 1, v5
	v_cmp_lt_u32_e64 s5, 3, v5
	v_or_b32_e32 v4, 31, v4
	v_cmp_lt_u32_e64 s6, 7, v5
	v_lshlrev_b32_e32 v5, 4, v21
	v_add_nc_u32_e32 v196, 60, v9
	v_sub_co_u32 v9, s7, v114, 1
	v_cmp_eq_u32_e64 s11, v21, v4
	v_and_or_b32 v4, 0x3e00, v5, v114
	v_xor_b32_e32 v147, v8, v30
	v_and_b32_e32 v8, 16, v114
	v_cmp_gt_i32_e64 s14, 0, v9
	v_lshrrev_b32_e32 v5, 3, v21
	v_lshlrev_b32_e32 v4, 2, v4
	v_cmp_eq_u32_e64 s10, 0, v8
	v_cndmask_b32_e64 v8, v9, v114, s14
	v_and_b32_e32 v5, 0x7c, v5
	v_add_nc_u32_e32 v208, v12, v4
	v_and_b32_e32 v9, 7, v114
	v_cmp_gt_u32_e64 s14, 8, v21
	v_lshlrev_b32_e32 v199, 2, v8
	v_lshlrev_b32_e32 v8, 2, v21
	v_add_nc_u32_e32 v210, v208, v4
	v_add_nc_u32_e32 v209, v12, v5
	v_mov_b32_e32 v5, 0
	v_cmp_eq_u32_e64 s17, 0, v9
	v_add_co_u32 v198, null, v12, v8
	v_cmp_lt_u32_e64 s18, 1, v9
	v_cmp_lt_u32_e64 s19, 3, v9
	v_add_nc_u32_e32 v211, 0xe00, v210
	v_add_nc_u32_e32 v212, 0xf00, v210
	s_branch .LBB1428_53
.LBB1428_52:                            ;   in Loop: Header=BB1428_53 Depth=1
	s_or_b32 exec_lo, exec_lo, s21
	s_and_b32 s20, exec_lo, s26
	s_or_b32 s23, s20, s23
	s_andn2_b32 exec_lo, exec_lo, s23
	s_cbranch_execz .LBB1428_93
.LBB1428_53:                            ; =>This Inner Loop Header: Depth=1
	v_mov_b32_e32 v214, v246
	v_min_u32_e32 v4, s22, v213
	v_mov_b32_e32 v8, v68
	v_mov_b32_e32 v9, v69
	;; [unrolled: 1-line block ×3, first 2 shown]
	v_cmp_ne_u32_e64 s20, 0x7fffffff, v214
	v_lshlrev_b32_e64 v4, v4, -1
	v_mov_b32_e32 v29, v65
	v_mov_b32_e32 v22, v66
	v_mov_b32_e32 v23, v67
	v_cndmask_b32_e64 v13, 0x80000000, v214, s20
	v_not_b32_e32 v68, v4
	v_mov_b32_e32 v19, v70
	v_mov_b32_e32 v54, v80
	;; [unrolled: 1-line block ×3, first 2 shown]
	v_lshrrev_b32_e32 v4, v10, v13
	v_mov_b32_e32 v32, v84
	v_mov_b32_e32 v38, v86
	;; [unrolled: 1-line block ×4, first 2 shown]
	v_and_b32_e32 v4, v4, v68
	v_mov_b32_e32 v30, v100
	v_mov_b32_e32 v24, v102
	;; [unrolled: 1-line block ×4, first 2 shown]
	v_and_b32_e32 v64, 1, v4
	v_lshlrev_b32_e32 v66, 30, v4
	v_lshlrev_b32_e32 v67, 29, v4
	;; [unrolled: 1-line block ×3, first 2 shown]
	v_mov_b32_e32 v13, v149
	v_add_co_u32 v64, s20, v64, -1
	v_cndmask_b32_e64 v65, 0, 1, s20
	v_mov_b32_e32 v26, v160
	v_mov_b32_e32 v20, v71
	;; [unrolled: 1-line block ×4, first 2 shown]
	v_cmp_ne_u32_e64 s20, 0, v65
	v_not_b32_e32 v65, v66
	v_mov_b32_e32 v33, v85
	v_mov_b32_e32 v39, v87
	;; [unrolled: 1-line block ×3, first 2 shown]
	v_xor_b32_e32 v64, s20, v64
	v_cmp_gt_i32_e64 s20, 0, v66
	v_ashrrev_i32_e32 v65, 31, v65
	v_not_b32_e32 v66, v67
	v_mov_b32_e32 v35, v99
	v_and_b32_e32 v64, exec_lo, v64
	v_mov_b32_e32 v31, v101
	v_xor_b32_e32 v65, s20, v65
	v_cmp_gt_i32_e64 s20, 0, v67
	v_ashrrev_i32_e32 v66, 31, v66
	v_not_b32_e32 v67, v69
	v_mov_b32_e32 v25, v103
	v_and_b32_e32 v64, v64, v65
	v_lshlrev_b32_e32 v65, 27, v4
	v_xor_b32_e32 v66, s20, v66
	v_cmp_gt_i32_e64 s20, 0, v69
	v_ashrrev_i32_e32 v67, 31, v67
	v_mov_b32_e32 v18, v113
	v_not_b32_e32 v69, v65
	v_and_b32_e32 v64, v64, v66
	v_lshlrev_b32_e32 v66, 26, v4
	v_xor_b32_e32 v67, s20, v67
	v_cmp_gt_i32_e64 s20, 0, v65
	v_ashrrev_i32_e32 v65, 31, v69
	v_mov_b32_e32 v16, v145
	v_not_b32_e32 v69, v66
	;; [unrolled: 7-line block ×3, first 2 shown]
	v_and_b32_e32 v64, v64, v65
	v_lshlrev_b32_e32 v65, 24, v4
	v_xor_b32_e32 v66, s20, v66
	v_cmp_gt_i32_e64 s20, 0, v67
	v_ashrrev_i32_e32 v67, 31, v69
	v_lshl_add_u32 v4, v4, 3, v197
	v_not_b32_e32 v69, v65
	v_and_b32_e32 v64, v64, v66
	v_mov_b32_e32 v27, v161
	v_xor_b32_e32 v66, s20, v67
	v_cmp_gt_i32_e64 s20, 0, v65
	v_ashrrev_i32_e32 v65, 31, v69
	v_mov_b32_e32 v224, v115
	v_mov_b32_e32 v215, v117
	v_and_b32_e32 v64, v64, v66
	v_lshlrev_b64 v[66:67], 2, v[4:5]
	v_xor_b32_e32 v65, s20, v65
	v_mov_b32_e32 v225, v129
	v_mov_b32_e32 v227, v119
	;; [unrolled: 1-line block ×4, first 2 shown]
	v_and_b32_e32 v65, v64, v65
	v_add_co_u32 v64, null, v12, v66
	v_mov_b32_e32 v229, v179
	v_mov_b32_e32 v230, v247
	v_mbcnt_lo_u32_b32 v4, v65, 0
	v_cmp_ne_u32_e64 s21, 0, v65
	v_mov_b32_e32 v231, v181
	v_mov_b32_e32 v240, v163
	;; [unrolled: 1-line block ×3, first 2 shown]
	v_cmp_eq_u32_e64 s20, 0, v4
	v_mov_b32_e32 v242, v133
	v_mov_b32_e32 v243, v167
	;; [unrolled: 1-line block ×4, first 2 shown]
	v_add_co_u32 v64, null, v64, 32
	s_and_b32 s21, s21, s20
	ds_write_b32 v49, v5
	ds_write_b32 v182, v5
	;; [unrolled: 1-line block ×8, first 2 shown]
	s_waitcnt lgkmcnt(0)
	s_barrier
	buffer_gl0_inv
	; wave barrier
	s_and_saveexec_b32 s20, s21
; %bb.54:                               ;   in Loop: Header=BB1428_53 Depth=1
	v_bcnt_u32_b32 v65, v65, 0
	ds_write_b32 v64, v65
; %bb.55:                               ;   in Loop: Header=BB1428_53 Depth=1
	s_or_b32 exec_lo, exec_lo, s20
	v_cmp_ne_u32_e64 s20, 0x7fffffff, v224
	; wave barrier
	v_cndmask_b32_e64 v65, 0x80000000, v224, s20
	v_lshrrev_b32_e32 v65, v10, v65
	v_and_b32_e32 v65, v65, v68
	v_and_b32_e32 v66, 1, v65
	v_lshlrev_b32_e32 v67, 30, v65
	v_lshlrev_b32_e32 v69, 29, v65
	;; [unrolled: 1-line block ×4, first 2 shown]
	v_add_co_u32 v66, s20, v66, -1
	v_cndmask_b32_e64 v71, 0, 1, s20
	v_not_b32_e32 v83, v67
	v_cmp_gt_i32_e64 s21, 0, v67
	v_not_b32_e32 v67, v69
	v_lshlrev_b32_e32 v81, 26, v65
	v_cmp_ne_u32_e64 s20, 0, v71
	v_ashrrev_i32_e32 v83, 31, v83
	v_lshlrev_b32_e32 v82, 25, v65
	v_ashrrev_i32_e32 v67, 31, v67
	v_lshlrev_b32_e32 v71, 24, v65
	v_xor_b32_e32 v66, s20, v66
	v_cmp_gt_i32_e64 s20, 0, v69
	v_not_b32_e32 v69, v70
	v_xor_b32_e32 v83, s21, v83
	v_cmp_gt_i32_e64 s21, 0, v70
	v_and_b32_e32 v66, exec_lo, v66
	v_not_b32_e32 v70, v80
	v_ashrrev_i32_e32 v69, 31, v69
	v_xor_b32_e32 v67, s20, v67
	v_cmp_gt_i32_e64 s20, 0, v80
	v_and_b32_e32 v66, v66, v83
	v_not_b32_e32 v80, v81
	v_ashrrev_i32_e32 v70, 31, v70
	v_xor_b32_e32 v69, s21, v69
	v_cmp_gt_i32_e64 s21, 0, v81
	v_and_b32_e32 v66, v66, v67
	;; [unrolled: 5-line block ×3, first 2 shown]
	v_not_b32_e32 v69, v71
	v_ashrrev_i32_e32 v67, 31, v67
	v_xor_b32_e32 v80, s21, v80
	v_lshl_add_u32 v65, v65, 3, v197
	v_and_b32_e32 v66, v66, v70
	v_cmp_gt_i32_e64 s21, 0, v71
	v_ashrrev_i32_e32 v69, 31, v69
	v_xor_b32_e32 v67, s20, v67
	v_lshl_add_u32 v70, v65, 2, v12
	v_and_b32_e32 v66, v66, v80
	v_xor_b32_e32 v69, s21, v69
	ds_read_b32 v65, v70 offset:32
	v_and_b32_e32 v66, v66, v67
	v_add_nc_u32_e32 v67, 32, v70
	; wave barrier
	v_and_b32_e32 v69, v66, v69
	v_mbcnt_lo_u32_b32 v66, v69, 0
	v_cmp_ne_u32_e64 s21, 0, v69
	v_cmp_eq_u32_e64 s20, 0, v66
	s_and_b32 s21, s21, s20
	s_and_saveexec_b32 s20, s21
	s_cbranch_execz .LBB1428_57
; %bb.56:                               ;   in Loop: Header=BB1428_53 Depth=1
	s_waitcnt lgkmcnt(0)
	v_bcnt_u32_b32 v69, v69, v65
	ds_write_b32 v67, v69
.LBB1428_57:                            ;   in Loop: Header=BB1428_53 Depth=1
	s_or_b32 exec_lo, exec_lo, s20
	v_cmp_ne_u32_e64 s20, 0x7fffffff, v215
	; wave barrier
	v_cndmask_b32_e64 v69, 0x80000000, v215, s20
	v_lshrrev_b32_e32 v69, v10, v69
	v_and_b32_e32 v69, v69, v68
	v_and_b32_e32 v70, 1, v69
	v_lshlrev_b32_e32 v71, 30, v69
	v_lshlrev_b32_e32 v80, 29, v69
	;; [unrolled: 1-line block ×4, first 2 shown]
	v_add_co_u32 v70, s20, v70, -1
	v_cndmask_b32_e64 v82, 0, 1, s20
	v_not_b32_e32 v86, v71
	v_cmp_gt_i32_e64 s21, 0, v71
	v_not_b32_e32 v71, v80
	v_lshlrev_b32_e32 v84, 26, v69
	v_cmp_ne_u32_e64 s20, 0, v82
	v_ashrrev_i32_e32 v86, 31, v86
	v_lshlrev_b32_e32 v85, 25, v69
	v_ashrrev_i32_e32 v71, 31, v71
	v_lshlrev_b32_e32 v82, 24, v69
	v_xor_b32_e32 v70, s20, v70
	v_cmp_gt_i32_e64 s20, 0, v80
	v_not_b32_e32 v80, v81
	v_xor_b32_e32 v86, s21, v86
	v_cmp_gt_i32_e64 s21, 0, v81
	v_and_b32_e32 v70, exec_lo, v70
	v_not_b32_e32 v81, v83
	v_ashrrev_i32_e32 v80, 31, v80
	v_xor_b32_e32 v71, s20, v71
	v_cmp_gt_i32_e64 s20, 0, v83
	v_and_b32_e32 v70, v70, v86
	v_not_b32_e32 v83, v84
	v_ashrrev_i32_e32 v81, 31, v81
	v_xor_b32_e32 v80, s21, v80
	v_cmp_gt_i32_e64 s21, 0, v84
	v_and_b32_e32 v70, v70, v71
	;; [unrolled: 5-line block ×3, first 2 shown]
	v_not_b32_e32 v80, v82
	v_ashrrev_i32_e32 v71, 31, v71
	v_xor_b32_e32 v83, s21, v83
	v_lshl_add_u32 v69, v69, 3, v197
	v_and_b32_e32 v70, v70, v81
	v_cmp_gt_i32_e64 s21, 0, v82
	v_ashrrev_i32_e32 v80, 31, v80
	v_xor_b32_e32 v71, s20, v71
	v_lshl_add_u32 v81, v69, 2, v12
	v_and_b32_e32 v70, v70, v83
	v_xor_b32_e32 v80, s21, v80
	ds_read_b32 v69, v81 offset:32
	v_and_b32_e32 v70, v70, v71
	v_add_nc_u32_e32 v71, 32, v81
	; wave barrier
	v_and_b32_e32 v80, v70, v80
	v_mbcnt_lo_u32_b32 v70, v80, 0
	v_cmp_ne_u32_e64 s21, 0, v80
	v_cmp_eq_u32_e64 s20, 0, v70
	s_and_b32 s21, s21, s20
	s_and_saveexec_b32 s20, s21
	s_cbranch_execz .LBB1428_59
; %bb.58:                               ;   in Loop: Header=BB1428_53 Depth=1
	s_waitcnt lgkmcnt(0)
	v_bcnt_u32_b32 v80, v80, v69
	ds_write_b32 v71, v80
.LBB1428_59:                            ;   in Loop: Header=BB1428_53 Depth=1
	s_or_b32 exec_lo, exec_lo, s20
	v_cmp_ne_u32_e64 s20, 0x7fffffff, v225
	; wave barrier
	v_cndmask_b32_e64 v80, 0x80000000, v225, s20
	v_lshrrev_b32_e32 v80, v10, v80
	v_and_b32_e32 v80, v80, v68
	v_and_b32_e32 v81, 1, v80
	v_lshlrev_b32_e32 v82, 30, v80
	v_lshlrev_b32_e32 v83, 29, v80
	;; [unrolled: 1-line block ×4, first 2 shown]
	v_add_co_u32 v81, s20, v81, -1
	v_cndmask_b32_e64 v85, 0, 1, s20
	v_not_b32_e32 v97, v82
	v_cmp_gt_i32_e64 s21, 0, v82
	v_not_b32_e32 v82, v83
	v_lshlrev_b32_e32 v87, 26, v80
	v_cmp_ne_u32_e64 s20, 0, v85
	v_ashrrev_i32_e32 v97, 31, v97
	v_lshlrev_b32_e32 v96, 25, v80
	v_ashrrev_i32_e32 v82, 31, v82
	v_lshlrev_b32_e32 v85, 24, v80
	v_xor_b32_e32 v81, s20, v81
	v_cmp_gt_i32_e64 s20, 0, v83
	v_not_b32_e32 v83, v84
	v_xor_b32_e32 v97, s21, v97
	v_cmp_gt_i32_e64 s21, 0, v84
	v_and_b32_e32 v81, exec_lo, v81
	v_not_b32_e32 v84, v86
	v_ashrrev_i32_e32 v83, 31, v83
	v_xor_b32_e32 v82, s20, v82
	v_cmp_gt_i32_e64 s20, 0, v86
	v_and_b32_e32 v81, v81, v97
	v_not_b32_e32 v86, v87
	v_ashrrev_i32_e32 v84, 31, v84
	v_xor_b32_e32 v83, s21, v83
	v_cmp_gt_i32_e64 s21, 0, v87
	v_and_b32_e32 v81, v81, v82
	v_not_b32_e32 v82, v96
	v_ashrrev_i32_e32 v86, 31, v86
	v_xor_b32_e32 v84, s20, v84
	v_cmp_gt_i32_e64 s20, 0, v96
	v_and_b32_e32 v81, v81, v83
	v_not_b32_e32 v83, v85
	v_ashrrev_i32_e32 v82, 31, v82
	v_xor_b32_e32 v86, s21, v86
	v_lshl_add_u32 v80, v80, 3, v197
	v_and_b32_e32 v81, v81, v84
	v_cmp_gt_i32_e64 s21, 0, v85
	v_ashrrev_i32_e32 v83, 31, v83
	v_xor_b32_e32 v82, s20, v82
	v_lshl_add_u32 v84, v80, 2, v12
	v_and_b32_e32 v81, v81, v86
	v_xor_b32_e32 v83, s21, v83
	ds_read_b32 v80, v84 offset:32
	v_and_b32_e32 v81, v81, v82
	v_add_nc_u32_e32 v82, 32, v84
	; wave barrier
	v_and_b32_e32 v83, v81, v83
	v_mbcnt_lo_u32_b32 v81, v83, 0
	v_cmp_ne_u32_e64 s21, 0, v83
	v_cmp_eq_u32_e64 s20, 0, v81
	s_and_b32 s21, s21, s20
	s_and_saveexec_b32 s20, s21
	s_cbranch_execz .LBB1428_61
; %bb.60:                               ;   in Loop: Header=BB1428_53 Depth=1
	s_waitcnt lgkmcnt(0)
	v_bcnt_u32_b32 v83, v83, v80
	ds_write_b32 v82, v83
.LBB1428_61:                            ;   in Loop: Header=BB1428_53 Depth=1
	s_or_b32 exec_lo, exec_lo, s20
	v_cmp_ne_u32_e64 s20, 0x7fffffff, v227
	; wave barrier
	v_cndmask_b32_e64 v83, 0x80000000, v227, s20
	v_lshrrev_b32_e32 v83, v10, v83
	v_and_b32_e32 v83, v83, v68
	v_and_b32_e32 v84, 1, v83
	v_lshlrev_b32_e32 v85, 30, v83
	v_lshlrev_b32_e32 v86, 29, v83
	;; [unrolled: 1-line block ×4, first 2 shown]
	v_add_co_u32 v84, s20, v84, -1
	v_cndmask_b32_e64 v96, 0, 1, s20
	v_not_b32_e32 v100, v85
	v_cmp_gt_i32_e64 s21, 0, v85
	v_not_b32_e32 v85, v86
	v_lshlrev_b32_e32 v98, 26, v83
	v_cmp_ne_u32_e64 s20, 0, v96
	v_ashrrev_i32_e32 v100, 31, v100
	v_lshlrev_b32_e32 v99, 25, v83
	v_ashrrev_i32_e32 v85, 31, v85
	v_lshlrev_b32_e32 v96, 24, v83
	v_xor_b32_e32 v84, s20, v84
	v_cmp_gt_i32_e64 s20, 0, v86
	v_not_b32_e32 v86, v87
	v_xor_b32_e32 v100, s21, v100
	v_cmp_gt_i32_e64 s21, 0, v87
	v_and_b32_e32 v84, exec_lo, v84
	v_not_b32_e32 v87, v97
	v_ashrrev_i32_e32 v86, 31, v86
	v_xor_b32_e32 v85, s20, v85
	v_cmp_gt_i32_e64 s20, 0, v97
	v_and_b32_e32 v84, v84, v100
	v_not_b32_e32 v97, v98
	v_ashrrev_i32_e32 v87, 31, v87
	v_xor_b32_e32 v86, s21, v86
	v_cmp_gt_i32_e64 s21, 0, v98
	v_and_b32_e32 v84, v84, v85
	;; [unrolled: 5-line block ×3, first 2 shown]
	v_not_b32_e32 v86, v96
	v_ashrrev_i32_e32 v85, 31, v85
	v_xor_b32_e32 v97, s21, v97
	v_lshl_add_u32 v83, v83, 3, v197
	v_and_b32_e32 v84, v84, v87
	v_cmp_gt_i32_e64 s21, 0, v96
	v_ashrrev_i32_e32 v86, 31, v86
	v_xor_b32_e32 v85, s20, v85
	v_lshl_add_u32 v87, v83, 2, v12
	v_and_b32_e32 v84, v84, v97
	v_xor_b32_e32 v86, s21, v86
	ds_read_b32 v83, v87 offset:32
	v_and_b32_e32 v84, v84, v85
	v_add_nc_u32_e32 v85, 32, v87
	; wave barrier
	v_and_b32_e32 v86, v84, v86
	v_mbcnt_lo_u32_b32 v84, v86, 0
	v_cmp_ne_u32_e64 s21, 0, v86
	v_cmp_eq_u32_e64 s20, 0, v84
	s_and_b32 s21, s21, s20
	s_and_saveexec_b32 s20, s21
	s_cbranch_execz .LBB1428_63
; %bb.62:                               ;   in Loop: Header=BB1428_53 Depth=1
	s_waitcnt lgkmcnt(0)
	v_bcnt_u32_b32 v86, v86, v83
	ds_write_b32 v85, v86
.LBB1428_63:                            ;   in Loop: Header=BB1428_53 Depth=1
	s_or_b32 exec_lo, exec_lo, s20
	v_cmp_ne_u32_e64 s20, 0x7fffffff, v226
	; wave barrier
	v_cndmask_b32_e64 v86, 0x80000000, v226, s20
	v_lshrrev_b32_e32 v86, v10, v86
	v_and_b32_e32 v86, v86, v68
	v_and_b32_e32 v87, 1, v86
	v_lshlrev_b32_e32 v96, 30, v86
	v_lshlrev_b32_e32 v97, 29, v86
	;; [unrolled: 1-line block ×4, first 2 shown]
	v_add_co_u32 v87, s20, v87, -1
	v_cndmask_b32_e64 v99, 0, 1, s20
	v_not_b32_e32 v103, v96
	v_cmp_gt_i32_e64 s21, 0, v96
	v_not_b32_e32 v96, v97
	v_lshlrev_b32_e32 v101, 26, v86
	v_cmp_ne_u32_e64 s20, 0, v99
	v_ashrrev_i32_e32 v103, 31, v103
	v_lshlrev_b32_e32 v102, 25, v86
	v_ashrrev_i32_e32 v96, 31, v96
	v_lshlrev_b32_e32 v99, 24, v86
	v_xor_b32_e32 v87, s20, v87
	v_cmp_gt_i32_e64 s20, 0, v97
	v_not_b32_e32 v97, v98
	v_xor_b32_e32 v103, s21, v103
	v_cmp_gt_i32_e64 s21, 0, v98
	v_and_b32_e32 v87, exec_lo, v87
	v_not_b32_e32 v98, v100
	v_ashrrev_i32_e32 v97, 31, v97
	v_xor_b32_e32 v96, s20, v96
	v_cmp_gt_i32_e64 s20, 0, v100
	v_and_b32_e32 v87, v87, v103
	v_not_b32_e32 v100, v101
	v_ashrrev_i32_e32 v98, 31, v98
	v_xor_b32_e32 v97, s21, v97
	v_cmp_gt_i32_e64 s21, 0, v101
	v_and_b32_e32 v87, v87, v96
	;; [unrolled: 5-line block ×3, first 2 shown]
	v_not_b32_e32 v97, v99
	v_ashrrev_i32_e32 v96, 31, v96
	v_xor_b32_e32 v100, s21, v100
	v_lshl_add_u32 v86, v86, 3, v197
	v_and_b32_e32 v87, v87, v98
	v_cmp_gt_i32_e64 s21, 0, v99
	v_ashrrev_i32_e32 v97, 31, v97
	v_xor_b32_e32 v96, s20, v96
	v_lshl_add_u32 v98, v86, 2, v12
	v_and_b32_e32 v87, v87, v100
	v_xor_b32_e32 v97, s21, v97
	ds_read_b32 v86, v98 offset:32
	v_and_b32_e32 v87, v87, v96
	v_add_nc_u32_e32 v96, 32, v98
	; wave barrier
	v_and_b32_e32 v97, v87, v97
	v_mbcnt_lo_u32_b32 v87, v97, 0
	v_cmp_ne_u32_e64 s21, 0, v97
	v_cmp_eq_u32_e64 s20, 0, v87
	s_and_b32 s21, s21, s20
	s_and_saveexec_b32 s20, s21
	s_cbranch_execz .LBB1428_65
; %bb.64:                               ;   in Loop: Header=BB1428_53 Depth=1
	s_waitcnt lgkmcnt(0)
	v_bcnt_u32_b32 v97, v97, v86
	ds_write_b32 v96, v97
.LBB1428_65:                            ;   in Loop: Header=BB1428_53 Depth=1
	s_or_b32 exec_lo, exec_lo, s20
	v_cmp_ne_u32_e64 s20, 0x7fffffff, v228
	; wave barrier
	v_cndmask_b32_e64 v97, 0x80000000, v228, s20
	v_lshrrev_b32_e32 v97, v10, v97
	v_and_b32_e32 v97, v97, v68
	v_and_b32_e32 v98, 1, v97
	v_lshlrev_b32_e32 v99, 30, v97
	v_lshlrev_b32_e32 v100, 29, v97
	;; [unrolled: 1-line block ×4, first 2 shown]
	v_add_co_u32 v98, s20, v98, -1
	v_cndmask_b32_e64 v102, 0, 1, s20
	v_not_b32_e32 v114, v99
	v_cmp_gt_i32_e64 s21, 0, v99
	v_not_b32_e32 v99, v100
	v_lshlrev_b32_e32 v112, 26, v97
	v_cmp_ne_u32_e64 s20, 0, v102
	v_ashrrev_i32_e32 v114, 31, v114
	v_lshlrev_b32_e32 v113, 25, v97
	v_ashrrev_i32_e32 v99, 31, v99
	v_lshlrev_b32_e32 v102, 24, v97
	v_xor_b32_e32 v98, s20, v98
	v_cmp_gt_i32_e64 s20, 0, v100
	v_not_b32_e32 v100, v101
	v_xor_b32_e32 v114, s21, v114
	v_cmp_gt_i32_e64 s21, 0, v101
	v_and_b32_e32 v98, exec_lo, v98
	v_not_b32_e32 v101, v103
	v_ashrrev_i32_e32 v100, 31, v100
	v_xor_b32_e32 v99, s20, v99
	v_cmp_gt_i32_e64 s20, 0, v103
	v_and_b32_e32 v98, v98, v114
	v_not_b32_e32 v103, v112
	v_ashrrev_i32_e32 v101, 31, v101
	v_xor_b32_e32 v100, s21, v100
	v_cmp_gt_i32_e64 s21, 0, v112
	v_and_b32_e32 v98, v98, v99
	;; [unrolled: 5-line block ×3, first 2 shown]
	v_not_b32_e32 v100, v102
	v_ashrrev_i32_e32 v99, 31, v99
	v_xor_b32_e32 v103, s21, v103
	v_lshl_add_u32 v97, v97, 3, v197
	v_and_b32_e32 v98, v98, v101
	v_cmp_gt_i32_e64 s21, 0, v102
	v_ashrrev_i32_e32 v100, 31, v100
	v_xor_b32_e32 v99, s20, v99
	v_lshl_add_u32 v101, v97, 2, v12
	v_and_b32_e32 v98, v98, v103
	v_xor_b32_e32 v100, s21, v100
	ds_read_b32 v97, v101 offset:32
	v_and_b32_e32 v98, v98, v99
	v_add_nc_u32_e32 v99, 32, v101
	; wave barrier
	v_and_b32_e32 v100, v98, v100
	v_mbcnt_lo_u32_b32 v98, v100, 0
	v_cmp_ne_u32_e64 s21, 0, v100
	v_cmp_eq_u32_e64 s20, 0, v98
	s_and_b32 s21, s21, s20
	s_and_saveexec_b32 s20, s21
	s_cbranch_execz .LBB1428_67
; %bb.66:                               ;   in Loop: Header=BB1428_53 Depth=1
	s_waitcnt lgkmcnt(0)
	v_bcnt_u32_b32 v100, v100, v97
	ds_write_b32 v99, v100
.LBB1428_67:                            ;   in Loop: Header=BB1428_53 Depth=1
	s_or_b32 exec_lo, exec_lo, s20
	v_cmp_ne_u32_e64 s20, 0x7fffffff, v229
	; wave barrier
	v_cndmask_b32_e64 v100, 0x80000000, v229, s20
	v_lshrrev_b32_e32 v100, v10, v100
	v_and_b32_e32 v100, v100, v68
	v_and_b32_e32 v101, 1, v100
	v_lshlrev_b32_e32 v102, 30, v100
	v_lshlrev_b32_e32 v103, 29, v100
	;; [unrolled: 1-line block ×4, first 2 shown]
	v_add_co_u32 v101, s20, v101, -1
	v_cndmask_b32_e64 v113, 0, 1, s20
	v_not_b32_e32 v117, v102
	v_cmp_gt_i32_e64 s21, 0, v102
	v_not_b32_e32 v102, v103
	v_lshlrev_b32_e32 v115, 26, v100
	v_cmp_ne_u32_e64 s20, 0, v113
	v_ashrrev_i32_e32 v117, 31, v117
	v_lshlrev_b32_e32 v116, 25, v100
	v_ashrrev_i32_e32 v102, 31, v102
	v_lshlrev_b32_e32 v113, 24, v100
	v_xor_b32_e32 v101, s20, v101
	v_cmp_gt_i32_e64 s20, 0, v103
	v_not_b32_e32 v103, v112
	v_xor_b32_e32 v117, s21, v117
	v_cmp_gt_i32_e64 s21, 0, v112
	v_and_b32_e32 v101, exec_lo, v101
	v_not_b32_e32 v112, v114
	v_ashrrev_i32_e32 v103, 31, v103
	v_xor_b32_e32 v102, s20, v102
	v_cmp_gt_i32_e64 s20, 0, v114
	v_and_b32_e32 v101, v101, v117
	v_not_b32_e32 v114, v115
	v_ashrrev_i32_e32 v112, 31, v112
	v_xor_b32_e32 v103, s21, v103
	v_cmp_gt_i32_e64 s21, 0, v115
	v_and_b32_e32 v101, v101, v102
	v_not_b32_e32 v102, v116
	v_ashrrev_i32_e32 v114, 31, v114
	v_xor_b32_e32 v112, s20, v112
	v_cmp_gt_i32_e64 s20, 0, v116
	v_and_b32_e32 v101, v101, v103
	v_not_b32_e32 v103, v113
	v_ashrrev_i32_e32 v102, 31, v102
	v_xor_b32_e32 v114, s21, v114
	v_lshl_add_u32 v100, v100, 3, v197
	v_and_b32_e32 v101, v101, v112
	v_cmp_gt_i32_e64 s21, 0, v113
	v_ashrrev_i32_e32 v103, 31, v103
	v_xor_b32_e32 v102, s20, v102
	v_lshl_add_u32 v112, v100, 2, v12
	v_and_b32_e32 v101, v101, v114
	v_xor_b32_e32 v103, s21, v103
	ds_read_b32 v100, v112 offset:32
	v_and_b32_e32 v101, v101, v102
	v_add_nc_u32_e32 v102, 32, v112
	; wave barrier
	v_and_b32_e32 v103, v101, v103
	v_mbcnt_lo_u32_b32 v101, v103, 0
	v_cmp_ne_u32_e64 s21, 0, v103
	v_cmp_eq_u32_e64 s20, 0, v101
	s_and_b32 s21, s21, s20
	s_and_saveexec_b32 s20, s21
	s_cbranch_execz .LBB1428_69
; %bb.68:                               ;   in Loop: Header=BB1428_53 Depth=1
	s_waitcnt lgkmcnt(0)
	v_bcnt_u32_b32 v103, v103, v100
	ds_write_b32 v102, v103
.LBB1428_69:                            ;   in Loop: Header=BB1428_53 Depth=1
	s_or_b32 exec_lo, exec_lo, s20
	v_cmp_ne_u32_e64 s20, 0x7fffffff, v230
	; wave barrier
	v_cndmask_b32_e64 v103, 0x80000000, v230, s20
	v_lshrrev_b32_e32 v103, v10, v103
	v_and_b32_e32 v103, v103, v68
	v_and_b32_e32 v112, 1, v103
	v_lshlrev_b32_e32 v113, 30, v103
	v_lshlrev_b32_e32 v114, 29, v103
	;; [unrolled: 1-line block ×4, first 2 shown]
	v_add_co_u32 v112, s20, v112, -1
	v_cndmask_b32_e64 v116, 0, 1, s20
	v_not_b32_e32 v128, v113
	v_cmp_gt_i32_e64 s21, 0, v113
	v_not_b32_e32 v113, v114
	v_lshlrev_b32_e32 v118, 26, v103
	v_cmp_ne_u32_e64 s20, 0, v116
	v_ashrrev_i32_e32 v128, 31, v128
	v_lshlrev_b32_e32 v119, 25, v103
	v_ashrrev_i32_e32 v113, 31, v113
	v_lshlrev_b32_e32 v116, 24, v103
	v_xor_b32_e32 v112, s20, v112
	v_cmp_gt_i32_e64 s20, 0, v114
	v_not_b32_e32 v114, v115
	v_xor_b32_e32 v128, s21, v128
	v_cmp_gt_i32_e64 s21, 0, v115
	v_and_b32_e32 v112, exec_lo, v112
	v_not_b32_e32 v115, v117
	v_ashrrev_i32_e32 v114, 31, v114
	v_xor_b32_e32 v113, s20, v113
	v_cmp_gt_i32_e64 s20, 0, v117
	v_and_b32_e32 v112, v112, v128
	v_not_b32_e32 v117, v118
	v_ashrrev_i32_e32 v115, 31, v115
	v_xor_b32_e32 v114, s21, v114
	v_cmp_gt_i32_e64 s21, 0, v118
	v_and_b32_e32 v112, v112, v113
	;; [unrolled: 5-line block ×3, first 2 shown]
	v_not_b32_e32 v114, v116
	v_ashrrev_i32_e32 v113, 31, v113
	v_xor_b32_e32 v117, s21, v117
	v_lshl_add_u32 v103, v103, 3, v197
	v_and_b32_e32 v112, v112, v115
	v_cmp_gt_i32_e64 s21, 0, v116
	v_ashrrev_i32_e32 v114, 31, v114
	v_xor_b32_e32 v113, s20, v113
	v_lshl_add_u32 v115, v103, 2, v12
	v_and_b32_e32 v112, v112, v117
	v_xor_b32_e32 v114, s21, v114
	ds_read_b32 v103, v115 offset:32
	v_and_b32_e32 v112, v112, v113
	v_add_nc_u32_e32 v113, 32, v115
	; wave barrier
	v_and_b32_e32 v114, v112, v114
	v_mbcnt_lo_u32_b32 v112, v114, 0
	v_cmp_ne_u32_e64 s21, 0, v114
	v_cmp_eq_u32_e64 s20, 0, v112
	s_and_b32 s21, s21, s20
	s_and_saveexec_b32 s20, s21
	s_cbranch_execz .LBB1428_71
; %bb.70:                               ;   in Loop: Header=BB1428_53 Depth=1
	s_waitcnt lgkmcnt(0)
	v_bcnt_u32_b32 v114, v114, v103
	ds_write_b32 v113, v114
.LBB1428_71:                            ;   in Loop: Header=BB1428_53 Depth=1
	s_or_b32 exec_lo, exec_lo, s20
	v_cmp_ne_u32_e64 s20, 0x7fffffff, v231
	; wave barrier
	v_cndmask_b32_e64 v114, 0x80000000, v231, s20
	v_lshrrev_b32_e32 v114, v10, v114
	v_and_b32_e32 v114, v114, v68
	v_and_b32_e32 v115, 1, v114
	v_lshlrev_b32_e32 v116, 30, v114
	v_lshlrev_b32_e32 v117, 29, v114
	;; [unrolled: 1-line block ×4, first 2 shown]
	v_add_co_u32 v115, s20, v115, -1
	v_cndmask_b32_e64 v119, 0, 1, s20
	v_not_b32_e32 v131, v116
	v_cmp_gt_i32_e64 s21, 0, v116
	v_not_b32_e32 v116, v117
	v_lshlrev_b32_e32 v129, 26, v114
	v_cmp_ne_u32_e64 s20, 0, v119
	v_ashrrev_i32_e32 v131, 31, v131
	v_lshlrev_b32_e32 v130, 25, v114
	v_ashrrev_i32_e32 v116, 31, v116
	v_lshlrev_b32_e32 v119, 24, v114
	v_xor_b32_e32 v115, s20, v115
	v_cmp_gt_i32_e64 s20, 0, v117
	v_not_b32_e32 v117, v118
	v_xor_b32_e32 v131, s21, v131
	v_cmp_gt_i32_e64 s21, 0, v118
	v_and_b32_e32 v115, exec_lo, v115
	v_not_b32_e32 v118, v128
	v_ashrrev_i32_e32 v117, 31, v117
	v_xor_b32_e32 v116, s20, v116
	v_cmp_gt_i32_e64 s20, 0, v128
	v_and_b32_e32 v115, v115, v131
	v_not_b32_e32 v128, v129
	v_ashrrev_i32_e32 v118, 31, v118
	v_xor_b32_e32 v117, s21, v117
	v_cmp_gt_i32_e64 s21, 0, v129
	v_and_b32_e32 v115, v115, v116
	v_not_b32_e32 v116, v130
	v_ashrrev_i32_e32 v128, 31, v128
	v_xor_b32_e32 v118, s20, v118
	v_cmp_gt_i32_e64 s20, 0, v130
	v_and_b32_e32 v115, v115, v117
	v_not_b32_e32 v117, v119
	v_ashrrev_i32_e32 v116, 31, v116
	v_xor_b32_e32 v128, s21, v128
	v_lshl_add_u32 v114, v114, 3, v197
	v_and_b32_e32 v115, v115, v118
	v_cmp_gt_i32_e64 s21, 0, v119
	v_ashrrev_i32_e32 v117, 31, v117
	v_xor_b32_e32 v116, s20, v116
	v_lshl_add_u32 v114, v114, 2, v12
	v_and_b32_e32 v115, v115, v128
	v_xor_b32_e32 v117, s21, v117
	ds_read_b32 v144, v114 offset:32
	v_and_b32_e32 v115, v115, v116
	v_add_nc_u32_e32 v114, 32, v114
	; wave barrier
	v_and_b32_e32 v115, v115, v117
	v_mbcnt_lo_u32_b32 v145, v115, 0
	v_cmp_ne_u32_e64 s21, 0, v115
	v_cmp_eq_u32_e64 s20, 0, v145
	s_and_b32 s21, s21, s20
	s_and_saveexec_b32 s20, s21
	s_cbranch_execz .LBB1428_73
; %bb.72:                               ;   in Loop: Header=BB1428_53 Depth=1
	s_waitcnt lgkmcnt(0)
	v_bcnt_u32_b32 v115, v115, v144
	ds_write_b32 v114, v115
.LBB1428_73:                            ;   in Loop: Header=BB1428_53 Depth=1
	s_or_b32 exec_lo, exec_lo, s20
	v_cmp_ne_u32_e64 s20, 0x7fffffff, v240
	; wave barrier
	v_cndmask_b32_e64 v115, 0x80000000, v240, s20
	v_lshrrev_b32_e32 v115, v10, v115
	v_and_b32_e32 v115, v115, v68
	v_and_b32_e32 v116, 1, v115
	v_lshlrev_b32_e32 v117, 30, v115
	v_lshlrev_b32_e32 v118, 29, v115
	;; [unrolled: 1-line block ×4, first 2 shown]
	v_add_co_u32 v116, s20, v116, -1
	v_cndmask_b32_e64 v128, 0, 1, s20
	v_not_b32_e32 v132, v117
	v_cmp_gt_i32_e64 s21, 0, v117
	v_not_b32_e32 v117, v118
	v_lshlrev_b32_e32 v130, 26, v115
	v_cmp_ne_u32_e64 s20, 0, v128
	v_ashrrev_i32_e32 v132, 31, v132
	v_lshlrev_b32_e32 v131, 25, v115
	v_ashrrev_i32_e32 v117, 31, v117
	v_lshlrev_b32_e32 v128, 24, v115
	v_xor_b32_e32 v116, s20, v116
	v_cmp_gt_i32_e64 s20, 0, v118
	v_not_b32_e32 v118, v119
	v_xor_b32_e32 v132, s21, v132
	v_cmp_gt_i32_e64 s21, 0, v119
	v_and_b32_e32 v116, exec_lo, v116
	v_not_b32_e32 v119, v129
	v_ashrrev_i32_e32 v118, 31, v118
	v_xor_b32_e32 v117, s20, v117
	v_cmp_gt_i32_e64 s20, 0, v129
	v_and_b32_e32 v116, v116, v132
	v_not_b32_e32 v129, v130
	v_ashrrev_i32_e32 v119, 31, v119
	v_xor_b32_e32 v118, s21, v118
	v_cmp_gt_i32_e64 s21, 0, v130
	v_and_b32_e32 v116, v116, v117
	;; [unrolled: 5-line block ×3, first 2 shown]
	v_not_b32_e32 v118, v128
	v_ashrrev_i32_e32 v117, 31, v117
	v_xor_b32_e32 v129, s21, v129
	v_lshl_add_u32 v115, v115, 3, v197
	v_and_b32_e32 v116, v116, v119
	v_cmp_gt_i32_e64 s21, 0, v128
	v_ashrrev_i32_e32 v118, 31, v118
	v_xor_b32_e32 v117, s20, v117
	v_lshl_add_u32 v119, v115, 2, v12
	v_and_b32_e32 v116, v116, v129
	v_xor_b32_e32 v115, s21, v118
	ds_read_b32 v150, v119 offset:32
	v_and_b32_e32 v116, v116, v117
	; wave barrier
	v_and_b32_e32 v115, v116, v115
	v_add_nc_u32_e32 v116, 32, v119
	v_mbcnt_lo_u32_b32 v160, v115, 0
	v_cmp_ne_u32_e64 s21, 0, v115
	v_cmp_eq_u32_e64 s20, 0, v160
	s_and_b32 s21, s21, s20
	s_and_saveexec_b32 s20, s21
	s_cbranch_execz .LBB1428_75
; %bb.74:                               ;   in Loop: Header=BB1428_53 Depth=1
	s_waitcnt lgkmcnt(0)
	v_bcnt_u32_b32 v115, v115, v150
	ds_write_b32 v116, v115
.LBB1428_75:                            ;   in Loop: Header=BB1428_53 Depth=1
	s_or_b32 exec_lo, exec_lo, s20
	v_cmp_ne_u32_e64 s20, 0x7fffffff, v241
	; wave barrier
	v_cndmask_b32_e64 v115, 0x80000000, v241, s20
	v_lshrrev_b32_e32 v115, v10, v115
	v_and_b32_e32 v115, v115, v68
	v_and_b32_e32 v117, 1, v115
	v_lshlrev_b32_e32 v118, 30, v115
	v_lshlrev_b32_e32 v119, 29, v115
	;; [unrolled: 1-line block ×4, first 2 shown]
	v_add_co_u32 v117, s20, v117, -1
	v_cndmask_b32_e64 v129, 0, 1, s20
	v_not_b32_e32 v133, v118
	v_cmp_gt_i32_e64 s21, 0, v118
	v_not_b32_e32 v118, v119
	v_lshlrev_b32_e32 v131, 26, v115
	v_cmp_ne_u32_e64 s20, 0, v129
	v_ashrrev_i32_e32 v133, 31, v133
	v_lshlrev_b32_e32 v132, 25, v115
	v_ashrrev_i32_e32 v118, 31, v118
	v_lshlrev_b32_e32 v129, 24, v115
	v_xor_b32_e32 v117, s20, v117
	v_cmp_gt_i32_e64 s20, 0, v119
	v_not_b32_e32 v119, v128
	v_xor_b32_e32 v133, s21, v133
	v_cmp_gt_i32_e64 s21, 0, v128
	v_and_b32_e32 v117, exec_lo, v117
	v_not_b32_e32 v128, v130
	v_ashrrev_i32_e32 v119, 31, v119
	v_xor_b32_e32 v118, s20, v118
	v_cmp_gt_i32_e64 s20, 0, v130
	v_and_b32_e32 v117, v117, v133
	v_not_b32_e32 v130, v131
	v_ashrrev_i32_e32 v128, 31, v128
	v_xor_b32_e32 v119, s21, v119
	v_cmp_gt_i32_e64 s21, 0, v131
	v_and_b32_e32 v117, v117, v118
	;; [unrolled: 5-line block ×3, first 2 shown]
	v_not_b32_e32 v119, v129
	v_ashrrev_i32_e32 v118, 31, v118
	v_xor_b32_e32 v130, s21, v130
	v_lshl_add_u32 v115, v115, 3, v197
	v_and_b32_e32 v117, v117, v128
	v_cmp_gt_i32_e64 s21, 0, v129
	v_ashrrev_i32_e32 v119, 31, v119
	v_xor_b32_e32 v118, s20, v118
	v_lshl_add_u32 v128, v115, 2, v12
	v_and_b32_e32 v117, v117, v130
	v_xor_b32_e32 v115, s21, v119
	ds_read_b32 v161, v128 offset:32
	v_and_b32_e32 v117, v117, v118
	v_add_nc_u32_e32 v118, 32, v128
	; wave barrier
	v_and_b32_e32 v115, v117, v115
	v_mbcnt_lo_u32_b32 v162, v115, 0
	v_cmp_ne_u32_e64 s21, 0, v115
	v_cmp_eq_u32_e64 s20, 0, v162
	s_and_b32 s21, s21, s20
	s_and_saveexec_b32 s20, s21
	s_cbranch_execz .LBB1428_77
; %bb.76:                               ;   in Loop: Header=BB1428_53 Depth=1
	s_waitcnt lgkmcnt(0)
	v_bcnt_u32_b32 v115, v115, v161
	ds_write_b32 v118, v115
.LBB1428_77:                            ;   in Loop: Header=BB1428_53 Depth=1
	s_or_b32 exec_lo, exec_lo, s20
	v_cmp_ne_u32_e64 s20, 0x7fffffff, v242
	; wave barrier
	v_cndmask_b32_e64 v115, 0x80000000, v242, s20
	v_lshrrev_b32_e32 v115, v10, v115
	v_and_b32_e32 v115, v115, v68
	v_and_b32_e32 v117, 1, v115
	v_lshlrev_b32_e32 v119, 30, v115
	v_lshlrev_b32_e32 v128, 29, v115
	;; [unrolled: 1-line block ×4, first 2 shown]
	v_add_co_u32 v117, s20, v117, -1
	v_cndmask_b32_e64 v130, 0, 1, s20
	v_not_b32_e32 v134, v119
	v_cmp_gt_i32_e64 s21, 0, v119
	v_not_b32_e32 v119, v128
	v_lshlrev_b32_e32 v132, 26, v115
	v_cmp_ne_u32_e64 s20, 0, v130
	v_ashrrev_i32_e32 v134, 31, v134
	v_lshlrev_b32_e32 v133, 25, v115
	v_ashrrev_i32_e32 v119, 31, v119
	v_lshlrev_b32_e32 v130, 24, v115
	v_xor_b32_e32 v117, s20, v117
	v_cmp_gt_i32_e64 s20, 0, v128
	v_not_b32_e32 v128, v129
	v_xor_b32_e32 v134, s21, v134
	v_cmp_gt_i32_e64 s21, 0, v129
	v_and_b32_e32 v117, exec_lo, v117
	v_not_b32_e32 v129, v131
	v_ashrrev_i32_e32 v128, 31, v128
	v_xor_b32_e32 v119, s20, v119
	v_cmp_gt_i32_e64 s20, 0, v131
	v_and_b32_e32 v117, v117, v134
	v_not_b32_e32 v131, v132
	v_ashrrev_i32_e32 v129, 31, v129
	v_xor_b32_e32 v128, s21, v128
	v_cmp_gt_i32_e64 s21, 0, v132
	v_and_b32_e32 v117, v117, v119
	;; [unrolled: 5-line block ×3, first 2 shown]
	v_not_b32_e32 v128, v130
	v_ashrrev_i32_e32 v119, 31, v119
	v_xor_b32_e32 v131, s21, v131
	v_lshl_add_u32 v115, v115, 3, v197
	v_and_b32_e32 v117, v117, v129
	v_cmp_gt_i32_e64 s21, 0, v130
	v_ashrrev_i32_e32 v128, 31, v128
	v_xor_b32_e32 v119, s20, v119
	v_lshl_add_u32 v129, v115, 2, v12
	v_and_b32_e32 v117, v117, v131
	v_xor_b32_e32 v115, s21, v128
	ds_read_b32 v164, v129 offset:32
	v_and_b32_e32 v117, v117, v119
	v_add_nc_u32_e32 v128, 32, v129
	; wave barrier
	v_and_b32_e32 v115, v117, v115
	v_mbcnt_lo_u32_b32 v176, v115, 0
	v_cmp_ne_u32_e64 s21, 0, v115
	v_cmp_eq_u32_e64 s20, 0, v176
	s_and_b32 s21, s21, s20
	s_and_saveexec_b32 s20, s21
	s_cbranch_execz .LBB1428_79
; %bb.78:                               ;   in Loop: Header=BB1428_53 Depth=1
	s_waitcnt lgkmcnt(0)
	v_bcnt_u32_b32 v115, v115, v164
	ds_write_b32 v128, v115
.LBB1428_79:                            ;   in Loop: Header=BB1428_53 Depth=1
	s_or_b32 exec_lo, exec_lo, s20
	v_cmp_ne_u32_e64 s20, 0x7fffffff, v243
	; wave barrier
	v_cndmask_b32_e64 v115, 0x80000000, v243, s20
	v_lshrrev_b32_e32 v115, v10, v115
	v_and_b32_e32 v115, v115, v68
	v_and_b32_e32 v117, 1, v115
	v_lshlrev_b32_e32 v119, 30, v115
	v_lshlrev_b32_e32 v129, 29, v115
	;; [unrolled: 1-line block ×4, first 2 shown]
	v_add_co_u32 v117, s20, v117, -1
	v_cndmask_b32_e64 v131, 0, 1, s20
	v_not_b32_e32 v135, v119
	v_cmp_gt_i32_e64 s21, 0, v119
	v_not_b32_e32 v119, v129
	v_lshlrev_b32_e32 v133, 26, v115
	v_cmp_ne_u32_e64 s20, 0, v131
	v_ashrrev_i32_e32 v135, 31, v135
	v_lshlrev_b32_e32 v134, 25, v115
	v_ashrrev_i32_e32 v119, 31, v119
	v_lshlrev_b32_e32 v131, 24, v115
	v_xor_b32_e32 v117, s20, v117
	v_cmp_gt_i32_e64 s20, 0, v129
	v_not_b32_e32 v129, v130
	v_xor_b32_e32 v135, s21, v135
	v_cmp_gt_i32_e64 s21, 0, v130
	v_and_b32_e32 v117, exec_lo, v117
	v_not_b32_e32 v130, v132
	v_ashrrev_i32_e32 v129, 31, v129
	v_xor_b32_e32 v119, s20, v119
	v_cmp_gt_i32_e64 s20, 0, v132
	v_and_b32_e32 v117, v117, v135
	v_not_b32_e32 v132, v133
	v_ashrrev_i32_e32 v130, 31, v130
	v_xor_b32_e32 v129, s21, v129
	v_cmp_gt_i32_e64 s21, 0, v133
	v_and_b32_e32 v117, v117, v119
	;; [unrolled: 5-line block ×3, first 2 shown]
	v_not_b32_e32 v129, v131
	v_ashrrev_i32_e32 v119, 31, v119
	v_xor_b32_e32 v132, s21, v132
	v_lshl_add_u32 v115, v115, 3, v197
	v_and_b32_e32 v117, v117, v130
	v_cmp_gt_i32_e64 s21, 0, v131
	v_ashrrev_i32_e32 v129, 31, v129
	v_xor_b32_e32 v119, s20, v119
	v_lshl_add_u32 v130, v115, 2, v12
	v_and_b32_e32 v117, v117, v132
	v_xor_b32_e32 v115, s21, v129
	ds_read_b32 v177, v130 offset:32
	v_and_b32_e32 v117, v117, v119
	v_add_nc_u32_e32 v130, 32, v130
	; wave barrier
	v_and_b32_e32 v115, v117, v115
	v_mbcnt_lo_u32_b32 v178, v115, 0
	v_cmp_ne_u32_e64 s21, 0, v115
	v_cmp_eq_u32_e64 s20, 0, v178
	s_and_b32 s21, s21, s20
	s_and_saveexec_b32 s20, s21
	s_cbranch_execz .LBB1428_81
; %bb.80:                               ;   in Loop: Header=BB1428_53 Depth=1
	s_waitcnt lgkmcnt(0)
	v_bcnt_u32_b32 v115, v115, v177
	ds_write_b32 v130, v115
.LBB1428_81:                            ;   in Loop: Header=BB1428_53 Depth=1
	s_or_b32 exec_lo, exec_lo, s20
	v_cmp_ne_u32_e64 s20, 0x7fffffff, v244
	; wave barrier
	v_cndmask_b32_e64 v115, 0x80000000, v244, s20
	v_lshrrev_b32_e32 v115, v10, v115
	v_and_b32_e32 v115, v115, v68
	v_and_b32_e32 v117, 1, v115
	v_lshlrev_b32_e32 v119, 30, v115
	v_lshlrev_b32_e32 v129, 29, v115
	;; [unrolled: 1-line block ×4, first 2 shown]
	v_add_co_u32 v117, s20, v117, -1
	v_cndmask_b32_e64 v132, 0, 1, s20
	v_not_b32_e32 v146, v119
	v_cmp_gt_i32_e64 s21, 0, v119
	v_not_b32_e32 v119, v129
	v_lshlrev_b32_e32 v134, 26, v115
	v_cmp_ne_u32_e64 s20, 0, v132
	v_ashrrev_i32_e32 v146, 31, v146
	v_lshlrev_b32_e32 v135, 25, v115
	v_ashrrev_i32_e32 v119, 31, v119
	v_lshlrev_b32_e32 v132, 24, v115
	v_xor_b32_e32 v117, s20, v117
	v_cmp_gt_i32_e64 s20, 0, v129
	v_not_b32_e32 v129, v131
	v_xor_b32_e32 v146, s21, v146
	v_cmp_gt_i32_e64 s21, 0, v131
	v_and_b32_e32 v117, exec_lo, v117
	v_not_b32_e32 v131, v133
	v_ashrrev_i32_e32 v129, 31, v129
	v_xor_b32_e32 v119, s20, v119
	v_cmp_gt_i32_e64 s20, 0, v133
	v_and_b32_e32 v117, v117, v146
	v_not_b32_e32 v133, v134
	v_ashrrev_i32_e32 v131, 31, v131
	v_xor_b32_e32 v129, s21, v129
	v_cmp_gt_i32_e64 s21, 0, v134
	v_and_b32_e32 v117, v117, v119
	;; [unrolled: 5-line block ×3, first 2 shown]
	v_not_b32_e32 v129, v132
	v_ashrrev_i32_e32 v119, 31, v119
	v_xor_b32_e32 v133, s21, v133
	v_lshl_add_u32 v115, v115, 3, v197
	v_and_b32_e32 v117, v117, v131
	v_cmp_gt_i32_e64 s21, 0, v132
	v_ashrrev_i32_e32 v129, 31, v129
	v_xor_b32_e32 v119, s20, v119
	v_lshl_add_u32 v131, v115, 2, v12
	v_and_b32_e32 v117, v117, v133
	v_xor_b32_e32 v115, s21, v129
	ds_read_b32 v179, v131 offset:32
	v_and_b32_e32 v117, v117, v119
	v_add_nc_u32_e32 v132, 32, v131
	; wave barrier
	v_and_b32_e32 v115, v117, v115
	v_mbcnt_lo_u32_b32 v181, v115, 0
	v_cmp_ne_u32_e64 s21, 0, v115
	v_cmp_eq_u32_e64 s20, 0, v181
	s_and_b32 s21, s21, s20
	s_and_saveexec_b32 s20, s21
	s_cbranch_execz .LBB1428_83
; %bb.82:                               ;   in Loop: Header=BB1428_53 Depth=1
	s_waitcnt lgkmcnt(0)
	v_bcnt_u32_b32 v115, v115, v179
	ds_write_b32 v132, v115
.LBB1428_83:                            ;   in Loop: Header=BB1428_53 Depth=1
	s_or_b32 exec_lo, exec_lo, s20
	v_cmp_ne_u32_e64 s20, 0x7fffffff, v245
	; wave barrier
	v_cndmask_b32_e64 v115, 0x80000000, v245, s20
	v_lshrrev_b32_e32 v115, v10, v115
	v_and_b32_e32 v68, v115, v68
	v_and_b32_e32 v115, 1, v68
	v_lshlrev_b32_e32 v117, 30, v68
	v_lshlrev_b32_e32 v119, 29, v68
	;; [unrolled: 1-line block ×4, first 2 shown]
	v_add_co_u32 v115, s20, v115, -1
	v_cndmask_b32_e64 v131, 0, 1, s20
	v_not_b32_e32 v146, v117
	v_cmp_gt_i32_e64 s21, 0, v117
	v_not_b32_e32 v117, v119
	v_lshlrev_b32_e32 v134, 26, v68
	v_cmp_ne_u32_e64 s20, 0, v131
	v_ashrrev_i32_e32 v146, 31, v146
	v_lshlrev_b32_e32 v135, 25, v68
	v_ashrrev_i32_e32 v117, 31, v117
	v_lshlrev_b32_e32 v131, 24, v68
	v_xor_b32_e32 v115, s20, v115
	v_cmp_gt_i32_e64 s20, 0, v119
	v_not_b32_e32 v119, v129
	v_xor_b32_e32 v146, s21, v146
	v_cmp_gt_i32_e64 s21, 0, v129
	v_and_b32_e32 v115, exec_lo, v115
	v_not_b32_e32 v129, v133
	v_ashrrev_i32_e32 v119, 31, v119
	v_xor_b32_e32 v117, s20, v117
	v_cmp_gt_i32_e64 s20, 0, v133
	v_and_b32_e32 v115, v115, v146
	v_not_b32_e32 v133, v134
	v_ashrrev_i32_e32 v129, 31, v129
	v_xor_b32_e32 v119, s21, v119
	v_cmp_gt_i32_e64 s21, 0, v134
	v_and_b32_e32 v115, v115, v117
	;; [unrolled: 5-line block ×3, first 2 shown]
	v_not_b32_e32 v119, v131
	v_ashrrev_i32_e32 v117, 31, v117
	v_xor_b32_e32 v133, s21, v133
	v_lshl_add_u32 v68, v68, 3, v197
	v_and_b32_e32 v115, v115, v129
	v_cmp_gt_i32_e64 s21, 0, v131
	v_ashrrev_i32_e32 v119, 31, v119
	v_xor_b32_e32 v117, s20, v117
	v_lshl_add_u32 v129, v68, 2, v12
	v_and_b32_e32 v115, v115, v133
	v_xor_b32_e32 v119, s21, v119
	ds_read_b32 v68, v129 offset:32
	v_and_b32_e32 v115, v115, v117
	v_add_nc_u32_e32 v134, 32, v129
	; wave barrier
	v_and_b32_e32 v115, v115, v119
	v_mbcnt_lo_u32_b32 v246, v115, 0
	v_cmp_ne_u32_e64 s21, 0, v115
	v_cmp_eq_u32_e64 s20, 0, v246
	s_and_b32 s21, s21, s20
	s_and_saveexec_b32 s20, s21
	s_cbranch_execz .LBB1428_85
; %bb.84:                               ;   in Loop: Header=BB1428_53 Depth=1
	s_waitcnt lgkmcnt(0)
	v_bcnt_u32_b32 v115, v115, v68
	ds_write_b32 v134, v115
.LBB1428_85:                            ;   in Loop: Header=BB1428_53 Depth=1
	s_or_b32 exec_lo, exec_lo, s20
	; wave barrier
	s_waitcnt lgkmcnt(0)
	s_barrier
	buffer_gl0_inv
	ds_read_b32 v117, v49
	ds_read_b32 v119, v182
	ds_read_b32 v129, v183
	ds_read_b32 v115, v192
	ds_read_b32 v131, v193
	ds_read_b32 v148, v194
	ds_read_b32 v146, v195
	ds_read_b32 v133, v196
	s_waitcnt lgkmcnt(6)
	v_add_nc_u32_e32 v135, v119, v117
	s_waitcnt lgkmcnt(4)
	v_add3_u32 v135, v135, v129, v115
	s_waitcnt lgkmcnt(2)
	v_add3_u32 v135, v135, v131, v148
	s_waitcnt lgkmcnt(0)
	v_add3_u32 v133, v135, v146, v133
	v_mov_b32_dpp v135, v133 row_shr:1 row_mask:0xf bank_mask:0xf
	v_cndmask_b32_e64 v135, v135, 0, vcc_lo
	v_add_nc_u32_e32 v133, v135, v133
	v_mov_b32_dpp v135, v133 row_shr:2 row_mask:0xf bank_mask:0xf
	v_cndmask_b32_e64 v135, 0, v135, s4
	v_add_nc_u32_e32 v133, v133, v135
	v_mov_b32_dpp v135, v133 row_shr:4 row_mask:0xf bank_mask:0xf
	v_cndmask_b32_e64 v135, 0, v135, s5
	;; [unrolled: 3-line block ×3, first 2 shown]
	v_add_nc_u32_e32 v133, v133, v135
	ds_swizzle_b32 v135, v133 offset:swizzle(BROADCAST,32,15)
	s_waitcnt lgkmcnt(0)
	v_cndmask_b32_e64 v135, v135, 0, s10
	v_add_nc_u32_e32 v133, v133, v135
	s_and_saveexec_b32 s20, s11
; %bb.86:                               ;   in Loop: Header=BB1428_53 Depth=1
	ds_write_b32 v209, v133
; %bb.87:                               ;   in Loop: Header=BB1428_53 Depth=1
	s_or_b32 exec_lo, exec_lo, s20
	s_waitcnt lgkmcnt(0)
	s_barrier
	buffer_gl0_inv
	s_and_saveexec_b32 s20, s14
	s_cbranch_execz .LBB1428_89
; %bb.88:                               ;   in Loop: Header=BB1428_53 Depth=1
	ds_read_b32 v135, v198
	s_waitcnt lgkmcnt(0)
	v_mov_b32_dpp v147, v135 row_shr:1 row_mask:0xf bank_mask:0xf
	v_cndmask_b32_e64 v147, v147, 0, s17
	v_add_nc_u32_e32 v135, v147, v135
	v_mov_b32_dpp v147, v135 row_shr:2 row_mask:0xf bank_mask:0xf
	v_cndmask_b32_e64 v147, 0, v147, s18
	v_add_nc_u32_e32 v135, v135, v147
	;; [unrolled: 3-line block ×3, first 2 shown]
	ds_write_b32 v198, v135
.LBB1428_89:                            ;   in Loop: Header=BB1428_53 Depth=1
	s_or_b32 exec_lo, exec_lo, s20
	v_mov_b32_e32 v135, 0
	s_waitcnt lgkmcnt(0)
	s_barrier
	buffer_gl0_inv
	s_and_saveexec_b32 s20, s15
; %bb.90:                               ;   in Loop: Header=BB1428_53 Depth=1
	v_add_nc_u32_e32 v135, -4, v209
	ds_read_b32 v135, v135
; %bb.91:                               ;   in Loop: Header=BB1428_53 Depth=1
	s_or_b32 exec_lo, exec_lo, s20
	s_waitcnt lgkmcnt(0)
	v_add_nc_u32_e32 v133, v135, v133
	v_mov_b32_e32 v147, v5
	v_mov_b32_e32 v149, v5
	v_add_nc_u32_e32 v10, 8, v10
	s_mov_b32 s26, -1
	ds_bpermute_b32 v133, v199, v133
	v_cmp_lt_u32_e64 s20, v10, v11
	s_waitcnt lgkmcnt(0)
	v_cndmask_b32_e64 v133, v133, v135, s7
	v_mov_b32_e32 v135, v5
	v_cndmask_b32_e64 v163, v133, 0, s16
	v_mov_b32_e32 v133, v5
	v_add_nc_u32_e32 v165, v163, v117
	v_mov_b32_e32 v117, v5
	v_add_nc_u32_e32 v166, v165, v119
	v_mov_b32_e32 v119, v5
	ds_write_b32 v49, v163
	ds_write_b32 v182, v165
	;; [unrolled: 1-line block ×3, first 2 shown]
	v_mov_b32_e32 v165, v5
	v_add_nc_u32_e32 v167, v166, v129
	v_mov_b32_e32 v129, v5
	v_mov_b32_e32 v163, v5
	v_add_nc_u32_e32 v180, v167, v115
	v_mov_b32_e32 v115, v5
	v_add_nc_u32_e32 v247, v180, v131
	;; [unrolled: 2-line block ×3, first 2 shown]
	v_add_nc_u32_e32 v146, v148, v146
	ds_write_b32 v192, v167
	ds_write_b32 v193, v180
	;; [unrolled: 1-line block ×5, first 2 shown]
	s_waitcnt lgkmcnt(0)
	s_barrier
	buffer_gl0_inv
	ds_read_b32 v64, v64
	ds_read_b32 v67, v67
	;; [unrolled: 1-line block ×16, first 2 shown]
	v_mov_b32_e32 v167, v5
	s_waitcnt lgkmcnt(0)
	v_add_nc_u32_e32 v4, v64, v4
	v_add3_u32 v114, v66, v65, v67
	v_add3_u32 v116, v70, v69, v71
	;; [unrolled: 1-line block ×4, first 2 shown]
	v_lshlrev_b64 v[64:65], 2, v[4:5]
	v_lshlrev_b64 v[65:66], 2, v[114:115]
	v_add3_u32 v132, v101, v100, v102
	v_add3_u32 v146, v112, v103, v113
	v_lshlrev_b64 v[66:67], 2, v[116:117]
	v_add3_u32 v148, v145, v144, v148
	v_add3_u32 v162, v162, v161, v180
	;; [unrolled: 1-line block ×6, first 2 shown]
	v_lshlrev_b64 v[67:68], 2, v[118:119]
	v_mov_b32_e32 v181, v5
	v_add3_u32 v134, v87, v86, v96
	v_add3_u32 v166, v160, v150, v166
	v_lshlrev_b64 v[68:69], 2, v[128:129]
	v_mov_b32_e32 v179, v5
	v_add3_u32 v130, v98, v97, v99
	v_mov_b32_e32 v177, v5
	v_lshlrev_b64 v[80:81], 2, v[132:133]
	v_lshlrev_b64 v[81:82], 2, v[146:147]
	v_add_co_u32 v63, null, v12, v64
	v_add_co_u32 v62, null, v12, v65
	v_lshlrev_b64 v[64:65], 2, v[164:165]
	v_lshlrev_b64 v[82:83], 2, v[148:149]
	v_add_co_u32 v61, null, v12, v66
	v_lshlrev_b64 v[65:66], 2, v[180:181]
	v_lshlrev_b64 v[69:70], 2, v[134:135]
	v_lshlrev_b64 v[83:84], 2, v[166:167]
	v_add_co_u32 v60, null, v12, v67
	v_lshlrev_b64 v[66:67], 2, v[178:179]
	;; [unrolled: 4-line block ×3, first 2 shown]
	v_add_co_u32 v58, null, v12, v69
	v_add_co_u32 v46, null, v12, v70
	;; [unrolled: 1-line block ×11, first 2 shown]
                                        ; implicit-def: $vgpr68_vgpr69
                                        ; implicit-def: $vgpr64_vgpr65
                                        ; implicit-def: $vgpr66_vgpr67
                                        ; implicit-def: $vgpr70_vgpr71
                                        ; implicit-def: $vgpr80_vgpr81
                                        ; implicit-def: $vgpr82_vgpr83
                                        ; implicit-def: $vgpr84_vgpr85
                                        ; implicit-def: $vgpr86_vgpr87
                                        ; implicit-def: $vgpr96_vgpr97
                                        ; implicit-def: $vgpr98_vgpr99
                                        ; implicit-def: $vgpr100_vgpr101
                                        ; implicit-def: $vgpr102_vgpr103
                                        ; implicit-def: $vgpr112_vgpr113
                                        ; implicit-def: $vgpr144_vgpr145
                                        ; implicit-def: $vgpr149_vgpr150
                                        ; implicit-def: $vgpr160_vgpr161
                                        ; implicit-def: $vgpr246
                                        ; implicit-def: $vgpr115
                                        ; implicit-def: $vgpr117
                                        ; implicit-def: $vgpr129
                                        ; implicit-def: $vgpr119
                                        ; implicit-def: $vgpr131
                                        ; implicit-def: $vgpr177
                                        ; implicit-def: $vgpr179
                                        ; implicit-def: $vgpr247
                                        ; implicit-def: $vgpr181
                                        ; implicit-def: $vgpr163
                                        ; implicit-def: $vgpr135
                                        ; implicit-def: $vgpr133
                                        ; implicit-def: $vgpr167
                                        ; implicit-def: $vgpr165
                                        ; implicit-def: $vgpr147
	s_and_saveexec_b32 s21, s20
	s_cbranch_execz .LBB1428_52
; %bb.92:                               ;   in Loop: Header=BB1428_53 Depth=1
	v_add_nc_u32_e32 v64, 0x80, v208
	v_add_nc_u32_e32 v65, 0x100, v208
	;; [unrolled: 1-line block ×4, first 2 shown]
	s_barrier
	buffer_gl0_inv
	ds_write_b32 v63, v214
	ds_write_b32 v62, v224
	ds_write_b32 v61, v215
	ds_write_b32 v60, v225
	ds_write_b32 v59, v227
	ds_write_b32 v58, v226
	ds_write_b32 v46, v228
	ds_write_b32 v43, v229
	ds_write_b32 v42, v230
	ds_write_b32 v41, v231
	ds_write_b32 v40, v240
	ds_write_b32 v44, v241
	ds_write_b32 v56, v242
	ds_write_b32 v57, v243
	ds_write_b32 v47, v244
	ds_write_b32 v45, v245
	s_waitcnt lgkmcnt(0)
	s_barrier
	buffer_gl0_inv
	ds_read_b32 v115, v64
	v_add_nc_u32_e32 v64, 0x280, v208
	ds_read_b32 v246, v208
	ds_read_b32 v117, v65
	;; [unrolled: 1-line block ×4, first 2 shown]
	v_add_nc_u32_e32 v65, 0x300, v208
	v_add_nc_u32_e32 v66, 0x400, v208
	ds_read_b32 v131, v64
	v_add_nc_u32_e32 v64, 0x380, v208
	v_add_nc_u32_e32 v67, 0x480, v208
	ds_read_b32 v177, v65
	v_add_nc_u32_e32 v65, 0x500, v208
	ds_read_b32 v179, v64
	ds_read_b32 v247, v66
	;; [unrolled: 1-line block ×3, first 2 shown]
	v_add_nc_u32_e32 v64, 0x580, v208
	v_add_nc_u32_e32 v66, 0x680, v208
	ds_read_b32 v163, v65
	v_add_nc_u32_e32 v65, 0x600, v208
	v_add_nc_u32_e32 v67, 0x700, v208
	ds_read_b32 v135, v64
	v_add_nc_u32_e32 v64, 0x780, v208
	ds_read_b32 v133, v65
	ds_read_b32 v167, v66
	;; [unrolled: 1-line block ×3, first 2 shown]
	v_lshl_add_u32 v65, v4, 2, v63
	v_lshl_add_u32 v66, v118, 2, v60
	ds_read_b32 v147, v64
	v_lshl_add_u32 v64, v114, 2, v62
	s_waitcnt lgkmcnt(0)
	s_barrier
	buffer_gl0_inv
	ds_write_b64 v65, v[8:9]
	v_lshl_add_u32 v65, v116, 2, v61
	v_lshl_add_u32 v67, v128, 2, v59
	;; [unrolled: 1-line block ×3, first 2 shown]
	ds_write_b64 v64, v[28:29]
	ds_write_b64 v65, v[22:23]
	;; [unrolled: 1-line block ×5, first 2 shown]
	v_lshl_add_u32 v64, v130, 2, v46
	v_lshl_add_u32 v65, v132, 2, v43
	;; [unrolled: 1-line block ×5, first 2 shown]
	ds_write_b64 v64, v[32:33]
	ds_write_b64 v65, v[38:39]
	;; [unrolled: 1-line block ×5, first 2 shown]
	v_lshl_add_u32 v64, v162, 2, v44
	v_lshl_add_u32 v65, v164, 2, v56
	v_lshl_add_u32 v66, v180, 2, v57
	v_lshl_add_u32 v67, v178, 2, v47
	v_lshl_add_u32 v68, v176, 2, v45
	v_add_nc_u32_e32 v80, 0x400, v210
	v_add_nc_u32_e32 v98, 0x900, v210
	ds_write_b64 v64, v[24:25]
	ds_write_b64 v65, v[17:18]
	;; [unrolled: 1-line block ×5, first 2 shown]
	v_add_nc_u32_e32 v64, 0x100, v210
	v_add_nc_u32_e32 v82, 0x500, v210
	;; [unrolled: 1-line block ×11, first 2 shown]
	s_waitcnt lgkmcnt(0)
	s_barrier
	buffer_gl0_inv
	ds_read_b64 v[68:69], v210
	ds_read_b64 v[64:65], v64
	;; [unrolled: 1-line block ×16, first 2 shown]
	v_add_nc_u32_e32 v213, -8, v213
	s_xor_b32 s26, exec_lo, -1
	s_waitcnt lgkmcnt(0)
	s_barrier
	buffer_gl0_inv
	s_branch .LBB1428_52
.LBB1428_93:
	s_or_b32 exec_lo, exec_lo, s23
	v_lshl_add_u32 v4, v4, 2, v63
	s_barrier
	buffer_gl0_inv
	ds_write_b32 v63, v214
	ds_write_b32 v62, v224
	;; [unrolled: 1-line block ×16, first 2 shown]
	s_waitcnt lgkmcnt(0)
	s_barrier
	buffer_gl0_inv
	ds_read2st64_b32 v[86:87], v198 offset1:4
	ds_read2st64_b32 v[84:85], v198 offset0:8 offset1:12
	ds_read2st64_b32 v[82:83], v198 offset0:16 offset1:20
	ds_read2st64_b32 v[80:81], v198 offset0:24 offset1:28
	ds_read2st64_b32 v[70:71], v198 offset0:32 offset1:36
	ds_read2st64_b32 v[68:69], v198 offset0:40 offset1:44
	ds_read2st64_b32 v[66:67], v198 offset0:48 offset1:52
	ds_read2st64_b32 v[64:65], v198 offset0:56 offset1:60
	s_waitcnt lgkmcnt(0)
	s_barrier
	buffer_gl0_inv
	v_lshl_add_u32 v5, v114, 2, v62
	ds_write_b64 v4, v[8:9]
	v_lshl_add_u32 v4, v116, 2, v61
	v_lshl_add_u32 v8, v118, 2, v60
	;; [unrolled: 1-line block ×3, first 2 shown]
	ds_write_b64 v5, v[28:29]
	v_lshl_add_u32 v5, v134, 2, v58
	ds_write_b64 v4, v[22:23]
	ds_write_b64 v8, v[19:20]
	;; [unrolled: 1-line block ×3, first 2 shown]
	v_lshl_add_u32 v4, v130, 2, v46
	v_lshl_add_u32 v8, v146, 2, v42
	;; [unrolled: 1-line block ×3, first 2 shown]
	ds_write_b64 v5, v[52:53]
	v_lshl_add_u32 v5, v132, 2, v43
	ds_write_b64 v4, v[32:33]
	v_lshl_add_u32 v4, v166, 2, v40
	ds_write_b64 v5, v[38:39]
	ds_write_b64 v8, v[36:37]
	;; [unrolled: 1-line block ×3, first 2 shown]
	v_lshl_add_u32 v5, v162, 2, v44
	ds_write_b64 v4, v[30:31]
	v_lshl_add_u32 v4, v164, 2, v56
	v_lshl_add_u32 v8, v180, 2, v57
	;; [unrolled: 1-line block ×3, first 2 shown]
	ds_write_b64 v5, v[24:25]
	v_lshl_add_u32 v5, v176, 2, v45
	ds_write_b64 v4, v[17:18]
	ds_write_b64 v8, v[15:16]
	;; [unrolled: 1-line block ×3, first 2 shown]
	v_lshl_add_u32 v4, v21, 3, v12
	v_mov_b32_e32 v49, 0
	v_add_co_u32 v2, vcc_lo, v2, v50
	ds_write_b64 v5, v[26:27]
	s_waitcnt lgkmcnt(0)
	s_barrier
	buffer_gl0_inv
	ds_read2st64_b64 v[36:39], v4 offset1:4
	ds_read2st64_b64 v[32:35], v4 offset0:8 offset1:12
	ds_read2st64_b64 v[28:31], v4 offset0:16 offset1:20
	;; [unrolled: 1-line block ×7, first 2 shown]
	v_lshlrev_b64 v[4:5], 2, v[48:49]
	v_add_co_ci_u32_e64 v3, null, v3, v51, vcc_lo
	s_waitcnt lgkmcnt(0)
	s_barrier
	buffer_gl0_inv
	v_add_co_u32 v2, vcc_lo, v2, v4
	v_add_co_ci_u32_e64 v3, null, v3, v5, vcc_lo
	v_cmp_lt_u32_e32 vcc_lo, v48, v151
	s_and_saveexec_b32 s5, vcc_lo
	s_cbranch_execz .LBB1428_95
; %bb.94:
	v_cmp_lt_i32_e64 s4, -1, v86
	v_cndmask_b32_e64 v4, 0x80000000, -1, s4
	v_xor_b32_e32 v4, v4, v86
	flat_store_dword v[2:3], v4
.LBB1428_95:
	s_or_b32 exec_lo, exec_lo, s5
	v_add_nc_u32_e32 v4, 0x100, v48
	v_cmp_lt_u32_e64 s4, v4, v151
	s_and_saveexec_b32 s6, s4
	s_cbranch_execz .LBB1428_97
; %bb.96:
	v_cmp_lt_i32_e64 s5, -1, v87
	v_cndmask_b32_e64 v4, 0x80000000, -1, s5
	v_xor_b32_e32 v4, v4, v87
	flat_store_dword v[2:3], v4 offset:1024
.LBB1428_97:
	s_or_b32 exec_lo, exec_lo, s6
	v_add_nc_u32_e32 v4, 0x200, v48
	v_cmp_lt_u32_e64 s5, v4, v151
	s_and_saveexec_b32 s7, s5
	s_cbranch_execz .LBB1428_99
; %bb.98:
	v_cmp_lt_i32_e64 s6, -1, v84
	v_cndmask_b32_e64 v4, 0x80000000, -1, s6
	v_xor_b32_e32 v50, v4, v84
	v_add_co_u32 v4, s6, 0x800, v2
	v_add_co_ci_u32_e64 v5, null, 0, v3, s6
	flat_store_dword v[4:5], v50
.LBB1428_99:
	s_or_b32 exec_lo, exec_lo, s7
	v_add_nc_u32_e32 v4, 0x300, v48
	v_cmp_lt_u32_e64 s6, v4, v151
	s_and_saveexec_b32 s10, s6
	s_cbranch_execz .LBB1428_101
; %bb.100:
	v_cmp_lt_i32_e64 s7, -1, v85
	v_cndmask_b32_e64 v4, 0x80000000, -1, s7
	v_xor_b32_e32 v50, v4, v85
	v_add_co_u32 v4, s7, 0x800, v2
	v_add_co_ci_u32_e64 v5, null, 0, v3, s7
	flat_store_dword v[4:5], v50 offset:1024
.LBB1428_101:
	s_or_b32 exec_lo, exec_lo, s10
	v_add_nc_u32_e32 v4, 0x400, v48
	v_cmp_lt_u32_e64 s7, v4, v151
	s_and_saveexec_b32 s11, s7
	s_cbranch_execz .LBB1428_103
; %bb.102:
	v_cmp_lt_i32_e64 s10, -1, v82
	v_cndmask_b32_e64 v4, 0x80000000, -1, s10
	v_xor_b32_e32 v50, v4, v82
	v_add_co_u32 v4, s10, 0x1000, v2
	v_add_co_ci_u32_e64 v5, null, 0, v3, s10
	flat_store_dword v[4:5], v50
.LBB1428_103:
	s_or_b32 exec_lo, exec_lo, s11
	v_add_nc_u32_e32 v4, 0x500, v48
	v_cmp_lt_u32_e64 s10, v4, v151
	s_and_saveexec_b32 s14, s10
	s_cbranch_execz .LBB1428_105
; %bb.104:
	v_cmp_lt_i32_e64 s11, -1, v83
	v_cndmask_b32_e64 v4, 0x80000000, -1, s11
	v_xor_b32_e32 v50, v4, v83
	v_add_co_u32 v4, s11, 0x1000, v2
	v_add_co_ci_u32_e64 v5, null, 0, v3, s11
	flat_store_dword v[4:5], v50 offset:1024
.LBB1428_105:
	;; [unrolled: 26-line block ×6, first 2 shown]
	s_or_b32 exec_lo, exec_lo, s22
	v_add_nc_u32_e32 v4, 0xe00, v48
	v_cmp_lt_u32_e64 s21, v4, v151
	s_and_saveexec_b32 s23, s21
	s_cbranch_execz .LBB1428_123
; %bb.122:
	v_cmp_lt_i32_e64 s22, -1, v64
	v_cndmask_b32_e64 v4, 0x80000000, -1, s22
	v_xor_b32_e32 v50, v4, v64
	v_add_co_u32 v4, s22, 0x3800, v2
	v_add_co_ci_u32_e64 v5, null, 0, v3, s22
	flat_store_dword v[4:5], v50
.LBB1428_123:
	s_or_b32 exec_lo, exec_lo, s23
	v_add_nc_u32_e32 v4, 0xf00, v48
	v_cmp_lt_u32_e64 s22, v4, v151
	s_and_saveexec_b32 s26, s22
	s_cbranch_execz .LBB1428_125
; %bb.124:
	v_cmp_lt_i32_e64 s23, -1, v65
	v_cndmask_b32_e64 v4, 0x80000000, -1, s23
	v_add_co_u32 v2, s23, 0x3800, v2
	v_add_co_ci_u32_e64 v3, null, 0, v3, s23
	v_xor_b32_e32 v4, v4, v65
	flat_store_dword v[2:3], v4 offset:1024
.LBB1428_125:
	s_or_b32 exec_lo, exec_lo, s26
	v_lshlrev_b64 v[2:3], 3, v[48:49]
	v_add_co_u32 v0, s23, v6, v0
	v_add_co_ci_u32_e64 v1, null, v7, v1, s23
	v_add_co_u32 v0, s23, v0, v2
	v_add_co_ci_u32_e64 v1, null, v1, v3, s23
	s_and_saveexec_b32 s23, vcc_lo
	s_cbranch_execnz .LBB1428_211
; %bb.126:
	s_or_b32 exec_lo, exec_lo, s23
	s_and_saveexec_b32 s23, s4
	s_cbranch_execnz .LBB1428_212
.LBB1428_127:
	s_or_b32 exec_lo, exec_lo, s23
	s_and_saveexec_b32 s4, s5
	s_cbranch_execnz .LBB1428_213
.LBB1428_128:
	s_or_b32 exec_lo, exec_lo, s4
	s_and_saveexec_b32 s4, s6
	s_cbranch_execnz .LBB1428_214
.LBB1428_129:
	s_or_b32 exec_lo, exec_lo, s4
	s_and_saveexec_b32 s4, s7
	s_cbranch_execnz .LBB1428_215
.LBB1428_130:
	s_or_b32 exec_lo, exec_lo, s4
	s_and_saveexec_b32 s4, s10
	s_cbranch_execnz .LBB1428_216
.LBB1428_131:
	s_or_b32 exec_lo, exec_lo, s4
	s_and_saveexec_b32 s4, s11
	s_cbranch_execnz .LBB1428_217
.LBB1428_132:
	s_or_b32 exec_lo, exec_lo, s4
	s_and_saveexec_b32 s4, s14
	s_cbranch_execnz .LBB1428_218
.LBB1428_133:
	s_or_b32 exec_lo, exec_lo, s4
	s_and_saveexec_b32 s4, s15
	s_cbranch_execnz .LBB1428_219
.LBB1428_134:
	s_or_b32 exec_lo, exec_lo, s4
	s_and_saveexec_b32 s4, s16
	s_cbranch_execnz .LBB1428_220
.LBB1428_135:
	s_or_b32 exec_lo, exec_lo, s4
	s_and_saveexec_b32 s4, s17
	s_cbranch_execnz .LBB1428_221
.LBB1428_136:
	s_or_b32 exec_lo, exec_lo, s4
	s_and_saveexec_b32 s4, s18
	s_cbranch_execnz .LBB1428_222
.LBB1428_137:
	s_or_b32 exec_lo, exec_lo, s4
	s_and_saveexec_b32 s4, s19
	s_cbranch_execnz .LBB1428_223
.LBB1428_138:
	s_or_b32 exec_lo, exec_lo, s4
	s_and_saveexec_b32 s4, s20
	s_cbranch_execnz .LBB1428_224
.LBB1428_139:
	s_or_b32 exec_lo, exec_lo, s4
	s_and_saveexec_b32 s4, s21
	s_cbranch_execnz .LBB1428_225
.LBB1428_140:
	s_or_b32 exec_lo, exec_lo, s4
	s_and_saveexec_b32 s4, s22
	s_cbranch_execz .LBB1428_142
.LBB1428_141:
	v_add_co_u32 v0, vcc_lo, 0x7800, v0
	v_add_co_ci_u32_e64 v1, null, 0, v1, vcc_lo
	flat_store_dwordx2 v[0:1], v[10:11]
.LBB1428_142:
	s_or_b32 exec_lo, exec_lo, s4
                                        ; implicit-def: $vgpr151
                                        ; implicit-def: $vgpr0
                                        ; implicit-def: $vgpr1
                                        ; implicit-def: $vgpr2
                                        ; implicit-def: $vgpr3
                                        ; implicit-def: $vgpr4
                                        ; implicit-def: $vgpr5
                                        ; implicit-def: $vgpr6
                                        ; implicit-def: $vgpr7
                                        ; implicit-def: $vgpr8
                                        ; implicit-def: $vgpr10
                                        ; implicit-def: $vgpr11
                                        ; implicit-def: $vgpr12
                                        ; implicit-def: $vgpr13
                                        ; implicit-def: $vgpr14
                                        ; implicit-def: $vgpr21
                                        ; implicit-def: $vgpr114
.LBB1428_143:
	s_andn2_saveexec_b32 s4, s25
	s_cbranch_execz .LBB1428_372
; %bb.144:
	s_mov_b32 s4, exec_lo
	v_cmpx_lt_u32_e32 0x400, v151
	s_xor_b32 s22, exec_lo, s4
	s_cbranch_execz .LBB1428_252
; %bb.145:
	s_load_dwordx2 s[4:5], s[8:9], 0x0
	v_mov_b32_e32 v9, 0
	v_lshlrev_b32_e32 v20, 2, v114
	v_lshlrev_b64 v[26:27], 2, v[8:9]
	v_mov_b32_e32 v23, v9
	v_add_co_u32 v28, vcc_lo, v0, v26
	v_add_co_ci_u32_e64 v29, null, v1, v27, vcc_lo
	v_add_co_u32 v20, vcc_lo, v28, v20
	v_add_co_ci_u32_e64 v28, null, 0, v29, vcc_lo
	s_waitcnt lgkmcnt(0)
	s_cmp_lt_u32 s13, s5
	s_cselect_b32 s5, 14, 20
	s_add_u32 s6, s8, s5
	s_addc_u32 s7, s9, 0
	s_cmp_lt_u32 s12, s4
	global_load_ushort v15, v9, s[6:7]
	s_cselect_b32 s4, 12, 18
	s_add_u32 s4, s8, s4
	s_addc_u32 s5, s9, 0
	global_load_ushort v16, v9, s[4:5]
	s_waitcnt vmcnt(1)
	v_mad_u32_u24 v13, v14, v15, v13
	s_waitcnt vmcnt(0)
	v_mad_u64_u32 v[24:25], null, v13, v16, v[21:22]
	v_bfrev_b32_e32 v13, -2
	v_mov_b32_e32 v14, v13
	v_lshlrev_b32_e32 v22, 3, v24
	v_mov_b32_e32 v15, v13
	v_mov_b32_e32 v16, v13
	;; [unrolled: 1-line block ×4, first 2 shown]
	v_and_b32_e32 v22, 0xffffff00, v22
	v_mov_b32_e32 v19, v13
	v_lshlrev_b64 v[0:1], 2, v[22:23]
	v_or_b32_e32 v25, v22, v114
	v_cmp_lt_u32_e32 vcc_lo, v25, v151
	v_add_co_u32 v0, s4, v20, v0
	v_add_co_ci_u32_e64 v1, null, v28, v1, s4
	v_mov_b32_e32 v20, v13
	s_and_saveexec_b32 s4, vcc_lo
	s_cbranch_execz .LBB1428_147
; %bb.146:
	flat_load_dword v28, v[0:1]
	v_mov_b32_e32 v29, v13
	v_mov_b32_e32 v30, v13
	;; [unrolled: 1-line block ×7, first 2 shown]
	s_waitcnt vmcnt(0) lgkmcnt(0)
	v_mov_b32_e32 v13, v28
	v_mov_b32_e32 v14, v29
	;; [unrolled: 1-line block ×8, first 2 shown]
.LBB1428_147:
	s_or_b32 exec_lo, exec_lo, s4
	v_or_b32_e32 v28, 32, v25
	v_cmp_lt_u32_e64 s4, v28, v151
	s_and_saveexec_b32 s5, s4
	s_cbranch_execz .LBB1428_149
; %bb.148:
	flat_load_dword v14, v[0:1] offset:128
.LBB1428_149:
	s_or_b32 exec_lo, exec_lo, s5
	v_or_b32_e32 v28, 64, v25
	v_cmp_lt_u32_e64 s5, v28, v151
	s_and_saveexec_b32 s6, s5
	s_cbranch_execz .LBB1428_151
; %bb.150:
	flat_load_dword v15, v[0:1] offset:256
.LBB1428_151:
	;; [unrolled: 8-line block ×7, first 2 shown]
	s_or_b32 exec_lo, exec_lo, s15
	v_lshlrev_b64 v[0:1], 3, v[8:9]
	v_lshlrev_b32_e32 v8, 3, v114
                                        ; implicit-def: $vgpr36_vgpr37
	v_add_co_u32 v9, s15, v4, v0
	v_add_co_ci_u32_e64 v25, null, v5, v1, s15
	v_lshlrev_b64 v[4:5], 3, v[22:23]
	v_add_co_u32 v8, s15, v9, v8
	v_add_co_ci_u32_e64 v9, null, 0, v25, s15
	v_add_co_u32 v4, s15, v8, v4
	v_add_co_ci_u32_e64 v5, null, v9, v5, s15
	s_and_saveexec_b32 s15, vcc_lo
	s_cbranch_execnz .LBB1428_285
; %bb.162:
	s_or_b32 exec_lo, exec_lo, s15
                                        ; implicit-def: $vgpr48_vgpr49
	s_and_saveexec_b32 s15, s4
	s_cbranch_execnz .LBB1428_286
.LBB1428_163:
	s_or_b32 exec_lo, exec_lo, s15
                                        ; implicit-def: $vgpr50_vgpr51
	s_and_saveexec_b32 s4, s5
	s_cbranch_execnz .LBB1428_287
.LBB1428_164:
	s_or_b32 exec_lo, exec_lo, s4
                                        ; implicit-def: $vgpr52_vgpr53
	s_and_saveexec_b32 s4, s6
	s_cbranch_execnz .LBB1428_288
.LBB1428_165:
	s_or_b32 exec_lo, exec_lo, s4
                                        ; implicit-def: $vgpr54_vgpr55
	s_and_saveexec_b32 s4, s7
	s_cbranch_execnz .LBB1428_289
.LBB1428_166:
	s_or_b32 exec_lo, exec_lo, s4
                                        ; implicit-def: $vgpr32_vgpr33
	s_and_saveexec_b32 s4, s10
	s_cbranch_execnz .LBB1428_290
.LBB1428_167:
	s_or_b32 exec_lo, exec_lo, s4
                                        ; implicit-def: $vgpr34_vgpr35
	s_and_saveexec_b32 s4, s11
	s_cbranch_execnz .LBB1428_291
.LBB1428_168:
	s_or_b32 exec_lo, exec_lo, s4
                                        ; implicit-def: $vgpr38_vgpr39
	s_and_saveexec_b32 s4, s14
	s_cbranch_execz .LBB1428_170
.LBB1428_169:
	flat_load_dwordx2 v[38:39], v[4:5] offset:1792
.LBB1428_170:
	s_or_b32 exec_lo, exec_lo, s4
	v_cmp_lt_i32_e32 vcc_lo, -1, v13
	s_getpc_b64 s[4:5]
	s_add_u32 s4, s4, _ZN7rocprim17ROCPRIM_400000_NS16block_radix_sortIfLj256ELj8ElLj1ELj1ELj8ELNS0_26block_radix_rank_algorithmE2ELNS0_18block_padding_hintE2ELNS0_4arch9wavefront6targetE0EE19radix_bits_per_passE@rel32@lo+4
	s_addc_u32 s5, s5, _ZN7rocprim17ROCPRIM_400000_NS16block_radix_sortIfLj256ELj8ElLj1ELj1ELj8ELNS0_26block_radix_rank_algorithmE2ELNS0_18block_padding_hintE2ELNS0_4arch9wavefront6targetE0EE19radix_bits_per_passE@rel32@hi+12
	v_lshrrev_b32_e32 v101, 5, v24
	s_load_dword s23, s[4:5], 0x0
	v_cmp_lt_u32_e64 s15, 31, v21
	v_cndmask_b32_e64 v4, -1, 0x80000000, vcc_lo
	s_waitcnt vmcnt(0) lgkmcnt(0)
	v_cmp_lt_i32_e32 vcc_lo, -1, v14
	v_cmp_eq_u32_e64 s16, 0, v21
	v_sub_nc_u32_e32 v146, v11, v10
	s_mov_b32 s25, 0
	v_xor_b32_e32 v83, v4, v13
	v_cndmask_b32_e64 v5, -1, 0x80000000, vcc_lo
	v_cmp_lt_i32_e32 vcc_lo, -1, v15
	v_sub_co_u32 v13, s6, v114, 1
	s_waitcnt_vscnt null, 0x0
	v_xor_b32_e32 v65, v5, v14
	v_cndmask_b32_e64 v8, -1, 0x80000000, vcc_lo
	v_cmp_lt_i32_e32 vcc_lo, -1, v16
	v_cmp_gt_i32_e64 s14, 0, v13
	s_barrier
	buffer_gl0_inv
	v_xor_b32_e32 v67, v8, v15
	v_cndmask_b32_e64 v9, -1, 0x80000000, vcc_lo
	v_cmp_lt_i32_e32 vcc_lo, -1, v17
	v_xor_b32_e32 v69, v9, v16
	v_cndmask_b32_e64 v22, -1, 0x80000000, vcc_lo
	v_cmp_lt_i32_e32 vcc_lo, -1, v18
	v_and_b32_e32 v9, 15, v114
	v_xor_b32_e32 v71, v22, v17
	v_cndmask_b32_e64 v4, -1, 0x80000000, vcc_lo
	v_cmp_lt_i32_e32 vcc_lo, -1, v19
	v_cmp_lt_u32_e64 s4, 1, v9
	v_cmp_lt_u32_e64 s5, 3, v9
	;; [unrolled: 1-line block ×3, first 2 shown]
	v_xor_b32_e32 v81, v4, v18
	v_cndmask_b32_e64 v5, -1, 0x80000000, vcc_lo
	v_cmp_lt_i32_e32 vcc_lo, -1, v20
	v_lshl_add_u32 v4, v21, 5, v12
	v_xor_b32_e32 v85, v5, v19
	v_cndmask_b32_e64 v8, -1, 0x80000000, vcc_lo
	v_add_nc_u32_e32 v25, 32, v4
	v_add_nc_u32_e32 v86, 36, v4
	;; [unrolled: 1-line block ×4, first 2 shown]
	v_xor_b32_e32 v164, v8, v20
	v_and_b32_e32 v8, 0x3e0, v21
	v_add_nc_u32_e32 v97, 48, v4
	v_add_nc_u32_e32 v98, 52, v4
	;; [unrolled: 1-line block ×4, first 2 shown]
	v_min_u32_e32 v4, 0xe0, v8
	v_and_b32_e32 v8, 16, v114
	v_lshlrev_b32_e32 v5, 3, v21
	v_cmp_eq_u32_e32 vcc_lo, 0, v9
	v_and_b32_e32 v9, 7, v114
	v_or_b32_e32 v4, 31, v4
	v_cmp_eq_u32_e64 s10, 0, v8
	v_lshrrev_b32_e32 v8, 3, v21
	v_and_or_b32 v5, 0x1f00, v5, v114
	v_cmp_eq_u32_e64 s17, 0, v9
	v_cmp_eq_u32_e64 s11, v21, v4
	v_cndmask_b32_e64 v4, v13, v114, s14
	v_and_b32_e32 v8, 0x7c, v8
	v_cmp_gt_u32_e64 s14, 8, v21
	v_cmp_lt_u32_e64 s18, 1, v9
	v_cmp_lt_u32_e64 s19, 3, v9
	v_lshlrev_b32_e32 v103, 2, v4
	v_add_nc_u32_e32 v112, v12, v8
	v_lshlrev_b32_e32 v8, 2, v5
	v_lshlrev_b32_e32 v4, 2, v21
	v_mov_b32_e32 v5, 0
	v_add_nc_u32_e32 v114, -4, v112
	v_add_nc_u32_e32 v113, v12, v8
	v_add_co_u32 v102, null, v12, v4
	v_add_nc_u32_e32 v118, v113, v8
	v_add_nc_u32_e32 v115, 0x80, v113
	;; [unrolled: 1-line block ×15, first 2 shown]
	s_branch .LBB1428_172
.LBB1428_171:                           ;   in Loop: Header=BB1428_172 Depth=1
	s_or_b32 exec_lo, exec_lo, s21
	s_and_b32 s20, exec_lo, s26
	s_or_b32 s25, s20, s25
	s_andn2_b32 exec_lo, exec_lo, s25
	s_cbranch_execz .LBB1428_226
.LBB1428_172:                           ; =>This Inner Loop Header: Depth=1
	v_mov_b32_e32 v147, v83
	v_min_u32_e32 v4, s23, v146
	v_mov_b32_e32 v19, v36
	v_mov_b32_e32 v20, v37
	;; [unrolled: 1-line block ×3, first 2 shown]
	v_cmp_ne_u32_e64 s20, 0x7fffffff, v147
	v_lshlrev_b32_e64 v4, v4, -1
	v_mov_b32_e32 v15, v50
	v_mov_b32_e32 v13, v54
	;; [unrolled: 1-line block ×3, first 2 shown]
	v_cndmask_b32_e64 v8, 0x80000000, v147, s20
	v_not_b32_e32 v64, v4
	v_mov_b32_e32 v149, v85
	v_mov_b32_e32 v150, v81
	;; [unrolled: 1-line block ×3, first 2 shown]
	v_lshrrev_b32_e32 v4, v10, v8
	v_mov_b32_e32 v8, v52
	v_mov_b32_e32 v161, v69
	;; [unrolled: 1-line block ×4, first 2 shown]
	v_and_b32_e32 v4, v4, v64
	v_mov_b32_e32 v18, v49
	v_mov_b32_e32 v16, v51
	;; [unrolled: 1-line block ×4, first 2 shown]
	v_and_b32_e32 v22, 1, v4
	v_lshlrev_b32_e32 v23, 30, v4
	v_lshlrev_b32_e32 v28, 29, v4
	;; [unrolled: 1-line block ×4, first 2 shown]
	v_add_co_u32 v22, s20, v22, -1
	v_cndmask_b32_e64 v29, 0, 1, s20
	v_not_b32_e32 v37, v23
	v_cmp_gt_i32_e64 s21, 0, v23
	v_not_b32_e32 v23, v28
	v_lshlrev_b32_e32 v36, 26, v4
	v_cmp_ne_u32_e64 s20, 0, v29
	v_ashrrev_i32_e32 v37, 31, v37
	v_lshlrev_b32_e32 v29, 25, v4
	v_ashrrev_i32_e32 v23, 31, v23
	ds_write_b32 v25, v5
	ds_write_b32 v86, v5
	v_xor_b32_e32 v22, s20, v22
	v_cmp_gt_i32_e64 s20, 0, v28
	v_not_b32_e32 v28, v30
	v_xor_b32_e32 v37, s21, v37
	v_cmp_gt_i32_e64 s21, 0, v30
	v_and_b32_e32 v22, exec_lo, v22
	v_not_b32_e32 v30, v31
	v_ashrrev_i32_e32 v28, 31, v28
	v_xor_b32_e32 v23, s20, v23
	v_cmp_gt_i32_e64 s20, 0, v31
	v_and_b32_e32 v22, v22, v37
	v_ashrrev_i32_e32 v30, 31, v30
	v_xor_b32_e32 v28, s21, v28
	v_not_b32_e32 v31, v36
	v_cmp_gt_i32_e64 s21, 0, v36
	v_and_b32_e32 v22, v22, v23
	v_not_b32_e32 v23, v29
	v_xor_b32_e32 v30, s20, v30
	v_ashrrev_i32_e32 v31, 31, v31
	v_cmp_gt_i32_e64 s20, 0, v29
	v_and_b32_e32 v22, v22, v28
	v_lshlrev_b32_e32 v28, 24, v4
	v_ashrrev_i32_e32 v29, 31, v23
	v_xor_b32_e32 v36, s21, v31
	v_lshl_add_u32 v4, v4, 3, v101
	v_and_b32_e32 v37, v22, v30
	v_mov_b32_e32 v22, v32
	v_mov_b32_e32 v23, v33
	v_not_b32_e32 v32, v28
	v_mov_b32_e32 v30, v34
	v_mov_b32_e32 v31, v35
	v_xor_b32_e32 v33, s20, v29
	v_and_b32_e32 v34, v37, v36
	v_cmp_gt_i32_e64 s20, 0, v28
	v_ashrrev_i32_e32 v32, 31, v32
	v_mov_b32_e32 v28, v38
	v_mov_b32_e32 v29, v39
	v_and_b32_e32 v33, v34, v33
	v_lshlrev_b64 v[34:35], 2, v[4:5]
	v_xor_b32_e32 v32, s20, v32
	ds_write_b32 v87, v5
	ds_write_b32 v96, v5
	;; [unrolled: 1-line block ×6, first 2 shown]
	v_and_b32_e32 v33, v33, v32
	v_add_co_u32 v32, null, v12, v34
	s_waitcnt lgkmcnt(0)
	s_barrier
	v_mbcnt_lo_u32_b32 v4, v33, 0
	v_cmp_ne_u32_e64 s21, 0, v33
	v_add_co_u32 v32, null, v32, 32
	buffer_gl0_inv
	v_cmp_eq_u32_e64 s20, 0, v4
	; wave barrier
	s_and_b32 s21, s21, s20
	s_and_saveexec_b32 s20, s21
; %bb.173:                              ;   in Loop: Header=BB1428_172 Depth=1
	v_bcnt_u32_b32 v33, v33, 0
	ds_write_b32 v32, v33
; %bb.174:                              ;   in Loop: Header=BB1428_172 Depth=1
	s_or_b32 exec_lo, exec_lo, s20
	v_cmp_ne_u32_e64 s20, 0x7fffffff, v163
	; wave barrier
	v_cndmask_b32_e64 v33, 0x80000000, v163, s20
	v_lshrrev_b32_e32 v33, v10, v33
	v_and_b32_e32 v33, v33, v64
	v_and_b32_e32 v34, 1, v33
	v_lshlrev_b32_e32 v35, 30, v33
	v_lshlrev_b32_e32 v36, 29, v33
	v_lshlrev_b32_e32 v37, 28, v33
	v_lshlrev_b32_e32 v39, 27, v33
	v_add_co_u32 v34, s20, v34, -1
	v_cndmask_b32_e64 v38, 0, 1, s20
	v_not_b32_e32 v50, v35
	v_cmp_gt_i32_e64 s21, 0, v35
	v_not_b32_e32 v35, v36
	v_lshlrev_b32_e32 v48, 26, v33
	v_cmp_ne_u32_e64 s20, 0, v38
	v_ashrrev_i32_e32 v50, 31, v50
	v_lshlrev_b32_e32 v49, 25, v33
	v_ashrrev_i32_e32 v35, 31, v35
	v_lshlrev_b32_e32 v38, 24, v33
	v_xor_b32_e32 v34, s20, v34
	v_cmp_gt_i32_e64 s20, 0, v36
	v_not_b32_e32 v36, v37
	v_xor_b32_e32 v50, s21, v50
	v_cmp_gt_i32_e64 s21, 0, v37
	v_and_b32_e32 v34, exec_lo, v34
	v_not_b32_e32 v37, v39
	v_ashrrev_i32_e32 v36, 31, v36
	v_xor_b32_e32 v35, s20, v35
	v_cmp_gt_i32_e64 s20, 0, v39
	v_and_b32_e32 v34, v34, v50
	v_not_b32_e32 v39, v48
	v_ashrrev_i32_e32 v37, 31, v37
	v_xor_b32_e32 v36, s21, v36
	v_cmp_gt_i32_e64 s21, 0, v48
	v_and_b32_e32 v34, v34, v35
	;; [unrolled: 5-line block ×3, first 2 shown]
	v_not_b32_e32 v36, v38
	v_ashrrev_i32_e32 v35, 31, v35
	v_xor_b32_e32 v39, s21, v39
	v_lshl_add_u32 v33, v33, 3, v101
	v_and_b32_e32 v34, v34, v37
	v_cmp_gt_i32_e64 s21, 0, v38
	v_ashrrev_i32_e32 v36, 31, v36
	v_xor_b32_e32 v35, s20, v35
	v_lshl_add_u32 v37, v33, 2, v12
	v_and_b32_e32 v34, v34, v39
	v_xor_b32_e32 v36, s21, v36
	ds_read_b32 v33, v37 offset:32
	v_and_b32_e32 v34, v34, v35
	v_add_nc_u32_e32 v35, 32, v37
	; wave barrier
	v_and_b32_e32 v36, v34, v36
	v_mbcnt_lo_u32_b32 v34, v36, 0
	v_cmp_ne_u32_e64 s21, 0, v36
	v_cmp_eq_u32_e64 s20, 0, v34
	s_and_b32 s21, s21, s20
	s_and_saveexec_b32 s20, s21
	s_cbranch_execz .LBB1428_176
; %bb.175:                              ;   in Loop: Header=BB1428_172 Depth=1
	s_waitcnt lgkmcnt(0)
	v_bcnt_u32_b32 v36, v36, v33
	ds_write_b32 v35, v36
.LBB1428_176:                           ;   in Loop: Header=BB1428_172 Depth=1
	s_or_b32 exec_lo, exec_lo, s20
	v_cmp_ne_u32_e64 s20, 0x7fffffff, v162
	; wave barrier
	v_cndmask_b32_e64 v36, 0x80000000, v162, s20
	v_lshrrev_b32_e32 v36, v10, v36
	v_and_b32_e32 v36, v36, v64
	v_and_b32_e32 v37, 1, v36
	v_lshlrev_b32_e32 v38, 30, v36
	v_lshlrev_b32_e32 v39, 29, v36
	;; [unrolled: 1-line block ×4, first 2 shown]
	v_add_co_u32 v37, s20, v37, -1
	v_cndmask_b32_e64 v49, 0, 1, s20
	v_not_b32_e32 v53, v38
	v_cmp_gt_i32_e64 s21, 0, v38
	v_not_b32_e32 v38, v39
	v_lshlrev_b32_e32 v51, 26, v36
	v_cmp_ne_u32_e64 s20, 0, v49
	v_ashrrev_i32_e32 v53, 31, v53
	v_lshlrev_b32_e32 v52, 25, v36
	v_ashrrev_i32_e32 v38, 31, v38
	v_lshlrev_b32_e32 v49, 24, v36
	v_xor_b32_e32 v37, s20, v37
	v_cmp_gt_i32_e64 s20, 0, v39
	v_not_b32_e32 v39, v48
	v_xor_b32_e32 v53, s21, v53
	v_cmp_gt_i32_e64 s21, 0, v48
	v_and_b32_e32 v37, exec_lo, v37
	v_not_b32_e32 v48, v50
	v_ashrrev_i32_e32 v39, 31, v39
	v_xor_b32_e32 v38, s20, v38
	v_cmp_gt_i32_e64 s20, 0, v50
	v_and_b32_e32 v37, v37, v53
	v_not_b32_e32 v50, v51
	v_ashrrev_i32_e32 v48, 31, v48
	v_xor_b32_e32 v39, s21, v39
	v_cmp_gt_i32_e64 s21, 0, v51
	v_and_b32_e32 v37, v37, v38
	;; [unrolled: 5-line block ×3, first 2 shown]
	v_not_b32_e32 v39, v49
	v_ashrrev_i32_e32 v38, 31, v38
	v_xor_b32_e32 v50, s21, v50
	v_lshl_add_u32 v36, v36, 3, v101
	v_and_b32_e32 v37, v37, v48
	v_cmp_gt_i32_e64 s21, 0, v49
	v_ashrrev_i32_e32 v39, 31, v39
	v_xor_b32_e32 v38, s20, v38
	v_lshl_add_u32 v48, v36, 2, v12
	v_and_b32_e32 v37, v37, v50
	v_xor_b32_e32 v39, s21, v39
	ds_read_b32 v36, v48 offset:32
	v_and_b32_e32 v37, v37, v38
	v_add_nc_u32_e32 v38, 32, v48
	; wave barrier
	v_and_b32_e32 v39, v37, v39
	v_mbcnt_lo_u32_b32 v37, v39, 0
	v_cmp_ne_u32_e64 s21, 0, v39
	v_cmp_eq_u32_e64 s20, 0, v37
	s_and_b32 s21, s21, s20
	s_and_saveexec_b32 s20, s21
	s_cbranch_execz .LBB1428_178
; %bb.177:                              ;   in Loop: Header=BB1428_172 Depth=1
	s_waitcnt lgkmcnt(0)
	v_bcnt_u32_b32 v39, v39, v36
	ds_write_b32 v38, v39
.LBB1428_178:                           ;   in Loop: Header=BB1428_172 Depth=1
	s_or_b32 exec_lo, exec_lo, s20
	v_cmp_ne_u32_e64 s20, 0x7fffffff, v161
	; wave barrier
	v_cndmask_b32_e64 v39, 0x80000000, v161, s20
	v_lshrrev_b32_e32 v39, v10, v39
	v_and_b32_e32 v39, v39, v64
	v_and_b32_e32 v48, 1, v39
	v_lshlrev_b32_e32 v49, 30, v39
	v_lshlrev_b32_e32 v50, 29, v39
	;; [unrolled: 1-line block ×4, first 2 shown]
	v_add_co_u32 v48, s20, v48, -1
	v_cndmask_b32_e64 v52, 0, 1, s20
	v_not_b32_e32 v65, v49
	v_cmp_gt_i32_e64 s21, 0, v49
	v_not_b32_e32 v49, v50
	v_lshlrev_b32_e32 v54, 26, v39
	v_cmp_ne_u32_e64 s20, 0, v52
	v_ashrrev_i32_e32 v65, 31, v65
	v_lshlrev_b32_e32 v55, 25, v39
	v_ashrrev_i32_e32 v49, 31, v49
	v_lshlrev_b32_e32 v52, 24, v39
	v_xor_b32_e32 v48, s20, v48
	v_cmp_gt_i32_e64 s20, 0, v50
	v_not_b32_e32 v50, v51
	v_xor_b32_e32 v65, s21, v65
	v_cmp_gt_i32_e64 s21, 0, v51
	v_and_b32_e32 v48, exec_lo, v48
	v_not_b32_e32 v51, v53
	v_ashrrev_i32_e32 v50, 31, v50
	v_xor_b32_e32 v49, s20, v49
	v_cmp_gt_i32_e64 s20, 0, v53
	v_and_b32_e32 v48, v48, v65
	v_not_b32_e32 v53, v54
	v_ashrrev_i32_e32 v51, 31, v51
	v_xor_b32_e32 v50, s21, v50
	v_cmp_gt_i32_e64 s21, 0, v54
	v_and_b32_e32 v48, v48, v49
	;; [unrolled: 5-line block ×3, first 2 shown]
	v_not_b32_e32 v50, v52
	v_ashrrev_i32_e32 v49, 31, v49
	v_xor_b32_e32 v53, s21, v53
	v_lshl_add_u32 v39, v39, 3, v101
	v_and_b32_e32 v48, v48, v51
	v_cmp_gt_i32_e64 s21, 0, v52
	v_ashrrev_i32_e32 v50, 31, v50
	v_xor_b32_e32 v49, s20, v49
	v_lshl_add_u32 v51, v39, 2, v12
	v_and_b32_e32 v48, v48, v53
	v_xor_b32_e32 v50, s21, v50
	ds_read_b32 v39, v51 offset:32
	v_and_b32_e32 v48, v48, v49
	v_add_nc_u32_e32 v49, 32, v51
	; wave barrier
	v_and_b32_e32 v50, v48, v50
	v_mbcnt_lo_u32_b32 v48, v50, 0
	v_cmp_ne_u32_e64 s21, 0, v50
	v_cmp_eq_u32_e64 s20, 0, v48
	s_and_b32 s21, s21, s20
	s_and_saveexec_b32 s20, s21
	s_cbranch_execz .LBB1428_180
; %bb.179:                              ;   in Loop: Header=BB1428_172 Depth=1
	s_waitcnt lgkmcnt(0)
	v_bcnt_u32_b32 v50, v50, v39
	ds_write_b32 v49, v50
.LBB1428_180:                           ;   in Loop: Header=BB1428_172 Depth=1
	s_or_b32 exec_lo, exec_lo, s20
	v_cmp_ne_u32_e64 s20, 0x7fffffff, v160
	; wave barrier
	v_cndmask_b32_e64 v50, 0x80000000, v160, s20
	v_lshrrev_b32_e32 v50, v10, v50
	v_and_b32_e32 v50, v50, v64
	v_and_b32_e32 v51, 1, v50
	v_lshlrev_b32_e32 v52, 30, v50
	v_lshlrev_b32_e32 v53, 29, v50
	;; [unrolled: 1-line block ×4, first 2 shown]
	v_add_co_u32 v51, s20, v51, -1
	v_cndmask_b32_e64 v55, 0, 1, s20
	v_not_b32_e32 v68, v52
	v_cmp_gt_i32_e64 s21, 0, v52
	v_not_b32_e32 v52, v53
	v_lshlrev_b32_e32 v66, 26, v50
	v_cmp_ne_u32_e64 s20, 0, v55
	v_ashrrev_i32_e32 v68, 31, v68
	v_lshlrev_b32_e32 v67, 25, v50
	v_ashrrev_i32_e32 v52, 31, v52
	v_lshlrev_b32_e32 v55, 24, v50
	v_xor_b32_e32 v51, s20, v51
	v_cmp_gt_i32_e64 s20, 0, v53
	v_not_b32_e32 v53, v54
	v_xor_b32_e32 v68, s21, v68
	v_cmp_gt_i32_e64 s21, 0, v54
	v_and_b32_e32 v51, exec_lo, v51
	v_not_b32_e32 v54, v65
	v_ashrrev_i32_e32 v53, 31, v53
	v_xor_b32_e32 v52, s20, v52
	v_cmp_gt_i32_e64 s20, 0, v65
	v_and_b32_e32 v51, v51, v68
	v_not_b32_e32 v65, v66
	v_ashrrev_i32_e32 v54, 31, v54
	v_xor_b32_e32 v53, s21, v53
	v_cmp_gt_i32_e64 s21, 0, v66
	v_and_b32_e32 v51, v51, v52
	;; [unrolled: 5-line block ×3, first 2 shown]
	v_not_b32_e32 v53, v55
	v_ashrrev_i32_e32 v52, 31, v52
	v_xor_b32_e32 v65, s21, v65
	v_lshl_add_u32 v50, v50, 3, v101
	v_and_b32_e32 v51, v51, v54
	v_cmp_gt_i32_e64 s21, 0, v55
	v_ashrrev_i32_e32 v53, 31, v53
	v_xor_b32_e32 v52, s20, v52
	v_lshl_add_u32 v54, v50, 2, v12
	v_and_b32_e32 v51, v51, v65
	v_xor_b32_e32 v53, s21, v53
	ds_read_b32 v50, v54 offset:32
	v_and_b32_e32 v51, v51, v52
	v_add_nc_u32_e32 v52, 32, v54
	; wave barrier
	v_and_b32_e32 v53, v51, v53
	v_mbcnt_lo_u32_b32 v51, v53, 0
	v_cmp_ne_u32_e64 s21, 0, v53
	v_cmp_eq_u32_e64 s20, 0, v51
	s_and_b32 s21, s21, s20
	s_and_saveexec_b32 s20, s21
	s_cbranch_execz .LBB1428_182
; %bb.181:                              ;   in Loop: Header=BB1428_172 Depth=1
	s_waitcnt lgkmcnt(0)
	v_bcnt_u32_b32 v53, v53, v50
	ds_write_b32 v52, v53
.LBB1428_182:                           ;   in Loop: Header=BB1428_172 Depth=1
	s_or_b32 exec_lo, exec_lo, s20
	v_cmp_ne_u32_e64 s20, 0x7fffffff, v150
	; wave barrier
	v_cndmask_b32_e64 v53, 0x80000000, v150, s20
	v_lshrrev_b32_e32 v53, v10, v53
	v_and_b32_e32 v53, v53, v64
	v_and_b32_e32 v54, 1, v53
	v_lshlrev_b32_e32 v55, 30, v53
	v_lshlrev_b32_e32 v65, 29, v53
	;; [unrolled: 1-line block ×4, first 2 shown]
	v_add_co_u32 v54, s20, v54, -1
	v_cndmask_b32_e64 v67, 0, 1, s20
	v_not_b32_e32 v71, v55
	v_cmp_gt_i32_e64 s21, 0, v55
	v_not_b32_e32 v55, v65
	v_lshlrev_b32_e32 v69, 26, v53
	v_cmp_ne_u32_e64 s20, 0, v67
	v_ashrrev_i32_e32 v71, 31, v71
	v_lshlrev_b32_e32 v70, 25, v53
	v_ashrrev_i32_e32 v55, 31, v55
	v_lshlrev_b32_e32 v67, 24, v53
	v_xor_b32_e32 v54, s20, v54
	v_cmp_gt_i32_e64 s20, 0, v65
	v_not_b32_e32 v65, v66
	v_xor_b32_e32 v71, s21, v71
	v_cmp_gt_i32_e64 s21, 0, v66
	v_and_b32_e32 v54, exec_lo, v54
	v_not_b32_e32 v66, v68
	v_ashrrev_i32_e32 v65, 31, v65
	v_xor_b32_e32 v55, s20, v55
	v_cmp_gt_i32_e64 s20, 0, v68
	v_and_b32_e32 v54, v54, v71
	v_not_b32_e32 v68, v69
	v_ashrrev_i32_e32 v66, 31, v66
	v_xor_b32_e32 v65, s21, v65
	v_cmp_gt_i32_e64 s21, 0, v69
	v_and_b32_e32 v54, v54, v55
	;; [unrolled: 5-line block ×3, first 2 shown]
	v_not_b32_e32 v65, v67
	v_ashrrev_i32_e32 v55, 31, v55
	v_xor_b32_e32 v68, s21, v68
	v_lshl_add_u32 v53, v53, 3, v101
	v_and_b32_e32 v54, v54, v66
	v_cmp_gt_i32_e64 s21, 0, v67
	v_ashrrev_i32_e32 v65, 31, v65
	v_xor_b32_e32 v55, s20, v55
	v_lshl_add_u32 v66, v53, 2, v12
	v_and_b32_e32 v54, v54, v68
	v_xor_b32_e32 v65, s21, v65
	ds_read_b32 v53, v66 offset:32
	v_and_b32_e32 v54, v54, v55
	v_add_nc_u32_e32 v55, 32, v66
	; wave barrier
	v_and_b32_e32 v65, v54, v65
	v_mbcnt_lo_u32_b32 v54, v65, 0
	v_cmp_ne_u32_e64 s21, 0, v65
	v_cmp_eq_u32_e64 s20, 0, v54
	s_and_b32 s21, s21, s20
	s_and_saveexec_b32 s20, s21
	s_cbranch_execz .LBB1428_184
; %bb.183:                              ;   in Loop: Header=BB1428_172 Depth=1
	s_waitcnt lgkmcnt(0)
	v_bcnt_u32_b32 v65, v65, v53
	ds_write_b32 v55, v65
.LBB1428_184:                           ;   in Loop: Header=BB1428_172 Depth=1
	s_or_b32 exec_lo, exec_lo, s20
	v_cmp_ne_u32_e64 s20, 0x7fffffff, v149
	; wave barrier
	v_cndmask_b32_e64 v65, 0x80000000, v149, s20
	v_lshrrev_b32_e32 v65, v10, v65
	v_and_b32_e32 v65, v65, v64
	v_and_b32_e32 v66, 1, v65
	v_lshlrev_b32_e32 v67, 30, v65
	v_lshlrev_b32_e32 v68, 29, v65
	;; [unrolled: 1-line block ×4, first 2 shown]
	v_add_co_u32 v66, s20, v66, -1
	v_cndmask_b32_e64 v70, 0, 1, s20
	v_not_b32_e32 v82, v67
	v_cmp_gt_i32_e64 s21, 0, v67
	v_not_b32_e32 v67, v68
	v_lshlrev_b32_e32 v80, 26, v65
	v_cmp_ne_u32_e64 s20, 0, v70
	v_ashrrev_i32_e32 v82, 31, v82
	v_lshlrev_b32_e32 v81, 25, v65
	v_ashrrev_i32_e32 v67, 31, v67
	v_lshlrev_b32_e32 v70, 24, v65
	v_xor_b32_e32 v66, s20, v66
	v_cmp_gt_i32_e64 s20, 0, v68
	v_not_b32_e32 v68, v69
	v_xor_b32_e32 v82, s21, v82
	v_cmp_gt_i32_e64 s21, 0, v69
	v_and_b32_e32 v66, exec_lo, v66
	v_not_b32_e32 v69, v71
	v_ashrrev_i32_e32 v68, 31, v68
	v_xor_b32_e32 v67, s20, v67
	v_cmp_gt_i32_e64 s20, 0, v71
	v_and_b32_e32 v66, v66, v82
	v_not_b32_e32 v71, v80
	v_ashrrev_i32_e32 v69, 31, v69
	v_xor_b32_e32 v68, s21, v68
	v_cmp_gt_i32_e64 s21, 0, v80
	v_and_b32_e32 v66, v66, v67
	;; [unrolled: 5-line block ×3, first 2 shown]
	v_not_b32_e32 v68, v70
	v_ashrrev_i32_e32 v67, 31, v67
	v_xor_b32_e32 v71, s21, v71
	v_lshl_add_u32 v65, v65, 3, v101
	v_and_b32_e32 v66, v66, v69
	v_cmp_gt_i32_e64 s21, 0, v70
	v_ashrrev_i32_e32 v68, 31, v68
	v_xor_b32_e32 v67, s20, v67
	v_lshl_add_u32 v65, v65, 2, v12
	v_and_b32_e32 v66, v66, v71
	v_xor_b32_e32 v68, s21, v68
	ds_read_b32 v82, v65 offset:32
	v_and_b32_e32 v66, v66, v67
	v_add_nc_u32_e32 v65, 32, v65
	; wave barrier
	v_and_b32_e32 v66, v66, v68
	v_mbcnt_lo_u32_b32 v84, v66, 0
	v_cmp_ne_u32_e64 s21, 0, v66
	v_cmp_eq_u32_e64 s20, 0, v84
	s_and_b32 s21, s21, s20
	s_and_saveexec_b32 s20, s21
	s_cbranch_execz .LBB1428_186
; %bb.185:                              ;   in Loop: Header=BB1428_172 Depth=1
	s_waitcnt lgkmcnt(0)
	v_bcnt_u32_b32 v66, v66, v82
	ds_write_b32 v65, v66
.LBB1428_186:                           ;   in Loop: Header=BB1428_172 Depth=1
	s_or_b32 exec_lo, exec_lo, s20
	v_cmp_ne_u32_e64 s20, 0x7fffffff, v148
	; wave barrier
	v_cndmask_b32_e64 v66, 0x80000000, v148, s20
	v_lshrrev_b32_e32 v66, v10, v66
	v_and_b32_e32 v64, v66, v64
	v_and_b32_e32 v66, 1, v64
	v_lshlrev_b32_e32 v67, 30, v64
	v_lshlrev_b32_e32 v68, 29, v64
	;; [unrolled: 1-line block ×4, first 2 shown]
	v_add_co_u32 v66, s20, v66, -1
	v_cndmask_b32_e64 v70, 0, 1, s20
	v_not_b32_e32 v83, v67
	v_cmp_gt_i32_e64 s21, 0, v67
	v_not_b32_e32 v67, v68
	v_lshlrev_b32_e32 v80, 26, v64
	v_cmp_ne_u32_e64 s20, 0, v70
	v_ashrrev_i32_e32 v83, 31, v83
	v_lshlrev_b32_e32 v81, 25, v64
	v_ashrrev_i32_e32 v67, 31, v67
	v_lshlrev_b32_e32 v70, 24, v64
	v_xor_b32_e32 v66, s20, v66
	v_cmp_gt_i32_e64 s20, 0, v68
	v_not_b32_e32 v68, v69
	v_xor_b32_e32 v83, s21, v83
	v_cmp_gt_i32_e64 s21, 0, v69
	v_and_b32_e32 v66, exec_lo, v66
	v_not_b32_e32 v69, v71
	v_ashrrev_i32_e32 v68, 31, v68
	v_xor_b32_e32 v67, s20, v67
	v_cmp_gt_i32_e64 s20, 0, v71
	v_and_b32_e32 v66, v66, v83
	v_not_b32_e32 v71, v80
	v_ashrrev_i32_e32 v69, 31, v69
	v_xor_b32_e32 v68, s21, v68
	v_cmp_gt_i32_e64 s21, 0, v80
	v_and_b32_e32 v66, v66, v67
	v_not_b32_e32 v67, v81
	v_ashrrev_i32_e32 v71, 31, v71
	v_xor_b32_e32 v69, s20, v69
	v_cmp_gt_i32_e64 s20, 0, v81
	v_and_b32_e32 v66, v66, v68
	v_not_b32_e32 v68, v70
	v_ashrrev_i32_e32 v67, 31, v67
	v_xor_b32_e32 v71, s21, v71
	v_lshl_add_u32 v64, v64, 3, v101
	v_and_b32_e32 v66, v66, v69
	v_cmp_gt_i32_e64 s21, 0, v70
	v_ashrrev_i32_e32 v68, 31, v68
	v_xor_b32_e32 v67, s20, v67
	v_lshl_add_u32 v64, v64, 2, v12
	v_and_b32_e32 v66, v66, v71
	v_xor_b32_e32 v68, s21, v68
	ds_read_b32 v164, v64 offset:32
	v_and_b32_e32 v66, v66, v67
	v_add_nc_u32_e32 v64, 32, v64
	; wave barrier
	v_and_b32_e32 v66, v66, v68
	v_mbcnt_lo_u32_b32 v165, v66, 0
	v_cmp_ne_u32_e64 s21, 0, v66
	v_cmp_eq_u32_e64 s20, 0, v165
	s_and_b32 s21, s21, s20
	s_and_saveexec_b32 s20, s21
	s_cbranch_execz .LBB1428_188
; %bb.187:                              ;   in Loop: Header=BB1428_172 Depth=1
	s_waitcnt lgkmcnt(0)
	v_bcnt_u32_b32 v66, v66, v164
	ds_write_b32 v64, v66
.LBB1428_188:                           ;   in Loop: Header=BB1428_172 Depth=1
	s_or_b32 exec_lo, exec_lo, s20
	; wave barrier
	s_waitcnt lgkmcnt(0)
	s_barrier
	buffer_gl0_inv
	ds_read_b32 v67, v25
	ds_read_b32 v68, v86
	;; [unrolled: 1-line block ×8, first 2 shown]
	s_waitcnt lgkmcnt(6)
	v_add_nc_u32_e32 v83, v68, v67
	s_waitcnt lgkmcnt(4)
	v_add3_u32 v83, v83, v69, v70
	s_waitcnt lgkmcnt(2)
	v_add3_u32 v83, v83, v71, v80
	s_waitcnt lgkmcnt(0)
	v_add3_u32 v81, v83, v66, v81
	v_mov_b32_dpp v83, v81 row_shr:1 row_mask:0xf bank_mask:0xf
	v_cndmask_b32_e64 v83, v83, 0, vcc_lo
	v_add_nc_u32_e32 v81, v83, v81
	v_mov_b32_dpp v83, v81 row_shr:2 row_mask:0xf bank_mask:0xf
	v_cndmask_b32_e64 v83, 0, v83, s4
	v_add_nc_u32_e32 v81, v81, v83
	v_mov_b32_dpp v83, v81 row_shr:4 row_mask:0xf bank_mask:0xf
	v_cndmask_b32_e64 v83, 0, v83, s5
	;; [unrolled: 3-line block ×3, first 2 shown]
	v_add_nc_u32_e32 v81, v81, v83
	ds_swizzle_b32 v83, v81 offset:swizzle(BROADCAST,32,15)
	s_waitcnt lgkmcnt(0)
	v_cndmask_b32_e64 v83, v83, 0, s10
	v_add_nc_u32_e32 v81, v81, v83
	s_and_saveexec_b32 s20, s11
; %bb.189:                              ;   in Loop: Header=BB1428_172 Depth=1
	ds_write_b32 v112, v81
; %bb.190:                              ;   in Loop: Header=BB1428_172 Depth=1
	s_or_b32 exec_lo, exec_lo, s20
	s_waitcnt lgkmcnt(0)
	s_barrier
	buffer_gl0_inv
	s_and_saveexec_b32 s20, s14
	s_cbranch_execz .LBB1428_192
; %bb.191:                              ;   in Loop: Header=BB1428_172 Depth=1
	ds_read_b32 v83, v102
	s_waitcnt lgkmcnt(0)
	v_mov_b32_dpp v85, v83 row_shr:1 row_mask:0xf bank_mask:0xf
	v_cndmask_b32_e64 v85, v85, 0, s17
	v_add_nc_u32_e32 v83, v85, v83
	v_mov_b32_dpp v85, v83 row_shr:2 row_mask:0xf bank_mask:0xf
	v_cndmask_b32_e64 v85, 0, v85, s18
	v_add_nc_u32_e32 v83, v83, v85
	;; [unrolled: 3-line block ×3, first 2 shown]
	ds_write_b32 v102, v83
.LBB1428_192:                           ;   in Loop: Header=BB1428_172 Depth=1
	s_or_b32 exec_lo, exec_lo, s20
	v_mov_b32_e32 v83, 0
	s_waitcnt lgkmcnt(0)
	s_barrier
	buffer_gl0_inv
	s_and_saveexec_b32 s20, s15
; %bb.193:                              ;   in Loop: Header=BB1428_172 Depth=1
	ds_read_b32 v83, v114
; %bb.194:                              ;   in Loop: Header=BB1428_172 Depth=1
	s_or_b32 exec_lo, exec_lo, s20
	s_waitcnt lgkmcnt(0)
	v_add_nc_u32_e32 v81, v83, v81
	v_mov_b32_e32 v85, v5
	v_add_nc_u32_e32 v10, 8, v10
	s_mov_b32 s26, -1
	ds_bpermute_b32 v81, v103, v81
	v_cmp_lt_u32_e64 s20, v10, v11
	s_waitcnt lgkmcnt(0)
	v_cndmask_b32_e64 v81, v81, v83, s6
	v_mov_b32_e32 v83, v5
	v_cndmask_b32_e64 v81, v81, 0, s16
	v_add_nc_u32_e32 v67, v81, v67
	v_add_nc_u32_e32 v68, v67, v68
	ds_write_b32 v25, v81
	ds_write_b32 v86, v67
	;; [unrolled: 1-line block ×3, first 2 shown]
	v_mov_b32_e32 v67, v5
	v_add_nc_u32_e32 v69, v68, v69
	v_mov_b32_e32 v81, v5
	v_add_nc_u32_e32 v70, v69, v70
	v_add_nc_u32_e32 v71, v70, v71
	;; [unrolled: 1-line block ×4, first 2 shown]
	ds_write_b32 v96, v69
	ds_write_b32 v97, v70
	;; [unrolled: 1-line block ×5, first 2 shown]
	s_waitcnt lgkmcnt(0)
	s_barrier
	buffer_gl0_inv
	ds_read_b32 v32, v32
	ds_read_b32 v35, v35
	;; [unrolled: 1-line block ×8, first 2 shown]
	v_mov_b32_e32 v71, v5
	v_mov_b32_e32 v65, v5
	;; [unrolled: 1-line block ×3, first 2 shown]
	s_waitcnt lgkmcnt(0)
	v_add_nc_u32_e32 v4, v32, v4
	v_add3_u32 v66, v34, v33, v35
	v_add3_u32 v70, v37, v36, v38
	;; [unrolled: 1-line block ×5, first 2 shown]
	v_lshlrev_b64 v[32:33], 2, v[4:5]
	v_add3_u32 v82, v84, v82, v166
	v_add3_u32 v84, v165, v164, v167
	v_lshlrev_b64 v[33:34], 2, v[66:67]
	v_lshlrev_b64 v[34:35], 2, v[70:71]
	;; [unrolled: 1-line block ×7, first 2 shown]
	v_add_co_u32 v180, null, v12, v32
	v_add_co_u32 v179, null, v12, v33
	;; [unrolled: 1-line block ×8, first 2 shown]
                                        ; implicit-def: $vgpr164
                                        ; implicit-def: $vgpr85
                                        ; implicit-def: $vgpr81
                                        ; implicit-def: $vgpr71
                                        ; implicit-def: $vgpr69
                                        ; implicit-def: $vgpr67
                                        ; implicit-def: $vgpr65
                                        ; implicit-def: $vgpr83
                                        ; implicit-def: $vgpr36_vgpr37
                                        ; implicit-def: $vgpr48_vgpr49
                                        ; implicit-def: $vgpr50_vgpr51
                                        ; implicit-def: $vgpr52_vgpr53
                                        ; implicit-def: $vgpr54_vgpr55
                                        ; implicit-def: $vgpr32_vgpr33
                                        ; implicit-def: $vgpr34_vgpr35
                                        ; implicit-def: $vgpr38_vgpr39
	s_and_saveexec_b32 s21, s20
	s_cbranch_execz .LBB1428_171
; %bb.195:                              ;   in Loop: Header=BB1428_172 Depth=1
	v_lshl_add_u32 v32, v4, 2, v180
	v_lshl_add_u32 v33, v66, 2, v179
	;; [unrolled: 1-line block ×3, first 2 shown]
	s_barrier
	buffer_gl0_inv
	ds_write_b32 v180, v147
	ds_write_b32 v179, v163
	;; [unrolled: 1-line block ×8, first 2 shown]
	s_waitcnt lgkmcnt(0)
	s_barrier
	buffer_gl0_inv
	ds_read_b32 v83, v113
	ds_read_b32 v65, v115
	;; [unrolled: 1-line block ×8, first 2 shown]
	s_waitcnt lgkmcnt(0)
	s_barrier
	buffer_gl0_inv
	ds_write_b64 v32, v[19:20]
	ds_write_b64 v33, v[17:18]
	;; [unrolled: 1-line block ×3, first 2 shown]
	v_lshl_add_u32 v32, v64, 2, v177
	v_lshl_add_u32 v33, v68, 2, v176
	v_lshl_add_u32 v34, v80, 2, v167
	v_lshl_add_u32 v35, v82, 2, v166
	v_lshl_add_u32 v36, v84, 2, v165
	ds_write_b64 v32, v[8:9]
	ds_write_b64 v33, v[13:14]
	ds_write_b64 v34, v[22:23]
	ds_write_b64 v35, v[30:31]
	ds_write_b64 v36, v[28:29]
	s_waitcnt lgkmcnt(0)
	s_barrier
	buffer_gl0_inv
	ds_read_b64 v[36:37], v118
	ds_read_b64 v[48:49], v131
	;; [unrolled: 1-line block ×8, first 2 shown]
	v_add_nc_u32_e32 v146, -8, v146
	s_xor_b32 s26, exec_lo, -1
	s_waitcnt lgkmcnt(0)
	s_barrier
	buffer_gl0_inv
	s_branch .LBB1428_171
.LBB1428_196:
	flat_load_dwordx2 v[68:69], v[4:5]
	s_or_b32 exec_lo, exec_lo, s23
                                        ; implicit-def: $vgpr64_vgpr65
	s_and_saveexec_b32 s23, s4
	s_cbranch_execz .LBB1428_36
.LBB1428_197:
	flat_load_dwordx2 v[64:65], v[4:5] offset:256
	s_or_b32 exec_lo, exec_lo, s23
                                        ; implicit-def: $vgpr66_vgpr67
	s_and_saveexec_b32 s4, s5
	s_cbranch_execz .LBB1428_37
.LBB1428_198:
	flat_load_dwordx2 v[66:67], v[4:5] offset:512
	s_or_b32 exec_lo, exec_lo, s4
                                        ; implicit-def: $vgpr70_vgpr71
	s_and_saveexec_b32 s4, s6
	s_cbranch_execz .LBB1428_38
.LBB1428_199:
	flat_load_dwordx2 v[70:71], v[4:5] offset:768
	s_or_b32 exec_lo, exec_lo, s4
                                        ; implicit-def: $vgpr80_vgpr81
	s_and_saveexec_b32 s4, s7
	s_cbranch_execz .LBB1428_39
.LBB1428_200:
	flat_load_dwordx2 v[80:81], v[4:5] offset:1024
	s_or_b32 exec_lo, exec_lo, s4
                                        ; implicit-def: $vgpr82_vgpr83
	s_and_saveexec_b32 s4, s10
	s_cbranch_execz .LBB1428_40
.LBB1428_201:
	flat_load_dwordx2 v[82:83], v[4:5] offset:1280
	s_or_b32 exec_lo, exec_lo, s4
                                        ; implicit-def: $vgpr84_vgpr85
	s_and_saveexec_b32 s4, s14
	s_cbranch_execz .LBB1428_41
.LBB1428_202:
	flat_load_dwordx2 v[84:85], v[4:5] offset:1536
	s_or_b32 exec_lo, exec_lo, s4
                                        ; implicit-def: $vgpr86_vgpr87
	s_and_saveexec_b32 s4, s17
	s_cbranch_execz .LBB1428_42
.LBB1428_203:
	flat_load_dwordx2 v[86:87], v[4:5] offset:1792
	s_or_b32 exec_lo, exec_lo, s4
                                        ; implicit-def: $vgpr96_vgpr97
	s_and_saveexec_b32 s4, s22
	s_cbranch_execz .LBB1428_43
.LBB1428_204:
	v_add_co_u32 v8, vcc_lo, 0x800, v4
	v_add_co_ci_u32_e64 v9, null, 0, v5, vcc_lo
	flat_load_dwordx2 v[96:97], v[8:9]
	s_or_b32 exec_lo, exec_lo, s4
                                        ; implicit-def: $vgpr98_vgpr99
	s_and_saveexec_b32 s4, s20
	s_cbranch_execz .LBB1428_44
.LBB1428_205:
	v_add_co_u32 v8, vcc_lo, 0x800, v4
	v_add_co_ci_u32_e64 v9, null, 0, v5, vcc_lo
	flat_load_dwordx2 v[98:99], v[8:9] offset:256
	s_or_b32 exec_lo, exec_lo, s4
                                        ; implicit-def: $vgpr100_vgpr101
	s_and_saveexec_b32 s4, s21
	s_cbranch_execz .LBB1428_45
.LBB1428_206:
	v_add_co_u32 v8, vcc_lo, 0x800, v4
	v_add_co_ci_u32_e64 v9, null, 0, v5, vcc_lo
	flat_load_dwordx2 v[100:101], v[8:9] offset:512
	s_or_b32 exec_lo, exec_lo, s4
                                        ; implicit-def: $vgpr102_vgpr103
	s_and_saveexec_b32 s4, s18
	s_cbranch_execz .LBB1428_46
.LBB1428_207:
	v_add_co_u32 v8, vcc_lo, 0x800, v4
	v_add_co_ci_u32_e64 v9, null, 0, v5, vcc_lo
	flat_load_dwordx2 v[102:103], v[8:9] offset:768
	s_or_b32 exec_lo, exec_lo, s4
                                        ; implicit-def: $vgpr112_vgpr113
	s_and_saveexec_b32 s4, s19
	s_cbranch_execz .LBB1428_47
.LBB1428_208:
	v_add_co_u32 v8, vcc_lo, 0x800, v4
	v_add_co_ci_u32_e64 v9, null, 0, v5, vcc_lo
	flat_load_dwordx2 v[112:113], v[8:9] offset:1024
	s_or_b32 exec_lo, exec_lo, s4
                                        ; implicit-def: $vgpr144_vgpr145
	s_and_saveexec_b32 s4, s15
	s_cbranch_execz .LBB1428_48
.LBB1428_209:
	v_add_co_u32 v8, vcc_lo, 0x800, v4
	v_add_co_ci_u32_e64 v9, null, 0, v5, vcc_lo
	flat_load_dwordx2 v[144:145], v[8:9] offset:1280
	s_or_b32 exec_lo, exec_lo, s4
                                        ; implicit-def: $vgpr149_vgpr150
	s_and_saveexec_b32 s4, s16
	s_cbranch_execz .LBB1428_49
.LBB1428_210:
	v_add_co_u32 v8, vcc_lo, 0x800, v4
	v_add_co_ci_u32_e64 v9, null, 0, v5, vcc_lo
	flat_load_dwordx2 v[149:150], v[8:9] offset:1536
	s_or_b32 exec_lo, exec_lo, s4
                                        ; implicit-def: $vgpr160_vgpr161
	s_and_saveexec_b32 s4, s11
	s_cbranch_execnz .LBB1428_50
	s_branch .LBB1428_51
.LBB1428_211:
	flat_store_dwordx2 v[0:1], v[36:37]
	s_or_b32 exec_lo, exec_lo, s23
	s_and_saveexec_b32 s23, s4
	s_cbranch_execz .LBB1428_127
.LBB1428_212:
	v_add_co_u32 v2, vcc_lo, 0x800, v0
	v_add_co_ci_u32_e64 v3, null, 0, v1, vcc_lo
	flat_store_dwordx2 v[2:3], v[38:39]
	s_or_b32 exec_lo, exec_lo, s23
	s_and_saveexec_b32 s4, s5
	s_cbranch_execz .LBB1428_128
.LBB1428_213:
	v_add_co_u32 v2, vcc_lo, 0x1000, v0
	v_add_co_ci_u32_e64 v3, null, 0, v1, vcc_lo
	flat_store_dwordx2 v[2:3], v[32:33]
	s_or_b32 exec_lo, exec_lo, s4
	s_and_saveexec_b32 s4, s6
	s_cbranch_execz .LBB1428_129
.LBB1428_214:
	v_add_co_u32 v2, vcc_lo, 0x1800, v0
	v_add_co_ci_u32_e64 v3, null, 0, v1, vcc_lo
	flat_store_dwordx2 v[2:3], v[34:35]
	s_or_b32 exec_lo, exec_lo, s4
	s_and_saveexec_b32 s4, s7
	s_cbranch_execz .LBB1428_130
.LBB1428_215:
	v_add_co_u32 v2, vcc_lo, 0x2000, v0
	v_add_co_ci_u32_e64 v3, null, 0, v1, vcc_lo
	flat_store_dwordx2 v[2:3], v[28:29]
	s_or_b32 exec_lo, exec_lo, s4
	s_and_saveexec_b32 s4, s10
	s_cbranch_execz .LBB1428_131
.LBB1428_216:
	v_add_co_u32 v2, vcc_lo, 0x2800, v0
	v_add_co_ci_u32_e64 v3, null, 0, v1, vcc_lo
	flat_store_dwordx2 v[2:3], v[30:31]
	s_or_b32 exec_lo, exec_lo, s4
	s_and_saveexec_b32 s4, s11
	s_cbranch_execz .LBB1428_132
.LBB1428_217:
	v_add_co_u32 v2, vcc_lo, 0x3000, v0
	v_add_co_ci_u32_e64 v3, null, 0, v1, vcc_lo
	flat_store_dwordx2 v[2:3], v[24:25]
	s_or_b32 exec_lo, exec_lo, s4
	s_and_saveexec_b32 s4, s14
	s_cbranch_execz .LBB1428_133
.LBB1428_218:
	v_add_co_u32 v2, vcc_lo, 0x3800, v0
	v_add_co_ci_u32_e64 v3, null, 0, v1, vcc_lo
	flat_store_dwordx2 v[2:3], v[26:27]
	s_or_b32 exec_lo, exec_lo, s4
	s_and_saveexec_b32 s4, s15
	s_cbranch_execz .LBB1428_134
.LBB1428_219:
	v_add_co_u32 v2, vcc_lo, 0x4000, v0
	v_add_co_ci_u32_e64 v3, null, 0, v1, vcc_lo
	flat_store_dwordx2 v[2:3], v[20:21]
	s_or_b32 exec_lo, exec_lo, s4
	s_and_saveexec_b32 s4, s16
	s_cbranch_execz .LBB1428_135
.LBB1428_220:
	v_add_co_u32 v2, vcc_lo, 0x4800, v0
	v_add_co_ci_u32_e64 v3, null, 0, v1, vcc_lo
	flat_store_dwordx2 v[2:3], v[22:23]
	s_or_b32 exec_lo, exec_lo, s4
	s_and_saveexec_b32 s4, s17
	s_cbranch_execz .LBB1428_136
.LBB1428_221:
	v_add_co_u32 v2, vcc_lo, 0x5000, v0
	v_add_co_ci_u32_e64 v3, null, 0, v1, vcc_lo
	flat_store_dwordx2 v[2:3], v[16:17]
	s_or_b32 exec_lo, exec_lo, s4
	s_and_saveexec_b32 s4, s18
	s_cbranch_execz .LBB1428_137
.LBB1428_222:
	v_add_co_u32 v2, vcc_lo, 0x5800, v0
	v_add_co_ci_u32_e64 v3, null, 0, v1, vcc_lo
	flat_store_dwordx2 v[2:3], v[18:19]
	s_or_b32 exec_lo, exec_lo, s4
	s_and_saveexec_b32 s4, s19
	s_cbranch_execz .LBB1428_138
.LBB1428_223:
	v_add_co_u32 v2, vcc_lo, 0x6000, v0
	v_add_co_ci_u32_e64 v3, null, 0, v1, vcc_lo
	flat_store_dwordx2 v[2:3], v[12:13]
	s_or_b32 exec_lo, exec_lo, s4
	s_and_saveexec_b32 s4, s20
	s_cbranch_execz .LBB1428_139
.LBB1428_224:
	v_add_co_u32 v2, vcc_lo, 0x6800, v0
	v_add_co_ci_u32_e64 v3, null, 0, v1, vcc_lo
	flat_store_dwordx2 v[2:3], v[14:15]
	s_or_b32 exec_lo, exec_lo, s4
	s_and_saveexec_b32 s4, s21
	s_cbranch_execz .LBB1428_140
.LBB1428_225:
	v_add_co_u32 v2, vcc_lo, 0x7000, v0
	v_add_co_ci_u32_e64 v3, null, 0, v1, vcc_lo
	flat_store_dwordx2 v[2:3], v[8:9]
	s_or_b32 exec_lo, exec_lo, s4
	s_and_saveexec_b32 s4, s22
	s_cbranch_execnz .LBB1428_141
	s_branch .LBB1428_142
.LBB1428_226:
	s_or_b32 exec_lo, exec_lo, s25
	v_lshl_add_u32 v4, v4, 2, v180
	v_lshl_add_u32 v5, v66, 2, v179
	v_lshl_add_u32 v10, v70, 2, v178
	s_barrier
	buffer_gl0_inv
	ds_write_b32 v180, v147
	ds_write_b32 v179, v163
	;; [unrolled: 1-line block ×8, first 2 shown]
	s_waitcnt lgkmcnt(0)
	s_barrier
	buffer_gl0_inv
	ds_read2st64_b32 v[38:39], v102 offset1:4
	ds_read2st64_b32 v[36:37], v102 offset0:8 offset1:12
	ds_read2st64_b32 v[34:35], v102 offset0:16 offset1:20
	;; [unrolled: 1-line block ×3, first 2 shown]
	s_waitcnt lgkmcnt(0)
	s_barrier
	buffer_gl0_inv
	ds_write_b64 v4, v[19:20]
	ds_write_b64 v5, v[17:18]
	v_lshl_add_u32 v4, v64, 2, v177
	v_lshl_add_u32 v5, v68, 2, v176
	ds_write_b64 v10, v[15:16]
	v_lshl_add_u32 v10, v80, 2, v167
	v_lshl_add_u32 v11, v82, 2, v166
	ds_write_b64 v4, v[8:9]
	v_lshl_add_u32 v4, v84, 2, v165
	ds_write_b64 v5, v[13:14]
	ds_write_b64 v10, v[22:23]
	;; [unrolled: 1-line block ×3, first 2 shown]
	v_lshl_add_u32 v5, v21, 3, v12
	v_mov_b32_e32 v25, 0
	v_add_co_u32 v2, vcc_lo, v2, v26
	ds_write_b64 v4, v[28:29]
	s_waitcnt lgkmcnt(0)
	s_barrier
	buffer_gl0_inv
	ds_read2st64_b64 v[20:23], v5 offset1:4
	ds_read2st64_b64 v[16:19], v5 offset0:8 offset1:12
	ds_read2st64_b64 v[12:15], v5 offset0:16 offset1:20
	ds_read2st64_b64 v[8:11], v5 offset0:24 offset1:28
	v_lshlrev_b64 v[4:5], 2, v[24:25]
	v_add_co_ci_u32_e64 v3, null, v3, v27, vcc_lo
	s_waitcnt lgkmcnt(0)
	s_barrier
	buffer_gl0_inv
	v_add_co_u32 v2, vcc_lo, v2, v4
	v_add_co_ci_u32_e64 v3, null, v3, v5, vcc_lo
	v_cmp_lt_u32_e32 vcc_lo, v24, v151
	s_and_saveexec_b32 s5, vcc_lo
	s_cbranch_execz .LBB1428_228
; %bb.227:
	v_cmp_lt_i32_e64 s4, -1, v38
	v_cndmask_b32_e64 v4, 0x80000000, -1, s4
	v_xor_b32_e32 v4, v4, v38
	flat_store_dword v[2:3], v4
.LBB1428_228:
	s_or_b32 exec_lo, exec_lo, s5
	v_add_nc_u32_e32 v4, 0x100, v24
	v_cmp_lt_u32_e64 s4, v4, v151
	s_and_saveexec_b32 s6, s4
	s_cbranch_execz .LBB1428_230
; %bb.229:
	v_cmp_lt_i32_e64 s5, -1, v39
	v_cndmask_b32_e64 v4, 0x80000000, -1, s5
	v_xor_b32_e32 v4, v4, v39
	flat_store_dword v[2:3], v4 offset:1024
.LBB1428_230:
	s_or_b32 exec_lo, exec_lo, s6
	v_add_nc_u32_e32 v4, 0x200, v24
	v_cmp_lt_u32_e64 s5, v4, v151
	s_and_saveexec_b32 s7, s5
	s_cbranch_execz .LBB1428_232
; %bb.231:
	v_cmp_lt_i32_e64 s6, -1, v36
	v_cndmask_b32_e64 v4, 0x80000000, -1, s6
	v_xor_b32_e32 v26, v4, v36
	v_add_co_u32 v4, s6, 0x800, v2
	v_add_co_ci_u32_e64 v5, null, 0, v3, s6
	flat_store_dword v[4:5], v26
.LBB1428_232:
	s_or_b32 exec_lo, exec_lo, s7
	v_add_nc_u32_e32 v4, 0x300, v24
	v_cmp_lt_u32_e64 s6, v4, v151
	s_and_saveexec_b32 s10, s6
	s_cbranch_execz .LBB1428_234
; %bb.233:
	v_cmp_lt_i32_e64 s7, -1, v37
	v_cndmask_b32_e64 v4, 0x80000000, -1, s7
	v_xor_b32_e32 v26, v4, v37
	v_add_co_u32 v4, s7, 0x800, v2
	v_add_co_ci_u32_e64 v5, null, 0, v3, s7
	flat_store_dword v[4:5], v26 offset:1024
.LBB1428_234:
	s_or_b32 exec_lo, exec_lo, s10
	v_add_nc_u32_e32 v4, 0x400, v24
	v_cmp_lt_u32_e64 s7, v4, v151
	s_and_saveexec_b32 s11, s7
	s_cbranch_execz .LBB1428_236
; %bb.235:
	v_cmp_lt_i32_e64 s10, -1, v34
	v_cndmask_b32_e64 v4, 0x80000000, -1, s10
	v_xor_b32_e32 v26, v4, v34
	v_add_co_u32 v4, s10, 0x1000, v2
	v_add_co_ci_u32_e64 v5, null, 0, v3, s10
	flat_store_dword v[4:5], v26
.LBB1428_236:
	s_or_b32 exec_lo, exec_lo, s11
	v_add_nc_u32_e32 v4, 0x500, v24
	v_cmp_lt_u32_e64 s10, v4, v151
	s_and_saveexec_b32 s14, s10
	s_cbranch_execz .LBB1428_238
; %bb.237:
	v_cmp_lt_i32_e64 s11, -1, v35
	v_cndmask_b32_e64 v4, 0x80000000, -1, s11
	v_xor_b32_e32 v26, v4, v35
	v_add_co_u32 v4, s11, 0x1000, v2
	v_add_co_ci_u32_e64 v5, null, 0, v3, s11
	flat_store_dword v[4:5], v26 offset:1024
.LBB1428_238:
	s_or_b32 exec_lo, exec_lo, s14
	v_add_nc_u32_e32 v4, 0x600, v24
	v_cmp_lt_u32_e64 s11, v4, v151
	s_and_saveexec_b32 s15, s11
	s_cbranch_execz .LBB1428_240
; %bb.239:
	v_cmp_lt_i32_e64 s14, -1, v32
	v_cndmask_b32_e64 v4, 0x80000000, -1, s14
	v_xor_b32_e32 v26, v4, v32
	v_add_co_u32 v4, s14, 0x1800, v2
	v_add_co_ci_u32_e64 v5, null, 0, v3, s14
	flat_store_dword v[4:5], v26
.LBB1428_240:
	s_or_b32 exec_lo, exec_lo, s15
	v_add_nc_u32_e32 v4, 0x700, v24
	v_cmp_lt_u32_e64 s14, v4, v151
	s_and_saveexec_b32 s16, s14
	s_cbranch_execz .LBB1428_242
; %bb.241:
	v_cmp_lt_i32_e64 s15, -1, v33
	v_cndmask_b32_e64 v4, 0x80000000, -1, s15
	v_add_co_u32 v2, s15, 0x1800, v2
	v_add_co_ci_u32_e64 v3, null, 0, v3, s15
	v_xor_b32_e32 v4, v4, v33
	flat_store_dword v[2:3], v4 offset:1024
.LBB1428_242:
	s_or_b32 exec_lo, exec_lo, s16
	v_lshlrev_b64 v[2:3], 3, v[24:25]
	v_add_co_u32 v0, s15, v6, v0
	v_add_co_ci_u32_e64 v1, null, v7, v1, s15
	v_add_co_u32 v0, s15, v0, v2
	v_add_co_ci_u32_e64 v1, null, v1, v3, s15
	s_and_saveexec_b32 s15, vcc_lo
	s_cbranch_execnz .LBB1428_292
; %bb.243:
	s_or_b32 exec_lo, exec_lo, s15
	s_and_saveexec_b32 s15, s4
	s_cbranch_execnz .LBB1428_293
.LBB1428_244:
	s_or_b32 exec_lo, exec_lo, s15
	s_and_saveexec_b32 s4, s5
	s_cbranch_execnz .LBB1428_294
.LBB1428_245:
	s_or_b32 exec_lo, exec_lo, s4
	s_and_saveexec_b32 s4, s6
	s_cbranch_execnz .LBB1428_295
.LBB1428_246:
	s_or_b32 exec_lo, exec_lo, s4
	s_and_saveexec_b32 s4, s7
	s_cbranch_execnz .LBB1428_296
.LBB1428_247:
	s_or_b32 exec_lo, exec_lo, s4
	s_and_saveexec_b32 s4, s10
	s_cbranch_execnz .LBB1428_297
.LBB1428_248:
	s_or_b32 exec_lo, exec_lo, s4
	s_and_saveexec_b32 s4, s11
	s_cbranch_execnz .LBB1428_298
.LBB1428_249:
	s_or_b32 exec_lo, exec_lo, s4
	s_and_saveexec_b32 s4, s14
	s_cbranch_execz .LBB1428_251
.LBB1428_250:
	v_add_co_u32 v0, vcc_lo, 0x3800, v0
	v_add_co_ci_u32_e64 v1, null, 0, v1, vcc_lo
	flat_store_dwordx2 v[0:1], v[10:11]
.LBB1428_251:
	s_or_b32 exec_lo, exec_lo, s4
                                        ; implicit-def: $vgpr151
                                        ; implicit-def: $vgpr0
                                        ; implicit-def: $vgpr1
                                        ; implicit-def: $vgpr2
                                        ; implicit-def: $vgpr3
                                        ; implicit-def: $vgpr4
                                        ; implicit-def: $vgpr5
                                        ; implicit-def: $vgpr6
                                        ; implicit-def: $vgpr7
                                        ; implicit-def: $vgpr8
                                        ; implicit-def: $vgpr10
                                        ; implicit-def: $vgpr11
                                        ; implicit-def: $vgpr12
                                        ; implicit-def: $vgpr13
                                        ; implicit-def: $vgpr14
                                        ; implicit-def: $vgpr21
                                        ; implicit-def: $vgpr114
.LBB1428_252:
	s_andn2_saveexec_b32 s4, s22
	s_cbranch_execz .LBB1428_372
; %bb.253:
	s_mov_b32 s4, exec_lo
	v_cmpx_lt_u32_e32 0x200, v151
	s_xor_b32 s22, exec_lo, s4
	s_cbranch_execz .LBB1428_313
; %bb.254:
	s_load_dwordx2 s[4:5], s[8:9], 0x0
	v_mov_b32_e32 v9, 0
	v_lshlrev_b64 v[19:20], 2, v[8:9]
	v_mov_b32_e32 v23, v9
	v_add_co_u32 v24, vcc_lo, v0, v19
	v_add_co_ci_u32_e64 v25, null, v1, v20, vcc_lo
	s_waitcnt lgkmcnt(0)
	s_cmp_lt_u32 s13, s5
	s_cselect_b32 s5, 14, 20
	s_add_u32 s6, s8, s5
	s_addc_u32 s7, s9, 0
	s_cmp_lt_u32 s12, s4
	global_load_ushort v15, v9, s[6:7]
	s_cselect_b32 s4, 12, 18
	s_add_u32 s4, s8, s4
	s_addc_u32 s5, s9, 0
	global_load_ushort v16, v9, s[4:5]
	s_waitcnt vmcnt(1)
	v_mad_u32_u24 v13, v14, v15, v13
	s_waitcnt vmcnt(0)
	v_mad_u64_u32 v[17:18], null, v13, v16, v[21:22]
	v_lshlrev_b32_e32 v16, 2, v114
	v_bfrev_b32_e32 v13, -2
	v_add_co_u32 v16, vcc_lo, v24, v16
	v_lshlrev_b32_e32 v18, 2, v17
	v_add_co_ci_u32_e64 v24, null, 0, v25, vcc_lo
	v_mov_b32_e32 v14, v13
	v_mov_b32_e32 v15, v13
	v_and_b32_e32 v22, 0xffffff80, v18
	v_lshlrev_b64 v[0:1], 2, v[22:23]
	v_or_b32_e32 v18, v22, v114
	v_cmp_lt_u32_e32 vcc_lo, v18, v151
	v_add_co_u32 v0, s4, v16, v0
	v_add_co_ci_u32_e64 v1, null, v24, v1, s4
	v_mov_b32_e32 v16, v13
	s_and_saveexec_b32 s4, vcc_lo
	s_cbranch_execz .LBB1428_256
; %bb.255:
	flat_load_dword v24, v[0:1]
	v_mov_b32_e32 v25, v13
	v_mov_b32_e32 v26, v13
	;; [unrolled: 1-line block ×3, first 2 shown]
	s_waitcnt vmcnt(0) lgkmcnt(0)
	v_mov_b32_e32 v13, v24
	v_mov_b32_e32 v14, v25
	;; [unrolled: 1-line block ×4, first 2 shown]
.LBB1428_256:
	s_or_b32 exec_lo, exec_lo, s4
	v_or_b32_e32 v24, 32, v18
	v_cmp_lt_u32_e64 s4, v24, v151
	s_and_saveexec_b32 s5, s4
	s_cbranch_execz .LBB1428_258
; %bb.257:
	flat_load_dword v14, v[0:1] offset:128
.LBB1428_258:
	s_or_b32 exec_lo, exec_lo, s5
	v_or_b32_e32 v24, 64, v18
	v_cmp_lt_u32_e64 s5, v24, v151
	s_and_saveexec_b32 s6, s5
	s_cbranch_execz .LBB1428_260
; %bb.259:
	flat_load_dword v15, v[0:1] offset:256
.LBB1428_260:
	;; [unrolled: 8-line block ×3, first 2 shown]
	s_or_b32 exec_lo, exec_lo, s7
	v_lshlrev_b64 v[0:1], 3, v[8:9]
	v_lshlrev_b32_e32 v8, 3, v114
                                        ; implicit-def: $vgpr28_vgpr29
	v_add_co_u32 v9, s7, v4, v0
	v_add_co_ci_u32_e64 v18, null, v5, v1, s7
	v_lshlrev_b64 v[4:5], 3, v[22:23]
	v_add_co_u32 v8, s7, v9, v8
	v_add_co_ci_u32_e64 v9, null, 0, v18, s7
	v_add_co_u32 v4, s7, v8, v4
	v_add_co_ci_u32_e64 v5, null, v9, v5, s7
	s_and_saveexec_b32 s7, vcc_lo
	s_cbranch_execnz .LBB1428_337
; %bb.263:
	s_or_b32 exec_lo, exec_lo, s7
                                        ; implicit-def: $vgpr30_vgpr31
	s_and_saveexec_b32 s7, s4
	s_cbranch_execnz .LBB1428_338
.LBB1428_264:
	s_or_b32 exec_lo, exec_lo, s7
                                        ; implicit-def: $vgpr24_vgpr25
	s_and_saveexec_b32 s4, s5
	s_cbranch_execnz .LBB1428_339
.LBB1428_265:
	s_or_b32 exec_lo, exec_lo, s4
                                        ; implicit-def: $vgpr26_vgpr27
	s_and_saveexec_b32 s4, s6
	s_cbranch_execz .LBB1428_267
.LBB1428_266:
	flat_load_dwordx2 v[26:27], v[4:5] offset:768
.LBB1428_267:
	s_or_b32 exec_lo, exec_lo, s4
	v_cmp_lt_i32_e32 vcc_lo, -1, v13
	v_lshl_add_u32 v9, v21, 5, v12
	s_getpc_b64 s[4:5]
	s_add_u32 s4, s4, _ZN7rocprim17ROCPRIM_400000_NS16block_radix_sortIfLj256ELj4ElLj1ELj1ELj8ELNS0_26block_radix_rank_algorithmE2ELNS0_18block_padding_hintE2ELNS0_4arch9wavefront6targetE0EE19radix_bits_per_passE@rel32@lo+4
	s_addc_u32 s5, s5, _ZN7rocprim17ROCPRIM_400000_NS16block_radix_sortIfLj256ELj4ElLj1ELj1ELj8ELNS0_26block_radix_rank_algorithmE2ELNS0_18block_padding_hintE2ELNS0_4arch9wavefront6targetE0EE19radix_bits_per_passE@rel32@hi+12
	v_lshrrev_b32_e32 v53, 5, v17
	s_load_dword s23, s[4:5], 0x0
	v_cndmask_b32_e64 v4, -1, 0x80000000, vcc_lo
	s_waitcnt vmcnt(0) lgkmcnt(0)
	v_cmp_lt_i32_e32 vcc_lo, -1, v14
	v_add_nc_u32_e32 v18, 32, v9
	v_add_nc_u32_e32 v38, 36, v9
	;; [unrolled: 1-line block ×3, first 2 shown]
	v_xor_b32_e32 v87, v4, v13
	v_cndmask_b32_e64 v5, -1, 0x80000000, vcc_lo
	v_cmp_lt_i32_e32 vcc_lo, -1, v15
	v_add_nc_u32_e32 v48, 44, v9
	v_add_nc_u32_e32 v49, 48, v9
	;; [unrolled: 1-line block ×3, first 2 shown]
	v_xor_b32_e32 v33, v5, v14
	v_cndmask_b32_e64 v4, -1, 0x80000000, vcc_lo
	v_cmp_lt_i32_e32 vcc_lo, -1, v16
	v_and_b32_e32 v5, 0x3e0, v21
	v_add_nc_u32_e32 v51, 56, v9
	v_add_nc_u32_e32 v52, 60, v9
	v_xor_b32_e32 v35, v4, v15
	v_cndmask_b32_e64 v8, -1, 0x80000000, vcc_lo
	v_and_b32_e32 v4, 15, v114
	v_min_u32_e32 v5, 0xe0, v5
	v_cmp_lt_u32_e64 s15, 31, v21
	v_cmp_eq_u32_e64 s16, 0, v21
	v_xor_b32_e32 v37, v8, v16
	v_and_b32_e32 v8, 16, v114
	v_cmp_eq_u32_e32 vcc_lo, 0, v4
	v_cmp_lt_u32_e64 s4, 1, v4
	v_cmp_lt_u32_e64 s5, 3, v4
	;; [unrolled: 1-line block ×3, first 2 shown]
	v_cmp_eq_u32_e64 s10, 0, v8
	v_lshlrev_b32_e32 v8, 2, v21
	v_or_b32_e32 v4, 31, v5
	v_sub_co_u32 v5, s7, v114, 1
	v_sub_nc_u32_e32 v82, v11, v10
	v_and_or_b32 v9, 0xf80, v8, v114
	v_cmp_eq_u32_e64 s11, v21, v4
	v_lshrrev_b32_e32 v4, 3, v21
	v_cmp_gt_i32_e64 s14, 0, v5
	v_add_co_u32 v54, null, v12, v8
	v_lshlrev_b32_e32 v9, 2, v9
	v_and_b32_e32 v4, 0x7c, v4
	v_cndmask_b32_e64 v5, v5, v114, s14
	v_cmp_gt_u32_e64 s14, 8, v21
	s_mov_b32 s25, 0
	v_add_nc_u32_e32 v65, v12, v9
	v_add_nc_u32_e32 v64, v12, v4
	v_and_b32_e32 v4, 7, v114
	v_lshlrev_b32_e32 v55, 2, v5
	v_mov_b32_e32 v5, 0
	v_add_nc_u32_e32 v66, v65, v9
	v_add_nc_u32_e32 v67, -4, v64
	v_cmp_eq_u32_e64 s17, 0, v4
	v_cmp_lt_u32_e64 s18, 1, v4
	v_cmp_lt_u32_e64 s19, 3, v4
	v_add_nc_u32_e32 v68, 0x80, v65
	v_add_nc_u32_e32 v69, 0x100, v65
	;; [unrolled: 1-line block ×6, first 2 shown]
	s_waitcnt_vscnt null, 0x0
	s_barrier
	buffer_gl0_inv
	s_branch .LBB1428_269
.LBB1428_268:                           ;   in Loop: Header=BB1428_269 Depth=1
	s_or_b32 exec_lo, exec_lo, s21
	s_and_b32 s20, exec_lo, s26
	s_or_b32 s25, s20, s25
	s_andn2_b32 exec_lo, exec_lo, s25
	s_cbranch_execz .LBB1428_299
.LBB1428_269:                           ; =>This Inner Loop Header: Depth=1
	v_mov_b32_e32 v83, v87
	v_min_u32_e32 v4, s23, v82
	v_mov_b32_e32 v13, v28
	v_mov_b32_e32 v14, v29
	;; [unrolled: 1-line block ×3, first 2 shown]
	v_cmp_ne_u32_e64 s20, 0x7fffffff, v83
	v_lshlrev_b32_e64 v4, v4, -1
	v_mov_b32_e32 v84, v37
	v_mov_b32_e32 v85, v35
	ds_write_b32 v18, v5
	ds_write_b32 v38, v5
	v_cndmask_b32_e64 v8, 0x80000000, v83, s20
	v_not_b32_e32 v32, v4
	ds_write_b32 v39, v5
	ds_write_b32 v48, v5
	;; [unrolled: 1-line block ×4, first 2 shown]
	v_lshrrev_b32_e32 v4, v10, v8
	v_mov_b32_e32 v8, v30
	v_mov_b32_e32 v9, v31
	ds_write_b32 v51, v5
	ds_write_b32 v52, v5
	s_waitcnt lgkmcnt(0)
	v_and_b32_e32 v4, v4, v32
	s_barrier
	buffer_gl0_inv
	; wave barrier
	v_and_b32_e32 v15, 1, v4
	v_lshlrev_b32_e32 v16, 30, v4
	v_lshlrev_b32_e32 v22, 29, v4
	;; [unrolled: 1-line block ×4, first 2 shown]
	v_add_co_u32 v15, s20, v15, -1
	v_cndmask_b32_e64 v28, 0, 1, s20
	v_not_b32_e32 v33, v16
	v_cmp_gt_i32_e64 s21, 0, v16
	v_not_b32_e32 v16, v22
	v_lshlrev_b32_e32 v30, 26, v4
	v_cmp_ne_u32_e64 s20, 0, v28
	v_ashrrev_i32_e32 v33, 31, v33
	v_lshlrev_b32_e32 v31, 25, v4
	v_ashrrev_i32_e32 v16, 31, v16
	v_lshlrev_b32_e32 v28, 24, v4
	v_xor_b32_e32 v15, s20, v15
	v_cmp_gt_i32_e64 s20, 0, v22
	v_not_b32_e32 v22, v23
	v_xor_b32_e32 v33, s21, v33
	v_cmp_gt_i32_e64 s21, 0, v23
	v_and_b32_e32 v15, exec_lo, v15
	v_not_b32_e32 v23, v29
	v_ashrrev_i32_e32 v22, 31, v22
	v_xor_b32_e32 v16, s20, v16
	v_cmp_gt_i32_e64 s20, 0, v29
	v_and_b32_e32 v15, v15, v33
	v_not_b32_e32 v29, v30
	v_ashrrev_i32_e32 v23, 31, v23
	v_xor_b32_e32 v22, s21, v22
	v_cmp_gt_i32_e64 s21, 0, v30
	v_and_b32_e32 v15, v15, v16
	;; [unrolled: 5-line block ×4, first 2 shown]
	v_mov_b32_e32 v22, v24
	v_mov_b32_e32 v23, v25
	v_ashrrev_i32_e32 v24, 31, v30
	v_xor_b32_e32 v25, s20, v16
	v_and_b32_e32 v28, v15, v29
	v_lshl_add_u32 v4, v4, 3, v53
	v_mov_b32_e32 v15, v26
	v_xor_b32_e32 v24, s21, v24
	v_mov_b32_e32 v16, v27
	v_and_b32_e32 v25, v28, v25
	v_lshlrev_b64 v[26:27], 2, v[4:5]
	v_and_b32_e32 v25, v25, v24
	v_add_co_u32 v24, null, v12, v26
	v_mbcnt_lo_u32_b32 v4, v25, 0
	v_cmp_ne_u32_e64 s21, 0, v25
	v_add_co_u32 v24, null, v24, 32
	v_cmp_eq_u32_e64 s20, 0, v4
	s_and_b32 s21, s21, s20
	s_and_saveexec_b32 s20, s21
; %bb.270:                              ;   in Loop: Header=BB1428_269 Depth=1
	v_bcnt_u32_b32 v25, v25, 0
	ds_write_b32 v24, v25
; %bb.271:                              ;   in Loop: Header=BB1428_269 Depth=1
	s_or_b32 exec_lo, exec_lo, s20
	v_cmp_ne_u32_e64 s20, 0x7fffffff, v86
	; wave barrier
	v_cndmask_b32_e64 v25, 0x80000000, v86, s20
	v_lshrrev_b32_e32 v25, v10, v25
	v_and_b32_e32 v25, v25, v32
	v_and_b32_e32 v26, 1, v25
	v_lshlrev_b32_e32 v27, 30, v25
	v_lshlrev_b32_e32 v28, 29, v25
	;; [unrolled: 1-line block ×4, first 2 shown]
	v_add_co_u32 v26, s20, v26, -1
	v_cndmask_b32_e64 v30, 0, 1, s20
	v_not_b32_e32 v35, v27
	v_cmp_gt_i32_e64 s21, 0, v27
	v_not_b32_e32 v27, v28
	v_lshlrev_b32_e32 v33, 26, v25
	v_cmp_ne_u32_e64 s20, 0, v30
	v_ashrrev_i32_e32 v35, 31, v35
	v_lshlrev_b32_e32 v34, 25, v25
	v_ashrrev_i32_e32 v27, 31, v27
	v_lshlrev_b32_e32 v30, 24, v25
	v_xor_b32_e32 v26, s20, v26
	v_cmp_gt_i32_e64 s20, 0, v28
	v_not_b32_e32 v28, v29
	v_xor_b32_e32 v35, s21, v35
	v_cmp_gt_i32_e64 s21, 0, v29
	v_and_b32_e32 v26, exec_lo, v26
	v_not_b32_e32 v29, v31
	v_ashrrev_i32_e32 v28, 31, v28
	v_xor_b32_e32 v27, s20, v27
	v_cmp_gt_i32_e64 s20, 0, v31
	v_and_b32_e32 v26, v26, v35
	v_not_b32_e32 v31, v33
	v_ashrrev_i32_e32 v29, 31, v29
	v_xor_b32_e32 v28, s21, v28
	v_cmp_gt_i32_e64 s21, 0, v33
	v_and_b32_e32 v26, v26, v27
	;; [unrolled: 5-line block ×3, first 2 shown]
	v_not_b32_e32 v28, v30
	v_ashrrev_i32_e32 v27, 31, v27
	v_xor_b32_e32 v31, s21, v31
	v_lshl_add_u32 v25, v25, 3, v53
	v_and_b32_e32 v26, v26, v29
	v_cmp_gt_i32_e64 s21, 0, v30
	v_ashrrev_i32_e32 v28, 31, v28
	v_xor_b32_e32 v27, s20, v27
	v_lshl_add_u32 v29, v25, 2, v12
	v_and_b32_e32 v26, v26, v31
	v_xor_b32_e32 v28, s21, v28
	ds_read_b32 v25, v29 offset:32
	v_and_b32_e32 v26, v26, v27
	v_add_nc_u32_e32 v27, 32, v29
	; wave barrier
	v_and_b32_e32 v28, v26, v28
	v_mbcnt_lo_u32_b32 v26, v28, 0
	v_cmp_ne_u32_e64 s21, 0, v28
	v_cmp_eq_u32_e64 s20, 0, v26
	s_and_b32 s21, s21, s20
	s_and_saveexec_b32 s20, s21
	s_cbranch_execz .LBB1428_273
; %bb.272:                              ;   in Loop: Header=BB1428_269 Depth=1
	s_waitcnt lgkmcnt(0)
	v_bcnt_u32_b32 v28, v28, v25
	ds_write_b32 v27, v28
.LBB1428_273:                           ;   in Loop: Header=BB1428_269 Depth=1
	s_or_b32 exec_lo, exec_lo, s20
	v_cmp_ne_u32_e64 s20, 0x7fffffff, v85
	; wave barrier
	v_cndmask_b32_e64 v28, 0x80000000, v85, s20
	v_lshrrev_b32_e32 v28, v10, v28
	v_and_b32_e32 v28, v28, v32
	v_and_b32_e32 v29, 1, v28
	v_lshlrev_b32_e32 v30, 30, v28
	v_lshlrev_b32_e32 v31, 29, v28
	;; [unrolled: 1-line block ×4, first 2 shown]
	v_add_co_u32 v29, s20, v29, -1
	v_cndmask_b32_e64 v34, 0, 1, s20
	v_not_b32_e32 v87, v30
	v_cmp_gt_i32_e64 s21, 0, v30
	v_not_b32_e32 v30, v31
	v_lshlrev_b32_e32 v36, 26, v28
	v_cmp_ne_u32_e64 s20, 0, v34
	v_ashrrev_i32_e32 v87, 31, v87
	v_lshlrev_b32_e32 v37, 25, v28
	v_ashrrev_i32_e32 v30, 31, v30
	v_lshlrev_b32_e32 v34, 24, v28
	v_xor_b32_e32 v29, s20, v29
	v_cmp_gt_i32_e64 s20, 0, v31
	v_not_b32_e32 v31, v33
	v_xor_b32_e32 v87, s21, v87
	v_cmp_gt_i32_e64 s21, 0, v33
	v_and_b32_e32 v29, exec_lo, v29
	v_not_b32_e32 v33, v35
	v_ashrrev_i32_e32 v31, 31, v31
	v_xor_b32_e32 v30, s20, v30
	v_cmp_gt_i32_e64 s20, 0, v35
	v_and_b32_e32 v29, v29, v87
	v_not_b32_e32 v35, v36
	v_ashrrev_i32_e32 v33, 31, v33
	v_xor_b32_e32 v31, s21, v31
	v_cmp_gt_i32_e64 s21, 0, v36
	v_and_b32_e32 v29, v29, v30
	v_not_b32_e32 v30, v37
	v_ashrrev_i32_e32 v35, 31, v35
	v_xor_b32_e32 v33, s20, v33
	v_cmp_gt_i32_e64 s20, 0, v37
	v_and_b32_e32 v29, v29, v31
	v_not_b32_e32 v31, v34
	v_ashrrev_i32_e32 v30, 31, v30
	v_xor_b32_e32 v35, s21, v35
	v_lshl_add_u32 v28, v28, 3, v53
	v_and_b32_e32 v29, v29, v33
	v_cmp_gt_i32_e64 s21, 0, v34
	v_ashrrev_i32_e32 v31, 31, v31
	v_xor_b32_e32 v30, s20, v30
	v_lshl_add_u32 v33, v28, 2, v12
	v_and_b32_e32 v29, v29, v35
	v_xor_b32_e32 v31, s21, v31
	ds_read_b32 v28, v33 offset:32
	v_and_b32_e32 v29, v29, v30
	v_add_nc_u32_e32 v30, 32, v33
	; wave barrier
	v_and_b32_e32 v31, v29, v31
	v_mbcnt_lo_u32_b32 v29, v31, 0
	v_cmp_ne_u32_e64 s21, 0, v31
	v_cmp_eq_u32_e64 s20, 0, v29
	s_and_b32 s21, s21, s20
	s_and_saveexec_b32 s20, s21
	s_cbranch_execz .LBB1428_275
; %bb.274:                              ;   in Loop: Header=BB1428_269 Depth=1
	s_waitcnt lgkmcnt(0)
	v_bcnt_u32_b32 v31, v31, v28
	ds_write_b32 v30, v31
.LBB1428_275:                           ;   in Loop: Header=BB1428_269 Depth=1
	s_or_b32 exec_lo, exec_lo, s20
	v_cmp_ne_u32_e64 s20, 0x7fffffff, v84
	; wave barrier
	v_cndmask_b32_e64 v31, 0x80000000, v84, s20
	v_lshrrev_b32_e32 v31, v10, v31
	v_and_b32_e32 v31, v31, v32
	v_and_b32_e32 v32, 1, v31
	v_lshlrev_b32_e32 v33, 30, v31
	v_lshlrev_b32_e32 v34, 29, v31
	;; [unrolled: 1-line block ×4, first 2 shown]
	v_add_co_u32 v32, s20, v32, -1
	v_cndmask_b32_e64 v36, 0, 1, s20
	v_not_b32_e32 v97, v33
	v_cmp_gt_i32_e64 s21, 0, v33
	v_not_b32_e32 v33, v34
	v_lshlrev_b32_e32 v87, 26, v31
	v_cmp_ne_u32_e64 s20, 0, v36
	v_ashrrev_i32_e32 v97, 31, v97
	v_lshlrev_b32_e32 v96, 25, v31
	v_ashrrev_i32_e32 v33, 31, v33
	v_lshlrev_b32_e32 v36, 24, v31
	v_xor_b32_e32 v32, s20, v32
	v_cmp_gt_i32_e64 s20, 0, v34
	v_not_b32_e32 v34, v35
	v_xor_b32_e32 v97, s21, v97
	v_cmp_gt_i32_e64 s21, 0, v35
	v_and_b32_e32 v32, exec_lo, v32
	v_not_b32_e32 v35, v37
	v_ashrrev_i32_e32 v34, 31, v34
	v_xor_b32_e32 v33, s20, v33
	v_cmp_gt_i32_e64 s20, 0, v37
	v_and_b32_e32 v32, v32, v97
	v_not_b32_e32 v37, v87
	v_ashrrev_i32_e32 v35, 31, v35
	v_xor_b32_e32 v34, s21, v34
	v_cmp_gt_i32_e64 s21, 0, v87
	v_and_b32_e32 v32, v32, v33
	;; [unrolled: 5-line block ×3, first 2 shown]
	v_not_b32_e32 v34, v36
	v_ashrrev_i32_e32 v33, 31, v33
	v_xor_b32_e32 v37, s21, v37
	v_lshl_add_u32 v31, v31, 3, v53
	v_and_b32_e32 v32, v32, v35
	v_cmp_gt_i32_e64 s21, 0, v36
	v_ashrrev_i32_e32 v34, 31, v34
	v_xor_b32_e32 v33, s20, v33
	v_lshl_add_u32 v35, v31, 2, v12
	v_and_b32_e32 v32, v32, v37
	v_xor_b32_e32 v34, s21, v34
	ds_read_b32 v31, v35 offset:32
	v_and_b32_e32 v32, v32, v33
	; wave barrier
	v_and_b32_e32 v33, v32, v34
	v_add_nc_u32_e32 v32, 32, v35
	v_mbcnt_lo_u32_b32 v36, v33, 0
	v_cmp_ne_u32_e64 s21, 0, v33
	v_cmp_eq_u32_e64 s20, 0, v36
	s_and_b32 s21, s21, s20
	s_and_saveexec_b32 s20, s21
	s_cbranch_execz .LBB1428_277
; %bb.276:                              ;   in Loop: Header=BB1428_269 Depth=1
	s_waitcnt lgkmcnt(0)
	v_bcnt_u32_b32 v33, v33, v31
	ds_write_b32 v32, v33
.LBB1428_277:                           ;   in Loop: Header=BB1428_269 Depth=1
	s_or_b32 exec_lo, exec_lo, s20
	; wave barrier
	s_waitcnt lgkmcnt(0)
	s_barrier
	buffer_gl0_inv
	ds_read_b32 v34, v18
	ds_read_b32 v35, v38
	;; [unrolled: 1-line block ×8, first 2 shown]
	s_waitcnt lgkmcnt(6)
	v_add_nc_u32_e32 v99, v35, v34
	s_waitcnt lgkmcnt(4)
	v_add3_u32 v99, v99, v37, v87
	s_waitcnt lgkmcnt(2)
	v_add3_u32 v99, v99, v96, v97
	;; [unrolled: 2-line block ×3, first 2 shown]
	v_mov_b32_dpp v99, v98 row_shr:1 row_mask:0xf bank_mask:0xf
	v_cndmask_b32_e64 v99, v99, 0, vcc_lo
	v_add_nc_u32_e32 v98, v99, v98
	v_mov_b32_dpp v99, v98 row_shr:2 row_mask:0xf bank_mask:0xf
	v_cndmask_b32_e64 v99, 0, v99, s4
	v_add_nc_u32_e32 v98, v98, v99
	v_mov_b32_dpp v99, v98 row_shr:4 row_mask:0xf bank_mask:0xf
	v_cndmask_b32_e64 v99, 0, v99, s5
	;; [unrolled: 3-line block ×3, first 2 shown]
	v_add_nc_u32_e32 v98, v98, v99
	ds_swizzle_b32 v99, v98 offset:swizzle(BROADCAST,32,15)
	s_waitcnt lgkmcnt(0)
	v_cndmask_b32_e64 v99, v99, 0, s10
	v_add_nc_u32_e32 v98, v98, v99
	s_and_saveexec_b32 s20, s11
; %bb.278:                              ;   in Loop: Header=BB1428_269 Depth=1
	ds_write_b32 v64, v98
; %bb.279:                              ;   in Loop: Header=BB1428_269 Depth=1
	s_or_b32 exec_lo, exec_lo, s20
	s_waitcnt lgkmcnt(0)
	s_barrier
	buffer_gl0_inv
	s_and_saveexec_b32 s20, s14
	s_cbranch_execz .LBB1428_281
; %bb.280:                              ;   in Loop: Header=BB1428_269 Depth=1
	ds_read_b32 v99, v54
	s_waitcnt lgkmcnt(0)
	v_mov_b32_dpp v100, v99 row_shr:1 row_mask:0xf bank_mask:0xf
	v_cndmask_b32_e64 v100, v100, 0, s17
	v_add_nc_u32_e32 v99, v100, v99
	v_mov_b32_dpp v100, v99 row_shr:2 row_mask:0xf bank_mask:0xf
	v_cndmask_b32_e64 v100, 0, v100, s18
	v_add_nc_u32_e32 v99, v99, v100
	;; [unrolled: 3-line block ×3, first 2 shown]
	ds_write_b32 v54, v99
.LBB1428_281:                           ;   in Loop: Header=BB1428_269 Depth=1
	s_or_b32 exec_lo, exec_lo, s20
	v_mov_b32_e32 v99, 0
	s_waitcnt lgkmcnt(0)
	s_barrier
	buffer_gl0_inv
	s_and_saveexec_b32 s20, s15
; %bb.282:                              ;   in Loop: Header=BB1428_269 Depth=1
	ds_read_b32 v99, v67
; %bb.283:                              ;   in Loop: Header=BB1428_269 Depth=1
	s_or_b32 exec_lo, exec_lo, s20
	s_waitcnt lgkmcnt(0)
	v_add_nc_u32_e32 v98, v99, v98
	v_add_nc_u32_e32 v10, 8, v10
	s_mov_b32 s26, -1
	s_mov_b32 s21, exec_lo
	ds_bpermute_b32 v98, v55, v98
	s_waitcnt lgkmcnt(0)
	v_cndmask_b32_e64 v98, v98, v99, s7
	v_cndmask_b32_e64 v98, v98, 0, s16
	v_add_nc_u32_e32 v34, v98, v34
	v_add_nc_u32_e32 v35, v34, v35
	ds_write_b32 v18, v98
	ds_write_b32 v38, v34
	;; [unrolled: 1-line block ×3, first 2 shown]
	v_add_nc_u32_e32 v37, v35, v37
	v_mov_b32_e32 v35, v5
	v_add_nc_u32_e32 v87, v37, v87
	v_add_nc_u32_e32 v96, v87, v96
	;; [unrolled: 1-line block ×4, first 2 shown]
	ds_write_b32 v48, v37
	ds_write_b32 v49, v87
	;; [unrolled: 1-line block ×5, first 2 shown]
	s_waitcnt lgkmcnt(0)
	s_barrier
	buffer_gl0_inv
	ds_read_b32 v24, v24
	ds_read_b32 v27, v27
	;; [unrolled: 1-line block ×4, first 2 shown]
	v_mov_b32_e32 v33, v5
	v_mov_b32_e32 v37, v5
	s_waitcnt lgkmcnt(0)
	v_add_nc_u32_e32 v4, v24, v4
	v_add3_u32 v32, v26, v25, v27
	v_add3_u32 v34, v29, v28, v30
	;; [unrolled: 1-line block ×3, first 2 shown]
                                        ; implicit-def: $vgpr87
                                        ; implicit-def: $vgpr30_vgpr31
	v_lshlrev_b64 v[24:25], 2, v[4:5]
	v_lshlrev_b64 v[25:26], 2, v[32:33]
	v_lshlrev_b64 v[26:27], 2, v[34:35]
	v_lshlrev_b64 v[27:28], 2, v[36:37]
                                        ; implicit-def: $vgpr37
                                        ; implicit-def: $vgpr35
                                        ; implicit-def: $vgpr33
                                        ; implicit-def: $vgpr28_vgpr29
	v_add_co_u32 v99, null, v12, v24
	v_add_co_u32 v98, null, v12, v25
	;; [unrolled: 1-line block ×4, first 2 shown]
                                        ; implicit-def: $vgpr24_vgpr25
                                        ; implicit-def: $vgpr26_vgpr27
	v_cmpx_lt_u32_e64 v10, v11
	s_cbranch_execz .LBB1428_268
; %bb.284:                              ;   in Loop: Header=BB1428_269 Depth=1
	v_lshl_add_u32 v24, v4, 2, v99
	v_lshl_add_u32 v25, v32, 2, v98
	;; [unrolled: 1-line block ×4, first 2 shown]
	s_barrier
	buffer_gl0_inv
	ds_write_b32 v99, v83
	ds_write_b32 v98, v86
	;; [unrolled: 1-line block ×4, first 2 shown]
	s_waitcnt lgkmcnt(0)
	s_barrier
	buffer_gl0_inv
	ds_read_b32 v87, v65
	ds_read_b32 v33, v68
	;; [unrolled: 1-line block ×4, first 2 shown]
	s_waitcnt lgkmcnt(0)
	s_barrier
	buffer_gl0_inv
	ds_write_b64 v24, v[13:14]
	ds_write_b64 v25, v[8:9]
	;; [unrolled: 1-line block ×4, first 2 shown]
	s_waitcnt lgkmcnt(0)
	s_barrier
	buffer_gl0_inv
	ds_read_b64 v[28:29], v66
	ds_read_b64 v[30:31], v71
	;; [unrolled: 1-line block ×4, first 2 shown]
	v_add_nc_u32_e32 v82, -8, v82
	s_xor_b32 s26, exec_lo, -1
	s_waitcnt lgkmcnt(0)
	s_barrier
	buffer_gl0_inv
	s_branch .LBB1428_268
.LBB1428_285:
	flat_load_dwordx2 v[36:37], v[4:5]
	s_or_b32 exec_lo, exec_lo, s15
                                        ; implicit-def: $vgpr48_vgpr49
	s_and_saveexec_b32 s15, s4
	s_cbranch_execz .LBB1428_163
.LBB1428_286:
	flat_load_dwordx2 v[48:49], v[4:5] offset:256
	s_or_b32 exec_lo, exec_lo, s15
                                        ; implicit-def: $vgpr50_vgpr51
	s_and_saveexec_b32 s4, s5
	s_cbranch_execz .LBB1428_164
.LBB1428_287:
	flat_load_dwordx2 v[50:51], v[4:5] offset:512
	s_or_b32 exec_lo, exec_lo, s4
                                        ; implicit-def: $vgpr52_vgpr53
	s_and_saveexec_b32 s4, s6
	s_cbranch_execz .LBB1428_165
.LBB1428_288:
	flat_load_dwordx2 v[52:53], v[4:5] offset:768
	s_or_b32 exec_lo, exec_lo, s4
                                        ; implicit-def: $vgpr54_vgpr55
	s_and_saveexec_b32 s4, s7
	s_cbranch_execz .LBB1428_166
.LBB1428_289:
	flat_load_dwordx2 v[54:55], v[4:5] offset:1024
	s_or_b32 exec_lo, exec_lo, s4
                                        ; implicit-def: $vgpr32_vgpr33
	s_and_saveexec_b32 s4, s10
	s_cbranch_execz .LBB1428_167
.LBB1428_290:
	flat_load_dwordx2 v[32:33], v[4:5] offset:1280
	s_or_b32 exec_lo, exec_lo, s4
                                        ; implicit-def: $vgpr34_vgpr35
	s_and_saveexec_b32 s4, s11
	s_cbranch_execz .LBB1428_168
.LBB1428_291:
	flat_load_dwordx2 v[34:35], v[4:5] offset:1536
	s_or_b32 exec_lo, exec_lo, s4
                                        ; implicit-def: $vgpr38_vgpr39
	s_and_saveexec_b32 s4, s14
	s_cbranch_execnz .LBB1428_169
	s_branch .LBB1428_170
.LBB1428_292:
	flat_store_dwordx2 v[0:1], v[20:21]
	s_or_b32 exec_lo, exec_lo, s15
	s_and_saveexec_b32 s15, s4
	s_cbranch_execz .LBB1428_244
.LBB1428_293:
	v_add_co_u32 v2, vcc_lo, 0x800, v0
	v_add_co_ci_u32_e64 v3, null, 0, v1, vcc_lo
	flat_store_dwordx2 v[2:3], v[22:23]
	s_or_b32 exec_lo, exec_lo, s15
	s_and_saveexec_b32 s4, s5
	s_cbranch_execz .LBB1428_245
.LBB1428_294:
	v_add_co_u32 v2, vcc_lo, 0x1000, v0
	v_add_co_ci_u32_e64 v3, null, 0, v1, vcc_lo
	flat_store_dwordx2 v[2:3], v[16:17]
	s_or_b32 exec_lo, exec_lo, s4
	s_and_saveexec_b32 s4, s6
	s_cbranch_execz .LBB1428_246
.LBB1428_295:
	v_add_co_u32 v2, vcc_lo, 0x1800, v0
	v_add_co_ci_u32_e64 v3, null, 0, v1, vcc_lo
	flat_store_dwordx2 v[2:3], v[18:19]
	s_or_b32 exec_lo, exec_lo, s4
	s_and_saveexec_b32 s4, s7
	s_cbranch_execz .LBB1428_247
.LBB1428_296:
	v_add_co_u32 v2, vcc_lo, 0x2000, v0
	v_add_co_ci_u32_e64 v3, null, 0, v1, vcc_lo
	flat_store_dwordx2 v[2:3], v[12:13]
	s_or_b32 exec_lo, exec_lo, s4
	s_and_saveexec_b32 s4, s10
	s_cbranch_execz .LBB1428_248
.LBB1428_297:
	v_add_co_u32 v2, vcc_lo, 0x2800, v0
	v_add_co_ci_u32_e64 v3, null, 0, v1, vcc_lo
	flat_store_dwordx2 v[2:3], v[14:15]
	s_or_b32 exec_lo, exec_lo, s4
	s_and_saveexec_b32 s4, s11
	s_cbranch_execz .LBB1428_249
.LBB1428_298:
	v_add_co_u32 v2, vcc_lo, 0x3000, v0
	v_add_co_ci_u32_e64 v3, null, 0, v1, vcc_lo
	flat_store_dwordx2 v[2:3], v[8:9]
	s_or_b32 exec_lo, exec_lo, s4
	s_and_saveexec_b32 s4, s14
	s_cbranch_execnz .LBB1428_250
	s_branch .LBB1428_251
.LBB1428_299:
	s_or_b32 exec_lo, exec_lo, s25
	v_lshl_add_u32 v4, v4, 2, v99
	v_lshl_add_u32 v5, v32, 2, v98
	;; [unrolled: 1-line block ×3, first 2 shown]
	s_barrier
	buffer_gl0_inv
	ds_write_b32 v99, v83
	ds_write_b32 v98, v86
	;; [unrolled: 1-line block ×4, first 2 shown]
	s_waitcnt lgkmcnt(0)
	s_barrier
	buffer_gl0_inv
	ds_read2st64_b32 v[26:27], v54 offset1:4
	ds_read2st64_b32 v[24:25], v54 offset0:8 offset1:12
	s_waitcnt lgkmcnt(0)
	s_barrier
	buffer_gl0_inv
	v_lshl_add_u32 v11, v36, 2, v96
	ds_write_b64 v4, v[13:14]
	ds_write_b64 v5, v[8:9]
	;; [unrolled: 1-line block ×3, first 2 shown]
	v_lshl_add_u32 v4, v21, 3, v12
	v_mov_b32_e32 v18, 0
	v_add_co_u32 v2, vcc_lo, v2, v19
	ds_write_b64 v11, v[15:16]
	s_waitcnt lgkmcnt(0)
	s_barrier
	buffer_gl0_inv
	ds_read2st64_b64 v[12:15], v4 offset1:4
	ds_read2st64_b64 v[8:11], v4 offset0:8 offset1:12
	v_lshlrev_b64 v[4:5], 2, v[17:18]
	v_add_co_ci_u32_e64 v3, null, v3, v20, vcc_lo
	s_waitcnt lgkmcnt(0)
	s_barrier
	buffer_gl0_inv
	v_add_co_u32 v2, vcc_lo, v2, v4
	v_add_co_ci_u32_e64 v3, null, v3, v5, vcc_lo
	v_cmp_lt_u32_e32 vcc_lo, v17, v151
	s_and_saveexec_b32 s5, vcc_lo
	s_cbranch_execz .LBB1428_301
; %bb.300:
	v_cmp_lt_i32_e64 s4, -1, v26
	v_cndmask_b32_e64 v4, 0x80000000, -1, s4
	v_xor_b32_e32 v4, v4, v26
	flat_store_dword v[2:3], v4
.LBB1428_301:
	s_or_b32 exec_lo, exec_lo, s5
	v_add_nc_u32_e32 v4, 0x100, v17
	v_cmp_lt_u32_e64 s4, v4, v151
	s_and_saveexec_b32 s6, s4
	s_cbranch_execz .LBB1428_303
; %bb.302:
	v_cmp_lt_i32_e64 s5, -1, v27
	v_cndmask_b32_e64 v4, 0x80000000, -1, s5
	v_xor_b32_e32 v4, v4, v27
	flat_store_dword v[2:3], v4 offset:1024
.LBB1428_303:
	s_or_b32 exec_lo, exec_lo, s6
	v_add_nc_u32_e32 v4, 0x200, v17
	v_cmp_lt_u32_e64 s5, v4, v151
	s_and_saveexec_b32 s7, s5
	s_cbranch_execz .LBB1428_305
; %bb.304:
	v_cmp_lt_i32_e64 s6, -1, v24
	v_cndmask_b32_e64 v4, 0x80000000, -1, s6
	v_xor_b32_e32 v16, v4, v24
	v_add_co_u32 v4, s6, 0x800, v2
	v_add_co_ci_u32_e64 v5, null, 0, v3, s6
	flat_store_dword v[4:5], v16
.LBB1428_305:
	s_or_b32 exec_lo, exec_lo, s7
	v_add_nc_u32_e32 v4, 0x300, v17
	v_cmp_lt_u32_e64 s6, v4, v151
	s_and_saveexec_b32 s10, s6
	s_cbranch_execz .LBB1428_307
; %bb.306:
	v_cmp_lt_i32_e64 s7, -1, v25
	v_cndmask_b32_e64 v4, 0x80000000, -1, s7
	v_add_co_u32 v2, s7, 0x800, v2
	v_add_co_ci_u32_e64 v3, null, 0, v3, s7
	v_xor_b32_e32 v4, v4, v25
	flat_store_dword v[2:3], v4 offset:1024
.LBB1428_307:
	s_or_b32 exec_lo, exec_lo, s10
	v_lshlrev_b64 v[2:3], 3, v[17:18]
	v_add_co_u32 v0, s7, v6, v0
	v_add_co_ci_u32_e64 v1, null, v7, v1, s7
	v_add_co_u32 v0, s7, v0, v2
	v_add_co_ci_u32_e64 v1, null, v1, v3, s7
	s_and_saveexec_b32 s7, vcc_lo
	s_cbranch_execnz .LBB1428_340
; %bb.308:
	s_or_b32 exec_lo, exec_lo, s7
	s_and_saveexec_b32 s7, s4
	s_cbranch_execnz .LBB1428_341
.LBB1428_309:
	s_or_b32 exec_lo, exec_lo, s7
	s_and_saveexec_b32 s4, s5
	s_cbranch_execnz .LBB1428_342
.LBB1428_310:
	s_or_b32 exec_lo, exec_lo, s4
	s_and_saveexec_b32 s4, s6
	s_cbranch_execz .LBB1428_312
.LBB1428_311:
	v_add_co_u32 v0, vcc_lo, 0x1800, v0
	v_add_co_ci_u32_e64 v1, null, 0, v1, vcc_lo
	flat_store_dwordx2 v[0:1], v[10:11]
.LBB1428_312:
	s_or_b32 exec_lo, exec_lo, s4
                                        ; implicit-def: $vgpr151
                                        ; implicit-def: $vgpr0
                                        ; implicit-def: $vgpr1
                                        ; implicit-def: $vgpr2
                                        ; implicit-def: $vgpr3
                                        ; implicit-def: $vgpr4
                                        ; implicit-def: $vgpr5
                                        ; implicit-def: $vgpr6
                                        ; implicit-def: $vgpr7
                                        ; implicit-def: $vgpr8
                                        ; implicit-def: $vgpr10
                                        ; implicit-def: $vgpr11
                                        ; implicit-def: $vgpr12
                                        ; implicit-def: $vgpr13
                                        ; implicit-def: $vgpr14
                                        ; implicit-def: $vgpr21
                                        ; implicit-def: $vgpr114
.LBB1428_313:
	s_andn2_saveexec_b32 s4, s22
	s_cbranch_execz .LBB1428_372
; %bb.314:
	s_load_dwordx2 s[4:5], s[8:9], 0x0
	v_mov_b32_e32 v9, 0
	s_waitcnt lgkmcnt(0)
	s_cmp_lt_u32 s13, s5
	s_cselect_b32 s5, 14, 20
	s_add_u32 s6, s8, s5
	s_addc_u32 s7, s9, 0
	s_cmp_lt_u32 s12, s4
	global_load_ushort v15, v9, s[6:7]
	s_cselect_b32 s4, 12, 18
	s_add_u32 s4, s8, s4
	s_addc_u32 s5, s9, 0
	global_load_ushort v16, v9, s[4:5]
	s_mov_b32 s4, exec_lo
	s_waitcnt vmcnt(1)
	v_mad_u32_u24 v13, v14, v15, v13
	s_waitcnt vmcnt(0)
	v_mad_u64_u32 v[13:14], null, v13, v16, v[21:22]
	v_lshlrev_b64 v[15:16], 2, v[8:9]
	v_cmpx_lt_u32_e32 0x100, v151
	s_xor_b32 s18, exec_lo, s4
	s_cbranch_execz .LBB1428_352
; %bb.315:
	v_lshlrev_b32_e32 v14, 1, v13
	v_mov_b32_e32 v20, v9
	v_lshlrev_b32_e32 v18, 2, v114
	v_bfrev_b32_e32 v17, -2
	v_and_b32_e32 v19, 0xffffffc0, v14
	v_add_co_u32 v14, vcc_lo, v0, v15
	v_add_co_ci_u32_e64 v22, null, v1, v16, vcc_lo
	v_lshlrev_b64 v[0:1], 2, v[19:20]
	v_add_co_u32 v18, vcc_lo, v14, v18
	v_add_co_ci_u32_e64 v22, null, 0, v22, vcc_lo
	v_or_b32_e32 v14, v114, v19
	v_add_co_u32 v0, vcc_lo, v18, v0
	v_add_co_ci_u32_e64 v1, null, v22, v1, vcc_lo
	v_cmp_lt_u32_e32 vcc_lo, v14, v151
	v_mov_b32_e32 v18, v17
	s_and_saveexec_b32 s4, vcc_lo
	s_cbranch_execz .LBB1428_317
; %bb.316:
	flat_load_dword v22, v[0:1]
	v_mov_b32_e32 v23, v17
	s_waitcnt vmcnt(0) lgkmcnt(0)
	v_mov_b32_e32 v17, v22
	v_mov_b32_e32 v18, v23
.LBB1428_317:
	s_or_b32 exec_lo, exec_lo, s4
	v_or_b32_e32 v14, 32, v14
	v_cmp_lt_u32_e64 s4, v14, v151
	s_and_saveexec_b32 s5, s4
	s_cbranch_execz .LBB1428_319
; %bb.318:
	flat_load_dword v18, v[0:1] offset:128
.LBB1428_319:
	s_or_b32 exec_lo, exec_lo, s5
	v_lshlrev_b64 v[0:1], 3, v[8:9]
	v_lshlrev_b32_e32 v14, 3, v114
	v_lshlrev_b64 v[8:9], 3, v[19:20]
	v_mov_b32_e32 v22, 0
	v_mov_b32_e32 v19, 0
	;; [unrolled: 1-line block ×3, first 2 shown]
	v_add_co_u32 v4, s5, v4, v0
	v_add_co_ci_u32_e64 v5, null, v5, v1, s5
	v_mov_b32_e32 v20, 0
	v_add_co_u32 v4, s5, v4, v14
	v_add_co_ci_u32_e64 v5, null, 0, v5, s5
	v_add_co_u32 v4, s5, v4, v8
	v_add_co_ci_u32_e64 v5, null, v5, v9, s5
	s_and_saveexec_b32 s5, vcc_lo
	s_cbranch_execz .LBB1428_321
; %bb.320:
	flat_load_dwordx2 v[19:20], v[4:5]
.LBB1428_321:
	s_or_b32 exec_lo, exec_lo, s5
	s_and_saveexec_b32 s5, s4
	s_cbranch_execz .LBB1428_323
; %bb.322:
	flat_load_dwordx2 v[22:23], v[4:5] offset:256
.LBB1428_323:
	s_or_b32 exec_lo, exec_lo, s5
	v_cmp_lt_i32_e32 vcc_lo, -1, v17
	v_lshl_add_u32 v8, v21, 5, v12
	s_getpc_b64 s[4:5]
	s_add_u32 s4, s4, _ZN7rocprim17ROCPRIM_400000_NS16block_radix_sortIfLj256ELj2ElLj1ELj1ELj8ELNS0_26block_radix_rank_algorithmE2ELNS0_18block_padding_hintE2ELNS0_4arch9wavefront6targetE0EE19radix_bits_per_passE@rel32@lo+4
	s_addc_u32 s5, s5, _ZN7rocprim17ROCPRIM_400000_NS16block_radix_sortIfLj256ELj2ElLj1ELj1ELj8ELNS0_26block_radix_rank_algorithmE2ELNS0_18block_padding_hintE2ELNS0_4arch9wavefront6targetE0EE19radix_bits_per_passE@rel32@hi+12
	v_and_b32_e32 v9, 7, v114
	s_load_dword s19, s[4:5], 0x0
	v_cndmask_b32_e64 v4, -1, 0x80000000, vcc_lo
	s_waitcnt vmcnt(0) lgkmcnt(0)
	v_cmp_lt_i32_e32 vcc_lo, -1, v18
	v_add_nc_u32_e32 v14, 32, v8
	v_add_nc_u32_e32 v26, 36, v8
	v_add_nc_u32_e32 v27, 40, v8
	v_add_nc_u32_e32 v28, 44, v8
	v_cndmask_b32_e64 v5, -1, 0x80000000, vcc_lo
	v_add_nc_u32_e32 v29, 48, v8
	v_add_nc_u32_e32 v30, 52, v8
	;; [unrolled: 1-line block ×4, first 2 shown]
	v_xor_b32_e32 v25, v5, v18
	v_and_b32_e32 v5, 0x3e0, v21
	v_and_b32_e32 v8, 16, v114
	v_xor_b32_e32 v53, v4, v17
	v_and_b32_e32 v4, 15, v114
	v_lshrrev_b32_e32 v33, 5, v13
	v_min_u32_e32 v5, 0xe0, v5
	v_cmp_eq_u32_e64 s8, 0, v8
	v_lshlrev_b32_e32 v8, 1, v21
	v_cmp_eq_u32_e32 vcc_lo, 0, v4
	v_cmp_lt_u32_e64 s4, 1, v4
	v_cmp_lt_u32_e64 s5, 3, v4
	;; [unrolled: 1-line block ×3, first 2 shown]
	v_or_b32_e32 v4, 31, v5
	v_and_or_b32 v8, 0x7c0, v8, v114
	v_sub_co_u32 v5, s7, v114, 1
	v_cmp_lt_u32_e64 s11, 31, v21
	v_cmp_eq_u32_e64 s9, v21, v4
	v_lshrrev_b32_e32 v4, 3, v21
	v_lshlrev_b32_e32 v8, 2, v8
	v_cmp_gt_i32_e64 s10, 0, v5
	v_cmp_eq_u32_e64 s12, 0, v21
	v_cmp_eq_u32_e64 s13, 0, v9
	v_and_b32_e32 v4, 0x7c, v4
	v_add_nc_u32_e32 v37, v12, v8
	v_cndmask_b32_e64 v5, v5, v114, s10
	v_cmp_gt_u32_e64 s10, 8, v21
	v_cmp_lt_u32_e64 s14, 1, v9
	v_add_nc_u32_e32 v36, v12, v4
	v_lshlrev_b32_e32 v4, 2, v21
	v_add_nc_u32_e32 v38, v37, v8
	v_lshlrev_b32_e32 v35, 2, v5
	v_mov_b32_e32 v5, 0
	v_cmp_lt_u32_e64 s15, 3, v9
	v_add_co_u32 v34, null, v12, v4
	v_add_nc_u32_e32 v39, -4, v36
	v_add_nc_u32_e32 v48, 0x80, v37
	v_add_nc_u32_e32 v49, 0x100, v38
	v_sub_nc_u32_e32 v50, v11, v10
	s_mov_b32 s20, 0
	s_waitcnt_vscnt null, 0x0
	s_barrier
	buffer_gl0_inv
	s_branch .LBB1428_325
.LBB1428_324:                           ;   in Loop: Header=BB1428_325 Depth=1
	s_or_b32 exec_lo, exec_lo, s17
	s_and_b32 s16, exec_lo, s21
	s_or_b32 s20, s16, s20
	s_andn2_b32 exec_lo, exec_lo, s20
	s_cbranch_execz .LBB1428_343
.LBB1428_325:                           ; =>This Inner Loop Header: Depth=1
	v_mov_b32_e32 v51, v53
	v_min_u32_e32 v4, s19, v50
	v_mov_b32_e32 v52, v25
	ds_write_b32 v14, v5
	ds_write_b32 v26, v5
	;; [unrolled: 1-line block ×3, first 2 shown]
	v_cmp_ne_u32_e64 s16, 0x7fffffff, v51
	v_lshlrev_b32_e64 v4, v4, -1
	ds_write_b32 v28, v5
	ds_write_b32 v29, v5
	;; [unrolled: 1-line block ×5, first 2 shown]
	v_cndmask_b32_e64 v8, 0x80000000, v51, s16
	v_not_b32_e32 v24, v4
	s_waitcnt lgkmcnt(0)
	s_barrier
	buffer_gl0_inv
	v_lshrrev_b32_e32 v4, v10, v8
	; wave barrier
	v_and_b32_e32 v4, v4, v24
	v_and_b32_e32 v8, 1, v4
	v_lshlrev_b32_e32 v9, 30, v4
	v_lshlrev_b32_e32 v17, 29, v4
	;; [unrolled: 1-line block ×4, first 2 shown]
	v_add_co_u32 v8, s16, v8, -1
	v_cndmask_b32_e64 v25, 0, 1, s16
	v_not_b32_e32 v64, v9
	v_cmp_gt_i32_e64 s17, 0, v9
	v_not_b32_e32 v9, v17
	v_lshlrev_b32_e32 v54, 26, v4
	v_cmp_ne_u32_e64 s16, 0, v25
	v_ashrrev_i32_e32 v64, 31, v64
	v_lshlrev_b32_e32 v55, 25, v4
	v_ashrrev_i32_e32 v9, 31, v9
	v_lshlrev_b32_e32 v25, 24, v4
	v_xor_b32_e32 v8, s16, v8
	v_cmp_gt_i32_e64 s16, 0, v17
	v_not_b32_e32 v17, v18
	v_xor_b32_e32 v64, s17, v64
	v_cmp_gt_i32_e64 s17, 0, v18
	v_and_b32_e32 v8, exec_lo, v8
	v_not_b32_e32 v18, v53
	v_ashrrev_i32_e32 v17, 31, v17
	v_xor_b32_e32 v9, s16, v9
	v_cmp_gt_i32_e64 s16, 0, v53
	v_and_b32_e32 v8, v8, v64
	v_not_b32_e32 v53, v54
	v_ashrrev_i32_e32 v18, 31, v18
	v_xor_b32_e32 v17, s17, v17
	v_cmp_gt_i32_e64 s17, 0, v54
	v_and_b32_e32 v8, v8, v9
	;; [unrolled: 5-line block ×4, first 2 shown]
	v_mov_b32_e32 v8, v22
	v_mov_b32_e32 v9, v23
	v_ashrrev_i32_e32 v22, 31, v17
	v_xor_b32_e32 v23, s16, v54
	v_and_b32_e32 v25, v18, v53
	v_mov_b32_e32 v17, v19
	v_mov_b32_e32 v18, v20
	v_xor_b32_e32 v19, s17, v22
	v_lshl_add_u32 v4, v4, 3, v33
	v_and_b32_e32 v20, v25, v23
	v_lshlrev_b64 v[22:23], 2, v[4:5]
	v_and_b32_e32 v20, v20, v19
	v_add_co_u32 v19, null, v12, v22
	v_mbcnt_lo_u32_b32 v4, v20, 0
	v_cmp_ne_u32_e64 s17, 0, v20
	v_add_co_u32 v19, null, v19, 32
	v_cmp_eq_u32_e64 s16, 0, v4
	s_and_b32 s17, s17, s16
	s_and_saveexec_b32 s16, s17
; %bb.326:                              ;   in Loop: Header=BB1428_325 Depth=1
	v_bcnt_u32_b32 v20, v20, 0
	ds_write_b32 v19, v20
; %bb.327:                              ;   in Loop: Header=BB1428_325 Depth=1
	s_or_b32 exec_lo, exec_lo, s16
	v_cmp_ne_u32_e64 s16, 0x7fffffff, v52
	; wave barrier
	v_cndmask_b32_e64 v20, 0x80000000, v52, s16
	v_lshrrev_b32_e32 v20, v10, v20
	v_and_b32_e32 v20, v20, v24
	v_and_b32_e32 v22, 1, v20
	v_lshlrev_b32_e32 v23, 30, v20
	v_lshlrev_b32_e32 v24, 29, v20
	;; [unrolled: 1-line block ×4, first 2 shown]
	v_add_co_u32 v22, s16, v22, -1
	v_cndmask_b32_e64 v53, 0, 1, s16
	v_not_b32_e32 v65, v23
	v_cmp_gt_i32_e64 s17, 0, v23
	v_not_b32_e32 v23, v24
	v_lshlrev_b32_e32 v55, 26, v20
	v_cmp_ne_u32_e64 s16, 0, v53
	v_ashrrev_i32_e32 v65, 31, v65
	v_lshlrev_b32_e32 v64, 25, v20
	v_ashrrev_i32_e32 v23, 31, v23
	v_lshlrev_b32_e32 v53, 24, v20
	v_xor_b32_e32 v22, s16, v22
	v_cmp_gt_i32_e64 s16, 0, v24
	v_not_b32_e32 v24, v25
	v_xor_b32_e32 v65, s17, v65
	v_cmp_gt_i32_e64 s17, 0, v25
	v_and_b32_e32 v22, exec_lo, v22
	v_not_b32_e32 v25, v54
	v_ashrrev_i32_e32 v24, 31, v24
	v_xor_b32_e32 v23, s16, v23
	v_cmp_gt_i32_e64 s16, 0, v54
	v_and_b32_e32 v22, v22, v65
	v_not_b32_e32 v54, v55
	v_ashrrev_i32_e32 v25, 31, v25
	v_xor_b32_e32 v24, s17, v24
	v_cmp_gt_i32_e64 s17, 0, v55
	v_and_b32_e32 v22, v22, v23
	;; [unrolled: 5-line block ×3, first 2 shown]
	v_not_b32_e32 v24, v53
	v_ashrrev_i32_e32 v23, 31, v23
	v_xor_b32_e32 v54, s17, v54
	v_lshl_add_u32 v20, v20, 3, v33
	v_and_b32_e32 v22, v22, v25
	v_cmp_gt_i32_e64 s17, 0, v53
	v_ashrrev_i32_e32 v24, 31, v24
	v_xor_b32_e32 v23, s16, v23
	v_lshl_add_u32 v25, v20, 2, v12
	v_and_b32_e32 v22, v22, v54
	v_xor_b32_e32 v24, s17, v24
	ds_read_b32 v20, v25 offset:32
	v_and_b32_e32 v22, v22, v23
	v_add_nc_u32_e32 v23, 32, v25
	; wave barrier
	v_and_b32_e32 v24, v22, v24
	v_mbcnt_lo_u32_b32 v22, v24, 0
	v_cmp_ne_u32_e64 s17, 0, v24
	v_cmp_eq_u32_e64 s16, 0, v22
	s_and_b32 s17, s17, s16
	s_and_saveexec_b32 s16, s17
	s_cbranch_execz .LBB1428_329
; %bb.328:                              ;   in Loop: Header=BB1428_325 Depth=1
	s_waitcnt lgkmcnt(0)
	v_bcnt_u32_b32 v24, v24, v20
	ds_write_b32 v23, v24
.LBB1428_329:                           ;   in Loop: Header=BB1428_325 Depth=1
	s_or_b32 exec_lo, exec_lo, s16
	; wave barrier
	s_waitcnt lgkmcnt(0)
	s_barrier
	buffer_gl0_inv
	ds_read_b32 v25, v14
	ds_read_b32 v53, v26
	;; [unrolled: 1-line block ×8, first 2 shown]
	s_waitcnt lgkmcnt(6)
	v_add_nc_u32_e32 v67, v53, v25
	s_waitcnt lgkmcnt(4)
	v_add3_u32 v67, v67, v54, v55
	s_waitcnt lgkmcnt(2)
	v_add3_u32 v67, v67, v64, v65
	;; [unrolled: 2-line block ×3, first 2 shown]
	v_mov_b32_dpp v67, v66 row_shr:1 row_mask:0xf bank_mask:0xf
	v_cndmask_b32_e64 v67, v67, 0, vcc_lo
	v_add_nc_u32_e32 v66, v67, v66
	v_mov_b32_dpp v67, v66 row_shr:2 row_mask:0xf bank_mask:0xf
	v_cndmask_b32_e64 v67, 0, v67, s4
	v_add_nc_u32_e32 v66, v66, v67
	v_mov_b32_dpp v67, v66 row_shr:4 row_mask:0xf bank_mask:0xf
	v_cndmask_b32_e64 v67, 0, v67, s5
	;; [unrolled: 3-line block ×3, first 2 shown]
	v_add_nc_u32_e32 v66, v66, v67
	ds_swizzle_b32 v67, v66 offset:swizzle(BROADCAST,32,15)
	s_waitcnt lgkmcnt(0)
	v_cndmask_b32_e64 v67, v67, 0, s8
	v_add_nc_u32_e32 v66, v66, v67
	s_and_saveexec_b32 s16, s9
; %bb.330:                              ;   in Loop: Header=BB1428_325 Depth=1
	ds_write_b32 v36, v66
; %bb.331:                              ;   in Loop: Header=BB1428_325 Depth=1
	s_or_b32 exec_lo, exec_lo, s16
	s_waitcnt lgkmcnt(0)
	s_barrier
	buffer_gl0_inv
	s_and_saveexec_b32 s16, s10
	s_cbranch_execz .LBB1428_333
; %bb.332:                              ;   in Loop: Header=BB1428_325 Depth=1
	ds_read_b32 v67, v34
	s_waitcnt lgkmcnt(0)
	v_mov_b32_dpp v68, v67 row_shr:1 row_mask:0xf bank_mask:0xf
	v_cndmask_b32_e64 v68, v68, 0, s13
	v_add_nc_u32_e32 v67, v68, v67
	v_mov_b32_dpp v68, v67 row_shr:2 row_mask:0xf bank_mask:0xf
	v_cndmask_b32_e64 v68, 0, v68, s14
	v_add_nc_u32_e32 v67, v67, v68
	;; [unrolled: 3-line block ×3, first 2 shown]
	ds_write_b32 v34, v67
.LBB1428_333:                           ;   in Loop: Header=BB1428_325 Depth=1
	s_or_b32 exec_lo, exec_lo, s16
	v_mov_b32_e32 v67, 0
	s_waitcnt lgkmcnt(0)
	s_barrier
	buffer_gl0_inv
	s_and_saveexec_b32 s16, s11
; %bb.334:                              ;   in Loop: Header=BB1428_325 Depth=1
	ds_read_b32 v67, v39
; %bb.335:                              ;   in Loop: Header=BB1428_325 Depth=1
	s_or_b32 exec_lo, exec_lo, s16
	s_waitcnt lgkmcnt(0)
	v_add_nc_u32_e32 v66, v67, v66
	v_add_nc_u32_e32 v10, 8, v10
	s_mov_b32 s21, -1
	s_mov_b32 s17, exec_lo
	ds_bpermute_b32 v66, v35, v66
	s_waitcnt lgkmcnt(0)
	v_cndmask_b32_e64 v66, v66, v67, s7
	v_cndmask_b32_e64 v66, v66, 0, s12
	v_add_nc_u32_e32 v25, v66, v25
	v_add_nc_u32_e32 v53, v25, v53
	ds_write_b32 v14, v66
	ds_write_b32 v26, v25
	;; [unrolled: 1-line block ×3, first 2 shown]
	v_mov_b32_e32 v25, v5
	v_add_nc_u32_e32 v54, v53, v54
                                        ; implicit-def: $vgpr53
	v_add_nc_u32_e32 v55, v54, v55
	v_add_nc_u32_e32 v64, v55, v64
	;; [unrolled: 1-line block ×4, first 2 shown]
	ds_write_b32 v28, v54
	ds_write_b32 v29, v55
	;; [unrolled: 1-line block ×5, first 2 shown]
	s_waitcnt lgkmcnt(0)
	s_barrier
	buffer_gl0_inv
	ds_read_b32 v19, v19
	ds_read_b32 v23, v23
	s_waitcnt lgkmcnt(0)
	v_add_nc_u32_e32 v4, v19, v4
	v_add3_u32 v24, v22, v20, v23
	v_lshlrev_b64 v[19:20], 2, v[4:5]
	v_lshlrev_b64 v[22:23], 2, v[24:25]
                                        ; implicit-def: $vgpr25
	v_add_co_u32 v55, null, v12, v19
	v_add_co_u32 v54, null, v12, v22
                                        ; implicit-def: $vgpr22_vgpr23
                                        ; implicit-def: $vgpr19_vgpr20
	v_cmpx_lt_u32_e64 v10, v11
	s_cbranch_execz .LBB1428_324
; %bb.336:                              ;   in Loop: Header=BB1428_325 Depth=1
	v_lshl_add_u32 v19, v4, 2, v55
	v_lshl_add_u32 v20, v24, 2, v54
	s_barrier
	buffer_gl0_inv
	ds_write_b32 v55, v51
	ds_write_b32 v54, v52
	s_waitcnt lgkmcnt(0)
	s_barrier
	buffer_gl0_inv
	ds_read_b32 v53, v37
	ds_read_b32 v25, v48
	s_waitcnt lgkmcnt(0)
	s_barrier
	buffer_gl0_inv
	ds_write_b64 v19, v[17:18]
	ds_write_b64 v20, v[8:9]
	s_waitcnt lgkmcnt(0)
	s_barrier
	buffer_gl0_inv
	ds_read_b64 v[19:20], v38
	ds_read_b64 v[22:23], v49
	v_add_nc_u32_e32 v50, -8, v50
	s_xor_b32 s21, exec_lo, -1
	s_waitcnt lgkmcnt(0)
	s_barrier
	buffer_gl0_inv
	s_branch .LBB1428_324
.LBB1428_337:
	flat_load_dwordx2 v[28:29], v[4:5]
	s_or_b32 exec_lo, exec_lo, s7
                                        ; implicit-def: $vgpr30_vgpr31
	s_and_saveexec_b32 s7, s4
	s_cbranch_execz .LBB1428_264
.LBB1428_338:
	flat_load_dwordx2 v[30:31], v[4:5] offset:256
	s_or_b32 exec_lo, exec_lo, s7
                                        ; implicit-def: $vgpr24_vgpr25
	s_and_saveexec_b32 s4, s5
	s_cbranch_execz .LBB1428_265
.LBB1428_339:
	flat_load_dwordx2 v[24:25], v[4:5] offset:512
	s_or_b32 exec_lo, exec_lo, s4
                                        ; implicit-def: $vgpr26_vgpr27
	s_and_saveexec_b32 s4, s6
	s_cbranch_execnz .LBB1428_266
	s_branch .LBB1428_267
.LBB1428_340:
	flat_store_dwordx2 v[0:1], v[12:13]
	s_or_b32 exec_lo, exec_lo, s7
	s_and_saveexec_b32 s7, s4
	s_cbranch_execz .LBB1428_309
.LBB1428_341:
	v_add_co_u32 v2, vcc_lo, 0x800, v0
	v_add_co_ci_u32_e64 v3, null, 0, v1, vcc_lo
	flat_store_dwordx2 v[2:3], v[14:15]
	s_or_b32 exec_lo, exec_lo, s7
	s_and_saveexec_b32 s4, s5
	s_cbranch_execz .LBB1428_310
.LBB1428_342:
	v_add_co_u32 v2, vcc_lo, 0x1000, v0
	v_add_co_ci_u32_e64 v3, null, 0, v1, vcc_lo
	flat_store_dwordx2 v[2:3], v[8:9]
	s_or_b32 exec_lo, exec_lo, s4
	s_and_saveexec_b32 s4, s6
	s_cbranch_execnz .LBB1428_311
	s_branch .LBB1428_312
.LBB1428_343:
	s_or_b32 exec_lo, exec_lo, s20
	v_lshl_add_u32 v4, v4, 2, v55
	s_barrier
	buffer_gl0_inv
	ds_write_b32 v55, v51
	ds_write_b32 v54, v52
	s_waitcnt lgkmcnt(0)
	s_barrier
	buffer_gl0_inv
	ds_read2st64_b32 v[19:20], v34 offset1:4
	s_waitcnt lgkmcnt(0)
	v_lshl_add_u32 v5, v24, 2, v54
	s_barrier
	buffer_gl0_inv
	ds_write_b64 v4, v[17:18]
	v_lshl_add_u32 v4, v21, 3, v12
	ds_write_b64 v5, v[8:9]
	s_waitcnt lgkmcnt(0)
	s_barrier
	buffer_gl0_inv
	ds_read2st64_b64 v[8:11], v4 offset1:4
	v_mov_b32_e32 v14, 0
	v_add_co_u32 v2, vcc_lo, v2, v15
	v_add_co_ci_u32_e64 v3, null, v3, v16, vcc_lo
	v_lshlrev_b64 v[4:5], 2, v[13:14]
	s_waitcnt lgkmcnt(0)
	s_barrier
	buffer_gl0_inv
	v_add_co_u32 v2, vcc_lo, v2, v4
	v_add_co_ci_u32_e64 v3, null, v3, v5, vcc_lo
	v_cmp_lt_u32_e32 vcc_lo, v13, v151
	s_and_saveexec_b32 s5, vcc_lo
	s_cbranch_execz .LBB1428_345
; %bb.344:
	v_cmp_lt_i32_e64 s4, -1, v19
	v_cndmask_b32_e64 v4, 0x80000000, -1, s4
	v_xor_b32_e32 v4, v4, v19
	flat_store_dword v[2:3], v4
.LBB1428_345:
	s_or_b32 exec_lo, exec_lo, s5
	v_add_nc_u32_e32 v4, 0x100, v13
	v_cmp_lt_u32_e64 s4, v4, v151
	s_and_saveexec_b32 s6, s4
	s_cbranch_execz .LBB1428_347
; %bb.346:
	v_cmp_lt_i32_e64 s5, -1, v20
	v_cndmask_b32_e64 v4, 0x80000000, -1, s5
	v_xor_b32_e32 v4, v4, v20
	flat_store_dword v[2:3], v4 offset:1024
.LBB1428_347:
	s_or_b32 exec_lo, exec_lo, s6
	v_lshlrev_b64 v[2:3], 3, v[13:14]
	v_add_co_u32 v0, s5, v6, v0
	v_add_co_ci_u32_e64 v1, null, v7, v1, s5
	v_add_co_u32 v0, s5, v0, v2
	v_add_co_ci_u32_e64 v1, null, v1, v3, s5
	s_and_saveexec_b32 s5, vcc_lo
	s_cbranch_execz .LBB1428_349
; %bb.348:
	flat_store_dwordx2 v[0:1], v[8:9]
.LBB1428_349:
	s_or_b32 exec_lo, exec_lo, s5
	s_and_saveexec_b32 s5, s4
	s_cbranch_execz .LBB1428_351
; %bb.350:
	v_add_co_u32 v0, vcc_lo, 0x800, v0
	v_add_co_ci_u32_e64 v1, null, 0, v1, vcc_lo
	flat_store_dwordx2 v[0:1], v[10:11]
.LBB1428_351:
	s_or_b32 exec_lo, exec_lo, s5
                                        ; implicit-def: $vgpr13_vgpr14
                                        ; implicit-def: $vgpr8_vgpr9
                                        ; implicit-def: $vgpr15_vgpr16
                                        ; implicit-def: $vgpr151
                                        ; implicit-def: $vgpr0
                                        ; implicit-def: $vgpr1
                                        ; implicit-def: $vgpr2
                                        ; implicit-def: $vgpr3
                                        ; implicit-def: $vgpr4
                                        ; implicit-def: $vgpr5
                                        ; implicit-def: $vgpr6
                                        ; implicit-def: $vgpr7
                                        ; implicit-def: $vgpr10
                                        ; implicit-def: $vgpr11
                                        ; implicit-def: $vgpr12
                                        ; implicit-def: $vgpr21
                                        ; implicit-def: $vgpr114
.LBB1428_352:
	s_andn2_saveexec_b32 s4, s18
	s_cbranch_execz .LBB1428_372
; %bb.353:
	v_and_b32_e32 v17, 0xffffffe0, v13
	v_or_b32_e32 v14, v114, v17
	v_cmp_lt_u32_e32 vcc_lo, v14, v151
	v_bfrev_b32_e32 v14, -2
	s_and_saveexec_b32 s5, vcc_lo
	s_cbranch_execz .LBB1428_355
; %bb.354:
	v_mov_b32_e32 v18, 0
	v_lshlrev_b32_e32 v14, 2, v114
	v_add_co_u32 v19, s4, v0, v15
	v_add_co_ci_u32_e64 v20, null, v1, v16, s4
	v_lshlrev_b64 v[0:1], 2, v[17:18]
	v_add_co_u32 v14, s4, v19, v14
	v_add_co_ci_u32_e64 v18, null, 0, v20, s4
	v_add_co_u32 v0, s4, v14, v0
	v_add_co_ci_u32_e64 v1, null, v18, v1, s4
	flat_load_dword v14, v[0:1]
.LBB1428_355:
	s_or_b32 exec_lo, exec_lo, s5
	v_lshlrev_b64 v[0:1], 3, v[8:9]
                                        ; implicit-def: $vgpr8_vgpr9
	s_and_saveexec_b32 s4, vcc_lo
	s_cbranch_execz .LBB1428_357
; %bb.356:
	v_mov_b32_e32 v18, 0
	v_lshlrev_b32_e32 v8, 3, v114
	v_add_co_u32 v9, vcc_lo, v4, v0
	v_add_co_ci_u32_e64 v19, null, v5, v1, vcc_lo
	v_lshlrev_b64 v[4:5], 3, v[17:18]
	v_add_co_u32 v8, vcc_lo, v9, v8
	v_add_co_ci_u32_e64 v9, null, 0, v19, vcc_lo
	v_add_co_u32 v4, vcc_lo, v8, v4
	v_add_co_ci_u32_e64 v5, null, v9, v5, vcc_lo
	flat_load_dwordx2 v[8:9], v[4:5]
.LBB1428_357:
	s_or_b32 exec_lo, exec_lo, s4
	s_waitcnt vmcnt(0) lgkmcnt(0)
	v_cmp_lt_i32_e32 vcc_lo, -1, v14
	v_lshl_add_u32 v5, v21, 5, v12
	v_and_b32_e32 v17, 0x3e0, v21
	v_sub_co_u32 v29, s6, v114, 1
	v_cndmask_b32_e64 v4, -1, 0x80000000, vcc_lo
	v_add_nc_u32_e32 v19, 36, v5
	v_add_nc_u32_e32 v20, 40, v5
	;; [unrolled: 1-line block ×4, first 2 shown]
	v_xor_b32_e32 v4, v4, v14
	v_add_nc_u32_e32 v14, 32, v5
	v_add_nc_u32_e32 v24, 52, v5
	;; [unrolled: 1-line block ×4, first 2 shown]
	v_min_u32_e32 v5, 0xe0, v17
	s_getpc_b64 s[4:5]
	s_add_u32 s4, s4, _ZN7rocprim17ROCPRIM_400000_NS16block_radix_sortIfLj256ELj1ElLj1ELj1ELj8ELNS0_26block_radix_rank_algorithmE2ELNS0_18block_padding_hintE2ELNS0_4arch9wavefront6targetE0EE19radix_bits_per_passE@rel32@lo+4
	s_addc_u32 s5, s5, _ZN7rocprim17ROCPRIM_400000_NS16block_radix_sortIfLj256ELj1ElLj1ELj1ELj8ELNS0_26block_radix_rank_algorithmE2ELNS0_18block_padding_hintE2ELNS0_4arch9wavefront6targetE0EE19radix_bits_per_passE@rel32@hi+12
	v_and_b32_e32 v18, 15, v114
	s_load_dword s18, s[4:5], 0x0
	v_cmp_gt_i32_e64 s10, 0, v29
	v_or_b32_e32 v5, 31, v5
	v_or_b32_e32 v17, v114, v17
	v_cmp_eq_u32_e32 vcc_lo, 0, v18
	v_cmp_lt_u32_e64 s4, 1, v18
	v_cmp_lt_u32_e64 s5, 3, v18
	v_cmp_eq_u32_e64 s9, v21, v5
	v_lshrrev_b32_e32 v5, 3, v21
	v_cmp_lt_u32_e64 s7, 7, v18
	v_cndmask_b32_e64 v18, v29, v114, s10
	v_lshlrev_b32_e32 v17, 2, v17
	v_and_b32_e32 v28, 16, v114
	v_and_b32_e32 v5, 0x7c, v5
	v_lshrrev_b32_e32 v27, 5, v13
	v_lshlrev_b32_e32 v29, 2, v18
	v_and_b32_e32 v18, 7, v114
	v_add_nc_u32_e32 v31, v12, v17
	v_add_nc_u32_e32 v30, v12, v5
	v_cmp_eq_u32_e64 s8, 0, v28
	v_cmp_gt_u32_e64 s10, 8, v21
	v_cmp_lt_u32_e64 s11, 31, v21
	v_cmp_eq_u32_e64 s12, 0, v21
	v_mov_b32_e32 v5, 0
	v_lshl_add_u32 v28, v21, 2, v12
	v_cmp_eq_u32_e64 s13, 0, v18
	v_cmp_lt_u32_e64 s14, 1, v18
	v_cmp_lt_u32_e64 s15, 3, v18
	v_add_nc_u32_e32 v32, -4, v30
	v_add_nc_u32_e32 v33, v31, v17
	v_sub_nc_u32_e32 v34, v11, v10
	s_mov_b32 s19, 0
	s_waitcnt lgkmcnt(0)
	s_waitcnt_vscnt null, 0x0
	s_barrier
	buffer_gl0_inv
	s_branch .LBB1428_359
.LBB1428_358:                           ;   in Loop: Header=BB1428_359 Depth=1
	s_or_b32 exec_lo, exec_lo, s17
	s_and_b32 s16, exec_lo, s20
	s_or_b32 s19, s16, s19
	s_andn2_b32 exec_lo, exec_lo, s19
	s_cbranch_execz .LBB1428_369
.LBB1428_359:                           ; =>This Inner Loop Header: Depth=1
	v_mov_b32_e32 v35, v4
	v_min_u32_e32 v17, s18, v34
	ds_write_b32 v14, v5
	ds_write_b32 v19, v5
	;; [unrolled: 1-line block ×5, first 2 shown]
	v_cmp_ne_u32_e64 s16, 0x7fffffff, v35
	ds_write_b32 v24, v5
	ds_write_b32 v25, v5
	;; [unrolled: 1-line block ×3, first 2 shown]
	s_waitcnt lgkmcnt(0)
	s_barrier
	v_cndmask_b32_e64 v4, 0x80000000, v35, s16
	buffer_gl0_inv
	; wave barrier
	v_lshrrev_b32_e32 v4, v10, v4
	v_bfe_u32 v4, v4, 0, v17
	v_and_b32_e32 v17, 1, v4
	v_lshlrev_b32_e32 v18, 30, v4
	v_lshlrev_b32_e32 v36, 29, v4
	;; [unrolled: 1-line block ×4, first 2 shown]
	v_add_co_u32 v17, s16, v17, -1
	v_cndmask_b32_e64 v38, 0, 1, s16
	v_not_b32_e32 v50, v18
	v_cmp_gt_i32_e64 s17, 0, v18
	v_not_b32_e32 v18, v36
	v_lshlrev_b32_e32 v48, 26, v4
	v_cmp_ne_u32_e64 s16, 0, v38
	v_ashrrev_i32_e32 v50, 31, v50
	v_lshlrev_b32_e32 v49, 25, v4
	v_ashrrev_i32_e32 v18, 31, v18
	v_lshlrev_b32_e32 v38, 24, v4
	v_xor_b32_e32 v17, s16, v17
	v_cmp_gt_i32_e64 s16, 0, v36
	v_not_b32_e32 v36, v37
	v_xor_b32_e32 v50, s17, v50
	v_cmp_gt_i32_e64 s17, 0, v37
	v_and_b32_e32 v17, exec_lo, v17
	v_not_b32_e32 v37, v39
	v_ashrrev_i32_e32 v36, 31, v36
	v_xor_b32_e32 v18, s16, v18
	v_cmp_gt_i32_e64 s16, 0, v39
	v_and_b32_e32 v17, v17, v50
	v_not_b32_e32 v39, v48
	v_ashrrev_i32_e32 v37, 31, v37
	v_xor_b32_e32 v36, s17, v36
	v_cmp_gt_i32_e64 s17, 0, v48
	v_and_b32_e32 v17, v17, v18
	;; [unrolled: 5-line block ×4, first 2 shown]
	v_ashrrev_i32_e32 v36, 31, v36
	v_xor_b32_e32 v37, s16, v18
	v_lshl_add_u32 v4, v4, 3, v27
	v_and_b32_e32 v38, v17, v39
	v_mov_b32_e32 v18, v9
	v_mov_b32_e32 v17, v8
	v_xor_b32_e32 v8, s17, v36
	v_and_b32_e32 v9, v38, v37
	v_lshlrev_b64 v[36:37], 2, v[4:5]
	v_and_b32_e32 v9, v9, v8
	v_add_co_u32 v8, null, v12, v36
	v_mbcnt_lo_u32_b32 v4, v9, 0
	v_cmp_ne_u32_e64 s17, 0, v9
	v_add_co_u32 v8, null, v8, 32
	v_cmp_eq_u32_e64 s16, 0, v4
	s_and_b32 s17, s17, s16
	s_and_saveexec_b32 s16, s17
; %bb.360:                              ;   in Loop: Header=BB1428_359 Depth=1
	v_bcnt_u32_b32 v9, v9, 0
	ds_write_b32 v8, v9
; %bb.361:                              ;   in Loop: Header=BB1428_359 Depth=1
	s_or_b32 exec_lo, exec_lo, s16
	; wave barrier
	s_waitcnt lgkmcnt(0)
	s_barrier
	buffer_gl0_inv
	ds_read_b32 v36, v14
	ds_read_b32 v37, v19
	;; [unrolled: 1-line block ×8, first 2 shown]
	s_waitcnt lgkmcnt(6)
	v_add_nc_u32_e32 v51, v37, v36
	s_waitcnt lgkmcnt(4)
	v_add3_u32 v51, v51, v38, v39
	s_waitcnt lgkmcnt(2)
	v_add3_u32 v51, v51, v48, v49
	;; [unrolled: 2-line block ×3, first 2 shown]
	v_mov_b32_dpp v51, v50 row_shr:1 row_mask:0xf bank_mask:0xf
	v_cndmask_b32_e64 v51, v51, 0, vcc_lo
	v_add_nc_u32_e32 v50, v51, v50
	v_mov_b32_dpp v51, v50 row_shr:2 row_mask:0xf bank_mask:0xf
	v_cndmask_b32_e64 v51, 0, v51, s4
	v_add_nc_u32_e32 v50, v50, v51
	v_mov_b32_dpp v51, v50 row_shr:4 row_mask:0xf bank_mask:0xf
	v_cndmask_b32_e64 v51, 0, v51, s5
	;; [unrolled: 3-line block ×3, first 2 shown]
	v_add_nc_u32_e32 v50, v50, v51
	ds_swizzle_b32 v51, v50 offset:swizzle(BROADCAST,32,15)
	s_waitcnt lgkmcnt(0)
	v_cndmask_b32_e64 v51, v51, 0, s8
	v_add_nc_u32_e32 v50, v50, v51
	s_and_saveexec_b32 s16, s9
; %bb.362:                              ;   in Loop: Header=BB1428_359 Depth=1
	ds_write_b32 v30, v50
; %bb.363:                              ;   in Loop: Header=BB1428_359 Depth=1
	s_or_b32 exec_lo, exec_lo, s16
	s_waitcnt lgkmcnt(0)
	s_barrier
	buffer_gl0_inv
	s_and_saveexec_b32 s16, s10
	s_cbranch_execz .LBB1428_365
; %bb.364:                              ;   in Loop: Header=BB1428_359 Depth=1
	ds_read_b32 v51, v28
	s_waitcnt lgkmcnt(0)
	v_mov_b32_dpp v52, v51 row_shr:1 row_mask:0xf bank_mask:0xf
	v_cndmask_b32_e64 v52, v52, 0, s13
	v_add_nc_u32_e32 v51, v52, v51
	v_mov_b32_dpp v52, v51 row_shr:2 row_mask:0xf bank_mask:0xf
	v_cndmask_b32_e64 v52, 0, v52, s14
	v_add_nc_u32_e32 v51, v51, v52
	;; [unrolled: 3-line block ×3, first 2 shown]
	ds_write_b32 v28, v51
.LBB1428_365:                           ;   in Loop: Header=BB1428_359 Depth=1
	s_or_b32 exec_lo, exec_lo, s16
	v_mov_b32_e32 v51, 0
	s_waitcnt lgkmcnt(0)
	s_barrier
	buffer_gl0_inv
	s_and_saveexec_b32 s16, s11
; %bb.366:                              ;   in Loop: Header=BB1428_359 Depth=1
	ds_read_b32 v51, v32
; %bb.367:                              ;   in Loop: Header=BB1428_359 Depth=1
	s_or_b32 exec_lo, exec_lo, s16
	s_waitcnt lgkmcnt(0)
	v_add_nc_u32_e32 v50, v51, v50
	v_add_nc_u32_e32 v10, 8, v10
	s_mov_b32 s20, -1
	s_mov_b32 s17, exec_lo
	ds_bpermute_b32 v50, v29, v50
	s_waitcnt lgkmcnt(0)
	v_cndmask_b32_e64 v50, v50, v51, s6
	v_cndmask_b32_e64 v50, v50, 0, s12
	v_add_nc_u32_e32 v36, v50, v36
	v_add_nc_u32_e32 v37, v36, v37
	ds_write_b32 v14, v50
	ds_write_b32 v19, v36
	;; [unrolled: 1-line block ×3, first 2 shown]
	v_add_nc_u32_e32 v38, v37, v38
	v_add_nc_u32_e32 v39, v38, v39
	v_add_nc_u32_e32 v48, v39, v48
	v_add_nc_u32_e32 v49, v48, v49
	v_add_nc_u32_e32 v9, v49, v9
	ds_write_b32 v22, v38
	ds_write_b32 v23, v39
	ds_write_b32 v24, v48
	ds_write_b32 v25, v49
	ds_write_b32 v26, v9
	s_waitcnt lgkmcnt(0)
	s_barrier
	buffer_gl0_inv
	ds_read_b32 v8, v8
	s_waitcnt lgkmcnt(0)
	v_add_nc_u32_e32 v4, v8, v4
	v_lshlrev_b64 v[8:9], 2, v[4:5]
                                        ; implicit-def: $vgpr4
	v_add_co_u32 v37, null, v12, v8
	v_add_co_u32 v36, null, v37, v8
                                        ; implicit-def: $vgpr8_vgpr9
	v_cmpx_lt_u32_e64 v10, v11
	s_cbranch_execz .LBB1428_358
; %bb.368:                              ;   in Loop: Header=BB1428_359 Depth=1
	s_barrier
	buffer_gl0_inv
	ds_write_b32 v37, v35
	s_waitcnt lgkmcnt(0)
	s_barrier
	buffer_gl0_inv
	ds_read_b32 v4, v31
	s_waitcnt lgkmcnt(0)
	s_barrier
	buffer_gl0_inv
	ds_write_b64 v36, v[17:18]
	s_waitcnt lgkmcnt(0)
	s_barrier
	buffer_gl0_inv
	ds_read_b64 v[8:9], v33
	v_add_nc_u32_e32 v34, -8, v34
	s_xor_b32 s20, exec_lo, -1
	s_waitcnt lgkmcnt(0)
	s_barrier
	buffer_gl0_inv
	s_branch .LBB1428_358
.LBB1428_369:
	s_or_b32 exec_lo, exec_lo, s19
	v_lshl_add_u32 v4, v21, 3, v12
	s_barrier
	buffer_gl0_inv
	ds_write_b32 v37, v35
	s_waitcnt lgkmcnt(0)
	s_barrier
	buffer_gl0_inv
	ds_read_b32 v8, v28
	s_waitcnt lgkmcnt(0)
	s_barrier
	buffer_gl0_inv
	ds_write_b64 v36, v[17:18]
	s_waitcnt lgkmcnt(0)
	s_barrier
	buffer_gl0_inv
	ds_read_b64 v[4:5], v4
	s_mov_b32 s4, exec_lo
	s_waitcnt lgkmcnt(0)
	s_barrier
	buffer_gl0_inv
	v_cmpx_lt_u32_e64 v13, v151
	s_cbranch_execz .LBB1428_371
; %bb.370:
	v_mov_b32_e32 v14, 0
	v_add_co_u32 v2, vcc_lo, v2, v15
	v_add_co_ci_u32_e64 v3, null, v3, v16, vcc_lo
	v_lshlrev_b64 v[9:10], 2, v[13:14]
	v_cmp_lt_i32_e32 vcc_lo, -1, v8
	v_cndmask_b32_e64 v11, 0x80000000, -1, vcc_lo
	v_add_co_u32 v2, vcc_lo, v2, v9
	v_add_co_ci_u32_e64 v3, null, v3, v10, vcc_lo
	v_lshlrev_b64 v[9:10], 3, v[13:14]
	v_add_co_u32 v0, vcc_lo, v6, v0
	v_add_co_ci_u32_e64 v1, null, v7, v1, vcc_lo
	v_xor_b32_e32 v6, v11, v8
	v_add_co_u32 v0, vcc_lo, v0, v9
	v_add_co_ci_u32_e64 v1, null, v1, v10, vcc_lo
	flat_store_dword v[2:3], v6
	flat_store_dwordx2 v[0:1], v[4:5]
.LBB1428_371:
	s_or_b32 exec_lo, exec_lo, s4
.LBB1428_372:
	s_or_b32 exec_lo, exec_lo, s24
	s_clause 0xf
	buffer_load_dword v63, off, s[0:3], s32
	buffer_load_dword v62, off, s[0:3], s32 offset:4
	buffer_load_dword v61, off, s[0:3], s32 offset:8
	;; [unrolled: 1-line block ×15, first 2 shown]
	s_waitcnt vmcnt(0) lgkmcnt(0)
	s_setpc_b64 s[30:31]
.Lfunc_end1428:
	.size	_ZN7rocprim17ROCPRIM_400000_NS6detail40segmented_radix_sort_single_block_helperIflLj256ELj16ELb0EE4sortIPKfPfPKlPlEEbT_T0_T1_T2_jjjjRNS3_12storage_typeE, .Lfunc_end1428-_ZN7rocprim17ROCPRIM_400000_NS6detail40segmented_radix_sort_single_block_helperIflLj256ELj16ELb0EE4sortIPKfPfPKlPlEEbT_T0_T1_T2_jjjjRNS3_12storage_typeE
                                        ; -- End function
	.set .L_ZN7rocprim17ROCPRIM_400000_NS6detail40segmented_radix_sort_single_block_helperIflLj256ELj16ELb0EE4sortIPKfPfPKlPlEEbT_T0_T1_T2_jjjjRNS3_12storage_typeE.num_vgpr, 248
	.set .L_ZN7rocprim17ROCPRIM_400000_NS6detail40segmented_radix_sort_single_block_helperIflLj256ELj16ELb0EE4sortIPKfPfPKlPlEEbT_T0_T1_T2_jjjjRNS3_12storage_typeE.num_agpr, 0
	.set .L_ZN7rocprim17ROCPRIM_400000_NS6detail40segmented_radix_sort_single_block_helperIflLj256ELj16ELb0EE4sortIPKfPfPKlPlEEbT_T0_T1_T2_jjjjRNS3_12storage_typeE.numbered_sgpr, 33
	.set .L_ZN7rocprim17ROCPRIM_400000_NS6detail40segmented_radix_sort_single_block_helperIflLj256ELj16ELb0EE4sortIPKfPfPKlPlEEbT_T0_T1_T2_jjjjRNS3_12storage_typeE.num_named_barrier, 0
	.set .L_ZN7rocprim17ROCPRIM_400000_NS6detail40segmented_radix_sort_single_block_helperIflLj256ELj16ELb0EE4sortIPKfPfPKlPlEEbT_T0_T1_T2_jjjjRNS3_12storage_typeE.private_seg_size, 68
	.set .L_ZN7rocprim17ROCPRIM_400000_NS6detail40segmented_radix_sort_single_block_helperIflLj256ELj16ELb0EE4sortIPKfPfPKlPlEEbT_T0_T1_T2_jjjjRNS3_12storage_typeE.uses_vcc, 1
	.set .L_ZN7rocprim17ROCPRIM_400000_NS6detail40segmented_radix_sort_single_block_helperIflLj256ELj16ELb0EE4sortIPKfPfPKlPlEEbT_T0_T1_T2_jjjjRNS3_12storage_typeE.uses_flat_scratch, 0
	.set .L_ZN7rocprim17ROCPRIM_400000_NS6detail40segmented_radix_sort_single_block_helperIflLj256ELj16ELb0EE4sortIPKfPfPKlPlEEbT_T0_T1_T2_jjjjRNS3_12storage_typeE.has_dyn_sized_stack, 0
	.set .L_ZN7rocprim17ROCPRIM_400000_NS6detail40segmented_radix_sort_single_block_helperIflLj256ELj16ELb0EE4sortIPKfPfPKlPlEEbT_T0_T1_T2_jjjjRNS3_12storage_typeE.has_recursion, 0
	.set .L_ZN7rocprim17ROCPRIM_400000_NS6detail40segmented_radix_sort_single_block_helperIflLj256ELj16ELb0EE4sortIPKfPfPKlPlEEbT_T0_T1_T2_jjjjRNS3_12storage_typeE.has_indirect_call, 0
	.section	.AMDGPU.csdata,"",@progbits
; Function info:
; codeLenInByte = 29484
; TotalNumSgprs: 35
; NumVgprs: 248
; ScratchSize: 68
; MemoryBound: 1
	.section	.text._ZN7rocprim17ROCPRIM_400000_NS6detail17trampoline_kernelINS0_14default_configENS1_36segmented_radix_sort_config_selectorIflEEZNS1_25segmented_radix_sort_implIS3_Lb0EPKfPfPKlPlN2at6native12_GLOBAL__N_18offset_tEEE10hipError_tPvRmT1_PNSt15iterator_traitsISK_E10value_typeET2_T3_PNSL_ISQ_E10value_typeET4_jRbjT5_SW_jjP12ihipStream_tbEUlT_E_NS1_11comp_targetILNS1_3genE8ELNS1_11target_archE1030ELNS1_3gpuE2ELNS1_3repE0EEENS1_30default_config_static_selectorELNS0_4arch9wavefront6targetE0EEEvSK_,"axG",@progbits,_ZN7rocprim17ROCPRIM_400000_NS6detail17trampoline_kernelINS0_14default_configENS1_36segmented_radix_sort_config_selectorIflEEZNS1_25segmented_radix_sort_implIS3_Lb0EPKfPfPKlPlN2at6native12_GLOBAL__N_18offset_tEEE10hipError_tPvRmT1_PNSt15iterator_traitsISK_E10value_typeET2_T3_PNSL_ISQ_E10value_typeET4_jRbjT5_SW_jjP12ihipStream_tbEUlT_E_NS1_11comp_targetILNS1_3genE8ELNS1_11target_archE1030ELNS1_3gpuE2ELNS1_3repE0EEENS1_30default_config_static_selectorELNS0_4arch9wavefront6targetE0EEEvSK_,comdat
	.globl	_ZN7rocprim17ROCPRIM_400000_NS6detail17trampoline_kernelINS0_14default_configENS1_36segmented_radix_sort_config_selectorIflEEZNS1_25segmented_radix_sort_implIS3_Lb0EPKfPfPKlPlN2at6native12_GLOBAL__N_18offset_tEEE10hipError_tPvRmT1_PNSt15iterator_traitsISK_E10value_typeET2_T3_PNSL_ISQ_E10value_typeET4_jRbjT5_SW_jjP12ihipStream_tbEUlT_E_NS1_11comp_targetILNS1_3genE8ELNS1_11target_archE1030ELNS1_3gpuE2ELNS1_3repE0EEENS1_30default_config_static_selectorELNS0_4arch9wavefront6targetE0EEEvSK_ ; -- Begin function _ZN7rocprim17ROCPRIM_400000_NS6detail17trampoline_kernelINS0_14default_configENS1_36segmented_radix_sort_config_selectorIflEEZNS1_25segmented_radix_sort_implIS3_Lb0EPKfPfPKlPlN2at6native12_GLOBAL__N_18offset_tEEE10hipError_tPvRmT1_PNSt15iterator_traitsISK_E10value_typeET2_T3_PNSL_ISQ_E10value_typeET4_jRbjT5_SW_jjP12ihipStream_tbEUlT_E_NS1_11comp_targetILNS1_3genE8ELNS1_11target_archE1030ELNS1_3gpuE2ELNS1_3repE0EEENS1_30default_config_static_selectorELNS0_4arch9wavefront6targetE0EEEvSK_
	.p2align	8
	.type	_ZN7rocprim17ROCPRIM_400000_NS6detail17trampoline_kernelINS0_14default_configENS1_36segmented_radix_sort_config_selectorIflEEZNS1_25segmented_radix_sort_implIS3_Lb0EPKfPfPKlPlN2at6native12_GLOBAL__N_18offset_tEEE10hipError_tPvRmT1_PNSt15iterator_traitsISK_E10value_typeET2_T3_PNSL_ISQ_E10value_typeET4_jRbjT5_SW_jjP12ihipStream_tbEUlT_E_NS1_11comp_targetILNS1_3genE8ELNS1_11target_archE1030ELNS1_3gpuE2ELNS1_3repE0EEENS1_30default_config_static_selectorELNS0_4arch9wavefront6targetE0EEEvSK_,@function
_ZN7rocprim17ROCPRIM_400000_NS6detail17trampoline_kernelINS0_14default_configENS1_36segmented_radix_sort_config_selectorIflEEZNS1_25segmented_radix_sort_implIS3_Lb0EPKfPfPKlPlN2at6native12_GLOBAL__N_18offset_tEEE10hipError_tPvRmT1_PNSt15iterator_traitsISK_E10value_typeET2_T3_PNSL_ISQ_E10value_typeET4_jRbjT5_SW_jjP12ihipStream_tbEUlT_E_NS1_11comp_targetILNS1_3genE8ELNS1_11target_archE1030ELNS1_3gpuE2ELNS1_3repE0EEENS1_30default_config_static_selectorELNS0_4arch9wavefront6targetE0EEEvSK_: ; @_ZN7rocprim17ROCPRIM_400000_NS6detail17trampoline_kernelINS0_14default_configENS1_36segmented_radix_sort_config_selectorIflEEZNS1_25segmented_radix_sort_implIS3_Lb0EPKfPfPKlPlN2at6native12_GLOBAL__N_18offset_tEEE10hipError_tPvRmT1_PNSt15iterator_traitsISK_E10value_typeET2_T3_PNSL_ISQ_E10value_typeET4_jRbjT5_SW_jjP12ihipStream_tbEUlT_E_NS1_11comp_targetILNS1_3genE8ELNS1_11target_archE1030ELNS1_3gpuE2ELNS1_3repE0EEENS1_30default_config_static_selectorELNS0_4arch9wavefront6targetE0EEEvSK_
; %bb.0:
	s_load_dwordx2 s[12:13], s[4:5], 0x38
	s_mov_b32 s27, s7
	s_mov_b32 s7, 0
	s_add_u32 s0, s0, s8
	s_addc_u32 s1, s1, 0
	s_lshl_b64 s[14:15], s[6:7], 2
	s_load_dwordx4 s[8:11], s[4:5], 0x40
	s_mov_b32 s32, 0
	s_waitcnt lgkmcnt(0)
	s_add_u32 s12, s12, s14
	s_addc_u32 s13, s13, s15
	s_load_dword s7, s[12:13], 0x0
	s_waitcnt lgkmcnt(0)
	s_add_i32 s58, s7, s9
	s_add_i32 s59, s7, s11
	s_mul_i32 s58, s58, s8
	s_mul_i32 s59, s59, s10
	s_cmp_le_u32 s59, s58
	s_cbranch_scc1 .LBB1429_1190
; %bb.1:
	s_clause 0x3
	s_load_dword s7, s[4:5], 0x30
	s_load_dwordx4 s[48:51], s[4:5], 0x20
	s_load_dwordx4 s[52:55], s[4:5], 0x50
	s_load_dwordx8 s[40:47], s[4:5], 0x0
	s_waitcnt lgkmcnt(0)
	s_bitcmp1_b32 s7, 0
	s_mov_b32 s7, -1
	s_cselect_b32 s55, -1, 0
	s_sub_i32 s60, s59, s58
	s_cmpk_lt_u32 s60, 0x1001
	s_cbranch_scc0 .LBB1429_7
; %bb.2:
	v_cndmask_b32_e64 v3, 0, 1, s55
	s_and_b32 s7, s52, 1
	v_lshlrev_b32_e32 v41, 20, v2
	v_lshlrev_b32_e32 v42, 10, v1
	v_cmp_ne_u32_e32 vcc_lo, s7, v3
	s_mov_b32 s7, -1
	s_cbranch_vccnz .LBB1429_4
; %bb.3:
	s_mov_b64 s[10:11], src_shared_base
	v_or3_b32 v31, v0, v42, v41
	v_mov_b32_e32 v40, v0
	v_mov_b32_e32 v0, s40
	;; [unrolled: 1-line block ×17, first 2 shown]
	s_add_u32 s8, s4, 0x60
	s_addc_u32 s9, s5, 0
	s_getpc_b64 s[14:15]
	s_add_u32 s14, s14, _ZN7rocprim17ROCPRIM_400000_NS6detail40segmented_radix_sort_single_block_helperIflLj256ELj16ELb0EE4sortIPKfPfPKlPlEEbT_T0_T1_T2_jjjjRNS3_12storage_typeE@rel32@lo+4
	s_addc_u32 s15, s15, _ZN7rocprim17ROCPRIM_400000_NS6detail40segmented_radix_sort_single_block_helperIflLj256ELj16ELb0EE4sortIPKfPfPKlPlEEbT_T0_T1_T2_jjjjRNS3_12storage_typeE@rel32@hi+12
	s_mov_b32 s12, s6
	s_mov_b32 s13, s27
	;; [unrolled: 1-line block ×3, first 2 shown]
	s_mov_b64 s[34:35], s[4:5]
	s_swappc_b64 s[30:31], s[14:15]
	v_mov_b32_e32 v1, v43
	v_mov_b32_e32 v2, v44
	;; [unrolled: 1-line block ×3, first 2 shown]
	s_mov_b64 s[4:5], s[34:35]
	s_mov_b32 s6, s28
	s_mov_b32 s7, 0
.LBB1429_4:
	s_andn2_b32 vcc_lo, exec_lo, s7
	s_cbranch_vccnz .LBB1429_6
; %bb.5:
	s_mov_b64 s[10:11], src_shared_base
	v_or3_b32 v31, v0, v42, v41
	v_mov_b32_e32 v40, v0
	v_mov_b32_e32 v0, s40
	;; [unrolled: 1-line block ×17, first 2 shown]
	s_add_u32 s8, s4, 0x60
	s_addc_u32 s9, s5, 0
	s_getpc_b64 s[14:15]
	s_add_u32 s14, s14, _ZN7rocprim17ROCPRIM_400000_NS6detail40segmented_radix_sort_single_block_helperIflLj256ELj16ELb0EE4sortIPKfPfPKlPlEEbT_T0_T1_T2_jjjjRNS3_12storage_typeE@rel32@lo+4
	s_addc_u32 s15, s15, _ZN7rocprim17ROCPRIM_400000_NS6detail40segmented_radix_sort_single_block_helperIflLj256ELj16ELb0EE4sortIPKfPfPKlPlEEbT_T0_T1_T2_jjjjRNS3_12storage_typeE@rel32@hi+12
	s_mov_b32 s12, s6
	s_mov_b32 s13, s27
	;; [unrolled: 1-line block ×3, first 2 shown]
	s_mov_b64 s[34:35], s[4:5]
	s_swappc_b64 s[30:31], s[14:15]
	v_mov_b32_e32 v1, v41
	v_mov_b32_e32 v2, v42
	;; [unrolled: 1-line block ×3, first 2 shown]
	s_mov_b64 s[4:5], s[34:35]
	s_mov_b32 s6, s28
.LBB1429_6:
	s_mov_b32 s7, 0
.LBB1429_7:
	s_andn2_b32 vcc_lo, exec_lo, s7
	s_cbranch_vccnz .LBB1429_1190
; %bb.8:
	s_cmp_ge_u32 s53, s54
	s_cbranch_scc1 .LBB1429_1190
; %bb.9:
	v_and_b32_e32 v5, 0xe0, v0
	v_and_b32_e32 v3, 3, v0
	v_lshlrev_b32_e32 v41, 2, v0
	v_lshrrev_b32_e32 v7, 3, v0
	s_add_u32 s56, s4, 0x60
	v_min_u32_e32 v6, 0x60, v5
	v_lshlrev_b32_e32 v59, 2, v3
	v_mad_u32_u24 v61, v0, 12, v41
	v_and_b32_e32 v60, 28, v7
	v_add_nc_u32_e32 v7, 1, v0
	v_or_b32_e32 v3, 31, v6
	v_lshlrev_b32_e32 v6, 4, v0
	v_add_nc_u32_e32 v65, v61, v41
	v_mbcnt_lo_u32_b32 v79, -1, 0
	v_mul_u32_u24_e32 v67, 36, v7
	v_cmp_eq_u32_e64 s8, v0, v3
	v_or_b32_e32 v3, 31, v5
	v_and_b32_e32 v5, 0xe00, v6
	v_sub_nc_u32_e32 v66, v65, v6
	v_cmp_ne_u32_e64 s13, 0x80, v7
	v_lshlrev_b32_e32 v102, 3, v79
	v_cmp_eq_u32_e64 s4, v0, v3
	v_lshlrev_b32_e32 v3, 3, v5
	v_lshlrev_b32_e32 v6, 2, v5
	;; [unrolled: 1-line block ×3, first 2 shown]
	v_or_b32_e32 v45, 0x200, v0
	v_or_b32_e32 v46, 0x300, v0
	v_add_co_u32 v7, s14, s50, v3
	v_add_co_ci_u32_e64 v8, null, s51, 0, s14
	v_add_co_u32 v9, s14, s44, v6
	v_add_co_ci_u32_e64 v10, null, s45, 0, s14
	;; [unrolled: 2-line block ×5, first 2 shown]
	v_add_co_u32 v75, s14, s40, v41
	v_or_b32_e32 v47, 0x400, v0
	v_or_b32_e32 v48, 0x500, v0
	;; [unrolled: 1-line block ×13, first 2 shown]
	v_add_co_ci_u32_e64 v76, null, s41, 0, s14
	v_add_co_u32 v77, s14, s46, v3
	v_add_co_u32 v106, vcc_lo, v7, v102
	v_add_co_u32 v43, s7, s44, v41
	v_add_co_ci_u32_e64 v78, null, s47, 0, s14
	v_add_co_u32 v80, s14, s40, v6
	v_add_co_ci_u32_e64 v107, null, 0, v8, vcc_lo
	v_add_co_u32 v124, vcc_lo, v9, v120
	v_mov_b32_e32 v4, 0
	v_or_b32_e32 v42, 0x100, v0
	v_add_co_ci_u32_e64 v44, null, s45, 0, s7
	v_cmp_gt_u32_e64 s7, 0x80, v0
	v_or_b32_e32 v62, 0x8200, v60
	v_cmp_gt_u32_e64 s9, 4, v0
	v_add_nc_u32_e32 v63, 0x8200, v41
	v_cmp_lt_u32_e64 s10, 31, v0
	v_add_nc_u32_e32 v64, 0x81fc, v60
	v_cmp_gt_u32_e64 s11, 8, v0
	v_cmp_eq_u32_e64 s12, 0, v0
	v_lshl_add_u32 v68, v0, 5, v66
	v_add_co_ci_u32_e64 v81, null, s41, 0, s14
	v_mov_b32_e32 v82, 1
	v_and_b32_e32 v83, 15, v79
	v_bfe_i32 v84, v79, 4, 1
	v_and_b32_e32 v85, 16, v79
	v_lshlrev_b32_e32 v86, 2, v0
	v_lshlrev_b32_e32 v87, 2, v45
	;; [unrolled: 1-line block ×15, first 2 shown]
	v_and_b32_e32 v101, 3, v79
	v_sub_co_u32 v103, s14, v79, 1
	v_and_b32_e32 v104, 7, v79
	v_or_b32_e32 v108, 32, v105
	v_or_b32_e32 v109, 64, v105
	;; [unrolled: 1-line block ×15, first 2 shown]
	v_add_co_ci_u32_e64 v125, null, 0, v10, vcc_lo
	s_addc_u32 s57, s5, 0
	s_mov_b32 s47, 0
	s_mov_b32 s52, s53
	s_branch .LBB1429_12
.LBB1429_10:                            ;   in Loop: Header=BB1429_12 Depth=1
	s_waitcnt lgkmcnt(0)
	s_barrier
.LBB1429_11:                            ;   in Loop: Header=BB1429_12 Depth=1
	s_add_i32 s52, s52, 7
	buffer_gl0_inv
	s_cmp_ge_u32 s52, s54
	s_cbranch_scc1 .LBB1429_1190
.LBB1429_12:                            ; =>This Loop Header: Depth=1
                                        ;     Child Loop BB1429_16 Depth 2
                                        ;     Child Loop BB1429_96 Depth 2
	;; [unrolled: 1-line block ×8, first 2 shown]
	s_sub_i32 s5, s54, s52
	s_xor_b32 s55, s55, -1
	s_min_u32 s5, s5, 7
	ds_write2st64_b32 v41, v4, v4 offset1:4
	s_lshl_b32 s5, -1, s5
	s_waitcnt lgkmcnt(0)
	s_waitcnt_vscnt null, 0x0
	s_not_b32 s61, s5
	s_cmp_lg_u32 s52, s53
	s_mov_b32 s5, -1
	s_cbranch_scc0 .LBB1429_602
; %bb.13:                               ;   in Loop: Header=BB1429_12 Depth=1
	s_and_b32 vcc_lo, exec_lo, s55
	s_cbranch_vccz .LBB1429_307
; %bb.14:                               ;   in Loop: Header=BB1429_12 Depth=1
	s_mov_b32 s5, s60
	s_mov_b32 s46, s58
	s_barrier
	buffer_gl0_inv
                                        ; implicit-def: $vgpr3
                                        ; implicit-def: $vgpr5
                                        ; implicit-def: $vgpr6
                                        ; implicit-def: $vgpr7
                                        ; implicit-def: $vgpr8
                                        ; implicit-def: $vgpr9
                                        ; implicit-def: $vgpr10
                                        ; implicit-def: $vgpr11
                                        ; implicit-def: $vgpr12
                                        ; implicit-def: $vgpr13
                                        ; implicit-def: $vgpr14
                                        ; implicit-def: $vgpr15
                                        ; implicit-def: $vgpr16
                                        ; implicit-def: $vgpr17
                                        ; implicit-def: $vgpr18
                                        ; implicit-def: $vgpr19
	s_branch .LBB1429_16
.LBB1429_15:                            ;   in Loop: Header=BB1429_16 Depth=2
	s_or_b32 exec_lo, exec_lo, s16
	s_addk_i32 s5, 0xf000
	s_cmp_ge_u32 s15, s59
	s_mov_b32 s46, s15
	s_cbranch_scc1 .LBB1429_84
.LBB1429_16:                            ;   Parent Loop BB1429_12 Depth=1
                                        ; =>  This Inner Loop Header: Depth=2
	s_add_i32 s15, s46, 0x1000
	s_mov_b32 s16, -1
	s_cmp_gt_u32 s15, s59
                                        ; implicit-def: $vgpr20
                                        ; implicit-def: $vgpr21
                                        ; implicit-def: $vgpr24
                                        ; implicit-def: $vgpr22
                                        ; implicit-def: $vgpr26
                                        ; implicit-def: $vgpr23
                                        ; implicit-def: $vgpr28
                                        ; implicit-def: $vgpr25
                                        ; implicit-def: $vgpr30
                                        ; implicit-def: $vgpr27
                                        ; implicit-def: $vgpr31
                                        ; implicit-def: $vgpr29
                                        ; implicit-def: $vgpr33
                                        ; implicit-def: $vgpr32
                                        ; implicit-def: $vgpr34
                                        ; implicit-def: $vgpr35
	s_cbranch_scc1 .LBB1429_18
; %bb.17:                               ;   in Loop: Header=BB1429_16 Depth=2
	s_lshl_b64 s[16:17], s[46:47], 2
	v_add_co_u32 v30, vcc_lo, v43, s16
	v_add_co_ci_u32_e64 v31, null, s17, v44, vcc_lo
	s_mov_b32 s16, 0
	v_add_co_u32 v22, vcc_lo, 0x800, v30
	v_add_co_ci_u32_e64 v23, null, 0, v31, vcc_lo
	v_add_co_u32 v33, vcc_lo, v30, 0x1000
	v_add_co_ci_u32_e64 v34, null, 0, v31, vcc_lo
	;; [unrolled: 2-line block ×9, first 2 shown]
	s_clause 0x7
	global_load_dword v20, v[30:31], off
	global_load_dword v21, v[30:31], off offset:1024
	global_load_dword v22, v[22:23], off offset:1024
	;; [unrolled: 1-line block ×7, first 2 shown]
	v_add_co_u32 v37, vcc_lo, 0x3800, v30
	v_add_co_ci_u32_e64 v38, null, 0, v31, vcc_lo
	s_clause 0x7
	global_load_dword v24, v[33:34], off offset:-2048
	global_load_dword v26, v[33:34], off
	global_load_dword v28, v[35:36], off offset:-2048
	global_load_dword v30, v[35:36], off
	;; [unrolled: 2-line block ×3, first 2 shown]
	global_load_dword v34, v[37:38], off
	global_load_dword v35, v[37:38], off offset:1024
.LBB1429_18:                            ;   in Loop: Header=BB1429_16 Depth=2
	s_andn2_b32 vcc_lo, exec_lo, s16
	s_movk_i32 s16, 0x1000
	s_cbranch_vccnz .LBB1429_37
; %bb.19:                               ;   in Loop: Header=BB1429_16 Depth=2
	s_lshl_b64 s[16:17], s[46:47], 2
	s_mov_b32 s18, exec_lo
	s_add_u32 s16, s44, s16
	s_addc_u32 s17, s45, s17
	v_cmpx_gt_u32_e64 s5, v0
	s_cbranch_execnz .LBB1429_69
; %bb.20:                               ;   in Loop: Header=BB1429_16 Depth=2
	s_or_b32 exec_lo, exec_lo, s18
	s_mov_b32 s18, exec_lo
	v_cmpx_gt_u32_e64 s5, v42
	s_cbranch_execnz .LBB1429_70
.LBB1429_21:                            ;   in Loop: Header=BB1429_16 Depth=2
	s_or_b32 exec_lo, exec_lo, s18
	s_mov_b32 s18, exec_lo
	v_cmpx_gt_u32_e64 s5, v45
	s_cbranch_execnz .LBB1429_71
.LBB1429_22:                            ;   in Loop: Header=BB1429_16 Depth=2
	s_or_b32 exec_lo, exec_lo, s18
	s_mov_b32 s18, exec_lo
	v_cmpx_gt_u32_e64 s5, v46
	s_cbranch_execnz .LBB1429_72
.LBB1429_23:                            ;   in Loop: Header=BB1429_16 Depth=2
	s_or_b32 exec_lo, exec_lo, s18
	s_mov_b32 s18, exec_lo
	v_cmpx_gt_u32_e64 s5, v47
	s_cbranch_execnz .LBB1429_73
.LBB1429_24:                            ;   in Loop: Header=BB1429_16 Depth=2
	s_or_b32 exec_lo, exec_lo, s18
	s_mov_b32 s18, exec_lo
	v_cmpx_gt_u32_e64 s5, v48
	s_cbranch_execnz .LBB1429_74
.LBB1429_25:                            ;   in Loop: Header=BB1429_16 Depth=2
	s_or_b32 exec_lo, exec_lo, s18
	s_mov_b32 s18, exec_lo
	v_cmpx_gt_u32_e64 s5, v49
	s_cbranch_execnz .LBB1429_75
.LBB1429_26:                            ;   in Loop: Header=BB1429_16 Depth=2
	s_or_b32 exec_lo, exec_lo, s18
	s_mov_b32 s18, exec_lo
	v_cmpx_gt_u32_e64 s5, v50
	s_cbranch_execnz .LBB1429_76
.LBB1429_27:                            ;   in Loop: Header=BB1429_16 Depth=2
	s_or_b32 exec_lo, exec_lo, s18
	s_mov_b32 s18, exec_lo
	v_cmpx_gt_u32_e64 s5, v51
	s_cbranch_execnz .LBB1429_77
.LBB1429_28:                            ;   in Loop: Header=BB1429_16 Depth=2
	s_or_b32 exec_lo, exec_lo, s18
	s_mov_b32 s18, exec_lo
	v_cmpx_gt_u32_e64 s5, v52
	s_cbranch_execnz .LBB1429_78
.LBB1429_29:                            ;   in Loop: Header=BB1429_16 Depth=2
	s_or_b32 exec_lo, exec_lo, s18
	s_mov_b32 s18, exec_lo
	v_cmpx_gt_u32_e64 s5, v53
	s_cbranch_execnz .LBB1429_79
.LBB1429_30:                            ;   in Loop: Header=BB1429_16 Depth=2
	s_or_b32 exec_lo, exec_lo, s18
	s_mov_b32 s18, exec_lo
	v_cmpx_gt_u32_e64 s5, v54
	s_cbranch_execnz .LBB1429_80
.LBB1429_31:                            ;   in Loop: Header=BB1429_16 Depth=2
	s_or_b32 exec_lo, exec_lo, s18
	s_mov_b32 s18, exec_lo
	v_cmpx_gt_u32_e64 s5, v55
	s_cbranch_execnz .LBB1429_81
.LBB1429_32:                            ;   in Loop: Header=BB1429_16 Depth=2
	s_or_b32 exec_lo, exec_lo, s18
	s_mov_b32 s18, exec_lo
	v_cmpx_gt_u32_e64 s5, v56
	s_cbranch_execnz .LBB1429_82
.LBB1429_33:                            ;   in Loop: Header=BB1429_16 Depth=2
	s_or_b32 exec_lo, exec_lo, s18
	s_mov_b32 s18, exec_lo
	v_cmpx_gt_u32_e64 s5, v57
	s_cbranch_execnz .LBB1429_83
.LBB1429_34:                            ;   in Loop: Header=BB1429_16 Depth=2
	s_or_b32 exec_lo, exec_lo, s18
	s_mov_b32 s18, exec_lo
	v_cmpx_gt_u32_e64 s5, v58
	s_cbranch_execz .LBB1429_36
.LBB1429_35:                            ;   in Loop: Header=BB1429_16 Depth=2
	global_load_dword v3, v100, s[16:17]
.LBB1429_36:                            ;   in Loop: Header=BB1429_16 Depth=2
	s_or_b32 exec_lo, exec_lo, s18
	s_waitcnt vmcnt(0)
	v_mov_b32_e32 v20, v19
	v_mov_b32_e32 v21, v18
	;; [unrolled: 1-line block ×16, first 2 shown]
	s_mov_b32 s16, s5
.LBB1429_37:                            ;   in Loop: Header=BB1429_16 Depth=2
	s_waitcnt vmcnt(0)
	v_mov_b32_e32 v3, v35
	v_mov_b32_e32 v5, v34
	;; [unrolled: 1-line block ×16, first 2 shown]
	s_mov_b32 s17, exec_lo
	v_cmpx_gt_u32_e64 s16, v0
	s_cbranch_execnz .LBB1429_53
; %bb.38:                               ;   in Loop: Header=BB1429_16 Depth=2
	s_or_b32 exec_lo, exec_lo, s17
	s_mov_b32 s17, exec_lo
	v_cmpx_gt_u32_e64 s16, v42
	s_cbranch_execnz .LBB1429_54
.LBB1429_39:                            ;   in Loop: Header=BB1429_16 Depth=2
	s_or_b32 exec_lo, exec_lo, s17
	s_mov_b32 s17, exec_lo
	v_cmpx_gt_u32_e64 s16, v45
	s_cbranch_execnz .LBB1429_55
.LBB1429_40:                            ;   in Loop: Header=BB1429_16 Depth=2
	s_or_b32 exec_lo, exec_lo, s17
	s_mov_b32 s17, exec_lo
	v_cmpx_gt_u32_e64 s16, v46
	s_cbranch_execnz .LBB1429_56
.LBB1429_41:                            ;   in Loop: Header=BB1429_16 Depth=2
	s_or_b32 exec_lo, exec_lo, s17
	s_mov_b32 s17, exec_lo
	v_cmpx_gt_u32_e64 s16, v47
	s_cbranch_execnz .LBB1429_57
.LBB1429_42:                            ;   in Loop: Header=BB1429_16 Depth=2
	s_or_b32 exec_lo, exec_lo, s17
	s_mov_b32 s17, exec_lo
	v_cmpx_gt_u32_e64 s16, v48
	s_cbranch_execnz .LBB1429_58
.LBB1429_43:                            ;   in Loop: Header=BB1429_16 Depth=2
	s_or_b32 exec_lo, exec_lo, s17
	s_mov_b32 s17, exec_lo
	v_cmpx_gt_u32_e64 s16, v49
	s_cbranch_execnz .LBB1429_59
.LBB1429_44:                            ;   in Loop: Header=BB1429_16 Depth=2
	s_or_b32 exec_lo, exec_lo, s17
	s_mov_b32 s17, exec_lo
	v_cmpx_gt_u32_e64 s16, v50
	s_cbranch_execnz .LBB1429_60
.LBB1429_45:                            ;   in Loop: Header=BB1429_16 Depth=2
	s_or_b32 exec_lo, exec_lo, s17
	s_mov_b32 s17, exec_lo
	v_cmpx_gt_u32_e64 s16, v51
	s_cbranch_execnz .LBB1429_61
.LBB1429_46:                            ;   in Loop: Header=BB1429_16 Depth=2
	s_or_b32 exec_lo, exec_lo, s17
	s_mov_b32 s17, exec_lo
	v_cmpx_gt_u32_e64 s16, v52
	s_cbranch_execnz .LBB1429_62
.LBB1429_47:                            ;   in Loop: Header=BB1429_16 Depth=2
	s_or_b32 exec_lo, exec_lo, s17
	s_mov_b32 s17, exec_lo
	v_cmpx_gt_u32_e64 s16, v53
	s_cbranch_execnz .LBB1429_63
.LBB1429_48:                            ;   in Loop: Header=BB1429_16 Depth=2
	s_or_b32 exec_lo, exec_lo, s17
	s_mov_b32 s17, exec_lo
	v_cmpx_gt_u32_e64 s16, v54
	s_cbranch_execnz .LBB1429_64
.LBB1429_49:                            ;   in Loop: Header=BB1429_16 Depth=2
	s_or_b32 exec_lo, exec_lo, s17
	s_mov_b32 s17, exec_lo
	v_cmpx_gt_u32_e64 s16, v55
	s_cbranch_execnz .LBB1429_65
.LBB1429_50:                            ;   in Loop: Header=BB1429_16 Depth=2
	s_or_b32 exec_lo, exec_lo, s17
	s_mov_b32 s17, exec_lo
	v_cmpx_gt_u32_e64 s16, v56
	s_cbranch_execnz .LBB1429_66
.LBB1429_51:                            ;   in Loop: Header=BB1429_16 Depth=2
	s_or_b32 exec_lo, exec_lo, s17
	s_mov_b32 s17, exec_lo
	v_cmpx_gt_u32_e64 s16, v57
	s_cbranch_execnz .LBB1429_67
.LBB1429_52:                            ;   in Loop: Header=BB1429_16 Depth=2
	s_or_b32 exec_lo, exec_lo, s17
	v_cmp_gt_u32_e32 vcc_lo, s16, v58
	s_and_saveexec_b32 s16, vcc_lo
	s_cbranch_execz .LBB1429_15
	s_branch .LBB1429_68
.LBB1429_53:                            ;   in Loop: Header=BB1429_16 Depth=2
	v_cmp_lt_i32_e32 vcc_lo, -1, v19
	v_cndmask_b32_e64 v20, -1, 0x80000000, vcc_lo
	v_xor_b32_e32 v20, v20, v19
	v_cmp_ne_u32_e32 vcc_lo, 0x7fffffff, v20
	v_cndmask_b32_e32 v20, 0x80000000, v20, vcc_lo
	v_lshrrev_b32_e32 v20, s52, v20
	v_and_b32_e32 v20, s61, v20
	v_lshl_or_b32 v20, v20, 4, v59
	ds_add_u32 v20, v82
	s_or_b32 exec_lo, exec_lo, s17
	s_mov_b32 s17, exec_lo
	v_cmpx_gt_u32_e64 s16, v42
	s_cbranch_execz .LBB1429_39
.LBB1429_54:                            ;   in Loop: Header=BB1429_16 Depth=2
	v_cmp_lt_i32_e32 vcc_lo, -1, v18
	v_cndmask_b32_e64 v20, -1, 0x80000000, vcc_lo
	v_xor_b32_e32 v20, v20, v18
	v_cmp_ne_u32_e32 vcc_lo, 0x7fffffff, v20
	v_cndmask_b32_e32 v20, 0x80000000, v20, vcc_lo
	v_lshrrev_b32_e32 v20, s52, v20
	v_and_b32_e32 v20, s61, v20
	v_lshl_or_b32 v20, v20, 4, v59
	ds_add_u32 v20, v82
	s_or_b32 exec_lo, exec_lo, s17
	s_mov_b32 s17, exec_lo
	v_cmpx_gt_u32_e64 s16, v45
	s_cbranch_execz .LBB1429_40
.LBB1429_55:                            ;   in Loop: Header=BB1429_16 Depth=2
	v_cmp_lt_i32_e32 vcc_lo, -1, v17
	v_cndmask_b32_e64 v20, -1, 0x80000000, vcc_lo
	v_xor_b32_e32 v20, v20, v17
	v_cmp_ne_u32_e32 vcc_lo, 0x7fffffff, v20
	v_cndmask_b32_e32 v20, 0x80000000, v20, vcc_lo
	v_lshrrev_b32_e32 v20, s52, v20
	v_and_b32_e32 v20, s61, v20
	v_lshl_or_b32 v20, v20, 4, v59
	ds_add_u32 v20, v82
	s_or_b32 exec_lo, exec_lo, s17
	s_mov_b32 s17, exec_lo
	v_cmpx_gt_u32_e64 s16, v46
	s_cbranch_execz .LBB1429_41
.LBB1429_56:                            ;   in Loop: Header=BB1429_16 Depth=2
	v_cmp_lt_i32_e32 vcc_lo, -1, v16
	v_cndmask_b32_e64 v20, -1, 0x80000000, vcc_lo
	v_xor_b32_e32 v20, v20, v16
	v_cmp_ne_u32_e32 vcc_lo, 0x7fffffff, v20
	v_cndmask_b32_e32 v20, 0x80000000, v20, vcc_lo
	v_lshrrev_b32_e32 v20, s52, v20
	v_and_b32_e32 v20, s61, v20
	v_lshl_or_b32 v20, v20, 4, v59
	ds_add_u32 v20, v82
	s_or_b32 exec_lo, exec_lo, s17
	s_mov_b32 s17, exec_lo
	v_cmpx_gt_u32_e64 s16, v47
	s_cbranch_execz .LBB1429_42
.LBB1429_57:                            ;   in Loop: Header=BB1429_16 Depth=2
	v_cmp_lt_i32_e32 vcc_lo, -1, v15
	v_cndmask_b32_e64 v20, -1, 0x80000000, vcc_lo
	v_xor_b32_e32 v20, v20, v15
	v_cmp_ne_u32_e32 vcc_lo, 0x7fffffff, v20
	v_cndmask_b32_e32 v20, 0x80000000, v20, vcc_lo
	v_lshrrev_b32_e32 v20, s52, v20
	v_and_b32_e32 v20, s61, v20
	v_lshl_or_b32 v20, v20, 4, v59
	ds_add_u32 v20, v82
	s_or_b32 exec_lo, exec_lo, s17
	s_mov_b32 s17, exec_lo
	v_cmpx_gt_u32_e64 s16, v48
	s_cbranch_execz .LBB1429_43
.LBB1429_58:                            ;   in Loop: Header=BB1429_16 Depth=2
	v_cmp_lt_i32_e32 vcc_lo, -1, v14
	v_cndmask_b32_e64 v20, -1, 0x80000000, vcc_lo
	v_xor_b32_e32 v20, v20, v14
	v_cmp_ne_u32_e32 vcc_lo, 0x7fffffff, v20
	v_cndmask_b32_e32 v20, 0x80000000, v20, vcc_lo
	v_lshrrev_b32_e32 v20, s52, v20
	v_and_b32_e32 v20, s61, v20
	v_lshl_or_b32 v20, v20, 4, v59
	ds_add_u32 v20, v82
	s_or_b32 exec_lo, exec_lo, s17
	s_mov_b32 s17, exec_lo
	v_cmpx_gt_u32_e64 s16, v49
	s_cbranch_execz .LBB1429_44
.LBB1429_59:                            ;   in Loop: Header=BB1429_16 Depth=2
	v_cmp_lt_i32_e32 vcc_lo, -1, v13
	v_cndmask_b32_e64 v20, -1, 0x80000000, vcc_lo
	v_xor_b32_e32 v20, v20, v13
	v_cmp_ne_u32_e32 vcc_lo, 0x7fffffff, v20
	v_cndmask_b32_e32 v20, 0x80000000, v20, vcc_lo
	v_lshrrev_b32_e32 v20, s52, v20
	v_and_b32_e32 v20, s61, v20
	v_lshl_or_b32 v20, v20, 4, v59
	ds_add_u32 v20, v82
	s_or_b32 exec_lo, exec_lo, s17
	s_mov_b32 s17, exec_lo
	v_cmpx_gt_u32_e64 s16, v50
	s_cbranch_execz .LBB1429_45
.LBB1429_60:                            ;   in Loop: Header=BB1429_16 Depth=2
	v_cmp_lt_i32_e32 vcc_lo, -1, v12
	v_cndmask_b32_e64 v20, -1, 0x80000000, vcc_lo
	v_xor_b32_e32 v20, v20, v12
	v_cmp_ne_u32_e32 vcc_lo, 0x7fffffff, v20
	v_cndmask_b32_e32 v20, 0x80000000, v20, vcc_lo
	v_lshrrev_b32_e32 v20, s52, v20
	v_and_b32_e32 v20, s61, v20
	v_lshl_or_b32 v20, v20, 4, v59
	ds_add_u32 v20, v82
	s_or_b32 exec_lo, exec_lo, s17
	s_mov_b32 s17, exec_lo
	v_cmpx_gt_u32_e64 s16, v51
	s_cbranch_execz .LBB1429_46
.LBB1429_61:                            ;   in Loop: Header=BB1429_16 Depth=2
	v_cmp_lt_i32_e32 vcc_lo, -1, v11
	v_cndmask_b32_e64 v20, -1, 0x80000000, vcc_lo
	v_xor_b32_e32 v20, v20, v11
	v_cmp_ne_u32_e32 vcc_lo, 0x7fffffff, v20
	v_cndmask_b32_e32 v20, 0x80000000, v20, vcc_lo
	v_lshrrev_b32_e32 v20, s52, v20
	v_and_b32_e32 v20, s61, v20
	v_lshl_or_b32 v20, v20, 4, v59
	ds_add_u32 v20, v82
	s_or_b32 exec_lo, exec_lo, s17
	s_mov_b32 s17, exec_lo
	v_cmpx_gt_u32_e64 s16, v52
	s_cbranch_execz .LBB1429_47
.LBB1429_62:                            ;   in Loop: Header=BB1429_16 Depth=2
	v_cmp_lt_i32_e32 vcc_lo, -1, v10
	v_cndmask_b32_e64 v20, -1, 0x80000000, vcc_lo
	v_xor_b32_e32 v20, v20, v10
	v_cmp_ne_u32_e32 vcc_lo, 0x7fffffff, v20
	v_cndmask_b32_e32 v20, 0x80000000, v20, vcc_lo
	v_lshrrev_b32_e32 v20, s52, v20
	v_and_b32_e32 v20, s61, v20
	v_lshl_or_b32 v20, v20, 4, v59
	ds_add_u32 v20, v82
	s_or_b32 exec_lo, exec_lo, s17
	s_mov_b32 s17, exec_lo
	v_cmpx_gt_u32_e64 s16, v53
	s_cbranch_execz .LBB1429_48
.LBB1429_63:                            ;   in Loop: Header=BB1429_16 Depth=2
	v_cmp_lt_i32_e32 vcc_lo, -1, v9
	v_cndmask_b32_e64 v20, -1, 0x80000000, vcc_lo
	v_xor_b32_e32 v20, v20, v9
	v_cmp_ne_u32_e32 vcc_lo, 0x7fffffff, v20
	v_cndmask_b32_e32 v20, 0x80000000, v20, vcc_lo
	v_lshrrev_b32_e32 v20, s52, v20
	v_and_b32_e32 v20, s61, v20
	v_lshl_or_b32 v20, v20, 4, v59
	ds_add_u32 v20, v82
	s_or_b32 exec_lo, exec_lo, s17
	s_mov_b32 s17, exec_lo
	v_cmpx_gt_u32_e64 s16, v54
	s_cbranch_execz .LBB1429_49
.LBB1429_64:                            ;   in Loop: Header=BB1429_16 Depth=2
	v_cmp_lt_i32_e32 vcc_lo, -1, v8
	v_cndmask_b32_e64 v20, -1, 0x80000000, vcc_lo
	v_xor_b32_e32 v20, v20, v8
	v_cmp_ne_u32_e32 vcc_lo, 0x7fffffff, v20
	v_cndmask_b32_e32 v20, 0x80000000, v20, vcc_lo
	v_lshrrev_b32_e32 v20, s52, v20
	v_and_b32_e32 v20, s61, v20
	v_lshl_or_b32 v20, v20, 4, v59
	ds_add_u32 v20, v82
	s_or_b32 exec_lo, exec_lo, s17
	s_mov_b32 s17, exec_lo
	v_cmpx_gt_u32_e64 s16, v55
	s_cbranch_execz .LBB1429_50
.LBB1429_65:                            ;   in Loop: Header=BB1429_16 Depth=2
	v_cmp_lt_i32_e32 vcc_lo, -1, v7
	v_cndmask_b32_e64 v20, -1, 0x80000000, vcc_lo
	v_xor_b32_e32 v20, v20, v7
	v_cmp_ne_u32_e32 vcc_lo, 0x7fffffff, v20
	v_cndmask_b32_e32 v20, 0x80000000, v20, vcc_lo
	v_lshrrev_b32_e32 v20, s52, v20
	v_and_b32_e32 v20, s61, v20
	v_lshl_or_b32 v20, v20, 4, v59
	ds_add_u32 v20, v82
	s_or_b32 exec_lo, exec_lo, s17
	s_mov_b32 s17, exec_lo
	v_cmpx_gt_u32_e64 s16, v56
	s_cbranch_execz .LBB1429_51
.LBB1429_66:                            ;   in Loop: Header=BB1429_16 Depth=2
	v_cmp_lt_i32_e32 vcc_lo, -1, v6
	v_cndmask_b32_e64 v20, -1, 0x80000000, vcc_lo
	v_xor_b32_e32 v20, v20, v6
	v_cmp_ne_u32_e32 vcc_lo, 0x7fffffff, v20
	v_cndmask_b32_e32 v20, 0x80000000, v20, vcc_lo
	v_lshrrev_b32_e32 v20, s52, v20
	v_and_b32_e32 v20, s61, v20
	v_lshl_or_b32 v20, v20, 4, v59
	ds_add_u32 v20, v82
	s_or_b32 exec_lo, exec_lo, s17
	s_mov_b32 s17, exec_lo
	v_cmpx_gt_u32_e64 s16, v57
	s_cbranch_execz .LBB1429_52
.LBB1429_67:                            ;   in Loop: Header=BB1429_16 Depth=2
	v_cmp_lt_i32_e32 vcc_lo, -1, v5
	v_cndmask_b32_e64 v20, -1, 0x80000000, vcc_lo
	v_xor_b32_e32 v20, v20, v5
	v_cmp_ne_u32_e32 vcc_lo, 0x7fffffff, v20
	v_cndmask_b32_e32 v20, 0x80000000, v20, vcc_lo
	v_lshrrev_b32_e32 v20, s52, v20
	v_and_b32_e32 v20, s61, v20
	v_lshl_or_b32 v20, v20, 4, v59
	ds_add_u32 v20, v82
	s_or_b32 exec_lo, exec_lo, s17
	v_cmp_gt_u32_e32 vcc_lo, s16, v58
	s_and_saveexec_b32 s16, vcc_lo
	s_cbranch_execz .LBB1429_15
.LBB1429_68:                            ;   in Loop: Header=BB1429_16 Depth=2
	v_cmp_lt_i32_e32 vcc_lo, -1, v3
	v_cndmask_b32_e64 v20, -1, 0x80000000, vcc_lo
	v_xor_b32_e32 v20, v20, v3
	v_cmp_ne_u32_e32 vcc_lo, 0x7fffffff, v20
	v_cndmask_b32_e32 v20, 0x80000000, v20, vcc_lo
	v_lshrrev_b32_e32 v20, s52, v20
	v_and_b32_e32 v20, s61, v20
	v_lshl_or_b32 v20, v20, 4, v59
	ds_add_u32 v20, v82
	s_branch .LBB1429_15
.LBB1429_69:                            ;   in Loop: Header=BB1429_16 Depth=2
	global_load_dword v19, v86, s[16:17]
	s_or_b32 exec_lo, exec_lo, s18
	s_mov_b32 s18, exec_lo
	v_cmpx_gt_u32_e64 s5, v42
	s_cbranch_execz .LBB1429_21
.LBB1429_70:                            ;   in Loop: Header=BB1429_16 Depth=2
	global_load_dword v18, v86, s[16:17] offset:1024
	s_or_b32 exec_lo, exec_lo, s18
	s_mov_b32 s18, exec_lo
	v_cmpx_gt_u32_e64 s5, v45
	s_cbranch_execz .LBB1429_22
.LBB1429_71:                            ;   in Loop: Header=BB1429_16 Depth=2
	global_load_dword v17, v87, s[16:17]
	s_or_b32 exec_lo, exec_lo, s18
	s_mov_b32 s18, exec_lo
	v_cmpx_gt_u32_e64 s5, v46
	s_cbranch_execz .LBB1429_23
.LBB1429_72:                            ;   in Loop: Header=BB1429_16 Depth=2
	global_load_dword v16, v88, s[16:17]
	s_or_b32 exec_lo, exec_lo, s18
	s_mov_b32 s18, exec_lo
	v_cmpx_gt_u32_e64 s5, v47
	s_cbranch_execz .LBB1429_24
.LBB1429_73:                            ;   in Loop: Header=BB1429_16 Depth=2
	global_load_dword v15, v89, s[16:17]
	s_or_b32 exec_lo, exec_lo, s18
	s_mov_b32 s18, exec_lo
	v_cmpx_gt_u32_e64 s5, v48
	s_cbranch_execz .LBB1429_25
.LBB1429_74:                            ;   in Loop: Header=BB1429_16 Depth=2
	global_load_dword v14, v90, s[16:17]
	s_or_b32 exec_lo, exec_lo, s18
	s_mov_b32 s18, exec_lo
	v_cmpx_gt_u32_e64 s5, v49
	s_cbranch_execz .LBB1429_26
.LBB1429_75:                            ;   in Loop: Header=BB1429_16 Depth=2
	global_load_dword v13, v91, s[16:17]
	s_or_b32 exec_lo, exec_lo, s18
	s_mov_b32 s18, exec_lo
	v_cmpx_gt_u32_e64 s5, v50
	s_cbranch_execz .LBB1429_27
.LBB1429_76:                            ;   in Loop: Header=BB1429_16 Depth=2
	global_load_dword v12, v92, s[16:17]
	s_or_b32 exec_lo, exec_lo, s18
	s_mov_b32 s18, exec_lo
	v_cmpx_gt_u32_e64 s5, v51
	s_cbranch_execz .LBB1429_28
.LBB1429_77:                            ;   in Loop: Header=BB1429_16 Depth=2
	global_load_dword v11, v93, s[16:17]
	s_or_b32 exec_lo, exec_lo, s18
	s_mov_b32 s18, exec_lo
	v_cmpx_gt_u32_e64 s5, v52
	s_cbranch_execz .LBB1429_29
.LBB1429_78:                            ;   in Loop: Header=BB1429_16 Depth=2
	global_load_dword v10, v94, s[16:17]
	s_or_b32 exec_lo, exec_lo, s18
	s_mov_b32 s18, exec_lo
	v_cmpx_gt_u32_e64 s5, v53
	s_cbranch_execz .LBB1429_30
.LBB1429_79:                            ;   in Loop: Header=BB1429_16 Depth=2
	global_load_dword v9, v95, s[16:17]
	s_or_b32 exec_lo, exec_lo, s18
	s_mov_b32 s18, exec_lo
	v_cmpx_gt_u32_e64 s5, v54
	s_cbranch_execz .LBB1429_31
.LBB1429_80:                            ;   in Loop: Header=BB1429_16 Depth=2
	global_load_dword v8, v96, s[16:17]
	s_or_b32 exec_lo, exec_lo, s18
	s_mov_b32 s18, exec_lo
	v_cmpx_gt_u32_e64 s5, v55
	s_cbranch_execz .LBB1429_32
.LBB1429_81:                            ;   in Loop: Header=BB1429_16 Depth=2
	global_load_dword v7, v97, s[16:17]
	s_or_b32 exec_lo, exec_lo, s18
	s_mov_b32 s18, exec_lo
	v_cmpx_gt_u32_e64 s5, v56
	s_cbranch_execz .LBB1429_33
.LBB1429_82:                            ;   in Loop: Header=BB1429_16 Depth=2
	global_load_dword v6, v98, s[16:17]
	s_or_b32 exec_lo, exec_lo, s18
	s_mov_b32 s18, exec_lo
	v_cmpx_gt_u32_e64 s5, v57
	s_cbranch_execz .LBB1429_34
.LBB1429_83:                            ;   in Loop: Header=BB1429_16 Depth=2
	global_load_dword v5, v99, s[16:17]
	s_or_b32 exec_lo, exec_lo, s18
	s_mov_b32 s18, exec_lo
	v_cmpx_gt_u32_e64 s5, v58
	s_cbranch_execnz .LBB1429_35
	s_branch .LBB1429_36
.LBB1429_84:                            ;   in Loop: Header=BB1429_12 Depth=1
	v_mov_b32_e32 v3, 0
	s_waitcnt lgkmcnt(0)
	s_barrier
	buffer_gl0_inv
	s_and_saveexec_b32 s5, s7
	s_cbranch_execz .LBB1429_86
; %bb.85:                               ;   in Loop: Header=BB1429_12 Depth=1
	ds_read2_b64 v[5:8], v61 offset1:1
	s_waitcnt lgkmcnt(0)
	v_add_nc_u32_e32 v3, v6, v5
	v_add3_u32 v3, v3, v7, v8
.LBB1429_86:                            ;   in Loop: Header=BB1429_12 Depth=1
	s_or_b32 exec_lo, exec_lo, s5
	v_mov_b32_dpp v5, v3 row_shr:1 row_mask:0xf bank_mask:0xf
	v_cmp_eq_u32_e64 s5, 0, v83
	v_cmp_lt_u32_e64 s15, 1, v83
	v_cmp_lt_u32_e64 s16, 3, v83
	;; [unrolled: 1-line block ×3, first 2 shown]
	v_cmp_eq_u32_e64 s18, 0, v85
	v_cndmask_b32_e64 v5, v5, 0, s5
	v_add_nc_u32_e32 v3, v5, v3
	v_mov_b32_dpp v5, v3 row_shr:2 row_mask:0xf bank_mask:0xf
	v_cndmask_b32_e64 v5, 0, v5, s15
	v_add_nc_u32_e32 v3, v3, v5
	v_mov_b32_dpp v5, v3 row_shr:4 row_mask:0xf bank_mask:0xf
	;; [unrolled: 3-line block ×3, first 2 shown]
	v_cndmask_b32_e64 v5, 0, v5, s17
	v_add_nc_u32_e32 v3, v3, v5
	ds_swizzle_b32 v5, v3 offset:swizzle(BROADCAST,32,15)
	s_waitcnt lgkmcnt(0)
	v_and_b32_e32 v5, v84, v5
	v_add_nc_u32_e32 v3, v3, v5
	s_and_saveexec_b32 s19, s8
; %bb.87:                               ;   in Loop: Header=BB1429_12 Depth=1
	ds_write_b32 v62, v3
; %bb.88:                               ;   in Loop: Header=BB1429_12 Depth=1
	s_or_b32 exec_lo, exec_lo, s19
	s_waitcnt lgkmcnt(0)
	s_barrier
	buffer_gl0_inv
	s_and_saveexec_b32 s19, s9
	s_cbranch_execz .LBB1429_90
; %bb.89:                               ;   in Loop: Header=BB1429_12 Depth=1
	ds_read_b32 v5, v63
	v_cmp_ne_u32_e32 vcc_lo, 0, v101
	s_waitcnt lgkmcnt(0)
	v_mov_b32_dpp v6, v5 row_shr:1 row_mask:0xf bank_mask:0xf
	v_cndmask_b32_e32 v6, 0, v6, vcc_lo
	v_cmp_lt_u32_e32 vcc_lo, 1, v101
	v_add_nc_u32_e32 v5, v6, v5
	v_mov_b32_dpp v6, v5 row_shr:2 row_mask:0xf bank_mask:0xf
	v_cndmask_b32_e32 v6, 0, v6, vcc_lo
	v_add_nc_u32_e32 v5, v5, v6
	ds_write_b32 v63, v5
.LBB1429_90:                            ;   in Loop: Header=BB1429_12 Depth=1
	s_or_b32 exec_lo, exec_lo, s19
	v_mov_b32_e32 v5, 0
	s_waitcnt lgkmcnt(0)
	s_barrier
	buffer_gl0_inv
	s_and_saveexec_b32 s19, s10
; %bb.91:                               ;   in Loop: Header=BB1429_12 Depth=1
	ds_read_b32 v5, v64
; %bb.92:                               ;   in Loop: Header=BB1429_12 Depth=1
	s_or_b32 exec_lo, exec_lo, s19
	v_cmp_gt_i32_e32 vcc_lo, 0, v103
	s_waitcnt lgkmcnt(0)
	v_add_nc_u32_e32 v3, v5, v3
	s_barrier
	buffer_gl0_inv
	v_cndmask_b32_e32 v6, v103, v79, vcc_lo
	v_lshlrev_b32_e32 v126, 2, v6
	ds_bpermute_b32 v3, v126, v3
	s_and_saveexec_b32 s19, s7
	s_cbranch_execz .LBB1429_94
; %bb.93:                               ;   in Loop: Header=BB1429_12 Depth=1
	s_waitcnt lgkmcnt(0)
	v_cndmask_b32_e64 v3, v3, v5, s14
	v_add_nc_u32_e32 v3, s58, v3
	ds_write_b32 v41, v3
.LBB1429_94:                            ;   in Loop: Header=BB1429_12 Depth=1
	s_or_b32 exec_lo, exec_lo, s19
	s_clause 0x1
	s_load_dword s19, s[56:57], 0x4
	s_load_dword s22, s[56:57], 0xc
	s_mov_b32 s62, s60
	s_mov_b32 s46, s58
                                        ; implicit-def: $vgpr7_vgpr8
                                        ; implicit-def: $vgpr9_vgpr10
                                        ; implicit-def: $vgpr11_vgpr12
                                        ; implicit-def: $vgpr13_vgpr14
                                        ; implicit-def: $vgpr17_vgpr18
                                        ; implicit-def: $vgpr21_vgpr22
                                        ; implicit-def: $vgpr25_vgpr26
                                        ; implicit-def: $vgpr15_vgpr16
                                        ; implicit-def: $vgpr19_vgpr20
                                        ; implicit-def: $vgpr23_vgpr24
                                        ; implicit-def: $vgpr27_vgpr28
                                        ; implicit-def: $vgpr29_vgpr30
                                        ; implicit-def: $vgpr31_vgpr32
                                        ; implicit-def: $vgpr33_vgpr34
                                        ; implicit-def: $vgpr35_vgpr36
                                        ; implicit-def: $vgpr128
                                        ; implicit-def: $vgpr129
                                        ; implicit-def: $vgpr130
                                        ; implicit-def: $vgpr131
                                        ; implicit-def: $vgpr132
                                        ; implicit-def: $vgpr133
                                        ; implicit-def: $vgpr134
                                        ; implicit-def: $vgpr135
                                        ; implicit-def: $vgpr136
                                        ; implicit-def: $vgpr137
                                        ; implicit-def: $vgpr138
                                        ; implicit-def: $vgpr139
                                        ; implicit-def: $vgpr141
                                        ; implicit-def: $vgpr142
                                        ; implicit-def: $vgpr143
                                        ; implicit-def: $vgpr144
                                        ; implicit-def: $vgpr140
                                        ; implicit-def: $vgpr145
	s_waitcnt lgkmcnt(0)
	s_cmp_lt_u32 s27, s19
	s_cselect_b32 s19, 14, 20
	s_add_u32 s20, s56, s19
	s_addc_u32 s21, s57, 0
	s_and_b32 s19, s22, 0xffff
	global_load_ushort v3, v4, s[20:21]
	v_cmp_lt_u32_e64 s20, 1, v104
	v_cmp_lt_u32_e64 s21, 3, v104
	s_waitcnt vmcnt(0)
	v_mad_u32_u24 v3, v2, v3, v1
	v_mad_u64_u32 v[5:6], null, v3, s19, v[0:1]
	v_cmp_eq_u32_e64 s19, 0, v104
	v_lshrrev_b32_e32 v3, 3, v5
                                        ; implicit-def: $vgpr5_vgpr6
	v_and_b32_e32 v127, 0x1ffffffc, v3
	s_branch .LBB1429_96
.LBB1429_95:                            ;   in Loop: Header=BB1429_96 Depth=2
	s_or_b32 exec_lo, exec_lo, s22
	s_addk_i32 s62, 0xf000
	s_cmp_lt_u32 s63, s59
	s_mov_b32 s46, s63
	s_cbranch_scc0 .LBB1429_306
.LBB1429_96:                            ;   Parent Loop BB1429_12 Depth=1
                                        ; =>  This Inner Loop Header: Depth=2
	s_add_i32 s63, s46, 0x1000
	s_cmp_gt_u32 s63, s59
	s_cbranch_scc1 .LBB1429_98
; %bb.97:                               ;   in Loop: Header=BB1429_96 Depth=2
	s_lshl_b64 s[22:23], s[46:47], 2
	v_add_co_u32 v37, vcc_lo, v124, s22
	v_add_co_ci_u32_e64 v38, null, s23, v125, vcc_lo
	s_mov_b32 s22, -1
	s_clause 0xe
	global_load_dword v3, v[37:38], off
	global_load_dword v147, v[37:38], off offset:128
	global_load_dword v150, v[37:38], off offset:256
	global_load_dword v154, v[37:38], off offset:384
	global_load_dword v158, v[37:38], off offset:512
	global_load_dword v164, v[37:38], off offset:640
	global_load_dword v169, v[37:38], off offset:768
	global_load_dword v174, v[37:38], off offset:896
	global_load_dword v177, v[37:38], off offset:1024
	global_load_dword v172, v[37:38], off offset:1152
	global_load_dword v168, v[37:38], off offset:1280
	global_load_dword v163, v[37:38], off offset:1408
	global_load_dword v160, v[37:38], off offset:1536
	global_load_dword v40, v[37:38], off offset:1664
	global_load_dword v39, v[37:38], off offset:1792
	s_movk_i32 s23, 0x1000
	s_cbranch_execz .LBB1429_99
	s_branch .LBB1429_130
.LBB1429_98:                            ;   in Loop: Header=BB1429_96 Depth=2
	s_mov_b32 s22, 0
                                        ; implicit-def: $vgpr3
                                        ; implicit-def: $vgpr147
                                        ; implicit-def: $vgpr150
                                        ; implicit-def: $vgpr154
                                        ; implicit-def: $vgpr158
                                        ; implicit-def: $vgpr164
                                        ; implicit-def: $vgpr169
                                        ; implicit-def: $vgpr174
                                        ; implicit-def: $vgpr177
                                        ; implicit-def: $vgpr172
                                        ; implicit-def: $vgpr168
                                        ; implicit-def: $vgpr163
                                        ; implicit-def: $vgpr160
                                        ; implicit-def: $vgpr40
                                        ; implicit-def: $vgpr39
	s_movk_i32 s23, 0x1000
.LBB1429_99:                            ;   in Loop: Header=BB1429_96 Depth=2
	s_lshl_b64 s[22:23], s[46:47], 2
	s_waitcnt vmcnt(13)
	v_bfrev_b32_e32 v147, -2
	v_add_co_u32 v37, vcc_lo, v124, s22
	v_add_co_ci_u32_e64 v38, null, s23, v125, vcc_lo
	v_bfrev_b32_e32 v3, -2
	s_mov_b32 s22, exec_lo
	v_cmpx_gt_u32_e64 s62, v105
	s_cbranch_execz .LBB1429_101
; %bb.100:                              ;   in Loop: Header=BB1429_96 Depth=2
	global_load_dword v3, v[37:38], off
.LBB1429_101:                           ;   in Loop: Header=BB1429_96 Depth=2
	s_or_b32 exec_lo, exec_lo, s22
	s_mov_b32 s22, exec_lo
	v_cmpx_gt_u32_e64 s62, v108
	s_cbranch_execz .LBB1429_103
; %bb.102:                              ;   in Loop: Header=BB1429_96 Depth=2
	global_load_dword v147, v[37:38], off offset:128
.LBB1429_103:                           ;   in Loop: Header=BB1429_96 Depth=2
	s_or_b32 exec_lo, exec_lo, s22
	s_waitcnt vmcnt(11)
	v_bfrev_b32_e32 v154, -2
	v_bfrev_b32_e32 v150, -2
	s_mov_b32 s22, exec_lo
	v_cmpx_gt_u32_e64 s62, v109
	s_cbranch_execz .LBB1429_105
; %bb.104:                              ;   in Loop: Header=BB1429_96 Depth=2
	global_load_dword v150, v[37:38], off offset:256
.LBB1429_105:                           ;   in Loop: Header=BB1429_96 Depth=2
	s_or_b32 exec_lo, exec_lo, s22
	s_mov_b32 s22, exec_lo
	v_cmpx_gt_u32_e64 s62, v110
	s_cbranch_execz .LBB1429_107
; %bb.106:                              ;   in Loop: Header=BB1429_96 Depth=2
	global_load_dword v154, v[37:38], off offset:384
.LBB1429_107:                           ;   in Loop: Header=BB1429_96 Depth=2
	s_or_b32 exec_lo, exec_lo, s22
	s_waitcnt vmcnt(9)
	v_bfrev_b32_e32 v164, -2
	v_bfrev_b32_e32 v158, -2
	s_mov_b32 s22, exec_lo
	v_cmpx_gt_u32_e64 s62, v111
	s_cbranch_execz .LBB1429_109
; %bb.108:                              ;   in Loop: Header=BB1429_96 Depth=2
	global_load_dword v158, v[37:38], off offset:512
.LBB1429_109:                           ;   in Loop: Header=BB1429_96 Depth=2
	;; [unrolled: 17-line block ×6, first 2 shown]
	s_or_b32 exec_lo, exec_lo, s22
	s_mov_b32 s22, exec_lo
	v_cmpx_gt_u32_e64 s62, v121
	s_cbranch_execz .LBB1429_127
; %bb.126:                              ;   in Loop: Header=BB1429_96 Depth=2
	global_load_dword v40, v[37:38], off offset:1664
.LBB1429_127:                           ;   in Loop: Header=BB1429_96 Depth=2
	s_or_b32 exec_lo, exec_lo, s22
	s_waitcnt vmcnt(0)
	v_bfrev_b32_e32 v39, -2
	s_mov_b32 s22, exec_lo
	v_cmpx_gt_u32_e64 s62, v122
	s_cbranch_execz .LBB1429_129
; %bb.128:                              ;   in Loop: Header=BB1429_96 Depth=2
	global_load_dword v39, v[37:38], off offset:1792
.LBB1429_129:                           ;   in Loop: Header=BB1429_96 Depth=2
	s_or_b32 exec_lo, exec_lo, s22
	v_cmp_gt_u32_e64 s22, s62, v123
	s_sub_i32 s23, s59, s46
.LBB1429_130:                           ;   in Loop: Header=BB1429_96 Depth=2
	v_bfrev_b32_e32 v37, -2
	v_mov_b32_e32 v146, s62
	s_and_saveexec_b32 s24, s22
	s_cbranch_execz .LBB1429_132
; %bb.131:                              ;   in Loop: Header=BB1429_96 Depth=2
	s_lshl_b64 s[28:29], s[46:47], 2
	v_mov_b32_e32 v146, s23
	v_add_co_u32 v37, vcc_lo, v124, s28
	v_add_co_ci_u32_e64 v38, null, s29, v125, vcc_lo
	global_load_dword v37, v[37:38], off offset:1920
.LBB1429_132:                           ;   in Loop: Header=BB1429_96 Depth=2
	s_or_b32 exec_lo, exec_lo, s24
	s_waitcnt vmcnt(14)
	v_cmp_lt_i32_e32 vcc_lo, -1, v3
	ds_write2_b32 v65, v4, v4 offset0:136 offset1:137
	ds_write2_b32 v65, v4, v4 offset0:138 offset1:139
	ds_write_b32 v65, v4 offset:560
	s_waitcnt vmcnt(0) lgkmcnt(0)
	s_barrier
	v_cndmask_b32_e64 v38, -1, 0x80000000, vcc_lo
	buffer_gl0_inv
	; wave barrier
	v_xor_b32_e32 v3, v38, v3
	v_cmp_ne_u32_e32 vcc_lo, 0x7fffffff, v3
	v_cndmask_b32_e32 v38, 0x80000000, v3, vcc_lo
	v_lshrrev_b32_e32 v38, s52, v38
	v_and_b32_e32 v149, s61, v38
	v_and_b32_e32 v38, 1, v149
	v_lshlrev_b32_e32 v148, 30, v149
	v_lshlrev_b32_e32 v151, 29, v149
	;; [unrolled: 1-line block ×4, first 2 shown]
	v_add_co_u32 v38, s22, v38, -1
	v_cndmask_b32_e64 v152, 0, 1, s22
	v_not_b32_e32 v157, v148
	v_cmp_gt_i32_e64 s22, 0, v148
	v_not_b32_e32 v148, v151
	v_lshlrev_b32_e32 v156, 26, v149
	v_cmp_ne_u32_e32 vcc_lo, 0, v152
	v_ashrrev_i32_e32 v157, 31, v157
	v_lshlrev_b32_e32 v152, 25, v149
	v_ashrrev_i32_e32 v148, 31, v148
	v_mul_u32_u24_e32 v149, 36, v149
	v_xor_b32_e32 v38, vcc_lo, v38
	v_cmp_gt_i32_e32 vcc_lo, 0, v151
	v_not_b32_e32 v151, v153
	v_xor_b32_e32 v157, s22, v157
	v_cmp_gt_i32_e64 s22, 0, v153
	v_and_b32_e32 v38, exec_lo, v38
	v_not_b32_e32 v153, v155
	v_ashrrev_i32_e32 v151, 31, v151
	v_xor_b32_e32 v148, vcc_lo, v148
	v_cmp_gt_i32_e32 vcc_lo, 0, v155
	v_and_b32_e32 v38, v38, v157
	v_not_b32_e32 v155, v156
	v_ashrrev_i32_e32 v153, 31, v153
	v_xor_b32_e32 v151, s22, v151
	v_cmp_gt_i32_e64 s22, 0, v156
	v_and_b32_e32 v38, v38, v148
	v_not_b32_e32 v148, v152
	v_ashrrev_i32_e32 v155, 31, v155
	v_xor_b32_e32 v153, vcc_lo, v153
	v_cmp_gt_i32_e32 vcc_lo, 0, v152
	v_and_b32_e32 v38, v38, v151
	v_ashrrev_i32_e32 v148, 31, v148
	v_xor_b32_e32 v151, s22, v155
	v_add_nc_u32_e32 v149, v127, v149
	v_and_b32_e32 v38, v38, v153
	v_xor_b32_e32 v148, vcc_lo, v148
	v_and_b32_e32 v38, v38, v151
	v_and_b32_e32 v38, v38, v148
	v_mbcnt_lo_u32_b32 v148, v38, 0
	v_cmp_ne_u32_e64 s22, 0, v38
	v_cmp_eq_u32_e32 vcc_lo, 0, v148
	s_and_b32 s23, s22, vcc_lo
	s_and_saveexec_b32 s22, s23
; %bb.133:                              ;   in Loop: Header=BB1429_96 Depth=2
	v_bcnt_u32_b32 v38, v38, 0
	ds_write_b32 v149, v38 offset:544
; %bb.134:                              ;   in Loop: Header=BB1429_96 Depth=2
	s_or_b32 exec_lo, exec_lo, s22
	v_cmp_lt_i32_e32 vcc_lo, -1, v147
	; wave barrier
	v_cndmask_b32_e64 v38, -1, 0x80000000, vcc_lo
	v_xor_b32_e32 v147, v38, v147
	v_cmp_ne_u32_e32 vcc_lo, 0x7fffffff, v147
	v_cndmask_b32_e32 v38, 0x80000000, v147, vcc_lo
	v_lshrrev_b32_e32 v38, s52, v38
	v_and_b32_e32 v153, s61, v38
	v_and_b32_e32 v38, 1, v153
	v_lshlrev_b32_e32 v151, 30, v153
	v_lshlrev_b32_e32 v152, 29, v153
	;; [unrolled: 1-line block ×4, first 2 shown]
	v_add_co_u32 v38, s22, v38, -1
	v_cndmask_b32_e64 v155, 0, 1, s22
	v_not_b32_e32 v161, v151
	v_cmp_gt_i32_e64 s22, 0, v151
	v_not_b32_e32 v151, v152
	v_lshlrev_b32_e32 v159, 26, v153
	v_cmp_ne_u32_e32 vcc_lo, 0, v155
	v_ashrrev_i32_e32 v161, 31, v161
	v_lshlrev_b32_e32 v155, 25, v153
	v_ashrrev_i32_e32 v151, 31, v151
	v_xor_b32_e32 v38, vcc_lo, v38
	v_cmp_gt_i32_e32 vcc_lo, 0, v152
	v_not_b32_e32 v152, v156
	v_xor_b32_e32 v161, s22, v161
	v_cmp_gt_i32_e64 s22, 0, v156
	v_and_b32_e32 v38, exec_lo, v38
	v_not_b32_e32 v156, v157
	v_ashrrev_i32_e32 v152, 31, v152
	v_xor_b32_e32 v151, vcc_lo, v151
	v_cmp_gt_i32_e32 vcc_lo, 0, v157
	v_and_b32_e32 v38, v38, v161
	v_not_b32_e32 v157, v159
	v_ashrrev_i32_e32 v156, 31, v156
	v_xor_b32_e32 v152, s22, v152
	v_cmp_gt_i32_e64 s22, 0, v159
	v_and_b32_e32 v38, v38, v151
	v_not_b32_e32 v151, v155
	v_ashrrev_i32_e32 v157, 31, v157
	v_xor_b32_e32 v156, vcc_lo, v156
	v_cmp_gt_i32_e32 vcc_lo, 0, v155
	v_and_b32_e32 v38, v38, v152
	v_ashrrev_i32_e32 v151, 31, v151
	v_xor_b32_e32 v152, s22, v157
	v_mad_u32_u24 v155, v153, 36, v127
	v_mul_u32_u24_e32 v153, 36, v153
	v_and_b32_e32 v38, v38, v156
	v_xor_b32_e32 v156, vcc_lo, v151
	ds_read_b32 v151, v155 offset:544
	v_add_nc_u32_e32 v153, v127, v153
	v_and_b32_e32 v38, v38, v152
	; wave barrier
	v_and_b32_e32 v38, v38, v156
	v_mbcnt_lo_u32_b32 v152, v38, 0
	v_cmp_ne_u32_e64 s22, 0, v38
	v_cmp_eq_u32_e32 vcc_lo, 0, v152
	s_and_b32 s23, s22, vcc_lo
	s_and_saveexec_b32 s22, s23
	s_cbranch_execz .LBB1429_136
; %bb.135:                              ;   in Loop: Header=BB1429_96 Depth=2
	s_waitcnt lgkmcnt(0)
	v_bcnt_u32_b32 v38, v38, v151
	ds_write_b32 v153, v38 offset:544
.LBB1429_136:                           ;   in Loop: Header=BB1429_96 Depth=2
	s_or_b32 exec_lo, exec_lo, s22
	v_cmp_lt_i32_e32 vcc_lo, -1, v150
	; wave barrier
	v_cndmask_b32_e64 v38, -1, 0x80000000, vcc_lo
	v_xor_b32_e32 v150, v38, v150
	v_cmp_ne_u32_e32 vcc_lo, 0x7fffffff, v150
	v_cndmask_b32_e32 v38, 0x80000000, v150, vcc_lo
	v_lshrrev_b32_e32 v38, s52, v38
	v_and_b32_e32 v157, s61, v38
	v_and_b32_e32 v38, 1, v157
	v_lshlrev_b32_e32 v155, 30, v157
	v_lshlrev_b32_e32 v156, 29, v157
	v_lshlrev_b32_e32 v161, 28, v157
	v_lshlrev_b32_e32 v162, 27, v157
	v_add_co_u32 v38, s22, v38, -1
	v_cndmask_b32_e64 v159, 0, 1, s22
	v_not_b32_e32 v166, v155
	v_cmp_gt_i32_e64 s22, 0, v155
	v_not_b32_e32 v155, v156
	v_lshlrev_b32_e32 v165, 26, v157
	v_cmp_ne_u32_e32 vcc_lo, 0, v159
	v_ashrrev_i32_e32 v166, 31, v166
	v_lshlrev_b32_e32 v159, 25, v157
	v_ashrrev_i32_e32 v155, 31, v155
	v_xor_b32_e32 v38, vcc_lo, v38
	v_cmp_gt_i32_e32 vcc_lo, 0, v156
	v_not_b32_e32 v156, v161
	v_xor_b32_e32 v166, s22, v166
	v_cmp_gt_i32_e64 s22, 0, v161
	v_and_b32_e32 v38, exec_lo, v38
	v_not_b32_e32 v161, v162
	v_ashrrev_i32_e32 v156, 31, v156
	v_xor_b32_e32 v155, vcc_lo, v155
	v_cmp_gt_i32_e32 vcc_lo, 0, v162
	v_and_b32_e32 v38, v38, v166
	v_not_b32_e32 v162, v165
	v_ashrrev_i32_e32 v161, 31, v161
	v_xor_b32_e32 v156, s22, v156
	v_cmp_gt_i32_e64 s22, 0, v165
	v_and_b32_e32 v38, v38, v155
	v_not_b32_e32 v155, v159
	v_ashrrev_i32_e32 v162, 31, v162
	v_xor_b32_e32 v161, vcc_lo, v161
	v_cmp_gt_i32_e32 vcc_lo, 0, v159
	v_and_b32_e32 v38, v38, v156
	v_ashrrev_i32_e32 v155, 31, v155
	v_xor_b32_e32 v156, s22, v162
	v_mad_u32_u24 v159, v157, 36, v127
	v_mul_u32_u24_e32 v157, 36, v157
	v_and_b32_e32 v38, v38, v161
	v_xor_b32_e32 v161, vcc_lo, v155
	ds_read_b32 v155, v159 offset:544
	v_add_nc_u32_e32 v157, v127, v157
	v_and_b32_e32 v38, v38, v156
	; wave barrier
	v_and_b32_e32 v38, v38, v161
	v_mbcnt_lo_u32_b32 v156, v38, 0
	v_cmp_ne_u32_e64 s22, 0, v38
	v_cmp_eq_u32_e32 vcc_lo, 0, v156
	s_and_b32 s23, s22, vcc_lo
	s_and_saveexec_b32 s22, s23
	s_cbranch_execz .LBB1429_138
; %bb.137:                              ;   in Loop: Header=BB1429_96 Depth=2
	s_waitcnt lgkmcnt(0)
	v_bcnt_u32_b32 v38, v38, v155
	ds_write_b32 v157, v38 offset:544
.LBB1429_138:                           ;   in Loop: Header=BB1429_96 Depth=2
	s_or_b32 exec_lo, exec_lo, s22
	v_cmp_lt_i32_e32 vcc_lo, -1, v154
	; wave barrier
	v_cndmask_b32_e64 v38, -1, 0x80000000, vcc_lo
	v_xor_b32_e32 v154, v38, v154
	v_cmp_ne_u32_e32 vcc_lo, 0x7fffffff, v154
	v_cndmask_b32_e32 v38, 0x80000000, v154, vcc_lo
	v_lshrrev_b32_e32 v38, s52, v38
	v_and_b32_e32 v162, s61, v38
	v_and_b32_e32 v38, 1, v162
	v_lshlrev_b32_e32 v159, 30, v162
	v_lshlrev_b32_e32 v161, 29, v162
	;; [unrolled: 1-line block ×4, first 2 shown]
	v_add_co_u32 v38, s22, v38, -1
	v_cndmask_b32_e64 v165, 0, 1, s22
	v_not_b32_e32 v171, v159
	v_cmp_gt_i32_e64 s22, 0, v159
	v_not_b32_e32 v159, v161
	v_lshlrev_b32_e32 v170, 26, v162
	v_cmp_ne_u32_e32 vcc_lo, 0, v165
	v_ashrrev_i32_e32 v171, 31, v171
	v_lshlrev_b32_e32 v165, 25, v162
	v_ashrrev_i32_e32 v159, 31, v159
	v_xor_b32_e32 v38, vcc_lo, v38
	v_cmp_gt_i32_e32 vcc_lo, 0, v161
	v_not_b32_e32 v161, v166
	v_xor_b32_e32 v171, s22, v171
	v_cmp_gt_i32_e64 s22, 0, v166
	v_and_b32_e32 v38, exec_lo, v38
	v_not_b32_e32 v166, v167
	v_ashrrev_i32_e32 v161, 31, v161
	v_xor_b32_e32 v159, vcc_lo, v159
	v_cmp_gt_i32_e32 vcc_lo, 0, v167
	v_and_b32_e32 v38, v38, v171
	v_not_b32_e32 v167, v170
	v_ashrrev_i32_e32 v166, 31, v166
	v_xor_b32_e32 v161, s22, v161
	v_cmp_gt_i32_e64 s22, 0, v170
	v_and_b32_e32 v38, v38, v159
	v_not_b32_e32 v159, v165
	v_ashrrev_i32_e32 v167, 31, v167
	v_xor_b32_e32 v166, vcc_lo, v166
	v_cmp_gt_i32_e32 vcc_lo, 0, v165
	v_and_b32_e32 v38, v38, v161
	v_ashrrev_i32_e32 v159, 31, v159
	v_xor_b32_e32 v161, s22, v167
	v_mad_u32_u24 v165, v162, 36, v127
	v_mul_u32_u24_e32 v162, 36, v162
	v_and_b32_e32 v38, v38, v166
	v_xor_b32_e32 v166, vcc_lo, v159
	ds_read_b32 v159, v165 offset:544
	v_add_nc_u32_e32 v162, v127, v162
	v_and_b32_e32 v38, v38, v161
	; wave barrier
	v_and_b32_e32 v38, v38, v166
	v_mbcnt_lo_u32_b32 v161, v38, 0
	v_cmp_ne_u32_e64 s22, 0, v38
	v_cmp_eq_u32_e32 vcc_lo, 0, v161
	s_and_b32 s23, s22, vcc_lo
	s_and_saveexec_b32 s22, s23
	s_cbranch_execz .LBB1429_140
; %bb.139:                              ;   in Loop: Header=BB1429_96 Depth=2
	s_waitcnt lgkmcnt(0)
	v_bcnt_u32_b32 v38, v38, v159
	ds_write_b32 v162, v38 offset:544
.LBB1429_140:                           ;   in Loop: Header=BB1429_96 Depth=2
	s_or_b32 exec_lo, exec_lo, s22
	v_cmp_lt_i32_e32 vcc_lo, -1, v158
	; wave barrier
	v_cndmask_b32_e64 v38, -1, 0x80000000, vcc_lo
	v_xor_b32_e32 v158, v38, v158
	v_cmp_ne_u32_e32 vcc_lo, 0x7fffffff, v158
	v_cndmask_b32_e32 v38, 0x80000000, v158, vcc_lo
	v_lshrrev_b32_e32 v38, s52, v38
	v_and_b32_e32 v167, s61, v38
	v_and_b32_e32 v38, 1, v167
	v_lshlrev_b32_e32 v165, 30, v167
	v_lshlrev_b32_e32 v166, 29, v167
	;; [unrolled: 1-line block ×4, first 2 shown]
	v_add_co_u32 v38, s22, v38, -1
	v_cndmask_b32_e64 v170, 0, 1, s22
	v_not_b32_e32 v176, v165
	v_cmp_gt_i32_e64 s22, 0, v165
	v_not_b32_e32 v165, v166
	v_lshlrev_b32_e32 v175, 26, v167
	v_cmp_ne_u32_e32 vcc_lo, 0, v170
	v_ashrrev_i32_e32 v176, 31, v176
	v_lshlrev_b32_e32 v170, 25, v167
	v_ashrrev_i32_e32 v165, 31, v165
	v_xor_b32_e32 v38, vcc_lo, v38
	v_cmp_gt_i32_e32 vcc_lo, 0, v166
	v_not_b32_e32 v166, v171
	v_xor_b32_e32 v176, s22, v176
	v_cmp_gt_i32_e64 s22, 0, v171
	v_and_b32_e32 v38, exec_lo, v38
	v_not_b32_e32 v171, v173
	v_ashrrev_i32_e32 v166, 31, v166
	v_xor_b32_e32 v165, vcc_lo, v165
	v_cmp_gt_i32_e32 vcc_lo, 0, v173
	v_and_b32_e32 v38, v38, v176
	v_not_b32_e32 v173, v175
	v_ashrrev_i32_e32 v171, 31, v171
	v_xor_b32_e32 v166, s22, v166
	v_cmp_gt_i32_e64 s22, 0, v175
	v_and_b32_e32 v38, v38, v165
	v_not_b32_e32 v165, v170
	v_ashrrev_i32_e32 v173, 31, v173
	v_xor_b32_e32 v171, vcc_lo, v171
	v_cmp_gt_i32_e32 vcc_lo, 0, v170
	v_and_b32_e32 v38, v38, v166
	v_ashrrev_i32_e32 v165, 31, v165
	v_xor_b32_e32 v166, s22, v173
	v_mad_u32_u24 v170, v167, 36, v127
	v_mul_u32_u24_e32 v167, 36, v167
	v_and_b32_e32 v38, v38, v171
	v_xor_b32_e32 v171, vcc_lo, v165
	ds_read_b32 v165, v170 offset:544
	v_add_nc_u32_e32 v167, v127, v167
	v_and_b32_e32 v38, v38, v166
	; wave barrier
	v_and_b32_e32 v38, v38, v171
	v_mbcnt_lo_u32_b32 v166, v38, 0
	v_cmp_ne_u32_e64 s22, 0, v38
	v_cmp_eq_u32_e32 vcc_lo, 0, v166
	s_and_b32 s23, s22, vcc_lo
	s_and_saveexec_b32 s22, s23
	s_cbranch_execz .LBB1429_142
; %bb.141:                              ;   in Loop: Header=BB1429_96 Depth=2
	s_waitcnt lgkmcnt(0)
	v_bcnt_u32_b32 v38, v38, v165
	ds_write_b32 v167, v38 offset:544
.LBB1429_142:                           ;   in Loop: Header=BB1429_96 Depth=2
	s_or_b32 exec_lo, exec_lo, s22
	v_cmp_lt_i32_e32 vcc_lo, -1, v164
	; wave barrier
	v_cndmask_b32_e64 v38, -1, 0x80000000, vcc_lo
	v_xor_b32_e32 v164, v38, v164
	v_cmp_ne_u32_e32 vcc_lo, 0x7fffffff, v164
	v_cndmask_b32_e32 v38, 0x80000000, v164, vcc_lo
	v_lshrrev_b32_e32 v38, s52, v38
	v_and_b32_e32 v173, s61, v38
	v_and_b32_e32 v38, 1, v173
	v_lshlrev_b32_e32 v170, 30, v173
	v_lshlrev_b32_e32 v171, 29, v173
	;; [unrolled: 1-line block ×4, first 2 shown]
	v_add_co_u32 v38, s22, v38, -1
	v_cndmask_b32_e64 v175, 0, 1, s22
	v_not_b32_e32 v180, v170
	v_cmp_gt_i32_e64 s22, 0, v170
	v_not_b32_e32 v170, v171
	v_lshlrev_b32_e32 v179, 26, v173
	v_cmp_ne_u32_e32 vcc_lo, 0, v175
	v_ashrrev_i32_e32 v180, 31, v180
	v_lshlrev_b32_e32 v175, 25, v173
	v_ashrrev_i32_e32 v170, 31, v170
	v_xor_b32_e32 v38, vcc_lo, v38
	v_cmp_gt_i32_e32 vcc_lo, 0, v171
	v_not_b32_e32 v171, v176
	v_xor_b32_e32 v180, s22, v180
	v_cmp_gt_i32_e64 s22, 0, v176
	v_and_b32_e32 v38, exec_lo, v38
	v_not_b32_e32 v176, v178
	v_ashrrev_i32_e32 v171, 31, v171
	v_xor_b32_e32 v170, vcc_lo, v170
	v_cmp_gt_i32_e32 vcc_lo, 0, v178
	v_and_b32_e32 v38, v38, v180
	v_not_b32_e32 v178, v179
	v_ashrrev_i32_e32 v176, 31, v176
	v_xor_b32_e32 v171, s22, v171
	v_cmp_gt_i32_e64 s22, 0, v179
	v_and_b32_e32 v38, v38, v170
	v_not_b32_e32 v170, v175
	v_ashrrev_i32_e32 v178, 31, v178
	v_xor_b32_e32 v176, vcc_lo, v176
	v_cmp_gt_i32_e32 vcc_lo, 0, v175
	v_and_b32_e32 v38, v38, v171
	v_ashrrev_i32_e32 v170, 31, v170
	v_xor_b32_e32 v171, s22, v178
	v_mad_u32_u24 v175, v173, 36, v127
	v_mul_u32_u24_e32 v173, 36, v173
	v_and_b32_e32 v38, v38, v176
	v_xor_b32_e32 v176, vcc_lo, v170
	ds_read_b32 v170, v175 offset:544
	v_add_nc_u32_e32 v173, v127, v173
	v_and_b32_e32 v38, v38, v171
	; wave barrier
	v_and_b32_e32 v38, v38, v176
	v_mbcnt_lo_u32_b32 v171, v38, 0
	v_cmp_ne_u32_e64 s22, 0, v38
	v_cmp_eq_u32_e32 vcc_lo, 0, v171
	s_and_b32 s23, s22, vcc_lo
	s_and_saveexec_b32 s22, s23
	s_cbranch_execz .LBB1429_144
; %bb.143:                              ;   in Loop: Header=BB1429_96 Depth=2
	s_waitcnt lgkmcnt(0)
	v_bcnt_u32_b32 v38, v38, v170
	ds_write_b32 v173, v38 offset:544
.LBB1429_144:                           ;   in Loop: Header=BB1429_96 Depth=2
	s_or_b32 exec_lo, exec_lo, s22
	v_cmp_lt_i32_e32 vcc_lo, -1, v169
	; wave barrier
	v_cndmask_b32_e64 v38, -1, 0x80000000, vcc_lo
	v_xor_b32_e32 v169, v38, v169
	v_cmp_ne_u32_e32 vcc_lo, 0x7fffffff, v169
	v_cndmask_b32_e32 v38, 0x80000000, v169, vcc_lo
	v_lshrrev_b32_e32 v38, s52, v38
	v_and_b32_e32 v178, s61, v38
	v_and_b32_e32 v38, 1, v178
	v_lshlrev_b32_e32 v175, 30, v178
	v_lshlrev_b32_e32 v176, 29, v178
	;; [unrolled: 1-line block ×4, first 2 shown]
	v_add_co_u32 v38, s22, v38, -1
	v_cndmask_b32_e64 v179, 0, 1, s22
	v_not_b32_e32 v183, v175
	v_cmp_gt_i32_e64 s22, 0, v175
	v_not_b32_e32 v175, v176
	v_lshlrev_b32_e32 v182, 26, v178
	v_cmp_ne_u32_e32 vcc_lo, 0, v179
	v_ashrrev_i32_e32 v183, 31, v183
	v_lshlrev_b32_e32 v179, 25, v178
	v_ashrrev_i32_e32 v175, 31, v175
	v_xor_b32_e32 v38, vcc_lo, v38
	v_cmp_gt_i32_e32 vcc_lo, 0, v176
	v_not_b32_e32 v176, v180
	v_xor_b32_e32 v183, s22, v183
	v_cmp_gt_i32_e64 s22, 0, v180
	v_and_b32_e32 v38, exec_lo, v38
	v_not_b32_e32 v180, v181
	v_ashrrev_i32_e32 v176, 31, v176
	v_xor_b32_e32 v175, vcc_lo, v175
	v_cmp_gt_i32_e32 vcc_lo, 0, v181
	v_and_b32_e32 v38, v38, v183
	v_not_b32_e32 v181, v182
	v_ashrrev_i32_e32 v180, 31, v180
	v_xor_b32_e32 v176, s22, v176
	v_cmp_gt_i32_e64 s22, 0, v182
	v_and_b32_e32 v38, v38, v175
	v_not_b32_e32 v175, v179
	v_ashrrev_i32_e32 v181, 31, v181
	v_xor_b32_e32 v180, vcc_lo, v180
	v_cmp_gt_i32_e32 vcc_lo, 0, v179
	v_and_b32_e32 v38, v38, v176
	v_ashrrev_i32_e32 v175, 31, v175
	v_xor_b32_e32 v176, s22, v181
	v_mad_u32_u24 v179, v178, 36, v127
	v_mul_u32_u24_e32 v178, 36, v178
	v_and_b32_e32 v38, v38, v180
	v_xor_b32_e32 v180, vcc_lo, v175
	ds_read_b32 v175, v179 offset:544
	v_add_nc_u32_e32 v178, v127, v178
	v_and_b32_e32 v38, v38, v176
	; wave barrier
	v_and_b32_e32 v38, v38, v180
	v_mbcnt_lo_u32_b32 v176, v38, 0
	v_cmp_ne_u32_e64 s22, 0, v38
	v_cmp_eq_u32_e32 vcc_lo, 0, v176
	s_and_b32 s23, s22, vcc_lo
	s_and_saveexec_b32 s22, s23
	s_cbranch_execz .LBB1429_146
; %bb.145:                              ;   in Loop: Header=BB1429_96 Depth=2
	s_waitcnt lgkmcnt(0)
	v_bcnt_u32_b32 v38, v38, v175
	ds_write_b32 v178, v38 offset:544
.LBB1429_146:                           ;   in Loop: Header=BB1429_96 Depth=2
	s_or_b32 exec_lo, exec_lo, s22
	v_cmp_lt_i32_e32 vcc_lo, -1, v174
	; wave barrier
	v_cndmask_b32_e64 v38, -1, 0x80000000, vcc_lo
	v_xor_b32_e32 v174, v38, v174
	v_cmp_ne_u32_e32 vcc_lo, 0x7fffffff, v174
	v_cndmask_b32_e32 v38, 0x80000000, v174, vcc_lo
	v_lshrrev_b32_e32 v38, s52, v38
	v_and_b32_e32 v181, s61, v38
	v_and_b32_e32 v38, 1, v181
	v_lshlrev_b32_e32 v179, 30, v181
	v_lshlrev_b32_e32 v180, 29, v181
	;; [unrolled: 1-line block ×4, first 2 shown]
	v_add_co_u32 v38, s22, v38, -1
	v_cndmask_b32_e64 v182, 0, 1, s22
	v_not_b32_e32 v186, v179
	v_cmp_gt_i32_e64 s22, 0, v179
	v_not_b32_e32 v179, v180
	v_lshlrev_b32_e32 v185, 26, v181
	v_cmp_ne_u32_e32 vcc_lo, 0, v182
	v_ashrrev_i32_e32 v186, 31, v186
	v_lshlrev_b32_e32 v182, 25, v181
	v_ashrrev_i32_e32 v179, 31, v179
	v_xor_b32_e32 v38, vcc_lo, v38
	v_cmp_gt_i32_e32 vcc_lo, 0, v180
	v_not_b32_e32 v180, v183
	v_xor_b32_e32 v186, s22, v186
	v_cmp_gt_i32_e64 s22, 0, v183
	v_and_b32_e32 v38, exec_lo, v38
	v_not_b32_e32 v183, v184
	v_ashrrev_i32_e32 v180, 31, v180
	v_xor_b32_e32 v179, vcc_lo, v179
	v_cmp_gt_i32_e32 vcc_lo, 0, v184
	v_and_b32_e32 v38, v38, v186
	v_not_b32_e32 v184, v185
	v_ashrrev_i32_e32 v183, 31, v183
	v_xor_b32_e32 v180, s22, v180
	v_cmp_gt_i32_e64 s22, 0, v185
	v_and_b32_e32 v38, v38, v179
	v_not_b32_e32 v179, v182
	v_ashrrev_i32_e32 v184, 31, v184
	v_xor_b32_e32 v183, vcc_lo, v183
	v_cmp_gt_i32_e32 vcc_lo, 0, v182
	v_and_b32_e32 v38, v38, v180
	v_ashrrev_i32_e32 v179, 31, v179
	v_xor_b32_e32 v180, s22, v184
	v_mad_u32_u24 v182, v181, 36, v127
	v_mul_u32_u24_e32 v181, 36, v181
	v_and_b32_e32 v38, v38, v183
	v_xor_b32_e32 v183, vcc_lo, v179
	ds_read_b32 v179, v182 offset:544
	v_add_nc_u32_e32 v181, v127, v181
	v_and_b32_e32 v38, v38, v180
	; wave barrier
	v_and_b32_e32 v38, v38, v183
	v_mbcnt_lo_u32_b32 v180, v38, 0
	v_cmp_ne_u32_e64 s22, 0, v38
	v_cmp_eq_u32_e32 vcc_lo, 0, v180
	s_and_b32 s23, s22, vcc_lo
	s_and_saveexec_b32 s22, s23
	s_cbranch_execz .LBB1429_148
; %bb.147:                              ;   in Loop: Header=BB1429_96 Depth=2
	s_waitcnt lgkmcnt(0)
	v_bcnt_u32_b32 v38, v38, v179
	ds_write_b32 v181, v38 offset:544
.LBB1429_148:                           ;   in Loop: Header=BB1429_96 Depth=2
	s_or_b32 exec_lo, exec_lo, s22
	v_cmp_lt_i32_e32 vcc_lo, -1, v177
	; wave barrier
	v_cndmask_b32_e64 v38, -1, 0x80000000, vcc_lo
	v_xor_b32_e32 v177, v38, v177
	v_cmp_ne_u32_e32 vcc_lo, 0x7fffffff, v177
	v_cndmask_b32_e32 v38, 0x80000000, v177, vcc_lo
	v_lshrrev_b32_e32 v38, s52, v38
	v_and_b32_e32 v184, s61, v38
	v_and_b32_e32 v38, 1, v184
	v_lshlrev_b32_e32 v182, 30, v184
	v_lshlrev_b32_e32 v183, 29, v184
	;; [unrolled: 1-line block ×4, first 2 shown]
	v_add_co_u32 v38, s22, v38, -1
	v_cndmask_b32_e64 v185, 0, 1, s22
	v_not_b32_e32 v189, v182
	v_cmp_gt_i32_e64 s22, 0, v182
	v_not_b32_e32 v182, v183
	v_lshlrev_b32_e32 v188, 26, v184
	v_cmp_ne_u32_e32 vcc_lo, 0, v185
	v_ashrrev_i32_e32 v189, 31, v189
	v_lshlrev_b32_e32 v185, 25, v184
	v_ashrrev_i32_e32 v182, 31, v182
	v_xor_b32_e32 v38, vcc_lo, v38
	v_cmp_gt_i32_e32 vcc_lo, 0, v183
	v_not_b32_e32 v183, v186
	v_xor_b32_e32 v189, s22, v189
	v_cmp_gt_i32_e64 s22, 0, v186
	v_and_b32_e32 v38, exec_lo, v38
	v_not_b32_e32 v186, v187
	v_ashrrev_i32_e32 v183, 31, v183
	v_xor_b32_e32 v182, vcc_lo, v182
	v_cmp_gt_i32_e32 vcc_lo, 0, v187
	v_and_b32_e32 v38, v38, v189
	v_not_b32_e32 v187, v188
	v_ashrrev_i32_e32 v186, 31, v186
	v_xor_b32_e32 v183, s22, v183
	v_cmp_gt_i32_e64 s22, 0, v188
	v_and_b32_e32 v38, v38, v182
	v_not_b32_e32 v182, v185
	v_ashrrev_i32_e32 v187, 31, v187
	v_xor_b32_e32 v186, vcc_lo, v186
	v_cmp_gt_i32_e32 vcc_lo, 0, v185
	v_and_b32_e32 v38, v38, v183
	v_ashrrev_i32_e32 v182, 31, v182
	v_xor_b32_e32 v183, s22, v187
	v_mad_u32_u24 v185, v184, 36, v127
	v_mul_u32_u24_e32 v184, 36, v184
	v_and_b32_e32 v38, v38, v186
	v_xor_b32_e32 v186, vcc_lo, v182
	ds_read_b32 v182, v185 offset:544
	v_add_nc_u32_e32 v184, v127, v184
	v_and_b32_e32 v38, v38, v183
	; wave barrier
	v_and_b32_e32 v38, v38, v186
	v_mbcnt_lo_u32_b32 v183, v38, 0
	v_cmp_ne_u32_e64 s22, 0, v38
	v_cmp_eq_u32_e32 vcc_lo, 0, v183
	s_and_b32 s23, s22, vcc_lo
	s_and_saveexec_b32 s22, s23
	s_cbranch_execz .LBB1429_150
; %bb.149:                              ;   in Loop: Header=BB1429_96 Depth=2
	s_waitcnt lgkmcnt(0)
	v_bcnt_u32_b32 v38, v38, v182
	ds_write_b32 v184, v38 offset:544
.LBB1429_150:                           ;   in Loop: Header=BB1429_96 Depth=2
	s_or_b32 exec_lo, exec_lo, s22
	v_cmp_lt_i32_e32 vcc_lo, -1, v172
	; wave barrier
	v_cndmask_b32_e64 v38, -1, 0x80000000, vcc_lo
	v_xor_b32_e32 v172, v38, v172
	v_cmp_ne_u32_e32 vcc_lo, 0x7fffffff, v172
	v_cndmask_b32_e32 v38, 0x80000000, v172, vcc_lo
	v_lshrrev_b32_e32 v38, s52, v38
	v_and_b32_e32 v187, s61, v38
	v_and_b32_e32 v38, 1, v187
	v_lshlrev_b32_e32 v185, 30, v187
	v_lshlrev_b32_e32 v186, 29, v187
	;; [unrolled: 1-line block ×4, first 2 shown]
	v_add_co_u32 v38, s22, v38, -1
	v_cndmask_b32_e64 v188, 0, 1, s22
	v_not_b32_e32 v192, v185
	v_cmp_gt_i32_e64 s22, 0, v185
	v_not_b32_e32 v185, v186
	v_lshlrev_b32_e32 v191, 26, v187
	v_cmp_ne_u32_e32 vcc_lo, 0, v188
	v_ashrrev_i32_e32 v192, 31, v192
	v_lshlrev_b32_e32 v188, 25, v187
	v_ashrrev_i32_e32 v185, 31, v185
	v_xor_b32_e32 v38, vcc_lo, v38
	v_cmp_gt_i32_e32 vcc_lo, 0, v186
	v_not_b32_e32 v186, v189
	v_xor_b32_e32 v192, s22, v192
	v_cmp_gt_i32_e64 s22, 0, v189
	v_and_b32_e32 v38, exec_lo, v38
	v_not_b32_e32 v189, v190
	v_ashrrev_i32_e32 v186, 31, v186
	v_xor_b32_e32 v185, vcc_lo, v185
	v_cmp_gt_i32_e32 vcc_lo, 0, v190
	v_and_b32_e32 v38, v38, v192
	v_not_b32_e32 v190, v191
	v_ashrrev_i32_e32 v189, 31, v189
	v_xor_b32_e32 v186, s22, v186
	v_cmp_gt_i32_e64 s22, 0, v191
	v_and_b32_e32 v38, v38, v185
	v_not_b32_e32 v185, v188
	v_ashrrev_i32_e32 v190, 31, v190
	v_xor_b32_e32 v189, vcc_lo, v189
	v_cmp_gt_i32_e32 vcc_lo, 0, v188
	v_and_b32_e32 v38, v38, v186
	v_ashrrev_i32_e32 v185, 31, v185
	v_xor_b32_e32 v186, s22, v190
	v_mad_u32_u24 v188, v187, 36, v127
	v_mul_u32_u24_e32 v187, 36, v187
	v_and_b32_e32 v38, v38, v189
	v_xor_b32_e32 v189, vcc_lo, v185
	ds_read_b32 v185, v188 offset:544
	v_add_nc_u32_e32 v187, v127, v187
	v_and_b32_e32 v38, v38, v186
	; wave barrier
	v_and_b32_e32 v38, v38, v189
	v_mbcnt_lo_u32_b32 v186, v38, 0
	v_cmp_ne_u32_e64 s22, 0, v38
	v_cmp_eq_u32_e32 vcc_lo, 0, v186
	s_and_b32 s23, s22, vcc_lo
	s_and_saveexec_b32 s22, s23
	s_cbranch_execz .LBB1429_152
; %bb.151:                              ;   in Loop: Header=BB1429_96 Depth=2
	s_waitcnt lgkmcnt(0)
	v_bcnt_u32_b32 v38, v38, v185
	ds_write_b32 v187, v38 offset:544
.LBB1429_152:                           ;   in Loop: Header=BB1429_96 Depth=2
	s_or_b32 exec_lo, exec_lo, s22
	v_cmp_lt_i32_e32 vcc_lo, -1, v168
	; wave barrier
	v_cndmask_b32_e64 v38, -1, 0x80000000, vcc_lo
	v_xor_b32_e32 v168, v38, v168
	v_cmp_ne_u32_e32 vcc_lo, 0x7fffffff, v168
	v_cndmask_b32_e32 v38, 0x80000000, v168, vcc_lo
	v_lshrrev_b32_e32 v38, s52, v38
	v_and_b32_e32 v188, s61, v38
	v_and_b32_e32 v38, 1, v188
	v_lshlrev_b32_e32 v189, 30, v188
	v_lshlrev_b32_e32 v190, 29, v188
	v_lshlrev_b32_e32 v192, 28, v188
	v_lshlrev_b32_e32 v193, 27, v188
	v_add_co_u32 v38, s22, v38, -1
	v_cndmask_b32_e64 v191, 0, 1, s22
	v_not_b32_e32 v195, v189
	v_cmp_gt_i32_e64 s22, 0, v189
	v_not_b32_e32 v189, v190
	v_lshlrev_b32_e32 v194, 26, v188
	v_cmp_ne_u32_e32 vcc_lo, 0, v191
	v_ashrrev_i32_e32 v195, 31, v195
	v_lshlrev_b32_e32 v191, 25, v188
	v_ashrrev_i32_e32 v189, 31, v189
	v_xor_b32_e32 v38, vcc_lo, v38
	v_cmp_gt_i32_e32 vcc_lo, 0, v190
	v_not_b32_e32 v190, v192
	v_xor_b32_e32 v195, s22, v195
	v_cmp_gt_i32_e64 s22, 0, v192
	v_and_b32_e32 v38, exec_lo, v38
	v_not_b32_e32 v192, v193
	v_ashrrev_i32_e32 v190, 31, v190
	v_xor_b32_e32 v189, vcc_lo, v189
	v_cmp_gt_i32_e32 vcc_lo, 0, v193
	v_and_b32_e32 v38, v38, v195
	v_not_b32_e32 v193, v194
	v_ashrrev_i32_e32 v192, 31, v192
	v_xor_b32_e32 v190, s22, v190
	v_cmp_gt_i32_e64 s22, 0, v194
	v_and_b32_e32 v38, v38, v189
	v_not_b32_e32 v189, v191
	v_ashrrev_i32_e32 v193, 31, v193
	v_xor_b32_e32 v192, vcc_lo, v192
	v_cmp_gt_i32_e32 vcc_lo, 0, v191
	v_and_b32_e32 v38, v38, v190
	v_ashrrev_i32_e32 v189, 31, v189
	v_xor_b32_e32 v190, s22, v193
	v_mad_u32_u24 v191, v188, 36, v127
	v_mul_u32_u24_e32 v188, 36, v188
	v_and_b32_e32 v38, v38, v192
	v_xor_b32_e32 v192, vcc_lo, v189
	ds_read_b32 v189, v191 offset:544
	v_add_nc_u32_e32 v191, v127, v188
	v_and_b32_e32 v38, v38, v190
	; wave barrier
	v_and_b32_e32 v38, v38, v192
	v_mbcnt_lo_u32_b32 v190, v38, 0
	v_cmp_ne_u32_e64 s22, 0, v38
	v_cmp_eq_u32_e32 vcc_lo, 0, v190
	s_and_b32 s23, s22, vcc_lo
	s_and_saveexec_b32 s22, s23
	s_cbranch_execz .LBB1429_154
; %bb.153:                              ;   in Loop: Header=BB1429_96 Depth=2
	s_waitcnt lgkmcnt(0)
	v_bcnt_u32_b32 v38, v38, v189
	ds_write_b32 v191, v38 offset:544
.LBB1429_154:                           ;   in Loop: Header=BB1429_96 Depth=2
	s_or_b32 exec_lo, exec_lo, s22
	v_cmp_lt_i32_e32 vcc_lo, -1, v163
	; wave barrier
	v_cndmask_b32_e64 v38, -1, 0x80000000, vcc_lo
	v_xor_b32_e32 v188, v38, v163
	v_cmp_ne_u32_e32 vcc_lo, 0x7fffffff, v188
	v_cndmask_b32_e32 v38, 0x80000000, v188, vcc_lo
	v_lshrrev_b32_e32 v38, s52, v38
	v_and_b32_e32 v163, s61, v38
	v_and_b32_e32 v38, 1, v163
	v_lshlrev_b32_e32 v192, 30, v163
	v_lshlrev_b32_e32 v193, 29, v163
	;; [unrolled: 1-line block ×4, first 2 shown]
	v_add_co_u32 v38, s22, v38, -1
	v_cndmask_b32_e64 v194, 0, 1, s22
	v_not_b32_e32 v198, v192
	v_cmp_gt_i32_e64 s22, 0, v192
	v_not_b32_e32 v192, v193
	v_lshlrev_b32_e32 v197, 26, v163
	v_cmp_ne_u32_e32 vcc_lo, 0, v194
	v_ashrrev_i32_e32 v198, 31, v198
	v_lshlrev_b32_e32 v194, 25, v163
	v_ashrrev_i32_e32 v192, 31, v192
	v_xor_b32_e32 v38, vcc_lo, v38
	v_cmp_gt_i32_e32 vcc_lo, 0, v193
	v_not_b32_e32 v193, v195
	v_xor_b32_e32 v198, s22, v198
	v_cmp_gt_i32_e64 s22, 0, v195
	v_and_b32_e32 v38, exec_lo, v38
	v_not_b32_e32 v195, v196
	v_ashrrev_i32_e32 v193, 31, v193
	v_xor_b32_e32 v192, vcc_lo, v192
	v_cmp_gt_i32_e32 vcc_lo, 0, v196
	v_and_b32_e32 v38, v38, v198
	v_not_b32_e32 v196, v197
	v_ashrrev_i32_e32 v195, 31, v195
	v_xor_b32_e32 v193, s22, v193
	v_cmp_gt_i32_e64 s22, 0, v197
	v_and_b32_e32 v38, v38, v192
	v_not_b32_e32 v192, v194
	v_ashrrev_i32_e32 v196, 31, v196
	v_xor_b32_e32 v195, vcc_lo, v195
	v_cmp_gt_i32_e32 vcc_lo, 0, v194
	v_and_b32_e32 v38, v38, v193
	v_ashrrev_i32_e32 v192, 31, v192
	v_xor_b32_e32 v193, s22, v196
	v_mad_u32_u24 v194, v163, 36, v127
	v_mul_u32_u24_e32 v163, 36, v163
	v_and_b32_e32 v38, v38, v195
	v_xor_b32_e32 v192, vcc_lo, v192
	v_add_nc_u32_e32 v163, v127, v163
	v_and_b32_e32 v38, v38, v193
	ds_read_b32 v193, v194 offset:544
	; wave barrier
	v_and_b32_e32 v38, v38, v192
	v_mbcnt_lo_u32_b32 v194, v38, 0
	v_cmp_ne_u32_e64 s22, 0, v38
	v_cmp_eq_u32_e32 vcc_lo, 0, v194
	s_and_b32 s23, s22, vcc_lo
	s_and_saveexec_b32 s22, s23
	s_cbranch_execz .LBB1429_156
; %bb.155:                              ;   in Loop: Header=BB1429_96 Depth=2
	s_waitcnt lgkmcnt(0)
	v_bcnt_u32_b32 v38, v38, v193
	ds_write_b32 v163, v38 offset:544
.LBB1429_156:                           ;   in Loop: Header=BB1429_96 Depth=2
	s_or_b32 exec_lo, exec_lo, s22
	v_cmp_lt_i32_e32 vcc_lo, -1, v160
	; wave barrier
	v_cndmask_b32_e64 v38, -1, 0x80000000, vcc_lo
	v_xor_b32_e32 v192, v38, v160
	v_cmp_ne_u32_e32 vcc_lo, 0x7fffffff, v192
	v_cndmask_b32_e32 v38, 0x80000000, v192, vcc_lo
	v_lshrrev_b32_e32 v38, s52, v38
	v_and_b32_e32 v160, s61, v38
	v_and_b32_e32 v38, 1, v160
	v_lshlrev_b32_e32 v195, 30, v160
	v_lshlrev_b32_e32 v196, 29, v160
	;; [unrolled: 1-line block ×4, first 2 shown]
	v_add_co_u32 v38, s22, v38, -1
	v_cndmask_b32_e64 v197, 0, 1, s22
	v_not_b32_e32 v201, v195
	v_cmp_gt_i32_e64 s22, 0, v195
	v_not_b32_e32 v195, v196
	v_lshlrev_b32_e32 v200, 26, v160
	v_cmp_ne_u32_e32 vcc_lo, 0, v197
	v_ashrrev_i32_e32 v201, 31, v201
	v_lshlrev_b32_e32 v197, 25, v160
	v_ashrrev_i32_e32 v195, 31, v195
	v_xor_b32_e32 v38, vcc_lo, v38
	v_cmp_gt_i32_e32 vcc_lo, 0, v196
	v_not_b32_e32 v196, v198
	v_xor_b32_e32 v201, s22, v201
	v_cmp_gt_i32_e64 s22, 0, v198
	v_and_b32_e32 v38, exec_lo, v38
	v_not_b32_e32 v198, v199
	v_ashrrev_i32_e32 v196, 31, v196
	v_xor_b32_e32 v195, vcc_lo, v195
	v_cmp_gt_i32_e32 vcc_lo, 0, v199
	v_and_b32_e32 v38, v38, v201
	v_not_b32_e32 v199, v200
	v_ashrrev_i32_e32 v198, 31, v198
	v_xor_b32_e32 v196, s22, v196
	v_cmp_gt_i32_e64 s22, 0, v200
	v_and_b32_e32 v38, v38, v195
	v_not_b32_e32 v195, v197
	v_ashrrev_i32_e32 v199, 31, v199
	v_xor_b32_e32 v198, vcc_lo, v198
	v_cmp_gt_i32_e32 vcc_lo, 0, v197
	v_and_b32_e32 v38, v38, v196
	v_ashrrev_i32_e32 v195, 31, v195
	v_xor_b32_e32 v196, s22, v199
	v_mad_u32_u24 v197, v160, 36, v127
	v_mul_u32_u24_e32 v160, 36, v160
	v_and_b32_e32 v38, v38, v198
	v_xor_b32_e32 v195, vcc_lo, v195
	v_add_nc_u32_e32 v160, v127, v160
	v_and_b32_e32 v38, v38, v196
	ds_read_b32 v196, v197 offset:544
	; wave barrier
	v_and_b32_e32 v38, v38, v195
	v_mbcnt_lo_u32_b32 v197, v38, 0
	v_cmp_ne_u32_e64 s22, 0, v38
	v_cmp_eq_u32_e32 vcc_lo, 0, v197
	s_and_b32 s23, s22, vcc_lo
	s_and_saveexec_b32 s22, s23
	s_cbranch_execz .LBB1429_158
; %bb.157:                              ;   in Loop: Header=BB1429_96 Depth=2
	s_waitcnt lgkmcnt(0)
	v_bcnt_u32_b32 v38, v38, v196
	ds_write_b32 v160, v38 offset:544
.LBB1429_158:                           ;   in Loop: Header=BB1429_96 Depth=2
	s_or_b32 exec_lo, exec_lo, s22
	v_cmp_lt_i32_e32 vcc_lo, -1, v40
	; wave barrier
	v_cndmask_b32_e64 v38, -1, 0x80000000, vcc_lo
	v_xor_b32_e32 v195, v38, v40
	v_cmp_ne_u32_e32 vcc_lo, 0x7fffffff, v195
	v_cndmask_b32_e32 v38, 0x80000000, v195, vcc_lo
	v_lshrrev_b32_e32 v38, s52, v38
	v_and_b32_e32 v40, s61, v38
	v_and_b32_e32 v38, 1, v40
	v_lshlrev_b32_e32 v198, 30, v40
	v_lshlrev_b32_e32 v199, 29, v40
	;; [unrolled: 1-line block ×4, first 2 shown]
	v_add_co_u32 v38, s22, v38, -1
	v_cndmask_b32_e64 v200, 0, 1, s22
	v_not_b32_e32 v204, v198
	v_cmp_gt_i32_e64 s22, 0, v198
	v_not_b32_e32 v198, v199
	v_lshlrev_b32_e32 v203, 26, v40
	v_cmp_ne_u32_e32 vcc_lo, 0, v200
	v_ashrrev_i32_e32 v204, 31, v204
	v_lshlrev_b32_e32 v200, 25, v40
	v_ashrrev_i32_e32 v198, 31, v198
	v_xor_b32_e32 v38, vcc_lo, v38
	v_cmp_gt_i32_e32 vcc_lo, 0, v199
	v_not_b32_e32 v199, v201
	v_xor_b32_e32 v204, s22, v204
	v_cmp_gt_i32_e64 s22, 0, v201
	v_and_b32_e32 v38, exec_lo, v38
	v_not_b32_e32 v201, v202
	v_ashrrev_i32_e32 v199, 31, v199
	v_xor_b32_e32 v198, vcc_lo, v198
	v_cmp_gt_i32_e32 vcc_lo, 0, v202
	v_and_b32_e32 v38, v38, v204
	v_not_b32_e32 v202, v203
	v_ashrrev_i32_e32 v201, 31, v201
	v_xor_b32_e32 v199, s22, v199
	v_cmp_gt_i32_e64 s22, 0, v203
	v_and_b32_e32 v38, v38, v198
	v_not_b32_e32 v198, v200
	v_ashrrev_i32_e32 v202, 31, v202
	v_xor_b32_e32 v201, vcc_lo, v201
	v_cmp_gt_i32_e32 vcc_lo, 0, v200
	v_and_b32_e32 v38, v38, v199
	v_ashrrev_i32_e32 v198, 31, v198
	v_xor_b32_e32 v199, s22, v202
	v_mad_u32_u24 v200, v40, 36, v127
	v_mul_u32_u24_e32 v40, 36, v40
	v_and_b32_e32 v38, v38, v201
	v_xor_b32_e32 v198, vcc_lo, v198
	v_add_nc_u32_e32 v201, v127, v40
	v_and_b32_e32 v38, v38, v199
	ds_read_b32 v199, v200 offset:544
	; wave barrier
	v_and_b32_e32 v38, v38, v198
	v_mbcnt_lo_u32_b32 v200, v38, 0
	v_cmp_ne_u32_e64 s22, 0, v38
	v_cmp_eq_u32_e32 vcc_lo, 0, v200
	s_and_b32 s23, s22, vcc_lo
	s_and_saveexec_b32 s22, s23
	s_cbranch_execz .LBB1429_160
; %bb.159:                              ;   in Loop: Header=BB1429_96 Depth=2
	s_waitcnt lgkmcnt(0)
	v_bcnt_u32_b32 v38, v38, v199
	ds_write_b32 v201, v38 offset:544
.LBB1429_160:                           ;   in Loop: Header=BB1429_96 Depth=2
	s_or_b32 exec_lo, exec_lo, s22
	v_cmp_lt_i32_e32 vcc_lo, -1, v39
	; wave barrier
	v_cndmask_b32_e64 v38, -1, 0x80000000, vcc_lo
	v_xor_b32_e32 v198, v38, v39
	v_cmp_ne_u32_e32 vcc_lo, 0x7fffffff, v198
	v_cndmask_b32_e32 v38, 0x80000000, v198, vcc_lo
	v_lshrrev_b32_e32 v38, s52, v38
	v_and_b32_e32 v39, s61, v38
	v_and_b32_e32 v38, 1, v39
	v_lshlrev_b32_e32 v40, 30, v39
	v_lshlrev_b32_e32 v202, 29, v39
	;; [unrolled: 1-line block ×4, first 2 shown]
	v_add_co_u32 v38, s22, v38, -1
	v_cndmask_b32_e64 v203, 0, 1, s22
	v_not_b32_e32 v207, v40
	v_cmp_gt_i32_e64 s22, 0, v40
	v_not_b32_e32 v40, v202
	v_lshlrev_b32_e32 v206, 26, v39
	v_cmp_ne_u32_e32 vcc_lo, 0, v203
	v_ashrrev_i32_e32 v207, 31, v207
	v_lshlrev_b32_e32 v203, 25, v39
	v_ashrrev_i32_e32 v40, 31, v40
	v_xor_b32_e32 v38, vcc_lo, v38
	v_cmp_gt_i32_e32 vcc_lo, 0, v202
	v_not_b32_e32 v202, v204
	v_xor_b32_e32 v207, s22, v207
	v_cmp_gt_i32_e64 s22, 0, v204
	v_and_b32_e32 v38, exec_lo, v38
	v_not_b32_e32 v204, v205
	v_ashrrev_i32_e32 v202, 31, v202
	v_xor_b32_e32 v40, vcc_lo, v40
	v_cmp_gt_i32_e32 vcc_lo, 0, v205
	v_and_b32_e32 v38, v38, v207
	v_not_b32_e32 v205, v206
	v_ashrrev_i32_e32 v204, 31, v204
	v_xor_b32_e32 v202, s22, v202
	v_cmp_gt_i32_e64 s22, 0, v206
	v_and_b32_e32 v38, v38, v40
	v_not_b32_e32 v40, v203
	v_ashrrev_i32_e32 v205, 31, v205
	v_xor_b32_e32 v204, vcc_lo, v204
	v_cmp_gt_i32_e32 vcc_lo, 0, v203
	v_and_b32_e32 v38, v38, v202
	v_ashrrev_i32_e32 v40, 31, v40
	v_xor_b32_e32 v202, s22, v205
	v_mad_u32_u24 v203, v39, 36, v127
	v_mul_u32_u24_e32 v39, 36, v39
	v_and_b32_e32 v38, v38, v204
	v_xor_b32_e32 v40, vcc_lo, v40
	ds_read_b32 v203, v203 offset:544
	v_add_nc_u32_e32 v205, v127, v39
	v_and_b32_e32 v38, v38, v202
	; wave barrier
	v_and_b32_e32 v38, v38, v40
	v_mbcnt_lo_u32_b32 v204, v38, 0
	v_cmp_ne_u32_e64 s22, 0, v38
	v_cmp_eq_u32_e32 vcc_lo, 0, v204
	s_and_b32 s23, s22, vcc_lo
	s_and_saveexec_b32 s22, s23
	s_cbranch_execz .LBB1429_162
; %bb.161:                              ;   in Loop: Header=BB1429_96 Depth=2
	s_waitcnt lgkmcnt(0)
	v_bcnt_u32_b32 v38, v38, v203
	ds_write_b32 v205, v38 offset:544
.LBB1429_162:                           ;   in Loop: Header=BB1429_96 Depth=2
	s_or_b32 exec_lo, exec_lo, s22
	v_cmp_lt_i32_e32 vcc_lo, -1, v37
	; wave barrier
	v_cndmask_b32_e64 v38, -1, 0x80000000, vcc_lo
	v_xor_b32_e32 v202, v38, v37
	v_cmp_ne_u32_e32 vcc_lo, 0x7fffffff, v202
	v_cndmask_b32_e32 v37, 0x80000000, v202, vcc_lo
	v_lshrrev_b32_e32 v37, s52, v37
	v_and_b32_e32 v38, s61, v37
	v_and_b32_e32 v37, 1, v38
	v_lshlrev_b32_e32 v39, 30, v38
	v_lshlrev_b32_e32 v40, 29, v38
	;; [unrolled: 1-line block ×4, first 2 shown]
	v_add_co_u32 v37, s22, v37, -1
	v_cndmask_b32_e64 v206, 0, 1, s22
	v_not_b32_e32 v210, v39
	v_cmp_gt_i32_e64 s22, 0, v39
	v_not_b32_e32 v39, v40
	v_lshlrev_b32_e32 v209, 26, v38
	v_cmp_ne_u32_e32 vcc_lo, 0, v206
	v_ashrrev_i32_e32 v210, 31, v210
	v_lshlrev_b32_e32 v206, 25, v38
	v_ashrrev_i32_e32 v39, 31, v39
	v_xor_b32_e32 v37, vcc_lo, v37
	v_cmp_gt_i32_e32 vcc_lo, 0, v40
	v_not_b32_e32 v40, v207
	v_xor_b32_e32 v210, s22, v210
	v_cmp_gt_i32_e64 s22, 0, v207
	v_and_b32_e32 v37, exec_lo, v37
	v_not_b32_e32 v207, v208
	v_ashrrev_i32_e32 v40, 31, v40
	v_xor_b32_e32 v39, vcc_lo, v39
	v_cmp_gt_i32_e32 vcc_lo, 0, v208
	v_and_b32_e32 v37, v37, v210
	v_not_b32_e32 v208, v209
	v_ashrrev_i32_e32 v207, 31, v207
	v_xor_b32_e32 v40, s22, v40
	v_cmp_gt_i32_e64 s22, 0, v209
	v_and_b32_e32 v37, v37, v39
	v_not_b32_e32 v39, v206
	v_ashrrev_i32_e32 v208, 31, v208
	v_xor_b32_e32 v207, vcc_lo, v207
	v_cmp_gt_i32_e32 vcc_lo, 0, v206
	v_and_b32_e32 v37, v37, v40
	v_ashrrev_i32_e32 v39, 31, v39
	v_xor_b32_e32 v40, s22, v208
	v_mad_u32_u24 v206, v38, 36, v127
	v_mul_u32_u24_e32 v38, 36, v38
	v_and_b32_e32 v37, v37, v207
	v_xor_b32_e32 v39, vcc_lo, v39
	ds_read_b32 v206, v206 offset:544
	v_add_nc_u32_e32 v208, v127, v38
	v_and_b32_e32 v37, v37, v40
	; wave barrier
	v_and_b32_e32 v37, v37, v39
	v_mbcnt_lo_u32_b32 v207, v37, 0
	v_cmp_ne_u32_e64 s22, 0, v37
	v_cmp_eq_u32_e32 vcc_lo, 0, v207
	s_and_b32 s23, s22, vcc_lo
	s_and_saveexec_b32 s22, s23
	s_cbranch_execz .LBB1429_164
; %bb.163:                              ;   in Loop: Header=BB1429_96 Depth=2
	s_waitcnt lgkmcnt(0)
	v_bcnt_u32_b32 v37, v37, v206
	ds_write_b32 v208, v37 offset:544
.LBB1429_164:                           ;   in Loop: Header=BB1429_96 Depth=2
	s_or_b32 exec_lo, exec_lo, s22
	; wave barrier
	s_waitcnt lgkmcnt(0)
	s_barrier
	buffer_gl0_inv
	ds_read2_b32 v[39:40], v65 offset0:136 offset1:137
	ds_read2_b32 v[37:38], v65 offset0:138 offset1:139
	ds_read_b32 v209, v65 offset:560
	s_waitcnt lgkmcnt(1)
	v_add3_u32 v210, v40, v39, v37
	s_waitcnt lgkmcnt(0)
	v_add3_u32 v209, v210, v38, v209
	v_mov_b32_dpp v210, v209 row_shr:1 row_mask:0xf bank_mask:0xf
	v_cndmask_b32_e64 v210, v210, 0, s5
	v_add_nc_u32_e32 v209, v210, v209
	v_mov_b32_dpp v210, v209 row_shr:2 row_mask:0xf bank_mask:0xf
	v_cndmask_b32_e64 v210, 0, v210, s15
	v_add_nc_u32_e32 v209, v209, v210
	;; [unrolled: 3-line block ×4, first 2 shown]
	ds_swizzle_b32 v210, v209 offset:swizzle(BROADCAST,32,15)
	s_waitcnt lgkmcnt(0)
	v_cndmask_b32_e64 v210, v210, 0, s18
	v_add_nc_u32_e32 v209, v209, v210
	s_and_saveexec_b32 s22, s4
; %bb.165:                              ;   in Loop: Header=BB1429_96 Depth=2
	ds_write_b32 v60, v209 offset:512
; %bb.166:                              ;   in Loop: Header=BB1429_96 Depth=2
	s_or_b32 exec_lo, exec_lo, s22
	s_waitcnt lgkmcnt(0)
	s_barrier
	buffer_gl0_inv
	s_and_saveexec_b32 s22, s11
	s_cbranch_execz .LBB1429_168
; %bb.167:                              ;   in Loop: Header=BB1429_96 Depth=2
	ds_read_b32 v210, v66 offset:512
	s_waitcnt lgkmcnt(0)
	v_mov_b32_dpp v211, v210 row_shr:1 row_mask:0xf bank_mask:0xf
	v_cndmask_b32_e64 v211, v211, 0, s19
	v_add_nc_u32_e32 v210, v211, v210
	v_mov_b32_dpp v211, v210 row_shr:2 row_mask:0xf bank_mask:0xf
	v_cndmask_b32_e64 v211, 0, v211, s20
	v_add_nc_u32_e32 v210, v210, v211
	;; [unrolled: 3-line block ×3, first 2 shown]
	ds_write_b32 v66, v210 offset:512
.LBB1429_168:                           ;   in Loop: Header=BB1429_96 Depth=2
	s_or_b32 exec_lo, exec_lo, s22
	v_mov_b32_e32 v210, 0
	s_waitcnt lgkmcnt(0)
	s_barrier
	buffer_gl0_inv
	s_and_saveexec_b32 s22, s10
; %bb.169:                              ;   in Loop: Header=BB1429_96 Depth=2
	ds_read_b32 v210, v60 offset:508
; %bb.170:                              ;   in Loop: Header=BB1429_96 Depth=2
	s_or_b32 exec_lo, exec_lo, s22
	s_waitcnt lgkmcnt(0)
	v_add_nc_u32_e32 v209, v210, v209
	ds_bpermute_b32 v209, v126, v209
	s_waitcnt lgkmcnt(0)
	v_cndmask_b32_e64 v209, v209, v210, s14
	v_cndmask_b32_e64 v209, v209, 0, s12
	v_add_nc_u32_e32 v39, v209, v39
	v_add_nc_u32_e32 v40, v39, v40
	;; [unrolled: 1-line block ×4, first 2 shown]
	ds_write2_b32 v65, v209, v39 offset0:136 offset1:137
	ds_write2_b32 v65, v40, v37 offset0:138 offset1:139
	ds_write_b32 v65, v38 offset:560
	s_waitcnt lgkmcnt(0)
	s_barrier
	buffer_gl0_inv
	ds_read_b32 v39, v149 offset:544
	ds_read_b32 v40, v153 offset:544
	;; [unrolled: 1-line block ×16, first 2 shown]
	s_and_saveexec_b32 s22, s7
	s_cbranch_execz .LBB1429_174
; %bb.171:                              ;   in Loop: Header=BB1429_96 Depth=2
	ds_read_b32 v140, v68 offset:544
	v_mov_b32_e32 v145, 0x1000
	s_and_saveexec_b32 s23, s13
; %bb.172:                              ;   in Loop: Header=BB1429_96 Depth=2
	ds_read_b32 v145, v67 offset:544
; %bb.173:                              ;   in Loop: Header=BB1429_96 Depth=2
	s_or_b32 exec_lo, exec_lo, s23
	s_waitcnt lgkmcnt(0)
	v_sub_nc_u32_e32 v145, v145, v140
.LBB1429_174:                           ;   in Loop: Header=BB1429_96 Depth=2
	s_or_b32 exec_lo, exec_lo, s22
	s_waitcnt lgkmcnt(0)
	s_barrier
	buffer_gl0_inv
	s_and_saveexec_b32 s22, s7
	s_cbranch_execz .LBB1429_176
; %bb.175:                              ;   in Loop: Header=BB1429_96 Depth=2
	ds_read_b32 v160, v41
	s_waitcnt lgkmcnt(0)
	v_sub_nc_u32_e32 v160, v160, v140
	ds_write_b32 v41, v160
.LBB1429_176:                           ;   in Loop: Header=BB1429_96 Depth=2
	s_or_b32 exec_lo, exec_lo, s22
	v_add_nc_u32_e32 v167, v39, v148
	v_add3_u32 v163, v152, v151, v40
	v_add3_u32 v162, v156, v155, v149
	;; [unrolled: 1-line block ×5, first 2 shown]
	v_lshlrev_b32_e32 v165, 2, v167
	v_add3_u32 v151, v200, v199, v37
	v_lshlrev_b32_e32 v37, 2, v163
	v_add3_u32 v157, v176, v175, v178
	v_add3_u32 v156, v180, v179, v181
	ds_write_b32 v165, v3 offset:512
	v_lshlrev_b32_e32 v3, 2, v162
	ds_write_b32 v37, v147 offset:512
	v_lshlrev_b32_e32 v37, 2, v159
	v_add3_u32 v155, v183, v182, v184
	v_add3_u32 v149, v204, v203, v38
	v_lshlrev_b32_e32 v38, 2, v161
	v_add3_u32 v153, v186, v185, v187
	v_lshlrev_b32_e32 v165, 2, v160
	v_add3_u32 v152, v190, v189, v191
	v_add3_u32 v40, v194, v193, v210
	ds_write_b32 v3, v150 offset:512
	ds_write_b32 v38, v154 offset:512
	;; [unrolled: 1-line block ×3, first 2 shown]
	v_lshlrev_b32_e32 v3, 2, v157
	ds_write_b32 v37, v164 offset:512
	v_lshlrev_b32_e32 v37, 2, v156
	v_lshlrev_b32_e32 v38, 2, v155
	v_lshlrev_b32_e32 v147, 2, v153
	v_add3_u32 v39, v197, v196, v211
	v_add3_u32 v148, v207, v206, v173
	ds_write_b32 v3, v169 offset:512
	v_lshlrev_b32_e32 v3, 2, v152
	ds_write_b32 v37, v174 offset:512
	ds_write_b32 v38, v177 offset:512
	;; [unrolled: 1-line block ×3, first 2 shown]
	v_lshlrev_b32_e32 v37, 2, v40
	v_cmp_lt_u32_e32 vcc_lo, v0, v146
	v_lshlrev_b32_e32 v38, 2, v151
	ds_write_b32 v3, v168 offset:512
	v_lshlrev_b32_e32 v3, 2, v39
	ds_write_b32 v37, v188 offset:512
	v_lshlrev_b32_e32 v37, 2, v148
	v_lshlrev_b32_e32 v147, 2, v149
	ds_write_b32 v3, v192 offset:512
	ds_write_b32 v38, v195 offset:512
	;; [unrolled: 1-line block ×4, first 2 shown]
	s_waitcnt lgkmcnt(0)
	s_barrier
	buffer_gl0_inv
	s_and_saveexec_b32 s23, vcc_lo
	s_cbranch_execnz .LBB1429_245
; %bb.177:                              ;   in Loop: Header=BB1429_96 Depth=2
	s_or_b32 exec_lo, exec_lo, s23
	v_cmp_lt_u32_e64 s22, v42, v146
	s_and_saveexec_b32 s24, s22
	s_cbranch_execnz .LBB1429_246
.LBB1429_178:                           ;   in Loop: Header=BB1429_96 Depth=2
	s_or_b32 exec_lo, exec_lo, s24
	v_cmp_lt_u32_e64 s23, v45, v146
	s_and_saveexec_b32 s25, s23
	s_cbranch_execnz .LBB1429_247
.LBB1429_179:                           ;   in Loop: Header=BB1429_96 Depth=2
	s_or_b32 exec_lo, exec_lo, s25
	v_cmp_lt_u32_e64 s24, v46, v146
	s_and_saveexec_b32 s26, s24
	s_cbranch_execnz .LBB1429_248
.LBB1429_180:                           ;   in Loop: Header=BB1429_96 Depth=2
	s_or_b32 exec_lo, exec_lo, s26
	v_cmp_lt_u32_e64 s25, v47, v146
	s_and_saveexec_b32 s28, s25
	s_cbranch_execnz .LBB1429_249
.LBB1429_181:                           ;   in Loop: Header=BB1429_96 Depth=2
	s_or_b32 exec_lo, exec_lo, s28
	v_cmp_lt_u32_e64 s26, v48, v146
	s_and_saveexec_b32 s29, s26
	s_cbranch_execnz .LBB1429_250
.LBB1429_182:                           ;   in Loop: Header=BB1429_96 Depth=2
	s_or_b32 exec_lo, exec_lo, s29
	v_cmp_lt_u32_e64 s28, v49, v146
	s_and_saveexec_b32 s30, s28
	s_cbranch_execnz .LBB1429_251
.LBB1429_183:                           ;   in Loop: Header=BB1429_96 Depth=2
	s_or_b32 exec_lo, exec_lo, s30
	v_cmp_lt_u32_e64 s29, v50, v146
	s_and_saveexec_b32 s31, s29
	s_cbranch_execnz .LBB1429_252
.LBB1429_184:                           ;   in Loop: Header=BB1429_96 Depth=2
	s_or_b32 exec_lo, exec_lo, s31
	v_cmp_lt_u32_e64 s30, v51, v146
	s_and_saveexec_b32 s33, s30
	s_cbranch_execnz .LBB1429_253
.LBB1429_185:                           ;   in Loop: Header=BB1429_96 Depth=2
	s_or_b32 exec_lo, exec_lo, s33
	v_cmp_lt_u32_e64 s31, v52, v146
	s_and_saveexec_b32 s34, s31
	s_cbranch_execnz .LBB1429_254
.LBB1429_186:                           ;   in Loop: Header=BB1429_96 Depth=2
	s_or_b32 exec_lo, exec_lo, s34
	v_cmp_lt_u32_e64 s33, v53, v146
	s_and_saveexec_b32 s35, s33
	s_cbranch_execnz .LBB1429_255
.LBB1429_187:                           ;   in Loop: Header=BB1429_96 Depth=2
	s_or_b32 exec_lo, exec_lo, s35
	v_cmp_lt_u32_e64 s34, v54, v146
	s_and_saveexec_b32 s36, s34
	s_cbranch_execnz .LBB1429_256
.LBB1429_188:                           ;   in Loop: Header=BB1429_96 Depth=2
	s_or_b32 exec_lo, exec_lo, s36
	v_cmp_lt_u32_e64 s35, v55, v146
	s_and_saveexec_b32 s37, s35
	s_cbranch_execnz .LBB1429_257
.LBB1429_189:                           ;   in Loop: Header=BB1429_96 Depth=2
	s_or_b32 exec_lo, exec_lo, s37
	v_cmp_lt_u32_e64 s36, v56, v146
	s_and_saveexec_b32 s38, s36
	s_cbranch_execnz .LBB1429_258
.LBB1429_190:                           ;   in Loop: Header=BB1429_96 Depth=2
	s_or_b32 exec_lo, exec_lo, s38
	v_cmp_lt_u32_e64 s37, v57, v146
	s_and_saveexec_b32 s39, s37
	s_cbranch_execnz .LBB1429_259
.LBB1429_191:                           ;   in Loop: Header=BB1429_96 Depth=2
	s_or_b32 exec_lo, exec_lo, s39
	v_cmp_lt_u32_e64 s38, v58, v146
	s_and_saveexec_b32 s64, s38
	s_cbranch_execz .LBB1429_193
.LBB1429_192:                           ;   in Loop: Header=BB1429_96 Depth=2
	ds_read_b32 v147, v66 offset:15872
	s_waitcnt lgkmcnt(0)
	v_cmp_ne_u32_e64 s39, 0x7fffffff, v147
	v_cndmask_b32_e64 v3, 0x80000000, v147, s39
	v_cmp_lt_i32_e64 s39, -1, v147
	v_lshrrev_b32_e32 v3, s52, v3
	v_cndmask_b32_e64 v150, 0x80000000, -1, s39
	v_and_b32_e32 v3, s61, v3
	v_lshlrev_b32_e32 v3, 2, v3
	ds_read_b32 v3, v3
	s_waitcnt lgkmcnt(0)
	v_add_nc_u32_e32 v3, v3, v58
	v_lshlrev_b64 v[37:38], 2, v[3:4]
	v_xor_b32_e32 v3, v150, v147
	v_add_co_u32 v37, s39, s42, v37
	v_add_co_ci_u32_e64 v38, null, s43, v38, s39
	global_store_dword v[37:38], v3, off
.LBB1429_193:                           ;   in Loop: Header=BB1429_96 Depth=2
	s_or_b32 exec_lo, exec_lo, s64
	s_lshl_b64 s[64:65], s[46:47], 3
	v_add_co_u32 v37, s39, v106, s64
	v_add_co_ci_u32_e64 v38, null, s65, v107, s39
	v_cmp_lt_u32_e64 s39, v105, v146
	s_and_saveexec_b32 s46, s39
	s_xor_b32 s39, exec_lo, s46
	s_cbranch_execnz .LBB1429_260
; %bb.194:                              ;   in Loop: Header=BB1429_96 Depth=2
	s_or_b32 exec_lo, exec_lo, s39
	s_mov_b32 s46, exec_lo
	v_cmpx_lt_u32_e64 v108, v146
	s_cbranch_execnz .LBB1429_261
.LBB1429_195:                           ;   in Loop: Header=BB1429_96 Depth=2
	s_or_b32 exec_lo, exec_lo, s46
	s_mov_b32 s46, exec_lo
	v_cmpx_lt_u32_e64 v109, v146
	s_cbranch_execnz .LBB1429_262
.LBB1429_196:                           ;   in Loop: Header=BB1429_96 Depth=2
	s_or_b32 exec_lo, exec_lo, s46
	s_mov_b32 s46, exec_lo
	v_cmpx_lt_u32_e64 v110, v146
	s_cbranch_execnz .LBB1429_263
.LBB1429_197:                           ;   in Loop: Header=BB1429_96 Depth=2
	s_or_b32 exec_lo, exec_lo, s46
	s_mov_b32 s46, exec_lo
	v_cmpx_lt_u32_e64 v111, v146
	s_cbranch_execnz .LBB1429_264
.LBB1429_198:                           ;   in Loop: Header=BB1429_96 Depth=2
	s_or_b32 exec_lo, exec_lo, s46
	s_mov_b32 s46, exec_lo
	v_cmpx_lt_u32_e64 v112, v146
	s_cbranch_execnz .LBB1429_265
.LBB1429_199:                           ;   in Loop: Header=BB1429_96 Depth=2
	s_or_b32 exec_lo, exec_lo, s46
	s_mov_b32 s46, exec_lo
	v_cmpx_lt_u32_e64 v113, v146
	s_cbranch_execnz .LBB1429_266
.LBB1429_200:                           ;   in Loop: Header=BB1429_96 Depth=2
	s_or_b32 exec_lo, exec_lo, s46
	s_mov_b32 s46, exec_lo
	v_cmpx_lt_u32_e64 v114, v146
	s_cbranch_execnz .LBB1429_267
.LBB1429_201:                           ;   in Loop: Header=BB1429_96 Depth=2
	s_or_b32 exec_lo, exec_lo, s46
	s_mov_b32 s46, exec_lo
	v_cmpx_lt_u32_e64 v115, v146
	s_cbranch_execnz .LBB1429_268
.LBB1429_202:                           ;   in Loop: Header=BB1429_96 Depth=2
	s_or_b32 exec_lo, exec_lo, s46
	s_mov_b32 s46, exec_lo
	v_cmpx_lt_u32_e64 v116, v146
	s_cbranch_execnz .LBB1429_269
.LBB1429_203:                           ;   in Loop: Header=BB1429_96 Depth=2
	s_or_b32 exec_lo, exec_lo, s46
	s_mov_b32 s46, exec_lo
	v_cmpx_lt_u32_e64 v117, v146
	s_cbranch_execnz .LBB1429_270
.LBB1429_204:                           ;   in Loop: Header=BB1429_96 Depth=2
	s_or_b32 exec_lo, exec_lo, s46
	s_mov_b32 s46, exec_lo
	v_cmpx_lt_u32_e64 v118, v146
	s_cbranch_execnz .LBB1429_271
.LBB1429_205:                           ;   in Loop: Header=BB1429_96 Depth=2
	s_or_b32 exec_lo, exec_lo, s46
	s_mov_b32 s46, exec_lo
	v_cmpx_lt_u32_e64 v119, v146
	s_cbranch_execnz .LBB1429_272
.LBB1429_206:                           ;   in Loop: Header=BB1429_96 Depth=2
	s_or_b32 exec_lo, exec_lo, s46
	s_mov_b32 s46, exec_lo
	v_cmpx_lt_u32_e64 v121, v146
	s_cbranch_execnz .LBB1429_273
.LBB1429_207:                           ;   in Loop: Header=BB1429_96 Depth=2
	s_or_b32 exec_lo, exec_lo, s46
	s_mov_b32 s46, exec_lo
	v_cmpx_lt_u32_e64 v122, v146
	s_cbranch_execnz .LBB1429_274
.LBB1429_208:                           ;   in Loop: Header=BB1429_96 Depth=2
	s_or_b32 exec_lo, exec_lo, s46
	s_mov_b32 s46, exec_lo
	v_cmpx_lt_u32_e64 v123, v146
	s_cbranch_execnz .LBB1429_275
.LBB1429_209:                           ;   in Loop: Header=BB1429_96 Depth=2
	s_or_b32 exec_lo, exec_lo, s46
	s_and_saveexec_b32 s46, vcc_lo
	s_cbranch_execnz .LBB1429_276
.LBB1429_210:                           ;   in Loop: Header=BB1429_96 Depth=2
	s_or_b32 exec_lo, exec_lo, s46
	s_and_saveexec_b32 s46, s22
	s_cbranch_execnz .LBB1429_277
.LBB1429_211:                           ;   in Loop: Header=BB1429_96 Depth=2
	s_or_b32 exec_lo, exec_lo, s46
	s_and_saveexec_b32 s46, s23
	s_cbranch_execnz .LBB1429_278
.LBB1429_212:                           ;   in Loop: Header=BB1429_96 Depth=2
	s_or_b32 exec_lo, exec_lo, s46
	s_and_saveexec_b32 s46, s24
	s_cbranch_execnz .LBB1429_279
.LBB1429_213:                           ;   in Loop: Header=BB1429_96 Depth=2
	s_or_b32 exec_lo, exec_lo, s46
	s_and_saveexec_b32 s46, s25
	s_cbranch_execnz .LBB1429_280
.LBB1429_214:                           ;   in Loop: Header=BB1429_96 Depth=2
	s_or_b32 exec_lo, exec_lo, s46
	s_and_saveexec_b32 s46, s26
	s_cbranch_execnz .LBB1429_281
.LBB1429_215:                           ;   in Loop: Header=BB1429_96 Depth=2
	s_or_b32 exec_lo, exec_lo, s46
	s_and_saveexec_b32 s46, s28
	s_cbranch_execnz .LBB1429_282
.LBB1429_216:                           ;   in Loop: Header=BB1429_96 Depth=2
	s_or_b32 exec_lo, exec_lo, s46
	s_and_saveexec_b32 s46, s29
	s_cbranch_execnz .LBB1429_283
.LBB1429_217:                           ;   in Loop: Header=BB1429_96 Depth=2
	s_or_b32 exec_lo, exec_lo, s46
	s_and_saveexec_b32 s46, s30
	s_cbranch_execnz .LBB1429_284
.LBB1429_218:                           ;   in Loop: Header=BB1429_96 Depth=2
	s_or_b32 exec_lo, exec_lo, s46
	s_and_saveexec_b32 s46, s31
	s_cbranch_execnz .LBB1429_285
.LBB1429_219:                           ;   in Loop: Header=BB1429_96 Depth=2
	s_or_b32 exec_lo, exec_lo, s46
	s_and_saveexec_b32 s46, s33
	s_cbranch_execnz .LBB1429_286
.LBB1429_220:                           ;   in Loop: Header=BB1429_96 Depth=2
	s_or_b32 exec_lo, exec_lo, s46
	s_and_saveexec_b32 s46, s34
	s_cbranch_execnz .LBB1429_287
.LBB1429_221:                           ;   in Loop: Header=BB1429_96 Depth=2
	s_or_b32 exec_lo, exec_lo, s46
	s_and_saveexec_b32 s46, s35
	s_cbranch_execnz .LBB1429_288
.LBB1429_222:                           ;   in Loop: Header=BB1429_96 Depth=2
	s_or_b32 exec_lo, exec_lo, s46
	s_and_saveexec_b32 s46, s36
	s_cbranch_execnz .LBB1429_289
.LBB1429_223:                           ;   in Loop: Header=BB1429_96 Depth=2
	s_or_b32 exec_lo, exec_lo, s46
	s_and_saveexec_b32 s46, s37
	s_cbranch_execnz .LBB1429_290
.LBB1429_224:                           ;   in Loop: Header=BB1429_96 Depth=2
	s_or_b32 exec_lo, exec_lo, s46
	s_and_saveexec_b32 s46, s38
	s_cbranch_execz .LBB1429_226
.LBB1429_225:                           ;   in Loop: Header=BB1429_96 Depth=2
	ds_read_b32 v3, v66 offset:15872
	s_waitcnt lgkmcnt(0)
	v_cmp_ne_u32_e64 s39, 0x7fffffff, v3
	v_cndmask_b32_e64 v3, 0x80000000, v3, s39
	v_lshrrev_b32_e32 v3, s52, v3
	v_and_b32_e32 v128, s61, v3
.LBB1429_226:                           ;   in Loop: Header=BB1429_96 Depth=2
	s_or_b32 exec_lo, exec_lo, s46
	v_lshlrev_b32_e32 v3, 3, v167
	v_lshlrev_b32_e32 v37, 3, v163
	s_waitcnt vmcnt(0)
	s_waitcnt_vscnt null, 0x0
	s_barrier
	buffer_gl0_inv
	ds_write_b64 v3, v[35:36] offset:512
	v_lshlrev_b32_e32 v3, 3, v162
	v_lshlrev_b32_e32 v38, 3, v161
	;; [unrolled: 1-line block ×4, first 2 shown]
	ds_write_b64 v37, v[33:34] offset:512
	ds_write_b64 v3, v[31:32] offset:512
	;; [unrolled: 1-line block ×5, first 2 shown]
	v_lshlrev_b32_e32 v3, 3, v157
	v_lshlrev_b32_e32 v37, 3, v156
	;; [unrolled: 1-line block ×5, first 2 shown]
	ds_write_b64 v3, v[19:20] offset:512
	ds_write_b64 v37, v[15:16] offset:512
	;; [unrolled: 1-line block ×5, first 2 shown]
	v_lshlrev_b32_e32 v3, 3, v40
	v_lshlrev_b32_e32 v37, 3, v39
	;; [unrolled: 1-line block ×5, first 2 shown]
	ds_write_b64 v3, v[13:14] offset:512
	ds_write_b64 v37, v[11:12] offset:512
	;; [unrolled: 1-line block ×5, first 2 shown]
	s_waitcnt lgkmcnt(0)
	s_barrier
	buffer_gl0_inv
	s_and_saveexec_b32 s39, vcc_lo
	s_cbranch_execnz .LBB1429_291
; %bb.227:                              ;   in Loop: Header=BB1429_96 Depth=2
	s_or_b32 exec_lo, exec_lo, s39
	s_and_saveexec_b32 s39, s22
	s_cbranch_execnz .LBB1429_292
.LBB1429_228:                           ;   in Loop: Header=BB1429_96 Depth=2
	s_or_b32 exec_lo, exec_lo, s39
	s_and_saveexec_b32 s22, s23
	s_cbranch_execnz .LBB1429_293
.LBB1429_229:                           ;   in Loop: Header=BB1429_96 Depth=2
	s_or_b32 exec_lo, exec_lo, s22
	s_and_saveexec_b32 s22, s24
	s_cbranch_execnz .LBB1429_294
.LBB1429_230:                           ;   in Loop: Header=BB1429_96 Depth=2
	s_or_b32 exec_lo, exec_lo, s22
	s_and_saveexec_b32 s22, s25
	s_cbranch_execnz .LBB1429_295
.LBB1429_231:                           ;   in Loop: Header=BB1429_96 Depth=2
	s_or_b32 exec_lo, exec_lo, s22
	s_and_saveexec_b32 s22, s26
	s_cbranch_execnz .LBB1429_296
.LBB1429_232:                           ;   in Loop: Header=BB1429_96 Depth=2
	s_or_b32 exec_lo, exec_lo, s22
	s_and_saveexec_b32 s22, s28
	s_cbranch_execnz .LBB1429_297
.LBB1429_233:                           ;   in Loop: Header=BB1429_96 Depth=2
	s_or_b32 exec_lo, exec_lo, s22
	s_and_saveexec_b32 s22, s29
	s_cbranch_execnz .LBB1429_298
.LBB1429_234:                           ;   in Loop: Header=BB1429_96 Depth=2
	s_or_b32 exec_lo, exec_lo, s22
	s_and_saveexec_b32 s22, s30
	s_cbranch_execnz .LBB1429_299
.LBB1429_235:                           ;   in Loop: Header=BB1429_96 Depth=2
	s_or_b32 exec_lo, exec_lo, s22
	s_and_saveexec_b32 s22, s31
	s_cbranch_execnz .LBB1429_300
.LBB1429_236:                           ;   in Loop: Header=BB1429_96 Depth=2
	s_or_b32 exec_lo, exec_lo, s22
	s_and_saveexec_b32 s22, s33
	s_cbranch_execnz .LBB1429_301
.LBB1429_237:                           ;   in Loop: Header=BB1429_96 Depth=2
	s_or_b32 exec_lo, exec_lo, s22
	s_and_saveexec_b32 s22, s34
	s_cbranch_execnz .LBB1429_302
.LBB1429_238:                           ;   in Loop: Header=BB1429_96 Depth=2
	s_or_b32 exec_lo, exec_lo, s22
	s_and_saveexec_b32 s22, s35
	s_cbranch_execnz .LBB1429_303
.LBB1429_239:                           ;   in Loop: Header=BB1429_96 Depth=2
	s_or_b32 exec_lo, exec_lo, s22
	s_and_saveexec_b32 s22, s36
	s_cbranch_execnz .LBB1429_304
.LBB1429_240:                           ;   in Loop: Header=BB1429_96 Depth=2
	s_or_b32 exec_lo, exec_lo, s22
	s_and_saveexec_b32 s22, s37
	s_cbranch_execnz .LBB1429_305
.LBB1429_241:                           ;   in Loop: Header=BB1429_96 Depth=2
	s_or_b32 exec_lo, exec_lo, s22
	s_and_saveexec_b32 s22, s38
	s_cbranch_execz .LBB1429_243
.LBB1429_242:                           ;   in Loop: Header=BB1429_96 Depth=2
	v_lshlrev_b32_e32 v3, 2, v128
	v_add_nc_u32_e32 v37, v66, v41
	ds_read_b32 v3, v3
	ds_read_b64 v[37:38], v37 offset:31232
	s_waitcnt lgkmcnt(1)
	v_add_nc_u32_e32 v3, v3, v58
	v_lshlrev_b64 v[39:40], 3, v[3:4]
	v_add_co_u32 v39, vcc_lo, s48, v39
	v_add_co_ci_u32_e64 v40, null, s49, v40, vcc_lo
	s_waitcnt lgkmcnt(0)
	global_store_dwordx2 v[39:40], v[37:38], off
.LBB1429_243:                           ;   in Loop: Header=BB1429_96 Depth=2
	s_or_b32 exec_lo, exec_lo, s22
	s_waitcnt_vscnt null, 0x0
	s_barrier
	buffer_gl0_inv
	s_and_saveexec_b32 s22, s7
	s_cbranch_execz .LBB1429_95
; %bb.244:                              ;   in Loop: Header=BB1429_96 Depth=2
	ds_read_b32 v3, v41
	s_waitcnt lgkmcnt(0)
	v_add3_u32 v3, v140, v145, v3
	ds_write_b32 v41, v3
	s_branch .LBB1429_95
.LBB1429_245:                           ;   in Loop: Header=BB1429_96 Depth=2
	ds_read_b32 v147, v66 offset:512
	s_waitcnt lgkmcnt(0)
	v_cmp_ne_u32_e64 s22, 0x7fffffff, v147
	v_cndmask_b32_e64 v3, 0x80000000, v147, s22
	v_cmp_lt_i32_e64 s22, -1, v147
	v_lshrrev_b32_e32 v3, s52, v3
	v_cndmask_b32_e64 v150, 0x80000000, -1, s22
	v_and_b32_e32 v3, s61, v3
	v_lshlrev_b32_e32 v3, 2, v3
	ds_read_b32 v3, v3
	s_waitcnt lgkmcnt(0)
	v_add_nc_u32_e32 v3, v3, v0
	v_lshlrev_b64 v[37:38], 2, v[3:4]
	v_xor_b32_e32 v3, v150, v147
	v_add_co_u32 v37, s22, s42, v37
	v_add_co_ci_u32_e64 v38, null, s43, v38, s22
	global_store_dword v[37:38], v3, off
	s_or_b32 exec_lo, exec_lo, s23
	v_cmp_lt_u32_e64 s22, v42, v146
	s_and_saveexec_b32 s24, s22
	s_cbranch_execz .LBB1429_178
.LBB1429_246:                           ;   in Loop: Header=BB1429_96 Depth=2
	ds_read_b32 v147, v66 offset:1536
	s_waitcnt lgkmcnt(0)
	v_cmp_ne_u32_e64 s23, 0x7fffffff, v147
	v_cndmask_b32_e64 v3, 0x80000000, v147, s23
	v_cmp_lt_i32_e64 s23, -1, v147
	v_lshrrev_b32_e32 v3, s52, v3
	v_cndmask_b32_e64 v150, 0x80000000, -1, s23
	v_and_b32_e32 v3, s61, v3
	v_lshlrev_b32_e32 v3, 2, v3
	ds_read_b32 v3, v3
	s_waitcnt lgkmcnt(0)
	v_add_nc_u32_e32 v3, v3, v42
	v_lshlrev_b64 v[37:38], 2, v[3:4]
	v_xor_b32_e32 v3, v150, v147
	v_add_co_u32 v37, s23, s42, v37
	v_add_co_ci_u32_e64 v38, null, s43, v38, s23
	global_store_dword v[37:38], v3, off
	s_or_b32 exec_lo, exec_lo, s24
	v_cmp_lt_u32_e64 s23, v45, v146
	s_and_saveexec_b32 s25, s23
	s_cbranch_execz .LBB1429_179
.LBB1429_247:                           ;   in Loop: Header=BB1429_96 Depth=2
	ds_read_b32 v147, v66 offset:2560
	s_waitcnt lgkmcnt(0)
	v_cmp_ne_u32_e64 s24, 0x7fffffff, v147
	v_cndmask_b32_e64 v3, 0x80000000, v147, s24
	v_cmp_lt_i32_e64 s24, -1, v147
	v_lshrrev_b32_e32 v3, s52, v3
	v_cndmask_b32_e64 v150, 0x80000000, -1, s24
	v_and_b32_e32 v3, s61, v3
	v_lshlrev_b32_e32 v3, 2, v3
	ds_read_b32 v3, v3
	s_waitcnt lgkmcnt(0)
	v_add_nc_u32_e32 v3, v3, v45
	v_lshlrev_b64 v[37:38], 2, v[3:4]
	v_xor_b32_e32 v3, v150, v147
	v_add_co_u32 v37, s24, s42, v37
	v_add_co_ci_u32_e64 v38, null, s43, v38, s24
	global_store_dword v[37:38], v3, off
	s_or_b32 exec_lo, exec_lo, s25
	v_cmp_lt_u32_e64 s24, v46, v146
	s_and_saveexec_b32 s26, s24
	s_cbranch_execz .LBB1429_180
.LBB1429_248:                           ;   in Loop: Header=BB1429_96 Depth=2
	ds_read_b32 v147, v66 offset:3584
	s_waitcnt lgkmcnt(0)
	v_cmp_ne_u32_e64 s25, 0x7fffffff, v147
	v_cndmask_b32_e64 v3, 0x80000000, v147, s25
	v_cmp_lt_i32_e64 s25, -1, v147
	v_lshrrev_b32_e32 v3, s52, v3
	v_cndmask_b32_e64 v150, 0x80000000, -1, s25
	v_and_b32_e32 v3, s61, v3
	v_lshlrev_b32_e32 v3, 2, v3
	ds_read_b32 v3, v3
	s_waitcnt lgkmcnt(0)
	v_add_nc_u32_e32 v3, v3, v46
	v_lshlrev_b64 v[37:38], 2, v[3:4]
	v_xor_b32_e32 v3, v150, v147
	v_add_co_u32 v37, s25, s42, v37
	v_add_co_ci_u32_e64 v38, null, s43, v38, s25
	global_store_dword v[37:38], v3, off
	s_or_b32 exec_lo, exec_lo, s26
	v_cmp_lt_u32_e64 s25, v47, v146
	s_and_saveexec_b32 s28, s25
	s_cbranch_execz .LBB1429_181
.LBB1429_249:                           ;   in Loop: Header=BB1429_96 Depth=2
	ds_read_b32 v147, v66 offset:4608
	s_waitcnt lgkmcnt(0)
	v_cmp_ne_u32_e64 s26, 0x7fffffff, v147
	v_cndmask_b32_e64 v3, 0x80000000, v147, s26
	v_cmp_lt_i32_e64 s26, -1, v147
	v_lshrrev_b32_e32 v3, s52, v3
	v_cndmask_b32_e64 v150, 0x80000000, -1, s26
	v_and_b32_e32 v3, s61, v3
	v_lshlrev_b32_e32 v3, 2, v3
	ds_read_b32 v3, v3
	s_waitcnt lgkmcnt(0)
	v_add_nc_u32_e32 v3, v3, v47
	v_lshlrev_b64 v[37:38], 2, v[3:4]
	v_xor_b32_e32 v3, v150, v147
	v_add_co_u32 v37, s26, s42, v37
	v_add_co_ci_u32_e64 v38, null, s43, v38, s26
	global_store_dword v[37:38], v3, off
	s_or_b32 exec_lo, exec_lo, s28
	v_cmp_lt_u32_e64 s26, v48, v146
	s_and_saveexec_b32 s29, s26
	s_cbranch_execz .LBB1429_182
.LBB1429_250:                           ;   in Loop: Header=BB1429_96 Depth=2
	ds_read_b32 v147, v66 offset:5632
	s_waitcnt lgkmcnt(0)
	v_cmp_ne_u32_e64 s28, 0x7fffffff, v147
	v_cndmask_b32_e64 v3, 0x80000000, v147, s28
	v_cmp_lt_i32_e64 s28, -1, v147
	v_lshrrev_b32_e32 v3, s52, v3
	v_cndmask_b32_e64 v150, 0x80000000, -1, s28
	v_and_b32_e32 v3, s61, v3
	v_lshlrev_b32_e32 v3, 2, v3
	ds_read_b32 v3, v3
	s_waitcnt lgkmcnt(0)
	v_add_nc_u32_e32 v3, v3, v48
	v_lshlrev_b64 v[37:38], 2, v[3:4]
	v_xor_b32_e32 v3, v150, v147
	v_add_co_u32 v37, s28, s42, v37
	v_add_co_ci_u32_e64 v38, null, s43, v38, s28
	global_store_dword v[37:38], v3, off
	s_or_b32 exec_lo, exec_lo, s29
	v_cmp_lt_u32_e64 s28, v49, v146
	s_and_saveexec_b32 s30, s28
	s_cbranch_execz .LBB1429_183
.LBB1429_251:                           ;   in Loop: Header=BB1429_96 Depth=2
	ds_read_b32 v147, v66 offset:6656
	s_waitcnt lgkmcnt(0)
	v_cmp_ne_u32_e64 s29, 0x7fffffff, v147
	v_cndmask_b32_e64 v3, 0x80000000, v147, s29
	v_cmp_lt_i32_e64 s29, -1, v147
	v_lshrrev_b32_e32 v3, s52, v3
	v_cndmask_b32_e64 v150, 0x80000000, -1, s29
	v_and_b32_e32 v3, s61, v3
	v_lshlrev_b32_e32 v3, 2, v3
	ds_read_b32 v3, v3
	s_waitcnt lgkmcnt(0)
	v_add_nc_u32_e32 v3, v3, v49
	v_lshlrev_b64 v[37:38], 2, v[3:4]
	v_xor_b32_e32 v3, v150, v147
	v_add_co_u32 v37, s29, s42, v37
	v_add_co_ci_u32_e64 v38, null, s43, v38, s29
	global_store_dword v[37:38], v3, off
	s_or_b32 exec_lo, exec_lo, s30
	v_cmp_lt_u32_e64 s29, v50, v146
	s_and_saveexec_b32 s31, s29
	s_cbranch_execz .LBB1429_184
.LBB1429_252:                           ;   in Loop: Header=BB1429_96 Depth=2
	ds_read_b32 v147, v66 offset:7680
	s_waitcnt lgkmcnt(0)
	v_cmp_ne_u32_e64 s30, 0x7fffffff, v147
	v_cndmask_b32_e64 v3, 0x80000000, v147, s30
	v_cmp_lt_i32_e64 s30, -1, v147
	v_lshrrev_b32_e32 v3, s52, v3
	v_cndmask_b32_e64 v150, 0x80000000, -1, s30
	v_and_b32_e32 v3, s61, v3
	v_lshlrev_b32_e32 v3, 2, v3
	ds_read_b32 v3, v3
	s_waitcnt lgkmcnt(0)
	v_add_nc_u32_e32 v3, v3, v50
	v_lshlrev_b64 v[37:38], 2, v[3:4]
	v_xor_b32_e32 v3, v150, v147
	v_add_co_u32 v37, s30, s42, v37
	v_add_co_ci_u32_e64 v38, null, s43, v38, s30
	global_store_dword v[37:38], v3, off
	s_or_b32 exec_lo, exec_lo, s31
	v_cmp_lt_u32_e64 s30, v51, v146
	s_and_saveexec_b32 s33, s30
	s_cbranch_execz .LBB1429_185
.LBB1429_253:                           ;   in Loop: Header=BB1429_96 Depth=2
	ds_read_b32 v147, v66 offset:8704
	s_waitcnt lgkmcnt(0)
	v_cmp_ne_u32_e64 s31, 0x7fffffff, v147
	v_cndmask_b32_e64 v3, 0x80000000, v147, s31
	v_cmp_lt_i32_e64 s31, -1, v147
	v_lshrrev_b32_e32 v3, s52, v3
	v_cndmask_b32_e64 v150, 0x80000000, -1, s31
	v_and_b32_e32 v3, s61, v3
	v_lshlrev_b32_e32 v3, 2, v3
	ds_read_b32 v3, v3
	s_waitcnt lgkmcnt(0)
	v_add_nc_u32_e32 v3, v3, v51
	v_lshlrev_b64 v[37:38], 2, v[3:4]
	v_xor_b32_e32 v3, v150, v147
	v_add_co_u32 v37, s31, s42, v37
	v_add_co_ci_u32_e64 v38, null, s43, v38, s31
	global_store_dword v[37:38], v3, off
	s_or_b32 exec_lo, exec_lo, s33
	v_cmp_lt_u32_e64 s31, v52, v146
	s_and_saveexec_b32 s34, s31
	s_cbranch_execz .LBB1429_186
.LBB1429_254:                           ;   in Loop: Header=BB1429_96 Depth=2
	ds_read_b32 v147, v66 offset:9728
	s_waitcnt lgkmcnt(0)
	v_cmp_ne_u32_e64 s33, 0x7fffffff, v147
	v_cndmask_b32_e64 v3, 0x80000000, v147, s33
	v_cmp_lt_i32_e64 s33, -1, v147
	v_lshrrev_b32_e32 v3, s52, v3
	v_cndmask_b32_e64 v150, 0x80000000, -1, s33
	v_and_b32_e32 v3, s61, v3
	v_lshlrev_b32_e32 v3, 2, v3
	ds_read_b32 v3, v3
	s_waitcnt lgkmcnt(0)
	v_add_nc_u32_e32 v3, v3, v52
	v_lshlrev_b64 v[37:38], 2, v[3:4]
	v_xor_b32_e32 v3, v150, v147
	v_add_co_u32 v37, s33, s42, v37
	v_add_co_ci_u32_e64 v38, null, s43, v38, s33
	global_store_dword v[37:38], v3, off
	s_or_b32 exec_lo, exec_lo, s34
	v_cmp_lt_u32_e64 s33, v53, v146
	s_and_saveexec_b32 s35, s33
	s_cbranch_execz .LBB1429_187
.LBB1429_255:                           ;   in Loop: Header=BB1429_96 Depth=2
	ds_read_b32 v147, v66 offset:10752
	s_waitcnt lgkmcnt(0)
	v_cmp_ne_u32_e64 s34, 0x7fffffff, v147
	v_cndmask_b32_e64 v3, 0x80000000, v147, s34
	v_cmp_lt_i32_e64 s34, -1, v147
	v_lshrrev_b32_e32 v3, s52, v3
	v_cndmask_b32_e64 v150, 0x80000000, -1, s34
	v_and_b32_e32 v3, s61, v3
	v_lshlrev_b32_e32 v3, 2, v3
	ds_read_b32 v3, v3
	s_waitcnt lgkmcnt(0)
	v_add_nc_u32_e32 v3, v3, v53
	v_lshlrev_b64 v[37:38], 2, v[3:4]
	v_xor_b32_e32 v3, v150, v147
	v_add_co_u32 v37, s34, s42, v37
	v_add_co_ci_u32_e64 v38, null, s43, v38, s34
	global_store_dword v[37:38], v3, off
	s_or_b32 exec_lo, exec_lo, s35
	v_cmp_lt_u32_e64 s34, v54, v146
	s_and_saveexec_b32 s36, s34
	s_cbranch_execz .LBB1429_188
.LBB1429_256:                           ;   in Loop: Header=BB1429_96 Depth=2
	ds_read_b32 v147, v66 offset:11776
	s_waitcnt lgkmcnt(0)
	v_cmp_ne_u32_e64 s35, 0x7fffffff, v147
	v_cndmask_b32_e64 v3, 0x80000000, v147, s35
	v_cmp_lt_i32_e64 s35, -1, v147
	v_lshrrev_b32_e32 v3, s52, v3
	v_cndmask_b32_e64 v150, 0x80000000, -1, s35
	v_and_b32_e32 v3, s61, v3
	v_lshlrev_b32_e32 v3, 2, v3
	ds_read_b32 v3, v3
	s_waitcnt lgkmcnt(0)
	v_add_nc_u32_e32 v3, v3, v54
	v_lshlrev_b64 v[37:38], 2, v[3:4]
	v_xor_b32_e32 v3, v150, v147
	v_add_co_u32 v37, s35, s42, v37
	v_add_co_ci_u32_e64 v38, null, s43, v38, s35
	global_store_dword v[37:38], v3, off
	s_or_b32 exec_lo, exec_lo, s36
	v_cmp_lt_u32_e64 s35, v55, v146
	s_and_saveexec_b32 s37, s35
	s_cbranch_execz .LBB1429_189
.LBB1429_257:                           ;   in Loop: Header=BB1429_96 Depth=2
	ds_read_b32 v147, v66 offset:12800
	s_waitcnt lgkmcnt(0)
	v_cmp_ne_u32_e64 s36, 0x7fffffff, v147
	v_cndmask_b32_e64 v3, 0x80000000, v147, s36
	v_cmp_lt_i32_e64 s36, -1, v147
	v_lshrrev_b32_e32 v3, s52, v3
	v_cndmask_b32_e64 v150, 0x80000000, -1, s36
	v_and_b32_e32 v3, s61, v3
	v_lshlrev_b32_e32 v3, 2, v3
	ds_read_b32 v3, v3
	s_waitcnt lgkmcnt(0)
	v_add_nc_u32_e32 v3, v3, v55
	v_lshlrev_b64 v[37:38], 2, v[3:4]
	v_xor_b32_e32 v3, v150, v147
	v_add_co_u32 v37, s36, s42, v37
	v_add_co_ci_u32_e64 v38, null, s43, v38, s36
	global_store_dword v[37:38], v3, off
	s_or_b32 exec_lo, exec_lo, s37
	v_cmp_lt_u32_e64 s36, v56, v146
	s_and_saveexec_b32 s38, s36
	s_cbranch_execz .LBB1429_190
.LBB1429_258:                           ;   in Loop: Header=BB1429_96 Depth=2
	ds_read_b32 v147, v66 offset:13824
	s_waitcnt lgkmcnt(0)
	v_cmp_ne_u32_e64 s37, 0x7fffffff, v147
	v_cndmask_b32_e64 v3, 0x80000000, v147, s37
	v_cmp_lt_i32_e64 s37, -1, v147
	v_lshrrev_b32_e32 v3, s52, v3
	v_cndmask_b32_e64 v150, 0x80000000, -1, s37
	v_and_b32_e32 v3, s61, v3
	v_lshlrev_b32_e32 v3, 2, v3
	ds_read_b32 v3, v3
	s_waitcnt lgkmcnt(0)
	v_add_nc_u32_e32 v3, v3, v56
	v_lshlrev_b64 v[37:38], 2, v[3:4]
	v_xor_b32_e32 v3, v150, v147
	v_add_co_u32 v37, s37, s42, v37
	v_add_co_ci_u32_e64 v38, null, s43, v38, s37
	global_store_dword v[37:38], v3, off
	s_or_b32 exec_lo, exec_lo, s38
	v_cmp_lt_u32_e64 s37, v57, v146
	s_and_saveexec_b32 s39, s37
	s_cbranch_execz .LBB1429_191
.LBB1429_259:                           ;   in Loop: Header=BB1429_96 Depth=2
	ds_read_b32 v147, v66 offset:14848
	s_waitcnt lgkmcnt(0)
	v_cmp_ne_u32_e64 s38, 0x7fffffff, v147
	v_cndmask_b32_e64 v3, 0x80000000, v147, s38
	v_cmp_lt_i32_e64 s38, -1, v147
	v_lshrrev_b32_e32 v3, s52, v3
	v_cndmask_b32_e64 v150, 0x80000000, -1, s38
	v_and_b32_e32 v3, s61, v3
	v_lshlrev_b32_e32 v3, 2, v3
	ds_read_b32 v3, v3
	s_waitcnt lgkmcnt(0)
	v_add_nc_u32_e32 v3, v3, v57
	v_lshlrev_b64 v[37:38], 2, v[3:4]
	v_xor_b32_e32 v3, v150, v147
	v_add_co_u32 v37, s38, s42, v37
	v_add_co_ci_u32_e64 v38, null, s43, v38, s38
	global_store_dword v[37:38], v3, off
	s_or_b32 exec_lo, exec_lo, s39
	v_cmp_lt_u32_e64 s38, v58, v146
	s_and_saveexec_b32 s64, s38
	s_cbranch_execnz .LBB1429_192
	s_branch .LBB1429_193
.LBB1429_260:                           ;   in Loop: Header=BB1429_96 Depth=2
	global_load_dwordx2 v[35:36], v[37:38], off
	s_or_b32 exec_lo, exec_lo, s39
	s_mov_b32 s46, exec_lo
	v_cmpx_lt_u32_e64 v108, v146
	s_cbranch_execz .LBB1429_195
.LBB1429_261:                           ;   in Loop: Header=BB1429_96 Depth=2
	global_load_dwordx2 v[33:34], v[37:38], off offset:256
	s_or_b32 exec_lo, exec_lo, s46
	s_mov_b32 s46, exec_lo
	v_cmpx_lt_u32_e64 v109, v146
	s_cbranch_execz .LBB1429_196
.LBB1429_262:                           ;   in Loop: Header=BB1429_96 Depth=2
	global_load_dwordx2 v[31:32], v[37:38], off offset:512
	s_or_b32 exec_lo, exec_lo, s46
	s_mov_b32 s46, exec_lo
	v_cmpx_lt_u32_e64 v110, v146
	s_cbranch_execz .LBB1429_197
.LBB1429_263:                           ;   in Loop: Header=BB1429_96 Depth=2
	global_load_dwordx2 v[29:30], v[37:38], off offset:768
	s_or_b32 exec_lo, exec_lo, s46
	s_mov_b32 s46, exec_lo
	v_cmpx_lt_u32_e64 v111, v146
	s_cbranch_execz .LBB1429_198
.LBB1429_264:                           ;   in Loop: Header=BB1429_96 Depth=2
	global_load_dwordx2 v[27:28], v[37:38], off offset:1024
	s_or_b32 exec_lo, exec_lo, s46
	s_mov_b32 s46, exec_lo
	v_cmpx_lt_u32_e64 v112, v146
	s_cbranch_execz .LBB1429_199
.LBB1429_265:                           ;   in Loop: Header=BB1429_96 Depth=2
	global_load_dwordx2 v[23:24], v[37:38], off offset:1280
	s_or_b32 exec_lo, exec_lo, s46
	s_mov_b32 s46, exec_lo
	v_cmpx_lt_u32_e64 v113, v146
	s_cbranch_execz .LBB1429_200
.LBB1429_266:                           ;   in Loop: Header=BB1429_96 Depth=2
	global_load_dwordx2 v[19:20], v[37:38], off offset:1536
	s_or_b32 exec_lo, exec_lo, s46
	s_mov_b32 s46, exec_lo
	v_cmpx_lt_u32_e64 v114, v146
	s_cbranch_execz .LBB1429_201
.LBB1429_267:                           ;   in Loop: Header=BB1429_96 Depth=2
	global_load_dwordx2 v[15:16], v[37:38], off offset:1792
	s_or_b32 exec_lo, exec_lo, s46
	s_mov_b32 s46, exec_lo
	v_cmpx_lt_u32_e64 v115, v146
	s_cbranch_execz .LBB1429_202
.LBB1429_268:                           ;   in Loop: Header=BB1429_96 Depth=2
	v_add_co_u32 v25, s39, 0x800, v37
	v_add_co_ci_u32_e64 v26, null, 0, v38, s39
	global_load_dwordx2 v[25:26], v[25:26], off
	s_or_b32 exec_lo, exec_lo, s46
	s_mov_b32 s46, exec_lo
	v_cmpx_lt_u32_e64 v116, v146
	s_cbranch_execz .LBB1429_203
.LBB1429_269:                           ;   in Loop: Header=BB1429_96 Depth=2
	v_add_co_u32 v21, s39, 0x800, v37
	v_add_co_ci_u32_e64 v22, null, 0, v38, s39
	global_load_dwordx2 v[21:22], v[21:22], off offset:256
	s_or_b32 exec_lo, exec_lo, s46
	s_mov_b32 s46, exec_lo
	v_cmpx_lt_u32_e64 v117, v146
	s_cbranch_execz .LBB1429_204
.LBB1429_270:                           ;   in Loop: Header=BB1429_96 Depth=2
	v_add_co_u32 v17, s39, 0x800, v37
	v_add_co_ci_u32_e64 v18, null, 0, v38, s39
	global_load_dwordx2 v[17:18], v[17:18], off offset:512
	s_or_b32 exec_lo, exec_lo, s46
	s_mov_b32 s46, exec_lo
	v_cmpx_lt_u32_e64 v118, v146
	s_cbranch_execz .LBB1429_205
.LBB1429_271:                           ;   in Loop: Header=BB1429_96 Depth=2
	v_add_co_u32 v13, s39, 0x800, v37
	v_add_co_ci_u32_e64 v14, null, 0, v38, s39
	global_load_dwordx2 v[13:14], v[13:14], off offset:768
	s_or_b32 exec_lo, exec_lo, s46
	s_mov_b32 s46, exec_lo
	v_cmpx_lt_u32_e64 v119, v146
	s_cbranch_execz .LBB1429_206
.LBB1429_272:                           ;   in Loop: Header=BB1429_96 Depth=2
	v_add_co_u32 v11, s39, 0x800, v37
	v_add_co_ci_u32_e64 v12, null, 0, v38, s39
	global_load_dwordx2 v[11:12], v[11:12], off offset:1024
	s_or_b32 exec_lo, exec_lo, s46
	s_mov_b32 s46, exec_lo
	v_cmpx_lt_u32_e64 v121, v146
	s_cbranch_execz .LBB1429_207
.LBB1429_273:                           ;   in Loop: Header=BB1429_96 Depth=2
	v_add_co_u32 v9, s39, 0x800, v37
	v_add_co_ci_u32_e64 v10, null, 0, v38, s39
	global_load_dwordx2 v[9:10], v[9:10], off offset:1280
	s_or_b32 exec_lo, exec_lo, s46
	s_mov_b32 s46, exec_lo
	v_cmpx_lt_u32_e64 v122, v146
	s_cbranch_execz .LBB1429_208
.LBB1429_274:                           ;   in Loop: Header=BB1429_96 Depth=2
	v_add_co_u32 v7, s39, 0x800, v37
	v_add_co_ci_u32_e64 v8, null, 0, v38, s39
	global_load_dwordx2 v[7:8], v[7:8], off offset:1536
	s_or_b32 exec_lo, exec_lo, s46
	s_mov_b32 s46, exec_lo
	v_cmpx_lt_u32_e64 v123, v146
	s_cbranch_execz .LBB1429_209
.LBB1429_275:                           ;   in Loop: Header=BB1429_96 Depth=2
	v_add_co_u32 v5, s39, 0x800, v37
	v_add_co_ci_u32_e64 v6, null, 0, v38, s39
	global_load_dwordx2 v[5:6], v[5:6], off offset:1792
	s_or_b32 exec_lo, exec_lo, s46
	s_and_saveexec_b32 s46, vcc_lo
	s_cbranch_execz .LBB1429_210
.LBB1429_276:                           ;   in Loop: Header=BB1429_96 Depth=2
	ds_read_b32 v3, v66 offset:512
	s_waitcnt lgkmcnt(0)
	v_cmp_ne_u32_e64 s39, 0x7fffffff, v3
	v_cndmask_b32_e64 v3, 0x80000000, v3, s39
	v_lshrrev_b32_e32 v3, s52, v3
	v_and_b32_e32 v144, s61, v3
	s_or_b32 exec_lo, exec_lo, s46
	s_and_saveexec_b32 s46, s22
	s_cbranch_execz .LBB1429_211
.LBB1429_277:                           ;   in Loop: Header=BB1429_96 Depth=2
	ds_read_b32 v3, v66 offset:1536
	s_waitcnt lgkmcnt(0)
	v_cmp_ne_u32_e64 s39, 0x7fffffff, v3
	v_cndmask_b32_e64 v3, 0x80000000, v3, s39
	v_lshrrev_b32_e32 v3, s52, v3
	v_and_b32_e32 v143, s61, v3
	s_or_b32 exec_lo, exec_lo, s46
	s_and_saveexec_b32 s46, s23
	s_cbranch_execz .LBB1429_212
.LBB1429_278:                           ;   in Loop: Header=BB1429_96 Depth=2
	ds_read_b32 v3, v66 offset:2560
	s_waitcnt lgkmcnt(0)
	v_cmp_ne_u32_e64 s39, 0x7fffffff, v3
	v_cndmask_b32_e64 v3, 0x80000000, v3, s39
	v_lshrrev_b32_e32 v3, s52, v3
	v_and_b32_e32 v142, s61, v3
	s_or_b32 exec_lo, exec_lo, s46
	s_and_saveexec_b32 s46, s24
	s_cbranch_execz .LBB1429_213
.LBB1429_279:                           ;   in Loop: Header=BB1429_96 Depth=2
	ds_read_b32 v3, v66 offset:3584
	s_waitcnt lgkmcnt(0)
	v_cmp_ne_u32_e64 s39, 0x7fffffff, v3
	v_cndmask_b32_e64 v3, 0x80000000, v3, s39
	v_lshrrev_b32_e32 v3, s52, v3
	v_and_b32_e32 v141, s61, v3
	s_or_b32 exec_lo, exec_lo, s46
	s_and_saveexec_b32 s46, s25
	s_cbranch_execz .LBB1429_214
.LBB1429_280:                           ;   in Loop: Header=BB1429_96 Depth=2
	ds_read_b32 v3, v66 offset:4608
	s_waitcnt lgkmcnt(0)
	v_cmp_ne_u32_e64 s39, 0x7fffffff, v3
	v_cndmask_b32_e64 v3, 0x80000000, v3, s39
	v_lshrrev_b32_e32 v3, s52, v3
	v_and_b32_e32 v139, s61, v3
	s_or_b32 exec_lo, exec_lo, s46
	s_and_saveexec_b32 s46, s26
	s_cbranch_execz .LBB1429_215
.LBB1429_281:                           ;   in Loop: Header=BB1429_96 Depth=2
	ds_read_b32 v3, v66 offset:5632
	s_waitcnt lgkmcnt(0)
	v_cmp_ne_u32_e64 s39, 0x7fffffff, v3
	v_cndmask_b32_e64 v3, 0x80000000, v3, s39
	v_lshrrev_b32_e32 v3, s52, v3
	v_and_b32_e32 v138, s61, v3
	s_or_b32 exec_lo, exec_lo, s46
	s_and_saveexec_b32 s46, s28
	s_cbranch_execz .LBB1429_216
.LBB1429_282:                           ;   in Loop: Header=BB1429_96 Depth=2
	ds_read_b32 v3, v66 offset:6656
	s_waitcnt lgkmcnt(0)
	v_cmp_ne_u32_e64 s39, 0x7fffffff, v3
	v_cndmask_b32_e64 v3, 0x80000000, v3, s39
	v_lshrrev_b32_e32 v3, s52, v3
	v_and_b32_e32 v137, s61, v3
	s_or_b32 exec_lo, exec_lo, s46
	s_and_saveexec_b32 s46, s29
	s_cbranch_execz .LBB1429_217
.LBB1429_283:                           ;   in Loop: Header=BB1429_96 Depth=2
	ds_read_b32 v3, v66 offset:7680
	s_waitcnt lgkmcnt(0)
	v_cmp_ne_u32_e64 s39, 0x7fffffff, v3
	v_cndmask_b32_e64 v3, 0x80000000, v3, s39
	v_lshrrev_b32_e32 v3, s52, v3
	v_and_b32_e32 v136, s61, v3
	s_or_b32 exec_lo, exec_lo, s46
	s_and_saveexec_b32 s46, s30
	s_cbranch_execz .LBB1429_218
.LBB1429_284:                           ;   in Loop: Header=BB1429_96 Depth=2
	ds_read_b32 v3, v66 offset:8704
	s_waitcnt lgkmcnt(0)
	v_cmp_ne_u32_e64 s39, 0x7fffffff, v3
	v_cndmask_b32_e64 v3, 0x80000000, v3, s39
	v_lshrrev_b32_e32 v3, s52, v3
	v_and_b32_e32 v135, s61, v3
	s_or_b32 exec_lo, exec_lo, s46
	s_and_saveexec_b32 s46, s31
	s_cbranch_execz .LBB1429_219
.LBB1429_285:                           ;   in Loop: Header=BB1429_96 Depth=2
	ds_read_b32 v3, v66 offset:9728
	s_waitcnt lgkmcnt(0)
	v_cmp_ne_u32_e64 s39, 0x7fffffff, v3
	v_cndmask_b32_e64 v3, 0x80000000, v3, s39
	v_lshrrev_b32_e32 v3, s52, v3
	v_and_b32_e32 v134, s61, v3
	s_or_b32 exec_lo, exec_lo, s46
	s_and_saveexec_b32 s46, s33
	s_cbranch_execz .LBB1429_220
.LBB1429_286:                           ;   in Loop: Header=BB1429_96 Depth=2
	ds_read_b32 v3, v66 offset:10752
	s_waitcnt lgkmcnt(0)
	v_cmp_ne_u32_e64 s39, 0x7fffffff, v3
	v_cndmask_b32_e64 v3, 0x80000000, v3, s39
	v_lshrrev_b32_e32 v3, s52, v3
	v_and_b32_e32 v133, s61, v3
	s_or_b32 exec_lo, exec_lo, s46
	s_and_saveexec_b32 s46, s34
	s_cbranch_execz .LBB1429_221
.LBB1429_287:                           ;   in Loop: Header=BB1429_96 Depth=2
	ds_read_b32 v3, v66 offset:11776
	s_waitcnt lgkmcnt(0)
	v_cmp_ne_u32_e64 s39, 0x7fffffff, v3
	v_cndmask_b32_e64 v3, 0x80000000, v3, s39
	v_lshrrev_b32_e32 v3, s52, v3
	v_and_b32_e32 v132, s61, v3
	s_or_b32 exec_lo, exec_lo, s46
	s_and_saveexec_b32 s46, s35
	s_cbranch_execz .LBB1429_222
.LBB1429_288:                           ;   in Loop: Header=BB1429_96 Depth=2
	ds_read_b32 v3, v66 offset:12800
	s_waitcnt lgkmcnt(0)
	v_cmp_ne_u32_e64 s39, 0x7fffffff, v3
	v_cndmask_b32_e64 v3, 0x80000000, v3, s39
	v_lshrrev_b32_e32 v3, s52, v3
	v_and_b32_e32 v131, s61, v3
	s_or_b32 exec_lo, exec_lo, s46
	s_and_saveexec_b32 s46, s36
	s_cbranch_execz .LBB1429_223
.LBB1429_289:                           ;   in Loop: Header=BB1429_96 Depth=2
	ds_read_b32 v3, v66 offset:13824
	s_waitcnt lgkmcnt(0)
	v_cmp_ne_u32_e64 s39, 0x7fffffff, v3
	v_cndmask_b32_e64 v3, 0x80000000, v3, s39
	v_lshrrev_b32_e32 v3, s52, v3
	v_and_b32_e32 v130, s61, v3
	s_or_b32 exec_lo, exec_lo, s46
	s_and_saveexec_b32 s46, s37
	s_cbranch_execz .LBB1429_224
.LBB1429_290:                           ;   in Loop: Header=BB1429_96 Depth=2
	ds_read_b32 v3, v66 offset:14848
	s_waitcnt lgkmcnt(0)
	v_cmp_ne_u32_e64 s39, 0x7fffffff, v3
	v_cndmask_b32_e64 v3, 0x80000000, v3, s39
	v_lshrrev_b32_e32 v3, s52, v3
	v_and_b32_e32 v129, s61, v3
	s_or_b32 exec_lo, exec_lo, s46
	s_and_saveexec_b32 s46, s38
	s_cbranch_execnz .LBB1429_225
	s_branch .LBB1429_226
.LBB1429_291:                           ;   in Loop: Header=BB1429_96 Depth=2
	v_lshlrev_b32_e32 v3, 2, v144
	v_add_nc_u32_e32 v37, v66, v41
	ds_read_b32 v3, v3
	ds_read_b64 v[37:38], v37 offset:512
	s_waitcnt lgkmcnt(1)
	v_add_nc_u32_e32 v3, v3, v0
	v_lshlrev_b64 v[39:40], 3, v[3:4]
	v_add_co_u32 v39, vcc_lo, s48, v39
	v_add_co_ci_u32_e64 v40, null, s49, v40, vcc_lo
	s_waitcnt lgkmcnt(0)
	global_store_dwordx2 v[39:40], v[37:38], off
	s_or_b32 exec_lo, exec_lo, s39
	s_and_saveexec_b32 s39, s22
	s_cbranch_execz .LBB1429_228
.LBB1429_292:                           ;   in Loop: Header=BB1429_96 Depth=2
	v_lshlrev_b32_e32 v3, 2, v143
	v_add_nc_u32_e32 v37, v66, v41
	ds_read_b32 v3, v3
	ds_read_b64 v[37:38], v37 offset:2560
	s_waitcnt lgkmcnt(1)
	v_add_nc_u32_e32 v3, v3, v42
	v_lshlrev_b64 v[39:40], 3, v[3:4]
	v_add_co_u32 v39, vcc_lo, s48, v39
	v_add_co_ci_u32_e64 v40, null, s49, v40, vcc_lo
	s_waitcnt lgkmcnt(0)
	global_store_dwordx2 v[39:40], v[37:38], off
	s_or_b32 exec_lo, exec_lo, s39
	s_and_saveexec_b32 s22, s23
	s_cbranch_execz .LBB1429_229
.LBB1429_293:                           ;   in Loop: Header=BB1429_96 Depth=2
	v_lshlrev_b32_e32 v3, 2, v142
	v_add_nc_u32_e32 v37, v66, v41
	ds_read_b32 v3, v3
	ds_read_b64 v[37:38], v37 offset:4608
	s_waitcnt lgkmcnt(1)
	v_add_nc_u32_e32 v3, v3, v45
	v_lshlrev_b64 v[39:40], 3, v[3:4]
	v_add_co_u32 v39, vcc_lo, s48, v39
	v_add_co_ci_u32_e64 v40, null, s49, v40, vcc_lo
	s_waitcnt lgkmcnt(0)
	global_store_dwordx2 v[39:40], v[37:38], off
	s_or_b32 exec_lo, exec_lo, s22
	s_and_saveexec_b32 s22, s24
	s_cbranch_execz .LBB1429_230
.LBB1429_294:                           ;   in Loop: Header=BB1429_96 Depth=2
	v_lshlrev_b32_e32 v3, 2, v141
	v_add_nc_u32_e32 v37, v66, v41
	ds_read_b32 v3, v3
	ds_read_b64 v[37:38], v37 offset:6656
	s_waitcnt lgkmcnt(1)
	v_add_nc_u32_e32 v3, v3, v46
	v_lshlrev_b64 v[39:40], 3, v[3:4]
	v_add_co_u32 v39, vcc_lo, s48, v39
	v_add_co_ci_u32_e64 v40, null, s49, v40, vcc_lo
	s_waitcnt lgkmcnt(0)
	global_store_dwordx2 v[39:40], v[37:38], off
	s_or_b32 exec_lo, exec_lo, s22
	s_and_saveexec_b32 s22, s25
	s_cbranch_execz .LBB1429_231
.LBB1429_295:                           ;   in Loop: Header=BB1429_96 Depth=2
	v_lshlrev_b32_e32 v3, 2, v139
	v_add_nc_u32_e32 v37, v66, v41
	ds_read_b32 v3, v3
	ds_read_b64 v[37:38], v37 offset:8704
	s_waitcnt lgkmcnt(1)
	v_add_nc_u32_e32 v3, v3, v47
	v_lshlrev_b64 v[39:40], 3, v[3:4]
	v_add_co_u32 v39, vcc_lo, s48, v39
	v_add_co_ci_u32_e64 v40, null, s49, v40, vcc_lo
	s_waitcnt lgkmcnt(0)
	global_store_dwordx2 v[39:40], v[37:38], off
	s_or_b32 exec_lo, exec_lo, s22
	s_and_saveexec_b32 s22, s26
	s_cbranch_execz .LBB1429_232
.LBB1429_296:                           ;   in Loop: Header=BB1429_96 Depth=2
	v_lshlrev_b32_e32 v3, 2, v138
	v_add_nc_u32_e32 v37, v66, v41
	ds_read_b32 v3, v3
	ds_read_b64 v[37:38], v37 offset:10752
	s_waitcnt lgkmcnt(1)
	v_add_nc_u32_e32 v3, v3, v48
	v_lshlrev_b64 v[39:40], 3, v[3:4]
	v_add_co_u32 v39, vcc_lo, s48, v39
	v_add_co_ci_u32_e64 v40, null, s49, v40, vcc_lo
	s_waitcnt lgkmcnt(0)
	global_store_dwordx2 v[39:40], v[37:38], off
	s_or_b32 exec_lo, exec_lo, s22
	s_and_saveexec_b32 s22, s28
	s_cbranch_execz .LBB1429_233
.LBB1429_297:                           ;   in Loop: Header=BB1429_96 Depth=2
	v_lshlrev_b32_e32 v3, 2, v137
	v_add_nc_u32_e32 v37, v66, v41
	ds_read_b32 v3, v3
	ds_read_b64 v[37:38], v37 offset:12800
	s_waitcnt lgkmcnt(1)
	v_add_nc_u32_e32 v3, v3, v49
	v_lshlrev_b64 v[39:40], 3, v[3:4]
	v_add_co_u32 v39, vcc_lo, s48, v39
	v_add_co_ci_u32_e64 v40, null, s49, v40, vcc_lo
	s_waitcnt lgkmcnt(0)
	global_store_dwordx2 v[39:40], v[37:38], off
	s_or_b32 exec_lo, exec_lo, s22
	s_and_saveexec_b32 s22, s29
	s_cbranch_execz .LBB1429_234
.LBB1429_298:                           ;   in Loop: Header=BB1429_96 Depth=2
	v_lshlrev_b32_e32 v3, 2, v136
	v_add_nc_u32_e32 v37, v66, v41
	ds_read_b32 v3, v3
	ds_read_b64 v[37:38], v37 offset:14848
	s_waitcnt lgkmcnt(1)
	v_add_nc_u32_e32 v3, v3, v50
	v_lshlrev_b64 v[39:40], 3, v[3:4]
	v_add_co_u32 v39, vcc_lo, s48, v39
	v_add_co_ci_u32_e64 v40, null, s49, v40, vcc_lo
	s_waitcnt lgkmcnt(0)
	global_store_dwordx2 v[39:40], v[37:38], off
	s_or_b32 exec_lo, exec_lo, s22
	s_and_saveexec_b32 s22, s30
	s_cbranch_execz .LBB1429_235
.LBB1429_299:                           ;   in Loop: Header=BB1429_96 Depth=2
	v_lshlrev_b32_e32 v3, 2, v135
	v_add_nc_u32_e32 v37, v66, v41
	ds_read_b32 v3, v3
	ds_read_b64 v[37:38], v37 offset:16896
	s_waitcnt lgkmcnt(1)
	v_add_nc_u32_e32 v3, v3, v51
	v_lshlrev_b64 v[39:40], 3, v[3:4]
	v_add_co_u32 v39, vcc_lo, s48, v39
	v_add_co_ci_u32_e64 v40, null, s49, v40, vcc_lo
	s_waitcnt lgkmcnt(0)
	global_store_dwordx2 v[39:40], v[37:38], off
	s_or_b32 exec_lo, exec_lo, s22
	s_and_saveexec_b32 s22, s31
	s_cbranch_execz .LBB1429_236
.LBB1429_300:                           ;   in Loop: Header=BB1429_96 Depth=2
	v_lshlrev_b32_e32 v3, 2, v134
	v_add_nc_u32_e32 v37, v66, v41
	ds_read_b32 v3, v3
	ds_read_b64 v[37:38], v37 offset:18944
	s_waitcnt lgkmcnt(1)
	v_add_nc_u32_e32 v3, v3, v52
	v_lshlrev_b64 v[39:40], 3, v[3:4]
	v_add_co_u32 v39, vcc_lo, s48, v39
	v_add_co_ci_u32_e64 v40, null, s49, v40, vcc_lo
	s_waitcnt lgkmcnt(0)
	global_store_dwordx2 v[39:40], v[37:38], off
	s_or_b32 exec_lo, exec_lo, s22
	s_and_saveexec_b32 s22, s33
	s_cbranch_execz .LBB1429_237
.LBB1429_301:                           ;   in Loop: Header=BB1429_96 Depth=2
	v_lshlrev_b32_e32 v3, 2, v133
	v_add_nc_u32_e32 v37, v66, v41
	ds_read_b32 v3, v3
	ds_read_b64 v[37:38], v37 offset:20992
	s_waitcnt lgkmcnt(1)
	v_add_nc_u32_e32 v3, v3, v53
	v_lshlrev_b64 v[39:40], 3, v[3:4]
	v_add_co_u32 v39, vcc_lo, s48, v39
	v_add_co_ci_u32_e64 v40, null, s49, v40, vcc_lo
	s_waitcnt lgkmcnt(0)
	global_store_dwordx2 v[39:40], v[37:38], off
	s_or_b32 exec_lo, exec_lo, s22
	s_and_saveexec_b32 s22, s34
	s_cbranch_execz .LBB1429_238
.LBB1429_302:                           ;   in Loop: Header=BB1429_96 Depth=2
	v_lshlrev_b32_e32 v3, 2, v132
	v_add_nc_u32_e32 v37, v66, v41
	ds_read_b32 v3, v3
	ds_read_b64 v[37:38], v37 offset:23040
	s_waitcnt lgkmcnt(1)
	v_add_nc_u32_e32 v3, v3, v54
	v_lshlrev_b64 v[39:40], 3, v[3:4]
	v_add_co_u32 v39, vcc_lo, s48, v39
	v_add_co_ci_u32_e64 v40, null, s49, v40, vcc_lo
	s_waitcnt lgkmcnt(0)
	global_store_dwordx2 v[39:40], v[37:38], off
	s_or_b32 exec_lo, exec_lo, s22
	s_and_saveexec_b32 s22, s35
	s_cbranch_execz .LBB1429_239
.LBB1429_303:                           ;   in Loop: Header=BB1429_96 Depth=2
	v_lshlrev_b32_e32 v3, 2, v131
	v_add_nc_u32_e32 v37, v66, v41
	ds_read_b32 v3, v3
	ds_read_b64 v[37:38], v37 offset:25088
	s_waitcnt lgkmcnt(1)
	v_add_nc_u32_e32 v3, v3, v55
	v_lshlrev_b64 v[39:40], 3, v[3:4]
	v_add_co_u32 v39, vcc_lo, s48, v39
	v_add_co_ci_u32_e64 v40, null, s49, v40, vcc_lo
	s_waitcnt lgkmcnt(0)
	global_store_dwordx2 v[39:40], v[37:38], off
	s_or_b32 exec_lo, exec_lo, s22
	s_and_saveexec_b32 s22, s36
	s_cbranch_execz .LBB1429_240
.LBB1429_304:                           ;   in Loop: Header=BB1429_96 Depth=2
	v_lshlrev_b32_e32 v3, 2, v130
	v_add_nc_u32_e32 v37, v66, v41
	ds_read_b32 v3, v3
	ds_read_b64 v[37:38], v37 offset:27136
	s_waitcnt lgkmcnt(1)
	v_add_nc_u32_e32 v3, v3, v56
	v_lshlrev_b64 v[39:40], 3, v[3:4]
	v_add_co_u32 v39, vcc_lo, s48, v39
	v_add_co_ci_u32_e64 v40, null, s49, v40, vcc_lo
	s_waitcnt lgkmcnt(0)
	global_store_dwordx2 v[39:40], v[37:38], off
	s_or_b32 exec_lo, exec_lo, s22
	s_and_saveexec_b32 s22, s37
	s_cbranch_execz .LBB1429_241
.LBB1429_305:                           ;   in Loop: Header=BB1429_96 Depth=2
	v_lshlrev_b32_e32 v3, 2, v129
	v_add_nc_u32_e32 v37, v66, v41
	ds_read_b32 v3, v3
	ds_read_b64 v[37:38], v37 offset:29184
	s_waitcnt lgkmcnt(1)
	v_add_nc_u32_e32 v3, v3, v57
	v_lshlrev_b64 v[39:40], 3, v[3:4]
	v_add_co_u32 v39, vcc_lo, s48, v39
	v_add_co_ci_u32_e64 v40, null, s49, v40, vcc_lo
	s_waitcnt lgkmcnt(0)
	global_store_dwordx2 v[39:40], v[37:38], off
	s_or_b32 exec_lo, exec_lo, s22
	s_and_saveexec_b32 s22, s38
	s_cbranch_execnz .LBB1429_242
	s_branch .LBB1429_243
.LBB1429_306:                           ;   in Loop: Header=BB1429_12 Depth=1
	s_waitcnt lgkmcnt(0)
	s_mov_b32 s5, 0
	s_barrier
.LBB1429_307:                           ;   in Loop: Header=BB1429_12 Depth=1
	s_and_b32 vcc_lo, exec_lo, s5
	s_cbranch_vccz .LBB1429_601
; %bb.308:                              ;   in Loop: Header=BB1429_12 Depth=1
	s_mov_b32 s5, s60
	s_mov_b32 s46, s58
	s_barrier
	buffer_gl0_inv
                                        ; implicit-def: $vgpr3
                                        ; implicit-def: $vgpr5
                                        ; implicit-def: $vgpr6
                                        ; implicit-def: $vgpr7
                                        ; implicit-def: $vgpr8
                                        ; implicit-def: $vgpr9
                                        ; implicit-def: $vgpr10
                                        ; implicit-def: $vgpr11
                                        ; implicit-def: $vgpr12
                                        ; implicit-def: $vgpr13
                                        ; implicit-def: $vgpr14
                                        ; implicit-def: $vgpr15
                                        ; implicit-def: $vgpr16
                                        ; implicit-def: $vgpr17
                                        ; implicit-def: $vgpr18
                                        ; implicit-def: $vgpr19
	s_branch .LBB1429_310
.LBB1429_309:                           ;   in Loop: Header=BB1429_310 Depth=2
	s_or_b32 exec_lo, exec_lo, s16
	s_addk_i32 s5, 0xf000
	s_cmp_ge_u32 s15, s59
	s_mov_b32 s46, s15
	s_cbranch_scc1 .LBB1429_378
.LBB1429_310:                           ;   Parent Loop BB1429_12 Depth=1
                                        ; =>  This Inner Loop Header: Depth=2
	s_add_i32 s15, s46, 0x1000
	s_mov_b32 s16, -1
	s_cmp_gt_u32 s15, s59
                                        ; implicit-def: $vgpr20
                                        ; implicit-def: $vgpr21
                                        ; implicit-def: $vgpr24
                                        ; implicit-def: $vgpr22
                                        ; implicit-def: $vgpr26
                                        ; implicit-def: $vgpr23
                                        ; implicit-def: $vgpr28
                                        ; implicit-def: $vgpr25
                                        ; implicit-def: $vgpr30
                                        ; implicit-def: $vgpr27
                                        ; implicit-def: $vgpr31
                                        ; implicit-def: $vgpr29
                                        ; implicit-def: $vgpr33
                                        ; implicit-def: $vgpr32
                                        ; implicit-def: $vgpr34
                                        ; implicit-def: $vgpr35
	s_cbranch_scc1 .LBB1429_312
; %bb.311:                              ;   in Loop: Header=BB1429_310 Depth=2
	s_lshl_b64 s[16:17], s[46:47], 2
	v_add_co_u32 v30, vcc_lo, v69, s16
	v_add_co_ci_u32_e64 v31, null, s17, v70, vcc_lo
	s_mov_b32 s16, 0
	v_add_co_u32 v22, vcc_lo, 0x800, v30
	v_add_co_ci_u32_e64 v23, null, 0, v31, vcc_lo
	v_add_co_u32 v33, vcc_lo, v30, 0x1000
	v_add_co_ci_u32_e64 v34, null, 0, v31, vcc_lo
	;; [unrolled: 2-line block ×9, first 2 shown]
	s_clause 0x7
	global_load_dword v20, v[30:31], off
	global_load_dword v21, v[30:31], off offset:1024
	global_load_dword v22, v[22:23], off offset:1024
	;; [unrolled: 1-line block ×7, first 2 shown]
	v_add_co_u32 v37, vcc_lo, 0x3800, v30
	v_add_co_ci_u32_e64 v38, null, 0, v31, vcc_lo
	s_clause 0x7
	global_load_dword v24, v[33:34], off offset:-2048
	global_load_dword v26, v[33:34], off
	global_load_dword v28, v[35:36], off offset:-2048
	global_load_dword v30, v[35:36], off
	;; [unrolled: 2-line block ×3, first 2 shown]
	global_load_dword v34, v[37:38], off
	global_load_dword v35, v[37:38], off offset:1024
.LBB1429_312:                           ;   in Loop: Header=BB1429_310 Depth=2
	s_andn2_b32 vcc_lo, exec_lo, s16
	s_movk_i32 s16, 0x1000
	s_cbranch_vccnz .LBB1429_331
; %bb.313:                              ;   in Loop: Header=BB1429_310 Depth=2
	s_lshl_b64 s[16:17], s[46:47], 2
	s_mov_b32 s18, exec_lo
	s_add_u32 s16, s42, s16
	s_addc_u32 s17, s43, s17
	v_cmpx_gt_u32_e64 s5, v0
	s_cbranch_execnz .LBB1429_363
; %bb.314:                              ;   in Loop: Header=BB1429_310 Depth=2
	s_or_b32 exec_lo, exec_lo, s18
	s_mov_b32 s18, exec_lo
	v_cmpx_gt_u32_e64 s5, v42
	s_cbranch_execnz .LBB1429_364
.LBB1429_315:                           ;   in Loop: Header=BB1429_310 Depth=2
	s_or_b32 exec_lo, exec_lo, s18
	s_mov_b32 s18, exec_lo
	v_cmpx_gt_u32_e64 s5, v45
	s_cbranch_execnz .LBB1429_365
.LBB1429_316:                           ;   in Loop: Header=BB1429_310 Depth=2
	s_or_b32 exec_lo, exec_lo, s18
	s_mov_b32 s18, exec_lo
	v_cmpx_gt_u32_e64 s5, v46
	s_cbranch_execnz .LBB1429_366
.LBB1429_317:                           ;   in Loop: Header=BB1429_310 Depth=2
	s_or_b32 exec_lo, exec_lo, s18
	s_mov_b32 s18, exec_lo
	v_cmpx_gt_u32_e64 s5, v47
	s_cbranch_execnz .LBB1429_367
.LBB1429_318:                           ;   in Loop: Header=BB1429_310 Depth=2
	s_or_b32 exec_lo, exec_lo, s18
	s_mov_b32 s18, exec_lo
	v_cmpx_gt_u32_e64 s5, v48
	s_cbranch_execnz .LBB1429_368
.LBB1429_319:                           ;   in Loop: Header=BB1429_310 Depth=2
	s_or_b32 exec_lo, exec_lo, s18
	s_mov_b32 s18, exec_lo
	v_cmpx_gt_u32_e64 s5, v49
	s_cbranch_execnz .LBB1429_369
.LBB1429_320:                           ;   in Loop: Header=BB1429_310 Depth=2
	s_or_b32 exec_lo, exec_lo, s18
	s_mov_b32 s18, exec_lo
	v_cmpx_gt_u32_e64 s5, v50
	s_cbranch_execnz .LBB1429_370
.LBB1429_321:                           ;   in Loop: Header=BB1429_310 Depth=2
	s_or_b32 exec_lo, exec_lo, s18
	s_mov_b32 s18, exec_lo
	v_cmpx_gt_u32_e64 s5, v51
	s_cbranch_execnz .LBB1429_371
.LBB1429_322:                           ;   in Loop: Header=BB1429_310 Depth=2
	s_or_b32 exec_lo, exec_lo, s18
	s_mov_b32 s18, exec_lo
	v_cmpx_gt_u32_e64 s5, v52
	s_cbranch_execnz .LBB1429_372
.LBB1429_323:                           ;   in Loop: Header=BB1429_310 Depth=2
	s_or_b32 exec_lo, exec_lo, s18
	s_mov_b32 s18, exec_lo
	v_cmpx_gt_u32_e64 s5, v53
	s_cbranch_execnz .LBB1429_373
.LBB1429_324:                           ;   in Loop: Header=BB1429_310 Depth=2
	s_or_b32 exec_lo, exec_lo, s18
	s_mov_b32 s18, exec_lo
	v_cmpx_gt_u32_e64 s5, v54
	s_cbranch_execnz .LBB1429_374
.LBB1429_325:                           ;   in Loop: Header=BB1429_310 Depth=2
	s_or_b32 exec_lo, exec_lo, s18
	s_mov_b32 s18, exec_lo
	v_cmpx_gt_u32_e64 s5, v55
	s_cbranch_execnz .LBB1429_375
.LBB1429_326:                           ;   in Loop: Header=BB1429_310 Depth=2
	s_or_b32 exec_lo, exec_lo, s18
	s_mov_b32 s18, exec_lo
	v_cmpx_gt_u32_e64 s5, v56
	s_cbranch_execnz .LBB1429_376
.LBB1429_327:                           ;   in Loop: Header=BB1429_310 Depth=2
	s_or_b32 exec_lo, exec_lo, s18
	s_mov_b32 s18, exec_lo
	v_cmpx_gt_u32_e64 s5, v57
	s_cbranch_execnz .LBB1429_377
.LBB1429_328:                           ;   in Loop: Header=BB1429_310 Depth=2
	s_or_b32 exec_lo, exec_lo, s18
	s_mov_b32 s18, exec_lo
	v_cmpx_gt_u32_e64 s5, v58
	s_cbranch_execz .LBB1429_330
.LBB1429_329:                           ;   in Loop: Header=BB1429_310 Depth=2
	global_load_dword v3, v100, s[16:17]
.LBB1429_330:                           ;   in Loop: Header=BB1429_310 Depth=2
	s_or_b32 exec_lo, exec_lo, s18
	s_waitcnt vmcnt(0)
	v_mov_b32_e32 v20, v19
	v_mov_b32_e32 v21, v18
	;; [unrolled: 1-line block ×16, first 2 shown]
	s_mov_b32 s16, s5
.LBB1429_331:                           ;   in Loop: Header=BB1429_310 Depth=2
	s_waitcnt vmcnt(0)
	v_mov_b32_e32 v3, v35
	v_mov_b32_e32 v5, v34
	;; [unrolled: 1-line block ×16, first 2 shown]
	s_mov_b32 s17, exec_lo
	v_cmpx_gt_u32_e64 s16, v0
	s_cbranch_execnz .LBB1429_347
; %bb.332:                              ;   in Loop: Header=BB1429_310 Depth=2
	s_or_b32 exec_lo, exec_lo, s17
	s_mov_b32 s17, exec_lo
	v_cmpx_gt_u32_e64 s16, v42
	s_cbranch_execnz .LBB1429_348
.LBB1429_333:                           ;   in Loop: Header=BB1429_310 Depth=2
	s_or_b32 exec_lo, exec_lo, s17
	s_mov_b32 s17, exec_lo
	v_cmpx_gt_u32_e64 s16, v45
	s_cbranch_execnz .LBB1429_349
.LBB1429_334:                           ;   in Loop: Header=BB1429_310 Depth=2
	s_or_b32 exec_lo, exec_lo, s17
	s_mov_b32 s17, exec_lo
	v_cmpx_gt_u32_e64 s16, v46
	s_cbranch_execnz .LBB1429_350
.LBB1429_335:                           ;   in Loop: Header=BB1429_310 Depth=2
	s_or_b32 exec_lo, exec_lo, s17
	s_mov_b32 s17, exec_lo
	v_cmpx_gt_u32_e64 s16, v47
	s_cbranch_execnz .LBB1429_351
.LBB1429_336:                           ;   in Loop: Header=BB1429_310 Depth=2
	s_or_b32 exec_lo, exec_lo, s17
	s_mov_b32 s17, exec_lo
	v_cmpx_gt_u32_e64 s16, v48
	s_cbranch_execnz .LBB1429_352
.LBB1429_337:                           ;   in Loop: Header=BB1429_310 Depth=2
	s_or_b32 exec_lo, exec_lo, s17
	s_mov_b32 s17, exec_lo
	v_cmpx_gt_u32_e64 s16, v49
	s_cbranch_execnz .LBB1429_353
.LBB1429_338:                           ;   in Loop: Header=BB1429_310 Depth=2
	s_or_b32 exec_lo, exec_lo, s17
	s_mov_b32 s17, exec_lo
	v_cmpx_gt_u32_e64 s16, v50
	s_cbranch_execnz .LBB1429_354
.LBB1429_339:                           ;   in Loop: Header=BB1429_310 Depth=2
	s_or_b32 exec_lo, exec_lo, s17
	s_mov_b32 s17, exec_lo
	v_cmpx_gt_u32_e64 s16, v51
	s_cbranch_execnz .LBB1429_355
.LBB1429_340:                           ;   in Loop: Header=BB1429_310 Depth=2
	s_or_b32 exec_lo, exec_lo, s17
	s_mov_b32 s17, exec_lo
	v_cmpx_gt_u32_e64 s16, v52
	s_cbranch_execnz .LBB1429_356
.LBB1429_341:                           ;   in Loop: Header=BB1429_310 Depth=2
	s_or_b32 exec_lo, exec_lo, s17
	s_mov_b32 s17, exec_lo
	v_cmpx_gt_u32_e64 s16, v53
	s_cbranch_execnz .LBB1429_357
.LBB1429_342:                           ;   in Loop: Header=BB1429_310 Depth=2
	s_or_b32 exec_lo, exec_lo, s17
	s_mov_b32 s17, exec_lo
	v_cmpx_gt_u32_e64 s16, v54
	s_cbranch_execnz .LBB1429_358
.LBB1429_343:                           ;   in Loop: Header=BB1429_310 Depth=2
	s_or_b32 exec_lo, exec_lo, s17
	s_mov_b32 s17, exec_lo
	v_cmpx_gt_u32_e64 s16, v55
	s_cbranch_execnz .LBB1429_359
.LBB1429_344:                           ;   in Loop: Header=BB1429_310 Depth=2
	s_or_b32 exec_lo, exec_lo, s17
	s_mov_b32 s17, exec_lo
	v_cmpx_gt_u32_e64 s16, v56
	s_cbranch_execnz .LBB1429_360
.LBB1429_345:                           ;   in Loop: Header=BB1429_310 Depth=2
	s_or_b32 exec_lo, exec_lo, s17
	s_mov_b32 s17, exec_lo
	v_cmpx_gt_u32_e64 s16, v57
	s_cbranch_execnz .LBB1429_361
.LBB1429_346:                           ;   in Loop: Header=BB1429_310 Depth=2
	s_or_b32 exec_lo, exec_lo, s17
	v_cmp_gt_u32_e32 vcc_lo, s16, v58
	s_and_saveexec_b32 s16, vcc_lo
	s_cbranch_execz .LBB1429_309
	s_branch .LBB1429_362
.LBB1429_347:                           ;   in Loop: Header=BB1429_310 Depth=2
	v_cmp_lt_i32_e32 vcc_lo, -1, v19
	v_cndmask_b32_e64 v20, -1, 0x80000000, vcc_lo
	v_xor_b32_e32 v20, v20, v19
	v_cmp_ne_u32_e32 vcc_lo, 0x7fffffff, v20
	v_cndmask_b32_e32 v20, 0x80000000, v20, vcc_lo
	v_lshrrev_b32_e32 v20, s52, v20
	v_and_b32_e32 v20, s61, v20
	v_lshl_or_b32 v20, v20, 4, v59
	ds_add_u32 v20, v82
	s_or_b32 exec_lo, exec_lo, s17
	s_mov_b32 s17, exec_lo
	v_cmpx_gt_u32_e64 s16, v42
	s_cbranch_execz .LBB1429_333
.LBB1429_348:                           ;   in Loop: Header=BB1429_310 Depth=2
	v_cmp_lt_i32_e32 vcc_lo, -1, v18
	v_cndmask_b32_e64 v20, -1, 0x80000000, vcc_lo
	v_xor_b32_e32 v20, v20, v18
	v_cmp_ne_u32_e32 vcc_lo, 0x7fffffff, v20
	v_cndmask_b32_e32 v20, 0x80000000, v20, vcc_lo
	v_lshrrev_b32_e32 v20, s52, v20
	v_and_b32_e32 v20, s61, v20
	v_lshl_or_b32 v20, v20, 4, v59
	ds_add_u32 v20, v82
	s_or_b32 exec_lo, exec_lo, s17
	s_mov_b32 s17, exec_lo
	v_cmpx_gt_u32_e64 s16, v45
	s_cbranch_execz .LBB1429_334
.LBB1429_349:                           ;   in Loop: Header=BB1429_310 Depth=2
	v_cmp_lt_i32_e32 vcc_lo, -1, v17
	v_cndmask_b32_e64 v20, -1, 0x80000000, vcc_lo
	v_xor_b32_e32 v20, v20, v17
	v_cmp_ne_u32_e32 vcc_lo, 0x7fffffff, v20
	v_cndmask_b32_e32 v20, 0x80000000, v20, vcc_lo
	v_lshrrev_b32_e32 v20, s52, v20
	v_and_b32_e32 v20, s61, v20
	v_lshl_or_b32 v20, v20, 4, v59
	ds_add_u32 v20, v82
	s_or_b32 exec_lo, exec_lo, s17
	s_mov_b32 s17, exec_lo
	v_cmpx_gt_u32_e64 s16, v46
	s_cbranch_execz .LBB1429_335
.LBB1429_350:                           ;   in Loop: Header=BB1429_310 Depth=2
	v_cmp_lt_i32_e32 vcc_lo, -1, v16
	v_cndmask_b32_e64 v20, -1, 0x80000000, vcc_lo
	v_xor_b32_e32 v20, v20, v16
	v_cmp_ne_u32_e32 vcc_lo, 0x7fffffff, v20
	v_cndmask_b32_e32 v20, 0x80000000, v20, vcc_lo
	v_lshrrev_b32_e32 v20, s52, v20
	v_and_b32_e32 v20, s61, v20
	v_lshl_or_b32 v20, v20, 4, v59
	ds_add_u32 v20, v82
	s_or_b32 exec_lo, exec_lo, s17
	s_mov_b32 s17, exec_lo
	v_cmpx_gt_u32_e64 s16, v47
	s_cbranch_execz .LBB1429_336
.LBB1429_351:                           ;   in Loop: Header=BB1429_310 Depth=2
	v_cmp_lt_i32_e32 vcc_lo, -1, v15
	v_cndmask_b32_e64 v20, -1, 0x80000000, vcc_lo
	v_xor_b32_e32 v20, v20, v15
	v_cmp_ne_u32_e32 vcc_lo, 0x7fffffff, v20
	v_cndmask_b32_e32 v20, 0x80000000, v20, vcc_lo
	v_lshrrev_b32_e32 v20, s52, v20
	v_and_b32_e32 v20, s61, v20
	v_lshl_or_b32 v20, v20, 4, v59
	ds_add_u32 v20, v82
	s_or_b32 exec_lo, exec_lo, s17
	s_mov_b32 s17, exec_lo
	v_cmpx_gt_u32_e64 s16, v48
	s_cbranch_execz .LBB1429_337
.LBB1429_352:                           ;   in Loop: Header=BB1429_310 Depth=2
	v_cmp_lt_i32_e32 vcc_lo, -1, v14
	v_cndmask_b32_e64 v20, -1, 0x80000000, vcc_lo
	v_xor_b32_e32 v20, v20, v14
	v_cmp_ne_u32_e32 vcc_lo, 0x7fffffff, v20
	v_cndmask_b32_e32 v20, 0x80000000, v20, vcc_lo
	v_lshrrev_b32_e32 v20, s52, v20
	v_and_b32_e32 v20, s61, v20
	v_lshl_or_b32 v20, v20, 4, v59
	ds_add_u32 v20, v82
	s_or_b32 exec_lo, exec_lo, s17
	s_mov_b32 s17, exec_lo
	v_cmpx_gt_u32_e64 s16, v49
	s_cbranch_execz .LBB1429_338
.LBB1429_353:                           ;   in Loop: Header=BB1429_310 Depth=2
	v_cmp_lt_i32_e32 vcc_lo, -1, v13
	v_cndmask_b32_e64 v20, -1, 0x80000000, vcc_lo
	v_xor_b32_e32 v20, v20, v13
	v_cmp_ne_u32_e32 vcc_lo, 0x7fffffff, v20
	v_cndmask_b32_e32 v20, 0x80000000, v20, vcc_lo
	v_lshrrev_b32_e32 v20, s52, v20
	v_and_b32_e32 v20, s61, v20
	v_lshl_or_b32 v20, v20, 4, v59
	ds_add_u32 v20, v82
	s_or_b32 exec_lo, exec_lo, s17
	s_mov_b32 s17, exec_lo
	v_cmpx_gt_u32_e64 s16, v50
	s_cbranch_execz .LBB1429_339
.LBB1429_354:                           ;   in Loop: Header=BB1429_310 Depth=2
	v_cmp_lt_i32_e32 vcc_lo, -1, v12
	v_cndmask_b32_e64 v20, -1, 0x80000000, vcc_lo
	v_xor_b32_e32 v20, v20, v12
	v_cmp_ne_u32_e32 vcc_lo, 0x7fffffff, v20
	v_cndmask_b32_e32 v20, 0x80000000, v20, vcc_lo
	v_lshrrev_b32_e32 v20, s52, v20
	v_and_b32_e32 v20, s61, v20
	v_lshl_or_b32 v20, v20, 4, v59
	ds_add_u32 v20, v82
	s_or_b32 exec_lo, exec_lo, s17
	s_mov_b32 s17, exec_lo
	v_cmpx_gt_u32_e64 s16, v51
	s_cbranch_execz .LBB1429_340
.LBB1429_355:                           ;   in Loop: Header=BB1429_310 Depth=2
	v_cmp_lt_i32_e32 vcc_lo, -1, v11
	v_cndmask_b32_e64 v20, -1, 0x80000000, vcc_lo
	v_xor_b32_e32 v20, v20, v11
	v_cmp_ne_u32_e32 vcc_lo, 0x7fffffff, v20
	v_cndmask_b32_e32 v20, 0x80000000, v20, vcc_lo
	v_lshrrev_b32_e32 v20, s52, v20
	v_and_b32_e32 v20, s61, v20
	v_lshl_or_b32 v20, v20, 4, v59
	ds_add_u32 v20, v82
	s_or_b32 exec_lo, exec_lo, s17
	s_mov_b32 s17, exec_lo
	v_cmpx_gt_u32_e64 s16, v52
	s_cbranch_execz .LBB1429_341
.LBB1429_356:                           ;   in Loop: Header=BB1429_310 Depth=2
	v_cmp_lt_i32_e32 vcc_lo, -1, v10
	v_cndmask_b32_e64 v20, -1, 0x80000000, vcc_lo
	v_xor_b32_e32 v20, v20, v10
	v_cmp_ne_u32_e32 vcc_lo, 0x7fffffff, v20
	v_cndmask_b32_e32 v20, 0x80000000, v20, vcc_lo
	v_lshrrev_b32_e32 v20, s52, v20
	v_and_b32_e32 v20, s61, v20
	v_lshl_or_b32 v20, v20, 4, v59
	ds_add_u32 v20, v82
	s_or_b32 exec_lo, exec_lo, s17
	s_mov_b32 s17, exec_lo
	v_cmpx_gt_u32_e64 s16, v53
	s_cbranch_execz .LBB1429_342
.LBB1429_357:                           ;   in Loop: Header=BB1429_310 Depth=2
	v_cmp_lt_i32_e32 vcc_lo, -1, v9
	v_cndmask_b32_e64 v20, -1, 0x80000000, vcc_lo
	v_xor_b32_e32 v20, v20, v9
	v_cmp_ne_u32_e32 vcc_lo, 0x7fffffff, v20
	v_cndmask_b32_e32 v20, 0x80000000, v20, vcc_lo
	v_lshrrev_b32_e32 v20, s52, v20
	v_and_b32_e32 v20, s61, v20
	v_lshl_or_b32 v20, v20, 4, v59
	ds_add_u32 v20, v82
	s_or_b32 exec_lo, exec_lo, s17
	s_mov_b32 s17, exec_lo
	v_cmpx_gt_u32_e64 s16, v54
	s_cbranch_execz .LBB1429_343
.LBB1429_358:                           ;   in Loop: Header=BB1429_310 Depth=2
	v_cmp_lt_i32_e32 vcc_lo, -1, v8
	v_cndmask_b32_e64 v20, -1, 0x80000000, vcc_lo
	v_xor_b32_e32 v20, v20, v8
	v_cmp_ne_u32_e32 vcc_lo, 0x7fffffff, v20
	v_cndmask_b32_e32 v20, 0x80000000, v20, vcc_lo
	v_lshrrev_b32_e32 v20, s52, v20
	v_and_b32_e32 v20, s61, v20
	v_lshl_or_b32 v20, v20, 4, v59
	ds_add_u32 v20, v82
	s_or_b32 exec_lo, exec_lo, s17
	s_mov_b32 s17, exec_lo
	v_cmpx_gt_u32_e64 s16, v55
	s_cbranch_execz .LBB1429_344
.LBB1429_359:                           ;   in Loop: Header=BB1429_310 Depth=2
	v_cmp_lt_i32_e32 vcc_lo, -1, v7
	v_cndmask_b32_e64 v20, -1, 0x80000000, vcc_lo
	v_xor_b32_e32 v20, v20, v7
	v_cmp_ne_u32_e32 vcc_lo, 0x7fffffff, v20
	v_cndmask_b32_e32 v20, 0x80000000, v20, vcc_lo
	v_lshrrev_b32_e32 v20, s52, v20
	v_and_b32_e32 v20, s61, v20
	v_lshl_or_b32 v20, v20, 4, v59
	ds_add_u32 v20, v82
	s_or_b32 exec_lo, exec_lo, s17
	s_mov_b32 s17, exec_lo
	v_cmpx_gt_u32_e64 s16, v56
	s_cbranch_execz .LBB1429_345
.LBB1429_360:                           ;   in Loop: Header=BB1429_310 Depth=2
	v_cmp_lt_i32_e32 vcc_lo, -1, v6
	v_cndmask_b32_e64 v20, -1, 0x80000000, vcc_lo
	v_xor_b32_e32 v20, v20, v6
	v_cmp_ne_u32_e32 vcc_lo, 0x7fffffff, v20
	v_cndmask_b32_e32 v20, 0x80000000, v20, vcc_lo
	v_lshrrev_b32_e32 v20, s52, v20
	v_and_b32_e32 v20, s61, v20
	v_lshl_or_b32 v20, v20, 4, v59
	ds_add_u32 v20, v82
	s_or_b32 exec_lo, exec_lo, s17
	s_mov_b32 s17, exec_lo
	v_cmpx_gt_u32_e64 s16, v57
	s_cbranch_execz .LBB1429_346
.LBB1429_361:                           ;   in Loop: Header=BB1429_310 Depth=2
	v_cmp_lt_i32_e32 vcc_lo, -1, v5
	v_cndmask_b32_e64 v20, -1, 0x80000000, vcc_lo
	v_xor_b32_e32 v20, v20, v5
	v_cmp_ne_u32_e32 vcc_lo, 0x7fffffff, v20
	v_cndmask_b32_e32 v20, 0x80000000, v20, vcc_lo
	v_lshrrev_b32_e32 v20, s52, v20
	v_and_b32_e32 v20, s61, v20
	v_lshl_or_b32 v20, v20, 4, v59
	ds_add_u32 v20, v82
	s_or_b32 exec_lo, exec_lo, s17
	v_cmp_gt_u32_e32 vcc_lo, s16, v58
	s_and_saveexec_b32 s16, vcc_lo
	s_cbranch_execz .LBB1429_309
.LBB1429_362:                           ;   in Loop: Header=BB1429_310 Depth=2
	v_cmp_lt_i32_e32 vcc_lo, -1, v3
	v_cndmask_b32_e64 v20, -1, 0x80000000, vcc_lo
	v_xor_b32_e32 v20, v20, v3
	v_cmp_ne_u32_e32 vcc_lo, 0x7fffffff, v20
	v_cndmask_b32_e32 v20, 0x80000000, v20, vcc_lo
	v_lshrrev_b32_e32 v20, s52, v20
	v_and_b32_e32 v20, s61, v20
	v_lshl_or_b32 v20, v20, 4, v59
	ds_add_u32 v20, v82
	s_branch .LBB1429_309
.LBB1429_363:                           ;   in Loop: Header=BB1429_310 Depth=2
	global_load_dword v19, v86, s[16:17]
	s_or_b32 exec_lo, exec_lo, s18
	s_mov_b32 s18, exec_lo
	v_cmpx_gt_u32_e64 s5, v42
	s_cbranch_execz .LBB1429_315
.LBB1429_364:                           ;   in Loop: Header=BB1429_310 Depth=2
	global_load_dword v18, v86, s[16:17] offset:1024
	s_or_b32 exec_lo, exec_lo, s18
	s_mov_b32 s18, exec_lo
	v_cmpx_gt_u32_e64 s5, v45
	s_cbranch_execz .LBB1429_316
.LBB1429_365:                           ;   in Loop: Header=BB1429_310 Depth=2
	global_load_dword v17, v87, s[16:17]
	s_or_b32 exec_lo, exec_lo, s18
	s_mov_b32 s18, exec_lo
	v_cmpx_gt_u32_e64 s5, v46
	s_cbranch_execz .LBB1429_317
.LBB1429_366:                           ;   in Loop: Header=BB1429_310 Depth=2
	global_load_dword v16, v88, s[16:17]
	s_or_b32 exec_lo, exec_lo, s18
	s_mov_b32 s18, exec_lo
	v_cmpx_gt_u32_e64 s5, v47
	s_cbranch_execz .LBB1429_318
.LBB1429_367:                           ;   in Loop: Header=BB1429_310 Depth=2
	global_load_dword v15, v89, s[16:17]
	s_or_b32 exec_lo, exec_lo, s18
	s_mov_b32 s18, exec_lo
	v_cmpx_gt_u32_e64 s5, v48
	s_cbranch_execz .LBB1429_319
.LBB1429_368:                           ;   in Loop: Header=BB1429_310 Depth=2
	global_load_dword v14, v90, s[16:17]
	s_or_b32 exec_lo, exec_lo, s18
	s_mov_b32 s18, exec_lo
	v_cmpx_gt_u32_e64 s5, v49
	s_cbranch_execz .LBB1429_320
.LBB1429_369:                           ;   in Loop: Header=BB1429_310 Depth=2
	global_load_dword v13, v91, s[16:17]
	s_or_b32 exec_lo, exec_lo, s18
	s_mov_b32 s18, exec_lo
	v_cmpx_gt_u32_e64 s5, v50
	s_cbranch_execz .LBB1429_321
.LBB1429_370:                           ;   in Loop: Header=BB1429_310 Depth=2
	global_load_dword v12, v92, s[16:17]
	s_or_b32 exec_lo, exec_lo, s18
	s_mov_b32 s18, exec_lo
	v_cmpx_gt_u32_e64 s5, v51
	s_cbranch_execz .LBB1429_322
.LBB1429_371:                           ;   in Loop: Header=BB1429_310 Depth=2
	global_load_dword v11, v93, s[16:17]
	s_or_b32 exec_lo, exec_lo, s18
	s_mov_b32 s18, exec_lo
	v_cmpx_gt_u32_e64 s5, v52
	s_cbranch_execz .LBB1429_323
.LBB1429_372:                           ;   in Loop: Header=BB1429_310 Depth=2
	global_load_dword v10, v94, s[16:17]
	s_or_b32 exec_lo, exec_lo, s18
	s_mov_b32 s18, exec_lo
	v_cmpx_gt_u32_e64 s5, v53
	s_cbranch_execz .LBB1429_324
.LBB1429_373:                           ;   in Loop: Header=BB1429_310 Depth=2
	global_load_dword v9, v95, s[16:17]
	s_or_b32 exec_lo, exec_lo, s18
	s_mov_b32 s18, exec_lo
	v_cmpx_gt_u32_e64 s5, v54
	s_cbranch_execz .LBB1429_325
.LBB1429_374:                           ;   in Loop: Header=BB1429_310 Depth=2
	global_load_dword v8, v96, s[16:17]
	s_or_b32 exec_lo, exec_lo, s18
	s_mov_b32 s18, exec_lo
	v_cmpx_gt_u32_e64 s5, v55
	s_cbranch_execz .LBB1429_326
.LBB1429_375:                           ;   in Loop: Header=BB1429_310 Depth=2
	global_load_dword v7, v97, s[16:17]
	s_or_b32 exec_lo, exec_lo, s18
	s_mov_b32 s18, exec_lo
	v_cmpx_gt_u32_e64 s5, v56
	s_cbranch_execz .LBB1429_327
.LBB1429_376:                           ;   in Loop: Header=BB1429_310 Depth=2
	global_load_dword v6, v98, s[16:17]
	s_or_b32 exec_lo, exec_lo, s18
	s_mov_b32 s18, exec_lo
	v_cmpx_gt_u32_e64 s5, v57
	s_cbranch_execz .LBB1429_328
.LBB1429_377:                           ;   in Loop: Header=BB1429_310 Depth=2
	global_load_dword v5, v99, s[16:17]
	s_or_b32 exec_lo, exec_lo, s18
	s_mov_b32 s18, exec_lo
	v_cmpx_gt_u32_e64 s5, v58
	s_cbranch_execnz .LBB1429_329
	s_branch .LBB1429_330
.LBB1429_378:                           ;   in Loop: Header=BB1429_12 Depth=1
	v_mov_b32_e32 v3, 0
	s_waitcnt lgkmcnt(0)
	s_barrier
	buffer_gl0_inv
	s_and_saveexec_b32 s5, s7
	s_cbranch_execz .LBB1429_380
; %bb.379:                              ;   in Loop: Header=BB1429_12 Depth=1
	ds_read2_b64 v[5:8], v61 offset1:1
	s_waitcnt lgkmcnt(0)
	v_add_nc_u32_e32 v3, v6, v5
	v_add3_u32 v3, v3, v7, v8
.LBB1429_380:                           ;   in Loop: Header=BB1429_12 Depth=1
	s_or_b32 exec_lo, exec_lo, s5
	v_mov_b32_dpp v5, v3 row_shr:1 row_mask:0xf bank_mask:0xf
	v_cmp_eq_u32_e64 s5, 0, v83
	v_cmp_lt_u32_e64 s15, 1, v83
	v_cmp_lt_u32_e64 s16, 3, v83
	;; [unrolled: 1-line block ×3, first 2 shown]
	v_cmp_eq_u32_e64 s18, 0, v85
	v_cndmask_b32_e64 v5, v5, 0, s5
	v_add_nc_u32_e32 v3, v5, v3
	v_mov_b32_dpp v5, v3 row_shr:2 row_mask:0xf bank_mask:0xf
	v_cndmask_b32_e64 v5, 0, v5, s15
	v_add_nc_u32_e32 v3, v3, v5
	v_mov_b32_dpp v5, v3 row_shr:4 row_mask:0xf bank_mask:0xf
	;; [unrolled: 3-line block ×3, first 2 shown]
	v_cndmask_b32_e64 v5, 0, v5, s17
	v_add_nc_u32_e32 v3, v3, v5
	ds_swizzle_b32 v5, v3 offset:swizzle(BROADCAST,32,15)
	s_waitcnt lgkmcnt(0)
	v_and_b32_e32 v5, v84, v5
	v_add_nc_u32_e32 v3, v3, v5
	s_and_saveexec_b32 s19, s8
; %bb.381:                              ;   in Loop: Header=BB1429_12 Depth=1
	ds_write_b32 v62, v3
; %bb.382:                              ;   in Loop: Header=BB1429_12 Depth=1
	s_or_b32 exec_lo, exec_lo, s19
	s_waitcnt lgkmcnt(0)
	s_barrier
	buffer_gl0_inv
	s_and_saveexec_b32 s19, s9
	s_cbranch_execz .LBB1429_384
; %bb.383:                              ;   in Loop: Header=BB1429_12 Depth=1
	ds_read_b32 v5, v63
	v_cmp_ne_u32_e32 vcc_lo, 0, v101
	s_waitcnt lgkmcnt(0)
	v_mov_b32_dpp v6, v5 row_shr:1 row_mask:0xf bank_mask:0xf
	v_cndmask_b32_e32 v6, 0, v6, vcc_lo
	v_cmp_lt_u32_e32 vcc_lo, 1, v101
	v_add_nc_u32_e32 v5, v6, v5
	v_mov_b32_dpp v6, v5 row_shr:2 row_mask:0xf bank_mask:0xf
	v_cndmask_b32_e32 v6, 0, v6, vcc_lo
	v_add_nc_u32_e32 v5, v5, v6
	ds_write_b32 v63, v5
.LBB1429_384:                           ;   in Loop: Header=BB1429_12 Depth=1
	s_or_b32 exec_lo, exec_lo, s19
	v_mov_b32_e32 v5, 0
	s_waitcnt lgkmcnt(0)
	s_barrier
	buffer_gl0_inv
	s_and_saveexec_b32 s19, s10
; %bb.385:                              ;   in Loop: Header=BB1429_12 Depth=1
	ds_read_b32 v5, v64
; %bb.386:                              ;   in Loop: Header=BB1429_12 Depth=1
	s_or_b32 exec_lo, exec_lo, s19
	v_cmp_gt_i32_e32 vcc_lo, 0, v103
	s_waitcnt lgkmcnt(0)
	v_add_nc_u32_e32 v3, v5, v3
	s_barrier
	buffer_gl0_inv
	v_cndmask_b32_e32 v6, v103, v79, vcc_lo
	v_lshlrev_b32_e32 v126, 2, v6
	ds_bpermute_b32 v3, v126, v3
	s_and_saveexec_b32 s19, s7
	s_cbranch_execz .LBB1429_388
; %bb.387:                              ;   in Loop: Header=BB1429_12 Depth=1
	s_waitcnt lgkmcnt(0)
	v_cndmask_b32_e64 v3, v3, v5, s14
	v_add_nc_u32_e32 v3, s58, v3
	ds_write_b32 v41, v3
.LBB1429_388:                           ;   in Loop: Header=BB1429_12 Depth=1
	s_or_b32 exec_lo, exec_lo, s19
	s_load_dwordx2 s[20:21], s[56:57], 0x0
	v_add_co_u32 v127, vcc_lo, v71, v102
	v_add_co_ci_u32_e64 v128, null, 0, v72, vcc_lo
	v_add_co_u32 v129, vcc_lo, v73, v120
	v_add_co_ci_u32_e64 v130, null, 0, v74, vcc_lo
	s_mov_b32 s62, s60
	s_mov_b32 s46, s58
                                        ; implicit-def: $vgpr7_vgpr8
                                        ; implicit-def: $vgpr9_vgpr10
                                        ; implicit-def: $vgpr11_vgpr12
                                        ; implicit-def: $vgpr13_vgpr14
                                        ; implicit-def: $vgpr17_vgpr18
                                        ; implicit-def: $vgpr21_vgpr22
                                        ; implicit-def: $vgpr25_vgpr26
                                        ; implicit-def: $vgpr15_vgpr16
                                        ; implicit-def: $vgpr19_vgpr20
                                        ; implicit-def: $vgpr23_vgpr24
                                        ; implicit-def: $vgpr27_vgpr28
                                        ; implicit-def: $vgpr29_vgpr30
                                        ; implicit-def: $vgpr31_vgpr32
                                        ; implicit-def: $vgpr33_vgpr34
                                        ; implicit-def: $vgpr35_vgpr36
                                        ; implicit-def: $vgpr132
                                        ; implicit-def: $vgpr133
                                        ; implicit-def: $vgpr134
                                        ; implicit-def: $vgpr135
                                        ; implicit-def: $vgpr136
                                        ; implicit-def: $vgpr137
                                        ; implicit-def: $vgpr138
                                        ; implicit-def: $vgpr139
                                        ; implicit-def: $vgpr140
                                        ; implicit-def: $vgpr141
                                        ; implicit-def: $vgpr142
                                        ; implicit-def: $vgpr143
                                        ; implicit-def: $vgpr145
                                        ; implicit-def: $vgpr146
                                        ; implicit-def: $vgpr147
                                        ; implicit-def: $vgpr148
                                        ; implicit-def: $vgpr144
                                        ; implicit-def: $vgpr149
	s_waitcnt lgkmcnt(0)
	s_cmp_lt_u32 s27, s21
	s_cselect_b32 s19, 14, 20
	s_add_u32 s22, s56, s19
	s_addc_u32 s23, s57, 0
	s_cmp_lt_u32 s6, s20
	global_load_ushort v3, v4, s[22:23]
	s_cselect_b32 s19, 12, 18
	s_add_u32 s20, s56, s19
	s_addc_u32 s21, s57, 0
	v_cmp_eq_u32_e64 s19, 0, v104
	global_load_ushort v5, v4, s[20:21]
	v_cmp_lt_u32_e64 s20, 1, v104
	v_cmp_lt_u32_e64 s21, 3, v104
	s_waitcnt vmcnt(1)
	v_mad_u32_u24 v3, v2, v3, v1
	s_waitcnt vmcnt(0)
	v_mad_u64_u32 v[5:6], null, v3, v5, v[0:1]
	v_lshrrev_b32_e32 v3, 3, v5
                                        ; implicit-def: $vgpr5_vgpr6
	v_and_b32_e32 v131, 0x1ffffffc, v3
	s_branch .LBB1429_390
.LBB1429_389:                           ;   in Loop: Header=BB1429_390 Depth=2
	s_or_b32 exec_lo, exec_lo, s22
	s_addk_i32 s62, 0xf000
	s_cmp_lt_u32 s63, s59
	s_mov_b32 s46, s63
	s_cbranch_scc0 .LBB1429_600
.LBB1429_390:                           ;   Parent Loop BB1429_12 Depth=1
                                        ; =>  This Inner Loop Header: Depth=2
	s_add_i32 s63, s46, 0x1000
	s_cmp_gt_u32 s63, s59
	s_cbranch_scc1 .LBB1429_392
; %bb.391:                              ;   in Loop: Header=BB1429_390 Depth=2
	s_lshl_b64 s[22:23], s[46:47], 2
	v_add_co_u32 v37, vcc_lo, v129, s22
	v_add_co_ci_u32_e64 v38, null, s23, v130, vcc_lo
	s_mov_b32 s22, -1
	s_clause 0xe
	global_load_dword v3, v[37:38], off
	global_load_dword v151, v[37:38], off offset:128
	global_load_dword v154, v[37:38], off offset:256
	;; [unrolled: 1-line block ×14, first 2 shown]
	s_movk_i32 s23, 0x1000
	s_cbranch_execz .LBB1429_393
	s_branch .LBB1429_424
.LBB1429_392:                           ;   in Loop: Header=BB1429_390 Depth=2
	s_mov_b32 s22, 0
                                        ; implicit-def: $vgpr3
                                        ; implicit-def: $vgpr151
                                        ; implicit-def: $vgpr154
                                        ; implicit-def: $vgpr158
                                        ; implicit-def: $vgpr162
                                        ; implicit-def: $vgpr168
                                        ; implicit-def: $vgpr173
                                        ; implicit-def: $vgpr178
                                        ; implicit-def: $vgpr181
                                        ; implicit-def: $vgpr176
                                        ; implicit-def: $vgpr172
                                        ; implicit-def: $vgpr167
                                        ; implicit-def: $vgpr164
                                        ; implicit-def: $vgpr40
                                        ; implicit-def: $vgpr39
	s_movk_i32 s23, 0x1000
.LBB1429_393:                           ;   in Loop: Header=BB1429_390 Depth=2
	s_lshl_b64 s[22:23], s[46:47], 2
	s_waitcnt vmcnt(13)
	v_bfrev_b32_e32 v151, -2
	v_add_co_u32 v37, vcc_lo, v129, s22
	v_add_co_ci_u32_e64 v38, null, s23, v130, vcc_lo
	v_bfrev_b32_e32 v3, -2
	s_mov_b32 s22, exec_lo
	v_cmpx_gt_u32_e64 s62, v105
	s_cbranch_execz .LBB1429_395
; %bb.394:                              ;   in Loop: Header=BB1429_390 Depth=2
	global_load_dword v3, v[37:38], off
.LBB1429_395:                           ;   in Loop: Header=BB1429_390 Depth=2
	s_or_b32 exec_lo, exec_lo, s22
	s_mov_b32 s22, exec_lo
	v_cmpx_gt_u32_e64 s62, v108
	s_cbranch_execz .LBB1429_397
; %bb.396:                              ;   in Loop: Header=BB1429_390 Depth=2
	global_load_dword v151, v[37:38], off offset:128
.LBB1429_397:                           ;   in Loop: Header=BB1429_390 Depth=2
	s_or_b32 exec_lo, exec_lo, s22
	s_waitcnt vmcnt(11)
	v_bfrev_b32_e32 v158, -2
	v_bfrev_b32_e32 v154, -2
	s_mov_b32 s22, exec_lo
	v_cmpx_gt_u32_e64 s62, v109
	s_cbranch_execz .LBB1429_399
; %bb.398:                              ;   in Loop: Header=BB1429_390 Depth=2
	global_load_dword v154, v[37:38], off offset:256
.LBB1429_399:                           ;   in Loop: Header=BB1429_390 Depth=2
	s_or_b32 exec_lo, exec_lo, s22
	s_mov_b32 s22, exec_lo
	v_cmpx_gt_u32_e64 s62, v110
	s_cbranch_execz .LBB1429_401
; %bb.400:                              ;   in Loop: Header=BB1429_390 Depth=2
	global_load_dword v158, v[37:38], off offset:384
.LBB1429_401:                           ;   in Loop: Header=BB1429_390 Depth=2
	s_or_b32 exec_lo, exec_lo, s22
	s_waitcnt vmcnt(9)
	v_bfrev_b32_e32 v168, -2
	v_bfrev_b32_e32 v162, -2
	s_mov_b32 s22, exec_lo
	v_cmpx_gt_u32_e64 s62, v111
	s_cbranch_execz .LBB1429_403
; %bb.402:                              ;   in Loop: Header=BB1429_390 Depth=2
	global_load_dword v162, v[37:38], off offset:512
.LBB1429_403:                           ;   in Loop: Header=BB1429_390 Depth=2
	;; [unrolled: 17-line block ×6, first 2 shown]
	s_or_b32 exec_lo, exec_lo, s22
	s_mov_b32 s22, exec_lo
	v_cmpx_gt_u32_e64 s62, v121
	s_cbranch_execz .LBB1429_421
; %bb.420:                              ;   in Loop: Header=BB1429_390 Depth=2
	global_load_dword v40, v[37:38], off offset:1664
.LBB1429_421:                           ;   in Loop: Header=BB1429_390 Depth=2
	s_or_b32 exec_lo, exec_lo, s22
	s_waitcnt vmcnt(0)
	v_bfrev_b32_e32 v39, -2
	s_mov_b32 s22, exec_lo
	v_cmpx_gt_u32_e64 s62, v122
	s_cbranch_execz .LBB1429_423
; %bb.422:                              ;   in Loop: Header=BB1429_390 Depth=2
	global_load_dword v39, v[37:38], off offset:1792
.LBB1429_423:                           ;   in Loop: Header=BB1429_390 Depth=2
	s_or_b32 exec_lo, exec_lo, s22
	v_cmp_gt_u32_e64 s22, s62, v123
	s_sub_i32 s23, s59, s46
.LBB1429_424:                           ;   in Loop: Header=BB1429_390 Depth=2
	v_bfrev_b32_e32 v37, -2
	v_mov_b32_e32 v150, s62
	s_and_saveexec_b32 s24, s22
	s_cbranch_execz .LBB1429_426
; %bb.425:                              ;   in Loop: Header=BB1429_390 Depth=2
	s_lshl_b64 s[28:29], s[46:47], 2
	v_mov_b32_e32 v150, s23
	v_add_co_u32 v37, vcc_lo, v129, s28
	v_add_co_ci_u32_e64 v38, null, s29, v130, vcc_lo
	global_load_dword v37, v[37:38], off offset:1920
.LBB1429_426:                           ;   in Loop: Header=BB1429_390 Depth=2
	s_or_b32 exec_lo, exec_lo, s24
	s_waitcnt vmcnt(14)
	v_cmp_lt_i32_e32 vcc_lo, -1, v3
	ds_write2_b32 v65, v4, v4 offset0:136 offset1:137
	ds_write2_b32 v65, v4, v4 offset0:138 offset1:139
	ds_write_b32 v65, v4 offset:560
	s_waitcnt vmcnt(0) lgkmcnt(0)
	s_barrier
	v_cndmask_b32_e64 v38, -1, 0x80000000, vcc_lo
	buffer_gl0_inv
	; wave barrier
	v_xor_b32_e32 v3, v38, v3
	v_cmp_ne_u32_e32 vcc_lo, 0x7fffffff, v3
	v_cndmask_b32_e32 v38, 0x80000000, v3, vcc_lo
	v_lshrrev_b32_e32 v38, s52, v38
	v_and_b32_e32 v153, s61, v38
	v_and_b32_e32 v38, 1, v153
	v_lshlrev_b32_e32 v152, 30, v153
	v_lshlrev_b32_e32 v155, 29, v153
	;; [unrolled: 1-line block ×4, first 2 shown]
	v_add_co_u32 v38, s22, v38, -1
	v_cndmask_b32_e64 v156, 0, 1, s22
	v_not_b32_e32 v161, v152
	v_cmp_gt_i32_e64 s22, 0, v152
	v_not_b32_e32 v152, v155
	v_lshlrev_b32_e32 v160, 26, v153
	v_cmp_ne_u32_e32 vcc_lo, 0, v156
	v_ashrrev_i32_e32 v161, 31, v161
	v_lshlrev_b32_e32 v156, 25, v153
	v_ashrrev_i32_e32 v152, 31, v152
	v_mul_u32_u24_e32 v153, 36, v153
	v_xor_b32_e32 v38, vcc_lo, v38
	v_cmp_gt_i32_e32 vcc_lo, 0, v155
	v_not_b32_e32 v155, v157
	v_xor_b32_e32 v161, s22, v161
	v_cmp_gt_i32_e64 s22, 0, v157
	v_and_b32_e32 v38, exec_lo, v38
	v_not_b32_e32 v157, v159
	v_ashrrev_i32_e32 v155, 31, v155
	v_xor_b32_e32 v152, vcc_lo, v152
	v_cmp_gt_i32_e32 vcc_lo, 0, v159
	v_and_b32_e32 v38, v38, v161
	v_not_b32_e32 v159, v160
	v_ashrrev_i32_e32 v157, 31, v157
	v_xor_b32_e32 v155, s22, v155
	v_cmp_gt_i32_e64 s22, 0, v160
	v_and_b32_e32 v38, v38, v152
	v_not_b32_e32 v152, v156
	v_ashrrev_i32_e32 v159, 31, v159
	v_xor_b32_e32 v157, vcc_lo, v157
	v_cmp_gt_i32_e32 vcc_lo, 0, v156
	v_and_b32_e32 v38, v38, v155
	v_ashrrev_i32_e32 v152, 31, v152
	v_xor_b32_e32 v155, s22, v159
	v_add_nc_u32_e32 v153, v131, v153
	v_and_b32_e32 v38, v38, v157
	v_xor_b32_e32 v152, vcc_lo, v152
	v_and_b32_e32 v38, v38, v155
	v_and_b32_e32 v38, v38, v152
	v_mbcnt_lo_u32_b32 v152, v38, 0
	v_cmp_ne_u32_e64 s22, 0, v38
	v_cmp_eq_u32_e32 vcc_lo, 0, v152
	s_and_b32 s23, s22, vcc_lo
	s_and_saveexec_b32 s22, s23
; %bb.427:                              ;   in Loop: Header=BB1429_390 Depth=2
	v_bcnt_u32_b32 v38, v38, 0
	ds_write_b32 v153, v38 offset:544
; %bb.428:                              ;   in Loop: Header=BB1429_390 Depth=2
	s_or_b32 exec_lo, exec_lo, s22
	v_cmp_lt_i32_e32 vcc_lo, -1, v151
	; wave barrier
	v_cndmask_b32_e64 v38, -1, 0x80000000, vcc_lo
	v_xor_b32_e32 v151, v38, v151
	v_cmp_ne_u32_e32 vcc_lo, 0x7fffffff, v151
	v_cndmask_b32_e32 v38, 0x80000000, v151, vcc_lo
	v_lshrrev_b32_e32 v38, s52, v38
	v_and_b32_e32 v157, s61, v38
	v_and_b32_e32 v38, 1, v157
	v_lshlrev_b32_e32 v155, 30, v157
	v_lshlrev_b32_e32 v156, 29, v157
	;; [unrolled: 1-line block ×4, first 2 shown]
	v_add_co_u32 v38, s22, v38, -1
	v_cndmask_b32_e64 v159, 0, 1, s22
	v_not_b32_e32 v165, v155
	v_cmp_gt_i32_e64 s22, 0, v155
	v_not_b32_e32 v155, v156
	v_lshlrev_b32_e32 v163, 26, v157
	v_cmp_ne_u32_e32 vcc_lo, 0, v159
	v_ashrrev_i32_e32 v165, 31, v165
	v_lshlrev_b32_e32 v159, 25, v157
	v_ashrrev_i32_e32 v155, 31, v155
	v_xor_b32_e32 v38, vcc_lo, v38
	v_cmp_gt_i32_e32 vcc_lo, 0, v156
	v_not_b32_e32 v156, v160
	v_xor_b32_e32 v165, s22, v165
	v_cmp_gt_i32_e64 s22, 0, v160
	v_and_b32_e32 v38, exec_lo, v38
	v_not_b32_e32 v160, v161
	v_ashrrev_i32_e32 v156, 31, v156
	v_xor_b32_e32 v155, vcc_lo, v155
	v_cmp_gt_i32_e32 vcc_lo, 0, v161
	v_and_b32_e32 v38, v38, v165
	v_not_b32_e32 v161, v163
	v_ashrrev_i32_e32 v160, 31, v160
	v_xor_b32_e32 v156, s22, v156
	v_cmp_gt_i32_e64 s22, 0, v163
	v_and_b32_e32 v38, v38, v155
	v_not_b32_e32 v155, v159
	v_ashrrev_i32_e32 v161, 31, v161
	v_xor_b32_e32 v160, vcc_lo, v160
	v_cmp_gt_i32_e32 vcc_lo, 0, v159
	v_and_b32_e32 v38, v38, v156
	v_ashrrev_i32_e32 v155, 31, v155
	v_xor_b32_e32 v156, s22, v161
	v_mad_u32_u24 v159, v157, 36, v131
	v_mul_u32_u24_e32 v157, 36, v157
	v_and_b32_e32 v38, v38, v160
	v_xor_b32_e32 v160, vcc_lo, v155
	ds_read_b32 v155, v159 offset:544
	v_add_nc_u32_e32 v157, v131, v157
	v_and_b32_e32 v38, v38, v156
	; wave barrier
	v_and_b32_e32 v38, v38, v160
	v_mbcnt_lo_u32_b32 v156, v38, 0
	v_cmp_ne_u32_e64 s22, 0, v38
	v_cmp_eq_u32_e32 vcc_lo, 0, v156
	s_and_b32 s23, s22, vcc_lo
	s_and_saveexec_b32 s22, s23
	s_cbranch_execz .LBB1429_430
; %bb.429:                              ;   in Loop: Header=BB1429_390 Depth=2
	s_waitcnt lgkmcnt(0)
	v_bcnt_u32_b32 v38, v38, v155
	ds_write_b32 v157, v38 offset:544
.LBB1429_430:                           ;   in Loop: Header=BB1429_390 Depth=2
	s_or_b32 exec_lo, exec_lo, s22
	v_cmp_lt_i32_e32 vcc_lo, -1, v154
	; wave barrier
	v_cndmask_b32_e64 v38, -1, 0x80000000, vcc_lo
	v_xor_b32_e32 v154, v38, v154
	v_cmp_ne_u32_e32 vcc_lo, 0x7fffffff, v154
	v_cndmask_b32_e32 v38, 0x80000000, v154, vcc_lo
	v_lshrrev_b32_e32 v38, s52, v38
	v_and_b32_e32 v161, s61, v38
	v_and_b32_e32 v38, 1, v161
	v_lshlrev_b32_e32 v159, 30, v161
	v_lshlrev_b32_e32 v160, 29, v161
	v_lshlrev_b32_e32 v165, 28, v161
	v_lshlrev_b32_e32 v166, 27, v161
	v_add_co_u32 v38, s22, v38, -1
	v_cndmask_b32_e64 v163, 0, 1, s22
	v_not_b32_e32 v170, v159
	v_cmp_gt_i32_e64 s22, 0, v159
	v_not_b32_e32 v159, v160
	v_lshlrev_b32_e32 v169, 26, v161
	v_cmp_ne_u32_e32 vcc_lo, 0, v163
	v_ashrrev_i32_e32 v170, 31, v170
	v_lshlrev_b32_e32 v163, 25, v161
	v_ashrrev_i32_e32 v159, 31, v159
	v_xor_b32_e32 v38, vcc_lo, v38
	v_cmp_gt_i32_e32 vcc_lo, 0, v160
	v_not_b32_e32 v160, v165
	v_xor_b32_e32 v170, s22, v170
	v_cmp_gt_i32_e64 s22, 0, v165
	v_and_b32_e32 v38, exec_lo, v38
	v_not_b32_e32 v165, v166
	v_ashrrev_i32_e32 v160, 31, v160
	v_xor_b32_e32 v159, vcc_lo, v159
	v_cmp_gt_i32_e32 vcc_lo, 0, v166
	v_and_b32_e32 v38, v38, v170
	v_not_b32_e32 v166, v169
	v_ashrrev_i32_e32 v165, 31, v165
	v_xor_b32_e32 v160, s22, v160
	v_cmp_gt_i32_e64 s22, 0, v169
	v_and_b32_e32 v38, v38, v159
	v_not_b32_e32 v159, v163
	v_ashrrev_i32_e32 v166, 31, v166
	v_xor_b32_e32 v165, vcc_lo, v165
	v_cmp_gt_i32_e32 vcc_lo, 0, v163
	v_and_b32_e32 v38, v38, v160
	v_ashrrev_i32_e32 v159, 31, v159
	v_xor_b32_e32 v160, s22, v166
	v_mad_u32_u24 v163, v161, 36, v131
	v_mul_u32_u24_e32 v161, 36, v161
	v_and_b32_e32 v38, v38, v165
	v_xor_b32_e32 v165, vcc_lo, v159
	ds_read_b32 v159, v163 offset:544
	v_add_nc_u32_e32 v161, v131, v161
	v_and_b32_e32 v38, v38, v160
	; wave barrier
	v_and_b32_e32 v38, v38, v165
	v_mbcnt_lo_u32_b32 v160, v38, 0
	v_cmp_ne_u32_e64 s22, 0, v38
	v_cmp_eq_u32_e32 vcc_lo, 0, v160
	s_and_b32 s23, s22, vcc_lo
	s_and_saveexec_b32 s22, s23
	s_cbranch_execz .LBB1429_432
; %bb.431:                              ;   in Loop: Header=BB1429_390 Depth=2
	s_waitcnt lgkmcnt(0)
	v_bcnt_u32_b32 v38, v38, v159
	ds_write_b32 v161, v38 offset:544
.LBB1429_432:                           ;   in Loop: Header=BB1429_390 Depth=2
	s_or_b32 exec_lo, exec_lo, s22
	v_cmp_lt_i32_e32 vcc_lo, -1, v158
	; wave barrier
	v_cndmask_b32_e64 v38, -1, 0x80000000, vcc_lo
	v_xor_b32_e32 v158, v38, v158
	v_cmp_ne_u32_e32 vcc_lo, 0x7fffffff, v158
	v_cndmask_b32_e32 v38, 0x80000000, v158, vcc_lo
	v_lshrrev_b32_e32 v38, s52, v38
	v_and_b32_e32 v166, s61, v38
	v_and_b32_e32 v38, 1, v166
	v_lshlrev_b32_e32 v163, 30, v166
	v_lshlrev_b32_e32 v165, 29, v166
	;; [unrolled: 1-line block ×4, first 2 shown]
	v_add_co_u32 v38, s22, v38, -1
	v_cndmask_b32_e64 v169, 0, 1, s22
	v_not_b32_e32 v175, v163
	v_cmp_gt_i32_e64 s22, 0, v163
	v_not_b32_e32 v163, v165
	v_lshlrev_b32_e32 v174, 26, v166
	v_cmp_ne_u32_e32 vcc_lo, 0, v169
	v_ashrrev_i32_e32 v175, 31, v175
	v_lshlrev_b32_e32 v169, 25, v166
	v_ashrrev_i32_e32 v163, 31, v163
	v_xor_b32_e32 v38, vcc_lo, v38
	v_cmp_gt_i32_e32 vcc_lo, 0, v165
	v_not_b32_e32 v165, v170
	v_xor_b32_e32 v175, s22, v175
	v_cmp_gt_i32_e64 s22, 0, v170
	v_and_b32_e32 v38, exec_lo, v38
	v_not_b32_e32 v170, v171
	v_ashrrev_i32_e32 v165, 31, v165
	v_xor_b32_e32 v163, vcc_lo, v163
	v_cmp_gt_i32_e32 vcc_lo, 0, v171
	v_and_b32_e32 v38, v38, v175
	v_not_b32_e32 v171, v174
	v_ashrrev_i32_e32 v170, 31, v170
	v_xor_b32_e32 v165, s22, v165
	v_cmp_gt_i32_e64 s22, 0, v174
	v_and_b32_e32 v38, v38, v163
	v_not_b32_e32 v163, v169
	v_ashrrev_i32_e32 v171, 31, v171
	v_xor_b32_e32 v170, vcc_lo, v170
	v_cmp_gt_i32_e32 vcc_lo, 0, v169
	v_and_b32_e32 v38, v38, v165
	v_ashrrev_i32_e32 v163, 31, v163
	v_xor_b32_e32 v165, s22, v171
	v_mad_u32_u24 v169, v166, 36, v131
	v_mul_u32_u24_e32 v166, 36, v166
	v_and_b32_e32 v38, v38, v170
	v_xor_b32_e32 v170, vcc_lo, v163
	ds_read_b32 v163, v169 offset:544
	v_add_nc_u32_e32 v166, v131, v166
	v_and_b32_e32 v38, v38, v165
	; wave barrier
	v_and_b32_e32 v38, v38, v170
	v_mbcnt_lo_u32_b32 v165, v38, 0
	v_cmp_ne_u32_e64 s22, 0, v38
	v_cmp_eq_u32_e32 vcc_lo, 0, v165
	s_and_b32 s23, s22, vcc_lo
	s_and_saveexec_b32 s22, s23
	s_cbranch_execz .LBB1429_434
; %bb.433:                              ;   in Loop: Header=BB1429_390 Depth=2
	s_waitcnt lgkmcnt(0)
	v_bcnt_u32_b32 v38, v38, v163
	ds_write_b32 v166, v38 offset:544
.LBB1429_434:                           ;   in Loop: Header=BB1429_390 Depth=2
	s_or_b32 exec_lo, exec_lo, s22
	v_cmp_lt_i32_e32 vcc_lo, -1, v162
	; wave barrier
	v_cndmask_b32_e64 v38, -1, 0x80000000, vcc_lo
	v_xor_b32_e32 v162, v38, v162
	v_cmp_ne_u32_e32 vcc_lo, 0x7fffffff, v162
	v_cndmask_b32_e32 v38, 0x80000000, v162, vcc_lo
	v_lshrrev_b32_e32 v38, s52, v38
	v_and_b32_e32 v171, s61, v38
	v_and_b32_e32 v38, 1, v171
	v_lshlrev_b32_e32 v169, 30, v171
	v_lshlrev_b32_e32 v170, 29, v171
	;; [unrolled: 1-line block ×4, first 2 shown]
	v_add_co_u32 v38, s22, v38, -1
	v_cndmask_b32_e64 v174, 0, 1, s22
	v_not_b32_e32 v180, v169
	v_cmp_gt_i32_e64 s22, 0, v169
	v_not_b32_e32 v169, v170
	v_lshlrev_b32_e32 v179, 26, v171
	v_cmp_ne_u32_e32 vcc_lo, 0, v174
	v_ashrrev_i32_e32 v180, 31, v180
	v_lshlrev_b32_e32 v174, 25, v171
	v_ashrrev_i32_e32 v169, 31, v169
	v_xor_b32_e32 v38, vcc_lo, v38
	v_cmp_gt_i32_e32 vcc_lo, 0, v170
	v_not_b32_e32 v170, v175
	v_xor_b32_e32 v180, s22, v180
	v_cmp_gt_i32_e64 s22, 0, v175
	v_and_b32_e32 v38, exec_lo, v38
	v_not_b32_e32 v175, v177
	v_ashrrev_i32_e32 v170, 31, v170
	v_xor_b32_e32 v169, vcc_lo, v169
	v_cmp_gt_i32_e32 vcc_lo, 0, v177
	v_and_b32_e32 v38, v38, v180
	v_not_b32_e32 v177, v179
	v_ashrrev_i32_e32 v175, 31, v175
	v_xor_b32_e32 v170, s22, v170
	v_cmp_gt_i32_e64 s22, 0, v179
	v_and_b32_e32 v38, v38, v169
	v_not_b32_e32 v169, v174
	v_ashrrev_i32_e32 v177, 31, v177
	v_xor_b32_e32 v175, vcc_lo, v175
	v_cmp_gt_i32_e32 vcc_lo, 0, v174
	v_and_b32_e32 v38, v38, v170
	v_ashrrev_i32_e32 v169, 31, v169
	v_xor_b32_e32 v170, s22, v177
	v_mad_u32_u24 v174, v171, 36, v131
	v_mul_u32_u24_e32 v171, 36, v171
	v_and_b32_e32 v38, v38, v175
	v_xor_b32_e32 v175, vcc_lo, v169
	ds_read_b32 v169, v174 offset:544
	v_add_nc_u32_e32 v171, v131, v171
	v_and_b32_e32 v38, v38, v170
	; wave barrier
	v_and_b32_e32 v38, v38, v175
	v_mbcnt_lo_u32_b32 v170, v38, 0
	v_cmp_ne_u32_e64 s22, 0, v38
	v_cmp_eq_u32_e32 vcc_lo, 0, v170
	s_and_b32 s23, s22, vcc_lo
	s_and_saveexec_b32 s22, s23
	s_cbranch_execz .LBB1429_436
; %bb.435:                              ;   in Loop: Header=BB1429_390 Depth=2
	s_waitcnt lgkmcnt(0)
	v_bcnt_u32_b32 v38, v38, v169
	ds_write_b32 v171, v38 offset:544
.LBB1429_436:                           ;   in Loop: Header=BB1429_390 Depth=2
	s_or_b32 exec_lo, exec_lo, s22
	v_cmp_lt_i32_e32 vcc_lo, -1, v168
	; wave barrier
	v_cndmask_b32_e64 v38, -1, 0x80000000, vcc_lo
	v_xor_b32_e32 v168, v38, v168
	v_cmp_ne_u32_e32 vcc_lo, 0x7fffffff, v168
	v_cndmask_b32_e32 v38, 0x80000000, v168, vcc_lo
	v_lshrrev_b32_e32 v38, s52, v38
	v_and_b32_e32 v177, s61, v38
	v_and_b32_e32 v38, 1, v177
	v_lshlrev_b32_e32 v174, 30, v177
	v_lshlrev_b32_e32 v175, 29, v177
	;; [unrolled: 1-line block ×4, first 2 shown]
	v_add_co_u32 v38, s22, v38, -1
	v_cndmask_b32_e64 v179, 0, 1, s22
	v_not_b32_e32 v184, v174
	v_cmp_gt_i32_e64 s22, 0, v174
	v_not_b32_e32 v174, v175
	v_lshlrev_b32_e32 v183, 26, v177
	v_cmp_ne_u32_e32 vcc_lo, 0, v179
	v_ashrrev_i32_e32 v184, 31, v184
	v_lshlrev_b32_e32 v179, 25, v177
	v_ashrrev_i32_e32 v174, 31, v174
	v_xor_b32_e32 v38, vcc_lo, v38
	v_cmp_gt_i32_e32 vcc_lo, 0, v175
	v_not_b32_e32 v175, v180
	v_xor_b32_e32 v184, s22, v184
	v_cmp_gt_i32_e64 s22, 0, v180
	v_and_b32_e32 v38, exec_lo, v38
	v_not_b32_e32 v180, v182
	v_ashrrev_i32_e32 v175, 31, v175
	v_xor_b32_e32 v174, vcc_lo, v174
	v_cmp_gt_i32_e32 vcc_lo, 0, v182
	v_and_b32_e32 v38, v38, v184
	v_not_b32_e32 v182, v183
	v_ashrrev_i32_e32 v180, 31, v180
	v_xor_b32_e32 v175, s22, v175
	v_cmp_gt_i32_e64 s22, 0, v183
	v_and_b32_e32 v38, v38, v174
	v_not_b32_e32 v174, v179
	v_ashrrev_i32_e32 v182, 31, v182
	v_xor_b32_e32 v180, vcc_lo, v180
	v_cmp_gt_i32_e32 vcc_lo, 0, v179
	v_and_b32_e32 v38, v38, v175
	v_ashrrev_i32_e32 v174, 31, v174
	v_xor_b32_e32 v175, s22, v182
	v_mad_u32_u24 v179, v177, 36, v131
	v_mul_u32_u24_e32 v177, 36, v177
	v_and_b32_e32 v38, v38, v180
	v_xor_b32_e32 v180, vcc_lo, v174
	ds_read_b32 v174, v179 offset:544
	v_add_nc_u32_e32 v177, v131, v177
	v_and_b32_e32 v38, v38, v175
	; wave barrier
	v_and_b32_e32 v38, v38, v180
	v_mbcnt_lo_u32_b32 v175, v38, 0
	v_cmp_ne_u32_e64 s22, 0, v38
	v_cmp_eq_u32_e32 vcc_lo, 0, v175
	s_and_b32 s23, s22, vcc_lo
	s_and_saveexec_b32 s22, s23
	s_cbranch_execz .LBB1429_438
; %bb.437:                              ;   in Loop: Header=BB1429_390 Depth=2
	s_waitcnt lgkmcnt(0)
	v_bcnt_u32_b32 v38, v38, v174
	ds_write_b32 v177, v38 offset:544
.LBB1429_438:                           ;   in Loop: Header=BB1429_390 Depth=2
	s_or_b32 exec_lo, exec_lo, s22
	v_cmp_lt_i32_e32 vcc_lo, -1, v173
	; wave barrier
	v_cndmask_b32_e64 v38, -1, 0x80000000, vcc_lo
	v_xor_b32_e32 v173, v38, v173
	v_cmp_ne_u32_e32 vcc_lo, 0x7fffffff, v173
	v_cndmask_b32_e32 v38, 0x80000000, v173, vcc_lo
	v_lshrrev_b32_e32 v38, s52, v38
	v_and_b32_e32 v182, s61, v38
	v_and_b32_e32 v38, 1, v182
	v_lshlrev_b32_e32 v179, 30, v182
	v_lshlrev_b32_e32 v180, 29, v182
	;; [unrolled: 1-line block ×4, first 2 shown]
	v_add_co_u32 v38, s22, v38, -1
	v_cndmask_b32_e64 v183, 0, 1, s22
	v_not_b32_e32 v187, v179
	v_cmp_gt_i32_e64 s22, 0, v179
	v_not_b32_e32 v179, v180
	v_lshlrev_b32_e32 v186, 26, v182
	v_cmp_ne_u32_e32 vcc_lo, 0, v183
	v_ashrrev_i32_e32 v187, 31, v187
	v_lshlrev_b32_e32 v183, 25, v182
	v_ashrrev_i32_e32 v179, 31, v179
	v_xor_b32_e32 v38, vcc_lo, v38
	v_cmp_gt_i32_e32 vcc_lo, 0, v180
	v_not_b32_e32 v180, v184
	v_xor_b32_e32 v187, s22, v187
	v_cmp_gt_i32_e64 s22, 0, v184
	v_and_b32_e32 v38, exec_lo, v38
	v_not_b32_e32 v184, v185
	v_ashrrev_i32_e32 v180, 31, v180
	v_xor_b32_e32 v179, vcc_lo, v179
	v_cmp_gt_i32_e32 vcc_lo, 0, v185
	v_and_b32_e32 v38, v38, v187
	v_not_b32_e32 v185, v186
	v_ashrrev_i32_e32 v184, 31, v184
	v_xor_b32_e32 v180, s22, v180
	v_cmp_gt_i32_e64 s22, 0, v186
	v_and_b32_e32 v38, v38, v179
	v_not_b32_e32 v179, v183
	v_ashrrev_i32_e32 v185, 31, v185
	v_xor_b32_e32 v184, vcc_lo, v184
	v_cmp_gt_i32_e32 vcc_lo, 0, v183
	v_and_b32_e32 v38, v38, v180
	v_ashrrev_i32_e32 v179, 31, v179
	v_xor_b32_e32 v180, s22, v185
	v_mad_u32_u24 v183, v182, 36, v131
	v_mul_u32_u24_e32 v182, 36, v182
	v_and_b32_e32 v38, v38, v184
	v_xor_b32_e32 v184, vcc_lo, v179
	ds_read_b32 v179, v183 offset:544
	v_add_nc_u32_e32 v182, v131, v182
	v_and_b32_e32 v38, v38, v180
	; wave barrier
	v_and_b32_e32 v38, v38, v184
	v_mbcnt_lo_u32_b32 v180, v38, 0
	v_cmp_ne_u32_e64 s22, 0, v38
	v_cmp_eq_u32_e32 vcc_lo, 0, v180
	s_and_b32 s23, s22, vcc_lo
	s_and_saveexec_b32 s22, s23
	s_cbranch_execz .LBB1429_440
; %bb.439:                              ;   in Loop: Header=BB1429_390 Depth=2
	s_waitcnt lgkmcnt(0)
	v_bcnt_u32_b32 v38, v38, v179
	ds_write_b32 v182, v38 offset:544
.LBB1429_440:                           ;   in Loop: Header=BB1429_390 Depth=2
	s_or_b32 exec_lo, exec_lo, s22
	v_cmp_lt_i32_e32 vcc_lo, -1, v178
	; wave barrier
	v_cndmask_b32_e64 v38, -1, 0x80000000, vcc_lo
	v_xor_b32_e32 v178, v38, v178
	v_cmp_ne_u32_e32 vcc_lo, 0x7fffffff, v178
	v_cndmask_b32_e32 v38, 0x80000000, v178, vcc_lo
	v_lshrrev_b32_e32 v38, s52, v38
	v_and_b32_e32 v185, s61, v38
	v_and_b32_e32 v38, 1, v185
	v_lshlrev_b32_e32 v183, 30, v185
	v_lshlrev_b32_e32 v184, 29, v185
	;; [unrolled: 1-line block ×4, first 2 shown]
	v_add_co_u32 v38, s22, v38, -1
	v_cndmask_b32_e64 v186, 0, 1, s22
	v_not_b32_e32 v190, v183
	v_cmp_gt_i32_e64 s22, 0, v183
	v_not_b32_e32 v183, v184
	v_lshlrev_b32_e32 v189, 26, v185
	v_cmp_ne_u32_e32 vcc_lo, 0, v186
	v_ashrrev_i32_e32 v190, 31, v190
	v_lshlrev_b32_e32 v186, 25, v185
	v_ashrrev_i32_e32 v183, 31, v183
	v_xor_b32_e32 v38, vcc_lo, v38
	v_cmp_gt_i32_e32 vcc_lo, 0, v184
	v_not_b32_e32 v184, v187
	v_xor_b32_e32 v190, s22, v190
	v_cmp_gt_i32_e64 s22, 0, v187
	v_and_b32_e32 v38, exec_lo, v38
	v_not_b32_e32 v187, v188
	v_ashrrev_i32_e32 v184, 31, v184
	v_xor_b32_e32 v183, vcc_lo, v183
	v_cmp_gt_i32_e32 vcc_lo, 0, v188
	v_and_b32_e32 v38, v38, v190
	v_not_b32_e32 v188, v189
	v_ashrrev_i32_e32 v187, 31, v187
	v_xor_b32_e32 v184, s22, v184
	v_cmp_gt_i32_e64 s22, 0, v189
	v_and_b32_e32 v38, v38, v183
	v_not_b32_e32 v183, v186
	v_ashrrev_i32_e32 v188, 31, v188
	v_xor_b32_e32 v187, vcc_lo, v187
	v_cmp_gt_i32_e32 vcc_lo, 0, v186
	v_and_b32_e32 v38, v38, v184
	v_ashrrev_i32_e32 v183, 31, v183
	v_xor_b32_e32 v184, s22, v188
	v_mad_u32_u24 v186, v185, 36, v131
	v_mul_u32_u24_e32 v185, 36, v185
	v_and_b32_e32 v38, v38, v187
	v_xor_b32_e32 v187, vcc_lo, v183
	ds_read_b32 v183, v186 offset:544
	v_add_nc_u32_e32 v185, v131, v185
	v_and_b32_e32 v38, v38, v184
	; wave barrier
	v_and_b32_e32 v38, v38, v187
	v_mbcnt_lo_u32_b32 v184, v38, 0
	v_cmp_ne_u32_e64 s22, 0, v38
	v_cmp_eq_u32_e32 vcc_lo, 0, v184
	s_and_b32 s23, s22, vcc_lo
	s_and_saveexec_b32 s22, s23
	s_cbranch_execz .LBB1429_442
; %bb.441:                              ;   in Loop: Header=BB1429_390 Depth=2
	s_waitcnt lgkmcnt(0)
	v_bcnt_u32_b32 v38, v38, v183
	ds_write_b32 v185, v38 offset:544
.LBB1429_442:                           ;   in Loop: Header=BB1429_390 Depth=2
	s_or_b32 exec_lo, exec_lo, s22
	v_cmp_lt_i32_e32 vcc_lo, -1, v181
	; wave barrier
	v_cndmask_b32_e64 v38, -1, 0x80000000, vcc_lo
	v_xor_b32_e32 v181, v38, v181
	v_cmp_ne_u32_e32 vcc_lo, 0x7fffffff, v181
	v_cndmask_b32_e32 v38, 0x80000000, v181, vcc_lo
	v_lshrrev_b32_e32 v38, s52, v38
	v_and_b32_e32 v188, s61, v38
	v_and_b32_e32 v38, 1, v188
	v_lshlrev_b32_e32 v186, 30, v188
	v_lshlrev_b32_e32 v187, 29, v188
	;; [unrolled: 1-line block ×4, first 2 shown]
	v_add_co_u32 v38, s22, v38, -1
	v_cndmask_b32_e64 v189, 0, 1, s22
	v_not_b32_e32 v193, v186
	v_cmp_gt_i32_e64 s22, 0, v186
	v_not_b32_e32 v186, v187
	v_lshlrev_b32_e32 v192, 26, v188
	v_cmp_ne_u32_e32 vcc_lo, 0, v189
	v_ashrrev_i32_e32 v193, 31, v193
	v_lshlrev_b32_e32 v189, 25, v188
	v_ashrrev_i32_e32 v186, 31, v186
	v_xor_b32_e32 v38, vcc_lo, v38
	v_cmp_gt_i32_e32 vcc_lo, 0, v187
	v_not_b32_e32 v187, v190
	v_xor_b32_e32 v193, s22, v193
	v_cmp_gt_i32_e64 s22, 0, v190
	v_and_b32_e32 v38, exec_lo, v38
	v_not_b32_e32 v190, v191
	v_ashrrev_i32_e32 v187, 31, v187
	v_xor_b32_e32 v186, vcc_lo, v186
	v_cmp_gt_i32_e32 vcc_lo, 0, v191
	v_and_b32_e32 v38, v38, v193
	v_not_b32_e32 v191, v192
	v_ashrrev_i32_e32 v190, 31, v190
	v_xor_b32_e32 v187, s22, v187
	v_cmp_gt_i32_e64 s22, 0, v192
	v_and_b32_e32 v38, v38, v186
	v_not_b32_e32 v186, v189
	v_ashrrev_i32_e32 v191, 31, v191
	v_xor_b32_e32 v190, vcc_lo, v190
	v_cmp_gt_i32_e32 vcc_lo, 0, v189
	v_and_b32_e32 v38, v38, v187
	v_ashrrev_i32_e32 v186, 31, v186
	v_xor_b32_e32 v187, s22, v191
	v_mad_u32_u24 v189, v188, 36, v131
	v_mul_u32_u24_e32 v188, 36, v188
	v_and_b32_e32 v38, v38, v190
	v_xor_b32_e32 v190, vcc_lo, v186
	ds_read_b32 v186, v189 offset:544
	v_add_nc_u32_e32 v188, v131, v188
	v_and_b32_e32 v38, v38, v187
	; wave barrier
	v_and_b32_e32 v38, v38, v190
	v_mbcnt_lo_u32_b32 v187, v38, 0
	v_cmp_ne_u32_e64 s22, 0, v38
	v_cmp_eq_u32_e32 vcc_lo, 0, v187
	s_and_b32 s23, s22, vcc_lo
	s_and_saveexec_b32 s22, s23
	s_cbranch_execz .LBB1429_444
; %bb.443:                              ;   in Loop: Header=BB1429_390 Depth=2
	s_waitcnt lgkmcnt(0)
	v_bcnt_u32_b32 v38, v38, v186
	ds_write_b32 v188, v38 offset:544
.LBB1429_444:                           ;   in Loop: Header=BB1429_390 Depth=2
	s_or_b32 exec_lo, exec_lo, s22
	v_cmp_lt_i32_e32 vcc_lo, -1, v176
	; wave barrier
	v_cndmask_b32_e64 v38, -1, 0x80000000, vcc_lo
	v_xor_b32_e32 v176, v38, v176
	v_cmp_ne_u32_e32 vcc_lo, 0x7fffffff, v176
	v_cndmask_b32_e32 v38, 0x80000000, v176, vcc_lo
	v_lshrrev_b32_e32 v38, s52, v38
	v_and_b32_e32 v191, s61, v38
	v_and_b32_e32 v38, 1, v191
	v_lshlrev_b32_e32 v189, 30, v191
	v_lshlrev_b32_e32 v190, 29, v191
	;; [unrolled: 1-line block ×4, first 2 shown]
	v_add_co_u32 v38, s22, v38, -1
	v_cndmask_b32_e64 v192, 0, 1, s22
	v_not_b32_e32 v196, v189
	v_cmp_gt_i32_e64 s22, 0, v189
	v_not_b32_e32 v189, v190
	v_lshlrev_b32_e32 v195, 26, v191
	v_cmp_ne_u32_e32 vcc_lo, 0, v192
	v_ashrrev_i32_e32 v196, 31, v196
	v_lshlrev_b32_e32 v192, 25, v191
	v_ashrrev_i32_e32 v189, 31, v189
	v_xor_b32_e32 v38, vcc_lo, v38
	v_cmp_gt_i32_e32 vcc_lo, 0, v190
	v_not_b32_e32 v190, v193
	v_xor_b32_e32 v196, s22, v196
	v_cmp_gt_i32_e64 s22, 0, v193
	v_and_b32_e32 v38, exec_lo, v38
	v_not_b32_e32 v193, v194
	v_ashrrev_i32_e32 v190, 31, v190
	v_xor_b32_e32 v189, vcc_lo, v189
	v_cmp_gt_i32_e32 vcc_lo, 0, v194
	v_and_b32_e32 v38, v38, v196
	v_not_b32_e32 v194, v195
	v_ashrrev_i32_e32 v193, 31, v193
	v_xor_b32_e32 v190, s22, v190
	v_cmp_gt_i32_e64 s22, 0, v195
	v_and_b32_e32 v38, v38, v189
	v_not_b32_e32 v189, v192
	v_ashrrev_i32_e32 v194, 31, v194
	v_xor_b32_e32 v193, vcc_lo, v193
	v_cmp_gt_i32_e32 vcc_lo, 0, v192
	v_and_b32_e32 v38, v38, v190
	v_ashrrev_i32_e32 v189, 31, v189
	v_xor_b32_e32 v190, s22, v194
	v_mad_u32_u24 v192, v191, 36, v131
	v_mul_u32_u24_e32 v191, 36, v191
	v_and_b32_e32 v38, v38, v193
	v_xor_b32_e32 v193, vcc_lo, v189
	ds_read_b32 v189, v192 offset:544
	v_add_nc_u32_e32 v191, v131, v191
	v_and_b32_e32 v38, v38, v190
	; wave barrier
	v_and_b32_e32 v38, v38, v193
	v_mbcnt_lo_u32_b32 v190, v38, 0
	v_cmp_ne_u32_e64 s22, 0, v38
	v_cmp_eq_u32_e32 vcc_lo, 0, v190
	s_and_b32 s23, s22, vcc_lo
	s_and_saveexec_b32 s22, s23
	s_cbranch_execz .LBB1429_446
; %bb.445:                              ;   in Loop: Header=BB1429_390 Depth=2
	s_waitcnt lgkmcnt(0)
	v_bcnt_u32_b32 v38, v38, v189
	ds_write_b32 v191, v38 offset:544
.LBB1429_446:                           ;   in Loop: Header=BB1429_390 Depth=2
	s_or_b32 exec_lo, exec_lo, s22
	v_cmp_lt_i32_e32 vcc_lo, -1, v172
	; wave barrier
	v_cndmask_b32_e64 v38, -1, 0x80000000, vcc_lo
	v_xor_b32_e32 v172, v38, v172
	v_cmp_ne_u32_e32 vcc_lo, 0x7fffffff, v172
	v_cndmask_b32_e32 v38, 0x80000000, v172, vcc_lo
	v_lshrrev_b32_e32 v38, s52, v38
	v_and_b32_e32 v192, s61, v38
	v_and_b32_e32 v38, 1, v192
	v_lshlrev_b32_e32 v193, 30, v192
	v_lshlrev_b32_e32 v194, 29, v192
	;; [unrolled: 1-line block ×4, first 2 shown]
	v_add_co_u32 v38, s22, v38, -1
	v_cndmask_b32_e64 v195, 0, 1, s22
	v_not_b32_e32 v199, v193
	v_cmp_gt_i32_e64 s22, 0, v193
	v_not_b32_e32 v193, v194
	v_lshlrev_b32_e32 v198, 26, v192
	v_cmp_ne_u32_e32 vcc_lo, 0, v195
	v_ashrrev_i32_e32 v199, 31, v199
	v_lshlrev_b32_e32 v195, 25, v192
	v_ashrrev_i32_e32 v193, 31, v193
	v_xor_b32_e32 v38, vcc_lo, v38
	v_cmp_gt_i32_e32 vcc_lo, 0, v194
	v_not_b32_e32 v194, v196
	v_xor_b32_e32 v199, s22, v199
	v_cmp_gt_i32_e64 s22, 0, v196
	v_and_b32_e32 v38, exec_lo, v38
	v_not_b32_e32 v196, v197
	v_ashrrev_i32_e32 v194, 31, v194
	v_xor_b32_e32 v193, vcc_lo, v193
	v_cmp_gt_i32_e32 vcc_lo, 0, v197
	v_and_b32_e32 v38, v38, v199
	v_not_b32_e32 v197, v198
	v_ashrrev_i32_e32 v196, 31, v196
	v_xor_b32_e32 v194, s22, v194
	v_cmp_gt_i32_e64 s22, 0, v198
	v_and_b32_e32 v38, v38, v193
	v_not_b32_e32 v193, v195
	v_ashrrev_i32_e32 v197, 31, v197
	v_xor_b32_e32 v196, vcc_lo, v196
	v_cmp_gt_i32_e32 vcc_lo, 0, v195
	v_and_b32_e32 v38, v38, v194
	v_ashrrev_i32_e32 v193, 31, v193
	v_xor_b32_e32 v194, s22, v197
	v_mad_u32_u24 v195, v192, 36, v131
	v_mul_u32_u24_e32 v192, 36, v192
	v_and_b32_e32 v38, v38, v196
	v_xor_b32_e32 v196, vcc_lo, v193
	ds_read_b32 v193, v195 offset:544
	v_add_nc_u32_e32 v195, v131, v192
	v_and_b32_e32 v38, v38, v194
	; wave barrier
	v_and_b32_e32 v38, v38, v196
	v_mbcnt_lo_u32_b32 v194, v38, 0
	v_cmp_ne_u32_e64 s22, 0, v38
	v_cmp_eq_u32_e32 vcc_lo, 0, v194
	s_and_b32 s23, s22, vcc_lo
	s_and_saveexec_b32 s22, s23
	s_cbranch_execz .LBB1429_448
; %bb.447:                              ;   in Loop: Header=BB1429_390 Depth=2
	s_waitcnt lgkmcnt(0)
	v_bcnt_u32_b32 v38, v38, v193
	ds_write_b32 v195, v38 offset:544
.LBB1429_448:                           ;   in Loop: Header=BB1429_390 Depth=2
	s_or_b32 exec_lo, exec_lo, s22
	v_cmp_lt_i32_e32 vcc_lo, -1, v167
	; wave barrier
	v_cndmask_b32_e64 v38, -1, 0x80000000, vcc_lo
	v_xor_b32_e32 v192, v38, v167
	v_cmp_ne_u32_e32 vcc_lo, 0x7fffffff, v192
	v_cndmask_b32_e32 v38, 0x80000000, v192, vcc_lo
	v_lshrrev_b32_e32 v38, s52, v38
	v_and_b32_e32 v167, s61, v38
	v_and_b32_e32 v38, 1, v167
	v_lshlrev_b32_e32 v196, 30, v167
	v_lshlrev_b32_e32 v197, 29, v167
	;; [unrolled: 1-line block ×4, first 2 shown]
	v_add_co_u32 v38, s22, v38, -1
	v_cndmask_b32_e64 v198, 0, 1, s22
	v_not_b32_e32 v202, v196
	v_cmp_gt_i32_e64 s22, 0, v196
	v_not_b32_e32 v196, v197
	v_lshlrev_b32_e32 v201, 26, v167
	v_cmp_ne_u32_e32 vcc_lo, 0, v198
	v_ashrrev_i32_e32 v202, 31, v202
	v_lshlrev_b32_e32 v198, 25, v167
	v_ashrrev_i32_e32 v196, 31, v196
	v_xor_b32_e32 v38, vcc_lo, v38
	v_cmp_gt_i32_e32 vcc_lo, 0, v197
	v_not_b32_e32 v197, v199
	v_xor_b32_e32 v202, s22, v202
	v_cmp_gt_i32_e64 s22, 0, v199
	v_and_b32_e32 v38, exec_lo, v38
	v_not_b32_e32 v199, v200
	v_ashrrev_i32_e32 v197, 31, v197
	v_xor_b32_e32 v196, vcc_lo, v196
	v_cmp_gt_i32_e32 vcc_lo, 0, v200
	v_and_b32_e32 v38, v38, v202
	v_not_b32_e32 v200, v201
	v_ashrrev_i32_e32 v199, 31, v199
	v_xor_b32_e32 v197, s22, v197
	v_cmp_gt_i32_e64 s22, 0, v201
	v_and_b32_e32 v38, v38, v196
	v_not_b32_e32 v196, v198
	v_ashrrev_i32_e32 v200, 31, v200
	v_xor_b32_e32 v199, vcc_lo, v199
	v_cmp_gt_i32_e32 vcc_lo, 0, v198
	v_and_b32_e32 v38, v38, v197
	v_ashrrev_i32_e32 v196, 31, v196
	v_xor_b32_e32 v197, s22, v200
	v_mad_u32_u24 v198, v167, 36, v131
	v_mul_u32_u24_e32 v167, 36, v167
	v_and_b32_e32 v38, v38, v199
	v_xor_b32_e32 v196, vcc_lo, v196
	v_add_nc_u32_e32 v167, v131, v167
	v_and_b32_e32 v38, v38, v197
	ds_read_b32 v197, v198 offset:544
	; wave barrier
	v_and_b32_e32 v38, v38, v196
	v_mbcnt_lo_u32_b32 v198, v38, 0
	v_cmp_ne_u32_e64 s22, 0, v38
	v_cmp_eq_u32_e32 vcc_lo, 0, v198
	s_and_b32 s23, s22, vcc_lo
	s_and_saveexec_b32 s22, s23
	s_cbranch_execz .LBB1429_450
; %bb.449:                              ;   in Loop: Header=BB1429_390 Depth=2
	s_waitcnt lgkmcnt(0)
	v_bcnt_u32_b32 v38, v38, v197
	ds_write_b32 v167, v38 offset:544
.LBB1429_450:                           ;   in Loop: Header=BB1429_390 Depth=2
	s_or_b32 exec_lo, exec_lo, s22
	v_cmp_lt_i32_e32 vcc_lo, -1, v164
	; wave barrier
	v_cndmask_b32_e64 v38, -1, 0x80000000, vcc_lo
	v_xor_b32_e32 v196, v38, v164
	v_cmp_ne_u32_e32 vcc_lo, 0x7fffffff, v196
	v_cndmask_b32_e32 v38, 0x80000000, v196, vcc_lo
	v_lshrrev_b32_e32 v38, s52, v38
	v_and_b32_e32 v164, s61, v38
	v_and_b32_e32 v38, 1, v164
	v_lshlrev_b32_e32 v199, 30, v164
	v_lshlrev_b32_e32 v200, 29, v164
	;; [unrolled: 1-line block ×4, first 2 shown]
	v_add_co_u32 v38, s22, v38, -1
	v_cndmask_b32_e64 v201, 0, 1, s22
	v_not_b32_e32 v205, v199
	v_cmp_gt_i32_e64 s22, 0, v199
	v_not_b32_e32 v199, v200
	v_lshlrev_b32_e32 v204, 26, v164
	v_cmp_ne_u32_e32 vcc_lo, 0, v201
	v_ashrrev_i32_e32 v205, 31, v205
	v_lshlrev_b32_e32 v201, 25, v164
	v_ashrrev_i32_e32 v199, 31, v199
	v_xor_b32_e32 v38, vcc_lo, v38
	v_cmp_gt_i32_e32 vcc_lo, 0, v200
	v_not_b32_e32 v200, v202
	v_xor_b32_e32 v205, s22, v205
	v_cmp_gt_i32_e64 s22, 0, v202
	v_and_b32_e32 v38, exec_lo, v38
	v_not_b32_e32 v202, v203
	v_ashrrev_i32_e32 v200, 31, v200
	v_xor_b32_e32 v199, vcc_lo, v199
	v_cmp_gt_i32_e32 vcc_lo, 0, v203
	v_and_b32_e32 v38, v38, v205
	v_not_b32_e32 v203, v204
	v_ashrrev_i32_e32 v202, 31, v202
	v_xor_b32_e32 v200, s22, v200
	v_cmp_gt_i32_e64 s22, 0, v204
	v_and_b32_e32 v38, v38, v199
	v_not_b32_e32 v199, v201
	v_ashrrev_i32_e32 v203, 31, v203
	v_xor_b32_e32 v202, vcc_lo, v202
	v_cmp_gt_i32_e32 vcc_lo, 0, v201
	v_and_b32_e32 v38, v38, v200
	v_ashrrev_i32_e32 v199, 31, v199
	v_xor_b32_e32 v200, s22, v203
	v_mad_u32_u24 v201, v164, 36, v131
	v_mul_u32_u24_e32 v164, 36, v164
	v_and_b32_e32 v38, v38, v202
	v_xor_b32_e32 v199, vcc_lo, v199
	v_add_nc_u32_e32 v164, v131, v164
	v_and_b32_e32 v38, v38, v200
	ds_read_b32 v200, v201 offset:544
	; wave barrier
	v_and_b32_e32 v38, v38, v199
	v_mbcnt_lo_u32_b32 v201, v38, 0
	v_cmp_ne_u32_e64 s22, 0, v38
	v_cmp_eq_u32_e32 vcc_lo, 0, v201
	s_and_b32 s23, s22, vcc_lo
	s_and_saveexec_b32 s22, s23
	s_cbranch_execz .LBB1429_452
; %bb.451:                              ;   in Loop: Header=BB1429_390 Depth=2
	s_waitcnt lgkmcnt(0)
	v_bcnt_u32_b32 v38, v38, v200
	ds_write_b32 v164, v38 offset:544
.LBB1429_452:                           ;   in Loop: Header=BB1429_390 Depth=2
	s_or_b32 exec_lo, exec_lo, s22
	v_cmp_lt_i32_e32 vcc_lo, -1, v40
	; wave barrier
	v_cndmask_b32_e64 v38, -1, 0x80000000, vcc_lo
	v_xor_b32_e32 v199, v38, v40
	v_cmp_ne_u32_e32 vcc_lo, 0x7fffffff, v199
	v_cndmask_b32_e32 v38, 0x80000000, v199, vcc_lo
	v_lshrrev_b32_e32 v38, s52, v38
	v_and_b32_e32 v40, s61, v38
	v_and_b32_e32 v38, 1, v40
	v_lshlrev_b32_e32 v202, 30, v40
	v_lshlrev_b32_e32 v203, 29, v40
	;; [unrolled: 1-line block ×4, first 2 shown]
	v_add_co_u32 v38, s22, v38, -1
	v_cndmask_b32_e64 v204, 0, 1, s22
	v_not_b32_e32 v208, v202
	v_cmp_gt_i32_e64 s22, 0, v202
	v_not_b32_e32 v202, v203
	v_lshlrev_b32_e32 v207, 26, v40
	v_cmp_ne_u32_e32 vcc_lo, 0, v204
	v_ashrrev_i32_e32 v208, 31, v208
	v_lshlrev_b32_e32 v204, 25, v40
	v_ashrrev_i32_e32 v202, 31, v202
	v_xor_b32_e32 v38, vcc_lo, v38
	v_cmp_gt_i32_e32 vcc_lo, 0, v203
	v_not_b32_e32 v203, v205
	v_xor_b32_e32 v208, s22, v208
	v_cmp_gt_i32_e64 s22, 0, v205
	v_and_b32_e32 v38, exec_lo, v38
	v_not_b32_e32 v205, v206
	v_ashrrev_i32_e32 v203, 31, v203
	v_xor_b32_e32 v202, vcc_lo, v202
	v_cmp_gt_i32_e32 vcc_lo, 0, v206
	v_and_b32_e32 v38, v38, v208
	v_not_b32_e32 v206, v207
	v_ashrrev_i32_e32 v205, 31, v205
	v_xor_b32_e32 v203, s22, v203
	v_cmp_gt_i32_e64 s22, 0, v207
	v_and_b32_e32 v38, v38, v202
	v_not_b32_e32 v202, v204
	v_ashrrev_i32_e32 v206, 31, v206
	v_xor_b32_e32 v205, vcc_lo, v205
	v_cmp_gt_i32_e32 vcc_lo, 0, v204
	v_and_b32_e32 v38, v38, v203
	v_ashrrev_i32_e32 v202, 31, v202
	v_xor_b32_e32 v203, s22, v206
	v_mad_u32_u24 v204, v40, 36, v131
	v_mul_u32_u24_e32 v40, 36, v40
	v_and_b32_e32 v38, v38, v205
	v_xor_b32_e32 v202, vcc_lo, v202
	v_add_nc_u32_e32 v205, v131, v40
	v_and_b32_e32 v38, v38, v203
	ds_read_b32 v203, v204 offset:544
	; wave barrier
	v_and_b32_e32 v38, v38, v202
	v_mbcnt_lo_u32_b32 v204, v38, 0
	v_cmp_ne_u32_e64 s22, 0, v38
	v_cmp_eq_u32_e32 vcc_lo, 0, v204
	s_and_b32 s23, s22, vcc_lo
	s_and_saveexec_b32 s22, s23
	s_cbranch_execz .LBB1429_454
; %bb.453:                              ;   in Loop: Header=BB1429_390 Depth=2
	s_waitcnt lgkmcnt(0)
	v_bcnt_u32_b32 v38, v38, v203
	ds_write_b32 v205, v38 offset:544
.LBB1429_454:                           ;   in Loop: Header=BB1429_390 Depth=2
	s_or_b32 exec_lo, exec_lo, s22
	v_cmp_lt_i32_e32 vcc_lo, -1, v39
	; wave barrier
	v_cndmask_b32_e64 v38, -1, 0x80000000, vcc_lo
	v_xor_b32_e32 v202, v38, v39
	v_cmp_ne_u32_e32 vcc_lo, 0x7fffffff, v202
	v_cndmask_b32_e32 v38, 0x80000000, v202, vcc_lo
	v_lshrrev_b32_e32 v38, s52, v38
	v_and_b32_e32 v39, s61, v38
	v_and_b32_e32 v38, 1, v39
	v_lshlrev_b32_e32 v40, 30, v39
	v_lshlrev_b32_e32 v206, 29, v39
	;; [unrolled: 1-line block ×4, first 2 shown]
	v_add_co_u32 v38, s22, v38, -1
	v_cndmask_b32_e64 v207, 0, 1, s22
	v_not_b32_e32 v211, v40
	v_cmp_gt_i32_e64 s22, 0, v40
	v_not_b32_e32 v40, v206
	v_lshlrev_b32_e32 v210, 26, v39
	v_cmp_ne_u32_e32 vcc_lo, 0, v207
	v_ashrrev_i32_e32 v211, 31, v211
	v_lshlrev_b32_e32 v207, 25, v39
	v_ashrrev_i32_e32 v40, 31, v40
	v_xor_b32_e32 v38, vcc_lo, v38
	v_cmp_gt_i32_e32 vcc_lo, 0, v206
	v_not_b32_e32 v206, v208
	v_xor_b32_e32 v211, s22, v211
	v_cmp_gt_i32_e64 s22, 0, v208
	v_and_b32_e32 v38, exec_lo, v38
	v_not_b32_e32 v208, v209
	v_ashrrev_i32_e32 v206, 31, v206
	v_xor_b32_e32 v40, vcc_lo, v40
	v_cmp_gt_i32_e32 vcc_lo, 0, v209
	v_and_b32_e32 v38, v38, v211
	v_not_b32_e32 v209, v210
	v_ashrrev_i32_e32 v208, 31, v208
	v_xor_b32_e32 v206, s22, v206
	v_cmp_gt_i32_e64 s22, 0, v210
	v_and_b32_e32 v38, v38, v40
	v_not_b32_e32 v40, v207
	v_ashrrev_i32_e32 v209, 31, v209
	v_xor_b32_e32 v208, vcc_lo, v208
	v_cmp_gt_i32_e32 vcc_lo, 0, v207
	v_and_b32_e32 v38, v38, v206
	v_ashrrev_i32_e32 v40, 31, v40
	v_xor_b32_e32 v206, s22, v209
	v_mad_u32_u24 v207, v39, 36, v131
	v_mul_u32_u24_e32 v39, 36, v39
	v_and_b32_e32 v38, v38, v208
	v_xor_b32_e32 v40, vcc_lo, v40
	ds_read_b32 v207, v207 offset:544
	v_add_nc_u32_e32 v209, v131, v39
	v_and_b32_e32 v38, v38, v206
	; wave barrier
	v_and_b32_e32 v38, v38, v40
	v_mbcnt_lo_u32_b32 v208, v38, 0
	v_cmp_ne_u32_e64 s22, 0, v38
	v_cmp_eq_u32_e32 vcc_lo, 0, v208
	s_and_b32 s23, s22, vcc_lo
	s_and_saveexec_b32 s22, s23
	s_cbranch_execz .LBB1429_456
; %bb.455:                              ;   in Loop: Header=BB1429_390 Depth=2
	s_waitcnt lgkmcnt(0)
	v_bcnt_u32_b32 v38, v38, v207
	ds_write_b32 v209, v38 offset:544
.LBB1429_456:                           ;   in Loop: Header=BB1429_390 Depth=2
	s_or_b32 exec_lo, exec_lo, s22
	v_cmp_lt_i32_e32 vcc_lo, -1, v37
	; wave barrier
	v_cndmask_b32_e64 v38, -1, 0x80000000, vcc_lo
	v_xor_b32_e32 v206, v38, v37
	v_cmp_ne_u32_e32 vcc_lo, 0x7fffffff, v206
	v_cndmask_b32_e32 v37, 0x80000000, v206, vcc_lo
	v_lshrrev_b32_e32 v37, s52, v37
	v_and_b32_e32 v38, s61, v37
	v_and_b32_e32 v37, 1, v38
	v_lshlrev_b32_e32 v39, 30, v38
	v_lshlrev_b32_e32 v40, 29, v38
	;; [unrolled: 1-line block ×4, first 2 shown]
	v_add_co_u32 v37, s22, v37, -1
	v_cndmask_b32_e64 v210, 0, 1, s22
	v_not_b32_e32 v214, v39
	v_cmp_gt_i32_e64 s22, 0, v39
	v_not_b32_e32 v39, v40
	v_lshlrev_b32_e32 v213, 26, v38
	v_cmp_ne_u32_e32 vcc_lo, 0, v210
	v_ashrrev_i32_e32 v214, 31, v214
	v_lshlrev_b32_e32 v210, 25, v38
	v_ashrrev_i32_e32 v39, 31, v39
	v_xor_b32_e32 v37, vcc_lo, v37
	v_cmp_gt_i32_e32 vcc_lo, 0, v40
	v_not_b32_e32 v40, v211
	v_xor_b32_e32 v214, s22, v214
	v_cmp_gt_i32_e64 s22, 0, v211
	v_and_b32_e32 v37, exec_lo, v37
	v_not_b32_e32 v211, v212
	v_ashrrev_i32_e32 v40, 31, v40
	v_xor_b32_e32 v39, vcc_lo, v39
	v_cmp_gt_i32_e32 vcc_lo, 0, v212
	v_and_b32_e32 v37, v37, v214
	v_not_b32_e32 v212, v213
	v_ashrrev_i32_e32 v211, 31, v211
	v_xor_b32_e32 v40, s22, v40
	v_cmp_gt_i32_e64 s22, 0, v213
	v_and_b32_e32 v37, v37, v39
	v_not_b32_e32 v39, v210
	v_ashrrev_i32_e32 v212, 31, v212
	v_xor_b32_e32 v211, vcc_lo, v211
	v_cmp_gt_i32_e32 vcc_lo, 0, v210
	v_and_b32_e32 v37, v37, v40
	v_ashrrev_i32_e32 v39, 31, v39
	v_xor_b32_e32 v40, s22, v212
	v_mad_u32_u24 v210, v38, 36, v131
	v_mul_u32_u24_e32 v38, 36, v38
	v_and_b32_e32 v37, v37, v211
	v_xor_b32_e32 v39, vcc_lo, v39
	ds_read_b32 v210, v210 offset:544
	v_add_nc_u32_e32 v212, v131, v38
	v_and_b32_e32 v37, v37, v40
	; wave barrier
	v_and_b32_e32 v37, v37, v39
	v_mbcnt_lo_u32_b32 v211, v37, 0
	v_cmp_ne_u32_e64 s22, 0, v37
	v_cmp_eq_u32_e32 vcc_lo, 0, v211
	s_and_b32 s23, s22, vcc_lo
	s_and_saveexec_b32 s22, s23
	s_cbranch_execz .LBB1429_458
; %bb.457:                              ;   in Loop: Header=BB1429_390 Depth=2
	s_waitcnt lgkmcnt(0)
	v_bcnt_u32_b32 v37, v37, v210
	ds_write_b32 v212, v37 offset:544
.LBB1429_458:                           ;   in Loop: Header=BB1429_390 Depth=2
	s_or_b32 exec_lo, exec_lo, s22
	; wave barrier
	s_waitcnt lgkmcnt(0)
	s_barrier
	buffer_gl0_inv
	ds_read2_b32 v[39:40], v65 offset0:136 offset1:137
	ds_read2_b32 v[37:38], v65 offset0:138 offset1:139
	ds_read_b32 v213, v65 offset:560
	s_waitcnt lgkmcnt(1)
	v_add3_u32 v214, v40, v39, v37
	s_waitcnt lgkmcnt(0)
	v_add3_u32 v213, v214, v38, v213
	v_mov_b32_dpp v214, v213 row_shr:1 row_mask:0xf bank_mask:0xf
	v_cndmask_b32_e64 v214, v214, 0, s5
	v_add_nc_u32_e32 v213, v214, v213
	v_mov_b32_dpp v214, v213 row_shr:2 row_mask:0xf bank_mask:0xf
	v_cndmask_b32_e64 v214, 0, v214, s15
	v_add_nc_u32_e32 v213, v213, v214
	;; [unrolled: 3-line block ×4, first 2 shown]
	ds_swizzle_b32 v214, v213 offset:swizzle(BROADCAST,32,15)
	s_waitcnt lgkmcnt(0)
	v_cndmask_b32_e64 v214, v214, 0, s18
	v_add_nc_u32_e32 v213, v213, v214
	s_and_saveexec_b32 s22, s4
; %bb.459:                              ;   in Loop: Header=BB1429_390 Depth=2
	ds_write_b32 v60, v213 offset:512
; %bb.460:                              ;   in Loop: Header=BB1429_390 Depth=2
	s_or_b32 exec_lo, exec_lo, s22
	s_waitcnt lgkmcnt(0)
	s_barrier
	buffer_gl0_inv
	s_and_saveexec_b32 s22, s11
	s_cbranch_execz .LBB1429_462
; %bb.461:                              ;   in Loop: Header=BB1429_390 Depth=2
	ds_read_b32 v214, v66 offset:512
	s_waitcnt lgkmcnt(0)
	v_mov_b32_dpp v215, v214 row_shr:1 row_mask:0xf bank_mask:0xf
	v_cndmask_b32_e64 v215, v215, 0, s19
	v_add_nc_u32_e32 v214, v215, v214
	v_mov_b32_dpp v215, v214 row_shr:2 row_mask:0xf bank_mask:0xf
	v_cndmask_b32_e64 v215, 0, v215, s20
	v_add_nc_u32_e32 v214, v214, v215
	;; [unrolled: 3-line block ×3, first 2 shown]
	ds_write_b32 v66, v214 offset:512
.LBB1429_462:                           ;   in Loop: Header=BB1429_390 Depth=2
	s_or_b32 exec_lo, exec_lo, s22
	v_mov_b32_e32 v214, 0
	s_waitcnt lgkmcnt(0)
	s_barrier
	buffer_gl0_inv
	s_and_saveexec_b32 s22, s10
; %bb.463:                              ;   in Loop: Header=BB1429_390 Depth=2
	ds_read_b32 v214, v60 offset:508
; %bb.464:                              ;   in Loop: Header=BB1429_390 Depth=2
	s_or_b32 exec_lo, exec_lo, s22
	s_waitcnt lgkmcnt(0)
	v_add_nc_u32_e32 v213, v214, v213
	ds_bpermute_b32 v213, v126, v213
	s_waitcnt lgkmcnt(0)
	v_cndmask_b32_e64 v213, v213, v214, s14
	v_cndmask_b32_e64 v213, v213, 0, s12
	v_add_nc_u32_e32 v39, v213, v39
	v_add_nc_u32_e32 v40, v39, v40
	v_add_nc_u32_e32 v37, v40, v37
	v_add_nc_u32_e32 v38, v37, v38
	ds_write2_b32 v65, v213, v39 offset0:136 offset1:137
	ds_write2_b32 v65, v40, v37 offset0:138 offset1:139
	ds_write_b32 v65, v38 offset:560
	s_waitcnt lgkmcnt(0)
	s_barrier
	buffer_gl0_inv
	ds_read_b32 v39, v153 offset:544
	ds_read_b32 v40, v157 offset:544
	;; [unrolled: 1-line block ×16, first 2 shown]
	s_and_saveexec_b32 s22, s7
	s_cbranch_execz .LBB1429_468
; %bb.465:                              ;   in Loop: Header=BB1429_390 Depth=2
	ds_read_b32 v144, v68 offset:544
	v_mov_b32_e32 v149, 0x1000
	s_and_saveexec_b32 s23, s13
; %bb.466:                              ;   in Loop: Header=BB1429_390 Depth=2
	ds_read_b32 v149, v67 offset:544
; %bb.467:                              ;   in Loop: Header=BB1429_390 Depth=2
	s_or_b32 exec_lo, exec_lo, s23
	s_waitcnt lgkmcnt(0)
	v_sub_nc_u32_e32 v149, v149, v144
.LBB1429_468:                           ;   in Loop: Header=BB1429_390 Depth=2
	s_or_b32 exec_lo, exec_lo, s22
	s_waitcnt lgkmcnt(0)
	s_barrier
	buffer_gl0_inv
	s_and_saveexec_b32 s22, s7
	s_cbranch_execz .LBB1429_470
; %bb.469:                              ;   in Loop: Header=BB1429_390 Depth=2
	ds_read_b32 v164, v41
	s_waitcnt lgkmcnt(0)
	v_sub_nc_u32_e32 v164, v164, v144
	ds_write_b32 v41, v164
.LBB1429_470:                           ;   in Loop: Header=BB1429_390 Depth=2
	s_or_b32 exec_lo, exec_lo, s22
	v_add_nc_u32_e32 v171, v39, v152
	v_add3_u32 v167, v156, v155, v40
	v_add3_u32 v166, v160, v159, v153
	v_add3_u32 v165, v165, v163, v157
	v_add3_u32 v164, v170, v169, v161
	v_add3_u32 v163, v175, v174, v213
	v_lshlrev_b32_e32 v169, 2, v171
	v_add3_u32 v155, v204, v203, v37
	v_lshlrev_b32_e32 v37, 2, v167
	v_add3_u32 v161, v180, v179, v182
	v_add3_u32 v160, v184, v183, v185
	ds_write_b32 v169, v3 offset:512
	v_lshlrev_b32_e32 v3, 2, v166
	ds_write_b32 v37, v151 offset:512
	v_lshlrev_b32_e32 v37, 2, v163
	v_add3_u32 v159, v187, v186, v188
	v_add3_u32 v153, v208, v207, v38
	v_lshlrev_b32_e32 v38, 2, v165
	v_add3_u32 v157, v190, v189, v191
	v_lshlrev_b32_e32 v169, 2, v164
	v_add3_u32 v156, v194, v193, v195
	v_add3_u32 v40, v198, v197, v214
	ds_write_b32 v3, v154 offset:512
	ds_write_b32 v38, v158 offset:512
	;; [unrolled: 1-line block ×3, first 2 shown]
	v_lshlrev_b32_e32 v3, 2, v161
	ds_write_b32 v37, v168 offset:512
	v_lshlrev_b32_e32 v37, 2, v160
	v_lshlrev_b32_e32 v38, 2, v159
	;; [unrolled: 1-line block ×3, first 2 shown]
	v_add3_u32 v39, v201, v200, v215
	v_add3_u32 v152, v211, v210, v177
	ds_write_b32 v3, v173 offset:512
	v_lshlrev_b32_e32 v3, 2, v156
	ds_write_b32 v37, v178 offset:512
	ds_write_b32 v38, v181 offset:512
	;; [unrolled: 1-line block ×3, first 2 shown]
	v_lshlrev_b32_e32 v37, 2, v40
	v_cmp_lt_u32_e32 vcc_lo, v0, v150
	v_lshlrev_b32_e32 v38, 2, v155
	ds_write_b32 v3, v172 offset:512
	v_lshlrev_b32_e32 v3, 2, v39
	ds_write_b32 v37, v192 offset:512
	v_lshlrev_b32_e32 v37, 2, v152
	v_lshlrev_b32_e32 v151, 2, v153
	ds_write_b32 v3, v196 offset:512
	ds_write_b32 v38, v199 offset:512
	;; [unrolled: 1-line block ×4, first 2 shown]
	s_waitcnt lgkmcnt(0)
	s_barrier
	buffer_gl0_inv
	s_and_saveexec_b32 s23, vcc_lo
	s_cbranch_execnz .LBB1429_539
; %bb.471:                              ;   in Loop: Header=BB1429_390 Depth=2
	s_or_b32 exec_lo, exec_lo, s23
	v_cmp_lt_u32_e64 s22, v42, v150
	s_and_saveexec_b32 s24, s22
	s_cbranch_execnz .LBB1429_540
.LBB1429_472:                           ;   in Loop: Header=BB1429_390 Depth=2
	s_or_b32 exec_lo, exec_lo, s24
	v_cmp_lt_u32_e64 s23, v45, v150
	s_and_saveexec_b32 s25, s23
	s_cbranch_execnz .LBB1429_541
.LBB1429_473:                           ;   in Loop: Header=BB1429_390 Depth=2
	s_or_b32 exec_lo, exec_lo, s25
	v_cmp_lt_u32_e64 s24, v46, v150
	s_and_saveexec_b32 s26, s24
	s_cbranch_execnz .LBB1429_542
.LBB1429_474:                           ;   in Loop: Header=BB1429_390 Depth=2
	s_or_b32 exec_lo, exec_lo, s26
	v_cmp_lt_u32_e64 s25, v47, v150
	s_and_saveexec_b32 s28, s25
	s_cbranch_execnz .LBB1429_543
.LBB1429_475:                           ;   in Loop: Header=BB1429_390 Depth=2
	s_or_b32 exec_lo, exec_lo, s28
	v_cmp_lt_u32_e64 s26, v48, v150
	s_and_saveexec_b32 s29, s26
	s_cbranch_execnz .LBB1429_544
.LBB1429_476:                           ;   in Loop: Header=BB1429_390 Depth=2
	s_or_b32 exec_lo, exec_lo, s29
	v_cmp_lt_u32_e64 s28, v49, v150
	s_and_saveexec_b32 s30, s28
	s_cbranch_execnz .LBB1429_545
.LBB1429_477:                           ;   in Loop: Header=BB1429_390 Depth=2
	s_or_b32 exec_lo, exec_lo, s30
	v_cmp_lt_u32_e64 s29, v50, v150
	s_and_saveexec_b32 s31, s29
	s_cbranch_execnz .LBB1429_546
.LBB1429_478:                           ;   in Loop: Header=BB1429_390 Depth=2
	s_or_b32 exec_lo, exec_lo, s31
	v_cmp_lt_u32_e64 s30, v51, v150
	s_and_saveexec_b32 s33, s30
	s_cbranch_execnz .LBB1429_547
.LBB1429_479:                           ;   in Loop: Header=BB1429_390 Depth=2
	s_or_b32 exec_lo, exec_lo, s33
	v_cmp_lt_u32_e64 s31, v52, v150
	s_and_saveexec_b32 s34, s31
	s_cbranch_execnz .LBB1429_548
.LBB1429_480:                           ;   in Loop: Header=BB1429_390 Depth=2
	s_or_b32 exec_lo, exec_lo, s34
	v_cmp_lt_u32_e64 s33, v53, v150
	s_and_saveexec_b32 s35, s33
	s_cbranch_execnz .LBB1429_549
.LBB1429_481:                           ;   in Loop: Header=BB1429_390 Depth=2
	s_or_b32 exec_lo, exec_lo, s35
	v_cmp_lt_u32_e64 s34, v54, v150
	s_and_saveexec_b32 s36, s34
	s_cbranch_execnz .LBB1429_550
.LBB1429_482:                           ;   in Loop: Header=BB1429_390 Depth=2
	s_or_b32 exec_lo, exec_lo, s36
	v_cmp_lt_u32_e64 s35, v55, v150
	s_and_saveexec_b32 s37, s35
	s_cbranch_execnz .LBB1429_551
.LBB1429_483:                           ;   in Loop: Header=BB1429_390 Depth=2
	s_or_b32 exec_lo, exec_lo, s37
	v_cmp_lt_u32_e64 s36, v56, v150
	s_and_saveexec_b32 s38, s36
	s_cbranch_execnz .LBB1429_552
.LBB1429_484:                           ;   in Loop: Header=BB1429_390 Depth=2
	s_or_b32 exec_lo, exec_lo, s38
	v_cmp_lt_u32_e64 s37, v57, v150
	s_and_saveexec_b32 s39, s37
	s_cbranch_execnz .LBB1429_553
.LBB1429_485:                           ;   in Loop: Header=BB1429_390 Depth=2
	s_or_b32 exec_lo, exec_lo, s39
	v_cmp_lt_u32_e64 s38, v58, v150
	s_and_saveexec_b32 s64, s38
	s_cbranch_execz .LBB1429_487
.LBB1429_486:                           ;   in Loop: Header=BB1429_390 Depth=2
	ds_read_b32 v151, v66 offset:15872
	s_waitcnt lgkmcnt(0)
	v_cmp_ne_u32_e64 s39, 0x7fffffff, v151
	v_cndmask_b32_e64 v3, 0x80000000, v151, s39
	v_cmp_lt_i32_e64 s39, -1, v151
	v_lshrrev_b32_e32 v3, s52, v3
	v_cndmask_b32_e64 v154, 0x80000000, -1, s39
	v_and_b32_e32 v3, s61, v3
	v_lshlrev_b32_e32 v3, 2, v3
	ds_read_b32 v3, v3
	s_waitcnt lgkmcnt(0)
	v_add_nc_u32_e32 v3, v3, v58
	v_lshlrev_b64 v[37:38], 2, v[3:4]
	v_xor_b32_e32 v3, v154, v151
	v_add_co_u32 v37, s39, s44, v37
	v_add_co_ci_u32_e64 v38, null, s45, v38, s39
	global_store_dword v[37:38], v3, off
.LBB1429_487:                           ;   in Loop: Header=BB1429_390 Depth=2
	s_or_b32 exec_lo, exec_lo, s64
	s_lshl_b64 s[64:65], s[46:47], 3
	v_add_co_u32 v37, s39, v127, s64
	v_add_co_ci_u32_e64 v38, null, s65, v128, s39
	v_cmp_lt_u32_e64 s39, v105, v150
	s_and_saveexec_b32 s46, s39
	s_xor_b32 s39, exec_lo, s46
	s_cbranch_execnz .LBB1429_554
; %bb.488:                              ;   in Loop: Header=BB1429_390 Depth=2
	s_or_b32 exec_lo, exec_lo, s39
	s_mov_b32 s46, exec_lo
	v_cmpx_lt_u32_e64 v108, v150
	s_cbranch_execnz .LBB1429_555
.LBB1429_489:                           ;   in Loop: Header=BB1429_390 Depth=2
	s_or_b32 exec_lo, exec_lo, s46
	s_mov_b32 s46, exec_lo
	v_cmpx_lt_u32_e64 v109, v150
	s_cbranch_execnz .LBB1429_556
.LBB1429_490:                           ;   in Loop: Header=BB1429_390 Depth=2
	s_or_b32 exec_lo, exec_lo, s46
	s_mov_b32 s46, exec_lo
	v_cmpx_lt_u32_e64 v110, v150
	s_cbranch_execnz .LBB1429_557
.LBB1429_491:                           ;   in Loop: Header=BB1429_390 Depth=2
	s_or_b32 exec_lo, exec_lo, s46
	s_mov_b32 s46, exec_lo
	v_cmpx_lt_u32_e64 v111, v150
	s_cbranch_execnz .LBB1429_558
.LBB1429_492:                           ;   in Loop: Header=BB1429_390 Depth=2
	s_or_b32 exec_lo, exec_lo, s46
	s_mov_b32 s46, exec_lo
	v_cmpx_lt_u32_e64 v112, v150
	s_cbranch_execnz .LBB1429_559
.LBB1429_493:                           ;   in Loop: Header=BB1429_390 Depth=2
	s_or_b32 exec_lo, exec_lo, s46
	s_mov_b32 s46, exec_lo
	v_cmpx_lt_u32_e64 v113, v150
	s_cbranch_execnz .LBB1429_560
.LBB1429_494:                           ;   in Loop: Header=BB1429_390 Depth=2
	s_or_b32 exec_lo, exec_lo, s46
	s_mov_b32 s46, exec_lo
	v_cmpx_lt_u32_e64 v114, v150
	s_cbranch_execnz .LBB1429_561
.LBB1429_495:                           ;   in Loop: Header=BB1429_390 Depth=2
	s_or_b32 exec_lo, exec_lo, s46
	s_mov_b32 s46, exec_lo
	v_cmpx_lt_u32_e64 v115, v150
	s_cbranch_execnz .LBB1429_562
.LBB1429_496:                           ;   in Loop: Header=BB1429_390 Depth=2
	s_or_b32 exec_lo, exec_lo, s46
	s_mov_b32 s46, exec_lo
	v_cmpx_lt_u32_e64 v116, v150
	s_cbranch_execnz .LBB1429_563
.LBB1429_497:                           ;   in Loop: Header=BB1429_390 Depth=2
	s_or_b32 exec_lo, exec_lo, s46
	s_mov_b32 s46, exec_lo
	v_cmpx_lt_u32_e64 v117, v150
	s_cbranch_execnz .LBB1429_564
.LBB1429_498:                           ;   in Loop: Header=BB1429_390 Depth=2
	s_or_b32 exec_lo, exec_lo, s46
	s_mov_b32 s46, exec_lo
	v_cmpx_lt_u32_e64 v118, v150
	s_cbranch_execnz .LBB1429_565
.LBB1429_499:                           ;   in Loop: Header=BB1429_390 Depth=2
	s_or_b32 exec_lo, exec_lo, s46
	s_mov_b32 s46, exec_lo
	v_cmpx_lt_u32_e64 v119, v150
	s_cbranch_execnz .LBB1429_566
.LBB1429_500:                           ;   in Loop: Header=BB1429_390 Depth=2
	s_or_b32 exec_lo, exec_lo, s46
	s_mov_b32 s46, exec_lo
	v_cmpx_lt_u32_e64 v121, v150
	s_cbranch_execnz .LBB1429_567
.LBB1429_501:                           ;   in Loop: Header=BB1429_390 Depth=2
	s_or_b32 exec_lo, exec_lo, s46
	s_mov_b32 s46, exec_lo
	v_cmpx_lt_u32_e64 v122, v150
	s_cbranch_execnz .LBB1429_568
.LBB1429_502:                           ;   in Loop: Header=BB1429_390 Depth=2
	s_or_b32 exec_lo, exec_lo, s46
	s_mov_b32 s46, exec_lo
	v_cmpx_lt_u32_e64 v123, v150
	s_cbranch_execnz .LBB1429_569
.LBB1429_503:                           ;   in Loop: Header=BB1429_390 Depth=2
	s_or_b32 exec_lo, exec_lo, s46
	s_and_saveexec_b32 s46, vcc_lo
	s_cbranch_execnz .LBB1429_570
.LBB1429_504:                           ;   in Loop: Header=BB1429_390 Depth=2
	s_or_b32 exec_lo, exec_lo, s46
	s_and_saveexec_b32 s46, s22
	s_cbranch_execnz .LBB1429_571
.LBB1429_505:                           ;   in Loop: Header=BB1429_390 Depth=2
	s_or_b32 exec_lo, exec_lo, s46
	s_and_saveexec_b32 s46, s23
	s_cbranch_execnz .LBB1429_572
.LBB1429_506:                           ;   in Loop: Header=BB1429_390 Depth=2
	s_or_b32 exec_lo, exec_lo, s46
	s_and_saveexec_b32 s46, s24
	s_cbranch_execnz .LBB1429_573
.LBB1429_507:                           ;   in Loop: Header=BB1429_390 Depth=2
	s_or_b32 exec_lo, exec_lo, s46
	s_and_saveexec_b32 s46, s25
	s_cbranch_execnz .LBB1429_574
.LBB1429_508:                           ;   in Loop: Header=BB1429_390 Depth=2
	s_or_b32 exec_lo, exec_lo, s46
	s_and_saveexec_b32 s46, s26
	s_cbranch_execnz .LBB1429_575
.LBB1429_509:                           ;   in Loop: Header=BB1429_390 Depth=2
	s_or_b32 exec_lo, exec_lo, s46
	s_and_saveexec_b32 s46, s28
	s_cbranch_execnz .LBB1429_576
.LBB1429_510:                           ;   in Loop: Header=BB1429_390 Depth=2
	s_or_b32 exec_lo, exec_lo, s46
	s_and_saveexec_b32 s46, s29
	s_cbranch_execnz .LBB1429_577
.LBB1429_511:                           ;   in Loop: Header=BB1429_390 Depth=2
	s_or_b32 exec_lo, exec_lo, s46
	s_and_saveexec_b32 s46, s30
	s_cbranch_execnz .LBB1429_578
.LBB1429_512:                           ;   in Loop: Header=BB1429_390 Depth=2
	s_or_b32 exec_lo, exec_lo, s46
	s_and_saveexec_b32 s46, s31
	s_cbranch_execnz .LBB1429_579
.LBB1429_513:                           ;   in Loop: Header=BB1429_390 Depth=2
	s_or_b32 exec_lo, exec_lo, s46
	s_and_saveexec_b32 s46, s33
	s_cbranch_execnz .LBB1429_580
.LBB1429_514:                           ;   in Loop: Header=BB1429_390 Depth=2
	s_or_b32 exec_lo, exec_lo, s46
	s_and_saveexec_b32 s46, s34
	s_cbranch_execnz .LBB1429_581
.LBB1429_515:                           ;   in Loop: Header=BB1429_390 Depth=2
	s_or_b32 exec_lo, exec_lo, s46
	s_and_saveexec_b32 s46, s35
	s_cbranch_execnz .LBB1429_582
.LBB1429_516:                           ;   in Loop: Header=BB1429_390 Depth=2
	s_or_b32 exec_lo, exec_lo, s46
	s_and_saveexec_b32 s46, s36
	s_cbranch_execnz .LBB1429_583
.LBB1429_517:                           ;   in Loop: Header=BB1429_390 Depth=2
	s_or_b32 exec_lo, exec_lo, s46
	s_and_saveexec_b32 s46, s37
	s_cbranch_execnz .LBB1429_584
.LBB1429_518:                           ;   in Loop: Header=BB1429_390 Depth=2
	s_or_b32 exec_lo, exec_lo, s46
	s_and_saveexec_b32 s46, s38
	s_cbranch_execz .LBB1429_520
.LBB1429_519:                           ;   in Loop: Header=BB1429_390 Depth=2
	ds_read_b32 v3, v66 offset:15872
	s_waitcnt lgkmcnt(0)
	v_cmp_ne_u32_e64 s39, 0x7fffffff, v3
	v_cndmask_b32_e64 v3, 0x80000000, v3, s39
	v_lshrrev_b32_e32 v3, s52, v3
	v_and_b32_e32 v132, s61, v3
.LBB1429_520:                           ;   in Loop: Header=BB1429_390 Depth=2
	s_or_b32 exec_lo, exec_lo, s46
	v_lshlrev_b32_e32 v3, 3, v171
	v_lshlrev_b32_e32 v37, 3, v167
	s_waitcnt vmcnt(0)
	s_waitcnt_vscnt null, 0x0
	s_barrier
	buffer_gl0_inv
	ds_write_b64 v3, v[35:36] offset:512
	v_lshlrev_b32_e32 v3, 3, v166
	v_lshlrev_b32_e32 v38, 3, v165
	;; [unrolled: 1-line block ×4, first 2 shown]
	ds_write_b64 v37, v[33:34] offset:512
	ds_write_b64 v3, v[31:32] offset:512
	;; [unrolled: 1-line block ×5, first 2 shown]
	v_lshlrev_b32_e32 v3, 3, v161
	v_lshlrev_b32_e32 v37, 3, v160
	;; [unrolled: 1-line block ×5, first 2 shown]
	ds_write_b64 v3, v[19:20] offset:512
	ds_write_b64 v37, v[15:16] offset:512
	;; [unrolled: 1-line block ×5, first 2 shown]
	v_lshlrev_b32_e32 v3, 3, v40
	v_lshlrev_b32_e32 v37, 3, v39
	v_lshlrev_b32_e32 v38, 3, v155
	v_lshlrev_b32_e32 v39, 3, v153
	v_lshlrev_b32_e32 v40, 3, v152
	ds_write_b64 v3, v[13:14] offset:512
	ds_write_b64 v37, v[11:12] offset:512
	;; [unrolled: 1-line block ×5, first 2 shown]
	s_waitcnt lgkmcnt(0)
	s_barrier
	buffer_gl0_inv
	s_and_saveexec_b32 s39, vcc_lo
	s_cbranch_execnz .LBB1429_585
; %bb.521:                              ;   in Loop: Header=BB1429_390 Depth=2
	s_or_b32 exec_lo, exec_lo, s39
	s_and_saveexec_b32 s39, s22
	s_cbranch_execnz .LBB1429_586
.LBB1429_522:                           ;   in Loop: Header=BB1429_390 Depth=2
	s_or_b32 exec_lo, exec_lo, s39
	s_and_saveexec_b32 s22, s23
	s_cbranch_execnz .LBB1429_587
.LBB1429_523:                           ;   in Loop: Header=BB1429_390 Depth=2
	s_or_b32 exec_lo, exec_lo, s22
	s_and_saveexec_b32 s22, s24
	s_cbranch_execnz .LBB1429_588
.LBB1429_524:                           ;   in Loop: Header=BB1429_390 Depth=2
	s_or_b32 exec_lo, exec_lo, s22
	s_and_saveexec_b32 s22, s25
	s_cbranch_execnz .LBB1429_589
.LBB1429_525:                           ;   in Loop: Header=BB1429_390 Depth=2
	s_or_b32 exec_lo, exec_lo, s22
	s_and_saveexec_b32 s22, s26
	s_cbranch_execnz .LBB1429_590
.LBB1429_526:                           ;   in Loop: Header=BB1429_390 Depth=2
	s_or_b32 exec_lo, exec_lo, s22
	s_and_saveexec_b32 s22, s28
	s_cbranch_execnz .LBB1429_591
.LBB1429_527:                           ;   in Loop: Header=BB1429_390 Depth=2
	s_or_b32 exec_lo, exec_lo, s22
	s_and_saveexec_b32 s22, s29
	s_cbranch_execnz .LBB1429_592
.LBB1429_528:                           ;   in Loop: Header=BB1429_390 Depth=2
	s_or_b32 exec_lo, exec_lo, s22
	s_and_saveexec_b32 s22, s30
	s_cbranch_execnz .LBB1429_593
.LBB1429_529:                           ;   in Loop: Header=BB1429_390 Depth=2
	s_or_b32 exec_lo, exec_lo, s22
	s_and_saveexec_b32 s22, s31
	s_cbranch_execnz .LBB1429_594
.LBB1429_530:                           ;   in Loop: Header=BB1429_390 Depth=2
	s_or_b32 exec_lo, exec_lo, s22
	s_and_saveexec_b32 s22, s33
	s_cbranch_execnz .LBB1429_595
.LBB1429_531:                           ;   in Loop: Header=BB1429_390 Depth=2
	s_or_b32 exec_lo, exec_lo, s22
	s_and_saveexec_b32 s22, s34
	s_cbranch_execnz .LBB1429_596
.LBB1429_532:                           ;   in Loop: Header=BB1429_390 Depth=2
	s_or_b32 exec_lo, exec_lo, s22
	s_and_saveexec_b32 s22, s35
	s_cbranch_execnz .LBB1429_597
.LBB1429_533:                           ;   in Loop: Header=BB1429_390 Depth=2
	s_or_b32 exec_lo, exec_lo, s22
	s_and_saveexec_b32 s22, s36
	s_cbranch_execnz .LBB1429_598
.LBB1429_534:                           ;   in Loop: Header=BB1429_390 Depth=2
	s_or_b32 exec_lo, exec_lo, s22
	s_and_saveexec_b32 s22, s37
	s_cbranch_execnz .LBB1429_599
.LBB1429_535:                           ;   in Loop: Header=BB1429_390 Depth=2
	s_or_b32 exec_lo, exec_lo, s22
	s_and_saveexec_b32 s22, s38
	s_cbranch_execz .LBB1429_537
.LBB1429_536:                           ;   in Loop: Header=BB1429_390 Depth=2
	v_lshlrev_b32_e32 v3, 2, v132
	v_add_nc_u32_e32 v37, v66, v41
	ds_read_b32 v3, v3
	ds_read_b64 v[37:38], v37 offset:31232
	s_waitcnt lgkmcnt(1)
	v_add_nc_u32_e32 v3, v3, v58
	v_lshlrev_b64 v[39:40], 3, v[3:4]
	v_add_co_u32 v39, vcc_lo, s50, v39
	v_add_co_ci_u32_e64 v40, null, s51, v40, vcc_lo
	s_waitcnt lgkmcnt(0)
	global_store_dwordx2 v[39:40], v[37:38], off
.LBB1429_537:                           ;   in Loop: Header=BB1429_390 Depth=2
	s_or_b32 exec_lo, exec_lo, s22
	s_waitcnt_vscnt null, 0x0
	s_barrier
	buffer_gl0_inv
	s_and_saveexec_b32 s22, s7
	s_cbranch_execz .LBB1429_389
; %bb.538:                              ;   in Loop: Header=BB1429_390 Depth=2
	ds_read_b32 v3, v41
	s_waitcnt lgkmcnt(0)
	v_add3_u32 v3, v144, v149, v3
	ds_write_b32 v41, v3
	s_branch .LBB1429_389
.LBB1429_539:                           ;   in Loop: Header=BB1429_390 Depth=2
	ds_read_b32 v151, v66 offset:512
	s_waitcnt lgkmcnt(0)
	v_cmp_ne_u32_e64 s22, 0x7fffffff, v151
	v_cndmask_b32_e64 v3, 0x80000000, v151, s22
	v_cmp_lt_i32_e64 s22, -1, v151
	v_lshrrev_b32_e32 v3, s52, v3
	v_cndmask_b32_e64 v154, 0x80000000, -1, s22
	v_and_b32_e32 v3, s61, v3
	v_lshlrev_b32_e32 v3, 2, v3
	ds_read_b32 v3, v3
	s_waitcnt lgkmcnt(0)
	v_add_nc_u32_e32 v3, v3, v0
	v_lshlrev_b64 v[37:38], 2, v[3:4]
	v_xor_b32_e32 v3, v154, v151
	v_add_co_u32 v37, s22, s44, v37
	v_add_co_ci_u32_e64 v38, null, s45, v38, s22
	global_store_dword v[37:38], v3, off
	s_or_b32 exec_lo, exec_lo, s23
	v_cmp_lt_u32_e64 s22, v42, v150
	s_and_saveexec_b32 s24, s22
	s_cbranch_execz .LBB1429_472
.LBB1429_540:                           ;   in Loop: Header=BB1429_390 Depth=2
	ds_read_b32 v151, v66 offset:1536
	s_waitcnt lgkmcnt(0)
	v_cmp_ne_u32_e64 s23, 0x7fffffff, v151
	v_cndmask_b32_e64 v3, 0x80000000, v151, s23
	v_cmp_lt_i32_e64 s23, -1, v151
	v_lshrrev_b32_e32 v3, s52, v3
	v_cndmask_b32_e64 v154, 0x80000000, -1, s23
	v_and_b32_e32 v3, s61, v3
	v_lshlrev_b32_e32 v3, 2, v3
	ds_read_b32 v3, v3
	s_waitcnt lgkmcnt(0)
	v_add_nc_u32_e32 v3, v3, v42
	v_lshlrev_b64 v[37:38], 2, v[3:4]
	v_xor_b32_e32 v3, v154, v151
	v_add_co_u32 v37, s23, s44, v37
	v_add_co_ci_u32_e64 v38, null, s45, v38, s23
	global_store_dword v[37:38], v3, off
	s_or_b32 exec_lo, exec_lo, s24
	v_cmp_lt_u32_e64 s23, v45, v150
	s_and_saveexec_b32 s25, s23
	s_cbranch_execz .LBB1429_473
.LBB1429_541:                           ;   in Loop: Header=BB1429_390 Depth=2
	ds_read_b32 v151, v66 offset:2560
	s_waitcnt lgkmcnt(0)
	v_cmp_ne_u32_e64 s24, 0x7fffffff, v151
	v_cndmask_b32_e64 v3, 0x80000000, v151, s24
	v_cmp_lt_i32_e64 s24, -1, v151
	v_lshrrev_b32_e32 v3, s52, v3
	v_cndmask_b32_e64 v154, 0x80000000, -1, s24
	v_and_b32_e32 v3, s61, v3
	v_lshlrev_b32_e32 v3, 2, v3
	ds_read_b32 v3, v3
	s_waitcnt lgkmcnt(0)
	v_add_nc_u32_e32 v3, v3, v45
	v_lshlrev_b64 v[37:38], 2, v[3:4]
	v_xor_b32_e32 v3, v154, v151
	v_add_co_u32 v37, s24, s44, v37
	v_add_co_ci_u32_e64 v38, null, s45, v38, s24
	global_store_dword v[37:38], v3, off
	s_or_b32 exec_lo, exec_lo, s25
	v_cmp_lt_u32_e64 s24, v46, v150
	s_and_saveexec_b32 s26, s24
	s_cbranch_execz .LBB1429_474
.LBB1429_542:                           ;   in Loop: Header=BB1429_390 Depth=2
	ds_read_b32 v151, v66 offset:3584
	s_waitcnt lgkmcnt(0)
	v_cmp_ne_u32_e64 s25, 0x7fffffff, v151
	v_cndmask_b32_e64 v3, 0x80000000, v151, s25
	v_cmp_lt_i32_e64 s25, -1, v151
	v_lshrrev_b32_e32 v3, s52, v3
	v_cndmask_b32_e64 v154, 0x80000000, -1, s25
	v_and_b32_e32 v3, s61, v3
	v_lshlrev_b32_e32 v3, 2, v3
	ds_read_b32 v3, v3
	s_waitcnt lgkmcnt(0)
	v_add_nc_u32_e32 v3, v3, v46
	v_lshlrev_b64 v[37:38], 2, v[3:4]
	v_xor_b32_e32 v3, v154, v151
	v_add_co_u32 v37, s25, s44, v37
	v_add_co_ci_u32_e64 v38, null, s45, v38, s25
	global_store_dword v[37:38], v3, off
	s_or_b32 exec_lo, exec_lo, s26
	v_cmp_lt_u32_e64 s25, v47, v150
	s_and_saveexec_b32 s28, s25
	s_cbranch_execz .LBB1429_475
.LBB1429_543:                           ;   in Loop: Header=BB1429_390 Depth=2
	ds_read_b32 v151, v66 offset:4608
	s_waitcnt lgkmcnt(0)
	v_cmp_ne_u32_e64 s26, 0x7fffffff, v151
	v_cndmask_b32_e64 v3, 0x80000000, v151, s26
	v_cmp_lt_i32_e64 s26, -1, v151
	v_lshrrev_b32_e32 v3, s52, v3
	v_cndmask_b32_e64 v154, 0x80000000, -1, s26
	v_and_b32_e32 v3, s61, v3
	v_lshlrev_b32_e32 v3, 2, v3
	ds_read_b32 v3, v3
	s_waitcnt lgkmcnt(0)
	v_add_nc_u32_e32 v3, v3, v47
	v_lshlrev_b64 v[37:38], 2, v[3:4]
	v_xor_b32_e32 v3, v154, v151
	v_add_co_u32 v37, s26, s44, v37
	v_add_co_ci_u32_e64 v38, null, s45, v38, s26
	global_store_dword v[37:38], v3, off
	s_or_b32 exec_lo, exec_lo, s28
	v_cmp_lt_u32_e64 s26, v48, v150
	s_and_saveexec_b32 s29, s26
	s_cbranch_execz .LBB1429_476
.LBB1429_544:                           ;   in Loop: Header=BB1429_390 Depth=2
	ds_read_b32 v151, v66 offset:5632
	s_waitcnt lgkmcnt(0)
	v_cmp_ne_u32_e64 s28, 0x7fffffff, v151
	v_cndmask_b32_e64 v3, 0x80000000, v151, s28
	v_cmp_lt_i32_e64 s28, -1, v151
	v_lshrrev_b32_e32 v3, s52, v3
	v_cndmask_b32_e64 v154, 0x80000000, -1, s28
	v_and_b32_e32 v3, s61, v3
	v_lshlrev_b32_e32 v3, 2, v3
	ds_read_b32 v3, v3
	s_waitcnt lgkmcnt(0)
	v_add_nc_u32_e32 v3, v3, v48
	v_lshlrev_b64 v[37:38], 2, v[3:4]
	v_xor_b32_e32 v3, v154, v151
	v_add_co_u32 v37, s28, s44, v37
	v_add_co_ci_u32_e64 v38, null, s45, v38, s28
	global_store_dword v[37:38], v3, off
	s_or_b32 exec_lo, exec_lo, s29
	v_cmp_lt_u32_e64 s28, v49, v150
	s_and_saveexec_b32 s30, s28
	s_cbranch_execz .LBB1429_477
.LBB1429_545:                           ;   in Loop: Header=BB1429_390 Depth=2
	ds_read_b32 v151, v66 offset:6656
	s_waitcnt lgkmcnt(0)
	v_cmp_ne_u32_e64 s29, 0x7fffffff, v151
	v_cndmask_b32_e64 v3, 0x80000000, v151, s29
	v_cmp_lt_i32_e64 s29, -1, v151
	v_lshrrev_b32_e32 v3, s52, v3
	v_cndmask_b32_e64 v154, 0x80000000, -1, s29
	v_and_b32_e32 v3, s61, v3
	v_lshlrev_b32_e32 v3, 2, v3
	ds_read_b32 v3, v3
	s_waitcnt lgkmcnt(0)
	v_add_nc_u32_e32 v3, v3, v49
	v_lshlrev_b64 v[37:38], 2, v[3:4]
	v_xor_b32_e32 v3, v154, v151
	v_add_co_u32 v37, s29, s44, v37
	v_add_co_ci_u32_e64 v38, null, s45, v38, s29
	global_store_dword v[37:38], v3, off
	s_or_b32 exec_lo, exec_lo, s30
	v_cmp_lt_u32_e64 s29, v50, v150
	s_and_saveexec_b32 s31, s29
	s_cbranch_execz .LBB1429_478
.LBB1429_546:                           ;   in Loop: Header=BB1429_390 Depth=2
	ds_read_b32 v151, v66 offset:7680
	s_waitcnt lgkmcnt(0)
	v_cmp_ne_u32_e64 s30, 0x7fffffff, v151
	v_cndmask_b32_e64 v3, 0x80000000, v151, s30
	v_cmp_lt_i32_e64 s30, -1, v151
	v_lshrrev_b32_e32 v3, s52, v3
	v_cndmask_b32_e64 v154, 0x80000000, -1, s30
	v_and_b32_e32 v3, s61, v3
	v_lshlrev_b32_e32 v3, 2, v3
	ds_read_b32 v3, v3
	s_waitcnt lgkmcnt(0)
	v_add_nc_u32_e32 v3, v3, v50
	v_lshlrev_b64 v[37:38], 2, v[3:4]
	v_xor_b32_e32 v3, v154, v151
	v_add_co_u32 v37, s30, s44, v37
	v_add_co_ci_u32_e64 v38, null, s45, v38, s30
	global_store_dword v[37:38], v3, off
	s_or_b32 exec_lo, exec_lo, s31
	v_cmp_lt_u32_e64 s30, v51, v150
	s_and_saveexec_b32 s33, s30
	s_cbranch_execz .LBB1429_479
.LBB1429_547:                           ;   in Loop: Header=BB1429_390 Depth=2
	ds_read_b32 v151, v66 offset:8704
	s_waitcnt lgkmcnt(0)
	v_cmp_ne_u32_e64 s31, 0x7fffffff, v151
	v_cndmask_b32_e64 v3, 0x80000000, v151, s31
	v_cmp_lt_i32_e64 s31, -1, v151
	v_lshrrev_b32_e32 v3, s52, v3
	v_cndmask_b32_e64 v154, 0x80000000, -1, s31
	v_and_b32_e32 v3, s61, v3
	v_lshlrev_b32_e32 v3, 2, v3
	ds_read_b32 v3, v3
	s_waitcnt lgkmcnt(0)
	v_add_nc_u32_e32 v3, v3, v51
	v_lshlrev_b64 v[37:38], 2, v[3:4]
	v_xor_b32_e32 v3, v154, v151
	v_add_co_u32 v37, s31, s44, v37
	v_add_co_ci_u32_e64 v38, null, s45, v38, s31
	global_store_dword v[37:38], v3, off
	s_or_b32 exec_lo, exec_lo, s33
	v_cmp_lt_u32_e64 s31, v52, v150
	s_and_saveexec_b32 s34, s31
	s_cbranch_execz .LBB1429_480
.LBB1429_548:                           ;   in Loop: Header=BB1429_390 Depth=2
	ds_read_b32 v151, v66 offset:9728
	s_waitcnt lgkmcnt(0)
	v_cmp_ne_u32_e64 s33, 0x7fffffff, v151
	v_cndmask_b32_e64 v3, 0x80000000, v151, s33
	v_cmp_lt_i32_e64 s33, -1, v151
	v_lshrrev_b32_e32 v3, s52, v3
	v_cndmask_b32_e64 v154, 0x80000000, -1, s33
	v_and_b32_e32 v3, s61, v3
	v_lshlrev_b32_e32 v3, 2, v3
	ds_read_b32 v3, v3
	s_waitcnt lgkmcnt(0)
	v_add_nc_u32_e32 v3, v3, v52
	v_lshlrev_b64 v[37:38], 2, v[3:4]
	v_xor_b32_e32 v3, v154, v151
	v_add_co_u32 v37, s33, s44, v37
	v_add_co_ci_u32_e64 v38, null, s45, v38, s33
	global_store_dword v[37:38], v3, off
	s_or_b32 exec_lo, exec_lo, s34
	v_cmp_lt_u32_e64 s33, v53, v150
	s_and_saveexec_b32 s35, s33
	s_cbranch_execz .LBB1429_481
.LBB1429_549:                           ;   in Loop: Header=BB1429_390 Depth=2
	ds_read_b32 v151, v66 offset:10752
	s_waitcnt lgkmcnt(0)
	v_cmp_ne_u32_e64 s34, 0x7fffffff, v151
	v_cndmask_b32_e64 v3, 0x80000000, v151, s34
	v_cmp_lt_i32_e64 s34, -1, v151
	v_lshrrev_b32_e32 v3, s52, v3
	v_cndmask_b32_e64 v154, 0x80000000, -1, s34
	v_and_b32_e32 v3, s61, v3
	v_lshlrev_b32_e32 v3, 2, v3
	ds_read_b32 v3, v3
	s_waitcnt lgkmcnt(0)
	v_add_nc_u32_e32 v3, v3, v53
	v_lshlrev_b64 v[37:38], 2, v[3:4]
	v_xor_b32_e32 v3, v154, v151
	v_add_co_u32 v37, s34, s44, v37
	v_add_co_ci_u32_e64 v38, null, s45, v38, s34
	global_store_dword v[37:38], v3, off
	s_or_b32 exec_lo, exec_lo, s35
	v_cmp_lt_u32_e64 s34, v54, v150
	s_and_saveexec_b32 s36, s34
	s_cbranch_execz .LBB1429_482
.LBB1429_550:                           ;   in Loop: Header=BB1429_390 Depth=2
	ds_read_b32 v151, v66 offset:11776
	s_waitcnt lgkmcnt(0)
	v_cmp_ne_u32_e64 s35, 0x7fffffff, v151
	v_cndmask_b32_e64 v3, 0x80000000, v151, s35
	v_cmp_lt_i32_e64 s35, -1, v151
	v_lshrrev_b32_e32 v3, s52, v3
	v_cndmask_b32_e64 v154, 0x80000000, -1, s35
	v_and_b32_e32 v3, s61, v3
	v_lshlrev_b32_e32 v3, 2, v3
	ds_read_b32 v3, v3
	s_waitcnt lgkmcnt(0)
	v_add_nc_u32_e32 v3, v3, v54
	v_lshlrev_b64 v[37:38], 2, v[3:4]
	v_xor_b32_e32 v3, v154, v151
	v_add_co_u32 v37, s35, s44, v37
	v_add_co_ci_u32_e64 v38, null, s45, v38, s35
	global_store_dword v[37:38], v3, off
	s_or_b32 exec_lo, exec_lo, s36
	v_cmp_lt_u32_e64 s35, v55, v150
	s_and_saveexec_b32 s37, s35
	s_cbranch_execz .LBB1429_483
.LBB1429_551:                           ;   in Loop: Header=BB1429_390 Depth=2
	ds_read_b32 v151, v66 offset:12800
	s_waitcnt lgkmcnt(0)
	v_cmp_ne_u32_e64 s36, 0x7fffffff, v151
	v_cndmask_b32_e64 v3, 0x80000000, v151, s36
	v_cmp_lt_i32_e64 s36, -1, v151
	v_lshrrev_b32_e32 v3, s52, v3
	v_cndmask_b32_e64 v154, 0x80000000, -1, s36
	v_and_b32_e32 v3, s61, v3
	v_lshlrev_b32_e32 v3, 2, v3
	ds_read_b32 v3, v3
	s_waitcnt lgkmcnt(0)
	v_add_nc_u32_e32 v3, v3, v55
	v_lshlrev_b64 v[37:38], 2, v[3:4]
	v_xor_b32_e32 v3, v154, v151
	v_add_co_u32 v37, s36, s44, v37
	v_add_co_ci_u32_e64 v38, null, s45, v38, s36
	global_store_dword v[37:38], v3, off
	s_or_b32 exec_lo, exec_lo, s37
	v_cmp_lt_u32_e64 s36, v56, v150
	s_and_saveexec_b32 s38, s36
	s_cbranch_execz .LBB1429_484
.LBB1429_552:                           ;   in Loop: Header=BB1429_390 Depth=2
	ds_read_b32 v151, v66 offset:13824
	s_waitcnt lgkmcnt(0)
	v_cmp_ne_u32_e64 s37, 0x7fffffff, v151
	v_cndmask_b32_e64 v3, 0x80000000, v151, s37
	v_cmp_lt_i32_e64 s37, -1, v151
	v_lshrrev_b32_e32 v3, s52, v3
	v_cndmask_b32_e64 v154, 0x80000000, -1, s37
	v_and_b32_e32 v3, s61, v3
	v_lshlrev_b32_e32 v3, 2, v3
	ds_read_b32 v3, v3
	s_waitcnt lgkmcnt(0)
	v_add_nc_u32_e32 v3, v3, v56
	v_lshlrev_b64 v[37:38], 2, v[3:4]
	v_xor_b32_e32 v3, v154, v151
	v_add_co_u32 v37, s37, s44, v37
	v_add_co_ci_u32_e64 v38, null, s45, v38, s37
	global_store_dword v[37:38], v3, off
	s_or_b32 exec_lo, exec_lo, s38
	v_cmp_lt_u32_e64 s37, v57, v150
	s_and_saveexec_b32 s39, s37
	s_cbranch_execz .LBB1429_485
.LBB1429_553:                           ;   in Loop: Header=BB1429_390 Depth=2
	ds_read_b32 v151, v66 offset:14848
	s_waitcnt lgkmcnt(0)
	v_cmp_ne_u32_e64 s38, 0x7fffffff, v151
	v_cndmask_b32_e64 v3, 0x80000000, v151, s38
	v_cmp_lt_i32_e64 s38, -1, v151
	v_lshrrev_b32_e32 v3, s52, v3
	v_cndmask_b32_e64 v154, 0x80000000, -1, s38
	v_and_b32_e32 v3, s61, v3
	v_lshlrev_b32_e32 v3, 2, v3
	ds_read_b32 v3, v3
	s_waitcnt lgkmcnt(0)
	v_add_nc_u32_e32 v3, v3, v57
	v_lshlrev_b64 v[37:38], 2, v[3:4]
	v_xor_b32_e32 v3, v154, v151
	v_add_co_u32 v37, s38, s44, v37
	v_add_co_ci_u32_e64 v38, null, s45, v38, s38
	global_store_dword v[37:38], v3, off
	s_or_b32 exec_lo, exec_lo, s39
	v_cmp_lt_u32_e64 s38, v58, v150
	s_and_saveexec_b32 s64, s38
	s_cbranch_execnz .LBB1429_486
	s_branch .LBB1429_487
.LBB1429_554:                           ;   in Loop: Header=BB1429_390 Depth=2
	global_load_dwordx2 v[35:36], v[37:38], off
	s_or_b32 exec_lo, exec_lo, s39
	s_mov_b32 s46, exec_lo
	v_cmpx_lt_u32_e64 v108, v150
	s_cbranch_execz .LBB1429_489
.LBB1429_555:                           ;   in Loop: Header=BB1429_390 Depth=2
	global_load_dwordx2 v[33:34], v[37:38], off offset:256
	s_or_b32 exec_lo, exec_lo, s46
	s_mov_b32 s46, exec_lo
	v_cmpx_lt_u32_e64 v109, v150
	s_cbranch_execz .LBB1429_490
.LBB1429_556:                           ;   in Loop: Header=BB1429_390 Depth=2
	global_load_dwordx2 v[31:32], v[37:38], off offset:512
	s_or_b32 exec_lo, exec_lo, s46
	s_mov_b32 s46, exec_lo
	v_cmpx_lt_u32_e64 v110, v150
	s_cbranch_execz .LBB1429_491
.LBB1429_557:                           ;   in Loop: Header=BB1429_390 Depth=2
	global_load_dwordx2 v[29:30], v[37:38], off offset:768
	s_or_b32 exec_lo, exec_lo, s46
	s_mov_b32 s46, exec_lo
	v_cmpx_lt_u32_e64 v111, v150
	s_cbranch_execz .LBB1429_492
.LBB1429_558:                           ;   in Loop: Header=BB1429_390 Depth=2
	global_load_dwordx2 v[27:28], v[37:38], off offset:1024
	s_or_b32 exec_lo, exec_lo, s46
	s_mov_b32 s46, exec_lo
	v_cmpx_lt_u32_e64 v112, v150
	s_cbranch_execz .LBB1429_493
.LBB1429_559:                           ;   in Loop: Header=BB1429_390 Depth=2
	global_load_dwordx2 v[23:24], v[37:38], off offset:1280
	s_or_b32 exec_lo, exec_lo, s46
	s_mov_b32 s46, exec_lo
	v_cmpx_lt_u32_e64 v113, v150
	s_cbranch_execz .LBB1429_494
.LBB1429_560:                           ;   in Loop: Header=BB1429_390 Depth=2
	global_load_dwordx2 v[19:20], v[37:38], off offset:1536
	s_or_b32 exec_lo, exec_lo, s46
	s_mov_b32 s46, exec_lo
	v_cmpx_lt_u32_e64 v114, v150
	s_cbranch_execz .LBB1429_495
.LBB1429_561:                           ;   in Loop: Header=BB1429_390 Depth=2
	global_load_dwordx2 v[15:16], v[37:38], off offset:1792
	s_or_b32 exec_lo, exec_lo, s46
	s_mov_b32 s46, exec_lo
	v_cmpx_lt_u32_e64 v115, v150
	s_cbranch_execz .LBB1429_496
.LBB1429_562:                           ;   in Loop: Header=BB1429_390 Depth=2
	v_add_co_u32 v25, s39, 0x800, v37
	v_add_co_ci_u32_e64 v26, null, 0, v38, s39
	global_load_dwordx2 v[25:26], v[25:26], off
	s_or_b32 exec_lo, exec_lo, s46
	s_mov_b32 s46, exec_lo
	v_cmpx_lt_u32_e64 v116, v150
	s_cbranch_execz .LBB1429_497
.LBB1429_563:                           ;   in Loop: Header=BB1429_390 Depth=2
	v_add_co_u32 v21, s39, 0x800, v37
	v_add_co_ci_u32_e64 v22, null, 0, v38, s39
	global_load_dwordx2 v[21:22], v[21:22], off offset:256
	s_or_b32 exec_lo, exec_lo, s46
	s_mov_b32 s46, exec_lo
	v_cmpx_lt_u32_e64 v117, v150
	s_cbranch_execz .LBB1429_498
.LBB1429_564:                           ;   in Loop: Header=BB1429_390 Depth=2
	v_add_co_u32 v17, s39, 0x800, v37
	v_add_co_ci_u32_e64 v18, null, 0, v38, s39
	global_load_dwordx2 v[17:18], v[17:18], off offset:512
	s_or_b32 exec_lo, exec_lo, s46
	s_mov_b32 s46, exec_lo
	v_cmpx_lt_u32_e64 v118, v150
	s_cbranch_execz .LBB1429_499
.LBB1429_565:                           ;   in Loop: Header=BB1429_390 Depth=2
	v_add_co_u32 v13, s39, 0x800, v37
	v_add_co_ci_u32_e64 v14, null, 0, v38, s39
	global_load_dwordx2 v[13:14], v[13:14], off offset:768
	s_or_b32 exec_lo, exec_lo, s46
	s_mov_b32 s46, exec_lo
	v_cmpx_lt_u32_e64 v119, v150
	s_cbranch_execz .LBB1429_500
.LBB1429_566:                           ;   in Loop: Header=BB1429_390 Depth=2
	v_add_co_u32 v11, s39, 0x800, v37
	v_add_co_ci_u32_e64 v12, null, 0, v38, s39
	global_load_dwordx2 v[11:12], v[11:12], off offset:1024
	s_or_b32 exec_lo, exec_lo, s46
	s_mov_b32 s46, exec_lo
	v_cmpx_lt_u32_e64 v121, v150
	s_cbranch_execz .LBB1429_501
.LBB1429_567:                           ;   in Loop: Header=BB1429_390 Depth=2
	v_add_co_u32 v9, s39, 0x800, v37
	v_add_co_ci_u32_e64 v10, null, 0, v38, s39
	global_load_dwordx2 v[9:10], v[9:10], off offset:1280
	s_or_b32 exec_lo, exec_lo, s46
	s_mov_b32 s46, exec_lo
	v_cmpx_lt_u32_e64 v122, v150
	s_cbranch_execz .LBB1429_502
.LBB1429_568:                           ;   in Loop: Header=BB1429_390 Depth=2
	v_add_co_u32 v7, s39, 0x800, v37
	v_add_co_ci_u32_e64 v8, null, 0, v38, s39
	global_load_dwordx2 v[7:8], v[7:8], off offset:1536
	s_or_b32 exec_lo, exec_lo, s46
	s_mov_b32 s46, exec_lo
	v_cmpx_lt_u32_e64 v123, v150
	s_cbranch_execz .LBB1429_503
.LBB1429_569:                           ;   in Loop: Header=BB1429_390 Depth=2
	v_add_co_u32 v5, s39, 0x800, v37
	v_add_co_ci_u32_e64 v6, null, 0, v38, s39
	global_load_dwordx2 v[5:6], v[5:6], off offset:1792
	s_or_b32 exec_lo, exec_lo, s46
	s_and_saveexec_b32 s46, vcc_lo
	s_cbranch_execz .LBB1429_504
.LBB1429_570:                           ;   in Loop: Header=BB1429_390 Depth=2
	ds_read_b32 v3, v66 offset:512
	s_waitcnt lgkmcnt(0)
	v_cmp_ne_u32_e64 s39, 0x7fffffff, v3
	v_cndmask_b32_e64 v3, 0x80000000, v3, s39
	v_lshrrev_b32_e32 v3, s52, v3
	v_and_b32_e32 v148, s61, v3
	s_or_b32 exec_lo, exec_lo, s46
	s_and_saveexec_b32 s46, s22
	s_cbranch_execz .LBB1429_505
.LBB1429_571:                           ;   in Loop: Header=BB1429_390 Depth=2
	ds_read_b32 v3, v66 offset:1536
	s_waitcnt lgkmcnt(0)
	v_cmp_ne_u32_e64 s39, 0x7fffffff, v3
	v_cndmask_b32_e64 v3, 0x80000000, v3, s39
	v_lshrrev_b32_e32 v3, s52, v3
	v_and_b32_e32 v147, s61, v3
	s_or_b32 exec_lo, exec_lo, s46
	s_and_saveexec_b32 s46, s23
	s_cbranch_execz .LBB1429_506
.LBB1429_572:                           ;   in Loop: Header=BB1429_390 Depth=2
	ds_read_b32 v3, v66 offset:2560
	s_waitcnt lgkmcnt(0)
	v_cmp_ne_u32_e64 s39, 0x7fffffff, v3
	v_cndmask_b32_e64 v3, 0x80000000, v3, s39
	v_lshrrev_b32_e32 v3, s52, v3
	v_and_b32_e32 v146, s61, v3
	s_or_b32 exec_lo, exec_lo, s46
	s_and_saveexec_b32 s46, s24
	s_cbranch_execz .LBB1429_507
.LBB1429_573:                           ;   in Loop: Header=BB1429_390 Depth=2
	ds_read_b32 v3, v66 offset:3584
	s_waitcnt lgkmcnt(0)
	v_cmp_ne_u32_e64 s39, 0x7fffffff, v3
	v_cndmask_b32_e64 v3, 0x80000000, v3, s39
	v_lshrrev_b32_e32 v3, s52, v3
	v_and_b32_e32 v145, s61, v3
	s_or_b32 exec_lo, exec_lo, s46
	s_and_saveexec_b32 s46, s25
	s_cbranch_execz .LBB1429_508
.LBB1429_574:                           ;   in Loop: Header=BB1429_390 Depth=2
	ds_read_b32 v3, v66 offset:4608
	s_waitcnt lgkmcnt(0)
	v_cmp_ne_u32_e64 s39, 0x7fffffff, v3
	v_cndmask_b32_e64 v3, 0x80000000, v3, s39
	v_lshrrev_b32_e32 v3, s52, v3
	v_and_b32_e32 v143, s61, v3
	s_or_b32 exec_lo, exec_lo, s46
	s_and_saveexec_b32 s46, s26
	s_cbranch_execz .LBB1429_509
.LBB1429_575:                           ;   in Loop: Header=BB1429_390 Depth=2
	ds_read_b32 v3, v66 offset:5632
	s_waitcnt lgkmcnt(0)
	v_cmp_ne_u32_e64 s39, 0x7fffffff, v3
	v_cndmask_b32_e64 v3, 0x80000000, v3, s39
	v_lshrrev_b32_e32 v3, s52, v3
	v_and_b32_e32 v142, s61, v3
	s_or_b32 exec_lo, exec_lo, s46
	s_and_saveexec_b32 s46, s28
	s_cbranch_execz .LBB1429_510
.LBB1429_576:                           ;   in Loop: Header=BB1429_390 Depth=2
	ds_read_b32 v3, v66 offset:6656
	s_waitcnt lgkmcnt(0)
	v_cmp_ne_u32_e64 s39, 0x7fffffff, v3
	v_cndmask_b32_e64 v3, 0x80000000, v3, s39
	v_lshrrev_b32_e32 v3, s52, v3
	v_and_b32_e32 v141, s61, v3
	s_or_b32 exec_lo, exec_lo, s46
	s_and_saveexec_b32 s46, s29
	s_cbranch_execz .LBB1429_511
.LBB1429_577:                           ;   in Loop: Header=BB1429_390 Depth=2
	ds_read_b32 v3, v66 offset:7680
	s_waitcnt lgkmcnt(0)
	v_cmp_ne_u32_e64 s39, 0x7fffffff, v3
	v_cndmask_b32_e64 v3, 0x80000000, v3, s39
	v_lshrrev_b32_e32 v3, s52, v3
	v_and_b32_e32 v140, s61, v3
	s_or_b32 exec_lo, exec_lo, s46
	s_and_saveexec_b32 s46, s30
	s_cbranch_execz .LBB1429_512
.LBB1429_578:                           ;   in Loop: Header=BB1429_390 Depth=2
	ds_read_b32 v3, v66 offset:8704
	s_waitcnt lgkmcnt(0)
	v_cmp_ne_u32_e64 s39, 0x7fffffff, v3
	v_cndmask_b32_e64 v3, 0x80000000, v3, s39
	v_lshrrev_b32_e32 v3, s52, v3
	v_and_b32_e32 v139, s61, v3
	s_or_b32 exec_lo, exec_lo, s46
	s_and_saveexec_b32 s46, s31
	s_cbranch_execz .LBB1429_513
.LBB1429_579:                           ;   in Loop: Header=BB1429_390 Depth=2
	ds_read_b32 v3, v66 offset:9728
	s_waitcnt lgkmcnt(0)
	v_cmp_ne_u32_e64 s39, 0x7fffffff, v3
	v_cndmask_b32_e64 v3, 0x80000000, v3, s39
	v_lshrrev_b32_e32 v3, s52, v3
	v_and_b32_e32 v138, s61, v3
	s_or_b32 exec_lo, exec_lo, s46
	s_and_saveexec_b32 s46, s33
	s_cbranch_execz .LBB1429_514
.LBB1429_580:                           ;   in Loop: Header=BB1429_390 Depth=2
	ds_read_b32 v3, v66 offset:10752
	s_waitcnt lgkmcnt(0)
	v_cmp_ne_u32_e64 s39, 0x7fffffff, v3
	v_cndmask_b32_e64 v3, 0x80000000, v3, s39
	v_lshrrev_b32_e32 v3, s52, v3
	v_and_b32_e32 v137, s61, v3
	s_or_b32 exec_lo, exec_lo, s46
	s_and_saveexec_b32 s46, s34
	s_cbranch_execz .LBB1429_515
.LBB1429_581:                           ;   in Loop: Header=BB1429_390 Depth=2
	ds_read_b32 v3, v66 offset:11776
	s_waitcnt lgkmcnt(0)
	v_cmp_ne_u32_e64 s39, 0x7fffffff, v3
	v_cndmask_b32_e64 v3, 0x80000000, v3, s39
	v_lshrrev_b32_e32 v3, s52, v3
	v_and_b32_e32 v136, s61, v3
	s_or_b32 exec_lo, exec_lo, s46
	s_and_saveexec_b32 s46, s35
	s_cbranch_execz .LBB1429_516
.LBB1429_582:                           ;   in Loop: Header=BB1429_390 Depth=2
	ds_read_b32 v3, v66 offset:12800
	s_waitcnt lgkmcnt(0)
	v_cmp_ne_u32_e64 s39, 0x7fffffff, v3
	v_cndmask_b32_e64 v3, 0x80000000, v3, s39
	v_lshrrev_b32_e32 v3, s52, v3
	v_and_b32_e32 v135, s61, v3
	s_or_b32 exec_lo, exec_lo, s46
	s_and_saveexec_b32 s46, s36
	s_cbranch_execz .LBB1429_517
.LBB1429_583:                           ;   in Loop: Header=BB1429_390 Depth=2
	ds_read_b32 v3, v66 offset:13824
	s_waitcnt lgkmcnt(0)
	v_cmp_ne_u32_e64 s39, 0x7fffffff, v3
	v_cndmask_b32_e64 v3, 0x80000000, v3, s39
	v_lshrrev_b32_e32 v3, s52, v3
	v_and_b32_e32 v134, s61, v3
	s_or_b32 exec_lo, exec_lo, s46
	s_and_saveexec_b32 s46, s37
	s_cbranch_execz .LBB1429_518
.LBB1429_584:                           ;   in Loop: Header=BB1429_390 Depth=2
	ds_read_b32 v3, v66 offset:14848
	s_waitcnt lgkmcnt(0)
	v_cmp_ne_u32_e64 s39, 0x7fffffff, v3
	v_cndmask_b32_e64 v3, 0x80000000, v3, s39
	v_lshrrev_b32_e32 v3, s52, v3
	v_and_b32_e32 v133, s61, v3
	s_or_b32 exec_lo, exec_lo, s46
	s_and_saveexec_b32 s46, s38
	s_cbranch_execnz .LBB1429_519
	s_branch .LBB1429_520
.LBB1429_585:                           ;   in Loop: Header=BB1429_390 Depth=2
	v_lshlrev_b32_e32 v3, 2, v148
	v_add_nc_u32_e32 v37, v66, v41
	ds_read_b32 v3, v3
	ds_read_b64 v[37:38], v37 offset:512
	s_waitcnt lgkmcnt(1)
	v_add_nc_u32_e32 v3, v3, v0
	v_lshlrev_b64 v[39:40], 3, v[3:4]
	v_add_co_u32 v39, vcc_lo, s50, v39
	v_add_co_ci_u32_e64 v40, null, s51, v40, vcc_lo
	s_waitcnt lgkmcnt(0)
	global_store_dwordx2 v[39:40], v[37:38], off
	s_or_b32 exec_lo, exec_lo, s39
	s_and_saveexec_b32 s39, s22
	s_cbranch_execz .LBB1429_522
.LBB1429_586:                           ;   in Loop: Header=BB1429_390 Depth=2
	v_lshlrev_b32_e32 v3, 2, v147
	v_add_nc_u32_e32 v37, v66, v41
	ds_read_b32 v3, v3
	ds_read_b64 v[37:38], v37 offset:2560
	s_waitcnt lgkmcnt(1)
	v_add_nc_u32_e32 v3, v3, v42
	v_lshlrev_b64 v[39:40], 3, v[3:4]
	v_add_co_u32 v39, vcc_lo, s50, v39
	v_add_co_ci_u32_e64 v40, null, s51, v40, vcc_lo
	s_waitcnt lgkmcnt(0)
	global_store_dwordx2 v[39:40], v[37:38], off
	s_or_b32 exec_lo, exec_lo, s39
	s_and_saveexec_b32 s22, s23
	s_cbranch_execz .LBB1429_523
.LBB1429_587:                           ;   in Loop: Header=BB1429_390 Depth=2
	v_lshlrev_b32_e32 v3, 2, v146
	v_add_nc_u32_e32 v37, v66, v41
	ds_read_b32 v3, v3
	ds_read_b64 v[37:38], v37 offset:4608
	s_waitcnt lgkmcnt(1)
	v_add_nc_u32_e32 v3, v3, v45
	v_lshlrev_b64 v[39:40], 3, v[3:4]
	v_add_co_u32 v39, vcc_lo, s50, v39
	v_add_co_ci_u32_e64 v40, null, s51, v40, vcc_lo
	s_waitcnt lgkmcnt(0)
	global_store_dwordx2 v[39:40], v[37:38], off
	s_or_b32 exec_lo, exec_lo, s22
	s_and_saveexec_b32 s22, s24
	s_cbranch_execz .LBB1429_524
.LBB1429_588:                           ;   in Loop: Header=BB1429_390 Depth=2
	v_lshlrev_b32_e32 v3, 2, v145
	v_add_nc_u32_e32 v37, v66, v41
	ds_read_b32 v3, v3
	ds_read_b64 v[37:38], v37 offset:6656
	s_waitcnt lgkmcnt(1)
	v_add_nc_u32_e32 v3, v3, v46
	v_lshlrev_b64 v[39:40], 3, v[3:4]
	v_add_co_u32 v39, vcc_lo, s50, v39
	v_add_co_ci_u32_e64 v40, null, s51, v40, vcc_lo
	s_waitcnt lgkmcnt(0)
	global_store_dwordx2 v[39:40], v[37:38], off
	s_or_b32 exec_lo, exec_lo, s22
	s_and_saveexec_b32 s22, s25
	s_cbranch_execz .LBB1429_525
.LBB1429_589:                           ;   in Loop: Header=BB1429_390 Depth=2
	v_lshlrev_b32_e32 v3, 2, v143
	v_add_nc_u32_e32 v37, v66, v41
	ds_read_b32 v3, v3
	ds_read_b64 v[37:38], v37 offset:8704
	s_waitcnt lgkmcnt(1)
	v_add_nc_u32_e32 v3, v3, v47
	v_lshlrev_b64 v[39:40], 3, v[3:4]
	v_add_co_u32 v39, vcc_lo, s50, v39
	v_add_co_ci_u32_e64 v40, null, s51, v40, vcc_lo
	s_waitcnt lgkmcnt(0)
	global_store_dwordx2 v[39:40], v[37:38], off
	s_or_b32 exec_lo, exec_lo, s22
	s_and_saveexec_b32 s22, s26
	s_cbranch_execz .LBB1429_526
.LBB1429_590:                           ;   in Loop: Header=BB1429_390 Depth=2
	v_lshlrev_b32_e32 v3, 2, v142
	v_add_nc_u32_e32 v37, v66, v41
	ds_read_b32 v3, v3
	ds_read_b64 v[37:38], v37 offset:10752
	s_waitcnt lgkmcnt(1)
	v_add_nc_u32_e32 v3, v3, v48
	v_lshlrev_b64 v[39:40], 3, v[3:4]
	v_add_co_u32 v39, vcc_lo, s50, v39
	v_add_co_ci_u32_e64 v40, null, s51, v40, vcc_lo
	s_waitcnt lgkmcnt(0)
	global_store_dwordx2 v[39:40], v[37:38], off
	s_or_b32 exec_lo, exec_lo, s22
	s_and_saveexec_b32 s22, s28
	s_cbranch_execz .LBB1429_527
.LBB1429_591:                           ;   in Loop: Header=BB1429_390 Depth=2
	v_lshlrev_b32_e32 v3, 2, v141
	v_add_nc_u32_e32 v37, v66, v41
	ds_read_b32 v3, v3
	ds_read_b64 v[37:38], v37 offset:12800
	s_waitcnt lgkmcnt(1)
	v_add_nc_u32_e32 v3, v3, v49
	v_lshlrev_b64 v[39:40], 3, v[3:4]
	v_add_co_u32 v39, vcc_lo, s50, v39
	v_add_co_ci_u32_e64 v40, null, s51, v40, vcc_lo
	s_waitcnt lgkmcnt(0)
	global_store_dwordx2 v[39:40], v[37:38], off
	s_or_b32 exec_lo, exec_lo, s22
	s_and_saveexec_b32 s22, s29
	s_cbranch_execz .LBB1429_528
.LBB1429_592:                           ;   in Loop: Header=BB1429_390 Depth=2
	v_lshlrev_b32_e32 v3, 2, v140
	v_add_nc_u32_e32 v37, v66, v41
	ds_read_b32 v3, v3
	ds_read_b64 v[37:38], v37 offset:14848
	s_waitcnt lgkmcnt(1)
	v_add_nc_u32_e32 v3, v3, v50
	v_lshlrev_b64 v[39:40], 3, v[3:4]
	v_add_co_u32 v39, vcc_lo, s50, v39
	v_add_co_ci_u32_e64 v40, null, s51, v40, vcc_lo
	s_waitcnt lgkmcnt(0)
	global_store_dwordx2 v[39:40], v[37:38], off
	s_or_b32 exec_lo, exec_lo, s22
	s_and_saveexec_b32 s22, s30
	s_cbranch_execz .LBB1429_529
.LBB1429_593:                           ;   in Loop: Header=BB1429_390 Depth=2
	v_lshlrev_b32_e32 v3, 2, v139
	v_add_nc_u32_e32 v37, v66, v41
	ds_read_b32 v3, v3
	ds_read_b64 v[37:38], v37 offset:16896
	s_waitcnt lgkmcnt(1)
	v_add_nc_u32_e32 v3, v3, v51
	v_lshlrev_b64 v[39:40], 3, v[3:4]
	v_add_co_u32 v39, vcc_lo, s50, v39
	v_add_co_ci_u32_e64 v40, null, s51, v40, vcc_lo
	s_waitcnt lgkmcnt(0)
	global_store_dwordx2 v[39:40], v[37:38], off
	s_or_b32 exec_lo, exec_lo, s22
	s_and_saveexec_b32 s22, s31
	s_cbranch_execz .LBB1429_530
.LBB1429_594:                           ;   in Loop: Header=BB1429_390 Depth=2
	v_lshlrev_b32_e32 v3, 2, v138
	v_add_nc_u32_e32 v37, v66, v41
	ds_read_b32 v3, v3
	ds_read_b64 v[37:38], v37 offset:18944
	s_waitcnt lgkmcnt(1)
	v_add_nc_u32_e32 v3, v3, v52
	v_lshlrev_b64 v[39:40], 3, v[3:4]
	v_add_co_u32 v39, vcc_lo, s50, v39
	v_add_co_ci_u32_e64 v40, null, s51, v40, vcc_lo
	s_waitcnt lgkmcnt(0)
	global_store_dwordx2 v[39:40], v[37:38], off
	s_or_b32 exec_lo, exec_lo, s22
	s_and_saveexec_b32 s22, s33
	s_cbranch_execz .LBB1429_531
.LBB1429_595:                           ;   in Loop: Header=BB1429_390 Depth=2
	v_lshlrev_b32_e32 v3, 2, v137
	v_add_nc_u32_e32 v37, v66, v41
	ds_read_b32 v3, v3
	ds_read_b64 v[37:38], v37 offset:20992
	s_waitcnt lgkmcnt(1)
	v_add_nc_u32_e32 v3, v3, v53
	v_lshlrev_b64 v[39:40], 3, v[3:4]
	v_add_co_u32 v39, vcc_lo, s50, v39
	v_add_co_ci_u32_e64 v40, null, s51, v40, vcc_lo
	s_waitcnt lgkmcnt(0)
	global_store_dwordx2 v[39:40], v[37:38], off
	s_or_b32 exec_lo, exec_lo, s22
	s_and_saveexec_b32 s22, s34
	s_cbranch_execz .LBB1429_532
.LBB1429_596:                           ;   in Loop: Header=BB1429_390 Depth=2
	v_lshlrev_b32_e32 v3, 2, v136
	v_add_nc_u32_e32 v37, v66, v41
	ds_read_b32 v3, v3
	ds_read_b64 v[37:38], v37 offset:23040
	s_waitcnt lgkmcnt(1)
	v_add_nc_u32_e32 v3, v3, v54
	v_lshlrev_b64 v[39:40], 3, v[3:4]
	v_add_co_u32 v39, vcc_lo, s50, v39
	v_add_co_ci_u32_e64 v40, null, s51, v40, vcc_lo
	s_waitcnt lgkmcnt(0)
	global_store_dwordx2 v[39:40], v[37:38], off
	s_or_b32 exec_lo, exec_lo, s22
	s_and_saveexec_b32 s22, s35
	s_cbranch_execz .LBB1429_533
.LBB1429_597:                           ;   in Loop: Header=BB1429_390 Depth=2
	v_lshlrev_b32_e32 v3, 2, v135
	v_add_nc_u32_e32 v37, v66, v41
	ds_read_b32 v3, v3
	ds_read_b64 v[37:38], v37 offset:25088
	s_waitcnt lgkmcnt(1)
	v_add_nc_u32_e32 v3, v3, v55
	v_lshlrev_b64 v[39:40], 3, v[3:4]
	v_add_co_u32 v39, vcc_lo, s50, v39
	v_add_co_ci_u32_e64 v40, null, s51, v40, vcc_lo
	s_waitcnt lgkmcnt(0)
	global_store_dwordx2 v[39:40], v[37:38], off
	s_or_b32 exec_lo, exec_lo, s22
	s_and_saveexec_b32 s22, s36
	s_cbranch_execz .LBB1429_534
.LBB1429_598:                           ;   in Loop: Header=BB1429_390 Depth=2
	v_lshlrev_b32_e32 v3, 2, v134
	v_add_nc_u32_e32 v37, v66, v41
	ds_read_b32 v3, v3
	ds_read_b64 v[37:38], v37 offset:27136
	s_waitcnt lgkmcnt(1)
	v_add_nc_u32_e32 v3, v3, v56
	v_lshlrev_b64 v[39:40], 3, v[3:4]
	v_add_co_u32 v39, vcc_lo, s50, v39
	v_add_co_ci_u32_e64 v40, null, s51, v40, vcc_lo
	s_waitcnt lgkmcnt(0)
	global_store_dwordx2 v[39:40], v[37:38], off
	s_or_b32 exec_lo, exec_lo, s22
	s_and_saveexec_b32 s22, s37
	s_cbranch_execz .LBB1429_535
.LBB1429_599:                           ;   in Loop: Header=BB1429_390 Depth=2
	v_lshlrev_b32_e32 v3, 2, v133
	v_add_nc_u32_e32 v37, v66, v41
	ds_read_b32 v3, v3
	ds_read_b64 v[37:38], v37 offset:29184
	s_waitcnt lgkmcnt(1)
	v_add_nc_u32_e32 v3, v3, v57
	v_lshlrev_b64 v[39:40], 3, v[3:4]
	v_add_co_u32 v39, vcc_lo, s50, v39
	v_add_co_ci_u32_e64 v40, null, s51, v40, vcc_lo
	s_waitcnt lgkmcnt(0)
	global_store_dwordx2 v[39:40], v[37:38], off
	s_or_b32 exec_lo, exec_lo, s22
	s_and_saveexec_b32 s22, s38
	s_cbranch_execnz .LBB1429_536
	s_branch .LBB1429_537
.LBB1429_600:                           ;   in Loop: Header=BB1429_12 Depth=1
	s_waitcnt lgkmcnt(0)
	s_barrier
.LBB1429_601:                           ;   in Loop: Header=BB1429_12 Depth=1
	s_mov_b32 s5, 0
.LBB1429_602:                           ;   in Loop: Header=BB1429_12 Depth=1
	s_andn2_b32 vcc_lo, exec_lo, s5
	s_cbranch_vccnz .LBB1429_11
; %bb.603:                              ;   in Loop: Header=BB1429_12 Depth=1
	s_and_b32 vcc_lo, exec_lo, s55
	s_mov_b32 s5, -1
	s_cbranch_vccz .LBB1429_897
; %bb.604:                              ;   in Loop: Header=BB1429_12 Depth=1
	s_mov_b32 s5, s60
	s_mov_b32 s46, s58
	s_barrier
	buffer_gl0_inv
                                        ; implicit-def: $vgpr3
                                        ; implicit-def: $vgpr5
                                        ; implicit-def: $vgpr6
                                        ; implicit-def: $vgpr7
                                        ; implicit-def: $vgpr8
                                        ; implicit-def: $vgpr9
                                        ; implicit-def: $vgpr10
                                        ; implicit-def: $vgpr11
                                        ; implicit-def: $vgpr12
                                        ; implicit-def: $vgpr13
                                        ; implicit-def: $vgpr14
                                        ; implicit-def: $vgpr15
                                        ; implicit-def: $vgpr16
                                        ; implicit-def: $vgpr17
                                        ; implicit-def: $vgpr18
                                        ; implicit-def: $vgpr19
	s_branch .LBB1429_606
.LBB1429_605:                           ;   in Loop: Header=BB1429_606 Depth=2
	s_or_b32 exec_lo, exec_lo, s16
	s_addk_i32 s5, 0xf000
	s_cmp_ge_u32 s15, s59
	s_mov_b32 s46, s15
	s_cbranch_scc1 .LBB1429_674
.LBB1429_606:                           ;   Parent Loop BB1429_12 Depth=1
                                        ; =>  This Inner Loop Header: Depth=2
	s_add_i32 s15, s46, 0x1000
	s_mov_b32 s16, -1
	s_cmp_gt_u32 s15, s59
                                        ; implicit-def: $vgpr20
                                        ; implicit-def: $vgpr21
                                        ; implicit-def: $vgpr24
                                        ; implicit-def: $vgpr22
                                        ; implicit-def: $vgpr26
                                        ; implicit-def: $vgpr23
                                        ; implicit-def: $vgpr28
                                        ; implicit-def: $vgpr25
                                        ; implicit-def: $vgpr30
                                        ; implicit-def: $vgpr27
                                        ; implicit-def: $vgpr31
                                        ; implicit-def: $vgpr29
                                        ; implicit-def: $vgpr33
                                        ; implicit-def: $vgpr32
                                        ; implicit-def: $vgpr34
                                        ; implicit-def: $vgpr35
	s_cbranch_scc1 .LBB1429_608
; %bb.607:                              ;   in Loop: Header=BB1429_606 Depth=2
	s_lshl_b64 s[16:17], s[46:47], 2
	v_add_co_u32 v30, vcc_lo, v75, s16
	v_add_co_ci_u32_e64 v31, null, s17, v76, vcc_lo
	s_mov_b32 s16, 0
	v_add_co_u32 v22, vcc_lo, 0x800, v30
	v_add_co_ci_u32_e64 v23, null, 0, v31, vcc_lo
	v_add_co_u32 v33, vcc_lo, v30, 0x1000
	v_add_co_ci_u32_e64 v34, null, 0, v31, vcc_lo
	;; [unrolled: 2-line block ×9, first 2 shown]
	s_clause 0x7
	global_load_dword v20, v[30:31], off
	global_load_dword v21, v[30:31], off offset:1024
	global_load_dword v22, v[22:23], off offset:1024
	;; [unrolled: 1-line block ×7, first 2 shown]
	v_add_co_u32 v37, vcc_lo, 0x3800, v30
	v_add_co_ci_u32_e64 v38, null, 0, v31, vcc_lo
	s_clause 0x7
	global_load_dword v24, v[33:34], off offset:-2048
	global_load_dword v26, v[33:34], off
	global_load_dword v28, v[35:36], off offset:-2048
	global_load_dword v30, v[35:36], off
	global_load_dword v31, v[39:40], off offset:-2048
	global_load_dword v33, v[39:40], off
	global_load_dword v34, v[37:38], off
	global_load_dword v35, v[37:38], off offset:1024
.LBB1429_608:                           ;   in Loop: Header=BB1429_606 Depth=2
	s_andn2_b32 vcc_lo, exec_lo, s16
	s_movk_i32 s16, 0x1000
	s_cbranch_vccnz .LBB1429_627
; %bb.609:                              ;   in Loop: Header=BB1429_606 Depth=2
	s_lshl_b64 s[16:17], s[46:47], 2
	s_mov_b32 s18, exec_lo
	s_add_u32 s16, s40, s16
	s_addc_u32 s17, s41, s17
	v_cmpx_gt_u32_e64 s5, v0
	s_cbranch_execnz .LBB1429_659
; %bb.610:                              ;   in Loop: Header=BB1429_606 Depth=2
	s_or_b32 exec_lo, exec_lo, s18
	s_mov_b32 s18, exec_lo
	v_cmpx_gt_u32_e64 s5, v42
	s_cbranch_execnz .LBB1429_660
.LBB1429_611:                           ;   in Loop: Header=BB1429_606 Depth=2
	s_or_b32 exec_lo, exec_lo, s18
	s_mov_b32 s18, exec_lo
	v_cmpx_gt_u32_e64 s5, v45
	s_cbranch_execnz .LBB1429_661
.LBB1429_612:                           ;   in Loop: Header=BB1429_606 Depth=2
	s_or_b32 exec_lo, exec_lo, s18
	s_mov_b32 s18, exec_lo
	v_cmpx_gt_u32_e64 s5, v46
	s_cbranch_execnz .LBB1429_662
.LBB1429_613:                           ;   in Loop: Header=BB1429_606 Depth=2
	s_or_b32 exec_lo, exec_lo, s18
	s_mov_b32 s18, exec_lo
	v_cmpx_gt_u32_e64 s5, v47
	s_cbranch_execnz .LBB1429_663
.LBB1429_614:                           ;   in Loop: Header=BB1429_606 Depth=2
	s_or_b32 exec_lo, exec_lo, s18
	s_mov_b32 s18, exec_lo
	v_cmpx_gt_u32_e64 s5, v48
	s_cbranch_execnz .LBB1429_664
.LBB1429_615:                           ;   in Loop: Header=BB1429_606 Depth=2
	s_or_b32 exec_lo, exec_lo, s18
	s_mov_b32 s18, exec_lo
	v_cmpx_gt_u32_e64 s5, v49
	s_cbranch_execnz .LBB1429_665
.LBB1429_616:                           ;   in Loop: Header=BB1429_606 Depth=2
	s_or_b32 exec_lo, exec_lo, s18
	s_mov_b32 s18, exec_lo
	v_cmpx_gt_u32_e64 s5, v50
	s_cbranch_execnz .LBB1429_666
.LBB1429_617:                           ;   in Loop: Header=BB1429_606 Depth=2
	s_or_b32 exec_lo, exec_lo, s18
	s_mov_b32 s18, exec_lo
	v_cmpx_gt_u32_e64 s5, v51
	s_cbranch_execnz .LBB1429_667
.LBB1429_618:                           ;   in Loop: Header=BB1429_606 Depth=2
	s_or_b32 exec_lo, exec_lo, s18
	s_mov_b32 s18, exec_lo
	v_cmpx_gt_u32_e64 s5, v52
	s_cbranch_execnz .LBB1429_668
.LBB1429_619:                           ;   in Loop: Header=BB1429_606 Depth=2
	s_or_b32 exec_lo, exec_lo, s18
	s_mov_b32 s18, exec_lo
	v_cmpx_gt_u32_e64 s5, v53
	s_cbranch_execnz .LBB1429_669
.LBB1429_620:                           ;   in Loop: Header=BB1429_606 Depth=2
	s_or_b32 exec_lo, exec_lo, s18
	s_mov_b32 s18, exec_lo
	v_cmpx_gt_u32_e64 s5, v54
	s_cbranch_execnz .LBB1429_670
.LBB1429_621:                           ;   in Loop: Header=BB1429_606 Depth=2
	s_or_b32 exec_lo, exec_lo, s18
	s_mov_b32 s18, exec_lo
	v_cmpx_gt_u32_e64 s5, v55
	s_cbranch_execnz .LBB1429_671
.LBB1429_622:                           ;   in Loop: Header=BB1429_606 Depth=2
	s_or_b32 exec_lo, exec_lo, s18
	s_mov_b32 s18, exec_lo
	v_cmpx_gt_u32_e64 s5, v56
	s_cbranch_execnz .LBB1429_672
.LBB1429_623:                           ;   in Loop: Header=BB1429_606 Depth=2
	s_or_b32 exec_lo, exec_lo, s18
	s_mov_b32 s18, exec_lo
	v_cmpx_gt_u32_e64 s5, v57
	s_cbranch_execnz .LBB1429_673
.LBB1429_624:                           ;   in Loop: Header=BB1429_606 Depth=2
	s_or_b32 exec_lo, exec_lo, s18
	s_mov_b32 s18, exec_lo
	v_cmpx_gt_u32_e64 s5, v58
	s_cbranch_execz .LBB1429_626
.LBB1429_625:                           ;   in Loop: Header=BB1429_606 Depth=2
	global_load_dword v3, v100, s[16:17]
.LBB1429_626:                           ;   in Loop: Header=BB1429_606 Depth=2
	s_or_b32 exec_lo, exec_lo, s18
	s_waitcnt vmcnt(0)
	v_mov_b32_e32 v20, v19
	v_mov_b32_e32 v21, v18
	;; [unrolled: 1-line block ×16, first 2 shown]
	s_mov_b32 s16, s5
.LBB1429_627:                           ;   in Loop: Header=BB1429_606 Depth=2
	s_waitcnt vmcnt(0)
	v_mov_b32_e32 v3, v35
	v_mov_b32_e32 v5, v34
	;; [unrolled: 1-line block ×16, first 2 shown]
	s_mov_b32 s17, exec_lo
	v_cmpx_gt_u32_e64 s16, v0
	s_cbranch_execnz .LBB1429_643
; %bb.628:                              ;   in Loop: Header=BB1429_606 Depth=2
	s_or_b32 exec_lo, exec_lo, s17
	s_mov_b32 s17, exec_lo
	v_cmpx_gt_u32_e64 s16, v42
	s_cbranch_execnz .LBB1429_644
.LBB1429_629:                           ;   in Loop: Header=BB1429_606 Depth=2
	s_or_b32 exec_lo, exec_lo, s17
	s_mov_b32 s17, exec_lo
	v_cmpx_gt_u32_e64 s16, v45
	s_cbranch_execnz .LBB1429_645
.LBB1429_630:                           ;   in Loop: Header=BB1429_606 Depth=2
	s_or_b32 exec_lo, exec_lo, s17
	s_mov_b32 s17, exec_lo
	v_cmpx_gt_u32_e64 s16, v46
	s_cbranch_execnz .LBB1429_646
.LBB1429_631:                           ;   in Loop: Header=BB1429_606 Depth=2
	s_or_b32 exec_lo, exec_lo, s17
	s_mov_b32 s17, exec_lo
	v_cmpx_gt_u32_e64 s16, v47
	s_cbranch_execnz .LBB1429_647
.LBB1429_632:                           ;   in Loop: Header=BB1429_606 Depth=2
	s_or_b32 exec_lo, exec_lo, s17
	s_mov_b32 s17, exec_lo
	v_cmpx_gt_u32_e64 s16, v48
	s_cbranch_execnz .LBB1429_648
.LBB1429_633:                           ;   in Loop: Header=BB1429_606 Depth=2
	s_or_b32 exec_lo, exec_lo, s17
	s_mov_b32 s17, exec_lo
	v_cmpx_gt_u32_e64 s16, v49
	s_cbranch_execnz .LBB1429_649
.LBB1429_634:                           ;   in Loop: Header=BB1429_606 Depth=2
	s_or_b32 exec_lo, exec_lo, s17
	s_mov_b32 s17, exec_lo
	v_cmpx_gt_u32_e64 s16, v50
	s_cbranch_execnz .LBB1429_650
.LBB1429_635:                           ;   in Loop: Header=BB1429_606 Depth=2
	s_or_b32 exec_lo, exec_lo, s17
	s_mov_b32 s17, exec_lo
	v_cmpx_gt_u32_e64 s16, v51
	s_cbranch_execnz .LBB1429_651
.LBB1429_636:                           ;   in Loop: Header=BB1429_606 Depth=2
	s_or_b32 exec_lo, exec_lo, s17
	s_mov_b32 s17, exec_lo
	v_cmpx_gt_u32_e64 s16, v52
	s_cbranch_execnz .LBB1429_652
.LBB1429_637:                           ;   in Loop: Header=BB1429_606 Depth=2
	s_or_b32 exec_lo, exec_lo, s17
	s_mov_b32 s17, exec_lo
	v_cmpx_gt_u32_e64 s16, v53
	s_cbranch_execnz .LBB1429_653
.LBB1429_638:                           ;   in Loop: Header=BB1429_606 Depth=2
	s_or_b32 exec_lo, exec_lo, s17
	s_mov_b32 s17, exec_lo
	v_cmpx_gt_u32_e64 s16, v54
	s_cbranch_execnz .LBB1429_654
.LBB1429_639:                           ;   in Loop: Header=BB1429_606 Depth=2
	s_or_b32 exec_lo, exec_lo, s17
	s_mov_b32 s17, exec_lo
	v_cmpx_gt_u32_e64 s16, v55
	s_cbranch_execnz .LBB1429_655
.LBB1429_640:                           ;   in Loop: Header=BB1429_606 Depth=2
	s_or_b32 exec_lo, exec_lo, s17
	s_mov_b32 s17, exec_lo
	v_cmpx_gt_u32_e64 s16, v56
	s_cbranch_execnz .LBB1429_656
.LBB1429_641:                           ;   in Loop: Header=BB1429_606 Depth=2
	s_or_b32 exec_lo, exec_lo, s17
	s_mov_b32 s17, exec_lo
	v_cmpx_gt_u32_e64 s16, v57
	s_cbranch_execnz .LBB1429_657
.LBB1429_642:                           ;   in Loop: Header=BB1429_606 Depth=2
	s_or_b32 exec_lo, exec_lo, s17
	v_cmp_gt_u32_e32 vcc_lo, s16, v58
	s_and_saveexec_b32 s16, vcc_lo
	s_cbranch_execz .LBB1429_605
	s_branch .LBB1429_658
.LBB1429_643:                           ;   in Loop: Header=BB1429_606 Depth=2
	v_cmp_lt_i32_e32 vcc_lo, -1, v19
	v_cndmask_b32_e64 v20, -1, 0x80000000, vcc_lo
	v_xor_b32_e32 v20, v20, v19
	v_cmp_ne_u32_e32 vcc_lo, 0x7fffffff, v20
	v_cndmask_b32_e32 v20, 0x80000000, v20, vcc_lo
	v_lshrrev_b32_e32 v20, s53, v20
	v_and_b32_e32 v20, s61, v20
	v_lshl_or_b32 v20, v20, 4, v59
	ds_add_u32 v20, v82
	s_or_b32 exec_lo, exec_lo, s17
	s_mov_b32 s17, exec_lo
	v_cmpx_gt_u32_e64 s16, v42
	s_cbranch_execz .LBB1429_629
.LBB1429_644:                           ;   in Loop: Header=BB1429_606 Depth=2
	v_cmp_lt_i32_e32 vcc_lo, -1, v18
	v_cndmask_b32_e64 v20, -1, 0x80000000, vcc_lo
	v_xor_b32_e32 v20, v20, v18
	v_cmp_ne_u32_e32 vcc_lo, 0x7fffffff, v20
	v_cndmask_b32_e32 v20, 0x80000000, v20, vcc_lo
	v_lshrrev_b32_e32 v20, s53, v20
	v_and_b32_e32 v20, s61, v20
	v_lshl_or_b32 v20, v20, 4, v59
	ds_add_u32 v20, v82
	s_or_b32 exec_lo, exec_lo, s17
	s_mov_b32 s17, exec_lo
	v_cmpx_gt_u32_e64 s16, v45
	s_cbranch_execz .LBB1429_630
.LBB1429_645:                           ;   in Loop: Header=BB1429_606 Depth=2
	v_cmp_lt_i32_e32 vcc_lo, -1, v17
	v_cndmask_b32_e64 v20, -1, 0x80000000, vcc_lo
	v_xor_b32_e32 v20, v20, v17
	v_cmp_ne_u32_e32 vcc_lo, 0x7fffffff, v20
	v_cndmask_b32_e32 v20, 0x80000000, v20, vcc_lo
	v_lshrrev_b32_e32 v20, s53, v20
	v_and_b32_e32 v20, s61, v20
	v_lshl_or_b32 v20, v20, 4, v59
	ds_add_u32 v20, v82
	s_or_b32 exec_lo, exec_lo, s17
	s_mov_b32 s17, exec_lo
	v_cmpx_gt_u32_e64 s16, v46
	s_cbranch_execz .LBB1429_631
.LBB1429_646:                           ;   in Loop: Header=BB1429_606 Depth=2
	v_cmp_lt_i32_e32 vcc_lo, -1, v16
	v_cndmask_b32_e64 v20, -1, 0x80000000, vcc_lo
	v_xor_b32_e32 v20, v20, v16
	v_cmp_ne_u32_e32 vcc_lo, 0x7fffffff, v20
	v_cndmask_b32_e32 v20, 0x80000000, v20, vcc_lo
	v_lshrrev_b32_e32 v20, s53, v20
	v_and_b32_e32 v20, s61, v20
	v_lshl_or_b32 v20, v20, 4, v59
	ds_add_u32 v20, v82
	s_or_b32 exec_lo, exec_lo, s17
	s_mov_b32 s17, exec_lo
	v_cmpx_gt_u32_e64 s16, v47
	s_cbranch_execz .LBB1429_632
.LBB1429_647:                           ;   in Loop: Header=BB1429_606 Depth=2
	v_cmp_lt_i32_e32 vcc_lo, -1, v15
	v_cndmask_b32_e64 v20, -1, 0x80000000, vcc_lo
	v_xor_b32_e32 v20, v20, v15
	v_cmp_ne_u32_e32 vcc_lo, 0x7fffffff, v20
	v_cndmask_b32_e32 v20, 0x80000000, v20, vcc_lo
	v_lshrrev_b32_e32 v20, s53, v20
	v_and_b32_e32 v20, s61, v20
	v_lshl_or_b32 v20, v20, 4, v59
	ds_add_u32 v20, v82
	s_or_b32 exec_lo, exec_lo, s17
	s_mov_b32 s17, exec_lo
	v_cmpx_gt_u32_e64 s16, v48
	s_cbranch_execz .LBB1429_633
.LBB1429_648:                           ;   in Loop: Header=BB1429_606 Depth=2
	v_cmp_lt_i32_e32 vcc_lo, -1, v14
	v_cndmask_b32_e64 v20, -1, 0x80000000, vcc_lo
	v_xor_b32_e32 v20, v20, v14
	v_cmp_ne_u32_e32 vcc_lo, 0x7fffffff, v20
	v_cndmask_b32_e32 v20, 0x80000000, v20, vcc_lo
	v_lshrrev_b32_e32 v20, s53, v20
	v_and_b32_e32 v20, s61, v20
	v_lshl_or_b32 v20, v20, 4, v59
	ds_add_u32 v20, v82
	s_or_b32 exec_lo, exec_lo, s17
	s_mov_b32 s17, exec_lo
	v_cmpx_gt_u32_e64 s16, v49
	s_cbranch_execz .LBB1429_634
.LBB1429_649:                           ;   in Loop: Header=BB1429_606 Depth=2
	v_cmp_lt_i32_e32 vcc_lo, -1, v13
	v_cndmask_b32_e64 v20, -1, 0x80000000, vcc_lo
	v_xor_b32_e32 v20, v20, v13
	v_cmp_ne_u32_e32 vcc_lo, 0x7fffffff, v20
	v_cndmask_b32_e32 v20, 0x80000000, v20, vcc_lo
	v_lshrrev_b32_e32 v20, s53, v20
	v_and_b32_e32 v20, s61, v20
	v_lshl_or_b32 v20, v20, 4, v59
	ds_add_u32 v20, v82
	s_or_b32 exec_lo, exec_lo, s17
	s_mov_b32 s17, exec_lo
	v_cmpx_gt_u32_e64 s16, v50
	s_cbranch_execz .LBB1429_635
.LBB1429_650:                           ;   in Loop: Header=BB1429_606 Depth=2
	v_cmp_lt_i32_e32 vcc_lo, -1, v12
	v_cndmask_b32_e64 v20, -1, 0x80000000, vcc_lo
	v_xor_b32_e32 v20, v20, v12
	v_cmp_ne_u32_e32 vcc_lo, 0x7fffffff, v20
	v_cndmask_b32_e32 v20, 0x80000000, v20, vcc_lo
	v_lshrrev_b32_e32 v20, s53, v20
	v_and_b32_e32 v20, s61, v20
	v_lshl_or_b32 v20, v20, 4, v59
	ds_add_u32 v20, v82
	s_or_b32 exec_lo, exec_lo, s17
	s_mov_b32 s17, exec_lo
	v_cmpx_gt_u32_e64 s16, v51
	s_cbranch_execz .LBB1429_636
.LBB1429_651:                           ;   in Loop: Header=BB1429_606 Depth=2
	v_cmp_lt_i32_e32 vcc_lo, -1, v11
	v_cndmask_b32_e64 v20, -1, 0x80000000, vcc_lo
	v_xor_b32_e32 v20, v20, v11
	v_cmp_ne_u32_e32 vcc_lo, 0x7fffffff, v20
	v_cndmask_b32_e32 v20, 0x80000000, v20, vcc_lo
	v_lshrrev_b32_e32 v20, s53, v20
	v_and_b32_e32 v20, s61, v20
	v_lshl_or_b32 v20, v20, 4, v59
	ds_add_u32 v20, v82
	s_or_b32 exec_lo, exec_lo, s17
	s_mov_b32 s17, exec_lo
	v_cmpx_gt_u32_e64 s16, v52
	s_cbranch_execz .LBB1429_637
.LBB1429_652:                           ;   in Loop: Header=BB1429_606 Depth=2
	v_cmp_lt_i32_e32 vcc_lo, -1, v10
	v_cndmask_b32_e64 v20, -1, 0x80000000, vcc_lo
	v_xor_b32_e32 v20, v20, v10
	v_cmp_ne_u32_e32 vcc_lo, 0x7fffffff, v20
	v_cndmask_b32_e32 v20, 0x80000000, v20, vcc_lo
	v_lshrrev_b32_e32 v20, s53, v20
	v_and_b32_e32 v20, s61, v20
	v_lshl_or_b32 v20, v20, 4, v59
	ds_add_u32 v20, v82
	s_or_b32 exec_lo, exec_lo, s17
	s_mov_b32 s17, exec_lo
	v_cmpx_gt_u32_e64 s16, v53
	s_cbranch_execz .LBB1429_638
.LBB1429_653:                           ;   in Loop: Header=BB1429_606 Depth=2
	v_cmp_lt_i32_e32 vcc_lo, -1, v9
	v_cndmask_b32_e64 v20, -1, 0x80000000, vcc_lo
	v_xor_b32_e32 v20, v20, v9
	v_cmp_ne_u32_e32 vcc_lo, 0x7fffffff, v20
	v_cndmask_b32_e32 v20, 0x80000000, v20, vcc_lo
	v_lshrrev_b32_e32 v20, s53, v20
	v_and_b32_e32 v20, s61, v20
	v_lshl_or_b32 v20, v20, 4, v59
	ds_add_u32 v20, v82
	s_or_b32 exec_lo, exec_lo, s17
	s_mov_b32 s17, exec_lo
	v_cmpx_gt_u32_e64 s16, v54
	s_cbranch_execz .LBB1429_639
.LBB1429_654:                           ;   in Loop: Header=BB1429_606 Depth=2
	v_cmp_lt_i32_e32 vcc_lo, -1, v8
	v_cndmask_b32_e64 v20, -1, 0x80000000, vcc_lo
	v_xor_b32_e32 v20, v20, v8
	v_cmp_ne_u32_e32 vcc_lo, 0x7fffffff, v20
	v_cndmask_b32_e32 v20, 0x80000000, v20, vcc_lo
	v_lshrrev_b32_e32 v20, s53, v20
	v_and_b32_e32 v20, s61, v20
	v_lshl_or_b32 v20, v20, 4, v59
	ds_add_u32 v20, v82
	s_or_b32 exec_lo, exec_lo, s17
	s_mov_b32 s17, exec_lo
	v_cmpx_gt_u32_e64 s16, v55
	s_cbranch_execz .LBB1429_640
.LBB1429_655:                           ;   in Loop: Header=BB1429_606 Depth=2
	v_cmp_lt_i32_e32 vcc_lo, -1, v7
	v_cndmask_b32_e64 v20, -1, 0x80000000, vcc_lo
	v_xor_b32_e32 v20, v20, v7
	v_cmp_ne_u32_e32 vcc_lo, 0x7fffffff, v20
	v_cndmask_b32_e32 v20, 0x80000000, v20, vcc_lo
	v_lshrrev_b32_e32 v20, s53, v20
	v_and_b32_e32 v20, s61, v20
	v_lshl_or_b32 v20, v20, 4, v59
	ds_add_u32 v20, v82
	s_or_b32 exec_lo, exec_lo, s17
	s_mov_b32 s17, exec_lo
	v_cmpx_gt_u32_e64 s16, v56
	s_cbranch_execz .LBB1429_641
.LBB1429_656:                           ;   in Loop: Header=BB1429_606 Depth=2
	v_cmp_lt_i32_e32 vcc_lo, -1, v6
	v_cndmask_b32_e64 v20, -1, 0x80000000, vcc_lo
	v_xor_b32_e32 v20, v20, v6
	v_cmp_ne_u32_e32 vcc_lo, 0x7fffffff, v20
	v_cndmask_b32_e32 v20, 0x80000000, v20, vcc_lo
	v_lshrrev_b32_e32 v20, s53, v20
	v_and_b32_e32 v20, s61, v20
	v_lshl_or_b32 v20, v20, 4, v59
	ds_add_u32 v20, v82
	s_or_b32 exec_lo, exec_lo, s17
	s_mov_b32 s17, exec_lo
	v_cmpx_gt_u32_e64 s16, v57
	s_cbranch_execz .LBB1429_642
.LBB1429_657:                           ;   in Loop: Header=BB1429_606 Depth=2
	v_cmp_lt_i32_e32 vcc_lo, -1, v5
	v_cndmask_b32_e64 v20, -1, 0x80000000, vcc_lo
	v_xor_b32_e32 v20, v20, v5
	v_cmp_ne_u32_e32 vcc_lo, 0x7fffffff, v20
	v_cndmask_b32_e32 v20, 0x80000000, v20, vcc_lo
	v_lshrrev_b32_e32 v20, s53, v20
	v_and_b32_e32 v20, s61, v20
	v_lshl_or_b32 v20, v20, 4, v59
	ds_add_u32 v20, v82
	s_or_b32 exec_lo, exec_lo, s17
	v_cmp_gt_u32_e32 vcc_lo, s16, v58
	s_and_saveexec_b32 s16, vcc_lo
	s_cbranch_execz .LBB1429_605
.LBB1429_658:                           ;   in Loop: Header=BB1429_606 Depth=2
	v_cmp_lt_i32_e32 vcc_lo, -1, v3
	v_cndmask_b32_e64 v20, -1, 0x80000000, vcc_lo
	v_xor_b32_e32 v20, v20, v3
	v_cmp_ne_u32_e32 vcc_lo, 0x7fffffff, v20
	v_cndmask_b32_e32 v20, 0x80000000, v20, vcc_lo
	v_lshrrev_b32_e32 v20, s53, v20
	v_and_b32_e32 v20, s61, v20
	v_lshl_or_b32 v20, v20, 4, v59
	ds_add_u32 v20, v82
	s_branch .LBB1429_605
.LBB1429_659:                           ;   in Loop: Header=BB1429_606 Depth=2
	global_load_dword v19, v86, s[16:17]
	s_or_b32 exec_lo, exec_lo, s18
	s_mov_b32 s18, exec_lo
	v_cmpx_gt_u32_e64 s5, v42
	s_cbranch_execz .LBB1429_611
.LBB1429_660:                           ;   in Loop: Header=BB1429_606 Depth=2
	global_load_dword v18, v86, s[16:17] offset:1024
	s_or_b32 exec_lo, exec_lo, s18
	s_mov_b32 s18, exec_lo
	v_cmpx_gt_u32_e64 s5, v45
	s_cbranch_execz .LBB1429_612
.LBB1429_661:                           ;   in Loop: Header=BB1429_606 Depth=2
	global_load_dword v17, v87, s[16:17]
	s_or_b32 exec_lo, exec_lo, s18
	s_mov_b32 s18, exec_lo
	v_cmpx_gt_u32_e64 s5, v46
	s_cbranch_execz .LBB1429_613
.LBB1429_662:                           ;   in Loop: Header=BB1429_606 Depth=2
	global_load_dword v16, v88, s[16:17]
	s_or_b32 exec_lo, exec_lo, s18
	s_mov_b32 s18, exec_lo
	v_cmpx_gt_u32_e64 s5, v47
	s_cbranch_execz .LBB1429_614
.LBB1429_663:                           ;   in Loop: Header=BB1429_606 Depth=2
	global_load_dword v15, v89, s[16:17]
	s_or_b32 exec_lo, exec_lo, s18
	s_mov_b32 s18, exec_lo
	v_cmpx_gt_u32_e64 s5, v48
	s_cbranch_execz .LBB1429_615
.LBB1429_664:                           ;   in Loop: Header=BB1429_606 Depth=2
	global_load_dword v14, v90, s[16:17]
	s_or_b32 exec_lo, exec_lo, s18
	s_mov_b32 s18, exec_lo
	v_cmpx_gt_u32_e64 s5, v49
	s_cbranch_execz .LBB1429_616
.LBB1429_665:                           ;   in Loop: Header=BB1429_606 Depth=2
	global_load_dword v13, v91, s[16:17]
	s_or_b32 exec_lo, exec_lo, s18
	s_mov_b32 s18, exec_lo
	v_cmpx_gt_u32_e64 s5, v50
	s_cbranch_execz .LBB1429_617
.LBB1429_666:                           ;   in Loop: Header=BB1429_606 Depth=2
	global_load_dword v12, v92, s[16:17]
	s_or_b32 exec_lo, exec_lo, s18
	s_mov_b32 s18, exec_lo
	v_cmpx_gt_u32_e64 s5, v51
	s_cbranch_execz .LBB1429_618
.LBB1429_667:                           ;   in Loop: Header=BB1429_606 Depth=2
	global_load_dword v11, v93, s[16:17]
	s_or_b32 exec_lo, exec_lo, s18
	s_mov_b32 s18, exec_lo
	v_cmpx_gt_u32_e64 s5, v52
	s_cbranch_execz .LBB1429_619
.LBB1429_668:                           ;   in Loop: Header=BB1429_606 Depth=2
	global_load_dword v10, v94, s[16:17]
	s_or_b32 exec_lo, exec_lo, s18
	s_mov_b32 s18, exec_lo
	v_cmpx_gt_u32_e64 s5, v53
	s_cbranch_execz .LBB1429_620
.LBB1429_669:                           ;   in Loop: Header=BB1429_606 Depth=2
	global_load_dword v9, v95, s[16:17]
	s_or_b32 exec_lo, exec_lo, s18
	s_mov_b32 s18, exec_lo
	v_cmpx_gt_u32_e64 s5, v54
	s_cbranch_execz .LBB1429_621
.LBB1429_670:                           ;   in Loop: Header=BB1429_606 Depth=2
	global_load_dword v8, v96, s[16:17]
	s_or_b32 exec_lo, exec_lo, s18
	s_mov_b32 s18, exec_lo
	v_cmpx_gt_u32_e64 s5, v55
	s_cbranch_execz .LBB1429_622
.LBB1429_671:                           ;   in Loop: Header=BB1429_606 Depth=2
	global_load_dword v7, v97, s[16:17]
	s_or_b32 exec_lo, exec_lo, s18
	s_mov_b32 s18, exec_lo
	v_cmpx_gt_u32_e64 s5, v56
	s_cbranch_execz .LBB1429_623
.LBB1429_672:                           ;   in Loop: Header=BB1429_606 Depth=2
	global_load_dword v6, v98, s[16:17]
	s_or_b32 exec_lo, exec_lo, s18
	s_mov_b32 s18, exec_lo
	v_cmpx_gt_u32_e64 s5, v57
	s_cbranch_execz .LBB1429_624
.LBB1429_673:                           ;   in Loop: Header=BB1429_606 Depth=2
	global_load_dword v5, v99, s[16:17]
	s_or_b32 exec_lo, exec_lo, s18
	s_mov_b32 s18, exec_lo
	v_cmpx_gt_u32_e64 s5, v58
	s_cbranch_execnz .LBB1429_625
	s_branch .LBB1429_626
.LBB1429_674:                           ;   in Loop: Header=BB1429_12 Depth=1
	v_mov_b32_e32 v3, 0
	s_waitcnt lgkmcnt(0)
	s_barrier
	buffer_gl0_inv
	s_and_saveexec_b32 s5, s7
	s_cbranch_execz .LBB1429_676
; %bb.675:                              ;   in Loop: Header=BB1429_12 Depth=1
	ds_read2_b64 v[5:8], v61 offset1:1
	s_waitcnt lgkmcnt(0)
	v_add_nc_u32_e32 v3, v6, v5
	v_add3_u32 v3, v3, v7, v8
.LBB1429_676:                           ;   in Loop: Header=BB1429_12 Depth=1
	s_or_b32 exec_lo, exec_lo, s5
	v_mov_b32_dpp v5, v3 row_shr:1 row_mask:0xf bank_mask:0xf
	v_cmp_eq_u32_e64 s5, 0, v83
	v_cmp_lt_u32_e64 s15, 1, v83
	v_cmp_lt_u32_e64 s16, 3, v83
	;; [unrolled: 1-line block ×3, first 2 shown]
	v_cmp_eq_u32_e64 s18, 0, v85
	v_cndmask_b32_e64 v5, v5, 0, s5
	v_add_nc_u32_e32 v3, v5, v3
	v_mov_b32_dpp v5, v3 row_shr:2 row_mask:0xf bank_mask:0xf
	v_cndmask_b32_e64 v5, 0, v5, s15
	v_add_nc_u32_e32 v3, v3, v5
	v_mov_b32_dpp v5, v3 row_shr:4 row_mask:0xf bank_mask:0xf
	;; [unrolled: 3-line block ×3, first 2 shown]
	v_cndmask_b32_e64 v5, 0, v5, s17
	v_add_nc_u32_e32 v3, v3, v5
	ds_swizzle_b32 v5, v3 offset:swizzle(BROADCAST,32,15)
	s_waitcnt lgkmcnt(0)
	v_and_b32_e32 v5, v84, v5
	v_add_nc_u32_e32 v3, v3, v5
	s_and_saveexec_b32 s19, s8
; %bb.677:                              ;   in Loop: Header=BB1429_12 Depth=1
	ds_write_b32 v62, v3
; %bb.678:                              ;   in Loop: Header=BB1429_12 Depth=1
	s_or_b32 exec_lo, exec_lo, s19
	s_waitcnt lgkmcnt(0)
	s_barrier
	buffer_gl0_inv
	s_and_saveexec_b32 s19, s9
	s_cbranch_execz .LBB1429_680
; %bb.679:                              ;   in Loop: Header=BB1429_12 Depth=1
	ds_read_b32 v5, v63
	v_cmp_ne_u32_e32 vcc_lo, 0, v101
	s_waitcnt lgkmcnt(0)
	v_mov_b32_dpp v6, v5 row_shr:1 row_mask:0xf bank_mask:0xf
	v_cndmask_b32_e32 v6, 0, v6, vcc_lo
	v_cmp_lt_u32_e32 vcc_lo, 1, v101
	v_add_nc_u32_e32 v5, v6, v5
	v_mov_b32_dpp v6, v5 row_shr:2 row_mask:0xf bank_mask:0xf
	v_cndmask_b32_e32 v6, 0, v6, vcc_lo
	v_add_nc_u32_e32 v5, v5, v6
	ds_write_b32 v63, v5
.LBB1429_680:                           ;   in Loop: Header=BB1429_12 Depth=1
	s_or_b32 exec_lo, exec_lo, s19
	v_mov_b32_e32 v5, 0
	s_waitcnt lgkmcnt(0)
	s_barrier
	buffer_gl0_inv
	s_and_saveexec_b32 s19, s10
; %bb.681:                              ;   in Loop: Header=BB1429_12 Depth=1
	ds_read_b32 v5, v64
; %bb.682:                              ;   in Loop: Header=BB1429_12 Depth=1
	s_or_b32 exec_lo, exec_lo, s19
	v_cmp_gt_i32_e32 vcc_lo, 0, v103
	s_waitcnt lgkmcnt(0)
	v_add_nc_u32_e32 v3, v5, v3
	s_barrier
	buffer_gl0_inv
	v_cndmask_b32_e32 v6, v103, v79, vcc_lo
	v_lshlrev_b32_e32 v126, 2, v6
	ds_bpermute_b32 v3, v126, v3
	s_and_saveexec_b32 s19, s7
	s_cbranch_execz .LBB1429_684
; %bb.683:                              ;   in Loop: Header=BB1429_12 Depth=1
	s_waitcnt lgkmcnt(0)
	v_cndmask_b32_e64 v3, v3, v5, s14
	v_add_nc_u32_e32 v3, s58, v3
	ds_write_b32 v41, v3
.LBB1429_684:                           ;   in Loop: Header=BB1429_12 Depth=1
	s_or_b32 exec_lo, exec_lo, s19
	s_load_dwordx2 s[20:21], s[56:57], 0x0
	v_add_co_u32 v127, vcc_lo, v77, v102
	v_add_co_ci_u32_e64 v128, null, 0, v78, vcc_lo
	v_add_co_u32 v129, vcc_lo, v80, v120
	v_add_co_ci_u32_e64 v130, null, 0, v81, vcc_lo
	s_mov_b32 s62, s60
	s_mov_b32 s46, s58
                                        ; implicit-def: $vgpr7_vgpr8
                                        ; implicit-def: $vgpr9_vgpr10
                                        ; implicit-def: $vgpr11_vgpr12
                                        ; implicit-def: $vgpr13_vgpr14
                                        ; implicit-def: $vgpr17_vgpr18
                                        ; implicit-def: $vgpr21_vgpr22
                                        ; implicit-def: $vgpr25_vgpr26
                                        ; implicit-def: $vgpr15_vgpr16
                                        ; implicit-def: $vgpr19_vgpr20
                                        ; implicit-def: $vgpr23_vgpr24
                                        ; implicit-def: $vgpr27_vgpr28
                                        ; implicit-def: $vgpr29_vgpr30
                                        ; implicit-def: $vgpr31_vgpr32
                                        ; implicit-def: $vgpr33_vgpr34
                                        ; implicit-def: $vgpr35_vgpr36
                                        ; implicit-def: $vgpr132
                                        ; implicit-def: $vgpr133
                                        ; implicit-def: $vgpr134
                                        ; implicit-def: $vgpr135
                                        ; implicit-def: $vgpr136
                                        ; implicit-def: $vgpr137
                                        ; implicit-def: $vgpr138
                                        ; implicit-def: $vgpr139
                                        ; implicit-def: $vgpr140
                                        ; implicit-def: $vgpr141
                                        ; implicit-def: $vgpr142
                                        ; implicit-def: $vgpr143
                                        ; implicit-def: $vgpr145
                                        ; implicit-def: $vgpr146
                                        ; implicit-def: $vgpr147
                                        ; implicit-def: $vgpr148
                                        ; implicit-def: $vgpr144
                                        ; implicit-def: $vgpr149
	s_waitcnt lgkmcnt(0)
	s_cmp_lt_u32 s27, s21
	s_cselect_b32 s19, 14, 20
	s_add_u32 s22, s56, s19
	s_addc_u32 s23, s57, 0
	s_cmp_lt_u32 s6, s20
	global_load_ushort v3, v4, s[22:23]
	s_cselect_b32 s19, 12, 18
	s_add_u32 s20, s56, s19
	s_addc_u32 s21, s57, 0
	v_cmp_eq_u32_e64 s19, 0, v104
	global_load_ushort v5, v4, s[20:21]
	v_cmp_lt_u32_e64 s20, 1, v104
	v_cmp_lt_u32_e64 s21, 3, v104
	s_waitcnt vmcnt(1)
	v_mad_u32_u24 v3, v2, v3, v1
	s_waitcnt vmcnt(0)
	v_mad_u64_u32 v[5:6], null, v3, v5, v[0:1]
	v_lshrrev_b32_e32 v3, 3, v5
                                        ; implicit-def: $vgpr5_vgpr6
	v_and_b32_e32 v131, 0x1ffffffc, v3
	s_branch .LBB1429_686
.LBB1429_685:                           ;   in Loop: Header=BB1429_686 Depth=2
	s_or_b32 exec_lo, exec_lo, s22
	s_addk_i32 s62, 0xf000
	s_cmp_lt_u32 s63, s59
	s_mov_b32 s46, s63
	s_cbranch_scc0 .LBB1429_896
.LBB1429_686:                           ;   Parent Loop BB1429_12 Depth=1
                                        ; =>  This Inner Loop Header: Depth=2
	s_add_i32 s63, s46, 0x1000
	s_cmp_gt_u32 s63, s59
	s_cbranch_scc1 .LBB1429_688
; %bb.687:                              ;   in Loop: Header=BB1429_686 Depth=2
	s_lshl_b64 s[22:23], s[46:47], 2
	v_add_co_u32 v37, vcc_lo, v129, s22
	v_add_co_ci_u32_e64 v38, null, s23, v130, vcc_lo
	s_mov_b32 s22, -1
	s_clause 0xe
	global_load_dword v3, v[37:38], off
	global_load_dword v151, v[37:38], off offset:128
	global_load_dword v154, v[37:38], off offset:256
	;; [unrolled: 1-line block ×14, first 2 shown]
	s_movk_i32 s23, 0x1000
	s_cbranch_execz .LBB1429_689
	s_branch .LBB1429_720
.LBB1429_688:                           ;   in Loop: Header=BB1429_686 Depth=2
	s_mov_b32 s22, 0
                                        ; implicit-def: $vgpr3
                                        ; implicit-def: $vgpr151
                                        ; implicit-def: $vgpr154
                                        ; implicit-def: $vgpr158
                                        ; implicit-def: $vgpr162
                                        ; implicit-def: $vgpr168
                                        ; implicit-def: $vgpr173
                                        ; implicit-def: $vgpr178
                                        ; implicit-def: $vgpr181
                                        ; implicit-def: $vgpr176
                                        ; implicit-def: $vgpr172
                                        ; implicit-def: $vgpr167
                                        ; implicit-def: $vgpr164
                                        ; implicit-def: $vgpr40
                                        ; implicit-def: $vgpr39
	s_movk_i32 s23, 0x1000
.LBB1429_689:                           ;   in Loop: Header=BB1429_686 Depth=2
	s_lshl_b64 s[22:23], s[46:47], 2
	s_waitcnt vmcnt(13)
	v_bfrev_b32_e32 v151, -2
	v_add_co_u32 v37, vcc_lo, v129, s22
	v_add_co_ci_u32_e64 v38, null, s23, v130, vcc_lo
	v_bfrev_b32_e32 v3, -2
	s_mov_b32 s22, exec_lo
	v_cmpx_gt_u32_e64 s62, v105
	s_cbranch_execz .LBB1429_691
; %bb.690:                              ;   in Loop: Header=BB1429_686 Depth=2
	global_load_dword v3, v[37:38], off
.LBB1429_691:                           ;   in Loop: Header=BB1429_686 Depth=2
	s_or_b32 exec_lo, exec_lo, s22
	s_mov_b32 s22, exec_lo
	v_cmpx_gt_u32_e64 s62, v108
	s_cbranch_execz .LBB1429_693
; %bb.692:                              ;   in Loop: Header=BB1429_686 Depth=2
	global_load_dword v151, v[37:38], off offset:128
.LBB1429_693:                           ;   in Loop: Header=BB1429_686 Depth=2
	s_or_b32 exec_lo, exec_lo, s22
	s_waitcnt vmcnt(11)
	v_bfrev_b32_e32 v158, -2
	v_bfrev_b32_e32 v154, -2
	s_mov_b32 s22, exec_lo
	v_cmpx_gt_u32_e64 s62, v109
	s_cbranch_execz .LBB1429_695
; %bb.694:                              ;   in Loop: Header=BB1429_686 Depth=2
	global_load_dword v154, v[37:38], off offset:256
.LBB1429_695:                           ;   in Loop: Header=BB1429_686 Depth=2
	s_or_b32 exec_lo, exec_lo, s22
	s_mov_b32 s22, exec_lo
	v_cmpx_gt_u32_e64 s62, v110
	s_cbranch_execz .LBB1429_697
; %bb.696:                              ;   in Loop: Header=BB1429_686 Depth=2
	global_load_dword v158, v[37:38], off offset:384
.LBB1429_697:                           ;   in Loop: Header=BB1429_686 Depth=2
	s_or_b32 exec_lo, exec_lo, s22
	s_waitcnt vmcnt(9)
	v_bfrev_b32_e32 v168, -2
	v_bfrev_b32_e32 v162, -2
	s_mov_b32 s22, exec_lo
	v_cmpx_gt_u32_e64 s62, v111
	s_cbranch_execz .LBB1429_699
; %bb.698:                              ;   in Loop: Header=BB1429_686 Depth=2
	global_load_dword v162, v[37:38], off offset:512
.LBB1429_699:                           ;   in Loop: Header=BB1429_686 Depth=2
	s_or_b32 exec_lo, exec_lo, s22
	s_mov_b32 s22, exec_lo
	v_cmpx_gt_u32_e64 s62, v112
	s_cbranch_execz .LBB1429_701
; %bb.700:                              ;   in Loop: Header=BB1429_686 Depth=2
	global_load_dword v168, v[37:38], off offset:640
.LBB1429_701:                           ;   in Loop: Header=BB1429_686 Depth=2
	s_or_b32 exec_lo, exec_lo, s22
	s_waitcnt vmcnt(7)
	v_bfrev_b32_e32 v178, -2
	v_bfrev_b32_e32 v173, -2
	s_mov_b32 s22, exec_lo
	v_cmpx_gt_u32_e64 s62, v113
	s_cbranch_execz .LBB1429_703
; %bb.702:                              ;   in Loop: Header=BB1429_686 Depth=2
	global_load_dword v173, v[37:38], off offset:768
.LBB1429_703:                           ;   in Loop: Header=BB1429_686 Depth=2
	s_or_b32 exec_lo, exec_lo, s22
	s_mov_b32 s22, exec_lo
	v_cmpx_gt_u32_e64 s62, v114
	s_cbranch_execz .LBB1429_705
; %bb.704:                              ;   in Loop: Header=BB1429_686 Depth=2
	global_load_dword v178, v[37:38], off offset:896
.LBB1429_705:                           ;   in Loop: Header=BB1429_686 Depth=2
	s_or_b32 exec_lo, exec_lo, s22
	s_waitcnt vmcnt(5)
	v_bfrev_b32_e32 v176, -2
	v_bfrev_b32_e32 v181, -2
	s_mov_b32 s22, exec_lo
	v_cmpx_gt_u32_e64 s62, v115
	s_cbranch_execz .LBB1429_707
; %bb.706:                              ;   in Loop: Header=BB1429_686 Depth=2
	global_load_dword v181, v[37:38], off offset:1024
.LBB1429_707:                           ;   in Loop: Header=BB1429_686 Depth=2
	s_or_b32 exec_lo, exec_lo, s22
	s_mov_b32 s22, exec_lo
	v_cmpx_gt_u32_e64 s62, v116
	s_cbranch_execz .LBB1429_709
; %bb.708:                              ;   in Loop: Header=BB1429_686 Depth=2
	global_load_dword v176, v[37:38], off offset:1152
.LBB1429_709:                           ;   in Loop: Header=BB1429_686 Depth=2
	s_or_b32 exec_lo, exec_lo, s22
	s_waitcnt vmcnt(3)
	v_bfrev_b32_e32 v167, -2
	v_bfrev_b32_e32 v172, -2
	s_mov_b32 s22, exec_lo
	v_cmpx_gt_u32_e64 s62, v117
	s_cbranch_execz .LBB1429_711
; %bb.710:                              ;   in Loop: Header=BB1429_686 Depth=2
	global_load_dword v172, v[37:38], off offset:1280
.LBB1429_711:                           ;   in Loop: Header=BB1429_686 Depth=2
	s_or_b32 exec_lo, exec_lo, s22
	s_mov_b32 s22, exec_lo
	v_cmpx_gt_u32_e64 s62, v118
	s_cbranch_execz .LBB1429_713
; %bb.712:                              ;   in Loop: Header=BB1429_686 Depth=2
	global_load_dword v167, v[37:38], off offset:1408
.LBB1429_713:                           ;   in Loop: Header=BB1429_686 Depth=2
	s_or_b32 exec_lo, exec_lo, s22
	s_waitcnt vmcnt(1)
	v_bfrev_b32_e32 v40, -2
	v_bfrev_b32_e32 v164, -2
	s_mov_b32 s22, exec_lo
	v_cmpx_gt_u32_e64 s62, v119
	s_cbranch_execz .LBB1429_715
; %bb.714:                              ;   in Loop: Header=BB1429_686 Depth=2
	global_load_dword v164, v[37:38], off offset:1536
.LBB1429_715:                           ;   in Loop: Header=BB1429_686 Depth=2
	s_or_b32 exec_lo, exec_lo, s22
	s_mov_b32 s22, exec_lo
	v_cmpx_gt_u32_e64 s62, v121
	s_cbranch_execz .LBB1429_717
; %bb.716:                              ;   in Loop: Header=BB1429_686 Depth=2
	global_load_dword v40, v[37:38], off offset:1664
.LBB1429_717:                           ;   in Loop: Header=BB1429_686 Depth=2
	s_or_b32 exec_lo, exec_lo, s22
	s_waitcnt vmcnt(0)
	v_bfrev_b32_e32 v39, -2
	s_mov_b32 s22, exec_lo
	v_cmpx_gt_u32_e64 s62, v122
	s_cbranch_execz .LBB1429_719
; %bb.718:                              ;   in Loop: Header=BB1429_686 Depth=2
	global_load_dword v39, v[37:38], off offset:1792
.LBB1429_719:                           ;   in Loop: Header=BB1429_686 Depth=2
	s_or_b32 exec_lo, exec_lo, s22
	v_cmp_gt_u32_e64 s22, s62, v123
	s_sub_i32 s23, s59, s46
.LBB1429_720:                           ;   in Loop: Header=BB1429_686 Depth=2
	v_bfrev_b32_e32 v37, -2
	v_mov_b32_e32 v150, s62
	s_and_saveexec_b32 s24, s22
	s_cbranch_execz .LBB1429_722
; %bb.721:                              ;   in Loop: Header=BB1429_686 Depth=2
	s_lshl_b64 s[28:29], s[46:47], 2
	v_mov_b32_e32 v150, s23
	v_add_co_u32 v37, vcc_lo, v129, s28
	v_add_co_ci_u32_e64 v38, null, s29, v130, vcc_lo
	global_load_dword v37, v[37:38], off offset:1920
.LBB1429_722:                           ;   in Loop: Header=BB1429_686 Depth=2
	s_or_b32 exec_lo, exec_lo, s24
	s_waitcnt vmcnt(14)
	v_cmp_lt_i32_e32 vcc_lo, -1, v3
	ds_write2_b32 v65, v4, v4 offset0:136 offset1:137
	ds_write2_b32 v65, v4, v4 offset0:138 offset1:139
	ds_write_b32 v65, v4 offset:560
	s_waitcnt vmcnt(0) lgkmcnt(0)
	s_barrier
	v_cndmask_b32_e64 v38, -1, 0x80000000, vcc_lo
	buffer_gl0_inv
	; wave barrier
	v_xor_b32_e32 v3, v38, v3
	v_cmp_ne_u32_e32 vcc_lo, 0x7fffffff, v3
	v_cndmask_b32_e32 v38, 0x80000000, v3, vcc_lo
	v_lshrrev_b32_e32 v38, s53, v38
	v_and_b32_e32 v153, s61, v38
	v_and_b32_e32 v38, 1, v153
	v_lshlrev_b32_e32 v152, 30, v153
	v_lshlrev_b32_e32 v155, 29, v153
	;; [unrolled: 1-line block ×4, first 2 shown]
	v_add_co_u32 v38, s22, v38, -1
	v_cndmask_b32_e64 v156, 0, 1, s22
	v_not_b32_e32 v161, v152
	v_cmp_gt_i32_e64 s22, 0, v152
	v_not_b32_e32 v152, v155
	v_lshlrev_b32_e32 v160, 26, v153
	v_cmp_ne_u32_e32 vcc_lo, 0, v156
	v_ashrrev_i32_e32 v161, 31, v161
	v_lshlrev_b32_e32 v156, 25, v153
	v_ashrrev_i32_e32 v152, 31, v152
	v_mul_u32_u24_e32 v153, 36, v153
	v_xor_b32_e32 v38, vcc_lo, v38
	v_cmp_gt_i32_e32 vcc_lo, 0, v155
	v_not_b32_e32 v155, v157
	v_xor_b32_e32 v161, s22, v161
	v_cmp_gt_i32_e64 s22, 0, v157
	v_and_b32_e32 v38, exec_lo, v38
	v_not_b32_e32 v157, v159
	v_ashrrev_i32_e32 v155, 31, v155
	v_xor_b32_e32 v152, vcc_lo, v152
	v_cmp_gt_i32_e32 vcc_lo, 0, v159
	v_and_b32_e32 v38, v38, v161
	v_not_b32_e32 v159, v160
	v_ashrrev_i32_e32 v157, 31, v157
	v_xor_b32_e32 v155, s22, v155
	v_cmp_gt_i32_e64 s22, 0, v160
	v_and_b32_e32 v38, v38, v152
	v_not_b32_e32 v152, v156
	v_ashrrev_i32_e32 v159, 31, v159
	v_xor_b32_e32 v157, vcc_lo, v157
	v_cmp_gt_i32_e32 vcc_lo, 0, v156
	v_and_b32_e32 v38, v38, v155
	v_ashrrev_i32_e32 v152, 31, v152
	v_xor_b32_e32 v155, s22, v159
	v_add_nc_u32_e32 v153, v131, v153
	v_and_b32_e32 v38, v38, v157
	v_xor_b32_e32 v152, vcc_lo, v152
	v_and_b32_e32 v38, v38, v155
	v_and_b32_e32 v38, v38, v152
	v_mbcnt_lo_u32_b32 v152, v38, 0
	v_cmp_ne_u32_e64 s22, 0, v38
	v_cmp_eq_u32_e32 vcc_lo, 0, v152
	s_and_b32 s23, s22, vcc_lo
	s_and_saveexec_b32 s22, s23
; %bb.723:                              ;   in Loop: Header=BB1429_686 Depth=2
	v_bcnt_u32_b32 v38, v38, 0
	ds_write_b32 v153, v38 offset:544
; %bb.724:                              ;   in Loop: Header=BB1429_686 Depth=2
	s_or_b32 exec_lo, exec_lo, s22
	v_cmp_lt_i32_e32 vcc_lo, -1, v151
	; wave barrier
	v_cndmask_b32_e64 v38, -1, 0x80000000, vcc_lo
	v_xor_b32_e32 v151, v38, v151
	v_cmp_ne_u32_e32 vcc_lo, 0x7fffffff, v151
	v_cndmask_b32_e32 v38, 0x80000000, v151, vcc_lo
	v_lshrrev_b32_e32 v38, s53, v38
	v_and_b32_e32 v157, s61, v38
	v_and_b32_e32 v38, 1, v157
	v_lshlrev_b32_e32 v155, 30, v157
	v_lshlrev_b32_e32 v156, 29, v157
	v_lshlrev_b32_e32 v160, 28, v157
	v_lshlrev_b32_e32 v161, 27, v157
	v_add_co_u32 v38, s22, v38, -1
	v_cndmask_b32_e64 v159, 0, 1, s22
	v_not_b32_e32 v165, v155
	v_cmp_gt_i32_e64 s22, 0, v155
	v_not_b32_e32 v155, v156
	v_lshlrev_b32_e32 v163, 26, v157
	v_cmp_ne_u32_e32 vcc_lo, 0, v159
	v_ashrrev_i32_e32 v165, 31, v165
	v_lshlrev_b32_e32 v159, 25, v157
	v_ashrrev_i32_e32 v155, 31, v155
	v_xor_b32_e32 v38, vcc_lo, v38
	v_cmp_gt_i32_e32 vcc_lo, 0, v156
	v_not_b32_e32 v156, v160
	v_xor_b32_e32 v165, s22, v165
	v_cmp_gt_i32_e64 s22, 0, v160
	v_and_b32_e32 v38, exec_lo, v38
	v_not_b32_e32 v160, v161
	v_ashrrev_i32_e32 v156, 31, v156
	v_xor_b32_e32 v155, vcc_lo, v155
	v_cmp_gt_i32_e32 vcc_lo, 0, v161
	v_and_b32_e32 v38, v38, v165
	v_not_b32_e32 v161, v163
	v_ashrrev_i32_e32 v160, 31, v160
	v_xor_b32_e32 v156, s22, v156
	v_cmp_gt_i32_e64 s22, 0, v163
	v_and_b32_e32 v38, v38, v155
	v_not_b32_e32 v155, v159
	v_ashrrev_i32_e32 v161, 31, v161
	v_xor_b32_e32 v160, vcc_lo, v160
	v_cmp_gt_i32_e32 vcc_lo, 0, v159
	v_and_b32_e32 v38, v38, v156
	v_ashrrev_i32_e32 v155, 31, v155
	v_xor_b32_e32 v156, s22, v161
	v_mad_u32_u24 v159, v157, 36, v131
	v_mul_u32_u24_e32 v157, 36, v157
	v_and_b32_e32 v38, v38, v160
	v_xor_b32_e32 v160, vcc_lo, v155
	ds_read_b32 v155, v159 offset:544
	v_add_nc_u32_e32 v157, v131, v157
	v_and_b32_e32 v38, v38, v156
	; wave barrier
	v_and_b32_e32 v38, v38, v160
	v_mbcnt_lo_u32_b32 v156, v38, 0
	v_cmp_ne_u32_e64 s22, 0, v38
	v_cmp_eq_u32_e32 vcc_lo, 0, v156
	s_and_b32 s23, s22, vcc_lo
	s_and_saveexec_b32 s22, s23
	s_cbranch_execz .LBB1429_726
; %bb.725:                              ;   in Loop: Header=BB1429_686 Depth=2
	s_waitcnt lgkmcnt(0)
	v_bcnt_u32_b32 v38, v38, v155
	ds_write_b32 v157, v38 offset:544
.LBB1429_726:                           ;   in Loop: Header=BB1429_686 Depth=2
	s_or_b32 exec_lo, exec_lo, s22
	v_cmp_lt_i32_e32 vcc_lo, -1, v154
	; wave barrier
	v_cndmask_b32_e64 v38, -1, 0x80000000, vcc_lo
	v_xor_b32_e32 v154, v38, v154
	v_cmp_ne_u32_e32 vcc_lo, 0x7fffffff, v154
	v_cndmask_b32_e32 v38, 0x80000000, v154, vcc_lo
	v_lshrrev_b32_e32 v38, s53, v38
	v_and_b32_e32 v161, s61, v38
	v_and_b32_e32 v38, 1, v161
	v_lshlrev_b32_e32 v159, 30, v161
	v_lshlrev_b32_e32 v160, 29, v161
	;; [unrolled: 1-line block ×4, first 2 shown]
	v_add_co_u32 v38, s22, v38, -1
	v_cndmask_b32_e64 v163, 0, 1, s22
	v_not_b32_e32 v170, v159
	v_cmp_gt_i32_e64 s22, 0, v159
	v_not_b32_e32 v159, v160
	v_lshlrev_b32_e32 v169, 26, v161
	v_cmp_ne_u32_e32 vcc_lo, 0, v163
	v_ashrrev_i32_e32 v170, 31, v170
	v_lshlrev_b32_e32 v163, 25, v161
	v_ashrrev_i32_e32 v159, 31, v159
	v_xor_b32_e32 v38, vcc_lo, v38
	v_cmp_gt_i32_e32 vcc_lo, 0, v160
	v_not_b32_e32 v160, v165
	v_xor_b32_e32 v170, s22, v170
	v_cmp_gt_i32_e64 s22, 0, v165
	v_and_b32_e32 v38, exec_lo, v38
	v_not_b32_e32 v165, v166
	v_ashrrev_i32_e32 v160, 31, v160
	v_xor_b32_e32 v159, vcc_lo, v159
	v_cmp_gt_i32_e32 vcc_lo, 0, v166
	v_and_b32_e32 v38, v38, v170
	v_not_b32_e32 v166, v169
	v_ashrrev_i32_e32 v165, 31, v165
	v_xor_b32_e32 v160, s22, v160
	v_cmp_gt_i32_e64 s22, 0, v169
	v_and_b32_e32 v38, v38, v159
	v_not_b32_e32 v159, v163
	v_ashrrev_i32_e32 v166, 31, v166
	v_xor_b32_e32 v165, vcc_lo, v165
	v_cmp_gt_i32_e32 vcc_lo, 0, v163
	v_and_b32_e32 v38, v38, v160
	v_ashrrev_i32_e32 v159, 31, v159
	v_xor_b32_e32 v160, s22, v166
	v_mad_u32_u24 v163, v161, 36, v131
	v_mul_u32_u24_e32 v161, 36, v161
	v_and_b32_e32 v38, v38, v165
	v_xor_b32_e32 v165, vcc_lo, v159
	ds_read_b32 v159, v163 offset:544
	v_add_nc_u32_e32 v161, v131, v161
	v_and_b32_e32 v38, v38, v160
	; wave barrier
	v_and_b32_e32 v38, v38, v165
	v_mbcnt_lo_u32_b32 v160, v38, 0
	v_cmp_ne_u32_e64 s22, 0, v38
	v_cmp_eq_u32_e32 vcc_lo, 0, v160
	s_and_b32 s23, s22, vcc_lo
	s_and_saveexec_b32 s22, s23
	s_cbranch_execz .LBB1429_728
; %bb.727:                              ;   in Loop: Header=BB1429_686 Depth=2
	s_waitcnt lgkmcnt(0)
	v_bcnt_u32_b32 v38, v38, v159
	ds_write_b32 v161, v38 offset:544
.LBB1429_728:                           ;   in Loop: Header=BB1429_686 Depth=2
	s_or_b32 exec_lo, exec_lo, s22
	v_cmp_lt_i32_e32 vcc_lo, -1, v158
	; wave barrier
	v_cndmask_b32_e64 v38, -1, 0x80000000, vcc_lo
	v_xor_b32_e32 v158, v38, v158
	v_cmp_ne_u32_e32 vcc_lo, 0x7fffffff, v158
	v_cndmask_b32_e32 v38, 0x80000000, v158, vcc_lo
	v_lshrrev_b32_e32 v38, s53, v38
	v_and_b32_e32 v166, s61, v38
	v_and_b32_e32 v38, 1, v166
	v_lshlrev_b32_e32 v163, 30, v166
	v_lshlrev_b32_e32 v165, 29, v166
	;; [unrolled: 1-line block ×4, first 2 shown]
	v_add_co_u32 v38, s22, v38, -1
	v_cndmask_b32_e64 v169, 0, 1, s22
	v_not_b32_e32 v175, v163
	v_cmp_gt_i32_e64 s22, 0, v163
	v_not_b32_e32 v163, v165
	v_lshlrev_b32_e32 v174, 26, v166
	v_cmp_ne_u32_e32 vcc_lo, 0, v169
	v_ashrrev_i32_e32 v175, 31, v175
	v_lshlrev_b32_e32 v169, 25, v166
	v_ashrrev_i32_e32 v163, 31, v163
	v_xor_b32_e32 v38, vcc_lo, v38
	v_cmp_gt_i32_e32 vcc_lo, 0, v165
	v_not_b32_e32 v165, v170
	v_xor_b32_e32 v175, s22, v175
	v_cmp_gt_i32_e64 s22, 0, v170
	v_and_b32_e32 v38, exec_lo, v38
	v_not_b32_e32 v170, v171
	v_ashrrev_i32_e32 v165, 31, v165
	v_xor_b32_e32 v163, vcc_lo, v163
	v_cmp_gt_i32_e32 vcc_lo, 0, v171
	v_and_b32_e32 v38, v38, v175
	v_not_b32_e32 v171, v174
	v_ashrrev_i32_e32 v170, 31, v170
	v_xor_b32_e32 v165, s22, v165
	v_cmp_gt_i32_e64 s22, 0, v174
	v_and_b32_e32 v38, v38, v163
	v_not_b32_e32 v163, v169
	v_ashrrev_i32_e32 v171, 31, v171
	v_xor_b32_e32 v170, vcc_lo, v170
	v_cmp_gt_i32_e32 vcc_lo, 0, v169
	v_and_b32_e32 v38, v38, v165
	v_ashrrev_i32_e32 v163, 31, v163
	v_xor_b32_e32 v165, s22, v171
	v_mad_u32_u24 v169, v166, 36, v131
	v_mul_u32_u24_e32 v166, 36, v166
	v_and_b32_e32 v38, v38, v170
	v_xor_b32_e32 v170, vcc_lo, v163
	ds_read_b32 v163, v169 offset:544
	v_add_nc_u32_e32 v166, v131, v166
	v_and_b32_e32 v38, v38, v165
	; wave barrier
	v_and_b32_e32 v38, v38, v170
	v_mbcnt_lo_u32_b32 v165, v38, 0
	v_cmp_ne_u32_e64 s22, 0, v38
	v_cmp_eq_u32_e32 vcc_lo, 0, v165
	s_and_b32 s23, s22, vcc_lo
	s_and_saveexec_b32 s22, s23
	s_cbranch_execz .LBB1429_730
; %bb.729:                              ;   in Loop: Header=BB1429_686 Depth=2
	s_waitcnt lgkmcnt(0)
	v_bcnt_u32_b32 v38, v38, v163
	ds_write_b32 v166, v38 offset:544
.LBB1429_730:                           ;   in Loop: Header=BB1429_686 Depth=2
	s_or_b32 exec_lo, exec_lo, s22
	v_cmp_lt_i32_e32 vcc_lo, -1, v162
	; wave barrier
	v_cndmask_b32_e64 v38, -1, 0x80000000, vcc_lo
	v_xor_b32_e32 v162, v38, v162
	v_cmp_ne_u32_e32 vcc_lo, 0x7fffffff, v162
	v_cndmask_b32_e32 v38, 0x80000000, v162, vcc_lo
	v_lshrrev_b32_e32 v38, s53, v38
	v_and_b32_e32 v171, s61, v38
	v_and_b32_e32 v38, 1, v171
	v_lshlrev_b32_e32 v169, 30, v171
	v_lshlrev_b32_e32 v170, 29, v171
	;; [unrolled: 1-line block ×4, first 2 shown]
	v_add_co_u32 v38, s22, v38, -1
	v_cndmask_b32_e64 v174, 0, 1, s22
	v_not_b32_e32 v180, v169
	v_cmp_gt_i32_e64 s22, 0, v169
	v_not_b32_e32 v169, v170
	v_lshlrev_b32_e32 v179, 26, v171
	v_cmp_ne_u32_e32 vcc_lo, 0, v174
	v_ashrrev_i32_e32 v180, 31, v180
	v_lshlrev_b32_e32 v174, 25, v171
	v_ashrrev_i32_e32 v169, 31, v169
	v_xor_b32_e32 v38, vcc_lo, v38
	v_cmp_gt_i32_e32 vcc_lo, 0, v170
	v_not_b32_e32 v170, v175
	v_xor_b32_e32 v180, s22, v180
	v_cmp_gt_i32_e64 s22, 0, v175
	v_and_b32_e32 v38, exec_lo, v38
	v_not_b32_e32 v175, v177
	v_ashrrev_i32_e32 v170, 31, v170
	v_xor_b32_e32 v169, vcc_lo, v169
	v_cmp_gt_i32_e32 vcc_lo, 0, v177
	v_and_b32_e32 v38, v38, v180
	v_not_b32_e32 v177, v179
	v_ashrrev_i32_e32 v175, 31, v175
	v_xor_b32_e32 v170, s22, v170
	v_cmp_gt_i32_e64 s22, 0, v179
	v_and_b32_e32 v38, v38, v169
	v_not_b32_e32 v169, v174
	v_ashrrev_i32_e32 v177, 31, v177
	v_xor_b32_e32 v175, vcc_lo, v175
	v_cmp_gt_i32_e32 vcc_lo, 0, v174
	v_and_b32_e32 v38, v38, v170
	v_ashrrev_i32_e32 v169, 31, v169
	v_xor_b32_e32 v170, s22, v177
	v_mad_u32_u24 v174, v171, 36, v131
	v_mul_u32_u24_e32 v171, 36, v171
	v_and_b32_e32 v38, v38, v175
	v_xor_b32_e32 v175, vcc_lo, v169
	ds_read_b32 v169, v174 offset:544
	v_add_nc_u32_e32 v171, v131, v171
	v_and_b32_e32 v38, v38, v170
	; wave barrier
	v_and_b32_e32 v38, v38, v175
	v_mbcnt_lo_u32_b32 v170, v38, 0
	v_cmp_ne_u32_e64 s22, 0, v38
	v_cmp_eq_u32_e32 vcc_lo, 0, v170
	s_and_b32 s23, s22, vcc_lo
	s_and_saveexec_b32 s22, s23
	s_cbranch_execz .LBB1429_732
; %bb.731:                              ;   in Loop: Header=BB1429_686 Depth=2
	s_waitcnt lgkmcnt(0)
	v_bcnt_u32_b32 v38, v38, v169
	ds_write_b32 v171, v38 offset:544
.LBB1429_732:                           ;   in Loop: Header=BB1429_686 Depth=2
	s_or_b32 exec_lo, exec_lo, s22
	v_cmp_lt_i32_e32 vcc_lo, -1, v168
	; wave barrier
	v_cndmask_b32_e64 v38, -1, 0x80000000, vcc_lo
	v_xor_b32_e32 v168, v38, v168
	v_cmp_ne_u32_e32 vcc_lo, 0x7fffffff, v168
	v_cndmask_b32_e32 v38, 0x80000000, v168, vcc_lo
	v_lshrrev_b32_e32 v38, s53, v38
	v_and_b32_e32 v177, s61, v38
	v_and_b32_e32 v38, 1, v177
	v_lshlrev_b32_e32 v174, 30, v177
	v_lshlrev_b32_e32 v175, 29, v177
	v_lshlrev_b32_e32 v180, 28, v177
	v_lshlrev_b32_e32 v182, 27, v177
	v_add_co_u32 v38, s22, v38, -1
	v_cndmask_b32_e64 v179, 0, 1, s22
	v_not_b32_e32 v184, v174
	v_cmp_gt_i32_e64 s22, 0, v174
	v_not_b32_e32 v174, v175
	v_lshlrev_b32_e32 v183, 26, v177
	v_cmp_ne_u32_e32 vcc_lo, 0, v179
	v_ashrrev_i32_e32 v184, 31, v184
	v_lshlrev_b32_e32 v179, 25, v177
	v_ashrrev_i32_e32 v174, 31, v174
	v_xor_b32_e32 v38, vcc_lo, v38
	v_cmp_gt_i32_e32 vcc_lo, 0, v175
	v_not_b32_e32 v175, v180
	v_xor_b32_e32 v184, s22, v184
	v_cmp_gt_i32_e64 s22, 0, v180
	v_and_b32_e32 v38, exec_lo, v38
	v_not_b32_e32 v180, v182
	v_ashrrev_i32_e32 v175, 31, v175
	v_xor_b32_e32 v174, vcc_lo, v174
	v_cmp_gt_i32_e32 vcc_lo, 0, v182
	v_and_b32_e32 v38, v38, v184
	v_not_b32_e32 v182, v183
	v_ashrrev_i32_e32 v180, 31, v180
	v_xor_b32_e32 v175, s22, v175
	v_cmp_gt_i32_e64 s22, 0, v183
	v_and_b32_e32 v38, v38, v174
	v_not_b32_e32 v174, v179
	v_ashrrev_i32_e32 v182, 31, v182
	v_xor_b32_e32 v180, vcc_lo, v180
	v_cmp_gt_i32_e32 vcc_lo, 0, v179
	v_and_b32_e32 v38, v38, v175
	v_ashrrev_i32_e32 v174, 31, v174
	v_xor_b32_e32 v175, s22, v182
	v_mad_u32_u24 v179, v177, 36, v131
	v_mul_u32_u24_e32 v177, 36, v177
	v_and_b32_e32 v38, v38, v180
	v_xor_b32_e32 v180, vcc_lo, v174
	ds_read_b32 v174, v179 offset:544
	v_add_nc_u32_e32 v177, v131, v177
	v_and_b32_e32 v38, v38, v175
	; wave barrier
	v_and_b32_e32 v38, v38, v180
	v_mbcnt_lo_u32_b32 v175, v38, 0
	v_cmp_ne_u32_e64 s22, 0, v38
	v_cmp_eq_u32_e32 vcc_lo, 0, v175
	s_and_b32 s23, s22, vcc_lo
	s_and_saveexec_b32 s22, s23
	s_cbranch_execz .LBB1429_734
; %bb.733:                              ;   in Loop: Header=BB1429_686 Depth=2
	s_waitcnt lgkmcnt(0)
	v_bcnt_u32_b32 v38, v38, v174
	ds_write_b32 v177, v38 offset:544
.LBB1429_734:                           ;   in Loop: Header=BB1429_686 Depth=2
	s_or_b32 exec_lo, exec_lo, s22
	v_cmp_lt_i32_e32 vcc_lo, -1, v173
	; wave barrier
	v_cndmask_b32_e64 v38, -1, 0x80000000, vcc_lo
	v_xor_b32_e32 v173, v38, v173
	v_cmp_ne_u32_e32 vcc_lo, 0x7fffffff, v173
	v_cndmask_b32_e32 v38, 0x80000000, v173, vcc_lo
	v_lshrrev_b32_e32 v38, s53, v38
	v_and_b32_e32 v182, s61, v38
	v_and_b32_e32 v38, 1, v182
	v_lshlrev_b32_e32 v179, 30, v182
	v_lshlrev_b32_e32 v180, 29, v182
	;; [unrolled: 1-line block ×4, first 2 shown]
	v_add_co_u32 v38, s22, v38, -1
	v_cndmask_b32_e64 v183, 0, 1, s22
	v_not_b32_e32 v187, v179
	v_cmp_gt_i32_e64 s22, 0, v179
	v_not_b32_e32 v179, v180
	v_lshlrev_b32_e32 v186, 26, v182
	v_cmp_ne_u32_e32 vcc_lo, 0, v183
	v_ashrrev_i32_e32 v187, 31, v187
	v_lshlrev_b32_e32 v183, 25, v182
	v_ashrrev_i32_e32 v179, 31, v179
	v_xor_b32_e32 v38, vcc_lo, v38
	v_cmp_gt_i32_e32 vcc_lo, 0, v180
	v_not_b32_e32 v180, v184
	v_xor_b32_e32 v187, s22, v187
	v_cmp_gt_i32_e64 s22, 0, v184
	v_and_b32_e32 v38, exec_lo, v38
	v_not_b32_e32 v184, v185
	v_ashrrev_i32_e32 v180, 31, v180
	v_xor_b32_e32 v179, vcc_lo, v179
	v_cmp_gt_i32_e32 vcc_lo, 0, v185
	v_and_b32_e32 v38, v38, v187
	v_not_b32_e32 v185, v186
	v_ashrrev_i32_e32 v184, 31, v184
	v_xor_b32_e32 v180, s22, v180
	v_cmp_gt_i32_e64 s22, 0, v186
	v_and_b32_e32 v38, v38, v179
	v_not_b32_e32 v179, v183
	v_ashrrev_i32_e32 v185, 31, v185
	v_xor_b32_e32 v184, vcc_lo, v184
	v_cmp_gt_i32_e32 vcc_lo, 0, v183
	v_and_b32_e32 v38, v38, v180
	v_ashrrev_i32_e32 v179, 31, v179
	v_xor_b32_e32 v180, s22, v185
	v_mad_u32_u24 v183, v182, 36, v131
	v_mul_u32_u24_e32 v182, 36, v182
	v_and_b32_e32 v38, v38, v184
	v_xor_b32_e32 v184, vcc_lo, v179
	ds_read_b32 v179, v183 offset:544
	v_add_nc_u32_e32 v182, v131, v182
	v_and_b32_e32 v38, v38, v180
	; wave barrier
	v_and_b32_e32 v38, v38, v184
	v_mbcnt_lo_u32_b32 v180, v38, 0
	v_cmp_ne_u32_e64 s22, 0, v38
	v_cmp_eq_u32_e32 vcc_lo, 0, v180
	s_and_b32 s23, s22, vcc_lo
	s_and_saveexec_b32 s22, s23
	s_cbranch_execz .LBB1429_736
; %bb.735:                              ;   in Loop: Header=BB1429_686 Depth=2
	s_waitcnt lgkmcnt(0)
	v_bcnt_u32_b32 v38, v38, v179
	ds_write_b32 v182, v38 offset:544
.LBB1429_736:                           ;   in Loop: Header=BB1429_686 Depth=2
	s_or_b32 exec_lo, exec_lo, s22
	v_cmp_lt_i32_e32 vcc_lo, -1, v178
	; wave barrier
	v_cndmask_b32_e64 v38, -1, 0x80000000, vcc_lo
	v_xor_b32_e32 v178, v38, v178
	v_cmp_ne_u32_e32 vcc_lo, 0x7fffffff, v178
	v_cndmask_b32_e32 v38, 0x80000000, v178, vcc_lo
	v_lshrrev_b32_e32 v38, s53, v38
	v_and_b32_e32 v185, s61, v38
	v_and_b32_e32 v38, 1, v185
	v_lshlrev_b32_e32 v183, 30, v185
	v_lshlrev_b32_e32 v184, 29, v185
	;; [unrolled: 1-line block ×4, first 2 shown]
	v_add_co_u32 v38, s22, v38, -1
	v_cndmask_b32_e64 v186, 0, 1, s22
	v_not_b32_e32 v190, v183
	v_cmp_gt_i32_e64 s22, 0, v183
	v_not_b32_e32 v183, v184
	v_lshlrev_b32_e32 v189, 26, v185
	v_cmp_ne_u32_e32 vcc_lo, 0, v186
	v_ashrrev_i32_e32 v190, 31, v190
	v_lshlrev_b32_e32 v186, 25, v185
	v_ashrrev_i32_e32 v183, 31, v183
	v_xor_b32_e32 v38, vcc_lo, v38
	v_cmp_gt_i32_e32 vcc_lo, 0, v184
	v_not_b32_e32 v184, v187
	v_xor_b32_e32 v190, s22, v190
	v_cmp_gt_i32_e64 s22, 0, v187
	v_and_b32_e32 v38, exec_lo, v38
	v_not_b32_e32 v187, v188
	v_ashrrev_i32_e32 v184, 31, v184
	v_xor_b32_e32 v183, vcc_lo, v183
	v_cmp_gt_i32_e32 vcc_lo, 0, v188
	v_and_b32_e32 v38, v38, v190
	v_not_b32_e32 v188, v189
	v_ashrrev_i32_e32 v187, 31, v187
	v_xor_b32_e32 v184, s22, v184
	v_cmp_gt_i32_e64 s22, 0, v189
	v_and_b32_e32 v38, v38, v183
	v_not_b32_e32 v183, v186
	v_ashrrev_i32_e32 v188, 31, v188
	v_xor_b32_e32 v187, vcc_lo, v187
	v_cmp_gt_i32_e32 vcc_lo, 0, v186
	v_and_b32_e32 v38, v38, v184
	v_ashrrev_i32_e32 v183, 31, v183
	v_xor_b32_e32 v184, s22, v188
	v_mad_u32_u24 v186, v185, 36, v131
	v_mul_u32_u24_e32 v185, 36, v185
	v_and_b32_e32 v38, v38, v187
	v_xor_b32_e32 v187, vcc_lo, v183
	ds_read_b32 v183, v186 offset:544
	v_add_nc_u32_e32 v185, v131, v185
	v_and_b32_e32 v38, v38, v184
	; wave barrier
	v_and_b32_e32 v38, v38, v187
	v_mbcnt_lo_u32_b32 v184, v38, 0
	v_cmp_ne_u32_e64 s22, 0, v38
	v_cmp_eq_u32_e32 vcc_lo, 0, v184
	s_and_b32 s23, s22, vcc_lo
	s_and_saveexec_b32 s22, s23
	s_cbranch_execz .LBB1429_738
; %bb.737:                              ;   in Loop: Header=BB1429_686 Depth=2
	s_waitcnt lgkmcnt(0)
	v_bcnt_u32_b32 v38, v38, v183
	ds_write_b32 v185, v38 offset:544
.LBB1429_738:                           ;   in Loop: Header=BB1429_686 Depth=2
	s_or_b32 exec_lo, exec_lo, s22
	v_cmp_lt_i32_e32 vcc_lo, -1, v181
	; wave barrier
	v_cndmask_b32_e64 v38, -1, 0x80000000, vcc_lo
	v_xor_b32_e32 v181, v38, v181
	v_cmp_ne_u32_e32 vcc_lo, 0x7fffffff, v181
	v_cndmask_b32_e32 v38, 0x80000000, v181, vcc_lo
	v_lshrrev_b32_e32 v38, s53, v38
	v_and_b32_e32 v188, s61, v38
	v_and_b32_e32 v38, 1, v188
	v_lshlrev_b32_e32 v186, 30, v188
	v_lshlrev_b32_e32 v187, 29, v188
	;; [unrolled: 1-line block ×4, first 2 shown]
	v_add_co_u32 v38, s22, v38, -1
	v_cndmask_b32_e64 v189, 0, 1, s22
	v_not_b32_e32 v193, v186
	v_cmp_gt_i32_e64 s22, 0, v186
	v_not_b32_e32 v186, v187
	v_lshlrev_b32_e32 v192, 26, v188
	v_cmp_ne_u32_e32 vcc_lo, 0, v189
	v_ashrrev_i32_e32 v193, 31, v193
	v_lshlrev_b32_e32 v189, 25, v188
	v_ashrrev_i32_e32 v186, 31, v186
	v_xor_b32_e32 v38, vcc_lo, v38
	v_cmp_gt_i32_e32 vcc_lo, 0, v187
	v_not_b32_e32 v187, v190
	v_xor_b32_e32 v193, s22, v193
	v_cmp_gt_i32_e64 s22, 0, v190
	v_and_b32_e32 v38, exec_lo, v38
	v_not_b32_e32 v190, v191
	v_ashrrev_i32_e32 v187, 31, v187
	v_xor_b32_e32 v186, vcc_lo, v186
	v_cmp_gt_i32_e32 vcc_lo, 0, v191
	v_and_b32_e32 v38, v38, v193
	v_not_b32_e32 v191, v192
	v_ashrrev_i32_e32 v190, 31, v190
	v_xor_b32_e32 v187, s22, v187
	v_cmp_gt_i32_e64 s22, 0, v192
	v_and_b32_e32 v38, v38, v186
	v_not_b32_e32 v186, v189
	v_ashrrev_i32_e32 v191, 31, v191
	v_xor_b32_e32 v190, vcc_lo, v190
	v_cmp_gt_i32_e32 vcc_lo, 0, v189
	v_and_b32_e32 v38, v38, v187
	v_ashrrev_i32_e32 v186, 31, v186
	v_xor_b32_e32 v187, s22, v191
	v_mad_u32_u24 v189, v188, 36, v131
	v_mul_u32_u24_e32 v188, 36, v188
	v_and_b32_e32 v38, v38, v190
	v_xor_b32_e32 v190, vcc_lo, v186
	ds_read_b32 v186, v189 offset:544
	v_add_nc_u32_e32 v188, v131, v188
	v_and_b32_e32 v38, v38, v187
	; wave barrier
	v_and_b32_e32 v38, v38, v190
	v_mbcnt_lo_u32_b32 v187, v38, 0
	v_cmp_ne_u32_e64 s22, 0, v38
	v_cmp_eq_u32_e32 vcc_lo, 0, v187
	s_and_b32 s23, s22, vcc_lo
	s_and_saveexec_b32 s22, s23
	s_cbranch_execz .LBB1429_740
; %bb.739:                              ;   in Loop: Header=BB1429_686 Depth=2
	s_waitcnt lgkmcnt(0)
	v_bcnt_u32_b32 v38, v38, v186
	ds_write_b32 v188, v38 offset:544
.LBB1429_740:                           ;   in Loop: Header=BB1429_686 Depth=2
	s_or_b32 exec_lo, exec_lo, s22
	v_cmp_lt_i32_e32 vcc_lo, -1, v176
	; wave barrier
	v_cndmask_b32_e64 v38, -1, 0x80000000, vcc_lo
	v_xor_b32_e32 v176, v38, v176
	v_cmp_ne_u32_e32 vcc_lo, 0x7fffffff, v176
	v_cndmask_b32_e32 v38, 0x80000000, v176, vcc_lo
	v_lshrrev_b32_e32 v38, s53, v38
	v_and_b32_e32 v191, s61, v38
	v_and_b32_e32 v38, 1, v191
	v_lshlrev_b32_e32 v189, 30, v191
	v_lshlrev_b32_e32 v190, 29, v191
	;; [unrolled: 1-line block ×4, first 2 shown]
	v_add_co_u32 v38, s22, v38, -1
	v_cndmask_b32_e64 v192, 0, 1, s22
	v_not_b32_e32 v196, v189
	v_cmp_gt_i32_e64 s22, 0, v189
	v_not_b32_e32 v189, v190
	v_lshlrev_b32_e32 v195, 26, v191
	v_cmp_ne_u32_e32 vcc_lo, 0, v192
	v_ashrrev_i32_e32 v196, 31, v196
	v_lshlrev_b32_e32 v192, 25, v191
	v_ashrrev_i32_e32 v189, 31, v189
	v_xor_b32_e32 v38, vcc_lo, v38
	v_cmp_gt_i32_e32 vcc_lo, 0, v190
	v_not_b32_e32 v190, v193
	v_xor_b32_e32 v196, s22, v196
	v_cmp_gt_i32_e64 s22, 0, v193
	v_and_b32_e32 v38, exec_lo, v38
	v_not_b32_e32 v193, v194
	v_ashrrev_i32_e32 v190, 31, v190
	v_xor_b32_e32 v189, vcc_lo, v189
	v_cmp_gt_i32_e32 vcc_lo, 0, v194
	v_and_b32_e32 v38, v38, v196
	v_not_b32_e32 v194, v195
	v_ashrrev_i32_e32 v193, 31, v193
	v_xor_b32_e32 v190, s22, v190
	v_cmp_gt_i32_e64 s22, 0, v195
	v_and_b32_e32 v38, v38, v189
	v_not_b32_e32 v189, v192
	v_ashrrev_i32_e32 v194, 31, v194
	v_xor_b32_e32 v193, vcc_lo, v193
	v_cmp_gt_i32_e32 vcc_lo, 0, v192
	v_and_b32_e32 v38, v38, v190
	v_ashrrev_i32_e32 v189, 31, v189
	v_xor_b32_e32 v190, s22, v194
	v_mad_u32_u24 v192, v191, 36, v131
	v_mul_u32_u24_e32 v191, 36, v191
	v_and_b32_e32 v38, v38, v193
	v_xor_b32_e32 v193, vcc_lo, v189
	ds_read_b32 v189, v192 offset:544
	v_add_nc_u32_e32 v191, v131, v191
	v_and_b32_e32 v38, v38, v190
	; wave barrier
	v_and_b32_e32 v38, v38, v193
	v_mbcnt_lo_u32_b32 v190, v38, 0
	v_cmp_ne_u32_e64 s22, 0, v38
	v_cmp_eq_u32_e32 vcc_lo, 0, v190
	s_and_b32 s23, s22, vcc_lo
	s_and_saveexec_b32 s22, s23
	s_cbranch_execz .LBB1429_742
; %bb.741:                              ;   in Loop: Header=BB1429_686 Depth=2
	s_waitcnt lgkmcnt(0)
	v_bcnt_u32_b32 v38, v38, v189
	ds_write_b32 v191, v38 offset:544
.LBB1429_742:                           ;   in Loop: Header=BB1429_686 Depth=2
	s_or_b32 exec_lo, exec_lo, s22
	v_cmp_lt_i32_e32 vcc_lo, -1, v172
	; wave barrier
	v_cndmask_b32_e64 v38, -1, 0x80000000, vcc_lo
	v_xor_b32_e32 v172, v38, v172
	v_cmp_ne_u32_e32 vcc_lo, 0x7fffffff, v172
	v_cndmask_b32_e32 v38, 0x80000000, v172, vcc_lo
	v_lshrrev_b32_e32 v38, s53, v38
	v_and_b32_e32 v192, s61, v38
	v_and_b32_e32 v38, 1, v192
	v_lshlrev_b32_e32 v193, 30, v192
	v_lshlrev_b32_e32 v194, 29, v192
	;; [unrolled: 1-line block ×4, first 2 shown]
	v_add_co_u32 v38, s22, v38, -1
	v_cndmask_b32_e64 v195, 0, 1, s22
	v_not_b32_e32 v199, v193
	v_cmp_gt_i32_e64 s22, 0, v193
	v_not_b32_e32 v193, v194
	v_lshlrev_b32_e32 v198, 26, v192
	v_cmp_ne_u32_e32 vcc_lo, 0, v195
	v_ashrrev_i32_e32 v199, 31, v199
	v_lshlrev_b32_e32 v195, 25, v192
	v_ashrrev_i32_e32 v193, 31, v193
	v_xor_b32_e32 v38, vcc_lo, v38
	v_cmp_gt_i32_e32 vcc_lo, 0, v194
	v_not_b32_e32 v194, v196
	v_xor_b32_e32 v199, s22, v199
	v_cmp_gt_i32_e64 s22, 0, v196
	v_and_b32_e32 v38, exec_lo, v38
	v_not_b32_e32 v196, v197
	v_ashrrev_i32_e32 v194, 31, v194
	v_xor_b32_e32 v193, vcc_lo, v193
	v_cmp_gt_i32_e32 vcc_lo, 0, v197
	v_and_b32_e32 v38, v38, v199
	v_not_b32_e32 v197, v198
	v_ashrrev_i32_e32 v196, 31, v196
	v_xor_b32_e32 v194, s22, v194
	v_cmp_gt_i32_e64 s22, 0, v198
	v_and_b32_e32 v38, v38, v193
	v_not_b32_e32 v193, v195
	v_ashrrev_i32_e32 v197, 31, v197
	v_xor_b32_e32 v196, vcc_lo, v196
	v_cmp_gt_i32_e32 vcc_lo, 0, v195
	v_and_b32_e32 v38, v38, v194
	v_ashrrev_i32_e32 v193, 31, v193
	v_xor_b32_e32 v194, s22, v197
	v_mad_u32_u24 v195, v192, 36, v131
	v_mul_u32_u24_e32 v192, 36, v192
	v_and_b32_e32 v38, v38, v196
	v_xor_b32_e32 v196, vcc_lo, v193
	ds_read_b32 v193, v195 offset:544
	v_add_nc_u32_e32 v195, v131, v192
	v_and_b32_e32 v38, v38, v194
	; wave barrier
	v_and_b32_e32 v38, v38, v196
	v_mbcnt_lo_u32_b32 v194, v38, 0
	v_cmp_ne_u32_e64 s22, 0, v38
	v_cmp_eq_u32_e32 vcc_lo, 0, v194
	s_and_b32 s23, s22, vcc_lo
	s_and_saveexec_b32 s22, s23
	s_cbranch_execz .LBB1429_744
; %bb.743:                              ;   in Loop: Header=BB1429_686 Depth=2
	s_waitcnt lgkmcnt(0)
	v_bcnt_u32_b32 v38, v38, v193
	ds_write_b32 v195, v38 offset:544
.LBB1429_744:                           ;   in Loop: Header=BB1429_686 Depth=2
	s_or_b32 exec_lo, exec_lo, s22
	v_cmp_lt_i32_e32 vcc_lo, -1, v167
	; wave barrier
	v_cndmask_b32_e64 v38, -1, 0x80000000, vcc_lo
	v_xor_b32_e32 v192, v38, v167
	v_cmp_ne_u32_e32 vcc_lo, 0x7fffffff, v192
	v_cndmask_b32_e32 v38, 0x80000000, v192, vcc_lo
	v_lshrrev_b32_e32 v38, s53, v38
	v_and_b32_e32 v167, s61, v38
	v_and_b32_e32 v38, 1, v167
	v_lshlrev_b32_e32 v196, 30, v167
	v_lshlrev_b32_e32 v197, 29, v167
	v_lshlrev_b32_e32 v199, 28, v167
	v_lshlrev_b32_e32 v200, 27, v167
	v_add_co_u32 v38, s22, v38, -1
	v_cndmask_b32_e64 v198, 0, 1, s22
	v_not_b32_e32 v202, v196
	v_cmp_gt_i32_e64 s22, 0, v196
	v_not_b32_e32 v196, v197
	v_lshlrev_b32_e32 v201, 26, v167
	v_cmp_ne_u32_e32 vcc_lo, 0, v198
	v_ashrrev_i32_e32 v202, 31, v202
	v_lshlrev_b32_e32 v198, 25, v167
	v_ashrrev_i32_e32 v196, 31, v196
	v_xor_b32_e32 v38, vcc_lo, v38
	v_cmp_gt_i32_e32 vcc_lo, 0, v197
	v_not_b32_e32 v197, v199
	v_xor_b32_e32 v202, s22, v202
	v_cmp_gt_i32_e64 s22, 0, v199
	v_and_b32_e32 v38, exec_lo, v38
	v_not_b32_e32 v199, v200
	v_ashrrev_i32_e32 v197, 31, v197
	v_xor_b32_e32 v196, vcc_lo, v196
	v_cmp_gt_i32_e32 vcc_lo, 0, v200
	v_and_b32_e32 v38, v38, v202
	v_not_b32_e32 v200, v201
	v_ashrrev_i32_e32 v199, 31, v199
	v_xor_b32_e32 v197, s22, v197
	v_cmp_gt_i32_e64 s22, 0, v201
	v_and_b32_e32 v38, v38, v196
	v_not_b32_e32 v196, v198
	v_ashrrev_i32_e32 v200, 31, v200
	v_xor_b32_e32 v199, vcc_lo, v199
	v_cmp_gt_i32_e32 vcc_lo, 0, v198
	v_and_b32_e32 v38, v38, v197
	v_ashrrev_i32_e32 v196, 31, v196
	v_xor_b32_e32 v197, s22, v200
	v_mad_u32_u24 v198, v167, 36, v131
	v_mul_u32_u24_e32 v167, 36, v167
	v_and_b32_e32 v38, v38, v199
	v_xor_b32_e32 v196, vcc_lo, v196
	v_add_nc_u32_e32 v167, v131, v167
	v_and_b32_e32 v38, v38, v197
	ds_read_b32 v197, v198 offset:544
	; wave barrier
	v_and_b32_e32 v38, v38, v196
	v_mbcnt_lo_u32_b32 v198, v38, 0
	v_cmp_ne_u32_e64 s22, 0, v38
	v_cmp_eq_u32_e32 vcc_lo, 0, v198
	s_and_b32 s23, s22, vcc_lo
	s_and_saveexec_b32 s22, s23
	s_cbranch_execz .LBB1429_746
; %bb.745:                              ;   in Loop: Header=BB1429_686 Depth=2
	s_waitcnt lgkmcnt(0)
	v_bcnt_u32_b32 v38, v38, v197
	ds_write_b32 v167, v38 offset:544
.LBB1429_746:                           ;   in Loop: Header=BB1429_686 Depth=2
	s_or_b32 exec_lo, exec_lo, s22
	v_cmp_lt_i32_e32 vcc_lo, -1, v164
	; wave barrier
	v_cndmask_b32_e64 v38, -1, 0x80000000, vcc_lo
	v_xor_b32_e32 v196, v38, v164
	v_cmp_ne_u32_e32 vcc_lo, 0x7fffffff, v196
	v_cndmask_b32_e32 v38, 0x80000000, v196, vcc_lo
	v_lshrrev_b32_e32 v38, s53, v38
	v_and_b32_e32 v164, s61, v38
	v_and_b32_e32 v38, 1, v164
	v_lshlrev_b32_e32 v199, 30, v164
	v_lshlrev_b32_e32 v200, 29, v164
	v_lshlrev_b32_e32 v202, 28, v164
	v_lshlrev_b32_e32 v203, 27, v164
	v_add_co_u32 v38, s22, v38, -1
	v_cndmask_b32_e64 v201, 0, 1, s22
	v_not_b32_e32 v205, v199
	v_cmp_gt_i32_e64 s22, 0, v199
	v_not_b32_e32 v199, v200
	v_lshlrev_b32_e32 v204, 26, v164
	v_cmp_ne_u32_e32 vcc_lo, 0, v201
	v_ashrrev_i32_e32 v205, 31, v205
	v_lshlrev_b32_e32 v201, 25, v164
	v_ashrrev_i32_e32 v199, 31, v199
	v_xor_b32_e32 v38, vcc_lo, v38
	v_cmp_gt_i32_e32 vcc_lo, 0, v200
	v_not_b32_e32 v200, v202
	v_xor_b32_e32 v205, s22, v205
	v_cmp_gt_i32_e64 s22, 0, v202
	v_and_b32_e32 v38, exec_lo, v38
	v_not_b32_e32 v202, v203
	v_ashrrev_i32_e32 v200, 31, v200
	v_xor_b32_e32 v199, vcc_lo, v199
	v_cmp_gt_i32_e32 vcc_lo, 0, v203
	v_and_b32_e32 v38, v38, v205
	v_not_b32_e32 v203, v204
	v_ashrrev_i32_e32 v202, 31, v202
	v_xor_b32_e32 v200, s22, v200
	v_cmp_gt_i32_e64 s22, 0, v204
	v_and_b32_e32 v38, v38, v199
	v_not_b32_e32 v199, v201
	v_ashrrev_i32_e32 v203, 31, v203
	v_xor_b32_e32 v202, vcc_lo, v202
	v_cmp_gt_i32_e32 vcc_lo, 0, v201
	v_and_b32_e32 v38, v38, v200
	v_ashrrev_i32_e32 v199, 31, v199
	v_xor_b32_e32 v200, s22, v203
	v_mad_u32_u24 v201, v164, 36, v131
	v_mul_u32_u24_e32 v164, 36, v164
	v_and_b32_e32 v38, v38, v202
	v_xor_b32_e32 v199, vcc_lo, v199
	v_add_nc_u32_e32 v164, v131, v164
	v_and_b32_e32 v38, v38, v200
	ds_read_b32 v200, v201 offset:544
	; wave barrier
	v_and_b32_e32 v38, v38, v199
	v_mbcnt_lo_u32_b32 v201, v38, 0
	v_cmp_ne_u32_e64 s22, 0, v38
	v_cmp_eq_u32_e32 vcc_lo, 0, v201
	s_and_b32 s23, s22, vcc_lo
	s_and_saveexec_b32 s22, s23
	s_cbranch_execz .LBB1429_748
; %bb.747:                              ;   in Loop: Header=BB1429_686 Depth=2
	s_waitcnt lgkmcnt(0)
	v_bcnt_u32_b32 v38, v38, v200
	ds_write_b32 v164, v38 offset:544
.LBB1429_748:                           ;   in Loop: Header=BB1429_686 Depth=2
	s_or_b32 exec_lo, exec_lo, s22
	v_cmp_lt_i32_e32 vcc_lo, -1, v40
	; wave barrier
	v_cndmask_b32_e64 v38, -1, 0x80000000, vcc_lo
	v_xor_b32_e32 v199, v38, v40
	v_cmp_ne_u32_e32 vcc_lo, 0x7fffffff, v199
	v_cndmask_b32_e32 v38, 0x80000000, v199, vcc_lo
	v_lshrrev_b32_e32 v38, s53, v38
	v_and_b32_e32 v40, s61, v38
	v_and_b32_e32 v38, 1, v40
	v_lshlrev_b32_e32 v202, 30, v40
	v_lshlrev_b32_e32 v203, 29, v40
	;; [unrolled: 1-line block ×4, first 2 shown]
	v_add_co_u32 v38, s22, v38, -1
	v_cndmask_b32_e64 v204, 0, 1, s22
	v_not_b32_e32 v208, v202
	v_cmp_gt_i32_e64 s22, 0, v202
	v_not_b32_e32 v202, v203
	v_lshlrev_b32_e32 v207, 26, v40
	v_cmp_ne_u32_e32 vcc_lo, 0, v204
	v_ashrrev_i32_e32 v208, 31, v208
	v_lshlrev_b32_e32 v204, 25, v40
	v_ashrrev_i32_e32 v202, 31, v202
	v_xor_b32_e32 v38, vcc_lo, v38
	v_cmp_gt_i32_e32 vcc_lo, 0, v203
	v_not_b32_e32 v203, v205
	v_xor_b32_e32 v208, s22, v208
	v_cmp_gt_i32_e64 s22, 0, v205
	v_and_b32_e32 v38, exec_lo, v38
	v_not_b32_e32 v205, v206
	v_ashrrev_i32_e32 v203, 31, v203
	v_xor_b32_e32 v202, vcc_lo, v202
	v_cmp_gt_i32_e32 vcc_lo, 0, v206
	v_and_b32_e32 v38, v38, v208
	v_not_b32_e32 v206, v207
	v_ashrrev_i32_e32 v205, 31, v205
	v_xor_b32_e32 v203, s22, v203
	v_cmp_gt_i32_e64 s22, 0, v207
	v_and_b32_e32 v38, v38, v202
	v_not_b32_e32 v202, v204
	v_ashrrev_i32_e32 v206, 31, v206
	v_xor_b32_e32 v205, vcc_lo, v205
	v_cmp_gt_i32_e32 vcc_lo, 0, v204
	v_and_b32_e32 v38, v38, v203
	v_ashrrev_i32_e32 v202, 31, v202
	v_xor_b32_e32 v203, s22, v206
	v_mad_u32_u24 v204, v40, 36, v131
	v_mul_u32_u24_e32 v40, 36, v40
	v_and_b32_e32 v38, v38, v205
	v_xor_b32_e32 v202, vcc_lo, v202
	v_add_nc_u32_e32 v205, v131, v40
	v_and_b32_e32 v38, v38, v203
	ds_read_b32 v203, v204 offset:544
	; wave barrier
	v_and_b32_e32 v38, v38, v202
	v_mbcnt_lo_u32_b32 v204, v38, 0
	v_cmp_ne_u32_e64 s22, 0, v38
	v_cmp_eq_u32_e32 vcc_lo, 0, v204
	s_and_b32 s23, s22, vcc_lo
	s_and_saveexec_b32 s22, s23
	s_cbranch_execz .LBB1429_750
; %bb.749:                              ;   in Loop: Header=BB1429_686 Depth=2
	s_waitcnt lgkmcnt(0)
	v_bcnt_u32_b32 v38, v38, v203
	ds_write_b32 v205, v38 offset:544
.LBB1429_750:                           ;   in Loop: Header=BB1429_686 Depth=2
	s_or_b32 exec_lo, exec_lo, s22
	v_cmp_lt_i32_e32 vcc_lo, -1, v39
	; wave barrier
	v_cndmask_b32_e64 v38, -1, 0x80000000, vcc_lo
	v_xor_b32_e32 v202, v38, v39
	v_cmp_ne_u32_e32 vcc_lo, 0x7fffffff, v202
	v_cndmask_b32_e32 v38, 0x80000000, v202, vcc_lo
	v_lshrrev_b32_e32 v38, s53, v38
	v_and_b32_e32 v39, s61, v38
	v_and_b32_e32 v38, 1, v39
	v_lshlrev_b32_e32 v40, 30, v39
	v_lshlrev_b32_e32 v206, 29, v39
	;; [unrolled: 1-line block ×4, first 2 shown]
	v_add_co_u32 v38, s22, v38, -1
	v_cndmask_b32_e64 v207, 0, 1, s22
	v_not_b32_e32 v211, v40
	v_cmp_gt_i32_e64 s22, 0, v40
	v_not_b32_e32 v40, v206
	v_lshlrev_b32_e32 v210, 26, v39
	v_cmp_ne_u32_e32 vcc_lo, 0, v207
	v_ashrrev_i32_e32 v211, 31, v211
	v_lshlrev_b32_e32 v207, 25, v39
	v_ashrrev_i32_e32 v40, 31, v40
	v_xor_b32_e32 v38, vcc_lo, v38
	v_cmp_gt_i32_e32 vcc_lo, 0, v206
	v_not_b32_e32 v206, v208
	v_xor_b32_e32 v211, s22, v211
	v_cmp_gt_i32_e64 s22, 0, v208
	v_and_b32_e32 v38, exec_lo, v38
	v_not_b32_e32 v208, v209
	v_ashrrev_i32_e32 v206, 31, v206
	v_xor_b32_e32 v40, vcc_lo, v40
	v_cmp_gt_i32_e32 vcc_lo, 0, v209
	v_and_b32_e32 v38, v38, v211
	v_not_b32_e32 v209, v210
	v_ashrrev_i32_e32 v208, 31, v208
	v_xor_b32_e32 v206, s22, v206
	v_cmp_gt_i32_e64 s22, 0, v210
	v_and_b32_e32 v38, v38, v40
	v_not_b32_e32 v40, v207
	v_ashrrev_i32_e32 v209, 31, v209
	v_xor_b32_e32 v208, vcc_lo, v208
	v_cmp_gt_i32_e32 vcc_lo, 0, v207
	v_and_b32_e32 v38, v38, v206
	v_ashrrev_i32_e32 v40, 31, v40
	v_xor_b32_e32 v206, s22, v209
	v_mad_u32_u24 v207, v39, 36, v131
	v_mul_u32_u24_e32 v39, 36, v39
	v_and_b32_e32 v38, v38, v208
	v_xor_b32_e32 v40, vcc_lo, v40
	ds_read_b32 v207, v207 offset:544
	v_add_nc_u32_e32 v209, v131, v39
	v_and_b32_e32 v38, v38, v206
	; wave barrier
	v_and_b32_e32 v38, v38, v40
	v_mbcnt_lo_u32_b32 v208, v38, 0
	v_cmp_ne_u32_e64 s22, 0, v38
	v_cmp_eq_u32_e32 vcc_lo, 0, v208
	s_and_b32 s23, s22, vcc_lo
	s_and_saveexec_b32 s22, s23
	s_cbranch_execz .LBB1429_752
; %bb.751:                              ;   in Loop: Header=BB1429_686 Depth=2
	s_waitcnt lgkmcnt(0)
	v_bcnt_u32_b32 v38, v38, v207
	ds_write_b32 v209, v38 offset:544
.LBB1429_752:                           ;   in Loop: Header=BB1429_686 Depth=2
	s_or_b32 exec_lo, exec_lo, s22
	v_cmp_lt_i32_e32 vcc_lo, -1, v37
	; wave barrier
	v_cndmask_b32_e64 v38, -1, 0x80000000, vcc_lo
	v_xor_b32_e32 v206, v38, v37
	v_cmp_ne_u32_e32 vcc_lo, 0x7fffffff, v206
	v_cndmask_b32_e32 v37, 0x80000000, v206, vcc_lo
	v_lshrrev_b32_e32 v37, s53, v37
	v_and_b32_e32 v38, s61, v37
	v_and_b32_e32 v37, 1, v38
	v_lshlrev_b32_e32 v39, 30, v38
	v_lshlrev_b32_e32 v40, 29, v38
	;; [unrolled: 1-line block ×4, first 2 shown]
	v_add_co_u32 v37, s22, v37, -1
	v_cndmask_b32_e64 v210, 0, 1, s22
	v_not_b32_e32 v214, v39
	v_cmp_gt_i32_e64 s22, 0, v39
	v_not_b32_e32 v39, v40
	v_lshlrev_b32_e32 v213, 26, v38
	v_cmp_ne_u32_e32 vcc_lo, 0, v210
	v_ashrrev_i32_e32 v214, 31, v214
	v_lshlrev_b32_e32 v210, 25, v38
	v_ashrrev_i32_e32 v39, 31, v39
	v_xor_b32_e32 v37, vcc_lo, v37
	v_cmp_gt_i32_e32 vcc_lo, 0, v40
	v_not_b32_e32 v40, v211
	v_xor_b32_e32 v214, s22, v214
	v_cmp_gt_i32_e64 s22, 0, v211
	v_and_b32_e32 v37, exec_lo, v37
	v_not_b32_e32 v211, v212
	v_ashrrev_i32_e32 v40, 31, v40
	v_xor_b32_e32 v39, vcc_lo, v39
	v_cmp_gt_i32_e32 vcc_lo, 0, v212
	v_and_b32_e32 v37, v37, v214
	v_not_b32_e32 v212, v213
	v_ashrrev_i32_e32 v211, 31, v211
	v_xor_b32_e32 v40, s22, v40
	v_cmp_gt_i32_e64 s22, 0, v213
	v_and_b32_e32 v37, v37, v39
	v_not_b32_e32 v39, v210
	v_ashrrev_i32_e32 v212, 31, v212
	v_xor_b32_e32 v211, vcc_lo, v211
	v_cmp_gt_i32_e32 vcc_lo, 0, v210
	v_and_b32_e32 v37, v37, v40
	v_ashrrev_i32_e32 v39, 31, v39
	v_xor_b32_e32 v40, s22, v212
	v_mad_u32_u24 v210, v38, 36, v131
	v_mul_u32_u24_e32 v38, 36, v38
	v_and_b32_e32 v37, v37, v211
	v_xor_b32_e32 v39, vcc_lo, v39
	ds_read_b32 v210, v210 offset:544
	v_add_nc_u32_e32 v212, v131, v38
	v_and_b32_e32 v37, v37, v40
	; wave barrier
	v_and_b32_e32 v37, v37, v39
	v_mbcnt_lo_u32_b32 v211, v37, 0
	v_cmp_ne_u32_e64 s22, 0, v37
	v_cmp_eq_u32_e32 vcc_lo, 0, v211
	s_and_b32 s23, s22, vcc_lo
	s_and_saveexec_b32 s22, s23
	s_cbranch_execz .LBB1429_754
; %bb.753:                              ;   in Loop: Header=BB1429_686 Depth=2
	s_waitcnt lgkmcnt(0)
	v_bcnt_u32_b32 v37, v37, v210
	ds_write_b32 v212, v37 offset:544
.LBB1429_754:                           ;   in Loop: Header=BB1429_686 Depth=2
	s_or_b32 exec_lo, exec_lo, s22
	; wave barrier
	s_waitcnt lgkmcnt(0)
	s_barrier
	buffer_gl0_inv
	ds_read2_b32 v[39:40], v65 offset0:136 offset1:137
	ds_read2_b32 v[37:38], v65 offset0:138 offset1:139
	ds_read_b32 v213, v65 offset:560
	s_waitcnt lgkmcnt(1)
	v_add3_u32 v214, v40, v39, v37
	s_waitcnt lgkmcnt(0)
	v_add3_u32 v213, v214, v38, v213
	v_mov_b32_dpp v214, v213 row_shr:1 row_mask:0xf bank_mask:0xf
	v_cndmask_b32_e64 v214, v214, 0, s5
	v_add_nc_u32_e32 v213, v214, v213
	v_mov_b32_dpp v214, v213 row_shr:2 row_mask:0xf bank_mask:0xf
	v_cndmask_b32_e64 v214, 0, v214, s15
	v_add_nc_u32_e32 v213, v213, v214
	;; [unrolled: 3-line block ×4, first 2 shown]
	ds_swizzle_b32 v214, v213 offset:swizzle(BROADCAST,32,15)
	s_waitcnt lgkmcnt(0)
	v_cndmask_b32_e64 v214, v214, 0, s18
	v_add_nc_u32_e32 v213, v213, v214
	s_and_saveexec_b32 s22, s4
; %bb.755:                              ;   in Loop: Header=BB1429_686 Depth=2
	ds_write_b32 v60, v213 offset:512
; %bb.756:                              ;   in Loop: Header=BB1429_686 Depth=2
	s_or_b32 exec_lo, exec_lo, s22
	s_waitcnt lgkmcnt(0)
	s_barrier
	buffer_gl0_inv
	s_and_saveexec_b32 s22, s11
	s_cbranch_execz .LBB1429_758
; %bb.757:                              ;   in Loop: Header=BB1429_686 Depth=2
	ds_read_b32 v214, v66 offset:512
	s_waitcnt lgkmcnt(0)
	v_mov_b32_dpp v215, v214 row_shr:1 row_mask:0xf bank_mask:0xf
	v_cndmask_b32_e64 v215, v215, 0, s19
	v_add_nc_u32_e32 v214, v215, v214
	v_mov_b32_dpp v215, v214 row_shr:2 row_mask:0xf bank_mask:0xf
	v_cndmask_b32_e64 v215, 0, v215, s20
	v_add_nc_u32_e32 v214, v214, v215
	;; [unrolled: 3-line block ×3, first 2 shown]
	ds_write_b32 v66, v214 offset:512
.LBB1429_758:                           ;   in Loop: Header=BB1429_686 Depth=2
	s_or_b32 exec_lo, exec_lo, s22
	v_mov_b32_e32 v214, 0
	s_waitcnt lgkmcnt(0)
	s_barrier
	buffer_gl0_inv
	s_and_saveexec_b32 s22, s10
; %bb.759:                              ;   in Loop: Header=BB1429_686 Depth=2
	ds_read_b32 v214, v60 offset:508
; %bb.760:                              ;   in Loop: Header=BB1429_686 Depth=2
	s_or_b32 exec_lo, exec_lo, s22
	s_waitcnt lgkmcnt(0)
	v_add_nc_u32_e32 v213, v214, v213
	ds_bpermute_b32 v213, v126, v213
	s_waitcnt lgkmcnt(0)
	v_cndmask_b32_e64 v213, v213, v214, s14
	v_cndmask_b32_e64 v213, v213, 0, s12
	v_add_nc_u32_e32 v39, v213, v39
	v_add_nc_u32_e32 v40, v39, v40
	;; [unrolled: 1-line block ×4, first 2 shown]
	ds_write2_b32 v65, v213, v39 offset0:136 offset1:137
	ds_write2_b32 v65, v40, v37 offset0:138 offset1:139
	ds_write_b32 v65, v38 offset:560
	s_waitcnt lgkmcnt(0)
	s_barrier
	buffer_gl0_inv
	ds_read_b32 v39, v153 offset:544
	ds_read_b32 v40, v157 offset:544
	;; [unrolled: 1-line block ×16, first 2 shown]
	s_and_saveexec_b32 s22, s7
	s_cbranch_execz .LBB1429_764
; %bb.761:                              ;   in Loop: Header=BB1429_686 Depth=2
	ds_read_b32 v144, v68 offset:544
	v_mov_b32_e32 v149, 0x1000
	s_and_saveexec_b32 s23, s13
; %bb.762:                              ;   in Loop: Header=BB1429_686 Depth=2
	ds_read_b32 v149, v67 offset:544
; %bb.763:                              ;   in Loop: Header=BB1429_686 Depth=2
	s_or_b32 exec_lo, exec_lo, s23
	s_waitcnt lgkmcnt(0)
	v_sub_nc_u32_e32 v149, v149, v144
.LBB1429_764:                           ;   in Loop: Header=BB1429_686 Depth=2
	s_or_b32 exec_lo, exec_lo, s22
	s_waitcnt lgkmcnt(0)
	s_barrier
	buffer_gl0_inv
	s_and_saveexec_b32 s22, s7
	s_cbranch_execz .LBB1429_766
; %bb.765:                              ;   in Loop: Header=BB1429_686 Depth=2
	ds_read_b32 v164, v41
	s_waitcnt lgkmcnt(0)
	v_sub_nc_u32_e32 v164, v164, v144
	ds_write_b32 v41, v164
.LBB1429_766:                           ;   in Loop: Header=BB1429_686 Depth=2
	s_or_b32 exec_lo, exec_lo, s22
	v_add_nc_u32_e32 v171, v39, v152
	v_add3_u32 v167, v156, v155, v40
	v_add3_u32 v166, v160, v159, v153
	;; [unrolled: 1-line block ×5, first 2 shown]
	v_lshlrev_b32_e32 v169, 2, v171
	v_add3_u32 v155, v204, v203, v37
	v_lshlrev_b32_e32 v37, 2, v167
	v_add3_u32 v161, v180, v179, v182
	v_add3_u32 v160, v184, v183, v185
	ds_write_b32 v169, v3 offset:512
	v_lshlrev_b32_e32 v3, 2, v166
	ds_write_b32 v37, v151 offset:512
	v_lshlrev_b32_e32 v37, 2, v163
	v_add3_u32 v159, v187, v186, v188
	v_add3_u32 v153, v208, v207, v38
	v_lshlrev_b32_e32 v38, 2, v165
	v_add3_u32 v157, v190, v189, v191
	v_lshlrev_b32_e32 v169, 2, v164
	v_add3_u32 v156, v194, v193, v195
	v_add3_u32 v40, v198, v197, v214
	ds_write_b32 v3, v154 offset:512
	ds_write_b32 v38, v158 offset:512
	;; [unrolled: 1-line block ×3, first 2 shown]
	v_lshlrev_b32_e32 v3, 2, v161
	ds_write_b32 v37, v168 offset:512
	v_lshlrev_b32_e32 v37, 2, v160
	v_lshlrev_b32_e32 v38, 2, v159
	;; [unrolled: 1-line block ×3, first 2 shown]
	v_add3_u32 v39, v201, v200, v215
	v_add3_u32 v152, v211, v210, v177
	ds_write_b32 v3, v173 offset:512
	v_lshlrev_b32_e32 v3, 2, v156
	ds_write_b32 v37, v178 offset:512
	ds_write_b32 v38, v181 offset:512
	;; [unrolled: 1-line block ×3, first 2 shown]
	v_lshlrev_b32_e32 v37, 2, v40
	v_cmp_lt_u32_e32 vcc_lo, v0, v150
	v_lshlrev_b32_e32 v38, 2, v155
	ds_write_b32 v3, v172 offset:512
	v_lshlrev_b32_e32 v3, 2, v39
	ds_write_b32 v37, v192 offset:512
	v_lshlrev_b32_e32 v37, 2, v152
	v_lshlrev_b32_e32 v151, 2, v153
	ds_write_b32 v3, v196 offset:512
	ds_write_b32 v38, v199 offset:512
	;; [unrolled: 1-line block ×4, first 2 shown]
	s_waitcnt lgkmcnt(0)
	s_barrier
	buffer_gl0_inv
	s_and_saveexec_b32 s23, vcc_lo
	s_cbranch_execnz .LBB1429_835
; %bb.767:                              ;   in Loop: Header=BB1429_686 Depth=2
	s_or_b32 exec_lo, exec_lo, s23
	v_cmp_lt_u32_e64 s22, v42, v150
	s_and_saveexec_b32 s24, s22
	s_cbranch_execnz .LBB1429_836
.LBB1429_768:                           ;   in Loop: Header=BB1429_686 Depth=2
	s_or_b32 exec_lo, exec_lo, s24
	v_cmp_lt_u32_e64 s23, v45, v150
	s_and_saveexec_b32 s25, s23
	s_cbranch_execnz .LBB1429_837
.LBB1429_769:                           ;   in Loop: Header=BB1429_686 Depth=2
	s_or_b32 exec_lo, exec_lo, s25
	v_cmp_lt_u32_e64 s24, v46, v150
	s_and_saveexec_b32 s26, s24
	s_cbranch_execnz .LBB1429_838
.LBB1429_770:                           ;   in Loop: Header=BB1429_686 Depth=2
	s_or_b32 exec_lo, exec_lo, s26
	v_cmp_lt_u32_e64 s25, v47, v150
	s_and_saveexec_b32 s28, s25
	s_cbranch_execnz .LBB1429_839
.LBB1429_771:                           ;   in Loop: Header=BB1429_686 Depth=2
	s_or_b32 exec_lo, exec_lo, s28
	v_cmp_lt_u32_e64 s26, v48, v150
	s_and_saveexec_b32 s29, s26
	s_cbranch_execnz .LBB1429_840
.LBB1429_772:                           ;   in Loop: Header=BB1429_686 Depth=2
	s_or_b32 exec_lo, exec_lo, s29
	v_cmp_lt_u32_e64 s28, v49, v150
	s_and_saveexec_b32 s30, s28
	s_cbranch_execnz .LBB1429_841
.LBB1429_773:                           ;   in Loop: Header=BB1429_686 Depth=2
	s_or_b32 exec_lo, exec_lo, s30
	v_cmp_lt_u32_e64 s29, v50, v150
	s_and_saveexec_b32 s31, s29
	s_cbranch_execnz .LBB1429_842
.LBB1429_774:                           ;   in Loop: Header=BB1429_686 Depth=2
	s_or_b32 exec_lo, exec_lo, s31
	v_cmp_lt_u32_e64 s30, v51, v150
	s_and_saveexec_b32 s33, s30
	s_cbranch_execnz .LBB1429_843
.LBB1429_775:                           ;   in Loop: Header=BB1429_686 Depth=2
	s_or_b32 exec_lo, exec_lo, s33
	v_cmp_lt_u32_e64 s31, v52, v150
	s_and_saveexec_b32 s34, s31
	s_cbranch_execnz .LBB1429_844
.LBB1429_776:                           ;   in Loop: Header=BB1429_686 Depth=2
	s_or_b32 exec_lo, exec_lo, s34
	v_cmp_lt_u32_e64 s33, v53, v150
	s_and_saveexec_b32 s35, s33
	s_cbranch_execnz .LBB1429_845
.LBB1429_777:                           ;   in Loop: Header=BB1429_686 Depth=2
	s_or_b32 exec_lo, exec_lo, s35
	v_cmp_lt_u32_e64 s34, v54, v150
	s_and_saveexec_b32 s36, s34
	s_cbranch_execnz .LBB1429_846
.LBB1429_778:                           ;   in Loop: Header=BB1429_686 Depth=2
	s_or_b32 exec_lo, exec_lo, s36
	v_cmp_lt_u32_e64 s35, v55, v150
	s_and_saveexec_b32 s37, s35
	s_cbranch_execnz .LBB1429_847
.LBB1429_779:                           ;   in Loop: Header=BB1429_686 Depth=2
	s_or_b32 exec_lo, exec_lo, s37
	v_cmp_lt_u32_e64 s36, v56, v150
	s_and_saveexec_b32 s38, s36
	s_cbranch_execnz .LBB1429_848
.LBB1429_780:                           ;   in Loop: Header=BB1429_686 Depth=2
	s_or_b32 exec_lo, exec_lo, s38
	v_cmp_lt_u32_e64 s37, v57, v150
	s_and_saveexec_b32 s39, s37
	s_cbranch_execnz .LBB1429_849
.LBB1429_781:                           ;   in Loop: Header=BB1429_686 Depth=2
	s_or_b32 exec_lo, exec_lo, s39
	v_cmp_lt_u32_e64 s38, v58, v150
	s_and_saveexec_b32 s64, s38
	s_cbranch_execz .LBB1429_783
.LBB1429_782:                           ;   in Loop: Header=BB1429_686 Depth=2
	ds_read_b32 v151, v66 offset:15872
	s_waitcnt lgkmcnt(0)
	v_cmp_ne_u32_e64 s39, 0x7fffffff, v151
	v_cndmask_b32_e64 v3, 0x80000000, v151, s39
	v_cmp_lt_i32_e64 s39, -1, v151
	v_lshrrev_b32_e32 v3, s53, v3
	v_cndmask_b32_e64 v154, 0x80000000, -1, s39
	v_and_b32_e32 v3, s61, v3
	v_lshlrev_b32_e32 v3, 2, v3
	ds_read_b32 v3, v3
	s_waitcnt lgkmcnt(0)
	v_add_nc_u32_e32 v3, v3, v58
	v_lshlrev_b64 v[37:38], 2, v[3:4]
	v_xor_b32_e32 v3, v154, v151
	v_add_co_u32 v37, s39, s42, v37
	v_add_co_ci_u32_e64 v38, null, s43, v38, s39
	global_store_dword v[37:38], v3, off
.LBB1429_783:                           ;   in Loop: Header=BB1429_686 Depth=2
	s_or_b32 exec_lo, exec_lo, s64
	s_lshl_b64 s[64:65], s[46:47], 3
	v_add_co_u32 v37, s39, v127, s64
	v_add_co_ci_u32_e64 v38, null, s65, v128, s39
	v_cmp_lt_u32_e64 s39, v105, v150
	s_and_saveexec_b32 s46, s39
	s_xor_b32 s39, exec_lo, s46
	s_cbranch_execnz .LBB1429_850
; %bb.784:                              ;   in Loop: Header=BB1429_686 Depth=2
	s_or_b32 exec_lo, exec_lo, s39
	s_mov_b32 s46, exec_lo
	v_cmpx_lt_u32_e64 v108, v150
	s_cbranch_execnz .LBB1429_851
.LBB1429_785:                           ;   in Loop: Header=BB1429_686 Depth=2
	s_or_b32 exec_lo, exec_lo, s46
	s_mov_b32 s46, exec_lo
	v_cmpx_lt_u32_e64 v109, v150
	s_cbranch_execnz .LBB1429_852
.LBB1429_786:                           ;   in Loop: Header=BB1429_686 Depth=2
	s_or_b32 exec_lo, exec_lo, s46
	s_mov_b32 s46, exec_lo
	v_cmpx_lt_u32_e64 v110, v150
	s_cbranch_execnz .LBB1429_853
.LBB1429_787:                           ;   in Loop: Header=BB1429_686 Depth=2
	s_or_b32 exec_lo, exec_lo, s46
	s_mov_b32 s46, exec_lo
	v_cmpx_lt_u32_e64 v111, v150
	s_cbranch_execnz .LBB1429_854
.LBB1429_788:                           ;   in Loop: Header=BB1429_686 Depth=2
	s_or_b32 exec_lo, exec_lo, s46
	s_mov_b32 s46, exec_lo
	v_cmpx_lt_u32_e64 v112, v150
	s_cbranch_execnz .LBB1429_855
.LBB1429_789:                           ;   in Loop: Header=BB1429_686 Depth=2
	s_or_b32 exec_lo, exec_lo, s46
	s_mov_b32 s46, exec_lo
	v_cmpx_lt_u32_e64 v113, v150
	s_cbranch_execnz .LBB1429_856
.LBB1429_790:                           ;   in Loop: Header=BB1429_686 Depth=2
	s_or_b32 exec_lo, exec_lo, s46
	s_mov_b32 s46, exec_lo
	v_cmpx_lt_u32_e64 v114, v150
	s_cbranch_execnz .LBB1429_857
.LBB1429_791:                           ;   in Loop: Header=BB1429_686 Depth=2
	s_or_b32 exec_lo, exec_lo, s46
	s_mov_b32 s46, exec_lo
	v_cmpx_lt_u32_e64 v115, v150
	s_cbranch_execnz .LBB1429_858
.LBB1429_792:                           ;   in Loop: Header=BB1429_686 Depth=2
	s_or_b32 exec_lo, exec_lo, s46
	s_mov_b32 s46, exec_lo
	v_cmpx_lt_u32_e64 v116, v150
	s_cbranch_execnz .LBB1429_859
.LBB1429_793:                           ;   in Loop: Header=BB1429_686 Depth=2
	s_or_b32 exec_lo, exec_lo, s46
	s_mov_b32 s46, exec_lo
	v_cmpx_lt_u32_e64 v117, v150
	s_cbranch_execnz .LBB1429_860
.LBB1429_794:                           ;   in Loop: Header=BB1429_686 Depth=2
	s_or_b32 exec_lo, exec_lo, s46
	s_mov_b32 s46, exec_lo
	v_cmpx_lt_u32_e64 v118, v150
	s_cbranch_execnz .LBB1429_861
.LBB1429_795:                           ;   in Loop: Header=BB1429_686 Depth=2
	s_or_b32 exec_lo, exec_lo, s46
	s_mov_b32 s46, exec_lo
	v_cmpx_lt_u32_e64 v119, v150
	s_cbranch_execnz .LBB1429_862
.LBB1429_796:                           ;   in Loop: Header=BB1429_686 Depth=2
	s_or_b32 exec_lo, exec_lo, s46
	s_mov_b32 s46, exec_lo
	v_cmpx_lt_u32_e64 v121, v150
	s_cbranch_execnz .LBB1429_863
.LBB1429_797:                           ;   in Loop: Header=BB1429_686 Depth=2
	s_or_b32 exec_lo, exec_lo, s46
	s_mov_b32 s46, exec_lo
	v_cmpx_lt_u32_e64 v122, v150
	s_cbranch_execnz .LBB1429_864
.LBB1429_798:                           ;   in Loop: Header=BB1429_686 Depth=2
	s_or_b32 exec_lo, exec_lo, s46
	s_mov_b32 s46, exec_lo
	v_cmpx_lt_u32_e64 v123, v150
	s_cbranch_execnz .LBB1429_865
.LBB1429_799:                           ;   in Loop: Header=BB1429_686 Depth=2
	s_or_b32 exec_lo, exec_lo, s46
	s_and_saveexec_b32 s46, vcc_lo
	s_cbranch_execnz .LBB1429_866
.LBB1429_800:                           ;   in Loop: Header=BB1429_686 Depth=2
	s_or_b32 exec_lo, exec_lo, s46
	s_and_saveexec_b32 s46, s22
	s_cbranch_execnz .LBB1429_867
.LBB1429_801:                           ;   in Loop: Header=BB1429_686 Depth=2
	s_or_b32 exec_lo, exec_lo, s46
	s_and_saveexec_b32 s46, s23
	s_cbranch_execnz .LBB1429_868
.LBB1429_802:                           ;   in Loop: Header=BB1429_686 Depth=2
	s_or_b32 exec_lo, exec_lo, s46
	s_and_saveexec_b32 s46, s24
	s_cbranch_execnz .LBB1429_869
.LBB1429_803:                           ;   in Loop: Header=BB1429_686 Depth=2
	s_or_b32 exec_lo, exec_lo, s46
	s_and_saveexec_b32 s46, s25
	s_cbranch_execnz .LBB1429_870
.LBB1429_804:                           ;   in Loop: Header=BB1429_686 Depth=2
	s_or_b32 exec_lo, exec_lo, s46
	s_and_saveexec_b32 s46, s26
	s_cbranch_execnz .LBB1429_871
.LBB1429_805:                           ;   in Loop: Header=BB1429_686 Depth=2
	s_or_b32 exec_lo, exec_lo, s46
	s_and_saveexec_b32 s46, s28
	s_cbranch_execnz .LBB1429_872
.LBB1429_806:                           ;   in Loop: Header=BB1429_686 Depth=2
	s_or_b32 exec_lo, exec_lo, s46
	s_and_saveexec_b32 s46, s29
	s_cbranch_execnz .LBB1429_873
.LBB1429_807:                           ;   in Loop: Header=BB1429_686 Depth=2
	s_or_b32 exec_lo, exec_lo, s46
	s_and_saveexec_b32 s46, s30
	s_cbranch_execnz .LBB1429_874
.LBB1429_808:                           ;   in Loop: Header=BB1429_686 Depth=2
	s_or_b32 exec_lo, exec_lo, s46
	s_and_saveexec_b32 s46, s31
	s_cbranch_execnz .LBB1429_875
.LBB1429_809:                           ;   in Loop: Header=BB1429_686 Depth=2
	s_or_b32 exec_lo, exec_lo, s46
	s_and_saveexec_b32 s46, s33
	s_cbranch_execnz .LBB1429_876
.LBB1429_810:                           ;   in Loop: Header=BB1429_686 Depth=2
	s_or_b32 exec_lo, exec_lo, s46
	s_and_saveexec_b32 s46, s34
	s_cbranch_execnz .LBB1429_877
.LBB1429_811:                           ;   in Loop: Header=BB1429_686 Depth=2
	s_or_b32 exec_lo, exec_lo, s46
	s_and_saveexec_b32 s46, s35
	s_cbranch_execnz .LBB1429_878
.LBB1429_812:                           ;   in Loop: Header=BB1429_686 Depth=2
	s_or_b32 exec_lo, exec_lo, s46
	s_and_saveexec_b32 s46, s36
	s_cbranch_execnz .LBB1429_879
.LBB1429_813:                           ;   in Loop: Header=BB1429_686 Depth=2
	s_or_b32 exec_lo, exec_lo, s46
	s_and_saveexec_b32 s46, s37
	s_cbranch_execnz .LBB1429_880
.LBB1429_814:                           ;   in Loop: Header=BB1429_686 Depth=2
	s_or_b32 exec_lo, exec_lo, s46
	s_and_saveexec_b32 s46, s38
	s_cbranch_execz .LBB1429_816
.LBB1429_815:                           ;   in Loop: Header=BB1429_686 Depth=2
	ds_read_b32 v3, v66 offset:15872
	s_waitcnt lgkmcnt(0)
	v_cmp_ne_u32_e64 s39, 0x7fffffff, v3
	v_cndmask_b32_e64 v3, 0x80000000, v3, s39
	v_lshrrev_b32_e32 v3, s53, v3
	v_and_b32_e32 v132, s61, v3
.LBB1429_816:                           ;   in Loop: Header=BB1429_686 Depth=2
	s_or_b32 exec_lo, exec_lo, s46
	v_lshlrev_b32_e32 v3, 3, v171
	v_lshlrev_b32_e32 v37, 3, v167
	s_waitcnt vmcnt(0)
	s_waitcnt_vscnt null, 0x0
	s_barrier
	buffer_gl0_inv
	ds_write_b64 v3, v[35:36] offset:512
	v_lshlrev_b32_e32 v3, 3, v166
	v_lshlrev_b32_e32 v38, 3, v165
	;; [unrolled: 1-line block ×4, first 2 shown]
	ds_write_b64 v37, v[33:34] offset:512
	ds_write_b64 v3, v[31:32] offset:512
	;; [unrolled: 1-line block ×5, first 2 shown]
	v_lshlrev_b32_e32 v3, 3, v161
	v_lshlrev_b32_e32 v37, 3, v160
	;; [unrolled: 1-line block ×5, first 2 shown]
	ds_write_b64 v3, v[19:20] offset:512
	ds_write_b64 v37, v[15:16] offset:512
	;; [unrolled: 1-line block ×5, first 2 shown]
	v_lshlrev_b32_e32 v3, 3, v40
	v_lshlrev_b32_e32 v37, 3, v39
	;; [unrolled: 1-line block ×5, first 2 shown]
	ds_write_b64 v3, v[13:14] offset:512
	ds_write_b64 v37, v[11:12] offset:512
	;; [unrolled: 1-line block ×5, first 2 shown]
	s_waitcnt lgkmcnt(0)
	s_barrier
	buffer_gl0_inv
	s_and_saveexec_b32 s39, vcc_lo
	s_cbranch_execnz .LBB1429_881
; %bb.817:                              ;   in Loop: Header=BB1429_686 Depth=2
	s_or_b32 exec_lo, exec_lo, s39
	s_and_saveexec_b32 s39, s22
	s_cbranch_execnz .LBB1429_882
.LBB1429_818:                           ;   in Loop: Header=BB1429_686 Depth=2
	s_or_b32 exec_lo, exec_lo, s39
	s_and_saveexec_b32 s22, s23
	s_cbranch_execnz .LBB1429_883
.LBB1429_819:                           ;   in Loop: Header=BB1429_686 Depth=2
	s_or_b32 exec_lo, exec_lo, s22
	s_and_saveexec_b32 s22, s24
	s_cbranch_execnz .LBB1429_884
.LBB1429_820:                           ;   in Loop: Header=BB1429_686 Depth=2
	s_or_b32 exec_lo, exec_lo, s22
	s_and_saveexec_b32 s22, s25
	s_cbranch_execnz .LBB1429_885
.LBB1429_821:                           ;   in Loop: Header=BB1429_686 Depth=2
	s_or_b32 exec_lo, exec_lo, s22
	s_and_saveexec_b32 s22, s26
	s_cbranch_execnz .LBB1429_886
.LBB1429_822:                           ;   in Loop: Header=BB1429_686 Depth=2
	s_or_b32 exec_lo, exec_lo, s22
	s_and_saveexec_b32 s22, s28
	s_cbranch_execnz .LBB1429_887
.LBB1429_823:                           ;   in Loop: Header=BB1429_686 Depth=2
	s_or_b32 exec_lo, exec_lo, s22
	s_and_saveexec_b32 s22, s29
	s_cbranch_execnz .LBB1429_888
.LBB1429_824:                           ;   in Loop: Header=BB1429_686 Depth=2
	s_or_b32 exec_lo, exec_lo, s22
	s_and_saveexec_b32 s22, s30
	s_cbranch_execnz .LBB1429_889
.LBB1429_825:                           ;   in Loop: Header=BB1429_686 Depth=2
	s_or_b32 exec_lo, exec_lo, s22
	s_and_saveexec_b32 s22, s31
	s_cbranch_execnz .LBB1429_890
.LBB1429_826:                           ;   in Loop: Header=BB1429_686 Depth=2
	s_or_b32 exec_lo, exec_lo, s22
	s_and_saveexec_b32 s22, s33
	s_cbranch_execnz .LBB1429_891
.LBB1429_827:                           ;   in Loop: Header=BB1429_686 Depth=2
	s_or_b32 exec_lo, exec_lo, s22
	s_and_saveexec_b32 s22, s34
	s_cbranch_execnz .LBB1429_892
.LBB1429_828:                           ;   in Loop: Header=BB1429_686 Depth=2
	s_or_b32 exec_lo, exec_lo, s22
	s_and_saveexec_b32 s22, s35
	s_cbranch_execnz .LBB1429_893
.LBB1429_829:                           ;   in Loop: Header=BB1429_686 Depth=2
	s_or_b32 exec_lo, exec_lo, s22
	s_and_saveexec_b32 s22, s36
	s_cbranch_execnz .LBB1429_894
.LBB1429_830:                           ;   in Loop: Header=BB1429_686 Depth=2
	s_or_b32 exec_lo, exec_lo, s22
	s_and_saveexec_b32 s22, s37
	s_cbranch_execnz .LBB1429_895
.LBB1429_831:                           ;   in Loop: Header=BB1429_686 Depth=2
	s_or_b32 exec_lo, exec_lo, s22
	s_and_saveexec_b32 s22, s38
	s_cbranch_execz .LBB1429_833
.LBB1429_832:                           ;   in Loop: Header=BB1429_686 Depth=2
	v_lshlrev_b32_e32 v3, 2, v132
	v_add_nc_u32_e32 v37, v66, v41
	ds_read_b32 v3, v3
	ds_read_b64 v[37:38], v37 offset:31232
	s_waitcnt lgkmcnt(1)
	v_add_nc_u32_e32 v3, v3, v58
	v_lshlrev_b64 v[39:40], 3, v[3:4]
	v_add_co_u32 v39, vcc_lo, s48, v39
	v_add_co_ci_u32_e64 v40, null, s49, v40, vcc_lo
	s_waitcnt lgkmcnt(0)
	global_store_dwordx2 v[39:40], v[37:38], off
.LBB1429_833:                           ;   in Loop: Header=BB1429_686 Depth=2
	s_or_b32 exec_lo, exec_lo, s22
	s_waitcnt_vscnt null, 0x0
	s_barrier
	buffer_gl0_inv
	s_and_saveexec_b32 s22, s7
	s_cbranch_execz .LBB1429_685
; %bb.834:                              ;   in Loop: Header=BB1429_686 Depth=2
	ds_read_b32 v3, v41
	s_waitcnt lgkmcnt(0)
	v_add3_u32 v3, v144, v149, v3
	ds_write_b32 v41, v3
	s_branch .LBB1429_685
.LBB1429_835:                           ;   in Loop: Header=BB1429_686 Depth=2
	ds_read_b32 v151, v66 offset:512
	s_waitcnt lgkmcnt(0)
	v_cmp_ne_u32_e64 s22, 0x7fffffff, v151
	v_cndmask_b32_e64 v3, 0x80000000, v151, s22
	v_cmp_lt_i32_e64 s22, -1, v151
	v_lshrrev_b32_e32 v3, s53, v3
	v_cndmask_b32_e64 v154, 0x80000000, -1, s22
	v_and_b32_e32 v3, s61, v3
	v_lshlrev_b32_e32 v3, 2, v3
	ds_read_b32 v3, v3
	s_waitcnt lgkmcnt(0)
	v_add_nc_u32_e32 v3, v3, v0
	v_lshlrev_b64 v[37:38], 2, v[3:4]
	v_xor_b32_e32 v3, v154, v151
	v_add_co_u32 v37, s22, s42, v37
	v_add_co_ci_u32_e64 v38, null, s43, v38, s22
	global_store_dword v[37:38], v3, off
	s_or_b32 exec_lo, exec_lo, s23
	v_cmp_lt_u32_e64 s22, v42, v150
	s_and_saveexec_b32 s24, s22
	s_cbranch_execz .LBB1429_768
.LBB1429_836:                           ;   in Loop: Header=BB1429_686 Depth=2
	ds_read_b32 v151, v66 offset:1536
	s_waitcnt lgkmcnt(0)
	v_cmp_ne_u32_e64 s23, 0x7fffffff, v151
	v_cndmask_b32_e64 v3, 0x80000000, v151, s23
	v_cmp_lt_i32_e64 s23, -1, v151
	v_lshrrev_b32_e32 v3, s53, v3
	v_cndmask_b32_e64 v154, 0x80000000, -1, s23
	v_and_b32_e32 v3, s61, v3
	v_lshlrev_b32_e32 v3, 2, v3
	ds_read_b32 v3, v3
	s_waitcnt lgkmcnt(0)
	v_add_nc_u32_e32 v3, v3, v42
	v_lshlrev_b64 v[37:38], 2, v[3:4]
	v_xor_b32_e32 v3, v154, v151
	v_add_co_u32 v37, s23, s42, v37
	v_add_co_ci_u32_e64 v38, null, s43, v38, s23
	global_store_dword v[37:38], v3, off
	s_or_b32 exec_lo, exec_lo, s24
	v_cmp_lt_u32_e64 s23, v45, v150
	s_and_saveexec_b32 s25, s23
	s_cbranch_execz .LBB1429_769
.LBB1429_837:                           ;   in Loop: Header=BB1429_686 Depth=2
	ds_read_b32 v151, v66 offset:2560
	s_waitcnt lgkmcnt(0)
	v_cmp_ne_u32_e64 s24, 0x7fffffff, v151
	v_cndmask_b32_e64 v3, 0x80000000, v151, s24
	v_cmp_lt_i32_e64 s24, -1, v151
	v_lshrrev_b32_e32 v3, s53, v3
	v_cndmask_b32_e64 v154, 0x80000000, -1, s24
	v_and_b32_e32 v3, s61, v3
	v_lshlrev_b32_e32 v3, 2, v3
	ds_read_b32 v3, v3
	s_waitcnt lgkmcnt(0)
	v_add_nc_u32_e32 v3, v3, v45
	v_lshlrev_b64 v[37:38], 2, v[3:4]
	v_xor_b32_e32 v3, v154, v151
	v_add_co_u32 v37, s24, s42, v37
	v_add_co_ci_u32_e64 v38, null, s43, v38, s24
	global_store_dword v[37:38], v3, off
	s_or_b32 exec_lo, exec_lo, s25
	v_cmp_lt_u32_e64 s24, v46, v150
	s_and_saveexec_b32 s26, s24
	s_cbranch_execz .LBB1429_770
.LBB1429_838:                           ;   in Loop: Header=BB1429_686 Depth=2
	ds_read_b32 v151, v66 offset:3584
	s_waitcnt lgkmcnt(0)
	v_cmp_ne_u32_e64 s25, 0x7fffffff, v151
	v_cndmask_b32_e64 v3, 0x80000000, v151, s25
	v_cmp_lt_i32_e64 s25, -1, v151
	v_lshrrev_b32_e32 v3, s53, v3
	v_cndmask_b32_e64 v154, 0x80000000, -1, s25
	v_and_b32_e32 v3, s61, v3
	v_lshlrev_b32_e32 v3, 2, v3
	ds_read_b32 v3, v3
	s_waitcnt lgkmcnt(0)
	v_add_nc_u32_e32 v3, v3, v46
	v_lshlrev_b64 v[37:38], 2, v[3:4]
	v_xor_b32_e32 v3, v154, v151
	v_add_co_u32 v37, s25, s42, v37
	v_add_co_ci_u32_e64 v38, null, s43, v38, s25
	global_store_dword v[37:38], v3, off
	s_or_b32 exec_lo, exec_lo, s26
	v_cmp_lt_u32_e64 s25, v47, v150
	s_and_saveexec_b32 s28, s25
	s_cbranch_execz .LBB1429_771
.LBB1429_839:                           ;   in Loop: Header=BB1429_686 Depth=2
	ds_read_b32 v151, v66 offset:4608
	s_waitcnt lgkmcnt(0)
	v_cmp_ne_u32_e64 s26, 0x7fffffff, v151
	v_cndmask_b32_e64 v3, 0x80000000, v151, s26
	v_cmp_lt_i32_e64 s26, -1, v151
	v_lshrrev_b32_e32 v3, s53, v3
	v_cndmask_b32_e64 v154, 0x80000000, -1, s26
	v_and_b32_e32 v3, s61, v3
	v_lshlrev_b32_e32 v3, 2, v3
	ds_read_b32 v3, v3
	s_waitcnt lgkmcnt(0)
	v_add_nc_u32_e32 v3, v3, v47
	v_lshlrev_b64 v[37:38], 2, v[3:4]
	v_xor_b32_e32 v3, v154, v151
	v_add_co_u32 v37, s26, s42, v37
	v_add_co_ci_u32_e64 v38, null, s43, v38, s26
	global_store_dword v[37:38], v3, off
	s_or_b32 exec_lo, exec_lo, s28
	v_cmp_lt_u32_e64 s26, v48, v150
	s_and_saveexec_b32 s29, s26
	s_cbranch_execz .LBB1429_772
.LBB1429_840:                           ;   in Loop: Header=BB1429_686 Depth=2
	ds_read_b32 v151, v66 offset:5632
	s_waitcnt lgkmcnt(0)
	v_cmp_ne_u32_e64 s28, 0x7fffffff, v151
	v_cndmask_b32_e64 v3, 0x80000000, v151, s28
	v_cmp_lt_i32_e64 s28, -1, v151
	v_lshrrev_b32_e32 v3, s53, v3
	v_cndmask_b32_e64 v154, 0x80000000, -1, s28
	v_and_b32_e32 v3, s61, v3
	v_lshlrev_b32_e32 v3, 2, v3
	ds_read_b32 v3, v3
	s_waitcnt lgkmcnt(0)
	v_add_nc_u32_e32 v3, v3, v48
	v_lshlrev_b64 v[37:38], 2, v[3:4]
	v_xor_b32_e32 v3, v154, v151
	v_add_co_u32 v37, s28, s42, v37
	v_add_co_ci_u32_e64 v38, null, s43, v38, s28
	global_store_dword v[37:38], v3, off
	s_or_b32 exec_lo, exec_lo, s29
	v_cmp_lt_u32_e64 s28, v49, v150
	s_and_saveexec_b32 s30, s28
	s_cbranch_execz .LBB1429_773
.LBB1429_841:                           ;   in Loop: Header=BB1429_686 Depth=2
	ds_read_b32 v151, v66 offset:6656
	s_waitcnt lgkmcnt(0)
	v_cmp_ne_u32_e64 s29, 0x7fffffff, v151
	v_cndmask_b32_e64 v3, 0x80000000, v151, s29
	v_cmp_lt_i32_e64 s29, -1, v151
	v_lshrrev_b32_e32 v3, s53, v3
	v_cndmask_b32_e64 v154, 0x80000000, -1, s29
	v_and_b32_e32 v3, s61, v3
	v_lshlrev_b32_e32 v3, 2, v3
	ds_read_b32 v3, v3
	s_waitcnt lgkmcnt(0)
	v_add_nc_u32_e32 v3, v3, v49
	v_lshlrev_b64 v[37:38], 2, v[3:4]
	v_xor_b32_e32 v3, v154, v151
	v_add_co_u32 v37, s29, s42, v37
	v_add_co_ci_u32_e64 v38, null, s43, v38, s29
	global_store_dword v[37:38], v3, off
	s_or_b32 exec_lo, exec_lo, s30
	v_cmp_lt_u32_e64 s29, v50, v150
	s_and_saveexec_b32 s31, s29
	s_cbranch_execz .LBB1429_774
.LBB1429_842:                           ;   in Loop: Header=BB1429_686 Depth=2
	ds_read_b32 v151, v66 offset:7680
	s_waitcnt lgkmcnt(0)
	v_cmp_ne_u32_e64 s30, 0x7fffffff, v151
	v_cndmask_b32_e64 v3, 0x80000000, v151, s30
	v_cmp_lt_i32_e64 s30, -1, v151
	v_lshrrev_b32_e32 v3, s53, v3
	v_cndmask_b32_e64 v154, 0x80000000, -1, s30
	v_and_b32_e32 v3, s61, v3
	v_lshlrev_b32_e32 v3, 2, v3
	ds_read_b32 v3, v3
	s_waitcnt lgkmcnt(0)
	v_add_nc_u32_e32 v3, v3, v50
	v_lshlrev_b64 v[37:38], 2, v[3:4]
	v_xor_b32_e32 v3, v154, v151
	v_add_co_u32 v37, s30, s42, v37
	v_add_co_ci_u32_e64 v38, null, s43, v38, s30
	global_store_dword v[37:38], v3, off
	s_or_b32 exec_lo, exec_lo, s31
	v_cmp_lt_u32_e64 s30, v51, v150
	s_and_saveexec_b32 s33, s30
	s_cbranch_execz .LBB1429_775
.LBB1429_843:                           ;   in Loop: Header=BB1429_686 Depth=2
	ds_read_b32 v151, v66 offset:8704
	s_waitcnt lgkmcnt(0)
	v_cmp_ne_u32_e64 s31, 0x7fffffff, v151
	v_cndmask_b32_e64 v3, 0x80000000, v151, s31
	v_cmp_lt_i32_e64 s31, -1, v151
	v_lshrrev_b32_e32 v3, s53, v3
	v_cndmask_b32_e64 v154, 0x80000000, -1, s31
	v_and_b32_e32 v3, s61, v3
	v_lshlrev_b32_e32 v3, 2, v3
	ds_read_b32 v3, v3
	s_waitcnt lgkmcnt(0)
	v_add_nc_u32_e32 v3, v3, v51
	v_lshlrev_b64 v[37:38], 2, v[3:4]
	v_xor_b32_e32 v3, v154, v151
	v_add_co_u32 v37, s31, s42, v37
	v_add_co_ci_u32_e64 v38, null, s43, v38, s31
	global_store_dword v[37:38], v3, off
	s_or_b32 exec_lo, exec_lo, s33
	v_cmp_lt_u32_e64 s31, v52, v150
	s_and_saveexec_b32 s34, s31
	s_cbranch_execz .LBB1429_776
.LBB1429_844:                           ;   in Loop: Header=BB1429_686 Depth=2
	ds_read_b32 v151, v66 offset:9728
	s_waitcnt lgkmcnt(0)
	v_cmp_ne_u32_e64 s33, 0x7fffffff, v151
	v_cndmask_b32_e64 v3, 0x80000000, v151, s33
	v_cmp_lt_i32_e64 s33, -1, v151
	v_lshrrev_b32_e32 v3, s53, v3
	v_cndmask_b32_e64 v154, 0x80000000, -1, s33
	v_and_b32_e32 v3, s61, v3
	v_lshlrev_b32_e32 v3, 2, v3
	ds_read_b32 v3, v3
	s_waitcnt lgkmcnt(0)
	v_add_nc_u32_e32 v3, v3, v52
	v_lshlrev_b64 v[37:38], 2, v[3:4]
	v_xor_b32_e32 v3, v154, v151
	v_add_co_u32 v37, s33, s42, v37
	v_add_co_ci_u32_e64 v38, null, s43, v38, s33
	global_store_dword v[37:38], v3, off
	s_or_b32 exec_lo, exec_lo, s34
	v_cmp_lt_u32_e64 s33, v53, v150
	s_and_saveexec_b32 s35, s33
	s_cbranch_execz .LBB1429_777
.LBB1429_845:                           ;   in Loop: Header=BB1429_686 Depth=2
	ds_read_b32 v151, v66 offset:10752
	s_waitcnt lgkmcnt(0)
	v_cmp_ne_u32_e64 s34, 0x7fffffff, v151
	v_cndmask_b32_e64 v3, 0x80000000, v151, s34
	v_cmp_lt_i32_e64 s34, -1, v151
	v_lshrrev_b32_e32 v3, s53, v3
	v_cndmask_b32_e64 v154, 0x80000000, -1, s34
	v_and_b32_e32 v3, s61, v3
	v_lshlrev_b32_e32 v3, 2, v3
	ds_read_b32 v3, v3
	s_waitcnt lgkmcnt(0)
	v_add_nc_u32_e32 v3, v3, v53
	v_lshlrev_b64 v[37:38], 2, v[3:4]
	v_xor_b32_e32 v3, v154, v151
	v_add_co_u32 v37, s34, s42, v37
	v_add_co_ci_u32_e64 v38, null, s43, v38, s34
	global_store_dword v[37:38], v3, off
	s_or_b32 exec_lo, exec_lo, s35
	v_cmp_lt_u32_e64 s34, v54, v150
	s_and_saveexec_b32 s36, s34
	s_cbranch_execz .LBB1429_778
.LBB1429_846:                           ;   in Loop: Header=BB1429_686 Depth=2
	ds_read_b32 v151, v66 offset:11776
	s_waitcnt lgkmcnt(0)
	v_cmp_ne_u32_e64 s35, 0x7fffffff, v151
	v_cndmask_b32_e64 v3, 0x80000000, v151, s35
	v_cmp_lt_i32_e64 s35, -1, v151
	v_lshrrev_b32_e32 v3, s53, v3
	v_cndmask_b32_e64 v154, 0x80000000, -1, s35
	v_and_b32_e32 v3, s61, v3
	v_lshlrev_b32_e32 v3, 2, v3
	ds_read_b32 v3, v3
	s_waitcnt lgkmcnt(0)
	v_add_nc_u32_e32 v3, v3, v54
	v_lshlrev_b64 v[37:38], 2, v[3:4]
	v_xor_b32_e32 v3, v154, v151
	v_add_co_u32 v37, s35, s42, v37
	v_add_co_ci_u32_e64 v38, null, s43, v38, s35
	global_store_dword v[37:38], v3, off
	s_or_b32 exec_lo, exec_lo, s36
	v_cmp_lt_u32_e64 s35, v55, v150
	s_and_saveexec_b32 s37, s35
	s_cbranch_execz .LBB1429_779
.LBB1429_847:                           ;   in Loop: Header=BB1429_686 Depth=2
	ds_read_b32 v151, v66 offset:12800
	s_waitcnt lgkmcnt(0)
	v_cmp_ne_u32_e64 s36, 0x7fffffff, v151
	v_cndmask_b32_e64 v3, 0x80000000, v151, s36
	v_cmp_lt_i32_e64 s36, -1, v151
	v_lshrrev_b32_e32 v3, s53, v3
	v_cndmask_b32_e64 v154, 0x80000000, -1, s36
	v_and_b32_e32 v3, s61, v3
	v_lshlrev_b32_e32 v3, 2, v3
	ds_read_b32 v3, v3
	s_waitcnt lgkmcnt(0)
	v_add_nc_u32_e32 v3, v3, v55
	v_lshlrev_b64 v[37:38], 2, v[3:4]
	v_xor_b32_e32 v3, v154, v151
	v_add_co_u32 v37, s36, s42, v37
	v_add_co_ci_u32_e64 v38, null, s43, v38, s36
	global_store_dword v[37:38], v3, off
	s_or_b32 exec_lo, exec_lo, s37
	v_cmp_lt_u32_e64 s36, v56, v150
	s_and_saveexec_b32 s38, s36
	s_cbranch_execz .LBB1429_780
.LBB1429_848:                           ;   in Loop: Header=BB1429_686 Depth=2
	ds_read_b32 v151, v66 offset:13824
	s_waitcnt lgkmcnt(0)
	v_cmp_ne_u32_e64 s37, 0x7fffffff, v151
	v_cndmask_b32_e64 v3, 0x80000000, v151, s37
	v_cmp_lt_i32_e64 s37, -1, v151
	v_lshrrev_b32_e32 v3, s53, v3
	v_cndmask_b32_e64 v154, 0x80000000, -1, s37
	v_and_b32_e32 v3, s61, v3
	v_lshlrev_b32_e32 v3, 2, v3
	ds_read_b32 v3, v3
	s_waitcnt lgkmcnt(0)
	v_add_nc_u32_e32 v3, v3, v56
	v_lshlrev_b64 v[37:38], 2, v[3:4]
	v_xor_b32_e32 v3, v154, v151
	v_add_co_u32 v37, s37, s42, v37
	v_add_co_ci_u32_e64 v38, null, s43, v38, s37
	global_store_dword v[37:38], v3, off
	s_or_b32 exec_lo, exec_lo, s38
	v_cmp_lt_u32_e64 s37, v57, v150
	s_and_saveexec_b32 s39, s37
	s_cbranch_execz .LBB1429_781
.LBB1429_849:                           ;   in Loop: Header=BB1429_686 Depth=2
	ds_read_b32 v151, v66 offset:14848
	s_waitcnt lgkmcnt(0)
	v_cmp_ne_u32_e64 s38, 0x7fffffff, v151
	v_cndmask_b32_e64 v3, 0x80000000, v151, s38
	v_cmp_lt_i32_e64 s38, -1, v151
	v_lshrrev_b32_e32 v3, s53, v3
	v_cndmask_b32_e64 v154, 0x80000000, -1, s38
	v_and_b32_e32 v3, s61, v3
	v_lshlrev_b32_e32 v3, 2, v3
	ds_read_b32 v3, v3
	s_waitcnt lgkmcnt(0)
	v_add_nc_u32_e32 v3, v3, v57
	v_lshlrev_b64 v[37:38], 2, v[3:4]
	v_xor_b32_e32 v3, v154, v151
	v_add_co_u32 v37, s38, s42, v37
	v_add_co_ci_u32_e64 v38, null, s43, v38, s38
	global_store_dword v[37:38], v3, off
	s_or_b32 exec_lo, exec_lo, s39
	v_cmp_lt_u32_e64 s38, v58, v150
	s_and_saveexec_b32 s64, s38
	s_cbranch_execnz .LBB1429_782
	s_branch .LBB1429_783
.LBB1429_850:                           ;   in Loop: Header=BB1429_686 Depth=2
	global_load_dwordx2 v[35:36], v[37:38], off
	s_or_b32 exec_lo, exec_lo, s39
	s_mov_b32 s46, exec_lo
	v_cmpx_lt_u32_e64 v108, v150
	s_cbranch_execz .LBB1429_785
.LBB1429_851:                           ;   in Loop: Header=BB1429_686 Depth=2
	global_load_dwordx2 v[33:34], v[37:38], off offset:256
	s_or_b32 exec_lo, exec_lo, s46
	s_mov_b32 s46, exec_lo
	v_cmpx_lt_u32_e64 v109, v150
	s_cbranch_execz .LBB1429_786
.LBB1429_852:                           ;   in Loop: Header=BB1429_686 Depth=2
	global_load_dwordx2 v[31:32], v[37:38], off offset:512
	s_or_b32 exec_lo, exec_lo, s46
	s_mov_b32 s46, exec_lo
	v_cmpx_lt_u32_e64 v110, v150
	s_cbranch_execz .LBB1429_787
.LBB1429_853:                           ;   in Loop: Header=BB1429_686 Depth=2
	global_load_dwordx2 v[29:30], v[37:38], off offset:768
	s_or_b32 exec_lo, exec_lo, s46
	s_mov_b32 s46, exec_lo
	v_cmpx_lt_u32_e64 v111, v150
	s_cbranch_execz .LBB1429_788
.LBB1429_854:                           ;   in Loop: Header=BB1429_686 Depth=2
	global_load_dwordx2 v[27:28], v[37:38], off offset:1024
	s_or_b32 exec_lo, exec_lo, s46
	s_mov_b32 s46, exec_lo
	v_cmpx_lt_u32_e64 v112, v150
	s_cbranch_execz .LBB1429_789
.LBB1429_855:                           ;   in Loop: Header=BB1429_686 Depth=2
	global_load_dwordx2 v[23:24], v[37:38], off offset:1280
	s_or_b32 exec_lo, exec_lo, s46
	s_mov_b32 s46, exec_lo
	v_cmpx_lt_u32_e64 v113, v150
	s_cbranch_execz .LBB1429_790
.LBB1429_856:                           ;   in Loop: Header=BB1429_686 Depth=2
	global_load_dwordx2 v[19:20], v[37:38], off offset:1536
	s_or_b32 exec_lo, exec_lo, s46
	s_mov_b32 s46, exec_lo
	v_cmpx_lt_u32_e64 v114, v150
	s_cbranch_execz .LBB1429_791
.LBB1429_857:                           ;   in Loop: Header=BB1429_686 Depth=2
	global_load_dwordx2 v[15:16], v[37:38], off offset:1792
	s_or_b32 exec_lo, exec_lo, s46
	s_mov_b32 s46, exec_lo
	v_cmpx_lt_u32_e64 v115, v150
	s_cbranch_execz .LBB1429_792
.LBB1429_858:                           ;   in Loop: Header=BB1429_686 Depth=2
	v_add_co_u32 v25, s39, 0x800, v37
	v_add_co_ci_u32_e64 v26, null, 0, v38, s39
	global_load_dwordx2 v[25:26], v[25:26], off
	s_or_b32 exec_lo, exec_lo, s46
	s_mov_b32 s46, exec_lo
	v_cmpx_lt_u32_e64 v116, v150
	s_cbranch_execz .LBB1429_793
.LBB1429_859:                           ;   in Loop: Header=BB1429_686 Depth=2
	v_add_co_u32 v21, s39, 0x800, v37
	v_add_co_ci_u32_e64 v22, null, 0, v38, s39
	global_load_dwordx2 v[21:22], v[21:22], off offset:256
	s_or_b32 exec_lo, exec_lo, s46
	s_mov_b32 s46, exec_lo
	v_cmpx_lt_u32_e64 v117, v150
	s_cbranch_execz .LBB1429_794
.LBB1429_860:                           ;   in Loop: Header=BB1429_686 Depth=2
	v_add_co_u32 v17, s39, 0x800, v37
	v_add_co_ci_u32_e64 v18, null, 0, v38, s39
	global_load_dwordx2 v[17:18], v[17:18], off offset:512
	s_or_b32 exec_lo, exec_lo, s46
	s_mov_b32 s46, exec_lo
	v_cmpx_lt_u32_e64 v118, v150
	s_cbranch_execz .LBB1429_795
.LBB1429_861:                           ;   in Loop: Header=BB1429_686 Depth=2
	v_add_co_u32 v13, s39, 0x800, v37
	v_add_co_ci_u32_e64 v14, null, 0, v38, s39
	global_load_dwordx2 v[13:14], v[13:14], off offset:768
	s_or_b32 exec_lo, exec_lo, s46
	s_mov_b32 s46, exec_lo
	v_cmpx_lt_u32_e64 v119, v150
	s_cbranch_execz .LBB1429_796
.LBB1429_862:                           ;   in Loop: Header=BB1429_686 Depth=2
	v_add_co_u32 v11, s39, 0x800, v37
	v_add_co_ci_u32_e64 v12, null, 0, v38, s39
	global_load_dwordx2 v[11:12], v[11:12], off offset:1024
	s_or_b32 exec_lo, exec_lo, s46
	s_mov_b32 s46, exec_lo
	v_cmpx_lt_u32_e64 v121, v150
	s_cbranch_execz .LBB1429_797
.LBB1429_863:                           ;   in Loop: Header=BB1429_686 Depth=2
	v_add_co_u32 v9, s39, 0x800, v37
	v_add_co_ci_u32_e64 v10, null, 0, v38, s39
	global_load_dwordx2 v[9:10], v[9:10], off offset:1280
	s_or_b32 exec_lo, exec_lo, s46
	s_mov_b32 s46, exec_lo
	v_cmpx_lt_u32_e64 v122, v150
	s_cbranch_execz .LBB1429_798
.LBB1429_864:                           ;   in Loop: Header=BB1429_686 Depth=2
	v_add_co_u32 v7, s39, 0x800, v37
	v_add_co_ci_u32_e64 v8, null, 0, v38, s39
	global_load_dwordx2 v[7:8], v[7:8], off offset:1536
	s_or_b32 exec_lo, exec_lo, s46
	s_mov_b32 s46, exec_lo
	v_cmpx_lt_u32_e64 v123, v150
	s_cbranch_execz .LBB1429_799
.LBB1429_865:                           ;   in Loop: Header=BB1429_686 Depth=2
	v_add_co_u32 v5, s39, 0x800, v37
	v_add_co_ci_u32_e64 v6, null, 0, v38, s39
	global_load_dwordx2 v[5:6], v[5:6], off offset:1792
	s_or_b32 exec_lo, exec_lo, s46
	s_and_saveexec_b32 s46, vcc_lo
	s_cbranch_execz .LBB1429_800
.LBB1429_866:                           ;   in Loop: Header=BB1429_686 Depth=2
	ds_read_b32 v3, v66 offset:512
	s_waitcnt lgkmcnt(0)
	v_cmp_ne_u32_e64 s39, 0x7fffffff, v3
	v_cndmask_b32_e64 v3, 0x80000000, v3, s39
	v_lshrrev_b32_e32 v3, s53, v3
	v_and_b32_e32 v148, s61, v3
	s_or_b32 exec_lo, exec_lo, s46
	s_and_saveexec_b32 s46, s22
	s_cbranch_execz .LBB1429_801
.LBB1429_867:                           ;   in Loop: Header=BB1429_686 Depth=2
	ds_read_b32 v3, v66 offset:1536
	s_waitcnt lgkmcnt(0)
	v_cmp_ne_u32_e64 s39, 0x7fffffff, v3
	v_cndmask_b32_e64 v3, 0x80000000, v3, s39
	v_lshrrev_b32_e32 v3, s53, v3
	v_and_b32_e32 v147, s61, v3
	s_or_b32 exec_lo, exec_lo, s46
	s_and_saveexec_b32 s46, s23
	s_cbranch_execz .LBB1429_802
.LBB1429_868:                           ;   in Loop: Header=BB1429_686 Depth=2
	ds_read_b32 v3, v66 offset:2560
	s_waitcnt lgkmcnt(0)
	v_cmp_ne_u32_e64 s39, 0x7fffffff, v3
	v_cndmask_b32_e64 v3, 0x80000000, v3, s39
	v_lshrrev_b32_e32 v3, s53, v3
	v_and_b32_e32 v146, s61, v3
	s_or_b32 exec_lo, exec_lo, s46
	s_and_saveexec_b32 s46, s24
	s_cbranch_execz .LBB1429_803
.LBB1429_869:                           ;   in Loop: Header=BB1429_686 Depth=2
	ds_read_b32 v3, v66 offset:3584
	s_waitcnt lgkmcnt(0)
	v_cmp_ne_u32_e64 s39, 0x7fffffff, v3
	v_cndmask_b32_e64 v3, 0x80000000, v3, s39
	v_lshrrev_b32_e32 v3, s53, v3
	v_and_b32_e32 v145, s61, v3
	s_or_b32 exec_lo, exec_lo, s46
	s_and_saveexec_b32 s46, s25
	s_cbranch_execz .LBB1429_804
.LBB1429_870:                           ;   in Loop: Header=BB1429_686 Depth=2
	ds_read_b32 v3, v66 offset:4608
	s_waitcnt lgkmcnt(0)
	v_cmp_ne_u32_e64 s39, 0x7fffffff, v3
	v_cndmask_b32_e64 v3, 0x80000000, v3, s39
	v_lshrrev_b32_e32 v3, s53, v3
	v_and_b32_e32 v143, s61, v3
	s_or_b32 exec_lo, exec_lo, s46
	s_and_saveexec_b32 s46, s26
	s_cbranch_execz .LBB1429_805
.LBB1429_871:                           ;   in Loop: Header=BB1429_686 Depth=2
	ds_read_b32 v3, v66 offset:5632
	s_waitcnt lgkmcnt(0)
	v_cmp_ne_u32_e64 s39, 0x7fffffff, v3
	v_cndmask_b32_e64 v3, 0x80000000, v3, s39
	v_lshrrev_b32_e32 v3, s53, v3
	v_and_b32_e32 v142, s61, v3
	s_or_b32 exec_lo, exec_lo, s46
	s_and_saveexec_b32 s46, s28
	s_cbranch_execz .LBB1429_806
.LBB1429_872:                           ;   in Loop: Header=BB1429_686 Depth=2
	ds_read_b32 v3, v66 offset:6656
	s_waitcnt lgkmcnt(0)
	v_cmp_ne_u32_e64 s39, 0x7fffffff, v3
	v_cndmask_b32_e64 v3, 0x80000000, v3, s39
	v_lshrrev_b32_e32 v3, s53, v3
	v_and_b32_e32 v141, s61, v3
	s_or_b32 exec_lo, exec_lo, s46
	s_and_saveexec_b32 s46, s29
	s_cbranch_execz .LBB1429_807
.LBB1429_873:                           ;   in Loop: Header=BB1429_686 Depth=2
	ds_read_b32 v3, v66 offset:7680
	s_waitcnt lgkmcnt(0)
	v_cmp_ne_u32_e64 s39, 0x7fffffff, v3
	v_cndmask_b32_e64 v3, 0x80000000, v3, s39
	v_lshrrev_b32_e32 v3, s53, v3
	v_and_b32_e32 v140, s61, v3
	s_or_b32 exec_lo, exec_lo, s46
	s_and_saveexec_b32 s46, s30
	s_cbranch_execz .LBB1429_808
.LBB1429_874:                           ;   in Loop: Header=BB1429_686 Depth=2
	ds_read_b32 v3, v66 offset:8704
	s_waitcnt lgkmcnt(0)
	v_cmp_ne_u32_e64 s39, 0x7fffffff, v3
	v_cndmask_b32_e64 v3, 0x80000000, v3, s39
	v_lshrrev_b32_e32 v3, s53, v3
	v_and_b32_e32 v139, s61, v3
	s_or_b32 exec_lo, exec_lo, s46
	s_and_saveexec_b32 s46, s31
	s_cbranch_execz .LBB1429_809
.LBB1429_875:                           ;   in Loop: Header=BB1429_686 Depth=2
	ds_read_b32 v3, v66 offset:9728
	s_waitcnt lgkmcnt(0)
	v_cmp_ne_u32_e64 s39, 0x7fffffff, v3
	v_cndmask_b32_e64 v3, 0x80000000, v3, s39
	v_lshrrev_b32_e32 v3, s53, v3
	v_and_b32_e32 v138, s61, v3
	s_or_b32 exec_lo, exec_lo, s46
	s_and_saveexec_b32 s46, s33
	s_cbranch_execz .LBB1429_810
.LBB1429_876:                           ;   in Loop: Header=BB1429_686 Depth=2
	ds_read_b32 v3, v66 offset:10752
	s_waitcnt lgkmcnt(0)
	v_cmp_ne_u32_e64 s39, 0x7fffffff, v3
	v_cndmask_b32_e64 v3, 0x80000000, v3, s39
	v_lshrrev_b32_e32 v3, s53, v3
	v_and_b32_e32 v137, s61, v3
	s_or_b32 exec_lo, exec_lo, s46
	s_and_saveexec_b32 s46, s34
	s_cbranch_execz .LBB1429_811
.LBB1429_877:                           ;   in Loop: Header=BB1429_686 Depth=2
	ds_read_b32 v3, v66 offset:11776
	s_waitcnt lgkmcnt(0)
	v_cmp_ne_u32_e64 s39, 0x7fffffff, v3
	v_cndmask_b32_e64 v3, 0x80000000, v3, s39
	v_lshrrev_b32_e32 v3, s53, v3
	v_and_b32_e32 v136, s61, v3
	s_or_b32 exec_lo, exec_lo, s46
	s_and_saveexec_b32 s46, s35
	s_cbranch_execz .LBB1429_812
.LBB1429_878:                           ;   in Loop: Header=BB1429_686 Depth=2
	ds_read_b32 v3, v66 offset:12800
	s_waitcnt lgkmcnt(0)
	v_cmp_ne_u32_e64 s39, 0x7fffffff, v3
	v_cndmask_b32_e64 v3, 0x80000000, v3, s39
	v_lshrrev_b32_e32 v3, s53, v3
	v_and_b32_e32 v135, s61, v3
	s_or_b32 exec_lo, exec_lo, s46
	s_and_saveexec_b32 s46, s36
	s_cbranch_execz .LBB1429_813
.LBB1429_879:                           ;   in Loop: Header=BB1429_686 Depth=2
	ds_read_b32 v3, v66 offset:13824
	s_waitcnt lgkmcnt(0)
	v_cmp_ne_u32_e64 s39, 0x7fffffff, v3
	v_cndmask_b32_e64 v3, 0x80000000, v3, s39
	v_lshrrev_b32_e32 v3, s53, v3
	v_and_b32_e32 v134, s61, v3
	s_or_b32 exec_lo, exec_lo, s46
	s_and_saveexec_b32 s46, s37
	s_cbranch_execz .LBB1429_814
.LBB1429_880:                           ;   in Loop: Header=BB1429_686 Depth=2
	ds_read_b32 v3, v66 offset:14848
	s_waitcnt lgkmcnt(0)
	v_cmp_ne_u32_e64 s39, 0x7fffffff, v3
	v_cndmask_b32_e64 v3, 0x80000000, v3, s39
	v_lshrrev_b32_e32 v3, s53, v3
	v_and_b32_e32 v133, s61, v3
	s_or_b32 exec_lo, exec_lo, s46
	s_and_saveexec_b32 s46, s38
	s_cbranch_execnz .LBB1429_815
	s_branch .LBB1429_816
.LBB1429_881:                           ;   in Loop: Header=BB1429_686 Depth=2
	v_lshlrev_b32_e32 v3, 2, v148
	v_add_nc_u32_e32 v37, v66, v41
	ds_read_b32 v3, v3
	ds_read_b64 v[37:38], v37 offset:512
	s_waitcnt lgkmcnt(1)
	v_add_nc_u32_e32 v3, v3, v0
	v_lshlrev_b64 v[39:40], 3, v[3:4]
	v_add_co_u32 v39, vcc_lo, s48, v39
	v_add_co_ci_u32_e64 v40, null, s49, v40, vcc_lo
	s_waitcnt lgkmcnt(0)
	global_store_dwordx2 v[39:40], v[37:38], off
	s_or_b32 exec_lo, exec_lo, s39
	s_and_saveexec_b32 s39, s22
	s_cbranch_execz .LBB1429_818
.LBB1429_882:                           ;   in Loop: Header=BB1429_686 Depth=2
	v_lshlrev_b32_e32 v3, 2, v147
	v_add_nc_u32_e32 v37, v66, v41
	ds_read_b32 v3, v3
	ds_read_b64 v[37:38], v37 offset:2560
	s_waitcnt lgkmcnt(1)
	v_add_nc_u32_e32 v3, v3, v42
	v_lshlrev_b64 v[39:40], 3, v[3:4]
	v_add_co_u32 v39, vcc_lo, s48, v39
	v_add_co_ci_u32_e64 v40, null, s49, v40, vcc_lo
	s_waitcnt lgkmcnt(0)
	global_store_dwordx2 v[39:40], v[37:38], off
	s_or_b32 exec_lo, exec_lo, s39
	s_and_saveexec_b32 s22, s23
	s_cbranch_execz .LBB1429_819
.LBB1429_883:                           ;   in Loop: Header=BB1429_686 Depth=2
	v_lshlrev_b32_e32 v3, 2, v146
	v_add_nc_u32_e32 v37, v66, v41
	ds_read_b32 v3, v3
	ds_read_b64 v[37:38], v37 offset:4608
	s_waitcnt lgkmcnt(1)
	v_add_nc_u32_e32 v3, v3, v45
	v_lshlrev_b64 v[39:40], 3, v[3:4]
	v_add_co_u32 v39, vcc_lo, s48, v39
	v_add_co_ci_u32_e64 v40, null, s49, v40, vcc_lo
	s_waitcnt lgkmcnt(0)
	global_store_dwordx2 v[39:40], v[37:38], off
	s_or_b32 exec_lo, exec_lo, s22
	s_and_saveexec_b32 s22, s24
	s_cbranch_execz .LBB1429_820
.LBB1429_884:                           ;   in Loop: Header=BB1429_686 Depth=2
	v_lshlrev_b32_e32 v3, 2, v145
	v_add_nc_u32_e32 v37, v66, v41
	ds_read_b32 v3, v3
	ds_read_b64 v[37:38], v37 offset:6656
	s_waitcnt lgkmcnt(1)
	v_add_nc_u32_e32 v3, v3, v46
	v_lshlrev_b64 v[39:40], 3, v[3:4]
	v_add_co_u32 v39, vcc_lo, s48, v39
	v_add_co_ci_u32_e64 v40, null, s49, v40, vcc_lo
	s_waitcnt lgkmcnt(0)
	global_store_dwordx2 v[39:40], v[37:38], off
	s_or_b32 exec_lo, exec_lo, s22
	s_and_saveexec_b32 s22, s25
	s_cbranch_execz .LBB1429_821
.LBB1429_885:                           ;   in Loop: Header=BB1429_686 Depth=2
	v_lshlrev_b32_e32 v3, 2, v143
	v_add_nc_u32_e32 v37, v66, v41
	ds_read_b32 v3, v3
	ds_read_b64 v[37:38], v37 offset:8704
	s_waitcnt lgkmcnt(1)
	v_add_nc_u32_e32 v3, v3, v47
	v_lshlrev_b64 v[39:40], 3, v[3:4]
	v_add_co_u32 v39, vcc_lo, s48, v39
	v_add_co_ci_u32_e64 v40, null, s49, v40, vcc_lo
	s_waitcnt lgkmcnt(0)
	global_store_dwordx2 v[39:40], v[37:38], off
	s_or_b32 exec_lo, exec_lo, s22
	s_and_saveexec_b32 s22, s26
	s_cbranch_execz .LBB1429_822
.LBB1429_886:                           ;   in Loop: Header=BB1429_686 Depth=2
	v_lshlrev_b32_e32 v3, 2, v142
	v_add_nc_u32_e32 v37, v66, v41
	ds_read_b32 v3, v3
	ds_read_b64 v[37:38], v37 offset:10752
	s_waitcnt lgkmcnt(1)
	v_add_nc_u32_e32 v3, v3, v48
	v_lshlrev_b64 v[39:40], 3, v[3:4]
	v_add_co_u32 v39, vcc_lo, s48, v39
	v_add_co_ci_u32_e64 v40, null, s49, v40, vcc_lo
	s_waitcnt lgkmcnt(0)
	global_store_dwordx2 v[39:40], v[37:38], off
	s_or_b32 exec_lo, exec_lo, s22
	s_and_saveexec_b32 s22, s28
	s_cbranch_execz .LBB1429_823
.LBB1429_887:                           ;   in Loop: Header=BB1429_686 Depth=2
	v_lshlrev_b32_e32 v3, 2, v141
	v_add_nc_u32_e32 v37, v66, v41
	ds_read_b32 v3, v3
	ds_read_b64 v[37:38], v37 offset:12800
	s_waitcnt lgkmcnt(1)
	v_add_nc_u32_e32 v3, v3, v49
	v_lshlrev_b64 v[39:40], 3, v[3:4]
	v_add_co_u32 v39, vcc_lo, s48, v39
	v_add_co_ci_u32_e64 v40, null, s49, v40, vcc_lo
	s_waitcnt lgkmcnt(0)
	global_store_dwordx2 v[39:40], v[37:38], off
	s_or_b32 exec_lo, exec_lo, s22
	s_and_saveexec_b32 s22, s29
	s_cbranch_execz .LBB1429_824
.LBB1429_888:                           ;   in Loop: Header=BB1429_686 Depth=2
	v_lshlrev_b32_e32 v3, 2, v140
	v_add_nc_u32_e32 v37, v66, v41
	ds_read_b32 v3, v3
	ds_read_b64 v[37:38], v37 offset:14848
	s_waitcnt lgkmcnt(1)
	v_add_nc_u32_e32 v3, v3, v50
	v_lshlrev_b64 v[39:40], 3, v[3:4]
	v_add_co_u32 v39, vcc_lo, s48, v39
	v_add_co_ci_u32_e64 v40, null, s49, v40, vcc_lo
	s_waitcnt lgkmcnt(0)
	global_store_dwordx2 v[39:40], v[37:38], off
	s_or_b32 exec_lo, exec_lo, s22
	s_and_saveexec_b32 s22, s30
	s_cbranch_execz .LBB1429_825
.LBB1429_889:                           ;   in Loop: Header=BB1429_686 Depth=2
	v_lshlrev_b32_e32 v3, 2, v139
	v_add_nc_u32_e32 v37, v66, v41
	ds_read_b32 v3, v3
	ds_read_b64 v[37:38], v37 offset:16896
	s_waitcnt lgkmcnt(1)
	v_add_nc_u32_e32 v3, v3, v51
	v_lshlrev_b64 v[39:40], 3, v[3:4]
	v_add_co_u32 v39, vcc_lo, s48, v39
	v_add_co_ci_u32_e64 v40, null, s49, v40, vcc_lo
	s_waitcnt lgkmcnt(0)
	global_store_dwordx2 v[39:40], v[37:38], off
	s_or_b32 exec_lo, exec_lo, s22
	s_and_saveexec_b32 s22, s31
	s_cbranch_execz .LBB1429_826
.LBB1429_890:                           ;   in Loop: Header=BB1429_686 Depth=2
	v_lshlrev_b32_e32 v3, 2, v138
	v_add_nc_u32_e32 v37, v66, v41
	ds_read_b32 v3, v3
	ds_read_b64 v[37:38], v37 offset:18944
	s_waitcnt lgkmcnt(1)
	v_add_nc_u32_e32 v3, v3, v52
	v_lshlrev_b64 v[39:40], 3, v[3:4]
	v_add_co_u32 v39, vcc_lo, s48, v39
	v_add_co_ci_u32_e64 v40, null, s49, v40, vcc_lo
	s_waitcnt lgkmcnt(0)
	global_store_dwordx2 v[39:40], v[37:38], off
	s_or_b32 exec_lo, exec_lo, s22
	s_and_saveexec_b32 s22, s33
	s_cbranch_execz .LBB1429_827
.LBB1429_891:                           ;   in Loop: Header=BB1429_686 Depth=2
	v_lshlrev_b32_e32 v3, 2, v137
	v_add_nc_u32_e32 v37, v66, v41
	ds_read_b32 v3, v3
	ds_read_b64 v[37:38], v37 offset:20992
	s_waitcnt lgkmcnt(1)
	v_add_nc_u32_e32 v3, v3, v53
	v_lshlrev_b64 v[39:40], 3, v[3:4]
	v_add_co_u32 v39, vcc_lo, s48, v39
	v_add_co_ci_u32_e64 v40, null, s49, v40, vcc_lo
	s_waitcnt lgkmcnt(0)
	global_store_dwordx2 v[39:40], v[37:38], off
	s_or_b32 exec_lo, exec_lo, s22
	s_and_saveexec_b32 s22, s34
	s_cbranch_execz .LBB1429_828
.LBB1429_892:                           ;   in Loop: Header=BB1429_686 Depth=2
	v_lshlrev_b32_e32 v3, 2, v136
	v_add_nc_u32_e32 v37, v66, v41
	ds_read_b32 v3, v3
	ds_read_b64 v[37:38], v37 offset:23040
	s_waitcnt lgkmcnt(1)
	v_add_nc_u32_e32 v3, v3, v54
	v_lshlrev_b64 v[39:40], 3, v[3:4]
	v_add_co_u32 v39, vcc_lo, s48, v39
	v_add_co_ci_u32_e64 v40, null, s49, v40, vcc_lo
	s_waitcnt lgkmcnt(0)
	global_store_dwordx2 v[39:40], v[37:38], off
	s_or_b32 exec_lo, exec_lo, s22
	s_and_saveexec_b32 s22, s35
	s_cbranch_execz .LBB1429_829
.LBB1429_893:                           ;   in Loop: Header=BB1429_686 Depth=2
	v_lshlrev_b32_e32 v3, 2, v135
	v_add_nc_u32_e32 v37, v66, v41
	ds_read_b32 v3, v3
	ds_read_b64 v[37:38], v37 offset:25088
	s_waitcnt lgkmcnt(1)
	v_add_nc_u32_e32 v3, v3, v55
	v_lshlrev_b64 v[39:40], 3, v[3:4]
	v_add_co_u32 v39, vcc_lo, s48, v39
	v_add_co_ci_u32_e64 v40, null, s49, v40, vcc_lo
	s_waitcnt lgkmcnt(0)
	global_store_dwordx2 v[39:40], v[37:38], off
	s_or_b32 exec_lo, exec_lo, s22
	s_and_saveexec_b32 s22, s36
	s_cbranch_execz .LBB1429_830
.LBB1429_894:                           ;   in Loop: Header=BB1429_686 Depth=2
	v_lshlrev_b32_e32 v3, 2, v134
	v_add_nc_u32_e32 v37, v66, v41
	ds_read_b32 v3, v3
	ds_read_b64 v[37:38], v37 offset:27136
	s_waitcnt lgkmcnt(1)
	v_add_nc_u32_e32 v3, v3, v56
	v_lshlrev_b64 v[39:40], 3, v[3:4]
	v_add_co_u32 v39, vcc_lo, s48, v39
	v_add_co_ci_u32_e64 v40, null, s49, v40, vcc_lo
	s_waitcnt lgkmcnt(0)
	global_store_dwordx2 v[39:40], v[37:38], off
	s_or_b32 exec_lo, exec_lo, s22
	s_and_saveexec_b32 s22, s37
	s_cbranch_execz .LBB1429_831
.LBB1429_895:                           ;   in Loop: Header=BB1429_686 Depth=2
	v_lshlrev_b32_e32 v3, 2, v133
	v_add_nc_u32_e32 v37, v66, v41
	ds_read_b32 v3, v3
	ds_read_b64 v[37:38], v37 offset:29184
	s_waitcnt lgkmcnt(1)
	v_add_nc_u32_e32 v3, v3, v57
	v_lshlrev_b64 v[39:40], 3, v[3:4]
	v_add_co_u32 v39, vcc_lo, s48, v39
	v_add_co_ci_u32_e64 v40, null, s49, v40, vcc_lo
	s_waitcnt lgkmcnt(0)
	global_store_dwordx2 v[39:40], v[37:38], off
	s_or_b32 exec_lo, exec_lo, s22
	s_and_saveexec_b32 s22, s38
	s_cbranch_execnz .LBB1429_832
	s_branch .LBB1429_833
.LBB1429_896:                           ;   in Loop: Header=BB1429_12 Depth=1
	s_waitcnt lgkmcnt(0)
	s_mov_b32 s5, 0
	s_barrier
.LBB1429_897:                           ;   in Loop: Header=BB1429_12 Depth=1
	s_and_b32 vcc_lo, exec_lo, s5
	s_cbranch_vccz .LBB1429_11
; %bb.898:                              ;   in Loop: Header=BB1429_12 Depth=1
	s_mov_b32 s5, s60
	s_mov_b32 s46, s58
	s_barrier
	buffer_gl0_inv
                                        ; implicit-def: $vgpr3
                                        ; implicit-def: $vgpr5
                                        ; implicit-def: $vgpr6
                                        ; implicit-def: $vgpr7
                                        ; implicit-def: $vgpr8
                                        ; implicit-def: $vgpr9
                                        ; implicit-def: $vgpr10
                                        ; implicit-def: $vgpr11
                                        ; implicit-def: $vgpr12
                                        ; implicit-def: $vgpr13
                                        ; implicit-def: $vgpr14
                                        ; implicit-def: $vgpr15
                                        ; implicit-def: $vgpr16
                                        ; implicit-def: $vgpr17
                                        ; implicit-def: $vgpr18
                                        ; implicit-def: $vgpr19
	s_branch .LBB1429_900
.LBB1429_899:                           ;   in Loop: Header=BB1429_900 Depth=2
	s_or_b32 exec_lo, exec_lo, s16
	s_addk_i32 s5, 0xf000
	s_cmp_ge_u32 s15, s59
	s_mov_b32 s46, s15
	s_cbranch_scc1 .LBB1429_968
.LBB1429_900:                           ;   Parent Loop BB1429_12 Depth=1
                                        ; =>  This Inner Loop Header: Depth=2
	s_add_i32 s15, s46, 0x1000
	s_mov_b32 s16, -1
	s_cmp_gt_u32 s15, s59
                                        ; implicit-def: $vgpr20
                                        ; implicit-def: $vgpr21
                                        ; implicit-def: $vgpr24
                                        ; implicit-def: $vgpr22
                                        ; implicit-def: $vgpr26
                                        ; implicit-def: $vgpr23
                                        ; implicit-def: $vgpr28
                                        ; implicit-def: $vgpr25
                                        ; implicit-def: $vgpr30
                                        ; implicit-def: $vgpr27
                                        ; implicit-def: $vgpr31
                                        ; implicit-def: $vgpr29
                                        ; implicit-def: $vgpr33
                                        ; implicit-def: $vgpr32
                                        ; implicit-def: $vgpr34
                                        ; implicit-def: $vgpr35
	s_cbranch_scc1 .LBB1429_902
; %bb.901:                              ;   in Loop: Header=BB1429_900 Depth=2
	s_lshl_b64 s[16:17], s[46:47], 2
	v_add_co_u32 v30, vcc_lo, v75, s16
	v_add_co_ci_u32_e64 v31, null, s17, v76, vcc_lo
	s_mov_b32 s16, 0
	v_add_co_u32 v22, vcc_lo, 0x800, v30
	v_add_co_ci_u32_e64 v23, null, 0, v31, vcc_lo
	v_add_co_u32 v33, vcc_lo, v30, 0x1000
	v_add_co_ci_u32_e64 v34, null, 0, v31, vcc_lo
	;; [unrolled: 2-line block ×9, first 2 shown]
	s_clause 0x7
	global_load_dword v20, v[30:31], off
	global_load_dword v21, v[30:31], off offset:1024
	global_load_dword v22, v[22:23], off offset:1024
	;; [unrolled: 1-line block ×7, first 2 shown]
	v_add_co_u32 v37, vcc_lo, 0x3800, v30
	v_add_co_ci_u32_e64 v38, null, 0, v31, vcc_lo
	s_clause 0x7
	global_load_dword v24, v[33:34], off offset:-2048
	global_load_dword v26, v[33:34], off
	global_load_dword v28, v[35:36], off offset:-2048
	global_load_dword v30, v[35:36], off
	;; [unrolled: 2-line block ×3, first 2 shown]
	global_load_dword v34, v[37:38], off
	global_load_dword v35, v[37:38], off offset:1024
.LBB1429_902:                           ;   in Loop: Header=BB1429_900 Depth=2
	s_andn2_b32 vcc_lo, exec_lo, s16
	s_movk_i32 s16, 0x1000
	s_cbranch_vccnz .LBB1429_921
; %bb.903:                              ;   in Loop: Header=BB1429_900 Depth=2
	s_lshl_b64 s[16:17], s[46:47], 2
	s_mov_b32 s18, exec_lo
	s_add_u32 s16, s40, s16
	s_addc_u32 s17, s41, s17
	v_cmpx_gt_u32_e64 s5, v0
	s_cbranch_execnz .LBB1429_953
; %bb.904:                              ;   in Loop: Header=BB1429_900 Depth=2
	s_or_b32 exec_lo, exec_lo, s18
	s_mov_b32 s18, exec_lo
	v_cmpx_gt_u32_e64 s5, v42
	s_cbranch_execnz .LBB1429_954
.LBB1429_905:                           ;   in Loop: Header=BB1429_900 Depth=2
	s_or_b32 exec_lo, exec_lo, s18
	s_mov_b32 s18, exec_lo
	v_cmpx_gt_u32_e64 s5, v45
	s_cbranch_execnz .LBB1429_955
.LBB1429_906:                           ;   in Loop: Header=BB1429_900 Depth=2
	s_or_b32 exec_lo, exec_lo, s18
	s_mov_b32 s18, exec_lo
	v_cmpx_gt_u32_e64 s5, v46
	s_cbranch_execnz .LBB1429_956
.LBB1429_907:                           ;   in Loop: Header=BB1429_900 Depth=2
	s_or_b32 exec_lo, exec_lo, s18
	s_mov_b32 s18, exec_lo
	v_cmpx_gt_u32_e64 s5, v47
	s_cbranch_execnz .LBB1429_957
.LBB1429_908:                           ;   in Loop: Header=BB1429_900 Depth=2
	s_or_b32 exec_lo, exec_lo, s18
	s_mov_b32 s18, exec_lo
	v_cmpx_gt_u32_e64 s5, v48
	s_cbranch_execnz .LBB1429_958
.LBB1429_909:                           ;   in Loop: Header=BB1429_900 Depth=2
	s_or_b32 exec_lo, exec_lo, s18
	s_mov_b32 s18, exec_lo
	v_cmpx_gt_u32_e64 s5, v49
	s_cbranch_execnz .LBB1429_959
.LBB1429_910:                           ;   in Loop: Header=BB1429_900 Depth=2
	s_or_b32 exec_lo, exec_lo, s18
	s_mov_b32 s18, exec_lo
	v_cmpx_gt_u32_e64 s5, v50
	s_cbranch_execnz .LBB1429_960
.LBB1429_911:                           ;   in Loop: Header=BB1429_900 Depth=2
	s_or_b32 exec_lo, exec_lo, s18
	s_mov_b32 s18, exec_lo
	v_cmpx_gt_u32_e64 s5, v51
	s_cbranch_execnz .LBB1429_961
.LBB1429_912:                           ;   in Loop: Header=BB1429_900 Depth=2
	s_or_b32 exec_lo, exec_lo, s18
	s_mov_b32 s18, exec_lo
	v_cmpx_gt_u32_e64 s5, v52
	s_cbranch_execnz .LBB1429_962
.LBB1429_913:                           ;   in Loop: Header=BB1429_900 Depth=2
	s_or_b32 exec_lo, exec_lo, s18
	s_mov_b32 s18, exec_lo
	v_cmpx_gt_u32_e64 s5, v53
	s_cbranch_execnz .LBB1429_963
.LBB1429_914:                           ;   in Loop: Header=BB1429_900 Depth=2
	s_or_b32 exec_lo, exec_lo, s18
	s_mov_b32 s18, exec_lo
	v_cmpx_gt_u32_e64 s5, v54
	s_cbranch_execnz .LBB1429_964
.LBB1429_915:                           ;   in Loop: Header=BB1429_900 Depth=2
	s_or_b32 exec_lo, exec_lo, s18
	s_mov_b32 s18, exec_lo
	v_cmpx_gt_u32_e64 s5, v55
	s_cbranch_execnz .LBB1429_965
.LBB1429_916:                           ;   in Loop: Header=BB1429_900 Depth=2
	s_or_b32 exec_lo, exec_lo, s18
	s_mov_b32 s18, exec_lo
	v_cmpx_gt_u32_e64 s5, v56
	s_cbranch_execnz .LBB1429_966
.LBB1429_917:                           ;   in Loop: Header=BB1429_900 Depth=2
	s_or_b32 exec_lo, exec_lo, s18
	s_mov_b32 s18, exec_lo
	v_cmpx_gt_u32_e64 s5, v57
	s_cbranch_execnz .LBB1429_967
.LBB1429_918:                           ;   in Loop: Header=BB1429_900 Depth=2
	s_or_b32 exec_lo, exec_lo, s18
	s_mov_b32 s18, exec_lo
	v_cmpx_gt_u32_e64 s5, v58
	s_cbranch_execz .LBB1429_920
.LBB1429_919:                           ;   in Loop: Header=BB1429_900 Depth=2
	global_load_dword v3, v100, s[16:17]
.LBB1429_920:                           ;   in Loop: Header=BB1429_900 Depth=2
	s_or_b32 exec_lo, exec_lo, s18
	s_waitcnt vmcnt(0)
	v_mov_b32_e32 v20, v19
	v_mov_b32_e32 v21, v18
	;; [unrolled: 1-line block ×16, first 2 shown]
	s_mov_b32 s16, s5
.LBB1429_921:                           ;   in Loop: Header=BB1429_900 Depth=2
	s_waitcnt vmcnt(0)
	v_mov_b32_e32 v3, v35
	v_mov_b32_e32 v5, v34
	;; [unrolled: 1-line block ×16, first 2 shown]
	s_mov_b32 s17, exec_lo
	v_cmpx_gt_u32_e64 s16, v0
	s_cbranch_execnz .LBB1429_937
; %bb.922:                              ;   in Loop: Header=BB1429_900 Depth=2
	s_or_b32 exec_lo, exec_lo, s17
	s_mov_b32 s17, exec_lo
	v_cmpx_gt_u32_e64 s16, v42
	s_cbranch_execnz .LBB1429_938
.LBB1429_923:                           ;   in Loop: Header=BB1429_900 Depth=2
	s_or_b32 exec_lo, exec_lo, s17
	s_mov_b32 s17, exec_lo
	v_cmpx_gt_u32_e64 s16, v45
	s_cbranch_execnz .LBB1429_939
.LBB1429_924:                           ;   in Loop: Header=BB1429_900 Depth=2
	s_or_b32 exec_lo, exec_lo, s17
	s_mov_b32 s17, exec_lo
	v_cmpx_gt_u32_e64 s16, v46
	s_cbranch_execnz .LBB1429_940
.LBB1429_925:                           ;   in Loop: Header=BB1429_900 Depth=2
	s_or_b32 exec_lo, exec_lo, s17
	s_mov_b32 s17, exec_lo
	v_cmpx_gt_u32_e64 s16, v47
	s_cbranch_execnz .LBB1429_941
.LBB1429_926:                           ;   in Loop: Header=BB1429_900 Depth=2
	s_or_b32 exec_lo, exec_lo, s17
	s_mov_b32 s17, exec_lo
	v_cmpx_gt_u32_e64 s16, v48
	s_cbranch_execnz .LBB1429_942
.LBB1429_927:                           ;   in Loop: Header=BB1429_900 Depth=2
	s_or_b32 exec_lo, exec_lo, s17
	s_mov_b32 s17, exec_lo
	v_cmpx_gt_u32_e64 s16, v49
	s_cbranch_execnz .LBB1429_943
.LBB1429_928:                           ;   in Loop: Header=BB1429_900 Depth=2
	s_or_b32 exec_lo, exec_lo, s17
	s_mov_b32 s17, exec_lo
	v_cmpx_gt_u32_e64 s16, v50
	s_cbranch_execnz .LBB1429_944
.LBB1429_929:                           ;   in Loop: Header=BB1429_900 Depth=2
	s_or_b32 exec_lo, exec_lo, s17
	s_mov_b32 s17, exec_lo
	v_cmpx_gt_u32_e64 s16, v51
	s_cbranch_execnz .LBB1429_945
.LBB1429_930:                           ;   in Loop: Header=BB1429_900 Depth=2
	s_or_b32 exec_lo, exec_lo, s17
	s_mov_b32 s17, exec_lo
	v_cmpx_gt_u32_e64 s16, v52
	s_cbranch_execnz .LBB1429_946
.LBB1429_931:                           ;   in Loop: Header=BB1429_900 Depth=2
	s_or_b32 exec_lo, exec_lo, s17
	s_mov_b32 s17, exec_lo
	v_cmpx_gt_u32_e64 s16, v53
	s_cbranch_execnz .LBB1429_947
.LBB1429_932:                           ;   in Loop: Header=BB1429_900 Depth=2
	s_or_b32 exec_lo, exec_lo, s17
	s_mov_b32 s17, exec_lo
	v_cmpx_gt_u32_e64 s16, v54
	s_cbranch_execnz .LBB1429_948
.LBB1429_933:                           ;   in Loop: Header=BB1429_900 Depth=2
	s_or_b32 exec_lo, exec_lo, s17
	s_mov_b32 s17, exec_lo
	v_cmpx_gt_u32_e64 s16, v55
	s_cbranch_execnz .LBB1429_949
.LBB1429_934:                           ;   in Loop: Header=BB1429_900 Depth=2
	s_or_b32 exec_lo, exec_lo, s17
	s_mov_b32 s17, exec_lo
	v_cmpx_gt_u32_e64 s16, v56
	s_cbranch_execnz .LBB1429_950
.LBB1429_935:                           ;   in Loop: Header=BB1429_900 Depth=2
	s_or_b32 exec_lo, exec_lo, s17
	s_mov_b32 s17, exec_lo
	v_cmpx_gt_u32_e64 s16, v57
	s_cbranch_execnz .LBB1429_951
.LBB1429_936:                           ;   in Loop: Header=BB1429_900 Depth=2
	s_or_b32 exec_lo, exec_lo, s17
	v_cmp_gt_u32_e32 vcc_lo, s16, v58
	s_and_saveexec_b32 s16, vcc_lo
	s_cbranch_execz .LBB1429_899
	s_branch .LBB1429_952
.LBB1429_937:                           ;   in Loop: Header=BB1429_900 Depth=2
	v_cmp_lt_i32_e32 vcc_lo, -1, v19
	v_cndmask_b32_e64 v20, -1, 0x80000000, vcc_lo
	v_xor_b32_e32 v20, v20, v19
	v_cmp_ne_u32_e32 vcc_lo, 0x7fffffff, v20
	v_cndmask_b32_e32 v20, 0x80000000, v20, vcc_lo
	v_lshrrev_b32_e32 v20, s53, v20
	v_and_b32_e32 v20, s61, v20
	v_lshl_or_b32 v20, v20, 4, v59
	ds_add_u32 v20, v82
	s_or_b32 exec_lo, exec_lo, s17
	s_mov_b32 s17, exec_lo
	v_cmpx_gt_u32_e64 s16, v42
	s_cbranch_execz .LBB1429_923
.LBB1429_938:                           ;   in Loop: Header=BB1429_900 Depth=2
	v_cmp_lt_i32_e32 vcc_lo, -1, v18
	v_cndmask_b32_e64 v20, -1, 0x80000000, vcc_lo
	v_xor_b32_e32 v20, v20, v18
	v_cmp_ne_u32_e32 vcc_lo, 0x7fffffff, v20
	v_cndmask_b32_e32 v20, 0x80000000, v20, vcc_lo
	v_lshrrev_b32_e32 v20, s53, v20
	v_and_b32_e32 v20, s61, v20
	v_lshl_or_b32 v20, v20, 4, v59
	ds_add_u32 v20, v82
	s_or_b32 exec_lo, exec_lo, s17
	s_mov_b32 s17, exec_lo
	v_cmpx_gt_u32_e64 s16, v45
	s_cbranch_execz .LBB1429_924
.LBB1429_939:                           ;   in Loop: Header=BB1429_900 Depth=2
	v_cmp_lt_i32_e32 vcc_lo, -1, v17
	v_cndmask_b32_e64 v20, -1, 0x80000000, vcc_lo
	v_xor_b32_e32 v20, v20, v17
	v_cmp_ne_u32_e32 vcc_lo, 0x7fffffff, v20
	v_cndmask_b32_e32 v20, 0x80000000, v20, vcc_lo
	v_lshrrev_b32_e32 v20, s53, v20
	v_and_b32_e32 v20, s61, v20
	v_lshl_or_b32 v20, v20, 4, v59
	ds_add_u32 v20, v82
	s_or_b32 exec_lo, exec_lo, s17
	s_mov_b32 s17, exec_lo
	v_cmpx_gt_u32_e64 s16, v46
	s_cbranch_execz .LBB1429_925
.LBB1429_940:                           ;   in Loop: Header=BB1429_900 Depth=2
	v_cmp_lt_i32_e32 vcc_lo, -1, v16
	v_cndmask_b32_e64 v20, -1, 0x80000000, vcc_lo
	v_xor_b32_e32 v20, v20, v16
	v_cmp_ne_u32_e32 vcc_lo, 0x7fffffff, v20
	v_cndmask_b32_e32 v20, 0x80000000, v20, vcc_lo
	v_lshrrev_b32_e32 v20, s53, v20
	v_and_b32_e32 v20, s61, v20
	v_lshl_or_b32 v20, v20, 4, v59
	ds_add_u32 v20, v82
	s_or_b32 exec_lo, exec_lo, s17
	s_mov_b32 s17, exec_lo
	v_cmpx_gt_u32_e64 s16, v47
	s_cbranch_execz .LBB1429_926
.LBB1429_941:                           ;   in Loop: Header=BB1429_900 Depth=2
	v_cmp_lt_i32_e32 vcc_lo, -1, v15
	v_cndmask_b32_e64 v20, -1, 0x80000000, vcc_lo
	v_xor_b32_e32 v20, v20, v15
	v_cmp_ne_u32_e32 vcc_lo, 0x7fffffff, v20
	v_cndmask_b32_e32 v20, 0x80000000, v20, vcc_lo
	v_lshrrev_b32_e32 v20, s53, v20
	v_and_b32_e32 v20, s61, v20
	v_lshl_or_b32 v20, v20, 4, v59
	ds_add_u32 v20, v82
	s_or_b32 exec_lo, exec_lo, s17
	s_mov_b32 s17, exec_lo
	v_cmpx_gt_u32_e64 s16, v48
	s_cbranch_execz .LBB1429_927
.LBB1429_942:                           ;   in Loop: Header=BB1429_900 Depth=2
	v_cmp_lt_i32_e32 vcc_lo, -1, v14
	v_cndmask_b32_e64 v20, -1, 0x80000000, vcc_lo
	v_xor_b32_e32 v20, v20, v14
	v_cmp_ne_u32_e32 vcc_lo, 0x7fffffff, v20
	v_cndmask_b32_e32 v20, 0x80000000, v20, vcc_lo
	v_lshrrev_b32_e32 v20, s53, v20
	v_and_b32_e32 v20, s61, v20
	v_lshl_or_b32 v20, v20, 4, v59
	ds_add_u32 v20, v82
	s_or_b32 exec_lo, exec_lo, s17
	s_mov_b32 s17, exec_lo
	v_cmpx_gt_u32_e64 s16, v49
	s_cbranch_execz .LBB1429_928
.LBB1429_943:                           ;   in Loop: Header=BB1429_900 Depth=2
	v_cmp_lt_i32_e32 vcc_lo, -1, v13
	v_cndmask_b32_e64 v20, -1, 0x80000000, vcc_lo
	v_xor_b32_e32 v20, v20, v13
	v_cmp_ne_u32_e32 vcc_lo, 0x7fffffff, v20
	v_cndmask_b32_e32 v20, 0x80000000, v20, vcc_lo
	v_lshrrev_b32_e32 v20, s53, v20
	v_and_b32_e32 v20, s61, v20
	v_lshl_or_b32 v20, v20, 4, v59
	ds_add_u32 v20, v82
	s_or_b32 exec_lo, exec_lo, s17
	s_mov_b32 s17, exec_lo
	v_cmpx_gt_u32_e64 s16, v50
	s_cbranch_execz .LBB1429_929
.LBB1429_944:                           ;   in Loop: Header=BB1429_900 Depth=2
	v_cmp_lt_i32_e32 vcc_lo, -1, v12
	v_cndmask_b32_e64 v20, -1, 0x80000000, vcc_lo
	v_xor_b32_e32 v20, v20, v12
	v_cmp_ne_u32_e32 vcc_lo, 0x7fffffff, v20
	v_cndmask_b32_e32 v20, 0x80000000, v20, vcc_lo
	v_lshrrev_b32_e32 v20, s53, v20
	v_and_b32_e32 v20, s61, v20
	v_lshl_or_b32 v20, v20, 4, v59
	ds_add_u32 v20, v82
	s_or_b32 exec_lo, exec_lo, s17
	s_mov_b32 s17, exec_lo
	v_cmpx_gt_u32_e64 s16, v51
	s_cbranch_execz .LBB1429_930
.LBB1429_945:                           ;   in Loop: Header=BB1429_900 Depth=2
	v_cmp_lt_i32_e32 vcc_lo, -1, v11
	v_cndmask_b32_e64 v20, -1, 0x80000000, vcc_lo
	v_xor_b32_e32 v20, v20, v11
	v_cmp_ne_u32_e32 vcc_lo, 0x7fffffff, v20
	v_cndmask_b32_e32 v20, 0x80000000, v20, vcc_lo
	v_lshrrev_b32_e32 v20, s53, v20
	v_and_b32_e32 v20, s61, v20
	v_lshl_or_b32 v20, v20, 4, v59
	ds_add_u32 v20, v82
	s_or_b32 exec_lo, exec_lo, s17
	s_mov_b32 s17, exec_lo
	v_cmpx_gt_u32_e64 s16, v52
	s_cbranch_execz .LBB1429_931
.LBB1429_946:                           ;   in Loop: Header=BB1429_900 Depth=2
	v_cmp_lt_i32_e32 vcc_lo, -1, v10
	v_cndmask_b32_e64 v20, -1, 0x80000000, vcc_lo
	v_xor_b32_e32 v20, v20, v10
	v_cmp_ne_u32_e32 vcc_lo, 0x7fffffff, v20
	v_cndmask_b32_e32 v20, 0x80000000, v20, vcc_lo
	v_lshrrev_b32_e32 v20, s53, v20
	v_and_b32_e32 v20, s61, v20
	v_lshl_or_b32 v20, v20, 4, v59
	ds_add_u32 v20, v82
	s_or_b32 exec_lo, exec_lo, s17
	s_mov_b32 s17, exec_lo
	v_cmpx_gt_u32_e64 s16, v53
	s_cbranch_execz .LBB1429_932
.LBB1429_947:                           ;   in Loop: Header=BB1429_900 Depth=2
	v_cmp_lt_i32_e32 vcc_lo, -1, v9
	v_cndmask_b32_e64 v20, -1, 0x80000000, vcc_lo
	v_xor_b32_e32 v20, v20, v9
	v_cmp_ne_u32_e32 vcc_lo, 0x7fffffff, v20
	v_cndmask_b32_e32 v20, 0x80000000, v20, vcc_lo
	v_lshrrev_b32_e32 v20, s53, v20
	v_and_b32_e32 v20, s61, v20
	v_lshl_or_b32 v20, v20, 4, v59
	ds_add_u32 v20, v82
	s_or_b32 exec_lo, exec_lo, s17
	s_mov_b32 s17, exec_lo
	v_cmpx_gt_u32_e64 s16, v54
	s_cbranch_execz .LBB1429_933
.LBB1429_948:                           ;   in Loop: Header=BB1429_900 Depth=2
	v_cmp_lt_i32_e32 vcc_lo, -1, v8
	v_cndmask_b32_e64 v20, -1, 0x80000000, vcc_lo
	v_xor_b32_e32 v20, v20, v8
	v_cmp_ne_u32_e32 vcc_lo, 0x7fffffff, v20
	v_cndmask_b32_e32 v20, 0x80000000, v20, vcc_lo
	v_lshrrev_b32_e32 v20, s53, v20
	v_and_b32_e32 v20, s61, v20
	v_lshl_or_b32 v20, v20, 4, v59
	ds_add_u32 v20, v82
	s_or_b32 exec_lo, exec_lo, s17
	s_mov_b32 s17, exec_lo
	v_cmpx_gt_u32_e64 s16, v55
	s_cbranch_execz .LBB1429_934
.LBB1429_949:                           ;   in Loop: Header=BB1429_900 Depth=2
	v_cmp_lt_i32_e32 vcc_lo, -1, v7
	v_cndmask_b32_e64 v20, -1, 0x80000000, vcc_lo
	v_xor_b32_e32 v20, v20, v7
	v_cmp_ne_u32_e32 vcc_lo, 0x7fffffff, v20
	v_cndmask_b32_e32 v20, 0x80000000, v20, vcc_lo
	v_lshrrev_b32_e32 v20, s53, v20
	v_and_b32_e32 v20, s61, v20
	v_lshl_or_b32 v20, v20, 4, v59
	ds_add_u32 v20, v82
	s_or_b32 exec_lo, exec_lo, s17
	s_mov_b32 s17, exec_lo
	v_cmpx_gt_u32_e64 s16, v56
	s_cbranch_execz .LBB1429_935
.LBB1429_950:                           ;   in Loop: Header=BB1429_900 Depth=2
	v_cmp_lt_i32_e32 vcc_lo, -1, v6
	v_cndmask_b32_e64 v20, -1, 0x80000000, vcc_lo
	v_xor_b32_e32 v20, v20, v6
	v_cmp_ne_u32_e32 vcc_lo, 0x7fffffff, v20
	v_cndmask_b32_e32 v20, 0x80000000, v20, vcc_lo
	v_lshrrev_b32_e32 v20, s53, v20
	v_and_b32_e32 v20, s61, v20
	v_lshl_or_b32 v20, v20, 4, v59
	ds_add_u32 v20, v82
	s_or_b32 exec_lo, exec_lo, s17
	s_mov_b32 s17, exec_lo
	v_cmpx_gt_u32_e64 s16, v57
	s_cbranch_execz .LBB1429_936
.LBB1429_951:                           ;   in Loop: Header=BB1429_900 Depth=2
	v_cmp_lt_i32_e32 vcc_lo, -1, v5
	v_cndmask_b32_e64 v20, -1, 0x80000000, vcc_lo
	v_xor_b32_e32 v20, v20, v5
	v_cmp_ne_u32_e32 vcc_lo, 0x7fffffff, v20
	v_cndmask_b32_e32 v20, 0x80000000, v20, vcc_lo
	v_lshrrev_b32_e32 v20, s53, v20
	v_and_b32_e32 v20, s61, v20
	v_lshl_or_b32 v20, v20, 4, v59
	ds_add_u32 v20, v82
	s_or_b32 exec_lo, exec_lo, s17
	v_cmp_gt_u32_e32 vcc_lo, s16, v58
	s_and_saveexec_b32 s16, vcc_lo
	s_cbranch_execz .LBB1429_899
.LBB1429_952:                           ;   in Loop: Header=BB1429_900 Depth=2
	v_cmp_lt_i32_e32 vcc_lo, -1, v3
	v_cndmask_b32_e64 v20, -1, 0x80000000, vcc_lo
	v_xor_b32_e32 v20, v20, v3
	v_cmp_ne_u32_e32 vcc_lo, 0x7fffffff, v20
	v_cndmask_b32_e32 v20, 0x80000000, v20, vcc_lo
	v_lshrrev_b32_e32 v20, s53, v20
	v_and_b32_e32 v20, s61, v20
	v_lshl_or_b32 v20, v20, 4, v59
	ds_add_u32 v20, v82
	s_branch .LBB1429_899
.LBB1429_953:                           ;   in Loop: Header=BB1429_900 Depth=2
	global_load_dword v19, v86, s[16:17]
	s_or_b32 exec_lo, exec_lo, s18
	s_mov_b32 s18, exec_lo
	v_cmpx_gt_u32_e64 s5, v42
	s_cbranch_execz .LBB1429_905
.LBB1429_954:                           ;   in Loop: Header=BB1429_900 Depth=2
	global_load_dword v18, v86, s[16:17] offset:1024
	s_or_b32 exec_lo, exec_lo, s18
	s_mov_b32 s18, exec_lo
	v_cmpx_gt_u32_e64 s5, v45
	s_cbranch_execz .LBB1429_906
.LBB1429_955:                           ;   in Loop: Header=BB1429_900 Depth=2
	global_load_dword v17, v87, s[16:17]
	s_or_b32 exec_lo, exec_lo, s18
	s_mov_b32 s18, exec_lo
	v_cmpx_gt_u32_e64 s5, v46
	s_cbranch_execz .LBB1429_907
.LBB1429_956:                           ;   in Loop: Header=BB1429_900 Depth=2
	global_load_dword v16, v88, s[16:17]
	s_or_b32 exec_lo, exec_lo, s18
	s_mov_b32 s18, exec_lo
	v_cmpx_gt_u32_e64 s5, v47
	s_cbranch_execz .LBB1429_908
.LBB1429_957:                           ;   in Loop: Header=BB1429_900 Depth=2
	global_load_dword v15, v89, s[16:17]
	s_or_b32 exec_lo, exec_lo, s18
	s_mov_b32 s18, exec_lo
	v_cmpx_gt_u32_e64 s5, v48
	s_cbranch_execz .LBB1429_909
.LBB1429_958:                           ;   in Loop: Header=BB1429_900 Depth=2
	global_load_dword v14, v90, s[16:17]
	s_or_b32 exec_lo, exec_lo, s18
	s_mov_b32 s18, exec_lo
	v_cmpx_gt_u32_e64 s5, v49
	s_cbranch_execz .LBB1429_910
.LBB1429_959:                           ;   in Loop: Header=BB1429_900 Depth=2
	global_load_dword v13, v91, s[16:17]
	s_or_b32 exec_lo, exec_lo, s18
	s_mov_b32 s18, exec_lo
	v_cmpx_gt_u32_e64 s5, v50
	s_cbranch_execz .LBB1429_911
.LBB1429_960:                           ;   in Loop: Header=BB1429_900 Depth=2
	global_load_dword v12, v92, s[16:17]
	s_or_b32 exec_lo, exec_lo, s18
	s_mov_b32 s18, exec_lo
	v_cmpx_gt_u32_e64 s5, v51
	s_cbranch_execz .LBB1429_912
.LBB1429_961:                           ;   in Loop: Header=BB1429_900 Depth=2
	global_load_dword v11, v93, s[16:17]
	s_or_b32 exec_lo, exec_lo, s18
	s_mov_b32 s18, exec_lo
	v_cmpx_gt_u32_e64 s5, v52
	s_cbranch_execz .LBB1429_913
.LBB1429_962:                           ;   in Loop: Header=BB1429_900 Depth=2
	global_load_dword v10, v94, s[16:17]
	s_or_b32 exec_lo, exec_lo, s18
	s_mov_b32 s18, exec_lo
	v_cmpx_gt_u32_e64 s5, v53
	s_cbranch_execz .LBB1429_914
.LBB1429_963:                           ;   in Loop: Header=BB1429_900 Depth=2
	global_load_dword v9, v95, s[16:17]
	s_or_b32 exec_lo, exec_lo, s18
	s_mov_b32 s18, exec_lo
	v_cmpx_gt_u32_e64 s5, v54
	s_cbranch_execz .LBB1429_915
.LBB1429_964:                           ;   in Loop: Header=BB1429_900 Depth=2
	global_load_dword v8, v96, s[16:17]
	s_or_b32 exec_lo, exec_lo, s18
	s_mov_b32 s18, exec_lo
	v_cmpx_gt_u32_e64 s5, v55
	s_cbranch_execz .LBB1429_916
.LBB1429_965:                           ;   in Loop: Header=BB1429_900 Depth=2
	global_load_dword v7, v97, s[16:17]
	s_or_b32 exec_lo, exec_lo, s18
	s_mov_b32 s18, exec_lo
	v_cmpx_gt_u32_e64 s5, v56
	s_cbranch_execz .LBB1429_917
.LBB1429_966:                           ;   in Loop: Header=BB1429_900 Depth=2
	global_load_dword v6, v98, s[16:17]
	s_or_b32 exec_lo, exec_lo, s18
	s_mov_b32 s18, exec_lo
	v_cmpx_gt_u32_e64 s5, v57
	s_cbranch_execz .LBB1429_918
.LBB1429_967:                           ;   in Loop: Header=BB1429_900 Depth=2
	global_load_dword v5, v99, s[16:17]
	s_or_b32 exec_lo, exec_lo, s18
	s_mov_b32 s18, exec_lo
	v_cmpx_gt_u32_e64 s5, v58
	s_cbranch_execnz .LBB1429_919
	s_branch .LBB1429_920
.LBB1429_968:                           ;   in Loop: Header=BB1429_12 Depth=1
	v_mov_b32_e32 v3, 0
	s_waitcnt lgkmcnt(0)
	s_barrier
	buffer_gl0_inv
	s_and_saveexec_b32 s5, s7
	s_cbranch_execz .LBB1429_970
; %bb.969:                              ;   in Loop: Header=BB1429_12 Depth=1
	ds_read2_b64 v[5:8], v61 offset1:1
	s_waitcnt lgkmcnt(0)
	v_add_nc_u32_e32 v3, v6, v5
	v_add3_u32 v3, v3, v7, v8
.LBB1429_970:                           ;   in Loop: Header=BB1429_12 Depth=1
	s_or_b32 exec_lo, exec_lo, s5
	v_mov_b32_dpp v5, v3 row_shr:1 row_mask:0xf bank_mask:0xf
	v_cmp_eq_u32_e64 s5, 0, v83
	v_cmp_lt_u32_e64 s15, 1, v83
	v_cmp_lt_u32_e64 s16, 3, v83
	;; [unrolled: 1-line block ×3, first 2 shown]
	v_cmp_eq_u32_e64 s18, 0, v85
	v_cndmask_b32_e64 v5, v5, 0, s5
	v_add_nc_u32_e32 v3, v5, v3
	v_mov_b32_dpp v5, v3 row_shr:2 row_mask:0xf bank_mask:0xf
	v_cndmask_b32_e64 v5, 0, v5, s15
	v_add_nc_u32_e32 v3, v3, v5
	v_mov_b32_dpp v5, v3 row_shr:4 row_mask:0xf bank_mask:0xf
	;; [unrolled: 3-line block ×3, first 2 shown]
	v_cndmask_b32_e64 v5, 0, v5, s17
	v_add_nc_u32_e32 v3, v3, v5
	ds_swizzle_b32 v5, v3 offset:swizzle(BROADCAST,32,15)
	s_waitcnt lgkmcnt(0)
	v_and_b32_e32 v5, v84, v5
	v_add_nc_u32_e32 v3, v3, v5
	s_and_saveexec_b32 s19, s8
; %bb.971:                              ;   in Loop: Header=BB1429_12 Depth=1
	ds_write_b32 v62, v3
; %bb.972:                              ;   in Loop: Header=BB1429_12 Depth=1
	s_or_b32 exec_lo, exec_lo, s19
	s_waitcnt lgkmcnt(0)
	s_barrier
	buffer_gl0_inv
	s_and_saveexec_b32 s19, s9
	s_cbranch_execz .LBB1429_974
; %bb.973:                              ;   in Loop: Header=BB1429_12 Depth=1
	ds_read_b32 v5, v63
	v_cmp_ne_u32_e32 vcc_lo, 0, v101
	s_waitcnt lgkmcnt(0)
	v_mov_b32_dpp v6, v5 row_shr:1 row_mask:0xf bank_mask:0xf
	v_cndmask_b32_e32 v6, 0, v6, vcc_lo
	v_cmp_lt_u32_e32 vcc_lo, 1, v101
	v_add_nc_u32_e32 v5, v6, v5
	v_mov_b32_dpp v6, v5 row_shr:2 row_mask:0xf bank_mask:0xf
	v_cndmask_b32_e32 v6, 0, v6, vcc_lo
	v_add_nc_u32_e32 v5, v5, v6
	ds_write_b32 v63, v5
.LBB1429_974:                           ;   in Loop: Header=BB1429_12 Depth=1
	s_or_b32 exec_lo, exec_lo, s19
	v_mov_b32_e32 v5, 0
	s_waitcnt lgkmcnt(0)
	s_barrier
	buffer_gl0_inv
	s_and_saveexec_b32 s19, s10
; %bb.975:                              ;   in Loop: Header=BB1429_12 Depth=1
	ds_read_b32 v5, v64
; %bb.976:                              ;   in Loop: Header=BB1429_12 Depth=1
	s_or_b32 exec_lo, exec_lo, s19
	v_cmp_gt_i32_e32 vcc_lo, 0, v103
	s_waitcnt lgkmcnt(0)
	v_add_nc_u32_e32 v3, v5, v3
	s_barrier
	buffer_gl0_inv
	v_cndmask_b32_e32 v6, v103, v79, vcc_lo
	v_lshlrev_b32_e32 v126, 2, v6
	ds_bpermute_b32 v3, v126, v3
	s_and_saveexec_b32 s19, s7
	s_cbranch_execz .LBB1429_978
; %bb.977:                              ;   in Loop: Header=BB1429_12 Depth=1
	s_waitcnt lgkmcnt(0)
	v_cndmask_b32_e64 v3, v3, v5, s14
	v_add_nc_u32_e32 v3, s58, v3
	ds_write_b32 v41, v3
.LBB1429_978:                           ;   in Loop: Header=BB1429_12 Depth=1
	s_or_b32 exec_lo, exec_lo, s19
	s_load_dwordx2 s[20:21], s[56:57], 0x0
	v_add_co_u32 v127, vcc_lo, v77, v102
	v_add_co_ci_u32_e64 v128, null, 0, v78, vcc_lo
	v_add_co_u32 v129, vcc_lo, v80, v120
	v_add_co_ci_u32_e64 v130, null, 0, v81, vcc_lo
	s_mov_b32 s62, s60
	s_mov_b32 s46, s58
                                        ; implicit-def: $vgpr7_vgpr8
                                        ; implicit-def: $vgpr9_vgpr10
                                        ; implicit-def: $vgpr11_vgpr12
                                        ; implicit-def: $vgpr13_vgpr14
                                        ; implicit-def: $vgpr17_vgpr18
                                        ; implicit-def: $vgpr21_vgpr22
                                        ; implicit-def: $vgpr25_vgpr26
                                        ; implicit-def: $vgpr15_vgpr16
                                        ; implicit-def: $vgpr19_vgpr20
                                        ; implicit-def: $vgpr23_vgpr24
                                        ; implicit-def: $vgpr27_vgpr28
                                        ; implicit-def: $vgpr29_vgpr30
                                        ; implicit-def: $vgpr31_vgpr32
                                        ; implicit-def: $vgpr33_vgpr34
                                        ; implicit-def: $vgpr35_vgpr36
                                        ; implicit-def: $vgpr132
                                        ; implicit-def: $vgpr133
                                        ; implicit-def: $vgpr134
                                        ; implicit-def: $vgpr135
                                        ; implicit-def: $vgpr136
                                        ; implicit-def: $vgpr137
                                        ; implicit-def: $vgpr138
                                        ; implicit-def: $vgpr139
                                        ; implicit-def: $vgpr140
                                        ; implicit-def: $vgpr141
                                        ; implicit-def: $vgpr142
                                        ; implicit-def: $vgpr143
                                        ; implicit-def: $vgpr145
                                        ; implicit-def: $vgpr146
                                        ; implicit-def: $vgpr147
                                        ; implicit-def: $vgpr148
                                        ; implicit-def: $vgpr144
                                        ; implicit-def: $vgpr149
	s_waitcnt lgkmcnt(0)
	s_cmp_lt_u32 s27, s21
	s_cselect_b32 s19, 14, 20
	s_add_u32 s22, s56, s19
	s_addc_u32 s23, s57, 0
	s_cmp_lt_u32 s6, s20
	global_load_ushort v3, v4, s[22:23]
	s_cselect_b32 s19, 12, 18
	s_add_u32 s20, s56, s19
	s_addc_u32 s21, s57, 0
	v_cmp_eq_u32_e64 s19, 0, v104
	global_load_ushort v5, v4, s[20:21]
	v_cmp_lt_u32_e64 s20, 1, v104
	v_cmp_lt_u32_e64 s21, 3, v104
	s_waitcnt vmcnt(1)
	v_mad_u32_u24 v3, v2, v3, v1
	s_waitcnt vmcnt(0)
	v_mad_u64_u32 v[5:6], null, v3, v5, v[0:1]
	v_lshrrev_b32_e32 v3, 3, v5
                                        ; implicit-def: $vgpr5_vgpr6
	v_and_b32_e32 v131, 0x1ffffffc, v3
	s_branch .LBB1429_980
.LBB1429_979:                           ;   in Loop: Header=BB1429_980 Depth=2
	s_or_b32 exec_lo, exec_lo, s22
	s_addk_i32 s62, 0xf000
	s_cmp_lt_u32 s63, s59
	s_mov_b32 s46, s63
	s_cbranch_scc0 .LBB1429_10
.LBB1429_980:                           ;   Parent Loop BB1429_12 Depth=1
                                        ; =>  This Inner Loop Header: Depth=2
	s_add_i32 s63, s46, 0x1000
	s_cmp_gt_u32 s63, s59
	s_cbranch_scc1 .LBB1429_982
; %bb.981:                              ;   in Loop: Header=BB1429_980 Depth=2
	s_lshl_b64 s[22:23], s[46:47], 2
	v_add_co_u32 v37, vcc_lo, v129, s22
	v_add_co_ci_u32_e64 v38, null, s23, v130, vcc_lo
	s_mov_b32 s22, -1
	s_clause 0xe
	global_load_dword v3, v[37:38], off
	global_load_dword v151, v[37:38], off offset:128
	global_load_dword v154, v[37:38], off offset:256
	;; [unrolled: 1-line block ×14, first 2 shown]
	s_movk_i32 s23, 0x1000
	s_cbranch_execz .LBB1429_983
	s_branch .LBB1429_1014
.LBB1429_982:                           ;   in Loop: Header=BB1429_980 Depth=2
	s_mov_b32 s22, 0
                                        ; implicit-def: $vgpr3
                                        ; implicit-def: $vgpr151
                                        ; implicit-def: $vgpr154
                                        ; implicit-def: $vgpr158
                                        ; implicit-def: $vgpr162
                                        ; implicit-def: $vgpr168
                                        ; implicit-def: $vgpr173
                                        ; implicit-def: $vgpr178
                                        ; implicit-def: $vgpr181
                                        ; implicit-def: $vgpr176
                                        ; implicit-def: $vgpr172
                                        ; implicit-def: $vgpr167
                                        ; implicit-def: $vgpr164
                                        ; implicit-def: $vgpr40
                                        ; implicit-def: $vgpr39
	s_movk_i32 s23, 0x1000
.LBB1429_983:                           ;   in Loop: Header=BB1429_980 Depth=2
	s_lshl_b64 s[22:23], s[46:47], 2
	s_waitcnt vmcnt(13)
	v_bfrev_b32_e32 v151, -2
	v_add_co_u32 v37, vcc_lo, v129, s22
	v_add_co_ci_u32_e64 v38, null, s23, v130, vcc_lo
	v_bfrev_b32_e32 v3, -2
	s_mov_b32 s22, exec_lo
	v_cmpx_gt_u32_e64 s62, v105
	s_cbranch_execz .LBB1429_985
; %bb.984:                              ;   in Loop: Header=BB1429_980 Depth=2
	global_load_dword v3, v[37:38], off
.LBB1429_985:                           ;   in Loop: Header=BB1429_980 Depth=2
	s_or_b32 exec_lo, exec_lo, s22
	s_mov_b32 s22, exec_lo
	v_cmpx_gt_u32_e64 s62, v108
	s_cbranch_execz .LBB1429_987
; %bb.986:                              ;   in Loop: Header=BB1429_980 Depth=2
	global_load_dword v151, v[37:38], off offset:128
.LBB1429_987:                           ;   in Loop: Header=BB1429_980 Depth=2
	s_or_b32 exec_lo, exec_lo, s22
	s_waitcnt vmcnt(11)
	v_bfrev_b32_e32 v158, -2
	v_bfrev_b32_e32 v154, -2
	s_mov_b32 s22, exec_lo
	v_cmpx_gt_u32_e64 s62, v109
	s_cbranch_execz .LBB1429_989
; %bb.988:                              ;   in Loop: Header=BB1429_980 Depth=2
	global_load_dword v154, v[37:38], off offset:256
.LBB1429_989:                           ;   in Loop: Header=BB1429_980 Depth=2
	s_or_b32 exec_lo, exec_lo, s22
	s_mov_b32 s22, exec_lo
	v_cmpx_gt_u32_e64 s62, v110
	s_cbranch_execz .LBB1429_991
; %bb.990:                              ;   in Loop: Header=BB1429_980 Depth=2
	global_load_dword v158, v[37:38], off offset:384
.LBB1429_991:                           ;   in Loop: Header=BB1429_980 Depth=2
	s_or_b32 exec_lo, exec_lo, s22
	s_waitcnt vmcnt(9)
	v_bfrev_b32_e32 v168, -2
	v_bfrev_b32_e32 v162, -2
	s_mov_b32 s22, exec_lo
	v_cmpx_gt_u32_e64 s62, v111
	s_cbranch_execz .LBB1429_993
; %bb.992:                              ;   in Loop: Header=BB1429_980 Depth=2
	global_load_dword v162, v[37:38], off offset:512
.LBB1429_993:                           ;   in Loop: Header=BB1429_980 Depth=2
	;; [unrolled: 17-line block ×3, first 2 shown]
	s_or_b32 exec_lo, exec_lo, s22
	s_mov_b32 s22, exec_lo
	v_cmpx_gt_u32_e64 s62, v114
	s_cbranch_execz .LBB1429_999
; %bb.998:                              ;   in Loop: Header=BB1429_980 Depth=2
	global_load_dword v178, v[37:38], off offset:896
.LBB1429_999:                           ;   in Loop: Header=BB1429_980 Depth=2
	s_or_b32 exec_lo, exec_lo, s22
	s_waitcnt vmcnt(5)
	v_bfrev_b32_e32 v176, -2
	v_bfrev_b32_e32 v181, -2
	s_mov_b32 s22, exec_lo
	v_cmpx_gt_u32_e64 s62, v115
	s_cbranch_execz .LBB1429_1001
; %bb.1000:                             ;   in Loop: Header=BB1429_980 Depth=2
	global_load_dword v181, v[37:38], off offset:1024
.LBB1429_1001:                          ;   in Loop: Header=BB1429_980 Depth=2
	s_or_b32 exec_lo, exec_lo, s22
	s_mov_b32 s22, exec_lo
	v_cmpx_gt_u32_e64 s62, v116
	s_cbranch_execz .LBB1429_1003
; %bb.1002:                             ;   in Loop: Header=BB1429_980 Depth=2
	global_load_dword v176, v[37:38], off offset:1152
.LBB1429_1003:                          ;   in Loop: Header=BB1429_980 Depth=2
	s_or_b32 exec_lo, exec_lo, s22
	s_waitcnt vmcnt(3)
	v_bfrev_b32_e32 v167, -2
	v_bfrev_b32_e32 v172, -2
	s_mov_b32 s22, exec_lo
	v_cmpx_gt_u32_e64 s62, v117
	s_cbranch_execz .LBB1429_1005
; %bb.1004:                             ;   in Loop: Header=BB1429_980 Depth=2
	global_load_dword v172, v[37:38], off offset:1280
.LBB1429_1005:                          ;   in Loop: Header=BB1429_980 Depth=2
	s_or_b32 exec_lo, exec_lo, s22
	s_mov_b32 s22, exec_lo
	v_cmpx_gt_u32_e64 s62, v118
	s_cbranch_execz .LBB1429_1007
; %bb.1006:                             ;   in Loop: Header=BB1429_980 Depth=2
	global_load_dword v167, v[37:38], off offset:1408
.LBB1429_1007:                          ;   in Loop: Header=BB1429_980 Depth=2
	;; [unrolled: 17-line block ×3, first 2 shown]
	s_or_b32 exec_lo, exec_lo, s22
	s_waitcnt vmcnt(0)
	v_bfrev_b32_e32 v39, -2
	s_mov_b32 s22, exec_lo
	v_cmpx_gt_u32_e64 s62, v122
	s_cbranch_execz .LBB1429_1013
; %bb.1012:                             ;   in Loop: Header=BB1429_980 Depth=2
	global_load_dword v39, v[37:38], off offset:1792
.LBB1429_1013:                          ;   in Loop: Header=BB1429_980 Depth=2
	s_or_b32 exec_lo, exec_lo, s22
	v_cmp_gt_u32_e64 s22, s62, v123
	s_sub_i32 s23, s59, s46
.LBB1429_1014:                          ;   in Loop: Header=BB1429_980 Depth=2
	v_bfrev_b32_e32 v37, -2
	v_mov_b32_e32 v150, s62
	s_and_saveexec_b32 s24, s22
	s_cbranch_execz .LBB1429_1016
; %bb.1015:                             ;   in Loop: Header=BB1429_980 Depth=2
	s_lshl_b64 s[28:29], s[46:47], 2
	v_mov_b32_e32 v150, s23
	v_add_co_u32 v37, vcc_lo, v129, s28
	v_add_co_ci_u32_e64 v38, null, s29, v130, vcc_lo
	global_load_dword v37, v[37:38], off offset:1920
.LBB1429_1016:                          ;   in Loop: Header=BB1429_980 Depth=2
	s_or_b32 exec_lo, exec_lo, s24
	s_waitcnt vmcnt(14)
	v_cmp_lt_i32_e32 vcc_lo, -1, v3
	ds_write2_b32 v65, v4, v4 offset0:136 offset1:137
	ds_write2_b32 v65, v4, v4 offset0:138 offset1:139
	ds_write_b32 v65, v4 offset:560
	s_waitcnt vmcnt(0) lgkmcnt(0)
	s_barrier
	v_cndmask_b32_e64 v38, -1, 0x80000000, vcc_lo
	buffer_gl0_inv
	; wave barrier
	v_xor_b32_e32 v3, v38, v3
	v_cmp_ne_u32_e32 vcc_lo, 0x7fffffff, v3
	v_cndmask_b32_e32 v38, 0x80000000, v3, vcc_lo
	v_lshrrev_b32_e32 v38, s53, v38
	v_and_b32_e32 v153, s61, v38
	v_and_b32_e32 v38, 1, v153
	v_lshlrev_b32_e32 v152, 30, v153
	v_lshlrev_b32_e32 v155, 29, v153
	;; [unrolled: 1-line block ×4, first 2 shown]
	v_add_co_u32 v38, s22, v38, -1
	v_cndmask_b32_e64 v156, 0, 1, s22
	v_not_b32_e32 v161, v152
	v_cmp_gt_i32_e64 s22, 0, v152
	v_not_b32_e32 v152, v155
	v_lshlrev_b32_e32 v160, 26, v153
	v_cmp_ne_u32_e32 vcc_lo, 0, v156
	v_ashrrev_i32_e32 v161, 31, v161
	v_lshlrev_b32_e32 v156, 25, v153
	v_ashrrev_i32_e32 v152, 31, v152
	v_mul_u32_u24_e32 v153, 36, v153
	v_xor_b32_e32 v38, vcc_lo, v38
	v_cmp_gt_i32_e32 vcc_lo, 0, v155
	v_not_b32_e32 v155, v157
	v_xor_b32_e32 v161, s22, v161
	v_cmp_gt_i32_e64 s22, 0, v157
	v_and_b32_e32 v38, exec_lo, v38
	v_not_b32_e32 v157, v159
	v_ashrrev_i32_e32 v155, 31, v155
	v_xor_b32_e32 v152, vcc_lo, v152
	v_cmp_gt_i32_e32 vcc_lo, 0, v159
	v_and_b32_e32 v38, v38, v161
	v_not_b32_e32 v159, v160
	v_ashrrev_i32_e32 v157, 31, v157
	v_xor_b32_e32 v155, s22, v155
	v_cmp_gt_i32_e64 s22, 0, v160
	v_and_b32_e32 v38, v38, v152
	v_not_b32_e32 v152, v156
	v_ashrrev_i32_e32 v159, 31, v159
	v_xor_b32_e32 v157, vcc_lo, v157
	v_cmp_gt_i32_e32 vcc_lo, 0, v156
	v_and_b32_e32 v38, v38, v155
	v_ashrrev_i32_e32 v152, 31, v152
	v_xor_b32_e32 v155, s22, v159
	v_add_nc_u32_e32 v153, v131, v153
	v_and_b32_e32 v38, v38, v157
	v_xor_b32_e32 v152, vcc_lo, v152
	v_and_b32_e32 v38, v38, v155
	v_and_b32_e32 v38, v38, v152
	v_mbcnt_lo_u32_b32 v152, v38, 0
	v_cmp_ne_u32_e64 s22, 0, v38
	v_cmp_eq_u32_e32 vcc_lo, 0, v152
	s_and_b32 s23, s22, vcc_lo
	s_and_saveexec_b32 s22, s23
; %bb.1017:                             ;   in Loop: Header=BB1429_980 Depth=2
	v_bcnt_u32_b32 v38, v38, 0
	ds_write_b32 v153, v38 offset:544
; %bb.1018:                             ;   in Loop: Header=BB1429_980 Depth=2
	s_or_b32 exec_lo, exec_lo, s22
	v_cmp_lt_i32_e32 vcc_lo, -1, v151
	; wave barrier
	v_cndmask_b32_e64 v38, -1, 0x80000000, vcc_lo
	v_xor_b32_e32 v151, v38, v151
	v_cmp_ne_u32_e32 vcc_lo, 0x7fffffff, v151
	v_cndmask_b32_e32 v38, 0x80000000, v151, vcc_lo
	v_lshrrev_b32_e32 v38, s53, v38
	v_and_b32_e32 v157, s61, v38
	v_and_b32_e32 v38, 1, v157
	v_lshlrev_b32_e32 v155, 30, v157
	v_lshlrev_b32_e32 v156, 29, v157
	v_lshlrev_b32_e32 v160, 28, v157
	v_lshlrev_b32_e32 v161, 27, v157
	v_add_co_u32 v38, s22, v38, -1
	v_cndmask_b32_e64 v159, 0, 1, s22
	v_not_b32_e32 v165, v155
	v_cmp_gt_i32_e64 s22, 0, v155
	v_not_b32_e32 v155, v156
	v_lshlrev_b32_e32 v163, 26, v157
	v_cmp_ne_u32_e32 vcc_lo, 0, v159
	v_ashrrev_i32_e32 v165, 31, v165
	v_lshlrev_b32_e32 v159, 25, v157
	v_ashrrev_i32_e32 v155, 31, v155
	v_xor_b32_e32 v38, vcc_lo, v38
	v_cmp_gt_i32_e32 vcc_lo, 0, v156
	v_not_b32_e32 v156, v160
	v_xor_b32_e32 v165, s22, v165
	v_cmp_gt_i32_e64 s22, 0, v160
	v_and_b32_e32 v38, exec_lo, v38
	v_not_b32_e32 v160, v161
	v_ashrrev_i32_e32 v156, 31, v156
	v_xor_b32_e32 v155, vcc_lo, v155
	v_cmp_gt_i32_e32 vcc_lo, 0, v161
	v_and_b32_e32 v38, v38, v165
	v_not_b32_e32 v161, v163
	v_ashrrev_i32_e32 v160, 31, v160
	v_xor_b32_e32 v156, s22, v156
	v_cmp_gt_i32_e64 s22, 0, v163
	v_and_b32_e32 v38, v38, v155
	v_not_b32_e32 v155, v159
	v_ashrrev_i32_e32 v161, 31, v161
	v_xor_b32_e32 v160, vcc_lo, v160
	v_cmp_gt_i32_e32 vcc_lo, 0, v159
	v_and_b32_e32 v38, v38, v156
	v_ashrrev_i32_e32 v155, 31, v155
	v_xor_b32_e32 v156, s22, v161
	v_mad_u32_u24 v159, v157, 36, v131
	v_mul_u32_u24_e32 v157, 36, v157
	v_and_b32_e32 v38, v38, v160
	v_xor_b32_e32 v160, vcc_lo, v155
	ds_read_b32 v155, v159 offset:544
	v_add_nc_u32_e32 v157, v131, v157
	v_and_b32_e32 v38, v38, v156
	; wave barrier
	v_and_b32_e32 v38, v38, v160
	v_mbcnt_lo_u32_b32 v156, v38, 0
	v_cmp_ne_u32_e64 s22, 0, v38
	v_cmp_eq_u32_e32 vcc_lo, 0, v156
	s_and_b32 s23, s22, vcc_lo
	s_and_saveexec_b32 s22, s23
	s_cbranch_execz .LBB1429_1020
; %bb.1019:                             ;   in Loop: Header=BB1429_980 Depth=2
	s_waitcnt lgkmcnt(0)
	v_bcnt_u32_b32 v38, v38, v155
	ds_write_b32 v157, v38 offset:544
.LBB1429_1020:                          ;   in Loop: Header=BB1429_980 Depth=2
	s_or_b32 exec_lo, exec_lo, s22
	v_cmp_lt_i32_e32 vcc_lo, -1, v154
	; wave barrier
	v_cndmask_b32_e64 v38, -1, 0x80000000, vcc_lo
	v_xor_b32_e32 v154, v38, v154
	v_cmp_ne_u32_e32 vcc_lo, 0x7fffffff, v154
	v_cndmask_b32_e32 v38, 0x80000000, v154, vcc_lo
	v_lshrrev_b32_e32 v38, s53, v38
	v_and_b32_e32 v161, s61, v38
	v_and_b32_e32 v38, 1, v161
	v_lshlrev_b32_e32 v159, 30, v161
	v_lshlrev_b32_e32 v160, 29, v161
	v_lshlrev_b32_e32 v165, 28, v161
	v_lshlrev_b32_e32 v166, 27, v161
	v_add_co_u32 v38, s22, v38, -1
	v_cndmask_b32_e64 v163, 0, 1, s22
	v_not_b32_e32 v170, v159
	v_cmp_gt_i32_e64 s22, 0, v159
	v_not_b32_e32 v159, v160
	v_lshlrev_b32_e32 v169, 26, v161
	v_cmp_ne_u32_e32 vcc_lo, 0, v163
	v_ashrrev_i32_e32 v170, 31, v170
	v_lshlrev_b32_e32 v163, 25, v161
	v_ashrrev_i32_e32 v159, 31, v159
	v_xor_b32_e32 v38, vcc_lo, v38
	v_cmp_gt_i32_e32 vcc_lo, 0, v160
	v_not_b32_e32 v160, v165
	v_xor_b32_e32 v170, s22, v170
	v_cmp_gt_i32_e64 s22, 0, v165
	v_and_b32_e32 v38, exec_lo, v38
	v_not_b32_e32 v165, v166
	v_ashrrev_i32_e32 v160, 31, v160
	v_xor_b32_e32 v159, vcc_lo, v159
	v_cmp_gt_i32_e32 vcc_lo, 0, v166
	v_and_b32_e32 v38, v38, v170
	v_not_b32_e32 v166, v169
	v_ashrrev_i32_e32 v165, 31, v165
	v_xor_b32_e32 v160, s22, v160
	v_cmp_gt_i32_e64 s22, 0, v169
	v_and_b32_e32 v38, v38, v159
	v_not_b32_e32 v159, v163
	v_ashrrev_i32_e32 v166, 31, v166
	v_xor_b32_e32 v165, vcc_lo, v165
	v_cmp_gt_i32_e32 vcc_lo, 0, v163
	v_and_b32_e32 v38, v38, v160
	v_ashrrev_i32_e32 v159, 31, v159
	v_xor_b32_e32 v160, s22, v166
	v_mad_u32_u24 v163, v161, 36, v131
	v_mul_u32_u24_e32 v161, 36, v161
	v_and_b32_e32 v38, v38, v165
	v_xor_b32_e32 v165, vcc_lo, v159
	ds_read_b32 v159, v163 offset:544
	v_add_nc_u32_e32 v161, v131, v161
	v_and_b32_e32 v38, v38, v160
	; wave barrier
	v_and_b32_e32 v38, v38, v165
	v_mbcnt_lo_u32_b32 v160, v38, 0
	v_cmp_ne_u32_e64 s22, 0, v38
	v_cmp_eq_u32_e32 vcc_lo, 0, v160
	s_and_b32 s23, s22, vcc_lo
	s_and_saveexec_b32 s22, s23
	s_cbranch_execz .LBB1429_1022
; %bb.1021:                             ;   in Loop: Header=BB1429_980 Depth=2
	s_waitcnt lgkmcnt(0)
	v_bcnt_u32_b32 v38, v38, v159
	ds_write_b32 v161, v38 offset:544
.LBB1429_1022:                          ;   in Loop: Header=BB1429_980 Depth=2
	s_or_b32 exec_lo, exec_lo, s22
	v_cmp_lt_i32_e32 vcc_lo, -1, v158
	; wave barrier
	v_cndmask_b32_e64 v38, -1, 0x80000000, vcc_lo
	v_xor_b32_e32 v158, v38, v158
	v_cmp_ne_u32_e32 vcc_lo, 0x7fffffff, v158
	v_cndmask_b32_e32 v38, 0x80000000, v158, vcc_lo
	v_lshrrev_b32_e32 v38, s53, v38
	v_and_b32_e32 v166, s61, v38
	v_and_b32_e32 v38, 1, v166
	v_lshlrev_b32_e32 v163, 30, v166
	v_lshlrev_b32_e32 v165, 29, v166
	;; [unrolled: 1-line block ×4, first 2 shown]
	v_add_co_u32 v38, s22, v38, -1
	v_cndmask_b32_e64 v169, 0, 1, s22
	v_not_b32_e32 v175, v163
	v_cmp_gt_i32_e64 s22, 0, v163
	v_not_b32_e32 v163, v165
	v_lshlrev_b32_e32 v174, 26, v166
	v_cmp_ne_u32_e32 vcc_lo, 0, v169
	v_ashrrev_i32_e32 v175, 31, v175
	v_lshlrev_b32_e32 v169, 25, v166
	v_ashrrev_i32_e32 v163, 31, v163
	v_xor_b32_e32 v38, vcc_lo, v38
	v_cmp_gt_i32_e32 vcc_lo, 0, v165
	v_not_b32_e32 v165, v170
	v_xor_b32_e32 v175, s22, v175
	v_cmp_gt_i32_e64 s22, 0, v170
	v_and_b32_e32 v38, exec_lo, v38
	v_not_b32_e32 v170, v171
	v_ashrrev_i32_e32 v165, 31, v165
	v_xor_b32_e32 v163, vcc_lo, v163
	v_cmp_gt_i32_e32 vcc_lo, 0, v171
	v_and_b32_e32 v38, v38, v175
	v_not_b32_e32 v171, v174
	v_ashrrev_i32_e32 v170, 31, v170
	v_xor_b32_e32 v165, s22, v165
	v_cmp_gt_i32_e64 s22, 0, v174
	v_and_b32_e32 v38, v38, v163
	v_not_b32_e32 v163, v169
	v_ashrrev_i32_e32 v171, 31, v171
	v_xor_b32_e32 v170, vcc_lo, v170
	v_cmp_gt_i32_e32 vcc_lo, 0, v169
	v_and_b32_e32 v38, v38, v165
	v_ashrrev_i32_e32 v163, 31, v163
	v_xor_b32_e32 v165, s22, v171
	v_mad_u32_u24 v169, v166, 36, v131
	v_mul_u32_u24_e32 v166, 36, v166
	v_and_b32_e32 v38, v38, v170
	v_xor_b32_e32 v170, vcc_lo, v163
	ds_read_b32 v163, v169 offset:544
	v_add_nc_u32_e32 v166, v131, v166
	v_and_b32_e32 v38, v38, v165
	; wave barrier
	v_and_b32_e32 v38, v38, v170
	v_mbcnt_lo_u32_b32 v165, v38, 0
	v_cmp_ne_u32_e64 s22, 0, v38
	v_cmp_eq_u32_e32 vcc_lo, 0, v165
	s_and_b32 s23, s22, vcc_lo
	s_and_saveexec_b32 s22, s23
	s_cbranch_execz .LBB1429_1024
; %bb.1023:                             ;   in Loop: Header=BB1429_980 Depth=2
	s_waitcnt lgkmcnt(0)
	v_bcnt_u32_b32 v38, v38, v163
	ds_write_b32 v166, v38 offset:544
.LBB1429_1024:                          ;   in Loop: Header=BB1429_980 Depth=2
	s_or_b32 exec_lo, exec_lo, s22
	v_cmp_lt_i32_e32 vcc_lo, -1, v162
	; wave barrier
	v_cndmask_b32_e64 v38, -1, 0x80000000, vcc_lo
	v_xor_b32_e32 v162, v38, v162
	v_cmp_ne_u32_e32 vcc_lo, 0x7fffffff, v162
	v_cndmask_b32_e32 v38, 0x80000000, v162, vcc_lo
	v_lshrrev_b32_e32 v38, s53, v38
	v_and_b32_e32 v171, s61, v38
	v_and_b32_e32 v38, 1, v171
	v_lshlrev_b32_e32 v169, 30, v171
	v_lshlrev_b32_e32 v170, 29, v171
	;; [unrolled: 1-line block ×4, first 2 shown]
	v_add_co_u32 v38, s22, v38, -1
	v_cndmask_b32_e64 v174, 0, 1, s22
	v_not_b32_e32 v180, v169
	v_cmp_gt_i32_e64 s22, 0, v169
	v_not_b32_e32 v169, v170
	v_lshlrev_b32_e32 v179, 26, v171
	v_cmp_ne_u32_e32 vcc_lo, 0, v174
	v_ashrrev_i32_e32 v180, 31, v180
	v_lshlrev_b32_e32 v174, 25, v171
	v_ashrrev_i32_e32 v169, 31, v169
	v_xor_b32_e32 v38, vcc_lo, v38
	v_cmp_gt_i32_e32 vcc_lo, 0, v170
	v_not_b32_e32 v170, v175
	v_xor_b32_e32 v180, s22, v180
	v_cmp_gt_i32_e64 s22, 0, v175
	v_and_b32_e32 v38, exec_lo, v38
	v_not_b32_e32 v175, v177
	v_ashrrev_i32_e32 v170, 31, v170
	v_xor_b32_e32 v169, vcc_lo, v169
	v_cmp_gt_i32_e32 vcc_lo, 0, v177
	v_and_b32_e32 v38, v38, v180
	v_not_b32_e32 v177, v179
	v_ashrrev_i32_e32 v175, 31, v175
	v_xor_b32_e32 v170, s22, v170
	v_cmp_gt_i32_e64 s22, 0, v179
	v_and_b32_e32 v38, v38, v169
	v_not_b32_e32 v169, v174
	v_ashrrev_i32_e32 v177, 31, v177
	v_xor_b32_e32 v175, vcc_lo, v175
	v_cmp_gt_i32_e32 vcc_lo, 0, v174
	v_and_b32_e32 v38, v38, v170
	v_ashrrev_i32_e32 v169, 31, v169
	v_xor_b32_e32 v170, s22, v177
	v_mad_u32_u24 v174, v171, 36, v131
	v_mul_u32_u24_e32 v171, 36, v171
	v_and_b32_e32 v38, v38, v175
	v_xor_b32_e32 v175, vcc_lo, v169
	ds_read_b32 v169, v174 offset:544
	v_add_nc_u32_e32 v171, v131, v171
	v_and_b32_e32 v38, v38, v170
	; wave barrier
	v_and_b32_e32 v38, v38, v175
	v_mbcnt_lo_u32_b32 v170, v38, 0
	v_cmp_ne_u32_e64 s22, 0, v38
	v_cmp_eq_u32_e32 vcc_lo, 0, v170
	s_and_b32 s23, s22, vcc_lo
	s_and_saveexec_b32 s22, s23
	s_cbranch_execz .LBB1429_1026
; %bb.1025:                             ;   in Loop: Header=BB1429_980 Depth=2
	s_waitcnt lgkmcnt(0)
	v_bcnt_u32_b32 v38, v38, v169
	ds_write_b32 v171, v38 offset:544
.LBB1429_1026:                          ;   in Loop: Header=BB1429_980 Depth=2
	s_or_b32 exec_lo, exec_lo, s22
	v_cmp_lt_i32_e32 vcc_lo, -1, v168
	; wave barrier
	v_cndmask_b32_e64 v38, -1, 0x80000000, vcc_lo
	v_xor_b32_e32 v168, v38, v168
	v_cmp_ne_u32_e32 vcc_lo, 0x7fffffff, v168
	v_cndmask_b32_e32 v38, 0x80000000, v168, vcc_lo
	v_lshrrev_b32_e32 v38, s53, v38
	v_and_b32_e32 v177, s61, v38
	v_and_b32_e32 v38, 1, v177
	v_lshlrev_b32_e32 v174, 30, v177
	v_lshlrev_b32_e32 v175, 29, v177
	;; [unrolled: 1-line block ×4, first 2 shown]
	v_add_co_u32 v38, s22, v38, -1
	v_cndmask_b32_e64 v179, 0, 1, s22
	v_not_b32_e32 v184, v174
	v_cmp_gt_i32_e64 s22, 0, v174
	v_not_b32_e32 v174, v175
	v_lshlrev_b32_e32 v183, 26, v177
	v_cmp_ne_u32_e32 vcc_lo, 0, v179
	v_ashrrev_i32_e32 v184, 31, v184
	v_lshlrev_b32_e32 v179, 25, v177
	v_ashrrev_i32_e32 v174, 31, v174
	v_xor_b32_e32 v38, vcc_lo, v38
	v_cmp_gt_i32_e32 vcc_lo, 0, v175
	v_not_b32_e32 v175, v180
	v_xor_b32_e32 v184, s22, v184
	v_cmp_gt_i32_e64 s22, 0, v180
	v_and_b32_e32 v38, exec_lo, v38
	v_not_b32_e32 v180, v182
	v_ashrrev_i32_e32 v175, 31, v175
	v_xor_b32_e32 v174, vcc_lo, v174
	v_cmp_gt_i32_e32 vcc_lo, 0, v182
	v_and_b32_e32 v38, v38, v184
	v_not_b32_e32 v182, v183
	v_ashrrev_i32_e32 v180, 31, v180
	v_xor_b32_e32 v175, s22, v175
	v_cmp_gt_i32_e64 s22, 0, v183
	v_and_b32_e32 v38, v38, v174
	v_not_b32_e32 v174, v179
	v_ashrrev_i32_e32 v182, 31, v182
	v_xor_b32_e32 v180, vcc_lo, v180
	v_cmp_gt_i32_e32 vcc_lo, 0, v179
	v_and_b32_e32 v38, v38, v175
	v_ashrrev_i32_e32 v174, 31, v174
	v_xor_b32_e32 v175, s22, v182
	v_mad_u32_u24 v179, v177, 36, v131
	v_mul_u32_u24_e32 v177, 36, v177
	v_and_b32_e32 v38, v38, v180
	v_xor_b32_e32 v180, vcc_lo, v174
	ds_read_b32 v174, v179 offset:544
	v_add_nc_u32_e32 v177, v131, v177
	v_and_b32_e32 v38, v38, v175
	; wave barrier
	v_and_b32_e32 v38, v38, v180
	v_mbcnt_lo_u32_b32 v175, v38, 0
	v_cmp_ne_u32_e64 s22, 0, v38
	v_cmp_eq_u32_e32 vcc_lo, 0, v175
	s_and_b32 s23, s22, vcc_lo
	s_and_saveexec_b32 s22, s23
	s_cbranch_execz .LBB1429_1028
; %bb.1027:                             ;   in Loop: Header=BB1429_980 Depth=2
	s_waitcnt lgkmcnt(0)
	v_bcnt_u32_b32 v38, v38, v174
	ds_write_b32 v177, v38 offset:544
.LBB1429_1028:                          ;   in Loop: Header=BB1429_980 Depth=2
	s_or_b32 exec_lo, exec_lo, s22
	v_cmp_lt_i32_e32 vcc_lo, -1, v173
	; wave barrier
	v_cndmask_b32_e64 v38, -1, 0x80000000, vcc_lo
	v_xor_b32_e32 v173, v38, v173
	v_cmp_ne_u32_e32 vcc_lo, 0x7fffffff, v173
	v_cndmask_b32_e32 v38, 0x80000000, v173, vcc_lo
	v_lshrrev_b32_e32 v38, s53, v38
	v_and_b32_e32 v182, s61, v38
	v_and_b32_e32 v38, 1, v182
	v_lshlrev_b32_e32 v179, 30, v182
	v_lshlrev_b32_e32 v180, 29, v182
	;; [unrolled: 1-line block ×4, first 2 shown]
	v_add_co_u32 v38, s22, v38, -1
	v_cndmask_b32_e64 v183, 0, 1, s22
	v_not_b32_e32 v187, v179
	v_cmp_gt_i32_e64 s22, 0, v179
	v_not_b32_e32 v179, v180
	v_lshlrev_b32_e32 v186, 26, v182
	v_cmp_ne_u32_e32 vcc_lo, 0, v183
	v_ashrrev_i32_e32 v187, 31, v187
	v_lshlrev_b32_e32 v183, 25, v182
	v_ashrrev_i32_e32 v179, 31, v179
	v_xor_b32_e32 v38, vcc_lo, v38
	v_cmp_gt_i32_e32 vcc_lo, 0, v180
	v_not_b32_e32 v180, v184
	v_xor_b32_e32 v187, s22, v187
	v_cmp_gt_i32_e64 s22, 0, v184
	v_and_b32_e32 v38, exec_lo, v38
	v_not_b32_e32 v184, v185
	v_ashrrev_i32_e32 v180, 31, v180
	v_xor_b32_e32 v179, vcc_lo, v179
	v_cmp_gt_i32_e32 vcc_lo, 0, v185
	v_and_b32_e32 v38, v38, v187
	v_not_b32_e32 v185, v186
	v_ashrrev_i32_e32 v184, 31, v184
	v_xor_b32_e32 v180, s22, v180
	v_cmp_gt_i32_e64 s22, 0, v186
	v_and_b32_e32 v38, v38, v179
	v_not_b32_e32 v179, v183
	v_ashrrev_i32_e32 v185, 31, v185
	v_xor_b32_e32 v184, vcc_lo, v184
	v_cmp_gt_i32_e32 vcc_lo, 0, v183
	v_and_b32_e32 v38, v38, v180
	v_ashrrev_i32_e32 v179, 31, v179
	v_xor_b32_e32 v180, s22, v185
	v_mad_u32_u24 v183, v182, 36, v131
	v_mul_u32_u24_e32 v182, 36, v182
	v_and_b32_e32 v38, v38, v184
	v_xor_b32_e32 v184, vcc_lo, v179
	ds_read_b32 v179, v183 offset:544
	v_add_nc_u32_e32 v182, v131, v182
	v_and_b32_e32 v38, v38, v180
	; wave barrier
	v_and_b32_e32 v38, v38, v184
	v_mbcnt_lo_u32_b32 v180, v38, 0
	v_cmp_ne_u32_e64 s22, 0, v38
	v_cmp_eq_u32_e32 vcc_lo, 0, v180
	s_and_b32 s23, s22, vcc_lo
	s_and_saveexec_b32 s22, s23
	s_cbranch_execz .LBB1429_1030
; %bb.1029:                             ;   in Loop: Header=BB1429_980 Depth=2
	s_waitcnt lgkmcnt(0)
	v_bcnt_u32_b32 v38, v38, v179
	ds_write_b32 v182, v38 offset:544
.LBB1429_1030:                          ;   in Loop: Header=BB1429_980 Depth=2
	s_or_b32 exec_lo, exec_lo, s22
	v_cmp_lt_i32_e32 vcc_lo, -1, v178
	; wave barrier
	v_cndmask_b32_e64 v38, -1, 0x80000000, vcc_lo
	v_xor_b32_e32 v178, v38, v178
	v_cmp_ne_u32_e32 vcc_lo, 0x7fffffff, v178
	v_cndmask_b32_e32 v38, 0x80000000, v178, vcc_lo
	v_lshrrev_b32_e32 v38, s53, v38
	v_and_b32_e32 v185, s61, v38
	v_and_b32_e32 v38, 1, v185
	v_lshlrev_b32_e32 v183, 30, v185
	v_lshlrev_b32_e32 v184, 29, v185
	;; [unrolled: 1-line block ×4, first 2 shown]
	v_add_co_u32 v38, s22, v38, -1
	v_cndmask_b32_e64 v186, 0, 1, s22
	v_not_b32_e32 v190, v183
	v_cmp_gt_i32_e64 s22, 0, v183
	v_not_b32_e32 v183, v184
	v_lshlrev_b32_e32 v189, 26, v185
	v_cmp_ne_u32_e32 vcc_lo, 0, v186
	v_ashrrev_i32_e32 v190, 31, v190
	v_lshlrev_b32_e32 v186, 25, v185
	v_ashrrev_i32_e32 v183, 31, v183
	v_xor_b32_e32 v38, vcc_lo, v38
	v_cmp_gt_i32_e32 vcc_lo, 0, v184
	v_not_b32_e32 v184, v187
	v_xor_b32_e32 v190, s22, v190
	v_cmp_gt_i32_e64 s22, 0, v187
	v_and_b32_e32 v38, exec_lo, v38
	v_not_b32_e32 v187, v188
	v_ashrrev_i32_e32 v184, 31, v184
	v_xor_b32_e32 v183, vcc_lo, v183
	v_cmp_gt_i32_e32 vcc_lo, 0, v188
	v_and_b32_e32 v38, v38, v190
	v_not_b32_e32 v188, v189
	v_ashrrev_i32_e32 v187, 31, v187
	v_xor_b32_e32 v184, s22, v184
	v_cmp_gt_i32_e64 s22, 0, v189
	v_and_b32_e32 v38, v38, v183
	v_not_b32_e32 v183, v186
	v_ashrrev_i32_e32 v188, 31, v188
	v_xor_b32_e32 v187, vcc_lo, v187
	v_cmp_gt_i32_e32 vcc_lo, 0, v186
	v_and_b32_e32 v38, v38, v184
	v_ashrrev_i32_e32 v183, 31, v183
	v_xor_b32_e32 v184, s22, v188
	v_mad_u32_u24 v186, v185, 36, v131
	v_mul_u32_u24_e32 v185, 36, v185
	v_and_b32_e32 v38, v38, v187
	v_xor_b32_e32 v187, vcc_lo, v183
	ds_read_b32 v183, v186 offset:544
	v_add_nc_u32_e32 v185, v131, v185
	v_and_b32_e32 v38, v38, v184
	; wave barrier
	v_and_b32_e32 v38, v38, v187
	v_mbcnt_lo_u32_b32 v184, v38, 0
	v_cmp_ne_u32_e64 s22, 0, v38
	v_cmp_eq_u32_e32 vcc_lo, 0, v184
	s_and_b32 s23, s22, vcc_lo
	s_and_saveexec_b32 s22, s23
	s_cbranch_execz .LBB1429_1032
; %bb.1031:                             ;   in Loop: Header=BB1429_980 Depth=2
	s_waitcnt lgkmcnt(0)
	v_bcnt_u32_b32 v38, v38, v183
	ds_write_b32 v185, v38 offset:544
.LBB1429_1032:                          ;   in Loop: Header=BB1429_980 Depth=2
	s_or_b32 exec_lo, exec_lo, s22
	v_cmp_lt_i32_e32 vcc_lo, -1, v181
	; wave barrier
	v_cndmask_b32_e64 v38, -1, 0x80000000, vcc_lo
	v_xor_b32_e32 v181, v38, v181
	v_cmp_ne_u32_e32 vcc_lo, 0x7fffffff, v181
	v_cndmask_b32_e32 v38, 0x80000000, v181, vcc_lo
	v_lshrrev_b32_e32 v38, s53, v38
	v_and_b32_e32 v188, s61, v38
	v_and_b32_e32 v38, 1, v188
	v_lshlrev_b32_e32 v186, 30, v188
	v_lshlrev_b32_e32 v187, 29, v188
	;; [unrolled: 1-line block ×4, first 2 shown]
	v_add_co_u32 v38, s22, v38, -1
	v_cndmask_b32_e64 v189, 0, 1, s22
	v_not_b32_e32 v193, v186
	v_cmp_gt_i32_e64 s22, 0, v186
	v_not_b32_e32 v186, v187
	v_lshlrev_b32_e32 v192, 26, v188
	v_cmp_ne_u32_e32 vcc_lo, 0, v189
	v_ashrrev_i32_e32 v193, 31, v193
	v_lshlrev_b32_e32 v189, 25, v188
	v_ashrrev_i32_e32 v186, 31, v186
	v_xor_b32_e32 v38, vcc_lo, v38
	v_cmp_gt_i32_e32 vcc_lo, 0, v187
	v_not_b32_e32 v187, v190
	v_xor_b32_e32 v193, s22, v193
	v_cmp_gt_i32_e64 s22, 0, v190
	v_and_b32_e32 v38, exec_lo, v38
	v_not_b32_e32 v190, v191
	v_ashrrev_i32_e32 v187, 31, v187
	v_xor_b32_e32 v186, vcc_lo, v186
	v_cmp_gt_i32_e32 vcc_lo, 0, v191
	v_and_b32_e32 v38, v38, v193
	v_not_b32_e32 v191, v192
	v_ashrrev_i32_e32 v190, 31, v190
	v_xor_b32_e32 v187, s22, v187
	v_cmp_gt_i32_e64 s22, 0, v192
	v_and_b32_e32 v38, v38, v186
	v_not_b32_e32 v186, v189
	v_ashrrev_i32_e32 v191, 31, v191
	v_xor_b32_e32 v190, vcc_lo, v190
	v_cmp_gt_i32_e32 vcc_lo, 0, v189
	v_and_b32_e32 v38, v38, v187
	v_ashrrev_i32_e32 v186, 31, v186
	v_xor_b32_e32 v187, s22, v191
	v_mad_u32_u24 v189, v188, 36, v131
	v_mul_u32_u24_e32 v188, 36, v188
	v_and_b32_e32 v38, v38, v190
	v_xor_b32_e32 v190, vcc_lo, v186
	ds_read_b32 v186, v189 offset:544
	v_add_nc_u32_e32 v188, v131, v188
	v_and_b32_e32 v38, v38, v187
	; wave barrier
	v_and_b32_e32 v38, v38, v190
	v_mbcnt_lo_u32_b32 v187, v38, 0
	v_cmp_ne_u32_e64 s22, 0, v38
	v_cmp_eq_u32_e32 vcc_lo, 0, v187
	s_and_b32 s23, s22, vcc_lo
	s_and_saveexec_b32 s22, s23
	s_cbranch_execz .LBB1429_1034
; %bb.1033:                             ;   in Loop: Header=BB1429_980 Depth=2
	s_waitcnt lgkmcnt(0)
	v_bcnt_u32_b32 v38, v38, v186
	ds_write_b32 v188, v38 offset:544
.LBB1429_1034:                          ;   in Loop: Header=BB1429_980 Depth=2
	s_or_b32 exec_lo, exec_lo, s22
	v_cmp_lt_i32_e32 vcc_lo, -1, v176
	; wave barrier
	v_cndmask_b32_e64 v38, -1, 0x80000000, vcc_lo
	v_xor_b32_e32 v176, v38, v176
	v_cmp_ne_u32_e32 vcc_lo, 0x7fffffff, v176
	v_cndmask_b32_e32 v38, 0x80000000, v176, vcc_lo
	v_lshrrev_b32_e32 v38, s53, v38
	v_and_b32_e32 v191, s61, v38
	v_and_b32_e32 v38, 1, v191
	v_lshlrev_b32_e32 v189, 30, v191
	v_lshlrev_b32_e32 v190, 29, v191
	;; [unrolled: 1-line block ×4, first 2 shown]
	v_add_co_u32 v38, s22, v38, -1
	v_cndmask_b32_e64 v192, 0, 1, s22
	v_not_b32_e32 v196, v189
	v_cmp_gt_i32_e64 s22, 0, v189
	v_not_b32_e32 v189, v190
	v_lshlrev_b32_e32 v195, 26, v191
	v_cmp_ne_u32_e32 vcc_lo, 0, v192
	v_ashrrev_i32_e32 v196, 31, v196
	v_lshlrev_b32_e32 v192, 25, v191
	v_ashrrev_i32_e32 v189, 31, v189
	v_xor_b32_e32 v38, vcc_lo, v38
	v_cmp_gt_i32_e32 vcc_lo, 0, v190
	v_not_b32_e32 v190, v193
	v_xor_b32_e32 v196, s22, v196
	v_cmp_gt_i32_e64 s22, 0, v193
	v_and_b32_e32 v38, exec_lo, v38
	v_not_b32_e32 v193, v194
	v_ashrrev_i32_e32 v190, 31, v190
	v_xor_b32_e32 v189, vcc_lo, v189
	v_cmp_gt_i32_e32 vcc_lo, 0, v194
	v_and_b32_e32 v38, v38, v196
	v_not_b32_e32 v194, v195
	v_ashrrev_i32_e32 v193, 31, v193
	v_xor_b32_e32 v190, s22, v190
	v_cmp_gt_i32_e64 s22, 0, v195
	v_and_b32_e32 v38, v38, v189
	v_not_b32_e32 v189, v192
	v_ashrrev_i32_e32 v194, 31, v194
	v_xor_b32_e32 v193, vcc_lo, v193
	v_cmp_gt_i32_e32 vcc_lo, 0, v192
	v_and_b32_e32 v38, v38, v190
	v_ashrrev_i32_e32 v189, 31, v189
	v_xor_b32_e32 v190, s22, v194
	v_mad_u32_u24 v192, v191, 36, v131
	v_mul_u32_u24_e32 v191, 36, v191
	v_and_b32_e32 v38, v38, v193
	v_xor_b32_e32 v193, vcc_lo, v189
	ds_read_b32 v189, v192 offset:544
	v_add_nc_u32_e32 v191, v131, v191
	v_and_b32_e32 v38, v38, v190
	; wave barrier
	v_and_b32_e32 v38, v38, v193
	v_mbcnt_lo_u32_b32 v190, v38, 0
	v_cmp_ne_u32_e64 s22, 0, v38
	v_cmp_eq_u32_e32 vcc_lo, 0, v190
	s_and_b32 s23, s22, vcc_lo
	s_and_saveexec_b32 s22, s23
	s_cbranch_execz .LBB1429_1036
; %bb.1035:                             ;   in Loop: Header=BB1429_980 Depth=2
	s_waitcnt lgkmcnt(0)
	v_bcnt_u32_b32 v38, v38, v189
	ds_write_b32 v191, v38 offset:544
.LBB1429_1036:                          ;   in Loop: Header=BB1429_980 Depth=2
	s_or_b32 exec_lo, exec_lo, s22
	v_cmp_lt_i32_e32 vcc_lo, -1, v172
	; wave barrier
	v_cndmask_b32_e64 v38, -1, 0x80000000, vcc_lo
	v_xor_b32_e32 v172, v38, v172
	v_cmp_ne_u32_e32 vcc_lo, 0x7fffffff, v172
	v_cndmask_b32_e32 v38, 0x80000000, v172, vcc_lo
	v_lshrrev_b32_e32 v38, s53, v38
	v_and_b32_e32 v192, s61, v38
	v_and_b32_e32 v38, 1, v192
	v_lshlrev_b32_e32 v193, 30, v192
	v_lshlrev_b32_e32 v194, 29, v192
	;; [unrolled: 1-line block ×4, first 2 shown]
	v_add_co_u32 v38, s22, v38, -1
	v_cndmask_b32_e64 v195, 0, 1, s22
	v_not_b32_e32 v199, v193
	v_cmp_gt_i32_e64 s22, 0, v193
	v_not_b32_e32 v193, v194
	v_lshlrev_b32_e32 v198, 26, v192
	v_cmp_ne_u32_e32 vcc_lo, 0, v195
	v_ashrrev_i32_e32 v199, 31, v199
	v_lshlrev_b32_e32 v195, 25, v192
	v_ashrrev_i32_e32 v193, 31, v193
	v_xor_b32_e32 v38, vcc_lo, v38
	v_cmp_gt_i32_e32 vcc_lo, 0, v194
	v_not_b32_e32 v194, v196
	v_xor_b32_e32 v199, s22, v199
	v_cmp_gt_i32_e64 s22, 0, v196
	v_and_b32_e32 v38, exec_lo, v38
	v_not_b32_e32 v196, v197
	v_ashrrev_i32_e32 v194, 31, v194
	v_xor_b32_e32 v193, vcc_lo, v193
	v_cmp_gt_i32_e32 vcc_lo, 0, v197
	v_and_b32_e32 v38, v38, v199
	v_not_b32_e32 v197, v198
	v_ashrrev_i32_e32 v196, 31, v196
	v_xor_b32_e32 v194, s22, v194
	v_cmp_gt_i32_e64 s22, 0, v198
	v_and_b32_e32 v38, v38, v193
	v_not_b32_e32 v193, v195
	v_ashrrev_i32_e32 v197, 31, v197
	v_xor_b32_e32 v196, vcc_lo, v196
	v_cmp_gt_i32_e32 vcc_lo, 0, v195
	v_and_b32_e32 v38, v38, v194
	v_ashrrev_i32_e32 v193, 31, v193
	v_xor_b32_e32 v194, s22, v197
	v_mad_u32_u24 v195, v192, 36, v131
	v_mul_u32_u24_e32 v192, 36, v192
	v_and_b32_e32 v38, v38, v196
	v_xor_b32_e32 v196, vcc_lo, v193
	ds_read_b32 v193, v195 offset:544
	v_add_nc_u32_e32 v195, v131, v192
	v_and_b32_e32 v38, v38, v194
	; wave barrier
	v_and_b32_e32 v38, v38, v196
	v_mbcnt_lo_u32_b32 v194, v38, 0
	v_cmp_ne_u32_e64 s22, 0, v38
	v_cmp_eq_u32_e32 vcc_lo, 0, v194
	s_and_b32 s23, s22, vcc_lo
	s_and_saveexec_b32 s22, s23
	s_cbranch_execz .LBB1429_1038
; %bb.1037:                             ;   in Loop: Header=BB1429_980 Depth=2
	s_waitcnt lgkmcnt(0)
	v_bcnt_u32_b32 v38, v38, v193
	ds_write_b32 v195, v38 offset:544
.LBB1429_1038:                          ;   in Loop: Header=BB1429_980 Depth=2
	s_or_b32 exec_lo, exec_lo, s22
	v_cmp_lt_i32_e32 vcc_lo, -1, v167
	; wave barrier
	v_cndmask_b32_e64 v38, -1, 0x80000000, vcc_lo
	v_xor_b32_e32 v192, v38, v167
	v_cmp_ne_u32_e32 vcc_lo, 0x7fffffff, v192
	v_cndmask_b32_e32 v38, 0x80000000, v192, vcc_lo
	v_lshrrev_b32_e32 v38, s53, v38
	v_and_b32_e32 v167, s61, v38
	v_and_b32_e32 v38, 1, v167
	v_lshlrev_b32_e32 v196, 30, v167
	v_lshlrev_b32_e32 v197, 29, v167
	;; [unrolled: 1-line block ×4, first 2 shown]
	v_add_co_u32 v38, s22, v38, -1
	v_cndmask_b32_e64 v198, 0, 1, s22
	v_not_b32_e32 v202, v196
	v_cmp_gt_i32_e64 s22, 0, v196
	v_not_b32_e32 v196, v197
	v_lshlrev_b32_e32 v201, 26, v167
	v_cmp_ne_u32_e32 vcc_lo, 0, v198
	v_ashrrev_i32_e32 v202, 31, v202
	v_lshlrev_b32_e32 v198, 25, v167
	v_ashrrev_i32_e32 v196, 31, v196
	v_xor_b32_e32 v38, vcc_lo, v38
	v_cmp_gt_i32_e32 vcc_lo, 0, v197
	v_not_b32_e32 v197, v199
	v_xor_b32_e32 v202, s22, v202
	v_cmp_gt_i32_e64 s22, 0, v199
	v_and_b32_e32 v38, exec_lo, v38
	v_not_b32_e32 v199, v200
	v_ashrrev_i32_e32 v197, 31, v197
	v_xor_b32_e32 v196, vcc_lo, v196
	v_cmp_gt_i32_e32 vcc_lo, 0, v200
	v_and_b32_e32 v38, v38, v202
	v_not_b32_e32 v200, v201
	v_ashrrev_i32_e32 v199, 31, v199
	v_xor_b32_e32 v197, s22, v197
	v_cmp_gt_i32_e64 s22, 0, v201
	v_and_b32_e32 v38, v38, v196
	v_not_b32_e32 v196, v198
	v_ashrrev_i32_e32 v200, 31, v200
	v_xor_b32_e32 v199, vcc_lo, v199
	v_cmp_gt_i32_e32 vcc_lo, 0, v198
	v_and_b32_e32 v38, v38, v197
	v_ashrrev_i32_e32 v196, 31, v196
	v_xor_b32_e32 v197, s22, v200
	v_mad_u32_u24 v198, v167, 36, v131
	v_mul_u32_u24_e32 v167, 36, v167
	v_and_b32_e32 v38, v38, v199
	v_xor_b32_e32 v196, vcc_lo, v196
	v_add_nc_u32_e32 v167, v131, v167
	v_and_b32_e32 v38, v38, v197
	ds_read_b32 v197, v198 offset:544
	; wave barrier
	v_and_b32_e32 v38, v38, v196
	v_mbcnt_lo_u32_b32 v198, v38, 0
	v_cmp_ne_u32_e64 s22, 0, v38
	v_cmp_eq_u32_e32 vcc_lo, 0, v198
	s_and_b32 s23, s22, vcc_lo
	s_and_saveexec_b32 s22, s23
	s_cbranch_execz .LBB1429_1040
; %bb.1039:                             ;   in Loop: Header=BB1429_980 Depth=2
	s_waitcnt lgkmcnt(0)
	v_bcnt_u32_b32 v38, v38, v197
	ds_write_b32 v167, v38 offset:544
.LBB1429_1040:                          ;   in Loop: Header=BB1429_980 Depth=2
	s_or_b32 exec_lo, exec_lo, s22
	v_cmp_lt_i32_e32 vcc_lo, -1, v164
	; wave barrier
	v_cndmask_b32_e64 v38, -1, 0x80000000, vcc_lo
	v_xor_b32_e32 v196, v38, v164
	v_cmp_ne_u32_e32 vcc_lo, 0x7fffffff, v196
	v_cndmask_b32_e32 v38, 0x80000000, v196, vcc_lo
	v_lshrrev_b32_e32 v38, s53, v38
	v_and_b32_e32 v164, s61, v38
	v_and_b32_e32 v38, 1, v164
	v_lshlrev_b32_e32 v199, 30, v164
	v_lshlrev_b32_e32 v200, 29, v164
	;; [unrolled: 1-line block ×4, first 2 shown]
	v_add_co_u32 v38, s22, v38, -1
	v_cndmask_b32_e64 v201, 0, 1, s22
	v_not_b32_e32 v205, v199
	v_cmp_gt_i32_e64 s22, 0, v199
	v_not_b32_e32 v199, v200
	v_lshlrev_b32_e32 v204, 26, v164
	v_cmp_ne_u32_e32 vcc_lo, 0, v201
	v_ashrrev_i32_e32 v205, 31, v205
	v_lshlrev_b32_e32 v201, 25, v164
	v_ashrrev_i32_e32 v199, 31, v199
	v_xor_b32_e32 v38, vcc_lo, v38
	v_cmp_gt_i32_e32 vcc_lo, 0, v200
	v_not_b32_e32 v200, v202
	v_xor_b32_e32 v205, s22, v205
	v_cmp_gt_i32_e64 s22, 0, v202
	v_and_b32_e32 v38, exec_lo, v38
	v_not_b32_e32 v202, v203
	v_ashrrev_i32_e32 v200, 31, v200
	v_xor_b32_e32 v199, vcc_lo, v199
	v_cmp_gt_i32_e32 vcc_lo, 0, v203
	v_and_b32_e32 v38, v38, v205
	v_not_b32_e32 v203, v204
	v_ashrrev_i32_e32 v202, 31, v202
	v_xor_b32_e32 v200, s22, v200
	v_cmp_gt_i32_e64 s22, 0, v204
	v_and_b32_e32 v38, v38, v199
	v_not_b32_e32 v199, v201
	v_ashrrev_i32_e32 v203, 31, v203
	v_xor_b32_e32 v202, vcc_lo, v202
	v_cmp_gt_i32_e32 vcc_lo, 0, v201
	v_and_b32_e32 v38, v38, v200
	v_ashrrev_i32_e32 v199, 31, v199
	v_xor_b32_e32 v200, s22, v203
	v_mad_u32_u24 v201, v164, 36, v131
	v_mul_u32_u24_e32 v164, 36, v164
	v_and_b32_e32 v38, v38, v202
	v_xor_b32_e32 v199, vcc_lo, v199
	v_add_nc_u32_e32 v164, v131, v164
	v_and_b32_e32 v38, v38, v200
	ds_read_b32 v200, v201 offset:544
	; wave barrier
	v_and_b32_e32 v38, v38, v199
	v_mbcnt_lo_u32_b32 v201, v38, 0
	v_cmp_ne_u32_e64 s22, 0, v38
	v_cmp_eq_u32_e32 vcc_lo, 0, v201
	s_and_b32 s23, s22, vcc_lo
	s_and_saveexec_b32 s22, s23
	s_cbranch_execz .LBB1429_1042
; %bb.1041:                             ;   in Loop: Header=BB1429_980 Depth=2
	s_waitcnt lgkmcnt(0)
	v_bcnt_u32_b32 v38, v38, v200
	ds_write_b32 v164, v38 offset:544
.LBB1429_1042:                          ;   in Loop: Header=BB1429_980 Depth=2
	s_or_b32 exec_lo, exec_lo, s22
	v_cmp_lt_i32_e32 vcc_lo, -1, v40
	; wave barrier
	v_cndmask_b32_e64 v38, -1, 0x80000000, vcc_lo
	v_xor_b32_e32 v199, v38, v40
	v_cmp_ne_u32_e32 vcc_lo, 0x7fffffff, v199
	v_cndmask_b32_e32 v38, 0x80000000, v199, vcc_lo
	v_lshrrev_b32_e32 v38, s53, v38
	v_and_b32_e32 v40, s61, v38
	v_and_b32_e32 v38, 1, v40
	v_lshlrev_b32_e32 v202, 30, v40
	v_lshlrev_b32_e32 v203, 29, v40
	;; [unrolled: 1-line block ×4, first 2 shown]
	v_add_co_u32 v38, s22, v38, -1
	v_cndmask_b32_e64 v204, 0, 1, s22
	v_not_b32_e32 v208, v202
	v_cmp_gt_i32_e64 s22, 0, v202
	v_not_b32_e32 v202, v203
	v_lshlrev_b32_e32 v207, 26, v40
	v_cmp_ne_u32_e32 vcc_lo, 0, v204
	v_ashrrev_i32_e32 v208, 31, v208
	v_lshlrev_b32_e32 v204, 25, v40
	v_ashrrev_i32_e32 v202, 31, v202
	v_xor_b32_e32 v38, vcc_lo, v38
	v_cmp_gt_i32_e32 vcc_lo, 0, v203
	v_not_b32_e32 v203, v205
	v_xor_b32_e32 v208, s22, v208
	v_cmp_gt_i32_e64 s22, 0, v205
	v_and_b32_e32 v38, exec_lo, v38
	v_not_b32_e32 v205, v206
	v_ashrrev_i32_e32 v203, 31, v203
	v_xor_b32_e32 v202, vcc_lo, v202
	v_cmp_gt_i32_e32 vcc_lo, 0, v206
	v_and_b32_e32 v38, v38, v208
	v_not_b32_e32 v206, v207
	v_ashrrev_i32_e32 v205, 31, v205
	v_xor_b32_e32 v203, s22, v203
	v_cmp_gt_i32_e64 s22, 0, v207
	v_and_b32_e32 v38, v38, v202
	v_not_b32_e32 v202, v204
	v_ashrrev_i32_e32 v206, 31, v206
	v_xor_b32_e32 v205, vcc_lo, v205
	v_cmp_gt_i32_e32 vcc_lo, 0, v204
	v_and_b32_e32 v38, v38, v203
	v_ashrrev_i32_e32 v202, 31, v202
	v_xor_b32_e32 v203, s22, v206
	v_mad_u32_u24 v204, v40, 36, v131
	v_mul_u32_u24_e32 v40, 36, v40
	v_and_b32_e32 v38, v38, v205
	v_xor_b32_e32 v202, vcc_lo, v202
	v_add_nc_u32_e32 v205, v131, v40
	v_and_b32_e32 v38, v38, v203
	ds_read_b32 v203, v204 offset:544
	; wave barrier
	v_and_b32_e32 v38, v38, v202
	v_mbcnt_lo_u32_b32 v204, v38, 0
	v_cmp_ne_u32_e64 s22, 0, v38
	v_cmp_eq_u32_e32 vcc_lo, 0, v204
	s_and_b32 s23, s22, vcc_lo
	s_and_saveexec_b32 s22, s23
	s_cbranch_execz .LBB1429_1044
; %bb.1043:                             ;   in Loop: Header=BB1429_980 Depth=2
	s_waitcnt lgkmcnt(0)
	v_bcnt_u32_b32 v38, v38, v203
	ds_write_b32 v205, v38 offset:544
.LBB1429_1044:                          ;   in Loop: Header=BB1429_980 Depth=2
	s_or_b32 exec_lo, exec_lo, s22
	v_cmp_lt_i32_e32 vcc_lo, -1, v39
	; wave barrier
	v_cndmask_b32_e64 v38, -1, 0x80000000, vcc_lo
	v_xor_b32_e32 v202, v38, v39
	v_cmp_ne_u32_e32 vcc_lo, 0x7fffffff, v202
	v_cndmask_b32_e32 v38, 0x80000000, v202, vcc_lo
	v_lshrrev_b32_e32 v38, s53, v38
	v_and_b32_e32 v39, s61, v38
	v_and_b32_e32 v38, 1, v39
	v_lshlrev_b32_e32 v40, 30, v39
	v_lshlrev_b32_e32 v206, 29, v39
	;; [unrolled: 1-line block ×4, first 2 shown]
	v_add_co_u32 v38, s22, v38, -1
	v_cndmask_b32_e64 v207, 0, 1, s22
	v_not_b32_e32 v211, v40
	v_cmp_gt_i32_e64 s22, 0, v40
	v_not_b32_e32 v40, v206
	v_lshlrev_b32_e32 v210, 26, v39
	v_cmp_ne_u32_e32 vcc_lo, 0, v207
	v_ashrrev_i32_e32 v211, 31, v211
	v_lshlrev_b32_e32 v207, 25, v39
	v_ashrrev_i32_e32 v40, 31, v40
	v_xor_b32_e32 v38, vcc_lo, v38
	v_cmp_gt_i32_e32 vcc_lo, 0, v206
	v_not_b32_e32 v206, v208
	v_xor_b32_e32 v211, s22, v211
	v_cmp_gt_i32_e64 s22, 0, v208
	v_and_b32_e32 v38, exec_lo, v38
	v_not_b32_e32 v208, v209
	v_ashrrev_i32_e32 v206, 31, v206
	v_xor_b32_e32 v40, vcc_lo, v40
	v_cmp_gt_i32_e32 vcc_lo, 0, v209
	v_and_b32_e32 v38, v38, v211
	v_not_b32_e32 v209, v210
	v_ashrrev_i32_e32 v208, 31, v208
	v_xor_b32_e32 v206, s22, v206
	v_cmp_gt_i32_e64 s22, 0, v210
	v_and_b32_e32 v38, v38, v40
	v_not_b32_e32 v40, v207
	v_ashrrev_i32_e32 v209, 31, v209
	v_xor_b32_e32 v208, vcc_lo, v208
	v_cmp_gt_i32_e32 vcc_lo, 0, v207
	v_and_b32_e32 v38, v38, v206
	v_ashrrev_i32_e32 v40, 31, v40
	v_xor_b32_e32 v206, s22, v209
	v_mad_u32_u24 v207, v39, 36, v131
	v_mul_u32_u24_e32 v39, 36, v39
	v_and_b32_e32 v38, v38, v208
	v_xor_b32_e32 v40, vcc_lo, v40
	ds_read_b32 v207, v207 offset:544
	v_add_nc_u32_e32 v209, v131, v39
	v_and_b32_e32 v38, v38, v206
	; wave barrier
	v_and_b32_e32 v38, v38, v40
	v_mbcnt_lo_u32_b32 v208, v38, 0
	v_cmp_ne_u32_e64 s22, 0, v38
	v_cmp_eq_u32_e32 vcc_lo, 0, v208
	s_and_b32 s23, s22, vcc_lo
	s_and_saveexec_b32 s22, s23
	s_cbranch_execz .LBB1429_1046
; %bb.1045:                             ;   in Loop: Header=BB1429_980 Depth=2
	s_waitcnt lgkmcnt(0)
	v_bcnt_u32_b32 v38, v38, v207
	ds_write_b32 v209, v38 offset:544
.LBB1429_1046:                          ;   in Loop: Header=BB1429_980 Depth=2
	s_or_b32 exec_lo, exec_lo, s22
	v_cmp_lt_i32_e32 vcc_lo, -1, v37
	; wave barrier
	v_cndmask_b32_e64 v38, -1, 0x80000000, vcc_lo
	v_xor_b32_e32 v206, v38, v37
	v_cmp_ne_u32_e32 vcc_lo, 0x7fffffff, v206
	v_cndmask_b32_e32 v37, 0x80000000, v206, vcc_lo
	v_lshrrev_b32_e32 v37, s53, v37
	v_and_b32_e32 v38, s61, v37
	v_and_b32_e32 v37, 1, v38
	v_lshlrev_b32_e32 v39, 30, v38
	v_lshlrev_b32_e32 v40, 29, v38
	;; [unrolled: 1-line block ×4, first 2 shown]
	v_add_co_u32 v37, s22, v37, -1
	v_cndmask_b32_e64 v210, 0, 1, s22
	v_not_b32_e32 v214, v39
	v_cmp_gt_i32_e64 s22, 0, v39
	v_not_b32_e32 v39, v40
	v_lshlrev_b32_e32 v213, 26, v38
	v_cmp_ne_u32_e32 vcc_lo, 0, v210
	v_ashrrev_i32_e32 v214, 31, v214
	v_lshlrev_b32_e32 v210, 25, v38
	v_ashrrev_i32_e32 v39, 31, v39
	v_xor_b32_e32 v37, vcc_lo, v37
	v_cmp_gt_i32_e32 vcc_lo, 0, v40
	v_not_b32_e32 v40, v211
	v_xor_b32_e32 v214, s22, v214
	v_cmp_gt_i32_e64 s22, 0, v211
	v_and_b32_e32 v37, exec_lo, v37
	v_not_b32_e32 v211, v212
	v_ashrrev_i32_e32 v40, 31, v40
	v_xor_b32_e32 v39, vcc_lo, v39
	v_cmp_gt_i32_e32 vcc_lo, 0, v212
	v_and_b32_e32 v37, v37, v214
	v_not_b32_e32 v212, v213
	v_ashrrev_i32_e32 v211, 31, v211
	v_xor_b32_e32 v40, s22, v40
	v_cmp_gt_i32_e64 s22, 0, v213
	v_and_b32_e32 v37, v37, v39
	v_not_b32_e32 v39, v210
	v_ashrrev_i32_e32 v212, 31, v212
	v_xor_b32_e32 v211, vcc_lo, v211
	v_cmp_gt_i32_e32 vcc_lo, 0, v210
	v_and_b32_e32 v37, v37, v40
	v_ashrrev_i32_e32 v39, 31, v39
	v_xor_b32_e32 v40, s22, v212
	v_mad_u32_u24 v210, v38, 36, v131
	v_mul_u32_u24_e32 v38, 36, v38
	v_and_b32_e32 v37, v37, v211
	v_xor_b32_e32 v39, vcc_lo, v39
	ds_read_b32 v210, v210 offset:544
	v_add_nc_u32_e32 v212, v131, v38
	v_and_b32_e32 v37, v37, v40
	; wave barrier
	v_and_b32_e32 v37, v37, v39
	v_mbcnt_lo_u32_b32 v211, v37, 0
	v_cmp_ne_u32_e64 s22, 0, v37
	v_cmp_eq_u32_e32 vcc_lo, 0, v211
	s_and_b32 s23, s22, vcc_lo
	s_and_saveexec_b32 s22, s23
	s_cbranch_execz .LBB1429_1048
; %bb.1047:                             ;   in Loop: Header=BB1429_980 Depth=2
	s_waitcnt lgkmcnt(0)
	v_bcnt_u32_b32 v37, v37, v210
	ds_write_b32 v212, v37 offset:544
.LBB1429_1048:                          ;   in Loop: Header=BB1429_980 Depth=2
	s_or_b32 exec_lo, exec_lo, s22
	; wave barrier
	s_waitcnt lgkmcnt(0)
	s_barrier
	buffer_gl0_inv
	ds_read2_b32 v[39:40], v65 offset0:136 offset1:137
	ds_read2_b32 v[37:38], v65 offset0:138 offset1:139
	ds_read_b32 v213, v65 offset:560
	s_waitcnt lgkmcnt(1)
	v_add3_u32 v214, v40, v39, v37
	s_waitcnt lgkmcnt(0)
	v_add3_u32 v213, v214, v38, v213
	v_mov_b32_dpp v214, v213 row_shr:1 row_mask:0xf bank_mask:0xf
	v_cndmask_b32_e64 v214, v214, 0, s5
	v_add_nc_u32_e32 v213, v214, v213
	v_mov_b32_dpp v214, v213 row_shr:2 row_mask:0xf bank_mask:0xf
	v_cndmask_b32_e64 v214, 0, v214, s15
	v_add_nc_u32_e32 v213, v213, v214
	;; [unrolled: 3-line block ×4, first 2 shown]
	ds_swizzle_b32 v214, v213 offset:swizzle(BROADCAST,32,15)
	s_waitcnt lgkmcnt(0)
	v_cndmask_b32_e64 v214, v214, 0, s18
	v_add_nc_u32_e32 v213, v213, v214
	s_and_saveexec_b32 s22, s4
; %bb.1049:                             ;   in Loop: Header=BB1429_980 Depth=2
	ds_write_b32 v60, v213 offset:512
; %bb.1050:                             ;   in Loop: Header=BB1429_980 Depth=2
	s_or_b32 exec_lo, exec_lo, s22
	s_waitcnt lgkmcnt(0)
	s_barrier
	buffer_gl0_inv
	s_and_saveexec_b32 s22, s11
	s_cbranch_execz .LBB1429_1052
; %bb.1051:                             ;   in Loop: Header=BB1429_980 Depth=2
	ds_read_b32 v214, v66 offset:512
	s_waitcnt lgkmcnt(0)
	v_mov_b32_dpp v215, v214 row_shr:1 row_mask:0xf bank_mask:0xf
	v_cndmask_b32_e64 v215, v215, 0, s19
	v_add_nc_u32_e32 v214, v215, v214
	v_mov_b32_dpp v215, v214 row_shr:2 row_mask:0xf bank_mask:0xf
	v_cndmask_b32_e64 v215, 0, v215, s20
	v_add_nc_u32_e32 v214, v214, v215
	;; [unrolled: 3-line block ×3, first 2 shown]
	ds_write_b32 v66, v214 offset:512
.LBB1429_1052:                          ;   in Loop: Header=BB1429_980 Depth=2
	s_or_b32 exec_lo, exec_lo, s22
	v_mov_b32_e32 v214, 0
	s_waitcnt lgkmcnt(0)
	s_barrier
	buffer_gl0_inv
	s_and_saveexec_b32 s22, s10
; %bb.1053:                             ;   in Loop: Header=BB1429_980 Depth=2
	ds_read_b32 v214, v60 offset:508
; %bb.1054:                             ;   in Loop: Header=BB1429_980 Depth=2
	s_or_b32 exec_lo, exec_lo, s22
	s_waitcnt lgkmcnt(0)
	v_add_nc_u32_e32 v213, v214, v213
	ds_bpermute_b32 v213, v126, v213
	s_waitcnt lgkmcnt(0)
	v_cndmask_b32_e64 v213, v213, v214, s14
	v_cndmask_b32_e64 v213, v213, 0, s12
	v_add_nc_u32_e32 v39, v213, v39
	v_add_nc_u32_e32 v40, v39, v40
	;; [unrolled: 1-line block ×4, first 2 shown]
	ds_write2_b32 v65, v213, v39 offset0:136 offset1:137
	ds_write2_b32 v65, v40, v37 offset0:138 offset1:139
	ds_write_b32 v65, v38 offset:560
	s_waitcnt lgkmcnt(0)
	s_barrier
	buffer_gl0_inv
	ds_read_b32 v39, v153 offset:544
	ds_read_b32 v153, v157 offset:544
	ds_read_b32 v157, v161 offset:544
	ds_read_b32 v161, v166 offset:544
	ds_read_b32 v213, v171 offset:544
	ds_read_b32 v177, v177 offset:544
	ds_read_b32 v182, v182 offset:544
	ds_read_b32 v185, v185 offset:544
	ds_read_b32 v188, v188 offset:544
	ds_read_b32 v191, v191 offset:544
	ds_read_b32 v195, v195 offset:544
	ds_read_b32 v214, v167 offset:544
	ds_read_b32 v215, v164 offset:544
	ds_read_b32 v37, v205 offset:544
	ds_read_b32 v38, v209 offset:544
	ds_read_b32 v40, v212 offset:544
	s_and_saveexec_b32 s22, s7
	s_cbranch_execz .LBB1429_1058
; %bb.1055:                             ;   in Loop: Header=BB1429_980 Depth=2
	ds_read_b32 v144, v68 offset:544
	v_mov_b32_e32 v149, 0x1000
	s_and_saveexec_b32 s23, s13
; %bb.1056:                             ;   in Loop: Header=BB1429_980 Depth=2
	ds_read_b32 v149, v67 offset:544
; %bb.1057:                             ;   in Loop: Header=BB1429_980 Depth=2
	s_or_b32 exec_lo, exec_lo, s23
	s_waitcnt lgkmcnt(0)
	v_sub_nc_u32_e32 v149, v149, v144
.LBB1429_1058:                          ;   in Loop: Header=BB1429_980 Depth=2
	s_or_b32 exec_lo, exec_lo, s22
	s_waitcnt lgkmcnt(0)
	s_barrier
	buffer_gl0_inv
	s_and_saveexec_b32 s22, s7
	s_cbranch_execz .LBB1429_1060
; %bb.1059:                             ;   in Loop: Header=BB1429_980 Depth=2
	ds_read_b32 v164, v41
	s_waitcnt lgkmcnt(0)
	v_sub_nc_u32_e32 v164, v164, v144
	ds_write_b32 v41, v164
.LBB1429_1060:                          ;   in Loop: Header=BB1429_980 Depth=2
	s_or_b32 exec_lo, exec_lo, s22
	v_add_nc_u32_e32 v171, v39, v152
	v_add3_u32 v167, v156, v155, v153
	v_add3_u32 v166, v160, v159, v157
	;; [unrolled: 1-line block ×5, first 2 shown]
	v_lshlrev_b32_e32 v169, 2, v171
	v_add3_u32 v155, v204, v203, v37
	v_lshlrev_b32_e32 v37, 2, v167
	v_add3_u32 v161, v180, v179, v182
	v_add3_u32 v160, v184, v183, v185
	ds_write_b32 v169, v3 offset:512
	v_lshlrev_b32_e32 v3, 2, v166
	ds_write_b32 v37, v151 offset:512
	v_lshlrev_b32_e32 v37, 2, v163
	v_add3_u32 v159, v187, v186, v188
	v_add3_u32 v153, v208, v207, v38
	v_lshlrev_b32_e32 v38, 2, v165
	v_add3_u32 v157, v190, v189, v191
	v_lshlrev_b32_e32 v169, 2, v164
	v_add3_u32 v156, v194, v193, v195
	v_add3_u32 v152, v198, v197, v214
	ds_write_b32 v3, v154 offset:512
	ds_write_b32 v38, v158 offset:512
	;; [unrolled: 1-line block ×3, first 2 shown]
	v_lshlrev_b32_e32 v3, 2, v161
	ds_write_b32 v37, v168 offset:512
	v_lshlrev_b32_e32 v37, 2, v160
	v_lshlrev_b32_e32 v38, 2, v159
	;; [unrolled: 1-line block ×3, first 2 shown]
	v_add3_u32 v39, v201, v200, v215
	v_add3_u32 v40, v211, v210, v40
	ds_write_b32 v3, v173 offset:512
	v_lshlrev_b32_e32 v3, 2, v156
	ds_write_b32 v37, v178 offset:512
	ds_write_b32 v38, v181 offset:512
	;; [unrolled: 1-line block ×3, first 2 shown]
	v_lshlrev_b32_e32 v37, 2, v152
	v_cmp_lt_u32_e32 vcc_lo, v0, v150
	v_lshlrev_b32_e32 v38, 2, v155
	ds_write_b32 v3, v172 offset:512
	v_lshlrev_b32_e32 v3, 2, v39
	ds_write_b32 v37, v192 offset:512
	v_lshlrev_b32_e32 v37, 2, v40
	v_lshlrev_b32_e32 v151, 2, v153
	ds_write_b32 v3, v196 offset:512
	ds_write_b32 v38, v199 offset:512
	;; [unrolled: 1-line block ×4, first 2 shown]
	s_waitcnt lgkmcnt(0)
	s_barrier
	buffer_gl0_inv
	s_and_saveexec_b32 s23, vcc_lo
	s_cbranch_execnz .LBB1429_1129
; %bb.1061:                             ;   in Loop: Header=BB1429_980 Depth=2
	s_or_b32 exec_lo, exec_lo, s23
	v_cmp_lt_u32_e64 s22, v42, v150
	s_and_saveexec_b32 s24, s22
	s_cbranch_execnz .LBB1429_1130
.LBB1429_1062:                          ;   in Loop: Header=BB1429_980 Depth=2
	s_or_b32 exec_lo, exec_lo, s24
	v_cmp_lt_u32_e64 s23, v45, v150
	s_and_saveexec_b32 s25, s23
	s_cbranch_execnz .LBB1429_1131
.LBB1429_1063:                          ;   in Loop: Header=BB1429_980 Depth=2
	s_or_b32 exec_lo, exec_lo, s25
	v_cmp_lt_u32_e64 s24, v46, v150
	s_and_saveexec_b32 s26, s24
	s_cbranch_execnz .LBB1429_1132
.LBB1429_1064:                          ;   in Loop: Header=BB1429_980 Depth=2
	s_or_b32 exec_lo, exec_lo, s26
	v_cmp_lt_u32_e64 s25, v47, v150
	s_and_saveexec_b32 s28, s25
	s_cbranch_execnz .LBB1429_1133
.LBB1429_1065:                          ;   in Loop: Header=BB1429_980 Depth=2
	s_or_b32 exec_lo, exec_lo, s28
	v_cmp_lt_u32_e64 s26, v48, v150
	s_and_saveexec_b32 s29, s26
	s_cbranch_execnz .LBB1429_1134
.LBB1429_1066:                          ;   in Loop: Header=BB1429_980 Depth=2
	s_or_b32 exec_lo, exec_lo, s29
	v_cmp_lt_u32_e64 s28, v49, v150
	s_and_saveexec_b32 s30, s28
	s_cbranch_execnz .LBB1429_1135
.LBB1429_1067:                          ;   in Loop: Header=BB1429_980 Depth=2
	s_or_b32 exec_lo, exec_lo, s30
	v_cmp_lt_u32_e64 s29, v50, v150
	s_and_saveexec_b32 s31, s29
	s_cbranch_execnz .LBB1429_1136
.LBB1429_1068:                          ;   in Loop: Header=BB1429_980 Depth=2
	s_or_b32 exec_lo, exec_lo, s31
	v_cmp_lt_u32_e64 s30, v51, v150
	s_and_saveexec_b32 s33, s30
	s_cbranch_execnz .LBB1429_1137
.LBB1429_1069:                          ;   in Loop: Header=BB1429_980 Depth=2
	s_or_b32 exec_lo, exec_lo, s33
	v_cmp_lt_u32_e64 s31, v52, v150
	s_and_saveexec_b32 s34, s31
	s_cbranch_execnz .LBB1429_1138
.LBB1429_1070:                          ;   in Loop: Header=BB1429_980 Depth=2
	s_or_b32 exec_lo, exec_lo, s34
	v_cmp_lt_u32_e64 s33, v53, v150
	s_and_saveexec_b32 s35, s33
	s_cbranch_execnz .LBB1429_1139
.LBB1429_1071:                          ;   in Loop: Header=BB1429_980 Depth=2
	s_or_b32 exec_lo, exec_lo, s35
	v_cmp_lt_u32_e64 s34, v54, v150
	s_and_saveexec_b32 s36, s34
	s_cbranch_execnz .LBB1429_1140
.LBB1429_1072:                          ;   in Loop: Header=BB1429_980 Depth=2
	s_or_b32 exec_lo, exec_lo, s36
	v_cmp_lt_u32_e64 s35, v55, v150
	s_and_saveexec_b32 s37, s35
	s_cbranch_execnz .LBB1429_1141
.LBB1429_1073:                          ;   in Loop: Header=BB1429_980 Depth=2
	s_or_b32 exec_lo, exec_lo, s37
	v_cmp_lt_u32_e64 s36, v56, v150
	s_and_saveexec_b32 s38, s36
	s_cbranch_execnz .LBB1429_1142
.LBB1429_1074:                          ;   in Loop: Header=BB1429_980 Depth=2
	s_or_b32 exec_lo, exec_lo, s38
	v_cmp_lt_u32_e64 s37, v57, v150
	s_and_saveexec_b32 s39, s37
	s_cbranch_execnz .LBB1429_1143
.LBB1429_1075:                          ;   in Loop: Header=BB1429_980 Depth=2
	s_or_b32 exec_lo, exec_lo, s39
	v_cmp_lt_u32_e64 s38, v58, v150
	s_and_saveexec_b32 s64, s38
	s_cbranch_execz .LBB1429_1077
.LBB1429_1076:                          ;   in Loop: Header=BB1429_980 Depth=2
	ds_read_b32 v151, v66 offset:15872
	s_waitcnt lgkmcnt(0)
	v_cmp_ne_u32_e64 s39, 0x7fffffff, v151
	v_cndmask_b32_e64 v3, 0x80000000, v151, s39
	v_cmp_lt_i32_e64 s39, -1, v151
	v_lshrrev_b32_e32 v3, s53, v3
	v_cndmask_b32_e64 v154, 0x80000000, -1, s39
	v_and_b32_e32 v3, s61, v3
	v_lshlrev_b32_e32 v3, 2, v3
	ds_read_b32 v3, v3
	s_waitcnt lgkmcnt(0)
	v_add_nc_u32_e32 v3, v3, v58
	v_lshlrev_b64 v[37:38], 2, v[3:4]
	v_xor_b32_e32 v3, v154, v151
	v_add_co_u32 v37, s39, s44, v37
	v_add_co_ci_u32_e64 v38, null, s45, v38, s39
	global_store_dword v[37:38], v3, off
.LBB1429_1077:                          ;   in Loop: Header=BB1429_980 Depth=2
	s_or_b32 exec_lo, exec_lo, s64
	s_lshl_b64 s[64:65], s[46:47], 3
	v_add_co_u32 v37, s39, v127, s64
	v_add_co_ci_u32_e64 v38, null, s65, v128, s39
	v_cmp_lt_u32_e64 s39, v105, v150
	s_and_saveexec_b32 s46, s39
	s_xor_b32 s39, exec_lo, s46
	s_cbranch_execnz .LBB1429_1144
; %bb.1078:                             ;   in Loop: Header=BB1429_980 Depth=2
	s_or_b32 exec_lo, exec_lo, s39
	s_mov_b32 s46, exec_lo
	v_cmpx_lt_u32_e64 v108, v150
	s_cbranch_execnz .LBB1429_1145
.LBB1429_1079:                          ;   in Loop: Header=BB1429_980 Depth=2
	s_or_b32 exec_lo, exec_lo, s46
	s_mov_b32 s46, exec_lo
	v_cmpx_lt_u32_e64 v109, v150
	s_cbranch_execnz .LBB1429_1146
.LBB1429_1080:                          ;   in Loop: Header=BB1429_980 Depth=2
	s_or_b32 exec_lo, exec_lo, s46
	s_mov_b32 s46, exec_lo
	v_cmpx_lt_u32_e64 v110, v150
	s_cbranch_execnz .LBB1429_1147
.LBB1429_1081:                          ;   in Loop: Header=BB1429_980 Depth=2
	s_or_b32 exec_lo, exec_lo, s46
	s_mov_b32 s46, exec_lo
	v_cmpx_lt_u32_e64 v111, v150
	s_cbranch_execnz .LBB1429_1148
.LBB1429_1082:                          ;   in Loop: Header=BB1429_980 Depth=2
	s_or_b32 exec_lo, exec_lo, s46
	s_mov_b32 s46, exec_lo
	v_cmpx_lt_u32_e64 v112, v150
	s_cbranch_execnz .LBB1429_1149
.LBB1429_1083:                          ;   in Loop: Header=BB1429_980 Depth=2
	s_or_b32 exec_lo, exec_lo, s46
	s_mov_b32 s46, exec_lo
	v_cmpx_lt_u32_e64 v113, v150
	s_cbranch_execnz .LBB1429_1150
.LBB1429_1084:                          ;   in Loop: Header=BB1429_980 Depth=2
	s_or_b32 exec_lo, exec_lo, s46
	s_mov_b32 s46, exec_lo
	v_cmpx_lt_u32_e64 v114, v150
	s_cbranch_execnz .LBB1429_1151
.LBB1429_1085:                          ;   in Loop: Header=BB1429_980 Depth=2
	s_or_b32 exec_lo, exec_lo, s46
	s_mov_b32 s46, exec_lo
	v_cmpx_lt_u32_e64 v115, v150
	s_cbranch_execnz .LBB1429_1152
.LBB1429_1086:                          ;   in Loop: Header=BB1429_980 Depth=2
	s_or_b32 exec_lo, exec_lo, s46
	s_mov_b32 s46, exec_lo
	v_cmpx_lt_u32_e64 v116, v150
	s_cbranch_execnz .LBB1429_1153
.LBB1429_1087:                          ;   in Loop: Header=BB1429_980 Depth=2
	s_or_b32 exec_lo, exec_lo, s46
	s_mov_b32 s46, exec_lo
	v_cmpx_lt_u32_e64 v117, v150
	s_cbranch_execnz .LBB1429_1154
.LBB1429_1088:                          ;   in Loop: Header=BB1429_980 Depth=2
	s_or_b32 exec_lo, exec_lo, s46
	s_mov_b32 s46, exec_lo
	v_cmpx_lt_u32_e64 v118, v150
	s_cbranch_execnz .LBB1429_1155
.LBB1429_1089:                          ;   in Loop: Header=BB1429_980 Depth=2
	s_or_b32 exec_lo, exec_lo, s46
	s_mov_b32 s46, exec_lo
	v_cmpx_lt_u32_e64 v119, v150
	s_cbranch_execnz .LBB1429_1156
.LBB1429_1090:                          ;   in Loop: Header=BB1429_980 Depth=2
	s_or_b32 exec_lo, exec_lo, s46
	s_mov_b32 s46, exec_lo
	v_cmpx_lt_u32_e64 v121, v150
	s_cbranch_execnz .LBB1429_1157
.LBB1429_1091:                          ;   in Loop: Header=BB1429_980 Depth=2
	s_or_b32 exec_lo, exec_lo, s46
	s_mov_b32 s46, exec_lo
	v_cmpx_lt_u32_e64 v122, v150
	s_cbranch_execnz .LBB1429_1158
.LBB1429_1092:                          ;   in Loop: Header=BB1429_980 Depth=2
	s_or_b32 exec_lo, exec_lo, s46
	s_mov_b32 s46, exec_lo
	v_cmpx_lt_u32_e64 v123, v150
	s_cbranch_execnz .LBB1429_1159
.LBB1429_1093:                          ;   in Loop: Header=BB1429_980 Depth=2
	s_or_b32 exec_lo, exec_lo, s46
	s_and_saveexec_b32 s46, vcc_lo
	s_cbranch_execnz .LBB1429_1160
.LBB1429_1094:                          ;   in Loop: Header=BB1429_980 Depth=2
	s_or_b32 exec_lo, exec_lo, s46
	s_and_saveexec_b32 s46, s22
	s_cbranch_execnz .LBB1429_1161
.LBB1429_1095:                          ;   in Loop: Header=BB1429_980 Depth=2
	s_or_b32 exec_lo, exec_lo, s46
	s_and_saveexec_b32 s46, s23
	s_cbranch_execnz .LBB1429_1162
.LBB1429_1096:                          ;   in Loop: Header=BB1429_980 Depth=2
	s_or_b32 exec_lo, exec_lo, s46
	s_and_saveexec_b32 s46, s24
	s_cbranch_execnz .LBB1429_1163
.LBB1429_1097:                          ;   in Loop: Header=BB1429_980 Depth=2
	s_or_b32 exec_lo, exec_lo, s46
	s_and_saveexec_b32 s46, s25
	s_cbranch_execnz .LBB1429_1164
.LBB1429_1098:                          ;   in Loop: Header=BB1429_980 Depth=2
	s_or_b32 exec_lo, exec_lo, s46
	s_and_saveexec_b32 s46, s26
	s_cbranch_execnz .LBB1429_1165
.LBB1429_1099:                          ;   in Loop: Header=BB1429_980 Depth=2
	s_or_b32 exec_lo, exec_lo, s46
	s_and_saveexec_b32 s46, s28
	s_cbranch_execnz .LBB1429_1166
.LBB1429_1100:                          ;   in Loop: Header=BB1429_980 Depth=2
	s_or_b32 exec_lo, exec_lo, s46
	s_and_saveexec_b32 s46, s29
	s_cbranch_execnz .LBB1429_1167
.LBB1429_1101:                          ;   in Loop: Header=BB1429_980 Depth=2
	s_or_b32 exec_lo, exec_lo, s46
	s_and_saveexec_b32 s46, s30
	s_cbranch_execnz .LBB1429_1168
.LBB1429_1102:                          ;   in Loop: Header=BB1429_980 Depth=2
	s_or_b32 exec_lo, exec_lo, s46
	s_and_saveexec_b32 s46, s31
	s_cbranch_execnz .LBB1429_1169
.LBB1429_1103:                          ;   in Loop: Header=BB1429_980 Depth=2
	s_or_b32 exec_lo, exec_lo, s46
	s_and_saveexec_b32 s46, s33
	s_cbranch_execnz .LBB1429_1170
.LBB1429_1104:                          ;   in Loop: Header=BB1429_980 Depth=2
	s_or_b32 exec_lo, exec_lo, s46
	s_and_saveexec_b32 s46, s34
	s_cbranch_execnz .LBB1429_1171
.LBB1429_1105:                          ;   in Loop: Header=BB1429_980 Depth=2
	s_or_b32 exec_lo, exec_lo, s46
	s_and_saveexec_b32 s46, s35
	s_cbranch_execnz .LBB1429_1172
.LBB1429_1106:                          ;   in Loop: Header=BB1429_980 Depth=2
	s_or_b32 exec_lo, exec_lo, s46
	s_and_saveexec_b32 s46, s36
	s_cbranch_execnz .LBB1429_1173
.LBB1429_1107:                          ;   in Loop: Header=BB1429_980 Depth=2
	s_or_b32 exec_lo, exec_lo, s46
	s_and_saveexec_b32 s46, s37
	s_cbranch_execnz .LBB1429_1174
.LBB1429_1108:                          ;   in Loop: Header=BB1429_980 Depth=2
	s_or_b32 exec_lo, exec_lo, s46
	s_and_saveexec_b32 s46, s38
	s_cbranch_execz .LBB1429_1110
.LBB1429_1109:                          ;   in Loop: Header=BB1429_980 Depth=2
	ds_read_b32 v3, v66 offset:15872
	s_waitcnt lgkmcnt(0)
	v_cmp_ne_u32_e64 s39, 0x7fffffff, v3
	v_cndmask_b32_e64 v3, 0x80000000, v3, s39
	v_lshrrev_b32_e32 v3, s53, v3
	v_and_b32_e32 v132, s61, v3
.LBB1429_1110:                          ;   in Loop: Header=BB1429_980 Depth=2
	s_or_b32 exec_lo, exec_lo, s46
	v_lshlrev_b32_e32 v3, 3, v171
	v_lshlrev_b32_e32 v37, 3, v167
	s_waitcnt vmcnt(0)
	s_waitcnt_vscnt null, 0x0
	s_barrier
	buffer_gl0_inv
	ds_write_b64 v3, v[35:36] offset:512
	v_lshlrev_b32_e32 v3, 3, v166
	ds_write_b64 v37, v[33:34] offset:512
	v_lshlrev_b32_e32 v37, 3, v163
	v_lshlrev_b32_e32 v38, 3, v165
	;; [unrolled: 1-line block ×3, first 2 shown]
	ds_write_b64 v3, v[31:32] offset:512
	ds_write_b64 v38, v[29:30] offset:512
	;; [unrolled: 1-line block ×3, first 2 shown]
	v_lshlrev_b32_e32 v3, 3, v161
	ds_write_b64 v37, v[23:24] offset:512
	v_lshlrev_b32_e32 v37, 3, v160
	v_lshlrev_b32_e32 v38, 3, v159
	;; [unrolled: 1-line block ×3, first 2 shown]
	ds_write_b64 v3, v[19:20] offset:512
	v_lshlrev_b32_e32 v3, 3, v156
	ds_write_b64 v37, v[15:16] offset:512
	ds_write_b64 v38, v[25:26] offset:512
	;; [unrolled: 1-line block ×3, first 2 shown]
	v_lshlrev_b32_e32 v37, 3, v152
	v_lshlrev_b32_e32 v40, 3, v40
	;; [unrolled: 1-line block ×3, first 2 shown]
	ds_write_b64 v3, v[17:18] offset:512
	v_lshlrev_b32_e32 v3, 3, v39
	ds_write_b64 v37, v[13:14] offset:512
	v_add_nc_u32_e32 v37, v66, v41
	v_lshlrev_b32_e32 v39, 3, v153
	ds_write_b64 v3, v[11:12] offset:512
	ds_write_b64 v38, v[9:10] offset:512
	;; [unrolled: 1-line block ×4, first 2 shown]
	s_waitcnt lgkmcnt(0)
	s_barrier
	buffer_gl0_inv
	s_and_saveexec_b32 s39, vcc_lo
	s_cbranch_execnz .LBB1429_1175
; %bb.1111:                             ;   in Loop: Header=BB1429_980 Depth=2
	s_or_b32 exec_lo, exec_lo, s39
	s_and_saveexec_b32 s39, s22
	s_cbranch_execnz .LBB1429_1176
.LBB1429_1112:                          ;   in Loop: Header=BB1429_980 Depth=2
	s_or_b32 exec_lo, exec_lo, s39
	s_and_saveexec_b32 s22, s23
	s_cbranch_execnz .LBB1429_1177
.LBB1429_1113:                          ;   in Loop: Header=BB1429_980 Depth=2
	s_or_b32 exec_lo, exec_lo, s22
	s_and_saveexec_b32 s22, s24
	s_cbranch_execnz .LBB1429_1178
.LBB1429_1114:                          ;   in Loop: Header=BB1429_980 Depth=2
	s_or_b32 exec_lo, exec_lo, s22
	s_and_saveexec_b32 s22, s25
	s_cbranch_execnz .LBB1429_1179
.LBB1429_1115:                          ;   in Loop: Header=BB1429_980 Depth=2
	s_or_b32 exec_lo, exec_lo, s22
	s_and_saveexec_b32 s22, s26
	s_cbranch_execnz .LBB1429_1180
.LBB1429_1116:                          ;   in Loop: Header=BB1429_980 Depth=2
	s_or_b32 exec_lo, exec_lo, s22
	s_and_saveexec_b32 s22, s28
	s_cbranch_execnz .LBB1429_1181
.LBB1429_1117:                          ;   in Loop: Header=BB1429_980 Depth=2
	s_or_b32 exec_lo, exec_lo, s22
	s_and_saveexec_b32 s22, s29
	s_cbranch_execnz .LBB1429_1182
.LBB1429_1118:                          ;   in Loop: Header=BB1429_980 Depth=2
	s_or_b32 exec_lo, exec_lo, s22
	s_and_saveexec_b32 s22, s30
	s_cbranch_execnz .LBB1429_1183
.LBB1429_1119:                          ;   in Loop: Header=BB1429_980 Depth=2
	s_or_b32 exec_lo, exec_lo, s22
	s_and_saveexec_b32 s22, s31
	s_cbranch_execnz .LBB1429_1184
.LBB1429_1120:                          ;   in Loop: Header=BB1429_980 Depth=2
	s_or_b32 exec_lo, exec_lo, s22
	s_and_saveexec_b32 s22, s33
	s_cbranch_execnz .LBB1429_1185
.LBB1429_1121:                          ;   in Loop: Header=BB1429_980 Depth=2
	s_or_b32 exec_lo, exec_lo, s22
	s_and_saveexec_b32 s22, s34
	s_cbranch_execnz .LBB1429_1186
.LBB1429_1122:                          ;   in Loop: Header=BB1429_980 Depth=2
	s_or_b32 exec_lo, exec_lo, s22
	s_and_saveexec_b32 s22, s35
	s_cbranch_execnz .LBB1429_1187
.LBB1429_1123:                          ;   in Loop: Header=BB1429_980 Depth=2
	s_or_b32 exec_lo, exec_lo, s22
	s_and_saveexec_b32 s22, s36
	s_cbranch_execnz .LBB1429_1188
.LBB1429_1124:                          ;   in Loop: Header=BB1429_980 Depth=2
	s_or_b32 exec_lo, exec_lo, s22
	s_and_saveexec_b32 s22, s37
	s_cbranch_execnz .LBB1429_1189
.LBB1429_1125:                          ;   in Loop: Header=BB1429_980 Depth=2
	s_or_b32 exec_lo, exec_lo, s22
	s_and_saveexec_b32 s22, s38
	s_cbranch_execz .LBB1429_1127
.LBB1429_1126:                          ;   in Loop: Header=BB1429_980 Depth=2
	v_lshlrev_b32_e32 v3, 2, v132
	ds_read_b32 v3, v3
	ds_read_b64 v[37:38], v37 offset:31232
	s_waitcnt lgkmcnt(1)
	v_add_nc_u32_e32 v3, v3, v58
	v_lshlrev_b64 v[39:40], 3, v[3:4]
	v_add_co_u32 v39, vcc_lo, s50, v39
	v_add_co_ci_u32_e64 v40, null, s51, v40, vcc_lo
	s_waitcnt lgkmcnt(0)
	global_store_dwordx2 v[39:40], v[37:38], off
.LBB1429_1127:                          ;   in Loop: Header=BB1429_980 Depth=2
	s_or_b32 exec_lo, exec_lo, s22
	s_waitcnt_vscnt null, 0x0
	s_barrier
	buffer_gl0_inv
	s_and_saveexec_b32 s22, s7
	s_cbranch_execz .LBB1429_979
; %bb.1128:                             ;   in Loop: Header=BB1429_980 Depth=2
	ds_read_b32 v3, v41
	s_waitcnt lgkmcnt(0)
	v_add3_u32 v3, v144, v149, v3
	ds_write_b32 v41, v3
	s_branch .LBB1429_979
.LBB1429_1129:                          ;   in Loop: Header=BB1429_980 Depth=2
	ds_read_b32 v151, v66 offset:512
	s_waitcnt lgkmcnt(0)
	v_cmp_ne_u32_e64 s22, 0x7fffffff, v151
	v_cndmask_b32_e64 v3, 0x80000000, v151, s22
	v_cmp_lt_i32_e64 s22, -1, v151
	v_lshrrev_b32_e32 v3, s53, v3
	v_cndmask_b32_e64 v154, 0x80000000, -1, s22
	v_and_b32_e32 v3, s61, v3
	v_lshlrev_b32_e32 v3, 2, v3
	ds_read_b32 v3, v3
	s_waitcnt lgkmcnt(0)
	v_add_nc_u32_e32 v3, v3, v0
	v_lshlrev_b64 v[37:38], 2, v[3:4]
	v_xor_b32_e32 v3, v154, v151
	v_add_co_u32 v37, s22, s44, v37
	v_add_co_ci_u32_e64 v38, null, s45, v38, s22
	global_store_dword v[37:38], v3, off
	s_or_b32 exec_lo, exec_lo, s23
	v_cmp_lt_u32_e64 s22, v42, v150
	s_and_saveexec_b32 s24, s22
	s_cbranch_execz .LBB1429_1062
.LBB1429_1130:                          ;   in Loop: Header=BB1429_980 Depth=2
	ds_read_b32 v151, v66 offset:1536
	s_waitcnt lgkmcnt(0)
	v_cmp_ne_u32_e64 s23, 0x7fffffff, v151
	v_cndmask_b32_e64 v3, 0x80000000, v151, s23
	v_cmp_lt_i32_e64 s23, -1, v151
	v_lshrrev_b32_e32 v3, s53, v3
	v_cndmask_b32_e64 v154, 0x80000000, -1, s23
	v_and_b32_e32 v3, s61, v3
	v_lshlrev_b32_e32 v3, 2, v3
	ds_read_b32 v3, v3
	s_waitcnt lgkmcnt(0)
	v_add_nc_u32_e32 v3, v3, v42
	v_lshlrev_b64 v[37:38], 2, v[3:4]
	v_xor_b32_e32 v3, v154, v151
	v_add_co_u32 v37, s23, s44, v37
	v_add_co_ci_u32_e64 v38, null, s45, v38, s23
	global_store_dword v[37:38], v3, off
	s_or_b32 exec_lo, exec_lo, s24
	v_cmp_lt_u32_e64 s23, v45, v150
	s_and_saveexec_b32 s25, s23
	s_cbranch_execz .LBB1429_1063
.LBB1429_1131:                          ;   in Loop: Header=BB1429_980 Depth=2
	ds_read_b32 v151, v66 offset:2560
	s_waitcnt lgkmcnt(0)
	v_cmp_ne_u32_e64 s24, 0x7fffffff, v151
	v_cndmask_b32_e64 v3, 0x80000000, v151, s24
	v_cmp_lt_i32_e64 s24, -1, v151
	v_lshrrev_b32_e32 v3, s53, v3
	v_cndmask_b32_e64 v154, 0x80000000, -1, s24
	v_and_b32_e32 v3, s61, v3
	v_lshlrev_b32_e32 v3, 2, v3
	ds_read_b32 v3, v3
	s_waitcnt lgkmcnt(0)
	v_add_nc_u32_e32 v3, v3, v45
	v_lshlrev_b64 v[37:38], 2, v[3:4]
	v_xor_b32_e32 v3, v154, v151
	v_add_co_u32 v37, s24, s44, v37
	v_add_co_ci_u32_e64 v38, null, s45, v38, s24
	global_store_dword v[37:38], v3, off
	s_or_b32 exec_lo, exec_lo, s25
	v_cmp_lt_u32_e64 s24, v46, v150
	s_and_saveexec_b32 s26, s24
	s_cbranch_execz .LBB1429_1064
.LBB1429_1132:                          ;   in Loop: Header=BB1429_980 Depth=2
	ds_read_b32 v151, v66 offset:3584
	s_waitcnt lgkmcnt(0)
	v_cmp_ne_u32_e64 s25, 0x7fffffff, v151
	v_cndmask_b32_e64 v3, 0x80000000, v151, s25
	v_cmp_lt_i32_e64 s25, -1, v151
	v_lshrrev_b32_e32 v3, s53, v3
	v_cndmask_b32_e64 v154, 0x80000000, -1, s25
	v_and_b32_e32 v3, s61, v3
	v_lshlrev_b32_e32 v3, 2, v3
	ds_read_b32 v3, v3
	s_waitcnt lgkmcnt(0)
	v_add_nc_u32_e32 v3, v3, v46
	v_lshlrev_b64 v[37:38], 2, v[3:4]
	v_xor_b32_e32 v3, v154, v151
	v_add_co_u32 v37, s25, s44, v37
	v_add_co_ci_u32_e64 v38, null, s45, v38, s25
	global_store_dword v[37:38], v3, off
	s_or_b32 exec_lo, exec_lo, s26
	v_cmp_lt_u32_e64 s25, v47, v150
	s_and_saveexec_b32 s28, s25
	s_cbranch_execz .LBB1429_1065
.LBB1429_1133:                          ;   in Loop: Header=BB1429_980 Depth=2
	ds_read_b32 v151, v66 offset:4608
	s_waitcnt lgkmcnt(0)
	v_cmp_ne_u32_e64 s26, 0x7fffffff, v151
	v_cndmask_b32_e64 v3, 0x80000000, v151, s26
	v_cmp_lt_i32_e64 s26, -1, v151
	v_lshrrev_b32_e32 v3, s53, v3
	v_cndmask_b32_e64 v154, 0x80000000, -1, s26
	v_and_b32_e32 v3, s61, v3
	v_lshlrev_b32_e32 v3, 2, v3
	ds_read_b32 v3, v3
	s_waitcnt lgkmcnt(0)
	v_add_nc_u32_e32 v3, v3, v47
	v_lshlrev_b64 v[37:38], 2, v[3:4]
	v_xor_b32_e32 v3, v154, v151
	v_add_co_u32 v37, s26, s44, v37
	v_add_co_ci_u32_e64 v38, null, s45, v38, s26
	global_store_dword v[37:38], v3, off
	s_or_b32 exec_lo, exec_lo, s28
	v_cmp_lt_u32_e64 s26, v48, v150
	s_and_saveexec_b32 s29, s26
	s_cbranch_execz .LBB1429_1066
.LBB1429_1134:                          ;   in Loop: Header=BB1429_980 Depth=2
	ds_read_b32 v151, v66 offset:5632
	s_waitcnt lgkmcnt(0)
	v_cmp_ne_u32_e64 s28, 0x7fffffff, v151
	v_cndmask_b32_e64 v3, 0x80000000, v151, s28
	v_cmp_lt_i32_e64 s28, -1, v151
	v_lshrrev_b32_e32 v3, s53, v3
	v_cndmask_b32_e64 v154, 0x80000000, -1, s28
	v_and_b32_e32 v3, s61, v3
	v_lshlrev_b32_e32 v3, 2, v3
	ds_read_b32 v3, v3
	s_waitcnt lgkmcnt(0)
	v_add_nc_u32_e32 v3, v3, v48
	v_lshlrev_b64 v[37:38], 2, v[3:4]
	v_xor_b32_e32 v3, v154, v151
	v_add_co_u32 v37, s28, s44, v37
	v_add_co_ci_u32_e64 v38, null, s45, v38, s28
	global_store_dword v[37:38], v3, off
	s_or_b32 exec_lo, exec_lo, s29
	v_cmp_lt_u32_e64 s28, v49, v150
	s_and_saveexec_b32 s30, s28
	s_cbranch_execz .LBB1429_1067
.LBB1429_1135:                          ;   in Loop: Header=BB1429_980 Depth=2
	ds_read_b32 v151, v66 offset:6656
	s_waitcnt lgkmcnt(0)
	v_cmp_ne_u32_e64 s29, 0x7fffffff, v151
	v_cndmask_b32_e64 v3, 0x80000000, v151, s29
	v_cmp_lt_i32_e64 s29, -1, v151
	v_lshrrev_b32_e32 v3, s53, v3
	v_cndmask_b32_e64 v154, 0x80000000, -1, s29
	v_and_b32_e32 v3, s61, v3
	v_lshlrev_b32_e32 v3, 2, v3
	ds_read_b32 v3, v3
	s_waitcnt lgkmcnt(0)
	v_add_nc_u32_e32 v3, v3, v49
	v_lshlrev_b64 v[37:38], 2, v[3:4]
	v_xor_b32_e32 v3, v154, v151
	v_add_co_u32 v37, s29, s44, v37
	v_add_co_ci_u32_e64 v38, null, s45, v38, s29
	global_store_dword v[37:38], v3, off
	s_or_b32 exec_lo, exec_lo, s30
	v_cmp_lt_u32_e64 s29, v50, v150
	s_and_saveexec_b32 s31, s29
	s_cbranch_execz .LBB1429_1068
.LBB1429_1136:                          ;   in Loop: Header=BB1429_980 Depth=2
	ds_read_b32 v151, v66 offset:7680
	s_waitcnt lgkmcnt(0)
	v_cmp_ne_u32_e64 s30, 0x7fffffff, v151
	v_cndmask_b32_e64 v3, 0x80000000, v151, s30
	v_cmp_lt_i32_e64 s30, -1, v151
	v_lshrrev_b32_e32 v3, s53, v3
	v_cndmask_b32_e64 v154, 0x80000000, -1, s30
	v_and_b32_e32 v3, s61, v3
	v_lshlrev_b32_e32 v3, 2, v3
	ds_read_b32 v3, v3
	s_waitcnt lgkmcnt(0)
	v_add_nc_u32_e32 v3, v3, v50
	v_lshlrev_b64 v[37:38], 2, v[3:4]
	v_xor_b32_e32 v3, v154, v151
	v_add_co_u32 v37, s30, s44, v37
	v_add_co_ci_u32_e64 v38, null, s45, v38, s30
	global_store_dword v[37:38], v3, off
	s_or_b32 exec_lo, exec_lo, s31
	v_cmp_lt_u32_e64 s30, v51, v150
	s_and_saveexec_b32 s33, s30
	s_cbranch_execz .LBB1429_1069
.LBB1429_1137:                          ;   in Loop: Header=BB1429_980 Depth=2
	ds_read_b32 v151, v66 offset:8704
	s_waitcnt lgkmcnt(0)
	v_cmp_ne_u32_e64 s31, 0x7fffffff, v151
	v_cndmask_b32_e64 v3, 0x80000000, v151, s31
	v_cmp_lt_i32_e64 s31, -1, v151
	v_lshrrev_b32_e32 v3, s53, v3
	v_cndmask_b32_e64 v154, 0x80000000, -1, s31
	v_and_b32_e32 v3, s61, v3
	v_lshlrev_b32_e32 v3, 2, v3
	ds_read_b32 v3, v3
	s_waitcnt lgkmcnt(0)
	v_add_nc_u32_e32 v3, v3, v51
	v_lshlrev_b64 v[37:38], 2, v[3:4]
	v_xor_b32_e32 v3, v154, v151
	v_add_co_u32 v37, s31, s44, v37
	v_add_co_ci_u32_e64 v38, null, s45, v38, s31
	global_store_dword v[37:38], v3, off
	s_or_b32 exec_lo, exec_lo, s33
	v_cmp_lt_u32_e64 s31, v52, v150
	s_and_saveexec_b32 s34, s31
	s_cbranch_execz .LBB1429_1070
.LBB1429_1138:                          ;   in Loop: Header=BB1429_980 Depth=2
	ds_read_b32 v151, v66 offset:9728
	s_waitcnt lgkmcnt(0)
	v_cmp_ne_u32_e64 s33, 0x7fffffff, v151
	v_cndmask_b32_e64 v3, 0x80000000, v151, s33
	v_cmp_lt_i32_e64 s33, -1, v151
	v_lshrrev_b32_e32 v3, s53, v3
	v_cndmask_b32_e64 v154, 0x80000000, -1, s33
	v_and_b32_e32 v3, s61, v3
	v_lshlrev_b32_e32 v3, 2, v3
	ds_read_b32 v3, v3
	s_waitcnt lgkmcnt(0)
	v_add_nc_u32_e32 v3, v3, v52
	v_lshlrev_b64 v[37:38], 2, v[3:4]
	v_xor_b32_e32 v3, v154, v151
	v_add_co_u32 v37, s33, s44, v37
	v_add_co_ci_u32_e64 v38, null, s45, v38, s33
	global_store_dword v[37:38], v3, off
	s_or_b32 exec_lo, exec_lo, s34
	v_cmp_lt_u32_e64 s33, v53, v150
	s_and_saveexec_b32 s35, s33
	s_cbranch_execz .LBB1429_1071
.LBB1429_1139:                          ;   in Loop: Header=BB1429_980 Depth=2
	ds_read_b32 v151, v66 offset:10752
	s_waitcnt lgkmcnt(0)
	v_cmp_ne_u32_e64 s34, 0x7fffffff, v151
	v_cndmask_b32_e64 v3, 0x80000000, v151, s34
	v_cmp_lt_i32_e64 s34, -1, v151
	v_lshrrev_b32_e32 v3, s53, v3
	v_cndmask_b32_e64 v154, 0x80000000, -1, s34
	v_and_b32_e32 v3, s61, v3
	v_lshlrev_b32_e32 v3, 2, v3
	ds_read_b32 v3, v3
	s_waitcnt lgkmcnt(0)
	v_add_nc_u32_e32 v3, v3, v53
	v_lshlrev_b64 v[37:38], 2, v[3:4]
	v_xor_b32_e32 v3, v154, v151
	v_add_co_u32 v37, s34, s44, v37
	v_add_co_ci_u32_e64 v38, null, s45, v38, s34
	global_store_dword v[37:38], v3, off
	s_or_b32 exec_lo, exec_lo, s35
	v_cmp_lt_u32_e64 s34, v54, v150
	s_and_saveexec_b32 s36, s34
	s_cbranch_execz .LBB1429_1072
.LBB1429_1140:                          ;   in Loop: Header=BB1429_980 Depth=2
	ds_read_b32 v151, v66 offset:11776
	s_waitcnt lgkmcnt(0)
	v_cmp_ne_u32_e64 s35, 0x7fffffff, v151
	v_cndmask_b32_e64 v3, 0x80000000, v151, s35
	v_cmp_lt_i32_e64 s35, -1, v151
	v_lshrrev_b32_e32 v3, s53, v3
	v_cndmask_b32_e64 v154, 0x80000000, -1, s35
	v_and_b32_e32 v3, s61, v3
	v_lshlrev_b32_e32 v3, 2, v3
	ds_read_b32 v3, v3
	s_waitcnt lgkmcnt(0)
	v_add_nc_u32_e32 v3, v3, v54
	v_lshlrev_b64 v[37:38], 2, v[3:4]
	v_xor_b32_e32 v3, v154, v151
	v_add_co_u32 v37, s35, s44, v37
	v_add_co_ci_u32_e64 v38, null, s45, v38, s35
	global_store_dword v[37:38], v3, off
	s_or_b32 exec_lo, exec_lo, s36
	v_cmp_lt_u32_e64 s35, v55, v150
	s_and_saveexec_b32 s37, s35
	s_cbranch_execz .LBB1429_1073
.LBB1429_1141:                          ;   in Loop: Header=BB1429_980 Depth=2
	ds_read_b32 v151, v66 offset:12800
	s_waitcnt lgkmcnt(0)
	v_cmp_ne_u32_e64 s36, 0x7fffffff, v151
	v_cndmask_b32_e64 v3, 0x80000000, v151, s36
	v_cmp_lt_i32_e64 s36, -1, v151
	v_lshrrev_b32_e32 v3, s53, v3
	v_cndmask_b32_e64 v154, 0x80000000, -1, s36
	v_and_b32_e32 v3, s61, v3
	v_lshlrev_b32_e32 v3, 2, v3
	ds_read_b32 v3, v3
	s_waitcnt lgkmcnt(0)
	v_add_nc_u32_e32 v3, v3, v55
	v_lshlrev_b64 v[37:38], 2, v[3:4]
	v_xor_b32_e32 v3, v154, v151
	v_add_co_u32 v37, s36, s44, v37
	v_add_co_ci_u32_e64 v38, null, s45, v38, s36
	global_store_dword v[37:38], v3, off
	s_or_b32 exec_lo, exec_lo, s37
	v_cmp_lt_u32_e64 s36, v56, v150
	s_and_saveexec_b32 s38, s36
	s_cbranch_execz .LBB1429_1074
.LBB1429_1142:                          ;   in Loop: Header=BB1429_980 Depth=2
	ds_read_b32 v151, v66 offset:13824
	s_waitcnt lgkmcnt(0)
	v_cmp_ne_u32_e64 s37, 0x7fffffff, v151
	v_cndmask_b32_e64 v3, 0x80000000, v151, s37
	v_cmp_lt_i32_e64 s37, -1, v151
	v_lshrrev_b32_e32 v3, s53, v3
	v_cndmask_b32_e64 v154, 0x80000000, -1, s37
	v_and_b32_e32 v3, s61, v3
	v_lshlrev_b32_e32 v3, 2, v3
	ds_read_b32 v3, v3
	s_waitcnt lgkmcnt(0)
	v_add_nc_u32_e32 v3, v3, v56
	v_lshlrev_b64 v[37:38], 2, v[3:4]
	v_xor_b32_e32 v3, v154, v151
	v_add_co_u32 v37, s37, s44, v37
	v_add_co_ci_u32_e64 v38, null, s45, v38, s37
	global_store_dword v[37:38], v3, off
	s_or_b32 exec_lo, exec_lo, s38
	v_cmp_lt_u32_e64 s37, v57, v150
	s_and_saveexec_b32 s39, s37
	s_cbranch_execz .LBB1429_1075
.LBB1429_1143:                          ;   in Loop: Header=BB1429_980 Depth=2
	ds_read_b32 v151, v66 offset:14848
	s_waitcnt lgkmcnt(0)
	v_cmp_ne_u32_e64 s38, 0x7fffffff, v151
	v_cndmask_b32_e64 v3, 0x80000000, v151, s38
	v_cmp_lt_i32_e64 s38, -1, v151
	v_lshrrev_b32_e32 v3, s53, v3
	v_cndmask_b32_e64 v154, 0x80000000, -1, s38
	v_and_b32_e32 v3, s61, v3
	v_lshlrev_b32_e32 v3, 2, v3
	ds_read_b32 v3, v3
	s_waitcnt lgkmcnt(0)
	v_add_nc_u32_e32 v3, v3, v57
	v_lshlrev_b64 v[37:38], 2, v[3:4]
	v_xor_b32_e32 v3, v154, v151
	v_add_co_u32 v37, s38, s44, v37
	v_add_co_ci_u32_e64 v38, null, s45, v38, s38
	global_store_dword v[37:38], v3, off
	s_or_b32 exec_lo, exec_lo, s39
	v_cmp_lt_u32_e64 s38, v58, v150
	s_and_saveexec_b32 s64, s38
	s_cbranch_execnz .LBB1429_1076
	s_branch .LBB1429_1077
.LBB1429_1144:                          ;   in Loop: Header=BB1429_980 Depth=2
	global_load_dwordx2 v[35:36], v[37:38], off
	s_or_b32 exec_lo, exec_lo, s39
	s_mov_b32 s46, exec_lo
	v_cmpx_lt_u32_e64 v108, v150
	s_cbranch_execz .LBB1429_1079
.LBB1429_1145:                          ;   in Loop: Header=BB1429_980 Depth=2
	global_load_dwordx2 v[33:34], v[37:38], off offset:256
	s_or_b32 exec_lo, exec_lo, s46
	s_mov_b32 s46, exec_lo
	v_cmpx_lt_u32_e64 v109, v150
	s_cbranch_execz .LBB1429_1080
.LBB1429_1146:                          ;   in Loop: Header=BB1429_980 Depth=2
	global_load_dwordx2 v[31:32], v[37:38], off offset:512
	s_or_b32 exec_lo, exec_lo, s46
	s_mov_b32 s46, exec_lo
	v_cmpx_lt_u32_e64 v110, v150
	s_cbranch_execz .LBB1429_1081
.LBB1429_1147:                          ;   in Loop: Header=BB1429_980 Depth=2
	global_load_dwordx2 v[29:30], v[37:38], off offset:768
	s_or_b32 exec_lo, exec_lo, s46
	s_mov_b32 s46, exec_lo
	v_cmpx_lt_u32_e64 v111, v150
	s_cbranch_execz .LBB1429_1082
.LBB1429_1148:                          ;   in Loop: Header=BB1429_980 Depth=2
	global_load_dwordx2 v[27:28], v[37:38], off offset:1024
	s_or_b32 exec_lo, exec_lo, s46
	s_mov_b32 s46, exec_lo
	v_cmpx_lt_u32_e64 v112, v150
	s_cbranch_execz .LBB1429_1083
.LBB1429_1149:                          ;   in Loop: Header=BB1429_980 Depth=2
	global_load_dwordx2 v[23:24], v[37:38], off offset:1280
	s_or_b32 exec_lo, exec_lo, s46
	s_mov_b32 s46, exec_lo
	v_cmpx_lt_u32_e64 v113, v150
	s_cbranch_execz .LBB1429_1084
.LBB1429_1150:                          ;   in Loop: Header=BB1429_980 Depth=2
	global_load_dwordx2 v[19:20], v[37:38], off offset:1536
	s_or_b32 exec_lo, exec_lo, s46
	s_mov_b32 s46, exec_lo
	v_cmpx_lt_u32_e64 v114, v150
	s_cbranch_execz .LBB1429_1085
.LBB1429_1151:                          ;   in Loop: Header=BB1429_980 Depth=2
	global_load_dwordx2 v[15:16], v[37:38], off offset:1792
	s_or_b32 exec_lo, exec_lo, s46
	s_mov_b32 s46, exec_lo
	v_cmpx_lt_u32_e64 v115, v150
	s_cbranch_execz .LBB1429_1086
.LBB1429_1152:                          ;   in Loop: Header=BB1429_980 Depth=2
	v_add_co_u32 v25, s39, 0x800, v37
	v_add_co_ci_u32_e64 v26, null, 0, v38, s39
	global_load_dwordx2 v[25:26], v[25:26], off
	s_or_b32 exec_lo, exec_lo, s46
	s_mov_b32 s46, exec_lo
	v_cmpx_lt_u32_e64 v116, v150
	s_cbranch_execz .LBB1429_1087
.LBB1429_1153:                          ;   in Loop: Header=BB1429_980 Depth=2
	v_add_co_u32 v21, s39, 0x800, v37
	v_add_co_ci_u32_e64 v22, null, 0, v38, s39
	global_load_dwordx2 v[21:22], v[21:22], off offset:256
	s_or_b32 exec_lo, exec_lo, s46
	s_mov_b32 s46, exec_lo
	v_cmpx_lt_u32_e64 v117, v150
	s_cbranch_execz .LBB1429_1088
.LBB1429_1154:                          ;   in Loop: Header=BB1429_980 Depth=2
	v_add_co_u32 v17, s39, 0x800, v37
	v_add_co_ci_u32_e64 v18, null, 0, v38, s39
	global_load_dwordx2 v[17:18], v[17:18], off offset:512
	s_or_b32 exec_lo, exec_lo, s46
	s_mov_b32 s46, exec_lo
	v_cmpx_lt_u32_e64 v118, v150
	s_cbranch_execz .LBB1429_1089
.LBB1429_1155:                          ;   in Loop: Header=BB1429_980 Depth=2
	v_add_co_u32 v13, s39, 0x800, v37
	v_add_co_ci_u32_e64 v14, null, 0, v38, s39
	global_load_dwordx2 v[13:14], v[13:14], off offset:768
	s_or_b32 exec_lo, exec_lo, s46
	s_mov_b32 s46, exec_lo
	v_cmpx_lt_u32_e64 v119, v150
	s_cbranch_execz .LBB1429_1090
.LBB1429_1156:                          ;   in Loop: Header=BB1429_980 Depth=2
	v_add_co_u32 v11, s39, 0x800, v37
	v_add_co_ci_u32_e64 v12, null, 0, v38, s39
	global_load_dwordx2 v[11:12], v[11:12], off offset:1024
	s_or_b32 exec_lo, exec_lo, s46
	s_mov_b32 s46, exec_lo
	v_cmpx_lt_u32_e64 v121, v150
	s_cbranch_execz .LBB1429_1091
.LBB1429_1157:                          ;   in Loop: Header=BB1429_980 Depth=2
	v_add_co_u32 v9, s39, 0x800, v37
	v_add_co_ci_u32_e64 v10, null, 0, v38, s39
	global_load_dwordx2 v[9:10], v[9:10], off offset:1280
	s_or_b32 exec_lo, exec_lo, s46
	s_mov_b32 s46, exec_lo
	v_cmpx_lt_u32_e64 v122, v150
	s_cbranch_execz .LBB1429_1092
.LBB1429_1158:                          ;   in Loop: Header=BB1429_980 Depth=2
	v_add_co_u32 v7, s39, 0x800, v37
	v_add_co_ci_u32_e64 v8, null, 0, v38, s39
	global_load_dwordx2 v[7:8], v[7:8], off offset:1536
	s_or_b32 exec_lo, exec_lo, s46
	s_mov_b32 s46, exec_lo
	v_cmpx_lt_u32_e64 v123, v150
	s_cbranch_execz .LBB1429_1093
.LBB1429_1159:                          ;   in Loop: Header=BB1429_980 Depth=2
	v_add_co_u32 v5, s39, 0x800, v37
	v_add_co_ci_u32_e64 v6, null, 0, v38, s39
	global_load_dwordx2 v[5:6], v[5:6], off offset:1792
	s_or_b32 exec_lo, exec_lo, s46
	s_and_saveexec_b32 s46, vcc_lo
	s_cbranch_execz .LBB1429_1094
.LBB1429_1160:                          ;   in Loop: Header=BB1429_980 Depth=2
	ds_read_b32 v3, v66 offset:512
	s_waitcnt lgkmcnt(0)
	v_cmp_ne_u32_e64 s39, 0x7fffffff, v3
	v_cndmask_b32_e64 v3, 0x80000000, v3, s39
	v_lshrrev_b32_e32 v3, s53, v3
	v_and_b32_e32 v148, s61, v3
	s_or_b32 exec_lo, exec_lo, s46
	s_and_saveexec_b32 s46, s22
	s_cbranch_execz .LBB1429_1095
.LBB1429_1161:                          ;   in Loop: Header=BB1429_980 Depth=2
	ds_read_b32 v3, v66 offset:1536
	s_waitcnt lgkmcnt(0)
	v_cmp_ne_u32_e64 s39, 0x7fffffff, v3
	v_cndmask_b32_e64 v3, 0x80000000, v3, s39
	v_lshrrev_b32_e32 v3, s53, v3
	v_and_b32_e32 v147, s61, v3
	s_or_b32 exec_lo, exec_lo, s46
	s_and_saveexec_b32 s46, s23
	s_cbranch_execz .LBB1429_1096
.LBB1429_1162:                          ;   in Loop: Header=BB1429_980 Depth=2
	ds_read_b32 v3, v66 offset:2560
	s_waitcnt lgkmcnt(0)
	v_cmp_ne_u32_e64 s39, 0x7fffffff, v3
	v_cndmask_b32_e64 v3, 0x80000000, v3, s39
	v_lshrrev_b32_e32 v3, s53, v3
	v_and_b32_e32 v146, s61, v3
	s_or_b32 exec_lo, exec_lo, s46
	s_and_saveexec_b32 s46, s24
	s_cbranch_execz .LBB1429_1097
.LBB1429_1163:                          ;   in Loop: Header=BB1429_980 Depth=2
	ds_read_b32 v3, v66 offset:3584
	s_waitcnt lgkmcnt(0)
	v_cmp_ne_u32_e64 s39, 0x7fffffff, v3
	v_cndmask_b32_e64 v3, 0x80000000, v3, s39
	v_lshrrev_b32_e32 v3, s53, v3
	v_and_b32_e32 v145, s61, v3
	s_or_b32 exec_lo, exec_lo, s46
	s_and_saveexec_b32 s46, s25
	s_cbranch_execz .LBB1429_1098
.LBB1429_1164:                          ;   in Loop: Header=BB1429_980 Depth=2
	ds_read_b32 v3, v66 offset:4608
	s_waitcnt lgkmcnt(0)
	v_cmp_ne_u32_e64 s39, 0x7fffffff, v3
	v_cndmask_b32_e64 v3, 0x80000000, v3, s39
	v_lshrrev_b32_e32 v3, s53, v3
	v_and_b32_e32 v143, s61, v3
	s_or_b32 exec_lo, exec_lo, s46
	s_and_saveexec_b32 s46, s26
	s_cbranch_execz .LBB1429_1099
.LBB1429_1165:                          ;   in Loop: Header=BB1429_980 Depth=2
	ds_read_b32 v3, v66 offset:5632
	s_waitcnt lgkmcnt(0)
	v_cmp_ne_u32_e64 s39, 0x7fffffff, v3
	v_cndmask_b32_e64 v3, 0x80000000, v3, s39
	v_lshrrev_b32_e32 v3, s53, v3
	v_and_b32_e32 v142, s61, v3
	s_or_b32 exec_lo, exec_lo, s46
	s_and_saveexec_b32 s46, s28
	s_cbranch_execz .LBB1429_1100
.LBB1429_1166:                          ;   in Loop: Header=BB1429_980 Depth=2
	ds_read_b32 v3, v66 offset:6656
	s_waitcnt lgkmcnt(0)
	v_cmp_ne_u32_e64 s39, 0x7fffffff, v3
	v_cndmask_b32_e64 v3, 0x80000000, v3, s39
	v_lshrrev_b32_e32 v3, s53, v3
	v_and_b32_e32 v141, s61, v3
	s_or_b32 exec_lo, exec_lo, s46
	s_and_saveexec_b32 s46, s29
	s_cbranch_execz .LBB1429_1101
.LBB1429_1167:                          ;   in Loop: Header=BB1429_980 Depth=2
	ds_read_b32 v3, v66 offset:7680
	s_waitcnt lgkmcnt(0)
	v_cmp_ne_u32_e64 s39, 0x7fffffff, v3
	v_cndmask_b32_e64 v3, 0x80000000, v3, s39
	v_lshrrev_b32_e32 v3, s53, v3
	v_and_b32_e32 v140, s61, v3
	s_or_b32 exec_lo, exec_lo, s46
	s_and_saveexec_b32 s46, s30
	s_cbranch_execz .LBB1429_1102
.LBB1429_1168:                          ;   in Loop: Header=BB1429_980 Depth=2
	ds_read_b32 v3, v66 offset:8704
	s_waitcnt lgkmcnt(0)
	v_cmp_ne_u32_e64 s39, 0x7fffffff, v3
	v_cndmask_b32_e64 v3, 0x80000000, v3, s39
	v_lshrrev_b32_e32 v3, s53, v3
	v_and_b32_e32 v139, s61, v3
	s_or_b32 exec_lo, exec_lo, s46
	s_and_saveexec_b32 s46, s31
	s_cbranch_execz .LBB1429_1103
.LBB1429_1169:                          ;   in Loop: Header=BB1429_980 Depth=2
	ds_read_b32 v3, v66 offset:9728
	s_waitcnt lgkmcnt(0)
	v_cmp_ne_u32_e64 s39, 0x7fffffff, v3
	v_cndmask_b32_e64 v3, 0x80000000, v3, s39
	v_lshrrev_b32_e32 v3, s53, v3
	v_and_b32_e32 v138, s61, v3
	s_or_b32 exec_lo, exec_lo, s46
	s_and_saveexec_b32 s46, s33
	s_cbranch_execz .LBB1429_1104
.LBB1429_1170:                          ;   in Loop: Header=BB1429_980 Depth=2
	ds_read_b32 v3, v66 offset:10752
	s_waitcnt lgkmcnt(0)
	v_cmp_ne_u32_e64 s39, 0x7fffffff, v3
	v_cndmask_b32_e64 v3, 0x80000000, v3, s39
	v_lshrrev_b32_e32 v3, s53, v3
	v_and_b32_e32 v137, s61, v3
	s_or_b32 exec_lo, exec_lo, s46
	s_and_saveexec_b32 s46, s34
	s_cbranch_execz .LBB1429_1105
.LBB1429_1171:                          ;   in Loop: Header=BB1429_980 Depth=2
	ds_read_b32 v3, v66 offset:11776
	s_waitcnt lgkmcnt(0)
	v_cmp_ne_u32_e64 s39, 0x7fffffff, v3
	v_cndmask_b32_e64 v3, 0x80000000, v3, s39
	v_lshrrev_b32_e32 v3, s53, v3
	v_and_b32_e32 v136, s61, v3
	s_or_b32 exec_lo, exec_lo, s46
	s_and_saveexec_b32 s46, s35
	s_cbranch_execz .LBB1429_1106
.LBB1429_1172:                          ;   in Loop: Header=BB1429_980 Depth=2
	ds_read_b32 v3, v66 offset:12800
	s_waitcnt lgkmcnt(0)
	v_cmp_ne_u32_e64 s39, 0x7fffffff, v3
	v_cndmask_b32_e64 v3, 0x80000000, v3, s39
	v_lshrrev_b32_e32 v3, s53, v3
	v_and_b32_e32 v135, s61, v3
	s_or_b32 exec_lo, exec_lo, s46
	s_and_saveexec_b32 s46, s36
	s_cbranch_execz .LBB1429_1107
.LBB1429_1173:                          ;   in Loop: Header=BB1429_980 Depth=2
	ds_read_b32 v3, v66 offset:13824
	s_waitcnt lgkmcnt(0)
	v_cmp_ne_u32_e64 s39, 0x7fffffff, v3
	v_cndmask_b32_e64 v3, 0x80000000, v3, s39
	v_lshrrev_b32_e32 v3, s53, v3
	v_and_b32_e32 v134, s61, v3
	s_or_b32 exec_lo, exec_lo, s46
	s_and_saveexec_b32 s46, s37
	s_cbranch_execz .LBB1429_1108
.LBB1429_1174:                          ;   in Loop: Header=BB1429_980 Depth=2
	ds_read_b32 v3, v66 offset:14848
	s_waitcnt lgkmcnt(0)
	v_cmp_ne_u32_e64 s39, 0x7fffffff, v3
	v_cndmask_b32_e64 v3, 0x80000000, v3, s39
	v_lshrrev_b32_e32 v3, s53, v3
	v_and_b32_e32 v133, s61, v3
	s_or_b32 exec_lo, exec_lo, s46
	s_and_saveexec_b32 s46, s38
	s_cbranch_execnz .LBB1429_1109
	s_branch .LBB1429_1110
.LBB1429_1175:                          ;   in Loop: Header=BB1429_980 Depth=2
	v_lshlrev_b32_e32 v3, 2, v148
	ds_read_b32 v3, v3
	ds_read_b64 v[38:39], v37 offset:512
	s_waitcnt lgkmcnt(1)
	v_add_nc_u32_e32 v3, v3, v0
	v_lshlrev_b64 v[150:151], 3, v[3:4]
	v_add_co_u32 v150, vcc_lo, s50, v150
	v_add_co_ci_u32_e64 v151, null, s51, v151, vcc_lo
	s_waitcnt lgkmcnt(0)
	global_store_dwordx2 v[150:151], v[38:39], off
	s_or_b32 exec_lo, exec_lo, s39
	s_and_saveexec_b32 s39, s22
	s_cbranch_execz .LBB1429_1112
.LBB1429_1176:                          ;   in Loop: Header=BB1429_980 Depth=2
	v_lshlrev_b32_e32 v3, 2, v147
	ds_read_b32 v3, v3
	ds_read_b64 v[38:39], v37 offset:2560
	s_waitcnt lgkmcnt(1)
	v_add_nc_u32_e32 v3, v3, v42
	v_lshlrev_b64 v[150:151], 3, v[3:4]
	v_add_co_u32 v150, vcc_lo, s50, v150
	v_add_co_ci_u32_e64 v151, null, s51, v151, vcc_lo
	s_waitcnt lgkmcnt(0)
	global_store_dwordx2 v[150:151], v[38:39], off
	s_or_b32 exec_lo, exec_lo, s39
	s_and_saveexec_b32 s22, s23
	s_cbranch_execz .LBB1429_1113
.LBB1429_1177:                          ;   in Loop: Header=BB1429_980 Depth=2
	v_lshlrev_b32_e32 v3, 2, v146
	ds_read_b32 v3, v3
	ds_read_b64 v[38:39], v37 offset:4608
	s_waitcnt lgkmcnt(1)
	v_add_nc_u32_e32 v3, v3, v45
	v_lshlrev_b64 v[150:151], 3, v[3:4]
	v_add_co_u32 v150, vcc_lo, s50, v150
	v_add_co_ci_u32_e64 v151, null, s51, v151, vcc_lo
	s_waitcnt lgkmcnt(0)
	global_store_dwordx2 v[150:151], v[38:39], off
	s_or_b32 exec_lo, exec_lo, s22
	s_and_saveexec_b32 s22, s24
	s_cbranch_execz .LBB1429_1114
.LBB1429_1178:                          ;   in Loop: Header=BB1429_980 Depth=2
	v_lshlrev_b32_e32 v3, 2, v145
	ds_read_b32 v3, v3
	ds_read_b64 v[38:39], v37 offset:6656
	s_waitcnt lgkmcnt(1)
	v_add_nc_u32_e32 v3, v3, v46
	v_lshlrev_b64 v[150:151], 3, v[3:4]
	v_add_co_u32 v150, vcc_lo, s50, v150
	v_add_co_ci_u32_e64 v151, null, s51, v151, vcc_lo
	s_waitcnt lgkmcnt(0)
	global_store_dwordx2 v[150:151], v[38:39], off
	s_or_b32 exec_lo, exec_lo, s22
	s_and_saveexec_b32 s22, s25
	s_cbranch_execz .LBB1429_1115
.LBB1429_1179:                          ;   in Loop: Header=BB1429_980 Depth=2
	v_lshlrev_b32_e32 v3, 2, v143
	ds_read_b32 v3, v3
	ds_read_b64 v[38:39], v37 offset:8704
	s_waitcnt lgkmcnt(1)
	v_add_nc_u32_e32 v3, v3, v47
	v_lshlrev_b64 v[150:151], 3, v[3:4]
	v_add_co_u32 v150, vcc_lo, s50, v150
	v_add_co_ci_u32_e64 v151, null, s51, v151, vcc_lo
	s_waitcnt lgkmcnt(0)
	global_store_dwordx2 v[150:151], v[38:39], off
	s_or_b32 exec_lo, exec_lo, s22
	s_and_saveexec_b32 s22, s26
	s_cbranch_execz .LBB1429_1116
.LBB1429_1180:                          ;   in Loop: Header=BB1429_980 Depth=2
	v_lshlrev_b32_e32 v3, 2, v142
	ds_read_b32 v3, v3
	ds_read_b64 v[38:39], v37 offset:10752
	s_waitcnt lgkmcnt(1)
	v_add_nc_u32_e32 v3, v3, v48
	v_lshlrev_b64 v[150:151], 3, v[3:4]
	v_add_co_u32 v150, vcc_lo, s50, v150
	v_add_co_ci_u32_e64 v151, null, s51, v151, vcc_lo
	s_waitcnt lgkmcnt(0)
	global_store_dwordx2 v[150:151], v[38:39], off
	s_or_b32 exec_lo, exec_lo, s22
	s_and_saveexec_b32 s22, s28
	s_cbranch_execz .LBB1429_1117
.LBB1429_1181:                          ;   in Loop: Header=BB1429_980 Depth=2
	v_lshlrev_b32_e32 v3, 2, v141
	ds_read_b32 v3, v3
	ds_read_b64 v[38:39], v37 offset:12800
	s_waitcnt lgkmcnt(1)
	v_add_nc_u32_e32 v3, v3, v49
	v_lshlrev_b64 v[150:151], 3, v[3:4]
	v_add_co_u32 v150, vcc_lo, s50, v150
	v_add_co_ci_u32_e64 v151, null, s51, v151, vcc_lo
	s_waitcnt lgkmcnt(0)
	global_store_dwordx2 v[150:151], v[38:39], off
	s_or_b32 exec_lo, exec_lo, s22
	s_and_saveexec_b32 s22, s29
	s_cbranch_execz .LBB1429_1118
.LBB1429_1182:                          ;   in Loop: Header=BB1429_980 Depth=2
	v_lshlrev_b32_e32 v3, 2, v140
	ds_read_b32 v3, v3
	ds_read_b64 v[38:39], v37 offset:14848
	s_waitcnt lgkmcnt(1)
	v_add_nc_u32_e32 v3, v3, v50
	v_lshlrev_b64 v[150:151], 3, v[3:4]
	v_add_co_u32 v150, vcc_lo, s50, v150
	v_add_co_ci_u32_e64 v151, null, s51, v151, vcc_lo
	s_waitcnt lgkmcnt(0)
	global_store_dwordx2 v[150:151], v[38:39], off
	s_or_b32 exec_lo, exec_lo, s22
	s_and_saveexec_b32 s22, s30
	s_cbranch_execz .LBB1429_1119
.LBB1429_1183:                          ;   in Loop: Header=BB1429_980 Depth=2
	v_lshlrev_b32_e32 v3, 2, v139
	ds_read_b32 v3, v3
	ds_read_b64 v[38:39], v37 offset:16896
	s_waitcnt lgkmcnt(1)
	v_add_nc_u32_e32 v3, v3, v51
	v_lshlrev_b64 v[150:151], 3, v[3:4]
	v_add_co_u32 v150, vcc_lo, s50, v150
	v_add_co_ci_u32_e64 v151, null, s51, v151, vcc_lo
	s_waitcnt lgkmcnt(0)
	global_store_dwordx2 v[150:151], v[38:39], off
	s_or_b32 exec_lo, exec_lo, s22
	s_and_saveexec_b32 s22, s31
	s_cbranch_execz .LBB1429_1120
.LBB1429_1184:                          ;   in Loop: Header=BB1429_980 Depth=2
	v_lshlrev_b32_e32 v3, 2, v138
	ds_read_b32 v3, v3
	ds_read_b64 v[38:39], v37 offset:18944
	s_waitcnt lgkmcnt(1)
	v_add_nc_u32_e32 v3, v3, v52
	v_lshlrev_b64 v[150:151], 3, v[3:4]
	v_add_co_u32 v150, vcc_lo, s50, v150
	v_add_co_ci_u32_e64 v151, null, s51, v151, vcc_lo
	s_waitcnt lgkmcnt(0)
	global_store_dwordx2 v[150:151], v[38:39], off
	s_or_b32 exec_lo, exec_lo, s22
	s_and_saveexec_b32 s22, s33
	s_cbranch_execz .LBB1429_1121
.LBB1429_1185:                          ;   in Loop: Header=BB1429_980 Depth=2
	v_lshlrev_b32_e32 v3, 2, v137
	ds_read_b32 v3, v3
	ds_read_b64 v[38:39], v37 offset:20992
	s_waitcnt lgkmcnt(1)
	v_add_nc_u32_e32 v3, v3, v53
	v_lshlrev_b64 v[150:151], 3, v[3:4]
	v_add_co_u32 v150, vcc_lo, s50, v150
	v_add_co_ci_u32_e64 v151, null, s51, v151, vcc_lo
	s_waitcnt lgkmcnt(0)
	global_store_dwordx2 v[150:151], v[38:39], off
	s_or_b32 exec_lo, exec_lo, s22
	s_and_saveexec_b32 s22, s34
	s_cbranch_execz .LBB1429_1122
.LBB1429_1186:                          ;   in Loop: Header=BB1429_980 Depth=2
	v_lshlrev_b32_e32 v3, 2, v136
	ds_read_b32 v3, v3
	ds_read_b64 v[38:39], v37 offset:23040
	s_waitcnt lgkmcnt(1)
	v_add_nc_u32_e32 v3, v3, v54
	v_lshlrev_b64 v[150:151], 3, v[3:4]
	v_add_co_u32 v150, vcc_lo, s50, v150
	v_add_co_ci_u32_e64 v151, null, s51, v151, vcc_lo
	s_waitcnt lgkmcnt(0)
	global_store_dwordx2 v[150:151], v[38:39], off
	s_or_b32 exec_lo, exec_lo, s22
	s_and_saveexec_b32 s22, s35
	s_cbranch_execz .LBB1429_1123
.LBB1429_1187:                          ;   in Loop: Header=BB1429_980 Depth=2
	v_lshlrev_b32_e32 v3, 2, v135
	ds_read_b32 v3, v3
	ds_read_b64 v[38:39], v37 offset:25088
	s_waitcnt lgkmcnt(1)
	v_add_nc_u32_e32 v3, v3, v55
	v_lshlrev_b64 v[150:151], 3, v[3:4]
	v_add_co_u32 v150, vcc_lo, s50, v150
	v_add_co_ci_u32_e64 v151, null, s51, v151, vcc_lo
	s_waitcnt lgkmcnt(0)
	global_store_dwordx2 v[150:151], v[38:39], off
	s_or_b32 exec_lo, exec_lo, s22
	s_and_saveexec_b32 s22, s36
	s_cbranch_execz .LBB1429_1124
.LBB1429_1188:                          ;   in Loop: Header=BB1429_980 Depth=2
	v_lshlrev_b32_e32 v3, 2, v134
	ds_read_b32 v3, v3
	ds_read_b64 v[38:39], v37 offset:27136
	s_waitcnt lgkmcnt(1)
	v_add_nc_u32_e32 v3, v3, v56
	v_lshlrev_b64 v[150:151], 3, v[3:4]
	v_add_co_u32 v150, vcc_lo, s50, v150
	v_add_co_ci_u32_e64 v151, null, s51, v151, vcc_lo
	s_waitcnt lgkmcnt(0)
	global_store_dwordx2 v[150:151], v[38:39], off
	s_or_b32 exec_lo, exec_lo, s22
	s_and_saveexec_b32 s22, s37
	s_cbranch_execz .LBB1429_1125
.LBB1429_1189:                          ;   in Loop: Header=BB1429_980 Depth=2
	v_lshlrev_b32_e32 v3, 2, v133
	ds_read_b32 v3, v3
	ds_read_b64 v[38:39], v37 offset:29184
	s_waitcnt lgkmcnt(1)
	v_add_nc_u32_e32 v3, v3, v57
	v_lshlrev_b64 v[150:151], 3, v[3:4]
	v_add_co_u32 v150, vcc_lo, s50, v150
	v_add_co_ci_u32_e64 v151, null, s51, v151, vcc_lo
	s_waitcnt lgkmcnt(0)
	global_store_dwordx2 v[150:151], v[38:39], off
	s_or_b32 exec_lo, exec_lo, s22
	s_and_saveexec_b32 s22, s38
	s_cbranch_execnz .LBB1429_1126
	s_branch .LBB1429_1127
.LBB1429_1190:
	s_endpgm
	.section	.rodata,"a",@progbits
	.p2align	6, 0x0
	.amdhsa_kernel _ZN7rocprim17ROCPRIM_400000_NS6detail17trampoline_kernelINS0_14default_configENS1_36segmented_radix_sort_config_selectorIflEEZNS1_25segmented_radix_sort_implIS3_Lb0EPKfPfPKlPlN2at6native12_GLOBAL__N_18offset_tEEE10hipError_tPvRmT1_PNSt15iterator_traitsISK_E10value_typeET2_T3_PNSL_ISQ_E10value_typeET4_jRbjT5_SW_jjP12ihipStream_tbEUlT_E_NS1_11comp_targetILNS1_3genE8ELNS1_11target_archE1030ELNS1_3gpuE2ELNS1_3repE0EEENS1_30default_config_static_selectorELNS0_4arch9wavefront6targetE0EEEvSK_
		.amdhsa_group_segment_fixed_size 33296
		.amdhsa_private_segment_fixed_size 68
		.amdhsa_kernarg_size 352
		.amdhsa_user_sgpr_count 6
		.amdhsa_user_sgpr_private_segment_buffer 1
		.amdhsa_user_sgpr_dispatch_ptr 0
		.amdhsa_user_sgpr_queue_ptr 0
		.amdhsa_user_sgpr_kernarg_segment_ptr 1
		.amdhsa_user_sgpr_dispatch_id 0
		.amdhsa_user_sgpr_flat_scratch_init 0
		.amdhsa_user_sgpr_private_segment_size 0
		.amdhsa_wavefront_size32 1
		.amdhsa_uses_dynamic_stack 0
		.amdhsa_system_sgpr_private_segment_wavefront_offset 1
		.amdhsa_system_sgpr_workgroup_id_x 1
		.amdhsa_system_sgpr_workgroup_id_y 1
		.amdhsa_system_sgpr_workgroup_id_z 0
		.amdhsa_system_sgpr_workgroup_info 0
		.amdhsa_system_vgpr_workitem_id 2
		.amdhsa_next_free_vgpr 248
		.amdhsa_next_free_sgpr 66
		.amdhsa_reserve_vcc 1
		.amdhsa_reserve_flat_scratch 0
		.amdhsa_float_round_mode_32 0
		.amdhsa_float_round_mode_16_64 0
		.amdhsa_float_denorm_mode_32 3
		.amdhsa_float_denorm_mode_16_64 3
		.amdhsa_dx10_clamp 1
		.amdhsa_ieee_mode 1
		.amdhsa_fp16_overflow 0
		.amdhsa_workgroup_processor_mode 1
		.amdhsa_memory_ordered 1
		.amdhsa_forward_progress 1
		.amdhsa_shared_vgpr_count 0
		.amdhsa_exception_fp_ieee_invalid_op 0
		.amdhsa_exception_fp_denorm_src 0
		.amdhsa_exception_fp_ieee_div_zero 0
		.amdhsa_exception_fp_ieee_overflow 0
		.amdhsa_exception_fp_ieee_underflow 0
		.amdhsa_exception_fp_ieee_inexact 0
		.amdhsa_exception_int_div_zero 0
	.end_amdhsa_kernel
	.section	.text._ZN7rocprim17ROCPRIM_400000_NS6detail17trampoline_kernelINS0_14default_configENS1_36segmented_radix_sort_config_selectorIflEEZNS1_25segmented_radix_sort_implIS3_Lb0EPKfPfPKlPlN2at6native12_GLOBAL__N_18offset_tEEE10hipError_tPvRmT1_PNSt15iterator_traitsISK_E10value_typeET2_T3_PNSL_ISQ_E10value_typeET4_jRbjT5_SW_jjP12ihipStream_tbEUlT_E_NS1_11comp_targetILNS1_3genE8ELNS1_11target_archE1030ELNS1_3gpuE2ELNS1_3repE0EEENS1_30default_config_static_selectorELNS0_4arch9wavefront6targetE0EEEvSK_,"axG",@progbits,_ZN7rocprim17ROCPRIM_400000_NS6detail17trampoline_kernelINS0_14default_configENS1_36segmented_radix_sort_config_selectorIflEEZNS1_25segmented_radix_sort_implIS3_Lb0EPKfPfPKlPlN2at6native12_GLOBAL__N_18offset_tEEE10hipError_tPvRmT1_PNSt15iterator_traitsISK_E10value_typeET2_T3_PNSL_ISQ_E10value_typeET4_jRbjT5_SW_jjP12ihipStream_tbEUlT_E_NS1_11comp_targetILNS1_3genE8ELNS1_11target_archE1030ELNS1_3gpuE2ELNS1_3repE0EEENS1_30default_config_static_selectorELNS0_4arch9wavefront6targetE0EEEvSK_,comdat
.Lfunc_end1429:
	.size	_ZN7rocprim17ROCPRIM_400000_NS6detail17trampoline_kernelINS0_14default_configENS1_36segmented_radix_sort_config_selectorIflEEZNS1_25segmented_radix_sort_implIS3_Lb0EPKfPfPKlPlN2at6native12_GLOBAL__N_18offset_tEEE10hipError_tPvRmT1_PNSt15iterator_traitsISK_E10value_typeET2_T3_PNSL_ISQ_E10value_typeET4_jRbjT5_SW_jjP12ihipStream_tbEUlT_E_NS1_11comp_targetILNS1_3genE8ELNS1_11target_archE1030ELNS1_3gpuE2ELNS1_3repE0EEENS1_30default_config_static_selectorELNS0_4arch9wavefront6targetE0EEEvSK_, .Lfunc_end1429-_ZN7rocprim17ROCPRIM_400000_NS6detail17trampoline_kernelINS0_14default_configENS1_36segmented_radix_sort_config_selectorIflEEZNS1_25segmented_radix_sort_implIS3_Lb0EPKfPfPKlPlN2at6native12_GLOBAL__N_18offset_tEEE10hipError_tPvRmT1_PNSt15iterator_traitsISK_E10value_typeET2_T3_PNSL_ISQ_E10value_typeET4_jRbjT5_SW_jjP12ihipStream_tbEUlT_E_NS1_11comp_targetILNS1_3genE8ELNS1_11target_archE1030ELNS1_3gpuE2ELNS1_3repE0EEENS1_30default_config_static_selectorELNS0_4arch9wavefront6targetE0EEEvSK_
                                        ; -- End function
	.set _ZN7rocprim17ROCPRIM_400000_NS6detail17trampoline_kernelINS0_14default_configENS1_36segmented_radix_sort_config_selectorIflEEZNS1_25segmented_radix_sort_implIS3_Lb0EPKfPfPKlPlN2at6native12_GLOBAL__N_18offset_tEEE10hipError_tPvRmT1_PNSt15iterator_traitsISK_E10value_typeET2_T3_PNSL_ISQ_E10value_typeET4_jRbjT5_SW_jjP12ihipStream_tbEUlT_E_NS1_11comp_targetILNS1_3genE8ELNS1_11target_archE1030ELNS1_3gpuE2ELNS1_3repE0EEENS1_30default_config_static_selectorELNS0_4arch9wavefront6targetE0EEEvSK_.num_vgpr, max(216, .L_ZN7rocprim17ROCPRIM_400000_NS6detail40segmented_radix_sort_single_block_helperIflLj256ELj16ELb0EE4sortIPKfPfPKlPlEEbT_T0_T1_T2_jjjjRNS3_12storage_typeE.num_vgpr)
	.set _ZN7rocprim17ROCPRIM_400000_NS6detail17trampoline_kernelINS0_14default_configENS1_36segmented_radix_sort_config_selectorIflEEZNS1_25segmented_radix_sort_implIS3_Lb0EPKfPfPKlPlN2at6native12_GLOBAL__N_18offset_tEEE10hipError_tPvRmT1_PNSt15iterator_traitsISK_E10value_typeET2_T3_PNSL_ISQ_E10value_typeET4_jRbjT5_SW_jjP12ihipStream_tbEUlT_E_NS1_11comp_targetILNS1_3genE8ELNS1_11target_archE1030ELNS1_3gpuE2ELNS1_3repE0EEENS1_30default_config_static_selectorELNS0_4arch9wavefront6targetE0EEEvSK_.num_agpr, max(0, .L_ZN7rocprim17ROCPRIM_400000_NS6detail40segmented_radix_sort_single_block_helperIflLj256ELj16ELb0EE4sortIPKfPfPKlPlEEbT_T0_T1_T2_jjjjRNS3_12storage_typeE.num_agpr)
	.set _ZN7rocprim17ROCPRIM_400000_NS6detail17trampoline_kernelINS0_14default_configENS1_36segmented_radix_sort_config_selectorIflEEZNS1_25segmented_radix_sort_implIS3_Lb0EPKfPfPKlPlN2at6native12_GLOBAL__N_18offset_tEEE10hipError_tPvRmT1_PNSt15iterator_traitsISK_E10value_typeET2_T3_PNSL_ISQ_E10value_typeET4_jRbjT5_SW_jjP12ihipStream_tbEUlT_E_NS1_11comp_targetILNS1_3genE8ELNS1_11target_archE1030ELNS1_3gpuE2ELNS1_3repE0EEENS1_30default_config_static_selectorELNS0_4arch9wavefront6targetE0EEEvSK_.numbered_sgpr, max(66, .L_ZN7rocprim17ROCPRIM_400000_NS6detail40segmented_radix_sort_single_block_helperIflLj256ELj16ELb0EE4sortIPKfPfPKlPlEEbT_T0_T1_T2_jjjjRNS3_12storage_typeE.numbered_sgpr)
	.set _ZN7rocprim17ROCPRIM_400000_NS6detail17trampoline_kernelINS0_14default_configENS1_36segmented_radix_sort_config_selectorIflEEZNS1_25segmented_radix_sort_implIS3_Lb0EPKfPfPKlPlN2at6native12_GLOBAL__N_18offset_tEEE10hipError_tPvRmT1_PNSt15iterator_traitsISK_E10value_typeET2_T3_PNSL_ISQ_E10value_typeET4_jRbjT5_SW_jjP12ihipStream_tbEUlT_E_NS1_11comp_targetILNS1_3genE8ELNS1_11target_archE1030ELNS1_3gpuE2ELNS1_3repE0EEENS1_30default_config_static_selectorELNS0_4arch9wavefront6targetE0EEEvSK_.num_named_barrier, max(0, .L_ZN7rocprim17ROCPRIM_400000_NS6detail40segmented_radix_sort_single_block_helperIflLj256ELj16ELb0EE4sortIPKfPfPKlPlEEbT_T0_T1_T2_jjjjRNS3_12storage_typeE.num_named_barrier)
	.set _ZN7rocprim17ROCPRIM_400000_NS6detail17trampoline_kernelINS0_14default_configENS1_36segmented_radix_sort_config_selectorIflEEZNS1_25segmented_radix_sort_implIS3_Lb0EPKfPfPKlPlN2at6native12_GLOBAL__N_18offset_tEEE10hipError_tPvRmT1_PNSt15iterator_traitsISK_E10value_typeET2_T3_PNSL_ISQ_E10value_typeET4_jRbjT5_SW_jjP12ihipStream_tbEUlT_E_NS1_11comp_targetILNS1_3genE8ELNS1_11target_archE1030ELNS1_3gpuE2ELNS1_3repE0EEENS1_30default_config_static_selectorELNS0_4arch9wavefront6targetE0EEEvSK_.private_seg_size, 0+max(.L_ZN7rocprim17ROCPRIM_400000_NS6detail40segmented_radix_sort_single_block_helperIflLj256ELj16ELb0EE4sortIPKfPfPKlPlEEbT_T0_T1_T2_jjjjRNS3_12storage_typeE.private_seg_size)
	.set _ZN7rocprim17ROCPRIM_400000_NS6detail17trampoline_kernelINS0_14default_configENS1_36segmented_radix_sort_config_selectorIflEEZNS1_25segmented_radix_sort_implIS3_Lb0EPKfPfPKlPlN2at6native12_GLOBAL__N_18offset_tEEE10hipError_tPvRmT1_PNSt15iterator_traitsISK_E10value_typeET2_T3_PNSL_ISQ_E10value_typeET4_jRbjT5_SW_jjP12ihipStream_tbEUlT_E_NS1_11comp_targetILNS1_3genE8ELNS1_11target_archE1030ELNS1_3gpuE2ELNS1_3repE0EEENS1_30default_config_static_selectorELNS0_4arch9wavefront6targetE0EEEvSK_.uses_vcc, or(1, .L_ZN7rocprim17ROCPRIM_400000_NS6detail40segmented_radix_sort_single_block_helperIflLj256ELj16ELb0EE4sortIPKfPfPKlPlEEbT_T0_T1_T2_jjjjRNS3_12storage_typeE.uses_vcc)
	.set _ZN7rocprim17ROCPRIM_400000_NS6detail17trampoline_kernelINS0_14default_configENS1_36segmented_radix_sort_config_selectorIflEEZNS1_25segmented_radix_sort_implIS3_Lb0EPKfPfPKlPlN2at6native12_GLOBAL__N_18offset_tEEE10hipError_tPvRmT1_PNSt15iterator_traitsISK_E10value_typeET2_T3_PNSL_ISQ_E10value_typeET4_jRbjT5_SW_jjP12ihipStream_tbEUlT_E_NS1_11comp_targetILNS1_3genE8ELNS1_11target_archE1030ELNS1_3gpuE2ELNS1_3repE0EEENS1_30default_config_static_selectorELNS0_4arch9wavefront6targetE0EEEvSK_.uses_flat_scratch, or(0, .L_ZN7rocprim17ROCPRIM_400000_NS6detail40segmented_radix_sort_single_block_helperIflLj256ELj16ELb0EE4sortIPKfPfPKlPlEEbT_T0_T1_T2_jjjjRNS3_12storage_typeE.uses_flat_scratch)
	.set _ZN7rocprim17ROCPRIM_400000_NS6detail17trampoline_kernelINS0_14default_configENS1_36segmented_radix_sort_config_selectorIflEEZNS1_25segmented_radix_sort_implIS3_Lb0EPKfPfPKlPlN2at6native12_GLOBAL__N_18offset_tEEE10hipError_tPvRmT1_PNSt15iterator_traitsISK_E10value_typeET2_T3_PNSL_ISQ_E10value_typeET4_jRbjT5_SW_jjP12ihipStream_tbEUlT_E_NS1_11comp_targetILNS1_3genE8ELNS1_11target_archE1030ELNS1_3gpuE2ELNS1_3repE0EEENS1_30default_config_static_selectorELNS0_4arch9wavefront6targetE0EEEvSK_.has_dyn_sized_stack, or(0, .L_ZN7rocprim17ROCPRIM_400000_NS6detail40segmented_radix_sort_single_block_helperIflLj256ELj16ELb0EE4sortIPKfPfPKlPlEEbT_T0_T1_T2_jjjjRNS3_12storage_typeE.has_dyn_sized_stack)
	.set _ZN7rocprim17ROCPRIM_400000_NS6detail17trampoline_kernelINS0_14default_configENS1_36segmented_radix_sort_config_selectorIflEEZNS1_25segmented_radix_sort_implIS3_Lb0EPKfPfPKlPlN2at6native12_GLOBAL__N_18offset_tEEE10hipError_tPvRmT1_PNSt15iterator_traitsISK_E10value_typeET2_T3_PNSL_ISQ_E10value_typeET4_jRbjT5_SW_jjP12ihipStream_tbEUlT_E_NS1_11comp_targetILNS1_3genE8ELNS1_11target_archE1030ELNS1_3gpuE2ELNS1_3repE0EEENS1_30default_config_static_selectorELNS0_4arch9wavefront6targetE0EEEvSK_.has_recursion, or(0, .L_ZN7rocprim17ROCPRIM_400000_NS6detail40segmented_radix_sort_single_block_helperIflLj256ELj16ELb0EE4sortIPKfPfPKlPlEEbT_T0_T1_T2_jjjjRNS3_12storage_typeE.has_recursion)
	.set _ZN7rocprim17ROCPRIM_400000_NS6detail17trampoline_kernelINS0_14default_configENS1_36segmented_radix_sort_config_selectorIflEEZNS1_25segmented_radix_sort_implIS3_Lb0EPKfPfPKlPlN2at6native12_GLOBAL__N_18offset_tEEE10hipError_tPvRmT1_PNSt15iterator_traitsISK_E10value_typeET2_T3_PNSL_ISQ_E10value_typeET4_jRbjT5_SW_jjP12ihipStream_tbEUlT_E_NS1_11comp_targetILNS1_3genE8ELNS1_11target_archE1030ELNS1_3gpuE2ELNS1_3repE0EEENS1_30default_config_static_selectorELNS0_4arch9wavefront6targetE0EEEvSK_.has_indirect_call, or(0, .L_ZN7rocprim17ROCPRIM_400000_NS6detail40segmented_radix_sort_single_block_helperIflLj256ELj16ELb0EE4sortIPKfPfPKlPlEEbT_T0_T1_T2_jjjjRNS3_12storage_typeE.has_indirect_call)
	.section	.AMDGPU.csdata,"",@progbits
; Kernel info:
; codeLenInByte = 67724
; TotalNumSgprs: 68
; NumVgprs: 248
; ScratchSize: 68
; MemoryBound: 0
; FloatMode: 240
; IeeeMode: 1
; LDSByteSize: 33296 bytes/workgroup (compile time only)
; SGPRBlocks: 0
; VGPRBlocks: 30
; NumSGPRsForWavesPerEU: 68
; NumVGPRsForWavesPerEU: 248
; Occupancy: 4
; WaveLimiterHint : 1
; COMPUTE_PGM_RSRC2:SCRATCH_EN: 1
; COMPUTE_PGM_RSRC2:USER_SGPR: 6
; COMPUTE_PGM_RSRC2:TRAP_HANDLER: 0
; COMPUTE_PGM_RSRC2:TGID_X_EN: 1
; COMPUTE_PGM_RSRC2:TGID_Y_EN: 1
; COMPUTE_PGM_RSRC2:TGID_Z_EN: 0
; COMPUTE_PGM_RSRC2:TIDIG_COMP_CNT: 2
	.section	.text._ZN7rocprim17ROCPRIM_400000_NS6detail17trampoline_kernelINS0_14default_configENS1_36segmented_radix_sort_config_selectorIflEEZNS1_25segmented_radix_sort_implIS3_Lb0EPKfPfPKlPlN2at6native12_GLOBAL__N_18offset_tEEE10hipError_tPvRmT1_PNSt15iterator_traitsISK_E10value_typeET2_T3_PNSL_ISQ_E10value_typeET4_jRbjT5_SW_jjP12ihipStream_tbEUlT_E0_NS1_11comp_targetILNS1_3genE0ELNS1_11target_archE4294967295ELNS1_3gpuE0ELNS1_3repE0EEENS1_60segmented_radix_sort_warp_sort_medium_config_static_selectorELNS0_4arch9wavefront6targetE0EEEvSK_,"axG",@progbits,_ZN7rocprim17ROCPRIM_400000_NS6detail17trampoline_kernelINS0_14default_configENS1_36segmented_radix_sort_config_selectorIflEEZNS1_25segmented_radix_sort_implIS3_Lb0EPKfPfPKlPlN2at6native12_GLOBAL__N_18offset_tEEE10hipError_tPvRmT1_PNSt15iterator_traitsISK_E10value_typeET2_T3_PNSL_ISQ_E10value_typeET4_jRbjT5_SW_jjP12ihipStream_tbEUlT_E0_NS1_11comp_targetILNS1_3genE0ELNS1_11target_archE4294967295ELNS1_3gpuE0ELNS1_3repE0EEENS1_60segmented_radix_sort_warp_sort_medium_config_static_selectorELNS0_4arch9wavefront6targetE0EEEvSK_,comdat
	.globl	_ZN7rocprim17ROCPRIM_400000_NS6detail17trampoline_kernelINS0_14default_configENS1_36segmented_radix_sort_config_selectorIflEEZNS1_25segmented_radix_sort_implIS3_Lb0EPKfPfPKlPlN2at6native12_GLOBAL__N_18offset_tEEE10hipError_tPvRmT1_PNSt15iterator_traitsISK_E10value_typeET2_T3_PNSL_ISQ_E10value_typeET4_jRbjT5_SW_jjP12ihipStream_tbEUlT_E0_NS1_11comp_targetILNS1_3genE0ELNS1_11target_archE4294967295ELNS1_3gpuE0ELNS1_3repE0EEENS1_60segmented_radix_sort_warp_sort_medium_config_static_selectorELNS0_4arch9wavefront6targetE0EEEvSK_ ; -- Begin function _ZN7rocprim17ROCPRIM_400000_NS6detail17trampoline_kernelINS0_14default_configENS1_36segmented_radix_sort_config_selectorIflEEZNS1_25segmented_radix_sort_implIS3_Lb0EPKfPfPKlPlN2at6native12_GLOBAL__N_18offset_tEEE10hipError_tPvRmT1_PNSt15iterator_traitsISK_E10value_typeET2_T3_PNSL_ISQ_E10value_typeET4_jRbjT5_SW_jjP12ihipStream_tbEUlT_E0_NS1_11comp_targetILNS1_3genE0ELNS1_11target_archE4294967295ELNS1_3gpuE0ELNS1_3repE0EEENS1_60segmented_radix_sort_warp_sort_medium_config_static_selectorELNS0_4arch9wavefront6targetE0EEEvSK_
	.p2align	8
	.type	_ZN7rocprim17ROCPRIM_400000_NS6detail17trampoline_kernelINS0_14default_configENS1_36segmented_radix_sort_config_selectorIflEEZNS1_25segmented_radix_sort_implIS3_Lb0EPKfPfPKlPlN2at6native12_GLOBAL__N_18offset_tEEE10hipError_tPvRmT1_PNSt15iterator_traitsISK_E10value_typeET2_T3_PNSL_ISQ_E10value_typeET4_jRbjT5_SW_jjP12ihipStream_tbEUlT_E0_NS1_11comp_targetILNS1_3genE0ELNS1_11target_archE4294967295ELNS1_3gpuE0ELNS1_3repE0EEENS1_60segmented_radix_sort_warp_sort_medium_config_static_selectorELNS0_4arch9wavefront6targetE0EEEvSK_,@function
_ZN7rocprim17ROCPRIM_400000_NS6detail17trampoline_kernelINS0_14default_configENS1_36segmented_radix_sort_config_selectorIflEEZNS1_25segmented_radix_sort_implIS3_Lb0EPKfPfPKlPlN2at6native12_GLOBAL__N_18offset_tEEE10hipError_tPvRmT1_PNSt15iterator_traitsISK_E10value_typeET2_T3_PNSL_ISQ_E10value_typeET4_jRbjT5_SW_jjP12ihipStream_tbEUlT_E0_NS1_11comp_targetILNS1_3genE0ELNS1_11target_archE4294967295ELNS1_3gpuE0ELNS1_3repE0EEENS1_60segmented_radix_sort_warp_sort_medium_config_static_selectorELNS0_4arch9wavefront6targetE0EEEvSK_: ; @_ZN7rocprim17ROCPRIM_400000_NS6detail17trampoline_kernelINS0_14default_configENS1_36segmented_radix_sort_config_selectorIflEEZNS1_25segmented_radix_sort_implIS3_Lb0EPKfPfPKlPlN2at6native12_GLOBAL__N_18offset_tEEE10hipError_tPvRmT1_PNSt15iterator_traitsISK_E10value_typeET2_T3_PNSL_ISQ_E10value_typeET4_jRbjT5_SW_jjP12ihipStream_tbEUlT_E0_NS1_11comp_targetILNS1_3genE0ELNS1_11target_archE4294967295ELNS1_3gpuE0ELNS1_3repE0EEENS1_60segmented_radix_sort_warp_sort_medium_config_static_selectorELNS0_4arch9wavefront6targetE0EEEvSK_
; %bb.0:
	.section	.rodata,"a",@progbits
	.p2align	6, 0x0
	.amdhsa_kernel _ZN7rocprim17ROCPRIM_400000_NS6detail17trampoline_kernelINS0_14default_configENS1_36segmented_radix_sort_config_selectorIflEEZNS1_25segmented_radix_sort_implIS3_Lb0EPKfPfPKlPlN2at6native12_GLOBAL__N_18offset_tEEE10hipError_tPvRmT1_PNSt15iterator_traitsISK_E10value_typeET2_T3_PNSL_ISQ_E10value_typeET4_jRbjT5_SW_jjP12ihipStream_tbEUlT_E0_NS1_11comp_targetILNS1_3genE0ELNS1_11target_archE4294967295ELNS1_3gpuE0ELNS1_3repE0EEENS1_60segmented_radix_sort_warp_sort_medium_config_static_selectorELNS0_4arch9wavefront6targetE0EEEvSK_
		.amdhsa_group_segment_fixed_size 0
		.amdhsa_private_segment_fixed_size 0
		.amdhsa_kernarg_size 88
		.amdhsa_user_sgpr_count 6
		.amdhsa_user_sgpr_private_segment_buffer 1
		.amdhsa_user_sgpr_dispatch_ptr 0
		.amdhsa_user_sgpr_queue_ptr 0
		.amdhsa_user_sgpr_kernarg_segment_ptr 1
		.amdhsa_user_sgpr_dispatch_id 0
		.amdhsa_user_sgpr_flat_scratch_init 0
		.amdhsa_user_sgpr_private_segment_size 0
		.amdhsa_wavefront_size32 1
		.amdhsa_uses_dynamic_stack 0
		.amdhsa_system_sgpr_private_segment_wavefront_offset 0
		.amdhsa_system_sgpr_workgroup_id_x 1
		.amdhsa_system_sgpr_workgroup_id_y 0
		.amdhsa_system_sgpr_workgroup_id_z 0
		.amdhsa_system_sgpr_workgroup_info 0
		.amdhsa_system_vgpr_workitem_id 0
		.amdhsa_next_free_vgpr 1
		.amdhsa_next_free_sgpr 1
		.amdhsa_reserve_vcc 0
		.amdhsa_reserve_flat_scratch 0
		.amdhsa_float_round_mode_32 0
		.amdhsa_float_round_mode_16_64 0
		.amdhsa_float_denorm_mode_32 3
		.amdhsa_float_denorm_mode_16_64 3
		.amdhsa_dx10_clamp 1
		.amdhsa_ieee_mode 1
		.amdhsa_fp16_overflow 0
		.amdhsa_workgroup_processor_mode 1
		.amdhsa_memory_ordered 1
		.amdhsa_forward_progress 1
		.amdhsa_shared_vgpr_count 0
		.amdhsa_exception_fp_ieee_invalid_op 0
		.amdhsa_exception_fp_denorm_src 0
		.amdhsa_exception_fp_ieee_div_zero 0
		.amdhsa_exception_fp_ieee_overflow 0
		.amdhsa_exception_fp_ieee_underflow 0
		.amdhsa_exception_fp_ieee_inexact 0
		.amdhsa_exception_int_div_zero 0
	.end_amdhsa_kernel
	.section	.text._ZN7rocprim17ROCPRIM_400000_NS6detail17trampoline_kernelINS0_14default_configENS1_36segmented_radix_sort_config_selectorIflEEZNS1_25segmented_radix_sort_implIS3_Lb0EPKfPfPKlPlN2at6native12_GLOBAL__N_18offset_tEEE10hipError_tPvRmT1_PNSt15iterator_traitsISK_E10value_typeET2_T3_PNSL_ISQ_E10value_typeET4_jRbjT5_SW_jjP12ihipStream_tbEUlT_E0_NS1_11comp_targetILNS1_3genE0ELNS1_11target_archE4294967295ELNS1_3gpuE0ELNS1_3repE0EEENS1_60segmented_radix_sort_warp_sort_medium_config_static_selectorELNS0_4arch9wavefront6targetE0EEEvSK_,"axG",@progbits,_ZN7rocprim17ROCPRIM_400000_NS6detail17trampoline_kernelINS0_14default_configENS1_36segmented_radix_sort_config_selectorIflEEZNS1_25segmented_radix_sort_implIS3_Lb0EPKfPfPKlPlN2at6native12_GLOBAL__N_18offset_tEEE10hipError_tPvRmT1_PNSt15iterator_traitsISK_E10value_typeET2_T3_PNSL_ISQ_E10value_typeET4_jRbjT5_SW_jjP12ihipStream_tbEUlT_E0_NS1_11comp_targetILNS1_3genE0ELNS1_11target_archE4294967295ELNS1_3gpuE0ELNS1_3repE0EEENS1_60segmented_radix_sort_warp_sort_medium_config_static_selectorELNS0_4arch9wavefront6targetE0EEEvSK_,comdat
.Lfunc_end1430:
	.size	_ZN7rocprim17ROCPRIM_400000_NS6detail17trampoline_kernelINS0_14default_configENS1_36segmented_radix_sort_config_selectorIflEEZNS1_25segmented_radix_sort_implIS3_Lb0EPKfPfPKlPlN2at6native12_GLOBAL__N_18offset_tEEE10hipError_tPvRmT1_PNSt15iterator_traitsISK_E10value_typeET2_T3_PNSL_ISQ_E10value_typeET4_jRbjT5_SW_jjP12ihipStream_tbEUlT_E0_NS1_11comp_targetILNS1_3genE0ELNS1_11target_archE4294967295ELNS1_3gpuE0ELNS1_3repE0EEENS1_60segmented_radix_sort_warp_sort_medium_config_static_selectorELNS0_4arch9wavefront6targetE0EEEvSK_, .Lfunc_end1430-_ZN7rocprim17ROCPRIM_400000_NS6detail17trampoline_kernelINS0_14default_configENS1_36segmented_radix_sort_config_selectorIflEEZNS1_25segmented_radix_sort_implIS3_Lb0EPKfPfPKlPlN2at6native12_GLOBAL__N_18offset_tEEE10hipError_tPvRmT1_PNSt15iterator_traitsISK_E10value_typeET2_T3_PNSL_ISQ_E10value_typeET4_jRbjT5_SW_jjP12ihipStream_tbEUlT_E0_NS1_11comp_targetILNS1_3genE0ELNS1_11target_archE4294967295ELNS1_3gpuE0ELNS1_3repE0EEENS1_60segmented_radix_sort_warp_sort_medium_config_static_selectorELNS0_4arch9wavefront6targetE0EEEvSK_
                                        ; -- End function
	.set _ZN7rocprim17ROCPRIM_400000_NS6detail17trampoline_kernelINS0_14default_configENS1_36segmented_radix_sort_config_selectorIflEEZNS1_25segmented_radix_sort_implIS3_Lb0EPKfPfPKlPlN2at6native12_GLOBAL__N_18offset_tEEE10hipError_tPvRmT1_PNSt15iterator_traitsISK_E10value_typeET2_T3_PNSL_ISQ_E10value_typeET4_jRbjT5_SW_jjP12ihipStream_tbEUlT_E0_NS1_11comp_targetILNS1_3genE0ELNS1_11target_archE4294967295ELNS1_3gpuE0ELNS1_3repE0EEENS1_60segmented_radix_sort_warp_sort_medium_config_static_selectorELNS0_4arch9wavefront6targetE0EEEvSK_.num_vgpr, 0
	.set _ZN7rocprim17ROCPRIM_400000_NS6detail17trampoline_kernelINS0_14default_configENS1_36segmented_radix_sort_config_selectorIflEEZNS1_25segmented_radix_sort_implIS3_Lb0EPKfPfPKlPlN2at6native12_GLOBAL__N_18offset_tEEE10hipError_tPvRmT1_PNSt15iterator_traitsISK_E10value_typeET2_T3_PNSL_ISQ_E10value_typeET4_jRbjT5_SW_jjP12ihipStream_tbEUlT_E0_NS1_11comp_targetILNS1_3genE0ELNS1_11target_archE4294967295ELNS1_3gpuE0ELNS1_3repE0EEENS1_60segmented_radix_sort_warp_sort_medium_config_static_selectorELNS0_4arch9wavefront6targetE0EEEvSK_.num_agpr, 0
	.set _ZN7rocprim17ROCPRIM_400000_NS6detail17trampoline_kernelINS0_14default_configENS1_36segmented_radix_sort_config_selectorIflEEZNS1_25segmented_radix_sort_implIS3_Lb0EPKfPfPKlPlN2at6native12_GLOBAL__N_18offset_tEEE10hipError_tPvRmT1_PNSt15iterator_traitsISK_E10value_typeET2_T3_PNSL_ISQ_E10value_typeET4_jRbjT5_SW_jjP12ihipStream_tbEUlT_E0_NS1_11comp_targetILNS1_3genE0ELNS1_11target_archE4294967295ELNS1_3gpuE0ELNS1_3repE0EEENS1_60segmented_radix_sort_warp_sort_medium_config_static_selectorELNS0_4arch9wavefront6targetE0EEEvSK_.numbered_sgpr, 0
	.set _ZN7rocprim17ROCPRIM_400000_NS6detail17trampoline_kernelINS0_14default_configENS1_36segmented_radix_sort_config_selectorIflEEZNS1_25segmented_radix_sort_implIS3_Lb0EPKfPfPKlPlN2at6native12_GLOBAL__N_18offset_tEEE10hipError_tPvRmT1_PNSt15iterator_traitsISK_E10value_typeET2_T3_PNSL_ISQ_E10value_typeET4_jRbjT5_SW_jjP12ihipStream_tbEUlT_E0_NS1_11comp_targetILNS1_3genE0ELNS1_11target_archE4294967295ELNS1_3gpuE0ELNS1_3repE0EEENS1_60segmented_radix_sort_warp_sort_medium_config_static_selectorELNS0_4arch9wavefront6targetE0EEEvSK_.num_named_barrier, 0
	.set _ZN7rocprim17ROCPRIM_400000_NS6detail17trampoline_kernelINS0_14default_configENS1_36segmented_radix_sort_config_selectorIflEEZNS1_25segmented_radix_sort_implIS3_Lb0EPKfPfPKlPlN2at6native12_GLOBAL__N_18offset_tEEE10hipError_tPvRmT1_PNSt15iterator_traitsISK_E10value_typeET2_T3_PNSL_ISQ_E10value_typeET4_jRbjT5_SW_jjP12ihipStream_tbEUlT_E0_NS1_11comp_targetILNS1_3genE0ELNS1_11target_archE4294967295ELNS1_3gpuE0ELNS1_3repE0EEENS1_60segmented_radix_sort_warp_sort_medium_config_static_selectorELNS0_4arch9wavefront6targetE0EEEvSK_.private_seg_size, 0
	.set _ZN7rocprim17ROCPRIM_400000_NS6detail17trampoline_kernelINS0_14default_configENS1_36segmented_radix_sort_config_selectorIflEEZNS1_25segmented_radix_sort_implIS3_Lb0EPKfPfPKlPlN2at6native12_GLOBAL__N_18offset_tEEE10hipError_tPvRmT1_PNSt15iterator_traitsISK_E10value_typeET2_T3_PNSL_ISQ_E10value_typeET4_jRbjT5_SW_jjP12ihipStream_tbEUlT_E0_NS1_11comp_targetILNS1_3genE0ELNS1_11target_archE4294967295ELNS1_3gpuE0ELNS1_3repE0EEENS1_60segmented_radix_sort_warp_sort_medium_config_static_selectorELNS0_4arch9wavefront6targetE0EEEvSK_.uses_vcc, 0
	.set _ZN7rocprim17ROCPRIM_400000_NS6detail17trampoline_kernelINS0_14default_configENS1_36segmented_radix_sort_config_selectorIflEEZNS1_25segmented_radix_sort_implIS3_Lb0EPKfPfPKlPlN2at6native12_GLOBAL__N_18offset_tEEE10hipError_tPvRmT1_PNSt15iterator_traitsISK_E10value_typeET2_T3_PNSL_ISQ_E10value_typeET4_jRbjT5_SW_jjP12ihipStream_tbEUlT_E0_NS1_11comp_targetILNS1_3genE0ELNS1_11target_archE4294967295ELNS1_3gpuE0ELNS1_3repE0EEENS1_60segmented_radix_sort_warp_sort_medium_config_static_selectorELNS0_4arch9wavefront6targetE0EEEvSK_.uses_flat_scratch, 0
	.set _ZN7rocprim17ROCPRIM_400000_NS6detail17trampoline_kernelINS0_14default_configENS1_36segmented_radix_sort_config_selectorIflEEZNS1_25segmented_radix_sort_implIS3_Lb0EPKfPfPKlPlN2at6native12_GLOBAL__N_18offset_tEEE10hipError_tPvRmT1_PNSt15iterator_traitsISK_E10value_typeET2_T3_PNSL_ISQ_E10value_typeET4_jRbjT5_SW_jjP12ihipStream_tbEUlT_E0_NS1_11comp_targetILNS1_3genE0ELNS1_11target_archE4294967295ELNS1_3gpuE0ELNS1_3repE0EEENS1_60segmented_radix_sort_warp_sort_medium_config_static_selectorELNS0_4arch9wavefront6targetE0EEEvSK_.has_dyn_sized_stack, 0
	.set _ZN7rocprim17ROCPRIM_400000_NS6detail17trampoline_kernelINS0_14default_configENS1_36segmented_radix_sort_config_selectorIflEEZNS1_25segmented_radix_sort_implIS3_Lb0EPKfPfPKlPlN2at6native12_GLOBAL__N_18offset_tEEE10hipError_tPvRmT1_PNSt15iterator_traitsISK_E10value_typeET2_T3_PNSL_ISQ_E10value_typeET4_jRbjT5_SW_jjP12ihipStream_tbEUlT_E0_NS1_11comp_targetILNS1_3genE0ELNS1_11target_archE4294967295ELNS1_3gpuE0ELNS1_3repE0EEENS1_60segmented_radix_sort_warp_sort_medium_config_static_selectorELNS0_4arch9wavefront6targetE0EEEvSK_.has_recursion, 0
	.set _ZN7rocprim17ROCPRIM_400000_NS6detail17trampoline_kernelINS0_14default_configENS1_36segmented_radix_sort_config_selectorIflEEZNS1_25segmented_radix_sort_implIS3_Lb0EPKfPfPKlPlN2at6native12_GLOBAL__N_18offset_tEEE10hipError_tPvRmT1_PNSt15iterator_traitsISK_E10value_typeET2_T3_PNSL_ISQ_E10value_typeET4_jRbjT5_SW_jjP12ihipStream_tbEUlT_E0_NS1_11comp_targetILNS1_3genE0ELNS1_11target_archE4294967295ELNS1_3gpuE0ELNS1_3repE0EEENS1_60segmented_radix_sort_warp_sort_medium_config_static_selectorELNS0_4arch9wavefront6targetE0EEEvSK_.has_indirect_call, 0
	.section	.AMDGPU.csdata,"",@progbits
; Kernel info:
; codeLenInByte = 0
; TotalNumSgprs: 0
; NumVgprs: 0
; ScratchSize: 0
; MemoryBound: 0
; FloatMode: 240
; IeeeMode: 1
; LDSByteSize: 0 bytes/workgroup (compile time only)
; SGPRBlocks: 0
; VGPRBlocks: 0
; NumSGPRsForWavesPerEU: 1
; NumVGPRsForWavesPerEU: 1
; Occupancy: 16
; WaveLimiterHint : 0
; COMPUTE_PGM_RSRC2:SCRATCH_EN: 0
; COMPUTE_PGM_RSRC2:USER_SGPR: 6
; COMPUTE_PGM_RSRC2:TRAP_HANDLER: 0
; COMPUTE_PGM_RSRC2:TGID_X_EN: 1
; COMPUTE_PGM_RSRC2:TGID_Y_EN: 0
; COMPUTE_PGM_RSRC2:TGID_Z_EN: 0
; COMPUTE_PGM_RSRC2:TIDIG_COMP_CNT: 0
	.section	.text._ZN7rocprim17ROCPRIM_400000_NS6detail17trampoline_kernelINS0_14default_configENS1_36segmented_radix_sort_config_selectorIflEEZNS1_25segmented_radix_sort_implIS3_Lb0EPKfPfPKlPlN2at6native12_GLOBAL__N_18offset_tEEE10hipError_tPvRmT1_PNSt15iterator_traitsISK_E10value_typeET2_T3_PNSL_ISQ_E10value_typeET4_jRbjT5_SW_jjP12ihipStream_tbEUlT_E0_NS1_11comp_targetILNS1_3genE5ELNS1_11target_archE942ELNS1_3gpuE9ELNS1_3repE0EEENS1_60segmented_radix_sort_warp_sort_medium_config_static_selectorELNS0_4arch9wavefront6targetE0EEEvSK_,"axG",@progbits,_ZN7rocprim17ROCPRIM_400000_NS6detail17trampoline_kernelINS0_14default_configENS1_36segmented_radix_sort_config_selectorIflEEZNS1_25segmented_radix_sort_implIS3_Lb0EPKfPfPKlPlN2at6native12_GLOBAL__N_18offset_tEEE10hipError_tPvRmT1_PNSt15iterator_traitsISK_E10value_typeET2_T3_PNSL_ISQ_E10value_typeET4_jRbjT5_SW_jjP12ihipStream_tbEUlT_E0_NS1_11comp_targetILNS1_3genE5ELNS1_11target_archE942ELNS1_3gpuE9ELNS1_3repE0EEENS1_60segmented_radix_sort_warp_sort_medium_config_static_selectorELNS0_4arch9wavefront6targetE0EEEvSK_,comdat
	.globl	_ZN7rocprim17ROCPRIM_400000_NS6detail17trampoline_kernelINS0_14default_configENS1_36segmented_radix_sort_config_selectorIflEEZNS1_25segmented_radix_sort_implIS3_Lb0EPKfPfPKlPlN2at6native12_GLOBAL__N_18offset_tEEE10hipError_tPvRmT1_PNSt15iterator_traitsISK_E10value_typeET2_T3_PNSL_ISQ_E10value_typeET4_jRbjT5_SW_jjP12ihipStream_tbEUlT_E0_NS1_11comp_targetILNS1_3genE5ELNS1_11target_archE942ELNS1_3gpuE9ELNS1_3repE0EEENS1_60segmented_radix_sort_warp_sort_medium_config_static_selectorELNS0_4arch9wavefront6targetE0EEEvSK_ ; -- Begin function _ZN7rocprim17ROCPRIM_400000_NS6detail17trampoline_kernelINS0_14default_configENS1_36segmented_radix_sort_config_selectorIflEEZNS1_25segmented_radix_sort_implIS3_Lb0EPKfPfPKlPlN2at6native12_GLOBAL__N_18offset_tEEE10hipError_tPvRmT1_PNSt15iterator_traitsISK_E10value_typeET2_T3_PNSL_ISQ_E10value_typeET4_jRbjT5_SW_jjP12ihipStream_tbEUlT_E0_NS1_11comp_targetILNS1_3genE5ELNS1_11target_archE942ELNS1_3gpuE9ELNS1_3repE0EEENS1_60segmented_radix_sort_warp_sort_medium_config_static_selectorELNS0_4arch9wavefront6targetE0EEEvSK_
	.p2align	8
	.type	_ZN7rocprim17ROCPRIM_400000_NS6detail17trampoline_kernelINS0_14default_configENS1_36segmented_radix_sort_config_selectorIflEEZNS1_25segmented_radix_sort_implIS3_Lb0EPKfPfPKlPlN2at6native12_GLOBAL__N_18offset_tEEE10hipError_tPvRmT1_PNSt15iterator_traitsISK_E10value_typeET2_T3_PNSL_ISQ_E10value_typeET4_jRbjT5_SW_jjP12ihipStream_tbEUlT_E0_NS1_11comp_targetILNS1_3genE5ELNS1_11target_archE942ELNS1_3gpuE9ELNS1_3repE0EEENS1_60segmented_radix_sort_warp_sort_medium_config_static_selectorELNS0_4arch9wavefront6targetE0EEEvSK_,@function
_ZN7rocprim17ROCPRIM_400000_NS6detail17trampoline_kernelINS0_14default_configENS1_36segmented_radix_sort_config_selectorIflEEZNS1_25segmented_radix_sort_implIS3_Lb0EPKfPfPKlPlN2at6native12_GLOBAL__N_18offset_tEEE10hipError_tPvRmT1_PNSt15iterator_traitsISK_E10value_typeET2_T3_PNSL_ISQ_E10value_typeET4_jRbjT5_SW_jjP12ihipStream_tbEUlT_E0_NS1_11comp_targetILNS1_3genE5ELNS1_11target_archE942ELNS1_3gpuE9ELNS1_3repE0EEENS1_60segmented_radix_sort_warp_sort_medium_config_static_selectorELNS0_4arch9wavefront6targetE0EEEvSK_: ; @_ZN7rocprim17ROCPRIM_400000_NS6detail17trampoline_kernelINS0_14default_configENS1_36segmented_radix_sort_config_selectorIflEEZNS1_25segmented_radix_sort_implIS3_Lb0EPKfPfPKlPlN2at6native12_GLOBAL__N_18offset_tEEE10hipError_tPvRmT1_PNSt15iterator_traitsISK_E10value_typeET2_T3_PNSL_ISQ_E10value_typeET4_jRbjT5_SW_jjP12ihipStream_tbEUlT_E0_NS1_11comp_targetILNS1_3genE5ELNS1_11target_archE942ELNS1_3gpuE9ELNS1_3repE0EEENS1_60segmented_radix_sort_warp_sort_medium_config_static_selectorELNS0_4arch9wavefront6targetE0EEEvSK_
; %bb.0:
	.section	.rodata,"a",@progbits
	.p2align	6, 0x0
	.amdhsa_kernel _ZN7rocprim17ROCPRIM_400000_NS6detail17trampoline_kernelINS0_14default_configENS1_36segmented_radix_sort_config_selectorIflEEZNS1_25segmented_radix_sort_implIS3_Lb0EPKfPfPKlPlN2at6native12_GLOBAL__N_18offset_tEEE10hipError_tPvRmT1_PNSt15iterator_traitsISK_E10value_typeET2_T3_PNSL_ISQ_E10value_typeET4_jRbjT5_SW_jjP12ihipStream_tbEUlT_E0_NS1_11comp_targetILNS1_3genE5ELNS1_11target_archE942ELNS1_3gpuE9ELNS1_3repE0EEENS1_60segmented_radix_sort_warp_sort_medium_config_static_selectorELNS0_4arch9wavefront6targetE0EEEvSK_
		.amdhsa_group_segment_fixed_size 0
		.amdhsa_private_segment_fixed_size 0
		.amdhsa_kernarg_size 88
		.amdhsa_user_sgpr_count 6
		.amdhsa_user_sgpr_private_segment_buffer 1
		.amdhsa_user_sgpr_dispatch_ptr 0
		.amdhsa_user_sgpr_queue_ptr 0
		.amdhsa_user_sgpr_kernarg_segment_ptr 1
		.amdhsa_user_sgpr_dispatch_id 0
		.amdhsa_user_sgpr_flat_scratch_init 0
		.amdhsa_user_sgpr_private_segment_size 0
		.amdhsa_wavefront_size32 1
		.amdhsa_uses_dynamic_stack 0
		.amdhsa_system_sgpr_private_segment_wavefront_offset 0
		.amdhsa_system_sgpr_workgroup_id_x 1
		.amdhsa_system_sgpr_workgroup_id_y 0
		.amdhsa_system_sgpr_workgroup_id_z 0
		.amdhsa_system_sgpr_workgroup_info 0
		.amdhsa_system_vgpr_workitem_id 0
		.amdhsa_next_free_vgpr 1
		.amdhsa_next_free_sgpr 1
		.amdhsa_reserve_vcc 0
		.amdhsa_reserve_flat_scratch 0
		.amdhsa_float_round_mode_32 0
		.amdhsa_float_round_mode_16_64 0
		.amdhsa_float_denorm_mode_32 3
		.amdhsa_float_denorm_mode_16_64 3
		.amdhsa_dx10_clamp 1
		.amdhsa_ieee_mode 1
		.amdhsa_fp16_overflow 0
		.amdhsa_workgroup_processor_mode 1
		.amdhsa_memory_ordered 1
		.amdhsa_forward_progress 1
		.amdhsa_shared_vgpr_count 0
		.amdhsa_exception_fp_ieee_invalid_op 0
		.amdhsa_exception_fp_denorm_src 0
		.amdhsa_exception_fp_ieee_div_zero 0
		.amdhsa_exception_fp_ieee_overflow 0
		.amdhsa_exception_fp_ieee_underflow 0
		.amdhsa_exception_fp_ieee_inexact 0
		.amdhsa_exception_int_div_zero 0
	.end_amdhsa_kernel
	.section	.text._ZN7rocprim17ROCPRIM_400000_NS6detail17trampoline_kernelINS0_14default_configENS1_36segmented_radix_sort_config_selectorIflEEZNS1_25segmented_radix_sort_implIS3_Lb0EPKfPfPKlPlN2at6native12_GLOBAL__N_18offset_tEEE10hipError_tPvRmT1_PNSt15iterator_traitsISK_E10value_typeET2_T3_PNSL_ISQ_E10value_typeET4_jRbjT5_SW_jjP12ihipStream_tbEUlT_E0_NS1_11comp_targetILNS1_3genE5ELNS1_11target_archE942ELNS1_3gpuE9ELNS1_3repE0EEENS1_60segmented_radix_sort_warp_sort_medium_config_static_selectorELNS0_4arch9wavefront6targetE0EEEvSK_,"axG",@progbits,_ZN7rocprim17ROCPRIM_400000_NS6detail17trampoline_kernelINS0_14default_configENS1_36segmented_radix_sort_config_selectorIflEEZNS1_25segmented_radix_sort_implIS3_Lb0EPKfPfPKlPlN2at6native12_GLOBAL__N_18offset_tEEE10hipError_tPvRmT1_PNSt15iterator_traitsISK_E10value_typeET2_T3_PNSL_ISQ_E10value_typeET4_jRbjT5_SW_jjP12ihipStream_tbEUlT_E0_NS1_11comp_targetILNS1_3genE5ELNS1_11target_archE942ELNS1_3gpuE9ELNS1_3repE0EEENS1_60segmented_radix_sort_warp_sort_medium_config_static_selectorELNS0_4arch9wavefront6targetE0EEEvSK_,comdat
.Lfunc_end1431:
	.size	_ZN7rocprim17ROCPRIM_400000_NS6detail17trampoline_kernelINS0_14default_configENS1_36segmented_radix_sort_config_selectorIflEEZNS1_25segmented_radix_sort_implIS3_Lb0EPKfPfPKlPlN2at6native12_GLOBAL__N_18offset_tEEE10hipError_tPvRmT1_PNSt15iterator_traitsISK_E10value_typeET2_T3_PNSL_ISQ_E10value_typeET4_jRbjT5_SW_jjP12ihipStream_tbEUlT_E0_NS1_11comp_targetILNS1_3genE5ELNS1_11target_archE942ELNS1_3gpuE9ELNS1_3repE0EEENS1_60segmented_radix_sort_warp_sort_medium_config_static_selectorELNS0_4arch9wavefront6targetE0EEEvSK_, .Lfunc_end1431-_ZN7rocprim17ROCPRIM_400000_NS6detail17trampoline_kernelINS0_14default_configENS1_36segmented_radix_sort_config_selectorIflEEZNS1_25segmented_radix_sort_implIS3_Lb0EPKfPfPKlPlN2at6native12_GLOBAL__N_18offset_tEEE10hipError_tPvRmT1_PNSt15iterator_traitsISK_E10value_typeET2_T3_PNSL_ISQ_E10value_typeET4_jRbjT5_SW_jjP12ihipStream_tbEUlT_E0_NS1_11comp_targetILNS1_3genE5ELNS1_11target_archE942ELNS1_3gpuE9ELNS1_3repE0EEENS1_60segmented_radix_sort_warp_sort_medium_config_static_selectorELNS0_4arch9wavefront6targetE0EEEvSK_
                                        ; -- End function
	.set _ZN7rocprim17ROCPRIM_400000_NS6detail17trampoline_kernelINS0_14default_configENS1_36segmented_radix_sort_config_selectorIflEEZNS1_25segmented_radix_sort_implIS3_Lb0EPKfPfPKlPlN2at6native12_GLOBAL__N_18offset_tEEE10hipError_tPvRmT1_PNSt15iterator_traitsISK_E10value_typeET2_T3_PNSL_ISQ_E10value_typeET4_jRbjT5_SW_jjP12ihipStream_tbEUlT_E0_NS1_11comp_targetILNS1_3genE5ELNS1_11target_archE942ELNS1_3gpuE9ELNS1_3repE0EEENS1_60segmented_radix_sort_warp_sort_medium_config_static_selectorELNS0_4arch9wavefront6targetE0EEEvSK_.num_vgpr, 0
	.set _ZN7rocprim17ROCPRIM_400000_NS6detail17trampoline_kernelINS0_14default_configENS1_36segmented_radix_sort_config_selectorIflEEZNS1_25segmented_radix_sort_implIS3_Lb0EPKfPfPKlPlN2at6native12_GLOBAL__N_18offset_tEEE10hipError_tPvRmT1_PNSt15iterator_traitsISK_E10value_typeET2_T3_PNSL_ISQ_E10value_typeET4_jRbjT5_SW_jjP12ihipStream_tbEUlT_E0_NS1_11comp_targetILNS1_3genE5ELNS1_11target_archE942ELNS1_3gpuE9ELNS1_3repE0EEENS1_60segmented_radix_sort_warp_sort_medium_config_static_selectorELNS0_4arch9wavefront6targetE0EEEvSK_.num_agpr, 0
	.set _ZN7rocprim17ROCPRIM_400000_NS6detail17trampoline_kernelINS0_14default_configENS1_36segmented_radix_sort_config_selectorIflEEZNS1_25segmented_radix_sort_implIS3_Lb0EPKfPfPKlPlN2at6native12_GLOBAL__N_18offset_tEEE10hipError_tPvRmT1_PNSt15iterator_traitsISK_E10value_typeET2_T3_PNSL_ISQ_E10value_typeET4_jRbjT5_SW_jjP12ihipStream_tbEUlT_E0_NS1_11comp_targetILNS1_3genE5ELNS1_11target_archE942ELNS1_3gpuE9ELNS1_3repE0EEENS1_60segmented_radix_sort_warp_sort_medium_config_static_selectorELNS0_4arch9wavefront6targetE0EEEvSK_.numbered_sgpr, 0
	.set _ZN7rocprim17ROCPRIM_400000_NS6detail17trampoline_kernelINS0_14default_configENS1_36segmented_radix_sort_config_selectorIflEEZNS1_25segmented_radix_sort_implIS3_Lb0EPKfPfPKlPlN2at6native12_GLOBAL__N_18offset_tEEE10hipError_tPvRmT1_PNSt15iterator_traitsISK_E10value_typeET2_T3_PNSL_ISQ_E10value_typeET4_jRbjT5_SW_jjP12ihipStream_tbEUlT_E0_NS1_11comp_targetILNS1_3genE5ELNS1_11target_archE942ELNS1_3gpuE9ELNS1_3repE0EEENS1_60segmented_radix_sort_warp_sort_medium_config_static_selectorELNS0_4arch9wavefront6targetE0EEEvSK_.num_named_barrier, 0
	.set _ZN7rocprim17ROCPRIM_400000_NS6detail17trampoline_kernelINS0_14default_configENS1_36segmented_radix_sort_config_selectorIflEEZNS1_25segmented_radix_sort_implIS3_Lb0EPKfPfPKlPlN2at6native12_GLOBAL__N_18offset_tEEE10hipError_tPvRmT1_PNSt15iterator_traitsISK_E10value_typeET2_T3_PNSL_ISQ_E10value_typeET4_jRbjT5_SW_jjP12ihipStream_tbEUlT_E0_NS1_11comp_targetILNS1_3genE5ELNS1_11target_archE942ELNS1_3gpuE9ELNS1_3repE0EEENS1_60segmented_radix_sort_warp_sort_medium_config_static_selectorELNS0_4arch9wavefront6targetE0EEEvSK_.private_seg_size, 0
	.set _ZN7rocprim17ROCPRIM_400000_NS6detail17trampoline_kernelINS0_14default_configENS1_36segmented_radix_sort_config_selectorIflEEZNS1_25segmented_radix_sort_implIS3_Lb0EPKfPfPKlPlN2at6native12_GLOBAL__N_18offset_tEEE10hipError_tPvRmT1_PNSt15iterator_traitsISK_E10value_typeET2_T3_PNSL_ISQ_E10value_typeET4_jRbjT5_SW_jjP12ihipStream_tbEUlT_E0_NS1_11comp_targetILNS1_3genE5ELNS1_11target_archE942ELNS1_3gpuE9ELNS1_3repE0EEENS1_60segmented_radix_sort_warp_sort_medium_config_static_selectorELNS0_4arch9wavefront6targetE0EEEvSK_.uses_vcc, 0
	.set _ZN7rocprim17ROCPRIM_400000_NS6detail17trampoline_kernelINS0_14default_configENS1_36segmented_radix_sort_config_selectorIflEEZNS1_25segmented_radix_sort_implIS3_Lb0EPKfPfPKlPlN2at6native12_GLOBAL__N_18offset_tEEE10hipError_tPvRmT1_PNSt15iterator_traitsISK_E10value_typeET2_T3_PNSL_ISQ_E10value_typeET4_jRbjT5_SW_jjP12ihipStream_tbEUlT_E0_NS1_11comp_targetILNS1_3genE5ELNS1_11target_archE942ELNS1_3gpuE9ELNS1_3repE0EEENS1_60segmented_radix_sort_warp_sort_medium_config_static_selectorELNS0_4arch9wavefront6targetE0EEEvSK_.uses_flat_scratch, 0
	.set _ZN7rocprim17ROCPRIM_400000_NS6detail17trampoline_kernelINS0_14default_configENS1_36segmented_radix_sort_config_selectorIflEEZNS1_25segmented_radix_sort_implIS3_Lb0EPKfPfPKlPlN2at6native12_GLOBAL__N_18offset_tEEE10hipError_tPvRmT1_PNSt15iterator_traitsISK_E10value_typeET2_T3_PNSL_ISQ_E10value_typeET4_jRbjT5_SW_jjP12ihipStream_tbEUlT_E0_NS1_11comp_targetILNS1_3genE5ELNS1_11target_archE942ELNS1_3gpuE9ELNS1_3repE0EEENS1_60segmented_radix_sort_warp_sort_medium_config_static_selectorELNS0_4arch9wavefront6targetE0EEEvSK_.has_dyn_sized_stack, 0
	.set _ZN7rocprim17ROCPRIM_400000_NS6detail17trampoline_kernelINS0_14default_configENS1_36segmented_radix_sort_config_selectorIflEEZNS1_25segmented_radix_sort_implIS3_Lb0EPKfPfPKlPlN2at6native12_GLOBAL__N_18offset_tEEE10hipError_tPvRmT1_PNSt15iterator_traitsISK_E10value_typeET2_T3_PNSL_ISQ_E10value_typeET4_jRbjT5_SW_jjP12ihipStream_tbEUlT_E0_NS1_11comp_targetILNS1_3genE5ELNS1_11target_archE942ELNS1_3gpuE9ELNS1_3repE0EEENS1_60segmented_radix_sort_warp_sort_medium_config_static_selectorELNS0_4arch9wavefront6targetE0EEEvSK_.has_recursion, 0
	.set _ZN7rocprim17ROCPRIM_400000_NS6detail17trampoline_kernelINS0_14default_configENS1_36segmented_radix_sort_config_selectorIflEEZNS1_25segmented_radix_sort_implIS3_Lb0EPKfPfPKlPlN2at6native12_GLOBAL__N_18offset_tEEE10hipError_tPvRmT1_PNSt15iterator_traitsISK_E10value_typeET2_T3_PNSL_ISQ_E10value_typeET4_jRbjT5_SW_jjP12ihipStream_tbEUlT_E0_NS1_11comp_targetILNS1_3genE5ELNS1_11target_archE942ELNS1_3gpuE9ELNS1_3repE0EEENS1_60segmented_radix_sort_warp_sort_medium_config_static_selectorELNS0_4arch9wavefront6targetE0EEEvSK_.has_indirect_call, 0
	.section	.AMDGPU.csdata,"",@progbits
; Kernel info:
; codeLenInByte = 0
; TotalNumSgprs: 0
; NumVgprs: 0
; ScratchSize: 0
; MemoryBound: 0
; FloatMode: 240
; IeeeMode: 1
; LDSByteSize: 0 bytes/workgroup (compile time only)
; SGPRBlocks: 0
; VGPRBlocks: 0
; NumSGPRsForWavesPerEU: 1
; NumVGPRsForWavesPerEU: 1
; Occupancy: 16
; WaveLimiterHint : 0
; COMPUTE_PGM_RSRC2:SCRATCH_EN: 0
; COMPUTE_PGM_RSRC2:USER_SGPR: 6
; COMPUTE_PGM_RSRC2:TRAP_HANDLER: 0
; COMPUTE_PGM_RSRC2:TGID_X_EN: 1
; COMPUTE_PGM_RSRC2:TGID_Y_EN: 0
; COMPUTE_PGM_RSRC2:TGID_Z_EN: 0
; COMPUTE_PGM_RSRC2:TIDIG_COMP_CNT: 0
	.section	.text._ZN7rocprim17ROCPRIM_400000_NS6detail17trampoline_kernelINS0_14default_configENS1_36segmented_radix_sort_config_selectorIflEEZNS1_25segmented_radix_sort_implIS3_Lb0EPKfPfPKlPlN2at6native12_GLOBAL__N_18offset_tEEE10hipError_tPvRmT1_PNSt15iterator_traitsISK_E10value_typeET2_T3_PNSL_ISQ_E10value_typeET4_jRbjT5_SW_jjP12ihipStream_tbEUlT_E0_NS1_11comp_targetILNS1_3genE4ELNS1_11target_archE910ELNS1_3gpuE8ELNS1_3repE0EEENS1_60segmented_radix_sort_warp_sort_medium_config_static_selectorELNS0_4arch9wavefront6targetE0EEEvSK_,"axG",@progbits,_ZN7rocprim17ROCPRIM_400000_NS6detail17trampoline_kernelINS0_14default_configENS1_36segmented_radix_sort_config_selectorIflEEZNS1_25segmented_radix_sort_implIS3_Lb0EPKfPfPKlPlN2at6native12_GLOBAL__N_18offset_tEEE10hipError_tPvRmT1_PNSt15iterator_traitsISK_E10value_typeET2_T3_PNSL_ISQ_E10value_typeET4_jRbjT5_SW_jjP12ihipStream_tbEUlT_E0_NS1_11comp_targetILNS1_3genE4ELNS1_11target_archE910ELNS1_3gpuE8ELNS1_3repE0EEENS1_60segmented_radix_sort_warp_sort_medium_config_static_selectorELNS0_4arch9wavefront6targetE0EEEvSK_,comdat
	.globl	_ZN7rocprim17ROCPRIM_400000_NS6detail17trampoline_kernelINS0_14default_configENS1_36segmented_radix_sort_config_selectorIflEEZNS1_25segmented_radix_sort_implIS3_Lb0EPKfPfPKlPlN2at6native12_GLOBAL__N_18offset_tEEE10hipError_tPvRmT1_PNSt15iterator_traitsISK_E10value_typeET2_T3_PNSL_ISQ_E10value_typeET4_jRbjT5_SW_jjP12ihipStream_tbEUlT_E0_NS1_11comp_targetILNS1_3genE4ELNS1_11target_archE910ELNS1_3gpuE8ELNS1_3repE0EEENS1_60segmented_radix_sort_warp_sort_medium_config_static_selectorELNS0_4arch9wavefront6targetE0EEEvSK_ ; -- Begin function _ZN7rocprim17ROCPRIM_400000_NS6detail17trampoline_kernelINS0_14default_configENS1_36segmented_radix_sort_config_selectorIflEEZNS1_25segmented_radix_sort_implIS3_Lb0EPKfPfPKlPlN2at6native12_GLOBAL__N_18offset_tEEE10hipError_tPvRmT1_PNSt15iterator_traitsISK_E10value_typeET2_T3_PNSL_ISQ_E10value_typeET4_jRbjT5_SW_jjP12ihipStream_tbEUlT_E0_NS1_11comp_targetILNS1_3genE4ELNS1_11target_archE910ELNS1_3gpuE8ELNS1_3repE0EEENS1_60segmented_radix_sort_warp_sort_medium_config_static_selectorELNS0_4arch9wavefront6targetE0EEEvSK_
	.p2align	8
	.type	_ZN7rocprim17ROCPRIM_400000_NS6detail17trampoline_kernelINS0_14default_configENS1_36segmented_radix_sort_config_selectorIflEEZNS1_25segmented_radix_sort_implIS3_Lb0EPKfPfPKlPlN2at6native12_GLOBAL__N_18offset_tEEE10hipError_tPvRmT1_PNSt15iterator_traitsISK_E10value_typeET2_T3_PNSL_ISQ_E10value_typeET4_jRbjT5_SW_jjP12ihipStream_tbEUlT_E0_NS1_11comp_targetILNS1_3genE4ELNS1_11target_archE910ELNS1_3gpuE8ELNS1_3repE0EEENS1_60segmented_radix_sort_warp_sort_medium_config_static_selectorELNS0_4arch9wavefront6targetE0EEEvSK_,@function
_ZN7rocprim17ROCPRIM_400000_NS6detail17trampoline_kernelINS0_14default_configENS1_36segmented_radix_sort_config_selectorIflEEZNS1_25segmented_radix_sort_implIS3_Lb0EPKfPfPKlPlN2at6native12_GLOBAL__N_18offset_tEEE10hipError_tPvRmT1_PNSt15iterator_traitsISK_E10value_typeET2_T3_PNSL_ISQ_E10value_typeET4_jRbjT5_SW_jjP12ihipStream_tbEUlT_E0_NS1_11comp_targetILNS1_3genE4ELNS1_11target_archE910ELNS1_3gpuE8ELNS1_3repE0EEENS1_60segmented_radix_sort_warp_sort_medium_config_static_selectorELNS0_4arch9wavefront6targetE0EEEvSK_: ; @_ZN7rocprim17ROCPRIM_400000_NS6detail17trampoline_kernelINS0_14default_configENS1_36segmented_radix_sort_config_selectorIflEEZNS1_25segmented_radix_sort_implIS3_Lb0EPKfPfPKlPlN2at6native12_GLOBAL__N_18offset_tEEE10hipError_tPvRmT1_PNSt15iterator_traitsISK_E10value_typeET2_T3_PNSL_ISQ_E10value_typeET4_jRbjT5_SW_jjP12ihipStream_tbEUlT_E0_NS1_11comp_targetILNS1_3genE4ELNS1_11target_archE910ELNS1_3gpuE8ELNS1_3repE0EEENS1_60segmented_radix_sort_warp_sort_medium_config_static_selectorELNS0_4arch9wavefront6targetE0EEEvSK_
; %bb.0:
	.section	.rodata,"a",@progbits
	.p2align	6, 0x0
	.amdhsa_kernel _ZN7rocprim17ROCPRIM_400000_NS6detail17trampoline_kernelINS0_14default_configENS1_36segmented_radix_sort_config_selectorIflEEZNS1_25segmented_radix_sort_implIS3_Lb0EPKfPfPKlPlN2at6native12_GLOBAL__N_18offset_tEEE10hipError_tPvRmT1_PNSt15iterator_traitsISK_E10value_typeET2_T3_PNSL_ISQ_E10value_typeET4_jRbjT5_SW_jjP12ihipStream_tbEUlT_E0_NS1_11comp_targetILNS1_3genE4ELNS1_11target_archE910ELNS1_3gpuE8ELNS1_3repE0EEENS1_60segmented_radix_sort_warp_sort_medium_config_static_selectorELNS0_4arch9wavefront6targetE0EEEvSK_
		.amdhsa_group_segment_fixed_size 0
		.amdhsa_private_segment_fixed_size 0
		.amdhsa_kernarg_size 88
		.amdhsa_user_sgpr_count 6
		.amdhsa_user_sgpr_private_segment_buffer 1
		.amdhsa_user_sgpr_dispatch_ptr 0
		.amdhsa_user_sgpr_queue_ptr 0
		.amdhsa_user_sgpr_kernarg_segment_ptr 1
		.amdhsa_user_sgpr_dispatch_id 0
		.amdhsa_user_sgpr_flat_scratch_init 0
		.amdhsa_user_sgpr_private_segment_size 0
		.amdhsa_wavefront_size32 1
		.amdhsa_uses_dynamic_stack 0
		.amdhsa_system_sgpr_private_segment_wavefront_offset 0
		.amdhsa_system_sgpr_workgroup_id_x 1
		.amdhsa_system_sgpr_workgroup_id_y 0
		.amdhsa_system_sgpr_workgroup_id_z 0
		.amdhsa_system_sgpr_workgroup_info 0
		.amdhsa_system_vgpr_workitem_id 0
		.amdhsa_next_free_vgpr 1
		.amdhsa_next_free_sgpr 1
		.amdhsa_reserve_vcc 0
		.amdhsa_reserve_flat_scratch 0
		.amdhsa_float_round_mode_32 0
		.amdhsa_float_round_mode_16_64 0
		.amdhsa_float_denorm_mode_32 3
		.amdhsa_float_denorm_mode_16_64 3
		.amdhsa_dx10_clamp 1
		.amdhsa_ieee_mode 1
		.amdhsa_fp16_overflow 0
		.amdhsa_workgroup_processor_mode 1
		.amdhsa_memory_ordered 1
		.amdhsa_forward_progress 1
		.amdhsa_shared_vgpr_count 0
		.amdhsa_exception_fp_ieee_invalid_op 0
		.amdhsa_exception_fp_denorm_src 0
		.amdhsa_exception_fp_ieee_div_zero 0
		.amdhsa_exception_fp_ieee_overflow 0
		.amdhsa_exception_fp_ieee_underflow 0
		.amdhsa_exception_fp_ieee_inexact 0
		.amdhsa_exception_int_div_zero 0
	.end_amdhsa_kernel
	.section	.text._ZN7rocprim17ROCPRIM_400000_NS6detail17trampoline_kernelINS0_14default_configENS1_36segmented_radix_sort_config_selectorIflEEZNS1_25segmented_radix_sort_implIS3_Lb0EPKfPfPKlPlN2at6native12_GLOBAL__N_18offset_tEEE10hipError_tPvRmT1_PNSt15iterator_traitsISK_E10value_typeET2_T3_PNSL_ISQ_E10value_typeET4_jRbjT5_SW_jjP12ihipStream_tbEUlT_E0_NS1_11comp_targetILNS1_3genE4ELNS1_11target_archE910ELNS1_3gpuE8ELNS1_3repE0EEENS1_60segmented_radix_sort_warp_sort_medium_config_static_selectorELNS0_4arch9wavefront6targetE0EEEvSK_,"axG",@progbits,_ZN7rocprim17ROCPRIM_400000_NS6detail17trampoline_kernelINS0_14default_configENS1_36segmented_radix_sort_config_selectorIflEEZNS1_25segmented_radix_sort_implIS3_Lb0EPKfPfPKlPlN2at6native12_GLOBAL__N_18offset_tEEE10hipError_tPvRmT1_PNSt15iterator_traitsISK_E10value_typeET2_T3_PNSL_ISQ_E10value_typeET4_jRbjT5_SW_jjP12ihipStream_tbEUlT_E0_NS1_11comp_targetILNS1_3genE4ELNS1_11target_archE910ELNS1_3gpuE8ELNS1_3repE0EEENS1_60segmented_radix_sort_warp_sort_medium_config_static_selectorELNS0_4arch9wavefront6targetE0EEEvSK_,comdat
.Lfunc_end1432:
	.size	_ZN7rocprim17ROCPRIM_400000_NS6detail17trampoline_kernelINS0_14default_configENS1_36segmented_radix_sort_config_selectorIflEEZNS1_25segmented_radix_sort_implIS3_Lb0EPKfPfPKlPlN2at6native12_GLOBAL__N_18offset_tEEE10hipError_tPvRmT1_PNSt15iterator_traitsISK_E10value_typeET2_T3_PNSL_ISQ_E10value_typeET4_jRbjT5_SW_jjP12ihipStream_tbEUlT_E0_NS1_11comp_targetILNS1_3genE4ELNS1_11target_archE910ELNS1_3gpuE8ELNS1_3repE0EEENS1_60segmented_radix_sort_warp_sort_medium_config_static_selectorELNS0_4arch9wavefront6targetE0EEEvSK_, .Lfunc_end1432-_ZN7rocprim17ROCPRIM_400000_NS6detail17trampoline_kernelINS0_14default_configENS1_36segmented_radix_sort_config_selectorIflEEZNS1_25segmented_radix_sort_implIS3_Lb0EPKfPfPKlPlN2at6native12_GLOBAL__N_18offset_tEEE10hipError_tPvRmT1_PNSt15iterator_traitsISK_E10value_typeET2_T3_PNSL_ISQ_E10value_typeET4_jRbjT5_SW_jjP12ihipStream_tbEUlT_E0_NS1_11comp_targetILNS1_3genE4ELNS1_11target_archE910ELNS1_3gpuE8ELNS1_3repE0EEENS1_60segmented_radix_sort_warp_sort_medium_config_static_selectorELNS0_4arch9wavefront6targetE0EEEvSK_
                                        ; -- End function
	.set _ZN7rocprim17ROCPRIM_400000_NS6detail17trampoline_kernelINS0_14default_configENS1_36segmented_radix_sort_config_selectorIflEEZNS1_25segmented_radix_sort_implIS3_Lb0EPKfPfPKlPlN2at6native12_GLOBAL__N_18offset_tEEE10hipError_tPvRmT1_PNSt15iterator_traitsISK_E10value_typeET2_T3_PNSL_ISQ_E10value_typeET4_jRbjT5_SW_jjP12ihipStream_tbEUlT_E0_NS1_11comp_targetILNS1_3genE4ELNS1_11target_archE910ELNS1_3gpuE8ELNS1_3repE0EEENS1_60segmented_radix_sort_warp_sort_medium_config_static_selectorELNS0_4arch9wavefront6targetE0EEEvSK_.num_vgpr, 0
	.set _ZN7rocprim17ROCPRIM_400000_NS6detail17trampoline_kernelINS0_14default_configENS1_36segmented_radix_sort_config_selectorIflEEZNS1_25segmented_radix_sort_implIS3_Lb0EPKfPfPKlPlN2at6native12_GLOBAL__N_18offset_tEEE10hipError_tPvRmT1_PNSt15iterator_traitsISK_E10value_typeET2_T3_PNSL_ISQ_E10value_typeET4_jRbjT5_SW_jjP12ihipStream_tbEUlT_E0_NS1_11comp_targetILNS1_3genE4ELNS1_11target_archE910ELNS1_3gpuE8ELNS1_3repE0EEENS1_60segmented_radix_sort_warp_sort_medium_config_static_selectorELNS0_4arch9wavefront6targetE0EEEvSK_.num_agpr, 0
	.set _ZN7rocprim17ROCPRIM_400000_NS6detail17trampoline_kernelINS0_14default_configENS1_36segmented_radix_sort_config_selectorIflEEZNS1_25segmented_radix_sort_implIS3_Lb0EPKfPfPKlPlN2at6native12_GLOBAL__N_18offset_tEEE10hipError_tPvRmT1_PNSt15iterator_traitsISK_E10value_typeET2_T3_PNSL_ISQ_E10value_typeET4_jRbjT5_SW_jjP12ihipStream_tbEUlT_E0_NS1_11comp_targetILNS1_3genE4ELNS1_11target_archE910ELNS1_3gpuE8ELNS1_3repE0EEENS1_60segmented_radix_sort_warp_sort_medium_config_static_selectorELNS0_4arch9wavefront6targetE0EEEvSK_.numbered_sgpr, 0
	.set _ZN7rocprim17ROCPRIM_400000_NS6detail17trampoline_kernelINS0_14default_configENS1_36segmented_radix_sort_config_selectorIflEEZNS1_25segmented_radix_sort_implIS3_Lb0EPKfPfPKlPlN2at6native12_GLOBAL__N_18offset_tEEE10hipError_tPvRmT1_PNSt15iterator_traitsISK_E10value_typeET2_T3_PNSL_ISQ_E10value_typeET4_jRbjT5_SW_jjP12ihipStream_tbEUlT_E0_NS1_11comp_targetILNS1_3genE4ELNS1_11target_archE910ELNS1_3gpuE8ELNS1_3repE0EEENS1_60segmented_radix_sort_warp_sort_medium_config_static_selectorELNS0_4arch9wavefront6targetE0EEEvSK_.num_named_barrier, 0
	.set _ZN7rocprim17ROCPRIM_400000_NS6detail17trampoline_kernelINS0_14default_configENS1_36segmented_radix_sort_config_selectorIflEEZNS1_25segmented_radix_sort_implIS3_Lb0EPKfPfPKlPlN2at6native12_GLOBAL__N_18offset_tEEE10hipError_tPvRmT1_PNSt15iterator_traitsISK_E10value_typeET2_T3_PNSL_ISQ_E10value_typeET4_jRbjT5_SW_jjP12ihipStream_tbEUlT_E0_NS1_11comp_targetILNS1_3genE4ELNS1_11target_archE910ELNS1_3gpuE8ELNS1_3repE0EEENS1_60segmented_radix_sort_warp_sort_medium_config_static_selectorELNS0_4arch9wavefront6targetE0EEEvSK_.private_seg_size, 0
	.set _ZN7rocprim17ROCPRIM_400000_NS6detail17trampoline_kernelINS0_14default_configENS1_36segmented_radix_sort_config_selectorIflEEZNS1_25segmented_radix_sort_implIS3_Lb0EPKfPfPKlPlN2at6native12_GLOBAL__N_18offset_tEEE10hipError_tPvRmT1_PNSt15iterator_traitsISK_E10value_typeET2_T3_PNSL_ISQ_E10value_typeET4_jRbjT5_SW_jjP12ihipStream_tbEUlT_E0_NS1_11comp_targetILNS1_3genE4ELNS1_11target_archE910ELNS1_3gpuE8ELNS1_3repE0EEENS1_60segmented_radix_sort_warp_sort_medium_config_static_selectorELNS0_4arch9wavefront6targetE0EEEvSK_.uses_vcc, 0
	.set _ZN7rocprim17ROCPRIM_400000_NS6detail17trampoline_kernelINS0_14default_configENS1_36segmented_radix_sort_config_selectorIflEEZNS1_25segmented_radix_sort_implIS3_Lb0EPKfPfPKlPlN2at6native12_GLOBAL__N_18offset_tEEE10hipError_tPvRmT1_PNSt15iterator_traitsISK_E10value_typeET2_T3_PNSL_ISQ_E10value_typeET4_jRbjT5_SW_jjP12ihipStream_tbEUlT_E0_NS1_11comp_targetILNS1_3genE4ELNS1_11target_archE910ELNS1_3gpuE8ELNS1_3repE0EEENS1_60segmented_radix_sort_warp_sort_medium_config_static_selectorELNS0_4arch9wavefront6targetE0EEEvSK_.uses_flat_scratch, 0
	.set _ZN7rocprim17ROCPRIM_400000_NS6detail17trampoline_kernelINS0_14default_configENS1_36segmented_radix_sort_config_selectorIflEEZNS1_25segmented_radix_sort_implIS3_Lb0EPKfPfPKlPlN2at6native12_GLOBAL__N_18offset_tEEE10hipError_tPvRmT1_PNSt15iterator_traitsISK_E10value_typeET2_T3_PNSL_ISQ_E10value_typeET4_jRbjT5_SW_jjP12ihipStream_tbEUlT_E0_NS1_11comp_targetILNS1_3genE4ELNS1_11target_archE910ELNS1_3gpuE8ELNS1_3repE0EEENS1_60segmented_radix_sort_warp_sort_medium_config_static_selectorELNS0_4arch9wavefront6targetE0EEEvSK_.has_dyn_sized_stack, 0
	.set _ZN7rocprim17ROCPRIM_400000_NS6detail17trampoline_kernelINS0_14default_configENS1_36segmented_radix_sort_config_selectorIflEEZNS1_25segmented_radix_sort_implIS3_Lb0EPKfPfPKlPlN2at6native12_GLOBAL__N_18offset_tEEE10hipError_tPvRmT1_PNSt15iterator_traitsISK_E10value_typeET2_T3_PNSL_ISQ_E10value_typeET4_jRbjT5_SW_jjP12ihipStream_tbEUlT_E0_NS1_11comp_targetILNS1_3genE4ELNS1_11target_archE910ELNS1_3gpuE8ELNS1_3repE0EEENS1_60segmented_radix_sort_warp_sort_medium_config_static_selectorELNS0_4arch9wavefront6targetE0EEEvSK_.has_recursion, 0
	.set _ZN7rocprim17ROCPRIM_400000_NS6detail17trampoline_kernelINS0_14default_configENS1_36segmented_radix_sort_config_selectorIflEEZNS1_25segmented_radix_sort_implIS3_Lb0EPKfPfPKlPlN2at6native12_GLOBAL__N_18offset_tEEE10hipError_tPvRmT1_PNSt15iterator_traitsISK_E10value_typeET2_T3_PNSL_ISQ_E10value_typeET4_jRbjT5_SW_jjP12ihipStream_tbEUlT_E0_NS1_11comp_targetILNS1_3genE4ELNS1_11target_archE910ELNS1_3gpuE8ELNS1_3repE0EEENS1_60segmented_radix_sort_warp_sort_medium_config_static_selectorELNS0_4arch9wavefront6targetE0EEEvSK_.has_indirect_call, 0
	.section	.AMDGPU.csdata,"",@progbits
; Kernel info:
; codeLenInByte = 0
; TotalNumSgprs: 0
; NumVgprs: 0
; ScratchSize: 0
; MemoryBound: 0
; FloatMode: 240
; IeeeMode: 1
; LDSByteSize: 0 bytes/workgroup (compile time only)
; SGPRBlocks: 0
; VGPRBlocks: 0
; NumSGPRsForWavesPerEU: 1
; NumVGPRsForWavesPerEU: 1
; Occupancy: 16
; WaveLimiterHint : 0
; COMPUTE_PGM_RSRC2:SCRATCH_EN: 0
; COMPUTE_PGM_RSRC2:USER_SGPR: 6
; COMPUTE_PGM_RSRC2:TRAP_HANDLER: 0
; COMPUTE_PGM_RSRC2:TGID_X_EN: 1
; COMPUTE_PGM_RSRC2:TGID_Y_EN: 0
; COMPUTE_PGM_RSRC2:TGID_Z_EN: 0
; COMPUTE_PGM_RSRC2:TIDIG_COMP_CNT: 0
	.section	.text._ZN7rocprim17ROCPRIM_400000_NS6detail17trampoline_kernelINS0_14default_configENS1_36segmented_radix_sort_config_selectorIflEEZNS1_25segmented_radix_sort_implIS3_Lb0EPKfPfPKlPlN2at6native12_GLOBAL__N_18offset_tEEE10hipError_tPvRmT1_PNSt15iterator_traitsISK_E10value_typeET2_T3_PNSL_ISQ_E10value_typeET4_jRbjT5_SW_jjP12ihipStream_tbEUlT_E0_NS1_11comp_targetILNS1_3genE3ELNS1_11target_archE908ELNS1_3gpuE7ELNS1_3repE0EEENS1_60segmented_radix_sort_warp_sort_medium_config_static_selectorELNS0_4arch9wavefront6targetE0EEEvSK_,"axG",@progbits,_ZN7rocprim17ROCPRIM_400000_NS6detail17trampoline_kernelINS0_14default_configENS1_36segmented_radix_sort_config_selectorIflEEZNS1_25segmented_radix_sort_implIS3_Lb0EPKfPfPKlPlN2at6native12_GLOBAL__N_18offset_tEEE10hipError_tPvRmT1_PNSt15iterator_traitsISK_E10value_typeET2_T3_PNSL_ISQ_E10value_typeET4_jRbjT5_SW_jjP12ihipStream_tbEUlT_E0_NS1_11comp_targetILNS1_3genE3ELNS1_11target_archE908ELNS1_3gpuE7ELNS1_3repE0EEENS1_60segmented_radix_sort_warp_sort_medium_config_static_selectorELNS0_4arch9wavefront6targetE0EEEvSK_,comdat
	.globl	_ZN7rocprim17ROCPRIM_400000_NS6detail17trampoline_kernelINS0_14default_configENS1_36segmented_radix_sort_config_selectorIflEEZNS1_25segmented_radix_sort_implIS3_Lb0EPKfPfPKlPlN2at6native12_GLOBAL__N_18offset_tEEE10hipError_tPvRmT1_PNSt15iterator_traitsISK_E10value_typeET2_T3_PNSL_ISQ_E10value_typeET4_jRbjT5_SW_jjP12ihipStream_tbEUlT_E0_NS1_11comp_targetILNS1_3genE3ELNS1_11target_archE908ELNS1_3gpuE7ELNS1_3repE0EEENS1_60segmented_radix_sort_warp_sort_medium_config_static_selectorELNS0_4arch9wavefront6targetE0EEEvSK_ ; -- Begin function _ZN7rocprim17ROCPRIM_400000_NS6detail17trampoline_kernelINS0_14default_configENS1_36segmented_radix_sort_config_selectorIflEEZNS1_25segmented_radix_sort_implIS3_Lb0EPKfPfPKlPlN2at6native12_GLOBAL__N_18offset_tEEE10hipError_tPvRmT1_PNSt15iterator_traitsISK_E10value_typeET2_T3_PNSL_ISQ_E10value_typeET4_jRbjT5_SW_jjP12ihipStream_tbEUlT_E0_NS1_11comp_targetILNS1_3genE3ELNS1_11target_archE908ELNS1_3gpuE7ELNS1_3repE0EEENS1_60segmented_radix_sort_warp_sort_medium_config_static_selectorELNS0_4arch9wavefront6targetE0EEEvSK_
	.p2align	8
	.type	_ZN7rocprim17ROCPRIM_400000_NS6detail17trampoline_kernelINS0_14default_configENS1_36segmented_radix_sort_config_selectorIflEEZNS1_25segmented_radix_sort_implIS3_Lb0EPKfPfPKlPlN2at6native12_GLOBAL__N_18offset_tEEE10hipError_tPvRmT1_PNSt15iterator_traitsISK_E10value_typeET2_T3_PNSL_ISQ_E10value_typeET4_jRbjT5_SW_jjP12ihipStream_tbEUlT_E0_NS1_11comp_targetILNS1_3genE3ELNS1_11target_archE908ELNS1_3gpuE7ELNS1_3repE0EEENS1_60segmented_radix_sort_warp_sort_medium_config_static_selectorELNS0_4arch9wavefront6targetE0EEEvSK_,@function
_ZN7rocprim17ROCPRIM_400000_NS6detail17trampoline_kernelINS0_14default_configENS1_36segmented_radix_sort_config_selectorIflEEZNS1_25segmented_radix_sort_implIS3_Lb0EPKfPfPKlPlN2at6native12_GLOBAL__N_18offset_tEEE10hipError_tPvRmT1_PNSt15iterator_traitsISK_E10value_typeET2_T3_PNSL_ISQ_E10value_typeET4_jRbjT5_SW_jjP12ihipStream_tbEUlT_E0_NS1_11comp_targetILNS1_3genE3ELNS1_11target_archE908ELNS1_3gpuE7ELNS1_3repE0EEENS1_60segmented_radix_sort_warp_sort_medium_config_static_selectorELNS0_4arch9wavefront6targetE0EEEvSK_: ; @_ZN7rocprim17ROCPRIM_400000_NS6detail17trampoline_kernelINS0_14default_configENS1_36segmented_radix_sort_config_selectorIflEEZNS1_25segmented_radix_sort_implIS3_Lb0EPKfPfPKlPlN2at6native12_GLOBAL__N_18offset_tEEE10hipError_tPvRmT1_PNSt15iterator_traitsISK_E10value_typeET2_T3_PNSL_ISQ_E10value_typeET4_jRbjT5_SW_jjP12ihipStream_tbEUlT_E0_NS1_11comp_targetILNS1_3genE3ELNS1_11target_archE908ELNS1_3gpuE7ELNS1_3repE0EEENS1_60segmented_radix_sort_warp_sort_medium_config_static_selectorELNS0_4arch9wavefront6targetE0EEEvSK_
; %bb.0:
	.section	.rodata,"a",@progbits
	.p2align	6, 0x0
	.amdhsa_kernel _ZN7rocprim17ROCPRIM_400000_NS6detail17trampoline_kernelINS0_14default_configENS1_36segmented_radix_sort_config_selectorIflEEZNS1_25segmented_radix_sort_implIS3_Lb0EPKfPfPKlPlN2at6native12_GLOBAL__N_18offset_tEEE10hipError_tPvRmT1_PNSt15iterator_traitsISK_E10value_typeET2_T3_PNSL_ISQ_E10value_typeET4_jRbjT5_SW_jjP12ihipStream_tbEUlT_E0_NS1_11comp_targetILNS1_3genE3ELNS1_11target_archE908ELNS1_3gpuE7ELNS1_3repE0EEENS1_60segmented_radix_sort_warp_sort_medium_config_static_selectorELNS0_4arch9wavefront6targetE0EEEvSK_
		.amdhsa_group_segment_fixed_size 0
		.amdhsa_private_segment_fixed_size 0
		.amdhsa_kernarg_size 88
		.amdhsa_user_sgpr_count 6
		.amdhsa_user_sgpr_private_segment_buffer 1
		.amdhsa_user_sgpr_dispatch_ptr 0
		.amdhsa_user_sgpr_queue_ptr 0
		.amdhsa_user_sgpr_kernarg_segment_ptr 1
		.amdhsa_user_sgpr_dispatch_id 0
		.amdhsa_user_sgpr_flat_scratch_init 0
		.amdhsa_user_sgpr_private_segment_size 0
		.amdhsa_wavefront_size32 1
		.amdhsa_uses_dynamic_stack 0
		.amdhsa_system_sgpr_private_segment_wavefront_offset 0
		.amdhsa_system_sgpr_workgroup_id_x 1
		.amdhsa_system_sgpr_workgroup_id_y 0
		.amdhsa_system_sgpr_workgroup_id_z 0
		.amdhsa_system_sgpr_workgroup_info 0
		.amdhsa_system_vgpr_workitem_id 0
		.amdhsa_next_free_vgpr 1
		.amdhsa_next_free_sgpr 1
		.amdhsa_reserve_vcc 0
		.amdhsa_reserve_flat_scratch 0
		.amdhsa_float_round_mode_32 0
		.amdhsa_float_round_mode_16_64 0
		.amdhsa_float_denorm_mode_32 3
		.amdhsa_float_denorm_mode_16_64 3
		.amdhsa_dx10_clamp 1
		.amdhsa_ieee_mode 1
		.amdhsa_fp16_overflow 0
		.amdhsa_workgroup_processor_mode 1
		.amdhsa_memory_ordered 1
		.amdhsa_forward_progress 1
		.amdhsa_shared_vgpr_count 0
		.amdhsa_exception_fp_ieee_invalid_op 0
		.amdhsa_exception_fp_denorm_src 0
		.amdhsa_exception_fp_ieee_div_zero 0
		.amdhsa_exception_fp_ieee_overflow 0
		.amdhsa_exception_fp_ieee_underflow 0
		.amdhsa_exception_fp_ieee_inexact 0
		.amdhsa_exception_int_div_zero 0
	.end_amdhsa_kernel
	.section	.text._ZN7rocprim17ROCPRIM_400000_NS6detail17trampoline_kernelINS0_14default_configENS1_36segmented_radix_sort_config_selectorIflEEZNS1_25segmented_radix_sort_implIS3_Lb0EPKfPfPKlPlN2at6native12_GLOBAL__N_18offset_tEEE10hipError_tPvRmT1_PNSt15iterator_traitsISK_E10value_typeET2_T3_PNSL_ISQ_E10value_typeET4_jRbjT5_SW_jjP12ihipStream_tbEUlT_E0_NS1_11comp_targetILNS1_3genE3ELNS1_11target_archE908ELNS1_3gpuE7ELNS1_3repE0EEENS1_60segmented_radix_sort_warp_sort_medium_config_static_selectorELNS0_4arch9wavefront6targetE0EEEvSK_,"axG",@progbits,_ZN7rocprim17ROCPRIM_400000_NS6detail17trampoline_kernelINS0_14default_configENS1_36segmented_radix_sort_config_selectorIflEEZNS1_25segmented_radix_sort_implIS3_Lb0EPKfPfPKlPlN2at6native12_GLOBAL__N_18offset_tEEE10hipError_tPvRmT1_PNSt15iterator_traitsISK_E10value_typeET2_T3_PNSL_ISQ_E10value_typeET4_jRbjT5_SW_jjP12ihipStream_tbEUlT_E0_NS1_11comp_targetILNS1_3genE3ELNS1_11target_archE908ELNS1_3gpuE7ELNS1_3repE0EEENS1_60segmented_radix_sort_warp_sort_medium_config_static_selectorELNS0_4arch9wavefront6targetE0EEEvSK_,comdat
.Lfunc_end1433:
	.size	_ZN7rocprim17ROCPRIM_400000_NS6detail17trampoline_kernelINS0_14default_configENS1_36segmented_radix_sort_config_selectorIflEEZNS1_25segmented_radix_sort_implIS3_Lb0EPKfPfPKlPlN2at6native12_GLOBAL__N_18offset_tEEE10hipError_tPvRmT1_PNSt15iterator_traitsISK_E10value_typeET2_T3_PNSL_ISQ_E10value_typeET4_jRbjT5_SW_jjP12ihipStream_tbEUlT_E0_NS1_11comp_targetILNS1_3genE3ELNS1_11target_archE908ELNS1_3gpuE7ELNS1_3repE0EEENS1_60segmented_radix_sort_warp_sort_medium_config_static_selectorELNS0_4arch9wavefront6targetE0EEEvSK_, .Lfunc_end1433-_ZN7rocprim17ROCPRIM_400000_NS6detail17trampoline_kernelINS0_14default_configENS1_36segmented_radix_sort_config_selectorIflEEZNS1_25segmented_radix_sort_implIS3_Lb0EPKfPfPKlPlN2at6native12_GLOBAL__N_18offset_tEEE10hipError_tPvRmT1_PNSt15iterator_traitsISK_E10value_typeET2_T3_PNSL_ISQ_E10value_typeET4_jRbjT5_SW_jjP12ihipStream_tbEUlT_E0_NS1_11comp_targetILNS1_3genE3ELNS1_11target_archE908ELNS1_3gpuE7ELNS1_3repE0EEENS1_60segmented_radix_sort_warp_sort_medium_config_static_selectorELNS0_4arch9wavefront6targetE0EEEvSK_
                                        ; -- End function
	.set _ZN7rocprim17ROCPRIM_400000_NS6detail17trampoline_kernelINS0_14default_configENS1_36segmented_radix_sort_config_selectorIflEEZNS1_25segmented_radix_sort_implIS3_Lb0EPKfPfPKlPlN2at6native12_GLOBAL__N_18offset_tEEE10hipError_tPvRmT1_PNSt15iterator_traitsISK_E10value_typeET2_T3_PNSL_ISQ_E10value_typeET4_jRbjT5_SW_jjP12ihipStream_tbEUlT_E0_NS1_11comp_targetILNS1_3genE3ELNS1_11target_archE908ELNS1_3gpuE7ELNS1_3repE0EEENS1_60segmented_radix_sort_warp_sort_medium_config_static_selectorELNS0_4arch9wavefront6targetE0EEEvSK_.num_vgpr, 0
	.set _ZN7rocprim17ROCPRIM_400000_NS6detail17trampoline_kernelINS0_14default_configENS1_36segmented_radix_sort_config_selectorIflEEZNS1_25segmented_radix_sort_implIS3_Lb0EPKfPfPKlPlN2at6native12_GLOBAL__N_18offset_tEEE10hipError_tPvRmT1_PNSt15iterator_traitsISK_E10value_typeET2_T3_PNSL_ISQ_E10value_typeET4_jRbjT5_SW_jjP12ihipStream_tbEUlT_E0_NS1_11comp_targetILNS1_3genE3ELNS1_11target_archE908ELNS1_3gpuE7ELNS1_3repE0EEENS1_60segmented_radix_sort_warp_sort_medium_config_static_selectorELNS0_4arch9wavefront6targetE0EEEvSK_.num_agpr, 0
	.set _ZN7rocprim17ROCPRIM_400000_NS6detail17trampoline_kernelINS0_14default_configENS1_36segmented_radix_sort_config_selectorIflEEZNS1_25segmented_radix_sort_implIS3_Lb0EPKfPfPKlPlN2at6native12_GLOBAL__N_18offset_tEEE10hipError_tPvRmT1_PNSt15iterator_traitsISK_E10value_typeET2_T3_PNSL_ISQ_E10value_typeET4_jRbjT5_SW_jjP12ihipStream_tbEUlT_E0_NS1_11comp_targetILNS1_3genE3ELNS1_11target_archE908ELNS1_3gpuE7ELNS1_3repE0EEENS1_60segmented_radix_sort_warp_sort_medium_config_static_selectorELNS0_4arch9wavefront6targetE0EEEvSK_.numbered_sgpr, 0
	.set _ZN7rocprim17ROCPRIM_400000_NS6detail17trampoline_kernelINS0_14default_configENS1_36segmented_radix_sort_config_selectorIflEEZNS1_25segmented_radix_sort_implIS3_Lb0EPKfPfPKlPlN2at6native12_GLOBAL__N_18offset_tEEE10hipError_tPvRmT1_PNSt15iterator_traitsISK_E10value_typeET2_T3_PNSL_ISQ_E10value_typeET4_jRbjT5_SW_jjP12ihipStream_tbEUlT_E0_NS1_11comp_targetILNS1_3genE3ELNS1_11target_archE908ELNS1_3gpuE7ELNS1_3repE0EEENS1_60segmented_radix_sort_warp_sort_medium_config_static_selectorELNS0_4arch9wavefront6targetE0EEEvSK_.num_named_barrier, 0
	.set _ZN7rocprim17ROCPRIM_400000_NS6detail17trampoline_kernelINS0_14default_configENS1_36segmented_radix_sort_config_selectorIflEEZNS1_25segmented_radix_sort_implIS3_Lb0EPKfPfPKlPlN2at6native12_GLOBAL__N_18offset_tEEE10hipError_tPvRmT1_PNSt15iterator_traitsISK_E10value_typeET2_T3_PNSL_ISQ_E10value_typeET4_jRbjT5_SW_jjP12ihipStream_tbEUlT_E0_NS1_11comp_targetILNS1_3genE3ELNS1_11target_archE908ELNS1_3gpuE7ELNS1_3repE0EEENS1_60segmented_radix_sort_warp_sort_medium_config_static_selectorELNS0_4arch9wavefront6targetE0EEEvSK_.private_seg_size, 0
	.set _ZN7rocprim17ROCPRIM_400000_NS6detail17trampoline_kernelINS0_14default_configENS1_36segmented_radix_sort_config_selectorIflEEZNS1_25segmented_radix_sort_implIS3_Lb0EPKfPfPKlPlN2at6native12_GLOBAL__N_18offset_tEEE10hipError_tPvRmT1_PNSt15iterator_traitsISK_E10value_typeET2_T3_PNSL_ISQ_E10value_typeET4_jRbjT5_SW_jjP12ihipStream_tbEUlT_E0_NS1_11comp_targetILNS1_3genE3ELNS1_11target_archE908ELNS1_3gpuE7ELNS1_3repE0EEENS1_60segmented_radix_sort_warp_sort_medium_config_static_selectorELNS0_4arch9wavefront6targetE0EEEvSK_.uses_vcc, 0
	.set _ZN7rocprim17ROCPRIM_400000_NS6detail17trampoline_kernelINS0_14default_configENS1_36segmented_radix_sort_config_selectorIflEEZNS1_25segmented_radix_sort_implIS3_Lb0EPKfPfPKlPlN2at6native12_GLOBAL__N_18offset_tEEE10hipError_tPvRmT1_PNSt15iterator_traitsISK_E10value_typeET2_T3_PNSL_ISQ_E10value_typeET4_jRbjT5_SW_jjP12ihipStream_tbEUlT_E0_NS1_11comp_targetILNS1_3genE3ELNS1_11target_archE908ELNS1_3gpuE7ELNS1_3repE0EEENS1_60segmented_radix_sort_warp_sort_medium_config_static_selectorELNS0_4arch9wavefront6targetE0EEEvSK_.uses_flat_scratch, 0
	.set _ZN7rocprim17ROCPRIM_400000_NS6detail17trampoline_kernelINS0_14default_configENS1_36segmented_radix_sort_config_selectorIflEEZNS1_25segmented_radix_sort_implIS3_Lb0EPKfPfPKlPlN2at6native12_GLOBAL__N_18offset_tEEE10hipError_tPvRmT1_PNSt15iterator_traitsISK_E10value_typeET2_T3_PNSL_ISQ_E10value_typeET4_jRbjT5_SW_jjP12ihipStream_tbEUlT_E0_NS1_11comp_targetILNS1_3genE3ELNS1_11target_archE908ELNS1_3gpuE7ELNS1_3repE0EEENS1_60segmented_radix_sort_warp_sort_medium_config_static_selectorELNS0_4arch9wavefront6targetE0EEEvSK_.has_dyn_sized_stack, 0
	.set _ZN7rocprim17ROCPRIM_400000_NS6detail17trampoline_kernelINS0_14default_configENS1_36segmented_radix_sort_config_selectorIflEEZNS1_25segmented_radix_sort_implIS3_Lb0EPKfPfPKlPlN2at6native12_GLOBAL__N_18offset_tEEE10hipError_tPvRmT1_PNSt15iterator_traitsISK_E10value_typeET2_T3_PNSL_ISQ_E10value_typeET4_jRbjT5_SW_jjP12ihipStream_tbEUlT_E0_NS1_11comp_targetILNS1_3genE3ELNS1_11target_archE908ELNS1_3gpuE7ELNS1_3repE0EEENS1_60segmented_radix_sort_warp_sort_medium_config_static_selectorELNS0_4arch9wavefront6targetE0EEEvSK_.has_recursion, 0
	.set _ZN7rocprim17ROCPRIM_400000_NS6detail17trampoline_kernelINS0_14default_configENS1_36segmented_radix_sort_config_selectorIflEEZNS1_25segmented_radix_sort_implIS3_Lb0EPKfPfPKlPlN2at6native12_GLOBAL__N_18offset_tEEE10hipError_tPvRmT1_PNSt15iterator_traitsISK_E10value_typeET2_T3_PNSL_ISQ_E10value_typeET4_jRbjT5_SW_jjP12ihipStream_tbEUlT_E0_NS1_11comp_targetILNS1_3genE3ELNS1_11target_archE908ELNS1_3gpuE7ELNS1_3repE0EEENS1_60segmented_radix_sort_warp_sort_medium_config_static_selectorELNS0_4arch9wavefront6targetE0EEEvSK_.has_indirect_call, 0
	.section	.AMDGPU.csdata,"",@progbits
; Kernel info:
; codeLenInByte = 0
; TotalNumSgprs: 0
; NumVgprs: 0
; ScratchSize: 0
; MemoryBound: 0
; FloatMode: 240
; IeeeMode: 1
; LDSByteSize: 0 bytes/workgroup (compile time only)
; SGPRBlocks: 0
; VGPRBlocks: 0
; NumSGPRsForWavesPerEU: 1
; NumVGPRsForWavesPerEU: 1
; Occupancy: 16
; WaveLimiterHint : 0
; COMPUTE_PGM_RSRC2:SCRATCH_EN: 0
; COMPUTE_PGM_RSRC2:USER_SGPR: 6
; COMPUTE_PGM_RSRC2:TRAP_HANDLER: 0
; COMPUTE_PGM_RSRC2:TGID_X_EN: 1
; COMPUTE_PGM_RSRC2:TGID_Y_EN: 0
; COMPUTE_PGM_RSRC2:TGID_Z_EN: 0
; COMPUTE_PGM_RSRC2:TIDIG_COMP_CNT: 0
	.section	.text._ZN7rocprim17ROCPRIM_400000_NS6detail17trampoline_kernelINS0_14default_configENS1_36segmented_radix_sort_config_selectorIflEEZNS1_25segmented_radix_sort_implIS3_Lb0EPKfPfPKlPlN2at6native12_GLOBAL__N_18offset_tEEE10hipError_tPvRmT1_PNSt15iterator_traitsISK_E10value_typeET2_T3_PNSL_ISQ_E10value_typeET4_jRbjT5_SW_jjP12ihipStream_tbEUlT_E0_NS1_11comp_targetILNS1_3genE2ELNS1_11target_archE906ELNS1_3gpuE6ELNS1_3repE0EEENS1_60segmented_radix_sort_warp_sort_medium_config_static_selectorELNS0_4arch9wavefront6targetE0EEEvSK_,"axG",@progbits,_ZN7rocprim17ROCPRIM_400000_NS6detail17trampoline_kernelINS0_14default_configENS1_36segmented_radix_sort_config_selectorIflEEZNS1_25segmented_radix_sort_implIS3_Lb0EPKfPfPKlPlN2at6native12_GLOBAL__N_18offset_tEEE10hipError_tPvRmT1_PNSt15iterator_traitsISK_E10value_typeET2_T3_PNSL_ISQ_E10value_typeET4_jRbjT5_SW_jjP12ihipStream_tbEUlT_E0_NS1_11comp_targetILNS1_3genE2ELNS1_11target_archE906ELNS1_3gpuE6ELNS1_3repE0EEENS1_60segmented_radix_sort_warp_sort_medium_config_static_selectorELNS0_4arch9wavefront6targetE0EEEvSK_,comdat
	.globl	_ZN7rocprim17ROCPRIM_400000_NS6detail17trampoline_kernelINS0_14default_configENS1_36segmented_radix_sort_config_selectorIflEEZNS1_25segmented_radix_sort_implIS3_Lb0EPKfPfPKlPlN2at6native12_GLOBAL__N_18offset_tEEE10hipError_tPvRmT1_PNSt15iterator_traitsISK_E10value_typeET2_T3_PNSL_ISQ_E10value_typeET4_jRbjT5_SW_jjP12ihipStream_tbEUlT_E0_NS1_11comp_targetILNS1_3genE2ELNS1_11target_archE906ELNS1_3gpuE6ELNS1_3repE0EEENS1_60segmented_radix_sort_warp_sort_medium_config_static_selectorELNS0_4arch9wavefront6targetE0EEEvSK_ ; -- Begin function _ZN7rocprim17ROCPRIM_400000_NS6detail17trampoline_kernelINS0_14default_configENS1_36segmented_radix_sort_config_selectorIflEEZNS1_25segmented_radix_sort_implIS3_Lb0EPKfPfPKlPlN2at6native12_GLOBAL__N_18offset_tEEE10hipError_tPvRmT1_PNSt15iterator_traitsISK_E10value_typeET2_T3_PNSL_ISQ_E10value_typeET4_jRbjT5_SW_jjP12ihipStream_tbEUlT_E0_NS1_11comp_targetILNS1_3genE2ELNS1_11target_archE906ELNS1_3gpuE6ELNS1_3repE0EEENS1_60segmented_radix_sort_warp_sort_medium_config_static_selectorELNS0_4arch9wavefront6targetE0EEEvSK_
	.p2align	8
	.type	_ZN7rocprim17ROCPRIM_400000_NS6detail17trampoline_kernelINS0_14default_configENS1_36segmented_radix_sort_config_selectorIflEEZNS1_25segmented_radix_sort_implIS3_Lb0EPKfPfPKlPlN2at6native12_GLOBAL__N_18offset_tEEE10hipError_tPvRmT1_PNSt15iterator_traitsISK_E10value_typeET2_T3_PNSL_ISQ_E10value_typeET4_jRbjT5_SW_jjP12ihipStream_tbEUlT_E0_NS1_11comp_targetILNS1_3genE2ELNS1_11target_archE906ELNS1_3gpuE6ELNS1_3repE0EEENS1_60segmented_radix_sort_warp_sort_medium_config_static_selectorELNS0_4arch9wavefront6targetE0EEEvSK_,@function
_ZN7rocprim17ROCPRIM_400000_NS6detail17trampoline_kernelINS0_14default_configENS1_36segmented_radix_sort_config_selectorIflEEZNS1_25segmented_radix_sort_implIS3_Lb0EPKfPfPKlPlN2at6native12_GLOBAL__N_18offset_tEEE10hipError_tPvRmT1_PNSt15iterator_traitsISK_E10value_typeET2_T3_PNSL_ISQ_E10value_typeET4_jRbjT5_SW_jjP12ihipStream_tbEUlT_E0_NS1_11comp_targetILNS1_3genE2ELNS1_11target_archE906ELNS1_3gpuE6ELNS1_3repE0EEENS1_60segmented_radix_sort_warp_sort_medium_config_static_selectorELNS0_4arch9wavefront6targetE0EEEvSK_: ; @_ZN7rocprim17ROCPRIM_400000_NS6detail17trampoline_kernelINS0_14default_configENS1_36segmented_radix_sort_config_selectorIflEEZNS1_25segmented_radix_sort_implIS3_Lb0EPKfPfPKlPlN2at6native12_GLOBAL__N_18offset_tEEE10hipError_tPvRmT1_PNSt15iterator_traitsISK_E10value_typeET2_T3_PNSL_ISQ_E10value_typeET4_jRbjT5_SW_jjP12ihipStream_tbEUlT_E0_NS1_11comp_targetILNS1_3genE2ELNS1_11target_archE906ELNS1_3gpuE6ELNS1_3repE0EEENS1_60segmented_radix_sort_warp_sort_medium_config_static_selectorELNS0_4arch9wavefront6targetE0EEEvSK_
; %bb.0:
	.section	.rodata,"a",@progbits
	.p2align	6, 0x0
	.amdhsa_kernel _ZN7rocprim17ROCPRIM_400000_NS6detail17trampoline_kernelINS0_14default_configENS1_36segmented_radix_sort_config_selectorIflEEZNS1_25segmented_radix_sort_implIS3_Lb0EPKfPfPKlPlN2at6native12_GLOBAL__N_18offset_tEEE10hipError_tPvRmT1_PNSt15iterator_traitsISK_E10value_typeET2_T3_PNSL_ISQ_E10value_typeET4_jRbjT5_SW_jjP12ihipStream_tbEUlT_E0_NS1_11comp_targetILNS1_3genE2ELNS1_11target_archE906ELNS1_3gpuE6ELNS1_3repE0EEENS1_60segmented_radix_sort_warp_sort_medium_config_static_selectorELNS0_4arch9wavefront6targetE0EEEvSK_
		.amdhsa_group_segment_fixed_size 0
		.amdhsa_private_segment_fixed_size 0
		.amdhsa_kernarg_size 88
		.amdhsa_user_sgpr_count 6
		.amdhsa_user_sgpr_private_segment_buffer 1
		.amdhsa_user_sgpr_dispatch_ptr 0
		.amdhsa_user_sgpr_queue_ptr 0
		.amdhsa_user_sgpr_kernarg_segment_ptr 1
		.amdhsa_user_sgpr_dispatch_id 0
		.amdhsa_user_sgpr_flat_scratch_init 0
		.amdhsa_user_sgpr_private_segment_size 0
		.amdhsa_wavefront_size32 1
		.amdhsa_uses_dynamic_stack 0
		.amdhsa_system_sgpr_private_segment_wavefront_offset 0
		.amdhsa_system_sgpr_workgroup_id_x 1
		.amdhsa_system_sgpr_workgroup_id_y 0
		.amdhsa_system_sgpr_workgroup_id_z 0
		.amdhsa_system_sgpr_workgroup_info 0
		.amdhsa_system_vgpr_workitem_id 0
		.amdhsa_next_free_vgpr 1
		.amdhsa_next_free_sgpr 1
		.amdhsa_reserve_vcc 0
		.amdhsa_reserve_flat_scratch 0
		.amdhsa_float_round_mode_32 0
		.amdhsa_float_round_mode_16_64 0
		.amdhsa_float_denorm_mode_32 3
		.amdhsa_float_denorm_mode_16_64 3
		.amdhsa_dx10_clamp 1
		.amdhsa_ieee_mode 1
		.amdhsa_fp16_overflow 0
		.amdhsa_workgroup_processor_mode 1
		.amdhsa_memory_ordered 1
		.amdhsa_forward_progress 1
		.amdhsa_shared_vgpr_count 0
		.amdhsa_exception_fp_ieee_invalid_op 0
		.amdhsa_exception_fp_denorm_src 0
		.amdhsa_exception_fp_ieee_div_zero 0
		.amdhsa_exception_fp_ieee_overflow 0
		.amdhsa_exception_fp_ieee_underflow 0
		.amdhsa_exception_fp_ieee_inexact 0
		.amdhsa_exception_int_div_zero 0
	.end_amdhsa_kernel
	.section	.text._ZN7rocprim17ROCPRIM_400000_NS6detail17trampoline_kernelINS0_14default_configENS1_36segmented_radix_sort_config_selectorIflEEZNS1_25segmented_radix_sort_implIS3_Lb0EPKfPfPKlPlN2at6native12_GLOBAL__N_18offset_tEEE10hipError_tPvRmT1_PNSt15iterator_traitsISK_E10value_typeET2_T3_PNSL_ISQ_E10value_typeET4_jRbjT5_SW_jjP12ihipStream_tbEUlT_E0_NS1_11comp_targetILNS1_3genE2ELNS1_11target_archE906ELNS1_3gpuE6ELNS1_3repE0EEENS1_60segmented_radix_sort_warp_sort_medium_config_static_selectorELNS0_4arch9wavefront6targetE0EEEvSK_,"axG",@progbits,_ZN7rocprim17ROCPRIM_400000_NS6detail17trampoline_kernelINS0_14default_configENS1_36segmented_radix_sort_config_selectorIflEEZNS1_25segmented_radix_sort_implIS3_Lb0EPKfPfPKlPlN2at6native12_GLOBAL__N_18offset_tEEE10hipError_tPvRmT1_PNSt15iterator_traitsISK_E10value_typeET2_T3_PNSL_ISQ_E10value_typeET4_jRbjT5_SW_jjP12ihipStream_tbEUlT_E0_NS1_11comp_targetILNS1_3genE2ELNS1_11target_archE906ELNS1_3gpuE6ELNS1_3repE0EEENS1_60segmented_radix_sort_warp_sort_medium_config_static_selectorELNS0_4arch9wavefront6targetE0EEEvSK_,comdat
.Lfunc_end1434:
	.size	_ZN7rocprim17ROCPRIM_400000_NS6detail17trampoline_kernelINS0_14default_configENS1_36segmented_radix_sort_config_selectorIflEEZNS1_25segmented_radix_sort_implIS3_Lb0EPKfPfPKlPlN2at6native12_GLOBAL__N_18offset_tEEE10hipError_tPvRmT1_PNSt15iterator_traitsISK_E10value_typeET2_T3_PNSL_ISQ_E10value_typeET4_jRbjT5_SW_jjP12ihipStream_tbEUlT_E0_NS1_11comp_targetILNS1_3genE2ELNS1_11target_archE906ELNS1_3gpuE6ELNS1_3repE0EEENS1_60segmented_radix_sort_warp_sort_medium_config_static_selectorELNS0_4arch9wavefront6targetE0EEEvSK_, .Lfunc_end1434-_ZN7rocprim17ROCPRIM_400000_NS6detail17trampoline_kernelINS0_14default_configENS1_36segmented_radix_sort_config_selectorIflEEZNS1_25segmented_radix_sort_implIS3_Lb0EPKfPfPKlPlN2at6native12_GLOBAL__N_18offset_tEEE10hipError_tPvRmT1_PNSt15iterator_traitsISK_E10value_typeET2_T3_PNSL_ISQ_E10value_typeET4_jRbjT5_SW_jjP12ihipStream_tbEUlT_E0_NS1_11comp_targetILNS1_3genE2ELNS1_11target_archE906ELNS1_3gpuE6ELNS1_3repE0EEENS1_60segmented_radix_sort_warp_sort_medium_config_static_selectorELNS0_4arch9wavefront6targetE0EEEvSK_
                                        ; -- End function
	.set _ZN7rocprim17ROCPRIM_400000_NS6detail17trampoline_kernelINS0_14default_configENS1_36segmented_radix_sort_config_selectorIflEEZNS1_25segmented_radix_sort_implIS3_Lb0EPKfPfPKlPlN2at6native12_GLOBAL__N_18offset_tEEE10hipError_tPvRmT1_PNSt15iterator_traitsISK_E10value_typeET2_T3_PNSL_ISQ_E10value_typeET4_jRbjT5_SW_jjP12ihipStream_tbEUlT_E0_NS1_11comp_targetILNS1_3genE2ELNS1_11target_archE906ELNS1_3gpuE6ELNS1_3repE0EEENS1_60segmented_radix_sort_warp_sort_medium_config_static_selectorELNS0_4arch9wavefront6targetE0EEEvSK_.num_vgpr, 0
	.set _ZN7rocprim17ROCPRIM_400000_NS6detail17trampoline_kernelINS0_14default_configENS1_36segmented_radix_sort_config_selectorIflEEZNS1_25segmented_radix_sort_implIS3_Lb0EPKfPfPKlPlN2at6native12_GLOBAL__N_18offset_tEEE10hipError_tPvRmT1_PNSt15iterator_traitsISK_E10value_typeET2_T3_PNSL_ISQ_E10value_typeET4_jRbjT5_SW_jjP12ihipStream_tbEUlT_E0_NS1_11comp_targetILNS1_3genE2ELNS1_11target_archE906ELNS1_3gpuE6ELNS1_3repE0EEENS1_60segmented_radix_sort_warp_sort_medium_config_static_selectorELNS0_4arch9wavefront6targetE0EEEvSK_.num_agpr, 0
	.set _ZN7rocprim17ROCPRIM_400000_NS6detail17trampoline_kernelINS0_14default_configENS1_36segmented_radix_sort_config_selectorIflEEZNS1_25segmented_radix_sort_implIS3_Lb0EPKfPfPKlPlN2at6native12_GLOBAL__N_18offset_tEEE10hipError_tPvRmT1_PNSt15iterator_traitsISK_E10value_typeET2_T3_PNSL_ISQ_E10value_typeET4_jRbjT5_SW_jjP12ihipStream_tbEUlT_E0_NS1_11comp_targetILNS1_3genE2ELNS1_11target_archE906ELNS1_3gpuE6ELNS1_3repE0EEENS1_60segmented_radix_sort_warp_sort_medium_config_static_selectorELNS0_4arch9wavefront6targetE0EEEvSK_.numbered_sgpr, 0
	.set _ZN7rocprim17ROCPRIM_400000_NS6detail17trampoline_kernelINS0_14default_configENS1_36segmented_radix_sort_config_selectorIflEEZNS1_25segmented_radix_sort_implIS3_Lb0EPKfPfPKlPlN2at6native12_GLOBAL__N_18offset_tEEE10hipError_tPvRmT1_PNSt15iterator_traitsISK_E10value_typeET2_T3_PNSL_ISQ_E10value_typeET4_jRbjT5_SW_jjP12ihipStream_tbEUlT_E0_NS1_11comp_targetILNS1_3genE2ELNS1_11target_archE906ELNS1_3gpuE6ELNS1_3repE0EEENS1_60segmented_radix_sort_warp_sort_medium_config_static_selectorELNS0_4arch9wavefront6targetE0EEEvSK_.num_named_barrier, 0
	.set _ZN7rocprim17ROCPRIM_400000_NS6detail17trampoline_kernelINS0_14default_configENS1_36segmented_radix_sort_config_selectorIflEEZNS1_25segmented_radix_sort_implIS3_Lb0EPKfPfPKlPlN2at6native12_GLOBAL__N_18offset_tEEE10hipError_tPvRmT1_PNSt15iterator_traitsISK_E10value_typeET2_T3_PNSL_ISQ_E10value_typeET4_jRbjT5_SW_jjP12ihipStream_tbEUlT_E0_NS1_11comp_targetILNS1_3genE2ELNS1_11target_archE906ELNS1_3gpuE6ELNS1_3repE0EEENS1_60segmented_radix_sort_warp_sort_medium_config_static_selectorELNS0_4arch9wavefront6targetE0EEEvSK_.private_seg_size, 0
	.set _ZN7rocprim17ROCPRIM_400000_NS6detail17trampoline_kernelINS0_14default_configENS1_36segmented_radix_sort_config_selectorIflEEZNS1_25segmented_radix_sort_implIS3_Lb0EPKfPfPKlPlN2at6native12_GLOBAL__N_18offset_tEEE10hipError_tPvRmT1_PNSt15iterator_traitsISK_E10value_typeET2_T3_PNSL_ISQ_E10value_typeET4_jRbjT5_SW_jjP12ihipStream_tbEUlT_E0_NS1_11comp_targetILNS1_3genE2ELNS1_11target_archE906ELNS1_3gpuE6ELNS1_3repE0EEENS1_60segmented_radix_sort_warp_sort_medium_config_static_selectorELNS0_4arch9wavefront6targetE0EEEvSK_.uses_vcc, 0
	.set _ZN7rocprim17ROCPRIM_400000_NS6detail17trampoline_kernelINS0_14default_configENS1_36segmented_radix_sort_config_selectorIflEEZNS1_25segmented_radix_sort_implIS3_Lb0EPKfPfPKlPlN2at6native12_GLOBAL__N_18offset_tEEE10hipError_tPvRmT1_PNSt15iterator_traitsISK_E10value_typeET2_T3_PNSL_ISQ_E10value_typeET4_jRbjT5_SW_jjP12ihipStream_tbEUlT_E0_NS1_11comp_targetILNS1_3genE2ELNS1_11target_archE906ELNS1_3gpuE6ELNS1_3repE0EEENS1_60segmented_radix_sort_warp_sort_medium_config_static_selectorELNS0_4arch9wavefront6targetE0EEEvSK_.uses_flat_scratch, 0
	.set _ZN7rocprim17ROCPRIM_400000_NS6detail17trampoline_kernelINS0_14default_configENS1_36segmented_radix_sort_config_selectorIflEEZNS1_25segmented_radix_sort_implIS3_Lb0EPKfPfPKlPlN2at6native12_GLOBAL__N_18offset_tEEE10hipError_tPvRmT1_PNSt15iterator_traitsISK_E10value_typeET2_T3_PNSL_ISQ_E10value_typeET4_jRbjT5_SW_jjP12ihipStream_tbEUlT_E0_NS1_11comp_targetILNS1_3genE2ELNS1_11target_archE906ELNS1_3gpuE6ELNS1_3repE0EEENS1_60segmented_radix_sort_warp_sort_medium_config_static_selectorELNS0_4arch9wavefront6targetE0EEEvSK_.has_dyn_sized_stack, 0
	.set _ZN7rocprim17ROCPRIM_400000_NS6detail17trampoline_kernelINS0_14default_configENS1_36segmented_radix_sort_config_selectorIflEEZNS1_25segmented_radix_sort_implIS3_Lb0EPKfPfPKlPlN2at6native12_GLOBAL__N_18offset_tEEE10hipError_tPvRmT1_PNSt15iterator_traitsISK_E10value_typeET2_T3_PNSL_ISQ_E10value_typeET4_jRbjT5_SW_jjP12ihipStream_tbEUlT_E0_NS1_11comp_targetILNS1_3genE2ELNS1_11target_archE906ELNS1_3gpuE6ELNS1_3repE0EEENS1_60segmented_radix_sort_warp_sort_medium_config_static_selectorELNS0_4arch9wavefront6targetE0EEEvSK_.has_recursion, 0
	.set _ZN7rocprim17ROCPRIM_400000_NS6detail17trampoline_kernelINS0_14default_configENS1_36segmented_radix_sort_config_selectorIflEEZNS1_25segmented_radix_sort_implIS3_Lb0EPKfPfPKlPlN2at6native12_GLOBAL__N_18offset_tEEE10hipError_tPvRmT1_PNSt15iterator_traitsISK_E10value_typeET2_T3_PNSL_ISQ_E10value_typeET4_jRbjT5_SW_jjP12ihipStream_tbEUlT_E0_NS1_11comp_targetILNS1_3genE2ELNS1_11target_archE906ELNS1_3gpuE6ELNS1_3repE0EEENS1_60segmented_radix_sort_warp_sort_medium_config_static_selectorELNS0_4arch9wavefront6targetE0EEEvSK_.has_indirect_call, 0
	.section	.AMDGPU.csdata,"",@progbits
; Kernel info:
; codeLenInByte = 0
; TotalNumSgprs: 0
; NumVgprs: 0
; ScratchSize: 0
; MemoryBound: 0
; FloatMode: 240
; IeeeMode: 1
; LDSByteSize: 0 bytes/workgroup (compile time only)
; SGPRBlocks: 0
; VGPRBlocks: 0
; NumSGPRsForWavesPerEU: 1
; NumVGPRsForWavesPerEU: 1
; Occupancy: 16
; WaveLimiterHint : 0
; COMPUTE_PGM_RSRC2:SCRATCH_EN: 0
; COMPUTE_PGM_RSRC2:USER_SGPR: 6
; COMPUTE_PGM_RSRC2:TRAP_HANDLER: 0
; COMPUTE_PGM_RSRC2:TGID_X_EN: 1
; COMPUTE_PGM_RSRC2:TGID_Y_EN: 0
; COMPUTE_PGM_RSRC2:TGID_Z_EN: 0
; COMPUTE_PGM_RSRC2:TIDIG_COMP_CNT: 0
	.section	.text._ZN7rocprim17ROCPRIM_400000_NS6detail17trampoline_kernelINS0_14default_configENS1_36segmented_radix_sort_config_selectorIflEEZNS1_25segmented_radix_sort_implIS3_Lb0EPKfPfPKlPlN2at6native12_GLOBAL__N_18offset_tEEE10hipError_tPvRmT1_PNSt15iterator_traitsISK_E10value_typeET2_T3_PNSL_ISQ_E10value_typeET4_jRbjT5_SW_jjP12ihipStream_tbEUlT_E0_NS1_11comp_targetILNS1_3genE10ELNS1_11target_archE1201ELNS1_3gpuE5ELNS1_3repE0EEENS1_60segmented_radix_sort_warp_sort_medium_config_static_selectorELNS0_4arch9wavefront6targetE0EEEvSK_,"axG",@progbits,_ZN7rocprim17ROCPRIM_400000_NS6detail17trampoline_kernelINS0_14default_configENS1_36segmented_radix_sort_config_selectorIflEEZNS1_25segmented_radix_sort_implIS3_Lb0EPKfPfPKlPlN2at6native12_GLOBAL__N_18offset_tEEE10hipError_tPvRmT1_PNSt15iterator_traitsISK_E10value_typeET2_T3_PNSL_ISQ_E10value_typeET4_jRbjT5_SW_jjP12ihipStream_tbEUlT_E0_NS1_11comp_targetILNS1_3genE10ELNS1_11target_archE1201ELNS1_3gpuE5ELNS1_3repE0EEENS1_60segmented_radix_sort_warp_sort_medium_config_static_selectorELNS0_4arch9wavefront6targetE0EEEvSK_,comdat
	.globl	_ZN7rocprim17ROCPRIM_400000_NS6detail17trampoline_kernelINS0_14default_configENS1_36segmented_radix_sort_config_selectorIflEEZNS1_25segmented_radix_sort_implIS3_Lb0EPKfPfPKlPlN2at6native12_GLOBAL__N_18offset_tEEE10hipError_tPvRmT1_PNSt15iterator_traitsISK_E10value_typeET2_T3_PNSL_ISQ_E10value_typeET4_jRbjT5_SW_jjP12ihipStream_tbEUlT_E0_NS1_11comp_targetILNS1_3genE10ELNS1_11target_archE1201ELNS1_3gpuE5ELNS1_3repE0EEENS1_60segmented_radix_sort_warp_sort_medium_config_static_selectorELNS0_4arch9wavefront6targetE0EEEvSK_ ; -- Begin function _ZN7rocprim17ROCPRIM_400000_NS6detail17trampoline_kernelINS0_14default_configENS1_36segmented_radix_sort_config_selectorIflEEZNS1_25segmented_radix_sort_implIS3_Lb0EPKfPfPKlPlN2at6native12_GLOBAL__N_18offset_tEEE10hipError_tPvRmT1_PNSt15iterator_traitsISK_E10value_typeET2_T3_PNSL_ISQ_E10value_typeET4_jRbjT5_SW_jjP12ihipStream_tbEUlT_E0_NS1_11comp_targetILNS1_3genE10ELNS1_11target_archE1201ELNS1_3gpuE5ELNS1_3repE0EEENS1_60segmented_radix_sort_warp_sort_medium_config_static_selectorELNS0_4arch9wavefront6targetE0EEEvSK_
	.p2align	8
	.type	_ZN7rocprim17ROCPRIM_400000_NS6detail17trampoline_kernelINS0_14default_configENS1_36segmented_radix_sort_config_selectorIflEEZNS1_25segmented_radix_sort_implIS3_Lb0EPKfPfPKlPlN2at6native12_GLOBAL__N_18offset_tEEE10hipError_tPvRmT1_PNSt15iterator_traitsISK_E10value_typeET2_T3_PNSL_ISQ_E10value_typeET4_jRbjT5_SW_jjP12ihipStream_tbEUlT_E0_NS1_11comp_targetILNS1_3genE10ELNS1_11target_archE1201ELNS1_3gpuE5ELNS1_3repE0EEENS1_60segmented_radix_sort_warp_sort_medium_config_static_selectorELNS0_4arch9wavefront6targetE0EEEvSK_,@function
_ZN7rocprim17ROCPRIM_400000_NS6detail17trampoline_kernelINS0_14default_configENS1_36segmented_radix_sort_config_selectorIflEEZNS1_25segmented_radix_sort_implIS3_Lb0EPKfPfPKlPlN2at6native12_GLOBAL__N_18offset_tEEE10hipError_tPvRmT1_PNSt15iterator_traitsISK_E10value_typeET2_T3_PNSL_ISQ_E10value_typeET4_jRbjT5_SW_jjP12ihipStream_tbEUlT_E0_NS1_11comp_targetILNS1_3genE10ELNS1_11target_archE1201ELNS1_3gpuE5ELNS1_3repE0EEENS1_60segmented_radix_sort_warp_sort_medium_config_static_selectorELNS0_4arch9wavefront6targetE0EEEvSK_: ; @_ZN7rocprim17ROCPRIM_400000_NS6detail17trampoline_kernelINS0_14default_configENS1_36segmented_radix_sort_config_selectorIflEEZNS1_25segmented_radix_sort_implIS3_Lb0EPKfPfPKlPlN2at6native12_GLOBAL__N_18offset_tEEE10hipError_tPvRmT1_PNSt15iterator_traitsISK_E10value_typeET2_T3_PNSL_ISQ_E10value_typeET4_jRbjT5_SW_jjP12ihipStream_tbEUlT_E0_NS1_11comp_targetILNS1_3genE10ELNS1_11target_archE1201ELNS1_3gpuE5ELNS1_3repE0EEENS1_60segmented_radix_sort_warp_sort_medium_config_static_selectorELNS0_4arch9wavefront6targetE0EEEvSK_
; %bb.0:
	.section	.rodata,"a",@progbits
	.p2align	6, 0x0
	.amdhsa_kernel _ZN7rocprim17ROCPRIM_400000_NS6detail17trampoline_kernelINS0_14default_configENS1_36segmented_radix_sort_config_selectorIflEEZNS1_25segmented_radix_sort_implIS3_Lb0EPKfPfPKlPlN2at6native12_GLOBAL__N_18offset_tEEE10hipError_tPvRmT1_PNSt15iterator_traitsISK_E10value_typeET2_T3_PNSL_ISQ_E10value_typeET4_jRbjT5_SW_jjP12ihipStream_tbEUlT_E0_NS1_11comp_targetILNS1_3genE10ELNS1_11target_archE1201ELNS1_3gpuE5ELNS1_3repE0EEENS1_60segmented_radix_sort_warp_sort_medium_config_static_selectorELNS0_4arch9wavefront6targetE0EEEvSK_
		.amdhsa_group_segment_fixed_size 0
		.amdhsa_private_segment_fixed_size 0
		.amdhsa_kernarg_size 88
		.amdhsa_user_sgpr_count 6
		.amdhsa_user_sgpr_private_segment_buffer 1
		.amdhsa_user_sgpr_dispatch_ptr 0
		.amdhsa_user_sgpr_queue_ptr 0
		.amdhsa_user_sgpr_kernarg_segment_ptr 1
		.amdhsa_user_sgpr_dispatch_id 0
		.amdhsa_user_sgpr_flat_scratch_init 0
		.amdhsa_user_sgpr_private_segment_size 0
		.amdhsa_wavefront_size32 1
		.amdhsa_uses_dynamic_stack 0
		.amdhsa_system_sgpr_private_segment_wavefront_offset 0
		.amdhsa_system_sgpr_workgroup_id_x 1
		.amdhsa_system_sgpr_workgroup_id_y 0
		.amdhsa_system_sgpr_workgroup_id_z 0
		.amdhsa_system_sgpr_workgroup_info 0
		.amdhsa_system_vgpr_workitem_id 0
		.amdhsa_next_free_vgpr 1
		.amdhsa_next_free_sgpr 1
		.amdhsa_reserve_vcc 0
		.amdhsa_reserve_flat_scratch 0
		.amdhsa_float_round_mode_32 0
		.amdhsa_float_round_mode_16_64 0
		.amdhsa_float_denorm_mode_32 3
		.amdhsa_float_denorm_mode_16_64 3
		.amdhsa_dx10_clamp 1
		.amdhsa_ieee_mode 1
		.amdhsa_fp16_overflow 0
		.amdhsa_workgroup_processor_mode 1
		.amdhsa_memory_ordered 1
		.amdhsa_forward_progress 1
		.amdhsa_shared_vgpr_count 0
		.amdhsa_exception_fp_ieee_invalid_op 0
		.amdhsa_exception_fp_denorm_src 0
		.amdhsa_exception_fp_ieee_div_zero 0
		.amdhsa_exception_fp_ieee_overflow 0
		.amdhsa_exception_fp_ieee_underflow 0
		.amdhsa_exception_fp_ieee_inexact 0
		.amdhsa_exception_int_div_zero 0
	.end_amdhsa_kernel
	.section	.text._ZN7rocprim17ROCPRIM_400000_NS6detail17trampoline_kernelINS0_14default_configENS1_36segmented_radix_sort_config_selectorIflEEZNS1_25segmented_radix_sort_implIS3_Lb0EPKfPfPKlPlN2at6native12_GLOBAL__N_18offset_tEEE10hipError_tPvRmT1_PNSt15iterator_traitsISK_E10value_typeET2_T3_PNSL_ISQ_E10value_typeET4_jRbjT5_SW_jjP12ihipStream_tbEUlT_E0_NS1_11comp_targetILNS1_3genE10ELNS1_11target_archE1201ELNS1_3gpuE5ELNS1_3repE0EEENS1_60segmented_radix_sort_warp_sort_medium_config_static_selectorELNS0_4arch9wavefront6targetE0EEEvSK_,"axG",@progbits,_ZN7rocprim17ROCPRIM_400000_NS6detail17trampoline_kernelINS0_14default_configENS1_36segmented_radix_sort_config_selectorIflEEZNS1_25segmented_radix_sort_implIS3_Lb0EPKfPfPKlPlN2at6native12_GLOBAL__N_18offset_tEEE10hipError_tPvRmT1_PNSt15iterator_traitsISK_E10value_typeET2_T3_PNSL_ISQ_E10value_typeET4_jRbjT5_SW_jjP12ihipStream_tbEUlT_E0_NS1_11comp_targetILNS1_3genE10ELNS1_11target_archE1201ELNS1_3gpuE5ELNS1_3repE0EEENS1_60segmented_radix_sort_warp_sort_medium_config_static_selectorELNS0_4arch9wavefront6targetE0EEEvSK_,comdat
.Lfunc_end1435:
	.size	_ZN7rocprim17ROCPRIM_400000_NS6detail17trampoline_kernelINS0_14default_configENS1_36segmented_radix_sort_config_selectorIflEEZNS1_25segmented_radix_sort_implIS3_Lb0EPKfPfPKlPlN2at6native12_GLOBAL__N_18offset_tEEE10hipError_tPvRmT1_PNSt15iterator_traitsISK_E10value_typeET2_T3_PNSL_ISQ_E10value_typeET4_jRbjT5_SW_jjP12ihipStream_tbEUlT_E0_NS1_11comp_targetILNS1_3genE10ELNS1_11target_archE1201ELNS1_3gpuE5ELNS1_3repE0EEENS1_60segmented_radix_sort_warp_sort_medium_config_static_selectorELNS0_4arch9wavefront6targetE0EEEvSK_, .Lfunc_end1435-_ZN7rocprim17ROCPRIM_400000_NS6detail17trampoline_kernelINS0_14default_configENS1_36segmented_radix_sort_config_selectorIflEEZNS1_25segmented_radix_sort_implIS3_Lb0EPKfPfPKlPlN2at6native12_GLOBAL__N_18offset_tEEE10hipError_tPvRmT1_PNSt15iterator_traitsISK_E10value_typeET2_T3_PNSL_ISQ_E10value_typeET4_jRbjT5_SW_jjP12ihipStream_tbEUlT_E0_NS1_11comp_targetILNS1_3genE10ELNS1_11target_archE1201ELNS1_3gpuE5ELNS1_3repE0EEENS1_60segmented_radix_sort_warp_sort_medium_config_static_selectorELNS0_4arch9wavefront6targetE0EEEvSK_
                                        ; -- End function
	.set _ZN7rocprim17ROCPRIM_400000_NS6detail17trampoline_kernelINS0_14default_configENS1_36segmented_radix_sort_config_selectorIflEEZNS1_25segmented_radix_sort_implIS3_Lb0EPKfPfPKlPlN2at6native12_GLOBAL__N_18offset_tEEE10hipError_tPvRmT1_PNSt15iterator_traitsISK_E10value_typeET2_T3_PNSL_ISQ_E10value_typeET4_jRbjT5_SW_jjP12ihipStream_tbEUlT_E0_NS1_11comp_targetILNS1_3genE10ELNS1_11target_archE1201ELNS1_3gpuE5ELNS1_3repE0EEENS1_60segmented_radix_sort_warp_sort_medium_config_static_selectorELNS0_4arch9wavefront6targetE0EEEvSK_.num_vgpr, 0
	.set _ZN7rocprim17ROCPRIM_400000_NS6detail17trampoline_kernelINS0_14default_configENS1_36segmented_radix_sort_config_selectorIflEEZNS1_25segmented_radix_sort_implIS3_Lb0EPKfPfPKlPlN2at6native12_GLOBAL__N_18offset_tEEE10hipError_tPvRmT1_PNSt15iterator_traitsISK_E10value_typeET2_T3_PNSL_ISQ_E10value_typeET4_jRbjT5_SW_jjP12ihipStream_tbEUlT_E0_NS1_11comp_targetILNS1_3genE10ELNS1_11target_archE1201ELNS1_3gpuE5ELNS1_3repE0EEENS1_60segmented_radix_sort_warp_sort_medium_config_static_selectorELNS0_4arch9wavefront6targetE0EEEvSK_.num_agpr, 0
	.set _ZN7rocprim17ROCPRIM_400000_NS6detail17trampoline_kernelINS0_14default_configENS1_36segmented_radix_sort_config_selectorIflEEZNS1_25segmented_radix_sort_implIS3_Lb0EPKfPfPKlPlN2at6native12_GLOBAL__N_18offset_tEEE10hipError_tPvRmT1_PNSt15iterator_traitsISK_E10value_typeET2_T3_PNSL_ISQ_E10value_typeET4_jRbjT5_SW_jjP12ihipStream_tbEUlT_E0_NS1_11comp_targetILNS1_3genE10ELNS1_11target_archE1201ELNS1_3gpuE5ELNS1_3repE0EEENS1_60segmented_radix_sort_warp_sort_medium_config_static_selectorELNS0_4arch9wavefront6targetE0EEEvSK_.numbered_sgpr, 0
	.set _ZN7rocprim17ROCPRIM_400000_NS6detail17trampoline_kernelINS0_14default_configENS1_36segmented_radix_sort_config_selectorIflEEZNS1_25segmented_radix_sort_implIS3_Lb0EPKfPfPKlPlN2at6native12_GLOBAL__N_18offset_tEEE10hipError_tPvRmT1_PNSt15iterator_traitsISK_E10value_typeET2_T3_PNSL_ISQ_E10value_typeET4_jRbjT5_SW_jjP12ihipStream_tbEUlT_E0_NS1_11comp_targetILNS1_3genE10ELNS1_11target_archE1201ELNS1_3gpuE5ELNS1_3repE0EEENS1_60segmented_radix_sort_warp_sort_medium_config_static_selectorELNS0_4arch9wavefront6targetE0EEEvSK_.num_named_barrier, 0
	.set _ZN7rocprim17ROCPRIM_400000_NS6detail17trampoline_kernelINS0_14default_configENS1_36segmented_radix_sort_config_selectorIflEEZNS1_25segmented_radix_sort_implIS3_Lb0EPKfPfPKlPlN2at6native12_GLOBAL__N_18offset_tEEE10hipError_tPvRmT1_PNSt15iterator_traitsISK_E10value_typeET2_T3_PNSL_ISQ_E10value_typeET4_jRbjT5_SW_jjP12ihipStream_tbEUlT_E0_NS1_11comp_targetILNS1_3genE10ELNS1_11target_archE1201ELNS1_3gpuE5ELNS1_3repE0EEENS1_60segmented_radix_sort_warp_sort_medium_config_static_selectorELNS0_4arch9wavefront6targetE0EEEvSK_.private_seg_size, 0
	.set _ZN7rocprim17ROCPRIM_400000_NS6detail17trampoline_kernelINS0_14default_configENS1_36segmented_radix_sort_config_selectorIflEEZNS1_25segmented_radix_sort_implIS3_Lb0EPKfPfPKlPlN2at6native12_GLOBAL__N_18offset_tEEE10hipError_tPvRmT1_PNSt15iterator_traitsISK_E10value_typeET2_T3_PNSL_ISQ_E10value_typeET4_jRbjT5_SW_jjP12ihipStream_tbEUlT_E0_NS1_11comp_targetILNS1_3genE10ELNS1_11target_archE1201ELNS1_3gpuE5ELNS1_3repE0EEENS1_60segmented_radix_sort_warp_sort_medium_config_static_selectorELNS0_4arch9wavefront6targetE0EEEvSK_.uses_vcc, 0
	.set _ZN7rocprim17ROCPRIM_400000_NS6detail17trampoline_kernelINS0_14default_configENS1_36segmented_radix_sort_config_selectorIflEEZNS1_25segmented_radix_sort_implIS3_Lb0EPKfPfPKlPlN2at6native12_GLOBAL__N_18offset_tEEE10hipError_tPvRmT1_PNSt15iterator_traitsISK_E10value_typeET2_T3_PNSL_ISQ_E10value_typeET4_jRbjT5_SW_jjP12ihipStream_tbEUlT_E0_NS1_11comp_targetILNS1_3genE10ELNS1_11target_archE1201ELNS1_3gpuE5ELNS1_3repE0EEENS1_60segmented_radix_sort_warp_sort_medium_config_static_selectorELNS0_4arch9wavefront6targetE0EEEvSK_.uses_flat_scratch, 0
	.set _ZN7rocprim17ROCPRIM_400000_NS6detail17trampoline_kernelINS0_14default_configENS1_36segmented_radix_sort_config_selectorIflEEZNS1_25segmented_radix_sort_implIS3_Lb0EPKfPfPKlPlN2at6native12_GLOBAL__N_18offset_tEEE10hipError_tPvRmT1_PNSt15iterator_traitsISK_E10value_typeET2_T3_PNSL_ISQ_E10value_typeET4_jRbjT5_SW_jjP12ihipStream_tbEUlT_E0_NS1_11comp_targetILNS1_3genE10ELNS1_11target_archE1201ELNS1_3gpuE5ELNS1_3repE0EEENS1_60segmented_radix_sort_warp_sort_medium_config_static_selectorELNS0_4arch9wavefront6targetE0EEEvSK_.has_dyn_sized_stack, 0
	.set _ZN7rocprim17ROCPRIM_400000_NS6detail17trampoline_kernelINS0_14default_configENS1_36segmented_radix_sort_config_selectorIflEEZNS1_25segmented_radix_sort_implIS3_Lb0EPKfPfPKlPlN2at6native12_GLOBAL__N_18offset_tEEE10hipError_tPvRmT1_PNSt15iterator_traitsISK_E10value_typeET2_T3_PNSL_ISQ_E10value_typeET4_jRbjT5_SW_jjP12ihipStream_tbEUlT_E0_NS1_11comp_targetILNS1_3genE10ELNS1_11target_archE1201ELNS1_3gpuE5ELNS1_3repE0EEENS1_60segmented_radix_sort_warp_sort_medium_config_static_selectorELNS0_4arch9wavefront6targetE0EEEvSK_.has_recursion, 0
	.set _ZN7rocprim17ROCPRIM_400000_NS6detail17trampoline_kernelINS0_14default_configENS1_36segmented_radix_sort_config_selectorIflEEZNS1_25segmented_radix_sort_implIS3_Lb0EPKfPfPKlPlN2at6native12_GLOBAL__N_18offset_tEEE10hipError_tPvRmT1_PNSt15iterator_traitsISK_E10value_typeET2_T3_PNSL_ISQ_E10value_typeET4_jRbjT5_SW_jjP12ihipStream_tbEUlT_E0_NS1_11comp_targetILNS1_3genE10ELNS1_11target_archE1201ELNS1_3gpuE5ELNS1_3repE0EEENS1_60segmented_radix_sort_warp_sort_medium_config_static_selectorELNS0_4arch9wavefront6targetE0EEEvSK_.has_indirect_call, 0
	.section	.AMDGPU.csdata,"",@progbits
; Kernel info:
; codeLenInByte = 0
; TotalNumSgprs: 0
; NumVgprs: 0
; ScratchSize: 0
; MemoryBound: 0
; FloatMode: 240
; IeeeMode: 1
; LDSByteSize: 0 bytes/workgroup (compile time only)
; SGPRBlocks: 0
; VGPRBlocks: 0
; NumSGPRsForWavesPerEU: 1
; NumVGPRsForWavesPerEU: 1
; Occupancy: 16
; WaveLimiterHint : 0
; COMPUTE_PGM_RSRC2:SCRATCH_EN: 0
; COMPUTE_PGM_RSRC2:USER_SGPR: 6
; COMPUTE_PGM_RSRC2:TRAP_HANDLER: 0
; COMPUTE_PGM_RSRC2:TGID_X_EN: 1
; COMPUTE_PGM_RSRC2:TGID_Y_EN: 0
; COMPUTE_PGM_RSRC2:TGID_Z_EN: 0
; COMPUTE_PGM_RSRC2:TIDIG_COMP_CNT: 0
	.section	.text._ZN7rocprim17ROCPRIM_400000_NS6detail17trampoline_kernelINS0_14default_configENS1_36segmented_radix_sort_config_selectorIflEEZNS1_25segmented_radix_sort_implIS3_Lb0EPKfPfPKlPlN2at6native12_GLOBAL__N_18offset_tEEE10hipError_tPvRmT1_PNSt15iterator_traitsISK_E10value_typeET2_T3_PNSL_ISQ_E10value_typeET4_jRbjT5_SW_jjP12ihipStream_tbEUlT_E0_NS1_11comp_targetILNS1_3genE10ELNS1_11target_archE1200ELNS1_3gpuE4ELNS1_3repE0EEENS1_60segmented_radix_sort_warp_sort_medium_config_static_selectorELNS0_4arch9wavefront6targetE0EEEvSK_,"axG",@progbits,_ZN7rocprim17ROCPRIM_400000_NS6detail17trampoline_kernelINS0_14default_configENS1_36segmented_radix_sort_config_selectorIflEEZNS1_25segmented_radix_sort_implIS3_Lb0EPKfPfPKlPlN2at6native12_GLOBAL__N_18offset_tEEE10hipError_tPvRmT1_PNSt15iterator_traitsISK_E10value_typeET2_T3_PNSL_ISQ_E10value_typeET4_jRbjT5_SW_jjP12ihipStream_tbEUlT_E0_NS1_11comp_targetILNS1_3genE10ELNS1_11target_archE1200ELNS1_3gpuE4ELNS1_3repE0EEENS1_60segmented_radix_sort_warp_sort_medium_config_static_selectorELNS0_4arch9wavefront6targetE0EEEvSK_,comdat
	.globl	_ZN7rocprim17ROCPRIM_400000_NS6detail17trampoline_kernelINS0_14default_configENS1_36segmented_radix_sort_config_selectorIflEEZNS1_25segmented_radix_sort_implIS3_Lb0EPKfPfPKlPlN2at6native12_GLOBAL__N_18offset_tEEE10hipError_tPvRmT1_PNSt15iterator_traitsISK_E10value_typeET2_T3_PNSL_ISQ_E10value_typeET4_jRbjT5_SW_jjP12ihipStream_tbEUlT_E0_NS1_11comp_targetILNS1_3genE10ELNS1_11target_archE1200ELNS1_3gpuE4ELNS1_3repE0EEENS1_60segmented_radix_sort_warp_sort_medium_config_static_selectorELNS0_4arch9wavefront6targetE0EEEvSK_ ; -- Begin function _ZN7rocprim17ROCPRIM_400000_NS6detail17trampoline_kernelINS0_14default_configENS1_36segmented_radix_sort_config_selectorIflEEZNS1_25segmented_radix_sort_implIS3_Lb0EPKfPfPKlPlN2at6native12_GLOBAL__N_18offset_tEEE10hipError_tPvRmT1_PNSt15iterator_traitsISK_E10value_typeET2_T3_PNSL_ISQ_E10value_typeET4_jRbjT5_SW_jjP12ihipStream_tbEUlT_E0_NS1_11comp_targetILNS1_3genE10ELNS1_11target_archE1200ELNS1_3gpuE4ELNS1_3repE0EEENS1_60segmented_radix_sort_warp_sort_medium_config_static_selectorELNS0_4arch9wavefront6targetE0EEEvSK_
	.p2align	8
	.type	_ZN7rocprim17ROCPRIM_400000_NS6detail17trampoline_kernelINS0_14default_configENS1_36segmented_radix_sort_config_selectorIflEEZNS1_25segmented_radix_sort_implIS3_Lb0EPKfPfPKlPlN2at6native12_GLOBAL__N_18offset_tEEE10hipError_tPvRmT1_PNSt15iterator_traitsISK_E10value_typeET2_T3_PNSL_ISQ_E10value_typeET4_jRbjT5_SW_jjP12ihipStream_tbEUlT_E0_NS1_11comp_targetILNS1_3genE10ELNS1_11target_archE1200ELNS1_3gpuE4ELNS1_3repE0EEENS1_60segmented_radix_sort_warp_sort_medium_config_static_selectorELNS0_4arch9wavefront6targetE0EEEvSK_,@function
_ZN7rocprim17ROCPRIM_400000_NS6detail17trampoline_kernelINS0_14default_configENS1_36segmented_radix_sort_config_selectorIflEEZNS1_25segmented_radix_sort_implIS3_Lb0EPKfPfPKlPlN2at6native12_GLOBAL__N_18offset_tEEE10hipError_tPvRmT1_PNSt15iterator_traitsISK_E10value_typeET2_T3_PNSL_ISQ_E10value_typeET4_jRbjT5_SW_jjP12ihipStream_tbEUlT_E0_NS1_11comp_targetILNS1_3genE10ELNS1_11target_archE1200ELNS1_3gpuE4ELNS1_3repE0EEENS1_60segmented_radix_sort_warp_sort_medium_config_static_selectorELNS0_4arch9wavefront6targetE0EEEvSK_: ; @_ZN7rocprim17ROCPRIM_400000_NS6detail17trampoline_kernelINS0_14default_configENS1_36segmented_radix_sort_config_selectorIflEEZNS1_25segmented_radix_sort_implIS3_Lb0EPKfPfPKlPlN2at6native12_GLOBAL__N_18offset_tEEE10hipError_tPvRmT1_PNSt15iterator_traitsISK_E10value_typeET2_T3_PNSL_ISQ_E10value_typeET4_jRbjT5_SW_jjP12ihipStream_tbEUlT_E0_NS1_11comp_targetILNS1_3genE10ELNS1_11target_archE1200ELNS1_3gpuE4ELNS1_3repE0EEENS1_60segmented_radix_sort_warp_sort_medium_config_static_selectorELNS0_4arch9wavefront6targetE0EEEvSK_
; %bb.0:
	.section	.rodata,"a",@progbits
	.p2align	6, 0x0
	.amdhsa_kernel _ZN7rocprim17ROCPRIM_400000_NS6detail17trampoline_kernelINS0_14default_configENS1_36segmented_radix_sort_config_selectorIflEEZNS1_25segmented_radix_sort_implIS3_Lb0EPKfPfPKlPlN2at6native12_GLOBAL__N_18offset_tEEE10hipError_tPvRmT1_PNSt15iterator_traitsISK_E10value_typeET2_T3_PNSL_ISQ_E10value_typeET4_jRbjT5_SW_jjP12ihipStream_tbEUlT_E0_NS1_11comp_targetILNS1_3genE10ELNS1_11target_archE1200ELNS1_3gpuE4ELNS1_3repE0EEENS1_60segmented_radix_sort_warp_sort_medium_config_static_selectorELNS0_4arch9wavefront6targetE0EEEvSK_
		.amdhsa_group_segment_fixed_size 0
		.amdhsa_private_segment_fixed_size 0
		.amdhsa_kernarg_size 88
		.amdhsa_user_sgpr_count 6
		.amdhsa_user_sgpr_private_segment_buffer 1
		.amdhsa_user_sgpr_dispatch_ptr 0
		.amdhsa_user_sgpr_queue_ptr 0
		.amdhsa_user_sgpr_kernarg_segment_ptr 1
		.amdhsa_user_sgpr_dispatch_id 0
		.amdhsa_user_sgpr_flat_scratch_init 0
		.amdhsa_user_sgpr_private_segment_size 0
		.amdhsa_wavefront_size32 1
		.amdhsa_uses_dynamic_stack 0
		.amdhsa_system_sgpr_private_segment_wavefront_offset 0
		.amdhsa_system_sgpr_workgroup_id_x 1
		.amdhsa_system_sgpr_workgroup_id_y 0
		.amdhsa_system_sgpr_workgroup_id_z 0
		.amdhsa_system_sgpr_workgroup_info 0
		.amdhsa_system_vgpr_workitem_id 0
		.amdhsa_next_free_vgpr 1
		.amdhsa_next_free_sgpr 1
		.amdhsa_reserve_vcc 0
		.amdhsa_reserve_flat_scratch 0
		.amdhsa_float_round_mode_32 0
		.amdhsa_float_round_mode_16_64 0
		.amdhsa_float_denorm_mode_32 3
		.amdhsa_float_denorm_mode_16_64 3
		.amdhsa_dx10_clamp 1
		.amdhsa_ieee_mode 1
		.amdhsa_fp16_overflow 0
		.amdhsa_workgroup_processor_mode 1
		.amdhsa_memory_ordered 1
		.amdhsa_forward_progress 1
		.amdhsa_shared_vgpr_count 0
		.amdhsa_exception_fp_ieee_invalid_op 0
		.amdhsa_exception_fp_denorm_src 0
		.amdhsa_exception_fp_ieee_div_zero 0
		.amdhsa_exception_fp_ieee_overflow 0
		.amdhsa_exception_fp_ieee_underflow 0
		.amdhsa_exception_fp_ieee_inexact 0
		.amdhsa_exception_int_div_zero 0
	.end_amdhsa_kernel
	.section	.text._ZN7rocprim17ROCPRIM_400000_NS6detail17trampoline_kernelINS0_14default_configENS1_36segmented_radix_sort_config_selectorIflEEZNS1_25segmented_radix_sort_implIS3_Lb0EPKfPfPKlPlN2at6native12_GLOBAL__N_18offset_tEEE10hipError_tPvRmT1_PNSt15iterator_traitsISK_E10value_typeET2_T3_PNSL_ISQ_E10value_typeET4_jRbjT5_SW_jjP12ihipStream_tbEUlT_E0_NS1_11comp_targetILNS1_3genE10ELNS1_11target_archE1200ELNS1_3gpuE4ELNS1_3repE0EEENS1_60segmented_radix_sort_warp_sort_medium_config_static_selectorELNS0_4arch9wavefront6targetE0EEEvSK_,"axG",@progbits,_ZN7rocprim17ROCPRIM_400000_NS6detail17trampoline_kernelINS0_14default_configENS1_36segmented_radix_sort_config_selectorIflEEZNS1_25segmented_radix_sort_implIS3_Lb0EPKfPfPKlPlN2at6native12_GLOBAL__N_18offset_tEEE10hipError_tPvRmT1_PNSt15iterator_traitsISK_E10value_typeET2_T3_PNSL_ISQ_E10value_typeET4_jRbjT5_SW_jjP12ihipStream_tbEUlT_E0_NS1_11comp_targetILNS1_3genE10ELNS1_11target_archE1200ELNS1_3gpuE4ELNS1_3repE0EEENS1_60segmented_radix_sort_warp_sort_medium_config_static_selectorELNS0_4arch9wavefront6targetE0EEEvSK_,comdat
.Lfunc_end1436:
	.size	_ZN7rocprim17ROCPRIM_400000_NS6detail17trampoline_kernelINS0_14default_configENS1_36segmented_radix_sort_config_selectorIflEEZNS1_25segmented_radix_sort_implIS3_Lb0EPKfPfPKlPlN2at6native12_GLOBAL__N_18offset_tEEE10hipError_tPvRmT1_PNSt15iterator_traitsISK_E10value_typeET2_T3_PNSL_ISQ_E10value_typeET4_jRbjT5_SW_jjP12ihipStream_tbEUlT_E0_NS1_11comp_targetILNS1_3genE10ELNS1_11target_archE1200ELNS1_3gpuE4ELNS1_3repE0EEENS1_60segmented_radix_sort_warp_sort_medium_config_static_selectorELNS0_4arch9wavefront6targetE0EEEvSK_, .Lfunc_end1436-_ZN7rocprim17ROCPRIM_400000_NS6detail17trampoline_kernelINS0_14default_configENS1_36segmented_radix_sort_config_selectorIflEEZNS1_25segmented_radix_sort_implIS3_Lb0EPKfPfPKlPlN2at6native12_GLOBAL__N_18offset_tEEE10hipError_tPvRmT1_PNSt15iterator_traitsISK_E10value_typeET2_T3_PNSL_ISQ_E10value_typeET4_jRbjT5_SW_jjP12ihipStream_tbEUlT_E0_NS1_11comp_targetILNS1_3genE10ELNS1_11target_archE1200ELNS1_3gpuE4ELNS1_3repE0EEENS1_60segmented_radix_sort_warp_sort_medium_config_static_selectorELNS0_4arch9wavefront6targetE0EEEvSK_
                                        ; -- End function
	.set _ZN7rocprim17ROCPRIM_400000_NS6detail17trampoline_kernelINS0_14default_configENS1_36segmented_radix_sort_config_selectorIflEEZNS1_25segmented_radix_sort_implIS3_Lb0EPKfPfPKlPlN2at6native12_GLOBAL__N_18offset_tEEE10hipError_tPvRmT1_PNSt15iterator_traitsISK_E10value_typeET2_T3_PNSL_ISQ_E10value_typeET4_jRbjT5_SW_jjP12ihipStream_tbEUlT_E0_NS1_11comp_targetILNS1_3genE10ELNS1_11target_archE1200ELNS1_3gpuE4ELNS1_3repE0EEENS1_60segmented_radix_sort_warp_sort_medium_config_static_selectorELNS0_4arch9wavefront6targetE0EEEvSK_.num_vgpr, 0
	.set _ZN7rocprim17ROCPRIM_400000_NS6detail17trampoline_kernelINS0_14default_configENS1_36segmented_radix_sort_config_selectorIflEEZNS1_25segmented_radix_sort_implIS3_Lb0EPKfPfPKlPlN2at6native12_GLOBAL__N_18offset_tEEE10hipError_tPvRmT1_PNSt15iterator_traitsISK_E10value_typeET2_T3_PNSL_ISQ_E10value_typeET4_jRbjT5_SW_jjP12ihipStream_tbEUlT_E0_NS1_11comp_targetILNS1_3genE10ELNS1_11target_archE1200ELNS1_3gpuE4ELNS1_3repE0EEENS1_60segmented_radix_sort_warp_sort_medium_config_static_selectorELNS0_4arch9wavefront6targetE0EEEvSK_.num_agpr, 0
	.set _ZN7rocprim17ROCPRIM_400000_NS6detail17trampoline_kernelINS0_14default_configENS1_36segmented_radix_sort_config_selectorIflEEZNS1_25segmented_radix_sort_implIS3_Lb0EPKfPfPKlPlN2at6native12_GLOBAL__N_18offset_tEEE10hipError_tPvRmT1_PNSt15iterator_traitsISK_E10value_typeET2_T3_PNSL_ISQ_E10value_typeET4_jRbjT5_SW_jjP12ihipStream_tbEUlT_E0_NS1_11comp_targetILNS1_3genE10ELNS1_11target_archE1200ELNS1_3gpuE4ELNS1_3repE0EEENS1_60segmented_radix_sort_warp_sort_medium_config_static_selectorELNS0_4arch9wavefront6targetE0EEEvSK_.numbered_sgpr, 0
	.set _ZN7rocprim17ROCPRIM_400000_NS6detail17trampoline_kernelINS0_14default_configENS1_36segmented_radix_sort_config_selectorIflEEZNS1_25segmented_radix_sort_implIS3_Lb0EPKfPfPKlPlN2at6native12_GLOBAL__N_18offset_tEEE10hipError_tPvRmT1_PNSt15iterator_traitsISK_E10value_typeET2_T3_PNSL_ISQ_E10value_typeET4_jRbjT5_SW_jjP12ihipStream_tbEUlT_E0_NS1_11comp_targetILNS1_3genE10ELNS1_11target_archE1200ELNS1_3gpuE4ELNS1_3repE0EEENS1_60segmented_radix_sort_warp_sort_medium_config_static_selectorELNS0_4arch9wavefront6targetE0EEEvSK_.num_named_barrier, 0
	.set _ZN7rocprim17ROCPRIM_400000_NS6detail17trampoline_kernelINS0_14default_configENS1_36segmented_radix_sort_config_selectorIflEEZNS1_25segmented_radix_sort_implIS3_Lb0EPKfPfPKlPlN2at6native12_GLOBAL__N_18offset_tEEE10hipError_tPvRmT1_PNSt15iterator_traitsISK_E10value_typeET2_T3_PNSL_ISQ_E10value_typeET4_jRbjT5_SW_jjP12ihipStream_tbEUlT_E0_NS1_11comp_targetILNS1_3genE10ELNS1_11target_archE1200ELNS1_3gpuE4ELNS1_3repE0EEENS1_60segmented_radix_sort_warp_sort_medium_config_static_selectorELNS0_4arch9wavefront6targetE0EEEvSK_.private_seg_size, 0
	.set _ZN7rocprim17ROCPRIM_400000_NS6detail17trampoline_kernelINS0_14default_configENS1_36segmented_radix_sort_config_selectorIflEEZNS1_25segmented_radix_sort_implIS3_Lb0EPKfPfPKlPlN2at6native12_GLOBAL__N_18offset_tEEE10hipError_tPvRmT1_PNSt15iterator_traitsISK_E10value_typeET2_T3_PNSL_ISQ_E10value_typeET4_jRbjT5_SW_jjP12ihipStream_tbEUlT_E0_NS1_11comp_targetILNS1_3genE10ELNS1_11target_archE1200ELNS1_3gpuE4ELNS1_3repE0EEENS1_60segmented_radix_sort_warp_sort_medium_config_static_selectorELNS0_4arch9wavefront6targetE0EEEvSK_.uses_vcc, 0
	.set _ZN7rocprim17ROCPRIM_400000_NS6detail17trampoline_kernelINS0_14default_configENS1_36segmented_radix_sort_config_selectorIflEEZNS1_25segmented_radix_sort_implIS3_Lb0EPKfPfPKlPlN2at6native12_GLOBAL__N_18offset_tEEE10hipError_tPvRmT1_PNSt15iterator_traitsISK_E10value_typeET2_T3_PNSL_ISQ_E10value_typeET4_jRbjT5_SW_jjP12ihipStream_tbEUlT_E0_NS1_11comp_targetILNS1_3genE10ELNS1_11target_archE1200ELNS1_3gpuE4ELNS1_3repE0EEENS1_60segmented_radix_sort_warp_sort_medium_config_static_selectorELNS0_4arch9wavefront6targetE0EEEvSK_.uses_flat_scratch, 0
	.set _ZN7rocprim17ROCPRIM_400000_NS6detail17trampoline_kernelINS0_14default_configENS1_36segmented_radix_sort_config_selectorIflEEZNS1_25segmented_radix_sort_implIS3_Lb0EPKfPfPKlPlN2at6native12_GLOBAL__N_18offset_tEEE10hipError_tPvRmT1_PNSt15iterator_traitsISK_E10value_typeET2_T3_PNSL_ISQ_E10value_typeET4_jRbjT5_SW_jjP12ihipStream_tbEUlT_E0_NS1_11comp_targetILNS1_3genE10ELNS1_11target_archE1200ELNS1_3gpuE4ELNS1_3repE0EEENS1_60segmented_radix_sort_warp_sort_medium_config_static_selectorELNS0_4arch9wavefront6targetE0EEEvSK_.has_dyn_sized_stack, 0
	.set _ZN7rocprim17ROCPRIM_400000_NS6detail17trampoline_kernelINS0_14default_configENS1_36segmented_radix_sort_config_selectorIflEEZNS1_25segmented_radix_sort_implIS3_Lb0EPKfPfPKlPlN2at6native12_GLOBAL__N_18offset_tEEE10hipError_tPvRmT1_PNSt15iterator_traitsISK_E10value_typeET2_T3_PNSL_ISQ_E10value_typeET4_jRbjT5_SW_jjP12ihipStream_tbEUlT_E0_NS1_11comp_targetILNS1_3genE10ELNS1_11target_archE1200ELNS1_3gpuE4ELNS1_3repE0EEENS1_60segmented_radix_sort_warp_sort_medium_config_static_selectorELNS0_4arch9wavefront6targetE0EEEvSK_.has_recursion, 0
	.set _ZN7rocprim17ROCPRIM_400000_NS6detail17trampoline_kernelINS0_14default_configENS1_36segmented_radix_sort_config_selectorIflEEZNS1_25segmented_radix_sort_implIS3_Lb0EPKfPfPKlPlN2at6native12_GLOBAL__N_18offset_tEEE10hipError_tPvRmT1_PNSt15iterator_traitsISK_E10value_typeET2_T3_PNSL_ISQ_E10value_typeET4_jRbjT5_SW_jjP12ihipStream_tbEUlT_E0_NS1_11comp_targetILNS1_3genE10ELNS1_11target_archE1200ELNS1_3gpuE4ELNS1_3repE0EEENS1_60segmented_radix_sort_warp_sort_medium_config_static_selectorELNS0_4arch9wavefront6targetE0EEEvSK_.has_indirect_call, 0
	.section	.AMDGPU.csdata,"",@progbits
; Kernel info:
; codeLenInByte = 0
; TotalNumSgprs: 0
; NumVgprs: 0
; ScratchSize: 0
; MemoryBound: 0
; FloatMode: 240
; IeeeMode: 1
; LDSByteSize: 0 bytes/workgroup (compile time only)
; SGPRBlocks: 0
; VGPRBlocks: 0
; NumSGPRsForWavesPerEU: 1
; NumVGPRsForWavesPerEU: 1
; Occupancy: 16
; WaveLimiterHint : 0
; COMPUTE_PGM_RSRC2:SCRATCH_EN: 0
; COMPUTE_PGM_RSRC2:USER_SGPR: 6
; COMPUTE_PGM_RSRC2:TRAP_HANDLER: 0
; COMPUTE_PGM_RSRC2:TGID_X_EN: 1
; COMPUTE_PGM_RSRC2:TGID_Y_EN: 0
; COMPUTE_PGM_RSRC2:TGID_Z_EN: 0
; COMPUTE_PGM_RSRC2:TIDIG_COMP_CNT: 0
	.section	.text._ZN7rocprim17ROCPRIM_400000_NS6detail17trampoline_kernelINS0_14default_configENS1_36segmented_radix_sort_config_selectorIflEEZNS1_25segmented_radix_sort_implIS3_Lb0EPKfPfPKlPlN2at6native12_GLOBAL__N_18offset_tEEE10hipError_tPvRmT1_PNSt15iterator_traitsISK_E10value_typeET2_T3_PNSL_ISQ_E10value_typeET4_jRbjT5_SW_jjP12ihipStream_tbEUlT_E0_NS1_11comp_targetILNS1_3genE9ELNS1_11target_archE1100ELNS1_3gpuE3ELNS1_3repE0EEENS1_60segmented_radix_sort_warp_sort_medium_config_static_selectorELNS0_4arch9wavefront6targetE0EEEvSK_,"axG",@progbits,_ZN7rocprim17ROCPRIM_400000_NS6detail17trampoline_kernelINS0_14default_configENS1_36segmented_radix_sort_config_selectorIflEEZNS1_25segmented_radix_sort_implIS3_Lb0EPKfPfPKlPlN2at6native12_GLOBAL__N_18offset_tEEE10hipError_tPvRmT1_PNSt15iterator_traitsISK_E10value_typeET2_T3_PNSL_ISQ_E10value_typeET4_jRbjT5_SW_jjP12ihipStream_tbEUlT_E0_NS1_11comp_targetILNS1_3genE9ELNS1_11target_archE1100ELNS1_3gpuE3ELNS1_3repE0EEENS1_60segmented_radix_sort_warp_sort_medium_config_static_selectorELNS0_4arch9wavefront6targetE0EEEvSK_,comdat
	.globl	_ZN7rocprim17ROCPRIM_400000_NS6detail17trampoline_kernelINS0_14default_configENS1_36segmented_radix_sort_config_selectorIflEEZNS1_25segmented_radix_sort_implIS3_Lb0EPKfPfPKlPlN2at6native12_GLOBAL__N_18offset_tEEE10hipError_tPvRmT1_PNSt15iterator_traitsISK_E10value_typeET2_T3_PNSL_ISQ_E10value_typeET4_jRbjT5_SW_jjP12ihipStream_tbEUlT_E0_NS1_11comp_targetILNS1_3genE9ELNS1_11target_archE1100ELNS1_3gpuE3ELNS1_3repE0EEENS1_60segmented_radix_sort_warp_sort_medium_config_static_selectorELNS0_4arch9wavefront6targetE0EEEvSK_ ; -- Begin function _ZN7rocprim17ROCPRIM_400000_NS6detail17trampoline_kernelINS0_14default_configENS1_36segmented_radix_sort_config_selectorIflEEZNS1_25segmented_radix_sort_implIS3_Lb0EPKfPfPKlPlN2at6native12_GLOBAL__N_18offset_tEEE10hipError_tPvRmT1_PNSt15iterator_traitsISK_E10value_typeET2_T3_PNSL_ISQ_E10value_typeET4_jRbjT5_SW_jjP12ihipStream_tbEUlT_E0_NS1_11comp_targetILNS1_3genE9ELNS1_11target_archE1100ELNS1_3gpuE3ELNS1_3repE0EEENS1_60segmented_radix_sort_warp_sort_medium_config_static_selectorELNS0_4arch9wavefront6targetE0EEEvSK_
	.p2align	8
	.type	_ZN7rocprim17ROCPRIM_400000_NS6detail17trampoline_kernelINS0_14default_configENS1_36segmented_radix_sort_config_selectorIflEEZNS1_25segmented_radix_sort_implIS3_Lb0EPKfPfPKlPlN2at6native12_GLOBAL__N_18offset_tEEE10hipError_tPvRmT1_PNSt15iterator_traitsISK_E10value_typeET2_T3_PNSL_ISQ_E10value_typeET4_jRbjT5_SW_jjP12ihipStream_tbEUlT_E0_NS1_11comp_targetILNS1_3genE9ELNS1_11target_archE1100ELNS1_3gpuE3ELNS1_3repE0EEENS1_60segmented_radix_sort_warp_sort_medium_config_static_selectorELNS0_4arch9wavefront6targetE0EEEvSK_,@function
_ZN7rocprim17ROCPRIM_400000_NS6detail17trampoline_kernelINS0_14default_configENS1_36segmented_radix_sort_config_selectorIflEEZNS1_25segmented_radix_sort_implIS3_Lb0EPKfPfPKlPlN2at6native12_GLOBAL__N_18offset_tEEE10hipError_tPvRmT1_PNSt15iterator_traitsISK_E10value_typeET2_T3_PNSL_ISQ_E10value_typeET4_jRbjT5_SW_jjP12ihipStream_tbEUlT_E0_NS1_11comp_targetILNS1_3genE9ELNS1_11target_archE1100ELNS1_3gpuE3ELNS1_3repE0EEENS1_60segmented_radix_sort_warp_sort_medium_config_static_selectorELNS0_4arch9wavefront6targetE0EEEvSK_: ; @_ZN7rocprim17ROCPRIM_400000_NS6detail17trampoline_kernelINS0_14default_configENS1_36segmented_radix_sort_config_selectorIflEEZNS1_25segmented_radix_sort_implIS3_Lb0EPKfPfPKlPlN2at6native12_GLOBAL__N_18offset_tEEE10hipError_tPvRmT1_PNSt15iterator_traitsISK_E10value_typeET2_T3_PNSL_ISQ_E10value_typeET4_jRbjT5_SW_jjP12ihipStream_tbEUlT_E0_NS1_11comp_targetILNS1_3genE9ELNS1_11target_archE1100ELNS1_3gpuE3ELNS1_3repE0EEENS1_60segmented_radix_sort_warp_sort_medium_config_static_selectorELNS0_4arch9wavefront6targetE0EEEvSK_
; %bb.0:
	.section	.rodata,"a",@progbits
	.p2align	6, 0x0
	.amdhsa_kernel _ZN7rocprim17ROCPRIM_400000_NS6detail17trampoline_kernelINS0_14default_configENS1_36segmented_radix_sort_config_selectorIflEEZNS1_25segmented_radix_sort_implIS3_Lb0EPKfPfPKlPlN2at6native12_GLOBAL__N_18offset_tEEE10hipError_tPvRmT1_PNSt15iterator_traitsISK_E10value_typeET2_T3_PNSL_ISQ_E10value_typeET4_jRbjT5_SW_jjP12ihipStream_tbEUlT_E0_NS1_11comp_targetILNS1_3genE9ELNS1_11target_archE1100ELNS1_3gpuE3ELNS1_3repE0EEENS1_60segmented_radix_sort_warp_sort_medium_config_static_selectorELNS0_4arch9wavefront6targetE0EEEvSK_
		.amdhsa_group_segment_fixed_size 0
		.amdhsa_private_segment_fixed_size 0
		.amdhsa_kernarg_size 88
		.amdhsa_user_sgpr_count 6
		.amdhsa_user_sgpr_private_segment_buffer 1
		.amdhsa_user_sgpr_dispatch_ptr 0
		.amdhsa_user_sgpr_queue_ptr 0
		.amdhsa_user_sgpr_kernarg_segment_ptr 1
		.amdhsa_user_sgpr_dispatch_id 0
		.amdhsa_user_sgpr_flat_scratch_init 0
		.amdhsa_user_sgpr_private_segment_size 0
		.amdhsa_wavefront_size32 1
		.amdhsa_uses_dynamic_stack 0
		.amdhsa_system_sgpr_private_segment_wavefront_offset 0
		.amdhsa_system_sgpr_workgroup_id_x 1
		.amdhsa_system_sgpr_workgroup_id_y 0
		.amdhsa_system_sgpr_workgroup_id_z 0
		.amdhsa_system_sgpr_workgroup_info 0
		.amdhsa_system_vgpr_workitem_id 0
		.amdhsa_next_free_vgpr 1
		.amdhsa_next_free_sgpr 1
		.amdhsa_reserve_vcc 0
		.amdhsa_reserve_flat_scratch 0
		.amdhsa_float_round_mode_32 0
		.amdhsa_float_round_mode_16_64 0
		.amdhsa_float_denorm_mode_32 3
		.amdhsa_float_denorm_mode_16_64 3
		.amdhsa_dx10_clamp 1
		.amdhsa_ieee_mode 1
		.amdhsa_fp16_overflow 0
		.amdhsa_workgroup_processor_mode 1
		.amdhsa_memory_ordered 1
		.amdhsa_forward_progress 1
		.amdhsa_shared_vgpr_count 0
		.amdhsa_exception_fp_ieee_invalid_op 0
		.amdhsa_exception_fp_denorm_src 0
		.amdhsa_exception_fp_ieee_div_zero 0
		.amdhsa_exception_fp_ieee_overflow 0
		.amdhsa_exception_fp_ieee_underflow 0
		.amdhsa_exception_fp_ieee_inexact 0
		.amdhsa_exception_int_div_zero 0
	.end_amdhsa_kernel
	.section	.text._ZN7rocprim17ROCPRIM_400000_NS6detail17trampoline_kernelINS0_14default_configENS1_36segmented_radix_sort_config_selectorIflEEZNS1_25segmented_radix_sort_implIS3_Lb0EPKfPfPKlPlN2at6native12_GLOBAL__N_18offset_tEEE10hipError_tPvRmT1_PNSt15iterator_traitsISK_E10value_typeET2_T3_PNSL_ISQ_E10value_typeET4_jRbjT5_SW_jjP12ihipStream_tbEUlT_E0_NS1_11comp_targetILNS1_3genE9ELNS1_11target_archE1100ELNS1_3gpuE3ELNS1_3repE0EEENS1_60segmented_radix_sort_warp_sort_medium_config_static_selectorELNS0_4arch9wavefront6targetE0EEEvSK_,"axG",@progbits,_ZN7rocprim17ROCPRIM_400000_NS6detail17trampoline_kernelINS0_14default_configENS1_36segmented_radix_sort_config_selectorIflEEZNS1_25segmented_radix_sort_implIS3_Lb0EPKfPfPKlPlN2at6native12_GLOBAL__N_18offset_tEEE10hipError_tPvRmT1_PNSt15iterator_traitsISK_E10value_typeET2_T3_PNSL_ISQ_E10value_typeET4_jRbjT5_SW_jjP12ihipStream_tbEUlT_E0_NS1_11comp_targetILNS1_3genE9ELNS1_11target_archE1100ELNS1_3gpuE3ELNS1_3repE0EEENS1_60segmented_radix_sort_warp_sort_medium_config_static_selectorELNS0_4arch9wavefront6targetE0EEEvSK_,comdat
.Lfunc_end1437:
	.size	_ZN7rocprim17ROCPRIM_400000_NS6detail17trampoline_kernelINS0_14default_configENS1_36segmented_radix_sort_config_selectorIflEEZNS1_25segmented_radix_sort_implIS3_Lb0EPKfPfPKlPlN2at6native12_GLOBAL__N_18offset_tEEE10hipError_tPvRmT1_PNSt15iterator_traitsISK_E10value_typeET2_T3_PNSL_ISQ_E10value_typeET4_jRbjT5_SW_jjP12ihipStream_tbEUlT_E0_NS1_11comp_targetILNS1_3genE9ELNS1_11target_archE1100ELNS1_3gpuE3ELNS1_3repE0EEENS1_60segmented_radix_sort_warp_sort_medium_config_static_selectorELNS0_4arch9wavefront6targetE0EEEvSK_, .Lfunc_end1437-_ZN7rocprim17ROCPRIM_400000_NS6detail17trampoline_kernelINS0_14default_configENS1_36segmented_radix_sort_config_selectorIflEEZNS1_25segmented_radix_sort_implIS3_Lb0EPKfPfPKlPlN2at6native12_GLOBAL__N_18offset_tEEE10hipError_tPvRmT1_PNSt15iterator_traitsISK_E10value_typeET2_T3_PNSL_ISQ_E10value_typeET4_jRbjT5_SW_jjP12ihipStream_tbEUlT_E0_NS1_11comp_targetILNS1_3genE9ELNS1_11target_archE1100ELNS1_3gpuE3ELNS1_3repE0EEENS1_60segmented_radix_sort_warp_sort_medium_config_static_selectorELNS0_4arch9wavefront6targetE0EEEvSK_
                                        ; -- End function
	.set _ZN7rocprim17ROCPRIM_400000_NS6detail17trampoline_kernelINS0_14default_configENS1_36segmented_radix_sort_config_selectorIflEEZNS1_25segmented_radix_sort_implIS3_Lb0EPKfPfPKlPlN2at6native12_GLOBAL__N_18offset_tEEE10hipError_tPvRmT1_PNSt15iterator_traitsISK_E10value_typeET2_T3_PNSL_ISQ_E10value_typeET4_jRbjT5_SW_jjP12ihipStream_tbEUlT_E0_NS1_11comp_targetILNS1_3genE9ELNS1_11target_archE1100ELNS1_3gpuE3ELNS1_3repE0EEENS1_60segmented_radix_sort_warp_sort_medium_config_static_selectorELNS0_4arch9wavefront6targetE0EEEvSK_.num_vgpr, 0
	.set _ZN7rocprim17ROCPRIM_400000_NS6detail17trampoline_kernelINS0_14default_configENS1_36segmented_radix_sort_config_selectorIflEEZNS1_25segmented_radix_sort_implIS3_Lb0EPKfPfPKlPlN2at6native12_GLOBAL__N_18offset_tEEE10hipError_tPvRmT1_PNSt15iterator_traitsISK_E10value_typeET2_T3_PNSL_ISQ_E10value_typeET4_jRbjT5_SW_jjP12ihipStream_tbEUlT_E0_NS1_11comp_targetILNS1_3genE9ELNS1_11target_archE1100ELNS1_3gpuE3ELNS1_3repE0EEENS1_60segmented_radix_sort_warp_sort_medium_config_static_selectorELNS0_4arch9wavefront6targetE0EEEvSK_.num_agpr, 0
	.set _ZN7rocprim17ROCPRIM_400000_NS6detail17trampoline_kernelINS0_14default_configENS1_36segmented_radix_sort_config_selectorIflEEZNS1_25segmented_radix_sort_implIS3_Lb0EPKfPfPKlPlN2at6native12_GLOBAL__N_18offset_tEEE10hipError_tPvRmT1_PNSt15iterator_traitsISK_E10value_typeET2_T3_PNSL_ISQ_E10value_typeET4_jRbjT5_SW_jjP12ihipStream_tbEUlT_E0_NS1_11comp_targetILNS1_3genE9ELNS1_11target_archE1100ELNS1_3gpuE3ELNS1_3repE0EEENS1_60segmented_radix_sort_warp_sort_medium_config_static_selectorELNS0_4arch9wavefront6targetE0EEEvSK_.numbered_sgpr, 0
	.set _ZN7rocprim17ROCPRIM_400000_NS6detail17trampoline_kernelINS0_14default_configENS1_36segmented_radix_sort_config_selectorIflEEZNS1_25segmented_radix_sort_implIS3_Lb0EPKfPfPKlPlN2at6native12_GLOBAL__N_18offset_tEEE10hipError_tPvRmT1_PNSt15iterator_traitsISK_E10value_typeET2_T3_PNSL_ISQ_E10value_typeET4_jRbjT5_SW_jjP12ihipStream_tbEUlT_E0_NS1_11comp_targetILNS1_3genE9ELNS1_11target_archE1100ELNS1_3gpuE3ELNS1_3repE0EEENS1_60segmented_radix_sort_warp_sort_medium_config_static_selectorELNS0_4arch9wavefront6targetE0EEEvSK_.num_named_barrier, 0
	.set _ZN7rocprim17ROCPRIM_400000_NS6detail17trampoline_kernelINS0_14default_configENS1_36segmented_radix_sort_config_selectorIflEEZNS1_25segmented_radix_sort_implIS3_Lb0EPKfPfPKlPlN2at6native12_GLOBAL__N_18offset_tEEE10hipError_tPvRmT1_PNSt15iterator_traitsISK_E10value_typeET2_T3_PNSL_ISQ_E10value_typeET4_jRbjT5_SW_jjP12ihipStream_tbEUlT_E0_NS1_11comp_targetILNS1_3genE9ELNS1_11target_archE1100ELNS1_3gpuE3ELNS1_3repE0EEENS1_60segmented_radix_sort_warp_sort_medium_config_static_selectorELNS0_4arch9wavefront6targetE0EEEvSK_.private_seg_size, 0
	.set _ZN7rocprim17ROCPRIM_400000_NS6detail17trampoline_kernelINS0_14default_configENS1_36segmented_radix_sort_config_selectorIflEEZNS1_25segmented_radix_sort_implIS3_Lb0EPKfPfPKlPlN2at6native12_GLOBAL__N_18offset_tEEE10hipError_tPvRmT1_PNSt15iterator_traitsISK_E10value_typeET2_T3_PNSL_ISQ_E10value_typeET4_jRbjT5_SW_jjP12ihipStream_tbEUlT_E0_NS1_11comp_targetILNS1_3genE9ELNS1_11target_archE1100ELNS1_3gpuE3ELNS1_3repE0EEENS1_60segmented_radix_sort_warp_sort_medium_config_static_selectorELNS0_4arch9wavefront6targetE0EEEvSK_.uses_vcc, 0
	.set _ZN7rocprim17ROCPRIM_400000_NS6detail17trampoline_kernelINS0_14default_configENS1_36segmented_radix_sort_config_selectorIflEEZNS1_25segmented_radix_sort_implIS3_Lb0EPKfPfPKlPlN2at6native12_GLOBAL__N_18offset_tEEE10hipError_tPvRmT1_PNSt15iterator_traitsISK_E10value_typeET2_T3_PNSL_ISQ_E10value_typeET4_jRbjT5_SW_jjP12ihipStream_tbEUlT_E0_NS1_11comp_targetILNS1_3genE9ELNS1_11target_archE1100ELNS1_3gpuE3ELNS1_3repE0EEENS1_60segmented_radix_sort_warp_sort_medium_config_static_selectorELNS0_4arch9wavefront6targetE0EEEvSK_.uses_flat_scratch, 0
	.set _ZN7rocprim17ROCPRIM_400000_NS6detail17trampoline_kernelINS0_14default_configENS1_36segmented_radix_sort_config_selectorIflEEZNS1_25segmented_radix_sort_implIS3_Lb0EPKfPfPKlPlN2at6native12_GLOBAL__N_18offset_tEEE10hipError_tPvRmT1_PNSt15iterator_traitsISK_E10value_typeET2_T3_PNSL_ISQ_E10value_typeET4_jRbjT5_SW_jjP12ihipStream_tbEUlT_E0_NS1_11comp_targetILNS1_3genE9ELNS1_11target_archE1100ELNS1_3gpuE3ELNS1_3repE0EEENS1_60segmented_radix_sort_warp_sort_medium_config_static_selectorELNS0_4arch9wavefront6targetE0EEEvSK_.has_dyn_sized_stack, 0
	.set _ZN7rocprim17ROCPRIM_400000_NS6detail17trampoline_kernelINS0_14default_configENS1_36segmented_radix_sort_config_selectorIflEEZNS1_25segmented_radix_sort_implIS3_Lb0EPKfPfPKlPlN2at6native12_GLOBAL__N_18offset_tEEE10hipError_tPvRmT1_PNSt15iterator_traitsISK_E10value_typeET2_T3_PNSL_ISQ_E10value_typeET4_jRbjT5_SW_jjP12ihipStream_tbEUlT_E0_NS1_11comp_targetILNS1_3genE9ELNS1_11target_archE1100ELNS1_3gpuE3ELNS1_3repE0EEENS1_60segmented_radix_sort_warp_sort_medium_config_static_selectorELNS0_4arch9wavefront6targetE0EEEvSK_.has_recursion, 0
	.set _ZN7rocprim17ROCPRIM_400000_NS6detail17trampoline_kernelINS0_14default_configENS1_36segmented_radix_sort_config_selectorIflEEZNS1_25segmented_radix_sort_implIS3_Lb0EPKfPfPKlPlN2at6native12_GLOBAL__N_18offset_tEEE10hipError_tPvRmT1_PNSt15iterator_traitsISK_E10value_typeET2_T3_PNSL_ISQ_E10value_typeET4_jRbjT5_SW_jjP12ihipStream_tbEUlT_E0_NS1_11comp_targetILNS1_3genE9ELNS1_11target_archE1100ELNS1_3gpuE3ELNS1_3repE0EEENS1_60segmented_radix_sort_warp_sort_medium_config_static_selectorELNS0_4arch9wavefront6targetE0EEEvSK_.has_indirect_call, 0
	.section	.AMDGPU.csdata,"",@progbits
; Kernel info:
; codeLenInByte = 0
; TotalNumSgprs: 0
; NumVgprs: 0
; ScratchSize: 0
; MemoryBound: 0
; FloatMode: 240
; IeeeMode: 1
; LDSByteSize: 0 bytes/workgroup (compile time only)
; SGPRBlocks: 0
; VGPRBlocks: 0
; NumSGPRsForWavesPerEU: 1
; NumVGPRsForWavesPerEU: 1
; Occupancy: 16
; WaveLimiterHint : 0
; COMPUTE_PGM_RSRC2:SCRATCH_EN: 0
; COMPUTE_PGM_RSRC2:USER_SGPR: 6
; COMPUTE_PGM_RSRC2:TRAP_HANDLER: 0
; COMPUTE_PGM_RSRC2:TGID_X_EN: 1
; COMPUTE_PGM_RSRC2:TGID_Y_EN: 0
; COMPUTE_PGM_RSRC2:TGID_Z_EN: 0
; COMPUTE_PGM_RSRC2:TIDIG_COMP_CNT: 0
	.text
	.p2align	2                               ; -- Begin function _ZN7rocprim17ROCPRIM_400000_NS6detail26segmented_warp_sort_helperINS1_20WarpSortHelperConfigILj16ELj16ELj256EEEflLi256ELb0EvE4sortIPKfPfPKlPlEEvT_T0_T1_T2_jjjjRNS5_12storage_typeE
	.type	_ZN7rocprim17ROCPRIM_400000_NS6detail26segmented_warp_sort_helperINS1_20WarpSortHelperConfigILj16ELj16ELj256EEEflLi256ELb0EvE4sortIPKfPfPKlPlEEvT_T0_T1_T2_jjjjRNS5_12storage_typeE,@function
_ZN7rocprim17ROCPRIM_400000_NS6detail26segmented_warp_sort_helperINS1_20WarpSortHelperConfigILj16ELj16ELj256EEEflLi256ELb0EvE4sortIPKfPfPKlPlEEvT_T0_T1_T2_jjjjRNS5_12storage_typeE: ; @_ZN7rocprim17ROCPRIM_400000_NS6detail26segmented_warp_sort_helperINS1_20WarpSortHelperConfigILj16ELj16ELj256EEEflLi256ELb0EvE4sortIPKfPfPKlPlEEvT_T0_T1_T2_jjjjRNS5_12storage_typeE
; %bb.0:
	s_waitcnt vmcnt(0) expcnt(0) lgkmcnt(0)
	v_mov_b32_e32 v10, v9
	v_mbcnt_lo_u32_b32 v9, -1, 0
	v_bfrev_b32_e32 v14, -2
	v_bfrev_b32_e32 v13, -2
	v_sub_nc_u32_e32 v10, v10, v8
	v_lshlrev_b32_e32 v102, 4, v9
	v_mov_b32_e32 v9, 0
	v_and_b32_e32 v101, 0xf0, v102
	v_lshlrev_b64 v[11:12], 2, v[8:9]
	v_lshlrev_b32_e32 v100, 2, v101
	v_add_co_u32 v0, vcc_lo, v0, v11
	v_add_co_ci_u32_e64 v1, null, v1, v12, vcc_lo
	v_add_co_u32 v0, vcc_lo, v0, v100
	v_add_co_ci_u32_e64 v1, null, 0, v1, vcc_lo
	v_cmp_lt_u32_e32 vcc_lo, v101, v10
	s_and_saveexec_b32 s4, vcc_lo
	s_cbranch_execz .LBB1438_2
; %bb.1:
	flat_load_dword v13, v[0:1]
.LBB1438_2:
	s_or_b32 exec_lo, exec_lo, s4
	v_or_b32_e32 v15, 1, v101
	v_cmp_lt_u32_e64 s4, v15, v10
	s_and_saveexec_b32 s5, s4
	s_cbranch_execz .LBB1438_4
; %bb.3:
	flat_load_dword v14, v[0:1] offset:4
.LBB1438_4:
	s_or_b32 exec_lo, exec_lo, s5
	v_or_b32_e32 v15, 2, v101
	v_bfrev_b32_e32 v53, -2
	v_bfrev_b32_e32 v52, -2
	v_cmp_lt_u32_e64 s5, v15, v10
	s_and_saveexec_b32 s6, s5
	s_cbranch_execz .LBB1438_6
; %bb.5:
	flat_load_dword v52, v[0:1] offset:8
.LBB1438_6:
	s_or_b32 exec_lo, exec_lo, s6
	v_or_b32_e32 v15, 3, v101
	v_cmp_lt_u32_e64 s6, v15, v10
	s_and_saveexec_b32 s7, s6
	s_cbranch_execz .LBB1438_8
; %bb.7:
	flat_load_dword v53, v[0:1] offset:12
.LBB1438_8:
	s_or_b32 exec_lo, exec_lo, s7
	v_or_b32_e32 v15, 4, v101
	v_bfrev_b32_e32 v55, -2
	v_bfrev_b32_e32 v54, -2
	v_cmp_lt_u32_e64 s7, v15, v10
	s_and_saveexec_b32 s10, s7
	s_cbranch_execz .LBB1438_10
; %bb.9:
	flat_load_dword v54, v[0:1] offset:16
.LBB1438_10:
	;; [unrolled: 18-line block ×6, first 2 shown]
	s_or_b32 exec_lo, exec_lo, s18
	v_or_b32_e32 v15, 13, v101
	v_cmp_lt_u32_e64 s18, v15, v10
	s_and_saveexec_b32 s19, s18
	s_cbranch_execz .LBB1438_28
; %bb.27:
	flat_load_dword v51, v[0:1] offset:52
.LBB1438_28:
	s_or_b32 exec_lo, exec_lo, s19
	v_or_b32_e32 v15, 14, v101
	v_bfrev_b32_e32 v16, -2
	v_cmp_lt_u32_e64 s19, v15, v10
	v_bfrev_b32_e32 v15, -2
	s_and_saveexec_b32 s20, s19
	s_cbranch_execz .LBB1438_30
; %bb.29:
	flat_load_dword v15, v[0:1] offset:56
.LBB1438_30:
	s_or_b32 exec_lo, exec_lo, s20
	v_or_b32_e32 v17, 15, v101
	v_cmp_lt_u32_e64 s20, v17, v10
	s_and_saveexec_b32 s23, s20
	s_cbranch_execz .LBB1438_32
; %bb.31:
	flat_load_dword v16, v[0:1] offset:60
.LBB1438_32:
	s_or_b32 exec_lo, exec_lo, s23
	v_lshlrev_b64 v[0:1], 3, v[8:9]
	v_lshlrev_b32_e32 v10, 3, v101
	; wave barrier
	v_add_co_u32 v4, s23, v4, v0
	v_add_co_ci_u32_e64 v5, null, v5, v1, s23
	v_add_co_u32 v82, s23, v4, v10
	v_add_co_ci_u32_e64 v83, null, 0, v5, s23
                                        ; implicit-def: $vgpr4_vgpr5
	s_and_saveexec_b32 s23, vcc_lo
	s_cbranch_execnz .LBB1438_613
; %bb.33:
	s_or_b32 exec_lo, exec_lo, s23
	s_and_saveexec_b32 s23, s4
                                        ; implicit-def: $vgpr8_vgpr9
	s_cbranch_execnz .LBB1438_614
.LBB1438_34:
	s_or_b32 exec_lo, exec_lo, s23
                                        ; implicit-def: $vgpr17_vgpr18
	s_and_saveexec_b32 s23, s5
	s_cbranch_execnz .LBB1438_615
.LBB1438_35:
	s_or_b32 exec_lo, exec_lo, s23
	s_and_saveexec_b32 s23, s6
                                        ; implicit-def: $vgpr19_vgpr20
	s_cbranch_execnz .LBB1438_616
.LBB1438_36:
	s_or_b32 exec_lo, exec_lo, s23
                                        ; implicit-def: $vgpr21_vgpr22
	s_and_saveexec_b32 s23, s7
	s_cbranch_execnz .LBB1438_617
.LBB1438_37:
	s_or_b32 exec_lo, exec_lo, s23
	s_and_saveexec_b32 s23, s10
                                        ; implicit-def: $vgpr23_vgpr24
	s_cbranch_execnz .LBB1438_618
.LBB1438_38:
	s_or_b32 exec_lo, exec_lo, s23
                                        ; implicit-def: $vgpr25_vgpr26
	s_and_saveexec_b32 s23, s11
	s_cbranch_execnz .LBB1438_619
.LBB1438_39:
	s_or_b32 exec_lo, exec_lo, s23
	s_and_saveexec_b32 s23, s21
                                        ; implicit-def: $vgpr27_vgpr28
	s_cbranch_execnz .LBB1438_620
.LBB1438_40:
	s_or_b32 exec_lo, exec_lo, s23
                                        ; implicit-def: $vgpr29_vgpr30
	s_and_saveexec_b32 s23, s22
	s_cbranch_execnz .LBB1438_621
.LBB1438_41:
	s_or_b32 exec_lo, exec_lo, s23
	s_and_saveexec_b32 s23, s14
                                        ; implicit-def: $vgpr32_vgpr33
	s_cbranch_execnz .LBB1438_622
.LBB1438_42:
	s_or_b32 exec_lo, exec_lo, s23
                                        ; implicit-def: $vgpr34_vgpr35
	s_and_saveexec_b32 s23, s15
	s_cbranch_execnz .LBB1438_623
.LBB1438_43:
	s_or_b32 exec_lo, exec_lo, s23
	s_and_saveexec_b32 s23, s16
                                        ; implicit-def: $vgpr36_vgpr37
	s_cbranch_execnz .LBB1438_624
.LBB1438_44:
	s_or_b32 exec_lo, exec_lo, s23
                                        ; implicit-def: $vgpr48_vgpr49
	s_and_saveexec_b32 s23, s17
	s_cbranch_execnz .LBB1438_625
.LBB1438_45:
	s_or_b32 exec_lo, exec_lo, s23
	s_and_saveexec_b32 s23, s18
                                        ; implicit-def: $vgpr68_vgpr69
	s_cbranch_execnz .LBB1438_626
.LBB1438_46:
	s_or_b32 exec_lo, exec_lo, s23
                                        ; implicit-def: $vgpr38_vgpr39
	s_and_saveexec_b32 s23, s19
	s_cbranch_execnz .LBB1438_627
.LBB1438_47:
	s_or_b32 exec_lo, exec_lo, s23
	s_and_saveexec_b32 s23, s20
                                        ; implicit-def: $vgpr80_vgpr81
	s_cbranch_execz .LBB1438_49
.LBB1438_48:
	flat_load_dwordx2 v[80:81], v[82:83] offset:120
.LBB1438_49:
	s_or_b32 exec_lo, exec_lo, s23
	; wave barrier
	s_load_dwordx2 s[24:25], s[8:9], 0x0
	v_mov_b32_e32 v82, 0
	v_bfe_u32 v84, v31, 10, 10
	v_bfe_u32 v85, v31, 20, 10
	v_and_b32_e32 v31, 0x3ff, v31
	s_waitcnt lgkmcnt(0)
	s_cmp_lt_u32 s13, s25
	s_cselect_b32 s13, 14, 20
	s_add_u32 s26, s8, s13
	s_addc_u32 s27, s9, 0
	s_cmp_lt_u32 s12, s24
	global_load_ushort v83, v82, s[26:27]
	s_cselect_b32 s12, 12, 18
	s_add_u32 s8, s8, s12
	s_addc_u32 s9, s9, 0
	global_load_ushort v82, v82, s[8:9]
	s_mov_b32 s9, exec_lo
	s_waitcnt vmcnt(1)
	v_mad_u32_u24 v83, v85, v83, v84
	s_waitcnt vmcnt(0)
	v_mul_lo_u32 v82, v83, v82
	v_add_lshl_u32 v103, v82, v31, 4
	v_cmpx_gt_u32_e32 0x1000, v103
	s_cbranch_execz .LBB1438_291
; %bb.50:
	v_add_f32_e32 v31, 0, v13
	v_add_f32_e32 v82, 0, v14
	v_mov_b32_e32 v96, v14
	v_ashrrev_i32_e32 v83, 31, v31
	v_ashrrev_i32_e32 v84, 31, v82
	v_or_b32_e32 v83, 0x80000000, v83
	v_or_b32_e32 v84, 0x80000000, v84
	v_xor_b32_e32 v31, v83, v31
	v_xor_b32_e32 v82, v84, v82
	v_cmp_gt_u32_e64 s8, v31, v82
	v_mov_b32_e32 v83, v9
	v_mov_b32_e32 v82, v8
	s_and_saveexec_b32 s12, s8
; %bb.51:
	v_mov_b32_e32 v83, v5
	v_mov_b32_e32 v82, v4
	;; [unrolled: 1-line block ×6, first 2 shown]
; %bb.52:
	s_or_b32 exec_lo, exec_lo, s12
	v_add_f32_e32 v8, 0, v52
	v_add_f32_e32 v9, 0, v53
	v_mov_b32_e32 v85, v20
	v_mov_b32_e32 v84, v19
	s_mov_b32 s12, exec_lo
	v_ashrrev_i32_e32 v14, 31, v8
	v_ashrrev_i32_e32 v31, 31, v9
	v_or_b32_e32 v14, 0x80000000, v14
	v_or_b32_e32 v31, 0x80000000, v31
	v_xor_b32_e32 v8, v14, v8
	v_xor_b32_e32 v9, v31, v9
	v_mov_b32_e32 v14, v53
	v_cmpx_gt_u32_e64 v8, v9
; %bb.53:
	v_mov_b32_e32 v85, v18
	v_mov_b32_e32 v84, v17
	v_mov_b32_e32 v17, v19
	v_mov_b32_e32 v14, v52
	v_mov_b32_e32 v52, v53
	v_mov_b32_e32 v18, v20
; %bb.54:
	s_or_b32 exec_lo, exec_lo, s12
	v_add_f32_e32 v8, 0, v54
	v_add_f32_e32 v9, 0, v55
	v_mov_b32_e32 v87, v24
	v_mov_b32_e32 v97, v55
	v_mov_b32_e32 v86, v23
	v_ashrrev_i32_e32 v19, 31, v8
	v_ashrrev_i32_e32 v20, 31, v9
	s_mov_b32 s12, exec_lo
	v_or_b32_e32 v19, 0x80000000, v19
	v_or_b32_e32 v20, 0x80000000, v20
	v_xor_b32_e32 v8, v19, v8
	v_xor_b32_e32 v9, v20, v9
	v_cmpx_gt_u32_e64 v8, v9
; %bb.55:
	v_mov_b32_e32 v87, v22
	v_mov_b32_e32 v86, v21
	v_mov_b32_e32 v21, v23
	v_mov_b32_e32 v97, v54
	v_mov_b32_e32 v54, v55
	v_mov_b32_e32 v22, v24
; %bb.56:
	s_or_b32 exec_lo, exec_lo, s12
	v_add_f32_e32 v8, 0, v64
	v_add_f32_e32 v9, 0, v65
	v_mov_b32_e32 v23, v27
	v_mov_b32_e32 v98, v65
	v_mov_b32_e32 v24, v28
	v_ashrrev_i32_e32 v19, 31, v8
	v_ashrrev_i32_e32 v20, 31, v9
	s_mov_b32 s12, exec_lo
	v_or_b32_e32 v19, 0x80000000, v19
	v_or_b32_e32 v20, 0x80000000, v20
	v_xor_b32_e32 v8, v19, v8
	v_xor_b32_e32 v9, v20, v9
	;; [unrolled: 22-line block ×4, first 2 shown]
	v_cmpx_gt_u32_e64 v8, v9
; %bb.61:
	v_mov_b32_e32 v31, v34
	v_mov_b32_e32 v32, v35
	;; [unrolled: 1-line block ×6, first 2 shown]
; %bb.62:
	s_or_b32 exec_lo, exec_lo, s12
	v_add_f32_e32 v8, 0, v50
	v_add_f32_e32 v9, 0, v51
	v_mov_b32_e32 v114, v50
	s_mov_b32 s12, exec_lo
	v_ashrrev_i32_e32 v19, 31, v8
	v_ashrrev_i32_e32 v20, 31, v9
	v_or_b32_e32 v19, 0x80000000, v19
	v_or_b32_e32 v20, 0x80000000, v20
	v_xor_b32_e32 v8, v19, v8
	v_xor_b32_e32 v9, v20, v9
	v_mov_b32_e32 v19, v68
	v_mov_b32_e32 v20, v69
	v_cmpx_gt_u32_e64 v8, v9
; %bb.63:
	v_mov_b32_e32 v19, v48
	v_mov_b32_e32 v20, v49
	;; [unrolled: 1-line block ×6, first 2 shown]
; %bb.64:
	s_or_b32 exec_lo, exec_lo, s12
	v_add_f32_e32 v8, 0, v15
	v_add_f32_e32 v9, 0, v16
	v_mov_b32_e32 v112, v15
	s_mov_b32 s12, exec_lo
	v_ashrrev_i32_e32 v36, 31, v8
	v_ashrrev_i32_e32 v37, 31, v9
	v_or_b32_e32 v36, 0x80000000, v36
	v_or_b32_e32 v37, 0x80000000, v37
	v_xor_b32_e32 v36, v36, v8
	v_xor_b32_e32 v37, v37, v9
	v_mov_b32_e32 v8, v80
	v_mov_b32_e32 v9, v81
	v_cmpx_gt_u32_e64 v36, v37
; %bb.65:
	v_mov_b32_e32 v8, v38
	v_mov_b32_e32 v9, v39
	;; [unrolled: 1-line block ×6, first 2 shown]
; %bb.66:
	s_or_b32 exec_lo, exec_lo, s12
	v_add_f32_e32 v15, 0, v96
	v_add_f32_e32 v36, 0, v52
	v_mov_b32_e32 v68, v52
	v_ashrrev_i32_e32 v37, 31, v15
	v_ashrrev_i32_e32 v50, 31, v36
	v_or_b32_e32 v37, 0x80000000, v37
	v_or_b32_e32 v50, 0x80000000, v50
	v_xor_b32_e32 v15, v37, v15
	v_xor_b32_e32 v36, v50, v36
	v_cmp_gt_u32_e64 s8, v15, v36
	v_mov_b32_e32 v37, v18
	v_mov_b32_e32 v36, v17
	s_and_saveexec_b32 s12, s8
	s_xor_b32 s8, exec_lo, s12
; %bb.67:
	v_mov_b32_e32 v36, v82
	v_mov_b32_e32 v37, v83
	v_mov_b32_e32 v83, v18
	v_mov_b32_e32 v68, v96
	v_mov_b32_e32 v96, v52
	v_mov_b32_e32 v82, v17
; %bb.68:
	s_or_b32 exec_lo, exec_lo, s8
	v_add_f32_e32 v15, 0, v14
	v_add_f32_e32 v17, 0, v54
	v_mov_b32_e32 v53, v22
	v_mov_b32_e32 v69, v54
	v_mov_b32_e32 v52, v21
	v_ashrrev_i32_e32 v18, 31, v15
	v_ashrrev_i32_e32 v50, 31, v17
	s_mov_b32 s12, exec_lo
	v_or_b32_e32 v18, 0x80000000, v18
	v_or_b32_e32 v50, 0x80000000, v50
	v_xor_b32_e32 v15, v18, v15
	v_xor_b32_e32 v17, v50, v17
	v_cmpx_gt_u32_e64 v15, v17
; %bb.69:
	v_mov_b32_e32 v52, v84
	v_mov_b32_e32 v53, v85
	v_mov_b32_e32 v85, v22
	v_mov_b32_e32 v69, v14
	v_mov_b32_e32 v14, v54
	v_mov_b32_e32 v84, v21
; %bb.70:
	s_or_b32 exec_lo, exec_lo, s12
	v_add_f32_e32 v15, 0, v97
	v_add_f32_e32 v17, 0, v64
	v_mov_b32_e32 v55, v26
	v_mov_b32_e32 v71, v64
	v_mov_b32_e32 v54, v25
	v_ashrrev_i32_e32 v18, 31, v15
	v_ashrrev_i32_e32 v21, 31, v17
	s_mov_b32 s12, exec_lo
	v_or_b32_e32 v18, 0x80000000, v18
	v_or_b32_e32 v21, 0x80000000, v21
	v_xor_b32_e32 v15, v18, v15
	v_xor_b32_e32 v17, v21, v17
	v_cmpx_gt_u32_e64 v15, v17
	;; [unrolled: 22-line block ×4, first 2 shown]
; %bb.75:
	v_mov_b32_e32 v30, v28
	v_mov_b32_e32 v29, v27
	;; [unrolled: 1-line block ×6, first 2 shown]
; %bb.76:
	s_or_b32 exec_lo, exec_lo, s12
	v_add_f32_e32 v15, 0, v33
	v_add_f32_e32 v17, 0, v114
	v_mov_b32_e32 v25, v48
	v_mov_b32_e32 v26, v49
	s_mov_b32 s12, exec_lo
	v_ashrrev_i32_e32 v18, 31, v15
	v_ashrrev_i32_e32 v21, 31, v17
	v_or_b32_e32 v18, 0x80000000, v18
	v_or_b32_e32 v21, 0x80000000, v21
	v_xor_b32_e32 v18, v18, v15
	v_xor_b32_e32 v17, v21, v17
	v_mov_b32_e32 v15, v33
	v_cmpx_gt_u32_e64 v18, v17
; %bb.77:
	v_mov_b32_e32 v25, v31
	v_mov_b32_e32 v26, v32
	;; [unrolled: 1-line block ×6, first 2 shown]
; %bb.78:
	s_or_b32 exec_lo, exec_lo, s12
	v_add_f32_e32 v17, 0, v51
	v_add_f32_e32 v18, 0, v112
	v_mov_b32_e32 v113, v51
	s_mov_b32 s12, exec_lo
	v_ashrrev_i32_e32 v21, 31, v17
	v_ashrrev_i32_e32 v22, 31, v18
	v_or_b32_e32 v21, 0x80000000, v21
	v_or_b32_e32 v22, 0x80000000, v22
	v_xor_b32_e32 v21, v21, v17
	v_xor_b32_e32 v22, v22, v18
	v_mov_b32_e32 v17, v38
	v_mov_b32_e32 v18, v39
	v_cmpx_gt_u32_e64 v21, v22
; %bb.79:
	v_mov_b32_e32 v17, v19
	v_mov_b32_e32 v18, v20
	;; [unrolled: 1-line block ×6, first 2 shown]
; %bb.80:
	s_or_b32 exec_lo, exec_lo, s12
	v_add_f32_e32 v21, 0, v13
	v_add_f32_e32 v22, 0, v96
	v_mov_b32_e32 v70, v96
	s_mov_b32 s12, exec_lo
	v_ashrrev_i32_e32 v33, 31, v21
	v_ashrrev_i32_e32 v34, 31, v22
	v_or_b32_e32 v33, 0x80000000, v33
	v_or_b32_e32 v34, 0x80000000, v34
	v_xor_b32_e32 v21, v33, v21
	v_xor_b32_e32 v22, v34, v22
	v_mov_b32_e32 v33, v82
	v_mov_b32_e32 v34, v83
	v_cmpx_gt_u32_e64 v21, v22
; %bb.81:
	v_mov_b32_e32 v34, v5
	v_mov_b32_e32 v33, v4
	;; [unrolled: 1-line block ×6, first 2 shown]
; %bb.82:
	s_or_b32 exec_lo, exec_lo, s12
	v_add_f32_e32 v22, 0, v14
	v_add_f32_e32 v21, 0, v68
	v_mov_b32_e32 v82, v14
	s_mov_b32 s12, exec_lo
	v_ashrrev_i32_e32 v38, 31, v22
	v_ashrrev_i32_e32 v35, 31, v21
	v_or_b32_e32 v38, 0x80000000, v38
	v_or_b32_e32 v35, 0x80000000, v35
	v_xor_b32_e32 v22, v38, v22
	v_mov_b32_e32 v38, v84
	v_xor_b32_e32 v21, v35, v21
	v_mov_b32_e32 v39, v85
	v_cmpx_gt_u32_e64 v21, v22
; %bb.83:
	v_mov_b32_e32 v39, v37
	v_mov_b32_e32 v38, v36
	v_mov_b32_e32 v36, v84
	v_mov_b32_e32 v82, v68
	v_mov_b32_e32 v68, v14
	v_mov_b32_e32 v37, v85
; %bb.84:
	s_or_b32 exec_lo, exec_lo, s12
	v_add_f32_e32 v14, 0, v69
	v_add_f32_e32 v21, 0, v97
	v_mov_b32_e32 v48, v86
	v_mov_b32_e32 v83, v97
	v_mov_b32_e32 v49, v87
	v_ashrrev_i32_e32 v22, 31, v14
	v_ashrrev_i32_e32 v35, 31, v21
	s_mov_b32 s12, exec_lo
	v_or_b32_e32 v22, 0x80000000, v22
	v_or_b32_e32 v35, 0x80000000, v35
	v_xor_b32_e32 v14, v22, v14
	v_xor_b32_e32 v21, v35, v21
	v_cmpx_gt_u32_e64 v14, v21
; %bb.85:
	v_mov_b32_e32 v48, v52
	v_mov_b32_e32 v49, v53
	v_mov_b32_e32 v52, v86
	v_mov_b32_e32 v83, v69
	v_mov_b32_e32 v69, v97
	v_mov_b32_e32 v53, v87
; %bb.86:
	s_or_b32 exec_lo, exec_lo, s12
	v_add_f32_e32 v14, 0, v71
	v_add_f32_e32 v21, 0, v98
	v_mov_b32_e32 v51, v24
	v_mov_b32_e32 v84, v98
	v_mov_b32_e32 v50, v23
	v_ashrrev_i32_e32 v22, 31, v14
	v_ashrrev_i32_e32 v35, 31, v21
	s_mov_b32 s12, exec_lo
	v_or_b32_e32 v22, 0x80000000, v22
	v_or_b32_e32 v35, 0x80000000, v35
	v_xor_b32_e32 v14, v22, v14
	v_xor_b32_e32 v21, v35, v21
	v_cmpx_gt_u32_e64 v14, v21
; %bb.87:
	v_mov_b32_e32 v50, v54
	v_mov_b32_e32 v51, v55
	v_mov_b32_e32 v55, v24
	v_mov_b32_e32 v84, v71
	v_mov_b32_e32 v71, v98
	v_mov_b32_e32 v54, v23
; %bb.88:
	s_or_b32 exec_lo, exec_lo, s12
	v_add_f32_e32 v14, 0, v80
	v_add_f32_e32 v21, 0, v99
	v_mov_b32_e32 v67, v28
	v_mov_b32_e32 v85, v99
	v_mov_b32_e32 v66, v27
	v_ashrrev_i32_e32 v22, 31, v14
	v_ashrrev_i32_e32 v23, 31, v21
	s_mov_b32 s12, exec_lo
	v_or_b32_e32 v22, 0x80000000, v22
	v_or_b32_e32 v23, 0x80000000, v23
	v_xor_b32_e32 v14, v22, v14
	v_xor_b32_e32 v21, v23, v21
	v_cmpx_gt_u32_e64 v14, v21
; %bb.89:
	v_mov_b32_e32 v67, v65
	v_mov_b32_e32 v66, v64
	v_mov_b32_e32 v65, v28
	v_mov_b32_e32 v85, v80
	v_mov_b32_e32 v80, v99
	v_mov_b32_e32 v64, v27
; %bb.90:
	s_or_b32 exec_lo, exec_lo, s12
	v_add_f32_e32 v14, 0, v81
	v_add_f32_e32 v21, 0, v15
	v_mov_b32_e32 v27, v31
	v_mov_b32_e32 v96, v15
	v_mov_b32_e32 v28, v32
	v_ashrrev_i32_e32 v22, 31, v14
	v_ashrrev_i32_e32 v23, 31, v21
	s_mov_b32 s12, exec_lo
	v_or_b32_e32 v22, 0x80000000, v22
	v_or_b32_e32 v23, 0x80000000, v23
	v_xor_b32_e32 v14, v22, v14
	v_xor_b32_e32 v21, v23, v21
	v_cmpx_gt_u32_e64 v14, v21
; %bb.91:
	v_mov_b32_e32 v27, v29
	v_mov_b32_e32 v28, v30
	;; [unrolled: 1-line block ×6, first 2 shown]
; %bb.92:
	s_or_b32 exec_lo, exec_lo, s12
	v_add_f32_e32 v14, 0, v114
	v_add_f32_e32 v15, 0, v113
	v_mov_b32_e32 v97, v114
	s_mov_b32 s12, exec_lo
	v_ashrrev_i32_e32 v21, 31, v14
	v_ashrrev_i32_e32 v22, 31, v15
	v_or_b32_e32 v21, 0x80000000, v21
	v_or_b32_e32 v22, 0x80000000, v22
	v_xor_b32_e32 v14, v21, v14
	v_xor_b32_e32 v15, v22, v15
	v_mov_b32_e32 v22, v20
	v_mov_b32_e32 v21, v19
	v_cmpx_gt_u32_e64 v14, v15
; %bb.93:
	v_mov_b32_e32 v21, v25
	v_mov_b32_e32 v22, v26
	;; [unrolled: 1-line block ×6, first 2 shown]
; %bb.94:
	s_or_b32 exec_lo, exec_lo, s12
	v_add_f32_e32 v14, 0, v112
	v_add_f32_e32 v15, 0, v16
	v_mov_b32_e32 v87, v112
	s_mov_b32 s12, exec_lo
	v_ashrrev_i32_e32 v19, 31, v14
	v_ashrrev_i32_e32 v20, 31, v15
	v_or_b32_e32 v19, 0x80000000, v19
	v_or_b32_e32 v20, 0x80000000, v20
	v_xor_b32_e32 v19, v19, v14
	v_xor_b32_e32 v20, v20, v15
	v_mov_b32_e32 v15, v9
	v_mov_b32_e32 v14, v8
	v_cmpx_gt_u32_e64 v19, v20
; %bb.95:
	v_mov_b32_e32 v14, v17
	v_mov_b32_e32 v15, v18
	v_mov_b32_e32 v18, v9
	v_mov_b32_e32 v17, v8
	v_mov_b32_e32 v87, v16
	v_mov_b32_e32 v16, v112
; %bb.96:
	s_or_b32 exec_lo, exec_lo, s12
	v_add_f32_e32 v8, 0, v70
	v_add_f32_e32 v9, 0, v68
	v_mov_b32_e32 v31, v36
	v_mov_b32_e32 v86, v68
	v_mov_b32_e32 v32, v37
	v_ashrrev_i32_e32 v19, 31, v8
	v_ashrrev_i32_e32 v20, 31, v9
	s_mov_b32 s12, exec_lo
	v_or_b32_e32 v19, 0x80000000, v19
	v_or_b32_e32 v20, 0x80000000, v20
	v_xor_b32_e32 v8, v19, v8
	v_xor_b32_e32 v9, v20, v9
	v_cmpx_gt_u32_e64 v8, v9
; %bb.97:
	v_mov_b32_e32 v31, v33
	v_mov_b32_e32 v32, v34
	v_mov_b32_e32 v33, v36
	v_mov_b32_e32 v86, v70
	v_mov_b32_e32 v70, v68
	v_mov_b32_e32 v34, v37
; %bb.98:
	s_or_b32 exec_lo, exec_lo, s12
	v_add_f32_e32 v8, 0, v82
	v_add_f32_e32 v9, 0, v69
	v_mov_b32_e32 v35, v52
	v_mov_b32_e32 v68, v69
	v_mov_b32_e32 v36, v53
	v_ashrrev_i32_e32 v19, 31, v8
	v_ashrrev_i32_e32 v20, 31, v9
	s_mov_b32 s12, exec_lo
	v_or_b32_e32 v19, 0x80000000, v19
	v_or_b32_e32 v20, 0x80000000, v20
	v_xor_b32_e32 v8, v19, v8
	v_xor_b32_e32 v9, v20, v9
	;; [unrolled: 22-line block ×5, first 2 shown]
	v_cmpx_gt_u32_e64 v8, v9
; %bb.105:
	v_mov_b32_e32 v64, v66
	v_mov_b32_e32 v65, v67
	;; [unrolled: 1-line block ×6, first 2 shown]
; %bb.106:
	s_or_b32 exec_lo, exec_lo, s12
	v_add_f32_e32 v8, 0, v96
	v_add_f32_e32 v9, 0, v97
	v_mov_b32_e32 v23, v25
	v_mov_b32_e32 v24, v26
	s_mov_b32 s12, exec_lo
	v_ashrrev_i32_e32 v19, 31, v8
	v_ashrrev_i32_e32 v20, 31, v9
	v_or_b32_e32 v19, 0x80000000, v19
	v_or_b32_e32 v20, 0x80000000, v20
	v_xor_b32_e32 v19, v19, v8
	v_xor_b32_e32 v9, v20, v9
	v_mov_b32_e32 v8, v96
	v_cmpx_gt_u32_e64 v19, v9
; %bb.107:
	v_mov_b32_e32 v23, v27
	v_mov_b32_e32 v24, v28
	;; [unrolled: 1-line block ×6, first 2 shown]
; %bb.108:
	s_or_b32 exec_lo, exec_lo, s12
	v_add_f32_e32 v9, 0, v113
	v_add_f32_e32 v19, 0, v87
	v_mov_b32_e32 v96, v113
	s_mov_b32 s12, exec_lo
	v_ashrrev_i32_e32 v20, 31, v9
	v_ashrrev_i32_e32 v25, 31, v19
	v_or_b32_e32 v20, 0x80000000, v20
	v_or_b32_e32 v25, 0x80000000, v25
	v_xor_b32_e32 v9, v20, v9
	v_xor_b32_e32 v25, v25, v19
	v_mov_b32_e32 v20, v18
	v_mov_b32_e32 v19, v17
	v_cmpx_gt_u32_e64 v9, v25
; %bb.109:
	v_mov_b32_e32 v19, v21
	v_mov_b32_e32 v20, v22
	v_mov_b32_e32 v22, v18
	v_mov_b32_e32 v21, v17
	v_mov_b32_e32 v96, v87
	v_mov_b32_e32 v87, v113
; %bb.110:
	s_or_b32 exec_lo, exec_lo, s12
	v_add_f32_e32 v9, 0, v13
	v_add_f32_e32 v17, 0, v70
	v_mov_b32_e32 v29, v33
	v_mov_b32_e32 v81, v70
	v_mov_b32_e32 v30, v34
	v_ashrrev_i32_e32 v18, 31, v9
	v_ashrrev_i32_e32 v25, 31, v17
	s_mov_b32 s12, exec_lo
	v_or_b32_e32 v18, 0x80000000, v18
	v_or_b32_e32 v25, 0x80000000, v25
	v_xor_b32_e32 v9, v18, v9
	v_xor_b32_e32 v17, v25, v17
	v_cmpx_gt_u32_e64 v9, v17
; %bb.111:
	v_mov_b32_e32 v30, v5
	v_mov_b32_e32 v29, v4
	v_mov_b32_e32 v4, v33
	v_mov_b32_e32 v81, v13
	v_mov_b32_e32 v13, v70
	v_mov_b32_e32 v5, v34
; %bb.112:
	s_or_b32 exec_lo, exec_lo, s12
	v_add_f32_e32 v9, 0, v86
	v_add_f32_e32 v17, 0, v82
	v_mov_b32_e32 v33, v38
	v_mov_b32_e32 v70, v82
	v_mov_b32_e32 v34, v39
	v_ashrrev_i32_e32 v18, 31, v9
	v_ashrrev_i32_e32 v25, 31, v17
	s_mov_b32 s12, exec_lo
	v_or_b32_e32 v18, 0x80000000, v18
	v_or_b32_e32 v25, 0x80000000, v25
	v_xor_b32_e32 v9, v18, v9
	v_xor_b32_e32 v17, v25, v17
	;; [unrolled: 22-line block ×6, first 2 shown]
	v_cmpx_gt_u32_e64 v9, v17
; %bb.121:
	v_mov_b32_e32 v67, v65
	v_mov_b32_e32 v66, v64
	;; [unrolled: 1-line block ×6, first 2 shown]
; %bb.122:
	s_or_b32 exec_lo, exec_lo, s12
	v_add_f32_e32 v8, 0, v97
	v_add_f32_e32 v9, 0, v96
	v_mov_b32_e32 v98, v97
	s_mov_b32 s12, exec_lo
	v_ashrrev_i32_e32 v17, 31, v8
	v_ashrrev_i32_e32 v18, 31, v9
	v_or_b32_e32 v17, 0x80000000, v17
	v_or_b32_e32 v18, 0x80000000, v18
	v_xor_b32_e32 v8, v17, v8
	v_xor_b32_e32 v9, v18, v9
	v_mov_b32_e32 v17, v21
	v_mov_b32_e32 v18, v22
	v_cmpx_gt_u32_e64 v8, v9
; %bb.123:
	v_mov_b32_e32 v17, v23
	v_mov_b32_e32 v18, v24
	;; [unrolled: 1-line block ×6, first 2 shown]
; %bb.124:
	s_or_b32 exec_lo, exec_lo, s12
	v_add_f32_e32 v8, 0, v87
	v_add_f32_e32 v9, 0, v16
	v_mov_b32_e32 v97, v87
	s_mov_b32 s12, exec_lo
	v_ashrrev_i32_e32 v21, 31, v8
	v_ashrrev_i32_e32 v22, 31, v9
	v_or_b32_e32 v21, 0x80000000, v21
	v_or_b32_e32 v22, 0x80000000, v22
	v_xor_b32_e32 v21, v21, v8
	v_xor_b32_e32 v22, v22, v9
	v_mov_b32_e32 v8, v14
	v_mov_b32_e32 v9, v15
	v_cmpx_gt_u32_e64 v21, v22
; %bb.125:
	v_mov_b32_e32 v8, v19
	v_mov_b32_e32 v9, v20
	v_mov_b32_e32 v20, v15
	v_mov_b32_e32 v19, v14
	v_mov_b32_e32 v97, v16
	v_mov_b32_e32 v16, v87
; %bb.126:
	s_or_b32 exec_lo, exec_lo, s12
	v_add_f32_e32 v14, 0, v81
	v_add_f32_e32 v15, 0, v86
	v_mov_b32_e32 v27, v31
	v_mov_b32_e32 v84, v86
	v_mov_b32_e32 v28, v32
	v_ashrrev_i32_e32 v21, 31, v14
	v_ashrrev_i32_e32 v22, 31, v15
	s_mov_b32 s12, exec_lo
	v_or_b32_e32 v21, 0x80000000, v21
	v_or_b32_e32 v22, 0x80000000, v22
	v_xor_b32_e32 v14, v21, v14
	v_xor_b32_e32 v15, v22, v15
	v_cmpx_gt_u32_e64 v14, v15
; %bb.127:
	v_mov_b32_e32 v27, v29
	v_mov_b32_e32 v28, v30
	v_mov_b32_e32 v29, v31
	v_mov_b32_e32 v84, v81
	v_mov_b32_e32 v81, v86
	v_mov_b32_e32 v30, v32
; %bb.128:
	s_or_b32 exec_lo, exec_lo, s12
	v_add_f32_e32 v14, 0, v70
	v_add_f32_e32 v15, 0, v68
	v_mov_b32_e32 v31, v35
	v_mov_b32_e32 v85, v68
	v_mov_b32_e32 v32, v36
	v_ashrrev_i32_e32 v21, 31, v14
	v_ashrrev_i32_e32 v22, 31, v15
	s_mov_b32 s12, exec_lo
	v_or_b32_e32 v21, 0x80000000, v21
	v_or_b32_e32 v22, 0x80000000, v22
	v_xor_b32_e32 v14, v21, v14
	v_xor_b32_e32 v15, v22, v15
	;; [unrolled: 22-line block ×5, first 2 shown]
	v_cmpx_gt_u32_e64 v14, v15
; %bb.135:
	v_mov_b32_e32 v55, v51
	v_mov_b32_e32 v54, v50
	;; [unrolled: 1-line block ×6, first 2 shown]
; %bb.136:
	s_or_b32 exec_lo, exec_lo, s12
	v_add_f32_e32 v14, 0, v99
	v_add_f32_e32 v15, 0, v98
	v_mov_b32_e32 v26, v24
	v_mov_b32_e32 v25, v23
	s_mov_b32 s12, exec_lo
	v_ashrrev_i32_e32 v21, 31, v14
	v_ashrrev_i32_e32 v22, 31, v15
	v_or_b32_e32 v21, 0x80000000, v21
	v_or_b32_e32 v22, 0x80000000, v22
	v_xor_b32_e32 v21, v21, v14
	v_xor_b32_e32 v15, v22, v15
	v_mov_b32_e32 v14, v99
	v_cmpx_gt_u32_e64 v21, v15
; %bb.137:
	v_mov_b32_e32 v25, v66
	v_mov_b32_e32 v26, v67
	;; [unrolled: 1-line block ×6, first 2 shown]
; %bb.138:
	s_or_b32 exec_lo, exec_lo, s12
	v_add_f32_e32 v15, 0, v96
	v_add_f32_e32 v21, 0, v97
	v_mov_b32_e32 v86, v96
	s_mov_b32 s12, exec_lo
	v_ashrrev_i32_e32 v22, 31, v15
	v_ashrrev_i32_e32 v23, 31, v21
	v_or_b32_e32 v22, 0x80000000, v22
	v_or_b32_e32 v23, 0x80000000, v23
	v_xor_b32_e32 v15, v22, v15
	v_xor_b32_e32 v23, v23, v21
	v_mov_b32_e32 v22, v20
	v_mov_b32_e32 v21, v19
	v_cmpx_gt_u32_e64 v15, v23
; %bb.139:
	v_mov_b32_e32 v22, v18
	v_mov_b32_e32 v21, v17
	v_mov_b32_e32 v17, v19
	v_mov_b32_e32 v18, v20
	v_mov_b32_e32 v86, v97
	v_mov_b32_e32 v97, v96
; %bb.140:
	s_or_b32 exec_lo, exec_lo, s12
	v_add_f32_e32 v15, 0, v13
	v_add_f32_e32 v19, 0, v81
	v_mov_b32_e32 v65, v30
	v_mov_b32_e32 v80, v81
	v_mov_b32_e32 v64, v29
	v_ashrrev_i32_e32 v20, 31, v15
	v_ashrrev_i32_e32 v23, 31, v19
	s_mov_b32 s12, exec_lo
	v_or_b32_e32 v20, 0x80000000, v20
	v_or_b32_e32 v23, 0x80000000, v23
	v_xor_b32_e32 v15, v20, v15
	v_xor_b32_e32 v19, v23, v19
	v_cmpx_gt_u32_e64 v15, v19
; %bb.141:
	v_mov_b32_e32 v65, v5
	v_mov_b32_e32 v64, v4
	v_mov_b32_e32 v4, v29
	v_mov_b32_e32 v80, v13
	v_mov_b32_e32 v13, v81
	v_mov_b32_e32 v5, v30
; %bb.142:
	s_or_b32 exec_lo, exec_lo, s12
	v_add_f32_e32 v15, 0, v84
	v_add_f32_e32 v19, 0, v70
	v_mov_b32_e32 v29, v33
	v_mov_b32_e32 v81, v70
	v_mov_b32_e32 v30, v34
	v_ashrrev_i32_e32 v20, 31, v15
	v_ashrrev_i32_e32 v23, 31, v19
	s_mov_b32 s12, exec_lo
	v_or_b32_e32 v20, 0x80000000, v20
	v_or_b32_e32 v23, 0x80000000, v23
	v_xor_b32_e32 v15, v20, v15
	v_xor_b32_e32 v19, v23, v19
	;; [unrolled: 22-line block ×6, first 2 shown]
	v_cmpx_gt_u32_e64 v15, v19
; %bb.151:
	v_mov_b32_e32 v50, v54
	v_mov_b32_e32 v51, v55
	;; [unrolled: 1-line block ×6, first 2 shown]
; %bb.152:
	s_or_b32 exec_lo, exec_lo, s12
	v_add_f32_e32 v14, 0, v98
	v_add_f32_e32 v15, 0, v86
	v_mov_b32_e32 v99, v98
	s_mov_b32 s12, exec_lo
	v_ashrrev_i32_e32 v19, 31, v14
	v_ashrrev_i32_e32 v20, 31, v15
	v_or_b32_e32 v19, 0x80000000, v19
	v_or_b32_e32 v20, 0x80000000, v20
	v_xor_b32_e32 v14, v19, v14
	v_xor_b32_e32 v15, v20, v15
	v_mov_b32_e32 v20, v18
	v_mov_b32_e32 v19, v17
	v_cmpx_gt_u32_e64 v14, v15
; %bb.153:
	v_mov_b32_e32 v19, v25
	v_mov_b32_e32 v20, v26
	;; [unrolled: 1-line block ×6, first 2 shown]
; %bb.154:
	s_or_b32 exec_lo, exec_lo, s12
	v_add_f32_e32 v14, 0, v97
	v_add_f32_e32 v15, 0, v16
	v_mov_b32_e32 v87, v97
	s_mov_b32 s12, exec_lo
	v_ashrrev_i32_e32 v17, 31, v14
	v_ashrrev_i32_e32 v18, 31, v15
	v_or_b32_e32 v17, 0x80000000, v17
	v_or_b32_e32 v18, 0x80000000, v18
	v_xor_b32_e32 v17, v17, v14
	v_xor_b32_e32 v18, v18, v15
	v_mov_b32_e32 v15, v9
	v_mov_b32_e32 v14, v8
	v_cmpx_gt_u32_e64 v17, v18
; %bb.155:
	v_mov_b32_e32 v14, v21
	v_mov_b32_e32 v15, v22
	v_mov_b32_e32 v22, v9
	v_mov_b32_e32 v21, v8
	v_mov_b32_e32 v87, v16
	v_mov_b32_e32 v16, v97
; %bb.156:
	s_or_b32 exec_lo, exec_lo, s12
	v_add_f32_e32 v8, 0, v80
	v_add_f32_e32 v9, 0, v84
	v_mov_b32_e32 v67, v28
	v_mov_b32_e32 v83, v84
	v_mov_b32_e32 v66, v27
	v_ashrrev_i32_e32 v17, 31, v8
	v_ashrrev_i32_e32 v18, 31, v9
	s_mov_b32 s12, exec_lo
	v_or_b32_e32 v17, 0x80000000, v17
	v_or_b32_e32 v18, 0x80000000, v18
	v_xor_b32_e32 v8, v17, v8
	v_xor_b32_e32 v9, v18, v9
	v_cmpx_gt_u32_e64 v8, v9
; %bb.157:
	v_mov_b32_e32 v67, v65
	v_mov_b32_e32 v66, v64
	v_mov_b32_e32 v65, v28
	v_mov_b32_e32 v83, v80
	v_mov_b32_e32 v80, v84
	v_mov_b32_e32 v64, v27
; %bb.158:
	s_or_b32 exec_lo, exec_lo, s12
	v_add_f32_e32 v8, 0, v81
	v_add_f32_e32 v9, 0, v85
	v_mov_b32_e32 v27, v31
	v_mov_b32_e32 v84, v85
	v_mov_b32_e32 v28, v32
	v_ashrrev_i32_e32 v17, 31, v8
	v_ashrrev_i32_e32 v18, 31, v9
	s_mov_b32 s12, exec_lo
	v_or_b32_e32 v17, 0x80000000, v17
	v_or_b32_e32 v18, 0x80000000, v18
	v_xor_b32_e32 v8, v17, v8
	v_xor_b32_e32 v9, v18, v9
	;; [unrolled: 22-line block ×5, first 2 shown]
	v_cmpx_gt_u32_e64 v8, v9
; %bb.165:
	v_mov_b32_e32 v53, v49
	v_mov_b32_e32 v52, v48
	;; [unrolled: 1-line block ×6, first 2 shown]
; %bb.166:
	s_or_b32 exec_lo, exec_lo, s12
	v_add_f32_e32 v8, 0, v96
	v_add_f32_e32 v9, 0, v99
	v_mov_b32_e32 v23, v25
	v_mov_b32_e32 v24, v26
	s_mov_b32 s12, exec_lo
	v_ashrrev_i32_e32 v17, 31, v8
	v_ashrrev_i32_e32 v18, 31, v9
	v_or_b32_e32 v17, 0x80000000, v17
	v_or_b32_e32 v18, 0x80000000, v18
	v_xor_b32_e32 v17, v17, v8
	v_xor_b32_e32 v9, v18, v9
	v_mov_b32_e32 v8, v96
	v_cmpx_gt_u32_e64 v17, v9
; %bb.167:
	v_mov_b32_e32 v23, v50
	v_mov_b32_e32 v24, v51
	;; [unrolled: 1-line block ×6, first 2 shown]
; %bb.168:
	s_or_b32 exec_lo, exec_lo, s12
	v_add_f32_e32 v9, 0, v86
	v_add_f32_e32 v17, 0, v87
	v_mov_b32_e32 v96, v86
	s_mov_b32 s12, exec_lo
	v_ashrrev_i32_e32 v18, 31, v9
	v_ashrrev_i32_e32 v25, 31, v17
	v_or_b32_e32 v18, 0x80000000, v18
	v_or_b32_e32 v25, 0x80000000, v25
	v_xor_b32_e32 v9, v18, v9
	v_xor_b32_e32 v25, v25, v17
	v_mov_b32_e32 v17, v21
	v_mov_b32_e32 v18, v22
	v_cmpx_gt_u32_e64 v9, v25
; %bb.169:
	v_mov_b32_e32 v17, v19
	v_mov_b32_e32 v18, v20
	v_mov_b32_e32 v19, v21
	v_mov_b32_e32 v20, v22
	v_mov_b32_e32 v96, v87
	v_mov_b32_e32 v87, v86
; %bb.170:
	s_or_b32 exec_lo, exec_lo, s12
	v_add_f32_e32 v9, 0, v13
	v_add_f32_e32 v21, 0, v80
	v_mov_b32_e32 v54, v64
	v_mov_b32_e32 v71, v80
	v_mov_b32_e32 v55, v65
	v_ashrrev_i32_e32 v22, 31, v9
	v_ashrrev_i32_e32 v25, 31, v21
	s_mov_b32 s12, exec_lo
	v_or_b32_e32 v22, 0x80000000, v22
	v_or_b32_e32 v25, 0x80000000, v25
	v_xor_b32_e32 v9, v22, v9
	v_xor_b32_e32 v21, v25, v21
	v_cmpx_gt_u32_e64 v9, v21
; %bb.171:
	v_mov_b32_e32 v55, v5
	v_mov_b32_e32 v54, v4
	v_mov_b32_e32 v4, v64
	v_mov_b32_e32 v71, v13
	v_mov_b32_e32 v13, v80
	v_mov_b32_e32 v5, v65
; %bb.172:
	s_or_b32 exec_lo, exec_lo, s12
	v_add_f32_e32 v9, 0, v83
	v_add_f32_e32 v21, 0, v81
	v_mov_b32_e32 v65, v30
	v_mov_b32_e32 v80, v81
	v_mov_b32_e32 v64, v29
	v_ashrrev_i32_e32 v22, 31, v9
	v_ashrrev_i32_e32 v25, 31, v21
	s_mov_b32 s12, exec_lo
	v_or_b32_e32 v22, 0x80000000, v22
	v_or_b32_e32 v25, 0x80000000, v25
	v_xor_b32_e32 v9, v22, v9
	v_xor_b32_e32 v21, v25, v21
	;; [unrolled: 22-line block ×6, first 2 shown]
	v_cmpx_gt_u32_e64 v9, v21
; %bb.181:
	v_mov_b32_e32 v48, v52
	v_mov_b32_e32 v49, v53
	v_mov_b32_e32 v53, v51
	v_mov_b32_e32 v86, v69
	v_mov_b32_e32 v69, v8
	v_mov_b32_e32 v52, v50
; %bb.182:
	s_or_b32 exec_lo, exec_lo, s12
	v_add_f32_e32 v8, 0, v99
	v_add_f32_e32 v9, 0, v96
	v_mov_b32_e32 v98, v99
	s_mov_b32 s12, exec_lo
	v_ashrrev_i32_e32 v21, 31, v8
	v_ashrrev_i32_e32 v22, 31, v9
	v_or_b32_e32 v21, 0x80000000, v21
	v_or_b32_e32 v22, 0x80000000, v22
	v_xor_b32_e32 v8, v21, v8
	v_xor_b32_e32 v9, v22, v9
	v_mov_b32_e32 v22, v20
	v_mov_b32_e32 v21, v19
	v_cmpx_gt_u32_e64 v8, v9
; %bb.183:
	v_mov_b32_e32 v21, v23
	v_mov_b32_e32 v22, v24
	;; [unrolled: 1-line block ×6, first 2 shown]
; %bb.184:
	s_or_b32 exec_lo, exec_lo, s12
	v_add_f32_e32 v8, 0, v87
	v_add_f32_e32 v9, 0, v16
	v_mov_b32_e32 v97, v87
	s_mov_b32 s12, exec_lo
	v_ashrrev_i32_e32 v19, 31, v8
	v_ashrrev_i32_e32 v20, 31, v9
	v_or_b32_e32 v19, 0x80000000, v19
	v_or_b32_e32 v20, 0x80000000, v20
	v_xor_b32_e32 v19, v19, v8
	v_xor_b32_e32 v20, v20, v9
	v_mov_b32_e32 v8, v14
	v_mov_b32_e32 v9, v15
	v_cmpx_gt_u32_e64 v19, v20
; %bb.185:
	v_mov_b32_e32 v8, v17
	v_mov_b32_e32 v9, v18
	v_mov_b32_e32 v18, v15
	v_mov_b32_e32 v17, v14
	v_mov_b32_e32 v97, v16
	v_mov_b32_e32 v16, v87
; %bb.186:
	s_or_b32 exec_lo, exec_lo, s12
	v_add_f32_e32 v14, 0, v71
	v_add_f32_e32 v15, 0, v83
	v_mov_b32_e32 v50, v66
	v_mov_b32_e32 v82, v83
	v_mov_b32_e32 v51, v67
	v_ashrrev_i32_e32 v19, 31, v14
	v_ashrrev_i32_e32 v20, 31, v15
	s_mov_b32 s12, exec_lo
	v_or_b32_e32 v19, 0x80000000, v19
	v_or_b32_e32 v20, 0x80000000, v20
	v_xor_b32_e32 v14, v19, v14
	v_xor_b32_e32 v15, v20, v15
	v_cmpx_gt_u32_e64 v14, v15
; %bb.187:
	v_mov_b32_e32 v50, v54
	v_mov_b32_e32 v51, v55
	v_mov_b32_e32 v54, v66
	v_mov_b32_e32 v82, v71
	v_mov_b32_e32 v71, v83
	v_mov_b32_e32 v55, v67
; %bb.188:
	s_or_b32 exec_lo, exec_lo, s12
	v_add_f32_e32 v14, 0, v80
	v_add_f32_e32 v15, 0, v84
	v_mov_b32_e32 v67, v28
	v_mov_b32_e32 v83, v84
	v_mov_b32_e32 v66, v27
	v_ashrrev_i32_e32 v19, 31, v14
	v_ashrrev_i32_e32 v20, 31, v15
	s_mov_b32 s12, exec_lo
	v_or_b32_e32 v19, 0x80000000, v19
	v_or_b32_e32 v20, 0x80000000, v20
	v_xor_b32_e32 v14, v19, v14
	v_xor_b32_e32 v15, v20, v15
	;; [unrolled: 22-line block ×5, first 2 shown]
	v_cmpx_gt_u32_e64 v14, v15
; %bb.195:
	v_mov_b32_e32 v35, v37
	v_mov_b32_e32 v36, v38
	;; [unrolled: 1-line block ×6, first 2 shown]
; %bb.196:
	s_or_b32 exec_lo, exec_lo, s12
	v_add_f32_e32 v14, 0, v86
	v_add_f32_e32 v15, 0, v98
	v_mov_b32_e32 v26, v24
	v_mov_b32_e32 v25, v23
	s_mov_b32 s12, exec_lo
	v_ashrrev_i32_e32 v19, 31, v14
	v_ashrrev_i32_e32 v20, 31, v15
	v_or_b32_e32 v19, 0x80000000, v19
	v_or_b32_e32 v20, 0x80000000, v20
	v_xor_b32_e32 v19, v19, v14
	v_xor_b32_e32 v15, v20, v15
	v_mov_b32_e32 v14, v86
	v_cmpx_gt_u32_e64 v19, v15
; %bb.197:
	v_mov_b32_e32 v25, v48
	v_mov_b32_e32 v26, v49
	;; [unrolled: 1-line block ×6, first 2 shown]
; %bb.198:
	s_or_b32 exec_lo, exec_lo, s12
	v_add_f32_e32 v15, 0, v96
	v_add_f32_e32 v19, 0, v97
	v_mov_b32_e32 v99, v96
	s_mov_b32 s12, exec_lo
	v_ashrrev_i32_e32 v20, 31, v15
	v_ashrrev_i32_e32 v23, 31, v19
	v_or_b32_e32 v20, 0x80000000, v20
	v_or_b32_e32 v23, 0x80000000, v23
	v_xor_b32_e32 v15, v20, v15
	v_xor_b32_e32 v23, v23, v19
	v_mov_b32_e32 v20, v18
	v_mov_b32_e32 v19, v17
	v_cmpx_gt_u32_e64 v15, v23
; %bb.199:
	v_mov_b32_e32 v19, v21
	v_mov_b32_e32 v20, v22
	v_mov_b32_e32 v22, v18
	v_mov_b32_e32 v21, v17
	v_mov_b32_e32 v99, v97
	v_mov_b32_e32 v97, v96
; %bb.200:
	s_or_b32 exec_lo, exec_lo, s12
	v_add_f32_e32 v15, 0, v13
	v_add_f32_e32 v17, 0, v71
	v_mov_b32_e32 v52, v54
	v_mov_b32_e32 v69, v71
	v_mov_b32_e32 v53, v55
	v_ashrrev_i32_e32 v18, 31, v15
	v_ashrrev_i32_e32 v23, 31, v17
	s_mov_b32 s12, exec_lo
	v_or_b32_e32 v18, 0x80000000, v18
	v_or_b32_e32 v23, 0x80000000, v23
	v_xor_b32_e32 v15, v18, v15
	v_xor_b32_e32 v17, v23, v17
	v_cmpx_gt_u32_e64 v15, v17
; %bb.201:
	v_mov_b32_e32 v53, v5
	v_mov_b32_e32 v52, v4
	v_mov_b32_e32 v4, v54
	v_mov_b32_e32 v69, v13
	v_mov_b32_e32 v13, v71
	v_mov_b32_e32 v5, v55
; %bb.202:
	s_or_b32 exec_lo, exec_lo, s12
	v_add_f32_e32 v15, 0, v82
	v_add_f32_e32 v17, 0, v80
	v_mov_b32_e32 v54, v64
	v_mov_b32_e32 v71, v80
	v_mov_b32_e32 v55, v65
	v_ashrrev_i32_e32 v18, 31, v15
	v_ashrrev_i32_e32 v23, 31, v17
	s_mov_b32 s12, exec_lo
	v_or_b32_e32 v18, 0x80000000, v18
	v_or_b32_e32 v23, 0x80000000, v23
	v_xor_b32_e32 v15, v18, v15
	v_xor_b32_e32 v17, v23, v17
	;; [unrolled: 22-line block ×6, first 2 shown]
	v_cmpx_gt_u32_e64 v15, v17
; %bb.211:
	v_mov_b32_e32 v38, v36
	v_mov_b32_e32 v37, v35
	;; [unrolled: 1-line block ×6, first 2 shown]
; %bb.212:
	s_or_b32 exec_lo, exec_lo, s12
	v_add_f32_e32 v14, 0, v98
	v_add_f32_e32 v15, 0, v99
	v_mov_b32_e32 v114, v98
	s_mov_b32 s12, exec_lo
	v_ashrrev_i32_e32 v17, 31, v14
	v_ashrrev_i32_e32 v18, 31, v15
	v_or_b32_e32 v17, 0x80000000, v17
	v_or_b32_e32 v18, 0x80000000, v18
	v_xor_b32_e32 v14, v17, v14
	v_xor_b32_e32 v15, v18, v15
	v_mov_b32_e32 v17, v21
	v_mov_b32_e32 v18, v22
	v_cmpx_gt_u32_e64 v14, v15
; %bb.213:
	v_mov_b32_e32 v17, v25
	v_mov_b32_e32 v18, v26
	;; [unrolled: 1-line block ×6, first 2 shown]
; %bb.214:
	s_or_b32 exec_lo, exec_lo, s12
	v_add_f32_e32 v14, 0, v97
	v_add_f32_e32 v15, 0, v16
	v_mov_b32_e32 v113, v97
	s_mov_b32 s12, exec_lo
	v_ashrrev_i32_e32 v21, 31, v14
	v_ashrrev_i32_e32 v22, 31, v15
	v_or_b32_e32 v21, 0x80000000, v21
	v_or_b32_e32 v22, 0x80000000, v22
	v_xor_b32_e32 v21, v21, v14
	v_xor_b32_e32 v22, v22, v15
	v_mov_b32_e32 v15, v9
	v_mov_b32_e32 v14, v8
	v_cmpx_gt_u32_e64 v21, v22
; %bb.215:
	v_mov_b32_e32 v14, v19
	v_mov_b32_e32 v15, v20
	v_mov_b32_e32 v20, v9
	v_mov_b32_e32 v19, v8
	v_mov_b32_e32 v113, v16
	v_mov_b32_e32 v16, v97
; %bb.216:
	s_or_b32 exec_lo, exec_lo, s12
	v_add_f32_e32 v8, 0, v69
	v_add_f32_e32 v9, 0, v82
	v_mov_b32_e32 v48, v50
	v_mov_b32_e32 v39, v82
	v_mov_b32_e32 v49, v51
	v_ashrrev_i32_e32 v21, 31, v8
	v_ashrrev_i32_e32 v22, 31, v9
	s_mov_b32 s12, exec_lo
	v_or_b32_e32 v21, 0x80000000, v21
	v_or_b32_e32 v22, 0x80000000, v22
	v_xor_b32_e32 v8, v21, v8
	v_xor_b32_e32 v9, v22, v9
	v_cmpx_gt_u32_e64 v8, v9
; %bb.217:
	v_mov_b32_e32 v48, v52
	v_mov_b32_e32 v49, v53
	v_mov_b32_e32 v53, v51
	v_mov_b32_e32 v39, v69
	v_mov_b32_e32 v69, v82
	v_mov_b32_e32 v52, v50
; %bb.218:
	s_or_b32 exec_lo, exec_lo, s12
	v_add_f32_e32 v8, 0, v71
	v_add_f32_e32 v9, 0, v83
	v_mov_b32_e32 v50, v66
	v_mov_b32_e32 v87, v83
	v_mov_b32_e32 v51, v67
	v_ashrrev_i32_e32 v21, 31, v8
	v_ashrrev_i32_e32 v22, 31, v9
	s_mov_b32 s12, exec_lo
	v_or_b32_e32 v21, 0x80000000, v21
	v_or_b32_e32 v22, 0x80000000, v22
	v_xor_b32_e32 v8, v21, v8
	v_xor_b32_e32 v9, v22, v9
	;; [unrolled: 22-line block ×5, first 2 shown]
	v_cmpx_gt_u32_e64 v8, v9
; %bb.225:
	v_mov_b32_e32 v31, v33
	v_mov_b32_e32 v32, v34
	;; [unrolled: 1-line block ×6, first 2 shown]
; %bb.226:
	s_or_b32 exec_lo, exec_lo, s12
	v_add_f32_e32 v8, 0, v70
	v_add_f32_e32 v9, 0, v114
	v_mov_b32_e32 v23, v25
	v_mov_b32_e32 v24, v26
	s_mov_b32 s12, exec_lo
	v_ashrrev_i32_e32 v21, 31, v8
	v_ashrrev_i32_e32 v22, 31, v9
	v_or_b32_e32 v21, 0x80000000, v21
	v_or_b32_e32 v22, 0x80000000, v22
	v_xor_b32_e32 v8, v21, v8
	v_xor_b32_e32 v9, v22, v9
	v_mov_b32_e32 v21, v70
	v_cmpx_gt_u32_e64 v8, v9
; %bb.227:
	v_mov_b32_e32 v23, v37
	v_mov_b32_e32 v24, v38
	;; [unrolled: 1-line block ×6, first 2 shown]
; %bb.228:
	s_or_b32 exec_lo, exec_lo, s12
	v_add_f32_e32 v8, 0, v99
	v_add_f32_e32 v9, 0, v113
	v_mov_b32_e32 v116, v99
	s_mov_b32 s12, exec_lo
	v_ashrrev_i32_e32 v22, 31, v8
	v_ashrrev_i32_e32 v25, 31, v9
	v_or_b32_e32 v22, 0x80000000, v22
	v_or_b32_e32 v25, 0x80000000, v25
	v_xor_b32_e32 v22, v22, v8
	v_xor_b32_e32 v25, v25, v9
	v_mov_b32_e32 v8, v19
	v_mov_b32_e32 v9, v20
	v_cmpx_gt_u32_e64 v22, v25
; %bb.229:
	v_mov_b32_e32 v8, v17
	v_mov_b32_e32 v9, v18
	v_mov_b32_e32 v17, v19
	v_mov_b32_e32 v18, v20
	v_mov_b32_e32 v116, v113
	v_mov_b32_e32 v113, v99
; %bb.230:
	s_or_b32 exec_lo, exec_lo, s12
	v_add_f32_e32 v19, 0, v13
	v_add_f32_e32 v20, 0, v69
	v_mov_b32_e32 v99, v69
	v_ashrrev_i32_e32 v22, 31, v19
	v_ashrrev_i32_e32 v25, 31, v20
	v_or_b32_e32 v22, 0x80000000, v22
	v_or_b32_e32 v25, 0x80000000, v25
	v_xor_b32_e32 v19, v22, v19
	v_xor_b32_e32 v20, v25, v20
	v_cmp_gt_u32_e64 s8, v19, v20
	v_mov_b32_e32 v19, v52
	v_mov_b32_e32 v20, v53
	s_and_saveexec_b32 s12, s8
; %bb.231:
	v_mov_b32_e32 v20, v5
	v_mov_b32_e32 v19, v4
	v_mov_b32_e32 v4, v52
	v_mov_b32_e32 v99, v13
	v_mov_b32_e32 v13, v69
	v_mov_b32_e32 v5, v53
; %bb.232:
	s_or_b32 exec_lo, exec_lo, s12
	v_add_f32_e32 v22, 0, v39
	v_add_f32_e32 v25, 0, v71
	v_mov_b32_e32 v52, v71
	v_ashrrev_i32_e32 v26, 31, v22
	v_ashrrev_i32_e32 v35, 31, v25
	v_or_b32_e32 v26, 0x80000000, v26
	v_or_b32_e32 v35, 0x80000000, v35
	v_xor_b32_e32 v22, v26, v22
	v_xor_b32_e32 v25, v35, v25
	v_cmp_gt_u32_e64 s8, v22, v25
	v_mov_b32_e32 v25, v54
	v_mov_b32_e32 v26, v55
	s_and_saveexec_b32 s12, s8
	;; [unrolled: 22-line block ×3, first 2 shown]
; %bb.235:
	v_mov_b32_e32 v35, v50
	v_mov_b32_e32 v36, v51
	;; [unrolled: 1-line block ×6, first 2 shown]
; %bb.236:
	s_or_b32 exec_lo, exec_lo, s12
	v_add_f32_e32 v22, 0, v96
	v_add_f32_e32 v53, 0, v81
	v_mov_b32_e32 v71, v30
	v_mov_b32_e32 v70, v29
	s_mov_b32 s12, exec_lo
	v_ashrrev_i32_e32 v55, 31, v22
	v_ashrrev_i32_e32 v64, 31, v53
	v_or_b32_e32 v55, 0x80000000, v55
	v_or_b32_e32 v64, 0x80000000, v64
	v_xor_b32_e32 v22, v55, v22
	v_xor_b32_e32 v53, v64, v53
	v_mov_b32_e32 v64, v81
	v_cmpx_gt_u32_e64 v22, v53
; %bb.237:
	v_mov_b32_e32 v71, v67
	v_mov_b32_e32 v70, v66
	;; [unrolled: 1-line block ×6, first 2 shown]
; %bb.238:
	s_or_b32 exec_lo, exec_lo, s12
	v_add_f32_e32 v22, 0, v97
	v_add_f32_e32 v29, 0, v86
	v_mov_b32_e32 v112, v86
	v_ashrrev_i32_e32 v30, 31, v22
	v_ashrrev_i32_e32 v53, 31, v29
	v_or_b32_e32 v30, 0x80000000, v30
	v_or_b32_e32 v53, 0x80000000, v53
	v_xor_b32_e32 v22, v30, v22
	v_xor_b32_e32 v29, v53, v29
	v_cmp_gt_u32_e64 s8, v22, v29
	v_mov_b32_e32 v29, v33
	v_mov_b32_e32 v30, v34
	s_and_saveexec_b32 s12, s8
; %bb.239:
	v_mov_b32_e32 v30, v28
	v_mov_b32_e32 v29, v27
	v_mov_b32_e32 v27, v33
	v_mov_b32_e32 v112, v97
	v_mov_b32_e32 v97, v86
	v_mov_b32_e32 v28, v34
; %bb.240:
	s_or_b32 exec_lo, exec_lo, s12
	v_add_f32_e32 v22, 0, v98
	v_add_f32_e32 v33, 0, v21
	v_mov_b32_e32 v81, v38
	v_mov_b32_e32 v80, v37
	s_mov_b32 s12, exec_lo
	v_ashrrev_i32_e32 v34, 31, v22
	v_ashrrev_i32_e32 v53, 31, v33
	v_or_b32_e32 v34, 0x80000000, v34
	v_or_b32_e32 v53, 0x80000000, v53
	v_xor_b32_e32 v22, v34, v22
	v_xor_b32_e32 v34, v53, v33
	v_mov_b32_e32 v33, v21
	v_cmpx_gt_u32_e64 v22, v34
; %bb.241:
	v_mov_b32_e32 v81, v32
	v_mov_b32_e32 v80, v31
	;; [unrolled: 1-line block ×6, first 2 shown]
; %bb.242:
	s_or_b32 exec_lo, exec_lo, s12
	v_add_f32_e32 v21, 0, v114
	v_add_f32_e32 v22, 0, v116
	v_mov_b32_e32 v118, v114
	s_mov_b32 s12, exec_lo
	v_ashrrev_i32_e32 v34, 31, v21
	v_ashrrev_i32_e32 v37, 31, v22
	v_or_b32_e32 v34, 0x80000000, v34
	v_or_b32_e32 v37, 0x80000000, v37
	v_xor_b32_e32 v34, v34, v21
	v_xor_b32_e32 v37, v37, v22
	v_mov_b32_e32 v22, v18
	v_mov_b32_e32 v21, v17
	v_cmpx_gt_u32_e64 v34, v37
; %bb.243:
	v_mov_b32_e32 v21, v23
	v_mov_b32_e32 v22, v24
	;; [unrolled: 1-line block ×6, first 2 shown]
; %bb.244:
	s_or_b32 exec_lo, exec_lo, s12
	v_add_f32_e32 v17, 0, v113
	v_add_f32_e32 v18, 0, v16
	v_mov_b32_e32 v117, v113
	s_mov_b32 s12, exec_lo
	v_ashrrev_i32_e32 v34, 31, v17
	v_ashrrev_i32_e32 v37, 31, v18
	v_or_b32_e32 v34, 0x80000000, v34
	v_or_b32_e32 v37, 0x80000000, v37
	v_xor_b32_e32 v34, v34, v17
	v_xor_b32_e32 v37, v37, v18
	v_mov_b32_e32 v18, v15
	v_mov_b32_e32 v17, v14
	v_cmpx_gt_u32_e64 v34, v37
; %bb.245:
	v_mov_b32_e32 v18, v9
	v_mov_b32_e32 v17, v8
	;; [unrolled: 1-line block ×6, first 2 shown]
; %bb.246:
	s_or_b32 exec_lo, exec_lo, s12
	v_add_f32_e32 v14, 0, v99
	v_add_f32_e32 v15, 0, v39
	v_mov_b32_e32 v83, v49
	v_mov_b32_e32 v82, v48
	s_mov_b32 s12, exec_lo
	v_ashrrev_i32_e32 v34, 31, v14
	v_ashrrev_i32_e32 v37, 31, v15
	v_or_b32_e32 v34, 0x80000000, v34
	v_or_b32_e32 v37, 0x80000000, v37
	v_xor_b32_e32 v14, v34, v14
	v_xor_b32_e32 v34, v37, v15
	v_mov_b32_e32 v15, v39
	v_cmpx_gt_u32_e64 v14, v34
; %bb.247:
	v_mov_b32_e32 v83, v20
	v_mov_b32_e32 v82, v19
	;; [unrolled: 1-line block ×6, first 2 shown]
; %bb.248:
	s_or_b32 exec_lo, exec_lo, s12
	v_add_f32_e32 v14, 0, v52
	v_add_f32_e32 v34, 0, v87
	v_mov_b32_e32 v48, v50
	v_mov_b32_e32 v49, v51
	s_mov_b32 s12, exec_lo
	v_ashrrev_i32_e32 v37, 31, v14
	v_ashrrev_i32_e32 v38, 31, v34
	v_or_b32_e32 v37, 0x80000000, v37
	v_or_b32_e32 v38, 0x80000000, v38
	v_xor_b32_e32 v14, v37, v14
	v_xor_b32_e32 v37, v38, v34
	v_mov_b32_e32 v34, v87
	v_cmpx_gt_u32_e64 v14, v37
; %bb.249:
	v_mov_b32_e32 v49, v26
	v_mov_b32_e32 v48, v25
	v_mov_b32_e32 v25, v50
	v_mov_b32_e32 v34, v52
	v_mov_b32_e32 v52, v87
	v_mov_b32_e32 v26, v51
; %bb.250:
	s_or_b32 exec_lo, exec_lo, s12
	v_add_f32_e32 v14, 0, v54
	v_add_f32_e32 v37, 0, v96
	v_mov_b32_e32 v85, v67
	v_mov_b32_e32 v113, v96
	v_mov_b32_e32 v84, v66
	v_ashrrev_i32_e32 v38, 31, v14
	v_ashrrev_i32_e32 v39, 31, v37
	s_mov_b32 s12, exec_lo
	v_or_b32_e32 v38, 0x80000000, v38
	v_or_b32_e32 v39, 0x80000000, v39
	v_xor_b32_e32 v14, v38, v14
	v_xor_b32_e32 v37, v39, v37
	v_cmpx_gt_u32_e64 v14, v37
; %bb.251:
	v_mov_b32_e32 v85, v36
	v_mov_b32_e32 v84, v35
	v_mov_b32_e32 v35, v66
	v_mov_b32_e32 v113, v54
	v_mov_b32_e32 v54, v96
	v_mov_b32_e32 v36, v67
; %bb.252:
	s_or_b32 exec_lo, exec_lo, s12
	v_add_f32_e32 v14, 0, v64
	v_add_f32_e32 v37, 0, v97
	v_mov_b32_e32 v87, v28
	v_mov_b32_e32 v114, v97
	v_mov_b32_e32 v86, v27
	v_ashrrev_i32_e32 v38, 31, v14
	v_ashrrev_i32_e32 v39, 31, v37
	s_mov_b32 s12, exec_lo
	v_or_b32_e32 v38, 0x80000000, v38
	v_or_b32_e32 v39, 0x80000000, v39
	v_xor_b32_e32 v14, v38, v14
	v_xor_b32_e32 v37, v39, v37
	;; [unrolled: 22-line block ×5, first 2 shown]
	v_cmpx_gt_u32_e64 v14, v23
; %bb.259:
	v_mov_b32_e32 v39, v22
	v_mov_b32_e32 v38, v21
	;; [unrolled: 1-line block ×6, first 2 shown]
; %bb.260:
	s_or_b32 exec_lo, exec_lo, s12
	v_add_f32_e32 v8, 0, v13
	v_add_f32_e32 v9, 0, v99
	v_ashrrev_i32_e32 v14, 31, v8
	v_ashrrev_i32_e32 v23, 31, v9
	v_or_b32_e32 v14, 0x80000000, v14
	v_or_b32_e32 v23, 0x80000000, v23
	v_xor_b32_e32 v8, v14, v8
	v_xor_b32_e32 v9, v23, v9
	v_mov_b32_e32 v14, v99
	v_cmp_gt_u32_e64 s8, v8, v9
	v_mov_b32_e32 v8, v19
	v_mov_b32_e32 v9, v20
	s_and_saveexec_b32 s12, s8
; %bb.261:
	v_mov_b32_e32 v9, v5
	v_mov_b32_e32 v8, v4
	;; [unrolled: 1-line block ×6, first 2 shown]
; %bb.262:
	s_or_b32 exec_lo, exec_lo, s12
	v_add_f32_e32 v19, 0, v15
	v_add_f32_e32 v20, 0, v52
	v_mov_b32_e32 v53, v52
	v_ashrrev_i32_e32 v23, 31, v19
	v_ashrrev_i32_e32 v24, 31, v20
	v_or_b32_e32 v23, 0x80000000, v23
	v_or_b32_e32 v24, 0x80000000, v24
	v_xor_b32_e32 v19, v23, v19
	v_xor_b32_e32 v20, v24, v20
	v_cmp_gt_u32_e64 s8, v19, v20
	v_mov_b32_e32 v19, v25
	v_mov_b32_e32 v20, v26
	s_and_saveexec_b32 s12, s8
; %bb.263:
	v_mov_b32_e32 v19, v82
	v_mov_b32_e32 v20, v83
	;; [unrolled: 1-line block ×6, first 2 shown]
; %bb.264:
	s_or_b32 exec_lo, exec_lo, s12
	v_add_f32_e32 v23, 0, v34
	v_add_f32_e32 v24, 0, v54
	v_mov_b32_e32 v55, v54
	v_ashrrev_i32_e32 v25, 31, v23
	v_ashrrev_i32_e32 v26, 31, v24
	v_or_b32_e32 v25, 0x80000000, v25
	v_or_b32_e32 v26, 0x80000000, v26
	v_xor_b32_e32 v23, v25, v23
	v_xor_b32_e32 v24, v26, v24
	v_cmp_gt_u32_e64 s8, v23, v24
	v_mov_b32_e32 v23, v35
	v_mov_b32_e32 v24, v36
	s_and_saveexec_b32 s12, s8
; %bb.265:
	v_mov_b32_e32 v23, v48
	v_mov_b32_e32 v24, v49
	;; [unrolled: 1-line block ×6, first 2 shown]
; %bb.266:
	s_or_b32 exec_lo, exec_lo, s12
	v_add_f32_e32 v25, 0, v113
	v_add_f32_e32 v26, 0, v64
	v_mov_b32_e32 v65, v64
	s_mov_b32 s12, exec_lo
	v_ashrrev_i32_e32 v27, 31, v25
	v_ashrrev_i32_e32 v28, 31, v26
	v_or_b32_e32 v27, 0x80000000, v27
	v_or_b32_e32 v28, 0x80000000, v28
	v_xor_b32_e32 v25, v27, v25
	v_xor_b32_e32 v26, v28, v26
	v_mov_b32_e32 v27, v70
	v_mov_b32_e32 v28, v71
	v_cmpx_gt_u32_e64 v25, v26
; %bb.267:
	v_mov_b32_e32 v27, v84
	v_mov_b32_e32 v28, v85
	;; [unrolled: 1-line block ×6, first 2 shown]
; %bb.268:
	s_or_b32 exec_lo, exec_lo, s12
	v_add_f32_e32 v26, 0, v112
	v_add_f32_e32 v25, 0, v114
	v_mov_b32_e32 v67, v112
	s_mov_b32 s12, exec_lo
	v_ashrrev_i32_e32 v32, 31, v26
	v_ashrrev_i32_e32 v31, 31, v25
	v_or_b32_e32 v32, 0x80000000, v32
	v_or_b32_e32 v31, 0x80000000, v31
	v_xor_b32_e32 v26, v32, v26
	v_mov_b32_e32 v33, v30
	v_xor_b32_e32 v25, v31, v25
	v_mov_b32_e32 v32, v29
	v_cmpx_gt_u32_e64 v25, v26
; %bb.269:
	v_mov_b32_e32 v32, v86
	v_mov_b32_e32 v33, v87
	v_mov_b32_e32 v87, v30
	v_mov_b32_e32 v67, v114
	v_mov_b32_e32 v114, v112
	v_mov_b32_e32 v86, v29
; %bb.270:
	s_or_b32 exec_lo, exec_lo, s12
	v_add_f32_e32 v25, 0, v115
	v_add_f32_e32 v26, 0, v50
	v_mov_b32_e32 v36, v80
	v_mov_b32_e32 v31, v50
	v_mov_b32_e32 v37, v81
	v_ashrrev_i32_e32 v29, 31, v25
	v_ashrrev_i32_e32 v30, 31, v26
	s_mov_b32 s12, exec_lo
	v_or_b32_e32 v29, 0x80000000, v29
	v_or_b32_e32 v30, 0x80000000, v30
	v_xor_b32_e32 v25, v29, v25
	v_xor_b32_e32 v26, v30, v26
	v_cmpx_gt_u32_e64 v25, v26
; %bb.271:
	v_mov_b32_e32 v36, v96
	v_mov_b32_e32 v37, v97
	v_mov_b32_e32 v97, v81
	v_mov_b32_e32 v31, v115
	v_mov_b32_e32 v115, v50
	v_mov_b32_e32 v96, v80
; %bb.272:
	s_or_b32 exec_lo, exec_lo, s12
	v_add_f32_e32 v25, 0, v118
	v_add_f32_e32 v26, 0, v51
	v_mov_b32_e32 v99, v22
	v_mov_b32_e32 v98, v21
	v_mov_b32_e32 v50, v118
	v_ashrrev_i32_e32 v29, 31, v25
	v_ashrrev_i32_e32 v30, 31, v26
	s_mov_b32 s12, exec_lo
	v_or_b32_e32 v29, 0x80000000, v29
	v_or_b32_e32 v30, 0x80000000, v30
	v_xor_b32_e32 v25, v29, v25
	v_xor_b32_e32 v26, v30, v26
	;; [unrolled: 22-line block ×3, first 2 shown]
	v_cmpx_gt_u32_e64 v21, v22
; %bb.275:
	v_mov_b32_e32 v81, v39
	v_mov_b32_e32 v80, v38
	v_mov_b32_e32 v39, v18
	v_mov_b32_e32 v38, v17
	v_mov_b32_e32 v112, v16
	v_mov_b32_e32 v16, v117
; %bb.276:
	s_or_b32 exec_lo, exec_lo, s12
	v_add_f32_e32 v17, 0, v14
	v_add_f32_e32 v18, 0, v15
	v_mov_b32_e32 v52, v15
	v_ashrrev_i32_e32 v21, 31, v17
	v_ashrrev_i32_e32 v22, 31, v18
	v_or_b32_e32 v21, 0x80000000, v21
	v_or_b32_e32 v22, 0x80000000, v22
	v_xor_b32_e32 v17, v21, v17
	v_xor_b32_e32 v18, v22, v18
	v_cmp_gt_u32_e64 s8, v17, v18
	v_mov_b32_e32 v17, v82
	v_mov_b32_e32 v18, v83
	s_and_saveexec_b32 s12, s8
; %bb.277:
	v_mov_b32_e32 v18, v9
	v_mov_b32_e32 v17, v8
	v_mov_b32_e32 v8, v82
	v_mov_b32_e32 v52, v14
	v_mov_b32_e32 v14, v15
	v_mov_b32_e32 v9, v83
; %bb.278:
	s_or_b32 exec_lo, exec_lo, s12
	v_add_f32_e32 v15, 0, v53
	v_add_f32_e32 v21, 0, v34
	v_mov_b32_e32 v54, v34
	v_ashrrev_i32_e32 v22, 31, v15
	v_ashrrev_i32_e32 v25, 31, v21
	v_or_b32_e32 v22, 0x80000000, v22
	v_or_b32_e32 v25, 0x80000000, v25
	v_xor_b32_e32 v15, v22, v15
	v_xor_b32_e32 v21, v25, v21
	v_cmp_gt_u32_e64 s8, v15, v21
	v_mov_b32_e32 v21, v48
	v_mov_b32_e32 v22, v49
	s_and_saveexec_b32 s12, s8
	;; [unrolled: 22-line block ×5, first 2 shown]
; %bb.285:
	v_mov_b32_e32 v35, v33
	v_mov_b32_e32 v34, v32
	;; [unrolled: 1-line block ×6, first 2 shown]
; %bb.286:
	s_or_b32 exec_lo, exec_lo, s12
	v_add_f32_e32 v15, 0, v31
	v_add_f32_e32 v48, 0, v50
	v_ashrrev_i32_e32 v49, 31, v15
	v_ashrrev_i32_e32 v71, 31, v48
	v_or_b32_e32 v49, 0x80000000, v49
	v_or_b32_e32 v71, 0x80000000, v71
	v_xor_b32_e32 v15, v49, v15
	v_xor_b32_e32 v48, v71, v48
	v_mov_b32_e32 v71, v31
	v_cmp_gt_u32_e64 s8, v15, v48
	v_mov_b32_e32 v48, v68
	v_mov_b32_e32 v49, v69
	s_and_saveexec_b32 s12, s8
; %bb.287:
	v_mov_b32_e32 v49, v37
	v_mov_b32_e32 v48, v36
	;; [unrolled: 1-line block ×6, first 2 shown]
; %bb.288:
	s_or_b32 exec_lo, exec_lo, s12
	v_add_f32_e32 v15, 0, v51
	v_add_f32_e32 v31, 0, v112
	v_ashrrev_i32_e32 v68, 31, v15
	v_ashrrev_i32_e32 v69, 31, v31
	v_or_b32_e32 v68, 0x80000000, v68
	v_or_b32_e32 v69, 0x80000000, v69
	v_xor_b32_e32 v68, v68, v15
	v_xor_b32_e32 v31, v69, v31
	v_mov_b32_e32 v15, v112
	v_cmp_gt_u32_e64 s8, v68, v31
	v_mov_b32_e32 v68, v98
	v_mov_b32_e32 v69, v99
	s_and_saveexec_b32 s12, s8
; %bb.289:
	v_mov_b32_e32 v69, v39
	v_mov_b32_e32 v68, v38
	;; [unrolled: 1-line block ×6, first 2 shown]
; %bb.290:
	s_or_b32 exec_lo, exec_lo, s12
.LBB1438_291:
	s_or_b32 exec_lo, exec_lo, s9
	v_and_b32_e32 v82, 0xfffffe00, v103
	v_or_b32_e32 v85, 16, v102
	v_and_b32_e32 v86, 16, v102
	v_and_b32_e32 v116, 0x1e0, v102
	s_mov_b32 s9, exec_lo
	v_sub_nc_u32_e64 v84, 0x1000, v82 clamp
	v_lshlrev_b32_e32 v31, 2, v82
	v_min_u32_e32 v112, v84, v85
	v_add_nc_u32_e32 v82, v31, v31
	v_min_u32_e32 v117, v84, v86
	v_lshl_or_b32 v83, v102, 2, v31
	ds_write2_b64 v83, v[13:14], v[52:53] offset1:1
	ds_write2_b64 v83, v[54:55], v[64:65] offset0:2 offset1:3
	ds_write2_b64 v83, v[66:67], v[70:71] offset0:4 offset1:5
	v_add_nc_u32_e32 v85, 16, v112
	v_lshl_add_u32 v97, v102, 3, v82
	v_sub_nc_u32_e32 v115, v112, v116
	v_min_u32_e32 v113, v84, v85
	v_add_nc_u32_e32 v103, 0x4000, v97
	v_add_nc_u32_e32 v98, 0x4010, v97
	;; [unrolled: 1-line block ×4, first 2 shown]
	v_sub_nc_u32_e32 v114, v113, v112
	v_add_nc_u32_e32 v96, 0x4040, v97
	v_add_nc_u32_e32 v85, 0x4050, v97
	;; [unrolled: 1-line block ×3, first 2 shown]
	v_min_u32_e32 v118, v117, v115
	v_sub_nc_u32_e64 v114, v117, v114 clamp
	v_add_nc_u32_e32 v97, 0x4070, v97
	v_lshl_or_b32 v115, v116, 2, v31
	ds_write2_b64 v103, v[4:5], v[8:9] offset1:1
	ds_write2_b64 v98, v[17:18], v[19:20] offset1:1
	;; [unrolled: 1-line block ×7, first 2 shown]
	ds_write2_b64 v83, v[50:51], v[15:16] offset0:6 offset1:7
	ds_write2_b64 v97, v[38:39], v[80:81] offset1:1
	; wave barrier
	v_cmpx_lt_u32_e64 v114, v118
	s_cbranch_execz .LBB1438_295
; %bb.292:
	v_lshlrev_b32_e32 v119, 2, v112
	v_lshlrev_b32_e32 v128, 2, v117
	s_mov_b32 s12, 0
	v_add3_u32 v119, v31, v119, v128
	s_inst_prefetch 0x1
	.p2align	6
.LBB1438_293:                           ; =>This Inner Loop Header: Depth=1
	v_add_nc_u32_e32 v128, v118, v114
	v_lshrrev_b32_e32 v128, 1, v128
	v_not_b32_e32 v129, v128
	v_lshl_add_u32 v130, v128, 2, v115
	v_lshl_add_u32 v129, v129, 2, v119
	ds_read_b32 v130, v130
	ds_read_b32 v129, v129
	s_waitcnt lgkmcnt(1)
	v_add_f32_e32 v130, 0, v130
	s_waitcnt lgkmcnt(0)
	v_add_f32_e32 v129, 0, v129
	v_ashrrev_i32_e32 v131, 31, v130
	v_ashrrev_i32_e32 v132, 31, v129
	v_or_b32_e32 v131, 0x80000000, v131
	v_or_b32_e32 v132, 0x80000000, v132
	v_xor_b32_e32 v130, v131, v130
	v_xor_b32_e32 v129, v132, v129
	v_add_nc_u32_e32 v131, 1, v128
	v_cmp_gt_u32_e64 s8, v130, v129
	v_cndmask_b32_e64 v118, v118, v128, s8
	v_cndmask_b32_e64 v114, v131, v114, s8
	v_cmp_ge_u32_e64 s8, v114, v118
	s_or_b32 s12, s8, s12
	s_andn2_b32 exec_lo, exec_lo, s12
	s_cbranch_execnz .LBB1438_293
; %bb.294:
	s_inst_prefetch 0x2
	s_or_b32 exec_lo, exec_lo, s12
.LBB1438_295:
	s_or_b32 exec_lo, exec_lo, s9
	v_add_nc_u32_e32 v117, v112, v117
	v_add_nc_u32_e32 v116, v114, v116
	v_sub_nc_u32_e32 v117, v117, v114
	v_cmp_le_u32_e64 s8, v116, v112
	v_cmp_le_u32_e64 s9, v117, v113
	s_or_b32 s8, s8, s9
	s_and_saveexec_b32 s12, s8
	s_cbranch_execz .LBB1438_363
; %bb.296:
	v_cmp_ge_u32_e64 s8, v116, v112
	s_mov_b32 s13, exec_lo
                                        ; implicit-def: $vgpr13
	v_cmpx_lt_u32_e64 v116, v112
; %bb.297:
	v_lshl_add_u32 v4, v114, 2, v115
	ds_read_b32 v13, v4
; %bb.298:
	s_or_b32 exec_lo, exec_lo, s13
	v_cmp_ge_u32_e64 s13, v117, v113
	s_mov_b32 s23, exec_lo
                                        ; implicit-def: $vgpr16
	v_cmpx_lt_u32_e64 v117, v113
; %bb.299:
	v_lshl_add_u32 v4, v117, 2, v31
	ds_read_b32 v16, v4
; %bb.300:
	s_or_b32 exec_lo, exec_lo, s23
	s_nor_b32 s8, s8, s13
	s_and_saveexec_b32 s9, s8
	s_cbranch_execz .LBB1438_302
; %bb.301:
	s_waitcnt lgkmcnt(0)
	v_add_f32_e32 v4, 0, v13
	v_add_f32_e32 v5, 0, v16
	s_andn2_b32 s13, s13, exec_lo
	v_ashrrev_i32_e32 v8, 31, v4
	v_ashrrev_i32_e32 v9, 31, v5
	v_or_b32_e32 v8, 0x80000000, v8
	v_or_b32_e32 v9, 0x80000000, v9
	v_xor_b32_e32 v4, v8, v4
	v_xor_b32_e32 v5, v9, v5
	v_cmp_le_u32_e64 s8, v4, v5
	s_and_b32 s8, s8, exec_lo
	s_or_b32 s13, s13, s8
.LBB1438_302:
	s_or_b32 exec_lo, exec_lo, s9
	v_cndmask_b32_e64 v4, v117, v116, s13
	v_cndmask_b32_e64 v5, v113, v112, s13
	s_mov_b32 s23, -1
	s_mov_b32 s9, -1
	s_mov_b32 s24, exec_lo
	v_add_nc_u32_e32 v8, 1, v4
	v_add_nc_u32_e32 v5, -1, v5
	v_lshl_add_u32 v4, v4, 3, v82
	v_cndmask_b32_e64 v15, v8, v117, s13
	v_min_u32_e32 v5, v8, v5
	v_cndmask_b32_e64 v17, v116, v8, s13
	v_lshl_add_u32 v5, v5, 2, v31
	ds_read_b32 v9, v5
	ds_read_b64 v[4:5], v4 offset:16384
	s_waitcnt lgkmcnt(1)
	v_cndmask_b32_e64 v14, v9, v16, s13
	v_cndmask_b32_e64 v114, v13, v9, s13
	v_cmpx_lt_u32_e64 v15, v113
	s_cbranch_execz .LBB1438_306
; %bb.303:
	s_mov_b32 s25, 0
	s_mov_b32 s9, exec_lo
	v_cmpx_lt_u32_e64 v17, v112
	s_cbranch_execz .LBB1438_305
; %bb.304:
	v_add_f32_e32 v8, 0, v114
	v_add_f32_e32 v9, 0, v14
	v_ashrrev_i32_e32 v18, 31, v8
	v_ashrrev_i32_e32 v19, 31, v9
	v_or_b32_e32 v18, 0x80000000, v18
	v_or_b32_e32 v19, 0x80000000, v19
	v_xor_b32_e32 v8, v18, v8
	v_xor_b32_e32 v9, v19, v9
	v_cmp_le_u32_e64 s8, v8, v9
	s_and_b32 s25, s8, exec_lo
.LBB1438_305:
	s_or_b32 exec_lo, exec_lo, s9
	s_orn2_b32 s9, s25, exec_lo
.LBB1438_306:
	s_or_b32 exec_lo, exec_lo, s24
	v_cndmask_b32_e64 v8, v15, v17, s9
	v_cndmask_b32_e64 v9, v113, v112, s9
	s_mov_b32 s24, exec_lo
	v_add_nc_u32_e32 v18, 1, v8
	v_add_nc_u32_e32 v9, -1, v9
	v_lshl_add_u32 v8, v8, 3, v82
	v_cndmask_b32_e64 v15, v18, v15, s9
	v_min_u32_e32 v9, v18, v9
	v_cndmask_b32_e64 v19, v17, v18, s9
	v_lshl_add_u32 v9, v9, 2, v31
	ds_read_b32 v20, v9
	ds_read_b64 v[8:9], v8 offset:16384
	s_waitcnt lgkmcnt(1)
	v_cndmask_b32_e64 v52, v20, v14, s9
	v_cndmask_b32_e64 v115, v114, v20, s9
	v_cmpx_lt_u32_e64 v15, v113
	s_cbranch_execz .LBB1438_310
; %bb.307:
	s_mov_b32 s25, 0
	s_mov_b32 s23, exec_lo
	v_cmpx_lt_u32_e64 v19, v112
	s_cbranch_execz .LBB1438_309
; %bb.308:
	v_add_f32_e32 v17, 0, v115
	v_add_f32_e32 v18, 0, v52
	v_ashrrev_i32_e32 v20, 31, v17
	v_ashrrev_i32_e32 v21, 31, v18
	v_or_b32_e32 v20, 0x80000000, v20
	v_or_b32_e32 v21, 0x80000000, v21
	v_xor_b32_e32 v17, v20, v17
	v_xor_b32_e32 v18, v21, v18
	v_cmp_le_u32_e64 s8, v17, v18
	s_and_b32 s25, s8, exec_lo
.LBB1438_309:
	s_or_b32 exec_lo, exec_lo, s23
	s_orn2_b32 s23, s25, exec_lo
.LBB1438_310:
	s_or_b32 exec_lo, exec_lo, s24
	v_cndmask_b32_e64 v17, v15, v19, s23
	v_cndmask_b32_e64 v18, v113, v112, s23
	s_mov_b32 s25, -1
	s_mov_b32 s24, -1
	s_mov_b32 s26, exec_lo
	v_add_nc_u32_e32 v20, 1, v17
	v_add_nc_u32_e32 v18, -1, v18
	v_lshl_add_u32 v17, v17, 3, v82
	v_cndmask_b32_e64 v15, v20, v15, s23
	v_min_u32_e32 v18, v20, v18
	v_cndmask_b32_e64 v21, v19, v20, s23
	v_lshl_add_u32 v18, v18, 2, v31
	ds_read_b32 v22, v18
	ds_read_b64 v[17:18], v17 offset:16384
	s_waitcnt lgkmcnt(1)
	v_cndmask_b32_e64 v53, v22, v52, s23
	v_cndmask_b32_e64 v116, v115, v22, s23
	v_cmpx_lt_u32_e64 v15, v113
	s_cbranch_execz .LBB1438_314
; %bb.311:
	s_mov_b32 s27, 0
	s_mov_b32 s24, exec_lo
	v_cmpx_lt_u32_e64 v21, v112
	s_cbranch_execz .LBB1438_313
; %bb.312:
	v_add_f32_e32 v19, 0, v116
	v_add_f32_e32 v20, 0, v53
	v_ashrrev_i32_e32 v22, 31, v19
	v_ashrrev_i32_e32 v23, 31, v20
	v_or_b32_e32 v22, 0x80000000, v22
	v_or_b32_e32 v23, 0x80000000, v23
	v_xor_b32_e32 v19, v22, v19
	v_xor_b32_e32 v20, v23, v20
	v_cmp_le_u32_e64 s8, v19, v20
	s_and_b32 s27, s8, exec_lo
.LBB1438_313:
	s_or_b32 exec_lo, exec_lo, s24
	s_orn2_b32 s24, s27, exec_lo
.LBB1438_314:
	s_or_b32 exec_lo, exec_lo, s26
	v_cndmask_b32_e64 v19, v15, v21, s24
	v_cndmask_b32_e64 v20, v113, v112, s24
	s_mov_b32 s26, exec_lo
	v_add_nc_u32_e32 v22, 1, v19
	v_add_nc_u32_e32 v20, -1, v20
	v_lshl_add_u32 v19, v19, 3, v82
	v_cndmask_b32_e64 v15, v22, v15, s24
	v_min_u32_e32 v20, v22, v20
	v_cndmask_b32_e64 v23, v21, v22, s24
	v_lshl_add_u32 v20, v20, 2, v31
	ds_read_b32 v24, v20
	ds_read_b64 v[19:20], v19 offset:16384
	s_waitcnt lgkmcnt(1)
	v_cndmask_b32_e64 v54, v24, v53, s24
	v_cndmask_b32_e64 v117, v116, v24, s24
	v_cmpx_lt_u32_e64 v15, v113
	s_cbranch_execz .LBB1438_318
; %bb.315:
	s_mov_b32 s27, 0
	s_mov_b32 s25, exec_lo
	v_cmpx_lt_u32_e64 v23, v112
	s_cbranch_execz .LBB1438_317
; %bb.316:
	v_add_f32_e32 v21, 0, v117
	v_add_f32_e32 v22, 0, v54
	v_ashrrev_i32_e32 v24, 31, v21
	v_ashrrev_i32_e32 v25, 31, v22
	v_or_b32_e32 v24, 0x80000000, v24
	v_or_b32_e32 v25, 0x80000000, v25
	v_xor_b32_e32 v21, v24, v21
	v_xor_b32_e32 v22, v25, v22
	v_cmp_le_u32_e64 s8, v21, v22
	s_and_b32 s27, s8, exec_lo
.LBB1438_317:
	s_or_b32 exec_lo, exec_lo, s25
	s_orn2_b32 s25, s27, exec_lo
.LBB1438_318:
	s_or_b32 exec_lo, exec_lo, s26
	v_cndmask_b32_e64 v21, v15, v23, s25
	v_cndmask_b32_e64 v22, v113, v112, s25
	s_mov_b32 s27, -1
	s_mov_b32 s26, -1
	s_mov_b32 s28, exec_lo
	v_add_nc_u32_e32 v24, 1, v21
	v_add_nc_u32_e32 v22, -1, v22
	v_lshl_add_u32 v21, v21, 3, v82
	v_cndmask_b32_e64 v15, v24, v15, s25
	v_min_u32_e32 v22, v24, v22
	v_cndmask_b32_e64 v25, v23, v24, s25
	v_lshl_add_u32 v22, v22, 2, v31
	ds_read_b32 v26, v22
	ds_read_b64 v[21:22], v21 offset:16384
	s_waitcnt lgkmcnt(1)
	v_cndmask_b32_e64 v55, v26, v54, s25
	v_cndmask_b32_e64 v118, v117, v26, s25
	v_cmpx_lt_u32_e64 v15, v113
	s_cbranch_execz .LBB1438_322
; %bb.319:
	s_mov_b32 s29, 0
	s_mov_b32 s26, exec_lo
	v_cmpx_lt_u32_e64 v25, v112
	s_cbranch_execz .LBB1438_321
; %bb.320:
	v_add_f32_e32 v23, 0, v118
	v_add_f32_e32 v24, 0, v55
	v_ashrrev_i32_e32 v26, 31, v23
	v_ashrrev_i32_e32 v27, 31, v24
	v_or_b32_e32 v26, 0x80000000, v26
	v_or_b32_e32 v27, 0x80000000, v27
	v_xor_b32_e32 v23, v26, v23
	v_xor_b32_e32 v24, v27, v24
	v_cmp_le_u32_e64 s8, v23, v24
	s_and_b32 s29, s8, exec_lo
.LBB1438_321:
	s_or_b32 exec_lo, exec_lo, s26
	s_orn2_b32 s26, s29, exec_lo
.LBB1438_322:
	s_or_b32 exec_lo, exec_lo, s28
	v_cndmask_b32_e64 v23, v15, v25, s26
	v_cndmask_b32_e64 v24, v113, v112, s26
	s_mov_b32 s28, exec_lo
	v_add_nc_u32_e32 v26, 1, v23
	v_add_nc_u32_e32 v24, -1, v24
	v_lshl_add_u32 v23, v23, 3, v82
	v_cndmask_b32_e64 v15, v26, v15, s26
	v_min_u32_e32 v24, v26, v24
	v_cndmask_b32_e64 v27, v25, v26, s26
	v_lshl_add_u32 v24, v24, 2, v31
	ds_read_b32 v28, v24
	ds_read_b64 v[23:24], v23 offset:16384
	s_waitcnt lgkmcnt(1)
	v_cndmask_b32_e64 v64, v28, v55, s26
	v_cndmask_b32_e64 v119, v118, v28, s26
	v_cmpx_lt_u32_e64 v15, v113
	s_cbranch_execz .LBB1438_326
; %bb.323:
	s_mov_b32 s29, 0
	s_mov_b32 s27, exec_lo
	v_cmpx_lt_u32_e64 v27, v112
	s_cbranch_execz .LBB1438_325
; %bb.324:
	v_add_f32_e32 v25, 0, v119
	v_add_f32_e32 v26, 0, v64
	v_ashrrev_i32_e32 v28, 31, v25
	v_ashrrev_i32_e32 v29, 31, v26
	v_or_b32_e32 v28, 0x80000000, v28
	v_or_b32_e32 v29, 0x80000000, v29
	v_xor_b32_e32 v25, v28, v25
	v_xor_b32_e32 v26, v29, v26
	v_cmp_le_u32_e64 s8, v25, v26
	s_and_b32 s29, s8, exec_lo
.LBB1438_325:
	s_or_b32 exec_lo, exec_lo, s27
	s_orn2_b32 s27, s29, exec_lo
.LBB1438_326:
	s_or_b32 exec_lo, exec_lo, s28
	v_cndmask_b32_e64 v25, v15, v27, s27
	v_cndmask_b32_e64 v26, v113, v112, s27
	s_mov_b32 s29, -1
	s_mov_b32 s28, -1
	s_mov_b32 s40, exec_lo
	v_add_nc_u32_e32 v28, 1, v25
	v_add_nc_u32_e32 v26, -1, v26
	v_lshl_add_u32 v25, v25, 3, v82
	v_cndmask_b32_e64 v15, v28, v15, s27
	v_min_u32_e32 v26, v28, v26
	v_cndmask_b32_e64 v29, v27, v28, s27
	v_lshl_add_u32 v26, v26, 2, v31
	ds_read_b32 v30, v26
	ds_read_b64 v[25:26], v25 offset:16384
	s_waitcnt lgkmcnt(1)
	v_cndmask_b32_e64 v65, v30, v64, s27
	v_cndmask_b32_e64 v128, v119, v30, s27
	v_cmpx_lt_u32_e64 v15, v113
	s_cbranch_execz .LBB1438_330
; %bb.327:
	s_mov_b32 s41, 0
	s_mov_b32 s28, exec_lo
	v_cmpx_lt_u32_e64 v29, v112
	s_cbranch_execz .LBB1438_329
; %bb.328:
	v_add_f32_e32 v27, 0, v128
	v_add_f32_e32 v28, 0, v65
	v_ashrrev_i32_e32 v30, 31, v27
	v_ashrrev_i32_e32 v32, 31, v28
	v_or_b32_e32 v30, 0x80000000, v30
	v_or_b32_e32 v32, 0x80000000, v32
	v_xor_b32_e32 v27, v30, v27
	v_xor_b32_e32 v28, v32, v28
	v_cmp_le_u32_e64 s8, v27, v28
	s_and_b32 s41, s8, exec_lo
.LBB1438_329:
	s_or_b32 exec_lo, exec_lo, s28
	s_orn2_b32 s28, s41, exec_lo
.LBB1438_330:
	s_or_b32 exec_lo, exec_lo, s40
	v_cndmask_b32_e64 v27, v15, v29, s28
	v_cndmask_b32_e64 v28, v113, v112, s28
	s_mov_b32 s40, exec_lo
	v_add_nc_u32_e32 v30, 1, v27
	v_add_nc_u32_e32 v28, -1, v28
	v_lshl_add_u32 v27, v27, 3, v82
	v_cndmask_b32_e64 v15, v30, v15, s28
	v_min_u32_e32 v28, v30, v28
	v_cndmask_b32_e64 v32, v29, v30, s28
	v_lshl_add_u32 v28, v28, 2, v31
	ds_read_b32 v33, v28
	ds_read_b64 v[27:28], v27 offset:16384
	s_waitcnt lgkmcnt(1)
	v_cndmask_b32_e64 v66, v33, v65, s28
	v_cndmask_b32_e64 v129, v128, v33, s28
	v_cmpx_lt_u32_e64 v15, v113
	s_cbranch_execz .LBB1438_334
; %bb.331:
	s_mov_b32 s41, 0
	s_mov_b32 s29, exec_lo
	v_cmpx_lt_u32_e64 v32, v112
	s_cbranch_execz .LBB1438_333
; %bb.332:
	v_add_f32_e32 v29, 0, v129
	v_add_f32_e32 v30, 0, v66
	v_ashrrev_i32_e32 v33, 31, v29
	v_ashrrev_i32_e32 v34, 31, v30
	v_or_b32_e32 v33, 0x80000000, v33
	v_or_b32_e32 v34, 0x80000000, v34
	v_xor_b32_e32 v29, v33, v29
	v_xor_b32_e32 v30, v34, v30
	v_cmp_le_u32_e64 s8, v29, v30
	s_and_b32 s41, s8, exec_lo
.LBB1438_333:
	s_or_b32 exec_lo, exec_lo, s29
	s_orn2_b32 s29, s41, exec_lo
.LBB1438_334:
	s_or_b32 exec_lo, exec_lo, s40
	v_cndmask_b32_e64 v29, v15, v32, s29
	v_cndmask_b32_e64 v30, v113, v112, s29
	s_mov_b32 s41, -1
	s_mov_b32 s40, -1
	s_mov_b32 s42, exec_lo
	v_add_nc_u32_e32 v33, 1, v29
	v_add_nc_u32_e32 v30, -1, v30
	v_lshl_add_u32 v29, v29, 3, v82
	v_cndmask_b32_e64 v15, v33, v15, s29
	v_min_u32_e32 v30, v33, v30
	v_cndmask_b32_e64 v34, v32, v33, s29
	v_lshl_add_u32 v30, v30, 2, v31
	ds_read_b32 v35, v30
	ds_read_b64 v[29:30], v29 offset:16384
	s_waitcnt lgkmcnt(1)
	v_cndmask_b32_e64 v67, v35, v66, s29
	v_cndmask_b32_e64 v130, v129, v35, s29
	v_cmpx_lt_u32_e64 v15, v113
	s_cbranch_execz .LBB1438_338
; %bb.335:
	s_mov_b32 s43, 0
	s_mov_b32 s40, exec_lo
	v_cmpx_lt_u32_e64 v34, v112
	s_cbranch_execz .LBB1438_337
; %bb.336:
	v_add_f32_e32 v32, 0, v130
	v_add_f32_e32 v33, 0, v67
	v_ashrrev_i32_e32 v35, 31, v32
	v_ashrrev_i32_e32 v36, 31, v33
	v_or_b32_e32 v35, 0x80000000, v35
	v_or_b32_e32 v36, 0x80000000, v36
	v_xor_b32_e32 v32, v35, v32
	v_xor_b32_e32 v33, v36, v33
	v_cmp_le_u32_e64 s8, v32, v33
	s_and_b32 s43, s8, exec_lo
.LBB1438_337:
	s_or_b32 exec_lo, exec_lo, s40
	s_orn2_b32 s40, s43, exec_lo
.LBB1438_338:
	s_or_b32 exec_lo, exec_lo, s42
	v_cndmask_b32_e64 v32, v15, v34, s40
	v_cndmask_b32_e64 v33, v113, v112, s40
	s_mov_b32 s42, exec_lo
	v_add_nc_u32_e32 v35, 1, v32
	v_add_nc_u32_e32 v33, -1, v33
	v_lshl_add_u32 v32, v32, 3, v82
	v_cndmask_b32_e64 v15, v35, v15, s40
	v_min_u32_e32 v33, v35, v33
	v_cndmask_b32_e64 v36, v34, v35, s40
	v_lshl_add_u32 v33, v33, 2, v31
	ds_read_b32 v37, v33
	ds_read_b64 v[32:33], v32 offset:16384
	s_waitcnt lgkmcnt(1)
	v_cndmask_b32_e64 v70, v37, v67, s40
	v_cndmask_b32_e64 v131, v130, v37, s40
	v_cmpx_lt_u32_e64 v15, v113
	s_cbranch_execz .LBB1438_342
; %bb.339:
	s_mov_b32 s43, 0
	s_mov_b32 s41, exec_lo
	v_cmpx_lt_u32_e64 v36, v112
	s_cbranch_execz .LBB1438_341
; %bb.340:
	v_add_f32_e32 v34, 0, v131
	v_add_f32_e32 v35, 0, v70
	v_ashrrev_i32_e32 v37, 31, v34
	v_ashrrev_i32_e32 v38, 31, v35
	v_or_b32_e32 v37, 0x80000000, v37
	v_or_b32_e32 v38, 0x80000000, v38
	v_xor_b32_e32 v34, v37, v34
	v_xor_b32_e32 v35, v38, v35
	v_cmp_le_u32_e64 s8, v34, v35
	s_and_b32 s43, s8, exec_lo
.LBB1438_341:
	s_or_b32 exec_lo, exec_lo, s41
	s_orn2_b32 s41, s43, exec_lo
.LBB1438_342:
	s_or_b32 exec_lo, exec_lo, s42
	v_cndmask_b32_e64 v34, v15, v36, s41
	v_cndmask_b32_e64 v35, v113, v112, s41
	s_mov_b32 s43, -1
	s_mov_b32 s42, -1
	s_mov_b32 s44, exec_lo
	v_add_nc_u32_e32 v37, 1, v34
	v_add_nc_u32_e32 v35, -1, v35
	v_lshl_add_u32 v34, v34, 3, v82
	v_cndmask_b32_e64 v15, v37, v15, s41
	v_min_u32_e32 v35, v37, v35
	v_cndmask_b32_e64 v38, v36, v37, s41
	v_lshl_add_u32 v35, v35, 2, v31
	ds_read_b32 v39, v35
	ds_read_b64 v[34:35], v34 offset:16384
	s_waitcnt lgkmcnt(1)
	v_cndmask_b32_e64 v71, v39, v70, s41
	v_cndmask_b32_e64 v132, v131, v39, s41
	v_cmpx_lt_u32_e64 v15, v113
	s_cbranch_execz .LBB1438_346
; %bb.343:
	s_mov_b32 s45, 0
	s_mov_b32 s42, exec_lo
	v_cmpx_lt_u32_e64 v38, v112
	s_cbranch_execz .LBB1438_345
; %bb.344:
	v_add_f32_e32 v36, 0, v132
	v_add_f32_e32 v37, 0, v71
	v_ashrrev_i32_e32 v39, 31, v36
	v_ashrrev_i32_e32 v48, 31, v37
	v_or_b32_e32 v39, 0x80000000, v39
	v_or_b32_e32 v48, 0x80000000, v48
	v_xor_b32_e32 v36, v39, v36
	v_xor_b32_e32 v37, v48, v37
	v_cmp_le_u32_e64 s8, v36, v37
	s_and_b32 s45, s8, exec_lo
.LBB1438_345:
	s_or_b32 exec_lo, exec_lo, s42
	s_orn2_b32 s42, s45, exec_lo
.LBB1438_346:
	s_or_b32 exec_lo, exec_lo, s44
	v_cndmask_b32_e64 v36, v15, v38, s42
	v_cndmask_b32_e64 v37, v113, v112, s42
	s_mov_b32 s44, exec_lo
	v_add_nc_u32_e32 v39, 1, v36
	v_add_nc_u32_e32 v37, -1, v37
	v_lshl_add_u32 v36, v36, 3, v82
	v_cndmask_b32_e64 v15, v39, v15, s42
	v_min_u32_e32 v37, v39, v37
	v_cndmask_b32_e64 v38, v38, v39, s42
	v_lshl_add_u32 v37, v37, 2, v31
	ds_read_b32 v48, v37
	ds_read_b64 v[36:37], v36 offset:16384
	s_waitcnt lgkmcnt(1)
	v_cndmask_b32_e64 v50, v48, v71, s42
	v_cndmask_b32_e64 v133, v132, v48, s42
	v_cmpx_lt_u32_e64 v15, v113
	s_cbranch_execz .LBB1438_350
; %bb.347:
	s_mov_b32 s45, 0
	s_mov_b32 s43, exec_lo
	v_cmpx_lt_u32_e64 v38, v112
	s_cbranch_execz .LBB1438_349
; %bb.348:
	v_add_f32_e32 v39, 0, v133
	v_add_f32_e32 v48, 0, v50
	v_ashrrev_i32_e32 v49, 31, v39
	v_ashrrev_i32_e32 v51, 31, v48
	v_or_b32_e32 v49, 0x80000000, v49
	v_or_b32_e32 v51, 0x80000000, v51
	v_xor_b32_e32 v39, v49, v39
	v_xor_b32_e32 v48, v51, v48
	v_cmp_le_u32_e64 s8, v39, v48
	s_and_b32 s45, s8, exec_lo
.LBB1438_349:
	s_or_b32 exec_lo, exec_lo, s43
	s_orn2_b32 s43, s45, exec_lo
.LBB1438_350:
	s_or_b32 exec_lo, exec_lo, s44
	v_cndmask_b32_e64 v39, v15, v38, s43
	v_cndmask_b32_e64 v48, v113, v112, s43
	s_mov_b32 s45, -1
	s_mov_b32 s44, -1
	s_mov_b32 s46, exec_lo
	v_add_nc_u32_e32 v51, 1, v39
	v_add_nc_u32_e32 v48, -1, v48
	v_lshl_add_u32 v39, v39, 3, v82
	v_cndmask_b32_e64 v15, v51, v15, s43
	v_min_u32_e32 v48, v51, v48
	v_cndmask_b32_e64 v38, v38, v51, s43
	v_lshl_add_u32 v48, v48, 2, v31
	ds_read_b32 v68, v48
	ds_read_b64 v[48:49], v39 offset:16384
	s_waitcnt lgkmcnt(1)
	v_cndmask_b32_e64 v51, v68, v50, s43
	v_cndmask_b32_e64 v134, v133, v68, s43
	v_cmpx_lt_u32_e64 v15, v113
	s_cbranch_execz .LBB1438_354
; %bb.351:
	s_mov_b32 s47, 0
	s_mov_b32 s44, exec_lo
	v_cmpx_lt_u32_e64 v38, v112
	s_cbranch_execz .LBB1438_353
; %bb.352:
	v_add_f32_e32 v39, 0, v134
	v_add_f32_e32 v68, 0, v51
	v_ashrrev_i32_e32 v69, 31, v39
	v_ashrrev_i32_e32 v80, 31, v68
	v_or_b32_e32 v69, 0x80000000, v69
	v_or_b32_e32 v80, 0x80000000, v80
	v_xor_b32_e32 v39, v69, v39
	v_xor_b32_e32 v68, v80, v68
	v_cmp_le_u32_e64 s8, v39, v68
	s_and_b32 s47, s8, exec_lo
.LBB1438_353:
	s_or_b32 exec_lo, exec_lo, s44
	s_orn2_b32 s44, s47, exec_lo
.LBB1438_354:
	s_or_b32 exec_lo, exec_lo, s46
	v_cndmask_b32_e64 v39, v15, v38, s44
	v_cndmask_b32_e64 v68, v113, v112, s44
	s_mov_b32 s46, exec_lo
	v_add_nc_u32_e32 v80, 1, v39
	v_add_nc_u32_e32 v68, -1, v68
	v_lshl_add_u32 v39, v39, 3, v82
	v_cndmask_b32_e64 v81, v80, v15, s44
	v_min_u32_e32 v68, v80, v68
	v_cndmask_b32_e64 v135, v38, v80, s44
	v_lshl_add_u32 v68, v68, 2, v31
	ds_read_b32 v144, v68
	ds_read_b64 v[68:69], v39 offset:16384
	s_waitcnt lgkmcnt(1)
	v_cndmask_b32_e64 v15, v144, v51, s44
	v_cndmask_b32_e64 v80, v134, v144, s44
	v_cmpx_lt_u32_e64 v81, v113
	s_cbranch_execz .LBB1438_358
; %bb.355:
	s_mov_b32 s47, 0
	s_mov_b32 s45, exec_lo
	v_cmpx_lt_u32_e64 v135, v112
	s_cbranch_execz .LBB1438_357
; %bb.356:
	v_add_f32_e32 v38, 0, v80
	v_add_f32_e32 v39, 0, v15
	v_ashrrev_i32_e32 v144, 31, v38
	v_ashrrev_i32_e32 v145, 31, v39
	v_or_b32_e32 v144, 0x80000000, v144
	v_or_b32_e32 v145, 0x80000000, v145
	v_xor_b32_e32 v38, v144, v38
	v_xor_b32_e32 v39, v145, v39
	v_cmp_le_u32_e64 s8, v38, v39
	s_and_b32 s47, s8, exec_lo
.LBB1438_357:
	s_or_b32 exec_lo, exec_lo, s45
	s_orn2_b32 s45, s47, exec_lo
.LBB1438_358:
	s_or_b32 exec_lo, exec_lo, s46
	v_cndmask_b32_e64 v38, v81, v135, s45
	v_cndmask_b32_e64 v39, v113, v112, s45
	s_mov_b32 s46, -1
	s_mov_b32 s47, exec_lo
	v_add_nc_u32_e32 v144, 1, v38
	v_add_nc_u32_e32 v39, -1, v39
	v_lshl_add_u32 v38, v38, 3, v82
	v_cndmask_b32_e64 v81, v144, v81, s45
	v_min_u32_e32 v39, v144, v39
	v_cndmask_b32_e64 v145, v135, v144, s45
	v_lshl_add_u32 v39, v39, 2, v31
	ds_read_b32 v146, v39
	ds_read_b64 v[38:39], v38 offset:16384
	s_waitcnt lgkmcnt(1)
	v_cndmask_b32_e64 v135, v146, v15, s45
	v_cndmask_b32_e64 v144, v80, v146, s45
	v_cmpx_lt_u32_e64 v81, v113
	s_cbranch_execz .LBB1438_362
; %bb.359:
	s_mov_b32 s56, 0
	s_mov_b32 s46, exec_lo
	v_cmpx_lt_u32_e64 v145, v112
	s_cbranch_execz .LBB1438_361
; %bb.360:
	v_add_f32_e32 v112, 0, v144
	v_add_f32_e32 v113, 0, v135
	v_ashrrev_i32_e32 v146, 31, v112
	v_ashrrev_i32_e32 v147, 31, v113
	v_or_b32_e32 v146, 0x80000000, v146
	v_or_b32_e32 v147, 0x80000000, v147
	v_xor_b32_e32 v112, v146, v112
	v_xor_b32_e32 v113, v147, v113
	v_cmp_le_u32_e64 s8, v112, v113
	s_and_b32 s56, s8, exec_lo
.LBB1438_361:
	s_or_b32 exec_lo, exec_lo, s46
	s_orn2_b32 s46, s56, exec_lo
.LBB1438_362:
	s_or_b32 exec_lo, exec_lo, s47
	v_cndmask_b32_e64 v81, v81, v145, s46
	v_cndmask_b32_e64 v15, v15, v80, s45
	;; [unrolled: 1-line block ×5, first 2 shown]
	v_lshl_add_u32 v81, v81, 3, v82
	v_cndmask_b32_e64 v70, v70, v131, s41
	v_cndmask_b32_e64 v67, v67, v130, s40
	;; [unrolled: 1-line block ×4, first 2 shown]
	ds_read_b64 v[80:81], v81 offset:16384
	v_cndmask_b32_e64 v64, v64, v119, s27
	v_cndmask_b32_e64 v55, v55, v118, s26
	;; [unrolled: 1-line block ×8, first 2 shown]
.LBB1438_363:
	s_or_b32 exec_lo, exec_lo, s12
	v_and_b32_e32 v116, 0x1c0, v102
	v_and_b32_e32 v114, 48, v102
	s_mov_b32 s9, exec_lo
	; wave barrier
	v_or_b32_e32 v112, 32, v116
	v_min_u32_e32 v117, v84, v114
	ds_write2_b64 v103, v[4:5], v[8:9] offset1:1
	ds_write2_b64 v83, v[13:14], v[52:53] offset1:1
	;; [unrolled: 1-line block ×4, first 2 shown]
	ds_write2_b64 v83, v[54:55], v[64:65] offset0:2 offset1:3
	ds_write2_b64 v87, v[25:26], v[27:28] offset1:1
	ds_write2_b64 v96, v[29:30], v[32:33] offset1:1
	v_min_u32_e32 v112, v84, v112
	ds_write2_b64 v83, v[66:67], v[70:71] offset0:4 offset1:5
	ds_write2_b64 v85, v[34:35], v[36:37] offset1:1
	ds_write2_b64 v86, v[48:49], v[68:69] offset1:1
	ds_write2_b64 v83, v[50:51], v[15:16] offset0:6 offset1:7
	s_waitcnt lgkmcnt(11)
	ds_write2_b64 v97, v[38:39], v[80:81] offset1:1
	; wave barrier
	v_add_nc_u32_e32 v113, 32, v112
	v_sub_nc_u32_e32 v115, v112, v116
	v_min_u32_e32 v113, v84, v113
	v_min_u32_e32 v118, v117, v115
	v_lshl_add_u32 v115, v116, 2, v31
	v_sub_nc_u32_e32 v114, v113, v112
	v_sub_nc_u32_e64 v114, v117, v114 clamp
	v_cmpx_lt_u32_e64 v114, v118
	s_cbranch_execz .LBB1438_367
; %bb.364:
	v_lshlrev_b32_e32 v119, 2, v112
	v_lshlrev_b32_e32 v128, 2, v117
	s_mov_b32 s12, 0
	v_add3_u32 v119, v31, v119, v128
	s_inst_prefetch 0x1
	.p2align	6
.LBB1438_365:                           ; =>This Inner Loop Header: Depth=1
	v_add_nc_u32_e32 v128, v118, v114
	v_lshrrev_b32_e32 v128, 1, v128
	v_not_b32_e32 v129, v128
	v_lshl_add_u32 v130, v128, 2, v115
	v_lshl_add_u32 v129, v129, 2, v119
	ds_read_b32 v130, v130
	ds_read_b32 v129, v129
	s_waitcnt lgkmcnt(1)
	v_add_f32_e32 v130, 0, v130
	s_waitcnt lgkmcnt(0)
	v_add_f32_e32 v129, 0, v129
	v_ashrrev_i32_e32 v131, 31, v130
	v_ashrrev_i32_e32 v132, 31, v129
	v_or_b32_e32 v131, 0x80000000, v131
	v_or_b32_e32 v132, 0x80000000, v132
	v_xor_b32_e32 v130, v131, v130
	v_xor_b32_e32 v129, v132, v129
	v_add_nc_u32_e32 v131, 1, v128
	v_cmp_gt_u32_e64 s8, v130, v129
	v_cndmask_b32_e64 v118, v118, v128, s8
	v_cndmask_b32_e64 v114, v131, v114, s8
	v_cmp_ge_u32_e64 s8, v114, v118
	s_or_b32 s12, s8, s12
	s_andn2_b32 exec_lo, exec_lo, s12
	s_cbranch_execnz .LBB1438_365
; %bb.366:
	s_inst_prefetch 0x2
	s_or_b32 exec_lo, exec_lo, s12
.LBB1438_367:
	s_or_b32 exec_lo, exec_lo, s9
	v_add_nc_u32_e32 v117, v112, v117
	v_add_nc_u32_e32 v116, v114, v116
	v_sub_nc_u32_e32 v117, v117, v114
	v_cmp_le_u32_e64 s8, v116, v112
	v_cmp_le_u32_e64 s9, v117, v113
	s_or_b32 s8, s8, s9
	s_and_saveexec_b32 s12, s8
	s_cbranch_execz .LBB1438_435
; %bb.368:
	v_cmp_ge_u32_e64 s8, v116, v112
	s_mov_b32 s13, exec_lo
                                        ; implicit-def: $vgpr13
	v_cmpx_lt_u32_e64 v116, v112
; %bb.369:
	v_lshl_add_u32 v4, v114, 2, v115
	ds_read_b32 v13, v4
; %bb.370:
	s_or_b32 exec_lo, exec_lo, s13
	v_cmp_ge_u32_e64 s13, v117, v113
	s_mov_b32 s23, exec_lo
                                        ; implicit-def: $vgpr16
	v_cmpx_lt_u32_e64 v117, v113
; %bb.371:
	v_lshl_add_u32 v4, v117, 2, v31
	ds_read_b32 v16, v4
; %bb.372:
	s_or_b32 exec_lo, exec_lo, s23
	s_nor_b32 s8, s8, s13
	s_and_saveexec_b32 s9, s8
	s_cbranch_execz .LBB1438_374
; %bb.373:
	s_waitcnt lgkmcnt(0)
	v_add_f32_e32 v4, 0, v13
	v_add_f32_e32 v5, 0, v16
	s_andn2_b32 s13, s13, exec_lo
	v_ashrrev_i32_e32 v8, 31, v4
	v_ashrrev_i32_e32 v9, 31, v5
	v_or_b32_e32 v8, 0x80000000, v8
	v_or_b32_e32 v9, 0x80000000, v9
	v_xor_b32_e32 v4, v8, v4
	v_xor_b32_e32 v5, v9, v5
	v_cmp_le_u32_e64 s8, v4, v5
	s_and_b32 s8, s8, exec_lo
	s_or_b32 s13, s13, s8
.LBB1438_374:
	s_or_b32 exec_lo, exec_lo, s9
	v_cndmask_b32_e64 v4, v117, v116, s13
	v_cndmask_b32_e64 v5, v113, v112, s13
	s_mov_b32 s23, -1
	s_mov_b32 s9, -1
	s_mov_b32 s24, exec_lo
	v_add_nc_u32_e32 v8, 1, v4
	v_add_nc_u32_e32 v5, -1, v5
	v_lshl_add_u32 v4, v4, 3, v82
	v_cndmask_b32_e64 v15, v8, v117, s13
	v_min_u32_e32 v5, v8, v5
	v_cndmask_b32_e64 v17, v116, v8, s13
	v_lshl_add_u32 v5, v5, 2, v31
	ds_read_b32 v9, v5
	ds_read_b64 v[4:5], v4 offset:16384
	s_waitcnt lgkmcnt(1)
	v_cndmask_b32_e64 v14, v9, v16, s13
	v_cndmask_b32_e64 v114, v13, v9, s13
	v_cmpx_lt_u32_e64 v15, v113
	s_cbranch_execz .LBB1438_378
; %bb.375:
	s_mov_b32 s25, 0
	s_mov_b32 s9, exec_lo
	v_cmpx_lt_u32_e64 v17, v112
	s_cbranch_execz .LBB1438_377
; %bb.376:
	v_add_f32_e32 v8, 0, v114
	v_add_f32_e32 v9, 0, v14
	v_ashrrev_i32_e32 v18, 31, v8
	v_ashrrev_i32_e32 v19, 31, v9
	v_or_b32_e32 v18, 0x80000000, v18
	v_or_b32_e32 v19, 0x80000000, v19
	v_xor_b32_e32 v8, v18, v8
	v_xor_b32_e32 v9, v19, v9
	v_cmp_le_u32_e64 s8, v8, v9
	s_and_b32 s25, s8, exec_lo
.LBB1438_377:
	s_or_b32 exec_lo, exec_lo, s9
	s_orn2_b32 s9, s25, exec_lo
.LBB1438_378:
	s_or_b32 exec_lo, exec_lo, s24
	v_cndmask_b32_e64 v8, v15, v17, s9
	v_cndmask_b32_e64 v9, v113, v112, s9
	s_mov_b32 s24, exec_lo
	v_add_nc_u32_e32 v18, 1, v8
	v_add_nc_u32_e32 v9, -1, v9
	v_lshl_add_u32 v8, v8, 3, v82
	v_cndmask_b32_e64 v15, v18, v15, s9
	v_min_u32_e32 v9, v18, v9
	v_cndmask_b32_e64 v19, v17, v18, s9
	v_lshl_add_u32 v9, v9, 2, v31
	ds_read_b32 v20, v9
	ds_read_b64 v[8:9], v8 offset:16384
	s_waitcnt lgkmcnt(1)
	v_cndmask_b32_e64 v52, v20, v14, s9
	v_cndmask_b32_e64 v115, v114, v20, s9
	v_cmpx_lt_u32_e64 v15, v113
	s_cbranch_execz .LBB1438_382
; %bb.379:
	s_mov_b32 s25, 0
	s_mov_b32 s23, exec_lo
	v_cmpx_lt_u32_e64 v19, v112
	s_cbranch_execz .LBB1438_381
; %bb.380:
	v_add_f32_e32 v17, 0, v115
	v_add_f32_e32 v18, 0, v52
	v_ashrrev_i32_e32 v20, 31, v17
	v_ashrrev_i32_e32 v21, 31, v18
	v_or_b32_e32 v20, 0x80000000, v20
	v_or_b32_e32 v21, 0x80000000, v21
	v_xor_b32_e32 v17, v20, v17
	v_xor_b32_e32 v18, v21, v18
	v_cmp_le_u32_e64 s8, v17, v18
	s_and_b32 s25, s8, exec_lo
.LBB1438_381:
	s_or_b32 exec_lo, exec_lo, s23
	s_orn2_b32 s23, s25, exec_lo
.LBB1438_382:
	s_or_b32 exec_lo, exec_lo, s24
	v_cndmask_b32_e64 v17, v15, v19, s23
	v_cndmask_b32_e64 v18, v113, v112, s23
	s_mov_b32 s25, -1
	s_mov_b32 s24, -1
	s_mov_b32 s26, exec_lo
	v_add_nc_u32_e32 v20, 1, v17
	v_add_nc_u32_e32 v18, -1, v18
	v_lshl_add_u32 v17, v17, 3, v82
	v_cndmask_b32_e64 v15, v20, v15, s23
	v_min_u32_e32 v18, v20, v18
	v_cndmask_b32_e64 v21, v19, v20, s23
	v_lshl_add_u32 v18, v18, 2, v31
	ds_read_b32 v22, v18
	ds_read_b64 v[17:18], v17 offset:16384
	s_waitcnt lgkmcnt(1)
	v_cndmask_b32_e64 v53, v22, v52, s23
	v_cndmask_b32_e64 v116, v115, v22, s23
	v_cmpx_lt_u32_e64 v15, v113
	s_cbranch_execz .LBB1438_386
; %bb.383:
	s_mov_b32 s27, 0
	s_mov_b32 s24, exec_lo
	v_cmpx_lt_u32_e64 v21, v112
	s_cbranch_execz .LBB1438_385
; %bb.384:
	v_add_f32_e32 v19, 0, v116
	v_add_f32_e32 v20, 0, v53
	v_ashrrev_i32_e32 v22, 31, v19
	v_ashrrev_i32_e32 v23, 31, v20
	v_or_b32_e32 v22, 0x80000000, v22
	v_or_b32_e32 v23, 0x80000000, v23
	v_xor_b32_e32 v19, v22, v19
	v_xor_b32_e32 v20, v23, v20
	v_cmp_le_u32_e64 s8, v19, v20
	s_and_b32 s27, s8, exec_lo
.LBB1438_385:
	s_or_b32 exec_lo, exec_lo, s24
	s_orn2_b32 s24, s27, exec_lo
.LBB1438_386:
	s_or_b32 exec_lo, exec_lo, s26
	v_cndmask_b32_e64 v19, v15, v21, s24
	v_cndmask_b32_e64 v20, v113, v112, s24
	s_mov_b32 s26, exec_lo
	v_add_nc_u32_e32 v22, 1, v19
	v_add_nc_u32_e32 v20, -1, v20
	v_lshl_add_u32 v19, v19, 3, v82
	v_cndmask_b32_e64 v15, v22, v15, s24
	v_min_u32_e32 v20, v22, v20
	v_cndmask_b32_e64 v23, v21, v22, s24
	v_lshl_add_u32 v20, v20, 2, v31
	ds_read_b32 v24, v20
	ds_read_b64 v[19:20], v19 offset:16384
	s_waitcnt lgkmcnt(1)
	v_cndmask_b32_e64 v54, v24, v53, s24
	v_cndmask_b32_e64 v117, v116, v24, s24
	v_cmpx_lt_u32_e64 v15, v113
	s_cbranch_execz .LBB1438_390
; %bb.387:
	s_mov_b32 s27, 0
	s_mov_b32 s25, exec_lo
	v_cmpx_lt_u32_e64 v23, v112
	s_cbranch_execz .LBB1438_389
; %bb.388:
	v_add_f32_e32 v21, 0, v117
	v_add_f32_e32 v22, 0, v54
	v_ashrrev_i32_e32 v24, 31, v21
	v_ashrrev_i32_e32 v25, 31, v22
	v_or_b32_e32 v24, 0x80000000, v24
	v_or_b32_e32 v25, 0x80000000, v25
	v_xor_b32_e32 v21, v24, v21
	v_xor_b32_e32 v22, v25, v22
	v_cmp_le_u32_e64 s8, v21, v22
	s_and_b32 s27, s8, exec_lo
.LBB1438_389:
	s_or_b32 exec_lo, exec_lo, s25
	s_orn2_b32 s25, s27, exec_lo
.LBB1438_390:
	s_or_b32 exec_lo, exec_lo, s26
	v_cndmask_b32_e64 v21, v15, v23, s25
	v_cndmask_b32_e64 v22, v113, v112, s25
	s_mov_b32 s27, -1
	s_mov_b32 s26, -1
	s_mov_b32 s28, exec_lo
	v_add_nc_u32_e32 v24, 1, v21
	v_add_nc_u32_e32 v22, -1, v22
	v_lshl_add_u32 v21, v21, 3, v82
	v_cndmask_b32_e64 v15, v24, v15, s25
	v_min_u32_e32 v22, v24, v22
	v_cndmask_b32_e64 v25, v23, v24, s25
	v_lshl_add_u32 v22, v22, 2, v31
	ds_read_b32 v26, v22
	ds_read_b64 v[21:22], v21 offset:16384
	s_waitcnt lgkmcnt(1)
	v_cndmask_b32_e64 v55, v26, v54, s25
	v_cndmask_b32_e64 v118, v117, v26, s25
	v_cmpx_lt_u32_e64 v15, v113
	s_cbranch_execz .LBB1438_394
; %bb.391:
	s_mov_b32 s29, 0
	s_mov_b32 s26, exec_lo
	v_cmpx_lt_u32_e64 v25, v112
	s_cbranch_execz .LBB1438_393
; %bb.392:
	v_add_f32_e32 v23, 0, v118
	v_add_f32_e32 v24, 0, v55
	v_ashrrev_i32_e32 v26, 31, v23
	v_ashrrev_i32_e32 v27, 31, v24
	v_or_b32_e32 v26, 0x80000000, v26
	v_or_b32_e32 v27, 0x80000000, v27
	v_xor_b32_e32 v23, v26, v23
	v_xor_b32_e32 v24, v27, v24
	v_cmp_le_u32_e64 s8, v23, v24
	s_and_b32 s29, s8, exec_lo
.LBB1438_393:
	s_or_b32 exec_lo, exec_lo, s26
	s_orn2_b32 s26, s29, exec_lo
.LBB1438_394:
	s_or_b32 exec_lo, exec_lo, s28
	v_cndmask_b32_e64 v23, v15, v25, s26
	v_cndmask_b32_e64 v24, v113, v112, s26
	s_mov_b32 s28, exec_lo
	v_add_nc_u32_e32 v26, 1, v23
	v_add_nc_u32_e32 v24, -1, v24
	v_lshl_add_u32 v23, v23, 3, v82
	v_cndmask_b32_e64 v15, v26, v15, s26
	v_min_u32_e32 v24, v26, v24
	v_cndmask_b32_e64 v27, v25, v26, s26
	v_lshl_add_u32 v24, v24, 2, v31
	ds_read_b32 v28, v24
	ds_read_b64 v[23:24], v23 offset:16384
	s_waitcnt lgkmcnt(1)
	v_cndmask_b32_e64 v64, v28, v55, s26
	v_cndmask_b32_e64 v119, v118, v28, s26
	v_cmpx_lt_u32_e64 v15, v113
	s_cbranch_execz .LBB1438_398
; %bb.395:
	s_mov_b32 s29, 0
	s_mov_b32 s27, exec_lo
	v_cmpx_lt_u32_e64 v27, v112
	s_cbranch_execz .LBB1438_397
; %bb.396:
	v_add_f32_e32 v25, 0, v119
	v_add_f32_e32 v26, 0, v64
	v_ashrrev_i32_e32 v28, 31, v25
	v_ashrrev_i32_e32 v29, 31, v26
	v_or_b32_e32 v28, 0x80000000, v28
	v_or_b32_e32 v29, 0x80000000, v29
	v_xor_b32_e32 v25, v28, v25
	v_xor_b32_e32 v26, v29, v26
	v_cmp_le_u32_e64 s8, v25, v26
	s_and_b32 s29, s8, exec_lo
.LBB1438_397:
	s_or_b32 exec_lo, exec_lo, s27
	s_orn2_b32 s27, s29, exec_lo
.LBB1438_398:
	s_or_b32 exec_lo, exec_lo, s28
	v_cndmask_b32_e64 v25, v15, v27, s27
	v_cndmask_b32_e64 v26, v113, v112, s27
	s_mov_b32 s29, -1
	s_mov_b32 s28, -1
	s_mov_b32 s40, exec_lo
	v_add_nc_u32_e32 v28, 1, v25
	v_add_nc_u32_e32 v26, -1, v26
	v_lshl_add_u32 v25, v25, 3, v82
	v_cndmask_b32_e64 v15, v28, v15, s27
	v_min_u32_e32 v26, v28, v26
	v_cndmask_b32_e64 v29, v27, v28, s27
	v_lshl_add_u32 v26, v26, 2, v31
	ds_read_b32 v30, v26
	ds_read_b64 v[25:26], v25 offset:16384
	s_waitcnt lgkmcnt(1)
	v_cndmask_b32_e64 v65, v30, v64, s27
	v_cndmask_b32_e64 v128, v119, v30, s27
	v_cmpx_lt_u32_e64 v15, v113
	s_cbranch_execz .LBB1438_402
; %bb.399:
	s_mov_b32 s41, 0
	s_mov_b32 s28, exec_lo
	v_cmpx_lt_u32_e64 v29, v112
	s_cbranch_execz .LBB1438_401
; %bb.400:
	v_add_f32_e32 v27, 0, v128
	v_add_f32_e32 v28, 0, v65
	v_ashrrev_i32_e32 v30, 31, v27
	v_ashrrev_i32_e32 v32, 31, v28
	v_or_b32_e32 v30, 0x80000000, v30
	v_or_b32_e32 v32, 0x80000000, v32
	v_xor_b32_e32 v27, v30, v27
	v_xor_b32_e32 v28, v32, v28
	v_cmp_le_u32_e64 s8, v27, v28
	s_and_b32 s41, s8, exec_lo
.LBB1438_401:
	s_or_b32 exec_lo, exec_lo, s28
	s_orn2_b32 s28, s41, exec_lo
.LBB1438_402:
	s_or_b32 exec_lo, exec_lo, s40
	v_cndmask_b32_e64 v27, v15, v29, s28
	v_cndmask_b32_e64 v28, v113, v112, s28
	s_mov_b32 s40, exec_lo
	v_add_nc_u32_e32 v30, 1, v27
	v_add_nc_u32_e32 v28, -1, v28
	v_lshl_add_u32 v27, v27, 3, v82
	v_cndmask_b32_e64 v15, v30, v15, s28
	v_min_u32_e32 v28, v30, v28
	v_cndmask_b32_e64 v32, v29, v30, s28
	v_lshl_add_u32 v28, v28, 2, v31
	ds_read_b32 v33, v28
	ds_read_b64 v[27:28], v27 offset:16384
	s_waitcnt lgkmcnt(1)
	v_cndmask_b32_e64 v66, v33, v65, s28
	v_cndmask_b32_e64 v129, v128, v33, s28
	v_cmpx_lt_u32_e64 v15, v113
	s_cbranch_execz .LBB1438_406
; %bb.403:
	s_mov_b32 s41, 0
	s_mov_b32 s29, exec_lo
	v_cmpx_lt_u32_e64 v32, v112
	s_cbranch_execz .LBB1438_405
; %bb.404:
	v_add_f32_e32 v29, 0, v129
	v_add_f32_e32 v30, 0, v66
	v_ashrrev_i32_e32 v33, 31, v29
	v_ashrrev_i32_e32 v34, 31, v30
	v_or_b32_e32 v33, 0x80000000, v33
	v_or_b32_e32 v34, 0x80000000, v34
	v_xor_b32_e32 v29, v33, v29
	v_xor_b32_e32 v30, v34, v30
	v_cmp_le_u32_e64 s8, v29, v30
	s_and_b32 s41, s8, exec_lo
.LBB1438_405:
	s_or_b32 exec_lo, exec_lo, s29
	s_orn2_b32 s29, s41, exec_lo
.LBB1438_406:
	s_or_b32 exec_lo, exec_lo, s40
	v_cndmask_b32_e64 v29, v15, v32, s29
	v_cndmask_b32_e64 v30, v113, v112, s29
	s_mov_b32 s41, -1
	s_mov_b32 s40, -1
	s_mov_b32 s42, exec_lo
	v_add_nc_u32_e32 v33, 1, v29
	v_add_nc_u32_e32 v30, -1, v30
	v_lshl_add_u32 v29, v29, 3, v82
	v_cndmask_b32_e64 v15, v33, v15, s29
	v_min_u32_e32 v30, v33, v30
	v_cndmask_b32_e64 v34, v32, v33, s29
	v_lshl_add_u32 v30, v30, 2, v31
	ds_read_b32 v35, v30
	ds_read_b64 v[29:30], v29 offset:16384
	s_waitcnt lgkmcnt(1)
	v_cndmask_b32_e64 v67, v35, v66, s29
	v_cndmask_b32_e64 v130, v129, v35, s29
	v_cmpx_lt_u32_e64 v15, v113
	s_cbranch_execz .LBB1438_410
; %bb.407:
	s_mov_b32 s43, 0
	s_mov_b32 s40, exec_lo
	v_cmpx_lt_u32_e64 v34, v112
	s_cbranch_execz .LBB1438_409
; %bb.408:
	v_add_f32_e32 v32, 0, v130
	v_add_f32_e32 v33, 0, v67
	v_ashrrev_i32_e32 v35, 31, v32
	v_ashrrev_i32_e32 v36, 31, v33
	v_or_b32_e32 v35, 0x80000000, v35
	v_or_b32_e32 v36, 0x80000000, v36
	v_xor_b32_e32 v32, v35, v32
	v_xor_b32_e32 v33, v36, v33
	v_cmp_le_u32_e64 s8, v32, v33
	s_and_b32 s43, s8, exec_lo
.LBB1438_409:
	s_or_b32 exec_lo, exec_lo, s40
	s_orn2_b32 s40, s43, exec_lo
.LBB1438_410:
	s_or_b32 exec_lo, exec_lo, s42
	v_cndmask_b32_e64 v32, v15, v34, s40
	v_cndmask_b32_e64 v33, v113, v112, s40
	s_mov_b32 s42, exec_lo
	v_add_nc_u32_e32 v35, 1, v32
	v_add_nc_u32_e32 v33, -1, v33
	v_lshl_add_u32 v32, v32, 3, v82
	v_cndmask_b32_e64 v15, v35, v15, s40
	v_min_u32_e32 v33, v35, v33
	v_cndmask_b32_e64 v36, v34, v35, s40
	v_lshl_add_u32 v33, v33, 2, v31
	ds_read_b32 v37, v33
	ds_read_b64 v[32:33], v32 offset:16384
	s_waitcnt lgkmcnt(1)
	v_cndmask_b32_e64 v70, v37, v67, s40
	v_cndmask_b32_e64 v131, v130, v37, s40
	v_cmpx_lt_u32_e64 v15, v113
	s_cbranch_execz .LBB1438_414
; %bb.411:
	s_mov_b32 s43, 0
	s_mov_b32 s41, exec_lo
	v_cmpx_lt_u32_e64 v36, v112
	s_cbranch_execz .LBB1438_413
; %bb.412:
	v_add_f32_e32 v34, 0, v131
	v_add_f32_e32 v35, 0, v70
	v_ashrrev_i32_e32 v37, 31, v34
	v_ashrrev_i32_e32 v38, 31, v35
	v_or_b32_e32 v37, 0x80000000, v37
	v_or_b32_e32 v38, 0x80000000, v38
	v_xor_b32_e32 v34, v37, v34
	v_xor_b32_e32 v35, v38, v35
	v_cmp_le_u32_e64 s8, v34, v35
	s_and_b32 s43, s8, exec_lo
.LBB1438_413:
	s_or_b32 exec_lo, exec_lo, s41
	s_orn2_b32 s41, s43, exec_lo
.LBB1438_414:
	s_or_b32 exec_lo, exec_lo, s42
	v_cndmask_b32_e64 v34, v15, v36, s41
	v_cndmask_b32_e64 v35, v113, v112, s41
	s_mov_b32 s43, -1
	s_mov_b32 s42, -1
	s_mov_b32 s44, exec_lo
	v_add_nc_u32_e32 v37, 1, v34
	v_add_nc_u32_e32 v35, -1, v35
	v_lshl_add_u32 v34, v34, 3, v82
	v_cndmask_b32_e64 v15, v37, v15, s41
	v_min_u32_e32 v35, v37, v35
	v_cndmask_b32_e64 v38, v36, v37, s41
	v_lshl_add_u32 v35, v35, 2, v31
	ds_read_b32 v39, v35
	ds_read_b64 v[34:35], v34 offset:16384
	s_waitcnt lgkmcnt(1)
	v_cndmask_b32_e64 v71, v39, v70, s41
	v_cndmask_b32_e64 v132, v131, v39, s41
	v_cmpx_lt_u32_e64 v15, v113
	s_cbranch_execz .LBB1438_418
; %bb.415:
	s_mov_b32 s45, 0
	s_mov_b32 s42, exec_lo
	v_cmpx_lt_u32_e64 v38, v112
	s_cbranch_execz .LBB1438_417
; %bb.416:
	v_add_f32_e32 v36, 0, v132
	v_add_f32_e32 v37, 0, v71
	v_ashrrev_i32_e32 v39, 31, v36
	v_ashrrev_i32_e32 v48, 31, v37
	v_or_b32_e32 v39, 0x80000000, v39
	v_or_b32_e32 v48, 0x80000000, v48
	v_xor_b32_e32 v36, v39, v36
	v_xor_b32_e32 v37, v48, v37
	v_cmp_le_u32_e64 s8, v36, v37
	s_and_b32 s45, s8, exec_lo
.LBB1438_417:
	s_or_b32 exec_lo, exec_lo, s42
	s_orn2_b32 s42, s45, exec_lo
.LBB1438_418:
	s_or_b32 exec_lo, exec_lo, s44
	v_cndmask_b32_e64 v36, v15, v38, s42
	v_cndmask_b32_e64 v37, v113, v112, s42
	s_mov_b32 s44, exec_lo
	v_add_nc_u32_e32 v39, 1, v36
	v_add_nc_u32_e32 v37, -1, v37
	v_lshl_add_u32 v36, v36, 3, v82
	v_cndmask_b32_e64 v15, v39, v15, s42
	v_min_u32_e32 v37, v39, v37
	v_cndmask_b32_e64 v38, v38, v39, s42
	v_lshl_add_u32 v37, v37, 2, v31
	ds_read_b32 v48, v37
	ds_read_b64 v[36:37], v36 offset:16384
	s_waitcnt lgkmcnt(1)
	v_cndmask_b32_e64 v50, v48, v71, s42
	v_cndmask_b32_e64 v133, v132, v48, s42
	v_cmpx_lt_u32_e64 v15, v113
	s_cbranch_execz .LBB1438_422
; %bb.419:
	s_mov_b32 s45, 0
	s_mov_b32 s43, exec_lo
	v_cmpx_lt_u32_e64 v38, v112
	s_cbranch_execz .LBB1438_421
; %bb.420:
	v_add_f32_e32 v39, 0, v133
	v_add_f32_e32 v48, 0, v50
	v_ashrrev_i32_e32 v49, 31, v39
	v_ashrrev_i32_e32 v51, 31, v48
	v_or_b32_e32 v49, 0x80000000, v49
	v_or_b32_e32 v51, 0x80000000, v51
	v_xor_b32_e32 v39, v49, v39
	v_xor_b32_e32 v48, v51, v48
	v_cmp_le_u32_e64 s8, v39, v48
	s_and_b32 s45, s8, exec_lo
.LBB1438_421:
	s_or_b32 exec_lo, exec_lo, s43
	s_orn2_b32 s43, s45, exec_lo
.LBB1438_422:
	s_or_b32 exec_lo, exec_lo, s44
	v_cndmask_b32_e64 v39, v15, v38, s43
	v_cndmask_b32_e64 v48, v113, v112, s43
	s_mov_b32 s45, -1
	s_mov_b32 s44, -1
	s_mov_b32 s46, exec_lo
	v_add_nc_u32_e32 v51, 1, v39
	v_add_nc_u32_e32 v48, -1, v48
	v_lshl_add_u32 v39, v39, 3, v82
	v_cndmask_b32_e64 v15, v51, v15, s43
	v_min_u32_e32 v48, v51, v48
	v_cndmask_b32_e64 v38, v38, v51, s43
	v_lshl_add_u32 v48, v48, 2, v31
	ds_read_b32 v68, v48
	ds_read_b64 v[48:49], v39 offset:16384
	s_waitcnt lgkmcnt(1)
	v_cndmask_b32_e64 v51, v68, v50, s43
	v_cndmask_b32_e64 v134, v133, v68, s43
	v_cmpx_lt_u32_e64 v15, v113
	s_cbranch_execz .LBB1438_426
; %bb.423:
	s_mov_b32 s47, 0
	s_mov_b32 s44, exec_lo
	v_cmpx_lt_u32_e64 v38, v112
	s_cbranch_execz .LBB1438_425
; %bb.424:
	v_add_f32_e32 v39, 0, v134
	v_add_f32_e32 v68, 0, v51
	v_ashrrev_i32_e32 v69, 31, v39
	v_ashrrev_i32_e32 v80, 31, v68
	v_or_b32_e32 v69, 0x80000000, v69
	v_or_b32_e32 v80, 0x80000000, v80
	v_xor_b32_e32 v39, v69, v39
	v_xor_b32_e32 v68, v80, v68
	v_cmp_le_u32_e64 s8, v39, v68
	s_and_b32 s47, s8, exec_lo
.LBB1438_425:
	s_or_b32 exec_lo, exec_lo, s44
	s_orn2_b32 s44, s47, exec_lo
.LBB1438_426:
	s_or_b32 exec_lo, exec_lo, s46
	v_cndmask_b32_e64 v39, v15, v38, s44
	v_cndmask_b32_e64 v68, v113, v112, s44
	s_mov_b32 s46, exec_lo
	v_add_nc_u32_e32 v80, 1, v39
	v_add_nc_u32_e32 v68, -1, v68
	v_lshl_add_u32 v39, v39, 3, v82
	v_cndmask_b32_e64 v81, v80, v15, s44
	v_min_u32_e32 v68, v80, v68
	v_cndmask_b32_e64 v135, v38, v80, s44
	v_lshl_add_u32 v68, v68, 2, v31
	ds_read_b32 v144, v68
	ds_read_b64 v[68:69], v39 offset:16384
	s_waitcnt lgkmcnt(1)
	v_cndmask_b32_e64 v15, v144, v51, s44
	v_cndmask_b32_e64 v80, v134, v144, s44
	v_cmpx_lt_u32_e64 v81, v113
	s_cbranch_execz .LBB1438_430
; %bb.427:
	s_mov_b32 s47, 0
	s_mov_b32 s45, exec_lo
	v_cmpx_lt_u32_e64 v135, v112
	s_cbranch_execz .LBB1438_429
; %bb.428:
	v_add_f32_e32 v38, 0, v80
	v_add_f32_e32 v39, 0, v15
	v_ashrrev_i32_e32 v144, 31, v38
	v_ashrrev_i32_e32 v145, 31, v39
	v_or_b32_e32 v144, 0x80000000, v144
	v_or_b32_e32 v145, 0x80000000, v145
	v_xor_b32_e32 v38, v144, v38
	v_xor_b32_e32 v39, v145, v39
	v_cmp_le_u32_e64 s8, v38, v39
	s_and_b32 s47, s8, exec_lo
.LBB1438_429:
	s_or_b32 exec_lo, exec_lo, s45
	s_orn2_b32 s45, s47, exec_lo
.LBB1438_430:
	s_or_b32 exec_lo, exec_lo, s46
	v_cndmask_b32_e64 v38, v81, v135, s45
	v_cndmask_b32_e64 v39, v113, v112, s45
	s_mov_b32 s46, -1
	s_mov_b32 s47, exec_lo
	v_add_nc_u32_e32 v144, 1, v38
	v_add_nc_u32_e32 v39, -1, v39
	v_lshl_add_u32 v38, v38, 3, v82
	v_cndmask_b32_e64 v81, v144, v81, s45
	v_min_u32_e32 v39, v144, v39
	v_cndmask_b32_e64 v145, v135, v144, s45
	v_lshl_add_u32 v39, v39, 2, v31
	ds_read_b32 v146, v39
	ds_read_b64 v[38:39], v38 offset:16384
	s_waitcnt lgkmcnt(1)
	v_cndmask_b32_e64 v135, v146, v15, s45
	v_cndmask_b32_e64 v144, v80, v146, s45
	v_cmpx_lt_u32_e64 v81, v113
	s_cbranch_execz .LBB1438_434
; %bb.431:
	s_mov_b32 s56, 0
	s_mov_b32 s46, exec_lo
	v_cmpx_lt_u32_e64 v145, v112
	s_cbranch_execz .LBB1438_433
; %bb.432:
	v_add_f32_e32 v112, 0, v144
	v_add_f32_e32 v113, 0, v135
	v_ashrrev_i32_e32 v146, 31, v112
	v_ashrrev_i32_e32 v147, 31, v113
	v_or_b32_e32 v146, 0x80000000, v146
	v_or_b32_e32 v147, 0x80000000, v147
	v_xor_b32_e32 v112, v146, v112
	v_xor_b32_e32 v113, v147, v113
	v_cmp_le_u32_e64 s8, v112, v113
	s_and_b32 s56, s8, exec_lo
.LBB1438_433:
	s_or_b32 exec_lo, exec_lo, s46
	s_orn2_b32 s46, s56, exec_lo
.LBB1438_434:
	s_or_b32 exec_lo, exec_lo, s47
	v_cndmask_b32_e64 v81, v81, v145, s46
	v_cndmask_b32_e64 v15, v15, v80, s45
	;; [unrolled: 1-line block ×5, first 2 shown]
	v_lshl_add_u32 v81, v81, 3, v82
	v_cndmask_b32_e64 v70, v70, v131, s41
	v_cndmask_b32_e64 v67, v67, v130, s40
	;; [unrolled: 1-line block ×4, first 2 shown]
	ds_read_b64 v[80:81], v81 offset:16384
	v_cndmask_b32_e64 v64, v64, v119, s27
	v_cndmask_b32_e64 v55, v55, v118, s26
	;; [unrolled: 1-line block ×8, first 2 shown]
.LBB1438_435:
	s_or_b32 exec_lo, exec_lo, s12
	v_and_b32_e32 v116, 0x180, v102
	v_and_b32_e32 v114, 0x70, v102
	s_mov_b32 s9, exec_lo
	; wave barrier
	v_or_b32_e32 v112, 64, v116
	v_min_u32_e32 v117, v84, v114
	ds_write2_b64 v103, v[4:5], v[8:9] offset1:1
	ds_write2_b64 v83, v[13:14], v[52:53] offset1:1
	;; [unrolled: 1-line block ×4, first 2 shown]
	ds_write2_b64 v83, v[54:55], v[64:65] offset0:2 offset1:3
	ds_write2_b64 v87, v[25:26], v[27:28] offset1:1
	ds_write2_b64 v96, v[29:30], v[32:33] offset1:1
	v_min_u32_e32 v112, v84, v112
	ds_write2_b64 v83, v[66:67], v[70:71] offset0:4 offset1:5
	ds_write2_b64 v85, v[34:35], v[36:37] offset1:1
	ds_write2_b64 v86, v[48:49], v[68:69] offset1:1
	ds_write2_b64 v83, v[50:51], v[15:16] offset0:6 offset1:7
	s_waitcnt lgkmcnt(11)
	ds_write2_b64 v97, v[38:39], v[80:81] offset1:1
	; wave barrier
	v_add_nc_u32_e32 v113, 64, v112
	v_sub_nc_u32_e32 v115, v112, v116
	v_min_u32_e32 v113, v84, v113
	v_min_u32_e32 v118, v117, v115
	v_lshl_add_u32 v115, v116, 2, v31
	v_sub_nc_u32_e32 v114, v113, v112
	v_sub_nc_u32_e64 v114, v117, v114 clamp
	v_cmpx_lt_u32_e64 v114, v118
	s_cbranch_execz .LBB1438_439
; %bb.436:
	v_lshlrev_b32_e32 v119, 2, v112
	v_lshlrev_b32_e32 v128, 2, v117
	s_mov_b32 s12, 0
	v_add3_u32 v119, v31, v119, v128
	s_inst_prefetch 0x1
	.p2align	6
.LBB1438_437:                           ; =>This Inner Loop Header: Depth=1
	v_add_nc_u32_e32 v128, v118, v114
	v_lshrrev_b32_e32 v128, 1, v128
	v_not_b32_e32 v129, v128
	v_lshl_add_u32 v130, v128, 2, v115
	v_lshl_add_u32 v129, v129, 2, v119
	ds_read_b32 v130, v130
	ds_read_b32 v129, v129
	s_waitcnt lgkmcnt(1)
	v_add_f32_e32 v130, 0, v130
	s_waitcnt lgkmcnt(0)
	v_add_f32_e32 v129, 0, v129
	v_ashrrev_i32_e32 v131, 31, v130
	v_ashrrev_i32_e32 v132, 31, v129
	v_or_b32_e32 v131, 0x80000000, v131
	v_or_b32_e32 v132, 0x80000000, v132
	v_xor_b32_e32 v130, v131, v130
	v_xor_b32_e32 v129, v132, v129
	v_add_nc_u32_e32 v131, 1, v128
	v_cmp_gt_u32_e64 s8, v130, v129
	v_cndmask_b32_e64 v118, v118, v128, s8
	v_cndmask_b32_e64 v114, v131, v114, s8
	v_cmp_ge_u32_e64 s8, v114, v118
	s_or_b32 s12, s8, s12
	s_andn2_b32 exec_lo, exec_lo, s12
	s_cbranch_execnz .LBB1438_437
; %bb.438:
	s_inst_prefetch 0x2
	s_or_b32 exec_lo, exec_lo, s12
.LBB1438_439:
	s_or_b32 exec_lo, exec_lo, s9
	v_add_nc_u32_e32 v117, v112, v117
	v_add_nc_u32_e32 v116, v114, v116
	v_sub_nc_u32_e32 v117, v117, v114
	v_cmp_le_u32_e64 s8, v116, v112
	v_cmp_le_u32_e64 s9, v117, v113
	s_or_b32 s8, s8, s9
	s_and_saveexec_b32 s12, s8
	s_cbranch_execz .LBB1438_507
; %bb.440:
	v_cmp_ge_u32_e64 s8, v116, v112
	s_mov_b32 s13, exec_lo
                                        ; implicit-def: $vgpr13
	v_cmpx_lt_u32_e64 v116, v112
; %bb.441:
	v_lshl_add_u32 v4, v114, 2, v115
	ds_read_b32 v13, v4
; %bb.442:
	s_or_b32 exec_lo, exec_lo, s13
	v_cmp_ge_u32_e64 s13, v117, v113
	s_mov_b32 s23, exec_lo
                                        ; implicit-def: $vgpr16
	v_cmpx_lt_u32_e64 v117, v113
; %bb.443:
	v_lshl_add_u32 v4, v117, 2, v31
	ds_read_b32 v16, v4
; %bb.444:
	s_or_b32 exec_lo, exec_lo, s23
	s_nor_b32 s8, s8, s13
	s_and_saveexec_b32 s9, s8
	s_cbranch_execz .LBB1438_446
; %bb.445:
	s_waitcnt lgkmcnt(0)
	v_add_f32_e32 v4, 0, v13
	v_add_f32_e32 v5, 0, v16
	s_andn2_b32 s13, s13, exec_lo
	v_ashrrev_i32_e32 v8, 31, v4
	v_ashrrev_i32_e32 v9, 31, v5
	v_or_b32_e32 v8, 0x80000000, v8
	v_or_b32_e32 v9, 0x80000000, v9
	v_xor_b32_e32 v4, v8, v4
	v_xor_b32_e32 v5, v9, v5
	v_cmp_le_u32_e64 s8, v4, v5
	s_and_b32 s8, s8, exec_lo
	s_or_b32 s13, s13, s8
.LBB1438_446:
	s_or_b32 exec_lo, exec_lo, s9
	v_cndmask_b32_e64 v4, v117, v116, s13
	v_cndmask_b32_e64 v5, v113, v112, s13
	s_mov_b32 s23, -1
	s_mov_b32 s9, -1
	s_mov_b32 s24, exec_lo
	v_add_nc_u32_e32 v8, 1, v4
	v_add_nc_u32_e32 v5, -1, v5
	v_lshl_add_u32 v4, v4, 3, v82
	v_cndmask_b32_e64 v15, v8, v117, s13
	v_min_u32_e32 v5, v8, v5
	v_cndmask_b32_e64 v17, v116, v8, s13
	v_lshl_add_u32 v5, v5, 2, v31
	ds_read_b32 v9, v5
	ds_read_b64 v[4:5], v4 offset:16384
	s_waitcnt lgkmcnt(1)
	v_cndmask_b32_e64 v14, v9, v16, s13
	v_cndmask_b32_e64 v114, v13, v9, s13
	v_cmpx_lt_u32_e64 v15, v113
	s_cbranch_execz .LBB1438_450
; %bb.447:
	s_mov_b32 s25, 0
	s_mov_b32 s9, exec_lo
	v_cmpx_lt_u32_e64 v17, v112
	s_cbranch_execz .LBB1438_449
; %bb.448:
	v_add_f32_e32 v8, 0, v114
	v_add_f32_e32 v9, 0, v14
	v_ashrrev_i32_e32 v18, 31, v8
	v_ashrrev_i32_e32 v19, 31, v9
	v_or_b32_e32 v18, 0x80000000, v18
	v_or_b32_e32 v19, 0x80000000, v19
	v_xor_b32_e32 v8, v18, v8
	v_xor_b32_e32 v9, v19, v9
	v_cmp_le_u32_e64 s8, v8, v9
	s_and_b32 s25, s8, exec_lo
.LBB1438_449:
	s_or_b32 exec_lo, exec_lo, s9
	s_orn2_b32 s9, s25, exec_lo
.LBB1438_450:
	s_or_b32 exec_lo, exec_lo, s24
	v_cndmask_b32_e64 v8, v15, v17, s9
	v_cndmask_b32_e64 v9, v113, v112, s9
	s_mov_b32 s24, exec_lo
	v_add_nc_u32_e32 v18, 1, v8
	v_add_nc_u32_e32 v9, -1, v9
	v_lshl_add_u32 v8, v8, 3, v82
	v_cndmask_b32_e64 v15, v18, v15, s9
	v_min_u32_e32 v9, v18, v9
	v_cndmask_b32_e64 v19, v17, v18, s9
	v_lshl_add_u32 v9, v9, 2, v31
	ds_read_b32 v20, v9
	ds_read_b64 v[8:9], v8 offset:16384
	s_waitcnt lgkmcnt(1)
	v_cndmask_b32_e64 v52, v20, v14, s9
	v_cndmask_b32_e64 v115, v114, v20, s9
	v_cmpx_lt_u32_e64 v15, v113
	s_cbranch_execz .LBB1438_454
; %bb.451:
	s_mov_b32 s25, 0
	s_mov_b32 s23, exec_lo
	v_cmpx_lt_u32_e64 v19, v112
	s_cbranch_execz .LBB1438_453
; %bb.452:
	v_add_f32_e32 v17, 0, v115
	v_add_f32_e32 v18, 0, v52
	v_ashrrev_i32_e32 v20, 31, v17
	v_ashrrev_i32_e32 v21, 31, v18
	v_or_b32_e32 v20, 0x80000000, v20
	v_or_b32_e32 v21, 0x80000000, v21
	v_xor_b32_e32 v17, v20, v17
	v_xor_b32_e32 v18, v21, v18
	v_cmp_le_u32_e64 s8, v17, v18
	s_and_b32 s25, s8, exec_lo
.LBB1438_453:
	s_or_b32 exec_lo, exec_lo, s23
	s_orn2_b32 s23, s25, exec_lo
.LBB1438_454:
	s_or_b32 exec_lo, exec_lo, s24
	v_cndmask_b32_e64 v17, v15, v19, s23
	v_cndmask_b32_e64 v18, v113, v112, s23
	s_mov_b32 s25, -1
	s_mov_b32 s24, -1
	s_mov_b32 s26, exec_lo
	v_add_nc_u32_e32 v20, 1, v17
	v_add_nc_u32_e32 v18, -1, v18
	v_lshl_add_u32 v17, v17, 3, v82
	v_cndmask_b32_e64 v15, v20, v15, s23
	v_min_u32_e32 v18, v20, v18
	v_cndmask_b32_e64 v21, v19, v20, s23
	v_lshl_add_u32 v18, v18, 2, v31
	ds_read_b32 v22, v18
	ds_read_b64 v[17:18], v17 offset:16384
	s_waitcnt lgkmcnt(1)
	v_cndmask_b32_e64 v53, v22, v52, s23
	v_cndmask_b32_e64 v116, v115, v22, s23
	v_cmpx_lt_u32_e64 v15, v113
	s_cbranch_execz .LBB1438_458
; %bb.455:
	s_mov_b32 s27, 0
	s_mov_b32 s24, exec_lo
	v_cmpx_lt_u32_e64 v21, v112
	s_cbranch_execz .LBB1438_457
; %bb.456:
	v_add_f32_e32 v19, 0, v116
	v_add_f32_e32 v20, 0, v53
	v_ashrrev_i32_e32 v22, 31, v19
	v_ashrrev_i32_e32 v23, 31, v20
	v_or_b32_e32 v22, 0x80000000, v22
	v_or_b32_e32 v23, 0x80000000, v23
	v_xor_b32_e32 v19, v22, v19
	v_xor_b32_e32 v20, v23, v20
	v_cmp_le_u32_e64 s8, v19, v20
	s_and_b32 s27, s8, exec_lo
.LBB1438_457:
	s_or_b32 exec_lo, exec_lo, s24
	s_orn2_b32 s24, s27, exec_lo
.LBB1438_458:
	s_or_b32 exec_lo, exec_lo, s26
	v_cndmask_b32_e64 v19, v15, v21, s24
	v_cndmask_b32_e64 v20, v113, v112, s24
	s_mov_b32 s26, exec_lo
	v_add_nc_u32_e32 v22, 1, v19
	v_add_nc_u32_e32 v20, -1, v20
	v_lshl_add_u32 v19, v19, 3, v82
	v_cndmask_b32_e64 v15, v22, v15, s24
	v_min_u32_e32 v20, v22, v20
	v_cndmask_b32_e64 v23, v21, v22, s24
	v_lshl_add_u32 v20, v20, 2, v31
	ds_read_b32 v24, v20
	ds_read_b64 v[19:20], v19 offset:16384
	s_waitcnt lgkmcnt(1)
	v_cndmask_b32_e64 v54, v24, v53, s24
	v_cndmask_b32_e64 v117, v116, v24, s24
	v_cmpx_lt_u32_e64 v15, v113
	s_cbranch_execz .LBB1438_462
; %bb.459:
	s_mov_b32 s27, 0
	s_mov_b32 s25, exec_lo
	v_cmpx_lt_u32_e64 v23, v112
	s_cbranch_execz .LBB1438_461
; %bb.460:
	v_add_f32_e32 v21, 0, v117
	v_add_f32_e32 v22, 0, v54
	v_ashrrev_i32_e32 v24, 31, v21
	v_ashrrev_i32_e32 v25, 31, v22
	v_or_b32_e32 v24, 0x80000000, v24
	v_or_b32_e32 v25, 0x80000000, v25
	v_xor_b32_e32 v21, v24, v21
	v_xor_b32_e32 v22, v25, v22
	v_cmp_le_u32_e64 s8, v21, v22
	s_and_b32 s27, s8, exec_lo
.LBB1438_461:
	s_or_b32 exec_lo, exec_lo, s25
	s_orn2_b32 s25, s27, exec_lo
.LBB1438_462:
	s_or_b32 exec_lo, exec_lo, s26
	v_cndmask_b32_e64 v21, v15, v23, s25
	v_cndmask_b32_e64 v22, v113, v112, s25
	s_mov_b32 s27, -1
	s_mov_b32 s26, -1
	s_mov_b32 s28, exec_lo
	v_add_nc_u32_e32 v24, 1, v21
	v_add_nc_u32_e32 v22, -1, v22
	v_lshl_add_u32 v21, v21, 3, v82
	v_cndmask_b32_e64 v15, v24, v15, s25
	v_min_u32_e32 v22, v24, v22
	v_cndmask_b32_e64 v25, v23, v24, s25
	v_lshl_add_u32 v22, v22, 2, v31
	ds_read_b32 v26, v22
	ds_read_b64 v[21:22], v21 offset:16384
	s_waitcnt lgkmcnt(1)
	v_cndmask_b32_e64 v55, v26, v54, s25
	v_cndmask_b32_e64 v118, v117, v26, s25
	v_cmpx_lt_u32_e64 v15, v113
	s_cbranch_execz .LBB1438_466
; %bb.463:
	s_mov_b32 s29, 0
	s_mov_b32 s26, exec_lo
	v_cmpx_lt_u32_e64 v25, v112
	s_cbranch_execz .LBB1438_465
; %bb.464:
	v_add_f32_e32 v23, 0, v118
	v_add_f32_e32 v24, 0, v55
	v_ashrrev_i32_e32 v26, 31, v23
	v_ashrrev_i32_e32 v27, 31, v24
	v_or_b32_e32 v26, 0x80000000, v26
	v_or_b32_e32 v27, 0x80000000, v27
	v_xor_b32_e32 v23, v26, v23
	v_xor_b32_e32 v24, v27, v24
	v_cmp_le_u32_e64 s8, v23, v24
	s_and_b32 s29, s8, exec_lo
.LBB1438_465:
	s_or_b32 exec_lo, exec_lo, s26
	s_orn2_b32 s26, s29, exec_lo
.LBB1438_466:
	s_or_b32 exec_lo, exec_lo, s28
	v_cndmask_b32_e64 v23, v15, v25, s26
	v_cndmask_b32_e64 v24, v113, v112, s26
	s_mov_b32 s28, exec_lo
	v_add_nc_u32_e32 v26, 1, v23
	v_add_nc_u32_e32 v24, -1, v24
	v_lshl_add_u32 v23, v23, 3, v82
	v_cndmask_b32_e64 v15, v26, v15, s26
	v_min_u32_e32 v24, v26, v24
	v_cndmask_b32_e64 v27, v25, v26, s26
	v_lshl_add_u32 v24, v24, 2, v31
	ds_read_b32 v28, v24
	ds_read_b64 v[23:24], v23 offset:16384
	s_waitcnt lgkmcnt(1)
	v_cndmask_b32_e64 v64, v28, v55, s26
	v_cndmask_b32_e64 v119, v118, v28, s26
	v_cmpx_lt_u32_e64 v15, v113
	s_cbranch_execz .LBB1438_470
; %bb.467:
	s_mov_b32 s29, 0
	s_mov_b32 s27, exec_lo
	v_cmpx_lt_u32_e64 v27, v112
	s_cbranch_execz .LBB1438_469
; %bb.468:
	v_add_f32_e32 v25, 0, v119
	v_add_f32_e32 v26, 0, v64
	v_ashrrev_i32_e32 v28, 31, v25
	v_ashrrev_i32_e32 v29, 31, v26
	v_or_b32_e32 v28, 0x80000000, v28
	v_or_b32_e32 v29, 0x80000000, v29
	v_xor_b32_e32 v25, v28, v25
	v_xor_b32_e32 v26, v29, v26
	v_cmp_le_u32_e64 s8, v25, v26
	s_and_b32 s29, s8, exec_lo
.LBB1438_469:
	s_or_b32 exec_lo, exec_lo, s27
	s_orn2_b32 s27, s29, exec_lo
.LBB1438_470:
	s_or_b32 exec_lo, exec_lo, s28
	v_cndmask_b32_e64 v25, v15, v27, s27
	v_cndmask_b32_e64 v26, v113, v112, s27
	s_mov_b32 s29, -1
	s_mov_b32 s28, -1
	s_mov_b32 s40, exec_lo
	v_add_nc_u32_e32 v28, 1, v25
	v_add_nc_u32_e32 v26, -1, v26
	v_lshl_add_u32 v25, v25, 3, v82
	v_cndmask_b32_e64 v15, v28, v15, s27
	v_min_u32_e32 v26, v28, v26
	v_cndmask_b32_e64 v29, v27, v28, s27
	v_lshl_add_u32 v26, v26, 2, v31
	ds_read_b32 v30, v26
	ds_read_b64 v[25:26], v25 offset:16384
	s_waitcnt lgkmcnt(1)
	v_cndmask_b32_e64 v65, v30, v64, s27
	v_cndmask_b32_e64 v128, v119, v30, s27
	v_cmpx_lt_u32_e64 v15, v113
	s_cbranch_execz .LBB1438_474
; %bb.471:
	s_mov_b32 s41, 0
	s_mov_b32 s28, exec_lo
	v_cmpx_lt_u32_e64 v29, v112
	s_cbranch_execz .LBB1438_473
; %bb.472:
	v_add_f32_e32 v27, 0, v128
	v_add_f32_e32 v28, 0, v65
	v_ashrrev_i32_e32 v30, 31, v27
	v_ashrrev_i32_e32 v32, 31, v28
	v_or_b32_e32 v30, 0x80000000, v30
	v_or_b32_e32 v32, 0x80000000, v32
	v_xor_b32_e32 v27, v30, v27
	v_xor_b32_e32 v28, v32, v28
	v_cmp_le_u32_e64 s8, v27, v28
	s_and_b32 s41, s8, exec_lo
.LBB1438_473:
	s_or_b32 exec_lo, exec_lo, s28
	s_orn2_b32 s28, s41, exec_lo
.LBB1438_474:
	s_or_b32 exec_lo, exec_lo, s40
	v_cndmask_b32_e64 v27, v15, v29, s28
	v_cndmask_b32_e64 v28, v113, v112, s28
	s_mov_b32 s40, exec_lo
	v_add_nc_u32_e32 v30, 1, v27
	v_add_nc_u32_e32 v28, -1, v28
	v_lshl_add_u32 v27, v27, 3, v82
	v_cndmask_b32_e64 v15, v30, v15, s28
	v_min_u32_e32 v28, v30, v28
	v_cndmask_b32_e64 v32, v29, v30, s28
	v_lshl_add_u32 v28, v28, 2, v31
	ds_read_b32 v33, v28
	ds_read_b64 v[27:28], v27 offset:16384
	s_waitcnt lgkmcnt(1)
	v_cndmask_b32_e64 v66, v33, v65, s28
	v_cndmask_b32_e64 v129, v128, v33, s28
	v_cmpx_lt_u32_e64 v15, v113
	s_cbranch_execz .LBB1438_478
; %bb.475:
	s_mov_b32 s41, 0
	s_mov_b32 s29, exec_lo
	v_cmpx_lt_u32_e64 v32, v112
	s_cbranch_execz .LBB1438_477
; %bb.476:
	v_add_f32_e32 v29, 0, v129
	v_add_f32_e32 v30, 0, v66
	v_ashrrev_i32_e32 v33, 31, v29
	v_ashrrev_i32_e32 v34, 31, v30
	v_or_b32_e32 v33, 0x80000000, v33
	v_or_b32_e32 v34, 0x80000000, v34
	v_xor_b32_e32 v29, v33, v29
	v_xor_b32_e32 v30, v34, v30
	v_cmp_le_u32_e64 s8, v29, v30
	s_and_b32 s41, s8, exec_lo
.LBB1438_477:
	s_or_b32 exec_lo, exec_lo, s29
	s_orn2_b32 s29, s41, exec_lo
.LBB1438_478:
	s_or_b32 exec_lo, exec_lo, s40
	v_cndmask_b32_e64 v29, v15, v32, s29
	v_cndmask_b32_e64 v30, v113, v112, s29
	s_mov_b32 s41, -1
	s_mov_b32 s40, -1
	s_mov_b32 s42, exec_lo
	v_add_nc_u32_e32 v33, 1, v29
	v_add_nc_u32_e32 v30, -1, v30
	v_lshl_add_u32 v29, v29, 3, v82
	v_cndmask_b32_e64 v15, v33, v15, s29
	v_min_u32_e32 v30, v33, v30
	v_cndmask_b32_e64 v34, v32, v33, s29
	v_lshl_add_u32 v30, v30, 2, v31
	ds_read_b32 v35, v30
	ds_read_b64 v[29:30], v29 offset:16384
	s_waitcnt lgkmcnt(1)
	v_cndmask_b32_e64 v67, v35, v66, s29
	v_cndmask_b32_e64 v130, v129, v35, s29
	v_cmpx_lt_u32_e64 v15, v113
	s_cbranch_execz .LBB1438_482
; %bb.479:
	s_mov_b32 s43, 0
	s_mov_b32 s40, exec_lo
	v_cmpx_lt_u32_e64 v34, v112
	s_cbranch_execz .LBB1438_481
; %bb.480:
	v_add_f32_e32 v32, 0, v130
	v_add_f32_e32 v33, 0, v67
	v_ashrrev_i32_e32 v35, 31, v32
	v_ashrrev_i32_e32 v36, 31, v33
	v_or_b32_e32 v35, 0x80000000, v35
	v_or_b32_e32 v36, 0x80000000, v36
	v_xor_b32_e32 v32, v35, v32
	v_xor_b32_e32 v33, v36, v33
	v_cmp_le_u32_e64 s8, v32, v33
	s_and_b32 s43, s8, exec_lo
.LBB1438_481:
	s_or_b32 exec_lo, exec_lo, s40
	s_orn2_b32 s40, s43, exec_lo
.LBB1438_482:
	s_or_b32 exec_lo, exec_lo, s42
	v_cndmask_b32_e64 v32, v15, v34, s40
	v_cndmask_b32_e64 v33, v113, v112, s40
	s_mov_b32 s42, exec_lo
	v_add_nc_u32_e32 v35, 1, v32
	v_add_nc_u32_e32 v33, -1, v33
	v_lshl_add_u32 v32, v32, 3, v82
	v_cndmask_b32_e64 v15, v35, v15, s40
	v_min_u32_e32 v33, v35, v33
	v_cndmask_b32_e64 v36, v34, v35, s40
	v_lshl_add_u32 v33, v33, 2, v31
	ds_read_b32 v37, v33
	ds_read_b64 v[32:33], v32 offset:16384
	s_waitcnt lgkmcnt(1)
	v_cndmask_b32_e64 v70, v37, v67, s40
	v_cndmask_b32_e64 v131, v130, v37, s40
	v_cmpx_lt_u32_e64 v15, v113
	s_cbranch_execz .LBB1438_486
; %bb.483:
	s_mov_b32 s43, 0
	s_mov_b32 s41, exec_lo
	v_cmpx_lt_u32_e64 v36, v112
	s_cbranch_execz .LBB1438_485
; %bb.484:
	v_add_f32_e32 v34, 0, v131
	v_add_f32_e32 v35, 0, v70
	v_ashrrev_i32_e32 v37, 31, v34
	v_ashrrev_i32_e32 v38, 31, v35
	v_or_b32_e32 v37, 0x80000000, v37
	v_or_b32_e32 v38, 0x80000000, v38
	v_xor_b32_e32 v34, v37, v34
	v_xor_b32_e32 v35, v38, v35
	v_cmp_le_u32_e64 s8, v34, v35
	s_and_b32 s43, s8, exec_lo
.LBB1438_485:
	s_or_b32 exec_lo, exec_lo, s41
	s_orn2_b32 s41, s43, exec_lo
.LBB1438_486:
	s_or_b32 exec_lo, exec_lo, s42
	v_cndmask_b32_e64 v34, v15, v36, s41
	v_cndmask_b32_e64 v35, v113, v112, s41
	s_mov_b32 s43, -1
	s_mov_b32 s42, -1
	s_mov_b32 s44, exec_lo
	v_add_nc_u32_e32 v37, 1, v34
	v_add_nc_u32_e32 v35, -1, v35
	v_lshl_add_u32 v34, v34, 3, v82
	v_cndmask_b32_e64 v15, v37, v15, s41
	v_min_u32_e32 v35, v37, v35
	v_cndmask_b32_e64 v38, v36, v37, s41
	v_lshl_add_u32 v35, v35, 2, v31
	ds_read_b32 v39, v35
	ds_read_b64 v[34:35], v34 offset:16384
	s_waitcnt lgkmcnt(1)
	v_cndmask_b32_e64 v71, v39, v70, s41
	v_cndmask_b32_e64 v132, v131, v39, s41
	v_cmpx_lt_u32_e64 v15, v113
	s_cbranch_execz .LBB1438_490
; %bb.487:
	s_mov_b32 s45, 0
	s_mov_b32 s42, exec_lo
	v_cmpx_lt_u32_e64 v38, v112
	s_cbranch_execz .LBB1438_489
; %bb.488:
	v_add_f32_e32 v36, 0, v132
	v_add_f32_e32 v37, 0, v71
	v_ashrrev_i32_e32 v39, 31, v36
	v_ashrrev_i32_e32 v48, 31, v37
	v_or_b32_e32 v39, 0x80000000, v39
	v_or_b32_e32 v48, 0x80000000, v48
	v_xor_b32_e32 v36, v39, v36
	v_xor_b32_e32 v37, v48, v37
	v_cmp_le_u32_e64 s8, v36, v37
	s_and_b32 s45, s8, exec_lo
.LBB1438_489:
	s_or_b32 exec_lo, exec_lo, s42
	s_orn2_b32 s42, s45, exec_lo
.LBB1438_490:
	s_or_b32 exec_lo, exec_lo, s44
	v_cndmask_b32_e64 v36, v15, v38, s42
	v_cndmask_b32_e64 v37, v113, v112, s42
	s_mov_b32 s44, exec_lo
	v_add_nc_u32_e32 v39, 1, v36
	v_add_nc_u32_e32 v37, -1, v37
	v_lshl_add_u32 v36, v36, 3, v82
	v_cndmask_b32_e64 v15, v39, v15, s42
	v_min_u32_e32 v37, v39, v37
	v_cndmask_b32_e64 v38, v38, v39, s42
	v_lshl_add_u32 v37, v37, 2, v31
	ds_read_b32 v48, v37
	ds_read_b64 v[36:37], v36 offset:16384
	s_waitcnt lgkmcnt(1)
	v_cndmask_b32_e64 v50, v48, v71, s42
	v_cndmask_b32_e64 v133, v132, v48, s42
	v_cmpx_lt_u32_e64 v15, v113
	s_cbranch_execz .LBB1438_494
; %bb.491:
	s_mov_b32 s45, 0
	s_mov_b32 s43, exec_lo
	v_cmpx_lt_u32_e64 v38, v112
	s_cbranch_execz .LBB1438_493
; %bb.492:
	v_add_f32_e32 v39, 0, v133
	v_add_f32_e32 v48, 0, v50
	v_ashrrev_i32_e32 v49, 31, v39
	v_ashrrev_i32_e32 v51, 31, v48
	v_or_b32_e32 v49, 0x80000000, v49
	v_or_b32_e32 v51, 0x80000000, v51
	v_xor_b32_e32 v39, v49, v39
	v_xor_b32_e32 v48, v51, v48
	v_cmp_le_u32_e64 s8, v39, v48
	s_and_b32 s45, s8, exec_lo
.LBB1438_493:
	s_or_b32 exec_lo, exec_lo, s43
	s_orn2_b32 s43, s45, exec_lo
.LBB1438_494:
	s_or_b32 exec_lo, exec_lo, s44
	v_cndmask_b32_e64 v39, v15, v38, s43
	v_cndmask_b32_e64 v48, v113, v112, s43
	s_mov_b32 s45, -1
	s_mov_b32 s44, -1
	s_mov_b32 s46, exec_lo
	v_add_nc_u32_e32 v51, 1, v39
	v_add_nc_u32_e32 v48, -1, v48
	v_lshl_add_u32 v39, v39, 3, v82
	v_cndmask_b32_e64 v15, v51, v15, s43
	v_min_u32_e32 v48, v51, v48
	v_cndmask_b32_e64 v38, v38, v51, s43
	v_lshl_add_u32 v48, v48, 2, v31
	ds_read_b32 v68, v48
	ds_read_b64 v[48:49], v39 offset:16384
	s_waitcnt lgkmcnt(1)
	v_cndmask_b32_e64 v51, v68, v50, s43
	v_cndmask_b32_e64 v134, v133, v68, s43
	v_cmpx_lt_u32_e64 v15, v113
	s_cbranch_execz .LBB1438_498
; %bb.495:
	s_mov_b32 s47, 0
	s_mov_b32 s44, exec_lo
	v_cmpx_lt_u32_e64 v38, v112
	s_cbranch_execz .LBB1438_497
; %bb.496:
	v_add_f32_e32 v39, 0, v134
	v_add_f32_e32 v68, 0, v51
	v_ashrrev_i32_e32 v69, 31, v39
	v_ashrrev_i32_e32 v80, 31, v68
	v_or_b32_e32 v69, 0x80000000, v69
	v_or_b32_e32 v80, 0x80000000, v80
	v_xor_b32_e32 v39, v69, v39
	v_xor_b32_e32 v68, v80, v68
	v_cmp_le_u32_e64 s8, v39, v68
	s_and_b32 s47, s8, exec_lo
.LBB1438_497:
	s_or_b32 exec_lo, exec_lo, s44
	s_orn2_b32 s44, s47, exec_lo
.LBB1438_498:
	s_or_b32 exec_lo, exec_lo, s46
	v_cndmask_b32_e64 v39, v15, v38, s44
	v_cndmask_b32_e64 v68, v113, v112, s44
	s_mov_b32 s46, exec_lo
	v_add_nc_u32_e32 v80, 1, v39
	v_add_nc_u32_e32 v68, -1, v68
	v_lshl_add_u32 v39, v39, 3, v82
	v_cndmask_b32_e64 v81, v80, v15, s44
	v_min_u32_e32 v68, v80, v68
	v_cndmask_b32_e64 v135, v38, v80, s44
	v_lshl_add_u32 v68, v68, 2, v31
	ds_read_b32 v144, v68
	ds_read_b64 v[68:69], v39 offset:16384
	s_waitcnt lgkmcnt(1)
	v_cndmask_b32_e64 v15, v144, v51, s44
	v_cndmask_b32_e64 v80, v134, v144, s44
	v_cmpx_lt_u32_e64 v81, v113
	s_cbranch_execz .LBB1438_502
; %bb.499:
	s_mov_b32 s47, 0
	s_mov_b32 s45, exec_lo
	v_cmpx_lt_u32_e64 v135, v112
	s_cbranch_execz .LBB1438_501
; %bb.500:
	v_add_f32_e32 v38, 0, v80
	v_add_f32_e32 v39, 0, v15
	v_ashrrev_i32_e32 v144, 31, v38
	v_ashrrev_i32_e32 v145, 31, v39
	v_or_b32_e32 v144, 0x80000000, v144
	v_or_b32_e32 v145, 0x80000000, v145
	v_xor_b32_e32 v38, v144, v38
	v_xor_b32_e32 v39, v145, v39
	v_cmp_le_u32_e64 s8, v38, v39
	s_and_b32 s47, s8, exec_lo
.LBB1438_501:
	s_or_b32 exec_lo, exec_lo, s45
	s_orn2_b32 s45, s47, exec_lo
.LBB1438_502:
	s_or_b32 exec_lo, exec_lo, s46
	v_cndmask_b32_e64 v38, v81, v135, s45
	v_cndmask_b32_e64 v39, v113, v112, s45
	s_mov_b32 s46, -1
	s_mov_b32 s47, exec_lo
	v_add_nc_u32_e32 v144, 1, v38
	v_add_nc_u32_e32 v39, -1, v39
	v_lshl_add_u32 v38, v38, 3, v82
	v_cndmask_b32_e64 v81, v144, v81, s45
	v_min_u32_e32 v39, v144, v39
	v_cndmask_b32_e64 v145, v135, v144, s45
	v_lshl_add_u32 v39, v39, 2, v31
	ds_read_b32 v146, v39
	ds_read_b64 v[38:39], v38 offset:16384
	s_waitcnt lgkmcnt(1)
	v_cndmask_b32_e64 v135, v146, v15, s45
	v_cndmask_b32_e64 v144, v80, v146, s45
	v_cmpx_lt_u32_e64 v81, v113
	s_cbranch_execz .LBB1438_506
; %bb.503:
	s_mov_b32 s56, 0
	s_mov_b32 s46, exec_lo
	v_cmpx_lt_u32_e64 v145, v112
	s_cbranch_execz .LBB1438_505
; %bb.504:
	v_add_f32_e32 v112, 0, v144
	v_add_f32_e32 v113, 0, v135
	v_ashrrev_i32_e32 v146, 31, v112
	v_ashrrev_i32_e32 v147, 31, v113
	v_or_b32_e32 v146, 0x80000000, v146
	v_or_b32_e32 v147, 0x80000000, v147
	v_xor_b32_e32 v112, v146, v112
	v_xor_b32_e32 v113, v147, v113
	v_cmp_le_u32_e64 s8, v112, v113
	s_and_b32 s56, s8, exec_lo
.LBB1438_505:
	s_or_b32 exec_lo, exec_lo, s46
	s_orn2_b32 s46, s56, exec_lo
.LBB1438_506:
	s_or_b32 exec_lo, exec_lo, s47
	v_cndmask_b32_e64 v81, v81, v145, s46
	v_cndmask_b32_e64 v15, v15, v80, s45
	;; [unrolled: 1-line block ×5, first 2 shown]
	v_lshl_add_u32 v81, v81, 3, v82
	v_cndmask_b32_e64 v70, v70, v131, s41
	v_cndmask_b32_e64 v67, v67, v130, s40
	;; [unrolled: 1-line block ×4, first 2 shown]
	ds_read_b64 v[80:81], v81 offset:16384
	v_cndmask_b32_e64 v64, v64, v119, s27
	v_cndmask_b32_e64 v55, v55, v118, s26
	;; [unrolled: 1-line block ×8, first 2 shown]
.LBB1438_507:
	s_or_b32 exec_lo, exec_lo, s12
	v_and_b32_e32 v112, 0x100, v102
	; wave barrier
	ds_write2_b64 v103, v[4:5], v[8:9] offset1:1
	ds_write2_b64 v83, v[13:14], v[52:53] offset1:1
	;; [unrolled: 1-line block ×4, first 2 shown]
	v_or_b32_e32 v102, 0x80, v112
	v_min_u32_e32 v98, v84, v101
	ds_write2_b64 v83, v[54:55], v[64:65] offset0:2 offset1:3
	ds_write2_b64 v87, v[25:26], v[27:28] offset1:1
	ds_write2_b64 v96, v[29:30], v[32:33] offset1:1
	ds_write2_b64 v83, v[66:67], v[70:71] offset0:4 offset1:5
	ds_write2_b64 v85, v[34:35], v[36:37] offset1:1
	ds_write2_b64 v86, v[48:49], v[68:69] offset1:1
	v_lshl_add_u32 v85, v112, 2, v31
	v_min_u32_e32 v102, v84, v102
	s_mov_b32 s9, exec_lo
	ds_write2_b64 v83, v[50:51], v[15:16] offset0:6 offset1:7
	s_waitcnt lgkmcnt(11)
	ds_write2_b64 v97, v[38:39], v[80:81] offset1:1
	; wave barrier
	v_add_nc_u32_e32 v113, 0x80, v102
	v_sub_nc_u32_e32 v99, v102, v112
	v_min_u32_e32 v103, v84, v113
	v_min_u32_e32 v87, v98, v99
	v_sub_nc_u32_e32 v84, v103, v102
	v_sub_nc_u32_e64 v84, v98, v84 clamp
	v_cmpx_lt_u32_e64 v84, v87
	s_cbranch_execz .LBB1438_511
; %bb.508:
	v_lshlrev_b32_e32 v83, 2, v102
	v_lshlrev_b32_e32 v86, 2, v98
	s_mov_b32 s12, 0
	v_add3_u32 v83, v31, v83, v86
	s_inst_prefetch 0x1
	.p2align	6
.LBB1438_509:                           ; =>This Inner Loop Header: Depth=1
	v_add_nc_u32_e32 v86, v87, v84
	v_lshrrev_b32_e32 v86, 1, v86
	v_not_b32_e32 v96, v86
	v_lshl_add_u32 v97, v86, 2, v85
	v_lshl_add_u32 v96, v96, 2, v83
	ds_read_b32 v97, v97
	ds_read_b32 v96, v96
	s_waitcnt lgkmcnt(1)
	v_add_f32_e32 v97, 0, v97
	s_waitcnt lgkmcnt(0)
	v_add_f32_e32 v96, 0, v96
	v_ashrrev_i32_e32 v99, 31, v97
	v_ashrrev_i32_e32 v101, 31, v96
	v_or_b32_e32 v99, 0x80000000, v99
	v_or_b32_e32 v101, 0x80000000, v101
	v_xor_b32_e32 v97, v99, v97
	v_xor_b32_e32 v96, v101, v96
	v_add_nc_u32_e32 v99, 1, v86
	v_cmp_gt_u32_e64 s8, v97, v96
	v_cndmask_b32_e64 v87, v87, v86, s8
	v_cndmask_b32_e64 v84, v99, v84, s8
	v_cmp_ge_u32_e64 s8, v84, v87
	s_or_b32 s12, s8, s12
	s_andn2_b32 exec_lo, exec_lo, s12
	s_cbranch_execnz .LBB1438_509
; %bb.510:
	s_inst_prefetch 0x2
	s_or_b32 exec_lo, exec_lo, s12
.LBB1438_511:
	s_or_b32 exec_lo, exec_lo, s9
	v_add_nc_u32_e32 v86, v102, v98
	v_add_nc_u32_e32 v83, v84, v112
	v_sub_nc_u32_e32 v86, v86, v84
	v_cmp_le_u32_e64 s8, v83, v102
	v_cmp_le_u32_e64 s9, v86, v103
	s_or_b32 s8, s8, s9
	s_and_saveexec_b32 s12, s8
	s_cbranch_execz .LBB1438_579
; %bb.512:
	v_cmp_ge_u32_e64 s8, v83, v102
	s_mov_b32 s13, exec_lo
                                        ; implicit-def: $vgpr13
	v_cmpx_lt_u32_e64 v83, v102
; %bb.513:
	v_lshl_add_u32 v4, v84, 2, v85
	ds_read_b32 v13, v4
; %bb.514:
	s_or_b32 exec_lo, exec_lo, s13
	v_cmp_ge_u32_e64 s13, v86, v103
	s_mov_b32 s23, exec_lo
                                        ; implicit-def: $vgpr16
	v_cmpx_lt_u32_e64 v86, v103
; %bb.515:
	v_lshl_add_u32 v4, v86, 2, v31
	ds_read_b32 v16, v4
; %bb.516:
	s_or_b32 exec_lo, exec_lo, s23
	s_nor_b32 s8, s8, s13
	s_and_saveexec_b32 s9, s8
	s_cbranch_execz .LBB1438_518
; %bb.517:
	s_waitcnt lgkmcnt(0)
	v_add_f32_e32 v4, 0, v13
	v_add_f32_e32 v5, 0, v16
	s_andn2_b32 s13, s13, exec_lo
	v_ashrrev_i32_e32 v8, 31, v4
	v_ashrrev_i32_e32 v9, 31, v5
	v_or_b32_e32 v8, 0x80000000, v8
	v_or_b32_e32 v9, 0x80000000, v9
	v_xor_b32_e32 v4, v8, v4
	v_xor_b32_e32 v5, v9, v5
	v_cmp_le_u32_e64 s8, v4, v5
	s_and_b32 s8, s8, exec_lo
	s_or_b32 s13, s13, s8
.LBB1438_518:
	s_or_b32 exec_lo, exec_lo, s9
	v_cndmask_b32_e64 v4, v86, v83, s13
	v_cndmask_b32_e64 v5, v103, v102, s13
	s_mov_b32 s23, -1
	s_mov_b32 s9, -1
	s_mov_b32 s24, exec_lo
	v_add_nc_u32_e32 v8, 1, v4
	v_add_nc_u32_e32 v5, -1, v5
	v_lshl_add_u32 v4, v4, 3, v82
	v_cndmask_b32_e64 v15, v8, v86, s13
	v_min_u32_e32 v5, v8, v5
	v_cndmask_b32_e64 v17, v83, v8, s13
	v_lshl_add_u32 v5, v5, 2, v31
	ds_read_b32 v9, v5
	ds_read_b64 v[4:5], v4 offset:16384
	s_waitcnt lgkmcnt(1)
	v_cndmask_b32_e64 v14, v9, v16, s13
	v_cndmask_b32_e64 v83, v13, v9, s13
	v_cmpx_lt_u32_e64 v15, v103
	s_cbranch_execz .LBB1438_522
; %bb.519:
	s_mov_b32 s25, 0
	s_mov_b32 s9, exec_lo
	v_cmpx_lt_u32_e64 v17, v102
	s_cbranch_execz .LBB1438_521
; %bb.520:
	v_add_f32_e32 v8, 0, v83
	v_add_f32_e32 v9, 0, v14
	v_ashrrev_i32_e32 v18, 31, v8
	v_ashrrev_i32_e32 v19, 31, v9
	v_or_b32_e32 v18, 0x80000000, v18
	v_or_b32_e32 v19, 0x80000000, v19
	v_xor_b32_e32 v8, v18, v8
	v_xor_b32_e32 v9, v19, v9
	v_cmp_le_u32_e64 s8, v8, v9
	s_and_b32 s25, s8, exec_lo
.LBB1438_521:
	s_or_b32 exec_lo, exec_lo, s9
	s_orn2_b32 s9, s25, exec_lo
.LBB1438_522:
	s_or_b32 exec_lo, exec_lo, s24
	v_cndmask_b32_e64 v8, v15, v17, s9
	v_cndmask_b32_e64 v9, v103, v102, s9
	s_mov_b32 s24, exec_lo
	v_add_nc_u32_e32 v18, 1, v8
	v_add_nc_u32_e32 v9, -1, v9
	v_lshl_add_u32 v8, v8, 3, v82
	v_cndmask_b32_e64 v15, v18, v15, s9
	v_min_u32_e32 v9, v18, v9
	v_cndmask_b32_e64 v19, v17, v18, s9
	v_lshl_add_u32 v9, v9, 2, v31
	ds_read_b32 v20, v9
	ds_read_b64 v[8:9], v8 offset:16384
	s_waitcnt lgkmcnt(1)
	v_cndmask_b32_e64 v52, v20, v14, s9
	v_cndmask_b32_e64 v84, v83, v20, s9
	v_cmpx_lt_u32_e64 v15, v103
	s_cbranch_execz .LBB1438_526
; %bb.523:
	s_mov_b32 s25, 0
	s_mov_b32 s23, exec_lo
	v_cmpx_lt_u32_e64 v19, v102
	s_cbranch_execz .LBB1438_525
; %bb.524:
	v_add_f32_e32 v17, 0, v84
	v_add_f32_e32 v18, 0, v52
	v_ashrrev_i32_e32 v20, 31, v17
	v_ashrrev_i32_e32 v21, 31, v18
	v_or_b32_e32 v20, 0x80000000, v20
	v_or_b32_e32 v21, 0x80000000, v21
	v_xor_b32_e32 v17, v20, v17
	v_xor_b32_e32 v18, v21, v18
	v_cmp_le_u32_e64 s8, v17, v18
	s_and_b32 s25, s8, exec_lo
.LBB1438_525:
	s_or_b32 exec_lo, exec_lo, s23
	s_orn2_b32 s23, s25, exec_lo
.LBB1438_526:
	s_or_b32 exec_lo, exec_lo, s24
	v_cndmask_b32_e64 v17, v15, v19, s23
	v_cndmask_b32_e64 v18, v103, v102, s23
	s_mov_b32 s25, -1
	s_mov_b32 s24, -1
	s_mov_b32 s26, exec_lo
	v_add_nc_u32_e32 v20, 1, v17
	v_add_nc_u32_e32 v18, -1, v18
	v_lshl_add_u32 v17, v17, 3, v82
	v_cndmask_b32_e64 v15, v20, v15, s23
	v_min_u32_e32 v18, v20, v18
	v_cndmask_b32_e64 v21, v19, v20, s23
	v_lshl_add_u32 v18, v18, 2, v31
	ds_read_b32 v22, v18
	ds_read_b64 v[17:18], v17 offset:16384
	s_waitcnt lgkmcnt(1)
	v_cndmask_b32_e64 v53, v22, v52, s23
	v_cndmask_b32_e64 v85, v84, v22, s23
	v_cmpx_lt_u32_e64 v15, v103
	s_cbranch_execz .LBB1438_530
; %bb.527:
	s_mov_b32 s27, 0
	s_mov_b32 s24, exec_lo
	v_cmpx_lt_u32_e64 v21, v102
	s_cbranch_execz .LBB1438_529
; %bb.528:
	v_add_f32_e32 v19, 0, v85
	v_add_f32_e32 v20, 0, v53
	v_ashrrev_i32_e32 v22, 31, v19
	v_ashrrev_i32_e32 v23, 31, v20
	v_or_b32_e32 v22, 0x80000000, v22
	v_or_b32_e32 v23, 0x80000000, v23
	v_xor_b32_e32 v19, v22, v19
	v_xor_b32_e32 v20, v23, v20
	v_cmp_le_u32_e64 s8, v19, v20
	s_and_b32 s27, s8, exec_lo
.LBB1438_529:
	s_or_b32 exec_lo, exec_lo, s24
	s_orn2_b32 s24, s27, exec_lo
.LBB1438_530:
	s_or_b32 exec_lo, exec_lo, s26
	v_cndmask_b32_e64 v19, v15, v21, s24
	v_cndmask_b32_e64 v20, v103, v102, s24
	s_mov_b32 s26, exec_lo
	v_add_nc_u32_e32 v22, 1, v19
	v_add_nc_u32_e32 v20, -1, v20
	v_lshl_add_u32 v19, v19, 3, v82
	v_cndmask_b32_e64 v15, v22, v15, s24
	v_min_u32_e32 v20, v22, v20
	v_cndmask_b32_e64 v23, v21, v22, s24
	v_lshl_add_u32 v20, v20, 2, v31
	ds_read_b32 v24, v20
	ds_read_b64 v[19:20], v19 offset:16384
	s_waitcnt lgkmcnt(1)
	v_cndmask_b32_e64 v54, v24, v53, s24
	v_cndmask_b32_e64 v86, v85, v24, s24
	v_cmpx_lt_u32_e64 v15, v103
	s_cbranch_execz .LBB1438_534
; %bb.531:
	s_mov_b32 s27, 0
	s_mov_b32 s25, exec_lo
	v_cmpx_lt_u32_e64 v23, v102
	s_cbranch_execz .LBB1438_533
; %bb.532:
	v_add_f32_e32 v21, 0, v86
	v_add_f32_e32 v22, 0, v54
	v_ashrrev_i32_e32 v24, 31, v21
	v_ashrrev_i32_e32 v25, 31, v22
	v_or_b32_e32 v24, 0x80000000, v24
	v_or_b32_e32 v25, 0x80000000, v25
	v_xor_b32_e32 v21, v24, v21
	v_xor_b32_e32 v22, v25, v22
	v_cmp_le_u32_e64 s8, v21, v22
	s_and_b32 s27, s8, exec_lo
.LBB1438_533:
	s_or_b32 exec_lo, exec_lo, s25
	s_orn2_b32 s25, s27, exec_lo
.LBB1438_534:
	s_or_b32 exec_lo, exec_lo, s26
	v_cndmask_b32_e64 v21, v15, v23, s25
	v_cndmask_b32_e64 v22, v103, v102, s25
	s_mov_b32 s27, -1
	s_mov_b32 s26, -1
	s_mov_b32 s28, exec_lo
	v_add_nc_u32_e32 v24, 1, v21
	v_add_nc_u32_e32 v22, -1, v22
	v_lshl_add_u32 v21, v21, 3, v82
	v_cndmask_b32_e64 v15, v24, v15, s25
	v_min_u32_e32 v22, v24, v22
	v_cndmask_b32_e64 v25, v23, v24, s25
	v_lshl_add_u32 v22, v22, 2, v31
	ds_read_b32 v26, v22
	ds_read_b64 v[21:22], v21 offset:16384
	s_waitcnt lgkmcnt(1)
	v_cndmask_b32_e64 v55, v26, v54, s25
	v_cndmask_b32_e64 v87, v86, v26, s25
	v_cmpx_lt_u32_e64 v15, v103
	s_cbranch_execz .LBB1438_538
; %bb.535:
	s_mov_b32 s29, 0
	s_mov_b32 s26, exec_lo
	v_cmpx_lt_u32_e64 v25, v102
	s_cbranch_execz .LBB1438_537
; %bb.536:
	v_add_f32_e32 v23, 0, v87
	v_add_f32_e32 v24, 0, v55
	v_ashrrev_i32_e32 v26, 31, v23
	v_ashrrev_i32_e32 v27, 31, v24
	v_or_b32_e32 v26, 0x80000000, v26
	v_or_b32_e32 v27, 0x80000000, v27
	v_xor_b32_e32 v23, v26, v23
	v_xor_b32_e32 v24, v27, v24
	v_cmp_le_u32_e64 s8, v23, v24
	s_and_b32 s29, s8, exec_lo
.LBB1438_537:
	s_or_b32 exec_lo, exec_lo, s26
	s_orn2_b32 s26, s29, exec_lo
.LBB1438_538:
	s_or_b32 exec_lo, exec_lo, s28
	v_cndmask_b32_e64 v23, v15, v25, s26
	v_cndmask_b32_e64 v24, v103, v102, s26
	s_mov_b32 s28, exec_lo
	v_add_nc_u32_e32 v26, 1, v23
	v_add_nc_u32_e32 v24, -1, v24
	v_lshl_add_u32 v23, v23, 3, v82
	v_cndmask_b32_e64 v15, v26, v15, s26
	v_min_u32_e32 v24, v26, v24
	v_cndmask_b32_e64 v27, v25, v26, s26
	v_lshl_add_u32 v24, v24, 2, v31
	ds_read_b32 v28, v24
	ds_read_b64 v[23:24], v23 offset:16384
	s_waitcnt lgkmcnt(1)
	v_cndmask_b32_e64 v64, v28, v55, s26
	v_cndmask_b32_e64 v96, v87, v28, s26
	v_cmpx_lt_u32_e64 v15, v103
	s_cbranch_execz .LBB1438_542
; %bb.539:
	s_mov_b32 s29, 0
	s_mov_b32 s27, exec_lo
	v_cmpx_lt_u32_e64 v27, v102
	s_cbranch_execz .LBB1438_541
; %bb.540:
	v_add_f32_e32 v25, 0, v96
	v_add_f32_e32 v26, 0, v64
	v_ashrrev_i32_e32 v28, 31, v25
	v_ashrrev_i32_e32 v29, 31, v26
	v_or_b32_e32 v28, 0x80000000, v28
	v_or_b32_e32 v29, 0x80000000, v29
	v_xor_b32_e32 v25, v28, v25
	v_xor_b32_e32 v26, v29, v26
	v_cmp_le_u32_e64 s8, v25, v26
	s_and_b32 s29, s8, exec_lo
.LBB1438_541:
	s_or_b32 exec_lo, exec_lo, s27
	s_orn2_b32 s27, s29, exec_lo
.LBB1438_542:
	s_or_b32 exec_lo, exec_lo, s28
	v_cndmask_b32_e64 v25, v15, v27, s27
	v_cndmask_b32_e64 v26, v103, v102, s27
	s_mov_b32 s29, -1
	s_mov_b32 s28, -1
	s_mov_b32 s40, exec_lo
	v_add_nc_u32_e32 v28, 1, v25
	v_add_nc_u32_e32 v26, -1, v26
	v_lshl_add_u32 v25, v25, 3, v82
	v_cndmask_b32_e64 v15, v28, v15, s27
	v_min_u32_e32 v26, v28, v26
	v_cndmask_b32_e64 v29, v27, v28, s27
	v_lshl_add_u32 v26, v26, 2, v31
	ds_read_b32 v30, v26
	ds_read_b64 v[25:26], v25 offset:16384
	s_waitcnt lgkmcnt(1)
	v_cndmask_b32_e64 v65, v30, v64, s27
	v_cndmask_b32_e64 v97, v96, v30, s27
	v_cmpx_lt_u32_e64 v15, v103
	s_cbranch_execz .LBB1438_546
; %bb.543:
	s_mov_b32 s41, 0
	s_mov_b32 s28, exec_lo
	v_cmpx_lt_u32_e64 v29, v102
	s_cbranch_execz .LBB1438_545
; %bb.544:
	v_add_f32_e32 v27, 0, v97
	v_add_f32_e32 v28, 0, v65
	v_ashrrev_i32_e32 v30, 31, v27
	v_ashrrev_i32_e32 v32, 31, v28
	v_or_b32_e32 v30, 0x80000000, v30
	v_or_b32_e32 v32, 0x80000000, v32
	v_xor_b32_e32 v27, v30, v27
	v_xor_b32_e32 v28, v32, v28
	v_cmp_le_u32_e64 s8, v27, v28
	s_and_b32 s41, s8, exec_lo
.LBB1438_545:
	s_or_b32 exec_lo, exec_lo, s28
	s_orn2_b32 s28, s41, exec_lo
.LBB1438_546:
	s_or_b32 exec_lo, exec_lo, s40
	v_cndmask_b32_e64 v27, v15, v29, s28
	v_cndmask_b32_e64 v28, v103, v102, s28
	s_mov_b32 s40, exec_lo
	v_add_nc_u32_e32 v30, 1, v27
	v_add_nc_u32_e32 v28, -1, v28
	v_lshl_add_u32 v27, v27, 3, v82
	v_cndmask_b32_e64 v15, v30, v15, s28
	v_min_u32_e32 v28, v30, v28
	v_cndmask_b32_e64 v32, v29, v30, s28
	v_lshl_add_u32 v28, v28, 2, v31
	ds_read_b32 v33, v28
	ds_read_b64 v[27:28], v27 offset:16384
	s_waitcnt lgkmcnt(1)
	v_cndmask_b32_e64 v66, v33, v65, s28
	v_cndmask_b32_e64 v98, v97, v33, s28
	v_cmpx_lt_u32_e64 v15, v103
	s_cbranch_execz .LBB1438_550
; %bb.547:
	s_mov_b32 s41, 0
	s_mov_b32 s29, exec_lo
	v_cmpx_lt_u32_e64 v32, v102
	s_cbranch_execz .LBB1438_549
; %bb.548:
	v_add_f32_e32 v29, 0, v98
	v_add_f32_e32 v30, 0, v66
	v_ashrrev_i32_e32 v33, 31, v29
	v_ashrrev_i32_e32 v34, 31, v30
	v_or_b32_e32 v33, 0x80000000, v33
	v_or_b32_e32 v34, 0x80000000, v34
	v_xor_b32_e32 v29, v33, v29
	v_xor_b32_e32 v30, v34, v30
	v_cmp_le_u32_e64 s8, v29, v30
	s_and_b32 s41, s8, exec_lo
.LBB1438_549:
	s_or_b32 exec_lo, exec_lo, s29
	s_orn2_b32 s29, s41, exec_lo
.LBB1438_550:
	s_or_b32 exec_lo, exec_lo, s40
	v_cndmask_b32_e64 v29, v15, v32, s29
	v_cndmask_b32_e64 v30, v103, v102, s29
	s_mov_b32 s41, -1
	s_mov_b32 s40, -1
	s_mov_b32 s42, exec_lo
	v_add_nc_u32_e32 v33, 1, v29
	v_add_nc_u32_e32 v30, -1, v30
	v_lshl_add_u32 v29, v29, 3, v82
	v_cndmask_b32_e64 v15, v33, v15, s29
	v_min_u32_e32 v30, v33, v30
	v_cndmask_b32_e64 v34, v32, v33, s29
	v_lshl_add_u32 v30, v30, 2, v31
	ds_read_b32 v35, v30
	ds_read_b64 v[29:30], v29 offset:16384
	s_waitcnt lgkmcnt(1)
	v_cndmask_b32_e64 v67, v35, v66, s29
	v_cndmask_b32_e64 v99, v98, v35, s29
	v_cmpx_lt_u32_e64 v15, v103
	s_cbranch_execz .LBB1438_554
; %bb.551:
	s_mov_b32 s43, 0
	s_mov_b32 s40, exec_lo
	v_cmpx_lt_u32_e64 v34, v102
	s_cbranch_execz .LBB1438_553
; %bb.552:
	v_add_f32_e32 v32, 0, v99
	v_add_f32_e32 v33, 0, v67
	v_ashrrev_i32_e32 v35, 31, v32
	v_ashrrev_i32_e32 v36, 31, v33
	v_or_b32_e32 v35, 0x80000000, v35
	v_or_b32_e32 v36, 0x80000000, v36
	v_xor_b32_e32 v32, v35, v32
	v_xor_b32_e32 v33, v36, v33
	v_cmp_le_u32_e64 s8, v32, v33
	s_and_b32 s43, s8, exec_lo
.LBB1438_553:
	s_or_b32 exec_lo, exec_lo, s40
	s_orn2_b32 s40, s43, exec_lo
.LBB1438_554:
	s_or_b32 exec_lo, exec_lo, s42
	v_cndmask_b32_e64 v32, v15, v34, s40
	v_cndmask_b32_e64 v33, v103, v102, s40
	s_mov_b32 s42, exec_lo
	v_add_nc_u32_e32 v35, 1, v32
	v_add_nc_u32_e32 v33, -1, v33
	v_lshl_add_u32 v32, v32, 3, v82
	v_cndmask_b32_e64 v15, v35, v15, s40
	v_min_u32_e32 v33, v35, v33
	v_cndmask_b32_e64 v36, v34, v35, s40
	v_lshl_add_u32 v33, v33, 2, v31
	ds_read_b32 v37, v33
	ds_read_b64 v[32:33], v32 offset:16384
	s_waitcnt lgkmcnt(1)
	v_cndmask_b32_e64 v70, v37, v67, s40
	v_cndmask_b32_e64 v101, v99, v37, s40
	v_cmpx_lt_u32_e64 v15, v103
	s_cbranch_execz .LBB1438_558
; %bb.555:
	s_mov_b32 s43, 0
	s_mov_b32 s41, exec_lo
	v_cmpx_lt_u32_e64 v36, v102
	s_cbranch_execz .LBB1438_557
; %bb.556:
	v_add_f32_e32 v34, 0, v101
	v_add_f32_e32 v35, 0, v70
	v_ashrrev_i32_e32 v37, 31, v34
	v_ashrrev_i32_e32 v38, 31, v35
	v_or_b32_e32 v37, 0x80000000, v37
	v_or_b32_e32 v38, 0x80000000, v38
	v_xor_b32_e32 v34, v37, v34
	v_xor_b32_e32 v35, v38, v35
	v_cmp_le_u32_e64 s8, v34, v35
	s_and_b32 s43, s8, exec_lo
.LBB1438_557:
	s_or_b32 exec_lo, exec_lo, s41
	s_orn2_b32 s41, s43, exec_lo
.LBB1438_558:
	s_or_b32 exec_lo, exec_lo, s42
	v_cndmask_b32_e64 v34, v15, v36, s41
	v_cndmask_b32_e64 v35, v103, v102, s41
	s_mov_b32 s43, -1
	s_mov_b32 s42, -1
	s_mov_b32 s44, exec_lo
	v_add_nc_u32_e32 v37, 1, v34
	v_add_nc_u32_e32 v35, -1, v35
	v_lshl_add_u32 v34, v34, 3, v82
	v_cndmask_b32_e64 v15, v37, v15, s41
	v_min_u32_e32 v35, v37, v35
	v_cndmask_b32_e64 v38, v36, v37, s41
	v_lshl_add_u32 v35, v35, 2, v31
	ds_read_b32 v39, v35
	ds_read_b64 v[34:35], v34 offset:16384
	s_waitcnt lgkmcnt(1)
	v_cndmask_b32_e64 v71, v39, v70, s41
	v_cndmask_b32_e64 v112, v101, v39, s41
	v_cmpx_lt_u32_e64 v15, v103
	s_cbranch_execz .LBB1438_562
; %bb.559:
	s_mov_b32 s45, 0
	s_mov_b32 s42, exec_lo
	v_cmpx_lt_u32_e64 v38, v102
	s_cbranch_execz .LBB1438_561
; %bb.560:
	v_add_f32_e32 v36, 0, v112
	v_add_f32_e32 v37, 0, v71
	v_ashrrev_i32_e32 v39, 31, v36
	v_ashrrev_i32_e32 v48, 31, v37
	v_or_b32_e32 v39, 0x80000000, v39
	v_or_b32_e32 v48, 0x80000000, v48
	v_xor_b32_e32 v36, v39, v36
	v_xor_b32_e32 v37, v48, v37
	v_cmp_le_u32_e64 s8, v36, v37
	s_and_b32 s45, s8, exec_lo
.LBB1438_561:
	s_or_b32 exec_lo, exec_lo, s42
	s_orn2_b32 s42, s45, exec_lo
.LBB1438_562:
	s_or_b32 exec_lo, exec_lo, s44
	v_cndmask_b32_e64 v36, v15, v38, s42
	v_cndmask_b32_e64 v37, v103, v102, s42
	s_mov_b32 s44, exec_lo
	v_add_nc_u32_e32 v39, 1, v36
	v_add_nc_u32_e32 v37, -1, v37
	v_lshl_add_u32 v36, v36, 3, v82
	v_cndmask_b32_e64 v15, v39, v15, s42
	v_min_u32_e32 v37, v39, v37
	v_cndmask_b32_e64 v38, v38, v39, s42
	v_lshl_add_u32 v37, v37, 2, v31
	ds_read_b32 v48, v37
	ds_read_b64 v[36:37], v36 offset:16384
	s_waitcnt lgkmcnt(1)
	v_cndmask_b32_e64 v50, v48, v71, s42
	v_cndmask_b32_e64 v113, v112, v48, s42
	v_cmpx_lt_u32_e64 v15, v103
	s_cbranch_execz .LBB1438_566
; %bb.563:
	s_mov_b32 s45, 0
	s_mov_b32 s43, exec_lo
	v_cmpx_lt_u32_e64 v38, v102
	s_cbranch_execz .LBB1438_565
; %bb.564:
	v_add_f32_e32 v39, 0, v113
	v_add_f32_e32 v48, 0, v50
	v_ashrrev_i32_e32 v49, 31, v39
	v_ashrrev_i32_e32 v51, 31, v48
	v_or_b32_e32 v49, 0x80000000, v49
	v_or_b32_e32 v51, 0x80000000, v51
	v_xor_b32_e32 v39, v49, v39
	v_xor_b32_e32 v48, v51, v48
	v_cmp_le_u32_e64 s8, v39, v48
	s_and_b32 s45, s8, exec_lo
.LBB1438_565:
	s_or_b32 exec_lo, exec_lo, s43
	s_orn2_b32 s43, s45, exec_lo
.LBB1438_566:
	s_or_b32 exec_lo, exec_lo, s44
	v_cndmask_b32_e64 v39, v15, v38, s43
	v_cndmask_b32_e64 v48, v103, v102, s43
	s_mov_b32 s45, -1
	s_mov_b32 s44, -1
	s_mov_b32 s46, exec_lo
	v_add_nc_u32_e32 v51, 1, v39
	v_add_nc_u32_e32 v48, -1, v48
	v_lshl_add_u32 v39, v39, 3, v82
	v_cndmask_b32_e64 v15, v51, v15, s43
	v_min_u32_e32 v48, v51, v48
	v_cndmask_b32_e64 v38, v38, v51, s43
	v_lshl_add_u32 v48, v48, 2, v31
	ds_read_b32 v68, v48
	ds_read_b64 v[48:49], v39 offset:16384
	s_waitcnt lgkmcnt(1)
	v_cndmask_b32_e64 v51, v68, v50, s43
	v_cndmask_b32_e64 v114, v113, v68, s43
	v_cmpx_lt_u32_e64 v15, v103
	s_cbranch_execz .LBB1438_570
; %bb.567:
	s_mov_b32 s47, 0
	s_mov_b32 s44, exec_lo
	v_cmpx_lt_u32_e64 v38, v102
	s_cbranch_execz .LBB1438_569
; %bb.568:
	v_add_f32_e32 v39, 0, v114
	v_add_f32_e32 v68, 0, v51
	v_ashrrev_i32_e32 v69, 31, v39
	v_ashrrev_i32_e32 v80, 31, v68
	v_or_b32_e32 v69, 0x80000000, v69
	v_or_b32_e32 v80, 0x80000000, v80
	v_xor_b32_e32 v39, v69, v39
	v_xor_b32_e32 v68, v80, v68
	v_cmp_le_u32_e64 s8, v39, v68
	s_and_b32 s47, s8, exec_lo
.LBB1438_569:
	s_or_b32 exec_lo, exec_lo, s44
	s_orn2_b32 s44, s47, exec_lo
.LBB1438_570:
	s_or_b32 exec_lo, exec_lo, s46
	v_cndmask_b32_e64 v39, v15, v38, s44
	v_cndmask_b32_e64 v68, v103, v102, s44
	s_mov_b32 s46, exec_lo
	v_add_nc_u32_e32 v80, 1, v39
	v_add_nc_u32_e32 v68, -1, v68
	v_lshl_add_u32 v39, v39, 3, v82
	v_cndmask_b32_e64 v81, v80, v15, s44
	v_min_u32_e32 v68, v80, v68
	v_cndmask_b32_e64 v115, v38, v80, s44
	v_lshl_add_u32 v68, v68, 2, v31
	ds_read_b32 v116, v68
	ds_read_b64 v[68:69], v39 offset:16384
	s_waitcnt lgkmcnt(1)
	v_cndmask_b32_e64 v15, v116, v51, s44
	v_cndmask_b32_e64 v80, v114, v116, s44
	v_cmpx_lt_u32_e64 v81, v103
	s_cbranch_execz .LBB1438_574
; %bb.571:
	s_mov_b32 s47, 0
	s_mov_b32 s45, exec_lo
	v_cmpx_lt_u32_e64 v115, v102
	s_cbranch_execz .LBB1438_573
; %bb.572:
	v_add_f32_e32 v38, 0, v80
	v_add_f32_e32 v39, 0, v15
	v_ashrrev_i32_e32 v116, 31, v38
	v_ashrrev_i32_e32 v117, 31, v39
	v_or_b32_e32 v116, 0x80000000, v116
	v_or_b32_e32 v117, 0x80000000, v117
	v_xor_b32_e32 v38, v116, v38
	v_xor_b32_e32 v39, v117, v39
	v_cmp_le_u32_e64 s8, v38, v39
	s_and_b32 s47, s8, exec_lo
.LBB1438_573:
	s_or_b32 exec_lo, exec_lo, s45
	s_orn2_b32 s45, s47, exec_lo
.LBB1438_574:
	s_or_b32 exec_lo, exec_lo, s46
	v_cndmask_b32_e64 v38, v81, v115, s45
	v_cndmask_b32_e64 v39, v103, v102, s45
	s_mov_b32 s46, -1
	s_mov_b32 s47, exec_lo
	v_add_nc_u32_e32 v116, 1, v38
	v_add_nc_u32_e32 v39, -1, v39
	v_cndmask_b32_e64 v81, v116, v81, s45
	v_min_u32_e32 v39, v116, v39
	v_cndmask_b32_e64 v116, v115, v116, s45
	v_lshl_add_u32 v31, v39, 2, v31
	ds_read_b32 v117, v31
	v_lshl_add_u32 v31, v38, 3, v82
	ds_read_b64 v[38:39], v31 offset:16384
	s_waitcnt lgkmcnt(1)
	v_cndmask_b32_e64 v31, v117, v15, s45
	v_cndmask_b32_e64 v115, v80, v117, s45
	v_cmpx_lt_u32_e64 v81, v103
	s_cbranch_execz .LBB1438_578
; %bb.575:
	s_mov_b32 s56, 0
	s_mov_b32 s46, exec_lo
	v_cmpx_lt_u32_e64 v116, v102
	s_cbranch_execz .LBB1438_577
; %bb.576:
	v_add_f32_e32 v102, 0, v115
	v_add_f32_e32 v103, 0, v31
	v_ashrrev_i32_e32 v117, 31, v102
	v_ashrrev_i32_e32 v118, 31, v103
	v_or_b32_e32 v117, 0x80000000, v117
	v_or_b32_e32 v118, 0x80000000, v118
	v_xor_b32_e32 v102, v117, v102
	v_xor_b32_e32 v103, v118, v103
	v_cmp_le_u32_e64 s8, v102, v103
	s_and_b32 s56, s8, exec_lo
.LBB1438_577:
	s_or_b32 exec_lo, exec_lo, s46
	s_orn2_b32 s46, s56, exec_lo
.LBB1438_578:
	s_or_b32 exec_lo, exec_lo, s47
	v_cndmask_b32_e64 v81, v81, v116, s46
	v_cndmask_b32_e64 v15, v15, v80, s45
	;; [unrolled: 1-line block ×5, first 2 shown]
	v_lshl_add_u32 v81, v81, 3, v82
	v_cndmask_b32_e64 v70, v70, v101, s41
	v_cndmask_b32_e64 v67, v67, v99, s40
	;; [unrolled: 1-line block ×4, first 2 shown]
	ds_read_b64 v[80:81], v81 offset:16384
	v_cndmask_b32_e64 v64, v64, v96, s27
	v_cndmask_b32_e64 v55, v55, v87, s26
	;; [unrolled: 1-line block ×8, first 2 shown]
.LBB1438_579:
	s_or_b32 exec_lo, exec_lo, s12
	v_add_co_u32 v2, s8, v2, v11
	v_add_co_ci_u32_e64 v3, null, v3, v12, s8
	v_add_co_u32 v2, s8, v2, v100
	v_add_co_ci_u32_e64 v3, null, 0, v3, s8
	; wave barrier
	s_waitcnt lgkmcnt(0)
	s_waitcnt_vscnt null, 0x0
	s_barrier
	buffer_gl0_inv
	; wave barrier
	s_and_saveexec_b32 s8, vcc_lo
	s_cbranch_execnz .LBB1438_628
; %bb.580:
	s_or_b32 exec_lo, exec_lo, s8
	s_and_saveexec_b32 s8, s4
	s_cbranch_execnz .LBB1438_629
.LBB1438_581:
	s_or_b32 exec_lo, exec_lo, s8
	s_and_saveexec_b32 s8, s5
	s_cbranch_execnz .LBB1438_630
.LBB1438_582:
	s_or_b32 exec_lo, exec_lo, s8
	s_and_saveexec_b32 s8, s6
	s_cbranch_execnz .LBB1438_631
.LBB1438_583:
	s_or_b32 exec_lo, exec_lo, s8
	s_and_saveexec_b32 s8, s7
	s_cbranch_execnz .LBB1438_632
.LBB1438_584:
	s_or_b32 exec_lo, exec_lo, s8
	s_and_saveexec_b32 s8, s10
	s_cbranch_execnz .LBB1438_633
.LBB1438_585:
	s_or_b32 exec_lo, exec_lo, s8
	s_and_saveexec_b32 s8, s11
	s_cbranch_execnz .LBB1438_634
.LBB1438_586:
	s_or_b32 exec_lo, exec_lo, s8
	s_and_saveexec_b32 s8, s21
	s_cbranch_execnz .LBB1438_635
.LBB1438_587:
	s_or_b32 exec_lo, exec_lo, s8
	s_and_saveexec_b32 s8, s22
	s_cbranch_execnz .LBB1438_636
.LBB1438_588:
	s_or_b32 exec_lo, exec_lo, s8
	s_and_saveexec_b32 s8, s14
	s_cbranch_execnz .LBB1438_637
.LBB1438_589:
	s_or_b32 exec_lo, exec_lo, s8
	s_and_saveexec_b32 s8, s15
	s_cbranch_execnz .LBB1438_638
.LBB1438_590:
	s_or_b32 exec_lo, exec_lo, s8
	s_and_saveexec_b32 s8, s16
	s_cbranch_execnz .LBB1438_639
.LBB1438_591:
	s_or_b32 exec_lo, exec_lo, s8
	s_and_saveexec_b32 s8, s17
	s_cbranch_execnz .LBB1438_640
.LBB1438_592:
	s_or_b32 exec_lo, exec_lo, s8
	s_and_saveexec_b32 s8, s18
	s_cbranch_execnz .LBB1438_641
.LBB1438_593:
	s_or_b32 exec_lo, exec_lo, s8
	s_and_saveexec_b32 s8, s19
	s_cbranch_execnz .LBB1438_642
.LBB1438_594:
	s_or_b32 exec_lo, exec_lo, s8
	s_and_saveexec_b32 s8, s20
	s_cbranch_execz .LBB1438_596
.LBB1438_595:
	flat_store_dword v[2:3], v16 offset:60
.LBB1438_596:
	s_or_b32 exec_lo, exec_lo, s8
	v_add_co_u32 v0, s8, v6, v0
	v_add_co_ci_u32_e64 v1, null, v7, v1, s8
	v_add_co_u32 v0, s8, v0, v10
	v_add_co_ci_u32_e64 v1, null, 0, v1, s8
	; wave barrier
	s_and_saveexec_b32 s8, vcc_lo
	s_cbranch_execnz .LBB1438_643
; %bb.597:
	s_or_b32 exec_lo, exec_lo, s8
	s_and_saveexec_b32 s8, s4
	s_cbranch_execnz .LBB1438_644
.LBB1438_598:
	s_or_b32 exec_lo, exec_lo, s8
	s_and_saveexec_b32 s4, s5
	s_cbranch_execnz .LBB1438_645
.LBB1438_599:
	s_or_b32 exec_lo, exec_lo, s4
	s_and_saveexec_b32 s4, s6
	s_cbranch_execnz .LBB1438_646
.LBB1438_600:
	s_or_b32 exec_lo, exec_lo, s4
	s_and_saveexec_b32 s4, s7
	s_cbranch_execnz .LBB1438_647
.LBB1438_601:
	s_or_b32 exec_lo, exec_lo, s4
	s_and_saveexec_b32 s4, s10
	s_cbranch_execnz .LBB1438_648
.LBB1438_602:
	s_or_b32 exec_lo, exec_lo, s4
	s_and_saveexec_b32 s4, s11
	s_cbranch_execnz .LBB1438_649
.LBB1438_603:
	s_or_b32 exec_lo, exec_lo, s4
	s_and_saveexec_b32 s4, s21
	s_cbranch_execnz .LBB1438_650
.LBB1438_604:
	s_or_b32 exec_lo, exec_lo, s4
	s_and_saveexec_b32 s4, s22
	s_cbranch_execnz .LBB1438_651
.LBB1438_605:
	s_or_b32 exec_lo, exec_lo, s4
	s_and_saveexec_b32 s4, s14
	s_cbranch_execnz .LBB1438_652
.LBB1438_606:
	s_or_b32 exec_lo, exec_lo, s4
	s_and_saveexec_b32 s4, s15
	s_cbranch_execnz .LBB1438_653
.LBB1438_607:
	s_or_b32 exec_lo, exec_lo, s4
	s_and_saveexec_b32 s4, s16
	s_cbranch_execnz .LBB1438_654
.LBB1438_608:
	s_or_b32 exec_lo, exec_lo, s4
	s_and_saveexec_b32 s4, s17
	s_cbranch_execnz .LBB1438_655
.LBB1438_609:
	s_or_b32 exec_lo, exec_lo, s4
	s_and_saveexec_b32 s4, s18
	s_cbranch_execnz .LBB1438_656
.LBB1438_610:
	s_or_b32 exec_lo, exec_lo, s4
	s_and_saveexec_b32 s4, s19
	s_cbranch_execnz .LBB1438_657
.LBB1438_611:
	s_or_b32 exec_lo, exec_lo, s4
	s_and_saveexec_b32 s4, s20
	s_cbranch_execnz .LBB1438_658
.LBB1438_612:
	s_or_b32 exec_lo, exec_lo, s4
	s_waitcnt lgkmcnt(0)
	s_setpc_b64 s[30:31]
.LBB1438_613:
	flat_load_dwordx2 v[4:5], v[82:83]
	s_or_b32 exec_lo, exec_lo, s23
	s_and_saveexec_b32 s23, s4
                                        ; implicit-def: $vgpr8_vgpr9
	s_cbranch_execz .LBB1438_34
.LBB1438_614:
	flat_load_dwordx2 v[8:9], v[82:83] offset:8
	s_or_b32 exec_lo, exec_lo, s23
                                        ; implicit-def: $vgpr17_vgpr18
	s_and_saveexec_b32 s23, s5
	s_cbranch_execz .LBB1438_35
.LBB1438_615:
	flat_load_dwordx2 v[17:18], v[82:83] offset:16
	s_or_b32 exec_lo, exec_lo, s23
	s_and_saveexec_b32 s23, s6
                                        ; implicit-def: $vgpr19_vgpr20
	s_cbranch_execz .LBB1438_36
.LBB1438_616:
	flat_load_dwordx2 v[19:20], v[82:83] offset:24
	s_or_b32 exec_lo, exec_lo, s23
                                        ; implicit-def: $vgpr21_vgpr22
	s_and_saveexec_b32 s23, s7
	s_cbranch_execz .LBB1438_37
.LBB1438_617:
	flat_load_dwordx2 v[21:22], v[82:83] offset:32
	s_or_b32 exec_lo, exec_lo, s23
	s_and_saveexec_b32 s23, s10
                                        ; implicit-def: $vgpr23_vgpr24
	s_cbranch_execz .LBB1438_38
.LBB1438_618:
	flat_load_dwordx2 v[23:24], v[82:83] offset:40
	s_or_b32 exec_lo, exec_lo, s23
                                        ; implicit-def: $vgpr25_vgpr26
	s_and_saveexec_b32 s23, s11
	s_cbranch_execz .LBB1438_39
.LBB1438_619:
	flat_load_dwordx2 v[25:26], v[82:83] offset:48
	s_or_b32 exec_lo, exec_lo, s23
	s_and_saveexec_b32 s23, s21
                                        ; implicit-def: $vgpr27_vgpr28
	s_cbranch_execz .LBB1438_40
.LBB1438_620:
	flat_load_dwordx2 v[27:28], v[82:83] offset:56
	s_or_b32 exec_lo, exec_lo, s23
                                        ; implicit-def: $vgpr29_vgpr30
	s_and_saveexec_b32 s23, s22
	s_cbranch_execz .LBB1438_41
.LBB1438_621:
	flat_load_dwordx2 v[29:30], v[82:83] offset:64
	s_or_b32 exec_lo, exec_lo, s23
	s_and_saveexec_b32 s23, s14
                                        ; implicit-def: $vgpr32_vgpr33
	s_cbranch_execz .LBB1438_42
.LBB1438_622:
	flat_load_dwordx2 v[32:33], v[82:83] offset:72
	s_or_b32 exec_lo, exec_lo, s23
                                        ; implicit-def: $vgpr34_vgpr35
	s_and_saveexec_b32 s23, s15
	s_cbranch_execz .LBB1438_43
.LBB1438_623:
	flat_load_dwordx2 v[34:35], v[82:83] offset:80
	s_or_b32 exec_lo, exec_lo, s23
	s_and_saveexec_b32 s23, s16
                                        ; implicit-def: $vgpr36_vgpr37
	s_cbranch_execz .LBB1438_44
.LBB1438_624:
	flat_load_dwordx2 v[36:37], v[82:83] offset:88
	s_or_b32 exec_lo, exec_lo, s23
                                        ; implicit-def: $vgpr48_vgpr49
	s_and_saveexec_b32 s23, s17
	s_cbranch_execz .LBB1438_45
.LBB1438_625:
	flat_load_dwordx2 v[48:49], v[82:83] offset:96
	s_or_b32 exec_lo, exec_lo, s23
	s_and_saveexec_b32 s23, s18
                                        ; implicit-def: $vgpr68_vgpr69
	s_cbranch_execz .LBB1438_46
.LBB1438_626:
	flat_load_dwordx2 v[68:69], v[82:83] offset:104
	s_or_b32 exec_lo, exec_lo, s23
                                        ; implicit-def: $vgpr38_vgpr39
	s_and_saveexec_b32 s23, s19
	s_cbranch_execz .LBB1438_47
.LBB1438_627:
	flat_load_dwordx2 v[38:39], v[82:83] offset:112
	s_or_b32 exec_lo, exec_lo, s23
	s_and_saveexec_b32 s23, s20
                                        ; implicit-def: $vgpr80_vgpr81
	s_cbranch_execnz .LBB1438_48
	s_branch .LBB1438_49
.LBB1438_628:
	flat_store_dword v[2:3], v13
	s_or_b32 exec_lo, exec_lo, s8
	s_and_saveexec_b32 s8, s4
	s_cbranch_execz .LBB1438_581
.LBB1438_629:
	flat_store_dword v[2:3], v14 offset:4
	s_or_b32 exec_lo, exec_lo, s8
	s_and_saveexec_b32 s8, s5
	s_cbranch_execz .LBB1438_582
.LBB1438_630:
	flat_store_dword v[2:3], v52 offset:8
	s_or_b32 exec_lo, exec_lo, s8
	s_and_saveexec_b32 s8, s6
	s_cbranch_execz .LBB1438_583
.LBB1438_631:
	flat_store_dword v[2:3], v53 offset:12
	s_or_b32 exec_lo, exec_lo, s8
	s_and_saveexec_b32 s8, s7
	s_cbranch_execz .LBB1438_584
.LBB1438_632:
	flat_store_dword v[2:3], v54 offset:16
	s_or_b32 exec_lo, exec_lo, s8
	s_and_saveexec_b32 s8, s10
	s_cbranch_execz .LBB1438_585
.LBB1438_633:
	flat_store_dword v[2:3], v55 offset:20
	s_or_b32 exec_lo, exec_lo, s8
	s_and_saveexec_b32 s8, s11
	s_cbranch_execz .LBB1438_586
.LBB1438_634:
	flat_store_dword v[2:3], v64 offset:24
	s_or_b32 exec_lo, exec_lo, s8
	s_and_saveexec_b32 s8, s21
	s_cbranch_execz .LBB1438_587
.LBB1438_635:
	flat_store_dword v[2:3], v65 offset:28
	s_or_b32 exec_lo, exec_lo, s8
	s_and_saveexec_b32 s8, s22
	s_cbranch_execz .LBB1438_588
.LBB1438_636:
	flat_store_dword v[2:3], v66 offset:32
	s_or_b32 exec_lo, exec_lo, s8
	s_and_saveexec_b32 s8, s14
	s_cbranch_execz .LBB1438_589
.LBB1438_637:
	flat_store_dword v[2:3], v67 offset:36
	s_or_b32 exec_lo, exec_lo, s8
	s_and_saveexec_b32 s8, s15
	s_cbranch_execz .LBB1438_590
.LBB1438_638:
	flat_store_dword v[2:3], v70 offset:40
	s_or_b32 exec_lo, exec_lo, s8
	s_and_saveexec_b32 s8, s16
	s_cbranch_execz .LBB1438_591
.LBB1438_639:
	flat_store_dword v[2:3], v71 offset:44
	s_or_b32 exec_lo, exec_lo, s8
	s_and_saveexec_b32 s8, s17
	s_cbranch_execz .LBB1438_592
.LBB1438_640:
	flat_store_dword v[2:3], v50 offset:48
	s_or_b32 exec_lo, exec_lo, s8
	s_and_saveexec_b32 s8, s18
	s_cbranch_execz .LBB1438_593
.LBB1438_641:
	flat_store_dword v[2:3], v51 offset:52
	s_or_b32 exec_lo, exec_lo, s8
	s_and_saveexec_b32 s8, s19
	s_cbranch_execz .LBB1438_594
.LBB1438_642:
	flat_store_dword v[2:3], v15 offset:56
	s_or_b32 exec_lo, exec_lo, s8
	s_and_saveexec_b32 s8, s20
	s_cbranch_execnz .LBB1438_595
	s_branch .LBB1438_596
.LBB1438_643:
	flat_store_dwordx2 v[0:1], v[4:5]
	s_or_b32 exec_lo, exec_lo, s8
	s_and_saveexec_b32 s8, s4
	s_cbranch_execz .LBB1438_598
.LBB1438_644:
	flat_store_dwordx2 v[0:1], v[8:9] offset:8
	s_or_b32 exec_lo, exec_lo, s8
	s_and_saveexec_b32 s4, s5
	s_cbranch_execz .LBB1438_599
.LBB1438_645:
	flat_store_dwordx2 v[0:1], v[17:18] offset:16
	s_or_b32 exec_lo, exec_lo, s4
	s_and_saveexec_b32 s4, s6
	s_cbranch_execz .LBB1438_600
.LBB1438_646:
	flat_store_dwordx2 v[0:1], v[19:20] offset:24
	s_or_b32 exec_lo, exec_lo, s4
	s_and_saveexec_b32 s4, s7
	s_cbranch_execz .LBB1438_601
.LBB1438_647:
	flat_store_dwordx2 v[0:1], v[21:22] offset:32
	s_or_b32 exec_lo, exec_lo, s4
	s_and_saveexec_b32 s4, s10
	s_cbranch_execz .LBB1438_602
.LBB1438_648:
	flat_store_dwordx2 v[0:1], v[23:24] offset:40
	s_or_b32 exec_lo, exec_lo, s4
	s_and_saveexec_b32 s4, s11
	s_cbranch_execz .LBB1438_603
.LBB1438_649:
	flat_store_dwordx2 v[0:1], v[25:26] offset:48
	s_or_b32 exec_lo, exec_lo, s4
	s_and_saveexec_b32 s4, s21
	s_cbranch_execz .LBB1438_604
.LBB1438_650:
	flat_store_dwordx2 v[0:1], v[27:28] offset:56
	s_or_b32 exec_lo, exec_lo, s4
	s_and_saveexec_b32 s4, s22
	s_cbranch_execz .LBB1438_605
.LBB1438_651:
	flat_store_dwordx2 v[0:1], v[29:30] offset:64
	s_or_b32 exec_lo, exec_lo, s4
	s_and_saveexec_b32 s4, s14
	s_cbranch_execz .LBB1438_606
.LBB1438_652:
	flat_store_dwordx2 v[0:1], v[32:33] offset:72
	s_or_b32 exec_lo, exec_lo, s4
	s_and_saveexec_b32 s4, s15
	s_cbranch_execz .LBB1438_607
.LBB1438_653:
	flat_store_dwordx2 v[0:1], v[34:35] offset:80
	s_or_b32 exec_lo, exec_lo, s4
	s_and_saveexec_b32 s4, s16
	s_cbranch_execz .LBB1438_608
.LBB1438_654:
	flat_store_dwordx2 v[0:1], v[36:37] offset:88
	s_or_b32 exec_lo, exec_lo, s4
	s_and_saveexec_b32 s4, s17
	s_cbranch_execz .LBB1438_609
.LBB1438_655:
	flat_store_dwordx2 v[0:1], v[48:49] offset:96
	s_or_b32 exec_lo, exec_lo, s4
	s_and_saveexec_b32 s4, s18
	s_cbranch_execz .LBB1438_610
.LBB1438_656:
	flat_store_dwordx2 v[0:1], v[68:69] offset:104
	s_or_b32 exec_lo, exec_lo, s4
	s_and_saveexec_b32 s4, s19
	s_cbranch_execz .LBB1438_611
.LBB1438_657:
	flat_store_dwordx2 v[0:1], v[38:39] offset:112
	s_or_b32 exec_lo, exec_lo, s4
	s_and_saveexec_b32 s4, s20
	s_cbranch_execz .LBB1438_612
.LBB1438_658:
	flat_store_dwordx2 v[0:1], v[80:81] offset:120
	s_or_b32 exec_lo, exec_lo, s4
	s_waitcnt lgkmcnt(0)
	s_setpc_b64 s[30:31]
.Lfunc_end1438:
	.size	_ZN7rocprim17ROCPRIM_400000_NS6detail26segmented_warp_sort_helperINS1_20WarpSortHelperConfigILj16ELj16ELj256EEEflLi256ELb0EvE4sortIPKfPfPKlPlEEvT_T0_T1_T2_jjjjRNS5_12storage_typeE, .Lfunc_end1438-_ZN7rocprim17ROCPRIM_400000_NS6detail26segmented_warp_sort_helperINS1_20WarpSortHelperConfigILj16ELj16ELj256EEEflLi256ELb0EvE4sortIPKfPfPKlPlEEvT_T0_T1_T2_jjjjRNS5_12storage_typeE
                                        ; -- End function
	.set .L_ZN7rocprim17ROCPRIM_400000_NS6detail26segmented_warp_sort_helperINS1_20WarpSortHelperConfigILj16ELj16ELj256EEEflLi256ELb0EvE4sortIPKfPfPKlPlEEvT_T0_T1_T2_jjjjRNS5_12storage_typeE.num_vgpr, 148
	.set .L_ZN7rocprim17ROCPRIM_400000_NS6detail26segmented_warp_sort_helperINS1_20WarpSortHelperConfigILj16ELj16ELj256EEEflLi256ELb0EvE4sortIPKfPfPKlPlEEvT_T0_T1_T2_jjjjRNS5_12storage_typeE.num_agpr, 0
	.set .L_ZN7rocprim17ROCPRIM_400000_NS6detail26segmented_warp_sort_helperINS1_20WarpSortHelperConfigILj16ELj16ELj256EEEflLi256ELb0EvE4sortIPKfPfPKlPlEEvT_T0_T1_T2_jjjjRNS5_12storage_typeE.numbered_sgpr, 57
	.set .L_ZN7rocprim17ROCPRIM_400000_NS6detail26segmented_warp_sort_helperINS1_20WarpSortHelperConfigILj16ELj16ELj256EEEflLi256ELb0EvE4sortIPKfPfPKlPlEEvT_T0_T1_T2_jjjjRNS5_12storage_typeE.num_named_barrier, 0
	.set .L_ZN7rocprim17ROCPRIM_400000_NS6detail26segmented_warp_sort_helperINS1_20WarpSortHelperConfigILj16ELj16ELj256EEEflLi256ELb0EvE4sortIPKfPfPKlPlEEvT_T0_T1_T2_jjjjRNS5_12storage_typeE.private_seg_size, 0
	.set .L_ZN7rocprim17ROCPRIM_400000_NS6detail26segmented_warp_sort_helperINS1_20WarpSortHelperConfigILj16ELj16ELj256EEEflLi256ELb0EvE4sortIPKfPfPKlPlEEvT_T0_T1_T2_jjjjRNS5_12storage_typeE.uses_vcc, 1
	.set .L_ZN7rocprim17ROCPRIM_400000_NS6detail26segmented_warp_sort_helperINS1_20WarpSortHelperConfigILj16ELj16ELj256EEEflLi256ELb0EvE4sortIPKfPfPKlPlEEvT_T0_T1_T2_jjjjRNS5_12storage_typeE.uses_flat_scratch, 0
	.set .L_ZN7rocprim17ROCPRIM_400000_NS6detail26segmented_warp_sort_helperINS1_20WarpSortHelperConfigILj16ELj16ELj256EEEflLi256ELb0EvE4sortIPKfPfPKlPlEEvT_T0_T1_T2_jjjjRNS5_12storage_typeE.has_dyn_sized_stack, 0
	.set .L_ZN7rocprim17ROCPRIM_400000_NS6detail26segmented_warp_sort_helperINS1_20WarpSortHelperConfigILj16ELj16ELj256EEEflLi256ELb0EvE4sortIPKfPfPKlPlEEvT_T0_T1_T2_jjjjRNS5_12storage_typeE.has_recursion, 0
	.set .L_ZN7rocprim17ROCPRIM_400000_NS6detail26segmented_warp_sort_helperINS1_20WarpSortHelperConfigILj16ELj16ELj256EEEflLi256ELb0EvE4sortIPKfPfPKlPlEEvT_T0_T1_T2_jjjjRNS5_12storage_typeE.has_indirect_call, 0
	.section	.AMDGPU.csdata,"",@progbits
; Function info:
; codeLenInByte = 28472
; TotalNumSgprs: 59
; NumVgprs: 148
; ScratchSize: 0
; MemoryBound: 0
	.section	.text._ZN7rocprim17ROCPRIM_400000_NS6detail17trampoline_kernelINS0_14default_configENS1_36segmented_radix_sort_config_selectorIflEEZNS1_25segmented_radix_sort_implIS3_Lb0EPKfPfPKlPlN2at6native12_GLOBAL__N_18offset_tEEE10hipError_tPvRmT1_PNSt15iterator_traitsISK_E10value_typeET2_T3_PNSL_ISQ_E10value_typeET4_jRbjT5_SW_jjP12ihipStream_tbEUlT_E0_NS1_11comp_targetILNS1_3genE8ELNS1_11target_archE1030ELNS1_3gpuE2ELNS1_3repE0EEENS1_60segmented_radix_sort_warp_sort_medium_config_static_selectorELNS0_4arch9wavefront6targetE0EEEvSK_,"axG",@progbits,_ZN7rocprim17ROCPRIM_400000_NS6detail17trampoline_kernelINS0_14default_configENS1_36segmented_radix_sort_config_selectorIflEEZNS1_25segmented_radix_sort_implIS3_Lb0EPKfPfPKlPlN2at6native12_GLOBAL__N_18offset_tEEE10hipError_tPvRmT1_PNSt15iterator_traitsISK_E10value_typeET2_T3_PNSL_ISQ_E10value_typeET4_jRbjT5_SW_jjP12ihipStream_tbEUlT_E0_NS1_11comp_targetILNS1_3genE8ELNS1_11target_archE1030ELNS1_3gpuE2ELNS1_3repE0EEENS1_60segmented_radix_sort_warp_sort_medium_config_static_selectorELNS0_4arch9wavefront6targetE0EEEvSK_,comdat
	.globl	_ZN7rocprim17ROCPRIM_400000_NS6detail17trampoline_kernelINS0_14default_configENS1_36segmented_radix_sort_config_selectorIflEEZNS1_25segmented_radix_sort_implIS3_Lb0EPKfPfPKlPlN2at6native12_GLOBAL__N_18offset_tEEE10hipError_tPvRmT1_PNSt15iterator_traitsISK_E10value_typeET2_T3_PNSL_ISQ_E10value_typeET4_jRbjT5_SW_jjP12ihipStream_tbEUlT_E0_NS1_11comp_targetILNS1_3genE8ELNS1_11target_archE1030ELNS1_3gpuE2ELNS1_3repE0EEENS1_60segmented_radix_sort_warp_sort_medium_config_static_selectorELNS0_4arch9wavefront6targetE0EEEvSK_ ; -- Begin function _ZN7rocprim17ROCPRIM_400000_NS6detail17trampoline_kernelINS0_14default_configENS1_36segmented_radix_sort_config_selectorIflEEZNS1_25segmented_radix_sort_implIS3_Lb0EPKfPfPKlPlN2at6native12_GLOBAL__N_18offset_tEEE10hipError_tPvRmT1_PNSt15iterator_traitsISK_E10value_typeET2_T3_PNSL_ISQ_E10value_typeET4_jRbjT5_SW_jjP12ihipStream_tbEUlT_E0_NS1_11comp_targetILNS1_3genE8ELNS1_11target_archE1030ELNS1_3gpuE2ELNS1_3repE0EEENS1_60segmented_radix_sort_warp_sort_medium_config_static_selectorELNS0_4arch9wavefront6targetE0EEEvSK_
	.p2align	8
	.type	_ZN7rocprim17ROCPRIM_400000_NS6detail17trampoline_kernelINS0_14default_configENS1_36segmented_radix_sort_config_selectorIflEEZNS1_25segmented_radix_sort_implIS3_Lb0EPKfPfPKlPlN2at6native12_GLOBAL__N_18offset_tEEE10hipError_tPvRmT1_PNSt15iterator_traitsISK_E10value_typeET2_T3_PNSL_ISQ_E10value_typeET4_jRbjT5_SW_jjP12ihipStream_tbEUlT_E0_NS1_11comp_targetILNS1_3genE8ELNS1_11target_archE1030ELNS1_3gpuE2ELNS1_3repE0EEENS1_60segmented_radix_sort_warp_sort_medium_config_static_selectorELNS0_4arch9wavefront6targetE0EEEvSK_,@function
_ZN7rocprim17ROCPRIM_400000_NS6detail17trampoline_kernelINS0_14default_configENS1_36segmented_radix_sort_config_selectorIflEEZNS1_25segmented_radix_sort_implIS3_Lb0EPKfPfPKlPlN2at6native12_GLOBAL__N_18offset_tEEE10hipError_tPvRmT1_PNSt15iterator_traitsISK_E10value_typeET2_T3_PNSL_ISQ_E10value_typeET4_jRbjT5_SW_jjP12ihipStream_tbEUlT_E0_NS1_11comp_targetILNS1_3genE8ELNS1_11target_archE1030ELNS1_3gpuE2ELNS1_3repE0EEENS1_60segmented_radix_sort_warp_sort_medium_config_static_selectorELNS0_4arch9wavefront6targetE0EEEvSK_: ; @_ZN7rocprim17ROCPRIM_400000_NS6detail17trampoline_kernelINS0_14default_configENS1_36segmented_radix_sort_config_selectorIflEEZNS1_25segmented_radix_sort_implIS3_Lb0EPKfPfPKlPlN2at6native12_GLOBAL__N_18offset_tEEE10hipError_tPvRmT1_PNSt15iterator_traitsISK_E10value_typeET2_T3_PNSL_ISQ_E10value_typeET4_jRbjT5_SW_jjP12ihipStream_tbEUlT_E0_NS1_11comp_targetILNS1_3genE8ELNS1_11target_archE1030ELNS1_3gpuE2ELNS1_3repE0EEENS1_60segmented_radix_sort_warp_sort_medium_config_static_selectorELNS0_4arch9wavefront6targetE0EEEvSK_
; %bb.0:
	s_add_u32 s0, s0, s8
	s_load_dword s8, s[4:5], 0x64
	s_addc_u32 s1, s1, 0
	s_mov_b32 s32, 0
	s_waitcnt lgkmcnt(0)
	s_lshr_b32 s9, s8, 16
	s_and_b32 s8, s8, 0xffff
	v_mad_u32_u24 v3, v2, s9, v1
	s_load_dword s9, s[4:5], 0x34
	v_mad_u64_u32 v[3:4], null, v3, s8, v[0:1]
	s_mov_b32 s8, exec_lo
	v_lshrrev_b32_e32 v3, 4, v3
	v_lshl_add_u32 v3, s6, 4, v3
	s_waitcnt lgkmcnt(0)
	v_cmpx_gt_u32_e64 s9, v3
	s_cbranch_execz .LBB1439_6
; %bb.1:
	s_clause 0x1
	s_load_dwordx2 s[12:13], s[4:5], 0x38
	s_load_dwordx4 s[8:11], s[4:5], 0x40
	v_mov_b32_e32 v4, 0
	v_lshlrev_b64 v[3:4], 2, v[3:4]
	s_waitcnt lgkmcnt(0)
	v_add_co_u32 v3, vcc_lo, s12, v3
	v_add_co_ci_u32_e64 v4, null, s13, v4, vcc_lo
	global_load_dword v3, v[3:4], off
	s_waitcnt vmcnt(0)
	v_add_nc_u32_e32 v4, s9, v3
	v_add_nc_u32_e32 v3, s11, v3
	v_mul_lo_u32 v40, v4, s8
	v_mul_lo_u32 v41, v3, s10
	v_cmp_gt_u32_e32 vcc_lo, v41, v40
	s_and_b32 exec_lo, exec_lo, vcc_lo
	s_cbranch_execz .LBB1439_6
; %bb.2:
	s_clause 0x2
	s_load_dword s8, s[4:5], 0x30
	s_load_dwordx4 s[36:39], s[4:5], 0x20
	s_load_dwordx8 s[48:55], s[4:5], 0x0
	v_lshlrev_b32_e32 v43, 20, v2
	v_lshlrev_b32_e32 v44, 10, v1
	s_waitcnt lgkmcnt(0)
	s_bitcmp0_b32 s8, 0
	s_mov_b32 s8, -1
	s_cbranch_scc0 .LBB1439_4
; %bb.3:
	v_or3_b32 v31, v0, v44, v43
	v_mov_b32_e32 v42, v0
	v_mov_b32_e32 v0, s48
	;; [unrolled: 1-line block ×11, first 2 shown]
	s_add_u32 s8, s4, 0x58
	s_addc_u32 s9, s5, 0
	s_getpc_b64 s[10:11]
	s_add_u32 s10, s10, _ZN7rocprim17ROCPRIM_400000_NS6detail26segmented_warp_sort_helperINS1_20WarpSortHelperConfigILj16ELj16ELj256EEEflLi256ELb0EvE4sortIPKfPfPKlPlEEvT_T0_T1_T2_jjjjRNS5_12storage_typeE@rel32@lo+4
	s_addc_u32 s11, s11, _ZN7rocprim17ROCPRIM_400000_NS6detail26segmented_warp_sort_helperINS1_20WarpSortHelperConfigILj16ELj16ELj256EEEflLi256ELb0EvE4sortIPKfPfPKlPlEEvT_T0_T1_T2_jjjjRNS5_12storage_typeE@rel32@hi+12
	s_mov_b32 s12, s6
	s_mov_b32 s13, s7
	s_mov_b64 s[34:35], s[4:5]
	s_mov_b32 s33, s7
	s_mov_b32 s36, s6
	s_swappc_b64 s[30:31], s[10:11]
	v_mov_b32_e32 v0, v42
	s_mov_b32 s6, s36
	s_mov_b32 s7, s33
	s_mov_b64 s[4:5], s[34:35]
	s_mov_b32 s8, 0
.LBB1439_4:
	s_andn2_b32 vcc_lo, exec_lo, s8
	s_cbranch_vccnz .LBB1439_6
; %bb.5:
	v_or3_b32 v31, v0, v44, v43
	v_mov_b32_e32 v0, s48
	v_mov_b32_e32 v1, s49
	;; [unrolled: 1-line block ×10, first 2 shown]
	s_add_u32 s8, s4, 0x58
	s_addc_u32 s9, s5, 0
	s_getpc_b64 s[4:5]
	s_add_u32 s4, s4, _ZN7rocprim17ROCPRIM_400000_NS6detail26segmented_warp_sort_helperINS1_20WarpSortHelperConfigILj16ELj16ELj256EEEflLi256ELb0EvE4sortIPKfPfPKlPlEEvT_T0_T1_T2_jjjjRNS5_12storage_typeE@rel32@lo+4
	s_addc_u32 s5, s5, _ZN7rocprim17ROCPRIM_400000_NS6detail26segmented_warp_sort_helperINS1_20WarpSortHelperConfigILj16ELj16ELj256EEEflLi256ELb0EvE4sortIPKfPfPKlPlEEvT_T0_T1_T2_jjjjRNS5_12storage_typeE@rel32@hi+12
	s_mov_b32 s12, s6
	s_mov_b32 s13, s7
	s_swappc_b64 s[30:31], s[4:5]
.LBB1439_6:
	s_endpgm
	.section	.rodata,"a",@progbits
	.p2align	6, 0x0
	.amdhsa_kernel _ZN7rocprim17ROCPRIM_400000_NS6detail17trampoline_kernelINS0_14default_configENS1_36segmented_radix_sort_config_selectorIflEEZNS1_25segmented_radix_sort_implIS3_Lb0EPKfPfPKlPlN2at6native12_GLOBAL__N_18offset_tEEE10hipError_tPvRmT1_PNSt15iterator_traitsISK_E10value_typeET2_T3_PNSL_ISQ_E10value_typeET4_jRbjT5_SW_jjP12ihipStream_tbEUlT_E0_NS1_11comp_targetILNS1_3genE8ELNS1_11target_archE1030ELNS1_3gpuE2ELNS1_3repE0EEENS1_60segmented_radix_sort_warp_sort_medium_config_static_selectorELNS0_4arch9wavefront6targetE0EEEvSK_
		.amdhsa_group_segment_fixed_size 49152
		.amdhsa_private_segment_fixed_size 0
		.amdhsa_kernarg_size 344
		.amdhsa_user_sgpr_count 6
		.amdhsa_user_sgpr_private_segment_buffer 1
		.amdhsa_user_sgpr_dispatch_ptr 0
		.amdhsa_user_sgpr_queue_ptr 0
		.amdhsa_user_sgpr_kernarg_segment_ptr 1
		.amdhsa_user_sgpr_dispatch_id 0
		.amdhsa_user_sgpr_flat_scratch_init 0
		.amdhsa_user_sgpr_private_segment_size 0
		.amdhsa_wavefront_size32 1
		.amdhsa_uses_dynamic_stack 0
		.amdhsa_system_sgpr_private_segment_wavefront_offset 0
		.amdhsa_system_sgpr_workgroup_id_x 1
		.amdhsa_system_sgpr_workgroup_id_y 1
		.amdhsa_system_sgpr_workgroup_id_z 0
		.amdhsa_system_sgpr_workgroup_info 0
		.amdhsa_system_vgpr_workitem_id 2
		.amdhsa_next_free_vgpr 193
		.amdhsa_next_free_sgpr 57
		.amdhsa_reserve_vcc 1
		.amdhsa_reserve_flat_scratch 0
		.amdhsa_float_round_mode_32 0
		.amdhsa_float_round_mode_16_64 0
		.amdhsa_float_denorm_mode_32 3
		.amdhsa_float_denorm_mode_16_64 3
		.amdhsa_dx10_clamp 1
		.amdhsa_ieee_mode 1
		.amdhsa_fp16_overflow 0
		.amdhsa_workgroup_processor_mode 1
		.amdhsa_memory_ordered 1
		.amdhsa_forward_progress 1
		.amdhsa_shared_vgpr_count 0
		.amdhsa_exception_fp_ieee_invalid_op 0
		.amdhsa_exception_fp_denorm_src 0
		.amdhsa_exception_fp_ieee_div_zero 0
		.amdhsa_exception_fp_ieee_overflow 0
		.amdhsa_exception_fp_ieee_underflow 0
		.amdhsa_exception_fp_ieee_inexact 0
		.amdhsa_exception_int_div_zero 0
	.end_amdhsa_kernel
	.section	.text._ZN7rocprim17ROCPRIM_400000_NS6detail17trampoline_kernelINS0_14default_configENS1_36segmented_radix_sort_config_selectorIflEEZNS1_25segmented_radix_sort_implIS3_Lb0EPKfPfPKlPlN2at6native12_GLOBAL__N_18offset_tEEE10hipError_tPvRmT1_PNSt15iterator_traitsISK_E10value_typeET2_T3_PNSL_ISQ_E10value_typeET4_jRbjT5_SW_jjP12ihipStream_tbEUlT_E0_NS1_11comp_targetILNS1_3genE8ELNS1_11target_archE1030ELNS1_3gpuE2ELNS1_3repE0EEENS1_60segmented_radix_sort_warp_sort_medium_config_static_selectorELNS0_4arch9wavefront6targetE0EEEvSK_,"axG",@progbits,_ZN7rocprim17ROCPRIM_400000_NS6detail17trampoline_kernelINS0_14default_configENS1_36segmented_radix_sort_config_selectorIflEEZNS1_25segmented_radix_sort_implIS3_Lb0EPKfPfPKlPlN2at6native12_GLOBAL__N_18offset_tEEE10hipError_tPvRmT1_PNSt15iterator_traitsISK_E10value_typeET2_T3_PNSL_ISQ_E10value_typeET4_jRbjT5_SW_jjP12ihipStream_tbEUlT_E0_NS1_11comp_targetILNS1_3genE8ELNS1_11target_archE1030ELNS1_3gpuE2ELNS1_3repE0EEENS1_60segmented_radix_sort_warp_sort_medium_config_static_selectorELNS0_4arch9wavefront6targetE0EEEvSK_,comdat
.Lfunc_end1439:
	.size	_ZN7rocprim17ROCPRIM_400000_NS6detail17trampoline_kernelINS0_14default_configENS1_36segmented_radix_sort_config_selectorIflEEZNS1_25segmented_radix_sort_implIS3_Lb0EPKfPfPKlPlN2at6native12_GLOBAL__N_18offset_tEEE10hipError_tPvRmT1_PNSt15iterator_traitsISK_E10value_typeET2_T3_PNSL_ISQ_E10value_typeET4_jRbjT5_SW_jjP12ihipStream_tbEUlT_E0_NS1_11comp_targetILNS1_3genE8ELNS1_11target_archE1030ELNS1_3gpuE2ELNS1_3repE0EEENS1_60segmented_radix_sort_warp_sort_medium_config_static_selectorELNS0_4arch9wavefront6targetE0EEEvSK_, .Lfunc_end1439-_ZN7rocprim17ROCPRIM_400000_NS6detail17trampoline_kernelINS0_14default_configENS1_36segmented_radix_sort_config_selectorIflEEZNS1_25segmented_radix_sort_implIS3_Lb0EPKfPfPKlPlN2at6native12_GLOBAL__N_18offset_tEEE10hipError_tPvRmT1_PNSt15iterator_traitsISK_E10value_typeET2_T3_PNSL_ISQ_E10value_typeET4_jRbjT5_SW_jjP12ihipStream_tbEUlT_E0_NS1_11comp_targetILNS1_3genE8ELNS1_11target_archE1030ELNS1_3gpuE2ELNS1_3repE0EEENS1_60segmented_radix_sort_warp_sort_medium_config_static_selectorELNS0_4arch9wavefront6targetE0EEEvSK_
                                        ; -- End function
	.set _ZN7rocprim17ROCPRIM_400000_NS6detail17trampoline_kernelINS0_14default_configENS1_36segmented_radix_sort_config_selectorIflEEZNS1_25segmented_radix_sort_implIS3_Lb0EPKfPfPKlPlN2at6native12_GLOBAL__N_18offset_tEEE10hipError_tPvRmT1_PNSt15iterator_traitsISK_E10value_typeET2_T3_PNSL_ISQ_E10value_typeET4_jRbjT5_SW_jjP12ihipStream_tbEUlT_E0_NS1_11comp_targetILNS1_3genE8ELNS1_11target_archE1030ELNS1_3gpuE2ELNS1_3repE0EEENS1_60segmented_radix_sort_warp_sort_medium_config_static_selectorELNS0_4arch9wavefront6targetE0EEEvSK_.num_vgpr, max(45, .L_ZN7rocprim17ROCPRIM_400000_NS6detail26segmented_warp_sort_helperINS1_20WarpSortHelperConfigILj16ELj16ELj256EEEflLi256ELb0EvE4sortIPKfPfPKlPlEEvT_T0_T1_T2_jjjjRNS5_12storage_typeE.num_vgpr)
	.set _ZN7rocprim17ROCPRIM_400000_NS6detail17trampoline_kernelINS0_14default_configENS1_36segmented_radix_sort_config_selectorIflEEZNS1_25segmented_radix_sort_implIS3_Lb0EPKfPfPKlPlN2at6native12_GLOBAL__N_18offset_tEEE10hipError_tPvRmT1_PNSt15iterator_traitsISK_E10value_typeET2_T3_PNSL_ISQ_E10value_typeET4_jRbjT5_SW_jjP12ihipStream_tbEUlT_E0_NS1_11comp_targetILNS1_3genE8ELNS1_11target_archE1030ELNS1_3gpuE2ELNS1_3repE0EEENS1_60segmented_radix_sort_warp_sort_medium_config_static_selectorELNS0_4arch9wavefront6targetE0EEEvSK_.num_agpr, max(0, .L_ZN7rocprim17ROCPRIM_400000_NS6detail26segmented_warp_sort_helperINS1_20WarpSortHelperConfigILj16ELj16ELj256EEEflLi256ELb0EvE4sortIPKfPfPKlPlEEvT_T0_T1_T2_jjjjRNS5_12storage_typeE.num_agpr)
	.set _ZN7rocprim17ROCPRIM_400000_NS6detail17trampoline_kernelINS0_14default_configENS1_36segmented_radix_sort_config_selectorIflEEZNS1_25segmented_radix_sort_implIS3_Lb0EPKfPfPKlPlN2at6native12_GLOBAL__N_18offset_tEEE10hipError_tPvRmT1_PNSt15iterator_traitsISK_E10value_typeET2_T3_PNSL_ISQ_E10value_typeET4_jRbjT5_SW_jjP12ihipStream_tbEUlT_E0_NS1_11comp_targetILNS1_3genE8ELNS1_11target_archE1030ELNS1_3gpuE2ELNS1_3repE0EEENS1_60segmented_radix_sort_warp_sort_medium_config_static_selectorELNS0_4arch9wavefront6targetE0EEEvSK_.numbered_sgpr, max(56, .L_ZN7rocprim17ROCPRIM_400000_NS6detail26segmented_warp_sort_helperINS1_20WarpSortHelperConfigILj16ELj16ELj256EEEflLi256ELb0EvE4sortIPKfPfPKlPlEEvT_T0_T1_T2_jjjjRNS5_12storage_typeE.numbered_sgpr)
	.set _ZN7rocprim17ROCPRIM_400000_NS6detail17trampoline_kernelINS0_14default_configENS1_36segmented_radix_sort_config_selectorIflEEZNS1_25segmented_radix_sort_implIS3_Lb0EPKfPfPKlPlN2at6native12_GLOBAL__N_18offset_tEEE10hipError_tPvRmT1_PNSt15iterator_traitsISK_E10value_typeET2_T3_PNSL_ISQ_E10value_typeET4_jRbjT5_SW_jjP12ihipStream_tbEUlT_E0_NS1_11comp_targetILNS1_3genE8ELNS1_11target_archE1030ELNS1_3gpuE2ELNS1_3repE0EEENS1_60segmented_radix_sort_warp_sort_medium_config_static_selectorELNS0_4arch9wavefront6targetE0EEEvSK_.num_named_barrier, max(0, .L_ZN7rocprim17ROCPRIM_400000_NS6detail26segmented_warp_sort_helperINS1_20WarpSortHelperConfigILj16ELj16ELj256EEEflLi256ELb0EvE4sortIPKfPfPKlPlEEvT_T0_T1_T2_jjjjRNS5_12storage_typeE.num_named_barrier)
	.set _ZN7rocprim17ROCPRIM_400000_NS6detail17trampoline_kernelINS0_14default_configENS1_36segmented_radix_sort_config_selectorIflEEZNS1_25segmented_radix_sort_implIS3_Lb0EPKfPfPKlPlN2at6native12_GLOBAL__N_18offset_tEEE10hipError_tPvRmT1_PNSt15iterator_traitsISK_E10value_typeET2_T3_PNSL_ISQ_E10value_typeET4_jRbjT5_SW_jjP12ihipStream_tbEUlT_E0_NS1_11comp_targetILNS1_3genE8ELNS1_11target_archE1030ELNS1_3gpuE2ELNS1_3repE0EEENS1_60segmented_radix_sort_warp_sort_medium_config_static_selectorELNS0_4arch9wavefront6targetE0EEEvSK_.private_seg_size, 0+max(.L_ZN7rocprim17ROCPRIM_400000_NS6detail26segmented_warp_sort_helperINS1_20WarpSortHelperConfigILj16ELj16ELj256EEEflLi256ELb0EvE4sortIPKfPfPKlPlEEvT_T0_T1_T2_jjjjRNS5_12storage_typeE.private_seg_size)
	.set _ZN7rocprim17ROCPRIM_400000_NS6detail17trampoline_kernelINS0_14default_configENS1_36segmented_radix_sort_config_selectorIflEEZNS1_25segmented_radix_sort_implIS3_Lb0EPKfPfPKlPlN2at6native12_GLOBAL__N_18offset_tEEE10hipError_tPvRmT1_PNSt15iterator_traitsISK_E10value_typeET2_T3_PNSL_ISQ_E10value_typeET4_jRbjT5_SW_jjP12ihipStream_tbEUlT_E0_NS1_11comp_targetILNS1_3genE8ELNS1_11target_archE1030ELNS1_3gpuE2ELNS1_3repE0EEENS1_60segmented_radix_sort_warp_sort_medium_config_static_selectorELNS0_4arch9wavefront6targetE0EEEvSK_.uses_vcc, or(1, .L_ZN7rocprim17ROCPRIM_400000_NS6detail26segmented_warp_sort_helperINS1_20WarpSortHelperConfigILj16ELj16ELj256EEEflLi256ELb0EvE4sortIPKfPfPKlPlEEvT_T0_T1_T2_jjjjRNS5_12storage_typeE.uses_vcc)
	.set _ZN7rocprim17ROCPRIM_400000_NS6detail17trampoline_kernelINS0_14default_configENS1_36segmented_radix_sort_config_selectorIflEEZNS1_25segmented_radix_sort_implIS3_Lb0EPKfPfPKlPlN2at6native12_GLOBAL__N_18offset_tEEE10hipError_tPvRmT1_PNSt15iterator_traitsISK_E10value_typeET2_T3_PNSL_ISQ_E10value_typeET4_jRbjT5_SW_jjP12ihipStream_tbEUlT_E0_NS1_11comp_targetILNS1_3genE8ELNS1_11target_archE1030ELNS1_3gpuE2ELNS1_3repE0EEENS1_60segmented_radix_sort_warp_sort_medium_config_static_selectorELNS0_4arch9wavefront6targetE0EEEvSK_.uses_flat_scratch, or(0, .L_ZN7rocprim17ROCPRIM_400000_NS6detail26segmented_warp_sort_helperINS1_20WarpSortHelperConfigILj16ELj16ELj256EEEflLi256ELb0EvE4sortIPKfPfPKlPlEEvT_T0_T1_T2_jjjjRNS5_12storage_typeE.uses_flat_scratch)
	.set _ZN7rocprim17ROCPRIM_400000_NS6detail17trampoline_kernelINS0_14default_configENS1_36segmented_radix_sort_config_selectorIflEEZNS1_25segmented_radix_sort_implIS3_Lb0EPKfPfPKlPlN2at6native12_GLOBAL__N_18offset_tEEE10hipError_tPvRmT1_PNSt15iterator_traitsISK_E10value_typeET2_T3_PNSL_ISQ_E10value_typeET4_jRbjT5_SW_jjP12ihipStream_tbEUlT_E0_NS1_11comp_targetILNS1_3genE8ELNS1_11target_archE1030ELNS1_3gpuE2ELNS1_3repE0EEENS1_60segmented_radix_sort_warp_sort_medium_config_static_selectorELNS0_4arch9wavefront6targetE0EEEvSK_.has_dyn_sized_stack, or(0, .L_ZN7rocprim17ROCPRIM_400000_NS6detail26segmented_warp_sort_helperINS1_20WarpSortHelperConfigILj16ELj16ELj256EEEflLi256ELb0EvE4sortIPKfPfPKlPlEEvT_T0_T1_T2_jjjjRNS5_12storage_typeE.has_dyn_sized_stack)
	.set _ZN7rocprim17ROCPRIM_400000_NS6detail17trampoline_kernelINS0_14default_configENS1_36segmented_radix_sort_config_selectorIflEEZNS1_25segmented_radix_sort_implIS3_Lb0EPKfPfPKlPlN2at6native12_GLOBAL__N_18offset_tEEE10hipError_tPvRmT1_PNSt15iterator_traitsISK_E10value_typeET2_T3_PNSL_ISQ_E10value_typeET4_jRbjT5_SW_jjP12ihipStream_tbEUlT_E0_NS1_11comp_targetILNS1_3genE8ELNS1_11target_archE1030ELNS1_3gpuE2ELNS1_3repE0EEENS1_60segmented_radix_sort_warp_sort_medium_config_static_selectorELNS0_4arch9wavefront6targetE0EEEvSK_.has_recursion, or(0, .L_ZN7rocprim17ROCPRIM_400000_NS6detail26segmented_warp_sort_helperINS1_20WarpSortHelperConfigILj16ELj16ELj256EEEflLi256ELb0EvE4sortIPKfPfPKlPlEEvT_T0_T1_T2_jjjjRNS5_12storage_typeE.has_recursion)
	.set _ZN7rocprim17ROCPRIM_400000_NS6detail17trampoline_kernelINS0_14default_configENS1_36segmented_radix_sort_config_selectorIflEEZNS1_25segmented_radix_sort_implIS3_Lb0EPKfPfPKlPlN2at6native12_GLOBAL__N_18offset_tEEE10hipError_tPvRmT1_PNSt15iterator_traitsISK_E10value_typeET2_T3_PNSL_ISQ_E10value_typeET4_jRbjT5_SW_jjP12ihipStream_tbEUlT_E0_NS1_11comp_targetILNS1_3genE8ELNS1_11target_archE1030ELNS1_3gpuE2ELNS1_3repE0EEENS1_60segmented_radix_sort_warp_sort_medium_config_static_selectorELNS0_4arch9wavefront6targetE0EEEvSK_.has_indirect_call, or(0, .L_ZN7rocprim17ROCPRIM_400000_NS6detail26segmented_warp_sort_helperINS1_20WarpSortHelperConfigILj16ELj16ELj256EEEflLi256ELb0EvE4sortIPKfPfPKlPlEEvT_T0_T1_T2_jjjjRNS5_12storage_typeE.has_indirect_call)
	.section	.AMDGPU.csdata,"",@progbits
; Kernel info:
; codeLenInByte = 476
; TotalNumSgprs: 59
; NumVgprs: 148
; ScratchSize: 0
; MemoryBound: 0
; FloatMode: 240
; IeeeMode: 1
; LDSByteSize: 49152 bytes/workgroup (compile time only)
; SGPRBlocks: 0
; VGPRBlocks: 24
; NumSGPRsForWavesPerEU: 59
; NumVGPRsForWavesPerEU: 193
; Occupancy: 4
; WaveLimiterHint : 0
; COMPUTE_PGM_RSRC2:SCRATCH_EN: 0
; COMPUTE_PGM_RSRC2:USER_SGPR: 6
; COMPUTE_PGM_RSRC2:TRAP_HANDLER: 0
; COMPUTE_PGM_RSRC2:TGID_X_EN: 1
; COMPUTE_PGM_RSRC2:TGID_Y_EN: 1
; COMPUTE_PGM_RSRC2:TGID_Z_EN: 0
; COMPUTE_PGM_RSRC2:TIDIG_COMP_CNT: 2
	.section	.text._ZN7rocprim17ROCPRIM_400000_NS6detail17trampoline_kernelINS0_14default_configENS1_36segmented_radix_sort_config_selectorIflEEZNS1_25segmented_radix_sort_implIS3_Lb0EPKfPfPKlPlN2at6native12_GLOBAL__N_18offset_tEEE10hipError_tPvRmT1_PNSt15iterator_traitsISK_E10value_typeET2_T3_PNSL_ISQ_E10value_typeET4_jRbjT5_SW_jjP12ihipStream_tbEUlT_E1_NS1_11comp_targetILNS1_3genE0ELNS1_11target_archE4294967295ELNS1_3gpuE0ELNS1_3repE0EEENS1_59segmented_radix_sort_warp_sort_small_config_static_selectorELNS0_4arch9wavefront6targetE0EEEvSK_,"axG",@progbits,_ZN7rocprim17ROCPRIM_400000_NS6detail17trampoline_kernelINS0_14default_configENS1_36segmented_radix_sort_config_selectorIflEEZNS1_25segmented_radix_sort_implIS3_Lb0EPKfPfPKlPlN2at6native12_GLOBAL__N_18offset_tEEE10hipError_tPvRmT1_PNSt15iterator_traitsISK_E10value_typeET2_T3_PNSL_ISQ_E10value_typeET4_jRbjT5_SW_jjP12ihipStream_tbEUlT_E1_NS1_11comp_targetILNS1_3genE0ELNS1_11target_archE4294967295ELNS1_3gpuE0ELNS1_3repE0EEENS1_59segmented_radix_sort_warp_sort_small_config_static_selectorELNS0_4arch9wavefront6targetE0EEEvSK_,comdat
	.globl	_ZN7rocprim17ROCPRIM_400000_NS6detail17trampoline_kernelINS0_14default_configENS1_36segmented_radix_sort_config_selectorIflEEZNS1_25segmented_radix_sort_implIS3_Lb0EPKfPfPKlPlN2at6native12_GLOBAL__N_18offset_tEEE10hipError_tPvRmT1_PNSt15iterator_traitsISK_E10value_typeET2_T3_PNSL_ISQ_E10value_typeET4_jRbjT5_SW_jjP12ihipStream_tbEUlT_E1_NS1_11comp_targetILNS1_3genE0ELNS1_11target_archE4294967295ELNS1_3gpuE0ELNS1_3repE0EEENS1_59segmented_radix_sort_warp_sort_small_config_static_selectorELNS0_4arch9wavefront6targetE0EEEvSK_ ; -- Begin function _ZN7rocprim17ROCPRIM_400000_NS6detail17trampoline_kernelINS0_14default_configENS1_36segmented_radix_sort_config_selectorIflEEZNS1_25segmented_radix_sort_implIS3_Lb0EPKfPfPKlPlN2at6native12_GLOBAL__N_18offset_tEEE10hipError_tPvRmT1_PNSt15iterator_traitsISK_E10value_typeET2_T3_PNSL_ISQ_E10value_typeET4_jRbjT5_SW_jjP12ihipStream_tbEUlT_E1_NS1_11comp_targetILNS1_3genE0ELNS1_11target_archE4294967295ELNS1_3gpuE0ELNS1_3repE0EEENS1_59segmented_radix_sort_warp_sort_small_config_static_selectorELNS0_4arch9wavefront6targetE0EEEvSK_
	.p2align	8
	.type	_ZN7rocprim17ROCPRIM_400000_NS6detail17trampoline_kernelINS0_14default_configENS1_36segmented_radix_sort_config_selectorIflEEZNS1_25segmented_radix_sort_implIS3_Lb0EPKfPfPKlPlN2at6native12_GLOBAL__N_18offset_tEEE10hipError_tPvRmT1_PNSt15iterator_traitsISK_E10value_typeET2_T3_PNSL_ISQ_E10value_typeET4_jRbjT5_SW_jjP12ihipStream_tbEUlT_E1_NS1_11comp_targetILNS1_3genE0ELNS1_11target_archE4294967295ELNS1_3gpuE0ELNS1_3repE0EEENS1_59segmented_radix_sort_warp_sort_small_config_static_selectorELNS0_4arch9wavefront6targetE0EEEvSK_,@function
_ZN7rocprim17ROCPRIM_400000_NS6detail17trampoline_kernelINS0_14default_configENS1_36segmented_radix_sort_config_selectorIflEEZNS1_25segmented_radix_sort_implIS3_Lb0EPKfPfPKlPlN2at6native12_GLOBAL__N_18offset_tEEE10hipError_tPvRmT1_PNSt15iterator_traitsISK_E10value_typeET2_T3_PNSL_ISQ_E10value_typeET4_jRbjT5_SW_jjP12ihipStream_tbEUlT_E1_NS1_11comp_targetILNS1_3genE0ELNS1_11target_archE4294967295ELNS1_3gpuE0ELNS1_3repE0EEENS1_59segmented_radix_sort_warp_sort_small_config_static_selectorELNS0_4arch9wavefront6targetE0EEEvSK_: ; @_ZN7rocprim17ROCPRIM_400000_NS6detail17trampoline_kernelINS0_14default_configENS1_36segmented_radix_sort_config_selectorIflEEZNS1_25segmented_radix_sort_implIS3_Lb0EPKfPfPKlPlN2at6native12_GLOBAL__N_18offset_tEEE10hipError_tPvRmT1_PNSt15iterator_traitsISK_E10value_typeET2_T3_PNSL_ISQ_E10value_typeET4_jRbjT5_SW_jjP12ihipStream_tbEUlT_E1_NS1_11comp_targetILNS1_3genE0ELNS1_11target_archE4294967295ELNS1_3gpuE0ELNS1_3repE0EEENS1_59segmented_radix_sort_warp_sort_small_config_static_selectorELNS0_4arch9wavefront6targetE0EEEvSK_
; %bb.0:
	.section	.rodata,"a",@progbits
	.p2align	6, 0x0
	.amdhsa_kernel _ZN7rocprim17ROCPRIM_400000_NS6detail17trampoline_kernelINS0_14default_configENS1_36segmented_radix_sort_config_selectorIflEEZNS1_25segmented_radix_sort_implIS3_Lb0EPKfPfPKlPlN2at6native12_GLOBAL__N_18offset_tEEE10hipError_tPvRmT1_PNSt15iterator_traitsISK_E10value_typeET2_T3_PNSL_ISQ_E10value_typeET4_jRbjT5_SW_jjP12ihipStream_tbEUlT_E1_NS1_11comp_targetILNS1_3genE0ELNS1_11target_archE4294967295ELNS1_3gpuE0ELNS1_3repE0EEENS1_59segmented_radix_sort_warp_sort_small_config_static_selectorELNS0_4arch9wavefront6targetE0EEEvSK_
		.amdhsa_group_segment_fixed_size 0
		.amdhsa_private_segment_fixed_size 0
		.amdhsa_kernarg_size 88
		.amdhsa_user_sgpr_count 6
		.amdhsa_user_sgpr_private_segment_buffer 1
		.amdhsa_user_sgpr_dispatch_ptr 0
		.amdhsa_user_sgpr_queue_ptr 0
		.amdhsa_user_sgpr_kernarg_segment_ptr 1
		.amdhsa_user_sgpr_dispatch_id 0
		.amdhsa_user_sgpr_flat_scratch_init 0
		.amdhsa_user_sgpr_private_segment_size 0
		.amdhsa_wavefront_size32 1
		.amdhsa_uses_dynamic_stack 0
		.amdhsa_system_sgpr_private_segment_wavefront_offset 0
		.amdhsa_system_sgpr_workgroup_id_x 1
		.amdhsa_system_sgpr_workgroup_id_y 0
		.amdhsa_system_sgpr_workgroup_id_z 0
		.amdhsa_system_sgpr_workgroup_info 0
		.amdhsa_system_vgpr_workitem_id 0
		.amdhsa_next_free_vgpr 1
		.amdhsa_next_free_sgpr 1
		.amdhsa_reserve_vcc 0
		.amdhsa_reserve_flat_scratch 0
		.amdhsa_float_round_mode_32 0
		.amdhsa_float_round_mode_16_64 0
		.amdhsa_float_denorm_mode_32 3
		.amdhsa_float_denorm_mode_16_64 3
		.amdhsa_dx10_clamp 1
		.amdhsa_ieee_mode 1
		.amdhsa_fp16_overflow 0
		.amdhsa_workgroup_processor_mode 1
		.amdhsa_memory_ordered 1
		.amdhsa_forward_progress 1
		.amdhsa_shared_vgpr_count 0
		.amdhsa_exception_fp_ieee_invalid_op 0
		.amdhsa_exception_fp_denorm_src 0
		.amdhsa_exception_fp_ieee_div_zero 0
		.amdhsa_exception_fp_ieee_overflow 0
		.amdhsa_exception_fp_ieee_underflow 0
		.amdhsa_exception_fp_ieee_inexact 0
		.amdhsa_exception_int_div_zero 0
	.end_amdhsa_kernel
	.section	.text._ZN7rocprim17ROCPRIM_400000_NS6detail17trampoline_kernelINS0_14default_configENS1_36segmented_radix_sort_config_selectorIflEEZNS1_25segmented_radix_sort_implIS3_Lb0EPKfPfPKlPlN2at6native12_GLOBAL__N_18offset_tEEE10hipError_tPvRmT1_PNSt15iterator_traitsISK_E10value_typeET2_T3_PNSL_ISQ_E10value_typeET4_jRbjT5_SW_jjP12ihipStream_tbEUlT_E1_NS1_11comp_targetILNS1_3genE0ELNS1_11target_archE4294967295ELNS1_3gpuE0ELNS1_3repE0EEENS1_59segmented_radix_sort_warp_sort_small_config_static_selectorELNS0_4arch9wavefront6targetE0EEEvSK_,"axG",@progbits,_ZN7rocprim17ROCPRIM_400000_NS6detail17trampoline_kernelINS0_14default_configENS1_36segmented_radix_sort_config_selectorIflEEZNS1_25segmented_radix_sort_implIS3_Lb0EPKfPfPKlPlN2at6native12_GLOBAL__N_18offset_tEEE10hipError_tPvRmT1_PNSt15iterator_traitsISK_E10value_typeET2_T3_PNSL_ISQ_E10value_typeET4_jRbjT5_SW_jjP12ihipStream_tbEUlT_E1_NS1_11comp_targetILNS1_3genE0ELNS1_11target_archE4294967295ELNS1_3gpuE0ELNS1_3repE0EEENS1_59segmented_radix_sort_warp_sort_small_config_static_selectorELNS0_4arch9wavefront6targetE0EEEvSK_,comdat
.Lfunc_end1440:
	.size	_ZN7rocprim17ROCPRIM_400000_NS6detail17trampoline_kernelINS0_14default_configENS1_36segmented_radix_sort_config_selectorIflEEZNS1_25segmented_radix_sort_implIS3_Lb0EPKfPfPKlPlN2at6native12_GLOBAL__N_18offset_tEEE10hipError_tPvRmT1_PNSt15iterator_traitsISK_E10value_typeET2_T3_PNSL_ISQ_E10value_typeET4_jRbjT5_SW_jjP12ihipStream_tbEUlT_E1_NS1_11comp_targetILNS1_3genE0ELNS1_11target_archE4294967295ELNS1_3gpuE0ELNS1_3repE0EEENS1_59segmented_radix_sort_warp_sort_small_config_static_selectorELNS0_4arch9wavefront6targetE0EEEvSK_, .Lfunc_end1440-_ZN7rocprim17ROCPRIM_400000_NS6detail17trampoline_kernelINS0_14default_configENS1_36segmented_radix_sort_config_selectorIflEEZNS1_25segmented_radix_sort_implIS3_Lb0EPKfPfPKlPlN2at6native12_GLOBAL__N_18offset_tEEE10hipError_tPvRmT1_PNSt15iterator_traitsISK_E10value_typeET2_T3_PNSL_ISQ_E10value_typeET4_jRbjT5_SW_jjP12ihipStream_tbEUlT_E1_NS1_11comp_targetILNS1_3genE0ELNS1_11target_archE4294967295ELNS1_3gpuE0ELNS1_3repE0EEENS1_59segmented_radix_sort_warp_sort_small_config_static_selectorELNS0_4arch9wavefront6targetE0EEEvSK_
                                        ; -- End function
	.set _ZN7rocprim17ROCPRIM_400000_NS6detail17trampoline_kernelINS0_14default_configENS1_36segmented_radix_sort_config_selectorIflEEZNS1_25segmented_radix_sort_implIS3_Lb0EPKfPfPKlPlN2at6native12_GLOBAL__N_18offset_tEEE10hipError_tPvRmT1_PNSt15iterator_traitsISK_E10value_typeET2_T3_PNSL_ISQ_E10value_typeET4_jRbjT5_SW_jjP12ihipStream_tbEUlT_E1_NS1_11comp_targetILNS1_3genE0ELNS1_11target_archE4294967295ELNS1_3gpuE0ELNS1_3repE0EEENS1_59segmented_radix_sort_warp_sort_small_config_static_selectorELNS0_4arch9wavefront6targetE0EEEvSK_.num_vgpr, 0
	.set _ZN7rocprim17ROCPRIM_400000_NS6detail17trampoline_kernelINS0_14default_configENS1_36segmented_radix_sort_config_selectorIflEEZNS1_25segmented_radix_sort_implIS3_Lb0EPKfPfPKlPlN2at6native12_GLOBAL__N_18offset_tEEE10hipError_tPvRmT1_PNSt15iterator_traitsISK_E10value_typeET2_T3_PNSL_ISQ_E10value_typeET4_jRbjT5_SW_jjP12ihipStream_tbEUlT_E1_NS1_11comp_targetILNS1_3genE0ELNS1_11target_archE4294967295ELNS1_3gpuE0ELNS1_3repE0EEENS1_59segmented_radix_sort_warp_sort_small_config_static_selectorELNS0_4arch9wavefront6targetE0EEEvSK_.num_agpr, 0
	.set _ZN7rocprim17ROCPRIM_400000_NS6detail17trampoline_kernelINS0_14default_configENS1_36segmented_radix_sort_config_selectorIflEEZNS1_25segmented_radix_sort_implIS3_Lb0EPKfPfPKlPlN2at6native12_GLOBAL__N_18offset_tEEE10hipError_tPvRmT1_PNSt15iterator_traitsISK_E10value_typeET2_T3_PNSL_ISQ_E10value_typeET4_jRbjT5_SW_jjP12ihipStream_tbEUlT_E1_NS1_11comp_targetILNS1_3genE0ELNS1_11target_archE4294967295ELNS1_3gpuE0ELNS1_3repE0EEENS1_59segmented_radix_sort_warp_sort_small_config_static_selectorELNS0_4arch9wavefront6targetE0EEEvSK_.numbered_sgpr, 0
	.set _ZN7rocprim17ROCPRIM_400000_NS6detail17trampoline_kernelINS0_14default_configENS1_36segmented_radix_sort_config_selectorIflEEZNS1_25segmented_radix_sort_implIS3_Lb0EPKfPfPKlPlN2at6native12_GLOBAL__N_18offset_tEEE10hipError_tPvRmT1_PNSt15iterator_traitsISK_E10value_typeET2_T3_PNSL_ISQ_E10value_typeET4_jRbjT5_SW_jjP12ihipStream_tbEUlT_E1_NS1_11comp_targetILNS1_3genE0ELNS1_11target_archE4294967295ELNS1_3gpuE0ELNS1_3repE0EEENS1_59segmented_radix_sort_warp_sort_small_config_static_selectorELNS0_4arch9wavefront6targetE0EEEvSK_.num_named_barrier, 0
	.set _ZN7rocprim17ROCPRIM_400000_NS6detail17trampoline_kernelINS0_14default_configENS1_36segmented_radix_sort_config_selectorIflEEZNS1_25segmented_radix_sort_implIS3_Lb0EPKfPfPKlPlN2at6native12_GLOBAL__N_18offset_tEEE10hipError_tPvRmT1_PNSt15iterator_traitsISK_E10value_typeET2_T3_PNSL_ISQ_E10value_typeET4_jRbjT5_SW_jjP12ihipStream_tbEUlT_E1_NS1_11comp_targetILNS1_3genE0ELNS1_11target_archE4294967295ELNS1_3gpuE0ELNS1_3repE0EEENS1_59segmented_radix_sort_warp_sort_small_config_static_selectorELNS0_4arch9wavefront6targetE0EEEvSK_.private_seg_size, 0
	.set _ZN7rocprim17ROCPRIM_400000_NS6detail17trampoline_kernelINS0_14default_configENS1_36segmented_radix_sort_config_selectorIflEEZNS1_25segmented_radix_sort_implIS3_Lb0EPKfPfPKlPlN2at6native12_GLOBAL__N_18offset_tEEE10hipError_tPvRmT1_PNSt15iterator_traitsISK_E10value_typeET2_T3_PNSL_ISQ_E10value_typeET4_jRbjT5_SW_jjP12ihipStream_tbEUlT_E1_NS1_11comp_targetILNS1_3genE0ELNS1_11target_archE4294967295ELNS1_3gpuE0ELNS1_3repE0EEENS1_59segmented_radix_sort_warp_sort_small_config_static_selectorELNS0_4arch9wavefront6targetE0EEEvSK_.uses_vcc, 0
	.set _ZN7rocprim17ROCPRIM_400000_NS6detail17trampoline_kernelINS0_14default_configENS1_36segmented_radix_sort_config_selectorIflEEZNS1_25segmented_radix_sort_implIS3_Lb0EPKfPfPKlPlN2at6native12_GLOBAL__N_18offset_tEEE10hipError_tPvRmT1_PNSt15iterator_traitsISK_E10value_typeET2_T3_PNSL_ISQ_E10value_typeET4_jRbjT5_SW_jjP12ihipStream_tbEUlT_E1_NS1_11comp_targetILNS1_3genE0ELNS1_11target_archE4294967295ELNS1_3gpuE0ELNS1_3repE0EEENS1_59segmented_radix_sort_warp_sort_small_config_static_selectorELNS0_4arch9wavefront6targetE0EEEvSK_.uses_flat_scratch, 0
	.set _ZN7rocprim17ROCPRIM_400000_NS6detail17trampoline_kernelINS0_14default_configENS1_36segmented_radix_sort_config_selectorIflEEZNS1_25segmented_radix_sort_implIS3_Lb0EPKfPfPKlPlN2at6native12_GLOBAL__N_18offset_tEEE10hipError_tPvRmT1_PNSt15iterator_traitsISK_E10value_typeET2_T3_PNSL_ISQ_E10value_typeET4_jRbjT5_SW_jjP12ihipStream_tbEUlT_E1_NS1_11comp_targetILNS1_3genE0ELNS1_11target_archE4294967295ELNS1_3gpuE0ELNS1_3repE0EEENS1_59segmented_radix_sort_warp_sort_small_config_static_selectorELNS0_4arch9wavefront6targetE0EEEvSK_.has_dyn_sized_stack, 0
	.set _ZN7rocprim17ROCPRIM_400000_NS6detail17trampoline_kernelINS0_14default_configENS1_36segmented_radix_sort_config_selectorIflEEZNS1_25segmented_radix_sort_implIS3_Lb0EPKfPfPKlPlN2at6native12_GLOBAL__N_18offset_tEEE10hipError_tPvRmT1_PNSt15iterator_traitsISK_E10value_typeET2_T3_PNSL_ISQ_E10value_typeET4_jRbjT5_SW_jjP12ihipStream_tbEUlT_E1_NS1_11comp_targetILNS1_3genE0ELNS1_11target_archE4294967295ELNS1_3gpuE0ELNS1_3repE0EEENS1_59segmented_radix_sort_warp_sort_small_config_static_selectorELNS0_4arch9wavefront6targetE0EEEvSK_.has_recursion, 0
	.set _ZN7rocprim17ROCPRIM_400000_NS6detail17trampoline_kernelINS0_14default_configENS1_36segmented_radix_sort_config_selectorIflEEZNS1_25segmented_radix_sort_implIS3_Lb0EPKfPfPKlPlN2at6native12_GLOBAL__N_18offset_tEEE10hipError_tPvRmT1_PNSt15iterator_traitsISK_E10value_typeET2_T3_PNSL_ISQ_E10value_typeET4_jRbjT5_SW_jjP12ihipStream_tbEUlT_E1_NS1_11comp_targetILNS1_3genE0ELNS1_11target_archE4294967295ELNS1_3gpuE0ELNS1_3repE0EEENS1_59segmented_radix_sort_warp_sort_small_config_static_selectorELNS0_4arch9wavefront6targetE0EEEvSK_.has_indirect_call, 0
	.section	.AMDGPU.csdata,"",@progbits
; Kernel info:
; codeLenInByte = 0
; TotalNumSgprs: 0
; NumVgprs: 0
; ScratchSize: 0
; MemoryBound: 0
; FloatMode: 240
; IeeeMode: 1
; LDSByteSize: 0 bytes/workgroup (compile time only)
; SGPRBlocks: 0
; VGPRBlocks: 0
; NumSGPRsForWavesPerEU: 1
; NumVGPRsForWavesPerEU: 1
; Occupancy: 16
; WaveLimiterHint : 0
; COMPUTE_PGM_RSRC2:SCRATCH_EN: 0
; COMPUTE_PGM_RSRC2:USER_SGPR: 6
; COMPUTE_PGM_RSRC2:TRAP_HANDLER: 0
; COMPUTE_PGM_RSRC2:TGID_X_EN: 1
; COMPUTE_PGM_RSRC2:TGID_Y_EN: 0
; COMPUTE_PGM_RSRC2:TGID_Z_EN: 0
; COMPUTE_PGM_RSRC2:TIDIG_COMP_CNT: 0
	.section	.text._ZN7rocprim17ROCPRIM_400000_NS6detail17trampoline_kernelINS0_14default_configENS1_36segmented_radix_sort_config_selectorIflEEZNS1_25segmented_radix_sort_implIS3_Lb0EPKfPfPKlPlN2at6native12_GLOBAL__N_18offset_tEEE10hipError_tPvRmT1_PNSt15iterator_traitsISK_E10value_typeET2_T3_PNSL_ISQ_E10value_typeET4_jRbjT5_SW_jjP12ihipStream_tbEUlT_E1_NS1_11comp_targetILNS1_3genE5ELNS1_11target_archE942ELNS1_3gpuE9ELNS1_3repE0EEENS1_59segmented_radix_sort_warp_sort_small_config_static_selectorELNS0_4arch9wavefront6targetE0EEEvSK_,"axG",@progbits,_ZN7rocprim17ROCPRIM_400000_NS6detail17trampoline_kernelINS0_14default_configENS1_36segmented_radix_sort_config_selectorIflEEZNS1_25segmented_radix_sort_implIS3_Lb0EPKfPfPKlPlN2at6native12_GLOBAL__N_18offset_tEEE10hipError_tPvRmT1_PNSt15iterator_traitsISK_E10value_typeET2_T3_PNSL_ISQ_E10value_typeET4_jRbjT5_SW_jjP12ihipStream_tbEUlT_E1_NS1_11comp_targetILNS1_3genE5ELNS1_11target_archE942ELNS1_3gpuE9ELNS1_3repE0EEENS1_59segmented_radix_sort_warp_sort_small_config_static_selectorELNS0_4arch9wavefront6targetE0EEEvSK_,comdat
	.globl	_ZN7rocprim17ROCPRIM_400000_NS6detail17trampoline_kernelINS0_14default_configENS1_36segmented_radix_sort_config_selectorIflEEZNS1_25segmented_radix_sort_implIS3_Lb0EPKfPfPKlPlN2at6native12_GLOBAL__N_18offset_tEEE10hipError_tPvRmT1_PNSt15iterator_traitsISK_E10value_typeET2_T3_PNSL_ISQ_E10value_typeET4_jRbjT5_SW_jjP12ihipStream_tbEUlT_E1_NS1_11comp_targetILNS1_3genE5ELNS1_11target_archE942ELNS1_3gpuE9ELNS1_3repE0EEENS1_59segmented_radix_sort_warp_sort_small_config_static_selectorELNS0_4arch9wavefront6targetE0EEEvSK_ ; -- Begin function _ZN7rocprim17ROCPRIM_400000_NS6detail17trampoline_kernelINS0_14default_configENS1_36segmented_radix_sort_config_selectorIflEEZNS1_25segmented_radix_sort_implIS3_Lb0EPKfPfPKlPlN2at6native12_GLOBAL__N_18offset_tEEE10hipError_tPvRmT1_PNSt15iterator_traitsISK_E10value_typeET2_T3_PNSL_ISQ_E10value_typeET4_jRbjT5_SW_jjP12ihipStream_tbEUlT_E1_NS1_11comp_targetILNS1_3genE5ELNS1_11target_archE942ELNS1_3gpuE9ELNS1_3repE0EEENS1_59segmented_radix_sort_warp_sort_small_config_static_selectorELNS0_4arch9wavefront6targetE0EEEvSK_
	.p2align	8
	.type	_ZN7rocprim17ROCPRIM_400000_NS6detail17trampoline_kernelINS0_14default_configENS1_36segmented_radix_sort_config_selectorIflEEZNS1_25segmented_radix_sort_implIS3_Lb0EPKfPfPKlPlN2at6native12_GLOBAL__N_18offset_tEEE10hipError_tPvRmT1_PNSt15iterator_traitsISK_E10value_typeET2_T3_PNSL_ISQ_E10value_typeET4_jRbjT5_SW_jjP12ihipStream_tbEUlT_E1_NS1_11comp_targetILNS1_3genE5ELNS1_11target_archE942ELNS1_3gpuE9ELNS1_3repE0EEENS1_59segmented_radix_sort_warp_sort_small_config_static_selectorELNS0_4arch9wavefront6targetE0EEEvSK_,@function
_ZN7rocprim17ROCPRIM_400000_NS6detail17trampoline_kernelINS0_14default_configENS1_36segmented_radix_sort_config_selectorIflEEZNS1_25segmented_radix_sort_implIS3_Lb0EPKfPfPKlPlN2at6native12_GLOBAL__N_18offset_tEEE10hipError_tPvRmT1_PNSt15iterator_traitsISK_E10value_typeET2_T3_PNSL_ISQ_E10value_typeET4_jRbjT5_SW_jjP12ihipStream_tbEUlT_E1_NS1_11comp_targetILNS1_3genE5ELNS1_11target_archE942ELNS1_3gpuE9ELNS1_3repE0EEENS1_59segmented_radix_sort_warp_sort_small_config_static_selectorELNS0_4arch9wavefront6targetE0EEEvSK_: ; @_ZN7rocprim17ROCPRIM_400000_NS6detail17trampoline_kernelINS0_14default_configENS1_36segmented_radix_sort_config_selectorIflEEZNS1_25segmented_radix_sort_implIS3_Lb0EPKfPfPKlPlN2at6native12_GLOBAL__N_18offset_tEEE10hipError_tPvRmT1_PNSt15iterator_traitsISK_E10value_typeET2_T3_PNSL_ISQ_E10value_typeET4_jRbjT5_SW_jjP12ihipStream_tbEUlT_E1_NS1_11comp_targetILNS1_3genE5ELNS1_11target_archE942ELNS1_3gpuE9ELNS1_3repE0EEENS1_59segmented_radix_sort_warp_sort_small_config_static_selectorELNS0_4arch9wavefront6targetE0EEEvSK_
; %bb.0:
	.section	.rodata,"a",@progbits
	.p2align	6, 0x0
	.amdhsa_kernel _ZN7rocprim17ROCPRIM_400000_NS6detail17trampoline_kernelINS0_14default_configENS1_36segmented_radix_sort_config_selectorIflEEZNS1_25segmented_radix_sort_implIS3_Lb0EPKfPfPKlPlN2at6native12_GLOBAL__N_18offset_tEEE10hipError_tPvRmT1_PNSt15iterator_traitsISK_E10value_typeET2_T3_PNSL_ISQ_E10value_typeET4_jRbjT5_SW_jjP12ihipStream_tbEUlT_E1_NS1_11comp_targetILNS1_3genE5ELNS1_11target_archE942ELNS1_3gpuE9ELNS1_3repE0EEENS1_59segmented_radix_sort_warp_sort_small_config_static_selectorELNS0_4arch9wavefront6targetE0EEEvSK_
		.amdhsa_group_segment_fixed_size 0
		.amdhsa_private_segment_fixed_size 0
		.amdhsa_kernarg_size 88
		.amdhsa_user_sgpr_count 6
		.amdhsa_user_sgpr_private_segment_buffer 1
		.amdhsa_user_sgpr_dispatch_ptr 0
		.amdhsa_user_sgpr_queue_ptr 0
		.amdhsa_user_sgpr_kernarg_segment_ptr 1
		.amdhsa_user_sgpr_dispatch_id 0
		.amdhsa_user_sgpr_flat_scratch_init 0
		.amdhsa_user_sgpr_private_segment_size 0
		.amdhsa_wavefront_size32 1
		.amdhsa_uses_dynamic_stack 0
		.amdhsa_system_sgpr_private_segment_wavefront_offset 0
		.amdhsa_system_sgpr_workgroup_id_x 1
		.amdhsa_system_sgpr_workgroup_id_y 0
		.amdhsa_system_sgpr_workgroup_id_z 0
		.amdhsa_system_sgpr_workgroup_info 0
		.amdhsa_system_vgpr_workitem_id 0
		.amdhsa_next_free_vgpr 1
		.amdhsa_next_free_sgpr 1
		.amdhsa_reserve_vcc 0
		.amdhsa_reserve_flat_scratch 0
		.amdhsa_float_round_mode_32 0
		.amdhsa_float_round_mode_16_64 0
		.amdhsa_float_denorm_mode_32 3
		.amdhsa_float_denorm_mode_16_64 3
		.amdhsa_dx10_clamp 1
		.amdhsa_ieee_mode 1
		.amdhsa_fp16_overflow 0
		.amdhsa_workgroup_processor_mode 1
		.amdhsa_memory_ordered 1
		.amdhsa_forward_progress 1
		.amdhsa_shared_vgpr_count 0
		.amdhsa_exception_fp_ieee_invalid_op 0
		.amdhsa_exception_fp_denorm_src 0
		.amdhsa_exception_fp_ieee_div_zero 0
		.amdhsa_exception_fp_ieee_overflow 0
		.amdhsa_exception_fp_ieee_underflow 0
		.amdhsa_exception_fp_ieee_inexact 0
		.amdhsa_exception_int_div_zero 0
	.end_amdhsa_kernel
	.section	.text._ZN7rocprim17ROCPRIM_400000_NS6detail17trampoline_kernelINS0_14default_configENS1_36segmented_radix_sort_config_selectorIflEEZNS1_25segmented_radix_sort_implIS3_Lb0EPKfPfPKlPlN2at6native12_GLOBAL__N_18offset_tEEE10hipError_tPvRmT1_PNSt15iterator_traitsISK_E10value_typeET2_T3_PNSL_ISQ_E10value_typeET4_jRbjT5_SW_jjP12ihipStream_tbEUlT_E1_NS1_11comp_targetILNS1_3genE5ELNS1_11target_archE942ELNS1_3gpuE9ELNS1_3repE0EEENS1_59segmented_radix_sort_warp_sort_small_config_static_selectorELNS0_4arch9wavefront6targetE0EEEvSK_,"axG",@progbits,_ZN7rocprim17ROCPRIM_400000_NS6detail17trampoline_kernelINS0_14default_configENS1_36segmented_radix_sort_config_selectorIflEEZNS1_25segmented_radix_sort_implIS3_Lb0EPKfPfPKlPlN2at6native12_GLOBAL__N_18offset_tEEE10hipError_tPvRmT1_PNSt15iterator_traitsISK_E10value_typeET2_T3_PNSL_ISQ_E10value_typeET4_jRbjT5_SW_jjP12ihipStream_tbEUlT_E1_NS1_11comp_targetILNS1_3genE5ELNS1_11target_archE942ELNS1_3gpuE9ELNS1_3repE0EEENS1_59segmented_radix_sort_warp_sort_small_config_static_selectorELNS0_4arch9wavefront6targetE0EEEvSK_,comdat
.Lfunc_end1441:
	.size	_ZN7rocprim17ROCPRIM_400000_NS6detail17trampoline_kernelINS0_14default_configENS1_36segmented_radix_sort_config_selectorIflEEZNS1_25segmented_radix_sort_implIS3_Lb0EPKfPfPKlPlN2at6native12_GLOBAL__N_18offset_tEEE10hipError_tPvRmT1_PNSt15iterator_traitsISK_E10value_typeET2_T3_PNSL_ISQ_E10value_typeET4_jRbjT5_SW_jjP12ihipStream_tbEUlT_E1_NS1_11comp_targetILNS1_3genE5ELNS1_11target_archE942ELNS1_3gpuE9ELNS1_3repE0EEENS1_59segmented_radix_sort_warp_sort_small_config_static_selectorELNS0_4arch9wavefront6targetE0EEEvSK_, .Lfunc_end1441-_ZN7rocprim17ROCPRIM_400000_NS6detail17trampoline_kernelINS0_14default_configENS1_36segmented_radix_sort_config_selectorIflEEZNS1_25segmented_radix_sort_implIS3_Lb0EPKfPfPKlPlN2at6native12_GLOBAL__N_18offset_tEEE10hipError_tPvRmT1_PNSt15iterator_traitsISK_E10value_typeET2_T3_PNSL_ISQ_E10value_typeET4_jRbjT5_SW_jjP12ihipStream_tbEUlT_E1_NS1_11comp_targetILNS1_3genE5ELNS1_11target_archE942ELNS1_3gpuE9ELNS1_3repE0EEENS1_59segmented_radix_sort_warp_sort_small_config_static_selectorELNS0_4arch9wavefront6targetE0EEEvSK_
                                        ; -- End function
	.set _ZN7rocprim17ROCPRIM_400000_NS6detail17trampoline_kernelINS0_14default_configENS1_36segmented_radix_sort_config_selectorIflEEZNS1_25segmented_radix_sort_implIS3_Lb0EPKfPfPKlPlN2at6native12_GLOBAL__N_18offset_tEEE10hipError_tPvRmT1_PNSt15iterator_traitsISK_E10value_typeET2_T3_PNSL_ISQ_E10value_typeET4_jRbjT5_SW_jjP12ihipStream_tbEUlT_E1_NS1_11comp_targetILNS1_3genE5ELNS1_11target_archE942ELNS1_3gpuE9ELNS1_3repE0EEENS1_59segmented_radix_sort_warp_sort_small_config_static_selectorELNS0_4arch9wavefront6targetE0EEEvSK_.num_vgpr, 0
	.set _ZN7rocprim17ROCPRIM_400000_NS6detail17trampoline_kernelINS0_14default_configENS1_36segmented_radix_sort_config_selectorIflEEZNS1_25segmented_radix_sort_implIS3_Lb0EPKfPfPKlPlN2at6native12_GLOBAL__N_18offset_tEEE10hipError_tPvRmT1_PNSt15iterator_traitsISK_E10value_typeET2_T3_PNSL_ISQ_E10value_typeET4_jRbjT5_SW_jjP12ihipStream_tbEUlT_E1_NS1_11comp_targetILNS1_3genE5ELNS1_11target_archE942ELNS1_3gpuE9ELNS1_3repE0EEENS1_59segmented_radix_sort_warp_sort_small_config_static_selectorELNS0_4arch9wavefront6targetE0EEEvSK_.num_agpr, 0
	.set _ZN7rocprim17ROCPRIM_400000_NS6detail17trampoline_kernelINS0_14default_configENS1_36segmented_radix_sort_config_selectorIflEEZNS1_25segmented_radix_sort_implIS3_Lb0EPKfPfPKlPlN2at6native12_GLOBAL__N_18offset_tEEE10hipError_tPvRmT1_PNSt15iterator_traitsISK_E10value_typeET2_T3_PNSL_ISQ_E10value_typeET4_jRbjT5_SW_jjP12ihipStream_tbEUlT_E1_NS1_11comp_targetILNS1_3genE5ELNS1_11target_archE942ELNS1_3gpuE9ELNS1_3repE0EEENS1_59segmented_radix_sort_warp_sort_small_config_static_selectorELNS0_4arch9wavefront6targetE0EEEvSK_.numbered_sgpr, 0
	.set _ZN7rocprim17ROCPRIM_400000_NS6detail17trampoline_kernelINS0_14default_configENS1_36segmented_radix_sort_config_selectorIflEEZNS1_25segmented_radix_sort_implIS3_Lb0EPKfPfPKlPlN2at6native12_GLOBAL__N_18offset_tEEE10hipError_tPvRmT1_PNSt15iterator_traitsISK_E10value_typeET2_T3_PNSL_ISQ_E10value_typeET4_jRbjT5_SW_jjP12ihipStream_tbEUlT_E1_NS1_11comp_targetILNS1_3genE5ELNS1_11target_archE942ELNS1_3gpuE9ELNS1_3repE0EEENS1_59segmented_radix_sort_warp_sort_small_config_static_selectorELNS0_4arch9wavefront6targetE0EEEvSK_.num_named_barrier, 0
	.set _ZN7rocprim17ROCPRIM_400000_NS6detail17trampoline_kernelINS0_14default_configENS1_36segmented_radix_sort_config_selectorIflEEZNS1_25segmented_radix_sort_implIS3_Lb0EPKfPfPKlPlN2at6native12_GLOBAL__N_18offset_tEEE10hipError_tPvRmT1_PNSt15iterator_traitsISK_E10value_typeET2_T3_PNSL_ISQ_E10value_typeET4_jRbjT5_SW_jjP12ihipStream_tbEUlT_E1_NS1_11comp_targetILNS1_3genE5ELNS1_11target_archE942ELNS1_3gpuE9ELNS1_3repE0EEENS1_59segmented_radix_sort_warp_sort_small_config_static_selectorELNS0_4arch9wavefront6targetE0EEEvSK_.private_seg_size, 0
	.set _ZN7rocprim17ROCPRIM_400000_NS6detail17trampoline_kernelINS0_14default_configENS1_36segmented_radix_sort_config_selectorIflEEZNS1_25segmented_radix_sort_implIS3_Lb0EPKfPfPKlPlN2at6native12_GLOBAL__N_18offset_tEEE10hipError_tPvRmT1_PNSt15iterator_traitsISK_E10value_typeET2_T3_PNSL_ISQ_E10value_typeET4_jRbjT5_SW_jjP12ihipStream_tbEUlT_E1_NS1_11comp_targetILNS1_3genE5ELNS1_11target_archE942ELNS1_3gpuE9ELNS1_3repE0EEENS1_59segmented_radix_sort_warp_sort_small_config_static_selectorELNS0_4arch9wavefront6targetE0EEEvSK_.uses_vcc, 0
	.set _ZN7rocprim17ROCPRIM_400000_NS6detail17trampoline_kernelINS0_14default_configENS1_36segmented_radix_sort_config_selectorIflEEZNS1_25segmented_radix_sort_implIS3_Lb0EPKfPfPKlPlN2at6native12_GLOBAL__N_18offset_tEEE10hipError_tPvRmT1_PNSt15iterator_traitsISK_E10value_typeET2_T3_PNSL_ISQ_E10value_typeET4_jRbjT5_SW_jjP12ihipStream_tbEUlT_E1_NS1_11comp_targetILNS1_3genE5ELNS1_11target_archE942ELNS1_3gpuE9ELNS1_3repE0EEENS1_59segmented_radix_sort_warp_sort_small_config_static_selectorELNS0_4arch9wavefront6targetE0EEEvSK_.uses_flat_scratch, 0
	.set _ZN7rocprim17ROCPRIM_400000_NS6detail17trampoline_kernelINS0_14default_configENS1_36segmented_radix_sort_config_selectorIflEEZNS1_25segmented_radix_sort_implIS3_Lb0EPKfPfPKlPlN2at6native12_GLOBAL__N_18offset_tEEE10hipError_tPvRmT1_PNSt15iterator_traitsISK_E10value_typeET2_T3_PNSL_ISQ_E10value_typeET4_jRbjT5_SW_jjP12ihipStream_tbEUlT_E1_NS1_11comp_targetILNS1_3genE5ELNS1_11target_archE942ELNS1_3gpuE9ELNS1_3repE0EEENS1_59segmented_radix_sort_warp_sort_small_config_static_selectorELNS0_4arch9wavefront6targetE0EEEvSK_.has_dyn_sized_stack, 0
	.set _ZN7rocprim17ROCPRIM_400000_NS6detail17trampoline_kernelINS0_14default_configENS1_36segmented_radix_sort_config_selectorIflEEZNS1_25segmented_radix_sort_implIS3_Lb0EPKfPfPKlPlN2at6native12_GLOBAL__N_18offset_tEEE10hipError_tPvRmT1_PNSt15iterator_traitsISK_E10value_typeET2_T3_PNSL_ISQ_E10value_typeET4_jRbjT5_SW_jjP12ihipStream_tbEUlT_E1_NS1_11comp_targetILNS1_3genE5ELNS1_11target_archE942ELNS1_3gpuE9ELNS1_3repE0EEENS1_59segmented_radix_sort_warp_sort_small_config_static_selectorELNS0_4arch9wavefront6targetE0EEEvSK_.has_recursion, 0
	.set _ZN7rocprim17ROCPRIM_400000_NS6detail17trampoline_kernelINS0_14default_configENS1_36segmented_radix_sort_config_selectorIflEEZNS1_25segmented_radix_sort_implIS3_Lb0EPKfPfPKlPlN2at6native12_GLOBAL__N_18offset_tEEE10hipError_tPvRmT1_PNSt15iterator_traitsISK_E10value_typeET2_T3_PNSL_ISQ_E10value_typeET4_jRbjT5_SW_jjP12ihipStream_tbEUlT_E1_NS1_11comp_targetILNS1_3genE5ELNS1_11target_archE942ELNS1_3gpuE9ELNS1_3repE0EEENS1_59segmented_radix_sort_warp_sort_small_config_static_selectorELNS0_4arch9wavefront6targetE0EEEvSK_.has_indirect_call, 0
	.section	.AMDGPU.csdata,"",@progbits
; Kernel info:
; codeLenInByte = 0
; TotalNumSgprs: 0
; NumVgprs: 0
; ScratchSize: 0
; MemoryBound: 0
; FloatMode: 240
; IeeeMode: 1
; LDSByteSize: 0 bytes/workgroup (compile time only)
; SGPRBlocks: 0
; VGPRBlocks: 0
; NumSGPRsForWavesPerEU: 1
; NumVGPRsForWavesPerEU: 1
; Occupancy: 16
; WaveLimiterHint : 0
; COMPUTE_PGM_RSRC2:SCRATCH_EN: 0
; COMPUTE_PGM_RSRC2:USER_SGPR: 6
; COMPUTE_PGM_RSRC2:TRAP_HANDLER: 0
; COMPUTE_PGM_RSRC2:TGID_X_EN: 1
; COMPUTE_PGM_RSRC2:TGID_Y_EN: 0
; COMPUTE_PGM_RSRC2:TGID_Z_EN: 0
; COMPUTE_PGM_RSRC2:TIDIG_COMP_CNT: 0
	.section	.text._ZN7rocprim17ROCPRIM_400000_NS6detail17trampoline_kernelINS0_14default_configENS1_36segmented_radix_sort_config_selectorIflEEZNS1_25segmented_radix_sort_implIS3_Lb0EPKfPfPKlPlN2at6native12_GLOBAL__N_18offset_tEEE10hipError_tPvRmT1_PNSt15iterator_traitsISK_E10value_typeET2_T3_PNSL_ISQ_E10value_typeET4_jRbjT5_SW_jjP12ihipStream_tbEUlT_E1_NS1_11comp_targetILNS1_3genE4ELNS1_11target_archE910ELNS1_3gpuE8ELNS1_3repE0EEENS1_59segmented_radix_sort_warp_sort_small_config_static_selectorELNS0_4arch9wavefront6targetE0EEEvSK_,"axG",@progbits,_ZN7rocprim17ROCPRIM_400000_NS6detail17trampoline_kernelINS0_14default_configENS1_36segmented_radix_sort_config_selectorIflEEZNS1_25segmented_radix_sort_implIS3_Lb0EPKfPfPKlPlN2at6native12_GLOBAL__N_18offset_tEEE10hipError_tPvRmT1_PNSt15iterator_traitsISK_E10value_typeET2_T3_PNSL_ISQ_E10value_typeET4_jRbjT5_SW_jjP12ihipStream_tbEUlT_E1_NS1_11comp_targetILNS1_3genE4ELNS1_11target_archE910ELNS1_3gpuE8ELNS1_3repE0EEENS1_59segmented_radix_sort_warp_sort_small_config_static_selectorELNS0_4arch9wavefront6targetE0EEEvSK_,comdat
	.globl	_ZN7rocprim17ROCPRIM_400000_NS6detail17trampoline_kernelINS0_14default_configENS1_36segmented_radix_sort_config_selectorIflEEZNS1_25segmented_radix_sort_implIS3_Lb0EPKfPfPKlPlN2at6native12_GLOBAL__N_18offset_tEEE10hipError_tPvRmT1_PNSt15iterator_traitsISK_E10value_typeET2_T3_PNSL_ISQ_E10value_typeET4_jRbjT5_SW_jjP12ihipStream_tbEUlT_E1_NS1_11comp_targetILNS1_3genE4ELNS1_11target_archE910ELNS1_3gpuE8ELNS1_3repE0EEENS1_59segmented_radix_sort_warp_sort_small_config_static_selectorELNS0_4arch9wavefront6targetE0EEEvSK_ ; -- Begin function _ZN7rocprim17ROCPRIM_400000_NS6detail17trampoline_kernelINS0_14default_configENS1_36segmented_radix_sort_config_selectorIflEEZNS1_25segmented_radix_sort_implIS3_Lb0EPKfPfPKlPlN2at6native12_GLOBAL__N_18offset_tEEE10hipError_tPvRmT1_PNSt15iterator_traitsISK_E10value_typeET2_T3_PNSL_ISQ_E10value_typeET4_jRbjT5_SW_jjP12ihipStream_tbEUlT_E1_NS1_11comp_targetILNS1_3genE4ELNS1_11target_archE910ELNS1_3gpuE8ELNS1_3repE0EEENS1_59segmented_radix_sort_warp_sort_small_config_static_selectorELNS0_4arch9wavefront6targetE0EEEvSK_
	.p2align	8
	.type	_ZN7rocprim17ROCPRIM_400000_NS6detail17trampoline_kernelINS0_14default_configENS1_36segmented_radix_sort_config_selectorIflEEZNS1_25segmented_radix_sort_implIS3_Lb0EPKfPfPKlPlN2at6native12_GLOBAL__N_18offset_tEEE10hipError_tPvRmT1_PNSt15iterator_traitsISK_E10value_typeET2_T3_PNSL_ISQ_E10value_typeET4_jRbjT5_SW_jjP12ihipStream_tbEUlT_E1_NS1_11comp_targetILNS1_3genE4ELNS1_11target_archE910ELNS1_3gpuE8ELNS1_3repE0EEENS1_59segmented_radix_sort_warp_sort_small_config_static_selectorELNS0_4arch9wavefront6targetE0EEEvSK_,@function
_ZN7rocprim17ROCPRIM_400000_NS6detail17trampoline_kernelINS0_14default_configENS1_36segmented_radix_sort_config_selectorIflEEZNS1_25segmented_radix_sort_implIS3_Lb0EPKfPfPKlPlN2at6native12_GLOBAL__N_18offset_tEEE10hipError_tPvRmT1_PNSt15iterator_traitsISK_E10value_typeET2_T3_PNSL_ISQ_E10value_typeET4_jRbjT5_SW_jjP12ihipStream_tbEUlT_E1_NS1_11comp_targetILNS1_3genE4ELNS1_11target_archE910ELNS1_3gpuE8ELNS1_3repE0EEENS1_59segmented_radix_sort_warp_sort_small_config_static_selectorELNS0_4arch9wavefront6targetE0EEEvSK_: ; @_ZN7rocprim17ROCPRIM_400000_NS6detail17trampoline_kernelINS0_14default_configENS1_36segmented_radix_sort_config_selectorIflEEZNS1_25segmented_radix_sort_implIS3_Lb0EPKfPfPKlPlN2at6native12_GLOBAL__N_18offset_tEEE10hipError_tPvRmT1_PNSt15iterator_traitsISK_E10value_typeET2_T3_PNSL_ISQ_E10value_typeET4_jRbjT5_SW_jjP12ihipStream_tbEUlT_E1_NS1_11comp_targetILNS1_3genE4ELNS1_11target_archE910ELNS1_3gpuE8ELNS1_3repE0EEENS1_59segmented_radix_sort_warp_sort_small_config_static_selectorELNS0_4arch9wavefront6targetE0EEEvSK_
; %bb.0:
	.section	.rodata,"a",@progbits
	.p2align	6, 0x0
	.amdhsa_kernel _ZN7rocprim17ROCPRIM_400000_NS6detail17trampoline_kernelINS0_14default_configENS1_36segmented_radix_sort_config_selectorIflEEZNS1_25segmented_radix_sort_implIS3_Lb0EPKfPfPKlPlN2at6native12_GLOBAL__N_18offset_tEEE10hipError_tPvRmT1_PNSt15iterator_traitsISK_E10value_typeET2_T3_PNSL_ISQ_E10value_typeET4_jRbjT5_SW_jjP12ihipStream_tbEUlT_E1_NS1_11comp_targetILNS1_3genE4ELNS1_11target_archE910ELNS1_3gpuE8ELNS1_3repE0EEENS1_59segmented_radix_sort_warp_sort_small_config_static_selectorELNS0_4arch9wavefront6targetE0EEEvSK_
		.amdhsa_group_segment_fixed_size 0
		.amdhsa_private_segment_fixed_size 0
		.amdhsa_kernarg_size 88
		.amdhsa_user_sgpr_count 6
		.amdhsa_user_sgpr_private_segment_buffer 1
		.amdhsa_user_sgpr_dispatch_ptr 0
		.amdhsa_user_sgpr_queue_ptr 0
		.amdhsa_user_sgpr_kernarg_segment_ptr 1
		.amdhsa_user_sgpr_dispatch_id 0
		.amdhsa_user_sgpr_flat_scratch_init 0
		.amdhsa_user_sgpr_private_segment_size 0
		.amdhsa_wavefront_size32 1
		.amdhsa_uses_dynamic_stack 0
		.amdhsa_system_sgpr_private_segment_wavefront_offset 0
		.amdhsa_system_sgpr_workgroup_id_x 1
		.amdhsa_system_sgpr_workgroup_id_y 0
		.amdhsa_system_sgpr_workgroup_id_z 0
		.amdhsa_system_sgpr_workgroup_info 0
		.amdhsa_system_vgpr_workitem_id 0
		.amdhsa_next_free_vgpr 1
		.amdhsa_next_free_sgpr 1
		.amdhsa_reserve_vcc 0
		.amdhsa_reserve_flat_scratch 0
		.amdhsa_float_round_mode_32 0
		.amdhsa_float_round_mode_16_64 0
		.amdhsa_float_denorm_mode_32 3
		.amdhsa_float_denorm_mode_16_64 3
		.amdhsa_dx10_clamp 1
		.amdhsa_ieee_mode 1
		.amdhsa_fp16_overflow 0
		.amdhsa_workgroup_processor_mode 1
		.amdhsa_memory_ordered 1
		.amdhsa_forward_progress 1
		.amdhsa_shared_vgpr_count 0
		.amdhsa_exception_fp_ieee_invalid_op 0
		.amdhsa_exception_fp_denorm_src 0
		.amdhsa_exception_fp_ieee_div_zero 0
		.amdhsa_exception_fp_ieee_overflow 0
		.amdhsa_exception_fp_ieee_underflow 0
		.amdhsa_exception_fp_ieee_inexact 0
		.amdhsa_exception_int_div_zero 0
	.end_amdhsa_kernel
	.section	.text._ZN7rocprim17ROCPRIM_400000_NS6detail17trampoline_kernelINS0_14default_configENS1_36segmented_radix_sort_config_selectorIflEEZNS1_25segmented_radix_sort_implIS3_Lb0EPKfPfPKlPlN2at6native12_GLOBAL__N_18offset_tEEE10hipError_tPvRmT1_PNSt15iterator_traitsISK_E10value_typeET2_T3_PNSL_ISQ_E10value_typeET4_jRbjT5_SW_jjP12ihipStream_tbEUlT_E1_NS1_11comp_targetILNS1_3genE4ELNS1_11target_archE910ELNS1_3gpuE8ELNS1_3repE0EEENS1_59segmented_radix_sort_warp_sort_small_config_static_selectorELNS0_4arch9wavefront6targetE0EEEvSK_,"axG",@progbits,_ZN7rocprim17ROCPRIM_400000_NS6detail17trampoline_kernelINS0_14default_configENS1_36segmented_radix_sort_config_selectorIflEEZNS1_25segmented_radix_sort_implIS3_Lb0EPKfPfPKlPlN2at6native12_GLOBAL__N_18offset_tEEE10hipError_tPvRmT1_PNSt15iterator_traitsISK_E10value_typeET2_T3_PNSL_ISQ_E10value_typeET4_jRbjT5_SW_jjP12ihipStream_tbEUlT_E1_NS1_11comp_targetILNS1_3genE4ELNS1_11target_archE910ELNS1_3gpuE8ELNS1_3repE0EEENS1_59segmented_radix_sort_warp_sort_small_config_static_selectorELNS0_4arch9wavefront6targetE0EEEvSK_,comdat
.Lfunc_end1442:
	.size	_ZN7rocprim17ROCPRIM_400000_NS6detail17trampoline_kernelINS0_14default_configENS1_36segmented_radix_sort_config_selectorIflEEZNS1_25segmented_radix_sort_implIS3_Lb0EPKfPfPKlPlN2at6native12_GLOBAL__N_18offset_tEEE10hipError_tPvRmT1_PNSt15iterator_traitsISK_E10value_typeET2_T3_PNSL_ISQ_E10value_typeET4_jRbjT5_SW_jjP12ihipStream_tbEUlT_E1_NS1_11comp_targetILNS1_3genE4ELNS1_11target_archE910ELNS1_3gpuE8ELNS1_3repE0EEENS1_59segmented_radix_sort_warp_sort_small_config_static_selectorELNS0_4arch9wavefront6targetE0EEEvSK_, .Lfunc_end1442-_ZN7rocprim17ROCPRIM_400000_NS6detail17trampoline_kernelINS0_14default_configENS1_36segmented_radix_sort_config_selectorIflEEZNS1_25segmented_radix_sort_implIS3_Lb0EPKfPfPKlPlN2at6native12_GLOBAL__N_18offset_tEEE10hipError_tPvRmT1_PNSt15iterator_traitsISK_E10value_typeET2_T3_PNSL_ISQ_E10value_typeET4_jRbjT5_SW_jjP12ihipStream_tbEUlT_E1_NS1_11comp_targetILNS1_3genE4ELNS1_11target_archE910ELNS1_3gpuE8ELNS1_3repE0EEENS1_59segmented_radix_sort_warp_sort_small_config_static_selectorELNS0_4arch9wavefront6targetE0EEEvSK_
                                        ; -- End function
	.set _ZN7rocprim17ROCPRIM_400000_NS6detail17trampoline_kernelINS0_14default_configENS1_36segmented_radix_sort_config_selectorIflEEZNS1_25segmented_radix_sort_implIS3_Lb0EPKfPfPKlPlN2at6native12_GLOBAL__N_18offset_tEEE10hipError_tPvRmT1_PNSt15iterator_traitsISK_E10value_typeET2_T3_PNSL_ISQ_E10value_typeET4_jRbjT5_SW_jjP12ihipStream_tbEUlT_E1_NS1_11comp_targetILNS1_3genE4ELNS1_11target_archE910ELNS1_3gpuE8ELNS1_3repE0EEENS1_59segmented_radix_sort_warp_sort_small_config_static_selectorELNS0_4arch9wavefront6targetE0EEEvSK_.num_vgpr, 0
	.set _ZN7rocprim17ROCPRIM_400000_NS6detail17trampoline_kernelINS0_14default_configENS1_36segmented_radix_sort_config_selectorIflEEZNS1_25segmented_radix_sort_implIS3_Lb0EPKfPfPKlPlN2at6native12_GLOBAL__N_18offset_tEEE10hipError_tPvRmT1_PNSt15iterator_traitsISK_E10value_typeET2_T3_PNSL_ISQ_E10value_typeET4_jRbjT5_SW_jjP12ihipStream_tbEUlT_E1_NS1_11comp_targetILNS1_3genE4ELNS1_11target_archE910ELNS1_3gpuE8ELNS1_3repE0EEENS1_59segmented_radix_sort_warp_sort_small_config_static_selectorELNS0_4arch9wavefront6targetE0EEEvSK_.num_agpr, 0
	.set _ZN7rocprim17ROCPRIM_400000_NS6detail17trampoline_kernelINS0_14default_configENS1_36segmented_radix_sort_config_selectorIflEEZNS1_25segmented_radix_sort_implIS3_Lb0EPKfPfPKlPlN2at6native12_GLOBAL__N_18offset_tEEE10hipError_tPvRmT1_PNSt15iterator_traitsISK_E10value_typeET2_T3_PNSL_ISQ_E10value_typeET4_jRbjT5_SW_jjP12ihipStream_tbEUlT_E1_NS1_11comp_targetILNS1_3genE4ELNS1_11target_archE910ELNS1_3gpuE8ELNS1_3repE0EEENS1_59segmented_radix_sort_warp_sort_small_config_static_selectorELNS0_4arch9wavefront6targetE0EEEvSK_.numbered_sgpr, 0
	.set _ZN7rocprim17ROCPRIM_400000_NS6detail17trampoline_kernelINS0_14default_configENS1_36segmented_radix_sort_config_selectorIflEEZNS1_25segmented_radix_sort_implIS3_Lb0EPKfPfPKlPlN2at6native12_GLOBAL__N_18offset_tEEE10hipError_tPvRmT1_PNSt15iterator_traitsISK_E10value_typeET2_T3_PNSL_ISQ_E10value_typeET4_jRbjT5_SW_jjP12ihipStream_tbEUlT_E1_NS1_11comp_targetILNS1_3genE4ELNS1_11target_archE910ELNS1_3gpuE8ELNS1_3repE0EEENS1_59segmented_radix_sort_warp_sort_small_config_static_selectorELNS0_4arch9wavefront6targetE0EEEvSK_.num_named_barrier, 0
	.set _ZN7rocprim17ROCPRIM_400000_NS6detail17trampoline_kernelINS0_14default_configENS1_36segmented_radix_sort_config_selectorIflEEZNS1_25segmented_radix_sort_implIS3_Lb0EPKfPfPKlPlN2at6native12_GLOBAL__N_18offset_tEEE10hipError_tPvRmT1_PNSt15iterator_traitsISK_E10value_typeET2_T3_PNSL_ISQ_E10value_typeET4_jRbjT5_SW_jjP12ihipStream_tbEUlT_E1_NS1_11comp_targetILNS1_3genE4ELNS1_11target_archE910ELNS1_3gpuE8ELNS1_3repE0EEENS1_59segmented_radix_sort_warp_sort_small_config_static_selectorELNS0_4arch9wavefront6targetE0EEEvSK_.private_seg_size, 0
	.set _ZN7rocprim17ROCPRIM_400000_NS6detail17trampoline_kernelINS0_14default_configENS1_36segmented_radix_sort_config_selectorIflEEZNS1_25segmented_radix_sort_implIS3_Lb0EPKfPfPKlPlN2at6native12_GLOBAL__N_18offset_tEEE10hipError_tPvRmT1_PNSt15iterator_traitsISK_E10value_typeET2_T3_PNSL_ISQ_E10value_typeET4_jRbjT5_SW_jjP12ihipStream_tbEUlT_E1_NS1_11comp_targetILNS1_3genE4ELNS1_11target_archE910ELNS1_3gpuE8ELNS1_3repE0EEENS1_59segmented_radix_sort_warp_sort_small_config_static_selectorELNS0_4arch9wavefront6targetE0EEEvSK_.uses_vcc, 0
	.set _ZN7rocprim17ROCPRIM_400000_NS6detail17trampoline_kernelINS0_14default_configENS1_36segmented_radix_sort_config_selectorIflEEZNS1_25segmented_radix_sort_implIS3_Lb0EPKfPfPKlPlN2at6native12_GLOBAL__N_18offset_tEEE10hipError_tPvRmT1_PNSt15iterator_traitsISK_E10value_typeET2_T3_PNSL_ISQ_E10value_typeET4_jRbjT5_SW_jjP12ihipStream_tbEUlT_E1_NS1_11comp_targetILNS1_3genE4ELNS1_11target_archE910ELNS1_3gpuE8ELNS1_3repE0EEENS1_59segmented_radix_sort_warp_sort_small_config_static_selectorELNS0_4arch9wavefront6targetE0EEEvSK_.uses_flat_scratch, 0
	.set _ZN7rocprim17ROCPRIM_400000_NS6detail17trampoline_kernelINS0_14default_configENS1_36segmented_radix_sort_config_selectorIflEEZNS1_25segmented_radix_sort_implIS3_Lb0EPKfPfPKlPlN2at6native12_GLOBAL__N_18offset_tEEE10hipError_tPvRmT1_PNSt15iterator_traitsISK_E10value_typeET2_T3_PNSL_ISQ_E10value_typeET4_jRbjT5_SW_jjP12ihipStream_tbEUlT_E1_NS1_11comp_targetILNS1_3genE4ELNS1_11target_archE910ELNS1_3gpuE8ELNS1_3repE0EEENS1_59segmented_radix_sort_warp_sort_small_config_static_selectorELNS0_4arch9wavefront6targetE0EEEvSK_.has_dyn_sized_stack, 0
	.set _ZN7rocprim17ROCPRIM_400000_NS6detail17trampoline_kernelINS0_14default_configENS1_36segmented_radix_sort_config_selectorIflEEZNS1_25segmented_radix_sort_implIS3_Lb0EPKfPfPKlPlN2at6native12_GLOBAL__N_18offset_tEEE10hipError_tPvRmT1_PNSt15iterator_traitsISK_E10value_typeET2_T3_PNSL_ISQ_E10value_typeET4_jRbjT5_SW_jjP12ihipStream_tbEUlT_E1_NS1_11comp_targetILNS1_3genE4ELNS1_11target_archE910ELNS1_3gpuE8ELNS1_3repE0EEENS1_59segmented_radix_sort_warp_sort_small_config_static_selectorELNS0_4arch9wavefront6targetE0EEEvSK_.has_recursion, 0
	.set _ZN7rocprim17ROCPRIM_400000_NS6detail17trampoline_kernelINS0_14default_configENS1_36segmented_radix_sort_config_selectorIflEEZNS1_25segmented_radix_sort_implIS3_Lb0EPKfPfPKlPlN2at6native12_GLOBAL__N_18offset_tEEE10hipError_tPvRmT1_PNSt15iterator_traitsISK_E10value_typeET2_T3_PNSL_ISQ_E10value_typeET4_jRbjT5_SW_jjP12ihipStream_tbEUlT_E1_NS1_11comp_targetILNS1_3genE4ELNS1_11target_archE910ELNS1_3gpuE8ELNS1_3repE0EEENS1_59segmented_radix_sort_warp_sort_small_config_static_selectorELNS0_4arch9wavefront6targetE0EEEvSK_.has_indirect_call, 0
	.section	.AMDGPU.csdata,"",@progbits
; Kernel info:
; codeLenInByte = 0
; TotalNumSgprs: 0
; NumVgprs: 0
; ScratchSize: 0
; MemoryBound: 0
; FloatMode: 240
; IeeeMode: 1
; LDSByteSize: 0 bytes/workgroup (compile time only)
; SGPRBlocks: 0
; VGPRBlocks: 0
; NumSGPRsForWavesPerEU: 1
; NumVGPRsForWavesPerEU: 1
; Occupancy: 16
; WaveLimiterHint : 0
; COMPUTE_PGM_RSRC2:SCRATCH_EN: 0
; COMPUTE_PGM_RSRC2:USER_SGPR: 6
; COMPUTE_PGM_RSRC2:TRAP_HANDLER: 0
; COMPUTE_PGM_RSRC2:TGID_X_EN: 1
; COMPUTE_PGM_RSRC2:TGID_Y_EN: 0
; COMPUTE_PGM_RSRC2:TGID_Z_EN: 0
; COMPUTE_PGM_RSRC2:TIDIG_COMP_CNT: 0
	.section	.text._ZN7rocprim17ROCPRIM_400000_NS6detail17trampoline_kernelINS0_14default_configENS1_36segmented_radix_sort_config_selectorIflEEZNS1_25segmented_radix_sort_implIS3_Lb0EPKfPfPKlPlN2at6native12_GLOBAL__N_18offset_tEEE10hipError_tPvRmT1_PNSt15iterator_traitsISK_E10value_typeET2_T3_PNSL_ISQ_E10value_typeET4_jRbjT5_SW_jjP12ihipStream_tbEUlT_E1_NS1_11comp_targetILNS1_3genE3ELNS1_11target_archE908ELNS1_3gpuE7ELNS1_3repE0EEENS1_59segmented_radix_sort_warp_sort_small_config_static_selectorELNS0_4arch9wavefront6targetE0EEEvSK_,"axG",@progbits,_ZN7rocprim17ROCPRIM_400000_NS6detail17trampoline_kernelINS0_14default_configENS1_36segmented_radix_sort_config_selectorIflEEZNS1_25segmented_radix_sort_implIS3_Lb0EPKfPfPKlPlN2at6native12_GLOBAL__N_18offset_tEEE10hipError_tPvRmT1_PNSt15iterator_traitsISK_E10value_typeET2_T3_PNSL_ISQ_E10value_typeET4_jRbjT5_SW_jjP12ihipStream_tbEUlT_E1_NS1_11comp_targetILNS1_3genE3ELNS1_11target_archE908ELNS1_3gpuE7ELNS1_3repE0EEENS1_59segmented_radix_sort_warp_sort_small_config_static_selectorELNS0_4arch9wavefront6targetE0EEEvSK_,comdat
	.globl	_ZN7rocprim17ROCPRIM_400000_NS6detail17trampoline_kernelINS0_14default_configENS1_36segmented_radix_sort_config_selectorIflEEZNS1_25segmented_radix_sort_implIS3_Lb0EPKfPfPKlPlN2at6native12_GLOBAL__N_18offset_tEEE10hipError_tPvRmT1_PNSt15iterator_traitsISK_E10value_typeET2_T3_PNSL_ISQ_E10value_typeET4_jRbjT5_SW_jjP12ihipStream_tbEUlT_E1_NS1_11comp_targetILNS1_3genE3ELNS1_11target_archE908ELNS1_3gpuE7ELNS1_3repE0EEENS1_59segmented_radix_sort_warp_sort_small_config_static_selectorELNS0_4arch9wavefront6targetE0EEEvSK_ ; -- Begin function _ZN7rocprim17ROCPRIM_400000_NS6detail17trampoline_kernelINS0_14default_configENS1_36segmented_radix_sort_config_selectorIflEEZNS1_25segmented_radix_sort_implIS3_Lb0EPKfPfPKlPlN2at6native12_GLOBAL__N_18offset_tEEE10hipError_tPvRmT1_PNSt15iterator_traitsISK_E10value_typeET2_T3_PNSL_ISQ_E10value_typeET4_jRbjT5_SW_jjP12ihipStream_tbEUlT_E1_NS1_11comp_targetILNS1_3genE3ELNS1_11target_archE908ELNS1_3gpuE7ELNS1_3repE0EEENS1_59segmented_radix_sort_warp_sort_small_config_static_selectorELNS0_4arch9wavefront6targetE0EEEvSK_
	.p2align	8
	.type	_ZN7rocprim17ROCPRIM_400000_NS6detail17trampoline_kernelINS0_14default_configENS1_36segmented_radix_sort_config_selectorIflEEZNS1_25segmented_radix_sort_implIS3_Lb0EPKfPfPKlPlN2at6native12_GLOBAL__N_18offset_tEEE10hipError_tPvRmT1_PNSt15iterator_traitsISK_E10value_typeET2_T3_PNSL_ISQ_E10value_typeET4_jRbjT5_SW_jjP12ihipStream_tbEUlT_E1_NS1_11comp_targetILNS1_3genE3ELNS1_11target_archE908ELNS1_3gpuE7ELNS1_3repE0EEENS1_59segmented_radix_sort_warp_sort_small_config_static_selectorELNS0_4arch9wavefront6targetE0EEEvSK_,@function
_ZN7rocprim17ROCPRIM_400000_NS6detail17trampoline_kernelINS0_14default_configENS1_36segmented_radix_sort_config_selectorIflEEZNS1_25segmented_radix_sort_implIS3_Lb0EPKfPfPKlPlN2at6native12_GLOBAL__N_18offset_tEEE10hipError_tPvRmT1_PNSt15iterator_traitsISK_E10value_typeET2_T3_PNSL_ISQ_E10value_typeET4_jRbjT5_SW_jjP12ihipStream_tbEUlT_E1_NS1_11comp_targetILNS1_3genE3ELNS1_11target_archE908ELNS1_3gpuE7ELNS1_3repE0EEENS1_59segmented_radix_sort_warp_sort_small_config_static_selectorELNS0_4arch9wavefront6targetE0EEEvSK_: ; @_ZN7rocprim17ROCPRIM_400000_NS6detail17trampoline_kernelINS0_14default_configENS1_36segmented_radix_sort_config_selectorIflEEZNS1_25segmented_radix_sort_implIS3_Lb0EPKfPfPKlPlN2at6native12_GLOBAL__N_18offset_tEEE10hipError_tPvRmT1_PNSt15iterator_traitsISK_E10value_typeET2_T3_PNSL_ISQ_E10value_typeET4_jRbjT5_SW_jjP12ihipStream_tbEUlT_E1_NS1_11comp_targetILNS1_3genE3ELNS1_11target_archE908ELNS1_3gpuE7ELNS1_3repE0EEENS1_59segmented_radix_sort_warp_sort_small_config_static_selectorELNS0_4arch9wavefront6targetE0EEEvSK_
; %bb.0:
	.section	.rodata,"a",@progbits
	.p2align	6, 0x0
	.amdhsa_kernel _ZN7rocprim17ROCPRIM_400000_NS6detail17trampoline_kernelINS0_14default_configENS1_36segmented_radix_sort_config_selectorIflEEZNS1_25segmented_radix_sort_implIS3_Lb0EPKfPfPKlPlN2at6native12_GLOBAL__N_18offset_tEEE10hipError_tPvRmT1_PNSt15iterator_traitsISK_E10value_typeET2_T3_PNSL_ISQ_E10value_typeET4_jRbjT5_SW_jjP12ihipStream_tbEUlT_E1_NS1_11comp_targetILNS1_3genE3ELNS1_11target_archE908ELNS1_3gpuE7ELNS1_3repE0EEENS1_59segmented_radix_sort_warp_sort_small_config_static_selectorELNS0_4arch9wavefront6targetE0EEEvSK_
		.amdhsa_group_segment_fixed_size 0
		.amdhsa_private_segment_fixed_size 0
		.amdhsa_kernarg_size 88
		.amdhsa_user_sgpr_count 6
		.amdhsa_user_sgpr_private_segment_buffer 1
		.amdhsa_user_sgpr_dispatch_ptr 0
		.amdhsa_user_sgpr_queue_ptr 0
		.amdhsa_user_sgpr_kernarg_segment_ptr 1
		.amdhsa_user_sgpr_dispatch_id 0
		.amdhsa_user_sgpr_flat_scratch_init 0
		.amdhsa_user_sgpr_private_segment_size 0
		.amdhsa_wavefront_size32 1
		.amdhsa_uses_dynamic_stack 0
		.amdhsa_system_sgpr_private_segment_wavefront_offset 0
		.amdhsa_system_sgpr_workgroup_id_x 1
		.amdhsa_system_sgpr_workgroup_id_y 0
		.amdhsa_system_sgpr_workgroup_id_z 0
		.amdhsa_system_sgpr_workgroup_info 0
		.amdhsa_system_vgpr_workitem_id 0
		.amdhsa_next_free_vgpr 1
		.amdhsa_next_free_sgpr 1
		.amdhsa_reserve_vcc 0
		.amdhsa_reserve_flat_scratch 0
		.amdhsa_float_round_mode_32 0
		.amdhsa_float_round_mode_16_64 0
		.amdhsa_float_denorm_mode_32 3
		.amdhsa_float_denorm_mode_16_64 3
		.amdhsa_dx10_clamp 1
		.amdhsa_ieee_mode 1
		.amdhsa_fp16_overflow 0
		.amdhsa_workgroup_processor_mode 1
		.amdhsa_memory_ordered 1
		.amdhsa_forward_progress 1
		.amdhsa_shared_vgpr_count 0
		.amdhsa_exception_fp_ieee_invalid_op 0
		.amdhsa_exception_fp_denorm_src 0
		.amdhsa_exception_fp_ieee_div_zero 0
		.amdhsa_exception_fp_ieee_overflow 0
		.amdhsa_exception_fp_ieee_underflow 0
		.amdhsa_exception_fp_ieee_inexact 0
		.amdhsa_exception_int_div_zero 0
	.end_amdhsa_kernel
	.section	.text._ZN7rocprim17ROCPRIM_400000_NS6detail17trampoline_kernelINS0_14default_configENS1_36segmented_radix_sort_config_selectorIflEEZNS1_25segmented_radix_sort_implIS3_Lb0EPKfPfPKlPlN2at6native12_GLOBAL__N_18offset_tEEE10hipError_tPvRmT1_PNSt15iterator_traitsISK_E10value_typeET2_T3_PNSL_ISQ_E10value_typeET4_jRbjT5_SW_jjP12ihipStream_tbEUlT_E1_NS1_11comp_targetILNS1_3genE3ELNS1_11target_archE908ELNS1_3gpuE7ELNS1_3repE0EEENS1_59segmented_radix_sort_warp_sort_small_config_static_selectorELNS0_4arch9wavefront6targetE0EEEvSK_,"axG",@progbits,_ZN7rocprim17ROCPRIM_400000_NS6detail17trampoline_kernelINS0_14default_configENS1_36segmented_radix_sort_config_selectorIflEEZNS1_25segmented_radix_sort_implIS3_Lb0EPKfPfPKlPlN2at6native12_GLOBAL__N_18offset_tEEE10hipError_tPvRmT1_PNSt15iterator_traitsISK_E10value_typeET2_T3_PNSL_ISQ_E10value_typeET4_jRbjT5_SW_jjP12ihipStream_tbEUlT_E1_NS1_11comp_targetILNS1_3genE3ELNS1_11target_archE908ELNS1_3gpuE7ELNS1_3repE0EEENS1_59segmented_radix_sort_warp_sort_small_config_static_selectorELNS0_4arch9wavefront6targetE0EEEvSK_,comdat
.Lfunc_end1443:
	.size	_ZN7rocprim17ROCPRIM_400000_NS6detail17trampoline_kernelINS0_14default_configENS1_36segmented_radix_sort_config_selectorIflEEZNS1_25segmented_radix_sort_implIS3_Lb0EPKfPfPKlPlN2at6native12_GLOBAL__N_18offset_tEEE10hipError_tPvRmT1_PNSt15iterator_traitsISK_E10value_typeET2_T3_PNSL_ISQ_E10value_typeET4_jRbjT5_SW_jjP12ihipStream_tbEUlT_E1_NS1_11comp_targetILNS1_3genE3ELNS1_11target_archE908ELNS1_3gpuE7ELNS1_3repE0EEENS1_59segmented_radix_sort_warp_sort_small_config_static_selectorELNS0_4arch9wavefront6targetE0EEEvSK_, .Lfunc_end1443-_ZN7rocprim17ROCPRIM_400000_NS6detail17trampoline_kernelINS0_14default_configENS1_36segmented_radix_sort_config_selectorIflEEZNS1_25segmented_radix_sort_implIS3_Lb0EPKfPfPKlPlN2at6native12_GLOBAL__N_18offset_tEEE10hipError_tPvRmT1_PNSt15iterator_traitsISK_E10value_typeET2_T3_PNSL_ISQ_E10value_typeET4_jRbjT5_SW_jjP12ihipStream_tbEUlT_E1_NS1_11comp_targetILNS1_3genE3ELNS1_11target_archE908ELNS1_3gpuE7ELNS1_3repE0EEENS1_59segmented_radix_sort_warp_sort_small_config_static_selectorELNS0_4arch9wavefront6targetE0EEEvSK_
                                        ; -- End function
	.set _ZN7rocprim17ROCPRIM_400000_NS6detail17trampoline_kernelINS0_14default_configENS1_36segmented_radix_sort_config_selectorIflEEZNS1_25segmented_radix_sort_implIS3_Lb0EPKfPfPKlPlN2at6native12_GLOBAL__N_18offset_tEEE10hipError_tPvRmT1_PNSt15iterator_traitsISK_E10value_typeET2_T3_PNSL_ISQ_E10value_typeET4_jRbjT5_SW_jjP12ihipStream_tbEUlT_E1_NS1_11comp_targetILNS1_3genE3ELNS1_11target_archE908ELNS1_3gpuE7ELNS1_3repE0EEENS1_59segmented_radix_sort_warp_sort_small_config_static_selectorELNS0_4arch9wavefront6targetE0EEEvSK_.num_vgpr, 0
	.set _ZN7rocprim17ROCPRIM_400000_NS6detail17trampoline_kernelINS0_14default_configENS1_36segmented_radix_sort_config_selectorIflEEZNS1_25segmented_radix_sort_implIS3_Lb0EPKfPfPKlPlN2at6native12_GLOBAL__N_18offset_tEEE10hipError_tPvRmT1_PNSt15iterator_traitsISK_E10value_typeET2_T3_PNSL_ISQ_E10value_typeET4_jRbjT5_SW_jjP12ihipStream_tbEUlT_E1_NS1_11comp_targetILNS1_3genE3ELNS1_11target_archE908ELNS1_3gpuE7ELNS1_3repE0EEENS1_59segmented_radix_sort_warp_sort_small_config_static_selectorELNS0_4arch9wavefront6targetE0EEEvSK_.num_agpr, 0
	.set _ZN7rocprim17ROCPRIM_400000_NS6detail17trampoline_kernelINS0_14default_configENS1_36segmented_radix_sort_config_selectorIflEEZNS1_25segmented_radix_sort_implIS3_Lb0EPKfPfPKlPlN2at6native12_GLOBAL__N_18offset_tEEE10hipError_tPvRmT1_PNSt15iterator_traitsISK_E10value_typeET2_T3_PNSL_ISQ_E10value_typeET4_jRbjT5_SW_jjP12ihipStream_tbEUlT_E1_NS1_11comp_targetILNS1_3genE3ELNS1_11target_archE908ELNS1_3gpuE7ELNS1_3repE0EEENS1_59segmented_radix_sort_warp_sort_small_config_static_selectorELNS0_4arch9wavefront6targetE0EEEvSK_.numbered_sgpr, 0
	.set _ZN7rocprim17ROCPRIM_400000_NS6detail17trampoline_kernelINS0_14default_configENS1_36segmented_radix_sort_config_selectorIflEEZNS1_25segmented_radix_sort_implIS3_Lb0EPKfPfPKlPlN2at6native12_GLOBAL__N_18offset_tEEE10hipError_tPvRmT1_PNSt15iterator_traitsISK_E10value_typeET2_T3_PNSL_ISQ_E10value_typeET4_jRbjT5_SW_jjP12ihipStream_tbEUlT_E1_NS1_11comp_targetILNS1_3genE3ELNS1_11target_archE908ELNS1_3gpuE7ELNS1_3repE0EEENS1_59segmented_radix_sort_warp_sort_small_config_static_selectorELNS0_4arch9wavefront6targetE0EEEvSK_.num_named_barrier, 0
	.set _ZN7rocprim17ROCPRIM_400000_NS6detail17trampoline_kernelINS0_14default_configENS1_36segmented_radix_sort_config_selectorIflEEZNS1_25segmented_radix_sort_implIS3_Lb0EPKfPfPKlPlN2at6native12_GLOBAL__N_18offset_tEEE10hipError_tPvRmT1_PNSt15iterator_traitsISK_E10value_typeET2_T3_PNSL_ISQ_E10value_typeET4_jRbjT5_SW_jjP12ihipStream_tbEUlT_E1_NS1_11comp_targetILNS1_3genE3ELNS1_11target_archE908ELNS1_3gpuE7ELNS1_3repE0EEENS1_59segmented_radix_sort_warp_sort_small_config_static_selectorELNS0_4arch9wavefront6targetE0EEEvSK_.private_seg_size, 0
	.set _ZN7rocprim17ROCPRIM_400000_NS6detail17trampoline_kernelINS0_14default_configENS1_36segmented_radix_sort_config_selectorIflEEZNS1_25segmented_radix_sort_implIS3_Lb0EPKfPfPKlPlN2at6native12_GLOBAL__N_18offset_tEEE10hipError_tPvRmT1_PNSt15iterator_traitsISK_E10value_typeET2_T3_PNSL_ISQ_E10value_typeET4_jRbjT5_SW_jjP12ihipStream_tbEUlT_E1_NS1_11comp_targetILNS1_3genE3ELNS1_11target_archE908ELNS1_3gpuE7ELNS1_3repE0EEENS1_59segmented_radix_sort_warp_sort_small_config_static_selectorELNS0_4arch9wavefront6targetE0EEEvSK_.uses_vcc, 0
	.set _ZN7rocprim17ROCPRIM_400000_NS6detail17trampoline_kernelINS0_14default_configENS1_36segmented_radix_sort_config_selectorIflEEZNS1_25segmented_radix_sort_implIS3_Lb0EPKfPfPKlPlN2at6native12_GLOBAL__N_18offset_tEEE10hipError_tPvRmT1_PNSt15iterator_traitsISK_E10value_typeET2_T3_PNSL_ISQ_E10value_typeET4_jRbjT5_SW_jjP12ihipStream_tbEUlT_E1_NS1_11comp_targetILNS1_3genE3ELNS1_11target_archE908ELNS1_3gpuE7ELNS1_3repE0EEENS1_59segmented_radix_sort_warp_sort_small_config_static_selectorELNS0_4arch9wavefront6targetE0EEEvSK_.uses_flat_scratch, 0
	.set _ZN7rocprim17ROCPRIM_400000_NS6detail17trampoline_kernelINS0_14default_configENS1_36segmented_radix_sort_config_selectorIflEEZNS1_25segmented_radix_sort_implIS3_Lb0EPKfPfPKlPlN2at6native12_GLOBAL__N_18offset_tEEE10hipError_tPvRmT1_PNSt15iterator_traitsISK_E10value_typeET2_T3_PNSL_ISQ_E10value_typeET4_jRbjT5_SW_jjP12ihipStream_tbEUlT_E1_NS1_11comp_targetILNS1_3genE3ELNS1_11target_archE908ELNS1_3gpuE7ELNS1_3repE0EEENS1_59segmented_radix_sort_warp_sort_small_config_static_selectorELNS0_4arch9wavefront6targetE0EEEvSK_.has_dyn_sized_stack, 0
	.set _ZN7rocprim17ROCPRIM_400000_NS6detail17trampoline_kernelINS0_14default_configENS1_36segmented_radix_sort_config_selectorIflEEZNS1_25segmented_radix_sort_implIS3_Lb0EPKfPfPKlPlN2at6native12_GLOBAL__N_18offset_tEEE10hipError_tPvRmT1_PNSt15iterator_traitsISK_E10value_typeET2_T3_PNSL_ISQ_E10value_typeET4_jRbjT5_SW_jjP12ihipStream_tbEUlT_E1_NS1_11comp_targetILNS1_3genE3ELNS1_11target_archE908ELNS1_3gpuE7ELNS1_3repE0EEENS1_59segmented_radix_sort_warp_sort_small_config_static_selectorELNS0_4arch9wavefront6targetE0EEEvSK_.has_recursion, 0
	.set _ZN7rocprim17ROCPRIM_400000_NS6detail17trampoline_kernelINS0_14default_configENS1_36segmented_radix_sort_config_selectorIflEEZNS1_25segmented_radix_sort_implIS3_Lb0EPKfPfPKlPlN2at6native12_GLOBAL__N_18offset_tEEE10hipError_tPvRmT1_PNSt15iterator_traitsISK_E10value_typeET2_T3_PNSL_ISQ_E10value_typeET4_jRbjT5_SW_jjP12ihipStream_tbEUlT_E1_NS1_11comp_targetILNS1_3genE3ELNS1_11target_archE908ELNS1_3gpuE7ELNS1_3repE0EEENS1_59segmented_radix_sort_warp_sort_small_config_static_selectorELNS0_4arch9wavefront6targetE0EEEvSK_.has_indirect_call, 0
	.section	.AMDGPU.csdata,"",@progbits
; Kernel info:
; codeLenInByte = 0
; TotalNumSgprs: 0
; NumVgprs: 0
; ScratchSize: 0
; MemoryBound: 0
; FloatMode: 240
; IeeeMode: 1
; LDSByteSize: 0 bytes/workgroup (compile time only)
; SGPRBlocks: 0
; VGPRBlocks: 0
; NumSGPRsForWavesPerEU: 1
; NumVGPRsForWavesPerEU: 1
; Occupancy: 16
; WaveLimiterHint : 0
; COMPUTE_PGM_RSRC2:SCRATCH_EN: 0
; COMPUTE_PGM_RSRC2:USER_SGPR: 6
; COMPUTE_PGM_RSRC2:TRAP_HANDLER: 0
; COMPUTE_PGM_RSRC2:TGID_X_EN: 1
; COMPUTE_PGM_RSRC2:TGID_Y_EN: 0
; COMPUTE_PGM_RSRC2:TGID_Z_EN: 0
; COMPUTE_PGM_RSRC2:TIDIG_COMP_CNT: 0
	.section	.text._ZN7rocprim17ROCPRIM_400000_NS6detail17trampoline_kernelINS0_14default_configENS1_36segmented_radix_sort_config_selectorIflEEZNS1_25segmented_radix_sort_implIS3_Lb0EPKfPfPKlPlN2at6native12_GLOBAL__N_18offset_tEEE10hipError_tPvRmT1_PNSt15iterator_traitsISK_E10value_typeET2_T3_PNSL_ISQ_E10value_typeET4_jRbjT5_SW_jjP12ihipStream_tbEUlT_E1_NS1_11comp_targetILNS1_3genE2ELNS1_11target_archE906ELNS1_3gpuE6ELNS1_3repE0EEENS1_59segmented_radix_sort_warp_sort_small_config_static_selectorELNS0_4arch9wavefront6targetE0EEEvSK_,"axG",@progbits,_ZN7rocprim17ROCPRIM_400000_NS6detail17trampoline_kernelINS0_14default_configENS1_36segmented_radix_sort_config_selectorIflEEZNS1_25segmented_radix_sort_implIS3_Lb0EPKfPfPKlPlN2at6native12_GLOBAL__N_18offset_tEEE10hipError_tPvRmT1_PNSt15iterator_traitsISK_E10value_typeET2_T3_PNSL_ISQ_E10value_typeET4_jRbjT5_SW_jjP12ihipStream_tbEUlT_E1_NS1_11comp_targetILNS1_3genE2ELNS1_11target_archE906ELNS1_3gpuE6ELNS1_3repE0EEENS1_59segmented_radix_sort_warp_sort_small_config_static_selectorELNS0_4arch9wavefront6targetE0EEEvSK_,comdat
	.globl	_ZN7rocprim17ROCPRIM_400000_NS6detail17trampoline_kernelINS0_14default_configENS1_36segmented_radix_sort_config_selectorIflEEZNS1_25segmented_radix_sort_implIS3_Lb0EPKfPfPKlPlN2at6native12_GLOBAL__N_18offset_tEEE10hipError_tPvRmT1_PNSt15iterator_traitsISK_E10value_typeET2_T3_PNSL_ISQ_E10value_typeET4_jRbjT5_SW_jjP12ihipStream_tbEUlT_E1_NS1_11comp_targetILNS1_3genE2ELNS1_11target_archE906ELNS1_3gpuE6ELNS1_3repE0EEENS1_59segmented_radix_sort_warp_sort_small_config_static_selectorELNS0_4arch9wavefront6targetE0EEEvSK_ ; -- Begin function _ZN7rocprim17ROCPRIM_400000_NS6detail17trampoline_kernelINS0_14default_configENS1_36segmented_radix_sort_config_selectorIflEEZNS1_25segmented_radix_sort_implIS3_Lb0EPKfPfPKlPlN2at6native12_GLOBAL__N_18offset_tEEE10hipError_tPvRmT1_PNSt15iterator_traitsISK_E10value_typeET2_T3_PNSL_ISQ_E10value_typeET4_jRbjT5_SW_jjP12ihipStream_tbEUlT_E1_NS1_11comp_targetILNS1_3genE2ELNS1_11target_archE906ELNS1_3gpuE6ELNS1_3repE0EEENS1_59segmented_radix_sort_warp_sort_small_config_static_selectorELNS0_4arch9wavefront6targetE0EEEvSK_
	.p2align	8
	.type	_ZN7rocprim17ROCPRIM_400000_NS6detail17trampoline_kernelINS0_14default_configENS1_36segmented_radix_sort_config_selectorIflEEZNS1_25segmented_radix_sort_implIS3_Lb0EPKfPfPKlPlN2at6native12_GLOBAL__N_18offset_tEEE10hipError_tPvRmT1_PNSt15iterator_traitsISK_E10value_typeET2_T3_PNSL_ISQ_E10value_typeET4_jRbjT5_SW_jjP12ihipStream_tbEUlT_E1_NS1_11comp_targetILNS1_3genE2ELNS1_11target_archE906ELNS1_3gpuE6ELNS1_3repE0EEENS1_59segmented_radix_sort_warp_sort_small_config_static_selectorELNS0_4arch9wavefront6targetE0EEEvSK_,@function
_ZN7rocprim17ROCPRIM_400000_NS6detail17trampoline_kernelINS0_14default_configENS1_36segmented_radix_sort_config_selectorIflEEZNS1_25segmented_radix_sort_implIS3_Lb0EPKfPfPKlPlN2at6native12_GLOBAL__N_18offset_tEEE10hipError_tPvRmT1_PNSt15iterator_traitsISK_E10value_typeET2_T3_PNSL_ISQ_E10value_typeET4_jRbjT5_SW_jjP12ihipStream_tbEUlT_E1_NS1_11comp_targetILNS1_3genE2ELNS1_11target_archE906ELNS1_3gpuE6ELNS1_3repE0EEENS1_59segmented_radix_sort_warp_sort_small_config_static_selectorELNS0_4arch9wavefront6targetE0EEEvSK_: ; @_ZN7rocprim17ROCPRIM_400000_NS6detail17trampoline_kernelINS0_14default_configENS1_36segmented_radix_sort_config_selectorIflEEZNS1_25segmented_radix_sort_implIS3_Lb0EPKfPfPKlPlN2at6native12_GLOBAL__N_18offset_tEEE10hipError_tPvRmT1_PNSt15iterator_traitsISK_E10value_typeET2_T3_PNSL_ISQ_E10value_typeET4_jRbjT5_SW_jjP12ihipStream_tbEUlT_E1_NS1_11comp_targetILNS1_3genE2ELNS1_11target_archE906ELNS1_3gpuE6ELNS1_3repE0EEENS1_59segmented_radix_sort_warp_sort_small_config_static_selectorELNS0_4arch9wavefront6targetE0EEEvSK_
; %bb.0:
	.section	.rodata,"a",@progbits
	.p2align	6, 0x0
	.amdhsa_kernel _ZN7rocprim17ROCPRIM_400000_NS6detail17trampoline_kernelINS0_14default_configENS1_36segmented_radix_sort_config_selectorIflEEZNS1_25segmented_radix_sort_implIS3_Lb0EPKfPfPKlPlN2at6native12_GLOBAL__N_18offset_tEEE10hipError_tPvRmT1_PNSt15iterator_traitsISK_E10value_typeET2_T3_PNSL_ISQ_E10value_typeET4_jRbjT5_SW_jjP12ihipStream_tbEUlT_E1_NS1_11comp_targetILNS1_3genE2ELNS1_11target_archE906ELNS1_3gpuE6ELNS1_3repE0EEENS1_59segmented_radix_sort_warp_sort_small_config_static_selectorELNS0_4arch9wavefront6targetE0EEEvSK_
		.amdhsa_group_segment_fixed_size 0
		.amdhsa_private_segment_fixed_size 0
		.amdhsa_kernarg_size 88
		.amdhsa_user_sgpr_count 6
		.amdhsa_user_sgpr_private_segment_buffer 1
		.amdhsa_user_sgpr_dispatch_ptr 0
		.amdhsa_user_sgpr_queue_ptr 0
		.amdhsa_user_sgpr_kernarg_segment_ptr 1
		.amdhsa_user_sgpr_dispatch_id 0
		.amdhsa_user_sgpr_flat_scratch_init 0
		.amdhsa_user_sgpr_private_segment_size 0
		.amdhsa_wavefront_size32 1
		.amdhsa_uses_dynamic_stack 0
		.amdhsa_system_sgpr_private_segment_wavefront_offset 0
		.amdhsa_system_sgpr_workgroup_id_x 1
		.amdhsa_system_sgpr_workgroup_id_y 0
		.amdhsa_system_sgpr_workgroup_id_z 0
		.amdhsa_system_sgpr_workgroup_info 0
		.amdhsa_system_vgpr_workitem_id 0
		.amdhsa_next_free_vgpr 1
		.amdhsa_next_free_sgpr 1
		.amdhsa_reserve_vcc 0
		.amdhsa_reserve_flat_scratch 0
		.amdhsa_float_round_mode_32 0
		.amdhsa_float_round_mode_16_64 0
		.amdhsa_float_denorm_mode_32 3
		.amdhsa_float_denorm_mode_16_64 3
		.amdhsa_dx10_clamp 1
		.amdhsa_ieee_mode 1
		.amdhsa_fp16_overflow 0
		.amdhsa_workgroup_processor_mode 1
		.amdhsa_memory_ordered 1
		.amdhsa_forward_progress 1
		.amdhsa_shared_vgpr_count 0
		.amdhsa_exception_fp_ieee_invalid_op 0
		.amdhsa_exception_fp_denorm_src 0
		.amdhsa_exception_fp_ieee_div_zero 0
		.amdhsa_exception_fp_ieee_overflow 0
		.amdhsa_exception_fp_ieee_underflow 0
		.amdhsa_exception_fp_ieee_inexact 0
		.amdhsa_exception_int_div_zero 0
	.end_amdhsa_kernel
	.section	.text._ZN7rocprim17ROCPRIM_400000_NS6detail17trampoline_kernelINS0_14default_configENS1_36segmented_radix_sort_config_selectorIflEEZNS1_25segmented_radix_sort_implIS3_Lb0EPKfPfPKlPlN2at6native12_GLOBAL__N_18offset_tEEE10hipError_tPvRmT1_PNSt15iterator_traitsISK_E10value_typeET2_T3_PNSL_ISQ_E10value_typeET4_jRbjT5_SW_jjP12ihipStream_tbEUlT_E1_NS1_11comp_targetILNS1_3genE2ELNS1_11target_archE906ELNS1_3gpuE6ELNS1_3repE0EEENS1_59segmented_radix_sort_warp_sort_small_config_static_selectorELNS0_4arch9wavefront6targetE0EEEvSK_,"axG",@progbits,_ZN7rocprim17ROCPRIM_400000_NS6detail17trampoline_kernelINS0_14default_configENS1_36segmented_radix_sort_config_selectorIflEEZNS1_25segmented_radix_sort_implIS3_Lb0EPKfPfPKlPlN2at6native12_GLOBAL__N_18offset_tEEE10hipError_tPvRmT1_PNSt15iterator_traitsISK_E10value_typeET2_T3_PNSL_ISQ_E10value_typeET4_jRbjT5_SW_jjP12ihipStream_tbEUlT_E1_NS1_11comp_targetILNS1_3genE2ELNS1_11target_archE906ELNS1_3gpuE6ELNS1_3repE0EEENS1_59segmented_radix_sort_warp_sort_small_config_static_selectorELNS0_4arch9wavefront6targetE0EEEvSK_,comdat
.Lfunc_end1444:
	.size	_ZN7rocprim17ROCPRIM_400000_NS6detail17trampoline_kernelINS0_14default_configENS1_36segmented_radix_sort_config_selectorIflEEZNS1_25segmented_radix_sort_implIS3_Lb0EPKfPfPKlPlN2at6native12_GLOBAL__N_18offset_tEEE10hipError_tPvRmT1_PNSt15iterator_traitsISK_E10value_typeET2_T3_PNSL_ISQ_E10value_typeET4_jRbjT5_SW_jjP12ihipStream_tbEUlT_E1_NS1_11comp_targetILNS1_3genE2ELNS1_11target_archE906ELNS1_3gpuE6ELNS1_3repE0EEENS1_59segmented_radix_sort_warp_sort_small_config_static_selectorELNS0_4arch9wavefront6targetE0EEEvSK_, .Lfunc_end1444-_ZN7rocprim17ROCPRIM_400000_NS6detail17trampoline_kernelINS0_14default_configENS1_36segmented_radix_sort_config_selectorIflEEZNS1_25segmented_radix_sort_implIS3_Lb0EPKfPfPKlPlN2at6native12_GLOBAL__N_18offset_tEEE10hipError_tPvRmT1_PNSt15iterator_traitsISK_E10value_typeET2_T3_PNSL_ISQ_E10value_typeET4_jRbjT5_SW_jjP12ihipStream_tbEUlT_E1_NS1_11comp_targetILNS1_3genE2ELNS1_11target_archE906ELNS1_3gpuE6ELNS1_3repE0EEENS1_59segmented_radix_sort_warp_sort_small_config_static_selectorELNS0_4arch9wavefront6targetE0EEEvSK_
                                        ; -- End function
	.set _ZN7rocprim17ROCPRIM_400000_NS6detail17trampoline_kernelINS0_14default_configENS1_36segmented_radix_sort_config_selectorIflEEZNS1_25segmented_radix_sort_implIS3_Lb0EPKfPfPKlPlN2at6native12_GLOBAL__N_18offset_tEEE10hipError_tPvRmT1_PNSt15iterator_traitsISK_E10value_typeET2_T3_PNSL_ISQ_E10value_typeET4_jRbjT5_SW_jjP12ihipStream_tbEUlT_E1_NS1_11comp_targetILNS1_3genE2ELNS1_11target_archE906ELNS1_3gpuE6ELNS1_3repE0EEENS1_59segmented_radix_sort_warp_sort_small_config_static_selectorELNS0_4arch9wavefront6targetE0EEEvSK_.num_vgpr, 0
	.set _ZN7rocprim17ROCPRIM_400000_NS6detail17trampoline_kernelINS0_14default_configENS1_36segmented_radix_sort_config_selectorIflEEZNS1_25segmented_radix_sort_implIS3_Lb0EPKfPfPKlPlN2at6native12_GLOBAL__N_18offset_tEEE10hipError_tPvRmT1_PNSt15iterator_traitsISK_E10value_typeET2_T3_PNSL_ISQ_E10value_typeET4_jRbjT5_SW_jjP12ihipStream_tbEUlT_E1_NS1_11comp_targetILNS1_3genE2ELNS1_11target_archE906ELNS1_3gpuE6ELNS1_3repE0EEENS1_59segmented_radix_sort_warp_sort_small_config_static_selectorELNS0_4arch9wavefront6targetE0EEEvSK_.num_agpr, 0
	.set _ZN7rocprim17ROCPRIM_400000_NS6detail17trampoline_kernelINS0_14default_configENS1_36segmented_radix_sort_config_selectorIflEEZNS1_25segmented_radix_sort_implIS3_Lb0EPKfPfPKlPlN2at6native12_GLOBAL__N_18offset_tEEE10hipError_tPvRmT1_PNSt15iterator_traitsISK_E10value_typeET2_T3_PNSL_ISQ_E10value_typeET4_jRbjT5_SW_jjP12ihipStream_tbEUlT_E1_NS1_11comp_targetILNS1_3genE2ELNS1_11target_archE906ELNS1_3gpuE6ELNS1_3repE0EEENS1_59segmented_radix_sort_warp_sort_small_config_static_selectorELNS0_4arch9wavefront6targetE0EEEvSK_.numbered_sgpr, 0
	.set _ZN7rocprim17ROCPRIM_400000_NS6detail17trampoline_kernelINS0_14default_configENS1_36segmented_radix_sort_config_selectorIflEEZNS1_25segmented_radix_sort_implIS3_Lb0EPKfPfPKlPlN2at6native12_GLOBAL__N_18offset_tEEE10hipError_tPvRmT1_PNSt15iterator_traitsISK_E10value_typeET2_T3_PNSL_ISQ_E10value_typeET4_jRbjT5_SW_jjP12ihipStream_tbEUlT_E1_NS1_11comp_targetILNS1_3genE2ELNS1_11target_archE906ELNS1_3gpuE6ELNS1_3repE0EEENS1_59segmented_radix_sort_warp_sort_small_config_static_selectorELNS0_4arch9wavefront6targetE0EEEvSK_.num_named_barrier, 0
	.set _ZN7rocprim17ROCPRIM_400000_NS6detail17trampoline_kernelINS0_14default_configENS1_36segmented_radix_sort_config_selectorIflEEZNS1_25segmented_radix_sort_implIS3_Lb0EPKfPfPKlPlN2at6native12_GLOBAL__N_18offset_tEEE10hipError_tPvRmT1_PNSt15iterator_traitsISK_E10value_typeET2_T3_PNSL_ISQ_E10value_typeET4_jRbjT5_SW_jjP12ihipStream_tbEUlT_E1_NS1_11comp_targetILNS1_3genE2ELNS1_11target_archE906ELNS1_3gpuE6ELNS1_3repE0EEENS1_59segmented_radix_sort_warp_sort_small_config_static_selectorELNS0_4arch9wavefront6targetE0EEEvSK_.private_seg_size, 0
	.set _ZN7rocprim17ROCPRIM_400000_NS6detail17trampoline_kernelINS0_14default_configENS1_36segmented_radix_sort_config_selectorIflEEZNS1_25segmented_radix_sort_implIS3_Lb0EPKfPfPKlPlN2at6native12_GLOBAL__N_18offset_tEEE10hipError_tPvRmT1_PNSt15iterator_traitsISK_E10value_typeET2_T3_PNSL_ISQ_E10value_typeET4_jRbjT5_SW_jjP12ihipStream_tbEUlT_E1_NS1_11comp_targetILNS1_3genE2ELNS1_11target_archE906ELNS1_3gpuE6ELNS1_3repE0EEENS1_59segmented_radix_sort_warp_sort_small_config_static_selectorELNS0_4arch9wavefront6targetE0EEEvSK_.uses_vcc, 0
	.set _ZN7rocprim17ROCPRIM_400000_NS6detail17trampoline_kernelINS0_14default_configENS1_36segmented_radix_sort_config_selectorIflEEZNS1_25segmented_radix_sort_implIS3_Lb0EPKfPfPKlPlN2at6native12_GLOBAL__N_18offset_tEEE10hipError_tPvRmT1_PNSt15iterator_traitsISK_E10value_typeET2_T3_PNSL_ISQ_E10value_typeET4_jRbjT5_SW_jjP12ihipStream_tbEUlT_E1_NS1_11comp_targetILNS1_3genE2ELNS1_11target_archE906ELNS1_3gpuE6ELNS1_3repE0EEENS1_59segmented_radix_sort_warp_sort_small_config_static_selectorELNS0_4arch9wavefront6targetE0EEEvSK_.uses_flat_scratch, 0
	.set _ZN7rocprim17ROCPRIM_400000_NS6detail17trampoline_kernelINS0_14default_configENS1_36segmented_radix_sort_config_selectorIflEEZNS1_25segmented_radix_sort_implIS3_Lb0EPKfPfPKlPlN2at6native12_GLOBAL__N_18offset_tEEE10hipError_tPvRmT1_PNSt15iterator_traitsISK_E10value_typeET2_T3_PNSL_ISQ_E10value_typeET4_jRbjT5_SW_jjP12ihipStream_tbEUlT_E1_NS1_11comp_targetILNS1_3genE2ELNS1_11target_archE906ELNS1_3gpuE6ELNS1_3repE0EEENS1_59segmented_radix_sort_warp_sort_small_config_static_selectorELNS0_4arch9wavefront6targetE0EEEvSK_.has_dyn_sized_stack, 0
	.set _ZN7rocprim17ROCPRIM_400000_NS6detail17trampoline_kernelINS0_14default_configENS1_36segmented_radix_sort_config_selectorIflEEZNS1_25segmented_radix_sort_implIS3_Lb0EPKfPfPKlPlN2at6native12_GLOBAL__N_18offset_tEEE10hipError_tPvRmT1_PNSt15iterator_traitsISK_E10value_typeET2_T3_PNSL_ISQ_E10value_typeET4_jRbjT5_SW_jjP12ihipStream_tbEUlT_E1_NS1_11comp_targetILNS1_3genE2ELNS1_11target_archE906ELNS1_3gpuE6ELNS1_3repE0EEENS1_59segmented_radix_sort_warp_sort_small_config_static_selectorELNS0_4arch9wavefront6targetE0EEEvSK_.has_recursion, 0
	.set _ZN7rocprim17ROCPRIM_400000_NS6detail17trampoline_kernelINS0_14default_configENS1_36segmented_radix_sort_config_selectorIflEEZNS1_25segmented_radix_sort_implIS3_Lb0EPKfPfPKlPlN2at6native12_GLOBAL__N_18offset_tEEE10hipError_tPvRmT1_PNSt15iterator_traitsISK_E10value_typeET2_T3_PNSL_ISQ_E10value_typeET4_jRbjT5_SW_jjP12ihipStream_tbEUlT_E1_NS1_11comp_targetILNS1_3genE2ELNS1_11target_archE906ELNS1_3gpuE6ELNS1_3repE0EEENS1_59segmented_radix_sort_warp_sort_small_config_static_selectorELNS0_4arch9wavefront6targetE0EEEvSK_.has_indirect_call, 0
	.section	.AMDGPU.csdata,"",@progbits
; Kernel info:
; codeLenInByte = 0
; TotalNumSgprs: 0
; NumVgprs: 0
; ScratchSize: 0
; MemoryBound: 0
; FloatMode: 240
; IeeeMode: 1
; LDSByteSize: 0 bytes/workgroup (compile time only)
; SGPRBlocks: 0
; VGPRBlocks: 0
; NumSGPRsForWavesPerEU: 1
; NumVGPRsForWavesPerEU: 1
; Occupancy: 16
; WaveLimiterHint : 0
; COMPUTE_PGM_RSRC2:SCRATCH_EN: 0
; COMPUTE_PGM_RSRC2:USER_SGPR: 6
; COMPUTE_PGM_RSRC2:TRAP_HANDLER: 0
; COMPUTE_PGM_RSRC2:TGID_X_EN: 1
; COMPUTE_PGM_RSRC2:TGID_Y_EN: 0
; COMPUTE_PGM_RSRC2:TGID_Z_EN: 0
; COMPUTE_PGM_RSRC2:TIDIG_COMP_CNT: 0
	.section	.text._ZN7rocprim17ROCPRIM_400000_NS6detail17trampoline_kernelINS0_14default_configENS1_36segmented_radix_sort_config_selectorIflEEZNS1_25segmented_radix_sort_implIS3_Lb0EPKfPfPKlPlN2at6native12_GLOBAL__N_18offset_tEEE10hipError_tPvRmT1_PNSt15iterator_traitsISK_E10value_typeET2_T3_PNSL_ISQ_E10value_typeET4_jRbjT5_SW_jjP12ihipStream_tbEUlT_E1_NS1_11comp_targetILNS1_3genE10ELNS1_11target_archE1201ELNS1_3gpuE5ELNS1_3repE0EEENS1_59segmented_radix_sort_warp_sort_small_config_static_selectorELNS0_4arch9wavefront6targetE0EEEvSK_,"axG",@progbits,_ZN7rocprim17ROCPRIM_400000_NS6detail17trampoline_kernelINS0_14default_configENS1_36segmented_radix_sort_config_selectorIflEEZNS1_25segmented_radix_sort_implIS3_Lb0EPKfPfPKlPlN2at6native12_GLOBAL__N_18offset_tEEE10hipError_tPvRmT1_PNSt15iterator_traitsISK_E10value_typeET2_T3_PNSL_ISQ_E10value_typeET4_jRbjT5_SW_jjP12ihipStream_tbEUlT_E1_NS1_11comp_targetILNS1_3genE10ELNS1_11target_archE1201ELNS1_3gpuE5ELNS1_3repE0EEENS1_59segmented_radix_sort_warp_sort_small_config_static_selectorELNS0_4arch9wavefront6targetE0EEEvSK_,comdat
	.globl	_ZN7rocprim17ROCPRIM_400000_NS6detail17trampoline_kernelINS0_14default_configENS1_36segmented_radix_sort_config_selectorIflEEZNS1_25segmented_radix_sort_implIS3_Lb0EPKfPfPKlPlN2at6native12_GLOBAL__N_18offset_tEEE10hipError_tPvRmT1_PNSt15iterator_traitsISK_E10value_typeET2_T3_PNSL_ISQ_E10value_typeET4_jRbjT5_SW_jjP12ihipStream_tbEUlT_E1_NS1_11comp_targetILNS1_3genE10ELNS1_11target_archE1201ELNS1_3gpuE5ELNS1_3repE0EEENS1_59segmented_radix_sort_warp_sort_small_config_static_selectorELNS0_4arch9wavefront6targetE0EEEvSK_ ; -- Begin function _ZN7rocprim17ROCPRIM_400000_NS6detail17trampoline_kernelINS0_14default_configENS1_36segmented_radix_sort_config_selectorIflEEZNS1_25segmented_radix_sort_implIS3_Lb0EPKfPfPKlPlN2at6native12_GLOBAL__N_18offset_tEEE10hipError_tPvRmT1_PNSt15iterator_traitsISK_E10value_typeET2_T3_PNSL_ISQ_E10value_typeET4_jRbjT5_SW_jjP12ihipStream_tbEUlT_E1_NS1_11comp_targetILNS1_3genE10ELNS1_11target_archE1201ELNS1_3gpuE5ELNS1_3repE0EEENS1_59segmented_radix_sort_warp_sort_small_config_static_selectorELNS0_4arch9wavefront6targetE0EEEvSK_
	.p2align	8
	.type	_ZN7rocprim17ROCPRIM_400000_NS6detail17trampoline_kernelINS0_14default_configENS1_36segmented_radix_sort_config_selectorIflEEZNS1_25segmented_radix_sort_implIS3_Lb0EPKfPfPKlPlN2at6native12_GLOBAL__N_18offset_tEEE10hipError_tPvRmT1_PNSt15iterator_traitsISK_E10value_typeET2_T3_PNSL_ISQ_E10value_typeET4_jRbjT5_SW_jjP12ihipStream_tbEUlT_E1_NS1_11comp_targetILNS1_3genE10ELNS1_11target_archE1201ELNS1_3gpuE5ELNS1_3repE0EEENS1_59segmented_radix_sort_warp_sort_small_config_static_selectorELNS0_4arch9wavefront6targetE0EEEvSK_,@function
_ZN7rocprim17ROCPRIM_400000_NS6detail17trampoline_kernelINS0_14default_configENS1_36segmented_radix_sort_config_selectorIflEEZNS1_25segmented_radix_sort_implIS3_Lb0EPKfPfPKlPlN2at6native12_GLOBAL__N_18offset_tEEE10hipError_tPvRmT1_PNSt15iterator_traitsISK_E10value_typeET2_T3_PNSL_ISQ_E10value_typeET4_jRbjT5_SW_jjP12ihipStream_tbEUlT_E1_NS1_11comp_targetILNS1_3genE10ELNS1_11target_archE1201ELNS1_3gpuE5ELNS1_3repE0EEENS1_59segmented_radix_sort_warp_sort_small_config_static_selectorELNS0_4arch9wavefront6targetE0EEEvSK_: ; @_ZN7rocprim17ROCPRIM_400000_NS6detail17trampoline_kernelINS0_14default_configENS1_36segmented_radix_sort_config_selectorIflEEZNS1_25segmented_radix_sort_implIS3_Lb0EPKfPfPKlPlN2at6native12_GLOBAL__N_18offset_tEEE10hipError_tPvRmT1_PNSt15iterator_traitsISK_E10value_typeET2_T3_PNSL_ISQ_E10value_typeET4_jRbjT5_SW_jjP12ihipStream_tbEUlT_E1_NS1_11comp_targetILNS1_3genE10ELNS1_11target_archE1201ELNS1_3gpuE5ELNS1_3repE0EEENS1_59segmented_radix_sort_warp_sort_small_config_static_selectorELNS0_4arch9wavefront6targetE0EEEvSK_
; %bb.0:
	.section	.rodata,"a",@progbits
	.p2align	6, 0x0
	.amdhsa_kernel _ZN7rocprim17ROCPRIM_400000_NS6detail17trampoline_kernelINS0_14default_configENS1_36segmented_radix_sort_config_selectorIflEEZNS1_25segmented_radix_sort_implIS3_Lb0EPKfPfPKlPlN2at6native12_GLOBAL__N_18offset_tEEE10hipError_tPvRmT1_PNSt15iterator_traitsISK_E10value_typeET2_T3_PNSL_ISQ_E10value_typeET4_jRbjT5_SW_jjP12ihipStream_tbEUlT_E1_NS1_11comp_targetILNS1_3genE10ELNS1_11target_archE1201ELNS1_3gpuE5ELNS1_3repE0EEENS1_59segmented_radix_sort_warp_sort_small_config_static_selectorELNS0_4arch9wavefront6targetE0EEEvSK_
		.amdhsa_group_segment_fixed_size 0
		.amdhsa_private_segment_fixed_size 0
		.amdhsa_kernarg_size 88
		.amdhsa_user_sgpr_count 6
		.amdhsa_user_sgpr_private_segment_buffer 1
		.amdhsa_user_sgpr_dispatch_ptr 0
		.amdhsa_user_sgpr_queue_ptr 0
		.amdhsa_user_sgpr_kernarg_segment_ptr 1
		.amdhsa_user_sgpr_dispatch_id 0
		.amdhsa_user_sgpr_flat_scratch_init 0
		.amdhsa_user_sgpr_private_segment_size 0
		.amdhsa_wavefront_size32 1
		.amdhsa_uses_dynamic_stack 0
		.amdhsa_system_sgpr_private_segment_wavefront_offset 0
		.amdhsa_system_sgpr_workgroup_id_x 1
		.amdhsa_system_sgpr_workgroup_id_y 0
		.amdhsa_system_sgpr_workgroup_id_z 0
		.amdhsa_system_sgpr_workgroup_info 0
		.amdhsa_system_vgpr_workitem_id 0
		.amdhsa_next_free_vgpr 1
		.amdhsa_next_free_sgpr 1
		.amdhsa_reserve_vcc 0
		.amdhsa_reserve_flat_scratch 0
		.amdhsa_float_round_mode_32 0
		.amdhsa_float_round_mode_16_64 0
		.amdhsa_float_denorm_mode_32 3
		.amdhsa_float_denorm_mode_16_64 3
		.amdhsa_dx10_clamp 1
		.amdhsa_ieee_mode 1
		.amdhsa_fp16_overflow 0
		.amdhsa_workgroup_processor_mode 1
		.amdhsa_memory_ordered 1
		.amdhsa_forward_progress 1
		.amdhsa_shared_vgpr_count 0
		.amdhsa_exception_fp_ieee_invalid_op 0
		.amdhsa_exception_fp_denorm_src 0
		.amdhsa_exception_fp_ieee_div_zero 0
		.amdhsa_exception_fp_ieee_overflow 0
		.amdhsa_exception_fp_ieee_underflow 0
		.amdhsa_exception_fp_ieee_inexact 0
		.amdhsa_exception_int_div_zero 0
	.end_amdhsa_kernel
	.section	.text._ZN7rocprim17ROCPRIM_400000_NS6detail17trampoline_kernelINS0_14default_configENS1_36segmented_radix_sort_config_selectorIflEEZNS1_25segmented_radix_sort_implIS3_Lb0EPKfPfPKlPlN2at6native12_GLOBAL__N_18offset_tEEE10hipError_tPvRmT1_PNSt15iterator_traitsISK_E10value_typeET2_T3_PNSL_ISQ_E10value_typeET4_jRbjT5_SW_jjP12ihipStream_tbEUlT_E1_NS1_11comp_targetILNS1_3genE10ELNS1_11target_archE1201ELNS1_3gpuE5ELNS1_3repE0EEENS1_59segmented_radix_sort_warp_sort_small_config_static_selectorELNS0_4arch9wavefront6targetE0EEEvSK_,"axG",@progbits,_ZN7rocprim17ROCPRIM_400000_NS6detail17trampoline_kernelINS0_14default_configENS1_36segmented_radix_sort_config_selectorIflEEZNS1_25segmented_radix_sort_implIS3_Lb0EPKfPfPKlPlN2at6native12_GLOBAL__N_18offset_tEEE10hipError_tPvRmT1_PNSt15iterator_traitsISK_E10value_typeET2_T3_PNSL_ISQ_E10value_typeET4_jRbjT5_SW_jjP12ihipStream_tbEUlT_E1_NS1_11comp_targetILNS1_3genE10ELNS1_11target_archE1201ELNS1_3gpuE5ELNS1_3repE0EEENS1_59segmented_radix_sort_warp_sort_small_config_static_selectorELNS0_4arch9wavefront6targetE0EEEvSK_,comdat
.Lfunc_end1445:
	.size	_ZN7rocprim17ROCPRIM_400000_NS6detail17trampoline_kernelINS0_14default_configENS1_36segmented_radix_sort_config_selectorIflEEZNS1_25segmented_radix_sort_implIS3_Lb0EPKfPfPKlPlN2at6native12_GLOBAL__N_18offset_tEEE10hipError_tPvRmT1_PNSt15iterator_traitsISK_E10value_typeET2_T3_PNSL_ISQ_E10value_typeET4_jRbjT5_SW_jjP12ihipStream_tbEUlT_E1_NS1_11comp_targetILNS1_3genE10ELNS1_11target_archE1201ELNS1_3gpuE5ELNS1_3repE0EEENS1_59segmented_radix_sort_warp_sort_small_config_static_selectorELNS0_4arch9wavefront6targetE0EEEvSK_, .Lfunc_end1445-_ZN7rocprim17ROCPRIM_400000_NS6detail17trampoline_kernelINS0_14default_configENS1_36segmented_radix_sort_config_selectorIflEEZNS1_25segmented_radix_sort_implIS3_Lb0EPKfPfPKlPlN2at6native12_GLOBAL__N_18offset_tEEE10hipError_tPvRmT1_PNSt15iterator_traitsISK_E10value_typeET2_T3_PNSL_ISQ_E10value_typeET4_jRbjT5_SW_jjP12ihipStream_tbEUlT_E1_NS1_11comp_targetILNS1_3genE10ELNS1_11target_archE1201ELNS1_3gpuE5ELNS1_3repE0EEENS1_59segmented_radix_sort_warp_sort_small_config_static_selectorELNS0_4arch9wavefront6targetE0EEEvSK_
                                        ; -- End function
	.set _ZN7rocprim17ROCPRIM_400000_NS6detail17trampoline_kernelINS0_14default_configENS1_36segmented_radix_sort_config_selectorIflEEZNS1_25segmented_radix_sort_implIS3_Lb0EPKfPfPKlPlN2at6native12_GLOBAL__N_18offset_tEEE10hipError_tPvRmT1_PNSt15iterator_traitsISK_E10value_typeET2_T3_PNSL_ISQ_E10value_typeET4_jRbjT5_SW_jjP12ihipStream_tbEUlT_E1_NS1_11comp_targetILNS1_3genE10ELNS1_11target_archE1201ELNS1_3gpuE5ELNS1_3repE0EEENS1_59segmented_radix_sort_warp_sort_small_config_static_selectorELNS0_4arch9wavefront6targetE0EEEvSK_.num_vgpr, 0
	.set _ZN7rocprim17ROCPRIM_400000_NS6detail17trampoline_kernelINS0_14default_configENS1_36segmented_radix_sort_config_selectorIflEEZNS1_25segmented_radix_sort_implIS3_Lb0EPKfPfPKlPlN2at6native12_GLOBAL__N_18offset_tEEE10hipError_tPvRmT1_PNSt15iterator_traitsISK_E10value_typeET2_T3_PNSL_ISQ_E10value_typeET4_jRbjT5_SW_jjP12ihipStream_tbEUlT_E1_NS1_11comp_targetILNS1_3genE10ELNS1_11target_archE1201ELNS1_3gpuE5ELNS1_3repE0EEENS1_59segmented_radix_sort_warp_sort_small_config_static_selectorELNS0_4arch9wavefront6targetE0EEEvSK_.num_agpr, 0
	.set _ZN7rocprim17ROCPRIM_400000_NS6detail17trampoline_kernelINS0_14default_configENS1_36segmented_radix_sort_config_selectorIflEEZNS1_25segmented_radix_sort_implIS3_Lb0EPKfPfPKlPlN2at6native12_GLOBAL__N_18offset_tEEE10hipError_tPvRmT1_PNSt15iterator_traitsISK_E10value_typeET2_T3_PNSL_ISQ_E10value_typeET4_jRbjT5_SW_jjP12ihipStream_tbEUlT_E1_NS1_11comp_targetILNS1_3genE10ELNS1_11target_archE1201ELNS1_3gpuE5ELNS1_3repE0EEENS1_59segmented_radix_sort_warp_sort_small_config_static_selectorELNS0_4arch9wavefront6targetE0EEEvSK_.numbered_sgpr, 0
	.set _ZN7rocprim17ROCPRIM_400000_NS6detail17trampoline_kernelINS0_14default_configENS1_36segmented_radix_sort_config_selectorIflEEZNS1_25segmented_radix_sort_implIS3_Lb0EPKfPfPKlPlN2at6native12_GLOBAL__N_18offset_tEEE10hipError_tPvRmT1_PNSt15iterator_traitsISK_E10value_typeET2_T3_PNSL_ISQ_E10value_typeET4_jRbjT5_SW_jjP12ihipStream_tbEUlT_E1_NS1_11comp_targetILNS1_3genE10ELNS1_11target_archE1201ELNS1_3gpuE5ELNS1_3repE0EEENS1_59segmented_radix_sort_warp_sort_small_config_static_selectorELNS0_4arch9wavefront6targetE0EEEvSK_.num_named_barrier, 0
	.set _ZN7rocprim17ROCPRIM_400000_NS6detail17trampoline_kernelINS0_14default_configENS1_36segmented_radix_sort_config_selectorIflEEZNS1_25segmented_radix_sort_implIS3_Lb0EPKfPfPKlPlN2at6native12_GLOBAL__N_18offset_tEEE10hipError_tPvRmT1_PNSt15iterator_traitsISK_E10value_typeET2_T3_PNSL_ISQ_E10value_typeET4_jRbjT5_SW_jjP12ihipStream_tbEUlT_E1_NS1_11comp_targetILNS1_3genE10ELNS1_11target_archE1201ELNS1_3gpuE5ELNS1_3repE0EEENS1_59segmented_radix_sort_warp_sort_small_config_static_selectorELNS0_4arch9wavefront6targetE0EEEvSK_.private_seg_size, 0
	.set _ZN7rocprim17ROCPRIM_400000_NS6detail17trampoline_kernelINS0_14default_configENS1_36segmented_radix_sort_config_selectorIflEEZNS1_25segmented_radix_sort_implIS3_Lb0EPKfPfPKlPlN2at6native12_GLOBAL__N_18offset_tEEE10hipError_tPvRmT1_PNSt15iterator_traitsISK_E10value_typeET2_T3_PNSL_ISQ_E10value_typeET4_jRbjT5_SW_jjP12ihipStream_tbEUlT_E1_NS1_11comp_targetILNS1_3genE10ELNS1_11target_archE1201ELNS1_3gpuE5ELNS1_3repE0EEENS1_59segmented_radix_sort_warp_sort_small_config_static_selectorELNS0_4arch9wavefront6targetE0EEEvSK_.uses_vcc, 0
	.set _ZN7rocprim17ROCPRIM_400000_NS6detail17trampoline_kernelINS0_14default_configENS1_36segmented_radix_sort_config_selectorIflEEZNS1_25segmented_radix_sort_implIS3_Lb0EPKfPfPKlPlN2at6native12_GLOBAL__N_18offset_tEEE10hipError_tPvRmT1_PNSt15iterator_traitsISK_E10value_typeET2_T3_PNSL_ISQ_E10value_typeET4_jRbjT5_SW_jjP12ihipStream_tbEUlT_E1_NS1_11comp_targetILNS1_3genE10ELNS1_11target_archE1201ELNS1_3gpuE5ELNS1_3repE0EEENS1_59segmented_radix_sort_warp_sort_small_config_static_selectorELNS0_4arch9wavefront6targetE0EEEvSK_.uses_flat_scratch, 0
	.set _ZN7rocprim17ROCPRIM_400000_NS6detail17trampoline_kernelINS0_14default_configENS1_36segmented_radix_sort_config_selectorIflEEZNS1_25segmented_radix_sort_implIS3_Lb0EPKfPfPKlPlN2at6native12_GLOBAL__N_18offset_tEEE10hipError_tPvRmT1_PNSt15iterator_traitsISK_E10value_typeET2_T3_PNSL_ISQ_E10value_typeET4_jRbjT5_SW_jjP12ihipStream_tbEUlT_E1_NS1_11comp_targetILNS1_3genE10ELNS1_11target_archE1201ELNS1_3gpuE5ELNS1_3repE0EEENS1_59segmented_radix_sort_warp_sort_small_config_static_selectorELNS0_4arch9wavefront6targetE0EEEvSK_.has_dyn_sized_stack, 0
	.set _ZN7rocprim17ROCPRIM_400000_NS6detail17trampoline_kernelINS0_14default_configENS1_36segmented_radix_sort_config_selectorIflEEZNS1_25segmented_radix_sort_implIS3_Lb0EPKfPfPKlPlN2at6native12_GLOBAL__N_18offset_tEEE10hipError_tPvRmT1_PNSt15iterator_traitsISK_E10value_typeET2_T3_PNSL_ISQ_E10value_typeET4_jRbjT5_SW_jjP12ihipStream_tbEUlT_E1_NS1_11comp_targetILNS1_3genE10ELNS1_11target_archE1201ELNS1_3gpuE5ELNS1_3repE0EEENS1_59segmented_radix_sort_warp_sort_small_config_static_selectorELNS0_4arch9wavefront6targetE0EEEvSK_.has_recursion, 0
	.set _ZN7rocprim17ROCPRIM_400000_NS6detail17trampoline_kernelINS0_14default_configENS1_36segmented_radix_sort_config_selectorIflEEZNS1_25segmented_radix_sort_implIS3_Lb0EPKfPfPKlPlN2at6native12_GLOBAL__N_18offset_tEEE10hipError_tPvRmT1_PNSt15iterator_traitsISK_E10value_typeET2_T3_PNSL_ISQ_E10value_typeET4_jRbjT5_SW_jjP12ihipStream_tbEUlT_E1_NS1_11comp_targetILNS1_3genE10ELNS1_11target_archE1201ELNS1_3gpuE5ELNS1_3repE0EEENS1_59segmented_radix_sort_warp_sort_small_config_static_selectorELNS0_4arch9wavefront6targetE0EEEvSK_.has_indirect_call, 0
	.section	.AMDGPU.csdata,"",@progbits
; Kernel info:
; codeLenInByte = 0
; TotalNumSgprs: 0
; NumVgprs: 0
; ScratchSize: 0
; MemoryBound: 0
; FloatMode: 240
; IeeeMode: 1
; LDSByteSize: 0 bytes/workgroup (compile time only)
; SGPRBlocks: 0
; VGPRBlocks: 0
; NumSGPRsForWavesPerEU: 1
; NumVGPRsForWavesPerEU: 1
; Occupancy: 16
; WaveLimiterHint : 0
; COMPUTE_PGM_RSRC2:SCRATCH_EN: 0
; COMPUTE_PGM_RSRC2:USER_SGPR: 6
; COMPUTE_PGM_RSRC2:TRAP_HANDLER: 0
; COMPUTE_PGM_RSRC2:TGID_X_EN: 1
; COMPUTE_PGM_RSRC2:TGID_Y_EN: 0
; COMPUTE_PGM_RSRC2:TGID_Z_EN: 0
; COMPUTE_PGM_RSRC2:TIDIG_COMP_CNT: 0
	.section	.text._ZN7rocprim17ROCPRIM_400000_NS6detail17trampoline_kernelINS0_14default_configENS1_36segmented_radix_sort_config_selectorIflEEZNS1_25segmented_radix_sort_implIS3_Lb0EPKfPfPKlPlN2at6native12_GLOBAL__N_18offset_tEEE10hipError_tPvRmT1_PNSt15iterator_traitsISK_E10value_typeET2_T3_PNSL_ISQ_E10value_typeET4_jRbjT5_SW_jjP12ihipStream_tbEUlT_E1_NS1_11comp_targetILNS1_3genE10ELNS1_11target_archE1200ELNS1_3gpuE4ELNS1_3repE0EEENS1_59segmented_radix_sort_warp_sort_small_config_static_selectorELNS0_4arch9wavefront6targetE0EEEvSK_,"axG",@progbits,_ZN7rocprim17ROCPRIM_400000_NS6detail17trampoline_kernelINS0_14default_configENS1_36segmented_radix_sort_config_selectorIflEEZNS1_25segmented_radix_sort_implIS3_Lb0EPKfPfPKlPlN2at6native12_GLOBAL__N_18offset_tEEE10hipError_tPvRmT1_PNSt15iterator_traitsISK_E10value_typeET2_T3_PNSL_ISQ_E10value_typeET4_jRbjT5_SW_jjP12ihipStream_tbEUlT_E1_NS1_11comp_targetILNS1_3genE10ELNS1_11target_archE1200ELNS1_3gpuE4ELNS1_3repE0EEENS1_59segmented_radix_sort_warp_sort_small_config_static_selectorELNS0_4arch9wavefront6targetE0EEEvSK_,comdat
	.globl	_ZN7rocprim17ROCPRIM_400000_NS6detail17trampoline_kernelINS0_14default_configENS1_36segmented_radix_sort_config_selectorIflEEZNS1_25segmented_radix_sort_implIS3_Lb0EPKfPfPKlPlN2at6native12_GLOBAL__N_18offset_tEEE10hipError_tPvRmT1_PNSt15iterator_traitsISK_E10value_typeET2_T3_PNSL_ISQ_E10value_typeET4_jRbjT5_SW_jjP12ihipStream_tbEUlT_E1_NS1_11comp_targetILNS1_3genE10ELNS1_11target_archE1200ELNS1_3gpuE4ELNS1_3repE0EEENS1_59segmented_radix_sort_warp_sort_small_config_static_selectorELNS0_4arch9wavefront6targetE0EEEvSK_ ; -- Begin function _ZN7rocprim17ROCPRIM_400000_NS6detail17trampoline_kernelINS0_14default_configENS1_36segmented_radix_sort_config_selectorIflEEZNS1_25segmented_radix_sort_implIS3_Lb0EPKfPfPKlPlN2at6native12_GLOBAL__N_18offset_tEEE10hipError_tPvRmT1_PNSt15iterator_traitsISK_E10value_typeET2_T3_PNSL_ISQ_E10value_typeET4_jRbjT5_SW_jjP12ihipStream_tbEUlT_E1_NS1_11comp_targetILNS1_3genE10ELNS1_11target_archE1200ELNS1_3gpuE4ELNS1_3repE0EEENS1_59segmented_radix_sort_warp_sort_small_config_static_selectorELNS0_4arch9wavefront6targetE0EEEvSK_
	.p2align	8
	.type	_ZN7rocprim17ROCPRIM_400000_NS6detail17trampoline_kernelINS0_14default_configENS1_36segmented_radix_sort_config_selectorIflEEZNS1_25segmented_radix_sort_implIS3_Lb0EPKfPfPKlPlN2at6native12_GLOBAL__N_18offset_tEEE10hipError_tPvRmT1_PNSt15iterator_traitsISK_E10value_typeET2_T3_PNSL_ISQ_E10value_typeET4_jRbjT5_SW_jjP12ihipStream_tbEUlT_E1_NS1_11comp_targetILNS1_3genE10ELNS1_11target_archE1200ELNS1_3gpuE4ELNS1_3repE0EEENS1_59segmented_radix_sort_warp_sort_small_config_static_selectorELNS0_4arch9wavefront6targetE0EEEvSK_,@function
_ZN7rocprim17ROCPRIM_400000_NS6detail17trampoline_kernelINS0_14default_configENS1_36segmented_radix_sort_config_selectorIflEEZNS1_25segmented_radix_sort_implIS3_Lb0EPKfPfPKlPlN2at6native12_GLOBAL__N_18offset_tEEE10hipError_tPvRmT1_PNSt15iterator_traitsISK_E10value_typeET2_T3_PNSL_ISQ_E10value_typeET4_jRbjT5_SW_jjP12ihipStream_tbEUlT_E1_NS1_11comp_targetILNS1_3genE10ELNS1_11target_archE1200ELNS1_3gpuE4ELNS1_3repE0EEENS1_59segmented_radix_sort_warp_sort_small_config_static_selectorELNS0_4arch9wavefront6targetE0EEEvSK_: ; @_ZN7rocprim17ROCPRIM_400000_NS6detail17trampoline_kernelINS0_14default_configENS1_36segmented_radix_sort_config_selectorIflEEZNS1_25segmented_radix_sort_implIS3_Lb0EPKfPfPKlPlN2at6native12_GLOBAL__N_18offset_tEEE10hipError_tPvRmT1_PNSt15iterator_traitsISK_E10value_typeET2_T3_PNSL_ISQ_E10value_typeET4_jRbjT5_SW_jjP12ihipStream_tbEUlT_E1_NS1_11comp_targetILNS1_3genE10ELNS1_11target_archE1200ELNS1_3gpuE4ELNS1_3repE0EEENS1_59segmented_radix_sort_warp_sort_small_config_static_selectorELNS0_4arch9wavefront6targetE0EEEvSK_
; %bb.0:
	.section	.rodata,"a",@progbits
	.p2align	6, 0x0
	.amdhsa_kernel _ZN7rocprim17ROCPRIM_400000_NS6detail17trampoline_kernelINS0_14default_configENS1_36segmented_radix_sort_config_selectorIflEEZNS1_25segmented_radix_sort_implIS3_Lb0EPKfPfPKlPlN2at6native12_GLOBAL__N_18offset_tEEE10hipError_tPvRmT1_PNSt15iterator_traitsISK_E10value_typeET2_T3_PNSL_ISQ_E10value_typeET4_jRbjT5_SW_jjP12ihipStream_tbEUlT_E1_NS1_11comp_targetILNS1_3genE10ELNS1_11target_archE1200ELNS1_3gpuE4ELNS1_3repE0EEENS1_59segmented_radix_sort_warp_sort_small_config_static_selectorELNS0_4arch9wavefront6targetE0EEEvSK_
		.amdhsa_group_segment_fixed_size 0
		.amdhsa_private_segment_fixed_size 0
		.amdhsa_kernarg_size 88
		.amdhsa_user_sgpr_count 6
		.amdhsa_user_sgpr_private_segment_buffer 1
		.amdhsa_user_sgpr_dispatch_ptr 0
		.amdhsa_user_sgpr_queue_ptr 0
		.amdhsa_user_sgpr_kernarg_segment_ptr 1
		.amdhsa_user_sgpr_dispatch_id 0
		.amdhsa_user_sgpr_flat_scratch_init 0
		.amdhsa_user_sgpr_private_segment_size 0
		.amdhsa_wavefront_size32 1
		.amdhsa_uses_dynamic_stack 0
		.amdhsa_system_sgpr_private_segment_wavefront_offset 0
		.amdhsa_system_sgpr_workgroup_id_x 1
		.amdhsa_system_sgpr_workgroup_id_y 0
		.amdhsa_system_sgpr_workgroup_id_z 0
		.amdhsa_system_sgpr_workgroup_info 0
		.amdhsa_system_vgpr_workitem_id 0
		.amdhsa_next_free_vgpr 1
		.amdhsa_next_free_sgpr 1
		.amdhsa_reserve_vcc 0
		.amdhsa_reserve_flat_scratch 0
		.amdhsa_float_round_mode_32 0
		.amdhsa_float_round_mode_16_64 0
		.amdhsa_float_denorm_mode_32 3
		.amdhsa_float_denorm_mode_16_64 3
		.amdhsa_dx10_clamp 1
		.amdhsa_ieee_mode 1
		.amdhsa_fp16_overflow 0
		.amdhsa_workgroup_processor_mode 1
		.amdhsa_memory_ordered 1
		.amdhsa_forward_progress 1
		.amdhsa_shared_vgpr_count 0
		.amdhsa_exception_fp_ieee_invalid_op 0
		.amdhsa_exception_fp_denorm_src 0
		.amdhsa_exception_fp_ieee_div_zero 0
		.amdhsa_exception_fp_ieee_overflow 0
		.amdhsa_exception_fp_ieee_underflow 0
		.amdhsa_exception_fp_ieee_inexact 0
		.amdhsa_exception_int_div_zero 0
	.end_amdhsa_kernel
	.section	.text._ZN7rocprim17ROCPRIM_400000_NS6detail17trampoline_kernelINS0_14default_configENS1_36segmented_radix_sort_config_selectorIflEEZNS1_25segmented_radix_sort_implIS3_Lb0EPKfPfPKlPlN2at6native12_GLOBAL__N_18offset_tEEE10hipError_tPvRmT1_PNSt15iterator_traitsISK_E10value_typeET2_T3_PNSL_ISQ_E10value_typeET4_jRbjT5_SW_jjP12ihipStream_tbEUlT_E1_NS1_11comp_targetILNS1_3genE10ELNS1_11target_archE1200ELNS1_3gpuE4ELNS1_3repE0EEENS1_59segmented_radix_sort_warp_sort_small_config_static_selectorELNS0_4arch9wavefront6targetE0EEEvSK_,"axG",@progbits,_ZN7rocprim17ROCPRIM_400000_NS6detail17trampoline_kernelINS0_14default_configENS1_36segmented_radix_sort_config_selectorIflEEZNS1_25segmented_radix_sort_implIS3_Lb0EPKfPfPKlPlN2at6native12_GLOBAL__N_18offset_tEEE10hipError_tPvRmT1_PNSt15iterator_traitsISK_E10value_typeET2_T3_PNSL_ISQ_E10value_typeET4_jRbjT5_SW_jjP12ihipStream_tbEUlT_E1_NS1_11comp_targetILNS1_3genE10ELNS1_11target_archE1200ELNS1_3gpuE4ELNS1_3repE0EEENS1_59segmented_radix_sort_warp_sort_small_config_static_selectorELNS0_4arch9wavefront6targetE0EEEvSK_,comdat
.Lfunc_end1446:
	.size	_ZN7rocprim17ROCPRIM_400000_NS6detail17trampoline_kernelINS0_14default_configENS1_36segmented_radix_sort_config_selectorIflEEZNS1_25segmented_radix_sort_implIS3_Lb0EPKfPfPKlPlN2at6native12_GLOBAL__N_18offset_tEEE10hipError_tPvRmT1_PNSt15iterator_traitsISK_E10value_typeET2_T3_PNSL_ISQ_E10value_typeET4_jRbjT5_SW_jjP12ihipStream_tbEUlT_E1_NS1_11comp_targetILNS1_3genE10ELNS1_11target_archE1200ELNS1_3gpuE4ELNS1_3repE0EEENS1_59segmented_radix_sort_warp_sort_small_config_static_selectorELNS0_4arch9wavefront6targetE0EEEvSK_, .Lfunc_end1446-_ZN7rocprim17ROCPRIM_400000_NS6detail17trampoline_kernelINS0_14default_configENS1_36segmented_radix_sort_config_selectorIflEEZNS1_25segmented_radix_sort_implIS3_Lb0EPKfPfPKlPlN2at6native12_GLOBAL__N_18offset_tEEE10hipError_tPvRmT1_PNSt15iterator_traitsISK_E10value_typeET2_T3_PNSL_ISQ_E10value_typeET4_jRbjT5_SW_jjP12ihipStream_tbEUlT_E1_NS1_11comp_targetILNS1_3genE10ELNS1_11target_archE1200ELNS1_3gpuE4ELNS1_3repE0EEENS1_59segmented_radix_sort_warp_sort_small_config_static_selectorELNS0_4arch9wavefront6targetE0EEEvSK_
                                        ; -- End function
	.set _ZN7rocprim17ROCPRIM_400000_NS6detail17trampoline_kernelINS0_14default_configENS1_36segmented_radix_sort_config_selectorIflEEZNS1_25segmented_radix_sort_implIS3_Lb0EPKfPfPKlPlN2at6native12_GLOBAL__N_18offset_tEEE10hipError_tPvRmT1_PNSt15iterator_traitsISK_E10value_typeET2_T3_PNSL_ISQ_E10value_typeET4_jRbjT5_SW_jjP12ihipStream_tbEUlT_E1_NS1_11comp_targetILNS1_3genE10ELNS1_11target_archE1200ELNS1_3gpuE4ELNS1_3repE0EEENS1_59segmented_radix_sort_warp_sort_small_config_static_selectorELNS0_4arch9wavefront6targetE0EEEvSK_.num_vgpr, 0
	.set _ZN7rocprim17ROCPRIM_400000_NS6detail17trampoline_kernelINS0_14default_configENS1_36segmented_radix_sort_config_selectorIflEEZNS1_25segmented_radix_sort_implIS3_Lb0EPKfPfPKlPlN2at6native12_GLOBAL__N_18offset_tEEE10hipError_tPvRmT1_PNSt15iterator_traitsISK_E10value_typeET2_T3_PNSL_ISQ_E10value_typeET4_jRbjT5_SW_jjP12ihipStream_tbEUlT_E1_NS1_11comp_targetILNS1_3genE10ELNS1_11target_archE1200ELNS1_3gpuE4ELNS1_3repE0EEENS1_59segmented_radix_sort_warp_sort_small_config_static_selectorELNS0_4arch9wavefront6targetE0EEEvSK_.num_agpr, 0
	.set _ZN7rocprim17ROCPRIM_400000_NS6detail17trampoline_kernelINS0_14default_configENS1_36segmented_radix_sort_config_selectorIflEEZNS1_25segmented_radix_sort_implIS3_Lb0EPKfPfPKlPlN2at6native12_GLOBAL__N_18offset_tEEE10hipError_tPvRmT1_PNSt15iterator_traitsISK_E10value_typeET2_T3_PNSL_ISQ_E10value_typeET4_jRbjT5_SW_jjP12ihipStream_tbEUlT_E1_NS1_11comp_targetILNS1_3genE10ELNS1_11target_archE1200ELNS1_3gpuE4ELNS1_3repE0EEENS1_59segmented_radix_sort_warp_sort_small_config_static_selectorELNS0_4arch9wavefront6targetE0EEEvSK_.numbered_sgpr, 0
	.set _ZN7rocprim17ROCPRIM_400000_NS6detail17trampoline_kernelINS0_14default_configENS1_36segmented_radix_sort_config_selectorIflEEZNS1_25segmented_radix_sort_implIS3_Lb0EPKfPfPKlPlN2at6native12_GLOBAL__N_18offset_tEEE10hipError_tPvRmT1_PNSt15iterator_traitsISK_E10value_typeET2_T3_PNSL_ISQ_E10value_typeET4_jRbjT5_SW_jjP12ihipStream_tbEUlT_E1_NS1_11comp_targetILNS1_3genE10ELNS1_11target_archE1200ELNS1_3gpuE4ELNS1_3repE0EEENS1_59segmented_radix_sort_warp_sort_small_config_static_selectorELNS0_4arch9wavefront6targetE0EEEvSK_.num_named_barrier, 0
	.set _ZN7rocprim17ROCPRIM_400000_NS6detail17trampoline_kernelINS0_14default_configENS1_36segmented_radix_sort_config_selectorIflEEZNS1_25segmented_radix_sort_implIS3_Lb0EPKfPfPKlPlN2at6native12_GLOBAL__N_18offset_tEEE10hipError_tPvRmT1_PNSt15iterator_traitsISK_E10value_typeET2_T3_PNSL_ISQ_E10value_typeET4_jRbjT5_SW_jjP12ihipStream_tbEUlT_E1_NS1_11comp_targetILNS1_3genE10ELNS1_11target_archE1200ELNS1_3gpuE4ELNS1_3repE0EEENS1_59segmented_radix_sort_warp_sort_small_config_static_selectorELNS0_4arch9wavefront6targetE0EEEvSK_.private_seg_size, 0
	.set _ZN7rocprim17ROCPRIM_400000_NS6detail17trampoline_kernelINS0_14default_configENS1_36segmented_radix_sort_config_selectorIflEEZNS1_25segmented_radix_sort_implIS3_Lb0EPKfPfPKlPlN2at6native12_GLOBAL__N_18offset_tEEE10hipError_tPvRmT1_PNSt15iterator_traitsISK_E10value_typeET2_T3_PNSL_ISQ_E10value_typeET4_jRbjT5_SW_jjP12ihipStream_tbEUlT_E1_NS1_11comp_targetILNS1_3genE10ELNS1_11target_archE1200ELNS1_3gpuE4ELNS1_3repE0EEENS1_59segmented_radix_sort_warp_sort_small_config_static_selectorELNS0_4arch9wavefront6targetE0EEEvSK_.uses_vcc, 0
	.set _ZN7rocprim17ROCPRIM_400000_NS6detail17trampoline_kernelINS0_14default_configENS1_36segmented_radix_sort_config_selectorIflEEZNS1_25segmented_radix_sort_implIS3_Lb0EPKfPfPKlPlN2at6native12_GLOBAL__N_18offset_tEEE10hipError_tPvRmT1_PNSt15iterator_traitsISK_E10value_typeET2_T3_PNSL_ISQ_E10value_typeET4_jRbjT5_SW_jjP12ihipStream_tbEUlT_E1_NS1_11comp_targetILNS1_3genE10ELNS1_11target_archE1200ELNS1_3gpuE4ELNS1_3repE0EEENS1_59segmented_radix_sort_warp_sort_small_config_static_selectorELNS0_4arch9wavefront6targetE0EEEvSK_.uses_flat_scratch, 0
	.set _ZN7rocprim17ROCPRIM_400000_NS6detail17trampoline_kernelINS0_14default_configENS1_36segmented_radix_sort_config_selectorIflEEZNS1_25segmented_radix_sort_implIS3_Lb0EPKfPfPKlPlN2at6native12_GLOBAL__N_18offset_tEEE10hipError_tPvRmT1_PNSt15iterator_traitsISK_E10value_typeET2_T3_PNSL_ISQ_E10value_typeET4_jRbjT5_SW_jjP12ihipStream_tbEUlT_E1_NS1_11comp_targetILNS1_3genE10ELNS1_11target_archE1200ELNS1_3gpuE4ELNS1_3repE0EEENS1_59segmented_radix_sort_warp_sort_small_config_static_selectorELNS0_4arch9wavefront6targetE0EEEvSK_.has_dyn_sized_stack, 0
	.set _ZN7rocprim17ROCPRIM_400000_NS6detail17trampoline_kernelINS0_14default_configENS1_36segmented_radix_sort_config_selectorIflEEZNS1_25segmented_radix_sort_implIS3_Lb0EPKfPfPKlPlN2at6native12_GLOBAL__N_18offset_tEEE10hipError_tPvRmT1_PNSt15iterator_traitsISK_E10value_typeET2_T3_PNSL_ISQ_E10value_typeET4_jRbjT5_SW_jjP12ihipStream_tbEUlT_E1_NS1_11comp_targetILNS1_3genE10ELNS1_11target_archE1200ELNS1_3gpuE4ELNS1_3repE0EEENS1_59segmented_radix_sort_warp_sort_small_config_static_selectorELNS0_4arch9wavefront6targetE0EEEvSK_.has_recursion, 0
	.set _ZN7rocprim17ROCPRIM_400000_NS6detail17trampoline_kernelINS0_14default_configENS1_36segmented_radix_sort_config_selectorIflEEZNS1_25segmented_radix_sort_implIS3_Lb0EPKfPfPKlPlN2at6native12_GLOBAL__N_18offset_tEEE10hipError_tPvRmT1_PNSt15iterator_traitsISK_E10value_typeET2_T3_PNSL_ISQ_E10value_typeET4_jRbjT5_SW_jjP12ihipStream_tbEUlT_E1_NS1_11comp_targetILNS1_3genE10ELNS1_11target_archE1200ELNS1_3gpuE4ELNS1_3repE0EEENS1_59segmented_radix_sort_warp_sort_small_config_static_selectorELNS0_4arch9wavefront6targetE0EEEvSK_.has_indirect_call, 0
	.section	.AMDGPU.csdata,"",@progbits
; Kernel info:
; codeLenInByte = 0
; TotalNumSgprs: 0
; NumVgprs: 0
; ScratchSize: 0
; MemoryBound: 0
; FloatMode: 240
; IeeeMode: 1
; LDSByteSize: 0 bytes/workgroup (compile time only)
; SGPRBlocks: 0
; VGPRBlocks: 0
; NumSGPRsForWavesPerEU: 1
; NumVGPRsForWavesPerEU: 1
; Occupancy: 16
; WaveLimiterHint : 0
; COMPUTE_PGM_RSRC2:SCRATCH_EN: 0
; COMPUTE_PGM_RSRC2:USER_SGPR: 6
; COMPUTE_PGM_RSRC2:TRAP_HANDLER: 0
; COMPUTE_PGM_RSRC2:TGID_X_EN: 1
; COMPUTE_PGM_RSRC2:TGID_Y_EN: 0
; COMPUTE_PGM_RSRC2:TGID_Z_EN: 0
; COMPUTE_PGM_RSRC2:TIDIG_COMP_CNT: 0
	.section	.text._ZN7rocprim17ROCPRIM_400000_NS6detail17trampoline_kernelINS0_14default_configENS1_36segmented_radix_sort_config_selectorIflEEZNS1_25segmented_radix_sort_implIS3_Lb0EPKfPfPKlPlN2at6native12_GLOBAL__N_18offset_tEEE10hipError_tPvRmT1_PNSt15iterator_traitsISK_E10value_typeET2_T3_PNSL_ISQ_E10value_typeET4_jRbjT5_SW_jjP12ihipStream_tbEUlT_E1_NS1_11comp_targetILNS1_3genE9ELNS1_11target_archE1100ELNS1_3gpuE3ELNS1_3repE0EEENS1_59segmented_radix_sort_warp_sort_small_config_static_selectorELNS0_4arch9wavefront6targetE0EEEvSK_,"axG",@progbits,_ZN7rocprim17ROCPRIM_400000_NS6detail17trampoline_kernelINS0_14default_configENS1_36segmented_radix_sort_config_selectorIflEEZNS1_25segmented_radix_sort_implIS3_Lb0EPKfPfPKlPlN2at6native12_GLOBAL__N_18offset_tEEE10hipError_tPvRmT1_PNSt15iterator_traitsISK_E10value_typeET2_T3_PNSL_ISQ_E10value_typeET4_jRbjT5_SW_jjP12ihipStream_tbEUlT_E1_NS1_11comp_targetILNS1_3genE9ELNS1_11target_archE1100ELNS1_3gpuE3ELNS1_3repE0EEENS1_59segmented_radix_sort_warp_sort_small_config_static_selectorELNS0_4arch9wavefront6targetE0EEEvSK_,comdat
	.globl	_ZN7rocprim17ROCPRIM_400000_NS6detail17trampoline_kernelINS0_14default_configENS1_36segmented_radix_sort_config_selectorIflEEZNS1_25segmented_radix_sort_implIS3_Lb0EPKfPfPKlPlN2at6native12_GLOBAL__N_18offset_tEEE10hipError_tPvRmT1_PNSt15iterator_traitsISK_E10value_typeET2_T3_PNSL_ISQ_E10value_typeET4_jRbjT5_SW_jjP12ihipStream_tbEUlT_E1_NS1_11comp_targetILNS1_3genE9ELNS1_11target_archE1100ELNS1_3gpuE3ELNS1_3repE0EEENS1_59segmented_radix_sort_warp_sort_small_config_static_selectorELNS0_4arch9wavefront6targetE0EEEvSK_ ; -- Begin function _ZN7rocprim17ROCPRIM_400000_NS6detail17trampoline_kernelINS0_14default_configENS1_36segmented_radix_sort_config_selectorIflEEZNS1_25segmented_radix_sort_implIS3_Lb0EPKfPfPKlPlN2at6native12_GLOBAL__N_18offset_tEEE10hipError_tPvRmT1_PNSt15iterator_traitsISK_E10value_typeET2_T3_PNSL_ISQ_E10value_typeET4_jRbjT5_SW_jjP12ihipStream_tbEUlT_E1_NS1_11comp_targetILNS1_3genE9ELNS1_11target_archE1100ELNS1_3gpuE3ELNS1_3repE0EEENS1_59segmented_radix_sort_warp_sort_small_config_static_selectorELNS0_4arch9wavefront6targetE0EEEvSK_
	.p2align	8
	.type	_ZN7rocprim17ROCPRIM_400000_NS6detail17trampoline_kernelINS0_14default_configENS1_36segmented_radix_sort_config_selectorIflEEZNS1_25segmented_radix_sort_implIS3_Lb0EPKfPfPKlPlN2at6native12_GLOBAL__N_18offset_tEEE10hipError_tPvRmT1_PNSt15iterator_traitsISK_E10value_typeET2_T3_PNSL_ISQ_E10value_typeET4_jRbjT5_SW_jjP12ihipStream_tbEUlT_E1_NS1_11comp_targetILNS1_3genE9ELNS1_11target_archE1100ELNS1_3gpuE3ELNS1_3repE0EEENS1_59segmented_radix_sort_warp_sort_small_config_static_selectorELNS0_4arch9wavefront6targetE0EEEvSK_,@function
_ZN7rocprim17ROCPRIM_400000_NS6detail17trampoline_kernelINS0_14default_configENS1_36segmented_radix_sort_config_selectorIflEEZNS1_25segmented_radix_sort_implIS3_Lb0EPKfPfPKlPlN2at6native12_GLOBAL__N_18offset_tEEE10hipError_tPvRmT1_PNSt15iterator_traitsISK_E10value_typeET2_T3_PNSL_ISQ_E10value_typeET4_jRbjT5_SW_jjP12ihipStream_tbEUlT_E1_NS1_11comp_targetILNS1_3genE9ELNS1_11target_archE1100ELNS1_3gpuE3ELNS1_3repE0EEENS1_59segmented_radix_sort_warp_sort_small_config_static_selectorELNS0_4arch9wavefront6targetE0EEEvSK_: ; @_ZN7rocprim17ROCPRIM_400000_NS6detail17trampoline_kernelINS0_14default_configENS1_36segmented_radix_sort_config_selectorIflEEZNS1_25segmented_radix_sort_implIS3_Lb0EPKfPfPKlPlN2at6native12_GLOBAL__N_18offset_tEEE10hipError_tPvRmT1_PNSt15iterator_traitsISK_E10value_typeET2_T3_PNSL_ISQ_E10value_typeET4_jRbjT5_SW_jjP12ihipStream_tbEUlT_E1_NS1_11comp_targetILNS1_3genE9ELNS1_11target_archE1100ELNS1_3gpuE3ELNS1_3repE0EEENS1_59segmented_radix_sort_warp_sort_small_config_static_selectorELNS0_4arch9wavefront6targetE0EEEvSK_
; %bb.0:
	.section	.rodata,"a",@progbits
	.p2align	6, 0x0
	.amdhsa_kernel _ZN7rocprim17ROCPRIM_400000_NS6detail17trampoline_kernelINS0_14default_configENS1_36segmented_radix_sort_config_selectorIflEEZNS1_25segmented_radix_sort_implIS3_Lb0EPKfPfPKlPlN2at6native12_GLOBAL__N_18offset_tEEE10hipError_tPvRmT1_PNSt15iterator_traitsISK_E10value_typeET2_T3_PNSL_ISQ_E10value_typeET4_jRbjT5_SW_jjP12ihipStream_tbEUlT_E1_NS1_11comp_targetILNS1_3genE9ELNS1_11target_archE1100ELNS1_3gpuE3ELNS1_3repE0EEENS1_59segmented_radix_sort_warp_sort_small_config_static_selectorELNS0_4arch9wavefront6targetE0EEEvSK_
		.amdhsa_group_segment_fixed_size 0
		.amdhsa_private_segment_fixed_size 0
		.amdhsa_kernarg_size 88
		.amdhsa_user_sgpr_count 6
		.amdhsa_user_sgpr_private_segment_buffer 1
		.amdhsa_user_sgpr_dispatch_ptr 0
		.amdhsa_user_sgpr_queue_ptr 0
		.amdhsa_user_sgpr_kernarg_segment_ptr 1
		.amdhsa_user_sgpr_dispatch_id 0
		.amdhsa_user_sgpr_flat_scratch_init 0
		.amdhsa_user_sgpr_private_segment_size 0
		.amdhsa_wavefront_size32 1
		.amdhsa_uses_dynamic_stack 0
		.amdhsa_system_sgpr_private_segment_wavefront_offset 0
		.amdhsa_system_sgpr_workgroup_id_x 1
		.amdhsa_system_sgpr_workgroup_id_y 0
		.amdhsa_system_sgpr_workgroup_id_z 0
		.amdhsa_system_sgpr_workgroup_info 0
		.amdhsa_system_vgpr_workitem_id 0
		.amdhsa_next_free_vgpr 1
		.amdhsa_next_free_sgpr 1
		.amdhsa_reserve_vcc 0
		.amdhsa_reserve_flat_scratch 0
		.amdhsa_float_round_mode_32 0
		.amdhsa_float_round_mode_16_64 0
		.amdhsa_float_denorm_mode_32 3
		.amdhsa_float_denorm_mode_16_64 3
		.amdhsa_dx10_clamp 1
		.amdhsa_ieee_mode 1
		.amdhsa_fp16_overflow 0
		.amdhsa_workgroup_processor_mode 1
		.amdhsa_memory_ordered 1
		.amdhsa_forward_progress 1
		.amdhsa_shared_vgpr_count 0
		.amdhsa_exception_fp_ieee_invalid_op 0
		.amdhsa_exception_fp_denorm_src 0
		.amdhsa_exception_fp_ieee_div_zero 0
		.amdhsa_exception_fp_ieee_overflow 0
		.amdhsa_exception_fp_ieee_underflow 0
		.amdhsa_exception_fp_ieee_inexact 0
		.amdhsa_exception_int_div_zero 0
	.end_amdhsa_kernel
	.section	.text._ZN7rocprim17ROCPRIM_400000_NS6detail17trampoline_kernelINS0_14default_configENS1_36segmented_radix_sort_config_selectorIflEEZNS1_25segmented_radix_sort_implIS3_Lb0EPKfPfPKlPlN2at6native12_GLOBAL__N_18offset_tEEE10hipError_tPvRmT1_PNSt15iterator_traitsISK_E10value_typeET2_T3_PNSL_ISQ_E10value_typeET4_jRbjT5_SW_jjP12ihipStream_tbEUlT_E1_NS1_11comp_targetILNS1_3genE9ELNS1_11target_archE1100ELNS1_3gpuE3ELNS1_3repE0EEENS1_59segmented_radix_sort_warp_sort_small_config_static_selectorELNS0_4arch9wavefront6targetE0EEEvSK_,"axG",@progbits,_ZN7rocprim17ROCPRIM_400000_NS6detail17trampoline_kernelINS0_14default_configENS1_36segmented_radix_sort_config_selectorIflEEZNS1_25segmented_radix_sort_implIS3_Lb0EPKfPfPKlPlN2at6native12_GLOBAL__N_18offset_tEEE10hipError_tPvRmT1_PNSt15iterator_traitsISK_E10value_typeET2_T3_PNSL_ISQ_E10value_typeET4_jRbjT5_SW_jjP12ihipStream_tbEUlT_E1_NS1_11comp_targetILNS1_3genE9ELNS1_11target_archE1100ELNS1_3gpuE3ELNS1_3repE0EEENS1_59segmented_radix_sort_warp_sort_small_config_static_selectorELNS0_4arch9wavefront6targetE0EEEvSK_,comdat
.Lfunc_end1447:
	.size	_ZN7rocprim17ROCPRIM_400000_NS6detail17trampoline_kernelINS0_14default_configENS1_36segmented_radix_sort_config_selectorIflEEZNS1_25segmented_radix_sort_implIS3_Lb0EPKfPfPKlPlN2at6native12_GLOBAL__N_18offset_tEEE10hipError_tPvRmT1_PNSt15iterator_traitsISK_E10value_typeET2_T3_PNSL_ISQ_E10value_typeET4_jRbjT5_SW_jjP12ihipStream_tbEUlT_E1_NS1_11comp_targetILNS1_3genE9ELNS1_11target_archE1100ELNS1_3gpuE3ELNS1_3repE0EEENS1_59segmented_radix_sort_warp_sort_small_config_static_selectorELNS0_4arch9wavefront6targetE0EEEvSK_, .Lfunc_end1447-_ZN7rocprim17ROCPRIM_400000_NS6detail17trampoline_kernelINS0_14default_configENS1_36segmented_radix_sort_config_selectorIflEEZNS1_25segmented_radix_sort_implIS3_Lb0EPKfPfPKlPlN2at6native12_GLOBAL__N_18offset_tEEE10hipError_tPvRmT1_PNSt15iterator_traitsISK_E10value_typeET2_T3_PNSL_ISQ_E10value_typeET4_jRbjT5_SW_jjP12ihipStream_tbEUlT_E1_NS1_11comp_targetILNS1_3genE9ELNS1_11target_archE1100ELNS1_3gpuE3ELNS1_3repE0EEENS1_59segmented_radix_sort_warp_sort_small_config_static_selectorELNS0_4arch9wavefront6targetE0EEEvSK_
                                        ; -- End function
	.set _ZN7rocprim17ROCPRIM_400000_NS6detail17trampoline_kernelINS0_14default_configENS1_36segmented_radix_sort_config_selectorIflEEZNS1_25segmented_radix_sort_implIS3_Lb0EPKfPfPKlPlN2at6native12_GLOBAL__N_18offset_tEEE10hipError_tPvRmT1_PNSt15iterator_traitsISK_E10value_typeET2_T3_PNSL_ISQ_E10value_typeET4_jRbjT5_SW_jjP12ihipStream_tbEUlT_E1_NS1_11comp_targetILNS1_3genE9ELNS1_11target_archE1100ELNS1_3gpuE3ELNS1_3repE0EEENS1_59segmented_radix_sort_warp_sort_small_config_static_selectorELNS0_4arch9wavefront6targetE0EEEvSK_.num_vgpr, 0
	.set _ZN7rocprim17ROCPRIM_400000_NS6detail17trampoline_kernelINS0_14default_configENS1_36segmented_radix_sort_config_selectorIflEEZNS1_25segmented_radix_sort_implIS3_Lb0EPKfPfPKlPlN2at6native12_GLOBAL__N_18offset_tEEE10hipError_tPvRmT1_PNSt15iterator_traitsISK_E10value_typeET2_T3_PNSL_ISQ_E10value_typeET4_jRbjT5_SW_jjP12ihipStream_tbEUlT_E1_NS1_11comp_targetILNS1_3genE9ELNS1_11target_archE1100ELNS1_3gpuE3ELNS1_3repE0EEENS1_59segmented_radix_sort_warp_sort_small_config_static_selectorELNS0_4arch9wavefront6targetE0EEEvSK_.num_agpr, 0
	.set _ZN7rocprim17ROCPRIM_400000_NS6detail17trampoline_kernelINS0_14default_configENS1_36segmented_radix_sort_config_selectorIflEEZNS1_25segmented_radix_sort_implIS3_Lb0EPKfPfPKlPlN2at6native12_GLOBAL__N_18offset_tEEE10hipError_tPvRmT1_PNSt15iterator_traitsISK_E10value_typeET2_T3_PNSL_ISQ_E10value_typeET4_jRbjT5_SW_jjP12ihipStream_tbEUlT_E1_NS1_11comp_targetILNS1_3genE9ELNS1_11target_archE1100ELNS1_3gpuE3ELNS1_3repE0EEENS1_59segmented_radix_sort_warp_sort_small_config_static_selectorELNS0_4arch9wavefront6targetE0EEEvSK_.numbered_sgpr, 0
	.set _ZN7rocprim17ROCPRIM_400000_NS6detail17trampoline_kernelINS0_14default_configENS1_36segmented_radix_sort_config_selectorIflEEZNS1_25segmented_radix_sort_implIS3_Lb0EPKfPfPKlPlN2at6native12_GLOBAL__N_18offset_tEEE10hipError_tPvRmT1_PNSt15iterator_traitsISK_E10value_typeET2_T3_PNSL_ISQ_E10value_typeET4_jRbjT5_SW_jjP12ihipStream_tbEUlT_E1_NS1_11comp_targetILNS1_3genE9ELNS1_11target_archE1100ELNS1_3gpuE3ELNS1_3repE0EEENS1_59segmented_radix_sort_warp_sort_small_config_static_selectorELNS0_4arch9wavefront6targetE0EEEvSK_.num_named_barrier, 0
	.set _ZN7rocprim17ROCPRIM_400000_NS6detail17trampoline_kernelINS0_14default_configENS1_36segmented_radix_sort_config_selectorIflEEZNS1_25segmented_radix_sort_implIS3_Lb0EPKfPfPKlPlN2at6native12_GLOBAL__N_18offset_tEEE10hipError_tPvRmT1_PNSt15iterator_traitsISK_E10value_typeET2_T3_PNSL_ISQ_E10value_typeET4_jRbjT5_SW_jjP12ihipStream_tbEUlT_E1_NS1_11comp_targetILNS1_3genE9ELNS1_11target_archE1100ELNS1_3gpuE3ELNS1_3repE0EEENS1_59segmented_radix_sort_warp_sort_small_config_static_selectorELNS0_4arch9wavefront6targetE0EEEvSK_.private_seg_size, 0
	.set _ZN7rocprim17ROCPRIM_400000_NS6detail17trampoline_kernelINS0_14default_configENS1_36segmented_radix_sort_config_selectorIflEEZNS1_25segmented_radix_sort_implIS3_Lb0EPKfPfPKlPlN2at6native12_GLOBAL__N_18offset_tEEE10hipError_tPvRmT1_PNSt15iterator_traitsISK_E10value_typeET2_T3_PNSL_ISQ_E10value_typeET4_jRbjT5_SW_jjP12ihipStream_tbEUlT_E1_NS1_11comp_targetILNS1_3genE9ELNS1_11target_archE1100ELNS1_3gpuE3ELNS1_3repE0EEENS1_59segmented_radix_sort_warp_sort_small_config_static_selectorELNS0_4arch9wavefront6targetE0EEEvSK_.uses_vcc, 0
	.set _ZN7rocprim17ROCPRIM_400000_NS6detail17trampoline_kernelINS0_14default_configENS1_36segmented_radix_sort_config_selectorIflEEZNS1_25segmented_radix_sort_implIS3_Lb0EPKfPfPKlPlN2at6native12_GLOBAL__N_18offset_tEEE10hipError_tPvRmT1_PNSt15iterator_traitsISK_E10value_typeET2_T3_PNSL_ISQ_E10value_typeET4_jRbjT5_SW_jjP12ihipStream_tbEUlT_E1_NS1_11comp_targetILNS1_3genE9ELNS1_11target_archE1100ELNS1_3gpuE3ELNS1_3repE0EEENS1_59segmented_radix_sort_warp_sort_small_config_static_selectorELNS0_4arch9wavefront6targetE0EEEvSK_.uses_flat_scratch, 0
	.set _ZN7rocprim17ROCPRIM_400000_NS6detail17trampoline_kernelINS0_14default_configENS1_36segmented_radix_sort_config_selectorIflEEZNS1_25segmented_radix_sort_implIS3_Lb0EPKfPfPKlPlN2at6native12_GLOBAL__N_18offset_tEEE10hipError_tPvRmT1_PNSt15iterator_traitsISK_E10value_typeET2_T3_PNSL_ISQ_E10value_typeET4_jRbjT5_SW_jjP12ihipStream_tbEUlT_E1_NS1_11comp_targetILNS1_3genE9ELNS1_11target_archE1100ELNS1_3gpuE3ELNS1_3repE0EEENS1_59segmented_radix_sort_warp_sort_small_config_static_selectorELNS0_4arch9wavefront6targetE0EEEvSK_.has_dyn_sized_stack, 0
	.set _ZN7rocprim17ROCPRIM_400000_NS6detail17trampoline_kernelINS0_14default_configENS1_36segmented_radix_sort_config_selectorIflEEZNS1_25segmented_radix_sort_implIS3_Lb0EPKfPfPKlPlN2at6native12_GLOBAL__N_18offset_tEEE10hipError_tPvRmT1_PNSt15iterator_traitsISK_E10value_typeET2_T3_PNSL_ISQ_E10value_typeET4_jRbjT5_SW_jjP12ihipStream_tbEUlT_E1_NS1_11comp_targetILNS1_3genE9ELNS1_11target_archE1100ELNS1_3gpuE3ELNS1_3repE0EEENS1_59segmented_radix_sort_warp_sort_small_config_static_selectorELNS0_4arch9wavefront6targetE0EEEvSK_.has_recursion, 0
	.set _ZN7rocprim17ROCPRIM_400000_NS6detail17trampoline_kernelINS0_14default_configENS1_36segmented_radix_sort_config_selectorIflEEZNS1_25segmented_radix_sort_implIS3_Lb0EPKfPfPKlPlN2at6native12_GLOBAL__N_18offset_tEEE10hipError_tPvRmT1_PNSt15iterator_traitsISK_E10value_typeET2_T3_PNSL_ISQ_E10value_typeET4_jRbjT5_SW_jjP12ihipStream_tbEUlT_E1_NS1_11comp_targetILNS1_3genE9ELNS1_11target_archE1100ELNS1_3gpuE3ELNS1_3repE0EEENS1_59segmented_radix_sort_warp_sort_small_config_static_selectorELNS0_4arch9wavefront6targetE0EEEvSK_.has_indirect_call, 0
	.section	.AMDGPU.csdata,"",@progbits
; Kernel info:
; codeLenInByte = 0
; TotalNumSgprs: 0
; NumVgprs: 0
; ScratchSize: 0
; MemoryBound: 0
; FloatMode: 240
; IeeeMode: 1
; LDSByteSize: 0 bytes/workgroup (compile time only)
; SGPRBlocks: 0
; VGPRBlocks: 0
; NumSGPRsForWavesPerEU: 1
; NumVGPRsForWavesPerEU: 1
; Occupancy: 16
; WaveLimiterHint : 0
; COMPUTE_PGM_RSRC2:SCRATCH_EN: 0
; COMPUTE_PGM_RSRC2:USER_SGPR: 6
; COMPUTE_PGM_RSRC2:TRAP_HANDLER: 0
; COMPUTE_PGM_RSRC2:TGID_X_EN: 1
; COMPUTE_PGM_RSRC2:TGID_Y_EN: 0
; COMPUTE_PGM_RSRC2:TGID_Z_EN: 0
; COMPUTE_PGM_RSRC2:TIDIG_COMP_CNT: 0
	.text
	.p2align	2                               ; -- Begin function _ZN7rocprim17ROCPRIM_400000_NS6detail26segmented_warp_sort_helperINS1_20WarpSortHelperConfigILj8ELj8ELj256EEEflLi256ELb0EvE4sortIPKfPfPKlPlEEvT_T0_T1_T2_jjjjRNS5_12storage_typeE
	.type	_ZN7rocprim17ROCPRIM_400000_NS6detail26segmented_warp_sort_helperINS1_20WarpSortHelperConfigILj8ELj8ELj256EEEflLi256ELb0EvE4sortIPKfPfPKlPlEEvT_T0_T1_T2_jjjjRNS5_12storage_typeE,@function
_ZN7rocprim17ROCPRIM_400000_NS6detail26segmented_warp_sort_helperINS1_20WarpSortHelperConfigILj8ELj8ELj256EEEflLi256ELb0EvE4sortIPKfPfPKlPlEEvT_T0_T1_T2_jjjjRNS5_12storage_typeE: ; @_ZN7rocprim17ROCPRIM_400000_NS6detail26segmented_warp_sort_helperINS1_20WarpSortHelperConfigILj8ELj8ELj256EEEflLi256ELb0EvE4sortIPKfPfPKlPlEEvT_T0_T1_T2_jjjjRNS5_12storage_typeE
; %bb.0:
	s_waitcnt vmcnt(0) expcnt(0) lgkmcnt(0)
	v_mov_b32_e32 v11, v9
	v_mbcnt_lo_u32_b32 v9, -1, 0
	v_bfrev_b32_e32 v66, -2
	v_bfrev_b32_e32 v37, -2
	v_sub_nc_u32_e32 v11, v11, v8
	v_lshlrev_b32_e32 v36, 3, v9
	v_mov_b32_e32 v9, 0
	v_and_b32_e32 v35, 56, v36
	v_lshlrev_b64 v[12:13], 2, v[8:9]
	v_lshlrev_b32_e32 v34, 2, v35
	v_add_co_u32 v0, vcc_lo, v0, v12
	v_add_co_ci_u32_e64 v1, null, v1, v13, vcc_lo
	v_add_co_u32 v0, vcc_lo, v0, v34
	v_add_co_ci_u32_e64 v1, null, 0, v1, vcc_lo
	v_cmp_lt_u32_e32 vcc_lo, v35, v11
	s_and_saveexec_b32 s4, vcc_lo
	s_cbranch_execz .LBB1448_2
; %bb.1:
	flat_load_dword v37, v[0:1]
.LBB1448_2:
	s_or_b32 exec_lo, exec_lo, s4
	v_or_b32_e32 v14, 1, v35
	v_cmp_lt_u32_e64 s4, v14, v11
	s_and_saveexec_b32 s5, s4
	s_cbranch_execz .LBB1448_4
; %bb.3:
	flat_load_dword v66, v[0:1] offset:4
.LBB1448_4:
	s_or_b32 exec_lo, exec_lo, s5
	v_or_b32_e32 v14, 2, v35
	v_bfrev_b32_e32 v70, -2
	v_bfrev_b32_e32 v67, -2
	v_cmp_lt_u32_e64 s5, v14, v11
	s_and_saveexec_b32 s6, s5
	s_cbranch_execz .LBB1448_6
; %bb.5:
	flat_load_dword v67, v[0:1] offset:8
.LBB1448_6:
	s_or_b32 exec_lo, exec_lo, s6
	v_or_b32_e32 v14, 3, v35
	v_cmp_lt_u32_e64 s6, v14, v11
	s_and_saveexec_b32 s7, s6
	s_cbranch_execz .LBB1448_8
; %bb.7:
	flat_load_dword v70, v[0:1] offset:12
.LBB1448_8:
	s_or_b32 exec_lo, exec_lo, s7
	v_or_b32_e32 v14, 4, v35
	v_bfrev_b32_e32 v39, -2
	v_bfrev_b32_e32 v68, -2
	v_cmp_lt_u32_e64 s7, v14, v11
	s_and_saveexec_b32 s10, s7
	s_cbranch_execz .LBB1448_10
; %bb.9:
	flat_load_dword v68, v[0:1] offset:16
.LBB1448_10:
	;; [unrolled: 18-line block ×3, first 2 shown]
	s_or_b32 exec_lo, exec_lo, s14
	v_or_b32_e32 v14, 7, v35
	v_cmp_lt_u32_e64 s14, v14, v11
	s_and_saveexec_b32 s15, s14
	s_cbranch_execz .LBB1448_16
; %bb.15:
	flat_load_dword v38, v[0:1] offset:28
.LBB1448_16:
	s_or_b32 exec_lo, exec_lo, s15
	v_lshlrev_b64 v[0:1], 3, v[8:9]
	v_lshlrev_b32_e32 v11, 3, v35
	; wave barrier
	v_add_co_u32 v4, s15, v4, v0
	v_add_co_ci_u32_e64 v5, null, v5, v1, s15
	v_add_co_u32 v26, s15, v4, v11
	v_add_co_ci_u32_e64 v27, null, 0, v5, s15
                                        ; implicit-def: $vgpr4_vgpr5
	s_and_saveexec_b32 s15, vcc_lo
	s_cbranch_execnz .LBB1448_221
; %bb.17:
	s_or_b32 exec_lo, exec_lo, s15
                                        ; implicit-def: $vgpr8_vgpr9
	s_and_saveexec_b32 s15, s4
	s_cbranch_execnz .LBB1448_222
.LBB1448_18:
	s_or_b32 exec_lo, exec_lo, s15
                                        ; implicit-def: $vgpr14_vgpr15
	s_and_saveexec_b32 s15, s5
	s_cbranch_execnz .LBB1448_223
.LBB1448_19:
	s_or_b32 exec_lo, exec_lo, s15
                                        ; implicit-def: $vgpr16_vgpr17
	s_and_saveexec_b32 s15, s6
	s_cbranch_execnz .LBB1448_224
.LBB1448_20:
	s_or_b32 exec_lo, exec_lo, s15
                                        ; implicit-def: $vgpr18_vgpr19
	s_and_saveexec_b32 s15, s7
	s_cbranch_execnz .LBB1448_225
.LBB1448_21:
	s_or_b32 exec_lo, exec_lo, s15
                                        ; implicit-def: $vgpr22_vgpr23
	s_and_saveexec_b32 s15, s10
	s_cbranch_execnz .LBB1448_226
.LBB1448_22:
	s_or_b32 exec_lo, exec_lo, s15
                                        ; implicit-def: $vgpr20_vgpr21
	s_and_saveexec_b32 s15, s11
	s_cbranch_execnz .LBB1448_227
.LBB1448_23:
	s_or_b32 exec_lo, exec_lo, s15
                                        ; implicit-def: $vgpr24_vgpr25
	s_and_saveexec_b32 s15, s14
	s_cbranch_execz .LBB1448_25
.LBB1448_24:
	flat_load_dwordx2 v[24:25], v[26:27] offset:56
.LBB1448_25:
	s_or_b32 exec_lo, exec_lo, s15
	; wave barrier
	s_load_dwordx2 s[16:17], s[8:9], 0x0
	v_mov_b32_e32 v26, 0
	v_bfe_u32 v28, v31, 10, 10
	v_bfe_u32 v29, v31, 20, 10
	s_waitcnt lgkmcnt(0)
	s_cmp_lt_u32 s13, s17
	s_cselect_b32 s13, 14, 20
	s_add_u32 s18, s8, s13
	s_addc_u32 s19, s9, 0
	s_cmp_lt_u32 s12, s16
	global_load_ushort v27, v26, s[18:19]
	s_cselect_b32 s12, 12, 18
	s_add_u32 s8, s8, s12
	s_addc_u32 s9, s9, 0
	global_load_ushort v26, v26, s[8:9]
	s_mov_b32 s9, exec_lo
	s_waitcnt vmcnt(1)
	v_mad_u32_u24 v27, v29, v27, v28
	s_waitcnt vmcnt(0)
	v_mul_lo_u32 v26, v27, v26
	v_and_b32_e32 v27, 0x3ff, v31
	v_add_lshl_u32 v48, v26, v27, 3
	v_cmpx_gt_u32_e32 0x800, v48
	s_cbranch_execz .LBB1448_83
; %bb.26:
	v_add_f32_e32 v26, 0, v37
	v_add_f32_e32 v27, 0, v66
	v_mov_b32_e32 v32, v66
	v_ashrrev_i32_e32 v28, 31, v26
	v_ashrrev_i32_e32 v29, 31, v27
	v_or_b32_e32 v28, 0x80000000, v28
	v_or_b32_e32 v29, 0x80000000, v29
	v_xor_b32_e32 v26, v28, v26
	v_xor_b32_e32 v27, v29, v27
	v_cmp_gt_u32_e64 s8, v26, v27
	v_mov_b32_e32 v27, v9
	v_mov_b32_e32 v26, v8
	s_and_saveexec_b32 s12, s8
; %bb.27:
	v_mov_b32_e32 v27, v5
	v_mov_b32_e32 v26, v4
	v_mov_b32_e32 v4, v8
	v_mov_b32_e32 v32, v37
	v_mov_b32_e32 v37, v66
	v_mov_b32_e32 v5, v9
; %bb.28:
	s_or_b32 exec_lo, exec_lo, s12
	v_add_f32_e32 v8, 0, v67
	v_add_f32_e32 v9, 0, v70
	v_mov_b32_e32 v30, v70
	s_mov_b32 s12, exec_lo
	v_ashrrev_i32_e32 v28, 31, v8
	v_ashrrev_i32_e32 v29, 31, v9
	v_or_b32_e32 v28, 0x80000000, v28
	v_or_b32_e32 v29, 0x80000000, v29
	v_xor_b32_e32 v8, v28, v8
	v_xor_b32_e32 v9, v29, v9
	v_mov_b32_e32 v29, v17
	v_mov_b32_e32 v28, v16
	v_cmpx_gt_u32_e64 v8, v9
; %bb.29:
	v_mov_b32_e32 v29, v15
	v_mov_b32_e32 v28, v14
	v_mov_b32_e32 v14, v16
	v_mov_b32_e32 v30, v67
	v_mov_b32_e32 v67, v70
	v_mov_b32_e32 v15, v17
; %bb.30:
	s_or_b32 exec_lo, exec_lo, s12
	v_add_f32_e32 v8, 0, v68
	v_add_f32_e32 v9, 0, v39
	v_mov_b32_e32 v51, v68
	s_mov_b32 s12, exec_lo
	v_ashrrev_i32_e32 v16, 31, v8
	v_ashrrev_i32_e32 v17, 31, v9
	v_or_b32_e32 v16, 0x80000000, v16
	v_or_b32_e32 v17, 0x80000000, v17
	v_xor_b32_e32 v8, v16, v8
	v_xor_b32_e32 v9, v17, v9
	v_mov_b32_e32 v16, v22
	v_mov_b32_e32 v17, v23
	v_cmpx_gt_u32_e64 v8, v9
	;; [unrolled: 22-line block ×3, first 2 shown]
; %bb.33:
	v_mov_b32_e32 v8, v20
	v_mov_b32_e32 v9, v21
	;; [unrolled: 1-line block ×6, first 2 shown]
; %bb.34:
	s_or_b32 exec_lo, exec_lo, s12
	v_add_f32_e32 v22, 0, v32
	v_add_f32_e32 v23, 0, v67
	v_mov_b32_e32 v33, v67
	v_ashrrev_i32_e32 v24, 31, v22
	v_ashrrev_i32_e32 v25, 31, v23
	v_or_b32_e32 v24, 0x80000000, v24
	v_or_b32_e32 v25, 0x80000000, v25
	v_xor_b32_e32 v22, v24, v22
	v_xor_b32_e32 v23, v25, v23
	v_cmp_gt_u32_e64 s8, v22, v23
	v_mov_b32_e32 v23, v15
	v_mov_b32_e32 v22, v14
	s_and_saveexec_b32 s12, s8
	s_xor_b32 s8, exec_lo, s12
; %bb.35:
	v_mov_b32_e32 v22, v26
	v_mov_b32_e32 v23, v27
	;; [unrolled: 1-line block ×6, first 2 shown]
; %bb.36:
	s_or_b32 exec_lo, exec_lo, s8
	v_add_f32_e32 v14, 0, v30
	v_add_f32_e32 v15, 0, v51
	v_ashrrev_i32_e32 v24, 31, v14
	v_ashrrev_i32_e32 v25, 31, v15
	v_or_b32_e32 v24, 0x80000000, v24
	v_or_b32_e32 v25, 0x80000000, v25
	v_xor_b32_e32 v24, v24, v14
	v_xor_b32_e32 v15, v25, v15
	v_mov_b32_e32 v14, v30
	v_cmp_gt_u32_e64 s8, v24, v15
	v_mov_b32_e32 v25, v19
	v_mov_b32_e32 v24, v18
	s_and_saveexec_b32 s12, s8
; %bb.37:
	v_mov_b32_e32 v24, v28
	v_mov_b32_e32 v25, v29
	;; [unrolled: 1-line block ×6, first 2 shown]
; %bb.38:
	s_or_b32 exec_lo, exec_lo, s12
	v_add_f32_e32 v15, 0, v39
	v_add_f32_e32 v18, 0, v49
	v_mov_b32_e32 v50, v39
	s_mov_b32 s12, exec_lo
	v_ashrrev_i32_e32 v19, 31, v15
	v_ashrrev_i32_e32 v30, 31, v18
	v_or_b32_e32 v19, 0x80000000, v19
	v_or_b32_e32 v30, 0x80000000, v30
	v_xor_b32_e32 v15, v19, v15
	v_xor_b32_e32 v30, v30, v18
	v_mov_b32_e32 v18, v20
	v_mov_b32_e32 v19, v21
	v_cmpx_gt_u32_e64 v15, v30
; %bb.39:
	v_mov_b32_e32 v19, v17
	v_mov_b32_e32 v18, v16
	;; [unrolled: 1-line block ×6, first 2 shown]
; %bb.40:
	s_or_b32 exec_lo, exec_lo, s12
	v_add_f32_e32 v20, 0, v32
	v_add_f32_e32 v15, 0, v37
	v_mov_b32_e32 v39, v32
	s_mov_b32 s12, exec_lo
	v_ashrrev_i32_e32 v30, 31, v20
	v_ashrrev_i32_e32 v21, 31, v15
	v_or_b32_e32 v30, 0x80000000, v30
	v_or_b32_e32 v21, 0x80000000, v21
	v_xor_b32_e32 v20, v30, v20
	v_mov_b32_e32 v31, v27
	v_xor_b32_e32 v15, v21, v15
	v_mov_b32_e32 v30, v26
	v_cmpx_gt_u32_e64 v15, v20
; %bb.41:
	v_mov_b32_e32 v31, v5
	v_mov_b32_e32 v30, v4
	;; [unrolled: 1-line block ×6, first 2 shown]
; %bb.42:
	s_or_b32 exec_lo, exec_lo, s12
	v_add_f32_e32 v20, 0, v14
	v_add_f32_e32 v15, 0, v33
	v_mov_b32_e32 v52, v14
	s_mov_b32 s12, exec_lo
	v_ashrrev_i32_e32 v26, 31, v20
	v_ashrrev_i32_e32 v21, 31, v15
	v_or_b32_e32 v26, 0x80000000, v26
	v_or_b32_e32 v21, 0x80000000, v21
	v_xor_b32_e32 v20, v26, v20
	v_mov_b32_e32 v26, v28
	v_xor_b32_e32 v15, v21, v15
	v_mov_b32_e32 v27, v29
	v_cmpx_gt_u32_e64 v15, v20
; %bb.43:
	v_mov_b32_e32 v27, v23
	v_mov_b32_e32 v26, v22
	;; [unrolled: 1-line block ×6, first 2 shown]
; %bb.44:
	s_or_b32 exec_lo, exec_lo, s12
	v_add_f32_e32 v14, 0, v51
	v_add_f32_e32 v15, 0, v50
	v_mov_b32_e32 v53, v51
	s_mov_b32 s12, exec_lo
	v_ashrrev_i32_e32 v20, 31, v14
	v_ashrrev_i32_e32 v21, 31, v15
	v_or_b32_e32 v20, 0x80000000, v20
	v_or_b32_e32 v21, 0x80000000, v21
	v_xor_b32_e32 v14, v20, v14
	v_xor_b32_e32 v15, v21, v15
	v_mov_b32_e32 v21, v17
	v_mov_b32_e32 v20, v16
	v_cmpx_gt_u32_e64 v14, v15
; %bb.45:
	v_mov_b32_e32 v20, v24
	v_mov_b32_e32 v21, v25
	;; [unrolled: 1-line block ×6, first 2 shown]
; %bb.46:
	s_or_b32 exec_lo, exec_lo, s12
	v_add_f32_e32 v14, 0, v49
	v_add_f32_e32 v15, 0, v38
	v_mov_b32_e32 v32, v49
	s_mov_b32 s12, exec_lo
	v_ashrrev_i32_e32 v16, 31, v14
	v_ashrrev_i32_e32 v17, 31, v15
	v_or_b32_e32 v16, 0x80000000, v16
	v_or_b32_e32 v17, 0x80000000, v17
	v_xor_b32_e32 v16, v16, v14
	v_xor_b32_e32 v17, v17, v15
	v_mov_b32_e32 v15, v9
	v_mov_b32_e32 v14, v8
	v_cmpx_gt_u32_e64 v16, v17
; %bb.47:
	v_mov_b32_e32 v14, v18
	v_mov_b32_e32 v15, v19
	;; [unrolled: 1-line block ×6, first 2 shown]
; %bb.48:
	s_or_b32 exec_lo, exec_lo, s12
	v_add_f32_e32 v8, 0, v39
	v_add_f32_e32 v9, 0, v33
	v_mov_b32_e32 v29, v23
	v_mov_b32_e32 v49, v33
	;; [unrolled: 1-line block ×3, first 2 shown]
	v_ashrrev_i32_e32 v16, 31, v8
	v_ashrrev_i32_e32 v17, 31, v9
	s_mov_b32 s12, exec_lo
	v_or_b32_e32 v16, 0x80000000, v16
	v_or_b32_e32 v17, 0x80000000, v17
	v_xor_b32_e32 v8, v16, v8
	v_xor_b32_e32 v9, v17, v9
	v_cmpx_gt_u32_e64 v8, v9
; %bb.49:
	v_mov_b32_e32 v28, v30
	v_mov_b32_e32 v29, v31
	;; [unrolled: 1-line block ×6, first 2 shown]
; %bb.50:
	s_or_b32 exec_lo, exec_lo, s12
	v_add_f32_e32 v8, 0, v52
	v_add_f32_e32 v9, 0, v53
	v_mov_b32_e32 v22, v52
	s_mov_b32 s12, exec_lo
	v_ashrrev_i32_e32 v16, 31, v8
	v_ashrrev_i32_e32 v17, 31, v9
	v_or_b32_e32 v16, 0x80000000, v16
	v_or_b32_e32 v17, 0x80000000, v17
	v_xor_b32_e32 v8, v16, v8
	v_xor_b32_e32 v9, v17, v9
	v_mov_b32_e32 v16, v24
	v_mov_b32_e32 v17, v25
	v_cmpx_gt_u32_e64 v8, v9
; %bb.51:
	v_mov_b32_e32 v16, v26
	v_mov_b32_e32 v17, v27
	;; [unrolled: 1-line block ×6, first 2 shown]
; %bb.52:
	s_or_b32 exec_lo, exec_lo, s12
	v_add_f32_e32 v8, 0, v50
	v_add_f32_e32 v9, 0, v32
	v_mov_b32_e32 v52, v50
	s_mov_b32 s12, exec_lo
	v_ashrrev_i32_e32 v23, 31, v8
	v_ashrrev_i32_e32 v24, 31, v9
	v_or_b32_e32 v23, 0x80000000, v23
	v_or_b32_e32 v24, 0x80000000, v24
	v_xor_b32_e32 v23, v23, v8
	v_xor_b32_e32 v24, v24, v9
	v_mov_b32_e32 v8, v18
	v_mov_b32_e32 v9, v19
	v_cmpx_gt_u32_e64 v23, v24
; %bb.53:
	v_mov_b32_e32 v8, v20
	v_mov_b32_e32 v9, v21
	;; [unrolled: 1-line block ×6, first 2 shown]
; %bb.54:
	s_or_b32 exec_lo, exec_lo, s12
	v_add_f32_e32 v19, 0, v39
	v_add_f32_e32 v18, 0, v37
	v_mov_b32_e32 v50, v39
	s_mov_b32 s12, exec_lo
	v_ashrrev_i32_e32 v24, 31, v19
	v_ashrrev_i32_e32 v23, 31, v18
	v_or_b32_e32 v24, 0x80000000, v24
	v_or_b32_e32 v23, 0x80000000, v23
	v_xor_b32_e32 v19, v24, v19
	v_mov_b32_e32 v24, v30
	v_xor_b32_e32 v18, v23, v18
	v_mov_b32_e32 v25, v31
	v_cmpx_gt_u32_e64 v18, v19
; %bb.55:
	v_mov_b32_e32 v25, v5
	v_mov_b32_e32 v24, v4
	v_mov_b32_e32 v4, v30
	v_mov_b32_e32 v50, v37
	v_mov_b32_e32 v37, v39
	v_mov_b32_e32 v5, v31
; %bb.56:
	s_or_b32 exec_lo, exec_lo, s12
	v_add_f32_e32 v19, 0, v22
	v_add_f32_e32 v18, 0, v49
	v_mov_b32_e32 v39, v22
	s_mov_b32 s12, exec_lo
	v_ashrrev_i32_e32 v30, 31, v19
	v_ashrrev_i32_e32 v23, 31, v18
	v_or_b32_e32 v30, 0x80000000, v30
	v_or_b32_e32 v23, 0x80000000, v23
	v_xor_b32_e32 v19, v30, v19
	v_mov_b32_e32 v31, v27
	v_xor_b32_e32 v18, v23, v18
	v_mov_b32_e32 v30, v26
	v_cmpx_gt_u32_e64 v18, v19
; %bb.57:
	v_mov_b32_e32 v31, v29
	v_mov_b32_e32 v30, v28
	;; [unrolled: 1-line block ×6, first 2 shown]
; %bb.58:
	s_or_b32 exec_lo, exec_lo, s12
	v_add_f32_e32 v18, 0, v53
	v_add_f32_e32 v19, 0, v52
	v_mov_b32_e32 v54, v53
	s_mov_b32 s12, exec_lo
	v_ashrrev_i32_e32 v22, 31, v18
	v_ashrrev_i32_e32 v23, 31, v19
	v_or_b32_e32 v22, 0x80000000, v22
	v_or_b32_e32 v23, 0x80000000, v23
	v_xor_b32_e32 v18, v22, v18
	v_xor_b32_e32 v19, v23, v19
	v_mov_b32_e32 v23, v21
	v_mov_b32_e32 v22, v20
	v_cmpx_gt_u32_e64 v18, v19
; %bb.59:
	v_mov_b32_e32 v23, v17
	v_mov_b32_e32 v22, v16
	;; [unrolled: 1-line block ×6, first 2 shown]
; %bb.60:
	s_or_b32 exec_lo, exec_lo, s12
	v_add_f32_e32 v18, 0, v32
	v_add_f32_e32 v19, 0, v38
	v_mov_b32_e32 v53, v32
	s_mov_b32 s12, exec_lo
	v_ashrrev_i32_e32 v20, 31, v18
	v_ashrrev_i32_e32 v21, 31, v19
	v_or_b32_e32 v20, 0x80000000, v20
	v_or_b32_e32 v21, 0x80000000, v21
	v_xor_b32_e32 v20, v20, v18
	v_xor_b32_e32 v21, v21, v19
	v_mov_b32_e32 v19, v15
	v_mov_b32_e32 v18, v14
	v_cmpx_gt_u32_e64 v20, v21
; %bb.61:
	v_mov_b32_e32 v19, v9
	v_mov_b32_e32 v18, v8
	;; [unrolled: 1-line block ×6, first 2 shown]
; %bb.62:
	s_or_b32 exec_lo, exec_lo, s12
	v_add_f32_e32 v14, 0, v50
	v_add_f32_e32 v15, 0, v49
	v_mov_b32_e32 v33, v29
	v_mov_b32_e32 v51, v49
	;; [unrolled: 1-line block ×3, first 2 shown]
	v_ashrrev_i32_e32 v20, 31, v14
	v_ashrrev_i32_e32 v21, 31, v15
	s_mov_b32 s12, exec_lo
	v_or_b32_e32 v20, 0x80000000, v20
	v_or_b32_e32 v21, 0x80000000, v21
	v_xor_b32_e32 v14, v20, v14
	v_xor_b32_e32 v15, v21, v15
	v_cmpx_gt_u32_e64 v14, v15
; %bb.63:
	v_mov_b32_e32 v33, v25
	v_mov_b32_e32 v32, v24
	;; [unrolled: 1-line block ×6, first 2 shown]
; %bb.64:
	s_or_b32 exec_lo, exec_lo, s12
	v_add_f32_e32 v14, 0, v39
	v_add_f32_e32 v15, 0, v54
	v_mov_b32_e32 v27, v17
	v_mov_b32_e32 v26, v16
	s_mov_b32 s12, exec_lo
	v_ashrrev_i32_e32 v20, 31, v14
	v_ashrrev_i32_e32 v21, 31, v15
	v_or_b32_e32 v20, 0x80000000, v20
	v_or_b32_e32 v21, 0x80000000, v21
	v_xor_b32_e32 v20, v20, v14
	v_xor_b32_e32 v15, v21, v15
	v_mov_b32_e32 v14, v39
	v_cmpx_gt_u32_e64 v20, v15
; %bb.65:
	v_mov_b32_e32 v26, v30
	v_mov_b32_e32 v27, v31
	;; [unrolled: 1-line block ×6, first 2 shown]
; %bb.66:
	s_or_b32 exec_lo, exec_lo, s12
	v_add_f32_e32 v16, 0, v53
	v_add_f32_e32 v15, 0, v52
	v_mov_b32_e32 v39, v52
	s_mov_b32 s12, exec_lo
	v_ashrrev_i32_e32 v20, 31, v16
	v_ashrrev_i32_e32 v17, 31, v15
	v_or_b32_e32 v20, 0x80000000, v20
	v_or_b32_e32 v17, 0x80000000, v17
	v_xor_b32_e32 v16, v20, v16
	v_mov_b32_e32 v21, v9
	v_xor_b32_e32 v15, v17, v15
	v_mov_b32_e32 v20, v8
	v_cmpx_gt_u32_e64 v15, v16
; %bb.67:
	v_mov_b32_e32 v20, v22
	v_mov_b32_e32 v21, v23
	;; [unrolled: 1-line block ×6, first 2 shown]
; %bb.68:
	s_or_b32 exec_lo, exec_lo, s12
	v_add_f32_e32 v8, 0, v37
	v_add_f32_e32 v9, 0, v50
	v_mov_b32_e32 v66, v50
	v_ashrrev_i32_e32 v15, 31, v8
	v_ashrrev_i32_e32 v16, 31, v9
	v_or_b32_e32 v15, 0x80000000, v15
	v_or_b32_e32 v16, 0x80000000, v16
	v_xor_b32_e32 v8, v15, v8
	v_xor_b32_e32 v9, v16, v9
	v_cmp_gt_u32_e64 s8, v8, v9
	v_mov_b32_e32 v8, v24
	v_mov_b32_e32 v9, v25
	s_and_saveexec_b32 s12, s8
; %bb.69:
	v_mov_b32_e32 v9, v5
	v_mov_b32_e32 v8, v4
	;; [unrolled: 1-line block ×6, first 2 shown]
; %bb.70:
	s_or_b32 exec_lo, exec_lo, s12
	v_add_f32_e32 v15, 0, v51
	v_add_f32_e32 v16, 0, v14
	v_mov_b32_e32 v49, v14
	v_ashrrev_i32_e32 v17, 31, v15
	v_ashrrev_i32_e32 v24, 31, v16
	v_or_b32_e32 v17, 0x80000000, v17
	v_or_b32_e32 v24, 0x80000000, v24
	v_xor_b32_e32 v15, v17, v15
	v_xor_b32_e32 v16, v24, v16
	v_cmp_gt_u32_e64 s8, v15, v16
	v_mov_b32_e32 v16, v30
	v_mov_b32_e32 v17, v31
	s_and_saveexec_b32 s12, s8
; %bb.71:
	v_mov_b32_e32 v16, v32
	v_mov_b32_e32 v17, v33
	;; [unrolled: 1-line block ×6, first 2 shown]
; %bb.72:
	s_or_b32 exec_lo, exec_lo, s12
	v_add_f32_e32 v14, 0, v54
	v_add_f32_e32 v15, 0, v39
	v_mov_b32_e32 v29, v23
	v_mov_b32_e32 v28, v22
	;; [unrolled: 1-line block ×3, first 2 shown]
	v_ashrrev_i32_e32 v24, 31, v14
	v_ashrrev_i32_e32 v25, 31, v15
	s_mov_b32 s12, exec_lo
	v_or_b32_e32 v24, 0x80000000, v24
	v_or_b32_e32 v25, 0x80000000, v25
	v_xor_b32_e32 v14, v24, v14
	v_xor_b32_e32 v15, v25, v15
	v_cmpx_gt_u32_e64 v14, v15
; %bb.73:
	v_mov_b32_e32 v29, v27
	v_mov_b32_e32 v28, v26
	;; [unrolled: 1-line block ×6, first 2 shown]
; %bb.74:
	s_or_b32 exec_lo, exec_lo, s12
	v_add_f32_e32 v14, 0, v53
	v_add_f32_e32 v15, 0, v38
	v_mov_b32_e32 v25, v19
	v_mov_b32_e32 v24, v18
	v_mov_b32_e32 v30, v53
	v_ashrrev_i32_e32 v22, 31, v14
	v_ashrrev_i32_e32 v23, 31, v15
	s_mov_b32 s12, exec_lo
	v_or_b32_e32 v22, 0x80000000, v22
	v_or_b32_e32 v23, 0x80000000, v23
	v_xor_b32_e32 v14, v22, v14
	v_xor_b32_e32 v15, v23, v15
	v_cmpx_gt_u32_e64 v14, v15
; %bb.75:
	v_mov_b32_e32 v25, v21
	v_mov_b32_e32 v24, v20
	v_mov_b32_e32 v21, v19
	v_mov_b32_e32 v20, v18
	v_mov_b32_e32 v30, v38
	v_mov_b32_e32 v38, v53
; %bb.76:
	s_or_b32 exec_lo, exec_lo, s12
	v_add_f32_e32 v14, 0, v66
	v_add_f32_e32 v15, 0, v51
	v_mov_b32_e32 v67, v51
	v_ashrrev_i32_e32 v18, 31, v14
	v_ashrrev_i32_e32 v19, 31, v15
	v_or_b32_e32 v18, 0x80000000, v18
	v_or_b32_e32 v19, 0x80000000, v19
	v_xor_b32_e32 v14, v18, v14
	v_xor_b32_e32 v15, v19, v15
	v_cmp_gt_u32_e64 s8, v14, v15
	v_mov_b32_e32 v14, v32
	v_mov_b32_e32 v15, v33
	s_and_saveexec_b32 s12, s8
; %bb.77:
	v_mov_b32_e32 v15, v9
	v_mov_b32_e32 v14, v8
	v_mov_b32_e32 v8, v32
	v_mov_b32_e32 v67, v66
	v_mov_b32_e32 v66, v51
	v_mov_b32_e32 v9, v33
; %bb.78:
	s_or_b32 exec_lo, exec_lo, s12
	v_add_f32_e32 v18, 0, v49
	v_add_f32_e32 v19, 0, v68
	v_mov_b32_e32 v70, v49
	v_ashrrev_i32_e32 v22, 31, v18
	v_ashrrev_i32_e32 v23, 31, v19
	v_or_b32_e32 v22, 0x80000000, v22
	v_or_b32_e32 v23, 0x80000000, v23
	v_xor_b32_e32 v18, v22, v18
	v_xor_b32_e32 v19, v23, v19
	v_cmp_gt_u32_e64 s8, v18, v19
	v_mov_b32_e32 v18, v26
	v_mov_b32_e32 v19, v27
	s_and_saveexec_b32 s12, s8
; %bb.79:
	v_mov_b32_e32 v19, v17
	v_mov_b32_e32 v18, v16
	v_mov_b32_e32 v16, v26
	v_mov_b32_e32 v70, v68
	v_mov_b32_e32 v17, v27
	v_mov_b32_e32 v68, v49
; %bb.80:
	s_or_b32 exec_lo, exec_lo, s12
	v_add_f32_e32 v22, 0, v39
	v_add_f32_e32 v23, 0, v30
	v_mov_b32_e32 v69, v30
	v_ashrrev_i32_e32 v26, 31, v22
	v_ashrrev_i32_e32 v27, 31, v23
	v_or_b32_e32 v26, 0x80000000, v26
	v_or_b32_e32 v27, 0x80000000, v27
	v_xor_b32_e32 v22, v26, v22
	v_xor_b32_e32 v23, v27, v23
	v_cmp_gt_u32_e64 s8, v22, v23
	v_mov_b32_e32 v22, v28
	v_mov_b32_e32 v23, v29
	s_and_saveexec_b32 s12, s8
; %bb.81:
	v_mov_b32_e32 v23, v21
	v_mov_b32_e32 v22, v20
	;; [unrolled: 1-line block ×6, first 2 shown]
; %bb.82:
	s_or_b32 exec_lo, exec_lo, s12
.LBB1448_83:
	s_or_b32 exec_lo, exec_lo, s9
	v_and_b32_e32 v28, 0xffffff00, v48
	v_or_b32_e32 v26, 8, v36
	v_mov_b32_e32 v29, 0
	v_and_b32_e32 v81, 0xf0, v36
	s_mov_b32 s9, exec_lo
	v_sub_nc_u32_e64 v27, 0x800, v28 clamp
	v_lshlrev_b64 v[30:31], 3, v[28:29]
	v_lshlrev_b64 v[28:29], 2, v[28:29]
	v_and_b32_e32 v29, 8, v36
	v_min_u32_e32 v71, v27, v26
	v_add_co_u32 v30, null, v10, v30
	v_add_nc_u32_e32 v31, 8, v71
	v_add_co_u32 v26, null, v10, v28
	v_add_co_u32 v10, null, 0x2000, v30
	v_min_u32_e32 v80, v27, v31
	v_min_u32_e32 v82, v27, v29
	v_sub_nc_u32_e32 v31, v71, v81
	v_lshl_add_u32 v28, v36, 2, v26
	v_lshl_add_u32 v29, v36, 3, v10
	v_sub_nc_u32_e32 v30, v80, v71
	ds_write2_b32 v28, v37, v66 offset1:1
	ds_write2_b64 v29, v[4:5], v[8:9] offset1:1
	ds_write2_b32 v28, v67, v70 offset0:2 offset1:3
	ds_write2_b64 v29, v[14:15], v[16:17] offset0:2 offset1:3
	ds_write2_b32 v28, v68, v39 offset0:4 offset1:5
	ds_write2_b64 v29, v[18:19], v[22:23] offset0:4 offset1:5
	;; [unrolled: 2-line block ×3, first 2 shown]
	v_sub_nc_u32_e64 v83, v82, v30 clamp
	v_min_u32_e32 v30, v82, v31
	; wave barrier
	v_cmpx_lt_u32_e64 v83, v30
	s_cbranch_execz .LBB1448_87
; %bb.84:
	v_lshlrev_b32_e32 v31, 2, v81
	v_lshlrev_b32_e32 v32, 2, v71
	s_mov_b32 s12, 0
	v_add_co_u32 v31, null, v26, v31
	v_add_co_u32 v32, null, v26, v32
	s_inst_prefetch 0x1
	.p2align	6
.LBB1448_85:                            ; =>This Inner Loop Header: Depth=1
	v_add_nc_u32_e32 v33, v30, v83
	v_lshrrev_b32_e32 v33, 1, v33
	v_xad_u32 v48, v33, -1, v82
	v_lshl_add_u32 v49, v33, 2, v31
	v_lshl_add_u32 v48, v48, 2, v32
	ds_read_b32 v49, v49
	ds_read_b32 v48, v48
	s_waitcnt lgkmcnt(1)
	v_add_f32_e32 v49, 0, v49
	s_waitcnt lgkmcnt(0)
	v_add_f32_e32 v48, 0, v48
	v_ashrrev_i32_e32 v50, 31, v49
	v_ashrrev_i32_e32 v51, 31, v48
	v_or_b32_e32 v50, 0x80000000, v50
	v_or_b32_e32 v51, 0x80000000, v51
	v_xor_b32_e32 v49, v50, v49
	v_xor_b32_e32 v48, v51, v48
	v_add_nc_u32_e32 v50, 1, v33
	v_cmp_gt_u32_e64 s8, v49, v48
	v_cndmask_b32_e64 v30, v30, v33, s8
	v_cndmask_b32_e64 v83, v50, v83, s8
	v_cmp_ge_u32_e64 s8, v83, v30
	s_or_b32 s12, s8, s12
	s_andn2_b32 exec_lo, exec_lo, s12
	s_cbranch_execnz .LBB1448_85
; %bb.86:
	s_inst_prefetch 0x2
	s_or_b32 exec_lo, exec_lo, s12
.LBB1448_87:
	s_or_b32 exec_lo, exec_lo, s9
	v_add_nc_u32_e32 v82, v71, v82
	v_add_nc_u32_e32 v81, v83, v81
	;; [unrolled: 1-line block ×5, first 2 shown]
	v_sub_nc_u32_e32 v82, v82, v83
	v_cmp_le_u32_e64 s8, v81, v71
	v_add_nc_u32_e32 v54, 16, v29
	v_add_nc_u32_e32 v55, 12, v28
	v_add_nc_u32_e32 v50, 24, v29
	v_cmp_le_u32_e64 s9, v82, v80
	v_add_nc_u32_e32 v51, 16, v28
	v_add_nc_u32_e32 v52, 32, v29
	;; [unrolled: 1-line block ×8, first 2 shown]
	s_or_b32 s8, s8, s9
	s_and_saveexec_b32 s12, s8
	s_cbranch_execz .LBB1448_123
; %bb.88:
	v_cmp_ge_u32_e64 s8, v81, v71
	s_mov_b32 s13, exec_lo
                                        ; implicit-def: $vgpr37
	v_cmpx_lt_u32_e64 v81, v71
; %bb.89:
	v_lshl_add_u32 v4, v81, 2, v26
	ds_read_b32 v37, v4
; %bb.90:
	s_or_b32 exec_lo, exec_lo, s13
	v_cmp_ge_u32_e64 s13, v82, v80
	s_mov_b32 s15, exec_lo
                                        ; implicit-def: $vgpr38
	v_cmpx_lt_u32_e64 v82, v80
; %bb.91:
	v_lshl_add_u32 v4, v82, 2, v26
	ds_read_b32 v38, v4
; %bb.92:
	s_or_b32 exec_lo, exec_lo, s15
	s_nor_b32 s8, s8, s13
	s_and_saveexec_b32 s9, s8
	s_cbranch_execz .LBB1448_94
; %bb.93:
	s_waitcnt lgkmcnt(0)
	v_add_f32_e32 v4, 0, v37
	v_add_f32_e32 v5, 0, v38
	s_andn2_b32 s13, s13, exec_lo
	v_ashrrev_i32_e32 v8, 31, v4
	v_ashrrev_i32_e32 v9, 31, v5
	v_or_b32_e32 v8, 0x80000000, v8
	v_or_b32_e32 v9, 0x80000000, v9
	v_xor_b32_e32 v4, v8, v4
	v_xor_b32_e32 v5, v9, v5
	v_cmp_le_u32_e64 s8, v4, v5
	s_and_b32 s8, s8, exec_lo
	s_or_b32 s13, s13, s8
.LBB1448_94:
	s_or_b32 exec_lo, exec_lo, s9
	v_cndmask_b32_e64 v4, v82, v81, s13
	v_cndmask_b32_e64 v5, v80, v71, s13
	s_mov_b32 s15, -1
	s_mov_b32 s9, -1
	s_mov_b32 s16, exec_lo
	v_add_nc_u32_e32 v8, 1, v4
	v_add_nc_u32_e32 v5, -1, v5
	v_lshl_add_u32 v4, v4, 3, v10
	v_cndmask_b32_e64 v14, v8, v82, s13
	v_min_u32_e32 v5, v8, v5
	v_cndmask_b32_e64 v15, v81, v8, s13
	v_lshl_add_u32 v5, v5, 2, v26
	ds_read_b32 v9, v5
	ds_read_b64 v[4:5], v4
	s_waitcnt lgkmcnt(1)
	v_cndmask_b32_e64 v66, v9, v38, s13
	v_cndmask_b32_e64 v81, v37, v9, s13
	v_cmpx_lt_u32_e64 v14, v80
	s_cbranch_execz .LBB1448_98
; %bb.95:
	s_mov_b32 s17, 0
	s_mov_b32 s9, exec_lo
	v_cmpx_lt_u32_e64 v15, v71
	s_cbranch_execz .LBB1448_97
; %bb.96:
	v_add_f32_e32 v8, 0, v81
	v_add_f32_e32 v9, 0, v66
	v_ashrrev_i32_e32 v16, 31, v8
	v_ashrrev_i32_e32 v17, 31, v9
	v_or_b32_e32 v16, 0x80000000, v16
	v_or_b32_e32 v17, 0x80000000, v17
	v_xor_b32_e32 v8, v16, v8
	v_xor_b32_e32 v9, v17, v9
	v_cmp_le_u32_e64 s8, v8, v9
	s_and_b32 s17, s8, exec_lo
.LBB1448_97:
	s_or_b32 exec_lo, exec_lo, s9
	s_orn2_b32 s9, s17, exec_lo
.LBB1448_98:
	s_or_b32 exec_lo, exec_lo, s16
	v_cndmask_b32_e64 v8, v14, v15, s9
	v_cndmask_b32_e64 v9, v80, v71, s9
	s_mov_b32 s16, exec_lo
	v_add_nc_u32_e32 v17, 1, v8
	v_add_nc_u32_e32 v9, -1, v9
	v_lshl_add_u32 v8, v8, 3, v10
	v_cndmask_b32_e64 v16, v17, v14, s9
	v_min_u32_e32 v9, v17, v9
	v_cndmask_b32_e64 v17, v15, v17, s9
	v_lshl_add_u32 v9, v9, 2, v26
	ds_read_b32 v18, v9
	ds_read_b64 v[8:9], v8
	s_waitcnt lgkmcnt(1)
	v_cndmask_b32_e64 v67, v18, v66, s9
	v_cndmask_b32_e64 v82, v81, v18, s9
	v_cmpx_lt_u32_e64 v16, v80
	s_cbranch_execz .LBB1448_102
; %bb.99:
	s_mov_b32 s17, 0
	s_mov_b32 s15, exec_lo
	v_cmpx_lt_u32_e64 v17, v71
	s_cbranch_execz .LBB1448_101
; %bb.100:
	v_add_f32_e32 v14, 0, v82
	v_add_f32_e32 v15, 0, v67
	v_ashrrev_i32_e32 v18, 31, v14
	v_ashrrev_i32_e32 v19, 31, v15
	v_or_b32_e32 v18, 0x80000000, v18
	v_or_b32_e32 v19, 0x80000000, v19
	v_xor_b32_e32 v14, v18, v14
	v_xor_b32_e32 v15, v19, v15
	v_cmp_le_u32_e64 s8, v14, v15
	s_and_b32 s17, s8, exec_lo
.LBB1448_101:
	s_or_b32 exec_lo, exec_lo, s15
	s_orn2_b32 s15, s17, exec_lo
.LBB1448_102:
	s_or_b32 exec_lo, exec_lo, s16
	v_cndmask_b32_e64 v14, v16, v17, s15
	v_cndmask_b32_e64 v15, v80, v71, s15
	s_mov_b32 s17, -1
	s_mov_b32 s16, -1
	s_mov_b32 s18, exec_lo
	v_add_nc_u32_e32 v19, 1, v14
	v_add_nc_u32_e32 v15, -1, v15
	v_lshl_add_u32 v14, v14, 3, v10
	v_cndmask_b32_e64 v18, v19, v16, s15
	v_min_u32_e32 v15, v19, v15
	v_cndmask_b32_e64 v19, v17, v19, s15
	v_lshl_add_u32 v15, v15, 2, v26
	ds_read_b32 v20, v15
	ds_read_b64 v[14:15], v14
	s_waitcnt lgkmcnt(1)
	v_cndmask_b32_e64 v70, v20, v67, s15
	v_cndmask_b32_e64 v83, v82, v20, s15
	v_cmpx_lt_u32_e64 v18, v80
	s_cbranch_execz .LBB1448_106
; %bb.103:
	s_mov_b32 s19, 0
	s_mov_b32 s16, exec_lo
	v_cmpx_lt_u32_e64 v19, v71
	s_cbranch_execz .LBB1448_105
; %bb.104:
	v_add_f32_e32 v16, 0, v83
	v_add_f32_e32 v17, 0, v70
	v_ashrrev_i32_e32 v20, 31, v16
	v_ashrrev_i32_e32 v21, 31, v17
	v_or_b32_e32 v20, 0x80000000, v20
	v_or_b32_e32 v21, 0x80000000, v21
	v_xor_b32_e32 v16, v20, v16
	v_xor_b32_e32 v17, v21, v17
	v_cmp_le_u32_e64 s8, v16, v17
	s_and_b32 s19, s8, exec_lo
.LBB1448_105:
	s_or_b32 exec_lo, exec_lo, s16
	s_orn2_b32 s16, s19, exec_lo
.LBB1448_106:
	s_or_b32 exec_lo, exec_lo, s18
	v_cndmask_b32_e64 v16, v18, v19, s16
	v_cndmask_b32_e64 v17, v80, v71, s16
	s_mov_b32 s18, exec_lo
	v_add_nc_u32_e32 v21, 1, v16
	v_add_nc_u32_e32 v17, -1, v17
	v_lshl_add_u32 v16, v16, 3, v10
	v_cndmask_b32_e64 v20, v21, v18, s16
	v_min_u32_e32 v17, v21, v17
	v_cndmask_b32_e64 v21, v19, v21, s16
	v_lshl_add_u32 v17, v17, 2, v26
	ds_read_b32 v22, v17
	ds_read_b64 v[16:17], v16
	s_waitcnt lgkmcnt(1)
	v_cndmask_b32_e64 v68, v22, v70, s16
	v_cndmask_b32_e64 v84, v83, v22, s16
	v_cmpx_lt_u32_e64 v20, v80
	s_cbranch_execz .LBB1448_110
; %bb.107:
	s_mov_b32 s19, 0
	s_mov_b32 s17, exec_lo
	v_cmpx_lt_u32_e64 v21, v71
	s_cbranch_execz .LBB1448_109
; %bb.108:
	v_add_f32_e32 v18, 0, v84
	v_add_f32_e32 v19, 0, v68
	v_ashrrev_i32_e32 v22, 31, v18
	v_ashrrev_i32_e32 v23, 31, v19
	v_or_b32_e32 v22, 0x80000000, v22
	v_or_b32_e32 v23, 0x80000000, v23
	v_xor_b32_e32 v18, v22, v18
	v_xor_b32_e32 v19, v23, v19
	v_cmp_le_u32_e64 s8, v18, v19
	s_and_b32 s19, s8, exec_lo
.LBB1448_109:
	s_or_b32 exec_lo, exec_lo, s17
	s_orn2_b32 s17, s19, exec_lo
.LBB1448_110:
	s_or_b32 exec_lo, exec_lo, s18
	v_cndmask_b32_e64 v18, v20, v21, s17
	v_cndmask_b32_e64 v19, v80, v71, s17
	s_mov_b32 s19, -1
	s_mov_b32 s18, -1
	s_mov_b32 s20, exec_lo
	v_add_nc_u32_e32 v22, 1, v18
	v_add_nc_u32_e32 v19, -1, v19
	v_lshl_add_u32 v18, v18, 3, v10
	v_cndmask_b32_e64 v20, v22, v20, s17
	v_min_u32_e32 v19, v22, v19
	v_cndmask_b32_e64 v21, v21, v22, s17
	v_lshl_add_u32 v19, v19, 2, v26
	ds_read_b32 v23, v19
	ds_read_b64 v[18:19], v18
	s_waitcnt lgkmcnt(1)
	v_cndmask_b32_e64 v39, v23, v68, s17
	v_cndmask_b32_e64 v85, v84, v23, s17
	v_cmpx_lt_u32_e64 v20, v80
	s_cbranch_execz .LBB1448_114
; %bb.111:
	s_mov_b32 s21, 0
	s_mov_b32 s18, exec_lo
	v_cmpx_lt_u32_e64 v21, v71
	s_cbranch_execz .LBB1448_113
; %bb.112:
	v_add_f32_e32 v22, 0, v85
	v_add_f32_e32 v23, 0, v39
	v_ashrrev_i32_e32 v24, 31, v22
	v_ashrrev_i32_e32 v25, 31, v23
	v_or_b32_e32 v24, 0x80000000, v24
	v_or_b32_e32 v25, 0x80000000, v25
	v_xor_b32_e32 v22, v24, v22
	v_xor_b32_e32 v23, v25, v23
	v_cmp_le_u32_e64 s8, v22, v23
	s_and_b32 s21, s8, exec_lo
.LBB1448_113:
	s_or_b32 exec_lo, exec_lo, s18
	s_orn2_b32 s18, s21, exec_lo
.LBB1448_114:
	s_or_b32 exec_lo, exec_lo, s20
	v_cndmask_b32_e64 v22, v20, v21, s18
	v_cndmask_b32_e64 v23, v80, v71, s18
	s_mov_b32 s20, exec_lo
	v_add_nc_u32_e32 v25, 1, v22
	v_add_nc_u32_e32 v23, -1, v23
	v_lshl_add_u32 v22, v22, 3, v10
	v_cndmask_b32_e64 v24, v25, v20, s18
	v_min_u32_e32 v23, v25, v23
	v_cndmask_b32_e64 v25, v21, v25, s18
	v_lshl_add_u32 v23, v23, 2, v26
	ds_read_b32 v86, v23
	ds_read_b64 v[22:23], v22
	s_waitcnt lgkmcnt(1)
	v_cndmask_b32_e64 v69, v86, v39, s18
	v_cndmask_b32_e64 v86, v85, v86, s18
	v_cmpx_lt_u32_e64 v24, v80
	s_cbranch_execz .LBB1448_118
; %bb.115:
	s_mov_b32 s21, 0
	s_mov_b32 s19, exec_lo
	v_cmpx_lt_u32_e64 v25, v71
	s_cbranch_execz .LBB1448_117
; %bb.116:
	v_add_f32_e32 v20, 0, v86
	v_add_f32_e32 v21, 0, v69
	v_ashrrev_i32_e32 v87, 31, v20
	v_ashrrev_i32_e32 v96, 31, v21
	v_or_b32_e32 v87, 0x80000000, v87
	v_or_b32_e32 v96, 0x80000000, v96
	v_xor_b32_e32 v20, v87, v20
	v_xor_b32_e32 v21, v96, v21
	v_cmp_le_u32_e64 s8, v20, v21
	s_and_b32 s21, s8, exec_lo
.LBB1448_117:
	s_or_b32 exec_lo, exec_lo, s19
	s_orn2_b32 s19, s21, exec_lo
.LBB1448_118:
	s_or_b32 exec_lo, exec_lo, s20
	v_cndmask_b32_e64 v20, v24, v25, s19
	v_cndmask_b32_e64 v21, v80, v71, s19
	s_mov_b32 s21, -1
	s_mov_b32 s20, exec_lo
	v_add_nc_u32_e32 v87, 1, v20
	v_add_nc_u32_e32 v21, -1, v21
	v_lshl_add_u32 v20, v20, 3, v10
	v_cndmask_b32_e64 v24, v87, v24, s19
	v_min_u32_e32 v21, v87, v21
	v_cndmask_b32_e64 v25, v25, v87, s19
	v_lshl_add_u32 v21, v21, 2, v26
	ds_read_b32 v96, v21
	ds_read_b64 v[20:21], v20
	s_waitcnt lgkmcnt(1)
	v_cndmask_b32_e64 v87, v96, v69, s19
	v_cndmask_b32_e64 v96, v86, v96, s19
	v_cmpx_lt_u32_e64 v24, v80
	s_cbranch_execz .LBB1448_122
; %bb.119:
	s_mov_b32 s22, 0
	s_mov_b32 s21, exec_lo
	v_cmpx_lt_u32_e64 v25, v71
	s_cbranch_execz .LBB1448_121
; %bb.120:
	v_add_f32_e32 v71, 0, v96
	v_add_f32_e32 v80, 0, v87
	v_ashrrev_i32_e32 v97, 31, v71
	v_ashrrev_i32_e32 v98, 31, v80
	v_or_b32_e32 v97, 0x80000000, v97
	v_or_b32_e32 v98, 0x80000000, v98
	v_xor_b32_e32 v71, v97, v71
	v_xor_b32_e32 v80, v98, v80
	v_cmp_le_u32_e64 s8, v71, v80
	s_and_b32 s22, s8, exec_lo
.LBB1448_121:
	s_or_b32 exec_lo, exec_lo, s21
	s_orn2_b32 s21, s22, exec_lo
.LBB1448_122:
	s_or_b32 exec_lo, exec_lo, s20
	v_cndmask_b32_e64 v24, v24, v25, s21
	v_cndmask_b32_e64 v69, v69, v86, s19
	;; [unrolled: 1-line block ×5, first 2 shown]
	v_lshl_add_u32 v24, v24, 3, v10
	v_cndmask_b32_e64 v67, v67, v82, s15
	v_cndmask_b32_e64 v66, v66, v81, s9
	v_cndmask_b32_e64 v37, v38, v37, s13
	v_cndmask_b32_e64 v38, v87, v96, s21
	ds_read_b64 v[24:25], v24
.LBB1448_123:
	s_or_b32 exec_lo, exec_lo, s12
	v_and_b32_e32 v81, 0xe0, v36
	v_and_b32_e32 v82, 24, v36
	s_mov_b32 s9, exec_lo
	; wave barrier
	v_or_b32_e32 v71, 16, v81
	v_min_u32_e32 v82, v27, v82
	ds_write_b32 v28, v37
	ds_write_b64 v29, v[4:5]
	ds_write_b32 v64, v66
	ds_write_b64 v65, v[8:9]
	;; [unrolled: 2-line block ×3, first 2 shown]
	ds_write_b32 v55, v70
	v_min_u32_e32 v71, v27, v71
	ds_write_b64 v50, v[16:17]
	ds_write_b32 v51, v68
	ds_write_b64 v52, v[18:19]
	ds_write_b32 v32, v39
	;; [unrolled: 2-line block ×3, first 2 shown]
	s_waitcnt lgkmcnt(14)
	ds_write_b64 v49, v[20:21]
	ds_write_b32 v30, v38
	s_waitcnt lgkmcnt(15)
	ds_write_b64 v31, v[24:25]
	; wave barrier
	v_add_nc_u32_e32 v80, 16, v71
	v_sub_nc_u32_e32 v84, v71, v81
	v_min_u32_e32 v80, v27, v80
	v_min_u32_e32 v84, v82, v84
	v_sub_nc_u32_e32 v83, v80, v71
	v_sub_nc_u32_e64 v83, v82, v83 clamp
	v_cmpx_lt_u32_e64 v83, v84
	s_cbranch_execz .LBB1448_127
; %bb.124:
	v_lshlrev_b32_e32 v85, 2, v81
	v_lshlrev_b32_e32 v86, 2, v71
	s_mov_b32 s12, 0
	v_add_co_u32 v85, null, v26, v85
	v_add_co_u32 v86, null, v26, v86
	s_inst_prefetch 0x1
	.p2align	6
.LBB1448_125:                           ; =>This Inner Loop Header: Depth=1
	v_add_nc_u32_e32 v87, v84, v83
	v_lshrrev_b32_e32 v87, 1, v87
	v_xad_u32 v96, v87, -1, v82
	v_lshl_add_u32 v97, v87, 2, v85
	v_lshl_add_u32 v96, v96, 2, v86
	ds_read_b32 v97, v97
	ds_read_b32 v96, v96
	s_waitcnt lgkmcnt(1)
	v_add_f32_e32 v97, 0, v97
	s_waitcnt lgkmcnt(0)
	v_add_f32_e32 v96, 0, v96
	v_ashrrev_i32_e32 v98, 31, v97
	v_ashrrev_i32_e32 v99, 31, v96
	v_or_b32_e32 v98, 0x80000000, v98
	v_or_b32_e32 v99, 0x80000000, v99
	v_xor_b32_e32 v97, v98, v97
	v_xor_b32_e32 v96, v99, v96
	v_add_nc_u32_e32 v98, 1, v87
	v_cmp_gt_u32_e64 s8, v97, v96
	v_cndmask_b32_e64 v84, v84, v87, s8
	v_cndmask_b32_e64 v83, v98, v83, s8
	v_cmp_ge_u32_e64 s8, v83, v84
	s_or_b32 s12, s8, s12
	s_andn2_b32 exec_lo, exec_lo, s12
	s_cbranch_execnz .LBB1448_125
; %bb.126:
	s_inst_prefetch 0x2
	s_or_b32 exec_lo, exec_lo, s12
.LBB1448_127:
	s_or_b32 exec_lo, exec_lo, s9
	v_add_nc_u32_e32 v82, v71, v82
	v_add_nc_u32_e32 v81, v83, v81
	v_sub_nc_u32_e32 v82, v82, v83
	v_cmp_le_u32_e64 s8, v81, v71
	v_cmp_le_u32_e64 s9, v82, v80
	s_or_b32 s8, s8, s9
	s_and_saveexec_b32 s12, s8
	s_cbranch_execz .LBB1448_163
; %bb.128:
	v_cmp_ge_u32_e64 s8, v81, v71
	s_mov_b32 s13, exec_lo
                                        ; implicit-def: $vgpr37
	v_cmpx_lt_u32_e64 v81, v71
; %bb.129:
	v_lshl_add_u32 v4, v81, 2, v26
	ds_read_b32 v37, v4
; %bb.130:
	s_or_b32 exec_lo, exec_lo, s13
	v_cmp_ge_u32_e64 s13, v82, v80
	s_mov_b32 s15, exec_lo
                                        ; implicit-def: $vgpr38
	v_cmpx_lt_u32_e64 v82, v80
; %bb.131:
	v_lshl_add_u32 v4, v82, 2, v26
	ds_read_b32 v38, v4
; %bb.132:
	s_or_b32 exec_lo, exec_lo, s15
	s_nor_b32 s8, s8, s13
	s_and_saveexec_b32 s9, s8
	s_cbranch_execz .LBB1448_134
; %bb.133:
	s_waitcnt lgkmcnt(0)
	v_add_f32_e32 v4, 0, v37
	v_add_f32_e32 v5, 0, v38
	s_andn2_b32 s13, s13, exec_lo
	v_ashrrev_i32_e32 v8, 31, v4
	v_ashrrev_i32_e32 v9, 31, v5
	v_or_b32_e32 v8, 0x80000000, v8
	v_or_b32_e32 v9, 0x80000000, v9
	v_xor_b32_e32 v4, v8, v4
	v_xor_b32_e32 v5, v9, v5
	v_cmp_le_u32_e64 s8, v4, v5
	s_and_b32 s8, s8, exec_lo
	s_or_b32 s13, s13, s8
.LBB1448_134:
	s_or_b32 exec_lo, exec_lo, s9
	v_cndmask_b32_e64 v4, v82, v81, s13
	v_cndmask_b32_e64 v5, v80, v71, s13
	s_mov_b32 s15, -1
	s_mov_b32 s9, -1
	s_mov_b32 s16, exec_lo
	v_add_nc_u32_e32 v8, 1, v4
	v_add_nc_u32_e32 v5, -1, v5
	v_lshl_add_u32 v4, v4, 3, v10
	v_cndmask_b32_e64 v14, v8, v82, s13
	v_min_u32_e32 v5, v8, v5
	v_cndmask_b32_e64 v15, v81, v8, s13
	v_lshl_add_u32 v5, v5, 2, v26
	ds_read_b32 v9, v5
	ds_read_b64 v[4:5], v4
	s_waitcnt lgkmcnt(1)
	v_cndmask_b32_e64 v66, v9, v38, s13
	v_cndmask_b32_e64 v81, v37, v9, s13
	v_cmpx_lt_u32_e64 v14, v80
	s_cbranch_execz .LBB1448_138
; %bb.135:
	s_mov_b32 s17, 0
	s_mov_b32 s9, exec_lo
	v_cmpx_lt_u32_e64 v15, v71
	s_cbranch_execz .LBB1448_137
; %bb.136:
	v_add_f32_e32 v8, 0, v81
	v_add_f32_e32 v9, 0, v66
	v_ashrrev_i32_e32 v16, 31, v8
	v_ashrrev_i32_e32 v17, 31, v9
	v_or_b32_e32 v16, 0x80000000, v16
	v_or_b32_e32 v17, 0x80000000, v17
	v_xor_b32_e32 v8, v16, v8
	v_xor_b32_e32 v9, v17, v9
	v_cmp_le_u32_e64 s8, v8, v9
	s_and_b32 s17, s8, exec_lo
.LBB1448_137:
	s_or_b32 exec_lo, exec_lo, s9
	s_orn2_b32 s9, s17, exec_lo
.LBB1448_138:
	s_or_b32 exec_lo, exec_lo, s16
	v_cndmask_b32_e64 v8, v14, v15, s9
	v_cndmask_b32_e64 v9, v80, v71, s9
	s_mov_b32 s16, exec_lo
	v_add_nc_u32_e32 v17, 1, v8
	v_add_nc_u32_e32 v9, -1, v9
	v_lshl_add_u32 v8, v8, 3, v10
	v_cndmask_b32_e64 v16, v17, v14, s9
	v_min_u32_e32 v9, v17, v9
	v_cndmask_b32_e64 v17, v15, v17, s9
	v_lshl_add_u32 v9, v9, 2, v26
	ds_read_b32 v18, v9
	ds_read_b64 v[8:9], v8
	s_waitcnt lgkmcnt(1)
	v_cndmask_b32_e64 v67, v18, v66, s9
	v_cndmask_b32_e64 v82, v81, v18, s9
	v_cmpx_lt_u32_e64 v16, v80
	s_cbranch_execz .LBB1448_142
; %bb.139:
	s_mov_b32 s17, 0
	s_mov_b32 s15, exec_lo
	v_cmpx_lt_u32_e64 v17, v71
	s_cbranch_execz .LBB1448_141
; %bb.140:
	v_add_f32_e32 v14, 0, v82
	v_add_f32_e32 v15, 0, v67
	v_ashrrev_i32_e32 v18, 31, v14
	v_ashrrev_i32_e32 v19, 31, v15
	v_or_b32_e32 v18, 0x80000000, v18
	v_or_b32_e32 v19, 0x80000000, v19
	v_xor_b32_e32 v14, v18, v14
	v_xor_b32_e32 v15, v19, v15
	v_cmp_le_u32_e64 s8, v14, v15
	s_and_b32 s17, s8, exec_lo
.LBB1448_141:
	s_or_b32 exec_lo, exec_lo, s15
	s_orn2_b32 s15, s17, exec_lo
.LBB1448_142:
	s_or_b32 exec_lo, exec_lo, s16
	v_cndmask_b32_e64 v14, v16, v17, s15
	v_cndmask_b32_e64 v15, v80, v71, s15
	s_mov_b32 s17, -1
	s_mov_b32 s16, -1
	s_mov_b32 s18, exec_lo
	v_add_nc_u32_e32 v19, 1, v14
	v_add_nc_u32_e32 v15, -1, v15
	v_lshl_add_u32 v14, v14, 3, v10
	v_cndmask_b32_e64 v18, v19, v16, s15
	v_min_u32_e32 v15, v19, v15
	v_cndmask_b32_e64 v19, v17, v19, s15
	v_lshl_add_u32 v15, v15, 2, v26
	ds_read_b32 v20, v15
	ds_read_b64 v[14:15], v14
	s_waitcnt lgkmcnt(1)
	v_cndmask_b32_e64 v70, v20, v67, s15
	v_cndmask_b32_e64 v83, v82, v20, s15
	v_cmpx_lt_u32_e64 v18, v80
	s_cbranch_execz .LBB1448_146
; %bb.143:
	s_mov_b32 s19, 0
	s_mov_b32 s16, exec_lo
	v_cmpx_lt_u32_e64 v19, v71
	s_cbranch_execz .LBB1448_145
; %bb.144:
	v_add_f32_e32 v16, 0, v83
	v_add_f32_e32 v17, 0, v70
	v_ashrrev_i32_e32 v20, 31, v16
	v_ashrrev_i32_e32 v21, 31, v17
	v_or_b32_e32 v20, 0x80000000, v20
	v_or_b32_e32 v21, 0x80000000, v21
	v_xor_b32_e32 v16, v20, v16
	v_xor_b32_e32 v17, v21, v17
	v_cmp_le_u32_e64 s8, v16, v17
	s_and_b32 s19, s8, exec_lo
.LBB1448_145:
	s_or_b32 exec_lo, exec_lo, s16
	s_orn2_b32 s16, s19, exec_lo
.LBB1448_146:
	s_or_b32 exec_lo, exec_lo, s18
	v_cndmask_b32_e64 v16, v18, v19, s16
	v_cndmask_b32_e64 v17, v80, v71, s16
	s_mov_b32 s18, exec_lo
	v_add_nc_u32_e32 v21, 1, v16
	v_add_nc_u32_e32 v17, -1, v17
	v_lshl_add_u32 v16, v16, 3, v10
	v_cndmask_b32_e64 v20, v21, v18, s16
	v_min_u32_e32 v17, v21, v17
	v_cndmask_b32_e64 v21, v19, v21, s16
	v_lshl_add_u32 v17, v17, 2, v26
	ds_read_b32 v22, v17
	ds_read_b64 v[16:17], v16
	s_waitcnt lgkmcnt(1)
	v_cndmask_b32_e64 v68, v22, v70, s16
	v_cndmask_b32_e64 v84, v83, v22, s16
	v_cmpx_lt_u32_e64 v20, v80
	s_cbranch_execz .LBB1448_150
; %bb.147:
	s_mov_b32 s19, 0
	s_mov_b32 s17, exec_lo
	v_cmpx_lt_u32_e64 v21, v71
	s_cbranch_execz .LBB1448_149
; %bb.148:
	v_add_f32_e32 v18, 0, v84
	v_add_f32_e32 v19, 0, v68
	v_ashrrev_i32_e32 v22, 31, v18
	v_ashrrev_i32_e32 v23, 31, v19
	v_or_b32_e32 v22, 0x80000000, v22
	v_or_b32_e32 v23, 0x80000000, v23
	v_xor_b32_e32 v18, v22, v18
	v_xor_b32_e32 v19, v23, v19
	v_cmp_le_u32_e64 s8, v18, v19
	s_and_b32 s19, s8, exec_lo
.LBB1448_149:
	s_or_b32 exec_lo, exec_lo, s17
	s_orn2_b32 s17, s19, exec_lo
.LBB1448_150:
	s_or_b32 exec_lo, exec_lo, s18
	v_cndmask_b32_e64 v18, v20, v21, s17
	v_cndmask_b32_e64 v19, v80, v71, s17
	s_mov_b32 s19, -1
	s_mov_b32 s18, -1
	s_mov_b32 s20, exec_lo
	v_add_nc_u32_e32 v22, 1, v18
	v_add_nc_u32_e32 v19, -1, v19
	v_lshl_add_u32 v18, v18, 3, v10
	v_cndmask_b32_e64 v20, v22, v20, s17
	v_min_u32_e32 v19, v22, v19
	v_cndmask_b32_e64 v21, v21, v22, s17
	v_lshl_add_u32 v19, v19, 2, v26
	ds_read_b32 v23, v19
	ds_read_b64 v[18:19], v18
	s_waitcnt lgkmcnt(1)
	v_cndmask_b32_e64 v39, v23, v68, s17
	v_cndmask_b32_e64 v85, v84, v23, s17
	v_cmpx_lt_u32_e64 v20, v80
	s_cbranch_execz .LBB1448_154
; %bb.151:
	s_mov_b32 s21, 0
	s_mov_b32 s18, exec_lo
	v_cmpx_lt_u32_e64 v21, v71
	s_cbranch_execz .LBB1448_153
; %bb.152:
	v_add_f32_e32 v22, 0, v85
	v_add_f32_e32 v23, 0, v39
	v_ashrrev_i32_e32 v24, 31, v22
	v_ashrrev_i32_e32 v25, 31, v23
	v_or_b32_e32 v24, 0x80000000, v24
	v_or_b32_e32 v25, 0x80000000, v25
	v_xor_b32_e32 v22, v24, v22
	v_xor_b32_e32 v23, v25, v23
	v_cmp_le_u32_e64 s8, v22, v23
	s_and_b32 s21, s8, exec_lo
.LBB1448_153:
	s_or_b32 exec_lo, exec_lo, s18
	s_orn2_b32 s18, s21, exec_lo
.LBB1448_154:
	s_or_b32 exec_lo, exec_lo, s20
	v_cndmask_b32_e64 v22, v20, v21, s18
	v_cndmask_b32_e64 v23, v80, v71, s18
	s_mov_b32 s20, exec_lo
	v_add_nc_u32_e32 v25, 1, v22
	v_add_nc_u32_e32 v23, -1, v23
	v_lshl_add_u32 v22, v22, 3, v10
	v_cndmask_b32_e64 v24, v25, v20, s18
	v_min_u32_e32 v23, v25, v23
	v_cndmask_b32_e64 v25, v21, v25, s18
	v_lshl_add_u32 v23, v23, 2, v26
	ds_read_b32 v86, v23
	ds_read_b64 v[22:23], v22
	s_waitcnt lgkmcnt(1)
	v_cndmask_b32_e64 v69, v86, v39, s18
	v_cndmask_b32_e64 v86, v85, v86, s18
	v_cmpx_lt_u32_e64 v24, v80
	s_cbranch_execz .LBB1448_158
; %bb.155:
	s_mov_b32 s21, 0
	s_mov_b32 s19, exec_lo
	v_cmpx_lt_u32_e64 v25, v71
	s_cbranch_execz .LBB1448_157
; %bb.156:
	v_add_f32_e32 v20, 0, v86
	v_add_f32_e32 v21, 0, v69
	v_ashrrev_i32_e32 v87, 31, v20
	v_ashrrev_i32_e32 v96, 31, v21
	v_or_b32_e32 v87, 0x80000000, v87
	v_or_b32_e32 v96, 0x80000000, v96
	v_xor_b32_e32 v20, v87, v20
	v_xor_b32_e32 v21, v96, v21
	v_cmp_le_u32_e64 s8, v20, v21
	s_and_b32 s21, s8, exec_lo
.LBB1448_157:
	s_or_b32 exec_lo, exec_lo, s19
	s_orn2_b32 s19, s21, exec_lo
.LBB1448_158:
	s_or_b32 exec_lo, exec_lo, s20
	v_cndmask_b32_e64 v20, v24, v25, s19
	v_cndmask_b32_e64 v21, v80, v71, s19
	s_mov_b32 s21, -1
	s_mov_b32 s20, exec_lo
	v_add_nc_u32_e32 v87, 1, v20
	v_add_nc_u32_e32 v21, -1, v21
	v_lshl_add_u32 v20, v20, 3, v10
	v_cndmask_b32_e64 v24, v87, v24, s19
	v_min_u32_e32 v21, v87, v21
	v_cndmask_b32_e64 v25, v25, v87, s19
	v_lshl_add_u32 v21, v21, 2, v26
	ds_read_b32 v96, v21
	ds_read_b64 v[20:21], v20
	s_waitcnt lgkmcnt(1)
	v_cndmask_b32_e64 v87, v96, v69, s19
	v_cndmask_b32_e64 v96, v86, v96, s19
	v_cmpx_lt_u32_e64 v24, v80
	s_cbranch_execz .LBB1448_162
; %bb.159:
	s_mov_b32 s22, 0
	s_mov_b32 s21, exec_lo
	v_cmpx_lt_u32_e64 v25, v71
	s_cbranch_execz .LBB1448_161
; %bb.160:
	v_add_f32_e32 v71, 0, v96
	v_add_f32_e32 v80, 0, v87
	v_ashrrev_i32_e32 v97, 31, v71
	v_ashrrev_i32_e32 v98, 31, v80
	v_or_b32_e32 v97, 0x80000000, v97
	v_or_b32_e32 v98, 0x80000000, v98
	v_xor_b32_e32 v71, v97, v71
	v_xor_b32_e32 v80, v98, v80
	v_cmp_le_u32_e64 s8, v71, v80
	s_and_b32 s22, s8, exec_lo
.LBB1448_161:
	s_or_b32 exec_lo, exec_lo, s21
	s_orn2_b32 s21, s22, exec_lo
.LBB1448_162:
	s_or_b32 exec_lo, exec_lo, s20
	v_cndmask_b32_e64 v24, v24, v25, s21
	v_cndmask_b32_e64 v69, v69, v86, s19
	;; [unrolled: 1-line block ×5, first 2 shown]
	v_lshl_add_u32 v24, v24, 3, v10
	v_cndmask_b32_e64 v67, v67, v82, s15
	v_cndmask_b32_e64 v66, v66, v81, s9
	;; [unrolled: 1-line block ×4, first 2 shown]
	ds_read_b64 v[24:25], v24
.LBB1448_163:
	s_or_b32 exec_lo, exec_lo, s12
	v_and_b32_e32 v71, 0xc0, v36
	; wave barrier
	ds_write_b32 v28, v37
	ds_write_b64 v29, v[4:5]
	ds_write_b32 v64, v66
	ds_write_b64 v65, v[8:9]
	s_mov_b32 s9, exec_lo
	v_or_b32_e32 v36, 32, v71
	ds_write_b32 v53, v67
	ds_write_b64 v54, v[14:15]
	ds_write_b32 v55, v70
	ds_write_b64 v50, v[16:17]
	;; [unrolled: 2-line block ×4, first 2 shown]
	ds_write_b32 v48, v69
	s_waitcnt lgkmcnt(14)
	ds_write_b64 v49, v[20:21]
	ds_write_b32 v30, v38
	s_waitcnt lgkmcnt(15)
	ds_write_b64 v31, v[24:25]
	v_min_u32_e32 v36, v27, v36
	; wave barrier
	v_add_nc_u32_e32 v80, 32, v36
	v_min_u32_e32 v28, v27, v80
	v_min_u32_e32 v27, v27, v35
	v_sub_nc_u32_e32 v35, v36, v71
	v_sub_nc_u32_e32 v29, v28, v36
	v_min_u32_e32 v35, v27, v35
	v_sub_nc_u32_e64 v29, v27, v29 clamp
	v_cmpx_lt_u32_e64 v29, v35
	s_cbranch_execz .LBB1448_167
; %bb.164:
	v_lshlrev_b32_e32 v30, 2, v71
	v_lshlrev_b32_e32 v31, 2, v36
	s_mov_b32 s12, 0
	v_add_co_u32 v30, null, v26, v30
	v_add_co_u32 v31, null, v26, v31
	s_inst_prefetch 0x1
	.p2align	6
.LBB1448_165:                           ; =>This Inner Loop Header: Depth=1
	v_add_nc_u32_e32 v32, v35, v29
	v_lshrrev_b32_e32 v32, 1, v32
	v_xad_u32 v33, v32, -1, v27
	v_lshl_add_u32 v48, v32, 2, v30
	v_lshl_add_u32 v33, v33, 2, v31
	ds_read_b32 v48, v48
	ds_read_b32 v33, v33
	s_waitcnt lgkmcnt(1)
	v_add_f32_e32 v48, 0, v48
	s_waitcnt lgkmcnt(0)
	v_add_f32_e32 v33, 0, v33
	v_ashrrev_i32_e32 v49, 31, v48
	v_ashrrev_i32_e32 v50, 31, v33
	v_or_b32_e32 v49, 0x80000000, v49
	v_or_b32_e32 v50, 0x80000000, v50
	v_xor_b32_e32 v48, v49, v48
	v_xor_b32_e32 v33, v50, v33
	v_add_nc_u32_e32 v49, 1, v32
	v_cmp_gt_u32_e64 s8, v48, v33
	v_cndmask_b32_e64 v35, v35, v32, s8
	v_cndmask_b32_e64 v29, v49, v29, s8
	v_cmp_ge_u32_e64 s8, v29, v35
	s_or_b32 s12, s8, s12
	s_andn2_b32 exec_lo, exec_lo, s12
	s_cbranch_execnz .LBB1448_165
; %bb.166:
	s_inst_prefetch 0x2
	s_or_b32 exec_lo, exec_lo, s12
.LBB1448_167:
	s_or_b32 exec_lo, exec_lo, s9
	v_add_nc_u32_e32 v27, v36, v27
	v_add_nc_u32_e32 v30, v29, v71
	v_sub_nc_u32_e32 v31, v27, v29
	v_cmp_le_u32_e64 s8, v30, v36
	v_cmp_le_u32_e64 s9, v31, v28
	s_or_b32 s8, s8, s9
	s_and_saveexec_b32 s12, s8
	s_cbranch_execz .LBB1448_203
; %bb.168:
	v_cmp_ge_u32_e64 s8, v30, v36
	s_mov_b32 s13, exec_lo
                                        ; implicit-def: $vgpr27
	v_cmpx_lt_u32_e64 v30, v36
; %bb.169:
	v_lshl_add_u32 v4, v30, 2, v26
	ds_read_b32 v27, v4
; %bb.170:
	s_or_b32 exec_lo, exec_lo, s13
	v_cmp_ge_u32_e64 s13, v31, v28
	s_mov_b32 s15, exec_lo
                                        ; implicit-def: $vgpr29
	v_cmpx_lt_u32_e64 v31, v28
; %bb.171:
	v_lshl_add_u32 v4, v31, 2, v26
	ds_read_b32 v29, v4
; %bb.172:
	s_or_b32 exec_lo, exec_lo, s15
	s_nor_b32 s8, s8, s13
	s_and_saveexec_b32 s9, s8
	s_cbranch_execz .LBB1448_174
; %bb.173:
	s_waitcnt lgkmcnt(0)
	v_add_f32_e32 v4, 0, v27
	v_add_f32_e32 v5, 0, v29
	s_andn2_b32 s13, s13, exec_lo
	v_ashrrev_i32_e32 v8, 31, v4
	v_ashrrev_i32_e32 v9, 31, v5
	v_or_b32_e32 v8, 0x80000000, v8
	v_or_b32_e32 v9, 0x80000000, v9
	v_xor_b32_e32 v4, v8, v4
	v_xor_b32_e32 v5, v9, v5
	v_cmp_le_u32_e64 s8, v4, v5
	s_and_b32 s8, s8, exec_lo
	s_or_b32 s13, s13, s8
.LBB1448_174:
	s_or_b32 exec_lo, exec_lo, s9
	v_cndmask_b32_e64 v4, v31, v30, s13
	v_cndmask_b32_e64 v5, v28, v36, s13
	s_mov_b32 s15, -1
	s_mov_b32 s9, -1
	s_mov_b32 s16, exec_lo
	v_add_nc_u32_e32 v8, 1, v4
	v_add_nc_u32_e32 v5, -1, v5
	v_lshl_add_u32 v4, v4, 3, v10
	v_cndmask_b32_e64 v14, v8, v31, s13
	v_min_u32_e32 v5, v8, v5
	v_cndmask_b32_e64 v15, v30, v8, s13
	v_lshl_add_u32 v5, v5, 2, v26
	ds_read_b32 v9, v5
	ds_read_b64 v[4:5], v4
	s_waitcnt lgkmcnt(1)
	v_cndmask_b32_e64 v30, v9, v29, s13
	v_cndmask_b32_e64 v31, v27, v9, s13
	v_cmpx_lt_u32_e64 v14, v28
	s_cbranch_execz .LBB1448_178
; %bb.175:
	s_mov_b32 s17, 0
	s_mov_b32 s9, exec_lo
	v_cmpx_lt_u32_e64 v15, v36
	s_cbranch_execz .LBB1448_177
; %bb.176:
	v_add_f32_e32 v8, 0, v31
	v_add_f32_e32 v9, 0, v30
	v_ashrrev_i32_e32 v16, 31, v8
	v_ashrrev_i32_e32 v17, 31, v9
	v_or_b32_e32 v16, 0x80000000, v16
	v_or_b32_e32 v17, 0x80000000, v17
	v_xor_b32_e32 v8, v16, v8
	v_xor_b32_e32 v9, v17, v9
	v_cmp_le_u32_e64 s8, v8, v9
	s_and_b32 s17, s8, exec_lo
.LBB1448_177:
	s_or_b32 exec_lo, exec_lo, s9
	s_orn2_b32 s9, s17, exec_lo
.LBB1448_178:
	s_or_b32 exec_lo, exec_lo, s16
	v_cndmask_b32_e64 v8, v14, v15, s9
	v_cndmask_b32_e64 v9, v28, v36, s9
	s_mov_b32 s16, exec_lo
	v_add_nc_u32_e32 v17, 1, v8
	v_add_nc_u32_e32 v9, -1, v9
	v_lshl_add_u32 v8, v8, 3, v10
	v_cndmask_b32_e64 v16, v17, v14, s9
	v_min_u32_e32 v9, v17, v9
	v_cndmask_b32_e64 v17, v15, v17, s9
	v_lshl_add_u32 v9, v9, 2, v26
	ds_read_b32 v18, v9
	ds_read_b64 v[8:9], v8
	s_waitcnt lgkmcnt(1)
	v_cndmask_b32_e64 v32, v18, v30, s9
	v_cndmask_b32_e64 v33, v31, v18, s9
	v_cmpx_lt_u32_e64 v16, v28
	s_cbranch_execz .LBB1448_182
; %bb.179:
	s_mov_b32 s17, 0
	s_mov_b32 s15, exec_lo
	v_cmpx_lt_u32_e64 v17, v36
	s_cbranch_execz .LBB1448_181
; %bb.180:
	v_add_f32_e32 v14, 0, v33
	v_add_f32_e32 v15, 0, v32
	v_ashrrev_i32_e32 v18, 31, v14
	v_ashrrev_i32_e32 v19, 31, v15
	v_or_b32_e32 v18, 0x80000000, v18
	v_or_b32_e32 v19, 0x80000000, v19
	v_xor_b32_e32 v14, v18, v14
	v_xor_b32_e32 v15, v19, v15
	v_cmp_le_u32_e64 s8, v14, v15
	s_and_b32 s17, s8, exec_lo
.LBB1448_181:
	s_or_b32 exec_lo, exec_lo, s15
	s_orn2_b32 s15, s17, exec_lo
.LBB1448_182:
	s_or_b32 exec_lo, exec_lo, s16
	v_cndmask_b32_e64 v14, v16, v17, s15
	v_cndmask_b32_e64 v15, v28, v36, s15
	s_mov_b32 s17, -1
	s_mov_b32 s16, -1
	s_mov_b32 s18, exec_lo
	v_add_nc_u32_e32 v19, 1, v14
	v_add_nc_u32_e32 v15, -1, v15
	v_lshl_add_u32 v14, v14, 3, v10
	v_cndmask_b32_e64 v18, v19, v16, s15
	v_min_u32_e32 v15, v19, v15
	v_cndmask_b32_e64 v19, v17, v19, s15
	v_lshl_add_u32 v15, v15, 2, v26
	ds_read_b32 v20, v15
	ds_read_b64 v[14:15], v14
	s_waitcnt lgkmcnt(1)
	v_cndmask_b32_e64 v35, v20, v32, s15
	v_cndmask_b32_e64 v37, v33, v20, s15
	v_cmpx_lt_u32_e64 v18, v28
	s_cbranch_execz .LBB1448_186
; %bb.183:
	s_mov_b32 s19, 0
	s_mov_b32 s16, exec_lo
	v_cmpx_lt_u32_e64 v19, v36
	s_cbranch_execz .LBB1448_185
; %bb.184:
	v_add_f32_e32 v16, 0, v37
	v_add_f32_e32 v17, 0, v35
	v_ashrrev_i32_e32 v20, 31, v16
	v_ashrrev_i32_e32 v21, 31, v17
	v_or_b32_e32 v20, 0x80000000, v20
	v_or_b32_e32 v21, 0x80000000, v21
	v_xor_b32_e32 v16, v20, v16
	v_xor_b32_e32 v17, v21, v17
	v_cmp_le_u32_e64 s8, v16, v17
	s_and_b32 s19, s8, exec_lo
.LBB1448_185:
	s_or_b32 exec_lo, exec_lo, s16
	s_orn2_b32 s16, s19, exec_lo
.LBB1448_186:
	s_or_b32 exec_lo, exec_lo, s18
	v_cndmask_b32_e64 v16, v18, v19, s16
	v_cndmask_b32_e64 v17, v28, v36, s16
	s_mov_b32 s18, exec_lo
	v_add_nc_u32_e32 v21, 1, v16
	v_add_nc_u32_e32 v17, -1, v17
	v_lshl_add_u32 v16, v16, 3, v10
	v_cndmask_b32_e64 v20, v21, v18, s16
	v_min_u32_e32 v17, v21, v17
	v_cndmask_b32_e64 v21, v19, v21, s16
	v_lshl_add_u32 v17, v17, 2, v26
	ds_read_b32 v22, v17
	ds_read_b64 v[16:17], v16
	s_waitcnt lgkmcnt(1)
	v_cndmask_b32_e64 v38, v22, v35, s16
	v_cndmask_b32_e64 v48, v37, v22, s16
	v_cmpx_lt_u32_e64 v20, v28
	s_cbranch_execz .LBB1448_190
; %bb.187:
	s_mov_b32 s19, 0
	s_mov_b32 s17, exec_lo
	v_cmpx_lt_u32_e64 v21, v36
	s_cbranch_execz .LBB1448_189
; %bb.188:
	v_add_f32_e32 v18, 0, v48
	v_add_f32_e32 v19, 0, v38
	v_ashrrev_i32_e32 v22, 31, v18
	v_ashrrev_i32_e32 v23, 31, v19
	v_or_b32_e32 v22, 0x80000000, v22
	v_or_b32_e32 v23, 0x80000000, v23
	v_xor_b32_e32 v18, v22, v18
	v_xor_b32_e32 v19, v23, v19
	v_cmp_le_u32_e64 s8, v18, v19
	s_and_b32 s19, s8, exec_lo
.LBB1448_189:
	s_or_b32 exec_lo, exec_lo, s17
	s_orn2_b32 s17, s19, exec_lo
.LBB1448_190:
	s_or_b32 exec_lo, exec_lo, s18
	v_cndmask_b32_e64 v18, v20, v21, s17
	v_cndmask_b32_e64 v19, v28, v36, s17
	s_mov_b32 s19, -1
	s_mov_b32 s18, -1
	s_mov_b32 s20, exec_lo
	v_add_nc_u32_e32 v22, 1, v18
	v_add_nc_u32_e32 v19, -1, v19
	v_lshl_add_u32 v18, v18, 3, v10
	v_cndmask_b32_e64 v20, v22, v20, s17
	v_min_u32_e32 v19, v22, v19
	v_cndmask_b32_e64 v21, v21, v22, s17
	v_lshl_add_u32 v19, v19, 2, v26
	ds_read_b32 v23, v19
	ds_read_b64 v[18:19], v18
	s_waitcnt lgkmcnt(1)
	v_cndmask_b32_e64 v39, v23, v38, s17
	v_cndmask_b32_e64 v49, v48, v23, s17
	v_cmpx_lt_u32_e64 v20, v28
	s_cbranch_execz .LBB1448_194
; %bb.191:
	s_mov_b32 s21, 0
	s_mov_b32 s18, exec_lo
	v_cmpx_lt_u32_e64 v21, v36
	s_cbranch_execz .LBB1448_193
; %bb.192:
	v_add_f32_e32 v22, 0, v49
	v_add_f32_e32 v23, 0, v39
	v_ashrrev_i32_e32 v24, 31, v22
	v_ashrrev_i32_e32 v25, 31, v23
	v_or_b32_e32 v24, 0x80000000, v24
	v_or_b32_e32 v25, 0x80000000, v25
	v_xor_b32_e32 v22, v24, v22
	v_xor_b32_e32 v23, v25, v23
	v_cmp_le_u32_e64 s8, v22, v23
	s_and_b32 s21, s8, exec_lo
.LBB1448_193:
	s_or_b32 exec_lo, exec_lo, s18
	s_orn2_b32 s18, s21, exec_lo
.LBB1448_194:
	s_or_b32 exec_lo, exec_lo, s20
	v_cndmask_b32_e64 v22, v20, v21, s18
	v_cndmask_b32_e64 v23, v28, v36, s18
	s_mov_b32 s20, exec_lo
	v_add_nc_u32_e32 v25, 1, v22
	v_add_nc_u32_e32 v23, -1, v23
	v_lshl_add_u32 v22, v22, 3, v10
	v_cndmask_b32_e64 v24, v25, v20, s18
	v_min_u32_e32 v23, v25, v23
	v_cndmask_b32_e64 v25, v21, v25, s18
	v_lshl_add_u32 v23, v23, 2, v26
	ds_read_b32 v51, v23
	ds_read_b64 v[22:23], v22
	s_waitcnt lgkmcnt(1)
	v_cndmask_b32_e64 v50, v51, v39, s18
	v_cndmask_b32_e64 v51, v49, v51, s18
	v_cmpx_lt_u32_e64 v24, v28
	s_cbranch_execz .LBB1448_198
; %bb.195:
	s_mov_b32 s21, 0
	s_mov_b32 s19, exec_lo
	v_cmpx_lt_u32_e64 v25, v36
	s_cbranch_execz .LBB1448_197
; %bb.196:
	v_add_f32_e32 v20, 0, v51
	v_add_f32_e32 v21, 0, v50
	v_ashrrev_i32_e32 v52, 31, v20
	v_ashrrev_i32_e32 v53, 31, v21
	v_or_b32_e32 v52, 0x80000000, v52
	v_or_b32_e32 v53, 0x80000000, v53
	v_xor_b32_e32 v20, v52, v20
	v_xor_b32_e32 v21, v53, v21
	v_cmp_le_u32_e64 s8, v20, v21
	s_and_b32 s21, s8, exec_lo
.LBB1448_197:
	s_or_b32 exec_lo, exec_lo, s19
	s_orn2_b32 s19, s21, exec_lo
.LBB1448_198:
	s_or_b32 exec_lo, exec_lo, s20
	v_cndmask_b32_e64 v20, v24, v25, s19
	v_cndmask_b32_e64 v21, v28, v36, s19
	s_mov_b32 s21, -1
	s_mov_b32 s20, exec_lo
	v_add_nc_u32_e32 v52, 1, v20
	v_add_nc_u32_e32 v21, -1, v21
	v_lshl_add_u32 v20, v20, 3, v10
	v_cndmask_b32_e64 v24, v52, v24, s19
	v_min_u32_e32 v21, v52, v21
	v_cndmask_b32_e64 v25, v25, v52, s19
	v_lshl_add_u32 v21, v21, 2, v26
	ds_read_b32 v53, v21
	ds_read_b64 v[20:21], v20
	s_waitcnt lgkmcnt(1)
	v_cndmask_b32_e64 v26, v53, v50, s19
	v_cndmask_b32_e64 v52, v51, v53, s19
	v_cmpx_lt_u32_e64 v24, v28
	s_cbranch_execz .LBB1448_202
; %bb.199:
	s_mov_b32 s22, 0
	s_mov_b32 s21, exec_lo
	v_cmpx_lt_u32_e64 v25, v36
	s_cbranch_execz .LBB1448_201
; %bb.200:
	v_add_f32_e32 v28, 0, v52
	v_add_f32_e32 v36, 0, v26
	v_ashrrev_i32_e32 v53, 31, v28
	v_ashrrev_i32_e32 v54, 31, v36
	v_or_b32_e32 v53, 0x80000000, v53
	v_or_b32_e32 v54, 0x80000000, v54
	v_xor_b32_e32 v28, v53, v28
	v_xor_b32_e32 v36, v54, v36
	v_cmp_le_u32_e64 s8, v28, v36
	s_and_b32 s22, s8, exec_lo
.LBB1448_201:
	s_or_b32 exec_lo, exec_lo, s21
	s_orn2_b32 s21, s22, exec_lo
.LBB1448_202:
	s_or_b32 exec_lo, exec_lo, s20
	v_cndmask_b32_e64 v24, v24, v25, s21
	v_cndmask_b32_e64 v69, v50, v51, s19
	;; [unrolled: 1-line block ×5, first 2 shown]
	v_lshl_add_u32 v10, v24, 3, v10
	v_cndmask_b32_e64 v67, v32, v33, s15
	v_cndmask_b32_e64 v66, v30, v31, s9
	;; [unrolled: 1-line block ×4, first 2 shown]
	ds_read_b64 v[24:25], v10
.LBB1448_203:
	s_or_b32 exec_lo, exec_lo, s12
	v_add_co_u32 v2, s8, v2, v12
	v_add_co_ci_u32_e64 v3, null, v3, v13, s8
	v_add_co_u32 v2, s8, v2, v34
	v_add_co_ci_u32_e64 v3, null, 0, v3, s8
	; wave barrier
	s_waitcnt lgkmcnt(0)
	s_waitcnt_vscnt null, 0x0
	s_barrier
	buffer_gl0_inv
	; wave barrier
	s_and_saveexec_b32 s8, vcc_lo
	s_cbranch_execnz .LBB1448_228
; %bb.204:
	s_or_b32 exec_lo, exec_lo, s8
	s_and_saveexec_b32 s8, s4
	s_cbranch_execnz .LBB1448_229
.LBB1448_205:
	s_or_b32 exec_lo, exec_lo, s8
	s_and_saveexec_b32 s8, s5
	s_cbranch_execnz .LBB1448_230
.LBB1448_206:
	s_or_b32 exec_lo, exec_lo, s8
	s_and_saveexec_b32 s8, s6
	s_cbranch_execnz .LBB1448_231
.LBB1448_207:
	s_or_b32 exec_lo, exec_lo, s8
	s_and_saveexec_b32 s8, s7
	s_cbranch_execnz .LBB1448_232
.LBB1448_208:
	s_or_b32 exec_lo, exec_lo, s8
	s_and_saveexec_b32 s8, s10
	s_cbranch_execnz .LBB1448_233
.LBB1448_209:
	s_or_b32 exec_lo, exec_lo, s8
	s_and_saveexec_b32 s8, s11
	s_cbranch_execnz .LBB1448_234
.LBB1448_210:
	s_or_b32 exec_lo, exec_lo, s8
	s_and_saveexec_b32 s8, s14
	s_cbranch_execz .LBB1448_212
.LBB1448_211:
	flat_store_dword v[2:3], v38 offset:28
.LBB1448_212:
	s_or_b32 exec_lo, exec_lo, s8
	v_add_co_u32 v0, s8, v6, v0
	v_add_co_ci_u32_e64 v1, null, v7, v1, s8
	v_add_co_u32 v0, s8, v0, v11
	v_add_co_ci_u32_e64 v1, null, 0, v1, s8
	; wave barrier
	s_and_saveexec_b32 s8, vcc_lo
	s_cbranch_execnz .LBB1448_235
; %bb.213:
	s_or_b32 exec_lo, exec_lo, s8
	s_and_saveexec_b32 s8, s4
	s_cbranch_execnz .LBB1448_236
.LBB1448_214:
	s_or_b32 exec_lo, exec_lo, s8
	s_and_saveexec_b32 s4, s5
	s_cbranch_execnz .LBB1448_237
.LBB1448_215:
	s_or_b32 exec_lo, exec_lo, s4
	s_and_saveexec_b32 s4, s6
	s_cbranch_execnz .LBB1448_238
.LBB1448_216:
	s_or_b32 exec_lo, exec_lo, s4
	s_and_saveexec_b32 s4, s7
	s_cbranch_execnz .LBB1448_239
.LBB1448_217:
	s_or_b32 exec_lo, exec_lo, s4
	s_and_saveexec_b32 s4, s10
	s_cbranch_execnz .LBB1448_240
.LBB1448_218:
	s_or_b32 exec_lo, exec_lo, s4
	s_and_saveexec_b32 s4, s11
	s_cbranch_execnz .LBB1448_241
.LBB1448_219:
	s_or_b32 exec_lo, exec_lo, s4
	s_and_saveexec_b32 s4, s14
	s_cbranch_execnz .LBB1448_242
.LBB1448_220:
	s_or_b32 exec_lo, exec_lo, s4
	s_waitcnt lgkmcnt(0)
	s_setpc_b64 s[30:31]
.LBB1448_221:
	flat_load_dwordx2 v[4:5], v[26:27]
	s_or_b32 exec_lo, exec_lo, s15
                                        ; implicit-def: $vgpr8_vgpr9
	s_and_saveexec_b32 s15, s4
	s_cbranch_execz .LBB1448_18
.LBB1448_222:
	flat_load_dwordx2 v[8:9], v[26:27] offset:8
	s_or_b32 exec_lo, exec_lo, s15
                                        ; implicit-def: $vgpr14_vgpr15
	s_and_saveexec_b32 s15, s5
	s_cbranch_execz .LBB1448_19
.LBB1448_223:
	flat_load_dwordx2 v[14:15], v[26:27] offset:16
	s_or_b32 exec_lo, exec_lo, s15
                                        ; implicit-def: $vgpr16_vgpr17
	s_and_saveexec_b32 s15, s6
	s_cbranch_execz .LBB1448_20
.LBB1448_224:
	flat_load_dwordx2 v[16:17], v[26:27] offset:24
	s_or_b32 exec_lo, exec_lo, s15
                                        ; implicit-def: $vgpr18_vgpr19
	s_and_saveexec_b32 s15, s7
	s_cbranch_execz .LBB1448_21
.LBB1448_225:
	flat_load_dwordx2 v[18:19], v[26:27] offset:32
	s_or_b32 exec_lo, exec_lo, s15
                                        ; implicit-def: $vgpr22_vgpr23
	s_and_saveexec_b32 s15, s10
	s_cbranch_execz .LBB1448_22
.LBB1448_226:
	flat_load_dwordx2 v[22:23], v[26:27] offset:40
	s_or_b32 exec_lo, exec_lo, s15
                                        ; implicit-def: $vgpr20_vgpr21
	s_and_saveexec_b32 s15, s11
	s_cbranch_execz .LBB1448_23
.LBB1448_227:
	flat_load_dwordx2 v[20:21], v[26:27] offset:48
	s_or_b32 exec_lo, exec_lo, s15
                                        ; implicit-def: $vgpr24_vgpr25
	s_and_saveexec_b32 s15, s14
	s_cbranch_execnz .LBB1448_24
	s_branch .LBB1448_25
.LBB1448_228:
	flat_store_dword v[2:3], v37
	s_or_b32 exec_lo, exec_lo, s8
	s_and_saveexec_b32 s8, s4
	s_cbranch_execz .LBB1448_205
.LBB1448_229:
	flat_store_dword v[2:3], v66 offset:4
	s_or_b32 exec_lo, exec_lo, s8
	s_and_saveexec_b32 s8, s5
	s_cbranch_execz .LBB1448_206
.LBB1448_230:
	flat_store_dword v[2:3], v67 offset:8
	s_or_b32 exec_lo, exec_lo, s8
	s_and_saveexec_b32 s8, s6
	s_cbranch_execz .LBB1448_207
.LBB1448_231:
	flat_store_dword v[2:3], v70 offset:12
	s_or_b32 exec_lo, exec_lo, s8
	s_and_saveexec_b32 s8, s7
	s_cbranch_execz .LBB1448_208
.LBB1448_232:
	flat_store_dword v[2:3], v68 offset:16
	s_or_b32 exec_lo, exec_lo, s8
	s_and_saveexec_b32 s8, s10
	s_cbranch_execz .LBB1448_209
.LBB1448_233:
	flat_store_dword v[2:3], v39 offset:20
	s_or_b32 exec_lo, exec_lo, s8
	s_and_saveexec_b32 s8, s11
	s_cbranch_execz .LBB1448_210
.LBB1448_234:
	flat_store_dword v[2:3], v69 offset:24
	s_or_b32 exec_lo, exec_lo, s8
	s_and_saveexec_b32 s8, s14
	s_cbranch_execnz .LBB1448_211
	s_branch .LBB1448_212
.LBB1448_235:
	flat_store_dwordx2 v[0:1], v[4:5]
	s_or_b32 exec_lo, exec_lo, s8
	s_and_saveexec_b32 s8, s4
	s_cbranch_execz .LBB1448_214
.LBB1448_236:
	flat_store_dwordx2 v[0:1], v[8:9] offset:8
	s_or_b32 exec_lo, exec_lo, s8
	s_and_saveexec_b32 s4, s5
	s_cbranch_execz .LBB1448_215
.LBB1448_237:
	flat_store_dwordx2 v[0:1], v[14:15] offset:16
	s_or_b32 exec_lo, exec_lo, s4
	s_and_saveexec_b32 s4, s6
	s_cbranch_execz .LBB1448_216
.LBB1448_238:
	flat_store_dwordx2 v[0:1], v[16:17] offset:24
	s_or_b32 exec_lo, exec_lo, s4
	s_and_saveexec_b32 s4, s7
	s_cbranch_execz .LBB1448_217
.LBB1448_239:
	flat_store_dwordx2 v[0:1], v[18:19] offset:32
	s_or_b32 exec_lo, exec_lo, s4
	s_and_saveexec_b32 s4, s10
	s_cbranch_execz .LBB1448_218
.LBB1448_240:
	flat_store_dwordx2 v[0:1], v[22:23] offset:40
	s_or_b32 exec_lo, exec_lo, s4
	s_and_saveexec_b32 s4, s11
	s_cbranch_execz .LBB1448_219
.LBB1448_241:
	flat_store_dwordx2 v[0:1], v[20:21] offset:48
	s_or_b32 exec_lo, exec_lo, s4
	s_and_saveexec_b32 s4, s14
	s_cbranch_execz .LBB1448_220
.LBB1448_242:
	flat_store_dwordx2 v[0:1], v[24:25] offset:56
	s_or_b32 exec_lo, exec_lo, s4
	s_waitcnt lgkmcnt(0)
	s_setpc_b64 s[30:31]
.Lfunc_end1448:
	.size	_ZN7rocprim17ROCPRIM_400000_NS6detail26segmented_warp_sort_helperINS1_20WarpSortHelperConfigILj8ELj8ELj256EEEflLi256ELb0EvE4sortIPKfPfPKlPlEEvT_T0_T1_T2_jjjjRNS5_12storage_typeE, .Lfunc_end1448-_ZN7rocprim17ROCPRIM_400000_NS6detail26segmented_warp_sort_helperINS1_20WarpSortHelperConfigILj8ELj8ELj256EEEflLi256ELb0EvE4sortIPKfPfPKlPlEEvT_T0_T1_T2_jjjjRNS5_12storage_typeE
                                        ; -- End function
	.set .L_ZN7rocprim17ROCPRIM_400000_NS6detail26segmented_warp_sort_helperINS1_20WarpSortHelperConfigILj8ELj8ELj256EEEflLi256ELb0EvE4sortIPKfPfPKlPlEEvT_T0_T1_T2_jjjjRNS5_12storage_typeE.num_vgpr, 100
	.set .L_ZN7rocprim17ROCPRIM_400000_NS6detail26segmented_warp_sort_helperINS1_20WarpSortHelperConfigILj8ELj8ELj256EEEflLi256ELb0EvE4sortIPKfPfPKlPlEEvT_T0_T1_T2_jjjjRNS5_12storage_typeE.num_agpr, 0
	.set .L_ZN7rocprim17ROCPRIM_400000_NS6detail26segmented_warp_sort_helperINS1_20WarpSortHelperConfigILj8ELj8ELj256EEEflLi256ELb0EvE4sortIPKfPfPKlPlEEvT_T0_T1_T2_jjjjRNS5_12storage_typeE.numbered_sgpr, 32
	.set .L_ZN7rocprim17ROCPRIM_400000_NS6detail26segmented_warp_sort_helperINS1_20WarpSortHelperConfigILj8ELj8ELj256EEEflLi256ELb0EvE4sortIPKfPfPKlPlEEvT_T0_T1_T2_jjjjRNS5_12storage_typeE.num_named_barrier, 0
	.set .L_ZN7rocprim17ROCPRIM_400000_NS6detail26segmented_warp_sort_helperINS1_20WarpSortHelperConfigILj8ELj8ELj256EEEflLi256ELb0EvE4sortIPKfPfPKlPlEEvT_T0_T1_T2_jjjjRNS5_12storage_typeE.private_seg_size, 0
	.set .L_ZN7rocprim17ROCPRIM_400000_NS6detail26segmented_warp_sort_helperINS1_20WarpSortHelperConfigILj8ELj8ELj256EEEflLi256ELb0EvE4sortIPKfPfPKlPlEEvT_T0_T1_T2_jjjjRNS5_12storage_typeE.uses_vcc, 1
	.set .L_ZN7rocprim17ROCPRIM_400000_NS6detail26segmented_warp_sort_helperINS1_20WarpSortHelperConfigILj8ELj8ELj256EEEflLi256ELb0EvE4sortIPKfPfPKlPlEEvT_T0_T1_T2_jjjjRNS5_12storage_typeE.uses_flat_scratch, 0
	.set .L_ZN7rocprim17ROCPRIM_400000_NS6detail26segmented_warp_sort_helperINS1_20WarpSortHelperConfigILj8ELj8ELj256EEEflLi256ELb0EvE4sortIPKfPfPKlPlEEvT_T0_T1_T2_jjjjRNS5_12storage_typeE.has_dyn_sized_stack, 0
	.set .L_ZN7rocprim17ROCPRIM_400000_NS6detail26segmented_warp_sort_helperINS1_20WarpSortHelperConfigILj8ELj8ELj256EEEflLi256ELb0EvE4sortIPKfPfPKlPlEEvT_T0_T1_T2_jjjjRNS5_12storage_typeE.has_recursion, 0
	.set .L_ZN7rocprim17ROCPRIM_400000_NS6detail26segmented_warp_sort_helperINS1_20WarpSortHelperConfigILj8ELj8ELj256EEEflLi256ELb0EvE4sortIPKfPfPKlPlEEvT_T0_T1_T2_jjjjRNS5_12storage_typeE.has_indirect_call, 0
	.section	.AMDGPU.csdata,"",@progbits
; Function info:
; codeLenInByte = 10396
; TotalNumSgprs: 34
; NumVgprs: 100
; ScratchSize: 0
; MemoryBound: 0
	.section	.text._ZN7rocprim17ROCPRIM_400000_NS6detail17trampoline_kernelINS0_14default_configENS1_36segmented_radix_sort_config_selectorIflEEZNS1_25segmented_radix_sort_implIS3_Lb0EPKfPfPKlPlN2at6native12_GLOBAL__N_18offset_tEEE10hipError_tPvRmT1_PNSt15iterator_traitsISK_E10value_typeET2_T3_PNSL_ISQ_E10value_typeET4_jRbjT5_SW_jjP12ihipStream_tbEUlT_E1_NS1_11comp_targetILNS1_3genE8ELNS1_11target_archE1030ELNS1_3gpuE2ELNS1_3repE0EEENS1_59segmented_radix_sort_warp_sort_small_config_static_selectorELNS0_4arch9wavefront6targetE0EEEvSK_,"axG",@progbits,_ZN7rocprim17ROCPRIM_400000_NS6detail17trampoline_kernelINS0_14default_configENS1_36segmented_radix_sort_config_selectorIflEEZNS1_25segmented_radix_sort_implIS3_Lb0EPKfPfPKlPlN2at6native12_GLOBAL__N_18offset_tEEE10hipError_tPvRmT1_PNSt15iterator_traitsISK_E10value_typeET2_T3_PNSL_ISQ_E10value_typeET4_jRbjT5_SW_jjP12ihipStream_tbEUlT_E1_NS1_11comp_targetILNS1_3genE8ELNS1_11target_archE1030ELNS1_3gpuE2ELNS1_3repE0EEENS1_59segmented_radix_sort_warp_sort_small_config_static_selectorELNS0_4arch9wavefront6targetE0EEEvSK_,comdat
	.globl	_ZN7rocprim17ROCPRIM_400000_NS6detail17trampoline_kernelINS0_14default_configENS1_36segmented_radix_sort_config_selectorIflEEZNS1_25segmented_radix_sort_implIS3_Lb0EPKfPfPKlPlN2at6native12_GLOBAL__N_18offset_tEEE10hipError_tPvRmT1_PNSt15iterator_traitsISK_E10value_typeET2_T3_PNSL_ISQ_E10value_typeET4_jRbjT5_SW_jjP12ihipStream_tbEUlT_E1_NS1_11comp_targetILNS1_3genE8ELNS1_11target_archE1030ELNS1_3gpuE2ELNS1_3repE0EEENS1_59segmented_radix_sort_warp_sort_small_config_static_selectorELNS0_4arch9wavefront6targetE0EEEvSK_ ; -- Begin function _ZN7rocprim17ROCPRIM_400000_NS6detail17trampoline_kernelINS0_14default_configENS1_36segmented_radix_sort_config_selectorIflEEZNS1_25segmented_radix_sort_implIS3_Lb0EPKfPfPKlPlN2at6native12_GLOBAL__N_18offset_tEEE10hipError_tPvRmT1_PNSt15iterator_traitsISK_E10value_typeET2_T3_PNSL_ISQ_E10value_typeET4_jRbjT5_SW_jjP12ihipStream_tbEUlT_E1_NS1_11comp_targetILNS1_3genE8ELNS1_11target_archE1030ELNS1_3gpuE2ELNS1_3repE0EEENS1_59segmented_radix_sort_warp_sort_small_config_static_selectorELNS0_4arch9wavefront6targetE0EEEvSK_
	.p2align	8
	.type	_ZN7rocprim17ROCPRIM_400000_NS6detail17trampoline_kernelINS0_14default_configENS1_36segmented_radix_sort_config_selectorIflEEZNS1_25segmented_radix_sort_implIS3_Lb0EPKfPfPKlPlN2at6native12_GLOBAL__N_18offset_tEEE10hipError_tPvRmT1_PNSt15iterator_traitsISK_E10value_typeET2_T3_PNSL_ISQ_E10value_typeET4_jRbjT5_SW_jjP12ihipStream_tbEUlT_E1_NS1_11comp_targetILNS1_3genE8ELNS1_11target_archE1030ELNS1_3gpuE2ELNS1_3repE0EEENS1_59segmented_radix_sort_warp_sort_small_config_static_selectorELNS0_4arch9wavefront6targetE0EEEvSK_,@function
_ZN7rocprim17ROCPRIM_400000_NS6detail17trampoline_kernelINS0_14default_configENS1_36segmented_radix_sort_config_selectorIflEEZNS1_25segmented_radix_sort_implIS3_Lb0EPKfPfPKlPlN2at6native12_GLOBAL__N_18offset_tEEE10hipError_tPvRmT1_PNSt15iterator_traitsISK_E10value_typeET2_T3_PNSL_ISQ_E10value_typeET4_jRbjT5_SW_jjP12ihipStream_tbEUlT_E1_NS1_11comp_targetILNS1_3genE8ELNS1_11target_archE1030ELNS1_3gpuE2ELNS1_3repE0EEENS1_59segmented_radix_sort_warp_sort_small_config_static_selectorELNS0_4arch9wavefront6targetE0EEEvSK_: ; @_ZN7rocprim17ROCPRIM_400000_NS6detail17trampoline_kernelINS0_14default_configENS1_36segmented_radix_sort_config_selectorIflEEZNS1_25segmented_radix_sort_implIS3_Lb0EPKfPfPKlPlN2at6native12_GLOBAL__N_18offset_tEEE10hipError_tPvRmT1_PNSt15iterator_traitsISK_E10value_typeET2_T3_PNSL_ISQ_E10value_typeET4_jRbjT5_SW_jjP12ihipStream_tbEUlT_E1_NS1_11comp_targetILNS1_3genE8ELNS1_11target_archE1030ELNS1_3gpuE2ELNS1_3repE0EEENS1_59segmented_radix_sort_warp_sort_small_config_static_selectorELNS0_4arch9wavefront6targetE0EEEvSK_
; %bb.0:
	s_add_u32 s0, s0, s8
	s_load_dword s8, s[4:5], 0x64
	s_addc_u32 s1, s1, 0
	s_mov_b32 s32, 0
	s_waitcnt lgkmcnt(0)
	s_lshr_b32 s9, s8, 16
	s_and_b32 s8, s8, 0xffff
	v_mad_u32_u24 v3, v2, s9, v1
	s_load_dword s9, s[4:5], 0x34
	v_mad_u64_u32 v[3:4], null, v3, s8, v[0:1]
	s_mov_b32 s8, exec_lo
	v_lshrrev_b32_e32 v3, 3, v3
	v_lshl_add_u32 v3, s6, 5, v3
	s_waitcnt lgkmcnt(0)
	v_cmpx_gt_u32_e64 s9, v3
	s_cbranch_execz .LBB1449_6
; %bb.1:
	s_clause 0x1
	s_load_dwordx2 s[12:13], s[4:5], 0x38
	s_load_dwordx4 s[8:11], s[4:5], 0x40
	v_mov_b32_e32 v4, 0
	v_lshlrev_b64 v[3:4], 2, v[3:4]
	s_waitcnt lgkmcnt(0)
	v_sub_co_u32 v3, vcc_lo, s12, v3
	v_sub_co_ci_u32_e64 v4, null, s13, v4, vcc_lo
	global_load_dword v3, v[3:4], off offset:-4
	s_waitcnt vmcnt(0)
	v_add_nc_u32_e32 v4, s9, v3
	v_add_nc_u32_e32 v3, s11, v3
	v_mul_lo_u32 v40, v4, s8
	v_mul_lo_u32 v41, v3, s10
	v_cmp_gt_u32_e32 vcc_lo, v41, v40
	s_and_b32 exec_lo, exec_lo, vcc_lo
	s_cbranch_execz .LBB1449_6
; %bb.2:
	s_clause 0x2
	s_load_dword s8, s[4:5], 0x30
	s_load_dwordx4 s[24:27], s[4:5], 0x20
	s_load_dwordx8 s[36:43], s[4:5], 0x0
	v_lshlrev_b32_e32 v43, 20, v2
	v_lshlrev_b32_e32 v44, 10, v1
	s_waitcnt lgkmcnt(0)
	s_bitcmp0_b32 s8, 0
	s_mov_b32 s8, -1
	s_cbranch_scc0 .LBB1449_4
; %bb.3:
	s_mov_b64 s[10:11], src_shared_base
	v_or3_b32 v31, v0, v44, v43
	v_mov_b32_e32 v42, v0
	v_mov_b32_e32 v0, s36
	;; [unrolled: 1-line block ×13, first 2 shown]
	s_add_u32 s8, s4, 0x58
	s_addc_u32 s9, s5, 0
	s_getpc_b64 s[14:15]
	s_add_u32 s14, s14, _ZN7rocprim17ROCPRIM_400000_NS6detail26segmented_warp_sort_helperINS1_20WarpSortHelperConfigILj8ELj8ELj256EEEflLi256ELb0EvE4sortIPKfPfPKlPlEEvT_T0_T1_T2_jjjjRNS5_12storage_typeE@rel32@lo+4
	s_addc_u32 s15, s15, _ZN7rocprim17ROCPRIM_400000_NS6detail26segmented_warp_sort_helperINS1_20WarpSortHelperConfigILj8ELj8ELj256EEEflLi256ELb0EvE4sortIPKfPfPKlPlEEvT_T0_T1_T2_jjjjRNS5_12storage_typeE@rel32@hi+12
	s_mov_b32 s12, s6
	s_mov_b32 s13, s7
	s_mov_b64 s[24:25], s[4:5]
	s_mov_b32 s23, s7
	s_mov_b32 s28, s6
	s_swappc_b64 s[30:31], s[14:15]
	v_mov_b32_e32 v0, v42
	s_mov_b32 s6, s28
	s_mov_b32 s7, s23
	s_mov_b64 s[4:5], s[24:25]
	s_mov_b32 s8, 0
.LBB1449_4:
	s_andn2_b32 vcc_lo, exec_lo, s8
	s_cbranch_vccnz .LBB1449_6
; %bb.5:
	s_mov_b64 s[10:11], src_shared_base
	v_or3_b32 v31, v0, v44, v43
	v_mov_b32_e32 v0, s36
	v_mov_b32_e32 v1, s37
	;; [unrolled: 1-line block ×12, first 2 shown]
	s_add_u32 s8, s4, 0x58
	s_addc_u32 s9, s5, 0
	s_getpc_b64 s[4:5]
	s_add_u32 s4, s4, _ZN7rocprim17ROCPRIM_400000_NS6detail26segmented_warp_sort_helperINS1_20WarpSortHelperConfigILj8ELj8ELj256EEEflLi256ELb0EvE4sortIPKfPfPKlPlEEvT_T0_T1_T2_jjjjRNS5_12storage_typeE@rel32@lo+4
	s_addc_u32 s5, s5, _ZN7rocprim17ROCPRIM_400000_NS6detail26segmented_warp_sort_helperINS1_20WarpSortHelperConfigILj8ELj8ELj256EEEflLi256ELb0EvE4sortIPKfPfPKlPlEEvT_T0_T1_T2_jjjjRNS5_12storage_typeE@rel32@hi+12
	s_mov_b32 s12, s6
	s_mov_b32 s13, s7
	s_swappc_b64 s[30:31], s[4:5]
.LBB1449_6:
	s_endpgm
	.section	.rodata,"a",@progbits
	.p2align	6, 0x0
	.amdhsa_kernel _ZN7rocprim17ROCPRIM_400000_NS6detail17trampoline_kernelINS0_14default_configENS1_36segmented_radix_sort_config_selectorIflEEZNS1_25segmented_radix_sort_implIS3_Lb0EPKfPfPKlPlN2at6native12_GLOBAL__N_18offset_tEEE10hipError_tPvRmT1_PNSt15iterator_traitsISK_E10value_typeET2_T3_PNSL_ISQ_E10value_typeET4_jRbjT5_SW_jjP12ihipStream_tbEUlT_E1_NS1_11comp_targetILNS1_3genE8ELNS1_11target_archE1030ELNS1_3gpuE2ELNS1_3repE0EEENS1_59segmented_radix_sort_warp_sort_small_config_static_selectorELNS0_4arch9wavefront6targetE0EEEvSK_
		.amdhsa_group_segment_fixed_size 24576
		.amdhsa_private_segment_fixed_size 0
		.amdhsa_kernarg_size 344
		.amdhsa_user_sgpr_count 6
		.amdhsa_user_sgpr_private_segment_buffer 1
		.amdhsa_user_sgpr_dispatch_ptr 0
		.amdhsa_user_sgpr_queue_ptr 0
		.amdhsa_user_sgpr_kernarg_segment_ptr 1
		.amdhsa_user_sgpr_dispatch_id 0
		.amdhsa_user_sgpr_flat_scratch_init 0
		.amdhsa_user_sgpr_private_segment_size 0
		.amdhsa_wavefront_size32 1
		.amdhsa_uses_dynamic_stack 0
		.amdhsa_system_sgpr_private_segment_wavefront_offset 0
		.amdhsa_system_sgpr_workgroup_id_x 1
		.amdhsa_system_sgpr_workgroup_id_y 1
		.amdhsa_system_sgpr_workgroup_id_z 0
		.amdhsa_system_sgpr_workgroup_info 0
		.amdhsa_system_vgpr_workitem_id 2
		.amdhsa_next_free_vgpr 100
		.amdhsa_next_free_sgpr 44
		.amdhsa_reserve_vcc 1
		.amdhsa_reserve_flat_scratch 0
		.amdhsa_float_round_mode_32 0
		.amdhsa_float_round_mode_16_64 0
		.amdhsa_float_denorm_mode_32 3
		.amdhsa_float_denorm_mode_16_64 3
		.amdhsa_dx10_clamp 1
		.amdhsa_ieee_mode 1
		.amdhsa_fp16_overflow 0
		.amdhsa_workgroup_processor_mode 1
		.amdhsa_memory_ordered 1
		.amdhsa_forward_progress 1
		.amdhsa_shared_vgpr_count 0
		.amdhsa_exception_fp_ieee_invalid_op 0
		.amdhsa_exception_fp_denorm_src 0
		.amdhsa_exception_fp_ieee_div_zero 0
		.amdhsa_exception_fp_ieee_overflow 0
		.amdhsa_exception_fp_ieee_underflow 0
		.amdhsa_exception_fp_ieee_inexact 0
		.amdhsa_exception_int_div_zero 0
	.end_amdhsa_kernel
	.section	.text._ZN7rocprim17ROCPRIM_400000_NS6detail17trampoline_kernelINS0_14default_configENS1_36segmented_radix_sort_config_selectorIflEEZNS1_25segmented_radix_sort_implIS3_Lb0EPKfPfPKlPlN2at6native12_GLOBAL__N_18offset_tEEE10hipError_tPvRmT1_PNSt15iterator_traitsISK_E10value_typeET2_T3_PNSL_ISQ_E10value_typeET4_jRbjT5_SW_jjP12ihipStream_tbEUlT_E1_NS1_11comp_targetILNS1_3genE8ELNS1_11target_archE1030ELNS1_3gpuE2ELNS1_3repE0EEENS1_59segmented_radix_sort_warp_sort_small_config_static_selectorELNS0_4arch9wavefront6targetE0EEEvSK_,"axG",@progbits,_ZN7rocprim17ROCPRIM_400000_NS6detail17trampoline_kernelINS0_14default_configENS1_36segmented_radix_sort_config_selectorIflEEZNS1_25segmented_radix_sort_implIS3_Lb0EPKfPfPKlPlN2at6native12_GLOBAL__N_18offset_tEEE10hipError_tPvRmT1_PNSt15iterator_traitsISK_E10value_typeET2_T3_PNSL_ISQ_E10value_typeET4_jRbjT5_SW_jjP12ihipStream_tbEUlT_E1_NS1_11comp_targetILNS1_3genE8ELNS1_11target_archE1030ELNS1_3gpuE2ELNS1_3repE0EEENS1_59segmented_radix_sort_warp_sort_small_config_static_selectorELNS0_4arch9wavefront6targetE0EEEvSK_,comdat
.Lfunc_end1449:
	.size	_ZN7rocprim17ROCPRIM_400000_NS6detail17trampoline_kernelINS0_14default_configENS1_36segmented_radix_sort_config_selectorIflEEZNS1_25segmented_radix_sort_implIS3_Lb0EPKfPfPKlPlN2at6native12_GLOBAL__N_18offset_tEEE10hipError_tPvRmT1_PNSt15iterator_traitsISK_E10value_typeET2_T3_PNSL_ISQ_E10value_typeET4_jRbjT5_SW_jjP12ihipStream_tbEUlT_E1_NS1_11comp_targetILNS1_3genE8ELNS1_11target_archE1030ELNS1_3gpuE2ELNS1_3repE0EEENS1_59segmented_radix_sort_warp_sort_small_config_static_selectorELNS0_4arch9wavefront6targetE0EEEvSK_, .Lfunc_end1449-_ZN7rocprim17ROCPRIM_400000_NS6detail17trampoline_kernelINS0_14default_configENS1_36segmented_radix_sort_config_selectorIflEEZNS1_25segmented_radix_sort_implIS3_Lb0EPKfPfPKlPlN2at6native12_GLOBAL__N_18offset_tEEE10hipError_tPvRmT1_PNSt15iterator_traitsISK_E10value_typeET2_T3_PNSL_ISQ_E10value_typeET4_jRbjT5_SW_jjP12ihipStream_tbEUlT_E1_NS1_11comp_targetILNS1_3genE8ELNS1_11target_archE1030ELNS1_3gpuE2ELNS1_3repE0EEENS1_59segmented_radix_sort_warp_sort_small_config_static_selectorELNS0_4arch9wavefront6targetE0EEEvSK_
                                        ; -- End function
	.set _ZN7rocprim17ROCPRIM_400000_NS6detail17trampoline_kernelINS0_14default_configENS1_36segmented_radix_sort_config_selectorIflEEZNS1_25segmented_radix_sort_implIS3_Lb0EPKfPfPKlPlN2at6native12_GLOBAL__N_18offset_tEEE10hipError_tPvRmT1_PNSt15iterator_traitsISK_E10value_typeET2_T3_PNSL_ISQ_E10value_typeET4_jRbjT5_SW_jjP12ihipStream_tbEUlT_E1_NS1_11comp_targetILNS1_3genE8ELNS1_11target_archE1030ELNS1_3gpuE2ELNS1_3repE0EEENS1_59segmented_radix_sort_warp_sort_small_config_static_selectorELNS0_4arch9wavefront6targetE0EEEvSK_.num_vgpr, max(45, .L_ZN7rocprim17ROCPRIM_400000_NS6detail26segmented_warp_sort_helperINS1_20WarpSortHelperConfigILj8ELj8ELj256EEEflLi256ELb0EvE4sortIPKfPfPKlPlEEvT_T0_T1_T2_jjjjRNS5_12storage_typeE.num_vgpr)
	.set _ZN7rocprim17ROCPRIM_400000_NS6detail17trampoline_kernelINS0_14default_configENS1_36segmented_radix_sort_config_selectorIflEEZNS1_25segmented_radix_sort_implIS3_Lb0EPKfPfPKlPlN2at6native12_GLOBAL__N_18offset_tEEE10hipError_tPvRmT1_PNSt15iterator_traitsISK_E10value_typeET2_T3_PNSL_ISQ_E10value_typeET4_jRbjT5_SW_jjP12ihipStream_tbEUlT_E1_NS1_11comp_targetILNS1_3genE8ELNS1_11target_archE1030ELNS1_3gpuE2ELNS1_3repE0EEENS1_59segmented_radix_sort_warp_sort_small_config_static_selectorELNS0_4arch9wavefront6targetE0EEEvSK_.num_agpr, max(0, .L_ZN7rocprim17ROCPRIM_400000_NS6detail26segmented_warp_sort_helperINS1_20WarpSortHelperConfigILj8ELj8ELj256EEEflLi256ELb0EvE4sortIPKfPfPKlPlEEvT_T0_T1_T2_jjjjRNS5_12storage_typeE.num_agpr)
	.set _ZN7rocprim17ROCPRIM_400000_NS6detail17trampoline_kernelINS0_14default_configENS1_36segmented_radix_sort_config_selectorIflEEZNS1_25segmented_radix_sort_implIS3_Lb0EPKfPfPKlPlN2at6native12_GLOBAL__N_18offset_tEEE10hipError_tPvRmT1_PNSt15iterator_traitsISK_E10value_typeET2_T3_PNSL_ISQ_E10value_typeET4_jRbjT5_SW_jjP12ihipStream_tbEUlT_E1_NS1_11comp_targetILNS1_3genE8ELNS1_11target_archE1030ELNS1_3gpuE2ELNS1_3repE0EEENS1_59segmented_radix_sort_warp_sort_small_config_static_selectorELNS0_4arch9wavefront6targetE0EEEvSK_.numbered_sgpr, max(44, .L_ZN7rocprim17ROCPRIM_400000_NS6detail26segmented_warp_sort_helperINS1_20WarpSortHelperConfigILj8ELj8ELj256EEEflLi256ELb0EvE4sortIPKfPfPKlPlEEvT_T0_T1_T2_jjjjRNS5_12storage_typeE.numbered_sgpr)
	.set _ZN7rocprim17ROCPRIM_400000_NS6detail17trampoline_kernelINS0_14default_configENS1_36segmented_radix_sort_config_selectorIflEEZNS1_25segmented_radix_sort_implIS3_Lb0EPKfPfPKlPlN2at6native12_GLOBAL__N_18offset_tEEE10hipError_tPvRmT1_PNSt15iterator_traitsISK_E10value_typeET2_T3_PNSL_ISQ_E10value_typeET4_jRbjT5_SW_jjP12ihipStream_tbEUlT_E1_NS1_11comp_targetILNS1_3genE8ELNS1_11target_archE1030ELNS1_3gpuE2ELNS1_3repE0EEENS1_59segmented_radix_sort_warp_sort_small_config_static_selectorELNS0_4arch9wavefront6targetE0EEEvSK_.num_named_barrier, max(0, .L_ZN7rocprim17ROCPRIM_400000_NS6detail26segmented_warp_sort_helperINS1_20WarpSortHelperConfigILj8ELj8ELj256EEEflLi256ELb0EvE4sortIPKfPfPKlPlEEvT_T0_T1_T2_jjjjRNS5_12storage_typeE.num_named_barrier)
	.set _ZN7rocprim17ROCPRIM_400000_NS6detail17trampoline_kernelINS0_14default_configENS1_36segmented_radix_sort_config_selectorIflEEZNS1_25segmented_radix_sort_implIS3_Lb0EPKfPfPKlPlN2at6native12_GLOBAL__N_18offset_tEEE10hipError_tPvRmT1_PNSt15iterator_traitsISK_E10value_typeET2_T3_PNSL_ISQ_E10value_typeET4_jRbjT5_SW_jjP12ihipStream_tbEUlT_E1_NS1_11comp_targetILNS1_3genE8ELNS1_11target_archE1030ELNS1_3gpuE2ELNS1_3repE0EEENS1_59segmented_radix_sort_warp_sort_small_config_static_selectorELNS0_4arch9wavefront6targetE0EEEvSK_.private_seg_size, 0+max(.L_ZN7rocprim17ROCPRIM_400000_NS6detail26segmented_warp_sort_helperINS1_20WarpSortHelperConfigILj8ELj8ELj256EEEflLi256ELb0EvE4sortIPKfPfPKlPlEEvT_T0_T1_T2_jjjjRNS5_12storage_typeE.private_seg_size)
	.set _ZN7rocprim17ROCPRIM_400000_NS6detail17trampoline_kernelINS0_14default_configENS1_36segmented_radix_sort_config_selectorIflEEZNS1_25segmented_radix_sort_implIS3_Lb0EPKfPfPKlPlN2at6native12_GLOBAL__N_18offset_tEEE10hipError_tPvRmT1_PNSt15iterator_traitsISK_E10value_typeET2_T3_PNSL_ISQ_E10value_typeET4_jRbjT5_SW_jjP12ihipStream_tbEUlT_E1_NS1_11comp_targetILNS1_3genE8ELNS1_11target_archE1030ELNS1_3gpuE2ELNS1_3repE0EEENS1_59segmented_radix_sort_warp_sort_small_config_static_selectorELNS0_4arch9wavefront6targetE0EEEvSK_.uses_vcc, or(1, .L_ZN7rocprim17ROCPRIM_400000_NS6detail26segmented_warp_sort_helperINS1_20WarpSortHelperConfigILj8ELj8ELj256EEEflLi256ELb0EvE4sortIPKfPfPKlPlEEvT_T0_T1_T2_jjjjRNS5_12storage_typeE.uses_vcc)
	.set _ZN7rocprim17ROCPRIM_400000_NS6detail17trampoline_kernelINS0_14default_configENS1_36segmented_radix_sort_config_selectorIflEEZNS1_25segmented_radix_sort_implIS3_Lb0EPKfPfPKlPlN2at6native12_GLOBAL__N_18offset_tEEE10hipError_tPvRmT1_PNSt15iterator_traitsISK_E10value_typeET2_T3_PNSL_ISQ_E10value_typeET4_jRbjT5_SW_jjP12ihipStream_tbEUlT_E1_NS1_11comp_targetILNS1_3genE8ELNS1_11target_archE1030ELNS1_3gpuE2ELNS1_3repE0EEENS1_59segmented_radix_sort_warp_sort_small_config_static_selectorELNS0_4arch9wavefront6targetE0EEEvSK_.uses_flat_scratch, or(0, .L_ZN7rocprim17ROCPRIM_400000_NS6detail26segmented_warp_sort_helperINS1_20WarpSortHelperConfigILj8ELj8ELj256EEEflLi256ELb0EvE4sortIPKfPfPKlPlEEvT_T0_T1_T2_jjjjRNS5_12storage_typeE.uses_flat_scratch)
	.set _ZN7rocprim17ROCPRIM_400000_NS6detail17trampoline_kernelINS0_14default_configENS1_36segmented_radix_sort_config_selectorIflEEZNS1_25segmented_radix_sort_implIS3_Lb0EPKfPfPKlPlN2at6native12_GLOBAL__N_18offset_tEEE10hipError_tPvRmT1_PNSt15iterator_traitsISK_E10value_typeET2_T3_PNSL_ISQ_E10value_typeET4_jRbjT5_SW_jjP12ihipStream_tbEUlT_E1_NS1_11comp_targetILNS1_3genE8ELNS1_11target_archE1030ELNS1_3gpuE2ELNS1_3repE0EEENS1_59segmented_radix_sort_warp_sort_small_config_static_selectorELNS0_4arch9wavefront6targetE0EEEvSK_.has_dyn_sized_stack, or(0, .L_ZN7rocprim17ROCPRIM_400000_NS6detail26segmented_warp_sort_helperINS1_20WarpSortHelperConfigILj8ELj8ELj256EEEflLi256ELb0EvE4sortIPKfPfPKlPlEEvT_T0_T1_T2_jjjjRNS5_12storage_typeE.has_dyn_sized_stack)
	.set _ZN7rocprim17ROCPRIM_400000_NS6detail17trampoline_kernelINS0_14default_configENS1_36segmented_radix_sort_config_selectorIflEEZNS1_25segmented_radix_sort_implIS3_Lb0EPKfPfPKlPlN2at6native12_GLOBAL__N_18offset_tEEE10hipError_tPvRmT1_PNSt15iterator_traitsISK_E10value_typeET2_T3_PNSL_ISQ_E10value_typeET4_jRbjT5_SW_jjP12ihipStream_tbEUlT_E1_NS1_11comp_targetILNS1_3genE8ELNS1_11target_archE1030ELNS1_3gpuE2ELNS1_3repE0EEENS1_59segmented_radix_sort_warp_sort_small_config_static_selectorELNS0_4arch9wavefront6targetE0EEEvSK_.has_recursion, or(0, .L_ZN7rocprim17ROCPRIM_400000_NS6detail26segmented_warp_sort_helperINS1_20WarpSortHelperConfigILj8ELj8ELj256EEEflLi256ELb0EvE4sortIPKfPfPKlPlEEvT_T0_T1_T2_jjjjRNS5_12storage_typeE.has_recursion)
	.set _ZN7rocprim17ROCPRIM_400000_NS6detail17trampoline_kernelINS0_14default_configENS1_36segmented_radix_sort_config_selectorIflEEZNS1_25segmented_radix_sort_implIS3_Lb0EPKfPfPKlPlN2at6native12_GLOBAL__N_18offset_tEEE10hipError_tPvRmT1_PNSt15iterator_traitsISK_E10value_typeET2_T3_PNSL_ISQ_E10value_typeET4_jRbjT5_SW_jjP12ihipStream_tbEUlT_E1_NS1_11comp_targetILNS1_3genE8ELNS1_11target_archE1030ELNS1_3gpuE2ELNS1_3repE0EEENS1_59segmented_radix_sort_warp_sort_small_config_static_selectorELNS0_4arch9wavefront6targetE0EEEvSK_.has_indirect_call, or(0, .L_ZN7rocprim17ROCPRIM_400000_NS6detail26segmented_warp_sort_helperINS1_20WarpSortHelperConfigILj8ELj8ELj256EEEflLi256ELb0EvE4sortIPKfPfPKlPlEEvT_T0_T1_T2_jjjjRNS5_12storage_typeE.has_indirect_call)
	.section	.AMDGPU.csdata,"",@progbits
; Kernel info:
; codeLenInByte = 500
; TotalNumSgprs: 46
; NumVgprs: 100
; ScratchSize: 0
; MemoryBound: 0
; FloatMode: 240
; IeeeMode: 1
; LDSByteSize: 24576 bytes/workgroup (compile time only)
; SGPRBlocks: 0
; VGPRBlocks: 12
; NumSGPRsForWavesPerEU: 46
; NumVGPRsForWavesPerEU: 100
; Occupancy: 9
; WaveLimiterHint : 0
; COMPUTE_PGM_RSRC2:SCRATCH_EN: 0
; COMPUTE_PGM_RSRC2:USER_SGPR: 6
; COMPUTE_PGM_RSRC2:TRAP_HANDLER: 0
; COMPUTE_PGM_RSRC2:TGID_X_EN: 1
; COMPUTE_PGM_RSRC2:TGID_Y_EN: 1
; COMPUTE_PGM_RSRC2:TGID_Z_EN: 0
; COMPUTE_PGM_RSRC2:TIDIG_COMP_CNT: 2
	.section	.text._ZN7rocprim17ROCPRIM_400000_NS6detail17trampoline_kernelINS0_14default_configENS1_36segmented_radix_sort_config_selectorIflEEZNS1_25segmented_radix_sort_implIS3_Lb0EPKfPfPKlPlN2at6native12_GLOBAL__N_18offset_tEEE10hipError_tPvRmT1_PNSt15iterator_traitsISK_E10value_typeET2_T3_PNSL_ISQ_E10value_typeET4_jRbjT5_SW_jjP12ihipStream_tbEUlT_E2_NS1_11comp_targetILNS1_3genE0ELNS1_11target_archE4294967295ELNS1_3gpuE0ELNS1_3repE0EEENS1_30default_config_static_selectorELNS0_4arch9wavefront6targetE0EEEvSK_,"axG",@progbits,_ZN7rocprim17ROCPRIM_400000_NS6detail17trampoline_kernelINS0_14default_configENS1_36segmented_radix_sort_config_selectorIflEEZNS1_25segmented_radix_sort_implIS3_Lb0EPKfPfPKlPlN2at6native12_GLOBAL__N_18offset_tEEE10hipError_tPvRmT1_PNSt15iterator_traitsISK_E10value_typeET2_T3_PNSL_ISQ_E10value_typeET4_jRbjT5_SW_jjP12ihipStream_tbEUlT_E2_NS1_11comp_targetILNS1_3genE0ELNS1_11target_archE4294967295ELNS1_3gpuE0ELNS1_3repE0EEENS1_30default_config_static_selectorELNS0_4arch9wavefront6targetE0EEEvSK_,comdat
	.globl	_ZN7rocprim17ROCPRIM_400000_NS6detail17trampoline_kernelINS0_14default_configENS1_36segmented_radix_sort_config_selectorIflEEZNS1_25segmented_radix_sort_implIS3_Lb0EPKfPfPKlPlN2at6native12_GLOBAL__N_18offset_tEEE10hipError_tPvRmT1_PNSt15iterator_traitsISK_E10value_typeET2_T3_PNSL_ISQ_E10value_typeET4_jRbjT5_SW_jjP12ihipStream_tbEUlT_E2_NS1_11comp_targetILNS1_3genE0ELNS1_11target_archE4294967295ELNS1_3gpuE0ELNS1_3repE0EEENS1_30default_config_static_selectorELNS0_4arch9wavefront6targetE0EEEvSK_ ; -- Begin function _ZN7rocprim17ROCPRIM_400000_NS6detail17trampoline_kernelINS0_14default_configENS1_36segmented_radix_sort_config_selectorIflEEZNS1_25segmented_radix_sort_implIS3_Lb0EPKfPfPKlPlN2at6native12_GLOBAL__N_18offset_tEEE10hipError_tPvRmT1_PNSt15iterator_traitsISK_E10value_typeET2_T3_PNSL_ISQ_E10value_typeET4_jRbjT5_SW_jjP12ihipStream_tbEUlT_E2_NS1_11comp_targetILNS1_3genE0ELNS1_11target_archE4294967295ELNS1_3gpuE0ELNS1_3repE0EEENS1_30default_config_static_selectorELNS0_4arch9wavefront6targetE0EEEvSK_
	.p2align	8
	.type	_ZN7rocprim17ROCPRIM_400000_NS6detail17trampoline_kernelINS0_14default_configENS1_36segmented_radix_sort_config_selectorIflEEZNS1_25segmented_radix_sort_implIS3_Lb0EPKfPfPKlPlN2at6native12_GLOBAL__N_18offset_tEEE10hipError_tPvRmT1_PNSt15iterator_traitsISK_E10value_typeET2_T3_PNSL_ISQ_E10value_typeET4_jRbjT5_SW_jjP12ihipStream_tbEUlT_E2_NS1_11comp_targetILNS1_3genE0ELNS1_11target_archE4294967295ELNS1_3gpuE0ELNS1_3repE0EEENS1_30default_config_static_selectorELNS0_4arch9wavefront6targetE0EEEvSK_,@function
_ZN7rocprim17ROCPRIM_400000_NS6detail17trampoline_kernelINS0_14default_configENS1_36segmented_radix_sort_config_selectorIflEEZNS1_25segmented_radix_sort_implIS3_Lb0EPKfPfPKlPlN2at6native12_GLOBAL__N_18offset_tEEE10hipError_tPvRmT1_PNSt15iterator_traitsISK_E10value_typeET2_T3_PNSL_ISQ_E10value_typeET4_jRbjT5_SW_jjP12ihipStream_tbEUlT_E2_NS1_11comp_targetILNS1_3genE0ELNS1_11target_archE4294967295ELNS1_3gpuE0ELNS1_3repE0EEENS1_30default_config_static_selectorELNS0_4arch9wavefront6targetE0EEEvSK_: ; @_ZN7rocprim17ROCPRIM_400000_NS6detail17trampoline_kernelINS0_14default_configENS1_36segmented_radix_sort_config_selectorIflEEZNS1_25segmented_radix_sort_implIS3_Lb0EPKfPfPKlPlN2at6native12_GLOBAL__N_18offset_tEEE10hipError_tPvRmT1_PNSt15iterator_traitsISK_E10value_typeET2_T3_PNSL_ISQ_E10value_typeET4_jRbjT5_SW_jjP12ihipStream_tbEUlT_E2_NS1_11comp_targetILNS1_3genE0ELNS1_11target_archE4294967295ELNS1_3gpuE0ELNS1_3repE0EEENS1_30default_config_static_selectorELNS0_4arch9wavefront6targetE0EEEvSK_
; %bb.0:
	.section	.rodata,"a",@progbits
	.p2align	6, 0x0
	.amdhsa_kernel _ZN7rocprim17ROCPRIM_400000_NS6detail17trampoline_kernelINS0_14default_configENS1_36segmented_radix_sort_config_selectorIflEEZNS1_25segmented_radix_sort_implIS3_Lb0EPKfPfPKlPlN2at6native12_GLOBAL__N_18offset_tEEE10hipError_tPvRmT1_PNSt15iterator_traitsISK_E10value_typeET2_T3_PNSL_ISQ_E10value_typeET4_jRbjT5_SW_jjP12ihipStream_tbEUlT_E2_NS1_11comp_targetILNS1_3genE0ELNS1_11target_archE4294967295ELNS1_3gpuE0ELNS1_3repE0EEENS1_30default_config_static_selectorELNS0_4arch9wavefront6targetE0EEEvSK_
		.amdhsa_group_segment_fixed_size 0
		.amdhsa_private_segment_fixed_size 0
		.amdhsa_kernarg_size 80
		.amdhsa_user_sgpr_count 6
		.amdhsa_user_sgpr_private_segment_buffer 1
		.amdhsa_user_sgpr_dispatch_ptr 0
		.amdhsa_user_sgpr_queue_ptr 0
		.amdhsa_user_sgpr_kernarg_segment_ptr 1
		.amdhsa_user_sgpr_dispatch_id 0
		.amdhsa_user_sgpr_flat_scratch_init 0
		.amdhsa_user_sgpr_private_segment_size 0
		.amdhsa_wavefront_size32 1
		.amdhsa_uses_dynamic_stack 0
		.amdhsa_system_sgpr_private_segment_wavefront_offset 0
		.amdhsa_system_sgpr_workgroup_id_x 1
		.amdhsa_system_sgpr_workgroup_id_y 0
		.amdhsa_system_sgpr_workgroup_id_z 0
		.amdhsa_system_sgpr_workgroup_info 0
		.amdhsa_system_vgpr_workitem_id 0
		.amdhsa_next_free_vgpr 1
		.amdhsa_next_free_sgpr 1
		.amdhsa_reserve_vcc 0
		.amdhsa_reserve_flat_scratch 0
		.amdhsa_float_round_mode_32 0
		.amdhsa_float_round_mode_16_64 0
		.amdhsa_float_denorm_mode_32 3
		.amdhsa_float_denorm_mode_16_64 3
		.amdhsa_dx10_clamp 1
		.amdhsa_ieee_mode 1
		.amdhsa_fp16_overflow 0
		.amdhsa_workgroup_processor_mode 1
		.amdhsa_memory_ordered 1
		.amdhsa_forward_progress 1
		.amdhsa_shared_vgpr_count 0
		.amdhsa_exception_fp_ieee_invalid_op 0
		.amdhsa_exception_fp_denorm_src 0
		.amdhsa_exception_fp_ieee_div_zero 0
		.amdhsa_exception_fp_ieee_overflow 0
		.amdhsa_exception_fp_ieee_underflow 0
		.amdhsa_exception_fp_ieee_inexact 0
		.amdhsa_exception_int_div_zero 0
	.end_amdhsa_kernel
	.section	.text._ZN7rocprim17ROCPRIM_400000_NS6detail17trampoline_kernelINS0_14default_configENS1_36segmented_radix_sort_config_selectorIflEEZNS1_25segmented_radix_sort_implIS3_Lb0EPKfPfPKlPlN2at6native12_GLOBAL__N_18offset_tEEE10hipError_tPvRmT1_PNSt15iterator_traitsISK_E10value_typeET2_T3_PNSL_ISQ_E10value_typeET4_jRbjT5_SW_jjP12ihipStream_tbEUlT_E2_NS1_11comp_targetILNS1_3genE0ELNS1_11target_archE4294967295ELNS1_3gpuE0ELNS1_3repE0EEENS1_30default_config_static_selectorELNS0_4arch9wavefront6targetE0EEEvSK_,"axG",@progbits,_ZN7rocprim17ROCPRIM_400000_NS6detail17trampoline_kernelINS0_14default_configENS1_36segmented_radix_sort_config_selectorIflEEZNS1_25segmented_radix_sort_implIS3_Lb0EPKfPfPKlPlN2at6native12_GLOBAL__N_18offset_tEEE10hipError_tPvRmT1_PNSt15iterator_traitsISK_E10value_typeET2_T3_PNSL_ISQ_E10value_typeET4_jRbjT5_SW_jjP12ihipStream_tbEUlT_E2_NS1_11comp_targetILNS1_3genE0ELNS1_11target_archE4294967295ELNS1_3gpuE0ELNS1_3repE0EEENS1_30default_config_static_selectorELNS0_4arch9wavefront6targetE0EEEvSK_,comdat
.Lfunc_end1450:
	.size	_ZN7rocprim17ROCPRIM_400000_NS6detail17trampoline_kernelINS0_14default_configENS1_36segmented_radix_sort_config_selectorIflEEZNS1_25segmented_radix_sort_implIS3_Lb0EPKfPfPKlPlN2at6native12_GLOBAL__N_18offset_tEEE10hipError_tPvRmT1_PNSt15iterator_traitsISK_E10value_typeET2_T3_PNSL_ISQ_E10value_typeET4_jRbjT5_SW_jjP12ihipStream_tbEUlT_E2_NS1_11comp_targetILNS1_3genE0ELNS1_11target_archE4294967295ELNS1_3gpuE0ELNS1_3repE0EEENS1_30default_config_static_selectorELNS0_4arch9wavefront6targetE0EEEvSK_, .Lfunc_end1450-_ZN7rocprim17ROCPRIM_400000_NS6detail17trampoline_kernelINS0_14default_configENS1_36segmented_radix_sort_config_selectorIflEEZNS1_25segmented_radix_sort_implIS3_Lb0EPKfPfPKlPlN2at6native12_GLOBAL__N_18offset_tEEE10hipError_tPvRmT1_PNSt15iterator_traitsISK_E10value_typeET2_T3_PNSL_ISQ_E10value_typeET4_jRbjT5_SW_jjP12ihipStream_tbEUlT_E2_NS1_11comp_targetILNS1_3genE0ELNS1_11target_archE4294967295ELNS1_3gpuE0ELNS1_3repE0EEENS1_30default_config_static_selectorELNS0_4arch9wavefront6targetE0EEEvSK_
                                        ; -- End function
	.set _ZN7rocprim17ROCPRIM_400000_NS6detail17trampoline_kernelINS0_14default_configENS1_36segmented_radix_sort_config_selectorIflEEZNS1_25segmented_radix_sort_implIS3_Lb0EPKfPfPKlPlN2at6native12_GLOBAL__N_18offset_tEEE10hipError_tPvRmT1_PNSt15iterator_traitsISK_E10value_typeET2_T3_PNSL_ISQ_E10value_typeET4_jRbjT5_SW_jjP12ihipStream_tbEUlT_E2_NS1_11comp_targetILNS1_3genE0ELNS1_11target_archE4294967295ELNS1_3gpuE0ELNS1_3repE0EEENS1_30default_config_static_selectorELNS0_4arch9wavefront6targetE0EEEvSK_.num_vgpr, 0
	.set _ZN7rocprim17ROCPRIM_400000_NS6detail17trampoline_kernelINS0_14default_configENS1_36segmented_radix_sort_config_selectorIflEEZNS1_25segmented_radix_sort_implIS3_Lb0EPKfPfPKlPlN2at6native12_GLOBAL__N_18offset_tEEE10hipError_tPvRmT1_PNSt15iterator_traitsISK_E10value_typeET2_T3_PNSL_ISQ_E10value_typeET4_jRbjT5_SW_jjP12ihipStream_tbEUlT_E2_NS1_11comp_targetILNS1_3genE0ELNS1_11target_archE4294967295ELNS1_3gpuE0ELNS1_3repE0EEENS1_30default_config_static_selectorELNS0_4arch9wavefront6targetE0EEEvSK_.num_agpr, 0
	.set _ZN7rocprim17ROCPRIM_400000_NS6detail17trampoline_kernelINS0_14default_configENS1_36segmented_radix_sort_config_selectorIflEEZNS1_25segmented_radix_sort_implIS3_Lb0EPKfPfPKlPlN2at6native12_GLOBAL__N_18offset_tEEE10hipError_tPvRmT1_PNSt15iterator_traitsISK_E10value_typeET2_T3_PNSL_ISQ_E10value_typeET4_jRbjT5_SW_jjP12ihipStream_tbEUlT_E2_NS1_11comp_targetILNS1_3genE0ELNS1_11target_archE4294967295ELNS1_3gpuE0ELNS1_3repE0EEENS1_30default_config_static_selectorELNS0_4arch9wavefront6targetE0EEEvSK_.numbered_sgpr, 0
	.set _ZN7rocprim17ROCPRIM_400000_NS6detail17trampoline_kernelINS0_14default_configENS1_36segmented_radix_sort_config_selectorIflEEZNS1_25segmented_radix_sort_implIS3_Lb0EPKfPfPKlPlN2at6native12_GLOBAL__N_18offset_tEEE10hipError_tPvRmT1_PNSt15iterator_traitsISK_E10value_typeET2_T3_PNSL_ISQ_E10value_typeET4_jRbjT5_SW_jjP12ihipStream_tbEUlT_E2_NS1_11comp_targetILNS1_3genE0ELNS1_11target_archE4294967295ELNS1_3gpuE0ELNS1_3repE0EEENS1_30default_config_static_selectorELNS0_4arch9wavefront6targetE0EEEvSK_.num_named_barrier, 0
	.set _ZN7rocprim17ROCPRIM_400000_NS6detail17trampoline_kernelINS0_14default_configENS1_36segmented_radix_sort_config_selectorIflEEZNS1_25segmented_radix_sort_implIS3_Lb0EPKfPfPKlPlN2at6native12_GLOBAL__N_18offset_tEEE10hipError_tPvRmT1_PNSt15iterator_traitsISK_E10value_typeET2_T3_PNSL_ISQ_E10value_typeET4_jRbjT5_SW_jjP12ihipStream_tbEUlT_E2_NS1_11comp_targetILNS1_3genE0ELNS1_11target_archE4294967295ELNS1_3gpuE0ELNS1_3repE0EEENS1_30default_config_static_selectorELNS0_4arch9wavefront6targetE0EEEvSK_.private_seg_size, 0
	.set _ZN7rocprim17ROCPRIM_400000_NS6detail17trampoline_kernelINS0_14default_configENS1_36segmented_radix_sort_config_selectorIflEEZNS1_25segmented_radix_sort_implIS3_Lb0EPKfPfPKlPlN2at6native12_GLOBAL__N_18offset_tEEE10hipError_tPvRmT1_PNSt15iterator_traitsISK_E10value_typeET2_T3_PNSL_ISQ_E10value_typeET4_jRbjT5_SW_jjP12ihipStream_tbEUlT_E2_NS1_11comp_targetILNS1_3genE0ELNS1_11target_archE4294967295ELNS1_3gpuE0ELNS1_3repE0EEENS1_30default_config_static_selectorELNS0_4arch9wavefront6targetE0EEEvSK_.uses_vcc, 0
	.set _ZN7rocprim17ROCPRIM_400000_NS6detail17trampoline_kernelINS0_14default_configENS1_36segmented_radix_sort_config_selectorIflEEZNS1_25segmented_radix_sort_implIS3_Lb0EPKfPfPKlPlN2at6native12_GLOBAL__N_18offset_tEEE10hipError_tPvRmT1_PNSt15iterator_traitsISK_E10value_typeET2_T3_PNSL_ISQ_E10value_typeET4_jRbjT5_SW_jjP12ihipStream_tbEUlT_E2_NS1_11comp_targetILNS1_3genE0ELNS1_11target_archE4294967295ELNS1_3gpuE0ELNS1_3repE0EEENS1_30default_config_static_selectorELNS0_4arch9wavefront6targetE0EEEvSK_.uses_flat_scratch, 0
	.set _ZN7rocprim17ROCPRIM_400000_NS6detail17trampoline_kernelINS0_14default_configENS1_36segmented_radix_sort_config_selectorIflEEZNS1_25segmented_radix_sort_implIS3_Lb0EPKfPfPKlPlN2at6native12_GLOBAL__N_18offset_tEEE10hipError_tPvRmT1_PNSt15iterator_traitsISK_E10value_typeET2_T3_PNSL_ISQ_E10value_typeET4_jRbjT5_SW_jjP12ihipStream_tbEUlT_E2_NS1_11comp_targetILNS1_3genE0ELNS1_11target_archE4294967295ELNS1_3gpuE0ELNS1_3repE0EEENS1_30default_config_static_selectorELNS0_4arch9wavefront6targetE0EEEvSK_.has_dyn_sized_stack, 0
	.set _ZN7rocprim17ROCPRIM_400000_NS6detail17trampoline_kernelINS0_14default_configENS1_36segmented_radix_sort_config_selectorIflEEZNS1_25segmented_radix_sort_implIS3_Lb0EPKfPfPKlPlN2at6native12_GLOBAL__N_18offset_tEEE10hipError_tPvRmT1_PNSt15iterator_traitsISK_E10value_typeET2_T3_PNSL_ISQ_E10value_typeET4_jRbjT5_SW_jjP12ihipStream_tbEUlT_E2_NS1_11comp_targetILNS1_3genE0ELNS1_11target_archE4294967295ELNS1_3gpuE0ELNS1_3repE0EEENS1_30default_config_static_selectorELNS0_4arch9wavefront6targetE0EEEvSK_.has_recursion, 0
	.set _ZN7rocprim17ROCPRIM_400000_NS6detail17trampoline_kernelINS0_14default_configENS1_36segmented_radix_sort_config_selectorIflEEZNS1_25segmented_radix_sort_implIS3_Lb0EPKfPfPKlPlN2at6native12_GLOBAL__N_18offset_tEEE10hipError_tPvRmT1_PNSt15iterator_traitsISK_E10value_typeET2_T3_PNSL_ISQ_E10value_typeET4_jRbjT5_SW_jjP12ihipStream_tbEUlT_E2_NS1_11comp_targetILNS1_3genE0ELNS1_11target_archE4294967295ELNS1_3gpuE0ELNS1_3repE0EEENS1_30default_config_static_selectorELNS0_4arch9wavefront6targetE0EEEvSK_.has_indirect_call, 0
	.section	.AMDGPU.csdata,"",@progbits
; Kernel info:
; codeLenInByte = 0
; TotalNumSgprs: 0
; NumVgprs: 0
; ScratchSize: 0
; MemoryBound: 0
; FloatMode: 240
; IeeeMode: 1
; LDSByteSize: 0 bytes/workgroup (compile time only)
; SGPRBlocks: 0
; VGPRBlocks: 0
; NumSGPRsForWavesPerEU: 1
; NumVGPRsForWavesPerEU: 1
; Occupancy: 16
; WaveLimiterHint : 0
; COMPUTE_PGM_RSRC2:SCRATCH_EN: 0
; COMPUTE_PGM_RSRC2:USER_SGPR: 6
; COMPUTE_PGM_RSRC2:TRAP_HANDLER: 0
; COMPUTE_PGM_RSRC2:TGID_X_EN: 1
; COMPUTE_PGM_RSRC2:TGID_Y_EN: 0
; COMPUTE_PGM_RSRC2:TGID_Z_EN: 0
; COMPUTE_PGM_RSRC2:TIDIG_COMP_CNT: 0
	.section	.text._ZN7rocprim17ROCPRIM_400000_NS6detail17trampoline_kernelINS0_14default_configENS1_36segmented_radix_sort_config_selectorIflEEZNS1_25segmented_radix_sort_implIS3_Lb0EPKfPfPKlPlN2at6native12_GLOBAL__N_18offset_tEEE10hipError_tPvRmT1_PNSt15iterator_traitsISK_E10value_typeET2_T3_PNSL_ISQ_E10value_typeET4_jRbjT5_SW_jjP12ihipStream_tbEUlT_E2_NS1_11comp_targetILNS1_3genE5ELNS1_11target_archE942ELNS1_3gpuE9ELNS1_3repE0EEENS1_30default_config_static_selectorELNS0_4arch9wavefront6targetE0EEEvSK_,"axG",@progbits,_ZN7rocprim17ROCPRIM_400000_NS6detail17trampoline_kernelINS0_14default_configENS1_36segmented_radix_sort_config_selectorIflEEZNS1_25segmented_radix_sort_implIS3_Lb0EPKfPfPKlPlN2at6native12_GLOBAL__N_18offset_tEEE10hipError_tPvRmT1_PNSt15iterator_traitsISK_E10value_typeET2_T3_PNSL_ISQ_E10value_typeET4_jRbjT5_SW_jjP12ihipStream_tbEUlT_E2_NS1_11comp_targetILNS1_3genE5ELNS1_11target_archE942ELNS1_3gpuE9ELNS1_3repE0EEENS1_30default_config_static_selectorELNS0_4arch9wavefront6targetE0EEEvSK_,comdat
	.globl	_ZN7rocprim17ROCPRIM_400000_NS6detail17trampoline_kernelINS0_14default_configENS1_36segmented_radix_sort_config_selectorIflEEZNS1_25segmented_radix_sort_implIS3_Lb0EPKfPfPKlPlN2at6native12_GLOBAL__N_18offset_tEEE10hipError_tPvRmT1_PNSt15iterator_traitsISK_E10value_typeET2_T3_PNSL_ISQ_E10value_typeET4_jRbjT5_SW_jjP12ihipStream_tbEUlT_E2_NS1_11comp_targetILNS1_3genE5ELNS1_11target_archE942ELNS1_3gpuE9ELNS1_3repE0EEENS1_30default_config_static_selectorELNS0_4arch9wavefront6targetE0EEEvSK_ ; -- Begin function _ZN7rocprim17ROCPRIM_400000_NS6detail17trampoline_kernelINS0_14default_configENS1_36segmented_radix_sort_config_selectorIflEEZNS1_25segmented_radix_sort_implIS3_Lb0EPKfPfPKlPlN2at6native12_GLOBAL__N_18offset_tEEE10hipError_tPvRmT1_PNSt15iterator_traitsISK_E10value_typeET2_T3_PNSL_ISQ_E10value_typeET4_jRbjT5_SW_jjP12ihipStream_tbEUlT_E2_NS1_11comp_targetILNS1_3genE5ELNS1_11target_archE942ELNS1_3gpuE9ELNS1_3repE0EEENS1_30default_config_static_selectorELNS0_4arch9wavefront6targetE0EEEvSK_
	.p2align	8
	.type	_ZN7rocprim17ROCPRIM_400000_NS6detail17trampoline_kernelINS0_14default_configENS1_36segmented_radix_sort_config_selectorIflEEZNS1_25segmented_radix_sort_implIS3_Lb0EPKfPfPKlPlN2at6native12_GLOBAL__N_18offset_tEEE10hipError_tPvRmT1_PNSt15iterator_traitsISK_E10value_typeET2_T3_PNSL_ISQ_E10value_typeET4_jRbjT5_SW_jjP12ihipStream_tbEUlT_E2_NS1_11comp_targetILNS1_3genE5ELNS1_11target_archE942ELNS1_3gpuE9ELNS1_3repE0EEENS1_30default_config_static_selectorELNS0_4arch9wavefront6targetE0EEEvSK_,@function
_ZN7rocprim17ROCPRIM_400000_NS6detail17trampoline_kernelINS0_14default_configENS1_36segmented_radix_sort_config_selectorIflEEZNS1_25segmented_radix_sort_implIS3_Lb0EPKfPfPKlPlN2at6native12_GLOBAL__N_18offset_tEEE10hipError_tPvRmT1_PNSt15iterator_traitsISK_E10value_typeET2_T3_PNSL_ISQ_E10value_typeET4_jRbjT5_SW_jjP12ihipStream_tbEUlT_E2_NS1_11comp_targetILNS1_3genE5ELNS1_11target_archE942ELNS1_3gpuE9ELNS1_3repE0EEENS1_30default_config_static_selectorELNS0_4arch9wavefront6targetE0EEEvSK_: ; @_ZN7rocprim17ROCPRIM_400000_NS6detail17trampoline_kernelINS0_14default_configENS1_36segmented_radix_sort_config_selectorIflEEZNS1_25segmented_radix_sort_implIS3_Lb0EPKfPfPKlPlN2at6native12_GLOBAL__N_18offset_tEEE10hipError_tPvRmT1_PNSt15iterator_traitsISK_E10value_typeET2_T3_PNSL_ISQ_E10value_typeET4_jRbjT5_SW_jjP12ihipStream_tbEUlT_E2_NS1_11comp_targetILNS1_3genE5ELNS1_11target_archE942ELNS1_3gpuE9ELNS1_3repE0EEENS1_30default_config_static_selectorELNS0_4arch9wavefront6targetE0EEEvSK_
; %bb.0:
	.section	.rodata,"a",@progbits
	.p2align	6, 0x0
	.amdhsa_kernel _ZN7rocprim17ROCPRIM_400000_NS6detail17trampoline_kernelINS0_14default_configENS1_36segmented_radix_sort_config_selectorIflEEZNS1_25segmented_radix_sort_implIS3_Lb0EPKfPfPKlPlN2at6native12_GLOBAL__N_18offset_tEEE10hipError_tPvRmT1_PNSt15iterator_traitsISK_E10value_typeET2_T3_PNSL_ISQ_E10value_typeET4_jRbjT5_SW_jjP12ihipStream_tbEUlT_E2_NS1_11comp_targetILNS1_3genE5ELNS1_11target_archE942ELNS1_3gpuE9ELNS1_3repE0EEENS1_30default_config_static_selectorELNS0_4arch9wavefront6targetE0EEEvSK_
		.amdhsa_group_segment_fixed_size 0
		.amdhsa_private_segment_fixed_size 0
		.amdhsa_kernarg_size 80
		.amdhsa_user_sgpr_count 6
		.amdhsa_user_sgpr_private_segment_buffer 1
		.amdhsa_user_sgpr_dispatch_ptr 0
		.amdhsa_user_sgpr_queue_ptr 0
		.amdhsa_user_sgpr_kernarg_segment_ptr 1
		.amdhsa_user_sgpr_dispatch_id 0
		.amdhsa_user_sgpr_flat_scratch_init 0
		.amdhsa_user_sgpr_private_segment_size 0
		.amdhsa_wavefront_size32 1
		.amdhsa_uses_dynamic_stack 0
		.amdhsa_system_sgpr_private_segment_wavefront_offset 0
		.amdhsa_system_sgpr_workgroup_id_x 1
		.amdhsa_system_sgpr_workgroup_id_y 0
		.amdhsa_system_sgpr_workgroup_id_z 0
		.amdhsa_system_sgpr_workgroup_info 0
		.amdhsa_system_vgpr_workitem_id 0
		.amdhsa_next_free_vgpr 1
		.amdhsa_next_free_sgpr 1
		.amdhsa_reserve_vcc 0
		.amdhsa_reserve_flat_scratch 0
		.amdhsa_float_round_mode_32 0
		.amdhsa_float_round_mode_16_64 0
		.amdhsa_float_denorm_mode_32 3
		.amdhsa_float_denorm_mode_16_64 3
		.amdhsa_dx10_clamp 1
		.amdhsa_ieee_mode 1
		.amdhsa_fp16_overflow 0
		.amdhsa_workgroup_processor_mode 1
		.amdhsa_memory_ordered 1
		.amdhsa_forward_progress 1
		.amdhsa_shared_vgpr_count 0
		.amdhsa_exception_fp_ieee_invalid_op 0
		.amdhsa_exception_fp_denorm_src 0
		.amdhsa_exception_fp_ieee_div_zero 0
		.amdhsa_exception_fp_ieee_overflow 0
		.amdhsa_exception_fp_ieee_underflow 0
		.amdhsa_exception_fp_ieee_inexact 0
		.amdhsa_exception_int_div_zero 0
	.end_amdhsa_kernel
	.section	.text._ZN7rocprim17ROCPRIM_400000_NS6detail17trampoline_kernelINS0_14default_configENS1_36segmented_radix_sort_config_selectorIflEEZNS1_25segmented_radix_sort_implIS3_Lb0EPKfPfPKlPlN2at6native12_GLOBAL__N_18offset_tEEE10hipError_tPvRmT1_PNSt15iterator_traitsISK_E10value_typeET2_T3_PNSL_ISQ_E10value_typeET4_jRbjT5_SW_jjP12ihipStream_tbEUlT_E2_NS1_11comp_targetILNS1_3genE5ELNS1_11target_archE942ELNS1_3gpuE9ELNS1_3repE0EEENS1_30default_config_static_selectorELNS0_4arch9wavefront6targetE0EEEvSK_,"axG",@progbits,_ZN7rocprim17ROCPRIM_400000_NS6detail17trampoline_kernelINS0_14default_configENS1_36segmented_radix_sort_config_selectorIflEEZNS1_25segmented_radix_sort_implIS3_Lb0EPKfPfPKlPlN2at6native12_GLOBAL__N_18offset_tEEE10hipError_tPvRmT1_PNSt15iterator_traitsISK_E10value_typeET2_T3_PNSL_ISQ_E10value_typeET4_jRbjT5_SW_jjP12ihipStream_tbEUlT_E2_NS1_11comp_targetILNS1_3genE5ELNS1_11target_archE942ELNS1_3gpuE9ELNS1_3repE0EEENS1_30default_config_static_selectorELNS0_4arch9wavefront6targetE0EEEvSK_,comdat
.Lfunc_end1451:
	.size	_ZN7rocprim17ROCPRIM_400000_NS6detail17trampoline_kernelINS0_14default_configENS1_36segmented_radix_sort_config_selectorIflEEZNS1_25segmented_radix_sort_implIS3_Lb0EPKfPfPKlPlN2at6native12_GLOBAL__N_18offset_tEEE10hipError_tPvRmT1_PNSt15iterator_traitsISK_E10value_typeET2_T3_PNSL_ISQ_E10value_typeET4_jRbjT5_SW_jjP12ihipStream_tbEUlT_E2_NS1_11comp_targetILNS1_3genE5ELNS1_11target_archE942ELNS1_3gpuE9ELNS1_3repE0EEENS1_30default_config_static_selectorELNS0_4arch9wavefront6targetE0EEEvSK_, .Lfunc_end1451-_ZN7rocprim17ROCPRIM_400000_NS6detail17trampoline_kernelINS0_14default_configENS1_36segmented_radix_sort_config_selectorIflEEZNS1_25segmented_radix_sort_implIS3_Lb0EPKfPfPKlPlN2at6native12_GLOBAL__N_18offset_tEEE10hipError_tPvRmT1_PNSt15iterator_traitsISK_E10value_typeET2_T3_PNSL_ISQ_E10value_typeET4_jRbjT5_SW_jjP12ihipStream_tbEUlT_E2_NS1_11comp_targetILNS1_3genE5ELNS1_11target_archE942ELNS1_3gpuE9ELNS1_3repE0EEENS1_30default_config_static_selectorELNS0_4arch9wavefront6targetE0EEEvSK_
                                        ; -- End function
	.set _ZN7rocprim17ROCPRIM_400000_NS6detail17trampoline_kernelINS0_14default_configENS1_36segmented_radix_sort_config_selectorIflEEZNS1_25segmented_radix_sort_implIS3_Lb0EPKfPfPKlPlN2at6native12_GLOBAL__N_18offset_tEEE10hipError_tPvRmT1_PNSt15iterator_traitsISK_E10value_typeET2_T3_PNSL_ISQ_E10value_typeET4_jRbjT5_SW_jjP12ihipStream_tbEUlT_E2_NS1_11comp_targetILNS1_3genE5ELNS1_11target_archE942ELNS1_3gpuE9ELNS1_3repE0EEENS1_30default_config_static_selectorELNS0_4arch9wavefront6targetE0EEEvSK_.num_vgpr, 0
	.set _ZN7rocprim17ROCPRIM_400000_NS6detail17trampoline_kernelINS0_14default_configENS1_36segmented_radix_sort_config_selectorIflEEZNS1_25segmented_radix_sort_implIS3_Lb0EPKfPfPKlPlN2at6native12_GLOBAL__N_18offset_tEEE10hipError_tPvRmT1_PNSt15iterator_traitsISK_E10value_typeET2_T3_PNSL_ISQ_E10value_typeET4_jRbjT5_SW_jjP12ihipStream_tbEUlT_E2_NS1_11comp_targetILNS1_3genE5ELNS1_11target_archE942ELNS1_3gpuE9ELNS1_3repE0EEENS1_30default_config_static_selectorELNS0_4arch9wavefront6targetE0EEEvSK_.num_agpr, 0
	.set _ZN7rocprim17ROCPRIM_400000_NS6detail17trampoline_kernelINS0_14default_configENS1_36segmented_radix_sort_config_selectorIflEEZNS1_25segmented_radix_sort_implIS3_Lb0EPKfPfPKlPlN2at6native12_GLOBAL__N_18offset_tEEE10hipError_tPvRmT1_PNSt15iterator_traitsISK_E10value_typeET2_T3_PNSL_ISQ_E10value_typeET4_jRbjT5_SW_jjP12ihipStream_tbEUlT_E2_NS1_11comp_targetILNS1_3genE5ELNS1_11target_archE942ELNS1_3gpuE9ELNS1_3repE0EEENS1_30default_config_static_selectorELNS0_4arch9wavefront6targetE0EEEvSK_.numbered_sgpr, 0
	.set _ZN7rocprim17ROCPRIM_400000_NS6detail17trampoline_kernelINS0_14default_configENS1_36segmented_radix_sort_config_selectorIflEEZNS1_25segmented_radix_sort_implIS3_Lb0EPKfPfPKlPlN2at6native12_GLOBAL__N_18offset_tEEE10hipError_tPvRmT1_PNSt15iterator_traitsISK_E10value_typeET2_T3_PNSL_ISQ_E10value_typeET4_jRbjT5_SW_jjP12ihipStream_tbEUlT_E2_NS1_11comp_targetILNS1_3genE5ELNS1_11target_archE942ELNS1_3gpuE9ELNS1_3repE0EEENS1_30default_config_static_selectorELNS0_4arch9wavefront6targetE0EEEvSK_.num_named_barrier, 0
	.set _ZN7rocprim17ROCPRIM_400000_NS6detail17trampoline_kernelINS0_14default_configENS1_36segmented_radix_sort_config_selectorIflEEZNS1_25segmented_radix_sort_implIS3_Lb0EPKfPfPKlPlN2at6native12_GLOBAL__N_18offset_tEEE10hipError_tPvRmT1_PNSt15iterator_traitsISK_E10value_typeET2_T3_PNSL_ISQ_E10value_typeET4_jRbjT5_SW_jjP12ihipStream_tbEUlT_E2_NS1_11comp_targetILNS1_3genE5ELNS1_11target_archE942ELNS1_3gpuE9ELNS1_3repE0EEENS1_30default_config_static_selectorELNS0_4arch9wavefront6targetE0EEEvSK_.private_seg_size, 0
	.set _ZN7rocprim17ROCPRIM_400000_NS6detail17trampoline_kernelINS0_14default_configENS1_36segmented_radix_sort_config_selectorIflEEZNS1_25segmented_radix_sort_implIS3_Lb0EPKfPfPKlPlN2at6native12_GLOBAL__N_18offset_tEEE10hipError_tPvRmT1_PNSt15iterator_traitsISK_E10value_typeET2_T3_PNSL_ISQ_E10value_typeET4_jRbjT5_SW_jjP12ihipStream_tbEUlT_E2_NS1_11comp_targetILNS1_3genE5ELNS1_11target_archE942ELNS1_3gpuE9ELNS1_3repE0EEENS1_30default_config_static_selectorELNS0_4arch9wavefront6targetE0EEEvSK_.uses_vcc, 0
	.set _ZN7rocprim17ROCPRIM_400000_NS6detail17trampoline_kernelINS0_14default_configENS1_36segmented_radix_sort_config_selectorIflEEZNS1_25segmented_radix_sort_implIS3_Lb0EPKfPfPKlPlN2at6native12_GLOBAL__N_18offset_tEEE10hipError_tPvRmT1_PNSt15iterator_traitsISK_E10value_typeET2_T3_PNSL_ISQ_E10value_typeET4_jRbjT5_SW_jjP12ihipStream_tbEUlT_E2_NS1_11comp_targetILNS1_3genE5ELNS1_11target_archE942ELNS1_3gpuE9ELNS1_3repE0EEENS1_30default_config_static_selectorELNS0_4arch9wavefront6targetE0EEEvSK_.uses_flat_scratch, 0
	.set _ZN7rocprim17ROCPRIM_400000_NS6detail17trampoline_kernelINS0_14default_configENS1_36segmented_radix_sort_config_selectorIflEEZNS1_25segmented_radix_sort_implIS3_Lb0EPKfPfPKlPlN2at6native12_GLOBAL__N_18offset_tEEE10hipError_tPvRmT1_PNSt15iterator_traitsISK_E10value_typeET2_T3_PNSL_ISQ_E10value_typeET4_jRbjT5_SW_jjP12ihipStream_tbEUlT_E2_NS1_11comp_targetILNS1_3genE5ELNS1_11target_archE942ELNS1_3gpuE9ELNS1_3repE0EEENS1_30default_config_static_selectorELNS0_4arch9wavefront6targetE0EEEvSK_.has_dyn_sized_stack, 0
	.set _ZN7rocprim17ROCPRIM_400000_NS6detail17trampoline_kernelINS0_14default_configENS1_36segmented_radix_sort_config_selectorIflEEZNS1_25segmented_radix_sort_implIS3_Lb0EPKfPfPKlPlN2at6native12_GLOBAL__N_18offset_tEEE10hipError_tPvRmT1_PNSt15iterator_traitsISK_E10value_typeET2_T3_PNSL_ISQ_E10value_typeET4_jRbjT5_SW_jjP12ihipStream_tbEUlT_E2_NS1_11comp_targetILNS1_3genE5ELNS1_11target_archE942ELNS1_3gpuE9ELNS1_3repE0EEENS1_30default_config_static_selectorELNS0_4arch9wavefront6targetE0EEEvSK_.has_recursion, 0
	.set _ZN7rocprim17ROCPRIM_400000_NS6detail17trampoline_kernelINS0_14default_configENS1_36segmented_radix_sort_config_selectorIflEEZNS1_25segmented_radix_sort_implIS3_Lb0EPKfPfPKlPlN2at6native12_GLOBAL__N_18offset_tEEE10hipError_tPvRmT1_PNSt15iterator_traitsISK_E10value_typeET2_T3_PNSL_ISQ_E10value_typeET4_jRbjT5_SW_jjP12ihipStream_tbEUlT_E2_NS1_11comp_targetILNS1_3genE5ELNS1_11target_archE942ELNS1_3gpuE9ELNS1_3repE0EEENS1_30default_config_static_selectorELNS0_4arch9wavefront6targetE0EEEvSK_.has_indirect_call, 0
	.section	.AMDGPU.csdata,"",@progbits
; Kernel info:
; codeLenInByte = 0
; TotalNumSgprs: 0
; NumVgprs: 0
; ScratchSize: 0
; MemoryBound: 0
; FloatMode: 240
; IeeeMode: 1
; LDSByteSize: 0 bytes/workgroup (compile time only)
; SGPRBlocks: 0
; VGPRBlocks: 0
; NumSGPRsForWavesPerEU: 1
; NumVGPRsForWavesPerEU: 1
; Occupancy: 16
; WaveLimiterHint : 0
; COMPUTE_PGM_RSRC2:SCRATCH_EN: 0
; COMPUTE_PGM_RSRC2:USER_SGPR: 6
; COMPUTE_PGM_RSRC2:TRAP_HANDLER: 0
; COMPUTE_PGM_RSRC2:TGID_X_EN: 1
; COMPUTE_PGM_RSRC2:TGID_Y_EN: 0
; COMPUTE_PGM_RSRC2:TGID_Z_EN: 0
; COMPUTE_PGM_RSRC2:TIDIG_COMP_CNT: 0
	.section	.text._ZN7rocprim17ROCPRIM_400000_NS6detail17trampoline_kernelINS0_14default_configENS1_36segmented_radix_sort_config_selectorIflEEZNS1_25segmented_radix_sort_implIS3_Lb0EPKfPfPKlPlN2at6native12_GLOBAL__N_18offset_tEEE10hipError_tPvRmT1_PNSt15iterator_traitsISK_E10value_typeET2_T3_PNSL_ISQ_E10value_typeET4_jRbjT5_SW_jjP12ihipStream_tbEUlT_E2_NS1_11comp_targetILNS1_3genE4ELNS1_11target_archE910ELNS1_3gpuE8ELNS1_3repE0EEENS1_30default_config_static_selectorELNS0_4arch9wavefront6targetE0EEEvSK_,"axG",@progbits,_ZN7rocprim17ROCPRIM_400000_NS6detail17trampoline_kernelINS0_14default_configENS1_36segmented_radix_sort_config_selectorIflEEZNS1_25segmented_radix_sort_implIS3_Lb0EPKfPfPKlPlN2at6native12_GLOBAL__N_18offset_tEEE10hipError_tPvRmT1_PNSt15iterator_traitsISK_E10value_typeET2_T3_PNSL_ISQ_E10value_typeET4_jRbjT5_SW_jjP12ihipStream_tbEUlT_E2_NS1_11comp_targetILNS1_3genE4ELNS1_11target_archE910ELNS1_3gpuE8ELNS1_3repE0EEENS1_30default_config_static_selectorELNS0_4arch9wavefront6targetE0EEEvSK_,comdat
	.globl	_ZN7rocprim17ROCPRIM_400000_NS6detail17trampoline_kernelINS0_14default_configENS1_36segmented_radix_sort_config_selectorIflEEZNS1_25segmented_radix_sort_implIS3_Lb0EPKfPfPKlPlN2at6native12_GLOBAL__N_18offset_tEEE10hipError_tPvRmT1_PNSt15iterator_traitsISK_E10value_typeET2_T3_PNSL_ISQ_E10value_typeET4_jRbjT5_SW_jjP12ihipStream_tbEUlT_E2_NS1_11comp_targetILNS1_3genE4ELNS1_11target_archE910ELNS1_3gpuE8ELNS1_3repE0EEENS1_30default_config_static_selectorELNS0_4arch9wavefront6targetE0EEEvSK_ ; -- Begin function _ZN7rocprim17ROCPRIM_400000_NS6detail17trampoline_kernelINS0_14default_configENS1_36segmented_radix_sort_config_selectorIflEEZNS1_25segmented_radix_sort_implIS3_Lb0EPKfPfPKlPlN2at6native12_GLOBAL__N_18offset_tEEE10hipError_tPvRmT1_PNSt15iterator_traitsISK_E10value_typeET2_T3_PNSL_ISQ_E10value_typeET4_jRbjT5_SW_jjP12ihipStream_tbEUlT_E2_NS1_11comp_targetILNS1_3genE4ELNS1_11target_archE910ELNS1_3gpuE8ELNS1_3repE0EEENS1_30default_config_static_selectorELNS0_4arch9wavefront6targetE0EEEvSK_
	.p2align	8
	.type	_ZN7rocprim17ROCPRIM_400000_NS6detail17trampoline_kernelINS0_14default_configENS1_36segmented_radix_sort_config_selectorIflEEZNS1_25segmented_radix_sort_implIS3_Lb0EPKfPfPKlPlN2at6native12_GLOBAL__N_18offset_tEEE10hipError_tPvRmT1_PNSt15iterator_traitsISK_E10value_typeET2_T3_PNSL_ISQ_E10value_typeET4_jRbjT5_SW_jjP12ihipStream_tbEUlT_E2_NS1_11comp_targetILNS1_3genE4ELNS1_11target_archE910ELNS1_3gpuE8ELNS1_3repE0EEENS1_30default_config_static_selectorELNS0_4arch9wavefront6targetE0EEEvSK_,@function
_ZN7rocprim17ROCPRIM_400000_NS6detail17trampoline_kernelINS0_14default_configENS1_36segmented_radix_sort_config_selectorIflEEZNS1_25segmented_radix_sort_implIS3_Lb0EPKfPfPKlPlN2at6native12_GLOBAL__N_18offset_tEEE10hipError_tPvRmT1_PNSt15iterator_traitsISK_E10value_typeET2_T3_PNSL_ISQ_E10value_typeET4_jRbjT5_SW_jjP12ihipStream_tbEUlT_E2_NS1_11comp_targetILNS1_3genE4ELNS1_11target_archE910ELNS1_3gpuE8ELNS1_3repE0EEENS1_30default_config_static_selectorELNS0_4arch9wavefront6targetE0EEEvSK_: ; @_ZN7rocprim17ROCPRIM_400000_NS6detail17trampoline_kernelINS0_14default_configENS1_36segmented_radix_sort_config_selectorIflEEZNS1_25segmented_radix_sort_implIS3_Lb0EPKfPfPKlPlN2at6native12_GLOBAL__N_18offset_tEEE10hipError_tPvRmT1_PNSt15iterator_traitsISK_E10value_typeET2_T3_PNSL_ISQ_E10value_typeET4_jRbjT5_SW_jjP12ihipStream_tbEUlT_E2_NS1_11comp_targetILNS1_3genE4ELNS1_11target_archE910ELNS1_3gpuE8ELNS1_3repE0EEENS1_30default_config_static_selectorELNS0_4arch9wavefront6targetE0EEEvSK_
; %bb.0:
	.section	.rodata,"a",@progbits
	.p2align	6, 0x0
	.amdhsa_kernel _ZN7rocprim17ROCPRIM_400000_NS6detail17trampoline_kernelINS0_14default_configENS1_36segmented_radix_sort_config_selectorIflEEZNS1_25segmented_radix_sort_implIS3_Lb0EPKfPfPKlPlN2at6native12_GLOBAL__N_18offset_tEEE10hipError_tPvRmT1_PNSt15iterator_traitsISK_E10value_typeET2_T3_PNSL_ISQ_E10value_typeET4_jRbjT5_SW_jjP12ihipStream_tbEUlT_E2_NS1_11comp_targetILNS1_3genE4ELNS1_11target_archE910ELNS1_3gpuE8ELNS1_3repE0EEENS1_30default_config_static_selectorELNS0_4arch9wavefront6targetE0EEEvSK_
		.amdhsa_group_segment_fixed_size 0
		.amdhsa_private_segment_fixed_size 0
		.amdhsa_kernarg_size 80
		.amdhsa_user_sgpr_count 6
		.amdhsa_user_sgpr_private_segment_buffer 1
		.amdhsa_user_sgpr_dispatch_ptr 0
		.amdhsa_user_sgpr_queue_ptr 0
		.amdhsa_user_sgpr_kernarg_segment_ptr 1
		.amdhsa_user_sgpr_dispatch_id 0
		.amdhsa_user_sgpr_flat_scratch_init 0
		.amdhsa_user_sgpr_private_segment_size 0
		.amdhsa_wavefront_size32 1
		.amdhsa_uses_dynamic_stack 0
		.amdhsa_system_sgpr_private_segment_wavefront_offset 0
		.amdhsa_system_sgpr_workgroup_id_x 1
		.amdhsa_system_sgpr_workgroup_id_y 0
		.amdhsa_system_sgpr_workgroup_id_z 0
		.amdhsa_system_sgpr_workgroup_info 0
		.amdhsa_system_vgpr_workitem_id 0
		.amdhsa_next_free_vgpr 1
		.amdhsa_next_free_sgpr 1
		.amdhsa_reserve_vcc 0
		.amdhsa_reserve_flat_scratch 0
		.amdhsa_float_round_mode_32 0
		.amdhsa_float_round_mode_16_64 0
		.amdhsa_float_denorm_mode_32 3
		.amdhsa_float_denorm_mode_16_64 3
		.amdhsa_dx10_clamp 1
		.amdhsa_ieee_mode 1
		.amdhsa_fp16_overflow 0
		.amdhsa_workgroup_processor_mode 1
		.amdhsa_memory_ordered 1
		.amdhsa_forward_progress 1
		.amdhsa_shared_vgpr_count 0
		.amdhsa_exception_fp_ieee_invalid_op 0
		.amdhsa_exception_fp_denorm_src 0
		.amdhsa_exception_fp_ieee_div_zero 0
		.amdhsa_exception_fp_ieee_overflow 0
		.amdhsa_exception_fp_ieee_underflow 0
		.amdhsa_exception_fp_ieee_inexact 0
		.amdhsa_exception_int_div_zero 0
	.end_amdhsa_kernel
	.section	.text._ZN7rocprim17ROCPRIM_400000_NS6detail17trampoline_kernelINS0_14default_configENS1_36segmented_radix_sort_config_selectorIflEEZNS1_25segmented_radix_sort_implIS3_Lb0EPKfPfPKlPlN2at6native12_GLOBAL__N_18offset_tEEE10hipError_tPvRmT1_PNSt15iterator_traitsISK_E10value_typeET2_T3_PNSL_ISQ_E10value_typeET4_jRbjT5_SW_jjP12ihipStream_tbEUlT_E2_NS1_11comp_targetILNS1_3genE4ELNS1_11target_archE910ELNS1_3gpuE8ELNS1_3repE0EEENS1_30default_config_static_selectorELNS0_4arch9wavefront6targetE0EEEvSK_,"axG",@progbits,_ZN7rocprim17ROCPRIM_400000_NS6detail17trampoline_kernelINS0_14default_configENS1_36segmented_radix_sort_config_selectorIflEEZNS1_25segmented_radix_sort_implIS3_Lb0EPKfPfPKlPlN2at6native12_GLOBAL__N_18offset_tEEE10hipError_tPvRmT1_PNSt15iterator_traitsISK_E10value_typeET2_T3_PNSL_ISQ_E10value_typeET4_jRbjT5_SW_jjP12ihipStream_tbEUlT_E2_NS1_11comp_targetILNS1_3genE4ELNS1_11target_archE910ELNS1_3gpuE8ELNS1_3repE0EEENS1_30default_config_static_selectorELNS0_4arch9wavefront6targetE0EEEvSK_,comdat
.Lfunc_end1452:
	.size	_ZN7rocprim17ROCPRIM_400000_NS6detail17trampoline_kernelINS0_14default_configENS1_36segmented_radix_sort_config_selectorIflEEZNS1_25segmented_radix_sort_implIS3_Lb0EPKfPfPKlPlN2at6native12_GLOBAL__N_18offset_tEEE10hipError_tPvRmT1_PNSt15iterator_traitsISK_E10value_typeET2_T3_PNSL_ISQ_E10value_typeET4_jRbjT5_SW_jjP12ihipStream_tbEUlT_E2_NS1_11comp_targetILNS1_3genE4ELNS1_11target_archE910ELNS1_3gpuE8ELNS1_3repE0EEENS1_30default_config_static_selectorELNS0_4arch9wavefront6targetE0EEEvSK_, .Lfunc_end1452-_ZN7rocprim17ROCPRIM_400000_NS6detail17trampoline_kernelINS0_14default_configENS1_36segmented_radix_sort_config_selectorIflEEZNS1_25segmented_radix_sort_implIS3_Lb0EPKfPfPKlPlN2at6native12_GLOBAL__N_18offset_tEEE10hipError_tPvRmT1_PNSt15iterator_traitsISK_E10value_typeET2_T3_PNSL_ISQ_E10value_typeET4_jRbjT5_SW_jjP12ihipStream_tbEUlT_E2_NS1_11comp_targetILNS1_3genE4ELNS1_11target_archE910ELNS1_3gpuE8ELNS1_3repE0EEENS1_30default_config_static_selectorELNS0_4arch9wavefront6targetE0EEEvSK_
                                        ; -- End function
	.set _ZN7rocprim17ROCPRIM_400000_NS6detail17trampoline_kernelINS0_14default_configENS1_36segmented_radix_sort_config_selectorIflEEZNS1_25segmented_radix_sort_implIS3_Lb0EPKfPfPKlPlN2at6native12_GLOBAL__N_18offset_tEEE10hipError_tPvRmT1_PNSt15iterator_traitsISK_E10value_typeET2_T3_PNSL_ISQ_E10value_typeET4_jRbjT5_SW_jjP12ihipStream_tbEUlT_E2_NS1_11comp_targetILNS1_3genE4ELNS1_11target_archE910ELNS1_3gpuE8ELNS1_3repE0EEENS1_30default_config_static_selectorELNS0_4arch9wavefront6targetE0EEEvSK_.num_vgpr, 0
	.set _ZN7rocprim17ROCPRIM_400000_NS6detail17trampoline_kernelINS0_14default_configENS1_36segmented_radix_sort_config_selectorIflEEZNS1_25segmented_radix_sort_implIS3_Lb0EPKfPfPKlPlN2at6native12_GLOBAL__N_18offset_tEEE10hipError_tPvRmT1_PNSt15iterator_traitsISK_E10value_typeET2_T3_PNSL_ISQ_E10value_typeET4_jRbjT5_SW_jjP12ihipStream_tbEUlT_E2_NS1_11comp_targetILNS1_3genE4ELNS1_11target_archE910ELNS1_3gpuE8ELNS1_3repE0EEENS1_30default_config_static_selectorELNS0_4arch9wavefront6targetE0EEEvSK_.num_agpr, 0
	.set _ZN7rocprim17ROCPRIM_400000_NS6detail17trampoline_kernelINS0_14default_configENS1_36segmented_radix_sort_config_selectorIflEEZNS1_25segmented_radix_sort_implIS3_Lb0EPKfPfPKlPlN2at6native12_GLOBAL__N_18offset_tEEE10hipError_tPvRmT1_PNSt15iterator_traitsISK_E10value_typeET2_T3_PNSL_ISQ_E10value_typeET4_jRbjT5_SW_jjP12ihipStream_tbEUlT_E2_NS1_11comp_targetILNS1_3genE4ELNS1_11target_archE910ELNS1_3gpuE8ELNS1_3repE0EEENS1_30default_config_static_selectorELNS0_4arch9wavefront6targetE0EEEvSK_.numbered_sgpr, 0
	.set _ZN7rocprim17ROCPRIM_400000_NS6detail17trampoline_kernelINS0_14default_configENS1_36segmented_radix_sort_config_selectorIflEEZNS1_25segmented_radix_sort_implIS3_Lb0EPKfPfPKlPlN2at6native12_GLOBAL__N_18offset_tEEE10hipError_tPvRmT1_PNSt15iterator_traitsISK_E10value_typeET2_T3_PNSL_ISQ_E10value_typeET4_jRbjT5_SW_jjP12ihipStream_tbEUlT_E2_NS1_11comp_targetILNS1_3genE4ELNS1_11target_archE910ELNS1_3gpuE8ELNS1_3repE0EEENS1_30default_config_static_selectorELNS0_4arch9wavefront6targetE0EEEvSK_.num_named_barrier, 0
	.set _ZN7rocprim17ROCPRIM_400000_NS6detail17trampoline_kernelINS0_14default_configENS1_36segmented_radix_sort_config_selectorIflEEZNS1_25segmented_radix_sort_implIS3_Lb0EPKfPfPKlPlN2at6native12_GLOBAL__N_18offset_tEEE10hipError_tPvRmT1_PNSt15iterator_traitsISK_E10value_typeET2_T3_PNSL_ISQ_E10value_typeET4_jRbjT5_SW_jjP12ihipStream_tbEUlT_E2_NS1_11comp_targetILNS1_3genE4ELNS1_11target_archE910ELNS1_3gpuE8ELNS1_3repE0EEENS1_30default_config_static_selectorELNS0_4arch9wavefront6targetE0EEEvSK_.private_seg_size, 0
	.set _ZN7rocprim17ROCPRIM_400000_NS6detail17trampoline_kernelINS0_14default_configENS1_36segmented_radix_sort_config_selectorIflEEZNS1_25segmented_radix_sort_implIS3_Lb0EPKfPfPKlPlN2at6native12_GLOBAL__N_18offset_tEEE10hipError_tPvRmT1_PNSt15iterator_traitsISK_E10value_typeET2_T3_PNSL_ISQ_E10value_typeET4_jRbjT5_SW_jjP12ihipStream_tbEUlT_E2_NS1_11comp_targetILNS1_3genE4ELNS1_11target_archE910ELNS1_3gpuE8ELNS1_3repE0EEENS1_30default_config_static_selectorELNS0_4arch9wavefront6targetE0EEEvSK_.uses_vcc, 0
	.set _ZN7rocprim17ROCPRIM_400000_NS6detail17trampoline_kernelINS0_14default_configENS1_36segmented_radix_sort_config_selectorIflEEZNS1_25segmented_radix_sort_implIS3_Lb0EPKfPfPKlPlN2at6native12_GLOBAL__N_18offset_tEEE10hipError_tPvRmT1_PNSt15iterator_traitsISK_E10value_typeET2_T3_PNSL_ISQ_E10value_typeET4_jRbjT5_SW_jjP12ihipStream_tbEUlT_E2_NS1_11comp_targetILNS1_3genE4ELNS1_11target_archE910ELNS1_3gpuE8ELNS1_3repE0EEENS1_30default_config_static_selectorELNS0_4arch9wavefront6targetE0EEEvSK_.uses_flat_scratch, 0
	.set _ZN7rocprim17ROCPRIM_400000_NS6detail17trampoline_kernelINS0_14default_configENS1_36segmented_radix_sort_config_selectorIflEEZNS1_25segmented_radix_sort_implIS3_Lb0EPKfPfPKlPlN2at6native12_GLOBAL__N_18offset_tEEE10hipError_tPvRmT1_PNSt15iterator_traitsISK_E10value_typeET2_T3_PNSL_ISQ_E10value_typeET4_jRbjT5_SW_jjP12ihipStream_tbEUlT_E2_NS1_11comp_targetILNS1_3genE4ELNS1_11target_archE910ELNS1_3gpuE8ELNS1_3repE0EEENS1_30default_config_static_selectorELNS0_4arch9wavefront6targetE0EEEvSK_.has_dyn_sized_stack, 0
	.set _ZN7rocprim17ROCPRIM_400000_NS6detail17trampoline_kernelINS0_14default_configENS1_36segmented_radix_sort_config_selectorIflEEZNS1_25segmented_radix_sort_implIS3_Lb0EPKfPfPKlPlN2at6native12_GLOBAL__N_18offset_tEEE10hipError_tPvRmT1_PNSt15iterator_traitsISK_E10value_typeET2_T3_PNSL_ISQ_E10value_typeET4_jRbjT5_SW_jjP12ihipStream_tbEUlT_E2_NS1_11comp_targetILNS1_3genE4ELNS1_11target_archE910ELNS1_3gpuE8ELNS1_3repE0EEENS1_30default_config_static_selectorELNS0_4arch9wavefront6targetE0EEEvSK_.has_recursion, 0
	.set _ZN7rocprim17ROCPRIM_400000_NS6detail17trampoline_kernelINS0_14default_configENS1_36segmented_radix_sort_config_selectorIflEEZNS1_25segmented_radix_sort_implIS3_Lb0EPKfPfPKlPlN2at6native12_GLOBAL__N_18offset_tEEE10hipError_tPvRmT1_PNSt15iterator_traitsISK_E10value_typeET2_T3_PNSL_ISQ_E10value_typeET4_jRbjT5_SW_jjP12ihipStream_tbEUlT_E2_NS1_11comp_targetILNS1_3genE4ELNS1_11target_archE910ELNS1_3gpuE8ELNS1_3repE0EEENS1_30default_config_static_selectorELNS0_4arch9wavefront6targetE0EEEvSK_.has_indirect_call, 0
	.section	.AMDGPU.csdata,"",@progbits
; Kernel info:
; codeLenInByte = 0
; TotalNumSgprs: 0
; NumVgprs: 0
; ScratchSize: 0
; MemoryBound: 0
; FloatMode: 240
; IeeeMode: 1
; LDSByteSize: 0 bytes/workgroup (compile time only)
; SGPRBlocks: 0
; VGPRBlocks: 0
; NumSGPRsForWavesPerEU: 1
; NumVGPRsForWavesPerEU: 1
; Occupancy: 16
; WaveLimiterHint : 0
; COMPUTE_PGM_RSRC2:SCRATCH_EN: 0
; COMPUTE_PGM_RSRC2:USER_SGPR: 6
; COMPUTE_PGM_RSRC2:TRAP_HANDLER: 0
; COMPUTE_PGM_RSRC2:TGID_X_EN: 1
; COMPUTE_PGM_RSRC2:TGID_Y_EN: 0
; COMPUTE_PGM_RSRC2:TGID_Z_EN: 0
; COMPUTE_PGM_RSRC2:TIDIG_COMP_CNT: 0
	.section	.text._ZN7rocprim17ROCPRIM_400000_NS6detail17trampoline_kernelINS0_14default_configENS1_36segmented_radix_sort_config_selectorIflEEZNS1_25segmented_radix_sort_implIS3_Lb0EPKfPfPKlPlN2at6native12_GLOBAL__N_18offset_tEEE10hipError_tPvRmT1_PNSt15iterator_traitsISK_E10value_typeET2_T3_PNSL_ISQ_E10value_typeET4_jRbjT5_SW_jjP12ihipStream_tbEUlT_E2_NS1_11comp_targetILNS1_3genE3ELNS1_11target_archE908ELNS1_3gpuE7ELNS1_3repE0EEENS1_30default_config_static_selectorELNS0_4arch9wavefront6targetE0EEEvSK_,"axG",@progbits,_ZN7rocprim17ROCPRIM_400000_NS6detail17trampoline_kernelINS0_14default_configENS1_36segmented_radix_sort_config_selectorIflEEZNS1_25segmented_radix_sort_implIS3_Lb0EPKfPfPKlPlN2at6native12_GLOBAL__N_18offset_tEEE10hipError_tPvRmT1_PNSt15iterator_traitsISK_E10value_typeET2_T3_PNSL_ISQ_E10value_typeET4_jRbjT5_SW_jjP12ihipStream_tbEUlT_E2_NS1_11comp_targetILNS1_3genE3ELNS1_11target_archE908ELNS1_3gpuE7ELNS1_3repE0EEENS1_30default_config_static_selectorELNS0_4arch9wavefront6targetE0EEEvSK_,comdat
	.globl	_ZN7rocprim17ROCPRIM_400000_NS6detail17trampoline_kernelINS0_14default_configENS1_36segmented_radix_sort_config_selectorIflEEZNS1_25segmented_radix_sort_implIS3_Lb0EPKfPfPKlPlN2at6native12_GLOBAL__N_18offset_tEEE10hipError_tPvRmT1_PNSt15iterator_traitsISK_E10value_typeET2_T3_PNSL_ISQ_E10value_typeET4_jRbjT5_SW_jjP12ihipStream_tbEUlT_E2_NS1_11comp_targetILNS1_3genE3ELNS1_11target_archE908ELNS1_3gpuE7ELNS1_3repE0EEENS1_30default_config_static_selectorELNS0_4arch9wavefront6targetE0EEEvSK_ ; -- Begin function _ZN7rocprim17ROCPRIM_400000_NS6detail17trampoline_kernelINS0_14default_configENS1_36segmented_radix_sort_config_selectorIflEEZNS1_25segmented_radix_sort_implIS3_Lb0EPKfPfPKlPlN2at6native12_GLOBAL__N_18offset_tEEE10hipError_tPvRmT1_PNSt15iterator_traitsISK_E10value_typeET2_T3_PNSL_ISQ_E10value_typeET4_jRbjT5_SW_jjP12ihipStream_tbEUlT_E2_NS1_11comp_targetILNS1_3genE3ELNS1_11target_archE908ELNS1_3gpuE7ELNS1_3repE0EEENS1_30default_config_static_selectorELNS0_4arch9wavefront6targetE0EEEvSK_
	.p2align	8
	.type	_ZN7rocprim17ROCPRIM_400000_NS6detail17trampoline_kernelINS0_14default_configENS1_36segmented_radix_sort_config_selectorIflEEZNS1_25segmented_radix_sort_implIS3_Lb0EPKfPfPKlPlN2at6native12_GLOBAL__N_18offset_tEEE10hipError_tPvRmT1_PNSt15iterator_traitsISK_E10value_typeET2_T3_PNSL_ISQ_E10value_typeET4_jRbjT5_SW_jjP12ihipStream_tbEUlT_E2_NS1_11comp_targetILNS1_3genE3ELNS1_11target_archE908ELNS1_3gpuE7ELNS1_3repE0EEENS1_30default_config_static_selectorELNS0_4arch9wavefront6targetE0EEEvSK_,@function
_ZN7rocprim17ROCPRIM_400000_NS6detail17trampoline_kernelINS0_14default_configENS1_36segmented_radix_sort_config_selectorIflEEZNS1_25segmented_radix_sort_implIS3_Lb0EPKfPfPKlPlN2at6native12_GLOBAL__N_18offset_tEEE10hipError_tPvRmT1_PNSt15iterator_traitsISK_E10value_typeET2_T3_PNSL_ISQ_E10value_typeET4_jRbjT5_SW_jjP12ihipStream_tbEUlT_E2_NS1_11comp_targetILNS1_3genE3ELNS1_11target_archE908ELNS1_3gpuE7ELNS1_3repE0EEENS1_30default_config_static_selectorELNS0_4arch9wavefront6targetE0EEEvSK_: ; @_ZN7rocprim17ROCPRIM_400000_NS6detail17trampoline_kernelINS0_14default_configENS1_36segmented_radix_sort_config_selectorIflEEZNS1_25segmented_radix_sort_implIS3_Lb0EPKfPfPKlPlN2at6native12_GLOBAL__N_18offset_tEEE10hipError_tPvRmT1_PNSt15iterator_traitsISK_E10value_typeET2_T3_PNSL_ISQ_E10value_typeET4_jRbjT5_SW_jjP12ihipStream_tbEUlT_E2_NS1_11comp_targetILNS1_3genE3ELNS1_11target_archE908ELNS1_3gpuE7ELNS1_3repE0EEENS1_30default_config_static_selectorELNS0_4arch9wavefront6targetE0EEEvSK_
; %bb.0:
	.section	.rodata,"a",@progbits
	.p2align	6, 0x0
	.amdhsa_kernel _ZN7rocprim17ROCPRIM_400000_NS6detail17trampoline_kernelINS0_14default_configENS1_36segmented_radix_sort_config_selectorIflEEZNS1_25segmented_radix_sort_implIS3_Lb0EPKfPfPKlPlN2at6native12_GLOBAL__N_18offset_tEEE10hipError_tPvRmT1_PNSt15iterator_traitsISK_E10value_typeET2_T3_PNSL_ISQ_E10value_typeET4_jRbjT5_SW_jjP12ihipStream_tbEUlT_E2_NS1_11comp_targetILNS1_3genE3ELNS1_11target_archE908ELNS1_3gpuE7ELNS1_3repE0EEENS1_30default_config_static_selectorELNS0_4arch9wavefront6targetE0EEEvSK_
		.amdhsa_group_segment_fixed_size 0
		.amdhsa_private_segment_fixed_size 0
		.amdhsa_kernarg_size 80
		.amdhsa_user_sgpr_count 6
		.amdhsa_user_sgpr_private_segment_buffer 1
		.amdhsa_user_sgpr_dispatch_ptr 0
		.amdhsa_user_sgpr_queue_ptr 0
		.amdhsa_user_sgpr_kernarg_segment_ptr 1
		.amdhsa_user_sgpr_dispatch_id 0
		.amdhsa_user_sgpr_flat_scratch_init 0
		.amdhsa_user_sgpr_private_segment_size 0
		.amdhsa_wavefront_size32 1
		.amdhsa_uses_dynamic_stack 0
		.amdhsa_system_sgpr_private_segment_wavefront_offset 0
		.amdhsa_system_sgpr_workgroup_id_x 1
		.amdhsa_system_sgpr_workgroup_id_y 0
		.amdhsa_system_sgpr_workgroup_id_z 0
		.amdhsa_system_sgpr_workgroup_info 0
		.amdhsa_system_vgpr_workitem_id 0
		.amdhsa_next_free_vgpr 1
		.amdhsa_next_free_sgpr 1
		.amdhsa_reserve_vcc 0
		.amdhsa_reserve_flat_scratch 0
		.amdhsa_float_round_mode_32 0
		.amdhsa_float_round_mode_16_64 0
		.amdhsa_float_denorm_mode_32 3
		.amdhsa_float_denorm_mode_16_64 3
		.amdhsa_dx10_clamp 1
		.amdhsa_ieee_mode 1
		.amdhsa_fp16_overflow 0
		.amdhsa_workgroup_processor_mode 1
		.amdhsa_memory_ordered 1
		.amdhsa_forward_progress 1
		.amdhsa_shared_vgpr_count 0
		.amdhsa_exception_fp_ieee_invalid_op 0
		.amdhsa_exception_fp_denorm_src 0
		.amdhsa_exception_fp_ieee_div_zero 0
		.amdhsa_exception_fp_ieee_overflow 0
		.amdhsa_exception_fp_ieee_underflow 0
		.amdhsa_exception_fp_ieee_inexact 0
		.amdhsa_exception_int_div_zero 0
	.end_amdhsa_kernel
	.section	.text._ZN7rocprim17ROCPRIM_400000_NS6detail17trampoline_kernelINS0_14default_configENS1_36segmented_radix_sort_config_selectorIflEEZNS1_25segmented_radix_sort_implIS3_Lb0EPKfPfPKlPlN2at6native12_GLOBAL__N_18offset_tEEE10hipError_tPvRmT1_PNSt15iterator_traitsISK_E10value_typeET2_T3_PNSL_ISQ_E10value_typeET4_jRbjT5_SW_jjP12ihipStream_tbEUlT_E2_NS1_11comp_targetILNS1_3genE3ELNS1_11target_archE908ELNS1_3gpuE7ELNS1_3repE0EEENS1_30default_config_static_selectorELNS0_4arch9wavefront6targetE0EEEvSK_,"axG",@progbits,_ZN7rocprim17ROCPRIM_400000_NS6detail17trampoline_kernelINS0_14default_configENS1_36segmented_radix_sort_config_selectorIflEEZNS1_25segmented_radix_sort_implIS3_Lb0EPKfPfPKlPlN2at6native12_GLOBAL__N_18offset_tEEE10hipError_tPvRmT1_PNSt15iterator_traitsISK_E10value_typeET2_T3_PNSL_ISQ_E10value_typeET4_jRbjT5_SW_jjP12ihipStream_tbEUlT_E2_NS1_11comp_targetILNS1_3genE3ELNS1_11target_archE908ELNS1_3gpuE7ELNS1_3repE0EEENS1_30default_config_static_selectorELNS0_4arch9wavefront6targetE0EEEvSK_,comdat
.Lfunc_end1453:
	.size	_ZN7rocprim17ROCPRIM_400000_NS6detail17trampoline_kernelINS0_14default_configENS1_36segmented_radix_sort_config_selectorIflEEZNS1_25segmented_radix_sort_implIS3_Lb0EPKfPfPKlPlN2at6native12_GLOBAL__N_18offset_tEEE10hipError_tPvRmT1_PNSt15iterator_traitsISK_E10value_typeET2_T3_PNSL_ISQ_E10value_typeET4_jRbjT5_SW_jjP12ihipStream_tbEUlT_E2_NS1_11comp_targetILNS1_3genE3ELNS1_11target_archE908ELNS1_3gpuE7ELNS1_3repE0EEENS1_30default_config_static_selectorELNS0_4arch9wavefront6targetE0EEEvSK_, .Lfunc_end1453-_ZN7rocprim17ROCPRIM_400000_NS6detail17trampoline_kernelINS0_14default_configENS1_36segmented_radix_sort_config_selectorIflEEZNS1_25segmented_radix_sort_implIS3_Lb0EPKfPfPKlPlN2at6native12_GLOBAL__N_18offset_tEEE10hipError_tPvRmT1_PNSt15iterator_traitsISK_E10value_typeET2_T3_PNSL_ISQ_E10value_typeET4_jRbjT5_SW_jjP12ihipStream_tbEUlT_E2_NS1_11comp_targetILNS1_3genE3ELNS1_11target_archE908ELNS1_3gpuE7ELNS1_3repE0EEENS1_30default_config_static_selectorELNS0_4arch9wavefront6targetE0EEEvSK_
                                        ; -- End function
	.set _ZN7rocprim17ROCPRIM_400000_NS6detail17trampoline_kernelINS0_14default_configENS1_36segmented_radix_sort_config_selectorIflEEZNS1_25segmented_radix_sort_implIS3_Lb0EPKfPfPKlPlN2at6native12_GLOBAL__N_18offset_tEEE10hipError_tPvRmT1_PNSt15iterator_traitsISK_E10value_typeET2_T3_PNSL_ISQ_E10value_typeET4_jRbjT5_SW_jjP12ihipStream_tbEUlT_E2_NS1_11comp_targetILNS1_3genE3ELNS1_11target_archE908ELNS1_3gpuE7ELNS1_3repE0EEENS1_30default_config_static_selectorELNS0_4arch9wavefront6targetE0EEEvSK_.num_vgpr, 0
	.set _ZN7rocprim17ROCPRIM_400000_NS6detail17trampoline_kernelINS0_14default_configENS1_36segmented_radix_sort_config_selectorIflEEZNS1_25segmented_radix_sort_implIS3_Lb0EPKfPfPKlPlN2at6native12_GLOBAL__N_18offset_tEEE10hipError_tPvRmT1_PNSt15iterator_traitsISK_E10value_typeET2_T3_PNSL_ISQ_E10value_typeET4_jRbjT5_SW_jjP12ihipStream_tbEUlT_E2_NS1_11comp_targetILNS1_3genE3ELNS1_11target_archE908ELNS1_3gpuE7ELNS1_3repE0EEENS1_30default_config_static_selectorELNS0_4arch9wavefront6targetE0EEEvSK_.num_agpr, 0
	.set _ZN7rocprim17ROCPRIM_400000_NS6detail17trampoline_kernelINS0_14default_configENS1_36segmented_radix_sort_config_selectorIflEEZNS1_25segmented_radix_sort_implIS3_Lb0EPKfPfPKlPlN2at6native12_GLOBAL__N_18offset_tEEE10hipError_tPvRmT1_PNSt15iterator_traitsISK_E10value_typeET2_T3_PNSL_ISQ_E10value_typeET4_jRbjT5_SW_jjP12ihipStream_tbEUlT_E2_NS1_11comp_targetILNS1_3genE3ELNS1_11target_archE908ELNS1_3gpuE7ELNS1_3repE0EEENS1_30default_config_static_selectorELNS0_4arch9wavefront6targetE0EEEvSK_.numbered_sgpr, 0
	.set _ZN7rocprim17ROCPRIM_400000_NS6detail17trampoline_kernelINS0_14default_configENS1_36segmented_radix_sort_config_selectorIflEEZNS1_25segmented_radix_sort_implIS3_Lb0EPKfPfPKlPlN2at6native12_GLOBAL__N_18offset_tEEE10hipError_tPvRmT1_PNSt15iterator_traitsISK_E10value_typeET2_T3_PNSL_ISQ_E10value_typeET4_jRbjT5_SW_jjP12ihipStream_tbEUlT_E2_NS1_11comp_targetILNS1_3genE3ELNS1_11target_archE908ELNS1_3gpuE7ELNS1_3repE0EEENS1_30default_config_static_selectorELNS0_4arch9wavefront6targetE0EEEvSK_.num_named_barrier, 0
	.set _ZN7rocprim17ROCPRIM_400000_NS6detail17trampoline_kernelINS0_14default_configENS1_36segmented_radix_sort_config_selectorIflEEZNS1_25segmented_radix_sort_implIS3_Lb0EPKfPfPKlPlN2at6native12_GLOBAL__N_18offset_tEEE10hipError_tPvRmT1_PNSt15iterator_traitsISK_E10value_typeET2_T3_PNSL_ISQ_E10value_typeET4_jRbjT5_SW_jjP12ihipStream_tbEUlT_E2_NS1_11comp_targetILNS1_3genE3ELNS1_11target_archE908ELNS1_3gpuE7ELNS1_3repE0EEENS1_30default_config_static_selectorELNS0_4arch9wavefront6targetE0EEEvSK_.private_seg_size, 0
	.set _ZN7rocprim17ROCPRIM_400000_NS6detail17trampoline_kernelINS0_14default_configENS1_36segmented_radix_sort_config_selectorIflEEZNS1_25segmented_radix_sort_implIS3_Lb0EPKfPfPKlPlN2at6native12_GLOBAL__N_18offset_tEEE10hipError_tPvRmT1_PNSt15iterator_traitsISK_E10value_typeET2_T3_PNSL_ISQ_E10value_typeET4_jRbjT5_SW_jjP12ihipStream_tbEUlT_E2_NS1_11comp_targetILNS1_3genE3ELNS1_11target_archE908ELNS1_3gpuE7ELNS1_3repE0EEENS1_30default_config_static_selectorELNS0_4arch9wavefront6targetE0EEEvSK_.uses_vcc, 0
	.set _ZN7rocprim17ROCPRIM_400000_NS6detail17trampoline_kernelINS0_14default_configENS1_36segmented_radix_sort_config_selectorIflEEZNS1_25segmented_radix_sort_implIS3_Lb0EPKfPfPKlPlN2at6native12_GLOBAL__N_18offset_tEEE10hipError_tPvRmT1_PNSt15iterator_traitsISK_E10value_typeET2_T3_PNSL_ISQ_E10value_typeET4_jRbjT5_SW_jjP12ihipStream_tbEUlT_E2_NS1_11comp_targetILNS1_3genE3ELNS1_11target_archE908ELNS1_3gpuE7ELNS1_3repE0EEENS1_30default_config_static_selectorELNS0_4arch9wavefront6targetE0EEEvSK_.uses_flat_scratch, 0
	.set _ZN7rocprim17ROCPRIM_400000_NS6detail17trampoline_kernelINS0_14default_configENS1_36segmented_radix_sort_config_selectorIflEEZNS1_25segmented_radix_sort_implIS3_Lb0EPKfPfPKlPlN2at6native12_GLOBAL__N_18offset_tEEE10hipError_tPvRmT1_PNSt15iterator_traitsISK_E10value_typeET2_T3_PNSL_ISQ_E10value_typeET4_jRbjT5_SW_jjP12ihipStream_tbEUlT_E2_NS1_11comp_targetILNS1_3genE3ELNS1_11target_archE908ELNS1_3gpuE7ELNS1_3repE0EEENS1_30default_config_static_selectorELNS0_4arch9wavefront6targetE0EEEvSK_.has_dyn_sized_stack, 0
	.set _ZN7rocprim17ROCPRIM_400000_NS6detail17trampoline_kernelINS0_14default_configENS1_36segmented_radix_sort_config_selectorIflEEZNS1_25segmented_radix_sort_implIS3_Lb0EPKfPfPKlPlN2at6native12_GLOBAL__N_18offset_tEEE10hipError_tPvRmT1_PNSt15iterator_traitsISK_E10value_typeET2_T3_PNSL_ISQ_E10value_typeET4_jRbjT5_SW_jjP12ihipStream_tbEUlT_E2_NS1_11comp_targetILNS1_3genE3ELNS1_11target_archE908ELNS1_3gpuE7ELNS1_3repE0EEENS1_30default_config_static_selectorELNS0_4arch9wavefront6targetE0EEEvSK_.has_recursion, 0
	.set _ZN7rocprim17ROCPRIM_400000_NS6detail17trampoline_kernelINS0_14default_configENS1_36segmented_radix_sort_config_selectorIflEEZNS1_25segmented_radix_sort_implIS3_Lb0EPKfPfPKlPlN2at6native12_GLOBAL__N_18offset_tEEE10hipError_tPvRmT1_PNSt15iterator_traitsISK_E10value_typeET2_T3_PNSL_ISQ_E10value_typeET4_jRbjT5_SW_jjP12ihipStream_tbEUlT_E2_NS1_11comp_targetILNS1_3genE3ELNS1_11target_archE908ELNS1_3gpuE7ELNS1_3repE0EEENS1_30default_config_static_selectorELNS0_4arch9wavefront6targetE0EEEvSK_.has_indirect_call, 0
	.section	.AMDGPU.csdata,"",@progbits
; Kernel info:
; codeLenInByte = 0
; TotalNumSgprs: 0
; NumVgprs: 0
; ScratchSize: 0
; MemoryBound: 0
; FloatMode: 240
; IeeeMode: 1
; LDSByteSize: 0 bytes/workgroup (compile time only)
; SGPRBlocks: 0
; VGPRBlocks: 0
; NumSGPRsForWavesPerEU: 1
; NumVGPRsForWavesPerEU: 1
; Occupancy: 16
; WaveLimiterHint : 0
; COMPUTE_PGM_RSRC2:SCRATCH_EN: 0
; COMPUTE_PGM_RSRC2:USER_SGPR: 6
; COMPUTE_PGM_RSRC2:TRAP_HANDLER: 0
; COMPUTE_PGM_RSRC2:TGID_X_EN: 1
; COMPUTE_PGM_RSRC2:TGID_Y_EN: 0
; COMPUTE_PGM_RSRC2:TGID_Z_EN: 0
; COMPUTE_PGM_RSRC2:TIDIG_COMP_CNT: 0
	.section	.text._ZN7rocprim17ROCPRIM_400000_NS6detail17trampoline_kernelINS0_14default_configENS1_36segmented_radix_sort_config_selectorIflEEZNS1_25segmented_radix_sort_implIS3_Lb0EPKfPfPKlPlN2at6native12_GLOBAL__N_18offset_tEEE10hipError_tPvRmT1_PNSt15iterator_traitsISK_E10value_typeET2_T3_PNSL_ISQ_E10value_typeET4_jRbjT5_SW_jjP12ihipStream_tbEUlT_E2_NS1_11comp_targetILNS1_3genE2ELNS1_11target_archE906ELNS1_3gpuE6ELNS1_3repE0EEENS1_30default_config_static_selectorELNS0_4arch9wavefront6targetE0EEEvSK_,"axG",@progbits,_ZN7rocprim17ROCPRIM_400000_NS6detail17trampoline_kernelINS0_14default_configENS1_36segmented_radix_sort_config_selectorIflEEZNS1_25segmented_radix_sort_implIS3_Lb0EPKfPfPKlPlN2at6native12_GLOBAL__N_18offset_tEEE10hipError_tPvRmT1_PNSt15iterator_traitsISK_E10value_typeET2_T3_PNSL_ISQ_E10value_typeET4_jRbjT5_SW_jjP12ihipStream_tbEUlT_E2_NS1_11comp_targetILNS1_3genE2ELNS1_11target_archE906ELNS1_3gpuE6ELNS1_3repE0EEENS1_30default_config_static_selectorELNS0_4arch9wavefront6targetE0EEEvSK_,comdat
	.globl	_ZN7rocprim17ROCPRIM_400000_NS6detail17trampoline_kernelINS0_14default_configENS1_36segmented_radix_sort_config_selectorIflEEZNS1_25segmented_radix_sort_implIS3_Lb0EPKfPfPKlPlN2at6native12_GLOBAL__N_18offset_tEEE10hipError_tPvRmT1_PNSt15iterator_traitsISK_E10value_typeET2_T3_PNSL_ISQ_E10value_typeET4_jRbjT5_SW_jjP12ihipStream_tbEUlT_E2_NS1_11comp_targetILNS1_3genE2ELNS1_11target_archE906ELNS1_3gpuE6ELNS1_3repE0EEENS1_30default_config_static_selectorELNS0_4arch9wavefront6targetE0EEEvSK_ ; -- Begin function _ZN7rocprim17ROCPRIM_400000_NS6detail17trampoline_kernelINS0_14default_configENS1_36segmented_radix_sort_config_selectorIflEEZNS1_25segmented_radix_sort_implIS3_Lb0EPKfPfPKlPlN2at6native12_GLOBAL__N_18offset_tEEE10hipError_tPvRmT1_PNSt15iterator_traitsISK_E10value_typeET2_T3_PNSL_ISQ_E10value_typeET4_jRbjT5_SW_jjP12ihipStream_tbEUlT_E2_NS1_11comp_targetILNS1_3genE2ELNS1_11target_archE906ELNS1_3gpuE6ELNS1_3repE0EEENS1_30default_config_static_selectorELNS0_4arch9wavefront6targetE0EEEvSK_
	.p2align	8
	.type	_ZN7rocprim17ROCPRIM_400000_NS6detail17trampoline_kernelINS0_14default_configENS1_36segmented_radix_sort_config_selectorIflEEZNS1_25segmented_radix_sort_implIS3_Lb0EPKfPfPKlPlN2at6native12_GLOBAL__N_18offset_tEEE10hipError_tPvRmT1_PNSt15iterator_traitsISK_E10value_typeET2_T3_PNSL_ISQ_E10value_typeET4_jRbjT5_SW_jjP12ihipStream_tbEUlT_E2_NS1_11comp_targetILNS1_3genE2ELNS1_11target_archE906ELNS1_3gpuE6ELNS1_3repE0EEENS1_30default_config_static_selectorELNS0_4arch9wavefront6targetE0EEEvSK_,@function
_ZN7rocprim17ROCPRIM_400000_NS6detail17trampoline_kernelINS0_14default_configENS1_36segmented_radix_sort_config_selectorIflEEZNS1_25segmented_radix_sort_implIS3_Lb0EPKfPfPKlPlN2at6native12_GLOBAL__N_18offset_tEEE10hipError_tPvRmT1_PNSt15iterator_traitsISK_E10value_typeET2_T3_PNSL_ISQ_E10value_typeET4_jRbjT5_SW_jjP12ihipStream_tbEUlT_E2_NS1_11comp_targetILNS1_3genE2ELNS1_11target_archE906ELNS1_3gpuE6ELNS1_3repE0EEENS1_30default_config_static_selectorELNS0_4arch9wavefront6targetE0EEEvSK_: ; @_ZN7rocprim17ROCPRIM_400000_NS6detail17trampoline_kernelINS0_14default_configENS1_36segmented_radix_sort_config_selectorIflEEZNS1_25segmented_radix_sort_implIS3_Lb0EPKfPfPKlPlN2at6native12_GLOBAL__N_18offset_tEEE10hipError_tPvRmT1_PNSt15iterator_traitsISK_E10value_typeET2_T3_PNSL_ISQ_E10value_typeET4_jRbjT5_SW_jjP12ihipStream_tbEUlT_E2_NS1_11comp_targetILNS1_3genE2ELNS1_11target_archE906ELNS1_3gpuE6ELNS1_3repE0EEENS1_30default_config_static_selectorELNS0_4arch9wavefront6targetE0EEEvSK_
; %bb.0:
	.section	.rodata,"a",@progbits
	.p2align	6, 0x0
	.amdhsa_kernel _ZN7rocprim17ROCPRIM_400000_NS6detail17trampoline_kernelINS0_14default_configENS1_36segmented_radix_sort_config_selectorIflEEZNS1_25segmented_radix_sort_implIS3_Lb0EPKfPfPKlPlN2at6native12_GLOBAL__N_18offset_tEEE10hipError_tPvRmT1_PNSt15iterator_traitsISK_E10value_typeET2_T3_PNSL_ISQ_E10value_typeET4_jRbjT5_SW_jjP12ihipStream_tbEUlT_E2_NS1_11comp_targetILNS1_3genE2ELNS1_11target_archE906ELNS1_3gpuE6ELNS1_3repE0EEENS1_30default_config_static_selectorELNS0_4arch9wavefront6targetE0EEEvSK_
		.amdhsa_group_segment_fixed_size 0
		.amdhsa_private_segment_fixed_size 0
		.amdhsa_kernarg_size 80
		.amdhsa_user_sgpr_count 6
		.amdhsa_user_sgpr_private_segment_buffer 1
		.amdhsa_user_sgpr_dispatch_ptr 0
		.amdhsa_user_sgpr_queue_ptr 0
		.amdhsa_user_sgpr_kernarg_segment_ptr 1
		.amdhsa_user_sgpr_dispatch_id 0
		.amdhsa_user_sgpr_flat_scratch_init 0
		.amdhsa_user_sgpr_private_segment_size 0
		.amdhsa_wavefront_size32 1
		.amdhsa_uses_dynamic_stack 0
		.amdhsa_system_sgpr_private_segment_wavefront_offset 0
		.amdhsa_system_sgpr_workgroup_id_x 1
		.amdhsa_system_sgpr_workgroup_id_y 0
		.amdhsa_system_sgpr_workgroup_id_z 0
		.amdhsa_system_sgpr_workgroup_info 0
		.amdhsa_system_vgpr_workitem_id 0
		.amdhsa_next_free_vgpr 1
		.amdhsa_next_free_sgpr 1
		.amdhsa_reserve_vcc 0
		.amdhsa_reserve_flat_scratch 0
		.amdhsa_float_round_mode_32 0
		.amdhsa_float_round_mode_16_64 0
		.amdhsa_float_denorm_mode_32 3
		.amdhsa_float_denorm_mode_16_64 3
		.amdhsa_dx10_clamp 1
		.amdhsa_ieee_mode 1
		.amdhsa_fp16_overflow 0
		.amdhsa_workgroup_processor_mode 1
		.amdhsa_memory_ordered 1
		.amdhsa_forward_progress 1
		.amdhsa_shared_vgpr_count 0
		.amdhsa_exception_fp_ieee_invalid_op 0
		.amdhsa_exception_fp_denorm_src 0
		.amdhsa_exception_fp_ieee_div_zero 0
		.amdhsa_exception_fp_ieee_overflow 0
		.amdhsa_exception_fp_ieee_underflow 0
		.amdhsa_exception_fp_ieee_inexact 0
		.amdhsa_exception_int_div_zero 0
	.end_amdhsa_kernel
	.section	.text._ZN7rocprim17ROCPRIM_400000_NS6detail17trampoline_kernelINS0_14default_configENS1_36segmented_radix_sort_config_selectorIflEEZNS1_25segmented_radix_sort_implIS3_Lb0EPKfPfPKlPlN2at6native12_GLOBAL__N_18offset_tEEE10hipError_tPvRmT1_PNSt15iterator_traitsISK_E10value_typeET2_T3_PNSL_ISQ_E10value_typeET4_jRbjT5_SW_jjP12ihipStream_tbEUlT_E2_NS1_11comp_targetILNS1_3genE2ELNS1_11target_archE906ELNS1_3gpuE6ELNS1_3repE0EEENS1_30default_config_static_selectorELNS0_4arch9wavefront6targetE0EEEvSK_,"axG",@progbits,_ZN7rocprim17ROCPRIM_400000_NS6detail17trampoline_kernelINS0_14default_configENS1_36segmented_radix_sort_config_selectorIflEEZNS1_25segmented_radix_sort_implIS3_Lb0EPKfPfPKlPlN2at6native12_GLOBAL__N_18offset_tEEE10hipError_tPvRmT1_PNSt15iterator_traitsISK_E10value_typeET2_T3_PNSL_ISQ_E10value_typeET4_jRbjT5_SW_jjP12ihipStream_tbEUlT_E2_NS1_11comp_targetILNS1_3genE2ELNS1_11target_archE906ELNS1_3gpuE6ELNS1_3repE0EEENS1_30default_config_static_selectorELNS0_4arch9wavefront6targetE0EEEvSK_,comdat
.Lfunc_end1454:
	.size	_ZN7rocprim17ROCPRIM_400000_NS6detail17trampoline_kernelINS0_14default_configENS1_36segmented_radix_sort_config_selectorIflEEZNS1_25segmented_radix_sort_implIS3_Lb0EPKfPfPKlPlN2at6native12_GLOBAL__N_18offset_tEEE10hipError_tPvRmT1_PNSt15iterator_traitsISK_E10value_typeET2_T3_PNSL_ISQ_E10value_typeET4_jRbjT5_SW_jjP12ihipStream_tbEUlT_E2_NS1_11comp_targetILNS1_3genE2ELNS1_11target_archE906ELNS1_3gpuE6ELNS1_3repE0EEENS1_30default_config_static_selectorELNS0_4arch9wavefront6targetE0EEEvSK_, .Lfunc_end1454-_ZN7rocprim17ROCPRIM_400000_NS6detail17trampoline_kernelINS0_14default_configENS1_36segmented_radix_sort_config_selectorIflEEZNS1_25segmented_radix_sort_implIS3_Lb0EPKfPfPKlPlN2at6native12_GLOBAL__N_18offset_tEEE10hipError_tPvRmT1_PNSt15iterator_traitsISK_E10value_typeET2_T3_PNSL_ISQ_E10value_typeET4_jRbjT5_SW_jjP12ihipStream_tbEUlT_E2_NS1_11comp_targetILNS1_3genE2ELNS1_11target_archE906ELNS1_3gpuE6ELNS1_3repE0EEENS1_30default_config_static_selectorELNS0_4arch9wavefront6targetE0EEEvSK_
                                        ; -- End function
	.set _ZN7rocprim17ROCPRIM_400000_NS6detail17trampoline_kernelINS0_14default_configENS1_36segmented_radix_sort_config_selectorIflEEZNS1_25segmented_radix_sort_implIS3_Lb0EPKfPfPKlPlN2at6native12_GLOBAL__N_18offset_tEEE10hipError_tPvRmT1_PNSt15iterator_traitsISK_E10value_typeET2_T3_PNSL_ISQ_E10value_typeET4_jRbjT5_SW_jjP12ihipStream_tbEUlT_E2_NS1_11comp_targetILNS1_3genE2ELNS1_11target_archE906ELNS1_3gpuE6ELNS1_3repE0EEENS1_30default_config_static_selectorELNS0_4arch9wavefront6targetE0EEEvSK_.num_vgpr, 0
	.set _ZN7rocprim17ROCPRIM_400000_NS6detail17trampoline_kernelINS0_14default_configENS1_36segmented_radix_sort_config_selectorIflEEZNS1_25segmented_radix_sort_implIS3_Lb0EPKfPfPKlPlN2at6native12_GLOBAL__N_18offset_tEEE10hipError_tPvRmT1_PNSt15iterator_traitsISK_E10value_typeET2_T3_PNSL_ISQ_E10value_typeET4_jRbjT5_SW_jjP12ihipStream_tbEUlT_E2_NS1_11comp_targetILNS1_3genE2ELNS1_11target_archE906ELNS1_3gpuE6ELNS1_3repE0EEENS1_30default_config_static_selectorELNS0_4arch9wavefront6targetE0EEEvSK_.num_agpr, 0
	.set _ZN7rocprim17ROCPRIM_400000_NS6detail17trampoline_kernelINS0_14default_configENS1_36segmented_radix_sort_config_selectorIflEEZNS1_25segmented_radix_sort_implIS3_Lb0EPKfPfPKlPlN2at6native12_GLOBAL__N_18offset_tEEE10hipError_tPvRmT1_PNSt15iterator_traitsISK_E10value_typeET2_T3_PNSL_ISQ_E10value_typeET4_jRbjT5_SW_jjP12ihipStream_tbEUlT_E2_NS1_11comp_targetILNS1_3genE2ELNS1_11target_archE906ELNS1_3gpuE6ELNS1_3repE0EEENS1_30default_config_static_selectorELNS0_4arch9wavefront6targetE0EEEvSK_.numbered_sgpr, 0
	.set _ZN7rocprim17ROCPRIM_400000_NS6detail17trampoline_kernelINS0_14default_configENS1_36segmented_radix_sort_config_selectorIflEEZNS1_25segmented_radix_sort_implIS3_Lb0EPKfPfPKlPlN2at6native12_GLOBAL__N_18offset_tEEE10hipError_tPvRmT1_PNSt15iterator_traitsISK_E10value_typeET2_T3_PNSL_ISQ_E10value_typeET4_jRbjT5_SW_jjP12ihipStream_tbEUlT_E2_NS1_11comp_targetILNS1_3genE2ELNS1_11target_archE906ELNS1_3gpuE6ELNS1_3repE0EEENS1_30default_config_static_selectorELNS0_4arch9wavefront6targetE0EEEvSK_.num_named_barrier, 0
	.set _ZN7rocprim17ROCPRIM_400000_NS6detail17trampoline_kernelINS0_14default_configENS1_36segmented_radix_sort_config_selectorIflEEZNS1_25segmented_radix_sort_implIS3_Lb0EPKfPfPKlPlN2at6native12_GLOBAL__N_18offset_tEEE10hipError_tPvRmT1_PNSt15iterator_traitsISK_E10value_typeET2_T3_PNSL_ISQ_E10value_typeET4_jRbjT5_SW_jjP12ihipStream_tbEUlT_E2_NS1_11comp_targetILNS1_3genE2ELNS1_11target_archE906ELNS1_3gpuE6ELNS1_3repE0EEENS1_30default_config_static_selectorELNS0_4arch9wavefront6targetE0EEEvSK_.private_seg_size, 0
	.set _ZN7rocprim17ROCPRIM_400000_NS6detail17trampoline_kernelINS0_14default_configENS1_36segmented_radix_sort_config_selectorIflEEZNS1_25segmented_radix_sort_implIS3_Lb0EPKfPfPKlPlN2at6native12_GLOBAL__N_18offset_tEEE10hipError_tPvRmT1_PNSt15iterator_traitsISK_E10value_typeET2_T3_PNSL_ISQ_E10value_typeET4_jRbjT5_SW_jjP12ihipStream_tbEUlT_E2_NS1_11comp_targetILNS1_3genE2ELNS1_11target_archE906ELNS1_3gpuE6ELNS1_3repE0EEENS1_30default_config_static_selectorELNS0_4arch9wavefront6targetE0EEEvSK_.uses_vcc, 0
	.set _ZN7rocprim17ROCPRIM_400000_NS6detail17trampoline_kernelINS0_14default_configENS1_36segmented_radix_sort_config_selectorIflEEZNS1_25segmented_radix_sort_implIS3_Lb0EPKfPfPKlPlN2at6native12_GLOBAL__N_18offset_tEEE10hipError_tPvRmT1_PNSt15iterator_traitsISK_E10value_typeET2_T3_PNSL_ISQ_E10value_typeET4_jRbjT5_SW_jjP12ihipStream_tbEUlT_E2_NS1_11comp_targetILNS1_3genE2ELNS1_11target_archE906ELNS1_3gpuE6ELNS1_3repE0EEENS1_30default_config_static_selectorELNS0_4arch9wavefront6targetE0EEEvSK_.uses_flat_scratch, 0
	.set _ZN7rocprim17ROCPRIM_400000_NS6detail17trampoline_kernelINS0_14default_configENS1_36segmented_radix_sort_config_selectorIflEEZNS1_25segmented_radix_sort_implIS3_Lb0EPKfPfPKlPlN2at6native12_GLOBAL__N_18offset_tEEE10hipError_tPvRmT1_PNSt15iterator_traitsISK_E10value_typeET2_T3_PNSL_ISQ_E10value_typeET4_jRbjT5_SW_jjP12ihipStream_tbEUlT_E2_NS1_11comp_targetILNS1_3genE2ELNS1_11target_archE906ELNS1_3gpuE6ELNS1_3repE0EEENS1_30default_config_static_selectorELNS0_4arch9wavefront6targetE0EEEvSK_.has_dyn_sized_stack, 0
	.set _ZN7rocprim17ROCPRIM_400000_NS6detail17trampoline_kernelINS0_14default_configENS1_36segmented_radix_sort_config_selectorIflEEZNS1_25segmented_radix_sort_implIS3_Lb0EPKfPfPKlPlN2at6native12_GLOBAL__N_18offset_tEEE10hipError_tPvRmT1_PNSt15iterator_traitsISK_E10value_typeET2_T3_PNSL_ISQ_E10value_typeET4_jRbjT5_SW_jjP12ihipStream_tbEUlT_E2_NS1_11comp_targetILNS1_3genE2ELNS1_11target_archE906ELNS1_3gpuE6ELNS1_3repE0EEENS1_30default_config_static_selectorELNS0_4arch9wavefront6targetE0EEEvSK_.has_recursion, 0
	.set _ZN7rocprim17ROCPRIM_400000_NS6detail17trampoline_kernelINS0_14default_configENS1_36segmented_radix_sort_config_selectorIflEEZNS1_25segmented_radix_sort_implIS3_Lb0EPKfPfPKlPlN2at6native12_GLOBAL__N_18offset_tEEE10hipError_tPvRmT1_PNSt15iterator_traitsISK_E10value_typeET2_T3_PNSL_ISQ_E10value_typeET4_jRbjT5_SW_jjP12ihipStream_tbEUlT_E2_NS1_11comp_targetILNS1_3genE2ELNS1_11target_archE906ELNS1_3gpuE6ELNS1_3repE0EEENS1_30default_config_static_selectorELNS0_4arch9wavefront6targetE0EEEvSK_.has_indirect_call, 0
	.section	.AMDGPU.csdata,"",@progbits
; Kernel info:
; codeLenInByte = 0
; TotalNumSgprs: 0
; NumVgprs: 0
; ScratchSize: 0
; MemoryBound: 0
; FloatMode: 240
; IeeeMode: 1
; LDSByteSize: 0 bytes/workgroup (compile time only)
; SGPRBlocks: 0
; VGPRBlocks: 0
; NumSGPRsForWavesPerEU: 1
; NumVGPRsForWavesPerEU: 1
; Occupancy: 16
; WaveLimiterHint : 0
; COMPUTE_PGM_RSRC2:SCRATCH_EN: 0
; COMPUTE_PGM_RSRC2:USER_SGPR: 6
; COMPUTE_PGM_RSRC2:TRAP_HANDLER: 0
; COMPUTE_PGM_RSRC2:TGID_X_EN: 1
; COMPUTE_PGM_RSRC2:TGID_Y_EN: 0
; COMPUTE_PGM_RSRC2:TGID_Z_EN: 0
; COMPUTE_PGM_RSRC2:TIDIG_COMP_CNT: 0
	.section	.text._ZN7rocprim17ROCPRIM_400000_NS6detail17trampoline_kernelINS0_14default_configENS1_36segmented_radix_sort_config_selectorIflEEZNS1_25segmented_radix_sort_implIS3_Lb0EPKfPfPKlPlN2at6native12_GLOBAL__N_18offset_tEEE10hipError_tPvRmT1_PNSt15iterator_traitsISK_E10value_typeET2_T3_PNSL_ISQ_E10value_typeET4_jRbjT5_SW_jjP12ihipStream_tbEUlT_E2_NS1_11comp_targetILNS1_3genE10ELNS1_11target_archE1201ELNS1_3gpuE5ELNS1_3repE0EEENS1_30default_config_static_selectorELNS0_4arch9wavefront6targetE0EEEvSK_,"axG",@progbits,_ZN7rocprim17ROCPRIM_400000_NS6detail17trampoline_kernelINS0_14default_configENS1_36segmented_radix_sort_config_selectorIflEEZNS1_25segmented_radix_sort_implIS3_Lb0EPKfPfPKlPlN2at6native12_GLOBAL__N_18offset_tEEE10hipError_tPvRmT1_PNSt15iterator_traitsISK_E10value_typeET2_T3_PNSL_ISQ_E10value_typeET4_jRbjT5_SW_jjP12ihipStream_tbEUlT_E2_NS1_11comp_targetILNS1_3genE10ELNS1_11target_archE1201ELNS1_3gpuE5ELNS1_3repE0EEENS1_30default_config_static_selectorELNS0_4arch9wavefront6targetE0EEEvSK_,comdat
	.globl	_ZN7rocprim17ROCPRIM_400000_NS6detail17trampoline_kernelINS0_14default_configENS1_36segmented_radix_sort_config_selectorIflEEZNS1_25segmented_radix_sort_implIS3_Lb0EPKfPfPKlPlN2at6native12_GLOBAL__N_18offset_tEEE10hipError_tPvRmT1_PNSt15iterator_traitsISK_E10value_typeET2_T3_PNSL_ISQ_E10value_typeET4_jRbjT5_SW_jjP12ihipStream_tbEUlT_E2_NS1_11comp_targetILNS1_3genE10ELNS1_11target_archE1201ELNS1_3gpuE5ELNS1_3repE0EEENS1_30default_config_static_selectorELNS0_4arch9wavefront6targetE0EEEvSK_ ; -- Begin function _ZN7rocprim17ROCPRIM_400000_NS6detail17trampoline_kernelINS0_14default_configENS1_36segmented_radix_sort_config_selectorIflEEZNS1_25segmented_radix_sort_implIS3_Lb0EPKfPfPKlPlN2at6native12_GLOBAL__N_18offset_tEEE10hipError_tPvRmT1_PNSt15iterator_traitsISK_E10value_typeET2_T3_PNSL_ISQ_E10value_typeET4_jRbjT5_SW_jjP12ihipStream_tbEUlT_E2_NS1_11comp_targetILNS1_3genE10ELNS1_11target_archE1201ELNS1_3gpuE5ELNS1_3repE0EEENS1_30default_config_static_selectorELNS0_4arch9wavefront6targetE0EEEvSK_
	.p2align	8
	.type	_ZN7rocprim17ROCPRIM_400000_NS6detail17trampoline_kernelINS0_14default_configENS1_36segmented_radix_sort_config_selectorIflEEZNS1_25segmented_radix_sort_implIS3_Lb0EPKfPfPKlPlN2at6native12_GLOBAL__N_18offset_tEEE10hipError_tPvRmT1_PNSt15iterator_traitsISK_E10value_typeET2_T3_PNSL_ISQ_E10value_typeET4_jRbjT5_SW_jjP12ihipStream_tbEUlT_E2_NS1_11comp_targetILNS1_3genE10ELNS1_11target_archE1201ELNS1_3gpuE5ELNS1_3repE0EEENS1_30default_config_static_selectorELNS0_4arch9wavefront6targetE0EEEvSK_,@function
_ZN7rocprim17ROCPRIM_400000_NS6detail17trampoline_kernelINS0_14default_configENS1_36segmented_radix_sort_config_selectorIflEEZNS1_25segmented_radix_sort_implIS3_Lb0EPKfPfPKlPlN2at6native12_GLOBAL__N_18offset_tEEE10hipError_tPvRmT1_PNSt15iterator_traitsISK_E10value_typeET2_T3_PNSL_ISQ_E10value_typeET4_jRbjT5_SW_jjP12ihipStream_tbEUlT_E2_NS1_11comp_targetILNS1_3genE10ELNS1_11target_archE1201ELNS1_3gpuE5ELNS1_3repE0EEENS1_30default_config_static_selectorELNS0_4arch9wavefront6targetE0EEEvSK_: ; @_ZN7rocprim17ROCPRIM_400000_NS6detail17trampoline_kernelINS0_14default_configENS1_36segmented_radix_sort_config_selectorIflEEZNS1_25segmented_radix_sort_implIS3_Lb0EPKfPfPKlPlN2at6native12_GLOBAL__N_18offset_tEEE10hipError_tPvRmT1_PNSt15iterator_traitsISK_E10value_typeET2_T3_PNSL_ISQ_E10value_typeET4_jRbjT5_SW_jjP12ihipStream_tbEUlT_E2_NS1_11comp_targetILNS1_3genE10ELNS1_11target_archE1201ELNS1_3gpuE5ELNS1_3repE0EEENS1_30default_config_static_selectorELNS0_4arch9wavefront6targetE0EEEvSK_
; %bb.0:
	.section	.rodata,"a",@progbits
	.p2align	6, 0x0
	.amdhsa_kernel _ZN7rocprim17ROCPRIM_400000_NS6detail17trampoline_kernelINS0_14default_configENS1_36segmented_radix_sort_config_selectorIflEEZNS1_25segmented_radix_sort_implIS3_Lb0EPKfPfPKlPlN2at6native12_GLOBAL__N_18offset_tEEE10hipError_tPvRmT1_PNSt15iterator_traitsISK_E10value_typeET2_T3_PNSL_ISQ_E10value_typeET4_jRbjT5_SW_jjP12ihipStream_tbEUlT_E2_NS1_11comp_targetILNS1_3genE10ELNS1_11target_archE1201ELNS1_3gpuE5ELNS1_3repE0EEENS1_30default_config_static_selectorELNS0_4arch9wavefront6targetE0EEEvSK_
		.amdhsa_group_segment_fixed_size 0
		.amdhsa_private_segment_fixed_size 0
		.amdhsa_kernarg_size 80
		.amdhsa_user_sgpr_count 6
		.amdhsa_user_sgpr_private_segment_buffer 1
		.amdhsa_user_sgpr_dispatch_ptr 0
		.amdhsa_user_sgpr_queue_ptr 0
		.amdhsa_user_sgpr_kernarg_segment_ptr 1
		.amdhsa_user_sgpr_dispatch_id 0
		.amdhsa_user_sgpr_flat_scratch_init 0
		.amdhsa_user_sgpr_private_segment_size 0
		.amdhsa_wavefront_size32 1
		.amdhsa_uses_dynamic_stack 0
		.amdhsa_system_sgpr_private_segment_wavefront_offset 0
		.amdhsa_system_sgpr_workgroup_id_x 1
		.amdhsa_system_sgpr_workgroup_id_y 0
		.amdhsa_system_sgpr_workgroup_id_z 0
		.amdhsa_system_sgpr_workgroup_info 0
		.amdhsa_system_vgpr_workitem_id 0
		.amdhsa_next_free_vgpr 1
		.amdhsa_next_free_sgpr 1
		.amdhsa_reserve_vcc 0
		.amdhsa_reserve_flat_scratch 0
		.amdhsa_float_round_mode_32 0
		.amdhsa_float_round_mode_16_64 0
		.amdhsa_float_denorm_mode_32 3
		.amdhsa_float_denorm_mode_16_64 3
		.amdhsa_dx10_clamp 1
		.amdhsa_ieee_mode 1
		.amdhsa_fp16_overflow 0
		.amdhsa_workgroup_processor_mode 1
		.amdhsa_memory_ordered 1
		.amdhsa_forward_progress 1
		.amdhsa_shared_vgpr_count 0
		.amdhsa_exception_fp_ieee_invalid_op 0
		.amdhsa_exception_fp_denorm_src 0
		.amdhsa_exception_fp_ieee_div_zero 0
		.amdhsa_exception_fp_ieee_overflow 0
		.amdhsa_exception_fp_ieee_underflow 0
		.amdhsa_exception_fp_ieee_inexact 0
		.amdhsa_exception_int_div_zero 0
	.end_amdhsa_kernel
	.section	.text._ZN7rocprim17ROCPRIM_400000_NS6detail17trampoline_kernelINS0_14default_configENS1_36segmented_radix_sort_config_selectorIflEEZNS1_25segmented_radix_sort_implIS3_Lb0EPKfPfPKlPlN2at6native12_GLOBAL__N_18offset_tEEE10hipError_tPvRmT1_PNSt15iterator_traitsISK_E10value_typeET2_T3_PNSL_ISQ_E10value_typeET4_jRbjT5_SW_jjP12ihipStream_tbEUlT_E2_NS1_11comp_targetILNS1_3genE10ELNS1_11target_archE1201ELNS1_3gpuE5ELNS1_3repE0EEENS1_30default_config_static_selectorELNS0_4arch9wavefront6targetE0EEEvSK_,"axG",@progbits,_ZN7rocprim17ROCPRIM_400000_NS6detail17trampoline_kernelINS0_14default_configENS1_36segmented_radix_sort_config_selectorIflEEZNS1_25segmented_radix_sort_implIS3_Lb0EPKfPfPKlPlN2at6native12_GLOBAL__N_18offset_tEEE10hipError_tPvRmT1_PNSt15iterator_traitsISK_E10value_typeET2_T3_PNSL_ISQ_E10value_typeET4_jRbjT5_SW_jjP12ihipStream_tbEUlT_E2_NS1_11comp_targetILNS1_3genE10ELNS1_11target_archE1201ELNS1_3gpuE5ELNS1_3repE0EEENS1_30default_config_static_selectorELNS0_4arch9wavefront6targetE0EEEvSK_,comdat
.Lfunc_end1455:
	.size	_ZN7rocprim17ROCPRIM_400000_NS6detail17trampoline_kernelINS0_14default_configENS1_36segmented_radix_sort_config_selectorIflEEZNS1_25segmented_radix_sort_implIS3_Lb0EPKfPfPKlPlN2at6native12_GLOBAL__N_18offset_tEEE10hipError_tPvRmT1_PNSt15iterator_traitsISK_E10value_typeET2_T3_PNSL_ISQ_E10value_typeET4_jRbjT5_SW_jjP12ihipStream_tbEUlT_E2_NS1_11comp_targetILNS1_3genE10ELNS1_11target_archE1201ELNS1_3gpuE5ELNS1_3repE0EEENS1_30default_config_static_selectorELNS0_4arch9wavefront6targetE0EEEvSK_, .Lfunc_end1455-_ZN7rocprim17ROCPRIM_400000_NS6detail17trampoline_kernelINS0_14default_configENS1_36segmented_radix_sort_config_selectorIflEEZNS1_25segmented_radix_sort_implIS3_Lb0EPKfPfPKlPlN2at6native12_GLOBAL__N_18offset_tEEE10hipError_tPvRmT1_PNSt15iterator_traitsISK_E10value_typeET2_T3_PNSL_ISQ_E10value_typeET4_jRbjT5_SW_jjP12ihipStream_tbEUlT_E2_NS1_11comp_targetILNS1_3genE10ELNS1_11target_archE1201ELNS1_3gpuE5ELNS1_3repE0EEENS1_30default_config_static_selectorELNS0_4arch9wavefront6targetE0EEEvSK_
                                        ; -- End function
	.set _ZN7rocprim17ROCPRIM_400000_NS6detail17trampoline_kernelINS0_14default_configENS1_36segmented_radix_sort_config_selectorIflEEZNS1_25segmented_radix_sort_implIS3_Lb0EPKfPfPKlPlN2at6native12_GLOBAL__N_18offset_tEEE10hipError_tPvRmT1_PNSt15iterator_traitsISK_E10value_typeET2_T3_PNSL_ISQ_E10value_typeET4_jRbjT5_SW_jjP12ihipStream_tbEUlT_E2_NS1_11comp_targetILNS1_3genE10ELNS1_11target_archE1201ELNS1_3gpuE5ELNS1_3repE0EEENS1_30default_config_static_selectorELNS0_4arch9wavefront6targetE0EEEvSK_.num_vgpr, 0
	.set _ZN7rocprim17ROCPRIM_400000_NS6detail17trampoline_kernelINS0_14default_configENS1_36segmented_radix_sort_config_selectorIflEEZNS1_25segmented_radix_sort_implIS3_Lb0EPKfPfPKlPlN2at6native12_GLOBAL__N_18offset_tEEE10hipError_tPvRmT1_PNSt15iterator_traitsISK_E10value_typeET2_T3_PNSL_ISQ_E10value_typeET4_jRbjT5_SW_jjP12ihipStream_tbEUlT_E2_NS1_11comp_targetILNS1_3genE10ELNS1_11target_archE1201ELNS1_3gpuE5ELNS1_3repE0EEENS1_30default_config_static_selectorELNS0_4arch9wavefront6targetE0EEEvSK_.num_agpr, 0
	.set _ZN7rocprim17ROCPRIM_400000_NS6detail17trampoline_kernelINS0_14default_configENS1_36segmented_radix_sort_config_selectorIflEEZNS1_25segmented_radix_sort_implIS3_Lb0EPKfPfPKlPlN2at6native12_GLOBAL__N_18offset_tEEE10hipError_tPvRmT1_PNSt15iterator_traitsISK_E10value_typeET2_T3_PNSL_ISQ_E10value_typeET4_jRbjT5_SW_jjP12ihipStream_tbEUlT_E2_NS1_11comp_targetILNS1_3genE10ELNS1_11target_archE1201ELNS1_3gpuE5ELNS1_3repE0EEENS1_30default_config_static_selectorELNS0_4arch9wavefront6targetE0EEEvSK_.numbered_sgpr, 0
	.set _ZN7rocprim17ROCPRIM_400000_NS6detail17trampoline_kernelINS0_14default_configENS1_36segmented_radix_sort_config_selectorIflEEZNS1_25segmented_radix_sort_implIS3_Lb0EPKfPfPKlPlN2at6native12_GLOBAL__N_18offset_tEEE10hipError_tPvRmT1_PNSt15iterator_traitsISK_E10value_typeET2_T3_PNSL_ISQ_E10value_typeET4_jRbjT5_SW_jjP12ihipStream_tbEUlT_E2_NS1_11comp_targetILNS1_3genE10ELNS1_11target_archE1201ELNS1_3gpuE5ELNS1_3repE0EEENS1_30default_config_static_selectorELNS0_4arch9wavefront6targetE0EEEvSK_.num_named_barrier, 0
	.set _ZN7rocprim17ROCPRIM_400000_NS6detail17trampoline_kernelINS0_14default_configENS1_36segmented_radix_sort_config_selectorIflEEZNS1_25segmented_radix_sort_implIS3_Lb0EPKfPfPKlPlN2at6native12_GLOBAL__N_18offset_tEEE10hipError_tPvRmT1_PNSt15iterator_traitsISK_E10value_typeET2_T3_PNSL_ISQ_E10value_typeET4_jRbjT5_SW_jjP12ihipStream_tbEUlT_E2_NS1_11comp_targetILNS1_3genE10ELNS1_11target_archE1201ELNS1_3gpuE5ELNS1_3repE0EEENS1_30default_config_static_selectorELNS0_4arch9wavefront6targetE0EEEvSK_.private_seg_size, 0
	.set _ZN7rocprim17ROCPRIM_400000_NS6detail17trampoline_kernelINS0_14default_configENS1_36segmented_radix_sort_config_selectorIflEEZNS1_25segmented_radix_sort_implIS3_Lb0EPKfPfPKlPlN2at6native12_GLOBAL__N_18offset_tEEE10hipError_tPvRmT1_PNSt15iterator_traitsISK_E10value_typeET2_T3_PNSL_ISQ_E10value_typeET4_jRbjT5_SW_jjP12ihipStream_tbEUlT_E2_NS1_11comp_targetILNS1_3genE10ELNS1_11target_archE1201ELNS1_3gpuE5ELNS1_3repE0EEENS1_30default_config_static_selectorELNS0_4arch9wavefront6targetE0EEEvSK_.uses_vcc, 0
	.set _ZN7rocprim17ROCPRIM_400000_NS6detail17trampoline_kernelINS0_14default_configENS1_36segmented_radix_sort_config_selectorIflEEZNS1_25segmented_radix_sort_implIS3_Lb0EPKfPfPKlPlN2at6native12_GLOBAL__N_18offset_tEEE10hipError_tPvRmT1_PNSt15iterator_traitsISK_E10value_typeET2_T3_PNSL_ISQ_E10value_typeET4_jRbjT5_SW_jjP12ihipStream_tbEUlT_E2_NS1_11comp_targetILNS1_3genE10ELNS1_11target_archE1201ELNS1_3gpuE5ELNS1_3repE0EEENS1_30default_config_static_selectorELNS0_4arch9wavefront6targetE0EEEvSK_.uses_flat_scratch, 0
	.set _ZN7rocprim17ROCPRIM_400000_NS6detail17trampoline_kernelINS0_14default_configENS1_36segmented_radix_sort_config_selectorIflEEZNS1_25segmented_radix_sort_implIS3_Lb0EPKfPfPKlPlN2at6native12_GLOBAL__N_18offset_tEEE10hipError_tPvRmT1_PNSt15iterator_traitsISK_E10value_typeET2_T3_PNSL_ISQ_E10value_typeET4_jRbjT5_SW_jjP12ihipStream_tbEUlT_E2_NS1_11comp_targetILNS1_3genE10ELNS1_11target_archE1201ELNS1_3gpuE5ELNS1_3repE0EEENS1_30default_config_static_selectorELNS0_4arch9wavefront6targetE0EEEvSK_.has_dyn_sized_stack, 0
	.set _ZN7rocprim17ROCPRIM_400000_NS6detail17trampoline_kernelINS0_14default_configENS1_36segmented_radix_sort_config_selectorIflEEZNS1_25segmented_radix_sort_implIS3_Lb0EPKfPfPKlPlN2at6native12_GLOBAL__N_18offset_tEEE10hipError_tPvRmT1_PNSt15iterator_traitsISK_E10value_typeET2_T3_PNSL_ISQ_E10value_typeET4_jRbjT5_SW_jjP12ihipStream_tbEUlT_E2_NS1_11comp_targetILNS1_3genE10ELNS1_11target_archE1201ELNS1_3gpuE5ELNS1_3repE0EEENS1_30default_config_static_selectorELNS0_4arch9wavefront6targetE0EEEvSK_.has_recursion, 0
	.set _ZN7rocprim17ROCPRIM_400000_NS6detail17trampoline_kernelINS0_14default_configENS1_36segmented_radix_sort_config_selectorIflEEZNS1_25segmented_radix_sort_implIS3_Lb0EPKfPfPKlPlN2at6native12_GLOBAL__N_18offset_tEEE10hipError_tPvRmT1_PNSt15iterator_traitsISK_E10value_typeET2_T3_PNSL_ISQ_E10value_typeET4_jRbjT5_SW_jjP12ihipStream_tbEUlT_E2_NS1_11comp_targetILNS1_3genE10ELNS1_11target_archE1201ELNS1_3gpuE5ELNS1_3repE0EEENS1_30default_config_static_selectorELNS0_4arch9wavefront6targetE0EEEvSK_.has_indirect_call, 0
	.section	.AMDGPU.csdata,"",@progbits
; Kernel info:
; codeLenInByte = 0
; TotalNumSgprs: 0
; NumVgprs: 0
; ScratchSize: 0
; MemoryBound: 0
; FloatMode: 240
; IeeeMode: 1
; LDSByteSize: 0 bytes/workgroup (compile time only)
; SGPRBlocks: 0
; VGPRBlocks: 0
; NumSGPRsForWavesPerEU: 1
; NumVGPRsForWavesPerEU: 1
; Occupancy: 16
; WaveLimiterHint : 0
; COMPUTE_PGM_RSRC2:SCRATCH_EN: 0
; COMPUTE_PGM_RSRC2:USER_SGPR: 6
; COMPUTE_PGM_RSRC2:TRAP_HANDLER: 0
; COMPUTE_PGM_RSRC2:TGID_X_EN: 1
; COMPUTE_PGM_RSRC2:TGID_Y_EN: 0
; COMPUTE_PGM_RSRC2:TGID_Z_EN: 0
; COMPUTE_PGM_RSRC2:TIDIG_COMP_CNT: 0
	.section	.text._ZN7rocprim17ROCPRIM_400000_NS6detail17trampoline_kernelINS0_14default_configENS1_36segmented_radix_sort_config_selectorIflEEZNS1_25segmented_radix_sort_implIS3_Lb0EPKfPfPKlPlN2at6native12_GLOBAL__N_18offset_tEEE10hipError_tPvRmT1_PNSt15iterator_traitsISK_E10value_typeET2_T3_PNSL_ISQ_E10value_typeET4_jRbjT5_SW_jjP12ihipStream_tbEUlT_E2_NS1_11comp_targetILNS1_3genE10ELNS1_11target_archE1200ELNS1_3gpuE4ELNS1_3repE0EEENS1_30default_config_static_selectorELNS0_4arch9wavefront6targetE0EEEvSK_,"axG",@progbits,_ZN7rocprim17ROCPRIM_400000_NS6detail17trampoline_kernelINS0_14default_configENS1_36segmented_radix_sort_config_selectorIflEEZNS1_25segmented_radix_sort_implIS3_Lb0EPKfPfPKlPlN2at6native12_GLOBAL__N_18offset_tEEE10hipError_tPvRmT1_PNSt15iterator_traitsISK_E10value_typeET2_T3_PNSL_ISQ_E10value_typeET4_jRbjT5_SW_jjP12ihipStream_tbEUlT_E2_NS1_11comp_targetILNS1_3genE10ELNS1_11target_archE1200ELNS1_3gpuE4ELNS1_3repE0EEENS1_30default_config_static_selectorELNS0_4arch9wavefront6targetE0EEEvSK_,comdat
	.globl	_ZN7rocprim17ROCPRIM_400000_NS6detail17trampoline_kernelINS0_14default_configENS1_36segmented_radix_sort_config_selectorIflEEZNS1_25segmented_radix_sort_implIS3_Lb0EPKfPfPKlPlN2at6native12_GLOBAL__N_18offset_tEEE10hipError_tPvRmT1_PNSt15iterator_traitsISK_E10value_typeET2_T3_PNSL_ISQ_E10value_typeET4_jRbjT5_SW_jjP12ihipStream_tbEUlT_E2_NS1_11comp_targetILNS1_3genE10ELNS1_11target_archE1200ELNS1_3gpuE4ELNS1_3repE0EEENS1_30default_config_static_selectorELNS0_4arch9wavefront6targetE0EEEvSK_ ; -- Begin function _ZN7rocprim17ROCPRIM_400000_NS6detail17trampoline_kernelINS0_14default_configENS1_36segmented_radix_sort_config_selectorIflEEZNS1_25segmented_radix_sort_implIS3_Lb0EPKfPfPKlPlN2at6native12_GLOBAL__N_18offset_tEEE10hipError_tPvRmT1_PNSt15iterator_traitsISK_E10value_typeET2_T3_PNSL_ISQ_E10value_typeET4_jRbjT5_SW_jjP12ihipStream_tbEUlT_E2_NS1_11comp_targetILNS1_3genE10ELNS1_11target_archE1200ELNS1_3gpuE4ELNS1_3repE0EEENS1_30default_config_static_selectorELNS0_4arch9wavefront6targetE0EEEvSK_
	.p2align	8
	.type	_ZN7rocprim17ROCPRIM_400000_NS6detail17trampoline_kernelINS0_14default_configENS1_36segmented_radix_sort_config_selectorIflEEZNS1_25segmented_radix_sort_implIS3_Lb0EPKfPfPKlPlN2at6native12_GLOBAL__N_18offset_tEEE10hipError_tPvRmT1_PNSt15iterator_traitsISK_E10value_typeET2_T3_PNSL_ISQ_E10value_typeET4_jRbjT5_SW_jjP12ihipStream_tbEUlT_E2_NS1_11comp_targetILNS1_3genE10ELNS1_11target_archE1200ELNS1_3gpuE4ELNS1_3repE0EEENS1_30default_config_static_selectorELNS0_4arch9wavefront6targetE0EEEvSK_,@function
_ZN7rocprim17ROCPRIM_400000_NS6detail17trampoline_kernelINS0_14default_configENS1_36segmented_radix_sort_config_selectorIflEEZNS1_25segmented_radix_sort_implIS3_Lb0EPKfPfPKlPlN2at6native12_GLOBAL__N_18offset_tEEE10hipError_tPvRmT1_PNSt15iterator_traitsISK_E10value_typeET2_T3_PNSL_ISQ_E10value_typeET4_jRbjT5_SW_jjP12ihipStream_tbEUlT_E2_NS1_11comp_targetILNS1_3genE10ELNS1_11target_archE1200ELNS1_3gpuE4ELNS1_3repE0EEENS1_30default_config_static_selectorELNS0_4arch9wavefront6targetE0EEEvSK_: ; @_ZN7rocprim17ROCPRIM_400000_NS6detail17trampoline_kernelINS0_14default_configENS1_36segmented_radix_sort_config_selectorIflEEZNS1_25segmented_radix_sort_implIS3_Lb0EPKfPfPKlPlN2at6native12_GLOBAL__N_18offset_tEEE10hipError_tPvRmT1_PNSt15iterator_traitsISK_E10value_typeET2_T3_PNSL_ISQ_E10value_typeET4_jRbjT5_SW_jjP12ihipStream_tbEUlT_E2_NS1_11comp_targetILNS1_3genE10ELNS1_11target_archE1200ELNS1_3gpuE4ELNS1_3repE0EEENS1_30default_config_static_selectorELNS0_4arch9wavefront6targetE0EEEvSK_
; %bb.0:
	.section	.rodata,"a",@progbits
	.p2align	6, 0x0
	.amdhsa_kernel _ZN7rocprim17ROCPRIM_400000_NS6detail17trampoline_kernelINS0_14default_configENS1_36segmented_radix_sort_config_selectorIflEEZNS1_25segmented_radix_sort_implIS3_Lb0EPKfPfPKlPlN2at6native12_GLOBAL__N_18offset_tEEE10hipError_tPvRmT1_PNSt15iterator_traitsISK_E10value_typeET2_T3_PNSL_ISQ_E10value_typeET4_jRbjT5_SW_jjP12ihipStream_tbEUlT_E2_NS1_11comp_targetILNS1_3genE10ELNS1_11target_archE1200ELNS1_3gpuE4ELNS1_3repE0EEENS1_30default_config_static_selectorELNS0_4arch9wavefront6targetE0EEEvSK_
		.amdhsa_group_segment_fixed_size 0
		.amdhsa_private_segment_fixed_size 0
		.amdhsa_kernarg_size 80
		.amdhsa_user_sgpr_count 6
		.amdhsa_user_sgpr_private_segment_buffer 1
		.amdhsa_user_sgpr_dispatch_ptr 0
		.amdhsa_user_sgpr_queue_ptr 0
		.amdhsa_user_sgpr_kernarg_segment_ptr 1
		.amdhsa_user_sgpr_dispatch_id 0
		.amdhsa_user_sgpr_flat_scratch_init 0
		.amdhsa_user_sgpr_private_segment_size 0
		.amdhsa_wavefront_size32 1
		.amdhsa_uses_dynamic_stack 0
		.amdhsa_system_sgpr_private_segment_wavefront_offset 0
		.amdhsa_system_sgpr_workgroup_id_x 1
		.amdhsa_system_sgpr_workgroup_id_y 0
		.amdhsa_system_sgpr_workgroup_id_z 0
		.amdhsa_system_sgpr_workgroup_info 0
		.amdhsa_system_vgpr_workitem_id 0
		.amdhsa_next_free_vgpr 1
		.amdhsa_next_free_sgpr 1
		.amdhsa_reserve_vcc 0
		.amdhsa_reserve_flat_scratch 0
		.amdhsa_float_round_mode_32 0
		.amdhsa_float_round_mode_16_64 0
		.amdhsa_float_denorm_mode_32 3
		.amdhsa_float_denorm_mode_16_64 3
		.amdhsa_dx10_clamp 1
		.amdhsa_ieee_mode 1
		.amdhsa_fp16_overflow 0
		.amdhsa_workgroup_processor_mode 1
		.amdhsa_memory_ordered 1
		.amdhsa_forward_progress 1
		.amdhsa_shared_vgpr_count 0
		.amdhsa_exception_fp_ieee_invalid_op 0
		.amdhsa_exception_fp_denorm_src 0
		.amdhsa_exception_fp_ieee_div_zero 0
		.amdhsa_exception_fp_ieee_overflow 0
		.amdhsa_exception_fp_ieee_underflow 0
		.amdhsa_exception_fp_ieee_inexact 0
		.amdhsa_exception_int_div_zero 0
	.end_amdhsa_kernel
	.section	.text._ZN7rocprim17ROCPRIM_400000_NS6detail17trampoline_kernelINS0_14default_configENS1_36segmented_radix_sort_config_selectorIflEEZNS1_25segmented_radix_sort_implIS3_Lb0EPKfPfPKlPlN2at6native12_GLOBAL__N_18offset_tEEE10hipError_tPvRmT1_PNSt15iterator_traitsISK_E10value_typeET2_T3_PNSL_ISQ_E10value_typeET4_jRbjT5_SW_jjP12ihipStream_tbEUlT_E2_NS1_11comp_targetILNS1_3genE10ELNS1_11target_archE1200ELNS1_3gpuE4ELNS1_3repE0EEENS1_30default_config_static_selectorELNS0_4arch9wavefront6targetE0EEEvSK_,"axG",@progbits,_ZN7rocprim17ROCPRIM_400000_NS6detail17trampoline_kernelINS0_14default_configENS1_36segmented_radix_sort_config_selectorIflEEZNS1_25segmented_radix_sort_implIS3_Lb0EPKfPfPKlPlN2at6native12_GLOBAL__N_18offset_tEEE10hipError_tPvRmT1_PNSt15iterator_traitsISK_E10value_typeET2_T3_PNSL_ISQ_E10value_typeET4_jRbjT5_SW_jjP12ihipStream_tbEUlT_E2_NS1_11comp_targetILNS1_3genE10ELNS1_11target_archE1200ELNS1_3gpuE4ELNS1_3repE0EEENS1_30default_config_static_selectorELNS0_4arch9wavefront6targetE0EEEvSK_,comdat
.Lfunc_end1456:
	.size	_ZN7rocprim17ROCPRIM_400000_NS6detail17trampoline_kernelINS0_14default_configENS1_36segmented_radix_sort_config_selectorIflEEZNS1_25segmented_radix_sort_implIS3_Lb0EPKfPfPKlPlN2at6native12_GLOBAL__N_18offset_tEEE10hipError_tPvRmT1_PNSt15iterator_traitsISK_E10value_typeET2_T3_PNSL_ISQ_E10value_typeET4_jRbjT5_SW_jjP12ihipStream_tbEUlT_E2_NS1_11comp_targetILNS1_3genE10ELNS1_11target_archE1200ELNS1_3gpuE4ELNS1_3repE0EEENS1_30default_config_static_selectorELNS0_4arch9wavefront6targetE0EEEvSK_, .Lfunc_end1456-_ZN7rocprim17ROCPRIM_400000_NS6detail17trampoline_kernelINS0_14default_configENS1_36segmented_radix_sort_config_selectorIflEEZNS1_25segmented_radix_sort_implIS3_Lb0EPKfPfPKlPlN2at6native12_GLOBAL__N_18offset_tEEE10hipError_tPvRmT1_PNSt15iterator_traitsISK_E10value_typeET2_T3_PNSL_ISQ_E10value_typeET4_jRbjT5_SW_jjP12ihipStream_tbEUlT_E2_NS1_11comp_targetILNS1_3genE10ELNS1_11target_archE1200ELNS1_3gpuE4ELNS1_3repE0EEENS1_30default_config_static_selectorELNS0_4arch9wavefront6targetE0EEEvSK_
                                        ; -- End function
	.set _ZN7rocprim17ROCPRIM_400000_NS6detail17trampoline_kernelINS0_14default_configENS1_36segmented_radix_sort_config_selectorIflEEZNS1_25segmented_radix_sort_implIS3_Lb0EPKfPfPKlPlN2at6native12_GLOBAL__N_18offset_tEEE10hipError_tPvRmT1_PNSt15iterator_traitsISK_E10value_typeET2_T3_PNSL_ISQ_E10value_typeET4_jRbjT5_SW_jjP12ihipStream_tbEUlT_E2_NS1_11comp_targetILNS1_3genE10ELNS1_11target_archE1200ELNS1_3gpuE4ELNS1_3repE0EEENS1_30default_config_static_selectorELNS0_4arch9wavefront6targetE0EEEvSK_.num_vgpr, 0
	.set _ZN7rocprim17ROCPRIM_400000_NS6detail17trampoline_kernelINS0_14default_configENS1_36segmented_radix_sort_config_selectorIflEEZNS1_25segmented_radix_sort_implIS3_Lb0EPKfPfPKlPlN2at6native12_GLOBAL__N_18offset_tEEE10hipError_tPvRmT1_PNSt15iterator_traitsISK_E10value_typeET2_T3_PNSL_ISQ_E10value_typeET4_jRbjT5_SW_jjP12ihipStream_tbEUlT_E2_NS1_11comp_targetILNS1_3genE10ELNS1_11target_archE1200ELNS1_3gpuE4ELNS1_3repE0EEENS1_30default_config_static_selectorELNS0_4arch9wavefront6targetE0EEEvSK_.num_agpr, 0
	.set _ZN7rocprim17ROCPRIM_400000_NS6detail17trampoline_kernelINS0_14default_configENS1_36segmented_radix_sort_config_selectorIflEEZNS1_25segmented_radix_sort_implIS3_Lb0EPKfPfPKlPlN2at6native12_GLOBAL__N_18offset_tEEE10hipError_tPvRmT1_PNSt15iterator_traitsISK_E10value_typeET2_T3_PNSL_ISQ_E10value_typeET4_jRbjT5_SW_jjP12ihipStream_tbEUlT_E2_NS1_11comp_targetILNS1_3genE10ELNS1_11target_archE1200ELNS1_3gpuE4ELNS1_3repE0EEENS1_30default_config_static_selectorELNS0_4arch9wavefront6targetE0EEEvSK_.numbered_sgpr, 0
	.set _ZN7rocprim17ROCPRIM_400000_NS6detail17trampoline_kernelINS0_14default_configENS1_36segmented_radix_sort_config_selectorIflEEZNS1_25segmented_radix_sort_implIS3_Lb0EPKfPfPKlPlN2at6native12_GLOBAL__N_18offset_tEEE10hipError_tPvRmT1_PNSt15iterator_traitsISK_E10value_typeET2_T3_PNSL_ISQ_E10value_typeET4_jRbjT5_SW_jjP12ihipStream_tbEUlT_E2_NS1_11comp_targetILNS1_3genE10ELNS1_11target_archE1200ELNS1_3gpuE4ELNS1_3repE0EEENS1_30default_config_static_selectorELNS0_4arch9wavefront6targetE0EEEvSK_.num_named_barrier, 0
	.set _ZN7rocprim17ROCPRIM_400000_NS6detail17trampoline_kernelINS0_14default_configENS1_36segmented_radix_sort_config_selectorIflEEZNS1_25segmented_radix_sort_implIS3_Lb0EPKfPfPKlPlN2at6native12_GLOBAL__N_18offset_tEEE10hipError_tPvRmT1_PNSt15iterator_traitsISK_E10value_typeET2_T3_PNSL_ISQ_E10value_typeET4_jRbjT5_SW_jjP12ihipStream_tbEUlT_E2_NS1_11comp_targetILNS1_3genE10ELNS1_11target_archE1200ELNS1_3gpuE4ELNS1_3repE0EEENS1_30default_config_static_selectorELNS0_4arch9wavefront6targetE0EEEvSK_.private_seg_size, 0
	.set _ZN7rocprim17ROCPRIM_400000_NS6detail17trampoline_kernelINS0_14default_configENS1_36segmented_radix_sort_config_selectorIflEEZNS1_25segmented_radix_sort_implIS3_Lb0EPKfPfPKlPlN2at6native12_GLOBAL__N_18offset_tEEE10hipError_tPvRmT1_PNSt15iterator_traitsISK_E10value_typeET2_T3_PNSL_ISQ_E10value_typeET4_jRbjT5_SW_jjP12ihipStream_tbEUlT_E2_NS1_11comp_targetILNS1_3genE10ELNS1_11target_archE1200ELNS1_3gpuE4ELNS1_3repE0EEENS1_30default_config_static_selectorELNS0_4arch9wavefront6targetE0EEEvSK_.uses_vcc, 0
	.set _ZN7rocprim17ROCPRIM_400000_NS6detail17trampoline_kernelINS0_14default_configENS1_36segmented_radix_sort_config_selectorIflEEZNS1_25segmented_radix_sort_implIS3_Lb0EPKfPfPKlPlN2at6native12_GLOBAL__N_18offset_tEEE10hipError_tPvRmT1_PNSt15iterator_traitsISK_E10value_typeET2_T3_PNSL_ISQ_E10value_typeET4_jRbjT5_SW_jjP12ihipStream_tbEUlT_E2_NS1_11comp_targetILNS1_3genE10ELNS1_11target_archE1200ELNS1_3gpuE4ELNS1_3repE0EEENS1_30default_config_static_selectorELNS0_4arch9wavefront6targetE0EEEvSK_.uses_flat_scratch, 0
	.set _ZN7rocprim17ROCPRIM_400000_NS6detail17trampoline_kernelINS0_14default_configENS1_36segmented_radix_sort_config_selectorIflEEZNS1_25segmented_radix_sort_implIS3_Lb0EPKfPfPKlPlN2at6native12_GLOBAL__N_18offset_tEEE10hipError_tPvRmT1_PNSt15iterator_traitsISK_E10value_typeET2_T3_PNSL_ISQ_E10value_typeET4_jRbjT5_SW_jjP12ihipStream_tbEUlT_E2_NS1_11comp_targetILNS1_3genE10ELNS1_11target_archE1200ELNS1_3gpuE4ELNS1_3repE0EEENS1_30default_config_static_selectorELNS0_4arch9wavefront6targetE0EEEvSK_.has_dyn_sized_stack, 0
	.set _ZN7rocprim17ROCPRIM_400000_NS6detail17trampoline_kernelINS0_14default_configENS1_36segmented_radix_sort_config_selectorIflEEZNS1_25segmented_radix_sort_implIS3_Lb0EPKfPfPKlPlN2at6native12_GLOBAL__N_18offset_tEEE10hipError_tPvRmT1_PNSt15iterator_traitsISK_E10value_typeET2_T3_PNSL_ISQ_E10value_typeET4_jRbjT5_SW_jjP12ihipStream_tbEUlT_E2_NS1_11comp_targetILNS1_3genE10ELNS1_11target_archE1200ELNS1_3gpuE4ELNS1_3repE0EEENS1_30default_config_static_selectorELNS0_4arch9wavefront6targetE0EEEvSK_.has_recursion, 0
	.set _ZN7rocprim17ROCPRIM_400000_NS6detail17trampoline_kernelINS0_14default_configENS1_36segmented_radix_sort_config_selectorIflEEZNS1_25segmented_radix_sort_implIS3_Lb0EPKfPfPKlPlN2at6native12_GLOBAL__N_18offset_tEEE10hipError_tPvRmT1_PNSt15iterator_traitsISK_E10value_typeET2_T3_PNSL_ISQ_E10value_typeET4_jRbjT5_SW_jjP12ihipStream_tbEUlT_E2_NS1_11comp_targetILNS1_3genE10ELNS1_11target_archE1200ELNS1_3gpuE4ELNS1_3repE0EEENS1_30default_config_static_selectorELNS0_4arch9wavefront6targetE0EEEvSK_.has_indirect_call, 0
	.section	.AMDGPU.csdata,"",@progbits
; Kernel info:
; codeLenInByte = 0
; TotalNumSgprs: 0
; NumVgprs: 0
; ScratchSize: 0
; MemoryBound: 0
; FloatMode: 240
; IeeeMode: 1
; LDSByteSize: 0 bytes/workgroup (compile time only)
; SGPRBlocks: 0
; VGPRBlocks: 0
; NumSGPRsForWavesPerEU: 1
; NumVGPRsForWavesPerEU: 1
; Occupancy: 16
; WaveLimiterHint : 0
; COMPUTE_PGM_RSRC2:SCRATCH_EN: 0
; COMPUTE_PGM_RSRC2:USER_SGPR: 6
; COMPUTE_PGM_RSRC2:TRAP_HANDLER: 0
; COMPUTE_PGM_RSRC2:TGID_X_EN: 1
; COMPUTE_PGM_RSRC2:TGID_Y_EN: 0
; COMPUTE_PGM_RSRC2:TGID_Z_EN: 0
; COMPUTE_PGM_RSRC2:TIDIG_COMP_CNT: 0
	.section	.text._ZN7rocprim17ROCPRIM_400000_NS6detail17trampoline_kernelINS0_14default_configENS1_36segmented_radix_sort_config_selectorIflEEZNS1_25segmented_radix_sort_implIS3_Lb0EPKfPfPKlPlN2at6native12_GLOBAL__N_18offset_tEEE10hipError_tPvRmT1_PNSt15iterator_traitsISK_E10value_typeET2_T3_PNSL_ISQ_E10value_typeET4_jRbjT5_SW_jjP12ihipStream_tbEUlT_E2_NS1_11comp_targetILNS1_3genE9ELNS1_11target_archE1100ELNS1_3gpuE3ELNS1_3repE0EEENS1_30default_config_static_selectorELNS0_4arch9wavefront6targetE0EEEvSK_,"axG",@progbits,_ZN7rocprim17ROCPRIM_400000_NS6detail17trampoline_kernelINS0_14default_configENS1_36segmented_radix_sort_config_selectorIflEEZNS1_25segmented_radix_sort_implIS3_Lb0EPKfPfPKlPlN2at6native12_GLOBAL__N_18offset_tEEE10hipError_tPvRmT1_PNSt15iterator_traitsISK_E10value_typeET2_T3_PNSL_ISQ_E10value_typeET4_jRbjT5_SW_jjP12ihipStream_tbEUlT_E2_NS1_11comp_targetILNS1_3genE9ELNS1_11target_archE1100ELNS1_3gpuE3ELNS1_3repE0EEENS1_30default_config_static_selectorELNS0_4arch9wavefront6targetE0EEEvSK_,comdat
	.globl	_ZN7rocprim17ROCPRIM_400000_NS6detail17trampoline_kernelINS0_14default_configENS1_36segmented_radix_sort_config_selectorIflEEZNS1_25segmented_radix_sort_implIS3_Lb0EPKfPfPKlPlN2at6native12_GLOBAL__N_18offset_tEEE10hipError_tPvRmT1_PNSt15iterator_traitsISK_E10value_typeET2_T3_PNSL_ISQ_E10value_typeET4_jRbjT5_SW_jjP12ihipStream_tbEUlT_E2_NS1_11comp_targetILNS1_3genE9ELNS1_11target_archE1100ELNS1_3gpuE3ELNS1_3repE0EEENS1_30default_config_static_selectorELNS0_4arch9wavefront6targetE0EEEvSK_ ; -- Begin function _ZN7rocprim17ROCPRIM_400000_NS6detail17trampoline_kernelINS0_14default_configENS1_36segmented_radix_sort_config_selectorIflEEZNS1_25segmented_radix_sort_implIS3_Lb0EPKfPfPKlPlN2at6native12_GLOBAL__N_18offset_tEEE10hipError_tPvRmT1_PNSt15iterator_traitsISK_E10value_typeET2_T3_PNSL_ISQ_E10value_typeET4_jRbjT5_SW_jjP12ihipStream_tbEUlT_E2_NS1_11comp_targetILNS1_3genE9ELNS1_11target_archE1100ELNS1_3gpuE3ELNS1_3repE0EEENS1_30default_config_static_selectorELNS0_4arch9wavefront6targetE0EEEvSK_
	.p2align	8
	.type	_ZN7rocprim17ROCPRIM_400000_NS6detail17trampoline_kernelINS0_14default_configENS1_36segmented_radix_sort_config_selectorIflEEZNS1_25segmented_radix_sort_implIS3_Lb0EPKfPfPKlPlN2at6native12_GLOBAL__N_18offset_tEEE10hipError_tPvRmT1_PNSt15iterator_traitsISK_E10value_typeET2_T3_PNSL_ISQ_E10value_typeET4_jRbjT5_SW_jjP12ihipStream_tbEUlT_E2_NS1_11comp_targetILNS1_3genE9ELNS1_11target_archE1100ELNS1_3gpuE3ELNS1_3repE0EEENS1_30default_config_static_selectorELNS0_4arch9wavefront6targetE0EEEvSK_,@function
_ZN7rocprim17ROCPRIM_400000_NS6detail17trampoline_kernelINS0_14default_configENS1_36segmented_radix_sort_config_selectorIflEEZNS1_25segmented_radix_sort_implIS3_Lb0EPKfPfPKlPlN2at6native12_GLOBAL__N_18offset_tEEE10hipError_tPvRmT1_PNSt15iterator_traitsISK_E10value_typeET2_T3_PNSL_ISQ_E10value_typeET4_jRbjT5_SW_jjP12ihipStream_tbEUlT_E2_NS1_11comp_targetILNS1_3genE9ELNS1_11target_archE1100ELNS1_3gpuE3ELNS1_3repE0EEENS1_30default_config_static_selectorELNS0_4arch9wavefront6targetE0EEEvSK_: ; @_ZN7rocprim17ROCPRIM_400000_NS6detail17trampoline_kernelINS0_14default_configENS1_36segmented_radix_sort_config_selectorIflEEZNS1_25segmented_radix_sort_implIS3_Lb0EPKfPfPKlPlN2at6native12_GLOBAL__N_18offset_tEEE10hipError_tPvRmT1_PNSt15iterator_traitsISK_E10value_typeET2_T3_PNSL_ISQ_E10value_typeET4_jRbjT5_SW_jjP12ihipStream_tbEUlT_E2_NS1_11comp_targetILNS1_3genE9ELNS1_11target_archE1100ELNS1_3gpuE3ELNS1_3repE0EEENS1_30default_config_static_selectorELNS0_4arch9wavefront6targetE0EEEvSK_
; %bb.0:
	.section	.rodata,"a",@progbits
	.p2align	6, 0x0
	.amdhsa_kernel _ZN7rocprim17ROCPRIM_400000_NS6detail17trampoline_kernelINS0_14default_configENS1_36segmented_radix_sort_config_selectorIflEEZNS1_25segmented_radix_sort_implIS3_Lb0EPKfPfPKlPlN2at6native12_GLOBAL__N_18offset_tEEE10hipError_tPvRmT1_PNSt15iterator_traitsISK_E10value_typeET2_T3_PNSL_ISQ_E10value_typeET4_jRbjT5_SW_jjP12ihipStream_tbEUlT_E2_NS1_11comp_targetILNS1_3genE9ELNS1_11target_archE1100ELNS1_3gpuE3ELNS1_3repE0EEENS1_30default_config_static_selectorELNS0_4arch9wavefront6targetE0EEEvSK_
		.amdhsa_group_segment_fixed_size 0
		.amdhsa_private_segment_fixed_size 0
		.amdhsa_kernarg_size 80
		.amdhsa_user_sgpr_count 6
		.amdhsa_user_sgpr_private_segment_buffer 1
		.amdhsa_user_sgpr_dispatch_ptr 0
		.amdhsa_user_sgpr_queue_ptr 0
		.amdhsa_user_sgpr_kernarg_segment_ptr 1
		.amdhsa_user_sgpr_dispatch_id 0
		.amdhsa_user_sgpr_flat_scratch_init 0
		.amdhsa_user_sgpr_private_segment_size 0
		.amdhsa_wavefront_size32 1
		.amdhsa_uses_dynamic_stack 0
		.amdhsa_system_sgpr_private_segment_wavefront_offset 0
		.amdhsa_system_sgpr_workgroup_id_x 1
		.amdhsa_system_sgpr_workgroup_id_y 0
		.amdhsa_system_sgpr_workgroup_id_z 0
		.amdhsa_system_sgpr_workgroup_info 0
		.amdhsa_system_vgpr_workitem_id 0
		.amdhsa_next_free_vgpr 1
		.amdhsa_next_free_sgpr 1
		.amdhsa_reserve_vcc 0
		.amdhsa_reserve_flat_scratch 0
		.amdhsa_float_round_mode_32 0
		.amdhsa_float_round_mode_16_64 0
		.amdhsa_float_denorm_mode_32 3
		.amdhsa_float_denorm_mode_16_64 3
		.amdhsa_dx10_clamp 1
		.amdhsa_ieee_mode 1
		.amdhsa_fp16_overflow 0
		.amdhsa_workgroup_processor_mode 1
		.amdhsa_memory_ordered 1
		.amdhsa_forward_progress 1
		.amdhsa_shared_vgpr_count 0
		.amdhsa_exception_fp_ieee_invalid_op 0
		.amdhsa_exception_fp_denorm_src 0
		.amdhsa_exception_fp_ieee_div_zero 0
		.amdhsa_exception_fp_ieee_overflow 0
		.amdhsa_exception_fp_ieee_underflow 0
		.amdhsa_exception_fp_ieee_inexact 0
		.amdhsa_exception_int_div_zero 0
	.end_amdhsa_kernel
	.section	.text._ZN7rocprim17ROCPRIM_400000_NS6detail17trampoline_kernelINS0_14default_configENS1_36segmented_radix_sort_config_selectorIflEEZNS1_25segmented_radix_sort_implIS3_Lb0EPKfPfPKlPlN2at6native12_GLOBAL__N_18offset_tEEE10hipError_tPvRmT1_PNSt15iterator_traitsISK_E10value_typeET2_T3_PNSL_ISQ_E10value_typeET4_jRbjT5_SW_jjP12ihipStream_tbEUlT_E2_NS1_11comp_targetILNS1_3genE9ELNS1_11target_archE1100ELNS1_3gpuE3ELNS1_3repE0EEENS1_30default_config_static_selectorELNS0_4arch9wavefront6targetE0EEEvSK_,"axG",@progbits,_ZN7rocprim17ROCPRIM_400000_NS6detail17trampoline_kernelINS0_14default_configENS1_36segmented_radix_sort_config_selectorIflEEZNS1_25segmented_radix_sort_implIS3_Lb0EPKfPfPKlPlN2at6native12_GLOBAL__N_18offset_tEEE10hipError_tPvRmT1_PNSt15iterator_traitsISK_E10value_typeET2_T3_PNSL_ISQ_E10value_typeET4_jRbjT5_SW_jjP12ihipStream_tbEUlT_E2_NS1_11comp_targetILNS1_3genE9ELNS1_11target_archE1100ELNS1_3gpuE3ELNS1_3repE0EEENS1_30default_config_static_selectorELNS0_4arch9wavefront6targetE0EEEvSK_,comdat
.Lfunc_end1457:
	.size	_ZN7rocprim17ROCPRIM_400000_NS6detail17trampoline_kernelINS0_14default_configENS1_36segmented_radix_sort_config_selectorIflEEZNS1_25segmented_radix_sort_implIS3_Lb0EPKfPfPKlPlN2at6native12_GLOBAL__N_18offset_tEEE10hipError_tPvRmT1_PNSt15iterator_traitsISK_E10value_typeET2_T3_PNSL_ISQ_E10value_typeET4_jRbjT5_SW_jjP12ihipStream_tbEUlT_E2_NS1_11comp_targetILNS1_3genE9ELNS1_11target_archE1100ELNS1_3gpuE3ELNS1_3repE0EEENS1_30default_config_static_selectorELNS0_4arch9wavefront6targetE0EEEvSK_, .Lfunc_end1457-_ZN7rocprim17ROCPRIM_400000_NS6detail17trampoline_kernelINS0_14default_configENS1_36segmented_radix_sort_config_selectorIflEEZNS1_25segmented_radix_sort_implIS3_Lb0EPKfPfPKlPlN2at6native12_GLOBAL__N_18offset_tEEE10hipError_tPvRmT1_PNSt15iterator_traitsISK_E10value_typeET2_T3_PNSL_ISQ_E10value_typeET4_jRbjT5_SW_jjP12ihipStream_tbEUlT_E2_NS1_11comp_targetILNS1_3genE9ELNS1_11target_archE1100ELNS1_3gpuE3ELNS1_3repE0EEENS1_30default_config_static_selectorELNS0_4arch9wavefront6targetE0EEEvSK_
                                        ; -- End function
	.set _ZN7rocprim17ROCPRIM_400000_NS6detail17trampoline_kernelINS0_14default_configENS1_36segmented_radix_sort_config_selectorIflEEZNS1_25segmented_radix_sort_implIS3_Lb0EPKfPfPKlPlN2at6native12_GLOBAL__N_18offset_tEEE10hipError_tPvRmT1_PNSt15iterator_traitsISK_E10value_typeET2_T3_PNSL_ISQ_E10value_typeET4_jRbjT5_SW_jjP12ihipStream_tbEUlT_E2_NS1_11comp_targetILNS1_3genE9ELNS1_11target_archE1100ELNS1_3gpuE3ELNS1_3repE0EEENS1_30default_config_static_selectorELNS0_4arch9wavefront6targetE0EEEvSK_.num_vgpr, 0
	.set _ZN7rocprim17ROCPRIM_400000_NS6detail17trampoline_kernelINS0_14default_configENS1_36segmented_radix_sort_config_selectorIflEEZNS1_25segmented_radix_sort_implIS3_Lb0EPKfPfPKlPlN2at6native12_GLOBAL__N_18offset_tEEE10hipError_tPvRmT1_PNSt15iterator_traitsISK_E10value_typeET2_T3_PNSL_ISQ_E10value_typeET4_jRbjT5_SW_jjP12ihipStream_tbEUlT_E2_NS1_11comp_targetILNS1_3genE9ELNS1_11target_archE1100ELNS1_3gpuE3ELNS1_3repE0EEENS1_30default_config_static_selectorELNS0_4arch9wavefront6targetE0EEEvSK_.num_agpr, 0
	.set _ZN7rocprim17ROCPRIM_400000_NS6detail17trampoline_kernelINS0_14default_configENS1_36segmented_radix_sort_config_selectorIflEEZNS1_25segmented_radix_sort_implIS3_Lb0EPKfPfPKlPlN2at6native12_GLOBAL__N_18offset_tEEE10hipError_tPvRmT1_PNSt15iterator_traitsISK_E10value_typeET2_T3_PNSL_ISQ_E10value_typeET4_jRbjT5_SW_jjP12ihipStream_tbEUlT_E2_NS1_11comp_targetILNS1_3genE9ELNS1_11target_archE1100ELNS1_3gpuE3ELNS1_3repE0EEENS1_30default_config_static_selectorELNS0_4arch9wavefront6targetE0EEEvSK_.numbered_sgpr, 0
	.set _ZN7rocprim17ROCPRIM_400000_NS6detail17trampoline_kernelINS0_14default_configENS1_36segmented_radix_sort_config_selectorIflEEZNS1_25segmented_radix_sort_implIS3_Lb0EPKfPfPKlPlN2at6native12_GLOBAL__N_18offset_tEEE10hipError_tPvRmT1_PNSt15iterator_traitsISK_E10value_typeET2_T3_PNSL_ISQ_E10value_typeET4_jRbjT5_SW_jjP12ihipStream_tbEUlT_E2_NS1_11comp_targetILNS1_3genE9ELNS1_11target_archE1100ELNS1_3gpuE3ELNS1_3repE0EEENS1_30default_config_static_selectorELNS0_4arch9wavefront6targetE0EEEvSK_.num_named_barrier, 0
	.set _ZN7rocprim17ROCPRIM_400000_NS6detail17trampoline_kernelINS0_14default_configENS1_36segmented_radix_sort_config_selectorIflEEZNS1_25segmented_radix_sort_implIS3_Lb0EPKfPfPKlPlN2at6native12_GLOBAL__N_18offset_tEEE10hipError_tPvRmT1_PNSt15iterator_traitsISK_E10value_typeET2_T3_PNSL_ISQ_E10value_typeET4_jRbjT5_SW_jjP12ihipStream_tbEUlT_E2_NS1_11comp_targetILNS1_3genE9ELNS1_11target_archE1100ELNS1_3gpuE3ELNS1_3repE0EEENS1_30default_config_static_selectorELNS0_4arch9wavefront6targetE0EEEvSK_.private_seg_size, 0
	.set _ZN7rocprim17ROCPRIM_400000_NS6detail17trampoline_kernelINS0_14default_configENS1_36segmented_radix_sort_config_selectorIflEEZNS1_25segmented_radix_sort_implIS3_Lb0EPKfPfPKlPlN2at6native12_GLOBAL__N_18offset_tEEE10hipError_tPvRmT1_PNSt15iterator_traitsISK_E10value_typeET2_T3_PNSL_ISQ_E10value_typeET4_jRbjT5_SW_jjP12ihipStream_tbEUlT_E2_NS1_11comp_targetILNS1_3genE9ELNS1_11target_archE1100ELNS1_3gpuE3ELNS1_3repE0EEENS1_30default_config_static_selectorELNS0_4arch9wavefront6targetE0EEEvSK_.uses_vcc, 0
	.set _ZN7rocprim17ROCPRIM_400000_NS6detail17trampoline_kernelINS0_14default_configENS1_36segmented_radix_sort_config_selectorIflEEZNS1_25segmented_radix_sort_implIS3_Lb0EPKfPfPKlPlN2at6native12_GLOBAL__N_18offset_tEEE10hipError_tPvRmT1_PNSt15iterator_traitsISK_E10value_typeET2_T3_PNSL_ISQ_E10value_typeET4_jRbjT5_SW_jjP12ihipStream_tbEUlT_E2_NS1_11comp_targetILNS1_3genE9ELNS1_11target_archE1100ELNS1_3gpuE3ELNS1_3repE0EEENS1_30default_config_static_selectorELNS0_4arch9wavefront6targetE0EEEvSK_.uses_flat_scratch, 0
	.set _ZN7rocprim17ROCPRIM_400000_NS6detail17trampoline_kernelINS0_14default_configENS1_36segmented_radix_sort_config_selectorIflEEZNS1_25segmented_radix_sort_implIS3_Lb0EPKfPfPKlPlN2at6native12_GLOBAL__N_18offset_tEEE10hipError_tPvRmT1_PNSt15iterator_traitsISK_E10value_typeET2_T3_PNSL_ISQ_E10value_typeET4_jRbjT5_SW_jjP12ihipStream_tbEUlT_E2_NS1_11comp_targetILNS1_3genE9ELNS1_11target_archE1100ELNS1_3gpuE3ELNS1_3repE0EEENS1_30default_config_static_selectorELNS0_4arch9wavefront6targetE0EEEvSK_.has_dyn_sized_stack, 0
	.set _ZN7rocprim17ROCPRIM_400000_NS6detail17trampoline_kernelINS0_14default_configENS1_36segmented_radix_sort_config_selectorIflEEZNS1_25segmented_radix_sort_implIS3_Lb0EPKfPfPKlPlN2at6native12_GLOBAL__N_18offset_tEEE10hipError_tPvRmT1_PNSt15iterator_traitsISK_E10value_typeET2_T3_PNSL_ISQ_E10value_typeET4_jRbjT5_SW_jjP12ihipStream_tbEUlT_E2_NS1_11comp_targetILNS1_3genE9ELNS1_11target_archE1100ELNS1_3gpuE3ELNS1_3repE0EEENS1_30default_config_static_selectorELNS0_4arch9wavefront6targetE0EEEvSK_.has_recursion, 0
	.set _ZN7rocprim17ROCPRIM_400000_NS6detail17trampoline_kernelINS0_14default_configENS1_36segmented_radix_sort_config_selectorIflEEZNS1_25segmented_radix_sort_implIS3_Lb0EPKfPfPKlPlN2at6native12_GLOBAL__N_18offset_tEEE10hipError_tPvRmT1_PNSt15iterator_traitsISK_E10value_typeET2_T3_PNSL_ISQ_E10value_typeET4_jRbjT5_SW_jjP12ihipStream_tbEUlT_E2_NS1_11comp_targetILNS1_3genE9ELNS1_11target_archE1100ELNS1_3gpuE3ELNS1_3repE0EEENS1_30default_config_static_selectorELNS0_4arch9wavefront6targetE0EEEvSK_.has_indirect_call, 0
	.section	.AMDGPU.csdata,"",@progbits
; Kernel info:
; codeLenInByte = 0
; TotalNumSgprs: 0
; NumVgprs: 0
; ScratchSize: 0
; MemoryBound: 0
; FloatMode: 240
; IeeeMode: 1
; LDSByteSize: 0 bytes/workgroup (compile time only)
; SGPRBlocks: 0
; VGPRBlocks: 0
; NumSGPRsForWavesPerEU: 1
; NumVGPRsForWavesPerEU: 1
; Occupancy: 16
; WaveLimiterHint : 0
; COMPUTE_PGM_RSRC2:SCRATCH_EN: 0
; COMPUTE_PGM_RSRC2:USER_SGPR: 6
; COMPUTE_PGM_RSRC2:TRAP_HANDLER: 0
; COMPUTE_PGM_RSRC2:TGID_X_EN: 1
; COMPUTE_PGM_RSRC2:TGID_Y_EN: 0
; COMPUTE_PGM_RSRC2:TGID_Z_EN: 0
; COMPUTE_PGM_RSRC2:TIDIG_COMP_CNT: 0
	.section	.text._ZN7rocprim17ROCPRIM_400000_NS6detail17trampoline_kernelINS0_14default_configENS1_36segmented_radix_sort_config_selectorIflEEZNS1_25segmented_radix_sort_implIS3_Lb0EPKfPfPKlPlN2at6native12_GLOBAL__N_18offset_tEEE10hipError_tPvRmT1_PNSt15iterator_traitsISK_E10value_typeET2_T3_PNSL_ISQ_E10value_typeET4_jRbjT5_SW_jjP12ihipStream_tbEUlT_E2_NS1_11comp_targetILNS1_3genE8ELNS1_11target_archE1030ELNS1_3gpuE2ELNS1_3repE0EEENS1_30default_config_static_selectorELNS0_4arch9wavefront6targetE0EEEvSK_,"axG",@progbits,_ZN7rocprim17ROCPRIM_400000_NS6detail17trampoline_kernelINS0_14default_configENS1_36segmented_radix_sort_config_selectorIflEEZNS1_25segmented_radix_sort_implIS3_Lb0EPKfPfPKlPlN2at6native12_GLOBAL__N_18offset_tEEE10hipError_tPvRmT1_PNSt15iterator_traitsISK_E10value_typeET2_T3_PNSL_ISQ_E10value_typeET4_jRbjT5_SW_jjP12ihipStream_tbEUlT_E2_NS1_11comp_targetILNS1_3genE8ELNS1_11target_archE1030ELNS1_3gpuE2ELNS1_3repE0EEENS1_30default_config_static_selectorELNS0_4arch9wavefront6targetE0EEEvSK_,comdat
	.globl	_ZN7rocprim17ROCPRIM_400000_NS6detail17trampoline_kernelINS0_14default_configENS1_36segmented_radix_sort_config_selectorIflEEZNS1_25segmented_radix_sort_implIS3_Lb0EPKfPfPKlPlN2at6native12_GLOBAL__N_18offset_tEEE10hipError_tPvRmT1_PNSt15iterator_traitsISK_E10value_typeET2_T3_PNSL_ISQ_E10value_typeET4_jRbjT5_SW_jjP12ihipStream_tbEUlT_E2_NS1_11comp_targetILNS1_3genE8ELNS1_11target_archE1030ELNS1_3gpuE2ELNS1_3repE0EEENS1_30default_config_static_selectorELNS0_4arch9wavefront6targetE0EEEvSK_ ; -- Begin function _ZN7rocprim17ROCPRIM_400000_NS6detail17trampoline_kernelINS0_14default_configENS1_36segmented_radix_sort_config_selectorIflEEZNS1_25segmented_radix_sort_implIS3_Lb0EPKfPfPKlPlN2at6native12_GLOBAL__N_18offset_tEEE10hipError_tPvRmT1_PNSt15iterator_traitsISK_E10value_typeET2_T3_PNSL_ISQ_E10value_typeET4_jRbjT5_SW_jjP12ihipStream_tbEUlT_E2_NS1_11comp_targetILNS1_3genE8ELNS1_11target_archE1030ELNS1_3gpuE2ELNS1_3repE0EEENS1_30default_config_static_selectorELNS0_4arch9wavefront6targetE0EEEvSK_
	.p2align	8
	.type	_ZN7rocprim17ROCPRIM_400000_NS6detail17trampoline_kernelINS0_14default_configENS1_36segmented_radix_sort_config_selectorIflEEZNS1_25segmented_radix_sort_implIS3_Lb0EPKfPfPKlPlN2at6native12_GLOBAL__N_18offset_tEEE10hipError_tPvRmT1_PNSt15iterator_traitsISK_E10value_typeET2_T3_PNSL_ISQ_E10value_typeET4_jRbjT5_SW_jjP12ihipStream_tbEUlT_E2_NS1_11comp_targetILNS1_3genE8ELNS1_11target_archE1030ELNS1_3gpuE2ELNS1_3repE0EEENS1_30default_config_static_selectorELNS0_4arch9wavefront6targetE0EEEvSK_,@function
_ZN7rocprim17ROCPRIM_400000_NS6detail17trampoline_kernelINS0_14default_configENS1_36segmented_radix_sort_config_selectorIflEEZNS1_25segmented_radix_sort_implIS3_Lb0EPKfPfPKlPlN2at6native12_GLOBAL__N_18offset_tEEE10hipError_tPvRmT1_PNSt15iterator_traitsISK_E10value_typeET2_T3_PNSL_ISQ_E10value_typeET4_jRbjT5_SW_jjP12ihipStream_tbEUlT_E2_NS1_11comp_targetILNS1_3genE8ELNS1_11target_archE1030ELNS1_3gpuE2ELNS1_3repE0EEENS1_30default_config_static_selectorELNS0_4arch9wavefront6targetE0EEEvSK_: ; @_ZN7rocprim17ROCPRIM_400000_NS6detail17trampoline_kernelINS0_14default_configENS1_36segmented_radix_sort_config_selectorIflEEZNS1_25segmented_radix_sort_implIS3_Lb0EPKfPfPKlPlN2at6native12_GLOBAL__N_18offset_tEEE10hipError_tPvRmT1_PNSt15iterator_traitsISK_E10value_typeET2_T3_PNSL_ISQ_E10value_typeET4_jRbjT5_SW_jjP12ihipStream_tbEUlT_E2_NS1_11comp_targetILNS1_3genE8ELNS1_11target_archE1030ELNS1_3gpuE2ELNS1_3repE0EEENS1_30default_config_static_selectorELNS0_4arch9wavefront6targetE0EEEvSK_
; %bb.0:
	s_add_u32 s0, s0, s8
	s_load_dwordx4 s[8:11], s[4:5], 0x34
	s_addc_u32 s1, s1, 0
	s_mov_b32 s32, 0
	s_waitcnt lgkmcnt(0)
	s_add_i32 s58, s9, s6
	s_add_i32 s59, s11, s6
	s_mul_i32 s58, s58, s8
	s_mul_i32 s59, s59, s10
	s_cmp_le_u32 s59, s58
	s_cbranch_scc1 .LBB1458_1198
; %bb.1:
	s_clause 0x3
	s_load_dword s8, s[4:5], 0x30
	s_load_dwordx4 s[48:51], s[4:5], 0x20
	s_load_dwordx4 s[52:55], s[4:5], 0x44
	s_load_dwordx8 s[40:47], s[4:5], 0x0
	s_waitcnt lgkmcnt(0)
	s_bitcmp1_b32 s8, 0
	s_mov_b32 s8, -1
	s_cselect_b32 s55, -1, 0
	s_sub_i32 s60, s59, s58
	s_cmpk_lt_u32 s60, 0x1001
	s_cbranch_scc0 .LBB1458_15
; %bb.2:
	s_cmpk_lt_u32 s60, 0x41
	s_cbranch_scc0 .LBB1458_9
; %bb.3:
	s_load_dword s8, s[4:5], 0x5c
	s_mov_b32 s23, exec_lo
	s_waitcnt lgkmcnt(0)
	s_lshr_b32 s9, s8, 16
	s_and_b32 s8, s8, 0xffff
	v_mad_u32_u24 v3, v2, s9, v1
	v_mad_u64_u32 v[3:4], null, v3, s8, v[0:1]
	v_cmpx_gt_u32_e32 8, v3
	s_cbranch_execz .LBB1458_8
; %bb.4:
	v_cndmask_b32_e64 v3, 0, 1, s55
	s_and_b32 s8, s52, 1
	v_cmp_ne_u32_e32 vcc_lo, s8, v3
	s_mov_b32 s8, -1
	s_cbranch_vccnz .LBB1458_6
; %bb.5:
	v_lshlrev_b32_e32 v3, 20, v2
	v_lshlrev_b32_e32 v4, 10, v1
	s_mov_b64 s[10:11], src_shared_base
	v_mov_b32_e32 v40, v0
	v_mov_b32_e32 v41, v1
	;; [unrolled: 1-line block ×3, first 2 shown]
	v_or3_b32 v31, v0, v4, v3
	v_mov_b32_e32 v0, s40
	v_mov_b32_e32 v42, v2
	;; [unrolled: 1-line block ×12, first 2 shown]
	s_add_u32 s8, s4, 0x50
	s_addc_u32 s9, s5, 0
	s_getpc_b64 s[14:15]
	s_add_u32 s14, s14, _ZN7rocprim17ROCPRIM_400000_NS6detail26segmented_warp_sort_helperINS1_20WarpSortHelperConfigILj8ELj8ELj256EEEflLi256ELb0EvE4sortIPKfPfPKlPlEEvT_T0_T1_T2_jjjjRNS5_12storage_typeE@rel32@lo+4
	s_addc_u32 s15, s15, _ZN7rocprim17ROCPRIM_400000_NS6detail26segmented_warp_sort_helperINS1_20WarpSortHelperConfigILj8ELj8ELj256EEEflLi256ELb0EvE4sortIPKfPfPKlPlEEvT_T0_T1_T2_jjjjRNS5_12storage_typeE@rel32@hi+12
	s_mov_b32 s12, s6
	s_mov_b32 s13, s7
	s_mov_b64 s[24:25], s[4:5]
	s_mov_b32 s26, s7
	s_mov_b32 s27, s6
	s_swappc_b64 s[30:31], s[14:15]
	v_mov_b32_e32 v1, v41
	v_mov_b32_e32 v2, v42
	;; [unrolled: 1-line block ×3, first 2 shown]
	s_mov_b32 s6, s27
	s_mov_b32 s7, s26
	s_mov_b64 s[4:5], s[24:25]
	s_mov_b32 s8, 0
.LBB1458_6:
	s_andn2_b32 vcc_lo, exec_lo, s8
	s_cbranch_vccnz .LBB1458_8
; %bb.7:
	v_lshlrev_b32_e32 v3, 20, v2
	v_lshlrev_b32_e32 v4, 10, v1
	s_mov_b64 s[10:11], src_shared_base
	v_mov_b32_e32 v40, v0
	v_mov_b32_e32 v41, v1
	v_mov_b32_e32 v1, s41
	v_or3_b32 v31, v0, v4, v3
	v_mov_b32_e32 v0, s40
	v_mov_b32_e32 v42, v2
	;; [unrolled: 1-line block ×12, first 2 shown]
	s_add_u32 s8, s4, 0x50
	s_addc_u32 s9, s5, 0
	s_getpc_b64 s[14:15]
	s_add_u32 s14, s14, _ZN7rocprim17ROCPRIM_400000_NS6detail26segmented_warp_sort_helperINS1_20WarpSortHelperConfigILj8ELj8ELj256EEEflLi256ELb0EvE4sortIPKfPfPKlPlEEvT_T0_T1_T2_jjjjRNS5_12storage_typeE@rel32@lo+4
	s_addc_u32 s15, s15, _ZN7rocprim17ROCPRIM_400000_NS6detail26segmented_warp_sort_helperINS1_20WarpSortHelperConfigILj8ELj8ELj256EEEflLi256ELb0EvE4sortIPKfPfPKlPlEEvT_T0_T1_T2_jjjjRNS5_12storage_typeE@rel32@hi+12
	s_mov_b32 s12, s6
	s_mov_b32 s13, s7
	s_mov_b64 s[24:25], s[4:5]
	s_mov_b32 s27, s7
	s_mov_b32 s26, s6
	s_swappc_b64 s[30:31], s[14:15]
	v_mov_b32_e32 v1, v41
	v_mov_b32_e32 v2, v42
	;; [unrolled: 1-line block ×3, first 2 shown]
	s_mov_b32 s6, s26
	s_mov_b32 s7, s27
	s_mov_b64 s[4:5], s[24:25]
.LBB1458_8:
	s_or_b32 exec_lo, exec_lo, s23
	s_mov_b32 s8, 0
.LBB1458_9:
	s_andn2_b32 vcc_lo, exec_lo, s8
	s_cbranch_vccnz .LBB1458_14
; %bb.10:
	v_cndmask_b32_e64 v3, 0, 1, s55
	s_and_b32 s8, s52, 1
	v_lshlrev_b32_e32 v41, 20, v2
	v_lshlrev_b32_e32 v42, 10, v1
	v_cmp_ne_u32_e32 vcc_lo, s8, v3
	s_mov_b32 s8, -1
	s_cbranch_vccnz .LBB1458_12
; %bb.11:
	s_mov_b64 s[10:11], src_shared_base
	v_or3_b32 v31, v0, v42, v41
	v_mov_b32_e32 v40, v0
	v_mov_b32_e32 v0, s40
	v_mov_b32_e32 v43, v1
	v_mov_b32_e32 v1, s41
	v_mov_b32_e32 v44, v2
	v_mov_b32_e32 v2, s44
	v_mov_b32_e32 v3, s45
	v_mov_b32_e32 v4, s46
	v_mov_b32_e32 v5, s47
	v_mov_b32_e32 v6, s50
	v_mov_b32_e32 v7, s51
	v_mov_b32_e32 v8, s58
	v_mov_b32_e32 v9, s59
	v_mov_b32_e32 v10, s53
	v_mov_b32_e32 v11, s54
	v_mov_b32_e32 v12, 0
	v_mov_b32_e32 v13, s11
	s_add_u32 s8, s4, 0x50
	s_addc_u32 s9, s5, 0
	s_getpc_b64 s[14:15]
	s_add_u32 s14, s14, _ZN7rocprim17ROCPRIM_400000_NS6detail40segmented_radix_sort_single_block_helperIflLj256ELj16ELb0EE4sortIPKfPfPKlPlEEbT_T0_T1_T2_jjjjRNS3_12storage_typeE@rel32@lo+4
	s_addc_u32 s15, s15, _ZN7rocprim17ROCPRIM_400000_NS6detail40segmented_radix_sort_single_block_helperIflLj256ELj16ELb0EE4sortIPKfPfPKlPlEEbT_T0_T1_T2_jjjjRNS3_12storage_typeE@rel32@hi+12
	s_mov_b32 s12, s6
	s_mov_b32 s13, s7
	s_mov_b64 s[28:29], s[4:5]
	s_mov_b32 s27, s7
	s_mov_b32 s33, s6
	s_swappc_b64 s[30:31], s[14:15]
	v_mov_b32_e32 v1, v43
	v_mov_b32_e32 v2, v44
	;; [unrolled: 1-line block ×3, first 2 shown]
	s_mov_b32 s6, s33
	s_mov_b32 s7, s27
	s_mov_b64 s[4:5], s[28:29]
	s_mov_b32 s8, 0
.LBB1458_12:
	s_andn2_b32 vcc_lo, exec_lo, s8
	s_cbranch_vccnz .LBB1458_14
; %bb.13:
	s_mov_b64 s[10:11], src_shared_base
	v_or3_b32 v31, v0, v42, v41
	v_mov_b32_e32 v40, v0
	v_mov_b32_e32 v0, s40
	;; [unrolled: 1-line block ×17, first 2 shown]
	s_add_u32 s8, s4, 0x50
	s_addc_u32 s9, s5, 0
	s_getpc_b64 s[14:15]
	s_add_u32 s14, s14, _ZN7rocprim17ROCPRIM_400000_NS6detail40segmented_radix_sort_single_block_helperIflLj256ELj16ELb0EE4sortIPKfPfPKlPlEEbT_T0_T1_T2_jjjjRNS3_12storage_typeE@rel32@lo+4
	s_addc_u32 s15, s15, _ZN7rocprim17ROCPRIM_400000_NS6detail40segmented_radix_sort_single_block_helperIflLj256ELj16ELb0EE4sortIPKfPfPKlPlEEbT_T0_T1_T2_jjjjRNS3_12storage_typeE@rel32@hi+12
	s_mov_b32 s12, s6
	s_mov_b32 s13, s7
	s_mov_b64 s[28:29], s[4:5]
	s_mov_b32 s33, s7
	s_mov_b32 s27, s6
	s_swappc_b64 s[30:31], s[14:15]
	v_mov_b32_e32 v1, v41
	v_mov_b32_e32 v2, v42
	;; [unrolled: 1-line block ×3, first 2 shown]
	s_mov_b32 s6, s27
	s_mov_b32 s7, s33
	s_mov_b64 s[4:5], s[28:29]
.LBB1458_14:
	s_mov_b32 s8, 0
.LBB1458_15:
	s_andn2_b32 vcc_lo, exec_lo, s8
	s_cbranch_vccnz .LBB1458_1198
; %bb.16:
	s_cmp_ge_u32 s53, s54
	s_cbranch_scc1 .LBB1458_1198
; %bb.17:
	v_and_b32_e32 v5, 0xe0, v0
	v_and_b32_e32 v3, 3, v0
	v_lshlrev_b32_e32 v41, 2, v0
	v_lshrrev_b32_e32 v7, 3, v0
	s_add_u32 s56, s4, 0x50
	v_min_u32_e32 v6, 0x60, v5
	v_lshlrev_b32_e32 v59, 2, v3
	v_mad_u32_u24 v61, v0, 12, v41
	v_and_b32_e32 v60, 28, v7
	v_add_nc_u32_e32 v7, 1, v0
	v_or_b32_e32 v3, 31, v6
	v_lshlrev_b32_e32 v6, 4, v0
	v_add_nc_u32_e32 v65, v61, v41
	v_mbcnt_lo_u32_b32 v79, -1, 0
	v_mul_u32_u24_e32 v67, 36, v7
	v_cmp_eq_u32_e64 s9, v0, v3
	v_or_b32_e32 v3, 31, v5
	v_and_b32_e32 v5, 0xe00, v6
	v_sub_nc_u32_e32 v66, v65, v6
	v_cmp_ne_u32_e64 s14, 0x80, v7
	v_lshlrev_b32_e32 v102, 3, v79
	v_cmp_eq_u32_e64 s4, v0, v3
	v_lshlrev_b32_e32 v3, 3, v5
	v_lshlrev_b32_e32 v6, 2, v5
	;; [unrolled: 1-line block ×3, first 2 shown]
	v_or_b32_e32 v45, 0x200, v0
	v_or_b32_e32 v46, 0x300, v0
	v_add_co_u32 v7, s15, s50, v3
	v_add_co_ci_u32_e64 v8, null, s51, 0, s15
	v_add_co_u32 v9, s15, s44, v6
	v_add_co_ci_u32_e64 v10, null, s45, 0, s15
	;; [unrolled: 2-line block ×5, first 2 shown]
	v_add_co_u32 v75, s15, s40, v41
	v_or_b32_e32 v47, 0x400, v0
	v_or_b32_e32 v48, 0x500, v0
	;; [unrolled: 1-line block ×13, first 2 shown]
	v_add_co_ci_u32_e64 v76, null, s41, 0, s15
	v_add_co_u32 v77, s15, s46, v3
	v_add_co_u32 v106, vcc_lo, v7, v102
	v_add_co_u32 v43, s8, s44, v41
	v_add_co_ci_u32_e64 v78, null, s47, 0, s15
	v_add_co_u32 v80, s15, s40, v6
	v_add_co_ci_u32_e64 v107, null, 0, v8, vcc_lo
	v_add_co_u32 v124, vcc_lo, v9, v120
	v_mov_b32_e32 v4, 0
	v_or_b32_e32 v42, 0x100, v0
	v_add_co_ci_u32_e64 v44, null, s45, 0, s8
	v_cmp_gt_u32_e64 s8, 0x80, v0
	v_or_b32_e32 v62, 0x8200, v60
	v_cmp_gt_u32_e64 s10, 4, v0
	v_add_nc_u32_e32 v63, 0x8200, v41
	v_cmp_lt_u32_e64 s11, 31, v0
	v_add_nc_u32_e32 v64, 0x81fc, v60
	v_cmp_gt_u32_e64 s12, 8, v0
	v_cmp_eq_u32_e64 s13, 0, v0
	v_lshl_add_u32 v68, v0, 5, v66
	v_add_co_ci_u32_e64 v81, null, s41, 0, s15
	v_mov_b32_e32 v82, 1
	v_and_b32_e32 v83, 15, v79
	v_bfe_i32 v84, v79, 4, 1
	v_and_b32_e32 v85, 16, v79
	v_lshlrev_b32_e32 v86, 2, v0
	v_lshlrev_b32_e32 v87, 2, v45
	;; [unrolled: 1-line block ×15, first 2 shown]
	v_and_b32_e32 v101, 3, v79
	v_sub_co_u32 v103, s15, v79, 1
	v_and_b32_e32 v104, 7, v79
	v_or_b32_e32 v108, 32, v105
	v_or_b32_e32 v109, 64, v105
	;; [unrolled: 1-line block ×15, first 2 shown]
	v_add_co_ci_u32_e64 v125, null, 0, v10, vcc_lo
	s_addc_u32 s57, s5, 0
	s_mov_b32 s47, 0
	s_mov_b32 s52, s53
	s_branch .LBB1458_20
.LBB1458_18:                            ;   in Loop: Header=BB1458_20 Depth=1
	s_waitcnt lgkmcnt(0)
	s_barrier
.LBB1458_19:                            ;   in Loop: Header=BB1458_20 Depth=1
	s_add_i32 s52, s52, 7
	buffer_gl0_inv
	s_cmp_ge_u32 s52, s54
	s_cbranch_scc1 .LBB1458_1198
.LBB1458_20:                            ; =>This Loop Header: Depth=1
                                        ;     Child Loop BB1458_24 Depth 2
                                        ;     Child Loop BB1458_104 Depth 2
	;; [unrolled: 1-line block ×8, first 2 shown]
	s_sub_i32 s5, s54, s52
	s_xor_b32 s55, s55, -1
	s_min_u32 s5, s5, 7
	ds_write2st64_b32 v41, v4, v4 offset1:4
	s_lshl_b32 s5, -1, s5
	s_waitcnt lgkmcnt(0)
	s_waitcnt_vscnt null, 0x0
	s_not_b32 s61, s5
	s_cmp_lg_u32 s52, s53
	s_mov_b32 s5, -1
	s_cbranch_scc0 .LBB1458_610
; %bb.21:                               ;   in Loop: Header=BB1458_20 Depth=1
	s_and_b32 vcc_lo, exec_lo, s55
	s_cbranch_vccz .LBB1458_315
; %bb.22:                               ;   in Loop: Header=BB1458_20 Depth=1
	s_mov_b32 s5, s60
	s_mov_b32 s46, s58
	s_barrier
	buffer_gl0_inv
                                        ; implicit-def: $vgpr3
                                        ; implicit-def: $vgpr5
                                        ; implicit-def: $vgpr6
                                        ; implicit-def: $vgpr7
                                        ; implicit-def: $vgpr8
                                        ; implicit-def: $vgpr9
                                        ; implicit-def: $vgpr10
                                        ; implicit-def: $vgpr11
                                        ; implicit-def: $vgpr12
                                        ; implicit-def: $vgpr13
                                        ; implicit-def: $vgpr14
                                        ; implicit-def: $vgpr15
                                        ; implicit-def: $vgpr16
                                        ; implicit-def: $vgpr17
                                        ; implicit-def: $vgpr18
                                        ; implicit-def: $vgpr19
	s_branch .LBB1458_24
.LBB1458_23:                            ;   in Loop: Header=BB1458_24 Depth=2
	s_or_b32 exec_lo, exec_lo, s16
	s_addk_i32 s5, 0xf000
	s_cmp_ge_u32 s18, s59
	s_mov_b32 s46, s18
	s_cbranch_scc1 .LBB1458_92
.LBB1458_24:                            ;   Parent Loop BB1458_20 Depth=1
                                        ; =>  This Inner Loop Header: Depth=2
	s_add_i32 s18, s46, 0x1000
	s_mov_b32 s16, -1
	s_cmp_gt_u32 s18, s59
                                        ; implicit-def: $vgpr20
                                        ; implicit-def: $vgpr21
                                        ; implicit-def: $vgpr24
                                        ; implicit-def: $vgpr22
                                        ; implicit-def: $vgpr26
                                        ; implicit-def: $vgpr23
                                        ; implicit-def: $vgpr28
                                        ; implicit-def: $vgpr25
                                        ; implicit-def: $vgpr30
                                        ; implicit-def: $vgpr27
                                        ; implicit-def: $vgpr31
                                        ; implicit-def: $vgpr29
                                        ; implicit-def: $vgpr33
                                        ; implicit-def: $vgpr32
                                        ; implicit-def: $vgpr34
                                        ; implicit-def: $vgpr35
	s_cbranch_scc1 .LBB1458_26
; %bb.25:                               ;   in Loop: Header=BB1458_24 Depth=2
	s_lshl_b64 s[16:17], s[46:47], 2
	v_add_co_u32 v30, vcc_lo, v43, s16
	v_add_co_ci_u32_e64 v31, null, s17, v44, vcc_lo
	s_mov_b32 s16, 0
	v_add_co_u32 v22, vcc_lo, 0x800, v30
	v_add_co_ci_u32_e64 v23, null, 0, v31, vcc_lo
	v_add_co_u32 v33, vcc_lo, v30, 0x1000
	v_add_co_ci_u32_e64 v34, null, 0, v31, vcc_lo
	;; [unrolled: 2-line block ×9, first 2 shown]
	s_clause 0x7
	global_load_dword v20, v[30:31], off
	global_load_dword v21, v[30:31], off offset:1024
	global_load_dword v22, v[22:23], off offset:1024
	;; [unrolled: 1-line block ×7, first 2 shown]
	v_add_co_u32 v37, vcc_lo, 0x3800, v30
	v_add_co_ci_u32_e64 v38, null, 0, v31, vcc_lo
	s_clause 0x7
	global_load_dword v24, v[33:34], off offset:-2048
	global_load_dword v26, v[33:34], off
	global_load_dword v28, v[35:36], off offset:-2048
	global_load_dword v30, v[35:36], off
	;; [unrolled: 2-line block ×3, first 2 shown]
	global_load_dword v34, v[37:38], off
	global_load_dword v35, v[37:38], off offset:1024
.LBB1458_26:                            ;   in Loop: Header=BB1458_24 Depth=2
	s_andn2_b32 vcc_lo, exec_lo, s16
	s_movk_i32 s16, 0x1000
	s_cbranch_vccnz .LBB1458_45
; %bb.27:                               ;   in Loop: Header=BB1458_24 Depth=2
	s_lshl_b64 s[16:17], s[46:47], 2
	s_mov_b32 s19, exec_lo
	s_add_u32 s16, s44, s16
	s_addc_u32 s17, s45, s17
	v_cmpx_gt_u32_e64 s5, v0
	s_cbranch_execnz .LBB1458_77
; %bb.28:                               ;   in Loop: Header=BB1458_24 Depth=2
	s_or_b32 exec_lo, exec_lo, s19
	s_mov_b32 s19, exec_lo
	v_cmpx_gt_u32_e64 s5, v42
	s_cbranch_execnz .LBB1458_78
.LBB1458_29:                            ;   in Loop: Header=BB1458_24 Depth=2
	s_or_b32 exec_lo, exec_lo, s19
	s_mov_b32 s19, exec_lo
	v_cmpx_gt_u32_e64 s5, v45
	s_cbranch_execnz .LBB1458_79
.LBB1458_30:                            ;   in Loop: Header=BB1458_24 Depth=2
	s_or_b32 exec_lo, exec_lo, s19
	s_mov_b32 s19, exec_lo
	v_cmpx_gt_u32_e64 s5, v46
	s_cbranch_execnz .LBB1458_80
.LBB1458_31:                            ;   in Loop: Header=BB1458_24 Depth=2
	s_or_b32 exec_lo, exec_lo, s19
	s_mov_b32 s19, exec_lo
	v_cmpx_gt_u32_e64 s5, v47
	s_cbranch_execnz .LBB1458_81
.LBB1458_32:                            ;   in Loop: Header=BB1458_24 Depth=2
	s_or_b32 exec_lo, exec_lo, s19
	s_mov_b32 s19, exec_lo
	v_cmpx_gt_u32_e64 s5, v48
	s_cbranch_execnz .LBB1458_82
.LBB1458_33:                            ;   in Loop: Header=BB1458_24 Depth=2
	s_or_b32 exec_lo, exec_lo, s19
	s_mov_b32 s19, exec_lo
	v_cmpx_gt_u32_e64 s5, v49
	s_cbranch_execnz .LBB1458_83
.LBB1458_34:                            ;   in Loop: Header=BB1458_24 Depth=2
	s_or_b32 exec_lo, exec_lo, s19
	s_mov_b32 s19, exec_lo
	v_cmpx_gt_u32_e64 s5, v50
	s_cbranch_execnz .LBB1458_84
.LBB1458_35:                            ;   in Loop: Header=BB1458_24 Depth=2
	s_or_b32 exec_lo, exec_lo, s19
	s_mov_b32 s19, exec_lo
	v_cmpx_gt_u32_e64 s5, v51
	s_cbranch_execnz .LBB1458_85
.LBB1458_36:                            ;   in Loop: Header=BB1458_24 Depth=2
	s_or_b32 exec_lo, exec_lo, s19
	s_mov_b32 s19, exec_lo
	v_cmpx_gt_u32_e64 s5, v52
	s_cbranch_execnz .LBB1458_86
.LBB1458_37:                            ;   in Loop: Header=BB1458_24 Depth=2
	s_or_b32 exec_lo, exec_lo, s19
	s_mov_b32 s19, exec_lo
	v_cmpx_gt_u32_e64 s5, v53
	s_cbranch_execnz .LBB1458_87
.LBB1458_38:                            ;   in Loop: Header=BB1458_24 Depth=2
	s_or_b32 exec_lo, exec_lo, s19
	s_mov_b32 s19, exec_lo
	v_cmpx_gt_u32_e64 s5, v54
	s_cbranch_execnz .LBB1458_88
.LBB1458_39:                            ;   in Loop: Header=BB1458_24 Depth=2
	s_or_b32 exec_lo, exec_lo, s19
	s_mov_b32 s19, exec_lo
	v_cmpx_gt_u32_e64 s5, v55
	s_cbranch_execnz .LBB1458_89
.LBB1458_40:                            ;   in Loop: Header=BB1458_24 Depth=2
	s_or_b32 exec_lo, exec_lo, s19
	s_mov_b32 s19, exec_lo
	v_cmpx_gt_u32_e64 s5, v56
	s_cbranch_execnz .LBB1458_90
.LBB1458_41:                            ;   in Loop: Header=BB1458_24 Depth=2
	s_or_b32 exec_lo, exec_lo, s19
	s_mov_b32 s19, exec_lo
	v_cmpx_gt_u32_e64 s5, v57
	s_cbranch_execnz .LBB1458_91
.LBB1458_42:                            ;   in Loop: Header=BB1458_24 Depth=2
	s_or_b32 exec_lo, exec_lo, s19
	s_mov_b32 s19, exec_lo
	v_cmpx_gt_u32_e64 s5, v58
	s_cbranch_execz .LBB1458_44
.LBB1458_43:                            ;   in Loop: Header=BB1458_24 Depth=2
	global_load_dword v3, v100, s[16:17]
.LBB1458_44:                            ;   in Loop: Header=BB1458_24 Depth=2
	s_or_b32 exec_lo, exec_lo, s19
	s_waitcnt vmcnt(0)
	v_mov_b32_e32 v20, v19
	v_mov_b32_e32 v21, v18
	v_mov_b32_e32 v24, v17
	v_mov_b32_e32 v22, v16
	v_mov_b32_e32 v26, v15
	v_mov_b32_e32 v23, v14
	v_mov_b32_e32 v28, v13
	v_mov_b32_e32 v25, v12
	v_mov_b32_e32 v30, v11
	v_mov_b32_e32 v27, v10
	v_mov_b32_e32 v31, v9
	v_mov_b32_e32 v29, v8
	v_mov_b32_e32 v33, v7
	v_mov_b32_e32 v32, v6
	v_mov_b32_e32 v34, v5
	v_mov_b32_e32 v35, v3
	s_mov_b32 s16, s5
.LBB1458_45:                            ;   in Loop: Header=BB1458_24 Depth=2
	s_waitcnt vmcnt(0)
	v_mov_b32_e32 v3, v35
	v_mov_b32_e32 v5, v34
	;; [unrolled: 1-line block ×16, first 2 shown]
	s_mov_b32 s17, exec_lo
	v_cmpx_gt_u32_e64 s16, v0
	s_cbranch_execnz .LBB1458_61
; %bb.46:                               ;   in Loop: Header=BB1458_24 Depth=2
	s_or_b32 exec_lo, exec_lo, s17
	s_mov_b32 s17, exec_lo
	v_cmpx_gt_u32_e64 s16, v42
	s_cbranch_execnz .LBB1458_62
.LBB1458_47:                            ;   in Loop: Header=BB1458_24 Depth=2
	s_or_b32 exec_lo, exec_lo, s17
	s_mov_b32 s17, exec_lo
	v_cmpx_gt_u32_e64 s16, v45
	s_cbranch_execnz .LBB1458_63
.LBB1458_48:                            ;   in Loop: Header=BB1458_24 Depth=2
	s_or_b32 exec_lo, exec_lo, s17
	s_mov_b32 s17, exec_lo
	v_cmpx_gt_u32_e64 s16, v46
	s_cbranch_execnz .LBB1458_64
.LBB1458_49:                            ;   in Loop: Header=BB1458_24 Depth=2
	s_or_b32 exec_lo, exec_lo, s17
	s_mov_b32 s17, exec_lo
	v_cmpx_gt_u32_e64 s16, v47
	s_cbranch_execnz .LBB1458_65
.LBB1458_50:                            ;   in Loop: Header=BB1458_24 Depth=2
	s_or_b32 exec_lo, exec_lo, s17
	s_mov_b32 s17, exec_lo
	v_cmpx_gt_u32_e64 s16, v48
	s_cbranch_execnz .LBB1458_66
.LBB1458_51:                            ;   in Loop: Header=BB1458_24 Depth=2
	s_or_b32 exec_lo, exec_lo, s17
	s_mov_b32 s17, exec_lo
	v_cmpx_gt_u32_e64 s16, v49
	s_cbranch_execnz .LBB1458_67
.LBB1458_52:                            ;   in Loop: Header=BB1458_24 Depth=2
	s_or_b32 exec_lo, exec_lo, s17
	s_mov_b32 s17, exec_lo
	v_cmpx_gt_u32_e64 s16, v50
	s_cbranch_execnz .LBB1458_68
.LBB1458_53:                            ;   in Loop: Header=BB1458_24 Depth=2
	s_or_b32 exec_lo, exec_lo, s17
	s_mov_b32 s17, exec_lo
	v_cmpx_gt_u32_e64 s16, v51
	s_cbranch_execnz .LBB1458_69
.LBB1458_54:                            ;   in Loop: Header=BB1458_24 Depth=2
	s_or_b32 exec_lo, exec_lo, s17
	s_mov_b32 s17, exec_lo
	v_cmpx_gt_u32_e64 s16, v52
	s_cbranch_execnz .LBB1458_70
.LBB1458_55:                            ;   in Loop: Header=BB1458_24 Depth=2
	s_or_b32 exec_lo, exec_lo, s17
	s_mov_b32 s17, exec_lo
	v_cmpx_gt_u32_e64 s16, v53
	s_cbranch_execnz .LBB1458_71
.LBB1458_56:                            ;   in Loop: Header=BB1458_24 Depth=2
	s_or_b32 exec_lo, exec_lo, s17
	s_mov_b32 s17, exec_lo
	v_cmpx_gt_u32_e64 s16, v54
	s_cbranch_execnz .LBB1458_72
.LBB1458_57:                            ;   in Loop: Header=BB1458_24 Depth=2
	s_or_b32 exec_lo, exec_lo, s17
	s_mov_b32 s17, exec_lo
	v_cmpx_gt_u32_e64 s16, v55
	s_cbranch_execnz .LBB1458_73
.LBB1458_58:                            ;   in Loop: Header=BB1458_24 Depth=2
	s_or_b32 exec_lo, exec_lo, s17
	s_mov_b32 s17, exec_lo
	v_cmpx_gt_u32_e64 s16, v56
	s_cbranch_execnz .LBB1458_74
.LBB1458_59:                            ;   in Loop: Header=BB1458_24 Depth=2
	s_or_b32 exec_lo, exec_lo, s17
	s_mov_b32 s17, exec_lo
	v_cmpx_gt_u32_e64 s16, v57
	s_cbranch_execnz .LBB1458_75
.LBB1458_60:                            ;   in Loop: Header=BB1458_24 Depth=2
	s_or_b32 exec_lo, exec_lo, s17
	v_cmp_gt_u32_e32 vcc_lo, s16, v58
	s_and_saveexec_b32 s16, vcc_lo
	s_cbranch_execz .LBB1458_23
	s_branch .LBB1458_76
.LBB1458_61:                            ;   in Loop: Header=BB1458_24 Depth=2
	v_cmp_lt_i32_e32 vcc_lo, -1, v19
	v_cndmask_b32_e64 v20, -1, 0x80000000, vcc_lo
	v_xor_b32_e32 v20, v20, v19
	v_cmp_ne_u32_e32 vcc_lo, 0x7fffffff, v20
	v_cndmask_b32_e32 v20, 0x80000000, v20, vcc_lo
	v_lshrrev_b32_e32 v20, s52, v20
	v_and_b32_e32 v20, s61, v20
	v_lshl_or_b32 v20, v20, 4, v59
	ds_add_u32 v20, v82
	s_or_b32 exec_lo, exec_lo, s17
	s_mov_b32 s17, exec_lo
	v_cmpx_gt_u32_e64 s16, v42
	s_cbranch_execz .LBB1458_47
.LBB1458_62:                            ;   in Loop: Header=BB1458_24 Depth=2
	v_cmp_lt_i32_e32 vcc_lo, -1, v18
	v_cndmask_b32_e64 v20, -1, 0x80000000, vcc_lo
	v_xor_b32_e32 v20, v20, v18
	v_cmp_ne_u32_e32 vcc_lo, 0x7fffffff, v20
	v_cndmask_b32_e32 v20, 0x80000000, v20, vcc_lo
	v_lshrrev_b32_e32 v20, s52, v20
	v_and_b32_e32 v20, s61, v20
	v_lshl_or_b32 v20, v20, 4, v59
	ds_add_u32 v20, v82
	s_or_b32 exec_lo, exec_lo, s17
	s_mov_b32 s17, exec_lo
	v_cmpx_gt_u32_e64 s16, v45
	s_cbranch_execz .LBB1458_48
.LBB1458_63:                            ;   in Loop: Header=BB1458_24 Depth=2
	v_cmp_lt_i32_e32 vcc_lo, -1, v17
	v_cndmask_b32_e64 v20, -1, 0x80000000, vcc_lo
	v_xor_b32_e32 v20, v20, v17
	v_cmp_ne_u32_e32 vcc_lo, 0x7fffffff, v20
	v_cndmask_b32_e32 v20, 0x80000000, v20, vcc_lo
	v_lshrrev_b32_e32 v20, s52, v20
	v_and_b32_e32 v20, s61, v20
	v_lshl_or_b32 v20, v20, 4, v59
	ds_add_u32 v20, v82
	s_or_b32 exec_lo, exec_lo, s17
	s_mov_b32 s17, exec_lo
	v_cmpx_gt_u32_e64 s16, v46
	s_cbranch_execz .LBB1458_49
.LBB1458_64:                            ;   in Loop: Header=BB1458_24 Depth=2
	v_cmp_lt_i32_e32 vcc_lo, -1, v16
	v_cndmask_b32_e64 v20, -1, 0x80000000, vcc_lo
	v_xor_b32_e32 v20, v20, v16
	v_cmp_ne_u32_e32 vcc_lo, 0x7fffffff, v20
	v_cndmask_b32_e32 v20, 0x80000000, v20, vcc_lo
	v_lshrrev_b32_e32 v20, s52, v20
	v_and_b32_e32 v20, s61, v20
	v_lshl_or_b32 v20, v20, 4, v59
	ds_add_u32 v20, v82
	s_or_b32 exec_lo, exec_lo, s17
	s_mov_b32 s17, exec_lo
	v_cmpx_gt_u32_e64 s16, v47
	s_cbranch_execz .LBB1458_50
.LBB1458_65:                            ;   in Loop: Header=BB1458_24 Depth=2
	v_cmp_lt_i32_e32 vcc_lo, -1, v15
	v_cndmask_b32_e64 v20, -1, 0x80000000, vcc_lo
	v_xor_b32_e32 v20, v20, v15
	v_cmp_ne_u32_e32 vcc_lo, 0x7fffffff, v20
	v_cndmask_b32_e32 v20, 0x80000000, v20, vcc_lo
	v_lshrrev_b32_e32 v20, s52, v20
	v_and_b32_e32 v20, s61, v20
	v_lshl_or_b32 v20, v20, 4, v59
	ds_add_u32 v20, v82
	s_or_b32 exec_lo, exec_lo, s17
	s_mov_b32 s17, exec_lo
	v_cmpx_gt_u32_e64 s16, v48
	s_cbranch_execz .LBB1458_51
.LBB1458_66:                            ;   in Loop: Header=BB1458_24 Depth=2
	v_cmp_lt_i32_e32 vcc_lo, -1, v14
	v_cndmask_b32_e64 v20, -1, 0x80000000, vcc_lo
	v_xor_b32_e32 v20, v20, v14
	v_cmp_ne_u32_e32 vcc_lo, 0x7fffffff, v20
	v_cndmask_b32_e32 v20, 0x80000000, v20, vcc_lo
	v_lshrrev_b32_e32 v20, s52, v20
	v_and_b32_e32 v20, s61, v20
	v_lshl_or_b32 v20, v20, 4, v59
	ds_add_u32 v20, v82
	s_or_b32 exec_lo, exec_lo, s17
	s_mov_b32 s17, exec_lo
	v_cmpx_gt_u32_e64 s16, v49
	s_cbranch_execz .LBB1458_52
.LBB1458_67:                            ;   in Loop: Header=BB1458_24 Depth=2
	v_cmp_lt_i32_e32 vcc_lo, -1, v13
	v_cndmask_b32_e64 v20, -1, 0x80000000, vcc_lo
	v_xor_b32_e32 v20, v20, v13
	v_cmp_ne_u32_e32 vcc_lo, 0x7fffffff, v20
	v_cndmask_b32_e32 v20, 0x80000000, v20, vcc_lo
	v_lshrrev_b32_e32 v20, s52, v20
	v_and_b32_e32 v20, s61, v20
	v_lshl_or_b32 v20, v20, 4, v59
	ds_add_u32 v20, v82
	s_or_b32 exec_lo, exec_lo, s17
	s_mov_b32 s17, exec_lo
	v_cmpx_gt_u32_e64 s16, v50
	s_cbranch_execz .LBB1458_53
.LBB1458_68:                            ;   in Loop: Header=BB1458_24 Depth=2
	v_cmp_lt_i32_e32 vcc_lo, -1, v12
	v_cndmask_b32_e64 v20, -1, 0x80000000, vcc_lo
	v_xor_b32_e32 v20, v20, v12
	v_cmp_ne_u32_e32 vcc_lo, 0x7fffffff, v20
	v_cndmask_b32_e32 v20, 0x80000000, v20, vcc_lo
	v_lshrrev_b32_e32 v20, s52, v20
	v_and_b32_e32 v20, s61, v20
	v_lshl_or_b32 v20, v20, 4, v59
	ds_add_u32 v20, v82
	s_or_b32 exec_lo, exec_lo, s17
	s_mov_b32 s17, exec_lo
	v_cmpx_gt_u32_e64 s16, v51
	s_cbranch_execz .LBB1458_54
.LBB1458_69:                            ;   in Loop: Header=BB1458_24 Depth=2
	v_cmp_lt_i32_e32 vcc_lo, -1, v11
	v_cndmask_b32_e64 v20, -1, 0x80000000, vcc_lo
	v_xor_b32_e32 v20, v20, v11
	v_cmp_ne_u32_e32 vcc_lo, 0x7fffffff, v20
	v_cndmask_b32_e32 v20, 0x80000000, v20, vcc_lo
	v_lshrrev_b32_e32 v20, s52, v20
	v_and_b32_e32 v20, s61, v20
	v_lshl_or_b32 v20, v20, 4, v59
	ds_add_u32 v20, v82
	s_or_b32 exec_lo, exec_lo, s17
	s_mov_b32 s17, exec_lo
	v_cmpx_gt_u32_e64 s16, v52
	s_cbranch_execz .LBB1458_55
.LBB1458_70:                            ;   in Loop: Header=BB1458_24 Depth=2
	v_cmp_lt_i32_e32 vcc_lo, -1, v10
	v_cndmask_b32_e64 v20, -1, 0x80000000, vcc_lo
	v_xor_b32_e32 v20, v20, v10
	v_cmp_ne_u32_e32 vcc_lo, 0x7fffffff, v20
	v_cndmask_b32_e32 v20, 0x80000000, v20, vcc_lo
	v_lshrrev_b32_e32 v20, s52, v20
	v_and_b32_e32 v20, s61, v20
	v_lshl_or_b32 v20, v20, 4, v59
	ds_add_u32 v20, v82
	s_or_b32 exec_lo, exec_lo, s17
	s_mov_b32 s17, exec_lo
	v_cmpx_gt_u32_e64 s16, v53
	s_cbranch_execz .LBB1458_56
.LBB1458_71:                            ;   in Loop: Header=BB1458_24 Depth=2
	v_cmp_lt_i32_e32 vcc_lo, -1, v9
	v_cndmask_b32_e64 v20, -1, 0x80000000, vcc_lo
	v_xor_b32_e32 v20, v20, v9
	v_cmp_ne_u32_e32 vcc_lo, 0x7fffffff, v20
	v_cndmask_b32_e32 v20, 0x80000000, v20, vcc_lo
	v_lshrrev_b32_e32 v20, s52, v20
	v_and_b32_e32 v20, s61, v20
	v_lshl_or_b32 v20, v20, 4, v59
	ds_add_u32 v20, v82
	s_or_b32 exec_lo, exec_lo, s17
	s_mov_b32 s17, exec_lo
	v_cmpx_gt_u32_e64 s16, v54
	s_cbranch_execz .LBB1458_57
.LBB1458_72:                            ;   in Loop: Header=BB1458_24 Depth=2
	v_cmp_lt_i32_e32 vcc_lo, -1, v8
	v_cndmask_b32_e64 v20, -1, 0x80000000, vcc_lo
	v_xor_b32_e32 v20, v20, v8
	v_cmp_ne_u32_e32 vcc_lo, 0x7fffffff, v20
	v_cndmask_b32_e32 v20, 0x80000000, v20, vcc_lo
	v_lshrrev_b32_e32 v20, s52, v20
	v_and_b32_e32 v20, s61, v20
	v_lshl_or_b32 v20, v20, 4, v59
	ds_add_u32 v20, v82
	s_or_b32 exec_lo, exec_lo, s17
	s_mov_b32 s17, exec_lo
	v_cmpx_gt_u32_e64 s16, v55
	s_cbranch_execz .LBB1458_58
.LBB1458_73:                            ;   in Loop: Header=BB1458_24 Depth=2
	v_cmp_lt_i32_e32 vcc_lo, -1, v7
	v_cndmask_b32_e64 v20, -1, 0x80000000, vcc_lo
	v_xor_b32_e32 v20, v20, v7
	v_cmp_ne_u32_e32 vcc_lo, 0x7fffffff, v20
	v_cndmask_b32_e32 v20, 0x80000000, v20, vcc_lo
	v_lshrrev_b32_e32 v20, s52, v20
	v_and_b32_e32 v20, s61, v20
	v_lshl_or_b32 v20, v20, 4, v59
	ds_add_u32 v20, v82
	s_or_b32 exec_lo, exec_lo, s17
	s_mov_b32 s17, exec_lo
	v_cmpx_gt_u32_e64 s16, v56
	s_cbranch_execz .LBB1458_59
.LBB1458_74:                            ;   in Loop: Header=BB1458_24 Depth=2
	v_cmp_lt_i32_e32 vcc_lo, -1, v6
	v_cndmask_b32_e64 v20, -1, 0x80000000, vcc_lo
	v_xor_b32_e32 v20, v20, v6
	v_cmp_ne_u32_e32 vcc_lo, 0x7fffffff, v20
	v_cndmask_b32_e32 v20, 0x80000000, v20, vcc_lo
	v_lshrrev_b32_e32 v20, s52, v20
	v_and_b32_e32 v20, s61, v20
	v_lshl_or_b32 v20, v20, 4, v59
	ds_add_u32 v20, v82
	s_or_b32 exec_lo, exec_lo, s17
	s_mov_b32 s17, exec_lo
	v_cmpx_gt_u32_e64 s16, v57
	s_cbranch_execz .LBB1458_60
.LBB1458_75:                            ;   in Loop: Header=BB1458_24 Depth=2
	v_cmp_lt_i32_e32 vcc_lo, -1, v5
	v_cndmask_b32_e64 v20, -1, 0x80000000, vcc_lo
	v_xor_b32_e32 v20, v20, v5
	v_cmp_ne_u32_e32 vcc_lo, 0x7fffffff, v20
	v_cndmask_b32_e32 v20, 0x80000000, v20, vcc_lo
	v_lshrrev_b32_e32 v20, s52, v20
	v_and_b32_e32 v20, s61, v20
	v_lshl_or_b32 v20, v20, 4, v59
	ds_add_u32 v20, v82
	s_or_b32 exec_lo, exec_lo, s17
	v_cmp_gt_u32_e32 vcc_lo, s16, v58
	s_and_saveexec_b32 s16, vcc_lo
	s_cbranch_execz .LBB1458_23
.LBB1458_76:                            ;   in Loop: Header=BB1458_24 Depth=2
	v_cmp_lt_i32_e32 vcc_lo, -1, v3
	v_cndmask_b32_e64 v20, -1, 0x80000000, vcc_lo
	v_xor_b32_e32 v20, v20, v3
	v_cmp_ne_u32_e32 vcc_lo, 0x7fffffff, v20
	v_cndmask_b32_e32 v20, 0x80000000, v20, vcc_lo
	v_lshrrev_b32_e32 v20, s52, v20
	v_and_b32_e32 v20, s61, v20
	v_lshl_or_b32 v20, v20, 4, v59
	ds_add_u32 v20, v82
	s_branch .LBB1458_23
.LBB1458_77:                            ;   in Loop: Header=BB1458_24 Depth=2
	global_load_dword v19, v86, s[16:17]
	s_or_b32 exec_lo, exec_lo, s19
	s_mov_b32 s19, exec_lo
	v_cmpx_gt_u32_e64 s5, v42
	s_cbranch_execz .LBB1458_29
.LBB1458_78:                            ;   in Loop: Header=BB1458_24 Depth=2
	global_load_dword v18, v86, s[16:17] offset:1024
	s_or_b32 exec_lo, exec_lo, s19
	s_mov_b32 s19, exec_lo
	v_cmpx_gt_u32_e64 s5, v45
	s_cbranch_execz .LBB1458_30
.LBB1458_79:                            ;   in Loop: Header=BB1458_24 Depth=2
	global_load_dword v17, v87, s[16:17]
	s_or_b32 exec_lo, exec_lo, s19
	s_mov_b32 s19, exec_lo
	v_cmpx_gt_u32_e64 s5, v46
	s_cbranch_execz .LBB1458_31
.LBB1458_80:                            ;   in Loop: Header=BB1458_24 Depth=2
	global_load_dword v16, v88, s[16:17]
	s_or_b32 exec_lo, exec_lo, s19
	s_mov_b32 s19, exec_lo
	v_cmpx_gt_u32_e64 s5, v47
	s_cbranch_execz .LBB1458_32
.LBB1458_81:                            ;   in Loop: Header=BB1458_24 Depth=2
	global_load_dword v15, v89, s[16:17]
	s_or_b32 exec_lo, exec_lo, s19
	s_mov_b32 s19, exec_lo
	v_cmpx_gt_u32_e64 s5, v48
	s_cbranch_execz .LBB1458_33
.LBB1458_82:                            ;   in Loop: Header=BB1458_24 Depth=2
	global_load_dword v14, v90, s[16:17]
	s_or_b32 exec_lo, exec_lo, s19
	s_mov_b32 s19, exec_lo
	v_cmpx_gt_u32_e64 s5, v49
	s_cbranch_execz .LBB1458_34
.LBB1458_83:                            ;   in Loop: Header=BB1458_24 Depth=2
	global_load_dword v13, v91, s[16:17]
	s_or_b32 exec_lo, exec_lo, s19
	s_mov_b32 s19, exec_lo
	v_cmpx_gt_u32_e64 s5, v50
	s_cbranch_execz .LBB1458_35
.LBB1458_84:                            ;   in Loop: Header=BB1458_24 Depth=2
	global_load_dword v12, v92, s[16:17]
	s_or_b32 exec_lo, exec_lo, s19
	s_mov_b32 s19, exec_lo
	v_cmpx_gt_u32_e64 s5, v51
	s_cbranch_execz .LBB1458_36
.LBB1458_85:                            ;   in Loop: Header=BB1458_24 Depth=2
	global_load_dword v11, v93, s[16:17]
	s_or_b32 exec_lo, exec_lo, s19
	s_mov_b32 s19, exec_lo
	v_cmpx_gt_u32_e64 s5, v52
	s_cbranch_execz .LBB1458_37
.LBB1458_86:                            ;   in Loop: Header=BB1458_24 Depth=2
	global_load_dword v10, v94, s[16:17]
	s_or_b32 exec_lo, exec_lo, s19
	s_mov_b32 s19, exec_lo
	v_cmpx_gt_u32_e64 s5, v53
	s_cbranch_execz .LBB1458_38
.LBB1458_87:                            ;   in Loop: Header=BB1458_24 Depth=2
	global_load_dword v9, v95, s[16:17]
	s_or_b32 exec_lo, exec_lo, s19
	s_mov_b32 s19, exec_lo
	v_cmpx_gt_u32_e64 s5, v54
	s_cbranch_execz .LBB1458_39
.LBB1458_88:                            ;   in Loop: Header=BB1458_24 Depth=2
	global_load_dword v8, v96, s[16:17]
	s_or_b32 exec_lo, exec_lo, s19
	s_mov_b32 s19, exec_lo
	v_cmpx_gt_u32_e64 s5, v55
	s_cbranch_execz .LBB1458_40
.LBB1458_89:                            ;   in Loop: Header=BB1458_24 Depth=2
	global_load_dword v7, v97, s[16:17]
	s_or_b32 exec_lo, exec_lo, s19
	s_mov_b32 s19, exec_lo
	v_cmpx_gt_u32_e64 s5, v56
	s_cbranch_execz .LBB1458_41
.LBB1458_90:                            ;   in Loop: Header=BB1458_24 Depth=2
	global_load_dword v6, v98, s[16:17]
	s_or_b32 exec_lo, exec_lo, s19
	s_mov_b32 s19, exec_lo
	v_cmpx_gt_u32_e64 s5, v57
	s_cbranch_execz .LBB1458_42
.LBB1458_91:                            ;   in Loop: Header=BB1458_24 Depth=2
	global_load_dword v5, v99, s[16:17]
	s_or_b32 exec_lo, exec_lo, s19
	s_mov_b32 s19, exec_lo
	v_cmpx_gt_u32_e64 s5, v58
	s_cbranch_execnz .LBB1458_43
	s_branch .LBB1458_44
.LBB1458_92:                            ;   in Loop: Header=BB1458_20 Depth=1
	v_mov_b32_e32 v3, 0
	s_waitcnt lgkmcnt(0)
	s_barrier
	buffer_gl0_inv
	s_and_saveexec_b32 s5, s8
	s_cbranch_execz .LBB1458_94
; %bb.93:                               ;   in Loop: Header=BB1458_20 Depth=1
	ds_read2_b64 v[5:8], v61 offset1:1
	s_waitcnt lgkmcnt(0)
	v_add_nc_u32_e32 v3, v6, v5
	v_add3_u32 v3, v3, v7, v8
.LBB1458_94:                            ;   in Loop: Header=BB1458_20 Depth=1
	s_or_b32 exec_lo, exec_lo, s5
	v_mov_b32_dpp v5, v3 row_shr:1 row_mask:0xf bank_mask:0xf
	v_cmp_eq_u32_e64 s5, 0, v83
	v_cmp_lt_u32_e64 s16, 1, v83
	v_cmp_lt_u32_e64 s17, 3, v83
	;; [unrolled: 1-line block ×3, first 2 shown]
	v_cmp_eq_u32_e64 s19, 0, v85
	v_cndmask_b32_e64 v5, v5, 0, s5
	v_add_nc_u32_e32 v3, v5, v3
	v_mov_b32_dpp v5, v3 row_shr:2 row_mask:0xf bank_mask:0xf
	v_cndmask_b32_e64 v5, 0, v5, s16
	v_add_nc_u32_e32 v3, v3, v5
	v_mov_b32_dpp v5, v3 row_shr:4 row_mask:0xf bank_mask:0xf
	;; [unrolled: 3-line block ×3, first 2 shown]
	v_cndmask_b32_e64 v5, 0, v5, s18
	v_add_nc_u32_e32 v3, v3, v5
	ds_swizzle_b32 v5, v3 offset:swizzle(BROADCAST,32,15)
	s_waitcnt lgkmcnt(0)
	v_and_b32_e32 v5, v84, v5
	v_add_nc_u32_e32 v3, v3, v5
	s_and_saveexec_b32 s20, s9
; %bb.95:                               ;   in Loop: Header=BB1458_20 Depth=1
	ds_write_b32 v62, v3
; %bb.96:                               ;   in Loop: Header=BB1458_20 Depth=1
	s_or_b32 exec_lo, exec_lo, s20
	s_waitcnt lgkmcnt(0)
	s_barrier
	buffer_gl0_inv
	s_and_saveexec_b32 s20, s10
	s_cbranch_execz .LBB1458_98
; %bb.97:                               ;   in Loop: Header=BB1458_20 Depth=1
	ds_read_b32 v5, v63
	v_cmp_ne_u32_e32 vcc_lo, 0, v101
	s_waitcnt lgkmcnt(0)
	v_mov_b32_dpp v6, v5 row_shr:1 row_mask:0xf bank_mask:0xf
	v_cndmask_b32_e32 v6, 0, v6, vcc_lo
	v_cmp_lt_u32_e32 vcc_lo, 1, v101
	v_add_nc_u32_e32 v5, v6, v5
	v_mov_b32_dpp v6, v5 row_shr:2 row_mask:0xf bank_mask:0xf
	v_cndmask_b32_e32 v6, 0, v6, vcc_lo
	v_add_nc_u32_e32 v5, v5, v6
	ds_write_b32 v63, v5
.LBB1458_98:                            ;   in Loop: Header=BB1458_20 Depth=1
	s_or_b32 exec_lo, exec_lo, s20
	v_mov_b32_e32 v5, 0
	s_waitcnt lgkmcnt(0)
	s_barrier
	buffer_gl0_inv
	s_and_saveexec_b32 s20, s11
; %bb.99:                               ;   in Loop: Header=BB1458_20 Depth=1
	ds_read_b32 v5, v64
; %bb.100:                              ;   in Loop: Header=BB1458_20 Depth=1
	s_or_b32 exec_lo, exec_lo, s20
	v_cmp_gt_i32_e32 vcc_lo, 0, v103
	s_waitcnt lgkmcnt(0)
	v_add_nc_u32_e32 v3, v5, v3
	s_barrier
	buffer_gl0_inv
	v_cndmask_b32_e32 v6, v103, v79, vcc_lo
	v_lshlrev_b32_e32 v126, 2, v6
	ds_bpermute_b32 v3, v126, v3
	s_and_saveexec_b32 s20, s8
	s_cbranch_execz .LBB1458_102
; %bb.101:                              ;   in Loop: Header=BB1458_20 Depth=1
	s_waitcnt lgkmcnt(0)
	v_cndmask_b32_e64 v3, v3, v5, s15
	v_add_nc_u32_e32 v3, s58, v3
	ds_write_b32 v41, v3
.LBB1458_102:                           ;   in Loop: Header=BB1458_20 Depth=1
	s_or_b32 exec_lo, exec_lo, s20
	s_clause 0x1
	s_load_dword s20, s[56:57], 0x4
	s_load_dword s22, s[56:57], 0xc
	s_mov_b32 s62, s60
	s_mov_b32 s46, s58
                                        ; implicit-def: $vgpr7_vgpr8
                                        ; implicit-def: $vgpr9_vgpr10
                                        ; implicit-def: $vgpr11_vgpr12
                                        ; implicit-def: $vgpr13_vgpr14
                                        ; implicit-def: $vgpr17_vgpr18
                                        ; implicit-def: $vgpr21_vgpr22
                                        ; implicit-def: $vgpr25_vgpr26
                                        ; implicit-def: $vgpr15_vgpr16
                                        ; implicit-def: $vgpr19_vgpr20
                                        ; implicit-def: $vgpr23_vgpr24
                                        ; implicit-def: $vgpr27_vgpr28
                                        ; implicit-def: $vgpr29_vgpr30
                                        ; implicit-def: $vgpr31_vgpr32
                                        ; implicit-def: $vgpr33_vgpr34
                                        ; implicit-def: $vgpr35_vgpr36
                                        ; implicit-def: $vgpr128
                                        ; implicit-def: $vgpr129
                                        ; implicit-def: $vgpr130
                                        ; implicit-def: $vgpr131
                                        ; implicit-def: $vgpr132
                                        ; implicit-def: $vgpr133
                                        ; implicit-def: $vgpr134
                                        ; implicit-def: $vgpr135
                                        ; implicit-def: $vgpr136
                                        ; implicit-def: $vgpr137
                                        ; implicit-def: $vgpr138
                                        ; implicit-def: $vgpr139
                                        ; implicit-def: $vgpr141
                                        ; implicit-def: $vgpr142
                                        ; implicit-def: $vgpr143
                                        ; implicit-def: $vgpr144
                                        ; implicit-def: $vgpr140
                                        ; implicit-def: $vgpr145
	s_waitcnt lgkmcnt(0)
	s_cmp_lt_u32 s7, s20
	s_cselect_b32 s20, 14, 20
	s_add_u32 s20, s56, s20
	s_addc_u32 s21, s57, 0
	global_load_ushort v3, v4, s[20:21]
	s_and_b32 s20, s22, 0xffff
	v_cmp_lt_u32_e64 s21, 1, v104
	v_cmp_lt_u32_e64 s22, 3, v104
	s_waitcnt vmcnt(0)
	v_mad_u32_u24 v3, v2, v3, v1
	v_mad_u64_u32 v[5:6], null, v3, s20, v[0:1]
	v_cmp_eq_u32_e64 s20, 0, v104
	v_lshrrev_b32_e32 v3, 3, v5
                                        ; implicit-def: $vgpr5_vgpr6
	v_and_b32_e32 v127, 0x1ffffffc, v3
	s_branch .LBB1458_104
.LBB1458_103:                           ;   in Loop: Header=BB1458_104 Depth=2
	s_or_b32 exec_lo, exec_lo, s23
	s_addk_i32 s62, 0xf000
	s_cmp_lt_u32 s63, s59
	s_mov_b32 s46, s63
	s_cbranch_scc0 .LBB1458_314
.LBB1458_104:                           ;   Parent Loop BB1458_20 Depth=1
                                        ; =>  This Inner Loop Header: Depth=2
	s_add_i32 s63, s46, 0x1000
	s_cmp_gt_u32 s63, s59
	s_cbranch_scc1 .LBB1458_106
; %bb.105:                              ;   in Loop: Header=BB1458_104 Depth=2
	s_lshl_b64 s[24:25], s[46:47], 2
	s_mov_b32 s23, -1
	v_add_co_u32 v37, vcc_lo, v124, s24
	v_add_co_ci_u32_e64 v38, null, s25, v125, vcc_lo
	s_clause 0xe
	global_load_dword v3, v[37:38], off
	global_load_dword v147, v[37:38], off offset:128
	global_load_dword v150, v[37:38], off offset:256
	;; [unrolled: 1-line block ×14, first 2 shown]
	s_movk_i32 s24, 0x1000
	s_cbranch_execz .LBB1458_107
	s_branch .LBB1458_138
.LBB1458_106:                           ;   in Loop: Header=BB1458_104 Depth=2
	s_mov_b32 s23, 0
                                        ; implicit-def: $vgpr3
                                        ; implicit-def: $vgpr147
                                        ; implicit-def: $vgpr150
                                        ; implicit-def: $vgpr154
                                        ; implicit-def: $vgpr158
                                        ; implicit-def: $vgpr164
                                        ; implicit-def: $vgpr169
                                        ; implicit-def: $vgpr174
                                        ; implicit-def: $vgpr177
                                        ; implicit-def: $vgpr172
                                        ; implicit-def: $vgpr168
                                        ; implicit-def: $vgpr163
                                        ; implicit-def: $vgpr160
                                        ; implicit-def: $vgpr40
                                        ; implicit-def: $vgpr39
	s_movk_i32 s24, 0x1000
.LBB1458_107:                           ;   in Loop: Header=BB1458_104 Depth=2
	s_lshl_b64 s[24:25], s[46:47], 2
	s_waitcnt vmcnt(13)
	v_bfrev_b32_e32 v147, -2
	v_add_co_u32 v37, vcc_lo, v124, s24
	v_add_co_ci_u32_e64 v38, null, s25, v125, vcc_lo
	v_bfrev_b32_e32 v3, -2
	s_mov_b32 s23, exec_lo
	v_cmpx_gt_u32_e64 s62, v105
	s_cbranch_execz .LBB1458_109
; %bb.108:                              ;   in Loop: Header=BB1458_104 Depth=2
	global_load_dword v3, v[37:38], off
.LBB1458_109:                           ;   in Loop: Header=BB1458_104 Depth=2
	s_or_b32 exec_lo, exec_lo, s23
	s_mov_b32 s23, exec_lo
	v_cmpx_gt_u32_e64 s62, v108
	s_cbranch_execz .LBB1458_111
; %bb.110:                              ;   in Loop: Header=BB1458_104 Depth=2
	global_load_dword v147, v[37:38], off offset:128
.LBB1458_111:                           ;   in Loop: Header=BB1458_104 Depth=2
	s_or_b32 exec_lo, exec_lo, s23
	s_waitcnt vmcnt(11)
	v_bfrev_b32_e32 v154, -2
	v_bfrev_b32_e32 v150, -2
	s_mov_b32 s23, exec_lo
	v_cmpx_gt_u32_e64 s62, v109
	s_cbranch_execz .LBB1458_113
; %bb.112:                              ;   in Loop: Header=BB1458_104 Depth=2
	global_load_dword v150, v[37:38], off offset:256
.LBB1458_113:                           ;   in Loop: Header=BB1458_104 Depth=2
	s_or_b32 exec_lo, exec_lo, s23
	s_mov_b32 s23, exec_lo
	v_cmpx_gt_u32_e64 s62, v110
	s_cbranch_execz .LBB1458_115
; %bb.114:                              ;   in Loop: Header=BB1458_104 Depth=2
	global_load_dword v154, v[37:38], off offset:384
.LBB1458_115:                           ;   in Loop: Header=BB1458_104 Depth=2
	s_or_b32 exec_lo, exec_lo, s23
	s_waitcnt vmcnt(9)
	v_bfrev_b32_e32 v164, -2
	v_bfrev_b32_e32 v158, -2
	s_mov_b32 s23, exec_lo
	v_cmpx_gt_u32_e64 s62, v111
	s_cbranch_execz .LBB1458_117
; %bb.116:                              ;   in Loop: Header=BB1458_104 Depth=2
	global_load_dword v158, v[37:38], off offset:512
.LBB1458_117:                           ;   in Loop: Header=BB1458_104 Depth=2
	;; [unrolled: 17-line block ×6, first 2 shown]
	s_or_b32 exec_lo, exec_lo, s23
	s_mov_b32 s23, exec_lo
	v_cmpx_gt_u32_e64 s62, v121
	s_cbranch_execz .LBB1458_135
; %bb.134:                              ;   in Loop: Header=BB1458_104 Depth=2
	global_load_dword v40, v[37:38], off offset:1664
.LBB1458_135:                           ;   in Loop: Header=BB1458_104 Depth=2
	s_or_b32 exec_lo, exec_lo, s23
	s_waitcnt vmcnt(0)
	v_bfrev_b32_e32 v39, -2
	s_mov_b32 s23, exec_lo
	v_cmpx_gt_u32_e64 s62, v122
	s_cbranch_execz .LBB1458_137
; %bb.136:                              ;   in Loop: Header=BB1458_104 Depth=2
	global_load_dword v39, v[37:38], off offset:1792
.LBB1458_137:                           ;   in Loop: Header=BB1458_104 Depth=2
	s_or_b32 exec_lo, exec_lo, s23
	v_cmp_gt_u32_e64 s23, s62, v123
	s_sub_i32 s24, s59, s46
.LBB1458_138:                           ;   in Loop: Header=BB1458_104 Depth=2
	v_bfrev_b32_e32 v37, -2
	v_mov_b32_e32 v146, s62
	s_and_saveexec_b32 s25, s23
	s_cbranch_execz .LBB1458_140
; %bb.139:                              ;   in Loop: Header=BB1458_104 Depth=2
	s_lshl_b64 s[26:27], s[46:47], 2
	v_mov_b32_e32 v146, s24
	v_add_co_u32 v37, vcc_lo, v124, s26
	v_add_co_ci_u32_e64 v38, null, s27, v125, vcc_lo
	global_load_dword v37, v[37:38], off offset:1920
.LBB1458_140:                           ;   in Loop: Header=BB1458_104 Depth=2
	s_or_b32 exec_lo, exec_lo, s25
	s_waitcnt vmcnt(14)
	v_cmp_lt_i32_e32 vcc_lo, -1, v3
	ds_write2_b32 v65, v4, v4 offset0:136 offset1:137
	ds_write2_b32 v65, v4, v4 offset0:138 offset1:139
	ds_write_b32 v65, v4 offset:560
	s_waitcnt vmcnt(0) lgkmcnt(0)
	s_barrier
	v_cndmask_b32_e64 v38, -1, 0x80000000, vcc_lo
	buffer_gl0_inv
	; wave barrier
	v_xor_b32_e32 v3, v38, v3
	v_cmp_ne_u32_e32 vcc_lo, 0x7fffffff, v3
	v_cndmask_b32_e32 v38, 0x80000000, v3, vcc_lo
	v_lshrrev_b32_e32 v38, s52, v38
	v_and_b32_e32 v149, s61, v38
	v_and_b32_e32 v38, 1, v149
	v_lshlrev_b32_e32 v148, 30, v149
	v_lshlrev_b32_e32 v151, 29, v149
	;; [unrolled: 1-line block ×4, first 2 shown]
	v_add_co_u32 v38, s23, v38, -1
	v_cndmask_b32_e64 v152, 0, 1, s23
	v_not_b32_e32 v157, v148
	v_cmp_gt_i32_e64 s23, 0, v148
	v_not_b32_e32 v148, v151
	v_lshlrev_b32_e32 v156, 26, v149
	v_cmp_ne_u32_e32 vcc_lo, 0, v152
	v_ashrrev_i32_e32 v157, 31, v157
	v_lshlrev_b32_e32 v152, 25, v149
	v_ashrrev_i32_e32 v148, 31, v148
	v_mul_u32_u24_e32 v149, 36, v149
	v_xor_b32_e32 v38, vcc_lo, v38
	v_cmp_gt_i32_e32 vcc_lo, 0, v151
	v_not_b32_e32 v151, v153
	v_xor_b32_e32 v157, s23, v157
	v_cmp_gt_i32_e64 s23, 0, v153
	v_and_b32_e32 v38, exec_lo, v38
	v_not_b32_e32 v153, v155
	v_ashrrev_i32_e32 v151, 31, v151
	v_xor_b32_e32 v148, vcc_lo, v148
	v_cmp_gt_i32_e32 vcc_lo, 0, v155
	v_and_b32_e32 v38, v38, v157
	v_not_b32_e32 v155, v156
	v_ashrrev_i32_e32 v153, 31, v153
	v_xor_b32_e32 v151, s23, v151
	v_cmp_gt_i32_e64 s23, 0, v156
	v_and_b32_e32 v38, v38, v148
	v_not_b32_e32 v148, v152
	v_ashrrev_i32_e32 v155, 31, v155
	v_xor_b32_e32 v153, vcc_lo, v153
	v_cmp_gt_i32_e32 vcc_lo, 0, v152
	v_and_b32_e32 v38, v38, v151
	v_ashrrev_i32_e32 v148, 31, v148
	v_xor_b32_e32 v151, s23, v155
	v_add_nc_u32_e32 v149, v127, v149
	v_and_b32_e32 v38, v38, v153
	v_xor_b32_e32 v148, vcc_lo, v148
	v_and_b32_e32 v38, v38, v151
	v_and_b32_e32 v38, v38, v148
	v_mbcnt_lo_u32_b32 v148, v38, 0
	v_cmp_ne_u32_e64 s23, 0, v38
	v_cmp_eq_u32_e32 vcc_lo, 0, v148
	s_and_b32 s24, s23, vcc_lo
	s_and_saveexec_b32 s23, s24
; %bb.141:                              ;   in Loop: Header=BB1458_104 Depth=2
	v_bcnt_u32_b32 v38, v38, 0
	ds_write_b32 v149, v38 offset:544
; %bb.142:                              ;   in Loop: Header=BB1458_104 Depth=2
	s_or_b32 exec_lo, exec_lo, s23
	v_cmp_lt_i32_e32 vcc_lo, -1, v147
	; wave barrier
	v_cndmask_b32_e64 v38, -1, 0x80000000, vcc_lo
	v_xor_b32_e32 v147, v38, v147
	v_cmp_ne_u32_e32 vcc_lo, 0x7fffffff, v147
	v_cndmask_b32_e32 v38, 0x80000000, v147, vcc_lo
	v_lshrrev_b32_e32 v38, s52, v38
	v_and_b32_e32 v153, s61, v38
	v_and_b32_e32 v38, 1, v153
	v_lshlrev_b32_e32 v151, 30, v153
	v_lshlrev_b32_e32 v152, 29, v153
	;; [unrolled: 1-line block ×4, first 2 shown]
	v_add_co_u32 v38, s23, v38, -1
	v_cndmask_b32_e64 v155, 0, 1, s23
	v_not_b32_e32 v161, v151
	v_cmp_gt_i32_e64 s23, 0, v151
	v_not_b32_e32 v151, v152
	v_lshlrev_b32_e32 v159, 26, v153
	v_cmp_ne_u32_e32 vcc_lo, 0, v155
	v_ashrrev_i32_e32 v161, 31, v161
	v_lshlrev_b32_e32 v155, 25, v153
	v_ashrrev_i32_e32 v151, 31, v151
	v_xor_b32_e32 v38, vcc_lo, v38
	v_cmp_gt_i32_e32 vcc_lo, 0, v152
	v_not_b32_e32 v152, v156
	v_xor_b32_e32 v161, s23, v161
	v_cmp_gt_i32_e64 s23, 0, v156
	v_and_b32_e32 v38, exec_lo, v38
	v_not_b32_e32 v156, v157
	v_ashrrev_i32_e32 v152, 31, v152
	v_xor_b32_e32 v151, vcc_lo, v151
	v_cmp_gt_i32_e32 vcc_lo, 0, v157
	v_and_b32_e32 v38, v38, v161
	v_not_b32_e32 v157, v159
	v_ashrrev_i32_e32 v156, 31, v156
	v_xor_b32_e32 v152, s23, v152
	v_cmp_gt_i32_e64 s23, 0, v159
	v_and_b32_e32 v38, v38, v151
	v_not_b32_e32 v151, v155
	v_ashrrev_i32_e32 v157, 31, v157
	v_xor_b32_e32 v156, vcc_lo, v156
	v_cmp_gt_i32_e32 vcc_lo, 0, v155
	v_and_b32_e32 v38, v38, v152
	v_ashrrev_i32_e32 v151, 31, v151
	v_xor_b32_e32 v152, s23, v157
	v_mad_u32_u24 v155, v153, 36, v127
	v_mul_u32_u24_e32 v153, 36, v153
	v_and_b32_e32 v38, v38, v156
	v_xor_b32_e32 v156, vcc_lo, v151
	ds_read_b32 v151, v155 offset:544
	v_add_nc_u32_e32 v153, v127, v153
	v_and_b32_e32 v38, v38, v152
	; wave barrier
	v_and_b32_e32 v38, v38, v156
	v_mbcnt_lo_u32_b32 v152, v38, 0
	v_cmp_ne_u32_e64 s23, 0, v38
	v_cmp_eq_u32_e32 vcc_lo, 0, v152
	s_and_b32 s24, s23, vcc_lo
	s_and_saveexec_b32 s23, s24
	s_cbranch_execz .LBB1458_144
; %bb.143:                              ;   in Loop: Header=BB1458_104 Depth=2
	s_waitcnt lgkmcnt(0)
	v_bcnt_u32_b32 v38, v38, v151
	ds_write_b32 v153, v38 offset:544
.LBB1458_144:                           ;   in Loop: Header=BB1458_104 Depth=2
	s_or_b32 exec_lo, exec_lo, s23
	v_cmp_lt_i32_e32 vcc_lo, -1, v150
	; wave barrier
	v_cndmask_b32_e64 v38, -1, 0x80000000, vcc_lo
	v_xor_b32_e32 v150, v38, v150
	v_cmp_ne_u32_e32 vcc_lo, 0x7fffffff, v150
	v_cndmask_b32_e32 v38, 0x80000000, v150, vcc_lo
	v_lshrrev_b32_e32 v38, s52, v38
	v_and_b32_e32 v157, s61, v38
	v_and_b32_e32 v38, 1, v157
	v_lshlrev_b32_e32 v155, 30, v157
	v_lshlrev_b32_e32 v156, 29, v157
	;; [unrolled: 1-line block ×4, first 2 shown]
	v_add_co_u32 v38, s23, v38, -1
	v_cndmask_b32_e64 v159, 0, 1, s23
	v_not_b32_e32 v166, v155
	v_cmp_gt_i32_e64 s23, 0, v155
	v_not_b32_e32 v155, v156
	v_lshlrev_b32_e32 v165, 26, v157
	v_cmp_ne_u32_e32 vcc_lo, 0, v159
	v_ashrrev_i32_e32 v166, 31, v166
	v_lshlrev_b32_e32 v159, 25, v157
	v_ashrrev_i32_e32 v155, 31, v155
	v_xor_b32_e32 v38, vcc_lo, v38
	v_cmp_gt_i32_e32 vcc_lo, 0, v156
	v_not_b32_e32 v156, v161
	v_xor_b32_e32 v166, s23, v166
	v_cmp_gt_i32_e64 s23, 0, v161
	v_and_b32_e32 v38, exec_lo, v38
	v_not_b32_e32 v161, v162
	v_ashrrev_i32_e32 v156, 31, v156
	v_xor_b32_e32 v155, vcc_lo, v155
	v_cmp_gt_i32_e32 vcc_lo, 0, v162
	v_and_b32_e32 v38, v38, v166
	v_not_b32_e32 v162, v165
	v_ashrrev_i32_e32 v161, 31, v161
	v_xor_b32_e32 v156, s23, v156
	v_cmp_gt_i32_e64 s23, 0, v165
	v_and_b32_e32 v38, v38, v155
	v_not_b32_e32 v155, v159
	v_ashrrev_i32_e32 v162, 31, v162
	v_xor_b32_e32 v161, vcc_lo, v161
	v_cmp_gt_i32_e32 vcc_lo, 0, v159
	v_and_b32_e32 v38, v38, v156
	v_ashrrev_i32_e32 v155, 31, v155
	v_xor_b32_e32 v156, s23, v162
	v_mad_u32_u24 v159, v157, 36, v127
	v_mul_u32_u24_e32 v157, 36, v157
	v_and_b32_e32 v38, v38, v161
	v_xor_b32_e32 v161, vcc_lo, v155
	ds_read_b32 v155, v159 offset:544
	v_add_nc_u32_e32 v157, v127, v157
	v_and_b32_e32 v38, v38, v156
	; wave barrier
	v_and_b32_e32 v38, v38, v161
	v_mbcnt_lo_u32_b32 v156, v38, 0
	v_cmp_ne_u32_e64 s23, 0, v38
	v_cmp_eq_u32_e32 vcc_lo, 0, v156
	s_and_b32 s24, s23, vcc_lo
	s_and_saveexec_b32 s23, s24
	s_cbranch_execz .LBB1458_146
; %bb.145:                              ;   in Loop: Header=BB1458_104 Depth=2
	s_waitcnt lgkmcnt(0)
	v_bcnt_u32_b32 v38, v38, v155
	ds_write_b32 v157, v38 offset:544
.LBB1458_146:                           ;   in Loop: Header=BB1458_104 Depth=2
	s_or_b32 exec_lo, exec_lo, s23
	v_cmp_lt_i32_e32 vcc_lo, -1, v154
	; wave barrier
	v_cndmask_b32_e64 v38, -1, 0x80000000, vcc_lo
	v_xor_b32_e32 v154, v38, v154
	v_cmp_ne_u32_e32 vcc_lo, 0x7fffffff, v154
	v_cndmask_b32_e32 v38, 0x80000000, v154, vcc_lo
	v_lshrrev_b32_e32 v38, s52, v38
	v_and_b32_e32 v162, s61, v38
	v_and_b32_e32 v38, 1, v162
	v_lshlrev_b32_e32 v159, 30, v162
	v_lshlrev_b32_e32 v161, 29, v162
	;; [unrolled: 1-line block ×4, first 2 shown]
	v_add_co_u32 v38, s23, v38, -1
	v_cndmask_b32_e64 v165, 0, 1, s23
	v_not_b32_e32 v171, v159
	v_cmp_gt_i32_e64 s23, 0, v159
	v_not_b32_e32 v159, v161
	v_lshlrev_b32_e32 v170, 26, v162
	v_cmp_ne_u32_e32 vcc_lo, 0, v165
	v_ashrrev_i32_e32 v171, 31, v171
	v_lshlrev_b32_e32 v165, 25, v162
	v_ashrrev_i32_e32 v159, 31, v159
	v_xor_b32_e32 v38, vcc_lo, v38
	v_cmp_gt_i32_e32 vcc_lo, 0, v161
	v_not_b32_e32 v161, v166
	v_xor_b32_e32 v171, s23, v171
	v_cmp_gt_i32_e64 s23, 0, v166
	v_and_b32_e32 v38, exec_lo, v38
	v_not_b32_e32 v166, v167
	v_ashrrev_i32_e32 v161, 31, v161
	v_xor_b32_e32 v159, vcc_lo, v159
	v_cmp_gt_i32_e32 vcc_lo, 0, v167
	v_and_b32_e32 v38, v38, v171
	v_not_b32_e32 v167, v170
	v_ashrrev_i32_e32 v166, 31, v166
	v_xor_b32_e32 v161, s23, v161
	v_cmp_gt_i32_e64 s23, 0, v170
	v_and_b32_e32 v38, v38, v159
	v_not_b32_e32 v159, v165
	v_ashrrev_i32_e32 v167, 31, v167
	v_xor_b32_e32 v166, vcc_lo, v166
	v_cmp_gt_i32_e32 vcc_lo, 0, v165
	v_and_b32_e32 v38, v38, v161
	v_ashrrev_i32_e32 v159, 31, v159
	v_xor_b32_e32 v161, s23, v167
	v_mad_u32_u24 v165, v162, 36, v127
	v_mul_u32_u24_e32 v162, 36, v162
	v_and_b32_e32 v38, v38, v166
	v_xor_b32_e32 v166, vcc_lo, v159
	ds_read_b32 v159, v165 offset:544
	v_add_nc_u32_e32 v162, v127, v162
	v_and_b32_e32 v38, v38, v161
	; wave barrier
	v_and_b32_e32 v38, v38, v166
	v_mbcnt_lo_u32_b32 v161, v38, 0
	v_cmp_ne_u32_e64 s23, 0, v38
	v_cmp_eq_u32_e32 vcc_lo, 0, v161
	s_and_b32 s24, s23, vcc_lo
	s_and_saveexec_b32 s23, s24
	s_cbranch_execz .LBB1458_148
; %bb.147:                              ;   in Loop: Header=BB1458_104 Depth=2
	s_waitcnt lgkmcnt(0)
	v_bcnt_u32_b32 v38, v38, v159
	ds_write_b32 v162, v38 offset:544
.LBB1458_148:                           ;   in Loop: Header=BB1458_104 Depth=2
	s_or_b32 exec_lo, exec_lo, s23
	v_cmp_lt_i32_e32 vcc_lo, -1, v158
	; wave barrier
	v_cndmask_b32_e64 v38, -1, 0x80000000, vcc_lo
	v_xor_b32_e32 v158, v38, v158
	v_cmp_ne_u32_e32 vcc_lo, 0x7fffffff, v158
	v_cndmask_b32_e32 v38, 0x80000000, v158, vcc_lo
	v_lshrrev_b32_e32 v38, s52, v38
	v_and_b32_e32 v167, s61, v38
	v_and_b32_e32 v38, 1, v167
	v_lshlrev_b32_e32 v165, 30, v167
	v_lshlrev_b32_e32 v166, 29, v167
	;; [unrolled: 1-line block ×4, first 2 shown]
	v_add_co_u32 v38, s23, v38, -1
	v_cndmask_b32_e64 v170, 0, 1, s23
	v_not_b32_e32 v176, v165
	v_cmp_gt_i32_e64 s23, 0, v165
	v_not_b32_e32 v165, v166
	v_lshlrev_b32_e32 v175, 26, v167
	v_cmp_ne_u32_e32 vcc_lo, 0, v170
	v_ashrrev_i32_e32 v176, 31, v176
	v_lshlrev_b32_e32 v170, 25, v167
	v_ashrrev_i32_e32 v165, 31, v165
	v_xor_b32_e32 v38, vcc_lo, v38
	v_cmp_gt_i32_e32 vcc_lo, 0, v166
	v_not_b32_e32 v166, v171
	v_xor_b32_e32 v176, s23, v176
	v_cmp_gt_i32_e64 s23, 0, v171
	v_and_b32_e32 v38, exec_lo, v38
	v_not_b32_e32 v171, v173
	v_ashrrev_i32_e32 v166, 31, v166
	v_xor_b32_e32 v165, vcc_lo, v165
	v_cmp_gt_i32_e32 vcc_lo, 0, v173
	v_and_b32_e32 v38, v38, v176
	v_not_b32_e32 v173, v175
	v_ashrrev_i32_e32 v171, 31, v171
	v_xor_b32_e32 v166, s23, v166
	v_cmp_gt_i32_e64 s23, 0, v175
	v_and_b32_e32 v38, v38, v165
	v_not_b32_e32 v165, v170
	v_ashrrev_i32_e32 v173, 31, v173
	v_xor_b32_e32 v171, vcc_lo, v171
	v_cmp_gt_i32_e32 vcc_lo, 0, v170
	v_and_b32_e32 v38, v38, v166
	v_ashrrev_i32_e32 v165, 31, v165
	v_xor_b32_e32 v166, s23, v173
	v_mad_u32_u24 v170, v167, 36, v127
	v_mul_u32_u24_e32 v167, 36, v167
	v_and_b32_e32 v38, v38, v171
	v_xor_b32_e32 v171, vcc_lo, v165
	ds_read_b32 v165, v170 offset:544
	v_add_nc_u32_e32 v167, v127, v167
	v_and_b32_e32 v38, v38, v166
	; wave barrier
	v_and_b32_e32 v38, v38, v171
	v_mbcnt_lo_u32_b32 v166, v38, 0
	v_cmp_ne_u32_e64 s23, 0, v38
	v_cmp_eq_u32_e32 vcc_lo, 0, v166
	s_and_b32 s24, s23, vcc_lo
	s_and_saveexec_b32 s23, s24
	s_cbranch_execz .LBB1458_150
; %bb.149:                              ;   in Loop: Header=BB1458_104 Depth=2
	s_waitcnt lgkmcnt(0)
	v_bcnt_u32_b32 v38, v38, v165
	ds_write_b32 v167, v38 offset:544
.LBB1458_150:                           ;   in Loop: Header=BB1458_104 Depth=2
	s_or_b32 exec_lo, exec_lo, s23
	v_cmp_lt_i32_e32 vcc_lo, -1, v164
	; wave barrier
	v_cndmask_b32_e64 v38, -1, 0x80000000, vcc_lo
	v_xor_b32_e32 v164, v38, v164
	v_cmp_ne_u32_e32 vcc_lo, 0x7fffffff, v164
	v_cndmask_b32_e32 v38, 0x80000000, v164, vcc_lo
	v_lshrrev_b32_e32 v38, s52, v38
	v_and_b32_e32 v173, s61, v38
	v_and_b32_e32 v38, 1, v173
	v_lshlrev_b32_e32 v170, 30, v173
	v_lshlrev_b32_e32 v171, 29, v173
	;; [unrolled: 1-line block ×4, first 2 shown]
	v_add_co_u32 v38, s23, v38, -1
	v_cndmask_b32_e64 v175, 0, 1, s23
	v_not_b32_e32 v180, v170
	v_cmp_gt_i32_e64 s23, 0, v170
	v_not_b32_e32 v170, v171
	v_lshlrev_b32_e32 v179, 26, v173
	v_cmp_ne_u32_e32 vcc_lo, 0, v175
	v_ashrrev_i32_e32 v180, 31, v180
	v_lshlrev_b32_e32 v175, 25, v173
	v_ashrrev_i32_e32 v170, 31, v170
	v_xor_b32_e32 v38, vcc_lo, v38
	v_cmp_gt_i32_e32 vcc_lo, 0, v171
	v_not_b32_e32 v171, v176
	v_xor_b32_e32 v180, s23, v180
	v_cmp_gt_i32_e64 s23, 0, v176
	v_and_b32_e32 v38, exec_lo, v38
	v_not_b32_e32 v176, v178
	v_ashrrev_i32_e32 v171, 31, v171
	v_xor_b32_e32 v170, vcc_lo, v170
	v_cmp_gt_i32_e32 vcc_lo, 0, v178
	v_and_b32_e32 v38, v38, v180
	v_not_b32_e32 v178, v179
	v_ashrrev_i32_e32 v176, 31, v176
	v_xor_b32_e32 v171, s23, v171
	v_cmp_gt_i32_e64 s23, 0, v179
	v_and_b32_e32 v38, v38, v170
	v_not_b32_e32 v170, v175
	v_ashrrev_i32_e32 v178, 31, v178
	v_xor_b32_e32 v176, vcc_lo, v176
	v_cmp_gt_i32_e32 vcc_lo, 0, v175
	v_and_b32_e32 v38, v38, v171
	v_ashrrev_i32_e32 v170, 31, v170
	v_xor_b32_e32 v171, s23, v178
	v_mad_u32_u24 v175, v173, 36, v127
	v_mul_u32_u24_e32 v173, 36, v173
	v_and_b32_e32 v38, v38, v176
	v_xor_b32_e32 v176, vcc_lo, v170
	ds_read_b32 v170, v175 offset:544
	v_add_nc_u32_e32 v173, v127, v173
	v_and_b32_e32 v38, v38, v171
	; wave barrier
	v_and_b32_e32 v38, v38, v176
	v_mbcnt_lo_u32_b32 v171, v38, 0
	v_cmp_ne_u32_e64 s23, 0, v38
	v_cmp_eq_u32_e32 vcc_lo, 0, v171
	s_and_b32 s24, s23, vcc_lo
	s_and_saveexec_b32 s23, s24
	s_cbranch_execz .LBB1458_152
; %bb.151:                              ;   in Loop: Header=BB1458_104 Depth=2
	s_waitcnt lgkmcnt(0)
	v_bcnt_u32_b32 v38, v38, v170
	ds_write_b32 v173, v38 offset:544
.LBB1458_152:                           ;   in Loop: Header=BB1458_104 Depth=2
	s_or_b32 exec_lo, exec_lo, s23
	v_cmp_lt_i32_e32 vcc_lo, -1, v169
	; wave barrier
	v_cndmask_b32_e64 v38, -1, 0x80000000, vcc_lo
	v_xor_b32_e32 v169, v38, v169
	v_cmp_ne_u32_e32 vcc_lo, 0x7fffffff, v169
	v_cndmask_b32_e32 v38, 0x80000000, v169, vcc_lo
	v_lshrrev_b32_e32 v38, s52, v38
	v_and_b32_e32 v178, s61, v38
	v_and_b32_e32 v38, 1, v178
	v_lshlrev_b32_e32 v175, 30, v178
	v_lshlrev_b32_e32 v176, 29, v178
	;; [unrolled: 1-line block ×4, first 2 shown]
	v_add_co_u32 v38, s23, v38, -1
	v_cndmask_b32_e64 v179, 0, 1, s23
	v_not_b32_e32 v183, v175
	v_cmp_gt_i32_e64 s23, 0, v175
	v_not_b32_e32 v175, v176
	v_lshlrev_b32_e32 v182, 26, v178
	v_cmp_ne_u32_e32 vcc_lo, 0, v179
	v_ashrrev_i32_e32 v183, 31, v183
	v_lshlrev_b32_e32 v179, 25, v178
	v_ashrrev_i32_e32 v175, 31, v175
	v_xor_b32_e32 v38, vcc_lo, v38
	v_cmp_gt_i32_e32 vcc_lo, 0, v176
	v_not_b32_e32 v176, v180
	v_xor_b32_e32 v183, s23, v183
	v_cmp_gt_i32_e64 s23, 0, v180
	v_and_b32_e32 v38, exec_lo, v38
	v_not_b32_e32 v180, v181
	v_ashrrev_i32_e32 v176, 31, v176
	v_xor_b32_e32 v175, vcc_lo, v175
	v_cmp_gt_i32_e32 vcc_lo, 0, v181
	v_and_b32_e32 v38, v38, v183
	v_not_b32_e32 v181, v182
	v_ashrrev_i32_e32 v180, 31, v180
	v_xor_b32_e32 v176, s23, v176
	v_cmp_gt_i32_e64 s23, 0, v182
	v_and_b32_e32 v38, v38, v175
	v_not_b32_e32 v175, v179
	v_ashrrev_i32_e32 v181, 31, v181
	v_xor_b32_e32 v180, vcc_lo, v180
	v_cmp_gt_i32_e32 vcc_lo, 0, v179
	v_and_b32_e32 v38, v38, v176
	v_ashrrev_i32_e32 v175, 31, v175
	v_xor_b32_e32 v176, s23, v181
	v_mad_u32_u24 v179, v178, 36, v127
	v_mul_u32_u24_e32 v178, 36, v178
	v_and_b32_e32 v38, v38, v180
	v_xor_b32_e32 v180, vcc_lo, v175
	ds_read_b32 v175, v179 offset:544
	v_add_nc_u32_e32 v178, v127, v178
	v_and_b32_e32 v38, v38, v176
	; wave barrier
	v_and_b32_e32 v38, v38, v180
	v_mbcnt_lo_u32_b32 v176, v38, 0
	v_cmp_ne_u32_e64 s23, 0, v38
	v_cmp_eq_u32_e32 vcc_lo, 0, v176
	s_and_b32 s24, s23, vcc_lo
	s_and_saveexec_b32 s23, s24
	s_cbranch_execz .LBB1458_154
; %bb.153:                              ;   in Loop: Header=BB1458_104 Depth=2
	s_waitcnt lgkmcnt(0)
	v_bcnt_u32_b32 v38, v38, v175
	ds_write_b32 v178, v38 offset:544
.LBB1458_154:                           ;   in Loop: Header=BB1458_104 Depth=2
	s_or_b32 exec_lo, exec_lo, s23
	v_cmp_lt_i32_e32 vcc_lo, -1, v174
	; wave barrier
	v_cndmask_b32_e64 v38, -1, 0x80000000, vcc_lo
	v_xor_b32_e32 v174, v38, v174
	v_cmp_ne_u32_e32 vcc_lo, 0x7fffffff, v174
	v_cndmask_b32_e32 v38, 0x80000000, v174, vcc_lo
	v_lshrrev_b32_e32 v38, s52, v38
	v_and_b32_e32 v181, s61, v38
	v_and_b32_e32 v38, 1, v181
	v_lshlrev_b32_e32 v179, 30, v181
	v_lshlrev_b32_e32 v180, 29, v181
	;; [unrolled: 1-line block ×4, first 2 shown]
	v_add_co_u32 v38, s23, v38, -1
	v_cndmask_b32_e64 v182, 0, 1, s23
	v_not_b32_e32 v186, v179
	v_cmp_gt_i32_e64 s23, 0, v179
	v_not_b32_e32 v179, v180
	v_lshlrev_b32_e32 v185, 26, v181
	v_cmp_ne_u32_e32 vcc_lo, 0, v182
	v_ashrrev_i32_e32 v186, 31, v186
	v_lshlrev_b32_e32 v182, 25, v181
	v_ashrrev_i32_e32 v179, 31, v179
	v_xor_b32_e32 v38, vcc_lo, v38
	v_cmp_gt_i32_e32 vcc_lo, 0, v180
	v_not_b32_e32 v180, v183
	v_xor_b32_e32 v186, s23, v186
	v_cmp_gt_i32_e64 s23, 0, v183
	v_and_b32_e32 v38, exec_lo, v38
	v_not_b32_e32 v183, v184
	v_ashrrev_i32_e32 v180, 31, v180
	v_xor_b32_e32 v179, vcc_lo, v179
	v_cmp_gt_i32_e32 vcc_lo, 0, v184
	v_and_b32_e32 v38, v38, v186
	v_not_b32_e32 v184, v185
	v_ashrrev_i32_e32 v183, 31, v183
	v_xor_b32_e32 v180, s23, v180
	v_cmp_gt_i32_e64 s23, 0, v185
	v_and_b32_e32 v38, v38, v179
	v_not_b32_e32 v179, v182
	v_ashrrev_i32_e32 v184, 31, v184
	v_xor_b32_e32 v183, vcc_lo, v183
	v_cmp_gt_i32_e32 vcc_lo, 0, v182
	v_and_b32_e32 v38, v38, v180
	v_ashrrev_i32_e32 v179, 31, v179
	v_xor_b32_e32 v180, s23, v184
	v_mad_u32_u24 v182, v181, 36, v127
	v_mul_u32_u24_e32 v181, 36, v181
	v_and_b32_e32 v38, v38, v183
	v_xor_b32_e32 v183, vcc_lo, v179
	ds_read_b32 v179, v182 offset:544
	v_add_nc_u32_e32 v181, v127, v181
	v_and_b32_e32 v38, v38, v180
	; wave barrier
	v_and_b32_e32 v38, v38, v183
	v_mbcnt_lo_u32_b32 v180, v38, 0
	v_cmp_ne_u32_e64 s23, 0, v38
	v_cmp_eq_u32_e32 vcc_lo, 0, v180
	s_and_b32 s24, s23, vcc_lo
	s_and_saveexec_b32 s23, s24
	s_cbranch_execz .LBB1458_156
; %bb.155:                              ;   in Loop: Header=BB1458_104 Depth=2
	s_waitcnt lgkmcnt(0)
	v_bcnt_u32_b32 v38, v38, v179
	ds_write_b32 v181, v38 offset:544
.LBB1458_156:                           ;   in Loop: Header=BB1458_104 Depth=2
	s_or_b32 exec_lo, exec_lo, s23
	v_cmp_lt_i32_e32 vcc_lo, -1, v177
	; wave barrier
	v_cndmask_b32_e64 v38, -1, 0x80000000, vcc_lo
	v_xor_b32_e32 v177, v38, v177
	v_cmp_ne_u32_e32 vcc_lo, 0x7fffffff, v177
	v_cndmask_b32_e32 v38, 0x80000000, v177, vcc_lo
	v_lshrrev_b32_e32 v38, s52, v38
	v_and_b32_e32 v184, s61, v38
	v_and_b32_e32 v38, 1, v184
	v_lshlrev_b32_e32 v182, 30, v184
	v_lshlrev_b32_e32 v183, 29, v184
	;; [unrolled: 1-line block ×4, first 2 shown]
	v_add_co_u32 v38, s23, v38, -1
	v_cndmask_b32_e64 v185, 0, 1, s23
	v_not_b32_e32 v189, v182
	v_cmp_gt_i32_e64 s23, 0, v182
	v_not_b32_e32 v182, v183
	v_lshlrev_b32_e32 v188, 26, v184
	v_cmp_ne_u32_e32 vcc_lo, 0, v185
	v_ashrrev_i32_e32 v189, 31, v189
	v_lshlrev_b32_e32 v185, 25, v184
	v_ashrrev_i32_e32 v182, 31, v182
	v_xor_b32_e32 v38, vcc_lo, v38
	v_cmp_gt_i32_e32 vcc_lo, 0, v183
	v_not_b32_e32 v183, v186
	v_xor_b32_e32 v189, s23, v189
	v_cmp_gt_i32_e64 s23, 0, v186
	v_and_b32_e32 v38, exec_lo, v38
	v_not_b32_e32 v186, v187
	v_ashrrev_i32_e32 v183, 31, v183
	v_xor_b32_e32 v182, vcc_lo, v182
	v_cmp_gt_i32_e32 vcc_lo, 0, v187
	v_and_b32_e32 v38, v38, v189
	v_not_b32_e32 v187, v188
	v_ashrrev_i32_e32 v186, 31, v186
	v_xor_b32_e32 v183, s23, v183
	v_cmp_gt_i32_e64 s23, 0, v188
	v_and_b32_e32 v38, v38, v182
	v_not_b32_e32 v182, v185
	v_ashrrev_i32_e32 v187, 31, v187
	v_xor_b32_e32 v186, vcc_lo, v186
	v_cmp_gt_i32_e32 vcc_lo, 0, v185
	v_and_b32_e32 v38, v38, v183
	v_ashrrev_i32_e32 v182, 31, v182
	v_xor_b32_e32 v183, s23, v187
	v_mad_u32_u24 v185, v184, 36, v127
	v_mul_u32_u24_e32 v184, 36, v184
	v_and_b32_e32 v38, v38, v186
	v_xor_b32_e32 v186, vcc_lo, v182
	ds_read_b32 v182, v185 offset:544
	v_add_nc_u32_e32 v184, v127, v184
	v_and_b32_e32 v38, v38, v183
	; wave barrier
	v_and_b32_e32 v38, v38, v186
	v_mbcnt_lo_u32_b32 v183, v38, 0
	v_cmp_ne_u32_e64 s23, 0, v38
	v_cmp_eq_u32_e32 vcc_lo, 0, v183
	s_and_b32 s24, s23, vcc_lo
	s_and_saveexec_b32 s23, s24
	s_cbranch_execz .LBB1458_158
; %bb.157:                              ;   in Loop: Header=BB1458_104 Depth=2
	s_waitcnt lgkmcnt(0)
	v_bcnt_u32_b32 v38, v38, v182
	ds_write_b32 v184, v38 offset:544
.LBB1458_158:                           ;   in Loop: Header=BB1458_104 Depth=2
	s_or_b32 exec_lo, exec_lo, s23
	v_cmp_lt_i32_e32 vcc_lo, -1, v172
	; wave barrier
	v_cndmask_b32_e64 v38, -1, 0x80000000, vcc_lo
	v_xor_b32_e32 v172, v38, v172
	v_cmp_ne_u32_e32 vcc_lo, 0x7fffffff, v172
	v_cndmask_b32_e32 v38, 0x80000000, v172, vcc_lo
	v_lshrrev_b32_e32 v38, s52, v38
	v_and_b32_e32 v187, s61, v38
	v_and_b32_e32 v38, 1, v187
	v_lshlrev_b32_e32 v185, 30, v187
	v_lshlrev_b32_e32 v186, 29, v187
	;; [unrolled: 1-line block ×4, first 2 shown]
	v_add_co_u32 v38, s23, v38, -1
	v_cndmask_b32_e64 v188, 0, 1, s23
	v_not_b32_e32 v192, v185
	v_cmp_gt_i32_e64 s23, 0, v185
	v_not_b32_e32 v185, v186
	v_lshlrev_b32_e32 v191, 26, v187
	v_cmp_ne_u32_e32 vcc_lo, 0, v188
	v_ashrrev_i32_e32 v192, 31, v192
	v_lshlrev_b32_e32 v188, 25, v187
	v_ashrrev_i32_e32 v185, 31, v185
	v_xor_b32_e32 v38, vcc_lo, v38
	v_cmp_gt_i32_e32 vcc_lo, 0, v186
	v_not_b32_e32 v186, v189
	v_xor_b32_e32 v192, s23, v192
	v_cmp_gt_i32_e64 s23, 0, v189
	v_and_b32_e32 v38, exec_lo, v38
	v_not_b32_e32 v189, v190
	v_ashrrev_i32_e32 v186, 31, v186
	v_xor_b32_e32 v185, vcc_lo, v185
	v_cmp_gt_i32_e32 vcc_lo, 0, v190
	v_and_b32_e32 v38, v38, v192
	v_not_b32_e32 v190, v191
	v_ashrrev_i32_e32 v189, 31, v189
	v_xor_b32_e32 v186, s23, v186
	v_cmp_gt_i32_e64 s23, 0, v191
	v_and_b32_e32 v38, v38, v185
	v_not_b32_e32 v185, v188
	v_ashrrev_i32_e32 v190, 31, v190
	v_xor_b32_e32 v189, vcc_lo, v189
	v_cmp_gt_i32_e32 vcc_lo, 0, v188
	v_and_b32_e32 v38, v38, v186
	v_ashrrev_i32_e32 v185, 31, v185
	v_xor_b32_e32 v186, s23, v190
	v_mad_u32_u24 v188, v187, 36, v127
	v_mul_u32_u24_e32 v187, 36, v187
	v_and_b32_e32 v38, v38, v189
	v_xor_b32_e32 v189, vcc_lo, v185
	ds_read_b32 v185, v188 offset:544
	v_add_nc_u32_e32 v187, v127, v187
	v_and_b32_e32 v38, v38, v186
	; wave barrier
	v_and_b32_e32 v38, v38, v189
	v_mbcnt_lo_u32_b32 v186, v38, 0
	v_cmp_ne_u32_e64 s23, 0, v38
	v_cmp_eq_u32_e32 vcc_lo, 0, v186
	s_and_b32 s24, s23, vcc_lo
	s_and_saveexec_b32 s23, s24
	s_cbranch_execz .LBB1458_160
; %bb.159:                              ;   in Loop: Header=BB1458_104 Depth=2
	s_waitcnt lgkmcnt(0)
	v_bcnt_u32_b32 v38, v38, v185
	ds_write_b32 v187, v38 offset:544
.LBB1458_160:                           ;   in Loop: Header=BB1458_104 Depth=2
	s_or_b32 exec_lo, exec_lo, s23
	v_cmp_lt_i32_e32 vcc_lo, -1, v168
	; wave barrier
	v_cndmask_b32_e64 v38, -1, 0x80000000, vcc_lo
	v_xor_b32_e32 v168, v38, v168
	v_cmp_ne_u32_e32 vcc_lo, 0x7fffffff, v168
	v_cndmask_b32_e32 v38, 0x80000000, v168, vcc_lo
	v_lshrrev_b32_e32 v38, s52, v38
	v_and_b32_e32 v188, s61, v38
	v_and_b32_e32 v38, 1, v188
	v_lshlrev_b32_e32 v189, 30, v188
	v_lshlrev_b32_e32 v190, 29, v188
	;; [unrolled: 1-line block ×4, first 2 shown]
	v_add_co_u32 v38, s23, v38, -1
	v_cndmask_b32_e64 v191, 0, 1, s23
	v_not_b32_e32 v195, v189
	v_cmp_gt_i32_e64 s23, 0, v189
	v_not_b32_e32 v189, v190
	v_lshlrev_b32_e32 v194, 26, v188
	v_cmp_ne_u32_e32 vcc_lo, 0, v191
	v_ashrrev_i32_e32 v195, 31, v195
	v_lshlrev_b32_e32 v191, 25, v188
	v_ashrrev_i32_e32 v189, 31, v189
	v_xor_b32_e32 v38, vcc_lo, v38
	v_cmp_gt_i32_e32 vcc_lo, 0, v190
	v_not_b32_e32 v190, v192
	v_xor_b32_e32 v195, s23, v195
	v_cmp_gt_i32_e64 s23, 0, v192
	v_and_b32_e32 v38, exec_lo, v38
	v_not_b32_e32 v192, v193
	v_ashrrev_i32_e32 v190, 31, v190
	v_xor_b32_e32 v189, vcc_lo, v189
	v_cmp_gt_i32_e32 vcc_lo, 0, v193
	v_and_b32_e32 v38, v38, v195
	v_not_b32_e32 v193, v194
	v_ashrrev_i32_e32 v192, 31, v192
	v_xor_b32_e32 v190, s23, v190
	v_cmp_gt_i32_e64 s23, 0, v194
	v_and_b32_e32 v38, v38, v189
	v_not_b32_e32 v189, v191
	v_ashrrev_i32_e32 v193, 31, v193
	v_xor_b32_e32 v192, vcc_lo, v192
	v_cmp_gt_i32_e32 vcc_lo, 0, v191
	v_and_b32_e32 v38, v38, v190
	v_ashrrev_i32_e32 v189, 31, v189
	v_xor_b32_e32 v190, s23, v193
	v_mad_u32_u24 v191, v188, 36, v127
	v_mul_u32_u24_e32 v188, 36, v188
	v_and_b32_e32 v38, v38, v192
	v_xor_b32_e32 v192, vcc_lo, v189
	ds_read_b32 v189, v191 offset:544
	v_add_nc_u32_e32 v191, v127, v188
	v_and_b32_e32 v38, v38, v190
	; wave barrier
	v_and_b32_e32 v38, v38, v192
	v_mbcnt_lo_u32_b32 v190, v38, 0
	v_cmp_ne_u32_e64 s23, 0, v38
	v_cmp_eq_u32_e32 vcc_lo, 0, v190
	s_and_b32 s24, s23, vcc_lo
	s_and_saveexec_b32 s23, s24
	s_cbranch_execz .LBB1458_162
; %bb.161:                              ;   in Loop: Header=BB1458_104 Depth=2
	s_waitcnt lgkmcnt(0)
	v_bcnt_u32_b32 v38, v38, v189
	ds_write_b32 v191, v38 offset:544
.LBB1458_162:                           ;   in Loop: Header=BB1458_104 Depth=2
	s_or_b32 exec_lo, exec_lo, s23
	v_cmp_lt_i32_e32 vcc_lo, -1, v163
	; wave barrier
	v_cndmask_b32_e64 v38, -1, 0x80000000, vcc_lo
	v_xor_b32_e32 v188, v38, v163
	v_cmp_ne_u32_e32 vcc_lo, 0x7fffffff, v188
	v_cndmask_b32_e32 v38, 0x80000000, v188, vcc_lo
	v_lshrrev_b32_e32 v38, s52, v38
	v_and_b32_e32 v163, s61, v38
	v_and_b32_e32 v38, 1, v163
	v_lshlrev_b32_e32 v192, 30, v163
	v_lshlrev_b32_e32 v193, 29, v163
	v_lshlrev_b32_e32 v195, 28, v163
	v_lshlrev_b32_e32 v196, 27, v163
	v_add_co_u32 v38, s23, v38, -1
	v_cndmask_b32_e64 v194, 0, 1, s23
	v_not_b32_e32 v198, v192
	v_cmp_gt_i32_e64 s23, 0, v192
	v_not_b32_e32 v192, v193
	v_lshlrev_b32_e32 v197, 26, v163
	v_cmp_ne_u32_e32 vcc_lo, 0, v194
	v_ashrrev_i32_e32 v198, 31, v198
	v_lshlrev_b32_e32 v194, 25, v163
	v_ashrrev_i32_e32 v192, 31, v192
	v_xor_b32_e32 v38, vcc_lo, v38
	v_cmp_gt_i32_e32 vcc_lo, 0, v193
	v_not_b32_e32 v193, v195
	v_xor_b32_e32 v198, s23, v198
	v_cmp_gt_i32_e64 s23, 0, v195
	v_and_b32_e32 v38, exec_lo, v38
	v_not_b32_e32 v195, v196
	v_ashrrev_i32_e32 v193, 31, v193
	v_xor_b32_e32 v192, vcc_lo, v192
	v_cmp_gt_i32_e32 vcc_lo, 0, v196
	v_and_b32_e32 v38, v38, v198
	v_not_b32_e32 v196, v197
	v_ashrrev_i32_e32 v195, 31, v195
	v_xor_b32_e32 v193, s23, v193
	v_cmp_gt_i32_e64 s23, 0, v197
	v_and_b32_e32 v38, v38, v192
	v_not_b32_e32 v192, v194
	v_ashrrev_i32_e32 v196, 31, v196
	v_xor_b32_e32 v195, vcc_lo, v195
	v_cmp_gt_i32_e32 vcc_lo, 0, v194
	v_and_b32_e32 v38, v38, v193
	v_ashrrev_i32_e32 v192, 31, v192
	v_xor_b32_e32 v193, s23, v196
	v_mad_u32_u24 v194, v163, 36, v127
	v_mul_u32_u24_e32 v163, 36, v163
	v_and_b32_e32 v38, v38, v195
	v_xor_b32_e32 v192, vcc_lo, v192
	v_add_nc_u32_e32 v163, v127, v163
	v_and_b32_e32 v38, v38, v193
	ds_read_b32 v193, v194 offset:544
	; wave barrier
	v_and_b32_e32 v38, v38, v192
	v_mbcnt_lo_u32_b32 v194, v38, 0
	v_cmp_ne_u32_e64 s23, 0, v38
	v_cmp_eq_u32_e32 vcc_lo, 0, v194
	s_and_b32 s24, s23, vcc_lo
	s_and_saveexec_b32 s23, s24
	s_cbranch_execz .LBB1458_164
; %bb.163:                              ;   in Loop: Header=BB1458_104 Depth=2
	s_waitcnt lgkmcnt(0)
	v_bcnt_u32_b32 v38, v38, v193
	ds_write_b32 v163, v38 offset:544
.LBB1458_164:                           ;   in Loop: Header=BB1458_104 Depth=2
	s_or_b32 exec_lo, exec_lo, s23
	v_cmp_lt_i32_e32 vcc_lo, -1, v160
	; wave barrier
	v_cndmask_b32_e64 v38, -1, 0x80000000, vcc_lo
	v_xor_b32_e32 v192, v38, v160
	v_cmp_ne_u32_e32 vcc_lo, 0x7fffffff, v192
	v_cndmask_b32_e32 v38, 0x80000000, v192, vcc_lo
	v_lshrrev_b32_e32 v38, s52, v38
	v_and_b32_e32 v160, s61, v38
	v_and_b32_e32 v38, 1, v160
	v_lshlrev_b32_e32 v195, 30, v160
	v_lshlrev_b32_e32 v196, 29, v160
	;; [unrolled: 1-line block ×4, first 2 shown]
	v_add_co_u32 v38, s23, v38, -1
	v_cndmask_b32_e64 v197, 0, 1, s23
	v_not_b32_e32 v201, v195
	v_cmp_gt_i32_e64 s23, 0, v195
	v_not_b32_e32 v195, v196
	v_lshlrev_b32_e32 v200, 26, v160
	v_cmp_ne_u32_e32 vcc_lo, 0, v197
	v_ashrrev_i32_e32 v201, 31, v201
	v_lshlrev_b32_e32 v197, 25, v160
	v_ashrrev_i32_e32 v195, 31, v195
	v_xor_b32_e32 v38, vcc_lo, v38
	v_cmp_gt_i32_e32 vcc_lo, 0, v196
	v_not_b32_e32 v196, v198
	v_xor_b32_e32 v201, s23, v201
	v_cmp_gt_i32_e64 s23, 0, v198
	v_and_b32_e32 v38, exec_lo, v38
	v_not_b32_e32 v198, v199
	v_ashrrev_i32_e32 v196, 31, v196
	v_xor_b32_e32 v195, vcc_lo, v195
	v_cmp_gt_i32_e32 vcc_lo, 0, v199
	v_and_b32_e32 v38, v38, v201
	v_not_b32_e32 v199, v200
	v_ashrrev_i32_e32 v198, 31, v198
	v_xor_b32_e32 v196, s23, v196
	v_cmp_gt_i32_e64 s23, 0, v200
	v_and_b32_e32 v38, v38, v195
	v_not_b32_e32 v195, v197
	v_ashrrev_i32_e32 v199, 31, v199
	v_xor_b32_e32 v198, vcc_lo, v198
	v_cmp_gt_i32_e32 vcc_lo, 0, v197
	v_and_b32_e32 v38, v38, v196
	v_ashrrev_i32_e32 v195, 31, v195
	v_xor_b32_e32 v196, s23, v199
	v_mad_u32_u24 v197, v160, 36, v127
	v_mul_u32_u24_e32 v160, 36, v160
	v_and_b32_e32 v38, v38, v198
	v_xor_b32_e32 v195, vcc_lo, v195
	v_add_nc_u32_e32 v160, v127, v160
	v_and_b32_e32 v38, v38, v196
	ds_read_b32 v196, v197 offset:544
	; wave barrier
	v_and_b32_e32 v38, v38, v195
	v_mbcnt_lo_u32_b32 v197, v38, 0
	v_cmp_ne_u32_e64 s23, 0, v38
	v_cmp_eq_u32_e32 vcc_lo, 0, v197
	s_and_b32 s24, s23, vcc_lo
	s_and_saveexec_b32 s23, s24
	s_cbranch_execz .LBB1458_166
; %bb.165:                              ;   in Loop: Header=BB1458_104 Depth=2
	s_waitcnt lgkmcnt(0)
	v_bcnt_u32_b32 v38, v38, v196
	ds_write_b32 v160, v38 offset:544
.LBB1458_166:                           ;   in Loop: Header=BB1458_104 Depth=2
	s_or_b32 exec_lo, exec_lo, s23
	v_cmp_lt_i32_e32 vcc_lo, -1, v40
	; wave barrier
	v_cndmask_b32_e64 v38, -1, 0x80000000, vcc_lo
	v_xor_b32_e32 v195, v38, v40
	v_cmp_ne_u32_e32 vcc_lo, 0x7fffffff, v195
	v_cndmask_b32_e32 v38, 0x80000000, v195, vcc_lo
	v_lshrrev_b32_e32 v38, s52, v38
	v_and_b32_e32 v40, s61, v38
	v_and_b32_e32 v38, 1, v40
	v_lshlrev_b32_e32 v198, 30, v40
	v_lshlrev_b32_e32 v199, 29, v40
	;; [unrolled: 1-line block ×4, first 2 shown]
	v_add_co_u32 v38, s23, v38, -1
	v_cndmask_b32_e64 v200, 0, 1, s23
	v_not_b32_e32 v204, v198
	v_cmp_gt_i32_e64 s23, 0, v198
	v_not_b32_e32 v198, v199
	v_lshlrev_b32_e32 v203, 26, v40
	v_cmp_ne_u32_e32 vcc_lo, 0, v200
	v_ashrrev_i32_e32 v204, 31, v204
	v_lshlrev_b32_e32 v200, 25, v40
	v_ashrrev_i32_e32 v198, 31, v198
	v_xor_b32_e32 v38, vcc_lo, v38
	v_cmp_gt_i32_e32 vcc_lo, 0, v199
	v_not_b32_e32 v199, v201
	v_xor_b32_e32 v204, s23, v204
	v_cmp_gt_i32_e64 s23, 0, v201
	v_and_b32_e32 v38, exec_lo, v38
	v_not_b32_e32 v201, v202
	v_ashrrev_i32_e32 v199, 31, v199
	v_xor_b32_e32 v198, vcc_lo, v198
	v_cmp_gt_i32_e32 vcc_lo, 0, v202
	v_and_b32_e32 v38, v38, v204
	v_not_b32_e32 v202, v203
	v_ashrrev_i32_e32 v201, 31, v201
	v_xor_b32_e32 v199, s23, v199
	v_cmp_gt_i32_e64 s23, 0, v203
	v_and_b32_e32 v38, v38, v198
	v_not_b32_e32 v198, v200
	v_ashrrev_i32_e32 v202, 31, v202
	v_xor_b32_e32 v201, vcc_lo, v201
	v_cmp_gt_i32_e32 vcc_lo, 0, v200
	v_and_b32_e32 v38, v38, v199
	v_ashrrev_i32_e32 v198, 31, v198
	v_xor_b32_e32 v199, s23, v202
	v_mad_u32_u24 v200, v40, 36, v127
	v_mul_u32_u24_e32 v40, 36, v40
	v_and_b32_e32 v38, v38, v201
	v_xor_b32_e32 v198, vcc_lo, v198
	v_add_nc_u32_e32 v201, v127, v40
	v_and_b32_e32 v38, v38, v199
	ds_read_b32 v199, v200 offset:544
	; wave barrier
	v_and_b32_e32 v38, v38, v198
	v_mbcnt_lo_u32_b32 v200, v38, 0
	v_cmp_ne_u32_e64 s23, 0, v38
	v_cmp_eq_u32_e32 vcc_lo, 0, v200
	s_and_b32 s24, s23, vcc_lo
	s_and_saveexec_b32 s23, s24
	s_cbranch_execz .LBB1458_168
; %bb.167:                              ;   in Loop: Header=BB1458_104 Depth=2
	s_waitcnt lgkmcnt(0)
	v_bcnt_u32_b32 v38, v38, v199
	ds_write_b32 v201, v38 offset:544
.LBB1458_168:                           ;   in Loop: Header=BB1458_104 Depth=2
	s_or_b32 exec_lo, exec_lo, s23
	v_cmp_lt_i32_e32 vcc_lo, -1, v39
	; wave barrier
	v_cndmask_b32_e64 v38, -1, 0x80000000, vcc_lo
	v_xor_b32_e32 v198, v38, v39
	v_cmp_ne_u32_e32 vcc_lo, 0x7fffffff, v198
	v_cndmask_b32_e32 v38, 0x80000000, v198, vcc_lo
	v_lshrrev_b32_e32 v38, s52, v38
	v_and_b32_e32 v39, s61, v38
	v_and_b32_e32 v38, 1, v39
	v_lshlrev_b32_e32 v40, 30, v39
	v_lshlrev_b32_e32 v202, 29, v39
	v_lshlrev_b32_e32 v204, 28, v39
	v_lshlrev_b32_e32 v205, 27, v39
	v_add_co_u32 v38, s23, v38, -1
	v_cndmask_b32_e64 v203, 0, 1, s23
	v_not_b32_e32 v207, v40
	v_cmp_gt_i32_e64 s23, 0, v40
	v_not_b32_e32 v40, v202
	v_lshlrev_b32_e32 v206, 26, v39
	v_cmp_ne_u32_e32 vcc_lo, 0, v203
	v_ashrrev_i32_e32 v207, 31, v207
	v_lshlrev_b32_e32 v203, 25, v39
	v_ashrrev_i32_e32 v40, 31, v40
	v_xor_b32_e32 v38, vcc_lo, v38
	v_cmp_gt_i32_e32 vcc_lo, 0, v202
	v_not_b32_e32 v202, v204
	v_xor_b32_e32 v207, s23, v207
	v_cmp_gt_i32_e64 s23, 0, v204
	v_and_b32_e32 v38, exec_lo, v38
	v_not_b32_e32 v204, v205
	v_ashrrev_i32_e32 v202, 31, v202
	v_xor_b32_e32 v40, vcc_lo, v40
	v_cmp_gt_i32_e32 vcc_lo, 0, v205
	v_and_b32_e32 v38, v38, v207
	v_not_b32_e32 v205, v206
	v_ashrrev_i32_e32 v204, 31, v204
	v_xor_b32_e32 v202, s23, v202
	v_cmp_gt_i32_e64 s23, 0, v206
	v_and_b32_e32 v38, v38, v40
	v_not_b32_e32 v40, v203
	v_ashrrev_i32_e32 v205, 31, v205
	v_xor_b32_e32 v204, vcc_lo, v204
	v_cmp_gt_i32_e32 vcc_lo, 0, v203
	v_and_b32_e32 v38, v38, v202
	v_ashrrev_i32_e32 v40, 31, v40
	v_xor_b32_e32 v202, s23, v205
	v_mad_u32_u24 v203, v39, 36, v127
	v_mul_u32_u24_e32 v39, 36, v39
	v_and_b32_e32 v38, v38, v204
	v_xor_b32_e32 v40, vcc_lo, v40
	ds_read_b32 v203, v203 offset:544
	v_add_nc_u32_e32 v205, v127, v39
	v_and_b32_e32 v38, v38, v202
	; wave barrier
	v_and_b32_e32 v38, v38, v40
	v_mbcnt_lo_u32_b32 v204, v38, 0
	v_cmp_ne_u32_e64 s23, 0, v38
	v_cmp_eq_u32_e32 vcc_lo, 0, v204
	s_and_b32 s24, s23, vcc_lo
	s_and_saveexec_b32 s23, s24
	s_cbranch_execz .LBB1458_170
; %bb.169:                              ;   in Loop: Header=BB1458_104 Depth=2
	s_waitcnt lgkmcnt(0)
	v_bcnt_u32_b32 v38, v38, v203
	ds_write_b32 v205, v38 offset:544
.LBB1458_170:                           ;   in Loop: Header=BB1458_104 Depth=2
	s_or_b32 exec_lo, exec_lo, s23
	v_cmp_lt_i32_e32 vcc_lo, -1, v37
	; wave barrier
	v_cndmask_b32_e64 v38, -1, 0x80000000, vcc_lo
	v_xor_b32_e32 v202, v38, v37
	v_cmp_ne_u32_e32 vcc_lo, 0x7fffffff, v202
	v_cndmask_b32_e32 v37, 0x80000000, v202, vcc_lo
	v_lshrrev_b32_e32 v37, s52, v37
	v_and_b32_e32 v38, s61, v37
	v_and_b32_e32 v37, 1, v38
	v_lshlrev_b32_e32 v39, 30, v38
	v_lshlrev_b32_e32 v40, 29, v38
	;; [unrolled: 1-line block ×4, first 2 shown]
	v_add_co_u32 v37, s23, v37, -1
	v_cndmask_b32_e64 v206, 0, 1, s23
	v_not_b32_e32 v210, v39
	v_cmp_gt_i32_e64 s23, 0, v39
	v_not_b32_e32 v39, v40
	v_lshlrev_b32_e32 v209, 26, v38
	v_cmp_ne_u32_e32 vcc_lo, 0, v206
	v_ashrrev_i32_e32 v210, 31, v210
	v_lshlrev_b32_e32 v206, 25, v38
	v_ashrrev_i32_e32 v39, 31, v39
	v_xor_b32_e32 v37, vcc_lo, v37
	v_cmp_gt_i32_e32 vcc_lo, 0, v40
	v_not_b32_e32 v40, v207
	v_xor_b32_e32 v210, s23, v210
	v_cmp_gt_i32_e64 s23, 0, v207
	v_and_b32_e32 v37, exec_lo, v37
	v_not_b32_e32 v207, v208
	v_ashrrev_i32_e32 v40, 31, v40
	v_xor_b32_e32 v39, vcc_lo, v39
	v_cmp_gt_i32_e32 vcc_lo, 0, v208
	v_and_b32_e32 v37, v37, v210
	v_not_b32_e32 v208, v209
	v_ashrrev_i32_e32 v207, 31, v207
	v_xor_b32_e32 v40, s23, v40
	v_cmp_gt_i32_e64 s23, 0, v209
	v_and_b32_e32 v37, v37, v39
	v_not_b32_e32 v39, v206
	v_ashrrev_i32_e32 v208, 31, v208
	v_xor_b32_e32 v207, vcc_lo, v207
	v_cmp_gt_i32_e32 vcc_lo, 0, v206
	v_and_b32_e32 v37, v37, v40
	v_ashrrev_i32_e32 v39, 31, v39
	v_xor_b32_e32 v40, s23, v208
	v_mad_u32_u24 v206, v38, 36, v127
	v_mul_u32_u24_e32 v38, 36, v38
	v_and_b32_e32 v37, v37, v207
	v_xor_b32_e32 v39, vcc_lo, v39
	ds_read_b32 v206, v206 offset:544
	v_add_nc_u32_e32 v208, v127, v38
	v_and_b32_e32 v37, v37, v40
	; wave barrier
	v_and_b32_e32 v37, v37, v39
	v_mbcnt_lo_u32_b32 v207, v37, 0
	v_cmp_ne_u32_e64 s23, 0, v37
	v_cmp_eq_u32_e32 vcc_lo, 0, v207
	s_and_b32 s24, s23, vcc_lo
	s_and_saveexec_b32 s23, s24
	s_cbranch_execz .LBB1458_172
; %bb.171:                              ;   in Loop: Header=BB1458_104 Depth=2
	s_waitcnt lgkmcnt(0)
	v_bcnt_u32_b32 v37, v37, v206
	ds_write_b32 v208, v37 offset:544
.LBB1458_172:                           ;   in Loop: Header=BB1458_104 Depth=2
	s_or_b32 exec_lo, exec_lo, s23
	; wave barrier
	s_waitcnt lgkmcnt(0)
	s_barrier
	buffer_gl0_inv
	ds_read2_b32 v[39:40], v65 offset0:136 offset1:137
	ds_read2_b32 v[37:38], v65 offset0:138 offset1:139
	ds_read_b32 v209, v65 offset:560
	s_waitcnt lgkmcnt(1)
	v_add3_u32 v210, v40, v39, v37
	s_waitcnt lgkmcnt(0)
	v_add3_u32 v209, v210, v38, v209
	v_mov_b32_dpp v210, v209 row_shr:1 row_mask:0xf bank_mask:0xf
	v_cndmask_b32_e64 v210, v210, 0, s5
	v_add_nc_u32_e32 v209, v210, v209
	v_mov_b32_dpp v210, v209 row_shr:2 row_mask:0xf bank_mask:0xf
	v_cndmask_b32_e64 v210, 0, v210, s16
	v_add_nc_u32_e32 v209, v209, v210
	;; [unrolled: 3-line block ×4, first 2 shown]
	ds_swizzle_b32 v210, v209 offset:swizzle(BROADCAST,32,15)
	s_waitcnt lgkmcnt(0)
	v_cndmask_b32_e64 v210, v210, 0, s19
	v_add_nc_u32_e32 v209, v209, v210
	s_and_saveexec_b32 s23, s4
; %bb.173:                              ;   in Loop: Header=BB1458_104 Depth=2
	ds_write_b32 v60, v209 offset:512
; %bb.174:                              ;   in Loop: Header=BB1458_104 Depth=2
	s_or_b32 exec_lo, exec_lo, s23
	s_waitcnt lgkmcnt(0)
	s_barrier
	buffer_gl0_inv
	s_and_saveexec_b32 s23, s12
	s_cbranch_execz .LBB1458_176
; %bb.175:                              ;   in Loop: Header=BB1458_104 Depth=2
	ds_read_b32 v210, v66 offset:512
	s_waitcnt lgkmcnt(0)
	v_mov_b32_dpp v211, v210 row_shr:1 row_mask:0xf bank_mask:0xf
	v_cndmask_b32_e64 v211, v211, 0, s20
	v_add_nc_u32_e32 v210, v211, v210
	v_mov_b32_dpp v211, v210 row_shr:2 row_mask:0xf bank_mask:0xf
	v_cndmask_b32_e64 v211, 0, v211, s21
	v_add_nc_u32_e32 v210, v210, v211
	;; [unrolled: 3-line block ×3, first 2 shown]
	ds_write_b32 v66, v210 offset:512
.LBB1458_176:                           ;   in Loop: Header=BB1458_104 Depth=2
	s_or_b32 exec_lo, exec_lo, s23
	v_mov_b32_e32 v210, 0
	s_waitcnt lgkmcnt(0)
	s_barrier
	buffer_gl0_inv
	s_and_saveexec_b32 s23, s11
; %bb.177:                              ;   in Loop: Header=BB1458_104 Depth=2
	ds_read_b32 v210, v60 offset:508
; %bb.178:                              ;   in Loop: Header=BB1458_104 Depth=2
	s_or_b32 exec_lo, exec_lo, s23
	s_waitcnt lgkmcnt(0)
	v_add_nc_u32_e32 v209, v210, v209
	ds_bpermute_b32 v209, v126, v209
	s_waitcnt lgkmcnt(0)
	v_cndmask_b32_e64 v209, v209, v210, s15
	v_cndmask_b32_e64 v209, v209, 0, s13
	v_add_nc_u32_e32 v39, v209, v39
	v_add_nc_u32_e32 v40, v39, v40
	;; [unrolled: 1-line block ×4, first 2 shown]
	ds_write2_b32 v65, v209, v39 offset0:136 offset1:137
	ds_write2_b32 v65, v40, v37 offset0:138 offset1:139
	ds_write_b32 v65, v38 offset:560
	s_waitcnt lgkmcnt(0)
	s_barrier
	buffer_gl0_inv
	ds_read_b32 v39, v149 offset:544
	ds_read_b32 v40, v153 offset:544
	;; [unrolled: 1-line block ×16, first 2 shown]
	s_and_saveexec_b32 s23, s8
	s_cbranch_execz .LBB1458_182
; %bb.179:                              ;   in Loop: Header=BB1458_104 Depth=2
	ds_read_b32 v140, v68 offset:544
	v_mov_b32_e32 v145, 0x1000
	s_and_saveexec_b32 s24, s14
; %bb.180:                              ;   in Loop: Header=BB1458_104 Depth=2
	ds_read_b32 v145, v67 offset:544
; %bb.181:                              ;   in Loop: Header=BB1458_104 Depth=2
	s_or_b32 exec_lo, exec_lo, s24
	s_waitcnt lgkmcnt(0)
	v_sub_nc_u32_e32 v145, v145, v140
.LBB1458_182:                           ;   in Loop: Header=BB1458_104 Depth=2
	s_or_b32 exec_lo, exec_lo, s23
	s_waitcnt lgkmcnt(0)
	s_barrier
	buffer_gl0_inv
	s_and_saveexec_b32 s23, s8
	s_cbranch_execz .LBB1458_184
; %bb.183:                              ;   in Loop: Header=BB1458_104 Depth=2
	ds_read_b32 v160, v41
	s_waitcnt lgkmcnt(0)
	v_sub_nc_u32_e32 v160, v160, v140
	ds_write_b32 v41, v160
.LBB1458_184:                           ;   in Loop: Header=BB1458_104 Depth=2
	s_or_b32 exec_lo, exec_lo, s23
	v_add_nc_u32_e32 v167, v39, v148
	v_add3_u32 v163, v152, v151, v40
	v_add3_u32 v162, v156, v155, v149
	;; [unrolled: 1-line block ×5, first 2 shown]
	v_lshlrev_b32_e32 v165, 2, v167
	v_add3_u32 v151, v200, v199, v37
	v_lshlrev_b32_e32 v37, 2, v163
	v_add3_u32 v157, v176, v175, v178
	v_add3_u32 v156, v180, v179, v181
	ds_write_b32 v165, v3 offset:512
	v_lshlrev_b32_e32 v3, 2, v162
	ds_write_b32 v37, v147 offset:512
	v_lshlrev_b32_e32 v37, 2, v159
	v_add3_u32 v155, v183, v182, v184
	v_add3_u32 v149, v204, v203, v38
	v_lshlrev_b32_e32 v38, 2, v161
	v_add3_u32 v153, v186, v185, v187
	v_lshlrev_b32_e32 v165, 2, v160
	v_add3_u32 v152, v190, v189, v191
	v_add3_u32 v40, v194, v193, v210
	ds_write_b32 v3, v150 offset:512
	ds_write_b32 v38, v154 offset:512
	;; [unrolled: 1-line block ×3, first 2 shown]
	v_lshlrev_b32_e32 v3, 2, v157
	ds_write_b32 v37, v164 offset:512
	v_lshlrev_b32_e32 v37, 2, v156
	v_lshlrev_b32_e32 v38, 2, v155
	;; [unrolled: 1-line block ×3, first 2 shown]
	v_add3_u32 v39, v197, v196, v211
	v_add3_u32 v148, v207, v206, v173
	ds_write_b32 v3, v169 offset:512
	v_lshlrev_b32_e32 v3, 2, v152
	ds_write_b32 v37, v174 offset:512
	ds_write_b32 v38, v177 offset:512
	;; [unrolled: 1-line block ×3, first 2 shown]
	v_lshlrev_b32_e32 v37, 2, v40
	v_cmp_lt_u32_e32 vcc_lo, v0, v146
	v_lshlrev_b32_e32 v38, 2, v151
	ds_write_b32 v3, v168 offset:512
	v_lshlrev_b32_e32 v3, 2, v39
	ds_write_b32 v37, v188 offset:512
	v_lshlrev_b32_e32 v37, 2, v148
	v_lshlrev_b32_e32 v147, 2, v149
	ds_write_b32 v3, v192 offset:512
	ds_write_b32 v38, v195 offset:512
	;; [unrolled: 1-line block ×4, first 2 shown]
	s_waitcnt lgkmcnt(0)
	s_barrier
	buffer_gl0_inv
	s_and_saveexec_b32 s24, vcc_lo
	s_cbranch_execnz .LBB1458_253
; %bb.185:                              ;   in Loop: Header=BB1458_104 Depth=2
	s_or_b32 exec_lo, exec_lo, s24
	v_cmp_lt_u32_e64 s23, v42, v146
	s_and_saveexec_b32 s25, s23
	s_cbranch_execnz .LBB1458_254
.LBB1458_186:                           ;   in Loop: Header=BB1458_104 Depth=2
	s_or_b32 exec_lo, exec_lo, s25
	v_cmp_lt_u32_e64 s24, v45, v146
	s_and_saveexec_b32 s26, s24
	s_cbranch_execnz .LBB1458_255
.LBB1458_187:                           ;   in Loop: Header=BB1458_104 Depth=2
	s_or_b32 exec_lo, exec_lo, s26
	v_cmp_lt_u32_e64 s25, v46, v146
	s_and_saveexec_b32 s27, s25
	s_cbranch_execnz .LBB1458_256
.LBB1458_188:                           ;   in Loop: Header=BB1458_104 Depth=2
	s_or_b32 exec_lo, exec_lo, s27
	v_cmp_lt_u32_e64 s26, v47, v146
	s_and_saveexec_b32 s28, s26
	s_cbranch_execnz .LBB1458_257
.LBB1458_189:                           ;   in Loop: Header=BB1458_104 Depth=2
	s_or_b32 exec_lo, exec_lo, s28
	v_cmp_lt_u32_e64 s27, v48, v146
	s_and_saveexec_b32 s29, s27
	s_cbranch_execnz .LBB1458_258
.LBB1458_190:                           ;   in Loop: Header=BB1458_104 Depth=2
	s_or_b32 exec_lo, exec_lo, s29
	v_cmp_lt_u32_e64 s28, v49, v146
	s_and_saveexec_b32 s30, s28
	s_cbranch_execnz .LBB1458_259
.LBB1458_191:                           ;   in Loop: Header=BB1458_104 Depth=2
	s_or_b32 exec_lo, exec_lo, s30
	v_cmp_lt_u32_e64 s29, v50, v146
	s_and_saveexec_b32 s31, s29
	s_cbranch_execnz .LBB1458_260
.LBB1458_192:                           ;   in Loop: Header=BB1458_104 Depth=2
	s_or_b32 exec_lo, exec_lo, s31
	v_cmp_lt_u32_e64 s30, v51, v146
	s_and_saveexec_b32 s33, s30
	s_cbranch_execnz .LBB1458_261
.LBB1458_193:                           ;   in Loop: Header=BB1458_104 Depth=2
	s_or_b32 exec_lo, exec_lo, s33
	v_cmp_lt_u32_e64 s31, v52, v146
	s_and_saveexec_b32 s34, s31
	s_cbranch_execnz .LBB1458_262
.LBB1458_194:                           ;   in Loop: Header=BB1458_104 Depth=2
	s_or_b32 exec_lo, exec_lo, s34
	v_cmp_lt_u32_e64 s33, v53, v146
	s_and_saveexec_b32 s35, s33
	s_cbranch_execnz .LBB1458_263
.LBB1458_195:                           ;   in Loop: Header=BB1458_104 Depth=2
	s_or_b32 exec_lo, exec_lo, s35
	v_cmp_lt_u32_e64 s34, v54, v146
	s_and_saveexec_b32 s36, s34
	s_cbranch_execnz .LBB1458_264
.LBB1458_196:                           ;   in Loop: Header=BB1458_104 Depth=2
	s_or_b32 exec_lo, exec_lo, s36
	v_cmp_lt_u32_e64 s35, v55, v146
	s_and_saveexec_b32 s37, s35
	s_cbranch_execnz .LBB1458_265
.LBB1458_197:                           ;   in Loop: Header=BB1458_104 Depth=2
	s_or_b32 exec_lo, exec_lo, s37
	v_cmp_lt_u32_e64 s36, v56, v146
	s_and_saveexec_b32 s38, s36
	s_cbranch_execnz .LBB1458_266
.LBB1458_198:                           ;   in Loop: Header=BB1458_104 Depth=2
	s_or_b32 exec_lo, exec_lo, s38
	v_cmp_lt_u32_e64 s37, v57, v146
	s_and_saveexec_b32 s39, s37
	s_cbranch_execnz .LBB1458_267
.LBB1458_199:                           ;   in Loop: Header=BB1458_104 Depth=2
	s_or_b32 exec_lo, exec_lo, s39
	v_cmp_lt_u32_e64 s38, v58, v146
	s_and_saveexec_b32 s64, s38
	s_cbranch_execz .LBB1458_201
.LBB1458_200:                           ;   in Loop: Header=BB1458_104 Depth=2
	ds_read_b32 v147, v66 offset:15872
	s_waitcnt lgkmcnt(0)
	v_cmp_ne_u32_e64 s39, 0x7fffffff, v147
	v_cndmask_b32_e64 v3, 0x80000000, v147, s39
	v_cmp_lt_i32_e64 s39, -1, v147
	v_lshrrev_b32_e32 v3, s52, v3
	v_cndmask_b32_e64 v150, 0x80000000, -1, s39
	v_and_b32_e32 v3, s61, v3
	v_lshlrev_b32_e32 v3, 2, v3
	ds_read_b32 v3, v3
	s_waitcnt lgkmcnt(0)
	v_add_nc_u32_e32 v3, v3, v58
	v_lshlrev_b64 v[37:38], 2, v[3:4]
	v_xor_b32_e32 v3, v150, v147
	v_add_co_u32 v37, s39, s42, v37
	v_add_co_ci_u32_e64 v38, null, s43, v38, s39
	global_store_dword v[37:38], v3, off
.LBB1458_201:                           ;   in Loop: Header=BB1458_104 Depth=2
	s_or_b32 exec_lo, exec_lo, s64
	s_lshl_b64 s[64:65], s[46:47], 3
	v_add_co_u32 v37, s39, v106, s64
	v_add_co_ci_u32_e64 v38, null, s65, v107, s39
	v_cmp_lt_u32_e64 s39, v105, v146
	s_and_saveexec_b32 s46, s39
	s_xor_b32 s39, exec_lo, s46
	s_cbranch_execnz .LBB1458_268
; %bb.202:                              ;   in Loop: Header=BB1458_104 Depth=2
	s_or_b32 exec_lo, exec_lo, s39
	s_mov_b32 s46, exec_lo
	v_cmpx_lt_u32_e64 v108, v146
	s_cbranch_execnz .LBB1458_269
.LBB1458_203:                           ;   in Loop: Header=BB1458_104 Depth=2
	s_or_b32 exec_lo, exec_lo, s46
	s_mov_b32 s46, exec_lo
	v_cmpx_lt_u32_e64 v109, v146
	s_cbranch_execnz .LBB1458_270
.LBB1458_204:                           ;   in Loop: Header=BB1458_104 Depth=2
	s_or_b32 exec_lo, exec_lo, s46
	s_mov_b32 s46, exec_lo
	v_cmpx_lt_u32_e64 v110, v146
	s_cbranch_execnz .LBB1458_271
.LBB1458_205:                           ;   in Loop: Header=BB1458_104 Depth=2
	s_or_b32 exec_lo, exec_lo, s46
	s_mov_b32 s46, exec_lo
	v_cmpx_lt_u32_e64 v111, v146
	s_cbranch_execnz .LBB1458_272
.LBB1458_206:                           ;   in Loop: Header=BB1458_104 Depth=2
	s_or_b32 exec_lo, exec_lo, s46
	s_mov_b32 s46, exec_lo
	v_cmpx_lt_u32_e64 v112, v146
	s_cbranch_execnz .LBB1458_273
.LBB1458_207:                           ;   in Loop: Header=BB1458_104 Depth=2
	s_or_b32 exec_lo, exec_lo, s46
	s_mov_b32 s46, exec_lo
	v_cmpx_lt_u32_e64 v113, v146
	s_cbranch_execnz .LBB1458_274
.LBB1458_208:                           ;   in Loop: Header=BB1458_104 Depth=2
	s_or_b32 exec_lo, exec_lo, s46
	s_mov_b32 s46, exec_lo
	v_cmpx_lt_u32_e64 v114, v146
	s_cbranch_execnz .LBB1458_275
.LBB1458_209:                           ;   in Loop: Header=BB1458_104 Depth=2
	s_or_b32 exec_lo, exec_lo, s46
	s_mov_b32 s46, exec_lo
	v_cmpx_lt_u32_e64 v115, v146
	s_cbranch_execnz .LBB1458_276
.LBB1458_210:                           ;   in Loop: Header=BB1458_104 Depth=2
	s_or_b32 exec_lo, exec_lo, s46
	s_mov_b32 s46, exec_lo
	v_cmpx_lt_u32_e64 v116, v146
	s_cbranch_execnz .LBB1458_277
.LBB1458_211:                           ;   in Loop: Header=BB1458_104 Depth=2
	s_or_b32 exec_lo, exec_lo, s46
	s_mov_b32 s46, exec_lo
	v_cmpx_lt_u32_e64 v117, v146
	s_cbranch_execnz .LBB1458_278
.LBB1458_212:                           ;   in Loop: Header=BB1458_104 Depth=2
	s_or_b32 exec_lo, exec_lo, s46
	s_mov_b32 s46, exec_lo
	v_cmpx_lt_u32_e64 v118, v146
	s_cbranch_execnz .LBB1458_279
.LBB1458_213:                           ;   in Loop: Header=BB1458_104 Depth=2
	s_or_b32 exec_lo, exec_lo, s46
	s_mov_b32 s46, exec_lo
	v_cmpx_lt_u32_e64 v119, v146
	s_cbranch_execnz .LBB1458_280
.LBB1458_214:                           ;   in Loop: Header=BB1458_104 Depth=2
	s_or_b32 exec_lo, exec_lo, s46
	s_mov_b32 s46, exec_lo
	v_cmpx_lt_u32_e64 v121, v146
	s_cbranch_execnz .LBB1458_281
.LBB1458_215:                           ;   in Loop: Header=BB1458_104 Depth=2
	s_or_b32 exec_lo, exec_lo, s46
	s_mov_b32 s46, exec_lo
	v_cmpx_lt_u32_e64 v122, v146
	s_cbranch_execnz .LBB1458_282
.LBB1458_216:                           ;   in Loop: Header=BB1458_104 Depth=2
	s_or_b32 exec_lo, exec_lo, s46
	s_mov_b32 s46, exec_lo
	v_cmpx_lt_u32_e64 v123, v146
	s_cbranch_execnz .LBB1458_283
.LBB1458_217:                           ;   in Loop: Header=BB1458_104 Depth=2
	s_or_b32 exec_lo, exec_lo, s46
	s_and_saveexec_b32 s46, vcc_lo
	s_cbranch_execnz .LBB1458_284
.LBB1458_218:                           ;   in Loop: Header=BB1458_104 Depth=2
	s_or_b32 exec_lo, exec_lo, s46
	s_and_saveexec_b32 s46, s23
	s_cbranch_execnz .LBB1458_285
.LBB1458_219:                           ;   in Loop: Header=BB1458_104 Depth=2
	s_or_b32 exec_lo, exec_lo, s46
	s_and_saveexec_b32 s46, s24
	s_cbranch_execnz .LBB1458_286
.LBB1458_220:                           ;   in Loop: Header=BB1458_104 Depth=2
	s_or_b32 exec_lo, exec_lo, s46
	s_and_saveexec_b32 s46, s25
	s_cbranch_execnz .LBB1458_287
.LBB1458_221:                           ;   in Loop: Header=BB1458_104 Depth=2
	s_or_b32 exec_lo, exec_lo, s46
	s_and_saveexec_b32 s46, s26
	s_cbranch_execnz .LBB1458_288
.LBB1458_222:                           ;   in Loop: Header=BB1458_104 Depth=2
	s_or_b32 exec_lo, exec_lo, s46
	s_and_saveexec_b32 s46, s27
	s_cbranch_execnz .LBB1458_289
.LBB1458_223:                           ;   in Loop: Header=BB1458_104 Depth=2
	s_or_b32 exec_lo, exec_lo, s46
	s_and_saveexec_b32 s46, s28
	s_cbranch_execnz .LBB1458_290
.LBB1458_224:                           ;   in Loop: Header=BB1458_104 Depth=2
	s_or_b32 exec_lo, exec_lo, s46
	s_and_saveexec_b32 s46, s29
	s_cbranch_execnz .LBB1458_291
.LBB1458_225:                           ;   in Loop: Header=BB1458_104 Depth=2
	s_or_b32 exec_lo, exec_lo, s46
	s_and_saveexec_b32 s46, s30
	s_cbranch_execnz .LBB1458_292
.LBB1458_226:                           ;   in Loop: Header=BB1458_104 Depth=2
	s_or_b32 exec_lo, exec_lo, s46
	s_and_saveexec_b32 s46, s31
	s_cbranch_execnz .LBB1458_293
.LBB1458_227:                           ;   in Loop: Header=BB1458_104 Depth=2
	s_or_b32 exec_lo, exec_lo, s46
	s_and_saveexec_b32 s46, s33
	s_cbranch_execnz .LBB1458_294
.LBB1458_228:                           ;   in Loop: Header=BB1458_104 Depth=2
	s_or_b32 exec_lo, exec_lo, s46
	s_and_saveexec_b32 s46, s34
	s_cbranch_execnz .LBB1458_295
.LBB1458_229:                           ;   in Loop: Header=BB1458_104 Depth=2
	s_or_b32 exec_lo, exec_lo, s46
	s_and_saveexec_b32 s46, s35
	s_cbranch_execnz .LBB1458_296
.LBB1458_230:                           ;   in Loop: Header=BB1458_104 Depth=2
	s_or_b32 exec_lo, exec_lo, s46
	s_and_saveexec_b32 s46, s36
	s_cbranch_execnz .LBB1458_297
.LBB1458_231:                           ;   in Loop: Header=BB1458_104 Depth=2
	s_or_b32 exec_lo, exec_lo, s46
	s_and_saveexec_b32 s46, s37
	s_cbranch_execnz .LBB1458_298
.LBB1458_232:                           ;   in Loop: Header=BB1458_104 Depth=2
	s_or_b32 exec_lo, exec_lo, s46
	s_and_saveexec_b32 s46, s38
	s_cbranch_execz .LBB1458_234
.LBB1458_233:                           ;   in Loop: Header=BB1458_104 Depth=2
	ds_read_b32 v3, v66 offset:15872
	s_waitcnt lgkmcnt(0)
	v_cmp_ne_u32_e64 s39, 0x7fffffff, v3
	v_cndmask_b32_e64 v3, 0x80000000, v3, s39
	v_lshrrev_b32_e32 v3, s52, v3
	v_and_b32_e32 v128, s61, v3
.LBB1458_234:                           ;   in Loop: Header=BB1458_104 Depth=2
	s_or_b32 exec_lo, exec_lo, s46
	v_lshlrev_b32_e32 v3, 3, v167
	v_lshlrev_b32_e32 v37, 3, v163
	s_waitcnt vmcnt(0)
	s_waitcnt_vscnt null, 0x0
	s_barrier
	buffer_gl0_inv
	ds_write_b64 v3, v[35:36] offset:512
	v_lshlrev_b32_e32 v3, 3, v162
	v_lshlrev_b32_e32 v38, 3, v161
	;; [unrolled: 1-line block ×4, first 2 shown]
	ds_write_b64 v37, v[33:34] offset:512
	ds_write_b64 v3, v[31:32] offset:512
	;; [unrolled: 1-line block ×5, first 2 shown]
	v_lshlrev_b32_e32 v3, 3, v157
	v_lshlrev_b32_e32 v37, 3, v156
	;; [unrolled: 1-line block ×5, first 2 shown]
	ds_write_b64 v3, v[19:20] offset:512
	ds_write_b64 v37, v[15:16] offset:512
	;; [unrolled: 1-line block ×5, first 2 shown]
	v_lshlrev_b32_e32 v3, 3, v40
	v_lshlrev_b32_e32 v37, 3, v39
	;; [unrolled: 1-line block ×5, first 2 shown]
	ds_write_b64 v3, v[13:14] offset:512
	ds_write_b64 v37, v[11:12] offset:512
	;; [unrolled: 1-line block ×5, first 2 shown]
	s_waitcnt lgkmcnt(0)
	s_barrier
	buffer_gl0_inv
	s_and_saveexec_b32 s39, vcc_lo
	s_cbranch_execnz .LBB1458_299
; %bb.235:                              ;   in Loop: Header=BB1458_104 Depth=2
	s_or_b32 exec_lo, exec_lo, s39
	s_and_saveexec_b32 s39, s23
	s_cbranch_execnz .LBB1458_300
.LBB1458_236:                           ;   in Loop: Header=BB1458_104 Depth=2
	s_or_b32 exec_lo, exec_lo, s39
	s_and_saveexec_b32 s23, s24
	s_cbranch_execnz .LBB1458_301
.LBB1458_237:                           ;   in Loop: Header=BB1458_104 Depth=2
	s_or_b32 exec_lo, exec_lo, s23
	s_and_saveexec_b32 s23, s25
	s_cbranch_execnz .LBB1458_302
.LBB1458_238:                           ;   in Loop: Header=BB1458_104 Depth=2
	s_or_b32 exec_lo, exec_lo, s23
	s_and_saveexec_b32 s23, s26
	s_cbranch_execnz .LBB1458_303
.LBB1458_239:                           ;   in Loop: Header=BB1458_104 Depth=2
	s_or_b32 exec_lo, exec_lo, s23
	s_and_saveexec_b32 s23, s27
	s_cbranch_execnz .LBB1458_304
.LBB1458_240:                           ;   in Loop: Header=BB1458_104 Depth=2
	s_or_b32 exec_lo, exec_lo, s23
	s_and_saveexec_b32 s23, s28
	s_cbranch_execnz .LBB1458_305
.LBB1458_241:                           ;   in Loop: Header=BB1458_104 Depth=2
	s_or_b32 exec_lo, exec_lo, s23
	s_and_saveexec_b32 s23, s29
	s_cbranch_execnz .LBB1458_306
.LBB1458_242:                           ;   in Loop: Header=BB1458_104 Depth=2
	s_or_b32 exec_lo, exec_lo, s23
	s_and_saveexec_b32 s23, s30
	s_cbranch_execnz .LBB1458_307
.LBB1458_243:                           ;   in Loop: Header=BB1458_104 Depth=2
	s_or_b32 exec_lo, exec_lo, s23
	s_and_saveexec_b32 s23, s31
	s_cbranch_execnz .LBB1458_308
.LBB1458_244:                           ;   in Loop: Header=BB1458_104 Depth=2
	s_or_b32 exec_lo, exec_lo, s23
	s_and_saveexec_b32 s23, s33
	s_cbranch_execnz .LBB1458_309
.LBB1458_245:                           ;   in Loop: Header=BB1458_104 Depth=2
	s_or_b32 exec_lo, exec_lo, s23
	s_and_saveexec_b32 s23, s34
	s_cbranch_execnz .LBB1458_310
.LBB1458_246:                           ;   in Loop: Header=BB1458_104 Depth=2
	s_or_b32 exec_lo, exec_lo, s23
	s_and_saveexec_b32 s23, s35
	s_cbranch_execnz .LBB1458_311
.LBB1458_247:                           ;   in Loop: Header=BB1458_104 Depth=2
	s_or_b32 exec_lo, exec_lo, s23
	s_and_saveexec_b32 s23, s36
	s_cbranch_execnz .LBB1458_312
.LBB1458_248:                           ;   in Loop: Header=BB1458_104 Depth=2
	s_or_b32 exec_lo, exec_lo, s23
	s_and_saveexec_b32 s23, s37
	s_cbranch_execnz .LBB1458_313
.LBB1458_249:                           ;   in Loop: Header=BB1458_104 Depth=2
	s_or_b32 exec_lo, exec_lo, s23
	s_and_saveexec_b32 s23, s38
	s_cbranch_execz .LBB1458_251
.LBB1458_250:                           ;   in Loop: Header=BB1458_104 Depth=2
	v_lshlrev_b32_e32 v3, 2, v128
	v_add_nc_u32_e32 v37, v66, v41
	ds_read_b32 v3, v3
	ds_read_b64 v[37:38], v37 offset:31232
	s_waitcnt lgkmcnt(1)
	v_add_nc_u32_e32 v3, v3, v58
	v_lshlrev_b64 v[39:40], 3, v[3:4]
	v_add_co_u32 v39, vcc_lo, s48, v39
	v_add_co_ci_u32_e64 v40, null, s49, v40, vcc_lo
	s_waitcnt lgkmcnt(0)
	global_store_dwordx2 v[39:40], v[37:38], off
.LBB1458_251:                           ;   in Loop: Header=BB1458_104 Depth=2
	s_or_b32 exec_lo, exec_lo, s23
	s_waitcnt_vscnt null, 0x0
	s_barrier
	buffer_gl0_inv
	s_and_saveexec_b32 s23, s8
	s_cbranch_execz .LBB1458_103
; %bb.252:                              ;   in Loop: Header=BB1458_104 Depth=2
	ds_read_b32 v3, v41
	s_waitcnt lgkmcnt(0)
	v_add3_u32 v3, v140, v145, v3
	ds_write_b32 v41, v3
	s_branch .LBB1458_103
.LBB1458_253:                           ;   in Loop: Header=BB1458_104 Depth=2
	ds_read_b32 v147, v66 offset:512
	s_waitcnt lgkmcnt(0)
	v_cmp_ne_u32_e64 s23, 0x7fffffff, v147
	v_cndmask_b32_e64 v3, 0x80000000, v147, s23
	v_cmp_lt_i32_e64 s23, -1, v147
	v_lshrrev_b32_e32 v3, s52, v3
	v_cndmask_b32_e64 v150, 0x80000000, -1, s23
	v_and_b32_e32 v3, s61, v3
	v_lshlrev_b32_e32 v3, 2, v3
	ds_read_b32 v3, v3
	s_waitcnt lgkmcnt(0)
	v_add_nc_u32_e32 v3, v3, v0
	v_lshlrev_b64 v[37:38], 2, v[3:4]
	v_xor_b32_e32 v3, v150, v147
	v_add_co_u32 v37, s23, s42, v37
	v_add_co_ci_u32_e64 v38, null, s43, v38, s23
	global_store_dword v[37:38], v3, off
	s_or_b32 exec_lo, exec_lo, s24
	v_cmp_lt_u32_e64 s23, v42, v146
	s_and_saveexec_b32 s25, s23
	s_cbranch_execz .LBB1458_186
.LBB1458_254:                           ;   in Loop: Header=BB1458_104 Depth=2
	ds_read_b32 v147, v66 offset:1536
	s_waitcnt lgkmcnt(0)
	v_cmp_ne_u32_e64 s24, 0x7fffffff, v147
	v_cndmask_b32_e64 v3, 0x80000000, v147, s24
	v_cmp_lt_i32_e64 s24, -1, v147
	v_lshrrev_b32_e32 v3, s52, v3
	v_cndmask_b32_e64 v150, 0x80000000, -1, s24
	v_and_b32_e32 v3, s61, v3
	v_lshlrev_b32_e32 v3, 2, v3
	ds_read_b32 v3, v3
	s_waitcnt lgkmcnt(0)
	v_add_nc_u32_e32 v3, v3, v42
	v_lshlrev_b64 v[37:38], 2, v[3:4]
	v_xor_b32_e32 v3, v150, v147
	v_add_co_u32 v37, s24, s42, v37
	v_add_co_ci_u32_e64 v38, null, s43, v38, s24
	global_store_dword v[37:38], v3, off
	s_or_b32 exec_lo, exec_lo, s25
	v_cmp_lt_u32_e64 s24, v45, v146
	s_and_saveexec_b32 s26, s24
	s_cbranch_execz .LBB1458_187
.LBB1458_255:                           ;   in Loop: Header=BB1458_104 Depth=2
	ds_read_b32 v147, v66 offset:2560
	s_waitcnt lgkmcnt(0)
	v_cmp_ne_u32_e64 s25, 0x7fffffff, v147
	v_cndmask_b32_e64 v3, 0x80000000, v147, s25
	v_cmp_lt_i32_e64 s25, -1, v147
	v_lshrrev_b32_e32 v3, s52, v3
	v_cndmask_b32_e64 v150, 0x80000000, -1, s25
	v_and_b32_e32 v3, s61, v3
	v_lshlrev_b32_e32 v3, 2, v3
	ds_read_b32 v3, v3
	s_waitcnt lgkmcnt(0)
	v_add_nc_u32_e32 v3, v3, v45
	v_lshlrev_b64 v[37:38], 2, v[3:4]
	v_xor_b32_e32 v3, v150, v147
	v_add_co_u32 v37, s25, s42, v37
	v_add_co_ci_u32_e64 v38, null, s43, v38, s25
	global_store_dword v[37:38], v3, off
	s_or_b32 exec_lo, exec_lo, s26
	v_cmp_lt_u32_e64 s25, v46, v146
	s_and_saveexec_b32 s27, s25
	s_cbranch_execz .LBB1458_188
.LBB1458_256:                           ;   in Loop: Header=BB1458_104 Depth=2
	ds_read_b32 v147, v66 offset:3584
	s_waitcnt lgkmcnt(0)
	v_cmp_ne_u32_e64 s26, 0x7fffffff, v147
	v_cndmask_b32_e64 v3, 0x80000000, v147, s26
	v_cmp_lt_i32_e64 s26, -1, v147
	v_lshrrev_b32_e32 v3, s52, v3
	v_cndmask_b32_e64 v150, 0x80000000, -1, s26
	v_and_b32_e32 v3, s61, v3
	v_lshlrev_b32_e32 v3, 2, v3
	ds_read_b32 v3, v3
	s_waitcnt lgkmcnt(0)
	v_add_nc_u32_e32 v3, v3, v46
	v_lshlrev_b64 v[37:38], 2, v[3:4]
	v_xor_b32_e32 v3, v150, v147
	v_add_co_u32 v37, s26, s42, v37
	v_add_co_ci_u32_e64 v38, null, s43, v38, s26
	global_store_dword v[37:38], v3, off
	s_or_b32 exec_lo, exec_lo, s27
	v_cmp_lt_u32_e64 s26, v47, v146
	s_and_saveexec_b32 s28, s26
	s_cbranch_execz .LBB1458_189
.LBB1458_257:                           ;   in Loop: Header=BB1458_104 Depth=2
	ds_read_b32 v147, v66 offset:4608
	s_waitcnt lgkmcnt(0)
	v_cmp_ne_u32_e64 s27, 0x7fffffff, v147
	v_cndmask_b32_e64 v3, 0x80000000, v147, s27
	v_cmp_lt_i32_e64 s27, -1, v147
	v_lshrrev_b32_e32 v3, s52, v3
	v_cndmask_b32_e64 v150, 0x80000000, -1, s27
	v_and_b32_e32 v3, s61, v3
	v_lshlrev_b32_e32 v3, 2, v3
	ds_read_b32 v3, v3
	s_waitcnt lgkmcnt(0)
	v_add_nc_u32_e32 v3, v3, v47
	v_lshlrev_b64 v[37:38], 2, v[3:4]
	v_xor_b32_e32 v3, v150, v147
	v_add_co_u32 v37, s27, s42, v37
	v_add_co_ci_u32_e64 v38, null, s43, v38, s27
	global_store_dword v[37:38], v3, off
	s_or_b32 exec_lo, exec_lo, s28
	v_cmp_lt_u32_e64 s27, v48, v146
	s_and_saveexec_b32 s29, s27
	s_cbranch_execz .LBB1458_190
.LBB1458_258:                           ;   in Loop: Header=BB1458_104 Depth=2
	ds_read_b32 v147, v66 offset:5632
	s_waitcnt lgkmcnt(0)
	v_cmp_ne_u32_e64 s28, 0x7fffffff, v147
	v_cndmask_b32_e64 v3, 0x80000000, v147, s28
	v_cmp_lt_i32_e64 s28, -1, v147
	v_lshrrev_b32_e32 v3, s52, v3
	v_cndmask_b32_e64 v150, 0x80000000, -1, s28
	v_and_b32_e32 v3, s61, v3
	v_lshlrev_b32_e32 v3, 2, v3
	ds_read_b32 v3, v3
	s_waitcnt lgkmcnt(0)
	v_add_nc_u32_e32 v3, v3, v48
	v_lshlrev_b64 v[37:38], 2, v[3:4]
	v_xor_b32_e32 v3, v150, v147
	v_add_co_u32 v37, s28, s42, v37
	v_add_co_ci_u32_e64 v38, null, s43, v38, s28
	global_store_dword v[37:38], v3, off
	s_or_b32 exec_lo, exec_lo, s29
	v_cmp_lt_u32_e64 s28, v49, v146
	s_and_saveexec_b32 s30, s28
	s_cbranch_execz .LBB1458_191
.LBB1458_259:                           ;   in Loop: Header=BB1458_104 Depth=2
	ds_read_b32 v147, v66 offset:6656
	s_waitcnt lgkmcnt(0)
	v_cmp_ne_u32_e64 s29, 0x7fffffff, v147
	v_cndmask_b32_e64 v3, 0x80000000, v147, s29
	v_cmp_lt_i32_e64 s29, -1, v147
	v_lshrrev_b32_e32 v3, s52, v3
	v_cndmask_b32_e64 v150, 0x80000000, -1, s29
	v_and_b32_e32 v3, s61, v3
	v_lshlrev_b32_e32 v3, 2, v3
	ds_read_b32 v3, v3
	s_waitcnt lgkmcnt(0)
	v_add_nc_u32_e32 v3, v3, v49
	v_lshlrev_b64 v[37:38], 2, v[3:4]
	v_xor_b32_e32 v3, v150, v147
	v_add_co_u32 v37, s29, s42, v37
	v_add_co_ci_u32_e64 v38, null, s43, v38, s29
	global_store_dword v[37:38], v3, off
	s_or_b32 exec_lo, exec_lo, s30
	v_cmp_lt_u32_e64 s29, v50, v146
	s_and_saveexec_b32 s31, s29
	s_cbranch_execz .LBB1458_192
.LBB1458_260:                           ;   in Loop: Header=BB1458_104 Depth=2
	ds_read_b32 v147, v66 offset:7680
	s_waitcnt lgkmcnt(0)
	v_cmp_ne_u32_e64 s30, 0x7fffffff, v147
	v_cndmask_b32_e64 v3, 0x80000000, v147, s30
	v_cmp_lt_i32_e64 s30, -1, v147
	v_lshrrev_b32_e32 v3, s52, v3
	v_cndmask_b32_e64 v150, 0x80000000, -1, s30
	v_and_b32_e32 v3, s61, v3
	v_lshlrev_b32_e32 v3, 2, v3
	ds_read_b32 v3, v3
	s_waitcnt lgkmcnt(0)
	v_add_nc_u32_e32 v3, v3, v50
	v_lshlrev_b64 v[37:38], 2, v[3:4]
	v_xor_b32_e32 v3, v150, v147
	v_add_co_u32 v37, s30, s42, v37
	v_add_co_ci_u32_e64 v38, null, s43, v38, s30
	global_store_dword v[37:38], v3, off
	s_or_b32 exec_lo, exec_lo, s31
	v_cmp_lt_u32_e64 s30, v51, v146
	s_and_saveexec_b32 s33, s30
	s_cbranch_execz .LBB1458_193
.LBB1458_261:                           ;   in Loop: Header=BB1458_104 Depth=2
	ds_read_b32 v147, v66 offset:8704
	s_waitcnt lgkmcnt(0)
	v_cmp_ne_u32_e64 s31, 0x7fffffff, v147
	v_cndmask_b32_e64 v3, 0x80000000, v147, s31
	v_cmp_lt_i32_e64 s31, -1, v147
	v_lshrrev_b32_e32 v3, s52, v3
	v_cndmask_b32_e64 v150, 0x80000000, -1, s31
	v_and_b32_e32 v3, s61, v3
	v_lshlrev_b32_e32 v3, 2, v3
	ds_read_b32 v3, v3
	s_waitcnt lgkmcnt(0)
	v_add_nc_u32_e32 v3, v3, v51
	v_lshlrev_b64 v[37:38], 2, v[3:4]
	v_xor_b32_e32 v3, v150, v147
	v_add_co_u32 v37, s31, s42, v37
	v_add_co_ci_u32_e64 v38, null, s43, v38, s31
	global_store_dword v[37:38], v3, off
	s_or_b32 exec_lo, exec_lo, s33
	v_cmp_lt_u32_e64 s31, v52, v146
	s_and_saveexec_b32 s34, s31
	s_cbranch_execz .LBB1458_194
.LBB1458_262:                           ;   in Loop: Header=BB1458_104 Depth=2
	ds_read_b32 v147, v66 offset:9728
	s_waitcnt lgkmcnt(0)
	v_cmp_ne_u32_e64 s33, 0x7fffffff, v147
	v_cndmask_b32_e64 v3, 0x80000000, v147, s33
	v_cmp_lt_i32_e64 s33, -1, v147
	v_lshrrev_b32_e32 v3, s52, v3
	v_cndmask_b32_e64 v150, 0x80000000, -1, s33
	v_and_b32_e32 v3, s61, v3
	v_lshlrev_b32_e32 v3, 2, v3
	ds_read_b32 v3, v3
	s_waitcnt lgkmcnt(0)
	v_add_nc_u32_e32 v3, v3, v52
	v_lshlrev_b64 v[37:38], 2, v[3:4]
	v_xor_b32_e32 v3, v150, v147
	v_add_co_u32 v37, s33, s42, v37
	v_add_co_ci_u32_e64 v38, null, s43, v38, s33
	global_store_dword v[37:38], v3, off
	s_or_b32 exec_lo, exec_lo, s34
	v_cmp_lt_u32_e64 s33, v53, v146
	s_and_saveexec_b32 s35, s33
	s_cbranch_execz .LBB1458_195
.LBB1458_263:                           ;   in Loop: Header=BB1458_104 Depth=2
	ds_read_b32 v147, v66 offset:10752
	s_waitcnt lgkmcnt(0)
	v_cmp_ne_u32_e64 s34, 0x7fffffff, v147
	v_cndmask_b32_e64 v3, 0x80000000, v147, s34
	v_cmp_lt_i32_e64 s34, -1, v147
	v_lshrrev_b32_e32 v3, s52, v3
	v_cndmask_b32_e64 v150, 0x80000000, -1, s34
	v_and_b32_e32 v3, s61, v3
	v_lshlrev_b32_e32 v3, 2, v3
	ds_read_b32 v3, v3
	s_waitcnt lgkmcnt(0)
	v_add_nc_u32_e32 v3, v3, v53
	v_lshlrev_b64 v[37:38], 2, v[3:4]
	v_xor_b32_e32 v3, v150, v147
	v_add_co_u32 v37, s34, s42, v37
	v_add_co_ci_u32_e64 v38, null, s43, v38, s34
	global_store_dword v[37:38], v3, off
	s_or_b32 exec_lo, exec_lo, s35
	v_cmp_lt_u32_e64 s34, v54, v146
	s_and_saveexec_b32 s36, s34
	s_cbranch_execz .LBB1458_196
.LBB1458_264:                           ;   in Loop: Header=BB1458_104 Depth=2
	ds_read_b32 v147, v66 offset:11776
	s_waitcnt lgkmcnt(0)
	v_cmp_ne_u32_e64 s35, 0x7fffffff, v147
	v_cndmask_b32_e64 v3, 0x80000000, v147, s35
	v_cmp_lt_i32_e64 s35, -1, v147
	v_lshrrev_b32_e32 v3, s52, v3
	v_cndmask_b32_e64 v150, 0x80000000, -1, s35
	v_and_b32_e32 v3, s61, v3
	v_lshlrev_b32_e32 v3, 2, v3
	ds_read_b32 v3, v3
	s_waitcnt lgkmcnt(0)
	v_add_nc_u32_e32 v3, v3, v54
	v_lshlrev_b64 v[37:38], 2, v[3:4]
	v_xor_b32_e32 v3, v150, v147
	v_add_co_u32 v37, s35, s42, v37
	v_add_co_ci_u32_e64 v38, null, s43, v38, s35
	global_store_dword v[37:38], v3, off
	s_or_b32 exec_lo, exec_lo, s36
	v_cmp_lt_u32_e64 s35, v55, v146
	s_and_saveexec_b32 s37, s35
	s_cbranch_execz .LBB1458_197
.LBB1458_265:                           ;   in Loop: Header=BB1458_104 Depth=2
	ds_read_b32 v147, v66 offset:12800
	s_waitcnt lgkmcnt(0)
	v_cmp_ne_u32_e64 s36, 0x7fffffff, v147
	v_cndmask_b32_e64 v3, 0x80000000, v147, s36
	v_cmp_lt_i32_e64 s36, -1, v147
	v_lshrrev_b32_e32 v3, s52, v3
	v_cndmask_b32_e64 v150, 0x80000000, -1, s36
	v_and_b32_e32 v3, s61, v3
	v_lshlrev_b32_e32 v3, 2, v3
	ds_read_b32 v3, v3
	s_waitcnt lgkmcnt(0)
	v_add_nc_u32_e32 v3, v3, v55
	v_lshlrev_b64 v[37:38], 2, v[3:4]
	v_xor_b32_e32 v3, v150, v147
	v_add_co_u32 v37, s36, s42, v37
	v_add_co_ci_u32_e64 v38, null, s43, v38, s36
	global_store_dword v[37:38], v3, off
	s_or_b32 exec_lo, exec_lo, s37
	v_cmp_lt_u32_e64 s36, v56, v146
	s_and_saveexec_b32 s38, s36
	s_cbranch_execz .LBB1458_198
.LBB1458_266:                           ;   in Loop: Header=BB1458_104 Depth=2
	ds_read_b32 v147, v66 offset:13824
	s_waitcnt lgkmcnt(0)
	v_cmp_ne_u32_e64 s37, 0x7fffffff, v147
	v_cndmask_b32_e64 v3, 0x80000000, v147, s37
	v_cmp_lt_i32_e64 s37, -1, v147
	v_lshrrev_b32_e32 v3, s52, v3
	v_cndmask_b32_e64 v150, 0x80000000, -1, s37
	v_and_b32_e32 v3, s61, v3
	v_lshlrev_b32_e32 v3, 2, v3
	ds_read_b32 v3, v3
	s_waitcnt lgkmcnt(0)
	v_add_nc_u32_e32 v3, v3, v56
	v_lshlrev_b64 v[37:38], 2, v[3:4]
	v_xor_b32_e32 v3, v150, v147
	v_add_co_u32 v37, s37, s42, v37
	v_add_co_ci_u32_e64 v38, null, s43, v38, s37
	global_store_dword v[37:38], v3, off
	s_or_b32 exec_lo, exec_lo, s38
	v_cmp_lt_u32_e64 s37, v57, v146
	s_and_saveexec_b32 s39, s37
	s_cbranch_execz .LBB1458_199
.LBB1458_267:                           ;   in Loop: Header=BB1458_104 Depth=2
	ds_read_b32 v147, v66 offset:14848
	s_waitcnt lgkmcnt(0)
	v_cmp_ne_u32_e64 s38, 0x7fffffff, v147
	v_cndmask_b32_e64 v3, 0x80000000, v147, s38
	v_cmp_lt_i32_e64 s38, -1, v147
	v_lshrrev_b32_e32 v3, s52, v3
	v_cndmask_b32_e64 v150, 0x80000000, -1, s38
	v_and_b32_e32 v3, s61, v3
	v_lshlrev_b32_e32 v3, 2, v3
	ds_read_b32 v3, v3
	s_waitcnt lgkmcnt(0)
	v_add_nc_u32_e32 v3, v3, v57
	v_lshlrev_b64 v[37:38], 2, v[3:4]
	v_xor_b32_e32 v3, v150, v147
	v_add_co_u32 v37, s38, s42, v37
	v_add_co_ci_u32_e64 v38, null, s43, v38, s38
	global_store_dword v[37:38], v3, off
	s_or_b32 exec_lo, exec_lo, s39
	v_cmp_lt_u32_e64 s38, v58, v146
	s_and_saveexec_b32 s64, s38
	s_cbranch_execnz .LBB1458_200
	s_branch .LBB1458_201
.LBB1458_268:                           ;   in Loop: Header=BB1458_104 Depth=2
	global_load_dwordx2 v[35:36], v[37:38], off
	s_or_b32 exec_lo, exec_lo, s39
	s_mov_b32 s46, exec_lo
	v_cmpx_lt_u32_e64 v108, v146
	s_cbranch_execz .LBB1458_203
.LBB1458_269:                           ;   in Loop: Header=BB1458_104 Depth=2
	global_load_dwordx2 v[33:34], v[37:38], off offset:256
	s_or_b32 exec_lo, exec_lo, s46
	s_mov_b32 s46, exec_lo
	v_cmpx_lt_u32_e64 v109, v146
	s_cbranch_execz .LBB1458_204
.LBB1458_270:                           ;   in Loop: Header=BB1458_104 Depth=2
	global_load_dwordx2 v[31:32], v[37:38], off offset:512
	s_or_b32 exec_lo, exec_lo, s46
	s_mov_b32 s46, exec_lo
	v_cmpx_lt_u32_e64 v110, v146
	s_cbranch_execz .LBB1458_205
.LBB1458_271:                           ;   in Loop: Header=BB1458_104 Depth=2
	global_load_dwordx2 v[29:30], v[37:38], off offset:768
	s_or_b32 exec_lo, exec_lo, s46
	s_mov_b32 s46, exec_lo
	v_cmpx_lt_u32_e64 v111, v146
	s_cbranch_execz .LBB1458_206
.LBB1458_272:                           ;   in Loop: Header=BB1458_104 Depth=2
	global_load_dwordx2 v[27:28], v[37:38], off offset:1024
	s_or_b32 exec_lo, exec_lo, s46
	s_mov_b32 s46, exec_lo
	v_cmpx_lt_u32_e64 v112, v146
	s_cbranch_execz .LBB1458_207
.LBB1458_273:                           ;   in Loop: Header=BB1458_104 Depth=2
	global_load_dwordx2 v[23:24], v[37:38], off offset:1280
	s_or_b32 exec_lo, exec_lo, s46
	s_mov_b32 s46, exec_lo
	v_cmpx_lt_u32_e64 v113, v146
	s_cbranch_execz .LBB1458_208
.LBB1458_274:                           ;   in Loop: Header=BB1458_104 Depth=2
	global_load_dwordx2 v[19:20], v[37:38], off offset:1536
	s_or_b32 exec_lo, exec_lo, s46
	s_mov_b32 s46, exec_lo
	v_cmpx_lt_u32_e64 v114, v146
	s_cbranch_execz .LBB1458_209
.LBB1458_275:                           ;   in Loop: Header=BB1458_104 Depth=2
	global_load_dwordx2 v[15:16], v[37:38], off offset:1792
	s_or_b32 exec_lo, exec_lo, s46
	s_mov_b32 s46, exec_lo
	v_cmpx_lt_u32_e64 v115, v146
	s_cbranch_execz .LBB1458_210
.LBB1458_276:                           ;   in Loop: Header=BB1458_104 Depth=2
	v_add_co_u32 v25, s39, 0x800, v37
	v_add_co_ci_u32_e64 v26, null, 0, v38, s39
	global_load_dwordx2 v[25:26], v[25:26], off
	s_or_b32 exec_lo, exec_lo, s46
	s_mov_b32 s46, exec_lo
	v_cmpx_lt_u32_e64 v116, v146
	s_cbranch_execz .LBB1458_211
.LBB1458_277:                           ;   in Loop: Header=BB1458_104 Depth=2
	v_add_co_u32 v21, s39, 0x800, v37
	v_add_co_ci_u32_e64 v22, null, 0, v38, s39
	global_load_dwordx2 v[21:22], v[21:22], off offset:256
	s_or_b32 exec_lo, exec_lo, s46
	s_mov_b32 s46, exec_lo
	v_cmpx_lt_u32_e64 v117, v146
	s_cbranch_execz .LBB1458_212
.LBB1458_278:                           ;   in Loop: Header=BB1458_104 Depth=2
	v_add_co_u32 v17, s39, 0x800, v37
	v_add_co_ci_u32_e64 v18, null, 0, v38, s39
	global_load_dwordx2 v[17:18], v[17:18], off offset:512
	s_or_b32 exec_lo, exec_lo, s46
	s_mov_b32 s46, exec_lo
	v_cmpx_lt_u32_e64 v118, v146
	s_cbranch_execz .LBB1458_213
.LBB1458_279:                           ;   in Loop: Header=BB1458_104 Depth=2
	v_add_co_u32 v13, s39, 0x800, v37
	v_add_co_ci_u32_e64 v14, null, 0, v38, s39
	global_load_dwordx2 v[13:14], v[13:14], off offset:768
	s_or_b32 exec_lo, exec_lo, s46
	s_mov_b32 s46, exec_lo
	v_cmpx_lt_u32_e64 v119, v146
	s_cbranch_execz .LBB1458_214
.LBB1458_280:                           ;   in Loop: Header=BB1458_104 Depth=2
	v_add_co_u32 v11, s39, 0x800, v37
	v_add_co_ci_u32_e64 v12, null, 0, v38, s39
	global_load_dwordx2 v[11:12], v[11:12], off offset:1024
	s_or_b32 exec_lo, exec_lo, s46
	s_mov_b32 s46, exec_lo
	v_cmpx_lt_u32_e64 v121, v146
	s_cbranch_execz .LBB1458_215
.LBB1458_281:                           ;   in Loop: Header=BB1458_104 Depth=2
	v_add_co_u32 v9, s39, 0x800, v37
	v_add_co_ci_u32_e64 v10, null, 0, v38, s39
	global_load_dwordx2 v[9:10], v[9:10], off offset:1280
	s_or_b32 exec_lo, exec_lo, s46
	s_mov_b32 s46, exec_lo
	v_cmpx_lt_u32_e64 v122, v146
	s_cbranch_execz .LBB1458_216
.LBB1458_282:                           ;   in Loop: Header=BB1458_104 Depth=2
	v_add_co_u32 v7, s39, 0x800, v37
	v_add_co_ci_u32_e64 v8, null, 0, v38, s39
	global_load_dwordx2 v[7:8], v[7:8], off offset:1536
	s_or_b32 exec_lo, exec_lo, s46
	s_mov_b32 s46, exec_lo
	v_cmpx_lt_u32_e64 v123, v146
	s_cbranch_execz .LBB1458_217
.LBB1458_283:                           ;   in Loop: Header=BB1458_104 Depth=2
	v_add_co_u32 v5, s39, 0x800, v37
	v_add_co_ci_u32_e64 v6, null, 0, v38, s39
	global_load_dwordx2 v[5:6], v[5:6], off offset:1792
	s_or_b32 exec_lo, exec_lo, s46
	s_and_saveexec_b32 s46, vcc_lo
	s_cbranch_execz .LBB1458_218
.LBB1458_284:                           ;   in Loop: Header=BB1458_104 Depth=2
	ds_read_b32 v3, v66 offset:512
	s_waitcnt lgkmcnt(0)
	v_cmp_ne_u32_e64 s39, 0x7fffffff, v3
	v_cndmask_b32_e64 v3, 0x80000000, v3, s39
	v_lshrrev_b32_e32 v3, s52, v3
	v_and_b32_e32 v144, s61, v3
	s_or_b32 exec_lo, exec_lo, s46
	s_and_saveexec_b32 s46, s23
	s_cbranch_execz .LBB1458_219
.LBB1458_285:                           ;   in Loop: Header=BB1458_104 Depth=2
	ds_read_b32 v3, v66 offset:1536
	s_waitcnt lgkmcnt(0)
	v_cmp_ne_u32_e64 s39, 0x7fffffff, v3
	v_cndmask_b32_e64 v3, 0x80000000, v3, s39
	v_lshrrev_b32_e32 v3, s52, v3
	v_and_b32_e32 v143, s61, v3
	s_or_b32 exec_lo, exec_lo, s46
	s_and_saveexec_b32 s46, s24
	s_cbranch_execz .LBB1458_220
.LBB1458_286:                           ;   in Loop: Header=BB1458_104 Depth=2
	ds_read_b32 v3, v66 offset:2560
	s_waitcnt lgkmcnt(0)
	v_cmp_ne_u32_e64 s39, 0x7fffffff, v3
	v_cndmask_b32_e64 v3, 0x80000000, v3, s39
	v_lshrrev_b32_e32 v3, s52, v3
	v_and_b32_e32 v142, s61, v3
	s_or_b32 exec_lo, exec_lo, s46
	s_and_saveexec_b32 s46, s25
	s_cbranch_execz .LBB1458_221
.LBB1458_287:                           ;   in Loop: Header=BB1458_104 Depth=2
	ds_read_b32 v3, v66 offset:3584
	s_waitcnt lgkmcnt(0)
	v_cmp_ne_u32_e64 s39, 0x7fffffff, v3
	v_cndmask_b32_e64 v3, 0x80000000, v3, s39
	v_lshrrev_b32_e32 v3, s52, v3
	v_and_b32_e32 v141, s61, v3
	s_or_b32 exec_lo, exec_lo, s46
	s_and_saveexec_b32 s46, s26
	s_cbranch_execz .LBB1458_222
.LBB1458_288:                           ;   in Loop: Header=BB1458_104 Depth=2
	ds_read_b32 v3, v66 offset:4608
	s_waitcnt lgkmcnt(0)
	v_cmp_ne_u32_e64 s39, 0x7fffffff, v3
	v_cndmask_b32_e64 v3, 0x80000000, v3, s39
	v_lshrrev_b32_e32 v3, s52, v3
	v_and_b32_e32 v139, s61, v3
	s_or_b32 exec_lo, exec_lo, s46
	s_and_saveexec_b32 s46, s27
	s_cbranch_execz .LBB1458_223
.LBB1458_289:                           ;   in Loop: Header=BB1458_104 Depth=2
	ds_read_b32 v3, v66 offset:5632
	s_waitcnt lgkmcnt(0)
	v_cmp_ne_u32_e64 s39, 0x7fffffff, v3
	v_cndmask_b32_e64 v3, 0x80000000, v3, s39
	v_lshrrev_b32_e32 v3, s52, v3
	v_and_b32_e32 v138, s61, v3
	s_or_b32 exec_lo, exec_lo, s46
	s_and_saveexec_b32 s46, s28
	s_cbranch_execz .LBB1458_224
.LBB1458_290:                           ;   in Loop: Header=BB1458_104 Depth=2
	ds_read_b32 v3, v66 offset:6656
	s_waitcnt lgkmcnt(0)
	v_cmp_ne_u32_e64 s39, 0x7fffffff, v3
	v_cndmask_b32_e64 v3, 0x80000000, v3, s39
	v_lshrrev_b32_e32 v3, s52, v3
	v_and_b32_e32 v137, s61, v3
	s_or_b32 exec_lo, exec_lo, s46
	s_and_saveexec_b32 s46, s29
	s_cbranch_execz .LBB1458_225
.LBB1458_291:                           ;   in Loop: Header=BB1458_104 Depth=2
	ds_read_b32 v3, v66 offset:7680
	s_waitcnt lgkmcnt(0)
	v_cmp_ne_u32_e64 s39, 0x7fffffff, v3
	v_cndmask_b32_e64 v3, 0x80000000, v3, s39
	v_lshrrev_b32_e32 v3, s52, v3
	v_and_b32_e32 v136, s61, v3
	s_or_b32 exec_lo, exec_lo, s46
	s_and_saveexec_b32 s46, s30
	s_cbranch_execz .LBB1458_226
.LBB1458_292:                           ;   in Loop: Header=BB1458_104 Depth=2
	ds_read_b32 v3, v66 offset:8704
	s_waitcnt lgkmcnt(0)
	v_cmp_ne_u32_e64 s39, 0x7fffffff, v3
	v_cndmask_b32_e64 v3, 0x80000000, v3, s39
	v_lshrrev_b32_e32 v3, s52, v3
	v_and_b32_e32 v135, s61, v3
	s_or_b32 exec_lo, exec_lo, s46
	s_and_saveexec_b32 s46, s31
	s_cbranch_execz .LBB1458_227
.LBB1458_293:                           ;   in Loop: Header=BB1458_104 Depth=2
	ds_read_b32 v3, v66 offset:9728
	s_waitcnt lgkmcnt(0)
	v_cmp_ne_u32_e64 s39, 0x7fffffff, v3
	v_cndmask_b32_e64 v3, 0x80000000, v3, s39
	v_lshrrev_b32_e32 v3, s52, v3
	v_and_b32_e32 v134, s61, v3
	s_or_b32 exec_lo, exec_lo, s46
	s_and_saveexec_b32 s46, s33
	s_cbranch_execz .LBB1458_228
.LBB1458_294:                           ;   in Loop: Header=BB1458_104 Depth=2
	ds_read_b32 v3, v66 offset:10752
	s_waitcnt lgkmcnt(0)
	v_cmp_ne_u32_e64 s39, 0x7fffffff, v3
	v_cndmask_b32_e64 v3, 0x80000000, v3, s39
	v_lshrrev_b32_e32 v3, s52, v3
	v_and_b32_e32 v133, s61, v3
	s_or_b32 exec_lo, exec_lo, s46
	s_and_saveexec_b32 s46, s34
	s_cbranch_execz .LBB1458_229
.LBB1458_295:                           ;   in Loop: Header=BB1458_104 Depth=2
	ds_read_b32 v3, v66 offset:11776
	s_waitcnt lgkmcnt(0)
	v_cmp_ne_u32_e64 s39, 0x7fffffff, v3
	v_cndmask_b32_e64 v3, 0x80000000, v3, s39
	v_lshrrev_b32_e32 v3, s52, v3
	v_and_b32_e32 v132, s61, v3
	s_or_b32 exec_lo, exec_lo, s46
	s_and_saveexec_b32 s46, s35
	s_cbranch_execz .LBB1458_230
.LBB1458_296:                           ;   in Loop: Header=BB1458_104 Depth=2
	ds_read_b32 v3, v66 offset:12800
	s_waitcnt lgkmcnt(0)
	v_cmp_ne_u32_e64 s39, 0x7fffffff, v3
	v_cndmask_b32_e64 v3, 0x80000000, v3, s39
	v_lshrrev_b32_e32 v3, s52, v3
	v_and_b32_e32 v131, s61, v3
	s_or_b32 exec_lo, exec_lo, s46
	s_and_saveexec_b32 s46, s36
	s_cbranch_execz .LBB1458_231
.LBB1458_297:                           ;   in Loop: Header=BB1458_104 Depth=2
	ds_read_b32 v3, v66 offset:13824
	s_waitcnt lgkmcnt(0)
	v_cmp_ne_u32_e64 s39, 0x7fffffff, v3
	v_cndmask_b32_e64 v3, 0x80000000, v3, s39
	v_lshrrev_b32_e32 v3, s52, v3
	v_and_b32_e32 v130, s61, v3
	s_or_b32 exec_lo, exec_lo, s46
	s_and_saveexec_b32 s46, s37
	s_cbranch_execz .LBB1458_232
.LBB1458_298:                           ;   in Loop: Header=BB1458_104 Depth=2
	ds_read_b32 v3, v66 offset:14848
	s_waitcnt lgkmcnt(0)
	v_cmp_ne_u32_e64 s39, 0x7fffffff, v3
	v_cndmask_b32_e64 v3, 0x80000000, v3, s39
	v_lshrrev_b32_e32 v3, s52, v3
	v_and_b32_e32 v129, s61, v3
	s_or_b32 exec_lo, exec_lo, s46
	s_and_saveexec_b32 s46, s38
	s_cbranch_execnz .LBB1458_233
	s_branch .LBB1458_234
.LBB1458_299:                           ;   in Loop: Header=BB1458_104 Depth=2
	v_lshlrev_b32_e32 v3, 2, v144
	v_add_nc_u32_e32 v37, v66, v41
	ds_read_b32 v3, v3
	ds_read_b64 v[37:38], v37 offset:512
	s_waitcnt lgkmcnt(1)
	v_add_nc_u32_e32 v3, v3, v0
	v_lshlrev_b64 v[39:40], 3, v[3:4]
	v_add_co_u32 v39, vcc_lo, s48, v39
	v_add_co_ci_u32_e64 v40, null, s49, v40, vcc_lo
	s_waitcnt lgkmcnt(0)
	global_store_dwordx2 v[39:40], v[37:38], off
	s_or_b32 exec_lo, exec_lo, s39
	s_and_saveexec_b32 s39, s23
	s_cbranch_execz .LBB1458_236
.LBB1458_300:                           ;   in Loop: Header=BB1458_104 Depth=2
	v_lshlrev_b32_e32 v3, 2, v143
	v_add_nc_u32_e32 v37, v66, v41
	ds_read_b32 v3, v3
	ds_read_b64 v[37:38], v37 offset:2560
	s_waitcnt lgkmcnt(1)
	v_add_nc_u32_e32 v3, v3, v42
	v_lshlrev_b64 v[39:40], 3, v[3:4]
	v_add_co_u32 v39, vcc_lo, s48, v39
	v_add_co_ci_u32_e64 v40, null, s49, v40, vcc_lo
	s_waitcnt lgkmcnt(0)
	global_store_dwordx2 v[39:40], v[37:38], off
	s_or_b32 exec_lo, exec_lo, s39
	s_and_saveexec_b32 s23, s24
	s_cbranch_execz .LBB1458_237
.LBB1458_301:                           ;   in Loop: Header=BB1458_104 Depth=2
	v_lshlrev_b32_e32 v3, 2, v142
	v_add_nc_u32_e32 v37, v66, v41
	ds_read_b32 v3, v3
	ds_read_b64 v[37:38], v37 offset:4608
	s_waitcnt lgkmcnt(1)
	v_add_nc_u32_e32 v3, v3, v45
	v_lshlrev_b64 v[39:40], 3, v[3:4]
	v_add_co_u32 v39, vcc_lo, s48, v39
	v_add_co_ci_u32_e64 v40, null, s49, v40, vcc_lo
	s_waitcnt lgkmcnt(0)
	global_store_dwordx2 v[39:40], v[37:38], off
	s_or_b32 exec_lo, exec_lo, s23
	s_and_saveexec_b32 s23, s25
	s_cbranch_execz .LBB1458_238
.LBB1458_302:                           ;   in Loop: Header=BB1458_104 Depth=2
	v_lshlrev_b32_e32 v3, 2, v141
	v_add_nc_u32_e32 v37, v66, v41
	ds_read_b32 v3, v3
	ds_read_b64 v[37:38], v37 offset:6656
	s_waitcnt lgkmcnt(1)
	v_add_nc_u32_e32 v3, v3, v46
	v_lshlrev_b64 v[39:40], 3, v[3:4]
	v_add_co_u32 v39, vcc_lo, s48, v39
	v_add_co_ci_u32_e64 v40, null, s49, v40, vcc_lo
	s_waitcnt lgkmcnt(0)
	global_store_dwordx2 v[39:40], v[37:38], off
	s_or_b32 exec_lo, exec_lo, s23
	s_and_saveexec_b32 s23, s26
	s_cbranch_execz .LBB1458_239
.LBB1458_303:                           ;   in Loop: Header=BB1458_104 Depth=2
	v_lshlrev_b32_e32 v3, 2, v139
	v_add_nc_u32_e32 v37, v66, v41
	ds_read_b32 v3, v3
	ds_read_b64 v[37:38], v37 offset:8704
	s_waitcnt lgkmcnt(1)
	v_add_nc_u32_e32 v3, v3, v47
	v_lshlrev_b64 v[39:40], 3, v[3:4]
	v_add_co_u32 v39, vcc_lo, s48, v39
	v_add_co_ci_u32_e64 v40, null, s49, v40, vcc_lo
	s_waitcnt lgkmcnt(0)
	global_store_dwordx2 v[39:40], v[37:38], off
	s_or_b32 exec_lo, exec_lo, s23
	s_and_saveexec_b32 s23, s27
	s_cbranch_execz .LBB1458_240
.LBB1458_304:                           ;   in Loop: Header=BB1458_104 Depth=2
	v_lshlrev_b32_e32 v3, 2, v138
	v_add_nc_u32_e32 v37, v66, v41
	ds_read_b32 v3, v3
	ds_read_b64 v[37:38], v37 offset:10752
	s_waitcnt lgkmcnt(1)
	v_add_nc_u32_e32 v3, v3, v48
	v_lshlrev_b64 v[39:40], 3, v[3:4]
	v_add_co_u32 v39, vcc_lo, s48, v39
	v_add_co_ci_u32_e64 v40, null, s49, v40, vcc_lo
	s_waitcnt lgkmcnt(0)
	global_store_dwordx2 v[39:40], v[37:38], off
	s_or_b32 exec_lo, exec_lo, s23
	s_and_saveexec_b32 s23, s28
	s_cbranch_execz .LBB1458_241
.LBB1458_305:                           ;   in Loop: Header=BB1458_104 Depth=2
	v_lshlrev_b32_e32 v3, 2, v137
	v_add_nc_u32_e32 v37, v66, v41
	ds_read_b32 v3, v3
	ds_read_b64 v[37:38], v37 offset:12800
	s_waitcnt lgkmcnt(1)
	v_add_nc_u32_e32 v3, v3, v49
	v_lshlrev_b64 v[39:40], 3, v[3:4]
	v_add_co_u32 v39, vcc_lo, s48, v39
	v_add_co_ci_u32_e64 v40, null, s49, v40, vcc_lo
	s_waitcnt lgkmcnt(0)
	global_store_dwordx2 v[39:40], v[37:38], off
	s_or_b32 exec_lo, exec_lo, s23
	s_and_saveexec_b32 s23, s29
	s_cbranch_execz .LBB1458_242
.LBB1458_306:                           ;   in Loop: Header=BB1458_104 Depth=2
	v_lshlrev_b32_e32 v3, 2, v136
	v_add_nc_u32_e32 v37, v66, v41
	ds_read_b32 v3, v3
	ds_read_b64 v[37:38], v37 offset:14848
	s_waitcnt lgkmcnt(1)
	v_add_nc_u32_e32 v3, v3, v50
	v_lshlrev_b64 v[39:40], 3, v[3:4]
	v_add_co_u32 v39, vcc_lo, s48, v39
	v_add_co_ci_u32_e64 v40, null, s49, v40, vcc_lo
	s_waitcnt lgkmcnt(0)
	global_store_dwordx2 v[39:40], v[37:38], off
	s_or_b32 exec_lo, exec_lo, s23
	s_and_saveexec_b32 s23, s30
	s_cbranch_execz .LBB1458_243
.LBB1458_307:                           ;   in Loop: Header=BB1458_104 Depth=2
	v_lshlrev_b32_e32 v3, 2, v135
	v_add_nc_u32_e32 v37, v66, v41
	ds_read_b32 v3, v3
	ds_read_b64 v[37:38], v37 offset:16896
	s_waitcnt lgkmcnt(1)
	v_add_nc_u32_e32 v3, v3, v51
	v_lshlrev_b64 v[39:40], 3, v[3:4]
	v_add_co_u32 v39, vcc_lo, s48, v39
	v_add_co_ci_u32_e64 v40, null, s49, v40, vcc_lo
	s_waitcnt lgkmcnt(0)
	global_store_dwordx2 v[39:40], v[37:38], off
	s_or_b32 exec_lo, exec_lo, s23
	s_and_saveexec_b32 s23, s31
	s_cbranch_execz .LBB1458_244
.LBB1458_308:                           ;   in Loop: Header=BB1458_104 Depth=2
	v_lshlrev_b32_e32 v3, 2, v134
	v_add_nc_u32_e32 v37, v66, v41
	ds_read_b32 v3, v3
	ds_read_b64 v[37:38], v37 offset:18944
	s_waitcnt lgkmcnt(1)
	v_add_nc_u32_e32 v3, v3, v52
	v_lshlrev_b64 v[39:40], 3, v[3:4]
	v_add_co_u32 v39, vcc_lo, s48, v39
	v_add_co_ci_u32_e64 v40, null, s49, v40, vcc_lo
	s_waitcnt lgkmcnt(0)
	global_store_dwordx2 v[39:40], v[37:38], off
	s_or_b32 exec_lo, exec_lo, s23
	s_and_saveexec_b32 s23, s33
	s_cbranch_execz .LBB1458_245
.LBB1458_309:                           ;   in Loop: Header=BB1458_104 Depth=2
	v_lshlrev_b32_e32 v3, 2, v133
	v_add_nc_u32_e32 v37, v66, v41
	ds_read_b32 v3, v3
	ds_read_b64 v[37:38], v37 offset:20992
	s_waitcnt lgkmcnt(1)
	v_add_nc_u32_e32 v3, v3, v53
	v_lshlrev_b64 v[39:40], 3, v[3:4]
	v_add_co_u32 v39, vcc_lo, s48, v39
	v_add_co_ci_u32_e64 v40, null, s49, v40, vcc_lo
	s_waitcnt lgkmcnt(0)
	global_store_dwordx2 v[39:40], v[37:38], off
	s_or_b32 exec_lo, exec_lo, s23
	s_and_saveexec_b32 s23, s34
	s_cbranch_execz .LBB1458_246
.LBB1458_310:                           ;   in Loop: Header=BB1458_104 Depth=2
	v_lshlrev_b32_e32 v3, 2, v132
	v_add_nc_u32_e32 v37, v66, v41
	ds_read_b32 v3, v3
	ds_read_b64 v[37:38], v37 offset:23040
	s_waitcnt lgkmcnt(1)
	v_add_nc_u32_e32 v3, v3, v54
	v_lshlrev_b64 v[39:40], 3, v[3:4]
	v_add_co_u32 v39, vcc_lo, s48, v39
	v_add_co_ci_u32_e64 v40, null, s49, v40, vcc_lo
	s_waitcnt lgkmcnt(0)
	global_store_dwordx2 v[39:40], v[37:38], off
	s_or_b32 exec_lo, exec_lo, s23
	s_and_saveexec_b32 s23, s35
	s_cbranch_execz .LBB1458_247
.LBB1458_311:                           ;   in Loop: Header=BB1458_104 Depth=2
	v_lshlrev_b32_e32 v3, 2, v131
	v_add_nc_u32_e32 v37, v66, v41
	ds_read_b32 v3, v3
	ds_read_b64 v[37:38], v37 offset:25088
	s_waitcnt lgkmcnt(1)
	v_add_nc_u32_e32 v3, v3, v55
	v_lshlrev_b64 v[39:40], 3, v[3:4]
	v_add_co_u32 v39, vcc_lo, s48, v39
	v_add_co_ci_u32_e64 v40, null, s49, v40, vcc_lo
	s_waitcnt lgkmcnt(0)
	global_store_dwordx2 v[39:40], v[37:38], off
	s_or_b32 exec_lo, exec_lo, s23
	s_and_saveexec_b32 s23, s36
	s_cbranch_execz .LBB1458_248
.LBB1458_312:                           ;   in Loop: Header=BB1458_104 Depth=2
	v_lshlrev_b32_e32 v3, 2, v130
	v_add_nc_u32_e32 v37, v66, v41
	ds_read_b32 v3, v3
	ds_read_b64 v[37:38], v37 offset:27136
	s_waitcnt lgkmcnt(1)
	v_add_nc_u32_e32 v3, v3, v56
	v_lshlrev_b64 v[39:40], 3, v[3:4]
	v_add_co_u32 v39, vcc_lo, s48, v39
	v_add_co_ci_u32_e64 v40, null, s49, v40, vcc_lo
	s_waitcnt lgkmcnt(0)
	global_store_dwordx2 v[39:40], v[37:38], off
	s_or_b32 exec_lo, exec_lo, s23
	s_and_saveexec_b32 s23, s37
	s_cbranch_execz .LBB1458_249
.LBB1458_313:                           ;   in Loop: Header=BB1458_104 Depth=2
	v_lshlrev_b32_e32 v3, 2, v129
	v_add_nc_u32_e32 v37, v66, v41
	ds_read_b32 v3, v3
	ds_read_b64 v[37:38], v37 offset:29184
	s_waitcnt lgkmcnt(1)
	v_add_nc_u32_e32 v3, v3, v57
	v_lshlrev_b64 v[39:40], 3, v[3:4]
	v_add_co_u32 v39, vcc_lo, s48, v39
	v_add_co_ci_u32_e64 v40, null, s49, v40, vcc_lo
	s_waitcnt lgkmcnt(0)
	global_store_dwordx2 v[39:40], v[37:38], off
	s_or_b32 exec_lo, exec_lo, s23
	s_and_saveexec_b32 s23, s38
	s_cbranch_execnz .LBB1458_250
	s_branch .LBB1458_251
.LBB1458_314:                           ;   in Loop: Header=BB1458_20 Depth=1
	s_waitcnt lgkmcnt(0)
	s_mov_b32 s5, 0
	s_barrier
.LBB1458_315:                           ;   in Loop: Header=BB1458_20 Depth=1
	s_and_b32 vcc_lo, exec_lo, s5
	s_cbranch_vccz .LBB1458_609
; %bb.316:                              ;   in Loop: Header=BB1458_20 Depth=1
	s_mov_b32 s5, s60
	s_mov_b32 s46, s58
	s_barrier
	buffer_gl0_inv
                                        ; implicit-def: $vgpr3
                                        ; implicit-def: $vgpr5
                                        ; implicit-def: $vgpr6
                                        ; implicit-def: $vgpr7
                                        ; implicit-def: $vgpr8
                                        ; implicit-def: $vgpr9
                                        ; implicit-def: $vgpr10
                                        ; implicit-def: $vgpr11
                                        ; implicit-def: $vgpr12
                                        ; implicit-def: $vgpr13
                                        ; implicit-def: $vgpr14
                                        ; implicit-def: $vgpr15
                                        ; implicit-def: $vgpr16
                                        ; implicit-def: $vgpr17
                                        ; implicit-def: $vgpr18
                                        ; implicit-def: $vgpr19
	s_branch .LBB1458_318
.LBB1458_317:                           ;   in Loop: Header=BB1458_318 Depth=2
	s_or_b32 exec_lo, exec_lo, s16
	s_addk_i32 s5, 0xf000
	s_cmp_ge_u32 s18, s59
	s_mov_b32 s46, s18
	s_cbranch_scc1 .LBB1458_386
.LBB1458_318:                           ;   Parent Loop BB1458_20 Depth=1
                                        ; =>  This Inner Loop Header: Depth=2
	s_add_i32 s18, s46, 0x1000
	s_mov_b32 s16, -1
	s_cmp_gt_u32 s18, s59
                                        ; implicit-def: $vgpr20
                                        ; implicit-def: $vgpr21
                                        ; implicit-def: $vgpr24
                                        ; implicit-def: $vgpr22
                                        ; implicit-def: $vgpr26
                                        ; implicit-def: $vgpr23
                                        ; implicit-def: $vgpr28
                                        ; implicit-def: $vgpr25
                                        ; implicit-def: $vgpr30
                                        ; implicit-def: $vgpr27
                                        ; implicit-def: $vgpr31
                                        ; implicit-def: $vgpr29
                                        ; implicit-def: $vgpr33
                                        ; implicit-def: $vgpr32
                                        ; implicit-def: $vgpr34
                                        ; implicit-def: $vgpr35
	s_cbranch_scc1 .LBB1458_320
; %bb.319:                              ;   in Loop: Header=BB1458_318 Depth=2
	s_lshl_b64 s[16:17], s[46:47], 2
	v_add_co_u32 v30, vcc_lo, v69, s16
	v_add_co_ci_u32_e64 v31, null, s17, v70, vcc_lo
	s_mov_b32 s16, 0
	v_add_co_u32 v22, vcc_lo, 0x800, v30
	v_add_co_ci_u32_e64 v23, null, 0, v31, vcc_lo
	v_add_co_u32 v33, vcc_lo, v30, 0x1000
	v_add_co_ci_u32_e64 v34, null, 0, v31, vcc_lo
	;; [unrolled: 2-line block ×9, first 2 shown]
	s_clause 0x7
	global_load_dword v20, v[30:31], off
	global_load_dword v21, v[30:31], off offset:1024
	global_load_dword v22, v[22:23], off offset:1024
	;; [unrolled: 1-line block ×7, first 2 shown]
	v_add_co_u32 v37, vcc_lo, 0x3800, v30
	v_add_co_ci_u32_e64 v38, null, 0, v31, vcc_lo
	s_clause 0x7
	global_load_dword v24, v[33:34], off offset:-2048
	global_load_dword v26, v[33:34], off
	global_load_dword v28, v[35:36], off offset:-2048
	global_load_dword v30, v[35:36], off
	;; [unrolled: 2-line block ×3, first 2 shown]
	global_load_dword v34, v[37:38], off
	global_load_dword v35, v[37:38], off offset:1024
.LBB1458_320:                           ;   in Loop: Header=BB1458_318 Depth=2
	s_andn2_b32 vcc_lo, exec_lo, s16
	s_movk_i32 s16, 0x1000
	s_cbranch_vccnz .LBB1458_339
; %bb.321:                              ;   in Loop: Header=BB1458_318 Depth=2
	s_lshl_b64 s[16:17], s[46:47], 2
	s_mov_b32 s19, exec_lo
	s_add_u32 s16, s42, s16
	s_addc_u32 s17, s43, s17
	v_cmpx_gt_u32_e64 s5, v0
	s_cbranch_execnz .LBB1458_371
; %bb.322:                              ;   in Loop: Header=BB1458_318 Depth=2
	s_or_b32 exec_lo, exec_lo, s19
	s_mov_b32 s19, exec_lo
	v_cmpx_gt_u32_e64 s5, v42
	s_cbranch_execnz .LBB1458_372
.LBB1458_323:                           ;   in Loop: Header=BB1458_318 Depth=2
	s_or_b32 exec_lo, exec_lo, s19
	s_mov_b32 s19, exec_lo
	v_cmpx_gt_u32_e64 s5, v45
	s_cbranch_execnz .LBB1458_373
.LBB1458_324:                           ;   in Loop: Header=BB1458_318 Depth=2
	s_or_b32 exec_lo, exec_lo, s19
	s_mov_b32 s19, exec_lo
	v_cmpx_gt_u32_e64 s5, v46
	s_cbranch_execnz .LBB1458_374
.LBB1458_325:                           ;   in Loop: Header=BB1458_318 Depth=2
	s_or_b32 exec_lo, exec_lo, s19
	s_mov_b32 s19, exec_lo
	v_cmpx_gt_u32_e64 s5, v47
	s_cbranch_execnz .LBB1458_375
.LBB1458_326:                           ;   in Loop: Header=BB1458_318 Depth=2
	s_or_b32 exec_lo, exec_lo, s19
	s_mov_b32 s19, exec_lo
	v_cmpx_gt_u32_e64 s5, v48
	s_cbranch_execnz .LBB1458_376
.LBB1458_327:                           ;   in Loop: Header=BB1458_318 Depth=2
	s_or_b32 exec_lo, exec_lo, s19
	s_mov_b32 s19, exec_lo
	v_cmpx_gt_u32_e64 s5, v49
	s_cbranch_execnz .LBB1458_377
.LBB1458_328:                           ;   in Loop: Header=BB1458_318 Depth=2
	s_or_b32 exec_lo, exec_lo, s19
	s_mov_b32 s19, exec_lo
	v_cmpx_gt_u32_e64 s5, v50
	s_cbranch_execnz .LBB1458_378
.LBB1458_329:                           ;   in Loop: Header=BB1458_318 Depth=2
	s_or_b32 exec_lo, exec_lo, s19
	s_mov_b32 s19, exec_lo
	v_cmpx_gt_u32_e64 s5, v51
	s_cbranch_execnz .LBB1458_379
.LBB1458_330:                           ;   in Loop: Header=BB1458_318 Depth=2
	s_or_b32 exec_lo, exec_lo, s19
	s_mov_b32 s19, exec_lo
	v_cmpx_gt_u32_e64 s5, v52
	s_cbranch_execnz .LBB1458_380
.LBB1458_331:                           ;   in Loop: Header=BB1458_318 Depth=2
	s_or_b32 exec_lo, exec_lo, s19
	s_mov_b32 s19, exec_lo
	v_cmpx_gt_u32_e64 s5, v53
	s_cbranch_execnz .LBB1458_381
.LBB1458_332:                           ;   in Loop: Header=BB1458_318 Depth=2
	s_or_b32 exec_lo, exec_lo, s19
	s_mov_b32 s19, exec_lo
	v_cmpx_gt_u32_e64 s5, v54
	s_cbranch_execnz .LBB1458_382
.LBB1458_333:                           ;   in Loop: Header=BB1458_318 Depth=2
	s_or_b32 exec_lo, exec_lo, s19
	s_mov_b32 s19, exec_lo
	v_cmpx_gt_u32_e64 s5, v55
	s_cbranch_execnz .LBB1458_383
.LBB1458_334:                           ;   in Loop: Header=BB1458_318 Depth=2
	s_or_b32 exec_lo, exec_lo, s19
	s_mov_b32 s19, exec_lo
	v_cmpx_gt_u32_e64 s5, v56
	s_cbranch_execnz .LBB1458_384
.LBB1458_335:                           ;   in Loop: Header=BB1458_318 Depth=2
	s_or_b32 exec_lo, exec_lo, s19
	s_mov_b32 s19, exec_lo
	v_cmpx_gt_u32_e64 s5, v57
	s_cbranch_execnz .LBB1458_385
.LBB1458_336:                           ;   in Loop: Header=BB1458_318 Depth=2
	s_or_b32 exec_lo, exec_lo, s19
	s_mov_b32 s19, exec_lo
	v_cmpx_gt_u32_e64 s5, v58
	s_cbranch_execz .LBB1458_338
.LBB1458_337:                           ;   in Loop: Header=BB1458_318 Depth=2
	global_load_dword v3, v100, s[16:17]
.LBB1458_338:                           ;   in Loop: Header=BB1458_318 Depth=2
	s_or_b32 exec_lo, exec_lo, s19
	s_waitcnt vmcnt(0)
	v_mov_b32_e32 v20, v19
	v_mov_b32_e32 v21, v18
	;; [unrolled: 1-line block ×16, first 2 shown]
	s_mov_b32 s16, s5
.LBB1458_339:                           ;   in Loop: Header=BB1458_318 Depth=2
	s_waitcnt vmcnt(0)
	v_mov_b32_e32 v3, v35
	v_mov_b32_e32 v5, v34
	v_mov_b32_e32 v6, v32
	v_mov_b32_e32 v7, v33
	v_mov_b32_e32 v8, v29
	v_mov_b32_e32 v9, v31
	v_mov_b32_e32 v10, v27
	v_mov_b32_e32 v11, v30
	v_mov_b32_e32 v12, v25
	v_mov_b32_e32 v13, v28
	v_mov_b32_e32 v14, v23
	v_mov_b32_e32 v15, v26
	v_mov_b32_e32 v16, v22
	v_mov_b32_e32 v17, v24
	v_mov_b32_e32 v18, v21
	v_mov_b32_e32 v19, v20
	s_mov_b32 s17, exec_lo
	v_cmpx_gt_u32_e64 s16, v0
	s_cbranch_execnz .LBB1458_355
; %bb.340:                              ;   in Loop: Header=BB1458_318 Depth=2
	s_or_b32 exec_lo, exec_lo, s17
	s_mov_b32 s17, exec_lo
	v_cmpx_gt_u32_e64 s16, v42
	s_cbranch_execnz .LBB1458_356
.LBB1458_341:                           ;   in Loop: Header=BB1458_318 Depth=2
	s_or_b32 exec_lo, exec_lo, s17
	s_mov_b32 s17, exec_lo
	v_cmpx_gt_u32_e64 s16, v45
	s_cbranch_execnz .LBB1458_357
.LBB1458_342:                           ;   in Loop: Header=BB1458_318 Depth=2
	s_or_b32 exec_lo, exec_lo, s17
	s_mov_b32 s17, exec_lo
	v_cmpx_gt_u32_e64 s16, v46
	s_cbranch_execnz .LBB1458_358
.LBB1458_343:                           ;   in Loop: Header=BB1458_318 Depth=2
	s_or_b32 exec_lo, exec_lo, s17
	s_mov_b32 s17, exec_lo
	v_cmpx_gt_u32_e64 s16, v47
	s_cbranch_execnz .LBB1458_359
.LBB1458_344:                           ;   in Loop: Header=BB1458_318 Depth=2
	s_or_b32 exec_lo, exec_lo, s17
	s_mov_b32 s17, exec_lo
	v_cmpx_gt_u32_e64 s16, v48
	s_cbranch_execnz .LBB1458_360
.LBB1458_345:                           ;   in Loop: Header=BB1458_318 Depth=2
	s_or_b32 exec_lo, exec_lo, s17
	s_mov_b32 s17, exec_lo
	v_cmpx_gt_u32_e64 s16, v49
	s_cbranch_execnz .LBB1458_361
.LBB1458_346:                           ;   in Loop: Header=BB1458_318 Depth=2
	s_or_b32 exec_lo, exec_lo, s17
	s_mov_b32 s17, exec_lo
	v_cmpx_gt_u32_e64 s16, v50
	s_cbranch_execnz .LBB1458_362
.LBB1458_347:                           ;   in Loop: Header=BB1458_318 Depth=2
	s_or_b32 exec_lo, exec_lo, s17
	s_mov_b32 s17, exec_lo
	v_cmpx_gt_u32_e64 s16, v51
	s_cbranch_execnz .LBB1458_363
.LBB1458_348:                           ;   in Loop: Header=BB1458_318 Depth=2
	s_or_b32 exec_lo, exec_lo, s17
	s_mov_b32 s17, exec_lo
	v_cmpx_gt_u32_e64 s16, v52
	s_cbranch_execnz .LBB1458_364
.LBB1458_349:                           ;   in Loop: Header=BB1458_318 Depth=2
	s_or_b32 exec_lo, exec_lo, s17
	s_mov_b32 s17, exec_lo
	v_cmpx_gt_u32_e64 s16, v53
	s_cbranch_execnz .LBB1458_365
.LBB1458_350:                           ;   in Loop: Header=BB1458_318 Depth=2
	s_or_b32 exec_lo, exec_lo, s17
	s_mov_b32 s17, exec_lo
	v_cmpx_gt_u32_e64 s16, v54
	s_cbranch_execnz .LBB1458_366
.LBB1458_351:                           ;   in Loop: Header=BB1458_318 Depth=2
	s_or_b32 exec_lo, exec_lo, s17
	s_mov_b32 s17, exec_lo
	v_cmpx_gt_u32_e64 s16, v55
	s_cbranch_execnz .LBB1458_367
.LBB1458_352:                           ;   in Loop: Header=BB1458_318 Depth=2
	s_or_b32 exec_lo, exec_lo, s17
	s_mov_b32 s17, exec_lo
	v_cmpx_gt_u32_e64 s16, v56
	s_cbranch_execnz .LBB1458_368
.LBB1458_353:                           ;   in Loop: Header=BB1458_318 Depth=2
	s_or_b32 exec_lo, exec_lo, s17
	s_mov_b32 s17, exec_lo
	v_cmpx_gt_u32_e64 s16, v57
	s_cbranch_execnz .LBB1458_369
.LBB1458_354:                           ;   in Loop: Header=BB1458_318 Depth=2
	s_or_b32 exec_lo, exec_lo, s17
	v_cmp_gt_u32_e32 vcc_lo, s16, v58
	s_and_saveexec_b32 s16, vcc_lo
	s_cbranch_execz .LBB1458_317
	s_branch .LBB1458_370
.LBB1458_355:                           ;   in Loop: Header=BB1458_318 Depth=2
	v_cmp_lt_i32_e32 vcc_lo, -1, v19
	v_cndmask_b32_e64 v20, -1, 0x80000000, vcc_lo
	v_xor_b32_e32 v20, v20, v19
	v_cmp_ne_u32_e32 vcc_lo, 0x7fffffff, v20
	v_cndmask_b32_e32 v20, 0x80000000, v20, vcc_lo
	v_lshrrev_b32_e32 v20, s52, v20
	v_and_b32_e32 v20, s61, v20
	v_lshl_or_b32 v20, v20, 4, v59
	ds_add_u32 v20, v82
	s_or_b32 exec_lo, exec_lo, s17
	s_mov_b32 s17, exec_lo
	v_cmpx_gt_u32_e64 s16, v42
	s_cbranch_execz .LBB1458_341
.LBB1458_356:                           ;   in Loop: Header=BB1458_318 Depth=2
	v_cmp_lt_i32_e32 vcc_lo, -1, v18
	v_cndmask_b32_e64 v20, -1, 0x80000000, vcc_lo
	v_xor_b32_e32 v20, v20, v18
	v_cmp_ne_u32_e32 vcc_lo, 0x7fffffff, v20
	v_cndmask_b32_e32 v20, 0x80000000, v20, vcc_lo
	v_lshrrev_b32_e32 v20, s52, v20
	v_and_b32_e32 v20, s61, v20
	v_lshl_or_b32 v20, v20, 4, v59
	ds_add_u32 v20, v82
	s_or_b32 exec_lo, exec_lo, s17
	s_mov_b32 s17, exec_lo
	v_cmpx_gt_u32_e64 s16, v45
	s_cbranch_execz .LBB1458_342
.LBB1458_357:                           ;   in Loop: Header=BB1458_318 Depth=2
	v_cmp_lt_i32_e32 vcc_lo, -1, v17
	v_cndmask_b32_e64 v20, -1, 0x80000000, vcc_lo
	v_xor_b32_e32 v20, v20, v17
	v_cmp_ne_u32_e32 vcc_lo, 0x7fffffff, v20
	v_cndmask_b32_e32 v20, 0x80000000, v20, vcc_lo
	v_lshrrev_b32_e32 v20, s52, v20
	v_and_b32_e32 v20, s61, v20
	v_lshl_or_b32 v20, v20, 4, v59
	ds_add_u32 v20, v82
	s_or_b32 exec_lo, exec_lo, s17
	s_mov_b32 s17, exec_lo
	v_cmpx_gt_u32_e64 s16, v46
	s_cbranch_execz .LBB1458_343
.LBB1458_358:                           ;   in Loop: Header=BB1458_318 Depth=2
	v_cmp_lt_i32_e32 vcc_lo, -1, v16
	v_cndmask_b32_e64 v20, -1, 0x80000000, vcc_lo
	v_xor_b32_e32 v20, v20, v16
	v_cmp_ne_u32_e32 vcc_lo, 0x7fffffff, v20
	v_cndmask_b32_e32 v20, 0x80000000, v20, vcc_lo
	v_lshrrev_b32_e32 v20, s52, v20
	v_and_b32_e32 v20, s61, v20
	v_lshl_or_b32 v20, v20, 4, v59
	ds_add_u32 v20, v82
	s_or_b32 exec_lo, exec_lo, s17
	s_mov_b32 s17, exec_lo
	v_cmpx_gt_u32_e64 s16, v47
	s_cbranch_execz .LBB1458_344
.LBB1458_359:                           ;   in Loop: Header=BB1458_318 Depth=2
	v_cmp_lt_i32_e32 vcc_lo, -1, v15
	v_cndmask_b32_e64 v20, -1, 0x80000000, vcc_lo
	v_xor_b32_e32 v20, v20, v15
	v_cmp_ne_u32_e32 vcc_lo, 0x7fffffff, v20
	v_cndmask_b32_e32 v20, 0x80000000, v20, vcc_lo
	v_lshrrev_b32_e32 v20, s52, v20
	v_and_b32_e32 v20, s61, v20
	v_lshl_or_b32 v20, v20, 4, v59
	ds_add_u32 v20, v82
	s_or_b32 exec_lo, exec_lo, s17
	s_mov_b32 s17, exec_lo
	v_cmpx_gt_u32_e64 s16, v48
	s_cbranch_execz .LBB1458_345
.LBB1458_360:                           ;   in Loop: Header=BB1458_318 Depth=2
	v_cmp_lt_i32_e32 vcc_lo, -1, v14
	v_cndmask_b32_e64 v20, -1, 0x80000000, vcc_lo
	v_xor_b32_e32 v20, v20, v14
	v_cmp_ne_u32_e32 vcc_lo, 0x7fffffff, v20
	v_cndmask_b32_e32 v20, 0x80000000, v20, vcc_lo
	v_lshrrev_b32_e32 v20, s52, v20
	v_and_b32_e32 v20, s61, v20
	v_lshl_or_b32 v20, v20, 4, v59
	ds_add_u32 v20, v82
	s_or_b32 exec_lo, exec_lo, s17
	s_mov_b32 s17, exec_lo
	v_cmpx_gt_u32_e64 s16, v49
	s_cbranch_execz .LBB1458_346
.LBB1458_361:                           ;   in Loop: Header=BB1458_318 Depth=2
	v_cmp_lt_i32_e32 vcc_lo, -1, v13
	v_cndmask_b32_e64 v20, -1, 0x80000000, vcc_lo
	v_xor_b32_e32 v20, v20, v13
	v_cmp_ne_u32_e32 vcc_lo, 0x7fffffff, v20
	v_cndmask_b32_e32 v20, 0x80000000, v20, vcc_lo
	v_lshrrev_b32_e32 v20, s52, v20
	v_and_b32_e32 v20, s61, v20
	v_lshl_or_b32 v20, v20, 4, v59
	ds_add_u32 v20, v82
	s_or_b32 exec_lo, exec_lo, s17
	s_mov_b32 s17, exec_lo
	v_cmpx_gt_u32_e64 s16, v50
	s_cbranch_execz .LBB1458_347
.LBB1458_362:                           ;   in Loop: Header=BB1458_318 Depth=2
	v_cmp_lt_i32_e32 vcc_lo, -1, v12
	v_cndmask_b32_e64 v20, -1, 0x80000000, vcc_lo
	v_xor_b32_e32 v20, v20, v12
	v_cmp_ne_u32_e32 vcc_lo, 0x7fffffff, v20
	v_cndmask_b32_e32 v20, 0x80000000, v20, vcc_lo
	v_lshrrev_b32_e32 v20, s52, v20
	v_and_b32_e32 v20, s61, v20
	v_lshl_or_b32 v20, v20, 4, v59
	ds_add_u32 v20, v82
	s_or_b32 exec_lo, exec_lo, s17
	s_mov_b32 s17, exec_lo
	v_cmpx_gt_u32_e64 s16, v51
	s_cbranch_execz .LBB1458_348
.LBB1458_363:                           ;   in Loop: Header=BB1458_318 Depth=2
	v_cmp_lt_i32_e32 vcc_lo, -1, v11
	v_cndmask_b32_e64 v20, -1, 0x80000000, vcc_lo
	v_xor_b32_e32 v20, v20, v11
	v_cmp_ne_u32_e32 vcc_lo, 0x7fffffff, v20
	v_cndmask_b32_e32 v20, 0x80000000, v20, vcc_lo
	v_lshrrev_b32_e32 v20, s52, v20
	v_and_b32_e32 v20, s61, v20
	v_lshl_or_b32 v20, v20, 4, v59
	ds_add_u32 v20, v82
	s_or_b32 exec_lo, exec_lo, s17
	s_mov_b32 s17, exec_lo
	v_cmpx_gt_u32_e64 s16, v52
	s_cbranch_execz .LBB1458_349
.LBB1458_364:                           ;   in Loop: Header=BB1458_318 Depth=2
	v_cmp_lt_i32_e32 vcc_lo, -1, v10
	v_cndmask_b32_e64 v20, -1, 0x80000000, vcc_lo
	v_xor_b32_e32 v20, v20, v10
	v_cmp_ne_u32_e32 vcc_lo, 0x7fffffff, v20
	v_cndmask_b32_e32 v20, 0x80000000, v20, vcc_lo
	v_lshrrev_b32_e32 v20, s52, v20
	v_and_b32_e32 v20, s61, v20
	v_lshl_or_b32 v20, v20, 4, v59
	ds_add_u32 v20, v82
	s_or_b32 exec_lo, exec_lo, s17
	s_mov_b32 s17, exec_lo
	v_cmpx_gt_u32_e64 s16, v53
	s_cbranch_execz .LBB1458_350
.LBB1458_365:                           ;   in Loop: Header=BB1458_318 Depth=2
	v_cmp_lt_i32_e32 vcc_lo, -1, v9
	v_cndmask_b32_e64 v20, -1, 0x80000000, vcc_lo
	v_xor_b32_e32 v20, v20, v9
	v_cmp_ne_u32_e32 vcc_lo, 0x7fffffff, v20
	v_cndmask_b32_e32 v20, 0x80000000, v20, vcc_lo
	v_lshrrev_b32_e32 v20, s52, v20
	v_and_b32_e32 v20, s61, v20
	v_lshl_or_b32 v20, v20, 4, v59
	ds_add_u32 v20, v82
	s_or_b32 exec_lo, exec_lo, s17
	s_mov_b32 s17, exec_lo
	v_cmpx_gt_u32_e64 s16, v54
	s_cbranch_execz .LBB1458_351
.LBB1458_366:                           ;   in Loop: Header=BB1458_318 Depth=2
	v_cmp_lt_i32_e32 vcc_lo, -1, v8
	v_cndmask_b32_e64 v20, -1, 0x80000000, vcc_lo
	v_xor_b32_e32 v20, v20, v8
	v_cmp_ne_u32_e32 vcc_lo, 0x7fffffff, v20
	v_cndmask_b32_e32 v20, 0x80000000, v20, vcc_lo
	v_lshrrev_b32_e32 v20, s52, v20
	v_and_b32_e32 v20, s61, v20
	v_lshl_or_b32 v20, v20, 4, v59
	ds_add_u32 v20, v82
	s_or_b32 exec_lo, exec_lo, s17
	s_mov_b32 s17, exec_lo
	v_cmpx_gt_u32_e64 s16, v55
	s_cbranch_execz .LBB1458_352
.LBB1458_367:                           ;   in Loop: Header=BB1458_318 Depth=2
	v_cmp_lt_i32_e32 vcc_lo, -1, v7
	v_cndmask_b32_e64 v20, -1, 0x80000000, vcc_lo
	v_xor_b32_e32 v20, v20, v7
	v_cmp_ne_u32_e32 vcc_lo, 0x7fffffff, v20
	v_cndmask_b32_e32 v20, 0x80000000, v20, vcc_lo
	v_lshrrev_b32_e32 v20, s52, v20
	v_and_b32_e32 v20, s61, v20
	v_lshl_or_b32 v20, v20, 4, v59
	ds_add_u32 v20, v82
	s_or_b32 exec_lo, exec_lo, s17
	s_mov_b32 s17, exec_lo
	v_cmpx_gt_u32_e64 s16, v56
	s_cbranch_execz .LBB1458_353
.LBB1458_368:                           ;   in Loop: Header=BB1458_318 Depth=2
	v_cmp_lt_i32_e32 vcc_lo, -1, v6
	v_cndmask_b32_e64 v20, -1, 0x80000000, vcc_lo
	v_xor_b32_e32 v20, v20, v6
	v_cmp_ne_u32_e32 vcc_lo, 0x7fffffff, v20
	v_cndmask_b32_e32 v20, 0x80000000, v20, vcc_lo
	v_lshrrev_b32_e32 v20, s52, v20
	v_and_b32_e32 v20, s61, v20
	v_lshl_or_b32 v20, v20, 4, v59
	ds_add_u32 v20, v82
	s_or_b32 exec_lo, exec_lo, s17
	s_mov_b32 s17, exec_lo
	v_cmpx_gt_u32_e64 s16, v57
	s_cbranch_execz .LBB1458_354
.LBB1458_369:                           ;   in Loop: Header=BB1458_318 Depth=2
	v_cmp_lt_i32_e32 vcc_lo, -1, v5
	v_cndmask_b32_e64 v20, -1, 0x80000000, vcc_lo
	v_xor_b32_e32 v20, v20, v5
	v_cmp_ne_u32_e32 vcc_lo, 0x7fffffff, v20
	v_cndmask_b32_e32 v20, 0x80000000, v20, vcc_lo
	v_lshrrev_b32_e32 v20, s52, v20
	v_and_b32_e32 v20, s61, v20
	v_lshl_or_b32 v20, v20, 4, v59
	ds_add_u32 v20, v82
	s_or_b32 exec_lo, exec_lo, s17
	v_cmp_gt_u32_e32 vcc_lo, s16, v58
	s_and_saveexec_b32 s16, vcc_lo
	s_cbranch_execz .LBB1458_317
.LBB1458_370:                           ;   in Loop: Header=BB1458_318 Depth=2
	v_cmp_lt_i32_e32 vcc_lo, -1, v3
	v_cndmask_b32_e64 v20, -1, 0x80000000, vcc_lo
	v_xor_b32_e32 v20, v20, v3
	v_cmp_ne_u32_e32 vcc_lo, 0x7fffffff, v20
	v_cndmask_b32_e32 v20, 0x80000000, v20, vcc_lo
	v_lshrrev_b32_e32 v20, s52, v20
	v_and_b32_e32 v20, s61, v20
	v_lshl_or_b32 v20, v20, 4, v59
	ds_add_u32 v20, v82
	s_branch .LBB1458_317
.LBB1458_371:                           ;   in Loop: Header=BB1458_318 Depth=2
	global_load_dword v19, v86, s[16:17]
	s_or_b32 exec_lo, exec_lo, s19
	s_mov_b32 s19, exec_lo
	v_cmpx_gt_u32_e64 s5, v42
	s_cbranch_execz .LBB1458_323
.LBB1458_372:                           ;   in Loop: Header=BB1458_318 Depth=2
	global_load_dword v18, v86, s[16:17] offset:1024
	s_or_b32 exec_lo, exec_lo, s19
	s_mov_b32 s19, exec_lo
	v_cmpx_gt_u32_e64 s5, v45
	s_cbranch_execz .LBB1458_324
.LBB1458_373:                           ;   in Loop: Header=BB1458_318 Depth=2
	global_load_dword v17, v87, s[16:17]
	s_or_b32 exec_lo, exec_lo, s19
	s_mov_b32 s19, exec_lo
	v_cmpx_gt_u32_e64 s5, v46
	s_cbranch_execz .LBB1458_325
.LBB1458_374:                           ;   in Loop: Header=BB1458_318 Depth=2
	global_load_dword v16, v88, s[16:17]
	s_or_b32 exec_lo, exec_lo, s19
	s_mov_b32 s19, exec_lo
	v_cmpx_gt_u32_e64 s5, v47
	s_cbranch_execz .LBB1458_326
.LBB1458_375:                           ;   in Loop: Header=BB1458_318 Depth=2
	global_load_dword v15, v89, s[16:17]
	s_or_b32 exec_lo, exec_lo, s19
	s_mov_b32 s19, exec_lo
	v_cmpx_gt_u32_e64 s5, v48
	s_cbranch_execz .LBB1458_327
.LBB1458_376:                           ;   in Loop: Header=BB1458_318 Depth=2
	global_load_dword v14, v90, s[16:17]
	s_or_b32 exec_lo, exec_lo, s19
	s_mov_b32 s19, exec_lo
	v_cmpx_gt_u32_e64 s5, v49
	s_cbranch_execz .LBB1458_328
.LBB1458_377:                           ;   in Loop: Header=BB1458_318 Depth=2
	global_load_dword v13, v91, s[16:17]
	s_or_b32 exec_lo, exec_lo, s19
	s_mov_b32 s19, exec_lo
	v_cmpx_gt_u32_e64 s5, v50
	s_cbranch_execz .LBB1458_329
.LBB1458_378:                           ;   in Loop: Header=BB1458_318 Depth=2
	global_load_dword v12, v92, s[16:17]
	s_or_b32 exec_lo, exec_lo, s19
	s_mov_b32 s19, exec_lo
	v_cmpx_gt_u32_e64 s5, v51
	s_cbranch_execz .LBB1458_330
.LBB1458_379:                           ;   in Loop: Header=BB1458_318 Depth=2
	global_load_dword v11, v93, s[16:17]
	s_or_b32 exec_lo, exec_lo, s19
	s_mov_b32 s19, exec_lo
	v_cmpx_gt_u32_e64 s5, v52
	s_cbranch_execz .LBB1458_331
.LBB1458_380:                           ;   in Loop: Header=BB1458_318 Depth=2
	global_load_dword v10, v94, s[16:17]
	s_or_b32 exec_lo, exec_lo, s19
	s_mov_b32 s19, exec_lo
	v_cmpx_gt_u32_e64 s5, v53
	s_cbranch_execz .LBB1458_332
.LBB1458_381:                           ;   in Loop: Header=BB1458_318 Depth=2
	global_load_dword v9, v95, s[16:17]
	s_or_b32 exec_lo, exec_lo, s19
	s_mov_b32 s19, exec_lo
	v_cmpx_gt_u32_e64 s5, v54
	s_cbranch_execz .LBB1458_333
.LBB1458_382:                           ;   in Loop: Header=BB1458_318 Depth=2
	global_load_dword v8, v96, s[16:17]
	s_or_b32 exec_lo, exec_lo, s19
	s_mov_b32 s19, exec_lo
	v_cmpx_gt_u32_e64 s5, v55
	s_cbranch_execz .LBB1458_334
.LBB1458_383:                           ;   in Loop: Header=BB1458_318 Depth=2
	global_load_dword v7, v97, s[16:17]
	s_or_b32 exec_lo, exec_lo, s19
	s_mov_b32 s19, exec_lo
	v_cmpx_gt_u32_e64 s5, v56
	s_cbranch_execz .LBB1458_335
.LBB1458_384:                           ;   in Loop: Header=BB1458_318 Depth=2
	global_load_dword v6, v98, s[16:17]
	s_or_b32 exec_lo, exec_lo, s19
	s_mov_b32 s19, exec_lo
	v_cmpx_gt_u32_e64 s5, v57
	s_cbranch_execz .LBB1458_336
.LBB1458_385:                           ;   in Loop: Header=BB1458_318 Depth=2
	global_load_dword v5, v99, s[16:17]
	s_or_b32 exec_lo, exec_lo, s19
	s_mov_b32 s19, exec_lo
	v_cmpx_gt_u32_e64 s5, v58
	s_cbranch_execnz .LBB1458_337
	s_branch .LBB1458_338
.LBB1458_386:                           ;   in Loop: Header=BB1458_20 Depth=1
	v_mov_b32_e32 v3, 0
	s_waitcnt lgkmcnt(0)
	s_barrier
	buffer_gl0_inv
	s_and_saveexec_b32 s5, s8
	s_cbranch_execz .LBB1458_388
; %bb.387:                              ;   in Loop: Header=BB1458_20 Depth=1
	ds_read2_b64 v[5:8], v61 offset1:1
	s_waitcnt lgkmcnt(0)
	v_add_nc_u32_e32 v3, v6, v5
	v_add3_u32 v3, v3, v7, v8
.LBB1458_388:                           ;   in Loop: Header=BB1458_20 Depth=1
	s_or_b32 exec_lo, exec_lo, s5
	v_mov_b32_dpp v5, v3 row_shr:1 row_mask:0xf bank_mask:0xf
	v_cmp_eq_u32_e64 s5, 0, v83
	v_cmp_lt_u32_e64 s16, 1, v83
	v_cmp_lt_u32_e64 s17, 3, v83
	;; [unrolled: 1-line block ×3, first 2 shown]
	v_cmp_eq_u32_e64 s19, 0, v85
	v_cndmask_b32_e64 v5, v5, 0, s5
	v_add_nc_u32_e32 v3, v5, v3
	v_mov_b32_dpp v5, v3 row_shr:2 row_mask:0xf bank_mask:0xf
	v_cndmask_b32_e64 v5, 0, v5, s16
	v_add_nc_u32_e32 v3, v3, v5
	v_mov_b32_dpp v5, v3 row_shr:4 row_mask:0xf bank_mask:0xf
	;; [unrolled: 3-line block ×3, first 2 shown]
	v_cndmask_b32_e64 v5, 0, v5, s18
	v_add_nc_u32_e32 v3, v3, v5
	ds_swizzle_b32 v5, v3 offset:swizzle(BROADCAST,32,15)
	s_waitcnt lgkmcnt(0)
	v_and_b32_e32 v5, v84, v5
	v_add_nc_u32_e32 v3, v3, v5
	s_and_saveexec_b32 s20, s9
; %bb.389:                              ;   in Loop: Header=BB1458_20 Depth=1
	ds_write_b32 v62, v3
; %bb.390:                              ;   in Loop: Header=BB1458_20 Depth=1
	s_or_b32 exec_lo, exec_lo, s20
	s_waitcnt lgkmcnt(0)
	s_barrier
	buffer_gl0_inv
	s_and_saveexec_b32 s20, s10
	s_cbranch_execz .LBB1458_392
; %bb.391:                              ;   in Loop: Header=BB1458_20 Depth=1
	ds_read_b32 v5, v63
	v_cmp_ne_u32_e32 vcc_lo, 0, v101
	s_waitcnt lgkmcnt(0)
	v_mov_b32_dpp v6, v5 row_shr:1 row_mask:0xf bank_mask:0xf
	v_cndmask_b32_e32 v6, 0, v6, vcc_lo
	v_cmp_lt_u32_e32 vcc_lo, 1, v101
	v_add_nc_u32_e32 v5, v6, v5
	v_mov_b32_dpp v6, v5 row_shr:2 row_mask:0xf bank_mask:0xf
	v_cndmask_b32_e32 v6, 0, v6, vcc_lo
	v_add_nc_u32_e32 v5, v5, v6
	ds_write_b32 v63, v5
.LBB1458_392:                           ;   in Loop: Header=BB1458_20 Depth=1
	s_or_b32 exec_lo, exec_lo, s20
	v_mov_b32_e32 v5, 0
	s_waitcnt lgkmcnt(0)
	s_barrier
	buffer_gl0_inv
	s_and_saveexec_b32 s20, s11
; %bb.393:                              ;   in Loop: Header=BB1458_20 Depth=1
	ds_read_b32 v5, v64
; %bb.394:                              ;   in Loop: Header=BB1458_20 Depth=1
	s_or_b32 exec_lo, exec_lo, s20
	v_cmp_gt_i32_e32 vcc_lo, 0, v103
	s_waitcnt lgkmcnt(0)
	v_add_nc_u32_e32 v3, v5, v3
	s_barrier
	buffer_gl0_inv
	v_cndmask_b32_e32 v6, v103, v79, vcc_lo
	v_lshlrev_b32_e32 v126, 2, v6
	ds_bpermute_b32 v3, v126, v3
	s_and_saveexec_b32 s20, s8
	s_cbranch_execz .LBB1458_396
; %bb.395:                              ;   in Loop: Header=BB1458_20 Depth=1
	s_waitcnt lgkmcnt(0)
	v_cndmask_b32_e64 v3, v3, v5, s15
	v_add_nc_u32_e32 v3, s58, v3
	ds_write_b32 v41, v3
.LBB1458_396:                           ;   in Loop: Header=BB1458_20 Depth=1
	s_or_b32 exec_lo, exec_lo, s20
	s_load_dwordx2 s[20:21], s[56:57], 0x0
	v_add_co_u32 v127, vcc_lo, v71, v102
	v_add_co_ci_u32_e64 v128, null, 0, v72, vcc_lo
	v_add_co_u32 v129, vcc_lo, v73, v120
	v_add_co_ci_u32_e64 v130, null, 0, v74, vcc_lo
	s_mov_b32 s62, s60
	s_mov_b32 s46, s58
                                        ; implicit-def: $vgpr7_vgpr8
                                        ; implicit-def: $vgpr9_vgpr10
                                        ; implicit-def: $vgpr11_vgpr12
                                        ; implicit-def: $vgpr13_vgpr14
                                        ; implicit-def: $vgpr17_vgpr18
                                        ; implicit-def: $vgpr21_vgpr22
                                        ; implicit-def: $vgpr25_vgpr26
                                        ; implicit-def: $vgpr15_vgpr16
                                        ; implicit-def: $vgpr19_vgpr20
                                        ; implicit-def: $vgpr23_vgpr24
                                        ; implicit-def: $vgpr27_vgpr28
                                        ; implicit-def: $vgpr29_vgpr30
                                        ; implicit-def: $vgpr31_vgpr32
                                        ; implicit-def: $vgpr33_vgpr34
                                        ; implicit-def: $vgpr35_vgpr36
                                        ; implicit-def: $vgpr132
                                        ; implicit-def: $vgpr133
                                        ; implicit-def: $vgpr134
                                        ; implicit-def: $vgpr135
                                        ; implicit-def: $vgpr136
                                        ; implicit-def: $vgpr137
                                        ; implicit-def: $vgpr138
                                        ; implicit-def: $vgpr139
                                        ; implicit-def: $vgpr140
                                        ; implicit-def: $vgpr141
                                        ; implicit-def: $vgpr142
                                        ; implicit-def: $vgpr143
                                        ; implicit-def: $vgpr145
                                        ; implicit-def: $vgpr146
                                        ; implicit-def: $vgpr147
                                        ; implicit-def: $vgpr148
                                        ; implicit-def: $vgpr144
                                        ; implicit-def: $vgpr149
	s_waitcnt lgkmcnt(0)
	s_cmp_lt_u32 s7, s21
	s_cselect_b32 s21, 14, 20
	s_add_u32 s22, s56, s21
	s_addc_u32 s23, s57, 0
	s_cmp_lt_u32 s6, s20
	global_load_ushort v3, v4, s[22:23]
	s_cselect_b32 s20, 12, 18
	s_add_u32 s20, s56, s20
	s_addc_u32 s21, s57, 0
	global_load_ushort v5, v4, s[20:21]
	v_cmp_eq_u32_e64 s20, 0, v104
	v_cmp_lt_u32_e64 s21, 1, v104
	v_cmp_lt_u32_e64 s22, 3, v104
	s_waitcnt vmcnt(1)
	v_mad_u32_u24 v3, v2, v3, v1
	s_waitcnt vmcnt(0)
	v_mad_u64_u32 v[5:6], null, v3, v5, v[0:1]
	v_lshrrev_b32_e32 v3, 3, v5
                                        ; implicit-def: $vgpr5_vgpr6
	v_and_b32_e32 v131, 0x1ffffffc, v3
	s_branch .LBB1458_398
.LBB1458_397:                           ;   in Loop: Header=BB1458_398 Depth=2
	s_or_b32 exec_lo, exec_lo, s23
	s_addk_i32 s62, 0xf000
	s_cmp_lt_u32 s63, s59
	s_mov_b32 s46, s63
	s_cbranch_scc0 .LBB1458_608
.LBB1458_398:                           ;   Parent Loop BB1458_20 Depth=1
                                        ; =>  This Inner Loop Header: Depth=2
	s_add_i32 s63, s46, 0x1000
	s_cmp_gt_u32 s63, s59
	s_cbranch_scc1 .LBB1458_400
; %bb.399:                              ;   in Loop: Header=BB1458_398 Depth=2
	s_lshl_b64 s[24:25], s[46:47], 2
	s_mov_b32 s23, -1
	v_add_co_u32 v37, vcc_lo, v129, s24
	v_add_co_ci_u32_e64 v38, null, s25, v130, vcc_lo
	s_clause 0xe
	global_load_dword v3, v[37:38], off
	global_load_dword v151, v[37:38], off offset:128
	global_load_dword v154, v[37:38], off offset:256
	;; [unrolled: 1-line block ×14, first 2 shown]
	s_movk_i32 s24, 0x1000
	s_cbranch_execz .LBB1458_401
	s_branch .LBB1458_432
.LBB1458_400:                           ;   in Loop: Header=BB1458_398 Depth=2
	s_mov_b32 s23, 0
                                        ; implicit-def: $vgpr3
                                        ; implicit-def: $vgpr151
                                        ; implicit-def: $vgpr154
                                        ; implicit-def: $vgpr158
                                        ; implicit-def: $vgpr162
                                        ; implicit-def: $vgpr168
                                        ; implicit-def: $vgpr173
                                        ; implicit-def: $vgpr178
                                        ; implicit-def: $vgpr181
                                        ; implicit-def: $vgpr176
                                        ; implicit-def: $vgpr172
                                        ; implicit-def: $vgpr167
                                        ; implicit-def: $vgpr164
                                        ; implicit-def: $vgpr40
                                        ; implicit-def: $vgpr39
	s_movk_i32 s24, 0x1000
.LBB1458_401:                           ;   in Loop: Header=BB1458_398 Depth=2
	s_lshl_b64 s[24:25], s[46:47], 2
	s_waitcnt vmcnt(13)
	v_bfrev_b32_e32 v151, -2
	v_add_co_u32 v37, vcc_lo, v129, s24
	v_add_co_ci_u32_e64 v38, null, s25, v130, vcc_lo
	v_bfrev_b32_e32 v3, -2
	s_mov_b32 s23, exec_lo
	v_cmpx_gt_u32_e64 s62, v105
	s_cbranch_execz .LBB1458_403
; %bb.402:                              ;   in Loop: Header=BB1458_398 Depth=2
	global_load_dword v3, v[37:38], off
.LBB1458_403:                           ;   in Loop: Header=BB1458_398 Depth=2
	s_or_b32 exec_lo, exec_lo, s23
	s_mov_b32 s23, exec_lo
	v_cmpx_gt_u32_e64 s62, v108
	s_cbranch_execz .LBB1458_405
; %bb.404:                              ;   in Loop: Header=BB1458_398 Depth=2
	global_load_dword v151, v[37:38], off offset:128
.LBB1458_405:                           ;   in Loop: Header=BB1458_398 Depth=2
	s_or_b32 exec_lo, exec_lo, s23
	s_waitcnt vmcnt(11)
	v_bfrev_b32_e32 v158, -2
	v_bfrev_b32_e32 v154, -2
	s_mov_b32 s23, exec_lo
	v_cmpx_gt_u32_e64 s62, v109
	s_cbranch_execz .LBB1458_407
; %bb.406:                              ;   in Loop: Header=BB1458_398 Depth=2
	global_load_dword v154, v[37:38], off offset:256
.LBB1458_407:                           ;   in Loop: Header=BB1458_398 Depth=2
	s_or_b32 exec_lo, exec_lo, s23
	s_mov_b32 s23, exec_lo
	v_cmpx_gt_u32_e64 s62, v110
	s_cbranch_execz .LBB1458_409
; %bb.408:                              ;   in Loop: Header=BB1458_398 Depth=2
	global_load_dword v158, v[37:38], off offset:384
.LBB1458_409:                           ;   in Loop: Header=BB1458_398 Depth=2
	s_or_b32 exec_lo, exec_lo, s23
	s_waitcnt vmcnt(9)
	v_bfrev_b32_e32 v168, -2
	v_bfrev_b32_e32 v162, -2
	s_mov_b32 s23, exec_lo
	v_cmpx_gt_u32_e64 s62, v111
	s_cbranch_execz .LBB1458_411
; %bb.410:                              ;   in Loop: Header=BB1458_398 Depth=2
	global_load_dword v162, v[37:38], off offset:512
.LBB1458_411:                           ;   in Loop: Header=BB1458_398 Depth=2
	;; [unrolled: 17-line block ×6, first 2 shown]
	s_or_b32 exec_lo, exec_lo, s23
	s_mov_b32 s23, exec_lo
	v_cmpx_gt_u32_e64 s62, v121
	s_cbranch_execz .LBB1458_429
; %bb.428:                              ;   in Loop: Header=BB1458_398 Depth=2
	global_load_dword v40, v[37:38], off offset:1664
.LBB1458_429:                           ;   in Loop: Header=BB1458_398 Depth=2
	s_or_b32 exec_lo, exec_lo, s23
	s_waitcnt vmcnt(0)
	v_bfrev_b32_e32 v39, -2
	s_mov_b32 s23, exec_lo
	v_cmpx_gt_u32_e64 s62, v122
	s_cbranch_execz .LBB1458_431
; %bb.430:                              ;   in Loop: Header=BB1458_398 Depth=2
	global_load_dword v39, v[37:38], off offset:1792
.LBB1458_431:                           ;   in Loop: Header=BB1458_398 Depth=2
	s_or_b32 exec_lo, exec_lo, s23
	v_cmp_gt_u32_e64 s23, s62, v123
	s_sub_i32 s24, s59, s46
.LBB1458_432:                           ;   in Loop: Header=BB1458_398 Depth=2
	v_bfrev_b32_e32 v37, -2
	v_mov_b32_e32 v150, s62
	s_and_saveexec_b32 s25, s23
	s_cbranch_execz .LBB1458_434
; %bb.433:                              ;   in Loop: Header=BB1458_398 Depth=2
	s_lshl_b64 s[26:27], s[46:47], 2
	v_mov_b32_e32 v150, s24
	v_add_co_u32 v37, vcc_lo, v129, s26
	v_add_co_ci_u32_e64 v38, null, s27, v130, vcc_lo
	global_load_dword v37, v[37:38], off offset:1920
.LBB1458_434:                           ;   in Loop: Header=BB1458_398 Depth=2
	s_or_b32 exec_lo, exec_lo, s25
	s_waitcnt vmcnt(14)
	v_cmp_lt_i32_e32 vcc_lo, -1, v3
	ds_write2_b32 v65, v4, v4 offset0:136 offset1:137
	ds_write2_b32 v65, v4, v4 offset0:138 offset1:139
	ds_write_b32 v65, v4 offset:560
	s_waitcnt vmcnt(0) lgkmcnt(0)
	s_barrier
	v_cndmask_b32_e64 v38, -1, 0x80000000, vcc_lo
	buffer_gl0_inv
	; wave barrier
	v_xor_b32_e32 v3, v38, v3
	v_cmp_ne_u32_e32 vcc_lo, 0x7fffffff, v3
	v_cndmask_b32_e32 v38, 0x80000000, v3, vcc_lo
	v_lshrrev_b32_e32 v38, s52, v38
	v_and_b32_e32 v153, s61, v38
	v_and_b32_e32 v38, 1, v153
	v_lshlrev_b32_e32 v152, 30, v153
	v_lshlrev_b32_e32 v155, 29, v153
	;; [unrolled: 1-line block ×4, first 2 shown]
	v_add_co_u32 v38, s23, v38, -1
	v_cndmask_b32_e64 v156, 0, 1, s23
	v_not_b32_e32 v161, v152
	v_cmp_gt_i32_e64 s23, 0, v152
	v_not_b32_e32 v152, v155
	v_lshlrev_b32_e32 v160, 26, v153
	v_cmp_ne_u32_e32 vcc_lo, 0, v156
	v_ashrrev_i32_e32 v161, 31, v161
	v_lshlrev_b32_e32 v156, 25, v153
	v_ashrrev_i32_e32 v152, 31, v152
	v_mul_u32_u24_e32 v153, 36, v153
	v_xor_b32_e32 v38, vcc_lo, v38
	v_cmp_gt_i32_e32 vcc_lo, 0, v155
	v_not_b32_e32 v155, v157
	v_xor_b32_e32 v161, s23, v161
	v_cmp_gt_i32_e64 s23, 0, v157
	v_and_b32_e32 v38, exec_lo, v38
	v_not_b32_e32 v157, v159
	v_ashrrev_i32_e32 v155, 31, v155
	v_xor_b32_e32 v152, vcc_lo, v152
	v_cmp_gt_i32_e32 vcc_lo, 0, v159
	v_and_b32_e32 v38, v38, v161
	v_not_b32_e32 v159, v160
	v_ashrrev_i32_e32 v157, 31, v157
	v_xor_b32_e32 v155, s23, v155
	v_cmp_gt_i32_e64 s23, 0, v160
	v_and_b32_e32 v38, v38, v152
	v_not_b32_e32 v152, v156
	v_ashrrev_i32_e32 v159, 31, v159
	v_xor_b32_e32 v157, vcc_lo, v157
	v_cmp_gt_i32_e32 vcc_lo, 0, v156
	v_and_b32_e32 v38, v38, v155
	v_ashrrev_i32_e32 v152, 31, v152
	v_xor_b32_e32 v155, s23, v159
	v_add_nc_u32_e32 v153, v131, v153
	v_and_b32_e32 v38, v38, v157
	v_xor_b32_e32 v152, vcc_lo, v152
	v_and_b32_e32 v38, v38, v155
	v_and_b32_e32 v38, v38, v152
	v_mbcnt_lo_u32_b32 v152, v38, 0
	v_cmp_ne_u32_e64 s23, 0, v38
	v_cmp_eq_u32_e32 vcc_lo, 0, v152
	s_and_b32 s24, s23, vcc_lo
	s_and_saveexec_b32 s23, s24
; %bb.435:                              ;   in Loop: Header=BB1458_398 Depth=2
	v_bcnt_u32_b32 v38, v38, 0
	ds_write_b32 v153, v38 offset:544
; %bb.436:                              ;   in Loop: Header=BB1458_398 Depth=2
	s_or_b32 exec_lo, exec_lo, s23
	v_cmp_lt_i32_e32 vcc_lo, -1, v151
	; wave barrier
	v_cndmask_b32_e64 v38, -1, 0x80000000, vcc_lo
	v_xor_b32_e32 v151, v38, v151
	v_cmp_ne_u32_e32 vcc_lo, 0x7fffffff, v151
	v_cndmask_b32_e32 v38, 0x80000000, v151, vcc_lo
	v_lshrrev_b32_e32 v38, s52, v38
	v_and_b32_e32 v157, s61, v38
	v_and_b32_e32 v38, 1, v157
	v_lshlrev_b32_e32 v155, 30, v157
	v_lshlrev_b32_e32 v156, 29, v157
	;; [unrolled: 1-line block ×4, first 2 shown]
	v_add_co_u32 v38, s23, v38, -1
	v_cndmask_b32_e64 v159, 0, 1, s23
	v_not_b32_e32 v165, v155
	v_cmp_gt_i32_e64 s23, 0, v155
	v_not_b32_e32 v155, v156
	v_lshlrev_b32_e32 v163, 26, v157
	v_cmp_ne_u32_e32 vcc_lo, 0, v159
	v_ashrrev_i32_e32 v165, 31, v165
	v_lshlrev_b32_e32 v159, 25, v157
	v_ashrrev_i32_e32 v155, 31, v155
	v_xor_b32_e32 v38, vcc_lo, v38
	v_cmp_gt_i32_e32 vcc_lo, 0, v156
	v_not_b32_e32 v156, v160
	v_xor_b32_e32 v165, s23, v165
	v_cmp_gt_i32_e64 s23, 0, v160
	v_and_b32_e32 v38, exec_lo, v38
	v_not_b32_e32 v160, v161
	v_ashrrev_i32_e32 v156, 31, v156
	v_xor_b32_e32 v155, vcc_lo, v155
	v_cmp_gt_i32_e32 vcc_lo, 0, v161
	v_and_b32_e32 v38, v38, v165
	v_not_b32_e32 v161, v163
	v_ashrrev_i32_e32 v160, 31, v160
	v_xor_b32_e32 v156, s23, v156
	v_cmp_gt_i32_e64 s23, 0, v163
	v_and_b32_e32 v38, v38, v155
	v_not_b32_e32 v155, v159
	v_ashrrev_i32_e32 v161, 31, v161
	v_xor_b32_e32 v160, vcc_lo, v160
	v_cmp_gt_i32_e32 vcc_lo, 0, v159
	v_and_b32_e32 v38, v38, v156
	v_ashrrev_i32_e32 v155, 31, v155
	v_xor_b32_e32 v156, s23, v161
	v_mad_u32_u24 v159, v157, 36, v131
	v_mul_u32_u24_e32 v157, 36, v157
	v_and_b32_e32 v38, v38, v160
	v_xor_b32_e32 v160, vcc_lo, v155
	ds_read_b32 v155, v159 offset:544
	v_add_nc_u32_e32 v157, v131, v157
	v_and_b32_e32 v38, v38, v156
	; wave barrier
	v_and_b32_e32 v38, v38, v160
	v_mbcnt_lo_u32_b32 v156, v38, 0
	v_cmp_ne_u32_e64 s23, 0, v38
	v_cmp_eq_u32_e32 vcc_lo, 0, v156
	s_and_b32 s24, s23, vcc_lo
	s_and_saveexec_b32 s23, s24
	s_cbranch_execz .LBB1458_438
; %bb.437:                              ;   in Loop: Header=BB1458_398 Depth=2
	s_waitcnt lgkmcnt(0)
	v_bcnt_u32_b32 v38, v38, v155
	ds_write_b32 v157, v38 offset:544
.LBB1458_438:                           ;   in Loop: Header=BB1458_398 Depth=2
	s_or_b32 exec_lo, exec_lo, s23
	v_cmp_lt_i32_e32 vcc_lo, -1, v154
	; wave barrier
	v_cndmask_b32_e64 v38, -1, 0x80000000, vcc_lo
	v_xor_b32_e32 v154, v38, v154
	v_cmp_ne_u32_e32 vcc_lo, 0x7fffffff, v154
	v_cndmask_b32_e32 v38, 0x80000000, v154, vcc_lo
	v_lshrrev_b32_e32 v38, s52, v38
	v_and_b32_e32 v161, s61, v38
	v_and_b32_e32 v38, 1, v161
	v_lshlrev_b32_e32 v159, 30, v161
	v_lshlrev_b32_e32 v160, 29, v161
	;; [unrolled: 1-line block ×4, first 2 shown]
	v_add_co_u32 v38, s23, v38, -1
	v_cndmask_b32_e64 v163, 0, 1, s23
	v_not_b32_e32 v170, v159
	v_cmp_gt_i32_e64 s23, 0, v159
	v_not_b32_e32 v159, v160
	v_lshlrev_b32_e32 v169, 26, v161
	v_cmp_ne_u32_e32 vcc_lo, 0, v163
	v_ashrrev_i32_e32 v170, 31, v170
	v_lshlrev_b32_e32 v163, 25, v161
	v_ashrrev_i32_e32 v159, 31, v159
	v_xor_b32_e32 v38, vcc_lo, v38
	v_cmp_gt_i32_e32 vcc_lo, 0, v160
	v_not_b32_e32 v160, v165
	v_xor_b32_e32 v170, s23, v170
	v_cmp_gt_i32_e64 s23, 0, v165
	v_and_b32_e32 v38, exec_lo, v38
	v_not_b32_e32 v165, v166
	v_ashrrev_i32_e32 v160, 31, v160
	v_xor_b32_e32 v159, vcc_lo, v159
	v_cmp_gt_i32_e32 vcc_lo, 0, v166
	v_and_b32_e32 v38, v38, v170
	v_not_b32_e32 v166, v169
	v_ashrrev_i32_e32 v165, 31, v165
	v_xor_b32_e32 v160, s23, v160
	v_cmp_gt_i32_e64 s23, 0, v169
	v_and_b32_e32 v38, v38, v159
	v_not_b32_e32 v159, v163
	v_ashrrev_i32_e32 v166, 31, v166
	v_xor_b32_e32 v165, vcc_lo, v165
	v_cmp_gt_i32_e32 vcc_lo, 0, v163
	v_and_b32_e32 v38, v38, v160
	v_ashrrev_i32_e32 v159, 31, v159
	v_xor_b32_e32 v160, s23, v166
	v_mad_u32_u24 v163, v161, 36, v131
	v_mul_u32_u24_e32 v161, 36, v161
	v_and_b32_e32 v38, v38, v165
	v_xor_b32_e32 v165, vcc_lo, v159
	ds_read_b32 v159, v163 offset:544
	v_add_nc_u32_e32 v161, v131, v161
	v_and_b32_e32 v38, v38, v160
	; wave barrier
	v_and_b32_e32 v38, v38, v165
	v_mbcnt_lo_u32_b32 v160, v38, 0
	v_cmp_ne_u32_e64 s23, 0, v38
	v_cmp_eq_u32_e32 vcc_lo, 0, v160
	s_and_b32 s24, s23, vcc_lo
	s_and_saveexec_b32 s23, s24
	s_cbranch_execz .LBB1458_440
; %bb.439:                              ;   in Loop: Header=BB1458_398 Depth=2
	s_waitcnt lgkmcnt(0)
	v_bcnt_u32_b32 v38, v38, v159
	ds_write_b32 v161, v38 offset:544
.LBB1458_440:                           ;   in Loop: Header=BB1458_398 Depth=2
	s_or_b32 exec_lo, exec_lo, s23
	v_cmp_lt_i32_e32 vcc_lo, -1, v158
	; wave barrier
	v_cndmask_b32_e64 v38, -1, 0x80000000, vcc_lo
	v_xor_b32_e32 v158, v38, v158
	v_cmp_ne_u32_e32 vcc_lo, 0x7fffffff, v158
	v_cndmask_b32_e32 v38, 0x80000000, v158, vcc_lo
	v_lshrrev_b32_e32 v38, s52, v38
	v_and_b32_e32 v166, s61, v38
	v_and_b32_e32 v38, 1, v166
	v_lshlrev_b32_e32 v163, 30, v166
	v_lshlrev_b32_e32 v165, 29, v166
	;; [unrolled: 1-line block ×4, first 2 shown]
	v_add_co_u32 v38, s23, v38, -1
	v_cndmask_b32_e64 v169, 0, 1, s23
	v_not_b32_e32 v175, v163
	v_cmp_gt_i32_e64 s23, 0, v163
	v_not_b32_e32 v163, v165
	v_lshlrev_b32_e32 v174, 26, v166
	v_cmp_ne_u32_e32 vcc_lo, 0, v169
	v_ashrrev_i32_e32 v175, 31, v175
	v_lshlrev_b32_e32 v169, 25, v166
	v_ashrrev_i32_e32 v163, 31, v163
	v_xor_b32_e32 v38, vcc_lo, v38
	v_cmp_gt_i32_e32 vcc_lo, 0, v165
	v_not_b32_e32 v165, v170
	v_xor_b32_e32 v175, s23, v175
	v_cmp_gt_i32_e64 s23, 0, v170
	v_and_b32_e32 v38, exec_lo, v38
	v_not_b32_e32 v170, v171
	v_ashrrev_i32_e32 v165, 31, v165
	v_xor_b32_e32 v163, vcc_lo, v163
	v_cmp_gt_i32_e32 vcc_lo, 0, v171
	v_and_b32_e32 v38, v38, v175
	v_not_b32_e32 v171, v174
	v_ashrrev_i32_e32 v170, 31, v170
	v_xor_b32_e32 v165, s23, v165
	v_cmp_gt_i32_e64 s23, 0, v174
	v_and_b32_e32 v38, v38, v163
	v_not_b32_e32 v163, v169
	v_ashrrev_i32_e32 v171, 31, v171
	v_xor_b32_e32 v170, vcc_lo, v170
	v_cmp_gt_i32_e32 vcc_lo, 0, v169
	v_and_b32_e32 v38, v38, v165
	v_ashrrev_i32_e32 v163, 31, v163
	v_xor_b32_e32 v165, s23, v171
	v_mad_u32_u24 v169, v166, 36, v131
	v_mul_u32_u24_e32 v166, 36, v166
	v_and_b32_e32 v38, v38, v170
	v_xor_b32_e32 v170, vcc_lo, v163
	ds_read_b32 v163, v169 offset:544
	v_add_nc_u32_e32 v166, v131, v166
	v_and_b32_e32 v38, v38, v165
	; wave barrier
	v_and_b32_e32 v38, v38, v170
	v_mbcnt_lo_u32_b32 v165, v38, 0
	v_cmp_ne_u32_e64 s23, 0, v38
	v_cmp_eq_u32_e32 vcc_lo, 0, v165
	s_and_b32 s24, s23, vcc_lo
	s_and_saveexec_b32 s23, s24
	s_cbranch_execz .LBB1458_442
; %bb.441:                              ;   in Loop: Header=BB1458_398 Depth=2
	s_waitcnt lgkmcnt(0)
	v_bcnt_u32_b32 v38, v38, v163
	ds_write_b32 v166, v38 offset:544
.LBB1458_442:                           ;   in Loop: Header=BB1458_398 Depth=2
	s_or_b32 exec_lo, exec_lo, s23
	v_cmp_lt_i32_e32 vcc_lo, -1, v162
	; wave barrier
	v_cndmask_b32_e64 v38, -1, 0x80000000, vcc_lo
	v_xor_b32_e32 v162, v38, v162
	v_cmp_ne_u32_e32 vcc_lo, 0x7fffffff, v162
	v_cndmask_b32_e32 v38, 0x80000000, v162, vcc_lo
	v_lshrrev_b32_e32 v38, s52, v38
	v_and_b32_e32 v171, s61, v38
	v_and_b32_e32 v38, 1, v171
	v_lshlrev_b32_e32 v169, 30, v171
	v_lshlrev_b32_e32 v170, 29, v171
	;; [unrolled: 1-line block ×4, first 2 shown]
	v_add_co_u32 v38, s23, v38, -1
	v_cndmask_b32_e64 v174, 0, 1, s23
	v_not_b32_e32 v180, v169
	v_cmp_gt_i32_e64 s23, 0, v169
	v_not_b32_e32 v169, v170
	v_lshlrev_b32_e32 v179, 26, v171
	v_cmp_ne_u32_e32 vcc_lo, 0, v174
	v_ashrrev_i32_e32 v180, 31, v180
	v_lshlrev_b32_e32 v174, 25, v171
	v_ashrrev_i32_e32 v169, 31, v169
	v_xor_b32_e32 v38, vcc_lo, v38
	v_cmp_gt_i32_e32 vcc_lo, 0, v170
	v_not_b32_e32 v170, v175
	v_xor_b32_e32 v180, s23, v180
	v_cmp_gt_i32_e64 s23, 0, v175
	v_and_b32_e32 v38, exec_lo, v38
	v_not_b32_e32 v175, v177
	v_ashrrev_i32_e32 v170, 31, v170
	v_xor_b32_e32 v169, vcc_lo, v169
	v_cmp_gt_i32_e32 vcc_lo, 0, v177
	v_and_b32_e32 v38, v38, v180
	v_not_b32_e32 v177, v179
	v_ashrrev_i32_e32 v175, 31, v175
	v_xor_b32_e32 v170, s23, v170
	v_cmp_gt_i32_e64 s23, 0, v179
	v_and_b32_e32 v38, v38, v169
	v_not_b32_e32 v169, v174
	v_ashrrev_i32_e32 v177, 31, v177
	v_xor_b32_e32 v175, vcc_lo, v175
	v_cmp_gt_i32_e32 vcc_lo, 0, v174
	v_and_b32_e32 v38, v38, v170
	v_ashrrev_i32_e32 v169, 31, v169
	v_xor_b32_e32 v170, s23, v177
	v_mad_u32_u24 v174, v171, 36, v131
	v_mul_u32_u24_e32 v171, 36, v171
	v_and_b32_e32 v38, v38, v175
	v_xor_b32_e32 v175, vcc_lo, v169
	ds_read_b32 v169, v174 offset:544
	v_add_nc_u32_e32 v171, v131, v171
	v_and_b32_e32 v38, v38, v170
	; wave barrier
	v_and_b32_e32 v38, v38, v175
	v_mbcnt_lo_u32_b32 v170, v38, 0
	v_cmp_ne_u32_e64 s23, 0, v38
	v_cmp_eq_u32_e32 vcc_lo, 0, v170
	s_and_b32 s24, s23, vcc_lo
	s_and_saveexec_b32 s23, s24
	s_cbranch_execz .LBB1458_444
; %bb.443:                              ;   in Loop: Header=BB1458_398 Depth=2
	s_waitcnt lgkmcnt(0)
	v_bcnt_u32_b32 v38, v38, v169
	ds_write_b32 v171, v38 offset:544
.LBB1458_444:                           ;   in Loop: Header=BB1458_398 Depth=2
	s_or_b32 exec_lo, exec_lo, s23
	v_cmp_lt_i32_e32 vcc_lo, -1, v168
	; wave barrier
	v_cndmask_b32_e64 v38, -1, 0x80000000, vcc_lo
	v_xor_b32_e32 v168, v38, v168
	v_cmp_ne_u32_e32 vcc_lo, 0x7fffffff, v168
	v_cndmask_b32_e32 v38, 0x80000000, v168, vcc_lo
	v_lshrrev_b32_e32 v38, s52, v38
	v_and_b32_e32 v177, s61, v38
	v_and_b32_e32 v38, 1, v177
	v_lshlrev_b32_e32 v174, 30, v177
	v_lshlrev_b32_e32 v175, 29, v177
	;; [unrolled: 1-line block ×4, first 2 shown]
	v_add_co_u32 v38, s23, v38, -1
	v_cndmask_b32_e64 v179, 0, 1, s23
	v_not_b32_e32 v184, v174
	v_cmp_gt_i32_e64 s23, 0, v174
	v_not_b32_e32 v174, v175
	v_lshlrev_b32_e32 v183, 26, v177
	v_cmp_ne_u32_e32 vcc_lo, 0, v179
	v_ashrrev_i32_e32 v184, 31, v184
	v_lshlrev_b32_e32 v179, 25, v177
	v_ashrrev_i32_e32 v174, 31, v174
	v_xor_b32_e32 v38, vcc_lo, v38
	v_cmp_gt_i32_e32 vcc_lo, 0, v175
	v_not_b32_e32 v175, v180
	v_xor_b32_e32 v184, s23, v184
	v_cmp_gt_i32_e64 s23, 0, v180
	v_and_b32_e32 v38, exec_lo, v38
	v_not_b32_e32 v180, v182
	v_ashrrev_i32_e32 v175, 31, v175
	v_xor_b32_e32 v174, vcc_lo, v174
	v_cmp_gt_i32_e32 vcc_lo, 0, v182
	v_and_b32_e32 v38, v38, v184
	v_not_b32_e32 v182, v183
	v_ashrrev_i32_e32 v180, 31, v180
	v_xor_b32_e32 v175, s23, v175
	v_cmp_gt_i32_e64 s23, 0, v183
	v_and_b32_e32 v38, v38, v174
	v_not_b32_e32 v174, v179
	v_ashrrev_i32_e32 v182, 31, v182
	v_xor_b32_e32 v180, vcc_lo, v180
	v_cmp_gt_i32_e32 vcc_lo, 0, v179
	v_and_b32_e32 v38, v38, v175
	v_ashrrev_i32_e32 v174, 31, v174
	v_xor_b32_e32 v175, s23, v182
	v_mad_u32_u24 v179, v177, 36, v131
	v_mul_u32_u24_e32 v177, 36, v177
	v_and_b32_e32 v38, v38, v180
	v_xor_b32_e32 v180, vcc_lo, v174
	ds_read_b32 v174, v179 offset:544
	v_add_nc_u32_e32 v177, v131, v177
	v_and_b32_e32 v38, v38, v175
	; wave barrier
	v_and_b32_e32 v38, v38, v180
	v_mbcnt_lo_u32_b32 v175, v38, 0
	v_cmp_ne_u32_e64 s23, 0, v38
	v_cmp_eq_u32_e32 vcc_lo, 0, v175
	s_and_b32 s24, s23, vcc_lo
	s_and_saveexec_b32 s23, s24
	s_cbranch_execz .LBB1458_446
; %bb.445:                              ;   in Loop: Header=BB1458_398 Depth=2
	s_waitcnt lgkmcnt(0)
	v_bcnt_u32_b32 v38, v38, v174
	ds_write_b32 v177, v38 offset:544
.LBB1458_446:                           ;   in Loop: Header=BB1458_398 Depth=2
	s_or_b32 exec_lo, exec_lo, s23
	v_cmp_lt_i32_e32 vcc_lo, -1, v173
	; wave barrier
	v_cndmask_b32_e64 v38, -1, 0x80000000, vcc_lo
	v_xor_b32_e32 v173, v38, v173
	v_cmp_ne_u32_e32 vcc_lo, 0x7fffffff, v173
	v_cndmask_b32_e32 v38, 0x80000000, v173, vcc_lo
	v_lshrrev_b32_e32 v38, s52, v38
	v_and_b32_e32 v182, s61, v38
	v_and_b32_e32 v38, 1, v182
	v_lshlrev_b32_e32 v179, 30, v182
	v_lshlrev_b32_e32 v180, 29, v182
	;; [unrolled: 1-line block ×4, first 2 shown]
	v_add_co_u32 v38, s23, v38, -1
	v_cndmask_b32_e64 v183, 0, 1, s23
	v_not_b32_e32 v187, v179
	v_cmp_gt_i32_e64 s23, 0, v179
	v_not_b32_e32 v179, v180
	v_lshlrev_b32_e32 v186, 26, v182
	v_cmp_ne_u32_e32 vcc_lo, 0, v183
	v_ashrrev_i32_e32 v187, 31, v187
	v_lshlrev_b32_e32 v183, 25, v182
	v_ashrrev_i32_e32 v179, 31, v179
	v_xor_b32_e32 v38, vcc_lo, v38
	v_cmp_gt_i32_e32 vcc_lo, 0, v180
	v_not_b32_e32 v180, v184
	v_xor_b32_e32 v187, s23, v187
	v_cmp_gt_i32_e64 s23, 0, v184
	v_and_b32_e32 v38, exec_lo, v38
	v_not_b32_e32 v184, v185
	v_ashrrev_i32_e32 v180, 31, v180
	v_xor_b32_e32 v179, vcc_lo, v179
	v_cmp_gt_i32_e32 vcc_lo, 0, v185
	v_and_b32_e32 v38, v38, v187
	v_not_b32_e32 v185, v186
	v_ashrrev_i32_e32 v184, 31, v184
	v_xor_b32_e32 v180, s23, v180
	v_cmp_gt_i32_e64 s23, 0, v186
	v_and_b32_e32 v38, v38, v179
	v_not_b32_e32 v179, v183
	v_ashrrev_i32_e32 v185, 31, v185
	v_xor_b32_e32 v184, vcc_lo, v184
	v_cmp_gt_i32_e32 vcc_lo, 0, v183
	v_and_b32_e32 v38, v38, v180
	v_ashrrev_i32_e32 v179, 31, v179
	v_xor_b32_e32 v180, s23, v185
	v_mad_u32_u24 v183, v182, 36, v131
	v_mul_u32_u24_e32 v182, 36, v182
	v_and_b32_e32 v38, v38, v184
	v_xor_b32_e32 v184, vcc_lo, v179
	ds_read_b32 v179, v183 offset:544
	v_add_nc_u32_e32 v182, v131, v182
	v_and_b32_e32 v38, v38, v180
	; wave barrier
	v_and_b32_e32 v38, v38, v184
	v_mbcnt_lo_u32_b32 v180, v38, 0
	v_cmp_ne_u32_e64 s23, 0, v38
	v_cmp_eq_u32_e32 vcc_lo, 0, v180
	s_and_b32 s24, s23, vcc_lo
	s_and_saveexec_b32 s23, s24
	s_cbranch_execz .LBB1458_448
; %bb.447:                              ;   in Loop: Header=BB1458_398 Depth=2
	s_waitcnt lgkmcnt(0)
	v_bcnt_u32_b32 v38, v38, v179
	ds_write_b32 v182, v38 offset:544
.LBB1458_448:                           ;   in Loop: Header=BB1458_398 Depth=2
	s_or_b32 exec_lo, exec_lo, s23
	v_cmp_lt_i32_e32 vcc_lo, -1, v178
	; wave barrier
	v_cndmask_b32_e64 v38, -1, 0x80000000, vcc_lo
	v_xor_b32_e32 v178, v38, v178
	v_cmp_ne_u32_e32 vcc_lo, 0x7fffffff, v178
	v_cndmask_b32_e32 v38, 0x80000000, v178, vcc_lo
	v_lshrrev_b32_e32 v38, s52, v38
	v_and_b32_e32 v185, s61, v38
	v_and_b32_e32 v38, 1, v185
	v_lshlrev_b32_e32 v183, 30, v185
	v_lshlrev_b32_e32 v184, 29, v185
	;; [unrolled: 1-line block ×4, first 2 shown]
	v_add_co_u32 v38, s23, v38, -1
	v_cndmask_b32_e64 v186, 0, 1, s23
	v_not_b32_e32 v190, v183
	v_cmp_gt_i32_e64 s23, 0, v183
	v_not_b32_e32 v183, v184
	v_lshlrev_b32_e32 v189, 26, v185
	v_cmp_ne_u32_e32 vcc_lo, 0, v186
	v_ashrrev_i32_e32 v190, 31, v190
	v_lshlrev_b32_e32 v186, 25, v185
	v_ashrrev_i32_e32 v183, 31, v183
	v_xor_b32_e32 v38, vcc_lo, v38
	v_cmp_gt_i32_e32 vcc_lo, 0, v184
	v_not_b32_e32 v184, v187
	v_xor_b32_e32 v190, s23, v190
	v_cmp_gt_i32_e64 s23, 0, v187
	v_and_b32_e32 v38, exec_lo, v38
	v_not_b32_e32 v187, v188
	v_ashrrev_i32_e32 v184, 31, v184
	v_xor_b32_e32 v183, vcc_lo, v183
	v_cmp_gt_i32_e32 vcc_lo, 0, v188
	v_and_b32_e32 v38, v38, v190
	v_not_b32_e32 v188, v189
	v_ashrrev_i32_e32 v187, 31, v187
	v_xor_b32_e32 v184, s23, v184
	v_cmp_gt_i32_e64 s23, 0, v189
	v_and_b32_e32 v38, v38, v183
	v_not_b32_e32 v183, v186
	v_ashrrev_i32_e32 v188, 31, v188
	v_xor_b32_e32 v187, vcc_lo, v187
	v_cmp_gt_i32_e32 vcc_lo, 0, v186
	v_and_b32_e32 v38, v38, v184
	v_ashrrev_i32_e32 v183, 31, v183
	v_xor_b32_e32 v184, s23, v188
	v_mad_u32_u24 v186, v185, 36, v131
	v_mul_u32_u24_e32 v185, 36, v185
	v_and_b32_e32 v38, v38, v187
	v_xor_b32_e32 v187, vcc_lo, v183
	ds_read_b32 v183, v186 offset:544
	v_add_nc_u32_e32 v185, v131, v185
	v_and_b32_e32 v38, v38, v184
	; wave barrier
	v_and_b32_e32 v38, v38, v187
	v_mbcnt_lo_u32_b32 v184, v38, 0
	v_cmp_ne_u32_e64 s23, 0, v38
	v_cmp_eq_u32_e32 vcc_lo, 0, v184
	s_and_b32 s24, s23, vcc_lo
	s_and_saveexec_b32 s23, s24
	s_cbranch_execz .LBB1458_450
; %bb.449:                              ;   in Loop: Header=BB1458_398 Depth=2
	s_waitcnt lgkmcnt(0)
	v_bcnt_u32_b32 v38, v38, v183
	ds_write_b32 v185, v38 offset:544
.LBB1458_450:                           ;   in Loop: Header=BB1458_398 Depth=2
	s_or_b32 exec_lo, exec_lo, s23
	v_cmp_lt_i32_e32 vcc_lo, -1, v181
	; wave barrier
	v_cndmask_b32_e64 v38, -1, 0x80000000, vcc_lo
	v_xor_b32_e32 v181, v38, v181
	v_cmp_ne_u32_e32 vcc_lo, 0x7fffffff, v181
	v_cndmask_b32_e32 v38, 0x80000000, v181, vcc_lo
	v_lshrrev_b32_e32 v38, s52, v38
	v_and_b32_e32 v188, s61, v38
	v_and_b32_e32 v38, 1, v188
	v_lshlrev_b32_e32 v186, 30, v188
	v_lshlrev_b32_e32 v187, 29, v188
	v_lshlrev_b32_e32 v190, 28, v188
	v_lshlrev_b32_e32 v191, 27, v188
	v_add_co_u32 v38, s23, v38, -1
	v_cndmask_b32_e64 v189, 0, 1, s23
	v_not_b32_e32 v193, v186
	v_cmp_gt_i32_e64 s23, 0, v186
	v_not_b32_e32 v186, v187
	v_lshlrev_b32_e32 v192, 26, v188
	v_cmp_ne_u32_e32 vcc_lo, 0, v189
	v_ashrrev_i32_e32 v193, 31, v193
	v_lshlrev_b32_e32 v189, 25, v188
	v_ashrrev_i32_e32 v186, 31, v186
	v_xor_b32_e32 v38, vcc_lo, v38
	v_cmp_gt_i32_e32 vcc_lo, 0, v187
	v_not_b32_e32 v187, v190
	v_xor_b32_e32 v193, s23, v193
	v_cmp_gt_i32_e64 s23, 0, v190
	v_and_b32_e32 v38, exec_lo, v38
	v_not_b32_e32 v190, v191
	v_ashrrev_i32_e32 v187, 31, v187
	v_xor_b32_e32 v186, vcc_lo, v186
	v_cmp_gt_i32_e32 vcc_lo, 0, v191
	v_and_b32_e32 v38, v38, v193
	v_not_b32_e32 v191, v192
	v_ashrrev_i32_e32 v190, 31, v190
	v_xor_b32_e32 v187, s23, v187
	v_cmp_gt_i32_e64 s23, 0, v192
	v_and_b32_e32 v38, v38, v186
	v_not_b32_e32 v186, v189
	v_ashrrev_i32_e32 v191, 31, v191
	v_xor_b32_e32 v190, vcc_lo, v190
	v_cmp_gt_i32_e32 vcc_lo, 0, v189
	v_and_b32_e32 v38, v38, v187
	v_ashrrev_i32_e32 v186, 31, v186
	v_xor_b32_e32 v187, s23, v191
	v_mad_u32_u24 v189, v188, 36, v131
	v_mul_u32_u24_e32 v188, 36, v188
	v_and_b32_e32 v38, v38, v190
	v_xor_b32_e32 v190, vcc_lo, v186
	ds_read_b32 v186, v189 offset:544
	v_add_nc_u32_e32 v188, v131, v188
	v_and_b32_e32 v38, v38, v187
	; wave barrier
	v_and_b32_e32 v38, v38, v190
	v_mbcnt_lo_u32_b32 v187, v38, 0
	v_cmp_ne_u32_e64 s23, 0, v38
	v_cmp_eq_u32_e32 vcc_lo, 0, v187
	s_and_b32 s24, s23, vcc_lo
	s_and_saveexec_b32 s23, s24
	s_cbranch_execz .LBB1458_452
; %bb.451:                              ;   in Loop: Header=BB1458_398 Depth=2
	s_waitcnt lgkmcnt(0)
	v_bcnt_u32_b32 v38, v38, v186
	ds_write_b32 v188, v38 offset:544
.LBB1458_452:                           ;   in Loop: Header=BB1458_398 Depth=2
	s_or_b32 exec_lo, exec_lo, s23
	v_cmp_lt_i32_e32 vcc_lo, -1, v176
	; wave barrier
	v_cndmask_b32_e64 v38, -1, 0x80000000, vcc_lo
	v_xor_b32_e32 v176, v38, v176
	v_cmp_ne_u32_e32 vcc_lo, 0x7fffffff, v176
	v_cndmask_b32_e32 v38, 0x80000000, v176, vcc_lo
	v_lshrrev_b32_e32 v38, s52, v38
	v_and_b32_e32 v191, s61, v38
	v_and_b32_e32 v38, 1, v191
	v_lshlrev_b32_e32 v189, 30, v191
	v_lshlrev_b32_e32 v190, 29, v191
	;; [unrolled: 1-line block ×4, first 2 shown]
	v_add_co_u32 v38, s23, v38, -1
	v_cndmask_b32_e64 v192, 0, 1, s23
	v_not_b32_e32 v196, v189
	v_cmp_gt_i32_e64 s23, 0, v189
	v_not_b32_e32 v189, v190
	v_lshlrev_b32_e32 v195, 26, v191
	v_cmp_ne_u32_e32 vcc_lo, 0, v192
	v_ashrrev_i32_e32 v196, 31, v196
	v_lshlrev_b32_e32 v192, 25, v191
	v_ashrrev_i32_e32 v189, 31, v189
	v_xor_b32_e32 v38, vcc_lo, v38
	v_cmp_gt_i32_e32 vcc_lo, 0, v190
	v_not_b32_e32 v190, v193
	v_xor_b32_e32 v196, s23, v196
	v_cmp_gt_i32_e64 s23, 0, v193
	v_and_b32_e32 v38, exec_lo, v38
	v_not_b32_e32 v193, v194
	v_ashrrev_i32_e32 v190, 31, v190
	v_xor_b32_e32 v189, vcc_lo, v189
	v_cmp_gt_i32_e32 vcc_lo, 0, v194
	v_and_b32_e32 v38, v38, v196
	v_not_b32_e32 v194, v195
	v_ashrrev_i32_e32 v193, 31, v193
	v_xor_b32_e32 v190, s23, v190
	v_cmp_gt_i32_e64 s23, 0, v195
	v_and_b32_e32 v38, v38, v189
	v_not_b32_e32 v189, v192
	v_ashrrev_i32_e32 v194, 31, v194
	v_xor_b32_e32 v193, vcc_lo, v193
	v_cmp_gt_i32_e32 vcc_lo, 0, v192
	v_and_b32_e32 v38, v38, v190
	v_ashrrev_i32_e32 v189, 31, v189
	v_xor_b32_e32 v190, s23, v194
	v_mad_u32_u24 v192, v191, 36, v131
	v_mul_u32_u24_e32 v191, 36, v191
	v_and_b32_e32 v38, v38, v193
	v_xor_b32_e32 v193, vcc_lo, v189
	ds_read_b32 v189, v192 offset:544
	v_add_nc_u32_e32 v191, v131, v191
	v_and_b32_e32 v38, v38, v190
	; wave barrier
	v_and_b32_e32 v38, v38, v193
	v_mbcnt_lo_u32_b32 v190, v38, 0
	v_cmp_ne_u32_e64 s23, 0, v38
	v_cmp_eq_u32_e32 vcc_lo, 0, v190
	s_and_b32 s24, s23, vcc_lo
	s_and_saveexec_b32 s23, s24
	s_cbranch_execz .LBB1458_454
; %bb.453:                              ;   in Loop: Header=BB1458_398 Depth=2
	s_waitcnt lgkmcnt(0)
	v_bcnt_u32_b32 v38, v38, v189
	ds_write_b32 v191, v38 offset:544
.LBB1458_454:                           ;   in Loop: Header=BB1458_398 Depth=2
	s_or_b32 exec_lo, exec_lo, s23
	v_cmp_lt_i32_e32 vcc_lo, -1, v172
	; wave barrier
	v_cndmask_b32_e64 v38, -1, 0x80000000, vcc_lo
	v_xor_b32_e32 v172, v38, v172
	v_cmp_ne_u32_e32 vcc_lo, 0x7fffffff, v172
	v_cndmask_b32_e32 v38, 0x80000000, v172, vcc_lo
	v_lshrrev_b32_e32 v38, s52, v38
	v_and_b32_e32 v192, s61, v38
	v_and_b32_e32 v38, 1, v192
	v_lshlrev_b32_e32 v193, 30, v192
	v_lshlrev_b32_e32 v194, 29, v192
	;; [unrolled: 1-line block ×4, first 2 shown]
	v_add_co_u32 v38, s23, v38, -1
	v_cndmask_b32_e64 v195, 0, 1, s23
	v_not_b32_e32 v199, v193
	v_cmp_gt_i32_e64 s23, 0, v193
	v_not_b32_e32 v193, v194
	v_lshlrev_b32_e32 v198, 26, v192
	v_cmp_ne_u32_e32 vcc_lo, 0, v195
	v_ashrrev_i32_e32 v199, 31, v199
	v_lshlrev_b32_e32 v195, 25, v192
	v_ashrrev_i32_e32 v193, 31, v193
	v_xor_b32_e32 v38, vcc_lo, v38
	v_cmp_gt_i32_e32 vcc_lo, 0, v194
	v_not_b32_e32 v194, v196
	v_xor_b32_e32 v199, s23, v199
	v_cmp_gt_i32_e64 s23, 0, v196
	v_and_b32_e32 v38, exec_lo, v38
	v_not_b32_e32 v196, v197
	v_ashrrev_i32_e32 v194, 31, v194
	v_xor_b32_e32 v193, vcc_lo, v193
	v_cmp_gt_i32_e32 vcc_lo, 0, v197
	v_and_b32_e32 v38, v38, v199
	v_not_b32_e32 v197, v198
	v_ashrrev_i32_e32 v196, 31, v196
	v_xor_b32_e32 v194, s23, v194
	v_cmp_gt_i32_e64 s23, 0, v198
	v_and_b32_e32 v38, v38, v193
	v_not_b32_e32 v193, v195
	v_ashrrev_i32_e32 v197, 31, v197
	v_xor_b32_e32 v196, vcc_lo, v196
	v_cmp_gt_i32_e32 vcc_lo, 0, v195
	v_and_b32_e32 v38, v38, v194
	v_ashrrev_i32_e32 v193, 31, v193
	v_xor_b32_e32 v194, s23, v197
	v_mad_u32_u24 v195, v192, 36, v131
	v_mul_u32_u24_e32 v192, 36, v192
	v_and_b32_e32 v38, v38, v196
	v_xor_b32_e32 v196, vcc_lo, v193
	ds_read_b32 v193, v195 offset:544
	v_add_nc_u32_e32 v195, v131, v192
	v_and_b32_e32 v38, v38, v194
	; wave barrier
	v_and_b32_e32 v38, v38, v196
	v_mbcnt_lo_u32_b32 v194, v38, 0
	v_cmp_ne_u32_e64 s23, 0, v38
	v_cmp_eq_u32_e32 vcc_lo, 0, v194
	s_and_b32 s24, s23, vcc_lo
	s_and_saveexec_b32 s23, s24
	s_cbranch_execz .LBB1458_456
; %bb.455:                              ;   in Loop: Header=BB1458_398 Depth=2
	s_waitcnt lgkmcnt(0)
	v_bcnt_u32_b32 v38, v38, v193
	ds_write_b32 v195, v38 offset:544
.LBB1458_456:                           ;   in Loop: Header=BB1458_398 Depth=2
	s_or_b32 exec_lo, exec_lo, s23
	v_cmp_lt_i32_e32 vcc_lo, -1, v167
	; wave barrier
	v_cndmask_b32_e64 v38, -1, 0x80000000, vcc_lo
	v_xor_b32_e32 v192, v38, v167
	v_cmp_ne_u32_e32 vcc_lo, 0x7fffffff, v192
	v_cndmask_b32_e32 v38, 0x80000000, v192, vcc_lo
	v_lshrrev_b32_e32 v38, s52, v38
	v_and_b32_e32 v167, s61, v38
	v_and_b32_e32 v38, 1, v167
	v_lshlrev_b32_e32 v196, 30, v167
	v_lshlrev_b32_e32 v197, 29, v167
	;; [unrolled: 1-line block ×4, first 2 shown]
	v_add_co_u32 v38, s23, v38, -1
	v_cndmask_b32_e64 v198, 0, 1, s23
	v_not_b32_e32 v202, v196
	v_cmp_gt_i32_e64 s23, 0, v196
	v_not_b32_e32 v196, v197
	v_lshlrev_b32_e32 v201, 26, v167
	v_cmp_ne_u32_e32 vcc_lo, 0, v198
	v_ashrrev_i32_e32 v202, 31, v202
	v_lshlrev_b32_e32 v198, 25, v167
	v_ashrrev_i32_e32 v196, 31, v196
	v_xor_b32_e32 v38, vcc_lo, v38
	v_cmp_gt_i32_e32 vcc_lo, 0, v197
	v_not_b32_e32 v197, v199
	v_xor_b32_e32 v202, s23, v202
	v_cmp_gt_i32_e64 s23, 0, v199
	v_and_b32_e32 v38, exec_lo, v38
	v_not_b32_e32 v199, v200
	v_ashrrev_i32_e32 v197, 31, v197
	v_xor_b32_e32 v196, vcc_lo, v196
	v_cmp_gt_i32_e32 vcc_lo, 0, v200
	v_and_b32_e32 v38, v38, v202
	v_not_b32_e32 v200, v201
	v_ashrrev_i32_e32 v199, 31, v199
	v_xor_b32_e32 v197, s23, v197
	v_cmp_gt_i32_e64 s23, 0, v201
	v_and_b32_e32 v38, v38, v196
	v_not_b32_e32 v196, v198
	v_ashrrev_i32_e32 v200, 31, v200
	v_xor_b32_e32 v199, vcc_lo, v199
	v_cmp_gt_i32_e32 vcc_lo, 0, v198
	v_and_b32_e32 v38, v38, v197
	v_ashrrev_i32_e32 v196, 31, v196
	v_xor_b32_e32 v197, s23, v200
	v_mad_u32_u24 v198, v167, 36, v131
	v_mul_u32_u24_e32 v167, 36, v167
	v_and_b32_e32 v38, v38, v199
	v_xor_b32_e32 v196, vcc_lo, v196
	v_add_nc_u32_e32 v167, v131, v167
	v_and_b32_e32 v38, v38, v197
	ds_read_b32 v197, v198 offset:544
	; wave barrier
	v_and_b32_e32 v38, v38, v196
	v_mbcnt_lo_u32_b32 v198, v38, 0
	v_cmp_ne_u32_e64 s23, 0, v38
	v_cmp_eq_u32_e32 vcc_lo, 0, v198
	s_and_b32 s24, s23, vcc_lo
	s_and_saveexec_b32 s23, s24
	s_cbranch_execz .LBB1458_458
; %bb.457:                              ;   in Loop: Header=BB1458_398 Depth=2
	s_waitcnt lgkmcnt(0)
	v_bcnt_u32_b32 v38, v38, v197
	ds_write_b32 v167, v38 offset:544
.LBB1458_458:                           ;   in Loop: Header=BB1458_398 Depth=2
	s_or_b32 exec_lo, exec_lo, s23
	v_cmp_lt_i32_e32 vcc_lo, -1, v164
	; wave barrier
	v_cndmask_b32_e64 v38, -1, 0x80000000, vcc_lo
	v_xor_b32_e32 v196, v38, v164
	v_cmp_ne_u32_e32 vcc_lo, 0x7fffffff, v196
	v_cndmask_b32_e32 v38, 0x80000000, v196, vcc_lo
	v_lshrrev_b32_e32 v38, s52, v38
	v_and_b32_e32 v164, s61, v38
	v_and_b32_e32 v38, 1, v164
	v_lshlrev_b32_e32 v199, 30, v164
	v_lshlrev_b32_e32 v200, 29, v164
	;; [unrolled: 1-line block ×4, first 2 shown]
	v_add_co_u32 v38, s23, v38, -1
	v_cndmask_b32_e64 v201, 0, 1, s23
	v_not_b32_e32 v205, v199
	v_cmp_gt_i32_e64 s23, 0, v199
	v_not_b32_e32 v199, v200
	v_lshlrev_b32_e32 v204, 26, v164
	v_cmp_ne_u32_e32 vcc_lo, 0, v201
	v_ashrrev_i32_e32 v205, 31, v205
	v_lshlrev_b32_e32 v201, 25, v164
	v_ashrrev_i32_e32 v199, 31, v199
	v_xor_b32_e32 v38, vcc_lo, v38
	v_cmp_gt_i32_e32 vcc_lo, 0, v200
	v_not_b32_e32 v200, v202
	v_xor_b32_e32 v205, s23, v205
	v_cmp_gt_i32_e64 s23, 0, v202
	v_and_b32_e32 v38, exec_lo, v38
	v_not_b32_e32 v202, v203
	v_ashrrev_i32_e32 v200, 31, v200
	v_xor_b32_e32 v199, vcc_lo, v199
	v_cmp_gt_i32_e32 vcc_lo, 0, v203
	v_and_b32_e32 v38, v38, v205
	v_not_b32_e32 v203, v204
	v_ashrrev_i32_e32 v202, 31, v202
	v_xor_b32_e32 v200, s23, v200
	v_cmp_gt_i32_e64 s23, 0, v204
	v_and_b32_e32 v38, v38, v199
	v_not_b32_e32 v199, v201
	v_ashrrev_i32_e32 v203, 31, v203
	v_xor_b32_e32 v202, vcc_lo, v202
	v_cmp_gt_i32_e32 vcc_lo, 0, v201
	v_and_b32_e32 v38, v38, v200
	v_ashrrev_i32_e32 v199, 31, v199
	v_xor_b32_e32 v200, s23, v203
	v_mad_u32_u24 v201, v164, 36, v131
	v_mul_u32_u24_e32 v164, 36, v164
	v_and_b32_e32 v38, v38, v202
	v_xor_b32_e32 v199, vcc_lo, v199
	v_add_nc_u32_e32 v164, v131, v164
	v_and_b32_e32 v38, v38, v200
	ds_read_b32 v200, v201 offset:544
	; wave barrier
	v_and_b32_e32 v38, v38, v199
	v_mbcnt_lo_u32_b32 v201, v38, 0
	v_cmp_ne_u32_e64 s23, 0, v38
	v_cmp_eq_u32_e32 vcc_lo, 0, v201
	s_and_b32 s24, s23, vcc_lo
	s_and_saveexec_b32 s23, s24
	s_cbranch_execz .LBB1458_460
; %bb.459:                              ;   in Loop: Header=BB1458_398 Depth=2
	s_waitcnt lgkmcnt(0)
	v_bcnt_u32_b32 v38, v38, v200
	ds_write_b32 v164, v38 offset:544
.LBB1458_460:                           ;   in Loop: Header=BB1458_398 Depth=2
	s_or_b32 exec_lo, exec_lo, s23
	v_cmp_lt_i32_e32 vcc_lo, -1, v40
	; wave barrier
	v_cndmask_b32_e64 v38, -1, 0x80000000, vcc_lo
	v_xor_b32_e32 v199, v38, v40
	v_cmp_ne_u32_e32 vcc_lo, 0x7fffffff, v199
	v_cndmask_b32_e32 v38, 0x80000000, v199, vcc_lo
	v_lshrrev_b32_e32 v38, s52, v38
	v_and_b32_e32 v40, s61, v38
	v_and_b32_e32 v38, 1, v40
	v_lshlrev_b32_e32 v202, 30, v40
	v_lshlrev_b32_e32 v203, 29, v40
	;; [unrolled: 1-line block ×4, first 2 shown]
	v_add_co_u32 v38, s23, v38, -1
	v_cndmask_b32_e64 v204, 0, 1, s23
	v_not_b32_e32 v208, v202
	v_cmp_gt_i32_e64 s23, 0, v202
	v_not_b32_e32 v202, v203
	v_lshlrev_b32_e32 v207, 26, v40
	v_cmp_ne_u32_e32 vcc_lo, 0, v204
	v_ashrrev_i32_e32 v208, 31, v208
	v_lshlrev_b32_e32 v204, 25, v40
	v_ashrrev_i32_e32 v202, 31, v202
	v_xor_b32_e32 v38, vcc_lo, v38
	v_cmp_gt_i32_e32 vcc_lo, 0, v203
	v_not_b32_e32 v203, v205
	v_xor_b32_e32 v208, s23, v208
	v_cmp_gt_i32_e64 s23, 0, v205
	v_and_b32_e32 v38, exec_lo, v38
	v_not_b32_e32 v205, v206
	v_ashrrev_i32_e32 v203, 31, v203
	v_xor_b32_e32 v202, vcc_lo, v202
	v_cmp_gt_i32_e32 vcc_lo, 0, v206
	v_and_b32_e32 v38, v38, v208
	v_not_b32_e32 v206, v207
	v_ashrrev_i32_e32 v205, 31, v205
	v_xor_b32_e32 v203, s23, v203
	v_cmp_gt_i32_e64 s23, 0, v207
	v_and_b32_e32 v38, v38, v202
	v_not_b32_e32 v202, v204
	v_ashrrev_i32_e32 v206, 31, v206
	v_xor_b32_e32 v205, vcc_lo, v205
	v_cmp_gt_i32_e32 vcc_lo, 0, v204
	v_and_b32_e32 v38, v38, v203
	v_ashrrev_i32_e32 v202, 31, v202
	v_xor_b32_e32 v203, s23, v206
	v_mad_u32_u24 v204, v40, 36, v131
	v_mul_u32_u24_e32 v40, 36, v40
	v_and_b32_e32 v38, v38, v205
	v_xor_b32_e32 v202, vcc_lo, v202
	v_add_nc_u32_e32 v205, v131, v40
	v_and_b32_e32 v38, v38, v203
	ds_read_b32 v203, v204 offset:544
	; wave barrier
	v_and_b32_e32 v38, v38, v202
	v_mbcnt_lo_u32_b32 v204, v38, 0
	v_cmp_ne_u32_e64 s23, 0, v38
	v_cmp_eq_u32_e32 vcc_lo, 0, v204
	s_and_b32 s24, s23, vcc_lo
	s_and_saveexec_b32 s23, s24
	s_cbranch_execz .LBB1458_462
; %bb.461:                              ;   in Loop: Header=BB1458_398 Depth=2
	s_waitcnt lgkmcnt(0)
	v_bcnt_u32_b32 v38, v38, v203
	ds_write_b32 v205, v38 offset:544
.LBB1458_462:                           ;   in Loop: Header=BB1458_398 Depth=2
	s_or_b32 exec_lo, exec_lo, s23
	v_cmp_lt_i32_e32 vcc_lo, -1, v39
	; wave barrier
	v_cndmask_b32_e64 v38, -1, 0x80000000, vcc_lo
	v_xor_b32_e32 v202, v38, v39
	v_cmp_ne_u32_e32 vcc_lo, 0x7fffffff, v202
	v_cndmask_b32_e32 v38, 0x80000000, v202, vcc_lo
	v_lshrrev_b32_e32 v38, s52, v38
	v_and_b32_e32 v39, s61, v38
	v_and_b32_e32 v38, 1, v39
	v_lshlrev_b32_e32 v40, 30, v39
	v_lshlrev_b32_e32 v206, 29, v39
	;; [unrolled: 1-line block ×4, first 2 shown]
	v_add_co_u32 v38, s23, v38, -1
	v_cndmask_b32_e64 v207, 0, 1, s23
	v_not_b32_e32 v211, v40
	v_cmp_gt_i32_e64 s23, 0, v40
	v_not_b32_e32 v40, v206
	v_lshlrev_b32_e32 v210, 26, v39
	v_cmp_ne_u32_e32 vcc_lo, 0, v207
	v_ashrrev_i32_e32 v211, 31, v211
	v_lshlrev_b32_e32 v207, 25, v39
	v_ashrrev_i32_e32 v40, 31, v40
	v_xor_b32_e32 v38, vcc_lo, v38
	v_cmp_gt_i32_e32 vcc_lo, 0, v206
	v_not_b32_e32 v206, v208
	v_xor_b32_e32 v211, s23, v211
	v_cmp_gt_i32_e64 s23, 0, v208
	v_and_b32_e32 v38, exec_lo, v38
	v_not_b32_e32 v208, v209
	v_ashrrev_i32_e32 v206, 31, v206
	v_xor_b32_e32 v40, vcc_lo, v40
	v_cmp_gt_i32_e32 vcc_lo, 0, v209
	v_and_b32_e32 v38, v38, v211
	v_not_b32_e32 v209, v210
	v_ashrrev_i32_e32 v208, 31, v208
	v_xor_b32_e32 v206, s23, v206
	v_cmp_gt_i32_e64 s23, 0, v210
	v_and_b32_e32 v38, v38, v40
	v_not_b32_e32 v40, v207
	v_ashrrev_i32_e32 v209, 31, v209
	v_xor_b32_e32 v208, vcc_lo, v208
	v_cmp_gt_i32_e32 vcc_lo, 0, v207
	v_and_b32_e32 v38, v38, v206
	v_ashrrev_i32_e32 v40, 31, v40
	v_xor_b32_e32 v206, s23, v209
	v_mad_u32_u24 v207, v39, 36, v131
	v_mul_u32_u24_e32 v39, 36, v39
	v_and_b32_e32 v38, v38, v208
	v_xor_b32_e32 v40, vcc_lo, v40
	ds_read_b32 v207, v207 offset:544
	v_add_nc_u32_e32 v209, v131, v39
	v_and_b32_e32 v38, v38, v206
	; wave barrier
	v_and_b32_e32 v38, v38, v40
	v_mbcnt_lo_u32_b32 v208, v38, 0
	v_cmp_ne_u32_e64 s23, 0, v38
	v_cmp_eq_u32_e32 vcc_lo, 0, v208
	s_and_b32 s24, s23, vcc_lo
	s_and_saveexec_b32 s23, s24
	s_cbranch_execz .LBB1458_464
; %bb.463:                              ;   in Loop: Header=BB1458_398 Depth=2
	s_waitcnt lgkmcnt(0)
	v_bcnt_u32_b32 v38, v38, v207
	ds_write_b32 v209, v38 offset:544
.LBB1458_464:                           ;   in Loop: Header=BB1458_398 Depth=2
	s_or_b32 exec_lo, exec_lo, s23
	v_cmp_lt_i32_e32 vcc_lo, -1, v37
	; wave barrier
	v_cndmask_b32_e64 v38, -1, 0x80000000, vcc_lo
	v_xor_b32_e32 v206, v38, v37
	v_cmp_ne_u32_e32 vcc_lo, 0x7fffffff, v206
	v_cndmask_b32_e32 v37, 0x80000000, v206, vcc_lo
	v_lshrrev_b32_e32 v37, s52, v37
	v_and_b32_e32 v38, s61, v37
	v_and_b32_e32 v37, 1, v38
	v_lshlrev_b32_e32 v39, 30, v38
	v_lshlrev_b32_e32 v40, 29, v38
	;; [unrolled: 1-line block ×4, first 2 shown]
	v_add_co_u32 v37, s23, v37, -1
	v_cndmask_b32_e64 v210, 0, 1, s23
	v_not_b32_e32 v214, v39
	v_cmp_gt_i32_e64 s23, 0, v39
	v_not_b32_e32 v39, v40
	v_lshlrev_b32_e32 v213, 26, v38
	v_cmp_ne_u32_e32 vcc_lo, 0, v210
	v_ashrrev_i32_e32 v214, 31, v214
	v_lshlrev_b32_e32 v210, 25, v38
	v_ashrrev_i32_e32 v39, 31, v39
	v_xor_b32_e32 v37, vcc_lo, v37
	v_cmp_gt_i32_e32 vcc_lo, 0, v40
	v_not_b32_e32 v40, v211
	v_xor_b32_e32 v214, s23, v214
	v_cmp_gt_i32_e64 s23, 0, v211
	v_and_b32_e32 v37, exec_lo, v37
	v_not_b32_e32 v211, v212
	v_ashrrev_i32_e32 v40, 31, v40
	v_xor_b32_e32 v39, vcc_lo, v39
	v_cmp_gt_i32_e32 vcc_lo, 0, v212
	v_and_b32_e32 v37, v37, v214
	v_not_b32_e32 v212, v213
	v_ashrrev_i32_e32 v211, 31, v211
	v_xor_b32_e32 v40, s23, v40
	v_cmp_gt_i32_e64 s23, 0, v213
	v_and_b32_e32 v37, v37, v39
	v_not_b32_e32 v39, v210
	v_ashrrev_i32_e32 v212, 31, v212
	v_xor_b32_e32 v211, vcc_lo, v211
	v_cmp_gt_i32_e32 vcc_lo, 0, v210
	v_and_b32_e32 v37, v37, v40
	v_ashrrev_i32_e32 v39, 31, v39
	v_xor_b32_e32 v40, s23, v212
	v_mad_u32_u24 v210, v38, 36, v131
	v_mul_u32_u24_e32 v38, 36, v38
	v_and_b32_e32 v37, v37, v211
	v_xor_b32_e32 v39, vcc_lo, v39
	ds_read_b32 v210, v210 offset:544
	v_add_nc_u32_e32 v212, v131, v38
	v_and_b32_e32 v37, v37, v40
	; wave barrier
	v_and_b32_e32 v37, v37, v39
	v_mbcnt_lo_u32_b32 v211, v37, 0
	v_cmp_ne_u32_e64 s23, 0, v37
	v_cmp_eq_u32_e32 vcc_lo, 0, v211
	s_and_b32 s24, s23, vcc_lo
	s_and_saveexec_b32 s23, s24
	s_cbranch_execz .LBB1458_466
; %bb.465:                              ;   in Loop: Header=BB1458_398 Depth=2
	s_waitcnt lgkmcnt(0)
	v_bcnt_u32_b32 v37, v37, v210
	ds_write_b32 v212, v37 offset:544
.LBB1458_466:                           ;   in Loop: Header=BB1458_398 Depth=2
	s_or_b32 exec_lo, exec_lo, s23
	; wave barrier
	s_waitcnt lgkmcnt(0)
	s_barrier
	buffer_gl0_inv
	ds_read2_b32 v[39:40], v65 offset0:136 offset1:137
	ds_read2_b32 v[37:38], v65 offset0:138 offset1:139
	ds_read_b32 v213, v65 offset:560
	s_waitcnt lgkmcnt(1)
	v_add3_u32 v214, v40, v39, v37
	s_waitcnt lgkmcnt(0)
	v_add3_u32 v213, v214, v38, v213
	v_mov_b32_dpp v214, v213 row_shr:1 row_mask:0xf bank_mask:0xf
	v_cndmask_b32_e64 v214, v214, 0, s5
	v_add_nc_u32_e32 v213, v214, v213
	v_mov_b32_dpp v214, v213 row_shr:2 row_mask:0xf bank_mask:0xf
	v_cndmask_b32_e64 v214, 0, v214, s16
	v_add_nc_u32_e32 v213, v213, v214
	;; [unrolled: 3-line block ×4, first 2 shown]
	ds_swizzle_b32 v214, v213 offset:swizzle(BROADCAST,32,15)
	s_waitcnt lgkmcnt(0)
	v_cndmask_b32_e64 v214, v214, 0, s19
	v_add_nc_u32_e32 v213, v213, v214
	s_and_saveexec_b32 s23, s4
; %bb.467:                              ;   in Loop: Header=BB1458_398 Depth=2
	ds_write_b32 v60, v213 offset:512
; %bb.468:                              ;   in Loop: Header=BB1458_398 Depth=2
	s_or_b32 exec_lo, exec_lo, s23
	s_waitcnt lgkmcnt(0)
	s_barrier
	buffer_gl0_inv
	s_and_saveexec_b32 s23, s12
	s_cbranch_execz .LBB1458_470
; %bb.469:                              ;   in Loop: Header=BB1458_398 Depth=2
	ds_read_b32 v214, v66 offset:512
	s_waitcnt lgkmcnt(0)
	v_mov_b32_dpp v215, v214 row_shr:1 row_mask:0xf bank_mask:0xf
	v_cndmask_b32_e64 v215, v215, 0, s20
	v_add_nc_u32_e32 v214, v215, v214
	v_mov_b32_dpp v215, v214 row_shr:2 row_mask:0xf bank_mask:0xf
	v_cndmask_b32_e64 v215, 0, v215, s21
	v_add_nc_u32_e32 v214, v214, v215
	;; [unrolled: 3-line block ×3, first 2 shown]
	ds_write_b32 v66, v214 offset:512
.LBB1458_470:                           ;   in Loop: Header=BB1458_398 Depth=2
	s_or_b32 exec_lo, exec_lo, s23
	v_mov_b32_e32 v214, 0
	s_waitcnt lgkmcnt(0)
	s_barrier
	buffer_gl0_inv
	s_and_saveexec_b32 s23, s11
; %bb.471:                              ;   in Loop: Header=BB1458_398 Depth=2
	ds_read_b32 v214, v60 offset:508
; %bb.472:                              ;   in Loop: Header=BB1458_398 Depth=2
	s_or_b32 exec_lo, exec_lo, s23
	s_waitcnt lgkmcnt(0)
	v_add_nc_u32_e32 v213, v214, v213
	ds_bpermute_b32 v213, v126, v213
	s_waitcnt lgkmcnt(0)
	v_cndmask_b32_e64 v213, v213, v214, s15
	v_cndmask_b32_e64 v213, v213, 0, s13
	v_add_nc_u32_e32 v39, v213, v39
	v_add_nc_u32_e32 v40, v39, v40
	;; [unrolled: 1-line block ×4, first 2 shown]
	ds_write2_b32 v65, v213, v39 offset0:136 offset1:137
	ds_write2_b32 v65, v40, v37 offset0:138 offset1:139
	ds_write_b32 v65, v38 offset:560
	s_waitcnt lgkmcnt(0)
	s_barrier
	buffer_gl0_inv
	ds_read_b32 v39, v153 offset:544
	ds_read_b32 v40, v157 offset:544
	;; [unrolled: 1-line block ×16, first 2 shown]
	s_and_saveexec_b32 s23, s8
	s_cbranch_execz .LBB1458_476
; %bb.473:                              ;   in Loop: Header=BB1458_398 Depth=2
	ds_read_b32 v144, v68 offset:544
	v_mov_b32_e32 v149, 0x1000
	s_and_saveexec_b32 s24, s14
; %bb.474:                              ;   in Loop: Header=BB1458_398 Depth=2
	ds_read_b32 v149, v67 offset:544
; %bb.475:                              ;   in Loop: Header=BB1458_398 Depth=2
	s_or_b32 exec_lo, exec_lo, s24
	s_waitcnt lgkmcnt(0)
	v_sub_nc_u32_e32 v149, v149, v144
.LBB1458_476:                           ;   in Loop: Header=BB1458_398 Depth=2
	s_or_b32 exec_lo, exec_lo, s23
	s_waitcnt lgkmcnt(0)
	s_barrier
	buffer_gl0_inv
	s_and_saveexec_b32 s23, s8
	s_cbranch_execz .LBB1458_478
; %bb.477:                              ;   in Loop: Header=BB1458_398 Depth=2
	ds_read_b32 v164, v41
	s_waitcnt lgkmcnt(0)
	v_sub_nc_u32_e32 v164, v164, v144
	ds_write_b32 v41, v164
.LBB1458_478:                           ;   in Loop: Header=BB1458_398 Depth=2
	s_or_b32 exec_lo, exec_lo, s23
	v_add_nc_u32_e32 v171, v39, v152
	v_add3_u32 v167, v156, v155, v40
	v_add3_u32 v166, v160, v159, v153
	;; [unrolled: 1-line block ×5, first 2 shown]
	v_lshlrev_b32_e32 v169, 2, v171
	v_add3_u32 v155, v204, v203, v37
	v_lshlrev_b32_e32 v37, 2, v167
	v_add3_u32 v161, v180, v179, v182
	v_add3_u32 v160, v184, v183, v185
	ds_write_b32 v169, v3 offset:512
	v_lshlrev_b32_e32 v3, 2, v166
	ds_write_b32 v37, v151 offset:512
	v_lshlrev_b32_e32 v37, 2, v163
	v_add3_u32 v159, v187, v186, v188
	v_add3_u32 v153, v208, v207, v38
	v_lshlrev_b32_e32 v38, 2, v165
	v_add3_u32 v157, v190, v189, v191
	v_lshlrev_b32_e32 v169, 2, v164
	v_add3_u32 v156, v194, v193, v195
	v_add3_u32 v40, v198, v197, v214
	ds_write_b32 v3, v154 offset:512
	ds_write_b32 v38, v158 offset:512
	;; [unrolled: 1-line block ×3, first 2 shown]
	v_lshlrev_b32_e32 v3, 2, v161
	ds_write_b32 v37, v168 offset:512
	v_lshlrev_b32_e32 v37, 2, v160
	v_lshlrev_b32_e32 v38, 2, v159
	;; [unrolled: 1-line block ×3, first 2 shown]
	v_add3_u32 v39, v201, v200, v215
	v_add3_u32 v152, v211, v210, v177
	ds_write_b32 v3, v173 offset:512
	v_lshlrev_b32_e32 v3, 2, v156
	ds_write_b32 v37, v178 offset:512
	ds_write_b32 v38, v181 offset:512
	;; [unrolled: 1-line block ×3, first 2 shown]
	v_lshlrev_b32_e32 v37, 2, v40
	v_cmp_lt_u32_e32 vcc_lo, v0, v150
	v_lshlrev_b32_e32 v38, 2, v155
	ds_write_b32 v3, v172 offset:512
	v_lshlrev_b32_e32 v3, 2, v39
	ds_write_b32 v37, v192 offset:512
	v_lshlrev_b32_e32 v37, 2, v152
	v_lshlrev_b32_e32 v151, 2, v153
	ds_write_b32 v3, v196 offset:512
	ds_write_b32 v38, v199 offset:512
	;; [unrolled: 1-line block ×4, first 2 shown]
	s_waitcnt lgkmcnt(0)
	s_barrier
	buffer_gl0_inv
	s_and_saveexec_b32 s24, vcc_lo
	s_cbranch_execnz .LBB1458_547
; %bb.479:                              ;   in Loop: Header=BB1458_398 Depth=2
	s_or_b32 exec_lo, exec_lo, s24
	v_cmp_lt_u32_e64 s23, v42, v150
	s_and_saveexec_b32 s25, s23
	s_cbranch_execnz .LBB1458_548
.LBB1458_480:                           ;   in Loop: Header=BB1458_398 Depth=2
	s_or_b32 exec_lo, exec_lo, s25
	v_cmp_lt_u32_e64 s24, v45, v150
	s_and_saveexec_b32 s26, s24
	s_cbranch_execnz .LBB1458_549
.LBB1458_481:                           ;   in Loop: Header=BB1458_398 Depth=2
	s_or_b32 exec_lo, exec_lo, s26
	v_cmp_lt_u32_e64 s25, v46, v150
	s_and_saveexec_b32 s27, s25
	s_cbranch_execnz .LBB1458_550
.LBB1458_482:                           ;   in Loop: Header=BB1458_398 Depth=2
	s_or_b32 exec_lo, exec_lo, s27
	v_cmp_lt_u32_e64 s26, v47, v150
	s_and_saveexec_b32 s28, s26
	s_cbranch_execnz .LBB1458_551
.LBB1458_483:                           ;   in Loop: Header=BB1458_398 Depth=2
	s_or_b32 exec_lo, exec_lo, s28
	v_cmp_lt_u32_e64 s27, v48, v150
	s_and_saveexec_b32 s29, s27
	s_cbranch_execnz .LBB1458_552
.LBB1458_484:                           ;   in Loop: Header=BB1458_398 Depth=2
	s_or_b32 exec_lo, exec_lo, s29
	v_cmp_lt_u32_e64 s28, v49, v150
	s_and_saveexec_b32 s30, s28
	s_cbranch_execnz .LBB1458_553
.LBB1458_485:                           ;   in Loop: Header=BB1458_398 Depth=2
	s_or_b32 exec_lo, exec_lo, s30
	v_cmp_lt_u32_e64 s29, v50, v150
	s_and_saveexec_b32 s31, s29
	s_cbranch_execnz .LBB1458_554
.LBB1458_486:                           ;   in Loop: Header=BB1458_398 Depth=2
	s_or_b32 exec_lo, exec_lo, s31
	v_cmp_lt_u32_e64 s30, v51, v150
	s_and_saveexec_b32 s33, s30
	s_cbranch_execnz .LBB1458_555
.LBB1458_487:                           ;   in Loop: Header=BB1458_398 Depth=2
	s_or_b32 exec_lo, exec_lo, s33
	v_cmp_lt_u32_e64 s31, v52, v150
	s_and_saveexec_b32 s34, s31
	s_cbranch_execnz .LBB1458_556
.LBB1458_488:                           ;   in Loop: Header=BB1458_398 Depth=2
	s_or_b32 exec_lo, exec_lo, s34
	v_cmp_lt_u32_e64 s33, v53, v150
	s_and_saveexec_b32 s35, s33
	s_cbranch_execnz .LBB1458_557
.LBB1458_489:                           ;   in Loop: Header=BB1458_398 Depth=2
	s_or_b32 exec_lo, exec_lo, s35
	v_cmp_lt_u32_e64 s34, v54, v150
	s_and_saveexec_b32 s36, s34
	s_cbranch_execnz .LBB1458_558
.LBB1458_490:                           ;   in Loop: Header=BB1458_398 Depth=2
	s_or_b32 exec_lo, exec_lo, s36
	v_cmp_lt_u32_e64 s35, v55, v150
	s_and_saveexec_b32 s37, s35
	s_cbranch_execnz .LBB1458_559
.LBB1458_491:                           ;   in Loop: Header=BB1458_398 Depth=2
	s_or_b32 exec_lo, exec_lo, s37
	v_cmp_lt_u32_e64 s36, v56, v150
	s_and_saveexec_b32 s38, s36
	s_cbranch_execnz .LBB1458_560
.LBB1458_492:                           ;   in Loop: Header=BB1458_398 Depth=2
	s_or_b32 exec_lo, exec_lo, s38
	v_cmp_lt_u32_e64 s37, v57, v150
	s_and_saveexec_b32 s39, s37
	s_cbranch_execnz .LBB1458_561
.LBB1458_493:                           ;   in Loop: Header=BB1458_398 Depth=2
	s_or_b32 exec_lo, exec_lo, s39
	v_cmp_lt_u32_e64 s38, v58, v150
	s_and_saveexec_b32 s64, s38
	s_cbranch_execz .LBB1458_495
.LBB1458_494:                           ;   in Loop: Header=BB1458_398 Depth=2
	ds_read_b32 v151, v66 offset:15872
	s_waitcnt lgkmcnt(0)
	v_cmp_ne_u32_e64 s39, 0x7fffffff, v151
	v_cndmask_b32_e64 v3, 0x80000000, v151, s39
	v_cmp_lt_i32_e64 s39, -1, v151
	v_lshrrev_b32_e32 v3, s52, v3
	v_cndmask_b32_e64 v154, 0x80000000, -1, s39
	v_and_b32_e32 v3, s61, v3
	v_lshlrev_b32_e32 v3, 2, v3
	ds_read_b32 v3, v3
	s_waitcnt lgkmcnt(0)
	v_add_nc_u32_e32 v3, v3, v58
	v_lshlrev_b64 v[37:38], 2, v[3:4]
	v_xor_b32_e32 v3, v154, v151
	v_add_co_u32 v37, s39, s44, v37
	v_add_co_ci_u32_e64 v38, null, s45, v38, s39
	global_store_dword v[37:38], v3, off
.LBB1458_495:                           ;   in Loop: Header=BB1458_398 Depth=2
	s_or_b32 exec_lo, exec_lo, s64
	s_lshl_b64 s[64:65], s[46:47], 3
	v_add_co_u32 v37, s39, v127, s64
	v_add_co_ci_u32_e64 v38, null, s65, v128, s39
	v_cmp_lt_u32_e64 s39, v105, v150
	s_and_saveexec_b32 s46, s39
	s_xor_b32 s39, exec_lo, s46
	s_cbranch_execnz .LBB1458_562
; %bb.496:                              ;   in Loop: Header=BB1458_398 Depth=2
	s_or_b32 exec_lo, exec_lo, s39
	s_mov_b32 s46, exec_lo
	v_cmpx_lt_u32_e64 v108, v150
	s_cbranch_execnz .LBB1458_563
.LBB1458_497:                           ;   in Loop: Header=BB1458_398 Depth=2
	s_or_b32 exec_lo, exec_lo, s46
	s_mov_b32 s46, exec_lo
	v_cmpx_lt_u32_e64 v109, v150
	s_cbranch_execnz .LBB1458_564
.LBB1458_498:                           ;   in Loop: Header=BB1458_398 Depth=2
	s_or_b32 exec_lo, exec_lo, s46
	s_mov_b32 s46, exec_lo
	v_cmpx_lt_u32_e64 v110, v150
	s_cbranch_execnz .LBB1458_565
.LBB1458_499:                           ;   in Loop: Header=BB1458_398 Depth=2
	s_or_b32 exec_lo, exec_lo, s46
	s_mov_b32 s46, exec_lo
	v_cmpx_lt_u32_e64 v111, v150
	s_cbranch_execnz .LBB1458_566
.LBB1458_500:                           ;   in Loop: Header=BB1458_398 Depth=2
	s_or_b32 exec_lo, exec_lo, s46
	s_mov_b32 s46, exec_lo
	v_cmpx_lt_u32_e64 v112, v150
	s_cbranch_execnz .LBB1458_567
.LBB1458_501:                           ;   in Loop: Header=BB1458_398 Depth=2
	s_or_b32 exec_lo, exec_lo, s46
	s_mov_b32 s46, exec_lo
	v_cmpx_lt_u32_e64 v113, v150
	s_cbranch_execnz .LBB1458_568
.LBB1458_502:                           ;   in Loop: Header=BB1458_398 Depth=2
	s_or_b32 exec_lo, exec_lo, s46
	s_mov_b32 s46, exec_lo
	v_cmpx_lt_u32_e64 v114, v150
	s_cbranch_execnz .LBB1458_569
.LBB1458_503:                           ;   in Loop: Header=BB1458_398 Depth=2
	s_or_b32 exec_lo, exec_lo, s46
	s_mov_b32 s46, exec_lo
	v_cmpx_lt_u32_e64 v115, v150
	s_cbranch_execnz .LBB1458_570
.LBB1458_504:                           ;   in Loop: Header=BB1458_398 Depth=2
	s_or_b32 exec_lo, exec_lo, s46
	s_mov_b32 s46, exec_lo
	v_cmpx_lt_u32_e64 v116, v150
	s_cbranch_execnz .LBB1458_571
.LBB1458_505:                           ;   in Loop: Header=BB1458_398 Depth=2
	s_or_b32 exec_lo, exec_lo, s46
	s_mov_b32 s46, exec_lo
	v_cmpx_lt_u32_e64 v117, v150
	s_cbranch_execnz .LBB1458_572
.LBB1458_506:                           ;   in Loop: Header=BB1458_398 Depth=2
	s_or_b32 exec_lo, exec_lo, s46
	s_mov_b32 s46, exec_lo
	v_cmpx_lt_u32_e64 v118, v150
	s_cbranch_execnz .LBB1458_573
.LBB1458_507:                           ;   in Loop: Header=BB1458_398 Depth=2
	s_or_b32 exec_lo, exec_lo, s46
	s_mov_b32 s46, exec_lo
	v_cmpx_lt_u32_e64 v119, v150
	s_cbranch_execnz .LBB1458_574
.LBB1458_508:                           ;   in Loop: Header=BB1458_398 Depth=2
	s_or_b32 exec_lo, exec_lo, s46
	s_mov_b32 s46, exec_lo
	v_cmpx_lt_u32_e64 v121, v150
	s_cbranch_execnz .LBB1458_575
.LBB1458_509:                           ;   in Loop: Header=BB1458_398 Depth=2
	s_or_b32 exec_lo, exec_lo, s46
	s_mov_b32 s46, exec_lo
	v_cmpx_lt_u32_e64 v122, v150
	s_cbranch_execnz .LBB1458_576
.LBB1458_510:                           ;   in Loop: Header=BB1458_398 Depth=2
	s_or_b32 exec_lo, exec_lo, s46
	s_mov_b32 s46, exec_lo
	v_cmpx_lt_u32_e64 v123, v150
	s_cbranch_execnz .LBB1458_577
.LBB1458_511:                           ;   in Loop: Header=BB1458_398 Depth=2
	s_or_b32 exec_lo, exec_lo, s46
	s_and_saveexec_b32 s46, vcc_lo
	s_cbranch_execnz .LBB1458_578
.LBB1458_512:                           ;   in Loop: Header=BB1458_398 Depth=2
	s_or_b32 exec_lo, exec_lo, s46
	s_and_saveexec_b32 s46, s23
	s_cbranch_execnz .LBB1458_579
.LBB1458_513:                           ;   in Loop: Header=BB1458_398 Depth=2
	s_or_b32 exec_lo, exec_lo, s46
	s_and_saveexec_b32 s46, s24
	s_cbranch_execnz .LBB1458_580
.LBB1458_514:                           ;   in Loop: Header=BB1458_398 Depth=2
	s_or_b32 exec_lo, exec_lo, s46
	s_and_saveexec_b32 s46, s25
	s_cbranch_execnz .LBB1458_581
.LBB1458_515:                           ;   in Loop: Header=BB1458_398 Depth=2
	s_or_b32 exec_lo, exec_lo, s46
	s_and_saveexec_b32 s46, s26
	s_cbranch_execnz .LBB1458_582
.LBB1458_516:                           ;   in Loop: Header=BB1458_398 Depth=2
	s_or_b32 exec_lo, exec_lo, s46
	s_and_saveexec_b32 s46, s27
	s_cbranch_execnz .LBB1458_583
.LBB1458_517:                           ;   in Loop: Header=BB1458_398 Depth=2
	s_or_b32 exec_lo, exec_lo, s46
	s_and_saveexec_b32 s46, s28
	s_cbranch_execnz .LBB1458_584
.LBB1458_518:                           ;   in Loop: Header=BB1458_398 Depth=2
	s_or_b32 exec_lo, exec_lo, s46
	s_and_saveexec_b32 s46, s29
	s_cbranch_execnz .LBB1458_585
.LBB1458_519:                           ;   in Loop: Header=BB1458_398 Depth=2
	s_or_b32 exec_lo, exec_lo, s46
	s_and_saveexec_b32 s46, s30
	s_cbranch_execnz .LBB1458_586
.LBB1458_520:                           ;   in Loop: Header=BB1458_398 Depth=2
	s_or_b32 exec_lo, exec_lo, s46
	s_and_saveexec_b32 s46, s31
	s_cbranch_execnz .LBB1458_587
.LBB1458_521:                           ;   in Loop: Header=BB1458_398 Depth=2
	s_or_b32 exec_lo, exec_lo, s46
	s_and_saveexec_b32 s46, s33
	s_cbranch_execnz .LBB1458_588
.LBB1458_522:                           ;   in Loop: Header=BB1458_398 Depth=2
	s_or_b32 exec_lo, exec_lo, s46
	s_and_saveexec_b32 s46, s34
	s_cbranch_execnz .LBB1458_589
.LBB1458_523:                           ;   in Loop: Header=BB1458_398 Depth=2
	s_or_b32 exec_lo, exec_lo, s46
	s_and_saveexec_b32 s46, s35
	s_cbranch_execnz .LBB1458_590
.LBB1458_524:                           ;   in Loop: Header=BB1458_398 Depth=2
	s_or_b32 exec_lo, exec_lo, s46
	s_and_saveexec_b32 s46, s36
	s_cbranch_execnz .LBB1458_591
.LBB1458_525:                           ;   in Loop: Header=BB1458_398 Depth=2
	s_or_b32 exec_lo, exec_lo, s46
	s_and_saveexec_b32 s46, s37
	s_cbranch_execnz .LBB1458_592
.LBB1458_526:                           ;   in Loop: Header=BB1458_398 Depth=2
	s_or_b32 exec_lo, exec_lo, s46
	s_and_saveexec_b32 s46, s38
	s_cbranch_execz .LBB1458_528
.LBB1458_527:                           ;   in Loop: Header=BB1458_398 Depth=2
	ds_read_b32 v3, v66 offset:15872
	s_waitcnt lgkmcnt(0)
	v_cmp_ne_u32_e64 s39, 0x7fffffff, v3
	v_cndmask_b32_e64 v3, 0x80000000, v3, s39
	v_lshrrev_b32_e32 v3, s52, v3
	v_and_b32_e32 v132, s61, v3
.LBB1458_528:                           ;   in Loop: Header=BB1458_398 Depth=2
	s_or_b32 exec_lo, exec_lo, s46
	v_lshlrev_b32_e32 v3, 3, v171
	v_lshlrev_b32_e32 v37, 3, v167
	s_waitcnt vmcnt(0)
	s_waitcnt_vscnt null, 0x0
	s_barrier
	buffer_gl0_inv
	ds_write_b64 v3, v[35:36] offset:512
	v_lshlrev_b32_e32 v3, 3, v166
	v_lshlrev_b32_e32 v38, 3, v165
	;; [unrolled: 1-line block ×4, first 2 shown]
	ds_write_b64 v37, v[33:34] offset:512
	ds_write_b64 v3, v[31:32] offset:512
	;; [unrolled: 1-line block ×5, first 2 shown]
	v_lshlrev_b32_e32 v3, 3, v161
	v_lshlrev_b32_e32 v37, 3, v160
	;; [unrolled: 1-line block ×5, first 2 shown]
	ds_write_b64 v3, v[19:20] offset:512
	ds_write_b64 v37, v[15:16] offset:512
	;; [unrolled: 1-line block ×5, first 2 shown]
	v_lshlrev_b32_e32 v3, 3, v40
	v_lshlrev_b32_e32 v37, 3, v39
	;; [unrolled: 1-line block ×5, first 2 shown]
	ds_write_b64 v3, v[13:14] offset:512
	ds_write_b64 v37, v[11:12] offset:512
	;; [unrolled: 1-line block ×5, first 2 shown]
	s_waitcnt lgkmcnt(0)
	s_barrier
	buffer_gl0_inv
	s_and_saveexec_b32 s39, vcc_lo
	s_cbranch_execnz .LBB1458_593
; %bb.529:                              ;   in Loop: Header=BB1458_398 Depth=2
	s_or_b32 exec_lo, exec_lo, s39
	s_and_saveexec_b32 s39, s23
	s_cbranch_execnz .LBB1458_594
.LBB1458_530:                           ;   in Loop: Header=BB1458_398 Depth=2
	s_or_b32 exec_lo, exec_lo, s39
	s_and_saveexec_b32 s23, s24
	s_cbranch_execnz .LBB1458_595
.LBB1458_531:                           ;   in Loop: Header=BB1458_398 Depth=2
	s_or_b32 exec_lo, exec_lo, s23
	s_and_saveexec_b32 s23, s25
	s_cbranch_execnz .LBB1458_596
.LBB1458_532:                           ;   in Loop: Header=BB1458_398 Depth=2
	s_or_b32 exec_lo, exec_lo, s23
	s_and_saveexec_b32 s23, s26
	s_cbranch_execnz .LBB1458_597
.LBB1458_533:                           ;   in Loop: Header=BB1458_398 Depth=2
	s_or_b32 exec_lo, exec_lo, s23
	s_and_saveexec_b32 s23, s27
	s_cbranch_execnz .LBB1458_598
.LBB1458_534:                           ;   in Loop: Header=BB1458_398 Depth=2
	s_or_b32 exec_lo, exec_lo, s23
	s_and_saveexec_b32 s23, s28
	s_cbranch_execnz .LBB1458_599
.LBB1458_535:                           ;   in Loop: Header=BB1458_398 Depth=2
	s_or_b32 exec_lo, exec_lo, s23
	s_and_saveexec_b32 s23, s29
	s_cbranch_execnz .LBB1458_600
.LBB1458_536:                           ;   in Loop: Header=BB1458_398 Depth=2
	s_or_b32 exec_lo, exec_lo, s23
	s_and_saveexec_b32 s23, s30
	s_cbranch_execnz .LBB1458_601
.LBB1458_537:                           ;   in Loop: Header=BB1458_398 Depth=2
	s_or_b32 exec_lo, exec_lo, s23
	s_and_saveexec_b32 s23, s31
	s_cbranch_execnz .LBB1458_602
.LBB1458_538:                           ;   in Loop: Header=BB1458_398 Depth=2
	s_or_b32 exec_lo, exec_lo, s23
	s_and_saveexec_b32 s23, s33
	s_cbranch_execnz .LBB1458_603
.LBB1458_539:                           ;   in Loop: Header=BB1458_398 Depth=2
	s_or_b32 exec_lo, exec_lo, s23
	s_and_saveexec_b32 s23, s34
	s_cbranch_execnz .LBB1458_604
.LBB1458_540:                           ;   in Loop: Header=BB1458_398 Depth=2
	s_or_b32 exec_lo, exec_lo, s23
	s_and_saveexec_b32 s23, s35
	s_cbranch_execnz .LBB1458_605
.LBB1458_541:                           ;   in Loop: Header=BB1458_398 Depth=2
	s_or_b32 exec_lo, exec_lo, s23
	s_and_saveexec_b32 s23, s36
	s_cbranch_execnz .LBB1458_606
.LBB1458_542:                           ;   in Loop: Header=BB1458_398 Depth=2
	s_or_b32 exec_lo, exec_lo, s23
	s_and_saveexec_b32 s23, s37
	s_cbranch_execnz .LBB1458_607
.LBB1458_543:                           ;   in Loop: Header=BB1458_398 Depth=2
	s_or_b32 exec_lo, exec_lo, s23
	s_and_saveexec_b32 s23, s38
	s_cbranch_execz .LBB1458_545
.LBB1458_544:                           ;   in Loop: Header=BB1458_398 Depth=2
	v_lshlrev_b32_e32 v3, 2, v132
	v_add_nc_u32_e32 v37, v66, v41
	ds_read_b32 v3, v3
	ds_read_b64 v[37:38], v37 offset:31232
	s_waitcnt lgkmcnt(1)
	v_add_nc_u32_e32 v3, v3, v58
	v_lshlrev_b64 v[39:40], 3, v[3:4]
	v_add_co_u32 v39, vcc_lo, s50, v39
	v_add_co_ci_u32_e64 v40, null, s51, v40, vcc_lo
	s_waitcnt lgkmcnt(0)
	global_store_dwordx2 v[39:40], v[37:38], off
.LBB1458_545:                           ;   in Loop: Header=BB1458_398 Depth=2
	s_or_b32 exec_lo, exec_lo, s23
	s_waitcnt_vscnt null, 0x0
	s_barrier
	buffer_gl0_inv
	s_and_saveexec_b32 s23, s8
	s_cbranch_execz .LBB1458_397
; %bb.546:                              ;   in Loop: Header=BB1458_398 Depth=2
	ds_read_b32 v3, v41
	s_waitcnt lgkmcnt(0)
	v_add3_u32 v3, v144, v149, v3
	ds_write_b32 v41, v3
	s_branch .LBB1458_397
.LBB1458_547:                           ;   in Loop: Header=BB1458_398 Depth=2
	ds_read_b32 v151, v66 offset:512
	s_waitcnt lgkmcnt(0)
	v_cmp_ne_u32_e64 s23, 0x7fffffff, v151
	v_cndmask_b32_e64 v3, 0x80000000, v151, s23
	v_cmp_lt_i32_e64 s23, -1, v151
	v_lshrrev_b32_e32 v3, s52, v3
	v_cndmask_b32_e64 v154, 0x80000000, -1, s23
	v_and_b32_e32 v3, s61, v3
	v_lshlrev_b32_e32 v3, 2, v3
	ds_read_b32 v3, v3
	s_waitcnt lgkmcnt(0)
	v_add_nc_u32_e32 v3, v3, v0
	v_lshlrev_b64 v[37:38], 2, v[3:4]
	v_xor_b32_e32 v3, v154, v151
	v_add_co_u32 v37, s23, s44, v37
	v_add_co_ci_u32_e64 v38, null, s45, v38, s23
	global_store_dword v[37:38], v3, off
	s_or_b32 exec_lo, exec_lo, s24
	v_cmp_lt_u32_e64 s23, v42, v150
	s_and_saveexec_b32 s25, s23
	s_cbranch_execz .LBB1458_480
.LBB1458_548:                           ;   in Loop: Header=BB1458_398 Depth=2
	ds_read_b32 v151, v66 offset:1536
	s_waitcnt lgkmcnt(0)
	v_cmp_ne_u32_e64 s24, 0x7fffffff, v151
	v_cndmask_b32_e64 v3, 0x80000000, v151, s24
	v_cmp_lt_i32_e64 s24, -1, v151
	v_lshrrev_b32_e32 v3, s52, v3
	v_cndmask_b32_e64 v154, 0x80000000, -1, s24
	v_and_b32_e32 v3, s61, v3
	v_lshlrev_b32_e32 v3, 2, v3
	ds_read_b32 v3, v3
	s_waitcnt lgkmcnt(0)
	v_add_nc_u32_e32 v3, v3, v42
	v_lshlrev_b64 v[37:38], 2, v[3:4]
	v_xor_b32_e32 v3, v154, v151
	v_add_co_u32 v37, s24, s44, v37
	v_add_co_ci_u32_e64 v38, null, s45, v38, s24
	global_store_dword v[37:38], v3, off
	s_or_b32 exec_lo, exec_lo, s25
	v_cmp_lt_u32_e64 s24, v45, v150
	s_and_saveexec_b32 s26, s24
	s_cbranch_execz .LBB1458_481
.LBB1458_549:                           ;   in Loop: Header=BB1458_398 Depth=2
	ds_read_b32 v151, v66 offset:2560
	s_waitcnt lgkmcnt(0)
	v_cmp_ne_u32_e64 s25, 0x7fffffff, v151
	v_cndmask_b32_e64 v3, 0x80000000, v151, s25
	v_cmp_lt_i32_e64 s25, -1, v151
	v_lshrrev_b32_e32 v3, s52, v3
	v_cndmask_b32_e64 v154, 0x80000000, -1, s25
	v_and_b32_e32 v3, s61, v3
	v_lshlrev_b32_e32 v3, 2, v3
	ds_read_b32 v3, v3
	s_waitcnt lgkmcnt(0)
	v_add_nc_u32_e32 v3, v3, v45
	v_lshlrev_b64 v[37:38], 2, v[3:4]
	v_xor_b32_e32 v3, v154, v151
	v_add_co_u32 v37, s25, s44, v37
	v_add_co_ci_u32_e64 v38, null, s45, v38, s25
	global_store_dword v[37:38], v3, off
	s_or_b32 exec_lo, exec_lo, s26
	v_cmp_lt_u32_e64 s25, v46, v150
	s_and_saveexec_b32 s27, s25
	s_cbranch_execz .LBB1458_482
.LBB1458_550:                           ;   in Loop: Header=BB1458_398 Depth=2
	ds_read_b32 v151, v66 offset:3584
	s_waitcnt lgkmcnt(0)
	v_cmp_ne_u32_e64 s26, 0x7fffffff, v151
	v_cndmask_b32_e64 v3, 0x80000000, v151, s26
	v_cmp_lt_i32_e64 s26, -1, v151
	v_lshrrev_b32_e32 v3, s52, v3
	v_cndmask_b32_e64 v154, 0x80000000, -1, s26
	v_and_b32_e32 v3, s61, v3
	v_lshlrev_b32_e32 v3, 2, v3
	ds_read_b32 v3, v3
	s_waitcnt lgkmcnt(0)
	v_add_nc_u32_e32 v3, v3, v46
	v_lshlrev_b64 v[37:38], 2, v[3:4]
	v_xor_b32_e32 v3, v154, v151
	v_add_co_u32 v37, s26, s44, v37
	v_add_co_ci_u32_e64 v38, null, s45, v38, s26
	global_store_dword v[37:38], v3, off
	s_or_b32 exec_lo, exec_lo, s27
	v_cmp_lt_u32_e64 s26, v47, v150
	s_and_saveexec_b32 s28, s26
	s_cbranch_execz .LBB1458_483
.LBB1458_551:                           ;   in Loop: Header=BB1458_398 Depth=2
	ds_read_b32 v151, v66 offset:4608
	s_waitcnt lgkmcnt(0)
	v_cmp_ne_u32_e64 s27, 0x7fffffff, v151
	v_cndmask_b32_e64 v3, 0x80000000, v151, s27
	v_cmp_lt_i32_e64 s27, -1, v151
	v_lshrrev_b32_e32 v3, s52, v3
	v_cndmask_b32_e64 v154, 0x80000000, -1, s27
	v_and_b32_e32 v3, s61, v3
	v_lshlrev_b32_e32 v3, 2, v3
	ds_read_b32 v3, v3
	s_waitcnt lgkmcnt(0)
	v_add_nc_u32_e32 v3, v3, v47
	v_lshlrev_b64 v[37:38], 2, v[3:4]
	v_xor_b32_e32 v3, v154, v151
	v_add_co_u32 v37, s27, s44, v37
	v_add_co_ci_u32_e64 v38, null, s45, v38, s27
	global_store_dword v[37:38], v3, off
	s_or_b32 exec_lo, exec_lo, s28
	v_cmp_lt_u32_e64 s27, v48, v150
	s_and_saveexec_b32 s29, s27
	s_cbranch_execz .LBB1458_484
.LBB1458_552:                           ;   in Loop: Header=BB1458_398 Depth=2
	ds_read_b32 v151, v66 offset:5632
	s_waitcnt lgkmcnt(0)
	v_cmp_ne_u32_e64 s28, 0x7fffffff, v151
	v_cndmask_b32_e64 v3, 0x80000000, v151, s28
	v_cmp_lt_i32_e64 s28, -1, v151
	v_lshrrev_b32_e32 v3, s52, v3
	v_cndmask_b32_e64 v154, 0x80000000, -1, s28
	v_and_b32_e32 v3, s61, v3
	v_lshlrev_b32_e32 v3, 2, v3
	ds_read_b32 v3, v3
	s_waitcnt lgkmcnt(0)
	v_add_nc_u32_e32 v3, v3, v48
	v_lshlrev_b64 v[37:38], 2, v[3:4]
	v_xor_b32_e32 v3, v154, v151
	v_add_co_u32 v37, s28, s44, v37
	v_add_co_ci_u32_e64 v38, null, s45, v38, s28
	global_store_dword v[37:38], v3, off
	s_or_b32 exec_lo, exec_lo, s29
	v_cmp_lt_u32_e64 s28, v49, v150
	s_and_saveexec_b32 s30, s28
	s_cbranch_execz .LBB1458_485
.LBB1458_553:                           ;   in Loop: Header=BB1458_398 Depth=2
	ds_read_b32 v151, v66 offset:6656
	s_waitcnt lgkmcnt(0)
	v_cmp_ne_u32_e64 s29, 0x7fffffff, v151
	v_cndmask_b32_e64 v3, 0x80000000, v151, s29
	v_cmp_lt_i32_e64 s29, -1, v151
	v_lshrrev_b32_e32 v3, s52, v3
	v_cndmask_b32_e64 v154, 0x80000000, -1, s29
	v_and_b32_e32 v3, s61, v3
	v_lshlrev_b32_e32 v3, 2, v3
	ds_read_b32 v3, v3
	s_waitcnt lgkmcnt(0)
	v_add_nc_u32_e32 v3, v3, v49
	v_lshlrev_b64 v[37:38], 2, v[3:4]
	v_xor_b32_e32 v3, v154, v151
	v_add_co_u32 v37, s29, s44, v37
	v_add_co_ci_u32_e64 v38, null, s45, v38, s29
	global_store_dword v[37:38], v3, off
	s_or_b32 exec_lo, exec_lo, s30
	v_cmp_lt_u32_e64 s29, v50, v150
	s_and_saveexec_b32 s31, s29
	s_cbranch_execz .LBB1458_486
.LBB1458_554:                           ;   in Loop: Header=BB1458_398 Depth=2
	ds_read_b32 v151, v66 offset:7680
	s_waitcnt lgkmcnt(0)
	v_cmp_ne_u32_e64 s30, 0x7fffffff, v151
	v_cndmask_b32_e64 v3, 0x80000000, v151, s30
	v_cmp_lt_i32_e64 s30, -1, v151
	v_lshrrev_b32_e32 v3, s52, v3
	v_cndmask_b32_e64 v154, 0x80000000, -1, s30
	v_and_b32_e32 v3, s61, v3
	v_lshlrev_b32_e32 v3, 2, v3
	ds_read_b32 v3, v3
	s_waitcnt lgkmcnt(0)
	v_add_nc_u32_e32 v3, v3, v50
	v_lshlrev_b64 v[37:38], 2, v[3:4]
	v_xor_b32_e32 v3, v154, v151
	v_add_co_u32 v37, s30, s44, v37
	v_add_co_ci_u32_e64 v38, null, s45, v38, s30
	global_store_dword v[37:38], v3, off
	s_or_b32 exec_lo, exec_lo, s31
	v_cmp_lt_u32_e64 s30, v51, v150
	s_and_saveexec_b32 s33, s30
	s_cbranch_execz .LBB1458_487
.LBB1458_555:                           ;   in Loop: Header=BB1458_398 Depth=2
	ds_read_b32 v151, v66 offset:8704
	s_waitcnt lgkmcnt(0)
	v_cmp_ne_u32_e64 s31, 0x7fffffff, v151
	v_cndmask_b32_e64 v3, 0x80000000, v151, s31
	v_cmp_lt_i32_e64 s31, -1, v151
	v_lshrrev_b32_e32 v3, s52, v3
	v_cndmask_b32_e64 v154, 0x80000000, -1, s31
	v_and_b32_e32 v3, s61, v3
	v_lshlrev_b32_e32 v3, 2, v3
	ds_read_b32 v3, v3
	s_waitcnt lgkmcnt(0)
	v_add_nc_u32_e32 v3, v3, v51
	v_lshlrev_b64 v[37:38], 2, v[3:4]
	v_xor_b32_e32 v3, v154, v151
	v_add_co_u32 v37, s31, s44, v37
	v_add_co_ci_u32_e64 v38, null, s45, v38, s31
	global_store_dword v[37:38], v3, off
	s_or_b32 exec_lo, exec_lo, s33
	v_cmp_lt_u32_e64 s31, v52, v150
	s_and_saveexec_b32 s34, s31
	s_cbranch_execz .LBB1458_488
.LBB1458_556:                           ;   in Loop: Header=BB1458_398 Depth=2
	ds_read_b32 v151, v66 offset:9728
	s_waitcnt lgkmcnt(0)
	v_cmp_ne_u32_e64 s33, 0x7fffffff, v151
	v_cndmask_b32_e64 v3, 0x80000000, v151, s33
	v_cmp_lt_i32_e64 s33, -1, v151
	v_lshrrev_b32_e32 v3, s52, v3
	v_cndmask_b32_e64 v154, 0x80000000, -1, s33
	v_and_b32_e32 v3, s61, v3
	v_lshlrev_b32_e32 v3, 2, v3
	ds_read_b32 v3, v3
	s_waitcnt lgkmcnt(0)
	v_add_nc_u32_e32 v3, v3, v52
	v_lshlrev_b64 v[37:38], 2, v[3:4]
	v_xor_b32_e32 v3, v154, v151
	v_add_co_u32 v37, s33, s44, v37
	v_add_co_ci_u32_e64 v38, null, s45, v38, s33
	global_store_dword v[37:38], v3, off
	s_or_b32 exec_lo, exec_lo, s34
	v_cmp_lt_u32_e64 s33, v53, v150
	s_and_saveexec_b32 s35, s33
	s_cbranch_execz .LBB1458_489
.LBB1458_557:                           ;   in Loop: Header=BB1458_398 Depth=2
	ds_read_b32 v151, v66 offset:10752
	s_waitcnt lgkmcnt(0)
	v_cmp_ne_u32_e64 s34, 0x7fffffff, v151
	v_cndmask_b32_e64 v3, 0x80000000, v151, s34
	v_cmp_lt_i32_e64 s34, -1, v151
	v_lshrrev_b32_e32 v3, s52, v3
	v_cndmask_b32_e64 v154, 0x80000000, -1, s34
	v_and_b32_e32 v3, s61, v3
	v_lshlrev_b32_e32 v3, 2, v3
	ds_read_b32 v3, v3
	s_waitcnt lgkmcnt(0)
	v_add_nc_u32_e32 v3, v3, v53
	v_lshlrev_b64 v[37:38], 2, v[3:4]
	v_xor_b32_e32 v3, v154, v151
	v_add_co_u32 v37, s34, s44, v37
	v_add_co_ci_u32_e64 v38, null, s45, v38, s34
	global_store_dword v[37:38], v3, off
	s_or_b32 exec_lo, exec_lo, s35
	v_cmp_lt_u32_e64 s34, v54, v150
	s_and_saveexec_b32 s36, s34
	s_cbranch_execz .LBB1458_490
.LBB1458_558:                           ;   in Loop: Header=BB1458_398 Depth=2
	ds_read_b32 v151, v66 offset:11776
	s_waitcnt lgkmcnt(0)
	v_cmp_ne_u32_e64 s35, 0x7fffffff, v151
	v_cndmask_b32_e64 v3, 0x80000000, v151, s35
	v_cmp_lt_i32_e64 s35, -1, v151
	v_lshrrev_b32_e32 v3, s52, v3
	v_cndmask_b32_e64 v154, 0x80000000, -1, s35
	v_and_b32_e32 v3, s61, v3
	v_lshlrev_b32_e32 v3, 2, v3
	ds_read_b32 v3, v3
	s_waitcnt lgkmcnt(0)
	v_add_nc_u32_e32 v3, v3, v54
	v_lshlrev_b64 v[37:38], 2, v[3:4]
	v_xor_b32_e32 v3, v154, v151
	v_add_co_u32 v37, s35, s44, v37
	v_add_co_ci_u32_e64 v38, null, s45, v38, s35
	global_store_dword v[37:38], v3, off
	s_or_b32 exec_lo, exec_lo, s36
	v_cmp_lt_u32_e64 s35, v55, v150
	s_and_saveexec_b32 s37, s35
	s_cbranch_execz .LBB1458_491
.LBB1458_559:                           ;   in Loop: Header=BB1458_398 Depth=2
	ds_read_b32 v151, v66 offset:12800
	s_waitcnt lgkmcnt(0)
	v_cmp_ne_u32_e64 s36, 0x7fffffff, v151
	v_cndmask_b32_e64 v3, 0x80000000, v151, s36
	v_cmp_lt_i32_e64 s36, -1, v151
	v_lshrrev_b32_e32 v3, s52, v3
	v_cndmask_b32_e64 v154, 0x80000000, -1, s36
	v_and_b32_e32 v3, s61, v3
	v_lshlrev_b32_e32 v3, 2, v3
	ds_read_b32 v3, v3
	s_waitcnt lgkmcnt(0)
	v_add_nc_u32_e32 v3, v3, v55
	v_lshlrev_b64 v[37:38], 2, v[3:4]
	v_xor_b32_e32 v3, v154, v151
	v_add_co_u32 v37, s36, s44, v37
	v_add_co_ci_u32_e64 v38, null, s45, v38, s36
	global_store_dword v[37:38], v3, off
	s_or_b32 exec_lo, exec_lo, s37
	v_cmp_lt_u32_e64 s36, v56, v150
	s_and_saveexec_b32 s38, s36
	s_cbranch_execz .LBB1458_492
.LBB1458_560:                           ;   in Loop: Header=BB1458_398 Depth=2
	ds_read_b32 v151, v66 offset:13824
	s_waitcnt lgkmcnt(0)
	v_cmp_ne_u32_e64 s37, 0x7fffffff, v151
	v_cndmask_b32_e64 v3, 0x80000000, v151, s37
	v_cmp_lt_i32_e64 s37, -1, v151
	v_lshrrev_b32_e32 v3, s52, v3
	v_cndmask_b32_e64 v154, 0x80000000, -1, s37
	v_and_b32_e32 v3, s61, v3
	v_lshlrev_b32_e32 v3, 2, v3
	ds_read_b32 v3, v3
	s_waitcnt lgkmcnt(0)
	v_add_nc_u32_e32 v3, v3, v56
	v_lshlrev_b64 v[37:38], 2, v[3:4]
	v_xor_b32_e32 v3, v154, v151
	v_add_co_u32 v37, s37, s44, v37
	v_add_co_ci_u32_e64 v38, null, s45, v38, s37
	global_store_dword v[37:38], v3, off
	s_or_b32 exec_lo, exec_lo, s38
	v_cmp_lt_u32_e64 s37, v57, v150
	s_and_saveexec_b32 s39, s37
	s_cbranch_execz .LBB1458_493
.LBB1458_561:                           ;   in Loop: Header=BB1458_398 Depth=2
	ds_read_b32 v151, v66 offset:14848
	s_waitcnt lgkmcnt(0)
	v_cmp_ne_u32_e64 s38, 0x7fffffff, v151
	v_cndmask_b32_e64 v3, 0x80000000, v151, s38
	v_cmp_lt_i32_e64 s38, -1, v151
	v_lshrrev_b32_e32 v3, s52, v3
	v_cndmask_b32_e64 v154, 0x80000000, -1, s38
	v_and_b32_e32 v3, s61, v3
	v_lshlrev_b32_e32 v3, 2, v3
	ds_read_b32 v3, v3
	s_waitcnt lgkmcnt(0)
	v_add_nc_u32_e32 v3, v3, v57
	v_lshlrev_b64 v[37:38], 2, v[3:4]
	v_xor_b32_e32 v3, v154, v151
	v_add_co_u32 v37, s38, s44, v37
	v_add_co_ci_u32_e64 v38, null, s45, v38, s38
	global_store_dword v[37:38], v3, off
	s_or_b32 exec_lo, exec_lo, s39
	v_cmp_lt_u32_e64 s38, v58, v150
	s_and_saveexec_b32 s64, s38
	s_cbranch_execnz .LBB1458_494
	s_branch .LBB1458_495
.LBB1458_562:                           ;   in Loop: Header=BB1458_398 Depth=2
	global_load_dwordx2 v[35:36], v[37:38], off
	s_or_b32 exec_lo, exec_lo, s39
	s_mov_b32 s46, exec_lo
	v_cmpx_lt_u32_e64 v108, v150
	s_cbranch_execz .LBB1458_497
.LBB1458_563:                           ;   in Loop: Header=BB1458_398 Depth=2
	global_load_dwordx2 v[33:34], v[37:38], off offset:256
	s_or_b32 exec_lo, exec_lo, s46
	s_mov_b32 s46, exec_lo
	v_cmpx_lt_u32_e64 v109, v150
	s_cbranch_execz .LBB1458_498
.LBB1458_564:                           ;   in Loop: Header=BB1458_398 Depth=2
	global_load_dwordx2 v[31:32], v[37:38], off offset:512
	s_or_b32 exec_lo, exec_lo, s46
	s_mov_b32 s46, exec_lo
	v_cmpx_lt_u32_e64 v110, v150
	s_cbranch_execz .LBB1458_499
.LBB1458_565:                           ;   in Loop: Header=BB1458_398 Depth=2
	global_load_dwordx2 v[29:30], v[37:38], off offset:768
	s_or_b32 exec_lo, exec_lo, s46
	s_mov_b32 s46, exec_lo
	v_cmpx_lt_u32_e64 v111, v150
	s_cbranch_execz .LBB1458_500
.LBB1458_566:                           ;   in Loop: Header=BB1458_398 Depth=2
	global_load_dwordx2 v[27:28], v[37:38], off offset:1024
	s_or_b32 exec_lo, exec_lo, s46
	s_mov_b32 s46, exec_lo
	v_cmpx_lt_u32_e64 v112, v150
	s_cbranch_execz .LBB1458_501
.LBB1458_567:                           ;   in Loop: Header=BB1458_398 Depth=2
	global_load_dwordx2 v[23:24], v[37:38], off offset:1280
	s_or_b32 exec_lo, exec_lo, s46
	s_mov_b32 s46, exec_lo
	v_cmpx_lt_u32_e64 v113, v150
	s_cbranch_execz .LBB1458_502
.LBB1458_568:                           ;   in Loop: Header=BB1458_398 Depth=2
	global_load_dwordx2 v[19:20], v[37:38], off offset:1536
	s_or_b32 exec_lo, exec_lo, s46
	s_mov_b32 s46, exec_lo
	v_cmpx_lt_u32_e64 v114, v150
	s_cbranch_execz .LBB1458_503
.LBB1458_569:                           ;   in Loop: Header=BB1458_398 Depth=2
	global_load_dwordx2 v[15:16], v[37:38], off offset:1792
	s_or_b32 exec_lo, exec_lo, s46
	s_mov_b32 s46, exec_lo
	v_cmpx_lt_u32_e64 v115, v150
	s_cbranch_execz .LBB1458_504
.LBB1458_570:                           ;   in Loop: Header=BB1458_398 Depth=2
	v_add_co_u32 v25, s39, 0x800, v37
	v_add_co_ci_u32_e64 v26, null, 0, v38, s39
	global_load_dwordx2 v[25:26], v[25:26], off
	s_or_b32 exec_lo, exec_lo, s46
	s_mov_b32 s46, exec_lo
	v_cmpx_lt_u32_e64 v116, v150
	s_cbranch_execz .LBB1458_505
.LBB1458_571:                           ;   in Loop: Header=BB1458_398 Depth=2
	v_add_co_u32 v21, s39, 0x800, v37
	v_add_co_ci_u32_e64 v22, null, 0, v38, s39
	global_load_dwordx2 v[21:22], v[21:22], off offset:256
	s_or_b32 exec_lo, exec_lo, s46
	s_mov_b32 s46, exec_lo
	v_cmpx_lt_u32_e64 v117, v150
	s_cbranch_execz .LBB1458_506
.LBB1458_572:                           ;   in Loop: Header=BB1458_398 Depth=2
	v_add_co_u32 v17, s39, 0x800, v37
	v_add_co_ci_u32_e64 v18, null, 0, v38, s39
	global_load_dwordx2 v[17:18], v[17:18], off offset:512
	s_or_b32 exec_lo, exec_lo, s46
	s_mov_b32 s46, exec_lo
	v_cmpx_lt_u32_e64 v118, v150
	s_cbranch_execz .LBB1458_507
.LBB1458_573:                           ;   in Loop: Header=BB1458_398 Depth=2
	v_add_co_u32 v13, s39, 0x800, v37
	v_add_co_ci_u32_e64 v14, null, 0, v38, s39
	global_load_dwordx2 v[13:14], v[13:14], off offset:768
	s_or_b32 exec_lo, exec_lo, s46
	s_mov_b32 s46, exec_lo
	v_cmpx_lt_u32_e64 v119, v150
	s_cbranch_execz .LBB1458_508
.LBB1458_574:                           ;   in Loop: Header=BB1458_398 Depth=2
	v_add_co_u32 v11, s39, 0x800, v37
	v_add_co_ci_u32_e64 v12, null, 0, v38, s39
	global_load_dwordx2 v[11:12], v[11:12], off offset:1024
	s_or_b32 exec_lo, exec_lo, s46
	s_mov_b32 s46, exec_lo
	v_cmpx_lt_u32_e64 v121, v150
	s_cbranch_execz .LBB1458_509
.LBB1458_575:                           ;   in Loop: Header=BB1458_398 Depth=2
	v_add_co_u32 v9, s39, 0x800, v37
	v_add_co_ci_u32_e64 v10, null, 0, v38, s39
	global_load_dwordx2 v[9:10], v[9:10], off offset:1280
	s_or_b32 exec_lo, exec_lo, s46
	s_mov_b32 s46, exec_lo
	v_cmpx_lt_u32_e64 v122, v150
	s_cbranch_execz .LBB1458_510
.LBB1458_576:                           ;   in Loop: Header=BB1458_398 Depth=2
	v_add_co_u32 v7, s39, 0x800, v37
	v_add_co_ci_u32_e64 v8, null, 0, v38, s39
	global_load_dwordx2 v[7:8], v[7:8], off offset:1536
	s_or_b32 exec_lo, exec_lo, s46
	s_mov_b32 s46, exec_lo
	v_cmpx_lt_u32_e64 v123, v150
	s_cbranch_execz .LBB1458_511
.LBB1458_577:                           ;   in Loop: Header=BB1458_398 Depth=2
	v_add_co_u32 v5, s39, 0x800, v37
	v_add_co_ci_u32_e64 v6, null, 0, v38, s39
	global_load_dwordx2 v[5:6], v[5:6], off offset:1792
	s_or_b32 exec_lo, exec_lo, s46
	s_and_saveexec_b32 s46, vcc_lo
	s_cbranch_execz .LBB1458_512
.LBB1458_578:                           ;   in Loop: Header=BB1458_398 Depth=2
	ds_read_b32 v3, v66 offset:512
	s_waitcnt lgkmcnt(0)
	v_cmp_ne_u32_e64 s39, 0x7fffffff, v3
	v_cndmask_b32_e64 v3, 0x80000000, v3, s39
	v_lshrrev_b32_e32 v3, s52, v3
	v_and_b32_e32 v148, s61, v3
	s_or_b32 exec_lo, exec_lo, s46
	s_and_saveexec_b32 s46, s23
	s_cbranch_execz .LBB1458_513
.LBB1458_579:                           ;   in Loop: Header=BB1458_398 Depth=2
	ds_read_b32 v3, v66 offset:1536
	s_waitcnt lgkmcnt(0)
	v_cmp_ne_u32_e64 s39, 0x7fffffff, v3
	v_cndmask_b32_e64 v3, 0x80000000, v3, s39
	v_lshrrev_b32_e32 v3, s52, v3
	v_and_b32_e32 v147, s61, v3
	s_or_b32 exec_lo, exec_lo, s46
	s_and_saveexec_b32 s46, s24
	s_cbranch_execz .LBB1458_514
.LBB1458_580:                           ;   in Loop: Header=BB1458_398 Depth=2
	ds_read_b32 v3, v66 offset:2560
	s_waitcnt lgkmcnt(0)
	v_cmp_ne_u32_e64 s39, 0x7fffffff, v3
	v_cndmask_b32_e64 v3, 0x80000000, v3, s39
	v_lshrrev_b32_e32 v3, s52, v3
	v_and_b32_e32 v146, s61, v3
	s_or_b32 exec_lo, exec_lo, s46
	s_and_saveexec_b32 s46, s25
	s_cbranch_execz .LBB1458_515
.LBB1458_581:                           ;   in Loop: Header=BB1458_398 Depth=2
	ds_read_b32 v3, v66 offset:3584
	s_waitcnt lgkmcnt(0)
	v_cmp_ne_u32_e64 s39, 0x7fffffff, v3
	v_cndmask_b32_e64 v3, 0x80000000, v3, s39
	v_lshrrev_b32_e32 v3, s52, v3
	v_and_b32_e32 v145, s61, v3
	s_or_b32 exec_lo, exec_lo, s46
	s_and_saveexec_b32 s46, s26
	s_cbranch_execz .LBB1458_516
.LBB1458_582:                           ;   in Loop: Header=BB1458_398 Depth=2
	ds_read_b32 v3, v66 offset:4608
	s_waitcnt lgkmcnt(0)
	v_cmp_ne_u32_e64 s39, 0x7fffffff, v3
	v_cndmask_b32_e64 v3, 0x80000000, v3, s39
	v_lshrrev_b32_e32 v3, s52, v3
	v_and_b32_e32 v143, s61, v3
	s_or_b32 exec_lo, exec_lo, s46
	s_and_saveexec_b32 s46, s27
	s_cbranch_execz .LBB1458_517
.LBB1458_583:                           ;   in Loop: Header=BB1458_398 Depth=2
	ds_read_b32 v3, v66 offset:5632
	s_waitcnt lgkmcnt(0)
	v_cmp_ne_u32_e64 s39, 0x7fffffff, v3
	v_cndmask_b32_e64 v3, 0x80000000, v3, s39
	v_lshrrev_b32_e32 v3, s52, v3
	v_and_b32_e32 v142, s61, v3
	s_or_b32 exec_lo, exec_lo, s46
	s_and_saveexec_b32 s46, s28
	s_cbranch_execz .LBB1458_518
.LBB1458_584:                           ;   in Loop: Header=BB1458_398 Depth=2
	ds_read_b32 v3, v66 offset:6656
	s_waitcnt lgkmcnt(0)
	v_cmp_ne_u32_e64 s39, 0x7fffffff, v3
	v_cndmask_b32_e64 v3, 0x80000000, v3, s39
	v_lshrrev_b32_e32 v3, s52, v3
	v_and_b32_e32 v141, s61, v3
	s_or_b32 exec_lo, exec_lo, s46
	s_and_saveexec_b32 s46, s29
	s_cbranch_execz .LBB1458_519
.LBB1458_585:                           ;   in Loop: Header=BB1458_398 Depth=2
	ds_read_b32 v3, v66 offset:7680
	s_waitcnt lgkmcnt(0)
	v_cmp_ne_u32_e64 s39, 0x7fffffff, v3
	v_cndmask_b32_e64 v3, 0x80000000, v3, s39
	v_lshrrev_b32_e32 v3, s52, v3
	v_and_b32_e32 v140, s61, v3
	s_or_b32 exec_lo, exec_lo, s46
	s_and_saveexec_b32 s46, s30
	s_cbranch_execz .LBB1458_520
.LBB1458_586:                           ;   in Loop: Header=BB1458_398 Depth=2
	ds_read_b32 v3, v66 offset:8704
	s_waitcnt lgkmcnt(0)
	v_cmp_ne_u32_e64 s39, 0x7fffffff, v3
	v_cndmask_b32_e64 v3, 0x80000000, v3, s39
	v_lshrrev_b32_e32 v3, s52, v3
	v_and_b32_e32 v139, s61, v3
	s_or_b32 exec_lo, exec_lo, s46
	s_and_saveexec_b32 s46, s31
	s_cbranch_execz .LBB1458_521
.LBB1458_587:                           ;   in Loop: Header=BB1458_398 Depth=2
	ds_read_b32 v3, v66 offset:9728
	s_waitcnt lgkmcnt(0)
	v_cmp_ne_u32_e64 s39, 0x7fffffff, v3
	v_cndmask_b32_e64 v3, 0x80000000, v3, s39
	v_lshrrev_b32_e32 v3, s52, v3
	v_and_b32_e32 v138, s61, v3
	s_or_b32 exec_lo, exec_lo, s46
	s_and_saveexec_b32 s46, s33
	s_cbranch_execz .LBB1458_522
.LBB1458_588:                           ;   in Loop: Header=BB1458_398 Depth=2
	ds_read_b32 v3, v66 offset:10752
	s_waitcnt lgkmcnt(0)
	v_cmp_ne_u32_e64 s39, 0x7fffffff, v3
	v_cndmask_b32_e64 v3, 0x80000000, v3, s39
	v_lshrrev_b32_e32 v3, s52, v3
	v_and_b32_e32 v137, s61, v3
	s_or_b32 exec_lo, exec_lo, s46
	s_and_saveexec_b32 s46, s34
	s_cbranch_execz .LBB1458_523
.LBB1458_589:                           ;   in Loop: Header=BB1458_398 Depth=2
	ds_read_b32 v3, v66 offset:11776
	s_waitcnt lgkmcnt(0)
	v_cmp_ne_u32_e64 s39, 0x7fffffff, v3
	v_cndmask_b32_e64 v3, 0x80000000, v3, s39
	v_lshrrev_b32_e32 v3, s52, v3
	v_and_b32_e32 v136, s61, v3
	s_or_b32 exec_lo, exec_lo, s46
	s_and_saveexec_b32 s46, s35
	s_cbranch_execz .LBB1458_524
.LBB1458_590:                           ;   in Loop: Header=BB1458_398 Depth=2
	ds_read_b32 v3, v66 offset:12800
	s_waitcnt lgkmcnt(0)
	v_cmp_ne_u32_e64 s39, 0x7fffffff, v3
	v_cndmask_b32_e64 v3, 0x80000000, v3, s39
	v_lshrrev_b32_e32 v3, s52, v3
	v_and_b32_e32 v135, s61, v3
	s_or_b32 exec_lo, exec_lo, s46
	s_and_saveexec_b32 s46, s36
	s_cbranch_execz .LBB1458_525
.LBB1458_591:                           ;   in Loop: Header=BB1458_398 Depth=2
	ds_read_b32 v3, v66 offset:13824
	s_waitcnt lgkmcnt(0)
	v_cmp_ne_u32_e64 s39, 0x7fffffff, v3
	v_cndmask_b32_e64 v3, 0x80000000, v3, s39
	v_lshrrev_b32_e32 v3, s52, v3
	v_and_b32_e32 v134, s61, v3
	s_or_b32 exec_lo, exec_lo, s46
	s_and_saveexec_b32 s46, s37
	s_cbranch_execz .LBB1458_526
.LBB1458_592:                           ;   in Loop: Header=BB1458_398 Depth=2
	ds_read_b32 v3, v66 offset:14848
	s_waitcnt lgkmcnt(0)
	v_cmp_ne_u32_e64 s39, 0x7fffffff, v3
	v_cndmask_b32_e64 v3, 0x80000000, v3, s39
	v_lshrrev_b32_e32 v3, s52, v3
	v_and_b32_e32 v133, s61, v3
	s_or_b32 exec_lo, exec_lo, s46
	s_and_saveexec_b32 s46, s38
	s_cbranch_execnz .LBB1458_527
	s_branch .LBB1458_528
.LBB1458_593:                           ;   in Loop: Header=BB1458_398 Depth=2
	v_lshlrev_b32_e32 v3, 2, v148
	v_add_nc_u32_e32 v37, v66, v41
	ds_read_b32 v3, v3
	ds_read_b64 v[37:38], v37 offset:512
	s_waitcnt lgkmcnt(1)
	v_add_nc_u32_e32 v3, v3, v0
	v_lshlrev_b64 v[39:40], 3, v[3:4]
	v_add_co_u32 v39, vcc_lo, s50, v39
	v_add_co_ci_u32_e64 v40, null, s51, v40, vcc_lo
	s_waitcnt lgkmcnt(0)
	global_store_dwordx2 v[39:40], v[37:38], off
	s_or_b32 exec_lo, exec_lo, s39
	s_and_saveexec_b32 s39, s23
	s_cbranch_execz .LBB1458_530
.LBB1458_594:                           ;   in Loop: Header=BB1458_398 Depth=2
	v_lshlrev_b32_e32 v3, 2, v147
	v_add_nc_u32_e32 v37, v66, v41
	ds_read_b32 v3, v3
	ds_read_b64 v[37:38], v37 offset:2560
	s_waitcnt lgkmcnt(1)
	v_add_nc_u32_e32 v3, v3, v42
	v_lshlrev_b64 v[39:40], 3, v[3:4]
	v_add_co_u32 v39, vcc_lo, s50, v39
	v_add_co_ci_u32_e64 v40, null, s51, v40, vcc_lo
	s_waitcnt lgkmcnt(0)
	global_store_dwordx2 v[39:40], v[37:38], off
	s_or_b32 exec_lo, exec_lo, s39
	s_and_saveexec_b32 s23, s24
	s_cbranch_execz .LBB1458_531
.LBB1458_595:                           ;   in Loop: Header=BB1458_398 Depth=2
	v_lshlrev_b32_e32 v3, 2, v146
	v_add_nc_u32_e32 v37, v66, v41
	ds_read_b32 v3, v3
	ds_read_b64 v[37:38], v37 offset:4608
	s_waitcnt lgkmcnt(1)
	v_add_nc_u32_e32 v3, v3, v45
	v_lshlrev_b64 v[39:40], 3, v[3:4]
	v_add_co_u32 v39, vcc_lo, s50, v39
	v_add_co_ci_u32_e64 v40, null, s51, v40, vcc_lo
	s_waitcnt lgkmcnt(0)
	global_store_dwordx2 v[39:40], v[37:38], off
	s_or_b32 exec_lo, exec_lo, s23
	s_and_saveexec_b32 s23, s25
	s_cbranch_execz .LBB1458_532
.LBB1458_596:                           ;   in Loop: Header=BB1458_398 Depth=2
	v_lshlrev_b32_e32 v3, 2, v145
	v_add_nc_u32_e32 v37, v66, v41
	ds_read_b32 v3, v3
	ds_read_b64 v[37:38], v37 offset:6656
	s_waitcnt lgkmcnt(1)
	v_add_nc_u32_e32 v3, v3, v46
	v_lshlrev_b64 v[39:40], 3, v[3:4]
	v_add_co_u32 v39, vcc_lo, s50, v39
	v_add_co_ci_u32_e64 v40, null, s51, v40, vcc_lo
	s_waitcnt lgkmcnt(0)
	global_store_dwordx2 v[39:40], v[37:38], off
	s_or_b32 exec_lo, exec_lo, s23
	s_and_saveexec_b32 s23, s26
	s_cbranch_execz .LBB1458_533
.LBB1458_597:                           ;   in Loop: Header=BB1458_398 Depth=2
	v_lshlrev_b32_e32 v3, 2, v143
	v_add_nc_u32_e32 v37, v66, v41
	ds_read_b32 v3, v3
	ds_read_b64 v[37:38], v37 offset:8704
	s_waitcnt lgkmcnt(1)
	v_add_nc_u32_e32 v3, v3, v47
	v_lshlrev_b64 v[39:40], 3, v[3:4]
	v_add_co_u32 v39, vcc_lo, s50, v39
	v_add_co_ci_u32_e64 v40, null, s51, v40, vcc_lo
	s_waitcnt lgkmcnt(0)
	global_store_dwordx2 v[39:40], v[37:38], off
	s_or_b32 exec_lo, exec_lo, s23
	s_and_saveexec_b32 s23, s27
	s_cbranch_execz .LBB1458_534
.LBB1458_598:                           ;   in Loop: Header=BB1458_398 Depth=2
	v_lshlrev_b32_e32 v3, 2, v142
	v_add_nc_u32_e32 v37, v66, v41
	ds_read_b32 v3, v3
	ds_read_b64 v[37:38], v37 offset:10752
	s_waitcnt lgkmcnt(1)
	v_add_nc_u32_e32 v3, v3, v48
	v_lshlrev_b64 v[39:40], 3, v[3:4]
	v_add_co_u32 v39, vcc_lo, s50, v39
	v_add_co_ci_u32_e64 v40, null, s51, v40, vcc_lo
	s_waitcnt lgkmcnt(0)
	global_store_dwordx2 v[39:40], v[37:38], off
	s_or_b32 exec_lo, exec_lo, s23
	s_and_saveexec_b32 s23, s28
	s_cbranch_execz .LBB1458_535
.LBB1458_599:                           ;   in Loop: Header=BB1458_398 Depth=2
	v_lshlrev_b32_e32 v3, 2, v141
	v_add_nc_u32_e32 v37, v66, v41
	ds_read_b32 v3, v3
	ds_read_b64 v[37:38], v37 offset:12800
	s_waitcnt lgkmcnt(1)
	v_add_nc_u32_e32 v3, v3, v49
	v_lshlrev_b64 v[39:40], 3, v[3:4]
	v_add_co_u32 v39, vcc_lo, s50, v39
	v_add_co_ci_u32_e64 v40, null, s51, v40, vcc_lo
	s_waitcnt lgkmcnt(0)
	global_store_dwordx2 v[39:40], v[37:38], off
	s_or_b32 exec_lo, exec_lo, s23
	s_and_saveexec_b32 s23, s29
	s_cbranch_execz .LBB1458_536
.LBB1458_600:                           ;   in Loop: Header=BB1458_398 Depth=2
	v_lshlrev_b32_e32 v3, 2, v140
	v_add_nc_u32_e32 v37, v66, v41
	ds_read_b32 v3, v3
	ds_read_b64 v[37:38], v37 offset:14848
	s_waitcnt lgkmcnt(1)
	v_add_nc_u32_e32 v3, v3, v50
	v_lshlrev_b64 v[39:40], 3, v[3:4]
	v_add_co_u32 v39, vcc_lo, s50, v39
	v_add_co_ci_u32_e64 v40, null, s51, v40, vcc_lo
	s_waitcnt lgkmcnt(0)
	global_store_dwordx2 v[39:40], v[37:38], off
	s_or_b32 exec_lo, exec_lo, s23
	s_and_saveexec_b32 s23, s30
	s_cbranch_execz .LBB1458_537
.LBB1458_601:                           ;   in Loop: Header=BB1458_398 Depth=2
	v_lshlrev_b32_e32 v3, 2, v139
	v_add_nc_u32_e32 v37, v66, v41
	ds_read_b32 v3, v3
	ds_read_b64 v[37:38], v37 offset:16896
	s_waitcnt lgkmcnt(1)
	v_add_nc_u32_e32 v3, v3, v51
	v_lshlrev_b64 v[39:40], 3, v[3:4]
	v_add_co_u32 v39, vcc_lo, s50, v39
	v_add_co_ci_u32_e64 v40, null, s51, v40, vcc_lo
	s_waitcnt lgkmcnt(0)
	global_store_dwordx2 v[39:40], v[37:38], off
	s_or_b32 exec_lo, exec_lo, s23
	s_and_saveexec_b32 s23, s31
	s_cbranch_execz .LBB1458_538
.LBB1458_602:                           ;   in Loop: Header=BB1458_398 Depth=2
	v_lshlrev_b32_e32 v3, 2, v138
	v_add_nc_u32_e32 v37, v66, v41
	ds_read_b32 v3, v3
	ds_read_b64 v[37:38], v37 offset:18944
	s_waitcnt lgkmcnt(1)
	v_add_nc_u32_e32 v3, v3, v52
	v_lshlrev_b64 v[39:40], 3, v[3:4]
	v_add_co_u32 v39, vcc_lo, s50, v39
	v_add_co_ci_u32_e64 v40, null, s51, v40, vcc_lo
	s_waitcnt lgkmcnt(0)
	global_store_dwordx2 v[39:40], v[37:38], off
	s_or_b32 exec_lo, exec_lo, s23
	s_and_saveexec_b32 s23, s33
	s_cbranch_execz .LBB1458_539
.LBB1458_603:                           ;   in Loop: Header=BB1458_398 Depth=2
	v_lshlrev_b32_e32 v3, 2, v137
	v_add_nc_u32_e32 v37, v66, v41
	ds_read_b32 v3, v3
	ds_read_b64 v[37:38], v37 offset:20992
	s_waitcnt lgkmcnt(1)
	v_add_nc_u32_e32 v3, v3, v53
	v_lshlrev_b64 v[39:40], 3, v[3:4]
	v_add_co_u32 v39, vcc_lo, s50, v39
	v_add_co_ci_u32_e64 v40, null, s51, v40, vcc_lo
	s_waitcnt lgkmcnt(0)
	global_store_dwordx2 v[39:40], v[37:38], off
	s_or_b32 exec_lo, exec_lo, s23
	s_and_saveexec_b32 s23, s34
	s_cbranch_execz .LBB1458_540
.LBB1458_604:                           ;   in Loop: Header=BB1458_398 Depth=2
	v_lshlrev_b32_e32 v3, 2, v136
	v_add_nc_u32_e32 v37, v66, v41
	ds_read_b32 v3, v3
	ds_read_b64 v[37:38], v37 offset:23040
	s_waitcnt lgkmcnt(1)
	v_add_nc_u32_e32 v3, v3, v54
	v_lshlrev_b64 v[39:40], 3, v[3:4]
	v_add_co_u32 v39, vcc_lo, s50, v39
	v_add_co_ci_u32_e64 v40, null, s51, v40, vcc_lo
	s_waitcnt lgkmcnt(0)
	global_store_dwordx2 v[39:40], v[37:38], off
	s_or_b32 exec_lo, exec_lo, s23
	s_and_saveexec_b32 s23, s35
	s_cbranch_execz .LBB1458_541
.LBB1458_605:                           ;   in Loop: Header=BB1458_398 Depth=2
	v_lshlrev_b32_e32 v3, 2, v135
	v_add_nc_u32_e32 v37, v66, v41
	ds_read_b32 v3, v3
	ds_read_b64 v[37:38], v37 offset:25088
	s_waitcnt lgkmcnt(1)
	v_add_nc_u32_e32 v3, v3, v55
	v_lshlrev_b64 v[39:40], 3, v[3:4]
	v_add_co_u32 v39, vcc_lo, s50, v39
	v_add_co_ci_u32_e64 v40, null, s51, v40, vcc_lo
	s_waitcnt lgkmcnt(0)
	global_store_dwordx2 v[39:40], v[37:38], off
	s_or_b32 exec_lo, exec_lo, s23
	s_and_saveexec_b32 s23, s36
	s_cbranch_execz .LBB1458_542
.LBB1458_606:                           ;   in Loop: Header=BB1458_398 Depth=2
	v_lshlrev_b32_e32 v3, 2, v134
	v_add_nc_u32_e32 v37, v66, v41
	ds_read_b32 v3, v3
	ds_read_b64 v[37:38], v37 offset:27136
	s_waitcnt lgkmcnt(1)
	v_add_nc_u32_e32 v3, v3, v56
	v_lshlrev_b64 v[39:40], 3, v[3:4]
	v_add_co_u32 v39, vcc_lo, s50, v39
	v_add_co_ci_u32_e64 v40, null, s51, v40, vcc_lo
	s_waitcnt lgkmcnt(0)
	global_store_dwordx2 v[39:40], v[37:38], off
	s_or_b32 exec_lo, exec_lo, s23
	s_and_saveexec_b32 s23, s37
	s_cbranch_execz .LBB1458_543
.LBB1458_607:                           ;   in Loop: Header=BB1458_398 Depth=2
	v_lshlrev_b32_e32 v3, 2, v133
	v_add_nc_u32_e32 v37, v66, v41
	ds_read_b32 v3, v3
	ds_read_b64 v[37:38], v37 offset:29184
	s_waitcnt lgkmcnt(1)
	v_add_nc_u32_e32 v3, v3, v57
	v_lshlrev_b64 v[39:40], 3, v[3:4]
	v_add_co_u32 v39, vcc_lo, s50, v39
	v_add_co_ci_u32_e64 v40, null, s51, v40, vcc_lo
	s_waitcnt lgkmcnt(0)
	global_store_dwordx2 v[39:40], v[37:38], off
	s_or_b32 exec_lo, exec_lo, s23
	s_and_saveexec_b32 s23, s38
	s_cbranch_execnz .LBB1458_544
	s_branch .LBB1458_545
.LBB1458_608:                           ;   in Loop: Header=BB1458_20 Depth=1
	s_waitcnt lgkmcnt(0)
	s_barrier
.LBB1458_609:                           ;   in Loop: Header=BB1458_20 Depth=1
	s_mov_b32 s5, 0
.LBB1458_610:                           ;   in Loop: Header=BB1458_20 Depth=1
	s_andn2_b32 vcc_lo, exec_lo, s5
	s_cbranch_vccnz .LBB1458_19
; %bb.611:                              ;   in Loop: Header=BB1458_20 Depth=1
	s_and_b32 vcc_lo, exec_lo, s55
	s_mov_b32 s5, -1
	s_cbranch_vccz .LBB1458_905
; %bb.612:                              ;   in Loop: Header=BB1458_20 Depth=1
	s_mov_b32 s5, s60
	s_mov_b32 s46, s58
	s_barrier
	buffer_gl0_inv
                                        ; implicit-def: $vgpr3
                                        ; implicit-def: $vgpr5
                                        ; implicit-def: $vgpr6
                                        ; implicit-def: $vgpr7
                                        ; implicit-def: $vgpr8
                                        ; implicit-def: $vgpr9
                                        ; implicit-def: $vgpr10
                                        ; implicit-def: $vgpr11
                                        ; implicit-def: $vgpr12
                                        ; implicit-def: $vgpr13
                                        ; implicit-def: $vgpr14
                                        ; implicit-def: $vgpr15
                                        ; implicit-def: $vgpr16
                                        ; implicit-def: $vgpr17
                                        ; implicit-def: $vgpr18
                                        ; implicit-def: $vgpr19
	s_branch .LBB1458_614
.LBB1458_613:                           ;   in Loop: Header=BB1458_614 Depth=2
	s_or_b32 exec_lo, exec_lo, s16
	s_addk_i32 s5, 0xf000
	s_cmp_ge_u32 s18, s59
	s_mov_b32 s46, s18
	s_cbranch_scc1 .LBB1458_682
.LBB1458_614:                           ;   Parent Loop BB1458_20 Depth=1
                                        ; =>  This Inner Loop Header: Depth=2
	s_add_i32 s18, s46, 0x1000
	s_mov_b32 s16, -1
	s_cmp_gt_u32 s18, s59
                                        ; implicit-def: $vgpr20
                                        ; implicit-def: $vgpr21
                                        ; implicit-def: $vgpr24
                                        ; implicit-def: $vgpr22
                                        ; implicit-def: $vgpr26
                                        ; implicit-def: $vgpr23
                                        ; implicit-def: $vgpr28
                                        ; implicit-def: $vgpr25
                                        ; implicit-def: $vgpr30
                                        ; implicit-def: $vgpr27
                                        ; implicit-def: $vgpr31
                                        ; implicit-def: $vgpr29
                                        ; implicit-def: $vgpr33
                                        ; implicit-def: $vgpr32
                                        ; implicit-def: $vgpr34
                                        ; implicit-def: $vgpr35
	s_cbranch_scc1 .LBB1458_616
; %bb.615:                              ;   in Loop: Header=BB1458_614 Depth=2
	s_lshl_b64 s[16:17], s[46:47], 2
	v_add_co_u32 v30, vcc_lo, v75, s16
	v_add_co_ci_u32_e64 v31, null, s17, v76, vcc_lo
	s_mov_b32 s16, 0
	v_add_co_u32 v22, vcc_lo, 0x800, v30
	v_add_co_ci_u32_e64 v23, null, 0, v31, vcc_lo
	v_add_co_u32 v33, vcc_lo, v30, 0x1000
	v_add_co_ci_u32_e64 v34, null, 0, v31, vcc_lo
	v_add_co_u32 v24, vcc_lo, 0x1000, v30
	v_add_co_ci_u32_e64 v25, null, 0, v31, vcc_lo
	v_add_co_u32 v26, vcc_lo, 0x1800, v30
	v_add_co_ci_u32_e64 v27, null, 0, v31, vcc_lo
	v_add_co_u32 v35, vcc_lo, v30, 0x2000
	v_add_co_ci_u32_e64 v36, null, 0, v31, vcc_lo
	v_add_co_u32 v28, vcc_lo, 0x2000, v30
	v_add_co_ci_u32_e64 v29, null, 0, v31, vcc_lo
	v_add_co_u32 v37, vcc_lo, 0x2800, v30
	v_add_co_ci_u32_e64 v38, null, 0, v31, vcc_lo
	v_add_co_u32 v39, vcc_lo, v30, 0x3000
	v_add_co_ci_u32_e64 v40, null, 0, v31, vcc_lo
	v_add_co_u32 v126, vcc_lo, 0x3000, v30
	v_add_co_ci_u32_e64 v127, null, 0, v31, vcc_lo
	s_clause 0x7
	global_load_dword v20, v[30:31], off
	global_load_dword v21, v[30:31], off offset:1024
	global_load_dword v22, v[22:23], off offset:1024
	;; [unrolled: 1-line block ×7, first 2 shown]
	v_add_co_u32 v37, vcc_lo, 0x3800, v30
	v_add_co_ci_u32_e64 v38, null, 0, v31, vcc_lo
	s_clause 0x7
	global_load_dword v24, v[33:34], off offset:-2048
	global_load_dword v26, v[33:34], off
	global_load_dword v28, v[35:36], off offset:-2048
	global_load_dword v30, v[35:36], off
	;; [unrolled: 2-line block ×3, first 2 shown]
	global_load_dword v34, v[37:38], off
	global_load_dword v35, v[37:38], off offset:1024
.LBB1458_616:                           ;   in Loop: Header=BB1458_614 Depth=2
	s_andn2_b32 vcc_lo, exec_lo, s16
	s_movk_i32 s16, 0x1000
	s_cbranch_vccnz .LBB1458_635
; %bb.617:                              ;   in Loop: Header=BB1458_614 Depth=2
	s_lshl_b64 s[16:17], s[46:47], 2
	s_mov_b32 s19, exec_lo
	s_add_u32 s16, s40, s16
	s_addc_u32 s17, s41, s17
	v_cmpx_gt_u32_e64 s5, v0
	s_cbranch_execnz .LBB1458_667
; %bb.618:                              ;   in Loop: Header=BB1458_614 Depth=2
	s_or_b32 exec_lo, exec_lo, s19
	s_mov_b32 s19, exec_lo
	v_cmpx_gt_u32_e64 s5, v42
	s_cbranch_execnz .LBB1458_668
.LBB1458_619:                           ;   in Loop: Header=BB1458_614 Depth=2
	s_or_b32 exec_lo, exec_lo, s19
	s_mov_b32 s19, exec_lo
	v_cmpx_gt_u32_e64 s5, v45
	s_cbranch_execnz .LBB1458_669
.LBB1458_620:                           ;   in Loop: Header=BB1458_614 Depth=2
	s_or_b32 exec_lo, exec_lo, s19
	s_mov_b32 s19, exec_lo
	v_cmpx_gt_u32_e64 s5, v46
	s_cbranch_execnz .LBB1458_670
.LBB1458_621:                           ;   in Loop: Header=BB1458_614 Depth=2
	s_or_b32 exec_lo, exec_lo, s19
	s_mov_b32 s19, exec_lo
	v_cmpx_gt_u32_e64 s5, v47
	s_cbranch_execnz .LBB1458_671
.LBB1458_622:                           ;   in Loop: Header=BB1458_614 Depth=2
	s_or_b32 exec_lo, exec_lo, s19
	s_mov_b32 s19, exec_lo
	v_cmpx_gt_u32_e64 s5, v48
	s_cbranch_execnz .LBB1458_672
.LBB1458_623:                           ;   in Loop: Header=BB1458_614 Depth=2
	s_or_b32 exec_lo, exec_lo, s19
	s_mov_b32 s19, exec_lo
	v_cmpx_gt_u32_e64 s5, v49
	s_cbranch_execnz .LBB1458_673
.LBB1458_624:                           ;   in Loop: Header=BB1458_614 Depth=2
	s_or_b32 exec_lo, exec_lo, s19
	s_mov_b32 s19, exec_lo
	v_cmpx_gt_u32_e64 s5, v50
	s_cbranch_execnz .LBB1458_674
.LBB1458_625:                           ;   in Loop: Header=BB1458_614 Depth=2
	s_or_b32 exec_lo, exec_lo, s19
	s_mov_b32 s19, exec_lo
	v_cmpx_gt_u32_e64 s5, v51
	s_cbranch_execnz .LBB1458_675
.LBB1458_626:                           ;   in Loop: Header=BB1458_614 Depth=2
	s_or_b32 exec_lo, exec_lo, s19
	s_mov_b32 s19, exec_lo
	v_cmpx_gt_u32_e64 s5, v52
	s_cbranch_execnz .LBB1458_676
.LBB1458_627:                           ;   in Loop: Header=BB1458_614 Depth=2
	s_or_b32 exec_lo, exec_lo, s19
	s_mov_b32 s19, exec_lo
	v_cmpx_gt_u32_e64 s5, v53
	s_cbranch_execnz .LBB1458_677
.LBB1458_628:                           ;   in Loop: Header=BB1458_614 Depth=2
	s_or_b32 exec_lo, exec_lo, s19
	s_mov_b32 s19, exec_lo
	v_cmpx_gt_u32_e64 s5, v54
	s_cbranch_execnz .LBB1458_678
.LBB1458_629:                           ;   in Loop: Header=BB1458_614 Depth=2
	s_or_b32 exec_lo, exec_lo, s19
	s_mov_b32 s19, exec_lo
	v_cmpx_gt_u32_e64 s5, v55
	s_cbranch_execnz .LBB1458_679
.LBB1458_630:                           ;   in Loop: Header=BB1458_614 Depth=2
	s_or_b32 exec_lo, exec_lo, s19
	s_mov_b32 s19, exec_lo
	v_cmpx_gt_u32_e64 s5, v56
	s_cbranch_execnz .LBB1458_680
.LBB1458_631:                           ;   in Loop: Header=BB1458_614 Depth=2
	s_or_b32 exec_lo, exec_lo, s19
	s_mov_b32 s19, exec_lo
	v_cmpx_gt_u32_e64 s5, v57
	s_cbranch_execnz .LBB1458_681
.LBB1458_632:                           ;   in Loop: Header=BB1458_614 Depth=2
	s_or_b32 exec_lo, exec_lo, s19
	s_mov_b32 s19, exec_lo
	v_cmpx_gt_u32_e64 s5, v58
	s_cbranch_execz .LBB1458_634
.LBB1458_633:                           ;   in Loop: Header=BB1458_614 Depth=2
	global_load_dword v3, v100, s[16:17]
.LBB1458_634:                           ;   in Loop: Header=BB1458_614 Depth=2
	s_or_b32 exec_lo, exec_lo, s19
	s_waitcnt vmcnt(0)
	v_mov_b32_e32 v20, v19
	v_mov_b32_e32 v21, v18
	;; [unrolled: 1-line block ×16, first 2 shown]
	s_mov_b32 s16, s5
.LBB1458_635:                           ;   in Loop: Header=BB1458_614 Depth=2
	s_waitcnt vmcnt(0)
	v_mov_b32_e32 v3, v35
	v_mov_b32_e32 v5, v34
	;; [unrolled: 1-line block ×16, first 2 shown]
	s_mov_b32 s17, exec_lo
	v_cmpx_gt_u32_e64 s16, v0
	s_cbranch_execnz .LBB1458_651
; %bb.636:                              ;   in Loop: Header=BB1458_614 Depth=2
	s_or_b32 exec_lo, exec_lo, s17
	s_mov_b32 s17, exec_lo
	v_cmpx_gt_u32_e64 s16, v42
	s_cbranch_execnz .LBB1458_652
.LBB1458_637:                           ;   in Loop: Header=BB1458_614 Depth=2
	s_or_b32 exec_lo, exec_lo, s17
	s_mov_b32 s17, exec_lo
	v_cmpx_gt_u32_e64 s16, v45
	s_cbranch_execnz .LBB1458_653
.LBB1458_638:                           ;   in Loop: Header=BB1458_614 Depth=2
	s_or_b32 exec_lo, exec_lo, s17
	s_mov_b32 s17, exec_lo
	v_cmpx_gt_u32_e64 s16, v46
	s_cbranch_execnz .LBB1458_654
.LBB1458_639:                           ;   in Loop: Header=BB1458_614 Depth=2
	s_or_b32 exec_lo, exec_lo, s17
	s_mov_b32 s17, exec_lo
	v_cmpx_gt_u32_e64 s16, v47
	s_cbranch_execnz .LBB1458_655
.LBB1458_640:                           ;   in Loop: Header=BB1458_614 Depth=2
	s_or_b32 exec_lo, exec_lo, s17
	s_mov_b32 s17, exec_lo
	v_cmpx_gt_u32_e64 s16, v48
	s_cbranch_execnz .LBB1458_656
.LBB1458_641:                           ;   in Loop: Header=BB1458_614 Depth=2
	s_or_b32 exec_lo, exec_lo, s17
	s_mov_b32 s17, exec_lo
	v_cmpx_gt_u32_e64 s16, v49
	s_cbranch_execnz .LBB1458_657
.LBB1458_642:                           ;   in Loop: Header=BB1458_614 Depth=2
	s_or_b32 exec_lo, exec_lo, s17
	s_mov_b32 s17, exec_lo
	v_cmpx_gt_u32_e64 s16, v50
	s_cbranch_execnz .LBB1458_658
.LBB1458_643:                           ;   in Loop: Header=BB1458_614 Depth=2
	s_or_b32 exec_lo, exec_lo, s17
	s_mov_b32 s17, exec_lo
	v_cmpx_gt_u32_e64 s16, v51
	s_cbranch_execnz .LBB1458_659
.LBB1458_644:                           ;   in Loop: Header=BB1458_614 Depth=2
	s_or_b32 exec_lo, exec_lo, s17
	s_mov_b32 s17, exec_lo
	v_cmpx_gt_u32_e64 s16, v52
	s_cbranch_execnz .LBB1458_660
.LBB1458_645:                           ;   in Loop: Header=BB1458_614 Depth=2
	s_or_b32 exec_lo, exec_lo, s17
	s_mov_b32 s17, exec_lo
	v_cmpx_gt_u32_e64 s16, v53
	s_cbranch_execnz .LBB1458_661
.LBB1458_646:                           ;   in Loop: Header=BB1458_614 Depth=2
	s_or_b32 exec_lo, exec_lo, s17
	s_mov_b32 s17, exec_lo
	v_cmpx_gt_u32_e64 s16, v54
	s_cbranch_execnz .LBB1458_662
.LBB1458_647:                           ;   in Loop: Header=BB1458_614 Depth=2
	s_or_b32 exec_lo, exec_lo, s17
	s_mov_b32 s17, exec_lo
	v_cmpx_gt_u32_e64 s16, v55
	s_cbranch_execnz .LBB1458_663
.LBB1458_648:                           ;   in Loop: Header=BB1458_614 Depth=2
	s_or_b32 exec_lo, exec_lo, s17
	s_mov_b32 s17, exec_lo
	v_cmpx_gt_u32_e64 s16, v56
	s_cbranch_execnz .LBB1458_664
.LBB1458_649:                           ;   in Loop: Header=BB1458_614 Depth=2
	s_or_b32 exec_lo, exec_lo, s17
	s_mov_b32 s17, exec_lo
	v_cmpx_gt_u32_e64 s16, v57
	s_cbranch_execnz .LBB1458_665
.LBB1458_650:                           ;   in Loop: Header=BB1458_614 Depth=2
	s_or_b32 exec_lo, exec_lo, s17
	v_cmp_gt_u32_e32 vcc_lo, s16, v58
	s_and_saveexec_b32 s16, vcc_lo
	s_cbranch_execz .LBB1458_613
	s_branch .LBB1458_666
.LBB1458_651:                           ;   in Loop: Header=BB1458_614 Depth=2
	v_cmp_lt_i32_e32 vcc_lo, -1, v19
	v_cndmask_b32_e64 v20, -1, 0x80000000, vcc_lo
	v_xor_b32_e32 v20, v20, v19
	v_cmp_ne_u32_e32 vcc_lo, 0x7fffffff, v20
	v_cndmask_b32_e32 v20, 0x80000000, v20, vcc_lo
	v_lshrrev_b32_e32 v20, s53, v20
	v_and_b32_e32 v20, s61, v20
	v_lshl_or_b32 v20, v20, 4, v59
	ds_add_u32 v20, v82
	s_or_b32 exec_lo, exec_lo, s17
	s_mov_b32 s17, exec_lo
	v_cmpx_gt_u32_e64 s16, v42
	s_cbranch_execz .LBB1458_637
.LBB1458_652:                           ;   in Loop: Header=BB1458_614 Depth=2
	v_cmp_lt_i32_e32 vcc_lo, -1, v18
	v_cndmask_b32_e64 v20, -1, 0x80000000, vcc_lo
	v_xor_b32_e32 v20, v20, v18
	v_cmp_ne_u32_e32 vcc_lo, 0x7fffffff, v20
	v_cndmask_b32_e32 v20, 0x80000000, v20, vcc_lo
	v_lshrrev_b32_e32 v20, s53, v20
	v_and_b32_e32 v20, s61, v20
	v_lshl_or_b32 v20, v20, 4, v59
	ds_add_u32 v20, v82
	s_or_b32 exec_lo, exec_lo, s17
	s_mov_b32 s17, exec_lo
	v_cmpx_gt_u32_e64 s16, v45
	s_cbranch_execz .LBB1458_638
.LBB1458_653:                           ;   in Loop: Header=BB1458_614 Depth=2
	v_cmp_lt_i32_e32 vcc_lo, -1, v17
	v_cndmask_b32_e64 v20, -1, 0x80000000, vcc_lo
	v_xor_b32_e32 v20, v20, v17
	v_cmp_ne_u32_e32 vcc_lo, 0x7fffffff, v20
	v_cndmask_b32_e32 v20, 0x80000000, v20, vcc_lo
	v_lshrrev_b32_e32 v20, s53, v20
	v_and_b32_e32 v20, s61, v20
	v_lshl_or_b32 v20, v20, 4, v59
	ds_add_u32 v20, v82
	s_or_b32 exec_lo, exec_lo, s17
	s_mov_b32 s17, exec_lo
	v_cmpx_gt_u32_e64 s16, v46
	s_cbranch_execz .LBB1458_639
.LBB1458_654:                           ;   in Loop: Header=BB1458_614 Depth=2
	v_cmp_lt_i32_e32 vcc_lo, -1, v16
	v_cndmask_b32_e64 v20, -1, 0x80000000, vcc_lo
	v_xor_b32_e32 v20, v20, v16
	v_cmp_ne_u32_e32 vcc_lo, 0x7fffffff, v20
	v_cndmask_b32_e32 v20, 0x80000000, v20, vcc_lo
	v_lshrrev_b32_e32 v20, s53, v20
	v_and_b32_e32 v20, s61, v20
	v_lshl_or_b32 v20, v20, 4, v59
	ds_add_u32 v20, v82
	s_or_b32 exec_lo, exec_lo, s17
	s_mov_b32 s17, exec_lo
	v_cmpx_gt_u32_e64 s16, v47
	s_cbranch_execz .LBB1458_640
.LBB1458_655:                           ;   in Loop: Header=BB1458_614 Depth=2
	v_cmp_lt_i32_e32 vcc_lo, -1, v15
	v_cndmask_b32_e64 v20, -1, 0x80000000, vcc_lo
	v_xor_b32_e32 v20, v20, v15
	v_cmp_ne_u32_e32 vcc_lo, 0x7fffffff, v20
	v_cndmask_b32_e32 v20, 0x80000000, v20, vcc_lo
	v_lshrrev_b32_e32 v20, s53, v20
	v_and_b32_e32 v20, s61, v20
	v_lshl_or_b32 v20, v20, 4, v59
	ds_add_u32 v20, v82
	s_or_b32 exec_lo, exec_lo, s17
	s_mov_b32 s17, exec_lo
	v_cmpx_gt_u32_e64 s16, v48
	s_cbranch_execz .LBB1458_641
.LBB1458_656:                           ;   in Loop: Header=BB1458_614 Depth=2
	v_cmp_lt_i32_e32 vcc_lo, -1, v14
	v_cndmask_b32_e64 v20, -1, 0x80000000, vcc_lo
	v_xor_b32_e32 v20, v20, v14
	v_cmp_ne_u32_e32 vcc_lo, 0x7fffffff, v20
	v_cndmask_b32_e32 v20, 0x80000000, v20, vcc_lo
	v_lshrrev_b32_e32 v20, s53, v20
	v_and_b32_e32 v20, s61, v20
	v_lshl_or_b32 v20, v20, 4, v59
	ds_add_u32 v20, v82
	s_or_b32 exec_lo, exec_lo, s17
	s_mov_b32 s17, exec_lo
	v_cmpx_gt_u32_e64 s16, v49
	s_cbranch_execz .LBB1458_642
.LBB1458_657:                           ;   in Loop: Header=BB1458_614 Depth=2
	v_cmp_lt_i32_e32 vcc_lo, -1, v13
	v_cndmask_b32_e64 v20, -1, 0x80000000, vcc_lo
	v_xor_b32_e32 v20, v20, v13
	v_cmp_ne_u32_e32 vcc_lo, 0x7fffffff, v20
	v_cndmask_b32_e32 v20, 0x80000000, v20, vcc_lo
	v_lshrrev_b32_e32 v20, s53, v20
	v_and_b32_e32 v20, s61, v20
	v_lshl_or_b32 v20, v20, 4, v59
	ds_add_u32 v20, v82
	s_or_b32 exec_lo, exec_lo, s17
	s_mov_b32 s17, exec_lo
	v_cmpx_gt_u32_e64 s16, v50
	s_cbranch_execz .LBB1458_643
.LBB1458_658:                           ;   in Loop: Header=BB1458_614 Depth=2
	v_cmp_lt_i32_e32 vcc_lo, -1, v12
	v_cndmask_b32_e64 v20, -1, 0x80000000, vcc_lo
	v_xor_b32_e32 v20, v20, v12
	v_cmp_ne_u32_e32 vcc_lo, 0x7fffffff, v20
	v_cndmask_b32_e32 v20, 0x80000000, v20, vcc_lo
	v_lshrrev_b32_e32 v20, s53, v20
	v_and_b32_e32 v20, s61, v20
	v_lshl_or_b32 v20, v20, 4, v59
	ds_add_u32 v20, v82
	s_or_b32 exec_lo, exec_lo, s17
	s_mov_b32 s17, exec_lo
	v_cmpx_gt_u32_e64 s16, v51
	s_cbranch_execz .LBB1458_644
.LBB1458_659:                           ;   in Loop: Header=BB1458_614 Depth=2
	v_cmp_lt_i32_e32 vcc_lo, -1, v11
	v_cndmask_b32_e64 v20, -1, 0x80000000, vcc_lo
	v_xor_b32_e32 v20, v20, v11
	v_cmp_ne_u32_e32 vcc_lo, 0x7fffffff, v20
	v_cndmask_b32_e32 v20, 0x80000000, v20, vcc_lo
	v_lshrrev_b32_e32 v20, s53, v20
	v_and_b32_e32 v20, s61, v20
	v_lshl_or_b32 v20, v20, 4, v59
	ds_add_u32 v20, v82
	s_or_b32 exec_lo, exec_lo, s17
	s_mov_b32 s17, exec_lo
	v_cmpx_gt_u32_e64 s16, v52
	s_cbranch_execz .LBB1458_645
.LBB1458_660:                           ;   in Loop: Header=BB1458_614 Depth=2
	v_cmp_lt_i32_e32 vcc_lo, -1, v10
	v_cndmask_b32_e64 v20, -1, 0x80000000, vcc_lo
	v_xor_b32_e32 v20, v20, v10
	v_cmp_ne_u32_e32 vcc_lo, 0x7fffffff, v20
	v_cndmask_b32_e32 v20, 0x80000000, v20, vcc_lo
	v_lshrrev_b32_e32 v20, s53, v20
	v_and_b32_e32 v20, s61, v20
	v_lshl_or_b32 v20, v20, 4, v59
	ds_add_u32 v20, v82
	s_or_b32 exec_lo, exec_lo, s17
	s_mov_b32 s17, exec_lo
	v_cmpx_gt_u32_e64 s16, v53
	s_cbranch_execz .LBB1458_646
.LBB1458_661:                           ;   in Loop: Header=BB1458_614 Depth=2
	v_cmp_lt_i32_e32 vcc_lo, -1, v9
	v_cndmask_b32_e64 v20, -1, 0x80000000, vcc_lo
	v_xor_b32_e32 v20, v20, v9
	v_cmp_ne_u32_e32 vcc_lo, 0x7fffffff, v20
	v_cndmask_b32_e32 v20, 0x80000000, v20, vcc_lo
	v_lshrrev_b32_e32 v20, s53, v20
	v_and_b32_e32 v20, s61, v20
	v_lshl_or_b32 v20, v20, 4, v59
	ds_add_u32 v20, v82
	s_or_b32 exec_lo, exec_lo, s17
	s_mov_b32 s17, exec_lo
	v_cmpx_gt_u32_e64 s16, v54
	s_cbranch_execz .LBB1458_647
.LBB1458_662:                           ;   in Loop: Header=BB1458_614 Depth=2
	v_cmp_lt_i32_e32 vcc_lo, -1, v8
	v_cndmask_b32_e64 v20, -1, 0x80000000, vcc_lo
	v_xor_b32_e32 v20, v20, v8
	v_cmp_ne_u32_e32 vcc_lo, 0x7fffffff, v20
	v_cndmask_b32_e32 v20, 0x80000000, v20, vcc_lo
	v_lshrrev_b32_e32 v20, s53, v20
	v_and_b32_e32 v20, s61, v20
	v_lshl_or_b32 v20, v20, 4, v59
	ds_add_u32 v20, v82
	s_or_b32 exec_lo, exec_lo, s17
	s_mov_b32 s17, exec_lo
	v_cmpx_gt_u32_e64 s16, v55
	s_cbranch_execz .LBB1458_648
.LBB1458_663:                           ;   in Loop: Header=BB1458_614 Depth=2
	v_cmp_lt_i32_e32 vcc_lo, -1, v7
	v_cndmask_b32_e64 v20, -1, 0x80000000, vcc_lo
	v_xor_b32_e32 v20, v20, v7
	v_cmp_ne_u32_e32 vcc_lo, 0x7fffffff, v20
	v_cndmask_b32_e32 v20, 0x80000000, v20, vcc_lo
	v_lshrrev_b32_e32 v20, s53, v20
	v_and_b32_e32 v20, s61, v20
	v_lshl_or_b32 v20, v20, 4, v59
	ds_add_u32 v20, v82
	s_or_b32 exec_lo, exec_lo, s17
	s_mov_b32 s17, exec_lo
	v_cmpx_gt_u32_e64 s16, v56
	s_cbranch_execz .LBB1458_649
.LBB1458_664:                           ;   in Loop: Header=BB1458_614 Depth=2
	v_cmp_lt_i32_e32 vcc_lo, -1, v6
	v_cndmask_b32_e64 v20, -1, 0x80000000, vcc_lo
	v_xor_b32_e32 v20, v20, v6
	v_cmp_ne_u32_e32 vcc_lo, 0x7fffffff, v20
	v_cndmask_b32_e32 v20, 0x80000000, v20, vcc_lo
	v_lshrrev_b32_e32 v20, s53, v20
	v_and_b32_e32 v20, s61, v20
	v_lshl_or_b32 v20, v20, 4, v59
	ds_add_u32 v20, v82
	s_or_b32 exec_lo, exec_lo, s17
	s_mov_b32 s17, exec_lo
	v_cmpx_gt_u32_e64 s16, v57
	s_cbranch_execz .LBB1458_650
.LBB1458_665:                           ;   in Loop: Header=BB1458_614 Depth=2
	v_cmp_lt_i32_e32 vcc_lo, -1, v5
	v_cndmask_b32_e64 v20, -1, 0x80000000, vcc_lo
	v_xor_b32_e32 v20, v20, v5
	v_cmp_ne_u32_e32 vcc_lo, 0x7fffffff, v20
	v_cndmask_b32_e32 v20, 0x80000000, v20, vcc_lo
	v_lshrrev_b32_e32 v20, s53, v20
	v_and_b32_e32 v20, s61, v20
	v_lshl_or_b32 v20, v20, 4, v59
	ds_add_u32 v20, v82
	s_or_b32 exec_lo, exec_lo, s17
	v_cmp_gt_u32_e32 vcc_lo, s16, v58
	s_and_saveexec_b32 s16, vcc_lo
	s_cbranch_execz .LBB1458_613
.LBB1458_666:                           ;   in Loop: Header=BB1458_614 Depth=2
	v_cmp_lt_i32_e32 vcc_lo, -1, v3
	v_cndmask_b32_e64 v20, -1, 0x80000000, vcc_lo
	v_xor_b32_e32 v20, v20, v3
	v_cmp_ne_u32_e32 vcc_lo, 0x7fffffff, v20
	v_cndmask_b32_e32 v20, 0x80000000, v20, vcc_lo
	v_lshrrev_b32_e32 v20, s53, v20
	v_and_b32_e32 v20, s61, v20
	v_lshl_or_b32 v20, v20, 4, v59
	ds_add_u32 v20, v82
	s_branch .LBB1458_613
.LBB1458_667:                           ;   in Loop: Header=BB1458_614 Depth=2
	global_load_dword v19, v86, s[16:17]
	s_or_b32 exec_lo, exec_lo, s19
	s_mov_b32 s19, exec_lo
	v_cmpx_gt_u32_e64 s5, v42
	s_cbranch_execz .LBB1458_619
.LBB1458_668:                           ;   in Loop: Header=BB1458_614 Depth=2
	global_load_dword v18, v86, s[16:17] offset:1024
	s_or_b32 exec_lo, exec_lo, s19
	s_mov_b32 s19, exec_lo
	v_cmpx_gt_u32_e64 s5, v45
	s_cbranch_execz .LBB1458_620
.LBB1458_669:                           ;   in Loop: Header=BB1458_614 Depth=2
	global_load_dword v17, v87, s[16:17]
	s_or_b32 exec_lo, exec_lo, s19
	s_mov_b32 s19, exec_lo
	v_cmpx_gt_u32_e64 s5, v46
	s_cbranch_execz .LBB1458_621
.LBB1458_670:                           ;   in Loop: Header=BB1458_614 Depth=2
	global_load_dword v16, v88, s[16:17]
	s_or_b32 exec_lo, exec_lo, s19
	s_mov_b32 s19, exec_lo
	v_cmpx_gt_u32_e64 s5, v47
	s_cbranch_execz .LBB1458_622
.LBB1458_671:                           ;   in Loop: Header=BB1458_614 Depth=2
	global_load_dword v15, v89, s[16:17]
	s_or_b32 exec_lo, exec_lo, s19
	s_mov_b32 s19, exec_lo
	v_cmpx_gt_u32_e64 s5, v48
	s_cbranch_execz .LBB1458_623
.LBB1458_672:                           ;   in Loop: Header=BB1458_614 Depth=2
	global_load_dword v14, v90, s[16:17]
	s_or_b32 exec_lo, exec_lo, s19
	s_mov_b32 s19, exec_lo
	v_cmpx_gt_u32_e64 s5, v49
	s_cbranch_execz .LBB1458_624
.LBB1458_673:                           ;   in Loop: Header=BB1458_614 Depth=2
	global_load_dword v13, v91, s[16:17]
	s_or_b32 exec_lo, exec_lo, s19
	s_mov_b32 s19, exec_lo
	v_cmpx_gt_u32_e64 s5, v50
	s_cbranch_execz .LBB1458_625
.LBB1458_674:                           ;   in Loop: Header=BB1458_614 Depth=2
	global_load_dword v12, v92, s[16:17]
	s_or_b32 exec_lo, exec_lo, s19
	s_mov_b32 s19, exec_lo
	v_cmpx_gt_u32_e64 s5, v51
	s_cbranch_execz .LBB1458_626
.LBB1458_675:                           ;   in Loop: Header=BB1458_614 Depth=2
	global_load_dword v11, v93, s[16:17]
	s_or_b32 exec_lo, exec_lo, s19
	s_mov_b32 s19, exec_lo
	v_cmpx_gt_u32_e64 s5, v52
	s_cbranch_execz .LBB1458_627
.LBB1458_676:                           ;   in Loop: Header=BB1458_614 Depth=2
	global_load_dword v10, v94, s[16:17]
	s_or_b32 exec_lo, exec_lo, s19
	s_mov_b32 s19, exec_lo
	v_cmpx_gt_u32_e64 s5, v53
	s_cbranch_execz .LBB1458_628
.LBB1458_677:                           ;   in Loop: Header=BB1458_614 Depth=2
	global_load_dword v9, v95, s[16:17]
	s_or_b32 exec_lo, exec_lo, s19
	s_mov_b32 s19, exec_lo
	v_cmpx_gt_u32_e64 s5, v54
	s_cbranch_execz .LBB1458_629
.LBB1458_678:                           ;   in Loop: Header=BB1458_614 Depth=2
	global_load_dword v8, v96, s[16:17]
	s_or_b32 exec_lo, exec_lo, s19
	s_mov_b32 s19, exec_lo
	v_cmpx_gt_u32_e64 s5, v55
	s_cbranch_execz .LBB1458_630
.LBB1458_679:                           ;   in Loop: Header=BB1458_614 Depth=2
	global_load_dword v7, v97, s[16:17]
	s_or_b32 exec_lo, exec_lo, s19
	s_mov_b32 s19, exec_lo
	v_cmpx_gt_u32_e64 s5, v56
	s_cbranch_execz .LBB1458_631
.LBB1458_680:                           ;   in Loop: Header=BB1458_614 Depth=2
	global_load_dword v6, v98, s[16:17]
	s_or_b32 exec_lo, exec_lo, s19
	s_mov_b32 s19, exec_lo
	v_cmpx_gt_u32_e64 s5, v57
	s_cbranch_execz .LBB1458_632
.LBB1458_681:                           ;   in Loop: Header=BB1458_614 Depth=2
	global_load_dword v5, v99, s[16:17]
	s_or_b32 exec_lo, exec_lo, s19
	s_mov_b32 s19, exec_lo
	v_cmpx_gt_u32_e64 s5, v58
	s_cbranch_execnz .LBB1458_633
	s_branch .LBB1458_634
.LBB1458_682:                           ;   in Loop: Header=BB1458_20 Depth=1
	v_mov_b32_e32 v3, 0
	s_waitcnt lgkmcnt(0)
	s_barrier
	buffer_gl0_inv
	s_and_saveexec_b32 s5, s8
	s_cbranch_execz .LBB1458_684
; %bb.683:                              ;   in Loop: Header=BB1458_20 Depth=1
	ds_read2_b64 v[5:8], v61 offset1:1
	s_waitcnt lgkmcnt(0)
	v_add_nc_u32_e32 v3, v6, v5
	v_add3_u32 v3, v3, v7, v8
.LBB1458_684:                           ;   in Loop: Header=BB1458_20 Depth=1
	s_or_b32 exec_lo, exec_lo, s5
	v_mov_b32_dpp v5, v3 row_shr:1 row_mask:0xf bank_mask:0xf
	v_cmp_eq_u32_e64 s5, 0, v83
	v_cmp_lt_u32_e64 s16, 1, v83
	v_cmp_lt_u32_e64 s17, 3, v83
	v_cmp_lt_u32_e64 s18, 7, v83
	v_cmp_eq_u32_e64 s19, 0, v85
	v_cndmask_b32_e64 v5, v5, 0, s5
	v_add_nc_u32_e32 v3, v5, v3
	v_mov_b32_dpp v5, v3 row_shr:2 row_mask:0xf bank_mask:0xf
	v_cndmask_b32_e64 v5, 0, v5, s16
	v_add_nc_u32_e32 v3, v3, v5
	v_mov_b32_dpp v5, v3 row_shr:4 row_mask:0xf bank_mask:0xf
	v_cndmask_b32_e64 v5, 0, v5, s17
	v_add_nc_u32_e32 v3, v3, v5
	v_mov_b32_dpp v5, v3 row_shr:8 row_mask:0xf bank_mask:0xf
	v_cndmask_b32_e64 v5, 0, v5, s18
	v_add_nc_u32_e32 v3, v3, v5
	ds_swizzle_b32 v5, v3 offset:swizzle(BROADCAST,32,15)
	s_waitcnt lgkmcnt(0)
	v_and_b32_e32 v5, v84, v5
	v_add_nc_u32_e32 v3, v3, v5
	s_and_saveexec_b32 s20, s9
; %bb.685:                              ;   in Loop: Header=BB1458_20 Depth=1
	ds_write_b32 v62, v3
; %bb.686:                              ;   in Loop: Header=BB1458_20 Depth=1
	s_or_b32 exec_lo, exec_lo, s20
	s_waitcnt lgkmcnt(0)
	s_barrier
	buffer_gl0_inv
	s_and_saveexec_b32 s20, s10
	s_cbranch_execz .LBB1458_688
; %bb.687:                              ;   in Loop: Header=BB1458_20 Depth=1
	ds_read_b32 v5, v63
	v_cmp_ne_u32_e32 vcc_lo, 0, v101
	s_waitcnt lgkmcnt(0)
	v_mov_b32_dpp v6, v5 row_shr:1 row_mask:0xf bank_mask:0xf
	v_cndmask_b32_e32 v6, 0, v6, vcc_lo
	v_cmp_lt_u32_e32 vcc_lo, 1, v101
	v_add_nc_u32_e32 v5, v6, v5
	v_mov_b32_dpp v6, v5 row_shr:2 row_mask:0xf bank_mask:0xf
	v_cndmask_b32_e32 v6, 0, v6, vcc_lo
	v_add_nc_u32_e32 v5, v5, v6
	ds_write_b32 v63, v5
.LBB1458_688:                           ;   in Loop: Header=BB1458_20 Depth=1
	s_or_b32 exec_lo, exec_lo, s20
	v_mov_b32_e32 v5, 0
	s_waitcnt lgkmcnt(0)
	s_barrier
	buffer_gl0_inv
	s_and_saveexec_b32 s20, s11
; %bb.689:                              ;   in Loop: Header=BB1458_20 Depth=1
	ds_read_b32 v5, v64
; %bb.690:                              ;   in Loop: Header=BB1458_20 Depth=1
	s_or_b32 exec_lo, exec_lo, s20
	v_cmp_gt_i32_e32 vcc_lo, 0, v103
	s_waitcnt lgkmcnt(0)
	v_add_nc_u32_e32 v3, v5, v3
	s_barrier
	buffer_gl0_inv
	v_cndmask_b32_e32 v6, v103, v79, vcc_lo
	v_lshlrev_b32_e32 v126, 2, v6
	ds_bpermute_b32 v3, v126, v3
	s_and_saveexec_b32 s20, s8
	s_cbranch_execz .LBB1458_692
; %bb.691:                              ;   in Loop: Header=BB1458_20 Depth=1
	s_waitcnt lgkmcnt(0)
	v_cndmask_b32_e64 v3, v3, v5, s15
	v_add_nc_u32_e32 v3, s58, v3
	ds_write_b32 v41, v3
.LBB1458_692:                           ;   in Loop: Header=BB1458_20 Depth=1
	s_or_b32 exec_lo, exec_lo, s20
	s_load_dwordx2 s[20:21], s[56:57], 0x0
	v_add_co_u32 v127, vcc_lo, v77, v102
	v_add_co_ci_u32_e64 v128, null, 0, v78, vcc_lo
	v_add_co_u32 v129, vcc_lo, v80, v120
	v_add_co_ci_u32_e64 v130, null, 0, v81, vcc_lo
	s_mov_b32 s62, s60
	s_mov_b32 s46, s58
                                        ; implicit-def: $vgpr7_vgpr8
                                        ; implicit-def: $vgpr9_vgpr10
                                        ; implicit-def: $vgpr11_vgpr12
                                        ; implicit-def: $vgpr13_vgpr14
                                        ; implicit-def: $vgpr17_vgpr18
                                        ; implicit-def: $vgpr21_vgpr22
                                        ; implicit-def: $vgpr25_vgpr26
                                        ; implicit-def: $vgpr15_vgpr16
                                        ; implicit-def: $vgpr19_vgpr20
                                        ; implicit-def: $vgpr23_vgpr24
                                        ; implicit-def: $vgpr27_vgpr28
                                        ; implicit-def: $vgpr29_vgpr30
                                        ; implicit-def: $vgpr31_vgpr32
                                        ; implicit-def: $vgpr33_vgpr34
                                        ; implicit-def: $vgpr35_vgpr36
                                        ; implicit-def: $vgpr132
                                        ; implicit-def: $vgpr133
                                        ; implicit-def: $vgpr134
                                        ; implicit-def: $vgpr135
                                        ; implicit-def: $vgpr136
                                        ; implicit-def: $vgpr137
                                        ; implicit-def: $vgpr138
                                        ; implicit-def: $vgpr139
                                        ; implicit-def: $vgpr140
                                        ; implicit-def: $vgpr141
                                        ; implicit-def: $vgpr142
                                        ; implicit-def: $vgpr143
                                        ; implicit-def: $vgpr145
                                        ; implicit-def: $vgpr146
                                        ; implicit-def: $vgpr147
                                        ; implicit-def: $vgpr148
                                        ; implicit-def: $vgpr144
                                        ; implicit-def: $vgpr149
	s_waitcnt lgkmcnt(0)
	s_cmp_lt_u32 s7, s21
	s_cselect_b32 s21, 14, 20
	s_add_u32 s22, s56, s21
	s_addc_u32 s23, s57, 0
	s_cmp_lt_u32 s6, s20
	global_load_ushort v3, v4, s[22:23]
	s_cselect_b32 s20, 12, 18
	s_add_u32 s20, s56, s20
	s_addc_u32 s21, s57, 0
	global_load_ushort v5, v4, s[20:21]
	v_cmp_eq_u32_e64 s20, 0, v104
	v_cmp_lt_u32_e64 s21, 1, v104
	v_cmp_lt_u32_e64 s22, 3, v104
	s_waitcnt vmcnt(1)
	v_mad_u32_u24 v3, v2, v3, v1
	s_waitcnt vmcnt(0)
	v_mad_u64_u32 v[5:6], null, v3, v5, v[0:1]
	v_lshrrev_b32_e32 v3, 3, v5
                                        ; implicit-def: $vgpr5_vgpr6
	v_and_b32_e32 v131, 0x1ffffffc, v3
	s_branch .LBB1458_694
.LBB1458_693:                           ;   in Loop: Header=BB1458_694 Depth=2
	s_or_b32 exec_lo, exec_lo, s23
	s_addk_i32 s62, 0xf000
	s_cmp_lt_u32 s63, s59
	s_mov_b32 s46, s63
	s_cbranch_scc0 .LBB1458_904
.LBB1458_694:                           ;   Parent Loop BB1458_20 Depth=1
                                        ; =>  This Inner Loop Header: Depth=2
	s_add_i32 s63, s46, 0x1000
	s_cmp_gt_u32 s63, s59
	s_cbranch_scc1 .LBB1458_696
; %bb.695:                              ;   in Loop: Header=BB1458_694 Depth=2
	s_lshl_b64 s[24:25], s[46:47], 2
	s_mov_b32 s23, -1
	v_add_co_u32 v37, vcc_lo, v129, s24
	v_add_co_ci_u32_e64 v38, null, s25, v130, vcc_lo
	s_clause 0xe
	global_load_dword v3, v[37:38], off
	global_load_dword v151, v[37:38], off offset:128
	global_load_dword v154, v[37:38], off offset:256
	;; [unrolled: 1-line block ×14, first 2 shown]
	s_movk_i32 s24, 0x1000
	s_cbranch_execz .LBB1458_697
	s_branch .LBB1458_728
.LBB1458_696:                           ;   in Loop: Header=BB1458_694 Depth=2
	s_mov_b32 s23, 0
                                        ; implicit-def: $vgpr3
                                        ; implicit-def: $vgpr151
                                        ; implicit-def: $vgpr154
                                        ; implicit-def: $vgpr158
                                        ; implicit-def: $vgpr162
                                        ; implicit-def: $vgpr168
                                        ; implicit-def: $vgpr173
                                        ; implicit-def: $vgpr178
                                        ; implicit-def: $vgpr181
                                        ; implicit-def: $vgpr176
                                        ; implicit-def: $vgpr172
                                        ; implicit-def: $vgpr167
                                        ; implicit-def: $vgpr164
                                        ; implicit-def: $vgpr40
                                        ; implicit-def: $vgpr39
	s_movk_i32 s24, 0x1000
.LBB1458_697:                           ;   in Loop: Header=BB1458_694 Depth=2
	s_lshl_b64 s[24:25], s[46:47], 2
	s_waitcnt vmcnt(13)
	v_bfrev_b32_e32 v151, -2
	v_add_co_u32 v37, vcc_lo, v129, s24
	v_add_co_ci_u32_e64 v38, null, s25, v130, vcc_lo
	v_bfrev_b32_e32 v3, -2
	s_mov_b32 s23, exec_lo
	v_cmpx_gt_u32_e64 s62, v105
	s_cbranch_execz .LBB1458_699
; %bb.698:                              ;   in Loop: Header=BB1458_694 Depth=2
	global_load_dword v3, v[37:38], off
.LBB1458_699:                           ;   in Loop: Header=BB1458_694 Depth=2
	s_or_b32 exec_lo, exec_lo, s23
	s_mov_b32 s23, exec_lo
	v_cmpx_gt_u32_e64 s62, v108
	s_cbranch_execz .LBB1458_701
; %bb.700:                              ;   in Loop: Header=BB1458_694 Depth=2
	global_load_dword v151, v[37:38], off offset:128
.LBB1458_701:                           ;   in Loop: Header=BB1458_694 Depth=2
	s_or_b32 exec_lo, exec_lo, s23
	s_waitcnt vmcnt(11)
	v_bfrev_b32_e32 v158, -2
	v_bfrev_b32_e32 v154, -2
	s_mov_b32 s23, exec_lo
	v_cmpx_gt_u32_e64 s62, v109
	s_cbranch_execz .LBB1458_703
; %bb.702:                              ;   in Loop: Header=BB1458_694 Depth=2
	global_load_dword v154, v[37:38], off offset:256
.LBB1458_703:                           ;   in Loop: Header=BB1458_694 Depth=2
	s_or_b32 exec_lo, exec_lo, s23
	s_mov_b32 s23, exec_lo
	v_cmpx_gt_u32_e64 s62, v110
	s_cbranch_execz .LBB1458_705
; %bb.704:                              ;   in Loop: Header=BB1458_694 Depth=2
	global_load_dword v158, v[37:38], off offset:384
.LBB1458_705:                           ;   in Loop: Header=BB1458_694 Depth=2
	s_or_b32 exec_lo, exec_lo, s23
	s_waitcnt vmcnt(9)
	v_bfrev_b32_e32 v168, -2
	v_bfrev_b32_e32 v162, -2
	s_mov_b32 s23, exec_lo
	v_cmpx_gt_u32_e64 s62, v111
	s_cbranch_execz .LBB1458_707
; %bb.706:                              ;   in Loop: Header=BB1458_694 Depth=2
	global_load_dword v162, v[37:38], off offset:512
.LBB1458_707:                           ;   in Loop: Header=BB1458_694 Depth=2
	;; [unrolled: 17-line block ×6, first 2 shown]
	s_or_b32 exec_lo, exec_lo, s23
	s_mov_b32 s23, exec_lo
	v_cmpx_gt_u32_e64 s62, v121
	s_cbranch_execz .LBB1458_725
; %bb.724:                              ;   in Loop: Header=BB1458_694 Depth=2
	global_load_dword v40, v[37:38], off offset:1664
.LBB1458_725:                           ;   in Loop: Header=BB1458_694 Depth=2
	s_or_b32 exec_lo, exec_lo, s23
	s_waitcnt vmcnt(0)
	v_bfrev_b32_e32 v39, -2
	s_mov_b32 s23, exec_lo
	v_cmpx_gt_u32_e64 s62, v122
	s_cbranch_execz .LBB1458_727
; %bb.726:                              ;   in Loop: Header=BB1458_694 Depth=2
	global_load_dword v39, v[37:38], off offset:1792
.LBB1458_727:                           ;   in Loop: Header=BB1458_694 Depth=2
	s_or_b32 exec_lo, exec_lo, s23
	v_cmp_gt_u32_e64 s23, s62, v123
	s_sub_i32 s24, s59, s46
.LBB1458_728:                           ;   in Loop: Header=BB1458_694 Depth=2
	v_bfrev_b32_e32 v37, -2
	v_mov_b32_e32 v150, s62
	s_and_saveexec_b32 s25, s23
	s_cbranch_execz .LBB1458_730
; %bb.729:                              ;   in Loop: Header=BB1458_694 Depth=2
	s_lshl_b64 s[26:27], s[46:47], 2
	v_mov_b32_e32 v150, s24
	v_add_co_u32 v37, vcc_lo, v129, s26
	v_add_co_ci_u32_e64 v38, null, s27, v130, vcc_lo
	global_load_dword v37, v[37:38], off offset:1920
.LBB1458_730:                           ;   in Loop: Header=BB1458_694 Depth=2
	s_or_b32 exec_lo, exec_lo, s25
	s_waitcnt vmcnt(14)
	v_cmp_lt_i32_e32 vcc_lo, -1, v3
	ds_write2_b32 v65, v4, v4 offset0:136 offset1:137
	ds_write2_b32 v65, v4, v4 offset0:138 offset1:139
	ds_write_b32 v65, v4 offset:560
	s_waitcnt vmcnt(0) lgkmcnt(0)
	s_barrier
	v_cndmask_b32_e64 v38, -1, 0x80000000, vcc_lo
	buffer_gl0_inv
	; wave barrier
	v_xor_b32_e32 v3, v38, v3
	v_cmp_ne_u32_e32 vcc_lo, 0x7fffffff, v3
	v_cndmask_b32_e32 v38, 0x80000000, v3, vcc_lo
	v_lshrrev_b32_e32 v38, s53, v38
	v_and_b32_e32 v153, s61, v38
	v_and_b32_e32 v38, 1, v153
	v_lshlrev_b32_e32 v152, 30, v153
	v_lshlrev_b32_e32 v155, 29, v153
	;; [unrolled: 1-line block ×4, first 2 shown]
	v_add_co_u32 v38, s23, v38, -1
	v_cndmask_b32_e64 v156, 0, 1, s23
	v_not_b32_e32 v161, v152
	v_cmp_gt_i32_e64 s23, 0, v152
	v_not_b32_e32 v152, v155
	v_lshlrev_b32_e32 v160, 26, v153
	v_cmp_ne_u32_e32 vcc_lo, 0, v156
	v_ashrrev_i32_e32 v161, 31, v161
	v_lshlrev_b32_e32 v156, 25, v153
	v_ashrrev_i32_e32 v152, 31, v152
	v_mul_u32_u24_e32 v153, 36, v153
	v_xor_b32_e32 v38, vcc_lo, v38
	v_cmp_gt_i32_e32 vcc_lo, 0, v155
	v_not_b32_e32 v155, v157
	v_xor_b32_e32 v161, s23, v161
	v_cmp_gt_i32_e64 s23, 0, v157
	v_and_b32_e32 v38, exec_lo, v38
	v_not_b32_e32 v157, v159
	v_ashrrev_i32_e32 v155, 31, v155
	v_xor_b32_e32 v152, vcc_lo, v152
	v_cmp_gt_i32_e32 vcc_lo, 0, v159
	v_and_b32_e32 v38, v38, v161
	v_not_b32_e32 v159, v160
	v_ashrrev_i32_e32 v157, 31, v157
	v_xor_b32_e32 v155, s23, v155
	v_cmp_gt_i32_e64 s23, 0, v160
	v_and_b32_e32 v38, v38, v152
	v_not_b32_e32 v152, v156
	v_ashrrev_i32_e32 v159, 31, v159
	v_xor_b32_e32 v157, vcc_lo, v157
	v_cmp_gt_i32_e32 vcc_lo, 0, v156
	v_and_b32_e32 v38, v38, v155
	v_ashrrev_i32_e32 v152, 31, v152
	v_xor_b32_e32 v155, s23, v159
	v_add_nc_u32_e32 v153, v131, v153
	v_and_b32_e32 v38, v38, v157
	v_xor_b32_e32 v152, vcc_lo, v152
	v_and_b32_e32 v38, v38, v155
	v_and_b32_e32 v38, v38, v152
	v_mbcnt_lo_u32_b32 v152, v38, 0
	v_cmp_ne_u32_e64 s23, 0, v38
	v_cmp_eq_u32_e32 vcc_lo, 0, v152
	s_and_b32 s24, s23, vcc_lo
	s_and_saveexec_b32 s23, s24
; %bb.731:                              ;   in Loop: Header=BB1458_694 Depth=2
	v_bcnt_u32_b32 v38, v38, 0
	ds_write_b32 v153, v38 offset:544
; %bb.732:                              ;   in Loop: Header=BB1458_694 Depth=2
	s_or_b32 exec_lo, exec_lo, s23
	v_cmp_lt_i32_e32 vcc_lo, -1, v151
	; wave barrier
	v_cndmask_b32_e64 v38, -1, 0x80000000, vcc_lo
	v_xor_b32_e32 v151, v38, v151
	v_cmp_ne_u32_e32 vcc_lo, 0x7fffffff, v151
	v_cndmask_b32_e32 v38, 0x80000000, v151, vcc_lo
	v_lshrrev_b32_e32 v38, s53, v38
	v_and_b32_e32 v157, s61, v38
	v_and_b32_e32 v38, 1, v157
	v_lshlrev_b32_e32 v155, 30, v157
	v_lshlrev_b32_e32 v156, 29, v157
	;; [unrolled: 1-line block ×4, first 2 shown]
	v_add_co_u32 v38, s23, v38, -1
	v_cndmask_b32_e64 v159, 0, 1, s23
	v_not_b32_e32 v165, v155
	v_cmp_gt_i32_e64 s23, 0, v155
	v_not_b32_e32 v155, v156
	v_lshlrev_b32_e32 v163, 26, v157
	v_cmp_ne_u32_e32 vcc_lo, 0, v159
	v_ashrrev_i32_e32 v165, 31, v165
	v_lshlrev_b32_e32 v159, 25, v157
	v_ashrrev_i32_e32 v155, 31, v155
	v_xor_b32_e32 v38, vcc_lo, v38
	v_cmp_gt_i32_e32 vcc_lo, 0, v156
	v_not_b32_e32 v156, v160
	v_xor_b32_e32 v165, s23, v165
	v_cmp_gt_i32_e64 s23, 0, v160
	v_and_b32_e32 v38, exec_lo, v38
	v_not_b32_e32 v160, v161
	v_ashrrev_i32_e32 v156, 31, v156
	v_xor_b32_e32 v155, vcc_lo, v155
	v_cmp_gt_i32_e32 vcc_lo, 0, v161
	v_and_b32_e32 v38, v38, v165
	v_not_b32_e32 v161, v163
	v_ashrrev_i32_e32 v160, 31, v160
	v_xor_b32_e32 v156, s23, v156
	v_cmp_gt_i32_e64 s23, 0, v163
	v_and_b32_e32 v38, v38, v155
	v_not_b32_e32 v155, v159
	v_ashrrev_i32_e32 v161, 31, v161
	v_xor_b32_e32 v160, vcc_lo, v160
	v_cmp_gt_i32_e32 vcc_lo, 0, v159
	v_and_b32_e32 v38, v38, v156
	v_ashrrev_i32_e32 v155, 31, v155
	v_xor_b32_e32 v156, s23, v161
	v_mad_u32_u24 v159, v157, 36, v131
	v_mul_u32_u24_e32 v157, 36, v157
	v_and_b32_e32 v38, v38, v160
	v_xor_b32_e32 v160, vcc_lo, v155
	ds_read_b32 v155, v159 offset:544
	v_add_nc_u32_e32 v157, v131, v157
	v_and_b32_e32 v38, v38, v156
	; wave barrier
	v_and_b32_e32 v38, v38, v160
	v_mbcnt_lo_u32_b32 v156, v38, 0
	v_cmp_ne_u32_e64 s23, 0, v38
	v_cmp_eq_u32_e32 vcc_lo, 0, v156
	s_and_b32 s24, s23, vcc_lo
	s_and_saveexec_b32 s23, s24
	s_cbranch_execz .LBB1458_734
; %bb.733:                              ;   in Loop: Header=BB1458_694 Depth=2
	s_waitcnt lgkmcnt(0)
	v_bcnt_u32_b32 v38, v38, v155
	ds_write_b32 v157, v38 offset:544
.LBB1458_734:                           ;   in Loop: Header=BB1458_694 Depth=2
	s_or_b32 exec_lo, exec_lo, s23
	v_cmp_lt_i32_e32 vcc_lo, -1, v154
	; wave barrier
	v_cndmask_b32_e64 v38, -1, 0x80000000, vcc_lo
	v_xor_b32_e32 v154, v38, v154
	v_cmp_ne_u32_e32 vcc_lo, 0x7fffffff, v154
	v_cndmask_b32_e32 v38, 0x80000000, v154, vcc_lo
	v_lshrrev_b32_e32 v38, s53, v38
	v_and_b32_e32 v161, s61, v38
	v_and_b32_e32 v38, 1, v161
	v_lshlrev_b32_e32 v159, 30, v161
	v_lshlrev_b32_e32 v160, 29, v161
	;; [unrolled: 1-line block ×4, first 2 shown]
	v_add_co_u32 v38, s23, v38, -1
	v_cndmask_b32_e64 v163, 0, 1, s23
	v_not_b32_e32 v170, v159
	v_cmp_gt_i32_e64 s23, 0, v159
	v_not_b32_e32 v159, v160
	v_lshlrev_b32_e32 v169, 26, v161
	v_cmp_ne_u32_e32 vcc_lo, 0, v163
	v_ashrrev_i32_e32 v170, 31, v170
	v_lshlrev_b32_e32 v163, 25, v161
	v_ashrrev_i32_e32 v159, 31, v159
	v_xor_b32_e32 v38, vcc_lo, v38
	v_cmp_gt_i32_e32 vcc_lo, 0, v160
	v_not_b32_e32 v160, v165
	v_xor_b32_e32 v170, s23, v170
	v_cmp_gt_i32_e64 s23, 0, v165
	v_and_b32_e32 v38, exec_lo, v38
	v_not_b32_e32 v165, v166
	v_ashrrev_i32_e32 v160, 31, v160
	v_xor_b32_e32 v159, vcc_lo, v159
	v_cmp_gt_i32_e32 vcc_lo, 0, v166
	v_and_b32_e32 v38, v38, v170
	v_not_b32_e32 v166, v169
	v_ashrrev_i32_e32 v165, 31, v165
	v_xor_b32_e32 v160, s23, v160
	v_cmp_gt_i32_e64 s23, 0, v169
	v_and_b32_e32 v38, v38, v159
	v_not_b32_e32 v159, v163
	v_ashrrev_i32_e32 v166, 31, v166
	v_xor_b32_e32 v165, vcc_lo, v165
	v_cmp_gt_i32_e32 vcc_lo, 0, v163
	v_and_b32_e32 v38, v38, v160
	v_ashrrev_i32_e32 v159, 31, v159
	v_xor_b32_e32 v160, s23, v166
	v_mad_u32_u24 v163, v161, 36, v131
	v_mul_u32_u24_e32 v161, 36, v161
	v_and_b32_e32 v38, v38, v165
	v_xor_b32_e32 v165, vcc_lo, v159
	ds_read_b32 v159, v163 offset:544
	v_add_nc_u32_e32 v161, v131, v161
	v_and_b32_e32 v38, v38, v160
	; wave barrier
	v_and_b32_e32 v38, v38, v165
	v_mbcnt_lo_u32_b32 v160, v38, 0
	v_cmp_ne_u32_e64 s23, 0, v38
	v_cmp_eq_u32_e32 vcc_lo, 0, v160
	s_and_b32 s24, s23, vcc_lo
	s_and_saveexec_b32 s23, s24
	s_cbranch_execz .LBB1458_736
; %bb.735:                              ;   in Loop: Header=BB1458_694 Depth=2
	s_waitcnt lgkmcnt(0)
	v_bcnt_u32_b32 v38, v38, v159
	ds_write_b32 v161, v38 offset:544
.LBB1458_736:                           ;   in Loop: Header=BB1458_694 Depth=2
	s_or_b32 exec_lo, exec_lo, s23
	v_cmp_lt_i32_e32 vcc_lo, -1, v158
	; wave barrier
	v_cndmask_b32_e64 v38, -1, 0x80000000, vcc_lo
	v_xor_b32_e32 v158, v38, v158
	v_cmp_ne_u32_e32 vcc_lo, 0x7fffffff, v158
	v_cndmask_b32_e32 v38, 0x80000000, v158, vcc_lo
	v_lshrrev_b32_e32 v38, s53, v38
	v_and_b32_e32 v166, s61, v38
	v_and_b32_e32 v38, 1, v166
	v_lshlrev_b32_e32 v163, 30, v166
	v_lshlrev_b32_e32 v165, 29, v166
	;; [unrolled: 1-line block ×4, first 2 shown]
	v_add_co_u32 v38, s23, v38, -1
	v_cndmask_b32_e64 v169, 0, 1, s23
	v_not_b32_e32 v175, v163
	v_cmp_gt_i32_e64 s23, 0, v163
	v_not_b32_e32 v163, v165
	v_lshlrev_b32_e32 v174, 26, v166
	v_cmp_ne_u32_e32 vcc_lo, 0, v169
	v_ashrrev_i32_e32 v175, 31, v175
	v_lshlrev_b32_e32 v169, 25, v166
	v_ashrrev_i32_e32 v163, 31, v163
	v_xor_b32_e32 v38, vcc_lo, v38
	v_cmp_gt_i32_e32 vcc_lo, 0, v165
	v_not_b32_e32 v165, v170
	v_xor_b32_e32 v175, s23, v175
	v_cmp_gt_i32_e64 s23, 0, v170
	v_and_b32_e32 v38, exec_lo, v38
	v_not_b32_e32 v170, v171
	v_ashrrev_i32_e32 v165, 31, v165
	v_xor_b32_e32 v163, vcc_lo, v163
	v_cmp_gt_i32_e32 vcc_lo, 0, v171
	v_and_b32_e32 v38, v38, v175
	v_not_b32_e32 v171, v174
	v_ashrrev_i32_e32 v170, 31, v170
	v_xor_b32_e32 v165, s23, v165
	v_cmp_gt_i32_e64 s23, 0, v174
	v_and_b32_e32 v38, v38, v163
	v_not_b32_e32 v163, v169
	v_ashrrev_i32_e32 v171, 31, v171
	v_xor_b32_e32 v170, vcc_lo, v170
	v_cmp_gt_i32_e32 vcc_lo, 0, v169
	v_and_b32_e32 v38, v38, v165
	v_ashrrev_i32_e32 v163, 31, v163
	v_xor_b32_e32 v165, s23, v171
	v_mad_u32_u24 v169, v166, 36, v131
	v_mul_u32_u24_e32 v166, 36, v166
	v_and_b32_e32 v38, v38, v170
	v_xor_b32_e32 v170, vcc_lo, v163
	ds_read_b32 v163, v169 offset:544
	v_add_nc_u32_e32 v166, v131, v166
	v_and_b32_e32 v38, v38, v165
	; wave barrier
	v_and_b32_e32 v38, v38, v170
	v_mbcnt_lo_u32_b32 v165, v38, 0
	v_cmp_ne_u32_e64 s23, 0, v38
	v_cmp_eq_u32_e32 vcc_lo, 0, v165
	s_and_b32 s24, s23, vcc_lo
	s_and_saveexec_b32 s23, s24
	s_cbranch_execz .LBB1458_738
; %bb.737:                              ;   in Loop: Header=BB1458_694 Depth=2
	s_waitcnt lgkmcnt(0)
	v_bcnt_u32_b32 v38, v38, v163
	ds_write_b32 v166, v38 offset:544
.LBB1458_738:                           ;   in Loop: Header=BB1458_694 Depth=2
	s_or_b32 exec_lo, exec_lo, s23
	v_cmp_lt_i32_e32 vcc_lo, -1, v162
	; wave barrier
	v_cndmask_b32_e64 v38, -1, 0x80000000, vcc_lo
	v_xor_b32_e32 v162, v38, v162
	v_cmp_ne_u32_e32 vcc_lo, 0x7fffffff, v162
	v_cndmask_b32_e32 v38, 0x80000000, v162, vcc_lo
	v_lshrrev_b32_e32 v38, s53, v38
	v_and_b32_e32 v171, s61, v38
	v_and_b32_e32 v38, 1, v171
	v_lshlrev_b32_e32 v169, 30, v171
	v_lshlrev_b32_e32 v170, 29, v171
	;; [unrolled: 1-line block ×4, first 2 shown]
	v_add_co_u32 v38, s23, v38, -1
	v_cndmask_b32_e64 v174, 0, 1, s23
	v_not_b32_e32 v180, v169
	v_cmp_gt_i32_e64 s23, 0, v169
	v_not_b32_e32 v169, v170
	v_lshlrev_b32_e32 v179, 26, v171
	v_cmp_ne_u32_e32 vcc_lo, 0, v174
	v_ashrrev_i32_e32 v180, 31, v180
	v_lshlrev_b32_e32 v174, 25, v171
	v_ashrrev_i32_e32 v169, 31, v169
	v_xor_b32_e32 v38, vcc_lo, v38
	v_cmp_gt_i32_e32 vcc_lo, 0, v170
	v_not_b32_e32 v170, v175
	v_xor_b32_e32 v180, s23, v180
	v_cmp_gt_i32_e64 s23, 0, v175
	v_and_b32_e32 v38, exec_lo, v38
	v_not_b32_e32 v175, v177
	v_ashrrev_i32_e32 v170, 31, v170
	v_xor_b32_e32 v169, vcc_lo, v169
	v_cmp_gt_i32_e32 vcc_lo, 0, v177
	v_and_b32_e32 v38, v38, v180
	v_not_b32_e32 v177, v179
	v_ashrrev_i32_e32 v175, 31, v175
	v_xor_b32_e32 v170, s23, v170
	v_cmp_gt_i32_e64 s23, 0, v179
	v_and_b32_e32 v38, v38, v169
	v_not_b32_e32 v169, v174
	v_ashrrev_i32_e32 v177, 31, v177
	v_xor_b32_e32 v175, vcc_lo, v175
	v_cmp_gt_i32_e32 vcc_lo, 0, v174
	v_and_b32_e32 v38, v38, v170
	v_ashrrev_i32_e32 v169, 31, v169
	v_xor_b32_e32 v170, s23, v177
	v_mad_u32_u24 v174, v171, 36, v131
	v_mul_u32_u24_e32 v171, 36, v171
	v_and_b32_e32 v38, v38, v175
	v_xor_b32_e32 v175, vcc_lo, v169
	ds_read_b32 v169, v174 offset:544
	v_add_nc_u32_e32 v171, v131, v171
	v_and_b32_e32 v38, v38, v170
	; wave barrier
	v_and_b32_e32 v38, v38, v175
	v_mbcnt_lo_u32_b32 v170, v38, 0
	v_cmp_ne_u32_e64 s23, 0, v38
	v_cmp_eq_u32_e32 vcc_lo, 0, v170
	s_and_b32 s24, s23, vcc_lo
	s_and_saveexec_b32 s23, s24
	s_cbranch_execz .LBB1458_740
; %bb.739:                              ;   in Loop: Header=BB1458_694 Depth=2
	s_waitcnt lgkmcnt(0)
	v_bcnt_u32_b32 v38, v38, v169
	ds_write_b32 v171, v38 offset:544
.LBB1458_740:                           ;   in Loop: Header=BB1458_694 Depth=2
	s_or_b32 exec_lo, exec_lo, s23
	v_cmp_lt_i32_e32 vcc_lo, -1, v168
	; wave barrier
	v_cndmask_b32_e64 v38, -1, 0x80000000, vcc_lo
	v_xor_b32_e32 v168, v38, v168
	v_cmp_ne_u32_e32 vcc_lo, 0x7fffffff, v168
	v_cndmask_b32_e32 v38, 0x80000000, v168, vcc_lo
	v_lshrrev_b32_e32 v38, s53, v38
	v_and_b32_e32 v177, s61, v38
	v_and_b32_e32 v38, 1, v177
	v_lshlrev_b32_e32 v174, 30, v177
	v_lshlrev_b32_e32 v175, 29, v177
	;; [unrolled: 1-line block ×4, first 2 shown]
	v_add_co_u32 v38, s23, v38, -1
	v_cndmask_b32_e64 v179, 0, 1, s23
	v_not_b32_e32 v184, v174
	v_cmp_gt_i32_e64 s23, 0, v174
	v_not_b32_e32 v174, v175
	v_lshlrev_b32_e32 v183, 26, v177
	v_cmp_ne_u32_e32 vcc_lo, 0, v179
	v_ashrrev_i32_e32 v184, 31, v184
	v_lshlrev_b32_e32 v179, 25, v177
	v_ashrrev_i32_e32 v174, 31, v174
	v_xor_b32_e32 v38, vcc_lo, v38
	v_cmp_gt_i32_e32 vcc_lo, 0, v175
	v_not_b32_e32 v175, v180
	v_xor_b32_e32 v184, s23, v184
	v_cmp_gt_i32_e64 s23, 0, v180
	v_and_b32_e32 v38, exec_lo, v38
	v_not_b32_e32 v180, v182
	v_ashrrev_i32_e32 v175, 31, v175
	v_xor_b32_e32 v174, vcc_lo, v174
	v_cmp_gt_i32_e32 vcc_lo, 0, v182
	v_and_b32_e32 v38, v38, v184
	v_not_b32_e32 v182, v183
	v_ashrrev_i32_e32 v180, 31, v180
	v_xor_b32_e32 v175, s23, v175
	v_cmp_gt_i32_e64 s23, 0, v183
	v_and_b32_e32 v38, v38, v174
	v_not_b32_e32 v174, v179
	v_ashrrev_i32_e32 v182, 31, v182
	v_xor_b32_e32 v180, vcc_lo, v180
	v_cmp_gt_i32_e32 vcc_lo, 0, v179
	v_and_b32_e32 v38, v38, v175
	v_ashrrev_i32_e32 v174, 31, v174
	v_xor_b32_e32 v175, s23, v182
	v_mad_u32_u24 v179, v177, 36, v131
	v_mul_u32_u24_e32 v177, 36, v177
	v_and_b32_e32 v38, v38, v180
	v_xor_b32_e32 v180, vcc_lo, v174
	ds_read_b32 v174, v179 offset:544
	v_add_nc_u32_e32 v177, v131, v177
	v_and_b32_e32 v38, v38, v175
	; wave barrier
	v_and_b32_e32 v38, v38, v180
	v_mbcnt_lo_u32_b32 v175, v38, 0
	v_cmp_ne_u32_e64 s23, 0, v38
	v_cmp_eq_u32_e32 vcc_lo, 0, v175
	s_and_b32 s24, s23, vcc_lo
	s_and_saveexec_b32 s23, s24
	s_cbranch_execz .LBB1458_742
; %bb.741:                              ;   in Loop: Header=BB1458_694 Depth=2
	s_waitcnt lgkmcnt(0)
	v_bcnt_u32_b32 v38, v38, v174
	ds_write_b32 v177, v38 offset:544
.LBB1458_742:                           ;   in Loop: Header=BB1458_694 Depth=2
	s_or_b32 exec_lo, exec_lo, s23
	v_cmp_lt_i32_e32 vcc_lo, -1, v173
	; wave barrier
	v_cndmask_b32_e64 v38, -1, 0x80000000, vcc_lo
	v_xor_b32_e32 v173, v38, v173
	v_cmp_ne_u32_e32 vcc_lo, 0x7fffffff, v173
	v_cndmask_b32_e32 v38, 0x80000000, v173, vcc_lo
	v_lshrrev_b32_e32 v38, s53, v38
	v_and_b32_e32 v182, s61, v38
	v_and_b32_e32 v38, 1, v182
	v_lshlrev_b32_e32 v179, 30, v182
	v_lshlrev_b32_e32 v180, 29, v182
	;; [unrolled: 1-line block ×4, first 2 shown]
	v_add_co_u32 v38, s23, v38, -1
	v_cndmask_b32_e64 v183, 0, 1, s23
	v_not_b32_e32 v187, v179
	v_cmp_gt_i32_e64 s23, 0, v179
	v_not_b32_e32 v179, v180
	v_lshlrev_b32_e32 v186, 26, v182
	v_cmp_ne_u32_e32 vcc_lo, 0, v183
	v_ashrrev_i32_e32 v187, 31, v187
	v_lshlrev_b32_e32 v183, 25, v182
	v_ashrrev_i32_e32 v179, 31, v179
	v_xor_b32_e32 v38, vcc_lo, v38
	v_cmp_gt_i32_e32 vcc_lo, 0, v180
	v_not_b32_e32 v180, v184
	v_xor_b32_e32 v187, s23, v187
	v_cmp_gt_i32_e64 s23, 0, v184
	v_and_b32_e32 v38, exec_lo, v38
	v_not_b32_e32 v184, v185
	v_ashrrev_i32_e32 v180, 31, v180
	v_xor_b32_e32 v179, vcc_lo, v179
	v_cmp_gt_i32_e32 vcc_lo, 0, v185
	v_and_b32_e32 v38, v38, v187
	v_not_b32_e32 v185, v186
	v_ashrrev_i32_e32 v184, 31, v184
	v_xor_b32_e32 v180, s23, v180
	v_cmp_gt_i32_e64 s23, 0, v186
	v_and_b32_e32 v38, v38, v179
	v_not_b32_e32 v179, v183
	v_ashrrev_i32_e32 v185, 31, v185
	v_xor_b32_e32 v184, vcc_lo, v184
	v_cmp_gt_i32_e32 vcc_lo, 0, v183
	v_and_b32_e32 v38, v38, v180
	v_ashrrev_i32_e32 v179, 31, v179
	v_xor_b32_e32 v180, s23, v185
	v_mad_u32_u24 v183, v182, 36, v131
	v_mul_u32_u24_e32 v182, 36, v182
	v_and_b32_e32 v38, v38, v184
	v_xor_b32_e32 v184, vcc_lo, v179
	ds_read_b32 v179, v183 offset:544
	v_add_nc_u32_e32 v182, v131, v182
	v_and_b32_e32 v38, v38, v180
	; wave barrier
	v_and_b32_e32 v38, v38, v184
	v_mbcnt_lo_u32_b32 v180, v38, 0
	v_cmp_ne_u32_e64 s23, 0, v38
	v_cmp_eq_u32_e32 vcc_lo, 0, v180
	s_and_b32 s24, s23, vcc_lo
	s_and_saveexec_b32 s23, s24
	s_cbranch_execz .LBB1458_744
; %bb.743:                              ;   in Loop: Header=BB1458_694 Depth=2
	s_waitcnt lgkmcnt(0)
	v_bcnt_u32_b32 v38, v38, v179
	ds_write_b32 v182, v38 offset:544
.LBB1458_744:                           ;   in Loop: Header=BB1458_694 Depth=2
	s_or_b32 exec_lo, exec_lo, s23
	v_cmp_lt_i32_e32 vcc_lo, -1, v178
	; wave barrier
	v_cndmask_b32_e64 v38, -1, 0x80000000, vcc_lo
	v_xor_b32_e32 v178, v38, v178
	v_cmp_ne_u32_e32 vcc_lo, 0x7fffffff, v178
	v_cndmask_b32_e32 v38, 0x80000000, v178, vcc_lo
	v_lshrrev_b32_e32 v38, s53, v38
	v_and_b32_e32 v185, s61, v38
	v_and_b32_e32 v38, 1, v185
	v_lshlrev_b32_e32 v183, 30, v185
	v_lshlrev_b32_e32 v184, 29, v185
	;; [unrolled: 1-line block ×4, first 2 shown]
	v_add_co_u32 v38, s23, v38, -1
	v_cndmask_b32_e64 v186, 0, 1, s23
	v_not_b32_e32 v190, v183
	v_cmp_gt_i32_e64 s23, 0, v183
	v_not_b32_e32 v183, v184
	v_lshlrev_b32_e32 v189, 26, v185
	v_cmp_ne_u32_e32 vcc_lo, 0, v186
	v_ashrrev_i32_e32 v190, 31, v190
	v_lshlrev_b32_e32 v186, 25, v185
	v_ashrrev_i32_e32 v183, 31, v183
	v_xor_b32_e32 v38, vcc_lo, v38
	v_cmp_gt_i32_e32 vcc_lo, 0, v184
	v_not_b32_e32 v184, v187
	v_xor_b32_e32 v190, s23, v190
	v_cmp_gt_i32_e64 s23, 0, v187
	v_and_b32_e32 v38, exec_lo, v38
	v_not_b32_e32 v187, v188
	v_ashrrev_i32_e32 v184, 31, v184
	v_xor_b32_e32 v183, vcc_lo, v183
	v_cmp_gt_i32_e32 vcc_lo, 0, v188
	v_and_b32_e32 v38, v38, v190
	v_not_b32_e32 v188, v189
	v_ashrrev_i32_e32 v187, 31, v187
	v_xor_b32_e32 v184, s23, v184
	v_cmp_gt_i32_e64 s23, 0, v189
	v_and_b32_e32 v38, v38, v183
	v_not_b32_e32 v183, v186
	v_ashrrev_i32_e32 v188, 31, v188
	v_xor_b32_e32 v187, vcc_lo, v187
	v_cmp_gt_i32_e32 vcc_lo, 0, v186
	v_and_b32_e32 v38, v38, v184
	v_ashrrev_i32_e32 v183, 31, v183
	v_xor_b32_e32 v184, s23, v188
	v_mad_u32_u24 v186, v185, 36, v131
	v_mul_u32_u24_e32 v185, 36, v185
	v_and_b32_e32 v38, v38, v187
	v_xor_b32_e32 v187, vcc_lo, v183
	ds_read_b32 v183, v186 offset:544
	v_add_nc_u32_e32 v185, v131, v185
	v_and_b32_e32 v38, v38, v184
	; wave barrier
	v_and_b32_e32 v38, v38, v187
	v_mbcnt_lo_u32_b32 v184, v38, 0
	v_cmp_ne_u32_e64 s23, 0, v38
	v_cmp_eq_u32_e32 vcc_lo, 0, v184
	s_and_b32 s24, s23, vcc_lo
	s_and_saveexec_b32 s23, s24
	s_cbranch_execz .LBB1458_746
; %bb.745:                              ;   in Loop: Header=BB1458_694 Depth=2
	s_waitcnt lgkmcnt(0)
	v_bcnt_u32_b32 v38, v38, v183
	ds_write_b32 v185, v38 offset:544
.LBB1458_746:                           ;   in Loop: Header=BB1458_694 Depth=2
	s_or_b32 exec_lo, exec_lo, s23
	v_cmp_lt_i32_e32 vcc_lo, -1, v181
	; wave barrier
	v_cndmask_b32_e64 v38, -1, 0x80000000, vcc_lo
	v_xor_b32_e32 v181, v38, v181
	v_cmp_ne_u32_e32 vcc_lo, 0x7fffffff, v181
	v_cndmask_b32_e32 v38, 0x80000000, v181, vcc_lo
	v_lshrrev_b32_e32 v38, s53, v38
	v_and_b32_e32 v188, s61, v38
	v_and_b32_e32 v38, 1, v188
	v_lshlrev_b32_e32 v186, 30, v188
	v_lshlrev_b32_e32 v187, 29, v188
	;; [unrolled: 1-line block ×4, first 2 shown]
	v_add_co_u32 v38, s23, v38, -1
	v_cndmask_b32_e64 v189, 0, 1, s23
	v_not_b32_e32 v193, v186
	v_cmp_gt_i32_e64 s23, 0, v186
	v_not_b32_e32 v186, v187
	v_lshlrev_b32_e32 v192, 26, v188
	v_cmp_ne_u32_e32 vcc_lo, 0, v189
	v_ashrrev_i32_e32 v193, 31, v193
	v_lshlrev_b32_e32 v189, 25, v188
	v_ashrrev_i32_e32 v186, 31, v186
	v_xor_b32_e32 v38, vcc_lo, v38
	v_cmp_gt_i32_e32 vcc_lo, 0, v187
	v_not_b32_e32 v187, v190
	v_xor_b32_e32 v193, s23, v193
	v_cmp_gt_i32_e64 s23, 0, v190
	v_and_b32_e32 v38, exec_lo, v38
	v_not_b32_e32 v190, v191
	v_ashrrev_i32_e32 v187, 31, v187
	v_xor_b32_e32 v186, vcc_lo, v186
	v_cmp_gt_i32_e32 vcc_lo, 0, v191
	v_and_b32_e32 v38, v38, v193
	v_not_b32_e32 v191, v192
	v_ashrrev_i32_e32 v190, 31, v190
	v_xor_b32_e32 v187, s23, v187
	v_cmp_gt_i32_e64 s23, 0, v192
	v_and_b32_e32 v38, v38, v186
	v_not_b32_e32 v186, v189
	v_ashrrev_i32_e32 v191, 31, v191
	v_xor_b32_e32 v190, vcc_lo, v190
	v_cmp_gt_i32_e32 vcc_lo, 0, v189
	v_and_b32_e32 v38, v38, v187
	v_ashrrev_i32_e32 v186, 31, v186
	v_xor_b32_e32 v187, s23, v191
	v_mad_u32_u24 v189, v188, 36, v131
	v_mul_u32_u24_e32 v188, 36, v188
	v_and_b32_e32 v38, v38, v190
	v_xor_b32_e32 v190, vcc_lo, v186
	ds_read_b32 v186, v189 offset:544
	v_add_nc_u32_e32 v188, v131, v188
	v_and_b32_e32 v38, v38, v187
	; wave barrier
	v_and_b32_e32 v38, v38, v190
	v_mbcnt_lo_u32_b32 v187, v38, 0
	v_cmp_ne_u32_e64 s23, 0, v38
	v_cmp_eq_u32_e32 vcc_lo, 0, v187
	s_and_b32 s24, s23, vcc_lo
	s_and_saveexec_b32 s23, s24
	s_cbranch_execz .LBB1458_748
; %bb.747:                              ;   in Loop: Header=BB1458_694 Depth=2
	s_waitcnt lgkmcnt(0)
	v_bcnt_u32_b32 v38, v38, v186
	ds_write_b32 v188, v38 offset:544
.LBB1458_748:                           ;   in Loop: Header=BB1458_694 Depth=2
	s_or_b32 exec_lo, exec_lo, s23
	v_cmp_lt_i32_e32 vcc_lo, -1, v176
	; wave barrier
	v_cndmask_b32_e64 v38, -1, 0x80000000, vcc_lo
	v_xor_b32_e32 v176, v38, v176
	v_cmp_ne_u32_e32 vcc_lo, 0x7fffffff, v176
	v_cndmask_b32_e32 v38, 0x80000000, v176, vcc_lo
	v_lshrrev_b32_e32 v38, s53, v38
	v_and_b32_e32 v191, s61, v38
	v_and_b32_e32 v38, 1, v191
	v_lshlrev_b32_e32 v189, 30, v191
	v_lshlrev_b32_e32 v190, 29, v191
	;; [unrolled: 1-line block ×4, first 2 shown]
	v_add_co_u32 v38, s23, v38, -1
	v_cndmask_b32_e64 v192, 0, 1, s23
	v_not_b32_e32 v196, v189
	v_cmp_gt_i32_e64 s23, 0, v189
	v_not_b32_e32 v189, v190
	v_lshlrev_b32_e32 v195, 26, v191
	v_cmp_ne_u32_e32 vcc_lo, 0, v192
	v_ashrrev_i32_e32 v196, 31, v196
	v_lshlrev_b32_e32 v192, 25, v191
	v_ashrrev_i32_e32 v189, 31, v189
	v_xor_b32_e32 v38, vcc_lo, v38
	v_cmp_gt_i32_e32 vcc_lo, 0, v190
	v_not_b32_e32 v190, v193
	v_xor_b32_e32 v196, s23, v196
	v_cmp_gt_i32_e64 s23, 0, v193
	v_and_b32_e32 v38, exec_lo, v38
	v_not_b32_e32 v193, v194
	v_ashrrev_i32_e32 v190, 31, v190
	v_xor_b32_e32 v189, vcc_lo, v189
	v_cmp_gt_i32_e32 vcc_lo, 0, v194
	v_and_b32_e32 v38, v38, v196
	v_not_b32_e32 v194, v195
	v_ashrrev_i32_e32 v193, 31, v193
	v_xor_b32_e32 v190, s23, v190
	v_cmp_gt_i32_e64 s23, 0, v195
	v_and_b32_e32 v38, v38, v189
	v_not_b32_e32 v189, v192
	v_ashrrev_i32_e32 v194, 31, v194
	v_xor_b32_e32 v193, vcc_lo, v193
	v_cmp_gt_i32_e32 vcc_lo, 0, v192
	v_and_b32_e32 v38, v38, v190
	v_ashrrev_i32_e32 v189, 31, v189
	v_xor_b32_e32 v190, s23, v194
	v_mad_u32_u24 v192, v191, 36, v131
	v_mul_u32_u24_e32 v191, 36, v191
	v_and_b32_e32 v38, v38, v193
	v_xor_b32_e32 v193, vcc_lo, v189
	ds_read_b32 v189, v192 offset:544
	v_add_nc_u32_e32 v191, v131, v191
	v_and_b32_e32 v38, v38, v190
	; wave barrier
	v_and_b32_e32 v38, v38, v193
	v_mbcnt_lo_u32_b32 v190, v38, 0
	v_cmp_ne_u32_e64 s23, 0, v38
	v_cmp_eq_u32_e32 vcc_lo, 0, v190
	s_and_b32 s24, s23, vcc_lo
	s_and_saveexec_b32 s23, s24
	s_cbranch_execz .LBB1458_750
; %bb.749:                              ;   in Loop: Header=BB1458_694 Depth=2
	s_waitcnt lgkmcnt(0)
	v_bcnt_u32_b32 v38, v38, v189
	ds_write_b32 v191, v38 offset:544
.LBB1458_750:                           ;   in Loop: Header=BB1458_694 Depth=2
	s_or_b32 exec_lo, exec_lo, s23
	v_cmp_lt_i32_e32 vcc_lo, -1, v172
	; wave barrier
	v_cndmask_b32_e64 v38, -1, 0x80000000, vcc_lo
	v_xor_b32_e32 v172, v38, v172
	v_cmp_ne_u32_e32 vcc_lo, 0x7fffffff, v172
	v_cndmask_b32_e32 v38, 0x80000000, v172, vcc_lo
	v_lshrrev_b32_e32 v38, s53, v38
	v_and_b32_e32 v192, s61, v38
	v_and_b32_e32 v38, 1, v192
	v_lshlrev_b32_e32 v193, 30, v192
	v_lshlrev_b32_e32 v194, 29, v192
	;; [unrolled: 1-line block ×4, first 2 shown]
	v_add_co_u32 v38, s23, v38, -1
	v_cndmask_b32_e64 v195, 0, 1, s23
	v_not_b32_e32 v199, v193
	v_cmp_gt_i32_e64 s23, 0, v193
	v_not_b32_e32 v193, v194
	v_lshlrev_b32_e32 v198, 26, v192
	v_cmp_ne_u32_e32 vcc_lo, 0, v195
	v_ashrrev_i32_e32 v199, 31, v199
	v_lshlrev_b32_e32 v195, 25, v192
	v_ashrrev_i32_e32 v193, 31, v193
	v_xor_b32_e32 v38, vcc_lo, v38
	v_cmp_gt_i32_e32 vcc_lo, 0, v194
	v_not_b32_e32 v194, v196
	v_xor_b32_e32 v199, s23, v199
	v_cmp_gt_i32_e64 s23, 0, v196
	v_and_b32_e32 v38, exec_lo, v38
	v_not_b32_e32 v196, v197
	v_ashrrev_i32_e32 v194, 31, v194
	v_xor_b32_e32 v193, vcc_lo, v193
	v_cmp_gt_i32_e32 vcc_lo, 0, v197
	v_and_b32_e32 v38, v38, v199
	v_not_b32_e32 v197, v198
	v_ashrrev_i32_e32 v196, 31, v196
	v_xor_b32_e32 v194, s23, v194
	v_cmp_gt_i32_e64 s23, 0, v198
	v_and_b32_e32 v38, v38, v193
	v_not_b32_e32 v193, v195
	v_ashrrev_i32_e32 v197, 31, v197
	v_xor_b32_e32 v196, vcc_lo, v196
	v_cmp_gt_i32_e32 vcc_lo, 0, v195
	v_and_b32_e32 v38, v38, v194
	v_ashrrev_i32_e32 v193, 31, v193
	v_xor_b32_e32 v194, s23, v197
	v_mad_u32_u24 v195, v192, 36, v131
	v_mul_u32_u24_e32 v192, 36, v192
	v_and_b32_e32 v38, v38, v196
	v_xor_b32_e32 v196, vcc_lo, v193
	ds_read_b32 v193, v195 offset:544
	v_add_nc_u32_e32 v195, v131, v192
	v_and_b32_e32 v38, v38, v194
	; wave barrier
	v_and_b32_e32 v38, v38, v196
	v_mbcnt_lo_u32_b32 v194, v38, 0
	v_cmp_ne_u32_e64 s23, 0, v38
	v_cmp_eq_u32_e32 vcc_lo, 0, v194
	s_and_b32 s24, s23, vcc_lo
	s_and_saveexec_b32 s23, s24
	s_cbranch_execz .LBB1458_752
; %bb.751:                              ;   in Loop: Header=BB1458_694 Depth=2
	s_waitcnt lgkmcnt(0)
	v_bcnt_u32_b32 v38, v38, v193
	ds_write_b32 v195, v38 offset:544
.LBB1458_752:                           ;   in Loop: Header=BB1458_694 Depth=2
	s_or_b32 exec_lo, exec_lo, s23
	v_cmp_lt_i32_e32 vcc_lo, -1, v167
	; wave barrier
	v_cndmask_b32_e64 v38, -1, 0x80000000, vcc_lo
	v_xor_b32_e32 v192, v38, v167
	v_cmp_ne_u32_e32 vcc_lo, 0x7fffffff, v192
	v_cndmask_b32_e32 v38, 0x80000000, v192, vcc_lo
	v_lshrrev_b32_e32 v38, s53, v38
	v_and_b32_e32 v167, s61, v38
	v_and_b32_e32 v38, 1, v167
	v_lshlrev_b32_e32 v196, 30, v167
	v_lshlrev_b32_e32 v197, 29, v167
	;; [unrolled: 1-line block ×4, first 2 shown]
	v_add_co_u32 v38, s23, v38, -1
	v_cndmask_b32_e64 v198, 0, 1, s23
	v_not_b32_e32 v202, v196
	v_cmp_gt_i32_e64 s23, 0, v196
	v_not_b32_e32 v196, v197
	v_lshlrev_b32_e32 v201, 26, v167
	v_cmp_ne_u32_e32 vcc_lo, 0, v198
	v_ashrrev_i32_e32 v202, 31, v202
	v_lshlrev_b32_e32 v198, 25, v167
	v_ashrrev_i32_e32 v196, 31, v196
	v_xor_b32_e32 v38, vcc_lo, v38
	v_cmp_gt_i32_e32 vcc_lo, 0, v197
	v_not_b32_e32 v197, v199
	v_xor_b32_e32 v202, s23, v202
	v_cmp_gt_i32_e64 s23, 0, v199
	v_and_b32_e32 v38, exec_lo, v38
	v_not_b32_e32 v199, v200
	v_ashrrev_i32_e32 v197, 31, v197
	v_xor_b32_e32 v196, vcc_lo, v196
	v_cmp_gt_i32_e32 vcc_lo, 0, v200
	v_and_b32_e32 v38, v38, v202
	v_not_b32_e32 v200, v201
	v_ashrrev_i32_e32 v199, 31, v199
	v_xor_b32_e32 v197, s23, v197
	v_cmp_gt_i32_e64 s23, 0, v201
	v_and_b32_e32 v38, v38, v196
	v_not_b32_e32 v196, v198
	v_ashrrev_i32_e32 v200, 31, v200
	v_xor_b32_e32 v199, vcc_lo, v199
	v_cmp_gt_i32_e32 vcc_lo, 0, v198
	v_and_b32_e32 v38, v38, v197
	v_ashrrev_i32_e32 v196, 31, v196
	v_xor_b32_e32 v197, s23, v200
	v_mad_u32_u24 v198, v167, 36, v131
	v_mul_u32_u24_e32 v167, 36, v167
	v_and_b32_e32 v38, v38, v199
	v_xor_b32_e32 v196, vcc_lo, v196
	v_add_nc_u32_e32 v167, v131, v167
	v_and_b32_e32 v38, v38, v197
	ds_read_b32 v197, v198 offset:544
	; wave barrier
	v_and_b32_e32 v38, v38, v196
	v_mbcnt_lo_u32_b32 v198, v38, 0
	v_cmp_ne_u32_e64 s23, 0, v38
	v_cmp_eq_u32_e32 vcc_lo, 0, v198
	s_and_b32 s24, s23, vcc_lo
	s_and_saveexec_b32 s23, s24
	s_cbranch_execz .LBB1458_754
; %bb.753:                              ;   in Loop: Header=BB1458_694 Depth=2
	s_waitcnt lgkmcnt(0)
	v_bcnt_u32_b32 v38, v38, v197
	ds_write_b32 v167, v38 offset:544
.LBB1458_754:                           ;   in Loop: Header=BB1458_694 Depth=2
	s_or_b32 exec_lo, exec_lo, s23
	v_cmp_lt_i32_e32 vcc_lo, -1, v164
	; wave barrier
	v_cndmask_b32_e64 v38, -1, 0x80000000, vcc_lo
	v_xor_b32_e32 v196, v38, v164
	v_cmp_ne_u32_e32 vcc_lo, 0x7fffffff, v196
	v_cndmask_b32_e32 v38, 0x80000000, v196, vcc_lo
	v_lshrrev_b32_e32 v38, s53, v38
	v_and_b32_e32 v164, s61, v38
	v_and_b32_e32 v38, 1, v164
	v_lshlrev_b32_e32 v199, 30, v164
	v_lshlrev_b32_e32 v200, 29, v164
	;; [unrolled: 1-line block ×4, first 2 shown]
	v_add_co_u32 v38, s23, v38, -1
	v_cndmask_b32_e64 v201, 0, 1, s23
	v_not_b32_e32 v205, v199
	v_cmp_gt_i32_e64 s23, 0, v199
	v_not_b32_e32 v199, v200
	v_lshlrev_b32_e32 v204, 26, v164
	v_cmp_ne_u32_e32 vcc_lo, 0, v201
	v_ashrrev_i32_e32 v205, 31, v205
	v_lshlrev_b32_e32 v201, 25, v164
	v_ashrrev_i32_e32 v199, 31, v199
	v_xor_b32_e32 v38, vcc_lo, v38
	v_cmp_gt_i32_e32 vcc_lo, 0, v200
	v_not_b32_e32 v200, v202
	v_xor_b32_e32 v205, s23, v205
	v_cmp_gt_i32_e64 s23, 0, v202
	v_and_b32_e32 v38, exec_lo, v38
	v_not_b32_e32 v202, v203
	v_ashrrev_i32_e32 v200, 31, v200
	v_xor_b32_e32 v199, vcc_lo, v199
	v_cmp_gt_i32_e32 vcc_lo, 0, v203
	v_and_b32_e32 v38, v38, v205
	v_not_b32_e32 v203, v204
	v_ashrrev_i32_e32 v202, 31, v202
	v_xor_b32_e32 v200, s23, v200
	v_cmp_gt_i32_e64 s23, 0, v204
	v_and_b32_e32 v38, v38, v199
	v_not_b32_e32 v199, v201
	v_ashrrev_i32_e32 v203, 31, v203
	v_xor_b32_e32 v202, vcc_lo, v202
	v_cmp_gt_i32_e32 vcc_lo, 0, v201
	v_and_b32_e32 v38, v38, v200
	v_ashrrev_i32_e32 v199, 31, v199
	v_xor_b32_e32 v200, s23, v203
	v_mad_u32_u24 v201, v164, 36, v131
	v_mul_u32_u24_e32 v164, 36, v164
	v_and_b32_e32 v38, v38, v202
	v_xor_b32_e32 v199, vcc_lo, v199
	v_add_nc_u32_e32 v164, v131, v164
	v_and_b32_e32 v38, v38, v200
	ds_read_b32 v200, v201 offset:544
	; wave barrier
	v_and_b32_e32 v38, v38, v199
	v_mbcnt_lo_u32_b32 v201, v38, 0
	v_cmp_ne_u32_e64 s23, 0, v38
	v_cmp_eq_u32_e32 vcc_lo, 0, v201
	s_and_b32 s24, s23, vcc_lo
	s_and_saveexec_b32 s23, s24
	s_cbranch_execz .LBB1458_756
; %bb.755:                              ;   in Loop: Header=BB1458_694 Depth=2
	s_waitcnt lgkmcnt(0)
	v_bcnt_u32_b32 v38, v38, v200
	ds_write_b32 v164, v38 offset:544
.LBB1458_756:                           ;   in Loop: Header=BB1458_694 Depth=2
	s_or_b32 exec_lo, exec_lo, s23
	v_cmp_lt_i32_e32 vcc_lo, -1, v40
	; wave barrier
	v_cndmask_b32_e64 v38, -1, 0x80000000, vcc_lo
	v_xor_b32_e32 v199, v38, v40
	v_cmp_ne_u32_e32 vcc_lo, 0x7fffffff, v199
	v_cndmask_b32_e32 v38, 0x80000000, v199, vcc_lo
	v_lshrrev_b32_e32 v38, s53, v38
	v_and_b32_e32 v40, s61, v38
	v_and_b32_e32 v38, 1, v40
	v_lshlrev_b32_e32 v202, 30, v40
	v_lshlrev_b32_e32 v203, 29, v40
	;; [unrolled: 1-line block ×4, first 2 shown]
	v_add_co_u32 v38, s23, v38, -1
	v_cndmask_b32_e64 v204, 0, 1, s23
	v_not_b32_e32 v208, v202
	v_cmp_gt_i32_e64 s23, 0, v202
	v_not_b32_e32 v202, v203
	v_lshlrev_b32_e32 v207, 26, v40
	v_cmp_ne_u32_e32 vcc_lo, 0, v204
	v_ashrrev_i32_e32 v208, 31, v208
	v_lshlrev_b32_e32 v204, 25, v40
	v_ashrrev_i32_e32 v202, 31, v202
	v_xor_b32_e32 v38, vcc_lo, v38
	v_cmp_gt_i32_e32 vcc_lo, 0, v203
	v_not_b32_e32 v203, v205
	v_xor_b32_e32 v208, s23, v208
	v_cmp_gt_i32_e64 s23, 0, v205
	v_and_b32_e32 v38, exec_lo, v38
	v_not_b32_e32 v205, v206
	v_ashrrev_i32_e32 v203, 31, v203
	v_xor_b32_e32 v202, vcc_lo, v202
	v_cmp_gt_i32_e32 vcc_lo, 0, v206
	v_and_b32_e32 v38, v38, v208
	v_not_b32_e32 v206, v207
	v_ashrrev_i32_e32 v205, 31, v205
	v_xor_b32_e32 v203, s23, v203
	v_cmp_gt_i32_e64 s23, 0, v207
	v_and_b32_e32 v38, v38, v202
	v_not_b32_e32 v202, v204
	v_ashrrev_i32_e32 v206, 31, v206
	v_xor_b32_e32 v205, vcc_lo, v205
	v_cmp_gt_i32_e32 vcc_lo, 0, v204
	v_and_b32_e32 v38, v38, v203
	v_ashrrev_i32_e32 v202, 31, v202
	v_xor_b32_e32 v203, s23, v206
	v_mad_u32_u24 v204, v40, 36, v131
	v_mul_u32_u24_e32 v40, 36, v40
	v_and_b32_e32 v38, v38, v205
	v_xor_b32_e32 v202, vcc_lo, v202
	v_add_nc_u32_e32 v205, v131, v40
	v_and_b32_e32 v38, v38, v203
	ds_read_b32 v203, v204 offset:544
	; wave barrier
	v_and_b32_e32 v38, v38, v202
	v_mbcnt_lo_u32_b32 v204, v38, 0
	v_cmp_ne_u32_e64 s23, 0, v38
	v_cmp_eq_u32_e32 vcc_lo, 0, v204
	s_and_b32 s24, s23, vcc_lo
	s_and_saveexec_b32 s23, s24
	s_cbranch_execz .LBB1458_758
; %bb.757:                              ;   in Loop: Header=BB1458_694 Depth=2
	s_waitcnt lgkmcnt(0)
	v_bcnt_u32_b32 v38, v38, v203
	ds_write_b32 v205, v38 offset:544
.LBB1458_758:                           ;   in Loop: Header=BB1458_694 Depth=2
	s_or_b32 exec_lo, exec_lo, s23
	v_cmp_lt_i32_e32 vcc_lo, -1, v39
	; wave barrier
	v_cndmask_b32_e64 v38, -1, 0x80000000, vcc_lo
	v_xor_b32_e32 v202, v38, v39
	v_cmp_ne_u32_e32 vcc_lo, 0x7fffffff, v202
	v_cndmask_b32_e32 v38, 0x80000000, v202, vcc_lo
	v_lshrrev_b32_e32 v38, s53, v38
	v_and_b32_e32 v39, s61, v38
	v_and_b32_e32 v38, 1, v39
	v_lshlrev_b32_e32 v40, 30, v39
	v_lshlrev_b32_e32 v206, 29, v39
	v_lshlrev_b32_e32 v208, 28, v39
	v_lshlrev_b32_e32 v209, 27, v39
	v_add_co_u32 v38, s23, v38, -1
	v_cndmask_b32_e64 v207, 0, 1, s23
	v_not_b32_e32 v211, v40
	v_cmp_gt_i32_e64 s23, 0, v40
	v_not_b32_e32 v40, v206
	v_lshlrev_b32_e32 v210, 26, v39
	v_cmp_ne_u32_e32 vcc_lo, 0, v207
	v_ashrrev_i32_e32 v211, 31, v211
	v_lshlrev_b32_e32 v207, 25, v39
	v_ashrrev_i32_e32 v40, 31, v40
	v_xor_b32_e32 v38, vcc_lo, v38
	v_cmp_gt_i32_e32 vcc_lo, 0, v206
	v_not_b32_e32 v206, v208
	v_xor_b32_e32 v211, s23, v211
	v_cmp_gt_i32_e64 s23, 0, v208
	v_and_b32_e32 v38, exec_lo, v38
	v_not_b32_e32 v208, v209
	v_ashrrev_i32_e32 v206, 31, v206
	v_xor_b32_e32 v40, vcc_lo, v40
	v_cmp_gt_i32_e32 vcc_lo, 0, v209
	v_and_b32_e32 v38, v38, v211
	v_not_b32_e32 v209, v210
	v_ashrrev_i32_e32 v208, 31, v208
	v_xor_b32_e32 v206, s23, v206
	v_cmp_gt_i32_e64 s23, 0, v210
	v_and_b32_e32 v38, v38, v40
	v_not_b32_e32 v40, v207
	v_ashrrev_i32_e32 v209, 31, v209
	v_xor_b32_e32 v208, vcc_lo, v208
	v_cmp_gt_i32_e32 vcc_lo, 0, v207
	v_and_b32_e32 v38, v38, v206
	v_ashrrev_i32_e32 v40, 31, v40
	v_xor_b32_e32 v206, s23, v209
	v_mad_u32_u24 v207, v39, 36, v131
	v_mul_u32_u24_e32 v39, 36, v39
	v_and_b32_e32 v38, v38, v208
	v_xor_b32_e32 v40, vcc_lo, v40
	ds_read_b32 v207, v207 offset:544
	v_add_nc_u32_e32 v209, v131, v39
	v_and_b32_e32 v38, v38, v206
	; wave barrier
	v_and_b32_e32 v38, v38, v40
	v_mbcnt_lo_u32_b32 v208, v38, 0
	v_cmp_ne_u32_e64 s23, 0, v38
	v_cmp_eq_u32_e32 vcc_lo, 0, v208
	s_and_b32 s24, s23, vcc_lo
	s_and_saveexec_b32 s23, s24
	s_cbranch_execz .LBB1458_760
; %bb.759:                              ;   in Loop: Header=BB1458_694 Depth=2
	s_waitcnt lgkmcnt(0)
	v_bcnt_u32_b32 v38, v38, v207
	ds_write_b32 v209, v38 offset:544
.LBB1458_760:                           ;   in Loop: Header=BB1458_694 Depth=2
	s_or_b32 exec_lo, exec_lo, s23
	v_cmp_lt_i32_e32 vcc_lo, -1, v37
	; wave barrier
	v_cndmask_b32_e64 v38, -1, 0x80000000, vcc_lo
	v_xor_b32_e32 v206, v38, v37
	v_cmp_ne_u32_e32 vcc_lo, 0x7fffffff, v206
	v_cndmask_b32_e32 v37, 0x80000000, v206, vcc_lo
	v_lshrrev_b32_e32 v37, s53, v37
	v_and_b32_e32 v38, s61, v37
	v_and_b32_e32 v37, 1, v38
	v_lshlrev_b32_e32 v39, 30, v38
	v_lshlrev_b32_e32 v40, 29, v38
	v_lshlrev_b32_e32 v211, 28, v38
	v_lshlrev_b32_e32 v212, 27, v38
	v_add_co_u32 v37, s23, v37, -1
	v_cndmask_b32_e64 v210, 0, 1, s23
	v_not_b32_e32 v214, v39
	v_cmp_gt_i32_e64 s23, 0, v39
	v_not_b32_e32 v39, v40
	v_lshlrev_b32_e32 v213, 26, v38
	v_cmp_ne_u32_e32 vcc_lo, 0, v210
	v_ashrrev_i32_e32 v214, 31, v214
	v_lshlrev_b32_e32 v210, 25, v38
	v_ashrrev_i32_e32 v39, 31, v39
	v_xor_b32_e32 v37, vcc_lo, v37
	v_cmp_gt_i32_e32 vcc_lo, 0, v40
	v_not_b32_e32 v40, v211
	v_xor_b32_e32 v214, s23, v214
	v_cmp_gt_i32_e64 s23, 0, v211
	v_and_b32_e32 v37, exec_lo, v37
	v_not_b32_e32 v211, v212
	v_ashrrev_i32_e32 v40, 31, v40
	v_xor_b32_e32 v39, vcc_lo, v39
	v_cmp_gt_i32_e32 vcc_lo, 0, v212
	v_and_b32_e32 v37, v37, v214
	v_not_b32_e32 v212, v213
	v_ashrrev_i32_e32 v211, 31, v211
	v_xor_b32_e32 v40, s23, v40
	v_cmp_gt_i32_e64 s23, 0, v213
	v_and_b32_e32 v37, v37, v39
	v_not_b32_e32 v39, v210
	v_ashrrev_i32_e32 v212, 31, v212
	v_xor_b32_e32 v211, vcc_lo, v211
	v_cmp_gt_i32_e32 vcc_lo, 0, v210
	v_and_b32_e32 v37, v37, v40
	v_ashrrev_i32_e32 v39, 31, v39
	v_xor_b32_e32 v40, s23, v212
	v_mad_u32_u24 v210, v38, 36, v131
	v_mul_u32_u24_e32 v38, 36, v38
	v_and_b32_e32 v37, v37, v211
	v_xor_b32_e32 v39, vcc_lo, v39
	ds_read_b32 v210, v210 offset:544
	v_add_nc_u32_e32 v212, v131, v38
	v_and_b32_e32 v37, v37, v40
	; wave barrier
	v_and_b32_e32 v37, v37, v39
	v_mbcnt_lo_u32_b32 v211, v37, 0
	v_cmp_ne_u32_e64 s23, 0, v37
	v_cmp_eq_u32_e32 vcc_lo, 0, v211
	s_and_b32 s24, s23, vcc_lo
	s_and_saveexec_b32 s23, s24
	s_cbranch_execz .LBB1458_762
; %bb.761:                              ;   in Loop: Header=BB1458_694 Depth=2
	s_waitcnt lgkmcnt(0)
	v_bcnt_u32_b32 v37, v37, v210
	ds_write_b32 v212, v37 offset:544
.LBB1458_762:                           ;   in Loop: Header=BB1458_694 Depth=2
	s_or_b32 exec_lo, exec_lo, s23
	; wave barrier
	s_waitcnt lgkmcnt(0)
	s_barrier
	buffer_gl0_inv
	ds_read2_b32 v[39:40], v65 offset0:136 offset1:137
	ds_read2_b32 v[37:38], v65 offset0:138 offset1:139
	ds_read_b32 v213, v65 offset:560
	s_waitcnt lgkmcnt(1)
	v_add3_u32 v214, v40, v39, v37
	s_waitcnt lgkmcnt(0)
	v_add3_u32 v213, v214, v38, v213
	v_mov_b32_dpp v214, v213 row_shr:1 row_mask:0xf bank_mask:0xf
	v_cndmask_b32_e64 v214, v214, 0, s5
	v_add_nc_u32_e32 v213, v214, v213
	v_mov_b32_dpp v214, v213 row_shr:2 row_mask:0xf bank_mask:0xf
	v_cndmask_b32_e64 v214, 0, v214, s16
	v_add_nc_u32_e32 v213, v213, v214
	;; [unrolled: 3-line block ×4, first 2 shown]
	ds_swizzle_b32 v214, v213 offset:swizzle(BROADCAST,32,15)
	s_waitcnt lgkmcnt(0)
	v_cndmask_b32_e64 v214, v214, 0, s19
	v_add_nc_u32_e32 v213, v213, v214
	s_and_saveexec_b32 s23, s4
; %bb.763:                              ;   in Loop: Header=BB1458_694 Depth=2
	ds_write_b32 v60, v213 offset:512
; %bb.764:                              ;   in Loop: Header=BB1458_694 Depth=2
	s_or_b32 exec_lo, exec_lo, s23
	s_waitcnt lgkmcnt(0)
	s_barrier
	buffer_gl0_inv
	s_and_saveexec_b32 s23, s12
	s_cbranch_execz .LBB1458_766
; %bb.765:                              ;   in Loop: Header=BB1458_694 Depth=2
	ds_read_b32 v214, v66 offset:512
	s_waitcnt lgkmcnt(0)
	v_mov_b32_dpp v215, v214 row_shr:1 row_mask:0xf bank_mask:0xf
	v_cndmask_b32_e64 v215, v215, 0, s20
	v_add_nc_u32_e32 v214, v215, v214
	v_mov_b32_dpp v215, v214 row_shr:2 row_mask:0xf bank_mask:0xf
	v_cndmask_b32_e64 v215, 0, v215, s21
	v_add_nc_u32_e32 v214, v214, v215
	;; [unrolled: 3-line block ×3, first 2 shown]
	ds_write_b32 v66, v214 offset:512
.LBB1458_766:                           ;   in Loop: Header=BB1458_694 Depth=2
	s_or_b32 exec_lo, exec_lo, s23
	v_mov_b32_e32 v214, 0
	s_waitcnt lgkmcnt(0)
	s_barrier
	buffer_gl0_inv
	s_and_saveexec_b32 s23, s11
; %bb.767:                              ;   in Loop: Header=BB1458_694 Depth=2
	ds_read_b32 v214, v60 offset:508
; %bb.768:                              ;   in Loop: Header=BB1458_694 Depth=2
	s_or_b32 exec_lo, exec_lo, s23
	s_waitcnt lgkmcnt(0)
	v_add_nc_u32_e32 v213, v214, v213
	ds_bpermute_b32 v213, v126, v213
	s_waitcnt lgkmcnt(0)
	v_cndmask_b32_e64 v213, v213, v214, s15
	v_cndmask_b32_e64 v213, v213, 0, s13
	v_add_nc_u32_e32 v39, v213, v39
	v_add_nc_u32_e32 v40, v39, v40
	;; [unrolled: 1-line block ×4, first 2 shown]
	ds_write2_b32 v65, v213, v39 offset0:136 offset1:137
	ds_write2_b32 v65, v40, v37 offset0:138 offset1:139
	ds_write_b32 v65, v38 offset:560
	s_waitcnt lgkmcnt(0)
	s_barrier
	buffer_gl0_inv
	ds_read_b32 v39, v153 offset:544
	ds_read_b32 v40, v157 offset:544
	;; [unrolled: 1-line block ×16, first 2 shown]
	s_and_saveexec_b32 s23, s8
	s_cbranch_execz .LBB1458_772
; %bb.769:                              ;   in Loop: Header=BB1458_694 Depth=2
	ds_read_b32 v144, v68 offset:544
	v_mov_b32_e32 v149, 0x1000
	s_and_saveexec_b32 s24, s14
; %bb.770:                              ;   in Loop: Header=BB1458_694 Depth=2
	ds_read_b32 v149, v67 offset:544
; %bb.771:                              ;   in Loop: Header=BB1458_694 Depth=2
	s_or_b32 exec_lo, exec_lo, s24
	s_waitcnt lgkmcnt(0)
	v_sub_nc_u32_e32 v149, v149, v144
.LBB1458_772:                           ;   in Loop: Header=BB1458_694 Depth=2
	s_or_b32 exec_lo, exec_lo, s23
	s_waitcnt lgkmcnt(0)
	s_barrier
	buffer_gl0_inv
	s_and_saveexec_b32 s23, s8
	s_cbranch_execz .LBB1458_774
; %bb.773:                              ;   in Loop: Header=BB1458_694 Depth=2
	ds_read_b32 v164, v41
	s_waitcnt lgkmcnt(0)
	v_sub_nc_u32_e32 v164, v164, v144
	ds_write_b32 v41, v164
.LBB1458_774:                           ;   in Loop: Header=BB1458_694 Depth=2
	s_or_b32 exec_lo, exec_lo, s23
	v_add_nc_u32_e32 v171, v39, v152
	v_add3_u32 v167, v156, v155, v40
	v_add3_u32 v166, v160, v159, v153
	;; [unrolled: 1-line block ×5, first 2 shown]
	v_lshlrev_b32_e32 v169, 2, v171
	v_add3_u32 v155, v204, v203, v37
	v_lshlrev_b32_e32 v37, 2, v167
	v_add3_u32 v161, v180, v179, v182
	v_add3_u32 v160, v184, v183, v185
	ds_write_b32 v169, v3 offset:512
	v_lshlrev_b32_e32 v3, 2, v166
	ds_write_b32 v37, v151 offset:512
	v_lshlrev_b32_e32 v37, 2, v163
	v_add3_u32 v159, v187, v186, v188
	v_add3_u32 v153, v208, v207, v38
	v_lshlrev_b32_e32 v38, 2, v165
	v_add3_u32 v157, v190, v189, v191
	v_lshlrev_b32_e32 v169, 2, v164
	v_add3_u32 v156, v194, v193, v195
	v_add3_u32 v40, v198, v197, v214
	ds_write_b32 v3, v154 offset:512
	ds_write_b32 v38, v158 offset:512
	;; [unrolled: 1-line block ×3, first 2 shown]
	v_lshlrev_b32_e32 v3, 2, v161
	ds_write_b32 v37, v168 offset:512
	v_lshlrev_b32_e32 v37, 2, v160
	v_lshlrev_b32_e32 v38, 2, v159
	;; [unrolled: 1-line block ×3, first 2 shown]
	v_add3_u32 v39, v201, v200, v215
	v_add3_u32 v152, v211, v210, v177
	ds_write_b32 v3, v173 offset:512
	v_lshlrev_b32_e32 v3, 2, v156
	ds_write_b32 v37, v178 offset:512
	ds_write_b32 v38, v181 offset:512
	;; [unrolled: 1-line block ×3, first 2 shown]
	v_lshlrev_b32_e32 v37, 2, v40
	v_cmp_lt_u32_e32 vcc_lo, v0, v150
	v_lshlrev_b32_e32 v38, 2, v155
	ds_write_b32 v3, v172 offset:512
	v_lshlrev_b32_e32 v3, 2, v39
	ds_write_b32 v37, v192 offset:512
	v_lshlrev_b32_e32 v37, 2, v152
	v_lshlrev_b32_e32 v151, 2, v153
	ds_write_b32 v3, v196 offset:512
	ds_write_b32 v38, v199 offset:512
	;; [unrolled: 1-line block ×4, first 2 shown]
	s_waitcnt lgkmcnt(0)
	s_barrier
	buffer_gl0_inv
	s_and_saveexec_b32 s24, vcc_lo
	s_cbranch_execnz .LBB1458_843
; %bb.775:                              ;   in Loop: Header=BB1458_694 Depth=2
	s_or_b32 exec_lo, exec_lo, s24
	v_cmp_lt_u32_e64 s23, v42, v150
	s_and_saveexec_b32 s25, s23
	s_cbranch_execnz .LBB1458_844
.LBB1458_776:                           ;   in Loop: Header=BB1458_694 Depth=2
	s_or_b32 exec_lo, exec_lo, s25
	v_cmp_lt_u32_e64 s24, v45, v150
	s_and_saveexec_b32 s26, s24
	s_cbranch_execnz .LBB1458_845
.LBB1458_777:                           ;   in Loop: Header=BB1458_694 Depth=2
	s_or_b32 exec_lo, exec_lo, s26
	v_cmp_lt_u32_e64 s25, v46, v150
	s_and_saveexec_b32 s27, s25
	s_cbranch_execnz .LBB1458_846
.LBB1458_778:                           ;   in Loop: Header=BB1458_694 Depth=2
	s_or_b32 exec_lo, exec_lo, s27
	v_cmp_lt_u32_e64 s26, v47, v150
	s_and_saveexec_b32 s28, s26
	s_cbranch_execnz .LBB1458_847
.LBB1458_779:                           ;   in Loop: Header=BB1458_694 Depth=2
	s_or_b32 exec_lo, exec_lo, s28
	v_cmp_lt_u32_e64 s27, v48, v150
	s_and_saveexec_b32 s29, s27
	s_cbranch_execnz .LBB1458_848
.LBB1458_780:                           ;   in Loop: Header=BB1458_694 Depth=2
	s_or_b32 exec_lo, exec_lo, s29
	v_cmp_lt_u32_e64 s28, v49, v150
	s_and_saveexec_b32 s30, s28
	s_cbranch_execnz .LBB1458_849
.LBB1458_781:                           ;   in Loop: Header=BB1458_694 Depth=2
	s_or_b32 exec_lo, exec_lo, s30
	v_cmp_lt_u32_e64 s29, v50, v150
	s_and_saveexec_b32 s31, s29
	s_cbranch_execnz .LBB1458_850
.LBB1458_782:                           ;   in Loop: Header=BB1458_694 Depth=2
	s_or_b32 exec_lo, exec_lo, s31
	v_cmp_lt_u32_e64 s30, v51, v150
	s_and_saveexec_b32 s33, s30
	s_cbranch_execnz .LBB1458_851
.LBB1458_783:                           ;   in Loop: Header=BB1458_694 Depth=2
	s_or_b32 exec_lo, exec_lo, s33
	v_cmp_lt_u32_e64 s31, v52, v150
	s_and_saveexec_b32 s34, s31
	s_cbranch_execnz .LBB1458_852
.LBB1458_784:                           ;   in Loop: Header=BB1458_694 Depth=2
	s_or_b32 exec_lo, exec_lo, s34
	v_cmp_lt_u32_e64 s33, v53, v150
	s_and_saveexec_b32 s35, s33
	s_cbranch_execnz .LBB1458_853
.LBB1458_785:                           ;   in Loop: Header=BB1458_694 Depth=2
	s_or_b32 exec_lo, exec_lo, s35
	v_cmp_lt_u32_e64 s34, v54, v150
	s_and_saveexec_b32 s36, s34
	s_cbranch_execnz .LBB1458_854
.LBB1458_786:                           ;   in Loop: Header=BB1458_694 Depth=2
	s_or_b32 exec_lo, exec_lo, s36
	v_cmp_lt_u32_e64 s35, v55, v150
	s_and_saveexec_b32 s37, s35
	s_cbranch_execnz .LBB1458_855
.LBB1458_787:                           ;   in Loop: Header=BB1458_694 Depth=2
	s_or_b32 exec_lo, exec_lo, s37
	v_cmp_lt_u32_e64 s36, v56, v150
	s_and_saveexec_b32 s38, s36
	s_cbranch_execnz .LBB1458_856
.LBB1458_788:                           ;   in Loop: Header=BB1458_694 Depth=2
	s_or_b32 exec_lo, exec_lo, s38
	v_cmp_lt_u32_e64 s37, v57, v150
	s_and_saveexec_b32 s39, s37
	s_cbranch_execnz .LBB1458_857
.LBB1458_789:                           ;   in Loop: Header=BB1458_694 Depth=2
	s_or_b32 exec_lo, exec_lo, s39
	v_cmp_lt_u32_e64 s38, v58, v150
	s_and_saveexec_b32 s64, s38
	s_cbranch_execz .LBB1458_791
.LBB1458_790:                           ;   in Loop: Header=BB1458_694 Depth=2
	ds_read_b32 v151, v66 offset:15872
	s_waitcnt lgkmcnt(0)
	v_cmp_ne_u32_e64 s39, 0x7fffffff, v151
	v_cndmask_b32_e64 v3, 0x80000000, v151, s39
	v_cmp_lt_i32_e64 s39, -1, v151
	v_lshrrev_b32_e32 v3, s53, v3
	v_cndmask_b32_e64 v154, 0x80000000, -1, s39
	v_and_b32_e32 v3, s61, v3
	v_lshlrev_b32_e32 v3, 2, v3
	ds_read_b32 v3, v3
	s_waitcnt lgkmcnt(0)
	v_add_nc_u32_e32 v3, v3, v58
	v_lshlrev_b64 v[37:38], 2, v[3:4]
	v_xor_b32_e32 v3, v154, v151
	v_add_co_u32 v37, s39, s42, v37
	v_add_co_ci_u32_e64 v38, null, s43, v38, s39
	global_store_dword v[37:38], v3, off
.LBB1458_791:                           ;   in Loop: Header=BB1458_694 Depth=2
	s_or_b32 exec_lo, exec_lo, s64
	s_lshl_b64 s[64:65], s[46:47], 3
	v_add_co_u32 v37, s39, v127, s64
	v_add_co_ci_u32_e64 v38, null, s65, v128, s39
	v_cmp_lt_u32_e64 s39, v105, v150
	s_and_saveexec_b32 s46, s39
	s_xor_b32 s39, exec_lo, s46
	s_cbranch_execnz .LBB1458_858
; %bb.792:                              ;   in Loop: Header=BB1458_694 Depth=2
	s_or_b32 exec_lo, exec_lo, s39
	s_mov_b32 s46, exec_lo
	v_cmpx_lt_u32_e64 v108, v150
	s_cbranch_execnz .LBB1458_859
.LBB1458_793:                           ;   in Loop: Header=BB1458_694 Depth=2
	s_or_b32 exec_lo, exec_lo, s46
	s_mov_b32 s46, exec_lo
	v_cmpx_lt_u32_e64 v109, v150
	s_cbranch_execnz .LBB1458_860
.LBB1458_794:                           ;   in Loop: Header=BB1458_694 Depth=2
	s_or_b32 exec_lo, exec_lo, s46
	s_mov_b32 s46, exec_lo
	v_cmpx_lt_u32_e64 v110, v150
	s_cbranch_execnz .LBB1458_861
.LBB1458_795:                           ;   in Loop: Header=BB1458_694 Depth=2
	s_or_b32 exec_lo, exec_lo, s46
	s_mov_b32 s46, exec_lo
	v_cmpx_lt_u32_e64 v111, v150
	s_cbranch_execnz .LBB1458_862
.LBB1458_796:                           ;   in Loop: Header=BB1458_694 Depth=2
	s_or_b32 exec_lo, exec_lo, s46
	s_mov_b32 s46, exec_lo
	v_cmpx_lt_u32_e64 v112, v150
	s_cbranch_execnz .LBB1458_863
.LBB1458_797:                           ;   in Loop: Header=BB1458_694 Depth=2
	s_or_b32 exec_lo, exec_lo, s46
	s_mov_b32 s46, exec_lo
	v_cmpx_lt_u32_e64 v113, v150
	s_cbranch_execnz .LBB1458_864
.LBB1458_798:                           ;   in Loop: Header=BB1458_694 Depth=2
	s_or_b32 exec_lo, exec_lo, s46
	s_mov_b32 s46, exec_lo
	v_cmpx_lt_u32_e64 v114, v150
	s_cbranch_execnz .LBB1458_865
.LBB1458_799:                           ;   in Loop: Header=BB1458_694 Depth=2
	s_or_b32 exec_lo, exec_lo, s46
	s_mov_b32 s46, exec_lo
	v_cmpx_lt_u32_e64 v115, v150
	s_cbranch_execnz .LBB1458_866
.LBB1458_800:                           ;   in Loop: Header=BB1458_694 Depth=2
	s_or_b32 exec_lo, exec_lo, s46
	s_mov_b32 s46, exec_lo
	v_cmpx_lt_u32_e64 v116, v150
	s_cbranch_execnz .LBB1458_867
.LBB1458_801:                           ;   in Loop: Header=BB1458_694 Depth=2
	s_or_b32 exec_lo, exec_lo, s46
	s_mov_b32 s46, exec_lo
	v_cmpx_lt_u32_e64 v117, v150
	s_cbranch_execnz .LBB1458_868
.LBB1458_802:                           ;   in Loop: Header=BB1458_694 Depth=2
	s_or_b32 exec_lo, exec_lo, s46
	s_mov_b32 s46, exec_lo
	v_cmpx_lt_u32_e64 v118, v150
	s_cbranch_execnz .LBB1458_869
.LBB1458_803:                           ;   in Loop: Header=BB1458_694 Depth=2
	s_or_b32 exec_lo, exec_lo, s46
	s_mov_b32 s46, exec_lo
	v_cmpx_lt_u32_e64 v119, v150
	s_cbranch_execnz .LBB1458_870
.LBB1458_804:                           ;   in Loop: Header=BB1458_694 Depth=2
	s_or_b32 exec_lo, exec_lo, s46
	s_mov_b32 s46, exec_lo
	v_cmpx_lt_u32_e64 v121, v150
	s_cbranch_execnz .LBB1458_871
.LBB1458_805:                           ;   in Loop: Header=BB1458_694 Depth=2
	s_or_b32 exec_lo, exec_lo, s46
	s_mov_b32 s46, exec_lo
	v_cmpx_lt_u32_e64 v122, v150
	s_cbranch_execnz .LBB1458_872
.LBB1458_806:                           ;   in Loop: Header=BB1458_694 Depth=2
	s_or_b32 exec_lo, exec_lo, s46
	s_mov_b32 s46, exec_lo
	v_cmpx_lt_u32_e64 v123, v150
	s_cbranch_execnz .LBB1458_873
.LBB1458_807:                           ;   in Loop: Header=BB1458_694 Depth=2
	s_or_b32 exec_lo, exec_lo, s46
	s_and_saveexec_b32 s46, vcc_lo
	s_cbranch_execnz .LBB1458_874
.LBB1458_808:                           ;   in Loop: Header=BB1458_694 Depth=2
	s_or_b32 exec_lo, exec_lo, s46
	s_and_saveexec_b32 s46, s23
	s_cbranch_execnz .LBB1458_875
.LBB1458_809:                           ;   in Loop: Header=BB1458_694 Depth=2
	s_or_b32 exec_lo, exec_lo, s46
	s_and_saveexec_b32 s46, s24
	s_cbranch_execnz .LBB1458_876
.LBB1458_810:                           ;   in Loop: Header=BB1458_694 Depth=2
	s_or_b32 exec_lo, exec_lo, s46
	s_and_saveexec_b32 s46, s25
	s_cbranch_execnz .LBB1458_877
.LBB1458_811:                           ;   in Loop: Header=BB1458_694 Depth=2
	s_or_b32 exec_lo, exec_lo, s46
	s_and_saveexec_b32 s46, s26
	s_cbranch_execnz .LBB1458_878
.LBB1458_812:                           ;   in Loop: Header=BB1458_694 Depth=2
	s_or_b32 exec_lo, exec_lo, s46
	s_and_saveexec_b32 s46, s27
	s_cbranch_execnz .LBB1458_879
.LBB1458_813:                           ;   in Loop: Header=BB1458_694 Depth=2
	s_or_b32 exec_lo, exec_lo, s46
	s_and_saveexec_b32 s46, s28
	s_cbranch_execnz .LBB1458_880
.LBB1458_814:                           ;   in Loop: Header=BB1458_694 Depth=2
	s_or_b32 exec_lo, exec_lo, s46
	s_and_saveexec_b32 s46, s29
	s_cbranch_execnz .LBB1458_881
.LBB1458_815:                           ;   in Loop: Header=BB1458_694 Depth=2
	s_or_b32 exec_lo, exec_lo, s46
	s_and_saveexec_b32 s46, s30
	s_cbranch_execnz .LBB1458_882
.LBB1458_816:                           ;   in Loop: Header=BB1458_694 Depth=2
	s_or_b32 exec_lo, exec_lo, s46
	s_and_saveexec_b32 s46, s31
	s_cbranch_execnz .LBB1458_883
.LBB1458_817:                           ;   in Loop: Header=BB1458_694 Depth=2
	s_or_b32 exec_lo, exec_lo, s46
	s_and_saveexec_b32 s46, s33
	s_cbranch_execnz .LBB1458_884
.LBB1458_818:                           ;   in Loop: Header=BB1458_694 Depth=2
	s_or_b32 exec_lo, exec_lo, s46
	s_and_saveexec_b32 s46, s34
	s_cbranch_execnz .LBB1458_885
.LBB1458_819:                           ;   in Loop: Header=BB1458_694 Depth=2
	s_or_b32 exec_lo, exec_lo, s46
	s_and_saveexec_b32 s46, s35
	s_cbranch_execnz .LBB1458_886
.LBB1458_820:                           ;   in Loop: Header=BB1458_694 Depth=2
	s_or_b32 exec_lo, exec_lo, s46
	s_and_saveexec_b32 s46, s36
	s_cbranch_execnz .LBB1458_887
.LBB1458_821:                           ;   in Loop: Header=BB1458_694 Depth=2
	s_or_b32 exec_lo, exec_lo, s46
	s_and_saveexec_b32 s46, s37
	s_cbranch_execnz .LBB1458_888
.LBB1458_822:                           ;   in Loop: Header=BB1458_694 Depth=2
	s_or_b32 exec_lo, exec_lo, s46
	s_and_saveexec_b32 s46, s38
	s_cbranch_execz .LBB1458_824
.LBB1458_823:                           ;   in Loop: Header=BB1458_694 Depth=2
	ds_read_b32 v3, v66 offset:15872
	s_waitcnt lgkmcnt(0)
	v_cmp_ne_u32_e64 s39, 0x7fffffff, v3
	v_cndmask_b32_e64 v3, 0x80000000, v3, s39
	v_lshrrev_b32_e32 v3, s53, v3
	v_and_b32_e32 v132, s61, v3
.LBB1458_824:                           ;   in Loop: Header=BB1458_694 Depth=2
	s_or_b32 exec_lo, exec_lo, s46
	v_lshlrev_b32_e32 v3, 3, v171
	v_lshlrev_b32_e32 v37, 3, v167
	s_waitcnt vmcnt(0)
	s_waitcnt_vscnt null, 0x0
	s_barrier
	buffer_gl0_inv
	ds_write_b64 v3, v[35:36] offset:512
	v_lshlrev_b32_e32 v3, 3, v166
	v_lshlrev_b32_e32 v38, 3, v165
	;; [unrolled: 1-line block ×4, first 2 shown]
	ds_write_b64 v37, v[33:34] offset:512
	ds_write_b64 v3, v[31:32] offset:512
	;; [unrolled: 1-line block ×5, first 2 shown]
	v_lshlrev_b32_e32 v3, 3, v161
	v_lshlrev_b32_e32 v37, 3, v160
	;; [unrolled: 1-line block ×5, first 2 shown]
	ds_write_b64 v3, v[19:20] offset:512
	ds_write_b64 v37, v[15:16] offset:512
	;; [unrolled: 1-line block ×5, first 2 shown]
	v_lshlrev_b32_e32 v3, 3, v40
	v_lshlrev_b32_e32 v37, 3, v39
	;; [unrolled: 1-line block ×5, first 2 shown]
	ds_write_b64 v3, v[13:14] offset:512
	ds_write_b64 v37, v[11:12] offset:512
	;; [unrolled: 1-line block ×5, first 2 shown]
	s_waitcnt lgkmcnt(0)
	s_barrier
	buffer_gl0_inv
	s_and_saveexec_b32 s39, vcc_lo
	s_cbranch_execnz .LBB1458_889
; %bb.825:                              ;   in Loop: Header=BB1458_694 Depth=2
	s_or_b32 exec_lo, exec_lo, s39
	s_and_saveexec_b32 s39, s23
	s_cbranch_execnz .LBB1458_890
.LBB1458_826:                           ;   in Loop: Header=BB1458_694 Depth=2
	s_or_b32 exec_lo, exec_lo, s39
	s_and_saveexec_b32 s23, s24
	s_cbranch_execnz .LBB1458_891
.LBB1458_827:                           ;   in Loop: Header=BB1458_694 Depth=2
	s_or_b32 exec_lo, exec_lo, s23
	s_and_saveexec_b32 s23, s25
	s_cbranch_execnz .LBB1458_892
.LBB1458_828:                           ;   in Loop: Header=BB1458_694 Depth=2
	s_or_b32 exec_lo, exec_lo, s23
	s_and_saveexec_b32 s23, s26
	s_cbranch_execnz .LBB1458_893
.LBB1458_829:                           ;   in Loop: Header=BB1458_694 Depth=2
	s_or_b32 exec_lo, exec_lo, s23
	s_and_saveexec_b32 s23, s27
	s_cbranch_execnz .LBB1458_894
.LBB1458_830:                           ;   in Loop: Header=BB1458_694 Depth=2
	s_or_b32 exec_lo, exec_lo, s23
	s_and_saveexec_b32 s23, s28
	s_cbranch_execnz .LBB1458_895
.LBB1458_831:                           ;   in Loop: Header=BB1458_694 Depth=2
	s_or_b32 exec_lo, exec_lo, s23
	s_and_saveexec_b32 s23, s29
	s_cbranch_execnz .LBB1458_896
.LBB1458_832:                           ;   in Loop: Header=BB1458_694 Depth=2
	s_or_b32 exec_lo, exec_lo, s23
	s_and_saveexec_b32 s23, s30
	s_cbranch_execnz .LBB1458_897
.LBB1458_833:                           ;   in Loop: Header=BB1458_694 Depth=2
	s_or_b32 exec_lo, exec_lo, s23
	s_and_saveexec_b32 s23, s31
	s_cbranch_execnz .LBB1458_898
.LBB1458_834:                           ;   in Loop: Header=BB1458_694 Depth=2
	s_or_b32 exec_lo, exec_lo, s23
	s_and_saveexec_b32 s23, s33
	s_cbranch_execnz .LBB1458_899
.LBB1458_835:                           ;   in Loop: Header=BB1458_694 Depth=2
	s_or_b32 exec_lo, exec_lo, s23
	s_and_saveexec_b32 s23, s34
	s_cbranch_execnz .LBB1458_900
.LBB1458_836:                           ;   in Loop: Header=BB1458_694 Depth=2
	s_or_b32 exec_lo, exec_lo, s23
	s_and_saveexec_b32 s23, s35
	s_cbranch_execnz .LBB1458_901
.LBB1458_837:                           ;   in Loop: Header=BB1458_694 Depth=2
	s_or_b32 exec_lo, exec_lo, s23
	s_and_saveexec_b32 s23, s36
	s_cbranch_execnz .LBB1458_902
.LBB1458_838:                           ;   in Loop: Header=BB1458_694 Depth=2
	s_or_b32 exec_lo, exec_lo, s23
	s_and_saveexec_b32 s23, s37
	s_cbranch_execnz .LBB1458_903
.LBB1458_839:                           ;   in Loop: Header=BB1458_694 Depth=2
	s_or_b32 exec_lo, exec_lo, s23
	s_and_saveexec_b32 s23, s38
	s_cbranch_execz .LBB1458_841
.LBB1458_840:                           ;   in Loop: Header=BB1458_694 Depth=2
	v_lshlrev_b32_e32 v3, 2, v132
	v_add_nc_u32_e32 v37, v66, v41
	ds_read_b32 v3, v3
	ds_read_b64 v[37:38], v37 offset:31232
	s_waitcnt lgkmcnt(1)
	v_add_nc_u32_e32 v3, v3, v58
	v_lshlrev_b64 v[39:40], 3, v[3:4]
	v_add_co_u32 v39, vcc_lo, s48, v39
	v_add_co_ci_u32_e64 v40, null, s49, v40, vcc_lo
	s_waitcnt lgkmcnt(0)
	global_store_dwordx2 v[39:40], v[37:38], off
.LBB1458_841:                           ;   in Loop: Header=BB1458_694 Depth=2
	s_or_b32 exec_lo, exec_lo, s23
	s_waitcnt_vscnt null, 0x0
	s_barrier
	buffer_gl0_inv
	s_and_saveexec_b32 s23, s8
	s_cbranch_execz .LBB1458_693
; %bb.842:                              ;   in Loop: Header=BB1458_694 Depth=2
	ds_read_b32 v3, v41
	s_waitcnt lgkmcnt(0)
	v_add3_u32 v3, v144, v149, v3
	ds_write_b32 v41, v3
	s_branch .LBB1458_693
.LBB1458_843:                           ;   in Loop: Header=BB1458_694 Depth=2
	ds_read_b32 v151, v66 offset:512
	s_waitcnt lgkmcnt(0)
	v_cmp_ne_u32_e64 s23, 0x7fffffff, v151
	v_cndmask_b32_e64 v3, 0x80000000, v151, s23
	v_cmp_lt_i32_e64 s23, -1, v151
	v_lshrrev_b32_e32 v3, s53, v3
	v_cndmask_b32_e64 v154, 0x80000000, -1, s23
	v_and_b32_e32 v3, s61, v3
	v_lshlrev_b32_e32 v3, 2, v3
	ds_read_b32 v3, v3
	s_waitcnt lgkmcnt(0)
	v_add_nc_u32_e32 v3, v3, v0
	v_lshlrev_b64 v[37:38], 2, v[3:4]
	v_xor_b32_e32 v3, v154, v151
	v_add_co_u32 v37, s23, s42, v37
	v_add_co_ci_u32_e64 v38, null, s43, v38, s23
	global_store_dword v[37:38], v3, off
	s_or_b32 exec_lo, exec_lo, s24
	v_cmp_lt_u32_e64 s23, v42, v150
	s_and_saveexec_b32 s25, s23
	s_cbranch_execz .LBB1458_776
.LBB1458_844:                           ;   in Loop: Header=BB1458_694 Depth=2
	ds_read_b32 v151, v66 offset:1536
	s_waitcnt lgkmcnt(0)
	v_cmp_ne_u32_e64 s24, 0x7fffffff, v151
	v_cndmask_b32_e64 v3, 0x80000000, v151, s24
	v_cmp_lt_i32_e64 s24, -1, v151
	v_lshrrev_b32_e32 v3, s53, v3
	v_cndmask_b32_e64 v154, 0x80000000, -1, s24
	v_and_b32_e32 v3, s61, v3
	v_lshlrev_b32_e32 v3, 2, v3
	ds_read_b32 v3, v3
	s_waitcnt lgkmcnt(0)
	v_add_nc_u32_e32 v3, v3, v42
	v_lshlrev_b64 v[37:38], 2, v[3:4]
	v_xor_b32_e32 v3, v154, v151
	v_add_co_u32 v37, s24, s42, v37
	v_add_co_ci_u32_e64 v38, null, s43, v38, s24
	global_store_dword v[37:38], v3, off
	s_or_b32 exec_lo, exec_lo, s25
	v_cmp_lt_u32_e64 s24, v45, v150
	s_and_saveexec_b32 s26, s24
	s_cbranch_execz .LBB1458_777
.LBB1458_845:                           ;   in Loop: Header=BB1458_694 Depth=2
	ds_read_b32 v151, v66 offset:2560
	s_waitcnt lgkmcnt(0)
	v_cmp_ne_u32_e64 s25, 0x7fffffff, v151
	v_cndmask_b32_e64 v3, 0x80000000, v151, s25
	v_cmp_lt_i32_e64 s25, -1, v151
	v_lshrrev_b32_e32 v3, s53, v3
	v_cndmask_b32_e64 v154, 0x80000000, -1, s25
	v_and_b32_e32 v3, s61, v3
	v_lshlrev_b32_e32 v3, 2, v3
	ds_read_b32 v3, v3
	s_waitcnt lgkmcnt(0)
	v_add_nc_u32_e32 v3, v3, v45
	v_lshlrev_b64 v[37:38], 2, v[3:4]
	v_xor_b32_e32 v3, v154, v151
	v_add_co_u32 v37, s25, s42, v37
	v_add_co_ci_u32_e64 v38, null, s43, v38, s25
	global_store_dword v[37:38], v3, off
	s_or_b32 exec_lo, exec_lo, s26
	v_cmp_lt_u32_e64 s25, v46, v150
	s_and_saveexec_b32 s27, s25
	s_cbranch_execz .LBB1458_778
.LBB1458_846:                           ;   in Loop: Header=BB1458_694 Depth=2
	ds_read_b32 v151, v66 offset:3584
	s_waitcnt lgkmcnt(0)
	v_cmp_ne_u32_e64 s26, 0x7fffffff, v151
	v_cndmask_b32_e64 v3, 0x80000000, v151, s26
	v_cmp_lt_i32_e64 s26, -1, v151
	v_lshrrev_b32_e32 v3, s53, v3
	v_cndmask_b32_e64 v154, 0x80000000, -1, s26
	v_and_b32_e32 v3, s61, v3
	v_lshlrev_b32_e32 v3, 2, v3
	ds_read_b32 v3, v3
	s_waitcnt lgkmcnt(0)
	v_add_nc_u32_e32 v3, v3, v46
	v_lshlrev_b64 v[37:38], 2, v[3:4]
	v_xor_b32_e32 v3, v154, v151
	v_add_co_u32 v37, s26, s42, v37
	v_add_co_ci_u32_e64 v38, null, s43, v38, s26
	global_store_dword v[37:38], v3, off
	s_or_b32 exec_lo, exec_lo, s27
	v_cmp_lt_u32_e64 s26, v47, v150
	s_and_saveexec_b32 s28, s26
	s_cbranch_execz .LBB1458_779
.LBB1458_847:                           ;   in Loop: Header=BB1458_694 Depth=2
	ds_read_b32 v151, v66 offset:4608
	s_waitcnt lgkmcnt(0)
	v_cmp_ne_u32_e64 s27, 0x7fffffff, v151
	v_cndmask_b32_e64 v3, 0x80000000, v151, s27
	v_cmp_lt_i32_e64 s27, -1, v151
	v_lshrrev_b32_e32 v3, s53, v3
	v_cndmask_b32_e64 v154, 0x80000000, -1, s27
	v_and_b32_e32 v3, s61, v3
	v_lshlrev_b32_e32 v3, 2, v3
	ds_read_b32 v3, v3
	s_waitcnt lgkmcnt(0)
	v_add_nc_u32_e32 v3, v3, v47
	v_lshlrev_b64 v[37:38], 2, v[3:4]
	v_xor_b32_e32 v3, v154, v151
	v_add_co_u32 v37, s27, s42, v37
	v_add_co_ci_u32_e64 v38, null, s43, v38, s27
	global_store_dword v[37:38], v3, off
	s_or_b32 exec_lo, exec_lo, s28
	v_cmp_lt_u32_e64 s27, v48, v150
	s_and_saveexec_b32 s29, s27
	s_cbranch_execz .LBB1458_780
.LBB1458_848:                           ;   in Loop: Header=BB1458_694 Depth=2
	ds_read_b32 v151, v66 offset:5632
	s_waitcnt lgkmcnt(0)
	v_cmp_ne_u32_e64 s28, 0x7fffffff, v151
	v_cndmask_b32_e64 v3, 0x80000000, v151, s28
	v_cmp_lt_i32_e64 s28, -1, v151
	v_lshrrev_b32_e32 v3, s53, v3
	v_cndmask_b32_e64 v154, 0x80000000, -1, s28
	v_and_b32_e32 v3, s61, v3
	v_lshlrev_b32_e32 v3, 2, v3
	ds_read_b32 v3, v3
	s_waitcnt lgkmcnt(0)
	v_add_nc_u32_e32 v3, v3, v48
	v_lshlrev_b64 v[37:38], 2, v[3:4]
	v_xor_b32_e32 v3, v154, v151
	v_add_co_u32 v37, s28, s42, v37
	v_add_co_ci_u32_e64 v38, null, s43, v38, s28
	global_store_dword v[37:38], v3, off
	s_or_b32 exec_lo, exec_lo, s29
	v_cmp_lt_u32_e64 s28, v49, v150
	s_and_saveexec_b32 s30, s28
	s_cbranch_execz .LBB1458_781
.LBB1458_849:                           ;   in Loop: Header=BB1458_694 Depth=2
	ds_read_b32 v151, v66 offset:6656
	s_waitcnt lgkmcnt(0)
	v_cmp_ne_u32_e64 s29, 0x7fffffff, v151
	v_cndmask_b32_e64 v3, 0x80000000, v151, s29
	v_cmp_lt_i32_e64 s29, -1, v151
	v_lshrrev_b32_e32 v3, s53, v3
	v_cndmask_b32_e64 v154, 0x80000000, -1, s29
	v_and_b32_e32 v3, s61, v3
	v_lshlrev_b32_e32 v3, 2, v3
	ds_read_b32 v3, v3
	s_waitcnt lgkmcnt(0)
	v_add_nc_u32_e32 v3, v3, v49
	v_lshlrev_b64 v[37:38], 2, v[3:4]
	v_xor_b32_e32 v3, v154, v151
	v_add_co_u32 v37, s29, s42, v37
	v_add_co_ci_u32_e64 v38, null, s43, v38, s29
	global_store_dword v[37:38], v3, off
	s_or_b32 exec_lo, exec_lo, s30
	v_cmp_lt_u32_e64 s29, v50, v150
	s_and_saveexec_b32 s31, s29
	s_cbranch_execz .LBB1458_782
.LBB1458_850:                           ;   in Loop: Header=BB1458_694 Depth=2
	ds_read_b32 v151, v66 offset:7680
	s_waitcnt lgkmcnt(0)
	v_cmp_ne_u32_e64 s30, 0x7fffffff, v151
	v_cndmask_b32_e64 v3, 0x80000000, v151, s30
	v_cmp_lt_i32_e64 s30, -1, v151
	v_lshrrev_b32_e32 v3, s53, v3
	v_cndmask_b32_e64 v154, 0x80000000, -1, s30
	v_and_b32_e32 v3, s61, v3
	v_lshlrev_b32_e32 v3, 2, v3
	ds_read_b32 v3, v3
	s_waitcnt lgkmcnt(0)
	v_add_nc_u32_e32 v3, v3, v50
	v_lshlrev_b64 v[37:38], 2, v[3:4]
	v_xor_b32_e32 v3, v154, v151
	v_add_co_u32 v37, s30, s42, v37
	v_add_co_ci_u32_e64 v38, null, s43, v38, s30
	global_store_dword v[37:38], v3, off
	s_or_b32 exec_lo, exec_lo, s31
	v_cmp_lt_u32_e64 s30, v51, v150
	s_and_saveexec_b32 s33, s30
	s_cbranch_execz .LBB1458_783
.LBB1458_851:                           ;   in Loop: Header=BB1458_694 Depth=2
	ds_read_b32 v151, v66 offset:8704
	s_waitcnt lgkmcnt(0)
	v_cmp_ne_u32_e64 s31, 0x7fffffff, v151
	v_cndmask_b32_e64 v3, 0x80000000, v151, s31
	v_cmp_lt_i32_e64 s31, -1, v151
	v_lshrrev_b32_e32 v3, s53, v3
	v_cndmask_b32_e64 v154, 0x80000000, -1, s31
	v_and_b32_e32 v3, s61, v3
	v_lshlrev_b32_e32 v3, 2, v3
	ds_read_b32 v3, v3
	s_waitcnt lgkmcnt(0)
	v_add_nc_u32_e32 v3, v3, v51
	v_lshlrev_b64 v[37:38], 2, v[3:4]
	v_xor_b32_e32 v3, v154, v151
	v_add_co_u32 v37, s31, s42, v37
	v_add_co_ci_u32_e64 v38, null, s43, v38, s31
	global_store_dword v[37:38], v3, off
	s_or_b32 exec_lo, exec_lo, s33
	v_cmp_lt_u32_e64 s31, v52, v150
	s_and_saveexec_b32 s34, s31
	s_cbranch_execz .LBB1458_784
.LBB1458_852:                           ;   in Loop: Header=BB1458_694 Depth=2
	ds_read_b32 v151, v66 offset:9728
	s_waitcnt lgkmcnt(0)
	v_cmp_ne_u32_e64 s33, 0x7fffffff, v151
	v_cndmask_b32_e64 v3, 0x80000000, v151, s33
	v_cmp_lt_i32_e64 s33, -1, v151
	v_lshrrev_b32_e32 v3, s53, v3
	v_cndmask_b32_e64 v154, 0x80000000, -1, s33
	v_and_b32_e32 v3, s61, v3
	v_lshlrev_b32_e32 v3, 2, v3
	ds_read_b32 v3, v3
	s_waitcnt lgkmcnt(0)
	v_add_nc_u32_e32 v3, v3, v52
	v_lshlrev_b64 v[37:38], 2, v[3:4]
	v_xor_b32_e32 v3, v154, v151
	v_add_co_u32 v37, s33, s42, v37
	v_add_co_ci_u32_e64 v38, null, s43, v38, s33
	global_store_dword v[37:38], v3, off
	s_or_b32 exec_lo, exec_lo, s34
	v_cmp_lt_u32_e64 s33, v53, v150
	s_and_saveexec_b32 s35, s33
	s_cbranch_execz .LBB1458_785
.LBB1458_853:                           ;   in Loop: Header=BB1458_694 Depth=2
	ds_read_b32 v151, v66 offset:10752
	s_waitcnt lgkmcnt(0)
	v_cmp_ne_u32_e64 s34, 0x7fffffff, v151
	v_cndmask_b32_e64 v3, 0x80000000, v151, s34
	v_cmp_lt_i32_e64 s34, -1, v151
	v_lshrrev_b32_e32 v3, s53, v3
	v_cndmask_b32_e64 v154, 0x80000000, -1, s34
	v_and_b32_e32 v3, s61, v3
	v_lshlrev_b32_e32 v3, 2, v3
	ds_read_b32 v3, v3
	s_waitcnt lgkmcnt(0)
	v_add_nc_u32_e32 v3, v3, v53
	v_lshlrev_b64 v[37:38], 2, v[3:4]
	v_xor_b32_e32 v3, v154, v151
	v_add_co_u32 v37, s34, s42, v37
	v_add_co_ci_u32_e64 v38, null, s43, v38, s34
	global_store_dword v[37:38], v3, off
	s_or_b32 exec_lo, exec_lo, s35
	v_cmp_lt_u32_e64 s34, v54, v150
	s_and_saveexec_b32 s36, s34
	s_cbranch_execz .LBB1458_786
.LBB1458_854:                           ;   in Loop: Header=BB1458_694 Depth=2
	ds_read_b32 v151, v66 offset:11776
	s_waitcnt lgkmcnt(0)
	v_cmp_ne_u32_e64 s35, 0x7fffffff, v151
	v_cndmask_b32_e64 v3, 0x80000000, v151, s35
	v_cmp_lt_i32_e64 s35, -1, v151
	v_lshrrev_b32_e32 v3, s53, v3
	v_cndmask_b32_e64 v154, 0x80000000, -1, s35
	v_and_b32_e32 v3, s61, v3
	v_lshlrev_b32_e32 v3, 2, v3
	ds_read_b32 v3, v3
	s_waitcnt lgkmcnt(0)
	v_add_nc_u32_e32 v3, v3, v54
	v_lshlrev_b64 v[37:38], 2, v[3:4]
	v_xor_b32_e32 v3, v154, v151
	v_add_co_u32 v37, s35, s42, v37
	v_add_co_ci_u32_e64 v38, null, s43, v38, s35
	global_store_dword v[37:38], v3, off
	s_or_b32 exec_lo, exec_lo, s36
	v_cmp_lt_u32_e64 s35, v55, v150
	s_and_saveexec_b32 s37, s35
	s_cbranch_execz .LBB1458_787
.LBB1458_855:                           ;   in Loop: Header=BB1458_694 Depth=2
	ds_read_b32 v151, v66 offset:12800
	s_waitcnt lgkmcnt(0)
	v_cmp_ne_u32_e64 s36, 0x7fffffff, v151
	v_cndmask_b32_e64 v3, 0x80000000, v151, s36
	v_cmp_lt_i32_e64 s36, -1, v151
	v_lshrrev_b32_e32 v3, s53, v3
	v_cndmask_b32_e64 v154, 0x80000000, -1, s36
	v_and_b32_e32 v3, s61, v3
	v_lshlrev_b32_e32 v3, 2, v3
	ds_read_b32 v3, v3
	s_waitcnt lgkmcnt(0)
	v_add_nc_u32_e32 v3, v3, v55
	v_lshlrev_b64 v[37:38], 2, v[3:4]
	v_xor_b32_e32 v3, v154, v151
	v_add_co_u32 v37, s36, s42, v37
	v_add_co_ci_u32_e64 v38, null, s43, v38, s36
	global_store_dword v[37:38], v3, off
	s_or_b32 exec_lo, exec_lo, s37
	v_cmp_lt_u32_e64 s36, v56, v150
	s_and_saveexec_b32 s38, s36
	s_cbranch_execz .LBB1458_788
.LBB1458_856:                           ;   in Loop: Header=BB1458_694 Depth=2
	ds_read_b32 v151, v66 offset:13824
	s_waitcnt lgkmcnt(0)
	v_cmp_ne_u32_e64 s37, 0x7fffffff, v151
	v_cndmask_b32_e64 v3, 0x80000000, v151, s37
	v_cmp_lt_i32_e64 s37, -1, v151
	v_lshrrev_b32_e32 v3, s53, v3
	v_cndmask_b32_e64 v154, 0x80000000, -1, s37
	v_and_b32_e32 v3, s61, v3
	v_lshlrev_b32_e32 v3, 2, v3
	ds_read_b32 v3, v3
	s_waitcnt lgkmcnt(0)
	v_add_nc_u32_e32 v3, v3, v56
	v_lshlrev_b64 v[37:38], 2, v[3:4]
	v_xor_b32_e32 v3, v154, v151
	v_add_co_u32 v37, s37, s42, v37
	v_add_co_ci_u32_e64 v38, null, s43, v38, s37
	global_store_dword v[37:38], v3, off
	s_or_b32 exec_lo, exec_lo, s38
	v_cmp_lt_u32_e64 s37, v57, v150
	s_and_saveexec_b32 s39, s37
	s_cbranch_execz .LBB1458_789
.LBB1458_857:                           ;   in Loop: Header=BB1458_694 Depth=2
	ds_read_b32 v151, v66 offset:14848
	s_waitcnt lgkmcnt(0)
	v_cmp_ne_u32_e64 s38, 0x7fffffff, v151
	v_cndmask_b32_e64 v3, 0x80000000, v151, s38
	v_cmp_lt_i32_e64 s38, -1, v151
	v_lshrrev_b32_e32 v3, s53, v3
	v_cndmask_b32_e64 v154, 0x80000000, -1, s38
	v_and_b32_e32 v3, s61, v3
	v_lshlrev_b32_e32 v3, 2, v3
	ds_read_b32 v3, v3
	s_waitcnt lgkmcnt(0)
	v_add_nc_u32_e32 v3, v3, v57
	v_lshlrev_b64 v[37:38], 2, v[3:4]
	v_xor_b32_e32 v3, v154, v151
	v_add_co_u32 v37, s38, s42, v37
	v_add_co_ci_u32_e64 v38, null, s43, v38, s38
	global_store_dword v[37:38], v3, off
	s_or_b32 exec_lo, exec_lo, s39
	v_cmp_lt_u32_e64 s38, v58, v150
	s_and_saveexec_b32 s64, s38
	s_cbranch_execnz .LBB1458_790
	s_branch .LBB1458_791
.LBB1458_858:                           ;   in Loop: Header=BB1458_694 Depth=2
	global_load_dwordx2 v[35:36], v[37:38], off
	s_or_b32 exec_lo, exec_lo, s39
	s_mov_b32 s46, exec_lo
	v_cmpx_lt_u32_e64 v108, v150
	s_cbranch_execz .LBB1458_793
.LBB1458_859:                           ;   in Loop: Header=BB1458_694 Depth=2
	global_load_dwordx2 v[33:34], v[37:38], off offset:256
	s_or_b32 exec_lo, exec_lo, s46
	s_mov_b32 s46, exec_lo
	v_cmpx_lt_u32_e64 v109, v150
	s_cbranch_execz .LBB1458_794
.LBB1458_860:                           ;   in Loop: Header=BB1458_694 Depth=2
	global_load_dwordx2 v[31:32], v[37:38], off offset:512
	s_or_b32 exec_lo, exec_lo, s46
	s_mov_b32 s46, exec_lo
	v_cmpx_lt_u32_e64 v110, v150
	s_cbranch_execz .LBB1458_795
.LBB1458_861:                           ;   in Loop: Header=BB1458_694 Depth=2
	global_load_dwordx2 v[29:30], v[37:38], off offset:768
	s_or_b32 exec_lo, exec_lo, s46
	s_mov_b32 s46, exec_lo
	v_cmpx_lt_u32_e64 v111, v150
	s_cbranch_execz .LBB1458_796
.LBB1458_862:                           ;   in Loop: Header=BB1458_694 Depth=2
	global_load_dwordx2 v[27:28], v[37:38], off offset:1024
	s_or_b32 exec_lo, exec_lo, s46
	s_mov_b32 s46, exec_lo
	v_cmpx_lt_u32_e64 v112, v150
	s_cbranch_execz .LBB1458_797
.LBB1458_863:                           ;   in Loop: Header=BB1458_694 Depth=2
	global_load_dwordx2 v[23:24], v[37:38], off offset:1280
	s_or_b32 exec_lo, exec_lo, s46
	s_mov_b32 s46, exec_lo
	v_cmpx_lt_u32_e64 v113, v150
	s_cbranch_execz .LBB1458_798
.LBB1458_864:                           ;   in Loop: Header=BB1458_694 Depth=2
	global_load_dwordx2 v[19:20], v[37:38], off offset:1536
	s_or_b32 exec_lo, exec_lo, s46
	s_mov_b32 s46, exec_lo
	v_cmpx_lt_u32_e64 v114, v150
	s_cbranch_execz .LBB1458_799
.LBB1458_865:                           ;   in Loop: Header=BB1458_694 Depth=2
	global_load_dwordx2 v[15:16], v[37:38], off offset:1792
	s_or_b32 exec_lo, exec_lo, s46
	s_mov_b32 s46, exec_lo
	v_cmpx_lt_u32_e64 v115, v150
	s_cbranch_execz .LBB1458_800
.LBB1458_866:                           ;   in Loop: Header=BB1458_694 Depth=2
	v_add_co_u32 v25, s39, 0x800, v37
	v_add_co_ci_u32_e64 v26, null, 0, v38, s39
	global_load_dwordx2 v[25:26], v[25:26], off
	s_or_b32 exec_lo, exec_lo, s46
	s_mov_b32 s46, exec_lo
	v_cmpx_lt_u32_e64 v116, v150
	s_cbranch_execz .LBB1458_801
.LBB1458_867:                           ;   in Loop: Header=BB1458_694 Depth=2
	v_add_co_u32 v21, s39, 0x800, v37
	v_add_co_ci_u32_e64 v22, null, 0, v38, s39
	global_load_dwordx2 v[21:22], v[21:22], off offset:256
	s_or_b32 exec_lo, exec_lo, s46
	s_mov_b32 s46, exec_lo
	v_cmpx_lt_u32_e64 v117, v150
	s_cbranch_execz .LBB1458_802
.LBB1458_868:                           ;   in Loop: Header=BB1458_694 Depth=2
	v_add_co_u32 v17, s39, 0x800, v37
	v_add_co_ci_u32_e64 v18, null, 0, v38, s39
	global_load_dwordx2 v[17:18], v[17:18], off offset:512
	s_or_b32 exec_lo, exec_lo, s46
	s_mov_b32 s46, exec_lo
	v_cmpx_lt_u32_e64 v118, v150
	s_cbranch_execz .LBB1458_803
.LBB1458_869:                           ;   in Loop: Header=BB1458_694 Depth=2
	v_add_co_u32 v13, s39, 0x800, v37
	v_add_co_ci_u32_e64 v14, null, 0, v38, s39
	global_load_dwordx2 v[13:14], v[13:14], off offset:768
	s_or_b32 exec_lo, exec_lo, s46
	s_mov_b32 s46, exec_lo
	v_cmpx_lt_u32_e64 v119, v150
	s_cbranch_execz .LBB1458_804
.LBB1458_870:                           ;   in Loop: Header=BB1458_694 Depth=2
	v_add_co_u32 v11, s39, 0x800, v37
	v_add_co_ci_u32_e64 v12, null, 0, v38, s39
	global_load_dwordx2 v[11:12], v[11:12], off offset:1024
	s_or_b32 exec_lo, exec_lo, s46
	s_mov_b32 s46, exec_lo
	v_cmpx_lt_u32_e64 v121, v150
	s_cbranch_execz .LBB1458_805
.LBB1458_871:                           ;   in Loop: Header=BB1458_694 Depth=2
	v_add_co_u32 v9, s39, 0x800, v37
	v_add_co_ci_u32_e64 v10, null, 0, v38, s39
	global_load_dwordx2 v[9:10], v[9:10], off offset:1280
	s_or_b32 exec_lo, exec_lo, s46
	s_mov_b32 s46, exec_lo
	v_cmpx_lt_u32_e64 v122, v150
	s_cbranch_execz .LBB1458_806
.LBB1458_872:                           ;   in Loop: Header=BB1458_694 Depth=2
	v_add_co_u32 v7, s39, 0x800, v37
	v_add_co_ci_u32_e64 v8, null, 0, v38, s39
	global_load_dwordx2 v[7:8], v[7:8], off offset:1536
	s_or_b32 exec_lo, exec_lo, s46
	s_mov_b32 s46, exec_lo
	v_cmpx_lt_u32_e64 v123, v150
	s_cbranch_execz .LBB1458_807
.LBB1458_873:                           ;   in Loop: Header=BB1458_694 Depth=2
	v_add_co_u32 v5, s39, 0x800, v37
	v_add_co_ci_u32_e64 v6, null, 0, v38, s39
	global_load_dwordx2 v[5:6], v[5:6], off offset:1792
	s_or_b32 exec_lo, exec_lo, s46
	s_and_saveexec_b32 s46, vcc_lo
	s_cbranch_execz .LBB1458_808
.LBB1458_874:                           ;   in Loop: Header=BB1458_694 Depth=2
	ds_read_b32 v3, v66 offset:512
	s_waitcnt lgkmcnt(0)
	v_cmp_ne_u32_e64 s39, 0x7fffffff, v3
	v_cndmask_b32_e64 v3, 0x80000000, v3, s39
	v_lshrrev_b32_e32 v3, s53, v3
	v_and_b32_e32 v148, s61, v3
	s_or_b32 exec_lo, exec_lo, s46
	s_and_saveexec_b32 s46, s23
	s_cbranch_execz .LBB1458_809
.LBB1458_875:                           ;   in Loop: Header=BB1458_694 Depth=2
	ds_read_b32 v3, v66 offset:1536
	s_waitcnt lgkmcnt(0)
	v_cmp_ne_u32_e64 s39, 0x7fffffff, v3
	v_cndmask_b32_e64 v3, 0x80000000, v3, s39
	v_lshrrev_b32_e32 v3, s53, v3
	v_and_b32_e32 v147, s61, v3
	s_or_b32 exec_lo, exec_lo, s46
	s_and_saveexec_b32 s46, s24
	s_cbranch_execz .LBB1458_810
.LBB1458_876:                           ;   in Loop: Header=BB1458_694 Depth=2
	ds_read_b32 v3, v66 offset:2560
	s_waitcnt lgkmcnt(0)
	v_cmp_ne_u32_e64 s39, 0x7fffffff, v3
	v_cndmask_b32_e64 v3, 0x80000000, v3, s39
	v_lshrrev_b32_e32 v3, s53, v3
	v_and_b32_e32 v146, s61, v3
	s_or_b32 exec_lo, exec_lo, s46
	s_and_saveexec_b32 s46, s25
	s_cbranch_execz .LBB1458_811
.LBB1458_877:                           ;   in Loop: Header=BB1458_694 Depth=2
	ds_read_b32 v3, v66 offset:3584
	s_waitcnt lgkmcnt(0)
	v_cmp_ne_u32_e64 s39, 0x7fffffff, v3
	v_cndmask_b32_e64 v3, 0x80000000, v3, s39
	v_lshrrev_b32_e32 v3, s53, v3
	v_and_b32_e32 v145, s61, v3
	s_or_b32 exec_lo, exec_lo, s46
	s_and_saveexec_b32 s46, s26
	s_cbranch_execz .LBB1458_812
.LBB1458_878:                           ;   in Loop: Header=BB1458_694 Depth=2
	ds_read_b32 v3, v66 offset:4608
	s_waitcnt lgkmcnt(0)
	v_cmp_ne_u32_e64 s39, 0x7fffffff, v3
	v_cndmask_b32_e64 v3, 0x80000000, v3, s39
	v_lshrrev_b32_e32 v3, s53, v3
	v_and_b32_e32 v143, s61, v3
	s_or_b32 exec_lo, exec_lo, s46
	s_and_saveexec_b32 s46, s27
	s_cbranch_execz .LBB1458_813
.LBB1458_879:                           ;   in Loop: Header=BB1458_694 Depth=2
	ds_read_b32 v3, v66 offset:5632
	s_waitcnt lgkmcnt(0)
	v_cmp_ne_u32_e64 s39, 0x7fffffff, v3
	v_cndmask_b32_e64 v3, 0x80000000, v3, s39
	v_lshrrev_b32_e32 v3, s53, v3
	v_and_b32_e32 v142, s61, v3
	s_or_b32 exec_lo, exec_lo, s46
	s_and_saveexec_b32 s46, s28
	s_cbranch_execz .LBB1458_814
.LBB1458_880:                           ;   in Loop: Header=BB1458_694 Depth=2
	ds_read_b32 v3, v66 offset:6656
	s_waitcnt lgkmcnt(0)
	v_cmp_ne_u32_e64 s39, 0x7fffffff, v3
	v_cndmask_b32_e64 v3, 0x80000000, v3, s39
	v_lshrrev_b32_e32 v3, s53, v3
	v_and_b32_e32 v141, s61, v3
	s_or_b32 exec_lo, exec_lo, s46
	s_and_saveexec_b32 s46, s29
	s_cbranch_execz .LBB1458_815
.LBB1458_881:                           ;   in Loop: Header=BB1458_694 Depth=2
	ds_read_b32 v3, v66 offset:7680
	s_waitcnt lgkmcnt(0)
	v_cmp_ne_u32_e64 s39, 0x7fffffff, v3
	v_cndmask_b32_e64 v3, 0x80000000, v3, s39
	v_lshrrev_b32_e32 v3, s53, v3
	v_and_b32_e32 v140, s61, v3
	s_or_b32 exec_lo, exec_lo, s46
	s_and_saveexec_b32 s46, s30
	s_cbranch_execz .LBB1458_816
.LBB1458_882:                           ;   in Loop: Header=BB1458_694 Depth=2
	ds_read_b32 v3, v66 offset:8704
	s_waitcnt lgkmcnt(0)
	v_cmp_ne_u32_e64 s39, 0x7fffffff, v3
	v_cndmask_b32_e64 v3, 0x80000000, v3, s39
	v_lshrrev_b32_e32 v3, s53, v3
	v_and_b32_e32 v139, s61, v3
	s_or_b32 exec_lo, exec_lo, s46
	s_and_saveexec_b32 s46, s31
	s_cbranch_execz .LBB1458_817
.LBB1458_883:                           ;   in Loop: Header=BB1458_694 Depth=2
	ds_read_b32 v3, v66 offset:9728
	s_waitcnt lgkmcnt(0)
	v_cmp_ne_u32_e64 s39, 0x7fffffff, v3
	v_cndmask_b32_e64 v3, 0x80000000, v3, s39
	v_lshrrev_b32_e32 v3, s53, v3
	v_and_b32_e32 v138, s61, v3
	s_or_b32 exec_lo, exec_lo, s46
	s_and_saveexec_b32 s46, s33
	s_cbranch_execz .LBB1458_818
.LBB1458_884:                           ;   in Loop: Header=BB1458_694 Depth=2
	ds_read_b32 v3, v66 offset:10752
	s_waitcnt lgkmcnt(0)
	v_cmp_ne_u32_e64 s39, 0x7fffffff, v3
	v_cndmask_b32_e64 v3, 0x80000000, v3, s39
	v_lshrrev_b32_e32 v3, s53, v3
	v_and_b32_e32 v137, s61, v3
	s_or_b32 exec_lo, exec_lo, s46
	s_and_saveexec_b32 s46, s34
	s_cbranch_execz .LBB1458_819
.LBB1458_885:                           ;   in Loop: Header=BB1458_694 Depth=2
	ds_read_b32 v3, v66 offset:11776
	s_waitcnt lgkmcnt(0)
	v_cmp_ne_u32_e64 s39, 0x7fffffff, v3
	v_cndmask_b32_e64 v3, 0x80000000, v3, s39
	v_lshrrev_b32_e32 v3, s53, v3
	v_and_b32_e32 v136, s61, v3
	s_or_b32 exec_lo, exec_lo, s46
	s_and_saveexec_b32 s46, s35
	s_cbranch_execz .LBB1458_820
.LBB1458_886:                           ;   in Loop: Header=BB1458_694 Depth=2
	ds_read_b32 v3, v66 offset:12800
	s_waitcnt lgkmcnt(0)
	v_cmp_ne_u32_e64 s39, 0x7fffffff, v3
	v_cndmask_b32_e64 v3, 0x80000000, v3, s39
	v_lshrrev_b32_e32 v3, s53, v3
	v_and_b32_e32 v135, s61, v3
	s_or_b32 exec_lo, exec_lo, s46
	s_and_saveexec_b32 s46, s36
	s_cbranch_execz .LBB1458_821
.LBB1458_887:                           ;   in Loop: Header=BB1458_694 Depth=2
	ds_read_b32 v3, v66 offset:13824
	s_waitcnt lgkmcnt(0)
	v_cmp_ne_u32_e64 s39, 0x7fffffff, v3
	v_cndmask_b32_e64 v3, 0x80000000, v3, s39
	v_lshrrev_b32_e32 v3, s53, v3
	v_and_b32_e32 v134, s61, v3
	s_or_b32 exec_lo, exec_lo, s46
	s_and_saveexec_b32 s46, s37
	s_cbranch_execz .LBB1458_822
.LBB1458_888:                           ;   in Loop: Header=BB1458_694 Depth=2
	ds_read_b32 v3, v66 offset:14848
	s_waitcnt lgkmcnt(0)
	v_cmp_ne_u32_e64 s39, 0x7fffffff, v3
	v_cndmask_b32_e64 v3, 0x80000000, v3, s39
	v_lshrrev_b32_e32 v3, s53, v3
	v_and_b32_e32 v133, s61, v3
	s_or_b32 exec_lo, exec_lo, s46
	s_and_saveexec_b32 s46, s38
	s_cbranch_execnz .LBB1458_823
	s_branch .LBB1458_824
.LBB1458_889:                           ;   in Loop: Header=BB1458_694 Depth=2
	v_lshlrev_b32_e32 v3, 2, v148
	v_add_nc_u32_e32 v37, v66, v41
	ds_read_b32 v3, v3
	ds_read_b64 v[37:38], v37 offset:512
	s_waitcnt lgkmcnt(1)
	v_add_nc_u32_e32 v3, v3, v0
	v_lshlrev_b64 v[39:40], 3, v[3:4]
	v_add_co_u32 v39, vcc_lo, s48, v39
	v_add_co_ci_u32_e64 v40, null, s49, v40, vcc_lo
	s_waitcnt lgkmcnt(0)
	global_store_dwordx2 v[39:40], v[37:38], off
	s_or_b32 exec_lo, exec_lo, s39
	s_and_saveexec_b32 s39, s23
	s_cbranch_execz .LBB1458_826
.LBB1458_890:                           ;   in Loop: Header=BB1458_694 Depth=2
	v_lshlrev_b32_e32 v3, 2, v147
	v_add_nc_u32_e32 v37, v66, v41
	ds_read_b32 v3, v3
	ds_read_b64 v[37:38], v37 offset:2560
	s_waitcnt lgkmcnt(1)
	v_add_nc_u32_e32 v3, v3, v42
	v_lshlrev_b64 v[39:40], 3, v[3:4]
	v_add_co_u32 v39, vcc_lo, s48, v39
	v_add_co_ci_u32_e64 v40, null, s49, v40, vcc_lo
	s_waitcnt lgkmcnt(0)
	global_store_dwordx2 v[39:40], v[37:38], off
	s_or_b32 exec_lo, exec_lo, s39
	s_and_saveexec_b32 s23, s24
	s_cbranch_execz .LBB1458_827
.LBB1458_891:                           ;   in Loop: Header=BB1458_694 Depth=2
	v_lshlrev_b32_e32 v3, 2, v146
	v_add_nc_u32_e32 v37, v66, v41
	ds_read_b32 v3, v3
	ds_read_b64 v[37:38], v37 offset:4608
	s_waitcnt lgkmcnt(1)
	v_add_nc_u32_e32 v3, v3, v45
	v_lshlrev_b64 v[39:40], 3, v[3:4]
	v_add_co_u32 v39, vcc_lo, s48, v39
	v_add_co_ci_u32_e64 v40, null, s49, v40, vcc_lo
	s_waitcnt lgkmcnt(0)
	global_store_dwordx2 v[39:40], v[37:38], off
	s_or_b32 exec_lo, exec_lo, s23
	s_and_saveexec_b32 s23, s25
	s_cbranch_execz .LBB1458_828
.LBB1458_892:                           ;   in Loop: Header=BB1458_694 Depth=2
	v_lshlrev_b32_e32 v3, 2, v145
	v_add_nc_u32_e32 v37, v66, v41
	ds_read_b32 v3, v3
	ds_read_b64 v[37:38], v37 offset:6656
	s_waitcnt lgkmcnt(1)
	v_add_nc_u32_e32 v3, v3, v46
	v_lshlrev_b64 v[39:40], 3, v[3:4]
	v_add_co_u32 v39, vcc_lo, s48, v39
	v_add_co_ci_u32_e64 v40, null, s49, v40, vcc_lo
	s_waitcnt lgkmcnt(0)
	global_store_dwordx2 v[39:40], v[37:38], off
	s_or_b32 exec_lo, exec_lo, s23
	s_and_saveexec_b32 s23, s26
	s_cbranch_execz .LBB1458_829
.LBB1458_893:                           ;   in Loop: Header=BB1458_694 Depth=2
	v_lshlrev_b32_e32 v3, 2, v143
	v_add_nc_u32_e32 v37, v66, v41
	ds_read_b32 v3, v3
	ds_read_b64 v[37:38], v37 offset:8704
	s_waitcnt lgkmcnt(1)
	v_add_nc_u32_e32 v3, v3, v47
	v_lshlrev_b64 v[39:40], 3, v[3:4]
	v_add_co_u32 v39, vcc_lo, s48, v39
	v_add_co_ci_u32_e64 v40, null, s49, v40, vcc_lo
	s_waitcnt lgkmcnt(0)
	global_store_dwordx2 v[39:40], v[37:38], off
	s_or_b32 exec_lo, exec_lo, s23
	s_and_saveexec_b32 s23, s27
	s_cbranch_execz .LBB1458_830
.LBB1458_894:                           ;   in Loop: Header=BB1458_694 Depth=2
	v_lshlrev_b32_e32 v3, 2, v142
	v_add_nc_u32_e32 v37, v66, v41
	ds_read_b32 v3, v3
	ds_read_b64 v[37:38], v37 offset:10752
	s_waitcnt lgkmcnt(1)
	v_add_nc_u32_e32 v3, v3, v48
	v_lshlrev_b64 v[39:40], 3, v[3:4]
	v_add_co_u32 v39, vcc_lo, s48, v39
	v_add_co_ci_u32_e64 v40, null, s49, v40, vcc_lo
	s_waitcnt lgkmcnt(0)
	global_store_dwordx2 v[39:40], v[37:38], off
	s_or_b32 exec_lo, exec_lo, s23
	s_and_saveexec_b32 s23, s28
	s_cbranch_execz .LBB1458_831
.LBB1458_895:                           ;   in Loop: Header=BB1458_694 Depth=2
	v_lshlrev_b32_e32 v3, 2, v141
	v_add_nc_u32_e32 v37, v66, v41
	ds_read_b32 v3, v3
	ds_read_b64 v[37:38], v37 offset:12800
	s_waitcnt lgkmcnt(1)
	v_add_nc_u32_e32 v3, v3, v49
	v_lshlrev_b64 v[39:40], 3, v[3:4]
	v_add_co_u32 v39, vcc_lo, s48, v39
	v_add_co_ci_u32_e64 v40, null, s49, v40, vcc_lo
	s_waitcnt lgkmcnt(0)
	global_store_dwordx2 v[39:40], v[37:38], off
	s_or_b32 exec_lo, exec_lo, s23
	s_and_saveexec_b32 s23, s29
	s_cbranch_execz .LBB1458_832
.LBB1458_896:                           ;   in Loop: Header=BB1458_694 Depth=2
	v_lshlrev_b32_e32 v3, 2, v140
	v_add_nc_u32_e32 v37, v66, v41
	ds_read_b32 v3, v3
	ds_read_b64 v[37:38], v37 offset:14848
	s_waitcnt lgkmcnt(1)
	v_add_nc_u32_e32 v3, v3, v50
	v_lshlrev_b64 v[39:40], 3, v[3:4]
	v_add_co_u32 v39, vcc_lo, s48, v39
	v_add_co_ci_u32_e64 v40, null, s49, v40, vcc_lo
	s_waitcnt lgkmcnt(0)
	global_store_dwordx2 v[39:40], v[37:38], off
	s_or_b32 exec_lo, exec_lo, s23
	s_and_saveexec_b32 s23, s30
	s_cbranch_execz .LBB1458_833
.LBB1458_897:                           ;   in Loop: Header=BB1458_694 Depth=2
	v_lshlrev_b32_e32 v3, 2, v139
	v_add_nc_u32_e32 v37, v66, v41
	ds_read_b32 v3, v3
	ds_read_b64 v[37:38], v37 offset:16896
	s_waitcnt lgkmcnt(1)
	v_add_nc_u32_e32 v3, v3, v51
	v_lshlrev_b64 v[39:40], 3, v[3:4]
	v_add_co_u32 v39, vcc_lo, s48, v39
	v_add_co_ci_u32_e64 v40, null, s49, v40, vcc_lo
	s_waitcnt lgkmcnt(0)
	global_store_dwordx2 v[39:40], v[37:38], off
	s_or_b32 exec_lo, exec_lo, s23
	s_and_saveexec_b32 s23, s31
	s_cbranch_execz .LBB1458_834
.LBB1458_898:                           ;   in Loop: Header=BB1458_694 Depth=2
	v_lshlrev_b32_e32 v3, 2, v138
	v_add_nc_u32_e32 v37, v66, v41
	ds_read_b32 v3, v3
	ds_read_b64 v[37:38], v37 offset:18944
	s_waitcnt lgkmcnt(1)
	v_add_nc_u32_e32 v3, v3, v52
	v_lshlrev_b64 v[39:40], 3, v[3:4]
	v_add_co_u32 v39, vcc_lo, s48, v39
	v_add_co_ci_u32_e64 v40, null, s49, v40, vcc_lo
	s_waitcnt lgkmcnt(0)
	global_store_dwordx2 v[39:40], v[37:38], off
	s_or_b32 exec_lo, exec_lo, s23
	s_and_saveexec_b32 s23, s33
	s_cbranch_execz .LBB1458_835
.LBB1458_899:                           ;   in Loop: Header=BB1458_694 Depth=2
	v_lshlrev_b32_e32 v3, 2, v137
	v_add_nc_u32_e32 v37, v66, v41
	ds_read_b32 v3, v3
	ds_read_b64 v[37:38], v37 offset:20992
	s_waitcnt lgkmcnt(1)
	v_add_nc_u32_e32 v3, v3, v53
	v_lshlrev_b64 v[39:40], 3, v[3:4]
	v_add_co_u32 v39, vcc_lo, s48, v39
	v_add_co_ci_u32_e64 v40, null, s49, v40, vcc_lo
	s_waitcnt lgkmcnt(0)
	global_store_dwordx2 v[39:40], v[37:38], off
	s_or_b32 exec_lo, exec_lo, s23
	s_and_saveexec_b32 s23, s34
	s_cbranch_execz .LBB1458_836
.LBB1458_900:                           ;   in Loop: Header=BB1458_694 Depth=2
	v_lshlrev_b32_e32 v3, 2, v136
	v_add_nc_u32_e32 v37, v66, v41
	ds_read_b32 v3, v3
	ds_read_b64 v[37:38], v37 offset:23040
	s_waitcnt lgkmcnt(1)
	v_add_nc_u32_e32 v3, v3, v54
	v_lshlrev_b64 v[39:40], 3, v[3:4]
	v_add_co_u32 v39, vcc_lo, s48, v39
	v_add_co_ci_u32_e64 v40, null, s49, v40, vcc_lo
	s_waitcnt lgkmcnt(0)
	global_store_dwordx2 v[39:40], v[37:38], off
	s_or_b32 exec_lo, exec_lo, s23
	s_and_saveexec_b32 s23, s35
	s_cbranch_execz .LBB1458_837
.LBB1458_901:                           ;   in Loop: Header=BB1458_694 Depth=2
	v_lshlrev_b32_e32 v3, 2, v135
	v_add_nc_u32_e32 v37, v66, v41
	ds_read_b32 v3, v3
	ds_read_b64 v[37:38], v37 offset:25088
	s_waitcnt lgkmcnt(1)
	v_add_nc_u32_e32 v3, v3, v55
	v_lshlrev_b64 v[39:40], 3, v[3:4]
	v_add_co_u32 v39, vcc_lo, s48, v39
	v_add_co_ci_u32_e64 v40, null, s49, v40, vcc_lo
	s_waitcnt lgkmcnt(0)
	global_store_dwordx2 v[39:40], v[37:38], off
	s_or_b32 exec_lo, exec_lo, s23
	s_and_saveexec_b32 s23, s36
	s_cbranch_execz .LBB1458_838
.LBB1458_902:                           ;   in Loop: Header=BB1458_694 Depth=2
	v_lshlrev_b32_e32 v3, 2, v134
	v_add_nc_u32_e32 v37, v66, v41
	ds_read_b32 v3, v3
	ds_read_b64 v[37:38], v37 offset:27136
	s_waitcnt lgkmcnt(1)
	v_add_nc_u32_e32 v3, v3, v56
	v_lshlrev_b64 v[39:40], 3, v[3:4]
	v_add_co_u32 v39, vcc_lo, s48, v39
	v_add_co_ci_u32_e64 v40, null, s49, v40, vcc_lo
	s_waitcnt lgkmcnt(0)
	global_store_dwordx2 v[39:40], v[37:38], off
	s_or_b32 exec_lo, exec_lo, s23
	s_and_saveexec_b32 s23, s37
	s_cbranch_execz .LBB1458_839
.LBB1458_903:                           ;   in Loop: Header=BB1458_694 Depth=2
	v_lshlrev_b32_e32 v3, 2, v133
	v_add_nc_u32_e32 v37, v66, v41
	ds_read_b32 v3, v3
	ds_read_b64 v[37:38], v37 offset:29184
	s_waitcnt lgkmcnt(1)
	v_add_nc_u32_e32 v3, v3, v57
	v_lshlrev_b64 v[39:40], 3, v[3:4]
	v_add_co_u32 v39, vcc_lo, s48, v39
	v_add_co_ci_u32_e64 v40, null, s49, v40, vcc_lo
	s_waitcnt lgkmcnt(0)
	global_store_dwordx2 v[39:40], v[37:38], off
	s_or_b32 exec_lo, exec_lo, s23
	s_and_saveexec_b32 s23, s38
	s_cbranch_execnz .LBB1458_840
	s_branch .LBB1458_841
.LBB1458_904:                           ;   in Loop: Header=BB1458_20 Depth=1
	s_waitcnt lgkmcnt(0)
	s_mov_b32 s5, 0
	s_barrier
.LBB1458_905:                           ;   in Loop: Header=BB1458_20 Depth=1
	s_and_b32 vcc_lo, exec_lo, s5
	s_cbranch_vccz .LBB1458_19
; %bb.906:                              ;   in Loop: Header=BB1458_20 Depth=1
	s_mov_b32 s5, s60
	s_mov_b32 s46, s58
	s_barrier
	buffer_gl0_inv
                                        ; implicit-def: $vgpr3
                                        ; implicit-def: $vgpr5
                                        ; implicit-def: $vgpr6
                                        ; implicit-def: $vgpr7
                                        ; implicit-def: $vgpr8
                                        ; implicit-def: $vgpr9
                                        ; implicit-def: $vgpr10
                                        ; implicit-def: $vgpr11
                                        ; implicit-def: $vgpr12
                                        ; implicit-def: $vgpr13
                                        ; implicit-def: $vgpr14
                                        ; implicit-def: $vgpr15
                                        ; implicit-def: $vgpr16
                                        ; implicit-def: $vgpr17
                                        ; implicit-def: $vgpr18
                                        ; implicit-def: $vgpr19
	s_branch .LBB1458_908
.LBB1458_907:                           ;   in Loop: Header=BB1458_908 Depth=2
	s_or_b32 exec_lo, exec_lo, s16
	s_addk_i32 s5, 0xf000
	s_cmp_ge_u32 s18, s59
	s_mov_b32 s46, s18
	s_cbranch_scc1 .LBB1458_976
.LBB1458_908:                           ;   Parent Loop BB1458_20 Depth=1
                                        ; =>  This Inner Loop Header: Depth=2
	s_add_i32 s18, s46, 0x1000
	s_mov_b32 s16, -1
	s_cmp_gt_u32 s18, s59
                                        ; implicit-def: $vgpr20
                                        ; implicit-def: $vgpr21
                                        ; implicit-def: $vgpr24
                                        ; implicit-def: $vgpr22
                                        ; implicit-def: $vgpr26
                                        ; implicit-def: $vgpr23
                                        ; implicit-def: $vgpr28
                                        ; implicit-def: $vgpr25
                                        ; implicit-def: $vgpr30
                                        ; implicit-def: $vgpr27
                                        ; implicit-def: $vgpr31
                                        ; implicit-def: $vgpr29
                                        ; implicit-def: $vgpr33
                                        ; implicit-def: $vgpr32
                                        ; implicit-def: $vgpr34
                                        ; implicit-def: $vgpr35
	s_cbranch_scc1 .LBB1458_910
; %bb.909:                              ;   in Loop: Header=BB1458_908 Depth=2
	s_lshl_b64 s[16:17], s[46:47], 2
	v_add_co_u32 v30, vcc_lo, v75, s16
	v_add_co_ci_u32_e64 v31, null, s17, v76, vcc_lo
	s_mov_b32 s16, 0
	v_add_co_u32 v22, vcc_lo, 0x800, v30
	v_add_co_ci_u32_e64 v23, null, 0, v31, vcc_lo
	v_add_co_u32 v33, vcc_lo, v30, 0x1000
	v_add_co_ci_u32_e64 v34, null, 0, v31, vcc_lo
	;; [unrolled: 2-line block ×9, first 2 shown]
	s_clause 0x7
	global_load_dword v20, v[30:31], off
	global_load_dword v21, v[30:31], off offset:1024
	global_load_dword v22, v[22:23], off offset:1024
	;; [unrolled: 1-line block ×7, first 2 shown]
	v_add_co_u32 v37, vcc_lo, 0x3800, v30
	v_add_co_ci_u32_e64 v38, null, 0, v31, vcc_lo
	s_clause 0x7
	global_load_dword v24, v[33:34], off offset:-2048
	global_load_dword v26, v[33:34], off
	global_load_dword v28, v[35:36], off offset:-2048
	global_load_dword v30, v[35:36], off
	;; [unrolled: 2-line block ×3, first 2 shown]
	global_load_dword v34, v[37:38], off
	global_load_dword v35, v[37:38], off offset:1024
.LBB1458_910:                           ;   in Loop: Header=BB1458_908 Depth=2
	s_andn2_b32 vcc_lo, exec_lo, s16
	s_movk_i32 s16, 0x1000
	s_cbranch_vccnz .LBB1458_929
; %bb.911:                              ;   in Loop: Header=BB1458_908 Depth=2
	s_lshl_b64 s[16:17], s[46:47], 2
	s_mov_b32 s19, exec_lo
	s_add_u32 s16, s40, s16
	s_addc_u32 s17, s41, s17
	v_cmpx_gt_u32_e64 s5, v0
	s_cbranch_execnz .LBB1458_961
; %bb.912:                              ;   in Loop: Header=BB1458_908 Depth=2
	s_or_b32 exec_lo, exec_lo, s19
	s_mov_b32 s19, exec_lo
	v_cmpx_gt_u32_e64 s5, v42
	s_cbranch_execnz .LBB1458_962
.LBB1458_913:                           ;   in Loop: Header=BB1458_908 Depth=2
	s_or_b32 exec_lo, exec_lo, s19
	s_mov_b32 s19, exec_lo
	v_cmpx_gt_u32_e64 s5, v45
	s_cbranch_execnz .LBB1458_963
.LBB1458_914:                           ;   in Loop: Header=BB1458_908 Depth=2
	s_or_b32 exec_lo, exec_lo, s19
	s_mov_b32 s19, exec_lo
	v_cmpx_gt_u32_e64 s5, v46
	s_cbranch_execnz .LBB1458_964
.LBB1458_915:                           ;   in Loop: Header=BB1458_908 Depth=2
	s_or_b32 exec_lo, exec_lo, s19
	s_mov_b32 s19, exec_lo
	v_cmpx_gt_u32_e64 s5, v47
	s_cbranch_execnz .LBB1458_965
.LBB1458_916:                           ;   in Loop: Header=BB1458_908 Depth=2
	s_or_b32 exec_lo, exec_lo, s19
	s_mov_b32 s19, exec_lo
	v_cmpx_gt_u32_e64 s5, v48
	s_cbranch_execnz .LBB1458_966
.LBB1458_917:                           ;   in Loop: Header=BB1458_908 Depth=2
	s_or_b32 exec_lo, exec_lo, s19
	s_mov_b32 s19, exec_lo
	v_cmpx_gt_u32_e64 s5, v49
	s_cbranch_execnz .LBB1458_967
.LBB1458_918:                           ;   in Loop: Header=BB1458_908 Depth=2
	s_or_b32 exec_lo, exec_lo, s19
	s_mov_b32 s19, exec_lo
	v_cmpx_gt_u32_e64 s5, v50
	s_cbranch_execnz .LBB1458_968
.LBB1458_919:                           ;   in Loop: Header=BB1458_908 Depth=2
	s_or_b32 exec_lo, exec_lo, s19
	s_mov_b32 s19, exec_lo
	v_cmpx_gt_u32_e64 s5, v51
	s_cbranch_execnz .LBB1458_969
.LBB1458_920:                           ;   in Loop: Header=BB1458_908 Depth=2
	s_or_b32 exec_lo, exec_lo, s19
	s_mov_b32 s19, exec_lo
	v_cmpx_gt_u32_e64 s5, v52
	s_cbranch_execnz .LBB1458_970
.LBB1458_921:                           ;   in Loop: Header=BB1458_908 Depth=2
	s_or_b32 exec_lo, exec_lo, s19
	s_mov_b32 s19, exec_lo
	v_cmpx_gt_u32_e64 s5, v53
	s_cbranch_execnz .LBB1458_971
.LBB1458_922:                           ;   in Loop: Header=BB1458_908 Depth=2
	s_or_b32 exec_lo, exec_lo, s19
	s_mov_b32 s19, exec_lo
	v_cmpx_gt_u32_e64 s5, v54
	s_cbranch_execnz .LBB1458_972
.LBB1458_923:                           ;   in Loop: Header=BB1458_908 Depth=2
	s_or_b32 exec_lo, exec_lo, s19
	s_mov_b32 s19, exec_lo
	v_cmpx_gt_u32_e64 s5, v55
	s_cbranch_execnz .LBB1458_973
.LBB1458_924:                           ;   in Loop: Header=BB1458_908 Depth=2
	s_or_b32 exec_lo, exec_lo, s19
	s_mov_b32 s19, exec_lo
	v_cmpx_gt_u32_e64 s5, v56
	s_cbranch_execnz .LBB1458_974
.LBB1458_925:                           ;   in Loop: Header=BB1458_908 Depth=2
	s_or_b32 exec_lo, exec_lo, s19
	s_mov_b32 s19, exec_lo
	v_cmpx_gt_u32_e64 s5, v57
	s_cbranch_execnz .LBB1458_975
.LBB1458_926:                           ;   in Loop: Header=BB1458_908 Depth=2
	s_or_b32 exec_lo, exec_lo, s19
	s_mov_b32 s19, exec_lo
	v_cmpx_gt_u32_e64 s5, v58
	s_cbranch_execz .LBB1458_928
.LBB1458_927:                           ;   in Loop: Header=BB1458_908 Depth=2
	global_load_dword v3, v100, s[16:17]
.LBB1458_928:                           ;   in Loop: Header=BB1458_908 Depth=2
	s_or_b32 exec_lo, exec_lo, s19
	s_waitcnt vmcnt(0)
	v_mov_b32_e32 v20, v19
	v_mov_b32_e32 v21, v18
	;; [unrolled: 1-line block ×16, first 2 shown]
	s_mov_b32 s16, s5
.LBB1458_929:                           ;   in Loop: Header=BB1458_908 Depth=2
	s_waitcnt vmcnt(0)
	v_mov_b32_e32 v3, v35
	v_mov_b32_e32 v5, v34
	;; [unrolled: 1-line block ×16, first 2 shown]
	s_mov_b32 s17, exec_lo
	v_cmpx_gt_u32_e64 s16, v0
	s_cbranch_execnz .LBB1458_945
; %bb.930:                              ;   in Loop: Header=BB1458_908 Depth=2
	s_or_b32 exec_lo, exec_lo, s17
	s_mov_b32 s17, exec_lo
	v_cmpx_gt_u32_e64 s16, v42
	s_cbranch_execnz .LBB1458_946
.LBB1458_931:                           ;   in Loop: Header=BB1458_908 Depth=2
	s_or_b32 exec_lo, exec_lo, s17
	s_mov_b32 s17, exec_lo
	v_cmpx_gt_u32_e64 s16, v45
	s_cbranch_execnz .LBB1458_947
.LBB1458_932:                           ;   in Loop: Header=BB1458_908 Depth=2
	s_or_b32 exec_lo, exec_lo, s17
	s_mov_b32 s17, exec_lo
	v_cmpx_gt_u32_e64 s16, v46
	s_cbranch_execnz .LBB1458_948
.LBB1458_933:                           ;   in Loop: Header=BB1458_908 Depth=2
	s_or_b32 exec_lo, exec_lo, s17
	s_mov_b32 s17, exec_lo
	v_cmpx_gt_u32_e64 s16, v47
	s_cbranch_execnz .LBB1458_949
.LBB1458_934:                           ;   in Loop: Header=BB1458_908 Depth=2
	s_or_b32 exec_lo, exec_lo, s17
	s_mov_b32 s17, exec_lo
	v_cmpx_gt_u32_e64 s16, v48
	s_cbranch_execnz .LBB1458_950
.LBB1458_935:                           ;   in Loop: Header=BB1458_908 Depth=2
	s_or_b32 exec_lo, exec_lo, s17
	s_mov_b32 s17, exec_lo
	v_cmpx_gt_u32_e64 s16, v49
	s_cbranch_execnz .LBB1458_951
.LBB1458_936:                           ;   in Loop: Header=BB1458_908 Depth=2
	s_or_b32 exec_lo, exec_lo, s17
	s_mov_b32 s17, exec_lo
	v_cmpx_gt_u32_e64 s16, v50
	s_cbranch_execnz .LBB1458_952
.LBB1458_937:                           ;   in Loop: Header=BB1458_908 Depth=2
	s_or_b32 exec_lo, exec_lo, s17
	s_mov_b32 s17, exec_lo
	v_cmpx_gt_u32_e64 s16, v51
	s_cbranch_execnz .LBB1458_953
.LBB1458_938:                           ;   in Loop: Header=BB1458_908 Depth=2
	s_or_b32 exec_lo, exec_lo, s17
	s_mov_b32 s17, exec_lo
	v_cmpx_gt_u32_e64 s16, v52
	s_cbranch_execnz .LBB1458_954
.LBB1458_939:                           ;   in Loop: Header=BB1458_908 Depth=2
	s_or_b32 exec_lo, exec_lo, s17
	s_mov_b32 s17, exec_lo
	v_cmpx_gt_u32_e64 s16, v53
	s_cbranch_execnz .LBB1458_955
.LBB1458_940:                           ;   in Loop: Header=BB1458_908 Depth=2
	s_or_b32 exec_lo, exec_lo, s17
	s_mov_b32 s17, exec_lo
	v_cmpx_gt_u32_e64 s16, v54
	s_cbranch_execnz .LBB1458_956
.LBB1458_941:                           ;   in Loop: Header=BB1458_908 Depth=2
	s_or_b32 exec_lo, exec_lo, s17
	s_mov_b32 s17, exec_lo
	v_cmpx_gt_u32_e64 s16, v55
	s_cbranch_execnz .LBB1458_957
.LBB1458_942:                           ;   in Loop: Header=BB1458_908 Depth=2
	s_or_b32 exec_lo, exec_lo, s17
	s_mov_b32 s17, exec_lo
	v_cmpx_gt_u32_e64 s16, v56
	s_cbranch_execnz .LBB1458_958
.LBB1458_943:                           ;   in Loop: Header=BB1458_908 Depth=2
	s_or_b32 exec_lo, exec_lo, s17
	s_mov_b32 s17, exec_lo
	v_cmpx_gt_u32_e64 s16, v57
	s_cbranch_execnz .LBB1458_959
.LBB1458_944:                           ;   in Loop: Header=BB1458_908 Depth=2
	s_or_b32 exec_lo, exec_lo, s17
	v_cmp_gt_u32_e32 vcc_lo, s16, v58
	s_and_saveexec_b32 s16, vcc_lo
	s_cbranch_execz .LBB1458_907
	s_branch .LBB1458_960
.LBB1458_945:                           ;   in Loop: Header=BB1458_908 Depth=2
	v_cmp_lt_i32_e32 vcc_lo, -1, v19
	v_cndmask_b32_e64 v20, -1, 0x80000000, vcc_lo
	v_xor_b32_e32 v20, v20, v19
	v_cmp_ne_u32_e32 vcc_lo, 0x7fffffff, v20
	v_cndmask_b32_e32 v20, 0x80000000, v20, vcc_lo
	v_lshrrev_b32_e32 v20, s53, v20
	v_and_b32_e32 v20, s61, v20
	v_lshl_or_b32 v20, v20, 4, v59
	ds_add_u32 v20, v82
	s_or_b32 exec_lo, exec_lo, s17
	s_mov_b32 s17, exec_lo
	v_cmpx_gt_u32_e64 s16, v42
	s_cbranch_execz .LBB1458_931
.LBB1458_946:                           ;   in Loop: Header=BB1458_908 Depth=2
	v_cmp_lt_i32_e32 vcc_lo, -1, v18
	v_cndmask_b32_e64 v20, -1, 0x80000000, vcc_lo
	v_xor_b32_e32 v20, v20, v18
	v_cmp_ne_u32_e32 vcc_lo, 0x7fffffff, v20
	v_cndmask_b32_e32 v20, 0x80000000, v20, vcc_lo
	v_lshrrev_b32_e32 v20, s53, v20
	v_and_b32_e32 v20, s61, v20
	v_lshl_or_b32 v20, v20, 4, v59
	ds_add_u32 v20, v82
	s_or_b32 exec_lo, exec_lo, s17
	s_mov_b32 s17, exec_lo
	v_cmpx_gt_u32_e64 s16, v45
	s_cbranch_execz .LBB1458_932
.LBB1458_947:                           ;   in Loop: Header=BB1458_908 Depth=2
	v_cmp_lt_i32_e32 vcc_lo, -1, v17
	v_cndmask_b32_e64 v20, -1, 0x80000000, vcc_lo
	v_xor_b32_e32 v20, v20, v17
	v_cmp_ne_u32_e32 vcc_lo, 0x7fffffff, v20
	v_cndmask_b32_e32 v20, 0x80000000, v20, vcc_lo
	v_lshrrev_b32_e32 v20, s53, v20
	v_and_b32_e32 v20, s61, v20
	v_lshl_or_b32 v20, v20, 4, v59
	ds_add_u32 v20, v82
	s_or_b32 exec_lo, exec_lo, s17
	s_mov_b32 s17, exec_lo
	v_cmpx_gt_u32_e64 s16, v46
	s_cbranch_execz .LBB1458_933
.LBB1458_948:                           ;   in Loop: Header=BB1458_908 Depth=2
	v_cmp_lt_i32_e32 vcc_lo, -1, v16
	v_cndmask_b32_e64 v20, -1, 0x80000000, vcc_lo
	v_xor_b32_e32 v20, v20, v16
	v_cmp_ne_u32_e32 vcc_lo, 0x7fffffff, v20
	v_cndmask_b32_e32 v20, 0x80000000, v20, vcc_lo
	v_lshrrev_b32_e32 v20, s53, v20
	v_and_b32_e32 v20, s61, v20
	v_lshl_or_b32 v20, v20, 4, v59
	ds_add_u32 v20, v82
	s_or_b32 exec_lo, exec_lo, s17
	s_mov_b32 s17, exec_lo
	v_cmpx_gt_u32_e64 s16, v47
	s_cbranch_execz .LBB1458_934
.LBB1458_949:                           ;   in Loop: Header=BB1458_908 Depth=2
	v_cmp_lt_i32_e32 vcc_lo, -1, v15
	v_cndmask_b32_e64 v20, -1, 0x80000000, vcc_lo
	v_xor_b32_e32 v20, v20, v15
	v_cmp_ne_u32_e32 vcc_lo, 0x7fffffff, v20
	v_cndmask_b32_e32 v20, 0x80000000, v20, vcc_lo
	v_lshrrev_b32_e32 v20, s53, v20
	v_and_b32_e32 v20, s61, v20
	v_lshl_or_b32 v20, v20, 4, v59
	ds_add_u32 v20, v82
	s_or_b32 exec_lo, exec_lo, s17
	s_mov_b32 s17, exec_lo
	v_cmpx_gt_u32_e64 s16, v48
	s_cbranch_execz .LBB1458_935
.LBB1458_950:                           ;   in Loop: Header=BB1458_908 Depth=2
	v_cmp_lt_i32_e32 vcc_lo, -1, v14
	v_cndmask_b32_e64 v20, -1, 0x80000000, vcc_lo
	v_xor_b32_e32 v20, v20, v14
	v_cmp_ne_u32_e32 vcc_lo, 0x7fffffff, v20
	v_cndmask_b32_e32 v20, 0x80000000, v20, vcc_lo
	v_lshrrev_b32_e32 v20, s53, v20
	v_and_b32_e32 v20, s61, v20
	v_lshl_or_b32 v20, v20, 4, v59
	ds_add_u32 v20, v82
	s_or_b32 exec_lo, exec_lo, s17
	s_mov_b32 s17, exec_lo
	v_cmpx_gt_u32_e64 s16, v49
	s_cbranch_execz .LBB1458_936
.LBB1458_951:                           ;   in Loop: Header=BB1458_908 Depth=2
	v_cmp_lt_i32_e32 vcc_lo, -1, v13
	v_cndmask_b32_e64 v20, -1, 0x80000000, vcc_lo
	v_xor_b32_e32 v20, v20, v13
	v_cmp_ne_u32_e32 vcc_lo, 0x7fffffff, v20
	v_cndmask_b32_e32 v20, 0x80000000, v20, vcc_lo
	v_lshrrev_b32_e32 v20, s53, v20
	v_and_b32_e32 v20, s61, v20
	v_lshl_or_b32 v20, v20, 4, v59
	ds_add_u32 v20, v82
	s_or_b32 exec_lo, exec_lo, s17
	s_mov_b32 s17, exec_lo
	v_cmpx_gt_u32_e64 s16, v50
	s_cbranch_execz .LBB1458_937
.LBB1458_952:                           ;   in Loop: Header=BB1458_908 Depth=2
	v_cmp_lt_i32_e32 vcc_lo, -1, v12
	v_cndmask_b32_e64 v20, -1, 0x80000000, vcc_lo
	v_xor_b32_e32 v20, v20, v12
	v_cmp_ne_u32_e32 vcc_lo, 0x7fffffff, v20
	v_cndmask_b32_e32 v20, 0x80000000, v20, vcc_lo
	v_lshrrev_b32_e32 v20, s53, v20
	v_and_b32_e32 v20, s61, v20
	v_lshl_or_b32 v20, v20, 4, v59
	ds_add_u32 v20, v82
	s_or_b32 exec_lo, exec_lo, s17
	s_mov_b32 s17, exec_lo
	v_cmpx_gt_u32_e64 s16, v51
	s_cbranch_execz .LBB1458_938
.LBB1458_953:                           ;   in Loop: Header=BB1458_908 Depth=2
	v_cmp_lt_i32_e32 vcc_lo, -1, v11
	v_cndmask_b32_e64 v20, -1, 0x80000000, vcc_lo
	v_xor_b32_e32 v20, v20, v11
	v_cmp_ne_u32_e32 vcc_lo, 0x7fffffff, v20
	v_cndmask_b32_e32 v20, 0x80000000, v20, vcc_lo
	v_lshrrev_b32_e32 v20, s53, v20
	v_and_b32_e32 v20, s61, v20
	v_lshl_or_b32 v20, v20, 4, v59
	ds_add_u32 v20, v82
	s_or_b32 exec_lo, exec_lo, s17
	s_mov_b32 s17, exec_lo
	v_cmpx_gt_u32_e64 s16, v52
	s_cbranch_execz .LBB1458_939
.LBB1458_954:                           ;   in Loop: Header=BB1458_908 Depth=2
	v_cmp_lt_i32_e32 vcc_lo, -1, v10
	v_cndmask_b32_e64 v20, -1, 0x80000000, vcc_lo
	v_xor_b32_e32 v20, v20, v10
	v_cmp_ne_u32_e32 vcc_lo, 0x7fffffff, v20
	v_cndmask_b32_e32 v20, 0x80000000, v20, vcc_lo
	v_lshrrev_b32_e32 v20, s53, v20
	v_and_b32_e32 v20, s61, v20
	v_lshl_or_b32 v20, v20, 4, v59
	ds_add_u32 v20, v82
	s_or_b32 exec_lo, exec_lo, s17
	s_mov_b32 s17, exec_lo
	v_cmpx_gt_u32_e64 s16, v53
	s_cbranch_execz .LBB1458_940
.LBB1458_955:                           ;   in Loop: Header=BB1458_908 Depth=2
	v_cmp_lt_i32_e32 vcc_lo, -1, v9
	v_cndmask_b32_e64 v20, -1, 0x80000000, vcc_lo
	v_xor_b32_e32 v20, v20, v9
	v_cmp_ne_u32_e32 vcc_lo, 0x7fffffff, v20
	v_cndmask_b32_e32 v20, 0x80000000, v20, vcc_lo
	v_lshrrev_b32_e32 v20, s53, v20
	v_and_b32_e32 v20, s61, v20
	v_lshl_or_b32 v20, v20, 4, v59
	ds_add_u32 v20, v82
	s_or_b32 exec_lo, exec_lo, s17
	s_mov_b32 s17, exec_lo
	v_cmpx_gt_u32_e64 s16, v54
	s_cbranch_execz .LBB1458_941
.LBB1458_956:                           ;   in Loop: Header=BB1458_908 Depth=2
	v_cmp_lt_i32_e32 vcc_lo, -1, v8
	v_cndmask_b32_e64 v20, -1, 0x80000000, vcc_lo
	v_xor_b32_e32 v20, v20, v8
	v_cmp_ne_u32_e32 vcc_lo, 0x7fffffff, v20
	v_cndmask_b32_e32 v20, 0x80000000, v20, vcc_lo
	v_lshrrev_b32_e32 v20, s53, v20
	v_and_b32_e32 v20, s61, v20
	v_lshl_or_b32 v20, v20, 4, v59
	ds_add_u32 v20, v82
	s_or_b32 exec_lo, exec_lo, s17
	s_mov_b32 s17, exec_lo
	v_cmpx_gt_u32_e64 s16, v55
	s_cbranch_execz .LBB1458_942
.LBB1458_957:                           ;   in Loop: Header=BB1458_908 Depth=2
	v_cmp_lt_i32_e32 vcc_lo, -1, v7
	v_cndmask_b32_e64 v20, -1, 0x80000000, vcc_lo
	v_xor_b32_e32 v20, v20, v7
	v_cmp_ne_u32_e32 vcc_lo, 0x7fffffff, v20
	v_cndmask_b32_e32 v20, 0x80000000, v20, vcc_lo
	v_lshrrev_b32_e32 v20, s53, v20
	v_and_b32_e32 v20, s61, v20
	v_lshl_or_b32 v20, v20, 4, v59
	ds_add_u32 v20, v82
	s_or_b32 exec_lo, exec_lo, s17
	s_mov_b32 s17, exec_lo
	v_cmpx_gt_u32_e64 s16, v56
	s_cbranch_execz .LBB1458_943
.LBB1458_958:                           ;   in Loop: Header=BB1458_908 Depth=2
	v_cmp_lt_i32_e32 vcc_lo, -1, v6
	v_cndmask_b32_e64 v20, -1, 0x80000000, vcc_lo
	v_xor_b32_e32 v20, v20, v6
	v_cmp_ne_u32_e32 vcc_lo, 0x7fffffff, v20
	v_cndmask_b32_e32 v20, 0x80000000, v20, vcc_lo
	v_lshrrev_b32_e32 v20, s53, v20
	v_and_b32_e32 v20, s61, v20
	v_lshl_or_b32 v20, v20, 4, v59
	ds_add_u32 v20, v82
	s_or_b32 exec_lo, exec_lo, s17
	s_mov_b32 s17, exec_lo
	v_cmpx_gt_u32_e64 s16, v57
	s_cbranch_execz .LBB1458_944
.LBB1458_959:                           ;   in Loop: Header=BB1458_908 Depth=2
	v_cmp_lt_i32_e32 vcc_lo, -1, v5
	v_cndmask_b32_e64 v20, -1, 0x80000000, vcc_lo
	v_xor_b32_e32 v20, v20, v5
	v_cmp_ne_u32_e32 vcc_lo, 0x7fffffff, v20
	v_cndmask_b32_e32 v20, 0x80000000, v20, vcc_lo
	v_lshrrev_b32_e32 v20, s53, v20
	v_and_b32_e32 v20, s61, v20
	v_lshl_or_b32 v20, v20, 4, v59
	ds_add_u32 v20, v82
	s_or_b32 exec_lo, exec_lo, s17
	v_cmp_gt_u32_e32 vcc_lo, s16, v58
	s_and_saveexec_b32 s16, vcc_lo
	s_cbranch_execz .LBB1458_907
.LBB1458_960:                           ;   in Loop: Header=BB1458_908 Depth=2
	v_cmp_lt_i32_e32 vcc_lo, -1, v3
	v_cndmask_b32_e64 v20, -1, 0x80000000, vcc_lo
	v_xor_b32_e32 v20, v20, v3
	v_cmp_ne_u32_e32 vcc_lo, 0x7fffffff, v20
	v_cndmask_b32_e32 v20, 0x80000000, v20, vcc_lo
	v_lshrrev_b32_e32 v20, s53, v20
	v_and_b32_e32 v20, s61, v20
	v_lshl_or_b32 v20, v20, 4, v59
	ds_add_u32 v20, v82
	s_branch .LBB1458_907
.LBB1458_961:                           ;   in Loop: Header=BB1458_908 Depth=2
	global_load_dword v19, v86, s[16:17]
	s_or_b32 exec_lo, exec_lo, s19
	s_mov_b32 s19, exec_lo
	v_cmpx_gt_u32_e64 s5, v42
	s_cbranch_execz .LBB1458_913
.LBB1458_962:                           ;   in Loop: Header=BB1458_908 Depth=2
	global_load_dword v18, v86, s[16:17] offset:1024
	s_or_b32 exec_lo, exec_lo, s19
	s_mov_b32 s19, exec_lo
	v_cmpx_gt_u32_e64 s5, v45
	s_cbranch_execz .LBB1458_914
.LBB1458_963:                           ;   in Loop: Header=BB1458_908 Depth=2
	global_load_dword v17, v87, s[16:17]
	s_or_b32 exec_lo, exec_lo, s19
	s_mov_b32 s19, exec_lo
	v_cmpx_gt_u32_e64 s5, v46
	s_cbranch_execz .LBB1458_915
.LBB1458_964:                           ;   in Loop: Header=BB1458_908 Depth=2
	global_load_dword v16, v88, s[16:17]
	s_or_b32 exec_lo, exec_lo, s19
	s_mov_b32 s19, exec_lo
	v_cmpx_gt_u32_e64 s5, v47
	s_cbranch_execz .LBB1458_916
.LBB1458_965:                           ;   in Loop: Header=BB1458_908 Depth=2
	global_load_dword v15, v89, s[16:17]
	s_or_b32 exec_lo, exec_lo, s19
	s_mov_b32 s19, exec_lo
	v_cmpx_gt_u32_e64 s5, v48
	s_cbranch_execz .LBB1458_917
.LBB1458_966:                           ;   in Loop: Header=BB1458_908 Depth=2
	global_load_dword v14, v90, s[16:17]
	s_or_b32 exec_lo, exec_lo, s19
	s_mov_b32 s19, exec_lo
	v_cmpx_gt_u32_e64 s5, v49
	s_cbranch_execz .LBB1458_918
.LBB1458_967:                           ;   in Loop: Header=BB1458_908 Depth=2
	global_load_dword v13, v91, s[16:17]
	s_or_b32 exec_lo, exec_lo, s19
	s_mov_b32 s19, exec_lo
	v_cmpx_gt_u32_e64 s5, v50
	s_cbranch_execz .LBB1458_919
.LBB1458_968:                           ;   in Loop: Header=BB1458_908 Depth=2
	global_load_dword v12, v92, s[16:17]
	s_or_b32 exec_lo, exec_lo, s19
	s_mov_b32 s19, exec_lo
	v_cmpx_gt_u32_e64 s5, v51
	s_cbranch_execz .LBB1458_920
.LBB1458_969:                           ;   in Loop: Header=BB1458_908 Depth=2
	global_load_dword v11, v93, s[16:17]
	s_or_b32 exec_lo, exec_lo, s19
	s_mov_b32 s19, exec_lo
	v_cmpx_gt_u32_e64 s5, v52
	s_cbranch_execz .LBB1458_921
.LBB1458_970:                           ;   in Loop: Header=BB1458_908 Depth=2
	global_load_dword v10, v94, s[16:17]
	s_or_b32 exec_lo, exec_lo, s19
	s_mov_b32 s19, exec_lo
	v_cmpx_gt_u32_e64 s5, v53
	s_cbranch_execz .LBB1458_922
.LBB1458_971:                           ;   in Loop: Header=BB1458_908 Depth=2
	global_load_dword v9, v95, s[16:17]
	s_or_b32 exec_lo, exec_lo, s19
	s_mov_b32 s19, exec_lo
	v_cmpx_gt_u32_e64 s5, v54
	s_cbranch_execz .LBB1458_923
.LBB1458_972:                           ;   in Loop: Header=BB1458_908 Depth=2
	global_load_dword v8, v96, s[16:17]
	s_or_b32 exec_lo, exec_lo, s19
	s_mov_b32 s19, exec_lo
	v_cmpx_gt_u32_e64 s5, v55
	s_cbranch_execz .LBB1458_924
.LBB1458_973:                           ;   in Loop: Header=BB1458_908 Depth=2
	global_load_dword v7, v97, s[16:17]
	s_or_b32 exec_lo, exec_lo, s19
	s_mov_b32 s19, exec_lo
	v_cmpx_gt_u32_e64 s5, v56
	s_cbranch_execz .LBB1458_925
.LBB1458_974:                           ;   in Loop: Header=BB1458_908 Depth=2
	global_load_dword v6, v98, s[16:17]
	s_or_b32 exec_lo, exec_lo, s19
	s_mov_b32 s19, exec_lo
	v_cmpx_gt_u32_e64 s5, v57
	s_cbranch_execz .LBB1458_926
.LBB1458_975:                           ;   in Loop: Header=BB1458_908 Depth=2
	global_load_dword v5, v99, s[16:17]
	s_or_b32 exec_lo, exec_lo, s19
	s_mov_b32 s19, exec_lo
	v_cmpx_gt_u32_e64 s5, v58
	s_cbranch_execnz .LBB1458_927
	s_branch .LBB1458_928
.LBB1458_976:                           ;   in Loop: Header=BB1458_20 Depth=1
	v_mov_b32_e32 v3, 0
	s_waitcnt lgkmcnt(0)
	s_barrier
	buffer_gl0_inv
	s_and_saveexec_b32 s5, s8
	s_cbranch_execz .LBB1458_978
; %bb.977:                              ;   in Loop: Header=BB1458_20 Depth=1
	ds_read2_b64 v[5:8], v61 offset1:1
	s_waitcnt lgkmcnt(0)
	v_add_nc_u32_e32 v3, v6, v5
	v_add3_u32 v3, v3, v7, v8
.LBB1458_978:                           ;   in Loop: Header=BB1458_20 Depth=1
	s_or_b32 exec_lo, exec_lo, s5
	v_mov_b32_dpp v5, v3 row_shr:1 row_mask:0xf bank_mask:0xf
	v_cmp_eq_u32_e64 s5, 0, v83
	v_cmp_lt_u32_e64 s16, 1, v83
	v_cmp_lt_u32_e64 s17, 3, v83
	;; [unrolled: 1-line block ×3, first 2 shown]
	v_cmp_eq_u32_e64 s19, 0, v85
	v_cndmask_b32_e64 v5, v5, 0, s5
	v_add_nc_u32_e32 v3, v5, v3
	v_mov_b32_dpp v5, v3 row_shr:2 row_mask:0xf bank_mask:0xf
	v_cndmask_b32_e64 v5, 0, v5, s16
	v_add_nc_u32_e32 v3, v3, v5
	v_mov_b32_dpp v5, v3 row_shr:4 row_mask:0xf bank_mask:0xf
	;; [unrolled: 3-line block ×3, first 2 shown]
	v_cndmask_b32_e64 v5, 0, v5, s18
	v_add_nc_u32_e32 v3, v3, v5
	ds_swizzle_b32 v5, v3 offset:swizzle(BROADCAST,32,15)
	s_waitcnt lgkmcnt(0)
	v_and_b32_e32 v5, v84, v5
	v_add_nc_u32_e32 v3, v3, v5
	s_and_saveexec_b32 s20, s9
; %bb.979:                              ;   in Loop: Header=BB1458_20 Depth=1
	ds_write_b32 v62, v3
; %bb.980:                              ;   in Loop: Header=BB1458_20 Depth=1
	s_or_b32 exec_lo, exec_lo, s20
	s_waitcnt lgkmcnt(0)
	s_barrier
	buffer_gl0_inv
	s_and_saveexec_b32 s20, s10
	s_cbranch_execz .LBB1458_982
; %bb.981:                              ;   in Loop: Header=BB1458_20 Depth=1
	ds_read_b32 v5, v63
	v_cmp_ne_u32_e32 vcc_lo, 0, v101
	s_waitcnt lgkmcnt(0)
	v_mov_b32_dpp v6, v5 row_shr:1 row_mask:0xf bank_mask:0xf
	v_cndmask_b32_e32 v6, 0, v6, vcc_lo
	v_cmp_lt_u32_e32 vcc_lo, 1, v101
	v_add_nc_u32_e32 v5, v6, v5
	v_mov_b32_dpp v6, v5 row_shr:2 row_mask:0xf bank_mask:0xf
	v_cndmask_b32_e32 v6, 0, v6, vcc_lo
	v_add_nc_u32_e32 v5, v5, v6
	ds_write_b32 v63, v5
.LBB1458_982:                           ;   in Loop: Header=BB1458_20 Depth=1
	s_or_b32 exec_lo, exec_lo, s20
	v_mov_b32_e32 v5, 0
	s_waitcnt lgkmcnt(0)
	s_barrier
	buffer_gl0_inv
	s_and_saveexec_b32 s20, s11
; %bb.983:                              ;   in Loop: Header=BB1458_20 Depth=1
	ds_read_b32 v5, v64
; %bb.984:                              ;   in Loop: Header=BB1458_20 Depth=1
	s_or_b32 exec_lo, exec_lo, s20
	v_cmp_gt_i32_e32 vcc_lo, 0, v103
	s_waitcnt lgkmcnt(0)
	v_add_nc_u32_e32 v3, v5, v3
	s_barrier
	buffer_gl0_inv
	v_cndmask_b32_e32 v6, v103, v79, vcc_lo
	v_lshlrev_b32_e32 v126, 2, v6
	ds_bpermute_b32 v3, v126, v3
	s_and_saveexec_b32 s20, s8
	s_cbranch_execz .LBB1458_986
; %bb.985:                              ;   in Loop: Header=BB1458_20 Depth=1
	s_waitcnt lgkmcnt(0)
	v_cndmask_b32_e64 v3, v3, v5, s15
	v_add_nc_u32_e32 v3, s58, v3
	ds_write_b32 v41, v3
.LBB1458_986:                           ;   in Loop: Header=BB1458_20 Depth=1
	s_or_b32 exec_lo, exec_lo, s20
	s_load_dwordx2 s[20:21], s[56:57], 0x0
	v_add_co_u32 v127, vcc_lo, v77, v102
	v_add_co_ci_u32_e64 v128, null, 0, v78, vcc_lo
	v_add_co_u32 v129, vcc_lo, v80, v120
	v_add_co_ci_u32_e64 v130, null, 0, v81, vcc_lo
	s_mov_b32 s62, s60
	s_mov_b32 s46, s58
                                        ; implicit-def: $vgpr7_vgpr8
                                        ; implicit-def: $vgpr9_vgpr10
                                        ; implicit-def: $vgpr11_vgpr12
                                        ; implicit-def: $vgpr13_vgpr14
                                        ; implicit-def: $vgpr17_vgpr18
                                        ; implicit-def: $vgpr21_vgpr22
                                        ; implicit-def: $vgpr25_vgpr26
                                        ; implicit-def: $vgpr15_vgpr16
                                        ; implicit-def: $vgpr19_vgpr20
                                        ; implicit-def: $vgpr23_vgpr24
                                        ; implicit-def: $vgpr27_vgpr28
                                        ; implicit-def: $vgpr29_vgpr30
                                        ; implicit-def: $vgpr31_vgpr32
                                        ; implicit-def: $vgpr33_vgpr34
                                        ; implicit-def: $vgpr35_vgpr36
                                        ; implicit-def: $vgpr132
                                        ; implicit-def: $vgpr133
                                        ; implicit-def: $vgpr134
                                        ; implicit-def: $vgpr135
                                        ; implicit-def: $vgpr136
                                        ; implicit-def: $vgpr137
                                        ; implicit-def: $vgpr138
                                        ; implicit-def: $vgpr139
                                        ; implicit-def: $vgpr140
                                        ; implicit-def: $vgpr141
                                        ; implicit-def: $vgpr142
                                        ; implicit-def: $vgpr143
                                        ; implicit-def: $vgpr145
                                        ; implicit-def: $vgpr146
                                        ; implicit-def: $vgpr147
                                        ; implicit-def: $vgpr148
                                        ; implicit-def: $vgpr144
                                        ; implicit-def: $vgpr149
	s_waitcnt lgkmcnt(0)
	s_cmp_lt_u32 s7, s21
	s_cselect_b32 s21, 14, 20
	s_add_u32 s22, s56, s21
	s_addc_u32 s23, s57, 0
	s_cmp_lt_u32 s6, s20
	global_load_ushort v3, v4, s[22:23]
	s_cselect_b32 s20, 12, 18
	s_add_u32 s20, s56, s20
	s_addc_u32 s21, s57, 0
	global_load_ushort v5, v4, s[20:21]
	v_cmp_eq_u32_e64 s20, 0, v104
	v_cmp_lt_u32_e64 s21, 1, v104
	v_cmp_lt_u32_e64 s22, 3, v104
	s_waitcnt vmcnt(1)
	v_mad_u32_u24 v3, v2, v3, v1
	s_waitcnt vmcnt(0)
	v_mad_u64_u32 v[5:6], null, v3, v5, v[0:1]
	v_lshrrev_b32_e32 v3, 3, v5
                                        ; implicit-def: $vgpr5_vgpr6
	v_and_b32_e32 v131, 0x1ffffffc, v3
	s_branch .LBB1458_988
.LBB1458_987:                           ;   in Loop: Header=BB1458_988 Depth=2
	s_or_b32 exec_lo, exec_lo, s23
	s_addk_i32 s62, 0xf000
	s_cmp_lt_u32 s63, s59
	s_mov_b32 s46, s63
	s_cbranch_scc0 .LBB1458_18
.LBB1458_988:                           ;   Parent Loop BB1458_20 Depth=1
                                        ; =>  This Inner Loop Header: Depth=2
	s_add_i32 s63, s46, 0x1000
	s_cmp_gt_u32 s63, s59
	s_cbranch_scc1 .LBB1458_990
; %bb.989:                              ;   in Loop: Header=BB1458_988 Depth=2
	s_lshl_b64 s[24:25], s[46:47], 2
	s_mov_b32 s23, -1
	v_add_co_u32 v37, vcc_lo, v129, s24
	v_add_co_ci_u32_e64 v38, null, s25, v130, vcc_lo
	s_clause 0xe
	global_load_dword v3, v[37:38], off
	global_load_dword v151, v[37:38], off offset:128
	global_load_dword v154, v[37:38], off offset:256
	;; [unrolled: 1-line block ×14, first 2 shown]
	s_movk_i32 s24, 0x1000
	s_cbranch_execz .LBB1458_991
	s_branch .LBB1458_1022
.LBB1458_990:                           ;   in Loop: Header=BB1458_988 Depth=2
	s_mov_b32 s23, 0
                                        ; implicit-def: $vgpr3
                                        ; implicit-def: $vgpr151
                                        ; implicit-def: $vgpr154
                                        ; implicit-def: $vgpr158
                                        ; implicit-def: $vgpr162
                                        ; implicit-def: $vgpr168
                                        ; implicit-def: $vgpr173
                                        ; implicit-def: $vgpr178
                                        ; implicit-def: $vgpr181
                                        ; implicit-def: $vgpr176
                                        ; implicit-def: $vgpr172
                                        ; implicit-def: $vgpr167
                                        ; implicit-def: $vgpr164
                                        ; implicit-def: $vgpr40
                                        ; implicit-def: $vgpr39
	s_movk_i32 s24, 0x1000
.LBB1458_991:                           ;   in Loop: Header=BB1458_988 Depth=2
	s_lshl_b64 s[24:25], s[46:47], 2
	s_waitcnt vmcnt(13)
	v_bfrev_b32_e32 v151, -2
	v_add_co_u32 v37, vcc_lo, v129, s24
	v_add_co_ci_u32_e64 v38, null, s25, v130, vcc_lo
	v_bfrev_b32_e32 v3, -2
	s_mov_b32 s23, exec_lo
	v_cmpx_gt_u32_e64 s62, v105
	s_cbranch_execz .LBB1458_993
; %bb.992:                              ;   in Loop: Header=BB1458_988 Depth=2
	global_load_dword v3, v[37:38], off
.LBB1458_993:                           ;   in Loop: Header=BB1458_988 Depth=2
	s_or_b32 exec_lo, exec_lo, s23
	s_mov_b32 s23, exec_lo
	v_cmpx_gt_u32_e64 s62, v108
	s_cbranch_execz .LBB1458_995
; %bb.994:                              ;   in Loop: Header=BB1458_988 Depth=2
	global_load_dword v151, v[37:38], off offset:128
.LBB1458_995:                           ;   in Loop: Header=BB1458_988 Depth=2
	s_or_b32 exec_lo, exec_lo, s23
	s_waitcnt vmcnt(11)
	v_bfrev_b32_e32 v158, -2
	v_bfrev_b32_e32 v154, -2
	s_mov_b32 s23, exec_lo
	v_cmpx_gt_u32_e64 s62, v109
	s_cbranch_execz .LBB1458_997
; %bb.996:                              ;   in Loop: Header=BB1458_988 Depth=2
	global_load_dword v154, v[37:38], off offset:256
.LBB1458_997:                           ;   in Loop: Header=BB1458_988 Depth=2
	s_or_b32 exec_lo, exec_lo, s23
	s_mov_b32 s23, exec_lo
	v_cmpx_gt_u32_e64 s62, v110
	s_cbranch_execz .LBB1458_999
; %bb.998:                              ;   in Loop: Header=BB1458_988 Depth=2
	global_load_dword v158, v[37:38], off offset:384
.LBB1458_999:                           ;   in Loop: Header=BB1458_988 Depth=2
	s_or_b32 exec_lo, exec_lo, s23
	s_waitcnt vmcnt(9)
	v_bfrev_b32_e32 v168, -2
	v_bfrev_b32_e32 v162, -2
	s_mov_b32 s23, exec_lo
	v_cmpx_gt_u32_e64 s62, v111
	s_cbranch_execz .LBB1458_1001
; %bb.1000:                             ;   in Loop: Header=BB1458_988 Depth=2
	global_load_dword v162, v[37:38], off offset:512
.LBB1458_1001:                          ;   in Loop: Header=BB1458_988 Depth=2
	s_or_b32 exec_lo, exec_lo, s23
	s_mov_b32 s23, exec_lo
	v_cmpx_gt_u32_e64 s62, v112
	s_cbranch_execz .LBB1458_1003
; %bb.1002:                             ;   in Loop: Header=BB1458_988 Depth=2
	global_load_dword v168, v[37:38], off offset:640
.LBB1458_1003:                          ;   in Loop: Header=BB1458_988 Depth=2
	s_or_b32 exec_lo, exec_lo, s23
	s_waitcnt vmcnt(7)
	v_bfrev_b32_e32 v178, -2
	v_bfrev_b32_e32 v173, -2
	s_mov_b32 s23, exec_lo
	v_cmpx_gt_u32_e64 s62, v113
	s_cbranch_execz .LBB1458_1005
; %bb.1004:                             ;   in Loop: Header=BB1458_988 Depth=2
	global_load_dword v173, v[37:38], off offset:768
.LBB1458_1005:                          ;   in Loop: Header=BB1458_988 Depth=2
	s_or_b32 exec_lo, exec_lo, s23
	s_mov_b32 s23, exec_lo
	v_cmpx_gt_u32_e64 s62, v114
	s_cbranch_execz .LBB1458_1007
; %bb.1006:                             ;   in Loop: Header=BB1458_988 Depth=2
	global_load_dword v178, v[37:38], off offset:896
.LBB1458_1007:                          ;   in Loop: Header=BB1458_988 Depth=2
	;; [unrolled: 17-line block ×5, first 2 shown]
	s_or_b32 exec_lo, exec_lo, s23
	s_waitcnt vmcnt(0)
	v_bfrev_b32_e32 v39, -2
	s_mov_b32 s23, exec_lo
	v_cmpx_gt_u32_e64 s62, v122
	s_cbranch_execz .LBB1458_1021
; %bb.1020:                             ;   in Loop: Header=BB1458_988 Depth=2
	global_load_dword v39, v[37:38], off offset:1792
.LBB1458_1021:                          ;   in Loop: Header=BB1458_988 Depth=2
	s_or_b32 exec_lo, exec_lo, s23
	v_cmp_gt_u32_e64 s23, s62, v123
	s_sub_i32 s24, s59, s46
.LBB1458_1022:                          ;   in Loop: Header=BB1458_988 Depth=2
	v_bfrev_b32_e32 v37, -2
	v_mov_b32_e32 v150, s62
	s_and_saveexec_b32 s25, s23
	s_cbranch_execz .LBB1458_1024
; %bb.1023:                             ;   in Loop: Header=BB1458_988 Depth=2
	s_lshl_b64 s[26:27], s[46:47], 2
	v_mov_b32_e32 v150, s24
	v_add_co_u32 v37, vcc_lo, v129, s26
	v_add_co_ci_u32_e64 v38, null, s27, v130, vcc_lo
	global_load_dword v37, v[37:38], off offset:1920
.LBB1458_1024:                          ;   in Loop: Header=BB1458_988 Depth=2
	s_or_b32 exec_lo, exec_lo, s25
	s_waitcnt vmcnt(14)
	v_cmp_lt_i32_e32 vcc_lo, -1, v3
	ds_write2_b32 v65, v4, v4 offset0:136 offset1:137
	ds_write2_b32 v65, v4, v4 offset0:138 offset1:139
	ds_write_b32 v65, v4 offset:560
	s_waitcnt vmcnt(0) lgkmcnt(0)
	s_barrier
	v_cndmask_b32_e64 v38, -1, 0x80000000, vcc_lo
	buffer_gl0_inv
	; wave barrier
	v_xor_b32_e32 v3, v38, v3
	v_cmp_ne_u32_e32 vcc_lo, 0x7fffffff, v3
	v_cndmask_b32_e32 v38, 0x80000000, v3, vcc_lo
	v_lshrrev_b32_e32 v38, s53, v38
	v_and_b32_e32 v153, s61, v38
	v_and_b32_e32 v38, 1, v153
	v_lshlrev_b32_e32 v152, 30, v153
	v_lshlrev_b32_e32 v155, 29, v153
	;; [unrolled: 1-line block ×4, first 2 shown]
	v_add_co_u32 v38, s23, v38, -1
	v_cndmask_b32_e64 v156, 0, 1, s23
	v_not_b32_e32 v161, v152
	v_cmp_gt_i32_e64 s23, 0, v152
	v_not_b32_e32 v152, v155
	v_lshlrev_b32_e32 v160, 26, v153
	v_cmp_ne_u32_e32 vcc_lo, 0, v156
	v_ashrrev_i32_e32 v161, 31, v161
	v_lshlrev_b32_e32 v156, 25, v153
	v_ashrrev_i32_e32 v152, 31, v152
	v_mul_u32_u24_e32 v153, 36, v153
	v_xor_b32_e32 v38, vcc_lo, v38
	v_cmp_gt_i32_e32 vcc_lo, 0, v155
	v_not_b32_e32 v155, v157
	v_xor_b32_e32 v161, s23, v161
	v_cmp_gt_i32_e64 s23, 0, v157
	v_and_b32_e32 v38, exec_lo, v38
	v_not_b32_e32 v157, v159
	v_ashrrev_i32_e32 v155, 31, v155
	v_xor_b32_e32 v152, vcc_lo, v152
	v_cmp_gt_i32_e32 vcc_lo, 0, v159
	v_and_b32_e32 v38, v38, v161
	v_not_b32_e32 v159, v160
	v_ashrrev_i32_e32 v157, 31, v157
	v_xor_b32_e32 v155, s23, v155
	v_cmp_gt_i32_e64 s23, 0, v160
	v_and_b32_e32 v38, v38, v152
	v_not_b32_e32 v152, v156
	v_ashrrev_i32_e32 v159, 31, v159
	v_xor_b32_e32 v157, vcc_lo, v157
	v_cmp_gt_i32_e32 vcc_lo, 0, v156
	v_and_b32_e32 v38, v38, v155
	v_ashrrev_i32_e32 v152, 31, v152
	v_xor_b32_e32 v155, s23, v159
	v_add_nc_u32_e32 v153, v131, v153
	v_and_b32_e32 v38, v38, v157
	v_xor_b32_e32 v152, vcc_lo, v152
	v_and_b32_e32 v38, v38, v155
	v_and_b32_e32 v38, v38, v152
	v_mbcnt_lo_u32_b32 v152, v38, 0
	v_cmp_ne_u32_e64 s23, 0, v38
	v_cmp_eq_u32_e32 vcc_lo, 0, v152
	s_and_b32 s24, s23, vcc_lo
	s_and_saveexec_b32 s23, s24
; %bb.1025:                             ;   in Loop: Header=BB1458_988 Depth=2
	v_bcnt_u32_b32 v38, v38, 0
	ds_write_b32 v153, v38 offset:544
; %bb.1026:                             ;   in Loop: Header=BB1458_988 Depth=2
	s_or_b32 exec_lo, exec_lo, s23
	v_cmp_lt_i32_e32 vcc_lo, -1, v151
	; wave barrier
	v_cndmask_b32_e64 v38, -1, 0x80000000, vcc_lo
	v_xor_b32_e32 v151, v38, v151
	v_cmp_ne_u32_e32 vcc_lo, 0x7fffffff, v151
	v_cndmask_b32_e32 v38, 0x80000000, v151, vcc_lo
	v_lshrrev_b32_e32 v38, s53, v38
	v_and_b32_e32 v157, s61, v38
	v_and_b32_e32 v38, 1, v157
	v_lshlrev_b32_e32 v155, 30, v157
	v_lshlrev_b32_e32 v156, 29, v157
	;; [unrolled: 1-line block ×4, first 2 shown]
	v_add_co_u32 v38, s23, v38, -1
	v_cndmask_b32_e64 v159, 0, 1, s23
	v_not_b32_e32 v165, v155
	v_cmp_gt_i32_e64 s23, 0, v155
	v_not_b32_e32 v155, v156
	v_lshlrev_b32_e32 v163, 26, v157
	v_cmp_ne_u32_e32 vcc_lo, 0, v159
	v_ashrrev_i32_e32 v165, 31, v165
	v_lshlrev_b32_e32 v159, 25, v157
	v_ashrrev_i32_e32 v155, 31, v155
	v_xor_b32_e32 v38, vcc_lo, v38
	v_cmp_gt_i32_e32 vcc_lo, 0, v156
	v_not_b32_e32 v156, v160
	v_xor_b32_e32 v165, s23, v165
	v_cmp_gt_i32_e64 s23, 0, v160
	v_and_b32_e32 v38, exec_lo, v38
	v_not_b32_e32 v160, v161
	v_ashrrev_i32_e32 v156, 31, v156
	v_xor_b32_e32 v155, vcc_lo, v155
	v_cmp_gt_i32_e32 vcc_lo, 0, v161
	v_and_b32_e32 v38, v38, v165
	v_not_b32_e32 v161, v163
	v_ashrrev_i32_e32 v160, 31, v160
	v_xor_b32_e32 v156, s23, v156
	v_cmp_gt_i32_e64 s23, 0, v163
	v_and_b32_e32 v38, v38, v155
	v_not_b32_e32 v155, v159
	v_ashrrev_i32_e32 v161, 31, v161
	v_xor_b32_e32 v160, vcc_lo, v160
	v_cmp_gt_i32_e32 vcc_lo, 0, v159
	v_and_b32_e32 v38, v38, v156
	v_ashrrev_i32_e32 v155, 31, v155
	v_xor_b32_e32 v156, s23, v161
	v_mad_u32_u24 v159, v157, 36, v131
	v_mul_u32_u24_e32 v157, 36, v157
	v_and_b32_e32 v38, v38, v160
	v_xor_b32_e32 v160, vcc_lo, v155
	ds_read_b32 v155, v159 offset:544
	v_add_nc_u32_e32 v157, v131, v157
	v_and_b32_e32 v38, v38, v156
	; wave barrier
	v_and_b32_e32 v38, v38, v160
	v_mbcnt_lo_u32_b32 v156, v38, 0
	v_cmp_ne_u32_e64 s23, 0, v38
	v_cmp_eq_u32_e32 vcc_lo, 0, v156
	s_and_b32 s24, s23, vcc_lo
	s_and_saveexec_b32 s23, s24
	s_cbranch_execz .LBB1458_1028
; %bb.1027:                             ;   in Loop: Header=BB1458_988 Depth=2
	s_waitcnt lgkmcnt(0)
	v_bcnt_u32_b32 v38, v38, v155
	ds_write_b32 v157, v38 offset:544
.LBB1458_1028:                          ;   in Loop: Header=BB1458_988 Depth=2
	s_or_b32 exec_lo, exec_lo, s23
	v_cmp_lt_i32_e32 vcc_lo, -1, v154
	; wave barrier
	v_cndmask_b32_e64 v38, -1, 0x80000000, vcc_lo
	v_xor_b32_e32 v154, v38, v154
	v_cmp_ne_u32_e32 vcc_lo, 0x7fffffff, v154
	v_cndmask_b32_e32 v38, 0x80000000, v154, vcc_lo
	v_lshrrev_b32_e32 v38, s53, v38
	v_and_b32_e32 v161, s61, v38
	v_and_b32_e32 v38, 1, v161
	v_lshlrev_b32_e32 v159, 30, v161
	v_lshlrev_b32_e32 v160, 29, v161
	;; [unrolled: 1-line block ×4, first 2 shown]
	v_add_co_u32 v38, s23, v38, -1
	v_cndmask_b32_e64 v163, 0, 1, s23
	v_not_b32_e32 v170, v159
	v_cmp_gt_i32_e64 s23, 0, v159
	v_not_b32_e32 v159, v160
	v_lshlrev_b32_e32 v169, 26, v161
	v_cmp_ne_u32_e32 vcc_lo, 0, v163
	v_ashrrev_i32_e32 v170, 31, v170
	v_lshlrev_b32_e32 v163, 25, v161
	v_ashrrev_i32_e32 v159, 31, v159
	v_xor_b32_e32 v38, vcc_lo, v38
	v_cmp_gt_i32_e32 vcc_lo, 0, v160
	v_not_b32_e32 v160, v165
	v_xor_b32_e32 v170, s23, v170
	v_cmp_gt_i32_e64 s23, 0, v165
	v_and_b32_e32 v38, exec_lo, v38
	v_not_b32_e32 v165, v166
	v_ashrrev_i32_e32 v160, 31, v160
	v_xor_b32_e32 v159, vcc_lo, v159
	v_cmp_gt_i32_e32 vcc_lo, 0, v166
	v_and_b32_e32 v38, v38, v170
	v_not_b32_e32 v166, v169
	v_ashrrev_i32_e32 v165, 31, v165
	v_xor_b32_e32 v160, s23, v160
	v_cmp_gt_i32_e64 s23, 0, v169
	v_and_b32_e32 v38, v38, v159
	v_not_b32_e32 v159, v163
	v_ashrrev_i32_e32 v166, 31, v166
	v_xor_b32_e32 v165, vcc_lo, v165
	v_cmp_gt_i32_e32 vcc_lo, 0, v163
	v_and_b32_e32 v38, v38, v160
	v_ashrrev_i32_e32 v159, 31, v159
	v_xor_b32_e32 v160, s23, v166
	v_mad_u32_u24 v163, v161, 36, v131
	v_mul_u32_u24_e32 v161, 36, v161
	v_and_b32_e32 v38, v38, v165
	v_xor_b32_e32 v165, vcc_lo, v159
	ds_read_b32 v159, v163 offset:544
	v_add_nc_u32_e32 v161, v131, v161
	v_and_b32_e32 v38, v38, v160
	; wave barrier
	v_and_b32_e32 v38, v38, v165
	v_mbcnt_lo_u32_b32 v160, v38, 0
	v_cmp_ne_u32_e64 s23, 0, v38
	v_cmp_eq_u32_e32 vcc_lo, 0, v160
	s_and_b32 s24, s23, vcc_lo
	s_and_saveexec_b32 s23, s24
	s_cbranch_execz .LBB1458_1030
; %bb.1029:                             ;   in Loop: Header=BB1458_988 Depth=2
	s_waitcnt lgkmcnt(0)
	v_bcnt_u32_b32 v38, v38, v159
	ds_write_b32 v161, v38 offset:544
.LBB1458_1030:                          ;   in Loop: Header=BB1458_988 Depth=2
	s_or_b32 exec_lo, exec_lo, s23
	v_cmp_lt_i32_e32 vcc_lo, -1, v158
	; wave barrier
	v_cndmask_b32_e64 v38, -1, 0x80000000, vcc_lo
	v_xor_b32_e32 v158, v38, v158
	v_cmp_ne_u32_e32 vcc_lo, 0x7fffffff, v158
	v_cndmask_b32_e32 v38, 0x80000000, v158, vcc_lo
	v_lshrrev_b32_e32 v38, s53, v38
	v_and_b32_e32 v166, s61, v38
	v_and_b32_e32 v38, 1, v166
	v_lshlrev_b32_e32 v163, 30, v166
	v_lshlrev_b32_e32 v165, 29, v166
	;; [unrolled: 1-line block ×4, first 2 shown]
	v_add_co_u32 v38, s23, v38, -1
	v_cndmask_b32_e64 v169, 0, 1, s23
	v_not_b32_e32 v175, v163
	v_cmp_gt_i32_e64 s23, 0, v163
	v_not_b32_e32 v163, v165
	v_lshlrev_b32_e32 v174, 26, v166
	v_cmp_ne_u32_e32 vcc_lo, 0, v169
	v_ashrrev_i32_e32 v175, 31, v175
	v_lshlrev_b32_e32 v169, 25, v166
	v_ashrrev_i32_e32 v163, 31, v163
	v_xor_b32_e32 v38, vcc_lo, v38
	v_cmp_gt_i32_e32 vcc_lo, 0, v165
	v_not_b32_e32 v165, v170
	v_xor_b32_e32 v175, s23, v175
	v_cmp_gt_i32_e64 s23, 0, v170
	v_and_b32_e32 v38, exec_lo, v38
	v_not_b32_e32 v170, v171
	v_ashrrev_i32_e32 v165, 31, v165
	v_xor_b32_e32 v163, vcc_lo, v163
	v_cmp_gt_i32_e32 vcc_lo, 0, v171
	v_and_b32_e32 v38, v38, v175
	v_not_b32_e32 v171, v174
	v_ashrrev_i32_e32 v170, 31, v170
	v_xor_b32_e32 v165, s23, v165
	v_cmp_gt_i32_e64 s23, 0, v174
	v_and_b32_e32 v38, v38, v163
	v_not_b32_e32 v163, v169
	v_ashrrev_i32_e32 v171, 31, v171
	v_xor_b32_e32 v170, vcc_lo, v170
	v_cmp_gt_i32_e32 vcc_lo, 0, v169
	v_and_b32_e32 v38, v38, v165
	v_ashrrev_i32_e32 v163, 31, v163
	v_xor_b32_e32 v165, s23, v171
	v_mad_u32_u24 v169, v166, 36, v131
	v_mul_u32_u24_e32 v166, 36, v166
	v_and_b32_e32 v38, v38, v170
	v_xor_b32_e32 v170, vcc_lo, v163
	ds_read_b32 v163, v169 offset:544
	v_add_nc_u32_e32 v166, v131, v166
	v_and_b32_e32 v38, v38, v165
	; wave barrier
	v_and_b32_e32 v38, v38, v170
	v_mbcnt_lo_u32_b32 v165, v38, 0
	v_cmp_ne_u32_e64 s23, 0, v38
	v_cmp_eq_u32_e32 vcc_lo, 0, v165
	s_and_b32 s24, s23, vcc_lo
	s_and_saveexec_b32 s23, s24
	s_cbranch_execz .LBB1458_1032
; %bb.1031:                             ;   in Loop: Header=BB1458_988 Depth=2
	s_waitcnt lgkmcnt(0)
	v_bcnt_u32_b32 v38, v38, v163
	ds_write_b32 v166, v38 offset:544
.LBB1458_1032:                          ;   in Loop: Header=BB1458_988 Depth=2
	s_or_b32 exec_lo, exec_lo, s23
	v_cmp_lt_i32_e32 vcc_lo, -1, v162
	; wave barrier
	v_cndmask_b32_e64 v38, -1, 0x80000000, vcc_lo
	v_xor_b32_e32 v162, v38, v162
	v_cmp_ne_u32_e32 vcc_lo, 0x7fffffff, v162
	v_cndmask_b32_e32 v38, 0x80000000, v162, vcc_lo
	v_lshrrev_b32_e32 v38, s53, v38
	v_and_b32_e32 v171, s61, v38
	v_and_b32_e32 v38, 1, v171
	v_lshlrev_b32_e32 v169, 30, v171
	v_lshlrev_b32_e32 v170, 29, v171
	;; [unrolled: 1-line block ×4, first 2 shown]
	v_add_co_u32 v38, s23, v38, -1
	v_cndmask_b32_e64 v174, 0, 1, s23
	v_not_b32_e32 v180, v169
	v_cmp_gt_i32_e64 s23, 0, v169
	v_not_b32_e32 v169, v170
	v_lshlrev_b32_e32 v179, 26, v171
	v_cmp_ne_u32_e32 vcc_lo, 0, v174
	v_ashrrev_i32_e32 v180, 31, v180
	v_lshlrev_b32_e32 v174, 25, v171
	v_ashrrev_i32_e32 v169, 31, v169
	v_xor_b32_e32 v38, vcc_lo, v38
	v_cmp_gt_i32_e32 vcc_lo, 0, v170
	v_not_b32_e32 v170, v175
	v_xor_b32_e32 v180, s23, v180
	v_cmp_gt_i32_e64 s23, 0, v175
	v_and_b32_e32 v38, exec_lo, v38
	v_not_b32_e32 v175, v177
	v_ashrrev_i32_e32 v170, 31, v170
	v_xor_b32_e32 v169, vcc_lo, v169
	v_cmp_gt_i32_e32 vcc_lo, 0, v177
	v_and_b32_e32 v38, v38, v180
	v_not_b32_e32 v177, v179
	v_ashrrev_i32_e32 v175, 31, v175
	v_xor_b32_e32 v170, s23, v170
	v_cmp_gt_i32_e64 s23, 0, v179
	v_and_b32_e32 v38, v38, v169
	v_not_b32_e32 v169, v174
	v_ashrrev_i32_e32 v177, 31, v177
	v_xor_b32_e32 v175, vcc_lo, v175
	v_cmp_gt_i32_e32 vcc_lo, 0, v174
	v_and_b32_e32 v38, v38, v170
	v_ashrrev_i32_e32 v169, 31, v169
	v_xor_b32_e32 v170, s23, v177
	v_mad_u32_u24 v174, v171, 36, v131
	v_mul_u32_u24_e32 v171, 36, v171
	v_and_b32_e32 v38, v38, v175
	v_xor_b32_e32 v175, vcc_lo, v169
	ds_read_b32 v169, v174 offset:544
	v_add_nc_u32_e32 v171, v131, v171
	v_and_b32_e32 v38, v38, v170
	; wave barrier
	v_and_b32_e32 v38, v38, v175
	v_mbcnt_lo_u32_b32 v170, v38, 0
	v_cmp_ne_u32_e64 s23, 0, v38
	v_cmp_eq_u32_e32 vcc_lo, 0, v170
	s_and_b32 s24, s23, vcc_lo
	s_and_saveexec_b32 s23, s24
	s_cbranch_execz .LBB1458_1034
; %bb.1033:                             ;   in Loop: Header=BB1458_988 Depth=2
	s_waitcnt lgkmcnt(0)
	v_bcnt_u32_b32 v38, v38, v169
	ds_write_b32 v171, v38 offset:544
.LBB1458_1034:                          ;   in Loop: Header=BB1458_988 Depth=2
	s_or_b32 exec_lo, exec_lo, s23
	v_cmp_lt_i32_e32 vcc_lo, -1, v168
	; wave barrier
	v_cndmask_b32_e64 v38, -1, 0x80000000, vcc_lo
	v_xor_b32_e32 v168, v38, v168
	v_cmp_ne_u32_e32 vcc_lo, 0x7fffffff, v168
	v_cndmask_b32_e32 v38, 0x80000000, v168, vcc_lo
	v_lshrrev_b32_e32 v38, s53, v38
	v_and_b32_e32 v177, s61, v38
	v_and_b32_e32 v38, 1, v177
	v_lshlrev_b32_e32 v174, 30, v177
	v_lshlrev_b32_e32 v175, 29, v177
	v_lshlrev_b32_e32 v180, 28, v177
	v_lshlrev_b32_e32 v182, 27, v177
	v_add_co_u32 v38, s23, v38, -1
	v_cndmask_b32_e64 v179, 0, 1, s23
	v_not_b32_e32 v184, v174
	v_cmp_gt_i32_e64 s23, 0, v174
	v_not_b32_e32 v174, v175
	v_lshlrev_b32_e32 v183, 26, v177
	v_cmp_ne_u32_e32 vcc_lo, 0, v179
	v_ashrrev_i32_e32 v184, 31, v184
	v_lshlrev_b32_e32 v179, 25, v177
	v_ashrrev_i32_e32 v174, 31, v174
	v_xor_b32_e32 v38, vcc_lo, v38
	v_cmp_gt_i32_e32 vcc_lo, 0, v175
	v_not_b32_e32 v175, v180
	v_xor_b32_e32 v184, s23, v184
	v_cmp_gt_i32_e64 s23, 0, v180
	v_and_b32_e32 v38, exec_lo, v38
	v_not_b32_e32 v180, v182
	v_ashrrev_i32_e32 v175, 31, v175
	v_xor_b32_e32 v174, vcc_lo, v174
	v_cmp_gt_i32_e32 vcc_lo, 0, v182
	v_and_b32_e32 v38, v38, v184
	v_not_b32_e32 v182, v183
	v_ashrrev_i32_e32 v180, 31, v180
	v_xor_b32_e32 v175, s23, v175
	v_cmp_gt_i32_e64 s23, 0, v183
	v_and_b32_e32 v38, v38, v174
	v_not_b32_e32 v174, v179
	v_ashrrev_i32_e32 v182, 31, v182
	v_xor_b32_e32 v180, vcc_lo, v180
	v_cmp_gt_i32_e32 vcc_lo, 0, v179
	v_and_b32_e32 v38, v38, v175
	v_ashrrev_i32_e32 v174, 31, v174
	v_xor_b32_e32 v175, s23, v182
	v_mad_u32_u24 v179, v177, 36, v131
	v_mul_u32_u24_e32 v177, 36, v177
	v_and_b32_e32 v38, v38, v180
	v_xor_b32_e32 v180, vcc_lo, v174
	ds_read_b32 v174, v179 offset:544
	v_add_nc_u32_e32 v177, v131, v177
	v_and_b32_e32 v38, v38, v175
	; wave barrier
	v_and_b32_e32 v38, v38, v180
	v_mbcnt_lo_u32_b32 v175, v38, 0
	v_cmp_ne_u32_e64 s23, 0, v38
	v_cmp_eq_u32_e32 vcc_lo, 0, v175
	s_and_b32 s24, s23, vcc_lo
	s_and_saveexec_b32 s23, s24
	s_cbranch_execz .LBB1458_1036
; %bb.1035:                             ;   in Loop: Header=BB1458_988 Depth=2
	s_waitcnt lgkmcnt(0)
	v_bcnt_u32_b32 v38, v38, v174
	ds_write_b32 v177, v38 offset:544
.LBB1458_1036:                          ;   in Loop: Header=BB1458_988 Depth=2
	s_or_b32 exec_lo, exec_lo, s23
	v_cmp_lt_i32_e32 vcc_lo, -1, v173
	; wave barrier
	v_cndmask_b32_e64 v38, -1, 0x80000000, vcc_lo
	v_xor_b32_e32 v173, v38, v173
	v_cmp_ne_u32_e32 vcc_lo, 0x7fffffff, v173
	v_cndmask_b32_e32 v38, 0x80000000, v173, vcc_lo
	v_lshrrev_b32_e32 v38, s53, v38
	v_and_b32_e32 v182, s61, v38
	v_and_b32_e32 v38, 1, v182
	v_lshlrev_b32_e32 v179, 30, v182
	v_lshlrev_b32_e32 v180, 29, v182
	;; [unrolled: 1-line block ×4, first 2 shown]
	v_add_co_u32 v38, s23, v38, -1
	v_cndmask_b32_e64 v183, 0, 1, s23
	v_not_b32_e32 v187, v179
	v_cmp_gt_i32_e64 s23, 0, v179
	v_not_b32_e32 v179, v180
	v_lshlrev_b32_e32 v186, 26, v182
	v_cmp_ne_u32_e32 vcc_lo, 0, v183
	v_ashrrev_i32_e32 v187, 31, v187
	v_lshlrev_b32_e32 v183, 25, v182
	v_ashrrev_i32_e32 v179, 31, v179
	v_xor_b32_e32 v38, vcc_lo, v38
	v_cmp_gt_i32_e32 vcc_lo, 0, v180
	v_not_b32_e32 v180, v184
	v_xor_b32_e32 v187, s23, v187
	v_cmp_gt_i32_e64 s23, 0, v184
	v_and_b32_e32 v38, exec_lo, v38
	v_not_b32_e32 v184, v185
	v_ashrrev_i32_e32 v180, 31, v180
	v_xor_b32_e32 v179, vcc_lo, v179
	v_cmp_gt_i32_e32 vcc_lo, 0, v185
	v_and_b32_e32 v38, v38, v187
	v_not_b32_e32 v185, v186
	v_ashrrev_i32_e32 v184, 31, v184
	v_xor_b32_e32 v180, s23, v180
	v_cmp_gt_i32_e64 s23, 0, v186
	v_and_b32_e32 v38, v38, v179
	v_not_b32_e32 v179, v183
	v_ashrrev_i32_e32 v185, 31, v185
	v_xor_b32_e32 v184, vcc_lo, v184
	v_cmp_gt_i32_e32 vcc_lo, 0, v183
	v_and_b32_e32 v38, v38, v180
	v_ashrrev_i32_e32 v179, 31, v179
	v_xor_b32_e32 v180, s23, v185
	v_mad_u32_u24 v183, v182, 36, v131
	v_mul_u32_u24_e32 v182, 36, v182
	v_and_b32_e32 v38, v38, v184
	v_xor_b32_e32 v184, vcc_lo, v179
	ds_read_b32 v179, v183 offset:544
	v_add_nc_u32_e32 v182, v131, v182
	v_and_b32_e32 v38, v38, v180
	; wave barrier
	v_and_b32_e32 v38, v38, v184
	v_mbcnt_lo_u32_b32 v180, v38, 0
	v_cmp_ne_u32_e64 s23, 0, v38
	v_cmp_eq_u32_e32 vcc_lo, 0, v180
	s_and_b32 s24, s23, vcc_lo
	s_and_saveexec_b32 s23, s24
	s_cbranch_execz .LBB1458_1038
; %bb.1037:                             ;   in Loop: Header=BB1458_988 Depth=2
	s_waitcnt lgkmcnt(0)
	v_bcnt_u32_b32 v38, v38, v179
	ds_write_b32 v182, v38 offset:544
.LBB1458_1038:                          ;   in Loop: Header=BB1458_988 Depth=2
	s_or_b32 exec_lo, exec_lo, s23
	v_cmp_lt_i32_e32 vcc_lo, -1, v178
	; wave barrier
	v_cndmask_b32_e64 v38, -1, 0x80000000, vcc_lo
	v_xor_b32_e32 v178, v38, v178
	v_cmp_ne_u32_e32 vcc_lo, 0x7fffffff, v178
	v_cndmask_b32_e32 v38, 0x80000000, v178, vcc_lo
	v_lshrrev_b32_e32 v38, s53, v38
	v_and_b32_e32 v185, s61, v38
	v_and_b32_e32 v38, 1, v185
	v_lshlrev_b32_e32 v183, 30, v185
	v_lshlrev_b32_e32 v184, 29, v185
	;; [unrolled: 1-line block ×4, first 2 shown]
	v_add_co_u32 v38, s23, v38, -1
	v_cndmask_b32_e64 v186, 0, 1, s23
	v_not_b32_e32 v190, v183
	v_cmp_gt_i32_e64 s23, 0, v183
	v_not_b32_e32 v183, v184
	v_lshlrev_b32_e32 v189, 26, v185
	v_cmp_ne_u32_e32 vcc_lo, 0, v186
	v_ashrrev_i32_e32 v190, 31, v190
	v_lshlrev_b32_e32 v186, 25, v185
	v_ashrrev_i32_e32 v183, 31, v183
	v_xor_b32_e32 v38, vcc_lo, v38
	v_cmp_gt_i32_e32 vcc_lo, 0, v184
	v_not_b32_e32 v184, v187
	v_xor_b32_e32 v190, s23, v190
	v_cmp_gt_i32_e64 s23, 0, v187
	v_and_b32_e32 v38, exec_lo, v38
	v_not_b32_e32 v187, v188
	v_ashrrev_i32_e32 v184, 31, v184
	v_xor_b32_e32 v183, vcc_lo, v183
	v_cmp_gt_i32_e32 vcc_lo, 0, v188
	v_and_b32_e32 v38, v38, v190
	v_not_b32_e32 v188, v189
	v_ashrrev_i32_e32 v187, 31, v187
	v_xor_b32_e32 v184, s23, v184
	v_cmp_gt_i32_e64 s23, 0, v189
	v_and_b32_e32 v38, v38, v183
	v_not_b32_e32 v183, v186
	v_ashrrev_i32_e32 v188, 31, v188
	v_xor_b32_e32 v187, vcc_lo, v187
	v_cmp_gt_i32_e32 vcc_lo, 0, v186
	v_and_b32_e32 v38, v38, v184
	v_ashrrev_i32_e32 v183, 31, v183
	v_xor_b32_e32 v184, s23, v188
	v_mad_u32_u24 v186, v185, 36, v131
	v_mul_u32_u24_e32 v185, 36, v185
	v_and_b32_e32 v38, v38, v187
	v_xor_b32_e32 v187, vcc_lo, v183
	ds_read_b32 v183, v186 offset:544
	v_add_nc_u32_e32 v185, v131, v185
	v_and_b32_e32 v38, v38, v184
	; wave barrier
	v_and_b32_e32 v38, v38, v187
	v_mbcnt_lo_u32_b32 v184, v38, 0
	v_cmp_ne_u32_e64 s23, 0, v38
	v_cmp_eq_u32_e32 vcc_lo, 0, v184
	s_and_b32 s24, s23, vcc_lo
	s_and_saveexec_b32 s23, s24
	s_cbranch_execz .LBB1458_1040
; %bb.1039:                             ;   in Loop: Header=BB1458_988 Depth=2
	s_waitcnt lgkmcnt(0)
	v_bcnt_u32_b32 v38, v38, v183
	ds_write_b32 v185, v38 offset:544
.LBB1458_1040:                          ;   in Loop: Header=BB1458_988 Depth=2
	s_or_b32 exec_lo, exec_lo, s23
	v_cmp_lt_i32_e32 vcc_lo, -1, v181
	; wave barrier
	v_cndmask_b32_e64 v38, -1, 0x80000000, vcc_lo
	v_xor_b32_e32 v181, v38, v181
	v_cmp_ne_u32_e32 vcc_lo, 0x7fffffff, v181
	v_cndmask_b32_e32 v38, 0x80000000, v181, vcc_lo
	v_lshrrev_b32_e32 v38, s53, v38
	v_and_b32_e32 v188, s61, v38
	v_and_b32_e32 v38, 1, v188
	v_lshlrev_b32_e32 v186, 30, v188
	v_lshlrev_b32_e32 v187, 29, v188
	;; [unrolled: 1-line block ×4, first 2 shown]
	v_add_co_u32 v38, s23, v38, -1
	v_cndmask_b32_e64 v189, 0, 1, s23
	v_not_b32_e32 v193, v186
	v_cmp_gt_i32_e64 s23, 0, v186
	v_not_b32_e32 v186, v187
	v_lshlrev_b32_e32 v192, 26, v188
	v_cmp_ne_u32_e32 vcc_lo, 0, v189
	v_ashrrev_i32_e32 v193, 31, v193
	v_lshlrev_b32_e32 v189, 25, v188
	v_ashrrev_i32_e32 v186, 31, v186
	v_xor_b32_e32 v38, vcc_lo, v38
	v_cmp_gt_i32_e32 vcc_lo, 0, v187
	v_not_b32_e32 v187, v190
	v_xor_b32_e32 v193, s23, v193
	v_cmp_gt_i32_e64 s23, 0, v190
	v_and_b32_e32 v38, exec_lo, v38
	v_not_b32_e32 v190, v191
	v_ashrrev_i32_e32 v187, 31, v187
	v_xor_b32_e32 v186, vcc_lo, v186
	v_cmp_gt_i32_e32 vcc_lo, 0, v191
	v_and_b32_e32 v38, v38, v193
	v_not_b32_e32 v191, v192
	v_ashrrev_i32_e32 v190, 31, v190
	v_xor_b32_e32 v187, s23, v187
	v_cmp_gt_i32_e64 s23, 0, v192
	v_and_b32_e32 v38, v38, v186
	v_not_b32_e32 v186, v189
	v_ashrrev_i32_e32 v191, 31, v191
	v_xor_b32_e32 v190, vcc_lo, v190
	v_cmp_gt_i32_e32 vcc_lo, 0, v189
	v_and_b32_e32 v38, v38, v187
	v_ashrrev_i32_e32 v186, 31, v186
	v_xor_b32_e32 v187, s23, v191
	v_mad_u32_u24 v189, v188, 36, v131
	v_mul_u32_u24_e32 v188, 36, v188
	v_and_b32_e32 v38, v38, v190
	v_xor_b32_e32 v190, vcc_lo, v186
	ds_read_b32 v186, v189 offset:544
	v_add_nc_u32_e32 v188, v131, v188
	v_and_b32_e32 v38, v38, v187
	; wave barrier
	v_and_b32_e32 v38, v38, v190
	v_mbcnt_lo_u32_b32 v187, v38, 0
	v_cmp_ne_u32_e64 s23, 0, v38
	v_cmp_eq_u32_e32 vcc_lo, 0, v187
	s_and_b32 s24, s23, vcc_lo
	s_and_saveexec_b32 s23, s24
	s_cbranch_execz .LBB1458_1042
; %bb.1041:                             ;   in Loop: Header=BB1458_988 Depth=2
	s_waitcnt lgkmcnt(0)
	v_bcnt_u32_b32 v38, v38, v186
	ds_write_b32 v188, v38 offset:544
.LBB1458_1042:                          ;   in Loop: Header=BB1458_988 Depth=2
	s_or_b32 exec_lo, exec_lo, s23
	v_cmp_lt_i32_e32 vcc_lo, -1, v176
	; wave barrier
	v_cndmask_b32_e64 v38, -1, 0x80000000, vcc_lo
	v_xor_b32_e32 v176, v38, v176
	v_cmp_ne_u32_e32 vcc_lo, 0x7fffffff, v176
	v_cndmask_b32_e32 v38, 0x80000000, v176, vcc_lo
	v_lshrrev_b32_e32 v38, s53, v38
	v_and_b32_e32 v191, s61, v38
	v_and_b32_e32 v38, 1, v191
	v_lshlrev_b32_e32 v189, 30, v191
	v_lshlrev_b32_e32 v190, 29, v191
	;; [unrolled: 1-line block ×4, first 2 shown]
	v_add_co_u32 v38, s23, v38, -1
	v_cndmask_b32_e64 v192, 0, 1, s23
	v_not_b32_e32 v196, v189
	v_cmp_gt_i32_e64 s23, 0, v189
	v_not_b32_e32 v189, v190
	v_lshlrev_b32_e32 v195, 26, v191
	v_cmp_ne_u32_e32 vcc_lo, 0, v192
	v_ashrrev_i32_e32 v196, 31, v196
	v_lshlrev_b32_e32 v192, 25, v191
	v_ashrrev_i32_e32 v189, 31, v189
	v_xor_b32_e32 v38, vcc_lo, v38
	v_cmp_gt_i32_e32 vcc_lo, 0, v190
	v_not_b32_e32 v190, v193
	v_xor_b32_e32 v196, s23, v196
	v_cmp_gt_i32_e64 s23, 0, v193
	v_and_b32_e32 v38, exec_lo, v38
	v_not_b32_e32 v193, v194
	v_ashrrev_i32_e32 v190, 31, v190
	v_xor_b32_e32 v189, vcc_lo, v189
	v_cmp_gt_i32_e32 vcc_lo, 0, v194
	v_and_b32_e32 v38, v38, v196
	v_not_b32_e32 v194, v195
	v_ashrrev_i32_e32 v193, 31, v193
	v_xor_b32_e32 v190, s23, v190
	v_cmp_gt_i32_e64 s23, 0, v195
	v_and_b32_e32 v38, v38, v189
	v_not_b32_e32 v189, v192
	v_ashrrev_i32_e32 v194, 31, v194
	v_xor_b32_e32 v193, vcc_lo, v193
	v_cmp_gt_i32_e32 vcc_lo, 0, v192
	v_and_b32_e32 v38, v38, v190
	v_ashrrev_i32_e32 v189, 31, v189
	v_xor_b32_e32 v190, s23, v194
	v_mad_u32_u24 v192, v191, 36, v131
	v_mul_u32_u24_e32 v191, 36, v191
	v_and_b32_e32 v38, v38, v193
	v_xor_b32_e32 v193, vcc_lo, v189
	ds_read_b32 v189, v192 offset:544
	v_add_nc_u32_e32 v191, v131, v191
	v_and_b32_e32 v38, v38, v190
	; wave barrier
	v_and_b32_e32 v38, v38, v193
	v_mbcnt_lo_u32_b32 v190, v38, 0
	v_cmp_ne_u32_e64 s23, 0, v38
	v_cmp_eq_u32_e32 vcc_lo, 0, v190
	s_and_b32 s24, s23, vcc_lo
	s_and_saveexec_b32 s23, s24
	s_cbranch_execz .LBB1458_1044
; %bb.1043:                             ;   in Loop: Header=BB1458_988 Depth=2
	s_waitcnt lgkmcnt(0)
	v_bcnt_u32_b32 v38, v38, v189
	ds_write_b32 v191, v38 offset:544
.LBB1458_1044:                          ;   in Loop: Header=BB1458_988 Depth=2
	s_or_b32 exec_lo, exec_lo, s23
	v_cmp_lt_i32_e32 vcc_lo, -1, v172
	; wave barrier
	v_cndmask_b32_e64 v38, -1, 0x80000000, vcc_lo
	v_xor_b32_e32 v172, v38, v172
	v_cmp_ne_u32_e32 vcc_lo, 0x7fffffff, v172
	v_cndmask_b32_e32 v38, 0x80000000, v172, vcc_lo
	v_lshrrev_b32_e32 v38, s53, v38
	v_and_b32_e32 v192, s61, v38
	v_and_b32_e32 v38, 1, v192
	v_lshlrev_b32_e32 v193, 30, v192
	v_lshlrev_b32_e32 v194, 29, v192
	;; [unrolled: 1-line block ×4, first 2 shown]
	v_add_co_u32 v38, s23, v38, -1
	v_cndmask_b32_e64 v195, 0, 1, s23
	v_not_b32_e32 v199, v193
	v_cmp_gt_i32_e64 s23, 0, v193
	v_not_b32_e32 v193, v194
	v_lshlrev_b32_e32 v198, 26, v192
	v_cmp_ne_u32_e32 vcc_lo, 0, v195
	v_ashrrev_i32_e32 v199, 31, v199
	v_lshlrev_b32_e32 v195, 25, v192
	v_ashrrev_i32_e32 v193, 31, v193
	v_xor_b32_e32 v38, vcc_lo, v38
	v_cmp_gt_i32_e32 vcc_lo, 0, v194
	v_not_b32_e32 v194, v196
	v_xor_b32_e32 v199, s23, v199
	v_cmp_gt_i32_e64 s23, 0, v196
	v_and_b32_e32 v38, exec_lo, v38
	v_not_b32_e32 v196, v197
	v_ashrrev_i32_e32 v194, 31, v194
	v_xor_b32_e32 v193, vcc_lo, v193
	v_cmp_gt_i32_e32 vcc_lo, 0, v197
	v_and_b32_e32 v38, v38, v199
	v_not_b32_e32 v197, v198
	v_ashrrev_i32_e32 v196, 31, v196
	v_xor_b32_e32 v194, s23, v194
	v_cmp_gt_i32_e64 s23, 0, v198
	v_and_b32_e32 v38, v38, v193
	v_not_b32_e32 v193, v195
	v_ashrrev_i32_e32 v197, 31, v197
	v_xor_b32_e32 v196, vcc_lo, v196
	v_cmp_gt_i32_e32 vcc_lo, 0, v195
	v_and_b32_e32 v38, v38, v194
	v_ashrrev_i32_e32 v193, 31, v193
	v_xor_b32_e32 v194, s23, v197
	v_mad_u32_u24 v195, v192, 36, v131
	v_mul_u32_u24_e32 v192, 36, v192
	v_and_b32_e32 v38, v38, v196
	v_xor_b32_e32 v196, vcc_lo, v193
	ds_read_b32 v193, v195 offset:544
	v_add_nc_u32_e32 v195, v131, v192
	v_and_b32_e32 v38, v38, v194
	; wave barrier
	v_and_b32_e32 v38, v38, v196
	v_mbcnt_lo_u32_b32 v194, v38, 0
	v_cmp_ne_u32_e64 s23, 0, v38
	v_cmp_eq_u32_e32 vcc_lo, 0, v194
	s_and_b32 s24, s23, vcc_lo
	s_and_saveexec_b32 s23, s24
	s_cbranch_execz .LBB1458_1046
; %bb.1045:                             ;   in Loop: Header=BB1458_988 Depth=2
	s_waitcnt lgkmcnt(0)
	v_bcnt_u32_b32 v38, v38, v193
	ds_write_b32 v195, v38 offset:544
.LBB1458_1046:                          ;   in Loop: Header=BB1458_988 Depth=2
	s_or_b32 exec_lo, exec_lo, s23
	v_cmp_lt_i32_e32 vcc_lo, -1, v167
	; wave barrier
	v_cndmask_b32_e64 v38, -1, 0x80000000, vcc_lo
	v_xor_b32_e32 v192, v38, v167
	v_cmp_ne_u32_e32 vcc_lo, 0x7fffffff, v192
	v_cndmask_b32_e32 v38, 0x80000000, v192, vcc_lo
	v_lshrrev_b32_e32 v38, s53, v38
	v_and_b32_e32 v167, s61, v38
	v_and_b32_e32 v38, 1, v167
	v_lshlrev_b32_e32 v196, 30, v167
	v_lshlrev_b32_e32 v197, 29, v167
	;; [unrolled: 1-line block ×4, first 2 shown]
	v_add_co_u32 v38, s23, v38, -1
	v_cndmask_b32_e64 v198, 0, 1, s23
	v_not_b32_e32 v202, v196
	v_cmp_gt_i32_e64 s23, 0, v196
	v_not_b32_e32 v196, v197
	v_lshlrev_b32_e32 v201, 26, v167
	v_cmp_ne_u32_e32 vcc_lo, 0, v198
	v_ashrrev_i32_e32 v202, 31, v202
	v_lshlrev_b32_e32 v198, 25, v167
	v_ashrrev_i32_e32 v196, 31, v196
	v_xor_b32_e32 v38, vcc_lo, v38
	v_cmp_gt_i32_e32 vcc_lo, 0, v197
	v_not_b32_e32 v197, v199
	v_xor_b32_e32 v202, s23, v202
	v_cmp_gt_i32_e64 s23, 0, v199
	v_and_b32_e32 v38, exec_lo, v38
	v_not_b32_e32 v199, v200
	v_ashrrev_i32_e32 v197, 31, v197
	v_xor_b32_e32 v196, vcc_lo, v196
	v_cmp_gt_i32_e32 vcc_lo, 0, v200
	v_and_b32_e32 v38, v38, v202
	v_not_b32_e32 v200, v201
	v_ashrrev_i32_e32 v199, 31, v199
	v_xor_b32_e32 v197, s23, v197
	v_cmp_gt_i32_e64 s23, 0, v201
	v_and_b32_e32 v38, v38, v196
	v_not_b32_e32 v196, v198
	v_ashrrev_i32_e32 v200, 31, v200
	v_xor_b32_e32 v199, vcc_lo, v199
	v_cmp_gt_i32_e32 vcc_lo, 0, v198
	v_and_b32_e32 v38, v38, v197
	v_ashrrev_i32_e32 v196, 31, v196
	v_xor_b32_e32 v197, s23, v200
	v_mad_u32_u24 v198, v167, 36, v131
	v_mul_u32_u24_e32 v167, 36, v167
	v_and_b32_e32 v38, v38, v199
	v_xor_b32_e32 v196, vcc_lo, v196
	v_add_nc_u32_e32 v167, v131, v167
	v_and_b32_e32 v38, v38, v197
	ds_read_b32 v197, v198 offset:544
	; wave barrier
	v_and_b32_e32 v38, v38, v196
	v_mbcnt_lo_u32_b32 v198, v38, 0
	v_cmp_ne_u32_e64 s23, 0, v38
	v_cmp_eq_u32_e32 vcc_lo, 0, v198
	s_and_b32 s24, s23, vcc_lo
	s_and_saveexec_b32 s23, s24
	s_cbranch_execz .LBB1458_1048
; %bb.1047:                             ;   in Loop: Header=BB1458_988 Depth=2
	s_waitcnt lgkmcnt(0)
	v_bcnt_u32_b32 v38, v38, v197
	ds_write_b32 v167, v38 offset:544
.LBB1458_1048:                          ;   in Loop: Header=BB1458_988 Depth=2
	s_or_b32 exec_lo, exec_lo, s23
	v_cmp_lt_i32_e32 vcc_lo, -1, v164
	; wave barrier
	v_cndmask_b32_e64 v38, -1, 0x80000000, vcc_lo
	v_xor_b32_e32 v196, v38, v164
	v_cmp_ne_u32_e32 vcc_lo, 0x7fffffff, v196
	v_cndmask_b32_e32 v38, 0x80000000, v196, vcc_lo
	v_lshrrev_b32_e32 v38, s53, v38
	v_and_b32_e32 v164, s61, v38
	v_and_b32_e32 v38, 1, v164
	v_lshlrev_b32_e32 v199, 30, v164
	v_lshlrev_b32_e32 v200, 29, v164
	v_lshlrev_b32_e32 v202, 28, v164
	v_lshlrev_b32_e32 v203, 27, v164
	v_add_co_u32 v38, s23, v38, -1
	v_cndmask_b32_e64 v201, 0, 1, s23
	v_not_b32_e32 v205, v199
	v_cmp_gt_i32_e64 s23, 0, v199
	v_not_b32_e32 v199, v200
	v_lshlrev_b32_e32 v204, 26, v164
	v_cmp_ne_u32_e32 vcc_lo, 0, v201
	v_ashrrev_i32_e32 v205, 31, v205
	v_lshlrev_b32_e32 v201, 25, v164
	v_ashrrev_i32_e32 v199, 31, v199
	v_xor_b32_e32 v38, vcc_lo, v38
	v_cmp_gt_i32_e32 vcc_lo, 0, v200
	v_not_b32_e32 v200, v202
	v_xor_b32_e32 v205, s23, v205
	v_cmp_gt_i32_e64 s23, 0, v202
	v_and_b32_e32 v38, exec_lo, v38
	v_not_b32_e32 v202, v203
	v_ashrrev_i32_e32 v200, 31, v200
	v_xor_b32_e32 v199, vcc_lo, v199
	v_cmp_gt_i32_e32 vcc_lo, 0, v203
	v_and_b32_e32 v38, v38, v205
	v_not_b32_e32 v203, v204
	v_ashrrev_i32_e32 v202, 31, v202
	v_xor_b32_e32 v200, s23, v200
	v_cmp_gt_i32_e64 s23, 0, v204
	v_and_b32_e32 v38, v38, v199
	v_not_b32_e32 v199, v201
	v_ashrrev_i32_e32 v203, 31, v203
	v_xor_b32_e32 v202, vcc_lo, v202
	v_cmp_gt_i32_e32 vcc_lo, 0, v201
	v_and_b32_e32 v38, v38, v200
	v_ashrrev_i32_e32 v199, 31, v199
	v_xor_b32_e32 v200, s23, v203
	v_mad_u32_u24 v201, v164, 36, v131
	v_mul_u32_u24_e32 v164, 36, v164
	v_and_b32_e32 v38, v38, v202
	v_xor_b32_e32 v199, vcc_lo, v199
	v_add_nc_u32_e32 v164, v131, v164
	v_and_b32_e32 v38, v38, v200
	ds_read_b32 v200, v201 offset:544
	; wave barrier
	v_and_b32_e32 v38, v38, v199
	v_mbcnt_lo_u32_b32 v201, v38, 0
	v_cmp_ne_u32_e64 s23, 0, v38
	v_cmp_eq_u32_e32 vcc_lo, 0, v201
	s_and_b32 s24, s23, vcc_lo
	s_and_saveexec_b32 s23, s24
	s_cbranch_execz .LBB1458_1050
; %bb.1049:                             ;   in Loop: Header=BB1458_988 Depth=2
	s_waitcnt lgkmcnt(0)
	v_bcnt_u32_b32 v38, v38, v200
	ds_write_b32 v164, v38 offset:544
.LBB1458_1050:                          ;   in Loop: Header=BB1458_988 Depth=2
	s_or_b32 exec_lo, exec_lo, s23
	v_cmp_lt_i32_e32 vcc_lo, -1, v40
	; wave barrier
	v_cndmask_b32_e64 v38, -1, 0x80000000, vcc_lo
	v_xor_b32_e32 v199, v38, v40
	v_cmp_ne_u32_e32 vcc_lo, 0x7fffffff, v199
	v_cndmask_b32_e32 v38, 0x80000000, v199, vcc_lo
	v_lshrrev_b32_e32 v38, s53, v38
	v_and_b32_e32 v40, s61, v38
	v_and_b32_e32 v38, 1, v40
	v_lshlrev_b32_e32 v202, 30, v40
	v_lshlrev_b32_e32 v203, 29, v40
	;; [unrolled: 1-line block ×4, first 2 shown]
	v_add_co_u32 v38, s23, v38, -1
	v_cndmask_b32_e64 v204, 0, 1, s23
	v_not_b32_e32 v208, v202
	v_cmp_gt_i32_e64 s23, 0, v202
	v_not_b32_e32 v202, v203
	v_lshlrev_b32_e32 v207, 26, v40
	v_cmp_ne_u32_e32 vcc_lo, 0, v204
	v_ashrrev_i32_e32 v208, 31, v208
	v_lshlrev_b32_e32 v204, 25, v40
	v_ashrrev_i32_e32 v202, 31, v202
	v_xor_b32_e32 v38, vcc_lo, v38
	v_cmp_gt_i32_e32 vcc_lo, 0, v203
	v_not_b32_e32 v203, v205
	v_xor_b32_e32 v208, s23, v208
	v_cmp_gt_i32_e64 s23, 0, v205
	v_and_b32_e32 v38, exec_lo, v38
	v_not_b32_e32 v205, v206
	v_ashrrev_i32_e32 v203, 31, v203
	v_xor_b32_e32 v202, vcc_lo, v202
	v_cmp_gt_i32_e32 vcc_lo, 0, v206
	v_and_b32_e32 v38, v38, v208
	v_not_b32_e32 v206, v207
	v_ashrrev_i32_e32 v205, 31, v205
	v_xor_b32_e32 v203, s23, v203
	v_cmp_gt_i32_e64 s23, 0, v207
	v_and_b32_e32 v38, v38, v202
	v_not_b32_e32 v202, v204
	v_ashrrev_i32_e32 v206, 31, v206
	v_xor_b32_e32 v205, vcc_lo, v205
	v_cmp_gt_i32_e32 vcc_lo, 0, v204
	v_and_b32_e32 v38, v38, v203
	v_ashrrev_i32_e32 v202, 31, v202
	v_xor_b32_e32 v203, s23, v206
	v_mad_u32_u24 v204, v40, 36, v131
	v_mul_u32_u24_e32 v40, 36, v40
	v_and_b32_e32 v38, v38, v205
	v_xor_b32_e32 v202, vcc_lo, v202
	v_add_nc_u32_e32 v205, v131, v40
	v_and_b32_e32 v38, v38, v203
	ds_read_b32 v203, v204 offset:544
	; wave barrier
	v_and_b32_e32 v38, v38, v202
	v_mbcnt_lo_u32_b32 v204, v38, 0
	v_cmp_ne_u32_e64 s23, 0, v38
	v_cmp_eq_u32_e32 vcc_lo, 0, v204
	s_and_b32 s24, s23, vcc_lo
	s_and_saveexec_b32 s23, s24
	s_cbranch_execz .LBB1458_1052
; %bb.1051:                             ;   in Loop: Header=BB1458_988 Depth=2
	s_waitcnt lgkmcnt(0)
	v_bcnt_u32_b32 v38, v38, v203
	ds_write_b32 v205, v38 offset:544
.LBB1458_1052:                          ;   in Loop: Header=BB1458_988 Depth=2
	s_or_b32 exec_lo, exec_lo, s23
	v_cmp_lt_i32_e32 vcc_lo, -1, v39
	; wave barrier
	v_cndmask_b32_e64 v38, -1, 0x80000000, vcc_lo
	v_xor_b32_e32 v202, v38, v39
	v_cmp_ne_u32_e32 vcc_lo, 0x7fffffff, v202
	v_cndmask_b32_e32 v38, 0x80000000, v202, vcc_lo
	v_lshrrev_b32_e32 v38, s53, v38
	v_and_b32_e32 v39, s61, v38
	v_and_b32_e32 v38, 1, v39
	v_lshlrev_b32_e32 v40, 30, v39
	v_lshlrev_b32_e32 v206, 29, v39
	;; [unrolled: 1-line block ×4, first 2 shown]
	v_add_co_u32 v38, s23, v38, -1
	v_cndmask_b32_e64 v207, 0, 1, s23
	v_not_b32_e32 v211, v40
	v_cmp_gt_i32_e64 s23, 0, v40
	v_not_b32_e32 v40, v206
	v_lshlrev_b32_e32 v210, 26, v39
	v_cmp_ne_u32_e32 vcc_lo, 0, v207
	v_ashrrev_i32_e32 v211, 31, v211
	v_lshlrev_b32_e32 v207, 25, v39
	v_ashrrev_i32_e32 v40, 31, v40
	v_xor_b32_e32 v38, vcc_lo, v38
	v_cmp_gt_i32_e32 vcc_lo, 0, v206
	v_not_b32_e32 v206, v208
	v_xor_b32_e32 v211, s23, v211
	v_cmp_gt_i32_e64 s23, 0, v208
	v_and_b32_e32 v38, exec_lo, v38
	v_not_b32_e32 v208, v209
	v_ashrrev_i32_e32 v206, 31, v206
	v_xor_b32_e32 v40, vcc_lo, v40
	v_cmp_gt_i32_e32 vcc_lo, 0, v209
	v_and_b32_e32 v38, v38, v211
	v_not_b32_e32 v209, v210
	v_ashrrev_i32_e32 v208, 31, v208
	v_xor_b32_e32 v206, s23, v206
	v_cmp_gt_i32_e64 s23, 0, v210
	v_and_b32_e32 v38, v38, v40
	v_not_b32_e32 v40, v207
	v_ashrrev_i32_e32 v209, 31, v209
	v_xor_b32_e32 v208, vcc_lo, v208
	v_cmp_gt_i32_e32 vcc_lo, 0, v207
	v_and_b32_e32 v38, v38, v206
	v_ashrrev_i32_e32 v40, 31, v40
	v_xor_b32_e32 v206, s23, v209
	v_mad_u32_u24 v207, v39, 36, v131
	v_mul_u32_u24_e32 v39, 36, v39
	v_and_b32_e32 v38, v38, v208
	v_xor_b32_e32 v40, vcc_lo, v40
	ds_read_b32 v207, v207 offset:544
	v_add_nc_u32_e32 v209, v131, v39
	v_and_b32_e32 v38, v38, v206
	; wave barrier
	v_and_b32_e32 v38, v38, v40
	v_mbcnt_lo_u32_b32 v208, v38, 0
	v_cmp_ne_u32_e64 s23, 0, v38
	v_cmp_eq_u32_e32 vcc_lo, 0, v208
	s_and_b32 s24, s23, vcc_lo
	s_and_saveexec_b32 s23, s24
	s_cbranch_execz .LBB1458_1054
; %bb.1053:                             ;   in Loop: Header=BB1458_988 Depth=2
	s_waitcnt lgkmcnt(0)
	v_bcnt_u32_b32 v38, v38, v207
	ds_write_b32 v209, v38 offset:544
.LBB1458_1054:                          ;   in Loop: Header=BB1458_988 Depth=2
	s_or_b32 exec_lo, exec_lo, s23
	v_cmp_lt_i32_e32 vcc_lo, -1, v37
	; wave barrier
	v_cndmask_b32_e64 v38, -1, 0x80000000, vcc_lo
	v_xor_b32_e32 v206, v38, v37
	v_cmp_ne_u32_e32 vcc_lo, 0x7fffffff, v206
	v_cndmask_b32_e32 v37, 0x80000000, v206, vcc_lo
	v_lshrrev_b32_e32 v37, s53, v37
	v_and_b32_e32 v38, s61, v37
	v_and_b32_e32 v37, 1, v38
	v_lshlrev_b32_e32 v39, 30, v38
	v_lshlrev_b32_e32 v40, 29, v38
	;; [unrolled: 1-line block ×4, first 2 shown]
	v_add_co_u32 v37, s23, v37, -1
	v_cndmask_b32_e64 v210, 0, 1, s23
	v_not_b32_e32 v214, v39
	v_cmp_gt_i32_e64 s23, 0, v39
	v_not_b32_e32 v39, v40
	v_lshlrev_b32_e32 v213, 26, v38
	v_cmp_ne_u32_e32 vcc_lo, 0, v210
	v_ashrrev_i32_e32 v214, 31, v214
	v_lshlrev_b32_e32 v210, 25, v38
	v_ashrrev_i32_e32 v39, 31, v39
	v_xor_b32_e32 v37, vcc_lo, v37
	v_cmp_gt_i32_e32 vcc_lo, 0, v40
	v_not_b32_e32 v40, v211
	v_xor_b32_e32 v214, s23, v214
	v_cmp_gt_i32_e64 s23, 0, v211
	v_and_b32_e32 v37, exec_lo, v37
	v_not_b32_e32 v211, v212
	v_ashrrev_i32_e32 v40, 31, v40
	v_xor_b32_e32 v39, vcc_lo, v39
	v_cmp_gt_i32_e32 vcc_lo, 0, v212
	v_and_b32_e32 v37, v37, v214
	v_not_b32_e32 v212, v213
	v_ashrrev_i32_e32 v211, 31, v211
	v_xor_b32_e32 v40, s23, v40
	v_cmp_gt_i32_e64 s23, 0, v213
	v_and_b32_e32 v37, v37, v39
	v_not_b32_e32 v39, v210
	v_ashrrev_i32_e32 v212, 31, v212
	v_xor_b32_e32 v211, vcc_lo, v211
	v_cmp_gt_i32_e32 vcc_lo, 0, v210
	v_and_b32_e32 v37, v37, v40
	v_ashrrev_i32_e32 v39, 31, v39
	v_xor_b32_e32 v40, s23, v212
	v_mad_u32_u24 v210, v38, 36, v131
	v_mul_u32_u24_e32 v38, 36, v38
	v_and_b32_e32 v37, v37, v211
	v_xor_b32_e32 v39, vcc_lo, v39
	ds_read_b32 v210, v210 offset:544
	v_add_nc_u32_e32 v212, v131, v38
	v_and_b32_e32 v37, v37, v40
	; wave barrier
	v_and_b32_e32 v37, v37, v39
	v_mbcnt_lo_u32_b32 v211, v37, 0
	v_cmp_ne_u32_e64 s23, 0, v37
	v_cmp_eq_u32_e32 vcc_lo, 0, v211
	s_and_b32 s24, s23, vcc_lo
	s_and_saveexec_b32 s23, s24
	s_cbranch_execz .LBB1458_1056
; %bb.1055:                             ;   in Loop: Header=BB1458_988 Depth=2
	s_waitcnt lgkmcnt(0)
	v_bcnt_u32_b32 v37, v37, v210
	ds_write_b32 v212, v37 offset:544
.LBB1458_1056:                          ;   in Loop: Header=BB1458_988 Depth=2
	s_or_b32 exec_lo, exec_lo, s23
	; wave barrier
	s_waitcnt lgkmcnt(0)
	s_barrier
	buffer_gl0_inv
	ds_read2_b32 v[39:40], v65 offset0:136 offset1:137
	ds_read2_b32 v[37:38], v65 offset0:138 offset1:139
	ds_read_b32 v213, v65 offset:560
	s_waitcnt lgkmcnt(1)
	v_add3_u32 v214, v40, v39, v37
	s_waitcnt lgkmcnt(0)
	v_add3_u32 v213, v214, v38, v213
	v_mov_b32_dpp v214, v213 row_shr:1 row_mask:0xf bank_mask:0xf
	v_cndmask_b32_e64 v214, v214, 0, s5
	v_add_nc_u32_e32 v213, v214, v213
	v_mov_b32_dpp v214, v213 row_shr:2 row_mask:0xf bank_mask:0xf
	v_cndmask_b32_e64 v214, 0, v214, s16
	v_add_nc_u32_e32 v213, v213, v214
	;; [unrolled: 3-line block ×4, first 2 shown]
	ds_swizzle_b32 v214, v213 offset:swizzle(BROADCAST,32,15)
	s_waitcnt lgkmcnt(0)
	v_cndmask_b32_e64 v214, v214, 0, s19
	v_add_nc_u32_e32 v213, v213, v214
	s_and_saveexec_b32 s23, s4
; %bb.1057:                             ;   in Loop: Header=BB1458_988 Depth=2
	ds_write_b32 v60, v213 offset:512
; %bb.1058:                             ;   in Loop: Header=BB1458_988 Depth=2
	s_or_b32 exec_lo, exec_lo, s23
	s_waitcnt lgkmcnt(0)
	s_barrier
	buffer_gl0_inv
	s_and_saveexec_b32 s23, s12
	s_cbranch_execz .LBB1458_1060
; %bb.1059:                             ;   in Loop: Header=BB1458_988 Depth=2
	ds_read_b32 v214, v66 offset:512
	s_waitcnt lgkmcnt(0)
	v_mov_b32_dpp v215, v214 row_shr:1 row_mask:0xf bank_mask:0xf
	v_cndmask_b32_e64 v215, v215, 0, s20
	v_add_nc_u32_e32 v214, v215, v214
	v_mov_b32_dpp v215, v214 row_shr:2 row_mask:0xf bank_mask:0xf
	v_cndmask_b32_e64 v215, 0, v215, s21
	v_add_nc_u32_e32 v214, v214, v215
	v_mov_b32_dpp v215, v214 row_shr:4 row_mask:0xf bank_mask:0xf
	v_cndmask_b32_e64 v215, 0, v215, s22
	v_add_nc_u32_e32 v214, v214, v215
	ds_write_b32 v66, v214 offset:512
.LBB1458_1060:                          ;   in Loop: Header=BB1458_988 Depth=2
	s_or_b32 exec_lo, exec_lo, s23
	v_mov_b32_e32 v214, 0
	s_waitcnt lgkmcnt(0)
	s_barrier
	buffer_gl0_inv
	s_and_saveexec_b32 s23, s11
; %bb.1061:                             ;   in Loop: Header=BB1458_988 Depth=2
	ds_read_b32 v214, v60 offset:508
; %bb.1062:                             ;   in Loop: Header=BB1458_988 Depth=2
	s_or_b32 exec_lo, exec_lo, s23
	s_waitcnt lgkmcnt(0)
	v_add_nc_u32_e32 v213, v214, v213
	ds_bpermute_b32 v213, v126, v213
	s_waitcnt lgkmcnt(0)
	v_cndmask_b32_e64 v213, v213, v214, s15
	v_cndmask_b32_e64 v213, v213, 0, s13
	v_add_nc_u32_e32 v39, v213, v39
	v_add_nc_u32_e32 v40, v39, v40
	;; [unrolled: 1-line block ×4, first 2 shown]
	ds_write2_b32 v65, v213, v39 offset0:136 offset1:137
	ds_write2_b32 v65, v40, v37 offset0:138 offset1:139
	ds_write_b32 v65, v38 offset:560
	s_waitcnt lgkmcnt(0)
	s_barrier
	buffer_gl0_inv
	ds_read_b32 v39, v153 offset:544
	ds_read_b32 v153, v157 offset:544
	;; [unrolled: 1-line block ×16, first 2 shown]
	s_and_saveexec_b32 s23, s8
	s_cbranch_execz .LBB1458_1066
; %bb.1063:                             ;   in Loop: Header=BB1458_988 Depth=2
	ds_read_b32 v144, v68 offset:544
	v_mov_b32_e32 v149, 0x1000
	s_and_saveexec_b32 s24, s14
; %bb.1064:                             ;   in Loop: Header=BB1458_988 Depth=2
	ds_read_b32 v149, v67 offset:544
; %bb.1065:                             ;   in Loop: Header=BB1458_988 Depth=2
	s_or_b32 exec_lo, exec_lo, s24
	s_waitcnt lgkmcnt(0)
	v_sub_nc_u32_e32 v149, v149, v144
.LBB1458_1066:                          ;   in Loop: Header=BB1458_988 Depth=2
	s_or_b32 exec_lo, exec_lo, s23
	s_waitcnt lgkmcnt(0)
	s_barrier
	buffer_gl0_inv
	s_and_saveexec_b32 s23, s8
	s_cbranch_execz .LBB1458_1068
; %bb.1067:                             ;   in Loop: Header=BB1458_988 Depth=2
	ds_read_b32 v164, v41
	s_waitcnt lgkmcnt(0)
	v_sub_nc_u32_e32 v164, v164, v144
	ds_write_b32 v41, v164
.LBB1458_1068:                          ;   in Loop: Header=BB1458_988 Depth=2
	s_or_b32 exec_lo, exec_lo, s23
	v_add_nc_u32_e32 v171, v39, v152
	v_add3_u32 v167, v156, v155, v153
	v_add3_u32 v166, v160, v159, v157
	;; [unrolled: 1-line block ×5, first 2 shown]
	v_lshlrev_b32_e32 v169, 2, v171
	v_add3_u32 v155, v204, v203, v37
	v_lshlrev_b32_e32 v37, 2, v167
	v_add3_u32 v161, v180, v179, v182
	v_add3_u32 v160, v184, v183, v185
	ds_write_b32 v169, v3 offset:512
	v_lshlrev_b32_e32 v3, 2, v166
	ds_write_b32 v37, v151 offset:512
	v_lshlrev_b32_e32 v37, 2, v163
	v_add3_u32 v159, v187, v186, v188
	v_add3_u32 v153, v208, v207, v38
	v_lshlrev_b32_e32 v38, 2, v165
	v_add3_u32 v157, v190, v189, v191
	v_lshlrev_b32_e32 v169, 2, v164
	v_add3_u32 v156, v194, v193, v195
	v_add3_u32 v152, v198, v197, v214
	ds_write_b32 v3, v154 offset:512
	ds_write_b32 v38, v158 offset:512
	;; [unrolled: 1-line block ×3, first 2 shown]
	v_lshlrev_b32_e32 v3, 2, v161
	ds_write_b32 v37, v168 offset:512
	v_lshlrev_b32_e32 v37, 2, v160
	v_lshlrev_b32_e32 v38, 2, v159
	;; [unrolled: 1-line block ×3, first 2 shown]
	v_add3_u32 v39, v201, v200, v215
	v_add3_u32 v40, v211, v210, v40
	ds_write_b32 v3, v173 offset:512
	v_lshlrev_b32_e32 v3, 2, v156
	ds_write_b32 v37, v178 offset:512
	ds_write_b32 v38, v181 offset:512
	ds_write_b32 v151, v176 offset:512
	v_lshlrev_b32_e32 v37, 2, v152
	v_cmp_lt_u32_e32 vcc_lo, v0, v150
	v_lshlrev_b32_e32 v38, 2, v155
	ds_write_b32 v3, v172 offset:512
	v_lshlrev_b32_e32 v3, 2, v39
	ds_write_b32 v37, v192 offset:512
	v_lshlrev_b32_e32 v37, 2, v40
	v_lshlrev_b32_e32 v151, 2, v153
	ds_write_b32 v3, v196 offset:512
	ds_write_b32 v38, v199 offset:512
	;; [unrolled: 1-line block ×4, first 2 shown]
	s_waitcnt lgkmcnt(0)
	s_barrier
	buffer_gl0_inv
	s_and_saveexec_b32 s24, vcc_lo
	s_cbranch_execnz .LBB1458_1137
; %bb.1069:                             ;   in Loop: Header=BB1458_988 Depth=2
	s_or_b32 exec_lo, exec_lo, s24
	v_cmp_lt_u32_e64 s23, v42, v150
	s_and_saveexec_b32 s25, s23
	s_cbranch_execnz .LBB1458_1138
.LBB1458_1070:                          ;   in Loop: Header=BB1458_988 Depth=2
	s_or_b32 exec_lo, exec_lo, s25
	v_cmp_lt_u32_e64 s24, v45, v150
	s_and_saveexec_b32 s26, s24
	s_cbranch_execnz .LBB1458_1139
.LBB1458_1071:                          ;   in Loop: Header=BB1458_988 Depth=2
	s_or_b32 exec_lo, exec_lo, s26
	v_cmp_lt_u32_e64 s25, v46, v150
	s_and_saveexec_b32 s27, s25
	s_cbranch_execnz .LBB1458_1140
.LBB1458_1072:                          ;   in Loop: Header=BB1458_988 Depth=2
	s_or_b32 exec_lo, exec_lo, s27
	v_cmp_lt_u32_e64 s26, v47, v150
	s_and_saveexec_b32 s28, s26
	s_cbranch_execnz .LBB1458_1141
.LBB1458_1073:                          ;   in Loop: Header=BB1458_988 Depth=2
	s_or_b32 exec_lo, exec_lo, s28
	v_cmp_lt_u32_e64 s27, v48, v150
	s_and_saveexec_b32 s29, s27
	s_cbranch_execnz .LBB1458_1142
.LBB1458_1074:                          ;   in Loop: Header=BB1458_988 Depth=2
	s_or_b32 exec_lo, exec_lo, s29
	v_cmp_lt_u32_e64 s28, v49, v150
	s_and_saveexec_b32 s30, s28
	s_cbranch_execnz .LBB1458_1143
.LBB1458_1075:                          ;   in Loop: Header=BB1458_988 Depth=2
	s_or_b32 exec_lo, exec_lo, s30
	v_cmp_lt_u32_e64 s29, v50, v150
	s_and_saveexec_b32 s31, s29
	s_cbranch_execnz .LBB1458_1144
.LBB1458_1076:                          ;   in Loop: Header=BB1458_988 Depth=2
	s_or_b32 exec_lo, exec_lo, s31
	v_cmp_lt_u32_e64 s30, v51, v150
	s_and_saveexec_b32 s33, s30
	s_cbranch_execnz .LBB1458_1145
.LBB1458_1077:                          ;   in Loop: Header=BB1458_988 Depth=2
	s_or_b32 exec_lo, exec_lo, s33
	v_cmp_lt_u32_e64 s31, v52, v150
	s_and_saveexec_b32 s34, s31
	s_cbranch_execnz .LBB1458_1146
.LBB1458_1078:                          ;   in Loop: Header=BB1458_988 Depth=2
	s_or_b32 exec_lo, exec_lo, s34
	v_cmp_lt_u32_e64 s33, v53, v150
	s_and_saveexec_b32 s35, s33
	s_cbranch_execnz .LBB1458_1147
.LBB1458_1079:                          ;   in Loop: Header=BB1458_988 Depth=2
	s_or_b32 exec_lo, exec_lo, s35
	v_cmp_lt_u32_e64 s34, v54, v150
	s_and_saveexec_b32 s36, s34
	s_cbranch_execnz .LBB1458_1148
.LBB1458_1080:                          ;   in Loop: Header=BB1458_988 Depth=2
	s_or_b32 exec_lo, exec_lo, s36
	v_cmp_lt_u32_e64 s35, v55, v150
	s_and_saveexec_b32 s37, s35
	s_cbranch_execnz .LBB1458_1149
.LBB1458_1081:                          ;   in Loop: Header=BB1458_988 Depth=2
	s_or_b32 exec_lo, exec_lo, s37
	v_cmp_lt_u32_e64 s36, v56, v150
	s_and_saveexec_b32 s38, s36
	s_cbranch_execnz .LBB1458_1150
.LBB1458_1082:                          ;   in Loop: Header=BB1458_988 Depth=2
	s_or_b32 exec_lo, exec_lo, s38
	v_cmp_lt_u32_e64 s37, v57, v150
	s_and_saveexec_b32 s39, s37
	s_cbranch_execnz .LBB1458_1151
.LBB1458_1083:                          ;   in Loop: Header=BB1458_988 Depth=2
	s_or_b32 exec_lo, exec_lo, s39
	v_cmp_lt_u32_e64 s38, v58, v150
	s_and_saveexec_b32 s64, s38
	s_cbranch_execz .LBB1458_1085
.LBB1458_1084:                          ;   in Loop: Header=BB1458_988 Depth=2
	ds_read_b32 v151, v66 offset:15872
	s_waitcnt lgkmcnt(0)
	v_cmp_ne_u32_e64 s39, 0x7fffffff, v151
	v_cndmask_b32_e64 v3, 0x80000000, v151, s39
	v_cmp_lt_i32_e64 s39, -1, v151
	v_lshrrev_b32_e32 v3, s53, v3
	v_cndmask_b32_e64 v154, 0x80000000, -1, s39
	v_and_b32_e32 v3, s61, v3
	v_lshlrev_b32_e32 v3, 2, v3
	ds_read_b32 v3, v3
	s_waitcnt lgkmcnt(0)
	v_add_nc_u32_e32 v3, v3, v58
	v_lshlrev_b64 v[37:38], 2, v[3:4]
	v_xor_b32_e32 v3, v154, v151
	v_add_co_u32 v37, s39, s44, v37
	v_add_co_ci_u32_e64 v38, null, s45, v38, s39
	global_store_dword v[37:38], v3, off
.LBB1458_1085:                          ;   in Loop: Header=BB1458_988 Depth=2
	s_or_b32 exec_lo, exec_lo, s64
	s_lshl_b64 s[64:65], s[46:47], 3
	v_add_co_u32 v37, s39, v127, s64
	v_add_co_ci_u32_e64 v38, null, s65, v128, s39
	v_cmp_lt_u32_e64 s39, v105, v150
	s_and_saveexec_b32 s46, s39
	s_xor_b32 s39, exec_lo, s46
	s_cbranch_execnz .LBB1458_1152
; %bb.1086:                             ;   in Loop: Header=BB1458_988 Depth=2
	s_or_b32 exec_lo, exec_lo, s39
	s_mov_b32 s46, exec_lo
	v_cmpx_lt_u32_e64 v108, v150
	s_cbranch_execnz .LBB1458_1153
.LBB1458_1087:                          ;   in Loop: Header=BB1458_988 Depth=2
	s_or_b32 exec_lo, exec_lo, s46
	s_mov_b32 s46, exec_lo
	v_cmpx_lt_u32_e64 v109, v150
	s_cbranch_execnz .LBB1458_1154
.LBB1458_1088:                          ;   in Loop: Header=BB1458_988 Depth=2
	s_or_b32 exec_lo, exec_lo, s46
	s_mov_b32 s46, exec_lo
	v_cmpx_lt_u32_e64 v110, v150
	s_cbranch_execnz .LBB1458_1155
.LBB1458_1089:                          ;   in Loop: Header=BB1458_988 Depth=2
	s_or_b32 exec_lo, exec_lo, s46
	s_mov_b32 s46, exec_lo
	v_cmpx_lt_u32_e64 v111, v150
	s_cbranch_execnz .LBB1458_1156
.LBB1458_1090:                          ;   in Loop: Header=BB1458_988 Depth=2
	s_or_b32 exec_lo, exec_lo, s46
	s_mov_b32 s46, exec_lo
	v_cmpx_lt_u32_e64 v112, v150
	s_cbranch_execnz .LBB1458_1157
.LBB1458_1091:                          ;   in Loop: Header=BB1458_988 Depth=2
	s_or_b32 exec_lo, exec_lo, s46
	s_mov_b32 s46, exec_lo
	v_cmpx_lt_u32_e64 v113, v150
	s_cbranch_execnz .LBB1458_1158
.LBB1458_1092:                          ;   in Loop: Header=BB1458_988 Depth=2
	s_or_b32 exec_lo, exec_lo, s46
	s_mov_b32 s46, exec_lo
	v_cmpx_lt_u32_e64 v114, v150
	s_cbranch_execnz .LBB1458_1159
.LBB1458_1093:                          ;   in Loop: Header=BB1458_988 Depth=2
	s_or_b32 exec_lo, exec_lo, s46
	s_mov_b32 s46, exec_lo
	v_cmpx_lt_u32_e64 v115, v150
	s_cbranch_execnz .LBB1458_1160
.LBB1458_1094:                          ;   in Loop: Header=BB1458_988 Depth=2
	s_or_b32 exec_lo, exec_lo, s46
	s_mov_b32 s46, exec_lo
	v_cmpx_lt_u32_e64 v116, v150
	s_cbranch_execnz .LBB1458_1161
.LBB1458_1095:                          ;   in Loop: Header=BB1458_988 Depth=2
	s_or_b32 exec_lo, exec_lo, s46
	s_mov_b32 s46, exec_lo
	v_cmpx_lt_u32_e64 v117, v150
	s_cbranch_execnz .LBB1458_1162
.LBB1458_1096:                          ;   in Loop: Header=BB1458_988 Depth=2
	s_or_b32 exec_lo, exec_lo, s46
	s_mov_b32 s46, exec_lo
	v_cmpx_lt_u32_e64 v118, v150
	s_cbranch_execnz .LBB1458_1163
.LBB1458_1097:                          ;   in Loop: Header=BB1458_988 Depth=2
	s_or_b32 exec_lo, exec_lo, s46
	s_mov_b32 s46, exec_lo
	v_cmpx_lt_u32_e64 v119, v150
	s_cbranch_execnz .LBB1458_1164
.LBB1458_1098:                          ;   in Loop: Header=BB1458_988 Depth=2
	s_or_b32 exec_lo, exec_lo, s46
	s_mov_b32 s46, exec_lo
	v_cmpx_lt_u32_e64 v121, v150
	s_cbranch_execnz .LBB1458_1165
.LBB1458_1099:                          ;   in Loop: Header=BB1458_988 Depth=2
	s_or_b32 exec_lo, exec_lo, s46
	s_mov_b32 s46, exec_lo
	v_cmpx_lt_u32_e64 v122, v150
	s_cbranch_execnz .LBB1458_1166
.LBB1458_1100:                          ;   in Loop: Header=BB1458_988 Depth=2
	s_or_b32 exec_lo, exec_lo, s46
	s_mov_b32 s46, exec_lo
	v_cmpx_lt_u32_e64 v123, v150
	s_cbranch_execnz .LBB1458_1167
.LBB1458_1101:                          ;   in Loop: Header=BB1458_988 Depth=2
	s_or_b32 exec_lo, exec_lo, s46
	s_and_saveexec_b32 s46, vcc_lo
	s_cbranch_execnz .LBB1458_1168
.LBB1458_1102:                          ;   in Loop: Header=BB1458_988 Depth=2
	s_or_b32 exec_lo, exec_lo, s46
	s_and_saveexec_b32 s46, s23
	s_cbranch_execnz .LBB1458_1169
.LBB1458_1103:                          ;   in Loop: Header=BB1458_988 Depth=2
	s_or_b32 exec_lo, exec_lo, s46
	s_and_saveexec_b32 s46, s24
	s_cbranch_execnz .LBB1458_1170
.LBB1458_1104:                          ;   in Loop: Header=BB1458_988 Depth=2
	s_or_b32 exec_lo, exec_lo, s46
	s_and_saveexec_b32 s46, s25
	s_cbranch_execnz .LBB1458_1171
.LBB1458_1105:                          ;   in Loop: Header=BB1458_988 Depth=2
	s_or_b32 exec_lo, exec_lo, s46
	s_and_saveexec_b32 s46, s26
	s_cbranch_execnz .LBB1458_1172
.LBB1458_1106:                          ;   in Loop: Header=BB1458_988 Depth=2
	s_or_b32 exec_lo, exec_lo, s46
	s_and_saveexec_b32 s46, s27
	s_cbranch_execnz .LBB1458_1173
.LBB1458_1107:                          ;   in Loop: Header=BB1458_988 Depth=2
	s_or_b32 exec_lo, exec_lo, s46
	s_and_saveexec_b32 s46, s28
	s_cbranch_execnz .LBB1458_1174
.LBB1458_1108:                          ;   in Loop: Header=BB1458_988 Depth=2
	s_or_b32 exec_lo, exec_lo, s46
	s_and_saveexec_b32 s46, s29
	s_cbranch_execnz .LBB1458_1175
.LBB1458_1109:                          ;   in Loop: Header=BB1458_988 Depth=2
	s_or_b32 exec_lo, exec_lo, s46
	s_and_saveexec_b32 s46, s30
	s_cbranch_execnz .LBB1458_1176
.LBB1458_1110:                          ;   in Loop: Header=BB1458_988 Depth=2
	s_or_b32 exec_lo, exec_lo, s46
	s_and_saveexec_b32 s46, s31
	s_cbranch_execnz .LBB1458_1177
.LBB1458_1111:                          ;   in Loop: Header=BB1458_988 Depth=2
	s_or_b32 exec_lo, exec_lo, s46
	s_and_saveexec_b32 s46, s33
	s_cbranch_execnz .LBB1458_1178
.LBB1458_1112:                          ;   in Loop: Header=BB1458_988 Depth=2
	s_or_b32 exec_lo, exec_lo, s46
	s_and_saveexec_b32 s46, s34
	s_cbranch_execnz .LBB1458_1179
.LBB1458_1113:                          ;   in Loop: Header=BB1458_988 Depth=2
	s_or_b32 exec_lo, exec_lo, s46
	s_and_saveexec_b32 s46, s35
	s_cbranch_execnz .LBB1458_1180
.LBB1458_1114:                          ;   in Loop: Header=BB1458_988 Depth=2
	s_or_b32 exec_lo, exec_lo, s46
	s_and_saveexec_b32 s46, s36
	s_cbranch_execnz .LBB1458_1181
.LBB1458_1115:                          ;   in Loop: Header=BB1458_988 Depth=2
	s_or_b32 exec_lo, exec_lo, s46
	s_and_saveexec_b32 s46, s37
	s_cbranch_execnz .LBB1458_1182
.LBB1458_1116:                          ;   in Loop: Header=BB1458_988 Depth=2
	s_or_b32 exec_lo, exec_lo, s46
	s_and_saveexec_b32 s46, s38
	s_cbranch_execz .LBB1458_1118
.LBB1458_1117:                          ;   in Loop: Header=BB1458_988 Depth=2
	ds_read_b32 v3, v66 offset:15872
	s_waitcnt lgkmcnt(0)
	v_cmp_ne_u32_e64 s39, 0x7fffffff, v3
	v_cndmask_b32_e64 v3, 0x80000000, v3, s39
	v_lshrrev_b32_e32 v3, s53, v3
	v_and_b32_e32 v132, s61, v3
.LBB1458_1118:                          ;   in Loop: Header=BB1458_988 Depth=2
	s_or_b32 exec_lo, exec_lo, s46
	v_lshlrev_b32_e32 v3, 3, v171
	v_lshlrev_b32_e32 v37, 3, v167
	s_waitcnt vmcnt(0)
	s_waitcnt_vscnt null, 0x0
	s_barrier
	buffer_gl0_inv
	ds_write_b64 v3, v[35:36] offset:512
	v_lshlrev_b32_e32 v3, 3, v166
	ds_write_b64 v37, v[33:34] offset:512
	v_lshlrev_b32_e32 v37, 3, v163
	v_lshlrev_b32_e32 v38, 3, v165
	;; [unrolled: 1-line block ×3, first 2 shown]
	ds_write_b64 v3, v[31:32] offset:512
	ds_write_b64 v38, v[29:30] offset:512
	;; [unrolled: 1-line block ×3, first 2 shown]
	v_lshlrev_b32_e32 v3, 3, v161
	ds_write_b64 v37, v[23:24] offset:512
	v_lshlrev_b32_e32 v37, 3, v160
	v_lshlrev_b32_e32 v38, 3, v159
	;; [unrolled: 1-line block ×3, first 2 shown]
	ds_write_b64 v3, v[19:20] offset:512
	v_lshlrev_b32_e32 v3, 3, v156
	ds_write_b64 v37, v[15:16] offset:512
	ds_write_b64 v38, v[25:26] offset:512
	ds_write_b64 v150, v[21:22] offset:512
	v_lshlrev_b32_e32 v37, 3, v152
	v_lshlrev_b32_e32 v40, 3, v40
	;; [unrolled: 1-line block ×3, first 2 shown]
	ds_write_b64 v3, v[17:18] offset:512
	v_lshlrev_b32_e32 v3, 3, v39
	ds_write_b64 v37, v[13:14] offset:512
	v_add_nc_u32_e32 v37, v66, v41
	v_lshlrev_b32_e32 v39, 3, v153
	ds_write_b64 v3, v[11:12] offset:512
	ds_write_b64 v38, v[9:10] offset:512
	;; [unrolled: 1-line block ×4, first 2 shown]
	s_waitcnt lgkmcnt(0)
	s_barrier
	buffer_gl0_inv
	s_and_saveexec_b32 s39, vcc_lo
	s_cbranch_execnz .LBB1458_1183
; %bb.1119:                             ;   in Loop: Header=BB1458_988 Depth=2
	s_or_b32 exec_lo, exec_lo, s39
	s_and_saveexec_b32 s39, s23
	s_cbranch_execnz .LBB1458_1184
.LBB1458_1120:                          ;   in Loop: Header=BB1458_988 Depth=2
	s_or_b32 exec_lo, exec_lo, s39
	s_and_saveexec_b32 s23, s24
	s_cbranch_execnz .LBB1458_1185
.LBB1458_1121:                          ;   in Loop: Header=BB1458_988 Depth=2
	s_or_b32 exec_lo, exec_lo, s23
	s_and_saveexec_b32 s23, s25
	s_cbranch_execnz .LBB1458_1186
.LBB1458_1122:                          ;   in Loop: Header=BB1458_988 Depth=2
	s_or_b32 exec_lo, exec_lo, s23
	s_and_saveexec_b32 s23, s26
	s_cbranch_execnz .LBB1458_1187
.LBB1458_1123:                          ;   in Loop: Header=BB1458_988 Depth=2
	s_or_b32 exec_lo, exec_lo, s23
	s_and_saveexec_b32 s23, s27
	s_cbranch_execnz .LBB1458_1188
.LBB1458_1124:                          ;   in Loop: Header=BB1458_988 Depth=2
	s_or_b32 exec_lo, exec_lo, s23
	s_and_saveexec_b32 s23, s28
	s_cbranch_execnz .LBB1458_1189
.LBB1458_1125:                          ;   in Loop: Header=BB1458_988 Depth=2
	s_or_b32 exec_lo, exec_lo, s23
	s_and_saveexec_b32 s23, s29
	s_cbranch_execnz .LBB1458_1190
.LBB1458_1126:                          ;   in Loop: Header=BB1458_988 Depth=2
	s_or_b32 exec_lo, exec_lo, s23
	s_and_saveexec_b32 s23, s30
	s_cbranch_execnz .LBB1458_1191
.LBB1458_1127:                          ;   in Loop: Header=BB1458_988 Depth=2
	s_or_b32 exec_lo, exec_lo, s23
	s_and_saveexec_b32 s23, s31
	s_cbranch_execnz .LBB1458_1192
.LBB1458_1128:                          ;   in Loop: Header=BB1458_988 Depth=2
	s_or_b32 exec_lo, exec_lo, s23
	s_and_saveexec_b32 s23, s33
	s_cbranch_execnz .LBB1458_1193
.LBB1458_1129:                          ;   in Loop: Header=BB1458_988 Depth=2
	s_or_b32 exec_lo, exec_lo, s23
	s_and_saveexec_b32 s23, s34
	s_cbranch_execnz .LBB1458_1194
.LBB1458_1130:                          ;   in Loop: Header=BB1458_988 Depth=2
	s_or_b32 exec_lo, exec_lo, s23
	s_and_saveexec_b32 s23, s35
	s_cbranch_execnz .LBB1458_1195
.LBB1458_1131:                          ;   in Loop: Header=BB1458_988 Depth=2
	s_or_b32 exec_lo, exec_lo, s23
	s_and_saveexec_b32 s23, s36
	s_cbranch_execnz .LBB1458_1196
.LBB1458_1132:                          ;   in Loop: Header=BB1458_988 Depth=2
	s_or_b32 exec_lo, exec_lo, s23
	s_and_saveexec_b32 s23, s37
	s_cbranch_execnz .LBB1458_1197
.LBB1458_1133:                          ;   in Loop: Header=BB1458_988 Depth=2
	s_or_b32 exec_lo, exec_lo, s23
	s_and_saveexec_b32 s23, s38
	s_cbranch_execz .LBB1458_1135
.LBB1458_1134:                          ;   in Loop: Header=BB1458_988 Depth=2
	v_lshlrev_b32_e32 v3, 2, v132
	ds_read_b32 v3, v3
	ds_read_b64 v[37:38], v37 offset:31232
	s_waitcnt lgkmcnt(1)
	v_add_nc_u32_e32 v3, v3, v58
	v_lshlrev_b64 v[39:40], 3, v[3:4]
	v_add_co_u32 v39, vcc_lo, s50, v39
	v_add_co_ci_u32_e64 v40, null, s51, v40, vcc_lo
	s_waitcnt lgkmcnt(0)
	global_store_dwordx2 v[39:40], v[37:38], off
.LBB1458_1135:                          ;   in Loop: Header=BB1458_988 Depth=2
	s_or_b32 exec_lo, exec_lo, s23
	s_waitcnt_vscnt null, 0x0
	s_barrier
	buffer_gl0_inv
	s_and_saveexec_b32 s23, s8
	s_cbranch_execz .LBB1458_987
; %bb.1136:                             ;   in Loop: Header=BB1458_988 Depth=2
	ds_read_b32 v3, v41
	s_waitcnt lgkmcnt(0)
	v_add3_u32 v3, v144, v149, v3
	ds_write_b32 v41, v3
	s_branch .LBB1458_987
.LBB1458_1137:                          ;   in Loop: Header=BB1458_988 Depth=2
	ds_read_b32 v151, v66 offset:512
	s_waitcnt lgkmcnt(0)
	v_cmp_ne_u32_e64 s23, 0x7fffffff, v151
	v_cndmask_b32_e64 v3, 0x80000000, v151, s23
	v_cmp_lt_i32_e64 s23, -1, v151
	v_lshrrev_b32_e32 v3, s53, v3
	v_cndmask_b32_e64 v154, 0x80000000, -1, s23
	v_and_b32_e32 v3, s61, v3
	v_lshlrev_b32_e32 v3, 2, v3
	ds_read_b32 v3, v3
	s_waitcnt lgkmcnt(0)
	v_add_nc_u32_e32 v3, v3, v0
	v_lshlrev_b64 v[37:38], 2, v[3:4]
	v_xor_b32_e32 v3, v154, v151
	v_add_co_u32 v37, s23, s44, v37
	v_add_co_ci_u32_e64 v38, null, s45, v38, s23
	global_store_dword v[37:38], v3, off
	s_or_b32 exec_lo, exec_lo, s24
	v_cmp_lt_u32_e64 s23, v42, v150
	s_and_saveexec_b32 s25, s23
	s_cbranch_execz .LBB1458_1070
.LBB1458_1138:                          ;   in Loop: Header=BB1458_988 Depth=2
	ds_read_b32 v151, v66 offset:1536
	s_waitcnt lgkmcnt(0)
	v_cmp_ne_u32_e64 s24, 0x7fffffff, v151
	v_cndmask_b32_e64 v3, 0x80000000, v151, s24
	v_cmp_lt_i32_e64 s24, -1, v151
	v_lshrrev_b32_e32 v3, s53, v3
	v_cndmask_b32_e64 v154, 0x80000000, -1, s24
	v_and_b32_e32 v3, s61, v3
	v_lshlrev_b32_e32 v3, 2, v3
	ds_read_b32 v3, v3
	s_waitcnt lgkmcnt(0)
	v_add_nc_u32_e32 v3, v3, v42
	v_lshlrev_b64 v[37:38], 2, v[3:4]
	v_xor_b32_e32 v3, v154, v151
	v_add_co_u32 v37, s24, s44, v37
	v_add_co_ci_u32_e64 v38, null, s45, v38, s24
	global_store_dword v[37:38], v3, off
	s_or_b32 exec_lo, exec_lo, s25
	v_cmp_lt_u32_e64 s24, v45, v150
	s_and_saveexec_b32 s26, s24
	s_cbranch_execz .LBB1458_1071
.LBB1458_1139:                          ;   in Loop: Header=BB1458_988 Depth=2
	ds_read_b32 v151, v66 offset:2560
	s_waitcnt lgkmcnt(0)
	v_cmp_ne_u32_e64 s25, 0x7fffffff, v151
	v_cndmask_b32_e64 v3, 0x80000000, v151, s25
	v_cmp_lt_i32_e64 s25, -1, v151
	v_lshrrev_b32_e32 v3, s53, v3
	v_cndmask_b32_e64 v154, 0x80000000, -1, s25
	v_and_b32_e32 v3, s61, v3
	v_lshlrev_b32_e32 v3, 2, v3
	ds_read_b32 v3, v3
	s_waitcnt lgkmcnt(0)
	v_add_nc_u32_e32 v3, v3, v45
	v_lshlrev_b64 v[37:38], 2, v[3:4]
	v_xor_b32_e32 v3, v154, v151
	v_add_co_u32 v37, s25, s44, v37
	v_add_co_ci_u32_e64 v38, null, s45, v38, s25
	global_store_dword v[37:38], v3, off
	s_or_b32 exec_lo, exec_lo, s26
	v_cmp_lt_u32_e64 s25, v46, v150
	s_and_saveexec_b32 s27, s25
	s_cbranch_execz .LBB1458_1072
.LBB1458_1140:                          ;   in Loop: Header=BB1458_988 Depth=2
	ds_read_b32 v151, v66 offset:3584
	s_waitcnt lgkmcnt(0)
	v_cmp_ne_u32_e64 s26, 0x7fffffff, v151
	v_cndmask_b32_e64 v3, 0x80000000, v151, s26
	v_cmp_lt_i32_e64 s26, -1, v151
	v_lshrrev_b32_e32 v3, s53, v3
	v_cndmask_b32_e64 v154, 0x80000000, -1, s26
	v_and_b32_e32 v3, s61, v3
	v_lshlrev_b32_e32 v3, 2, v3
	ds_read_b32 v3, v3
	s_waitcnt lgkmcnt(0)
	v_add_nc_u32_e32 v3, v3, v46
	v_lshlrev_b64 v[37:38], 2, v[3:4]
	v_xor_b32_e32 v3, v154, v151
	v_add_co_u32 v37, s26, s44, v37
	v_add_co_ci_u32_e64 v38, null, s45, v38, s26
	global_store_dword v[37:38], v3, off
	s_or_b32 exec_lo, exec_lo, s27
	v_cmp_lt_u32_e64 s26, v47, v150
	s_and_saveexec_b32 s28, s26
	s_cbranch_execz .LBB1458_1073
.LBB1458_1141:                          ;   in Loop: Header=BB1458_988 Depth=2
	ds_read_b32 v151, v66 offset:4608
	s_waitcnt lgkmcnt(0)
	v_cmp_ne_u32_e64 s27, 0x7fffffff, v151
	v_cndmask_b32_e64 v3, 0x80000000, v151, s27
	v_cmp_lt_i32_e64 s27, -1, v151
	v_lshrrev_b32_e32 v3, s53, v3
	v_cndmask_b32_e64 v154, 0x80000000, -1, s27
	v_and_b32_e32 v3, s61, v3
	v_lshlrev_b32_e32 v3, 2, v3
	ds_read_b32 v3, v3
	s_waitcnt lgkmcnt(0)
	v_add_nc_u32_e32 v3, v3, v47
	v_lshlrev_b64 v[37:38], 2, v[3:4]
	v_xor_b32_e32 v3, v154, v151
	v_add_co_u32 v37, s27, s44, v37
	v_add_co_ci_u32_e64 v38, null, s45, v38, s27
	global_store_dword v[37:38], v3, off
	s_or_b32 exec_lo, exec_lo, s28
	v_cmp_lt_u32_e64 s27, v48, v150
	s_and_saveexec_b32 s29, s27
	s_cbranch_execz .LBB1458_1074
.LBB1458_1142:                          ;   in Loop: Header=BB1458_988 Depth=2
	ds_read_b32 v151, v66 offset:5632
	s_waitcnt lgkmcnt(0)
	v_cmp_ne_u32_e64 s28, 0x7fffffff, v151
	v_cndmask_b32_e64 v3, 0x80000000, v151, s28
	v_cmp_lt_i32_e64 s28, -1, v151
	v_lshrrev_b32_e32 v3, s53, v3
	v_cndmask_b32_e64 v154, 0x80000000, -1, s28
	v_and_b32_e32 v3, s61, v3
	v_lshlrev_b32_e32 v3, 2, v3
	ds_read_b32 v3, v3
	s_waitcnt lgkmcnt(0)
	v_add_nc_u32_e32 v3, v3, v48
	v_lshlrev_b64 v[37:38], 2, v[3:4]
	v_xor_b32_e32 v3, v154, v151
	v_add_co_u32 v37, s28, s44, v37
	v_add_co_ci_u32_e64 v38, null, s45, v38, s28
	global_store_dword v[37:38], v3, off
	s_or_b32 exec_lo, exec_lo, s29
	v_cmp_lt_u32_e64 s28, v49, v150
	s_and_saveexec_b32 s30, s28
	s_cbranch_execz .LBB1458_1075
.LBB1458_1143:                          ;   in Loop: Header=BB1458_988 Depth=2
	ds_read_b32 v151, v66 offset:6656
	s_waitcnt lgkmcnt(0)
	v_cmp_ne_u32_e64 s29, 0x7fffffff, v151
	v_cndmask_b32_e64 v3, 0x80000000, v151, s29
	v_cmp_lt_i32_e64 s29, -1, v151
	v_lshrrev_b32_e32 v3, s53, v3
	v_cndmask_b32_e64 v154, 0x80000000, -1, s29
	v_and_b32_e32 v3, s61, v3
	v_lshlrev_b32_e32 v3, 2, v3
	ds_read_b32 v3, v3
	s_waitcnt lgkmcnt(0)
	v_add_nc_u32_e32 v3, v3, v49
	v_lshlrev_b64 v[37:38], 2, v[3:4]
	v_xor_b32_e32 v3, v154, v151
	v_add_co_u32 v37, s29, s44, v37
	v_add_co_ci_u32_e64 v38, null, s45, v38, s29
	global_store_dword v[37:38], v3, off
	s_or_b32 exec_lo, exec_lo, s30
	v_cmp_lt_u32_e64 s29, v50, v150
	s_and_saveexec_b32 s31, s29
	s_cbranch_execz .LBB1458_1076
.LBB1458_1144:                          ;   in Loop: Header=BB1458_988 Depth=2
	ds_read_b32 v151, v66 offset:7680
	s_waitcnt lgkmcnt(0)
	v_cmp_ne_u32_e64 s30, 0x7fffffff, v151
	v_cndmask_b32_e64 v3, 0x80000000, v151, s30
	v_cmp_lt_i32_e64 s30, -1, v151
	v_lshrrev_b32_e32 v3, s53, v3
	v_cndmask_b32_e64 v154, 0x80000000, -1, s30
	v_and_b32_e32 v3, s61, v3
	v_lshlrev_b32_e32 v3, 2, v3
	ds_read_b32 v3, v3
	s_waitcnt lgkmcnt(0)
	v_add_nc_u32_e32 v3, v3, v50
	v_lshlrev_b64 v[37:38], 2, v[3:4]
	v_xor_b32_e32 v3, v154, v151
	v_add_co_u32 v37, s30, s44, v37
	v_add_co_ci_u32_e64 v38, null, s45, v38, s30
	global_store_dword v[37:38], v3, off
	s_or_b32 exec_lo, exec_lo, s31
	v_cmp_lt_u32_e64 s30, v51, v150
	s_and_saveexec_b32 s33, s30
	s_cbranch_execz .LBB1458_1077
.LBB1458_1145:                          ;   in Loop: Header=BB1458_988 Depth=2
	ds_read_b32 v151, v66 offset:8704
	s_waitcnt lgkmcnt(0)
	v_cmp_ne_u32_e64 s31, 0x7fffffff, v151
	v_cndmask_b32_e64 v3, 0x80000000, v151, s31
	v_cmp_lt_i32_e64 s31, -1, v151
	v_lshrrev_b32_e32 v3, s53, v3
	v_cndmask_b32_e64 v154, 0x80000000, -1, s31
	v_and_b32_e32 v3, s61, v3
	v_lshlrev_b32_e32 v3, 2, v3
	ds_read_b32 v3, v3
	s_waitcnt lgkmcnt(0)
	v_add_nc_u32_e32 v3, v3, v51
	v_lshlrev_b64 v[37:38], 2, v[3:4]
	v_xor_b32_e32 v3, v154, v151
	v_add_co_u32 v37, s31, s44, v37
	v_add_co_ci_u32_e64 v38, null, s45, v38, s31
	global_store_dword v[37:38], v3, off
	s_or_b32 exec_lo, exec_lo, s33
	v_cmp_lt_u32_e64 s31, v52, v150
	s_and_saveexec_b32 s34, s31
	s_cbranch_execz .LBB1458_1078
.LBB1458_1146:                          ;   in Loop: Header=BB1458_988 Depth=2
	ds_read_b32 v151, v66 offset:9728
	s_waitcnt lgkmcnt(0)
	v_cmp_ne_u32_e64 s33, 0x7fffffff, v151
	v_cndmask_b32_e64 v3, 0x80000000, v151, s33
	v_cmp_lt_i32_e64 s33, -1, v151
	v_lshrrev_b32_e32 v3, s53, v3
	v_cndmask_b32_e64 v154, 0x80000000, -1, s33
	v_and_b32_e32 v3, s61, v3
	v_lshlrev_b32_e32 v3, 2, v3
	ds_read_b32 v3, v3
	s_waitcnt lgkmcnt(0)
	v_add_nc_u32_e32 v3, v3, v52
	v_lshlrev_b64 v[37:38], 2, v[3:4]
	v_xor_b32_e32 v3, v154, v151
	v_add_co_u32 v37, s33, s44, v37
	v_add_co_ci_u32_e64 v38, null, s45, v38, s33
	global_store_dword v[37:38], v3, off
	s_or_b32 exec_lo, exec_lo, s34
	v_cmp_lt_u32_e64 s33, v53, v150
	s_and_saveexec_b32 s35, s33
	s_cbranch_execz .LBB1458_1079
.LBB1458_1147:                          ;   in Loop: Header=BB1458_988 Depth=2
	ds_read_b32 v151, v66 offset:10752
	s_waitcnt lgkmcnt(0)
	v_cmp_ne_u32_e64 s34, 0x7fffffff, v151
	v_cndmask_b32_e64 v3, 0x80000000, v151, s34
	v_cmp_lt_i32_e64 s34, -1, v151
	v_lshrrev_b32_e32 v3, s53, v3
	v_cndmask_b32_e64 v154, 0x80000000, -1, s34
	v_and_b32_e32 v3, s61, v3
	v_lshlrev_b32_e32 v3, 2, v3
	ds_read_b32 v3, v3
	s_waitcnt lgkmcnt(0)
	v_add_nc_u32_e32 v3, v3, v53
	v_lshlrev_b64 v[37:38], 2, v[3:4]
	v_xor_b32_e32 v3, v154, v151
	v_add_co_u32 v37, s34, s44, v37
	v_add_co_ci_u32_e64 v38, null, s45, v38, s34
	global_store_dword v[37:38], v3, off
	s_or_b32 exec_lo, exec_lo, s35
	v_cmp_lt_u32_e64 s34, v54, v150
	s_and_saveexec_b32 s36, s34
	s_cbranch_execz .LBB1458_1080
.LBB1458_1148:                          ;   in Loop: Header=BB1458_988 Depth=2
	ds_read_b32 v151, v66 offset:11776
	s_waitcnt lgkmcnt(0)
	v_cmp_ne_u32_e64 s35, 0x7fffffff, v151
	v_cndmask_b32_e64 v3, 0x80000000, v151, s35
	v_cmp_lt_i32_e64 s35, -1, v151
	v_lshrrev_b32_e32 v3, s53, v3
	v_cndmask_b32_e64 v154, 0x80000000, -1, s35
	v_and_b32_e32 v3, s61, v3
	v_lshlrev_b32_e32 v3, 2, v3
	ds_read_b32 v3, v3
	s_waitcnt lgkmcnt(0)
	v_add_nc_u32_e32 v3, v3, v54
	v_lshlrev_b64 v[37:38], 2, v[3:4]
	v_xor_b32_e32 v3, v154, v151
	v_add_co_u32 v37, s35, s44, v37
	v_add_co_ci_u32_e64 v38, null, s45, v38, s35
	global_store_dword v[37:38], v3, off
	s_or_b32 exec_lo, exec_lo, s36
	v_cmp_lt_u32_e64 s35, v55, v150
	s_and_saveexec_b32 s37, s35
	s_cbranch_execz .LBB1458_1081
.LBB1458_1149:                          ;   in Loop: Header=BB1458_988 Depth=2
	ds_read_b32 v151, v66 offset:12800
	s_waitcnt lgkmcnt(0)
	v_cmp_ne_u32_e64 s36, 0x7fffffff, v151
	v_cndmask_b32_e64 v3, 0x80000000, v151, s36
	v_cmp_lt_i32_e64 s36, -1, v151
	v_lshrrev_b32_e32 v3, s53, v3
	v_cndmask_b32_e64 v154, 0x80000000, -1, s36
	v_and_b32_e32 v3, s61, v3
	v_lshlrev_b32_e32 v3, 2, v3
	ds_read_b32 v3, v3
	s_waitcnt lgkmcnt(0)
	v_add_nc_u32_e32 v3, v3, v55
	v_lshlrev_b64 v[37:38], 2, v[3:4]
	v_xor_b32_e32 v3, v154, v151
	v_add_co_u32 v37, s36, s44, v37
	v_add_co_ci_u32_e64 v38, null, s45, v38, s36
	global_store_dword v[37:38], v3, off
	s_or_b32 exec_lo, exec_lo, s37
	v_cmp_lt_u32_e64 s36, v56, v150
	s_and_saveexec_b32 s38, s36
	s_cbranch_execz .LBB1458_1082
.LBB1458_1150:                          ;   in Loop: Header=BB1458_988 Depth=2
	ds_read_b32 v151, v66 offset:13824
	s_waitcnt lgkmcnt(0)
	v_cmp_ne_u32_e64 s37, 0x7fffffff, v151
	v_cndmask_b32_e64 v3, 0x80000000, v151, s37
	v_cmp_lt_i32_e64 s37, -1, v151
	v_lshrrev_b32_e32 v3, s53, v3
	v_cndmask_b32_e64 v154, 0x80000000, -1, s37
	v_and_b32_e32 v3, s61, v3
	v_lshlrev_b32_e32 v3, 2, v3
	ds_read_b32 v3, v3
	s_waitcnt lgkmcnt(0)
	v_add_nc_u32_e32 v3, v3, v56
	v_lshlrev_b64 v[37:38], 2, v[3:4]
	v_xor_b32_e32 v3, v154, v151
	v_add_co_u32 v37, s37, s44, v37
	v_add_co_ci_u32_e64 v38, null, s45, v38, s37
	global_store_dword v[37:38], v3, off
	s_or_b32 exec_lo, exec_lo, s38
	v_cmp_lt_u32_e64 s37, v57, v150
	s_and_saveexec_b32 s39, s37
	s_cbranch_execz .LBB1458_1083
.LBB1458_1151:                          ;   in Loop: Header=BB1458_988 Depth=2
	ds_read_b32 v151, v66 offset:14848
	s_waitcnt lgkmcnt(0)
	v_cmp_ne_u32_e64 s38, 0x7fffffff, v151
	v_cndmask_b32_e64 v3, 0x80000000, v151, s38
	v_cmp_lt_i32_e64 s38, -1, v151
	v_lshrrev_b32_e32 v3, s53, v3
	v_cndmask_b32_e64 v154, 0x80000000, -1, s38
	v_and_b32_e32 v3, s61, v3
	v_lshlrev_b32_e32 v3, 2, v3
	ds_read_b32 v3, v3
	s_waitcnt lgkmcnt(0)
	v_add_nc_u32_e32 v3, v3, v57
	v_lshlrev_b64 v[37:38], 2, v[3:4]
	v_xor_b32_e32 v3, v154, v151
	v_add_co_u32 v37, s38, s44, v37
	v_add_co_ci_u32_e64 v38, null, s45, v38, s38
	global_store_dword v[37:38], v3, off
	s_or_b32 exec_lo, exec_lo, s39
	v_cmp_lt_u32_e64 s38, v58, v150
	s_and_saveexec_b32 s64, s38
	s_cbranch_execnz .LBB1458_1084
	s_branch .LBB1458_1085
.LBB1458_1152:                          ;   in Loop: Header=BB1458_988 Depth=2
	global_load_dwordx2 v[35:36], v[37:38], off
	s_or_b32 exec_lo, exec_lo, s39
	s_mov_b32 s46, exec_lo
	v_cmpx_lt_u32_e64 v108, v150
	s_cbranch_execz .LBB1458_1087
.LBB1458_1153:                          ;   in Loop: Header=BB1458_988 Depth=2
	global_load_dwordx2 v[33:34], v[37:38], off offset:256
	s_or_b32 exec_lo, exec_lo, s46
	s_mov_b32 s46, exec_lo
	v_cmpx_lt_u32_e64 v109, v150
	s_cbranch_execz .LBB1458_1088
.LBB1458_1154:                          ;   in Loop: Header=BB1458_988 Depth=2
	global_load_dwordx2 v[31:32], v[37:38], off offset:512
	s_or_b32 exec_lo, exec_lo, s46
	s_mov_b32 s46, exec_lo
	v_cmpx_lt_u32_e64 v110, v150
	s_cbranch_execz .LBB1458_1089
.LBB1458_1155:                          ;   in Loop: Header=BB1458_988 Depth=2
	global_load_dwordx2 v[29:30], v[37:38], off offset:768
	s_or_b32 exec_lo, exec_lo, s46
	s_mov_b32 s46, exec_lo
	v_cmpx_lt_u32_e64 v111, v150
	s_cbranch_execz .LBB1458_1090
.LBB1458_1156:                          ;   in Loop: Header=BB1458_988 Depth=2
	global_load_dwordx2 v[27:28], v[37:38], off offset:1024
	s_or_b32 exec_lo, exec_lo, s46
	s_mov_b32 s46, exec_lo
	v_cmpx_lt_u32_e64 v112, v150
	s_cbranch_execz .LBB1458_1091
.LBB1458_1157:                          ;   in Loop: Header=BB1458_988 Depth=2
	global_load_dwordx2 v[23:24], v[37:38], off offset:1280
	s_or_b32 exec_lo, exec_lo, s46
	s_mov_b32 s46, exec_lo
	v_cmpx_lt_u32_e64 v113, v150
	s_cbranch_execz .LBB1458_1092
.LBB1458_1158:                          ;   in Loop: Header=BB1458_988 Depth=2
	global_load_dwordx2 v[19:20], v[37:38], off offset:1536
	s_or_b32 exec_lo, exec_lo, s46
	s_mov_b32 s46, exec_lo
	v_cmpx_lt_u32_e64 v114, v150
	s_cbranch_execz .LBB1458_1093
.LBB1458_1159:                          ;   in Loop: Header=BB1458_988 Depth=2
	global_load_dwordx2 v[15:16], v[37:38], off offset:1792
	s_or_b32 exec_lo, exec_lo, s46
	s_mov_b32 s46, exec_lo
	v_cmpx_lt_u32_e64 v115, v150
	s_cbranch_execz .LBB1458_1094
.LBB1458_1160:                          ;   in Loop: Header=BB1458_988 Depth=2
	v_add_co_u32 v25, s39, 0x800, v37
	v_add_co_ci_u32_e64 v26, null, 0, v38, s39
	global_load_dwordx2 v[25:26], v[25:26], off
	s_or_b32 exec_lo, exec_lo, s46
	s_mov_b32 s46, exec_lo
	v_cmpx_lt_u32_e64 v116, v150
	s_cbranch_execz .LBB1458_1095
.LBB1458_1161:                          ;   in Loop: Header=BB1458_988 Depth=2
	v_add_co_u32 v21, s39, 0x800, v37
	v_add_co_ci_u32_e64 v22, null, 0, v38, s39
	global_load_dwordx2 v[21:22], v[21:22], off offset:256
	s_or_b32 exec_lo, exec_lo, s46
	s_mov_b32 s46, exec_lo
	v_cmpx_lt_u32_e64 v117, v150
	s_cbranch_execz .LBB1458_1096
.LBB1458_1162:                          ;   in Loop: Header=BB1458_988 Depth=2
	v_add_co_u32 v17, s39, 0x800, v37
	v_add_co_ci_u32_e64 v18, null, 0, v38, s39
	global_load_dwordx2 v[17:18], v[17:18], off offset:512
	s_or_b32 exec_lo, exec_lo, s46
	s_mov_b32 s46, exec_lo
	v_cmpx_lt_u32_e64 v118, v150
	s_cbranch_execz .LBB1458_1097
.LBB1458_1163:                          ;   in Loop: Header=BB1458_988 Depth=2
	v_add_co_u32 v13, s39, 0x800, v37
	v_add_co_ci_u32_e64 v14, null, 0, v38, s39
	global_load_dwordx2 v[13:14], v[13:14], off offset:768
	s_or_b32 exec_lo, exec_lo, s46
	s_mov_b32 s46, exec_lo
	v_cmpx_lt_u32_e64 v119, v150
	s_cbranch_execz .LBB1458_1098
.LBB1458_1164:                          ;   in Loop: Header=BB1458_988 Depth=2
	v_add_co_u32 v11, s39, 0x800, v37
	v_add_co_ci_u32_e64 v12, null, 0, v38, s39
	global_load_dwordx2 v[11:12], v[11:12], off offset:1024
	s_or_b32 exec_lo, exec_lo, s46
	s_mov_b32 s46, exec_lo
	v_cmpx_lt_u32_e64 v121, v150
	s_cbranch_execz .LBB1458_1099
.LBB1458_1165:                          ;   in Loop: Header=BB1458_988 Depth=2
	v_add_co_u32 v9, s39, 0x800, v37
	v_add_co_ci_u32_e64 v10, null, 0, v38, s39
	global_load_dwordx2 v[9:10], v[9:10], off offset:1280
	s_or_b32 exec_lo, exec_lo, s46
	s_mov_b32 s46, exec_lo
	v_cmpx_lt_u32_e64 v122, v150
	s_cbranch_execz .LBB1458_1100
.LBB1458_1166:                          ;   in Loop: Header=BB1458_988 Depth=2
	v_add_co_u32 v7, s39, 0x800, v37
	v_add_co_ci_u32_e64 v8, null, 0, v38, s39
	global_load_dwordx2 v[7:8], v[7:8], off offset:1536
	s_or_b32 exec_lo, exec_lo, s46
	s_mov_b32 s46, exec_lo
	v_cmpx_lt_u32_e64 v123, v150
	s_cbranch_execz .LBB1458_1101
.LBB1458_1167:                          ;   in Loop: Header=BB1458_988 Depth=2
	v_add_co_u32 v5, s39, 0x800, v37
	v_add_co_ci_u32_e64 v6, null, 0, v38, s39
	global_load_dwordx2 v[5:6], v[5:6], off offset:1792
	s_or_b32 exec_lo, exec_lo, s46
	s_and_saveexec_b32 s46, vcc_lo
	s_cbranch_execz .LBB1458_1102
.LBB1458_1168:                          ;   in Loop: Header=BB1458_988 Depth=2
	ds_read_b32 v3, v66 offset:512
	s_waitcnt lgkmcnt(0)
	v_cmp_ne_u32_e64 s39, 0x7fffffff, v3
	v_cndmask_b32_e64 v3, 0x80000000, v3, s39
	v_lshrrev_b32_e32 v3, s53, v3
	v_and_b32_e32 v148, s61, v3
	s_or_b32 exec_lo, exec_lo, s46
	s_and_saveexec_b32 s46, s23
	s_cbranch_execz .LBB1458_1103
.LBB1458_1169:                          ;   in Loop: Header=BB1458_988 Depth=2
	ds_read_b32 v3, v66 offset:1536
	s_waitcnt lgkmcnt(0)
	v_cmp_ne_u32_e64 s39, 0x7fffffff, v3
	v_cndmask_b32_e64 v3, 0x80000000, v3, s39
	v_lshrrev_b32_e32 v3, s53, v3
	v_and_b32_e32 v147, s61, v3
	s_or_b32 exec_lo, exec_lo, s46
	s_and_saveexec_b32 s46, s24
	s_cbranch_execz .LBB1458_1104
.LBB1458_1170:                          ;   in Loop: Header=BB1458_988 Depth=2
	ds_read_b32 v3, v66 offset:2560
	s_waitcnt lgkmcnt(0)
	v_cmp_ne_u32_e64 s39, 0x7fffffff, v3
	v_cndmask_b32_e64 v3, 0x80000000, v3, s39
	v_lshrrev_b32_e32 v3, s53, v3
	v_and_b32_e32 v146, s61, v3
	s_or_b32 exec_lo, exec_lo, s46
	s_and_saveexec_b32 s46, s25
	s_cbranch_execz .LBB1458_1105
.LBB1458_1171:                          ;   in Loop: Header=BB1458_988 Depth=2
	ds_read_b32 v3, v66 offset:3584
	s_waitcnt lgkmcnt(0)
	v_cmp_ne_u32_e64 s39, 0x7fffffff, v3
	v_cndmask_b32_e64 v3, 0x80000000, v3, s39
	v_lshrrev_b32_e32 v3, s53, v3
	v_and_b32_e32 v145, s61, v3
	s_or_b32 exec_lo, exec_lo, s46
	s_and_saveexec_b32 s46, s26
	s_cbranch_execz .LBB1458_1106
.LBB1458_1172:                          ;   in Loop: Header=BB1458_988 Depth=2
	ds_read_b32 v3, v66 offset:4608
	s_waitcnt lgkmcnt(0)
	v_cmp_ne_u32_e64 s39, 0x7fffffff, v3
	v_cndmask_b32_e64 v3, 0x80000000, v3, s39
	v_lshrrev_b32_e32 v3, s53, v3
	v_and_b32_e32 v143, s61, v3
	s_or_b32 exec_lo, exec_lo, s46
	s_and_saveexec_b32 s46, s27
	s_cbranch_execz .LBB1458_1107
.LBB1458_1173:                          ;   in Loop: Header=BB1458_988 Depth=2
	ds_read_b32 v3, v66 offset:5632
	s_waitcnt lgkmcnt(0)
	v_cmp_ne_u32_e64 s39, 0x7fffffff, v3
	v_cndmask_b32_e64 v3, 0x80000000, v3, s39
	v_lshrrev_b32_e32 v3, s53, v3
	v_and_b32_e32 v142, s61, v3
	s_or_b32 exec_lo, exec_lo, s46
	s_and_saveexec_b32 s46, s28
	s_cbranch_execz .LBB1458_1108
.LBB1458_1174:                          ;   in Loop: Header=BB1458_988 Depth=2
	ds_read_b32 v3, v66 offset:6656
	s_waitcnt lgkmcnt(0)
	v_cmp_ne_u32_e64 s39, 0x7fffffff, v3
	v_cndmask_b32_e64 v3, 0x80000000, v3, s39
	v_lshrrev_b32_e32 v3, s53, v3
	v_and_b32_e32 v141, s61, v3
	s_or_b32 exec_lo, exec_lo, s46
	s_and_saveexec_b32 s46, s29
	s_cbranch_execz .LBB1458_1109
.LBB1458_1175:                          ;   in Loop: Header=BB1458_988 Depth=2
	ds_read_b32 v3, v66 offset:7680
	s_waitcnt lgkmcnt(0)
	v_cmp_ne_u32_e64 s39, 0x7fffffff, v3
	v_cndmask_b32_e64 v3, 0x80000000, v3, s39
	v_lshrrev_b32_e32 v3, s53, v3
	v_and_b32_e32 v140, s61, v3
	s_or_b32 exec_lo, exec_lo, s46
	s_and_saveexec_b32 s46, s30
	s_cbranch_execz .LBB1458_1110
.LBB1458_1176:                          ;   in Loop: Header=BB1458_988 Depth=2
	ds_read_b32 v3, v66 offset:8704
	s_waitcnt lgkmcnt(0)
	v_cmp_ne_u32_e64 s39, 0x7fffffff, v3
	v_cndmask_b32_e64 v3, 0x80000000, v3, s39
	v_lshrrev_b32_e32 v3, s53, v3
	v_and_b32_e32 v139, s61, v3
	s_or_b32 exec_lo, exec_lo, s46
	s_and_saveexec_b32 s46, s31
	s_cbranch_execz .LBB1458_1111
.LBB1458_1177:                          ;   in Loop: Header=BB1458_988 Depth=2
	ds_read_b32 v3, v66 offset:9728
	s_waitcnt lgkmcnt(0)
	v_cmp_ne_u32_e64 s39, 0x7fffffff, v3
	v_cndmask_b32_e64 v3, 0x80000000, v3, s39
	v_lshrrev_b32_e32 v3, s53, v3
	v_and_b32_e32 v138, s61, v3
	s_or_b32 exec_lo, exec_lo, s46
	s_and_saveexec_b32 s46, s33
	s_cbranch_execz .LBB1458_1112
.LBB1458_1178:                          ;   in Loop: Header=BB1458_988 Depth=2
	ds_read_b32 v3, v66 offset:10752
	s_waitcnt lgkmcnt(0)
	v_cmp_ne_u32_e64 s39, 0x7fffffff, v3
	v_cndmask_b32_e64 v3, 0x80000000, v3, s39
	v_lshrrev_b32_e32 v3, s53, v3
	v_and_b32_e32 v137, s61, v3
	s_or_b32 exec_lo, exec_lo, s46
	s_and_saveexec_b32 s46, s34
	s_cbranch_execz .LBB1458_1113
.LBB1458_1179:                          ;   in Loop: Header=BB1458_988 Depth=2
	ds_read_b32 v3, v66 offset:11776
	s_waitcnt lgkmcnt(0)
	v_cmp_ne_u32_e64 s39, 0x7fffffff, v3
	v_cndmask_b32_e64 v3, 0x80000000, v3, s39
	v_lshrrev_b32_e32 v3, s53, v3
	v_and_b32_e32 v136, s61, v3
	s_or_b32 exec_lo, exec_lo, s46
	s_and_saveexec_b32 s46, s35
	s_cbranch_execz .LBB1458_1114
.LBB1458_1180:                          ;   in Loop: Header=BB1458_988 Depth=2
	ds_read_b32 v3, v66 offset:12800
	s_waitcnt lgkmcnt(0)
	v_cmp_ne_u32_e64 s39, 0x7fffffff, v3
	v_cndmask_b32_e64 v3, 0x80000000, v3, s39
	v_lshrrev_b32_e32 v3, s53, v3
	v_and_b32_e32 v135, s61, v3
	s_or_b32 exec_lo, exec_lo, s46
	s_and_saveexec_b32 s46, s36
	s_cbranch_execz .LBB1458_1115
.LBB1458_1181:                          ;   in Loop: Header=BB1458_988 Depth=2
	ds_read_b32 v3, v66 offset:13824
	s_waitcnt lgkmcnt(0)
	v_cmp_ne_u32_e64 s39, 0x7fffffff, v3
	v_cndmask_b32_e64 v3, 0x80000000, v3, s39
	v_lshrrev_b32_e32 v3, s53, v3
	v_and_b32_e32 v134, s61, v3
	s_or_b32 exec_lo, exec_lo, s46
	s_and_saveexec_b32 s46, s37
	s_cbranch_execz .LBB1458_1116
.LBB1458_1182:                          ;   in Loop: Header=BB1458_988 Depth=2
	ds_read_b32 v3, v66 offset:14848
	s_waitcnt lgkmcnt(0)
	v_cmp_ne_u32_e64 s39, 0x7fffffff, v3
	v_cndmask_b32_e64 v3, 0x80000000, v3, s39
	v_lshrrev_b32_e32 v3, s53, v3
	v_and_b32_e32 v133, s61, v3
	s_or_b32 exec_lo, exec_lo, s46
	s_and_saveexec_b32 s46, s38
	s_cbranch_execnz .LBB1458_1117
	s_branch .LBB1458_1118
.LBB1458_1183:                          ;   in Loop: Header=BB1458_988 Depth=2
	v_lshlrev_b32_e32 v3, 2, v148
	ds_read_b32 v3, v3
	ds_read_b64 v[38:39], v37 offset:512
	s_waitcnt lgkmcnt(1)
	v_add_nc_u32_e32 v3, v3, v0
	v_lshlrev_b64 v[150:151], 3, v[3:4]
	v_add_co_u32 v150, vcc_lo, s50, v150
	v_add_co_ci_u32_e64 v151, null, s51, v151, vcc_lo
	s_waitcnt lgkmcnt(0)
	global_store_dwordx2 v[150:151], v[38:39], off
	s_or_b32 exec_lo, exec_lo, s39
	s_and_saveexec_b32 s39, s23
	s_cbranch_execz .LBB1458_1120
.LBB1458_1184:                          ;   in Loop: Header=BB1458_988 Depth=2
	v_lshlrev_b32_e32 v3, 2, v147
	ds_read_b32 v3, v3
	ds_read_b64 v[38:39], v37 offset:2560
	s_waitcnt lgkmcnt(1)
	v_add_nc_u32_e32 v3, v3, v42
	v_lshlrev_b64 v[150:151], 3, v[3:4]
	v_add_co_u32 v150, vcc_lo, s50, v150
	v_add_co_ci_u32_e64 v151, null, s51, v151, vcc_lo
	s_waitcnt lgkmcnt(0)
	global_store_dwordx2 v[150:151], v[38:39], off
	s_or_b32 exec_lo, exec_lo, s39
	s_and_saveexec_b32 s23, s24
	s_cbranch_execz .LBB1458_1121
.LBB1458_1185:                          ;   in Loop: Header=BB1458_988 Depth=2
	v_lshlrev_b32_e32 v3, 2, v146
	ds_read_b32 v3, v3
	ds_read_b64 v[38:39], v37 offset:4608
	s_waitcnt lgkmcnt(1)
	v_add_nc_u32_e32 v3, v3, v45
	v_lshlrev_b64 v[150:151], 3, v[3:4]
	v_add_co_u32 v150, vcc_lo, s50, v150
	v_add_co_ci_u32_e64 v151, null, s51, v151, vcc_lo
	s_waitcnt lgkmcnt(0)
	global_store_dwordx2 v[150:151], v[38:39], off
	s_or_b32 exec_lo, exec_lo, s23
	s_and_saveexec_b32 s23, s25
	s_cbranch_execz .LBB1458_1122
.LBB1458_1186:                          ;   in Loop: Header=BB1458_988 Depth=2
	v_lshlrev_b32_e32 v3, 2, v145
	ds_read_b32 v3, v3
	ds_read_b64 v[38:39], v37 offset:6656
	s_waitcnt lgkmcnt(1)
	v_add_nc_u32_e32 v3, v3, v46
	v_lshlrev_b64 v[150:151], 3, v[3:4]
	v_add_co_u32 v150, vcc_lo, s50, v150
	v_add_co_ci_u32_e64 v151, null, s51, v151, vcc_lo
	s_waitcnt lgkmcnt(0)
	global_store_dwordx2 v[150:151], v[38:39], off
	s_or_b32 exec_lo, exec_lo, s23
	s_and_saveexec_b32 s23, s26
	s_cbranch_execz .LBB1458_1123
.LBB1458_1187:                          ;   in Loop: Header=BB1458_988 Depth=2
	v_lshlrev_b32_e32 v3, 2, v143
	ds_read_b32 v3, v3
	ds_read_b64 v[38:39], v37 offset:8704
	s_waitcnt lgkmcnt(1)
	v_add_nc_u32_e32 v3, v3, v47
	v_lshlrev_b64 v[150:151], 3, v[3:4]
	v_add_co_u32 v150, vcc_lo, s50, v150
	v_add_co_ci_u32_e64 v151, null, s51, v151, vcc_lo
	s_waitcnt lgkmcnt(0)
	global_store_dwordx2 v[150:151], v[38:39], off
	s_or_b32 exec_lo, exec_lo, s23
	s_and_saveexec_b32 s23, s27
	s_cbranch_execz .LBB1458_1124
.LBB1458_1188:                          ;   in Loop: Header=BB1458_988 Depth=2
	v_lshlrev_b32_e32 v3, 2, v142
	ds_read_b32 v3, v3
	ds_read_b64 v[38:39], v37 offset:10752
	s_waitcnt lgkmcnt(1)
	v_add_nc_u32_e32 v3, v3, v48
	v_lshlrev_b64 v[150:151], 3, v[3:4]
	v_add_co_u32 v150, vcc_lo, s50, v150
	v_add_co_ci_u32_e64 v151, null, s51, v151, vcc_lo
	s_waitcnt lgkmcnt(0)
	global_store_dwordx2 v[150:151], v[38:39], off
	s_or_b32 exec_lo, exec_lo, s23
	s_and_saveexec_b32 s23, s28
	s_cbranch_execz .LBB1458_1125
.LBB1458_1189:                          ;   in Loop: Header=BB1458_988 Depth=2
	v_lshlrev_b32_e32 v3, 2, v141
	ds_read_b32 v3, v3
	ds_read_b64 v[38:39], v37 offset:12800
	s_waitcnt lgkmcnt(1)
	v_add_nc_u32_e32 v3, v3, v49
	v_lshlrev_b64 v[150:151], 3, v[3:4]
	v_add_co_u32 v150, vcc_lo, s50, v150
	v_add_co_ci_u32_e64 v151, null, s51, v151, vcc_lo
	s_waitcnt lgkmcnt(0)
	global_store_dwordx2 v[150:151], v[38:39], off
	s_or_b32 exec_lo, exec_lo, s23
	s_and_saveexec_b32 s23, s29
	s_cbranch_execz .LBB1458_1126
.LBB1458_1190:                          ;   in Loop: Header=BB1458_988 Depth=2
	v_lshlrev_b32_e32 v3, 2, v140
	ds_read_b32 v3, v3
	ds_read_b64 v[38:39], v37 offset:14848
	s_waitcnt lgkmcnt(1)
	v_add_nc_u32_e32 v3, v3, v50
	v_lshlrev_b64 v[150:151], 3, v[3:4]
	v_add_co_u32 v150, vcc_lo, s50, v150
	v_add_co_ci_u32_e64 v151, null, s51, v151, vcc_lo
	s_waitcnt lgkmcnt(0)
	global_store_dwordx2 v[150:151], v[38:39], off
	s_or_b32 exec_lo, exec_lo, s23
	s_and_saveexec_b32 s23, s30
	s_cbranch_execz .LBB1458_1127
.LBB1458_1191:                          ;   in Loop: Header=BB1458_988 Depth=2
	v_lshlrev_b32_e32 v3, 2, v139
	ds_read_b32 v3, v3
	ds_read_b64 v[38:39], v37 offset:16896
	s_waitcnt lgkmcnt(1)
	v_add_nc_u32_e32 v3, v3, v51
	v_lshlrev_b64 v[150:151], 3, v[3:4]
	v_add_co_u32 v150, vcc_lo, s50, v150
	v_add_co_ci_u32_e64 v151, null, s51, v151, vcc_lo
	s_waitcnt lgkmcnt(0)
	global_store_dwordx2 v[150:151], v[38:39], off
	s_or_b32 exec_lo, exec_lo, s23
	s_and_saveexec_b32 s23, s31
	s_cbranch_execz .LBB1458_1128
.LBB1458_1192:                          ;   in Loop: Header=BB1458_988 Depth=2
	v_lshlrev_b32_e32 v3, 2, v138
	ds_read_b32 v3, v3
	ds_read_b64 v[38:39], v37 offset:18944
	s_waitcnt lgkmcnt(1)
	v_add_nc_u32_e32 v3, v3, v52
	v_lshlrev_b64 v[150:151], 3, v[3:4]
	v_add_co_u32 v150, vcc_lo, s50, v150
	v_add_co_ci_u32_e64 v151, null, s51, v151, vcc_lo
	s_waitcnt lgkmcnt(0)
	global_store_dwordx2 v[150:151], v[38:39], off
	s_or_b32 exec_lo, exec_lo, s23
	s_and_saveexec_b32 s23, s33
	s_cbranch_execz .LBB1458_1129
.LBB1458_1193:                          ;   in Loop: Header=BB1458_988 Depth=2
	v_lshlrev_b32_e32 v3, 2, v137
	ds_read_b32 v3, v3
	ds_read_b64 v[38:39], v37 offset:20992
	s_waitcnt lgkmcnt(1)
	v_add_nc_u32_e32 v3, v3, v53
	v_lshlrev_b64 v[150:151], 3, v[3:4]
	v_add_co_u32 v150, vcc_lo, s50, v150
	v_add_co_ci_u32_e64 v151, null, s51, v151, vcc_lo
	s_waitcnt lgkmcnt(0)
	global_store_dwordx2 v[150:151], v[38:39], off
	s_or_b32 exec_lo, exec_lo, s23
	s_and_saveexec_b32 s23, s34
	s_cbranch_execz .LBB1458_1130
.LBB1458_1194:                          ;   in Loop: Header=BB1458_988 Depth=2
	v_lshlrev_b32_e32 v3, 2, v136
	ds_read_b32 v3, v3
	ds_read_b64 v[38:39], v37 offset:23040
	s_waitcnt lgkmcnt(1)
	v_add_nc_u32_e32 v3, v3, v54
	v_lshlrev_b64 v[150:151], 3, v[3:4]
	v_add_co_u32 v150, vcc_lo, s50, v150
	v_add_co_ci_u32_e64 v151, null, s51, v151, vcc_lo
	s_waitcnt lgkmcnt(0)
	global_store_dwordx2 v[150:151], v[38:39], off
	s_or_b32 exec_lo, exec_lo, s23
	s_and_saveexec_b32 s23, s35
	s_cbranch_execz .LBB1458_1131
.LBB1458_1195:                          ;   in Loop: Header=BB1458_988 Depth=2
	v_lshlrev_b32_e32 v3, 2, v135
	ds_read_b32 v3, v3
	ds_read_b64 v[38:39], v37 offset:25088
	s_waitcnt lgkmcnt(1)
	v_add_nc_u32_e32 v3, v3, v55
	v_lshlrev_b64 v[150:151], 3, v[3:4]
	v_add_co_u32 v150, vcc_lo, s50, v150
	v_add_co_ci_u32_e64 v151, null, s51, v151, vcc_lo
	s_waitcnt lgkmcnt(0)
	global_store_dwordx2 v[150:151], v[38:39], off
	s_or_b32 exec_lo, exec_lo, s23
	s_and_saveexec_b32 s23, s36
	s_cbranch_execz .LBB1458_1132
.LBB1458_1196:                          ;   in Loop: Header=BB1458_988 Depth=2
	v_lshlrev_b32_e32 v3, 2, v134
	ds_read_b32 v3, v3
	ds_read_b64 v[38:39], v37 offset:27136
	s_waitcnt lgkmcnt(1)
	v_add_nc_u32_e32 v3, v3, v56
	v_lshlrev_b64 v[150:151], 3, v[3:4]
	v_add_co_u32 v150, vcc_lo, s50, v150
	v_add_co_ci_u32_e64 v151, null, s51, v151, vcc_lo
	s_waitcnt lgkmcnt(0)
	global_store_dwordx2 v[150:151], v[38:39], off
	s_or_b32 exec_lo, exec_lo, s23
	s_and_saveexec_b32 s23, s37
	s_cbranch_execz .LBB1458_1133
.LBB1458_1197:                          ;   in Loop: Header=BB1458_988 Depth=2
	v_lshlrev_b32_e32 v3, 2, v133
	ds_read_b32 v3, v3
	ds_read_b64 v[38:39], v37 offset:29184
	s_waitcnt lgkmcnt(1)
	v_add_nc_u32_e32 v3, v3, v57
	v_lshlrev_b64 v[150:151], 3, v[3:4]
	v_add_co_u32 v150, vcc_lo, s50, v150
	v_add_co_ci_u32_e64 v151, null, s51, v151, vcc_lo
	s_waitcnt lgkmcnt(0)
	global_store_dwordx2 v[150:151], v[38:39], off
	s_or_b32 exec_lo, exec_lo, s23
	s_and_saveexec_b32 s23, s38
	s_cbranch_execnz .LBB1458_1134
	s_branch .LBB1458_1135
.LBB1458_1198:
	s_endpgm
	.section	.rodata,"a",@progbits
	.p2align	6, 0x0
	.amdhsa_kernel _ZN7rocprim17ROCPRIM_400000_NS6detail17trampoline_kernelINS0_14default_configENS1_36segmented_radix_sort_config_selectorIflEEZNS1_25segmented_radix_sort_implIS3_Lb0EPKfPfPKlPlN2at6native12_GLOBAL__N_18offset_tEEE10hipError_tPvRmT1_PNSt15iterator_traitsISK_E10value_typeET2_T3_PNSL_ISQ_E10value_typeET4_jRbjT5_SW_jjP12ihipStream_tbEUlT_E2_NS1_11comp_targetILNS1_3genE8ELNS1_11target_archE1030ELNS1_3gpuE2ELNS1_3repE0EEENS1_30default_config_static_selectorELNS0_4arch9wavefront6targetE0EEEvSK_
		.amdhsa_group_segment_fixed_size 33296
		.amdhsa_private_segment_fixed_size 68
		.amdhsa_kernarg_size 336
		.amdhsa_user_sgpr_count 6
		.amdhsa_user_sgpr_private_segment_buffer 1
		.amdhsa_user_sgpr_dispatch_ptr 0
		.amdhsa_user_sgpr_queue_ptr 0
		.amdhsa_user_sgpr_kernarg_segment_ptr 1
		.amdhsa_user_sgpr_dispatch_id 0
		.amdhsa_user_sgpr_flat_scratch_init 0
		.amdhsa_user_sgpr_private_segment_size 0
		.amdhsa_wavefront_size32 1
		.amdhsa_uses_dynamic_stack 0
		.amdhsa_system_sgpr_private_segment_wavefront_offset 1
		.amdhsa_system_sgpr_workgroup_id_x 1
		.amdhsa_system_sgpr_workgroup_id_y 1
		.amdhsa_system_sgpr_workgroup_id_z 0
		.amdhsa_system_sgpr_workgroup_info 0
		.amdhsa_system_vgpr_workitem_id 2
		.amdhsa_next_free_vgpr 248
		.amdhsa_next_free_sgpr 66
		.amdhsa_reserve_vcc 1
		.amdhsa_reserve_flat_scratch 0
		.amdhsa_float_round_mode_32 0
		.amdhsa_float_round_mode_16_64 0
		.amdhsa_float_denorm_mode_32 3
		.amdhsa_float_denorm_mode_16_64 3
		.amdhsa_dx10_clamp 1
		.amdhsa_ieee_mode 1
		.amdhsa_fp16_overflow 0
		.amdhsa_workgroup_processor_mode 1
		.amdhsa_memory_ordered 1
		.amdhsa_forward_progress 1
		.amdhsa_shared_vgpr_count 0
		.amdhsa_exception_fp_ieee_invalid_op 0
		.amdhsa_exception_fp_denorm_src 0
		.amdhsa_exception_fp_ieee_div_zero 0
		.amdhsa_exception_fp_ieee_overflow 0
		.amdhsa_exception_fp_ieee_underflow 0
		.amdhsa_exception_fp_ieee_inexact 0
		.amdhsa_exception_int_div_zero 0
	.end_amdhsa_kernel
	.section	.text._ZN7rocprim17ROCPRIM_400000_NS6detail17trampoline_kernelINS0_14default_configENS1_36segmented_radix_sort_config_selectorIflEEZNS1_25segmented_radix_sort_implIS3_Lb0EPKfPfPKlPlN2at6native12_GLOBAL__N_18offset_tEEE10hipError_tPvRmT1_PNSt15iterator_traitsISK_E10value_typeET2_T3_PNSL_ISQ_E10value_typeET4_jRbjT5_SW_jjP12ihipStream_tbEUlT_E2_NS1_11comp_targetILNS1_3genE8ELNS1_11target_archE1030ELNS1_3gpuE2ELNS1_3repE0EEENS1_30default_config_static_selectorELNS0_4arch9wavefront6targetE0EEEvSK_,"axG",@progbits,_ZN7rocprim17ROCPRIM_400000_NS6detail17trampoline_kernelINS0_14default_configENS1_36segmented_radix_sort_config_selectorIflEEZNS1_25segmented_radix_sort_implIS3_Lb0EPKfPfPKlPlN2at6native12_GLOBAL__N_18offset_tEEE10hipError_tPvRmT1_PNSt15iterator_traitsISK_E10value_typeET2_T3_PNSL_ISQ_E10value_typeET4_jRbjT5_SW_jjP12ihipStream_tbEUlT_E2_NS1_11comp_targetILNS1_3genE8ELNS1_11target_archE1030ELNS1_3gpuE2ELNS1_3repE0EEENS1_30default_config_static_selectorELNS0_4arch9wavefront6targetE0EEEvSK_,comdat
.Lfunc_end1458:
	.size	_ZN7rocprim17ROCPRIM_400000_NS6detail17trampoline_kernelINS0_14default_configENS1_36segmented_radix_sort_config_selectorIflEEZNS1_25segmented_radix_sort_implIS3_Lb0EPKfPfPKlPlN2at6native12_GLOBAL__N_18offset_tEEE10hipError_tPvRmT1_PNSt15iterator_traitsISK_E10value_typeET2_T3_PNSL_ISQ_E10value_typeET4_jRbjT5_SW_jjP12ihipStream_tbEUlT_E2_NS1_11comp_targetILNS1_3genE8ELNS1_11target_archE1030ELNS1_3gpuE2ELNS1_3repE0EEENS1_30default_config_static_selectorELNS0_4arch9wavefront6targetE0EEEvSK_, .Lfunc_end1458-_ZN7rocprim17ROCPRIM_400000_NS6detail17trampoline_kernelINS0_14default_configENS1_36segmented_radix_sort_config_selectorIflEEZNS1_25segmented_radix_sort_implIS3_Lb0EPKfPfPKlPlN2at6native12_GLOBAL__N_18offset_tEEE10hipError_tPvRmT1_PNSt15iterator_traitsISK_E10value_typeET2_T3_PNSL_ISQ_E10value_typeET4_jRbjT5_SW_jjP12ihipStream_tbEUlT_E2_NS1_11comp_targetILNS1_3genE8ELNS1_11target_archE1030ELNS1_3gpuE2ELNS1_3repE0EEENS1_30default_config_static_selectorELNS0_4arch9wavefront6targetE0EEEvSK_
                                        ; -- End function
	.set _ZN7rocprim17ROCPRIM_400000_NS6detail17trampoline_kernelINS0_14default_configENS1_36segmented_radix_sort_config_selectorIflEEZNS1_25segmented_radix_sort_implIS3_Lb0EPKfPfPKlPlN2at6native12_GLOBAL__N_18offset_tEEE10hipError_tPvRmT1_PNSt15iterator_traitsISK_E10value_typeET2_T3_PNSL_ISQ_E10value_typeET4_jRbjT5_SW_jjP12ihipStream_tbEUlT_E2_NS1_11comp_targetILNS1_3genE8ELNS1_11target_archE1030ELNS1_3gpuE2ELNS1_3repE0EEENS1_30default_config_static_selectorELNS0_4arch9wavefront6targetE0EEEvSK_.num_vgpr, max(216, .L_ZN7rocprim17ROCPRIM_400000_NS6detail26segmented_warp_sort_helperINS1_20WarpSortHelperConfigILj8ELj8ELj256EEEflLi256ELb0EvE4sortIPKfPfPKlPlEEvT_T0_T1_T2_jjjjRNS5_12storage_typeE.num_vgpr, .L_ZN7rocprim17ROCPRIM_400000_NS6detail40segmented_radix_sort_single_block_helperIflLj256ELj16ELb0EE4sortIPKfPfPKlPlEEbT_T0_T1_T2_jjjjRNS3_12storage_typeE.num_vgpr)
	.set _ZN7rocprim17ROCPRIM_400000_NS6detail17trampoline_kernelINS0_14default_configENS1_36segmented_radix_sort_config_selectorIflEEZNS1_25segmented_radix_sort_implIS3_Lb0EPKfPfPKlPlN2at6native12_GLOBAL__N_18offset_tEEE10hipError_tPvRmT1_PNSt15iterator_traitsISK_E10value_typeET2_T3_PNSL_ISQ_E10value_typeET4_jRbjT5_SW_jjP12ihipStream_tbEUlT_E2_NS1_11comp_targetILNS1_3genE8ELNS1_11target_archE1030ELNS1_3gpuE2ELNS1_3repE0EEENS1_30default_config_static_selectorELNS0_4arch9wavefront6targetE0EEEvSK_.num_agpr, max(0, .L_ZN7rocprim17ROCPRIM_400000_NS6detail26segmented_warp_sort_helperINS1_20WarpSortHelperConfigILj8ELj8ELj256EEEflLi256ELb0EvE4sortIPKfPfPKlPlEEvT_T0_T1_T2_jjjjRNS5_12storage_typeE.num_agpr, .L_ZN7rocprim17ROCPRIM_400000_NS6detail40segmented_radix_sort_single_block_helperIflLj256ELj16ELb0EE4sortIPKfPfPKlPlEEbT_T0_T1_T2_jjjjRNS3_12storage_typeE.num_agpr)
	.set _ZN7rocprim17ROCPRIM_400000_NS6detail17trampoline_kernelINS0_14default_configENS1_36segmented_radix_sort_config_selectorIflEEZNS1_25segmented_radix_sort_implIS3_Lb0EPKfPfPKlPlN2at6native12_GLOBAL__N_18offset_tEEE10hipError_tPvRmT1_PNSt15iterator_traitsISK_E10value_typeET2_T3_PNSL_ISQ_E10value_typeET4_jRbjT5_SW_jjP12ihipStream_tbEUlT_E2_NS1_11comp_targetILNS1_3genE8ELNS1_11target_archE1030ELNS1_3gpuE2ELNS1_3repE0EEENS1_30default_config_static_selectorELNS0_4arch9wavefront6targetE0EEEvSK_.numbered_sgpr, max(66, .L_ZN7rocprim17ROCPRIM_400000_NS6detail26segmented_warp_sort_helperINS1_20WarpSortHelperConfigILj8ELj8ELj256EEEflLi256ELb0EvE4sortIPKfPfPKlPlEEvT_T0_T1_T2_jjjjRNS5_12storage_typeE.numbered_sgpr, .L_ZN7rocprim17ROCPRIM_400000_NS6detail40segmented_radix_sort_single_block_helperIflLj256ELj16ELb0EE4sortIPKfPfPKlPlEEbT_T0_T1_T2_jjjjRNS3_12storage_typeE.numbered_sgpr)
	.set _ZN7rocprim17ROCPRIM_400000_NS6detail17trampoline_kernelINS0_14default_configENS1_36segmented_radix_sort_config_selectorIflEEZNS1_25segmented_radix_sort_implIS3_Lb0EPKfPfPKlPlN2at6native12_GLOBAL__N_18offset_tEEE10hipError_tPvRmT1_PNSt15iterator_traitsISK_E10value_typeET2_T3_PNSL_ISQ_E10value_typeET4_jRbjT5_SW_jjP12ihipStream_tbEUlT_E2_NS1_11comp_targetILNS1_3genE8ELNS1_11target_archE1030ELNS1_3gpuE2ELNS1_3repE0EEENS1_30default_config_static_selectorELNS0_4arch9wavefront6targetE0EEEvSK_.num_named_barrier, max(0, .L_ZN7rocprim17ROCPRIM_400000_NS6detail26segmented_warp_sort_helperINS1_20WarpSortHelperConfigILj8ELj8ELj256EEEflLi256ELb0EvE4sortIPKfPfPKlPlEEvT_T0_T1_T2_jjjjRNS5_12storage_typeE.num_named_barrier, .L_ZN7rocprim17ROCPRIM_400000_NS6detail40segmented_radix_sort_single_block_helperIflLj256ELj16ELb0EE4sortIPKfPfPKlPlEEbT_T0_T1_T2_jjjjRNS3_12storage_typeE.num_named_barrier)
	.set _ZN7rocprim17ROCPRIM_400000_NS6detail17trampoline_kernelINS0_14default_configENS1_36segmented_radix_sort_config_selectorIflEEZNS1_25segmented_radix_sort_implIS3_Lb0EPKfPfPKlPlN2at6native12_GLOBAL__N_18offset_tEEE10hipError_tPvRmT1_PNSt15iterator_traitsISK_E10value_typeET2_T3_PNSL_ISQ_E10value_typeET4_jRbjT5_SW_jjP12ihipStream_tbEUlT_E2_NS1_11comp_targetILNS1_3genE8ELNS1_11target_archE1030ELNS1_3gpuE2ELNS1_3repE0EEENS1_30default_config_static_selectorELNS0_4arch9wavefront6targetE0EEEvSK_.private_seg_size, 0+max(.L_ZN7rocprim17ROCPRIM_400000_NS6detail26segmented_warp_sort_helperINS1_20WarpSortHelperConfigILj8ELj8ELj256EEEflLi256ELb0EvE4sortIPKfPfPKlPlEEvT_T0_T1_T2_jjjjRNS5_12storage_typeE.private_seg_size, .L_ZN7rocprim17ROCPRIM_400000_NS6detail40segmented_radix_sort_single_block_helperIflLj256ELj16ELb0EE4sortIPKfPfPKlPlEEbT_T0_T1_T2_jjjjRNS3_12storage_typeE.private_seg_size)
	.set _ZN7rocprim17ROCPRIM_400000_NS6detail17trampoline_kernelINS0_14default_configENS1_36segmented_radix_sort_config_selectorIflEEZNS1_25segmented_radix_sort_implIS3_Lb0EPKfPfPKlPlN2at6native12_GLOBAL__N_18offset_tEEE10hipError_tPvRmT1_PNSt15iterator_traitsISK_E10value_typeET2_T3_PNSL_ISQ_E10value_typeET4_jRbjT5_SW_jjP12ihipStream_tbEUlT_E2_NS1_11comp_targetILNS1_3genE8ELNS1_11target_archE1030ELNS1_3gpuE2ELNS1_3repE0EEENS1_30default_config_static_selectorELNS0_4arch9wavefront6targetE0EEEvSK_.uses_vcc, or(1, .L_ZN7rocprim17ROCPRIM_400000_NS6detail26segmented_warp_sort_helperINS1_20WarpSortHelperConfigILj8ELj8ELj256EEEflLi256ELb0EvE4sortIPKfPfPKlPlEEvT_T0_T1_T2_jjjjRNS5_12storage_typeE.uses_vcc, .L_ZN7rocprim17ROCPRIM_400000_NS6detail40segmented_radix_sort_single_block_helperIflLj256ELj16ELb0EE4sortIPKfPfPKlPlEEbT_T0_T1_T2_jjjjRNS3_12storage_typeE.uses_vcc)
	.set _ZN7rocprim17ROCPRIM_400000_NS6detail17trampoline_kernelINS0_14default_configENS1_36segmented_radix_sort_config_selectorIflEEZNS1_25segmented_radix_sort_implIS3_Lb0EPKfPfPKlPlN2at6native12_GLOBAL__N_18offset_tEEE10hipError_tPvRmT1_PNSt15iterator_traitsISK_E10value_typeET2_T3_PNSL_ISQ_E10value_typeET4_jRbjT5_SW_jjP12ihipStream_tbEUlT_E2_NS1_11comp_targetILNS1_3genE8ELNS1_11target_archE1030ELNS1_3gpuE2ELNS1_3repE0EEENS1_30default_config_static_selectorELNS0_4arch9wavefront6targetE0EEEvSK_.uses_flat_scratch, or(0, .L_ZN7rocprim17ROCPRIM_400000_NS6detail26segmented_warp_sort_helperINS1_20WarpSortHelperConfigILj8ELj8ELj256EEEflLi256ELb0EvE4sortIPKfPfPKlPlEEvT_T0_T1_T2_jjjjRNS5_12storage_typeE.uses_flat_scratch, .L_ZN7rocprim17ROCPRIM_400000_NS6detail40segmented_radix_sort_single_block_helperIflLj256ELj16ELb0EE4sortIPKfPfPKlPlEEbT_T0_T1_T2_jjjjRNS3_12storage_typeE.uses_flat_scratch)
	.set _ZN7rocprim17ROCPRIM_400000_NS6detail17trampoline_kernelINS0_14default_configENS1_36segmented_radix_sort_config_selectorIflEEZNS1_25segmented_radix_sort_implIS3_Lb0EPKfPfPKlPlN2at6native12_GLOBAL__N_18offset_tEEE10hipError_tPvRmT1_PNSt15iterator_traitsISK_E10value_typeET2_T3_PNSL_ISQ_E10value_typeET4_jRbjT5_SW_jjP12ihipStream_tbEUlT_E2_NS1_11comp_targetILNS1_3genE8ELNS1_11target_archE1030ELNS1_3gpuE2ELNS1_3repE0EEENS1_30default_config_static_selectorELNS0_4arch9wavefront6targetE0EEEvSK_.has_dyn_sized_stack, or(0, .L_ZN7rocprim17ROCPRIM_400000_NS6detail26segmented_warp_sort_helperINS1_20WarpSortHelperConfigILj8ELj8ELj256EEEflLi256ELb0EvE4sortIPKfPfPKlPlEEvT_T0_T1_T2_jjjjRNS5_12storage_typeE.has_dyn_sized_stack, .L_ZN7rocprim17ROCPRIM_400000_NS6detail40segmented_radix_sort_single_block_helperIflLj256ELj16ELb0EE4sortIPKfPfPKlPlEEbT_T0_T1_T2_jjjjRNS3_12storage_typeE.has_dyn_sized_stack)
	.set _ZN7rocprim17ROCPRIM_400000_NS6detail17trampoline_kernelINS0_14default_configENS1_36segmented_radix_sort_config_selectorIflEEZNS1_25segmented_radix_sort_implIS3_Lb0EPKfPfPKlPlN2at6native12_GLOBAL__N_18offset_tEEE10hipError_tPvRmT1_PNSt15iterator_traitsISK_E10value_typeET2_T3_PNSL_ISQ_E10value_typeET4_jRbjT5_SW_jjP12ihipStream_tbEUlT_E2_NS1_11comp_targetILNS1_3genE8ELNS1_11target_archE1030ELNS1_3gpuE2ELNS1_3repE0EEENS1_30default_config_static_selectorELNS0_4arch9wavefront6targetE0EEEvSK_.has_recursion, or(0, .L_ZN7rocprim17ROCPRIM_400000_NS6detail26segmented_warp_sort_helperINS1_20WarpSortHelperConfigILj8ELj8ELj256EEEflLi256ELb0EvE4sortIPKfPfPKlPlEEvT_T0_T1_T2_jjjjRNS5_12storage_typeE.has_recursion, .L_ZN7rocprim17ROCPRIM_400000_NS6detail40segmented_radix_sort_single_block_helperIflLj256ELj16ELb0EE4sortIPKfPfPKlPlEEbT_T0_T1_T2_jjjjRNS3_12storage_typeE.has_recursion)
	.set _ZN7rocprim17ROCPRIM_400000_NS6detail17trampoline_kernelINS0_14default_configENS1_36segmented_radix_sort_config_selectorIflEEZNS1_25segmented_radix_sort_implIS3_Lb0EPKfPfPKlPlN2at6native12_GLOBAL__N_18offset_tEEE10hipError_tPvRmT1_PNSt15iterator_traitsISK_E10value_typeET2_T3_PNSL_ISQ_E10value_typeET4_jRbjT5_SW_jjP12ihipStream_tbEUlT_E2_NS1_11comp_targetILNS1_3genE8ELNS1_11target_archE1030ELNS1_3gpuE2ELNS1_3repE0EEENS1_30default_config_static_selectorELNS0_4arch9wavefront6targetE0EEEvSK_.has_indirect_call, or(0, .L_ZN7rocprim17ROCPRIM_400000_NS6detail26segmented_warp_sort_helperINS1_20WarpSortHelperConfigILj8ELj8ELj256EEEflLi256ELb0EvE4sortIPKfPfPKlPlEEvT_T0_T1_T2_jjjjRNS5_12storage_typeE.has_indirect_call, .L_ZN7rocprim17ROCPRIM_400000_NS6detail40segmented_radix_sort_single_block_helperIflLj256ELj16ELb0EE4sortIPKfPfPKlPlEEbT_T0_T1_T2_jjjjRNS3_12storage_typeE.has_indirect_call)
	.section	.AMDGPU.csdata,"",@progbits
; Kernel info:
; codeLenInByte = 68132
; TotalNumSgprs: 68
; NumVgprs: 248
; ScratchSize: 68
; MemoryBound: 0
; FloatMode: 240
; IeeeMode: 1
; LDSByteSize: 33296 bytes/workgroup (compile time only)
; SGPRBlocks: 0
; VGPRBlocks: 30
; NumSGPRsForWavesPerEU: 68
; NumVGPRsForWavesPerEU: 248
; Occupancy: 4
; WaveLimiterHint : 1
; COMPUTE_PGM_RSRC2:SCRATCH_EN: 1
; COMPUTE_PGM_RSRC2:USER_SGPR: 6
; COMPUTE_PGM_RSRC2:TRAP_HANDLER: 0
; COMPUTE_PGM_RSRC2:TGID_X_EN: 1
; COMPUTE_PGM_RSRC2:TGID_Y_EN: 1
; COMPUTE_PGM_RSRC2:TGID_Z_EN: 0
; COMPUTE_PGM_RSRC2:TIDIG_COMP_CNT: 2
	.section	.text._ZN2at6native12_GLOBAL__N_123sort_postprocess_kernelIbEEvPKT_PS3_PlPK15HIP_vector_typeIiLj2EEii,"axG",@progbits,_ZN2at6native12_GLOBAL__N_123sort_postprocess_kernelIbEEvPKT_PS3_PlPK15HIP_vector_typeIiLj2EEii,comdat
	.globl	_ZN2at6native12_GLOBAL__N_123sort_postprocess_kernelIbEEvPKT_PS3_PlPK15HIP_vector_typeIiLj2EEii ; -- Begin function _ZN2at6native12_GLOBAL__N_123sort_postprocess_kernelIbEEvPKT_PS3_PlPK15HIP_vector_typeIiLj2EEii
	.p2align	8
	.type	_ZN2at6native12_GLOBAL__N_123sort_postprocess_kernelIbEEvPKT_PS3_PlPK15HIP_vector_typeIiLj2EEii,@function
_ZN2at6native12_GLOBAL__N_123sort_postprocess_kernelIbEEvPKT_PS3_PlPK15HIP_vector_typeIiLj2EEii: ; @_ZN2at6native12_GLOBAL__N_123sort_postprocess_kernelIbEEvPKT_PS3_PlPK15HIP_vector_typeIiLj2EEii
; %bb.0:
	s_clause 0x1
	s_load_dword s2, s[4:5], 0x34
	s_load_dwordx2 s[8:9], s[4:5], 0x20
	s_add_u32 s0, s4, 40
	s_addc_u32 s1, s5, 0
	s_waitcnt lgkmcnt(0)
	s_and_b32 s15, s2, 0xffff
	s_mul_i32 s13, s15, s6
	s_mul_hi_u32 s12, s15, s6
	v_add_co_u32 v1, s2, s13, v0
	v_add_co_ci_u32_e64 v2, null, s12, 0, s2
	s_mul_i32 s2, s9, s8
	s_ashr_i32 s3, s2, 31
	v_cmp_gt_i64_e32 vcc_lo, s[2:3], v[1:2]
	v_mov_b32_e32 v1, 0
	s_and_saveexec_b32 s6, vcc_lo
	s_cbranch_execz .LBB1459_3
; %bb.1:
	s_abs_i32 s14, s9
	s_load_dword s0, s[0:1], 0x0
	v_cvt_f32_u32_e32 v2, s14
	s_sub_i32 s1, 0, s14
	s_load_dwordx8 s[4:11], s[4:5], 0x0
	v_rcp_iflag_f32_e32 v2, v2
	v_mul_f32_e32 v2, 0x4f7ffffe, v2
	v_cvt_u32_f32_e32 v2, v2
	v_mul_lo_u32 v3, s1, v2
	s_waitcnt lgkmcnt(0)
	s_mul_i32 s1, s0, s15
	s_mov_b32 s15, 0
	v_mul_hi_u32 v3, v2, v3
	v_add_nc_u32_e32 v2, v2, v3
.LBB1459_2:                             ; =>This Inner Loop Header: Depth=1
	v_add_nc_u32_e32 v3, s13, v0
	v_sub_nc_u32_e32 v4, 0, v3
	v_ashrrev_i32_e32 v6, 31, v3
	v_max_i32_e32 v4, v3, v4
	v_add_nc_u32_e32 v3, v3, v6
	v_mul_hi_u32 v5, v4, v2
	v_mul_lo_u32 v5, v5, s14
	v_sub_nc_u32_e32 v4, v4, v5
	v_subrev_nc_u32_e32 v5, s14, v4
	v_cmp_le_u32_e32 vcc_lo, s14, v4
	v_cndmask_b32_e32 v4, v4, v5, vcc_lo
	v_subrev_nc_u32_e32 v5, s14, v4
	v_cmp_le_u32_e32 vcc_lo, s14, v4
	v_cndmask_b32_e32 v4, v4, v5, vcc_lo
	v_xor_b32_e32 v4, v4, v6
	v_sub_nc_u32_e32 v3, v3, v4
	v_sub_nc_u32_e32 v5, v4, v6
	v_ashrrev_i32_e32 v4, 31, v3
	v_ashrrev_i32_e32 v6, 31, v5
	v_lshlrev_b64 v[7:8], 3, v[3:4]
	v_lshlrev_b64 v[9:10], 3, v[5:6]
	v_add_co_u32 v11, vcc_lo, s10, v7
	v_add_co_ci_u32_e64 v12, null, s11, v8, vcc_lo
	v_add_co_u32 v11, vcc_lo, v11, v9
	v_add_co_ci_u32_e64 v12, null, v12, v10, vcc_lo
	v_add_co_u32 v13, vcc_lo, s4, v3
	v_add_co_ci_u32_e64 v14, null, s5, v4, vcc_lo
	global_load_dword v11, v[11:12], off offset:4
	v_add_co_u32 v3, s0, s6, v3
	v_add_co_ci_u32_e64 v4, null, s7, v4, s0
	v_add_co_u32 v3, s0, v3, v5
	v_add_co_ci_u32_e64 v4, null, v4, v6, s0
	v_add_co_u32 v5, s0, s8, v7
	v_add_co_ci_u32_e64 v6, null, s9, v8, s0
	v_add_co_u32 v5, s0, v5, v9
	v_add_co_ci_u32_e64 v6, null, v6, v10, s0
	s_waitcnt vmcnt(0)
	v_ashrrev_i32_e32 v12, 31, v11
	v_add_co_u32 v13, vcc_lo, v13, v11
	v_add_co_ci_u32_e64 v14, null, v14, v12, vcc_lo
	v_add_co_u32 v0, vcc_lo, v0, s1
	v_add_co_ci_u32_e64 v1, null, 0, v1, vcc_lo
	global_load_ubyte v15, v[13:14], off
	v_add_co_u32 v13, vcc_lo, s13, v0
	v_add_co_ci_u32_e64 v14, null, s12, v1, vcc_lo
	global_store_dwordx2 v[5:6], v[11:12], off
	s_waitcnt vmcnt(0)
	global_store_byte v[3:4], v15, off
	v_cmp_le_i64_e32 vcc_lo, s[2:3], v[13:14]
	s_or_b32 s15, vcc_lo, s15
	s_andn2_b32 exec_lo, exec_lo, s15
	s_cbranch_execnz .LBB1459_2
.LBB1459_3:
	s_endpgm
	.section	.rodata,"a",@progbits
	.p2align	6, 0x0
	.amdhsa_kernel _ZN2at6native12_GLOBAL__N_123sort_postprocess_kernelIbEEvPKT_PS3_PlPK15HIP_vector_typeIiLj2EEii
		.amdhsa_group_segment_fixed_size 0
		.amdhsa_private_segment_fixed_size 0
		.amdhsa_kernarg_size 296
		.amdhsa_user_sgpr_count 6
		.amdhsa_user_sgpr_private_segment_buffer 1
		.amdhsa_user_sgpr_dispatch_ptr 0
		.amdhsa_user_sgpr_queue_ptr 0
		.amdhsa_user_sgpr_kernarg_segment_ptr 1
		.amdhsa_user_sgpr_dispatch_id 0
		.amdhsa_user_sgpr_flat_scratch_init 0
		.amdhsa_user_sgpr_private_segment_size 0
		.amdhsa_wavefront_size32 1
		.amdhsa_uses_dynamic_stack 0
		.amdhsa_system_sgpr_private_segment_wavefront_offset 0
		.amdhsa_system_sgpr_workgroup_id_x 1
		.amdhsa_system_sgpr_workgroup_id_y 0
		.amdhsa_system_sgpr_workgroup_id_z 0
		.amdhsa_system_sgpr_workgroup_info 0
		.amdhsa_system_vgpr_workitem_id 0
		.amdhsa_next_free_vgpr 16
		.amdhsa_next_free_sgpr 16
		.amdhsa_reserve_vcc 1
		.amdhsa_reserve_flat_scratch 0
		.amdhsa_float_round_mode_32 0
		.amdhsa_float_round_mode_16_64 0
		.amdhsa_float_denorm_mode_32 3
		.amdhsa_float_denorm_mode_16_64 3
		.amdhsa_dx10_clamp 1
		.amdhsa_ieee_mode 1
		.amdhsa_fp16_overflow 0
		.amdhsa_workgroup_processor_mode 1
		.amdhsa_memory_ordered 1
		.amdhsa_forward_progress 1
		.amdhsa_shared_vgpr_count 0
		.amdhsa_exception_fp_ieee_invalid_op 0
		.amdhsa_exception_fp_denorm_src 0
		.amdhsa_exception_fp_ieee_div_zero 0
		.amdhsa_exception_fp_ieee_overflow 0
		.amdhsa_exception_fp_ieee_underflow 0
		.amdhsa_exception_fp_ieee_inexact 0
		.amdhsa_exception_int_div_zero 0
	.end_amdhsa_kernel
	.section	.text._ZN2at6native12_GLOBAL__N_123sort_postprocess_kernelIbEEvPKT_PS3_PlPK15HIP_vector_typeIiLj2EEii,"axG",@progbits,_ZN2at6native12_GLOBAL__N_123sort_postprocess_kernelIbEEvPKT_PS3_PlPK15HIP_vector_typeIiLj2EEii,comdat
.Lfunc_end1459:
	.size	_ZN2at6native12_GLOBAL__N_123sort_postprocess_kernelIbEEvPKT_PS3_PlPK15HIP_vector_typeIiLj2EEii, .Lfunc_end1459-_ZN2at6native12_GLOBAL__N_123sort_postprocess_kernelIbEEvPKT_PS3_PlPK15HIP_vector_typeIiLj2EEii
                                        ; -- End function
	.set _ZN2at6native12_GLOBAL__N_123sort_postprocess_kernelIbEEvPKT_PS3_PlPK15HIP_vector_typeIiLj2EEii.num_vgpr, 16
	.set _ZN2at6native12_GLOBAL__N_123sort_postprocess_kernelIbEEvPKT_PS3_PlPK15HIP_vector_typeIiLj2EEii.num_agpr, 0
	.set _ZN2at6native12_GLOBAL__N_123sort_postprocess_kernelIbEEvPKT_PS3_PlPK15HIP_vector_typeIiLj2EEii.numbered_sgpr, 16
	.set _ZN2at6native12_GLOBAL__N_123sort_postprocess_kernelIbEEvPKT_PS3_PlPK15HIP_vector_typeIiLj2EEii.num_named_barrier, 0
	.set _ZN2at6native12_GLOBAL__N_123sort_postprocess_kernelIbEEvPKT_PS3_PlPK15HIP_vector_typeIiLj2EEii.private_seg_size, 0
	.set _ZN2at6native12_GLOBAL__N_123sort_postprocess_kernelIbEEvPKT_PS3_PlPK15HIP_vector_typeIiLj2EEii.uses_vcc, 1
	.set _ZN2at6native12_GLOBAL__N_123sort_postprocess_kernelIbEEvPKT_PS3_PlPK15HIP_vector_typeIiLj2EEii.uses_flat_scratch, 0
	.set _ZN2at6native12_GLOBAL__N_123sort_postprocess_kernelIbEEvPKT_PS3_PlPK15HIP_vector_typeIiLj2EEii.has_dyn_sized_stack, 0
	.set _ZN2at6native12_GLOBAL__N_123sort_postprocess_kernelIbEEvPKT_PS3_PlPK15HIP_vector_typeIiLj2EEii.has_recursion, 0
	.set _ZN2at6native12_GLOBAL__N_123sort_postprocess_kernelIbEEvPKT_PS3_PlPK15HIP_vector_typeIiLj2EEii.has_indirect_call, 0
	.section	.AMDGPU.csdata,"",@progbits
; Kernel info:
; codeLenInByte = 488
; TotalNumSgprs: 18
; NumVgprs: 16
; ScratchSize: 0
; MemoryBound: 0
; FloatMode: 240
; IeeeMode: 1
; LDSByteSize: 0 bytes/workgroup (compile time only)
; SGPRBlocks: 0
; VGPRBlocks: 1
; NumSGPRsForWavesPerEU: 18
; NumVGPRsForWavesPerEU: 16
; Occupancy: 16
; WaveLimiterHint : 1
; COMPUTE_PGM_RSRC2:SCRATCH_EN: 0
; COMPUTE_PGM_RSRC2:USER_SGPR: 6
; COMPUTE_PGM_RSRC2:TRAP_HANDLER: 0
; COMPUTE_PGM_RSRC2:TGID_X_EN: 1
; COMPUTE_PGM_RSRC2:TGID_Y_EN: 0
; COMPUTE_PGM_RSRC2:TGID_Z_EN: 0
; COMPUTE_PGM_RSRC2:TIDIG_COMP_CNT: 0
	.section	.text._ZN7rocprim17ROCPRIM_400000_NS6detail17trampoline_kernelINS0_13select_configILj256ELj13ELNS0_17block_load_methodE3ELS4_3ELS4_3ELNS0_20block_scan_algorithmE0ELj4294967295EEENS1_25partition_config_selectorILNS1_17partition_subalgoE4EjNS0_10empty_typeEbEEZZNS1_14partition_implILS8_4ELb0ES6_15HIP_vector_typeIjLj2EENS0_17counting_iteratorIjlEEPS9_SG_NS0_5tupleIJPjSI_NS0_16reverse_iteratorISI_EEEEENSH_IJSG_SG_SG_EEES9_SI_JZNS1_25segmented_radix_sort_implINS0_14default_configELb1EPKbPbPKlPlN2at6native12_GLOBAL__N_18offset_tEEE10hipError_tPvRmT1_PNSt15iterator_traitsIS12_E10value_typeET2_T3_PNS13_IS18_E10value_typeET4_jRbjT5_S1E_jjP12ihipStream_tbEUljE_ZNSN_ISO_Lb1ESQ_SR_ST_SU_SY_EESZ_S10_S11_S12_S16_S17_S18_S1B_S1C_jS1D_jS1E_S1E_jjS1G_bEUljE0_EEESZ_S10_S11_S18_S1C_S1E_T6_T7_T9_mT8_S1G_bDpT10_ENKUlT_T0_E_clISt17integral_constantIbLb0EES1U_EEDaS1P_S1Q_EUlS1P_E_NS1_11comp_targetILNS1_3genE0ELNS1_11target_archE4294967295ELNS1_3gpuE0ELNS1_3repE0EEENS1_30default_config_static_selectorELNS0_4arch9wavefront6targetE0EEEvS12_,"axG",@progbits,_ZN7rocprim17ROCPRIM_400000_NS6detail17trampoline_kernelINS0_13select_configILj256ELj13ELNS0_17block_load_methodE3ELS4_3ELS4_3ELNS0_20block_scan_algorithmE0ELj4294967295EEENS1_25partition_config_selectorILNS1_17partition_subalgoE4EjNS0_10empty_typeEbEEZZNS1_14partition_implILS8_4ELb0ES6_15HIP_vector_typeIjLj2EENS0_17counting_iteratorIjlEEPS9_SG_NS0_5tupleIJPjSI_NS0_16reverse_iteratorISI_EEEEENSH_IJSG_SG_SG_EEES9_SI_JZNS1_25segmented_radix_sort_implINS0_14default_configELb1EPKbPbPKlPlN2at6native12_GLOBAL__N_18offset_tEEE10hipError_tPvRmT1_PNSt15iterator_traitsIS12_E10value_typeET2_T3_PNS13_IS18_E10value_typeET4_jRbjT5_S1E_jjP12ihipStream_tbEUljE_ZNSN_ISO_Lb1ESQ_SR_ST_SU_SY_EESZ_S10_S11_S12_S16_S17_S18_S1B_S1C_jS1D_jS1E_S1E_jjS1G_bEUljE0_EEESZ_S10_S11_S18_S1C_S1E_T6_T7_T9_mT8_S1G_bDpT10_ENKUlT_T0_E_clISt17integral_constantIbLb0EES1U_EEDaS1P_S1Q_EUlS1P_E_NS1_11comp_targetILNS1_3genE0ELNS1_11target_archE4294967295ELNS1_3gpuE0ELNS1_3repE0EEENS1_30default_config_static_selectorELNS0_4arch9wavefront6targetE0EEEvS12_,comdat
	.globl	_ZN7rocprim17ROCPRIM_400000_NS6detail17trampoline_kernelINS0_13select_configILj256ELj13ELNS0_17block_load_methodE3ELS4_3ELS4_3ELNS0_20block_scan_algorithmE0ELj4294967295EEENS1_25partition_config_selectorILNS1_17partition_subalgoE4EjNS0_10empty_typeEbEEZZNS1_14partition_implILS8_4ELb0ES6_15HIP_vector_typeIjLj2EENS0_17counting_iteratorIjlEEPS9_SG_NS0_5tupleIJPjSI_NS0_16reverse_iteratorISI_EEEEENSH_IJSG_SG_SG_EEES9_SI_JZNS1_25segmented_radix_sort_implINS0_14default_configELb1EPKbPbPKlPlN2at6native12_GLOBAL__N_18offset_tEEE10hipError_tPvRmT1_PNSt15iterator_traitsIS12_E10value_typeET2_T3_PNS13_IS18_E10value_typeET4_jRbjT5_S1E_jjP12ihipStream_tbEUljE_ZNSN_ISO_Lb1ESQ_SR_ST_SU_SY_EESZ_S10_S11_S12_S16_S17_S18_S1B_S1C_jS1D_jS1E_S1E_jjS1G_bEUljE0_EEESZ_S10_S11_S18_S1C_S1E_T6_T7_T9_mT8_S1G_bDpT10_ENKUlT_T0_E_clISt17integral_constantIbLb0EES1U_EEDaS1P_S1Q_EUlS1P_E_NS1_11comp_targetILNS1_3genE0ELNS1_11target_archE4294967295ELNS1_3gpuE0ELNS1_3repE0EEENS1_30default_config_static_selectorELNS0_4arch9wavefront6targetE0EEEvS12_ ; -- Begin function _ZN7rocprim17ROCPRIM_400000_NS6detail17trampoline_kernelINS0_13select_configILj256ELj13ELNS0_17block_load_methodE3ELS4_3ELS4_3ELNS0_20block_scan_algorithmE0ELj4294967295EEENS1_25partition_config_selectorILNS1_17partition_subalgoE4EjNS0_10empty_typeEbEEZZNS1_14partition_implILS8_4ELb0ES6_15HIP_vector_typeIjLj2EENS0_17counting_iteratorIjlEEPS9_SG_NS0_5tupleIJPjSI_NS0_16reverse_iteratorISI_EEEEENSH_IJSG_SG_SG_EEES9_SI_JZNS1_25segmented_radix_sort_implINS0_14default_configELb1EPKbPbPKlPlN2at6native12_GLOBAL__N_18offset_tEEE10hipError_tPvRmT1_PNSt15iterator_traitsIS12_E10value_typeET2_T3_PNS13_IS18_E10value_typeET4_jRbjT5_S1E_jjP12ihipStream_tbEUljE_ZNSN_ISO_Lb1ESQ_SR_ST_SU_SY_EESZ_S10_S11_S12_S16_S17_S18_S1B_S1C_jS1D_jS1E_S1E_jjS1G_bEUljE0_EEESZ_S10_S11_S18_S1C_S1E_T6_T7_T9_mT8_S1G_bDpT10_ENKUlT_T0_E_clISt17integral_constantIbLb0EES1U_EEDaS1P_S1Q_EUlS1P_E_NS1_11comp_targetILNS1_3genE0ELNS1_11target_archE4294967295ELNS1_3gpuE0ELNS1_3repE0EEENS1_30default_config_static_selectorELNS0_4arch9wavefront6targetE0EEEvS12_
	.p2align	8
	.type	_ZN7rocprim17ROCPRIM_400000_NS6detail17trampoline_kernelINS0_13select_configILj256ELj13ELNS0_17block_load_methodE3ELS4_3ELS4_3ELNS0_20block_scan_algorithmE0ELj4294967295EEENS1_25partition_config_selectorILNS1_17partition_subalgoE4EjNS0_10empty_typeEbEEZZNS1_14partition_implILS8_4ELb0ES6_15HIP_vector_typeIjLj2EENS0_17counting_iteratorIjlEEPS9_SG_NS0_5tupleIJPjSI_NS0_16reverse_iteratorISI_EEEEENSH_IJSG_SG_SG_EEES9_SI_JZNS1_25segmented_radix_sort_implINS0_14default_configELb1EPKbPbPKlPlN2at6native12_GLOBAL__N_18offset_tEEE10hipError_tPvRmT1_PNSt15iterator_traitsIS12_E10value_typeET2_T3_PNS13_IS18_E10value_typeET4_jRbjT5_S1E_jjP12ihipStream_tbEUljE_ZNSN_ISO_Lb1ESQ_SR_ST_SU_SY_EESZ_S10_S11_S12_S16_S17_S18_S1B_S1C_jS1D_jS1E_S1E_jjS1G_bEUljE0_EEESZ_S10_S11_S18_S1C_S1E_T6_T7_T9_mT8_S1G_bDpT10_ENKUlT_T0_E_clISt17integral_constantIbLb0EES1U_EEDaS1P_S1Q_EUlS1P_E_NS1_11comp_targetILNS1_3genE0ELNS1_11target_archE4294967295ELNS1_3gpuE0ELNS1_3repE0EEENS1_30default_config_static_selectorELNS0_4arch9wavefront6targetE0EEEvS12_,@function
_ZN7rocprim17ROCPRIM_400000_NS6detail17trampoline_kernelINS0_13select_configILj256ELj13ELNS0_17block_load_methodE3ELS4_3ELS4_3ELNS0_20block_scan_algorithmE0ELj4294967295EEENS1_25partition_config_selectorILNS1_17partition_subalgoE4EjNS0_10empty_typeEbEEZZNS1_14partition_implILS8_4ELb0ES6_15HIP_vector_typeIjLj2EENS0_17counting_iteratorIjlEEPS9_SG_NS0_5tupleIJPjSI_NS0_16reverse_iteratorISI_EEEEENSH_IJSG_SG_SG_EEES9_SI_JZNS1_25segmented_radix_sort_implINS0_14default_configELb1EPKbPbPKlPlN2at6native12_GLOBAL__N_18offset_tEEE10hipError_tPvRmT1_PNSt15iterator_traitsIS12_E10value_typeET2_T3_PNS13_IS18_E10value_typeET4_jRbjT5_S1E_jjP12ihipStream_tbEUljE_ZNSN_ISO_Lb1ESQ_SR_ST_SU_SY_EESZ_S10_S11_S12_S16_S17_S18_S1B_S1C_jS1D_jS1E_S1E_jjS1G_bEUljE0_EEESZ_S10_S11_S18_S1C_S1E_T6_T7_T9_mT8_S1G_bDpT10_ENKUlT_T0_E_clISt17integral_constantIbLb0EES1U_EEDaS1P_S1Q_EUlS1P_E_NS1_11comp_targetILNS1_3genE0ELNS1_11target_archE4294967295ELNS1_3gpuE0ELNS1_3repE0EEENS1_30default_config_static_selectorELNS0_4arch9wavefront6targetE0EEEvS12_: ; @_ZN7rocprim17ROCPRIM_400000_NS6detail17trampoline_kernelINS0_13select_configILj256ELj13ELNS0_17block_load_methodE3ELS4_3ELS4_3ELNS0_20block_scan_algorithmE0ELj4294967295EEENS1_25partition_config_selectorILNS1_17partition_subalgoE4EjNS0_10empty_typeEbEEZZNS1_14partition_implILS8_4ELb0ES6_15HIP_vector_typeIjLj2EENS0_17counting_iteratorIjlEEPS9_SG_NS0_5tupleIJPjSI_NS0_16reverse_iteratorISI_EEEEENSH_IJSG_SG_SG_EEES9_SI_JZNS1_25segmented_radix_sort_implINS0_14default_configELb1EPKbPbPKlPlN2at6native12_GLOBAL__N_18offset_tEEE10hipError_tPvRmT1_PNSt15iterator_traitsIS12_E10value_typeET2_T3_PNS13_IS18_E10value_typeET4_jRbjT5_S1E_jjP12ihipStream_tbEUljE_ZNSN_ISO_Lb1ESQ_SR_ST_SU_SY_EESZ_S10_S11_S12_S16_S17_S18_S1B_S1C_jS1D_jS1E_S1E_jjS1G_bEUljE0_EEESZ_S10_S11_S18_S1C_S1E_T6_T7_T9_mT8_S1G_bDpT10_ENKUlT_T0_E_clISt17integral_constantIbLb0EES1U_EEDaS1P_S1Q_EUlS1P_E_NS1_11comp_targetILNS1_3genE0ELNS1_11target_archE4294967295ELNS1_3gpuE0ELNS1_3repE0EEENS1_30default_config_static_selectorELNS0_4arch9wavefront6targetE0EEEvS12_
; %bb.0:
	.section	.rodata,"a",@progbits
	.p2align	6, 0x0
	.amdhsa_kernel _ZN7rocprim17ROCPRIM_400000_NS6detail17trampoline_kernelINS0_13select_configILj256ELj13ELNS0_17block_load_methodE3ELS4_3ELS4_3ELNS0_20block_scan_algorithmE0ELj4294967295EEENS1_25partition_config_selectorILNS1_17partition_subalgoE4EjNS0_10empty_typeEbEEZZNS1_14partition_implILS8_4ELb0ES6_15HIP_vector_typeIjLj2EENS0_17counting_iteratorIjlEEPS9_SG_NS0_5tupleIJPjSI_NS0_16reverse_iteratorISI_EEEEENSH_IJSG_SG_SG_EEES9_SI_JZNS1_25segmented_radix_sort_implINS0_14default_configELb1EPKbPbPKlPlN2at6native12_GLOBAL__N_18offset_tEEE10hipError_tPvRmT1_PNSt15iterator_traitsIS12_E10value_typeET2_T3_PNS13_IS18_E10value_typeET4_jRbjT5_S1E_jjP12ihipStream_tbEUljE_ZNSN_ISO_Lb1ESQ_SR_ST_SU_SY_EESZ_S10_S11_S12_S16_S17_S18_S1B_S1C_jS1D_jS1E_S1E_jjS1G_bEUljE0_EEESZ_S10_S11_S18_S1C_S1E_T6_T7_T9_mT8_S1G_bDpT10_ENKUlT_T0_E_clISt17integral_constantIbLb0EES1U_EEDaS1P_S1Q_EUlS1P_E_NS1_11comp_targetILNS1_3genE0ELNS1_11target_archE4294967295ELNS1_3gpuE0ELNS1_3repE0EEENS1_30default_config_static_selectorELNS0_4arch9wavefront6targetE0EEEvS12_
		.amdhsa_group_segment_fixed_size 0
		.amdhsa_private_segment_fixed_size 0
		.amdhsa_kernarg_size 176
		.amdhsa_user_sgpr_count 6
		.amdhsa_user_sgpr_private_segment_buffer 1
		.amdhsa_user_sgpr_dispatch_ptr 0
		.amdhsa_user_sgpr_queue_ptr 0
		.amdhsa_user_sgpr_kernarg_segment_ptr 1
		.amdhsa_user_sgpr_dispatch_id 0
		.amdhsa_user_sgpr_flat_scratch_init 0
		.amdhsa_user_sgpr_private_segment_size 0
		.amdhsa_wavefront_size32 1
		.amdhsa_uses_dynamic_stack 0
		.amdhsa_system_sgpr_private_segment_wavefront_offset 0
		.amdhsa_system_sgpr_workgroup_id_x 1
		.amdhsa_system_sgpr_workgroup_id_y 0
		.amdhsa_system_sgpr_workgroup_id_z 0
		.amdhsa_system_sgpr_workgroup_info 0
		.amdhsa_system_vgpr_workitem_id 0
		.amdhsa_next_free_vgpr 1
		.amdhsa_next_free_sgpr 1
		.amdhsa_reserve_vcc 0
		.amdhsa_reserve_flat_scratch 0
		.amdhsa_float_round_mode_32 0
		.amdhsa_float_round_mode_16_64 0
		.amdhsa_float_denorm_mode_32 3
		.amdhsa_float_denorm_mode_16_64 3
		.amdhsa_dx10_clamp 1
		.amdhsa_ieee_mode 1
		.amdhsa_fp16_overflow 0
		.amdhsa_workgroup_processor_mode 1
		.amdhsa_memory_ordered 1
		.amdhsa_forward_progress 1
		.amdhsa_shared_vgpr_count 0
		.amdhsa_exception_fp_ieee_invalid_op 0
		.amdhsa_exception_fp_denorm_src 0
		.amdhsa_exception_fp_ieee_div_zero 0
		.amdhsa_exception_fp_ieee_overflow 0
		.amdhsa_exception_fp_ieee_underflow 0
		.amdhsa_exception_fp_ieee_inexact 0
		.amdhsa_exception_int_div_zero 0
	.end_amdhsa_kernel
	.section	.text._ZN7rocprim17ROCPRIM_400000_NS6detail17trampoline_kernelINS0_13select_configILj256ELj13ELNS0_17block_load_methodE3ELS4_3ELS4_3ELNS0_20block_scan_algorithmE0ELj4294967295EEENS1_25partition_config_selectorILNS1_17partition_subalgoE4EjNS0_10empty_typeEbEEZZNS1_14partition_implILS8_4ELb0ES6_15HIP_vector_typeIjLj2EENS0_17counting_iteratorIjlEEPS9_SG_NS0_5tupleIJPjSI_NS0_16reverse_iteratorISI_EEEEENSH_IJSG_SG_SG_EEES9_SI_JZNS1_25segmented_radix_sort_implINS0_14default_configELb1EPKbPbPKlPlN2at6native12_GLOBAL__N_18offset_tEEE10hipError_tPvRmT1_PNSt15iterator_traitsIS12_E10value_typeET2_T3_PNS13_IS18_E10value_typeET4_jRbjT5_S1E_jjP12ihipStream_tbEUljE_ZNSN_ISO_Lb1ESQ_SR_ST_SU_SY_EESZ_S10_S11_S12_S16_S17_S18_S1B_S1C_jS1D_jS1E_S1E_jjS1G_bEUljE0_EEESZ_S10_S11_S18_S1C_S1E_T6_T7_T9_mT8_S1G_bDpT10_ENKUlT_T0_E_clISt17integral_constantIbLb0EES1U_EEDaS1P_S1Q_EUlS1P_E_NS1_11comp_targetILNS1_3genE0ELNS1_11target_archE4294967295ELNS1_3gpuE0ELNS1_3repE0EEENS1_30default_config_static_selectorELNS0_4arch9wavefront6targetE0EEEvS12_,"axG",@progbits,_ZN7rocprim17ROCPRIM_400000_NS6detail17trampoline_kernelINS0_13select_configILj256ELj13ELNS0_17block_load_methodE3ELS4_3ELS4_3ELNS0_20block_scan_algorithmE0ELj4294967295EEENS1_25partition_config_selectorILNS1_17partition_subalgoE4EjNS0_10empty_typeEbEEZZNS1_14partition_implILS8_4ELb0ES6_15HIP_vector_typeIjLj2EENS0_17counting_iteratorIjlEEPS9_SG_NS0_5tupleIJPjSI_NS0_16reverse_iteratorISI_EEEEENSH_IJSG_SG_SG_EEES9_SI_JZNS1_25segmented_radix_sort_implINS0_14default_configELb1EPKbPbPKlPlN2at6native12_GLOBAL__N_18offset_tEEE10hipError_tPvRmT1_PNSt15iterator_traitsIS12_E10value_typeET2_T3_PNS13_IS18_E10value_typeET4_jRbjT5_S1E_jjP12ihipStream_tbEUljE_ZNSN_ISO_Lb1ESQ_SR_ST_SU_SY_EESZ_S10_S11_S12_S16_S17_S18_S1B_S1C_jS1D_jS1E_S1E_jjS1G_bEUljE0_EEESZ_S10_S11_S18_S1C_S1E_T6_T7_T9_mT8_S1G_bDpT10_ENKUlT_T0_E_clISt17integral_constantIbLb0EES1U_EEDaS1P_S1Q_EUlS1P_E_NS1_11comp_targetILNS1_3genE0ELNS1_11target_archE4294967295ELNS1_3gpuE0ELNS1_3repE0EEENS1_30default_config_static_selectorELNS0_4arch9wavefront6targetE0EEEvS12_,comdat
.Lfunc_end1460:
	.size	_ZN7rocprim17ROCPRIM_400000_NS6detail17trampoline_kernelINS0_13select_configILj256ELj13ELNS0_17block_load_methodE3ELS4_3ELS4_3ELNS0_20block_scan_algorithmE0ELj4294967295EEENS1_25partition_config_selectorILNS1_17partition_subalgoE4EjNS0_10empty_typeEbEEZZNS1_14partition_implILS8_4ELb0ES6_15HIP_vector_typeIjLj2EENS0_17counting_iteratorIjlEEPS9_SG_NS0_5tupleIJPjSI_NS0_16reverse_iteratorISI_EEEEENSH_IJSG_SG_SG_EEES9_SI_JZNS1_25segmented_radix_sort_implINS0_14default_configELb1EPKbPbPKlPlN2at6native12_GLOBAL__N_18offset_tEEE10hipError_tPvRmT1_PNSt15iterator_traitsIS12_E10value_typeET2_T3_PNS13_IS18_E10value_typeET4_jRbjT5_S1E_jjP12ihipStream_tbEUljE_ZNSN_ISO_Lb1ESQ_SR_ST_SU_SY_EESZ_S10_S11_S12_S16_S17_S18_S1B_S1C_jS1D_jS1E_S1E_jjS1G_bEUljE0_EEESZ_S10_S11_S18_S1C_S1E_T6_T7_T9_mT8_S1G_bDpT10_ENKUlT_T0_E_clISt17integral_constantIbLb0EES1U_EEDaS1P_S1Q_EUlS1P_E_NS1_11comp_targetILNS1_3genE0ELNS1_11target_archE4294967295ELNS1_3gpuE0ELNS1_3repE0EEENS1_30default_config_static_selectorELNS0_4arch9wavefront6targetE0EEEvS12_, .Lfunc_end1460-_ZN7rocprim17ROCPRIM_400000_NS6detail17trampoline_kernelINS0_13select_configILj256ELj13ELNS0_17block_load_methodE3ELS4_3ELS4_3ELNS0_20block_scan_algorithmE0ELj4294967295EEENS1_25partition_config_selectorILNS1_17partition_subalgoE4EjNS0_10empty_typeEbEEZZNS1_14partition_implILS8_4ELb0ES6_15HIP_vector_typeIjLj2EENS0_17counting_iteratorIjlEEPS9_SG_NS0_5tupleIJPjSI_NS0_16reverse_iteratorISI_EEEEENSH_IJSG_SG_SG_EEES9_SI_JZNS1_25segmented_radix_sort_implINS0_14default_configELb1EPKbPbPKlPlN2at6native12_GLOBAL__N_18offset_tEEE10hipError_tPvRmT1_PNSt15iterator_traitsIS12_E10value_typeET2_T3_PNS13_IS18_E10value_typeET4_jRbjT5_S1E_jjP12ihipStream_tbEUljE_ZNSN_ISO_Lb1ESQ_SR_ST_SU_SY_EESZ_S10_S11_S12_S16_S17_S18_S1B_S1C_jS1D_jS1E_S1E_jjS1G_bEUljE0_EEESZ_S10_S11_S18_S1C_S1E_T6_T7_T9_mT8_S1G_bDpT10_ENKUlT_T0_E_clISt17integral_constantIbLb0EES1U_EEDaS1P_S1Q_EUlS1P_E_NS1_11comp_targetILNS1_3genE0ELNS1_11target_archE4294967295ELNS1_3gpuE0ELNS1_3repE0EEENS1_30default_config_static_selectorELNS0_4arch9wavefront6targetE0EEEvS12_
                                        ; -- End function
	.set _ZN7rocprim17ROCPRIM_400000_NS6detail17trampoline_kernelINS0_13select_configILj256ELj13ELNS0_17block_load_methodE3ELS4_3ELS4_3ELNS0_20block_scan_algorithmE0ELj4294967295EEENS1_25partition_config_selectorILNS1_17partition_subalgoE4EjNS0_10empty_typeEbEEZZNS1_14partition_implILS8_4ELb0ES6_15HIP_vector_typeIjLj2EENS0_17counting_iteratorIjlEEPS9_SG_NS0_5tupleIJPjSI_NS0_16reverse_iteratorISI_EEEEENSH_IJSG_SG_SG_EEES9_SI_JZNS1_25segmented_radix_sort_implINS0_14default_configELb1EPKbPbPKlPlN2at6native12_GLOBAL__N_18offset_tEEE10hipError_tPvRmT1_PNSt15iterator_traitsIS12_E10value_typeET2_T3_PNS13_IS18_E10value_typeET4_jRbjT5_S1E_jjP12ihipStream_tbEUljE_ZNSN_ISO_Lb1ESQ_SR_ST_SU_SY_EESZ_S10_S11_S12_S16_S17_S18_S1B_S1C_jS1D_jS1E_S1E_jjS1G_bEUljE0_EEESZ_S10_S11_S18_S1C_S1E_T6_T7_T9_mT8_S1G_bDpT10_ENKUlT_T0_E_clISt17integral_constantIbLb0EES1U_EEDaS1P_S1Q_EUlS1P_E_NS1_11comp_targetILNS1_3genE0ELNS1_11target_archE4294967295ELNS1_3gpuE0ELNS1_3repE0EEENS1_30default_config_static_selectorELNS0_4arch9wavefront6targetE0EEEvS12_.num_vgpr, 0
	.set _ZN7rocprim17ROCPRIM_400000_NS6detail17trampoline_kernelINS0_13select_configILj256ELj13ELNS0_17block_load_methodE3ELS4_3ELS4_3ELNS0_20block_scan_algorithmE0ELj4294967295EEENS1_25partition_config_selectorILNS1_17partition_subalgoE4EjNS0_10empty_typeEbEEZZNS1_14partition_implILS8_4ELb0ES6_15HIP_vector_typeIjLj2EENS0_17counting_iteratorIjlEEPS9_SG_NS0_5tupleIJPjSI_NS0_16reverse_iteratorISI_EEEEENSH_IJSG_SG_SG_EEES9_SI_JZNS1_25segmented_radix_sort_implINS0_14default_configELb1EPKbPbPKlPlN2at6native12_GLOBAL__N_18offset_tEEE10hipError_tPvRmT1_PNSt15iterator_traitsIS12_E10value_typeET2_T3_PNS13_IS18_E10value_typeET4_jRbjT5_S1E_jjP12ihipStream_tbEUljE_ZNSN_ISO_Lb1ESQ_SR_ST_SU_SY_EESZ_S10_S11_S12_S16_S17_S18_S1B_S1C_jS1D_jS1E_S1E_jjS1G_bEUljE0_EEESZ_S10_S11_S18_S1C_S1E_T6_T7_T9_mT8_S1G_bDpT10_ENKUlT_T0_E_clISt17integral_constantIbLb0EES1U_EEDaS1P_S1Q_EUlS1P_E_NS1_11comp_targetILNS1_3genE0ELNS1_11target_archE4294967295ELNS1_3gpuE0ELNS1_3repE0EEENS1_30default_config_static_selectorELNS0_4arch9wavefront6targetE0EEEvS12_.num_agpr, 0
	.set _ZN7rocprim17ROCPRIM_400000_NS6detail17trampoline_kernelINS0_13select_configILj256ELj13ELNS0_17block_load_methodE3ELS4_3ELS4_3ELNS0_20block_scan_algorithmE0ELj4294967295EEENS1_25partition_config_selectorILNS1_17partition_subalgoE4EjNS0_10empty_typeEbEEZZNS1_14partition_implILS8_4ELb0ES6_15HIP_vector_typeIjLj2EENS0_17counting_iteratorIjlEEPS9_SG_NS0_5tupleIJPjSI_NS0_16reverse_iteratorISI_EEEEENSH_IJSG_SG_SG_EEES9_SI_JZNS1_25segmented_radix_sort_implINS0_14default_configELb1EPKbPbPKlPlN2at6native12_GLOBAL__N_18offset_tEEE10hipError_tPvRmT1_PNSt15iterator_traitsIS12_E10value_typeET2_T3_PNS13_IS18_E10value_typeET4_jRbjT5_S1E_jjP12ihipStream_tbEUljE_ZNSN_ISO_Lb1ESQ_SR_ST_SU_SY_EESZ_S10_S11_S12_S16_S17_S18_S1B_S1C_jS1D_jS1E_S1E_jjS1G_bEUljE0_EEESZ_S10_S11_S18_S1C_S1E_T6_T7_T9_mT8_S1G_bDpT10_ENKUlT_T0_E_clISt17integral_constantIbLb0EES1U_EEDaS1P_S1Q_EUlS1P_E_NS1_11comp_targetILNS1_3genE0ELNS1_11target_archE4294967295ELNS1_3gpuE0ELNS1_3repE0EEENS1_30default_config_static_selectorELNS0_4arch9wavefront6targetE0EEEvS12_.numbered_sgpr, 0
	.set _ZN7rocprim17ROCPRIM_400000_NS6detail17trampoline_kernelINS0_13select_configILj256ELj13ELNS0_17block_load_methodE3ELS4_3ELS4_3ELNS0_20block_scan_algorithmE0ELj4294967295EEENS1_25partition_config_selectorILNS1_17partition_subalgoE4EjNS0_10empty_typeEbEEZZNS1_14partition_implILS8_4ELb0ES6_15HIP_vector_typeIjLj2EENS0_17counting_iteratorIjlEEPS9_SG_NS0_5tupleIJPjSI_NS0_16reverse_iteratorISI_EEEEENSH_IJSG_SG_SG_EEES9_SI_JZNS1_25segmented_radix_sort_implINS0_14default_configELb1EPKbPbPKlPlN2at6native12_GLOBAL__N_18offset_tEEE10hipError_tPvRmT1_PNSt15iterator_traitsIS12_E10value_typeET2_T3_PNS13_IS18_E10value_typeET4_jRbjT5_S1E_jjP12ihipStream_tbEUljE_ZNSN_ISO_Lb1ESQ_SR_ST_SU_SY_EESZ_S10_S11_S12_S16_S17_S18_S1B_S1C_jS1D_jS1E_S1E_jjS1G_bEUljE0_EEESZ_S10_S11_S18_S1C_S1E_T6_T7_T9_mT8_S1G_bDpT10_ENKUlT_T0_E_clISt17integral_constantIbLb0EES1U_EEDaS1P_S1Q_EUlS1P_E_NS1_11comp_targetILNS1_3genE0ELNS1_11target_archE4294967295ELNS1_3gpuE0ELNS1_3repE0EEENS1_30default_config_static_selectorELNS0_4arch9wavefront6targetE0EEEvS12_.num_named_barrier, 0
	.set _ZN7rocprim17ROCPRIM_400000_NS6detail17trampoline_kernelINS0_13select_configILj256ELj13ELNS0_17block_load_methodE3ELS4_3ELS4_3ELNS0_20block_scan_algorithmE0ELj4294967295EEENS1_25partition_config_selectorILNS1_17partition_subalgoE4EjNS0_10empty_typeEbEEZZNS1_14partition_implILS8_4ELb0ES6_15HIP_vector_typeIjLj2EENS0_17counting_iteratorIjlEEPS9_SG_NS0_5tupleIJPjSI_NS0_16reverse_iteratorISI_EEEEENSH_IJSG_SG_SG_EEES9_SI_JZNS1_25segmented_radix_sort_implINS0_14default_configELb1EPKbPbPKlPlN2at6native12_GLOBAL__N_18offset_tEEE10hipError_tPvRmT1_PNSt15iterator_traitsIS12_E10value_typeET2_T3_PNS13_IS18_E10value_typeET4_jRbjT5_S1E_jjP12ihipStream_tbEUljE_ZNSN_ISO_Lb1ESQ_SR_ST_SU_SY_EESZ_S10_S11_S12_S16_S17_S18_S1B_S1C_jS1D_jS1E_S1E_jjS1G_bEUljE0_EEESZ_S10_S11_S18_S1C_S1E_T6_T7_T9_mT8_S1G_bDpT10_ENKUlT_T0_E_clISt17integral_constantIbLb0EES1U_EEDaS1P_S1Q_EUlS1P_E_NS1_11comp_targetILNS1_3genE0ELNS1_11target_archE4294967295ELNS1_3gpuE0ELNS1_3repE0EEENS1_30default_config_static_selectorELNS0_4arch9wavefront6targetE0EEEvS12_.private_seg_size, 0
	.set _ZN7rocprim17ROCPRIM_400000_NS6detail17trampoline_kernelINS0_13select_configILj256ELj13ELNS0_17block_load_methodE3ELS4_3ELS4_3ELNS0_20block_scan_algorithmE0ELj4294967295EEENS1_25partition_config_selectorILNS1_17partition_subalgoE4EjNS0_10empty_typeEbEEZZNS1_14partition_implILS8_4ELb0ES6_15HIP_vector_typeIjLj2EENS0_17counting_iteratorIjlEEPS9_SG_NS0_5tupleIJPjSI_NS0_16reverse_iteratorISI_EEEEENSH_IJSG_SG_SG_EEES9_SI_JZNS1_25segmented_radix_sort_implINS0_14default_configELb1EPKbPbPKlPlN2at6native12_GLOBAL__N_18offset_tEEE10hipError_tPvRmT1_PNSt15iterator_traitsIS12_E10value_typeET2_T3_PNS13_IS18_E10value_typeET4_jRbjT5_S1E_jjP12ihipStream_tbEUljE_ZNSN_ISO_Lb1ESQ_SR_ST_SU_SY_EESZ_S10_S11_S12_S16_S17_S18_S1B_S1C_jS1D_jS1E_S1E_jjS1G_bEUljE0_EEESZ_S10_S11_S18_S1C_S1E_T6_T7_T9_mT8_S1G_bDpT10_ENKUlT_T0_E_clISt17integral_constantIbLb0EES1U_EEDaS1P_S1Q_EUlS1P_E_NS1_11comp_targetILNS1_3genE0ELNS1_11target_archE4294967295ELNS1_3gpuE0ELNS1_3repE0EEENS1_30default_config_static_selectorELNS0_4arch9wavefront6targetE0EEEvS12_.uses_vcc, 0
	.set _ZN7rocprim17ROCPRIM_400000_NS6detail17trampoline_kernelINS0_13select_configILj256ELj13ELNS0_17block_load_methodE3ELS4_3ELS4_3ELNS0_20block_scan_algorithmE0ELj4294967295EEENS1_25partition_config_selectorILNS1_17partition_subalgoE4EjNS0_10empty_typeEbEEZZNS1_14partition_implILS8_4ELb0ES6_15HIP_vector_typeIjLj2EENS0_17counting_iteratorIjlEEPS9_SG_NS0_5tupleIJPjSI_NS0_16reverse_iteratorISI_EEEEENSH_IJSG_SG_SG_EEES9_SI_JZNS1_25segmented_radix_sort_implINS0_14default_configELb1EPKbPbPKlPlN2at6native12_GLOBAL__N_18offset_tEEE10hipError_tPvRmT1_PNSt15iterator_traitsIS12_E10value_typeET2_T3_PNS13_IS18_E10value_typeET4_jRbjT5_S1E_jjP12ihipStream_tbEUljE_ZNSN_ISO_Lb1ESQ_SR_ST_SU_SY_EESZ_S10_S11_S12_S16_S17_S18_S1B_S1C_jS1D_jS1E_S1E_jjS1G_bEUljE0_EEESZ_S10_S11_S18_S1C_S1E_T6_T7_T9_mT8_S1G_bDpT10_ENKUlT_T0_E_clISt17integral_constantIbLb0EES1U_EEDaS1P_S1Q_EUlS1P_E_NS1_11comp_targetILNS1_3genE0ELNS1_11target_archE4294967295ELNS1_3gpuE0ELNS1_3repE0EEENS1_30default_config_static_selectorELNS0_4arch9wavefront6targetE0EEEvS12_.uses_flat_scratch, 0
	.set _ZN7rocprim17ROCPRIM_400000_NS6detail17trampoline_kernelINS0_13select_configILj256ELj13ELNS0_17block_load_methodE3ELS4_3ELS4_3ELNS0_20block_scan_algorithmE0ELj4294967295EEENS1_25partition_config_selectorILNS1_17partition_subalgoE4EjNS0_10empty_typeEbEEZZNS1_14partition_implILS8_4ELb0ES6_15HIP_vector_typeIjLj2EENS0_17counting_iteratorIjlEEPS9_SG_NS0_5tupleIJPjSI_NS0_16reverse_iteratorISI_EEEEENSH_IJSG_SG_SG_EEES9_SI_JZNS1_25segmented_radix_sort_implINS0_14default_configELb1EPKbPbPKlPlN2at6native12_GLOBAL__N_18offset_tEEE10hipError_tPvRmT1_PNSt15iterator_traitsIS12_E10value_typeET2_T3_PNS13_IS18_E10value_typeET4_jRbjT5_S1E_jjP12ihipStream_tbEUljE_ZNSN_ISO_Lb1ESQ_SR_ST_SU_SY_EESZ_S10_S11_S12_S16_S17_S18_S1B_S1C_jS1D_jS1E_S1E_jjS1G_bEUljE0_EEESZ_S10_S11_S18_S1C_S1E_T6_T7_T9_mT8_S1G_bDpT10_ENKUlT_T0_E_clISt17integral_constantIbLb0EES1U_EEDaS1P_S1Q_EUlS1P_E_NS1_11comp_targetILNS1_3genE0ELNS1_11target_archE4294967295ELNS1_3gpuE0ELNS1_3repE0EEENS1_30default_config_static_selectorELNS0_4arch9wavefront6targetE0EEEvS12_.has_dyn_sized_stack, 0
	.set _ZN7rocprim17ROCPRIM_400000_NS6detail17trampoline_kernelINS0_13select_configILj256ELj13ELNS0_17block_load_methodE3ELS4_3ELS4_3ELNS0_20block_scan_algorithmE0ELj4294967295EEENS1_25partition_config_selectorILNS1_17partition_subalgoE4EjNS0_10empty_typeEbEEZZNS1_14partition_implILS8_4ELb0ES6_15HIP_vector_typeIjLj2EENS0_17counting_iteratorIjlEEPS9_SG_NS0_5tupleIJPjSI_NS0_16reverse_iteratorISI_EEEEENSH_IJSG_SG_SG_EEES9_SI_JZNS1_25segmented_radix_sort_implINS0_14default_configELb1EPKbPbPKlPlN2at6native12_GLOBAL__N_18offset_tEEE10hipError_tPvRmT1_PNSt15iterator_traitsIS12_E10value_typeET2_T3_PNS13_IS18_E10value_typeET4_jRbjT5_S1E_jjP12ihipStream_tbEUljE_ZNSN_ISO_Lb1ESQ_SR_ST_SU_SY_EESZ_S10_S11_S12_S16_S17_S18_S1B_S1C_jS1D_jS1E_S1E_jjS1G_bEUljE0_EEESZ_S10_S11_S18_S1C_S1E_T6_T7_T9_mT8_S1G_bDpT10_ENKUlT_T0_E_clISt17integral_constantIbLb0EES1U_EEDaS1P_S1Q_EUlS1P_E_NS1_11comp_targetILNS1_3genE0ELNS1_11target_archE4294967295ELNS1_3gpuE0ELNS1_3repE0EEENS1_30default_config_static_selectorELNS0_4arch9wavefront6targetE0EEEvS12_.has_recursion, 0
	.set _ZN7rocprim17ROCPRIM_400000_NS6detail17trampoline_kernelINS0_13select_configILj256ELj13ELNS0_17block_load_methodE3ELS4_3ELS4_3ELNS0_20block_scan_algorithmE0ELj4294967295EEENS1_25partition_config_selectorILNS1_17partition_subalgoE4EjNS0_10empty_typeEbEEZZNS1_14partition_implILS8_4ELb0ES6_15HIP_vector_typeIjLj2EENS0_17counting_iteratorIjlEEPS9_SG_NS0_5tupleIJPjSI_NS0_16reverse_iteratorISI_EEEEENSH_IJSG_SG_SG_EEES9_SI_JZNS1_25segmented_radix_sort_implINS0_14default_configELb1EPKbPbPKlPlN2at6native12_GLOBAL__N_18offset_tEEE10hipError_tPvRmT1_PNSt15iterator_traitsIS12_E10value_typeET2_T3_PNS13_IS18_E10value_typeET4_jRbjT5_S1E_jjP12ihipStream_tbEUljE_ZNSN_ISO_Lb1ESQ_SR_ST_SU_SY_EESZ_S10_S11_S12_S16_S17_S18_S1B_S1C_jS1D_jS1E_S1E_jjS1G_bEUljE0_EEESZ_S10_S11_S18_S1C_S1E_T6_T7_T9_mT8_S1G_bDpT10_ENKUlT_T0_E_clISt17integral_constantIbLb0EES1U_EEDaS1P_S1Q_EUlS1P_E_NS1_11comp_targetILNS1_3genE0ELNS1_11target_archE4294967295ELNS1_3gpuE0ELNS1_3repE0EEENS1_30default_config_static_selectorELNS0_4arch9wavefront6targetE0EEEvS12_.has_indirect_call, 0
	.section	.AMDGPU.csdata,"",@progbits
; Kernel info:
; codeLenInByte = 0
; TotalNumSgprs: 0
; NumVgprs: 0
; ScratchSize: 0
; MemoryBound: 0
; FloatMode: 240
; IeeeMode: 1
; LDSByteSize: 0 bytes/workgroup (compile time only)
; SGPRBlocks: 0
; VGPRBlocks: 0
; NumSGPRsForWavesPerEU: 1
; NumVGPRsForWavesPerEU: 1
; Occupancy: 16
; WaveLimiterHint : 0
; COMPUTE_PGM_RSRC2:SCRATCH_EN: 0
; COMPUTE_PGM_RSRC2:USER_SGPR: 6
; COMPUTE_PGM_RSRC2:TRAP_HANDLER: 0
; COMPUTE_PGM_RSRC2:TGID_X_EN: 1
; COMPUTE_PGM_RSRC2:TGID_Y_EN: 0
; COMPUTE_PGM_RSRC2:TGID_Z_EN: 0
; COMPUTE_PGM_RSRC2:TIDIG_COMP_CNT: 0
	.section	.text._ZN7rocprim17ROCPRIM_400000_NS6detail17trampoline_kernelINS0_13select_configILj256ELj13ELNS0_17block_load_methodE3ELS4_3ELS4_3ELNS0_20block_scan_algorithmE0ELj4294967295EEENS1_25partition_config_selectorILNS1_17partition_subalgoE4EjNS0_10empty_typeEbEEZZNS1_14partition_implILS8_4ELb0ES6_15HIP_vector_typeIjLj2EENS0_17counting_iteratorIjlEEPS9_SG_NS0_5tupleIJPjSI_NS0_16reverse_iteratorISI_EEEEENSH_IJSG_SG_SG_EEES9_SI_JZNS1_25segmented_radix_sort_implINS0_14default_configELb1EPKbPbPKlPlN2at6native12_GLOBAL__N_18offset_tEEE10hipError_tPvRmT1_PNSt15iterator_traitsIS12_E10value_typeET2_T3_PNS13_IS18_E10value_typeET4_jRbjT5_S1E_jjP12ihipStream_tbEUljE_ZNSN_ISO_Lb1ESQ_SR_ST_SU_SY_EESZ_S10_S11_S12_S16_S17_S18_S1B_S1C_jS1D_jS1E_S1E_jjS1G_bEUljE0_EEESZ_S10_S11_S18_S1C_S1E_T6_T7_T9_mT8_S1G_bDpT10_ENKUlT_T0_E_clISt17integral_constantIbLb0EES1U_EEDaS1P_S1Q_EUlS1P_E_NS1_11comp_targetILNS1_3genE5ELNS1_11target_archE942ELNS1_3gpuE9ELNS1_3repE0EEENS1_30default_config_static_selectorELNS0_4arch9wavefront6targetE0EEEvS12_,"axG",@progbits,_ZN7rocprim17ROCPRIM_400000_NS6detail17trampoline_kernelINS0_13select_configILj256ELj13ELNS0_17block_load_methodE3ELS4_3ELS4_3ELNS0_20block_scan_algorithmE0ELj4294967295EEENS1_25partition_config_selectorILNS1_17partition_subalgoE4EjNS0_10empty_typeEbEEZZNS1_14partition_implILS8_4ELb0ES6_15HIP_vector_typeIjLj2EENS0_17counting_iteratorIjlEEPS9_SG_NS0_5tupleIJPjSI_NS0_16reverse_iteratorISI_EEEEENSH_IJSG_SG_SG_EEES9_SI_JZNS1_25segmented_radix_sort_implINS0_14default_configELb1EPKbPbPKlPlN2at6native12_GLOBAL__N_18offset_tEEE10hipError_tPvRmT1_PNSt15iterator_traitsIS12_E10value_typeET2_T3_PNS13_IS18_E10value_typeET4_jRbjT5_S1E_jjP12ihipStream_tbEUljE_ZNSN_ISO_Lb1ESQ_SR_ST_SU_SY_EESZ_S10_S11_S12_S16_S17_S18_S1B_S1C_jS1D_jS1E_S1E_jjS1G_bEUljE0_EEESZ_S10_S11_S18_S1C_S1E_T6_T7_T9_mT8_S1G_bDpT10_ENKUlT_T0_E_clISt17integral_constantIbLb0EES1U_EEDaS1P_S1Q_EUlS1P_E_NS1_11comp_targetILNS1_3genE5ELNS1_11target_archE942ELNS1_3gpuE9ELNS1_3repE0EEENS1_30default_config_static_selectorELNS0_4arch9wavefront6targetE0EEEvS12_,comdat
	.globl	_ZN7rocprim17ROCPRIM_400000_NS6detail17trampoline_kernelINS0_13select_configILj256ELj13ELNS0_17block_load_methodE3ELS4_3ELS4_3ELNS0_20block_scan_algorithmE0ELj4294967295EEENS1_25partition_config_selectorILNS1_17partition_subalgoE4EjNS0_10empty_typeEbEEZZNS1_14partition_implILS8_4ELb0ES6_15HIP_vector_typeIjLj2EENS0_17counting_iteratorIjlEEPS9_SG_NS0_5tupleIJPjSI_NS0_16reverse_iteratorISI_EEEEENSH_IJSG_SG_SG_EEES9_SI_JZNS1_25segmented_radix_sort_implINS0_14default_configELb1EPKbPbPKlPlN2at6native12_GLOBAL__N_18offset_tEEE10hipError_tPvRmT1_PNSt15iterator_traitsIS12_E10value_typeET2_T3_PNS13_IS18_E10value_typeET4_jRbjT5_S1E_jjP12ihipStream_tbEUljE_ZNSN_ISO_Lb1ESQ_SR_ST_SU_SY_EESZ_S10_S11_S12_S16_S17_S18_S1B_S1C_jS1D_jS1E_S1E_jjS1G_bEUljE0_EEESZ_S10_S11_S18_S1C_S1E_T6_T7_T9_mT8_S1G_bDpT10_ENKUlT_T0_E_clISt17integral_constantIbLb0EES1U_EEDaS1P_S1Q_EUlS1P_E_NS1_11comp_targetILNS1_3genE5ELNS1_11target_archE942ELNS1_3gpuE9ELNS1_3repE0EEENS1_30default_config_static_selectorELNS0_4arch9wavefront6targetE0EEEvS12_ ; -- Begin function _ZN7rocprim17ROCPRIM_400000_NS6detail17trampoline_kernelINS0_13select_configILj256ELj13ELNS0_17block_load_methodE3ELS4_3ELS4_3ELNS0_20block_scan_algorithmE0ELj4294967295EEENS1_25partition_config_selectorILNS1_17partition_subalgoE4EjNS0_10empty_typeEbEEZZNS1_14partition_implILS8_4ELb0ES6_15HIP_vector_typeIjLj2EENS0_17counting_iteratorIjlEEPS9_SG_NS0_5tupleIJPjSI_NS0_16reverse_iteratorISI_EEEEENSH_IJSG_SG_SG_EEES9_SI_JZNS1_25segmented_radix_sort_implINS0_14default_configELb1EPKbPbPKlPlN2at6native12_GLOBAL__N_18offset_tEEE10hipError_tPvRmT1_PNSt15iterator_traitsIS12_E10value_typeET2_T3_PNS13_IS18_E10value_typeET4_jRbjT5_S1E_jjP12ihipStream_tbEUljE_ZNSN_ISO_Lb1ESQ_SR_ST_SU_SY_EESZ_S10_S11_S12_S16_S17_S18_S1B_S1C_jS1D_jS1E_S1E_jjS1G_bEUljE0_EEESZ_S10_S11_S18_S1C_S1E_T6_T7_T9_mT8_S1G_bDpT10_ENKUlT_T0_E_clISt17integral_constantIbLb0EES1U_EEDaS1P_S1Q_EUlS1P_E_NS1_11comp_targetILNS1_3genE5ELNS1_11target_archE942ELNS1_3gpuE9ELNS1_3repE0EEENS1_30default_config_static_selectorELNS0_4arch9wavefront6targetE0EEEvS12_
	.p2align	8
	.type	_ZN7rocprim17ROCPRIM_400000_NS6detail17trampoline_kernelINS0_13select_configILj256ELj13ELNS0_17block_load_methodE3ELS4_3ELS4_3ELNS0_20block_scan_algorithmE0ELj4294967295EEENS1_25partition_config_selectorILNS1_17partition_subalgoE4EjNS0_10empty_typeEbEEZZNS1_14partition_implILS8_4ELb0ES6_15HIP_vector_typeIjLj2EENS0_17counting_iteratorIjlEEPS9_SG_NS0_5tupleIJPjSI_NS0_16reverse_iteratorISI_EEEEENSH_IJSG_SG_SG_EEES9_SI_JZNS1_25segmented_radix_sort_implINS0_14default_configELb1EPKbPbPKlPlN2at6native12_GLOBAL__N_18offset_tEEE10hipError_tPvRmT1_PNSt15iterator_traitsIS12_E10value_typeET2_T3_PNS13_IS18_E10value_typeET4_jRbjT5_S1E_jjP12ihipStream_tbEUljE_ZNSN_ISO_Lb1ESQ_SR_ST_SU_SY_EESZ_S10_S11_S12_S16_S17_S18_S1B_S1C_jS1D_jS1E_S1E_jjS1G_bEUljE0_EEESZ_S10_S11_S18_S1C_S1E_T6_T7_T9_mT8_S1G_bDpT10_ENKUlT_T0_E_clISt17integral_constantIbLb0EES1U_EEDaS1P_S1Q_EUlS1P_E_NS1_11comp_targetILNS1_3genE5ELNS1_11target_archE942ELNS1_3gpuE9ELNS1_3repE0EEENS1_30default_config_static_selectorELNS0_4arch9wavefront6targetE0EEEvS12_,@function
_ZN7rocprim17ROCPRIM_400000_NS6detail17trampoline_kernelINS0_13select_configILj256ELj13ELNS0_17block_load_methodE3ELS4_3ELS4_3ELNS0_20block_scan_algorithmE0ELj4294967295EEENS1_25partition_config_selectorILNS1_17partition_subalgoE4EjNS0_10empty_typeEbEEZZNS1_14partition_implILS8_4ELb0ES6_15HIP_vector_typeIjLj2EENS0_17counting_iteratorIjlEEPS9_SG_NS0_5tupleIJPjSI_NS0_16reverse_iteratorISI_EEEEENSH_IJSG_SG_SG_EEES9_SI_JZNS1_25segmented_radix_sort_implINS0_14default_configELb1EPKbPbPKlPlN2at6native12_GLOBAL__N_18offset_tEEE10hipError_tPvRmT1_PNSt15iterator_traitsIS12_E10value_typeET2_T3_PNS13_IS18_E10value_typeET4_jRbjT5_S1E_jjP12ihipStream_tbEUljE_ZNSN_ISO_Lb1ESQ_SR_ST_SU_SY_EESZ_S10_S11_S12_S16_S17_S18_S1B_S1C_jS1D_jS1E_S1E_jjS1G_bEUljE0_EEESZ_S10_S11_S18_S1C_S1E_T6_T7_T9_mT8_S1G_bDpT10_ENKUlT_T0_E_clISt17integral_constantIbLb0EES1U_EEDaS1P_S1Q_EUlS1P_E_NS1_11comp_targetILNS1_3genE5ELNS1_11target_archE942ELNS1_3gpuE9ELNS1_3repE0EEENS1_30default_config_static_selectorELNS0_4arch9wavefront6targetE0EEEvS12_: ; @_ZN7rocprim17ROCPRIM_400000_NS6detail17trampoline_kernelINS0_13select_configILj256ELj13ELNS0_17block_load_methodE3ELS4_3ELS4_3ELNS0_20block_scan_algorithmE0ELj4294967295EEENS1_25partition_config_selectorILNS1_17partition_subalgoE4EjNS0_10empty_typeEbEEZZNS1_14partition_implILS8_4ELb0ES6_15HIP_vector_typeIjLj2EENS0_17counting_iteratorIjlEEPS9_SG_NS0_5tupleIJPjSI_NS0_16reverse_iteratorISI_EEEEENSH_IJSG_SG_SG_EEES9_SI_JZNS1_25segmented_radix_sort_implINS0_14default_configELb1EPKbPbPKlPlN2at6native12_GLOBAL__N_18offset_tEEE10hipError_tPvRmT1_PNSt15iterator_traitsIS12_E10value_typeET2_T3_PNS13_IS18_E10value_typeET4_jRbjT5_S1E_jjP12ihipStream_tbEUljE_ZNSN_ISO_Lb1ESQ_SR_ST_SU_SY_EESZ_S10_S11_S12_S16_S17_S18_S1B_S1C_jS1D_jS1E_S1E_jjS1G_bEUljE0_EEESZ_S10_S11_S18_S1C_S1E_T6_T7_T9_mT8_S1G_bDpT10_ENKUlT_T0_E_clISt17integral_constantIbLb0EES1U_EEDaS1P_S1Q_EUlS1P_E_NS1_11comp_targetILNS1_3genE5ELNS1_11target_archE942ELNS1_3gpuE9ELNS1_3repE0EEENS1_30default_config_static_selectorELNS0_4arch9wavefront6targetE0EEEvS12_
; %bb.0:
	.section	.rodata,"a",@progbits
	.p2align	6, 0x0
	.amdhsa_kernel _ZN7rocprim17ROCPRIM_400000_NS6detail17trampoline_kernelINS0_13select_configILj256ELj13ELNS0_17block_load_methodE3ELS4_3ELS4_3ELNS0_20block_scan_algorithmE0ELj4294967295EEENS1_25partition_config_selectorILNS1_17partition_subalgoE4EjNS0_10empty_typeEbEEZZNS1_14partition_implILS8_4ELb0ES6_15HIP_vector_typeIjLj2EENS0_17counting_iteratorIjlEEPS9_SG_NS0_5tupleIJPjSI_NS0_16reverse_iteratorISI_EEEEENSH_IJSG_SG_SG_EEES9_SI_JZNS1_25segmented_radix_sort_implINS0_14default_configELb1EPKbPbPKlPlN2at6native12_GLOBAL__N_18offset_tEEE10hipError_tPvRmT1_PNSt15iterator_traitsIS12_E10value_typeET2_T3_PNS13_IS18_E10value_typeET4_jRbjT5_S1E_jjP12ihipStream_tbEUljE_ZNSN_ISO_Lb1ESQ_SR_ST_SU_SY_EESZ_S10_S11_S12_S16_S17_S18_S1B_S1C_jS1D_jS1E_S1E_jjS1G_bEUljE0_EEESZ_S10_S11_S18_S1C_S1E_T6_T7_T9_mT8_S1G_bDpT10_ENKUlT_T0_E_clISt17integral_constantIbLb0EES1U_EEDaS1P_S1Q_EUlS1P_E_NS1_11comp_targetILNS1_3genE5ELNS1_11target_archE942ELNS1_3gpuE9ELNS1_3repE0EEENS1_30default_config_static_selectorELNS0_4arch9wavefront6targetE0EEEvS12_
		.amdhsa_group_segment_fixed_size 0
		.amdhsa_private_segment_fixed_size 0
		.amdhsa_kernarg_size 176
		.amdhsa_user_sgpr_count 6
		.amdhsa_user_sgpr_private_segment_buffer 1
		.amdhsa_user_sgpr_dispatch_ptr 0
		.amdhsa_user_sgpr_queue_ptr 0
		.amdhsa_user_sgpr_kernarg_segment_ptr 1
		.amdhsa_user_sgpr_dispatch_id 0
		.amdhsa_user_sgpr_flat_scratch_init 0
		.amdhsa_user_sgpr_private_segment_size 0
		.amdhsa_wavefront_size32 1
		.amdhsa_uses_dynamic_stack 0
		.amdhsa_system_sgpr_private_segment_wavefront_offset 0
		.amdhsa_system_sgpr_workgroup_id_x 1
		.amdhsa_system_sgpr_workgroup_id_y 0
		.amdhsa_system_sgpr_workgroup_id_z 0
		.amdhsa_system_sgpr_workgroup_info 0
		.amdhsa_system_vgpr_workitem_id 0
		.amdhsa_next_free_vgpr 1
		.amdhsa_next_free_sgpr 1
		.amdhsa_reserve_vcc 0
		.amdhsa_reserve_flat_scratch 0
		.amdhsa_float_round_mode_32 0
		.amdhsa_float_round_mode_16_64 0
		.amdhsa_float_denorm_mode_32 3
		.amdhsa_float_denorm_mode_16_64 3
		.amdhsa_dx10_clamp 1
		.amdhsa_ieee_mode 1
		.amdhsa_fp16_overflow 0
		.amdhsa_workgroup_processor_mode 1
		.amdhsa_memory_ordered 1
		.amdhsa_forward_progress 1
		.amdhsa_shared_vgpr_count 0
		.amdhsa_exception_fp_ieee_invalid_op 0
		.amdhsa_exception_fp_denorm_src 0
		.amdhsa_exception_fp_ieee_div_zero 0
		.amdhsa_exception_fp_ieee_overflow 0
		.amdhsa_exception_fp_ieee_underflow 0
		.amdhsa_exception_fp_ieee_inexact 0
		.amdhsa_exception_int_div_zero 0
	.end_amdhsa_kernel
	.section	.text._ZN7rocprim17ROCPRIM_400000_NS6detail17trampoline_kernelINS0_13select_configILj256ELj13ELNS0_17block_load_methodE3ELS4_3ELS4_3ELNS0_20block_scan_algorithmE0ELj4294967295EEENS1_25partition_config_selectorILNS1_17partition_subalgoE4EjNS0_10empty_typeEbEEZZNS1_14partition_implILS8_4ELb0ES6_15HIP_vector_typeIjLj2EENS0_17counting_iteratorIjlEEPS9_SG_NS0_5tupleIJPjSI_NS0_16reverse_iteratorISI_EEEEENSH_IJSG_SG_SG_EEES9_SI_JZNS1_25segmented_radix_sort_implINS0_14default_configELb1EPKbPbPKlPlN2at6native12_GLOBAL__N_18offset_tEEE10hipError_tPvRmT1_PNSt15iterator_traitsIS12_E10value_typeET2_T3_PNS13_IS18_E10value_typeET4_jRbjT5_S1E_jjP12ihipStream_tbEUljE_ZNSN_ISO_Lb1ESQ_SR_ST_SU_SY_EESZ_S10_S11_S12_S16_S17_S18_S1B_S1C_jS1D_jS1E_S1E_jjS1G_bEUljE0_EEESZ_S10_S11_S18_S1C_S1E_T6_T7_T9_mT8_S1G_bDpT10_ENKUlT_T0_E_clISt17integral_constantIbLb0EES1U_EEDaS1P_S1Q_EUlS1P_E_NS1_11comp_targetILNS1_3genE5ELNS1_11target_archE942ELNS1_3gpuE9ELNS1_3repE0EEENS1_30default_config_static_selectorELNS0_4arch9wavefront6targetE0EEEvS12_,"axG",@progbits,_ZN7rocprim17ROCPRIM_400000_NS6detail17trampoline_kernelINS0_13select_configILj256ELj13ELNS0_17block_load_methodE3ELS4_3ELS4_3ELNS0_20block_scan_algorithmE0ELj4294967295EEENS1_25partition_config_selectorILNS1_17partition_subalgoE4EjNS0_10empty_typeEbEEZZNS1_14partition_implILS8_4ELb0ES6_15HIP_vector_typeIjLj2EENS0_17counting_iteratorIjlEEPS9_SG_NS0_5tupleIJPjSI_NS0_16reverse_iteratorISI_EEEEENSH_IJSG_SG_SG_EEES9_SI_JZNS1_25segmented_radix_sort_implINS0_14default_configELb1EPKbPbPKlPlN2at6native12_GLOBAL__N_18offset_tEEE10hipError_tPvRmT1_PNSt15iterator_traitsIS12_E10value_typeET2_T3_PNS13_IS18_E10value_typeET4_jRbjT5_S1E_jjP12ihipStream_tbEUljE_ZNSN_ISO_Lb1ESQ_SR_ST_SU_SY_EESZ_S10_S11_S12_S16_S17_S18_S1B_S1C_jS1D_jS1E_S1E_jjS1G_bEUljE0_EEESZ_S10_S11_S18_S1C_S1E_T6_T7_T9_mT8_S1G_bDpT10_ENKUlT_T0_E_clISt17integral_constantIbLb0EES1U_EEDaS1P_S1Q_EUlS1P_E_NS1_11comp_targetILNS1_3genE5ELNS1_11target_archE942ELNS1_3gpuE9ELNS1_3repE0EEENS1_30default_config_static_selectorELNS0_4arch9wavefront6targetE0EEEvS12_,comdat
.Lfunc_end1461:
	.size	_ZN7rocprim17ROCPRIM_400000_NS6detail17trampoline_kernelINS0_13select_configILj256ELj13ELNS0_17block_load_methodE3ELS4_3ELS4_3ELNS0_20block_scan_algorithmE0ELj4294967295EEENS1_25partition_config_selectorILNS1_17partition_subalgoE4EjNS0_10empty_typeEbEEZZNS1_14partition_implILS8_4ELb0ES6_15HIP_vector_typeIjLj2EENS0_17counting_iteratorIjlEEPS9_SG_NS0_5tupleIJPjSI_NS0_16reverse_iteratorISI_EEEEENSH_IJSG_SG_SG_EEES9_SI_JZNS1_25segmented_radix_sort_implINS0_14default_configELb1EPKbPbPKlPlN2at6native12_GLOBAL__N_18offset_tEEE10hipError_tPvRmT1_PNSt15iterator_traitsIS12_E10value_typeET2_T3_PNS13_IS18_E10value_typeET4_jRbjT5_S1E_jjP12ihipStream_tbEUljE_ZNSN_ISO_Lb1ESQ_SR_ST_SU_SY_EESZ_S10_S11_S12_S16_S17_S18_S1B_S1C_jS1D_jS1E_S1E_jjS1G_bEUljE0_EEESZ_S10_S11_S18_S1C_S1E_T6_T7_T9_mT8_S1G_bDpT10_ENKUlT_T0_E_clISt17integral_constantIbLb0EES1U_EEDaS1P_S1Q_EUlS1P_E_NS1_11comp_targetILNS1_3genE5ELNS1_11target_archE942ELNS1_3gpuE9ELNS1_3repE0EEENS1_30default_config_static_selectorELNS0_4arch9wavefront6targetE0EEEvS12_, .Lfunc_end1461-_ZN7rocprim17ROCPRIM_400000_NS6detail17trampoline_kernelINS0_13select_configILj256ELj13ELNS0_17block_load_methodE3ELS4_3ELS4_3ELNS0_20block_scan_algorithmE0ELj4294967295EEENS1_25partition_config_selectorILNS1_17partition_subalgoE4EjNS0_10empty_typeEbEEZZNS1_14partition_implILS8_4ELb0ES6_15HIP_vector_typeIjLj2EENS0_17counting_iteratorIjlEEPS9_SG_NS0_5tupleIJPjSI_NS0_16reverse_iteratorISI_EEEEENSH_IJSG_SG_SG_EEES9_SI_JZNS1_25segmented_radix_sort_implINS0_14default_configELb1EPKbPbPKlPlN2at6native12_GLOBAL__N_18offset_tEEE10hipError_tPvRmT1_PNSt15iterator_traitsIS12_E10value_typeET2_T3_PNS13_IS18_E10value_typeET4_jRbjT5_S1E_jjP12ihipStream_tbEUljE_ZNSN_ISO_Lb1ESQ_SR_ST_SU_SY_EESZ_S10_S11_S12_S16_S17_S18_S1B_S1C_jS1D_jS1E_S1E_jjS1G_bEUljE0_EEESZ_S10_S11_S18_S1C_S1E_T6_T7_T9_mT8_S1G_bDpT10_ENKUlT_T0_E_clISt17integral_constantIbLb0EES1U_EEDaS1P_S1Q_EUlS1P_E_NS1_11comp_targetILNS1_3genE5ELNS1_11target_archE942ELNS1_3gpuE9ELNS1_3repE0EEENS1_30default_config_static_selectorELNS0_4arch9wavefront6targetE0EEEvS12_
                                        ; -- End function
	.set _ZN7rocprim17ROCPRIM_400000_NS6detail17trampoline_kernelINS0_13select_configILj256ELj13ELNS0_17block_load_methodE3ELS4_3ELS4_3ELNS0_20block_scan_algorithmE0ELj4294967295EEENS1_25partition_config_selectorILNS1_17partition_subalgoE4EjNS0_10empty_typeEbEEZZNS1_14partition_implILS8_4ELb0ES6_15HIP_vector_typeIjLj2EENS0_17counting_iteratorIjlEEPS9_SG_NS0_5tupleIJPjSI_NS0_16reverse_iteratorISI_EEEEENSH_IJSG_SG_SG_EEES9_SI_JZNS1_25segmented_radix_sort_implINS0_14default_configELb1EPKbPbPKlPlN2at6native12_GLOBAL__N_18offset_tEEE10hipError_tPvRmT1_PNSt15iterator_traitsIS12_E10value_typeET2_T3_PNS13_IS18_E10value_typeET4_jRbjT5_S1E_jjP12ihipStream_tbEUljE_ZNSN_ISO_Lb1ESQ_SR_ST_SU_SY_EESZ_S10_S11_S12_S16_S17_S18_S1B_S1C_jS1D_jS1E_S1E_jjS1G_bEUljE0_EEESZ_S10_S11_S18_S1C_S1E_T6_T7_T9_mT8_S1G_bDpT10_ENKUlT_T0_E_clISt17integral_constantIbLb0EES1U_EEDaS1P_S1Q_EUlS1P_E_NS1_11comp_targetILNS1_3genE5ELNS1_11target_archE942ELNS1_3gpuE9ELNS1_3repE0EEENS1_30default_config_static_selectorELNS0_4arch9wavefront6targetE0EEEvS12_.num_vgpr, 0
	.set _ZN7rocprim17ROCPRIM_400000_NS6detail17trampoline_kernelINS0_13select_configILj256ELj13ELNS0_17block_load_methodE3ELS4_3ELS4_3ELNS0_20block_scan_algorithmE0ELj4294967295EEENS1_25partition_config_selectorILNS1_17partition_subalgoE4EjNS0_10empty_typeEbEEZZNS1_14partition_implILS8_4ELb0ES6_15HIP_vector_typeIjLj2EENS0_17counting_iteratorIjlEEPS9_SG_NS0_5tupleIJPjSI_NS0_16reverse_iteratorISI_EEEEENSH_IJSG_SG_SG_EEES9_SI_JZNS1_25segmented_radix_sort_implINS0_14default_configELb1EPKbPbPKlPlN2at6native12_GLOBAL__N_18offset_tEEE10hipError_tPvRmT1_PNSt15iterator_traitsIS12_E10value_typeET2_T3_PNS13_IS18_E10value_typeET4_jRbjT5_S1E_jjP12ihipStream_tbEUljE_ZNSN_ISO_Lb1ESQ_SR_ST_SU_SY_EESZ_S10_S11_S12_S16_S17_S18_S1B_S1C_jS1D_jS1E_S1E_jjS1G_bEUljE0_EEESZ_S10_S11_S18_S1C_S1E_T6_T7_T9_mT8_S1G_bDpT10_ENKUlT_T0_E_clISt17integral_constantIbLb0EES1U_EEDaS1P_S1Q_EUlS1P_E_NS1_11comp_targetILNS1_3genE5ELNS1_11target_archE942ELNS1_3gpuE9ELNS1_3repE0EEENS1_30default_config_static_selectorELNS0_4arch9wavefront6targetE0EEEvS12_.num_agpr, 0
	.set _ZN7rocprim17ROCPRIM_400000_NS6detail17trampoline_kernelINS0_13select_configILj256ELj13ELNS0_17block_load_methodE3ELS4_3ELS4_3ELNS0_20block_scan_algorithmE0ELj4294967295EEENS1_25partition_config_selectorILNS1_17partition_subalgoE4EjNS0_10empty_typeEbEEZZNS1_14partition_implILS8_4ELb0ES6_15HIP_vector_typeIjLj2EENS0_17counting_iteratorIjlEEPS9_SG_NS0_5tupleIJPjSI_NS0_16reverse_iteratorISI_EEEEENSH_IJSG_SG_SG_EEES9_SI_JZNS1_25segmented_radix_sort_implINS0_14default_configELb1EPKbPbPKlPlN2at6native12_GLOBAL__N_18offset_tEEE10hipError_tPvRmT1_PNSt15iterator_traitsIS12_E10value_typeET2_T3_PNS13_IS18_E10value_typeET4_jRbjT5_S1E_jjP12ihipStream_tbEUljE_ZNSN_ISO_Lb1ESQ_SR_ST_SU_SY_EESZ_S10_S11_S12_S16_S17_S18_S1B_S1C_jS1D_jS1E_S1E_jjS1G_bEUljE0_EEESZ_S10_S11_S18_S1C_S1E_T6_T7_T9_mT8_S1G_bDpT10_ENKUlT_T0_E_clISt17integral_constantIbLb0EES1U_EEDaS1P_S1Q_EUlS1P_E_NS1_11comp_targetILNS1_3genE5ELNS1_11target_archE942ELNS1_3gpuE9ELNS1_3repE0EEENS1_30default_config_static_selectorELNS0_4arch9wavefront6targetE0EEEvS12_.numbered_sgpr, 0
	.set _ZN7rocprim17ROCPRIM_400000_NS6detail17trampoline_kernelINS0_13select_configILj256ELj13ELNS0_17block_load_methodE3ELS4_3ELS4_3ELNS0_20block_scan_algorithmE0ELj4294967295EEENS1_25partition_config_selectorILNS1_17partition_subalgoE4EjNS0_10empty_typeEbEEZZNS1_14partition_implILS8_4ELb0ES6_15HIP_vector_typeIjLj2EENS0_17counting_iteratorIjlEEPS9_SG_NS0_5tupleIJPjSI_NS0_16reverse_iteratorISI_EEEEENSH_IJSG_SG_SG_EEES9_SI_JZNS1_25segmented_radix_sort_implINS0_14default_configELb1EPKbPbPKlPlN2at6native12_GLOBAL__N_18offset_tEEE10hipError_tPvRmT1_PNSt15iterator_traitsIS12_E10value_typeET2_T3_PNS13_IS18_E10value_typeET4_jRbjT5_S1E_jjP12ihipStream_tbEUljE_ZNSN_ISO_Lb1ESQ_SR_ST_SU_SY_EESZ_S10_S11_S12_S16_S17_S18_S1B_S1C_jS1D_jS1E_S1E_jjS1G_bEUljE0_EEESZ_S10_S11_S18_S1C_S1E_T6_T7_T9_mT8_S1G_bDpT10_ENKUlT_T0_E_clISt17integral_constantIbLb0EES1U_EEDaS1P_S1Q_EUlS1P_E_NS1_11comp_targetILNS1_3genE5ELNS1_11target_archE942ELNS1_3gpuE9ELNS1_3repE0EEENS1_30default_config_static_selectorELNS0_4arch9wavefront6targetE0EEEvS12_.num_named_barrier, 0
	.set _ZN7rocprim17ROCPRIM_400000_NS6detail17trampoline_kernelINS0_13select_configILj256ELj13ELNS0_17block_load_methodE3ELS4_3ELS4_3ELNS0_20block_scan_algorithmE0ELj4294967295EEENS1_25partition_config_selectorILNS1_17partition_subalgoE4EjNS0_10empty_typeEbEEZZNS1_14partition_implILS8_4ELb0ES6_15HIP_vector_typeIjLj2EENS0_17counting_iteratorIjlEEPS9_SG_NS0_5tupleIJPjSI_NS0_16reverse_iteratorISI_EEEEENSH_IJSG_SG_SG_EEES9_SI_JZNS1_25segmented_radix_sort_implINS0_14default_configELb1EPKbPbPKlPlN2at6native12_GLOBAL__N_18offset_tEEE10hipError_tPvRmT1_PNSt15iterator_traitsIS12_E10value_typeET2_T3_PNS13_IS18_E10value_typeET4_jRbjT5_S1E_jjP12ihipStream_tbEUljE_ZNSN_ISO_Lb1ESQ_SR_ST_SU_SY_EESZ_S10_S11_S12_S16_S17_S18_S1B_S1C_jS1D_jS1E_S1E_jjS1G_bEUljE0_EEESZ_S10_S11_S18_S1C_S1E_T6_T7_T9_mT8_S1G_bDpT10_ENKUlT_T0_E_clISt17integral_constantIbLb0EES1U_EEDaS1P_S1Q_EUlS1P_E_NS1_11comp_targetILNS1_3genE5ELNS1_11target_archE942ELNS1_3gpuE9ELNS1_3repE0EEENS1_30default_config_static_selectorELNS0_4arch9wavefront6targetE0EEEvS12_.private_seg_size, 0
	.set _ZN7rocprim17ROCPRIM_400000_NS6detail17trampoline_kernelINS0_13select_configILj256ELj13ELNS0_17block_load_methodE3ELS4_3ELS4_3ELNS0_20block_scan_algorithmE0ELj4294967295EEENS1_25partition_config_selectorILNS1_17partition_subalgoE4EjNS0_10empty_typeEbEEZZNS1_14partition_implILS8_4ELb0ES6_15HIP_vector_typeIjLj2EENS0_17counting_iteratorIjlEEPS9_SG_NS0_5tupleIJPjSI_NS0_16reverse_iteratorISI_EEEEENSH_IJSG_SG_SG_EEES9_SI_JZNS1_25segmented_radix_sort_implINS0_14default_configELb1EPKbPbPKlPlN2at6native12_GLOBAL__N_18offset_tEEE10hipError_tPvRmT1_PNSt15iterator_traitsIS12_E10value_typeET2_T3_PNS13_IS18_E10value_typeET4_jRbjT5_S1E_jjP12ihipStream_tbEUljE_ZNSN_ISO_Lb1ESQ_SR_ST_SU_SY_EESZ_S10_S11_S12_S16_S17_S18_S1B_S1C_jS1D_jS1E_S1E_jjS1G_bEUljE0_EEESZ_S10_S11_S18_S1C_S1E_T6_T7_T9_mT8_S1G_bDpT10_ENKUlT_T0_E_clISt17integral_constantIbLb0EES1U_EEDaS1P_S1Q_EUlS1P_E_NS1_11comp_targetILNS1_3genE5ELNS1_11target_archE942ELNS1_3gpuE9ELNS1_3repE0EEENS1_30default_config_static_selectorELNS0_4arch9wavefront6targetE0EEEvS12_.uses_vcc, 0
	.set _ZN7rocprim17ROCPRIM_400000_NS6detail17trampoline_kernelINS0_13select_configILj256ELj13ELNS0_17block_load_methodE3ELS4_3ELS4_3ELNS0_20block_scan_algorithmE0ELj4294967295EEENS1_25partition_config_selectorILNS1_17partition_subalgoE4EjNS0_10empty_typeEbEEZZNS1_14partition_implILS8_4ELb0ES6_15HIP_vector_typeIjLj2EENS0_17counting_iteratorIjlEEPS9_SG_NS0_5tupleIJPjSI_NS0_16reverse_iteratorISI_EEEEENSH_IJSG_SG_SG_EEES9_SI_JZNS1_25segmented_radix_sort_implINS0_14default_configELb1EPKbPbPKlPlN2at6native12_GLOBAL__N_18offset_tEEE10hipError_tPvRmT1_PNSt15iterator_traitsIS12_E10value_typeET2_T3_PNS13_IS18_E10value_typeET4_jRbjT5_S1E_jjP12ihipStream_tbEUljE_ZNSN_ISO_Lb1ESQ_SR_ST_SU_SY_EESZ_S10_S11_S12_S16_S17_S18_S1B_S1C_jS1D_jS1E_S1E_jjS1G_bEUljE0_EEESZ_S10_S11_S18_S1C_S1E_T6_T7_T9_mT8_S1G_bDpT10_ENKUlT_T0_E_clISt17integral_constantIbLb0EES1U_EEDaS1P_S1Q_EUlS1P_E_NS1_11comp_targetILNS1_3genE5ELNS1_11target_archE942ELNS1_3gpuE9ELNS1_3repE0EEENS1_30default_config_static_selectorELNS0_4arch9wavefront6targetE0EEEvS12_.uses_flat_scratch, 0
	.set _ZN7rocprim17ROCPRIM_400000_NS6detail17trampoline_kernelINS0_13select_configILj256ELj13ELNS0_17block_load_methodE3ELS4_3ELS4_3ELNS0_20block_scan_algorithmE0ELj4294967295EEENS1_25partition_config_selectorILNS1_17partition_subalgoE4EjNS0_10empty_typeEbEEZZNS1_14partition_implILS8_4ELb0ES6_15HIP_vector_typeIjLj2EENS0_17counting_iteratorIjlEEPS9_SG_NS0_5tupleIJPjSI_NS0_16reverse_iteratorISI_EEEEENSH_IJSG_SG_SG_EEES9_SI_JZNS1_25segmented_radix_sort_implINS0_14default_configELb1EPKbPbPKlPlN2at6native12_GLOBAL__N_18offset_tEEE10hipError_tPvRmT1_PNSt15iterator_traitsIS12_E10value_typeET2_T3_PNS13_IS18_E10value_typeET4_jRbjT5_S1E_jjP12ihipStream_tbEUljE_ZNSN_ISO_Lb1ESQ_SR_ST_SU_SY_EESZ_S10_S11_S12_S16_S17_S18_S1B_S1C_jS1D_jS1E_S1E_jjS1G_bEUljE0_EEESZ_S10_S11_S18_S1C_S1E_T6_T7_T9_mT8_S1G_bDpT10_ENKUlT_T0_E_clISt17integral_constantIbLb0EES1U_EEDaS1P_S1Q_EUlS1P_E_NS1_11comp_targetILNS1_3genE5ELNS1_11target_archE942ELNS1_3gpuE9ELNS1_3repE0EEENS1_30default_config_static_selectorELNS0_4arch9wavefront6targetE0EEEvS12_.has_dyn_sized_stack, 0
	.set _ZN7rocprim17ROCPRIM_400000_NS6detail17trampoline_kernelINS0_13select_configILj256ELj13ELNS0_17block_load_methodE3ELS4_3ELS4_3ELNS0_20block_scan_algorithmE0ELj4294967295EEENS1_25partition_config_selectorILNS1_17partition_subalgoE4EjNS0_10empty_typeEbEEZZNS1_14partition_implILS8_4ELb0ES6_15HIP_vector_typeIjLj2EENS0_17counting_iteratorIjlEEPS9_SG_NS0_5tupleIJPjSI_NS0_16reverse_iteratorISI_EEEEENSH_IJSG_SG_SG_EEES9_SI_JZNS1_25segmented_radix_sort_implINS0_14default_configELb1EPKbPbPKlPlN2at6native12_GLOBAL__N_18offset_tEEE10hipError_tPvRmT1_PNSt15iterator_traitsIS12_E10value_typeET2_T3_PNS13_IS18_E10value_typeET4_jRbjT5_S1E_jjP12ihipStream_tbEUljE_ZNSN_ISO_Lb1ESQ_SR_ST_SU_SY_EESZ_S10_S11_S12_S16_S17_S18_S1B_S1C_jS1D_jS1E_S1E_jjS1G_bEUljE0_EEESZ_S10_S11_S18_S1C_S1E_T6_T7_T9_mT8_S1G_bDpT10_ENKUlT_T0_E_clISt17integral_constantIbLb0EES1U_EEDaS1P_S1Q_EUlS1P_E_NS1_11comp_targetILNS1_3genE5ELNS1_11target_archE942ELNS1_3gpuE9ELNS1_3repE0EEENS1_30default_config_static_selectorELNS0_4arch9wavefront6targetE0EEEvS12_.has_recursion, 0
	.set _ZN7rocprim17ROCPRIM_400000_NS6detail17trampoline_kernelINS0_13select_configILj256ELj13ELNS0_17block_load_methodE3ELS4_3ELS4_3ELNS0_20block_scan_algorithmE0ELj4294967295EEENS1_25partition_config_selectorILNS1_17partition_subalgoE4EjNS0_10empty_typeEbEEZZNS1_14partition_implILS8_4ELb0ES6_15HIP_vector_typeIjLj2EENS0_17counting_iteratorIjlEEPS9_SG_NS0_5tupleIJPjSI_NS0_16reverse_iteratorISI_EEEEENSH_IJSG_SG_SG_EEES9_SI_JZNS1_25segmented_radix_sort_implINS0_14default_configELb1EPKbPbPKlPlN2at6native12_GLOBAL__N_18offset_tEEE10hipError_tPvRmT1_PNSt15iterator_traitsIS12_E10value_typeET2_T3_PNS13_IS18_E10value_typeET4_jRbjT5_S1E_jjP12ihipStream_tbEUljE_ZNSN_ISO_Lb1ESQ_SR_ST_SU_SY_EESZ_S10_S11_S12_S16_S17_S18_S1B_S1C_jS1D_jS1E_S1E_jjS1G_bEUljE0_EEESZ_S10_S11_S18_S1C_S1E_T6_T7_T9_mT8_S1G_bDpT10_ENKUlT_T0_E_clISt17integral_constantIbLb0EES1U_EEDaS1P_S1Q_EUlS1P_E_NS1_11comp_targetILNS1_3genE5ELNS1_11target_archE942ELNS1_3gpuE9ELNS1_3repE0EEENS1_30default_config_static_selectorELNS0_4arch9wavefront6targetE0EEEvS12_.has_indirect_call, 0
	.section	.AMDGPU.csdata,"",@progbits
; Kernel info:
; codeLenInByte = 0
; TotalNumSgprs: 0
; NumVgprs: 0
; ScratchSize: 0
; MemoryBound: 0
; FloatMode: 240
; IeeeMode: 1
; LDSByteSize: 0 bytes/workgroup (compile time only)
; SGPRBlocks: 0
; VGPRBlocks: 0
; NumSGPRsForWavesPerEU: 1
; NumVGPRsForWavesPerEU: 1
; Occupancy: 16
; WaveLimiterHint : 0
; COMPUTE_PGM_RSRC2:SCRATCH_EN: 0
; COMPUTE_PGM_RSRC2:USER_SGPR: 6
; COMPUTE_PGM_RSRC2:TRAP_HANDLER: 0
; COMPUTE_PGM_RSRC2:TGID_X_EN: 1
; COMPUTE_PGM_RSRC2:TGID_Y_EN: 0
; COMPUTE_PGM_RSRC2:TGID_Z_EN: 0
; COMPUTE_PGM_RSRC2:TIDIG_COMP_CNT: 0
	.section	.text._ZN7rocprim17ROCPRIM_400000_NS6detail17trampoline_kernelINS0_13select_configILj256ELj13ELNS0_17block_load_methodE3ELS4_3ELS4_3ELNS0_20block_scan_algorithmE0ELj4294967295EEENS1_25partition_config_selectorILNS1_17partition_subalgoE4EjNS0_10empty_typeEbEEZZNS1_14partition_implILS8_4ELb0ES6_15HIP_vector_typeIjLj2EENS0_17counting_iteratorIjlEEPS9_SG_NS0_5tupleIJPjSI_NS0_16reverse_iteratorISI_EEEEENSH_IJSG_SG_SG_EEES9_SI_JZNS1_25segmented_radix_sort_implINS0_14default_configELb1EPKbPbPKlPlN2at6native12_GLOBAL__N_18offset_tEEE10hipError_tPvRmT1_PNSt15iterator_traitsIS12_E10value_typeET2_T3_PNS13_IS18_E10value_typeET4_jRbjT5_S1E_jjP12ihipStream_tbEUljE_ZNSN_ISO_Lb1ESQ_SR_ST_SU_SY_EESZ_S10_S11_S12_S16_S17_S18_S1B_S1C_jS1D_jS1E_S1E_jjS1G_bEUljE0_EEESZ_S10_S11_S18_S1C_S1E_T6_T7_T9_mT8_S1G_bDpT10_ENKUlT_T0_E_clISt17integral_constantIbLb0EES1U_EEDaS1P_S1Q_EUlS1P_E_NS1_11comp_targetILNS1_3genE4ELNS1_11target_archE910ELNS1_3gpuE8ELNS1_3repE0EEENS1_30default_config_static_selectorELNS0_4arch9wavefront6targetE0EEEvS12_,"axG",@progbits,_ZN7rocprim17ROCPRIM_400000_NS6detail17trampoline_kernelINS0_13select_configILj256ELj13ELNS0_17block_load_methodE3ELS4_3ELS4_3ELNS0_20block_scan_algorithmE0ELj4294967295EEENS1_25partition_config_selectorILNS1_17partition_subalgoE4EjNS0_10empty_typeEbEEZZNS1_14partition_implILS8_4ELb0ES6_15HIP_vector_typeIjLj2EENS0_17counting_iteratorIjlEEPS9_SG_NS0_5tupleIJPjSI_NS0_16reverse_iteratorISI_EEEEENSH_IJSG_SG_SG_EEES9_SI_JZNS1_25segmented_radix_sort_implINS0_14default_configELb1EPKbPbPKlPlN2at6native12_GLOBAL__N_18offset_tEEE10hipError_tPvRmT1_PNSt15iterator_traitsIS12_E10value_typeET2_T3_PNS13_IS18_E10value_typeET4_jRbjT5_S1E_jjP12ihipStream_tbEUljE_ZNSN_ISO_Lb1ESQ_SR_ST_SU_SY_EESZ_S10_S11_S12_S16_S17_S18_S1B_S1C_jS1D_jS1E_S1E_jjS1G_bEUljE0_EEESZ_S10_S11_S18_S1C_S1E_T6_T7_T9_mT8_S1G_bDpT10_ENKUlT_T0_E_clISt17integral_constantIbLb0EES1U_EEDaS1P_S1Q_EUlS1P_E_NS1_11comp_targetILNS1_3genE4ELNS1_11target_archE910ELNS1_3gpuE8ELNS1_3repE0EEENS1_30default_config_static_selectorELNS0_4arch9wavefront6targetE0EEEvS12_,comdat
	.globl	_ZN7rocprim17ROCPRIM_400000_NS6detail17trampoline_kernelINS0_13select_configILj256ELj13ELNS0_17block_load_methodE3ELS4_3ELS4_3ELNS0_20block_scan_algorithmE0ELj4294967295EEENS1_25partition_config_selectorILNS1_17partition_subalgoE4EjNS0_10empty_typeEbEEZZNS1_14partition_implILS8_4ELb0ES6_15HIP_vector_typeIjLj2EENS0_17counting_iteratorIjlEEPS9_SG_NS0_5tupleIJPjSI_NS0_16reverse_iteratorISI_EEEEENSH_IJSG_SG_SG_EEES9_SI_JZNS1_25segmented_radix_sort_implINS0_14default_configELb1EPKbPbPKlPlN2at6native12_GLOBAL__N_18offset_tEEE10hipError_tPvRmT1_PNSt15iterator_traitsIS12_E10value_typeET2_T3_PNS13_IS18_E10value_typeET4_jRbjT5_S1E_jjP12ihipStream_tbEUljE_ZNSN_ISO_Lb1ESQ_SR_ST_SU_SY_EESZ_S10_S11_S12_S16_S17_S18_S1B_S1C_jS1D_jS1E_S1E_jjS1G_bEUljE0_EEESZ_S10_S11_S18_S1C_S1E_T6_T7_T9_mT8_S1G_bDpT10_ENKUlT_T0_E_clISt17integral_constantIbLb0EES1U_EEDaS1P_S1Q_EUlS1P_E_NS1_11comp_targetILNS1_3genE4ELNS1_11target_archE910ELNS1_3gpuE8ELNS1_3repE0EEENS1_30default_config_static_selectorELNS0_4arch9wavefront6targetE0EEEvS12_ ; -- Begin function _ZN7rocprim17ROCPRIM_400000_NS6detail17trampoline_kernelINS0_13select_configILj256ELj13ELNS0_17block_load_methodE3ELS4_3ELS4_3ELNS0_20block_scan_algorithmE0ELj4294967295EEENS1_25partition_config_selectorILNS1_17partition_subalgoE4EjNS0_10empty_typeEbEEZZNS1_14partition_implILS8_4ELb0ES6_15HIP_vector_typeIjLj2EENS0_17counting_iteratorIjlEEPS9_SG_NS0_5tupleIJPjSI_NS0_16reverse_iteratorISI_EEEEENSH_IJSG_SG_SG_EEES9_SI_JZNS1_25segmented_radix_sort_implINS0_14default_configELb1EPKbPbPKlPlN2at6native12_GLOBAL__N_18offset_tEEE10hipError_tPvRmT1_PNSt15iterator_traitsIS12_E10value_typeET2_T3_PNS13_IS18_E10value_typeET4_jRbjT5_S1E_jjP12ihipStream_tbEUljE_ZNSN_ISO_Lb1ESQ_SR_ST_SU_SY_EESZ_S10_S11_S12_S16_S17_S18_S1B_S1C_jS1D_jS1E_S1E_jjS1G_bEUljE0_EEESZ_S10_S11_S18_S1C_S1E_T6_T7_T9_mT8_S1G_bDpT10_ENKUlT_T0_E_clISt17integral_constantIbLb0EES1U_EEDaS1P_S1Q_EUlS1P_E_NS1_11comp_targetILNS1_3genE4ELNS1_11target_archE910ELNS1_3gpuE8ELNS1_3repE0EEENS1_30default_config_static_selectorELNS0_4arch9wavefront6targetE0EEEvS12_
	.p2align	8
	.type	_ZN7rocprim17ROCPRIM_400000_NS6detail17trampoline_kernelINS0_13select_configILj256ELj13ELNS0_17block_load_methodE3ELS4_3ELS4_3ELNS0_20block_scan_algorithmE0ELj4294967295EEENS1_25partition_config_selectorILNS1_17partition_subalgoE4EjNS0_10empty_typeEbEEZZNS1_14partition_implILS8_4ELb0ES6_15HIP_vector_typeIjLj2EENS0_17counting_iteratorIjlEEPS9_SG_NS0_5tupleIJPjSI_NS0_16reverse_iteratorISI_EEEEENSH_IJSG_SG_SG_EEES9_SI_JZNS1_25segmented_radix_sort_implINS0_14default_configELb1EPKbPbPKlPlN2at6native12_GLOBAL__N_18offset_tEEE10hipError_tPvRmT1_PNSt15iterator_traitsIS12_E10value_typeET2_T3_PNS13_IS18_E10value_typeET4_jRbjT5_S1E_jjP12ihipStream_tbEUljE_ZNSN_ISO_Lb1ESQ_SR_ST_SU_SY_EESZ_S10_S11_S12_S16_S17_S18_S1B_S1C_jS1D_jS1E_S1E_jjS1G_bEUljE0_EEESZ_S10_S11_S18_S1C_S1E_T6_T7_T9_mT8_S1G_bDpT10_ENKUlT_T0_E_clISt17integral_constantIbLb0EES1U_EEDaS1P_S1Q_EUlS1P_E_NS1_11comp_targetILNS1_3genE4ELNS1_11target_archE910ELNS1_3gpuE8ELNS1_3repE0EEENS1_30default_config_static_selectorELNS0_4arch9wavefront6targetE0EEEvS12_,@function
_ZN7rocprim17ROCPRIM_400000_NS6detail17trampoline_kernelINS0_13select_configILj256ELj13ELNS0_17block_load_methodE3ELS4_3ELS4_3ELNS0_20block_scan_algorithmE0ELj4294967295EEENS1_25partition_config_selectorILNS1_17partition_subalgoE4EjNS0_10empty_typeEbEEZZNS1_14partition_implILS8_4ELb0ES6_15HIP_vector_typeIjLj2EENS0_17counting_iteratorIjlEEPS9_SG_NS0_5tupleIJPjSI_NS0_16reverse_iteratorISI_EEEEENSH_IJSG_SG_SG_EEES9_SI_JZNS1_25segmented_radix_sort_implINS0_14default_configELb1EPKbPbPKlPlN2at6native12_GLOBAL__N_18offset_tEEE10hipError_tPvRmT1_PNSt15iterator_traitsIS12_E10value_typeET2_T3_PNS13_IS18_E10value_typeET4_jRbjT5_S1E_jjP12ihipStream_tbEUljE_ZNSN_ISO_Lb1ESQ_SR_ST_SU_SY_EESZ_S10_S11_S12_S16_S17_S18_S1B_S1C_jS1D_jS1E_S1E_jjS1G_bEUljE0_EEESZ_S10_S11_S18_S1C_S1E_T6_T7_T9_mT8_S1G_bDpT10_ENKUlT_T0_E_clISt17integral_constantIbLb0EES1U_EEDaS1P_S1Q_EUlS1P_E_NS1_11comp_targetILNS1_3genE4ELNS1_11target_archE910ELNS1_3gpuE8ELNS1_3repE0EEENS1_30default_config_static_selectorELNS0_4arch9wavefront6targetE0EEEvS12_: ; @_ZN7rocprim17ROCPRIM_400000_NS6detail17trampoline_kernelINS0_13select_configILj256ELj13ELNS0_17block_load_methodE3ELS4_3ELS4_3ELNS0_20block_scan_algorithmE0ELj4294967295EEENS1_25partition_config_selectorILNS1_17partition_subalgoE4EjNS0_10empty_typeEbEEZZNS1_14partition_implILS8_4ELb0ES6_15HIP_vector_typeIjLj2EENS0_17counting_iteratorIjlEEPS9_SG_NS0_5tupleIJPjSI_NS0_16reverse_iteratorISI_EEEEENSH_IJSG_SG_SG_EEES9_SI_JZNS1_25segmented_radix_sort_implINS0_14default_configELb1EPKbPbPKlPlN2at6native12_GLOBAL__N_18offset_tEEE10hipError_tPvRmT1_PNSt15iterator_traitsIS12_E10value_typeET2_T3_PNS13_IS18_E10value_typeET4_jRbjT5_S1E_jjP12ihipStream_tbEUljE_ZNSN_ISO_Lb1ESQ_SR_ST_SU_SY_EESZ_S10_S11_S12_S16_S17_S18_S1B_S1C_jS1D_jS1E_S1E_jjS1G_bEUljE0_EEESZ_S10_S11_S18_S1C_S1E_T6_T7_T9_mT8_S1G_bDpT10_ENKUlT_T0_E_clISt17integral_constantIbLb0EES1U_EEDaS1P_S1Q_EUlS1P_E_NS1_11comp_targetILNS1_3genE4ELNS1_11target_archE910ELNS1_3gpuE8ELNS1_3repE0EEENS1_30default_config_static_selectorELNS0_4arch9wavefront6targetE0EEEvS12_
; %bb.0:
	.section	.rodata,"a",@progbits
	.p2align	6, 0x0
	.amdhsa_kernel _ZN7rocprim17ROCPRIM_400000_NS6detail17trampoline_kernelINS0_13select_configILj256ELj13ELNS0_17block_load_methodE3ELS4_3ELS4_3ELNS0_20block_scan_algorithmE0ELj4294967295EEENS1_25partition_config_selectorILNS1_17partition_subalgoE4EjNS0_10empty_typeEbEEZZNS1_14partition_implILS8_4ELb0ES6_15HIP_vector_typeIjLj2EENS0_17counting_iteratorIjlEEPS9_SG_NS0_5tupleIJPjSI_NS0_16reverse_iteratorISI_EEEEENSH_IJSG_SG_SG_EEES9_SI_JZNS1_25segmented_radix_sort_implINS0_14default_configELb1EPKbPbPKlPlN2at6native12_GLOBAL__N_18offset_tEEE10hipError_tPvRmT1_PNSt15iterator_traitsIS12_E10value_typeET2_T3_PNS13_IS18_E10value_typeET4_jRbjT5_S1E_jjP12ihipStream_tbEUljE_ZNSN_ISO_Lb1ESQ_SR_ST_SU_SY_EESZ_S10_S11_S12_S16_S17_S18_S1B_S1C_jS1D_jS1E_S1E_jjS1G_bEUljE0_EEESZ_S10_S11_S18_S1C_S1E_T6_T7_T9_mT8_S1G_bDpT10_ENKUlT_T0_E_clISt17integral_constantIbLb0EES1U_EEDaS1P_S1Q_EUlS1P_E_NS1_11comp_targetILNS1_3genE4ELNS1_11target_archE910ELNS1_3gpuE8ELNS1_3repE0EEENS1_30default_config_static_selectorELNS0_4arch9wavefront6targetE0EEEvS12_
		.amdhsa_group_segment_fixed_size 0
		.amdhsa_private_segment_fixed_size 0
		.amdhsa_kernarg_size 176
		.amdhsa_user_sgpr_count 6
		.amdhsa_user_sgpr_private_segment_buffer 1
		.amdhsa_user_sgpr_dispatch_ptr 0
		.amdhsa_user_sgpr_queue_ptr 0
		.amdhsa_user_sgpr_kernarg_segment_ptr 1
		.amdhsa_user_sgpr_dispatch_id 0
		.amdhsa_user_sgpr_flat_scratch_init 0
		.amdhsa_user_sgpr_private_segment_size 0
		.amdhsa_wavefront_size32 1
		.amdhsa_uses_dynamic_stack 0
		.amdhsa_system_sgpr_private_segment_wavefront_offset 0
		.amdhsa_system_sgpr_workgroup_id_x 1
		.amdhsa_system_sgpr_workgroup_id_y 0
		.amdhsa_system_sgpr_workgroup_id_z 0
		.amdhsa_system_sgpr_workgroup_info 0
		.amdhsa_system_vgpr_workitem_id 0
		.amdhsa_next_free_vgpr 1
		.amdhsa_next_free_sgpr 1
		.amdhsa_reserve_vcc 0
		.amdhsa_reserve_flat_scratch 0
		.amdhsa_float_round_mode_32 0
		.amdhsa_float_round_mode_16_64 0
		.amdhsa_float_denorm_mode_32 3
		.amdhsa_float_denorm_mode_16_64 3
		.amdhsa_dx10_clamp 1
		.amdhsa_ieee_mode 1
		.amdhsa_fp16_overflow 0
		.amdhsa_workgroup_processor_mode 1
		.amdhsa_memory_ordered 1
		.amdhsa_forward_progress 1
		.amdhsa_shared_vgpr_count 0
		.amdhsa_exception_fp_ieee_invalid_op 0
		.amdhsa_exception_fp_denorm_src 0
		.amdhsa_exception_fp_ieee_div_zero 0
		.amdhsa_exception_fp_ieee_overflow 0
		.amdhsa_exception_fp_ieee_underflow 0
		.amdhsa_exception_fp_ieee_inexact 0
		.amdhsa_exception_int_div_zero 0
	.end_amdhsa_kernel
	.section	.text._ZN7rocprim17ROCPRIM_400000_NS6detail17trampoline_kernelINS0_13select_configILj256ELj13ELNS0_17block_load_methodE3ELS4_3ELS4_3ELNS0_20block_scan_algorithmE0ELj4294967295EEENS1_25partition_config_selectorILNS1_17partition_subalgoE4EjNS0_10empty_typeEbEEZZNS1_14partition_implILS8_4ELb0ES6_15HIP_vector_typeIjLj2EENS0_17counting_iteratorIjlEEPS9_SG_NS0_5tupleIJPjSI_NS0_16reverse_iteratorISI_EEEEENSH_IJSG_SG_SG_EEES9_SI_JZNS1_25segmented_radix_sort_implINS0_14default_configELb1EPKbPbPKlPlN2at6native12_GLOBAL__N_18offset_tEEE10hipError_tPvRmT1_PNSt15iterator_traitsIS12_E10value_typeET2_T3_PNS13_IS18_E10value_typeET4_jRbjT5_S1E_jjP12ihipStream_tbEUljE_ZNSN_ISO_Lb1ESQ_SR_ST_SU_SY_EESZ_S10_S11_S12_S16_S17_S18_S1B_S1C_jS1D_jS1E_S1E_jjS1G_bEUljE0_EEESZ_S10_S11_S18_S1C_S1E_T6_T7_T9_mT8_S1G_bDpT10_ENKUlT_T0_E_clISt17integral_constantIbLb0EES1U_EEDaS1P_S1Q_EUlS1P_E_NS1_11comp_targetILNS1_3genE4ELNS1_11target_archE910ELNS1_3gpuE8ELNS1_3repE0EEENS1_30default_config_static_selectorELNS0_4arch9wavefront6targetE0EEEvS12_,"axG",@progbits,_ZN7rocprim17ROCPRIM_400000_NS6detail17trampoline_kernelINS0_13select_configILj256ELj13ELNS0_17block_load_methodE3ELS4_3ELS4_3ELNS0_20block_scan_algorithmE0ELj4294967295EEENS1_25partition_config_selectorILNS1_17partition_subalgoE4EjNS0_10empty_typeEbEEZZNS1_14partition_implILS8_4ELb0ES6_15HIP_vector_typeIjLj2EENS0_17counting_iteratorIjlEEPS9_SG_NS0_5tupleIJPjSI_NS0_16reverse_iteratorISI_EEEEENSH_IJSG_SG_SG_EEES9_SI_JZNS1_25segmented_radix_sort_implINS0_14default_configELb1EPKbPbPKlPlN2at6native12_GLOBAL__N_18offset_tEEE10hipError_tPvRmT1_PNSt15iterator_traitsIS12_E10value_typeET2_T3_PNS13_IS18_E10value_typeET4_jRbjT5_S1E_jjP12ihipStream_tbEUljE_ZNSN_ISO_Lb1ESQ_SR_ST_SU_SY_EESZ_S10_S11_S12_S16_S17_S18_S1B_S1C_jS1D_jS1E_S1E_jjS1G_bEUljE0_EEESZ_S10_S11_S18_S1C_S1E_T6_T7_T9_mT8_S1G_bDpT10_ENKUlT_T0_E_clISt17integral_constantIbLb0EES1U_EEDaS1P_S1Q_EUlS1P_E_NS1_11comp_targetILNS1_3genE4ELNS1_11target_archE910ELNS1_3gpuE8ELNS1_3repE0EEENS1_30default_config_static_selectorELNS0_4arch9wavefront6targetE0EEEvS12_,comdat
.Lfunc_end1462:
	.size	_ZN7rocprim17ROCPRIM_400000_NS6detail17trampoline_kernelINS0_13select_configILj256ELj13ELNS0_17block_load_methodE3ELS4_3ELS4_3ELNS0_20block_scan_algorithmE0ELj4294967295EEENS1_25partition_config_selectorILNS1_17partition_subalgoE4EjNS0_10empty_typeEbEEZZNS1_14partition_implILS8_4ELb0ES6_15HIP_vector_typeIjLj2EENS0_17counting_iteratorIjlEEPS9_SG_NS0_5tupleIJPjSI_NS0_16reverse_iteratorISI_EEEEENSH_IJSG_SG_SG_EEES9_SI_JZNS1_25segmented_radix_sort_implINS0_14default_configELb1EPKbPbPKlPlN2at6native12_GLOBAL__N_18offset_tEEE10hipError_tPvRmT1_PNSt15iterator_traitsIS12_E10value_typeET2_T3_PNS13_IS18_E10value_typeET4_jRbjT5_S1E_jjP12ihipStream_tbEUljE_ZNSN_ISO_Lb1ESQ_SR_ST_SU_SY_EESZ_S10_S11_S12_S16_S17_S18_S1B_S1C_jS1D_jS1E_S1E_jjS1G_bEUljE0_EEESZ_S10_S11_S18_S1C_S1E_T6_T7_T9_mT8_S1G_bDpT10_ENKUlT_T0_E_clISt17integral_constantIbLb0EES1U_EEDaS1P_S1Q_EUlS1P_E_NS1_11comp_targetILNS1_3genE4ELNS1_11target_archE910ELNS1_3gpuE8ELNS1_3repE0EEENS1_30default_config_static_selectorELNS0_4arch9wavefront6targetE0EEEvS12_, .Lfunc_end1462-_ZN7rocprim17ROCPRIM_400000_NS6detail17trampoline_kernelINS0_13select_configILj256ELj13ELNS0_17block_load_methodE3ELS4_3ELS4_3ELNS0_20block_scan_algorithmE0ELj4294967295EEENS1_25partition_config_selectorILNS1_17partition_subalgoE4EjNS0_10empty_typeEbEEZZNS1_14partition_implILS8_4ELb0ES6_15HIP_vector_typeIjLj2EENS0_17counting_iteratorIjlEEPS9_SG_NS0_5tupleIJPjSI_NS0_16reverse_iteratorISI_EEEEENSH_IJSG_SG_SG_EEES9_SI_JZNS1_25segmented_radix_sort_implINS0_14default_configELb1EPKbPbPKlPlN2at6native12_GLOBAL__N_18offset_tEEE10hipError_tPvRmT1_PNSt15iterator_traitsIS12_E10value_typeET2_T3_PNS13_IS18_E10value_typeET4_jRbjT5_S1E_jjP12ihipStream_tbEUljE_ZNSN_ISO_Lb1ESQ_SR_ST_SU_SY_EESZ_S10_S11_S12_S16_S17_S18_S1B_S1C_jS1D_jS1E_S1E_jjS1G_bEUljE0_EEESZ_S10_S11_S18_S1C_S1E_T6_T7_T9_mT8_S1G_bDpT10_ENKUlT_T0_E_clISt17integral_constantIbLb0EES1U_EEDaS1P_S1Q_EUlS1P_E_NS1_11comp_targetILNS1_3genE4ELNS1_11target_archE910ELNS1_3gpuE8ELNS1_3repE0EEENS1_30default_config_static_selectorELNS0_4arch9wavefront6targetE0EEEvS12_
                                        ; -- End function
	.set _ZN7rocprim17ROCPRIM_400000_NS6detail17trampoline_kernelINS0_13select_configILj256ELj13ELNS0_17block_load_methodE3ELS4_3ELS4_3ELNS0_20block_scan_algorithmE0ELj4294967295EEENS1_25partition_config_selectorILNS1_17partition_subalgoE4EjNS0_10empty_typeEbEEZZNS1_14partition_implILS8_4ELb0ES6_15HIP_vector_typeIjLj2EENS0_17counting_iteratorIjlEEPS9_SG_NS0_5tupleIJPjSI_NS0_16reverse_iteratorISI_EEEEENSH_IJSG_SG_SG_EEES9_SI_JZNS1_25segmented_radix_sort_implINS0_14default_configELb1EPKbPbPKlPlN2at6native12_GLOBAL__N_18offset_tEEE10hipError_tPvRmT1_PNSt15iterator_traitsIS12_E10value_typeET2_T3_PNS13_IS18_E10value_typeET4_jRbjT5_S1E_jjP12ihipStream_tbEUljE_ZNSN_ISO_Lb1ESQ_SR_ST_SU_SY_EESZ_S10_S11_S12_S16_S17_S18_S1B_S1C_jS1D_jS1E_S1E_jjS1G_bEUljE0_EEESZ_S10_S11_S18_S1C_S1E_T6_T7_T9_mT8_S1G_bDpT10_ENKUlT_T0_E_clISt17integral_constantIbLb0EES1U_EEDaS1P_S1Q_EUlS1P_E_NS1_11comp_targetILNS1_3genE4ELNS1_11target_archE910ELNS1_3gpuE8ELNS1_3repE0EEENS1_30default_config_static_selectorELNS0_4arch9wavefront6targetE0EEEvS12_.num_vgpr, 0
	.set _ZN7rocprim17ROCPRIM_400000_NS6detail17trampoline_kernelINS0_13select_configILj256ELj13ELNS0_17block_load_methodE3ELS4_3ELS4_3ELNS0_20block_scan_algorithmE0ELj4294967295EEENS1_25partition_config_selectorILNS1_17partition_subalgoE4EjNS0_10empty_typeEbEEZZNS1_14partition_implILS8_4ELb0ES6_15HIP_vector_typeIjLj2EENS0_17counting_iteratorIjlEEPS9_SG_NS0_5tupleIJPjSI_NS0_16reverse_iteratorISI_EEEEENSH_IJSG_SG_SG_EEES9_SI_JZNS1_25segmented_radix_sort_implINS0_14default_configELb1EPKbPbPKlPlN2at6native12_GLOBAL__N_18offset_tEEE10hipError_tPvRmT1_PNSt15iterator_traitsIS12_E10value_typeET2_T3_PNS13_IS18_E10value_typeET4_jRbjT5_S1E_jjP12ihipStream_tbEUljE_ZNSN_ISO_Lb1ESQ_SR_ST_SU_SY_EESZ_S10_S11_S12_S16_S17_S18_S1B_S1C_jS1D_jS1E_S1E_jjS1G_bEUljE0_EEESZ_S10_S11_S18_S1C_S1E_T6_T7_T9_mT8_S1G_bDpT10_ENKUlT_T0_E_clISt17integral_constantIbLb0EES1U_EEDaS1P_S1Q_EUlS1P_E_NS1_11comp_targetILNS1_3genE4ELNS1_11target_archE910ELNS1_3gpuE8ELNS1_3repE0EEENS1_30default_config_static_selectorELNS0_4arch9wavefront6targetE0EEEvS12_.num_agpr, 0
	.set _ZN7rocprim17ROCPRIM_400000_NS6detail17trampoline_kernelINS0_13select_configILj256ELj13ELNS0_17block_load_methodE3ELS4_3ELS4_3ELNS0_20block_scan_algorithmE0ELj4294967295EEENS1_25partition_config_selectorILNS1_17partition_subalgoE4EjNS0_10empty_typeEbEEZZNS1_14partition_implILS8_4ELb0ES6_15HIP_vector_typeIjLj2EENS0_17counting_iteratorIjlEEPS9_SG_NS0_5tupleIJPjSI_NS0_16reverse_iteratorISI_EEEEENSH_IJSG_SG_SG_EEES9_SI_JZNS1_25segmented_radix_sort_implINS0_14default_configELb1EPKbPbPKlPlN2at6native12_GLOBAL__N_18offset_tEEE10hipError_tPvRmT1_PNSt15iterator_traitsIS12_E10value_typeET2_T3_PNS13_IS18_E10value_typeET4_jRbjT5_S1E_jjP12ihipStream_tbEUljE_ZNSN_ISO_Lb1ESQ_SR_ST_SU_SY_EESZ_S10_S11_S12_S16_S17_S18_S1B_S1C_jS1D_jS1E_S1E_jjS1G_bEUljE0_EEESZ_S10_S11_S18_S1C_S1E_T6_T7_T9_mT8_S1G_bDpT10_ENKUlT_T0_E_clISt17integral_constantIbLb0EES1U_EEDaS1P_S1Q_EUlS1P_E_NS1_11comp_targetILNS1_3genE4ELNS1_11target_archE910ELNS1_3gpuE8ELNS1_3repE0EEENS1_30default_config_static_selectorELNS0_4arch9wavefront6targetE0EEEvS12_.numbered_sgpr, 0
	.set _ZN7rocprim17ROCPRIM_400000_NS6detail17trampoline_kernelINS0_13select_configILj256ELj13ELNS0_17block_load_methodE3ELS4_3ELS4_3ELNS0_20block_scan_algorithmE0ELj4294967295EEENS1_25partition_config_selectorILNS1_17partition_subalgoE4EjNS0_10empty_typeEbEEZZNS1_14partition_implILS8_4ELb0ES6_15HIP_vector_typeIjLj2EENS0_17counting_iteratorIjlEEPS9_SG_NS0_5tupleIJPjSI_NS0_16reverse_iteratorISI_EEEEENSH_IJSG_SG_SG_EEES9_SI_JZNS1_25segmented_radix_sort_implINS0_14default_configELb1EPKbPbPKlPlN2at6native12_GLOBAL__N_18offset_tEEE10hipError_tPvRmT1_PNSt15iterator_traitsIS12_E10value_typeET2_T3_PNS13_IS18_E10value_typeET4_jRbjT5_S1E_jjP12ihipStream_tbEUljE_ZNSN_ISO_Lb1ESQ_SR_ST_SU_SY_EESZ_S10_S11_S12_S16_S17_S18_S1B_S1C_jS1D_jS1E_S1E_jjS1G_bEUljE0_EEESZ_S10_S11_S18_S1C_S1E_T6_T7_T9_mT8_S1G_bDpT10_ENKUlT_T0_E_clISt17integral_constantIbLb0EES1U_EEDaS1P_S1Q_EUlS1P_E_NS1_11comp_targetILNS1_3genE4ELNS1_11target_archE910ELNS1_3gpuE8ELNS1_3repE0EEENS1_30default_config_static_selectorELNS0_4arch9wavefront6targetE0EEEvS12_.num_named_barrier, 0
	.set _ZN7rocprim17ROCPRIM_400000_NS6detail17trampoline_kernelINS0_13select_configILj256ELj13ELNS0_17block_load_methodE3ELS4_3ELS4_3ELNS0_20block_scan_algorithmE0ELj4294967295EEENS1_25partition_config_selectorILNS1_17partition_subalgoE4EjNS0_10empty_typeEbEEZZNS1_14partition_implILS8_4ELb0ES6_15HIP_vector_typeIjLj2EENS0_17counting_iteratorIjlEEPS9_SG_NS0_5tupleIJPjSI_NS0_16reverse_iteratorISI_EEEEENSH_IJSG_SG_SG_EEES9_SI_JZNS1_25segmented_radix_sort_implINS0_14default_configELb1EPKbPbPKlPlN2at6native12_GLOBAL__N_18offset_tEEE10hipError_tPvRmT1_PNSt15iterator_traitsIS12_E10value_typeET2_T3_PNS13_IS18_E10value_typeET4_jRbjT5_S1E_jjP12ihipStream_tbEUljE_ZNSN_ISO_Lb1ESQ_SR_ST_SU_SY_EESZ_S10_S11_S12_S16_S17_S18_S1B_S1C_jS1D_jS1E_S1E_jjS1G_bEUljE0_EEESZ_S10_S11_S18_S1C_S1E_T6_T7_T9_mT8_S1G_bDpT10_ENKUlT_T0_E_clISt17integral_constantIbLb0EES1U_EEDaS1P_S1Q_EUlS1P_E_NS1_11comp_targetILNS1_3genE4ELNS1_11target_archE910ELNS1_3gpuE8ELNS1_3repE0EEENS1_30default_config_static_selectorELNS0_4arch9wavefront6targetE0EEEvS12_.private_seg_size, 0
	.set _ZN7rocprim17ROCPRIM_400000_NS6detail17trampoline_kernelINS0_13select_configILj256ELj13ELNS0_17block_load_methodE3ELS4_3ELS4_3ELNS0_20block_scan_algorithmE0ELj4294967295EEENS1_25partition_config_selectorILNS1_17partition_subalgoE4EjNS0_10empty_typeEbEEZZNS1_14partition_implILS8_4ELb0ES6_15HIP_vector_typeIjLj2EENS0_17counting_iteratorIjlEEPS9_SG_NS0_5tupleIJPjSI_NS0_16reverse_iteratorISI_EEEEENSH_IJSG_SG_SG_EEES9_SI_JZNS1_25segmented_radix_sort_implINS0_14default_configELb1EPKbPbPKlPlN2at6native12_GLOBAL__N_18offset_tEEE10hipError_tPvRmT1_PNSt15iterator_traitsIS12_E10value_typeET2_T3_PNS13_IS18_E10value_typeET4_jRbjT5_S1E_jjP12ihipStream_tbEUljE_ZNSN_ISO_Lb1ESQ_SR_ST_SU_SY_EESZ_S10_S11_S12_S16_S17_S18_S1B_S1C_jS1D_jS1E_S1E_jjS1G_bEUljE0_EEESZ_S10_S11_S18_S1C_S1E_T6_T7_T9_mT8_S1G_bDpT10_ENKUlT_T0_E_clISt17integral_constantIbLb0EES1U_EEDaS1P_S1Q_EUlS1P_E_NS1_11comp_targetILNS1_3genE4ELNS1_11target_archE910ELNS1_3gpuE8ELNS1_3repE0EEENS1_30default_config_static_selectorELNS0_4arch9wavefront6targetE0EEEvS12_.uses_vcc, 0
	.set _ZN7rocprim17ROCPRIM_400000_NS6detail17trampoline_kernelINS0_13select_configILj256ELj13ELNS0_17block_load_methodE3ELS4_3ELS4_3ELNS0_20block_scan_algorithmE0ELj4294967295EEENS1_25partition_config_selectorILNS1_17partition_subalgoE4EjNS0_10empty_typeEbEEZZNS1_14partition_implILS8_4ELb0ES6_15HIP_vector_typeIjLj2EENS0_17counting_iteratorIjlEEPS9_SG_NS0_5tupleIJPjSI_NS0_16reverse_iteratorISI_EEEEENSH_IJSG_SG_SG_EEES9_SI_JZNS1_25segmented_radix_sort_implINS0_14default_configELb1EPKbPbPKlPlN2at6native12_GLOBAL__N_18offset_tEEE10hipError_tPvRmT1_PNSt15iterator_traitsIS12_E10value_typeET2_T3_PNS13_IS18_E10value_typeET4_jRbjT5_S1E_jjP12ihipStream_tbEUljE_ZNSN_ISO_Lb1ESQ_SR_ST_SU_SY_EESZ_S10_S11_S12_S16_S17_S18_S1B_S1C_jS1D_jS1E_S1E_jjS1G_bEUljE0_EEESZ_S10_S11_S18_S1C_S1E_T6_T7_T9_mT8_S1G_bDpT10_ENKUlT_T0_E_clISt17integral_constantIbLb0EES1U_EEDaS1P_S1Q_EUlS1P_E_NS1_11comp_targetILNS1_3genE4ELNS1_11target_archE910ELNS1_3gpuE8ELNS1_3repE0EEENS1_30default_config_static_selectorELNS0_4arch9wavefront6targetE0EEEvS12_.uses_flat_scratch, 0
	.set _ZN7rocprim17ROCPRIM_400000_NS6detail17trampoline_kernelINS0_13select_configILj256ELj13ELNS0_17block_load_methodE3ELS4_3ELS4_3ELNS0_20block_scan_algorithmE0ELj4294967295EEENS1_25partition_config_selectorILNS1_17partition_subalgoE4EjNS0_10empty_typeEbEEZZNS1_14partition_implILS8_4ELb0ES6_15HIP_vector_typeIjLj2EENS0_17counting_iteratorIjlEEPS9_SG_NS0_5tupleIJPjSI_NS0_16reverse_iteratorISI_EEEEENSH_IJSG_SG_SG_EEES9_SI_JZNS1_25segmented_radix_sort_implINS0_14default_configELb1EPKbPbPKlPlN2at6native12_GLOBAL__N_18offset_tEEE10hipError_tPvRmT1_PNSt15iterator_traitsIS12_E10value_typeET2_T3_PNS13_IS18_E10value_typeET4_jRbjT5_S1E_jjP12ihipStream_tbEUljE_ZNSN_ISO_Lb1ESQ_SR_ST_SU_SY_EESZ_S10_S11_S12_S16_S17_S18_S1B_S1C_jS1D_jS1E_S1E_jjS1G_bEUljE0_EEESZ_S10_S11_S18_S1C_S1E_T6_T7_T9_mT8_S1G_bDpT10_ENKUlT_T0_E_clISt17integral_constantIbLb0EES1U_EEDaS1P_S1Q_EUlS1P_E_NS1_11comp_targetILNS1_3genE4ELNS1_11target_archE910ELNS1_3gpuE8ELNS1_3repE0EEENS1_30default_config_static_selectorELNS0_4arch9wavefront6targetE0EEEvS12_.has_dyn_sized_stack, 0
	.set _ZN7rocprim17ROCPRIM_400000_NS6detail17trampoline_kernelINS0_13select_configILj256ELj13ELNS0_17block_load_methodE3ELS4_3ELS4_3ELNS0_20block_scan_algorithmE0ELj4294967295EEENS1_25partition_config_selectorILNS1_17partition_subalgoE4EjNS0_10empty_typeEbEEZZNS1_14partition_implILS8_4ELb0ES6_15HIP_vector_typeIjLj2EENS0_17counting_iteratorIjlEEPS9_SG_NS0_5tupleIJPjSI_NS0_16reverse_iteratorISI_EEEEENSH_IJSG_SG_SG_EEES9_SI_JZNS1_25segmented_radix_sort_implINS0_14default_configELb1EPKbPbPKlPlN2at6native12_GLOBAL__N_18offset_tEEE10hipError_tPvRmT1_PNSt15iterator_traitsIS12_E10value_typeET2_T3_PNS13_IS18_E10value_typeET4_jRbjT5_S1E_jjP12ihipStream_tbEUljE_ZNSN_ISO_Lb1ESQ_SR_ST_SU_SY_EESZ_S10_S11_S12_S16_S17_S18_S1B_S1C_jS1D_jS1E_S1E_jjS1G_bEUljE0_EEESZ_S10_S11_S18_S1C_S1E_T6_T7_T9_mT8_S1G_bDpT10_ENKUlT_T0_E_clISt17integral_constantIbLb0EES1U_EEDaS1P_S1Q_EUlS1P_E_NS1_11comp_targetILNS1_3genE4ELNS1_11target_archE910ELNS1_3gpuE8ELNS1_3repE0EEENS1_30default_config_static_selectorELNS0_4arch9wavefront6targetE0EEEvS12_.has_recursion, 0
	.set _ZN7rocprim17ROCPRIM_400000_NS6detail17trampoline_kernelINS0_13select_configILj256ELj13ELNS0_17block_load_methodE3ELS4_3ELS4_3ELNS0_20block_scan_algorithmE0ELj4294967295EEENS1_25partition_config_selectorILNS1_17partition_subalgoE4EjNS0_10empty_typeEbEEZZNS1_14partition_implILS8_4ELb0ES6_15HIP_vector_typeIjLj2EENS0_17counting_iteratorIjlEEPS9_SG_NS0_5tupleIJPjSI_NS0_16reverse_iteratorISI_EEEEENSH_IJSG_SG_SG_EEES9_SI_JZNS1_25segmented_radix_sort_implINS0_14default_configELb1EPKbPbPKlPlN2at6native12_GLOBAL__N_18offset_tEEE10hipError_tPvRmT1_PNSt15iterator_traitsIS12_E10value_typeET2_T3_PNS13_IS18_E10value_typeET4_jRbjT5_S1E_jjP12ihipStream_tbEUljE_ZNSN_ISO_Lb1ESQ_SR_ST_SU_SY_EESZ_S10_S11_S12_S16_S17_S18_S1B_S1C_jS1D_jS1E_S1E_jjS1G_bEUljE0_EEESZ_S10_S11_S18_S1C_S1E_T6_T7_T9_mT8_S1G_bDpT10_ENKUlT_T0_E_clISt17integral_constantIbLb0EES1U_EEDaS1P_S1Q_EUlS1P_E_NS1_11comp_targetILNS1_3genE4ELNS1_11target_archE910ELNS1_3gpuE8ELNS1_3repE0EEENS1_30default_config_static_selectorELNS0_4arch9wavefront6targetE0EEEvS12_.has_indirect_call, 0
	.section	.AMDGPU.csdata,"",@progbits
; Kernel info:
; codeLenInByte = 0
; TotalNumSgprs: 0
; NumVgprs: 0
; ScratchSize: 0
; MemoryBound: 0
; FloatMode: 240
; IeeeMode: 1
; LDSByteSize: 0 bytes/workgroup (compile time only)
; SGPRBlocks: 0
; VGPRBlocks: 0
; NumSGPRsForWavesPerEU: 1
; NumVGPRsForWavesPerEU: 1
; Occupancy: 16
; WaveLimiterHint : 0
; COMPUTE_PGM_RSRC2:SCRATCH_EN: 0
; COMPUTE_PGM_RSRC2:USER_SGPR: 6
; COMPUTE_PGM_RSRC2:TRAP_HANDLER: 0
; COMPUTE_PGM_RSRC2:TGID_X_EN: 1
; COMPUTE_PGM_RSRC2:TGID_Y_EN: 0
; COMPUTE_PGM_RSRC2:TGID_Z_EN: 0
; COMPUTE_PGM_RSRC2:TIDIG_COMP_CNT: 0
	.section	.text._ZN7rocprim17ROCPRIM_400000_NS6detail17trampoline_kernelINS0_13select_configILj256ELj13ELNS0_17block_load_methodE3ELS4_3ELS4_3ELNS0_20block_scan_algorithmE0ELj4294967295EEENS1_25partition_config_selectorILNS1_17partition_subalgoE4EjNS0_10empty_typeEbEEZZNS1_14partition_implILS8_4ELb0ES6_15HIP_vector_typeIjLj2EENS0_17counting_iteratorIjlEEPS9_SG_NS0_5tupleIJPjSI_NS0_16reverse_iteratorISI_EEEEENSH_IJSG_SG_SG_EEES9_SI_JZNS1_25segmented_radix_sort_implINS0_14default_configELb1EPKbPbPKlPlN2at6native12_GLOBAL__N_18offset_tEEE10hipError_tPvRmT1_PNSt15iterator_traitsIS12_E10value_typeET2_T3_PNS13_IS18_E10value_typeET4_jRbjT5_S1E_jjP12ihipStream_tbEUljE_ZNSN_ISO_Lb1ESQ_SR_ST_SU_SY_EESZ_S10_S11_S12_S16_S17_S18_S1B_S1C_jS1D_jS1E_S1E_jjS1G_bEUljE0_EEESZ_S10_S11_S18_S1C_S1E_T6_T7_T9_mT8_S1G_bDpT10_ENKUlT_T0_E_clISt17integral_constantIbLb0EES1U_EEDaS1P_S1Q_EUlS1P_E_NS1_11comp_targetILNS1_3genE3ELNS1_11target_archE908ELNS1_3gpuE7ELNS1_3repE0EEENS1_30default_config_static_selectorELNS0_4arch9wavefront6targetE0EEEvS12_,"axG",@progbits,_ZN7rocprim17ROCPRIM_400000_NS6detail17trampoline_kernelINS0_13select_configILj256ELj13ELNS0_17block_load_methodE3ELS4_3ELS4_3ELNS0_20block_scan_algorithmE0ELj4294967295EEENS1_25partition_config_selectorILNS1_17partition_subalgoE4EjNS0_10empty_typeEbEEZZNS1_14partition_implILS8_4ELb0ES6_15HIP_vector_typeIjLj2EENS0_17counting_iteratorIjlEEPS9_SG_NS0_5tupleIJPjSI_NS0_16reverse_iteratorISI_EEEEENSH_IJSG_SG_SG_EEES9_SI_JZNS1_25segmented_radix_sort_implINS0_14default_configELb1EPKbPbPKlPlN2at6native12_GLOBAL__N_18offset_tEEE10hipError_tPvRmT1_PNSt15iterator_traitsIS12_E10value_typeET2_T3_PNS13_IS18_E10value_typeET4_jRbjT5_S1E_jjP12ihipStream_tbEUljE_ZNSN_ISO_Lb1ESQ_SR_ST_SU_SY_EESZ_S10_S11_S12_S16_S17_S18_S1B_S1C_jS1D_jS1E_S1E_jjS1G_bEUljE0_EEESZ_S10_S11_S18_S1C_S1E_T6_T7_T9_mT8_S1G_bDpT10_ENKUlT_T0_E_clISt17integral_constantIbLb0EES1U_EEDaS1P_S1Q_EUlS1P_E_NS1_11comp_targetILNS1_3genE3ELNS1_11target_archE908ELNS1_3gpuE7ELNS1_3repE0EEENS1_30default_config_static_selectorELNS0_4arch9wavefront6targetE0EEEvS12_,comdat
	.globl	_ZN7rocprim17ROCPRIM_400000_NS6detail17trampoline_kernelINS0_13select_configILj256ELj13ELNS0_17block_load_methodE3ELS4_3ELS4_3ELNS0_20block_scan_algorithmE0ELj4294967295EEENS1_25partition_config_selectorILNS1_17partition_subalgoE4EjNS0_10empty_typeEbEEZZNS1_14partition_implILS8_4ELb0ES6_15HIP_vector_typeIjLj2EENS0_17counting_iteratorIjlEEPS9_SG_NS0_5tupleIJPjSI_NS0_16reverse_iteratorISI_EEEEENSH_IJSG_SG_SG_EEES9_SI_JZNS1_25segmented_radix_sort_implINS0_14default_configELb1EPKbPbPKlPlN2at6native12_GLOBAL__N_18offset_tEEE10hipError_tPvRmT1_PNSt15iterator_traitsIS12_E10value_typeET2_T3_PNS13_IS18_E10value_typeET4_jRbjT5_S1E_jjP12ihipStream_tbEUljE_ZNSN_ISO_Lb1ESQ_SR_ST_SU_SY_EESZ_S10_S11_S12_S16_S17_S18_S1B_S1C_jS1D_jS1E_S1E_jjS1G_bEUljE0_EEESZ_S10_S11_S18_S1C_S1E_T6_T7_T9_mT8_S1G_bDpT10_ENKUlT_T0_E_clISt17integral_constantIbLb0EES1U_EEDaS1P_S1Q_EUlS1P_E_NS1_11comp_targetILNS1_3genE3ELNS1_11target_archE908ELNS1_3gpuE7ELNS1_3repE0EEENS1_30default_config_static_selectorELNS0_4arch9wavefront6targetE0EEEvS12_ ; -- Begin function _ZN7rocprim17ROCPRIM_400000_NS6detail17trampoline_kernelINS0_13select_configILj256ELj13ELNS0_17block_load_methodE3ELS4_3ELS4_3ELNS0_20block_scan_algorithmE0ELj4294967295EEENS1_25partition_config_selectorILNS1_17partition_subalgoE4EjNS0_10empty_typeEbEEZZNS1_14partition_implILS8_4ELb0ES6_15HIP_vector_typeIjLj2EENS0_17counting_iteratorIjlEEPS9_SG_NS0_5tupleIJPjSI_NS0_16reverse_iteratorISI_EEEEENSH_IJSG_SG_SG_EEES9_SI_JZNS1_25segmented_radix_sort_implINS0_14default_configELb1EPKbPbPKlPlN2at6native12_GLOBAL__N_18offset_tEEE10hipError_tPvRmT1_PNSt15iterator_traitsIS12_E10value_typeET2_T3_PNS13_IS18_E10value_typeET4_jRbjT5_S1E_jjP12ihipStream_tbEUljE_ZNSN_ISO_Lb1ESQ_SR_ST_SU_SY_EESZ_S10_S11_S12_S16_S17_S18_S1B_S1C_jS1D_jS1E_S1E_jjS1G_bEUljE0_EEESZ_S10_S11_S18_S1C_S1E_T6_T7_T9_mT8_S1G_bDpT10_ENKUlT_T0_E_clISt17integral_constantIbLb0EES1U_EEDaS1P_S1Q_EUlS1P_E_NS1_11comp_targetILNS1_3genE3ELNS1_11target_archE908ELNS1_3gpuE7ELNS1_3repE0EEENS1_30default_config_static_selectorELNS0_4arch9wavefront6targetE0EEEvS12_
	.p2align	8
	.type	_ZN7rocprim17ROCPRIM_400000_NS6detail17trampoline_kernelINS0_13select_configILj256ELj13ELNS0_17block_load_methodE3ELS4_3ELS4_3ELNS0_20block_scan_algorithmE0ELj4294967295EEENS1_25partition_config_selectorILNS1_17partition_subalgoE4EjNS0_10empty_typeEbEEZZNS1_14partition_implILS8_4ELb0ES6_15HIP_vector_typeIjLj2EENS0_17counting_iteratorIjlEEPS9_SG_NS0_5tupleIJPjSI_NS0_16reverse_iteratorISI_EEEEENSH_IJSG_SG_SG_EEES9_SI_JZNS1_25segmented_radix_sort_implINS0_14default_configELb1EPKbPbPKlPlN2at6native12_GLOBAL__N_18offset_tEEE10hipError_tPvRmT1_PNSt15iterator_traitsIS12_E10value_typeET2_T3_PNS13_IS18_E10value_typeET4_jRbjT5_S1E_jjP12ihipStream_tbEUljE_ZNSN_ISO_Lb1ESQ_SR_ST_SU_SY_EESZ_S10_S11_S12_S16_S17_S18_S1B_S1C_jS1D_jS1E_S1E_jjS1G_bEUljE0_EEESZ_S10_S11_S18_S1C_S1E_T6_T7_T9_mT8_S1G_bDpT10_ENKUlT_T0_E_clISt17integral_constantIbLb0EES1U_EEDaS1P_S1Q_EUlS1P_E_NS1_11comp_targetILNS1_3genE3ELNS1_11target_archE908ELNS1_3gpuE7ELNS1_3repE0EEENS1_30default_config_static_selectorELNS0_4arch9wavefront6targetE0EEEvS12_,@function
_ZN7rocprim17ROCPRIM_400000_NS6detail17trampoline_kernelINS0_13select_configILj256ELj13ELNS0_17block_load_methodE3ELS4_3ELS4_3ELNS0_20block_scan_algorithmE0ELj4294967295EEENS1_25partition_config_selectorILNS1_17partition_subalgoE4EjNS0_10empty_typeEbEEZZNS1_14partition_implILS8_4ELb0ES6_15HIP_vector_typeIjLj2EENS0_17counting_iteratorIjlEEPS9_SG_NS0_5tupleIJPjSI_NS0_16reverse_iteratorISI_EEEEENSH_IJSG_SG_SG_EEES9_SI_JZNS1_25segmented_radix_sort_implINS0_14default_configELb1EPKbPbPKlPlN2at6native12_GLOBAL__N_18offset_tEEE10hipError_tPvRmT1_PNSt15iterator_traitsIS12_E10value_typeET2_T3_PNS13_IS18_E10value_typeET4_jRbjT5_S1E_jjP12ihipStream_tbEUljE_ZNSN_ISO_Lb1ESQ_SR_ST_SU_SY_EESZ_S10_S11_S12_S16_S17_S18_S1B_S1C_jS1D_jS1E_S1E_jjS1G_bEUljE0_EEESZ_S10_S11_S18_S1C_S1E_T6_T7_T9_mT8_S1G_bDpT10_ENKUlT_T0_E_clISt17integral_constantIbLb0EES1U_EEDaS1P_S1Q_EUlS1P_E_NS1_11comp_targetILNS1_3genE3ELNS1_11target_archE908ELNS1_3gpuE7ELNS1_3repE0EEENS1_30default_config_static_selectorELNS0_4arch9wavefront6targetE0EEEvS12_: ; @_ZN7rocprim17ROCPRIM_400000_NS6detail17trampoline_kernelINS0_13select_configILj256ELj13ELNS0_17block_load_methodE3ELS4_3ELS4_3ELNS0_20block_scan_algorithmE0ELj4294967295EEENS1_25partition_config_selectorILNS1_17partition_subalgoE4EjNS0_10empty_typeEbEEZZNS1_14partition_implILS8_4ELb0ES6_15HIP_vector_typeIjLj2EENS0_17counting_iteratorIjlEEPS9_SG_NS0_5tupleIJPjSI_NS0_16reverse_iteratorISI_EEEEENSH_IJSG_SG_SG_EEES9_SI_JZNS1_25segmented_radix_sort_implINS0_14default_configELb1EPKbPbPKlPlN2at6native12_GLOBAL__N_18offset_tEEE10hipError_tPvRmT1_PNSt15iterator_traitsIS12_E10value_typeET2_T3_PNS13_IS18_E10value_typeET4_jRbjT5_S1E_jjP12ihipStream_tbEUljE_ZNSN_ISO_Lb1ESQ_SR_ST_SU_SY_EESZ_S10_S11_S12_S16_S17_S18_S1B_S1C_jS1D_jS1E_S1E_jjS1G_bEUljE0_EEESZ_S10_S11_S18_S1C_S1E_T6_T7_T9_mT8_S1G_bDpT10_ENKUlT_T0_E_clISt17integral_constantIbLb0EES1U_EEDaS1P_S1Q_EUlS1P_E_NS1_11comp_targetILNS1_3genE3ELNS1_11target_archE908ELNS1_3gpuE7ELNS1_3repE0EEENS1_30default_config_static_selectorELNS0_4arch9wavefront6targetE0EEEvS12_
; %bb.0:
	.section	.rodata,"a",@progbits
	.p2align	6, 0x0
	.amdhsa_kernel _ZN7rocprim17ROCPRIM_400000_NS6detail17trampoline_kernelINS0_13select_configILj256ELj13ELNS0_17block_load_methodE3ELS4_3ELS4_3ELNS0_20block_scan_algorithmE0ELj4294967295EEENS1_25partition_config_selectorILNS1_17partition_subalgoE4EjNS0_10empty_typeEbEEZZNS1_14partition_implILS8_4ELb0ES6_15HIP_vector_typeIjLj2EENS0_17counting_iteratorIjlEEPS9_SG_NS0_5tupleIJPjSI_NS0_16reverse_iteratorISI_EEEEENSH_IJSG_SG_SG_EEES9_SI_JZNS1_25segmented_radix_sort_implINS0_14default_configELb1EPKbPbPKlPlN2at6native12_GLOBAL__N_18offset_tEEE10hipError_tPvRmT1_PNSt15iterator_traitsIS12_E10value_typeET2_T3_PNS13_IS18_E10value_typeET4_jRbjT5_S1E_jjP12ihipStream_tbEUljE_ZNSN_ISO_Lb1ESQ_SR_ST_SU_SY_EESZ_S10_S11_S12_S16_S17_S18_S1B_S1C_jS1D_jS1E_S1E_jjS1G_bEUljE0_EEESZ_S10_S11_S18_S1C_S1E_T6_T7_T9_mT8_S1G_bDpT10_ENKUlT_T0_E_clISt17integral_constantIbLb0EES1U_EEDaS1P_S1Q_EUlS1P_E_NS1_11comp_targetILNS1_3genE3ELNS1_11target_archE908ELNS1_3gpuE7ELNS1_3repE0EEENS1_30default_config_static_selectorELNS0_4arch9wavefront6targetE0EEEvS12_
		.amdhsa_group_segment_fixed_size 0
		.amdhsa_private_segment_fixed_size 0
		.amdhsa_kernarg_size 176
		.amdhsa_user_sgpr_count 6
		.amdhsa_user_sgpr_private_segment_buffer 1
		.amdhsa_user_sgpr_dispatch_ptr 0
		.amdhsa_user_sgpr_queue_ptr 0
		.amdhsa_user_sgpr_kernarg_segment_ptr 1
		.amdhsa_user_sgpr_dispatch_id 0
		.amdhsa_user_sgpr_flat_scratch_init 0
		.amdhsa_user_sgpr_private_segment_size 0
		.amdhsa_wavefront_size32 1
		.amdhsa_uses_dynamic_stack 0
		.amdhsa_system_sgpr_private_segment_wavefront_offset 0
		.amdhsa_system_sgpr_workgroup_id_x 1
		.amdhsa_system_sgpr_workgroup_id_y 0
		.amdhsa_system_sgpr_workgroup_id_z 0
		.amdhsa_system_sgpr_workgroup_info 0
		.amdhsa_system_vgpr_workitem_id 0
		.amdhsa_next_free_vgpr 1
		.amdhsa_next_free_sgpr 1
		.amdhsa_reserve_vcc 0
		.amdhsa_reserve_flat_scratch 0
		.amdhsa_float_round_mode_32 0
		.amdhsa_float_round_mode_16_64 0
		.amdhsa_float_denorm_mode_32 3
		.amdhsa_float_denorm_mode_16_64 3
		.amdhsa_dx10_clamp 1
		.amdhsa_ieee_mode 1
		.amdhsa_fp16_overflow 0
		.amdhsa_workgroup_processor_mode 1
		.amdhsa_memory_ordered 1
		.amdhsa_forward_progress 1
		.amdhsa_shared_vgpr_count 0
		.amdhsa_exception_fp_ieee_invalid_op 0
		.amdhsa_exception_fp_denorm_src 0
		.amdhsa_exception_fp_ieee_div_zero 0
		.amdhsa_exception_fp_ieee_overflow 0
		.amdhsa_exception_fp_ieee_underflow 0
		.amdhsa_exception_fp_ieee_inexact 0
		.amdhsa_exception_int_div_zero 0
	.end_amdhsa_kernel
	.section	.text._ZN7rocprim17ROCPRIM_400000_NS6detail17trampoline_kernelINS0_13select_configILj256ELj13ELNS0_17block_load_methodE3ELS4_3ELS4_3ELNS0_20block_scan_algorithmE0ELj4294967295EEENS1_25partition_config_selectorILNS1_17partition_subalgoE4EjNS0_10empty_typeEbEEZZNS1_14partition_implILS8_4ELb0ES6_15HIP_vector_typeIjLj2EENS0_17counting_iteratorIjlEEPS9_SG_NS0_5tupleIJPjSI_NS0_16reverse_iteratorISI_EEEEENSH_IJSG_SG_SG_EEES9_SI_JZNS1_25segmented_radix_sort_implINS0_14default_configELb1EPKbPbPKlPlN2at6native12_GLOBAL__N_18offset_tEEE10hipError_tPvRmT1_PNSt15iterator_traitsIS12_E10value_typeET2_T3_PNS13_IS18_E10value_typeET4_jRbjT5_S1E_jjP12ihipStream_tbEUljE_ZNSN_ISO_Lb1ESQ_SR_ST_SU_SY_EESZ_S10_S11_S12_S16_S17_S18_S1B_S1C_jS1D_jS1E_S1E_jjS1G_bEUljE0_EEESZ_S10_S11_S18_S1C_S1E_T6_T7_T9_mT8_S1G_bDpT10_ENKUlT_T0_E_clISt17integral_constantIbLb0EES1U_EEDaS1P_S1Q_EUlS1P_E_NS1_11comp_targetILNS1_3genE3ELNS1_11target_archE908ELNS1_3gpuE7ELNS1_3repE0EEENS1_30default_config_static_selectorELNS0_4arch9wavefront6targetE0EEEvS12_,"axG",@progbits,_ZN7rocprim17ROCPRIM_400000_NS6detail17trampoline_kernelINS0_13select_configILj256ELj13ELNS0_17block_load_methodE3ELS4_3ELS4_3ELNS0_20block_scan_algorithmE0ELj4294967295EEENS1_25partition_config_selectorILNS1_17partition_subalgoE4EjNS0_10empty_typeEbEEZZNS1_14partition_implILS8_4ELb0ES6_15HIP_vector_typeIjLj2EENS0_17counting_iteratorIjlEEPS9_SG_NS0_5tupleIJPjSI_NS0_16reverse_iteratorISI_EEEEENSH_IJSG_SG_SG_EEES9_SI_JZNS1_25segmented_radix_sort_implINS0_14default_configELb1EPKbPbPKlPlN2at6native12_GLOBAL__N_18offset_tEEE10hipError_tPvRmT1_PNSt15iterator_traitsIS12_E10value_typeET2_T3_PNS13_IS18_E10value_typeET4_jRbjT5_S1E_jjP12ihipStream_tbEUljE_ZNSN_ISO_Lb1ESQ_SR_ST_SU_SY_EESZ_S10_S11_S12_S16_S17_S18_S1B_S1C_jS1D_jS1E_S1E_jjS1G_bEUljE0_EEESZ_S10_S11_S18_S1C_S1E_T6_T7_T9_mT8_S1G_bDpT10_ENKUlT_T0_E_clISt17integral_constantIbLb0EES1U_EEDaS1P_S1Q_EUlS1P_E_NS1_11comp_targetILNS1_3genE3ELNS1_11target_archE908ELNS1_3gpuE7ELNS1_3repE0EEENS1_30default_config_static_selectorELNS0_4arch9wavefront6targetE0EEEvS12_,comdat
.Lfunc_end1463:
	.size	_ZN7rocprim17ROCPRIM_400000_NS6detail17trampoline_kernelINS0_13select_configILj256ELj13ELNS0_17block_load_methodE3ELS4_3ELS4_3ELNS0_20block_scan_algorithmE0ELj4294967295EEENS1_25partition_config_selectorILNS1_17partition_subalgoE4EjNS0_10empty_typeEbEEZZNS1_14partition_implILS8_4ELb0ES6_15HIP_vector_typeIjLj2EENS0_17counting_iteratorIjlEEPS9_SG_NS0_5tupleIJPjSI_NS0_16reverse_iteratorISI_EEEEENSH_IJSG_SG_SG_EEES9_SI_JZNS1_25segmented_radix_sort_implINS0_14default_configELb1EPKbPbPKlPlN2at6native12_GLOBAL__N_18offset_tEEE10hipError_tPvRmT1_PNSt15iterator_traitsIS12_E10value_typeET2_T3_PNS13_IS18_E10value_typeET4_jRbjT5_S1E_jjP12ihipStream_tbEUljE_ZNSN_ISO_Lb1ESQ_SR_ST_SU_SY_EESZ_S10_S11_S12_S16_S17_S18_S1B_S1C_jS1D_jS1E_S1E_jjS1G_bEUljE0_EEESZ_S10_S11_S18_S1C_S1E_T6_T7_T9_mT8_S1G_bDpT10_ENKUlT_T0_E_clISt17integral_constantIbLb0EES1U_EEDaS1P_S1Q_EUlS1P_E_NS1_11comp_targetILNS1_3genE3ELNS1_11target_archE908ELNS1_3gpuE7ELNS1_3repE0EEENS1_30default_config_static_selectorELNS0_4arch9wavefront6targetE0EEEvS12_, .Lfunc_end1463-_ZN7rocprim17ROCPRIM_400000_NS6detail17trampoline_kernelINS0_13select_configILj256ELj13ELNS0_17block_load_methodE3ELS4_3ELS4_3ELNS0_20block_scan_algorithmE0ELj4294967295EEENS1_25partition_config_selectorILNS1_17partition_subalgoE4EjNS0_10empty_typeEbEEZZNS1_14partition_implILS8_4ELb0ES6_15HIP_vector_typeIjLj2EENS0_17counting_iteratorIjlEEPS9_SG_NS0_5tupleIJPjSI_NS0_16reverse_iteratorISI_EEEEENSH_IJSG_SG_SG_EEES9_SI_JZNS1_25segmented_radix_sort_implINS0_14default_configELb1EPKbPbPKlPlN2at6native12_GLOBAL__N_18offset_tEEE10hipError_tPvRmT1_PNSt15iterator_traitsIS12_E10value_typeET2_T3_PNS13_IS18_E10value_typeET4_jRbjT5_S1E_jjP12ihipStream_tbEUljE_ZNSN_ISO_Lb1ESQ_SR_ST_SU_SY_EESZ_S10_S11_S12_S16_S17_S18_S1B_S1C_jS1D_jS1E_S1E_jjS1G_bEUljE0_EEESZ_S10_S11_S18_S1C_S1E_T6_T7_T9_mT8_S1G_bDpT10_ENKUlT_T0_E_clISt17integral_constantIbLb0EES1U_EEDaS1P_S1Q_EUlS1P_E_NS1_11comp_targetILNS1_3genE3ELNS1_11target_archE908ELNS1_3gpuE7ELNS1_3repE0EEENS1_30default_config_static_selectorELNS0_4arch9wavefront6targetE0EEEvS12_
                                        ; -- End function
	.set _ZN7rocprim17ROCPRIM_400000_NS6detail17trampoline_kernelINS0_13select_configILj256ELj13ELNS0_17block_load_methodE3ELS4_3ELS4_3ELNS0_20block_scan_algorithmE0ELj4294967295EEENS1_25partition_config_selectorILNS1_17partition_subalgoE4EjNS0_10empty_typeEbEEZZNS1_14partition_implILS8_4ELb0ES6_15HIP_vector_typeIjLj2EENS0_17counting_iteratorIjlEEPS9_SG_NS0_5tupleIJPjSI_NS0_16reverse_iteratorISI_EEEEENSH_IJSG_SG_SG_EEES9_SI_JZNS1_25segmented_radix_sort_implINS0_14default_configELb1EPKbPbPKlPlN2at6native12_GLOBAL__N_18offset_tEEE10hipError_tPvRmT1_PNSt15iterator_traitsIS12_E10value_typeET2_T3_PNS13_IS18_E10value_typeET4_jRbjT5_S1E_jjP12ihipStream_tbEUljE_ZNSN_ISO_Lb1ESQ_SR_ST_SU_SY_EESZ_S10_S11_S12_S16_S17_S18_S1B_S1C_jS1D_jS1E_S1E_jjS1G_bEUljE0_EEESZ_S10_S11_S18_S1C_S1E_T6_T7_T9_mT8_S1G_bDpT10_ENKUlT_T0_E_clISt17integral_constantIbLb0EES1U_EEDaS1P_S1Q_EUlS1P_E_NS1_11comp_targetILNS1_3genE3ELNS1_11target_archE908ELNS1_3gpuE7ELNS1_3repE0EEENS1_30default_config_static_selectorELNS0_4arch9wavefront6targetE0EEEvS12_.num_vgpr, 0
	.set _ZN7rocprim17ROCPRIM_400000_NS6detail17trampoline_kernelINS0_13select_configILj256ELj13ELNS0_17block_load_methodE3ELS4_3ELS4_3ELNS0_20block_scan_algorithmE0ELj4294967295EEENS1_25partition_config_selectorILNS1_17partition_subalgoE4EjNS0_10empty_typeEbEEZZNS1_14partition_implILS8_4ELb0ES6_15HIP_vector_typeIjLj2EENS0_17counting_iteratorIjlEEPS9_SG_NS0_5tupleIJPjSI_NS0_16reverse_iteratorISI_EEEEENSH_IJSG_SG_SG_EEES9_SI_JZNS1_25segmented_radix_sort_implINS0_14default_configELb1EPKbPbPKlPlN2at6native12_GLOBAL__N_18offset_tEEE10hipError_tPvRmT1_PNSt15iterator_traitsIS12_E10value_typeET2_T3_PNS13_IS18_E10value_typeET4_jRbjT5_S1E_jjP12ihipStream_tbEUljE_ZNSN_ISO_Lb1ESQ_SR_ST_SU_SY_EESZ_S10_S11_S12_S16_S17_S18_S1B_S1C_jS1D_jS1E_S1E_jjS1G_bEUljE0_EEESZ_S10_S11_S18_S1C_S1E_T6_T7_T9_mT8_S1G_bDpT10_ENKUlT_T0_E_clISt17integral_constantIbLb0EES1U_EEDaS1P_S1Q_EUlS1P_E_NS1_11comp_targetILNS1_3genE3ELNS1_11target_archE908ELNS1_3gpuE7ELNS1_3repE0EEENS1_30default_config_static_selectorELNS0_4arch9wavefront6targetE0EEEvS12_.num_agpr, 0
	.set _ZN7rocprim17ROCPRIM_400000_NS6detail17trampoline_kernelINS0_13select_configILj256ELj13ELNS0_17block_load_methodE3ELS4_3ELS4_3ELNS0_20block_scan_algorithmE0ELj4294967295EEENS1_25partition_config_selectorILNS1_17partition_subalgoE4EjNS0_10empty_typeEbEEZZNS1_14partition_implILS8_4ELb0ES6_15HIP_vector_typeIjLj2EENS0_17counting_iteratorIjlEEPS9_SG_NS0_5tupleIJPjSI_NS0_16reverse_iteratorISI_EEEEENSH_IJSG_SG_SG_EEES9_SI_JZNS1_25segmented_radix_sort_implINS0_14default_configELb1EPKbPbPKlPlN2at6native12_GLOBAL__N_18offset_tEEE10hipError_tPvRmT1_PNSt15iterator_traitsIS12_E10value_typeET2_T3_PNS13_IS18_E10value_typeET4_jRbjT5_S1E_jjP12ihipStream_tbEUljE_ZNSN_ISO_Lb1ESQ_SR_ST_SU_SY_EESZ_S10_S11_S12_S16_S17_S18_S1B_S1C_jS1D_jS1E_S1E_jjS1G_bEUljE0_EEESZ_S10_S11_S18_S1C_S1E_T6_T7_T9_mT8_S1G_bDpT10_ENKUlT_T0_E_clISt17integral_constantIbLb0EES1U_EEDaS1P_S1Q_EUlS1P_E_NS1_11comp_targetILNS1_3genE3ELNS1_11target_archE908ELNS1_3gpuE7ELNS1_3repE0EEENS1_30default_config_static_selectorELNS0_4arch9wavefront6targetE0EEEvS12_.numbered_sgpr, 0
	.set _ZN7rocprim17ROCPRIM_400000_NS6detail17trampoline_kernelINS0_13select_configILj256ELj13ELNS0_17block_load_methodE3ELS4_3ELS4_3ELNS0_20block_scan_algorithmE0ELj4294967295EEENS1_25partition_config_selectorILNS1_17partition_subalgoE4EjNS0_10empty_typeEbEEZZNS1_14partition_implILS8_4ELb0ES6_15HIP_vector_typeIjLj2EENS0_17counting_iteratorIjlEEPS9_SG_NS0_5tupleIJPjSI_NS0_16reverse_iteratorISI_EEEEENSH_IJSG_SG_SG_EEES9_SI_JZNS1_25segmented_radix_sort_implINS0_14default_configELb1EPKbPbPKlPlN2at6native12_GLOBAL__N_18offset_tEEE10hipError_tPvRmT1_PNSt15iterator_traitsIS12_E10value_typeET2_T3_PNS13_IS18_E10value_typeET4_jRbjT5_S1E_jjP12ihipStream_tbEUljE_ZNSN_ISO_Lb1ESQ_SR_ST_SU_SY_EESZ_S10_S11_S12_S16_S17_S18_S1B_S1C_jS1D_jS1E_S1E_jjS1G_bEUljE0_EEESZ_S10_S11_S18_S1C_S1E_T6_T7_T9_mT8_S1G_bDpT10_ENKUlT_T0_E_clISt17integral_constantIbLb0EES1U_EEDaS1P_S1Q_EUlS1P_E_NS1_11comp_targetILNS1_3genE3ELNS1_11target_archE908ELNS1_3gpuE7ELNS1_3repE0EEENS1_30default_config_static_selectorELNS0_4arch9wavefront6targetE0EEEvS12_.num_named_barrier, 0
	.set _ZN7rocprim17ROCPRIM_400000_NS6detail17trampoline_kernelINS0_13select_configILj256ELj13ELNS0_17block_load_methodE3ELS4_3ELS4_3ELNS0_20block_scan_algorithmE0ELj4294967295EEENS1_25partition_config_selectorILNS1_17partition_subalgoE4EjNS0_10empty_typeEbEEZZNS1_14partition_implILS8_4ELb0ES6_15HIP_vector_typeIjLj2EENS0_17counting_iteratorIjlEEPS9_SG_NS0_5tupleIJPjSI_NS0_16reverse_iteratorISI_EEEEENSH_IJSG_SG_SG_EEES9_SI_JZNS1_25segmented_radix_sort_implINS0_14default_configELb1EPKbPbPKlPlN2at6native12_GLOBAL__N_18offset_tEEE10hipError_tPvRmT1_PNSt15iterator_traitsIS12_E10value_typeET2_T3_PNS13_IS18_E10value_typeET4_jRbjT5_S1E_jjP12ihipStream_tbEUljE_ZNSN_ISO_Lb1ESQ_SR_ST_SU_SY_EESZ_S10_S11_S12_S16_S17_S18_S1B_S1C_jS1D_jS1E_S1E_jjS1G_bEUljE0_EEESZ_S10_S11_S18_S1C_S1E_T6_T7_T9_mT8_S1G_bDpT10_ENKUlT_T0_E_clISt17integral_constantIbLb0EES1U_EEDaS1P_S1Q_EUlS1P_E_NS1_11comp_targetILNS1_3genE3ELNS1_11target_archE908ELNS1_3gpuE7ELNS1_3repE0EEENS1_30default_config_static_selectorELNS0_4arch9wavefront6targetE0EEEvS12_.private_seg_size, 0
	.set _ZN7rocprim17ROCPRIM_400000_NS6detail17trampoline_kernelINS0_13select_configILj256ELj13ELNS0_17block_load_methodE3ELS4_3ELS4_3ELNS0_20block_scan_algorithmE0ELj4294967295EEENS1_25partition_config_selectorILNS1_17partition_subalgoE4EjNS0_10empty_typeEbEEZZNS1_14partition_implILS8_4ELb0ES6_15HIP_vector_typeIjLj2EENS0_17counting_iteratorIjlEEPS9_SG_NS0_5tupleIJPjSI_NS0_16reverse_iteratorISI_EEEEENSH_IJSG_SG_SG_EEES9_SI_JZNS1_25segmented_radix_sort_implINS0_14default_configELb1EPKbPbPKlPlN2at6native12_GLOBAL__N_18offset_tEEE10hipError_tPvRmT1_PNSt15iterator_traitsIS12_E10value_typeET2_T3_PNS13_IS18_E10value_typeET4_jRbjT5_S1E_jjP12ihipStream_tbEUljE_ZNSN_ISO_Lb1ESQ_SR_ST_SU_SY_EESZ_S10_S11_S12_S16_S17_S18_S1B_S1C_jS1D_jS1E_S1E_jjS1G_bEUljE0_EEESZ_S10_S11_S18_S1C_S1E_T6_T7_T9_mT8_S1G_bDpT10_ENKUlT_T0_E_clISt17integral_constantIbLb0EES1U_EEDaS1P_S1Q_EUlS1P_E_NS1_11comp_targetILNS1_3genE3ELNS1_11target_archE908ELNS1_3gpuE7ELNS1_3repE0EEENS1_30default_config_static_selectorELNS0_4arch9wavefront6targetE0EEEvS12_.uses_vcc, 0
	.set _ZN7rocprim17ROCPRIM_400000_NS6detail17trampoline_kernelINS0_13select_configILj256ELj13ELNS0_17block_load_methodE3ELS4_3ELS4_3ELNS0_20block_scan_algorithmE0ELj4294967295EEENS1_25partition_config_selectorILNS1_17partition_subalgoE4EjNS0_10empty_typeEbEEZZNS1_14partition_implILS8_4ELb0ES6_15HIP_vector_typeIjLj2EENS0_17counting_iteratorIjlEEPS9_SG_NS0_5tupleIJPjSI_NS0_16reverse_iteratorISI_EEEEENSH_IJSG_SG_SG_EEES9_SI_JZNS1_25segmented_radix_sort_implINS0_14default_configELb1EPKbPbPKlPlN2at6native12_GLOBAL__N_18offset_tEEE10hipError_tPvRmT1_PNSt15iterator_traitsIS12_E10value_typeET2_T3_PNS13_IS18_E10value_typeET4_jRbjT5_S1E_jjP12ihipStream_tbEUljE_ZNSN_ISO_Lb1ESQ_SR_ST_SU_SY_EESZ_S10_S11_S12_S16_S17_S18_S1B_S1C_jS1D_jS1E_S1E_jjS1G_bEUljE0_EEESZ_S10_S11_S18_S1C_S1E_T6_T7_T9_mT8_S1G_bDpT10_ENKUlT_T0_E_clISt17integral_constantIbLb0EES1U_EEDaS1P_S1Q_EUlS1P_E_NS1_11comp_targetILNS1_3genE3ELNS1_11target_archE908ELNS1_3gpuE7ELNS1_3repE0EEENS1_30default_config_static_selectorELNS0_4arch9wavefront6targetE0EEEvS12_.uses_flat_scratch, 0
	.set _ZN7rocprim17ROCPRIM_400000_NS6detail17trampoline_kernelINS0_13select_configILj256ELj13ELNS0_17block_load_methodE3ELS4_3ELS4_3ELNS0_20block_scan_algorithmE0ELj4294967295EEENS1_25partition_config_selectorILNS1_17partition_subalgoE4EjNS0_10empty_typeEbEEZZNS1_14partition_implILS8_4ELb0ES6_15HIP_vector_typeIjLj2EENS0_17counting_iteratorIjlEEPS9_SG_NS0_5tupleIJPjSI_NS0_16reverse_iteratorISI_EEEEENSH_IJSG_SG_SG_EEES9_SI_JZNS1_25segmented_radix_sort_implINS0_14default_configELb1EPKbPbPKlPlN2at6native12_GLOBAL__N_18offset_tEEE10hipError_tPvRmT1_PNSt15iterator_traitsIS12_E10value_typeET2_T3_PNS13_IS18_E10value_typeET4_jRbjT5_S1E_jjP12ihipStream_tbEUljE_ZNSN_ISO_Lb1ESQ_SR_ST_SU_SY_EESZ_S10_S11_S12_S16_S17_S18_S1B_S1C_jS1D_jS1E_S1E_jjS1G_bEUljE0_EEESZ_S10_S11_S18_S1C_S1E_T6_T7_T9_mT8_S1G_bDpT10_ENKUlT_T0_E_clISt17integral_constantIbLb0EES1U_EEDaS1P_S1Q_EUlS1P_E_NS1_11comp_targetILNS1_3genE3ELNS1_11target_archE908ELNS1_3gpuE7ELNS1_3repE0EEENS1_30default_config_static_selectorELNS0_4arch9wavefront6targetE0EEEvS12_.has_dyn_sized_stack, 0
	.set _ZN7rocprim17ROCPRIM_400000_NS6detail17trampoline_kernelINS0_13select_configILj256ELj13ELNS0_17block_load_methodE3ELS4_3ELS4_3ELNS0_20block_scan_algorithmE0ELj4294967295EEENS1_25partition_config_selectorILNS1_17partition_subalgoE4EjNS0_10empty_typeEbEEZZNS1_14partition_implILS8_4ELb0ES6_15HIP_vector_typeIjLj2EENS0_17counting_iteratorIjlEEPS9_SG_NS0_5tupleIJPjSI_NS0_16reverse_iteratorISI_EEEEENSH_IJSG_SG_SG_EEES9_SI_JZNS1_25segmented_radix_sort_implINS0_14default_configELb1EPKbPbPKlPlN2at6native12_GLOBAL__N_18offset_tEEE10hipError_tPvRmT1_PNSt15iterator_traitsIS12_E10value_typeET2_T3_PNS13_IS18_E10value_typeET4_jRbjT5_S1E_jjP12ihipStream_tbEUljE_ZNSN_ISO_Lb1ESQ_SR_ST_SU_SY_EESZ_S10_S11_S12_S16_S17_S18_S1B_S1C_jS1D_jS1E_S1E_jjS1G_bEUljE0_EEESZ_S10_S11_S18_S1C_S1E_T6_T7_T9_mT8_S1G_bDpT10_ENKUlT_T0_E_clISt17integral_constantIbLb0EES1U_EEDaS1P_S1Q_EUlS1P_E_NS1_11comp_targetILNS1_3genE3ELNS1_11target_archE908ELNS1_3gpuE7ELNS1_3repE0EEENS1_30default_config_static_selectorELNS0_4arch9wavefront6targetE0EEEvS12_.has_recursion, 0
	.set _ZN7rocprim17ROCPRIM_400000_NS6detail17trampoline_kernelINS0_13select_configILj256ELj13ELNS0_17block_load_methodE3ELS4_3ELS4_3ELNS0_20block_scan_algorithmE0ELj4294967295EEENS1_25partition_config_selectorILNS1_17partition_subalgoE4EjNS0_10empty_typeEbEEZZNS1_14partition_implILS8_4ELb0ES6_15HIP_vector_typeIjLj2EENS0_17counting_iteratorIjlEEPS9_SG_NS0_5tupleIJPjSI_NS0_16reverse_iteratorISI_EEEEENSH_IJSG_SG_SG_EEES9_SI_JZNS1_25segmented_radix_sort_implINS0_14default_configELb1EPKbPbPKlPlN2at6native12_GLOBAL__N_18offset_tEEE10hipError_tPvRmT1_PNSt15iterator_traitsIS12_E10value_typeET2_T3_PNS13_IS18_E10value_typeET4_jRbjT5_S1E_jjP12ihipStream_tbEUljE_ZNSN_ISO_Lb1ESQ_SR_ST_SU_SY_EESZ_S10_S11_S12_S16_S17_S18_S1B_S1C_jS1D_jS1E_S1E_jjS1G_bEUljE0_EEESZ_S10_S11_S18_S1C_S1E_T6_T7_T9_mT8_S1G_bDpT10_ENKUlT_T0_E_clISt17integral_constantIbLb0EES1U_EEDaS1P_S1Q_EUlS1P_E_NS1_11comp_targetILNS1_3genE3ELNS1_11target_archE908ELNS1_3gpuE7ELNS1_3repE0EEENS1_30default_config_static_selectorELNS0_4arch9wavefront6targetE0EEEvS12_.has_indirect_call, 0
	.section	.AMDGPU.csdata,"",@progbits
; Kernel info:
; codeLenInByte = 0
; TotalNumSgprs: 0
; NumVgprs: 0
; ScratchSize: 0
; MemoryBound: 0
; FloatMode: 240
; IeeeMode: 1
; LDSByteSize: 0 bytes/workgroup (compile time only)
; SGPRBlocks: 0
; VGPRBlocks: 0
; NumSGPRsForWavesPerEU: 1
; NumVGPRsForWavesPerEU: 1
; Occupancy: 16
; WaveLimiterHint : 0
; COMPUTE_PGM_RSRC2:SCRATCH_EN: 0
; COMPUTE_PGM_RSRC2:USER_SGPR: 6
; COMPUTE_PGM_RSRC2:TRAP_HANDLER: 0
; COMPUTE_PGM_RSRC2:TGID_X_EN: 1
; COMPUTE_PGM_RSRC2:TGID_Y_EN: 0
; COMPUTE_PGM_RSRC2:TGID_Z_EN: 0
; COMPUTE_PGM_RSRC2:TIDIG_COMP_CNT: 0
	.section	.text._ZN7rocprim17ROCPRIM_400000_NS6detail17trampoline_kernelINS0_13select_configILj256ELj13ELNS0_17block_load_methodE3ELS4_3ELS4_3ELNS0_20block_scan_algorithmE0ELj4294967295EEENS1_25partition_config_selectorILNS1_17partition_subalgoE4EjNS0_10empty_typeEbEEZZNS1_14partition_implILS8_4ELb0ES6_15HIP_vector_typeIjLj2EENS0_17counting_iteratorIjlEEPS9_SG_NS0_5tupleIJPjSI_NS0_16reverse_iteratorISI_EEEEENSH_IJSG_SG_SG_EEES9_SI_JZNS1_25segmented_radix_sort_implINS0_14default_configELb1EPKbPbPKlPlN2at6native12_GLOBAL__N_18offset_tEEE10hipError_tPvRmT1_PNSt15iterator_traitsIS12_E10value_typeET2_T3_PNS13_IS18_E10value_typeET4_jRbjT5_S1E_jjP12ihipStream_tbEUljE_ZNSN_ISO_Lb1ESQ_SR_ST_SU_SY_EESZ_S10_S11_S12_S16_S17_S18_S1B_S1C_jS1D_jS1E_S1E_jjS1G_bEUljE0_EEESZ_S10_S11_S18_S1C_S1E_T6_T7_T9_mT8_S1G_bDpT10_ENKUlT_T0_E_clISt17integral_constantIbLb0EES1U_EEDaS1P_S1Q_EUlS1P_E_NS1_11comp_targetILNS1_3genE2ELNS1_11target_archE906ELNS1_3gpuE6ELNS1_3repE0EEENS1_30default_config_static_selectorELNS0_4arch9wavefront6targetE0EEEvS12_,"axG",@progbits,_ZN7rocprim17ROCPRIM_400000_NS6detail17trampoline_kernelINS0_13select_configILj256ELj13ELNS0_17block_load_methodE3ELS4_3ELS4_3ELNS0_20block_scan_algorithmE0ELj4294967295EEENS1_25partition_config_selectorILNS1_17partition_subalgoE4EjNS0_10empty_typeEbEEZZNS1_14partition_implILS8_4ELb0ES6_15HIP_vector_typeIjLj2EENS0_17counting_iteratorIjlEEPS9_SG_NS0_5tupleIJPjSI_NS0_16reverse_iteratorISI_EEEEENSH_IJSG_SG_SG_EEES9_SI_JZNS1_25segmented_radix_sort_implINS0_14default_configELb1EPKbPbPKlPlN2at6native12_GLOBAL__N_18offset_tEEE10hipError_tPvRmT1_PNSt15iterator_traitsIS12_E10value_typeET2_T3_PNS13_IS18_E10value_typeET4_jRbjT5_S1E_jjP12ihipStream_tbEUljE_ZNSN_ISO_Lb1ESQ_SR_ST_SU_SY_EESZ_S10_S11_S12_S16_S17_S18_S1B_S1C_jS1D_jS1E_S1E_jjS1G_bEUljE0_EEESZ_S10_S11_S18_S1C_S1E_T6_T7_T9_mT8_S1G_bDpT10_ENKUlT_T0_E_clISt17integral_constantIbLb0EES1U_EEDaS1P_S1Q_EUlS1P_E_NS1_11comp_targetILNS1_3genE2ELNS1_11target_archE906ELNS1_3gpuE6ELNS1_3repE0EEENS1_30default_config_static_selectorELNS0_4arch9wavefront6targetE0EEEvS12_,comdat
	.globl	_ZN7rocprim17ROCPRIM_400000_NS6detail17trampoline_kernelINS0_13select_configILj256ELj13ELNS0_17block_load_methodE3ELS4_3ELS4_3ELNS0_20block_scan_algorithmE0ELj4294967295EEENS1_25partition_config_selectorILNS1_17partition_subalgoE4EjNS0_10empty_typeEbEEZZNS1_14partition_implILS8_4ELb0ES6_15HIP_vector_typeIjLj2EENS0_17counting_iteratorIjlEEPS9_SG_NS0_5tupleIJPjSI_NS0_16reverse_iteratorISI_EEEEENSH_IJSG_SG_SG_EEES9_SI_JZNS1_25segmented_radix_sort_implINS0_14default_configELb1EPKbPbPKlPlN2at6native12_GLOBAL__N_18offset_tEEE10hipError_tPvRmT1_PNSt15iterator_traitsIS12_E10value_typeET2_T3_PNS13_IS18_E10value_typeET4_jRbjT5_S1E_jjP12ihipStream_tbEUljE_ZNSN_ISO_Lb1ESQ_SR_ST_SU_SY_EESZ_S10_S11_S12_S16_S17_S18_S1B_S1C_jS1D_jS1E_S1E_jjS1G_bEUljE0_EEESZ_S10_S11_S18_S1C_S1E_T6_T7_T9_mT8_S1G_bDpT10_ENKUlT_T0_E_clISt17integral_constantIbLb0EES1U_EEDaS1P_S1Q_EUlS1P_E_NS1_11comp_targetILNS1_3genE2ELNS1_11target_archE906ELNS1_3gpuE6ELNS1_3repE0EEENS1_30default_config_static_selectorELNS0_4arch9wavefront6targetE0EEEvS12_ ; -- Begin function _ZN7rocprim17ROCPRIM_400000_NS6detail17trampoline_kernelINS0_13select_configILj256ELj13ELNS0_17block_load_methodE3ELS4_3ELS4_3ELNS0_20block_scan_algorithmE0ELj4294967295EEENS1_25partition_config_selectorILNS1_17partition_subalgoE4EjNS0_10empty_typeEbEEZZNS1_14partition_implILS8_4ELb0ES6_15HIP_vector_typeIjLj2EENS0_17counting_iteratorIjlEEPS9_SG_NS0_5tupleIJPjSI_NS0_16reverse_iteratorISI_EEEEENSH_IJSG_SG_SG_EEES9_SI_JZNS1_25segmented_radix_sort_implINS0_14default_configELb1EPKbPbPKlPlN2at6native12_GLOBAL__N_18offset_tEEE10hipError_tPvRmT1_PNSt15iterator_traitsIS12_E10value_typeET2_T3_PNS13_IS18_E10value_typeET4_jRbjT5_S1E_jjP12ihipStream_tbEUljE_ZNSN_ISO_Lb1ESQ_SR_ST_SU_SY_EESZ_S10_S11_S12_S16_S17_S18_S1B_S1C_jS1D_jS1E_S1E_jjS1G_bEUljE0_EEESZ_S10_S11_S18_S1C_S1E_T6_T7_T9_mT8_S1G_bDpT10_ENKUlT_T0_E_clISt17integral_constantIbLb0EES1U_EEDaS1P_S1Q_EUlS1P_E_NS1_11comp_targetILNS1_3genE2ELNS1_11target_archE906ELNS1_3gpuE6ELNS1_3repE0EEENS1_30default_config_static_selectorELNS0_4arch9wavefront6targetE0EEEvS12_
	.p2align	8
	.type	_ZN7rocprim17ROCPRIM_400000_NS6detail17trampoline_kernelINS0_13select_configILj256ELj13ELNS0_17block_load_methodE3ELS4_3ELS4_3ELNS0_20block_scan_algorithmE0ELj4294967295EEENS1_25partition_config_selectorILNS1_17partition_subalgoE4EjNS0_10empty_typeEbEEZZNS1_14partition_implILS8_4ELb0ES6_15HIP_vector_typeIjLj2EENS0_17counting_iteratorIjlEEPS9_SG_NS0_5tupleIJPjSI_NS0_16reverse_iteratorISI_EEEEENSH_IJSG_SG_SG_EEES9_SI_JZNS1_25segmented_radix_sort_implINS0_14default_configELb1EPKbPbPKlPlN2at6native12_GLOBAL__N_18offset_tEEE10hipError_tPvRmT1_PNSt15iterator_traitsIS12_E10value_typeET2_T3_PNS13_IS18_E10value_typeET4_jRbjT5_S1E_jjP12ihipStream_tbEUljE_ZNSN_ISO_Lb1ESQ_SR_ST_SU_SY_EESZ_S10_S11_S12_S16_S17_S18_S1B_S1C_jS1D_jS1E_S1E_jjS1G_bEUljE0_EEESZ_S10_S11_S18_S1C_S1E_T6_T7_T9_mT8_S1G_bDpT10_ENKUlT_T0_E_clISt17integral_constantIbLb0EES1U_EEDaS1P_S1Q_EUlS1P_E_NS1_11comp_targetILNS1_3genE2ELNS1_11target_archE906ELNS1_3gpuE6ELNS1_3repE0EEENS1_30default_config_static_selectorELNS0_4arch9wavefront6targetE0EEEvS12_,@function
_ZN7rocprim17ROCPRIM_400000_NS6detail17trampoline_kernelINS0_13select_configILj256ELj13ELNS0_17block_load_methodE3ELS4_3ELS4_3ELNS0_20block_scan_algorithmE0ELj4294967295EEENS1_25partition_config_selectorILNS1_17partition_subalgoE4EjNS0_10empty_typeEbEEZZNS1_14partition_implILS8_4ELb0ES6_15HIP_vector_typeIjLj2EENS0_17counting_iteratorIjlEEPS9_SG_NS0_5tupleIJPjSI_NS0_16reverse_iteratorISI_EEEEENSH_IJSG_SG_SG_EEES9_SI_JZNS1_25segmented_radix_sort_implINS0_14default_configELb1EPKbPbPKlPlN2at6native12_GLOBAL__N_18offset_tEEE10hipError_tPvRmT1_PNSt15iterator_traitsIS12_E10value_typeET2_T3_PNS13_IS18_E10value_typeET4_jRbjT5_S1E_jjP12ihipStream_tbEUljE_ZNSN_ISO_Lb1ESQ_SR_ST_SU_SY_EESZ_S10_S11_S12_S16_S17_S18_S1B_S1C_jS1D_jS1E_S1E_jjS1G_bEUljE0_EEESZ_S10_S11_S18_S1C_S1E_T6_T7_T9_mT8_S1G_bDpT10_ENKUlT_T0_E_clISt17integral_constantIbLb0EES1U_EEDaS1P_S1Q_EUlS1P_E_NS1_11comp_targetILNS1_3genE2ELNS1_11target_archE906ELNS1_3gpuE6ELNS1_3repE0EEENS1_30default_config_static_selectorELNS0_4arch9wavefront6targetE0EEEvS12_: ; @_ZN7rocprim17ROCPRIM_400000_NS6detail17trampoline_kernelINS0_13select_configILj256ELj13ELNS0_17block_load_methodE3ELS4_3ELS4_3ELNS0_20block_scan_algorithmE0ELj4294967295EEENS1_25partition_config_selectorILNS1_17partition_subalgoE4EjNS0_10empty_typeEbEEZZNS1_14partition_implILS8_4ELb0ES6_15HIP_vector_typeIjLj2EENS0_17counting_iteratorIjlEEPS9_SG_NS0_5tupleIJPjSI_NS0_16reverse_iteratorISI_EEEEENSH_IJSG_SG_SG_EEES9_SI_JZNS1_25segmented_radix_sort_implINS0_14default_configELb1EPKbPbPKlPlN2at6native12_GLOBAL__N_18offset_tEEE10hipError_tPvRmT1_PNSt15iterator_traitsIS12_E10value_typeET2_T3_PNS13_IS18_E10value_typeET4_jRbjT5_S1E_jjP12ihipStream_tbEUljE_ZNSN_ISO_Lb1ESQ_SR_ST_SU_SY_EESZ_S10_S11_S12_S16_S17_S18_S1B_S1C_jS1D_jS1E_S1E_jjS1G_bEUljE0_EEESZ_S10_S11_S18_S1C_S1E_T6_T7_T9_mT8_S1G_bDpT10_ENKUlT_T0_E_clISt17integral_constantIbLb0EES1U_EEDaS1P_S1Q_EUlS1P_E_NS1_11comp_targetILNS1_3genE2ELNS1_11target_archE906ELNS1_3gpuE6ELNS1_3repE0EEENS1_30default_config_static_selectorELNS0_4arch9wavefront6targetE0EEEvS12_
; %bb.0:
	.section	.rodata,"a",@progbits
	.p2align	6, 0x0
	.amdhsa_kernel _ZN7rocprim17ROCPRIM_400000_NS6detail17trampoline_kernelINS0_13select_configILj256ELj13ELNS0_17block_load_methodE3ELS4_3ELS4_3ELNS0_20block_scan_algorithmE0ELj4294967295EEENS1_25partition_config_selectorILNS1_17partition_subalgoE4EjNS0_10empty_typeEbEEZZNS1_14partition_implILS8_4ELb0ES6_15HIP_vector_typeIjLj2EENS0_17counting_iteratorIjlEEPS9_SG_NS0_5tupleIJPjSI_NS0_16reverse_iteratorISI_EEEEENSH_IJSG_SG_SG_EEES9_SI_JZNS1_25segmented_radix_sort_implINS0_14default_configELb1EPKbPbPKlPlN2at6native12_GLOBAL__N_18offset_tEEE10hipError_tPvRmT1_PNSt15iterator_traitsIS12_E10value_typeET2_T3_PNS13_IS18_E10value_typeET4_jRbjT5_S1E_jjP12ihipStream_tbEUljE_ZNSN_ISO_Lb1ESQ_SR_ST_SU_SY_EESZ_S10_S11_S12_S16_S17_S18_S1B_S1C_jS1D_jS1E_S1E_jjS1G_bEUljE0_EEESZ_S10_S11_S18_S1C_S1E_T6_T7_T9_mT8_S1G_bDpT10_ENKUlT_T0_E_clISt17integral_constantIbLb0EES1U_EEDaS1P_S1Q_EUlS1P_E_NS1_11comp_targetILNS1_3genE2ELNS1_11target_archE906ELNS1_3gpuE6ELNS1_3repE0EEENS1_30default_config_static_selectorELNS0_4arch9wavefront6targetE0EEEvS12_
		.amdhsa_group_segment_fixed_size 0
		.amdhsa_private_segment_fixed_size 0
		.amdhsa_kernarg_size 176
		.amdhsa_user_sgpr_count 6
		.amdhsa_user_sgpr_private_segment_buffer 1
		.amdhsa_user_sgpr_dispatch_ptr 0
		.amdhsa_user_sgpr_queue_ptr 0
		.amdhsa_user_sgpr_kernarg_segment_ptr 1
		.amdhsa_user_sgpr_dispatch_id 0
		.amdhsa_user_sgpr_flat_scratch_init 0
		.amdhsa_user_sgpr_private_segment_size 0
		.amdhsa_wavefront_size32 1
		.amdhsa_uses_dynamic_stack 0
		.amdhsa_system_sgpr_private_segment_wavefront_offset 0
		.amdhsa_system_sgpr_workgroup_id_x 1
		.amdhsa_system_sgpr_workgroup_id_y 0
		.amdhsa_system_sgpr_workgroup_id_z 0
		.amdhsa_system_sgpr_workgroup_info 0
		.amdhsa_system_vgpr_workitem_id 0
		.amdhsa_next_free_vgpr 1
		.amdhsa_next_free_sgpr 1
		.amdhsa_reserve_vcc 0
		.amdhsa_reserve_flat_scratch 0
		.amdhsa_float_round_mode_32 0
		.amdhsa_float_round_mode_16_64 0
		.amdhsa_float_denorm_mode_32 3
		.amdhsa_float_denorm_mode_16_64 3
		.amdhsa_dx10_clamp 1
		.amdhsa_ieee_mode 1
		.amdhsa_fp16_overflow 0
		.amdhsa_workgroup_processor_mode 1
		.amdhsa_memory_ordered 1
		.amdhsa_forward_progress 1
		.amdhsa_shared_vgpr_count 0
		.amdhsa_exception_fp_ieee_invalid_op 0
		.amdhsa_exception_fp_denorm_src 0
		.amdhsa_exception_fp_ieee_div_zero 0
		.amdhsa_exception_fp_ieee_overflow 0
		.amdhsa_exception_fp_ieee_underflow 0
		.amdhsa_exception_fp_ieee_inexact 0
		.amdhsa_exception_int_div_zero 0
	.end_amdhsa_kernel
	.section	.text._ZN7rocprim17ROCPRIM_400000_NS6detail17trampoline_kernelINS0_13select_configILj256ELj13ELNS0_17block_load_methodE3ELS4_3ELS4_3ELNS0_20block_scan_algorithmE0ELj4294967295EEENS1_25partition_config_selectorILNS1_17partition_subalgoE4EjNS0_10empty_typeEbEEZZNS1_14partition_implILS8_4ELb0ES6_15HIP_vector_typeIjLj2EENS0_17counting_iteratorIjlEEPS9_SG_NS0_5tupleIJPjSI_NS0_16reverse_iteratorISI_EEEEENSH_IJSG_SG_SG_EEES9_SI_JZNS1_25segmented_radix_sort_implINS0_14default_configELb1EPKbPbPKlPlN2at6native12_GLOBAL__N_18offset_tEEE10hipError_tPvRmT1_PNSt15iterator_traitsIS12_E10value_typeET2_T3_PNS13_IS18_E10value_typeET4_jRbjT5_S1E_jjP12ihipStream_tbEUljE_ZNSN_ISO_Lb1ESQ_SR_ST_SU_SY_EESZ_S10_S11_S12_S16_S17_S18_S1B_S1C_jS1D_jS1E_S1E_jjS1G_bEUljE0_EEESZ_S10_S11_S18_S1C_S1E_T6_T7_T9_mT8_S1G_bDpT10_ENKUlT_T0_E_clISt17integral_constantIbLb0EES1U_EEDaS1P_S1Q_EUlS1P_E_NS1_11comp_targetILNS1_3genE2ELNS1_11target_archE906ELNS1_3gpuE6ELNS1_3repE0EEENS1_30default_config_static_selectorELNS0_4arch9wavefront6targetE0EEEvS12_,"axG",@progbits,_ZN7rocprim17ROCPRIM_400000_NS6detail17trampoline_kernelINS0_13select_configILj256ELj13ELNS0_17block_load_methodE3ELS4_3ELS4_3ELNS0_20block_scan_algorithmE0ELj4294967295EEENS1_25partition_config_selectorILNS1_17partition_subalgoE4EjNS0_10empty_typeEbEEZZNS1_14partition_implILS8_4ELb0ES6_15HIP_vector_typeIjLj2EENS0_17counting_iteratorIjlEEPS9_SG_NS0_5tupleIJPjSI_NS0_16reverse_iteratorISI_EEEEENSH_IJSG_SG_SG_EEES9_SI_JZNS1_25segmented_radix_sort_implINS0_14default_configELb1EPKbPbPKlPlN2at6native12_GLOBAL__N_18offset_tEEE10hipError_tPvRmT1_PNSt15iterator_traitsIS12_E10value_typeET2_T3_PNS13_IS18_E10value_typeET4_jRbjT5_S1E_jjP12ihipStream_tbEUljE_ZNSN_ISO_Lb1ESQ_SR_ST_SU_SY_EESZ_S10_S11_S12_S16_S17_S18_S1B_S1C_jS1D_jS1E_S1E_jjS1G_bEUljE0_EEESZ_S10_S11_S18_S1C_S1E_T6_T7_T9_mT8_S1G_bDpT10_ENKUlT_T0_E_clISt17integral_constantIbLb0EES1U_EEDaS1P_S1Q_EUlS1P_E_NS1_11comp_targetILNS1_3genE2ELNS1_11target_archE906ELNS1_3gpuE6ELNS1_3repE0EEENS1_30default_config_static_selectorELNS0_4arch9wavefront6targetE0EEEvS12_,comdat
.Lfunc_end1464:
	.size	_ZN7rocprim17ROCPRIM_400000_NS6detail17trampoline_kernelINS0_13select_configILj256ELj13ELNS0_17block_load_methodE3ELS4_3ELS4_3ELNS0_20block_scan_algorithmE0ELj4294967295EEENS1_25partition_config_selectorILNS1_17partition_subalgoE4EjNS0_10empty_typeEbEEZZNS1_14partition_implILS8_4ELb0ES6_15HIP_vector_typeIjLj2EENS0_17counting_iteratorIjlEEPS9_SG_NS0_5tupleIJPjSI_NS0_16reverse_iteratorISI_EEEEENSH_IJSG_SG_SG_EEES9_SI_JZNS1_25segmented_radix_sort_implINS0_14default_configELb1EPKbPbPKlPlN2at6native12_GLOBAL__N_18offset_tEEE10hipError_tPvRmT1_PNSt15iterator_traitsIS12_E10value_typeET2_T3_PNS13_IS18_E10value_typeET4_jRbjT5_S1E_jjP12ihipStream_tbEUljE_ZNSN_ISO_Lb1ESQ_SR_ST_SU_SY_EESZ_S10_S11_S12_S16_S17_S18_S1B_S1C_jS1D_jS1E_S1E_jjS1G_bEUljE0_EEESZ_S10_S11_S18_S1C_S1E_T6_T7_T9_mT8_S1G_bDpT10_ENKUlT_T0_E_clISt17integral_constantIbLb0EES1U_EEDaS1P_S1Q_EUlS1P_E_NS1_11comp_targetILNS1_3genE2ELNS1_11target_archE906ELNS1_3gpuE6ELNS1_3repE0EEENS1_30default_config_static_selectorELNS0_4arch9wavefront6targetE0EEEvS12_, .Lfunc_end1464-_ZN7rocprim17ROCPRIM_400000_NS6detail17trampoline_kernelINS0_13select_configILj256ELj13ELNS0_17block_load_methodE3ELS4_3ELS4_3ELNS0_20block_scan_algorithmE0ELj4294967295EEENS1_25partition_config_selectorILNS1_17partition_subalgoE4EjNS0_10empty_typeEbEEZZNS1_14partition_implILS8_4ELb0ES6_15HIP_vector_typeIjLj2EENS0_17counting_iteratorIjlEEPS9_SG_NS0_5tupleIJPjSI_NS0_16reverse_iteratorISI_EEEEENSH_IJSG_SG_SG_EEES9_SI_JZNS1_25segmented_radix_sort_implINS0_14default_configELb1EPKbPbPKlPlN2at6native12_GLOBAL__N_18offset_tEEE10hipError_tPvRmT1_PNSt15iterator_traitsIS12_E10value_typeET2_T3_PNS13_IS18_E10value_typeET4_jRbjT5_S1E_jjP12ihipStream_tbEUljE_ZNSN_ISO_Lb1ESQ_SR_ST_SU_SY_EESZ_S10_S11_S12_S16_S17_S18_S1B_S1C_jS1D_jS1E_S1E_jjS1G_bEUljE0_EEESZ_S10_S11_S18_S1C_S1E_T6_T7_T9_mT8_S1G_bDpT10_ENKUlT_T0_E_clISt17integral_constantIbLb0EES1U_EEDaS1P_S1Q_EUlS1P_E_NS1_11comp_targetILNS1_3genE2ELNS1_11target_archE906ELNS1_3gpuE6ELNS1_3repE0EEENS1_30default_config_static_selectorELNS0_4arch9wavefront6targetE0EEEvS12_
                                        ; -- End function
	.set _ZN7rocprim17ROCPRIM_400000_NS6detail17trampoline_kernelINS0_13select_configILj256ELj13ELNS0_17block_load_methodE3ELS4_3ELS4_3ELNS0_20block_scan_algorithmE0ELj4294967295EEENS1_25partition_config_selectorILNS1_17partition_subalgoE4EjNS0_10empty_typeEbEEZZNS1_14partition_implILS8_4ELb0ES6_15HIP_vector_typeIjLj2EENS0_17counting_iteratorIjlEEPS9_SG_NS0_5tupleIJPjSI_NS0_16reverse_iteratorISI_EEEEENSH_IJSG_SG_SG_EEES9_SI_JZNS1_25segmented_radix_sort_implINS0_14default_configELb1EPKbPbPKlPlN2at6native12_GLOBAL__N_18offset_tEEE10hipError_tPvRmT1_PNSt15iterator_traitsIS12_E10value_typeET2_T3_PNS13_IS18_E10value_typeET4_jRbjT5_S1E_jjP12ihipStream_tbEUljE_ZNSN_ISO_Lb1ESQ_SR_ST_SU_SY_EESZ_S10_S11_S12_S16_S17_S18_S1B_S1C_jS1D_jS1E_S1E_jjS1G_bEUljE0_EEESZ_S10_S11_S18_S1C_S1E_T6_T7_T9_mT8_S1G_bDpT10_ENKUlT_T0_E_clISt17integral_constantIbLb0EES1U_EEDaS1P_S1Q_EUlS1P_E_NS1_11comp_targetILNS1_3genE2ELNS1_11target_archE906ELNS1_3gpuE6ELNS1_3repE0EEENS1_30default_config_static_selectorELNS0_4arch9wavefront6targetE0EEEvS12_.num_vgpr, 0
	.set _ZN7rocprim17ROCPRIM_400000_NS6detail17trampoline_kernelINS0_13select_configILj256ELj13ELNS0_17block_load_methodE3ELS4_3ELS4_3ELNS0_20block_scan_algorithmE0ELj4294967295EEENS1_25partition_config_selectorILNS1_17partition_subalgoE4EjNS0_10empty_typeEbEEZZNS1_14partition_implILS8_4ELb0ES6_15HIP_vector_typeIjLj2EENS0_17counting_iteratorIjlEEPS9_SG_NS0_5tupleIJPjSI_NS0_16reverse_iteratorISI_EEEEENSH_IJSG_SG_SG_EEES9_SI_JZNS1_25segmented_radix_sort_implINS0_14default_configELb1EPKbPbPKlPlN2at6native12_GLOBAL__N_18offset_tEEE10hipError_tPvRmT1_PNSt15iterator_traitsIS12_E10value_typeET2_T3_PNS13_IS18_E10value_typeET4_jRbjT5_S1E_jjP12ihipStream_tbEUljE_ZNSN_ISO_Lb1ESQ_SR_ST_SU_SY_EESZ_S10_S11_S12_S16_S17_S18_S1B_S1C_jS1D_jS1E_S1E_jjS1G_bEUljE0_EEESZ_S10_S11_S18_S1C_S1E_T6_T7_T9_mT8_S1G_bDpT10_ENKUlT_T0_E_clISt17integral_constantIbLb0EES1U_EEDaS1P_S1Q_EUlS1P_E_NS1_11comp_targetILNS1_3genE2ELNS1_11target_archE906ELNS1_3gpuE6ELNS1_3repE0EEENS1_30default_config_static_selectorELNS0_4arch9wavefront6targetE0EEEvS12_.num_agpr, 0
	.set _ZN7rocprim17ROCPRIM_400000_NS6detail17trampoline_kernelINS0_13select_configILj256ELj13ELNS0_17block_load_methodE3ELS4_3ELS4_3ELNS0_20block_scan_algorithmE0ELj4294967295EEENS1_25partition_config_selectorILNS1_17partition_subalgoE4EjNS0_10empty_typeEbEEZZNS1_14partition_implILS8_4ELb0ES6_15HIP_vector_typeIjLj2EENS0_17counting_iteratorIjlEEPS9_SG_NS0_5tupleIJPjSI_NS0_16reverse_iteratorISI_EEEEENSH_IJSG_SG_SG_EEES9_SI_JZNS1_25segmented_radix_sort_implINS0_14default_configELb1EPKbPbPKlPlN2at6native12_GLOBAL__N_18offset_tEEE10hipError_tPvRmT1_PNSt15iterator_traitsIS12_E10value_typeET2_T3_PNS13_IS18_E10value_typeET4_jRbjT5_S1E_jjP12ihipStream_tbEUljE_ZNSN_ISO_Lb1ESQ_SR_ST_SU_SY_EESZ_S10_S11_S12_S16_S17_S18_S1B_S1C_jS1D_jS1E_S1E_jjS1G_bEUljE0_EEESZ_S10_S11_S18_S1C_S1E_T6_T7_T9_mT8_S1G_bDpT10_ENKUlT_T0_E_clISt17integral_constantIbLb0EES1U_EEDaS1P_S1Q_EUlS1P_E_NS1_11comp_targetILNS1_3genE2ELNS1_11target_archE906ELNS1_3gpuE6ELNS1_3repE0EEENS1_30default_config_static_selectorELNS0_4arch9wavefront6targetE0EEEvS12_.numbered_sgpr, 0
	.set _ZN7rocprim17ROCPRIM_400000_NS6detail17trampoline_kernelINS0_13select_configILj256ELj13ELNS0_17block_load_methodE3ELS4_3ELS4_3ELNS0_20block_scan_algorithmE0ELj4294967295EEENS1_25partition_config_selectorILNS1_17partition_subalgoE4EjNS0_10empty_typeEbEEZZNS1_14partition_implILS8_4ELb0ES6_15HIP_vector_typeIjLj2EENS0_17counting_iteratorIjlEEPS9_SG_NS0_5tupleIJPjSI_NS0_16reverse_iteratorISI_EEEEENSH_IJSG_SG_SG_EEES9_SI_JZNS1_25segmented_radix_sort_implINS0_14default_configELb1EPKbPbPKlPlN2at6native12_GLOBAL__N_18offset_tEEE10hipError_tPvRmT1_PNSt15iterator_traitsIS12_E10value_typeET2_T3_PNS13_IS18_E10value_typeET4_jRbjT5_S1E_jjP12ihipStream_tbEUljE_ZNSN_ISO_Lb1ESQ_SR_ST_SU_SY_EESZ_S10_S11_S12_S16_S17_S18_S1B_S1C_jS1D_jS1E_S1E_jjS1G_bEUljE0_EEESZ_S10_S11_S18_S1C_S1E_T6_T7_T9_mT8_S1G_bDpT10_ENKUlT_T0_E_clISt17integral_constantIbLb0EES1U_EEDaS1P_S1Q_EUlS1P_E_NS1_11comp_targetILNS1_3genE2ELNS1_11target_archE906ELNS1_3gpuE6ELNS1_3repE0EEENS1_30default_config_static_selectorELNS0_4arch9wavefront6targetE0EEEvS12_.num_named_barrier, 0
	.set _ZN7rocprim17ROCPRIM_400000_NS6detail17trampoline_kernelINS0_13select_configILj256ELj13ELNS0_17block_load_methodE3ELS4_3ELS4_3ELNS0_20block_scan_algorithmE0ELj4294967295EEENS1_25partition_config_selectorILNS1_17partition_subalgoE4EjNS0_10empty_typeEbEEZZNS1_14partition_implILS8_4ELb0ES6_15HIP_vector_typeIjLj2EENS0_17counting_iteratorIjlEEPS9_SG_NS0_5tupleIJPjSI_NS0_16reverse_iteratorISI_EEEEENSH_IJSG_SG_SG_EEES9_SI_JZNS1_25segmented_radix_sort_implINS0_14default_configELb1EPKbPbPKlPlN2at6native12_GLOBAL__N_18offset_tEEE10hipError_tPvRmT1_PNSt15iterator_traitsIS12_E10value_typeET2_T3_PNS13_IS18_E10value_typeET4_jRbjT5_S1E_jjP12ihipStream_tbEUljE_ZNSN_ISO_Lb1ESQ_SR_ST_SU_SY_EESZ_S10_S11_S12_S16_S17_S18_S1B_S1C_jS1D_jS1E_S1E_jjS1G_bEUljE0_EEESZ_S10_S11_S18_S1C_S1E_T6_T7_T9_mT8_S1G_bDpT10_ENKUlT_T0_E_clISt17integral_constantIbLb0EES1U_EEDaS1P_S1Q_EUlS1P_E_NS1_11comp_targetILNS1_3genE2ELNS1_11target_archE906ELNS1_3gpuE6ELNS1_3repE0EEENS1_30default_config_static_selectorELNS0_4arch9wavefront6targetE0EEEvS12_.private_seg_size, 0
	.set _ZN7rocprim17ROCPRIM_400000_NS6detail17trampoline_kernelINS0_13select_configILj256ELj13ELNS0_17block_load_methodE3ELS4_3ELS4_3ELNS0_20block_scan_algorithmE0ELj4294967295EEENS1_25partition_config_selectorILNS1_17partition_subalgoE4EjNS0_10empty_typeEbEEZZNS1_14partition_implILS8_4ELb0ES6_15HIP_vector_typeIjLj2EENS0_17counting_iteratorIjlEEPS9_SG_NS0_5tupleIJPjSI_NS0_16reverse_iteratorISI_EEEEENSH_IJSG_SG_SG_EEES9_SI_JZNS1_25segmented_radix_sort_implINS0_14default_configELb1EPKbPbPKlPlN2at6native12_GLOBAL__N_18offset_tEEE10hipError_tPvRmT1_PNSt15iterator_traitsIS12_E10value_typeET2_T3_PNS13_IS18_E10value_typeET4_jRbjT5_S1E_jjP12ihipStream_tbEUljE_ZNSN_ISO_Lb1ESQ_SR_ST_SU_SY_EESZ_S10_S11_S12_S16_S17_S18_S1B_S1C_jS1D_jS1E_S1E_jjS1G_bEUljE0_EEESZ_S10_S11_S18_S1C_S1E_T6_T7_T9_mT8_S1G_bDpT10_ENKUlT_T0_E_clISt17integral_constantIbLb0EES1U_EEDaS1P_S1Q_EUlS1P_E_NS1_11comp_targetILNS1_3genE2ELNS1_11target_archE906ELNS1_3gpuE6ELNS1_3repE0EEENS1_30default_config_static_selectorELNS0_4arch9wavefront6targetE0EEEvS12_.uses_vcc, 0
	.set _ZN7rocprim17ROCPRIM_400000_NS6detail17trampoline_kernelINS0_13select_configILj256ELj13ELNS0_17block_load_methodE3ELS4_3ELS4_3ELNS0_20block_scan_algorithmE0ELj4294967295EEENS1_25partition_config_selectorILNS1_17partition_subalgoE4EjNS0_10empty_typeEbEEZZNS1_14partition_implILS8_4ELb0ES6_15HIP_vector_typeIjLj2EENS0_17counting_iteratorIjlEEPS9_SG_NS0_5tupleIJPjSI_NS0_16reverse_iteratorISI_EEEEENSH_IJSG_SG_SG_EEES9_SI_JZNS1_25segmented_radix_sort_implINS0_14default_configELb1EPKbPbPKlPlN2at6native12_GLOBAL__N_18offset_tEEE10hipError_tPvRmT1_PNSt15iterator_traitsIS12_E10value_typeET2_T3_PNS13_IS18_E10value_typeET4_jRbjT5_S1E_jjP12ihipStream_tbEUljE_ZNSN_ISO_Lb1ESQ_SR_ST_SU_SY_EESZ_S10_S11_S12_S16_S17_S18_S1B_S1C_jS1D_jS1E_S1E_jjS1G_bEUljE0_EEESZ_S10_S11_S18_S1C_S1E_T6_T7_T9_mT8_S1G_bDpT10_ENKUlT_T0_E_clISt17integral_constantIbLb0EES1U_EEDaS1P_S1Q_EUlS1P_E_NS1_11comp_targetILNS1_3genE2ELNS1_11target_archE906ELNS1_3gpuE6ELNS1_3repE0EEENS1_30default_config_static_selectorELNS0_4arch9wavefront6targetE0EEEvS12_.uses_flat_scratch, 0
	.set _ZN7rocprim17ROCPRIM_400000_NS6detail17trampoline_kernelINS0_13select_configILj256ELj13ELNS0_17block_load_methodE3ELS4_3ELS4_3ELNS0_20block_scan_algorithmE0ELj4294967295EEENS1_25partition_config_selectorILNS1_17partition_subalgoE4EjNS0_10empty_typeEbEEZZNS1_14partition_implILS8_4ELb0ES6_15HIP_vector_typeIjLj2EENS0_17counting_iteratorIjlEEPS9_SG_NS0_5tupleIJPjSI_NS0_16reverse_iteratorISI_EEEEENSH_IJSG_SG_SG_EEES9_SI_JZNS1_25segmented_radix_sort_implINS0_14default_configELb1EPKbPbPKlPlN2at6native12_GLOBAL__N_18offset_tEEE10hipError_tPvRmT1_PNSt15iterator_traitsIS12_E10value_typeET2_T3_PNS13_IS18_E10value_typeET4_jRbjT5_S1E_jjP12ihipStream_tbEUljE_ZNSN_ISO_Lb1ESQ_SR_ST_SU_SY_EESZ_S10_S11_S12_S16_S17_S18_S1B_S1C_jS1D_jS1E_S1E_jjS1G_bEUljE0_EEESZ_S10_S11_S18_S1C_S1E_T6_T7_T9_mT8_S1G_bDpT10_ENKUlT_T0_E_clISt17integral_constantIbLb0EES1U_EEDaS1P_S1Q_EUlS1P_E_NS1_11comp_targetILNS1_3genE2ELNS1_11target_archE906ELNS1_3gpuE6ELNS1_3repE0EEENS1_30default_config_static_selectorELNS0_4arch9wavefront6targetE0EEEvS12_.has_dyn_sized_stack, 0
	.set _ZN7rocprim17ROCPRIM_400000_NS6detail17trampoline_kernelINS0_13select_configILj256ELj13ELNS0_17block_load_methodE3ELS4_3ELS4_3ELNS0_20block_scan_algorithmE0ELj4294967295EEENS1_25partition_config_selectorILNS1_17partition_subalgoE4EjNS0_10empty_typeEbEEZZNS1_14partition_implILS8_4ELb0ES6_15HIP_vector_typeIjLj2EENS0_17counting_iteratorIjlEEPS9_SG_NS0_5tupleIJPjSI_NS0_16reverse_iteratorISI_EEEEENSH_IJSG_SG_SG_EEES9_SI_JZNS1_25segmented_radix_sort_implINS0_14default_configELb1EPKbPbPKlPlN2at6native12_GLOBAL__N_18offset_tEEE10hipError_tPvRmT1_PNSt15iterator_traitsIS12_E10value_typeET2_T3_PNS13_IS18_E10value_typeET4_jRbjT5_S1E_jjP12ihipStream_tbEUljE_ZNSN_ISO_Lb1ESQ_SR_ST_SU_SY_EESZ_S10_S11_S12_S16_S17_S18_S1B_S1C_jS1D_jS1E_S1E_jjS1G_bEUljE0_EEESZ_S10_S11_S18_S1C_S1E_T6_T7_T9_mT8_S1G_bDpT10_ENKUlT_T0_E_clISt17integral_constantIbLb0EES1U_EEDaS1P_S1Q_EUlS1P_E_NS1_11comp_targetILNS1_3genE2ELNS1_11target_archE906ELNS1_3gpuE6ELNS1_3repE0EEENS1_30default_config_static_selectorELNS0_4arch9wavefront6targetE0EEEvS12_.has_recursion, 0
	.set _ZN7rocprim17ROCPRIM_400000_NS6detail17trampoline_kernelINS0_13select_configILj256ELj13ELNS0_17block_load_methodE3ELS4_3ELS4_3ELNS0_20block_scan_algorithmE0ELj4294967295EEENS1_25partition_config_selectorILNS1_17partition_subalgoE4EjNS0_10empty_typeEbEEZZNS1_14partition_implILS8_4ELb0ES6_15HIP_vector_typeIjLj2EENS0_17counting_iteratorIjlEEPS9_SG_NS0_5tupleIJPjSI_NS0_16reverse_iteratorISI_EEEEENSH_IJSG_SG_SG_EEES9_SI_JZNS1_25segmented_radix_sort_implINS0_14default_configELb1EPKbPbPKlPlN2at6native12_GLOBAL__N_18offset_tEEE10hipError_tPvRmT1_PNSt15iterator_traitsIS12_E10value_typeET2_T3_PNS13_IS18_E10value_typeET4_jRbjT5_S1E_jjP12ihipStream_tbEUljE_ZNSN_ISO_Lb1ESQ_SR_ST_SU_SY_EESZ_S10_S11_S12_S16_S17_S18_S1B_S1C_jS1D_jS1E_S1E_jjS1G_bEUljE0_EEESZ_S10_S11_S18_S1C_S1E_T6_T7_T9_mT8_S1G_bDpT10_ENKUlT_T0_E_clISt17integral_constantIbLb0EES1U_EEDaS1P_S1Q_EUlS1P_E_NS1_11comp_targetILNS1_3genE2ELNS1_11target_archE906ELNS1_3gpuE6ELNS1_3repE0EEENS1_30default_config_static_selectorELNS0_4arch9wavefront6targetE0EEEvS12_.has_indirect_call, 0
	.section	.AMDGPU.csdata,"",@progbits
; Kernel info:
; codeLenInByte = 0
; TotalNumSgprs: 0
; NumVgprs: 0
; ScratchSize: 0
; MemoryBound: 0
; FloatMode: 240
; IeeeMode: 1
; LDSByteSize: 0 bytes/workgroup (compile time only)
; SGPRBlocks: 0
; VGPRBlocks: 0
; NumSGPRsForWavesPerEU: 1
; NumVGPRsForWavesPerEU: 1
; Occupancy: 16
; WaveLimiterHint : 0
; COMPUTE_PGM_RSRC2:SCRATCH_EN: 0
; COMPUTE_PGM_RSRC2:USER_SGPR: 6
; COMPUTE_PGM_RSRC2:TRAP_HANDLER: 0
; COMPUTE_PGM_RSRC2:TGID_X_EN: 1
; COMPUTE_PGM_RSRC2:TGID_Y_EN: 0
; COMPUTE_PGM_RSRC2:TGID_Z_EN: 0
; COMPUTE_PGM_RSRC2:TIDIG_COMP_CNT: 0
	.section	.text._ZN7rocprim17ROCPRIM_400000_NS6detail17trampoline_kernelINS0_13select_configILj256ELj13ELNS0_17block_load_methodE3ELS4_3ELS4_3ELNS0_20block_scan_algorithmE0ELj4294967295EEENS1_25partition_config_selectorILNS1_17partition_subalgoE4EjNS0_10empty_typeEbEEZZNS1_14partition_implILS8_4ELb0ES6_15HIP_vector_typeIjLj2EENS0_17counting_iteratorIjlEEPS9_SG_NS0_5tupleIJPjSI_NS0_16reverse_iteratorISI_EEEEENSH_IJSG_SG_SG_EEES9_SI_JZNS1_25segmented_radix_sort_implINS0_14default_configELb1EPKbPbPKlPlN2at6native12_GLOBAL__N_18offset_tEEE10hipError_tPvRmT1_PNSt15iterator_traitsIS12_E10value_typeET2_T3_PNS13_IS18_E10value_typeET4_jRbjT5_S1E_jjP12ihipStream_tbEUljE_ZNSN_ISO_Lb1ESQ_SR_ST_SU_SY_EESZ_S10_S11_S12_S16_S17_S18_S1B_S1C_jS1D_jS1E_S1E_jjS1G_bEUljE0_EEESZ_S10_S11_S18_S1C_S1E_T6_T7_T9_mT8_S1G_bDpT10_ENKUlT_T0_E_clISt17integral_constantIbLb0EES1U_EEDaS1P_S1Q_EUlS1P_E_NS1_11comp_targetILNS1_3genE10ELNS1_11target_archE1200ELNS1_3gpuE4ELNS1_3repE0EEENS1_30default_config_static_selectorELNS0_4arch9wavefront6targetE0EEEvS12_,"axG",@progbits,_ZN7rocprim17ROCPRIM_400000_NS6detail17trampoline_kernelINS0_13select_configILj256ELj13ELNS0_17block_load_methodE3ELS4_3ELS4_3ELNS0_20block_scan_algorithmE0ELj4294967295EEENS1_25partition_config_selectorILNS1_17partition_subalgoE4EjNS0_10empty_typeEbEEZZNS1_14partition_implILS8_4ELb0ES6_15HIP_vector_typeIjLj2EENS0_17counting_iteratorIjlEEPS9_SG_NS0_5tupleIJPjSI_NS0_16reverse_iteratorISI_EEEEENSH_IJSG_SG_SG_EEES9_SI_JZNS1_25segmented_radix_sort_implINS0_14default_configELb1EPKbPbPKlPlN2at6native12_GLOBAL__N_18offset_tEEE10hipError_tPvRmT1_PNSt15iterator_traitsIS12_E10value_typeET2_T3_PNS13_IS18_E10value_typeET4_jRbjT5_S1E_jjP12ihipStream_tbEUljE_ZNSN_ISO_Lb1ESQ_SR_ST_SU_SY_EESZ_S10_S11_S12_S16_S17_S18_S1B_S1C_jS1D_jS1E_S1E_jjS1G_bEUljE0_EEESZ_S10_S11_S18_S1C_S1E_T6_T7_T9_mT8_S1G_bDpT10_ENKUlT_T0_E_clISt17integral_constantIbLb0EES1U_EEDaS1P_S1Q_EUlS1P_E_NS1_11comp_targetILNS1_3genE10ELNS1_11target_archE1200ELNS1_3gpuE4ELNS1_3repE0EEENS1_30default_config_static_selectorELNS0_4arch9wavefront6targetE0EEEvS12_,comdat
	.globl	_ZN7rocprim17ROCPRIM_400000_NS6detail17trampoline_kernelINS0_13select_configILj256ELj13ELNS0_17block_load_methodE3ELS4_3ELS4_3ELNS0_20block_scan_algorithmE0ELj4294967295EEENS1_25partition_config_selectorILNS1_17partition_subalgoE4EjNS0_10empty_typeEbEEZZNS1_14partition_implILS8_4ELb0ES6_15HIP_vector_typeIjLj2EENS0_17counting_iteratorIjlEEPS9_SG_NS0_5tupleIJPjSI_NS0_16reverse_iteratorISI_EEEEENSH_IJSG_SG_SG_EEES9_SI_JZNS1_25segmented_radix_sort_implINS0_14default_configELb1EPKbPbPKlPlN2at6native12_GLOBAL__N_18offset_tEEE10hipError_tPvRmT1_PNSt15iterator_traitsIS12_E10value_typeET2_T3_PNS13_IS18_E10value_typeET4_jRbjT5_S1E_jjP12ihipStream_tbEUljE_ZNSN_ISO_Lb1ESQ_SR_ST_SU_SY_EESZ_S10_S11_S12_S16_S17_S18_S1B_S1C_jS1D_jS1E_S1E_jjS1G_bEUljE0_EEESZ_S10_S11_S18_S1C_S1E_T6_T7_T9_mT8_S1G_bDpT10_ENKUlT_T0_E_clISt17integral_constantIbLb0EES1U_EEDaS1P_S1Q_EUlS1P_E_NS1_11comp_targetILNS1_3genE10ELNS1_11target_archE1200ELNS1_3gpuE4ELNS1_3repE0EEENS1_30default_config_static_selectorELNS0_4arch9wavefront6targetE0EEEvS12_ ; -- Begin function _ZN7rocprim17ROCPRIM_400000_NS6detail17trampoline_kernelINS0_13select_configILj256ELj13ELNS0_17block_load_methodE3ELS4_3ELS4_3ELNS0_20block_scan_algorithmE0ELj4294967295EEENS1_25partition_config_selectorILNS1_17partition_subalgoE4EjNS0_10empty_typeEbEEZZNS1_14partition_implILS8_4ELb0ES6_15HIP_vector_typeIjLj2EENS0_17counting_iteratorIjlEEPS9_SG_NS0_5tupleIJPjSI_NS0_16reverse_iteratorISI_EEEEENSH_IJSG_SG_SG_EEES9_SI_JZNS1_25segmented_radix_sort_implINS0_14default_configELb1EPKbPbPKlPlN2at6native12_GLOBAL__N_18offset_tEEE10hipError_tPvRmT1_PNSt15iterator_traitsIS12_E10value_typeET2_T3_PNS13_IS18_E10value_typeET4_jRbjT5_S1E_jjP12ihipStream_tbEUljE_ZNSN_ISO_Lb1ESQ_SR_ST_SU_SY_EESZ_S10_S11_S12_S16_S17_S18_S1B_S1C_jS1D_jS1E_S1E_jjS1G_bEUljE0_EEESZ_S10_S11_S18_S1C_S1E_T6_T7_T9_mT8_S1G_bDpT10_ENKUlT_T0_E_clISt17integral_constantIbLb0EES1U_EEDaS1P_S1Q_EUlS1P_E_NS1_11comp_targetILNS1_3genE10ELNS1_11target_archE1200ELNS1_3gpuE4ELNS1_3repE0EEENS1_30default_config_static_selectorELNS0_4arch9wavefront6targetE0EEEvS12_
	.p2align	8
	.type	_ZN7rocprim17ROCPRIM_400000_NS6detail17trampoline_kernelINS0_13select_configILj256ELj13ELNS0_17block_load_methodE3ELS4_3ELS4_3ELNS0_20block_scan_algorithmE0ELj4294967295EEENS1_25partition_config_selectorILNS1_17partition_subalgoE4EjNS0_10empty_typeEbEEZZNS1_14partition_implILS8_4ELb0ES6_15HIP_vector_typeIjLj2EENS0_17counting_iteratorIjlEEPS9_SG_NS0_5tupleIJPjSI_NS0_16reverse_iteratorISI_EEEEENSH_IJSG_SG_SG_EEES9_SI_JZNS1_25segmented_radix_sort_implINS0_14default_configELb1EPKbPbPKlPlN2at6native12_GLOBAL__N_18offset_tEEE10hipError_tPvRmT1_PNSt15iterator_traitsIS12_E10value_typeET2_T3_PNS13_IS18_E10value_typeET4_jRbjT5_S1E_jjP12ihipStream_tbEUljE_ZNSN_ISO_Lb1ESQ_SR_ST_SU_SY_EESZ_S10_S11_S12_S16_S17_S18_S1B_S1C_jS1D_jS1E_S1E_jjS1G_bEUljE0_EEESZ_S10_S11_S18_S1C_S1E_T6_T7_T9_mT8_S1G_bDpT10_ENKUlT_T0_E_clISt17integral_constantIbLb0EES1U_EEDaS1P_S1Q_EUlS1P_E_NS1_11comp_targetILNS1_3genE10ELNS1_11target_archE1200ELNS1_3gpuE4ELNS1_3repE0EEENS1_30default_config_static_selectorELNS0_4arch9wavefront6targetE0EEEvS12_,@function
_ZN7rocprim17ROCPRIM_400000_NS6detail17trampoline_kernelINS0_13select_configILj256ELj13ELNS0_17block_load_methodE3ELS4_3ELS4_3ELNS0_20block_scan_algorithmE0ELj4294967295EEENS1_25partition_config_selectorILNS1_17partition_subalgoE4EjNS0_10empty_typeEbEEZZNS1_14partition_implILS8_4ELb0ES6_15HIP_vector_typeIjLj2EENS0_17counting_iteratorIjlEEPS9_SG_NS0_5tupleIJPjSI_NS0_16reverse_iteratorISI_EEEEENSH_IJSG_SG_SG_EEES9_SI_JZNS1_25segmented_radix_sort_implINS0_14default_configELb1EPKbPbPKlPlN2at6native12_GLOBAL__N_18offset_tEEE10hipError_tPvRmT1_PNSt15iterator_traitsIS12_E10value_typeET2_T3_PNS13_IS18_E10value_typeET4_jRbjT5_S1E_jjP12ihipStream_tbEUljE_ZNSN_ISO_Lb1ESQ_SR_ST_SU_SY_EESZ_S10_S11_S12_S16_S17_S18_S1B_S1C_jS1D_jS1E_S1E_jjS1G_bEUljE0_EEESZ_S10_S11_S18_S1C_S1E_T6_T7_T9_mT8_S1G_bDpT10_ENKUlT_T0_E_clISt17integral_constantIbLb0EES1U_EEDaS1P_S1Q_EUlS1P_E_NS1_11comp_targetILNS1_3genE10ELNS1_11target_archE1200ELNS1_3gpuE4ELNS1_3repE0EEENS1_30default_config_static_selectorELNS0_4arch9wavefront6targetE0EEEvS12_: ; @_ZN7rocprim17ROCPRIM_400000_NS6detail17trampoline_kernelINS0_13select_configILj256ELj13ELNS0_17block_load_methodE3ELS4_3ELS4_3ELNS0_20block_scan_algorithmE0ELj4294967295EEENS1_25partition_config_selectorILNS1_17partition_subalgoE4EjNS0_10empty_typeEbEEZZNS1_14partition_implILS8_4ELb0ES6_15HIP_vector_typeIjLj2EENS0_17counting_iteratorIjlEEPS9_SG_NS0_5tupleIJPjSI_NS0_16reverse_iteratorISI_EEEEENSH_IJSG_SG_SG_EEES9_SI_JZNS1_25segmented_radix_sort_implINS0_14default_configELb1EPKbPbPKlPlN2at6native12_GLOBAL__N_18offset_tEEE10hipError_tPvRmT1_PNSt15iterator_traitsIS12_E10value_typeET2_T3_PNS13_IS18_E10value_typeET4_jRbjT5_S1E_jjP12ihipStream_tbEUljE_ZNSN_ISO_Lb1ESQ_SR_ST_SU_SY_EESZ_S10_S11_S12_S16_S17_S18_S1B_S1C_jS1D_jS1E_S1E_jjS1G_bEUljE0_EEESZ_S10_S11_S18_S1C_S1E_T6_T7_T9_mT8_S1G_bDpT10_ENKUlT_T0_E_clISt17integral_constantIbLb0EES1U_EEDaS1P_S1Q_EUlS1P_E_NS1_11comp_targetILNS1_3genE10ELNS1_11target_archE1200ELNS1_3gpuE4ELNS1_3repE0EEENS1_30default_config_static_selectorELNS0_4arch9wavefront6targetE0EEEvS12_
; %bb.0:
	.section	.rodata,"a",@progbits
	.p2align	6, 0x0
	.amdhsa_kernel _ZN7rocprim17ROCPRIM_400000_NS6detail17trampoline_kernelINS0_13select_configILj256ELj13ELNS0_17block_load_methodE3ELS4_3ELS4_3ELNS0_20block_scan_algorithmE0ELj4294967295EEENS1_25partition_config_selectorILNS1_17partition_subalgoE4EjNS0_10empty_typeEbEEZZNS1_14partition_implILS8_4ELb0ES6_15HIP_vector_typeIjLj2EENS0_17counting_iteratorIjlEEPS9_SG_NS0_5tupleIJPjSI_NS0_16reverse_iteratorISI_EEEEENSH_IJSG_SG_SG_EEES9_SI_JZNS1_25segmented_radix_sort_implINS0_14default_configELb1EPKbPbPKlPlN2at6native12_GLOBAL__N_18offset_tEEE10hipError_tPvRmT1_PNSt15iterator_traitsIS12_E10value_typeET2_T3_PNS13_IS18_E10value_typeET4_jRbjT5_S1E_jjP12ihipStream_tbEUljE_ZNSN_ISO_Lb1ESQ_SR_ST_SU_SY_EESZ_S10_S11_S12_S16_S17_S18_S1B_S1C_jS1D_jS1E_S1E_jjS1G_bEUljE0_EEESZ_S10_S11_S18_S1C_S1E_T6_T7_T9_mT8_S1G_bDpT10_ENKUlT_T0_E_clISt17integral_constantIbLb0EES1U_EEDaS1P_S1Q_EUlS1P_E_NS1_11comp_targetILNS1_3genE10ELNS1_11target_archE1200ELNS1_3gpuE4ELNS1_3repE0EEENS1_30default_config_static_selectorELNS0_4arch9wavefront6targetE0EEEvS12_
		.amdhsa_group_segment_fixed_size 0
		.amdhsa_private_segment_fixed_size 0
		.amdhsa_kernarg_size 176
		.amdhsa_user_sgpr_count 6
		.amdhsa_user_sgpr_private_segment_buffer 1
		.amdhsa_user_sgpr_dispatch_ptr 0
		.amdhsa_user_sgpr_queue_ptr 0
		.amdhsa_user_sgpr_kernarg_segment_ptr 1
		.amdhsa_user_sgpr_dispatch_id 0
		.amdhsa_user_sgpr_flat_scratch_init 0
		.amdhsa_user_sgpr_private_segment_size 0
		.amdhsa_wavefront_size32 1
		.amdhsa_uses_dynamic_stack 0
		.amdhsa_system_sgpr_private_segment_wavefront_offset 0
		.amdhsa_system_sgpr_workgroup_id_x 1
		.amdhsa_system_sgpr_workgroup_id_y 0
		.amdhsa_system_sgpr_workgroup_id_z 0
		.amdhsa_system_sgpr_workgroup_info 0
		.amdhsa_system_vgpr_workitem_id 0
		.amdhsa_next_free_vgpr 1
		.amdhsa_next_free_sgpr 1
		.amdhsa_reserve_vcc 0
		.amdhsa_reserve_flat_scratch 0
		.amdhsa_float_round_mode_32 0
		.amdhsa_float_round_mode_16_64 0
		.amdhsa_float_denorm_mode_32 3
		.amdhsa_float_denorm_mode_16_64 3
		.amdhsa_dx10_clamp 1
		.amdhsa_ieee_mode 1
		.amdhsa_fp16_overflow 0
		.amdhsa_workgroup_processor_mode 1
		.amdhsa_memory_ordered 1
		.amdhsa_forward_progress 1
		.amdhsa_shared_vgpr_count 0
		.amdhsa_exception_fp_ieee_invalid_op 0
		.amdhsa_exception_fp_denorm_src 0
		.amdhsa_exception_fp_ieee_div_zero 0
		.amdhsa_exception_fp_ieee_overflow 0
		.amdhsa_exception_fp_ieee_underflow 0
		.amdhsa_exception_fp_ieee_inexact 0
		.amdhsa_exception_int_div_zero 0
	.end_amdhsa_kernel
	.section	.text._ZN7rocprim17ROCPRIM_400000_NS6detail17trampoline_kernelINS0_13select_configILj256ELj13ELNS0_17block_load_methodE3ELS4_3ELS4_3ELNS0_20block_scan_algorithmE0ELj4294967295EEENS1_25partition_config_selectorILNS1_17partition_subalgoE4EjNS0_10empty_typeEbEEZZNS1_14partition_implILS8_4ELb0ES6_15HIP_vector_typeIjLj2EENS0_17counting_iteratorIjlEEPS9_SG_NS0_5tupleIJPjSI_NS0_16reverse_iteratorISI_EEEEENSH_IJSG_SG_SG_EEES9_SI_JZNS1_25segmented_radix_sort_implINS0_14default_configELb1EPKbPbPKlPlN2at6native12_GLOBAL__N_18offset_tEEE10hipError_tPvRmT1_PNSt15iterator_traitsIS12_E10value_typeET2_T3_PNS13_IS18_E10value_typeET4_jRbjT5_S1E_jjP12ihipStream_tbEUljE_ZNSN_ISO_Lb1ESQ_SR_ST_SU_SY_EESZ_S10_S11_S12_S16_S17_S18_S1B_S1C_jS1D_jS1E_S1E_jjS1G_bEUljE0_EEESZ_S10_S11_S18_S1C_S1E_T6_T7_T9_mT8_S1G_bDpT10_ENKUlT_T0_E_clISt17integral_constantIbLb0EES1U_EEDaS1P_S1Q_EUlS1P_E_NS1_11comp_targetILNS1_3genE10ELNS1_11target_archE1200ELNS1_3gpuE4ELNS1_3repE0EEENS1_30default_config_static_selectorELNS0_4arch9wavefront6targetE0EEEvS12_,"axG",@progbits,_ZN7rocprim17ROCPRIM_400000_NS6detail17trampoline_kernelINS0_13select_configILj256ELj13ELNS0_17block_load_methodE3ELS4_3ELS4_3ELNS0_20block_scan_algorithmE0ELj4294967295EEENS1_25partition_config_selectorILNS1_17partition_subalgoE4EjNS0_10empty_typeEbEEZZNS1_14partition_implILS8_4ELb0ES6_15HIP_vector_typeIjLj2EENS0_17counting_iteratorIjlEEPS9_SG_NS0_5tupleIJPjSI_NS0_16reverse_iteratorISI_EEEEENSH_IJSG_SG_SG_EEES9_SI_JZNS1_25segmented_radix_sort_implINS0_14default_configELb1EPKbPbPKlPlN2at6native12_GLOBAL__N_18offset_tEEE10hipError_tPvRmT1_PNSt15iterator_traitsIS12_E10value_typeET2_T3_PNS13_IS18_E10value_typeET4_jRbjT5_S1E_jjP12ihipStream_tbEUljE_ZNSN_ISO_Lb1ESQ_SR_ST_SU_SY_EESZ_S10_S11_S12_S16_S17_S18_S1B_S1C_jS1D_jS1E_S1E_jjS1G_bEUljE0_EEESZ_S10_S11_S18_S1C_S1E_T6_T7_T9_mT8_S1G_bDpT10_ENKUlT_T0_E_clISt17integral_constantIbLb0EES1U_EEDaS1P_S1Q_EUlS1P_E_NS1_11comp_targetILNS1_3genE10ELNS1_11target_archE1200ELNS1_3gpuE4ELNS1_3repE0EEENS1_30default_config_static_selectorELNS0_4arch9wavefront6targetE0EEEvS12_,comdat
.Lfunc_end1465:
	.size	_ZN7rocprim17ROCPRIM_400000_NS6detail17trampoline_kernelINS0_13select_configILj256ELj13ELNS0_17block_load_methodE3ELS4_3ELS4_3ELNS0_20block_scan_algorithmE0ELj4294967295EEENS1_25partition_config_selectorILNS1_17partition_subalgoE4EjNS0_10empty_typeEbEEZZNS1_14partition_implILS8_4ELb0ES6_15HIP_vector_typeIjLj2EENS0_17counting_iteratorIjlEEPS9_SG_NS0_5tupleIJPjSI_NS0_16reverse_iteratorISI_EEEEENSH_IJSG_SG_SG_EEES9_SI_JZNS1_25segmented_radix_sort_implINS0_14default_configELb1EPKbPbPKlPlN2at6native12_GLOBAL__N_18offset_tEEE10hipError_tPvRmT1_PNSt15iterator_traitsIS12_E10value_typeET2_T3_PNS13_IS18_E10value_typeET4_jRbjT5_S1E_jjP12ihipStream_tbEUljE_ZNSN_ISO_Lb1ESQ_SR_ST_SU_SY_EESZ_S10_S11_S12_S16_S17_S18_S1B_S1C_jS1D_jS1E_S1E_jjS1G_bEUljE0_EEESZ_S10_S11_S18_S1C_S1E_T6_T7_T9_mT8_S1G_bDpT10_ENKUlT_T0_E_clISt17integral_constantIbLb0EES1U_EEDaS1P_S1Q_EUlS1P_E_NS1_11comp_targetILNS1_3genE10ELNS1_11target_archE1200ELNS1_3gpuE4ELNS1_3repE0EEENS1_30default_config_static_selectorELNS0_4arch9wavefront6targetE0EEEvS12_, .Lfunc_end1465-_ZN7rocprim17ROCPRIM_400000_NS6detail17trampoline_kernelINS0_13select_configILj256ELj13ELNS0_17block_load_methodE3ELS4_3ELS4_3ELNS0_20block_scan_algorithmE0ELj4294967295EEENS1_25partition_config_selectorILNS1_17partition_subalgoE4EjNS0_10empty_typeEbEEZZNS1_14partition_implILS8_4ELb0ES6_15HIP_vector_typeIjLj2EENS0_17counting_iteratorIjlEEPS9_SG_NS0_5tupleIJPjSI_NS0_16reverse_iteratorISI_EEEEENSH_IJSG_SG_SG_EEES9_SI_JZNS1_25segmented_radix_sort_implINS0_14default_configELb1EPKbPbPKlPlN2at6native12_GLOBAL__N_18offset_tEEE10hipError_tPvRmT1_PNSt15iterator_traitsIS12_E10value_typeET2_T3_PNS13_IS18_E10value_typeET4_jRbjT5_S1E_jjP12ihipStream_tbEUljE_ZNSN_ISO_Lb1ESQ_SR_ST_SU_SY_EESZ_S10_S11_S12_S16_S17_S18_S1B_S1C_jS1D_jS1E_S1E_jjS1G_bEUljE0_EEESZ_S10_S11_S18_S1C_S1E_T6_T7_T9_mT8_S1G_bDpT10_ENKUlT_T0_E_clISt17integral_constantIbLb0EES1U_EEDaS1P_S1Q_EUlS1P_E_NS1_11comp_targetILNS1_3genE10ELNS1_11target_archE1200ELNS1_3gpuE4ELNS1_3repE0EEENS1_30default_config_static_selectorELNS0_4arch9wavefront6targetE0EEEvS12_
                                        ; -- End function
	.set _ZN7rocprim17ROCPRIM_400000_NS6detail17trampoline_kernelINS0_13select_configILj256ELj13ELNS0_17block_load_methodE3ELS4_3ELS4_3ELNS0_20block_scan_algorithmE0ELj4294967295EEENS1_25partition_config_selectorILNS1_17partition_subalgoE4EjNS0_10empty_typeEbEEZZNS1_14partition_implILS8_4ELb0ES6_15HIP_vector_typeIjLj2EENS0_17counting_iteratorIjlEEPS9_SG_NS0_5tupleIJPjSI_NS0_16reverse_iteratorISI_EEEEENSH_IJSG_SG_SG_EEES9_SI_JZNS1_25segmented_radix_sort_implINS0_14default_configELb1EPKbPbPKlPlN2at6native12_GLOBAL__N_18offset_tEEE10hipError_tPvRmT1_PNSt15iterator_traitsIS12_E10value_typeET2_T3_PNS13_IS18_E10value_typeET4_jRbjT5_S1E_jjP12ihipStream_tbEUljE_ZNSN_ISO_Lb1ESQ_SR_ST_SU_SY_EESZ_S10_S11_S12_S16_S17_S18_S1B_S1C_jS1D_jS1E_S1E_jjS1G_bEUljE0_EEESZ_S10_S11_S18_S1C_S1E_T6_T7_T9_mT8_S1G_bDpT10_ENKUlT_T0_E_clISt17integral_constantIbLb0EES1U_EEDaS1P_S1Q_EUlS1P_E_NS1_11comp_targetILNS1_3genE10ELNS1_11target_archE1200ELNS1_3gpuE4ELNS1_3repE0EEENS1_30default_config_static_selectorELNS0_4arch9wavefront6targetE0EEEvS12_.num_vgpr, 0
	.set _ZN7rocprim17ROCPRIM_400000_NS6detail17trampoline_kernelINS0_13select_configILj256ELj13ELNS0_17block_load_methodE3ELS4_3ELS4_3ELNS0_20block_scan_algorithmE0ELj4294967295EEENS1_25partition_config_selectorILNS1_17partition_subalgoE4EjNS0_10empty_typeEbEEZZNS1_14partition_implILS8_4ELb0ES6_15HIP_vector_typeIjLj2EENS0_17counting_iteratorIjlEEPS9_SG_NS0_5tupleIJPjSI_NS0_16reverse_iteratorISI_EEEEENSH_IJSG_SG_SG_EEES9_SI_JZNS1_25segmented_radix_sort_implINS0_14default_configELb1EPKbPbPKlPlN2at6native12_GLOBAL__N_18offset_tEEE10hipError_tPvRmT1_PNSt15iterator_traitsIS12_E10value_typeET2_T3_PNS13_IS18_E10value_typeET4_jRbjT5_S1E_jjP12ihipStream_tbEUljE_ZNSN_ISO_Lb1ESQ_SR_ST_SU_SY_EESZ_S10_S11_S12_S16_S17_S18_S1B_S1C_jS1D_jS1E_S1E_jjS1G_bEUljE0_EEESZ_S10_S11_S18_S1C_S1E_T6_T7_T9_mT8_S1G_bDpT10_ENKUlT_T0_E_clISt17integral_constantIbLb0EES1U_EEDaS1P_S1Q_EUlS1P_E_NS1_11comp_targetILNS1_3genE10ELNS1_11target_archE1200ELNS1_3gpuE4ELNS1_3repE0EEENS1_30default_config_static_selectorELNS0_4arch9wavefront6targetE0EEEvS12_.num_agpr, 0
	.set _ZN7rocprim17ROCPRIM_400000_NS6detail17trampoline_kernelINS0_13select_configILj256ELj13ELNS0_17block_load_methodE3ELS4_3ELS4_3ELNS0_20block_scan_algorithmE0ELj4294967295EEENS1_25partition_config_selectorILNS1_17partition_subalgoE4EjNS0_10empty_typeEbEEZZNS1_14partition_implILS8_4ELb0ES6_15HIP_vector_typeIjLj2EENS0_17counting_iteratorIjlEEPS9_SG_NS0_5tupleIJPjSI_NS0_16reverse_iteratorISI_EEEEENSH_IJSG_SG_SG_EEES9_SI_JZNS1_25segmented_radix_sort_implINS0_14default_configELb1EPKbPbPKlPlN2at6native12_GLOBAL__N_18offset_tEEE10hipError_tPvRmT1_PNSt15iterator_traitsIS12_E10value_typeET2_T3_PNS13_IS18_E10value_typeET4_jRbjT5_S1E_jjP12ihipStream_tbEUljE_ZNSN_ISO_Lb1ESQ_SR_ST_SU_SY_EESZ_S10_S11_S12_S16_S17_S18_S1B_S1C_jS1D_jS1E_S1E_jjS1G_bEUljE0_EEESZ_S10_S11_S18_S1C_S1E_T6_T7_T9_mT8_S1G_bDpT10_ENKUlT_T0_E_clISt17integral_constantIbLb0EES1U_EEDaS1P_S1Q_EUlS1P_E_NS1_11comp_targetILNS1_3genE10ELNS1_11target_archE1200ELNS1_3gpuE4ELNS1_3repE0EEENS1_30default_config_static_selectorELNS0_4arch9wavefront6targetE0EEEvS12_.numbered_sgpr, 0
	.set _ZN7rocprim17ROCPRIM_400000_NS6detail17trampoline_kernelINS0_13select_configILj256ELj13ELNS0_17block_load_methodE3ELS4_3ELS4_3ELNS0_20block_scan_algorithmE0ELj4294967295EEENS1_25partition_config_selectorILNS1_17partition_subalgoE4EjNS0_10empty_typeEbEEZZNS1_14partition_implILS8_4ELb0ES6_15HIP_vector_typeIjLj2EENS0_17counting_iteratorIjlEEPS9_SG_NS0_5tupleIJPjSI_NS0_16reverse_iteratorISI_EEEEENSH_IJSG_SG_SG_EEES9_SI_JZNS1_25segmented_radix_sort_implINS0_14default_configELb1EPKbPbPKlPlN2at6native12_GLOBAL__N_18offset_tEEE10hipError_tPvRmT1_PNSt15iterator_traitsIS12_E10value_typeET2_T3_PNS13_IS18_E10value_typeET4_jRbjT5_S1E_jjP12ihipStream_tbEUljE_ZNSN_ISO_Lb1ESQ_SR_ST_SU_SY_EESZ_S10_S11_S12_S16_S17_S18_S1B_S1C_jS1D_jS1E_S1E_jjS1G_bEUljE0_EEESZ_S10_S11_S18_S1C_S1E_T6_T7_T9_mT8_S1G_bDpT10_ENKUlT_T0_E_clISt17integral_constantIbLb0EES1U_EEDaS1P_S1Q_EUlS1P_E_NS1_11comp_targetILNS1_3genE10ELNS1_11target_archE1200ELNS1_3gpuE4ELNS1_3repE0EEENS1_30default_config_static_selectorELNS0_4arch9wavefront6targetE0EEEvS12_.num_named_barrier, 0
	.set _ZN7rocprim17ROCPRIM_400000_NS6detail17trampoline_kernelINS0_13select_configILj256ELj13ELNS0_17block_load_methodE3ELS4_3ELS4_3ELNS0_20block_scan_algorithmE0ELj4294967295EEENS1_25partition_config_selectorILNS1_17partition_subalgoE4EjNS0_10empty_typeEbEEZZNS1_14partition_implILS8_4ELb0ES6_15HIP_vector_typeIjLj2EENS0_17counting_iteratorIjlEEPS9_SG_NS0_5tupleIJPjSI_NS0_16reverse_iteratorISI_EEEEENSH_IJSG_SG_SG_EEES9_SI_JZNS1_25segmented_radix_sort_implINS0_14default_configELb1EPKbPbPKlPlN2at6native12_GLOBAL__N_18offset_tEEE10hipError_tPvRmT1_PNSt15iterator_traitsIS12_E10value_typeET2_T3_PNS13_IS18_E10value_typeET4_jRbjT5_S1E_jjP12ihipStream_tbEUljE_ZNSN_ISO_Lb1ESQ_SR_ST_SU_SY_EESZ_S10_S11_S12_S16_S17_S18_S1B_S1C_jS1D_jS1E_S1E_jjS1G_bEUljE0_EEESZ_S10_S11_S18_S1C_S1E_T6_T7_T9_mT8_S1G_bDpT10_ENKUlT_T0_E_clISt17integral_constantIbLb0EES1U_EEDaS1P_S1Q_EUlS1P_E_NS1_11comp_targetILNS1_3genE10ELNS1_11target_archE1200ELNS1_3gpuE4ELNS1_3repE0EEENS1_30default_config_static_selectorELNS0_4arch9wavefront6targetE0EEEvS12_.private_seg_size, 0
	.set _ZN7rocprim17ROCPRIM_400000_NS6detail17trampoline_kernelINS0_13select_configILj256ELj13ELNS0_17block_load_methodE3ELS4_3ELS4_3ELNS0_20block_scan_algorithmE0ELj4294967295EEENS1_25partition_config_selectorILNS1_17partition_subalgoE4EjNS0_10empty_typeEbEEZZNS1_14partition_implILS8_4ELb0ES6_15HIP_vector_typeIjLj2EENS0_17counting_iteratorIjlEEPS9_SG_NS0_5tupleIJPjSI_NS0_16reverse_iteratorISI_EEEEENSH_IJSG_SG_SG_EEES9_SI_JZNS1_25segmented_radix_sort_implINS0_14default_configELb1EPKbPbPKlPlN2at6native12_GLOBAL__N_18offset_tEEE10hipError_tPvRmT1_PNSt15iterator_traitsIS12_E10value_typeET2_T3_PNS13_IS18_E10value_typeET4_jRbjT5_S1E_jjP12ihipStream_tbEUljE_ZNSN_ISO_Lb1ESQ_SR_ST_SU_SY_EESZ_S10_S11_S12_S16_S17_S18_S1B_S1C_jS1D_jS1E_S1E_jjS1G_bEUljE0_EEESZ_S10_S11_S18_S1C_S1E_T6_T7_T9_mT8_S1G_bDpT10_ENKUlT_T0_E_clISt17integral_constantIbLb0EES1U_EEDaS1P_S1Q_EUlS1P_E_NS1_11comp_targetILNS1_3genE10ELNS1_11target_archE1200ELNS1_3gpuE4ELNS1_3repE0EEENS1_30default_config_static_selectorELNS0_4arch9wavefront6targetE0EEEvS12_.uses_vcc, 0
	.set _ZN7rocprim17ROCPRIM_400000_NS6detail17trampoline_kernelINS0_13select_configILj256ELj13ELNS0_17block_load_methodE3ELS4_3ELS4_3ELNS0_20block_scan_algorithmE0ELj4294967295EEENS1_25partition_config_selectorILNS1_17partition_subalgoE4EjNS0_10empty_typeEbEEZZNS1_14partition_implILS8_4ELb0ES6_15HIP_vector_typeIjLj2EENS0_17counting_iteratorIjlEEPS9_SG_NS0_5tupleIJPjSI_NS0_16reverse_iteratorISI_EEEEENSH_IJSG_SG_SG_EEES9_SI_JZNS1_25segmented_radix_sort_implINS0_14default_configELb1EPKbPbPKlPlN2at6native12_GLOBAL__N_18offset_tEEE10hipError_tPvRmT1_PNSt15iterator_traitsIS12_E10value_typeET2_T3_PNS13_IS18_E10value_typeET4_jRbjT5_S1E_jjP12ihipStream_tbEUljE_ZNSN_ISO_Lb1ESQ_SR_ST_SU_SY_EESZ_S10_S11_S12_S16_S17_S18_S1B_S1C_jS1D_jS1E_S1E_jjS1G_bEUljE0_EEESZ_S10_S11_S18_S1C_S1E_T6_T7_T9_mT8_S1G_bDpT10_ENKUlT_T0_E_clISt17integral_constantIbLb0EES1U_EEDaS1P_S1Q_EUlS1P_E_NS1_11comp_targetILNS1_3genE10ELNS1_11target_archE1200ELNS1_3gpuE4ELNS1_3repE0EEENS1_30default_config_static_selectorELNS0_4arch9wavefront6targetE0EEEvS12_.uses_flat_scratch, 0
	.set _ZN7rocprim17ROCPRIM_400000_NS6detail17trampoline_kernelINS0_13select_configILj256ELj13ELNS0_17block_load_methodE3ELS4_3ELS4_3ELNS0_20block_scan_algorithmE0ELj4294967295EEENS1_25partition_config_selectorILNS1_17partition_subalgoE4EjNS0_10empty_typeEbEEZZNS1_14partition_implILS8_4ELb0ES6_15HIP_vector_typeIjLj2EENS0_17counting_iteratorIjlEEPS9_SG_NS0_5tupleIJPjSI_NS0_16reverse_iteratorISI_EEEEENSH_IJSG_SG_SG_EEES9_SI_JZNS1_25segmented_radix_sort_implINS0_14default_configELb1EPKbPbPKlPlN2at6native12_GLOBAL__N_18offset_tEEE10hipError_tPvRmT1_PNSt15iterator_traitsIS12_E10value_typeET2_T3_PNS13_IS18_E10value_typeET4_jRbjT5_S1E_jjP12ihipStream_tbEUljE_ZNSN_ISO_Lb1ESQ_SR_ST_SU_SY_EESZ_S10_S11_S12_S16_S17_S18_S1B_S1C_jS1D_jS1E_S1E_jjS1G_bEUljE0_EEESZ_S10_S11_S18_S1C_S1E_T6_T7_T9_mT8_S1G_bDpT10_ENKUlT_T0_E_clISt17integral_constantIbLb0EES1U_EEDaS1P_S1Q_EUlS1P_E_NS1_11comp_targetILNS1_3genE10ELNS1_11target_archE1200ELNS1_3gpuE4ELNS1_3repE0EEENS1_30default_config_static_selectorELNS0_4arch9wavefront6targetE0EEEvS12_.has_dyn_sized_stack, 0
	.set _ZN7rocprim17ROCPRIM_400000_NS6detail17trampoline_kernelINS0_13select_configILj256ELj13ELNS0_17block_load_methodE3ELS4_3ELS4_3ELNS0_20block_scan_algorithmE0ELj4294967295EEENS1_25partition_config_selectorILNS1_17partition_subalgoE4EjNS0_10empty_typeEbEEZZNS1_14partition_implILS8_4ELb0ES6_15HIP_vector_typeIjLj2EENS0_17counting_iteratorIjlEEPS9_SG_NS0_5tupleIJPjSI_NS0_16reverse_iteratorISI_EEEEENSH_IJSG_SG_SG_EEES9_SI_JZNS1_25segmented_radix_sort_implINS0_14default_configELb1EPKbPbPKlPlN2at6native12_GLOBAL__N_18offset_tEEE10hipError_tPvRmT1_PNSt15iterator_traitsIS12_E10value_typeET2_T3_PNS13_IS18_E10value_typeET4_jRbjT5_S1E_jjP12ihipStream_tbEUljE_ZNSN_ISO_Lb1ESQ_SR_ST_SU_SY_EESZ_S10_S11_S12_S16_S17_S18_S1B_S1C_jS1D_jS1E_S1E_jjS1G_bEUljE0_EEESZ_S10_S11_S18_S1C_S1E_T6_T7_T9_mT8_S1G_bDpT10_ENKUlT_T0_E_clISt17integral_constantIbLb0EES1U_EEDaS1P_S1Q_EUlS1P_E_NS1_11comp_targetILNS1_3genE10ELNS1_11target_archE1200ELNS1_3gpuE4ELNS1_3repE0EEENS1_30default_config_static_selectorELNS0_4arch9wavefront6targetE0EEEvS12_.has_recursion, 0
	.set _ZN7rocprim17ROCPRIM_400000_NS6detail17trampoline_kernelINS0_13select_configILj256ELj13ELNS0_17block_load_methodE3ELS4_3ELS4_3ELNS0_20block_scan_algorithmE0ELj4294967295EEENS1_25partition_config_selectorILNS1_17partition_subalgoE4EjNS0_10empty_typeEbEEZZNS1_14partition_implILS8_4ELb0ES6_15HIP_vector_typeIjLj2EENS0_17counting_iteratorIjlEEPS9_SG_NS0_5tupleIJPjSI_NS0_16reverse_iteratorISI_EEEEENSH_IJSG_SG_SG_EEES9_SI_JZNS1_25segmented_radix_sort_implINS0_14default_configELb1EPKbPbPKlPlN2at6native12_GLOBAL__N_18offset_tEEE10hipError_tPvRmT1_PNSt15iterator_traitsIS12_E10value_typeET2_T3_PNS13_IS18_E10value_typeET4_jRbjT5_S1E_jjP12ihipStream_tbEUljE_ZNSN_ISO_Lb1ESQ_SR_ST_SU_SY_EESZ_S10_S11_S12_S16_S17_S18_S1B_S1C_jS1D_jS1E_S1E_jjS1G_bEUljE0_EEESZ_S10_S11_S18_S1C_S1E_T6_T7_T9_mT8_S1G_bDpT10_ENKUlT_T0_E_clISt17integral_constantIbLb0EES1U_EEDaS1P_S1Q_EUlS1P_E_NS1_11comp_targetILNS1_3genE10ELNS1_11target_archE1200ELNS1_3gpuE4ELNS1_3repE0EEENS1_30default_config_static_selectorELNS0_4arch9wavefront6targetE0EEEvS12_.has_indirect_call, 0
	.section	.AMDGPU.csdata,"",@progbits
; Kernel info:
; codeLenInByte = 0
; TotalNumSgprs: 0
; NumVgprs: 0
; ScratchSize: 0
; MemoryBound: 0
; FloatMode: 240
; IeeeMode: 1
; LDSByteSize: 0 bytes/workgroup (compile time only)
; SGPRBlocks: 0
; VGPRBlocks: 0
; NumSGPRsForWavesPerEU: 1
; NumVGPRsForWavesPerEU: 1
; Occupancy: 16
; WaveLimiterHint : 0
; COMPUTE_PGM_RSRC2:SCRATCH_EN: 0
; COMPUTE_PGM_RSRC2:USER_SGPR: 6
; COMPUTE_PGM_RSRC2:TRAP_HANDLER: 0
; COMPUTE_PGM_RSRC2:TGID_X_EN: 1
; COMPUTE_PGM_RSRC2:TGID_Y_EN: 0
; COMPUTE_PGM_RSRC2:TGID_Z_EN: 0
; COMPUTE_PGM_RSRC2:TIDIG_COMP_CNT: 0
	.section	.text._ZN7rocprim17ROCPRIM_400000_NS6detail17trampoline_kernelINS0_13select_configILj256ELj13ELNS0_17block_load_methodE3ELS4_3ELS4_3ELNS0_20block_scan_algorithmE0ELj4294967295EEENS1_25partition_config_selectorILNS1_17partition_subalgoE4EjNS0_10empty_typeEbEEZZNS1_14partition_implILS8_4ELb0ES6_15HIP_vector_typeIjLj2EENS0_17counting_iteratorIjlEEPS9_SG_NS0_5tupleIJPjSI_NS0_16reverse_iteratorISI_EEEEENSH_IJSG_SG_SG_EEES9_SI_JZNS1_25segmented_radix_sort_implINS0_14default_configELb1EPKbPbPKlPlN2at6native12_GLOBAL__N_18offset_tEEE10hipError_tPvRmT1_PNSt15iterator_traitsIS12_E10value_typeET2_T3_PNS13_IS18_E10value_typeET4_jRbjT5_S1E_jjP12ihipStream_tbEUljE_ZNSN_ISO_Lb1ESQ_SR_ST_SU_SY_EESZ_S10_S11_S12_S16_S17_S18_S1B_S1C_jS1D_jS1E_S1E_jjS1G_bEUljE0_EEESZ_S10_S11_S18_S1C_S1E_T6_T7_T9_mT8_S1G_bDpT10_ENKUlT_T0_E_clISt17integral_constantIbLb0EES1U_EEDaS1P_S1Q_EUlS1P_E_NS1_11comp_targetILNS1_3genE9ELNS1_11target_archE1100ELNS1_3gpuE3ELNS1_3repE0EEENS1_30default_config_static_selectorELNS0_4arch9wavefront6targetE0EEEvS12_,"axG",@progbits,_ZN7rocprim17ROCPRIM_400000_NS6detail17trampoline_kernelINS0_13select_configILj256ELj13ELNS0_17block_load_methodE3ELS4_3ELS4_3ELNS0_20block_scan_algorithmE0ELj4294967295EEENS1_25partition_config_selectorILNS1_17partition_subalgoE4EjNS0_10empty_typeEbEEZZNS1_14partition_implILS8_4ELb0ES6_15HIP_vector_typeIjLj2EENS0_17counting_iteratorIjlEEPS9_SG_NS0_5tupleIJPjSI_NS0_16reverse_iteratorISI_EEEEENSH_IJSG_SG_SG_EEES9_SI_JZNS1_25segmented_radix_sort_implINS0_14default_configELb1EPKbPbPKlPlN2at6native12_GLOBAL__N_18offset_tEEE10hipError_tPvRmT1_PNSt15iterator_traitsIS12_E10value_typeET2_T3_PNS13_IS18_E10value_typeET4_jRbjT5_S1E_jjP12ihipStream_tbEUljE_ZNSN_ISO_Lb1ESQ_SR_ST_SU_SY_EESZ_S10_S11_S12_S16_S17_S18_S1B_S1C_jS1D_jS1E_S1E_jjS1G_bEUljE0_EEESZ_S10_S11_S18_S1C_S1E_T6_T7_T9_mT8_S1G_bDpT10_ENKUlT_T0_E_clISt17integral_constantIbLb0EES1U_EEDaS1P_S1Q_EUlS1P_E_NS1_11comp_targetILNS1_3genE9ELNS1_11target_archE1100ELNS1_3gpuE3ELNS1_3repE0EEENS1_30default_config_static_selectorELNS0_4arch9wavefront6targetE0EEEvS12_,comdat
	.globl	_ZN7rocprim17ROCPRIM_400000_NS6detail17trampoline_kernelINS0_13select_configILj256ELj13ELNS0_17block_load_methodE3ELS4_3ELS4_3ELNS0_20block_scan_algorithmE0ELj4294967295EEENS1_25partition_config_selectorILNS1_17partition_subalgoE4EjNS0_10empty_typeEbEEZZNS1_14partition_implILS8_4ELb0ES6_15HIP_vector_typeIjLj2EENS0_17counting_iteratorIjlEEPS9_SG_NS0_5tupleIJPjSI_NS0_16reverse_iteratorISI_EEEEENSH_IJSG_SG_SG_EEES9_SI_JZNS1_25segmented_radix_sort_implINS0_14default_configELb1EPKbPbPKlPlN2at6native12_GLOBAL__N_18offset_tEEE10hipError_tPvRmT1_PNSt15iterator_traitsIS12_E10value_typeET2_T3_PNS13_IS18_E10value_typeET4_jRbjT5_S1E_jjP12ihipStream_tbEUljE_ZNSN_ISO_Lb1ESQ_SR_ST_SU_SY_EESZ_S10_S11_S12_S16_S17_S18_S1B_S1C_jS1D_jS1E_S1E_jjS1G_bEUljE0_EEESZ_S10_S11_S18_S1C_S1E_T6_T7_T9_mT8_S1G_bDpT10_ENKUlT_T0_E_clISt17integral_constantIbLb0EES1U_EEDaS1P_S1Q_EUlS1P_E_NS1_11comp_targetILNS1_3genE9ELNS1_11target_archE1100ELNS1_3gpuE3ELNS1_3repE0EEENS1_30default_config_static_selectorELNS0_4arch9wavefront6targetE0EEEvS12_ ; -- Begin function _ZN7rocprim17ROCPRIM_400000_NS6detail17trampoline_kernelINS0_13select_configILj256ELj13ELNS0_17block_load_methodE3ELS4_3ELS4_3ELNS0_20block_scan_algorithmE0ELj4294967295EEENS1_25partition_config_selectorILNS1_17partition_subalgoE4EjNS0_10empty_typeEbEEZZNS1_14partition_implILS8_4ELb0ES6_15HIP_vector_typeIjLj2EENS0_17counting_iteratorIjlEEPS9_SG_NS0_5tupleIJPjSI_NS0_16reverse_iteratorISI_EEEEENSH_IJSG_SG_SG_EEES9_SI_JZNS1_25segmented_radix_sort_implINS0_14default_configELb1EPKbPbPKlPlN2at6native12_GLOBAL__N_18offset_tEEE10hipError_tPvRmT1_PNSt15iterator_traitsIS12_E10value_typeET2_T3_PNS13_IS18_E10value_typeET4_jRbjT5_S1E_jjP12ihipStream_tbEUljE_ZNSN_ISO_Lb1ESQ_SR_ST_SU_SY_EESZ_S10_S11_S12_S16_S17_S18_S1B_S1C_jS1D_jS1E_S1E_jjS1G_bEUljE0_EEESZ_S10_S11_S18_S1C_S1E_T6_T7_T9_mT8_S1G_bDpT10_ENKUlT_T0_E_clISt17integral_constantIbLb0EES1U_EEDaS1P_S1Q_EUlS1P_E_NS1_11comp_targetILNS1_3genE9ELNS1_11target_archE1100ELNS1_3gpuE3ELNS1_3repE0EEENS1_30default_config_static_selectorELNS0_4arch9wavefront6targetE0EEEvS12_
	.p2align	8
	.type	_ZN7rocprim17ROCPRIM_400000_NS6detail17trampoline_kernelINS0_13select_configILj256ELj13ELNS0_17block_load_methodE3ELS4_3ELS4_3ELNS0_20block_scan_algorithmE0ELj4294967295EEENS1_25partition_config_selectorILNS1_17partition_subalgoE4EjNS0_10empty_typeEbEEZZNS1_14partition_implILS8_4ELb0ES6_15HIP_vector_typeIjLj2EENS0_17counting_iteratorIjlEEPS9_SG_NS0_5tupleIJPjSI_NS0_16reverse_iteratorISI_EEEEENSH_IJSG_SG_SG_EEES9_SI_JZNS1_25segmented_radix_sort_implINS0_14default_configELb1EPKbPbPKlPlN2at6native12_GLOBAL__N_18offset_tEEE10hipError_tPvRmT1_PNSt15iterator_traitsIS12_E10value_typeET2_T3_PNS13_IS18_E10value_typeET4_jRbjT5_S1E_jjP12ihipStream_tbEUljE_ZNSN_ISO_Lb1ESQ_SR_ST_SU_SY_EESZ_S10_S11_S12_S16_S17_S18_S1B_S1C_jS1D_jS1E_S1E_jjS1G_bEUljE0_EEESZ_S10_S11_S18_S1C_S1E_T6_T7_T9_mT8_S1G_bDpT10_ENKUlT_T0_E_clISt17integral_constantIbLb0EES1U_EEDaS1P_S1Q_EUlS1P_E_NS1_11comp_targetILNS1_3genE9ELNS1_11target_archE1100ELNS1_3gpuE3ELNS1_3repE0EEENS1_30default_config_static_selectorELNS0_4arch9wavefront6targetE0EEEvS12_,@function
_ZN7rocprim17ROCPRIM_400000_NS6detail17trampoline_kernelINS0_13select_configILj256ELj13ELNS0_17block_load_methodE3ELS4_3ELS4_3ELNS0_20block_scan_algorithmE0ELj4294967295EEENS1_25partition_config_selectorILNS1_17partition_subalgoE4EjNS0_10empty_typeEbEEZZNS1_14partition_implILS8_4ELb0ES6_15HIP_vector_typeIjLj2EENS0_17counting_iteratorIjlEEPS9_SG_NS0_5tupleIJPjSI_NS0_16reverse_iteratorISI_EEEEENSH_IJSG_SG_SG_EEES9_SI_JZNS1_25segmented_radix_sort_implINS0_14default_configELb1EPKbPbPKlPlN2at6native12_GLOBAL__N_18offset_tEEE10hipError_tPvRmT1_PNSt15iterator_traitsIS12_E10value_typeET2_T3_PNS13_IS18_E10value_typeET4_jRbjT5_S1E_jjP12ihipStream_tbEUljE_ZNSN_ISO_Lb1ESQ_SR_ST_SU_SY_EESZ_S10_S11_S12_S16_S17_S18_S1B_S1C_jS1D_jS1E_S1E_jjS1G_bEUljE0_EEESZ_S10_S11_S18_S1C_S1E_T6_T7_T9_mT8_S1G_bDpT10_ENKUlT_T0_E_clISt17integral_constantIbLb0EES1U_EEDaS1P_S1Q_EUlS1P_E_NS1_11comp_targetILNS1_3genE9ELNS1_11target_archE1100ELNS1_3gpuE3ELNS1_3repE0EEENS1_30default_config_static_selectorELNS0_4arch9wavefront6targetE0EEEvS12_: ; @_ZN7rocprim17ROCPRIM_400000_NS6detail17trampoline_kernelINS0_13select_configILj256ELj13ELNS0_17block_load_methodE3ELS4_3ELS4_3ELNS0_20block_scan_algorithmE0ELj4294967295EEENS1_25partition_config_selectorILNS1_17partition_subalgoE4EjNS0_10empty_typeEbEEZZNS1_14partition_implILS8_4ELb0ES6_15HIP_vector_typeIjLj2EENS0_17counting_iteratorIjlEEPS9_SG_NS0_5tupleIJPjSI_NS0_16reverse_iteratorISI_EEEEENSH_IJSG_SG_SG_EEES9_SI_JZNS1_25segmented_radix_sort_implINS0_14default_configELb1EPKbPbPKlPlN2at6native12_GLOBAL__N_18offset_tEEE10hipError_tPvRmT1_PNSt15iterator_traitsIS12_E10value_typeET2_T3_PNS13_IS18_E10value_typeET4_jRbjT5_S1E_jjP12ihipStream_tbEUljE_ZNSN_ISO_Lb1ESQ_SR_ST_SU_SY_EESZ_S10_S11_S12_S16_S17_S18_S1B_S1C_jS1D_jS1E_S1E_jjS1G_bEUljE0_EEESZ_S10_S11_S18_S1C_S1E_T6_T7_T9_mT8_S1G_bDpT10_ENKUlT_T0_E_clISt17integral_constantIbLb0EES1U_EEDaS1P_S1Q_EUlS1P_E_NS1_11comp_targetILNS1_3genE9ELNS1_11target_archE1100ELNS1_3gpuE3ELNS1_3repE0EEENS1_30default_config_static_selectorELNS0_4arch9wavefront6targetE0EEEvS12_
; %bb.0:
	.section	.rodata,"a",@progbits
	.p2align	6, 0x0
	.amdhsa_kernel _ZN7rocprim17ROCPRIM_400000_NS6detail17trampoline_kernelINS0_13select_configILj256ELj13ELNS0_17block_load_methodE3ELS4_3ELS4_3ELNS0_20block_scan_algorithmE0ELj4294967295EEENS1_25partition_config_selectorILNS1_17partition_subalgoE4EjNS0_10empty_typeEbEEZZNS1_14partition_implILS8_4ELb0ES6_15HIP_vector_typeIjLj2EENS0_17counting_iteratorIjlEEPS9_SG_NS0_5tupleIJPjSI_NS0_16reverse_iteratorISI_EEEEENSH_IJSG_SG_SG_EEES9_SI_JZNS1_25segmented_radix_sort_implINS0_14default_configELb1EPKbPbPKlPlN2at6native12_GLOBAL__N_18offset_tEEE10hipError_tPvRmT1_PNSt15iterator_traitsIS12_E10value_typeET2_T3_PNS13_IS18_E10value_typeET4_jRbjT5_S1E_jjP12ihipStream_tbEUljE_ZNSN_ISO_Lb1ESQ_SR_ST_SU_SY_EESZ_S10_S11_S12_S16_S17_S18_S1B_S1C_jS1D_jS1E_S1E_jjS1G_bEUljE0_EEESZ_S10_S11_S18_S1C_S1E_T6_T7_T9_mT8_S1G_bDpT10_ENKUlT_T0_E_clISt17integral_constantIbLb0EES1U_EEDaS1P_S1Q_EUlS1P_E_NS1_11comp_targetILNS1_3genE9ELNS1_11target_archE1100ELNS1_3gpuE3ELNS1_3repE0EEENS1_30default_config_static_selectorELNS0_4arch9wavefront6targetE0EEEvS12_
		.amdhsa_group_segment_fixed_size 0
		.amdhsa_private_segment_fixed_size 0
		.amdhsa_kernarg_size 176
		.amdhsa_user_sgpr_count 6
		.amdhsa_user_sgpr_private_segment_buffer 1
		.amdhsa_user_sgpr_dispatch_ptr 0
		.amdhsa_user_sgpr_queue_ptr 0
		.amdhsa_user_sgpr_kernarg_segment_ptr 1
		.amdhsa_user_sgpr_dispatch_id 0
		.amdhsa_user_sgpr_flat_scratch_init 0
		.amdhsa_user_sgpr_private_segment_size 0
		.amdhsa_wavefront_size32 1
		.amdhsa_uses_dynamic_stack 0
		.amdhsa_system_sgpr_private_segment_wavefront_offset 0
		.amdhsa_system_sgpr_workgroup_id_x 1
		.amdhsa_system_sgpr_workgroup_id_y 0
		.amdhsa_system_sgpr_workgroup_id_z 0
		.amdhsa_system_sgpr_workgroup_info 0
		.amdhsa_system_vgpr_workitem_id 0
		.amdhsa_next_free_vgpr 1
		.amdhsa_next_free_sgpr 1
		.amdhsa_reserve_vcc 0
		.amdhsa_reserve_flat_scratch 0
		.amdhsa_float_round_mode_32 0
		.amdhsa_float_round_mode_16_64 0
		.amdhsa_float_denorm_mode_32 3
		.amdhsa_float_denorm_mode_16_64 3
		.amdhsa_dx10_clamp 1
		.amdhsa_ieee_mode 1
		.amdhsa_fp16_overflow 0
		.amdhsa_workgroup_processor_mode 1
		.amdhsa_memory_ordered 1
		.amdhsa_forward_progress 1
		.amdhsa_shared_vgpr_count 0
		.amdhsa_exception_fp_ieee_invalid_op 0
		.amdhsa_exception_fp_denorm_src 0
		.amdhsa_exception_fp_ieee_div_zero 0
		.amdhsa_exception_fp_ieee_overflow 0
		.amdhsa_exception_fp_ieee_underflow 0
		.amdhsa_exception_fp_ieee_inexact 0
		.amdhsa_exception_int_div_zero 0
	.end_amdhsa_kernel
	.section	.text._ZN7rocprim17ROCPRIM_400000_NS6detail17trampoline_kernelINS0_13select_configILj256ELj13ELNS0_17block_load_methodE3ELS4_3ELS4_3ELNS0_20block_scan_algorithmE0ELj4294967295EEENS1_25partition_config_selectorILNS1_17partition_subalgoE4EjNS0_10empty_typeEbEEZZNS1_14partition_implILS8_4ELb0ES6_15HIP_vector_typeIjLj2EENS0_17counting_iteratorIjlEEPS9_SG_NS0_5tupleIJPjSI_NS0_16reverse_iteratorISI_EEEEENSH_IJSG_SG_SG_EEES9_SI_JZNS1_25segmented_radix_sort_implINS0_14default_configELb1EPKbPbPKlPlN2at6native12_GLOBAL__N_18offset_tEEE10hipError_tPvRmT1_PNSt15iterator_traitsIS12_E10value_typeET2_T3_PNS13_IS18_E10value_typeET4_jRbjT5_S1E_jjP12ihipStream_tbEUljE_ZNSN_ISO_Lb1ESQ_SR_ST_SU_SY_EESZ_S10_S11_S12_S16_S17_S18_S1B_S1C_jS1D_jS1E_S1E_jjS1G_bEUljE0_EEESZ_S10_S11_S18_S1C_S1E_T6_T7_T9_mT8_S1G_bDpT10_ENKUlT_T0_E_clISt17integral_constantIbLb0EES1U_EEDaS1P_S1Q_EUlS1P_E_NS1_11comp_targetILNS1_3genE9ELNS1_11target_archE1100ELNS1_3gpuE3ELNS1_3repE0EEENS1_30default_config_static_selectorELNS0_4arch9wavefront6targetE0EEEvS12_,"axG",@progbits,_ZN7rocprim17ROCPRIM_400000_NS6detail17trampoline_kernelINS0_13select_configILj256ELj13ELNS0_17block_load_methodE3ELS4_3ELS4_3ELNS0_20block_scan_algorithmE0ELj4294967295EEENS1_25partition_config_selectorILNS1_17partition_subalgoE4EjNS0_10empty_typeEbEEZZNS1_14partition_implILS8_4ELb0ES6_15HIP_vector_typeIjLj2EENS0_17counting_iteratorIjlEEPS9_SG_NS0_5tupleIJPjSI_NS0_16reverse_iteratorISI_EEEEENSH_IJSG_SG_SG_EEES9_SI_JZNS1_25segmented_radix_sort_implINS0_14default_configELb1EPKbPbPKlPlN2at6native12_GLOBAL__N_18offset_tEEE10hipError_tPvRmT1_PNSt15iterator_traitsIS12_E10value_typeET2_T3_PNS13_IS18_E10value_typeET4_jRbjT5_S1E_jjP12ihipStream_tbEUljE_ZNSN_ISO_Lb1ESQ_SR_ST_SU_SY_EESZ_S10_S11_S12_S16_S17_S18_S1B_S1C_jS1D_jS1E_S1E_jjS1G_bEUljE0_EEESZ_S10_S11_S18_S1C_S1E_T6_T7_T9_mT8_S1G_bDpT10_ENKUlT_T0_E_clISt17integral_constantIbLb0EES1U_EEDaS1P_S1Q_EUlS1P_E_NS1_11comp_targetILNS1_3genE9ELNS1_11target_archE1100ELNS1_3gpuE3ELNS1_3repE0EEENS1_30default_config_static_selectorELNS0_4arch9wavefront6targetE0EEEvS12_,comdat
.Lfunc_end1466:
	.size	_ZN7rocprim17ROCPRIM_400000_NS6detail17trampoline_kernelINS0_13select_configILj256ELj13ELNS0_17block_load_methodE3ELS4_3ELS4_3ELNS0_20block_scan_algorithmE0ELj4294967295EEENS1_25partition_config_selectorILNS1_17partition_subalgoE4EjNS0_10empty_typeEbEEZZNS1_14partition_implILS8_4ELb0ES6_15HIP_vector_typeIjLj2EENS0_17counting_iteratorIjlEEPS9_SG_NS0_5tupleIJPjSI_NS0_16reverse_iteratorISI_EEEEENSH_IJSG_SG_SG_EEES9_SI_JZNS1_25segmented_radix_sort_implINS0_14default_configELb1EPKbPbPKlPlN2at6native12_GLOBAL__N_18offset_tEEE10hipError_tPvRmT1_PNSt15iterator_traitsIS12_E10value_typeET2_T3_PNS13_IS18_E10value_typeET4_jRbjT5_S1E_jjP12ihipStream_tbEUljE_ZNSN_ISO_Lb1ESQ_SR_ST_SU_SY_EESZ_S10_S11_S12_S16_S17_S18_S1B_S1C_jS1D_jS1E_S1E_jjS1G_bEUljE0_EEESZ_S10_S11_S18_S1C_S1E_T6_T7_T9_mT8_S1G_bDpT10_ENKUlT_T0_E_clISt17integral_constantIbLb0EES1U_EEDaS1P_S1Q_EUlS1P_E_NS1_11comp_targetILNS1_3genE9ELNS1_11target_archE1100ELNS1_3gpuE3ELNS1_3repE0EEENS1_30default_config_static_selectorELNS0_4arch9wavefront6targetE0EEEvS12_, .Lfunc_end1466-_ZN7rocprim17ROCPRIM_400000_NS6detail17trampoline_kernelINS0_13select_configILj256ELj13ELNS0_17block_load_methodE3ELS4_3ELS4_3ELNS0_20block_scan_algorithmE0ELj4294967295EEENS1_25partition_config_selectorILNS1_17partition_subalgoE4EjNS0_10empty_typeEbEEZZNS1_14partition_implILS8_4ELb0ES6_15HIP_vector_typeIjLj2EENS0_17counting_iteratorIjlEEPS9_SG_NS0_5tupleIJPjSI_NS0_16reverse_iteratorISI_EEEEENSH_IJSG_SG_SG_EEES9_SI_JZNS1_25segmented_radix_sort_implINS0_14default_configELb1EPKbPbPKlPlN2at6native12_GLOBAL__N_18offset_tEEE10hipError_tPvRmT1_PNSt15iterator_traitsIS12_E10value_typeET2_T3_PNS13_IS18_E10value_typeET4_jRbjT5_S1E_jjP12ihipStream_tbEUljE_ZNSN_ISO_Lb1ESQ_SR_ST_SU_SY_EESZ_S10_S11_S12_S16_S17_S18_S1B_S1C_jS1D_jS1E_S1E_jjS1G_bEUljE0_EEESZ_S10_S11_S18_S1C_S1E_T6_T7_T9_mT8_S1G_bDpT10_ENKUlT_T0_E_clISt17integral_constantIbLb0EES1U_EEDaS1P_S1Q_EUlS1P_E_NS1_11comp_targetILNS1_3genE9ELNS1_11target_archE1100ELNS1_3gpuE3ELNS1_3repE0EEENS1_30default_config_static_selectorELNS0_4arch9wavefront6targetE0EEEvS12_
                                        ; -- End function
	.set _ZN7rocprim17ROCPRIM_400000_NS6detail17trampoline_kernelINS0_13select_configILj256ELj13ELNS0_17block_load_methodE3ELS4_3ELS4_3ELNS0_20block_scan_algorithmE0ELj4294967295EEENS1_25partition_config_selectorILNS1_17partition_subalgoE4EjNS0_10empty_typeEbEEZZNS1_14partition_implILS8_4ELb0ES6_15HIP_vector_typeIjLj2EENS0_17counting_iteratorIjlEEPS9_SG_NS0_5tupleIJPjSI_NS0_16reverse_iteratorISI_EEEEENSH_IJSG_SG_SG_EEES9_SI_JZNS1_25segmented_radix_sort_implINS0_14default_configELb1EPKbPbPKlPlN2at6native12_GLOBAL__N_18offset_tEEE10hipError_tPvRmT1_PNSt15iterator_traitsIS12_E10value_typeET2_T3_PNS13_IS18_E10value_typeET4_jRbjT5_S1E_jjP12ihipStream_tbEUljE_ZNSN_ISO_Lb1ESQ_SR_ST_SU_SY_EESZ_S10_S11_S12_S16_S17_S18_S1B_S1C_jS1D_jS1E_S1E_jjS1G_bEUljE0_EEESZ_S10_S11_S18_S1C_S1E_T6_T7_T9_mT8_S1G_bDpT10_ENKUlT_T0_E_clISt17integral_constantIbLb0EES1U_EEDaS1P_S1Q_EUlS1P_E_NS1_11comp_targetILNS1_3genE9ELNS1_11target_archE1100ELNS1_3gpuE3ELNS1_3repE0EEENS1_30default_config_static_selectorELNS0_4arch9wavefront6targetE0EEEvS12_.num_vgpr, 0
	.set _ZN7rocprim17ROCPRIM_400000_NS6detail17trampoline_kernelINS0_13select_configILj256ELj13ELNS0_17block_load_methodE3ELS4_3ELS4_3ELNS0_20block_scan_algorithmE0ELj4294967295EEENS1_25partition_config_selectorILNS1_17partition_subalgoE4EjNS0_10empty_typeEbEEZZNS1_14partition_implILS8_4ELb0ES6_15HIP_vector_typeIjLj2EENS0_17counting_iteratorIjlEEPS9_SG_NS0_5tupleIJPjSI_NS0_16reverse_iteratorISI_EEEEENSH_IJSG_SG_SG_EEES9_SI_JZNS1_25segmented_radix_sort_implINS0_14default_configELb1EPKbPbPKlPlN2at6native12_GLOBAL__N_18offset_tEEE10hipError_tPvRmT1_PNSt15iterator_traitsIS12_E10value_typeET2_T3_PNS13_IS18_E10value_typeET4_jRbjT5_S1E_jjP12ihipStream_tbEUljE_ZNSN_ISO_Lb1ESQ_SR_ST_SU_SY_EESZ_S10_S11_S12_S16_S17_S18_S1B_S1C_jS1D_jS1E_S1E_jjS1G_bEUljE0_EEESZ_S10_S11_S18_S1C_S1E_T6_T7_T9_mT8_S1G_bDpT10_ENKUlT_T0_E_clISt17integral_constantIbLb0EES1U_EEDaS1P_S1Q_EUlS1P_E_NS1_11comp_targetILNS1_3genE9ELNS1_11target_archE1100ELNS1_3gpuE3ELNS1_3repE0EEENS1_30default_config_static_selectorELNS0_4arch9wavefront6targetE0EEEvS12_.num_agpr, 0
	.set _ZN7rocprim17ROCPRIM_400000_NS6detail17trampoline_kernelINS0_13select_configILj256ELj13ELNS0_17block_load_methodE3ELS4_3ELS4_3ELNS0_20block_scan_algorithmE0ELj4294967295EEENS1_25partition_config_selectorILNS1_17partition_subalgoE4EjNS0_10empty_typeEbEEZZNS1_14partition_implILS8_4ELb0ES6_15HIP_vector_typeIjLj2EENS0_17counting_iteratorIjlEEPS9_SG_NS0_5tupleIJPjSI_NS0_16reverse_iteratorISI_EEEEENSH_IJSG_SG_SG_EEES9_SI_JZNS1_25segmented_radix_sort_implINS0_14default_configELb1EPKbPbPKlPlN2at6native12_GLOBAL__N_18offset_tEEE10hipError_tPvRmT1_PNSt15iterator_traitsIS12_E10value_typeET2_T3_PNS13_IS18_E10value_typeET4_jRbjT5_S1E_jjP12ihipStream_tbEUljE_ZNSN_ISO_Lb1ESQ_SR_ST_SU_SY_EESZ_S10_S11_S12_S16_S17_S18_S1B_S1C_jS1D_jS1E_S1E_jjS1G_bEUljE0_EEESZ_S10_S11_S18_S1C_S1E_T6_T7_T9_mT8_S1G_bDpT10_ENKUlT_T0_E_clISt17integral_constantIbLb0EES1U_EEDaS1P_S1Q_EUlS1P_E_NS1_11comp_targetILNS1_3genE9ELNS1_11target_archE1100ELNS1_3gpuE3ELNS1_3repE0EEENS1_30default_config_static_selectorELNS0_4arch9wavefront6targetE0EEEvS12_.numbered_sgpr, 0
	.set _ZN7rocprim17ROCPRIM_400000_NS6detail17trampoline_kernelINS0_13select_configILj256ELj13ELNS0_17block_load_methodE3ELS4_3ELS4_3ELNS0_20block_scan_algorithmE0ELj4294967295EEENS1_25partition_config_selectorILNS1_17partition_subalgoE4EjNS0_10empty_typeEbEEZZNS1_14partition_implILS8_4ELb0ES6_15HIP_vector_typeIjLj2EENS0_17counting_iteratorIjlEEPS9_SG_NS0_5tupleIJPjSI_NS0_16reverse_iteratorISI_EEEEENSH_IJSG_SG_SG_EEES9_SI_JZNS1_25segmented_radix_sort_implINS0_14default_configELb1EPKbPbPKlPlN2at6native12_GLOBAL__N_18offset_tEEE10hipError_tPvRmT1_PNSt15iterator_traitsIS12_E10value_typeET2_T3_PNS13_IS18_E10value_typeET4_jRbjT5_S1E_jjP12ihipStream_tbEUljE_ZNSN_ISO_Lb1ESQ_SR_ST_SU_SY_EESZ_S10_S11_S12_S16_S17_S18_S1B_S1C_jS1D_jS1E_S1E_jjS1G_bEUljE0_EEESZ_S10_S11_S18_S1C_S1E_T6_T7_T9_mT8_S1G_bDpT10_ENKUlT_T0_E_clISt17integral_constantIbLb0EES1U_EEDaS1P_S1Q_EUlS1P_E_NS1_11comp_targetILNS1_3genE9ELNS1_11target_archE1100ELNS1_3gpuE3ELNS1_3repE0EEENS1_30default_config_static_selectorELNS0_4arch9wavefront6targetE0EEEvS12_.num_named_barrier, 0
	.set _ZN7rocprim17ROCPRIM_400000_NS6detail17trampoline_kernelINS0_13select_configILj256ELj13ELNS0_17block_load_methodE3ELS4_3ELS4_3ELNS0_20block_scan_algorithmE0ELj4294967295EEENS1_25partition_config_selectorILNS1_17partition_subalgoE4EjNS0_10empty_typeEbEEZZNS1_14partition_implILS8_4ELb0ES6_15HIP_vector_typeIjLj2EENS0_17counting_iteratorIjlEEPS9_SG_NS0_5tupleIJPjSI_NS0_16reverse_iteratorISI_EEEEENSH_IJSG_SG_SG_EEES9_SI_JZNS1_25segmented_radix_sort_implINS0_14default_configELb1EPKbPbPKlPlN2at6native12_GLOBAL__N_18offset_tEEE10hipError_tPvRmT1_PNSt15iterator_traitsIS12_E10value_typeET2_T3_PNS13_IS18_E10value_typeET4_jRbjT5_S1E_jjP12ihipStream_tbEUljE_ZNSN_ISO_Lb1ESQ_SR_ST_SU_SY_EESZ_S10_S11_S12_S16_S17_S18_S1B_S1C_jS1D_jS1E_S1E_jjS1G_bEUljE0_EEESZ_S10_S11_S18_S1C_S1E_T6_T7_T9_mT8_S1G_bDpT10_ENKUlT_T0_E_clISt17integral_constantIbLb0EES1U_EEDaS1P_S1Q_EUlS1P_E_NS1_11comp_targetILNS1_3genE9ELNS1_11target_archE1100ELNS1_3gpuE3ELNS1_3repE0EEENS1_30default_config_static_selectorELNS0_4arch9wavefront6targetE0EEEvS12_.private_seg_size, 0
	.set _ZN7rocprim17ROCPRIM_400000_NS6detail17trampoline_kernelINS0_13select_configILj256ELj13ELNS0_17block_load_methodE3ELS4_3ELS4_3ELNS0_20block_scan_algorithmE0ELj4294967295EEENS1_25partition_config_selectorILNS1_17partition_subalgoE4EjNS0_10empty_typeEbEEZZNS1_14partition_implILS8_4ELb0ES6_15HIP_vector_typeIjLj2EENS0_17counting_iteratorIjlEEPS9_SG_NS0_5tupleIJPjSI_NS0_16reverse_iteratorISI_EEEEENSH_IJSG_SG_SG_EEES9_SI_JZNS1_25segmented_radix_sort_implINS0_14default_configELb1EPKbPbPKlPlN2at6native12_GLOBAL__N_18offset_tEEE10hipError_tPvRmT1_PNSt15iterator_traitsIS12_E10value_typeET2_T3_PNS13_IS18_E10value_typeET4_jRbjT5_S1E_jjP12ihipStream_tbEUljE_ZNSN_ISO_Lb1ESQ_SR_ST_SU_SY_EESZ_S10_S11_S12_S16_S17_S18_S1B_S1C_jS1D_jS1E_S1E_jjS1G_bEUljE0_EEESZ_S10_S11_S18_S1C_S1E_T6_T7_T9_mT8_S1G_bDpT10_ENKUlT_T0_E_clISt17integral_constantIbLb0EES1U_EEDaS1P_S1Q_EUlS1P_E_NS1_11comp_targetILNS1_3genE9ELNS1_11target_archE1100ELNS1_3gpuE3ELNS1_3repE0EEENS1_30default_config_static_selectorELNS0_4arch9wavefront6targetE0EEEvS12_.uses_vcc, 0
	.set _ZN7rocprim17ROCPRIM_400000_NS6detail17trampoline_kernelINS0_13select_configILj256ELj13ELNS0_17block_load_methodE3ELS4_3ELS4_3ELNS0_20block_scan_algorithmE0ELj4294967295EEENS1_25partition_config_selectorILNS1_17partition_subalgoE4EjNS0_10empty_typeEbEEZZNS1_14partition_implILS8_4ELb0ES6_15HIP_vector_typeIjLj2EENS0_17counting_iteratorIjlEEPS9_SG_NS0_5tupleIJPjSI_NS0_16reverse_iteratorISI_EEEEENSH_IJSG_SG_SG_EEES9_SI_JZNS1_25segmented_radix_sort_implINS0_14default_configELb1EPKbPbPKlPlN2at6native12_GLOBAL__N_18offset_tEEE10hipError_tPvRmT1_PNSt15iterator_traitsIS12_E10value_typeET2_T3_PNS13_IS18_E10value_typeET4_jRbjT5_S1E_jjP12ihipStream_tbEUljE_ZNSN_ISO_Lb1ESQ_SR_ST_SU_SY_EESZ_S10_S11_S12_S16_S17_S18_S1B_S1C_jS1D_jS1E_S1E_jjS1G_bEUljE0_EEESZ_S10_S11_S18_S1C_S1E_T6_T7_T9_mT8_S1G_bDpT10_ENKUlT_T0_E_clISt17integral_constantIbLb0EES1U_EEDaS1P_S1Q_EUlS1P_E_NS1_11comp_targetILNS1_3genE9ELNS1_11target_archE1100ELNS1_3gpuE3ELNS1_3repE0EEENS1_30default_config_static_selectorELNS0_4arch9wavefront6targetE0EEEvS12_.uses_flat_scratch, 0
	.set _ZN7rocprim17ROCPRIM_400000_NS6detail17trampoline_kernelINS0_13select_configILj256ELj13ELNS0_17block_load_methodE3ELS4_3ELS4_3ELNS0_20block_scan_algorithmE0ELj4294967295EEENS1_25partition_config_selectorILNS1_17partition_subalgoE4EjNS0_10empty_typeEbEEZZNS1_14partition_implILS8_4ELb0ES6_15HIP_vector_typeIjLj2EENS0_17counting_iteratorIjlEEPS9_SG_NS0_5tupleIJPjSI_NS0_16reverse_iteratorISI_EEEEENSH_IJSG_SG_SG_EEES9_SI_JZNS1_25segmented_radix_sort_implINS0_14default_configELb1EPKbPbPKlPlN2at6native12_GLOBAL__N_18offset_tEEE10hipError_tPvRmT1_PNSt15iterator_traitsIS12_E10value_typeET2_T3_PNS13_IS18_E10value_typeET4_jRbjT5_S1E_jjP12ihipStream_tbEUljE_ZNSN_ISO_Lb1ESQ_SR_ST_SU_SY_EESZ_S10_S11_S12_S16_S17_S18_S1B_S1C_jS1D_jS1E_S1E_jjS1G_bEUljE0_EEESZ_S10_S11_S18_S1C_S1E_T6_T7_T9_mT8_S1G_bDpT10_ENKUlT_T0_E_clISt17integral_constantIbLb0EES1U_EEDaS1P_S1Q_EUlS1P_E_NS1_11comp_targetILNS1_3genE9ELNS1_11target_archE1100ELNS1_3gpuE3ELNS1_3repE0EEENS1_30default_config_static_selectorELNS0_4arch9wavefront6targetE0EEEvS12_.has_dyn_sized_stack, 0
	.set _ZN7rocprim17ROCPRIM_400000_NS6detail17trampoline_kernelINS0_13select_configILj256ELj13ELNS0_17block_load_methodE3ELS4_3ELS4_3ELNS0_20block_scan_algorithmE0ELj4294967295EEENS1_25partition_config_selectorILNS1_17partition_subalgoE4EjNS0_10empty_typeEbEEZZNS1_14partition_implILS8_4ELb0ES6_15HIP_vector_typeIjLj2EENS0_17counting_iteratorIjlEEPS9_SG_NS0_5tupleIJPjSI_NS0_16reverse_iteratorISI_EEEEENSH_IJSG_SG_SG_EEES9_SI_JZNS1_25segmented_radix_sort_implINS0_14default_configELb1EPKbPbPKlPlN2at6native12_GLOBAL__N_18offset_tEEE10hipError_tPvRmT1_PNSt15iterator_traitsIS12_E10value_typeET2_T3_PNS13_IS18_E10value_typeET4_jRbjT5_S1E_jjP12ihipStream_tbEUljE_ZNSN_ISO_Lb1ESQ_SR_ST_SU_SY_EESZ_S10_S11_S12_S16_S17_S18_S1B_S1C_jS1D_jS1E_S1E_jjS1G_bEUljE0_EEESZ_S10_S11_S18_S1C_S1E_T6_T7_T9_mT8_S1G_bDpT10_ENKUlT_T0_E_clISt17integral_constantIbLb0EES1U_EEDaS1P_S1Q_EUlS1P_E_NS1_11comp_targetILNS1_3genE9ELNS1_11target_archE1100ELNS1_3gpuE3ELNS1_3repE0EEENS1_30default_config_static_selectorELNS0_4arch9wavefront6targetE0EEEvS12_.has_recursion, 0
	.set _ZN7rocprim17ROCPRIM_400000_NS6detail17trampoline_kernelINS0_13select_configILj256ELj13ELNS0_17block_load_methodE3ELS4_3ELS4_3ELNS0_20block_scan_algorithmE0ELj4294967295EEENS1_25partition_config_selectorILNS1_17partition_subalgoE4EjNS0_10empty_typeEbEEZZNS1_14partition_implILS8_4ELb0ES6_15HIP_vector_typeIjLj2EENS0_17counting_iteratorIjlEEPS9_SG_NS0_5tupleIJPjSI_NS0_16reverse_iteratorISI_EEEEENSH_IJSG_SG_SG_EEES9_SI_JZNS1_25segmented_radix_sort_implINS0_14default_configELb1EPKbPbPKlPlN2at6native12_GLOBAL__N_18offset_tEEE10hipError_tPvRmT1_PNSt15iterator_traitsIS12_E10value_typeET2_T3_PNS13_IS18_E10value_typeET4_jRbjT5_S1E_jjP12ihipStream_tbEUljE_ZNSN_ISO_Lb1ESQ_SR_ST_SU_SY_EESZ_S10_S11_S12_S16_S17_S18_S1B_S1C_jS1D_jS1E_S1E_jjS1G_bEUljE0_EEESZ_S10_S11_S18_S1C_S1E_T6_T7_T9_mT8_S1G_bDpT10_ENKUlT_T0_E_clISt17integral_constantIbLb0EES1U_EEDaS1P_S1Q_EUlS1P_E_NS1_11comp_targetILNS1_3genE9ELNS1_11target_archE1100ELNS1_3gpuE3ELNS1_3repE0EEENS1_30default_config_static_selectorELNS0_4arch9wavefront6targetE0EEEvS12_.has_indirect_call, 0
	.section	.AMDGPU.csdata,"",@progbits
; Kernel info:
; codeLenInByte = 0
; TotalNumSgprs: 0
; NumVgprs: 0
; ScratchSize: 0
; MemoryBound: 0
; FloatMode: 240
; IeeeMode: 1
; LDSByteSize: 0 bytes/workgroup (compile time only)
; SGPRBlocks: 0
; VGPRBlocks: 0
; NumSGPRsForWavesPerEU: 1
; NumVGPRsForWavesPerEU: 1
; Occupancy: 16
; WaveLimiterHint : 0
; COMPUTE_PGM_RSRC2:SCRATCH_EN: 0
; COMPUTE_PGM_RSRC2:USER_SGPR: 6
; COMPUTE_PGM_RSRC2:TRAP_HANDLER: 0
; COMPUTE_PGM_RSRC2:TGID_X_EN: 1
; COMPUTE_PGM_RSRC2:TGID_Y_EN: 0
; COMPUTE_PGM_RSRC2:TGID_Z_EN: 0
; COMPUTE_PGM_RSRC2:TIDIG_COMP_CNT: 0
	.section	.text._ZN7rocprim17ROCPRIM_400000_NS6detail17trampoline_kernelINS0_13select_configILj256ELj13ELNS0_17block_load_methodE3ELS4_3ELS4_3ELNS0_20block_scan_algorithmE0ELj4294967295EEENS1_25partition_config_selectorILNS1_17partition_subalgoE4EjNS0_10empty_typeEbEEZZNS1_14partition_implILS8_4ELb0ES6_15HIP_vector_typeIjLj2EENS0_17counting_iteratorIjlEEPS9_SG_NS0_5tupleIJPjSI_NS0_16reverse_iteratorISI_EEEEENSH_IJSG_SG_SG_EEES9_SI_JZNS1_25segmented_radix_sort_implINS0_14default_configELb1EPKbPbPKlPlN2at6native12_GLOBAL__N_18offset_tEEE10hipError_tPvRmT1_PNSt15iterator_traitsIS12_E10value_typeET2_T3_PNS13_IS18_E10value_typeET4_jRbjT5_S1E_jjP12ihipStream_tbEUljE_ZNSN_ISO_Lb1ESQ_SR_ST_SU_SY_EESZ_S10_S11_S12_S16_S17_S18_S1B_S1C_jS1D_jS1E_S1E_jjS1G_bEUljE0_EEESZ_S10_S11_S18_S1C_S1E_T6_T7_T9_mT8_S1G_bDpT10_ENKUlT_T0_E_clISt17integral_constantIbLb0EES1U_EEDaS1P_S1Q_EUlS1P_E_NS1_11comp_targetILNS1_3genE8ELNS1_11target_archE1030ELNS1_3gpuE2ELNS1_3repE0EEENS1_30default_config_static_selectorELNS0_4arch9wavefront6targetE0EEEvS12_,"axG",@progbits,_ZN7rocprim17ROCPRIM_400000_NS6detail17trampoline_kernelINS0_13select_configILj256ELj13ELNS0_17block_load_methodE3ELS4_3ELS4_3ELNS0_20block_scan_algorithmE0ELj4294967295EEENS1_25partition_config_selectorILNS1_17partition_subalgoE4EjNS0_10empty_typeEbEEZZNS1_14partition_implILS8_4ELb0ES6_15HIP_vector_typeIjLj2EENS0_17counting_iteratorIjlEEPS9_SG_NS0_5tupleIJPjSI_NS0_16reverse_iteratorISI_EEEEENSH_IJSG_SG_SG_EEES9_SI_JZNS1_25segmented_radix_sort_implINS0_14default_configELb1EPKbPbPKlPlN2at6native12_GLOBAL__N_18offset_tEEE10hipError_tPvRmT1_PNSt15iterator_traitsIS12_E10value_typeET2_T3_PNS13_IS18_E10value_typeET4_jRbjT5_S1E_jjP12ihipStream_tbEUljE_ZNSN_ISO_Lb1ESQ_SR_ST_SU_SY_EESZ_S10_S11_S12_S16_S17_S18_S1B_S1C_jS1D_jS1E_S1E_jjS1G_bEUljE0_EEESZ_S10_S11_S18_S1C_S1E_T6_T7_T9_mT8_S1G_bDpT10_ENKUlT_T0_E_clISt17integral_constantIbLb0EES1U_EEDaS1P_S1Q_EUlS1P_E_NS1_11comp_targetILNS1_3genE8ELNS1_11target_archE1030ELNS1_3gpuE2ELNS1_3repE0EEENS1_30default_config_static_selectorELNS0_4arch9wavefront6targetE0EEEvS12_,comdat
	.globl	_ZN7rocprim17ROCPRIM_400000_NS6detail17trampoline_kernelINS0_13select_configILj256ELj13ELNS0_17block_load_methodE3ELS4_3ELS4_3ELNS0_20block_scan_algorithmE0ELj4294967295EEENS1_25partition_config_selectorILNS1_17partition_subalgoE4EjNS0_10empty_typeEbEEZZNS1_14partition_implILS8_4ELb0ES6_15HIP_vector_typeIjLj2EENS0_17counting_iteratorIjlEEPS9_SG_NS0_5tupleIJPjSI_NS0_16reverse_iteratorISI_EEEEENSH_IJSG_SG_SG_EEES9_SI_JZNS1_25segmented_radix_sort_implINS0_14default_configELb1EPKbPbPKlPlN2at6native12_GLOBAL__N_18offset_tEEE10hipError_tPvRmT1_PNSt15iterator_traitsIS12_E10value_typeET2_T3_PNS13_IS18_E10value_typeET4_jRbjT5_S1E_jjP12ihipStream_tbEUljE_ZNSN_ISO_Lb1ESQ_SR_ST_SU_SY_EESZ_S10_S11_S12_S16_S17_S18_S1B_S1C_jS1D_jS1E_S1E_jjS1G_bEUljE0_EEESZ_S10_S11_S18_S1C_S1E_T6_T7_T9_mT8_S1G_bDpT10_ENKUlT_T0_E_clISt17integral_constantIbLb0EES1U_EEDaS1P_S1Q_EUlS1P_E_NS1_11comp_targetILNS1_3genE8ELNS1_11target_archE1030ELNS1_3gpuE2ELNS1_3repE0EEENS1_30default_config_static_selectorELNS0_4arch9wavefront6targetE0EEEvS12_ ; -- Begin function _ZN7rocprim17ROCPRIM_400000_NS6detail17trampoline_kernelINS0_13select_configILj256ELj13ELNS0_17block_load_methodE3ELS4_3ELS4_3ELNS0_20block_scan_algorithmE0ELj4294967295EEENS1_25partition_config_selectorILNS1_17partition_subalgoE4EjNS0_10empty_typeEbEEZZNS1_14partition_implILS8_4ELb0ES6_15HIP_vector_typeIjLj2EENS0_17counting_iteratorIjlEEPS9_SG_NS0_5tupleIJPjSI_NS0_16reverse_iteratorISI_EEEEENSH_IJSG_SG_SG_EEES9_SI_JZNS1_25segmented_radix_sort_implINS0_14default_configELb1EPKbPbPKlPlN2at6native12_GLOBAL__N_18offset_tEEE10hipError_tPvRmT1_PNSt15iterator_traitsIS12_E10value_typeET2_T3_PNS13_IS18_E10value_typeET4_jRbjT5_S1E_jjP12ihipStream_tbEUljE_ZNSN_ISO_Lb1ESQ_SR_ST_SU_SY_EESZ_S10_S11_S12_S16_S17_S18_S1B_S1C_jS1D_jS1E_S1E_jjS1G_bEUljE0_EEESZ_S10_S11_S18_S1C_S1E_T6_T7_T9_mT8_S1G_bDpT10_ENKUlT_T0_E_clISt17integral_constantIbLb0EES1U_EEDaS1P_S1Q_EUlS1P_E_NS1_11comp_targetILNS1_3genE8ELNS1_11target_archE1030ELNS1_3gpuE2ELNS1_3repE0EEENS1_30default_config_static_selectorELNS0_4arch9wavefront6targetE0EEEvS12_
	.p2align	8
	.type	_ZN7rocprim17ROCPRIM_400000_NS6detail17trampoline_kernelINS0_13select_configILj256ELj13ELNS0_17block_load_methodE3ELS4_3ELS4_3ELNS0_20block_scan_algorithmE0ELj4294967295EEENS1_25partition_config_selectorILNS1_17partition_subalgoE4EjNS0_10empty_typeEbEEZZNS1_14partition_implILS8_4ELb0ES6_15HIP_vector_typeIjLj2EENS0_17counting_iteratorIjlEEPS9_SG_NS0_5tupleIJPjSI_NS0_16reverse_iteratorISI_EEEEENSH_IJSG_SG_SG_EEES9_SI_JZNS1_25segmented_radix_sort_implINS0_14default_configELb1EPKbPbPKlPlN2at6native12_GLOBAL__N_18offset_tEEE10hipError_tPvRmT1_PNSt15iterator_traitsIS12_E10value_typeET2_T3_PNS13_IS18_E10value_typeET4_jRbjT5_S1E_jjP12ihipStream_tbEUljE_ZNSN_ISO_Lb1ESQ_SR_ST_SU_SY_EESZ_S10_S11_S12_S16_S17_S18_S1B_S1C_jS1D_jS1E_S1E_jjS1G_bEUljE0_EEESZ_S10_S11_S18_S1C_S1E_T6_T7_T9_mT8_S1G_bDpT10_ENKUlT_T0_E_clISt17integral_constantIbLb0EES1U_EEDaS1P_S1Q_EUlS1P_E_NS1_11comp_targetILNS1_3genE8ELNS1_11target_archE1030ELNS1_3gpuE2ELNS1_3repE0EEENS1_30default_config_static_selectorELNS0_4arch9wavefront6targetE0EEEvS12_,@function
_ZN7rocprim17ROCPRIM_400000_NS6detail17trampoline_kernelINS0_13select_configILj256ELj13ELNS0_17block_load_methodE3ELS4_3ELS4_3ELNS0_20block_scan_algorithmE0ELj4294967295EEENS1_25partition_config_selectorILNS1_17partition_subalgoE4EjNS0_10empty_typeEbEEZZNS1_14partition_implILS8_4ELb0ES6_15HIP_vector_typeIjLj2EENS0_17counting_iteratorIjlEEPS9_SG_NS0_5tupleIJPjSI_NS0_16reverse_iteratorISI_EEEEENSH_IJSG_SG_SG_EEES9_SI_JZNS1_25segmented_radix_sort_implINS0_14default_configELb1EPKbPbPKlPlN2at6native12_GLOBAL__N_18offset_tEEE10hipError_tPvRmT1_PNSt15iterator_traitsIS12_E10value_typeET2_T3_PNS13_IS18_E10value_typeET4_jRbjT5_S1E_jjP12ihipStream_tbEUljE_ZNSN_ISO_Lb1ESQ_SR_ST_SU_SY_EESZ_S10_S11_S12_S16_S17_S18_S1B_S1C_jS1D_jS1E_S1E_jjS1G_bEUljE0_EEESZ_S10_S11_S18_S1C_S1E_T6_T7_T9_mT8_S1G_bDpT10_ENKUlT_T0_E_clISt17integral_constantIbLb0EES1U_EEDaS1P_S1Q_EUlS1P_E_NS1_11comp_targetILNS1_3genE8ELNS1_11target_archE1030ELNS1_3gpuE2ELNS1_3repE0EEENS1_30default_config_static_selectorELNS0_4arch9wavefront6targetE0EEEvS12_: ; @_ZN7rocprim17ROCPRIM_400000_NS6detail17trampoline_kernelINS0_13select_configILj256ELj13ELNS0_17block_load_methodE3ELS4_3ELS4_3ELNS0_20block_scan_algorithmE0ELj4294967295EEENS1_25partition_config_selectorILNS1_17partition_subalgoE4EjNS0_10empty_typeEbEEZZNS1_14partition_implILS8_4ELb0ES6_15HIP_vector_typeIjLj2EENS0_17counting_iteratorIjlEEPS9_SG_NS0_5tupleIJPjSI_NS0_16reverse_iteratorISI_EEEEENSH_IJSG_SG_SG_EEES9_SI_JZNS1_25segmented_radix_sort_implINS0_14default_configELb1EPKbPbPKlPlN2at6native12_GLOBAL__N_18offset_tEEE10hipError_tPvRmT1_PNSt15iterator_traitsIS12_E10value_typeET2_T3_PNS13_IS18_E10value_typeET4_jRbjT5_S1E_jjP12ihipStream_tbEUljE_ZNSN_ISO_Lb1ESQ_SR_ST_SU_SY_EESZ_S10_S11_S12_S16_S17_S18_S1B_S1C_jS1D_jS1E_S1E_jjS1G_bEUljE0_EEESZ_S10_S11_S18_S1C_S1E_T6_T7_T9_mT8_S1G_bDpT10_ENKUlT_T0_E_clISt17integral_constantIbLb0EES1U_EEDaS1P_S1Q_EUlS1P_E_NS1_11comp_targetILNS1_3genE8ELNS1_11target_archE1030ELNS1_3gpuE2ELNS1_3repE0EEENS1_30default_config_static_selectorELNS0_4arch9wavefront6targetE0EEEvS12_
; %bb.0:
	s_clause 0x6
	s_load_dword s3, s[4:5], 0x80
	s_load_dwordx2 s[34:35], s[4:5], 0x10
	s_load_dwordx2 s[0:1], s[4:5], 0x68
	s_load_dword s7, s[4:5], 0x8
	s_load_dwordx4 s[24:27], s[4:5], 0x58
	s_load_dwordx2 s[40:41], s[4:5], 0xa8
	s_load_dwordx8 s[16:23], s[4:5], 0x88
	s_mul_i32 s42, s6, 0xd00
	s_waitcnt lgkmcnt(0)
	s_mul_i32 s2, s3, 0xd00
	s_add_i32 s3, s3, -1
	s_add_u32 s8, s34, s2
	s_addc_u32 s9, s35, 0
	s_load_dwordx4 s[28:31], s[26:27], 0x0
	s_cmp_eq_u32 s6, s3
	v_cmp_gt_u64_e64 s1, s[0:1], s[8:9]
	s_cselect_b32 s33, -1, 0
	s_cmp_lg_u32 s6, s3
	s_cselect_b32 s3, -1, 0
	s_add_i32 s7, s7, s42
	s_or_b32 s1, s3, s1
	s_add_i32 s7, s7, s34
	s_and_b32 vcc_lo, exec_lo, s1
	v_add_nc_u32_e32 v1, s7, v0
	s_mov_b32 s3, -1
	v_add_nc_u32_e32 v2, 0x100, v1
	v_add_nc_u32_e32 v3, 0x200, v1
	;; [unrolled: 1-line block ×12, first 2 shown]
	s_cbranch_vccz .LBB1467_2
; %bb.1:
	v_lshlrev_b32_e32 v14, 2, v0
	s_mov_b32 s3, 0
	ds_write2st64_b32 v14, v1, v2 offset1:4
	ds_write2st64_b32 v14, v3, v4 offset0:8 offset1:12
	ds_write2st64_b32 v14, v5, v6 offset0:16 offset1:20
	;; [unrolled: 1-line block ×5, first 2 shown]
	ds_write_b32 v14, v13 offset:12288
	s_waitcnt lgkmcnt(0)
	s_barrier
.LBB1467_2:
	s_andn2_b32 vcc_lo, exec_lo, s3
	s_add_i32 s2, s2, s34
	s_cbranch_vccnz .LBB1467_4
; %bb.3:
	v_lshlrev_b32_e32 v14, 2, v0
	ds_write2st64_b32 v14, v1, v2 offset1:4
	ds_write2st64_b32 v14, v3, v4 offset0:8 offset1:12
	ds_write2st64_b32 v14, v5, v6 offset0:16 offset1:20
	;; [unrolled: 1-line block ×5, first 2 shown]
	ds_write_b32 v14, v13 offset:12288
	s_waitcnt lgkmcnt(0)
	s_barrier
.LBB1467_4:
	v_mul_u32_u24_e32 v29, 13, v0
	s_clause 0x1
	s_load_dwordx4 s[36:39], s[4:5], 0x28
	s_load_dwordx2 s[26:27], s[4:5], 0x38
	s_waitcnt lgkmcnt(0)
	buffer_gl0_inv
	v_cndmask_b32_e64 v27, 0, 1, s1
	s_sub_i32 s43, s0, s2
	v_lshlrev_b32_e32 v1, 2, v29
	s_andn2_b32 vcc_lo, exec_lo, s1
	ds_read_b32 v28, v1 offset:48
	ds_read2_b32 v[9:10], v1 offset0:10 offset1:11
	ds_read2_b32 v[11:12], v1 offset0:8 offset1:9
	;; [unrolled: 1-line block ×4, first 2 shown]
	ds_read2_b32 v[19:20], v1 offset1:1
	ds_read2_b32 v[17:18], v1 offset0:2 offset1:3
	s_waitcnt lgkmcnt(0)
	s_barrier
	buffer_gl0_inv
	s_cbranch_vccnz .LBB1467_32
; %bb.5:
	v_add_nc_u32_e32 v1, s17, v19
	v_add_nc_u32_e32 v2, s19, v19
	s_mov_b32 s45, 0
	s_mov_b32 s44, 0
	s_mov_b32 s1, exec_lo
	v_mul_lo_u32 v1, v1, s16
	v_mul_lo_u32 v2, v2, s18
	v_sub_nc_u32_e32 v1, v1, v2
	v_cmp_lt_u32_e32 vcc_lo, s20, v1
	v_cmpx_ge_u32_e64 s20, v1
	s_cbranch_execz .LBB1467_7
; %bb.6:
	v_add_nc_u32_e32 v1, s22, v19
	v_add_nc_u32_e32 v2, s40, v19
	v_mul_lo_u32 v1, v1, s21
	v_mul_lo_u32 v2, v2, s23
	v_sub_nc_u32_e32 v1, v1, v2
	v_cmp_lt_u32_e64 s0, s41, v1
	s_and_b32 s44, s0, exec_lo
.LBB1467_7:
	s_or_b32 exec_lo, exec_lo, s1
	v_add_nc_u32_e32 v1, s17, v20
	v_add_nc_u32_e32 v2, s19, v20
	s_mov_b32 s2, exec_lo
	v_mul_lo_u32 v1, v1, s16
	v_mul_lo_u32 v2, v2, s18
	v_sub_nc_u32_e32 v1, v1, v2
	v_cmp_lt_u32_e64 s0, s20, v1
	v_cmpx_ge_u32_e64 s20, v1
	s_cbranch_execz .LBB1467_9
; %bb.8:
	v_add_nc_u32_e32 v1, s22, v20
	v_add_nc_u32_e32 v2, s40, v20
	v_mul_lo_u32 v1, v1, s21
	v_mul_lo_u32 v2, v2, s23
	v_sub_nc_u32_e32 v1, v1, v2
	v_cmp_lt_u32_e64 s1, s41, v1
	s_and_b32 s45, s1, exec_lo
.LBB1467_9:
	s_or_b32 exec_lo, exec_lo, s2
	v_add_nc_u32_e32 v1, s17, v17
	v_add_nc_u32_e32 v2, s19, v17
	s_mov_b32 s47, 0
	s_mov_b32 s46, 0
	s_mov_b32 s3, exec_lo
	v_mul_lo_u32 v1, v1, s16
	v_mul_lo_u32 v2, v2, s18
	v_sub_nc_u32_e32 v1, v1, v2
	v_cmp_lt_u32_e64 s1, s20, v1
	v_cmpx_ge_u32_e64 s20, v1
	s_cbranch_execz .LBB1467_11
; %bb.10:
	v_add_nc_u32_e32 v1, s22, v17
	v_add_nc_u32_e32 v2, s40, v17
	v_mul_lo_u32 v1, v1, s21
	v_mul_lo_u32 v2, v2, s23
	v_sub_nc_u32_e32 v1, v1, v2
	v_cmp_lt_u32_e64 s2, s41, v1
	s_and_b32 s46, s2, exec_lo
.LBB1467_11:
	s_or_b32 exec_lo, exec_lo, s3
	v_add_nc_u32_e32 v1, s17, v18
	v_add_nc_u32_e32 v2, s19, v18
	s_mov_b32 s7, exec_lo
	v_mul_lo_u32 v1, v1, s16
	v_mul_lo_u32 v2, v2, s18
	v_sub_nc_u32_e32 v1, v1, v2
	v_cmp_lt_u32_e64 s2, s20, v1
	v_cmpx_ge_u32_e64 s20, v1
	s_cbranch_execz .LBB1467_13
; %bb.12:
	v_add_nc_u32_e32 v1, s22, v18
	v_add_nc_u32_e32 v2, s40, v18
	v_mul_lo_u32 v1, v1, s21
	v_mul_lo_u32 v2, v2, s23
	v_sub_nc_u32_e32 v1, v1, v2
	v_cmp_lt_u32_e64 s3, s41, v1
	s_and_b32 s47, s3, exec_lo
.LBB1467_13:
	s_or_b32 exec_lo, exec_lo, s7
	v_add_nc_u32_e32 v1, s17, v15
	v_add_nc_u32_e32 v2, s19, v15
	s_mov_b32 s49, 0
	s_mov_b32 s48, 0
	s_mov_b32 s8, exec_lo
	v_mul_lo_u32 v1, v1, s16
	v_mul_lo_u32 v2, v2, s18
	v_sub_nc_u32_e32 v1, v1, v2
	v_cmp_lt_u32_e64 s3, s20, v1
	;; [unrolled: 40-line block ×6, first 2 shown]
	v_cmpx_ge_u32_e64 s20, v1
	s_cbranch_execz .LBB1467_31
; %bb.30:
	v_add_nc_u32_e32 v1, s22, v28
	v_add_nc_u32_e32 v2, s40, v28
	v_mul_lo_u32 v1, v1, s21
	v_mul_lo_u32 v2, v2, s23
	v_sub_nc_u32_e32 v1, v1, v2
	v_cmp_lt_u32_e64 s15, s41, v1
	s_and_b32 s57, s15, exec_lo
.LBB1467_31:
	s_or_b32 exec_lo, exec_lo, s58
	v_cndmask_b32_e64 v2, 0, 1, s0
	v_cndmask_b32_e64 v4, 0, 1, s2
	v_cndmask_b32_e64 v1, 0, 1, vcc_lo
	v_cndmask_b32_e64 v3, 0, 1, s1
	v_cndmask_b32_e64 v6, 0, 1, s7
	v_lshlrev_b16 v2, 8, v2
	v_lshlrev_b16 v4, 8, v4
	v_cndmask_b32_e64 v8, 0, 1, s9
	v_cndmask_b32_e64 v22, 0, 1, s11
	;; [unrolled: 1-line block ×3, first 2 shown]
	v_or_b32_e32 v1, v1, v2
	v_or_b32_sdwa v2, v3, v4 dst_sel:WORD_1 dst_unused:UNUSED_PAD src0_sel:DWORD src1_sel:DWORD
	v_cndmask_b32_e64 v3, 0, 1, s44
	v_cndmask_b32_e64 v5, 0, 1, s3
	;; [unrolled: 1-line block ×11, first 2 shown]
	v_or_b32_sdwa v30, v1, v2 dst_sel:DWORD dst_unused:UNUSED_PAD src0_sel:WORD_0 src1_sel:DWORD
	v_lshlrev_b16 v1, 8, v6
	v_lshlrev_b16 v2, 8, v8
	;; [unrolled: 1-line block ×5, first 2 shown]
	v_cndmask_b32_e64 v26, 0, 1, s53
	v_cndmask_b32_e64 v32, 0, 1, s51
	;; [unrolled: 1-line block ×5, first 2 shown]
	v_or_b32_e32 v1, v5, v1
	v_or_b32_sdwa v2, v7, v2 dst_sel:WORD_1 dst_unused:UNUSED_PAD src0_sel:DWORD src1_sel:DWORD
	v_or_b32_e32 v5, v21, v6
	v_or_b32_sdwa v6, v23, v8 dst_sel:WORD_1 dst_unused:UNUSED_PAD src0_sel:DWORD src1_sel:DWORD
	v_or_b32_e32 v3, v4, v3
	v_lshlrev_b16 v4, 8, v39
	v_lshlrev_b16 v7, 8, v36
	;; [unrolled: 1-line block ×5, first 2 shown]
	v_or_b32_sdwa v4, v40, v4 dst_sel:WORD_1 dst_unused:UNUSED_PAD src0_sel:DWORD src1_sel:DWORD
	v_or_b32_e32 v7, v38, v7
	v_or_b32_sdwa v8, v35, v8 dst_sel:WORD_1 dst_unused:UNUSED_PAD src0_sel:DWORD src1_sel:DWORD
	v_or_b32_e32 v21, v32, v21
	v_or_b32_sdwa v22, v26, v22 dst_sel:WORD_1 dst_unused:UNUSED_PAD src0_sel:DWORD src1_sel:DWORD
	v_cndmask_b32_e64 v34, 0, 1, s55
	v_cndmask_b32_e64 v37, 0, 1, s57
	v_or_b32_sdwa v32, v1, v2 dst_sel:DWORD dst_unused:UNUSED_PAD src0_sel:WORD_0 src1_sel:DWORD
	v_or_b32_sdwa v35, v5, v6 dst_sel:DWORD dst_unused:UNUSED_PAD src0_sel:WORD_0 src1_sel:DWORD
	;; [unrolled: 1-line block ×5, first 2 shown]
	s_load_dwordx2 s[4:5], s[4:5], 0x78
	s_and_b32 vcc_lo, exec_lo, s54
	s_add_i32 s7, s43, 0xd00
	s_cbranch_vccnz .LBB1467_33
	s_branch .LBB1467_110
.LBB1467_32:
                                        ; implicit-def: $vgpr37
                                        ; implicit-def: $vgpr34
                                        ; implicit-def: $vgpr33
                                        ; implicit-def: $vgpr31
                                        ; implicit-def: $vgpr36
                                        ; implicit-def: $vgpr35
                                        ; implicit-def: $vgpr32
                                        ; implicit-def: $vgpr30
	s_load_dwordx2 s[4:5], s[4:5], 0x78
	s_add_i32 s7, s43, 0xd00
	s_cbranch_execz .LBB1467_110
.LBB1467_33:
	v_mov_b32_e32 v2, 0
	v_mov_b32_e32 v1, 0
	s_mov_b32 s1, exec_lo
	v_cmpx_gt_u32_e64 s7, v29
	s_cbranch_execz .LBB1467_37
; %bb.34:
	v_add_nc_u32_e32 v1, s17, v19
	v_add_nc_u32_e32 v2, s19, v19
	s_mov_b32 s3, 0
	s_mov_b32 s2, exec_lo
	v_mul_lo_u32 v1, v1, s16
	v_mul_lo_u32 v2, v2, s18
	v_sub_nc_u32_e32 v1, v1, v2
	v_cmp_lt_u32_e32 vcc_lo, s20, v1
	v_cmpx_ge_u32_e64 s20, v1
	s_cbranch_execz .LBB1467_36
; %bb.35:
	v_add_nc_u32_e32 v1, s22, v19
	v_add_nc_u32_e32 v2, s40, v19
	v_mul_lo_u32 v1, v1, s21
	v_mul_lo_u32 v2, v2, s23
	v_sub_nc_u32_e32 v1, v1, v2
	v_cmp_lt_u32_e64 s0, s41, v1
	s_and_b32 s3, s0, exec_lo
.LBB1467_36:
	s_or_b32 exec_lo, exec_lo, s2
	v_cndmask_b32_e64 v2, 0, 1, s3
	v_cndmask_b32_e64 v1, 0, 1, vcc_lo
.LBB1467_37:
	s_or_b32 exec_lo, exec_lo, s1
	v_add_nc_u32_e32 v3, 1, v29
	v_lshlrev_b16 v21, 8, v2
	v_and_b32_e32 v6, 0xff, v1
	v_lshlrev_b16 v7, 8, 0
                                        ; implicit-def: $vgpr5
                                        ; implicit-def: $vgpr8
                                        ; implicit-def: $vgpr2
                                        ; implicit-def: $vgpr4
	v_cmp_le_u32_e32 vcc_lo, s7, v3
                                        ; implicit-def: $vgpr3
	s_and_saveexec_b32 s0, vcc_lo
	s_xor_b32 s0, exec_lo, s0
	s_cbranch_execz .LBB1467_39
; %bb.38:
	v_mov_b32_e32 v1, 8
	v_mov_b32_e32 v2, 0xff
	;; [unrolled: 1-line block ×3, first 2 shown]
	v_and_b32_e32 v4, 0xffff, v7
	v_and_b32_e32 v3, 0xffff, v7
	v_lshrrev_b32_sdwa v1, v1, v21 dst_sel:BYTE_1 dst_unused:UNUSED_PAD src0_sel:DWORD src1_sel:WORD_0
	v_and_b32_sdwa v2, v21, v2 dst_sel:DWORD dst_unused:UNUSED_PAD src0_sel:WORD_0 src1_sel:DWORD
                                        ; implicit-def: $vgpr21
	v_or_b32_e32 v1, v2, v1
	v_and_b32_e32 v2, 0xffff, v7
                                        ; implicit-def: $vgpr7
	v_and_b32_e32 v8, 0xffff, v1
                                        ; implicit-def: $vgpr1
.LBB1467_39:
	s_andn2_saveexec_b32 s1, s0
	s_cbranch_execz .LBB1467_43
; %bb.40:
	v_add_nc_u32_e32 v2, s17, v20
	v_add_nc_u32_e32 v3, s19, v20
	s_mov_b32 s2, 0
	s_mov_b32 s3, exec_lo
	v_mul_lo_u32 v2, v2, s16
	v_mul_lo_u32 v3, v3, s18
	v_sub_nc_u32_e32 v2, v2, v3
	v_cmp_lt_u32_e32 vcc_lo, s20, v2
	v_cmpx_ge_u32_e64 s20, v2
	s_cbranch_execz .LBB1467_42
; %bb.41:
	v_add_nc_u32_e32 v2, s22, v20
	v_add_nc_u32_e32 v3, s40, v20
	v_mul_lo_u32 v2, v2, s21
	v_mul_lo_u32 v3, v3, s23
	v_sub_nc_u32_e32 v2, v2, v3
	v_cmp_lt_u32_e64 s0, s41, v2
	s_and_b32 s2, s0, exec_lo
.LBB1467_42:
	s_or_b32 exec_lo, exec_lo, s3
	v_mov_b32_e32 v2, 0xff
	v_mov_b32_e32 v3, 8
	v_cndmask_b32_e64 v4, 0, 1, vcc_lo
	v_mov_b32_e32 v5, 0
	v_and_b32_sdwa v2, v21, v2 dst_sel:DWORD dst_unused:UNUSED_PAD src0_sel:WORD_0 src1_sel:DWORD
	v_lshrrev_b32_sdwa v3, v3, v21 dst_sel:BYTE_1 dst_unused:UNUSED_PAD src0_sel:DWORD src1_sel:WORD_0
	v_lshlrev_b16 v4, 8, v4
	v_or_b32_e32 v2, v2, v3
	v_cndmask_b32_e64 v3, 0, 1, s2
	v_or_b32_sdwa v1, v1, v4 dst_sel:DWORD dst_unused:UNUSED_PAD src0_sel:BYTE_0 src1_sel:DWORD
	v_and_b32_e32 v4, 0xffff, v7
	v_and_b32_e32 v8, 0xffff, v2
	v_mov_b32_e32 v2, 0
	v_and_b32_e32 v6, 0xffff, v1
	v_lshl_or_b32 v8, v3, 16, v8
	v_and_b32_e32 v3, 0xffff, v7
.LBB1467_43:
	s_or_b32 exec_lo, exec_lo, s1
	v_add_nc_u32_e32 v1, 2, v29
                                        ; implicit-def: $vgpr7
	v_cmp_le_u32_e32 vcc_lo, s7, v1
                                        ; implicit-def: $vgpr1
	s_and_saveexec_b32 s0, vcc_lo
	s_xor_b32 s0, exec_lo, s0
	s_cbranch_execz .LBB1467_45
; %bb.44:
	v_lshrrev_b32_e32 v1, 24, v6
	v_mov_b32_e32 v7, 8
	v_and_b32_e32 v21, 0xff0000, v8
	v_perm_b32 v4, v4, v4, 0x3060504
	v_perm_b32 v1, v1, v6, 0x40c0100
	v_lshrrev_b32_sdwa v6, v7, v1 dst_sel:BYTE_1 dst_unused:UNUSED_PAD src0_sel:DWORD src1_sel:DWORD
	v_or_b32_sdwa v6, v1, v6 dst_sel:DWORD dst_unused:UNUSED_PAD src0_sel:BYTE_0 src1_sel:DWORD
	v_and_b32_e32 v6, 0xffff, v6
	v_and_or_b32 v7, 0xff000000, v1, v6
	v_perm_b32 v1, v8, v21, 0x3020504
                                        ; implicit-def: $vgpr6
                                        ; implicit-def: $vgpr8
.LBB1467_45:
	s_andn2_saveexec_b32 s1, s0
	s_cbranch_execz .LBB1467_49
; %bb.46:
	v_add_nc_u32_e32 v1, s17, v17
	v_add_nc_u32_e32 v7, s19, v17
	s_mov_b32 s2, 0
	s_mov_b32 s3, exec_lo
	v_mul_lo_u32 v1, v1, s16
	v_mul_lo_u32 v7, v7, s18
	v_sub_nc_u32_e32 v1, v1, v7
	v_cmp_lt_u32_e32 vcc_lo, s20, v1
	v_cmpx_ge_u32_e64 s20, v1
	s_cbranch_execz .LBB1467_48
; %bb.47:
	v_add_nc_u32_e32 v1, s22, v17
	v_add_nc_u32_e32 v7, s40, v17
	v_mul_lo_u32 v1, v1, s21
	v_mul_lo_u32 v7, v7, s23
	v_sub_nc_u32_e32 v1, v1, v7
	v_cmp_lt_u32_e64 s0, s41, v1
	s_and_b32 s2, s0, exec_lo
.LBB1467_48:
	s_or_b32 exec_lo, exec_lo, s3
	v_mov_b32_e32 v1, 8
	v_mov_b32_e32 v7, 24
	v_cndmask_b32_e64 v22, 0, 1, s2
	v_mov_b32_e32 v23, 0xff
	v_cndmask_b32_e64 v21, 0, 1, vcc_lo
	v_lshrrev_b32_sdwa v24, v1, v6 dst_sel:BYTE_1 dst_unused:UNUSED_PAD src0_sel:DWORD src1_sel:DWORD
	v_lshrrev_b32_sdwa v7, v7, v6 dst_sel:BYTE_1 dst_unused:UNUSED_PAD src0_sel:DWORD src1_sel:DWORD
	;; [unrolled: 1-line block ×3, first 2 shown]
	v_lshlrev_b16 v22, 8, v22
	v_and_b32_sdwa v23, v8, v23 dst_sel:DWORD dst_unused:UNUSED_PAD src0_sel:WORD_1 src1_sel:DWORD
	v_or_b32_sdwa v6, v6, v24 dst_sel:DWORD dst_unused:UNUSED_PAD src0_sel:BYTE_0 src1_sel:DWORD
	v_or_b32_sdwa v7, v21, v7 dst_sel:WORD_1 dst_unused:UNUSED_PAD src0_sel:DWORD src1_sel:DWORD
	v_or_b32_sdwa v1, v8, v1 dst_sel:DWORD dst_unused:UNUSED_PAD src0_sel:BYTE_0 src1_sel:DWORD
	v_or_b32_sdwa v8, v23, v22 dst_sel:WORD_1 dst_unused:UNUSED_PAD src0_sel:DWORD src1_sel:DWORD
	v_or_b32_sdwa v7, v6, v7 dst_sel:DWORD dst_unused:UNUSED_PAD src0_sel:WORD_0 src1_sel:DWORD
	v_or_b32_sdwa v1, v1, v8 dst_sel:DWORD dst_unused:UNUSED_PAD src0_sel:WORD_0 src1_sel:DWORD
.LBB1467_49:
	s_or_b32 exec_lo, exec_lo, s1
	v_add_nc_u32_e32 v6, 3, v29
                                        ; implicit-def: $vgpr30
	v_cmp_le_u32_e32 vcc_lo, s7, v6
                                        ; implicit-def: $vgpr6
	s_and_saveexec_b32 s0, vcc_lo
	s_xor_b32 s0, exec_lo, s0
	s_cbranch_execz .LBB1467_51
; %bb.50:
	v_mov_b32_e32 v6, 24
	v_mov_b32_e32 v8, 0xff
	;; [unrolled: 1-line block ×3, first 2 shown]
	v_and_b32_e32 v22, 0xff0000, v7
	v_perm_b32 v4, v4, v4, 0x3060504
	v_lshrrev_b32_sdwa v6, v6, v5 dst_sel:BYTE_1 dst_unused:UNUSED_PAD src0_sel:DWORD src1_sel:DWORD
	v_and_b32_sdwa v8, v5, v8 dst_sel:DWORD dst_unused:UNUSED_PAD src0_sel:WORD_1 src1_sel:DWORD
	v_lshrrev_b32_sdwa v5, v21, v5 dst_sel:BYTE_1 dst_unused:UNUSED_PAD src0_sel:DWORD src1_sel:DWORD
	v_perm_b32 v30, v7, v22, 0x3020504
	v_perm_b32 v3, v3, v3, 0x3060504
                                        ; implicit-def: $vgpr7
	v_or_b32_sdwa v6, v8, v6 dst_sel:WORD_1 dst_unused:UNUSED_PAD src0_sel:DWORD src1_sel:DWORD
	v_or_b32_sdwa v6, v5, v6 dst_sel:DWORD dst_unused:UNUSED_PAD src0_sel:WORD_0 src1_sel:DWORD
                                        ; implicit-def: $vgpr5
.LBB1467_51:
	s_andn2_saveexec_b32 s1, s0
	s_cbranch_execz .LBB1467_55
; %bb.52:
	v_add_nc_u32_e32 v6, s17, v18
	v_add_nc_u32_e32 v8, s19, v18
	s_mov_b32 s2, 0
	s_mov_b32 s3, exec_lo
	v_mul_lo_u32 v6, v6, s16
	v_mul_lo_u32 v8, v8, s18
	v_sub_nc_u32_e32 v6, v6, v8
	v_cmp_lt_u32_e32 vcc_lo, s20, v6
	v_cmpx_ge_u32_e64 s20, v6
	s_cbranch_execz .LBB1467_54
; %bb.53:
	v_add_nc_u32_e32 v6, s22, v18
	v_add_nc_u32_e32 v8, s40, v18
	v_mul_lo_u32 v6, v6, s21
	v_mul_lo_u32 v8, v8, s23
	v_sub_nc_u32_e32 v6, v6, v8
	v_cmp_lt_u32_e64 s0, s41, v6
	s_and_b32 s2, s0, exec_lo
.LBB1467_54:
	s_or_b32 exec_lo, exec_lo, s3
	v_mov_b32_e32 v6, 8
	v_cndmask_b32_e64 v8, 0, 1, vcc_lo
	v_mov_b32_e32 v21, 0xff
	v_mov_b32_e32 v22, 24
	v_cndmask_b32_e64 v23, 0, 1, s2
	v_lshrrev_b32_sdwa v24, v6, v7 dst_sel:BYTE_1 dst_unused:UNUSED_PAD src0_sel:DWORD src1_sel:DWORD
	v_lshlrev_b16 v8, 8, v8
	v_and_b32_sdwa v25, v7, v21 dst_sel:DWORD dst_unused:UNUSED_PAD src0_sel:WORD_1 src1_sel:DWORD
	v_lshrrev_b32_sdwa v22, v22, v5 dst_sel:BYTE_1 dst_unused:UNUSED_PAD src0_sel:DWORD src1_sel:DWORD
	v_and_b32_sdwa v21, v5, v21 dst_sel:DWORD dst_unused:UNUSED_PAD src0_sel:WORD_1 src1_sel:DWORD
	v_lshrrev_b32_sdwa v5, v6, v5 dst_sel:BYTE_1 dst_unused:UNUSED_PAD src0_sel:DWORD src1_sel:DWORD
	v_or_b32_sdwa v6, v7, v24 dst_sel:DWORD dst_unused:UNUSED_PAD src0_sel:BYTE_0 src1_sel:DWORD
	v_or_b32_sdwa v7, v25, v8 dst_sel:WORD_1 dst_unused:UNUSED_PAD src0_sel:DWORD src1_sel:DWORD
	v_or_b32_sdwa v8, v21, v22 dst_sel:WORD_1 dst_unused:UNUSED_PAD src0_sel:DWORD src1_sel:DWORD
	v_or_b32_e32 v5, v23, v5
	v_or_b32_sdwa v30, v6, v7 dst_sel:DWORD dst_unused:UNUSED_PAD src0_sel:WORD_0 src1_sel:DWORD
	v_or_b32_sdwa v6, v5, v8 dst_sel:DWORD dst_unused:UNUSED_PAD src0_sel:WORD_0 src1_sel:DWORD
.LBB1467_55:
	s_or_b32 exec_lo, exec_lo, s1
	v_add_nc_u32_e32 v5, 4, v29
                                        ; implicit-def: $vgpr7
	v_cmp_le_u32_e32 vcc_lo, s7, v5
                                        ; implicit-def: $vgpr5
	s_and_saveexec_b32 s0, vcc_lo
	s_xor_b32 s0, exec_lo, s0
	s_cbranch_execz .LBB1467_57
; %bb.56:
	v_mov_b32_e32 v5, 24
	v_mov_b32_e32 v7, 0xff
	;; [unrolled: 1-line block ×3, first 2 shown]
	v_perm_b32 v3, v3, v3, 0x3060504
	v_lshrrev_b32_sdwa v21, v5, v4 dst_sel:BYTE_1 dst_unused:UNUSED_PAD src0_sel:DWORD src1_sel:DWORD
	v_and_b32_sdwa v22, v4, v7 dst_sel:DWORD dst_unused:UNUSED_PAD src0_sel:WORD_1 src1_sel:DWORD
	v_lshrrev_b32_sdwa v5, v5, v6 dst_sel:BYTE_1 dst_unused:UNUSED_PAD src0_sel:DWORD src1_sel:DWORD
	v_and_b32_sdwa v7, v6, v7 dst_sel:DWORD dst_unused:UNUSED_PAD src0_sel:WORD_1 src1_sel:DWORD
	v_lshrrev_b32_sdwa v4, v8, v4 dst_sel:BYTE_1 dst_unused:UNUSED_PAD src0_sel:DWORD src1_sel:DWORD
	v_or_b32_sdwa v8, v22, v21 dst_sel:WORD_1 dst_unused:UNUSED_PAD src0_sel:DWORD src1_sel:DWORD
	v_or_b32_e32 v7, v7, v5
	v_or_b32_sdwa v5, v4, v8 dst_sel:DWORD dst_unused:UNUSED_PAD src0_sel:WORD_0 src1_sel:DWORD
                                        ; implicit-def: $vgpr4
	v_perm_b32 v7, v7, v6, 0x5040c00
                                        ; implicit-def: $vgpr6
.LBB1467_57:
	s_andn2_saveexec_b32 s1, s0
	s_cbranch_execz .LBB1467_61
; %bb.58:
	v_add_nc_u32_e32 v5, s17, v15
	v_add_nc_u32_e32 v7, s19, v15
	s_mov_b32 s2, 0
	s_mov_b32 s3, exec_lo
	v_mul_lo_u32 v5, v5, s16
	v_mul_lo_u32 v7, v7, s18
	v_sub_nc_u32_e32 v5, v5, v7
	v_cmp_lt_u32_e32 vcc_lo, s20, v5
	v_cmpx_ge_u32_e64 s20, v5
	s_cbranch_execz .LBB1467_60
; %bb.59:
	v_add_nc_u32_e32 v5, s22, v15
	v_add_nc_u32_e32 v7, s40, v15
	v_mul_lo_u32 v5, v5, s21
	v_mul_lo_u32 v7, v7, s23
	v_sub_nc_u32_e32 v5, v5, v7
	v_cmp_lt_u32_e64 s0, s41, v5
	s_and_b32 s2, s0, exec_lo
.LBB1467_60:
	s_or_b32 exec_lo, exec_lo, s3
	v_mov_b32_e32 v5, 24
	v_mov_b32_e32 v7, 0xff
	;; [unrolled: 1-line block ×3, first 2 shown]
	v_cndmask_b32_e64 v21, 0, 1, s2
	v_cndmask_b32_e64 v22, 0, 1, vcc_lo
	v_lshrrev_b32_sdwa v23, v5, v4 dst_sel:BYTE_1 dst_unused:UNUSED_PAD src0_sel:DWORD src1_sel:DWORD
	v_and_b32_sdwa v24, v4, v7 dst_sel:DWORD dst_unused:UNUSED_PAD src0_sel:WORD_1 src1_sel:DWORD
	v_lshrrev_b32_sdwa v4, v8, v4 dst_sel:BYTE_1 dst_unused:UNUSED_PAD src0_sel:DWORD src1_sel:DWORD
	v_lshlrev_b16 v8, 8, v21
	v_lshrrev_b32_sdwa v5, v5, v6 dst_sel:BYTE_1 dst_unused:UNUSED_PAD src0_sel:DWORD src1_sel:DWORD
	v_and_b32_sdwa v7, v6, v7 dst_sel:DWORD dst_unused:UNUSED_PAD src0_sel:WORD_1 src1_sel:DWORD
	v_or_b32_sdwa v21, v24, v23 dst_sel:WORD_1 dst_unused:UNUSED_PAD src0_sel:DWORD src1_sel:DWORD
	v_or_b32_e32 v4, v22, v4
	v_or_b32_sdwa v6, v6, v8 dst_sel:DWORD dst_unused:UNUSED_PAD src0_sel:BYTE_0 src1_sel:DWORD
	v_or_b32_sdwa v7, v7, v5 dst_sel:WORD_1 dst_unused:UNUSED_PAD src0_sel:DWORD src1_sel:DWORD
	v_or_b32_sdwa v5, v4, v21 dst_sel:DWORD dst_unused:UNUSED_PAD src0_sel:WORD_0 src1_sel:DWORD
	v_or_b32_sdwa v7, v6, v7 dst_sel:DWORD dst_unused:UNUSED_PAD src0_sel:WORD_0 src1_sel:DWORD
.LBB1467_61:
	s_or_b32 exec_lo, exec_lo, s1
	v_add_nc_u32_e32 v4, 5, v29
                                        ; implicit-def: $vgpr6
	v_cmp_le_u32_e32 vcc_lo, s7, v4
                                        ; implicit-def: $vgpr4
	s_and_saveexec_b32 s0, vcc_lo
	s_xor_b32 s0, exec_lo, s0
	s_cbranch_execz .LBB1467_63
; %bb.62:
	v_lshrrev_b32_e32 v4, 24, v7
	v_mov_b32_e32 v6, 8
	v_mov_b32_e32 v8, 0xff
	v_perm_b32 v3, v3, v3, 0x3060504
	v_perm_b32 v4, v4, v7, 0x40c0100
	v_mov_b32_e32 v7, 24
	v_and_b32_sdwa v8, v5, v8 dst_sel:DWORD dst_unused:UNUSED_PAD src0_sel:WORD_1 src1_sel:DWORD
	v_lshrrev_b32_sdwa v6, v6, v4 dst_sel:BYTE_1 dst_unused:UNUSED_PAD src0_sel:DWORD src1_sel:DWORD
	v_lshrrev_b32_sdwa v7, v7, v5 dst_sel:BYTE_1 dst_unused:UNUSED_PAD src0_sel:DWORD src1_sel:DWORD
	v_or_b32_sdwa v6, v4, v6 dst_sel:DWORD dst_unused:UNUSED_PAD src0_sel:BYTE_0 src1_sel:DWORD
	v_or_b32_e32 v7, v8, v7
	v_and_b32_e32 v8, 0xffff, v6
	v_perm_b32 v6, v7, v5, 0x5040c00
                                        ; implicit-def: $vgpr5
                                        ; implicit-def: $vgpr7
	v_and_or_b32 v4, 0xff000000, v4, v8
.LBB1467_63:
	s_andn2_saveexec_b32 s1, s0
	s_cbranch_execz .LBB1467_67
; %bb.64:
	v_add_nc_u32_e32 v4, s17, v16
	v_add_nc_u32_e32 v6, s19, v16
	s_mov_b32 s2, 0
	s_mov_b32 s3, exec_lo
	v_mul_lo_u32 v4, v4, s16
	v_mul_lo_u32 v6, v6, s18
	v_sub_nc_u32_e32 v4, v4, v6
	v_cmp_lt_u32_e32 vcc_lo, s20, v4
	v_cmpx_ge_u32_e64 s20, v4
	s_cbranch_execz .LBB1467_66
; %bb.65:
	v_add_nc_u32_e32 v4, s22, v16
	v_add_nc_u32_e32 v6, s40, v16
	v_mul_lo_u32 v4, v4, s21
	v_mul_lo_u32 v6, v6, s23
	v_sub_nc_u32_e32 v4, v4, v6
	v_cmp_lt_u32_e64 s0, s41, v4
	s_and_b32 s2, s0, exec_lo
.LBB1467_66:
	s_or_b32 exec_lo, exec_lo, s3
	v_cndmask_b32_e64 v4, 0, 1, vcc_lo
	v_mov_b32_e32 v6, 24
	v_mov_b32_e32 v8, 0xff
	;; [unrolled: 1-line block ×3, first 2 shown]
	v_cndmask_b32_e64 v22, 0, 1, s2
	v_lshlrev_b16 v4, 8, v4
	v_lshrrev_b32_sdwa v23, v6, v5 dst_sel:BYTE_1 dst_unused:UNUSED_PAD src0_sel:DWORD src1_sel:DWORD
	v_and_b32_sdwa v8, v5, v8 dst_sel:DWORD dst_unused:UNUSED_PAD src0_sel:WORD_1 src1_sel:DWORD
	v_lshrrev_b32_sdwa v21, v21, v7 dst_sel:BYTE_1 dst_unused:UNUSED_PAD src0_sel:DWORD src1_sel:DWORD
	v_lshrrev_b32_sdwa v6, v6, v7 dst_sel:BYTE_1 dst_unused:UNUSED_PAD src0_sel:DWORD src1_sel:DWORD
	v_or_b32_sdwa v4, v5, v4 dst_sel:DWORD dst_unused:UNUSED_PAD src0_sel:BYTE_0 src1_sel:DWORD
	v_or_b32_sdwa v5, v8, v23 dst_sel:WORD_1 dst_unused:UNUSED_PAD src0_sel:DWORD src1_sel:DWORD
	v_or_b32_sdwa v7, v7, v21 dst_sel:DWORD dst_unused:UNUSED_PAD src0_sel:BYTE_0 src1_sel:DWORD
	v_or_b32_sdwa v8, v22, v6 dst_sel:WORD_1 dst_unused:UNUSED_PAD src0_sel:DWORD src1_sel:DWORD
	v_or_b32_sdwa v6, v4, v5 dst_sel:DWORD dst_unused:UNUSED_PAD src0_sel:WORD_0 src1_sel:DWORD
	v_or_b32_sdwa v4, v7, v8 dst_sel:DWORD dst_unused:UNUSED_PAD src0_sel:WORD_0 src1_sel:DWORD
.LBB1467_67:
	s_or_b32 exec_lo, exec_lo, s1
	v_add_nc_u32_e32 v5, 6, v29
                                        ; implicit-def: $vgpr31
	v_cmp_le_u32_e32 vcc_lo, s7, v5
                                        ; implicit-def: $vgpr5
	s_and_saveexec_b32 s0, vcc_lo
	s_xor_b32 s0, exec_lo, s0
	s_cbranch_execz .LBB1467_69
; %bb.68:
	v_lshrrev_b32_e32 v5, 24, v6
	v_mov_b32_e32 v7, 8
	v_perm_b32 v3, v3, v3, 0x3060504
	v_perm_b32 v5, v5, v6, 0x40c0100
	v_lshrrev_b32_sdwa v6, v7, v5 dst_sel:BYTE_1 dst_unused:UNUSED_PAD src0_sel:DWORD src1_sel:DWORD
	v_and_b32_e32 v7, 0xff0000, v4
	v_or_b32_sdwa v6, v5, v6 dst_sel:DWORD dst_unused:UNUSED_PAD src0_sel:BYTE_0 src1_sel:DWORD
	v_perm_b32 v31, v4, v7, 0x3020504
                                        ; implicit-def: $vgpr4
	v_and_b32_e32 v6, 0xffff, v6
	v_and_or_b32 v5, 0xff000000, v5, v6
                                        ; implicit-def: $vgpr6
.LBB1467_69:
	s_andn2_saveexec_b32 s1, s0
	s_cbranch_execz .LBB1467_73
; %bb.70:
	v_add_nc_u32_e32 v5, s17, v13
	v_add_nc_u32_e32 v7, s19, v13
	s_mov_b32 s2, 0
	s_mov_b32 s3, exec_lo
	v_mul_lo_u32 v5, v5, s16
	v_mul_lo_u32 v7, v7, s18
	v_sub_nc_u32_e32 v5, v5, v7
	v_cmp_lt_u32_e32 vcc_lo, s20, v5
	v_cmpx_ge_u32_e64 s20, v5
	s_cbranch_execz .LBB1467_72
; %bb.71:
	v_add_nc_u32_e32 v5, s22, v13
	v_add_nc_u32_e32 v7, s40, v13
	v_mul_lo_u32 v5, v5, s21
	v_mul_lo_u32 v7, v7, s23
	v_sub_nc_u32_e32 v5, v5, v7
	v_cmp_lt_u32_e64 s0, s41, v5
	s_and_b32 s2, s0, exec_lo
.LBB1467_72:
	s_or_b32 exec_lo, exec_lo, s3
	v_mov_b32_e32 v5, 8
	v_mov_b32_e32 v7, 24
	v_cndmask_b32_e64 v21, 0, 1, s2
	v_mov_b32_e32 v22, 0xff
	v_cndmask_b32_e64 v8, 0, 1, vcc_lo
	v_lshrrev_b32_sdwa v23, v5, v6 dst_sel:BYTE_1 dst_unused:UNUSED_PAD src0_sel:DWORD src1_sel:DWORD
	v_lshrrev_b32_sdwa v7, v7, v6 dst_sel:BYTE_1 dst_unused:UNUSED_PAD src0_sel:DWORD src1_sel:DWORD
	v_lshrrev_b32_sdwa v5, v5, v4 dst_sel:BYTE_1 dst_unused:UNUSED_PAD src0_sel:DWORD src1_sel:DWORD
	v_lshlrev_b16 v21, 8, v21
	v_and_b32_sdwa v22, v4, v22 dst_sel:DWORD dst_unused:UNUSED_PAD src0_sel:WORD_1 src1_sel:DWORD
	v_or_b32_sdwa v6, v6, v23 dst_sel:DWORD dst_unused:UNUSED_PAD src0_sel:BYTE_0 src1_sel:DWORD
	v_or_b32_sdwa v7, v8, v7 dst_sel:WORD_1 dst_unused:UNUSED_PAD src0_sel:DWORD src1_sel:DWORD
	v_or_b32_sdwa v4, v4, v5 dst_sel:DWORD dst_unused:UNUSED_PAD src0_sel:BYTE_0 src1_sel:DWORD
	v_or_b32_sdwa v8, v22, v21 dst_sel:WORD_1 dst_unused:UNUSED_PAD src0_sel:DWORD src1_sel:DWORD
	v_or_b32_sdwa v5, v6, v7 dst_sel:DWORD dst_unused:UNUSED_PAD src0_sel:WORD_0 src1_sel:DWORD
	v_or_b32_sdwa v31, v4, v8 dst_sel:DWORD dst_unused:UNUSED_PAD src0_sel:WORD_0 src1_sel:DWORD
.LBB1467_73:
	s_or_b32 exec_lo, exec_lo, s1
	v_add_nc_u32_e32 v4, 7, v29
                                        ; implicit-def: $vgpr32
	v_cmp_le_u32_e32 vcc_lo, s7, v4
                                        ; implicit-def: $vgpr4
	s_and_saveexec_b32 s0, vcc_lo
	s_xor_b32 s0, exec_lo, s0
	s_cbranch_execz .LBB1467_75
; %bb.74:
	v_mov_b32_e32 v4, 24
	v_mov_b32_e32 v6, 0xff
	;; [unrolled: 1-line block ×3, first 2 shown]
	v_lshrrev_b32_sdwa v4, v4, v3 dst_sel:BYTE_1 dst_unused:UNUSED_PAD src0_sel:DWORD src1_sel:DWORD
	v_and_b32_sdwa v6, v3, v6 dst_sel:DWORD dst_unused:UNUSED_PAD src0_sel:WORD_1 src1_sel:DWORD
	v_lshrrev_b32_sdwa v3, v7, v3 dst_sel:BYTE_1 dst_unused:UNUSED_PAD src0_sel:DWORD src1_sel:DWORD
	v_and_b32_e32 v7, 0xff0000, v5
	v_or_b32_sdwa v4, v6, v4 dst_sel:WORD_1 dst_unused:UNUSED_PAD src0_sel:DWORD src1_sel:DWORD
	v_perm_b32 v32, v5, v7, 0x3020504
                                        ; implicit-def: $vgpr5
	v_or_b32_sdwa v4, v3, v4 dst_sel:DWORD dst_unused:UNUSED_PAD src0_sel:WORD_0 src1_sel:DWORD
                                        ; implicit-def: $vgpr3
.LBB1467_75:
	s_andn2_saveexec_b32 s1, s0
	s_cbranch_execz .LBB1467_79
; %bb.76:
	v_add_nc_u32_e32 v4, s17, v14
	v_add_nc_u32_e32 v6, s19, v14
	s_mov_b32 s2, 0
	s_mov_b32 s3, exec_lo
	v_mul_lo_u32 v4, v4, s16
	v_mul_lo_u32 v6, v6, s18
	v_sub_nc_u32_e32 v4, v4, v6
	v_cmp_lt_u32_e32 vcc_lo, s20, v4
	v_cmpx_ge_u32_e64 s20, v4
	s_cbranch_execz .LBB1467_78
; %bb.77:
	v_add_nc_u32_e32 v4, s22, v14
	v_add_nc_u32_e32 v6, s40, v14
	v_mul_lo_u32 v4, v4, s21
	v_mul_lo_u32 v6, v6, s23
	v_sub_nc_u32_e32 v4, v4, v6
	v_cmp_lt_u32_e64 s0, s41, v4
	s_and_b32 s2, s0, exec_lo
.LBB1467_78:
	s_or_b32 exec_lo, exec_lo, s3
	v_mov_b32_e32 v4, 8
	v_cndmask_b32_e64 v6, 0, 1, vcc_lo
	v_mov_b32_e32 v7, 0xff
	v_mov_b32_e32 v8, 24
	v_cndmask_b32_e64 v21, 0, 1, s2
	v_lshrrev_b32_sdwa v22, v4, v5 dst_sel:BYTE_1 dst_unused:UNUSED_PAD src0_sel:DWORD src1_sel:DWORD
	v_lshlrev_b16 v6, 8, v6
	v_and_b32_sdwa v23, v5, v7 dst_sel:DWORD dst_unused:UNUSED_PAD src0_sel:WORD_1 src1_sel:DWORD
	v_lshrrev_b32_sdwa v8, v8, v3 dst_sel:BYTE_1 dst_unused:UNUSED_PAD src0_sel:DWORD src1_sel:DWORD
	v_and_b32_sdwa v7, v3, v7 dst_sel:DWORD dst_unused:UNUSED_PAD src0_sel:WORD_1 src1_sel:DWORD
	v_lshrrev_b32_sdwa v3, v4, v3 dst_sel:BYTE_1 dst_unused:UNUSED_PAD src0_sel:DWORD src1_sel:DWORD
	v_or_b32_sdwa v4, v5, v22 dst_sel:DWORD dst_unused:UNUSED_PAD src0_sel:BYTE_0 src1_sel:DWORD
	v_or_b32_sdwa v5, v23, v6 dst_sel:WORD_1 dst_unused:UNUSED_PAD src0_sel:DWORD src1_sel:DWORD
	v_or_b32_sdwa v6, v7, v8 dst_sel:WORD_1 dst_unused:UNUSED_PAD src0_sel:DWORD src1_sel:DWORD
	v_or_b32_e32 v3, v21, v3
	v_or_b32_sdwa v32, v4, v5 dst_sel:DWORD dst_unused:UNUSED_PAD src0_sel:WORD_0 src1_sel:DWORD
	v_or_b32_sdwa v4, v3, v6 dst_sel:DWORD dst_unused:UNUSED_PAD src0_sel:WORD_0 src1_sel:DWORD
.LBB1467_79:
	s_or_b32 exec_lo, exec_lo, s1
	v_add_nc_u32_e32 v3, 8, v29
                                        ; implicit-def: $vgpr5
	v_cmp_le_u32_e32 vcc_lo, s7, v3
                                        ; implicit-def: $vgpr3
	s_and_saveexec_b32 s0, vcc_lo
	s_xor_b32 s0, exec_lo, s0
	s_cbranch_execz .LBB1467_81
; %bb.80:
	v_mov_b32_e32 v3, 24
	v_mov_b32_e32 v5, 0xff
	;; [unrolled: 1-line block ×3, first 2 shown]
	v_perm_b32 v1, v1, v1, 0x3060504
	v_lshrrev_b32_sdwa v7, v3, v4 dst_sel:BYTE_1 dst_unused:UNUSED_PAD src0_sel:DWORD src1_sel:DWORD
	v_lshrrev_b32_sdwa v3, v3, v2 dst_sel:BYTE_1 dst_unused:UNUSED_PAD src0_sel:DWORD src1_sel:DWORD
	v_and_b32_sdwa v8, v2, v5 dst_sel:DWORD dst_unused:UNUSED_PAD src0_sel:WORD_1 src1_sel:DWORD
	v_and_b32_sdwa v5, v4, v5 dst_sel:DWORD dst_unused:UNUSED_PAD src0_sel:WORD_1 src1_sel:DWORD
	v_lshrrev_b32_sdwa v2, v6, v2 dst_sel:BYTE_1 dst_unused:UNUSED_PAD src0_sel:DWORD src1_sel:DWORD
	v_or_b32_sdwa v3, v8, v3 dst_sel:WORD_1 dst_unused:UNUSED_PAD src0_sel:DWORD src1_sel:DWORD
	v_or_b32_e32 v5, v5, v7
	v_or_b32_sdwa v3, v2, v3 dst_sel:DWORD dst_unused:UNUSED_PAD src0_sel:WORD_0 src1_sel:DWORD
	v_perm_b32 v5, v5, v4, 0x5040c00
                                        ; implicit-def: $vgpr2
                                        ; implicit-def: $vgpr4
.LBB1467_81:
	s_andn2_saveexec_b32 s1, s0
	s_cbranch_execz .LBB1467_85
; %bb.82:
	v_add_nc_u32_e32 v3, s17, v11
	v_add_nc_u32_e32 v5, s19, v11
	s_mov_b32 s2, 0
	s_mov_b32 s3, exec_lo
	v_mul_lo_u32 v3, v3, s16
	v_mul_lo_u32 v5, v5, s18
	v_sub_nc_u32_e32 v3, v3, v5
	v_cmp_lt_u32_e32 vcc_lo, s20, v3
	v_cmpx_ge_u32_e64 s20, v3
	s_cbranch_execz .LBB1467_84
; %bb.83:
	v_add_nc_u32_e32 v3, s22, v11
	v_add_nc_u32_e32 v5, s40, v11
	v_mul_lo_u32 v3, v3, s21
	v_mul_lo_u32 v5, v5, s23
	v_sub_nc_u32_e32 v3, v3, v5
	v_cmp_lt_u32_e64 s0, s41, v3
	s_and_b32 s2, s0, exec_lo
.LBB1467_84:
	s_or_b32 exec_lo, exec_lo, s3
	v_mov_b32_e32 v3, 24
	v_mov_b32_e32 v5, 0xff
	;; [unrolled: 1-line block ×3, first 2 shown]
	v_cndmask_b32_e64 v7, 0, 1, s2
	v_cndmask_b32_e64 v8, 0, 1, vcc_lo
	v_lshrrev_b32_sdwa v21, v3, v2 dst_sel:BYTE_1 dst_unused:UNUSED_PAD src0_sel:DWORD src1_sel:DWORD
	v_and_b32_sdwa v22, v2, v5 dst_sel:DWORD dst_unused:UNUSED_PAD src0_sel:WORD_1 src1_sel:DWORD
	v_lshrrev_b32_sdwa v2, v6, v2 dst_sel:BYTE_1 dst_unused:UNUSED_PAD src0_sel:DWORD src1_sel:DWORD
	v_lshlrev_b16 v6, 8, v7
	v_lshrrev_b32_sdwa v3, v3, v4 dst_sel:BYTE_1 dst_unused:UNUSED_PAD src0_sel:DWORD src1_sel:DWORD
	v_and_b32_sdwa v5, v4, v5 dst_sel:DWORD dst_unused:UNUSED_PAD src0_sel:WORD_1 src1_sel:DWORD
	v_or_b32_sdwa v7, v22, v21 dst_sel:WORD_1 dst_unused:UNUSED_PAD src0_sel:DWORD src1_sel:DWORD
	v_or_b32_e32 v2, v8, v2
	v_or_b32_sdwa v4, v4, v6 dst_sel:DWORD dst_unused:UNUSED_PAD src0_sel:BYTE_0 src1_sel:DWORD
	v_or_b32_sdwa v5, v5, v3 dst_sel:WORD_1 dst_unused:UNUSED_PAD src0_sel:DWORD src1_sel:DWORD
	v_or_b32_sdwa v3, v2, v7 dst_sel:DWORD dst_unused:UNUSED_PAD src0_sel:WORD_0 src1_sel:DWORD
	v_or_b32_sdwa v5, v4, v5 dst_sel:DWORD dst_unused:UNUSED_PAD src0_sel:WORD_0 src1_sel:DWORD
.LBB1467_85:
	s_or_b32 exec_lo, exec_lo, s1
	v_add_nc_u32_e32 v2, 9, v29
                                        ; implicit-def: $vgpr4
	v_cmp_le_u32_e32 vcc_lo, s7, v2
                                        ; implicit-def: $vgpr2
	s_and_saveexec_b32 s0, vcc_lo
	s_xor_b32 s0, exec_lo, s0
	s_cbranch_execz .LBB1467_87
; %bb.86:
	v_lshrrev_b32_e32 v2, 24, v5
	v_mov_b32_e32 v4, 8
	v_mov_b32_e32 v6, 0xff
	v_perm_b32 v1, v1, v1, 0x3060504
	v_perm_b32 v2, v2, v5, 0x40c0100
	v_mov_b32_e32 v5, 24
	v_and_b32_sdwa v6, v3, v6 dst_sel:DWORD dst_unused:UNUSED_PAD src0_sel:WORD_1 src1_sel:DWORD
	v_lshrrev_b32_sdwa v4, v4, v2 dst_sel:BYTE_1 dst_unused:UNUSED_PAD src0_sel:DWORD src1_sel:DWORD
	v_lshrrev_b32_sdwa v5, v5, v3 dst_sel:BYTE_1 dst_unused:UNUSED_PAD src0_sel:DWORD src1_sel:DWORD
	v_or_b32_sdwa v4, v2, v4 dst_sel:DWORD dst_unused:UNUSED_PAD src0_sel:BYTE_0 src1_sel:DWORD
	v_or_b32_e32 v5, v6, v5
	v_and_b32_e32 v6, 0xffff, v4
	v_perm_b32 v4, v5, v3, 0x5040c00
                                        ; implicit-def: $vgpr3
                                        ; implicit-def: $vgpr5
	v_and_or_b32 v2, 0xff000000, v2, v6
.LBB1467_87:
	s_andn2_saveexec_b32 s1, s0
	s_cbranch_execz .LBB1467_91
; %bb.88:
	v_add_nc_u32_e32 v2, s17, v12
	v_add_nc_u32_e32 v4, s19, v12
	s_mov_b32 s2, 0
	s_mov_b32 s3, exec_lo
	v_mul_lo_u32 v2, v2, s16
	v_mul_lo_u32 v4, v4, s18
	v_sub_nc_u32_e32 v2, v2, v4
	v_cmp_lt_u32_e32 vcc_lo, s20, v2
	v_cmpx_ge_u32_e64 s20, v2
	s_cbranch_execz .LBB1467_90
; %bb.89:
	v_add_nc_u32_e32 v2, s22, v12
	v_add_nc_u32_e32 v4, s40, v12
	v_mul_lo_u32 v2, v2, s21
	v_mul_lo_u32 v4, v4, s23
	v_sub_nc_u32_e32 v2, v2, v4
	v_cmp_lt_u32_e64 s0, s41, v2
	s_and_b32 s2, s0, exec_lo
.LBB1467_90:
	s_or_b32 exec_lo, exec_lo, s3
	v_cndmask_b32_e64 v2, 0, 1, vcc_lo
	v_mov_b32_e32 v4, 24
	v_mov_b32_e32 v6, 0xff
	;; [unrolled: 1-line block ×3, first 2 shown]
	v_cndmask_b32_e64 v8, 0, 1, s2
	v_lshlrev_b16 v2, 8, v2
	v_lshrrev_b32_sdwa v21, v4, v3 dst_sel:BYTE_1 dst_unused:UNUSED_PAD src0_sel:DWORD src1_sel:DWORD
	v_and_b32_sdwa v6, v3, v6 dst_sel:DWORD dst_unused:UNUSED_PAD src0_sel:WORD_1 src1_sel:DWORD
	v_lshrrev_b32_sdwa v7, v7, v5 dst_sel:BYTE_1 dst_unused:UNUSED_PAD src0_sel:DWORD src1_sel:DWORD
	v_lshrrev_b32_sdwa v4, v4, v5 dst_sel:BYTE_1 dst_unused:UNUSED_PAD src0_sel:DWORD src1_sel:DWORD
	v_or_b32_sdwa v2, v3, v2 dst_sel:DWORD dst_unused:UNUSED_PAD src0_sel:BYTE_0 src1_sel:DWORD
	v_or_b32_sdwa v3, v6, v21 dst_sel:WORD_1 dst_unused:UNUSED_PAD src0_sel:DWORD src1_sel:DWORD
	v_or_b32_sdwa v5, v5, v7 dst_sel:DWORD dst_unused:UNUSED_PAD src0_sel:BYTE_0 src1_sel:DWORD
	v_or_b32_sdwa v6, v8, v4 dst_sel:WORD_1 dst_unused:UNUSED_PAD src0_sel:DWORD src1_sel:DWORD
	v_or_b32_sdwa v4, v2, v3 dst_sel:DWORD dst_unused:UNUSED_PAD src0_sel:WORD_0 src1_sel:DWORD
	v_or_b32_sdwa v2, v5, v6 dst_sel:DWORD dst_unused:UNUSED_PAD src0_sel:WORD_0 src1_sel:DWORD
.LBB1467_91:
	s_or_b32 exec_lo, exec_lo, s1
	v_add_nc_u32_e32 v3, 10, v29
                                        ; implicit-def: $vgpr33
	v_cmp_le_u32_e32 vcc_lo, s7, v3
                                        ; implicit-def: $vgpr3
	s_and_saveexec_b32 s0, vcc_lo
	s_xor_b32 s0, exec_lo, s0
	s_cbranch_execz .LBB1467_93
; %bb.92:
	v_lshrrev_b32_e32 v3, 24, v4
	v_mov_b32_e32 v5, 8
	v_perm_b32 v1, v1, v1, 0x3060504
	v_perm_b32 v3, v3, v4, 0x40c0100
	v_lshrrev_b32_sdwa v4, v5, v3 dst_sel:BYTE_1 dst_unused:UNUSED_PAD src0_sel:DWORD src1_sel:DWORD
	v_and_b32_e32 v5, 0xff0000, v2
	v_or_b32_sdwa v4, v3, v4 dst_sel:DWORD dst_unused:UNUSED_PAD src0_sel:BYTE_0 src1_sel:DWORD
	v_perm_b32 v33, v2, v5, 0x3020504
                                        ; implicit-def: $vgpr2
	v_and_b32_e32 v4, 0xffff, v4
	v_and_or_b32 v3, 0xff000000, v3, v4
                                        ; implicit-def: $vgpr4
.LBB1467_93:
	s_andn2_saveexec_b32 s1, s0
	s_cbranch_execz .LBB1467_97
; %bb.94:
	v_add_nc_u32_e32 v3, s17, v9
	v_add_nc_u32_e32 v5, s19, v9
	s_mov_b32 s2, 0
	s_mov_b32 s3, exec_lo
	v_mul_lo_u32 v3, v3, s16
	v_mul_lo_u32 v5, v5, s18
	v_sub_nc_u32_e32 v3, v3, v5
	v_cmp_lt_u32_e32 vcc_lo, s20, v3
	v_cmpx_ge_u32_e64 s20, v3
	s_cbranch_execz .LBB1467_96
; %bb.95:
	v_add_nc_u32_e32 v3, s22, v9
	v_add_nc_u32_e32 v5, s40, v9
	v_mul_lo_u32 v3, v3, s21
	v_mul_lo_u32 v5, v5, s23
	v_sub_nc_u32_e32 v3, v3, v5
	v_cmp_lt_u32_e64 s0, s41, v3
	s_and_b32 s2, s0, exec_lo
.LBB1467_96:
	s_or_b32 exec_lo, exec_lo, s3
	v_mov_b32_e32 v3, 8
	v_mov_b32_e32 v5, 24
	v_cndmask_b32_e64 v7, 0, 1, s2
	v_mov_b32_e32 v8, 0xff
	v_cndmask_b32_e64 v6, 0, 1, vcc_lo
	v_lshrrev_b32_sdwa v21, v3, v4 dst_sel:BYTE_1 dst_unused:UNUSED_PAD src0_sel:DWORD src1_sel:DWORD
	v_lshrrev_b32_sdwa v5, v5, v4 dst_sel:BYTE_1 dst_unused:UNUSED_PAD src0_sel:DWORD src1_sel:DWORD
	;; [unrolled: 1-line block ×3, first 2 shown]
	v_lshlrev_b16 v7, 8, v7
	v_and_b32_sdwa v8, v2, v8 dst_sel:DWORD dst_unused:UNUSED_PAD src0_sel:WORD_1 src1_sel:DWORD
	v_or_b32_sdwa v4, v4, v21 dst_sel:DWORD dst_unused:UNUSED_PAD src0_sel:BYTE_0 src1_sel:DWORD
	v_or_b32_sdwa v5, v6, v5 dst_sel:WORD_1 dst_unused:UNUSED_PAD src0_sel:DWORD src1_sel:DWORD
	v_or_b32_sdwa v2, v2, v3 dst_sel:DWORD dst_unused:UNUSED_PAD src0_sel:BYTE_0 src1_sel:DWORD
	v_or_b32_sdwa v6, v8, v7 dst_sel:WORD_1 dst_unused:UNUSED_PAD src0_sel:DWORD src1_sel:DWORD
	v_or_b32_sdwa v3, v4, v5 dst_sel:DWORD dst_unused:UNUSED_PAD src0_sel:WORD_0 src1_sel:DWORD
	v_or_b32_sdwa v33, v2, v6 dst_sel:DWORD dst_unused:UNUSED_PAD src0_sel:WORD_0 src1_sel:DWORD
.LBB1467_97:
	s_or_b32 exec_lo, exec_lo, s1
	v_add_nc_u32_e32 v2, 11, v29
	v_mov_b32_e32 v34, 0
	s_mov_b32 s0, exec_lo
                                        ; implicit-def: $vgpr35
	v_cmpx_le_u32_e64 s7, v2
	s_xor_b32 s0, exec_lo, s0
; %bb.98:
	v_and_b32_e32 v2, 0xff0000, v3
	v_perm_b32 v1, v1, v1, 0x3060504
	v_perm_b32 v35, v3, v2, 0x3020504
                                        ; implicit-def: $vgpr3
; %bb.99:
	s_andn2_saveexec_b32 s1, s0
	s_cbranch_execz .LBB1467_103
; %bb.100:
	v_add_nc_u32_e32 v2, s17, v10
	v_add_nc_u32_e32 v4, s19, v10
	s_mov_b32 s2, 0
	s_mov_b32 s3, exec_lo
	v_mul_lo_u32 v2, v2, s16
	v_mul_lo_u32 v4, v4, s18
	v_sub_nc_u32_e32 v2, v2, v4
	v_cmp_lt_u32_e32 vcc_lo, s20, v2
	v_cmpx_ge_u32_e64 s20, v2
	s_cbranch_execz .LBB1467_102
; %bb.101:
	v_add_nc_u32_e32 v2, s22, v10
	v_add_nc_u32_e32 v4, s40, v10
	v_mul_lo_u32 v2, v2, s21
	v_mul_lo_u32 v4, v4, s23
	v_sub_nc_u32_e32 v2, v2, v4
	v_cmp_lt_u32_e64 s0, s41, v2
	s_and_b32 s2, s0, exec_lo
.LBB1467_102:
	s_or_b32 exec_lo, exec_lo, s3
	v_mov_b32_e32 v2, 8
	v_cndmask_b32_e64 v4, 0, 1, vcc_lo
	v_mov_b32_e32 v5, 0xff
	v_cndmask_b32_e64 v34, 0, 1, s2
	v_lshrrev_b32_sdwa v2, v2, v3 dst_sel:BYTE_1 dst_unused:UNUSED_PAD src0_sel:DWORD src1_sel:DWORD
	v_lshlrev_b16 v4, 8, v4
	v_and_b32_sdwa v5, v3, v5 dst_sel:DWORD dst_unused:UNUSED_PAD src0_sel:WORD_1 src1_sel:DWORD
	v_or_b32_sdwa v2, v3, v2 dst_sel:DWORD dst_unused:UNUSED_PAD src0_sel:BYTE_0 src1_sel:DWORD
	v_or_b32_sdwa v3, v5, v4 dst_sel:WORD_1 dst_unused:UNUSED_PAD src0_sel:DWORD src1_sel:DWORD
	v_or_b32_sdwa v35, v2, v3 dst_sel:DWORD dst_unused:UNUSED_PAD src0_sel:WORD_0 src1_sel:DWORD
.LBB1467_103:
	s_or_b32 exec_lo, exec_lo, s1
	v_add_nc_u32_e32 v2, 12, v29
	s_mov_b32 s0, exec_lo
                                        ; implicit-def: $vgpr36
	v_cmpx_le_u32_e64 s7, v2
	s_xor_b32 s0, exec_lo, s0
	s_cbranch_execz .LBB1467_105
; %bb.104:
	v_mov_b32_e32 v2, 24
	v_mov_b32_e32 v3, 0xff
	;; [unrolled: 1-line block ×3, first 2 shown]
	v_lshrrev_b32_sdwa v2, v2, v1 dst_sel:BYTE_1 dst_unused:UNUSED_PAD src0_sel:DWORD src1_sel:DWORD
	v_and_b32_sdwa v3, v1, v3 dst_sel:DWORD dst_unused:UNUSED_PAD src0_sel:WORD_1 src1_sel:DWORD
	v_lshrrev_b32_sdwa v1, v4, v1 dst_sel:BYTE_1 dst_unused:UNUSED_PAD src0_sel:DWORD src1_sel:DWORD
	v_or_b32_sdwa v2, v3, v2 dst_sel:WORD_1 dst_unused:UNUSED_PAD src0_sel:DWORD src1_sel:DWORD
	v_or_b32_sdwa v36, v1, v2 dst_sel:DWORD dst_unused:UNUSED_PAD src0_sel:WORD_0 src1_sel:DWORD
                                        ; implicit-def: $vgpr1
.LBB1467_105:
	s_or_saveexec_b32 s1, s0
	v_mov_b32_e32 v37, 0
	s_xor_b32 exec_lo, exec_lo, s1
	s_cbranch_execz .LBB1467_109
; %bb.106:
	v_add_nc_u32_e32 v2, s17, v28
	v_add_nc_u32_e32 v3, s19, v28
	s_mov_b32 s2, 0
	s_mov_b32 s3, exec_lo
	v_mul_lo_u32 v2, v2, s16
	v_mul_lo_u32 v3, v3, s18
	v_sub_nc_u32_e32 v2, v2, v3
	v_cmp_lt_u32_e32 vcc_lo, s20, v2
	v_cmpx_ge_u32_e64 s20, v2
	s_cbranch_execz .LBB1467_108
; %bb.107:
	v_add_nc_u32_e32 v2, s22, v28
	v_add_nc_u32_e32 v3, s40, v28
	v_mul_lo_u32 v2, v2, s21
	v_mul_lo_u32 v3, v3, s23
	v_sub_nc_u32_e32 v2, v2, v3
	v_cmp_lt_u32_e64 s0, s41, v2
	s_and_b32 s2, s0, exec_lo
.LBB1467_108:
	s_or_b32 exec_lo, exec_lo, s3
	v_mov_b32_e32 v2, 24
	v_mov_b32_e32 v3, 0xff
	;; [unrolled: 1-line block ×3, first 2 shown]
	v_cndmask_b32_e64 v5, 0, 1, vcc_lo
	v_cndmask_b32_e64 v37, 0, 1, s2
	v_lshrrev_b32_sdwa v2, v2, v1 dst_sel:BYTE_1 dst_unused:UNUSED_PAD src0_sel:DWORD src1_sel:DWORD
	v_and_b32_sdwa v3, v1, v3 dst_sel:DWORD dst_unused:UNUSED_PAD src0_sel:WORD_1 src1_sel:DWORD
	v_lshrrev_b32_sdwa v1, v4, v1 dst_sel:BYTE_1 dst_unused:UNUSED_PAD src0_sel:DWORD src1_sel:DWORD
	v_or_b32_sdwa v2, v3, v2 dst_sel:WORD_1 dst_unused:UNUSED_PAD src0_sel:DWORD src1_sel:DWORD
	v_or_b32_e32 v1, v5, v1
	v_or_b32_sdwa v36, v1, v2 dst_sel:DWORD dst_unused:UNUSED_PAD src0_sel:WORD_0 src1_sel:DWORD
.LBB1467_109:
	s_or_b32 exec_lo, exec_lo, s1
.LBB1467_110:
	v_and_b32_e32 v60, 0xff, v30
	v_bfe_u32 v61, v36, 8, 8
	v_bfe_u32 v57, v30, 8, 8
	;; [unrolled: 1-line block ×4, first 2 shown]
	v_lshrrev_b32_e32 v43, 24, v36
	v_lshrrev_b32_e32 v42, 24, v30
	v_and_b32_e32 v56, 0xff, v31
	v_and_b32_e32 v54, 0xff, v32
	v_bfe_u32 v55, v31, 8, 8
	v_add3_u32 v1, v57, v60, v59
	v_add3_u32 v2, v58, v61, v43
	v_bfe_u32 v52, v32, 8, 8
	v_bfe_u32 v53, v31, 16, 8
	;; [unrolled: 1-line block ×3, first 2 shown]
	v_lshrrev_b32_e32 v41, 24, v31
	v_add3_u32 v1, v1, v42, v54
	v_add3_u32 v2, v2, v56, v55
	v_lshrrev_b32_e32 v40, 24, v32
	v_and_b32_e32 v51, 0xff, v33
	v_and_b32_e32 v49, 0xff, v35
	v_bfe_u32 v50, v33, 8, 8
	v_add3_u32 v1, v1, v52, v46
	v_add3_u32 v2, v2, v53, v41
	v_bfe_u32 v47, v35, 8, 8
	v_bfe_u32 v48, v33, 16, 8
	;; [unrolled: 1-line block ×3, first 2 shown]
	v_lshrrev_b32_e32 v39, 24, v33
	v_add3_u32 v1, v1, v40, v49
	v_add3_u32 v2, v2, v51, v50
	v_mbcnt_lo_u32_b32 v62, -1, 0
	v_lshrrev_b32_e32 v38, 24, v35
	v_and_b32_e32 v44, 0xff, v34
	v_and_b32_e32 v3, 0xff, v36
	v_and_b32_e32 v4, 0xff, v37
	v_add3_u32 v1, v1, v47, v45
	v_add3_u32 v2, v2, v48, v39
	v_and_b32_e32 v64, 15, v62
	v_and_b32_e32 v66, 16, v62
	v_lshrrev_b32_e32 v63, 5, v0
	v_add3_u32 v67, v1, v38, v3
	v_add3_u32 v68, v2, v44, v4
	v_cmp_eq_u32_e64 s1, 0, v64
	v_cmp_lt_u32_e64 s0, 1, v64
	v_cmp_lt_u32_e64 s2, 3, v64
	v_or_b32_e32 v65, 31, v0
	s_cmp_lg_u32 s6, 0
	s_mov_b32 s3, -1
	v_cmp_lt_u32_e32 vcc_lo, 7, v64
	s_cbranch_scc0 .LBB1467_132
; %bb.111:
	v_mov_b32_dpp v1, v68 row_shr:1 row_mask:0xf bank_mask:0xf
	v_mov_b32_dpp v2, v67 row_shr:1 row_mask:0xf bank_mask:0xf
	s_mov_b32 s3, exec_lo
	v_add_nc_u32_e32 v1, v1, v68
	v_add_nc_u32_e32 v2, v2, v67
	v_cndmask_b32_e64 v1, v1, v68, s1
	v_cndmask_b32_e64 v2, v2, v67, s1
	v_mov_b32_dpp v3, v1 row_shr:2 row_mask:0xf bank_mask:0xf
	v_mov_b32_dpp v4, v2 row_shr:2 row_mask:0xf bank_mask:0xf
	v_add_nc_u32_e32 v3, v1, v3
	v_add_nc_u32_e32 v4, v2, v4
	v_cndmask_b32_e64 v1, v1, v3, s0
	v_cndmask_b32_e64 v2, v2, v4, s0
	v_mov_b32_dpp v3, v1 row_shr:4 row_mask:0xf bank_mask:0xf
	v_mov_b32_dpp v4, v2 row_shr:4 row_mask:0xf bank_mask:0xf
	;; [unrolled: 6-line block ×3, first 2 shown]
	v_add_nc_u32_e32 v3, v1, v3
	v_add_nc_u32_e32 v4, v2, v4
	v_cndmask_b32_e32 v1, v1, v3, vcc_lo
	v_cndmask_b32_e32 v2, v2, v4, vcc_lo
	v_cmp_eq_u32_e32 vcc_lo, 0, v66
	ds_swizzle_b32 v3, v1 offset:swizzle(BROADCAST,32,15)
	ds_swizzle_b32 v4, v2 offset:swizzle(BROADCAST,32,15)
	s_waitcnt lgkmcnt(0)
	v_add_nc_u32_e32 v3, v1, v3
	v_add_nc_u32_e32 v4, v2, v4
	v_cmpx_eq_u32_e64 v0, v65
	s_cbranch_execz .LBB1467_113
; %bb.112:
	v_lshlrev_b32_e32 v7, 3, v63
	v_cndmask_b32_e32 v6, v3, v1, vcc_lo
	v_cndmask_b32_e32 v5, v4, v2, vcc_lo
	ds_write_b64 v7, v[5:6]
.LBB1467_113:
	s_or_b32 exec_lo, exec_lo, s3
	s_mov_b32 s3, exec_lo
	s_waitcnt lgkmcnt(0)
	s_barrier
	buffer_gl0_inv
	v_cmpx_gt_u32_e32 8, v0
	s_cbranch_execz .LBB1467_115
; %bb.114:
	v_lshlrev_b32_e32 v7, 3, v0
	v_and_b32_e32 v22, 7, v62
	ds_read_b64 v[5:6], v7
	v_cmp_eq_u32_e64 s2, 0, v22
	s_waitcnt lgkmcnt(0)
	v_mov_b32_dpp v8, v5 row_shr:1 row_mask:0xf bank_mask:0xf
	v_mov_b32_dpp v21, v6 row_shr:1 row_mask:0xf bank_mask:0xf
	v_add_nc_u32_e32 v8, v8, v5
	v_add_nc_u32_e32 v21, v21, v6
	v_cndmask_b32_e64 v5, v8, v5, s2
	v_cndmask_b32_e64 v6, v21, v6, s2
	v_cmp_lt_u32_e64 s2, 1, v22
	v_mov_b32_dpp v8, v5 row_shr:2 row_mask:0xf bank_mask:0xf
	v_mov_b32_dpp v21, v6 row_shr:2 row_mask:0xf bank_mask:0xf
	v_add_nc_u32_e32 v8, v5, v8
	v_add_nc_u32_e32 v21, v6, v21
	v_cndmask_b32_e64 v5, v5, v8, s2
	v_cndmask_b32_e64 v6, v6, v21, s2
	v_cmp_lt_u32_e64 s2, 3, v22
	v_mov_b32_dpp v8, v5 row_shr:4 row_mask:0xf bank_mask:0xf
	v_mov_b32_dpp v21, v6 row_shr:4 row_mask:0xf bank_mask:0xf
	v_cndmask_b32_e64 v8, 0, v8, s2
	v_cndmask_b32_e64 v21, 0, v21, s2
	v_add_nc_u32_e32 v5, v8, v5
	v_add_nc_u32_e32 v6, v21, v6
	ds_write_b64 v7, v[5:6]
.LBB1467_115:
	s_or_b32 exec_lo, exec_lo, s3
	v_cndmask_b32_e32 v1, v3, v1, vcc_lo
	v_cndmask_b32_e32 v2, v4, v2, vcc_lo
	s_mov_b32 s3, exec_lo
	v_cmp_gt_u32_e32 vcc_lo, 32, v0
	s_waitcnt lgkmcnt(0)
	s_barrier
	buffer_gl0_inv
                                        ; implicit-def: $vgpr21
	v_cmpx_lt_u32_e32 31, v0
	s_cbranch_execz .LBB1467_117
; %bb.116:
	v_lshl_add_u32 v3, v63, 3, -8
	ds_read_b64 v[21:22], v3
	s_waitcnt lgkmcnt(0)
	v_add_nc_u32_e32 v1, v22, v1
	v_add_nc_u32_e32 v2, v21, v2
.LBB1467_117:
	s_or_b32 exec_lo, exec_lo, s3
	v_sub_co_u32 v3, s2, v62, 1
	v_cmp_gt_i32_e64 s3, 0, v3
	v_cndmask_b32_e64 v3, v3, v62, s3
	v_lshlrev_b32_e32 v3, 2, v3
	ds_bpermute_b32 v69, v3, v2
	ds_bpermute_b32 v70, v3, v1
	s_and_saveexec_b32 s3, vcc_lo
	s_cbranch_execz .LBB1467_137
; %bb.118:
	v_mov_b32_e32 v4, 0
	ds_read_b64 v[1:2], v4 offset:56
	s_and_saveexec_b32 s8, s2
	s_cbranch_execz .LBB1467_120
; %bb.119:
	s_add_i32 s10, s6, 32
	s_mov_b32 s11, 0
	v_mov_b32_e32 v3, 1
	s_lshl_b64 s[10:11], s[10:11], 4
	s_add_u32 s10, s4, s10
	s_addc_u32 s11, s5, s11
	v_mov_b32_e32 v5, s10
	v_mov_b32_e32 v6, s11
	s_waitcnt lgkmcnt(0)
	;;#ASMSTART
	global_store_dwordx4 v[5:6], v[1:4] off	
s_waitcnt vmcnt(0)
	;;#ASMEND
.LBB1467_120:
	s_or_b32 exec_lo, exec_lo, s8
	v_xad_u32 v23, v62, -1, s6
	s_mov_b32 s9, 0
	v_add_nc_u32_e32 v3, 32, v23
	v_lshlrev_b64 v[5:6], 4, v[3:4]
	v_add_co_u32 v24, vcc_lo, s4, v5
	v_add_co_ci_u32_e64 v25, null, s5, v6, vcc_lo
	;;#ASMSTART
	global_load_dwordx4 v[5:8], v[24:25] off glc dlc	
s_waitcnt vmcnt(0)
	;;#ASMEND
	v_cmp_eq_u16_sdwa s10, v7, v4 src0_sel:BYTE_0 src1_sel:DWORD
	s_and_saveexec_b32 s8, s10
	s_cbranch_execz .LBB1467_124
; %bb.121:
	v_mov_b32_e32 v3, 0
.LBB1467_122:                           ; =>This Inner Loop Header: Depth=1
	;;#ASMSTART
	global_load_dwordx4 v[5:8], v[24:25] off glc dlc	
s_waitcnt vmcnt(0)
	;;#ASMEND
	v_cmp_ne_u16_sdwa s10, v7, v3 src0_sel:BYTE_0 src1_sel:DWORD
	s_or_b32 s9, s10, s9
	s_andn2_b32 exec_lo, exec_lo, s9
	s_cbranch_execnz .LBB1467_122
; %bb.123:
	s_or_b32 exec_lo, exec_lo, s9
.LBB1467_124:
	s_or_b32 exec_lo, exec_lo, s8
	v_cmp_ne_u32_e32 vcc_lo, 31, v62
	v_mov_b32_e32 v72, 2
	v_lshlrev_b32_e64 v73, v62, -1
	v_add_nc_u32_e32 v75, 2, v62
	v_add_nc_u32_e32 v77, 4, v62
	v_add_co_ci_u32_e64 v3, null, 0, v62, vcc_lo
	v_cmp_eq_u16_sdwa s8, v7, v72 src0_sel:BYTE_0 src1_sel:DWORD
	v_cmp_gt_u32_e32 vcc_lo, 30, v62
	v_add_nc_u32_e32 v79, 8, v62
	v_lshlrev_b32_e32 v71, 2, v3
	v_lshl_or_b32 v80, v62, 2, 64
	v_and_b32_e32 v8, s8, v73
	v_cndmask_b32_e64 v24, 0, 2, vcc_lo
	v_add_nc_u32_e32 v81, 16, v62
	ds_bpermute_b32 v3, v71, v6
	ds_bpermute_b32 v4, v71, v5
	v_or_b32_e32 v8, 0x80000000, v8
	v_add_lshl_u32 v74, v24, v62, 2
	v_ffbl_b32_e32 v8, v8
	v_cmp_lt_u32_e32 vcc_lo, v62, v8
	s_waitcnt lgkmcnt(1)
	v_add_nc_u32_e32 v3, v3, v6
	s_waitcnt lgkmcnt(0)
	v_add_nc_u32_e32 v4, v4, v5
	v_cndmask_b32_e32 v3, v6, v3, vcc_lo
	v_cndmask_b32_e32 v4, v5, v4, vcc_lo
	v_cmp_gt_u32_e32 vcc_lo, 28, v62
	ds_bpermute_b32 v5, v74, v3
	ds_bpermute_b32 v6, v74, v4
	v_cndmask_b32_e64 v24, 0, 4, vcc_lo
	v_cmp_gt_u32_e32 vcc_lo, v75, v8
	v_add_lshl_u32 v76, v24, v62, 2
	s_waitcnt lgkmcnt(1)
	v_add_nc_u32_e32 v5, v3, v5
	s_waitcnt lgkmcnt(0)
	v_add_nc_u32_e32 v6, v4, v6
	v_cndmask_b32_e32 v3, v5, v3, vcc_lo
	v_cndmask_b32_e32 v4, v6, v4, vcc_lo
	v_cmp_gt_u32_e32 vcc_lo, 24, v62
	ds_bpermute_b32 v5, v76, v3
	ds_bpermute_b32 v6, v76, v4
	v_cndmask_b32_e64 v24, 0, 8, vcc_lo
	v_cmp_gt_u32_e32 vcc_lo, v77, v8
	v_add_lshl_u32 v78, v24, v62, 2
	v_mov_b32_e32 v24, 0
	s_waitcnt lgkmcnt(1)
	v_add_nc_u32_e32 v5, v3, v5
	s_waitcnt lgkmcnt(0)
	v_add_nc_u32_e32 v6, v4, v6
	v_cndmask_b32_e32 v3, v5, v3, vcc_lo
	v_cndmask_b32_e32 v4, v6, v4, vcc_lo
	v_cmp_gt_u32_e32 vcc_lo, v79, v8
	ds_bpermute_b32 v5, v78, v3
	ds_bpermute_b32 v6, v78, v4
	s_waitcnt lgkmcnt(1)
	v_add_nc_u32_e32 v5, v3, v5
	s_waitcnt lgkmcnt(0)
	v_add_nc_u32_e32 v6, v4, v6
	v_cndmask_b32_e32 v3, v5, v3, vcc_lo
	v_cndmask_b32_e32 v4, v6, v4, vcc_lo
	v_cmp_le_u32_e32 vcc_lo, v81, v8
	ds_bpermute_b32 v6, v80, v3
	ds_bpermute_b32 v5, v80, v4
	s_waitcnt lgkmcnt(1)
	v_cndmask_b32_e32 v6, 0, v6, vcc_lo
	s_waitcnt lgkmcnt(0)
	v_cndmask_b32_e32 v5, 0, v5, vcc_lo
	v_add_nc_u32_e32 v6, v6, v3
	v_add_nc_u32_e32 v5, v5, v4
	s_branch .LBB1467_128
.LBB1467_125:                           ;   in Loop: Header=BB1467_128 Depth=1
	s_or_b32 exec_lo, exec_lo, s9
.LBB1467_126:                           ;   in Loop: Header=BB1467_128 Depth=1
	s_or_b32 exec_lo, exec_lo, s8
	ds_bpermute_b32 v8, v71, v5
	ds_bpermute_b32 v25, v71, v6
	v_cmp_eq_u16_sdwa s8, v7, v72 src0_sel:BYTE_0 src1_sel:DWORD
	v_subrev_nc_u32_e32 v23, 32, v23
	v_and_or_b32 v26, s8, v73, 0x80000000
	s_mov_b32 s8, 0
	v_ffbl_b32_e32 v26, v26
	v_cmp_lt_u32_e32 vcc_lo, v62, v26
	s_waitcnt lgkmcnt(1)
	v_add_nc_u32_e32 v8, v8, v5
	s_waitcnt lgkmcnt(0)
	v_add_nc_u32_e32 v25, v25, v6
	v_cndmask_b32_e32 v5, v5, v8, vcc_lo
	v_cndmask_b32_e32 v6, v6, v25, vcc_lo
	v_cmp_gt_u32_e32 vcc_lo, v75, v26
	ds_bpermute_b32 v8, v74, v5
	ds_bpermute_b32 v25, v74, v6
	s_waitcnt lgkmcnt(1)
	v_add_nc_u32_e32 v8, v5, v8
	s_waitcnt lgkmcnt(0)
	v_add_nc_u32_e32 v25, v6, v25
	v_cndmask_b32_e32 v5, v8, v5, vcc_lo
	v_cndmask_b32_e32 v6, v25, v6, vcc_lo
	v_cmp_gt_u32_e32 vcc_lo, v77, v26
	ds_bpermute_b32 v8, v76, v5
	ds_bpermute_b32 v25, v76, v6
	s_waitcnt lgkmcnt(1)
	v_add_nc_u32_e32 v8, v5, v8
	s_waitcnt lgkmcnt(0)
	v_add_nc_u32_e32 v25, v6, v25
	v_cndmask_b32_e32 v5, v8, v5, vcc_lo
	v_cndmask_b32_e32 v6, v25, v6, vcc_lo
	v_cmp_gt_u32_e32 vcc_lo, v79, v26
	ds_bpermute_b32 v8, v78, v5
	ds_bpermute_b32 v25, v78, v6
	s_waitcnt lgkmcnt(1)
	v_add_nc_u32_e32 v8, v5, v8
	s_waitcnt lgkmcnt(0)
	v_add_nc_u32_e32 v25, v6, v25
	v_cndmask_b32_e32 v5, v8, v5, vcc_lo
	v_cndmask_b32_e32 v6, v25, v6, vcc_lo
	v_cmp_le_u32_e32 vcc_lo, v81, v26
	ds_bpermute_b32 v8, v80, v5
	ds_bpermute_b32 v25, v80, v6
	s_waitcnt lgkmcnt(1)
	v_cndmask_b32_e32 v8, 0, v8, vcc_lo
	s_waitcnt lgkmcnt(0)
	v_cndmask_b32_e32 v25, 0, v25, vcc_lo
	v_add3_u32 v5, v5, v3, v8
	v_add3_u32 v6, v6, v4, v25
.LBB1467_127:                           ;   in Loop: Header=BB1467_128 Depth=1
	s_and_b32 vcc_lo, exec_lo, s8
	s_cbranch_vccnz .LBB1467_133
.LBB1467_128:                           ; =>This Loop Header: Depth=1
                                        ;     Child Loop BB1467_131 Depth 2
	v_cmp_ne_u16_sdwa s8, v7, v72 src0_sel:BYTE_0 src1_sel:DWORD
	v_mov_b32_e32 v3, v5
	v_mov_b32_e32 v4, v6
                                        ; implicit-def: $vgpr7
                                        ; implicit-def: $vgpr5_vgpr6
	s_cmp_lg_u32 s8, exec_lo
	s_mov_b32 s8, -1
	s_cbranch_scc1 .LBB1467_127
; %bb.129:                              ;   in Loop: Header=BB1467_128 Depth=1
	v_lshlrev_b64 v[5:6], 4, v[23:24]
	v_add_co_u32 v25, vcc_lo, s4, v5
	v_add_co_ci_u32_e64 v26, null, s5, v6, vcc_lo
	;;#ASMSTART
	global_load_dwordx4 v[5:8], v[25:26] off glc dlc	
s_waitcnt vmcnt(0)
	;;#ASMEND
	v_cmp_eq_u16_sdwa s9, v7, v24 src0_sel:BYTE_0 src1_sel:DWORD
	s_and_saveexec_b32 s8, s9
	s_cbranch_execz .LBB1467_126
; %bb.130:                              ;   in Loop: Header=BB1467_128 Depth=1
	s_mov_b32 s9, 0
.LBB1467_131:                           ;   Parent Loop BB1467_128 Depth=1
                                        ; =>  This Inner Loop Header: Depth=2
	;;#ASMSTART
	global_load_dwordx4 v[5:8], v[25:26] off glc dlc	
s_waitcnt vmcnt(0)
	;;#ASMEND
	v_cmp_ne_u16_sdwa s10, v7, v24 src0_sel:BYTE_0 src1_sel:DWORD
	s_or_b32 s9, s10, s9
	s_andn2_b32 exec_lo, exec_lo, s9
	s_cbranch_execnz .LBB1467_131
	s_branch .LBB1467_125
.LBB1467_132:
                                        ; implicit-def: $vgpr23
                                        ; implicit-def: $vgpr3
                                        ; implicit-def: $vgpr24
	s_and_b32 vcc_lo, exec_lo, s3
	s_cbranch_vccnz .LBB1467_138
	s_branch .LBB1467_147
.LBB1467_133:
	s_and_saveexec_b32 s8, s2
	s_cbranch_execnz .LBB1467_375
; %bb.134:
	s_or_b32 exec_lo, exec_lo, s8
	s_and_saveexec_b32 s6, s2
	s_cbranch_execnz .LBB1467_376
.LBB1467_135:
	s_or_b32 exec_lo, exec_lo, s6
	v_cmp_eq_u32_e32 vcc_lo, 0, v0
	s_and_b32 exec_lo, exec_lo, vcc_lo
.LBB1467_136:
	v_mov_b32_e32 v1, 0
	ds_write_b64 v1, v[3:4] offset:56
.LBB1467_137:
	s_or_b32 exec_lo, exec_lo, s3
	v_mov_b32_e32 v1, 0
	s_waitcnt lgkmcnt(0)
	s_barrier
	buffer_gl0_inv
	v_cndmask_b32_e64 v7, v69, v21, s2
	ds_read_b64 v[5:6], v1 offset:56
	s_waitcnt lgkmcnt(0)
	s_barrier
	buffer_gl0_inv
	ds_read_b128 v[1:4], v1 offset:13312
	v_cndmask_b32_e64 v8, v70, v22, s2
	v_cmp_eq_u32_e32 vcc_lo, 0, v0
	v_add_nc_u32_e32 v7, v5, v7
	v_add_nc_u32_e32 v8, v6, v8
	v_cndmask_b32_e32 v24, v7, v5, vcc_lo
	v_cndmask_b32_e32 v23, v8, v6, vcc_lo
	s_branch .LBB1467_147
.LBB1467_138:
	s_waitcnt lgkmcnt(0)
	v_mov_b32_dpp v1, v67 row_shr:1 row_mask:0xf bank_mask:0xf
	v_mov_b32_dpp v2, v68 row_shr:1 row_mask:0xf bank_mask:0xf
	v_cmp_lt_u32_e32 vcc_lo, 3, v64
	v_add_nc_u32_e32 v1, v1, v67
	v_add_nc_u32_e32 v2, v2, v68
	v_cndmask_b32_e64 v1, v1, v67, s1
	v_cndmask_b32_e64 v2, v2, v68, s1
	s_mov_b32 s1, exec_lo
	v_mov_b32_dpp v3, v1 row_shr:2 row_mask:0xf bank_mask:0xf
	v_mov_b32_dpp v4, v2 row_shr:2 row_mask:0xf bank_mask:0xf
	v_add_nc_u32_e32 v3, v1, v3
	v_add_nc_u32_e32 v4, v2, v4
	v_cndmask_b32_e64 v1, v1, v3, s0
	v_cndmask_b32_e64 v2, v2, v4, s0
	v_mov_b32_dpp v3, v1 row_shr:4 row_mask:0xf bank_mask:0xf
	v_mov_b32_dpp v4, v2 row_shr:4 row_mask:0xf bank_mask:0xf
	v_add_nc_u32_e32 v3, v1, v3
	v_add_nc_u32_e32 v4, v2, v4
	v_cndmask_b32_e32 v3, v1, v3, vcc_lo
	v_cndmask_b32_e32 v2, v2, v4, vcc_lo
	v_cmp_lt_u32_e32 vcc_lo, 7, v64
	v_mov_b32_dpp v1, v3 row_shr:8 row_mask:0xf bank_mask:0xf
	v_mov_b32_dpp v4, v2 row_shr:8 row_mask:0xf bank_mask:0xf
	v_add_nc_u32_e32 v5, v3, v1
	v_add_nc_u32_e32 v1, v2, v4
	v_cndmask_b32_e32 v1, v2, v1, vcc_lo
	v_cndmask_b32_e32 v2, v3, v5, vcc_lo
	v_cmp_eq_u32_e32 vcc_lo, 0, v66
	ds_swizzle_b32 v3, v1 offset:swizzle(BROADCAST,32,15)
	ds_swizzle_b32 v4, v2 offset:swizzle(BROADCAST,32,15)
	s_waitcnt lgkmcnt(1)
	v_add_nc_u32_e32 v3, v1, v3
	s_waitcnt lgkmcnt(0)
	v_add_nc_u32_e32 v4, v2, v4
	v_cmpx_eq_u32_e64 v0, v65
	s_cbranch_execz .LBB1467_140
; %bb.139:
	v_cndmask_b32_e32 v5, v4, v2, vcc_lo
	v_cndmask_b32_e32 v6, v3, v1, vcc_lo
	v_lshlrev_b32_e32 v7, 3, v63
	ds_write_b64 v7, v[5:6]
.LBB1467_140:
	s_or_b32 exec_lo, exec_lo, s1
	s_mov_b32 s1, exec_lo
	s_waitcnt lgkmcnt(0)
	s_barrier
	buffer_gl0_inv
	v_cmpx_gt_u32_e32 8, v0
	s_cbranch_execz .LBB1467_142
; %bb.141:
	v_lshlrev_b32_e32 v7, 3, v0
	v_and_b32_e32 v22, 7, v62
	ds_read_b64 v[5:6], v7
	v_cmp_eq_u32_e64 s0, 0, v22
	s_waitcnt lgkmcnt(0)
	v_mov_b32_dpp v8, v5 row_shr:1 row_mask:0xf bank_mask:0xf
	v_mov_b32_dpp v21, v6 row_shr:1 row_mask:0xf bank_mask:0xf
	v_add_nc_u32_e32 v8, v8, v5
	v_add_nc_u32_e32 v21, v21, v6
	v_cndmask_b32_e64 v5, v8, v5, s0
	v_cndmask_b32_e64 v6, v21, v6, s0
	v_cmp_lt_u32_e64 s0, 1, v22
	v_mov_b32_dpp v8, v5 row_shr:2 row_mask:0xf bank_mask:0xf
	v_mov_b32_dpp v21, v6 row_shr:2 row_mask:0xf bank_mask:0xf
	v_add_nc_u32_e32 v8, v5, v8
	v_add_nc_u32_e32 v21, v6, v21
	v_cndmask_b32_e64 v5, v5, v8, s0
	v_cndmask_b32_e64 v6, v6, v21, s0
	v_cmp_lt_u32_e64 s0, 3, v22
	v_mov_b32_dpp v8, v5 row_shr:4 row_mask:0xf bank_mask:0xf
	v_mov_b32_dpp v21, v6 row_shr:4 row_mask:0xf bank_mask:0xf
	v_cndmask_b32_e64 v8, 0, v8, s0
	v_cndmask_b32_e64 v21, 0, v21, s0
	v_add_nc_u32_e32 v5, v8, v5
	v_add_nc_u32_e32 v6, v21, v6
	ds_write_b64 v7, v[5:6]
.LBB1467_142:
	s_or_b32 exec_lo, exec_lo, s1
	v_mov_b32_e32 v7, 0
	v_mov_b32_e32 v5, 0
	;; [unrolled: 1-line block ×3, first 2 shown]
	s_mov_b32 s1, exec_lo
	s_waitcnt lgkmcnt(0)
	s_barrier
	buffer_gl0_inv
	v_cmpx_lt_u32_e32 31, v0
; %bb.143:
	v_lshl_add_u32 v5, v63, 3, -8
	ds_read_b64 v[5:6], v5
; %bb.144:
	s_or_b32 exec_lo, exec_lo, s1
	v_sub_co_u32 v8, s0, v62, 1
	v_cndmask_b32_e32 v2, v4, v2, vcc_lo
	v_cndmask_b32_e32 v1, v3, v1, vcc_lo
	v_cmp_eq_u32_e32 vcc_lo, 0, v0
	v_cmp_gt_i32_e64 s1, 0, v8
	s_waitcnt lgkmcnt(0)
	v_add_nc_u32_e32 v2, v5, v2
	v_add_nc_u32_e32 v1, v6, v1
	v_cndmask_b32_e64 v4, v8, v62, s1
	v_lshlrev_b32_e32 v3, 2, v4
	ds_bpermute_b32 v8, v3, v2
	ds_bpermute_b32 v21, v3, v1
	ds_read_b64 v[1:2], v7 offset:56
	s_and_saveexec_b32 s1, vcc_lo
	s_cbranch_execz .LBB1467_146
; %bb.145:
	s_add_u32 s2, s4, 0x200
	s_addc_u32 s3, s5, 0
	v_mov_b32_e32 v3, 2
	v_mov_b32_e32 v23, s3
	;; [unrolled: 1-line block ×4, first 2 shown]
	s_waitcnt lgkmcnt(0)
	;;#ASMSTART
	global_store_dwordx4 v[22:23], v[1:4] off	
s_waitcnt vmcnt(0)
	;;#ASMEND
.LBB1467_146:
	s_or_b32 exec_lo, exec_lo, s1
	s_waitcnt lgkmcnt(1)
	v_cndmask_b32_e64 v3, v21, v6, s0
	v_cndmask_b32_e64 v5, v8, v5, s0
	v_mov_b32_e32 v4, 0
	s_waitcnt lgkmcnt(0)
	s_barrier
	v_cndmask_b32_e64 v23, v3, 0, vcc_lo
	v_cndmask_b32_e64 v24, v5, 0, vcc_lo
	v_mov_b32_e32 v3, 0
	buffer_gl0_inv
.LBB1467_147:
	v_add_nc_u32_e32 v61, v23, v61
	v_add_nc_u32_e32 v60, v24, v60
	s_waitcnt lgkmcnt(0)
	v_sub_nc_u32_e32 v23, v23, v4
	v_lshrrev_b32_e32 v26, 8, v36
	v_lshlrev_b32_e32 v66, 1, v1
	v_add_nc_u32_e32 v58, v61, v58
	v_sub_nc_u32_e32 v61, v61, v4
	v_add_nc_u32_e32 v57, v60, v57
	v_sub_nc_u32_e32 v24, v24, v3
	v_sub_nc_u32_e32 v60, v60, v3
	v_add_nc_u32_e32 v23, v23, v1
	v_add_nc_u32_e32 v61, v61, v1
	v_and_b32_e32 v26, 1, v26
	v_mov_b32_e32 v68, 1
	v_add3_u32 v29, v66, v2, v29
	v_add_nc_u32_e32 v73, v24, v23
	v_add_nc_u32_e32 v72, v61, v60
	v_cmp_eq_u32_e32 vcc_lo, 1, v26
	v_and_b32_sdwa v71, v68, v36 dst_sel:DWORD dst_unused:UNUSED_PAD src0_sel:DWORD src1_sel:WORD_1
	v_lshrrev_b32_e32 v25, 8, v30
	v_sub_nc_u32_e32 v73, v29, v73
	v_sub_nc_u32_e32 v72, v29, v72
	v_and_b32_e32 v67, 1, v30
	v_add_nc_u32_e32 v62, v58, v43
	v_and_b32_e32 v25, 1, v25
	v_cndmask_b32_e32 v23, v73, v23, vcc_lo
	v_add_nc_u32_e32 v72, 1, v72
	v_cmp_eq_u32_e32 vcc_lo, 1, v71
	v_sub_nc_u32_e32 v58, v58, v4
	v_add_nc_u32_e32 v59, v57, v59
	v_sub_nc_u32_e32 v57, v57, v3
	v_add_co_u32 v5, s0, s28, v3
	v_cndmask_b32_e32 v26, v72, v61, vcc_lo
	v_cmp_eq_u32_e32 vcc_lo, 1, v67
	v_add_nc_u32_e32 v58, v58, v1
	v_add_co_ci_u32_e64 v6, null, s29, 0, s0
	v_sub_co_u32 v64, s0, s30, v1
	v_cndmask_b32_e32 v67, v23, v24, vcc_lo
	v_cmp_eq_u32_e32 vcc_lo, 1, v25
	v_sub_co_ci_u32_e64 v65, null, s31, 0, s0
	v_and_b32_e32 v43, 1, v43
	v_add_nc_u32_e32 v56, v62, v56
	v_cndmask_b32_e32 v25, v26, v60, vcc_lo
	v_add_nc_u32_e32 v26, v58, v57
	v_add_co_u32 v23, vcc_lo, v64, v4
	v_add_co_ci_u32_e64 v24, null, 0, v65, vcc_lo
	v_sub_nc_u32_e32 v26, v29, v26
	v_sub_nc_u32_e32 v62, v62, v4
	v_and_b32_sdwa v30, v68, v30 dst_sel:DWORD dst_unused:UNUSED_PAD src0_sel:DWORD src1_sel:WORD_1
	v_cmp_eq_u32_e32 vcc_lo, 1, v43
	v_add_nc_u32_e32 v63, v59, v42
	v_add_nc_u32_e32 v26, 2, v26
	v_sub_nc_u32_e32 v59, v59, v3
	v_add_nc_u32_e32 v62, v62, v1
	v_add_nc_u32_e32 v55, v56, v55
	v_lshlrev_b32_e32 v60, 2, v67
	v_cndmask_b32_e32 v26, v26, v58, vcc_lo
	v_cmp_eq_u32_e32 vcc_lo, 1, v30
	v_lshlrev_b32_e32 v25, 2, v25
	v_sub_nc_u32_e32 v56, v56, v4
	v_add_nc_u32_e32 v43, v59, v62
	v_sub_nc_u32_e32 v58, v63, v3
	v_cndmask_b32_e32 v26, v26, v57, vcc_lo
	ds_write_b32 v60, v19
	v_add_nc_u32_e32 v56, v56, v1
	v_sub_nc_u32_e32 v19, v29, v43
	ds_write_b32 v25, v20
	v_lshlrev_b32_e32 v25, 2, v26
	v_and_b32_e32 v26, 1, v31
	v_lshrrev_b32_e32 v22, 8, v31
	v_add_nc_u32_e32 v54, v63, v54
	v_add_nc_u32_e32 v20, v58, v56
	;; [unrolled: 1-line block ×3, first 2 shown]
	v_and_b32_e32 v30, 1, v42
	v_sub_nc_u32_e32 v42, v55, v4
	v_cmp_eq_u32_e32 vcc_lo, 1, v26
	v_sub_nc_u32_e32 v20, v29, v20
	v_and_b32_e32 v22, 1, v22
	v_sub_nc_u32_e32 v26, v54, v3
	v_add_nc_u32_e32 v42, v42, v1
	v_cndmask_b32_e32 v19, v19, v62, vcc_lo
	v_cmp_eq_u32_e32 vcc_lo, 1, v30
	v_add_nc_u32_e32 v20, 4, v20
	v_and_b32_e32 v30, 1, v32
	v_add_nc_u32_e32 v43, v26, v42
	v_lshrrev_b32_e32 v21, 8, v32
	v_cndmask_b32_e32 v19, v19, v59, vcc_lo
	v_cmp_eq_u32_e32 vcc_lo, 1, v22
	v_add_nc_u32_e32 v53, v55, v53
	ds_write_b32 v25, v17
	v_and_b32_sdwa v25, v68, v31 dst_sel:DWORD dst_unused:UNUSED_PAD src0_sel:DWORD src1_sel:WORD_1
	v_lshlrev_b32_e32 v17, 2, v19
	v_cndmask_b32_e32 v20, v20, v56, vcc_lo
	v_sub_nc_u32_e32 v19, v29, v43
	v_cmp_eq_u32_e32 vcc_lo, 1, v30
	v_add_nc_u32_e32 v52, v54, v52
	v_add_nc_u32_e32 v69, v53, v41
	v_and_b32_e32 v21, 1, v21
	v_sub_nc_u32_e32 v22, v53, v4
	v_cndmask_b32_e32 v20, v20, v58, vcc_lo
	v_add_nc_u32_e32 v19, 5, v19
	v_cmp_eq_u32_e32 vcc_lo, 1, v25
	v_add_nc_u32_e32 v46, v52, v46
	v_sub_nc_u32_e32 v30, v52, v3
	v_sub_nc_u32_e32 v31, v69, v4
	v_add_nc_u32_e32 v22, v22, v1
	v_cndmask_b32_e32 v19, v19, v42, vcc_lo
	v_cmp_eq_u32_e32 vcc_lo, 1, v21
	v_sub_nc_u32_e32 v25, v46, v3
	v_add_nc_u32_e32 v31, v31, v1
	v_lshlrev_b32_e32 v20, 2, v20
	v_add_nc_u32_e32 v42, v30, v22
	v_cndmask_b32_e32 v19, v19, v26, vcc_lo
	ds_write_b32 v17, v18
	v_add_nc_u32_e32 v21, v25, v31
	ds_write_b32 v20, v15
	v_sub_nc_u32_e32 v17, v29, v42
	v_lshlrev_b32_e32 v15, 2, v19
	v_and_b32_e32 v19, 1, v41
	v_sub_nc_u32_e32 v18, v29, v21
	v_and_b32_e32 v21, 1, v33
	v_add_nc_u32_e32 v17, 6, v17
	v_add_nc_u32_e32 v51, v69, v51
	v_cmp_eq_u32_e32 vcc_lo, 1, v19
	v_and_b32_sdwa v20, v68, v32 dst_sel:DWORD dst_unused:UNUSED_PAD src0_sel:DWORD src1_sel:WORD_1
	v_add_nc_u32_e32 v18, 7, v18
	v_add_nc_u32_e32 v70, v46, v40
	v_sub_nc_u32_e32 v19, v51, v4
	v_cndmask_b32_e32 v17, v17, v22, vcc_lo
	v_cmp_eq_u32_e32 vcc_lo, 1, v21
	v_and_b32_e32 v22, 1, v40
	v_add_nc_u32_e32 v50, v51, v50
	v_sub_nc_u32_e32 v21, v70, v3
	v_add_nc_u32_e32 v19, v19, v1
	v_cndmask_b32_e32 v18, v18, v31, vcc_lo
	v_cmp_eq_u32_e32 vcc_lo, 1, v20
	v_lshrrev_b32_e32 v8, 8, v33
	v_add_nc_u32_e32 v49, v70, v49
	v_add_nc_u32_e32 v20, v21, v19
	ds_write_b32 v15, v16
	v_cndmask_b32_e32 v17, v17, v30, vcc_lo
	v_cmp_eq_u32_e32 vcc_lo, 1, v22
	v_sub_nc_u32_e32 v15, v50, v4
	v_add_nc_u32_e32 v48, v50, v48
	v_and_b32_e32 v8, 1, v8
	v_lshlrev_b32_e32 v16, 2, v17
	v_cndmask_b32_e32 v18, v18, v25, vcc_lo
	v_add_nc_u32_e32 v15, v15, v1
	v_add_nc_u32_e32 v47, v49, v47
	v_cmp_eq_u32_e32 vcc_lo, 1, v8
	v_lshrrev_b32_e32 v7, 8, v35
	v_lshlrev_b32_e32 v17, 2, v18
	v_sub_nc_u32_e32 v18, v29, v20
	v_sub_nc_u32_e32 v20, v49, v3
	ds_write_b32 v16, v13
	ds_write_b32 v17, v14
	v_and_b32_e32 v16, 1, v35
	v_add_nc_u32_e32 v13, 8, v18
	v_add_nc_u32_e32 v14, v20, v15
	v_sub_nc_u32_e32 v17, v48, v4
	v_add_nc_u32_e32 v74, v48, v39
	v_add_nc_u32_e32 v45, v47, v45
	v_cndmask_b32_e32 v8, v13, v19, vcc_lo
	v_sub_nc_u32_e32 v13, v29, v14
	v_sub_nc_u32_e32 v14, v47, v3
	v_add_nc_u32_e32 v17, v17, v1
	v_cmp_eq_u32_e32 vcc_lo, 1, v16
	v_and_b32_sdwa v16, v68, v33 dst_sel:DWORD dst_unused:UNUSED_PAD src0_sel:DWORD src1_sel:WORD_1
	v_add_nc_u32_e32 v44, v74, v44
	v_add_nc_u32_e32 v13, 9, v13
	v_and_b32_e32 v7, 1, v7
	v_cndmask_b32_e32 v8, v8, v21, vcc_lo
	v_add_nc_u32_e32 v18, v14, v17
	v_sub_nc_u32_e32 v19, v74, v4
	v_cmp_eq_u32_e32 vcc_lo, 1, v16
	v_add_nc_u32_e32 v61, v45, v38
	v_and_b32_e32 v25, 1, v37
	v_sub_nc_u32_e32 v16, v29, v18
	v_sub_nc_u32_e32 v18, v45, v3
	v_cndmask_b32_e32 v13, v13, v15, vcc_lo
	v_sub_nc_u32_e32 v15, v44, v4
	v_add_nc_u32_e32 v19, v19, v1
	v_cmp_eq_u32_e32 vcc_lo, 1, v7
	v_sub_nc_u32_e32 v3, v61, v3
	v_add_nc_u32_e32 v16, 10, v16
	v_add_nc_u32_e32 v15, v15, v1
	v_and_b32_sdwa v22, v68, v35 dst_sel:DWORD dst_unused:UNUSED_PAD src0_sel:DWORD src1_sel:WORD_1
	v_cndmask_b32_e32 v7, v13, v20, vcc_lo
	v_add_nc_u32_e32 v13, v18, v19
	v_and_b32_e32 v20, 1, v39
	v_add_nc_u32_e32 v21, v3, v15
	v_lshlrev_b32_e32 v8, 2, v8
	v_lshlrev_b32_e32 v7, 2, v7
	v_sub_nc_u32_e32 v13, v29, v13
	v_cmp_eq_u32_e32 vcc_lo, 1, v20
	v_and_b32_e32 v20, 1, v34
	v_add_nc_u32_e32 v13, 11, v13
	v_cndmask_b32_e32 v16, v16, v17, vcc_lo
	v_sub_nc_u32_e32 v17, v29, v21
	v_cmp_eq_u32_e32 vcc_lo, 1, v20
	v_and_b32_e32 v21, 1, v38
	v_add_nc_u32_e32 v17, 12, v17
	v_cndmask_b32_e32 v13, v13, v19, vcc_lo
	v_cmp_eq_u32_e32 vcc_lo, 1, v25
	v_and_b32_e32 v19, 1, v36
	v_cndmask_b32_e32 v15, v17, v15, vcc_lo
	v_cmp_eq_u32_e32 vcc_lo, 1, v22
	v_cndmask_b32_e32 v14, v16, v14, vcc_lo
	v_cmp_eq_u32_e32 vcc_lo, 1, v21
	v_lshlrev_b32_e32 v14, 2, v14
	v_cndmask_b32_e32 v13, v13, v18, vcc_lo
	v_cmp_eq_u32_e32 vcc_lo, 1, v19
	v_lshlrev_b32_e32 v13, 2, v13
	v_cndmask_b32_e32 v3, v15, v3, vcc_lo
	v_lshlrev_b32_e32 v3, 2, v3
	ds_write_b32 v8, v11
	ds_write_b32 v7, v12
	;; [unrolled: 1-line block ×5, first 2 shown]
	v_add_co_u32 v3, s0, v2, v66
	v_add_co_ci_u32_e64 v7, null, 0, 0, s0
	s_add_u32 s0, s34, s42
	v_add_co_u32 v3, vcc_lo, v3, v23
	v_add_co_ci_u32_e64 v7, null, v7, v24, vcc_lo
	s_addc_u32 s1, s35, 0
	v_add_co_u32 v3, vcc_lo, v3, v5
	v_add_co_ci_u32_e64 v9, null, v7, v6, vcc_lo
	v_lshlrev_b64 v[7:8], 2, v[23:24]
	v_sub_co_u32 v3, vcc_lo, s0, v3
	v_sub_co_ci_u32_e64 v11, null, s1, v9, vcc_lo
	v_lshlrev_b64 v[9:10], 2, v[5:6]
	v_add_co_u32 v7, vcc_lo, s38, v7
	v_add_co_ci_u32_e64 v8, null, s39, v8, vcc_lo
	v_cmp_ne_u32_e32 vcc_lo, 1, v27
	v_add_co_u32 v9, s0, s36, v9
	v_add_nc_u32_e32 v12, v1, v2
	v_add_co_ci_u32_e64 v10, null, s37, v10, s0
	s_and_b32 vcc_lo, exec_lo, vcc_lo
	s_mov_b32 s0, -1
	s_waitcnt lgkmcnt(0)
	s_barrier
	buffer_gl0_inv
	s_cbranch_vccz .LBB1467_151
; %bb.148:
	s_and_b32 vcc_lo, exec_lo, s0
	s_cbranch_vccnz .LBB1467_256
.LBB1467_149:
	v_cmp_eq_u32_e32 vcc_lo, 0, v0
	s_and_b32 s0, vcc_lo, s33
	s_and_saveexec_b32 s1, s0
	s_cbranch_execnz .LBB1467_374
.LBB1467_150:
	s_endpgm
.LBB1467_151:
	s_mov_b32 s0, exec_lo
	v_cmpx_ge_u32_e64 v0, v1
	s_xor_b32 s0, exec_lo, s0
	s_cbranch_execz .LBB1467_157
; %bb.152:
	s_mov_b32 s1, exec_lo
	v_cmpx_ge_u32_e64 v0, v12
	s_xor_b32 s1, exec_lo, s1
	s_cbranch_execz .LBB1467_154
; %bb.153:
	v_lshlrev_b32_e32 v13, 2, v0
	ds_read_b32 v15, v13
	v_add_co_u32 v13, vcc_lo, v3, v0
	v_add_co_ci_u32_e64 v14, null, 0, v11, vcc_lo
	v_lshlrev_b64 v[13:14], 2, v[13:14]
	v_sub_co_u32 v13, vcc_lo, s26, v13
	v_sub_co_ci_u32_e64 v14, null, s27, v14, vcc_lo
	s_waitcnt lgkmcnt(0)
	global_store_dword v[13:14], v15, off offset:-4
.LBB1467_154:
	s_andn2_saveexec_b32 s1, s1
	s_cbranch_execz .LBB1467_156
; %bb.155:
	v_lshlrev_b32_e32 v13, 2, v0
	v_readfirstlane_b32 s2, v7
	v_readfirstlane_b32 s3, v8
	ds_read_b32 v14, v13
	s_waitcnt lgkmcnt(0)
	global_store_dword v13, v14, s[2:3]
.LBB1467_156:
	s_or_b32 exec_lo, exec_lo, s1
.LBB1467_157:
	s_andn2_saveexec_b32 s0, s0
	s_cbranch_execz .LBB1467_159
; %bb.158:
	v_lshlrev_b32_e32 v13, 2, v0
	v_readfirstlane_b32 s2, v9
	v_readfirstlane_b32 s3, v10
	ds_read_b32 v14, v13
	s_waitcnt lgkmcnt(0)
	global_store_dword v13, v14, s[2:3]
.LBB1467_159:
	s_or_b32 exec_lo, exec_lo, s0
	v_or_b32_e32 v13, 0x100, v0
	s_mov_b32 s0, exec_lo
	v_cmpx_ge_u32_e64 v13, v1
	s_xor_b32 s0, exec_lo, s0
	s_cbranch_execz .LBB1467_165
; %bb.160:
	s_mov_b32 s1, exec_lo
	v_cmpx_ge_u32_e64 v13, v12
	s_xor_b32 s1, exec_lo, s1
	s_cbranch_execz .LBB1467_162
; %bb.161:
	v_lshlrev_b32_e32 v13, 2, v0
	ds_read_b32 v15, v13 offset:1024
	v_add_co_u32 v13, vcc_lo, v3, v0
	v_add_co_ci_u32_e64 v14, null, 0, v11, vcc_lo
	v_lshlrev_b64 v[13:14], 2, v[13:14]
	v_sub_co_u32 v13, vcc_lo, s26, v13
	v_sub_co_ci_u32_e64 v14, null, s27, v14, vcc_lo
	s_waitcnt lgkmcnt(0)
	global_store_dword v[13:14], v15, off offset:-1028
.LBB1467_162:
	s_andn2_saveexec_b32 s1, s1
	s_cbranch_execz .LBB1467_164
; %bb.163:
	v_lshlrev_b32_e32 v13, 2, v0
	v_readfirstlane_b32 s2, v7
	v_readfirstlane_b32 s3, v8
	ds_read_b32 v14, v13 offset:1024
	s_waitcnt lgkmcnt(0)
	global_store_dword v13, v14, s[2:3] offset:1024
.LBB1467_164:
	s_or_b32 exec_lo, exec_lo, s1
.LBB1467_165:
	s_andn2_saveexec_b32 s0, s0
	s_cbranch_execz .LBB1467_167
; %bb.166:
	v_lshlrev_b32_e32 v13, 2, v0
	v_readfirstlane_b32 s2, v9
	v_readfirstlane_b32 s3, v10
	ds_read_b32 v14, v13 offset:1024
	s_waitcnt lgkmcnt(0)
	global_store_dword v13, v14, s[2:3] offset:1024
.LBB1467_167:
	s_or_b32 exec_lo, exec_lo, s0
	v_or_b32_e32 v13, 0x200, v0
	s_mov_b32 s0, exec_lo
	v_cmpx_ge_u32_e64 v13, v1
	s_xor_b32 s0, exec_lo, s0
	s_cbranch_execz .LBB1467_173
; %bb.168:
	s_mov_b32 s1, exec_lo
	v_cmpx_ge_u32_e64 v13, v12
	s_xor_b32 s1, exec_lo, s1
	s_cbranch_execz .LBB1467_170
; %bb.169:
	v_lshlrev_b32_e32 v15, 2, v0
	v_add_co_u32 v13, vcc_lo, v3, v0
	v_add_co_ci_u32_e64 v14, null, 0, v11, vcc_lo
	ds_read_b32 v15, v15 offset:2048
	v_lshlrev_b64 v[13:14], 2, v[13:14]
	v_sub_co_u32 v13, vcc_lo, s26, v13
	v_sub_co_ci_u32_e64 v14, null, s27, v14, vcc_lo
	v_add_co_u32 v13, vcc_lo, 0xfffff800, v13
	v_add_co_ci_u32_e64 v14, null, -1, v14, vcc_lo
	s_waitcnt lgkmcnt(0)
	global_store_dword v[13:14], v15, off offset:-4
                                        ; implicit-def: $vgpr13
.LBB1467_170:
	s_andn2_saveexec_b32 s1, s1
	s_cbranch_execz .LBB1467_172
; %bb.171:
	v_lshlrev_b32_e32 v14, 2, v0
	v_lshlrev_b32_e32 v13, 2, v13
	v_readfirstlane_b32 s2, v7
	v_readfirstlane_b32 s3, v8
	ds_read_b32 v14, v14 offset:2048
	s_waitcnt lgkmcnt(0)
	global_store_dword v13, v14, s[2:3]
.LBB1467_172:
	s_or_b32 exec_lo, exec_lo, s1
                                        ; implicit-def: $vgpr13
.LBB1467_173:
	s_andn2_saveexec_b32 s0, s0
	s_cbranch_execz .LBB1467_175
; %bb.174:
	v_lshlrev_b32_e32 v14, 2, v0
	v_lshlrev_b32_e32 v13, 2, v13
	v_readfirstlane_b32 s2, v9
	v_readfirstlane_b32 s3, v10
	ds_read_b32 v14, v14 offset:2048
	s_waitcnt lgkmcnt(0)
	global_store_dword v13, v14, s[2:3]
.LBB1467_175:
	s_or_b32 exec_lo, exec_lo, s0
	v_or_b32_e32 v13, 0x300, v0
	s_mov_b32 s0, exec_lo
	v_cmpx_ge_u32_e64 v13, v1
	s_xor_b32 s0, exec_lo, s0
	s_cbranch_execz .LBB1467_181
; %bb.176:
	s_mov_b32 s1, exec_lo
	v_cmpx_ge_u32_e64 v13, v12
	s_xor_b32 s1, exec_lo, s1
	s_cbranch_execz .LBB1467_178
; %bb.177:
	v_lshlrev_b32_e32 v14, 2, v0
	v_add_co_u32 v13, vcc_lo, v3, v13
	ds_read_b32 v15, v14 offset:3072
	v_add_co_ci_u32_e64 v14, null, 0, v11, vcc_lo
	v_lshlrev_b64 v[13:14], 2, v[13:14]
	v_sub_co_u32 v13, vcc_lo, s26, v13
	v_sub_co_ci_u32_e64 v14, null, s27, v14, vcc_lo
	s_waitcnt lgkmcnt(0)
	global_store_dword v[13:14], v15, off offset:-4
                                        ; implicit-def: $vgpr13
.LBB1467_178:
	s_andn2_saveexec_b32 s1, s1
	s_cbranch_execz .LBB1467_180
; %bb.179:
	v_lshlrev_b32_e32 v14, 2, v0
	v_lshlrev_b32_e32 v13, 2, v13
	v_readfirstlane_b32 s2, v7
	v_readfirstlane_b32 s3, v8
	ds_read_b32 v14, v14 offset:3072
	s_waitcnt lgkmcnt(0)
	global_store_dword v13, v14, s[2:3]
.LBB1467_180:
	s_or_b32 exec_lo, exec_lo, s1
                                        ; implicit-def: $vgpr13
.LBB1467_181:
	s_andn2_saveexec_b32 s0, s0
	s_cbranch_execz .LBB1467_183
; %bb.182:
	v_lshlrev_b32_e32 v14, 2, v0
	v_lshlrev_b32_e32 v13, 2, v13
	v_readfirstlane_b32 s2, v9
	v_readfirstlane_b32 s3, v10
	ds_read_b32 v14, v14 offset:3072
	s_waitcnt lgkmcnt(0)
	global_store_dword v13, v14, s[2:3]
.LBB1467_183:
	s_or_b32 exec_lo, exec_lo, s0
	v_or_b32_e32 v13, 0x400, v0
	s_mov_b32 s0, exec_lo
	v_cmpx_ge_u32_e64 v13, v1
	s_xor_b32 s0, exec_lo, s0
	s_cbranch_execz .LBB1467_189
; %bb.184:
	s_mov_b32 s1, exec_lo
	v_cmpx_ge_u32_e64 v13, v12
	s_xor_b32 s1, exec_lo, s1
	s_cbranch_execz .LBB1467_186
; %bb.185:
	v_lshlrev_b32_e32 v14, 2, v0
	v_add_co_u32 v13, vcc_lo, v3, v13
	ds_read_b32 v15, v14 offset:4096
	v_add_co_ci_u32_e64 v14, null, 0, v11, vcc_lo
	v_lshlrev_b64 v[13:14], 2, v[13:14]
	v_sub_co_u32 v13, vcc_lo, s26, v13
	v_sub_co_ci_u32_e64 v14, null, s27, v14, vcc_lo
	s_waitcnt lgkmcnt(0)
	global_store_dword v[13:14], v15, off offset:-4
                                        ; implicit-def: $vgpr13
.LBB1467_186:
	s_andn2_saveexec_b32 s1, s1
	s_cbranch_execz .LBB1467_188
; %bb.187:
	v_lshlrev_b32_e32 v14, 2, v0
	v_lshlrev_b32_e32 v13, 2, v13
	v_readfirstlane_b32 s2, v7
	v_readfirstlane_b32 s3, v8
	ds_read_b32 v14, v14 offset:4096
	s_waitcnt lgkmcnt(0)
	global_store_dword v13, v14, s[2:3]
.LBB1467_188:
	s_or_b32 exec_lo, exec_lo, s1
                                        ; implicit-def: $vgpr13
.LBB1467_189:
	s_andn2_saveexec_b32 s0, s0
	s_cbranch_execz .LBB1467_191
; %bb.190:
	v_lshlrev_b32_e32 v14, 2, v0
	v_lshlrev_b32_e32 v13, 2, v13
	v_readfirstlane_b32 s2, v9
	v_readfirstlane_b32 s3, v10
	ds_read_b32 v14, v14 offset:4096
	s_waitcnt lgkmcnt(0)
	global_store_dword v13, v14, s[2:3]
.LBB1467_191:
	s_or_b32 exec_lo, exec_lo, s0
	v_or_b32_e32 v13, 0x500, v0
	s_mov_b32 s0, exec_lo
	v_cmpx_ge_u32_e64 v13, v1
	s_xor_b32 s0, exec_lo, s0
	s_cbranch_execz .LBB1467_197
; %bb.192:
	s_mov_b32 s1, exec_lo
	v_cmpx_ge_u32_e64 v13, v12
	s_xor_b32 s1, exec_lo, s1
	s_cbranch_execz .LBB1467_194
; %bb.193:
	v_lshlrev_b32_e32 v14, 2, v0
	v_add_co_u32 v13, vcc_lo, v3, v13
	ds_read_b32 v15, v14 offset:5120
	v_add_co_ci_u32_e64 v14, null, 0, v11, vcc_lo
	v_lshlrev_b64 v[13:14], 2, v[13:14]
	v_sub_co_u32 v13, vcc_lo, s26, v13
	v_sub_co_ci_u32_e64 v14, null, s27, v14, vcc_lo
	s_waitcnt lgkmcnt(0)
	global_store_dword v[13:14], v15, off offset:-4
                                        ; implicit-def: $vgpr13
.LBB1467_194:
	s_andn2_saveexec_b32 s1, s1
	s_cbranch_execz .LBB1467_196
; %bb.195:
	v_lshlrev_b32_e32 v14, 2, v0
	v_lshlrev_b32_e32 v13, 2, v13
	v_readfirstlane_b32 s2, v7
	v_readfirstlane_b32 s3, v8
	ds_read_b32 v14, v14 offset:5120
	s_waitcnt lgkmcnt(0)
	global_store_dword v13, v14, s[2:3]
.LBB1467_196:
	s_or_b32 exec_lo, exec_lo, s1
                                        ; implicit-def: $vgpr13
.LBB1467_197:
	s_andn2_saveexec_b32 s0, s0
	s_cbranch_execz .LBB1467_199
; %bb.198:
	v_lshlrev_b32_e32 v14, 2, v0
	v_lshlrev_b32_e32 v13, 2, v13
	v_readfirstlane_b32 s2, v9
	v_readfirstlane_b32 s3, v10
	ds_read_b32 v14, v14 offset:5120
	s_waitcnt lgkmcnt(0)
	global_store_dword v13, v14, s[2:3]
.LBB1467_199:
	s_or_b32 exec_lo, exec_lo, s0
	v_or_b32_e32 v13, 0x600, v0
	s_mov_b32 s0, exec_lo
	v_cmpx_ge_u32_e64 v13, v1
	s_xor_b32 s0, exec_lo, s0
	s_cbranch_execz .LBB1467_205
; %bb.200:
	s_mov_b32 s1, exec_lo
	v_cmpx_ge_u32_e64 v13, v12
	s_xor_b32 s1, exec_lo, s1
	s_cbranch_execz .LBB1467_202
; %bb.201:
	v_lshlrev_b32_e32 v14, 2, v0
	v_add_co_u32 v13, vcc_lo, v3, v13
	ds_read_b32 v15, v14 offset:6144
	v_add_co_ci_u32_e64 v14, null, 0, v11, vcc_lo
	v_lshlrev_b64 v[13:14], 2, v[13:14]
	v_sub_co_u32 v13, vcc_lo, s26, v13
	v_sub_co_ci_u32_e64 v14, null, s27, v14, vcc_lo
	s_waitcnt lgkmcnt(0)
	global_store_dword v[13:14], v15, off offset:-4
                                        ; implicit-def: $vgpr13
.LBB1467_202:
	s_andn2_saveexec_b32 s1, s1
	s_cbranch_execz .LBB1467_204
; %bb.203:
	v_lshlrev_b32_e32 v14, 2, v0
	v_lshlrev_b32_e32 v13, 2, v13
	v_readfirstlane_b32 s2, v7
	v_readfirstlane_b32 s3, v8
	ds_read_b32 v14, v14 offset:6144
	s_waitcnt lgkmcnt(0)
	global_store_dword v13, v14, s[2:3]
.LBB1467_204:
	s_or_b32 exec_lo, exec_lo, s1
                                        ; implicit-def: $vgpr13
.LBB1467_205:
	s_andn2_saveexec_b32 s0, s0
	s_cbranch_execz .LBB1467_207
; %bb.206:
	v_lshlrev_b32_e32 v14, 2, v0
	v_lshlrev_b32_e32 v13, 2, v13
	v_readfirstlane_b32 s2, v9
	v_readfirstlane_b32 s3, v10
	ds_read_b32 v14, v14 offset:6144
	s_waitcnt lgkmcnt(0)
	global_store_dword v13, v14, s[2:3]
.LBB1467_207:
	s_or_b32 exec_lo, exec_lo, s0
	v_or_b32_e32 v13, 0x700, v0
	s_mov_b32 s0, exec_lo
	v_cmpx_ge_u32_e64 v13, v1
	s_xor_b32 s0, exec_lo, s0
	s_cbranch_execz .LBB1467_213
; %bb.208:
	s_mov_b32 s1, exec_lo
	v_cmpx_ge_u32_e64 v13, v12
	s_xor_b32 s1, exec_lo, s1
	s_cbranch_execz .LBB1467_210
; %bb.209:
	v_lshlrev_b32_e32 v14, 2, v0
	v_add_co_u32 v13, vcc_lo, v3, v13
	ds_read_b32 v15, v14 offset:7168
	v_add_co_ci_u32_e64 v14, null, 0, v11, vcc_lo
	v_lshlrev_b64 v[13:14], 2, v[13:14]
	v_sub_co_u32 v13, vcc_lo, s26, v13
	v_sub_co_ci_u32_e64 v14, null, s27, v14, vcc_lo
	s_waitcnt lgkmcnt(0)
	global_store_dword v[13:14], v15, off offset:-4
                                        ; implicit-def: $vgpr13
.LBB1467_210:
	s_andn2_saveexec_b32 s1, s1
	s_cbranch_execz .LBB1467_212
; %bb.211:
	v_lshlrev_b32_e32 v14, 2, v0
	v_lshlrev_b32_e32 v13, 2, v13
	v_readfirstlane_b32 s2, v7
	v_readfirstlane_b32 s3, v8
	ds_read_b32 v14, v14 offset:7168
	s_waitcnt lgkmcnt(0)
	global_store_dword v13, v14, s[2:3]
.LBB1467_212:
	s_or_b32 exec_lo, exec_lo, s1
                                        ; implicit-def: $vgpr13
.LBB1467_213:
	s_andn2_saveexec_b32 s0, s0
	s_cbranch_execz .LBB1467_215
; %bb.214:
	v_lshlrev_b32_e32 v14, 2, v0
	v_lshlrev_b32_e32 v13, 2, v13
	v_readfirstlane_b32 s2, v9
	v_readfirstlane_b32 s3, v10
	ds_read_b32 v14, v14 offset:7168
	s_waitcnt lgkmcnt(0)
	global_store_dword v13, v14, s[2:3]
.LBB1467_215:
	s_or_b32 exec_lo, exec_lo, s0
	v_or_b32_e32 v13, 0x800, v0
	s_mov_b32 s0, exec_lo
	v_cmpx_ge_u32_e64 v13, v1
	s_xor_b32 s0, exec_lo, s0
	s_cbranch_execz .LBB1467_221
; %bb.216:
	s_mov_b32 s1, exec_lo
	v_cmpx_ge_u32_e64 v13, v12
	s_xor_b32 s1, exec_lo, s1
	s_cbranch_execz .LBB1467_218
; %bb.217:
	v_lshlrev_b32_e32 v14, 2, v0
	v_add_co_u32 v13, vcc_lo, v3, v13
	ds_read_b32 v15, v14 offset:8192
	v_add_co_ci_u32_e64 v14, null, 0, v11, vcc_lo
	v_lshlrev_b64 v[13:14], 2, v[13:14]
	v_sub_co_u32 v13, vcc_lo, s26, v13
	v_sub_co_ci_u32_e64 v14, null, s27, v14, vcc_lo
	s_waitcnt lgkmcnt(0)
	global_store_dword v[13:14], v15, off offset:-4
                                        ; implicit-def: $vgpr13
.LBB1467_218:
	s_andn2_saveexec_b32 s1, s1
	s_cbranch_execz .LBB1467_220
; %bb.219:
	v_lshlrev_b32_e32 v14, 2, v0
	v_lshlrev_b32_e32 v13, 2, v13
	v_readfirstlane_b32 s2, v7
	v_readfirstlane_b32 s3, v8
	ds_read_b32 v14, v14 offset:8192
	s_waitcnt lgkmcnt(0)
	global_store_dword v13, v14, s[2:3]
.LBB1467_220:
	s_or_b32 exec_lo, exec_lo, s1
                                        ; implicit-def: $vgpr13
.LBB1467_221:
	s_andn2_saveexec_b32 s0, s0
	s_cbranch_execz .LBB1467_223
; %bb.222:
	v_lshlrev_b32_e32 v14, 2, v0
	v_lshlrev_b32_e32 v13, 2, v13
	v_readfirstlane_b32 s2, v9
	v_readfirstlane_b32 s3, v10
	ds_read_b32 v14, v14 offset:8192
	s_waitcnt lgkmcnt(0)
	global_store_dword v13, v14, s[2:3]
.LBB1467_223:
	s_or_b32 exec_lo, exec_lo, s0
	v_or_b32_e32 v13, 0x900, v0
	s_mov_b32 s0, exec_lo
	v_cmpx_ge_u32_e64 v13, v1
	s_xor_b32 s0, exec_lo, s0
	s_cbranch_execz .LBB1467_229
; %bb.224:
	s_mov_b32 s1, exec_lo
	v_cmpx_ge_u32_e64 v13, v12
	s_xor_b32 s1, exec_lo, s1
	s_cbranch_execz .LBB1467_226
; %bb.225:
	v_lshlrev_b32_e32 v14, 2, v0
	v_add_co_u32 v13, vcc_lo, v3, v13
	ds_read_b32 v15, v14 offset:9216
	v_add_co_ci_u32_e64 v14, null, 0, v11, vcc_lo
	v_lshlrev_b64 v[13:14], 2, v[13:14]
	v_sub_co_u32 v13, vcc_lo, s26, v13
	v_sub_co_ci_u32_e64 v14, null, s27, v14, vcc_lo
	s_waitcnt lgkmcnt(0)
	global_store_dword v[13:14], v15, off offset:-4
                                        ; implicit-def: $vgpr13
.LBB1467_226:
	s_andn2_saveexec_b32 s1, s1
	s_cbranch_execz .LBB1467_228
; %bb.227:
	v_lshlrev_b32_e32 v14, 2, v0
	v_lshlrev_b32_e32 v13, 2, v13
	v_readfirstlane_b32 s2, v7
	v_readfirstlane_b32 s3, v8
	ds_read_b32 v14, v14 offset:9216
	s_waitcnt lgkmcnt(0)
	global_store_dword v13, v14, s[2:3]
.LBB1467_228:
	s_or_b32 exec_lo, exec_lo, s1
                                        ; implicit-def: $vgpr13
.LBB1467_229:
	s_andn2_saveexec_b32 s0, s0
	s_cbranch_execz .LBB1467_231
; %bb.230:
	v_lshlrev_b32_e32 v14, 2, v0
	v_lshlrev_b32_e32 v13, 2, v13
	v_readfirstlane_b32 s2, v9
	v_readfirstlane_b32 s3, v10
	ds_read_b32 v14, v14 offset:9216
	s_waitcnt lgkmcnt(0)
	global_store_dword v13, v14, s[2:3]
.LBB1467_231:
	s_or_b32 exec_lo, exec_lo, s0
	v_or_b32_e32 v13, 0xa00, v0
	s_mov_b32 s0, exec_lo
	v_cmpx_ge_u32_e64 v13, v1
	s_xor_b32 s0, exec_lo, s0
	s_cbranch_execz .LBB1467_237
; %bb.232:
	s_mov_b32 s1, exec_lo
	v_cmpx_ge_u32_e64 v13, v12
	s_xor_b32 s1, exec_lo, s1
	s_cbranch_execz .LBB1467_234
; %bb.233:
	v_lshlrev_b32_e32 v14, 2, v0
	v_add_co_u32 v13, vcc_lo, v3, v13
	ds_read_b32 v15, v14 offset:10240
	v_add_co_ci_u32_e64 v14, null, 0, v11, vcc_lo
	v_lshlrev_b64 v[13:14], 2, v[13:14]
	v_sub_co_u32 v13, vcc_lo, s26, v13
	v_sub_co_ci_u32_e64 v14, null, s27, v14, vcc_lo
	s_waitcnt lgkmcnt(0)
	global_store_dword v[13:14], v15, off offset:-4
                                        ; implicit-def: $vgpr13
.LBB1467_234:
	s_andn2_saveexec_b32 s1, s1
	s_cbranch_execz .LBB1467_236
; %bb.235:
	v_lshlrev_b32_e32 v14, 2, v0
	v_lshlrev_b32_e32 v13, 2, v13
	v_readfirstlane_b32 s2, v7
	v_readfirstlane_b32 s3, v8
	ds_read_b32 v14, v14 offset:10240
	s_waitcnt lgkmcnt(0)
	global_store_dword v13, v14, s[2:3]
.LBB1467_236:
	s_or_b32 exec_lo, exec_lo, s1
                                        ; implicit-def: $vgpr13
.LBB1467_237:
	s_andn2_saveexec_b32 s0, s0
	s_cbranch_execz .LBB1467_239
; %bb.238:
	v_lshlrev_b32_e32 v14, 2, v0
	v_lshlrev_b32_e32 v13, 2, v13
	v_readfirstlane_b32 s2, v9
	v_readfirstlane_b32 s3, v10
	ds_read_b32 v14, v14 offset:10240
	s_waitcnt lgkmcnt(0)
	global_store_dword v13, v14, s[2:3]
.LBB1467_239:
	s_or_b32 exec_lo, exec_lo, s0
	v_or_b32_e32 v13, 0xb00, v0
	s_mov_b32 s0, exec_lo
	v_cmpx_ge_u32_e64 v13, v1
	s_xor_b32 s0, exec_lo, s0
	s_cbranch_execz .LBB1467_245
; %bb.240:
	s_mov_b32 s1, exec_lo
	v_cmpx_ge_u32_e64 v13, v12
	s_xor_b32 s1, exec_lo, s1
	s_cbranch_execz .LBB1467_242
; %bb.241:
	v_lshlrev_b32_e32 v14, 2, v0
	v_add_co_u32 v13, vcc_lo, v3, v13
	ds_read_b32 v15, v14 offset:11264
	v_add_co_ci_u32_e64 v14, null, 0, v11, vcc_lo
	v_lshlrev_b64 v[13:14], 2, v[13:14]
	v_sub_co_u32 v13, vcc_lo, s26, v13
	v_sub_co_ci_u32_e64 v14, null, s27, v14, vcc_lo
	s_waitcnt lgkmcnt(0)
	global_store_dword v[13:14], v15, off offset:-4
                                        ; implicit-def: $vgpr13
.LBB1467_242:
	s_andn2_saveexec_b32 s1, s1
	s_cbranch_execz .LBB1467_244
; %bb.243:
	v_lshlrev_b32_e32 v14, 2, v0
	v_lshlrev_b32_e32 v13, 2, v13
	v_readfirstlane_b32 s2, v7
	v_readfirstlane_b32 s3, v8
	ds_read_b32 v14, v14 offset:11264
	s_waitcnt lgkmcnt(0)
	global_store_dword v13, v14, s[2:3]
.LBB1467_244:
	s_or_b32 exec_lo, exec_lo, s1
                                        ; implicit-def: $vgpr13
.LBB1467_245:
	s_andn2_saveexec_b32 s0, s0
	s_cbranch_execz .LBB1467_247
; %bb.246:
	v_lshlrev_b32_e32 v14, 2, v0
	v_lshlrev_b32_e32 v13, 2, v13
	v_readfirstlane_b32 s2, v9
	v_readfirstlane_b32 s3, v10
	ds_read_b32 v14, v14 offset:11264
	s_waitcnt lgkmcnt(0)
	global_store_dword v13, v14, s[2:3]
.LBB1467_247:
	s_or_b32 exec_lo, exec_lo, s0
	v_or_b32_e32 v13, 0xc00, v0
	s_mov_b32 s0, exec_lo
	v_cmpx_ge_u32_e64 v13, v1
	s_xor_b32 s0, exec_lo, s0
	s_cbranch_execz .LBB1467_253
; %bb.248:
	s_mov_b32 s1, exec_lo
	v_cmpx_ge_u32_e64 v13, v12
	s_xor_b32 s1, exec_lo, s1
	s_cbranch_execz .LBB1467_250
; %bb.249:
	v_lshlrev_b32_e32 v14, 2, v0
	v_add_co_u32 v13, vcc_lo, v3, v13
	ds_read_b32 v15, v14 offset:12288
	v_add_co_ci_u32_e64 v14, null, 0, v11, vcc_lo
	v_lshlrev_b64 v[13:14], 2, v[13:14]
	v_sub_co_u32 v13, vcc_lo, s26, v13
	v_sub_co_ci_u32_e64 v14, null, s27, v14, vcc_lo
	s_waitcnt lgkmcnt(0)
	global_store_dword v[13:14], v15, off offset:-4
                                        ; implicit-def: $vgpr13
.LBB1467_250:
	s_andn2_saveexec_b32 s1, s1
	s_cbranch_execz .LBB1467_252
; %bb.251:
	v_lshlrev_b32_e32 v14, 2, v0
	v_lshlrev_b32_e32 v13, 2, v13
	v_readfirstlane_b32 s2, v7
	v_readfirstlane_b32 s3, v8
	ds_read_b32 v14, v14 offset:12288
	s_waitcnt lgkmcnt(0)
	global_store_dword v13, v14, s[2:3]
.LBB1467_252:
	s_or_b32 exec_lo, exec_lo, s1
                                        ; implicit-def: $vgpr13
.LBB1467_253:
	s_andn2_saveexec_b32 s0, s0
	s_cbranch_execz .LBB1467_255
; %bb.254:
	v_lshlrev_b32_e32 v14, 2, v0
	v_lshlrev_b32_e32 v13, 2, v13
	v_readfirstlane_b32 s2, v9
	v_readfirstlane_b32 s3, v10
	ds_read_b32 v14, v14 offset:12288
	s_waitcnt lgkmcnt(0)
	global_store_dword v13, v14, s[2:3]
.LBB1467_255:
	s_or_b32 exec_lo, exec_lo, s0
	s_branch .LBB1467_149
.LBB1467_256:
	s_mov_b32 s0, exec_lo
	v_cmpx_gt_u32_e64 s7, v0
	s_cbranch_execz .LBB1467_265
; %bb.257:
	s_mov_b32 s1, exec_lo
	v_cmpx_ge_u32_e64 v0, v1
	s_xor_b32 s1, exec_lo, s1
	s_cbranch_execz .LBB1467_263
; %bb.258:
	s_mov_b32 s2, exec_lo
	v_cmpx_ge_u32_e64 v0, v12
	s_xor_b32 s2, exec_lo, s2
	s_cbranch_execz .LBB1467_260
; %bb.259:
	v_lshlrev_b32_e32 v13, 2, v0
	ds_read_b32 v15, v13
	v_add_co_u32 v13, vcc_lo, v3, v0
	v_add_co_ci_u32_e64 v14, null, 0, v11, vcc_lo
	v_lshlrev_b64 v[13:14], 2, v[13:14]
	v_sub_co_u32 v13, vcc_lo, s26, v13
	v_sub_co_ci_u32_e64 v14, null, s27, v14, vcc_lo
	s_waitcnt lgkmcnt(0)
	global_store_dword v[13:14], v15, off offset:-4
.LBB1467_260:
	s_andn2_saveexec_b32 s2, s2
	s_cbranch_execz .LBB1467_262
; %bb.261:
	v_lshlrev_b32_e32 v13, 2, v0
	v_readfirstlane_b32 s4, v7
	v_readfirstlane_b32 s5, v8
	ds_read_b32 v14, v13
	s_waitcnt lgkmcnt(0)
	global_store_dword v13, v14, s[4:5]
.LBB1467_262:
	s_or_b32 exec_lo, exec_lo, s2
.LBB1467_263:
	s_andn2_saveexec_b32 s1, s1
	s_cbranch_execz .LBB1467_265
; %bb.264:
	v_lshlrev_b32_e32 v13, 2, v0
	v_readfirstlane_b32 s2, v9
	v_readfirstlane_b32 s3, v10
	ds_read_b32 v14, v13
	s_waitcnt lgkmcnt(0)
	global_store_dword v13, v14, s[2:3]
.LBB1467_265:
	s_or_b32 exec_lo, exec_lo, s0
	v_or_b32_e32 v13, 0x100, v0
	s_mov_b32 s0, exec_lo
	v_cmpx_gt_u32_e64 s7, v13
	s_cbranch_execz .LBB1467_274
; %bb.266:
	s_mov_b32 s1, exec_lo
	v_cmpx_ge_u32_e64 v13, v1
	s_xor_b32 s1, exec_lo, s1
	s_cbranch_execz .LBB1467_272
; %bb.267:
	s_mov_b32 s2, exec_lo
	v_cmpx_ge_u32_e64 v13, v12
	s_xor_b32 s2, exec_lo, s2
	s_cbranch_execz .LBB1467_269
; %bb.268:
	v_lshlrev_b32_e32 v13, 2, v0
	ds_read_b32 v15, v13 offset:1024
	v_add_co_u32 v13, vcc_lo, v3, v0
	v_add_co_ci_u32_e64 v14, null, 0, v11, vcc_lo
	v_lshlrev_b64 v[13:14], 2, v[13:14]
	v_sub_co_u32 v13, vcc_lo, s26, v13
	v_sub_co_ci_u32_e64 v14, null, s27, v14, vcc_lo
	s_waitcnt lgkmcnt(0)
	global_store_dword v[13:14], v15, off offset:-1028
.LBB1467_269:
	s_andn2_saveexec_b32 s2, s2
	s_cbranch_execz .LBB1467_271
; %bb.270:
	v_lshlrev_b32_e32 v13, 2, v0
	v_readfirstlane_b32 s4, v7
	v_readfirstlane_b32 s5, v8
	ds_read_b32 v14, v13 offset:1024
	s_waitcnt lgkmcnt(0)
	global_store_dword v13, v14, s[4:5] offset:1024
.LBB1467_271:
	s_or_b32 exec_lo, exec_lo, s2
.LBB1467_272:
	s_andn2_saveexec_b32 s1, s1
	s_cbranch_execz .LBB1467_274
; %bb.273:
	v_lshlrev_b32_e32 v13, 2, v0
	v_readfirstlane_b32 s2, v9
	v_readfirstlane_b32 s3, v10
	ds_read_b32 v14, v13 offset:1024
	s_waitcnt lgkmcnt(0)
	global_store_dword v13, v14, s[2:3] offset:1024
.LBB1467_274:
	s_or_b32 exec_lo, exec_lo, s0
	v_or_b32_e32 v13, 0x200, v0
	s_mov_b32 s0, exec_lo
	v_cmpx_gt_u32_e64 s7, v13
	s_cbranch_execz .LBB1467_283
; %bb.275:
	s_mov_b32 s1, exec_lo
	v_cmpx_ge_u32_e64 v13, v1
	s_xor_b32 s1, exec_lo, s1
	s_cbranch_execz .LBB1467_281
; %bb.276:
	s_mov_b32 s2, exec_lo
	v_cmpx_ge_u32_e64 v13, v12
	s_xor_b32 s2, exec_lo, s2
	s_cbranch_execz .LBB1467_278
; %bb.277:
	v_lshlrev_b32_e32 v15, 2, v0
	v_add_co_u32 v13, vcc_lo, v3, v0
	v_add_co_ci_u32_e64 v14, null, 0, v11, vcc_lo
	ds_read_b32 v15, v15 offset:2048
	v_lshlrev_b64 v[13:14], 2, v[13:14]
	v_sub_co_u32 v13, vcc_lo, s26, v13
	v_sub_co_ci_u32_e64 v14, null, s27, v14, vcc_lo
	v_add_co_u32 v13, vcc_lo, 0xfffff800, v13
	v_add_co_ci_u32_e64 v14, null, -1, v14, vcc_lo
	s_waitcnt lgkmcnt(0)
	global_store_dword v[13:14], v15, off offset:-4
                                        ; implicit-def: $vgpr13
.LBB1467_278:
	s_andn2_saveexec_b32 s2, s2
	s_cbranch_execz .LBB1467_280
; %bb.279:
	v_lshlrev_b32_e32 v14, 2, v0
	v_lshlrev_b32_e32 v13, 2, v13
	v_readfirstlane_b32 s4, v7
	v_readfirstlane_b32 s5, v8
	ds_read_b32 v14, v14 offset:2048
	s_waitcnt lgkmcnt(0)
	global_store_dword v13, v14, s[4:5]
.LBB1467_280:
	s_or_b32 exec_lo, exec_lo, s2
                                        ; implicit-def: $vgpr13
.LBB1467_281:
	s_andn2_saveexec_b32 s1, s1
	s_cbranch_execz .LBB1467_283
; %bb.282:
	v_lshlrev_b32_e32 v14, 2, v0
	v_lshlrev_b32_e32 v13, 2, v13
	v_readfirstlane_b32 s2, v9
	v_readfirstlane_b32 s3, v10
	ds_read_b32 v14, v14 offset:2048
	s_waitcnt lgkmcnt(0)
	global_store_dword v13, v14, s[2:3]
.LBB1467_283:
	s_or_b32 exec_lo, exec_lo, s0
	v_or_b32_e32 v13, 0x300, v0
	s_mov_b32 s0, exec_lo
	v_cmpx_gt_u32_e64 s7, v13
	s_cbranch_execz .LBB1467_292
; %bb.284:
	s_mov_b32 s1, exec_lo
	v_cmpx_ge_u32_e64 v13, v1
	s_xor_b32 s1, exec_lo, s1
	s_cbranch_execz .LBB1467_290
; %bb.285:
	s_mov_b32 s2, exec_lo
	v_cmpx_ge_u32_e64 v13, v12
	s_xor_b32 s2, exec_lo, s2
	s_cbranch_execz .LBB1467_287
; %bb.286:
	v_lshlrev_b32_e32 v14, 2, v0
	v_add_co_u32 v13, vcc_lo, v3, v13
	ds_read_b32 v15, v14 offset:3072
	v_add_co_ci_u32_e64 v14, null, 0, v11, vcc_lo
	v_lshlrev_b64 v[13:14], 2, v[13:14]
	v_sub_co_u32 v13, vcc_lo, s26, v13
	v_sub_co_ci_u32_e64 v14, null, s27, v14, vcc_lo
	s_waitcnt lgkmcnt(0)
	global_store_dword v[13:14], v15, off offset:-4
                                        ; implicit-def: $vgpr13
.LBB1467_287:
	s_andn2_saveexec_b32 s2, s2
	s_cbranch_execz .LBB1467_289
; %bb.288:
	v_lshlrev_b32_e32 v14, 2, v0
	v_lshlrev_b32_e32 v13, 2, v13
	v_readfirstlane_b32 s4, v7
	v_readfirstlane_b32 s5, v8
	ds_read_b32 v14, v14 offset:3072
	s_waitcnt lgkmcnt(0)
	global_store_dword v13, v14, s[4:5]
.LBB1467_289:
	s_or_b32 exec_lo, exec_lo, s2
                                        ; implicit-def: $vgpr13
.LBB1467_290:
	s_andn2_saveexec_b32 s1, s1
	s_cbranch_execz .LBB1467_292
; %bb.291:
	v_lshlrev_b32_e32 v14, 2, v0
	v_lshlrev_b32_e32 v13, 2, v13
	v_readfirstlane_b32 s2, v9
	v_readfirstlane_b32 s3, v10
	ds_read_b32 v14, v14 offset:3072
	s_waitcnt lgkmcnt(0)
	global_store_dword v13, v14, s[2:3]
.LBB1467_292:
	s_or_b32 exec_lo, exec_lo, s0
	v_or_b32_e32 v13, 0x400, v0
	s_mov_b32 s0, exec_lo
	v_cmpx_gt_u32_e64 s7, v13
	s_cbranch_execz .LBB1467_301
; %bb.293:
	s_mov_b32 s1, exec_lo
	v_cmpx_ge_u32_e64 v13, v1
	s_xor_b32 s1, exec_lo, s1
	s_cbranch_execz .LBB1467_299
; %bb.294:
	s_mov_b32 s2, exec_lo
	v_cmpx_ge_u32_e64 v13, v12
	s_xor_b32 s2, exec_lo, s2
	s_cbranch_execz .LBB1467_296
; %bb.295:
	v_lshlrev_b32_e32 v14, 2, v0
	v_add_co_u32 v13, vcc_lo, v3, v13
	ds_read_b32 v15, v14 offset:4096
	v_add_co_ci_u32_e64 v14, null, 0, v11, vcc_lo
	v_lshlrev_b64 v[13:14], 2, v[13:14]
	v_sub_co_u32 v13, vcc_lo, s26, v13
	v_sub_co_ci_u32_e64 v14, null, s27, v14, vcc_lo
	s_waitcnt lgkmcnt(0)
	global_store_dword v[13:14], v15, off offset:-4
                                        ; implicit-def: $vgpr13
.LBB1467_296:
	s_andn2_saveexec_b32 s2, s2
	s_cbranch_execz .LBB1467_298
; %bb.297:
	v_lshlrev_b32_e32 v14, 2, v0
	v_lshlrev_b32_e32 v13, 2, v13
	v_readfirstlane_b32 s4, v7
	v_readfirstlane_b32 s5, v8
	ds_read_b32 v14, v14 offset:4096
	s_waitcnt lgkmcnt(0)
	global_store_dword v13, v14, s[4:5]
.LBB1467_298:
	s_or_b32 exec_lo, exec_lo, s2
                                        ; implicit-def: $vgpr13
.LBB1467_299:
	s_andn2_saveexec_b32 s1, s1
	s_cbranch_execz .LBB1467_301
; %bb.300:
	v_lshlrev_b32_e32 v14, 2, v0
	v_lshlrev_b32_e32 v13, 2, v13
	v_readfirstlane_b32 s2, v9
	v_readfirstlane_b32 s3, v10
	ds_read_b32 v14, v14 offset:4096
	s_waitcnt lgkmcnt(0)
	global_store_dword v13, v14, s[2:3]
.LBB1467_301:
	;; [unrolled: 52-line block ×9, first 2 shown]
	s_or_b32 exec_lo, exec_lo, s0
	v_or_b32_e32 v13, 0xc00, v0
	s_mov_b32 s0, exec_lo
	v_cmpx_gt_u32_e64 s7, v13
	s_cbranch_execz .LBB1467_373
; %bb.365:
	s_mov_b32 s1, exec_lo
	v_cmpx_ge_u32_e64 v13, v1
	s_xor_b32 s1, exec_lo, s1
	s_cbranch_execz .LBB1467_371
; %bb.366:
	s_mov_b32 s2, exec_lo
	v_cmpx_ge_u32_e64 v13, v12
	s_xor_b32 s2, exec_lo, s2
	s_cbranch_execz .LBB1467_368
; %bb.367:
	v_lshlrev_b32_e32 v7, 2, v0
	ds_read_b32 v9, v7 offset:12288
	v_add_co_u32 v7, vcc_lo, v3, v13
	v_add_co_ci_u32_e64 v8, null, 0, v11, vcc_lo
                                        ; implicit-def: $vgpr13
	v_lshlrev_b64 v[7:8], 2, v[7:8]
	v_sub_co_u32 v7, vcc_lo, s26, v7
	v_sub_co_ci_u32_e64 v8, null, s27, v8, vcc_lo
	s_waitcnt lgkmcnt(0)
	global_store_dword v[7:8], v9, off offset:-4
                                        ; implicit-def: $vgpr7_vgpr8
.LBB1467_368:
	s_andn2_saveexec_b32 s2, s2
	s_cbranch_execz .LBB1467_370
; %bb.369:
	v_lshlrev_b32_e32 v3, 2, v0
	v_lshlrev_b32_e32 v9, 2, v13
	v_readfirstlane_b32 s4, v7
	v_readfirstlane_b32 s5, v8
	ds_read_b32 v3, v3 offset:12288
	s_waitcnt lgkmcnt(0)
	global_store_dword v9, v3, s[4:5]
.LBB1467_370:
	s_or_b32 exec_lo, exec_lo, s2
                                        ; implicit-def: $vgpr13
                                        ; implicit-def: $vgpr9_vgpr10
.LBB1467_371:
	s_andn2_saveexec_b32 s1, s1
	s_cbranch_execz .LBB1467_373
; %bb.372:
	v_lshlrev_b32_e32 v3, 2, v0
	v_lshlrev_b32_e32 v7, 2, v13
	v_readfirstlane_b32 s2, v9
	v_readfirstlane_b32 s3, v10
	ds_read_b32 v3, v3 offset:12288
	s_waitcnt lgkmcnt(0)
	global_store_dword v7, v3, s[2:3]
.LBB1467_373:
	s_or_b32 exec_lo, exec_lo, s0
	v_cmp_eq_u32_e32 vcc_lo, 0, v0
	s_and_b32 s0, vcc_lo, s33
	s_and_saveexec_b32 s1, s0
	s_cbranch_execz .LBB1467_150
.LBB1467_374:
	v_add_co_u32 v0, s0, s30, v2
	v_add_co_ci_u32_e64 v3, null, s31, 0, s0
	v_mov_b32_e32 v7, 0
	v_add_co_u32 v2, vcc_lo, v0, v4
	v_add_co_ci_u32_e64 v3, null, 0, v3, vcc_lo
	v_add_co_u32 v0, vcc_lo, v5, v1
	v_add_co_ci_u32_e64 v1, null, 0, v6, vcc_lo
	global_store_dwordx4 v7, v[0:3], s[24:25]
	s_endpgm
.LBB1467_375:
	s_add_i32 s10, s6, 32
	s_mov_b32 s11, 0
	v_add_nc_u32_e32 v6, v4, v2
	s_lshl_b64 s[10:11], s[10:11], 4
	v_add_nc_u32_e32 v5, v3, v1
	s_add_u32 s10, s4, s10
	s_addc_u32 s11, s5, s11
	v_mov_b32_e32 v7, 2
	v_mov_b32_e32 v24, s11
	;; [unrolled: 1-line block ×4, first 2 shown]
	;;#ASMSTART
	global_store_dwordx4 v[23:24], v[5:8] off	
s_waitcnt vmcnt(0)
	;;#ASMEND
	s_or_b32 exec_lo, exec_lo, s8
	s_and_saveexec_b32 s6, s2
	s_cbranch_execz .LBB1467_135
.LBB1467_376:
	v_mov_b32_e32 v5, 0
	ds_write_b128 v5, v[1:4] offset:13312
	s_or_b32 exec_lo, exec_lo, s6
	v_cmp_eq_u32_e32 vcc_lo, 0, v0
	s_and_b32 exec_lo, exec_lo, vcc_lo
	s_cbranch_execnz .LBB1467_136
	s_branch .LBB1467_137
	.section	.rodata,"a",@progbits
	.p2align	6, 0x0
	.amdhsa_kernel _ZN7rocprim17ROCPRIM_400000_NS6detail17trampoline_kernelINS0_13select_configILj256ELj13ELNS0_17block_load_methodE3ELS4_3ELS4_3ELNS0_20block_scan_algorithmE0ELj4294967295EEENS1_25partition_config_selectorILNS1_17partition_subalgoE4EjNS0_10empty_typeEbEEZZNS1_14partition_implILS8_4ELb0ES6_15HIP_vector_typeIjLj2EENS0_17counting_iteratorIjlEEPS9_SG_NS0_5tupleIJPjSI_NS0_16reverse_iteratorISI_EEEEENSH_IJSG_SG_SG_EEES9_SI_JZNS1_25segmented_radix_sort_implINS0_14default_configELb1EPKbPbPKlPlN2at6native12_GLOBAL__N_18offset_tEEE10hipError_tPvRmT1_PNSt15iterator_traitsIS12_E10value_typeET2_T3_PNS13_IS18_E10value_typeET4_jRbjT5_S1E_jjP12ihipStream_tbEUljE_ZNSN_ISO_Lb1ESQ_SR_ST_SU_SY_EESZ_S10_S11_S12_S16_S17_S18_S1B_S1C_jS1D_jS1E_S1E_jjS1G_bEUljE0_EEESZ_S10_S11_S18_S1C_S1E_T6_T7_T9_mT8_S1G_bDpT10_ENKUlT_T0_E_clISt17integral_constantIbLb0EES1U_EEDaS1P_S1Q_EUlS1P_E_NS1_11comp_targetILNS1_3genE8ELNS1_11target_archE1030ELNS1_3gpuE2ELNS1_3repE0EEENS1_30default_config_static_selectorELNS0_4arch9wavefront6targetE0EEEvS12_
		.amdhsa_group_segment_fixed_size 13328
		.amdhsa_private_segment_fixed_size 0
		.amdhsa_kernarg_size 176
		.amdhsa_user_sgpr_count 6
		.amdhsa_user_sgpr_private_segment_buffer 1
		.amdhsa_user_sgpr_dispatch_ptr 0
		.amdhsa_user_sgpr_queue_ptr 0
		.amdhsa_user_sgpr_kernarg_segment_ptr 1
		.amdhsa_user_sgpr_dispatch_id 0
		.amdhsa_user_sgpr_flat_scratch_init 0
		.amdhsa_user_sgpr_private_segment_size 0
		.amdhsa_wavefront_size32 1
		.amdhsa_uses_dynamic_stack 0
		.amdhsa_system_sgpr_private_segment_wavefront_offset 0
		.amdhsa_system_sgpr_workgroup_id_x 1
		.amdhsa_system_sgpr_workgroup_id_y 0
		.amdhsa_system_sgpr_workgroup_id_z 0
		.amdhsa_system_sgpr_workgroup_info 0
		.amdhsa_system_vgpr_workitem_id 0
		.amdhsa_next_free_vgpr 82
		.amdhsa_next_free_sgpr 59
		.amdhsa_reserve_vcc 1
		.amdhsa_reserve_flat_scratch 0
		.amdhsa_float_round_mode_32 0
		.amdhsa_float_round_mode_16_64 0
		.amdhsa_float_denorm_mode_32 3
		.amdhsa_float_denorm_mode_16_64 3
		.amdhsa_dx10_clamp 1
		.amdhsa_ieee_mode 1
		.amdhsa_fp16_overflow 0
		.amdhsa_workgroup_processor_mode 1
		.amdhsa_memory_ordered 1
		.amdhsa_forward_progress 1
		.amdhsa_shared_vgpr_count 0
		.amdhsa_exception_fp_ieee_invalid_op 0
		.amdhsa_exception_fp_denorm_src 0
		.amdhsa_exception_fp_ieee_div_zero 0
		.amdhsa_exception_fp_ieee_overflow 0
		.amdhsa_exception_fp_ieee_underflow 0
		.amdhsa_exception_fp_ieee_inexact 0
		.amdhsa_exception_int_div_zero 0
	.end_amdhsa_kernel
	.section	.text._ZN7rocprim17ROCPRIM_400000_NS6detail17trampoline_kernelINS0_13select_configILj256ELj13ELNS0_17block_load_methodE3ELS4_3ELS4_3ELNS0_20block_scan_algorithmE0ELj4294967295EEENS1_25partition_config_selectorILNS1_17partition_subalgoE4EjNS0_10empty_typeEbEEZZNS1_14partition_implILS8_4ELb0ES6_15HIP_vector_typeIjLj2EENS0_17counting_iteratorIjlEEPS9_SG_NS0_5tupleIJPjSI_NS0_16reverse_iteratorISI_EEEEENSH_IJSG_SG_SG_EEES9_SI_JZNS1_25segmented_radix_sort_implINS0_14default_configELb1EPKbPbPKlPlN2at6native12_GLOBAL__N_18offset_tEEE10hipError_tPvRmT1_PNSt15iterator_traitsIS12_E10value_typeET2_T3_PNS13_IS18_E10value_typeET4_jRbjT5_S1E_jjP12ihipStream_tbEUljE_ZNSN_ISO_Lb1ESQ_SR_ST_SU_SY_EESZ_S10_S11_S12_S16_S17_S18_S1B_S1C_jS1D_jS1E_S1E_jjS1G_bEUljE0_EEESZ_S10_S11_S18_S1C_S1E_T6_T7_T9_mT8_S1G_bDpT10_ENKUlT_T0_E_clISt17integral_constantIbLb0EES1U_EEDaS1P_S1Q_EUlS1P_E_NS1_11comp_targetILNS1_3genE8ELNS1_11target_archE1030ELNS1_3gpuE2ELNS1_3repE0EEENS1_30default_config_static_selectorELNS0_4arch9wavefront6targetE0EEEvS12_,"axG",@progbits,_ZN7rocprim17ROCPRIM_400000_NS6detail17trampoline_kernelINS0_13select_configILj256ELj13ELNS0_17block_load_methodE3ELS4_3ELS4_3ELNS0_20block_scan_algorithmE0ELj4294967295EEENS1_25partition_config_selectorILNS1_17partition_subalgoE4EjNS0_10empty_typeEbEEZZNS1_14partition_implILS8_4ELb0ES6_15HIP_vector_typeIjLj2EENS0_17counting_iteratorIjlEEPS9_SG_NS0_5tupleIJPjSI_NS0_16reverse_iteratorISI_EEEEENSH_IJSG_SG_SG_EEES9_SI_JZNS1_25segmented_radix_sort_implINS0_14default_configELb1EPKbPbPKlPlN2at6native12_GLOBAL__N_18offset_tEEE10hipError_tPvRmT1_PNSt15iterator_traitsIS12_E10value_typeET2_T3_PNS13_IS18_E10value_typeET4_jRbjT5_S1E_jjP12ihipStream_tbEUljE_ZNSN_ISO_Lb1ESQ_SR_ST_SU_SY_EESZ_S10_S11_S12_S16_S17_S18_S1B_S1C_jS1D_jS1E_S1E_jjS1G_bEUljE0_EEESZ_S10_S11_S18_S1C_S1E_T6_T7_T9_mT8_S1G_bDpT10_ENKUlT_T0_E_clISt17integral_constantIbLb0EES1U_EEDaS1P_S1Q_EUlS1P_E_NS1_11comp_targetILNS1_3genE8ELNS1_11target_archE1030ELNS1_3gpuE2ELNS1_3repE0EEENS1_30default_config_static_selectorELNS0_4arch9wavefront6targetE0EEEvS12_,comdat
.Lfunc_end1467:
	.size	_ZN7rocprim17ROCPRIM_400000_NS6detail17trampoline_kernelINS0_13select_configILj256ELj13ELNS0_17block_load_methodE3ELS4_3ELS4_3ELNS0_20block_scan_algorithmE0ELj4294967295EEENS1_25partition_config_selectorILNS1_17partition_subalgoE4EjNS0_10empty_typeEbEEZZNS1_14partition_implILS8_4ELb0ES6_15HIP_vector_typeIjLj2EENS0_17counting_iteratorIjlEEPS9_SG_NS0_5tupleIJPjSI_NS0_16reverse_iteratorISI_EEEEENSH_IJSG_SG_SG_EEES9_SI_JZNS1_25segmented_radix_sort_implINS0_14default_configELb1EPKbPbPKlPlN2at6native12_GLOBAL__N_18offset_tEEE10hipError_tPvRmT1_PNSt15iterator_traitsIS12_E10value_typeET2_T3_PNS13_IS18_E10value_typeET4_jRbjT5_S1E_jjP12ihipStream_tbEUljE_ZNSN_ISO_Lb1ESQ_SR_ST_SU_SY_EESZ_S10_S11_S12_S16_S17_S18_S1B_S1C_jS1D_jS1E_S1E_jjS1G_bEUljE0_EEESZ_S10_S11_S18_S1C_S1E_T6_T7_T9_mT8_S1G_bDpT10_ENKUlT_T0_E_clISt17integral_constantIbLb0EES1U_EEDaS1P_S1Q_EUlS1P_E_NS1_11comp_targetILNS1_3genE8ELNS1_11target_archE1030ELNS1_3gpuE2ELNS1_3repE0EEENS1_30default_config_static_selectorELNS0_4arch9wavefront6targetE0EEEvS12_, .Lfunc_end1467-_ZN7rocprim17ROCPRIM_400000_NS6detail17trampoline_kernelINS0_13select_configILj256ELj13ELNS0_17block_load_methodE3ELS4_3ELS4_3ELNS0_20block_scan_algorithmE0ELj4294967295EEENS1_25partition_config_selectorILNS1_17partition_subalgoE4EjNS0_10empty_typeEbEEZZNS1_14partition_implILS8_4ELb0ES6_15HIP_vector_typeIjLj2EENS0_17counting_iteratorIjlEEPS9_SG_NS0_5tupleIJPjSI_NS0_16reverse_iteratorISI_EEEEENSH_IJSG_SG_SG_EEES9_SI_JZNS1_25segmented_radix_sort_implINS0_14default_configELb1EPKbPbPKlPlN2at6native12_GLOBAL__N_18offset_tEEE10hipError_tPvRmT1_PNSt15iterator_traitsIS12_E10value_typeET2_T3_PNS13_IS18_E10value_typeET4_jRbjT5_S1E_jjP12ihipStream_tbEUljE_ZNSN_ISO_Lb1ESQ_SR_ST_SU_SY_EESZ_S10_S11_S12_S16_S17_S18_S1B_S1C_jS1D_jS1E_S1E_jjS1G_bEUljE0_EEESZ_S10_S11_S18_S1C_S1E_T6_T7_T9_mT8_S1G_bDpT10_ENKUlT_T0_E_clISt17integral_constantIbLb0EES1U_EEDaS1P_S1Q_EUlS1P_E_NS1_11comp_targetILNS1_3genE8ELNS1_11target_archE1030ELNS1_3gpuE2ELNS1_3repE0EEENS1_30default_config_static_selectorELNS0_4arch9wavefront6targetE0EEEvS12_
                                        ; -- End function
	.set _ZN7rocprim17ROCPRIM_400000_NS6detail17trampoline_kernelINS0_13select_configILj256ELj13ELNS0_17block_load_methodE3ELS4_3ELS4_3ELNS0_20block_scan_algorithmE0ELj4294967295EEENS1_25partition_config_selectorILNS1_17partition_subalgoE4EjNS0_10empty_typeEbEEZZNS1_14partition_implILS8_4ELb0ES6_15HIP_vector_typeIjLj2EENS0_17counting_iteratorIjlEEPS9_SG_NS0_5tupleIJPjSI_NS0_16reverse_iteratorISI_EEEEENSH_IJSG_SG_SG_EEES9_SI_JZNS1_25segmented_radix_sort_implINS0_14default_configELb1EPKbPbPKlPlN2at6native12_GLOBAL__N_18offset_tEEE10hipError_tPvRmT1_PNSt15iterator_traitsIS12_E10value_typeET2_T3_PNS13_IS18_E10value_typeET4_jRbjT5_S1E_jjP12ihipStream_tbEUljE_ZNSN_ISO_Lb1ESQ_SR_ST_SU_SY_EESZ_S10_S11_S12_S16_S17_S18_S1B_S1C_jS1D_jS1E_S1E_jjS1G_bEUljE0_EEESZ_S10_S11_S18_S1C_S1E_T6_T7_T9_mT8_S1G_bDpT10_ENKUlT_T0_E_clISt17integral_constantIbLb0EES1U_EEDaS1P_S1Q_EUlS1P_E_NS1_11comp_targetILNS1_3genE8ELNS1_11target_archE1030ELNS1_3gpuE2ELNS1_3repE0EEENS1_30default_config_static_selectorELNS0_4arch9wavefront6targetE0EEEvS12_.num_vgpr, 82
	.set _ZN7rocprim17ROCPRIM_400000_NS6detail17trampoline_kernelINS0_13select_configILj256ELj13ELNS0_17block_load_methodE3ELS4_3ELS4_3ELNS0_20block_scan_algorithmE0ELj4294967295EEENS1_25partition_config_selectorILNS1_17partition_subalgoE4EjNS0_10empty_typeEbEEZZNS1_14partition_implILS8_4ELb0ES6_15HIP_vector_typeIjLj2EENS0_17counting_iteratorIjlEEPS9_SG_NS0_5tupleIJPjSI_NS0_16reverse_iteratorISI_EEEEENSH_IJSG_SG_SG_EEES9_SI_JZNS1_25segmented_radix_sort_implINS0_14default_configELb1EPKbPbPKlPlN2at6native12_GLOBAL__N_18offset_tEEE10hipError_tPvRmT1_PNSt15iterator_traitsIS12_E10value_typeET2_T3_PNS13_IS18_E10value_typeET4_jRbjT5_S1E_jjP12ihipStream_tbEUljE_ZNSN_ISO_Lb1ESQ_SR_ST_SU_SY_EESZ_S10_S11_S12_S16_S17_S18_S1B_S1C_jS1D_jS1E_S1E_jjS1G_bEUljE0_EEESZ_S10_S11_S18_S1C_S1E_T6_T7_T9_mT8_S1G_bDpT10_ENKUlT_T0_E_clISt17integral_constantIbLb0EES1U_EEDaS1P_S1Q_EUlS1P_E_NS1_11comp_targetILNS1_3genE8ELNS1_11target_archE1030ELNS1_3gpuE2ELNS1_3repE0EEENS1_30default_config_static_selectorELNS0_4arch9wavefront6targetE0EEEvS12_.num_agpr, 0
	.set _ZN7rocprim17ROCPRIM_400000_NS6detail17trampoline_kernelINS0_13select_configILj256ELj13ELNS0_17block_load_methodE3ELS4_3ELS4_3ELNS0_20block_scan_algorithmE0ELj4294967295EEENS1_25partition_config_selectorILNS1_17partition_subalgoE4EjNS0_10empty_typeEbEEZZNS1_14partition_implILS8_4ELb0ES6_15HIP_vector_typeIjLj2EENS0_17counting_iteratorIjlEEPS9_SG_NS0_5tupleIJPjSI_NS0_16reverse_iteratorISI_EEEEENSH_IJSG_SG_SG_EEES9_SI_JZNS1_25segmented_radix_sort_implINS0_14default_configELb1EPKbPbPKlPlN2at6native12_GLOBAL__N_18offset_tEEE10hipError_tPvRmT1_PNSt15iterator_traitsIS12_E10value_typeET2_T3_PNS13_IS18_E10value_typeET4_jRbjT5_S1E_jjP12ihipStream_tbEUljE_ZNSN_ISO_Lb1ESQ_SR_ST_SU_SY_EESZ_S10_S11_S12_S16_S17_S18_S1B_S1C_jS1D_jS1E_S1E_jjS1G_bEUljE0_EEESZ_S10_S11_S18_S1C_S1E_T6_T7_T9_mT8_S1G_bDpT10_ENKUlT_T0_E_clISt17integral_constantIbLb0EES1U_EEDaS1P_S1Q_EUlS1P_E_NS1_11comp_targetILNS1_3genE8ELNS1_11target_archE1030ELNS1_3gpuE2ELNS1_3repE0EEENS1_30default_config_static_selectorELNS0_4arch9wavefront6targetE0EEEvS12_.numbered_sgpr, 59
	.set _ZN7rocprim17ROCPRIM_400000_NS6detail17trampoline_kernelINS0_13select_configILj256ELj13ELNS0_17block_load_methodE3ELS4_3ELS4_3ELNS0_20block_scan_algorithmE0ELj4294967295EEENS1_25partition_config_selectorILNS1_17partition_subalgoE4EjNS0_10empty_typeEbEEZZNS1_14partition_implILS8_4ELb0ES6_15HIP_vector_typeIjLj2EENS0_17counting_iteratorIjlEEPS9_SG_NS0_5tupleIJPjSI_NS0_16reverse_iteratorISI_EEEEENSH_IJSG_SG_SG_EEES9_SI_JZNS1_25segmented_radix_sort_implINS0_14default_configELb1EPKbPbPKlPlN2at6native12_GLOBAL__N_18offset_tEEE10hipError_tPvRmT1_PNSt15iterator_traitsIS12_E10value_typeET2_T3_PNS13_IS18_E10value_typeET4_jRbjT5_S1E_jjP12ihipStream_tbEUljE_ZNSN_ISO_Lb1ESQ_SR_ST_SU_SY_EESZ_S10_S11_S12_S16_S17_S18_S1B_S1C_jS1D_jS1E_S1E_jjS1G_bEUljE0_EEESZ_S10_S11_S18_S1C_S1E_T6_T7_T9_mT8_S1G_bDpT10_ENKUlT_T0_E_clISt17integral_constantIbLb0EES1U_EEDaS1P_S1Q_EUlS1P_E_NS1_11comp_targetILNS1_3genE8ELNS1_11target_archE1030ELNS1_3gpuE2ELNS1_3repE0EEENS1_30default_config_static_selectorELNS0_4arch9wavefront6targetE0EEEvS12_.num_named_barrier, 0
	.set _ZN7rocprim17ROCPRIM_400000_NS6detail17trampoline_kernelINS0_13select_configILj256ELj13ELNS0_17block_load_methodE3ELS4_3ELS4_3ELNS0_20block_scan_algorithmE0ELj4294967295EEENS1_25partition_config_selectorILNS1_17partition_subalgoE4EjNS0_10empty_typeEbEEZZNS1_14partition_implILS8_4ELb0ES6_15HIP_vector_typeIjLj2EENS0_17counting_iteratorIjlEEPS9_SG_NS0_5tupleIJPjSI_NS0_16reverse_iteratorISI_EEEEENSH_IJSG_SG_SG_EEES9_SI_JZNS1_25segmented_radix_sort_implINS0_14default_configELb1EPKbPbPKlPlN2at6native12_GLOBAL__N_18offset_tEEE10hipError_tPvRmT1_PNSt15iterator_traitsIS12_E10value_typeET2_T3_PNS13_IS18_E10value_typeET4_jRbjT5_S1E_jjP12ihipStream_tbEUljE_ZNSN_ISO_Lb1ESQ_SR_ST_SU_SY_EESZ_S10_S11_S12_S16_S17_S18_S1B_S1C_jS1D_jS1E_S1E_jjS1G_bEUljE0_EEESZ_S10_S11_S18_S1C_S1E_T6_T7_T9_mT8_S1G_bDpT10_ENKUlT_T0_E_clISt17integral_constantIbLb0EES1U_EEDaS1P_S1Q_EUlS1P_E_NS1_11comp_targetILNS1_3genE8ELNS1_11target_archE1030ELNS1_3gpuE2ELNS1_3repE0EEENS1_30default_config_static_selectorELNS0_4arch9wavefront6targetE0EEEvS12_.private_seg_size, 0
	.set _ZN7rocprim17ROCPRIM_400000_NS6detail17trampoline_kernelINS0_13select_configILj256ELj13ELNS0_17block_load_methodE3ELS4_3ELS4_3ELNS0_20block_scan_algorithmE0ELj4294967295EEENS1_25partition_config_selectorILNS1_17partition_subalgoE4EjNS0_10empty_typeEbEEZZNS1_14partition_implILS8_4ELb0ES6_15HIP_vector_typeIjLj2EENS0_17counting_iteratorIjlEEPS9_SG_NS0_5tupleIJPjSI_NS0_16reverse_iteratorISI_EEEEENSH_IJSG_SG_SG_EEES9_SI_JZNS1_25segmented_radix_sort_implINS0_14default_configELb1EPKbPbPKlPlN2at6native12_GLOBAL__N_18offset_tEEE10hipError_tPvRmT1_PNSt15iterator_traitsIS12_E10value_typeET2_T3_PNS13_IS18_E10value_typeET4_jRbjT5_S1E_jjP12ihipStream_tbEUljE_ZNSN_ISO_Lb1ESQ_SR_ST_SU_SY_EESZ_S10_S11_S12_S16_S17_S18_S1B_S1C_jS1D_jS1E_S1E_jjS1G_bEUljE0_EEESZ_S10_S11_S18_S1C_S1E_T6_T7_T9_mT8_S1G_bDpT10_ENKUlT_T0_E_clISt17integral_constantIbLb0EES1U_EEDaS1P_S1Q_EUlS1P_E_NS1_11comp_targetILNS1_3genE8ELNS1_11target_archE1030ELNS1_3gpuE2ELNS1_3repE0EEENS1_30default_config_static_selectorELNS0_4arch9wavefront6targetE0EEEvS12_.uses_vcc, 1
	.set _ZN7rocprim17ROCPRIM_400000_NS6detail17trampoline_kernelINS0_13select_configILj256ELj13ELNS0_17block_load_methodE3ELS4_3ELS4_3ELNS0_20block_scan_algorithmE0ELj4294967295EEENS1_25partition_config_selectorILNS1_17partition_subalgoE4EjNS0_10empty_typeEbEEZZNS1_14partition_implILS8_4ELb0ES6_15HIP_vector_typeIjLj2EENS0_17counting_iteratorIjlEEPS9_SG_NS0_5tupleIJPjSI_NS0_16reverse_iteratorISI_EEEEENSH_IJSG_SG_SG_EEES9_SI_JZNS1_25segmented_radix_sort_implINS0_14default_configELb1EPKbPbPKlPlN2at6native12_GLOBAL__N_18offset_tEEE10hipError_tPvRmT1_PNSt15iterator_traitsIS12_E10value_typeET2_T3_PNS13_IS18_E10value_typeET4_jRbjT5_S1E_jjP12ihipStream_tbEUljE_ZNSN_ISO_Lb1ESQ_SR_ST_SU_SY_EESZ_S10_S11_S12_S16_S17_S18_S1B_S1C_jS1D_jS1E_S1E_jjS1G_bEUljE0_EEESZ_S10_S11_S18_S1C_S1E_T6_T7_T9_mT8_S1G_bDpT10_ENKUlT_T0_E_clISt17integral_constantIbLb0EES1U_EEDaS1P_S1Q_EUlS1P_E_NS1_11comp_targetILNS1_3genE8ELNS1_11target_archE1030ELNS1_3gpuE2ELNS1_3repE0EEENS1_30default_config_static_selectorELNS0_4arch9wavefront6targetE0EEEvS12_.uses_flat_scratch, 0
	.set _ZN7rocprim17ROCPRIM_400000_NS6detail17trampoline_kernelINS0_13select_configILj256ELj13ELNS0_17block_load_methodE3ELS4_3ELS4_3ELNS0_20block_scan_algorithmE0ELj4294967295EEENS1_25partition_config_selectorILNS1_17partition_subalgoE4EjNS0_10empty_typeEbEEZZNS1_14partition_implILS8_4ELb0ES6_15HIP_vector_typeIjLj2EENS0_17counting_iteratorIjlEEPS9_SG_NS0_5tupleIJPjSI_NS0_16reverse_iteratorISI_EEEEENSH_IJSG_SG_SG_EEES9_SI_JZNS1_25segmented_radix_sort_implINS0_14default_configELb1EPKbPbPKlPlN2at6native12_GLOBAL__N_18offset_tEEE10hipError_tPvRmT1_PNSt15iterator_traitsIS12_E10value_typeET2_T3_PNS13_IS18_E10value_typeET4_jRbjT5_S1E_jjP12ihipStream_tbEUljE_ZNSN_ISO_Lb1ESQ_SR_ST_SU_SY_EESZ_S10_S11_S12_S16_S17_S18_S1B_S1C_jS1D_jS1E_S1E_jjS1G_bEUljE0_EEESZ_S10_S11_S18_S1C_S1E_T6_T7_T9_mT8_S1G_bDpT10_ENKUlT_T0_E_clISt17integral_constantIbLb0EES1U_EEDaS1P_S1Q_EUlS1P_E_NS1_11comp_targetILNS1_3genE8ELNS1_11target_archE1030ELNS1_3gpuE2ELNS1_3repE0EEENS1_30default_config_static_selectorELNS0_4arch9wavefront6targetE0EEEvS12_.has_dyn_sized_stack, 0
	.set _ZN7rocprim17ROCPRIM_400000_NS6detail17trampoline_kernelINS0_13select_configILj256ELj13ELNS0_17block_load_methodE3ELS4_3ELS4_3ELNS0_20block_scan_algorithmE0ELj4294967295EEENS1_25partition_config_selectorILNS1_17partition_subalgoE4EjNS0_10empty_typeEbEEZZNS1_14partition_implILS8_4ELb0ES6_15HIP_vector_typeIjLj2EENS0_17counting_iteratorIjlEEPS9_SG_NS0_5tupleIJPjSI_NS0_16reverse_iteratorISI_EEEEENSH_IJSG_SG_SG_EEES9_SI_JZNS1_25segmented_radix_sort_implINS0_14default_configELb1EPKbPbPKlPlN2at6native12_GLOBAL__N_18offset_tEEE10hipError_tPvRmT1_PNSt15iterator_traitsIS12_E10value_typeET2_T3_PNS13_IS18_E10value_typeET4_jRbjT5_S1E_jjP12ihipStream_tbEUljE_ZNSN_ISO_Lb1ESQ_SR_ST_SU_SY_EESZ_S10_S11_S12_S16_S17_S18_S1B_S1C_jS1D_jS1E_S1E_jjS1G_bEUljE0_EEESZ_S10_S11_S18_S1C_S1E_T6_T7_T9_mT8_S1G_bDpT10_ENKUlT_T0_E_clISt17integral_constantIbLb0EES1U_EEDaS1P_S1Q_EUlS1P_E_NS1_11comp_targetILNS1_3genE8ELNS1_11target_archE1030ELNS1_3gpuE2ELNS1_3repE0EEENS1_30default_config_static_selectorELNS0_4arch9wavefront6targetE0EEEvS12_.has_recursion, 0
	.set _ZN7rocprim17ROCPRIM_400000_NS6detail17trampoline_kernelINS0_13select_configILj256ELj13ELNS0_17block_load_methodE3ELS4_3ELS4_3ELNS0_20block_scan_algorithmE0ELj4294967295EEENS1_25partition_config_selectorILNS1_17partition_subalgoE4EjNS0_10empty_typeEbEEZZNS1_14partition_implILS8_4ELb0ES6_15HIP_vector_typeIjLj2EENS0_17counting_iteratorIjlEEPS9_SG_NS0_5tupleIJPjSI_NS0_16reverse_iteratorISI_EEEEENSH_IJSG_SG_SG_EEES9_SI_JZNS1_25segmented_radix_sort_implINS0_14default_configELb1EPKbPbPKlPlN2at6native12_GLOBAL__N_18offset_tEEE10hipError_tPvRmT1_PNSt15iterator_traitsIS12_E10value_typeET2_T3_PNS13_IS18_E10value_typeET4_jRbjT5_S1E_jjP12ihipStream_tbEUljE_ZNSN_ISO_Lb1ESQ_SR_ST_SU_SY_EESZ_S10_S11_S12_S16_S17_S18_S1B_S1C_jS1D_jS1E_S1E_jjS1G_bEUljE0_EEESZ_S10_S11_S18_S1C_S1E_T6_T7_T9_mT8_S1G_bDpT10_ENKUlT_T0_E_clISt17integral_constantIbLb0EES1U_EEDaS1P_S1Q_EUlS1P_E_NS1_11comp_targetILNS1_3genE8ELNS1_11target_archE1030ELNS1_3gpuE2ELNS1_3repE0EEENS1_30default_config_static_selectorELNS0_4arch9wavefront6targetE0EEEvS12_.has_indirect_call, 0
	.section	.AMDGPU.csdata,"",@progbits
; Kernel info:
; codeLenInByte = 16236
; TotalNumSgprs: 61
; NumVgprs: 82
; ScratchSize: 0
; MemoryBound: 0
; FloatMode: 240
; IeeeMode: 1
; LDSByteSize: 13328 bytes/workgroup (compile time only)
; SGPRBlocks: 0
; VGPRBlocks: 10
; NumSGPRsForWavesPerEU: 61
; NumVGPRsForWavesPerEU: 82
; Occupancy: 10
; WaveLimiterHint : 1
; COMPUTE_PGM_RSRC2:SCRATCH_EN: 0
; COMPUTE_PGM_RSRC2:USER_SGPR: 6
; COMPUTE_PGM_RSRC2:TRAP_HANDLER: 0
; COMPUTE_PGM_RSRC2:TGID_X_EN: 1
; COMPUTE_PGM_RSRC2:TGID_Y_EN: 0
; COMPUTE_PGM_RSRC2:TGID_Z_EN: 0
; COMPUTE_PGM_RSRC2:TIDIG_COMP_CNT: 0
	.section	.text._ZN7rocprim17ROCPRIM_400000_NS6detail17trampoline_kernelINS0_13select_configILj256ELj13ELNS0_17block_load_methodE3ELS4_3ELS4_3ELNS0_20block_scan_algorithmE0ELj4294967295EEENS1_25partition_config_selectorILNS1_17partition_subalgoE4EjNS0_10empty_typeEbEEZZNS1_14partition_implILS8_4ELb0ES6_15HIP_vector_typeIjLj2EENS0_17counting_iteratorIjlEEPS9_SG_NS0_5tupleIJPjSI_NS0_16reverse_iteratorISI_EEEEENSH_IJSG_SG_SG_EEES9_SI_JZNS1_25segmented_radix_sort_implINS0_14default_configELb1EPKbPbPKlPlN2at6native12_GLOBAL__N_18offset_tEEE10hipError_tPvRmT1_PNSt15iterator_traitsIS12_E10value_typeET2_T3_PNS13_IS18_E10value_typeET4_jRbjT5_S1E_jjP12ihipStream_tbEUljE_ZNSN_ISO_Lb1ESQ_SR_ST_SU_SY_EESZ_S10_S11_S12_S16_S17_S18_S1B_S1C_jS1D_jS1E_S1E_jjS1G_bEUljE0_EEESZ_S10_S11_S18_S1C_S1E_T6_T7_T9_mT8_S1G_bDpT10_ENKUlT_T0_E_clISt17integral_constantIbLb1EES1U_EEDaS1P_S1Q_EUlS1P_E_NS1_11comp_targetILNS1_3genE0ELNS1_11target_archE4294967295ELNS1_3gpuE0ELNS1_3repE0EEENS1_30default_config_static_selectorELNS0_4arch9wavefront6targetE0EEEvS12_,"axG",@progbits,_ZN7rocprim17ROCPRIM_400000_NS6detail17trampoline_kernelINS0_13select_configILj256ELj13ELNS0_17block_load_methodE3ELS4_3ELS4_3ELNS0_20block_scan_algorithmE0ELj4294967295EEENS1_25partition_config_selectorILNS1_17partition_subalgoE4EjNS0_10empty_typeEbEEZZNS1_14partition_implILS8_4ELb0ES6_15HIP_vector_typeIjLj2EENS0_17counting_iteratorIjlEEPS9_SG_NS0_5tupleIJPjSI_NS0_16reverse_iteratorISI_EEEEENSH_IJSG_SG_SG_EEES9_SI_JZNS1_25segmented_radix_sort_implINS0_14default_configELb1EPKbPbPKlPlN2at6native12_GLOBAL__N_18offset_tEEE10hipError_tPvRmT1_PNSt15iterator_traitsIS12_E10value_typeET2_T3_PNS13_IS18_E10value_typeET4_jRbjT5_S1E_jjP12ihipStream_tbEUljE_ZNSN_ISO_Lb1ESQ_SR_ST_SU_SY_EESZ_S10_S11_S12_S16_S17_S18_S1B_S1C_jS1D_jS1E_S1E_jjS1G_bEUljE0_EEESZ_S10_S11_S18_S1C_S1E_T6_T7_T9_mT8_S1G_bDpT10_ENKUlT_T0_E_clISt17integral_constantIbLb1EES1U_EEDaS1P_S1Q_EUlS1P_E_NS1_11comp_targetILNS1_3genE0ELNS1_11target_archE4294967295ELNS1_3gpuE0ELNS1_3repE0EEENS1_30default_config_static_selectorELNS0_4arch9wavefront6targetE0EEEvS12_,comdat
	.globl	_ZN7rocprim17ROCPRIM_400000_NS6detail17trampoline_kernelINS0_13select_configILj256ELj13ELNS0_17block_load_methodE3ELS4_3ELS4_3ELNS0_20block_scan_algorithmE0ELj4294967295EEENS1_25partition_config_selectorILNS1_17partition_subalgoE4EjNS0_10empty_typeEbEEZZNS1_14partition_implILS8_4ELb0ES6_15HIP_vector_typeIjLj2EENS0_17counting_iteratorIjlEEPS9_SG_NS0_5tupleIJPjSI_NS0_16reverse_iteratorISI_EEEEENSH_IJSG_SG_SG_EEES9_SI_JZNS1_25segmented_radix_sort_implINS0_14default_configELb1EPKbPbPKlPlN2at6native12_GLOBAL__N_18offset_tEEE10hipError_tPvRmT1_PNSt15iterator_traitsIS12_E10value_typeET2_T3_PNS13_IS18_E10value_typeET4_jRbjT5_S1E_jjP12ihipStream_tbEUljE_ZNSN_ISO_Lb1ESQ_SR_ST_SU_SY_EESZ_S10_S11_S12_S16_S17_S18_S1B_S1C_jS1D_jS1E_S1E_jjS1G_bEUljE0_EEESZ_S10_S11_S18_S1C_S1E_T6_T7_T9_mT8_S1G_bDpT10_ENKUlT_T0_E_clISt17integral_constantIbLb1EES1U_EEDaS1P_S1Q_EUlS1P_E_NS1_11comp_targetILNS1_3genE0ELNS1_11target_archE4294967295ELNS1_3gpuE0ELNS1_3repE0EEENS1_30default_config_static_selectorELNS0_4arch9wavefront6targetE0EEEvS12_ ; -- Begin function _ZN7rocprim17ROCPRIM_400000_NS6detail17trampoline_kernelINS0_13select_configILj256ELj13ELNS0_17block_load_methodE3ELS4_3ELS4_3ELNS0_20block_scan_algorithmE0ELj4294967295EEENS1_25partition_config_selectorILNS1_17partition_subalgoE4EjNS0_10empty_typeEbEEZZNS1_14partition_implILS8_4ELb0ES6_15HIP_vector_typeIjLj2EENS0_17counting_iteratorIjlEEPS9_SG_NS0_5tupleIJPjSI_NS0_16reverse_iteratorISI_EEEEENSH_IJSG_SG_SG_EEES9_SI_JZNS1_25segmented_radix_sort_implINS0_14default_configELb1EPKbPbPKlPlN2at6native12_GLOBAL__N_18offset_tEEE10hipError_tPvRmT1_PNSt15iterator_traitsIS12_E10value_typeET2_T3_PNS13_IS18_E10value_typeET4_jRbjT5_S1E_jjP12ihipStream_tbEUljE_ZNSN_ISO_Lb1ESQ_SR_ST_SU_SY_EESZ_S10_S11_S12_S16_S17_S18_S1B_S1C_jS1D_jS1E_S1E_jjS1G_bEUljE0_EEESZ_S10_S11_S18_S1C_S1E_T6_T7_T9_mT8_S1G_bDpT10_ENKUlT_T0_E_clISt17integral_constantIbLb1EES1U_EEDaS1P_S1Q_EUlS1P_E_NS1_11comp_targetILNS1_3genE0ELNS1_11target_archE4294967295ELNS1_3gpuE0ELNS1_3repE0EEENS1_30default_config_static_selectorELNS0_4arch9wavefront6targetE0EEEvS12_
	.p2align	8
	.type	_ZN7rocprim17ROCPRIM_400000_NS6detail17trampoline_kernelINS0_13select_configILj256ELj13ELNS0_17block_load_methodE3ELS4_3ELS4_3ELNS0_20block_scan_algorithmE0ELj4294967295EEENS1_25partition_config_selectorILNS1_17partition_subalgoE4EjNS0_10empty_typeEbEEZZNS1_14partition_implILS8_4ELb0ES6_15HIP_vector_typeIjLj2EENS0_17counting_iteratorIjlEEPS9_SG_NS0_5tupleIJPjSI_NS0_16reverse_iteratorISI_EEEEENSH_IJSG_SG_SG_EEES9_SI_JZNS1_25segmented_radix_sort_implINS0_14default_configELb1EPKbPbPKlPlN2at6native12_GLOBAL__N_18offset_tEEE10hipError_tPvRmT1_PNSt15iterator_traitsIS12_E10value_typeET2_T3_PNS13_IS18_E10value_typeET4_jRbjT5_S1E_jjP12ihipStream_tbEUljE_ZNSN_ISO_Lb1ESQ_SR_ST_SU_SY_EESZ_S10_S11_S12_S16_S17_S18_S1B_S1C_jS1D_jS1E_S1E_jjS1G_bEUljE0_EEESZ_S10_S11_S18_S1C_S1E_T6_T7_T9_mT8_S1G_bDpT10_ENKUlT_T0_E_clISt17integral_constantIbLb1EES1U_EEDaS1P_S1Q_EUlS1P_E_NS1_11comp_targetILNS1_3genE0ELNS1_11target_archE4294967295ELNS1_3gpuE0ELNS1_3repE0EEENS1_30default_config_static_selectorELNS0_4arch9wavefront6targetE0EEEvS12_,@function
_ZN7rocprim17ROCPRIM_400000_NS6detail17trampoline_kernelINS0_13select_configILj256ELj13ELNS0_17block_load_methodE3ELS4_3ELS4_3ELNS0_20block_scan_algorithmE0ELj4294967295EEENS1_25partition_config_selectorILNS1_17partition_subalgoE4EjNS0_10empty_typeEbEEZZNS1_14partition_implILS8_4ELb0ES6_15HIP_vector_typeIjLj2EENS0_17counting_iteratorIjlEEPS9_SG_NS0_5tupleIJPjSI_NS0_16reverse_iteratorISI_EEEEENSH_IJSG_SG_SG_EEES9_SI_JZNS1_25segmented_radix_sort_implINS0_14default_configELb1EPKbPbPKlPlN2at6native12_GLOBAL__N_18offset_tEEE10hipError_tPvRmT1_PNSt15iterator_traitsIS12_E10value_typeET2_T3_PNS13_IS18_E10value_typeET4_jRbjT5_S1E_jjP12ihipStream_tbEUljE_ZNSN_ISO_Lb1ESQ_SR_ST_SU_SY_EESZ_S10_S11_S12_S16_S17_S18_S1B_S1C_jS1D_jS1E_S1E_jjS1G_bEUljE0_EEESZ_S10_S11_S18_S1C_S1E_T6_T7_T9_mT8_S1G_bDpT10_ENKUlT_T0_E_clISt17integral_constantIbLb1EES1U_EEDaS1P_S1Q_EUlS1P_E_NS1_11comp_targetILNS1_3genE0ELNS1_11target_archE4294967295ELNS1_3gpuE0ELNS1_3repE0EEENS1_30default_config_static_selectorELNS0_4arch9wavefront6targetE0EEEvS12_: ; @_ZN7rocprim17ROCPRIM_400000_NS6detail17trampoline_kernelINS0_13select_configILj256ELj13ELNS0_17block_load_methodE3ELS4_3ELS4_3ELNS0_20block_scan_algorithmE0ELj4294967295EEENS1_25partition_config_selectorILNS1_17partition_subalgoE4EjNS0_10empty_typeEbEEZZNS1_14partition_implILS8_4ELb0ES6_15HIP_vector_typeIjLj2EENS0_17counting_iteratorIjlEEPS9_SG_NS0_5tupleIJPjSI_NS0_16reverse_iteratorISI_EEEEENSH_IJSG_SG_SG_EEES9_SI_JZNS1_25segmented_radix_sort_implINS0_14default_configELb1EPKbPbPKlPlN2at6native12_GLOBAL__N_18offset_tEEE10hipError_tPvRmT1_PNSt15iterator_traitsIS12_E10value_typeET2_T3_PNS13_IS18_E10value_typeET4_jRbjT5_S1E_jjP12ihipStream_tbEUljE_ZNSN_ISO_Lb1ESQ_SR_ST_SU_SY_EESZ_S10_S11_S12_S16_S17_S18_S1B_S1C_jS1D_jS1E_S1E_jjS1G_bEUljE0_EEESZ_S10_S11_S18_S1C_S1E_T6_T7_T9_mT8_S1G_bDpT10_ENKUlT_T0_E_clISt17integral_constantIbLb1EES1U_EEDaS1P_S1Q_EUlS1P_E_NS1_11comp_targetILNS1_3genE0ELNS1_11target_archE4294967295ELNS1_3gpuE0ELNS1_3repE0EEENS1_30default_config_static_selectorELNS0_4arch9wavefront6targetE0EEEvS12_
; %bb.0:
	.section	.rodata,"a",@progbits
	.p2align	6, 0x0
	.amdhsa_kernel _ZN7rocprim17ROCPRIM_400000_NS6detail17trampoline_kernelINS0_13select_configILj256ELj13ELNS0_17block_load_methodE3ELS4_3ELS4_3ELNS0_20block_scan_algorithmE0ELj4294967295EEENS1_25partition_config_selectorILNS1_17partition_subalgoE4EjNS0_10empty_typeEbEEZZNS1_14partition_implILS8_4ELb0ES6_15HIP_vector_typeIjLj2EENS0_17counting_iteratorIjlEEPS9_SG_NS0_5tupleIJPjSI_NS0_16reverse_iteratorISI_EEEEENSH_IJSG_SG_SG_EEES9_SI_JZNS1_25segmented_radix_sort_implINS0_14default_configELb1EPKbPbPKlPlN2at6native12_GLOBAL__N_18offset_tEEE10hipError_tPvRmT1_PNSt15iterator_traitsIS12_E10value_typeET2_T3_PNS13_IS18_E10value_typeET4_jRbjT5_S1E_jjP12ihipStream_tbEUljE_ZNSN_ISO_Lb1ESQ_SR_ST_SU_SY_EESZ_S10_S11_S12_S16_S17_S18_S1B_S1C_jS1D_jS1E_S1E_jjS1G_bEUljE0_EEESZ_S10_S11_S18_S1C_S1E_T6_T7_T9_mT8_S1G_bDpT10_ENKUlT_T0_E_clISt17integral_constantIbLb1EES1U_EEDaS1P_S1Q_EUlS1P_E_NS1_11comp_targetILNS1_3genE0ELNS1_11target_archE4294967295ELNS1_3gpuE0ELNS1_3repE0EEENS1_30default_config_static_selectorELNS0_4arch9wavefront6targetE0EEEvS12_
		.amdhsa_group_segment_fixed_size 0
		.amdhsa_private_segment_fixed_size 0
		.amdhsa_kernarg_size 184
		.amdhsa_user_sgpr_count 6
		.amdhsa_user_sgpr_private_segment_buffer 1
		.amdhsa_user_sgpr_dispatch_ptr 0
		.amdhsa_user_sgpr_queue_ptr 0
		.amdhsa_user_sgpr_kernarg_segment_ptr 1
		.amdhsa_user_sgpr_dispatch_id 0
		.amdhsa_user_sgpr_flat_scratch_init 0
		.amdhsa_user_sgpr_private_segment_size 0
		.amdhsa_wavefront_size32 1
		.amdhsa_uses_dynamic_stack 0
		.amdhsa_system_sgpr_private_segment_wavefront_offset 0
		.amdhsa_system_sgpr_workgroup_id_x 1
		.amdhsa_system_sgpr_workgroup_id_y 0
		.amdhsa_system_sgpr_workgroup_id_z 0
		.amdhsa_system_sgpr_workgroup_info 0
		.amdhsa_system_vgpr_workitem_id 0
		.amdhsa_next_free_vgpr 1
		.amdhsa_next_free_sgpr 1
		.amdhsa_reserve_vcc 0
		.amdhsa_reserve_flat_scratch 0
		.amdhsa_float_round_mode_32 0
		.amdhsa_float_round_mode_16_64 0
		.amdhsa_float_denorm_mode_32 3
		.amdhsa_float_denorm_mode_16_64 3
		.amdhsa_dx10_clamp 1
		.amdhsa_ieee_mode 1
		.amdhsa_fp16_overflow 0
		.amdhsa_workgroup_processor_mode 1
		.amdhsa_memory_ordered 1
		.amdhsa_forward_progress 1
		.amdhsa_shared_vgpr_count 0
		.amdhsa_exception_fp_ieee_invalid_op 0
		.amdhsa_exception_fp_denorm_src 0
		.amdhsa_exception_fp_ieee_div_zero 0
		.amdhsa_exception_fp_ieee_overflow 0
		.amdhsa_exception_fp_ieee_underflow 0
		.amdhsa_exception_fp_ieee_inexact 0
		.amdhsa_exception_int_div_zero 0
	.end_amdhsa_kernel
	.section	.text._ZN7rocprim17ROCPRIM_400000_NS6detail17trampoline_kernelINS0_13select_configILj256ELj13ELNS0_17block_load_methodE3ELS4_3ELS4_3ELNS0_20block_scan_algorithmE0ELj4294967295EEENS1_25partition_config_selectorILNS1_17partition_subalgoE4EjNS0_10empty_typeEbEEZZNS1_14partition_implILS8_4ELb0ES6_15HIP_vector_typeIjLj2EENS0_17counting_iteratorIjlEEPS9_SG_NS0_5tupleIJPjSI_NS0_16reverse_iteratorISI_EEEEENSH_IJSG_SG_SG_EEES9_SI_JZNS1_25segmented_radix_sort_implINS0_14default_configELb1EPKbPbPKlPlN2at6native12_GLOBAL__N_18offset_tEEE10hipError_tPvRmT1_PNSt15iterator_traitsIS12_E10value_typeET2_T3_PNS13_IS18_E10value_typeET4_jRbjT5_S1E_jjP12ihipStream_tbEUljE_ZNSN_ISO_Lb1ESQ_SR_ST_SU_SY_EESZ_S10_S11_S12_S16_S17_S18_S1B_S1C_jS1D_jS1E_S1E_jjS1G_bEUljE0_EEESZ_S10_S11_S18_S1C_S1E_T6_T7_T9_mT8_S1G_bDpT10_ENKUlT_T0_E_clISt17integral_constantIbLb1EES1U_EEDaS1P_S1Q_EUlS1P_E_NS1_11comp_targetILNS1_3genE0ELNS1_11target_archE4294967295ELNS1_3gpuE0ELNS1_3repE0EEENS1_30default_config_static_selectorELNS0_4arch9wavefront6targetE0EEEvS12_,"axG",@progbits,_ZN7rocprim17ROCPRIM_400000_NS6detail17trampoline_kernelINS0_13select_configILj256ELj13ELNS0_17block_load_methodE3ELS4_3ELS4_3ELNS0_20block_scan_algorithmE0ELj4294967295EEENS1_25partition_config_selectorILNS1_17partition_subalgoE4EjNS0_10empty_typeEbEEZZNS1_14partition_implILS8_4ELb0ES6_15HIP_vector_typeIjLj2EENS0_17counting_iteratorIjlEEPS9_SG_NS0_5tupleIJPjSI_NS0_16reverse_iteratorISI_EEEEENSH_IJSG_SG_SG_EEES9_SI_JZNS1_25segmented_radix_sort_implINS0_14default_configELb1EPKbPbPKlPlN2at6native12_GLOBAL__N_18offset_tEEE10hipError_tPvRmT1_PNSt15iterator_traitsIS12_E10value_typeET2_T3_PNS13_IS18_E10value_typeET4_jRbjT5_S1E_jjP12ihipStream_tbEUljE_ZNSN_ISO_Lb1ESQ_SR_ST_SU_SY_EESZ_S10_S11_S12_S16_S17_S18_S1B_S1C_jS1D_jS1E_S1E_jjS1G_bEUljE0_EEESZ_S10_S11_S18_S1C_S1E_T6_T7_T9_mT8_S1G_bDpT10_ENKUlT_T0_E_clISt17integral_constantIbLb1EES1U_EEDaS1P_S1Q_EUlS1P_E_NS1_11comp_targetILNS1_3genE0ELNS1_11target_archE4294967295ELNS1_3gpuE0ELNS1_3repE0EEENS1_30default_config_static_selectorELNS0_4arch9wavefront6targetE0EEEvS12_,comdat
.Lfunc_end1468:
	.size	_ZN7rocprim17ROCPRIM_400000_NS6detail17trampoline_kernelINS0_13select_configILj256ELj13ELNS0_17block_load_methodE3ELS4_3ELS4_3ELNS0_20block_scan_algorithmE0ELj4294967295EEENS1_25partition_config_selectorILNS1_17partition_subalgoE4EjNS0_10empty_typeEbEEZZNS1_14partition_implILS8_4ELb0ES6_15HIP_vector_typeIjLj2EENS0_17counting_iteratorIjlEEPS9_SG_NS0_5tupleIJPjSI_NS0_16reverse_iteratorISI_EEEEENSH_IJSG_SG_SG_EEES9_SI_JZNS1_25segmented_radix_sort_implINS0_14default_configELb1EPKbPbPKlPlN2at6native12_GLOBAL__N_18offset_tEEE10hipError_tPvRmT1_PNSt15iterator_traitsIS12_E10value_typeET2_T3_PNS13_IS18_E10value_typeET4_jRbjT5_S1E_jjP12ihipStream_tbEUljE_ZNSN_ISO_Lb1ESQ_SR_ST_SU_SY_EESZ_S10_S11_S12_S16_S17_S18_S1B_S1C_jS1D_jS1E_S1E_jjS1G_bEUljE0_EEESZ_S10_S11_S18_S1C_S1E_T6_T7_T9_mT8_S1G_bDpT10_ENKUlT_T0_E_clISt17integral_constantIbLb1EES1U_EEDaS1P_S1Q_EUlS1P_E_NS1_11comp_targetILNS1_3genE0ELNS1_11target_archE4294967295ELNS1_3gpuE0ELNS1_3repE0EEENS1_30default_config_static_selectorELNS0_4arch9wavefront6targetE0EEEvS12_, .Lfunc_end1468-_ZN7rocprim17ROCPRIM_400000_NS6detail17trampoline_kernelINS0_13select_configILj256ELj13ELNS0_17block_load_methodE3ELS4_3ELS4_3ELNS0_20block_scan_algorithmE0ELj4294967295EEENS1_25partition_config_selectorILNS1_17partition_subalgoE4EjNS0_10empty_typeEbEEZZNS1_14partition_implILS8_4ELb0ES6_15HIP_vector_typeIjLj2EENS0_17counting_iteratorIjlEEPS9_SG_NS0_5tupleIJPjSI_NS0_16reverse_iteratorISI_EEEEENSH_IJSG_SG_SG_EEES9_SI_JZNS1_25segmented_radix_sort_implINS0_14default_configELb1EPKbPbPKlPlN2at6native12_GLOBAL__N_18offset_tEEE10hipError_tPvRmT1_PNSt15iterator_traitsIS12_E10value_typeET2_T3_PNS13_IS18_E10value_typeET4_jRbjT5_S1E_jjP12ihipStream_tbEUljE_ZNSN_ISO_Lb1ESQ_SR_ST_SU_SY_EESZ_S10_S11_S12_S16_S17_S18_S1B_S1C_jS1D_jS1E_S1E_jjS1G_bEUljE0_EEESZ_S10_S11_S18_S1C_S1E_T6_T7_T9_mT8_S1G_bDpT10_ENKUlT_T0_E_clISt17integral_constantIbLb1EES1U_EEDaS1P_S1Q_EUlS1P_E_NS1_11comp_targetILNS1_3genE0ELNS1_11target_archE4294967295ELNS1_3gpuE0ELNS1_3repE0EEENS1_30default_config_static_selectorELNS0_4arch9wavefront6targetE0EEEvS12_
                                        ; -- End function
	.set _ZN7rocprim17ROCPRIM_400000_NS6detail17trampoline_kernelINS0_13select_configILj256ELj13ELNS0_17block_load_methodE3ELS4_3ELS4_3ELNS0_20block_scan_algorithmE0ELj4294967295EEENS1_25partition_config_selectorILNS1_17partition_subalgoE4EjNS0_10empty_typeEbEEZZNS1_14partition_implILS8_4ELb0ES6_15HIP_vector_typeIjLj2EENS0_17counting_iteratorIjlEEPS9_SG_NS0_5tupleIJPjSI_NS0_16reverse_iteratorISI_EEEEENSH_IJSG_SG_SG_EEES9_SI_JZNS1_25segmented_radix_sort_implINS0_14default_configELb1EPKbPbPKlPlN2at6native12_GLOBAL__N_18offset_tEEE10hipError_tPvRmT1_PNSt15iterator_traitsIS12_E10value_typeET2_T3_PNS13_IS18_E10value_typeET4_jRbjT5_S1E_jjP12ihipStream_tbEUljE_ZNSN_ISO_Lb1ESQ_SR_ST_SU_SY_EESZ_S10_S11_S12_S16_S17_S18_S1B_S1C_jS1D_jS1E_S1E_jjS1G_bEUljE0_EEESZ_S10_S11_S18_S1C_S1E_T6_T7_T9_mT8_S1G_bDpT10_ENKUlT_T0_E_clISt17integral_constantIbLb1EES1U_EEDaS1P_S1Q_EUlS1P_E_NS1_11comp_targetILNS1_3genE0ELNS1_11target_archE4294967295ELNS1_3gpuE0ELNS1_3repE0EEENS1_30default_config_static_selectorELNS0_4arch9wavefront6targetE0EEEvS12_.num_vgpr, 0
	.set _ZN7rocprim17ROCPRIM_400000_NS6detail17trampoline_kernelINS0_13select_configILj256ELj13ELNS0_17block_load_methodE3ELS4_3ELS4_3ELNS0_20block_scan_algorithmE0ELj4294967295EEENS1_25partition_config_selectorILNS1_17partition_subalgoE4EjNS0_10empty_typeEbEEZZNS1_14partition_implILS8_4ELb0ES6_15HIP_vector_typeIjLj2EENS0_17counting_iteratorIjlEEPS9_SG_NS0_5tupleIJPjSI_NS0_16reverse_iteratorISI_EEEEENSH_IJSG_SG_SG_EEES9_SI_JZNS1_25segmented_radix_sort_implINS0_14default_configELb1EPKbPbPKlPlN2at6native12_GLOBAL__N_18offset_tEEE10hipError_tPvRmT1_PNSt15iterator_traitsIS12_E10value_typeET2_T3_PNS13_IS18_E10value_typeET4_jRbjT5_S1E_jjP12ihipStream_tbEUljE_ZNSN_ISO_Lb1ESQ_SR_ST_SU_SY_EESZ_S10_S11_S12_S16_S17_S18_S1B_S1C_jS1D_jS1E_S1E_jjS1G_bEUljE0_EEESZ_S10_S11_S18_S1C_S1E_T6_T7_T9_mT8_S1G_bDpT10_ENKUlT_T0_E_clISt17integral_constantIbLb1EES1U_EEDaS1P_S1Q_EUlS1P_E_NS1_11comp_targetILNS1_3genE0ELNS1_11target_archE4294967295ELNS1_3gpuE0ELNS1_3repE0EEENS1_30default_config_static_selectorELNS0_4arch9wavefront6targetE0EEEvS12_.num_agpr, 0
	.set _ZN7rocprim17ROCPRIM_400000_NS6detail17trampoline_kernelINS0_13select_configILj256ELj13ELNS0_17block_load_methodE3ELS4_3ELS4_3ELNS0_20block_scan_algorithmE0ELj4294967295EEENS1_25partition_config_selectorILNS1_17partition_subalgoE4EjNS0_10empty_typeEbEEZZNS1_14partition_implILS8_4ELb0ES6_15HIP_vector_typeIjLj2EENS0_17counting_iteratorIjlEEPS9_SG_NS0_5tupleIJPjSI_NS0_16reverse_iteratorISI_EEEEENSH_IJSG_SG_SG_EEES9_SI_JZNS1_25segmented_radix_sort_implINS0_14default_configELb1EPKbPbPKlPlN2at6native12_GLOBAL__N_18offset_tEEE10hipError_tPvRmT1_PNSt15iterator_traitsIS12_E10value_typeET2_T3_PNS13_IS18_E10value_typeET4_jRbjT5_S1E_jjP12ihipStream_tbEUljE_ZNSN_ISO_Lb1ESQ_SR_ST_SU_SY_EESZ_S10_S11_S12_S16_S17_S18_S1B_S1C_jS1D_jS1E_S1E_jjS1G_bEUljE0_EEESZ_S10_S11_S18_S1C_S1E_T6_T7_T9_mT8_S1G_bDpT10_ENKUlT_T0_E_clISt17integral_constantIbLb1EES1U_EEDaS1P_S1Q_EUlS1P_E_NS1_11comp_targetILNS1_3genE0ELNS1_11target_archE4294967295ELNS1_3gpuE0ELNS1_3repE0EEENS1_30default_config_static_selectorELNS0_4arch9wavefront6targetE0EEEvS12_.numbered_sgpr, 0
	.set _ZN7rocprim17ROCPRIM_400000_NS6detail17trampoline_kernelINS0_13select_configILj256ELj13ELNS0_17block_load_methodE3ELS4_3ELS4_3ELNS0_20block_scan_algorithmE0ELj4294967295EEENS1_25partition_config_selectorILNS1_17partition_subalgoE4EjNS0_10empty_typeEbEEZZNS1_14partition_implILS8_4ELb0ES6_15HIP_vector_typeIjLj2EENS0_17counting_iteratorIjlEEPS9_SG_NS0_5tupleIJPjSI_NS0_16reverse_iteratorISI_EEEEENSH_IJSG_SG_SG_EEES9_SI_JZNS1_25segmented_radix_sort_implINS0_14default_configELb1EPKbPbPKlPlN2at6native12_GLOBAL__N_18offset_tEEE10hipError_tPvRmT1_PNSt15iterator_traitsIS12_E10value_typeET2_T3_PNS13_IS18_E10value_typeET4_jRbjT5_S1E_jjP12ihipStream_tbEUljE_ZNSN_ISO_Lb1ESQ_SR_ST_SU_SY_EESZ_S10_S11_S12_S16_S17_S18_S1B_S1C_jS1D_jS1E_S1E_jjS1G_bEUljE0_EEESZ_S10_S11_S18_S1C_S1E_T6_T7_T9_mT8_S1G_bDpT10_ENKUlT_T0_E_clISt17integral_constantIbLb1EES1U_EEDaS1P_S1Q_EUlS1P_E_NS1_11comp_targetILNS1_3genE0ELNS1_11target_archE4294967295ELNS1_3gpuE0ELNS1_3repE0EEENS1_30default_config_static_selectorELNS0_4arch9wavefront6targetE0EEEvS12_.num_named_barrier, 0
	.set _ZN7rocprim17ROCPRIM_400000_NS6detail17trampoline_kernelINS0_13select_configILj256ELj13ELNS0_17block_load_methodE3ELS4_3ELS4_3ELNS0_20block_scan_algorithmE0ELj4294967295EEENS1_25partition_config_selectorILNS1_17partition_subalgoE4EjNS0_10empty_typeEbEEZZNS1_14partition_implILS8_4ELb0ES6_15HIP_vector_typeIjLj2EENS0_17counting_iteratorIjlEEPS9_SG_NS0_5tupleIJPjSI_NS0_16reverse_iteratorISI_EEEEENSH_IJSG_SG_SG_EEES9_SI_JZNS1_25segmented_radix_sort_implINS0_14default_configELb1EPKbPbPKlPlN2at6native12_GLOBAL__N_18offset_tEEE10hipError_tPvRmT1_PNSt15iterator_traitsIS12_E10value_typeET2_T3_PNS13_IS18_E10value_typeET4_jRbjT5_S1E_jjP12ihipStream_tbEUljE_ZNSN_ISO_Lb1ESQ_SR_ST_SU_SY_EESZ_S10_S11_S12_S16_S17_S18_S1B_S1C_jS1D_jS1E_S1E_jjS1G_bEUljE0_EEESZ_S10_S11_S18_S1C_S1E_T6_T7_T9_mT8_S1G_bDpT10_ENKUlT_T0_E_clISt17integral_constantIbLb1EES1U_EEDaS1P_S1Q_EUlS1P_E_NS1_11comp_targetILNS1_3genE0ELNS1_11target_archE4294967295ELNS1_3gpuE0ELNS1_3repE0EEENS1_30default_config_static_selectorELNS0_4arch9wavefront6targetE0EEEvS12_.private_seg_size, 0
	.set _ZN7rocprim17ROCPRIM_400000_NS6detail17trampoline_kernelINS0_13select_configILj256ELj13ELNS0_17block_load_methodE3ELS4_3ELS4_3ELNS0_20block_scan_algorithmE0ELj4294967295EEENS1_25partition_config_selectorILNS1_17partition_subalgoE4EjNS0_10empty_typeEbEEZZNS1_14partition_implILS8_4ELb0ES6_15HIP_vector_typeIjLj2EENS0_17counting_iteratorIjlEEPS9_SG_NS0_5tupleIJPjSI_NS0_16reverse_iteratorISI_EEEEENSH_IJSG_SG_SG_EEES9_SI_JZNS1_25segmented_radix_sort_implINS0_14default_configELb1EPKbPbPKlPlN2at6native12_GLOBAL__N_18offset_tEEE10hipError_tPvRmT1_PNSt15iterator_traitsIS12_E10value_typeET2_T3_PNS13_IS18_E10value_typeET4_jRbjT5_S1E_jjP12ihipStream_tbEUljE_ZNSN_ISO_Lb1ESQ_SR_ST_SU_SY_EESZ_S10_S11_S12_S16_S17_S18_S1B_S1C_jS1D_jS1E_S1E_jjS1G_bEUljE0_EEESZ_S10_S11_S18_S1C_S1E_T6_T7_T9_mT8_S1G_bDpT10_ENKUlT_T0_E_clISt17integral_constantIbLb1EES1U_EEDaS1P_S1Q_EUlS1P_E_NS1_11comp_targetILNS1_3genE0ELNS1_11target_archE4294967295ELNS1_3gpuE0ELNS1_3repE0EEENS1_30default_config_static_selectorELNS0_4arch9wavefront6targetE0EEEvS12_.uses_vcc, 0
	.set _ZN7rocprim17ROCPRIM_400000_NS6detail17trampoline_kernelINS0_13select_configILj256ELj13ELNS0_17block_load_methodE3ELS4_3ELS4_3ELNS0_20block_scan_algorithmE0ELj4294967295EEENS1_25partition_config_selectorILNS1_17partition_subalgoE4EjNS0_10empty_typeEbEEZZNS1_14partition_implILS8_4ELb0ES6_15HIP_vector_typeIjLj2EENS0_17counting_iteratorIjlEEPS9_SG_NS0_5tupleIJPjSI_NS0_16reverse_iteratorISI_EEEEENSH_IJSG_SG_SG_EEES9_SI_JZNS1_25segmented_radix_sort_implINS0_14default_configELb1EPKbPbPKlPlN2at6native12_GLOBAL__N_18offset_tEEE10hipError_tPvRmT1_PNSt15iterator_traitsIS12_E10value_typeET2_T3_PNS13_IS18_E10value_typeET4_jRbjT5_S1E_jjP12ihipStream_tbEUljE_ZNSN_ISO_Lb1ESQ_SR_ST_SU_SY_EESZ_S10_S11_S12_S16_S17_S18_S1B_S1C_jS1D_jS1E_S1E_jjS1G_bEUljE0_EEESZ_S10_S11_S18_S1C_S1E_T6_T7_T9_mT8_S1G_bDpT10_ENKUlT_T0_E_clISt17integral_constantIbLb1EES1U_EEDaS1P_S1Q_EUlS1P_E_NS1_11comp_targetILNS1_3genE0ELNS1_11target_archE4294967295ELNS1_3gpuE0ELNS1_3repE0EEENS1_30default_config_static_selectorELNS0_4arch9wavefront6targetE0EEEvS12_.uses_flat_scratch, 0
	.set _ZN7rocprim17ROCPRIM_400000_NS6detail17trampoline_kernelINS0_13select_configILj256ELj13ELNS0_17block_load_methodE3ELS4_3ELS4_3ELNS0_20block_scan_algorithmE0ELj4294967295EEENS1_25partition_config_selectorILNS1_17partition_subalgoE4EjNS0_10empty_typeEbEEZZNS1_14partition_implILS8_4ELb0ES6_15HIP_vector_typeIjLj2EENS0_17counting_iteratorIjlEEPS9_SG_NS0_5tupleIJPjSI_NS0_16reverse_iteratorISI_EEEEENSH_IJSG_SG_SG_EEES9_SI_JZNS1_25segmented_radix_sort_implINS0_14default_configELb1EPKbPbPKlPlN2at6native12_GLOBAL__N_18offset_tEEE10hipError_tPvRmT1_PNSt15iterator_traitsIS12_E10value_typeET2_T3_PNS13_IS18_E10value_typeET4_jRbjT5_S1E_jjP12ihipStream_tbEUljE_ZNSN_ISO_Lb1ESQ_SR_ST_SU_SY_EESZ_S10_S11_S12_S16_S17_S18_S1B_S1C_jS1D_jS1E_S1E_jjS1G_bEUljE0_EEESZ_S10_S11_S18_S1C_S1E_T6_T7_T9_mT8_S1G_bDpT10_ENKUlT_T0_E_clISt17integral_constantIbLb1EES1U_EEDaS1P_S1Q_EUlS1P_E_NS1_11comp_targetILNS1_3genE0ELNS1_11target_archE4294967295ELNS1_3gpuE0ELNS1_3repE0EEENS1_30default_config_static_selectorELNS0_4arch9wavefront6targetE0EEEvS12_.has_dyn_sized_stack, 0
	.set _ZN7rocprim17ROCPRIM_400000_NS6detail17trampoline_kernelINS0_13select_configILj256ELj13ELNS0_17block_load_methodE3ELS4_3ELS4_3ELNS0_20block_scan_algorithmE0ELj4294967295EEENS1_25partition_config_selectorILNS1_17partition_subalgoE4EjNS0_10empty_typeEbEEZZNS1_14partition_implILS8_4ELb0ES6_15HIP_vector_typeIjLj2EENS0_17counting_iteratorIjlEEPS9_SG_NS0_5tupleIJPjSI_NS0_16reverse_iteratorISI_EEEEENSH_IJSG_SG_SG_EEES9_SI_JZNS1_25segmented_radix_sort_implINS0_14default_configELb1EPKbPbPKlPlN2at6native12_GLOBAL__N_18offset_tEEE10hipError_tPvRmT1_PNSt15iterator_traitsIS12_E10value_typeET2_T3_PNS13_IS18_E10value_typeET4_jRbjT5_S1E_jjP12ihipStream_tbEUljE_ZNSN_ISO_Lb1ESQ_SR_ST_SU_SY_EESZ_S10_S11_S12_S16_S17_S18_S1B_S1C_jS1D_jS1E_S1E_jjS1G_bEUljE0_EEESZ_S10_S11_S18_S1C_S1E_T6_T7_T9_mT8_S1G_bDpT10_ENKUlT_T0_E_clISt17integral_constantIbLb1EES1U_EEDaS1P_S1Q_EUlS1P_E_NS1_11comp_targetILNS1_3genE0ELNS1_11target_archE4294967295ELNS1_3gpuE0ELNS1_3repE0EEENS1_30default_config_static_selectorELNS0_4arch9wavefront6targetE0EEEvS12_.has_recursion, 0
	.set _ZN7rocprim17ROCPRIM_400000_NS6detail17trampoline_kernelINS0_13select_configILj256ELj13ELNS0_17block_load_methodE3ELS4_3ELS4_3ELNS0_20block_scan_algorithmE0ELj4294967295EEENS1_25partition_config_selectorILNS1_17partition_subalgoE4EjNS0_10empty_typeEbEEZZNS1_14partition_implILS8_4ELb0ES6_15HIP_vector_typeIjLj2EENS0_17counting_iteratorIjlEEPS9_SG_NS0_5tupleIJPjSI_NS0_16reverse_iteratorISI_EEEEENSH_IJSG_SG_SG_EEES9_SI_JZNS1_25segmented_radix_sort_implINS0_14default_configELb1EPKbPbPKlPlN2at6native12_GLOBAL__N_18offset_tEEE10hipError_tPvRmT1_PNSt15iterator_traitsIS12_E10value_typeET2_T3_PNS13_IS18_E10value_typeET4_jRbjT5_S1E_jjP12ihipStream_tbEUljE_ZNSN_ISO_Lb1ESQ_SR_ST_SU_SY_EESZ_S10_S11_S12_S16_S17_S18_S1B_S1C_jS1D_jS1E_S1E_jjS1G_bEUljE0_EEESZ_S10_S11_S18_S1C_S1E_T6_T7_T9_mT8_S1G_bDpT10_ENKUlT_T0_E_clISt17integral_constantIbLb1EES1U_EEDaS1P_S1Q_EUlS1P_E_NS1_11comp_targetILNS1_3genE0ELNS1_11target_archE4294967295ELNS1_3gpuE0ELNS1_3repE0EEENS1_30default_config_static_selectorELNS0_4arch9wavefront6targetE0EEEvS12_.has_indirect_call, 0
	.section	.AMDGPU.csdata,"",@progbits
; Kernel info:
; codeLenInByte = 0
; TotalNumSgprs: 0
; NumVgprs: 0
; ScratchSize: 0
; MemoryBound: 0
; FloatMode: 240
; IeeeMode: 1
; LDSByteSize: 0 bytes/workgroup (compile time only)
; SGPRBlocks: 0
; VGPRBlocks: 0
; NumSGPRsForWavesPerEU: 1
; NumVGPRsForWavesPerEU: 1
; Occupancy: 16
; WaveLimiterHint : 0
; COMPUTE_PGM_RSRC2:SCRATCH_EN: 0
; COMPUTE_PGM_RSRC2:USER_SGPR: 6
; COMPUTE_PGM_RSRC2:TRAP_HANDLER: 0
; COMPUTE_PGM_RSRC2:TGID_X_EN: 1
; COMPUTE_PGM_RSRC2:TGID_Y_EN: 0
; COMPUTE_PGM_RSRC2:TGID_Z_EN: 0
; COMPUTE_PGM_RSRC2:TIDIG_COMP_CNT: 0
	.section	.text._ZN7rocprim17ROCPRIM_400000_NS6detail17trampoline_kernelINS0_13select_configILj256ELj13ELNS0_17block_load_methodE3ELS4_3ELS4_3ELNS0_20block_scan_algorithmE0ELj4294967295EEENS1_25partition_config_selectorILNS1_17partition_subalgoE4EjNS0_10empty_typeEbEEZZNS1_14partition_implILS8_4ELb0ES6_15HIP_vector_typeIjLj2EENS0_17counting_iteratorIjlEEPS9_SG_NS0_5tupleIJPjSI_NS0_16reverse_iteratorISI_EEEEENSH_IJSG_SG_SG_EEES9_SI_JZNS1_25segmented_radix_sort_implINS0_14default_configELb1EPKbPbPKlPlN2at6native12_GLOBAL__N_18offset_tEEE10hipError_tPvRmT1_PNSt15iterator_traitsIS12_E10value_typeET2_T3_PNS13_IS18_E10value_typeET4_jRbjT5_S1E_jjP12ihipStream_tbEUljE_ZNSN_ISO_Lb1ESQ_SR_ST_SU_SY_EESZ_S10_S11_S12_S16_S17_S18_S1B_S1C_jS1D_jS1E_S1E_jjS1G_bEUljE0_EEESZ_S10_S11_S18_S1C_S1E_T6_T7_T9_mT8_S1G_bDpT10_ENKUlT_T0_E_clISt17integral_constantIbLb1EES1U_EEDaS1P_S1Q_EUlS1P_E_NS1_11comp_targetILNS1_3genE5ELNS1_11target_archE942ELNS1_3gpuE9ELNS1_3repE0EEENS1_30default_config_static_selectorELNS0_4arch9wavefront6targetE0EEEvS12_,"axG",@progbits,_ZN7rocprim17ROCPRIM_400000_NS6detail17trampoline_kernelINS0_13select_configILj256ELj13ELNS0_17block_load_methodE3ELS4_3ELS4_3ELNS0_20block_scan_algorithmE0ELj4294967295EEENS1_25partition_config_selectorILNS1_17partition_subalgoE4EjNS0_10empty_typeEbEEZZNS1_14partition_implILS8_4ELb0ES6_15HIP_vector_typeIjLj2EENS0_17counting_iteratorIjlEEPS9_SG_NS0_5tupleIJPjSI_NS0_16reverse_iteratorISI_EEEEENSH_IJSG_SG_SG_EEES9_SI_JZNS1_25segmented_radix_sort_implINS0_14default_configELb1EPKbPbPKlPlN2at6native12_GLOBAL__N_18offset_tEEE10hipError_tPvRmT1_PNSt15iterator_traitsIS12_E10value_typeET2_T3_PNS13_IS18_E10value_typeET4_jRbjT5_S1E_jjP12ihipStream_tbEUljE_ZNSN_ISO_Lb1ESQ_SR_ST_SU_SY_EESZ_S10_S11_S12_S16_S17_S18_S1B_S1C_jS1D_jS1E_S1E_jjS1G_bEUljE0_EEESZ_S10_S11_S18_S1C_S1E_T6_T7_T9_mT8_S1G_bDpT10_ENKUlT_T0_E_clISt17integral_constantIbLb1EES1U_EEDaS1P_S1Q_EUlS1P_E_NS1_11comp_targetILNS1_3genE5ELNS1_11target_archE942ELNS1_3gpuE9ELNS1_3repE0EEENS1_30default_config_static_selectorELNS0_4arch9wavefront6targetE0EEEvS12_,comdat
	.globl	_ZN7rocprim17ROCPRIM_400000_NS6detail17trampoline_kernelINS0_13select_configILj256ELj13ELNS0_17block_load_methodE3ELS4_3ELS4_3ELNS0_20block_scan_algorithmE0ELj4294967295EEENS1_25partition_config_selectorILNS1_17partition_subalgoE4EjNS0_10empty_typeEbEEZZNS1_14partition_implILS8_4ELb0ES6_15HIP_vector_typeIjLj2EENS0_17counting_iteratorIjlEEPS9_SG_NS0_5tupleIJPjSI_NS0_16reverse_iteratorISI_EEEEENSH_IJSG_SG_SG_EEES9_SI_JZNS1_25segmented_radix_sort_implINS0_14default_configELb1EPKbPbPKlPlN2at6native12_GLOBAL__N_18offset_tEEE10hipError_tPvRmT1_PNSt15iterator_traitsIS12_E10value_typeET2_T3_PNS13_IS18_E10value_typeET4_jRbjT5_S1E_jjP12ihipStream_tbEUljE_ZNSN_ISO_Lb1ESQ_SR_ST_SU_SY_EESZ_S10_S11_S12_S16_S17_S18_S1B_S1C_jS1D_jS1E_S1E_jjS1G_bEUljE0_EEESZ_S10_S11_S18_S1C_S1E_T6_T7_T9_mT8_S1G_bDpT10_ENKUlT_T0_E_clISt17integral_constantIbLb1EES1U_EEDaS1P_S1Q_EUlS1P_E_NS1_11comp_targetILNS1_3genE5ELNS1_11target_archE942ELNS1_3gpuE9ELNS1_3repE0EEENS1_30default_config_static_selectorELNS0_4arch9wavefront6targetE0EEEvS12_ ; -- Begin function _ZN7rocprim17ROCPRIM_400000_NS6detail17trampoline_kernelINS0_13select_configILj256ELj13ELNS0_17block_load_methodE3ELS4_3ELS4_3ELNS0_20block_scan_algorithmE0ELj4294967295EEENS1_25partition_config_selectorILNS1_17partition_subalgoE4EjNS0_10empty_typeEbEEZZNS1_14partition_implILS8_4ELb0ES6_15HIP_vector_typeIjLj2EENS0_17counting_iteratorIjlEEPS9_SG_NS0_5tupleIJPjSI_NS0_16reverse_iteratorISI_EEEEENSH_IJSG_SG_SG_EEES9_SI_JZNS1_25segmented_radix_sort_implINS0_14default_configELb1EPKbPbPKlPlN2at6native12_GLOBAL__N_18offset_tEEE10hipError_tPvRmT1_PNSt15iterator_traitsIS12_E10value_typeET2_T3_PNS13_IS18_E10value_typeET4_jRbjT5_S1E_jjP12ihipStream_tbEUljE_ZNSN_ISO_Lb1ESQ_SR_ST_SU_SY_EESZ_S10_S11_S12_S16_S17_S18_S1B_S1C_jS1D_jS1E_S1E_jjS1G_bEUljE0_EEESZ_S10_S11_S18_S1C_S1E_T6_T7_T9_mT8_S1G_bDpT10_ENKUlT_T0_E_clISt17integral_constantIbLb1EES1U_EEDaS1P_S1Q_EUlS1P_E_NS1_11comp_targetILNS1_3genE5ELNS1_11target_archE942ELNS1_3gpuE9ELNS1_3repE0EEENS1_30default_config_static_selectorELNS0_4arch9wavefront6targetE0EEEvS12_
	.p2align	8
	.type	_ZN7rocprim17ROCPRIM_400000_NS6detail17trampoline_kernelINS0_13select_configILj256ELj13ELNS0_17block_load_methodE3ELS4_3ELS4_3ELNS0_20block_scan_algorithmE0ELj4294967295EEENS1_25partition_config_selectorILNS1_17partition_subalgoE4EjNS0_10empty_typeEbEEZZNS1_14partition_implILS8_4ELb0ES6_15HIP_vector_typeIjLj2EENS0_17counting_iteratorIjlEEPS9_SG_NS0_5tupleIJPjSI_NS0_16reverse_iteratorISI_EEEEENSH_IJSG_SG_SG_EEES9_SI_JZNS1_25segmented_radix_sort_implINS0_14default_configELb1EPKbPbPKlPlN2at6native12_GLOBAL__N_18offset_tEEE10hipError_tPvRmT1_PNSt15iterator_traitsIS12_E10value_typeET2_T3_PNS13_IS18_E10value_typeET4_jRbjT5_S1E_jjP12ihipStream_tbEUljE_ZNSN_ISO_Lb1ESQ_SR_ST_SU_SY_EESZ_S10_S11_S12_S16_S17_S18_S1B_S1C_jS1D_jS1E_S1E_jjS1G_bEUljE0_EEESZ_S10_S11_S18_S1C_S1E_T6_T7_T9_mT8_S1G_bDpT10_ENKUlT_T0_E_clISt17integral_constantIbLb1EES1U_EEDaS1P_S1Q_EUlS1P_E_NS1_11comp_targetILNS1_3genE5ELNS1_11target_archE942ELNS1_3gpuE9ELNS1_3repE0EEENS1_30default_config_static_selectorELNS0_4arch9wavefront6targetE0EEEvS12_,@function
_ZN7rocprim17ROCPRIM_400000_NS6detail17trampoline_kernelINS0_13select_configILj256ELj13ELNS0_17block_load_methodE3ELS4_3ELS4_3ELNS0_20block_scan_algorithmE0ELj4294967295EEENS1_25partition_config_selectorILNS1_17partition_subalgoE4EjNS0_10empty_typeEbEEZZNS1_14partition_implILS8_4ELb0ES6_15HIP_vector_typeIjLj2EENS0_17counting_iteratorIjlEEPS9_SG_NS0_5tupleIJPjSI_NS0_16reverse_iteratorISI_EEEEENSH_IJSG_SG_SG_EEES9_SI_JZNS1_25segmented_radix_sort_implINS0_14default_configELb1EPKbPbPKlPlN2at6native12_GLOBAL__N_18offset_tEEE10hipError_tPvRmT1_PNSt15iterator_traitsIS12_E10value_typeET2_T3_PNS13_IS18_E10value_typeET4_jRbjT5_S1E_jjP12ihipStream_tbEUljE_ZNSN_ISO_Lb1ESQ_SR_ST_SU_SY_EESZ_S10_S11_S12_S16_S17_S18_S1B_S1C_jS1D_jS1E_S1E_jjS1G_bEUljE0_EEESZ_S10_S11_S18_S1C_S1E_T6_T7_T9_mT8_S1G_bDpT10_ENKUlT_T0_E_clISt17integral_constantIbLb1EES1U_EEDaS1P_S1Q_EUlS1P_E_NS1_11comp_targetILNS1_3genE5ELNS1_11target_archE942ELNS1_3gpuE9ELNS1_3repE0EEENS1_30default_config_static_selectorELNS0_4arch9wavefront6targetE0EEEvS12_: ; @_ZN7rocprim17ROCPRIM_400000_NS6detail17trampoline_kernelINS0_13select_configILj256ELj13ELNS0_17block_load_methodE3ELS4_3ELS4_3ELNS0_20block_scan_algorithmE0ELj4294967295EEENS1_25partition_config_selectorILNS1_17partition_subalgoE4EjNS0_10empty_typeEbEEZZNS1_14partition_implILS8_4ELb0ES6_15HIP_vector_typeIjLj2EENS0_17counting_iteratorIjlEEPS9_SG_NS0_5tupleIJPjSI_NS0_16reverse_iteratorISI_EEEEENSH_IJSG_SG_SG_EEES9_SI_JZNS1_25segmented_radix_sort_implINS0_14default_configELb1EPKbPbPKlPlN2at6native12_GLOBAL__N_18offset_tEEE10hipError_tPvRmT1_PNSt15iterator_traitsIS12_E10value_typeET2_T3_PNS13_IS18_E10value_typeET4_jRbjT5_S1E_jjP12ihipStream_tbEUljE_ZNSN_ISO_Lb1ESQ_SR_ST_SU_SY_EESZ_S10_S11_S12_S16_S17_S18_S1B_S1C_jS1D_jS1E_S1E_jjS1G_bEUljE0_EEESZ_S10_S11_S18_S1C_S1E_T6_T7_T9_mT8_S1G_bDpT10_ENKUlT_T0_E_clISt17integral_constantIbLb1EES1U_EEDaS1P_S1Q_EUlS1P_E_NS1_11comp_targetILNS1_3genE5ELNS1_11target_archE942ELNS1_3gpuE9ELNS1_3repE0EEENS1_30default_config_static_selectorELNS0_4arch9wavefront6targetE0EEEvS12_
; %bb.0:
	.section	.rodata,"a",@progbits
	.p2align	6, 0x0
	.amdhsa_kernel _ZN7rocprim17ROCPRIM_400000_NS6detail17trampoline_kernelINS0_13select_configILj256ELj13ELNS0_17block_load_methodE3ELS4_3ELS4_3ELNS0_20block_scan_algorithmE0ELj4294967295EEENS1_25partition_config_selectorILNS1_17partition_subalgoE4EjNS0_10empty_typeEbEEZZNS1_14partition_implILS8_4ELb0ES6_15HIP_vector_typeIjLj2EENS0_17counting_iteratorIjlEEPS9_SG_NS0_5tupleIJPjSI_NS0_16reverse_iteratorISI_EEEEENSH_IJSG_SG_SG_EEES9_SI_JZNS1_25segmented_radix_sort_implINS0_14default_configELb1EPKbPbPKlPlN2at6native12_GLOBAL__N_18offset_tEEE10hipError_tPvRmT1_PNSt15iterator_traitsIS12_E10value_typeET2_T3_PNS13_IS18_E10value_typeET4_jRbjT5_S1E_jjP12ihipStream_tbEUljE_ZNSN_ISO_Lb1ESQ_SR_ST_SU_SY_EESZ_S10_S11_S12_S16_S17_S18_S1B_S1C_jS1D_jS1E_S1E_jjS1G_bEUljE0_EEESZ_S10_S11_S18_S1C_S1E_T6_T7_T9_mT8_S1G_bDpT10_ENKUlT_T0_E_clISt17integral_constantIbLb1EES1U_EEDaS1P_S1Q_EUlS1P_E_NS1_11comp_targetILNS1_3genE5ELNS1_11target_archE942ELNS1_3gpuE9ELNS1_3repE0EEENS1_30default_config_static_selectorELNS0_4arch9wavefront6targetE0EEEvS12_
		.amdhsa_group_segment_fixed_size 0
		.amdhsa_private_segment_fixed_size 0
		.amdhsa_kernarg_size 184
		.amdhsa_user_sgpr_count 6
		.amdhsa_user_sgpr_private_segment_buffer 1
		.amdhsa_user_sgpr_dispatch_ptr 0
		.amdhsa_user_sgpr_queue_ptr 0
		.amdhsa_user_sgpr_kernarg_segment_ptr 1
		.amdhsa_user_sgpr_dispatch_id 0
		.amdhsa_user_sgpr_flat_scratch_init 0
		.amdhsa_user_sgpr_private_segment_size 0
		.amdhsa_wavefront_size32 1
		.amdhsa_uses_dynamic_stack 0
		.amdhsa_system_sgpr_private_segment_wavefront_offset 0
		.amdhsa_system_sgpr_workgroup_id_x 1
		.amdhsa_system_sgpr_workgroup_id_y 0
		.amdhsa_system_sgpr_workgroup_id_z 0
		.amdhsa_system_sgpr_workgroup_info 0
		.amdhsa_system_vgpr_workitem_id 0
		.amdhsa_next_free_vgpr 1
		.amdhsa_next_free_sgpr 1
		.amdhsa_reserve_vcc 0
		.amdhsa_reserve_flat_scratch 0
		.amdhsa_float_round_mode_32 0
		.amdhsa_float_round_mode_16_64 0
		.amdhsa_float_denorm_mode_32 3
		.amdhsa_float_denorm_mode_16_64 3
		.amdhsa_dx10_clamp 1
		.amdhsa_ieee_mode 1
		.amdhsa_fp16_overflow 0
		.amdhsa_workgroup_processor_mode 1
		.amdhsa_memory_ordered 1
		.amdhsa_forward_progress 1
		.amdhsa_shared_vgpr_count 0
		.amdhsa_exception_fp_ieee_invalid_op 0
		.amdhsa_exception_fp_denorm_src 0
		.amdhsa_exception_fp_ieee_div_zero 0
		.amdhsa_exception_fp_ieee_overflow 0
		.amdhsa_exception_fp_ieee_underflow 0
		.amdhsa_exception_fp_ieee_inexact 0
		.amdhsa_exception_int_div_zero 0
	.end_amdhsa_kernel
	.section	.text._ZN7rocprim17ROCPRIM_400000_NS6detail17trampoline_kernelINS0_13select_configILj256ELj13ELNS0_17block_load_methodE3ELS4_3ELS4_3ELNS0_20block_scan_algorithmE0ELj4294967295EEENS1_25partition_config_selectorILNS1_17partition_subalgoE4EjNS0_10empty_typeEbEEZZNS1_14partition_implILS8_4ELb0ES6_15HIP_vector_typeIjLj2EENS0_17counting_iteratorIjlEEPS9_SG_NS0_5tupleIJPjSI_NS0_16reverse_iteratorISI_EEEEENSH_IJSG_SG_SG_EEES9_SI_JZNS1_25segmented_radix_sort_implINS0_14default_configELb1EPKbPbPKlPlN2at6native12_GLOBAL__N_18offset_tEEE10hipError_tPvRmT1_PNSt15iterator_traitsIS12_E10value_typeET2_T3_PNS13_IS18_E10value_typeET4_jRbjT5_S1E_jjP12ihipStream_tbEUljE_ZNSN_ISO_Lb1ESQ_SR_ST_SU_SY_EESZ_S10_S11_S12_S16_S17_S18_S1B_S1C_jS1D_jS1E_S1E_jjS1G_bEUljE0_EEESZ_S10_S11_S18_S1C_S1E_T6_T7_T9_mT8_S1G_bDpT10_ENKUlT_T0_E_clISt17integral_constantIbLb1EES1U_EEDaS1P_S1Q_EUlS1P_E_NS1_11comp_targetILNS1_3genE5ELNS1_11target_archE942ELNS1_3gpuE9ELNS1_3repE0EEENS1_30default_config_static_selectorELNS0_4arch9wavefront6targetE0EEEvS12_,"axG",@progbits,_ZN7rocprim17ROCPRIM_400000_NS6detail17trampoline_kernelINS0_13select_configILj256ELj13ELNS0_17block_load_methodE3ELS4_3ELS4_3ELNS0_20block_scan_algorithmE0ELj4294967295EEENS1_25partition_config_selectorILNS1_17partition_subalgoE4EjNS0_10empty_typeEbEEZZNS1_14partition_implILS8_4ELb0ES6_15HIP_vector_typeIjLj2EENS0_17counting_iteratorIjlEEPS9_SG_NS0_5tupleIJPjSI_NS0_16reverse_iteratorISI_EEEEENSH_IJSG_SG_SG_EEES9_SI_JZNS1_25segmented_radix_sort_implINS0_14default_configELb1EPKbPbPKlPlN2at6native12_GLOBAL__N_18offset_tEEE10hipError_tPvRmT1_PNSt15iterator_traitsIS12_E10value_typeET2_T3_PNS13_IS18_E10value_typeET4_jRbjT5_S1E_jjP12ihipStream_tbEUljE_ZNSN_ISO_Lb1ESQ_SR_ST_SU_SY_EESZ_S10_S11_S12_S16_S17_S18_S1B_S1C_jS1D_jS1E_S1E_jjS1G_bEUljE0_EEESZ_S10_S11_S18_S1C_S1E_T6_T7_T9_mT8_S1G_bDpT10_ENKUlT_T0_E_clISt17integral_constantIbLb1EES1U_EEDaS1P_S1Q_EUlS1P_E_NS1_11comp_targetILNS1_3genE5ELNS1_11target_archE942ELNS1_3gpuE9ELNS1_3repE0EEENS1_30default_config_static_selectorELNS0_4arch9wavefront6targetE0EEEvS12_,comdat
.Lfunc_end1469:
	.size	_ZN7rocprim17ROCPRIM_400000_NS6detail17trampoline_kernelINS0_13select_configILj256ELj13ELNS0_17block_load_methodE3ELS4_3ELS4_3ELNS0_20block_scan_algorithmE0ELj4294967295EEENS1_25partition_config_selectorILNS1_17partition_subalgoE4EjNS0_10empty_typeEbEEZZNS1_14partition_implILS8_4ELb0ES6_15HIP_vector_typeIjLj2EENS0_17counting_iteratorIjlEEPS9_SG_NS0_5tupleIJPjSI_NS0_16reverse_iteratorISI_EEEEENSH_IJSG_SG_SG_EEES9_SI_JZNS1_25segmented_radix_sort_implINS0_14default_configELb1EPKbPbPKlPlN2at6native12_GLOBAL__N_18offset_tEEE10hipError_tPvRmT1_PNSt15iterator_traitsIS12_E10value_typeET2_T3_PNS13_IS18_E10value_typeET4_jRbjT5_S1E_jjP12ihipStream_tbEUljE_ZNSN_ISO_Lb1ESQ_SR_ST_SU_SY_EESZ_S10_S11_S12_S16_S17_S18_S1B_S1C_jS1D_jS1E_S1E_jjS1G_bEUljE0_EEESZ_S10_S11_S18_S1C_S1E_T6_T7_T9_mT8_S1G_bDpT10_ENKUlT_T0_E_clISt17integral_constantIbLb1EES1U_EEDaS1P_S1Q_EUlS1P_E_NS1_11comp_targetILNS1_3genE5ELNS1_11target_archE942ELNS1_3gpuE9ELNS1_3repE0EEENS1_30default_config_static_selectorELNS0_4arch9wavefront6targetE0EEEvS12_, .Lfunc_end1469-_ZN7rocprim17ROCPRIM_400000_NS6detail17trampoline_kernelINS0_13select_configILj256ELj13ELNS0_17block_load_methodE3ELS4_3ELS4_3ELNS0_20block_scan_algorithmE0ELj4294967295EEENS1_25partition_config_selectorILNS1_17partition_subalgoE4EjNS0_10empty_typeEbEEZZNS1_14partition_implILS8_4ELb0ES6_15HIP_vector_typeIjLj2EENS0_17counting_iteratorIjlEEPS9_SG_NS0_5tupleIJPjSI_NS0_16reverse_iteratorISI_EEEEENSH_IJSG_SG_SG_EEES9_SI_JZNS1_25segmented_radix_sort_implINS0_14default_configELb1EPKbPbPKlPlN2at6native12_GLOBAL__N_18offset_tEEE10hipError_tPvRmT1_PNSt15iterator_traitsIS12_E10value_typeET2_T3_PNS13_IS18_E10value_typeET4_jRbjT5_S1E_jjP12ihipStream_tbEUljE_ZNSN_ISO_Lb1ESQ_SR_ST_SU_SY_EESZ_S10_S11_S12_S16_S17_S18_S1B_S1C_jS1D_jS1E_S1E_jjS1G_bEUljE0_EEESZ_S10_S11_S18_S1C_S1E_T6_T7_T9_mT8_S1G_bDpT10_ENKUlT_T0_E_clISt17integral_constantIbLb1EES1U_EEDaS1P_S1Q_EUlS1P_E_NS1_11comp_targetILNS1_3genE5ELNS1_11target_archE942ELNS1_3gpuE9ELNS1_3repE0EEENS1_30default_config_static_selectorELNS0_4arch9wavefront6targetE0EEEvS12_
                                        ; -- End function
	.set _ZN7rocprim17ROCPRIM_400000_NS6detail17trampoline_kernelINS0_13select_configILj256ELj13ELNS0_17block_load_methodE3ELS4_3ELS4_3ELNS0_20block_scan_algorithmE0ELj4294967295EEENS1_25partition_config_selectorILNS1_17partition_subalgoE4EjNS0_10empty_typeEbEEZZNS1_14partition_implILS8_4ELb0ES6_15HIP_vector_typeIjLj2EENS0_17counting_iteratorIjlEEPS9_SG_NS0_5tupleIJPjSI_NS0_16reverse_iteratorISI_EEEEENSH_IJSG_SG_SG_EEES9_SI_JZNS1_25segmented_radix_sort_implINS0_14default_configELb1EPKbPbPKlPlN2at6native12_GLOBAL__N_18offset_tEEE10hipError_tPvRmT1_PNSt15iterator_traitsIS12_E10value_typeET2_T3_PNS13_IS18_E10value_typeET4_jRbjT5_S1E_jjP12ihipStream_tbEUljE_ZNSN_ISO_Lb1ESQ_SR_ST_SU_SY_EESZ_S10_S11_S12_S16_S17_S18_S1B_S1C_jS1D_jS1E_S1E_jjS1G_bEUljE0_EEESZ_S10_S11_S18_S1C_S1E_T6_T7_T9_mT8_S1G_bDpT10_ENKUlT_T0_E_clISt17integral_constantIbLb1EES1U_EEDaS1P_S1Q_EUlS1P_E_NS1_11comp_targetILNS1_3genE5ELNS1_11target_archE942ELNS1_3gpuE9ELNS1_3repE0EEENS1_30default_config_static_selectorELNS0_4arch9wavefront6targetE0EEEvS12_.num_vgpr, 0
	.set _ZN7rocprim17ROCPRIM_400000_NS6detail17trampoline_kernelINS0_13select_configILj256ELj13ELNS0_17block_load_methodE3ELS4_3ELS4_3ELNS0_20block_scan_algorithmE0ELj4294967295EEENS1_25partition_config_selectorILNS1_17partition_subalgoE4EjNS0_10empty_typeEbEEZZNS1_14partition_implILS8_4ELb0ES6_15HIP_vector_typeIjLj2EENS0_17counting_iteratorIjlEEPS9_SG_NS0_5tupleIJPjSI_NS0_16reverse_iteratorISI_EEEEENSH_IJSG_SG_SG_EEES9_SI_JZNS1_25segmented_radix_sort_implINS0_14default_configELb1EPKbPbPKlPlN2at6native12_GLOBAL__N_18offset_tEEE10hipError_tPvRmT1_PNSt15iterator_traitsIS12_E10value_typeET2_T3_PNS13_IS18_E10value_typeET4_jRbjT5_S1E_jjP12ihipStream_tbEUljE_ZNSN_ISO_Lb1ESQ_SR_ST_SU_SY_EESZ_S10_S11_S12_S16_S17_S18_S1B_S1C_jS1D_jS1E_S1E_jjS1G_bEUljE0_EEESZ_S10_S11_S18_S1C_S1E_T6_T7_T9_mT8_S1G_bDpT10_ENKUlT_T0_E_clISt17integral_constantIbLb1EES1U_EEDaS1P_S1Q_EUlS1P_E_NS1_11comp_targetILNS1_3genE5ELNS1_11target_archE942ELNS1_3gpuE9ELNS1_3repE0EEENS1_30default_config_static_selectorELNS0_4arch9wavefront6targetE0EEEvS12_.num_agpr, 0
	.set _ZN7rocprim17ROCPRIM_400000_NS6detail17trampoline_kernelINS0_13select_configILj256ELj13ELNS0_17block_load_methodE3ELS4_3ELS4_3ELNS0_20block_scan_algorithmE0ELj4294967295EEENS1_25partition_config_selectorILNS1_17partition_subalgoE4EjNS0_10empty_typeEbEEZZNS1_14partition_implILS8_4ELb0ES6_15HIP_vector_typeIjLj2EENS0_17counting_iteratorIjlEEPS9_SG_NS0_5tupleIJPjSI_NS0_16reverse_iteratorISI_EEEEENSH_IJSG_SG_SG_EEES9_SI_JZNS1_25segmented_radix_sort_implINS0_14default_configELb1EPKbPbPKlPlN2at6native12_GLOBAL__N_18offset_tEEE10hipError_tPvRmT1_PNSt15iterator_traitsIS12_E10value_typeET2_T3_PNS13_IS18_E10value_typeET4_jRbjT5_S1E_jjP12ihipStream_tbEUljE_ZNSN_ISO_Lb1ESQ_SR_ST_SU_SY_EESZ_S10_S11_S12_S16_S17_S18_S1B_S1C_jS1D_jS1E_S1E_jjS1G_bEUljE0_EEESZ_S10_S11_S18_S1C_S1E_T6_T7_T9_mT8_S1G_bDpT10_ENKUlT_T0_E_clISt17integral_constantIbLb1EES1U_EEDaS1P_S1Q_EUlS1P_E_NS1_11comp_targetILNS1_3genE5ELNS1_11target_archE942ELNS1_3gpuE9ELNS1_3repE0EEENS1_30default_config_static_selectorELNS0_4arch9wavefront6targetE0EEEvS12_.numbered_sgpr, 0
	.set _ZN7rocprim17ROCPRIM_400000_NS6detail17trampoline_kernelINS0_13select_configILj256ELj13ELNS0_17block_load_methodE3ELS4_3ELS4_3ELNS0_20block_scan_algorithmE0ELj4294967295EEENS1_25partition_config_selectorILNS1_17partition_subalgoE4EjNS0_10empty_typeEbEEZZNS1_14partition_implILS8_4ELb0ES6_15HIP_vector_typeIjLj2EENS0_17counting_iteratorIjlEEPS9_SG_NS0_5tupleIJPjSI_NS0_16reverse_iteratorISI_EEEEENSH_IJSG_SG_SG_EEES9_SI_JZNS1_25segmented_radix_sort_implINS0_14default_configELb1EPKbPbPKlPlN2at6native12_GLOBAL__N_18offset_tEEE10hipError_tPvRmT1_PNSt15iterator_traitsIS12_E10value_typeET2_T3_PNS13_IS18_E10value_typeET4_jRbjT5_S1E_jjP12ihipStream_tbEUljE_ZNSN_ISO_Lb1ESQ_SR_ST_SU_SY_EESZ_S10_S11_S12_S16_S17_S18_S1B_S1C_jS1D_jS1E_S1E_jjS1G_bEUljE0_EEESZ_S10_S11_S18_S1C_S1E_T6_T7_T9_mT8_S1G_bDpT10_ENKUlT_T0_E_clISt17integral_constantIbLb1EES1U_EEDaS1P_S1Q_EUlS1P_E_NS1_11comp_targetILNS1_3genE5ELNS1_11target_archE942ELNS1_3gpuE9ELNS1_3repE0EEENS1_30default_config_static_selectorELNS0_4arch9wavefront6targetE0EEEvS12_.num_named_barrier, 0
	.set _ZN7rocprim17ROCPRIM_400000_NS6detail17trampoline_kernelINS0_13select_configILj256ELj13ELNS0_17block_load_methodE3ELS4_3ELS4_3ELNS0_20block_scan_algorithmE0ELj4294967295EEENS1_25partition_config_selectorILNS1_17partition_subalgoE4EjNS0_10empty_typeEbEEZZNS1_14partition_implILS8_4ELb0ES6_15HIP_vector_typeIjLj2EENS0_17counting_iteratorIjlEEPS9_SG_NS0_5tupleIJPjSI_NS0_16reverse_iteratorISI_EEEEENSH_IJSG_SG_SG_EEES9_SI_JZNS1_25segmented_radix_sort_implINS0_14default_configELb1EPKbPbPKlPlN2at6native12_GLOBAL__N_18offset_tEEE10hipError_tPvRmT1_PNSt15iterator_traitsIS12_E10value_typeET2_T3_PNS13_IS18_E10value_typeET4_jRbjT5_S1E_jjP12ihipStream_tbEUljE_ZNSN_ISO_Lb1ESQ_SR_ST_SU_SY_EESZ_S10_S11_S12_S16_S17_S18_S1B_S1C_jS1D_jS1E_S1E_jjS1G_bEUljE0_EEESZ_S10_S11_S18_S1C_S1E_T6_T7_T9_mT8_S1G_bDpT10_ENKUlT_T0_E_clISt17integral_constantIbLb1EES1U_EEDaS1P_S1Q_EUlS1P_E_NS1_11comp_targetILNS1_3genE5ELNS1_11target_archE942ELNS1_3gpuE9ELNS1_3repE0EEENS1_30default_config_static_selectorELNS0_4arch9wavefront6targetE0EEEvS12_.private_seg_size, 0
	.set _ZN7rocprim17ROCPRIM_400000_NS6detail17trampoline_kernelINS0_13select_configILj256ELj13ELNS0_17block_load_methodE3ELS4_3ELS4_3ELNS0_20block_scan_algorithmE0ELj4294967295EEENS1_25partition_config_selectorILNS1_17partition_subalgoE4EjNS0_10empty_typeEbEEZZNS1_14partition_implILS8_4ELb0ES6_15HIP_vector_typeIjLj2EENS0_17counting_iteratorIjlEEPS9_SG_NS0_5tupleIJPjSI_NS0_16reverse_iteratorISI_EEEEENSH_IJSG_SG_SG_EEES9_SI_JZNS1_25segmented_radix_sort_implINS0_14default_configELb1EPKbPbPKlPlN2at6native12_GLOBAL__N_18offset_tEEE10hipError_tPvRmT1_PNSt15iterator_traitsIS12_E10value_typeET2_T3_PNS13_IS18_E10value_typeET4_jRbjT5_S1E_jjP12ihipStream_tbEUljE_ZNSN_ISO_Lb1ESQ_SR_ST_SU_SY_EESZ_S10_S11_S12_S16_S17_S18_S1B_S1C_jS1D_jS1E_S1E_jjS1G_bEUljE0_EEESZ_S10_S11_S18_S1C_S1E_T6_T7_T9_mT8_S1G_bDpT10_ENKUlT_T0_E_clISt17integral_constantIbLb1EES1U_EEDaS1P_S1Q_EUlS1P_E_NS1_11comp_targetILNS1_3genE5ELNS1_11target_archE942ELNS1_3gpuE9ELNS1_3repE0EEENS1_30default_config_static_selectorELNS0_4arch9wavefront6targetE0EEEvS12_.uses_vcc, 0
	.set _ZN7rocprim17ROCPRIM_400000_NS6detail17trampoline_kernelINS0_13select_configILj256ELj13ELNS0_17block_load_methodE3ELS4_3ELS4_3ELNS0_20block_scan_algorithmE0ELj4294967295EEENS1_25partition_config_selectorILNS1_17partition_subalgoE4EjNS0_10empty_typeEbEEZZNS1_14partition_implILS8_4ELb0ES6_15HIP_vector_typeIjLj2EENS0_17counting_iteratorIjlEEPS9_SG_NS0_5tupleIJPjSI_NS0_16reverse_iteratorISI_EEEEENSH_IJSG_SG_SG_EEES9_SI_JZNS1_25segmented_radix_sort_implINS0_14default_configELb1EPKbPbPKlPlN2at6native12_GLOBAL__N_18offset_tEEE10hipError_tPvRmT1_PNSt15iterator_traitsIS12_E10value_typeET2_T3_PNS13_IS18_E10value_typeET4_jRbjT5_S1E_jjP12ihipStream_tbEUljE_ZNSN_ISO_Lb1ESQ_SR_ST_SU_SY_EESZ_S10_S11_S12_S16_S17_S18_S1B_S1C_jS1D_jS1E_S1E_jjS1G_bEUljE0_EEESZ_S10_S11_S18_S1C_S1E_T6_T7_T9_mT8_S1G_bDpT10_ENKUlT_T0_E_clISt17integral_constantIbLb1EES1U_EEDaS1P_S1Q_EUlS1P_E_NS1_11comp_targetILNS1_3genE5ELNS1_11target_archE942ELNS1_3gpuE9ELNS1_3repE0EEENS1_30default_config_static_selectorELNS0_4arch9wavefront6targetE0EEEvS12_.uses_flat_scratch, 0
	.set _ZN7rocprim17ROCPRIM_400000_NS6detail17trampoline_kernelINS0_13select_configILj256ELj13ELNS0_17block_load_methodE3ELS4_3ELS4_3ELNS0_20block_scan_algorithmE0ELj4294967295EEENS1_25partition_config_selectorILNS1_17partition_subalgoE4EjNS0_10empty_typeEbEEZZNS1_14partition_implILS8_4ELb0ES6_15HIP_vector_typeIjLj2EENS0_17counting_iteratorIjlEEPS9_SG_NS0_5tupleIJPjSI_NS0_16reverse_iteratorISI_EEEEENSH_IJSG_SG_SG_EEES9_SI_JZNS1_25segmented_radix_sort_implINS0_14default_configELb1EPKbPbPKlPlN2at6native12_GLOBAL__N_18offset_tEEE10hipError_tPvRmT1_PNSt15iterator_traitsIS12_E10value_typeET2_T3_PNS13_IS18_E10value_typeET4_jRbjT5_S1E_jjP12ihipStream_tbEUljE_ZNSN_ISO_Lb1ESQ_SR_ST_SU_SY_EESZ_S10_S11_S12_S16_S17_S18_S1B_S1C_jS1D_jS1E_S1E_jjS1G_bEUljE0_EEESZ_S10_S11_S18_S1C_S1E_T6_T7_T9_mT8_S1G_bDpT10_ENKUlT_T0_E_clISt17integral_constantIbLb1EES1U_EEDaS1P_S1Q_EUlS1P_E_NS1_11comp_targetILNS1_3genE5ELNS1_11target_archE942ELNS1_3gpuE9ELNS1_3repE0EEENS1_30default_config_static_selectorELNS0_4arch9wavefront6targetE0EEEvS12_.has_dyn_sized_stack, 0
	.set _ZN7rocprim17ROCPRIM_400000_NS6detail17trampoline_kernelINS0_13select_configILj256ELj13ELNS0_17block_load_methodE3ELS4_3ELS4_3ELNS0_20block_scan_algorithmE0ELj4294967295EEENS1_25partition_config_selectorILNS1_17partition_subalgoE4EjNS0_10empty_typeEbEEZZNS1_14partition_implILS8_4ELb0ES6_15HIP_vector_typeIjLj2EENS0_17counting_iteratorIjlEEPS9_SG_NS0_5tupleIJPjSI_NS0_16reverse_iteratorISI_EEEEENSH_IJSG_SG_SG_EEES9_SI_JZNS1_25segmented_radix_sort_implINS0_14default_configELb1EPKbPbPKlPlN2at6native12_GLOBAL__N_18offset_tEEE10hipError_tPvRmT1_PNSt15iterator_traitsIS12_E10value_typeET2_T3_PNS13_IS18_E10value_typeET4_jRbjT5_S1E_jjP12ihipStream_tbEUljE_ZNSN_ISO_Lb1ESQ_SR_ST_SU_SY_EESZ_S10_S11_S12_S16_S17_S18_S1B_S1C_jS1D_jS1E_S1E_jjS1G_bEUljE0_EEESZ_S10_S11_S18_S1C_S1E_T6_T7_T9_mT8_S1G_bDpT10_ENKUlT_T0_E_clISt17integral_constantIbLb1EES1U_EEDaS1P_S1Q_EUlS1P_E_NS1_11comp_targetILNS1_3genE5ELNS1_11target_archE942ELNS1_3gpuE9ELNS1_3repE0EEENS1_30default_config_static_selectorELNS0_4arch9wavefront6targetE0EEEvS12_.has_recursion, 0
	.set _ZN7rocprim17ROCPRIM_400000_NS6detail17trampoline_kernelINS0_13select_configILj256ELj13ELNS0_17block_load_methodE3ELS4_3ELS4_3ELNS0_20block_scan_algorithmE0ELj4294967295EEENS1_25partition_config_selectorILNS1_17partition_subalgoE4EjNS0_10empty_typeEbEEZZNS1_14partition_implILS8_4ELb0ES6_15HIP_vector_typeIjLj2EENS0_17counting_iteratorIjlEEPS9_SG_NS0_5tupleIJPjSI_NS0_16reverse_iteratorISI_EEEEENSH_IJSG_SG_SG_EEES9_SI_JZNS1_25segmented_radix_sort_implINS0_14default_configELb1EPKbPbPKlPlN2at6native12_GLOBAL__N_18offset_tEEE10hipError_tPvRmT1_PNSt15iterator_traitsIS12_E10value_typeET2_T3_PNS13_IS18_E10value_typeET4_jRbjT5_S1E_jjP12ihipStream_tbEUljE_ZNSN_ISO_Lb1ESQ_SR_ST_SU_SY_EESZ_S10_S11_S12_S16_S17_S18_S1B_S1C_jS1D_jS1E_S1E_jjS1G_bEUljE0_EEESZ_S10_S11_S18_S1C_S1E_T6_T7_T9_mT8_S1G_bDpT10_ENKUlT_T0_E_clISt17integral_constantIbLb1EES1U_EEDaS1P_S1Q_EUlS1P_E_NS1_11comp_targetILNS1_3genE5ELNS1_11target_archE942ELNS1_3gpuE9ELNS1_3repE0EEENS1_30default_config_static_selectorELNS0_4arch9wavefront6targetE0EEEvS12_.has_indirect_call, 0
	.section	.AMDGPU.csdata,"",@progbits
; Kernel info:
; codeLenInByte = 0
; TotalNumSgprs: 0
; NumVgprs: 0
; ScratchSize: 0
; MemoryBound: 0
; FloatMode: 240
; IeeeMode: 1
; LDSByteSize: 0 bytes/workgroup (compile time only)
; SGPRBlocks: 0
; VGPRBlocks: 0
; NumSGPRsForWavesPerEU: 1
; NumVGPRsForWavesPerEU: 1
; Occupancy: 16
; WaveLimiterHint : 0
; COMPUTE_PGM_RSRC2:SCRATCH_EN: 0
; COMPUTE_PGM_RSRC2:USER_SGPR: 6
; COMPUTE_PGM_RSRC2:TRAP_HANDLER: 0
; COMPUTE_PGM_RSRC2:TGID_X_EN: 1
; COMPUTE_PGM_RSRC2:TGID_Y_EN: 0
; COMPUTE_PGM_RSRC2:TGID_Z_EN: 0
; COMPUTE_PGM_RSRC2:TIDIG_COMP_CNT: 0
	.section	.text._ZN7rocprim17ROCPRIM_400000_NS6detail17trampoline_kernelINS0_13select_configILj256ELj13ELNS0_17block_load_methodE3ELS4_3ELS4_3ELNS0_20block_scan_algorithmE0ELj4294967295EEENS1_25partition_config_selectorILNS1_17partition_subalgoE4EjNS0_10empty_typeEbEEZZNS1_14partition_implILS8_4ELb0ES6_15HIP_vector_typeIjLj2EENS0_17counting_iteratorIjlEEPS9_SG_NS0_5tupleIJPjSI_NS0_16reverse_iteratorISI_EEEEENSH_IJSG_SG_SG_EEES9_SI_JZNS1_25segmented_radix_sort_implINS0_14default_configELb1EPKbPbPKlPlN2at6native12_GLOBAL__N_18offset_tEEE10hipError_tPvRmT1_PNSt15iterator_traitsIS12_E10value_typeET2_T3_PNS13_IS18_E10value_typeET4_jRbjT5_S1E_jjP12ihipStream_tbEUljE_ZNSN_ISO_Lb1ESQ_SR_ST_SU_SY_EESZ_S10_S11_S12_S16_S17_S18_S1B_S1C_jS1D_jS1E_S1E_jjS1G_bEUljE0_EEESZ_S10_S11_S18_S1C_S1E_T6_T7_T9_mT8_S1G_bDpT10_ENKUlT_T0_E_clISt17integral_constantIbLb1EES1U_EEDaS1P_S1Q_EUlS1P_E_NS1_11comp_targetILNS1_3genE4ELNS1_11target_archE910ELNS1_3gpuE8ELNS1_3repE0EEENS1_30default_config_static_selectorELNS0_4arch9wavefront6targetE0EEEvS12_,"axG",@progbits,_ZN7rocprim17ROCPRIM_400000_NS6detail17trampoline_kernelINS0_13select_configILj256ELj13ELNS0_17block_load_methodE3ELS4_3ELS4_3ELNS0_20block_scan_algorithmE0ELj4294967295EEENS1_25partition_config_selectorILNS1_17partition_subalgoE4EjNS0_10empty_typeEbEEZZNS1_14partition_implILS8_4ELb0ES6_15HIP_vector_typeIjLj2EENS0_17counting_iteratorIjlEEPS9_SG_NS0_5tupleIJPjSI_NS0_16reverse_iteratorISI_EEEEENSH_IJSG_SG_SG_EEES9_SI_JZNS1_25segmented_radix_sort_implINS0_14default_configELb1EPKbPbPKlPlN2at6native12_GLOBAL__N_18offset_tEEE10hipError_tPvRmT1_PNSt15iterator_traitsIS12_E10value_typeET2_T3_PNS13_IS18_E10value_typeET4_jRbjT5_S1E_jjP12ihipStream_tbEUljE_ZNSN_ISO_Lb1ESQ_SR_ST_SU_SY_EESZ_S10_S11_S12_S16_S17_S18_S1B_S1C_jS1D_jS1E_S1E_jjS1G_bEUljE0_EEESZ_S10_S11_S18_S1C_S1E_T6_T7_T9_mT8_S1G_bDpT10_ENKUlT_T0_E_clISt17integral_constantIbLb1EES1U_EEDaS1P_S1Q_EUlS1P_E_NS1_11comp_targetILNS1_3genE4ELNS1_11target_archE910ELNS1_3gpuE8ELNS1_3repE0EEENS1_30default_config_static_selectorELNS0_4arch9wavefront6targetE0EEEvS12_,comdat
	.globl	_ZN7rocprim17ROCPRIM_400000_NS6detail17trampoline_kernelINS0_13select_configILj256ELj13ELNS0_17block_load_methodE3ELS4_3ELS4_3ELNS0_20block_scan_algorithmE0ELj4294967295EEENS1_25partition_config_selectorILNS1_17partition_subalgoE4EjNS0_10empty_typeEbEEZZNS1_14partition_implILS8_4ELb0ES6_15HIP_vector_typeIjLj2EENS0_17counting_iteratorIjlEEPS9_SG_NS0_5tupleIJPjSI_NS0_16reverse_iteratorISI_EEEEENSH_IJSG_SG_SG_EEES9_SI_JZNS1_25segmented_radix_sort_implINS0_14default_configELb1EPKbPbPKlPlN2at6native12_GLOBAL__N_18offset_tEEE10hipError_tPvRmT1_PNSt15iterator_traitsIS12_E10value_typeET2_T3_PNS13_IS18_E10value_typeET4_jRbjT5_S1E_jjP12ihipStream_tbEUljE_ZNSN_ISO_Lb1ESQ_SR_ST_SU_SY_EESZ_S10_S11_S12_S16_S17_S18_S1B_S1C_jS1D_jS1E_S1E_jjS1G_bEUljE0_EEESZ_S10_S11_S18_S1C_S1E_T6_T7_T9_mT8_S1G_bDpT10_ENKUlT_T0_E_clISt17integral_constantIbLb1EES1U_EEDaS1P_S1Q_EUlS1P_E_NS1_11comp_targetILNS1_3genE4ELNS1_11target_archE910ELNS1_3gpuE8ELNS1_3repE0EEENS1_30default_config_static_selectorELNS0_4arch9wavefront6targetE0EEEvS12_ ; -- Begin function _ZN7rocprim17ROCPRIM_400000_NS6detail17trampoline_kernelINS0_13select_configILj256ELj13ELNS0_17block_load_methodE3ELS4_3ELS4_3ELNS0_20block_scan_algorithmE0ELj4294967295EEENS1_25partition_config_selectorILNS1_17partition_subalgoE4EjNS0_10empty_typeEbEEZZNS1_14partition_implILS8_4ELb0ES6_15HIP_vector_typeIjLj2EENS0_17counting_iteratorIjlEEPS9_SG_NS0_5tupleIJPjSI_NS0_16reverse_iteratorISI_EEEEENSH_IJSG_SG_SG_EEES9_SI_JZNS1_25segmented_radix_sort_implINS0_14default_configELb1EPKbPbPKlPlN2at6native12_GLOBAL__N_18offset_tEEE10hipError_tPvRmT1_PNSt15iterator_traitsIS12_E10value_typeET2_T3_PNS13_IS18_E10value_typeET4_jRbjT5_S1E_jjP12ihipStream_tbEUljE_ZNSN_ISO_Lb1ESQ_SR_ST_SU_SY_EESZ_S10_S11_S12_S16_S17_S18_S1B_S1C_jS1D_jS1E_S1E_jjS1G_bEUljE0_EEESZ_S10_S11_S18_S1C_S1E_T6_T7_T9_mT8_S1G_bDpT10_ENKUlT_T0_E_clISt17integral_constantIbLb1EES1U_EEDaS1P_S1Q_EUlS1P_E_NS1_11comp_targetILNS1_3genE4ELNS1_11target_archE910ELNS1_3gpuE8ELNS1_3repE0EEENS1_30default_config_static_selectorELNS0_4arch9wavefront6targetE0EEEvS12_
	.p2align	8
	.type	_ZN7rocprim17ROCPRIM_400000_NS6detail17trampoline_kernelINS0_13select_configILj256ELj13ELNS0_17block_load_methodE3ELS4_3ELS4_3ELNS0_20block_scan_algorithmE0ELj4294967295EEENS1_25partition_config_selectorILNS1_17partition_subalgoE4EjNS0_10empty_typeEbEEZZNS1_14partition_implILS8_4ELb0ES6_15HIP_vector_typeIjLj2EENS0_17counting_iteratorIjlEEPS9_SG_NS0_5tupleIJPjSI_NS0_16reverse_iteratorISI_EEEEENSH_IJSG_SG_SG_EEES9_SI_JZNS1_25segmented_radix_sort_implINS0_14default_configELb1EPKbPbPKlPlN2at6native12_GLOBAL__N_18offset_tEEE10hipError_tPvRmT1_PNSt15iterator_traitsIS12_E10value_typeET2_T3_PNS13_IS18_E10value_typeET4_jRbjT5_S1E_jjP12ihipStream_tbEUljE_ZNSN_ISO_Lb1ESQ_SR_ST_SU_SY_EESZ_S10_S11_S12_S16_S17_S18_S1B_S1C_jS1D_jS1E_S1E_jjS1G_bEUljE0_EEESZ_S10_S11_S18_S1C_S1E_T6_T7_T9_mT8_S1G_bDpT10_ENKUlT_T0_E_clISt17integral_constantIbLb1EES1U_EEDaS1P_S1Q_EUlS1P_E_NS1_11comp_targetILNS1_3genE4ELNS1_11target_archE910ELNS1_3gpuE8ELNS1_3repE0EEENS1_30default_config_static_selectorELNS0_4arch9wavefront6targetE0EEEvS12_,@function
_ZN7rocprim17ROCPRIM_400000_NS6detail17trampoline_kernelINS0_13select_configILj256ELj13ELNS0_17block_load_methodE3ELS4_3ELS4_3ELNS0_20block_scan_algorithmE0ELj4294967295EEENS1_25partition_config_selectorILNS1_17partition_subalgoE4EjNS0_10empty_typeEbEEZZNS1_14partition_implILS8_4ELb0ES6_15HIP_vector_typeIjLj2EENS0_17counting_iteratorIjlEEPS9_SG_NS0_5tupleIJPjSI_NS0_16reverse_iteratorISI_EEEEENSH_IJSG_SG_SG_EEES9_SI_JZNS1_25segmented_radix_sort_implINS0_14default_configELb1EPKbPbPKlPlN2at6native12_GLOBAL__N_18offset_tEEE10hipError_tPvRmT1_PNSt15iterator_traitsIS12_E10value_typeET2_T3_PNS13_IS18_E10value_typeET4_jRbjT5_S1E_jjP12ihipStream_tbEUljE_ZNSN_ISO_Lb1ESQ_SR_ST_SU_SY_EESZ_S10_S11_S12_S16_S17_S18_S1B_S1C_jS1D_jS1E_S1E_jjS1G_bEUljE0_EEESZ_S10_S11_S18_S1C_S1E_T6_T7_T9_mT8_S1G_bDpT10_ENKUlT_T0_E_clISt17integral_constantIbLb1EES1U_EEDaS1P_S1Q_EUlS1P_E_NS1_11comp_targetILNS1_3genE4ELNS1_11target_archE910ELNS1_3gpuE8ELNS1_3repE0EEENS1_30default_config_static_selectorELNS0_4arch9wavefront6targetE0EEEvS12_: ; @_ZN7rocprim17ROCPRIM_400000_NS6detail17trampoline_kernelINS0_13select_configILj256ELj13ELNS0_17block_load_methodE3ELS4_3ELS4_3ELNS0_20block_scan_algorithmE0ELj4294967295EEENS1_25partition_config_selectorILNS1_17partition_subalgoE4EjNS0_10empty_typeEbEEZZNS1_14partition_implILS8_4ELb0ES6_15HIP_vector_typeIjLj2EENS0_17counting_iteratorIjlEEPS9_SG_NS0_5tupleIJPjSI_NS0_16reverse_iteratorISI_EEEEENSH_IJSG_SG_SG_EEES9_SI_JZNS1_25segmented_radix_sort_implINS0_14default_configELb1EPKbPbPKlPlN2at6native12_GLOBAL__N_18offset_tEEE10hipError_tPvRmT1_PNSt15iterator_traitsIS12_E10value_typeET2_T3_PNS13_IS18_E10value_typeET4_jRbjT5_S1E_jjP12ihipStream_tbEUljE_ZNSN_ISO_Lb1ESQ_SR_ST_SU_SY_EESZ_S10_S11_S12_S16_S17_S18_S1B_S1C_jS1D_jS1E_S1E_jjS1G_bEUljE0_EEESZ_S10_S11_S18_S1C_S1E_T6_T7_T9_mT8_S1G_bDpT10_ENKUlT_T0_E_clISt17integral_constantIbLb1EES1U_EEDaS1P_S1Q_EUlS1P_E_NS1_11comp_targetILNS1_3genE4ELNS1_11target_archE910ELNS1_3gpuE8ELNS1_3repE0EEENS1_30default_config_static_selectorELNS0_4arch9wavefront6targetE0EEEvS12_
; %bb.0:
	.section	.rodata,"a",@progbits
	.p2align	6, 0x0
	.amdhsa_kernel _ZN7rocprim17ROCPRIM_400000_NS6detail17trampoline_kernelINS0_13select_configILj256ELj13ELNS0_17block_load_methodE3ELS4_3ELS4_3ELNS0_20block_scan_algorithmE0ELj4294967295EEENS1_25partition_config_selectorILNS1_17partition_subalgoE4EjNS0_10empty_typeEbEEZZNS1_14partition_implILS8_4ELb0ES6_15HIP_vector_typeIjLj2EENS0_17counting_iteratorIjlEEPS9_SG_NS0_5tupleIJPjSI_NS0_16reverse_iteratorISI_EEEEENSH_IJSG_SG_SG_EEES9_SI_JZNS1_25segmented_radix_sort_implINS0_14default_configELb1EPKbPbPKlPlN2at6native12_GLOBAL__N_18offset_tEEE10hipError_tPvRmT1_PNSt15iterator_traitsIS12_E10value_typeET2_T3_PNS13_IS18_E10value_typeET4_jRbjT5_S1E_jjP12ihipStream_tbEUljE_ZNSN_ISO_Lb1ESQ_SR_ST_SU_SY_EESZ_S10_S11_S12_S16_S17_S18_S1B_S1C_jS1D_jS1E_S1E_jjS1G_bEUljE0_EEESZ_S10_S11_S18_S1C_S1E_T6_T7_T9_mT8_S1G_bDpT10_ENKUlT_T0_E_clISt17integral_constantIbLb1EES1U_EEDaS1P_S1Q_EUlS1P_E_NS1_11comp_targetILNS1_3genE4ELNS1_11target_archE910ELNS1_3gpuE8ELNS1_3repE0EEENS1_30default_config_static_selectorELNS0_4arch9wavefront6targetE0EEEvS12_
		.amdhsa_group_segment_fixed_size 0
		.amdhsa_private_segment_fixed_size 0
		.amdhsa_kernarg_size 184
		.amdhsa_user_sgpr_count 6
		.amdhsa_user_sgpr_private_segment_buffer 1
		.amdhsa_user_sgpr_dispatch_ptr 0
		.amdhsa_user_sgpr_queue_ptr 0
		.amdhsa_user_sgpr_kernarg_segment_ptr 1
		.amdhsa_user_sgpr_dispatch_id 0
		.amdhsa_user_sgpr_flat_scratch_init 0
		.amdhsa_user_sgpr_private_segment_size 0
		.amdhsa_wavefront_size32 1
		.amdhsa_uses_dynamic_stack 0
		.amdhsa_system_sgpr_private_segment_wavefront_offset 0
		.amdhsa_system_sgpr_workgroup_id_x 1
		.amdhsa_system_sgpr_workgroup_id_y 0
		.amdhsa_system_sgpr_workgroup_id_z 0
		.amdhsa_system_sgpr_workgroup_info 0
		.amdhsa_system_vgpr_workitem_id 0
		.amdhsa_next_free_vgpr 1
		.amdhsa_next_free_sgpr 1
		.amdhsa_reserve_vcc 0
		.amdhsa_reserve_flat_scratch 0
		.amdhsa_float_round_mode_32 0
		.amdhsa_float_round_mode_16_64 0
		.amdhsa_float_denorm_mode_32 3
		.amdhsa_float_denorm_mode_16_64 3
		.amdhsa_dx10_clamp 1
		.amdhsa_ieee_mode 1
		.amdhsa_fp16_overflow 0
		.amdhsa_workgroup_processor_mode 1
		.amdhsa_memory_ordered 1
		.amdhsa_forward_progress 1
		.amdhsa_shared_vgpr_count 0
		.amdhsa_exception_fp_ieee_invalid_op 0
		.amdhsa_exception_fp_denorm_src 0
		.amdhsa_exception_fp_ieee_div_zero 0
		.amdhsa_exception_fp_ieee_overflow 0
		.amdhsa_exception_fp_ieee_underflow 0
		.amdhsa_exception_fp_ieee_inexact 0
		.amdhsa_exception_int_div_zero 0
	.end_amdhsa_kernel
	.section	.text._ZN7rocprim17ROCPRIM_400000_NS6detail17trampoline_kernelINS0_13select_configILj256ELj13ELNS0_17block_load_methodE3ELS4_3ELS4_3ELNS0_20block_scan_algorithmE0ELj4294967295EEENS1_25partition_config_selectorILNS1_17partition_subalgoE4EjNS0_10empty_typeEbEEZZNS1_14partition_implILS8_4ELb0ES6_15HIP_vector_typeIjLj2EENS0_17counting_iteratorIjlEEPS9_SG_NS0_5tupleIJPjSI_NS0_16reverse_iteratorISI_EEEEENSH_IJSG_SG_SG_EEES9_SI_JZNS1_25segmented_radix_sort_implINS0_14default_configELb1EPKbPbPKlPlN2at6native12_GLOBAL__N_18offset_tEEE10hipError_tPvRmT1_PNSt15iterator_traitsIS12_E10value_typeET2_T3_PNS13_IS18_E10value_typeET4_jRbjT5_S1E_jjP12ihipStream_tbEUljE_ZNSN_ISO_Lb1ESQ_SR_ST_SU_SY_EESZ_S10_S11_S12_S16_S17_S18_S1B_S1C_jS1D_jS1E_S1E_jjS1G_bEUljE0_EEESZ_S10_S11_S18_S1C_S1E_T6_T7_T9_mT8_S1G_bDpT10_ENKUlT_T0_E_clISt17integral_constantIbLb1EES1U_EEDaS1P_S1Q_EUlS1P_E_NS1_11comp_targetILNS1_3genE4ELNS1_11target_archE910ELNS1_3gpuE8ELNS1_3repE0EEENS1_30default_config_static_selectorELNS0_4arch9wavefront6targetE0EEEvS12_,"axG",@progbits,_ZN7rocprim17ROCPRIM_400000_NS6detail17trampoline_kernelINS0_13select_configILj256ELj13ELNS0_17block_load_methodE3ELS4_3ELS4_3ELNS0_20block_scan_algorithmE0ELj4294967295EEENS1_25partition_config_selectorILNS1_17partition_subalgoE4EjNS0_10empty_typeEbEEZZNS1_14partition_implILS8_4ELb0ES6_15HIP_vector_typeIjLj2EENS0_17counting_iteratorIjlEEPS9_SG_NS0_5tupleIJPjSI_NS0_16reverse_iteratorISI_EEEEENSH_IJSG_SG_SG_EEES9_SI_JZNS1_25segmented_radix_sort_implINS0_14default_configELb1EPKbPbPKlPlN2at6native12_GLOBAL__N_18offset_tEEE10hipError_tPvRmT1_PNSt15iterator_traitsIS12_E10value_typeET2_T3_PNS13_IS18_E10value_typeET4_jRbjT5_S1E_jjP12ihipStream_tbEUljE_ZNSN_ISO_Lb1ESQ_SR_ST_SU_SY_EESZ_S10_S11_S12_S16_S17_S18_S1B_S1C_jS1D_jS1E_S1E_jjS1G_bEUljE0_EEESZ_S10_S11_S18_S1C_S1E_T6_T7_T9_mT8_S1G_bDpT10_ENKUlT_T0_E_clISt17integral_constantIbLb1EES1U_EEDaS1P_S1Q_EUlS1P_E_NS1_11comp_targetILNS1_3genE4ELNS1_11target_archE910ELNS1_3gpuE8ELNS1_3repE0EEENS1_30default_config_static_selectorELNS0_4arch9wavefront6targetE0EEEvS12_,comdat
.Lfunc_end1470:
	.size	_ZN7rocprim17ROCPRIM_400000_NS6detail17trampoline_kernelINS0_13select_configILj256ELj13ELNS0_17block_load_methodE3ELS4_3ELS4_3ELNS0_20block_scan_algorithmE0ELj4294967295EEENS1_25partition_config_selectorILNS1_17partition_subalgoE4EjNS0_10empty_typeEbEEZZNS1_14partition_implILS8_4ELb0ES6_15HIP_vector_typeIjLj2EENS0_17counting_iteratorIjlEEPS9_SG_NS0_5tupleIJPjSI_NS0_16reverse_iteratorISI_EEEEENSH_IJSG_SG_SG_EEES9_SI_JZNS1_25segmented_radix_sort_implINS0_14default_configELb1EPKbPbPKlPlN2at6native12_GLOBAL__N_18offset_tEEE10hipError_tPvRmT1_PNSt15iterator_traitsIS12_E10value_typeET2_T3_PNS13_IS18_E10value_typeET4_jRbjT5_S1E_jjP12ihipStream_tbEUljE_ZNSN_ISO_Lb1ESQ_SR_ST_SU_SY_EESZ_S10_S11_S12_S16_S17_S18_S1B_S1C_jS1D_jS1E_S1E_jjS1G_bEUljE0_EEESZ_S10_S11_S18_S1C_S1E_T6_T7_T9_mT8_S1G_bDpT10_ENKUlT_T0_E_clISt17integral_constantIbLb1EES1U_EEDaS1P_S1Q_EUlS1P_E_NS1_11comp_targetILNS1_3genE4ELNS1_11target_archE910ELNS1_3gpuE8ELNS1_3repE0EEENS1_30default_config_static_selectorELNS0_4arch9wavefront6targetE0EEEvS12_, .Lfunc_end1470-_ZN7rocprim17ROCPRIM_400000_NS6detail17trampoline_kernelINS0_13select_configILj256ELj13ELNS0_17block_load_methodE3ELS4_3ELS4_3ELNS0_20block_scan_algorithmE0ELj4294967295EEENS1_25partition_config_selectorILNS1_17partition_subalgoE4EjNS0_10empty_typeEbEEZZNS1_14partition_implILS8_4ELb0ES6_15HIP_vector_typeIjLj2EENS0_17counting_iteratorIjlEEPS9_SG_NS0_5tupleIJPjSI_NS0_16reverse_iteratorISI_EEEEENSH_IJSG_SG_SG_EEES9_SI_JZNS1_25segmented_radix_sort_implINS0_14default_configELb1EPKbPbPKlPlN2at6native12_GLOBAL__N_18offset_tEEE10hipError_tPvRmT1_PNSt15iterator_traitsIS12_E10value_typeET2_T3_PNS13_IS18_E10value_typeET4_jRbjT5_S1E_jjP12ihipStream_tbEUljE_ZNSN_ISO_Lb1ESQ_SR_ST_SU_SY_EESZ_S10_S11_S12_S16_S17_S18_S1B_S1C_jS1D_jS1E_S1E_jjS1G_bEUljE0_EEESZ_S10_S11_S18_S1C_S1E_T6_T7_T9_mT8_S1G_bDpT10_ENKUlT_T0_E_clISt17integral_constantIbLb1EES1U_EEDaS1P_S1Q_EUlS1P_E_NS1_11comp_targetILNS1_3genE4ELNS1_11target_archE910ELNS1_3gpuE8ELNS1_3repE0EEENS1_30default_config_static_selectorELNS0_4arch9wavefront6targetE0EEEvS12_
                                        ; -- End function
	.set _ZN7rocprim17ROCPRIM_400000_NS6detail17trampoline_kernelINS0_13select_configILj256ELj13ELNS0_17block_load_methodE3ELS4_3ELS4_3ELNS0_20block_scan_algorithmE0ELj4294967295EEENS1_25partition_config_selectorILNS1_17partition_subalgoE4EjNS0_10empty_typeEbEEZZNS1_14partition_implILS8_4ELb0ES6_15HIP_vector_typeIjLj2EENS0_17counting_iteratorIjlEEPS9_SG_NS0_5tupleIJPjSI_NS0_16reverse_iteratorISI_EEEEENSH_IJSG_SG_SG_EEES9_SI_JZNS1_25segmented_radix_sort_implINS0_14default_configELb1EPKbPbPKlPlN2at6native12_GLOBAL__N_18offset_tEEE10hipError_tPvRmT1_PNSt15iterator_traitsIS12_E10value_typeET2_T3_PNS13_IS18_E10value_typeET4_jRbjT5_S1E_jjP12ihipStream_tbEUljE_ZNSN_ISO_Lb1ESQ_SR_ST_SU_SY_EESZ_S10_S11_S12_S16_S17_S18_S1B_S1C_jS1D_jS1E_S1E_jjS1G_bEUljE0_EEESZ_S10_S11_S18_S1C_S1E_T6_T7_T9_mT8_S1G_bDpT10_ENKUlT_T0_E_clISt17integral_constantIbLb1EES1U_EEDaS1P_S1Q_EUlS1P_E_NS1_11comp_targetILNS1_3genE4ELNS1_11target_archE910ELNS1_3gpuE8ELNS1_3repE0EEENS1_30default_config_static_selectorELNS0_4arch9wavefront6targetE0EEEvS12_.num_vgpr, 0
	.set _ZN7rocprim17ROCPRIM_400000_NS6detail17trampoline_kernelINS0_13select_configILj256ELj13ELNS0_17block_load_methodE3ELS4_3ELS4_3ELNS0_20block_scan_algorithmE0ELj4294967295EEENS1_25partition_config_selectorILNS1_17partition_subalgoE4EjNS0_10empty_typeEbEEZZNS1_14partition_implILS8_4ELb0ES6_15HIP_vector_typeIjLj2EENS0_17counting_iteratorIjlEEPS9_SG_NS0_5tupleIJPjSI_NS0_16reverse_iteratorISI_EEEEENSH_IJSG_SG_SG_EEES9_SI_JZNS1_25segmented_radix_sort_implINS0_14default_configELb1EPKbPbPKlPlN2at6native12_GLOBAL__N_18offset_tEEE10hipError_tPvRmT1_PNSt15iterator_traitsIS12_E10value_typeET2_T3_PNS13_IS18_E10value_typeET4_jRbjT5_S1E_jjP12ihipStream_tbEUljE_ZNSN_ISO_Lb1ESQ_SR_ST_SU_SY_EESZ_S10_S11_S12_S16_S17_S18_S1B_S1C_jS1D_jS1E_S1E_jjS1G_bEUljE0_EEESZ_S10_S11_S18_S1C_S1E_T6_T7_T9_mT8_S1G_bDpT10_ENKUlT_T0_E_clISt17integral_constantIbLb1EES1U_EEDaS1P_S1Q_EUlS1P_E_NS1_11comp_targetILNS1_3genE4ELNS1_11target_archE910ELNS1_3gpuE8ELNS1_3repE0EEENS1_30default_config_static_selectorELNS0_4arch9wavefront6targetE0EEEvS12_.num_agpr, 0
	.set _ZN7rocprim17ROCPRIM_400000_NS6detail17trampoline_kernelINS0_13select_configILj256ELj13ELNS0_17block_load_methodE3ELS4_3ELS4_3ELNS0_20block_scan_algorithmE0ELj4294967295EEENS1_25partition_config_selectorILNS1_17partition_subalgoE4EjNS0_10empty_typeEbEEZZNS1_14partition_implILS8_4ELb0ES6_15HIP_vector_typeIjLj2EENS0_17counting_iteratorIjlEEPS9_SG_NS0_5tupleIJPjSI_NS0_16reverse_iteratorISI_EEEEENSH_IJSG_SG_SG_EEES9_SI_JZNS1_25segmented_radix_sort_implINS0_14default_configELb1EPKbPbPKlPlN2at6native12_GLOBAL__N_18offset_tEEE10hipError_tPvRmT1_PNSt15iterator_traitsIS12_E10value_typeET2_T3_PNS13_IS18_E10value_typeET4_jRbjT5_S1E_jjP12ihipStream_tbEUljE_ZNSN_ISO_Lb1ESQ_SR_ST_SU_SY_EESZ_S10_S11_S12_S16_S17_S18_S1B_S1C_jS1D_jS1E_S1E_jjS1G_bEUljE0_EEESZ_S10_S11_S18_S1C_S1E_T6_T7_T9_mT8_S1G_bDpT10_ENKUlT_T0_E_clISt17integral_constantIbLb1EES1U_EEDaS1P_S1Q_EUlS1P_E_NS1_11comp_targetILNS1_3genE4ELNS1_11target_archE910ELNS1_3gpuE8ELNS1_3repE0EEENS1_30default_config_static_selectorELNS0_4arch9wavefront6targetE0EEEvS12_.numbered_sgpr, 0
	.set _ZN7rocprim17ROCPRIM_400000_NS6detail17trampoline_kernelINS0_13select_configILj256ELj13ELNS0_17block_load_methodE3ELS4_3ELS4_3ELNS0_20block_scan_algorithmE0ELj4294967295EEENS1_25partition_config_selectorILNS1_17partition_subalgoE4EjNS0_10empty_typeEbEEZZNS1_14partition_implILS8_4ELb0ES6_15HIP_vector_typeIjLj2EENS0_17counting_iteratorIjlEEPS9_SG_NS0_5tupleIJPjSI_NS0_16reverse_iteratorISI_EEEEENSH_IJSG_SG_SG_EEES9_SI_JZNS1_25segmented_radix_sort_implINS0_14default_configELb1EPKbPbPKlPlN2at6native12_GLOBAL__N_18offset_tEEE10hipError_tPvRmT1_PNSt15iterator_traitsIS12_E10value_typeET2_T3_PNS13_IS18_E10value_typeET4_jRbjT5_S1E_jjP12ihipStream_tbEUljE_ZNSN_ISO_Lb1ESQ_SR_ST_SU_SY_EESZ_S10_S11_S12_S16_S17_S18_S1B_S1C_jS1D_jS1E_S1E_jjS1G_bEUljE0_EEESZ_S10_S11_S18_S1C_S1E_T6_T7_T9_mT8_S1G_bDpT10_ENKUlT_T0_E_clISt17integral_constantIbLb1EES1U_EEDaS1P_S1Q_EUlS1P_E_NS1_11comp_targetILNS1_3genE4ELNS1_11target_archE910ELNS1_3gpuE8ELNS1_3repE0EEENS1_30default_config_static_selectorELNS0_4arch9wavefront6targetE0EEEvS12_.num_named_barrier, 0
	.set _ZN7rocprim17ROCPRIM_400000_NS6detail17trampoline_kernelINS0_13select_configILj256ELj13ELNS0_17block_load_methodE3ELS4_3ELS4_3ELNS0_20block_scan_algorithmE0ELj4294967295EEENS1_25partition_config_selectorILNS1_17partition_subalgoE4EjNS0_10empty_typeEbEEZZNS1_14partition_implILS8_4ELb0ES6_15HIP_vector_typeIjLj2EENS0_17counting_iteratorIjlEEPS9_SG_NS0_5tupleIJPjSI_NS0_16reverse_iteratorISI_EEEEENSH_IJSG_SG_SG_EEES9_SI_JZNS1_25segmented_radix_sort_implINS0_14default_configELb1EPKbPbPKlPlN2at6native12_GLOBAL__N_18offset_tEEE10hipError_tPvRmT1_PNSt15iterator_traitsIS12_E10value_typeET2_T3_PNS13_IS18_E10value_typeET4_jRbjT5_S1E_jjP12ihipStream_tbEUljE_ZNSN_ISO_Lb1ESQ_SR_ST_SU_SY_EESZ_S10_S11_S12_S16_S17_S18_S1B_S1C_jS1D_jS1E_S1E_jjS1G_bEUljE0_EEESZ_S10_S11_S18_S1C_S1E_T6_T7_T9_mT8_S1G_bDpT10_ENKUlT_T0_E_clISt17integral_constantIbLb1EES1U_EEDaS1P_S1Q_EUlS1P_E_NS1_11comp_targetILNS1_3genE4ELNS1_11target_archE910ELNS1_3gpuE8ELNS1_3repE0EEENS1_30default_config_static_selectorELNS0_4arch9wavefront6targetE0EEEvS12_.private_seg_size, 0
	.set _ZN7rocprim17ROCPRIM_400000_NS6detail17trampoline_kernelINS0_13select_configILj256ELj13ELNS0_17block_load_methodE3ELS4_3ELS4_3ELNS0_20block_scan_algorithmE0ELj4294967295EEENS1_25partition_config_selectorILNS1_17partition_subalgoE4EjNS0_10empty_typeEbEEZZNS1_14partition_implILS8_4ELb0ES6_15HIP_vector_typeIjLj2EENS0_17counting_iteratorIjlEEPS9_SG_NS0_5tupleIJPjSI_NS0_16reverse_iteratorISI_EEEEENSH_IJSG_SG_SG_EEES9_SI_JZNS1_25segmented_radix_sort_implINS0_14default_configELb1EPKbPbPKlPlN2at6native12_GLOBAL__N_18offset_tEEE10hipError_tPvRmT1_PNSt15iterator_traitsIS12_E10value_typeET2_T3_PNS13_IS18_E10value_typeET4_jRbjT5_S1E_jjP12ihipStream_tbEUljE_ZNSN_ISO_Lb1ESQ_SR_ST_SU_SY_EESZ_S10_S11_S12_S16_S17_S18_S1B_S1C_jS1D_jS1E_S1E_jjS1G_bEUljE0_EEESZ_S10_S11_S18_S1C_S1E_T6_T7_T9_mT8_S1G_bDpT10_ENKUlT_T0_E_clISt17integral_constantIbLb1EES1U_EEDaS1P_S1Q_EUlS1P_E_NS1_11comp_targetILNS1_3genE4ELNS1_11target_archE910ELNS1_3gpuE8ELNS1_3repE0EEENS1_30default_config_static_selectorELNS0_4arch9wavefront6targetE0EEEvS12_.uses_vcc, 0
	.set _ZN7rocprim17ROCPRIM_400000_NS6detail17trampoline_kernelINS0_13select_configILj256ELj13ELNS0_17block_load_methodE3ELS4_3ELS4_3ELNS0_20block_scan_algorithmE0ELj4294967295EEENS1_25partition_config_selectorILNS1_17partition_subalgoE4EjNS0_10empty_typeEbEEZZNS1_14partition_implILS8_4ELb0ES6_15HIP_vector_typeIjLj2EENS0_17counting_iteratorIjlEEPS9_SG_NS0_5tupleIJPjSI_NS0_16reverse_iteratorISI_EEEEENSH_IJSG_SG_SG_EEES9_SI_JZNS1_25segmented_radix_sort_implINS0_14default_configELb1EPKbPbPKlPlN2at6native12_GLOBAL__N_18offset_tEEE10hipError_tPvRmT1_PNSt15iterator_traitsIS12_E10value_typeET2_T3_PNS13_IS18_E10value_typeET4_jRbjT5_S1E_jjP12ihipStream_tbEUljE_ZNSN_ISO_Lb1ESQ_SR_ST_SU_SY_EESZ_S10_S11_S12_S16_S17_S18_S1B_S1C_jS1D_jS1E_S1E_jjS1G_bEUljE0_EEESZ_S10_S11_S18_S1C_S1E_T6_T7_T9_mT8_S1G_bDpT10_ENKUlT_T0_E_clISt17integral_constantIbLb1EES1U_EEDaS1P_S1Q_EUlS1P_E_NS1_11comp_targetILNS1_3genE4ELNS1_11target_archE910ELNS1_3gpuE8ELNS1_3repE0EEENS1_30default_config_static_selectorELNS0_4arch9wavefront6targetE0EEEvS12_.uses_flat_scratch, 0
	.set _ZN7rocprim17ROCPRIM_400000_NS6detail17trampoline_kernelINS0_13select_configILj256ELj13ELNS0_17block_load_methodE3ELS4_3ELS4_3ELNS0_20block_scan_algorithmE0ELj4294967295EEENS1_25partition_config_selectorILNS1_17partition_subalgoE4EjNS0_10empty_typeEbEEZZNS1_14partition_implILS8_4ELb0ES6_15HIP_vector_typeIjLj2EENS0_17counting_iteratorIjlEEPS9_SG_NS0_5tupleIJPjSI_NS0_16reverse_iteratorISI_EEEEENSH_IJSG_SG_SG_EEES9_SI_JZNS1_25segmented_radix_sort_implINS0_14default_configELb1EPKbPbPKlPlN2at6native12_GLOBAL__N_18offset_tEEE10hipError_tPvRmT1_PNSt15iterator_traitsIS12_E10value_typeET2_T3_PNS13_IS18_E10value_typeET4_jRbjT5_S1E_jjP12ihipStream_tbEUljE_ZNSN_ISO_Lb1ESQ_SR_ST_SU_SY_EESZ_S10_S11_S12_S16_S17_S18_S1B_S1C_jS1D_jS1E_S1E_jjS1G_bEUljE0_EEESZ_S10_S11_S18_S1C_S1E_T6_T7_T9_mT8_S1G_bDpT10_ENKUlT_T0_E_clISt17integral_constantIbLb1EES1U_EEDaS1P_S1Q_EUlS1P_E_NS1_11comp_targetILNS1_3genE4ELNS1_11target_archE910ELNS1_3gpuE8ELNS1_3repE0EEENS1_30default_config_static_selectorELNS0_4arch9wavefront6targetE0EEEvS12_.has_dyn_sized_stack, 0
	.set _ZN7rocprim17ROCPRIM_400000_NS6detail17trampoline_kernelINS0_13select_configILj256ELj13ELNS0_17block_load_methodE3ELS4_3ELS4_3ELNS0_20block_scan_algorithmE0ELj4294967295EEENS1_25partition_config_selectorILNS1_17partition_subalgoE4EjNS0_10empty_typeEbEEZZNS1_14partition_implILS8_4ELb0ES6_15HIP_vector_typeIjLj2EENS0_17counting_iteratorIjlEEPS9_SG_NS0_5tupleIJPjSI_NS0_16reverse_iteratorISI_EEEEENSH_IJSG_SG_SG_EEES9_SI_JZNS1_25segmented_radix_sort_implINS0_14default_configELb1EPKbPbPKlPlN2at6native12_GLOBAL__N_18offset_tEEE10hipError_tPvRmT1_PNSt15iterator_traitsIS12_E10value_typeET2_T3_PNS13_IS18_E10value_typeET4_jRbjT5_S1E_jjP12ihipStream_tbEUljE_ZNSN_ISO_Lb1ESQ_SR_ST_SU_SY_EESZ_S10_S11_S12_S16_S17_S18_S1B_S1C_jS1D_jS1E_S1E_jjS1G_bEUljE0_EEESZ_S10_S11_S18_S1C_S1E_T6_T7_T9_mT8_S1G_bDpT10_ENKUlT_T0_E_clISt17integral_constantIbLb1EES1U_EEDaS1P_S1Q_EUlS1P_E_NS1_11comp_targetILNS1_3genE4ELNS1_11target_archE910ELNS1_3gpuE8ELNS1_3repE0EEENS1_30default_config_static_selectorELNS0_4arch9wavefront6targetE0EEEvS12_.has_recursion, 0
	.set _ZN7rocprim17ROCPRIM_400000_NS6detail17trampoline_kernelINS0_13select_configILj256ELj13ELNS0_17block_load_methodE3ELS4_3ELS4_3ELNS0_20block_scan_algorithmE0ELj4294967295EEENS1_25partition_config_selectorILNS1_17partition_subalgoE4EjNS0_10empty_typeEbEEZZNS1_14partition_implILS8_4ELb0ES6_15HIP_vector_typeIjLj2EENS0_17counting_iteratorIjlEEPS9_SG_NS0_5tupleIJPjSI_NS0_16reverse_iteratorISI_EEEEENSH_IJSG_SG_SG_EEES9_SI_JZNS1_25segmented_radix_sort_implINS0_14default_configELb1EPKbPbPKlPlN2at6native12_GLOBAL__N_18offset_tEEE10hipError_tPvRmT1_PNSt15iterator_traitsIS12_E10value_typeET2_T3_PNS13_IS18_E10value_typeET4_jRbjT5_S1E_jjP12ihipStream_tbEUljE_ZNSN_ISO_Lb1ESQ_SR_ST_SU_SY_EESZ_S10_S11_S12_S16_S17_S18_S1B_S1C_jS1D_jS1E_S1E_jjS1G_bEUljE0_EEESZ_S10_S11_S18_S1C_S1E_T6_T7_T9_mT8_S1G_bDpT10_ENKUlT_T0_E_clISt17integral_constantIbLb1EES1U_EEDaS1P_S1Q_EUlS1P_E_NS1_11comp_targetILNS1_3genE4ELNS1_11target_archE910ELNS1_3gpuE8ELNS1_3repE0EEENS1_30default_config_static_selectorELNS0_4arch9wavefront6targetE0EEEvS12_.has_indirect_call, 0
	.section	.AMDGPU.csdata,"",@progbits
; Kernel info:
; codeLenInByte = 0
; TotalNumSgprs: 0
; NumVgprs: 0
; ScratchSize: 0
; MemoryBound: 0
; FloatMode: 240
; IeeeMode: 1
; LDSByteSize: 0 bytes/workgroup (compile time only)
; SGPRBlocks: 0
; VGPRBlocks: 0
; NumSGPRsForWavesPerEU: 1
; NumVGPRsForWavesPerEU: 1
; Occupancy: 16
; WaveLimiterHint : 0
; COMPUTE_PGM_RSRC2:SCRATCH_EN: 0
; COMPUTE_PGM_RSRC2:USER_SGPR: 6
; COMPUTE_PGM_RSRC2:TRAP_HANDLER: 0
; COMPUTE_PGM_RSRC2:TGID_X_EN: 1
; COMPUTE_PGM_RSRC2:TGID_Y_EN: 0
; COMPUTE_PGM_RSRC2:TGID_Z_EN: 0
; COMPUTE_PGM_RSRC2:TIDIG_COMP_CNT: 0
	.section	.text._ZN7rocprim17ROCPRIM_400000_NS6detail17trampoline_kernelINS0_13select_configILj256ELj13ELNS0_17block_load_methodE3ELS4_3ELS4_3ELNS0_20block_scan_algorithmE0ELj4294967295EEENS1_25partition_config_selectorILNS1_17partition_subalgoE4EjNS0_10empty_typeEbEEZZNS1_14partition_implILS8_4ELb0ES6_15HIP_vector_typeIjLj2EENS0_17counting_iteratorIjlEEPS9_SG_NS0_5tupleIJPjSI_NS0_16reverse_iteratorISI_EEEEENSH_IJSG_SG_SG_EEES9_SI_JZNS1_25segmented_radix_sort_implINS0_14default_configELb1EPKbPbPKlPlN2at6native12_GLOBAL__N_18offset_tEEE10hipError_tPvRmT1_PNSt15iterator_traitsIS12_E10value_typeET2_T3_PNS13_IS18_E10value_typeET4_jRbjT5_S1E_jjP12ihipStream_tbEUljE_ZNSN_ISO_Lb1ESQ_SR_ST_SU_SY_EESZ_S10_S11_S12_S16_S17_S18_S1B_S1C_jS1D_jS1E_S1E_jjS1G_bEUljE0_EEESZ_S10_S11_S18_S1C_S1E_T6_T7_T9_mT8_S1G_bDpT10_ENKUlT_T0_E_clISt17integral_constantIbLb1EES1U_EEDaS1P_S1Q_EUlS1P_E_NS1_11comp_targetILNS1_3genE3ELNS1_11target_archE908ELNS1_3gpuE7ELNS1_3repE0EEENS1_30default_config_static_selectorELNS0_4arch9wavefront6targetE0EEEvS12_,"axG",@progbits,_ZN7rocprim17ROCPRIM_400000_NS6detail17trampoline_kernelINS0_13select_configILj256ELj13ELNS0_17block_load_methodE3ELS4_3ELS4_3ELNS0_20block_scan_algorithmE0ELj4294967295EEENS1_25partition_config_selectorILNS1_17partition_subalgoE4EjNS0_10empty_typeEbEEZZNS1_14partition_implILS8_4ELb0ES6_15HIP_vector_typeIjLj2EENS0_17counting_iteratorIjlEEPS9_SG_NS0_5tupleIJPjSI_NS0_16reverse_iteratorISI_EEEEENSH_IJSG_SG_SG_EEES9_SI_JZNS1_25segmented_radix_sort_implINS0_14default_configELb1EPKbPbPKlPlN2at6native12_GLOBAL__N_18offset_tEEE10hipError_tPvRmT1_PNSt15iterator_traitsIS12_E10value_typeET2_T3_PNS13_IS18_E10value_typeET4_jRbjT5_S1E_jjP12ihipStream_tbEUljE_ZNSN_ISO_Lb1ESQ_SR_ST_SU_SY_EESZ_S10_S11_S12_S16_S17_S18_S1B_S1C_jS1D_jS1E_S1E_jjS1G_bEUljE0_EEESZ_S10_S11_S18_S1C_S1E_T6_T7_T9_mT8_S1G_bDpT10_ENKUlT_T0_E_clISt17integral_constantIbLb1EES1U_EEDaS1P_S1Q_EUlS1P_E_NS1_11comp_targetILNS1_3genE3ELNS1_11target_archE908ELNS1_3gpuE7ELNS1_3repE0EEENS1_30default_config_static_selectorELNS0_4arch9wavefront6targetE0EEEvS12_,comdat
	.globl	_ZN7rocprim17ROCPRIM_400000_NS6detail17trampoline_kernelINS0_13select_configILj256ELj13ELNS0_17block_load_methodE3ELS4_3ELS4_3ELNS0_20block_scan_algorithmE0ELj4294967295EEENS1_25partition_config_selectorILNS1_17partition_subalgoE4EjNS0_10empty_typeEbEEZZNS1_14partition_implILS8_4ELb0ES6_15HIP_vector_typeIjLj2EENS0_17counting_iteratorIjlEEPS9_SG_NS0_5tupleIJPjSI_NS0_16reverse_iteratorISI_EEEEENSH_IJSG_SG_SG_EEES9_SI_JZNS1_25segmented_radix_sort_implINS0_14default_configELb1EPKbPbPKlPlN2at6native12_GLOBAL__N_18offset_tEEE10hipError_tPvRmT1_PNSt15iterator_traitsIS12_E10value_typeET2_T3_PNS13_IS18_E10value_typeET4_jRbjT5_S1E_jjP12ihipStream_tbEUljE_ZNSN_ISO_Lb1ESQ_SR_ST_SU_SY_EESZ_S10_S11_S12_S16_S17_S18_S1B_S1C_jS1D_jS1E_S1E_jjS1G_bEUljE0_EEESZ_S10_S11_S18_S1C_S1E_T6_T7_T9_mT8_S1G_bDpT10_ENKUlT_T0_E_clISt17integral_constantIbLb1EES1U_EEDaS1P_S1Q_EUlS1P_E_NS1_11comp_targetILNS1_3genE3ELNS1_11target_archE908ELNS1_3gpuE7ELNS1_3repE0EEENS1_30default_config_static_selectorELNS0_4arch9wavefront6targetE0EEEvS12_ ; -- Begin function _ZN7rocprim17ROCPRIM_400000_NS6detail17trampoline_kernelINS0_13select_configILj256ELj13ELNS0_17block_load_methodE3ELS4_3ELS4_3ELNS0_20block_scan_algorithmE0ELj4294967295EEENS1_25partition_config_selectorILNS1_17partition_subalgoE4EjNS0_10empty_typeEbEEZZNS1_14partition_implILS8_4ELb0ES6_15HIP_vector_typeIjLj2EENS0_17counting_iteratorIjlEEPS9_SG_NS0_5tupleIJPjSI_NS0_16reverse_iteratorISI_EEEEENSH_IJSG_SG_SG_EEES9_SI_JZNS1_25segmented_radix_sort_implINS0_14default_configELb1EPKbPbPKlPlN2at6native12_GLOBAL__N_18offset_tEEE10hipError_tPvRmT1_PNSt15iterator_traitsIS12_E10value_typeET2_T3_PNS13_IS18_E10value_typeET4_jRbjT5_S1E_jjP12ihipStream_tbEUljE_ZNSN_ISO_Lb1ESQ_SR_ST_SU_SY_EESZ_S10_S11_S12_S16_S17_S18_S1B_S1C_jS1D_jS1E_S1E_jjS1G_bEUljE0_EEESZ_S10_S11_S18_S1C_S1E_T6_T7_T9_mT8_S1G_bDpT10_ENKUlT_T0_E_clISt17integral_constantIbLb1EES1U_EEDaS1P_S1Q_EUlS1P_E_NS1_11comp_targetILNS1_3genE3ELNS1_11target_archE908ELNS1_3gpuE7ELNS1_3repE0EEENS1_30default_config_static_selectorELNS0_4arch9wavefront6targetE0EEEvS12_
	.p2align	8
	.type	_ZN7rocprim17ROCPRIM_400000_NS6detail17trampoline_kernelINS0_13select_configILj256ELj13ELNS0_17block_load_methodE3ELS4_3ELS4_3ELNS0_20block_scan_algorithmE0ELj4294967295EEENS1_25partition_config_selectorILNS1_17partition_subalgoE4EjNS0_10empty_typeEbEEZZNS1_14partition_implILS8_4ELb0ES6_15HIP_vector_typeIjLj2EENS0_17counting_iteratorIjlEEPS9_SG_NS0_5tupleIJPjSI_NS0_16reverse_iteratorISI_EEEEENSH_IJSG_SG_SG_EEES9_SI_JZNS1_25segmented_radix_sort_implINS0_14default_configELb1EPKbPbPKlPlN2at6native12_GLOBAL__N_18offset_tEEE10hipError_tPvRmT1_PNSt15iterator_traitsIS12_E10value_typeET2_T3_PNS13_IS18_E10value_typeET4_jRbjT5_S1E_jjP12ihipStream_tbEUljE_ZNSN_ISO_Lb1ESQ_SR_ST_SU_SY_EESZ_S10_S11_S12_S16_S17_S18_S1B_S1C_jS1D_jS1E_S1E_jjS1G_bEUljE0_EEESZ_S10_S11_S18_S1C_S1E_T6_T7_T9_mT8_S1G_bDpT10_ENKUlT_T0_E_clISt17integral_constantIbLb1EES1U_EEDaS1P_S1Q_EUlS1P_E_NS1_11comp_targetILNS1_3genE3ELNS1_11target_archE908ELNS1_3gpuE7ELNS1_3repE0EEENS1_30default_config_static_selectorELNS0_4arch9wavefront6targetE0EEEvS12_,@function
_ZN7rocprim17ROCPRIM_400000_NS6detail17trampoline_kernelINS0_13select_configILj256ELj13ELNS0_17block_load_methodE3ELS4_3ELS4_3ELNS0_20block_scan_algorithmE0ELj4294967295EEENS1_25partition_config_selectorILNS1_17partition_subalgoE4EjNS0_10empty_typeEbEEZZNS1_14partition_implILS8_4ELb0ES6_15HIP_vector_typeIjLj2EENS0_17counting_iteratorIjlEEPS9_SG_NS0_5tupleIJPjSI_NS0_16reverse_iteratorISI_EEEEENSH_IJSG_SG_SG_EEES9_SI_JZNS1_25segmented_radix_sort_implINS0_14default_configELb1EPKbPbPKlPlN2at6native12_GLOBAL__N_18offset_tEEE10hipError_tPvRmT1_PNSt15iterator_traitsIS12_E10value_typeET2_T3_PNS13_IS18_E10value_typeET4_jRbjT5_S1E_jjP12ihipStream_tbEUljE_ZNSN_ISO_Lb1ESQ_SR_ST_SU_SY_EESZ_S10_S11_S12_S16_S17_S18_S1B_S1C_jS1D_jS1E_S1E_jjS1G_bEUljE0_EEESZ_S10_S11_S18_S1C_S1E_T6_T7_T9_mT8_S1G_bDpT10_ENKUlT_T0_E_clISt17integral_constantIbLb1EES1U_EEDaS1P_S1Q_EUlS1P_E_NS1_11comp_targetILNS1_3genE3ELNS1_11target_archE908ELNS1_3gpuE7ELNS1_3repE0EEENS1_30default_config_static_selectorELNS0_4arch9wavefront6targetE0EEEvS12_: ; @_ZN7rocprim17ROCPRIM_400000_NS6detail17trampoline_kernelINS0_13select_configILj256ELj13ELNS0_17block_load_methodE3ELS4_3ELS4_3ELNS0_20block_scan_algorithmE0ELj4294967295EEENS1_25partition_config_selectorILNS1_17partition_subalgoE4EjNS0_10empty_typeEbEEZZNS1_14partition_implILS8_4ELb0ES6_15HIP_vector_typeIjLj2EENS0_17counting_iteratorIjlEEPS9_SG_NS0_5tupleIJPjSI_NS0_16reverse_iteratorISI_EEEEENSH_IJSG_SG_SG_EEES9_SI_JZNS1_25segmented_radix_sort_implINS0_14default_configELb1EPKbPbPKlPlN2at6native12_GLOBAL__N_18offset_tEEE10hipError_tPvRmT1_PNSt15iterator_traitsIS12_E10value_typeET2_T3_PNS13_IS18_E10value_typeET4_jRbjT5_S1E_jjP12ihipStream_tbEUljE_ZNSN_ISO_Lb1ESQ_SR_ST_SU_SY_EESZ_S10_S11_S12_S16_S17_S18_S1B_S1C_jS1D_jS1E_S1E_jjS1G_bEUljE0_EEESZ_S10_S11_S18_S1C_S1E_T6_T7_T9_mT8_S1G_bDpT10_ENKUlT_T0_E_clISt17integral_constantIbLb1EES1U_EEDaS1P_S1Q_EUlS1P_E_NS1_11comp_targetILNS1_3genE3ELNS1_11target_archE908ELNS1_3gpuE7ELNS1_3repE0EEENS1_30default_config_static_selectorELNS0_4arch9wavefront6targetE0EEEvS12_
; %bb.0:
	.section	.rodata,"a",@progbits
	.p2align	6, 0x0
	.amdhsa_kernel _ZN7rocprim17ROCPRIM_400000_NS6detail17trampoline_kernelINS0_13select_configILj256ELj13ELNS0_17block_load_methodE3ELS4_3ELS4_3ELNS0_20block_scan_algorithmE0ELj4294967295EEENS1_25partition_config_selectorILNS1_17partition_subalgoE4EjNS0_10empty_typeEbEEZZNS1_14partition_implILS8_4ELb0ES6_15HIP_vector_typeIjLj2EENS0_17counting_iteratorIjlEEPS9_SG_NS0_5tupleIJPjSI_NS0_16reverse_iteratorISI_EEEEENSH_IJSG_SG_SG_EEES9_SI_JZNS1_25segmented_radix_sort_implINS0_14default_configELb1EPKbPbPKlPlN2at6native12_GLOBAL__N_18offset_tEEE10hipError_tPvRmT1_PNSt15iterator_traitsIS12_E10value_typeET2_T3_PNS13_IS18_E10value_typeET4_jRbjT5_S1E_jjP12ihipStream_tbEUljE_ZNSN_ISO_Lb1ESQ_SR_ST_SU_SY_EESZ_S10_S11_S12_S16_S17_S18_S1B_S1C_jS1D_jS1E_S1E_jjS1G_bEUljE0_EEESZ_S10_S11_S18_S1C_S1E_T6_T7_T9_mT8_S1G_bDpT10_ENKUlT_T0_E_clISt17integral_constantIbLb1EES1U_EEDaS1P_S1Q_EUlS1P_E_NS1_11comp_targetILNS1_3genE3ELNS1_11target_archE908ELNS1_3gpuE7ELNS1_3repE0EEENS1_30default_config_static_selectorELNS0_4arch9wavefront6targetE0EEEvS12_
		.amdhsa_group_segment_fixed_size 0
		.amdhsa_private_segment_fixed_size 0
		.amdhsa_kernarg_size 184
		.amdhsa_user_sgpr_count 6
		.amdhsa_user_sgpr_private_segment_buffer 1
		.amdhsa_user_sgpr_dispatch_ptr 0
		.amdhsa_user_sgpr_queue_ptr 0
		.amdhsa_user_sgpr_kernarg_segment_ptr 1
		.amdhsa_user_sgpr_dispatch_id 0
		.amdhsa_user_sgpr_flat_scratch_init 0
		.amdhsa_user_sgpr_private_segment_size 0
		.amdhsa_wavefront_size32 1
		.amdhsa_uses_dynamic_stack 0
		.amdhsa_system_sgpr_private_segment_wavefront_offset 0
		.amdhsa_system_sgpr_workgroup_id_x 1
		.amdhsa_system_sgpr_workgroup_id_y 0
		.amdhsa_system_sgpr_workgroup_id_z 0
		.amdhsa_system_sgpr_workgroup_info 0
		.amdhsa_system_vgpr_workitem_id 0
		.amdhsa_next_free_vgpr 1
		.amdhsa_next_free_sgpr 1
		.amdhsa_reserve_vcc 0
		.amdhsa_reserve_flat_scratch 0
		.amdhsa_float_round_mode_32 0
		.amdhsa_float_round_mode_16_64 0
		.amdhsa_float_denorm_mode_32 3
		.amdhsa_float_denorm_mode_16_64 3
		.amdhsa_dx10_clamp 1
		.amdhsa_ieee_mode 1
		.amdhsa_fp16_overflow 0
		.amdhsa_workgroup_processor_mode 1
		.amdhsa_memory_ordered 1
		.amdhsa_forward_progress 1
		.amdhsa_shared_vgpr_count 0
		.amdhsa_exception_fp_ieee_invalid_op 0
		.amdhsa_exception_fp_denorm_src 0
		.amdhsa_exception_fp_ieee_div_zero 0
		.amdhsa_exception_fp_ieee_overflow 0
		.amdhsa_exception_fp_ieee_underflow 0
		.amdhsa_exception_fp_ieee_inexact 0
		.amdhsa_exception_int_div_zero 0
	.end_amdhsa_kernel
	.section	.text._ZN7rocprim17ROCPRIM_400000_NS6detail17trampoline_kernelINS0_13select_configILj256ELj13ELNS0_17block_load_methodE3ELS4_3ELS4_3ELNS0_20block_scan_algorithmE0ELj4294967295EEENS1_25partition_config_selectorILNS1_17partition_subalgoE4EjNS0_10empty_typeEbEEZZNS1_14partition_implILS8_4ELb0ES6_15HIP_vector_typeIjLj2EENS0_17counting_iteratorIjlEEPS9_SG_NS0_5tupleIJPjSI_NS0_16reverse_iteratorISI_EEEEENSH_IJSG_SG_SG_EEES9_SI_JZNS1_25segmented_radix_sort_implINS0_14default_configELb1EPKbPbPKlPlN2at6native12_GLOBAL__N_18offset_tEEE10hipError_tPvRmT1_PNSt15iterator_traitsIS12_E10value_typeET2_T3_PNS13_IS18_E10value_typeET4_jRbjT5_S1E_jjP12ihipStream_tbEUljE_ZNSN_ISO_Lb1ESQ_SR_ST_SU_SY_EESZ_S10_S11_S12_S16_S17_S18_S1B_S1C_jS1D_jS1E_S1E_jjS1G_bEUljE0_EEESZ_S10_S11_S18_S1C_S1E_T6_T7_T9_mT8_S1G_bDpT10_ENKUlT_T0_E_clISt17integral_constantIbLb1EES1U_EEDaS1P_S1Q_EUlS1P_E_NS1_11comp_targetILNS1_3genE3ELNS1_11target_archE908ELNS1_3gpuE7ELNS1_3repE0EEENS1_30default_config_static_selectorELNS0_4arch9wavefront6targetE0EEEvS12_,"axG",@progbits,_ZN7rocprim17ROCPRIM_400000_NS6detail17trampoline_kernelINS0_13select_configILj256ELj13ELNS0_17block_load_methodE3ELS4_3ELS4_3ELNS0_20block_scan_algorithmE0ELj4294967295EEENS1_25partition_config_selectorILNS1_17partition_subalgoE4EjNS0_10empty_typeEbEEZZNS1_14partition_implILS8_4ELb0ES6_15HIP_vector_typeIjLj2EENS0_17counting_iteratorIjlEEPS9_SG_NS0_5tupleIJPjSI_NS0_16reverse_iteratorISI_EEEEENSH_IJSG_SG_SG_EEES9_SI_JZNS1_25segmented_radix_sort_implINS0_14default_configELb1EPKbPbPKlPlN2at6native12_GLOBAL__N_18offset_tEEE10hipError_tPvRmT1_PNSt15iterator_traitsIS12_E10value_typeET2_T3_PNS13_IS18_E10value_typeET4_jRbjT5_S1E_jjP12ihipStream_tbEUljE_ZNSN_ISO_Lb1ESQ_SR_ST_SU_SY_EESZ_S10_S11_S12_S16_S17_S18_S1B_S1C_jS1D_jS1E_S1E_jjS1G_bEUljE0_EEESZ_S10_S11_S18_S1C_S1E_T6_T7_T9_mT8_S1G_bDpT10_ENKUlT_T0_E_clISt17integral_constantIbLb1EES1U_EEDaS1P_S1Q_EUlS1P_E_NS1_11comp_targetILNS1_3genE3ELNS1_11target_archE908ELNS1_3gpuE7ELNS1_3repE0EEENS1_30default_config_static_selectorELNS0_4arch9wavefront6targetE0EEEvS12_,comdat
.Lfunc_end1471:
	.size	_ZN7rocprim17ROCPRIM_400000_NS6detail17trampoline_kernelINS0_13select_configILj256ELj13ELNS0_17block_load_methodE3ELS4_3ELS4_3ELNS0_20block_scan_algorithmE0ELj4294967295EEENS1_25partition_config_selectorILNS1_17partition_subalgoE4EjNS0_10empty_typeEbEEZZNS1_14partition_implILS8_4ELb0ES6_15HIP_vector_typeIjLj2EENS0_17counting_iteratorIjlEEPS9_SG_NS0_5tupleIJPjSI_NS0_16reverse_iteratorISI_EEEEENSH_IJSG_SG_SG_EEES9_SI_JZNS1_25segmented_radix_sort_implINS0_14default_configELb1EPKbPbPKlPlN2at6native12_GLOBAL__N_18offset_tEEE10hipError_tPvRmT1_PNSt15iterator_traitsIS12_E10value_typeET2_T3_PNS13_IS18_E10value_typeET4_jRbjT5_S1E_jjP12ihipStream_tbEUljE_ZNSN_ISO_Lb1ESQ_SR_ST_SU_SY_EESZ_S10_S11_S12_S16_S17_S18_S1B_S1C_jS1D_jS1E_S1E_jjS1G_bEUljE0_EEESZ_S10_S11_S18_S1C_S1E_T6_T7_T9_mT8_S1G_bDpT10_ENKUlT_T0_E_clISt17integral_constantIbLb1EES1U_EEDaS1P_S1Q_EUlS1P_E_NS1_11comp_targetILNS1_3genE3ELNS1_11target_archE908ELNS1_3gpuE7ELNS1_3repE0EEENS1_30default_config_static_selectorELNS0_4arch9wavefront6targetE0EEEvS12_, .Lfunc_end1471-_ZN7rocprim17ROCPRIM_400000_NS6detail17trampoline_kernelINS0_13select_configILj256ELj13ELNS0_17block_load_methodE3ELS4_3ELS4_3ELNS0_20block_scan_algorithmE0ELj4294967295EEENS1_25partition_config_selectorILNS1_17partition_subalgoE4EjNS0_10empty_typeEbEEZZNS1_14partition_implILS8_4ELb0ES6_15HIP_vector_typeIjLj2EENS0_17counting_iteratorIjlEEPS9_SG_NS0_5tupleIJPjSI_NS0_16reverse_iteratorISI_EEEEENSH_IJSG_SG_SG_EEES9_SI_JZNS1_25segmented_radix_sort_implINS0_14default_configELb1EPKbPbPKlPlN2at6native12_GLOBAL__N_18offset_tEEE10hipError_tPvRmT1_PNSt15iterator_traitsIS12_E10value_typeET2_T3_PNS13_IS18_E10value_typeET4_jRbjT5_S1E_jjP12ihipStream_tbEUljE_ZNSN_ISO_Lb1ESQ_SR_ST_SU_SY_EESZ_S10_S11_S12_S16_S17_S18_S1B_S1C_jS1D_jS1E_S1E_jjS1G_bEUljE0_EEESZ_S10_S11_S18_S1C_S1E_T6_T7_T9_mT8_S1G_bDpT10_ENKUlT_T0_E_clISt17integral_constantIbLb1EES1U_EEDaS1P_S1Q_EUlS1P_E_NS1_11comp_targetILNS1_3genE3ELNS1_11target_archE908ELNS1_3gpuE7ELNS1_3repE0EEENS1_30default_config_static_selectorELNS0_4arch9wavefront6targetE0EEEvS12_
                                        ; -- End function
	.set _ZN7rocprim17ROCPRIM_400000_NS6detail17trampoline_kernelINS0_13select_configILj256ELj13ELNS0_17block_load_methodE3ELS4_3ELS4_3ELNS0_20block_scan_algorithmE0ELj4294967295EEENS1_25partition_config_selectorILNS1_17partition_subalgoE4EjNS0_10empty_typeEbEEZZNS1_14partition_implILS8_4ELb0ES6_15HIP_vector_typeIjLj2EENS0_17counting_iteratorIjlEEPS9_SG_NS0_5tupleIJPjSI_NS0_16reverse_iteratorISI_EEEEENSH_IJSG_SG_SG_EEES9_SI_JZNS1_25segmented_radix_sort_implINS0_14default_configELb1EPKbPbPKlPlN2at6native12_GLOBAL__N_18offset_tEEE10hipError_tPvRmT1_PNSt15iterator_traitsIS12_E10value_typeET2_T3_PNS13_IS18_E10value_typeET4_jRbjT5_S1E_jjP12ihipStream_tbEUljE_ZNSN_ISO_Lb1ESQ_SR_ST_SU_SY_EESZ_S10_S11_S12_S16_S17_S18_S1B_S1C_jS1D_jS1E_S1E_jjS1G_bEUljE0_EEESZ_S10_S11_S18_S1C_S1E_T6_T7_T9_mT8_S1G_bDpT10_ENKUlT_T0_E_clISt17integral_constantIbLb1EES1U_EEDaS1P_S1Q_EUlS1P_E_NS1_11comp_targetILNS1_3genE3ELNS1_11target_archE908ELNS1_3gpuE7ELNS1_3repE0EEENS1_30default_config_static_selectorELNS0_4arch9wavefront6targetE0EEEvS12_.num_vgpr, 0
	.set _ZN7rocprim17ROCPRIM_400000_NS6detail17trampoline_kernelINS0_13select_configILj256ELj13ELNS0_17block_load_methodE3ELS4_3ELS4_3ELNS0_20block_scan_algorithmE0ELj4294967295EEENS1_25partition_config_selectorILNS1_17partition_subalgoE4EjNS0_10empty_typeEbEEZZNS1_14partition_implILS8_4ELb0ES6_15HIP_vector_typeIjLj2EENS0_17counting_iteratorIjlEEPS9_SG_NS0_5tupleIJPjSI_NS0_16reverse_iteratorISI_EEEEENSH_IJSG_SG_SG_EEES9_SI_JZNS1_25segmented_radix_sort_implINS0_14default_configELb1EPKbPbPKlPlN2at6native12_GLOBAL__N_18offset_tEEE10hipError_tPvRmT1_PNSt15iterator_traitsIS12_E10value_typeET2_T3_PNS13_IS18_E10value_typeET4_jRbjT5_S1E_jjP12ihipStream_tbEUljE_ZNSN_ISO_Lb1ESQ_SR_ST_SU_SY_EESZ_S10_S11_S12_S16_S17_S18_S1B_S1C_jS1D_jS1E_S1E_jjS1G_bEUljE0_EEESZ_S10_S11_S18_S1C_S1E_T6_T7_T9_mT8_S1G_bDpT10_ENKUlT_T0_E_clISt17integral_constantIbLb1EES1U_EEDaS1P_S1Q_EUlS1P_E_NS1_11comp_targetILNS1_3genE3ELNS1_11target_archE908ELNS1_3gpuE7ELNS1_3repE0EEENS1_30default_config_static_selectorELNS0_4arch9wavefront6targetE0EEEvS12_.num_agpr, 0
	.set _ZN7rocprim17ROCPRIM_400000_NS6detail17trampoline_kernelINS0_13select_configILj256ELj13ELNS0_17block_load_methodE3ELS4_3ELS4_3ELNS0_20block_scan_algorithmE0ELj4294967295EEENS1_25partition_config_selectorILNS1_17partition_subalgoE4EjNS0_10empty_typeEbEEZZNS1_14partition_implILS8_4ELb0ES6_15HIP_vector_typeIjLj2EENS0_17counting_iteratorIjlEEPS9_SG_NS0_5tupleIJPjSI_NS0_16reverse_iteratorISI_EEEEENSH_IJSG_SG_SG_EEES9_SI_JZNS1_25segmented_radix_sort_implINS0_14default_configELb1EPKbPbPKlPlN2at6native12_GLOBAL__N_18offset_tEEE10hipError_tPvRmT1_PNSt15iterator_traitsIS12_E10value_typeET2_T3_PNS13_IS18_E10value_typeET4_jRbjT5_S1E_jjP12ihipStream_tbEUljE_ZNSN_ISO_Lb1ESQ_SR_ST_SU_SY_EESZ_S10_S11_S12_S16_S17_S18_S1B_S1C_jS1D_jS1E_S1E_jjS1G_bEUljE0_EEESZ_S10_S11_S18_S1C_S1E_T6_T7_T9_mT8_S1G_bDpT10_ENKUlT_T0_E_clISt17integral_constantIbLb1EES1U_EEDaS1P_S1Q_EUlS1P_E_NS1_11comp_targetILNS1_3genE3ELNS1_11target_archE908ELNS1_3gpuE7ELNS1_3repE0EEENS1_30default_config_static_selectorELNS0_4arch9wavefront6targetE0EEEvS12_.numbered_sgpr, 0
	.set _ZN7rocprim17ROCPRIM_400000_NS6detail17trampoline_kernelINS0_13select_configILj256ELj13ELNS0_17block_load_methodE3ELS4_3ELS4_3ELNS0_20block_scan_algorithmE0ELj4294967295EEENS1_25partition_config_selectorILNS1_17partition_subalgoE4EjNS0_10empty_typeEbEEZZNS1_14partition_implILS8_4ELb0ES6_15HIP_vector_typeIjLj2EENS0_17counting_iteratorIjlEEPS9_SG_NS0_5tupleIJPjSI_NS0_16reverse_iteratorISI_EEEEENSH_IJSG_SG_SG_EEES9_SI_JZNS1_25segmented_radix_sort_implINS0_14default_configELb1EPKbPbPKlPlN2at6native12_GLOBAL__N_18offset_tEEE10hipError_tPvRmT1_PNSt15iterator_traitsIS12_E10value_typeET2_T3_PNS13_IS18_E10value_typeET4_jRbjT5_S1E_jjP12ihipStream_tbEUljE_ZNSN_ISO_Lb1ESQ_SR_ST_SU_SY_EESZ_S10_S11_S12_S16_S17_S18_S1B_S1C_jS1D_jS1E_S1E_jjS1G_bEUljE0_EEESZ_S10_S11_S18_S1C_S1E_T6_T7_T9_mT8_S1G_bDpT10_ENKUlT_T0_E_clISt17integral_constantIbLb1EES1U_EEDaS1P_S1Q_EUlS1P_E_NS1_11comp_targetILNS1_3genE3ELNS1_11target_archE908ELNS1_3gpuE7ELNS1_3repE0EEENS1_30default_config_static_selectorELNS0_4arch9wavefront6targetE0EEEvS12_.num_named_barrier, 0
	.set _ZN7rocprim17ROCPRIM_400000_NS6detail17trampoline_kernelINS0_13select_configILj256ELj13ELNS0_17block_load_methodE3ELS4_3ELS4_3ELNS0_20block_scan_algorithmE0ELj4294967295EEENS1_25partition_config_selectorILNS1_17partition_subalgoE4EjNS0_10empty_typeEbEEZZNS1_14partition_implILS8_4ELb0ES6_15HIP_vector_typeIjLj2EENS0_17counting_iteratorIjlEEPS9_SG_NS0_5tupleIJPjSI_NS0_16reverse_iteratorISI_EEEEENSH_IJSG_SG_SG_EEES9_SI_JZNS1_25segmented_radix_sort_implINS0_14default_configELb1EPKbPbPKlPlN2at6native12_GLOBAL__N_18offset_tEEE10hipError_tPvRmT1_PNSt15iterator_traitsIS12_E10value_typeET2_T3_PNS13_IS18_E10value_typeET4_jRbjT5_S1E_jjP12ihipStream_tbEUljE_ZNSN_ISO_Lb1ESQ_SR_ST_SU_SY_EESZ_S10_S11_S12_S16_S17_S18_S1B_S1C_jS1D_jS1E_S1E_jjS1G_bEUljE0_EEESZ_S10_S11_S18_S1C_S1E_T6_T7_T9_mT8_S1G_bDpT10_ENKUlT_T0_E_clISt17integral_constantIbLb1EES1U_EEDaS1P_S1Q_EUlS1P_E_NS1_11comp_targetILNS1_3genE3ELNS1_11target_archE908ELNS1_3gpuE7ELNS1_3repE0EEENS1_30default_config_static_selectorELNS0_4arch9wavefront6targetE0EEEvS12_.private_seg_size, 0
	.set _ZN7rocprim17ROCPRIM_400000_NS6detail17trampoline_kernelINS0_13select_configILj256ELj13ELNS0_17block_load_methodE3ELS4_3ELS4_3ELNS0_20block_scan_algorithmE0ELj4294967295EEENS1_25partition_config_selectorILNS1_17partition_subalgoE4EjNS0_10empty_typeEbEEZZNS1_14partition_implILS8_4ELb0ES6_15HIP_vector_typeIjLj2EENS0_17counting_iteratorIjlEEPS9_SG_NS0_5tupleIJPjSI_NS0_16reverse_iteratorISI_EEEEENSH_IJSG_SG_SG_EEES9_SI_JZNS1_25segmented_radix_sort_implINS0_14default_configELb1EPKbPbPKlPlN2at6native12_GLOBAL__N_18offset_tEEE10hipError_tPvRmT1_PNSt15iterator_traitsIS12_E10value_typeET2_T3_PNS13_IS18_E10value_typeET4_jRbjT5_S1E_jjP12ihipStream_tbEUljE_ZNSN_ISO_Lb1ESQ_SR_ST_SU_SY_EESZ_S10_S11_S12_S16_S17_S18_S1B_S1C_jS1D_jS1E_S1E_jjS1G_bEUljE0_EEESZ_S10_S11_S18_S1C_S1E_T6_T7_T9_mT8_S1G_bDpT10_ENKUlT_T0_E_clISt17integral_constantIbLb1EES1U_EEDaS1P_S1Q_EUlS1P_E_NS1_11comp_targetILNS1_3genE3ELNS1_11target_archE908ELNS1_3gpuE7ELNS1_3repE0EEENS1_30default_config_static_selectorELNS0_4arch9wavefront6targetE0EEEvS12_.uses_vcc, 0
	.set _ZN7rocprim17ROCPRIM_400000_NS6detail17trampoline_kernelINS0_13select_configILj256ELj13ELNS0_17block_load_methodE3ELS4_3ELS4_3ELNS0_20block_scan_algorithmE0ELj4294967295EEENS1_25partition_config_selectorILNS1_17partition_subalgoE4EjNS0_10empty_typeEbEEZZNS1_14partition_implILS8_4ELb0ES6_15HIP_vector_typeIjLj2EENS0_17counting_iteratorIjlEEPS9_SG_NS0_5tupleIJPjSI_NS0_16reverse_iteratorISI_EEEEENSH_IJSG_SG_SG_EEES9_SI_JZNS1_25segmented_radix_sort_implINS0_14default_configELb1EPKbPbPKlPlN2at6native12_GLOBAL__N_18offset_tEEE10hipError_tPvRmT1_PNSt15iterator_traitsIS12_E10value_typeET2_T3_PNS13_IS18_E10value_typeET4_jRbjT5_S1E_jjP12ihipStream_tbEUljE_ZNSN_ISO_Lb1ESQ_SR_ST_SU_SY_EESZ_S10_S11_S12_S16_S17_S18_S1B_S1C_jS1D_jS1E_S1E_jjS1G_bEUljE0_EEESZ_S10_S11_S18_S1C_S1E_T6_T7_T9_mT8_S1G_bDpT10_ENKUlT_T0_E_clISt17integral_constantIbLb1EES1U_EEDaS1P_S1Q_EUlS1P_E_NS1_11comp_targetILNS1_3genE3ELNS1_11target_archE908ELNS1_3gpuE7ELNS1_3repE0EEENS1_30default_config_static_selectorELNS0_4arch9wavefront6targetE0EEEvS12_.uses_flat_scratch, 0
	.set _ZN7rocprim17ROCPRIM_400000_NS6detail17trampoline_kernelINS0_13select_configILj256ELj13ELNS0_17block_load_methodE3ELS4_3ELS4_3ELNS0_20block_scan_algorithmE0ELj4294967295EEENS1_25partition_config_selectorILNS1_17partition_subalgoE4EjNS0_10empty_typeEbEEZZNS1_14partition_implILS8_4ELb0ES6_15HIP_vector_typeIjLj2EENS0_17counting_iteratorIjlEEPS9_SG_NS0_5tupleIJPjSI_NS0_16reverse_iteratorISI_EEEEENSH_IJSG_SG_SG_EEES9_SI_JZNS1_25segmented_radix_sort_implINS0_14default_configELb1EPKbPbPKlPlN2at6native12_GLOBAL__N_18offset_tEEE10hipError_tPvRmT1_PNSt15iterator_traitsIS12_E10value_typeET2_T3_PNS13_IS18_E10value_typeET4_jRbjT5_S1E_jjP12ihipStream_tbEUljE_ZNSN_ISO_Lb1ESQ_SR_ST_SU_SY_EESZ_S10_S11_S12_S16_S17_S18_S1B_S1C_jS1D_jS1E_S1E_jjS1G_bEUljE0_EEESZ_S10_S11_S18_S1C_S1E_T6_T7_T9_mT8_S1G_bDpT10_ENKUlT_T0_E_clISt17integral_constantIbLb1EES1U_EEDaS1P_S1Q_EUlS1P_E_NS1_11comp_targetILNS1_3genE3ELNS1_11target_archE908ELNS1_3gpuE7ELNS1_3repE0EEENS1_30default_config_static_selectorELNS0_4arch9wavefront6targetE0EEEvS12_.has_dyn_sized_stack, 0
	.set _ZN7rocprim17ROCPRIM_400000_NS6detail17trampoline_kernelINS0_13select_configILj256ELj13ELNS0_17block_load_methodE3ELS4_3ELS4_3ELNS0_20block_scan_algorithmE0ELj4294967295EEENS1_25partition_config_selectorILNS1_17partition_subalgoE4EjNS0_10empty_typeEbEEZZNS1_14partition_implILS8_4ELb0ES6_15HIP_vector_typeIjLj2EENS0_17counting_iteratorIjlEEPS9_SG_NS0_5tupleIJPjSI_NS0_16reverse_iteratorISI_EEEEENSH_IJSG_SG_SG_EEES9_SI_JZNS1_25segmented_radix_sort_implINS0_14default_configELb1EPKbPbPKlPlN2at6native12_GLOBAL__N_18offset_tEEE10hipError_tPvRmT1_PNSt15iterator_traitsIS12_E10value_typeET2_T3_PNS13_IS18_E10value_typeET4_jRbjT5_S1E_jjP12ihipStream_tbEUljE_ZNSN_ISO_Lb1ESQ_SR_ST_SU_SY_EESZ_S10_S11_S12_S16_S17_S18_S1B_S1C_jS1D_jS1E_S1E_jjS1G_bEUljE0_EEESZ_S10_S11_S18_S1C_S1E_T6_T7_T9_mT8_S1G_bDpT10_ENKUlT_T0_E_clISt17integral_constantIbLb1EES1U_EEDaS1P_S1Q_EUlS1P_E_NS1_11comp_targetILNS1_3genE3ELNS1_11target_archE908ELNS1_3gpuE7ELNS1_3repE0EEENS1_30default_config_static_selectorELNS0_4arch9wavefront6targetE0EEEvS12_.has_recursion, 0
	.set _ZN7rocprim17ROCPRIM_400000_NS6detail17trampoline_kernelINS0_13select_configILj256ELj13ELNS0_17block_load_methodE3ELS4_3ELS4_3ELNS0_20block_scan_algorithmE0ELj4294967295EEENS1_25partition_config_selectorILNS1_17partition_subalgoE4EjNS0_10empty_typeEbEEZZNS1_14partition_implILS8_4ELb0ES6_15HIP_vector_typeIjLj2EENS0_17counting_iteratorIjlEEPS9_SG_NS0_5tupleIJPjSI_NS0_16reverse_iteratorISI_EEEEENSH_IJSG_SG_SG_EEES9_SI_JZNS1_25segmented_radix_sort_implINS0_14default_configELb1EPKbPbPKlPlN2at6native12_GLOBAL__N_18offset_tEEE10hipError_tPvRmT1_PNSt15iterator_traitsIS12_E10value_typeET2_T3_PNS13_IS18_E10value_typeET4_jRbjT5_S1E_jjP12ihipStream_tbEUljE_ZNSN_ISO_Lb1ESQ_SR_ST_SU_SY_EESZ_S10_S11_S12_S16_S17_S18_S1B_S1C_jS1D_jS1E_S1E_jjS1G_bEUljE0_EEESZ_S10_S11_S18_S1C_S1E_T6_T7_T9_mT8_S1G_bDpT10_ENKUlT_T0_E_clISt17integral_constantIbLb1EES1U_EEDaS1P_S1Q_EUlS1P_E_NS1_11comp_targetILNS1_3genE3ELNS1_11target_archE908ELNS1_3gpuE7ELNS1_3repE0EEENS1_30default_config_static_selectorELNS0_4arch9wavefront6targetE0EEEvS12_.has_indirect_call, 0
	.section	.AMDGPU.csdata,"",@progbits
; Kernel info:
; codeLenInByte = 0
; TotalNumSgprs: 0
; NumVgprs: 0
; ScratchSize: 0
; MemoryBound: 0
; FloatMode: 240
; IeeeMode: 1
; LDSByteSize: 0 bytes/workgroup (compile time only)
; SGPRBlocks: 0
; VGPRBlocks: 0
; NumSGPRsForWavesPerEU: 1
; NumVGPRsForWavesPerEU: 1
; Occupancy: 16
; WaveLimiterHint : 0
; COMPUTE_PGM_RSRC2:SCRATCH_EN: 0
; COMPUTE_PGM_RSRC2:USER_SGPR: 6
; COMPUTE_PGM_RSRC2:TRAP_HANDLER: 0
; COMPUTE_PGM_RSRC2:TGID_X_EN: 1
; COMPUTE_PGM_RSRC2:TGID_Y_EN: 0
; COMPUTE_PGM_RSRC2:TGID_Z_EN: 0
; COMPUTE_PGM_RSRC2:TIDIG_COMP_CNT: 0
	.section	.text._ZN7rocprim17ROCPRIM_400000_NS6detail17trampoline_kernelINS0_13select_configILj256ELj13ELNS0_17block_load_methodE3ELS4_3ELS4_3ELNS0_20block_scan_algorithmE0ELj4294967295EEENS1_25partition_config_selectorILNS1_17partition_subalgoE4EjNS0_10empty_typeEbEEZZNS1_14partition_implILS8_4ELb0ES6_15HIP_vector_typeIjLj2EENS0_17counting_iteratorIjlEEPS9_SG_NS0_5tupleIJPjSI_NS0_16reverse_iteratorISI_EEEEENSH_IJSG_SG_SG_EEES9_SI_JZNS1_25segmented_radix_sort_implINS0_14default_configELb1EPKbPbPKlPlN2at6native12_GLOBAL__N_18offset_tEEE10hipError_tPvRmT1_PNSt15iterator_traitsIS12_E10value_typeET2_T3_PNS13_IS18_E10value_typeET4_jRbjT5_S1E_jjP12ihipStream_tbEUljE_ZNSN_ISO_Lb1ESQ_SR_ST_SU_SY_EESZ_S10_S11_S12_S16_S17_S18_S1B_S1C_jS1D_jS1E_S1E_jjS1G_bEUljE0_EEESZ_S10_S11_S18_S1C_S1E_T6_T7_T9_mT8_S1G_bDpT10_ENKUlT_T0_E_clISt17integral_constantIbLb1EES1U_EEDaS1P_S1Q_EUlS1P_E_NS1_11comp_targetILNS1_3genE2ELNS1_11target_archE906ELNS1_3gpuE6ELNS1_3repE0EEENS1_30default_config_static_selectorELNS0_4arch9wavefront6targetE0EEEvS12_,"axG",@progbits,_ZN7rocprim17ROCPRIM_400000_NS6detail17trampoline_kernelINS0_13select_configILj256ELj13ELNS0_17block_load_methodE3ELS4_3ELS4_3ELNS0_20block_scan_algorithmE0ELj4294967295EEENS1_25partition_config_selectorILNS1_17partition_subalgoE4EjNS0_10empty_typeEbEEZZNS1_14partition_implILS8_4ELb0ES6_15HIP_vector_typeIjLj2EENS0_17counting_iteratorIjlEEPS9_SG_NS0_5tupleIJPjSI_NS0_16reverse_iteratorISI_EEEEENSH_IJSG_SG_SG_EEES9_SI_JZNS1_25segmented_radix_sort_implINS0_14default_configELb1EPKbPbPKlPlN2at6native12_GLOBAL__N_18offset_tEEE10hipError_tPvRmT1_PNSt15iterator_traitsIS12_E10value_typeET2_T3_PNS13_IS18_E10value_typeET4_jRbjT5_S1E_jjP12ihipStream_tbEUljE_ZNSN_ISO_Lb1ESQ_SR_ST_SU_SY_EESZ_S10_S11_S12_S16_S17_S18_S1B_S1C_jS1D_jS1E_S1E_jjS1G_bEUljE0_EEESZ_S10_S11_S18_S1C_S1E_T6_T7_T9_mT8_S1G_bDpT10_ENKUlT_T0_E_clISt17integral_constantIbLb1EES1U_EEDaS1P_S1Q_EUlS1P_E_NS1_11comp_targetILNS1_3genE2ELNS1_11target_archE906ELNS1_3gpuE6ELNS1_3repE0EEENS1_30default_config_static_selectorELNS0_4arch9wavefront6targetE0EEEvS12_,comdat
	.globl	_ZN7rocprim17ROCPRIM_400000_NS6detail17trampoline_kernelINS0_13select_configILj256ELj13ELNS0_17block_load_methodE3ELS4_3ELS4_3ELNS0_20block_scan_algorithmE0ELj4294967295EEENS1_25partition_config_selectorILNS1_17partition_subalgoE4EjNS0_10empty_typeEbEEZZNS1_14partition_implILS8_4ELb0ES6_15HIP_vector_typeIjLj2EENS0_17counting_iteratorIjlEEPS9_SG_NS0_5tupleIJPjSI_NS0_16reverse_iteratorISI_EEEEENSH_IJSG_SG_SG_EEES9_SI_JZNS1_25segmented_radix_sort_implINS0_14default_configELb1EPKbPbPKlPlN2at6native12_GLOBAL__N_18offset_tEEE10hipError_tPvRmT1_PNSt15iterator_traitsIS12_E10value_typeET2_T3_PNS13_IS18_E10value_typeET4_jRbjT5_S1E_jjP12ihipStream_tbEUljE_ZNSN_ISO_Lb1ESQ_SR_ST_SU_SY_EESZ_S10_S11_S12_S16_S17_S18_S1B_S1C_jS1D_jS1E_S1E_jjS1G_bEUljE0_EEESZ_S10_S11_S18_S1C_S1E_T6_T7_T9_mT8_S1G_bDpT10_ENKUlT_T0_E_clISt17integral_constantIbLb1EES1U_EEDaS1P_S1Q_EUlS1P_E_NS1_11comp_targetILNS1_3genE2ELNS1_11target_archE906ELNS1_3gpuE6ELNS1_3repE0EEENS1_30default_config_static_selectorELNS0_4arch9wavefront6targetE0EEEvS12_ ; -- Begin function _ZN7rocprim17ROCPRIM_400000_NS6detail17trampoline_kernelINS0_13select_configILj256ELj13ELNS0_17block_load_methodE3ELS4_3ELS4_3ELNS0_20block_scan_algorithmE0ELj4294967295EEENS1_25partition_config_selectorILNS1_17partition_subalgoE4EjNS0_10empty_typeEbEEZZNS1_14partition_implILS8_4ELb0ES6_15HIP_vector_typeIjLj2EENS0_17counting_iteratorIjlEEPS9_SG_NS0_5tupleIJPjSI_NS0_16reverse_iteratorISI_EEEEENSH_IJSG_SG_SG_EEES9_SI_JZNS1_25segmented_radix_sort_implINS0_14default_configELb1EPKbPbPKlPlN2at6native12_GLOBAL__N_18offset_tEEE10hipError_tPvRmT1_PNSt15iterator_traitsIS12_E10value_typeET2_T3_PNS13_IS18_E10value_typeET4_jRbjT5_S1E_jjP12ihipStream_tbEUljE_ZNSN_ISO_Lb1ESQ_SR_ST_SU_SY_EESZ_S10_S11_S12_S16_S17_S18_S1B_S1C_jS1D_jS1E_S1E_jjS1G_bEUljE0_EEESZ_S10_S11_S18_S1C_S1E_T6_T7_T9_mT8_S1G_bDpT10_ENKUlT_T0_E_clISt17integral_constantIbLb1EES1U_EEDaS1P_S1Q_EUlS1P_E_NS1_11comp_targetILNS1_3genE2ELNS1_11target_archE906ELNS1_3gpuE6ELNS1_3repE0EEENS1_30default_config_static_selectorELNS0_4arch9wavefront6targetE0EEEvS12_
	.p2align	8
	.type	_ZN7rocprim17ROCPRIM_400000_NS6detail17trampoline_kernelINS0_13select_configILj256ELj13ELNS0_17block_load_methodE3ELS4_3ELS4_3ELNS0_20block_scan_algorithmE0ELj4294967295EEENS1_25partition_config_selectorILNS1_17partition_subalgoE4EjNS0_10empty_typeEbEEZZNS1_14partition_implILS8_4ELb0ES6_15HIP_vector_typeIjLj2EENS0_17counting_iteratorIjlEEPS9_SG_NS0_5tupleIJPjSI_NS0_16reverse_iteratorISI_EEEEENSH_IJSG_SG_SG_EEES9_SI_JZNS1_25segmented_radix_sort_implINS0_14default_configELb1EPKbPbPKlPlN2at6native12_GLOBAL__N_18offset_tEEE10hipError_tPvRmT1_PNSt15iterator_traitsIS12_E10value_typeET2_T3_PNS13_IS18_E10value_typeET4_jRbjT5_S1E_jjP12ihipStream_tbEUljE_ZNSN_ISO_Lb1ESQ_SR_ST_SU_SY_EESZ_S10_S11_S12_S16_S17_S18_S1B_S1C_jS1D_jS1E_S1E_jjS1G_bEUljE0_EEESZ_S10_S11_S18_S1C_S1E_T6_T7_T9_mT8_S1G_bDpT10_ENKUlT_T0_E_clISt17integral_constantIbLb1EES1U_EEDaS1P_S1Q_EUlS1P_E_NS1_11comp_targetILNS1_3genE2ELNS1_11target_archE906ELNS1_3gpuE6ELNS1_3repE0EEENS1_30default_config_static_selectorELNS0_4arch9wavefront6targetE0EEEvS12_,@function
_ZN7rocprim17ROCPRIM_400000_NS6detail17trampoline_kernelINS0_13select_configILj256ELj13ELNS0_17block_load_methodE3ELS4_3ELS4_3ELNS0_20block_scan_algorithmE0ELj4294967295EEENS1_25partition_config_selectorILNS1_17partition_subalgoE4EjNS0_10empty_typeEbEEZZNS1_14partition_implILS8_4ELb0ES6_15HIP_vector_typeIjLj2EENS0_17counting_iteratorIjlEEPS9_SG_NS0_5tupleIJPjSI_NS0_16reverse_iteratorISI_EEEEENSH_IJSG_SG_SG_EEES9_SI_JZNS1_25segmented_radix_sort_implINS0_14default_configELb1EPKbPbPKlPlN2at6native12_GLOBAL__N_18offset_tEEE10hipError_tPvRmT1_PNSt15iterator_traitsIS12_E10value_typeET2_T3_PNS13_IS18_E10value_typeET4_jRbjT5_S1E_jjP12ihipStream_tbEUljE_ZNSN_ISO_Lb1ESQ_SR_ST_SU_SY_EESZ_S10_S11_S12_S16_S17_S18_S1B_S1C_jS1D_jS1E_S1E_jjS1G_bEUljE0_EEESZ_S10_S11_S18_S1C_S1E_T6_T7_T9_mT8_S1G_bDpT10_ENKUlT_T0_E_clISt17integral_constantIbLb1EES1U_EEDaS1P_S1Q_EUlS1P_E_NS1_11comp_targetILNS1_3genE2ELNS1_11target_archE906ELNS1_3gpuE6ELNS1_3repE0EEENS1_30default_config_static_selectorELNS0_4arch9wavefront6targetE0EEEvS12_: ; @_ZN7rocprim17ROCPRIM_400000_NS6detail17trampoline_kernelINS0_13select_configILj256ELj13ELNS0_17block_load_methodE3ELS4_3ELS4_3ELNS0_20block_scan_algorithmE0ELj4294967295EEENS1_25partition_config_selectorILNS1_17partition_subalgoE4EjNS0_10empty_typeEbEEZZNS1_14partition_implILS8_4ELb0ES6_15HIP_vector_typeIjLj2EENS0_17counting_iteratorIjlEEPS9_SG_NS0_5tupleIJPjSI_NS0_16reverse_iteratorISI_EEEEENSH_IJSG_SG_SG_EEES9_SI_JZNS1_25segmented_radix_sort_implINS0_14default_configELb1EPKbPbPKlPlN2at6native12_GLOBAL__N_18offset_tEEE10hipError_tPvRmT1_PNSt15iterator_traitsIS12_E10value_typeET2_T3_PNS13_IS18_E10value_typeET4_jRbjT5_S1E_jjP12ihipStream_tbEUljE_ZNSN_ISO_Lb1ESQ_SR_ST_SU_SY_EESZ_S10_S11_S12_S16_S17_S18_S1B_S1C_jS1D_jS1E_S1E_jjS1G_bEUljE0_EEESZ_S10_S11_S18_S1C_S1E_T6_T7_T9_mT8_S1G_bDpT10_ENKUlT_T0_E_clISt17integral_constantIbLb1EES1U_EEDaS1P_S1Q_EUlS1P_E_NS1_11comp_targetILNS1_3genE2ELNS1_11target_archE906ELNS1_3gpuE6ELNS1_3repE0EEENS1_30default_config_static_selectorELNS0_4arch9wavefront6targetE0EEEvS12_
; %bb.0:
	.section	.rodata,"a",@progbits
	.p2align	6, 0x0
	.amdhsa_kernel _ZN7rocprim17ROCPRIM_400000_NS6detail17trampoline_kernelINS0_13select_configILj256ELj13ELNS0_17block_load_methodE3ELS4_3ELS4_3ELNS0_20block_scan_algorithmE0ELj4294967295EEENS1_25partition_config_selectorILNS1_17partition_subalgoE4EjNS0_10empty_typeEbEEZZNS1_14partition_implILS8_4ELb0ES6_15HIP_vector_typeIjLj2EENS0_17counting_iteratorIjlEEPS9_SG_NS0_5tupleIJPjSI_NS0_16reverse_iteratorISI_EEEEENSH_IJSG_SG_SG_EEES9_SI_JZNS1_25segmented_radix_sort_implINS0_14default_configELb1EPKbPbPKlPlN2at6native12_GLOBAL__N_18offset_tEEE10hipError_tPvRmT1_PNSt15iterator_traitsIS12_E10value_typeET2_T3_PNS13_IS18_E10value_typeET4_jRbjT5_S1E_jjP12ihipStream_tbEUljE_ZNSN_ISO_Lb1ESQ_SR_ST_SU_SY_EESZ_S10_S11_S12_S16_S17_S18_S1B_S1C_jS1D_jS1E_S1E_jjS1G_bEUljE0_EEESZ_S10_S11_S18_S1C_S1E_T6_T7_T9_mT8_S1G_bDpT10_ENKUlT_T0_E_clISt17integral_constantIbLb1EES1U_EEDaS1P_S1Q_EUlS1P_E_NS1_11comp_targetILNS1_3genE2ELNS1_11target_archE906ELNS1_3gpuE6ELNS1_3repE0EEENS1_30default_config_static_selectorELNS0_4arch9wavefront6targetE0EEEvS12_
		.amdhsa_group_segment_fixed_size 0
		.amdhsa_private_segment_fixed_size 0
		.amdhsa_kernarg_size 184
		.amdhsa_user_sgpr_count 6
		.amdhsa_user_sgpr_private_segment_buffer 1
		.amdhsa_user_sgpr_dispatch_ptr 0
		.amdhsa_user_sgpr_queue_ptr 0
		.amdhsa_user_sgpr_kernarg_segment_ptr 1
		.amdhsa_user_sgpr_dispatch_id 0
		.amdhsa_user_sgpr_flat_scratch_init 0
		.amdhsa_user_sgpr_private_segment_size 0
		.amdhsa_wavefront_size32 1
		.amdhsa_uses_dynamic_stack 0
		.amdhsa_system_sgpr_private_segment_wavefront_offset 0
		.amdhsa_system_sgpr_workgroup_id_x 1
		.amdhsa_system_sgpr_workgroup_id_y 0
		.amdhsa_system_sgpr_workgroup_id_z 0
		.amdhsa_system_sgpr_workgroup_info 0
		.amdhsa_system_vgpr_workitem_id 0
		.amdhsa_next_free_vgpr 1
		.amdhsa_next_free_sgpr 1
		.amdhsa_reserve_vcc 0
		.amdhsa_reserve_flat_scratch 0
		.amdhsa_float_round_mode_32 0
		.amdhsa_float_round_mode_16_64 0
		.amdhsa_float_denorm_mode_32 3
		.amdhsa_float_denorm_mode_16_64 3
		.amdhsa_dx10_clamp 1
		.amdhsa_ieee_mode 1
		.amdhsa_fp16_overflow 0
		.amdhsa_workgroup_processor_mode 1
		.amdhsa_memory_ordered 1
		.amdhsa_forward_progress 1
		.amdhsa_shared_vgpr_count 0
		.amdhsa_exception_fp_ieee_invalid_op 0
		.amdhsa_exception_fp_denorm_src 0
		.amdhsa_exception_fp_ieee_div_zero 0
		.amdhsa_exception_fp_ieee_overflow 0
		.amdhsa_exception_fp_ieee_underflow 0
		.amdhsa_exception_fp_ieee_inexact 0
		.amdhsa_exception_int_div_zero 0
	.end_amdhsa_kernel
	.section	.text._ZN7rocprim17ROCPRIM_400000_NS6detail17trampoline_kernelINS0_13select_configILj256ELj13ELNS0_17block_load_methodE3ELS4_3ELS4_3ELNS0_20block_scan_algorithmE0ELj4294967295EEENS1_25partition_config_selectorILNS1_17partition_subalgoE4EjNS0_10empty_typeEbEEZZNS1_14partition_implILS8_4ELb0ES6_15HIP_vector_typeIjLj2EENS0_17counting_iteratorIjlEEPS9_SG_NS0_5tupleIJPjSI_NS0_16reverse_iteratorISI_EEEEENSH_IJSG_SG_SG_EEES9_SI_JZNS1_25segmented_radix_sort_implINS0_14default_configELb1EPKbPbPKlPlN2at6native12_GLOBAL__N_18offset_tEEE10hipError_tPvRmT1_PNSt15iterator_traitsIS12_E10value_typeET2_T3_PNS13_IS18_E10value_typeET4_jRbjT5_S1E_jjP12ihipStream_tbEUljE_ZNSN_ISO_Lb1ESQ_SR_ST_SU_SY_EESZ_S10_S11_S12_S16_S17_S18_S1B_S1C_jS1D_jS1E_S1E_jjS1G_bEUljE0_EEESZ_S10_S11_S18_S1C_S1E_T6_T7_T9_mT8_S1G_bDpT10_ENKUlT_T0_E_clISt17integral_constantIbLb1EES1U_EEDaS1P_S1Q_EUlS1P_E_NS1_11comp_targetILNS1_3genE2ELNS1_11target_archE906ELNS1_3gpuE6ELNS1_3repE0EEENS1_30default_config_static_selectorELNS0_4arch9wavefront6targetE0EEEvS12_,"axG",@progbits,_ZN7rocprim17ROCPRIM_400000_NS6detail17trampoline_kernelINS0_13select_configILj256ELj13ELNS0_17block_load_methodE3ELS4_3ELS4_3ELNS0_20block_scan_algorithmE0ELj4294967295EEENS1_25partition_config_selectorILNS1_17partition_subalgoE4EjNS0_10empty_typeEbEEZZNS1_14partition_implILS8_4ELb0ES6_15HIP_vector_typeIjLj2EENS0_17counting_iteratorIjlEEPS9_SG_NS0_5tupleIJPjSI_NS0_16reverse_iteratorISI_EEEEENSH_IJSG_SG_SG_EEES9_SI_JZNS1_25segmented_radix_sort_implINS0_14default_configELb1EPKbPbPKlPlN2at6native12_GLOBAL__N_18offset_tEEE10hipError_tPvRmT1_PNSt15iterator_traitsIS12_E10value_typeET2_T3_PNS13_IS18_E10value_typeET4_jRbjT5_S1E_jjP12ihipStream_tbEUljE_ZNSN_ISO_Lb1ESQ_SR_ST_SU_SY_EESZ_S10_S11_S12_S16_S17_S18_S1B_S1C_jS1D_jS1E_S1E_jjS1G_bEUljE0_EEESZ_S10_S11_S18_S1C_S1E_T6_T7_T9_mT8_S1G_bDpT10_ENKUlT_T0_E_clISt17integral_constantIbLb1EES1U_EEDaS1P_S1Q_EUlS1P_E_NS1_11comp_targetILNS1_3genE2ELNS1_11target_archE906ELNS1_3gpuE6ELNS1_3repE0EEENS1_30default_config_static_selectorELNS0_4arch9wavefront6targetE0EEEvS12_,comdat
.Lfunc_end1472:
	.size	_ZN7rocprim17ROCPRIM_400000_NS6detail17trampoline_kernelINS0_13select_configILj256ELj13ELNS0_17block_load_methodE3ELS4_3ELS4_3ELNS0_20block_scan_algorithmE0ELj4294967295EEENS1_25partition_config_selectorILNS1_17partition_subalgoE4EjNS0_10empty_typeEbEEZZNS1_14partition_implILS8_4ELb0ES6_15HIP_vector_typeIjLj2EENS0_17counting_iteratorIjlEEPS9_SG_NS0_5tupleIJPjSI_NS0_16reverse_iteratorISI_EEEEENSH_IJSG_SG_SG_EEES9_SI_JZNS1_25segmented_radix_sort_implINS0_14default_configELb1EPKbPbPKlPlN2at6native12_GLOBAL__N_18offset_tEEE10hipError_tPvRmT1_PNSt15iterator_traitsIS12_E10value_typeET2_T3_PNS13_IS18_E10value_typeET4_jRbjT5_S1E_jjP12ihipStream_tbEUljE_ZNSN_ISO_Lb1ESQ_SR_ST_SU_SY_EESZ_S10_S11_S12_S16_S17_S18_S1B_S1C_jS1D_jS1E_S1E_jjS1G_bEUljE0_EEESZ_S10_S11_S18_S1C_S1E_T6_T7_T9_mT8_S1G_bDpT10_ENKUlT_T0_E_clISt17integral_constantIbLb1EES1U_EEDaS1P_S1Q_EUlS1P_E_NS1_11comp_targetILNS1_3genE2ELNS1_11target_archE906ELNS1_3gpuE6ELNS1_3repE0EEENS1_30default_config_static_selectorELNS0_4arch9wavefront6targetE0EEEvS12_, .Lfunc_end1472-_ZN7rocprim17ROCPRIM_400000_NS6detail17trampoline_kernelINS0_13select_configILj256ELj13ELNS0_17block_load_methodE3ELS4_3ELS4_3ELNS0_20block_scan_algorithmE0ELj4294967295EEENS1_25partition_config_selectorILNS1_17partition_subalgoE4EjNS0_10empty_typeEbEEZZNS1_14partition_implILS8_4ELb0ES6_15HIP_vector_typeIjLj2EENS0_17counting_iteratorIjlEEPS9_SG_NS0_5tupleIJPjSI_NS0_16reverse_iteratorISI_EEEEENSH_IJSG_SG_SG_EEES9_SI_JZNS1_25segmented_radix_sort_implINS0_14default_configELb1EPKbPbPKlPlN2at6native12_GLOBAL__N_18offset_tEEE10hipError_tPvRmT1_PNSt15iterator_traitsIS12_E10value_typeET2_T3_PNS13_IS18_E10value_typeET4_jRbjT5_S1E_jjP12ihipStream_tbEUljE_ZNSN_ISO_Lb1ESQ_SR_ST_SU_SY_EESZ_S10_S11_S12_S16_S17_S18_S1B_S1C_jS1D_jS1E_S1E_jjS1G_bEUljE0_EEESZ_S10_S11_S18_S1C_S1E_T6_T7_T9_mT8_S1G_bDpT10_ENKUlT_T0_E_clISt17integral_constantIbLb1EES1U_EEDaS1P_S1Q_EUlS1P_E_NS1_11comp_targetILNS1_3genE2ELNS1_11target_archE906ELNS1_3gpuE6ELNS1_3repE0EEENS1_30default_config_static_selectorELNS0_4arch9wavefront6targetE0EEEvS12_
                                        ; -- End function
	.set _ZN7rocprim17ROCPRIM_400000_NS6detail17trampoline_kernelINS0_13select_configILj256ELj13ELNS0_17block_load_methodE3ELS4_3ELS4_3ELNS0_20block_scan_algorithmE0ELj4294967295EEENS1_25partition_config_selectorILNS1_17partition_subalgoE4EjNS0_10empty_typeEbEEZZNS1_14partition_implILS8_4ELb0ES6_15HIP_vector_typeIjLj2EENS0_17counting_iteratorIjlEEPS9_SG_NS0_5tupleIJPjSI_NS0_16reverse_iteratorISI_EEEEENSH_IJSG_SG_SG_EEES9_SI_JZNS1_25segmented_radix_sort_implINS0_14default_configELb1EPKbPbPKlPlN2at6native12_GLOBAL__N_18offset_tEEE10hipError_tPvRmT1_PNSt15iterator_traitsIS12_E10value_typeET2_T3_PNS13_IS18_E10value_typeET4_jRbjT5_S1E_jjP12ihipStream_tbEUljE_ZNSN_ISO_Lb1ESQ_SR_ST_SU_SY_EESZ_S10_S11_S12_S16_S17_S18_S1B_S1C_jS1D_jS1E_S1E_jjS1G_bEUljE0_EEESZ_S10_S11_S18_S1C_S1E_T6_T7_T9_mT8_S1G_bDpT10_ENKUlT_T0_E_clISt17integral_constantIbLb1EES1U_EEDaS1P_S1Q_EUlS1P_E_NS1_11comp_targetILNS1_3genE2ELNS1_11target_archE906ELNS1_3gpuE6ELNS1_3repE0EEENS1_30default_config_static_selectorELNS0_4arch9wavefront6targetE0EEEvS12_.num_vgpr, 0
	.set _ZN7rocprim17ROCPRIM_400000_NS6detail17trampoline_kernelINS0_13select_configILj256ELj13ELNS0_17block_load_methodE3ELS4_3ELS4_3ELNS0_20block_scan_algorithmE0ELj4294967295EEENS1_25partition_config_selectorILNS1_17partition_subalgoE4EjNS0_10empty_typeEbEEZZNS1_14partition_implILS8_4ELb0ES6_15HIP_vector_typeIjLj2EENS0_17counting_iteratorIjlEEPS9_SG_NS0_5tupleIJPjSI_NS0_16reverse_iteratorISI_EEEEENSH_IJSG_SG_SG_EEES9_SI_JZNS1_25segmented_radix_sort_implINS0_14default_configELb1EPKbPbPKlPlN2at6native12_GLOBAL__N_18offset_tEEE10hipError_tPvRmT1_PNSt15iterator_traitsIS12_E10value_typeET2_T3_PNS13_IS18_E10value_typeET4_jRbjT5_S1E_jjP12ihipStream_tbEUljE_ZNSN_ISO_Lb1ESQ_SR_ST_SU_SY_EESZ_S10_S11_S12_S16_S17_S18_S1B_S1C_jS1D_jS1E_S1E_jjS1G_bEUljE0_EEESZ_S10_S11_S18_S1C_S1E_T6_T7_T9_mT8_S1G_bDpT10_ENKUlT_T0_E_clISt17integral_constantIbLb1EES1U_EEDaS1P_S1Q_EUlS1P_E_NS1_11comp_targetILNS1_3genE2ELNS1_11target_archE906ELNS1_3gpuE6ELNS1_3repE0EEENS1_30default_config_static_selectorELNS0_4arch9wavefront6targetE0EEEvS12_.num_agpr, 0
	.set _ZN7rocprim17ROCPRIM_400000_NS6detail17trampoline_kernelINS0_13select_configILj256ELj13ELNS0_17block_load_methodE3ELS4_3ELS4_3ELNS0_20block_scan_algorithmE0ELj4294967295EEENS1_25partition_config_selectorILNS1_17partition_subalgoE4EjNS0_10empty_typeEbEEZZNS1_14partition_implILS8_4ELb0ES6_15HIP_vector_typeIjLj2EENS0_17counting_iteratorIjlEEPS9_SG_NS0_5tupleIJPjSI_NS0_16reverse_iteratorISI_EEEEENSH_IJSG_SG_SG_EEES9_SI_JZNS1_25segmented_radix_sort_implINS0_14default_configELb1EPKbPbPKlPlN2at6native12_GLOBAL__N_18offset_tEEE10hipError_tPvRmT1_PNSt15iterator_traitsIS12_E10value_typeET2_T3_PNS13_IS18_E10value_typeET4_jRbjT5_S1E_jjP12ihipStream_tbEUljE_ZNSN_ISO_Lb1ESQ_SR_ST_SU_SY_EESZ_S10_S11_S12_S16_S17_S18_S1B_S1C_jS1D_jS1E_S1E_jjS1G_bEUljE0_EEESZ_S10_S11_S18_S1C_S1E_T6_T7_T9_mT8_S1G_bDpT10_ENKUlT_T0_E_clISt17integral_constantIbLb1EES1U_EEDaS1P_S1Q_EUlS1P_E_NS1_11comp_targetILNS1_3genE2ELNS1_11target_archE906ELNS1_3gpuE6ELNS1_3repE0EEENS1_30default_config_static_selectorELNS0_4arch9wavefront6targetE0EEEvS12_.numbered_sgpr, 0
	.set _ZN7rocprim17ROCPRIM_400000_NS6detail17trampoline_kernelINS0_13select_configILj256ELj13ELNS0_17block_load_methodE3ELS4_3ELS4_3ELNS0_20block_scan_algorithmE0ELj4294967295EEENS1_25partition_config_selectorILNS1_17partition_subalgoE4EjNS0_10empty_typeEbEEZZNS1_14partition_implILS8_4ELb0ES6_15HIP_vector_typeIjLj2EENS0_17counting_iteratorIjlEEPS9_SG_NS0_5tupleIJPjSI_NS0_16reverse_iteratorISI_EEEEENSH_IJSG_SG_SG_EEES9_SI_JZNS1_25segmented_radix_sort_implINS0_14default_configELb1EPKbPbPKlPlN2at6native12_GLOBAL__N_18offset_tEEE10hipError_tPvRmT1_PNSt15iterator_traitsIS12_E10value_typeET2_T3_PNS13_IS18_E10value_typeET4_jRbjT5_S1E_jjP12ihipStream_tbEUljE_ZNSN_ISO_Lb1ESQ_SR_ST_SU_SY_EESZ_S10_S11_S12_S16_S17_S18_S1B_S1C_jS1D_jS1E_S1E_jjS1G_bEUljE0_EEESZ_S10_S11_S18_S1C_S1E_T6_T7_T9_mT8_S1G_bDpT10_ENKUlT_T0_E_clISt17integral_constantIbLb1EES1U_EEDaS1P_S1Q_EUlS1P_E_NS1_11comp_targetILNS1_3genE2ELNS1_11target_archE906ELNS1_3gpuE6ELNS1_3repE0EEENS1_30default_config_static_selectorELNS0_4arch9wavefront6targetE0EEEvS12_.num_named_barrier, 0
	.set _ZN7rocprim17ROCPRIM_400000_NS6detail17trampoline_kernelINS0_13select_configILj256ELj13ELNS0_17block_load_methodE3ELS4_3ELS4_3ELNS0_20block_scan_algorithmE0ELj4294967295EEENS1_25partition_config_selectorILNS1_17partition_subalgoE4EjNS0_10empty_typeEbEEZZNS1_14partition_implILS8_4ELb0ES6_15HIP_vector_typeIjLj2EENS0_17counting_iteratorIjlEEPS9_SG_NS0_5tupleIJPjSI_NS0_16reverse_iteratorISI_EEEEENSH_IJSG_SG_SG_EEES9_SI_JZNS1_25segmented_radix_sort_implINS0_14default_configELb1EPKbPbPKlPlN2at6native12_GLOBAL__N_18offset_tEEE10hipError_tPvRmT1_PNSt15iterator_traitsIS12_E10value_typeET2_T3_PNS13_IS18_E10value_typeET4_jRbjT5_S1E_jjP12ihipStream_tbEUljE_ZNSN_ISO_Lb1ESQ_SR_ST_SU_SY_EESZ_S10_S11_S12_S16_S17_S18_S1B_S1C_jS1D_jS1E_S1E_jjS1G_bEUljE0_EEESZ_S10_S11_S18_S1C_S1E_T6_T7_T9_mT8_S1G_bDpT10_ENKUlT_T0_E_clISt17integral_constantIbLb1EES1U_EEDaS1P_S1Q_EUlS1P_E_NS1_11comp_targetILNS1_3genE2ELNS1_11target_archE906ELNS1_3gpuE6ELNS1_3repE0EEENS1_30default_config_static_selectorELNS0_4arch9wavefront6targetE0EEEvS12_.private_seg_size, 0
	.set _ZN7rocprim17ROCPRIM_400000_NS6detail17trampoline_kernelINS0_13select_configILj256ELj13ELNS0_17block_load_methodE3ELS4_3ELS4_3ELNS0_20block_scan_algorithmE0ELj4294967295EEENS1_25partition_config_selectorILNS1_17partition_subalgoE4EjNS0_10empty_typeEbEEZZNS1_14partition_implILS8_4ELb0ES6_15HIP_vector_typeIjLj2EENS0_17counting_iteratorIjlEEPS9_SG_NS0_5tupleIJPjSI_NS0_16reverse_iteratorISI_EEEEENSH_IJSG_SG_SG_EEES9_SI_JZNS1_25segmented_radix_sort_implINS0_14default_configELb1EPKbPbPKlPlN2at6native12_GLOBAL__N_18offset_tEEE10hipError_tPvRmT1_PNSt15iterator_traitsIS12_E10value_typeET2_T3_PNS13_IS18_E10value_typeET4_jRbjT5_S1E_jjP12ihipStream_tbEUljE_ZNSN_ISO_Lb1ESQ_SR_ST_SU_SY_EESZ_S10_S11_S12_S16_S17_S18_S1B_S1C_jS1D_jS1E_S1E_jjS1G_bEUljE0_EEESZ_S10_S11_S18_S1C_S1E_T6_T7_T9_mT8_S1G_bDpT10_ENKUlT_T0_E_clISt17integral_constantIbLb1EES1U_EEDaS1P_S1Q_EUlS1P_E_NS1_11comp_targetILNS1_3genE2ELNS1_11target_archE906ELNS1_3gpuE6ELNS1_3repE0EEENS1_30default_config_static_selectorELNS0_4arch9wavefront6targetE0EEEvS12_.uses_vcc, 0
	.set _ZN7rocprim17ROCPRIM_400000_NS6detail17trampoline_kernelINS0_13select_configILj256ELj13ELNS0_17block_load_methodE3ELS4_3ELS4_3ELNS0_20block_scan_algorithmE0ELj4294967295EEENS1_25partition_config_selectorILNS1_17partition_subalgoE4EjNS0_10empty_typeEbEEZZNS1_14partition_implILS8_4ELb0ES6_15HIP_vector_typeIjLj2EENS0_17counting_iteratorIjlEEPS9_SG_NS0_5tupleIJPjSI_NS0_16reverse_iteratorISI_EEEEENSH_IJSG_SG_SG_EEES9_SI_JZNS1_25segmented_radix_sort_implINS0_14default_configELb1EPKbPbPKlPlN2at6native12_GLOBAL__N_18offset_tEEE10hipError_tPvRmT1_PNSt15iterator_traitsIS12_E10value_typeET2_T3_PNS13_IS18_E10value_typeET4_jRbjT5_S1E_jjP12ihipStream_tbEUljE_ZNSN_ISO_Lb1ESQ_SR_ST_SU_SY_EESZ_S10_S11_S12_S16_S17_S18_S1B_S1C_jS1D_jS1E_S1E_jjS1G_bEUljE0_EEESZ_S10_S11_S18_S1C_S1E_T6_T7_T9_mT8_S1G_bDpT10_ENKUlT_T0_E_clISt17integral_constantIbLb1EES1U_EEDaS1P_S1Q_EUlS1P_E_NS1_11comp_targetILNS1_3genE2ELNS1_11target_archE906ELNS1_3gpuE6ELNS1_3repE0EEENS1_30default_config_static_selectorELNS0_4arch9wavefront6targetE0EEEvS12_.uses_flat_scratch, 0
	.set _ZN7rocprim17ROCPRIM_400000_NS6detail17trampoline_kernelINS0_13select_configILj256ELj13ELNS0_17block_load_methodE3ELS4_3ELS4_3ELNS0_20block_scan_algorithmE0ELj4294967295EEENS1_25partition_config_selectorILNS1_17partition_subalgoE4EjNS0_10empty_typeEbEEZZNS1_14partition_implILS8_4ELb0ES6_15HIP_vector_typeIjLj2EENS0_17counting_iteratorIjlEEPS9_SG_NS0_5tupleIJPjSI_NS0_16reverse_iteratorISI_EEEEENSH_IJSG_SG_SG_EEES9_SI_JZNS1_25segmented_radix_sort_implINS0_14default_configELb1EPKbPbPKlPlN2at6native12_GLOBAL__N_18offset_tEEE10hipError_tPvRmT1_PNSt15iterator_traitsIS12_E10value_typeET2_T3_PNS13_IS18_E10value_typeET4_jRbjT5_S1E_jjP12ihipStream_tbEUljE_ZNSN_ISO_Lb1ESQ_SR_ST_SU_SY_EESZ_S10_S11_S12_S16_S17_S18_S1B_S1C_jS1D_jS1E_S1E_jjS1G_bEUljE0_EEESZ_S10_S11_S18_S1C_S1E_T6_T7_T9_mT8_S1G_bDpT10_ENKUlT_T0_E_clISt17integral_constantIbLb1EES1U_EEDaS1P_S1Q_EUlS1P_E_NS1_11comp_targetILNS1_3genE2ELNS1_11target_archE906ELNS1_3gpuE6ELNS1_3repE0EEENS1_30default_config_static_selectorELNS0_4arch9wavefront6targetE0EEEvS12_.has_dyn_sized_stack, 0
	.set _ZN7rocprim17ROCPRIM_400000_NS6detail17trampoline_kernelINS0_13select_configILj256ELj13ELNS0_17block_load_methodE3ELS4_3ELS4_3ELNS0_20block_scan_algorithmE0ELj4294967295EEENS1_25partition_config_selectorILNS1_17partition_subalgoE4EjNS0_10empty_typeEbEEZZNS1_14partition_implILS8_4ELb0ES6_15HIP_vector_typeIjLj2EENS0_17counting_iteratorIjlEEPS9_SG_NS0_5tupleIJPjSI_NS0_16reverse_iteratorISI_EEEEENSH_IJSG_SG_SG_EEES9_SI_JZNS1_25segmented_radix_sort_implINS0_14default_configELb1EPKbPbPKlPlN2at6native12_GLOBAL__N_18offset_tEEE10hipError_tPvRmT1_PNSt15iterator_traitsIS12_E10value_typeET2_T3_PNS13_IS18_E10value_typeET4_jRbjT5_S1E_jjP12ihipStream_tbEUljE_ZNSN_ISO_Lb1ESQ_SR_ST_SU_SY_EESZ_S10_S11_S12_S16_S17_S18_S1B_S1C_jS1D_jS1E_S1E_jjS1G_bEUljE0_EEESZ_S10_S11_S18_S1C_S1E_T6_T7_T9_mT8_S1G_bDpT10_ENKUlT_T0_E_clISt17integral_constantIbLb1EES1U_EEDaS1P_S1Q_EUlS1P_E_NS1_11comp_targetILNS1_3genE2ELNS1_11target_archE906ELNS1_3gpuE6ELNS1_3repE0EEENS1_30default_config_static_selectorELNS0_4arch9wavefront6targetE0EEEvS12_.has_recursion, 0
	.set _ZN7rocprim17ROCPRIM_400000_NS6detail17trampoline_kernelINS0_13select_configILj256ELj13ELNS0_17block_load_methodE3ELS4_3ELS4_3ELNS0_20block_scan_algorithmE0ELj4294967295EEENS1_25partition_config_selectorILNS1_17partition_subalgoE4EjNS0_10empty_typeEbEEZZNS1_14partition_implILS8_4ELb0ES6_15HIP_vector_typeIjLj2EENS0_17counting_iteratorIjlEEPS9_SG_NS0_5tupleIJPjSI_NS0_16reverse_iteratorISI_EEEEENSH_IJSG_SG_SG_EEES9_SI_JZNS1_25segmented_radix_sort_implINS0_14default_configELb1EPKbPbPKlPlN2at6native12_GLOBAL__N_18offset_tEEE10hipError_tPvRmT1_PNSt15iterator_traitsIS12_E10value_typeET2_T3_PNS13_IS18_E10value_typeET4_jRbjT5_S1E_jjP12ihipStream_tbEUljE_ZNSN_ISO_Lb1ESQ_SR_ST_SU_SY_EESZ_S10_S11_S12_S16_S17_S18_S1B_S1C_jS1D_jS1E_S1E_jjS1G_bEUljE0_EEESZ_S10_S11_S18_S1C_S1E_T6_T7_T9_mT8_S1G_bDpT10_ENKUlT_T0_E_clISt17integral_constantIbLb1EES1U_EEDaS1P_S1Q_EUlS1P_E_NS1_11comp_targetILNS1_3genE2ELNS1_11target_archE906ELNS1_3gpuE6ELNS1_3repE0EEENS1_30default_config_static_selectorELNS0_4arch9wavefront6targetE0EEEvS12_.has_indirect_call, 0
	.section	.AMDGPU.csdata,"",@progbits
; Kernel info:
; codeLenInByte = 0
; TotalNumSgprs: 0
; NumVgprs: 0
; ScratchSize: 0
; MemoryBound: 0
; FloatMode: 240
; IeeeMode: 1
; LDSByteSize: 0 bytes/workgroup (compile time only)
; SGPRBlocks: 0
; VGPRBlocks: 0
; NumSGPRsForWavesPerEU: 1
; NumVGPRsForWavesPerEU: 1
; Occupancy: 16
; WaveLimiterHint : 0
; COMPUTE_PGM_RSRC2:SCRATCH_EN: 0
; COMPUTE_PGM_RSRC2:USER_SGPR: 6
; COMPUTE_PGM_RSRC2:TRAP_HANDLER: 0
; COMPUTE_PGM_RSRC2:TGID_X_EN: 1
; COMPUTE_PGM_RSRC2:TGID_Y_EN: 0
; COMPUTE_PGM_RSRC2:TGID_Z_EN: 0
; COMPUTE_PGM_RSRC2:TIDIG_COMP_CNT: 0
	.section	.text._ZN7rocprim17ROCPRIM_400000_NS6detail17trampoline_kernelINS0_13select_configILj256ELj13ELNS0_17block_load_methodE3ELS4_3ELS4_3ELNS0_20block_scan_algorithmE0ELj4294967295EEENS1_25partition_config_selectorILNS1_17partition_subalgoE4EjNS0_10empty_typeEbEEZZNS1_14partition_implILS8_4ELb0ES6_15HIP_vector_typeIjLj2EENS0_17counting_iteratorIjlEEPS9_SG_NS0_5tupleIJPjSI_NS0_16reverse_iteratorISI_EEEEENSH_IJSG_SG_SG_EEES9_SI_JZNS1_25segmented_radix_sort_implINS0_14default_configELb1EPKbPbPKlPlN2at6native12_GLOBAL__N_18offset_tEEE10hipError_tPvRmT1_PNSt15iterator_traitsIS12_E10value_typeET2_T3_PNS13_IS18_E10value_typeET4_jRbjT5_S1E_jjP12ihipStream_tbEUljE_ZNSN_ISO_Lb1ESQ_SR_ST_SU_SY_EESZ_S10_S11_S12_S16_S17_S18_S1B_S1C_jS1D_jS1E_S1E_jjS1G_bEUljE0_EEESZ_S10_S11_S18_S1C_S1E_T6_T7_T9_mT8_S1G_bDpT10_ENKUlT_T0_E_clISt17integral_constantIbLb1EES1U_EEDaS1P_S1Q_EUlS1P_E_NS1_11comp_targetILNS1_3genE10ELNS1_11target_archE1200ELNS1_3gpuE4ELNS1_3repE0EEENS1_30default_config_static_selectorELNS0_4arch9wavefront6targetE0EEEvS12_,"axG",@progbits,_ZN7rocprim17ROCPRIM_400000_NS6detail17trampoline_kernelINS0_13select_configILj256ELj13ELNS0_17block_load_methodE3ELS4_3ELS4_3ELNS0_20block_scan_algorithmE0ELj4294967295EEENS1_25partition_config_selectorILNS1_17partition_subalgoE4EjNS0_10empty_typeEbEEZZNS1_14partition_implILS8_4ELb0ES6_15HIP_vector_typeIjLj2EENS0_17counting_iteratorIjlEEPS9_SG_NS0_5tupleIJPjSI_NS0_16reverse_iteratorISI_EEEEENSH_IJSG_SG_SG_EEES9_SI_JZNS1_25segmented_radix_sort_implINS0_14default_configELb1EPKbPbPKlPlN2at6native12_GLOBAL__N_18offset_tEEE10hipError_tPvRmT1_PNSt15iterator_traitsIS12_E10value_typeET2_T3_PNS13_IS18_E10value_typeET4_jRbjT5_S1E_jjP12ihipStream_tbEUljE_ZNSN_ISO_Lb1ESQ_SR_ST_SU_SY_EESZ_S10_S11_S12_S16_S17_S18_S1B_S1C_jS1D_jS1E_S1E_jjS1G_bEUljE0_EEESZ_S10_S11_S18_S1C_S1E_T6_T7_T9_mT8_S1G_bDpT10_ENKUlT_T0_E_clISt17integral_constantIbLb1EES1U_EEDaS1P_S1Q_EUlS1P_E_NS1_11comp_targetILNS1_3genE10ELNS1_11target_archE1200ELNS1_3gpuE4ELNS1_3repE0EEENS1_30default_config_static_selectorELNS0_4arch9wavefront6targetE0EEEvS12_,comdat
	.globl	_ZN7rocprim17ROCPRIM_400000_NS6detail17trampoline_kernelINS0_13select_configILj256ELj13ELNS0_17block_load_methodE3ELS4_3ELS4_3ELNS0_20block_scan_algorithmE0ELj4294967295EEENS1_25partition_config_selectorILNS1_17partition_subalgoE4EjNS0_10empty_typeEbEEZZNS1_14partition_implILS8_4ELb0ES6_15HIP_vector_typeIjLj2EENS0_17counting_iteratorIjlEEPS9_SG_NS0_5tupleIJPjSI_NS0_16reverse_iteratorISI_EEEEENSH_IJSG_SG_SG_EEES9_SI_JZNS1_25segmented_radix_sort_implINS0_14default_configELb1EPKbPbPKlPlN2at6native12_GLOBAL__N_18offset_tEEE10hipError_tPvRmT1_PNSt15iterator_traitsIS12_E10value_typeET2_T3_PNS13_IS18_E10value_typeET4_jRbjT5_S1E_jjP12ihipStream_tbEUljE_ZNSN_ISO_Lb1ESQ_SR_ST_SU_SY_EESZ_S10_S11_S12_S16_S17_S18_S1B_S1C_jS1D_jS1E_S1E_jjS1G_bEUljE0_EEESZ_S10_S11_S18_S1C_S1E_T6_T7_T9_mT8_S1G_bDpT10_ENKUlT_T0_E_clISt17integral_constantIbLb1EES1U_EEDaS1P_S1Q_EUlS1P_E_NS1_11comp_targetILNS1_3genE10ELNS1_11target_archE1200ELNS1_3gpuE4ELNS1_3repE0EEENS1_30default_config_static_selectorELNS0_4arch9wavefront6targetE0EEEvS12_ ; -- Begin function _ZN7rocprim17ROCPRIM_400000_NS6detail17trampoline_kernelINS0_13select_configILj256ELj13ELNS0_17block_load_methodE3ELS4_3ELS4_3ELNS0_20block_scan_algorithmE0ELj4294967295EEENS1_25partition_config_selectorILNS1_17partition_subalgoE4EjNS0_10empty_typeEbEEZZNS1_14partition_implILS8_4ELb0ES6_15HIP_vector_typeIjLj2EENS0_17counting_iteratorIjlEEPS9_SG_NS0_5tupleIJPjSI_NS0_16reverse_iteratorISI_EEEEENSH_IJSG_SG_SG_EEES9_SI_JZNS1_25segmented_radix_sort_implINS0_14default_configELb1EPKbPbPKlPlN2at6native12_GLOBAL__N_18offset_tEEE10hipError_tPvRmT1_PNSt15iterator_traitsIS12_E10value_typeET2_T3_PNS13_IS18_E10value_typeET4_jRbjT5_S1E_jjP12ihipStream_tbEUljE_ZNSN_ISO_Lb1ESQ_SR_ST_SU_SY_EESZ_S10_S11_S12_S16_S17_S18_S1B_S1C_jS1D_jS1E_S1E_jjS1G_bEUljE0_EEESZ_S10_S11_S18_S1C_S1E_T6_T7_T9_mT8_S1G_bDpT10_ENKUlT_T0_E_clISt17integral_constantIbLb1EES1U_EEDaS1P_S1Q_EUlS1P_E_NS1_11comp_targetILNS1_3genE10ELNS1_11target_archE1200ELNS1_3gpuE4ELNS1_3repE0EEENS1_30default_config_static_selectorELNS0_4arch9wavefront6targetE0EEEvS12_
	.p2align	8
	.type	_ZN7rocprim17ROCPRIM_400000_NS6detail17trampoline_kernelINS0_13select_configILj256ELj13ELNS0_17block_load_methodE3ELS4_3ELS4_3ELNS0_20block_scan_algorithmE0ELj4294967295EEENS1_25partition_config_selectorILNS1_17partition_subalgoE4EjNS0_10empty_typeEbEEZZNS1_14partition_implILS8_4ELb0ES6_15HIP_vector_typeIjLj2EENS0_17counting_iteratorIjlEEPS9_SG_NS0_5tupleIJPjSI_NS0_16reverse_iteratorISI_EEEEENSH_IJSG_SG_SG_EEES9_SI_JZNS1_25segmented_radix_sort_implINS0_14default_configELb1EPKbPbPKlPlN2at6native12_GLOBAL__N_18offset_tEEE10hipError_tPvRmT1_PNSt15iterator_traitsIS12_E10value_typeET2_T3_PNS13_IS18_E10value_typeET4_jRbjT5_S1E_jjP12ihipStream_tbEUljE_ZNSN_ISO_Lb1ESQ_SR_ST_SU_SY_EESZ_S10_S11_S12_S16_S17_S18_S1B_S1C_jS1D_jS1E_S1E_jjS1G_bEUljE0_EEESZ_S10_S11_S18_S1C_S1E_T6_T7_T9_mT8_S1G_bDpT10_ENKUlT_T0_E_clISt17integral_constantIbLb1EES1U_EEDaS1P_S1Q_EUlS1P_E_NS1_11comp_targetILNS1_3genE10ELNS1_11target_archE1200ELNS1_3gpuE4ELNS1_3repE0EEENS1_30default_config_static_selectorELNS0_4arch9wavefront6targetE0EEEvS12_,@function
_ZN7rocprim17ROCPRIM_400000_NS6detail17trampoline_kernelINS0_13select_configILj256ELj13ELNS0_17block_load_methodE3ELS4_3ELS4_3ELNS0_20block_scan_algorithmE0ELj4294967295EEENS1_25partition_config_selectorILNS1_17partition_subalgoE4EjNS0_10empty_typeEbEEZZNS1_14partition_implILS8_4ELb0ES6_15HIP_vector_typeIjLj2EENS0_17counting_iteratorIjlEEPS9_SG_NS0_5tupleIJPjSI_NS0_16reverse_iteratorISI_EEEEENSH_IJSG_SG_SG_EEES9_SI_JZNS1_25segmented_radix_sort_implINS0_14default_configELb1EPKbPbPKlPlN2at6native12_GLOBAL__N_18offset_tEEE10hipError_tPvRmT1_PNSt15iterator_traitsIS12_E10value_typeET2_T3_PNS13_IS18_E10value_typeET4_jRbjT5_S1E_jjP12ihipStream_tbEUljE_ZNSN_ISO_Lb1ESQ_SR_ST_SU_SY_EESZ_S10_S11_S12_S16_S17_S18_S1B_S1C_jS1D_jS1E_S1E_jjS1G_bEUljE0_EEESZ_S10_S11_S18_S1C_S1E_T6_T7_T9_mT8_S1G_bDpT10_ENKUlT_T0_E_clISt17integral_constantIbLb1EES1U_EEDaS1P_S1Q_EUlS1P_E_NS1_11comp_targetILNS1_3genE10ELNS1_11target_archE1200ELNS1_3gpuE4ELNS1_3repE0EEENS1_30default_config_static_selectorELNS0_4arch9wavefront6targetE0EEEvS12_: ; @_ZN7rocprim17ROCPRIM_400000_NS6detail17trampoline_kernelINS0_13select_configILj256ELj13ELNS0_17block_load_methodE3ELS4_3ELS4_3ELNS0_20block_scan_algorithmE0ELj4294967295EEENS1_25partition_config_selectorILNS1_17partition_subalgoE4EjNS0_10empty_typeEbEEZZNS1_14partition_implILS8_4ELb0ES6_15HIP_vector_typeIjLj2EENS0_17counting_iteratorIjlEEPS9_SG_NS0_5tupleIJPjSI_NS0_16reverse_iteratorISI_EEEEENSH_IJSG_SG_SG_EEES9_SI_JZNS1_25segmented_radix_sort_implINS0_14default_configELb1EPKbPbPKlPlN2at6native12_GLOBAL__N_18offset_tEEE10hipError_tPvRmT1_PNSt15iterator_traitsIS12_E10value_typeET2_T3_PNS13_IS18_E10value_typeET4_jRbjT5_S1E_jjP12ihipStream_tbEUljE_ZNSN_ISO_Lb1ESQ_SR_ST_SU_SY_EESZ_S10_S11_S12_S16_S17_S18_S1B_S1C_jS1D_jS1E_S1E_jjS1G_bEUljE0_EEESZ_S10_S11_S18_S1C_S1E_T6_T7_T9_mT8_S1G_bDpT10_ENKUlT_T0_E_clISt17integral_constantIbLb1EES1U_EEDaS1P_S1Q_EUlS1P_E_NS1_11comp_targetILNS1_3genE10ELNS1_11target_archE1200ELNS1_3gpuE4ELNS1_3repE0EEENS1_30default_config_static_selectorELNS0_4arch9wavefront6targetE0EEEvS12_
; %bb.0:
	.section	.rodata,"a",@progbits
	.p2align	6, 0x0
	.amdhsa_kernel _ZN7rocprim17ROCPRIM_400000_NS6detail17trampoline_kernelINS0_13select_configILj256ELj13ELNS0_17block_load_methodE3ELS4_3ELS4_3ELNS0_20block_scan_algorithmE0ELj4294967295EEENS1_25partition_config_selectorILNS1_17partition_subalgoE4EjNS0_10empty_typeEbEEZZNS1_14partition_implILS8_4ELb0ES6_15HIP_vector_typeIjLj2EENS0_17counting_iteratorIjlEEPS9_SG_NS0_5tupleIJPjSI_NS0_16reverse_iteratorISI_EEEEENSH_IJSG_SG_SG_EEES9_SI_JZNS1_25segmented_radix_sort_implINS0_14default_configELb1EPKbPbPKlPlN2at6native12_GLOBAL__N_18offset_tEEE10hipError_tPvRmT1_PNSt15iterator_traitsIS12_E10value_typeET2_T3_PNS13_IS18_E10value_typeET4_jRbjT5_S1E_jjP12ihipStream_tbEUljE_ZNSN_ISO_Lb1ESQ_SR_ST_SU_SY_EESZ_S10_S11_S12_S16_S17_S18_S1B_S1C_jS1D_jS1E_S1E_jjS1G_bEUljE0_EEESZ_S10_S11_S18_S1C_S1E_T6_T7_T9_mT8_S1G_bDpT10_ENKUlT_T0_E_clISt17integral_constantIbLb1EES1U_EEDaS1P_S1Q_EUlS1P_E_NS1_11comp_targetILNS1_3genE10ELNS1_11target_archE1200ELNS1_3gpuE4ELNS1_3repE0EEENS1_30default_config_static_selectorELNS0_4arch9wavefront6targetE0EEEvS12_
		.amdhsa_group_segment_fixed_size 0
		.amdhsa_private_segment_fixed_size 0
		.amdhsa_kernarg_size 184
		.amdhsa_user_sgpr_count 6
		.amdhsa_user_sgpr_private_segment_buffer 1
		.amdhsa_user_sgpr_dispatch_ptr 0
		.amdhsa_user_sgpr_queue_ptr 0
		.amdhsa_user_sgpr_kernarg_segment_ptr 1
		.amdhsa_user_sgpr_dispatch_id 0
		.amdhsa_user_sgpr_flat_scratch_init 0
		.amdhsa_user_sgpr_private_segment_size 0
		.amdhsa_wavefront_size32 1
		.amdhsa_uses_dynamic_stack 0
		.amdhsa_system_sgpr_private_segment_wavefront_offset 0
		.amdhsa_system_sgpr_workgroup_id_x 1
		.amdhsa_system_sgpr_workgroup_id_y 0
		.amdhsa_system_sgpr_workgroup_id_z 0
		.amdhsa_system_sgpr_workgroup_info 0
		.amdhsa_system_vgpr_workitem_id 0
		.amdhsa_next_free_vgpr 1
		.amdhsa_next_free_sgpr 1
		.amdhsa_reserve_vcc 0
		.amdhsa_reserve_flat_scratch 0
		.amdhsa_float_round_mode_32 0
		.amdhsa_float_round_mode_16_64 0
		.amdhsa_float_denorm_mode_32 3
		.amdhsa_float_denorm_mode_16_64 3
		.amdhsa_dx10_clamp 1
		.amdhsa_ieee_mode 1
		.amdhsa_fp16_overflow 0
		.amdhsa_workgroup_processor_mode 1
		.amdhsa_memory_ordered 1
		.amdhsa_forward_progress 1
		.amdhsa_shared_vgpr_count 0
		.amdhsa_exception_fp_ieee_invalid_op 0
		.amdhsa_exception_fp_denorm_src 0
		.amdhsa_exception_fp_ieee_div_zero 0
		.amdhsa_exception_fp_ieee_overflow 0
		.amdhsa_exception_fp_ieee_underflow 0
		.amdhsa_exception_fp_ieee_inexact 0
		.amdhsa_exception_int_div_zero 0
	.end_amdhsa_kernel
	.section	.text._ZN7rocprim17ROCPRIM_400000_NS6detail17trampoline_kernelINS0_13select_configILj256ELj13ELNS0_17block_load_methodE3ELS4_3ELS4_3ELNS0_20block_scan_algorithmE0ELj4294967295EEENS1_25partition_config_selectorILNS1_17partition_subalgoE4EjNS0_10empty_typeEbEEZZNS1_14partition_implILS8_4ELb0ES6_15HIP_vector_typeIjLj2EENS0_17counting_iteratorIjlEEPS9_SG_NS0_5tupleIJPjSI_NS0_16reverse_iteratorISI_EEEEENSH_IJSG_SG_SG_EEES9_SI_JZNS1_25segmented_radix_sort_implINS0_14default_configELb1EPKbPbPKlPlN2at6native12_GLOBAL__N_18offset_tEEE10hipError_tPvRmT1_PNSt15iterator_traitsIS12_E10value_typeET2_T3_PNS13_IS18_E10value_typeET4_jRbjT5_S1E_jjP12ihipStream_tbEUljE_ZNSN_ISO_Lb1ESQ_SR_ST_SU_SY_EESZ_S10_S11_S12_S16_S17_S18_S1B_S1C_jS1D_jS1E_S1E_jjS1G_bEUljE0_EEESZ_S10_S11_S18_S1C_S1E_T6_T7_T9_mT8_S1G_bDpT10_ENKUlT_T0_E_clISt17integral_constantIbLb1EES1U_EEDaS1P_S1Q_EUlS1P_E_NS1_11comp_targetILNS1_3genE10ELNS1_11target_archE1200ELNS1_3gpuE4ELNS1_3repE0EEENS1_30default_config_static_selectorELNS0_4arch9wavefront6targetE0EEEvS12_,"axG",@progbits,_ZN7rocprim17ROCPRIM_400000_NS6detail17trampoline_kernelINS0_13select_configILj256ELj13ELNS0_17block_load_methodE3ELS4_3ELS4_3ELNS0_20block_scan_algorithmE0ELj4294967295EEENS1_25partition_config_selectorILNS1_17partition_subalgoE4EjNS0_10empty_typeEbEEZZNS1_14partition_implILS8_4ELb0ES6_15HIP_vector_typeIjLj2EENS0_17counting_iteratorIjlEEPS9_SG_NS0_5tupleIJPjSI_NS0_16reverse_iteratorISI_EEEEENSH_IJSG_SG_SG_EEES9_SI_JZNS1_25segmented_radix_sort_implINS0_14default_configELb1EPKbPbPKlPlN2at6native12_GLOBAL__N_18offset_tEEE10hipError_tPvRmT1_PNSt15iterator_traitsIS12_E10value_typeET2_T3_PNS13_IS18_E10value_typeET4_jRbjT5_S1E_jjP12ihipStream_tbEUljE_ZNSN_ISO_Lb1ESQ_SR_ST_SU_SY_EESZ_S10_S11_S12_S16_S17_S18_S1B_S1C_jS1D_jS1E_S1E_jjS1G_bEUljE0_EEESZ_S10_S11_S18_S1C_S1E_T6_T7_T9_mT8_S1G_bDpT10_ENKUlT_T0_E_clISt17integral_constantIbLb1EES1U_EEDaS1P_S1Q_EUlS1P_E_NS1_11comp_targetILNS1_3genE10ELNS1_11target_archE1200ELNS1_3gpuE4ELNS1_3repE0EEENS1_30default_config_static_selectorELNS0_4arch9wavefront6targetE0EEEvS12_,comdat
.Lfunc_end1473:
	.size	_ZN7rocprim17ROCPRIM_400000_NS6detail17trampoline_kernelINS0_13select_configILj256ELj13ELNS0_17block_load_methodE3ELS4_3ELS4_3ELNS0_20block_scan_algorithmE0ELj4294967295EEENS1_25partition_config_selectorILNS1_17partition_subalgoE4EjNS0_10empty_typeEbEEZZNS1_14partition_implILS8_4ELb0ES6_15HIP_vector_typeIjLj2EENS0_17counting_iteratorIjlEEPS9_SG_NS0_5tupleIJPjSI_NS0_16reverse_iteratorISI_EEEEENSH_IJSG_SG_SG_EEES9_SI_JZNS1_25segmented_radix_sort_implINS0_14default_configELb1EPKbPbPKlPlN2at6native12_GLOBAL__N_18offset_tEEE10hipError_tPvRmT1_PNSt15iterator_traitsIS12_E10value_typeET2_T3_PNS13_IS18_E10value_typeET4_jRbjT5_S1E_jjP12ihipStream_tbEUljE_ZNSN_ISO_Lb1ESQ_SR_ST_SU_SY_EESZ_S10_S11_S12_S16_S17_S18_S1B_S1C_jS1D_jS1E_S1E_jjS1G_bEUljE0_EEESZ_S10_S11_S18_S1C_S1E_T6_T7_T9_mT8_S1G_bDpT10_ENKUlT_T0_E_clISt17integral_constantIbLb1EES1U_EEDaS1P_S1Q_EUlS1P_E_NS1_11comp_targetILNS1_3genE10ELNS1_11target_archE1200ELNS1_3gpuE4ELNS1_3repE0EEENS1_30default_config_static_selectorELNS0_4arch9wavefront6targetE0EEEvS12_, .Lfunc_end1473-_ZN7rocprim17ROCPRIM_400000_NS6detail17trampoline_kernelINS0_13select_configILj256ELj13ELNS0_17block_load_methodE3ELS4_3ELS4_3ELNS0_20block_scan_algorithmE0ELj4294967295EEENS1_25partition_config_selectorILNS1_17partition_subalgoE4EjNS0_10empty_typeEbEEZZNS1_14partition_implILS8_4ELb0ES6_15HIP_vector_typeIjLj2EENS0_17counting_iteratorIjlEEPS9_SG_NS0_5tupleIJPjSI_NS0_16reverse_iteratorISI_EEEEENSH_IJSG_SG_SG_EEES9_SI_JZNS1_25segmented_radix_sort_implINS0_14default_configELb1EPKbPbPKlPlN2at6native12_GLOBAL__N_18offset_tEEE10hipError_tPvRmT1_PNSt15iterator_traitsIS12_E10value_typeET2_T3_PNS13_IS18_E10value_typeET4_jRbjT5_S1E_jjP12ihipStream_tbEUljE_ZNSN_ISO_Lb1ESQ_SR_ST_SU_SY_EESZ_S10_S11_S12_S16_S17_S18_S1B_S1C_jS1D_jS1E_S1E_jjS1G_bEUljE0_EEESZ_S10_S11_S18_S1C_S1E_T6_T7_T9_mT8_S1G_bDpT10_ENKUlT_T0_E_clISt17integral_constantIbLb1EES1U_EEDaS1P_S1Q_EUlS1P_E_NS1_11comp_targetILNS1_3genE10ELNS1_11target_archE1200ELNS1_3gpuE4ELNS1_3repE0EEENS1_30default_config_static_selectorELNS0_4arch9wavefront6targetE0EEEvS12_
                                        ; -- End function
	.set _ZN7rocprim17ROCPRIM_400000_NS6detail17trampoline_kernelINS0_13select_configILj256ELj13ELNS0_17block_load_methodE3ELS4_3ELS4_3ELNS0_20block_scan_algorithmE0ELj4294967295EEENS1_25partition_config_selectorILNS1_17partition_subalgoE4EjNS0_10empty_typeEbEEZZNS1_14partition_implILS8_4ELb0ES6_15HIP_vector_typeIjLj2EENS0_17counting_iteratorIjlEEPS9_SG_NS0_5tupleIJPjSI_NS0_16reverse_iteratorISI_EEEEENSH_IJSG_SG_SG_EEES9_SI_JZNS1_25segmented_radix_sort_implINS0_14default_configELb1EPKbPbPKlPlN2at6native12_GLOBAL__N_18offset_tEEE10hipError_tPvRmT1_PNSt15iterator_traitsIS12_E10value_typeET2_T3_PNS13_IS18_E10value_typeET4_jRbjT5_S1E_jjP12ihipStream_tbEUljE_ZNSN_ISO_Lb1ESQ_SR_ST_SU_SY_EESZ_S10_S11_S12_S16_S17_S18_S1B_S1C_jS1D_jS1E_S1E_jjS1G_bEUljE0_EEESZ_S10_S11_S18_S1C_S1E_T6_T7_T9_mT8_S1G_bDpT10_ENKUlT_T0_E_clISt17integral_constantIbLb1EES1U_EEDaS1P_S1Q_EUlS1P_E_NS1_11comp_targetILNS1_3genE10ELNS1_11target_archE1200ELNS1_3gpuE4ELNS1_3repE0EEENS1_30default_config_static_selectorELNS0_4arch9wavefront6targetE0EEEvS12_.num_vgpr, 0
	.set _ZN7rocprim17ROCPRIM_400000_NS6detail17trampoline_kernelINS0_13select_configILj256ELj13ELNS0_17block_load_methodE3ELS4_3ELS4_3ELNS0_20block_scan_algorithmE0ELj4294967295EEENS1_25partition_config_selectorILNS1_17partition_subalgoE4EjNS0_10empty_typeEbEEZZNS1_14partition_implILS8_4ELb0ES6_15HIP_vector_typeIjLj2EENS0_17counting_iteratorIjlEEPS9_SG_NS0_5tupleIJPjSI_NS0_16reverse_iteratorISI_EEEEENSH_IJSG_SG_SG_EEES9_SI_JZNS1_25segmented_radix_sort_implINS0_14default_configELb1EPKbPbPKlPlN2at6native12_GLOBAL__N_18offset_tEEE10hipError_tPvRmT1_PNSt15iterator_traitsIS12_E10value_typeET2_T3_PNS13_IS18_E10value_typeET4_jRbjT5_S1E_jjP12ihipStream_tbEUljE_ZNSN_ISO_Lb1ESQ_SR_ST_SU_SY_EESZ_S10_S11_S12_S16_S17_S18_S1B_S1C_jS1D_jS1E_S1E_jjS1G_bEUljE0_EEESZ_S10_S11_S18_S1C_S1E_T6_T7_T9_mT8_S1G_bDpT10_ENKUlT_T0_E_clISt17integral_constantIbLb1EES1U_EEDaS1P_S1Q_EUlS1P_E_NS1_11comp_targetILNS1_3genE10ELNS1_11target_archE1200ELNS1_3gpuE4ELNS1_3repE0EEENS1_30default_config_static_selectorELNS0_4arch9wavefront6targetE0EEEvS12_.num_agpr, 0
	.set _ZN7rocprim17ROCPRIM_400000_NS6detail17trampoline_kernelINS0_13select_configILj256ELj13ELNS0_17block_load_methodE3ELS4_3ELS4_3ELNS0_20block_scan_algorithmE0ELj4294967295EEENS1_25partition_config_selectorILNS1_17partition_subalgoE4EjNS0_10empty_typeEbEEZZNS1_14partition_implILS8_4ELb0ES6_15HIP_vector_typeIjLj2EENS0_17counting_iteratorIjlEEPS9_SG_NS0_5tupleIJPjSI_NS0_16reverse_iteratorISI_EEEEENSH_IJSG_SG_SG_EEES9_SI_JZNS1_25segmented_radix_sort_implINS0_14default_configELb1EPKbPbPKlPlN2at6native12_GLOBAL__N_18offset_tEEE10hipError_tPvRmT1_PNSt15iterator_traitsIS12_E10value_typeET2_T3_PNS13_IS18_E10value_typeET4_jRbjT5_S1E_jjP12ihipStream_tbEUljE_ZNSN_ISO_Lb1ESQ_SR_ST_SU_SY_EESZ_S10_S11_S12_S16_S17_S18_S1B_S1C_jS1D_jS1E_S1E_jjS1G_bEUljE0_EEESZ_S10_S11_S18_S1C_S1E_T6_T7_T9_mT8_S1G_bDpT10_ENKUlT_T0_E_clISt17integral_constantIbLb1EES1U_EEDaS1P_S1Q_EUlS1P_E_NS1_11comp_targetILNS1_3genE10ELNS1_11target_archE1200ELNS1_3gpuE4ELNS1_3repE0EEENS1_30default_config_static_selectorELNS0_4arch9wavefront6targetE0EEEvS12_.numbered_sgpr, 0
	.set _ZN7rocprim17ROCPRIM_400000_NS6detail17trampoline_kernelINS0_13select_configILj256ELj13ELNS0_17block_load_methodE3ELS4_3ELS4_3ELNS0_20block_scan_algorithmE0ELj4294967295EEENS1_25partition_config_selectorILNS1_17partition_subalgoE4EjNS0_10empty_typeEbEEZZNS1_14partition_implILS8_4ELb0ES6_15HIP_vector_typeIjLj2EENS0_17counting_iteratorIjlEEPS9_SG_NS0_5tupleIJPjSI_NS0_16reverse_iteratorISI_EEEEENSH_IJSG_SG_SG_EEES9_SI_JZNS1_25segmented_radix_sort_implINS0_14default_configELb1EPKbPbPKlPlN2at6native12_GLOBAL__N_18offset_tEEE10hipError_tPvRmT1_PNSt15iterator_traitsIS12_E10value_typeET2_T3_PNS13_IS18_E10value_typeET4_jRbjT5_S1E_jjP12ihipStream_tbEUljE_ZNSN_ISO_Lb1ESQ_SR_ST_SU_SY_EESZ_S10_S11_S12_S16_S17_S18_S1B_S1C_jS1D_jS1E_S1E_jjS1G_bEUljE0_EEESZ_S10_S11_S18_S1C_S1E_T6_T7_T9_mT8_S1G_bDpT10_ENKUlT_T0_E_clISt17integral_constantIbLb1EES1U_EEDaS1P_S1Q_EUlS1P_E_NS1_11comp_targetILNS1_3genE10ELNS1_11target_archE1200ELNS1_3gpuE4ELNS1_3repE0EEENS1_30default_config_static_selectorELNS0_4arch9wavefront6targetE0EEEvS12_.num_named_barrier, 0
	.set _ZN7rocprim17ROCPRIM_400000_NS6detail17trampoline_kernelINS0_13select_configILj256ELj13ELNS0_17block_load_methodE3ELS4_3ELS4_3ELNS0_20block_scan_algorithmE0ELj4294967295EEENS1_25partition_config_selectorILNS1_17partition_subalgoE4EjNS0_10empty_typeEbEEZZNS1_14partition_implILS8_4ELb0ES6_15HIP_vector_typeIjLj2EENS0_17counting_iteratorIjlEEPS9_SG_NS0_5tupleIJPjSI_NS0_16reverse_iteratorISI_EEEEENSH_IJSG_SG_SG_EEES9_SI_JZNS1_25segmented_radix_sort_implINS0_14default_configELb1EPKbPbPKlPlN2at6native12_GLOBAL__N_18offset_tEEE10hipError_tPvRmT1_PNSt15iterator_traitsIS12_E10value_typeET2_T3_PNS13_IS18_E10value_typeET4_jRbjT5_S1E_jjP12ihipStream_tbEUljE_ZNSN_ISO_Lb1ESQ_SR_ST_SU_SY_EESZ_S10_S11_S12_S16_S17_S18_S1B_S1C_jS1D_jS1E_S1E_jjS1G_bEUljE0_EEESZ_S10_S11_S18_S1C_S1E_T6_T7_T9_mT8_S1G_bDpT10_ENKUlT_T0_E_clISt17integral_constantIbLb1EES1U_EEDaS1P_S1Q_EUlS1P_E_NS1_11comp_targetILNS1_3genE10ELNS1_11target_archE1200ELNS1_3gpuE4ELNS1_3repE0EEENS1_30default_config_static_selectorELNS0_4arch9wavefront6targetE0EEEvS12_.private_seg_size, 0
	.set _ZN7rocprim17ROCPRIM_400000_NS6detail17trampoline_kernelINS0_13select_configILj256ELj13ELNS0_17block_load_methodE3ELS4_3ELS4_3ELNS0_20block_scan_algorithmE0ELj4294967295EEENS1_25partition_config_selectorILNS1_17partition_subalgoE4EjNS0_10empty_typeEbEEZZNS1_14partition_implILS8_4ELb0ES6_15HIP_vector_typeIjLj2EENS0_17counting_iteratorIjlEEPS9_SG_NS0_5tupleIJPjSI_NS0_16reverse_iteratorISI_EEEEENSH_IJSG_SG_SG_EEES9_SI_JZNS1_25segmented_radix_sort_implINS0_14default_configELb1EPKbPbPKlPlN2at6native12_GLOBAL__N_18offset_tEEE10hipError_tPvRmT1_PNSt15iterator_traitsIS12_E10value_typeET2_T3_PNS13_IS18_E10value_typeET4_jRbjT5_S1E_jjP12ihipStream_tbEUljE_ZNSN_ISO_Lb1ESQ_SR_ST_SU_SY_EESZ_S10_S11_S12_S16_S17_S18_S1B_S1C_jS1D_jS1E_S1E_jjS1G_bEUljE0_EEESZ_S10_S11_S18_S1C_S1E_T6_T7_T9_mT8_S1G_bDpT10_ENKUlT_T0_E_clISt17integral_constantIbLb1EES1U_EEDaS1P_S1Q_EUlS1P_E_NS1_11comp_targetILNS1_3genE10ELNS1_11target_archE1200ELNS1_3gpuE4ELNS1_3repE0EEENS1_30default_config_static_selectorELNS0_4arch9wavefront6targetE0EEEvS12_.uses_vcc, 0
	.set _ZN7rocprim17ROCPRIM_400000_NS6detail17trampoline_kernelINS0_13select_configILj256ELj13ELNS0_17block_load_methodE3ELS4_3ELS4_3ELNS0_20block_scan_algorithmE0ELj4294967295EEENS1_25partition_config_selectorILNS1_17partition_subalgoE4EjNS0_10empty_typeEbEEZZNS1_14partition_implILS8_4ELb0ES6_15HIP_vector_typeIjLj2EENS0_17counting_iteratorIjlEEPS9_SG_NS0_5tupleIJPjSI_NS0_16reverse_iteratorISI_EEEEENSH_IJSG_SG_SG_EEES9_SI_JZNS1_25segmented_radix_sort_implINS0_14default_configELb1EPKbPbPKlPlN2at6native12_GLOBAL__N_18offset_tEEE10hipError_tPvRmT1_PNSt15iterator_traitsIS12_E10value_typeET2_T3_PNS13_IS18_E10value_typeET4_jRbjT5_S1E_jjP12ihipStream_tbEUljE_ZNSN_ISO_Lb1ESQ_SR_ST_SU_SY_EESZ_S10_S11_S12_S16_S17_S18_S1B_S1C_jS1D_jS1E_S1E_jjS1G_bEUljE0_EEESZ_S10_S11_S18_S1C_S1E_T6_T7_T9_mT8_S1G_bDpT10_ENKUlT_T0_E_clISt17integral_constantIbLb1EES1U_EEDaS1P_S1Q_EUlS1P_E_NS1_11comp_targetILNS1_3genE10ELNS1_11target_archE1200ELNS1_3gpuE4ELNS1_3repE0EEENS1_30default_config_static_selectorELNS0_4arch9wavefront6targetE0EEEvS12_.uses_flat_scratch, 0
	.set _ZN7rocprim17ROCPRIM_400000_NS6detail17trampoline_kernelINS0_13select_configILj256ELj13ELNS0_17block_load_methodE3ELS4_3ELS4_3ELNS0_20block_scan_algorithmE0ELj4294967295EEENS1_25partition_config_selectorILNS1_17partition_subalgoE4EjNS0_10empty_typeEbEEZZNS1_14partition_implILS8_4ELb0ES6_15HIP_vector_typeIjLj2EENS0_17counting_iteratorIjlEEPS9_SG_NS0_5tupleIJPjSI_NS0_16reverse_iteratorISI_EEEEENSH_IJSG_SG_SG_EEES9_SI_JZNS1_25segmented_radix_sort_implINS0_14default_configELb1EPKbPbPKlPlN2at6native12_GLOBAL__N_18offset_tEEE10hipError_tPvRmT1_PNSt15iterator_traitsIS12_E10value_typeET2_T3_PNS13_IS18_E10value_typeET4_jRbjT5_S1E_jjP12ihipStream_tbEUljE_ZNSN_ISO_Lb1ESQ_SR_ST_SU_SY_EESZ_S10_S11_S12_S16_S17_S18_S1B_S1C_jS1D_jS1E_S1E_jjS1G_bEUljE0_EEESZ_S10_S11_S18_S1C_S1E_T6_T7_T9_mT8_S1G_bDpT10_ENKUlT_T0_E_clISt17integral_constantIbLb1EES1U_EEDaS1P_S1Q_EUlS1P_E_NS1_11comp_targetILNS1_3genE10ELNS1_11target_archE1200ELNS1_3gpuE4ELNS1_3repE0EEENS1_30default_config_static_selectorELNS0_4arch9wavefront6targetE0EEEvS12_.has_dyn_sized_stack, 0
	.set _ZN7rocprim17ROCPRIM_400000_NS6detail17trampoline_kernelINS0_13select_configILj256ELj13ELNS0_17block_load_methodE3ELS4_3ELS4_3ELNS0_20block_scan_algorithmE0ELj4294967295EEENS1_25partition_config_selectorILNS1_17partition_subalgoE4EjNS0_10empty_typeEbEEZZNS1_14partition_implILS8_4ELb0ES6_15HIP_vector_typeIjLj2EENS0_17counting_iteratorIjlEEPS9_SG_NS0_5tupleIJPjSI_NS0_16reverse_iteratorISI_EEEEENSH_IJSG_SG_SG_EEES9_SI_JZNS1_25segmented_radix_sort_implINS0_14default_configELb1EPKbPbPKlPlN2at6native12_GLOBAL__N_18offset_tEEE10hipError_tPvRmT1_PNSt15iterator_traitsIS12_E10value_typeET2_T3_PNS13_IS18_E10value_typeET4_jRbjT5_S1E_jjP12ihipStream_tbEUljE_ZNSN_ISO_Lb1ESQ_SR_ST_SU_SY_EESZ_S10_S11_S12_S16_S17_S18_S1B_S1C_jS1D_jS1E_S1E_jjS1G_bEUljE0_EEESZ_S10_S11_S18_S1C_S1E_T6_T7_T9_mT8_S1G_bDpT10_ENKUlT_T0_E_clISt17integral_constantIbLb1EES1U_EEDaS1P_S1Q_EUlS1P_E_NS1_11comp_targetILNS1_3genE10ELNS1_11target_archE1200ELNS1_3gpuE4ELNS1_3repE0EEENS1_30default_config_static_selectorELNS0_4arch9wavefront6targetE0EEEvS12_.has_recursion, 0
	.set _ZN7rocprim17ROCPRIM_400000_NS6detail17trampoline_kernelINS0_13select_configILj256ELj13ELNS0_17block_load_methodE3ELS4_3ELS4_3ELNS0_20block_scan_algorithmE0ELj4294967295EEENS1_25partition_config_selectorILNS1_17partition_subalgoE4EjNS0_10empty_typeEbEEZZNS1_14partition_implILS8_4ELb0ES6_15HIP_vector_typeIjLj2EENS0_17counting_iteratorIjlEEPS9_SG_NS0_5tupleIJPjSI_NS0_16reverse_iteratorISI_EEEEENSH_IJSG_SG_SG_EEES9_SI_JZNS1_25segmented_radix_sort_implINS0_14default_configELb1EPKbPbPKlPlN2at6native12_GLOBAL__N_18offset_tEEE10hipError_tPvRmT1_PNSt15iterator_traitsIS12_E10value_typeET2_T3_PNS13_IS18_E10value_typeET4_jRbjT5_S1E_jjP12ihipStream_tbEUljE_ZNSN_ISO_Lb1ESQ_SR_ST_SU_SY_EESZ_S10_S11_S12_S16_S17_S18_S1B_S1C_jS1D_jS1E_S1E_jjS1G_bEUljE0_EEESZ_S10_S11_S18_S1C_S1E_T6_T7_T9_mT8_S1G_bDpT10_ENKUlT_T0_E_clISt17integral_constantIbLb1EES1U_EEDaS1P_S1Q_EUlS1P_E_NS1_11comp_targetILNS1_3genE10ELNS1_11target_archE1200ELNS1_3gpuE4ELNS1_3repE0EEENS1_30default_config_static_selectorELNS0_4arch9wavefront6targetE0EEEvS12_.has_indirect_call, 0
	.section	.AMDGPU.csdata,"",@progbits
; Kernel info:
; codeLenInByte = 0
; TotalNumSgprs: 0
; NumVgprs: 0
; ScratchSize: 0
; MemoryBound: 0
; FloatMode: 240
; IeeeMode: 1
; LDSByteSize: 0 bytes/workgroup (compile time only)
; SGPRBlocks: 0
; VGPRBlocks: 0
; NumSGPRsForWavesPerEU: 1
; NumVGPRsForWavesPerEU: 1
; Occupancy: 16
; WaveLimiterHint : 0
; COMPUTE_PGM_RSRC2:SCRATCH_EN: 0
; COMPUTE_PGM_RSRC2:USER_SGPR: 6
; COMPUTE_PGM_RSRC2:TRAP_HANDLER: 0
; COMPUTE_PGM_RSRC2:TGID_X_EN: 1
; COMPUTE_PGM_RSRC2:TGID_Y_EN: 0
; COMPUTE_PGM_RSRC2:TGID_Z_EN: 0
; COMPUTE_PGM_RSRC2:TIDIG_COMP_CNT: 0
	.section	.text._ZN7rocprim17ROCPRIM_400000_NS6detail17trampoline_kernelINS0_13select_configILj256ELj13ELNS0_17block_load_methodE3ELS4_3ELS4_3ELNS0_20block_scan_algorithmE0ELj4294967295EEENS1_25partition_config_selectorILNS1_17partition_subalgoE4EjNS0_10empty_typeEbEEZZNS1_14partition_implILS8_4ELb0ES6_15HIP_vector_typeIjLj2EENS0_17counting_iteratorIjlEEPS9_SG_NS0_5tupleIJPjSI_NS0_16reverse_iteratorISI_EEEEENSH_IJSG_SG_SG_EEES9_SI_JZNS1_25segmented_radix_sort_implINS0_14default_configELb1EPKbPbPKlPlN2at6native12_GLOBAL__N_18offset_tEEE10hipError_tPvRmT1_PNSt15iterator_traitsIS12_E10value_typeET2_T3_PNS13_IS18_E10value_typeET4_jRbjT5_S1E_jjP12ihipStream_tbEUljE_ZNSN_ISO_Lb1ESQ_SR_ST_SU_SY_EESZ_S10_S11_S12_S16_S17_S18_S1B_S1C_jS1D_jS1E_S1E_jjS1G_bEUljE0_EEESZ_S10_S11_S18_S1C_S1E_T6_T7_T9_mT8_S1G_bDpT10_ENKUlT_T0_E_clISt17integral_constantIbLb1EES1U_EEDaS1P_S1Q_EUlS1P_E_NS1_11comp_targetILNS1_3genE9ELNS1_11target_archE1100ELNS1_3gpuE3ELNS1_3repE0EEENS1_30default_config_static_selectorELNS0_4arch9wavefront6targetE0EEEvS12_,"axG",@progbits,_ZN7rocprim17ROCPRIM_400000_NS6detail17trampoline_kernelINS0_13select_configILj256ELj13ELNS0_17block_load_methodE3ELS4_3ELS4_3ELNS0_20block_scan_algorithmE0ELj4294967295EEENS1_25partition_config_selectorILNS1_17partition_subalgoE4EjNS0_10empty_typeEbEEZZNS1_14partition_implILS8_4ELb0ES6_15HIP_vector_typeIjLj2EENS0_17counting_iteratorIjlEEPS9_SG_NS0_5tupleIJPjSI_NS0_16reverse_iteratorISI_EEEEENSH_IJSG_SG_SG_EEES9_SI_JZNS1_25segmented_radix_sort_implINS0_14default_configELb1EPKbPbPKlPlN2at6native12_GLOBAL__N_18offset_tEEE10hipError_tPvRmT1_PNSt15iterator_traitsIS12_E10value_typeET2_T3_PNS13_IS18_E10value_typeET4_jRbjT5_S1E_jjP12ihipStream_tbEUljE_ZNSN_ISO_Lb1ESQ_SR_ST_SU_SY_EESZ_S10_S11_S12_S16_S17_S18_S1B_S1C_jS1D_jS1E_S1E_jjS1G_bEUljE0_EEESZ_S10_S11_S18_S1C_S1E_T6_T7_T9_mT8_S1G_bDpT10_ENKUlT_T0_E_clISt17integral_constantIbLb1EES1U_EEDaS1P_S1Q_EUlS1P_E_NS1_11comp_targetILNS1_3genE9ELNS1_11target_archE1100ELNS1_3gpuE3ELNS1_3repE0EEENS1_30default_config_static_selectorELNS0_4arch9wavefront6targetE0EEEvS12_,comdat
	.globl	_ZN7rocprim17ROCPRIM_400000_NS6detail17trampoline_kernelINS0_13select_configILj256ELj13ELNS0_17block_load_methodE3ELS4_3ELS4_3ELNS0_20block_scan_algorithmE0ELj4294967295EEENS1_25partition_config_selectorILNS1_17partition_subalgoE4EjNS0_10empty_typeEbEEZZNS1_14partition_implILS8_4ELb0ES6_15HIP_vector_typeIjLj2EENS0_17counting_iteratorIjlEEPS9_SG_NS0_5tupleIJPjSI_NS0_16reverse_iteratorISI_EEEEENSH_IJSG_SG_SG_EEES9_SI_JZNS1_25segmented_radix_sort_implINS0_14default_configELb1EPKbPbPKlPlN2at6native12_GLOBAL__N_18offset_tEEE10hipError_tPvRmT1_PNSt15iterator_traitsIS12_E10value_typeET2_T3_PNS13_IS18_E10value_typeET4_jRbjT5_S1E_jjP12ihipStream_tbEUljE_ZNSN_ISO_Lb1ESQ_SR_ST_SU_SY_EESZ_S10_S11_S12_S16_S17_S18_S1B_S1C_jS1D_jS1E_S1E_jjS1G_bEUljE0_EEESZ_S10_S11_S18_S1C_S1E_T6_T7_T9_mT8_S1G_bDpT10_ENKUlT_T0_E_clISt17integral_constantIbLb1EES1U_EEDaS1P_S1Q_EUlS1P_E_NS1_11comp_targetILNS1_3genE9ELNS1_11target_archE1100ELNS1_3gpuE3ELNS1_3repE0EEENS1_30default_config_static_selectorELNS0_4arch9wavefront6targetE0EEEvS12_ ; -- Begin function _ZN7rocprim17ROCPRIM_400000_NS6detail17trampoline_kernelINS0_13select_configILj256ELj13ELNS0_17block_load_methodE3ELS4_3ELS4_3ELNS0_20block_scan_algorithmE0ELj4294967295EEENS1_25partition_config_selectorILNS1_17partition_subalgoE4EjNS0_10empty_typeEbEEZZNS1_14partition_implILS8_4ELb0ES6_15HIP_vector_typeIjLj2EENS0_17counting_iteratorIjlEEPS9_SG_NS0_5tupleIJPjSI_NS0_16reverse_iteratorISI_EEEEENSH_IJSG_SG_SG_EEES9_SI_JZNS1_25segmented_radix_sort_implINS0_14default_configELb1EPKbPbPKlPlN2at6native12_GLOBAL__N_18offset_tEEE10hipError_tPvRmT1_PNSt15iterator_traitsIS12_E10value_typeET2_T3_PNS13_IS18_E10value_typeET4_jRbjT5_S1E_jjP12ihipStream_tbEUljE_ZNSN_ISO_Lb1ESQ_SR_ST_SU_SY_EESZ_S10_S11_S12_S16_S17_S18_S1B_S1C_jS1D_jS1E_S1E_jjS1G_bEUljE0_EEESZ_S10_S11_S18_S1C_S1E_T6_T7_T9_mT8_S1G_bDpT10_ENKUlT_T0_E_clISt17integral_constantIbLb1EES1U_EEDaS1P_S1Q_EUlS1P_E_NS1_11comp_targetILNS1_3genE9ELNS1_11target_archE1100ELNS1_3gpuE3ELNS1_3repE0EEENS1_30default_config_static_selectorELNS0_4arch9wavefront6targetE0EEEvS12_
	.p2align	8
	.type	_ZN7rocprim17ROCPRIM_400000_NS6detail17trampoline_kernelINS0_13select_configILj256ELj13ELNS0_17block_load_methodE3ELS4_3ELS4_3ELNS0_20block_scan_algorithmE0ELj4294967295EEENS1_25partition_config_selectorILNS1_17partition_subalgoE4EjNS0_10empty_typeEbEEZZNS1_14partition_implILS8_4ELb0ES6_15HIP_vector_typeIjLj2EENS0_17counting_iteratorIjlEEPS9_SG_NS0_5tupleIJPjSI_NS0_16reverse_iteratorISI_EEEEENSH_IJSG_SG_SG_EEES9_SI_JZNS1_25segmented_radix_sort_implINS0_14default_configELb1EPKbPbPKlPlN2at6native12_GLOBAL__N_18offset_tEEE10hipError_tPvRmT1_PNSt15iterator_traitsIS12_E10value_typeET2_T3_PNS13_IS18_E10value_typeET4_jRbjT5_S1E_jjP12ihipStream_tbEUljE_ZNSN_ISO_Lb1ESQ_SR_ST_SU_SY_EESZ_S10_S11_S12_S16_S17_S18_S1B_S1C_jS1D_jS1E_S1E_jjS1G_bEUljE0_EEESZ_S10_S11_S18_S1C_S1E_T6_T7_T9_mT8_S1G_bDpT10_ENKUlT_T0_E_clISt17integral_constantIbLb1EES1U_EEDaS1P_S1Q_EUlS1P_E_NS1_11comp_targetILNS1_3genE9ELNS1_11target_archE1100ELNS1_3gpuE3ELNS1_3repE0EEENS1_30default_config_static_selectorELNS0_4arch9wavefront6targetE0EEEvS12_,@function
_ZN7rocprim17ROCPRIM_400000_NS6detail17trampoline_kernelINS0_13select_configILj256ELj13ELNS0_17block_load_methodE3ELS4_3ELS4_3ELNS0_20block_scan_algorithmE0ELj4294967295EEENS1_25partition_config_selectorILNS1_17partition_subalgoE4EjNS0_10empty_typeEbEEZZNS1_14partition_implILS8_4ELb0ES6_15HIP_vector_typeIjLj2EENS0_17counting_iteratorIjlEEPS9_SG_NS0_5tupleIJPjSI_NS0_16reverse_iteratorISI_EEEEENSH_IJSG_SG_SG_EEES9_SI_JZNS1_25segmented_radix_sort_implINS0_14default_configELb1EPKbPbPKlPlN2at6native12_GLOBAL__N_18offset_tEEE10hipError_tPvRmT1_PNSt15iterator_traitsIS12_E10value_typeET2_T3_PNS13_IS18_E10value_typeET4_jRbjT5_S1E_jjP12ihipStream_tbEUljE_ZNSN_ISO_Lb1ESQ_SR_ST_SU_SY_EESZ_S10_S11_S12_S16_S17_S18_S1B_S1C_jS1D_jS1E_S1E_jjS1G_bEUljE0_EEESZ_S10_S11_S18_S1C_S1E_T6_T7_T9_mT8_S1G_bDpT10_ENKUlT_T0_E_clISt17integral_constantIbLb1EES1U_EEDaS1P_S1Q_EUlS1P_E_NS1_11comp_targetILNS1_3genE9ELNS1_11target_archE1100ELNS1_3gpuE3ELNS1_3repE0EEENS1_30default_config_static_selectorELNS0_4arch9wavefront6targetE0EEEvS12_: ; @_ZN7rocprim17ROCPRIM_400000_NS6detail17trampoline_kernelINS0_13select_configILj256ELj13ELNS0_17block_load_methodE3ELS4_3ELS4_3ELNS0_20block_scan_algorithmE0ELj4294967295EEENS1_25partition_config_selectorILNS1_17partition_subalgoE4EjNS0_10empty_typeEbEEZZNS1_14partition_implILS8_4ELb0ES6_15HIP_vector_typeIjLj2EENS0_17counting_iteratorIjlEEPS9_SG_NS0_5tupleIJPjSI_NS0_16reverse_iteratorISI_EEEEENSH_IJSG_SG_SG_EEES9_SI_JZNS1_25segmented_radix_sort_implINS0_14default_configELb1EPKbPbPKlPlN2at6native12_GLOBAL__N_18offset_tEEE10hipError_tPvRmT1_PNSt15iterator_traitsIS12_E10value_typeET2_T3_PNS13_IS18_E10value_typeET4_jRbjT5_S1E_jjP12ihipStream_tbEUljE_ZNSN_ISO_Lb1ESQ_SR_ST_SU_SY_EESZ_S10_S11_S12_S16_S17_S18_S1B_S1C_jS1D_jS1E_S1E_jjS1G_bEUljE0_EEESZ_S10_S11_S18_S1C_S1E_T6_T7_T9_mT8_S1G_bDpT10_ENKUlT_T0_E_clISt17integral_constantIbLb1EES1U_EEDaS1P_S1Q_EUlS1P_E_NS1_11comp_targetILNS1_3genE9ELNS1_11target_archE1100ELNS1_3gpuE3ELNS1_3repE0EEENS1_30default_config_static_selectorELNS0_4arch9wavefront6targetE0EEEvS12_
; %bb.0:
	.section	.rodata,"a",@progbits
	.p2align	6, 0x0
	.amdhsa_kernel _ZN7rocprim17ROCPRIM_400000_NS6detail17trampoline_kernelINS0_13select_configILj256ELj13ELNS0_17block_load_methodE3ELS4_3ELS4_3ELNS0_20block_scan_algorithmE0ELj4294967295EEENS1_25partition_config_selectorILNS1_17partition_subalgoE4EjNS0_10empty_typeEbEEZZNS1_14partition_implILS8_4ELb0ES6_15HIP_vector_typeIjLj2EENS0_17counting_iteratorIjlEEPS9_SG_NS0_5tupleIJPjSI_NS0_16reverse_iteratorISI_EEEEENSH_IJSG_SG_SG_EEES9_SI_JZNS1_25segmented_radix_sort_implINS0_14default_configELb1EPKbPbPKlPlN2at6native12_GLOBAL__N_18offset_tEEE10hipError_tPvRmT1_PNSt15iterator_traitsIS12_E10value_typeET2_T3_PNS13_IS18_E10value_typeET4_jRbjT5_S1E_jjP12ihipStream_tbEUljE_ZNSN_ISO_Lb1ESQ_SR_ST_SU_SY_EESZ_S10_S11_S12_S16_S17_S18_S1B_S1C_jS1D_jS1E_S1E_jjS1G_bEUljE0_EEESZ_S10_S11_S18_S1C_S1E_T6_T7_T9_mT8_S1G_bDpT10_ENKUlT_T0_E_clISt17integral_constantIbLb1EES1U_EEDaS1P_S1Q_EUlS1P_E_NS1_11comp_targetILNS1_3genE9ELNS1_11target_archE1100ELNS1_3gpuE3ELNS1_3repE0EEENS1_30default_config_static_selectorELNS0_4arch9wavefront6targetE0EEEvS12_
		.amdhsa_group_segment_fixed_size 0
		.amdhsa_private_segment_fixed_size 0
		.amdhsa_kernarg_size 184
		.amdhsa_user_sgpr_count 6
		.amdhsa_user_sgpr_private_segment_buffer 1
		.amdhsa_user_sgpr_dispatch_ptr 0
		.amdhsa_user_sgpr_queue_ptr 0
		.amdhsa_user_sgpr_kernarg_segment_ptr 1
		.amdhsa_user_sgpr_dispatch_id 0
		.amdhsa_user_sgpr_flat_scratch_init 0
		.amdhsa_user_sgpr_private_segment_size 0
		.amdhsa_wavefront_size32 1
		.amdhsa_uses_dynamic_stack 0
		.amdhsa_system_sgpr_private_segment_wavefront_offset 0
		.amdhsa_system_sgpr_workgroup_id_x 1
		.amdhsa_system_sgpr_workgroup_id_y 0
		.amdhsa_system_sgpr_workgroup_id_z 0
		.amdhsa_system_sgpr_workgroup_info 0
		.amdhsa_system_vgpr_workitem_id 0
		.amdhsa_next_free_vgpr 1
		.amdhsa_next_free_sgpr 1
		.amdhsa_reserve_vcc 0
		.amdhsa_reserve_flat_scratch 0
		.amdhsa_float_round_mode_32 0
		.amdhsa_float_round_mode_16_64 0
		.amdhsa_float_denorm_mode_32 3
		.amdhsa_float_denorm_mode_16_64 3
		.amdhsa_dx10_clamp 1
		.amdhsa_ieee_mode 1
		.amdhsa_fp16_overflow 0
		.amdhsa_workgroup_processor_mode 1
		.amdhsa_memory_ordered 1
		.amdhsa_forward_progress 1
		.amdhsa_shared_vgpr_count 0
		.amdhsa_exception_fp_ieee_invalid_op 0
		.amdhsa_exception_fp_denorm_src 0
		.amdhsa_exception_fp_ieee_div_zero 0
		.amdhsa_exception_fp_ieee_overflow 0
		.amdhsa_exception_fp_ieee_underflow 0
		.amdhsa_exception_fp_ieee_inexact 0
		.amdhsa_exception_int_div_zero 0
	.end_amdhsa_kernel
	.section	.text._ZN7rocprim17ROCPRIM_400000_NS6detail17trampoline_kernelINS0_13select_configILj256ELj13ELNS0_17block_load_methodE3ELS4_3ELS4_3ELNS0_20block_scan_algorithmE0ELj4294967295EEENS1_25partition_config_selectorILNS1_17partition_subalgoE4EjNS0_10empty_typeEbEEZZNS1_14partition_implILS8_4ELb0ES6_15HIP_vector_typeIjLj2EENS0_17counting_iteratorIjlEEPS9_SG_NS0_5tupleIJPjSI_NS0_16reverse_iteratorISI_EEEEENSH_IJSG_SG_SG_EEES9_SI_JZNS1_25segmented_radix_sort_implINS0_14default_configELb1EPKbPbPKlPlN2at6native12_GLOBAL__N_18offset_tEEE10hipError_tPvRmT1_PNSt15iterator_traitsIS12_E10value_typeET2_T3_PNS13_IS18_E10value_typeET4_jRbjT5_S1E_jjP12ihipStream_tbEUljE_ZNSN_ISO_Lb1ESQ_SR_ST_SU_SY_EESZ_S10_S11_S12_S16_S17_S18_S1B_S1C_jS1D_jS1E_S1E_jjS1G_bEUljE0_EEESZ_S10_S11_S18_S1C_S1E_T6_T7_T9_mT8_S1G_bDpT10_ENKUlT_T0_E_clISt17integral_constantIbLb1EES1U_EEDaS1P_S1Q_EUlS1P_E_NS1_11comp_targetILNS1_3genE9ELNS1_11target_archE1100ELNS1_3gpuE3ELNS1_3repE0EEENS1_30default_config_static_selectorELNS0_4arch9wavefront6targetE0EEEvS12_,"axG",@progbits,_ZN7rocprim17ROCPRIM_400000_NS6detail17trampoline_kernelINS0_13select_configILj256ELj13ELNS0_17block_load_methodE3ELS4_3ELS4_3ELNS0_20block_scan_algorithmE0ELj4294967295EEENS1_25partition_config_selectorILNS1_17partition_subalgoE4EjNS0_10empty_typeEbEEZZNS1_14partition_implILS8_4ELb0ES6_15HIP_vector_typeIjLj2EENS0_17counting_iteratorIjlEEPS9_SG_NS0_5tupleIJPjSI_NS0_16reverse_iteratorISI_EEEEENSH_IJSG_SG_SG_EEES9_SI_JZNS1_25segmented_radix_sort_implINS0_14default_configELb1EPKbPbPKlPlN2at6native12_GLOBAL__N_18offset_tEEE10hipError_tPvRmT1_PNSt15iterator_traitsIS12_E10value_typeET2_T3_PNS13_IS18_E10value_typeET4_jRbjT5_S1E_jjP12ihipStream_tbEUljE_ZNSN_ISO_Lb1ESQ_SR_ST_SU_SY_EESZ_S10_S11_S12_S16_S17_S18_S1B_S1C_jS1D_jS1E_S1E_jjS1G_bEUljE0_EEESZ_S10_S11_S18_S1C_S1E_T6_T7_T9_mT8_S1G_bDpT10_ENKUlT_T0_E_clISt17integral_constantIbLb1EES1U_EEDaS1P_S1Q_EUlS1P_E_NS1_11comp_targetILNS1_3genE9ELNS1_11target_archE1100ELNS1_3gpuE3ELNS1_3repE0EEENS1_30default_config_static_selectorELNS0_4arch9wavefront6targetE0EEEvS12_,comdat
.Lfunc_end1474:
	.size	_ZN7rocprim17ROCPRIM_400000_NS6detail17trampoline_kernelINS0_13select_configILj256ELj13ELNS0_17block_load_methodE3ELS4_3ELS4_3ELNS0_20block_scan_algorithmE0ELj4294967295EEENS1_25partition_config_selectorILNS1_17partition_subalgoE4EjNS0_10empty_typeEbEEZZNS1_14partition_implILS8_4ELb0ES6_15HIP_vector_typeIjLj2EENS0_17counting_iteratorIjlEEPS9_SG_NS0_5tupleIJPjSI_NS0_16reverse_iteratorISI_EEEEENSH_IJSG_SG_SG_EEES9_SI_JZNS1_25segmented_radix_sort_implINS0_14default_configELb1EPKbPbPKlPlN2at6native12_GLOBAL__N_18offset_tEEE10hipError_tPvRmT1_PNSt15iterator_traitsIS12_E10value_typeET2_T3_PNS13_IS18_E10value_typeET4_jRbjT5_S1E_jjP12ihipStream_tbEUljE_ZNSN_ISO_Lb1ESQ_SR_ST_SU_SY_EESZ_S10_S11_S12_S16_S17_S18_S1B_S1C_jS1D_jS1E_S1E_jjS1G_bEUljE0_EEESZ_S10_S11_S18_S1C_S1E_T6_T7_T9_mT8_S1G_bDpT10_ENKUlT_T0_E_clISt17integral_constantIbLb1EES1U_EEDaS1P_S1Q_EUlS1P_E_NS1_11comp_targetILNS1_3genE9ELNS1_11target_archE1100ELNS1_3gpuE3ELNS1_3repE0EEENS1_30default_config_static_selectorELNS0_4arch9wavefront6targetE0EEEvS12_, .Lfunc_end1474-_ZN7rocprim17ROCPRIM_400000_NS6detail17trampoline_kernelINS0_13select_configILj256ELj13ELNS0_17block_load_methodE3ELS4_3ELS4_3ELNS0_20block_scan_algorithmE0ELj4294967295EEENS1_25partition_config_selectorILNS1_17partition_subalgoE4EjNS0_10empty_typeEbEEZZNS1_14partition_implILS8_4ELb0ES6_15HIP_vector_typeIjLj2EENS0_17counting_iteratorIjlEEPS9_SG_NS0_5tupleIJPjSI_NS0_16reverse_iteratorISI_EEEEENSH_IJSG_SG_SG_EEES9_SI_JZNS1_25segmented_radix_sort_implINS0_14default_configELb1EPKbPbPKlPlN2at6native12_GLOBAL__N_18offset_tEEE10hipError_tPvRmT1_PNSt15iterator_traitsIS12_E10value_typeET2_T3_PNS13_IS18_E10value_typeET4_jRbjT5_S1E_jjP12ihipStream_tbEUljE_ZNSN_ISO_Lb1ESQ_SR_ST_SU_SY_EESZ_S10_S11_S12_S16_S17_S18_S1B_S1C_jS1D_jS1E_S1E_jjS1G_bEUljE0_EEESZ_S10_S11_S18_S1C_S1E_T6_T7_T9_mT8_S1G_bDpT10_ENKUlT_T0_E_clISt17integral_constantIbLb1EES1U_EEDaS1P_S1Q_EUlS1P_E_NS1_11comp_targetILNS1_3genE9ELNS1_11target_archE1100ELNS1_3gpuE3ELNS1_3repE0EEENS1_30default_config_static_selectorELNS0_4arch9wavefront6targetE0EEEvS12_
                                        ; -- End function
	.set _ZN7rocprim17ROCPRIM_400000_NS6detail17trampoline_kernelINS0_13select_configILj256ELj13ELNS0_17block_load_methodE3ELS4_3ELS4_3ELNS0_20block_scan_algorithmE0ELj4294967295EEENS1_25partition_config_selectorILNS1_17partition_subalgoE4EjNS0_10empty_typeEbEEZZNS1_14partition_implILS8_4ELb0ES6_15HIP_vector_typeIjLj2EENS0_17counting_iteratorIjlEEPS9_SG_NS0_5tupleIJPjSI_NS0_16reverse_iteratorISI_EEEEENSH_IJSG_SG_SG_EEES9_SI_JZNS1_25segmented_radix_sort_implINS0_14default_configELb1EPKbPbPKlPlN2at6native12_GLOBAL__N_18offset_tEEE10hipError_tPvRmT1_PNSt15iterator_traitsIS12_E10value_typeET2_T3_PNS13_IS18_E10value_typeET4_jRbjT5_S1E_jjP12ihipStream_tbEUljE_ZNSN_ISO_Lb1ESQ_SR_ST_SU_SY_EESZ_S10_S11_S12_S16_S17_S18_S1B_S1C_jS1D_jS1E_S1E_jjS1G_bEUljE0_EEESZ_S10_S11_S18_S1C_S1E_T6_T7_T9_mT8_S1G_bDpT10_ENKUlT_T0_E_clISt17integral_constantIbLb1EES1U_EEDaS1P_S1Q_EUlS1P_E_NS1_11comp_targetILNS1_3genE9ELNS1_11target_archE1100ELNS1_3gpuE3ELNS1_3repE0EEENS1_30default_config_static_selectorELNS0_4arch9wavefront6targetE0EEEvS12_.num_vgpr, 0
	.set _ZN7rocprim17ROCPRIM_400000_NS6detail17trampoline_kernelINS0_13select_configILj256ELj13ELNS0_17block_load_methodE3ELS4_3ELS4_3ELNS0_20block_scan_algorithmE0ELj4294967295EEENS1_25partition_config_selectorILNS1_17partition_subalgoE4EjNS0_10empty_typeEbEEZZNS1_14partition_implILS8_4ELb0ES6_15HIP_vector_typeIjLj2EENS0_17counting_iteratorIjlEEPS9_SG_NS0_5tupleIJPjSI_NS0_16reverse_iteratorISI_EEEEENSH_IJSG_SG_SG_EEES9_SI_JZNS1_25segmented_radix_sort_implINS0_14default_configELb1EPKbPbPKlPlN2at6native12_GLOBAL__N_18offset_tEEE10hipError_tPvRmT1_PNSt15iterator_traitsIS12_E10value_typeET2_T3_PNS13_IS18_E10value_typeET4_jRbjT5_S1E_jjP12ihipStream_tbEUljE_ZNSN_ISO_Lb1ESQ_SR_ST_SU_SY_EESZ_S10_S11_S12_S16_S17_S18_S1B_S1C_jS1D_jS1E_S1E_jjS1G_bEUljE0_EEESZ_S10_S11_S18_S1C_S1E_T6_T7_T9_mT8_S1G_bDpT10_ENKUlT_T0_E_clISt17integral_constantIbLb1EES1U_EEDaS1P_S1Q_EUlS1P_E_NS1_11comp_targetILNS1_3genE9ELNS1_11target_archE1100ELNS1_3gpuE3ELNS1_3repE0EEENS1_30default_config_static_selectorELNS0_4arch9wavefront6targetE0EEEvS12_.num_agpr, 0
	.set _ZN7rocprim17ROCPRIM_400000_NS6detail17trampoline_kernelINS0_13select_configILj256ELj13ELNS0_17block_load_methodE3ELS4_3ELS4_3ELNS0_20block_scan_algorithmE0ELj4294967295EEENS1_25partition_config_selectorILNS1_17partition_subalgoE4EjNS0_10empty_typeEbEEZZNS1_14partition_implILS8_4ELb0ES6_15HIP_vector_typeIjLj2EENS0_17counting_iteratorIjlEEPS9_SG_NS0_5tupleIJPjSI_NS0_16reverse_iteratorISI_EEEEENSH_IJSG_SG_SG_EEES9_SI_JZNS1_25segmented_radix_sort_implINS0_14default_configELb1EPKbPbPKlPlN2at6native12_GLOBAL__N_18offset_tEEE10hipError_tPvRmT1_PNSt15iterator_traitsIS12_E10value_typeET2_T3_PNS13_IS18_E10value_typeET4_jRbjT5_S1E_jjP12ihipStream_tbEUljE_ZNSN_ISO_Lb1ESQ_SR_ST_SU_SY_EESZ_S10_S11_S12_S16_S17_S18_S1B_S1C_jS1D_jS1E_S1E_jjS1G_bEUljE0_EEESZ_S10_S11_S18_S1C_S1E_T6_T7_T9_mT8_S1G_bDpT10_ENKUlT_T0_E_clISt17integral_constantIbLb1EES1U_EEDaS1P_S1Q_EUlS1P_E_NS1_11comp_targetILNS1_3genE9ELNS1_11target_archE1100ELNS1_3gpuE3ELNS1_3repE0EEENS1_30default_config_static_selectorELNS0_4arch9wavefront6targetE0EEEvS12_.numbered_sgpr, 0
	.set _ZN7rocprim17ROCPRIM_400000_NS6detail17trampoline_kernelINS0_13select_configILj256ELj13ELNS0_17block_load_methodE3ELS4_3ELS4_3ELNS0_20block_scan_algorithmE0ELj4294967295EEENS1_25partition_config_selectorILNS1_17partition_subalgoE4EjNS0_10empty_typeEbEEZZNS1_14partition_implILS8_4ELb0ES6_15HIP_vector_typeIjLj2EENS0_17counting_iteratorIjlEEPS9_SG_NS0_5tupleIJPjSI_NS0_16reverse_iteratorISI_EEEEENSH_IJSG_SG_SG_EEES9_SI_JZNS1_25segmented_radix_sort_implINS0_14default_configELb1EPKbPbPKlPlN2at6native12_GLOBAL__N_18offset_tEEE10hipError_tPvRmT1_PNSt15iterator_traitsIS12_E10value_typeET2_T3_PNS13_IS18_E10value_typeET4_jRbjT5_S1E_jjP12ihipStream_tbEUljE_ZNSN_ISO_Lb1ESQ_SR_ST_SU_SY_EESZ_S10_S11_S12_S16_S17_S18_S1B_S1C_jS1D_jS1E_S1E_jjS1G_bEUljE0_EEESZ_S10_S11_S18_S1C_S1E_T6_T7_T9_mT8_S1G_bDpT10_ENKUlT_T0_E_clISt17integral_constantIbLb1EES1U_EEDaS1P_S1Q_EUlS1P_E_NS1_11comp_targetILNS1_3genE9ELNS1_11target_archE1100ELNS1_3gpuE3ELNS1_3repE0EEENS1_30default_config_static_selectorELNS0_4arch9wavefront6targetE0EEEvS12_.num_named_barrier, 0
	.set _ZN7rocprim17ROCPRIM_400000_NS6detail17trampoline_kernelINS0_13select_configILj256ELj13ELNS0_17block_load_methodE3ELS4_3ELS4_3ELNS0_20block_scan_algorithmE0ELj4294967295EEENS1_25partition_config_selectorILNS1_17partition_subalgoE4EjNS0_10empty_typeEbEEZZNS1_14partition_implILS8_4ELb0ES6_15HIP_vector_typeIjLj2EENS0_17counting_iteratorIjlEEPS9_SG_NS0_5tupleIJPjSI_NS0_16reverse_iteratorISI_EEEEENSH_IJSG_SG_SG_EEES9_SI_JZNS1_25segmented_radix_sort_implINS0_14default_configELb1EPKbPbPKlPlN2at6native12_GLOBAL__N_18offset_tEEE10hipError_tPvRmT1_PNSt15iterator_traitsIS12_E10value_typeET2_T3_PNS13_IS18_E10value_typeET4_jRbjT5_S1E_jjP12ihipStream_tbEUljE_ZNSN_ISO_Lb1ESQ_SR_ST_SU_SY_EESZ_S10_S11_S12_S16_S17_S18_S1B_S1C_jS1D_jS1E_S1E_jjS1G_bEUljE0_EEESZ_S10_S11_S18_S1C_S1E_T6_T7_T9_mT8_S1G_bDpT10_ENKUlT_T0_E_clISt17integral_constantIbLb1EES1U_EEDaS1P_S1Q_EUlS1P_E_NS1_11comp_targetILNS1_3genE9ELNS1_11target_archE1100ELNS1_3gpuE3ELNS1_3repE0EEENS1_30default_config_static_selectorELNS0_4arch9wavefront6targetE0EEEvS12_.private_seg_size, 0
	.set _ZN7rocprim17ROCPRIM_400000_NS6detail17trampoline_kernelINS0_13select_configILj256ELj13ELNS0_17block_load_methodE3ELS4_3ELS4_3ELNS0_20block_scan_algorithmE0ELj4294967295EEENS1_25partition_config_selectorILNS1_17partition_subalgoE4EjNS0_10empty_typeEbEEZZNS1_14partition_implILS8_4ELb0ES6_15HIP_vector_typeIjLj2EENS0_17counting_iteratorIjlEEPS9_SG_NS0_5tupleIJPjSI_NS0_16reverse_iteratorISI_EEEEENSH_IJSG_SG_SG_EEES9_SI_JZNS1_25segmented_radix_sort_implINS0_14default_configELb1EPKbPbPKlPlN2at6native12_GLOBAL__N_18offset_tEEE10hipError_tPvRmT1_PNSt15iterator_traitsIS12_E10value_typeET2_T3_PNS13_IS18_E10value_typeET4_jRbjT5_S1E_jjP12ihipStream_tbEUljE_ZNSN_ISO_Lb1ESQ_SR_ST_SU_SY_EESZ_S10_S11_S12_S16_S17_S18_S1B_S1C_jS1D_jS1E_S1E_jjS1G_bEUljE0_EEESZ_S10_S11_S18_S1C_S1E_T6_T7_T9_mT8_S1G_bDpT10_ENKUlT_T0_E_clISt17integral_constantIbLb1EES1U_EEDaS1P_S1Q_EUlS1P_E_NS1_11comp_targetILNS1_3genE9ELNS1_11target_archE1100ELNS1_3gpuE3ELNS1_3repE0EEENS1_30default_config_static_selectorELNS0_4arch9wavefront6targetE0EEEvS12_.uses_vcc, 0
	.set _ZN7rocprim17ROCPRIM_400000_NS6detail17trampoline_kernelINS0_13select_configILj256ELj13ELNS0_17block_load_methodE3ELS4_3ELS4_3ELNS0_20block_scan_algorithmE0ELj4294967295EEENS1_25partition_config_selectorILNS1_17partition_subalgoE4EjNS0_10empty_typeEbEEZZNS1_14partition_implILS8_4ELb0ES6_15HIP_vector_typeIjLj2EENS0_17counting_iteratorIjlEEPS9_SG_NS0_5tupleIJPjSI_NS0_16reverse_iteratorISI_EEEEENSH_IJSG_SG_SG_EEES9_SI_JZNS1_25segmented_radix_sort_implINS0_14default_configELb1EPKbPbPKlPlN2at6native12_GLOBAL__N_18offset_tEEE10hipError_tPvRmT1_PNSt15iterator_traitsIS12_E10value_typeET2_T3_PNS13_IS18_E10value_typeET4_jRbjT5_S1E_jjP12ihipStream_tbEUljE_ZNSN_ISO_Lb1ESQ_SR_ST_SU_SY_EESZ_S10_S11_S12_S16_S17_S18_S1B_S1C_jS1D_jS1E_S1E_jjS1G_bEUljE0_EEESZ_S10_S11_S18_S1C_S1E_T6_T7_T9_mT8_S1G_bDpT10_ENKUlT_T0_E_clISt17integral_constantIbLb1EES1U_EEDaS1P_S1Q_EUlS1P_E_NS1_11comp_targetILNS1_3genE9ELNS1_11target_archE1100ELNS1_3gpuE3ELNS1_3repE0EEENS1_30default_config_static_selectorELNS0_4arch9wavefront6targetE0EEEvS12_.uses_flat_scratch, 0
	.set _ZN7rocprim17ROCPRIM_400000_NS6detail17trampoline_kernelINS0_13select_configILj256ELj13ELNS0_17block_load_methodE3ELS4_3ELS4_3ELNS0_20block_scan_algorithmE0ELj4294967295EEENS1_25partition_config_selectorILNS1_17partition_subalgoE4EjNS0_10empty_typeEbEEZZNS1_14partition_implILS8_4ELb0ES6_15HIP_vector_typeIjLj2EENS0_17counting_iteratorIjlEEPS9_SG_NS0_5tupleIJPjSI_NS0_16reverse_iteratorISI_EEEEENSH_IJSG_SG_SG_EEES9_SI_JZNS1_25segmented_radix_sort_implINS0_14default_configELb1EPKbPbPKlPlN2at6native12_GLOBAL__N_18offset_tEEE10hipError_tPvRmT1_PNSt15iterator_traitsIS12_E10value_typeET2_T3_PNS13_IS18_E10value_typeET4_jRbjT5_S1E_jjP12ihipStream_tbEUljE_ZNSN_ISO_Lb1ESQ_SR_ST_SU_SY_EESZ_S10_S11_S12_S16_S17_S18_S1B_S1C_jS1D_jS1E_S1E_jjS1G_bEUljE0_EEESZ_S10_S11_S18_S1C_S1E_T6_T7_T9_mT8_S1G_bDpT10_ENKUlT_T0_E_clISt17integral_constantIbLb1EES1U_EEDaS1P_S1Q_EUlS1P_E_NS1_11comp_targetILNS1_3genE9ELNS1_11target_archE1100ELNS1_3gpuE3ELNS1_3repE0EEENS1_30default_config_static_selectorELNS0_4arch9wavefront6targetE0EEEvS12_.has_dyn_sized_stack, 0
	.set _ZN7rocprim17ROCPRIM_400000_NS6detail17trampoline_kernelINS0_13select_configILj256ELj13ELNS0_17block_load_methodE3ELS4_3ELS4_3ELNS0_20block_scan_algorithmE0ELj4294967295EEENS1_25partition_config_selectorILNS1_17partition_subalgoE4EjNS0_10empty_typeEbEEZZNS1_14partition_implILS8_4ELb0ES6_15HIP_vector_typeIjLj2EENS0_17counting_iteratorIjlEEPS9_SG_NS0_5tupleIJPjSI_NS0_16reverse_iteratorISI_EEEEENSH_IJSG_SG_SG_EEES9_SI_JZNS1_25segmented_radix_sort_implINS0_14default_configELb1EPKbPbPKlPlN2at6native12_GLOBAL__N_18offset_tEEE10hipError_tPvRmT1_PNSt15iterator_traitsIS12_E10value_typeET2_T3_PNS13_IS18_E10value_typeET4_jRbjT5_S1E_jjP12ihipStream_tbEUljE_ZNSN_ISO_Lb1ESQ_SR_ST_SU_SY_EESZ_S10_S11_S12_S16_S17_S18_S1B_S1C_jS1D_jS1E_S1E_jjS1G_bEUljE0_EEESZ_S10_S11_S18_S1C_S1E_T6_T7_T9_mT8_S1G_bDpT10_ENKUlT_T0_E_clISt17integral_constantIbLb1EES1U_EEDaS1P_S1Q_EUlS1P_E_NS1_11comp_targetILNS1_3genE9ELNS1_11target_archE1100ELNS1_3gpuE3ELNS1_3repE0EEENS1_30default_config_static_selectorELNS0_4arch9wavefront6targetE0EEEvS12_.has_recursion, 0
	.set _ZN7rocprim17ROCPRIM_400000_NS6detail17trampoline_kernelINS0_13select_configILj256ELj13ELNS0_17block_load_methodE3ELS4_3ELS4_3ELNS0_20block_scan_algorithmE0ELj4294967295EEENS1_25partition_config_selectorILNS1_17partition_subalgoE4EjNS0_10empty_typeEbEEZZNS1_14partition_implILS8_4ELb0ES6_15HIP_vector_typeIjLj2EENS0_17counting_iteratorIjlEEPS9_SG_NS0_5tupleIJPjSI_NS0_16reverse_iteratorISI_EEEEENSH_IJSG_SG_SG_EEES9_SI_JZNS1_25segmented_radix_sort_implINS0_14default_configELb1EPKbPbPKlPlN2at6native12_GLOBAL__N_18offset_tEEE10hipError_tPvRmT1_PNSt15iterator_traitsIS12_E10value_typeET2_T3_PNS13_IS18_E10value_typeET4_jRbjT5_S1E_jjP12ihipStream_tbEUljE_ZNSN_ISO_Lb1ESQ_SR_ST_SU_SY_EESZ_S10_S11_S12_S16_S17_S18_S1B_S1C_jS1D_jS1E_S1E_jjS1G_bEUljE0_EEESZ_S10_S11_S18_S1C_S1E_T6_T7_T9_mT8_S1G_bDpT10_ENKUlT_T0_E_clISt17integral_constantIbLb1EES1U_EEDaS1P_S1Q_EUlS1P_E_NS1_11comp_targetILNS1_3genE9ELNS1_11target_archE1100ELNS1_3gpuE3ELNS1_3repE0EEENS1_30default_config_static_selectorELNS0_4arch9wavefront6targetE0EEEvS12_.has_indirect_call, 0
	.section	.AMDGPU.csdata,"",@progbits
; Kernel info:
; codeLenInByte = 0
; TotalNumSgprs: 0
; NumVgprs: 0
; ScratchSize: 0
; MemoryBound: 0
; FloatMode: 240
; IeeeMode: 1
; LDSByteSize: 0 bytes/workgroup (compile time only)
; SGPRBlocks: 0
; VGPRBlocks: 0
; NumSGPRsForWavesPerEU: 1
; NumVGPRsForWavesPerEU: 1
; Occupancy: 16
; WaveLimiterHint : 0
; COMPUTE_PGM_RSRC2:SCRATCH_EN: 0
; COMPUTE_PGM_RSRC2:USER_SGPR: 6
; COMPUTE_PGM_RSRC2:TRAP_HANDLER: 0
; COMPUTE_PGM_RSRC2:TGID_X_EN: 1
; COMPUTE_PGM_RSRC2:TGID_Y_EN: 0
; COMPUTE_PGM_RSRC2:TGID_Z_EN: 0
; COMPUTE_PGM_RSRC2:TIDIG_COMP_CNT: 0
	.section	.text._ZN7rocprim17ROCPRIM_400000_NS6detail17trampoline_kernelINS0_13select_configILj256ELj13ELNS0_17block_load_methodE3ELS4_3ELS4_3ELNS0_20block_scan_algorithmE0ELj4294967295EEENS1_25partition_config_selectorILNS1_17partition_subalgoE4EjNS0_10empty_typeEbEEZZNS1_14partition_implILS8_4ELb0ES6_15HIP_vector_typeIjLj2EENS0_17counting_iteratorIjlEEPS9_SG_NS0_5tupleIJPjSI_NS0_16reverse_iteratorISI_EEEEENSH_IJSG_SG_SG_EEES9_SI_JZNS1_25segmented_radix_sort_implINS0_14default_configELb1EPKbPbPKlPlN2at6native12_GLOBAL__N_18offset_tEEE10hipError_tPvRmT1_PNSt15iterator_traitsIS12_E10value_typeET2_T3_PNS13_IS18_E10value_typeET4_jRbjT5_S1E_jjP12ihipStream_tbEUljE_ZNSN_ISO_Lb1ESQ_SR_ST_SU_SY_EESZ_S10_S11_S12_S16_S17_S18_S1B_S1C_jS1D_jS1E_S1E_jjS1G_bEUljE0_EEESZ_S10_S11_S18_S1C_S1E_T6_T7_T9_mT8_S1G_bDpT10_ENKUlT_T0_E_clISt17integral_constantIbLb1EES1U_EEDaS1P_S1Q_EUlS1P_E_NS1_11comp_targetILNS1_3genE8ELNS1_11target_archE1030ELNS1_3gpuE2ELNS1_3repE0EEENS1_30default_config_static_selectorELNS0_4arch9wavefront6targetE0EEEvS12_,"axG",@progbits,_ZN7rocprim17ROCPRIM_400000_NS6detail17trampoline_kernelINS0_13select_configILj256ELj13ELNS0_17block_load_methodE3ELS4_3ELS4_3ELNS0_20block_scan_algorithmE0ELj4294967295EEENS1_25partition_config_selectorILNS1_17partition_subalgoE4EjNS0_10empty_typeEbEEZZNS1_14partition_implILS8_4ELb0ES6_15HIP_vector_typeIjLj2EENS0_17counting_iteratorIjlEEPS9_SG_NS0_5tupleIJPjSI_NS0_16reverse_iteratorISI_EEEEENSH_IJSG_SG_SG_EEES9_SI_JZNS1_25segmented_radix_sort_implINS0_14default_configELb1EPKbPbPKlPlN2at6native12_GLOBAL__N_18offset_tEEE10hipError_tPvRmT1_PNSt15iterator_traitsIS12_E10value_typeET2_T3_PNS13_IS18_E10value_typeET4_jRbjT5_S1E_jjP12ihipStream_tbEUljE_ZNSN_ISO_Lb1ESQ_SR_ST_SU_SY_EESZ_S10_S11_S12_S16_S17_S18_S1B_S1C_jS1D_jS1E_S1E_jjS1G_bEUljE0_EEESZ_S10_S11_S18_S1C_S1E_T6_T7_T9_mT8_S1G_bDpT10_ENKUlT_T0_E_clISt17integral_constantIbLb1EES1U_EEDaS1P_S1Q_EUlS1P_E_NS1_11comp_targetILNS1_3genE8ELNS1_11target_archE1030ELNS1_3gpuE2ELNS1_3repE0EEENS1_30default_config_static_selectorELNS0_4arch9wavefront6targetE0EEEvS12_,comdat
	.globl	_ZN7rocprim17ROCPRIM_400000_NS6detail17trampoline_kernelINS0_13select_configILj256ELj13ELNS0_17block_load_methodE3ELS4_3ELS4_3ELNS0_20block_scan_algorithmE0ELj4294967295EEENS1_25partition_config_selectorILNS1_17partition_subalgoE4EjNS0_10empty_typeEbEEZZNS1_14partition_implILS8_4ELb0ES6_15HIP_vector_typeIjLj2EENS0_17counting_iteratorIjlEEPS9_SG_NS0_5tupleIJPjSI_NS0_16reverse_iteratorISI_EEEEENSH_IJSG_SG_SG_EEES9_SI_JZNS1_25segmented_radix_sort_implINS0_14default_configELb1EPKbPbPKlPlN2at6native12_GLOBAL__N_18offset_tEEE10hipError_tPvRmT1_PNSt15iterator_traitsIS12_E10value_typeET2_T3_PNS13_IS18_E10value_typeET4_jRbjT5_S1E_jjP12ihipStream_tbEUljE_ZNSN_ISO_Lb1ESQ_SR_ST_SU_SY_EESZ_S10_S11_S12_S16_S17_S18_S1B_S1C_jS1D_jS1E_S1E_jjS1G_bEUljE0_EEESZ_S10_S11_S18_S1C_S1E_T6_T7_T9_mT8_S1G_bDpT10_ENKUlT_T0_E_clISt17integral_constantIbLb1EES1U_EEDaS1P_S1Q_EUlS1P_E_NS1_11comp_targetILNS1_3genE8ELNS1_11target_archE1030ELNS1_3gpuE2ELNS1_3repE0EEENS1_30default_config_static_selectorELNS0_4arch9wavefront6targetE0EEEvS12_ ; -- Begin function _ZN7rocprim17ROCPRIM_400000_NS6detail17trampoline_kernelINS0_13select_configILj256ELj13ELNS0_17block_load_methodE3ELS4_3ELS4_3ELNS0_20block_scan_algorithmE0ELj4294967295EEENS1_25partition_config_selectorILNS1_17partition_subalgoE4EjNS0_10empty_typeEbEEZZNS1_14partition_implILS8_4ELb0ES6_15HIP_vector_typeIjLj2EENS0_17counting_iteratorIjlEEPS9_SG_NS0_5tupleIJPjSI_NS0_16reverse_iteratorISI_EEEEENSH_IJSG_SG_SG_EEES9_SI_JZNS1_25segmented_radix_sort_implINS0_14default_configELb1EPKbPbPKlPlN2at6native12_GLOBAL__N_18offset_tEEE10hipError_tPvRmT1_PNSt15iterator_traitsIS12_E10value_typeET2_T3_PNS13_IS18_E10value_typeET4_jRbjT5_S1E_jjP12ihipStream_tbEUljE_ZNSN_ISO_Lb1ESQ_SR_ST_SU_SY_EESZ_S10_S11_S12_S16_S17_S18_S1B_S1C_jS1D_jS1E_S1E_jjS1G_bEUljE0_EEESZ_S10_S11_S18_S1C_S1E_T6_T7_T9_mT8_S1G_bDpT10_ENKUlT_T0_E_clISt17integral_constantIbLb1EES1U_EEDaS1P_S1Q_EUlS1P_E_NS1_11comp_targetILNS1_3genE8ELNS1_11target_archE1030ELNS1_3gpuE2ELNS1_3repE0EEENS1_30default_config_static_selectorELNS0_4arch9wavefront6targetE0EEEvS12_
	.p2align	8
	.type	_ZN7rocprim17ROCPRIM_400000_NS6detail17trampoline_kernelINS0_13select_configILj256ELj13ELNS0_17block_load_methodE3ELS4_3ELS4_3ELNS0_20block_scan_algorithmE0ELj4294967295EEENS1_25partition_config_selectorILNS1_17partition_subalgoE4EjNS0_10empty_typeEbEEZZNS1_14partition_implILS8_4ELb0ES6_15HIP_vector_typeIjLj2EENS0_17counting_iteratorIjlEEPS9_SG_NS0_5tupleIJPjSI_NS0_16reverse_iteratorISI_EEEEENSH_IJSG_SG_SG_EEES9_SI_JZNS1_25segmented_radix_sort_implINS0_14default_configELb1EPKbPbPKlPlN2at6native12_GLOBAL__N_18offset_tEEE10hipError_tPvRmT1_PNSt15iterator_traitsIS12_E10value_typeET2_T3_PNS13_IS18_E10value_typeET4_jRbjT5_S1E_jjP12ihipStream_tbEUljE_ZNSN_ISO_Lb1ESQ_SR_ST_SU_SY_EESZ_S10_S11_S12_S16_S17_S18_S1B_S1C_jS1D_jS1E_S1E_jjS1G_bEUljE0_EEESZ_S10_S11_S18_S1C_S1E_T6_T7_T9_mT8_S1G_bDpT10_ENKUlT_T0_E_clISt17integral_constantIbLb1EES1U_EEDaS1P_S1Q_EUlS1P_E_NS1_11comp_targetILNS1_3genE8ELNS1_11target_archE1030ELNS1_3gpuE2ELNS1_3repE0EEENS1_30default_config_static_selectorELNS0_4arch9wavefront6targetE0EEEvS12_,@function
_ZN7rocprim17ROCPRIM_400000_NS6detail17trampoline_kernelINS0_13select_configILj256ELj13ELNS0_17block_load_methodE3ELS4_3ELS4_3ELNS0_20block_scan_algorithmE0ELj4294967295EEENS1_25partition_config_selectorILNS1_17partition_subalgoE4EjNS0_10empty_typeEbEEZZNS1_14partition_implILS8_4ELb0ES6_15HIP_vector_typeIjLj2EENS0_17counting_iteratorIjlEEPS9_SG_NS0_5tupleIJPjSI_NS0_16reverse_iteratorISI_EEEEENSH_IJSG_SG_SG_EEES9_SI_JZNS1_25segmented_radix_sort_implINS0_14default_configELb1EPKbPbPKlPlN2at6native12_GLOBAL__N_18offset_tEEE10hipError_tPvRmT1_PNSt15iterator_traitsIS12_E10value_typeET2_T3_PNS13_IS18_E10value_typeET4_jRbjT5_S1E_jjP12ihipStream_tbEUljE_ZNSN_ISO_Lb1ESQ_SR_ST_SU_SY_EESZ_S10_S11_S12_S16_S17_S18_S1B_S1C_jS1D_jS1E_S1E_jjS1G_bEUljE0_EEESZ_S10_S11_S18_S1C_S1E_T6_T7_T9_mT8_S1G_bDpT10_ENKUlT_T0_E_clISt17integral_constantIbLb1EES1U_EEDaS1P_S1Q_EUlS1P_E_NS1_11comp_targetILNS1_3genE8ELNS1_11target_archE1030ELNS1_3gpuE2ELNS1_3repE0EEENS1_30default_config_static_selectorELNS0_4arch9wavefront6targetE0EEEvS12_: ; @_ZN7rocprim17ROCPRIM_400000_NS6detail17trampoline_kernelINS0_13select_configILj256ELj13ELNS0_17block_load_methodE3ELS4_3ELS4_3ELNS0_20block_scan_algorithmE0ELj4294967295EEENS1_25partition_config_selectorILNS1_17partition_subalgoE4EjNS0_10empty_typeEbEEZZNS1_14partition_implILS8_4ELb0ES6_15HIP_vector_typeIjLj2EENS0_17counting_iteratorIjlEEPS9_SG_NS0_5tupleIJPjSI_NS0_16reverse_iteratorISI_EEEEENSH_IJSG_SG_SG_EEES9_SI_JZNS1_25segmented_radix_sort_implINS0_14default_configELb1EPKbPbPKlPlN2at6native12_GLOBAL__N_18offset_tEEE10hipError_tPvRmT1_PNSt15iterator_traitsIS12_E10value_typeET2_T3_PNS13_IS18_E10value_typeET4_jRbjT5_S1E_jjP12ihipStream_tbEUljE_ZNSN_ISO_Lb1ESQ_SR_ST_SU_SY_EESZ_S10_S11_S12_S16_S17_S18_S1B_S1C_jS1D_jS1E_S1E_jjS1G_bEUljE0_EEESZ_S10_S11_S18_S1C_S1E_T6_T7_T9_mT8_S1G_bDpT10_ENKUlT_T0_E_clISt17integral_constantIbLb1EES1U_EEDaS1P_S1Q_EUlS1P_E_NS1_11comp_targetILNS1_3genE8ELNS1_11target_archE1030ELNS1_3gpuE2ELNS1_3repE0EEENS1_30default_config_static_selectorELNS0_4arch9wavefront6targetE0EEEvS12_
; %bb.0:
	s_endpgm
	.section	.rodata,"a",@progbits
	.p2align	6, 0x0
	.amdhsa_kernel _ZN7rocprim17ROCPRIM_400000_NS6detail17trampoline_kernelINS0_13select_configILj256ELj13ELNS0_17block_load_methodE3ELS4_3ELS4_3ELNS0_20block_scan_algorithmE0ELj4294967295EEENS1_25partition_config_selectorILNS1_17partition_subalgoE4EjNS0_10empty_typeEbEEZZNS1_14partition_implILS8_4ELb0ES6_15HIP_vector_typeIjLj2EENS0_17counting_iteratorIjlEEPS9_SG_NS0_5tupleIJPjSI_NS0_16reverse_iteratorISI_EEEEENSH_IJSG_SG_SG_EEES9_SI_JZNS1_25segmented_radix_sort_implINS0_14default_configELb1EPKbPbPKlPlN2at6native12_GLOBAL__N_18offset_tEEE10hipError_tPvRmT1_PNSt15iterator_traitsIS12_E10value_typeET2_T3_PNS13_IS18_E10value_typeET4_jRbjT5_S1E_jjP12ihipStream_tbEUljE_ZNSN_ISO_Lb1ESQ_SR_ST_SU_SY_EESZ_S10_S11_S12_S16_S17_S18_S1B_S1C_jS1D_jS1E_S1E_jjS1G_bEUljE0_EEESZ_S10_S11_S18_S1C_S1E_T6_T7_T9_mT8_S1G_bDpT10_ENKUlT_T0_E_clISt17integral_constantIbLb1EES1U_EEDaS1P_S1Q_EUlS1P_E_NS1_11comp_targetILNS1_3genE8ELNS1_11target_archE1030ELNS1_3gpuE2ELNS1_3repE0EEENS1_30default_config_static_selectorELNS0_4arch9wavefront6targetE0EEEvS12_
		.amdhsa_group_segment_fixed_size 0
		.amdhsa_private_segment_fixed_size 0
		.amdhsa_kernarg_size 184
		.amdhsa_user_sgpr_count 6
		.amdhsa_user_sgpr_private_segment_buffer 1
		.amdhsa_user_sgpr_dispatch_ptr 0
		.amdhsa_user_sgpr_queue_ptr 0
		.amdhsa_user_sgpr_kernarg_segment_ptr 1
		.amdhsa_user_sgpr_dispatch_id 0
		.amdhsa_user_sgpr_flat_scratch_init 0
		.amdhsa_user_sgpr_private_segment_size 0
		.amdhsa_wavefront_size32 1
		.amdhsa_uses_dynamic_stack 0
		.amdhsa_system_sgpr_private_segment_wavefront_offset 0
		.amdhsa_system_sgpr_workgroup_id_x 1
		.amdhsa_system_sgpr_workgroup_id_y 0
		.amdhsa_system_sgpr_workgroup_id_z 0
		.amdhsa_system_sgpr_workgroup_info 0
		.amdhsa_system_vgpr_workitem_id 0
		.amdhsa_next_free_vgpr 1
		.amdhsa_next_free_sgpr 1
		.amdhsa_reserve_vcc 0
		.amdhsa_reserve_flat_scratch 0
		.amdhsa_float_round_mode_32 0
		.amdhsa_float_round_mode_16_64 0
		.amdhsa_float_denorm_mode_32 3
		.amdhsa_float_denorm_mode_16_64 3
		.amdhsa_dx10_clamp 1
		.amdhsa_ieee_mode 1
		.amdhsa_fp16_overflow 0
		.amdhsa_workgroup_processor_mode 1
		.amdhsa_memory_ordered 1
		.amdhsa_forward_progress 1
		.amdhsa_shared_vgpr_count 0
		.amdhsa_exception_fp_ieee_invalid_op 0
		.amdhsa_exception_fp_denorm_src 0
		.amdhsa_exception_fp_ieee_div_zero 0
		.amdhsa_exception_fp_ieee_overflow 0
		.amdhsa_exception_fp_ieee_underflow 0
		.amdhsa_exception_fp_ieee_inexact 0
		.amdhsa_exception_int_div_zero 0
	.end_amdhsa_kernel
	.section	.text._ZN7rocprim17ROCPRIM_400000_NS6detail17trampoline_kernelINS0_13select_configILj256ELj13ELNS0_17block_load_methodE3ELS4_3ELS4_3ELNS0_20block_scan_algorithmE0ELj4294967295EEENS1_25partition_config_selectorILNS1_17partition_subalgoE4EjNS0_10empty_typeEbEEZZNS1_14partition_implILS8_4ELb0ES6_15HIP_vector_typeIjLj2EENS0_17counting_iteratorIjlEEPS9_SG_NS0_5tupleIJPjSI_NS0_16reverse_iteratorISI_EEEEENSH_IJSG_SG_SG_EEES9_SI_JZNS1_25segmented_radix_sort_implINS0_14default_configELb1EPKbPbPKlPlN2at6native12_GLOBAL__N_18offset_tEEE10hipError_tPvRmT1_PNSt15iterator_traitsIS12_E10value_typeET2_T3_PNS13_IS18_E10value_typeET4_jRbjT5_S1E_jjP12ihipStream_tbEUljE_ZNSN_ISO_Lb1ESQ_SR_ST_SU_SY_EESZ_S10_S11_S12_S16_S17_S18_S1B_S1C_jS1D_jS1E_S1E_jjS1G_bEUljE0_EEESZ_S10_S11_S18_S1C_S1E_T6_T7_T9_mT8_S1G_bDpT10_ENKUlT_T0_E_clISt17integral_constantIbLb1EES1U_EEDaS1P_S1Q_EUlS1P_E_NS1_11comp_targetILNS1_3genE8ELNS1_11target_archE1030ELNS1_3gpuE2ELNS1_3repE0EEENS1_30default_config_static_selectorELNS0_4arch9wavefront6targetE0EEEvS12_,"axG",@progbits,_ZN7rocprim17ROCPRIM_400000_NS6detail17trampoline_kernelINS0_13select_configILj256ELj13ELNS0_17block_load_methodE3ELS4_3ELS4_3ELNS0_20block_scan_algorithmE0ELj4294967295EEENS1_25partition_config_selectorILNS1_17partition_subalgoE4EjNS0_10empty_typeEbEEZZNS1_14partition_implILS8_4ELb0ES6_15HIP_vector_typeIjLj2EENS0_17counting_iteratorIjlEEPS9_SG_NS0_5tupleIJPjSI_NS0_16reverse_iteratorISI_EEEEENSH_IJSG_SG_SG_EEES9_SI_JZNS1_25segmented_radix_sort_implINS0_14default_configELb1EPKbPbPKlPlN2at6native12_GLOBAL__N_18offset_tEEE10hipError_tPvRmT1_PNSt15iterator_traitsIS12_E10value_typeET2_T3_PNS13_IS18_E10value_typeET4_jRbjT5_S1E_jjP12ihipStream_tbEUljE_ZNSN_ISO_Lb1ESQ_SR_ST_SU_SY_EESZ_S10_S11_S12_S16_S17_S18_S1B_S1C_jS1D_jS1E_S1E_jjS1G_bEUljE0_EEESZ_S10_S11_S18_S1C_S1E_T6_T7_T9_mT8_S1G_bDpT10_ENKUlT_T0_E_clISt17integral_constantIbLb1EES1U_EEDaS1P_S1Q_EUlS1P_E_NS1_11comp_targetILNS1_3genE8ELNS1_11target_archE1030ELNS1_3gpuE2ELNS1_3repE0EEENS1_30default_config_static_selectorELNS0_4arch9wavefront6targetE0EEEvS12_,comdat
.Lfunc_end1475:
	.size	_ZN7rocprim17ROCPRIM_400000_NS6detail17trampoline_kernelINS0_13select_configILj256ELj13ELNS0_17block_load_methodE3ELS4_3ELS4_3ELNS0_20block_scan_algorithmE0ELj4294967295EEENS1_25partition_config_selectorILNS1_17partition_subalgoE4EjNS0_10empty_typeEbEEZZNS1_14partition_implILS8_4ELb0ES6_15HIP_vector_typeIjLj2EENS0_17counting_iteratorIjlEEPS9_SG_NS0_5tupleIJPjSI_NS0_16reverse_iteratorISI_EEEEENSH_IJSG_SG_SG_EEES9_SI_JZNS1_25segmented_radix_sort_implINS0_14default_configELb1EPKbPbPKlPlN2at6native12_GLOBAL__N_18offset_tEEE10hipError_tPvRmT1_PNSt15iterator_traitsIS12_E10value_typeET2_T3_PNS13_IS18_E10value_typeET4_jRbjT5_S1E_jjP12ihipStream_tbEUljE_ZNSN_ISO_Lb1ESQ_SR_ST_SU_SY_EESZ_S10_S11_S12_S16_S17_S18_S1B_S1C_jS1D_jS1E_S1E_jjS1G_bEUljE0_EEESZ_S10_S11_S18_S1C_S1E_T6_T7_T9_mT8_S1G_bDpT10_ENKUlT_T0_E_clISt17integral_constantIbLb1EES1U_EEDaS1P_S1Q_EUlS1P_E_NS1_11comp_targetILNS1_3genE8ELNS1_11target_archE1030ELNS1_3gpuE2ELNS1_3repE0EEENS1_30default_config_static_selectorELNS0_4arch9wavefront6targetE0EEEvS12_, .Lfunc_end1475-_ZN7rocprim17ROCPRIM_400000_NS6detail17trampoline_kernelINS0_13select_configILj256ELj13ELNS0_17block_load_methodE3ELS4_3ELS4_3ELNS0_20block_scan_algorithmE0ELj4294967295EEENS1_25partition_config_selectorILNS1_17partition_subalgoE4EjNS0_10empty_typeEbEEZZNS1_14partition_implILS8_4ELb0ES6_15HIP_vector_typeIjLj2EENS0_17counting_iteratorIjlEEPS9_SG_NS0_5tupleIJPjSI_NS0_16reverse_iteratorISI_EEEEENSH_IJSG_SG_SG_EEES9_SI_JZNS1_25segmented_radix_sort_implINS0_14default_configELb1EPKbPbPKlPlN2at6native12_GLOBAL__N_18offset_tEEE10hipError_tPvRmT1_PNSt15iterator_traitsIS12_E10value_typeET2_T3_PNS13_IS18_E10value_typeET4_jRbjT5_S1E_jjP12ihipStream_tbEUljE_ZNSN_ISO_Lb1ESQ_SR_ST_SU_SY_EESZ_S10_S11_S12_S16_S17_S18_S1B_S1C_jS1D_jS1E_S1E_jjS1G_bEUljE0_EEESZ_S10_S11_S18_S1C_S1E_T6_T7_T9_mT8_S1G_bDpT10_ENKUlT_T0_E_clISt17integral_constantIbLb1EES1U_EEDaS1P_S1Q_EUlS1P_E_NS1_11comp_targetILNS1_3genE8ELNS1_11target_archE1030ELNS1_3gpuE2ELNS1_3repE0EEENS1_30default_config_static_selectorELNS0_4arch9wavefront6targetE0EEEvS12_
                                        ; -- End function
	.set _ZN7rocprim17ROCPRIM_400000_NS6detail17trampoline_kernelINS0_13select_configILj256ELj13ELNS0_17block_load_methodE3ELS4_3ELS4_3ELNS0_20block_scan_algorithmE0ELj4294967295EEENS1_25partition_config_selectorILNS1_17partition_subalgoE4EjNS0_10empty_typeEbEEZZNS1_14partition_implILS8_4ELb0ES6_15HIP_vector_typeIjLj2EENS0_17counting_iteratorIjlEEPS9_SG_NS0_5tupleIJPjSI_NS0_16reverse_iteratorISI_EEEEENSH_IJSG_SG_SG_EEES9_SI_JZNS1_25segmented_radix_sort_implINS0_14default_configELb1EPKbPbPKlPlN2at6native12_GLOBAL__N_18offset_tEEE10hipError_tPvRmT1_PNSt15iterator_traitsIS12_E10value_typeET2_T3_PNS13_IS18_E10value_typeET4_jRbjT5_S1E_jjP12ihipStream_tbEUljE_ZNSN_ISO_Lb1ESQ_SR_ST_SU_SY_EESZ_S10_S11_S12_S16_S17_S18_S1B_S1C_jS1D_jS1E_S1E_jjS1G_bEUljE0_EEESZ_S10_S11_S18_S1C_S1E_T6_T7_T9_mT8_S1G_bDpT10_ENKUlT_T0_E_clISt17integral_constantIbLb1EES1U_EEDaS1P_S1Q_EUlS1P_E_NS1_11comp_targetILNS1_3genE8ELNS1_11target_archE1030ELNS1_3gpuE2ELNS1_3repE0EEENS1_30default_config_static_selectorELNS0_4arch9wavefront6targetE0EEEvS12_.num_vgpr, 0
	.set _ZN7rocprim17ROCPRIM_400000_NS6detail17trampoline_kernelINS0_13select_configILj256ELj13ELNS0_17block_load_methodE3ELS4_3ELS4_3ELNS0_20block_scan_algorithmE0ELj4294967295EEENS1_25partition_config_selectorILNS1_17partition_subalgoE4EjNS0_10empty_typeEbEEZZNS1_14partition_implILS8_4ELb0ES6_15HIP_vector_typeIjLj2EENS0_17counting_iteratorIjlEEPS9_SG_NS0_5tupleIJPjSI_NS0_16reverse_iteratorISI_EEEEENSH_IJSG_SG_SG_EEES9_SI_JZNS1_25segmented_radix_sort_implINS0_14default_configELb1EPKbPbPKlPlN2at6native12_GLOBAL__N_18offset_tEEE10hipError_tPvRmT1_PNSt15iterator_traitsIS12_E10value_typeET2_T3_PNS13_IS18_E10value_typeET4_jRbjT5_S1E_jjP12ihipStream_tbEUljE_ZNSN_ISO_Lb1ESQ_SR_ST_SU_SY_EESZ_S10_S11_S12_S16_S17_S18_S1B_S1C_jS1D_jS1E_S1E_jjS1G_bEUljE0_EEESZ_S10_S11_S18_S1C_S1E_T6_T7_T9_mT8_S1G_bDpT10_ENKUlT_T0_E_clISt17integral_constantIbLb1EES1U_EEDaS1P_S1Q_EUlS1P_E_NS1_11comp_targetILNS1_3genE8ELNS1_11target_archE1030ELNS1_3gpuE2ELNS1_3repE0EEENS1_30default_config_static_selectorELNS0_4arch9wavefront6targetE0EEEvS12_.num_agpr, 0
	.set _ZN7rocprim17ROCPRIM_400000_NS6detail17trampoline_kernelINS0_13select_configILj256ELj13ELNS0_17block_load_methodE3ELS4_3ELS4_3ELNS0_20block_scan_algorithmE0ELj4294967295EEENS1_25partition_config_selectorILNS1_17partition_subalgoE4EjNS0_10empty_typeEbEEZZNS1_14partition_implILS8_4ELb0ES6_15HIP_vector_typeIjLj2EENS0_17counting_iteratorIjlEEPS9_SG_NS0_5tupleIJPjSI_NS0_16reverse_iteratorISI_EEEEENSH_IJSG_SG_SG_EEES9_SI_JZNS1_25segmented_radix_sort_implINS0_14default_configELb1EPKbPbPKlPlN2at6native12_GLOBAL__N_18offset_tEEE10hipError_tPvRmT1_PNSt15iterator_traitsIS12_E10value_typeET2_T3_PNS13_IS18_E10value_typeET4_jRbjT5_S1E_jjP12ihipStream_tbEUljE_ZNSN_ISO_Lb1ESQ_SR_ST_SU_SY_EESZ_S10_S11_S12_S16_S17_S18_S1B_S1C_jS1D_jS1E_S1E_jjS1G_bEUljE0_EEESZ_S10_S11_S18_S1C_S1E_T6_T7_T9_mT8_S1G_bDpT10_ENKUlT_T0_E_clISt17integral_constantIbLb1EES1U_EEDaS1P_S1Q_EUlS1P_E_NS1_11comp_targetILNS1_3genE8ELNS1_11target_archE1030ELNS1_3gpuE2ELNS1_3repE0EEENS1_30default_config_static_selectorELNS0_4arch9wavefront6targetE0EEEvS12_.numbered_sgpr, 0
	.set _ZN7rocprim17ROCPRIM_400000_NS6detail17trampoline_kernelINS0_13select_configILj256ELj13ELNS0_17block_load_methodE3ELS4_3ELS4_3ELNS0_20block_scan_algorithmE0ELj4294967295EEENS1_25partition_config_selectorILNS1_17partition_subalgoE4EjNS0_10empty_typeEbEEZZNS1_14partition_implILS8_4ELb0ES6_15HIP_vector_typeIjLj2EENS0_17counting_iteratorIjlEEPS9_SG_NS0_5tupleIJPjSI_NS0_16reverse_iteratorISI_EEEEENSH_IJSG_SG_SG_EEES9_SI_JZNS1_25segmented_radix_sort_implINS0_14default_configELb1EPKbPbPKlPlN2at6native12_GLOBAL__N_18offset_tEEE10hipError_tPvRmT1_PNSt15iterator_traitsIS12_E10value_typeET2_T3_PNS13_IS18_E10value_typeET4_jRbjT5_S1E_jjP12ihipStream_tbEUljE_ZNSN_ISO_Lb1ESQ_SR_ST_SU_SY_EESZ_S10_S11_S12_S16_S17_S18_S1B_S1C_jS1D_jS1E_S1E_jjS1G_bEUljE0_EEESZ_S10_S11_S18_S1C_S1E_T6_T7_T9_mT8_S1G_bDpT10_ENKUlT_T0_E_clISt17integral_constantIbLb1EES1U_EEDaS1P_S1Q_EUlS1P_E_NS1_11comp_targetILNS1_3genE8ELNS1_11target_archE1030ELNS1_3gpuE2ELNS1_3repE0EEENS1_30default_config_static_selectorELNS0_4arch9wavefront6targetE0EEEvS12_.num_named_barrier, 0
	.set _ZN7rocprim17ROCPRIM_400000_NS6detail17trampoline_kernelINS0_13select_configILj256ELj13ELNS0_17block_load_methodE3ELS4_3ELS4_3ELNS0_20block_scan_algorithmE0ELj4294967295EEENS1_25partition_config_selectorILNS1_17partition_subalgoE4EjNS0_10empty_typeEbEEZZNS1_14partition_implILS8_4ELb0ES6_15HIP_vector_typeIjLj2EENS0_17counting_iteratorIjlEEPS9_SG_NS0_5tupleIJPjSI_NS0_16reverse_iteratorISI_EEEEENSH_IJSG_SG_SG_EEES9_SI_JZNS1_25segmented_radix_sort_implINS0_14default_configELb1EPKbPbPKlPlN2at6native12_GLOBAL__N_18offset_tEEE10hipError_tPvRmT1_PNSt15iterator_traitsIS12_E10value_typeET2_T3_PNS13_IS18_E10value_typeET4_jRbjT5_S1E_jjP12ihipStream_tbEUljE_ZNSN_ISO_Lb1ESQ_SR_ST_SU_SY_EESZ_S10_S11_S12_S16_S17_S18_S1B_S1C_jS1D_jS1E_S1E_jjS1G_bEUljE0_EEESZ_S10_S11_S18_S1C_S1E_T6_T7_T9_mT8_S1G_bDpT10_ENKUlT_T0_E_clISt17integral_constantIbLb1EES1U_EEDaS1P_S1Q_EUlS1P_E_NS1_11comp_targetILNS1_3genE8ELNS1_11target_archE1030ELNS1_3gpuE2ELNS1_3repE0EEENS1_30default_config_static_selectorELNS0_4arch9wavefront6targetE0EEEvS12_.private_seg_size, 0
	.set _ZN7rocprim17ROCPRIM_400000_NS6detail17trampoline_kernelINS0_13select_configILj256ELj13ELNS0_17block_load_methodE3ELS4_3ELS4_3ELNS0_20block_scan_algorithmE0ELj4294967295EEENS1_25partition_config_selectorILNS1_17partition_subalgoE4EjNS0_10empty_typeEbEEZZNS1_14partition_implILS8_4ELb0ES6_15HIP_vector_typeIjLj2EENS0_17counting_iteratorIjlEEPS9_SG_NS0_5tupleIJPjSI_NS0_16reverse_iteratorISI_EEEEENSH_IJSG_SG_SG_EEES9_SI_JZNS1_25segmented_radix_sort_implINS0_14default_configELb1EPKbPbPKlPlN2at6native12_GLOBAL__N_18offset_tEEE10hipError_tPvRmT1_PNSt15iterator_traitsIS12_E10value_typeET2_T3_PNS13_IS18_E10value_typeET4_jRbjT5_S1E_jjP12ihipStream_tbEUljE_ZNSN_ISO_Lb1ESQ_SR_ST_SU_SY_EESZ_S10_S11_S12_S16_S17_S18_S1B_S1C_jS1D_jS1E_S1E_jjS1G_bEUljE0_EEESZ_S10_S11_S18_S1C_S1E_T6_T7_T9_mT8_S1G_bDpT10_ENKUlT_T0_E_clISt17integral_constantIbLb1EES1U_EEDaS1P_S1Q_EUlS1P_E_NS1_11comp_targetILNS1_3genE8ELNS1_11target_archE1030ELNS1_3gpuE2ELNS1_3repE0EEENS1_30default_config_static_selectorELNS0_4arch9wavefront6targetE0EEEvS12_.uses_vcc, 0
	.set _ZN7rocprim17ROCPRIM_400000_NS6detail17trampoline_kernelINS0_13select_configILj256ELj13ELNS0_17block_load_methodE3ELS4_3ELS4_3ELNS0_20block_scan_algorithmE0ELj4294967295EEENS1_25partition_config_selectorILNS1_17partition_subalgoE4EjNS0_10empty_typeEbEEZZNS1_14partition_implILS8_4ELb0ES6_15HIP_vector_typeIjLj2EENS0_17counting_iteratorIjlEEPS9_SG_NS0_5tupleIJPjSI_NS0_16reverse_iteratorISI_EEEEENSH_IJSG_SG_SG_EEES9_SI_JZNS1_25segmented_radix_sort_implINS0_14default_configELb1EPKbPbPKlPlN2at6native12_GLOBAL__N_18offset_tEEE10hipError_tPvRmT1_PNSt15iterator_traitsIS12_E10value_typeET2_T3_PNS13_IS18_E10value_typeET4_jRbjT5_S1E_jjP12ihipStream_tbEUljE_ZNSN_ISO_Lb1ESQ_SR_ST_SU_SY_EESZ_S10_S11_S12_S16_S17_S18_S1B_S1C_jS1D_jS1E_S1E_jjS1G_bEUljE0_EEESZ_S10_S11_S18_S1C_S1E_T6_T7_T9_mT8_S1G_bDpT10_ENKUlT_T0_E_clISt17integral_constantIbLb1EES1U_EEDaS1P_S1Q_EUlS1P_E_NS1_11comp_targetILNS1_3genE8ELNS1_11target_archE1030ELNS1_3gpuE2ELNS1_3repE0EEENS1_30default_config_static_selectorELNS0_4arch9wavefront6targetE0EEEvS12_.uses_flat_scratch, 0
	.set _ZN7rocprim17ROCPRIM_400000_NS6detail17trampoline_kernelINS0_13select_configILj256ELj13ELNS0_17block_load_methodE3ELS4_3ELS4_3ELNS0_20block_scan_algorithmE0ELj4294967295EEENS1_25partition_config_selectorILNS1_17partition_subalgoE4EjNS0_10empty_typeEbEEZZNS1_14partition_implILS8_4ELb0ES6_15HIP_vector_typeIjLj2EENS0_17counting_iteratorIjlEEPS9_SG_NS0_5tupleIJPjSI_NS0_16reverse_iteratorISI_EEEEENSH_IJSG_SG_SG_EEES9_SI_JZNS1_25segmented_radix_sort_implINS0_14default_configELb1EPKbPbPKlPlN2at6native12_GLOBAL__N_18offset_tEEE10hipError_tPvRmT1_PNSt15iterator_traitsIS12_E10value_typeET2_T3_PNS13_IS18_E10value_typeET4_jRbjT5_S1E_jjP12ihipStream_tbEUljE_ZNSN_ISO_Lb1ESQ_SR_ST_SU_SY_EESZ_S10_S11_S12_S16_S17_S18_S1B_S1C_jS1D_jS1E_S1E_jjS1G_bEUljE0_EEESZ_S10_S11_S18_S1C_S1E_T6_T7_T9_mT8_S1G_bDpT10_ENKUlT_T0_E_clISt17integral_constantIbLb1EES1U_EEDaS1P_S1Q_EUlS1P_E_NS1_11comp_targetILNS1_3genE8ELNS1_11target_archE1030ELNS1_3gpuE2ELNS1_3repE0EEENS1_30default_config_static_selectorELNS0_4arch9wavefront6targetE0EEEvS12_.has_dyn_sized_stack, 0
	.set _ZN7rocprim17ROCPRIM_400000_NS6detail17trampoline_kernelINS0_13select_configILj256ELj13ELNS0_17block_load_methodE3ELS4_3ELS4_3ELNS0_20block_scan_algorithmE0ELj4294967295EEENS1_25partition_config_selectorILNS1_17partition_subalgoE4EjNS0_10empty_typeEbEEZZNS1_14partition_implILS8_4ELb0ES6_15HIP_vector_typeIjLj2EENS0_17counting_iteratorIjlEEPS9_SG_NS0_5tupleIJPjSI_NS0_16reverse_iteratorISI_EEEEENSH_IJSG_SG_SG_EEES9_SI_JZNS1_25segmented_radix_sort_implINS0_14default_configELb1EPKbPbPKlPlN2at6native12_GLOBAL__N_18offset_tEEE10hipError_tPvRmT1_PNSt15iterator_traitsIS12_E10value_typeET2_T3_PNS13_IS18_E10value_typeET4_jRbjT5_S1E_jjP12ihipStream_tbEUljE_ZNSN_ISO_Lb1ESQ_SR_ST_SU_SY_EESZ_S10_S11_S12_S16_S17_S18_S1B_S1C_jS1D_jS1E_S1E_jjS1G_bEUljE0_EEESZ_S10_S11_S18_S1C_S1E_T6_T7_T9_mT8_S1G_bDpT10_ENKUlT_T0_E_clISt17integral_constantIbLb1EES1U_EEDaS1P_S1Q_EUlS1P_E_NS1_11comp_targetILNS1_3genE8ELNS1_11target_archE1030ELNS1_3gpuE2ELNS1_3repE0EEENS1_30default_config_static_selectorELNS0_4arch9wavefront6targetE0EEEvS12_.has_recursion, 0
	.set _ZN7rocprim17ROCPRIM_400000_NS6detail17trampoline_kernelINS0_13select_configILj256ELj13ELNS0_17block_load_methodE3ELS4_3ELS4_3ELNS0_20block_scan_algorithmE0ELj4294967295EEENS1_25partition_config_selectorILNS1_17partition_subalgoE4EjNS0_10empty_typeEbEEZZNS1_14partition_implILS8_4ELb0ES6_15HIP_vector_typeIjLj2EENS0_17counting_iteratorIjlEEPS9_SG_NS0_5tupleIJPjSI_NS0_16reverse_iteratorISI_EEEEENSH_IJSG_SG_SG_EEES9_SI_JZNS1_25segmented_radix_sort_implINS0_14default_configELb1EPKbPbPKlPlN2at6native12_GLOBAL__N_18offset_tEEE10hipError_tPvRmT1_PNSt15iterator_traitsIS12_E10value_typeET2_T3_PNS13_IS18_E10value_typeET4_jRbjT5_S1E_jjP12ihipStream_tbEUljE_ZNSN_ISO_Lb1ESQ_SR_ST_SU_SY_EESZ_S10_S11_S12_S16_S17_S18_S1B_S1C_jS1D_jS1E_S1E_jjS1G_bEUljE0_EEESZ_S10_S11_S18_S1C_S1E_T6_T7_T9_mT8_S1G_bDpT10_ENKUlT_T0_E_clISt17integral_constantIbLb1EES1U_EEDaS1P_S1Q_EUlS1P_E_NS1_11comp_targetILNS1_3genE8ELNS1_11target_archE1030ELNS1_3gpuE2ELNS1_3repE0EEENS1_30default_config_static_selectorELNS0_4arch9wavefront6targetE0EEEvS12_.has_indirect_call, 0
	.section	.AMDGPU.csdata,"",@progbits
; Kernel info:
; codeLenInByte = 4
; TotalNumSgprs: 0
; NumVgprs: 0
; ScratchSize: 0
; MemoryBound: 0
; FloatMode: 240
; IeeeMode: 1
; LDSByteSize: 0 bytes/workgroup (compile time only)
; SGPRBlocks: 0
; VGPRBlocks: 0
; NumSGPRsForWavesPerEU: 1
; NumVGPRsForWavesPerEU: 1
; Occupancy: 16
; WaveLimiterHint : 0
; COMPUTE_PGM_RSRC2:SCRATCH_EN: 0
; COMPUTE_PGM_RSRC2:USER_SGPR: 6
; COMPUTE_PGM_RSRC2:TRAP_HANDLER: 0
; COMPUTE_PGM_RSRC2:TGID_X_EN: 1
; COMPUTE_PGM_RSRC2:TGID_Y_EN: 0
; COMPUTE_PGM_RSRC2:TGID_Z_EN: 0
; COMPUTE_PGM_RSRC2:TIDIG_COMP_CNT: 0
	.section	.text._ZN7rocprim17ROCPRIM_400000_NS6detail17trampoline_kernelINS0_13select_configILj256ELj13ELNS0_17block_load_methodE3ELS4_3ELS4_3ELNS0_20block_scan_algorithmE0ELj4294967295EEENS1_25partition_config_selectorILNS1_17partition_subalgoE4EjNS0_10empty_typeEbEEZZNS1_14partition_implILS8_4ELb0ES6_15HIP_vector_typeIjLj2EENS0_17counting_iteratorIjlEEPS9_SG_NS0_5tupleIJPjSI_NS0_16reverse_iteratorISI_EEEEENSH_IJSG_SG_SG_EEES9_SI_JZNS1_25segmented_radix_sort_implINS0_14default_configELb1EPKbPbPKlPlN2at6native12_GLOBAL__N_18offset_tEEE10hipError_tPvRmT1_PNSt15iterator_traitsIS12_E10value_typeET2_T3_PNS13_IS18_E10value_typeET4_jRbjT5_S1E_jjP12ihipStream_tbEUljE_ZNSN_ISO_Lb1ESQ_SR_ST_SU_SY_EESZ_S10_S11_S12_S16_S17_S18_S1B_S1C_jS1D_jS1E_S1E_jjS1G_bEUljE0_EEESZ_S10_S11_S18_S1C_S1E_T6_T7_T9_mT8_S1G_bDpT10_ENKUlT_T0_E_clISt17integral_constantIbLb1EES1T_IbLb0EEEEDaS1P_S1Q_EUlS1P_E_NS1_11comp_targetILNS1_3genE0ELNS1_11target_archE4294967295ELNS1_3gpuE0ELNS1_3repE0EEENS1_30default_config_static_selectorELNS0_4arch9wavefront6targetE0EEEvS12_,"axG",@progbits,_ZN7rocprim17ROCPRIM_400000_NS6detail17trampoline_kernelINS0_13select_configILj256ELj13ELNS0_17block_load_methodE3ELS4_3ELS4_3ELNS0_20block_scan_algorithmE0ELj4294967295EEENS1_25partition_config_selectorILNS1_17partition_subalgoE4EjNS0_10empty_typeEbEEZZNS1_14partition_implILS8_4ELb0ES6_15HIP_vector_typeIjLj2EENS0_17counting_iteratorIjlEEPS9_SG_NS0_5tupleIJPjSI_NS0_16reverse_iteratorISI_EEEEENSH_IJSG_SG_SG_EEES9_SI_JZNS1_25segmented_radix_sort_implINS0_14default_configELb1EPKbPbPKlPlN2at6native12_GLOBAL__N_18offset_tEEE10hipError_tPvRmT1_PNSt15iterator_traitsIS12_E10value_typeET2_T3_PNS13_IS18_E10value_typeET4_jRbjT5_S1E_jjP12ihipStream_tbEUljE_ZNSN_ISO_Lb1ESQ_SR_ST_SU_SY_EESZ_S10_S11_S12_S16_S17_S18_S1B_S1C_jS1D_jS1E_S1E_jjS1G_bEUljE0_EEESZ_S10_S11_S18_S1C_S1E_T6_T7_T9_mT8_S1G_bDpT10_ENKUlT_T0_E_clISt17integral_constantIbLb1EES1T_IbLb0EEEEDaS1P_S1Q_EUlS1P_E_NS1_11comp_targetILNS1_3genE0ELNS1_11target_archE4294967295ELNS1_3gpuE0ELNS1_3repE0EEENS1_30default_config_static_selectorELNS0_4arch9wavefront6targetE0EEEvS12_,comdat
	.globl	_ZN7rocprim17ROCPRIM_400000_NS6detail17trampoline_kernelINS0_13select_configILj256ELj13ELNS0_17block_load_methodE3ELS4_3ELS4_3ELNS0_20block_scan_algorithmE0ELj4294967295EEENS1_25partition_config_selectorILNS1_17partition_subalgoE4EjNS0_10empty_typeEbEEZZNS1_14partition_implILS8_4ELb0ES6_15HIP_vector_typeIjLj2EENS0_17counting_iteratorIjlEEPS9_SG_NS0_5tupleIJPjSI_NS0_16reverse_iteratorISI_EEEEENSH_IJSG_SG_SG_EEES9_SI_JZNS1_25segmented_radix_sort_implINS0_14default_configELb1EPKbPbPKlPlN2at6native12_GLOBAL__N_18offset_tEEE10hipError_tPvRmT1_PNSt15iterator_traitsIS12_E10value_typeET2_T3_PNS13_IS18_E10value_typeET4_jRbjT5_S1E_jjP12ihipStream_tbEUljE_ZNSN_ISO_Lb1ESQ_SR_ST_SU_SY_EESZ_S10_S11_S12_S16_S17_S18_S1B_S1C_jS1D_jS1E_S1E_jjS1G_bEUljE0_EEESZ_S10_S11_S18_S1C_S1E_T6_T7_T9_mT8_S1G_bDpT10_ENKUlT_T0_E_clISt17integral_constantIbLb1EES1T_IbLb0EEEEDaS1P_S1Q_EUlS1P_E_NS1_11comp_targetILNS1_3genE0ELNS1_11target_archE4294967295ELNS1_3gpuE0ELNS1_3repE0EEENS1_30default_config_static_selectorELNS0_4arch9wavefront6targetE0EEEvS12_ ; -- Begin function _ZN7rocprim17ROCPRIM_400000_NS6detail17trampoline_kernelINS0_13select_configILj256ELj13ELNS0_17block_load_methodE3ELS4_3ELS4_3ELNS0_20block_scan_algorithmE0ELj4294967295EEENS1_25partition_config_selectorILNS1_17partition_subalgoE4EjNS0_10empty_typeEbEEZZNS1_14partition_implILS8_4ELb0ES6_15HIP_vector_typeIjLj2EENS0_17counting_iteratorIjlEEPS9_SG_NS0_5tupleIJPjSI_NS0_16reverse_iteratorISI_EEEEENSH_IJSG_SG_SG_EEES9_SI_JZNS1_25segmented_radix_sort_implINS0_14default_configELb1EPKbPbPKlPlN2at6native12_GLOBAL__N_18offset_tEEE10hipError_tPvRmT1_PNSt15iterator_traitsIS12_E10value_typeET2_T3_PNS13_IS18_E10value_typeET4_jRbjT5_S1E_jjP12ihipStream_tbEUljE_ZNSN_ISO_Lb1ESQ_SR_ST_SU_SY_EESZ_S10_S11_S12_S16_S17_S18_S1B_S1C_jS1D_jS1E_S1E_jjS1G_bEUljE0_EEESZ_S10_S11_S18_S1C_S1E_T6_T7_T9_mT8_S1G_bDpT10_ENKUlT_T0_E_clISt17integral_constantIbLb1EES1T_IbLb0EEEEDaS1P_S1Q_EUlS1P_E_NS1_11comp_targetILNS1_3genE0ELNS1_11target_archE4294967295ELNS1_3gpuE0ELNS1_3repE0EEENS1_30default_config_static_selectorELNS0_4arch9wavefront6targetE0EEEvS12_
	.p2align	8
	.type	_ZN7rocprim17ROCPRIM_400000_NS6detail17trampoline_kernelINS0_13select_configILj256ELj13ELNS0_17block_load_methodE3ELS4_3ELS4_3ELNS0_20block_scan_algorithmE0ELj4294967295EEENS1_25partition_config_selectorILNS1_17partition_subalgoE4EjNS0_10empty_typeEbEEZZNS1_14partition_implILS8_4ELb0ES6_15HIP_vector_typeIjLj2EENS0_17counting_iteratorIjlEEPS9_SG_NS0_5tupleIJPjSI_NS0_16reverse_iteratorISI_EEEEENSH_IJSG_SG_SG_EEES9_SI_JZNS1_25segmented_radix_sort_implINS0_14default_configELb1EPKbPbPKlPlN2at6native12_GLOBAL__N_18offset_tEEE10hipError_tPvRmT1_PNSt15iterator_traitsIS12_E10value_typeET2_T3_PNS13_IS18_E10value_typeET4_jRbjT5_S1E_jjP12ihipStream_tbEUljE_ZNSN_ISO_Lb1ESQ_SR_ST_SU_SY_EESZ_S10_S11_S12_S16_S17_S18_S1B_S1C_jS1D_jS1E_S1E_jjS1G_bEUljE0_EEESZ_S10_S11_S18_S1C_S1E_T6_T7_T9_mT8_S1G_bDpT10_ENKUlT_T0_E_clISt17integral_constantIbLb1EES1T_IbLb0EEEEDaS1P_S1Q_EUlS1P_E_NS1_11comp_targetILNS1_3genE0ELNS1_11target_archE4294967295ELNS1_3gpuE0ELNS1_3repE0EEENS1_30default_config_static_selectorELNS0_4arch9wavefront6targetE0EEEvS12_,@function
_ZN7rocprim17ROCPRIM_400000_NS6detail17trampoline_kernelINS0_13select_configILj256ELj13ELNS0_17block_load_methodE3ELS4_3ELS4_3ELNS0_20block_scan_algorithmE0ELj4294967295EEENS1_25partition_config_selectorILNS1_17partition_subalgoE4EjNS0_10empty_typeEbEEZZNS1_14partition_implILS8_4ELb0ES6_15HIP_vector_typeIjLj2EENS0_17counting_iteratorIjlEEPS9_SG_NS0_5tupleIJPjSI_NS0_16reverse_iteratorISI_EEEEENSH_IJSG_SG_SG_EEES9_SI_JZNS1_25segmented_radix_sort_implINS0_14default_configELb1EPKbPbPKlPlN2at6native12_GLOBAL__N_18offset_tEEE10hipError_tPvRmT1_PNSt15iterator_traitsIS12_E10value_typeET2_T3_PNS13_IS18_E10value_typeET4_jRbjT5_S1E_jjP12ihipStream_tbEUljE_ZNSN_ISO_Lb1ESQ_SR_ST_SU_SY_EESZ_S10_S11_S12_S16_S17_S18_S1B_S1C_jS1D_jS1E_S1E_jjS1G_bEUljE0_EEESZ_S10_S11_S18_S1C_S1E_T6_T7_T9_mT8_S1G_bDpT10_ENKUlT_T0_E_clISt17integral_constantIbLb1EES1T_IbLb0EEEEDaS1P_S1Q_EUlS1P_E_NS1_11comp_targetILNS1_3genE0ELNS1_11target_archE4294967295ELNS1_3gpuE0ELNS1_3repE0EEENS1_30default_config_static_selectorELNS0_4arch9wavefront6targetE0EEEvS12_: ; @_ZN7rocprim17ROCPRIM_400000_NS6detail17trampoline_kernelINS0_13select_configILj256ELj13ELNS0_17block_load_methodE3ELS4_3ELS4_3ELNS0_20block_scan_algorithmE0ELj4294967295EEENS1_25partition_config_selectorILNS1_17partition_subalgoE4EjNS0_10empty_typeEbEEZZNS1_14partition_implILS8_4ELb0ES6_15HIP_vector_typeIjLj2EENS0_17counting_iteratorIjlEEPS9_SG_NS0_5tupleIJPjSI_NS0_16reverse_iteratorISI_EEEEENSH_IJSG_SG_SG_EEES9_SI_JZNS1_25segmented_radix_sort_implINS0_14default_configELb1EPKbPbPKlPlN2at6native12_GLOBAL__N_18offset_tEEE10hipError_tPvRmT1_PNSt15iterator_traitsIS12_E10value_typeET2_T3_PNS13_IS18_E10value_typeET4_jRbjT5_S1E_jjP12ihipStream_tbEUljE_ZNSN_ISO_Lb1ESQ_SR_ST_SU_SY_EESZ_S10_S11_S12_S16_S17_S18_S1B_S1C_jS1D_jS1E_S1E_jjS1G_bEUljE0_EEESZ_S10_S11_S18_S1C_S1E_T6_T7_T9_mT8_S1G_bDpT10_ENKUlT_T0_E_clISt17integral_constantIbLb1EES1T_IbLb0EEEEDaS1P_S1Q_EUlS1P_E_NS1_11comp_targetILNS1_3genE0ELNS1_11target_archE4294967295ELNS1_3gpuE0ELNS1_3repE0EEENS1_30default_config_static_selectorELNS0_4arch9wavefront6targetE0EEEvS12_
; %bb.0:
	.section	.rodata,"a",@progbits
	.p2align	6, 0x0
	.amdhsa_kernel _ZN7rocprim17ROCPRIM_400000_NS6detail17trampoline_kernelINS0_13select_configILj256ELj13ELNS0_17block_load_methodE3ELS4_3ELS4_3ELNS0_20block_scan_algorithmE0ELj4294967295EEENS1_25partition_config_selectorILNS1_17partition_subalgoE4EjNS0_10empty_typeEbEEZZNS1_14partition_implILS8_4ELb0ES6_15HIP_vector_typeIjLj2EENS0_17counting_iteratorIjlEEPS9_SG_NS0_5tupleIJPjSI_NS0_16reverse_iteratorISI_EEEEENSH_IJSG_SG_SG_EEES9_SI_JZNS1_25segmented_radix_sort_implINS0_14default_configELb1EPKbPbPKlPlN2at6native12_GLOBAL__N_18offset_tEEE10hipError_tPvRmT1_PNSt15iterator_traitsIS12_E10value_typeET2_T3_PNS13_IS18_E10value_typeET4_jRbjT5_S1E_jjP12ihipStream_tbEUljE_ZNSN_ISO_Lb1ESQ_SR_ST_SU_SY_EESZ_S10_S11_S12_S16_S17_S18_S1B_S1C_jS1D_jS1E_S1E_jjS1G_bEUljE0_EEESZ_S10_S11_S18_S1C_S1E_T6_T7_T9_mT8_S1G_bDpT10_ENKUlT_T0_E_clISt17integral_constantIbLb1EES1T_IbLb0EEEEDaS1P_S1Q_EUlS1P_E_NS1_11comp_targetILNS1_3genE0ELNS1_11target_archE4294967295ELNS1_3gpuE0ELNS1_3repE0EEENS1_30default_config_static_selectorELNS0_4arch9wavefront6targetE0EEEvS12_
		.amdhsa_group_segment_fixed_size 0
		.amdhsa_private_segment_fixed_size 0
		.amdhsa_kernarg_size 176
		.amdhsa_user_sgpr_count 6
		.amdhsa_user_sgpr_private_segment_buffer 1
		.amdhsa_user_sgpr_dispatch_ptr 0
		.amdhsa_user_sgpr_queue_ptr 0
		.amdhsa_user_sgpr_kernarg_segment_ptr 1
		.amdhsa_user_sgpr_dispatch_id 0
		.amdhsa_user_sgpr_flat_scratch_init 0
		.amdhsa_user_sgpr_private_segment_size 0
		.amdhsa_wavefront_size32 1
		.amdhsa_uses_dynamic_stack 0
		.amdhsa_system_sgpr_private_segment_wavefront_offset 0
		.amdhsa_system_sgpr_workgroup_id_x 1
		.amdhsa_system_sgpr_workgroup_id_y 0
		.amdhsa_system_sgpr_workgroup_id_z 0
		.amdhsa_system_sgpr_workgroup_info 0
		.amdhsa_system_vgpr_workitem_id 0
		.amdhsa_next_free_vgpr 1
		.amdhsa_next_free_sgpr 1
		.amdhsa_reserve_vcc 0
		.amdhsa_reserve_flat_scratch 0
		.amdhsa_float_round_mode_32 0
		.amdhsa_float_round_mode_16_64 0
		.amdhsa_float_denorm_mode_32 3
		.amdhsa_float_denorm_mode_16_64 3
		.amdhsa_dx10_clamp 1
		.amdhsa_ieee_mode 1
		.amdhsa_fp16_overflow 0
		.amdhsa_workgroup_processor_mode 1
		.amdhsa_memory_ordered 1
		.amdhsa_forward_progress 1
		.amdhsa_shared_vgpr_count 0
		.amdhsa_exception_fp_ieee_invalid_op 0
		.amdhsa_exception_fp_denorm_src 0
		.amdhsa_exception_fp_ieee_div_zero 0
		.amdhsa_exception_fp_ieee_overflow 0
		.amdhsa_exception_fp_ieee_underflow 0
		.amdhsa_exception_fp_ieee_inexact 0
		.amdhsa_exception_int_div_zero 0
	.end_amdhsa_kernel
	.section	.text._ZN7rocprim17ROCPRIM_400000_NS6detail17trampoline_kernelINS0_13select_configILj256ELj13ELNS0_17block_load_methodE3ELS4_3ELS4_3ELNS0_20block_scan_algorithmE0ELj4294967295EEENS1_25partition_config_selectorILNS1_17partition_subalgoE4EjNS0_10empty_typeEbEEZZNS1_14partition_implILS8_4ELb0ES6_15HIP_vector_typeIjLj2EENS0_17counting_iteratorIjlEEPS9_SG_NS0_5tupleIJPjSI_NS0_16reverse_iteratorISI_EEEEENSH_IJSG_SG_SG_EEES9_SI_JZNS1_25segmented_radix_sort_implINS0_14default_configELb1EPKbPbPKlPlN2at6native12_GLOBAL__N_18offset_tEEE10hipError_tPvRmT1_PNSt15iterator_traitsIS12_E10value_typeET2_T3_PNS13_IS18_E10value_typeET4_jRbjT5_S1E_jjP12ihipStream_tbEUljE_ZNSN_ISO_Lb1ESQ_SR_ST_SU_SY_EESZ_S10_S11_S12_S16_S17_S18_S1B_S1C_jS1D_jS1E_S1E_jjS1G_bEUljE0_EEESZ_S10_S11_S18_S1C_S1E_T6_T7_T9_mT8_S1G_bDpT10_ENKUlT_T0_E_clISt17integral_constantIbLb1EES1T_IbLb0EEEEDaS1P_S1Q_EUlS1P_E_NS1_11comp_targetILNS1_3genE0ELNS1_11target_archE4294967295ELNS1_3gpuE0ELNS1_3repE0EEENS1_30default_config_static_selectorELNS0_4arch9wavefront6targetE0EEEvS12_,"axG",@progbits,_ZN7rocprim17ROCPRIM_400000_NS6detail17trampoline_kernelINS0_13select_configILj256ELj13ELNS0_17block_load_methodE3ELS4_3ELS4_3ELNS0_20block_scan_algorithmE0ELj4294967295EEENS1_25partition_config_selectorILNS1_17partition_subalgoE4EjNS0_10empty_typeEbEEZZNS1_14partition_implILS8_4ELb0ES6_15HIP_vector_typeIjLj2EENS0_17counting_iteratorIjlEEPS9_SG_NS0_5tupleIJPjSI_NS0_16reverse_iteratorISI_EEEEENSH_IJSG_SG_SG_EEES9_SI_JZNS1_25segmented_radix_sort_implINS0_14default_configELb1EPKbPbPKlPlN2at6native12_GLOBAL__N_18offset_tEEE10hipError_tPvRmT1_PNSt15iterator_traitsIS12_E10value_typeET2_T3_PNS13_IS18_E10value_typeET4_jRbjT5_S1E_jjP12ihipStream_tbEUljE_ZNSN_ISO_Lb1ESQ_SR_ST_SU_SY_EESZ_S10_S11_S12_S16_S17_S18_S1B_S1C_jS1D_jS1E_S1E_jjS1G_bEUljE0_EEESZ_S10_S11_S18_S1C_S1E_T6_T7_T9_mT8_S1G_bDpT10_ENKUlT_T0_E_clISt17integral_constantIbLb1EES1T_IbLb0EEEEDaS1P_S1Q_EUlS1P_E_NS1_11comp_targetILNS1_3genE0ELNS1_11target_archE4294967295ELNS1_3gpuE0ELNS1_3repE0EEENS1_30default_config_static_selectorELNS0_4arch9wavefront6targetE0EEEvS12_,comdat
.Lfunc_end1476:
	.size	_ZN7rocprim17ROCPRIM_400000_NS6detail17trampoline_kernelINS0_13select_configILj256ELj13ELNS0_17block_load_methodE3ELS4_3ELS4_3ELNS0_20block_scan_algorithmE0ELj4294967295EEENS1_25partition_config_selectorILNS1_17partition_subalgoE4EjNS0_10empty_typeEbEEZZNS1_14partition_implILS8_4ELb0ES6_15HIP_vector_typeIjLj2EENS0_17counting_iteratorIjlEEPS9_SG_NS0_5tupleIJPjSI_NS0_16reverse_iteratorISI_EEEEENSH_IJSG_SG_SG_EEES9_SI_JZNS1_25segmented_radix_sort_implINS0_14default_configELb1EPKbPbPKlPlN2at6native12_GLOBAL__N_18offset_tEEE10hipError_tPvRmT1_PNSt15iterator_traitsIS12_E10value_typeET2_T3_PNS13_IS18_E10value_typeET4_jRbjT5_S1E_jjP12ihipStream_tbEUljE_ZNSN_ISO_Lb1ESQ_SR_ST_SU_SY_EESZ_S10_S11_S12_S16_S17_S18_S1B_S1C_jS1D_jS1E_S1E_jjS1G_bEUljE0_EEESZ_S10_S11_S18_S1C_S1E_T6_T7_T9_mT8_S1G_bDpT10_ENKUlT_T0_E_clISt17integral_constantIbLb1EES1T_IbLb0EEEEDaS1P_S1Q_EUlS1P_E_NS1_11comp_targetILNS1_3genE0ELNS1_11target_archE4294967295ELNS1_3gpuE0ELNS1_3repE0EEENS1_30default_config_static_selectorELNS0_4arch9wavefront6targetE0EEEvS12_, .Lfunc_end1476-_ZN7rocprim17ROCPRIM_400000_NS6detail17trampoline_kernelINS0_13select_configILj256ELj13ELNS0_17block_load_methodE3ELS4_3ELS4_3ELNS0_20block_scan_algorithmE0ELj4294967295EEENS1_25partition_config_selectorILNS1_17partition_subalgoE4EjNS0_10empty_typeEbEEZZNS1_14partition_implILS8_4ELb0ES6_15HIP_vector_typeIjLj2EENS0_17counting_iteratorIjlEEPS9_SG_NS0_5tupleIJPjSI_NS0_16reverse_iteratorISI_EEEEENSH_IJSG_SG_SG_EEES9_SI_JZNS1_25segmented_radix_sort_implINS0_14default_configELb1EPKbPbPKlPlN2at6native12_GLOBAL__N_18offset_tEEE10hipError_tPvRmT1_PNSt15iterator_traitsIS12_E10value_typeET2_T3_PNS13_IS18_E10value_typeET4_jRbjT5_S1E_jjP12ihipStream_tbEUljE_ZNSN_ISO_Lb1ESQ_SR_ST_SU_SY_EESZ_S10_S11_S12_S16_S17_S18_S1B_S1C_jS1D_jS1E_S1E_jjS1G_bEUljE0_EEESZ_S10_S11_S18_S1C_S1E_T6_T7_T9_mT8_S1G_bDpT10_ENKUlT_T0_E_clISt17integral_constantIbLb1EES1T_IbLb0EEEEDaS1P_S1Q_EUlS1P_E_NS1_11comp_targetILNS1_3genE0ELNS1_11target_archE4294967295ELNS1_3gpuE0ELNS1_3repE0EEENS1_30default_config_static_selectorELNS0_4arch9wavefront6targetE0EEEvS12_
                                        ; -- End function
	.set _ZN7rocprim17ROCPRIM_400000_NS6detail17trampoline_kernelINS0_13select_configILj256ELj13ELNS0_17block_load_methodE3ELS4_3ELS4_3ELNS0_20block_scan_algorithmE0ELj4294967295EEENS1_25partition_config_selectorILNS1_17partition_subalgoE4EjNS0_10empty_typeEbEEZZNS1_14partition_implILS8_4ELb0ES6_15HIP_vector_typeIjLj2EENS0_17counting_iteratorIjlEEPS9_SG_NS0_5tupleIJPjSI_NS0_16reverse_iteratorISI_EEEEENSH_IJSG_SG_SG_EEES9_SI_JZNS1_25segmented_radix_sort_implINS0_14default_configELb1EPKbPbPKlPlN2at6native12_GLOBAL__N_18offset_tEEE10hipError_tPvRmT1_PNSt15iterator_traitsIS12_E10value_typeET2_T3_PNS13_IS18_E10value_typeET4_jRbjT5_S1E_jjP12ihipStream_tbEUljE_ZNSN_ISO_Lb1ESQ_SR_ST_SU_SY_EESZ_S10_S11_S12_S16_S17_S18_S1B_S1C_jS1D_jS1E_S1E_jjS1G_bEUljE0_EEESZ_S10_S11_S18_S1C_S1E_T6_T7_T9_mT8_S1G_bDpT10_ENKUlT_T0_E_clISt17integral_constantIbLb1EES1T_IbLb0EEEEDaS1P_S1Q_EUlS1P_E_NS1_11comp_targetILNS1_3genE0ELNS1_11target_archE4294967295ELNS1_3gpuE0ELNS1_3repE0EEENS1_30default_config_static_selectorELNS0_4arch9wavefront6targetE0EEEvS12_.num_vgpr, 0
	.set _ZN7rocprim17ROCPRIM_400000_NS6detail17trampoline_kernelINS0_13select_configILj256ELj13ELNS0_17block_load_methodE3ELS4_3ELS4_3ELNS0_20block_scan_algorithmE0ELj4294967295EEENS1_25partition_config_selectorILNS1_17partition_subalgoE4EjNS0_10empty_typeEbEEZZNS1_14partition_implILS8_4ELb0ES6_15HIP_vector_typeIjLj2EENS0_17counting_iteratorIjlEEPS9_SG_NS0_5tupleIJPjSI_NS0_16reverse_iteratorISI_EEEEENSH_IJSG_SG_SG_EEES9_SI_JZNS1_25segmented_radix_sort_implINS0_14default_configELb1EPKbPbPKlPlN2at6native12_GLOBAL__N_18offset_tEEE10hipError_tPvRmT1_PNSt15iterator_traitsIS12_E10value_typeET2_T3_PNS13_IS18_E10value_typeET4_jRbjT5_S1E_jjP12ihipStream_tbEUljE_ZNSN_ISO_Lb1ESQ_SR_ST_SU_SY_EESZ_S10_S11_S12_S16_S17_S18_S1B_S1C_jS1D_jS1E_S1E_jjS1G_bEUljE0_EEESZ_S10_S11_S18_S1C_S1E_T6_T7_T9_mT8_S1G_bDpT10_ENKUlT_T0_E_clISt17integral_constantIbLb1EES1T_IbLb0EEEEDaS1P_S1Q_EUlS1P_E_NS1_11comp_targetILNS1_3genE0ELNS1_11target_archE4294967295ELNS1_3gpuE0ELNS1_3repE0EEENS1_30default_config_static_selectorELNS0_4arch9wavefront6targetE0EEEvS12_.num_agpr, 0
	.set _ZN7rocprim17ROCPRIM_400000_NS6detail17trampoline_kernelINS0_13select_configILj256ELj13ELNS0_17block_load_methodE3ELS4_3ELS4_3ELNS0_20block_scan_algorithmE0ELj4294967295EEENS1_25partition_config_selectorILNS1_17partition_subalgoE4EjNS0_10empty_typeEbEEZZNS1_14partition_implILS8_4ELb0ES6_15HIP_vector_typeIjLj2EENS0_17counting_iteratorIjlEEPS9_SG_NS0_5tupleIJPjSI_NS0_16reverse_iteratorISI_EEEEENSH_IJSG_SG_SG_EEES9_SI_JZNS1_25segmented_radix_sort_implINS0_14default_configELb1EPKbPbPKlPlN2at6native12_GLOBAL__N_18offset_tEEE10hipError_tPvRmT1_PNSt15iterator_traitsIS12_E10value_typeET2_T3_PNS13_IS18_E10value_typeET4_jRbjT5_S1E_jjP12ihipStream_tbEUljE_ZNSN_ISO_Lb1ESQ_SR_ST_SU_SY_EESZ_S10_S11_S12_S16_S17_S18_S1B_S1C_jS1D_jS1E_S1E_jjS1G_bEUljE0_EEESZ_S10_S11_S18_S1C_S1E_T6_T7_T9_mT8_S1G_bDpT10_ENKUlT_T0_E_clISt17integral_constantIbLb1EES1T_IbLb0EEEEDaS1P_S1Q_EUlS1P_E_NS1_11comp_targetILNS1_3genE0ELNS1_11target_archE4294967295ELNS1_3gpuE0ELNS1_3repE0EEENS1_30default_config_static_selectorELNS0_4arch9wavefront6targetE0EEEvS12_.numbered_sgpr, 0
	.set _ZN7rocprim17ROCPRIM_400000_NS6detail17trampoline_kernelINS0_13select_configILj256ELj13ELNS0_17block_load_methodE3ELS4_3ELS4_3ELNS0_20block_scan_algorithmE0ELj4294967295EEENS1_25partition_config_selectorILNS1_17partition_subalgoE4EjNS0_10empty_typeEbEEZZNS1_14partition_implILS8_4ELb0ES6_15HIP_vector_typeIjLj2EENS0_17counting_iteratorIjlEEPS9_SG_NS0_5tupleIJPjSI_NS0_16reverse_iteratorISI_EEEEENSH_IJSG_SG_SG_EEES9_SI_JZNS1_25segmented_radix_sort_implINS0_14default_configELb1EPKbPbPKlPlN2at6native12_GLOBAL__N_18offset_tEEE10hipError_tPvRmT1_PNSt15iterator_traitsIS12_E10value_typeET2_T3_PNS13_IS18_E10value_typeET4_jRbjT5_S1E_jjP12ihipStream_tbEUljE_ZNSN_ISO_Lb1ESQ_SR_ST_SU_SY_EESZ_S10_S11_S12_S16_S17_S18_S1B_S1C_jS1D_jS1E_S1E_jjS1G_bEUljE0_EEESZ_S10_S11_S18_S1C_S1E_T6_T7_T9_mT8_S1G_bDpT10_ENKUlT_T0_E_clISt17integral_constantIbLb1EES1T_IbLb0EEEEDaS1P_S1Q_EUlS1P_E_NS1_11comp_targetILNS1_3genE0ELNS1_11target_archE4294967295ELNS1_3gpuE0ELNS1_3repE0EEENS1_30default_config_static_selectorELNS0_4arch9wavefront6targetE0EEEvS12_.num_named_barrier, 0
	.set _ZN7rocprim17ROCPRIM_400000_NS6detail17trampoline_kernelINS0_13select_configILj256ELj13ELNS0_17block_load_methodE3ELS4_3ELS4_3ELNS0_20block_scan_algorithmE0ELj4294967295EEENS1_25partition_config_selectorILNS1_17partition_subalgoE4EjNS0_10empty_typeEbEEZZNS1_14partition_implILS8_4ELb0ES6_15HIP_vector_typeIjLj2EENS0_17counting_iteratorIjlEEPS9_SG_NS0_5tupleIJPjSI_NS0_16reverse_iteratorISI_EEEEENSH_IJSG_SG_SG_EEES9_SI_JZNS1_25segmented_radix_sort_implINS0_14default_configELb1EPKbPbPKlPlN2at6native12_GLOBAL__N_18offset_tEEE10hipError_tPvRmT1_PNSt15iterator_traitsIS12_E10value_typeET2_T3_PNS13_IS18_E10value_typeET4_jRbjT5_S1E_jjP12ihipStream_tbEUljE_ZNSN_ISO_Lb1ESQ_SR_ST_SU_SY_EESZ_S10_S11_S12_S16_S17_S18_S1B_S1C_jS1D_jS1E_S1E_jjS1G_bEUljE0_EEESZ_S10_S11_S18_S1C_S1E_T6_T7_T9_mT8_S1G_bDpT10_ENKUlT_T0_E_clISt17integral_constantIbLb1EES1T_IbLb0EEEEDaS1P_S1Q_EUlS1P_E_NS1_11comp_targetILNS1_3genE0ELNS1_11target_archE4294967295ELNS1_3gpuE0ELNS1_3repE0EEENS1_30default_config_static_selectorELNS0_4arch9wavefront6targetE0EEEvS12_.private_seg_size, 0
	.set _ZN7rocprim17ROCPRIM_400000_NS6detail17trampoline_kernelINS0_13select_configILj256ELj13ELNS0_17block_load_methodE3ELS4_3ELS4_3ELNS0_20block_scan_algorithmE0ELj4294967295EEENS1_25partition_config_selectorILNS1_17partition_subalgoE4EjNS0_10empty_typeEbEEZZNS1_14partition_implILS8_4ELb0ES6_15HIP_vector_typeIjLj2EENS0_17counting_iteratorIjlEEPS9_SG_NS0_5tupleIJPjSI_NS0_16reverse_iteratorISI_EEEEENSH_IJSG_SG_SG_EEES9_SI_JZNS1_25segmented_radix_sort_implINS0_14default_configELb1EPKbPbPKlPlN2at6native12_GLOBAL__N_18offset_tEEE10hipError_tPvRmT1_PNSt15iterator_traitsIS12_E10value_typeET2_T3_PNS13_IS18_E10value_typeET4_jRbjT5_S1E_jjP12ihipStream_tbEUljE_ZNSN_ISO_Lb1ESQ_SR_ST_SU_SY_EESZ_S10_S11_S12_S16_S17_S18_S1B_S1C_jS1D_jS1E_S1E_jjS1G_bEUljE0_EEESZ_S10_S11_S18_S1C_S1E_T6_T7_T9_mT8_S1G_bDpT10_ENKUlT_T0_E_clISt17integral_constantIbLb1EES1T_IbLb0EEEEDaS1P_S1Q_EUlS1P_E_NS1_11comp_targetILNS1_3genE0ELNS1_11target_archE4294967295ELNS1_3gpuE0ELNS1_3repE0EEENS1_30default_config_static_selectorELNS0_4arch9wavefront6targetE0EEEvS12_.uses_vcc, 0
	.set _ZN7rocprim17ROCPRIM_400000_NS6detail17trampoline_kernelINS0_13select_configILj256ELj13ELNS0_17block_load_methodE3ELS4_3ELS4_3ELNS0_20block_scan_algorithmE0ELj4294967295EEENS1_25partition_config_selectorILNS1_17partition_subalgoE4EjNS0_10empty_typeEbEEZZNS1_14partition_implILS8_4ELb0ES6_15HIP_vector_typeIjLj2EENS0_17counting_iteratorIjlEEPS9_SG_NS0_5tupleIJPjSI_NS0_16reverse_iteratorISI_EEEEENSH_IJSG_SG_SG_EEES9_SI_JZNS1_25segmented_radix_sort_implINS0_14default_configELb1EPKbPbPKlPlN2at6native12_GLOBAL__N_18offset_tEEE10hipError_tPvRmT1_PNSt15iterator_traitsIS12_E10value_typeET2_T3_PNS13_IS18_E10value_typeET4_jRbjT5_S1E_jjP12ihipStream_tbEUljE_ZNSN_ISO_Lb1ESQ_SR_ST_SU_SY_EESZ_S10_S11_S12_S16_S17_S18_S1B_S1C_jS1D_jS1E_S1E_jjS1G_bEUljE0_EEESZ_S10_S11_S18_S1C_S1E_T6_T7_T9_mT8_S1G_bDpT10_ENKUlT_T0_E_clISt17integral_constantIbLb1EES1T_IbLb0EEEEDaS1P_S1Q_EUlS1P_E_NS1_11comp_targetILNS1_3genE0ELNS1_11target_archE4294967295ELNS1_3gpuE0ELNS1_3repE0EEENS1_30default_config_static_selectorELNS0_4arch9wavefront6targetE0EEEvS12_.uses_flat_scratch, 0
	.set _ZN7rocprim17ROCPRIM_400000_NS6detail17trampoline_kernelINS0_13select_configILj256ELj13ELNS0_17block_load_methodE3ELS4_3ELS4_3ELNS0_20block_scan_algorithmE0ELj4294967295EEENS1_25partition_config_selectorILNS1_17partition_subalgoE4EjNS0_10empty_typeEbEEZZNS1_14partition_implILS8_4ELb0ES6_15HIP_vector_typeIjLj2EENS0_17counting_iteratorIjlEEPS9_SG_NS0_5tupleIJPjSI_NS0_16reverse_iteratorISI_EEEEENSH_IJSG_SG_SG_EEES9_SI_JZNS1_25segmented_radix_sort_implINS0_14default_configELb1EPKbPbPKlPlN2at6native12_GLOBAL__N_18offset_tEEE10hipError_tPvRmT1_PNSt15iterator_traitsIS12_E10value_typeET2_T3_PNS13_IS18_E10value_typeET4_jRbjT5_S1E_jjP12ihipStream_tbEUljE_ZNSN_ISO_Lb1ESQ_SR_ST_SU_SY_EESZ_S10_S11_S12_S16_S17_S18_S1B_S1C_jS1D_jS1E_S1E_jjS1G_bEUljE0_EEESZ_S10_S11_S18_S1C_S1E_T6_T7_T9_mT8_S1G_bDpT10_ENKUlT_T0_E_clISt17integral_constantIbLb1EES1T_IbLb0EEEEDaS1P_S1Q_EUlS1P_E_NS1_11comp_targetILNS1_3genE0ELNS1_11target_archE4294967295ELNS1_3gpuE0ELNS1_3repE0EEENS1_30default_config_static_selectorELNS0_4arch9wavefront6targetE0EEEvS12_.has_dyn_sized_stack, 0
	.set _ZN7rocprim17ROCPRIM_400000_NS6detail17trampoline_kernelINS0_13select_configILj256ELj13ELNS0_17block_load_methodE3ELS4_3ELS4_3ELNS0_20block_scan_algorithmE0ELj4294967295EEENS1_25partition_config_selectorILNS1_17partition_subalgoE4EjNS0_10empty_typeEbEEZZNS1_14partition_implILS8_4ELb0ES6_15HIP_vector_typeIjLj2EENS0_17counting_iteratorIjlEEPS9_SG_NS0_5tupleIJPjSI_NS0_16reverse_iteratorISI_EEEEENSH_IJSG_SG_SG_EEES9_SI_JZNS1_25segmented_radix_sort_implINS0_14default_configELb1EPKbPbPKlPlN2at6native12_GLOBAL__N_18offset_tEEE10hipError_tPvRmT1_PNSt15iterator_traitsIS12_E10value_typeET2_T3_PNS13_IS18_E10value_typeET4_jRbjT5_S1E_jjP12ihipStream_tbEUljE_ZNSN_ISO_Lb1ESQ_SR_ST_SU_SY_EESZ_S10_S11_S12_S16_S17_S18_S1B_S1C_jS1D_jS1E_S1E_jjS1G_bEUljE0_EEESZ_S10_S11_S18_S1C_S1E_T6_T7_T9_mT8_S1G_bDpT10_ENKUlT_T0_E_clISt17integral_constantIbLb1EES1T_IbLb0EEEEDaS1P_S1Q_EUlS1P_E_NS1_11comp_targetILNS1_3genE0ELNS1_11target_archE4294967295ELNS1_3gpuE0ELNS1_3repE0EEENS1_30default_config_static_selectorELNS0_4arch9wavefront6targetE0EEEvS12_.has_recursion, 0
	.set _ZN7rocprim17ROCPRIM_400000_NS6detail17trampoline_kernelINS0_13select_configILj256ELj13ELNS0_17block_load_methodE3ELS4_3ELS4_3ELNS0_20block_scan_algorithmE0ELj4294967295EEENS1_25partition_config_selectorILNS1_17partition_subalgoE4EjNS0_10empty_typeEbEEZZNS1_14partition_implILS8_4ELb0ES6_15HIP_vector_typeIjLj2EENS0_17counting_iteratorIjlEEPS9_SG_NS0_5tupleIJPjSI_NS0_16reverse_iteratorISI_EEEEENSH_IJSG_SG_SG_EEES9_SI_JZNS1_25segmented_radix_sort_implINS0_14default_configELb1EPKbPbPKlPlN2at6native12_GLOBAL__N_18offset_tEEE10hipError_tPvRmT1_PNSt15iterator_traitsIS12_E10value_typeET2_T3_PNS13_IS18_E10value_typeET4_jRbjT5_S1E_jjP12ihipStream_tbEUljE_ZNSN_ISO_Lb1ESQ_SR_ST_SU_SY_EESZ_S10_S11_S12_S16_S17_S18_S1B_S1C_jS1D_jS1E_S1E_jjS1G_bEUljE0_EEESZ_S10_S11_S18_S1C_S1E_T6_T7_T9_mT8_S1G_bDpT10_ENKUlT_T0_E_clISt17integral_constantIbLb1EES1T_IbLb0EEEEDaS1P_S1Q_EUlS1P_E_NS1_11comp_targetILNS1_3genE0ELNS1_11target_archE4294967295ELNS1_3gpuE0ELNS1_3repE0EEENS1_30default_config_static_selectorELNS0_4arch9wavefront6targetE0EEEvS12_.has_indirect_call, 0
	.section	.AMDGPU.csdata,"",@progbits
; Kernel info:
; codeLenInByte = 0
; TotalNumSgprs: 0
; NumVgprs: 0
; ScratchSize: 0
; MemoryBound: 0
; FloatMode: 240
; IeeeMode: 1
; LDSByteSize: 0 bytes/workgroup (compile time only)
; SGPRBlocks: 0
; VGPRBlocks: 0
; NumSGPRsForWavesPerEU: 1
; NumVGPRsForWavesPerEU: 1
; Occupancy: 16
; WaveLimiterHint : 0
; COMPUTE_PGM_RSRC2:SCRATCH_EN: 0
; COMPUTE_PGM_RSRC2:USER_SGPR: 6
; COMPUTE_PGM_RSRC2:TRAP_HANDLER: 0
; COMPUTE_PGM_RSRC2:TGID_X_EN: 1
; COMPUTE_PGM_RSRC2:TGID_Y_EN: 0
; COMPUTE_PGM_RSRC2:TGID_Z_EN: 0
; COMPUTE_PGM_RSRC2:TIDIG_COMP_CNT: 0
	.section	.text._ZN7rocprim17ROCPRIM_400000_NS6detail17trampoline_kernelINS0_13select_configILj256ELj13ELNS0_17block_load_methodE3ELS4_3ELS4_3ELNS0_20block_scan_algorithmE0ELj4294967295EEENS1_25partition_config_selectorILNS1_17partition_subalgoE4EjNS0_10empty_typeEbEEZZNS1_14partition_implILS8_4ELb0ES6_15HIP_vector_typeIjLj2EENS0_17counting_iteratorIjlEEPS9_SG_NS0_5tupleIJPjSI_NS0_16reverse_iteratorISI_EEEEENSH_IJSG_SG_SG_EEES9_SI_JZNS1_25segmented_radix_sort_implINS0_14default_configELb1EPKbPbPKlPlN2at6native12_GLOBAL__N_18offset_tEEE10hipError_tPvRmT1_PNSt15iterator_traitsIS12_E10value_typeET2_T3_PNS13_IS18_E10value_typeET4_jRbjT5_S1E_jjP12ihipStream_tbEUljE_ZNSN_ISO_Lb1ESQ_SR_ST_SU_SY_EESZ_S10_S11_S12_S16_S17_S18_S1B_S1C_jS1D_jS1E_S1E_jjS1G_bEUljE0_EEESZ_S10_S11_S18_S1C_S1E_T6_T7_T9_mT8_S1G_bDpT10_ENKUlT_T0_E_clISt17integral_constantIbLb1EES1T_IbLb0EEEEDaS1P_S1Q_EUlS1P_E_NS1_11comp_targetILNS1_3genE5ELNS1_11target_archE942ELNS1_3gpuE9ELNS1_3repE0EEENS1_30default_config_static_selectorELNS0_4arch9wavefront6targetE0EEEvS12_,"axG",@progbits,_ZN7rocprim17ROCPRIM_400000_NS6detail17trampoline_kernelINS0_13select_configILj256ELj13ELNS0_17block_load_methodE3ELS4_3ELS4_3ELNS0_20block_scan_algorithmE0ELj4294967295EEENS1_25partition_config_selectorILNS1_17partition_subalgoE4EjNS0_10empty_typeEbEEZZNS1_14partition_implILS8_4ELb0ES6_15HIP_vector_typeIjLj2EENS0_17counting_iteratorIjlEEPS9_SG_NS0_5tupleIJPjSI_NS0_16reverse_iteratorISI_EEEEENSH_IJSG_SG_SG_EEES9_SI_JZNS1_25segmented_radix_sort_implINS0_14default_configELb1EPKbPbPKlPlN2at6native12_GLOBAL__N_18offset_tEEE10hipError_tPvRmT1_PNSt15iterator_traitsIS12_E10value_typeET2_T3_PNS13_IS18_E10value_typeET4_jRbjT5_S1E_jjP12ihipStream_tbEUljE_ZNSN_ISO_Lb1ESQ_SR_ST_SU_SY_EESZ_S10_S11_S12_S16_S17_S18_S1B_S1C_jS1D_jS1E_S1E_jjS1G_bEUljE0_EEESZ_S10_S11_S18_S1C_S1E_T6_T7_T9_mT8_S1G_bDpT10_ENKUlT_T0_E_clISt17integral_constantIbLb1EES1T_IbLb0EEEEDaS1P_S1Q_EUlS1P_E_NS1_11comp_targetILNS1_3genE5ELNS1_11target_archE942ELNS1_3gpuE9ELNS1_3repE0EEENS1_30default_config_static_selectorELNS0_4arch9wavefront6targetE0EEEvS12_,comdat
	.globl	_ZN7rocprim17ROCPRIM_400000_NS6detail17trampoline_kernelINS0_13select_configILj256ELj13ELNS0_17block_load_methodE3ELS4_3ELS4_3ELNS0_20block_scan_algorithmE0ELj4294967295EEENS1_25partition_config_selectorILNS1_17partition_subalgoE4EjNS0_10empty_typeEbEEZZNS1_14partition_implILS8_4ELb0ES6_15HIP_vector_typeIjLj2EENS0_17counting_iteratorIjlEEPS9_SG_NS0_5tupleIJPjSI_NS0_16reverse_iteratorISI_EEEEENSH_IJSG_SG_SG_EEES9_SI_JZNS1_25segmented_radix_sort_implINS0_14default_configELb1EPKbPbPKlPlN2at6native12_GLOBAL__N_18offset_tEEE10hipError_tPvRmT1_PNSt15iterator_traitsIS12_E10value_typeET2_T3_PNS13_IS18_E10value_typeET4_jRbjT5_S1E_jjP12ihipStream_tbEUljE_ZNSN_ISO_Lb1ESQ_SR_ST_SU_SY_EESZ_S10_S11_S12_S16_S17_S18_S1B_S1C_jS1D_jS1E_S1E_jjS1G_bEUljE0_EEESZ_S10_S11_S18_S1C_S1E_T6_T7_T9_mT8_S1G_bDpT10_ENKUlT_T0_E_clISt17integral_constantIbLb1EES1T_IbLb0EEEEDaS1P_S1Q_EUlS1P_E_NS1_11comp_targetILNS1_3genE5ELNS1_11target_archE942ELNS1_3gpuE9ELNS1_3repE0EEENS1_30default_config_static_selectorELNS0_4arch9wavefront6targetE0EEEvS12_ ; -- Begin function _ZN7rocprim17ROCPRIM_400000_NS6detail17trampoline_kernelINS0_13select_configILj256ELj13ELNS0_17block_load_methodE3ELS4_3ELS4_3ELNS0_20block_scan_algorithmE0ELj4294967295EEENS1_25partition_config_selectorILNS1_17partition_subalgoE4EjNS0_10empty_typeEbEEZZNS1_14partition_implILS8_4ELb0ES6_15HIP_vector_typeIjLj2EENS0_17counting_iteratorIjlEEPS9_SG_NS0_5tupleIJPjSI_NS0_16reverse_iteratorISI_EEEEENSH_IJSG_SG_SG_EEES9_SI_JZNS1_25segmented_radix_sort_implINS0_14default_configELb1EPKbPbPKlPlN2at6native12_GLOBAL__N_18offset_tEEE10hipError_tPvRmT1_PNSt15iterator_traitsIS12_E10value_typeET2_T3_PNS13_IS18_E10value_typeET4_jRbjT5_S1E_jjP12ihipStream_tbEUljE_ZNSN_ISO_Lb1ESQ_SR_ST_SU_SY_EESZ_S10_S11_S12_S16_S17_S18_S1B_S1C_jS1D_jS1E_S1E_jjS1G_bEUljE0_EEESZ_S10_S11_S18_S1C_S1E_T6_T7_T9_mT8_S1G_bDpT10_ENKUlT_T0_E_clISt17integral_constantIbLb1EES1T_IbLb0EEEEDaS1P_S1Q_EUlS1P_E_NS1_11comp_targetILNS1_3genE5ELNS1_11target_archE942ELNS1_3gpuE9ELNS1_3repE0EEENS1_30default_config_static_selectorELNS0_4arch9wavefront6targetE0EEEvS12_
	.p2align	8
	.type	_ZN7rocprim17ROCPRIM_400000_NS6detail17trampoline_kernelINS0_13select_configILj256ELj13ELNS0_17block_load_methodE3ELS4_3ELS4_3ELNS0_20block_scan_algorithmE0ELj4294967295EEENS1_25partition_config_selectorILNS1_17partition_subalgoE4EjNS0_10empty_typeEbEEZZNS1_14partition_implILS8_4ELb0ES6_15HIP_vector_typeIjLj2EENS0_17counting_iteratorIjlEEPS9_SG_NS0_5tupleIJPjSI_NS0_16reverse_iteratorISI_EEEEENSH_IJSG_SG_SG_EEES9_SI_JZNS1_25segmented_radix_sort_implINS0_14default_configELb1EPKbPbPKlPlN2at6native12_GLOBAL__N_18offset_tEEE10hipError_tPvRmT1_PNSt15iterator_traitsIS12_E10value_typeET2_T3_PNS13_IS18_E10value_typeET4_jRbjT5_S1E_jjP12ihipStream_tbEUljE_ZNSN_ISO_Lb1ESQ_SR_ST_SU_SY_EESZ_S10_S11_S12_S16_S17_S18_S1B_S1C_jS1D_jS1E_S1E_jjS1G_bEUljE0_EEESZ_S10_S11_S18_S1C_S1E_T6_T7_T9_mT8_S1G_bDpT10_ENKUlT_T0_E_clISt17integral_constantIbLb1EES1T_IbLb0EEEEDaS1P_S1Q_EUlS1P_E_NS1_11comp_targetILNS1_3genE5ELNS1_11target_archE942ELNS1_3gpuE9ELNS1_3repE0EEENS1_30default_config_static_selectorELNS0_4arch9wavefront6targetE0EEEvS12_,@function
_ZN7rocprim17ROCPRIM_400000_NS6detail17trampoline_kernelINS0_13select_configILj256ELj13ELNS0_17block_load_methodE3ELS4_3ELS4_3ELNS0_20block_scan_algorithmE0ELj4294967295EEENS1_25partition_config_selectorILNS1_17partition_subalgoE4EjNS0_10empty_typeEbEEZZNS1_14partition_implILS8_4ELb0ES6_15HIP_vector_typeIjLj2EENS0_17counting_iteratorIjlEEPS9_SG_NS0_5tupleIJPjSI_NS0_16reverse_iteratorISI_EEEEENSH_IJSG_SG_SG_EEES9_SI_JZNS1_25segmented_radix_sort_implINS0_14default_configELb1EPKbPbPKlPlN2at6native12_GLOBAL__N_18offset_tEEE10hipError_tPvRmT1_PNSt15iterator_traitsIS12_E10value_typeET2_T3_PNS13_IS18_E10value_typeET4_jRbjT5_S1E_jjP12ihipStream_tbEUljE_ZNSN_ISO_Lb1ESQ_SR_ST_SU_SY_EESZ_S10_S11_S12_S16_S17_S18_S1B_S1C_jS1D_jS1E_S1E_jjS1G_bEUljE0_EEESZ_S10_S11_S18_S1C_S1E_T6_T7_T9_mT8_S1G_bDpT10_ENKUlT_T0_E_clISt17integral_constantIbLb1EES1T_IbLb0EEEEDaS1P_S1Q_EUlS1P_E_NS1_11comp_targetILNS1_3genE5ELNS1_11target_archE942ELNS1_3gpuE9ELNS1_3repE0EEENS1_30default_config_static_selectorELNS0_4arch9wavefront6targetE0EEEvS12_: ; @_ZN7rocprim17ROCPRIM_400000_NS6detail17trampoline_kernelINS0_13select_configILj256ELj13ELNS0_17block_load_methodE3ELS4_3ELS4_3ELNS0_20block_scan_algorithmE0ELj4294967295EEENS1_25partition_config_selectorILNS1_17partition_subalgoE4EjNS0_10empty_typeEbEEZZNS1_14partition_implILS8_4ELb0ES6_15HIP_vector_typeIjLj2EENS0_17counting_iteratorIjlEEPS9_SG_NS0_5tupleIJPjSI_NS0_16reverse_iteratorISI_EEEEENSH_IJSG_SG_SG_EEES9_SI_JZNS1_25segmented_radix_sort_implINS0_14default_configELb1EPKbPbPKlPlN2at6native12_GLOBAL__N_18offset_tEEE10hipError_tPvRmT1_PNSt15iterator_traitsIS12_E10value_typeET2_T3_PNS13_IS18_E10value_typeET4_jRbjT5_S1E_jjP12ihipStream_tbEUljE_ZNSN_ISO_Lb1ESQ_SR_ST_SU_SY_EESZ_S10_S11_S12_S16_S17_S18_S1B_S1C_jS1D_jS1E_S1E_jjS1G_bEUljE0_EEESZ_S10_S11_S18_S1C_S1E_T6_T7_T9_mT8_S1G_bDpT10_ENKUlT_T0_E_clISt17integral_constantIbLb1EES1T_IbLb0EEEEDaS1P_S1Q_EUlS1P_E_NS1_11comp_targetILNS1_3genE5ELNS1_11target_archE942ELNS1_3gpuE9ELNS1_3repE0EEENS1_30default_config_static_selectorELNS0_4arch9wavefront6targetE0EEEvS12_
; %bb.0:
	.section	.rodata,"a",@progbits
	.p2align	6, 0x0
	.amdhsa_kernel _ZN7rocprim17ROCPRIM_400000_NS6detail17trampoline_kernelINS0_13select_configILj256ELj13ELNS0_17block_load_methodE3ELS4_3ELS4_3ELNS0_20block_scan_algorithmE0ELj4294967295EEENS1_25partition_config_selectorILNS1_17partition_subalgoE4EjNS0_10empty_typeEbEEZZNS1_14partition_implILS8_4ELb0ES6_15HIP_vector_typeIjLj2EENS0_17counting_iteratorIjlEEPS9_SG_NS0_5tupleIJPjSI_NS0_16reverse_iteratorISI_EEEEENSH_IJSG_SG_SG_EEES9_SI_JZNS1_25segmented_radix_sort_implINS0_14default_configELb1EPKbPbPKlPlN2at6native12_GLOBAL__N_18offset_tEEE10hipError_tPvRmT1_PNSt15iterator_traitsIS12_E10value_typeET2_T3_PNS13_IS18_E10value_typeET4_jRbjT5_S1E_jjP12ihipStream_tbEUljE_ZNSN_ISO_Lb1ESQ_SR_ST_SU_SY_EESZ_S10_S11_S12_S16_S17_S18_S1B_S1C_jS1D_jS1E_S1E_jjS1G_bEUljE0_EEESZ_S10_S11_S18_S1C_S1E_T6_T7_T9_mT8_S1G_bDpT10_ENKUlT_T0_E_clISt17integral_constantIbLb1EES1T_IbLb0EEEEDaS1P_S1Q_EUlS1P_E_NS1_11comp_targetILNS1_3genE5ELNS1_11target_archE942ELNS1_3gpuE9ELNS1_3repE0EEENS1_30default_config_static_selectorELNS0_4arch9wavefront6targetE0EEEvS12_
		.amdhsa_group_segment_fixed_size 0
		.amdhsa_private_segment_fixed_size 0
		.amdhsa_kernarg_size 176
		.amdhsa_user_sgpr_count 6
		.amdhsa_user_sgpr_private_segment_buffer 1
		.amdhsa_user_sgpr_dispatch_ptr 0
		.amdhsa_user_sgpr_queue_ptr 0
		.amdhsa_user_sgpr_kernarg_segment_ptr 1
		.amdhsa_user_sgpr_dispatch_id 0
		.amdhsa_user_sgpr_flat_scratch_init 0
		.amdhsa_user_sgpr_private_segment_size 0
		.amdhsa_wavefront_size32 1
		.amdhsa_uses_dynamic_stack 0
		.amdhsa_system_sgpr_private_segment_wavefront_offset 0
		.amdhsa_system_sgpr_workgroup_id_x 1
		.amdhsa_system_sgpr_workgroup_id_y 0
		.amdhsa_system_sgpr_workgroup_id_z 0
		.amdhsa_system_sgpr_workgroup_info 0
		.amdhsa_system_vgpr_workitem_id 0
		.amdhsa_next_free_vgpr 1
		.amdhsa_next_free_sgpr 1
		.amdhsa_reserve_vcc 0
		.amdhsa_reserve_flat_scratch 0
		.amdhsa_float_round_mode_32 0
		.amdhsa_float_round_mode_16_64 0
		.amdhsa_float_denorm_mode_32 3
		.amdhsa_float_denorm_mode_16_64 3
		.amdhsa_dx10_clamp 1
		.amdhsa_ieee_mode 1
		.amdhsa_fp16_overflow 0
		.amdhsa_workgroup_processor_mode 1
		.amdhsa_memory_ordered 1
		.amdhsa_forward_progress 1
		.amdhsa_shared_vgpr_count 0
		.amdhsa_exception_fp_ieee_invalid_op 0
		.amdhsa_exception_fp_denorm_src 0
		.amdhsa_exception_fp_ieee_div_zero 0
		.amdhsa_exception_fp_ieee_overflow 0
		.amdhsa_exception_fp_ieee_underflow 0
		.amdhsa_exception_fp_ieee_inexact 0
		.amdhsa_exception_int_div_zero 0
	.end_amdhsa_kernel
	.section	.text._ZN7rocprim17ROCPRIM_400000_NS6detail17trampoline_kernelINS0_13select_configILj256ELj13ELNS0_17block_load_methodE3ELS4_3ELS4_3ELNS0_20block_scan_algorithmE0ELj4294967295EEENS1_25partition_config_selectorILNS1_17partition_subalgoE4EjNS0_10empty_typeEbEEZZNS1_14partition_implILS8_4ELb0ES6_15HIP_vector_typeIjLj2EENS0_17counting_iteratorIjlEEPS9_SG_NS0_5tupleIJPjSI_NS0_16reverse_iteratorISI_EEEEENSH_IJSG_SG_SG_EEES9_SI_JZNS1_25segmented_radix_sort_implINS0_14default_configELb1EPKbPbPKlPlN2at6native12_GLOBAL__N_18offset_tEEE10hipError_tPvRmT1_PNSt15iterator_traitsIS12_E10value_typeET2_T3_PNS13_IS18_E10value_typeET4_jRbjT5_S1E_jjP12ihipStream_tbEUljE_ZNSN_ISO_Lb1ESQ_SR_ST_SU_SY_EESZ_S10_S11_S12_S16_S17_S18_S1B_S1C_jS1D_jS1E_S1E_jjS1G_bEUljE0_EEESZ_S10_S11_S18_S1C_S1E_T6_T7_T9_mT8_S1G_bDpT10_ENKUlT_T0_E_clISt17integral_constantIbLb1EES1T_IbLb0EEEEDaS1P_S1Q_EUlS1P_E_NS1_11comp_targetILNS1_3genE5ELNS1_11target_archE942ELNS1_3gpuE9ELNS1_3repE0EEENS1_30default_config_static_selectorELNS0_4arch9wavefront6targetE0EEEvS12_,"axG",@progbits,_ZN7rocprim17ROCPRIM_400000_NS6detail17trampoline_kernelINS0_13select_configILj256ELj13ELNS0_17block_load_methodE3ELS4_3ELS4_3ELNS0_20block_scan_algorithmE0ELj4294967295EEENS1_25partition_config_selectorILNS1_17partition_subalgoE4EjNS0_10empty_typeEbEEZZNS1_14partition_implILS8_4ELb0ES6_15HIP_vector_typeIjLj2EENS0_17counting_iteratorIjlEEPS9_SG_NS0_5tupleIJPjSI_NS0_16reverse_iteratorISI_EEEEENSH_IJSG_SG_SG_EEES9_SI_JZNS1_25segmented_radix_sort_implINS0_14default_configELb1EPKbPbPKlPlN2at6native12_GLOBAL__N_18offset_tEEE10hipError_tPvRmT1_PNSt15iterator_traitsIS12_E10value_typeET2_T3_PNS13_IS18_E10value_typeET4_jRbjT5_S1E_jjP12ihipStream_tbEUljE_ZNSN_ISO_Lb1ESQ_SR_ST_SU_SY_EESZ_S10_S11_S12_S16_S17_S18_S1B_S1C_jS1D_jS1E_S1E_jjS1G_bEUljE0_EEESZ_S10_S11_S18_S1C_S1E_T6_T7_T9_mT8_S1G_bDpT10_ENKUlT_T0_E_clISt17integral_constantIbLb1EES1T_IbLb0EEEEDaS1P_S1Q_EUlS1P_E_NS1_11comp_targetILNS1_3genE5ELNS1_11target_archE942ELNS1_3gpuE9ELNS1_3repE0EEENS1_30default_config_static_selectorELNS0_4arch9wavefront6targetE0EEEvS12_,comdat
.Lfunc_end1477:
	.size	_ZN7rocprim17ROCPRIM_400000_NS6detail17trampoline_kernelINS0_13select_configILj256ELj13ELNS0_17block_load_methodE3ELS4_3ELS4_3ELNS0_20block_scan_algorithmE0ELj4294967295EEENS1_25partition_config_selectorILNS1_17partition_subalgoE4EjNS0_10empty_typeEbEEZZNS1_14partition_implILS8_4ELb0ES6_15HIP_vector_typeIjLj2EENS0_17counting_iteratorIjlEEPS9_SG_NS0_5tupleIJPjSI_NS0_16reverse_iteratorISI_EEEEENSH_IJSG_SG_SG_EEES9_SI_JZNS1_25segmented_radix_sort_implINS0_14default_configELb1EPKbPbPKlPlN2at6native12_GLOBAL__N_18offset_tEEE10hipError_tPvRmT1_PNSt15iterator_traitsIS12_E10value_typeET2_T3_PNS13_IS18_E10value_typeET4_jRbjT5_S1E_jjP12ihipStream_tbEUljE_ZNSN_ISO_Lb1ESQ_SR_ST_SU_SY_EESZ_S10_S11_S12_S16_S17_S18_S1B_S1C_jS1D_jS1E_S1E_jjS1G_bEUljE0_EEESZ_S10_S11_S18_S1C_S1E_T6_T7_T9_mT8_S1G_bDpT10_ENKUlT_T0_E_clISt17integral_constantIbLb1EES1T_IbLb0EEEEDaS1P_S1Q_EUlS1P_E_NS1_11comp_targetILNS1_3genE5ELNS1_11target_archE942ELNS1_3gpuE9ELNS1_3repE0EEENS1_30default_config_static_selectorELNS0_4arch9wavefront6targetE0EEEvS12_, .Lfunc_end1477-_ZN7rocprim17ROCPRIM_400000_NS6detail17trampoline_kernelINS0_13select_configILj256ELj13ELNS0_17block_load_methodE3ELS4_3ELS4_3ELNS0_20block_scan_algorithmE0ELj4294967295EEENS1_25partition_config_selectorILNS1_17partition_subalgoE4EjNS0_10empty_typeEbEEZZNS1_14partition_implILS8_4ELb0ES6_15HIP_vector_typeIjLj2EENS0_17counting_iteratorIjlEEPS9_SG_NS0_5tupleIJPjSI_NS0_16reverse_iteratorISI_EEEEENSH_IJSG_SG_SG_EEES9_SI_JZNS1_25segmented_radix_sort_implINS0_14default_configELb1EPKbPbPKlPlN2at6native12_GLOBAL__N_18offset_tEEE10hipError_tPvRmT1_PNSt15iterator_traitsIS12_E10value_typeET2_T3_PNS13_IS18_E10value_typeET4_jRbjT5_S1E_jjP12ihipStream_tbEUljE_ZNSN_ISO_Lb1ESQ_SR_ST_SU_SY_EESZ_S10_S11_S12_S16_S17_S18_S1B_S1C_jS1D_jS1E_S1E_jjS1G_bEUljE0_EEESZ_S10_S11_S18_S1C_S1E_T6_T7_T9_mT8_S1G_bDpT10_ENKUlT_T0_E_clISt17integral_constantIbLb1EES1T_IbLb0EEEEDaS1P_S1Q_EUlS1P_E_NS1_11comp_targetILNS1_3genE5ELNS1_11target_archE942ELNS1_3gpuE9ELNS1_3repE0EEENS1_30default_config_static_selectorELNS0_4arch9wavefront6targetE0EEEvS12_
                                        ; -- End function
	.set _ZN7rocprim17ROCPRIM_400000_NS6detail17trampoline_kernelINS0_13select_configILj256ELj13ELNS0_17block_load_methodE3ELS4_3ELS4_3ELNS0_20block_scan_algorithmE0ELj4294967295EEENS1_25partition_config_selectorILNS1_17partition_subalgoE4EjNS0_10empty_typeEbEEZZNS1_14partition_implILS8_4ELb0ES6_15HIP_vector_typeIjLj2EENS0_17counting_iteratorIjlEEPS9_SG_NS0_5tupleIJPjSI_NS0_16reverse_iteratorISI_EEEEENSH_IJSG_SG_SG_EEES9_SI_JZNS1_25segmented_radix_sort_implINS0_14default_configELb1EPKbPbPKlPlN2at6native12_GLOBAL__N_18offset_tEEE10hipError_tPvRmT1_PNSt15iterator_traitsIS12_E10value_typeET2_T3_PNS13_IS18_E10value_typeET4_jRbjT5_S1E_jjP12ihipStream_tbEUljE_ZNSN_ISO_Lb1ESQ_SR_ST_SU_SY_EESZ_S10_S11_S12_S16_S17_S18_S1B_S1C_jS1D_jS1E_S1E_jjS1G_bEUljE0_EEESZ_S10_S11_S18_S1C_S1E_T6_T7_T9_mT8_S1G_bDpT10_ENKUlT_T0_E_clISt17integral_constantIbLb1EES1T_IbLb0EEEEDaS1P_S1Q_EUlS1P_E_NS1_11comp_targetILNS1_3genE5ELNS1_11target_archE942ELNS1_3gpuE9ELNS1_3repE0EEENS1_30default_config_static_selectorELNS0_4arch9wavefront6targetE0EEEvS12_.num_vgpr, 0
	.set _ZN7rocprim17ROCPRIM_400000_NS6detail17trampoline_kernelINS0_13select_configILj256ELj13ELNS0_17block_load_methodE3ELS4_3ELS4_3ELNS0_20block_scan_algorithmE0ELj4294967295EEENS1_25partition_config_selectorILNS1_17partition_subalgoE4EjNS0_10empty_typeEbEEZZNS1_14partition_implILS8_4ELb0ES6_15HIP_vector_typeIjLj2EENS0_17counting_iteratorIjlEEPS9_SG_NS0_5tupleIJPjSI_NS0_16reverse_iteratorISI_EEEEENSH_IJSG_SG_SG_EEES9_SI_JZNS1_25segmented_radix_sort_implINS0_14default_configELb1EPKbPbPKlPlN2at6native12_GLOBAL__N_18offset_tEEE10hipError_tPvRmT1_PNSt15iterator_traitsIS12_E10value_typeET2_T3_PNS13_IS18_E10value_typeET4_jRbjT5_S1E_jjP12ihipStream_tbEUljE_ZNSN_ISO_Lb1ESQ_SR_ST_SU_SY_EESZ_S10_S11_S12_S16_S17_S18_S1B_S1C_jS1D_jS1E_S1E_jjS1G_bEUljE0_EEESZ_S10_S11_S18_S1C_S1E_T6_T7_T9_mT8_S1G_bDpT10_ENKUlT_T0_E_clISt17integral_constantIbLb1EES1T_IbLb0EEEEDaS1P_S1Q_EUlS1P_E_NS1_11comp_targetILNS1_3genE5ELNS1_11target_archE942ELNS1_3gpuE9ELNS1_3repE0EEENS1_30default_config_static_selectorELNS0_4arch9wavefront6targetE0EEEvS12_.num_agpr, 0
	.set _ZN7rocprim17ROCPRIM_400000_NS6detail17trampoline_kernelINS0_13select_configILj256ELj13ELNS0_17block_load_methodE3ELS4_3ELS4_3ELNS0_20block_scan_algorithmE0ELj4294967295EEENS1_25partition_config_selectorILNS1_17partition_subalgoE4EjNS0_10empty_typeEbEEZZNS1_14partition_implILS8_4ELb0ES6_15HIP_vector_typeIjLj2EENS0_17counting_iteratorIjlEEPS9_SG_NS0_5tupleIJPjSI_NS0_16reverse_iteratorISI_EEEEENSH_IJSG_SG_SG_EEES9_SI_JZNS1_25segmented_radix_sort_implINS0_14default_configELb1EPKbPbPKlPlN2at6native12_GLOBAL__N_18offset_tEEE10hipError_tPvRmT1_PNSt15iterator_traitsIS12_E10value_typeET2_T3_PNS13_IS18_E10value_typeET4_jRbjT5_S1E_jjP12ihipStream_tbEUljE_ZNSN_ISO_Lb1ESQ_SR_ST_SU_SY_EESZ_S10_S11_S12_S16_S17_S18_S1B_S1C_jS1D_jS1E_S1E_jjS1G_bEUljE0_EEESZ_S10_S11_S18_S1C_S1E_T6_T7_T9_mT8_S1G_bDpT10_ENKUlT_T0_E_clISt17integral_constantIbLb1EES1T_IbLb0EEEEDaS1P_S1Q_EUlS1P_E_NS1_11comp_targetILNS1_3genE5ELNS1_11target_archE942ELNS1_3gpuE9ELNS1_3repE0EEENS1_30default_config_static_selectorELNS0_4arch9wavefront6targetE0EEEvS12_.numbered_sgpr, 0
	.set _ZN7rocprim17ROCPRIM_400000_NS6detail17trampoline_kernelINS0_13select_configILj256ELj13ELNS0_17block_load_methodE3ELS4_3ELS4_3ELNS0_20block_scan_algorithmE0ELj4294967295EEENS1_25partition_config_selectorILNS1_17partition_subalgoE4EjNS0_10empty_typeEbEEZZNS1_14partition_implILS8_4ELb0ES6_15HIP_vector_typeIjLj2EENS0_17counting_iteratorIjlEEPS9_SG_NS0_5tupleIJPjSI_NS0_16reverse_iteratorISI_EEEEENSH_IJSG_SG_SG_EEES9_SI_JZNS1_25segmented_radix_sort_implINS0_14default_configELb1EPKbPbPKlPlN2at6native12_GLOBAL__N_18offset_tEEE10hipError_tPvRmT1_PNSt15iterator_traitsIS12_E10value_typeET2_T3_PNS13_IS18_E10value_typeET4_jRbjT5_S1E_jjP12ihipStream_tbEUljE_ZNSN_ISO_Lb1ESQ_SR_ST_SU_SY_EESZ_S10_S11_S12_S16_S17_S18_S1B_S1C_jS1D_jS1E_S1E_jjS1G_bEUljE0_EEESZ_S10_S11_S18_S1C_S1E_T6_T7_T9_mT8_S1G_bDpT10_ENKUlT_T0_E_clISt17integral_constantIbLb1EES1T_IbLb0EEEEDaS1P_S1Q_EUlS1P_E_NS1_11comp_targetILNS1_3genE5ELNS1_11target_archE942ELNS1_3gpuE9ELNS1_3repE0EEENS1_30default_config_static_selectorELNS0_4arch9wavefront6targetE0EEEvS12_.num_named_barrier, 0
	.set _ZN7rocprim17ROCPRIM_400000_NS6detail17trampoline_kernelINS0_13select_configILj256ELj13ELNS0_17block_load_methodE3ELS4_3ELS4_3ELNS0_20block_scan_algorithmE0ELj4294967295EEENS1_25partition_config_selectorILNS1_17partition_subalgoE4EjNS0_10empty_typeEbEEZZNS1_14partition_implILS8_4ELb0ES6_15HIP_vector_typeIjLj2EENS0_17counting_iteratorIjlEEPS9_SG_NS0_5tupleIJPjSI_NS0_16reverse_iteratorISI_EEEEENSH_IJSG_SG_SG_EEES9_SI_JZNS1_25segmented_radix_sort_implINS0_14default_configELb1EPKbPbPKlPlN2at6native12_GLOBAL__N_18offset_tEEE10hipError_tPvRmT1_PNSt15iterator_traitsIS12_E10value_typeET2_T3_PNS13_IS18_E10value_typeET4_jRbjT5_S1E_jjP12ihipStream_tbEUljE_ZNSN_ISO_Lb1ESQ_SR_ST_SU_SY_EESZ_S10_S11_S12_S16_S17_S18_S1B_S1C_jS1D_jS1E_S1E_jjS1G_bEUljE0_EEESZ_S10_S11_S18_S1C_S1E_T6_T7_T9_mT8_S1G_bDpT10_ENKUlT_T0_E_clISt17integral_constantIbLb1EES1T_IbLb0EEEEDaS1P_S1Q_EUlS1P_E_NS1_11comp_targetILNS1_3genE5ELNS1_11target_archE942ELNS1_3gpuE9ELNS1_3repE0EEENS1_30default_config_static_selectorELNS0_4arch9wavefront6targetE0EEEvS12_.private_seg_size, 0
	.set _ZN7rocprim17ROCPRIM_400000_NS6detail17trampoline_kernelINS0_13select_configILj256ELj13ELNS0_17block_load_methodE3ELS4_3ELS4_3ELNS0_20block_scan_algorithmE0ELj4294967295EEENS1_25partition_config_selectorILNS1_17partition_subalgoE4EjNS0_10empty_typeEbEEZZNS1_14partition_implILS8_4ELb0ES6_15HIP_vector_typeIjLj2EENS0_17counting_iteratorIjlEEPS9_SG_NS0_5tupleIJPjSI_NS0_16reverse_iteratorISI_EEEEENSH_IJSG_SG_SG_EEES9_SI_JZNS1_25segmented_radix_sort_implINS0_14default_configELb1EPKbPbPKlPlN2at6native12_GLOBAL__N_18offset_tEEE10hipError_tPvRmT1_PNSt15iterator_traitsIS12_E10value_typeET2_T3_PNS13_IS18_E10value_typeET4_jRbjT5_S1E_jjP12ihipStream_tbEUljE_ZNSN_ISO_Lb1ESQ_SR_ST_SU_SY_EESZ_S10_S11_S12_S16_S17_S18_S1B_S1C_jS1D_jS1E_S1E_jjS1G_bEUljE0_EEESZ_S10_S11_S18_S1C_S1E_T6_T7_T9_mT8_S1G_bDpT10_ENKUlT_T0_E_clISt17integral_constantIbLb1EES1T_IbLb0EEEEDaS1P_S1Q_EUlS1P_E_NS1_11comp_targetILNS1_3genE5ELNS1_11target_archE942ELNS1_3gpuE9ELNS1_3repE0EEENS1_30default_config_static_selectorELNS0_4arch9wavefront6targetE0EEEvS12_.uses_vcc, 0
	.set _ZN7rocprim17ROCPRIM_400000_NS6detail17trampoline_kernelINS0_13select_configILj256ELj13ELNS0_17block_load_methodE3ELS4_3ELS4_3ELNS0_20block_scan_algorithmE0ELj4294967295EEENS1_25partition_config_selectorILNS1_17partition_subalgoE4EjNS0_10empty_typeEbEEZZNS1_14partition_implILS8_4ELb0ES6_15HIP_vector_typeIjLj2EENS0_17counting_iteratorIjlEEPS9_SG_NS0_5tupleIJPjSI_NS0_16reverse_iteratorISI_EEEEENSH_IJSG_SG_SG_EEES9_SI_JZNS1_25segmented_radix_sort_implINS0_14default_configELb1EPKbPbPKlPlN2at6native12_GLOBAL__N_18offset_tEEE10hipError_tPvRmT1_PNSt15iterator_traitsIS12_E10value_typeET2_T3_PNS13_IS18_E10value_typeET4_jRbjT5_S1E_jjP12ihipStream_tbEUljE_ZNSN_ISO_Lb1ESQ_SR_ST_SU_SY_EESZ_S10_S11_S12_S16_S17_S18_S1B_S1C_jS1D_jS1E_S1E_jjS1G_bEUljE0_EEESZ_S10_S11_S18_S1C_S1E_T6_T7_T9_mT8_S1G_bDpT10_ENKUlT_T0_E_clISt17integral_constantIbLb1EES1T_IbLb0EEEEDaS1P_S1Q_EUlS1P_E_NS1_11comp_targetILNS1_3genE5ELNS1_11target_archE942ELNS1_3gpuE9ELNS1_3repE0EEENS1_30default_config_static_selectorELNS0_4arch9wavefront6targetE0EEEvS12_.uses_flat_scratch, 0
	.set _ZN7rocprim17ROCPRIM_400000_NS6detail17trampoline_kernelINS0_13select_configILj256ELj13ELNS0_17block_load_methodE3ELS4_3ELS4_3ELNS0_20block_scan_algorithmE0ELj4294967295EEENS1_25partition_config_selectorILNS1_17partition_subalgoE4EjNS0_10empty_typeEbEEZZNS1_14partition_implILS8_4ELb0ES6_15HIP_vector_typeIjLj2EENS0_17counting_iteratorIjlEEPS9_SG_NS0_5tupleIJPjSI_NS0_16reverse_iteratorISI_EEEEENSH_IJSG_SG_SG_EEES9_SI_JZNS1_25segmented_radix_sort_implINS0_14default_configELb1EPKbPbPKlPlN2at6native12_GLOBAL__N_18offset_tEEE10hipError_tPvRmT1_PNSt15iterator_traitsIS12_E10value_typeET2_T3_PNS13_IS18_E10value_typeET4_jRbjT5_S1E_jjP12ihipStream_tbEUljE_ZNSN_ISO_Lb1ESQ_SR_ST_SU_SY_EESZ_S10_S11_S12_S16_S17_S18_S1B_S1C_jS1D_jS1E_S1E_jjS1G_bEUljE0_EEESZ_S10_S11_S18_S1C_S1E_T6_T7_T9_mT8_S1G_bDpT10_ENKUlT_T0_E_clISt17integral_constantIbLb1EES1T_IbLb0EEEEDaS1P_S1Q_EUlS1P_E_NS1_11comp_targetILNS1_3genE5ELNS1_11target_archE942ELNS1_3gpuE9ELNS1_3repE0EEENS1_30default_config_static_selectorELNS0_4arch9wavefront6targetE0EEEvS12_.has_dyn_sized_stack, 0
	.set _ZN7rocprim17ROCPRIM_400000_NS6detail17trampoline_kernelINS0_13select_configILj256ELj13ELNS0_17block_load_methodE3ELS4_3ELS4_3ELNS0_20block_scan_algorithmE0ELj4294967295EEENS1_25partition_config_selectorILNS1_17partition_subalgoE4EjNS0_10empty_typeEbEEZZNS1_14partition_implILS8_4ELb0ES6_15HIP_vector_typeIjLj2EENS0_17counting_iteratorIjlEEPS9_SG_NS0_5tupleIJPjSI_NS0_16reverse_iteratorISI_EEEEENSH_IJSG_SG_SG_EEES9_SI_JZNS1_25segmented_radix_sort_implINS0_14default_configELb1EPKbPbPKlPlN2at6native12_GLOBAL__N_18offset_tEEE10hipError_tPvRmT1_PNSt15iterator_traitsIS12_E10value_typeET2_T3_PNS13_IS18_E10value_typeET4_jRbjT5_S1E_jjP12ihipStream_tbEUljE_ZNSN_ISO_Lb1ESQ_SR_ST_SU_SY_EESZ_S10_S11_S12_S16_S17_S18_S1B_S1C_jS1D_jS1E_S1E_jjS1G_bEUljE0_EEESZ_S10_S11_S18_S1C_S1E_T6_T7_T9_mT8_S1G_bDpT10_ENKUlT_T0_E_clISt17integral_constantIbLb1EES1T_IbLb0EEEEDaS1P_S1Q_EUlS1P_E_NS1_11comp_targetILNS1_3genE5ELNS1_11target_archE942ELNS1_3gpuE9ELNS1_3repE0EEENS1_30default_config_static_selectorELNS0_4arch9wavefront6targetE0EEEvS12_.has_recursion, 0
	.set _ZN7rocprim17ROCPRIM_400000_NS6detail17trampoline_kernelINS0_13select_configILj256ELj13ELNS0_17block_load_methodE3ELS4_3ELS4_3ELNS0_20block_scan_algorithmE0ELj4294967295EEENS1_25partition_config_selectorILNS1_17partition_subalgoE4EjNS0_10empty_typeEbEEZZNS1_14partition_implILS8_4ELb0ES6_15HIP_vector_typeIjLj2EENS0_17counting_iteratorIjlEEPS9_SG_NS0_5tupleIJPjSI_NS0_16reverse_iteratorISI_EEEEENSH_IJSG_SG_SG_EEES9_SI_JZNS1_25segmented_radix_sort_implINS0_14default_configELb1EPKbPbPKlPlN2at6native12_GLOBAL__N_18offset_tEEE10hipError_tPvRmT1_PNSt15iterator_traitsIS12_E10value_typeET2_T3_PNS13_IS18_E10value_typeET4_jRbjT5_S1E_jjP12ihipStream_tbEUljE_ZNSN_ISO_Lb1ESQ_SR_ST_SU_SY_EESZ_S10_S11_S12_S16_S17_S18_S1B_S1C_jS1D_jS1E_S1E_jjS1G_bEUljE0_EEESZ_S10_S11_S18_S1C_S1E_T6_T7_T9_mT8_S1G_bDpT10_ENKUlT_T0_E_clISt17integral_constantIbLb1EES1T_IbLb0EEEEDaS1P_S1Q_EUlS1P_E_NS1_11comp_targetILNS1_3genE5ELNS1_11target_archE942ELNS1_3gpuE9ELNS1_3repE0EEENS1_30default_config_static_selectorELNS0_4arch9wavefront6targetE0EEEvS12_.has_indirect_call, 0
	.section	.AMDGPU.csdata,"",@progbits
; Kernel info:
; codeLenInByte = 0
; TotalNumSgprs: 0
; NumVgprs: 0
; ScratchSize: 0
; MemoryBound: 0
; FloatMode: 240
; IeeeMode: 1
; LDSByteSize: 0 bytes/workgroup (compile time only)
; SGPRBlocks: 0
; VGPRBlocks: 0
; NumSGPRsForWavesPerEU: 1
; NumVGPRsForWavesPerEU: 1
; Occupancy: 16
; WaveLimiterHint : 0
; COMPUTE_PGM_RSRC2:SCRATCH_EN: 0
; COMPUTE_PGM_RSRC2:USER_SGPR: 6
; COMPUTE_PGM_RSRC2:TRAP_HANDLER: 0
; COMPUTE_PGM_RSRC2:TGID_X_EN: 1
; COMPUTE_PGM_RSRC2:TGID_Y_EN: 0
; COMPUTE_PGM_RSRC2:TGID_Z_EN: 0
; COMPUTE_PGM_RSRC2:TIDIG_COMP_CNT: 0
	.section	.text._ZN7rocprim17ROCPRIM_400000_NS6detail17trampoline_kernelINS0_13select_configILj256ELj13ELNS0_17block_load_methodE3ELS4_3ELS4_3ELNS0_20block_scan_algorithmE0ELj4294967295EEENS1_25partition_config_selectorILNS1_17partition_subalgoE4EjNS0_10empty_typeEbEEZZNS1_14partition_implILS8_4ELb0ES6_15HIP_vector_typeIjLj2EENS0_17counting_iteratorIjlEEPS9_SG_NS0_5tupleIJPjSI_NS0_16reverse_iteratorISI_EEEEENSH_IJSG_SG_SG_EEES9_SI_JZNS1_25segmented_radix_sort_implINS0_14default_configELb1EPKbPbPKlPlN2at6native12_GLOBAL__N_18offset_tEEE10hipError_tPvRmT1_PNSt15iterator_traitsIS12_E10value_typeET2_T3_PNS13_IS18_E10value_typeET4_jRbjT5_S1E_jjP12ihipStream_tbEUljE_ZNSN_ISO_Lb1ESQ_SR_ST_SU_SY_EESZ_S10_S11_S12_S16_S17_S18_S1B_S1C_jS1D_jS1E_S1E_jjS1G_bEUljE0_EEESZ_S10_S11_S18_S1C_S1E_T6_T7_T9_mT8_S1G_bDpT10_ENKUlT_T0_E_clISt17integral_constantIbLb1EES1T_IbLb0EEEEDaS1P_S1Q_EUlS1P_E_NS1_11comp_targetILNS1_3genE4ELNS1_11target_archE910ELNS1_3gpuE8ELNS1_3repE0EEENS1_30default_config_static_selectorELNS0_4arch9wavefront6targetE0EEEvS12_,"axG",@progbits,_ZN7rocprim17ROCPRIM_400000_NS6detail17trampoline_kernelINS0_13select_configILj256ELj13ELNS0_17block_load_methodE3ELS4_3ELS4_3ELNS0_20block_scan_algorithmE0ELj4294967295EEENS1_25partition_config_selectorILNS1_17partition_subalgoE4EjNS0_10empty_typeEbEEZZNS1_14partition_implILS8_4ELb0ES6_15HIP_vector_typeIjLj2EENS0_17counting_iteratorIjlEEPS9_SG_NS0_5tupleIJPjSI_NS0_16reverse_iteratorISI_EEEEENSH_IJSG_SG_SG_EEES9_SI_JZNS1_25segmented_radix_sort_implINS0_14default_configELb1EPKbPbPKlPlN2at6native12_GLOBAL__N_18offset_tEEE10hipError_tPvRmT1_PNSt15iterator_traitsIS12_E10value_typeET2_T3_PNS13_IS18_E10value_typeET4_jRbjT5_S1E_jjP12ihipStream_tbEUljE_ZNSN_ISO_Lb1ESQ_SR_ST_SU_SY_EESZ_S10_S11_S12_S16_S17_S18_S1B_S1C_jS1D_jS1E_S1E_jjS1G_bEUljE0_EEESZ_S10_S11_S18_S1C_S1E_T6_T7_T9_mT8_S1G_bDpT10_ENKUlT_T0_E_clISt17integral_constantIbLb1EES1T_IbLb0EEEEDaS1P_S1Q_EUlS1P_E_NS1_11comp_targetILNS1_3genE4ELNS1_11target_archE910ELNS1_3gpuE8ELNS1_3repE0EEENS1_30default_config_static_selectorELNS0_4arch9wavefront6targetE0EEEvS12_,comdat
	.globl	_ZN7rocprim17ROCPRIM_400000_NS6detail17trampoline_kernelINS0_13select_configILj256ELj13ELNS0_17block_load_methodE3ELS4_3ELS4_3ELNS0_20block_scan_algorithmE0ELj4294967295EEENS1_25partition_config_selectorILNS1_17partition_subalgoE4EjNS0_10empty_typeEbEEZZNS1_14partition_implILS8_4ELb0ES6_15HIP_vector_typeIjLj2EENS0_17counting_iteratorIjlEEPS9_SG_NS0_5tupleIJPjSI_NS0_16reverse_iteratorISI_EEEEENSH_IJSG_SG_SG_EEES9_SI_JZNS1_25segmented_radix_sort_implINS0_14default_configELb1EPKbPbPKlPlN2at6native12_GLOBAL__N_18offset_tEEE10hipError_tPvRmT1_PNSt15iterator_traitsIS12_E10value_typeET2_T3_PNS13_IS18_E10value_typeET4_jRbjT5_S1E_jjP12ihipStream_tbEUljE_ZNSN_ISO_Lb1ESQ_SR_ST_SU_SY_EESZ_S10_S11_S12_S16_S17_S18_S1B_S1C_jS1D_jS1E_S1E_jjS1G_bEUljE0_EEESZ_S10_S11_S18_S1C_S1E_T6_T7_T9_mT8_S1G_bDpT10_ENKUlT_T0_E_clISt17integral_constantIbLb1EES1T_IbLb0EEEEDaS1P_S1Q_EUlS1P_E_NS1_11comp_targetILNS1_3genE4ELNS1_11target_archE910ELNS1_3gpuE8ELNS1_3repE0EEENS1_30default_config_static_selectorELNS0_4arch9wavefront6targetE0EEEvS12_ ; -- Begin function _ZN7rocprim17ROCPRIM_400000_NS6detail17trampoline_kernelINS0_13select_configILj256ELj13ELNS0_17block_load_methodE3ELS4_3ELS4_3ELNS0_20block_scan_algorithmE0ELj4294967295EEENS1_25partition_config_selectorILNS1_17partition_subalgoE4EjNS0_10empty_typeEbEEZZNS1_14partition_implILS8_4ELb0ES6_15HIP_vector_typeIjLj2EENS0_17counting_iteratorIjlEEPS9_SG_NS0_5tupleIJPjSI_NS0_16reverse_iteratorISI_EEEEENSH_IJSG_SG_SG_EEES9_SI_JZNS1_25segmented_radix_sort_implINS0_14default_configELb1EPKbPbPKlPlN2at6native12_GLOBAL__N_18offset_tEEE10hipError_tPvRmT1_PNSt15iterator_traitsIS12_E10value_typeET2_T3_PNS13_IS18_E10value_typeET4_jRbjT5_S1E_jjP12ihipStream_tbEUljE_ZNSN_ISO_Lb1ESQ_SR_ST_SU_SY_EESZ_S10_S11_S12_S16_S17_S18_S1B_S1C_jS1D_jS1E_S1E_jjS1G_bEUljE0_EEESZ_S10_S11_S18_S1C_S1E_T6_T7_T9_mT8_S1G_bDpT10_ENKUlT_T0_E_clISt17integral_constantIbLb1EES1T_IbLb0EEEEDaS1P_S1Q_EUlS1P_E_NS1_11comp_targetILNS1_3genE4ELNS1_11target_archE910ELNS1_3gpuE8ELNS1_3repE0EEENS1_30default_config_static_selectorELNS0_4arch9wavefront6targetE0EEEvS12_
	.p2align	8
	.type	_ZN7rocprim17ROCPRIM_400000_NS6detail17trampoline_kernelINS0_13select_configILj256ELj13ELNS0_17block_load_methodE3ELS4_3ELS4_3ELNS0_20block_scan_algorithmE0ELj4294967295EEENS1_25partition_config_selectorILNS1_17partition_subalgoE4EjNS0_10empty_typeEbEEZZNS1_14partition_implILS8_4ELb0ES6_15HIP_vector_typeIjLj2EENS0_17counting_iteratorIjlEEPS9_SG_NS0_5tupleIJPjSI_NS0_16reverse_iteratorISI_EEEEENSH_IJSG_SG_SG_EEES9_SI_JZNS1_25segmented_radix_sort_implINS0_14default_configELb1EPKbPbPKlPlN2at6native12_GLOBAL__N_18offset_tEEE10hipError_tPvRmT1_PNSt15iterator_traitsIS12_E10value_typeET2_T3_PNS13_IS18_E10value_typeET4_jRbjT5_S1E_jjP12ihipStream_tbEUljE_ZNSN_ISO_Lb1ESQ_SR_ST_SU_SY_EESZ_S10_S11_S12_S16_S17_S18_S1B_S1C_jS1D_jS1E_S1E_jjS1G_bEUljE0_EEESZ_S10_S11_S18_S1C_S1E_T6_T7_T9_mT8_S1G_bDpT10_ENKUlT_T0_E_clISt17integral_constantIbLb1EES1T_IbLb0EEEEDaS1P_S1Q_EUlS1P_E_NS1_11comp_targetILNS1_3genE4ELNS1_11target_archE910ELNS1_3gpuE8ELNS1_3repE0EEENS1_30default_config_static_selectorELNS0_4arch9wavefront6targetE0EEEvS12_,@function
_ZN7rocprim17ROCPRIM_400000_NS6detail17trampoline_kernelINS0_13select_configILj256ELj13ELNS0_17block_load_methodE3ELS4_3ELS4_3ELNS0_20block_scan_algorithmE0ELj4294967295EEENS1_25partition_config_selectorILNS1_17partition_subalgoE4EjNS0_10empty_typeEbEEZZNS1_14partition_implILS8_4ELb0ES6_15HIP_vector_typeIjLj2EENS0_17counting_iteratorIjlEEPS9_SG_NS0_5tupleIJPjSI_NS0_16reverse_iteratorISI_EEEEENSH_IJSG_SG_SG_EEES9_SI_JZNS1_25segmented_radix_sort_implINS0_14default_configELb1EPKbPbPKlPlN2at6native12_GLOBAL__N_18offset_tEEE10hipError_tPvRmT1_PNSt15iterator_traitsIS12_E10value_typeET2_T3_PNS13_IS18_E10value_typeET4_jRbjT5_S1E_jjP12ihipStream_tbEUljE_ZNSN_ISO_Lb1ESQ_SR_ST_SU_SY_EESZ_S10_S11_S12_S16_S17_S18_S1B_S1C_jS1D_jS1E_S1E_jjS1G_bEUljE0_EEESZ_S10_S11_S18_S1C_S1E_T6_T7_T9_mT8_S1G_bDpT10_ENKUlT_T0_E_clISt17integral_constantIbLb1EES1T_IbLb0EEEEDaS1P_S1Q_EUlS1P_E_NS1_11comp_targetILNS1_3genE4ELNS1_11target_archE910ELNS1_3gpuE8ELNS1_3repE0EEENS1_30default_config_static_selectorELNS0_4arch9wavefront6targetE0EEEvS12_: ; @_ZN7rocprim17ROCPRIM_400000_NS6detail17trampoline_kernelINS0_13select_configILj256ELj13ELNS0_17block_load_methodE3ELS4_3ELS4_3ELNS0_20block_scan_algorithmE0ELj4294967295EEENS1_25partition_config_selectorILNS1_17partition_subalgoE4EjNS0_10empty_typeEbEEZZNS1_14partition_implILS8_4ELb0ES6_15HIP_vector_typeIjLj2EENS0_17counting_iteratorIjlEEPS9_SG_NS0_5tupleIJPjSI_NS0_16reverse_iteratorISI_EEEEENSH_IJSG_SG_SG_EEES9_SI_JZNS1_25segmented_radix_sort_implINS0_14default_configELb1EPKbPbPKlPlN2at6native12_GLOBAL__N_18offset_tEEE10hipError_tPvRmT1_PNSt15iterator_traitsIS12_E10value_typeET2_T3_PNS13_IS18_E10value_typeET4_jRbjT5_S1E_jjP12ihipStream_tbEUljE_ZNSN_ISO_Lb1ESQ_SR_ST_SU_SY_EESZ_S10_S11_S12_S16_S17_S18_S1B_S1C_jS1D_jS1E_S1E_jjS1G_bEUljE0_EEESZ_S10_S11_S18_S1C_S1E_T6_T7_T9_mT8_S1G_bDpT10_ENKUlT_T0_E_clISt17integral_constantIbLb1EES1T_IbLb0EEEEDaS1P_S1Q_EUlS1P_E_NS1_11comp_targetILNS1_3genE4ELNS1_11target_archE910ELNS1_3gpuE8ELNS1_3repE0EEENS1_30default_config_static_selectorELNS0_4arch9wavefront6targetE0EEEvS12_
; %bb.0:
	.section	.rodata,"a",@progbits
	.p2align	6, 0x0
	.amdhsa_kernel _ZN7rocprim17ROCPRIM_400000_NS6detail17trampoline_kernelINS0_13select_configILj256ELj13ELNS0_17block_load_methodE3ELS4_3ELS4_3ELNS0_20block_scan_algorithmE0ELj4294967295EEENS1_25partition_config_selectorILNS1_17partition_subalgoE4EjNS0_10empty_typeEbEEZZNS1_14partition_implILS8_4ELb0ES6_15HIP_vector_typeIjLj2EENS0_17counting_iteratorIjlEEPS9_SG_NS0_5tupleIJPjSI_NS0_16reverse_iteratorISI_EEEEENSH_IJSG_SG_SG_EEES9_SI_JZNS1_25segmented_radix_sort_implINS0_14default_configELb1EPKbPbPKlPlN2at6native12_GLOBAL__N_18offset_tEEE10hipError_tPvRmT1_PNSt15iterator_traitsIS12_E10value_typeET2_T3_PNS13_IS18_E10value_typeET4_jRbjT5_S1E_jjP12ihipStream_tbEUljE_ZNSN_ISO_Lb1ESQ_SR_ST_SU_SY_EESZ_S10_S11_S12_S16_S17_S18_S1B_S1C_jS1D_jS1E_S1E_jjS1G_bEUljE0_EEESZ_S10_S11_S18_S1C_S1E_T6_T7_T9_mT8_S1G_bDpT10_ENKUlT_T0_E_clISt17integral_constantIbLb1EES1T_IbLb0EEEEDaS1P_S1Q_EUlS1P_E_NS1_11comp_targetILNS1_3genE4ELNS1_11target_archE910ELNS1_3gpuE8ELNS1_3repE0EEENS1_30default_config_static_selectorELNS0_4arch9wavefront6targetE0EEEvS12_
		.amdhsa_group_segment_fixed_size 0
		.amdhsa_private_segment_fixed_size 0
		.amdhsa_kernarg_size 176
		.amdhsa_user_sgpr_count 6
		.amdhsa_user_sgpr_private_segment_buffer 1
		.amdhsa_user_sgpr_dispatch_ptr 0
		.amdhsa_user_sgpr_queue_ptr 0
		.amdhsa_user_sgpr_kernarg_segment_ptr 1
		.amdhsa_user_sgpr_dispatch_id 0
		.amdhsa_user_sgpr_flat_scratch_init 0
		.amdhsa_user_sgpr_private_segment_size 0
		.amdhsa_wavefront_size32 1
		.amdhsa_uses_dynamic_stack 0
		.amdhsa_system_sgpr_private_segment_wavefront_offset 0
		.amdhsa_system_sgpr_workgroup_id_x 1
		.amdhsa_system_sgpr_workgroup_id_y 0
		.amdhsa_system_sgpr_workgroup_id_z 0
		.amdhsa_system_sgpr_workgroup_info 0
		.amdhsa_system_vgpr_workitem_id 0
		.amdhsa_next_free_vgpr 1
		.amdhsa_next_free_sgpr 1
		.amdhsa_reserve_vcc 0
		.amdhsa_reserve_flat_scratch 0
		.amdhsa_float_round_mode_32 0
		.amdhsa_float_round_mode_16_64 0
		.amdhsa_float_denorm_mode_32 3
		.amdhsa_float_denorm_mode_16_64 3
		.amdhsa_dx10_clamp 1
		.amdhsa_ieee_mode 1
		.amdhsa_fp16_overflow 0
		.amdhsa_workgroup_processor_mode 1
		.amdhsa_memory_ordered 1
		.amdhsa_forward_progress 1
		.amdhsa_shared_vgpr_count 0
		.amdhsa_exception_fp_ieee_invalid_op 0
		.amdhsa_exception_fp_denorm_src 0
		.amdhsa_exception_fp_ieee_div_zero 0
		.amdhsa_exception_fp_ieee_overflow 0
		.amdhsa_exception_fp_ieee_underflow 0
		.amdhsa_exception_fp_ieee_inexact 0
		.amdhsa_exception_int_div_zero 0
	.end_amdhsa_kernel
	.section	.text._ZN7rocprim17ROCPRIM_400000_NS6detail17trampoline_kernelINS0_13select_configILj256ELj13ELNS0_17block_load_methodE3ELS4_3ELS4_3ELNS0_20block_scan_algorithmE0ELj4294967295EEENS1_25partition_config_selectorILNS1_17partition_subalgoE4EjNS0_10empty_typeEbEEZZNS1_14partition_implILS8_4ELb0ES6_15HIP_vector_typeIjLj2EENS0_17counting_iteratorIjlEEPS9_SG_NS0_5tupleIJPjSI_NS0_16reverse_iteratorISI_EEEEENSH_IJSG_SG_SG_EEES9_SI_JZNS1_25segmented_radix_sort_implINS0_14default_configELb1EPKbPbPKlPlN2at6native12_GLOBAL__N_18offset_tEEE10hipError_tPvRmT1_PNSt15iterator_traitsIS12_E10value_typeET2_T3_PNS13_IS18_E10value_typeET4_jRbjT5_S1E_jjP12ihipStream_tbEUljE_ZNSN_ISO_Lb1ESQ_SR_ST_SU_SY_EESZ_S10_S11_S12_S16_S17_S18_S1B_S1C_jS1D_jS1E_S1E_jjS1G_bEUljE0_EEESZ_S10_S11_S18_S1C_S1E_T6_T7_T9_mT8_S1G_bDpT10_ENKUlT_T0_E_clISt17integral_constantIbLb1EES1T_IbLb0EEEEDaS1P_S1Q_EUlS1P_E_NS1_11comp_targetILNS1_3genE4ELNS1_11target_archE910ELNS1_3gpuE8ELNS1_3repE0EEENS1_30default_config_static_selectorELNS0_4arch9wavefront6targetE0EEEvS12_,"axG",@progbits,_ZN7rocprim17ROCPRIM_400000_NS6detail17trampoline_kernelINS0_13select_configILj256ELj13ELNS0_17block_load_methodE3ELS4_3ELS4_3ELNS0_20block_scan_algorithmE0ELj4294967295EEENS1_25partition_config_selectorILNS1_17partition_subalgoE4EjNS0_10empty_typeEbEEZZNS1_14partition_implILS8_4ELb0ES6_15HIP_vector_typeIjLj2EENS0_17counting_iteratorIjlEEPS9_SG_NS0_5tupleIJPjSI_NS0_16reverse_iteratorISI_EEEEENSH_IJSG_SG_SG_EEES9_SI_JZNS1_25segmented_radix_sort_implINS0_14default_configELb1EPKbPbPKlPlN2at6native12_GLOBAL__N_18offset_tEEE10hipError_tPvRmT1_PNSt15iterator_traitsIS12_E10value_typeET2_T3_PNS13_IS18_E10value_typeET4_jRbjT5_S1E_jjP12ihipStream_tbEUljE_ZNSN_ISO_Lb1ESQ_SR_ST_SU_SY_EESZ_S10_S11_S12_S16_S17_S18_S1B_S1C_jS1D_jS1E_S1E_jjS1G_bEUljE0_EEESZ_S10_S11_S18_S1C_S1E_T6_T7_T9_mT8_S1G_bDpT10_ENKUlT_T0_E_clISt17integral_constantIbLb1EES1T_IbLb0EEEEDaS1P_S1Q_EUlS1P_E_NS1_11comp_targetILNS1_3genE4ELNS1_11target_archE910ELNS1_3gpuE8ELNS1_3repE0EEENS1_30default_config_static_selectorELNS0_4arch9wavefront6targetE0EEEvS12_,comdat
.Lfunc_end1478:
	.size	_ZN7rocprim17ROCPRIM_400000_NS6detail17trampoline_kernelINS0_13select_configILj256ELj13ELNS0_17block_load_methodE3ELS4_3ELS4_3ELNS0_20block_scan_algorithmE0ELj4294967295EEENS1_25partition_config_selectorILNS1_17partition_subalgoE4EjNS0_10empty_typeEbEEZZNS1_14partition_implILS8_4ELb0ES6_15HIP_vector_typeIjLj2EENS0_17counting_iteratorIjlEEPS9_SG_NS0_5tupleIJPjSI_NS0_16reverse_iteratorISI_EEEEENSH_IJSG_SG_SG_EEES9_SI_JZNS1_25segmented_radix_sort_implINS0_14default_configELb1EPKbPbPKlPlN2at6native12_GLOBAL__N_18offset_tEEE10hipError_tPvRmT1_PNSt15iterator_traitsIS12_E10value_typeET2_T3_PNS13_IS18_E10value_typeET4_jRbjT5_S1E_jjP12ihipStream_tbEUljE_ZNSN_ISO_Lb1ESQ_SR_ST_SU_SY_EESZ_S10_S11_S12_S16_S17_S18_S1B_S1C_jS1D_jS1E_S1E_jjS1G_bEUljE0_EEESZ_S10_S11_S18_S1C_S1E_T6_T7_T9_mT8_S1G_bDpT10_ENKUlT_T0_E_clISt17integral_constantIbLb1EES1T_IbLb0EEEEDaS1P_S1Q_EUlS1P_E_NS1_11comp_targetILNS1_3genE4ELNS1_11target_archE910ELNS1_3gpuE8ELNS1_3repE0EEENS1_30default_config_static_selectorELNS0_4arch9wavefront6targetE0EEEvS12_, .Lfunc_end1478-_ZN7rocprim17ROCPRIM_400000_NS6detail17trampoline_kernelINS0_13select_configILj256ELj13ELNS0_17block_load_methodE3ELS4_3ELS4_3ELNS0_20block_scan_algorithmE0ELj4294967295EEENS1_25partition_config_selectorILNS1_17partition_subalgoE4EjNS0_10empty_typeEbEEZZNS1_14partition_implILS8_4ELb0ES6_15HIP_vector_typeIjLj2EENS0_17counting_iteratorIjlEEPS9_SG_NS0_5tupleIJPjSI_NS0_16reverse_iteratorISI_EEEEENSH_IJSG_SG_SG_EEES9_SI_JZNS1_25segmented_radix_sort_implINS0_14default_configELb1EPKbPbPKlPlN2at6native12_GLOBAL__N_18offset_tEEE10hipError_tPvRmT1_PNSt15iterator_traitsIS12_E10value_typeET2_T3_PNS13_IS18_E10value_typeET4_jRbjT5_S1E_jjP12ihipStream_tbEUljE_ZNSN_ISO_Lb1ESQ_SR_ST_SU_SY_EESZ_S10_S11_S12_S16_S17_S18_S1B_S1C_jS1D_jS1E_S1E_jjS1G_bEUljE0_EEESZ_S10_S11_S18_S1C_S1E_T6_T7_T9_mT8_S1G_bDpT10_ENKUlT_T0_E_clISt17integral_constantIbLb1EES1T_IbLb0EEEEDaS1P_S1Q_EUlS1P_E_NS1_11comp_targetILNS1_3genE4ELNS1_11target_archE910ELNS1_3gpuE8ELNS1_3repE0EEENS1_30default_config_static_selectorELNS0_4arch9wavefront6targetE0EEEvS12_
                                        ; -- End function
	.set _ZN7rocprim17ROCPRIM_400000_NS6detail17trampoline_kernelINS0_13select_configILj256ELj13ELNS0_17block_load_methodE3ELS4_3ELS4_3ELNS0_20block_scan_algorithmE0ELj4294967295EEENS1_25partition_config_selectorILNS1_17partition_subalgoE4EjNS0_10empty_typeEbEEZZNS1_14partition_implILS8_4ELb0ES6_15HIP_vector_typeIjLj2EENS0_17counting_iteratorIjlEEPS9_SG_NS0_5tupleIJPjSI_NS0_16reverse_iteratorISI_EEEEENSH_IJSG_SG_SG_EEES9_SI_JZNS1_25segmented_radix_sort_implINS0_14default_configELb1EPKbPbPKlPlN2at6native12_GLOBAL__N_18offset_tEEE10hipError_tPvRmT1_PNSt15iterator_traitsIS12_E10value_typeET2_T3_PNS13_IS18_E10value_typeET4_jRbjT5_S1E_jjP12ihipStream_tbEUljE_ZNSN_ISO_Lb1ESQ_SR_ST_SU_SY_EESZ_S10_S11_S12_S16_S17_S18_S1B_S1C_jS1D_jS1E_S1E_jjS1G_bEUljE0_EEESZ_S10_S11_S18_S1C_S1E_T6_T7_T9_mT8_S1G_bDpT10_ENKUlT_T0_E_clISt17integral_constantIbLb1EES1T_IbLb0EEEEDaS1P_S1Q_EUlS1P_E_NS1_11comp_targetILNS1_3genE4ELNS1_11target_archE910ELNS1_3gpuE8ELNS1_3repE0EEENS1_30default_config_static_selectorELNS0_4arch9wavefront6targetE0EEEvS12_.num_vgpr, 0
	.set _ZN7rocprim17ROCPRIM_400000_NS6detail17trampoline_kernelINS0_13select_configILj256ELj13ELNS0_17block_load_methodE3ELS4_3ELS4_3ELNS0_20block_scan_algorithmE0ELj4294967295EEENS1_25partition_config_selectorILNS1_17partition_subalgoE4EjNS0_10empty_typeEbEEZZNS1_14partition_implILS8_4ELb0ES6_15HIP_vector_typeIjLj2EENS0_17counting_iteratorIjlEEPS9_SG_NS0_5tupleIJPjSI_NS0_16reverse_iteratorISI_EEEEENSH_IJSG_SG_SG_EEES9_SI_JZNS1_25segmented_radix_sort_implINS0_14default_configELb1EPKbPbPKlPlN2at6native12_GLOBAL__N_18offset_tEEE10hipError_tPvRmT1_PNSt15iterator_traitsIS12_E10value_typeET2_T3_PNS13_IS18_E10value_typeET4_jRbjT5_S1E_jjP12ihipStream_tbEUljE_ZNSN_ISO_Lb1ESQ_SR_ST_SU_SY_EESZ_S10_S11_S12_S16_S17_S18_S1B_S1C_jS1D_jS1E_S1E_jjS1G_bEUljE0_EEESZ_S10_S11_S18_S1C_S1E_T6_T7_T9_mT8_S1G_bDpT10_ENKUlT_T0_E_clISt17integral_constantIbLb1EES1T_IbLb0EEEEDaS1P_S1Q_EUlS1P_E_NS1_11comp_targetILNS1_3genE4ELNS1_11target_archE910ELNS1_3gpuE8ELNS1_3repE0EEENS1_30default_config_static_selectorELNS0_4arch9wavefront6targetE0EEEvS12_.num_agpr, 0
	.set _ZN7rocprim17ROCPRIM_400000_NS6detail17trampoline_kernelINS0_13select_configILj256ELj13ELNS0_17block_load_methodE3ELS4_3ELS4_3ELNS0_20block_scan_algorithmE0ELj4294967295EEENS1_25partition_config_selectorILNS1_17partition_subalgoE4EjNS0_10empty_typeEbEEZZNS1_14partition_implILS8_4ELb0ES6_15HIP_vector_typeIjLj2EENS0_17counting_iteratorIjlEEPS9_SG_NS0_5tupleIJPjSI_NS0_16reverse_iteratorISI_EEEEENSH_IJSG_SG_SG_EEES9_SI_JZNS1_25segmented_radix_sort_implINS0_14default_configELb1EPKbPbPKlPlN2at6native12_GLOBAL__N_18offset_tEEE10hipError_tPvRmT1_PNSt15iterator_traitsIS12_E10value_typeET2_T3_PNS13_IS18_E10value_typeET4_jRbjT5_S1E_jjP12ihipStream_tbEUljE_ZNSN_ISO_Lb1ESQ_SR_ST_SU_SY_EESZ_S10_S11_S12_S16_S17_S18_S1B_S1C_jS1D_jS1E_S1E_jjS1G_bEUljE0_EEESZ_S10_S11_S18_S1C_S1E_T6_T7_T9_mT8_S1G_bDpT10_ENKUlT_T0_E_clISt17integral_constantIbLb1EES1T_IbLb0EEEEDaS1P_S1Q_EUlS1P_E_NS1_11comp_targetILNS1_3genE4ELNS1_11target_archE910ELNS1_3gpuE8ELNS1_3repE0EEENS1_30default_config_static_selectorELNS0_4arch9wavefront6targetE0EEEvS12_.numbered_sgpr, 0
	.set _ZN7rocprim17ROCPRIM_400000_NS6detail17trampoline_kernelINS0_13select_configILj256ELj13ELNS0_17block_load_methodE3ELS4_3ELS4_3ELNS0_20block_scan_algorithmE0ELj4294967295EEENS1_25partition_config_selectorILNS1_17partition_subalgoE4EjNS0_10empty_typeEbEEZZNS1_14partition_implILS8_4ELb0ES6_15HIP_vector_typeIjLj2EENS0_17counting_iteratorIjlEEPS9_SG_NS0_5tupleIJPjSI_NS0_16reverse_iteratorISI_EEEEENSH_IJSG_SG_SG_EEES9_SI_JZNS1_25segmented_radix_sort_implINS0_14default_configELb1EPKbPbPKlPlN2at6native12_GLOBAL__N_18offset_tEEE10hipError_tPvRmT1_PNSt15iterator_traitsIS12_E10value_typeET2_T3_PNS13_IS18_E10value_typeET4_jRbjT5_S1E_jjP12ihipStream_tbEUljE_ZNSN_ISO_Lb1ESQ_SR_ST_SU_SY_EESZ_S10_S11_S12_S16_S17_S18_S1B_S1C_jS1D_jS1E_S1E_jjS1G_bEUljE0_EEESZ_S10_S11_S18_S1C_S1E_T6_T7_T9_mT8_S1G_bDpT10_ENKUlT_T0_E_clISt17integral_constantIbLb1EES1T_IbLb0EEEEDaS1P_S1Q_EUlS1P_E_NS1_11comp_targetILNS1_3genE4ELNS1_11target_archE910ELNS1_3gpuE8ELNS1_3repE0EEENS1_30default_config_static_selectorELNS0_4arch9wavefront6targetE0EEEvS12_.num_named_barrier, 0
	.set _ZN7rocprim17ROCPRIM_400000_NS6detail17trampoline_kernelINS0_13select_configILj256ELj13ELNS0_17block_load_methodE3ELS4_3ELS4_3ELNS0_20block_scan_algorithmE0ELj4294967295EEENS1_25partition_config_selectorILNS1_17partition_subalgoE4EjNS0_10empty_typeEbEEZZNS1_14partition_implILS8_4ELb0ES6_15HIP_vector_typeIjLj2EENS0_17counting_iteratorIjlEEPS9_SG_NS0_5tupleIJPjSI_NS0_16reverse_iteratorISI_EEEEENSH_IJSG_SG_SG_EEES9_SI_JZNS1_25segmented_radix_sort_implINS0_14default_configELb1EPKbPbPKlPlN2at6native12_GLOBAL__N_18offset_tEEE10hipError_tPvRmT1_PNSt15iterator_traitsIS12_E10value_typeET2_T3_PNS13_IS18_E10value_typeET4_jRbjT5_S1E_jjP12ihipStream_tbEUljE_ZNSN_ISO_Lb1ESQ_SR_ST_SU_SY_EESZ_S10_S11_S12_S16_S17_S18_S1B_S1C_jS1D_jS1E_S1E_jjS1G_bEUljE0_EEESZ_S10_S11_S18_S1C_S1E_T6_T7_T9_mT8_S1G_bDpT10_ENKUlT_T0_E_clISt17integral_constantIbLb1EES1T_IbLb0EEEEDaS1P_S1Q_EUlS1P_E_NS1_11comp_targetILNS1_3genE4ELNS1_11target_archE910ELNS1_3gpuE8ELNS1_3repE0EEENS1_30default_config_static_selectorELNS0_4arch9wavefront6targetE0EEEvS12_.private_seg_size, 0
	.set _ZN7rocprim17ROCPRIM_400000_NS6detail17trampoline_kernelINS0_13select_configILj256ELj13ELNS0_17block_load_methodE3ELS4_3ELS4_3ELNS0_20block_scan_algorithmE0ELj4294967295EEENS1_25partition_config_selectorILNS1_17partition_subalgoE4EjNS0_10empty_typeEbEEZZNS1_14partition_implILS8_4ELb0ES6_15HIP_vector_typeIjLj2EENS0_17counting_iteratorIjlEEPS9_SG_NS0_5tupleIJPjSI_NS0_16reverse_iteratorISI_EEEEENSH_IJSG_SG_SG_EEES9_SI_JZNS1_25segmented_radix_sort_implINS0_14default_configELb1EPKbPbPKlPlN2at6native12_GLOBAL__N_18offset_tEEE10hipError_tPvRmT1_PNSt15iterator_traitsIS12_E10value_typeET2_T3_PNS13_IS18_E10value_typeET4_jRbjT5_S1E_jjP12ihipStream_tbEUljE_ZNSN_ISO_Lb1ESQ_SR_ST_SU_SY_EESZ_S10_S11_S12_S16_S17_S18_S1B_S1C_jS1D_jS1E_S1E_jjS1G_bEUljE0_EEESZ_S10_S11_S18_S1C_S1E_T6_T7_T9_mT8_S1G_bDpT10_ENKUlT_T0_E_clISt17integral_constantIbLb1EES1T_IbLb0EEEEDaS1P_S1Q_EUlS1P_E_NS1_11comp_targetILNS1_3genE4ELNS1_11target_archE910ELNS1_3gpuE8ELNS1_3repE0EEENS1_30default_config_static_selectorELNS0_4arch9wavefront6targetE0EEEvS12_.uses_vcc, 0
	.set _ZN7rocprim17ROCPRIM_400000_NS6detail17trampoline_kernelINS0_13select_configILj256ELj13ELNS0_17block_load_methodE3ELS4_3ELS4_3ELNS0_20block_scan_algorithmE0ELj4294967295EEENS1_25partition_config_selectorILNS1_17partition_subalgoE4EjNS0_10empty_typeEbEEZZNS1_14partition_implILS8_4ELb0ES6_15HIP_vector_typeIjLj2EENS0_17counting_iteratorIjlEEPS9_SG_NS0_5tupleIJPjSI_NS0_16reverse_iteratorISI_EEEEENSH_IJSG_SG_SG_EEES9_SI_JZNS1_25segmented_radix_sort_implINS0_14default_configELb1EPKbPbPKlPlN2at6native12_GLOBAL__N_18offset_tEEE10hipError_tPvRmT1_PNSt15iterator_traitsIS12_E10value_typeET2_T3_PNS13_IS18_E10value_typeET4_jRbjT5_S1E_jjP12ihipStream_tbEUljE_ZNSN_ISO_Lb1ESQ_SR_ST_SU_SY_EESZ_S10_S11_S12_S16_S17_S18_S1B_S1C_jS1D_jS1E_S1E_jjS1G_bEUljE0_EEESZ_S10_S11_S18_S1C_S1E_T6_T7_T9_mT8_S1G_bDpT10_ENKUlT_T0_E_clISt17integral_constantIbLb1EES1T_IbLb0EEEEDaS1P_S1Q_EUlS1P_E_NS1_11comp_targetILNS1_3genE4ELNS1_11target_archE910ELNS1_3gpuE8ELNS1_3repE0EEENS1_30default_config_static_selectorELNS0_4arch9wavefront6targetE0EEEvS12_.uses_flat_scratch, 0
	.set _ZN7rocprim17ROCPRIM_400000_NS6detail17trampoline_kernelINS0_13select_configILj256ELj13ELNS0_17block_load_methodE3ELS4_3ELS4_3ELNS0_20block_scan_algorithmE0ELj4294967295EEENS1_25partition_config_selectorILNS1_17partition_subalgoE4EjNS0_10empty_typeEbEEZZNS1_14partition_implILS8_4ELb0ES6_15HIP_vector_typeIjLj2EENS0_17counting_iteratorIjlEEPS9_SG_NS0_5tupleIJPjSI_NS0_16reverse_iteratorISI_EEEEENSH_IJSG_SG_SG_EEES9_SI_JZNS1_25segmented_radix_sort_implINS0_14default_configELb1EPKbPbPKlPlN2at6native12_GLOBAL__N_18offset_tEEE10hipError_tPvRmT1_PNSt15iterator_traitsIS12_E10value_typeET2_T3_PNS13_IS18_E10value_typeET4_jRbjT5_S1E_jjP12ihipStream_tbEUljE_ZNSN_ISO_Lb1ESQ_SR_ST_SU_SY_EESZ_S10_S11_S12_S16_S17_S18_S1B_S1C_jS1D_jS1E_S1E_jjS1G_bEUljE0_EEESZ_S10_S11_S18_S1C_S1E_T6_T7_T9_mT8_S1G_bDpT10_ENKUlT_T0_E_clISt17integral_constantIbLb1EES1T_IbLb0EEEEDaS1P_S1Q_EUlS1P_E_NS1_11comp_targetILNS1_3genE4ELNS1_11target_archE910ELNS1_3gpuE8ELNS1_3repE0EEENS1_30default_config_static_selectorELNS0_4arch9wavefront6targetE0EEEvS12_.has_dyn_sized_stack, 0
	.set _ZN7rocprim17ROCPRIM_400000_NS6detail17trampoline_kernelINS0_13select_configILj256ELj13ELNS0_17block_load_methodE3ELS4_3ELS4_3ELNS0_20block_scan_algorithmE0ELj4294967295EEENS1_25partition_config_selectorILNS1_17partition_subalgoE4EjNS0_10empty_typeEbEEZZNS1_14partition_implILS8_4ELb0ES6_15HIP_vector_typeIjLj2EENS0_17counting_iteratorIjlEEPS9_SG_NS0_5tupleIJPjSI_NS0_16reverse_iteratorISI_EEEEENSH_IJSG_SG_SG_EEES9_SI_JZNS1_25segmented_radix_sort_implINS0_14default_configELb1EPKbPbPKlPlN2at6native12_GLOBAL__N_18offset_tEEE10hipError_tPvRmT1_PNSt15iterator_traitsIS12_E10value_typeET2_T3_PNS13_IS18_E10value_typeET4_jRbjT5_S1E_jjP12ihipStream_tbEUljE_ZNSN_ISO_Lb1ESQ_SR_ST_SU_SY_EESZ_S10_S11_S12_S16_S17_S18_S1B_S1C_jS1D_jS1E_S1E_jjS1G_bEUljE0_EEESZ_S10_S11_S18_S1C_S1E_T6_T7_T9_mT8_S1G_bDpT10_ENKUlT_T0_E_clISt17integral_constantIbLb1EES1T_IbLb0EEEEDaS1P_S1Q_EUlS1P_E_NS1_11comp_targetILNS1_3genE4ELNS1_11target_archE910ELNS1_3gpuE8ELNS1_3repE0EEENS1_30default_config_static_selectorELNS0_4arch9wavefront6targetE0EEEvS12_.has_recursion, 0
	.set _ZN7rocprim17ROCPRIM_400000_NS6detail17trampoline_kernelINS0_13select_configILj256ELj13ELNS0_17block_load_methodE3ELS4_3ELS4_3ELNS0_20block_scan_algorithmE0ELj4294967295EEENS1_25partition_config_selectorILNS1_17partition_subalgoE4EjNS0_10empty_typeEbEEZZNS1_14partition_implILS8_4ELb0ES6_15HIP_vector_typeIjLj2EENS0_17counting_iteratorIjlEEPS9_SG_NS0_5tupleIJPjSI_NS0_16reverse_iteratorISI_EEEEENSH_IJSG_SG_SG_EEES9_SI_JZNS1_25segmented_radix_sort_implINS0_14default_configELb1EPKbPbPKlPlN2at6native12_GLOBAL__N_18offset_tEEE10hipError_tPvRmT1_PNSt15iterator_traitsIS12_E10value_typeET2_T3_PNS13_IS18_E10value_typeET4_jRbjT5_S1E_jjP12ihipStream_tbEUljE_ZNSN_ISO_Lb1ESQ_SR_ST_SU_SY_EESZ_S10_S11_S12_S16_S17_S18_S1B_S1C_jS1D_jS1E_S1E_jjS1G_bEUljE0_EEESZ_S10_S11_S18_S1C_S1E_T6_T7_T9_mT8_S1G_bDpT10_ENKUlT_T0_E_clISt17integral_constantIbLb1EES1T_IbLb0EEEEDaS1P_S1Q_EUlS1P_E_NS1_11comp_targetILNS1_3genE4ELNS1_11target_archE910ELNS1_3gpuE8ELNS1_3repE0EEENS1_30default_config_static_selectorELNS0_4arch9wavefront6targetE0EEEvS12_.has_indirect_call, 0
	.section	.AMDGPU.csdata,"",@progbits
; Kernel info:
; codeLenInByte = 0
; TotalNumSgprs: 0
; NumVgprs: 0
; ScratchSize: 0
; MemoryBound: 0
; FloatMode: 240
; IeeeMode: 1
; LDSByteSize: 0 bytes/workgroup (compile time only)
; SGPRBlocks: 0
; VGPRBlocks: 0
; NumSGPRsForWavesPerEU: 1
; NumVGPRsForWavesPerEU: 1
; Occupancy: 16
; WaveLimiterHint : 0
; COMPUTE_PGM_RSRC2:SCRATCH_EN: 0
; COMPUTE_PGM_RSRC2:USER_SGPR: 6
; COMPUTE_PGM_RSRC2:TRAP_HANDLER: 0
; COMPUTE_PGM_RSRC2:TGID_X_EN: 1
; COMPUTE_PGM_RSRC2:TGID_Y_EN: 0
; COMPUTE_PGM_RSRC2:TGID_Z_EN: 0
; COMPUTE_PGM_RSRC2:TIDIG_COMP_CNT: 0
	.section	.text._ZN7rocprim17ROCPRIM_400000_NS6detail17trampoline_kernelINS0_13select_configILj256ELj13ELNS0_17block_load_methodE3ELS4_3ELS4_3ELNS0_20block_scan_algorithmE0ELj4294967295EEENS1_25partition_config_selectorILNS1_17partition_subalgoE4EjNS0_10empty_typeEbEEZZNS1_14partition_implILS8_4ELb0ES6_15HIP_vector_typeIjLj2EENS0_17counting_iteratorIjlEEPS9_SG_NS0_5tupleIJPjSI_NS0_16reverse_iteratorISI_EEEEENSH_IJSG_SG_SG_EEES9_SI_JZNS1_25segmented_radix_sort_implINS0_14default_configELb1EPKbPbPKlPlN2at6native12_GLOBAL__N_18offset_tEEE10hipError_tPvRmT1_PNSt15iterator_traitsIS12_E10value_typeET2_T3_PNS13_IS18_E10value_typeET4_jRbjT5_S1E_jjP12ihipStream_tbEUljE_ZNSN_ISO_Lb1ESQ_SR_ST_SU_SY_EESZ_S10_S11_S12_S16_S17_S18_S1B_S1C_jS1D_jS1E_S1E_jjS1G_bEUljE0_EEESZ_S10_S11_S18_S1C_S1E_T6_T7_T9_mT8_S1G_bDpT10_ENKUlT_T0_E_clISt17integral_constantIbLb1EES1T_IbLb0EEEEDaS1P_S1Q_EUlS1P_E_NS1_11comp_targetILNS1_3genE3ELNS1_11target_archE908ELNS1_3gpuE7ELNS1_3repE0EEENS1_30default_config_static_selectorELNS0_4arch9wavefront6targetE0EEEvS12_,"axG",@progbits,_ZN7rocprim17ROCPRIM_400000_NS6detail17trampoline_kernelINS0_13select_configILj256ELj13ELNS0_17block_load_methodE3ELS4_3ELS4_3ELNS0_20block_scan_algorithmE0ELj4294967295EEENS1_25partition_config_selectorILNS1_17partition_subalgoE4EjNS0_10empty_typeEbEEZZNS1_14partition_implILS8_4ELb0ES6_15HIP_vector_typeIjLj2EENS0_17counting_iteratorIjlEEPS9_SG_NS0_5tupleIJPjSI_NS0_16reverse_iteratorISI_EEEEENSH_IJSG_SG_SG_EEES9_SI_JZNS1_25segmented_radix_sort_implINS0_14default_configELb1EPKbPbPKlPlN2at6native12_GLOBAL__N_18offset_tEEE10hipError_tPvRmT1_PNSt15iterator_traitsIS12_E10value_typeET2_T3_PNS13_IS18_E10value_typeET4_jRbjT5_S1E_jjP12ihipStream_tbEUljE_ZNSN_ISO_Lb1ESQ_SR_ST_SU_SY_EESZ_S10_S11_S12_S16_S17_S18_S1B_S1C_jS1D_jS1E_S1E_jjS1G_bEUljE0_EEESZ_S10_S11_S18_S1C_S1E_T6_T7_T9_mT8_S1G_bDpT10_ENKUlT_T0_E_clISt17integral_constantIbLb1EES1T_IbLb0EEEEDaS1P_S1Q_EUlS1P_E_NS1_11comp_targetILNS1_3genE3ELNS1_11target_archE908ELNS1_3gpuE7ELNS1_3repE0EEENS1_30default_config_static_selectorELNS0_4arch9wavefront6targetE0EEEvS12_,comdat
	.globl	_ZN7rocprim17ROCPRIM_400000_NS6detail17trampoline_kernelINS0_13select_configILj256ELj13ELNS0_17block_load_methodE3ELS4_3ELS4_3ELNS0_20block_scan_algorithmE0ELj4294967295EEENS1_25partition_config_selectorILNS1_17partition_subalgoE4EjNS0_10empty_typeEbEEZZNS1_14partition_implILS8_4ELb0ES6_15HIP_vector_typeIjLj2EENS0_17counting_iteratorIjlEEPS9_SG_NS0_5tupleIJPjSI_NS0_16reverse_iteratorISI_EEEEENSH_IJSG_SG_SG_EEES9_SI_JZNS1_25segmented_radix_sort_implINS0_14default_configELb1EPKbPbPKlPlN2at6native12_GLOBAL__N_18offset_tEEE10hipError_tPvRmT1_PNSt15iterator_traitsIS12_E10value_typeET2_T3_PNS13_IS18_E10value_typeET4_jRbjT5_S1E_jjP12ihipStream_tbEUljE_ZNSN_ISO_Lb1ESQ_SR_ST_SU_SY_EESZ_S10_S11_S12_S16_S17_S18_S1B_S1C_jS1D_jS1E_S1E_jjS1G_bEUljE0_EEESZ_S10_S11_S18_S1C_S1E_T6_T7_T9_mT8_S1G_bDpT10_ENKUlT_T0_E_clISt17integral_constantIbLb1EES1T_IbLb0EEEEDaS1P_S1Q_EUlS1P_E_NS1_11comp_targetILNS1_3genE3ELNS1_11target_archE908ELNS1_3gpuE7ELNS1_3repE0EEENS1_30default_config_static_selectorELNS0_4arch9wavefront6targetE0EEEvS12_ ; -- Begin function _ZN7rocprim17ROCPRIM_400000_NS6detail17trampoline_kernelINS0_13select_configILj256ELj13ELNS0_17block_load_methodE3ELS4_3ELS4_3ELNS0_20block_scan_algorithmE0ELj4294967295EEENS1_25partition_config_selectorILNS1_17partition_subalgoE4EjNS0_10empty_typeEbEEZZNS1_14partition_implILS8_4ELb0ES6_15HIP_vector_typeIjLj2EENS0_17counting_iteratorIjlEEPS9_SG_NS0_5tupleIJPjSI_NS0_16reverse_iteratorISI_EEEEENSH_IJSG_SG_SG_EEES9_SI_JZNS1_25segmented_radix_sort_implINS0_14default_configELb1EPKbPbPKlPlN2at6native12_GLOBAL__N_18offset_tEEE10hipError_tPvRmT1_PNSt15iterator_traitsIS12_E10value_typeET2_T3_PNS13_IS18_E10value_typeET4_jRbjT5_S1E_jjP12ihipStream_tbEUljE_ZNSN_ISO_Lb1ESQ_SR_ST_SU_SY_EESZ_S10_S11_S12_S16_S17_S18_S1B_S1C_jS1D_jS1E_S1E_jjS1G_bEUljE0_EEESZ_S10_S11_S18_S1C_S1E_T6_T7_T9_mT8_S1G_bDpT10_ENKUlT_T0_E_clISt17integral_constantIbLb1EES1T_IbLb0EEEEDaS1P_S1Q_EUlS1P_E_NS1_11comp_targetILNS1_3genE3ELNS1_11target_archE908ELNS1_3gpuE7ELNS1_3repE0EEENS1_30default_config_static_selectorELNS0_4arch9wavefront6targetE0EEEvS12_
	.p2align	8
	.type	_ZN7rocprim17ROCPRIM_400000_NS6detail17trampoline_kernelINS0_13select_configILj256ELj13ELNS0_17block_load_methodE3ELS4_3ELS4_3ELNS0_20block_scan_algorithmE0ELj4294967295EEENS1_25partition_config_selectorILNS1_17partition_subalgoE4EjNS0_10empty_typeEbEEZZNS1_14partition_implILS8_4ELb0ES6_15HIP_vector_typeIjLj2EENS0_17counting_iteratorIjlEEPS9_SG_NS0_5tupleIJPjSI_NS0_16reverse_iteratorISI_EEEEENSH_IJSG_SG_SG_EEES9_SI_JZNS1_25segmented_radix_sort_implINS0_14default_configELb1EPKbPbPKlPlN2at6native12_GLOBAL__N_18offset_tEEE10hipError_tPvRmT1_PNSt15iterator_traitsIS12_E10value_typeET2_T3_PNS13_IS18_E10value_typeET4_jRbjT5_S1E_jjP12ihipStream_tbEUljE_ZNSN_ISO_Lb1ESQ_SR_ST_SU_SY_EESZ_S10_S11_S12_S16_S17_S18_S1B_S1C_jS1D_jS1E_S1E_jjS1G_bEUljE0_EEESZ_S10_S11_S18_S1C_S1E_T6_T7_T9_mT8_S1G_bDpT10_ENKUlT_T0_E_clISt17integral_constantIbLb1EES1T_IbLb0EEEEDaS1P_S1Q_EUlS1P_E_NS1_11comp_targetILNS1_3genE3ELNS1_11target_archE908ELNS1_3gpuE7ELNS1_3repE0EEENS1_30default_config_static_selectorELNS0_4arch9wavefront6targetE0EEEvS12_,@function
_ZN7rocprim17ROCPRIM_400000_NS6detail17trampoline_kernelINS0_13select_configILj256ELj13ELNS0_17block_load_methodE3ELS4_3ELS4_3ELNS0_20block_scan_algorithmE0ELj4294967295EEENS1_25partition_config_selectorILNS1_17partition_subalgoE4EjNS0_10empty_typeEbEEZZNS1_14partition_implILS8_4ELb0ES6_15HIP_vector_typeIjLj2EENS0_17counting_iteratorIjlEEPS9_SG_NS0_5tupleIJPjSI_NS0_16reverse_iteratorISI_EEEEENSH_IJSG_SG_SG_EEES9_SI_JZNS1_25segmented_radix_sort_implINS0_14default_configELb1EPKbPbPKlPlN2at6native12_GLOBAL__N_18offset_tEEE10hipError_tPvRmT1_PNSt15iterator_traitsIS12_E10value_typeET2_T3_PNS13_IS18_E10value_typeET4_jRbjT5_S1E_jjP12ihipStream_tbEUljE_ZNSN_ISO_Lb1ESQ_SR_ST_SU_SY_EESZ_S10_S11_S12_S16_S17_S18_S1B_S1C_jS1D_jS1E_S1E_jjS1G_bEUljE0_EEESZ_S10_S11_S18_S1C_S1E_T6_T7_T9_mT8_S1G_bDpT10_ENKUlT_T0_E_clISt17integral_constantIbLb1EES1T_IbLb0EEEEDaS1P_S1Q_EUlS1P_E_NS1_11comp_targetILNS1_3genE3ELNS1_11target_archE908ELNS1_3gpuE7ELNS1_3repE0EEENS1_30default_config_static_selectorELNS0_4arch9wavefront6targetE0EEEvS12_: ; @_ZN7rocprim17ROCPRIM_400000_NS6detail17trampoline_kernelINS0_13select_configILj256ELj13ELNS0_17block_load_methodE3ELS4_3ELS4_3ELNS0_20block_scan_algorithmE0ELj4294967295EEENS1_25partition_config_selectorILNS1_17partition_subalgoE4EjNS0_10empty_typeEbEEZZNS1_14partition_implILS8_4ELb0ES6_15HIP_vector_typeIjLj2EENS0_17counting_iteratorIjlEEPS9_SG_NS0_5tupleIJPjSI_NS0_16reverse_iteratorISI_EEEEENSH_IJSG_SG_SG_EEES9_SI_JZNS1_25segmented_radix_sort_implINS0_14default_configELb1EPKbPbPKlPlN2at6native12_GLOBAL__N_18offset_tEEE10hipError_tPvRmT1_PNSt15iterator_traitsIS12_E10value_typeET2_T3_PNS13_IS18_E10value_typeET4_jRbjT5_S1E_jjP12ihipStream_tbEUljE_ZNSN_ISO_Lb1ESQ_SR_ST_SU_SY_EESZ_S10_S11_S12_S16_S17_S18_S1B_S1C_jS1D_jS1E_S1E_jjS1G_bEUljE0_EEESZ_S10_S11_S18_S1C_S1E_T6_T7_T9_mT8_S1G_bDpT10_ENKUlT_T0_E_clISt17integral_constantIbLb1EES1T_IbLb0EEEEDaS1P_S1Q_EUlS1P_E_NS1_11comp_targetILNS1_3genE3ELNS1_11target_archE908ELNS1_3gpuE7ELNS1_3repE0EEENS1_30default_config_static_selectorELNS0_4arch9wavefront6targetE0EEEvS12_
; %bb.0:
	.section	.rodata,"a",@progbits
	.p2align	6, 0x0
	.amdhsa_kernel _ZN7rocprim17ROCPRIM_400000_NS6detail17trampoline_kernelINS0_13select_configILj256ELj13ELNS0_17block_load_methodE3ELS4_3ELS4_3ELNS0_20block_scan_algorithmE0ELj4294967295EEENS1_25partition_config_selectorILNS1_17partition_subalgoE4EjNS0_10empty_typeEbEEZZNS1_14partition_implILS8_4ELb0ES6_15HIP_vector_typeIjLj2EENS0_17counting_iteratorIjlEEPS9_SG_NS0_5tupleIJPjSI_NS0_16reverse_iteratorISI_EEEEENSH_IJSG_SG_SG_EEES9_SI_JZNS1_25segmented_radix_sort_implINS0_14default_configELb1EPKbPbPKlPlN2at6native12_GLOBAL__N_18offset_tEEE10hipError_tPvRmT1_PNSt15iterator_traitsIS12_E10value_typeET2_T3_PNS13_IS18_E10value_typeET4_jRbjT5_S1E_jjP12ihipStream_tbEUljE_ZNSN_ISO_Lb1ESQ_SR_ST_SU_SY_EESZ_S10_S11_S12_S16_S17_S18_S1B_S1C_jS1D_jS1E_S1E_jjS1G_bEUljE0_EEESZ_S10_S11_S18_S1C_S1E_T6_T7_T9_mT8_S1G_bDpT10_ENKUlT_T0_E_clISt17integral_constantIbLb1EES1T_IbLb0EEEEDaS1P_S1Q_EUlS1P_E_NS1_11comp_targetILNS1_3genE3ELNS1_11target_archE908ELNS1_3gpuE7ELNS1_3repE0EEENS1_30default_config_static_selectorELNS0_4arch9wavefront6targetE0EEEvS12_
		.amdhsa_group_segment_fixed_size 0
		.amdhsa_private_segment_fixed_size 0
		.amdhsa_kernarg_size 176
		.amdhsa_user_sgpr_count 6
		.amdhsa_user_sgpr_private_segment_buffer 1
		.amdhsa_user_sgpr_dispatch_ptr 0
		.amdhsa_user_sgpr_queue_ptr 0
		.amdhsa_user_sgpr_kernarg_segment_ptr 1
		.amdhsa_user_sgpr_dispatch_id 0
		.amdhsa_user_sgpr_flat_scratch_init 0
		.amdhsa_user_sgpr_private_segment_size 0
		.amdhsa_wavefront_size32 1
		.amdhsa_uses_dynamic_stack 0
		.amdhsa_system_sgpr_private_segment_wavefront_offset 0
		.amdhsa_system_sgpr_workgroup_id_x 1
		.amdhsa_system_sgpr_workgroup_id_y 0
		.amdhsa_system_sgpr_workgroup_id_z 0
		.amdhsa_system_sgpr_workgroup_info 0
		.amdhsa_system_vgpr_workitem_id 0
		.amdhsa_next_free_vgpr 1
		.amdhsa_next_free_sgpr 1
		.amdhsa_reserve_vcc 0
		.amdhsa_reserve_flat_scratch 0
		.amdhsa_float_round_mode_32 0
		.amdhsa_float_round_mode_16_64 0
		.amdhsa_float_denorm_mode_32 3
		.amdhsa_float_denorm_mode_16_64 3
		.amdhsa_dx10_clamp 1
		.amdhsa_ieee_mode 1
		.amdhsa_fp16_overflow 0
		.amdhsa_workgroup_processor_mode 1
		.amdhsa_memory_ordered 1
		.amdhsa_forward_progress 1
		.amdhsa_shared_vgpr_count 0
		.amdhsa_exception_fp_ieee_invalid_op 0
		.amdhsa_exception_fp_denorm_src 0
		.amdhsa_exception_fp_ieee_div_zero 0
		.amdhsa_exception_fp_ieee_overflow 0
		.amdhsa_exception_fp_ieee_underflow 0
		.amdhsa_exception_fp_ieee_inexact 0
		.amdhsa_exception_int_div_zero 0
	.end_amdhsa_kernel
	.section	.text._ZN7rocprim17ROCPRIM_400000_NS6detail17trampoline_kernelINS0_13select_configILj256ELj13ELNS0_17block_load_methodE3ELS4_3ELS4_3ELNS0_20block_scan_algorithmE0ELj4294967295EEENS1_25partition_config_selectorILNS1_17partition_subalgoE4EjNS0_10empty_typeEbEEZZNS1_14partition_implILS8_4ELb0ES6_15HIP_vector_typeIjLj2EENS0_17counting_iteratorIjlEEPS9_SG_NS0_5tupleIJPjSI_NS0_16reverse_iteratorISI_EEEEENSH_IJSG_SG_SG_EEES9_SI_JZNS1_25segmented_radix_sort_implINS0_14default_configELb1EPKbPbPKlPlN2at6native12_GLOBAL__N_18offset_tEEE10hipError_tPvRmT1_PNSt15iterator_traitsIS12_E10value_typeET2_T3_PNS13_IS18_E10value_typeET4_jRbjT5_S1E_jjP12ihipStream_tbEUljE_ZNSN_ISO_Lb1ESQ_SR_ST_SU_SY_EESZ_S10_S11_S12_S16_S17_S18_S1B_S1C_jS1D_jS1E_S1E_jjS1G_bEUljE0_EEESZ_S10_S11_S18_S1C_S1E_T6_T7_T9_mT8_S1G_bDpT10_ENKUlT_T0_E_clISt17integral_constantIbLb1EES1T_IbLb0EEEEDaS1P_S1Q_EUlS1P_E_NS1_11comp_targetILNS1_3genE3ELNS1_11target_archE908ELNS1_3gpuE7ELNS1_3repE0EEENS1_30default_config_static_selectorELNS0_4arch9wavefront6targetE0EEEvS12_,"axG",@progbits,_ZN7rocprim17ROCPRIM_400000_NS6detail17trampoline_kernelINS0_13select_configILj256ELj13ELNS0_17block_load_methodE3ELS4_3ELS4_3ELNS0_20block_scan_algorithmE0ELj4294967295EEENS1_25partition_config_selectorILNS1_17partition_subalgoE4EjNS0_10empty_typeEbEEZZNS1_14partition_implILS8_4ELb0ES6_15HIP_vector_typeIjLj2EENS0_17counting_iteratorIjlEEPS9_SG_NS0_5tupleIJPjSI_NS0_16reverse_iteratorISI_EEEEENSH_IJSG_SG_SG_EEES9_SI_JZNS1_25segmented_radix_sort_implINS0_14default_configELb1EPKbPbPKlPlN2at6native12_GLOBAL__N_18offset_tEEE10hipError_tPvRmT1_PNSt15iterator_traitsIS12_E10value_typeET2_T3_PNS13_IS18_E10value_typeET4_jRbjT5_S1E_jjP12ihipStream_tbEUljE_ZNSN_ISO_Lb1ESQ_SR_ST_SU_SY_EESZ_S10_S11_S12_S16_S17_S18_S1B_S1C_jS1D_jS1E_S1E_jjS1G_bEUljE0_EEESZ_S10_S11_S18_S1C_S1E_T6_T7_T9_mT8_S1G_bDpT10_ENKUlT_T0_E_clISt17integral_constantIbLb1EES1T_IbLb0EEEEDaS1P_S1Q_EUlS1P_E_NS1_11comp_targetILNS1_3genE3ELNS1_11target_archE908ELNS1_3gpuE7ELNS1_3repE0EEENS1_30default_config_static_selectorELNS0_4arch9wavefront6targetE0EEEvS12_,comdat
.Lfunc_end1479:
	.size	_ZN7rocprim17ROCPRIM_400000_NS6detail17trampoline_kernelINS0_13select_configILj256ELj13ELNS0_17block_load_methodE3ELS4_3ELS4_3ELNS0_20block_scan_algorithmE0ELj4294967295EEENS1_25partition_config_selectorILNS1_17partition_subalgoE4EjNS0_10empty_typeEbEEZZNS1_14partition_implILS8_4ELb0ES6_15HIP_vector_typeIjLj2EENS0_17counting_iteratorIjlEEPS9_SG_NS0_5tupleIJPjSI_NS0_16reverse_iteratorISI_EEEEENSH_IJSG_SG_SG_EEES9_SI_JZNS1_25segmented_radix_sort_implINS0_14default_configELb1EPKbPbPKlPlN2at6native12_GLOBAL__N_18offset_tEEE10hipError_tPvRmT1_PNSt15iterator_traitsIS12_E10value_typeET2_T3_PNS13_IS18_E10value_typeET4_jRbjT5_S1E_jjP12ihipStream_tbEUljE_ZNSN_ISO_Lb1ESQ_SR_ST_SU_SY_EESZ_S10_S11_S12_S16_S17_S18_S1B_S1C_jS1D_jS1E_S1E_jjS1G_bEUljE0_EEESZ_S10_S11_S18_S1C_S1E_T6_T7_T9_mT8_S1G_bDpT10_ENKUlT_T0_E_clISt17integral_constantIbLb1EES1T_IbLb0EEEEDaS1P_S1Q_EUlS1P_E_NS1_11comp_targetILNS1_3genE3ELNS1_11target_archE908ELNS1_3gpuE7ELNS1_3repE0EEENS1_30default_config_static_selectorELNS0_4arch9wavefront6targetE0EEEvS12_, .Lfunc_end1479-_ZN7rocprim17ROCPRIM_400000_NS6detail17trampoline_kernelINS0_13select_configILj256ELj13ELNS0_17block_load_methodE3ELS4_3ELS4_3ELNS0_20block_scan_algorithmE0ELj4294967295EEENS1_25partition_config_selectorILNS1_17partition_subalgoE4EjNS0_10empty_typeEbEEZZNS1_14partition_implILS8_4ELb0ES6_15HIP_vector_typeIjLj2EENS0_17counting_iteratorIjlEEPS9_SG_NS0_5tupleIJPjSI_NS0_16reverse_iteratorISI_EEEEENSH_IJSG_SG_SG_EEES9_SI_JZNS1_25segmented_radix_sort_implINS0_14default_configELb1EPKbPbPKlPlN2at6native12_GLOBAL__N_18offset_tEEE10hipError_tPvRmT1_PNSt15iterator_traitsIS12_E10value_typeET2_T3_PNS13_IS18_E10value_typeET4_jRbjT5_S1E_jjP12ihipStream_tbEUljE_ZNSN_ISO_Lb1ESQ_SR_ST_SU_SY_EESZ_S10_S11_S12_S16_S17_S18_S1B_S1C_jS1D_jS1E_S1E_jjS1G_bEUljE0_EEESZ_S10_S11_S18_S1C_S1E_T6_T7_T9_mT8_S1G_bDpT10_ENKUlT_T0_E_clISt17integral_constantIbLb1EES1T_IbLb0EEEEDaS1P_S1Q_EUlS1P_E_NS1_11comp_targetILNS1_3genE3ELNS1_11target_archE908ELNS1_3gpuE7ELNS1_3repE0EEENS1_30default_config_static_selectorELNS0_4arch9wavefront6targetE0EEEvS12_
                                        ; -- End function
	.set _ZN7rocprim17ROCPRIM_400000_NS6detail17trampoline_kernelINS0_13select_configILj256ELj13ELNS0_17block_load_methodE3ELS4_3ELS4_3ELNS0_20block_scan_algorithmE0ELj4294967295EEENS1_25partition_config_selectorILNS1_17partition_subalgoE4EjNS0_10empty_typeEbEEZZNS1_14partition_implILS8_4ELb0ES6_15HIP_vector_typeIjLj2EENS0_17counting_iteratorIjlEEPS9_SG_NS0_5tupleIJPjSI_NS0_16reverse_iteratorISI_EEEEENSH_IJSG_SG_SG_EEES9_SI_JZNS1_25segmented_radix_sort_implINS0_14default_configELb1EPKbPbPKlPlN2at6native12_GLOBAL__N_18offset_tEEE10hipError_tPvRmT1_PNSt15iterator_traitsIS12_E10value_typeET2_T3_PNS13_IS18_E10value_typeET4_jRbjT5_S1E_jjP12ihipStream_tbEUljE_ZNSN_ISO_Lb1ESQ_SR_ST_SU_SY_EESZ_S10_S11_S12_S16_S17_S18_S1B_S1C_jS1D_jS1E_S1E_jjS1G_bEUljE0_EEESZ_S10_S11_S18_S1C_S1E_T6_T7_T9_mT8_S1G_bDpT10_ENKUlT_T0_E_clISt17integral_constantIbLb1EES1T_IbLb0EEEEDaS1P_S1Q_EUlS1P_E_NS1_11comp_targetILNS1_3genE3ELNS1_11target_archE908ELNS1_3gpuE7ELNS1_3repE0EEENS1_30default_config_static_selectorELNS0_4arch9wavefront6targetE0EEEvS12_.num_vgpr, 0
	.set _ZN7rocprim17ROCPRIM_400000_NS6detail17trampoline_kernelINS0_13select_configILj256ELj13ELNS0_17block_load_methodE3ELS4_3ELS4_3ELNS0_20block_scan_algorithmE0ELj4294967295EEENS1_25partition_config_selectorILNS1_17partition_subalgoE4EjNS0_10empty_typeEbEEZZNS1_14partition_implILS8_4ELb0ES6_15HIP_vector_typeIjLj2EENS0_17counting_iteratorIjlEEPS9_SG_NS0_5tupleIJPjSI_NS0_16reverse_iteratorISI_EEEEENSH_IJSG_SG_SG_EEES9_SI_JZNS1_25segmented_radix_sort_implINS0_14default_configELb1EPKbPbPKlPlN2at6native12_GLOBAL__N_18offset_tEEE10hipError_tPvRmT1_PNSt15iterator_traitsIS12_E10value_typeET2_T3_PNS13_IS18_E10value_typeET4_jRbjT5_S1E_jjP12ihipStream_tbEUljE_ZNSN_ISO_Lb1ESQ_SR_ST_SU_SY_EESZ_S10_S11_S12_S16_S17_S18_S1B_S1C_jS1D_jS1E_S1E_jjS1G_bEUljE0_EEESZ_S10_S11_S18_S1C_S1E_T6_T7_T9_mT8_S1G_bDpT10_ENKUlT_T0_E_clISt17integral_constantIbLb1EES1T_IbLb0EEEEDaS1P_S1Q_EUlS1P_E_NS1_11comp_targetILNS1_3genE3ELNS1_11target_archE908ELNS1_3gpuE7ELNS1_3repE0EEENS1_30default_config_static_selectorELNS0_4arch9wavefront6targetE0EEEvS12_.num_agpr, 0
	.set _ZN7rocprim17ROCPRIM_400000_NS6detail17trampoline_kernelINS0_13select_configILj256ELj13ELNS0_17block_load_methodE3ELS4_3ELS4_3ELNS0_20block_scan_algorithmE0ELj4294967295EEENS1_25partition_config_selectorILNS1_17partition_subalgoE4EjNS0_10empty_typeEbEEZZNS1_14partition_implILS8_4ELb0ES6_15HIP_vector_typeIjLj2EENS0_17counting_iteratorIjlEEPS9_SG_NS0_5tupleIJPjSI_NS0_16reverse_iteratorISI_EEEEENSH_IJSG_SG_SG_EEES9_SI_JZNS1_25segmented_radix_sort_implINS0_14default_configELb1EPKbPbPKlPlN2at6native12_GLOBAL__N_18offset_tEEE10hipError_tPvRmT1_PNSt15iterator_traitsIS12_E10value_typeET2_T3_PNS13_IS18_E10value_typeET4_jRbjT5_S1E_jjP12ihipStream_tbEUljE_ZNSN_ISO_Lb1ESQ_SR_ST_SU_SY_EESZ_S10_S11_S12_S16_S17_S18_S1B_S1C_jS1D_jS1E_S1E_jjS1G_bEUljE0_EEESZ_S10_S11_S18_S1C_S1E_T6_T7_T9_mT8_S1G_bDpT10_ENKUlT_T0_E_clISt17integral_constantIbLb1EES1T_IbLb0EEEEDaS1P_S1Q_EUlS1P_E_NS1_11comp_targetILNS1_3genE3ELNS1_11target_archE908ELNS1_3gpuE7ELNS1_3repE0EEENS1_30default_config_static_selectorELNS0_4arch9wavefront6targetE0EEEvS12_.numbered_sgpr, 0
	.set _ZN7rocprim17ROCPRIM_400000_NS6detail17trampoline_kernelINS0_13select_configILj256ELj13ELNS0_17block_load_methodE3ELS4_3ELS4_3ELNS0_20block_scan_algorithmE0ELj4294967295EEENS1_25partition_config_selectorILNS1_17partition_subalgoE4EjNS0_10empty_typeEbEEZZNS1_14partition_implILS8_4ELb0ES6_15HIP_vector_typeIjLj2EENS0_17counting_iteratorIjlEEPS9_SG_NS0_5tupleIJPjSI_NS0_16reverse_iteratorISI_EEEEENSH_IJSG_SG_SG_EEES9_SI_JZNS1_25segmented_radix_sort_implINS0_14default_configELb1EPKbPbPKlPlN2at6native12_GLOBAL__N_18offset_tEEE10hipError_tPvRmT1_PNSt15iterator_traitsIS12_E10value_typeET2_T3_PNS13_IS18_E10value_typeET4_jRbjT5_S1E_jjP12ihipStream_tbEUljE_ZNSN_ISO_Lb1ESQ_SR_ST_SU_SY_EESZ_S10_S11_S12_S16_S17_S18_S1B_S1C_jS1D_jS1E_S1E_jjS1G_bEUljE0_EEESZ_S10_S11_S18_S1C_S1E_T6_T7_T9_mT8_S1G_bDpT10_ENKUlT_T0_E_clISt17integral_constantIbLb1EES1T_IbLb0EEEEDaS1P_S1Q_EUlS1P_E_NS1_11comp_targetILNS1_3genE3ELNS1_11target_archE908ELNS1_3gpuE7ELNS1_3repE0EEENS1_30default_config_static_selectorELNS0_4arch9wavefront6targetE0EEEvS12_.num_named_barrier, 0
	.set _ZN7rocprim17ROCPRIM_400000_NS6detail17trampoline_kernelINS0_13select_configILj256ELj13ELNS0_17block_load_methodE3ELS4_3ELS4_3ELNS0_20block_scan_algorithmE0ELj4294967295EEENS1_25partition_config_selectorILNS1_17partition_subalgoE4EjNS0_10empty_typeEbEEZZNS1_14partition_implILS8_4ELb0ES6_15HIP_vector_typeIjLj2EENS0_17counting_iteratorIjlEEPS9_SG_NS0_5tupleIJPjSI_NS0_16reverse_iteratorISI_EEEEENSH_IJSG_SG_SG_EEES9_SI_JZNS1_25segmented_radix_sort_implINS0_14default_configELb1EPKbPbPKlPlN2at6native12_GLOBAL__N_18offset_tEEE10hipError_tPvRmT1_PNSt15iterator_traitsIS12_E10value_typeET2_T3_PNS13_IS18_E10value_typeET4_jRbjT5_S1E_jjP12ihipStream_tbEUljE_ZNSN_ISO_Lb1ESQ_SR_ST_SU_SY_EESZ_S10_S11_S12_S16_S17_S18_S1B_S1C_jS1D_jS1E_S1E_jjS1G_bEUljE0_EEESZ_S10_S11_S18_S1C_S1E_T6_T7_T9_mT8_S1G_bDpT10_ENKUlT_T0_E_clISt17integral_constantIbLb1EES1T_IbLb0EEEEDaS1P_S1Q_EUlS1P_E_NS1_11comp_targetILNS1_3genE3ELNS1_11target_archE908ELNS1_3gpuE7ELNS1_3repE0EEENS1_30default_config_static_selectorELNS0_4arch9wavefront6targetE0EEEvS12_.private_seg_size, 0
	.set _ZN7rocprim17ROCPRIM_400000_NS6detail17trampoline_kernelINS0_13select_configILj256ELj13ELNS0_17block_load_methodE3ELS4_3ELS4_3ELNS0_20block_scan_algorithmE0ELj4294967295EEENS1_25partition_config_selectorILNS1_17partition_subalgoE4EjNS0_10empty_typeEbEEZZNS1_14partition_implILS8_4ELb0ES6_15HIP_vector_typeIjLj2EENS0_17counting_iteratorIjlEEPS9_SG_NS0_5tupleIJPjSI_NS0_16reverse_iteratorISI_EEEEENSH_IJSG_SG_SG_EEES9_SI_JZNS1_25segmented_radix_sort_implINS0_14default_configELb1EPKbPbPKlPlN2at6native12_GLOBAL__N_18offset_tEEE10hipError_tPvRmT1_PNSt15iterator_traitsIS12_E10value_typeET2_T3_PNS13_IS18_E10value_typeET4_jRbjT5_S1E_jjP12ihipStream_tbEUljE_ZNSN_ISO_Lb1ESQ_SR_ST_SU_SY_EESZ_S10_S11_S12_S16_S17_S18_S1B_S1C_jS1D_jS1E_S1E_jjS1G_bEUljE0_EEESZ_S10_S11_S18_S1C_S1E_T6_T7_T9_mT8_S1G_bDpT10_ENKUlT_T0_E_clISt17integral_constantIbLb1EES1T_IbLb0EEEEDaS1P_S1Q_EUlS1P_E_NS1_11comp_targetILNS1_3genE3ELNS1_11target_archE908ELNS1_3gpuE7ELNS1_3repE0EEENS1_30default_config_static_selectorELNS0_4arch9wavefront6targetE0EEEvS12_.uses_vcc, 0
	.set _ZN7rocprim17ROCPRIM_400000_NS6detail17trampoline_kernelINS0_13select_configILj256ELj13ELNS0_17block_load_methodE3ELS4_3ELS4_3ELNS0_20block_scan_algorithmE0ELj4294967295EEENS1_25partition_config_selectorILNS1_17partition_subalgoE4EjNS0_10empty_typeEbEEZZNS1_14partition_implILS8_4ELb0ES6_15HIP_vector_typeIjLj2EENS0_17counting_iteratorIjlEEPS9_SG_NS0_5tupleIJPjSI_NS0_16reverse_iteratorISI_EEEEENSH_IJSG_SG_SG_EEES9_SI_JZNS1_25segmented_radix_sort_implINS0_14default_configELb1EPKbPbPKlPlN2at6native12_GLOBAL__N_18offset_tEEE10hipError_tPvRmT1_PNSt15iterator_traitsIS12_E10value_typeET2_T3_PNS13_IS18_E10value_typeET4_jRbjT5_S1E_jjP12ihipStream_tbEUljE_ZNSN_ISO_Lb1ESQ_SR_ST_SU_SY_EESZ_S10_S11_S12_S16_S17_S18_S1B_S1C_jS1D_jS1E_S1E_jjS1G_bEUljE0_EEESZ_S10_S11_S18_S1C_S1E_T6_T7_T9_mT8_S1G_bDpT10_ENKUlT_T0_E_clISt17integral_constantIbLb1EES1T_IbLb0EEEEDaS1P_S1Q_EUlS1P_E_NS1_11comp_targetILNS1_3genE3ELNS1_11target_archE908ELNS1_3gpuE7ELNS1_3repE0EEENS1_30default_config_static_selectorELNS0_4arch9wavefront6targetE0EEEvS12_.uses_flat_scratch, 0
	.set _ZN7rocprim17ROCPRIM_400000_NS6detail17trampoline_kernelINS0_13select_configILj256ELj13ELNS0_17block_load_methodE3ELS4_3ELS4_3ELNS0_20block_scan_algorithmE0ELj4294967295EEENS1_25partition_config_selectorILNS1_17partition_subalgoE4EjNS0_10empty_typeEbEEZZNS1_14partition_implILS8_4ELb0ES6_15HIP_vector_typeIjLj2EENS0_17counting_iteratorIjlEEPS9_SG_NS0_5tupleIJPjSI_NS0_16reverse_iteratorISI_EEEEENSH_IJSG_SG_SG_EEES9_SI_JZNS1_25segmented_radix_sort_implINS0_14default_configELb1EPKbPbPKlPlN2at6native12_GLOBAL__N_18offset_tEEE10hipError_tPvRmT1_PNSt15iterator_traitsIS12_E10value_typeET2_T3_PNS13_IS18_E10value_typeET4_jRbjT5_S1E_jjP12ihipStream_tbEUljE_ZNSN_ISO_Lb1ESQ_SR_ST_SU_SY_EESZ_S10_S11_S12_S16_S17_S18_S1B_S1C_jS1D_jS1E_S1E_jjS1G_bEUljE0_EEESZ_S10_S11_S18_S1C_S1E_T6_T7_T9_mT8_S1G_bDpT10_ENKUlT_T0_E_clISt17integral_constantIbLb1EES1T_IbLb0EEEEDaS1P_S1Q_EUlS1P_E_NS1_11comp_targetILNS1_3genE3ELNS1_11target_archE908ELNS1_3gpuE7ELNS1_3repE0EEENS1_30default_config_static_selectorELNS0_4arch9wavefront6targetE0EEEvS12_.has_dyn_sized_stack, 0
	.set _ZN7rocprim17ROCPRIM_400000_NS6detail17trampoline_kernelINS0_13select_configILj256ELj13ELNS0_17block_load_methodE3ELS4_3ELS4_3ELNS0_20block_scan_algorithmE0ELj4294967295EEENS1_25partition_config_selectorILNS1_17partition_subalgoE4EjNS0_10empty_typeEbEEZZNS1_14partition_implILS8_4ELb0ES6_15HIP_vector_typeIjLj2EENS0_17counting_iteratorIjlEEPS9_SG_NS0_5tupleIJPjSI_NS0_16reverse_iteratorISI_EEEEENSH_IJSG_SG_SG_EEES9_SI_JZNS1_25segmented_radix_sort_implINS0_14default_configELb1EPKbPbPKlPlN2at6native12_GLOBAL__N_18offset_tEEE10hipError_tPvRmT1_PNSt15iterator_traitsIS12_E10value_typeET2_T3_PNS13_IS18_E10value_typeET4_jRbjT5_S1E_jjP12ihipStream_tbEUljE_ZNSN_ISO_Lb1ESQ_SR_ST_SU_SY_EESZ_S10_S11_S12_S16_S17_S18_S1B_S1C_jS1D_jS1E_S1E_jjS1G_bEUljE0_EEESZ_S10_S11_S18_S1C_S1E_T6_T7_T9_mT8_S1G_bDpT10_ENKUlT_T0_E_clISt17integral_constantIbLb1EES1T_IbLb0EEEEDaS1P_S1Q_EUlS1P_E_NS1_11comp_targetILNS1_3genE3ELNS1_11target_archE908ELNS1_3gpuE7ELNS1_3repE0EEENS1_30default_config_static_selectorELNS0_4arch9wavefront6targetE0EEEvS12_.has_recursion, 0
	.set _ZN7rocprim17ROCPRIM_400000_NS6detail17trampoline_kernelINS0_13select_configILj256ELj13ELNS0_17block_load_methodE3ELS4_3ELS4_3ELNS0_20block_scan_algorithmE0ELj4294967295EEENS1_25partition_config_selectorILNS1_17partition_subalgoE4EjNS0_10empty_typeEbEEZZNS1_14partition_implILS8_4ELb0ES6_15HIP_vector_typeIjLj2EENS0_17counting_iteratorIjlEEPS9_SG_NS0_5tupleIJPjSI_NS0_16reverse_iteratorISI_EEEEENSH_IJSG_SG_SG_EEES9_SI_JZNS1_25segmented_radix_sort_implINS0_14default_configELb1EPKbPbPKlPlN2at6native12_GLOBAL__N_18offset_tEEE10hipError_tPvRmT1_PNSt15iterator_traitsIS12_E10value_typeET2_T3_PNS13_IS18_E10value_typeET4_jRbjT5_S1E_jjP12ihipStream_tbEUljE_ZNSN_ISO_Lb1ESQ_SR_ST_SU_SY_EESZ_S10_S11_S12_S16_S17_S18_S1B_S1C_jS1D_jS1E_S1E_jjS1G_bEUljE0_EEESZ_S10_S11_S18_S1C_S1E_T6_T7_T9_mT8_S1G_bDpT10_ENKUlT_T0_E_clISt17integral_constantIbLb1EES1T_IbLb0EEEEDaS1P_S1Q_EUlS1P_E_NS1_11comp_targetILNS1_3genE3ELNS1_11target_archE908ELNS1_3gpuE7ELNS1_3repE0EEENS1_30default_config_static_selectorELNS0_4arch9wavefront6targetE0EEEvS12_.has_indirect_call, 0
	.section	.AMDGPU.csdata,"",@progbits
; Kernel info:
; codeLenInByte = 0
; TotalNumSgprs: 0
; NumVgprs: 0
; ScratchSize: 0
; MemoryBound: 0
; FloatMode: 240
; IeeeMode: 1
; LDSByteSize: 0 bytes/workgroup (compile time only)
; SGPRBlocks: 0
; VGPRBlocks: 0
; NumSGPRsForWavesPerEU: 1
; NumVGPRsForWavesPerEU: 1
; Occupancy: 16
; WaveLimiterHint : 0
; COMPUTE_PGM_RSRC2:SCRATCH_EN: 0
; COMPUTE_PGM_RSRC2:USER_SGPR: 6
; COMPUTE_PGM_RSRC2:TRAP_HANDLER: 0
; COMPUTE_PGM_RSRC2:TGID_X_EN: 1
; COMPUTE_PGM_RSRC2:TGID_Y_EN: 0
; COMPUTE_PGM_RSRC2:TGID_Z_EN: 0
; COMPUTE_PGM_RSRC2:TIDIG_COMP_CNT: 0
	.section	.text._ZN7rocprim17ROCPRIM_400000_NS6detail17trampoline_kernelINS0_13select_configILj256ELj13ELNS0_17block_load_methodE3ELS4_3ELS4_3ELNS0_20block_scan_algorithmE0ELj4294967295EEENS1_25partition_config_selectorILNS1_17partition_subalgoE4EjNS0_10empty_typeEbEEZZNS1_14partition_implILS8_4ELb0ES6_15HIP_vector_typeIjLj2EENS0_17counting_iteratorIjlEEPS9_SG_NS0_5tupleIJPjSI_NS0_16reverse_iteratorISI_EEEEENSH_IJSG_SG_SG_EEES9_SI_JZNS1_25segmented_radix_sort_implINS0_14default_configELb1EPKbPbPKlPlN2at6native12_GLOBAL__N_18offset_tEEE10hipError_tPvRmT1_PNSt15iterator_traitsIS12_E10value_typeET2_T3_PNS13_IS18_E10value_typeET4_jRbjT5_S1E_jjP12ihipStream_tbEUljE_ZNSN_ISO_Lb1ESQ_SR_ST_SU_SY_EESZ_S10_S11_S12_S16_S17_S18_S1B_S1C_jS1D_jS1E_S1E_jjS1G_bEUljE0_EEESZ_S10_S11_S18_S1C_S1E_T6_T7_T9_mT8_S1G_bDpT10_ENKUlT_T0_E_clISt17integral_constantIbLb1EES1T_IbLb0EEEEDaS1P_S1Q_EUlS1P_E_NS1_11comp_targetILNS1_3genE2ELNS1_11target_archE906ELNS1_3gpuE6ELNS1_3repE0EEENS1_30default_config_static_selectorELNS0_4arch9wavefront6targetE0EEEvS12_,"axG",@progbits,_ZN7rocprim17ROCPRIM_400000_NS6detail17trampoline_kernelINS0_13select_configILj256ELj13ELNS0_17block_load_methodE3ELS4_3ELS4_3ELNS0_20block_scan_algorithmE0ELj4294967295EEENS1_25partition_config_selectorILNS1_17partition_subalgoE4EjNS0_10empty_typeEbEEZZNS1_14partition_implILS8_4ELb0ES6_15HIP_vector_typeIjLj2EENS0_17counting_iteratorIjlEEPS9_SG_NS0_5tupleIJPjSI_NS0_16reverse_iteratorISI_EEEEENSH_IJSG_SG_SG_EEES9_SI_JZNS1_25segmented_radix_sort_implINS0_14default_configELb1EPKbPbPKlPlN2at6native12_GLOBAL__N_18offset_tEEE10hipError_tPvRmT1_PNSt15iterator_traitsIS12_E10value_typeET2_T3_PNS13_IS18_E10value_typeET4_jRbjT5_S1E_jjP12ihipStream_tbEUljE_ZNSN_ISO_Lb1ESQ_SR_ST_SU_SY_EESZ_S10_S11_S12_S16_S17_S18_S1B_S1C_jS1D_jS1E_S1E_jjS1G_bEUljE0_EEESZ_S10_S11_S18_S1C_S1E_T6_T7_T9_mT8_S1G_bDpT10_ENKUlT_T0_E_clISt17integral_constantIbLb1EES1T_IbLb0EEEEDaS1P_S1Q_EUlS1P_E_NS1_11comp_targetILNS1_3genE2ELNS1_11target_archE906ELNS1_3gpuE6ELNS1_3repE0EEENS1_30default_config_static_selectorELNS0_4arch9wavefront6targetE0EEEvS12_,comdat
	.globl	_ZN7rocprim17ROCPRIM_400000_NS6detail17trampoline_kernelINS0_13select_configILj256ELj13ELNS0_17block_load_methodE3ELS4_3ELS4_3ELNS0_20block_scan_algorithmE0ELj4294967295EEENS1_25partition_config_selectorILNS1_17partition_subalgoE4EjNS0_10empty_typeEbEEZZNS1_14partition_implILS8_4ELb0ES6_15HIP_vector_typeIjLj2EENS0_17counting_iteratorIjlEEPS9_SG_NS0_5tupleIJPjSI_NS0_16reverse_iteratorISI_EEEEENSH_IJSG_SG_SG_EEES9_SI_JZNS1_25segmented_radix_sort_implINS0_14default_configELb1EPKbPbPKlPlN2at6native12_GLOBAL__N_18offset_tEEE10hipError_tPvRmT1_PNSt15iterator_traitsIS12_E10value_typeET2_T3_PNS13_IS18_E10value_typeET4_jRbjT5_S1E_jjP12ihipStream_tbEUljE_ZNSN_ISO_Lb1ESQ_SR_ST_SU_SY_EESZ_S10_S11_S12_S16_S17_S18_S1B_S1C_jS1D_jS1E_S1E_jjS1G_bEUljE0_EEESZ_S10_S11_S18_S1C_S1E_T6_T7_T9_mT8_S1G_bDpT10_ENKUlT_T0_E_clISt17integral_constantIbLb1EES1T_IbLb0EEEEDaS1P_S1Q_EUlS1P_E_NS1_11comp_targetILNS1_3genE2ELNS1_11target_archE906ELNS1_3gpuE6ELNS1_3repE0EEENS1_30default_config_static_selectorELNS0_4arch9wavefront6targetE0EEEvS12_ ; -- Begin function _ZN7rocprim17ROCPRIM_400000_NS6detail17trampoline_kernelINS0_13select_configILj256ELj13ELNS0_17block_load_methodE3ELS4_3ELS4_3ELNS0_20block_scan_algorithmE0ELj4294967295EEENS1_25partition_config_selectorILNS1_17partition_subalgoE4EjNS0_10empty_typeEbEEZZNS1_14partition_implILS8_4ELb0ES6_15HIP_vector_typeIjLj2EENS0_17counting_iteratorIjlEEPS9_SG_NS0_5tupleIJPjSI_NS0_16reverse_iteratorISI_EEEEENSH_IJSG_SG_SG_EEES9_SI_JZNS1_25segmented_radix_sort_implINS0_14default_configELb1EPKbPbPKlPlN2at6native12_GLOBAL__N_18offset_tEEE10hipError_tPvRmT1_PNSt15iterator_traitsIS12_E10value_typeET2_T3_PNS13_IS18_E10value_typeET4_jRbjT5_S1E_jjP12ihipStream_tbEUljE_ZNSN_ISO_Lb1ESQ_SR_ST_SU_SY_EESZ_S10_S11_S12_S16_S17_S18_S1B_S1C_jS1D_jS1E_S1E_jjS1G_bEUljE0_EEESZ_S10_S11_S18_S1C_S1E_T6_T7_T9_mT8_S1G_bDpT10_ENKUlT_T0_E_clISt17integral_constantIbLb1EES1T_IbLb0EEEEDaS1P_S1Q_EUlS1P_E_NS1_11comp_targetILNS1_3genE2ELNS1_11target_archE906ELNS1_3gpuE6ELNS1_3repE0EEENS1_30default_config_static_selectorELNS0_4arch9wavefront6targetE0EEEvS12_
	.p2align	8
	.type	_ZN7rocprim17ROCPRIM_400000_NS6detail17trampoline_kernelINS0_13select_configILj256ELj13ELNS0_17block_load_methodE3ELS4_3ELS4_3ELNS0_20block_scan_algorithmE0ELj4294967295EEENS1_25partition_config_selectorILNS1_17partition_subalgoE4EjNS0_10empty_typeEbEEZZNS1_14partition_implILS8_4ELb0ES6_15HIP_vector_typeIjLj2EENS0_17counting_iteratorIjlEEPS9_SG_NS0_5tupleIJPjSI_NS0_16reverse_iteratorISI_EEEEENSH_IJSG_SG_SG_EEES9_SI_JZNS1_25segmented_radix_sort_implINS0_14default_configELb1EPKbPbPKlPlN2at6native12_GLOBAL__N_18offset_tEEE10hipError_tPvRmT1_PNSt15iterator_traitsIS12_E10value_typeET2_T3_PNS13_IS18_E10value_typeET4_jRbjT5_S1E_jjP12ihipStream_tbEUljE_ZNSN_ISO_Lb1ESQ_SR_ST_SU_SY_EESZ_S10_S11_S12_S16_S17_S18_S1B_S1C_jS1D_jS1E_S1E_jjS1G_bEUljE0_EEESZ_S10_S11_S18_S1C_S1E_T6_T7_T9_mT8_S1G_bDpT10_ENKUlT_T0_E_clISt17integral_constantIbLb1EES1T_IbLb0EEEEDaS1P_S1Q_EUlS1P_E_NS1_11comp_targetILNS1_3genE2ELNS1_11target_archE906ELNS1_3gpuE6ELNS1_3repE0EEENS1_30default_config_static_selectorELNS0_4arch9wavefront6targetE0EEEvS12_,@function
_ZN7rocprim17ROCPRIM_400000_NS6detail17trampoline_kernelINS0_13select_configILj256ELj13ELNS0_17block_load_methodE3ELS4_3ELS4_3ELNS0_20block_scan_algorithmE0ELj4294967295EEENS1_25partition_config_selectorILNS1_17partition_subalgoE4EjNS0_10empty_typeEbEEZZNS1_14partition_implILS8_4ELb0ES6_15HIP_vector_typeIjLj2EENS0_17counting_iteratorIjlEEPS9_SG_NS0_5tupleIJPjSI_NS0_16reverse_iteratorISI_EEEEENSH_IJSG_SG_SG_EEES9_SI_JZNS1_25segmented_radix_sort_implINS0_14default_configELb1EPKbPbPKlPlN2at6native12_GLOBAL__N_18offset_tEEE10hipError_tPvRmT1_PNSt15iterator_traitsIS12_E10value_typeET2_T3_PNS13_IS18_E10value_typeET4_jRbjT5_S1E_jjP12ihipStream_tbEUljE_ZNSN_ISO_Lb1ESQ_SR_ST_SU_SY_EESZ_S10_S11_S12_S16_S17_S18_S1B_S1C_jS1D_jS1E_S1E_jjS1G_bEUljE0_EEESZ_S10_S11_S18_S1C_S1E_T6_T7_T9_mT8_S1G_bDpT10_ENKUlT_T0_E_clISt17integral_constantIbLb1EES1T_IbLb0EEEEDaS1P_S1Q_EUlS1P_E_NS1_11comp_targetILNS1_3genE2ELNS1_11target_archE906ELNS1_3gpuE6ELNS1_3repE0EEENS1_30default_config_static_selectorELNS0_4arch9wavefront6targetE0EEEvS12_: ; @_ZN7rocprim17ROCPRIM_400000_NS6detail17trampoline_kernelINS0_13select_configILj256ELj13ELNS0_17block_load_methodE3ELS4_3ELS4_3ELNS0_20block_scan_algorithmE0ELj4294967295EEENS1_25partition_config_selectorILNS1_17partition_subalgoE4EjNS0_10empty_typeEbEEZZNS1_14partition_implILS8_4ELb0ES6_15HIP_vector_typeIjLj2EENS0_17counting_iteratorIjlEEPS9_SG_NS0_5tupleIJPjSI_NS0_16reverse_iteratorISI_EEEEENSH_IJSG_SG_SG_EEES9_SI_JZNS1_25segmented_radix_sort_implINS0_14default_configELb1EPKbPbPKlPlN2at6native12_GLOBAL__N_18offset_tEEE10hipError_tPvRmT1_PNSt15iterator_traitsIS12_E10value_typeET2_T3_PNS13_IS18_E10value_typeET4_jRbjT5_S1E_jjP12ihipStream_tbEUljE_ZNSN_ISO_Lb1ESQ_SR_ST_SU_SY_EESZ_S10_S11_S12_S16_S17_S18_S1B_S1C_jS1D_jS1E_S1E_jjS1G_bEUljE0_EEESZ_S10_S11_S18_S1C_S1E_T6_T7_T9_mT8_S1G_bDpT10_ENKUlT_T0_E_clISt17integral_constantIbLb1EES1T_IbLb0EEEEDaS1P_S1Q_EUlS1P_E_NS1_11comp_targetILNS1_3genE2ELNS1_11target_archE906ELNS1_3gpuE6ELNS1_3repE0EEENS1_30default_config_static_selectorELNS0_4arch9wavefront6targetE0EEEvS12_
; %bb.0:
	.section	.rodata,"a",@progbits
	.p2align	6, 0x0
	.amdhsa_kernel _ZN7rocprim17ROCPRIM_400000_NS6detail17trampoline_kernelINS0_13select_configILj256ELj13ELNS0_17block_load_methodE3ELS4_3ELS4_3ELNS0_20block_scan_algorithmE0ELj4294967295EEENS1_25partition_config_selectorILNS1_17partition_subalgoE4EjNS0_10empty_typeEbEEZZNS1_14partition_implILS8_4ELb0ES6_15HIP_vector_typeIjLj2EENS0_17counting_iteratorIjlEEPS9_SG_NS0_5tupleIJPjSI_NS0_16reverse_iteratorISI_EEEEENSH_IJSG_SG_SG_EEES9_SI_JZNS1_25segmented_radix_sort_implINS0_14default_configELb1EPKbPbPKlPlN2at6native12_GLOBAL__N_18offset_tEEE10hipError_tPvRmT1_PNSt15iterator_traitsIS12_E10value_typeET2_T3_PNS13_IS18_E10value_typeET4_jRbjT5_S1E_jjP12ihipStream_tbEUljE_ZNSN_ISO_Lb1ESQ_SR_ST_SU_SY_EESZ_S10_S11_S12_S16_S17_S18_S1B_S1C_jS1D_jS1E_S1E_jjS1G_bEUljE0_EEESZ_S10_S11_S18_S1C_S1E_T6_T7_T9_mT8_S1G_bDpT10_ENKUlT_T0_E_clISt17integral_constantIbLb1EES1T_IbLb0EEEEDaS1P_S1Q_EUlS1P_E_NS1_11comp_targetILNS1_3genE2ELNS1_11target_archE906ELNS1_3gpuE6ELNS1_3repE0EEENS1_30default_config_static_selectorELNS0_4arch9wavefront6targetE0EEEvS12_
		.amdhsa_group_segment_fixed_size 0
		.amdhsa_private_segment_fixed_size 0
		.amdhsa_kernarg_size 176
		.amdhsa_user_sgpr_count 6
		.amdhsa_user_sgpr_private_segment_buffer 1
		.amdhsa_user_sgpr_dispatch_ptr 0
		.amdhsa_user_sgpr_queue_ptr 0
		.amdhsa_user_sgpr_kernarg_segment_ptr 1
		.amdhsa_user_sgpr_dispatch_id 0
		.amdhsa_user_sgpr_flat_scratch_init 0
		.amdhsa_user_sgpr_private_segment_size 0
		.amdhsa_wavefront_size32 1
		.amdhsa_uses_dynamic_stack 0
		.amdhsa_system_sgpr_private_segment_wavefront_offset 0
		.amdhsa_system_sgpr_workgroup_id_x 1
		.amdhsa_system_sgpr_workgroup_id_y 0
		.amdhsa_system_sgpr_workgroup_id_z 0
		.amdhsa_system_sgpr_workgroup_info 0
		.amdhsa_system_vgpr_workitem_id 0
		.amdhsa_next_free_vgpr 1
		.amdhsa_next_free_sgpr 1
		.amdhsa_reserve_vcc 0
		.amdhsa_reserve_flat_scratch 0
		.amdhsa_float_round_mode_32 0
		.amdhsa_float_round_mode_16_64 0
		.amdhsa_float_denorm_mode_32 3
		.amdhsa_float_denorm_mode_16_64 3
		.amdhsa_dx10_clamp 1
		.amdhsa_ieee_mode 1
		.amdhsa_fp16_overflow 0
		.amdhsa_workgroup_processor_mode 1
		.amdhsa_memory_ordered 1
		.amdhsa_forward_progress 1
		.amdhsa_shared_vgpr_count 0
		.amdhsa_exception_fp_ieee_invalid_op 0
		.amdhsa_exception_fp_denorm_src 0
		.amdhsa_exception_fp_ieee_div_zero 0
		.amdhsa_exception_fp_ieee_overflow 0
		.amdhsa_exception_fp_ieee_underflow 0
		.amdhsa_exception_fp_ieee_inexact 0
		.amdhsa_exception_int_div_zero 0
	.end_amdhsa_kernel
	.section	.text._ZN7rocprim17ROCPRIM_400000_NS6detail17trampoline_kernelINS0_13select_configILj256ELj13ELNS0_17block_load_methodE3ELS4_3ELS4_3ELNS0_20block_scan_algorithmE0ELj4294967295EEENS1_25partition_config_selectorILNS1_17partition_subalgoE4EjNS0_10empty_typeEbEEZZNS1_14partition_implILS8_4ELb0ES6_15HIP_vector_typeIjLj2EENS0_17counting_iteratorIjlEEPS9_SG_NS0_5tupleIJPjSI_NS0_16reverse_iteratorISI_EEEEENSH_IJSG_SG_SG_EEES9_SI_JZNS1_25segmented_radix_sort_implINS0_14default_configELb1EPKbPbPKlPlN2at6native12_GLOBAL__N_18offset_tEEE10hipError_tPvRmT1_PNSt15iterator_traitsIS12_E10value_typeET2_T3_PNS13_IS18_E10value_typeET4_jRbjT5_S1E_jjP12ihipStream_tbEUljE_ZNSN_ISO_Lb1ESQ_SR_ST_SU_SY_EESZ_S10_S11_S12_S16_S17_S18_S1B_S1C_jS1D_jS1E_S1E_jjS1G_bEUljE0_EEESZ_S10_S11_S18_S1C_S1E_T6_T7_T9_mT8_S1G_bDpT10_ENKUlT_T0_E_clISt17integral_constantIbLb1EES1T_IbLb0EEEEDaS1P_S1Q_EUlS1P_E_NS1_11comp_targetILNS1_3genE2ELNS1_11target_archE906ELNS1_3gpuE6ELNS1_3repE0EEENS1_30default_config_static_selectorELNS0_4arch9wavefront6targetE0EEEvS12_,"axG",@progbits,_ZN7rocprim17ROCPRIM_400000_NS6detail17trampoline_kernelINS0_13select_configILj256ELj13ELNS0_17block_load_methodE3ELS4_3ELS4_3ELNS0_20block_scan_algorithmE0ELj4294967295EEENS1_25partition_config_selectorILNS1_17partition_subalgoE4EjNS0_10empty_typeEbEEZZNS1_14partition_implILS8_4ELb0ES6_15HIP_vector_typeIjLj2EENS0_17counting_iteratorIjlEEPS9_SG_NS0_5tupleIJPjSI_NS0_16reverse_iteratorISI_EEEEENSH_IJSG_SG_SG_EEES9_SI_JZNS1_25segmented_radix_sort_implINS0_14default_configELb1EPKbPbPKlPlN2at6native12_GLOBAL__N_18offset_tEEE10hipError_tPvRmT1_PNSt15iterator_traitsIS12_E10value_typeET2_T3_PNS13_IS18_E10value_typeET4_jRbjT5_S1E_jjP12ihipStream_tbEUljE_ZNSN_ISO_Lb1ESQ_SR_ST_SU_SY_EESZ_S10_S11_S12_S16_S17_S18_S1B_S1C_jS1D_jS1E_S1E_jjS1G_bEUljE0_EEESZ_S10_S11_S18_S1C_S1E_T6_T7_T9_mT8_S1G_bDpT10_ENKUlT_T0_E_clISt17integral_constantIbLb1EES1T_IbLb0EEEEDaS1P_S1Q_EUlS1P_E_NS1_11comp_targetILNS1_3genE2ELNS1_11target_archE906ELNS1_3gpuE6ELNS1_3repE0EEENS1_30default_config_static_selectorELNS0_4arch9wavefront6targetE0EEEvS12_,comdat
.Lfunc_end1480:
	.size	_ZN7rocprim17ROCPRIM_400000_NS6detail17trampoline_kernelINS0_13select_configILj256ELj13ELNS0_17block_load_methodE3ELS4_3ELS4_3ELNS0_20block_scan_algorithmE0ELj4294967295EEENS1_25partition_config_selectorILNS1_17partition_subalgoE4EjNS0_10empty_typeEbEEZZNS1_14partition_implILS8_4ELb0ES6_15HIP_vector_typeIjLj2EENS0_17counting_iteratorIjlEEPS9_SG_NS0_5tupleIJPjSI_NS0_16reverse_iteratorISI_EEEEENSH_IJSG_SG_SG_EEES9_SI_JZNS1_25segmented_radix_sort_implINS0_14default_configELb1EPKbPbPKlPlN2at6native12_GLOBAL__N_18offset_tEEE10hipError_tPvRmT1_PNSt15iterator_traitsIS12_E10value_typeET2_T3_PNS13_IS18_E10value_typeET4_jRbjT5_S1E_jjP12ihipStream_tbEUljE_ZNSN_ISO_Lb1ESQ_SR_ST_SU_SY_EESZ_S10_S11_S12_S16_S17_S18_S1B_S1C_jS1D_jS1E_S1E_jjS1G_bEUljE0_EEESZ_S10_S11_S18_S1C_S1E_T6_T7_T9_mT8_S1G_bDpT10_ENKUlT_T0_E_clISt17integral_constantIbLb1EES1T_IbLb0EEEEDaS1P_S1Q_EUlS1P_E_NS1_11comp_targetILNS1_3genE2ELNS1_11target_archE906ELNS1_3gpuE6ELNS1_3repE0EEENS1_30default_config_static_selectorELNS0_4arch9wavefront6targetE0EEEvS12_, .Lfunc_end1480-_ZN7rocprim17ROCPRIM_400000_NS6detail17trampoline_kernelINS0_13select_configILj256ELj13ELNS0_17block_load_methodE3ELS4_3ELS4_3ELNS0_20block_scan_algorithmE0ELj4294967295EEENS1_25partition_config_selectorILNS1_17partition_subalgoE4EjNS0_10empty_typeEbEEZZNS1_14partition_implILS8_4ELb0ES6_15HIP_vector_typeIjLj2EENS0_17counting_iteratorIjlEEPS9_SG_NS0_5tupleIJPjSI_NS0_16reverse_iteratorISI_EEEEENSH_IJSG_SG_SG_EEES9_SI_JZNS1_25segmented_radix_sort_implINS0_14default_configELb1EPKbPbPKlPlN2at6native12_GLOBAL__N_18offset_tEEE10hipError_tPvRmT1_PNSt15iterator_traitsIS12_E10value_typeET2_T3_PNS13_IS18_E10value_typeET4_jRbjT5_S1E_jjP12ihipStream_tbEUljE_ZNSN_ISO_Lb1ESQ_SR_ST_SU_SY_EESZ_S10_S11_S12_S16_S17_S18_S1B_S1C_jS1D_jS1E_S1E_jjS1G_bEUljE0_EEESZ_S10_S11_S18_S1C_S1E_T6_T7_T9_mT8_S1G_bDpT10_ENKUlT_T0_E_clISt17integral_constantIbLb1EES1T_IbLb0EEEEDaS1P_S1Q_EUlS1P_E_NS1_11comp_targetILNS1_3genE2ELNS1_11target_archE906ELNS1_3gpuE6ELNS1_3repE0EEENS1_30default_config_static_selectorELNS0_4arch9wavefront6targetE0EEEvS12_
                                        ; -- End function
	.set _ZN7rocprim17ROCPRIM_400000_NS6detail17trampoline_kernelINS0_13select_configILj256ELj13ELNS0_17block_load_methodE3ELS4_3ELS4_3ELNS0_20block_scan_algorithmE0ELj4294967295EEENS1_25partition_config_selectorILNS1_17partition_subalgoE4EjNS0_10empty_typeEbEEZZNS1_14partition_implILS8_4ELb0ES6_15HIP_vector_typeIjLj2EENS0_17counting_iteratorIjlEEPS9_SG_NS0_5tupleIJPjSI_NS0_16reverse_iteratorISI_EEEEENSH_IJSG_SG_SG_EEES9_SI_JZNS1_25segmented_radix_sort_implINS0_14default_configELb1EPKbPbPKlPlN2at6native12_GLOBAL__N_18offset_tEEE10hipError_tPvRmT1_PNSt15iterator_traitsIS12_E10value_typeET2_T3_PNS13_IS18_E10value_typeET4_jRbjT5_S1E_jjP12ihipStream_tbEUljE_ZNSN_ISO_Lb1ESQ_SR_ST_SU_SY_EESZ_S10_S11_S12_S16_S17_S18_S1B_S1C_jS1D_jS1E_S1E_jjS1G_bEUljE0_EEESZ_S10_S11_S18_S1C_S1E_T6_T7_T9_mT8_S1G_bDpT10_ENKUlT_T0_E_clISt17integral_constantIbLb1EES1T_IbLb0EEEEDaS1P_S1Q_EUlS1P_E_NS1_11comp_targetILNS1_3genE2ELNS1_11target_archE906ELNS1_3gpuE6ELNS1_3repE0EEENS1_30default_config_static_selectorELNS0_4arch9wavefront6targetE0EEEvS12_.num_vgpr, 0
	.set _ZN7rocprim17ROCPRIM_400000_NS6detail17trampoline_kernelINS0_13select_configILj256ELj13ELNS0_17block_load_methodE3ELS4_3ELS4_3ELNS0_20block_scan_algorithmE0ELj4294967295EEENS1_25partition_config_selectorILNS1_17partition_subalgoE4EjNS0_10empty_typeEbEEZZNS1_14partition_implILS8_4ELb0ES6_15HIP_vector_typeIjLj2EENS0_17counting_iteratorIjlEEPS9_SG_NS0_5tupleIJPjSI_NS0_16reverse_iteratorISI_EEEEENSH_IJSG_SG_SG_EEES9_SI_JZNS1_25segmented_radix_sort_implINS0_14default_configELb1EPKbPbPKlPlN2at6native12_GLOBAL__N_18offset_tEEE10hipError_tPvRmT1_PNSt15iterator_traitsIS12_E10value_typeET2_T3_PNS13_IS18_E10value_typeET4_jRbjT5_S1E_jjP12ihipStream_tbEUljE_ZNSN_ISO_Lb1ESQ_SR_ST_SU_SY_EESZ_S10_S11_S12_S16_S17_S18_S1B_S1C_jS1D_jS1E_S1E_jjS1G_bEUljE0_EEESZ_S10_S11_S18_S1C_S1E_T6_T7_T9_mT8_S1G_bDpT10_ENKUlT_T0_E_clISt17integral_constantIbLb1EES1T_IbLb0EEEEDaS1P_S1Q_EUlS1P_E_NS1_11comp_targetILNS1_3genE2ELNS1_11target_archE906ELNS1_3gpuE6ELNS1_3repE0EEENS1_30default_config_static_selectorELNS0_4arch9wavefront6targetE0EEEvS12_.num_agpr, 0
	.set _ZN7rocprim17ROCPRIM_400000_NS6detail17trampoline_kernelINS0_13select_configILj256ELj13ELNS0_17block_load_methodE3ELS4_3ELS4_3ELNS0_20block_scan_algorithmE0ELj4294967295EEENS1_25partition_config_selectorILNS1_17partition_subalgoE4EjNS0_10empty_typeEbEEZZNS1_14partition_implILS8_4ELb0ES6_15HIP_vector_typeIjLj2EENS0_17counting_iteratorIjlEEPS9_SG_NS0_5tupleIJPjSI_NS0_16reverse_iteratorISI_EEEEENSH_IJSG_SG_SG_EEES9_SI_JZNS1_25segmented_radix_sort_implINS0_14default_configELb1EPKbPbPKlPlN2at6native12_GLOBAL__N_18offset_tEEE10hipError_tPvRmT1_PNSt15iterator_traitsIS12_E10value_typeET2_T3_PNS13_IS18_E10value_typeET4_jRbjT5_S1E_jjP12ihipStream_tbEUljE_ZNSN_ISO_Lb1ESQ_SR_ST_SU_SY_EESZ_S10_S11_S12_S16_S17_S18_S1B_S1C_jS1D_jS1E_S1E_jjS1G_bEUljE0_EEESZ_S10_S11_S18_S1C_S1E_T6_T7_T9_mT8_S1G_bDpT10_ENKUlT_T0_E_clISt17integral_constantIbLb1EES1T_IbLb0EEEEDaS1P_S1Q_EUlS1P_E_NS1_11comp_targetILNS1_3genE2ELNS1_11target_archE906ELNS1_3gpuE6ELNS1_3repE0EEENS1_30default_config_static_selectorELNS0_4arch9wavefront6targetE0EEEvS12_.numbered_sgpr, 0
	.set _ZN7rocprim17ROCPRIM_400000_NS6detail17trampoline_kernelINS0_13select_configILj256ELj13ELNS0_17block_load_methodE3ELS4_3ELS4_3ELNS0_20block_scan_algorithmE0ELj4294967295EEENS1_25partition_config_selectorILNS1_17partition_subalgoE4EjNS0_10empty_typeEbEEZZNS1_14partition_implILS8_4ELb0ES6_15HIP_vector_typeIjLj2EENS0_17counting_iteratorIjlEEPS9_SG_NS0_5tupleIJPjSI_NS0_16reverse_iteratorISI_EEEEENSH_IJSG_SG_SG_EEES9_SI_JZNS1_25segmented_radix_sort_implINS0_14default_configELb1EPKbPbPKlPlN2at6native12_GLOBAL__N_18offset_tEEE10hipError_tPvRmT1_PNSt15iterator_traitsIS12_E10value_typeET2_T3_PNS13_IS18_E10value_typeET4_jRbjT5_S1E_jjP12ihipStream_tbEUljE_ZNSN_ISO_Lb1ESQ_SR_ST_SU_SY_EESZ_S10_S11_S12_S16_S17_S18_S1B_S1C_jS1D_jS1E_S1E_jjS1G_bEUljE0_EEESZ_S10_S11_S18_S1C_S1E_T6_T7_T9_mT8_S1G_bDpT10_ENKUlT_T0_E_clISt17integral_constantIbLb1EES1T_IbLb0EEEEDaS1P_S1Q_EUlS1P_E_NS1_11comp_targetILNS1_3genE2ELNS1_11target_archE906ELNS1_3gpuE6ELNS1_3repE0EEENS1_30default_config_static_selectorELNS0_4arch9wavefront6targetE0EEEvS12_.num_named_barrier, 0
	.set _ZN7rocprim17ROCPRIM_400000_NS6detail17trampoline_kernelINS0_13select_configILj256ELj13ELNS0_17block_load_methodE3ELS4_3ELS4_3ELNS0_20block_scan_algorithmE0ELj4294967295EEENS1_25partition_config_selectorILNS1_17partition_subalgoE4EjNS0_10empty_typeEbEEZZNS1_14partition_implILS8_4ELb0ES6_15HIP_vector_typeIjLj2EENS0_17counting_iteratorIjlEEPS9_SG_NS0_5tupleIJPjSI_NS0_16reverse_iteratorISI_EEEEENSH_IJSG_SG_SG_EEES9_SI_JZNS1_25segmented_radix_sort_implINS0_14default_configELb1EPKbPbPKlPlN2at6native12_GLOBAL__N_18offset_tEEE10hipError_tPvRmT1_PNSt15iterator_traitsIS12_E10value_typeET2_T3_PNS13_IS18_E10value_typeET4_jRbjT5_S1E_jjP12ihipStream_tbEUljE_ZNSN_ISO_Lb1ESQ_SR_ST_SU_SY_EESZ_S10_S11_S12_S16_S17_S18_S1B_S1C_jS1D_jS1E_S1E_jjS1G_bEUljE0_EEESZ_S10_S11_S18_S1C_S1E_T6_T7_T9_mT8_S1G_bDpT10_ENKUlT_T0_E_clISt17integral_constantIbLb1EES1T_IbLb0EEEEDaS1P_S1Q_EUlS1P_E_NS1_11comp_targetILNS1_3genE2ELNS1_11target_archE906ELNS1_3gpuE6ELNS1_3repE0EEENS1_30default_config_static_selectorELNS0_4arch9wavefront6targetE0EEEvS12_.private_seg_size, 0
	.set _ZN7rocprim17ROCPRIM_400000_NS6detail17trampoline_kernelINS0_13select_configILj256ELj13ELNS0_17block_load_methodE3ELS4_3ELS4_3ELNS0_20block_scan_algorithmE0ELj4294967295EEENS1_25partition_config_selectorILNS1_17partition_subalgoE4EjNS0_10empty_typeEbEEZZNS1_14partition_implILS8_4ELb0ES6_15HIP_vector_typeIjLj2EENS0_17counting_iteratorIjlEEPS9_SG_NS0_5tupleIJPjSI_NS0_16reverse_iteratorISI_EEEEENSH_IJSG_SG_SG_EEES9_SI_JZNS1_25segmented_radix_sort_implINS0_14default_configELb1EPKbPbPKlPlN2at6native12_GLOBAL__N_18offset_tEEE10hipError_tPvRmT1_PNSt15iterator_traitsIS12_E10value_typeET2_T3_PNS13_IS18_E10value_typeET4_jRbjT5_S1E_jjP12ihipStream_tbEUljE_ZNSN_ISO_Lb1ESQ_SR_ST_SU_SY_EESZ_S10_S11_S12_S16_S17_S18_S1B_S1C_jS1D_jS1E_S1E_jjS1G_bEUljE0_EEESZ_S10_S11_S18_S1C_S1E_T6_T7_T9_mT8_S1G_bDpT10_ENKUlT_T0_E_clISt17integral_constantIbLb1EES1T_IbLb0EEEEDaS1P_S1Q_EUlS1P_E_NS1_11comp_targetILNS1_3genE2ELNS1_11target_archE906ELNS1_3gpuE6ELNS1_3repE0EEENS1_30default_config_static_selectorELNS0_4arch9wavefront6targetE0EEEvS12_.uses_vcc, 0
	.set _ZN7rocprim17ROCPRIM_400000_NS6detail17trampoline_kernelINS0_13select_configILj256ELj13ELNS0_17block_load_methodE3ELS4_3ELS4_3ELNS0_20block_scan_algorithmE0ELj4294967295EEENS1_25partition_config_selectorILNS1_17partition_subalgoE4EjNS0_10empty_typeEbEEZZNS1_14partition_implILS8_4ELb0ES6_15HIP_vector_typeIjLj2EENS0_17counting_iteratorIjlEEPS9_SG_NS0_5tupleIJPjSI_NS0_16reverse_iteratorISI_EEEEENSH_IJSG_SG_SG_EEES9_SI_JZNS1_25segmented_radix_sort_implINS0_14default_configELb1EPKbPbPKlPlN2at6native12_GLOBAL__N_18offset_tEEE10hipError_tPvRmT1_PNSt15iterator_traitsIS12_E10value_typeET2_T3_PNS13_IS18_E10value_typeET4_jRbjT5_S1E_jjP12ihipStream_tbEUljE_ZNSN_ISO_Lb1ESQ_SR_ST_SU_SY_EESZ_S10_S11_S12_S16_S17_S18_S1B_S1C_jS1D_jS1E_S1E_jjS1G_bEUljE0_EEESZ_S10_S11_S18_S1C_S1E_T6_T7_T9_mT8_S1G_bDpT10_ENKUlT_T0_E_clISt17integral_constantIbLb1EES1T_IbLb0EEEEDaS1P_S1Q_EUlS1P_E_NS1_11comp_targetILNS1_3genE2ELNS1_11target_archE906ELNS1_3gpuE6ELNS1_3repE0EEENS1_30default_config_static_selectorELNS0_4arch9wavefront6targetE0EEEvS12_.uses_flat_scratch, 0
	.set _ZN7rocprim17ROCPRIM_400000_NS6detail17trampoline_kernelINS0_13select_configILj256ELj13ELNS0_17block_load_methodE3ELS4_3ELS4_3ELNS0_20block_scan_algorithmE0ELj4294967295EEENS1_25partition_config_selectorILNS1_17partition_subalgoE4EjNS0_10empty_typeEbEEZZNS1_14partition_implILS8_4ELb0ES6_15HIP_vector_typeIjLj2EENS0_17counting_iteratorIjlEEPS9_SG_NS0_5tupleIJPjSI_NS0_16reverse_iteratorISI_EEEEENSH_IJSG_SG_SG_EEES9_SI_JZNS1_25segmented_radix_sort_implINS0_14default_configELb1EPKbPbPKlPlN2at6native12_GLOBAL__N_18offset_tEEE10hipError_tPvRmT1_PNSt15iterator_traitsIS12_E10value_typeET2_T3_PNS13_IS18_E10value_typeET4_jRbjT5_S1E_jjP12ihipStream_tbEUljE_ZNSN_ISO_Lb1ESQ_SR_ST_SU_SY_EESZ_S10_S11_S12_S16_S17_S18_S1B_S1C_jS1D_jS1E_S1E_jjS1G_bEUljE0_EEESZ_S10_S11_S18_S1C_S1E_T6_T7_T9_mT8_S1G_bDpT10_ENKUlT_T0_E_clISt17integral_constantIbLb1EES1T_IbLb0EEEEDaS1P_S1Q_EUlS1P_E_NS1_11comp_targetILNS1_3genE2ELNS1_11target_archE906ELNS1_3gpuE6ELNS1_3repE0EEENS1_30default_config_static_selectorELNS0_4arch9wavefront6targetE0EEEvS12_.has_dyn_sized_stack, 0
	.set _ZN7rocprim17ROCPRIM_400000_NS6detail17trampoline_kernelINS0_13select_configILj256ELj13ELNS0_17block_load_methodE3ELS4_3ELS4_3ELNS0_20block_scan_algorithmE0ELj4294967295EEENS1_25partition_config_selectorILNS1_17partition_subalgoE4EjNS0_10empty_typeEbEEZZNS1_14partition_implILS8_4ELb0ES6_15HIP_vector_typeIjLj2EENS0_17counting_iteratorIjlEEPS9_SG_NS0_5tupleIJPjSI_NS0_16reverse_iteratorISI_EEEEENSH_IJSG_SG_SG_EEES9_SI_JZNS1_25segmented_radix_sort_implINS0_14default_configELb1EPKbPbPKlPlN2at6native12_GLOBAL__N_18offset_tEEE10hipError_tPvRmT1_PNSt15iterator_traitsIS12_E10value_typeET2_T3_PNS13_IS18_E10value_typeET4_jRbjT5_S1E_jjP12ihipStream_tbEUljE_ZNSN_ISO_Lb1ESQ_SR_ST_SU_SY_EESZ_S10_S11_S12_S16_S17_S18_S1B_S1C_jS1D_jS1E_S1E_jjS1G_bEUljE0_EEESZ_S10_S11_S18_S1C_S1E_T6_T7_T9_mT8_S1G_bDpT10_ENKUlT_T0_E_clISt17integral_constantIbLb1EES1T_IbLb0EEEEDaS1P_S1Q_EUlS1P_E_NS1_11comp_targetILNS1_3genE2ELNS1_11target_archE906ELNS1_3gpuE6ELNS1_3repE0EEENS1_30default_config_static_selectorELNS0_4arch9wavefront6targetE0EEEvS12_.has_recursion, 0
	.set _ZN7rocprim17ROCPRIM_400000_NS6detail17trampoline_kernelINS0_13select_configILj256ELj13ELNS0_17block_load_methodE3ELS4_3ELS4_3ELNS0_20block_scan_algorithmE0ELj4294967295EEENS1_25partition_config_selectorILNS1_17partition_subalgoE4EjNS0_10empty_typeEbEEZZNS1_14partition_implILS8_4ELb0ES6_15HIP_vector_typeIjLj2EENS0_17counting_iteratorIjlEEPS9_SG_NS0_5tupleIJPjSI_NS0_16reverse_iteratorISI_EEEEENSH_IJSG_SG_SG_EEES9_SI_JZNS1_25segmented_radix_sort_implINS0_14default_configELb1EPKbPbPKlPlN2at6native12_GLOBAL__N_18offset_tEEE10hipError_tPvRmT1_PNSt15iterator_traitsIS12_E10value_typeET2_T3_PNS13_IS18_E10value_typeET4_jRbjT5_S1E_jjP12ihipStream_tbEUljE_ZNSN_ISO_Lb1ESQ_SR_ST_SU_SY_EESZ_S10_S11_S12_S16_S17_S18_S1B_S1C_jS1D_jS1E_S1E_jjS1G_bEUljE0_EEESZ_S10_S11_S18_S1C_S1E_T6_T7_T9_mT8_S1G_bDpT10_ENKUlT_T0_E_clISt17integral_constantIbLb1EES1T_IbLb0EEEEDaS1P_S1Q_EUlS1P_E_NS1_11comp_targetILNS1_3genE2ELNS1_11target_archE906ELNS1_3gpuE6ELNS1_3repE0EEENS1_30default_config_static_selectorELNS0_4arch9wavefront6targetE0EEEvS12_.has_indirect_call, 0
	.section	.AMDGPU.csdata,"",@progbits
; Kernel info:
; codeLenInByte = 0
; TotalNumSgprs: 0
; NumVgprs: 0
; ScratchSize: 0
; MemoryBound: 0
; FloatMode: 240
; IeeeMode: 1
; LDSByteSize: 0 bytes/workgroup (compile time only)
; SGPRBlocks: 0
; VGPRBlocks: 0
; NumSGPRsForWavesPerEU: 1
; NumVGPRsForWavesPerEU: 1
; Occupancy: 16
; WaveLimiterHint : 0
; COMPUTE_PGM_RSRC2:SCRATCH_EN: 0
; COMPUTE_PGM_RSRC2:USER_SGPR: 6
; COMPUTE_PGM_RSRC2:TRAP_HANDLER: 0
; COMPUTE_PGM_RSRC2:TGID_X_EN: 1
; COMPUTE_PGM_RSRC2:TGID_Y_EN: 0
; COMPUTE_PGM_RSRC2:TGID_Z_EN: 0
; COMPUTE_PGM_RSRC2:TIDIG_COMP_CNT: 0
	.section	.text._ZN7rocprim17ROCPRIM_400000_NS6detail17trampoline_kernelINS0_13select_configILj256ELj13ELNS0_17block_load_methodE3ELS4_3ELS4_3ELNS0_20block_scan_algorithmE0ELj4294967295EEENS1_25partition_config_selectorILNS1_17partition_subalgoE4EjNS0_10empty_typeEbEEZZNS1_14partition_implILS8_4ELb0ES6_15HIP_vector_typeIjLj2EENS0_17counting_iteratorIjlEEPS9_SG_NS0_5tupleIJPjSI_NS0_16reverse_iteratorISI_EEEEENSH_IJSG_SG_SG_EEES9_SI_JZNS1_25segmented_radix_sort_implINS0_14default_configELb1EPKbPbPKlPlN2at6native12_GLOBAL__N_18offset_tEEE10hipError_tPvRmT1_PNSt15iterator_traitsIS12_E10value_typeET2_T3_PNS13_IS18_E10value_typeET4_jRbjT5_S1E_jjP12ihipStream_tbEUljE_ZNSN_ISO_Lb1ESQ_SR_ST_SU_SY_EESZ_S10_S11_S12_S16_S17_S18_S1B_S1C_jS1D_jS1E_S1E_jjS1G_bEUljE0_EEESZ_S10_S11_S18_S1C_S1E_T6_T7_T9_mT8_S1G_bDpT10_ENKUlT_T0_E_clISt17integral_constantIbLb1EES1T_IbLb0EEEEDaS1P_S1Q_EUlS1P_E_NS1_11comp_targetILNS1_3genE10ELNS1_11target_archE1200ELNS1_3gpuE4ELNS1_3repE0EEENS1_30default_config_static_selectorELNS0_4arch9wavefront6targetE0EEEvS12_,"axG",@progbits,_ZN7rocprim17ROCPRIM_400000_NS6detail17trampoline_kernelINS0_13select_configILj256ELj13ELNS0_17block_load_methodE3ELS4_3ELS4_3ELNS0_20block_scan_algorithmE0ELj4294967295EEENS1_25partition_config_selectorILNS1_17partition_subalgoE4EjNS0_10empty_typeEbEEZZNS1_14partition_implILS8_4ELb0ES6_15HIP_vector_typeIjLj2EENS0_17counting_iteratorIjlEEPS9_SG_NS0_5tupleIJPjSI_NS0_16reverse_iteratorISI_EEEEENSH_IJSG_SG_SG_EEES9_SI_JZNS1_25segmented_radix_sort_implINS0_14default_configELb1EPKbPbPKlPlN2at6native12_GLOBAL__N_18offset_tEEE10hipError_tPvRmT1_PNSt15iterator_traitsIS12_E10value_typeET2_T3_PNS13_IS18_E10value_typeET4_jRbjT5_S1E_jjP12ihipStream_tbEUljE_ZNSN_ISO_Lb1ESQ_SR_ST_SU_SY_EESZ_S10_S11_S12_S16_S17_S18_S1B_S1C_jS1D_jS1E_S1E_jjS1G_bEUljE0_EEESZ_S10_S11_S18_S1C_S1E_T6_T7_T9_mT8_S1G_bDpT10_ENKUlT_T0_E_clISt17integral_constantIbLb1EES1T_IbLb0EEEEDaS1P_S1Q_EUlS1P_E_NS1_11comp_targetILNS1_3genE10ELNS1_11target_archE1200ELNS1_3gpuE4ELNS1_3repE0EEENS1_30default_config_static_selectorELNS0_4arch9wavefront6targetE0EEEvS12_,comdat
	.globl	_ZN7rocprim17ROCPRIM_400000_NS6detail17trampoline_kernelINS0_13select_configILj256ELj13ELNS0_17block_load_methodE3ELS4_3ELS4_3ELNS0_20block_scan_algorithmE0ELj4294967295EEENS1_25partition_config_selectorILNS1_17partition_subalgoE4EjNS0_10empty_typeEbEEZZNS1_14partition_implILS8_4ELb0ES6_15HIP_vector_typeIjLj2EENS0_17counting_iteratorIjlEEPS9_SG_NS0_5tupleIJPjSI_NS0_16reverse_iteratorISI_EEEEENSH_IJSG_SG_SG_EEES9_SI_JZNS1_25segmented_radix_sort_implINS0_14default_configELb1EPKbPbPKlPlN2at6native12_GLOBAL__N_18offset_tEEE10hipError_tPvRmT1_PNSt15iterator_traitsIS12_E10value_typeET2_T3_PNS13_IS18_E10value_typeET4_jRbjT5_S1E_jjP12ihipStream_tbEUljE_ZNSN_ISO_Lb1ESQ_SR_ST_SU_SY_EESZ_S10_S11_S12_S16_S17_S18_S1B_S1C_jS1D_jS1E_S1E_jjS1G_bEUljE0_EEESZ_S10_S11_S18_S1C_S1E_T6_T7_T9_mT8_S1G_bDpT10_ENKUlT_T0_E_clISt17integral_constantIbLb1EES1T_IbLb0EEEEDaS1P_S1Q_EUlS1P_E_NS1_11comp_targetILNS1_3genE10ELNS1_11target_archE1200ELNS1_3gpuE4ELNS1_3repE0EEENS1_30default_config_static_selectorELNS0_4arch9wavefront6targetE0EEEvS12_ ; -- Begin function _ZN7rocprim17ROCPRIM_400000_NS6detail17trampoline_kernelINS0_13select_configILj256ELj13ELNS0_17block_load_methodE3ELS4_3ELS4_3ELNS0_20block_scan_algorithmE0ELj4294967295EEENS1_25partition_config_selectorILNS1_17partition_subalgoE4EjNS0_10empty_typeEbEEZZNS1_14partition_implILS8_4ELb0ES6_15HIP_vector_typeIjLj2EENS0_17counting_iteratorIjlEEPS9_SG_NS0_5tupleIJPjSI_NS0_16reverse_iteratorISI_EEEEENSH_IJSG_SG_SG_EEES9_SI_JZNS1_25segmented_radix_sort_implINS0_14default_configELb1EPKbPbPKlPlN2at6native12_GLOBAL__N_18offset_tEEE10hipError_tPvRmT1_PNSt15iterator_traitsIS12_E10value_typeET2_T3_PNS13_IS18_E10value_typeET4_jRbjT5_S1E_jjP12ihipStream_tbEUljE_ZNSN_ISO_Lb1ESQ_SR_ST_SU_SY_EESZ_S10_S11_S12_S16_S17_S18_S1B_S1C_jS1D_jS1E_S1E_jjS1G_bEUljE0_EEESZ_S10_S11_S18_S1C_S1E_T6_T7_T9_mT8_S1G_bDpT10_ENKUlT_T0_E_clISt17integral_constantIbLb1EES1T_IbLb0EEEEDaS1P_S1Q_EUlS1P_E_NS1_11comp_targetILNS1_3genE10ELNS1_11target_archE1200ELNS1_3gpuE4ELNS1_3repE0EEENS1_30default_config_static_selectorELNS0_4arch9wavefront6targetE0EEEvS12_
	.p2align	8
	.type	_ZN7rocprim17ROCPRIM_400000_NS6detail17trampoline_kernelINS0_13select_configILj256ELj13ELNS0_17block_load_methodE3ELS4_3ELS4_3ELNS0_20block_scan_algorithmE0ELj4294967295EEENS1_25partition_config_selectorILNS1_17partition_subalgoE4EjNS0_10empty_typeEbEEZZNS1_14partition_implILS8_4ELb0ES6_15HIP_vector_typeIjLj2EENS0_17counting_iteratorIjlEEPS9_SG_NS0_5tupleIJPjSI_NS0_16reverse_iteratorISI_EEEEENSH_IJSG_SG_SG_EEES9_SI_JZNS1_25segmented_radix_sort_implINS0_14default_configELb1EPKbPbPKlPlN2at6native12_GLOBAL__N_18offset_tEEE10hipError_tPvRmT1_PNSt15iterator_traitsIS12_E10value_typeET2_T3_PNS13_IS18_E10value_typeET4_jRbjT5_S1E_jjP12ihipStream_tbEUljE_ZNSN_ISO_Lb1ESQ_SR_ST_SU_SY_EESZ_S10_S11_S12_S16_S17_S18_S1B_S1C_jS1D_jS1E_S1E_jjS1G_bEUljE0_EEESZ_S10_S11_S18_S1C_S1E_T6_T7_T9_mT8_S1G_bDpT10_ENKUlT_T0_E_clISt17integral_constantIbLb1EES1T_IbLb0EEEEDaS1P_S1Q_EUlS1P_E_NS1_11comp_targetILNS1_3genE10ELNS1_11target_archE1200ELNS1_3gpuE4ELNS1_3repE0EEENS1_30default_config_static_selectorELNS0_4arch9wavefront6targetE0EEEvS12_,@function
_ZN7rocprim17ROCPRIM_400000_NS6detail17trampoline_kernelINS0_13select_configILj256ELj13ELNS0_17block_load_methodE3ELS4_3ELS4_3ELNS0_20block_scan_algorithmE0ELj4294967295EEENS1_25partition_config_selectorILNS1_17partition_subalgoE4EjNS0_10empty_typeEbEEZZNS1_14partition_implILS8_4ELb0ES6_15HIP_vector_typeIjLj2EENS0_17counting_iteratorIjlEEPS9_SG_NS0_5tupleIJPjSI_NS0_16reverse_iteratorISI_EEEEENSH_IJSG_SG_SG_EEES9_SI_JZNS1_25segmented_radix_sort_implINS0_14default_configELb1EPKbPbPKlPlN2at6native12_GLOBAL__N_18offset_tEEE10hipError_tPvRmT1_PNSt15iterator_traitsIS12_E10value_typeET2_T3_PNS13_IS18_E10value_typeET4_jRbjT5_S1E_jjP12ihipStream_tbEUljE_ZNSN_ISO_Lb1ESQ_SR_ST_SU_SY_EESZ_S10_S11_S12_S16_S17_S18_S1B_S1C_jS1D_jS1E_S1E_jjS1G_bEUljE0_EEESZ_S10_S11_S18_S1C_S1E_T6_T7_T9_mT8_S1G_bDpT10_ENKUlT_T0_E_clISt17integral_constantIbLb1EES1T_IbLb0EEEEDaS1P_S1Q_EUlS1P_E_NS1_11comp_targetILNS1_3genE10ELNS1_11target_archE1200ELNS1_3gpuE4ELNS1_3repE0EEENS1_30default_config_static_selectorELNS0_4arch9wavefront6targetE0EEEvS12_: ; @_ZN7rocprim17ROCPRIM_400000_NS6detail17trampoline_kernelINS0_13select_configILj256ELj13ELNS0_17block_load_methodE3ELS4_3ELS4_3ELNS0_20block_scan_algorithmE0ELj4294967295EEENS1_25partition_config_selectorILNS1_17partition_subalgoE4EjNS0_10empty_typeEbEEZZNS1_14partition_implILS8_4ELb0ES6_15HIP_vector_typeIjLj2EENS0_17counting_iteratorIjlEEPS9_SG_NS0_5tupleIJPjSI_NS0_16reverse_iteratorISI_EEEEENSH_IJSG_SG_SG_EEES9_SI_JZNS1_25segmented_radix_sort_implINS0_14default_configELb1EPKbPbPKlPlN2at6native12_GLOBAL__N_18offset_tEEE10hipError_tPvRmT1_PNSt15iterator_traitsIS12_E10value_typeET2_T3_PNS13_IS18_E10value_typeET4_jRbjT5_S1E_jjP12ihipStream_tbEUljE_ZNSN_ISO_Lb1ESQ_SR_ST_SU_SY_EESZ_S10_S11_S12_S16_S17_S18_S1B_S1C_jS1D_jS1E_S1E_jjS1G_bEUljE0_EEESZ_S10_S11_S18_S1C_S1E_T6_T7_T9_mT8_S1G_bDpT10_ENKUlT_T0_E_clISt17integral_constantIbLb1EES1T_IbLb0EEEEDaS1P_S1Q_EUlS1P_E_NS1_11comp_targetILNS1_3genE10ELNS1_11target_archE1200ELNS1_3gpuE4ELNS1_3repE0EEENS1_30default_config_static_selectorELNS0_4arch9wavefront6targetE0EEEvS12_
; %bb.0:
	.section	.rodata,"a",@progbits
	.p2align	6, 0x0
	.amdhsa_kernel _ZN7rocprim17ROCPRIM_400000_NS6detail17trampoline_kernelINS0_13select_configILj256ELj13ELNS0_17block_load_methodE3ELS4_3ELS4_3ELNS0_20block_scan_algorithmE0ELj4294967295EEENS1_25partition_config_selectorILNS1_17partition_subalgoE4EjNS0_10empty_typeEbEEZZNS1_14partition_implILS8_4ELb0ES6_15HIP_vector_typeIjLj2EENS0_17counting_iteratorIjlEEPS9_SG_NS0_5tupleIJPjSI_NS0_16reverse_iteratorISI_EEEEENSH_IJSG_SG_SG_EEES9_SI_JZNS1_25segmented_radix_sort_implINS0_14default_configELb1EPKbPbPKlPlN2at6native12_GLOBAL__N_18offset_tEEE10hipError_tPvRmT1_PNSt15iterator_traitsIS12_E10value_typeET2_T3_PNS13_IS18_E10value_typeET4_jRbjT5_S1E_jjP12ihipStream_tbEUljE_ZNSN_ISO_Lb1ESQ_SR_ST_SU_SY_EESZ_S10_S11_S12_S16_S17_S18_S1B_S1C_jS1D_jS1E_S1E_jjS1G_bEUljE0_EEESZ_S10_S11_S18_S1C_S1E_T6_T7_T9_mT8_S1G_bDpT10_ENKUlT_T0_E_clISt17integral_constantIbLb1EES1T_IbLb0EEEEDaS1P_S1Q_EUlS1P_E_NS1_11comp_targetILNS1_3genE10ELNS1_11target_archE1200ELNS1_3gpuE4ELNS1_3repE0EEENS1_30default_config_static_selectorELNS0_4arch9wavefront6targetE0EEEvS12_
		.amdhsa_group_segment_fixed_size 0
		.amdhsa_private_segment_fixed_size 0
		.amdhsa_kernarg_size 176
		.amdhsa_user_sgpr_count 6
		.amdhsa_user_sgpr_private_segment_buffer 1
		.amdhsa_user_sgpr_dispatch_ptr 0
		.amdhsa_user_sgpr_queue_ptr 0
		.amdhsa_user_sgpr_kernarg_segment_ptr 1
		.amdhsa_user_sgpr_dispatch_id 0
		.amdhsa_user_sgpr_flat_scratch_init 0
		.amdhsa_user_sgpr_private_segment_size 0
		.amdhsa_wavefront_size32 1
		.amdhsa_uses_dynamic_stack 0
		.amdhsa_system_sgpr_private_segment_wavefront_offset 0
		.amdhsa_system_sgpr_workgroup_id_x 1
		.amdhsa_system_sgpr_workgroup_id_y 0
		.amdhsa_system_sgpr_workgroup_id_z 0
		.amdhsa_system_sgpr_workgroup_info 0
		.amdhsa_system_vgpr_workitem_id 0
		.amdhsa_next_free_vgpr 1
		.amdhsa_next_free_sgpr 1
		.amdhsa_reserve_vcc 0
		.amdhsa_reserve_flat_scratch 0
		.amdhsa_float_round_mode_32 0
		.amdhsa_float_round_mode_16_64 0
		.amdhsa_float_denorm_mode_32 3
		.amdhsa_float_denorm_mode_16_64 3
		.amdhsa_dx10_clamp 1
		.amdhsa_ieee_mode 1
		.amdhsa_fp16_overflow 0
		.amdhsa_workgroup_processor_mode 1
		.amdhsa_memory_ordered 1
		.amdhsa_forward_progress 1
		.amdhsa_shared_vgpr_count 0
		.amdhsa_exception_fp_ieee_invalid_op 0
		.amdhsa_exception_fp_denorm_src 0
		.amdhsa_exception_fp_ieee_div_zero 0
		.amdhsa_exception_fp_ieee_overflow 0
		.amdhsa_exception_fp_ieee_underflow 0
		.amdhsa_exception_fp_ieee_inexact 0
		.amdhsa_exception_int_div_zero 0
	.end_amdhsa_kernel
	.section	.text._ZN7rocprim17ROCPRIM_400000_NS6detail17trampoline_kernelINS0_13select_configILj256ELj13ELNS0_17block_load_methodE3ELS4_3ELS4_3ELNS0_20block_scan_algorithmE0ELj4294967295EEENS1_25partition_config_selectorILNS1_17partition_subalgoE4EjNS0_10empty_typeEbEEZZNS1_14partition_implILS8_4ELb0ES6_15HIP_vector_typeIjLj2EENS0_17counting_iteratorIjlEEPS9_SG_NS0_5tupleIJPjSI_NS0_16reverse_iteratorISI_EEEEENSH_IJSG_SG_SG_EEES9_SI_JZNS1_25segmented_radix_sort_implINS0_14default_configELb1EPKbPbPKlPlN2at6native12_GLOBAL__N_18offset_tEEE10hipError_tPvRmT1_PNSt15iterator_traitsIS12_E10value_typeET2_T3_PNS13_IS18_E10value_typeET4_jRbjT5_S1E_jjP12ihipStream_tbEUljE_ZNSN_ISO_Lb1ESQ_SR_ST_SU_SY_EESZ_S10_S11_S12_S16_S17_S18_S1B_S1C_jS1D_jS1E_S1E_jjS1G_bEUljE0_EEESZ_S10_S11_S18_S1C_S1E_T6_T7_T9_mT8_S1G_bDpT10_ENKUlT_T0_E_clISt17integral_constantIbLb1EES1T_IbLb0EEEEDaS1P_S1Q_EUlS1P_E_NS1_11comp_targetILNS1_3genE10ELNS1_11target_archE1200ELNS1_3gpuE4ELNS1_3repE0EEENS1_30default_config_static_selectorELNS0_4arch9wavefront6targetE0EEEvS12_,"axG",@progbits,_ZN7rocprim17ROCPRIM_400000_NS6detail17trampoline_kernelINS0_13select_configILj256ELj13ELNS0_17block_load_methodE3ELS4_3ELS4_3ELNS0_20block_scan_algorithmE0ELj4294967295EEENS1_25partition_config_selectorILNS1_17partition_subalgoE4EjNS0_10empty_typeEbEEZZNS1_14partition_implILS8_4ELb0ES6_15HIP_vector_typeIjLj2EENS0_17counting_iteratorIjlEEPS9_SG_NS0_5tupleIJPjSI_NS0_16reverse_iteratorISI_EEEEENSH_IJSG_SG_SG_EEES9_SI_JZNS1_25segmented_radix_sort_implINS0_14default_configELb1EPKbPbPKlPlN2at6native12_GLOBAL__N_18offset_tEEE10hipError_tPvRmT1_PNSt15iterator_traitsIS12_E10value_typeET2_T3_PNS13_IS18_E10value_typeET4_jRbjT5_S1E_jjP12ihipStream_tbEUljE_ZNSN_ISO_Lb1ESQ_SR_ST_SU_SY_EESZ_S10_S11_S12_S16_S17_S18_S1B_S1C_jS1D_jS1E_S1E_jjS1G_bEUljE0_EEESZ_S10_S11_S18_S1C_S1E_T6_T7_T9_mT8_S1G_bDpT10_ENKUlT_T0_E_clISt17integral_constantIbLb1EES1T_IbLb0EEEEDaS1P_S1Q_EUlS1P_E_NS1_11comp_targetILNS1_3genE10ELNS1_11target_archE1200ELNS1_3gpuE4ELNS1_3repE0EEENS1_30default_config_static_selectorELNS0_4arch9wavefront6targetE0EEEvS12_,comdat
.Lfunc_end1481:
	.size	_ZN7rocprim17ROCPRIM_400000_NS6detail17trampoline_kernelINS0_13select_configILj256ELj13ELNS0_17block_load_methodE3ELS4_3ELS4_3ELNS0_20block_scan_algorithmE0ELj4294967295EEENS1_25partition_config_selectorILNS1_17partition_subalgoE4EjNS0_10empty_typeEbEEZZNS1_14partition_implILS8_4ELb0ES6_15HIP_vector_typeIjLj2EENS0_17counting_iteratorIjlEEPS9_SG_NS0_5tupleIJPjSI_NS0_16reverse_iteratorISI_EEEEENSH_IJSG_SG_SG_EEES9_SI_JZNS1_25segmented_radix_sort_implINS0_14default_configELb1EPKbPbPKlPlN2at6native12_GLOBAL__N_18offset_tEEE10hipError_tPvRmT1_PNSt15iterator_traitsIS12_E10value_typeET2_T3_PNS13_IS18_E10value_typeET4_jRbjT5_S1E_jjP12ihipStream_tbEUljE_ZNSN_ISO_Lb1ESQ_SR_ST_SU_SY_EESZ_S10_S11_S12_S16_S17_S18_S1B_S1C_jS1D_jS1E_S1E_jjS1G_bEUljE0_EEESZ_S10_S11_S18_S1C_S1E_T6_T7_T9_mT8_S1G_bDpT10_ENKUlT_T0_E_clISt17integral_constantIbLb1EES1T_IbLb0EEEEDaS1P_S1Q_EUlS1P_E_NS1_11comp_targetILNS1_3genE10ELNS1_11target_archE1200ELNS1_3gpuE4ELNS1_3repE0EEENS1_30default_config_static_selectorELNS0_4arch9wavefront6targetE0EEEvS12_, .Lfunc_end1481-_ZN7rocprim17ROCPRIM_400000_NS6detail17trampoline_kernelINS0_13select_configILj256ELj13ELNS0_17block_load_methodE3ELS4_3ELS4_3ELNS0_20block_scan_algorithmE0ELj4294967295EEENS1_25partition_config_selectorILNS1_17partition_subalgoE4EjNS0_10empty_typeEbEEZZNS1_14partition_implILS8_4ELb0ES6_15HIP_vector_typeIjLj2EENS0_17counting_iteratorIjlEEPS9_SG_NS0_5tupleIJPjSI_NS0_16reverse_iteratorISI_EEEEENSH_IJSG_SG_SG_EEES9_SI_JZNS1_25segmented_radix_sort_implINS0_14default_configELb1EPKbPbPKlPlN2at6native12_GLOBAL__N_18offset_tEEE10hipError_tPvRmT1_PNSt15iterator_traitsIS12_E10value_typeET2_T3_PNS13_IS18_E10value_typeET4_jRbjT5_S1E_jjP12ihipStream_tbEUljE_ZNSN_ISO_Lb1ESQ_SR_ST_SU_SY_EESZ_S10_S11_S12_S16_S17_S18_S1B_S1C_jS1D_jS1E_S1E_jjS1G_bEUljE0_EEESZ_S10_S11_S18_S1C_S1E_T6_T7_T9_mT8_S1G_bDpT10_ENKUlT_T0_E_clISt17integral_constantIbLb1EES1T_IbLb0EEEEDaS1P_S1Q_EUlS1P_E_NS1_11comp_targetILNS1_3genE10ELNS1_11target_archE1200ELNS1_3gpuE4ELNS1_3repE0EEENS1_30default_config_static_selectorELNS0_4arch9wavefront6targetE0EEEvS12_
                                        ; -- End function
	.set _ZN7rocprim17ROCPRIM_400000_NS6detail17trampoline_kernelINS0_13select_configILj256ELj13ELNS0_17block_load_methodE3ELS4_3ELS4_3ELNS0_20block_scan_algorithmE0ELj4294967295EEENS1_25partition_config_selectorILNS1_17partition_subalgoE4EjNS0_10empty_typeEbEEZZNS1_14partition_implILS8_4ELb0ES6_15HIP_vector_typeIjLj2EENS0_17counting_iteratorIjlEEPS9_SG_NS0_5tupleIJPjSI_NS0_16reverse_iteratorISI_EEEEENSH_IJSG_SG_SG_EEES9_SI_JZNS1_25segmented_radix_sort_implINS0_14default_configELb1EPKbPbPKlPlN2at6native12_GLOBAL__N_18offset_tEEE10hipError_tPvRmT1_PNSt15iterator_traitsIS12_E10value_typeET2_T3_PNS13_IS18_E10value_typeET4_jRbjT5_S1E_jjP12ihipStream_tbEUljE_ZNSN_ISO_Lb1ESQ_SR_ST_SU_SY_EESZ_S10_S11_S12_S16_S17_S18_S1B_S1C_jS1D_jS1E_S1E_jjS1G_bEUljE0_EEESZ_S10_S11_S18_S1C_S1E_T6_T7_T9_mT8_S1G_bDpT10_ENKUlT_T0_E_clISt17integral_constantIbLb1EES1T_IbLb0EEEEDaS1P_S1Q_EUlS1P_E_NS1_11comp_targetILNS1_3genE10ELNS1_11target_archE1200ELNS1_3gpuE4ELNS1_3repE0EEENS1_30default_config_static_selectorELNS0_4arch9wavefront6targetE0EEEvS12_.num_vgpr, 0
	.set _ZN7rocprim17ROCPRIM_400000_NS6detail17trampoline_kernelINS0_13select_configILj256ELj13ELNS0_17block_load_methodE3ELS4_3ELS4_3ELNS0_20block_scan_algorithmE0ELj4294967295EEENS1_25partition_config_selectorILNS1_17partition_subalgoE4EjNS0_10empty_typeEbEEZZNS1_14partition_implILS8_4ELb0ES6_15HIP_vector_typeIjLj2EENS0_17counting_iteratorIjlEEPS9_SG_NS0_5tupleIJPjSI_NS0_16reverse_iteratorISI_EEEEENSH_IJSG_SG_SG_EEES9_SI_JZNS1_25segmented_radix_sort_implINS0_14default_configELb1EPKbPbPKlPlN2at6native12_GLOBAL__N_18offset_tEEE10hipError_tPvRmT1_PNSt15iterator_traitsIS12_E10value_typeET2_T3_PNS13_IS18_E10value_typeET4_jRbjT5_S1E_jjP12ihipStream_tbEUljE_ZNSN_ISO_Lb1ESQ_SR_ST_SU_SY_EESZ_S10_S11_S12_S16_S17_S18_S1B_S1C_jS1D_jS1E_S1E_jjS1G_bEUljE0_EEESZ_S10_S11_S18_S1C_S1E_T6_T7_T9_mT8_S1G_bDpT10_ENKUlT_T0_E_clISt17integral_constantIbLb1EES1T_IbLb0EEEEDaS1P_S1Q_EUlS1P_E_NS1_11comp_targetILNS1_3genE10ELNS1_11target_archE1200ELNS1_3gpuE4ELNS1_3repE0EEENS1_30default_config_static_selectorELNS0_4arch9wavefront6targetE0EEEvS12_.num_agpr, 0
	.set _ZN7rocprim17ROCPRIM_400000_NS6detail17trampoline_kernelINS0_13select_configILj256ELj13ELNS0_17block_load_methodE3ELS4_3ELS4_3ELNS0_20block_scan_algorithmE0ELj4294967295EEENS1_25partition_config_selectorILNS1_17partition_subalgoE4EjNS0_10empty_typeEbEEZZNS1_14partition_implILS8_4ELb0ES6_15HIP_vector_typeIjLj2EENS0_17counting_iteratorIjlEEPS9_SG_NS0_5tupleIJPjSI_NS0_16reverse_iteratorISI_EEEEENSH_IJSG_SG_SG_EEES9_SI_JZNS1_25segmented_radix_sort_implINS0_14default_configELb1EPKbPbPKlPlN2at6native12_GLOBAL__N_18offset_tEEE10hipError_tPvRmT1_PNSt15iterator_traitsIS12_E10value_typeET2_T3_PNS13_IS18_E10value_typeET4_jRbjT5_S1E_jjP12ihipStream_tbEUljE_ZNSN_ISO_Lb1ESQ_SR_ST_SU_SY_EESZ_S10_S11_S12_S16_S17_S18_S1B_S1C_jS1D_jS1E_S1E_jjS1G_bEUljE0_EEESZ_S10_S11_S18_S1C_S1E_T6_T7_T9_mT8_S1G_bDpT10_ENKUlT_T0_E_clISt17integral_constantIbLb1EES1T_IbLb0EEEEDaS1P_S1Q_EUlS1P_E_NS1_11comp_targetILNS1_3genE10ELNS1_11target_archE1200ELNS1_3gpuE4ELNS1_3repE0EEENS1_30default_config_static_selectorELNS0_4arch9wavefront6targetE0EEEvS12_.numbered_sgpr, 0
	.set _ZN7rocprim17ROCPRIM_400000_NS6detail17trampoline_kernelINS0_13select_configILj256ELj13ELNS0_17block_load_methodE3ELS4_3ELS4_3ELNS0_20block_scan_algorithmE0ELj4294967295EEENS1_25partition_config_selectorILNS1_17partition_subalgoE4EjNS0_10empty_typeEbEEZZNS1_14partition_implILS8_4ELb0ES6_15HIP_vector_typeIjLj2EENS0_17counting_iteratorIjlEEPS9_SG_NS0_5tupleIJPjSI_NS0_16reverse_iteratorISI_EEEEENSH_IJSG_SG_SG_EEES9_SI_JZNS1_25segmented_radix_sort_implINS0_14default_configELb1EPKbPbPKlPlN2at6native12_GLOBAL__N_18offset_tEEE10hipError_tPvRmT1_PNSt15iterator_traitsIS12_E10value_typeET2_T3_PNS13_IS18_E10value_typeET4_jRbjT5_S1E_jjP12ihipStream_tbEUljE_ZNSN_ISO_Lb1ESQ_SR_ST_SU_SY_EESZ_S10_S11_S12_S16_S17_S18_S1B_S1C_jS1D_jS1E_S1E_jjS1G_bEUljE0_EEESZ_S10_S11_S18_S1C_S1E_T6_T7_T9_mT8_S1G_bDpT10_ENKUlT_T0_E_clISt17integral_constantIbLb1EES1T_IbLb0EEEEDaS1P_S1Q_EUlS1P_E_NS1_11comp_targetILNS1_3genE10ELNS1_11target_archE1200ELNS1_3gpuE4ELNS1_3repE0EEENS1_30default_config_static_selectorELNS0_4arch9wavefront6targetE0EEEvS12_.num_named_barrier, 0
	.set _ZN7rocprim17ROCPRIM_400000_NS6detail17trampoline_kernelINS0_13select_configILj256ELj13ELNS0_17block_load_methodE3ELS4_3ELS4_3ELNS0_20block_scan_algorithmE0ELj4294967295EEENS1_25partition_config_selectorILNS1_17partition_subalgoE4EjNS0_10empty_typeEbEEZZNS1_14partition_implILS8_4ELb0ES6_15HIP_vector_typeIjLj2EENS0_17counting_iteratorIjlEEPS9_SG_NS0_5tupleIJPjSI_NS0_16reverse_iteratorISI_EEEEENSH_IJSG_SG_SG_EEES9_SI_JZNS1_25segmented_radix_sort_implINS0_14default_configELb1EPKbPbPKlPlN2at6native12_GLOBAL__N_18offset_tEEE10hipError_tPvRmT1_PNSt15iterator_traitsIS12_E10value_typeET2_T3_PNS13_IS18_E10value_typeET4_jRbjT5_S1E_jjP12ihipStream_tbEUljE_ZNSN_ISO_Lb1ESQ_SR_ST_SU_SY_EESZ_S10_S11_S12_S16_S17_S18_S1B_S1C_jS1D_jS1E_S1E_jjS1G_bEUljE0_EEESZ_S10_S11_S18_S1C_S1E_T6_T7_T9_mT8_S1G_bDpT10_ENKUlT_T0_E_clISt17integral_constantIbLb1EES1T_IbLb0EEEEDaS1P_S1Q_EUlS1P_E_NS1_11comp_targetILNS1_3genE10ELNS1_11target_archE1200ELNS1_3gpuE4ELNS1_3repE0EEENS1_30default_config_static_selectorELNS0_4arch9wavefront6targetE0EEEvS12_.private_seg_size, 0
	.set _ZN7rocprim17ROCPRIM_400000_NS6detail17trampoline_kernelINS0_13select_configILj256ELj13ELNS0_17block_load_methodE3ELS4_3ELS4_3ELNS0_20block_scan_algorithmE0ELj4294967295EEENS1_25partition_config_selectorILNS1_17partition_subalgoE4EjNS0_10empty_typeEbEEZZNS1_14partition_implILS8_4ELb0ES6_15HIP_vector_typeIjLj2EENS0_17counting_iteratorIjlEEPS9_SG_NS0_5tupleIJPjSI_NS0_16reverse_iteratorISI_EEEEENSH_IJSG_SG_SG_EEES9_SI_JZNS1_25segmented_radix_sort_implINS0_14default_configELb1EPKbPbPKlPlN2at6native12_GLOBAL__N_18offset_tEEE10hipError_tPvRmT1_PNSt15iterator_traitsIS12_E10value_typeET2_T3_PNS13_IS18_E10value_typeET4_jRbjT5_S1E_jjP12ihipStream_tbEUljE_ZNSN_ISO_Lb1ESQ_SR_ST_SU_SY_EESZ_S10_S11_S12_S16_S17_S18_S1B_S1C_jS1D_jS1E_S1E_jjS1G_bEUljE0_EEESZ_S10_S11_S18_S1C_S1E_T6_T7_T9_mT8_S1G_bDpT10_ENKUlT_T0_E_clISt17integral_constantIbLb1EES1T_IbLb0EEEEDaS1P_S1Q_EUlS1P_E_NS1_11comp_targetILNS1_3genE10ELNS1_11target_archE1200ELNS1_3gpuE4ELNS1_3repE0EEENS1_30default_config_static_selectorELNS0_4arch9wavefront6targetE0EEEvS12_.uses_vcc, 0
	.set _ZN7rocprim17ROCPRIM_400000_NS6detail17trampoline_kernelINS0_13select_configILj256ELj13ELNS0_17block_load_methodE3ELS4_3ELS4_3ELNS0_20block_scan_algorithmE0ELj4294967295EEENS1_25partition_config_selectorILNS1_17partition_subalgoE4EjNS0_10empty_typeEbEEZZNS1_14partition_implILS8_4ELb0ES6_15HIP_vector_typeIjLj2EENS0_17counting_iteratorIjlEEPS9_SG_NS0_5tupleIJPjSI_NS0_16reverse_iteratorISI_EEEEENSH_IJSG_SG_SG_EEES9_SI_JZNS1_25segmented_radix_sort_implINS0_14default_configELb1EPKbPbPKlPlN2at6native12_GLOBAL__N_18offset_tEEE10hipError_tPvRmT1_PNSt15iterator_traitsIS12_E10value_typeET2_T3_PNS13_IS18_E10value_typeET4_jRbjT5_S1E_jjP12ihipStream_tbEUljE_ZNSN_ISO_Lb1ESQ_SR_ST_SU_SY_EESZ_S10_S11_S12_S16_S17_S18_S1B_S1C_jS1D_jS1E_S1E_jjS1G_bEUljE0_EEESZ_S10_S11_S18_S1C_S1E_T6_T7_T9_mT8_S1G_bDpT10_ENKUlT_T0_E_clISt17integral_constantIbLb1EES1T_IbLb0EEEEDaS1P_S1Q_EUlS1P_E_NS1_11comp_targetILNS1_3genE10ELNS1_11target_archE1200ELNS1_3gpuE4ELNS1_3repE0EEENS1_30default_config_static_selectorELNS0_4arch9wavefront6targetE0EEEvS12_.uses_flat_scratch, 0
	.set _ZN7rocprim17ROCPRIM_400000_NS6detail17trampoline_kernelINS0_13select_configILj256ELj13ELNS0_17block_load_methodE3ELS4_3ELS4_3ELNS0_20block_scan_algorithmE0ELj4294967295EEENS1_25partition_config_selectorILNS1_17partition_subalgoE4EjNS0_10empty_typeEbEEZZNS1_14partition_implILS8_4ELb0ES6_15HIP_vector_typeIjLj2EENS0_17counting_iteratorIjlEEPS9_SG_NS0_5tupleIJPjSI_NS0_16reverse_iteratorISI_EEEEENSH_IJSG_SG_SG_EEES9_SI_JZNS1_25segmented_radix_sort_implINS0_14default_configELb1EPKbPbPKlPlN2at6native12_GLOBAL__N_18offset_tEEE10hipError_tPvRmT1_PNSt15iterator_traitsIS12_E10value_typeET2_T3_PNS13_IS18_E10value_typeET4_jRbjT5_S1E_jjP12ihipStream_tbEUljE_ZNSN_ISO_Lb1ESQ_SR_ST_SU_SY_EESZ_S10_S11_S12_S16_S17_S18_S1B_S1C_jS1D_jS1E_S1E_jjS1G_bEUljE0_EEESZ_S10_S11_S18_S1C_S1E_T6_T7_T9_mT8_S1G_bDpT10_ENKUlT_T0_E_clISt17integral_constantIbLb1EES1T_IbLb0EEEEDaS1P_S1Q_EUlS1P_E_NS1_11comp_targetILNS1_3genE10ELNS1_11target_archE1200ELNS1_3gpuE4ELNS1_3repE0EEENS1_30default_config_static_selectorELNS0_4arch9wavefront6targetE0EEEvS12_.has_dyn_sized_stack, 0
	.set _ZN7rocprim17ROCPRIM_400000_NS6detail17trampoline_kernelINS0_13select_configILj256ELj13ELNS0_17block_load_methodE3ELS4_3ELS4_3ELNS0_20block_scan_algorithmE0ELj4294967295EEENS1_25partition_config_selectorILNS1_17partition_subalgoE4EjNS0_10empty_typeEbEEZZNS1_14partition_implILS8_4ELb0ES6_15HIP_vector_typeIjLj2EENS0_17counting_iteratorIjlEEPS9_SG_NS0_5tupleIJPjSI_NS0_16reverse_iteratorISI_EEEEENSH_IJSG_SG_SG_EEES9_SI_JZNS1_25segmented_radix_sort_implINS0_14default_configELb1EPKbPbPKlPlN2at6native12_GLOBAL__N_18offset_tEEE10hipError_tPvRmT1_PNSt15iterator_traitsIS12_E10value_typeET2_T3_PNS13_IS18_E10value_typeET4_jRbjT5_S1E_jjP12ihipStream_tbEUljE_ZNSN_ISO_Lb1ESQ_SR_ST_SU_SY_EESZ_S10_S11_S12_S16_S17_S18_S1B_S1C_jS1D_jS1E_S1E_jjS1G_bEUljE0_EEESZ_S10_S11_S18_S1C_S1E_T6_T7_T9_mT8_S1G_bDpT10_ENKUlT_T0_E_clISt17integral_constantIbLb1EES1T_IbLb0EEEEDaS1P_S1Q_EUlS1P_E_NS1_11comp_targetILNS1_3genE10ELNS1_11target_archE1200ELNS1_3gpuE4ELNS1_3repE0EEENS1_30default_config_static_selectorELNS0_4arch9wavefront6targetE0EEEvS12_.has_recursion, 0
	.set _ZN7rocprim17ROCPRIM_400000_NS6detail17trampoline_kernelINS0_13select_configILj256ELj13ELNS0_17block_load_methodE3ELS4_3ELS4_3ELNS0_20block_scan_algorithmE0ELj4294967295EEENS1_25partition_config_selectorILNS1_17partition_subalgoE4EjNS0_10empty_typeEbEEZZNS1_14partition_implILS8_4ELb0ES6_15HIP_vector_typeIjLj2EENS0_17counting_iteratorIjlEEPS9_SG_NS0_5tupleIJPjSI_NS0_16reverse_iteratorISI_EEEEENSH_IJSG_SG_SG_EEES9_SI_JZNS1_25segmented_radix_sort_implINS0_14default_configELb1EPKbPbPKlPlN2at6native12_GLOBAL__N_18offset_tEEE10hipError_tPvRmT1_PNSt15iterator_traitsIS12_E10value_typeET2_T3_PNS13_IS18_E10value_typeET4_jRbjT5_S1E_jjP12ihipStream_tbEUljE_ZNSN_ISO_Lb1ESQ_SR_ST_SU_SY_EESZ_S10_S11_S12_S16_S17_S18_S1B_S1C_jS1D_jS1E_S1E_jjS1G_bEUljE0_EEESZ_S10_S11_S18_S1C_S1E_T6_T7_T9_mT8_S1G_bDpT10_ENKUlT_T0_E_clISt17integral_constantIbLb1EES1T_IbLb0EEEEDaS1P_S1Q_EUlS1P_E_NS1_11comp_targetILNS1_3genE10ELNS1_11target_archE1200ELNS1_3gpuE4ELNS1_3repE0EEENS1_30default_config_static_selectorELNS0_4arch9wavefront6targetE0EEEvS12_.has_indirect_call, 0
	.section	.AMDGPU.csdata,"",@progbits
; Kernel info:
; codeLenInByte = 0
; TotalNumSgprs: 0
; NumVgprs: 0
; ScratchSize: 0
; MemoryBound: 0
; FloatMode: 240
; IeeeMode: 1
; LDSByteSize: 0 bytes/workgroup (compile time only)
; SGPRBlocks: 0
; VGPRBlocks: 0
; NumSGPRsForWavesPerEU: 1
; NumVGPRsForWavesPerEU: 1
; Occupancy: 16
; WaveLimiterHint : 0
; COMPUTE_PGM_RSRC2:SCRATCH_EN: 0
; COMPUTE_PGM_RSRC2:USER_SGPR: 6
; COMPUTE_PGM_RSRC2:TRAP_HANDLER: 0
; COMPUTE_PGM_RSRC2:TGID_X_EN: 1
; COMPUTE_PGM_RSRC2:TGID_Y_EN: 0
; COMPUTE_PGM_RSRC2:TGID_Z_EN: 0
; COMPUTE_PGM_RSRC2:TIDIG_COMP_CNT: 0
	.section	.text._ZN7rocprim17ROCPRIM_400000_NS6detail17trampoline_kernelINS0_13select_configILj256ELj13ELNS0_17block_load_methodE3ELS4_3ELS4_3ELNS0_20block_scan_algorithmE0ELj4294967295EEENS1_25partition_config_selectorILNS1_17partition_subalgoE4EjNS0_10empty_typeEbEEZZNS1_14partition_implILS8_4ELb0ES6_15HIP_vector_typeIjLj2EENS0_17counting_iteratorIjlEEPS9_SG_NS0_5tupleIJPjSI_NS0_16reverse_iteratorISI_EEEEENSH_IJSG_SG_SG_EEES9_SI_JZNS1_25segmented_radix_sort_implINS0_14default_configELb1EPKbPbPKlPlN2at6native12_GLOBAL__N_18offset_tEEE10hipError_tPvRmT1_PNSt15iterator_traitsIS12_E10value_typeET2_T3_PNS13_IS18_E10value_typeET4_jRbjT5_S1E_jjP12ihipStream_tbEUljE_ZNSN_ISO_Lb1ESQ_SR_ST_SU_SY_EESZ_S10_S11_S12_S16_S17_S18_S1B_S1C_jS1D_jS1E_S1E_jjS1G_bEUljE0_EEESZ_S10_S11_S18_S1C_S1E_T6_T7_T9_mT8_S1G_bDpT10_ENKUlT_T0_E_clISt17integral_constantIbLb1EES1T_IbLb0EEEEDaS1P_S1Q_EUlS1P_E_NS1_11comp_targetILNS1_3genE9ELNS1_11target_archE1100ELNS1_3gpuE3ELNS1_3repE0EEENS1_30default_config_static_selectorELNS0_4arch9wavefront6targetE0EEEvS12_,"axG",@progbits,_ZN7rocprim17ROCPRIM_400000_NS6detail17trampoline_kernelINS0_13select_configILj256ELj13ELNS0_17block_load_methodE3ELS4_3ELS4_3ELNS0_20block_scan_algorithmE0ELj4294967295EEENS1_25partition_config_selectorILNS1_17partition_subalgoE4EjNS0_10empty_typeEbEEZZNS1_14partition_implILS8_4ELb0ES6_15HIP_vector_typeIjLj2EENS0_17counting_iteratorIjlEEPS9_SG_NS0_5tupleIJPjSI_NS0_16reverse_iteratorISI_EEEEENSH_IJSG_SG_SG_EEES9_SI_JZNS1_25segmented_radix_sort_implINS0_14default_configELb1EPKbPbPKlPlN2at6native12_GLOBAL__N_18offset_tEEE10hipError_tPvRmT1_PNSt15iterator_traitsIS12_E10value_typeET2_T3_PNS13_IS18_E10value_typeET4_jRbjT5_S1E_jjP12ihipStream_tbEUljE_ZNSN_ISO_Lb1ESQ_SR_ST_SU_SY_EESZ_S10_S11_S12_S16_S17_S18_S1B_S1C_jS1D_jS1E_S1E_jjS1G_bEUljE0_EEESZ_S10_S11_S18_S1C_S1E_T6_T7_T9_mT8_S1G_bDpT10_ENKUlT_T0_E_clISt17integral_constantIbLb1EES1T_IbLb0EEEEDaS1P_S1Q_EUlS1P_E_NS1_11comp_targetILNS1_3genE9ELNS1_11target_archE1100ELNS1_3gpuE3ELNS1_3repE0EEENS1_30default_config_static_selectorELNS0_4arch9wavefront6targetE0EEEvS12_,comdat
	.globl	_ZN7rocprim17ROCPRIM_400000_NS6detail17trampoline_kernelINS0_13select_configILj256ELj13ELNS0_17block_load_methodE3ELS4_3ELS4_3ELNS0_20block_scan_algorithmE0ELj4294967295EEENS1_25partition_config_selectorILNS1_17partition_subalgoE4EjNS0_10empty_typeEbEEZZNS1_14partition_implILS8_4ELb0ES6_15HIP_vector_typeIjLj2EENS0_17counting_iteratorIjlEEPS9_SG_NS0_5tupleIJPjSI_NS0_16reverse_iteratorISI_EEEEENSH_IJSG_SG_SG_EEES9_SI_JZNS1_25segmented_radix_sort_implINS0_14default_configELb1EPKbPbPKlPlN2at6native12_GLOBAL__N_18offset_tEEE10hipError_tPvRmT1_PNSt15iterator_traitsIS12_E10value_typeET2_T3_PNS13_IS18_E10value_typeET4_jRbjT5_S1E_jjP12ihipStream_tbEUljE_ZNSN_ISO_Lb1ESQ_SR_ST_SU_SY_EESZ_S10_S11_S12_S16_S17_S18_S1B_S1C_jS1D_jS1E_S1E_jjS1G_bEUljE0_EEESZ_S10_S11_S18_S1C_S1E_T6_T7_T9_mT8_S1G_bDpT10_ENKUlT_T0_E_clISt17integral_constantIbLb1EES1T_IbLb0EEEEDaS1P_S1Q_EUlS1P_E_NS1_11comp_targetILNS1_3genE9ELNS1_11target_archE1100ELNS1_3gpuE3ELNS1_3repE0EEENS1_30default_config_static_selectorELNS0_4arch9wavefront6targetE0EEEvS12_ ; -- Begin function _ZN7rocprim17ROCPRIM_400000_NS6detail17trampoline_kernelINS0_13select_configILj256ELj13ELNS0_17block_load_methodE3ELS4_3ELS4_3ELNS0_20block_scan_algorithmE0ELj4294967295EEENS1_25partition_config_selectorILNS1_17partition_subalgoE4EjNS0_10empty_typeEbEEZZNS1_14partition_implILS8_4ELb0ES6_15HIP_vector_typeIjLj2EENS0_17counting_iteratorIjlEEPS9_SG_NS0_5tupleIJPjSI_NS0_16reverse_iteratorISI_EEEEENSH_IJSG_SG_SG_EEES9_SI_JZNS1_25segmented_radix_sort_implINS0_14default_configELb1EPKbPbPKlPlN2at6native12_GLOBAL__N_18offset_tEEE10hipError_tPvRmT1_PNSt15iterator_traitsIS12_E10value_typeET2_T3_PNS13_IS18_E10value_typeET4_jRbjT5_S1E_jjP12ihipStream_tbEUljE_ZNSN_ISO_Lb1ESQ_SR_ST_SU_SY_EESZ_S10_S11_S12_S16_S17_S18_S1B_S1C_jS1D_jS1E_S1E_jjS1G_bEUljE0_EEESZ_S10_S11_S18_S1C_S1E_T6_T7_T9_mT8_S1G_bDpT10_ENKUlT_T0_E_clISt17integral_constantIbLb1EES1T_IbLb0EEEEDaS1P_S1Q_EUlS1P_E_NS1_11comp_targetILNS1_3genE9ELNS1_11target_archE1100ELNS1_3gpuE3ELNS1_3repE0EEENS1_30default_config_static_selectorELNS0_4arch9wavefront6targetE0EEEvS12_
	.p2align	8
	.type	_ZN7rocprim17ROCPRIM_400000_NS6detail17trampoline_kernelINS0_13select_configILj256ELj13ELNS0_17block_load_methodE3ELS4_3ELS4_3ELNS0_20block_scan_algorithmE0ELj4294967295EEENS1_25partition_config_selectorILNS1_17partition_subalgoE4EjNS0_10empty_typeEbEEZZNS1_14partition_implILS8_4ELb0ES6_15HIP_vector_typeIjLj2EENS0_17counting_iteratorIjlEEPS9_SG_NS0_5tupleIJPjSI_NS0_16reverse_iteratorISI_EEEEENSH_IJSG_SG_SG_EEES9_SI_JZNS1_25segmented_radix_sort_implINS0_14default_configELb1EPKbPbPKlPlN2at6native12_GLOBAL__N_18offset_tEEE10hipError_tPvRmT1_PNSt15iterator_traitsIS12_E10value_typeET2_T3_PNS13_IS18_E10value_typeET4_jRbjT5_S1E_jjP12ihipStream_tbEUljE_ZNSN_ISO_Lb1ESQ_SR_ST_SU_SY_EESZ_S10_S11_S12_S16_S17_S18_S1B_S1C_jS1D_jS1E_S1E_jjS1G_bEUljE0_EEESZ_S10_S11_S18_S1C_S1E_T6_T7_T9_mT8_S1G_bDpT10_ENKUlT_T0_E_clISt17integral_constantIbLb1EES1T_IbLb0EEEEDaS1P_S1Q_EUlS1P_E_NS1_11comp_targetILNS1_3genE9ELNS1_11target_archE1100ELNS1_3gpuE3ELNS1_3repE0EEENS1_30default_config_static_selectorELNS0_4arch9wavefront6targetE0EEEvS12_,@function
_ZN7rocprim17ROCPRIM_400000_NS6detail17trampoline_kernelINS0_13select_configILj256ELj13ELNS0_17block_load_methodE3ELS4_3ELS4_3ELNS0_20block_scan_algorithmE0ELj4294967295EEENS1_25partition_config_selectorILNS1_17partition_subalgoE4EjNS0_10empty_typeEbEEZZNS1_14partition_implILS8_4ELb0ES6_15HIP_vector_typeIjLj2EENS0_17counting_iteratorIjlEEPS9_SG_NS0_5tupleIJPjSI_NS0_16reverse_iteratorISI_EEEEENSH_IJSG_SG_SG_EEES9_SI_JZNS1_25segmented_radix_sort_implINS0_14default_configELb1EPKbPbPKlPlN2at6native12_GLOBAL__N_18offset_tEEE10hipError_tPvRmT1_PNSt15iterator_traitsIS12_E10value_typeET2_T3_PNS13_IS18_E10value_typeET4_jRbjT5_S1E_jjP12ihipStream_tbEUljE_ZNSN_ISO_Lb1ESQ_SR_ST_SU_SY_EESZ_S10_S11_S12_S16_S17_S18_S1B_S1C_jS1D_jS1E_S1E_jjS1G_bEUljE0_EEESZ_S10_S11_S18_S1C_S1E_T6_T7_T9_mT8_S1G_bDpT10_ENKUlT_T0_E_clISt17integral_constantIbLb1EES1T_IbLb0EEEEDaS1P_S1Q_EUlS1P_E_NS1_11comp_targetILNS1_3genE9ELNS1_11target_archE1100ELNS1_3gpuE3ELNS1_3repE0EEENS1_30default_config_static_selectorELNS0_4arch9wavefront6targetE0EEEvS12_: ; @_ZN7rocprim17ROCPRIM_400000_NS6detail17trampoline_kernelINS0_13select_configILj256ELj13ELNS0_17block_load_methodE3ELS4_3ELS4_3ELNS0_20block_scan_algorithmE0ELj4294967295EEENS1_25partition_config_selectorILNS1_17partition_subalgoE4EjNS0_10empty_typeEbEEZZNS1_14partition_implILS8_4ELb0ES6_15HIP_vector_typeIjLj2EENS0_17counting_iteratorIjlEEPS9_SG_NS0_5tupleIJPjSI_NS0_16reverse_iteratorISI_EEEEENSH_IJSG_SG_SG_EEES9_SI_JZNS1_25segmented_radix_sort_implINS0_14default_configELb1EPKbPbPKlPlN2at6native12_GLOBAL__N_18offset_tEEE10hipError_tPvRmT1_PNSt15iterator_traitsIS12_E10value_typeET2_T3_PNS13_IS18_E10value_typeET4_jRbjT5_S1E_jjP12ihipStream_tbEUljE_ZNSN_ISO_Lb1ESQ_SR_ST_SU_SY_EESZ_S10_S11_S12_S16_S17_S18_S1B_S1C_jS1D_jS1E_S1E_jjS1G_bEUljE0_EEESZ_S10_S11_S18_S1C_S1E_T6_T7_T9_mT8_S1G_bDpT10_ENKUlT_T0_E_clISt17integral_constantIbLb1EES1T_IbLb0EEEEDaS1P_S1Q_EUlS1P_E_NS1_11comp_targetILNS1_3genE9ELNS1_11target_archE1100ELNS1_3gpuE3ELNS1_3repE0EEENS1_30default_config_static_selectorELNS0_4arch9wavefront6targetE0EEEvS12_
; %bb.0:
	.section	.rodata,"a",@progbits
	.p2align	6, 0x0
	.amdhsa_kernel _ZN7rocprim17ROCPRIM_400000_NS6detail17trampoline_kernelINS0_13select_configILj256ELj13ELNS0_17block_load_methodE3ELS4_3ELS4_3ELNS0_20block_scan_algorithmE0ELj4294967295EEENS1_25partition_config_selectorILNS1_17partition_subalgoE4EjNS0_10empty_typeEbEEZZNS1_14partition_implILS8_4ELb0ES6_15HIP_vector_typeIjLj2EENS0_17counting_iteratorIjlEEPS9_SG_NS0_5tupleIJPjSI_NS0_16reverse_iteratorISI_EEEEENSH_IJSG_SG_SG_EEES9_SI_JZNS1_25segmented_radix_sort_implINS0_14default_configELb1EPKbPbPKlPlN2at6native12_GLOBAL__N_18offset_tEEE10hipError_tPvRmT1_PNSt15iterator_traitsIS12_E10value_typeET2_T3_PNS13_IS18_E10value_typeET4_jRbjT5_S1E_jjP12ihipStream_tbEUljE_ZNSN_ISO_Lb1ESQ_SR_ST_SU_SY_EESZ_S10_S11_S12_S16_S17_S18_S1B_S1C_jS1D_jS1E_S1E_jjS1G_bEUljE0_EEESZ_S10_S11_S18_S1C_S1E_T6_T7_T9_mT8_S1G_bDpT10_ENKUlT_T0_E_clISt17integral_constantIbLb1EES1T_IbLb0EEEEDaS1P_S1Q_EUlS1P_E_NS1_11comp_targetILNS1_3genE9ELNS1_11target_archE1100ELNS1_3gpuE3ELNS1_3repE0EEENS1_30default_config_static_selectorELNS0_4arch9wavefront6targetE0EEEvS12_
		.amdhsa_group_segment_fixed_size 0
		.amdhsa_private_segment_fixed_size 0
		.amdhsa_kernarg_size 176
		.amdhsa_user_sgpr_count 6
		.amdhsa_user_sgpr_private_segment_buffer 1
		.amdhsa_user_sgpr_dispatch_ptr 0
		.amdhsa_user_sgpr_queue_ptr 0
		.amdhsa_user_sgpr_kernarg_segment_ptr 1
		.amdhsa_user_sgpr_dispatch_id 0
		.amdhsa_user_sgpr_flat_scratch_init 0
		.amdhsa_user_sgpr_private_segment_size 0
		.amdhsa_wavefront_size32 1
		.amdhsa_uses_dynamic_stack 0
		.amdhsa_system_sgpr_private_segment_wavefront_offset 0
		.amdhsa_system_sgpr_workgroup_id_x 1
		.amdhsa_system_sgpr_workgroup_id_y 0
		.amdhsa_system_sgpr_workgroup_id_z 0
		.amdhsa_system_sgpr_workgroup_info 0
		.amdhsa_system_vgpr_workitem_id 0
		.amdhsa_next_free_vgpr 1
		.amdhsa_next_free_sgpr 1
		.amdhsa_reserve_vcc 0
		.amdhsa_reserve_flat_scratch 0
		.amdhsa_float_round_mode_32 0
		.amdhsa_float_round_mode_16_64 0
		.amdhsa_float_denorm_mode_32 3
		.amdhsa_float_denorm_mode_16_64 3
		.amdhsa_dx10_clamp 1
		.amdhsa_ieee_mode 1
		.amdhsa_fp16_overflow 0
		.amdhsa_workgroup_processor_mode 1
		.amdhsa_memory_ordered 1
		.amdhsa_forward_progress 1
		.amdhsa_shared_vgpr_count 0
		.amdhsa_exception_fp_ieee_invalid_op 0
		.amdhsa_exception_fp_denorm_src 0
		.amdhsa_exception_fp_ieee_div_zero 0
		.amdhsa_exception_fp_ieee_overflow 0
		.amdhsa_exception_fp_ieee_underflow 0
		.amdhsa_exception_fp_ieee_inexact 0
		.amdhsa_exception_int_div_zero 0
	.end_amdhsa_kernel
	.section	.text._ZN7rocprim17ROCPRIM_400000_NS6detail17trampoline_kernelINS0_13select_configILj256ELj13ELNS0_17block_load_methodE3ELS4_3ELS4_3ELNS0_20block_scan_algorithmE0ELj4294967295EEENS1_25partition_config_selectorILNS1_17partition_subalgoE4EjNS0_10empty_typeEbEEZZNS1_14partition_implILS8_4ELb0ES6_15HIP_vector_typeIjLj2EENS0_17counting_iteratorIjlEEPS9_SG_NS0_5tupleIJPjSI_NS0_16reverse_iteratorISI_EEEEENSH_IJSG_SG_SG_EEES9_SI_JZNS1_25segmented_radix_sort_implINS0_14default_configELb1EPKbPbPKlPlN2at6native12_GLOBAL__N_18offset_tEEE10hipError_tPvRmT1_PNSt15iterator_traitsIS12_E10value_typeET2_T3_PNS13_IS18_E10value_typeET4_jRbjT5_S1E_jjP12ihipStream_tbEUljE_ZNSN_ISO_Lb1ESQ_SR_ST_SU_SY_EESZ_S10_S11_S12_S16_S17_S18_S1B_S1C_jS1D_jS1E_S1E_jjS1G_bEUljE0_EEESZ_S10_S11_S18_S1C_S1E_T6_T7_T9_mT8_S1G_bDpT10_ENKUlT_T0_E_clISt17integral_constantIbLb1EES1T_IbLb0EEEEDaS1P_S1Q_EUlS1P_E_NS1_11comp_targetILNS1_3genE9ELNS1_11target_archE1100ELNS1_3gpuE3ELNS1_3repE0EEENS1_30default_config_static_selectorELNS0_4arch9wavefront6targetE0EEEvS12_,"axG",@progbits,_ZN7rocprim17ROCPRIM_400000_NS6detail17trampoline_kernelINS0_13select_configILj256ELj13ELNS0_17block_load_methodE3ELS4_3ELS4_3ELNS0_20block_scan_algorithmE0ELj4294967295EEENS1_25partition_config_selectorILNS1_17partition_subalgoE4EjNS0_10empty_typeEbEEZZNS1_14partition_implILS8_4ELb0ES6_15HIP_vector_typeIjLj2EENS0_17counting_iteratorIjlEEPS9_SG_NS0_5tupleIJPjSI_NS0_16reverse_iteratorISI_EEEEENSH_IJSG_SG_SG_EEES9_SI_JZNS1_25segmented_radix_sort_implINS0_14default_configELb1EPKbPbPKlPlN2at6native12_GLOBAL__N_18offset_tEEE10hipError_tPvRmT1_PNSt15iterator_traitsIS12_E10value_typeET2_T3_PNS13_IS18_E10value_typeET4_jRbjT5_S1E_jjP12ihipStream_tbEUljE_ZNSN_ISO_Lb1ESQ_SR_ST_SU_SY_EESZ_S10_S11_S12_S16_S17_S18_S1B_S1C_jS1D_jS1E_S1E_jjS1G_bEUljE0_EEESZ_S10_S11_S18_S1C_S1E_T6_T7_T9_mT8_S1G_bDpT10_ENKUlT_T0_E_clISt17integral_constantIbLb1EES1T_IbLb0EEEEDaS1P_S1Q_EUlS1P_E_NS1_11comp_targetILNS1_3genE9ELNS1_11target_archE1100ELNS1_3gpuE3ELNS1_3repE0EEENS1_30default_config_static_selectorELNS0_4arch9wavefront6targetE0EEEvS12_,comdat
.Lfunc_end1482:
	.size	_ZN7rocprim17ROCPRIM_400000_NS6detail17trampoline_kernelINS0_13select_configILj256ELj13ELNS0_17block_load_methodE3ELS4_3ELS4_3ELNS0_20block_scan_algorithmE0ELj4294967295EEENS1_25partition_config_selectorILNS1_17partition_subalgoE4EjNS0_10empty_typeEbEEZZNS1_14partition_implILS8_4ELb0ES6_15HIP_vector_typeIjLj2EENS0_17counting_iteratorIjlEEPS9_SG_NS0_5tupleIJPjSI_NS0_16reverse_iteratorISI_EEEEENSH_IJSG_SG_SG_EEES9_SI_JZNS1_25segmented_radix_sort_implINS0_14default_configELb1EPKbPbPKlPlN2at6native12_GLOBAL__N_18offset_tEEE10hipError_tPvRmT1_PNSt15iterator_traitsIS12_E10value_typeET2_T3_PNS13_IS18_E10value_typeET4_jRbjT5_S1E_jjP12ihipStream_tbEUljE_ZNSN_ISO_Lb1ESQ_SR_ST_SU_SY_EESZ_S10_S11_S12_S16_S17_S18_S1B_S1C_jS1D_jS1E_S1E_jjS1G_bEUljE0_EEESZ_S10_S11_S18_S1C_S1E_T6_T7_T9_mT8_S1G_bDpT10_ENKUlT_T0_E_clISt17integral_constantIbLb1EES1T_IbLb0EEEEDaS1P_S1Q_EUlS1P_E_NS1_11comp_targetILNS1_3genE9ELNS1_11target_archE1100ELNS1_3gpuE3ELNS1_3repE0EEENS1_30default_config_static_selectorELNS0_4arch9wavefront6targetE0EEEvS12_, .Lfunc_end1482-_ZN7rocprim17ROCPRIM_400000_NS6detail17trampoline_kernelINS0_13select_configILj256ELj13ELNS0_17block_load_methodE3ELS4_3ELS4_3ELNS0_20block_scan_algorithmE0ELj4294967295EEENS1_25partition_config_selectorILNS1_17partition_subalgoE4EjNS0_10empty_typeEbEEZZNS1_14partition_implILS8_4ELb0ES6_15HIP_vector_typeIjLj2EENS0_17counting_iteratorIjlEEPS9_SG_NS0_5tupleIJPjSI_NS0_16reverse_iteratorISI_EEEEENSH_IJSG_SG_SG_EEES9_SI_JZNS1_25segmented_radix_sort_implINS0_14default_configELb1EPKbPbPKlPlN2at6native12_GLOBAL__N_18offset_tEEE10hipError_tPvRmT1_PNSt15iterator_traitsIS12_E10value_typeET2_T3_PNS13_IS18_E10value_typeET4_jRbjT5_S1E_jjP12ihipStream_tbEUljE_ZNSN_ISO_Lb1ESQ_SR_ST_SU_SY_EESZ_S10_S11_S12_S16_S17_S18_S1B_S1C_jS1D_jS1E_S1E_jjS1G_bEUljE0_EEESZ_S10_S11_S18_S1C_S1E_T6_T7_T9_mT8_S1G_bDpT10_ENKUlT_T0_E_clISt17integral_constantIbLb1EES1T_IbLb0EEEEDaS1P_S1Q_EUlS1P_E_NS1_11comp_targetILNS1_3genE9ELNS1_11target_archE1100ELNS1_3gpuE3ELNS1_3repE0EEENS1_30default_config_static_selectorELNS0_4arch9wavefront6targetE0EEEvS12_
                                        ; -- End function
	.set _ZN7rocprim17ROCPRIM_400000_NS6detail17trampoline_kernelINS0_13select_configILj256ELj13ELNS0_17block_load_methodE3ELS4_3ELS4_3ELNS0_20block_scan_algorithmE0ELj4294967295EEENS1_25partition_config_selectorILNS1_17partition_subalgoE4EjNS0_10empty_typeEbEEZZNS1_14partition_implILS8_4ELb0ES6_15HIP_vector_typeIjLj2EENS0_17counting_iteratorIjlEEPS9_SG_NS0_5tupleIJPjSI_NS0_16reverse_iteratorISI_EEEEENSH_IJSG_SG_SG_EEES9_SI_JZNS1_25segmented_radix_sort_implINS0_14default_configELb1EPKbPbPKlPlN2at6native12_GLOBAL__N_18offset_tEEE10hipError_tPvRmT1_PNSt15iterator_traitsIS12_E10value_typeET2_T3_PNS13_IS18_E10value_typeET4_jRbjT5_S1E_jjP12ihipStream_tbEUljE_ZNSN_ISO_Lb1ESQ_SR_ST_SU_SY_EESZ_S10_S11_S12_S16_S17_S18_S1B_S1C_jS1D_jS1E_S1E_jjS1G_bEUljE0_EEESZ_S10_S11_S18_S1C_S1E_T6_T7_T9_mT8_S1G_bDpT10_ENKUlT_T0_E_clISt17integral_constantIbLb1EES1T_IbLb0EEEEDaS1P_S1Q_EUlS1P_E_NS1_11comp_targetILNS1_3genE9ELNS1_11target_archE1100ELNS1_3gpuE3ELNS1_3repE0EEENS1_30default_config_static_selectorELNS0_4arch9wavefront6targetE0EEEvS12_.num_vgpr, 0
	.set _ZN7rocprim17ROCPRIM_400000_NS6detail17trampoline_kernelINS0_13select_configILj256ELj13ELNS0_17block_load_methodE3ELS4_3ELS4_3ELNS0_20block_scan_algorithmE0ELj4294967295EEENS1_25partition_config_selectorILNS1_17partition_subalgoE4EjNS0_10empty_typeEbEEZZNS1_14partition_implILS8_4ELb0ES6_15HIP_vector_typeIjLj2EENS0_17counting_iteratorIjlEEPS9_SG_NS0_5tupleIJPjSI_NS0_16reverse_iteratorISI_EEEEENSH_IJSG_SG_SG_EEES9_SI_JZNS1_25segmented_radix_sort_implINS0_14default_configELb1EPKbPbPKlPlN2at6native12_GLOBAL__N_18offset_tEEE10hipError_tPvRmT1_PNSt15iterator_traitsIS12_E10value_typeET2_T3_PNS13_IS18_E10value_typeET4_jRbjT5_S1E_jjP12ihipStream_tbEUljE_ZNSN_ISO_Lb1ESQ_SR_ST_SU_SY_EESZ_S10_S11_S12_S16_S17_S18_S1B_S1C_jS1D_jS1E_S1E_jjS1G_bEUljE0_EEESZ_S10_S11_S18_S1C_S1E_T6_T7_T9_mT8_S1G_bDpT10_ENKUlT_T0_E_clISt17integral_constantIbLb1EES1T_IbLb0EEEEDaS1P_S1Q_EUlS1P_E_NS1_11comp_targetILNS1_3genE9ELNS1_11target_archE1100ELNS1_3gpuE3ELNS1_3repE0EEENS1_30default_config_static_selectorELNS0_4arch9wavefront6targetE0EEEvS12_.num_agpr, 0
	.set _ZN7rocprim17ROCPRIM_400000_NS6detail17trampoline_kernelINS0_13select_configILj256ELj13ELNS0_17block_load_methodE3ELS4_3ELS4_3ELNS0_20block_scan_algorithmE0ELj4294967295EEENS1_25partition_config_selectorILNS1_17partition_subalgoE4EjNS0_10empty_typeEbEEZZNS1_14partition_implILS8_4ELb0ES6_15HIP_vector_typeIjLj2EENS0_17counting_iteratorIjlEEPS9_SG_NS0_5tupleIJPjSI_NS0_16reverse_iteratorISI_EEEEENSH_IJSG_SG_SG_EEES9_SI_JZNS1_25segmented_radix_sort_implINS0_14default_configELb1EPKbPbPKlPlN2at6native12_GLOBAL__N_18offset_tEEE10hipError_tPvRmT1_PNSt15iterator_traitsIS12_E10value_typeET2_T3_PNS13_IS18_E10value_typeET4_jRbjT5_S1E_jjP12ihipStream_tbEUljE_ZNSN_ISO_Lb1ESQ_SR_ST_SU_SY_EESZ_S10_S11_S12_S16_S17_S18_S1B_S1C_jS1D_jS1E_S1E_jjS1G_bEUljE0_EEESZ_S10_S11_S18_S1C_S1E_T6_T7_T9_mT8_S1G_bDpT10_ENKUlT_T0_E_clISt17integral_constantIbLb1EES1T_IbLb0EEEEDaS1P_S1Q_EUlS1P_E_NS1_11comp_targetILNS1_3genE9ELNS1_11target_archE1100ELNS1_3gpuE3ELNS1_3repE0EEENS1_30default_config_static_selectorELNS0_4arch9wavefront6targetE0EEEvS12_.numbered_sgpr, 0
	.set _ZN7rocprim17ROCPRIM_400000_NS6detail17trampoline_kernelINS0_13select_configILj256ELj13ELNS0_17block_load_methodE3ELS4_3ELS4_3ELNS0_20block_scan_algorithmE0ELj4294967295EEENS1_25partition_config_selectorILNS1_17partition_subalgoE4EjNS0_10empty_typeEbEEZZNS1_14partition_implILS8_4ELb0ES6_15HIP_vector_typeIjLj2EENS0_17counting_iteratorIjlEEPS9_SG_NS0_5tupleIJPjSI_NS0_16reverse_iteratorISI_EEEEENSH_IJSG_SG_SG_EEES9_SI_JZNS1_25segmented_radix_sort_implINS0_14default_configELb1EPKbPbPKlPlN2at6native12_GLOBAL__N_18offset_tEEE10hipError_tPvRmT1_PNSt15iterator_traitsIS12_E10value_typeET2_T3_PNS13_IS18_E10value_typeET4_jRbjT5_S1E_jjP12ihipStream_tbEUljE_ZNSN_ISO_Lb1ESQ_SR_ST_SU_SY_EESZ_S10_S11_S12_S16_S17_S18_S1B_S1C_jS1D_jS1E_S1E_jjS1G_bEUljE0_EEESZ_S10_S11_S18_S1C_S1E_T6_T7_T9_mT8_S1G_bDpT10_ENKUlT_T0_E_clISt17integral_constantIbLb1EES1T_IbLb0EEEEDaS1P_S1Q_EUlS1P_E_NS1_11comp_targetILNS1_3genE9ELNS1_11target_archE1100ELNS1_3gpuE3ELNS1_3repE0EEENS1_30default_config_static_selectorELNS0_4arch9wavefront6targetE0EEEvS12_.num_named_barrier, 0
	.set _ZN7rocprim17ROCPRIM_400000_NS6detail17trampoline_kernelINS0_13select_configILj256ELj13ELNS0_17block_load_methodE3ELS4_3ELS4_3ELNS0_20block_scan_algorithmE0ELj4294967295EEENS1_25partition_config_selectorILNS1_17partition_subalgoE4EjNS0_10empty_typeEbEEZZNS1_14partition_implILS8_4ELb0ES6_15HIP_vector_typeIjLj2EENS0_17counting_iteratorIjlEEPS9_SG_NS0_5tupleIJPjSI_NS0_16reverse_iteratorISI_EEEEENSH_IJSG_SG_SG_EEES9_SI_JZNS1_25segmented_radix_sort_implINS0_14default_configELb1EPKbPbPKlPlN2at6native12_GLOBAL__N_18offset_tEEE10hipError_tPvRmT1_PNSt15iterator_traitsIS12_E10value_typeET2_T3_PNS13_IS18_E10value_typeET4_jRbjT5_S1E_jjP12ihipStream_tbEUljE_ZNSN_ISO_Lb1ESQ_SR_ST_SU_SY_EESZ_S10_S11_S12_S16_S17_S18_S1B_S1C_jS1D_jS1E_S1E_jjS1G_bEUljE0_EEESZ_S10_S11_S18_S1C_S1E_T6_T7_T9_mT8_S1G_bDpT10_ENKUlT_T0_E_clISt17integral_constantIbLb1EES1T_IbLb0EEEEDaS1P_S1Q_EUlS1P_E_NS1_11comp_targetILNS1_3genE9ELNS1_11target_archE1100ELNS1_3gpuE3ELNS1_3repE0EEENS1_30default_config_static_selectorELNS0_4arch9wavefront6targetE0EEEvS12_.private_seg_size, 0
	.set _ZN7rocprim17ROCPRIM_400000_NS6detail17trampoline_kernelINS0_13select_configILj256ELj13ELNS0_17block_load_methodE3ELS4_3ELS4_3ELNS0_20block_scan_algorithmE0ELj4294967295EEENS1_25partition_config_selectorILNS1_17partition_subalgoE4EjNS0_10empty_typeEbEEZZNS1_14partition_implILS8_4ELb0ES6_15HIP_vector_typeIjLj2EENS0_17counting_iteratorIjlEEPS9_SG_NS0_5tupleIJPjSI_NS0_16reverse_iteratorISI_EEEEENSH_IJSG_SG_SG_EEES9_SI_JZNS1_25segmented_radix_sort_implINS0_14default_configELb1EPKbPbPKlPlN2at6native12_GLOBAL__N_18offset_tEEE10hipError_tPvRmT1_PNSt15iterator_traitsIS12_E10value_typeET2_T3_PNS13_IS18_E10value_typeET4_jRbjT5_S1E_jjP12ihipStream_tbEUljE_ZNSN_ISO_Lb1ESQ_SR_ST_SU_SY_EESZ_S10_S11_S12_S16_S17_S18_S1B_S1C_jS1D_jS1E_S1E_jjS1G_bEUljE0_EEESZ_S10_S11_S18_S1C_S1E_T6_T7_T9_mT8_S1G_bDpT10_ENKUlT_T0_E_clISt17integral_constantIbLb1EES1T_IbLb0EEEEDaS1P_S1Q_EUlS1P_E_NS1_11comp_targetILNS1_3genE9ELNS1_11target_archE1100ELNS1_3gpuE3ELNS1_3repE0EEENS1_30default_config_static_selectorELNS0_4arch9wavefront6targetE0EEEvS12_.uses_vcc, 0
	.set _ZN7rocprim17ROCPRIM_400000_NS6detail17trampoline_kernelINS0_13select_configILj256ELj13ELNS0_17block_load_methodE3ELS4_3ELS4_3ELNS0_20block_scan_algorithmE0ELj4294967295EEENS1_25partition_config_selectorILNS1_17partition_subalgoE4EjNS0_10empty_typeEbEEZZNS1_14partition_implILS8_4ELb0ES6_15HIP_vector_typeIjLj2EENS0_17counting_iteratorIjlEEPS9_SG_NS0_5tupleIJPjSI_NS0_16reverse_iteratorISI_EEEEENSH_IJSG_SG_SG_EEES9_SI_JZNS1_25segmented_radix_sort_implINS0_14default_configELb1EPKbPbPKlPlN2at6native12_GLOBAL__N_18offset_tEEE10hipError_tPvRmT1_PNSt15iterator_traitsIS12_E10value_typeET2_T3_PNS13_IS18_E10value_typeET4_jRbjT5_S1E_jjP12ihipStream_tbEUljE_ZNSN_ISO_Lb1ESQ_SR_ST_SU_SY_EESZ_S10_S11_S12_S16_S17_S18_S1B_S1C_jS1D_jS1E_S1E_jjS1G_bEUljE0_EEESZ_S10_S11_S18_S1C_S1E_T6_T7_T9_mT8_S1G_bDpT10_ENKUlT_T0_E_clISt17integral_constantIbLb1EES1T_IbLb0EEEEDaS1P_S1Q_EUlS1P_E_NS1_11comp_targetILNS1_3genE9ELNS1_11target_archE1100ELNS1_3gpuE3ELNS1_3repE0EEENS1_30default_config_static_selectorELNS0_4arch9wavefront6targetE0EEEvS12_.uses_flat_scratch, 0
	.set _ZN7rocprim17ROCPRIM_400000_NS6detail17trampoline_kernelINS0_13select_configILj256ELj13ELNS0_17block_load_methodE3ELS4_3ELS4_3ELNS0_20block_scan_algorithmE0ELj4294967295EEENS1_25partition_config_selectorILNS1_17partition_subalgoE4EjNS0_10empty_typeEbEEZZNS1_14partition_implILS8_4ELb0ES6_15HIP_vector_typeIjLj2EENS0_17counting_iteratorIjlEEPS9_SG_NS0_5tupleIJPjSI_NS0_16reverse_iteratorISI_EEEEENSH_IJSG_SG_SG_EEES9_SI_JZNS1_25segmented_radix_sort_implINS0_14default_configELb1EPKbPbPKlPlN2at6native12_GLOBAL__N_18offset_tEEE10hipError_tPvRmT1_PNSt15iterator_traitsIS12_E10value_typeET2_T3_PNS13_IS18_E10value_typeET4_jRbjT5_S1E_jjP12ihipStream_tbEUljE_ZNSN_ISO_Lb1ESQ_SR_ST_SU_SY_EESZ_S10_S11_S12_S16_S17_S18_S1B_S1C_jS1D_jS1E_S1E_jjS1G_bEUljE0_EEESZ_S10_S11_S18_S1C_S1E_T6_T7_T9_mT8_S1G_bDpT10_ENKUlT_T0_E_clISt17integral_constantIbLb1EES1T_IbLb0EEEEDaS1P_S1Q_EUlS1P_E_NS1_11comp_targetILNS1_3genE9ELNS1_11target_archE1100ELNS1_3gpuE3ELNS1_3repE0EEENS1_30default_config_static_selectorELNS0_4arch9wavefront6targetE0EEEvS12_.has_dyn_sized_stack, 0
	.set _ZN7rocprim17ROCPRIM_400000_NS6detail17trampoline_kernelINS0_13select_configILj256ELj13ELNS0_17block_load_methodE3ELS4_3ELS4_3ELNS0_20block_scan_algorithmE0ELj4294967295EEENS1_25partition_config_selectorILNS1_17partition_subalgoE4EjNS0_10empty_typeEbEEZZNS1_14partition_implILS8_4ELb0ES6_15HIP_vector_typeIjLj2EENS0_17counting_iteratorIjlEEPS9_SG_NS0_5tupleIJPjSI_NS0_16reverse_iteratorISI_EEEEENSH_IJSG_SG_SG_EEES9_SI_JZNS1_25segmented_radix_sort_implINS0_14default_configELb1EPKbPbPKlPlN2at6native12_GLOBAL__N_18offset_tEEE10hipError_tPvRmT1_PNSt15iterator_traitsIS12_E10value_typeET2_T3_PNS13_IS18_E10value_typeET4_jRbjT5_S1E_jjP12ihipStream_tbEUljE_ZNSN_ISO_Lb1ESQ_SR_ST_SU_SY_EESZ_S10_S11_S12_S16_S17_S18_S1B_S1C_jS1D_jS1E_S1E_jjS1G_bEUljE0_EEESZ_S10_S11_S18_S1C_S1E_T6_T7_T9_mT8_S1G_bDpT10_ENKUlT_T0_E_clISt17integral_constantIbLb1EES1T_IbLb0EEEEDaS1P_S1Q_EUlS1P_E_NS1_11comp_targetILNS1_3genE9ELNS1_11target_archE1100ELNS1_3gpuE3ELNS1_3repE0EEENS1_30default_config_static_selectorELNS0_4arch9wavefront6targetE0EEEvS12_.has_recursion, 0
	.set _ZN7rocprim17ROCPRIM_400000_NS6detail17trampoline_kernelINS0_13select_configILj256ELj13ELNS0_17block_load_methodE3ELS4_3ELS4_3ELNS0_20block_scan_algorithmE0ELj4294967295EEENS1_25partition_config_selectorILNS1_17partition_subalgoE4EjNS0_10empty_typeEbEEZZNS1_14partition_implILS8_4ELb0ES6_15HIP_vector_typeIjLj2EENS0_17counting_iteratorIjlEEPS9_SG_NS0_5tupleIJPjSI_NS0_16reverse_iteratorISI_EEEEENSH_IJSG_SG_SG_EEES9_SI_JZNS1_25segmented_radix_sort_implINS0_14default_configELb1EPKbPbPKlPlN2at6native12_GLOBAL__N_18offset_tEEE10hipError_tPvRmT1_PNSt15iterator_traitsIS12_E10value_typeET2_T3_PNS13_IS18_E10value_typeET4_jRbjT5_S1E_jjP12ihipStream_tbEUljE_ZNSN_ISO_Lb1ESQ_SR_ST_SU_SY_EESZ_S10_S11_S12_S16_S17_S18_S1B_S1C_jS1D_jS1E_S1E_jjS1G_bEUljE0_EEESZ_S10_S11_S18_S1C_S1E_T6_T7_T9_mT8_S1G_bDpT10_ENKUlT_T0_E_clISt17integral_constantIbLb1EES1T_IbLb0EEEEDaS1P_S1Q_EUlS1P_E_NS1_11comp_targetILNS1_3genE9ELNS1_11target_archE1100ELNS1_3gpuE3ELNS1_3repE0EEENS1_30default_config_static_selectorELNS0_4arch9wavefront6targetE0EEEvS12_.has_indirect_call, 0
	.section	.AMDGPU.csdata,"",@progbits
; Kernel info:
; codeLenInByte = 0
; TotalNumSgprs: 0
; NumVgprs: 0
; ScratchSize: 0
; MemoryBound: 0
; FloatMode: 240
; IeeeMode: 1
; LDSByteSize: 0 bytes/workgroup (compile time only)
; SGPRBlocks: 0
; VGPRBlocks: 0
; NumSGPRsForWavesPerEU: 1
; NumVGPRsForWavesPerEU: 1
; Occupancy: 16
; WaveLimiterHint : 0
; COMPUTE_PGM_RSRC2:SCRATCH_EN: 0
; COMPUTE_PGM_RSRC2:USER_SGPR: 6
; COMPUTE_PGM_RSRC2:TRAP_HANDLER: 0
; COMPUTE_PGM_RSRC2:TGID_X_EN: 1
; COMPUTE_PGM_RSRC2:TGID_Y_EN: 0
; COMPUTE_PGM_RSRC2:TGID_Z_EN: 0
; COMPUTE_PGM_RSRC2:TIDIG_COMP_CNT: 0
	.section	.text._ZN7rocprim17ROCPRIM_400000_NS6detail17trampoline_kernelINS0_13select_configILj256ELj13ELNS0_17block_load_methodE3ELS4_3ELS4_3ELNS0_20block_scan_algorithmE0ELj4294967295EEENS1_25partition_config_selectorILNS1_17partition_subalgoE4EjNS0_10empty_typeEbEEZZNS1_14partition_implILS8_4ELb0ES6_15HIP_vector_typeIjLj2EENS0_17counting_iteratorIjlEEPS9_SG_NS0_5tupleIJPjSI_NS0_16reverse_iteratorISI_EEEEENSH_IJSG_SG_SG_EEES9_SI_JZNS1_25segmented_radix_sort_implINS0_14default_configELb1EPKbPbPKlPlN2at6native12_GLOBAL__N_18offset_tEEE10hipError_tPvRmT1_PNSt15iterator_traitsIS12_E10value_typeET2_T3_PNS13_IS18_E10value_typeET4_jRbjT5_S1E_jjP12ihipStream_tbEUljE_ZNSN_ISO_Lb1ESQ_SR_ST_SU_SY_EESZ_S10_S11_S12_S16_S17_S18_S1B_S1C_jS1D_jS1E_S1E_jjS1G_bEUljE0_EEESZ_S10_S11_S18_S1C_S1E_T6_T7_T9_mT8_S1G_bDpT10_ENKUlT_T0_E_clISt17integral_constantIbLb1EES1T_IbLb0EEEEDaS1P_S1Q_EUlS1P_E_NS1_11comp_targetILNS1_3genE8ELNS1_11target_archE1030ELNS1_3gpuE2ELNS1_3repE0EEENS1_30default_config_static_selectorELNS0_4arch9wavefront6targetE0EEEvS12_,"axG",@progbits,_ZN7rocprim17ROCPRIM_400000_NS6detail17trampoline_kernelINS0_13select_configILj256ELj13ELNS0_17block_load_methodE3ELS4_3ELS4_3ELNS0_20block_scan_algorithmE0ELj4294967295EEENS1_25partition_config_selectorILNS1_17partition_subalgoE4EjNS0_10empty_typeEbEEZZNS1_14partition_implILS8_4ELb0ES6_15HIP_vector_typeIjLj2EENS0_17counting_iteratorIjlEEPS9_SG_NS0_5tupleIJPjSI_NS0_16reverse_iteratorISI_EEEEENSH_IJSG_SG_SG_EEES9_SI_JZNS1_25segmented_radix_sort_implINS0_14default_configELb1EPKbPbPKlPlN2at6native12_GLOBAL__N_18offset_tEEE10hipError_tPvRmT1_PNSt15iterator_traitsIS12_E10value_typeET2_T3_PNS13_IS18_E10value_typeET4_jRbjT5_S1E_jjP12ihipStream_tbEUljE_ZNSN_ISO_Lb1ESQ_SR_ST_SU_SY_EESZ_S10_S11_S12_S16_S17_S18_S1B_S1C_jS1D_jS1E_S1E_jjS1G_bEUljE0_EEESZ_S10_S11_S18_S1C_S1E_T6_T7_T9_mT8_S1G_bDpT10_ENKUlT_T0_E_clISt17integral_constantIbLb1EES1T_IbLb0EEEEDaS1P_S1Q_EUlS1P_E_NS1_11comp_targetILNS1_3genE8ELNS1_11target_archE1030ELNS1_3gpuE2ELNS1_3repE0EEENS1_30default_config_static_selectorELNS0_4arch9wavefront6targetE0EEEvS12_,comdat
	.globl	_ZN7rocprim17ROCPRIM_400000_NS6detail17trampoline_kernelINS0_13select_configILj256ELj13ELNS0_17block_load_methodE3ELS4_3ELS4_3ELNS0_20block_scan_algorithmE0ELj4294967295EEENS1_25partition_config_selectorILNS1_17partition_subalgoE4EjNS0_10empty_typeEbEEZZNS1_14partition_implILS8_4ELb0ES6_15HIP_vector_typeIjLj2EENS0_17counting_iteratorIjlEEPS9_SG_NS0_5tupleIJPjSI_NS0_16reverse_iteratorISI_EEEEENSH_IJSG_SG_SG_EEES9_SI_JZNS1_25segmented_radix_sort_implINS0_14default_configELb1EPKbPbPKlPlN2at6native12_GLOBAL__N_18offset_tEEE10hipError_tPvRmT1_PNSt15iterator_traitsIS12_E10value_typeET2_T3_PNS13_IS18_E10value_typeET4_jRbjT5_S1E_jjP12ihipStream_tbEUljE_ZNSN_ISO_Lb1ESQ_SR_ST_SU_SY_EESZ_S10_S11_S12_S16_S17_S18_S1B_S1C_jS1D_jS1E_S1E_jjS1G_bEUljE0_EEESZ_S10_S11_S18_S1C_S1E_T6_T7_T9_mT8_S1G_bDpT10_ENKUlT_T0_E_clISt17integral_constantIbLb1EES1T_IbLb0EEEEDaS1P_S1Q_EUlS1P_E_NS1_11comp_targetILNS1_3genE8ELNS1_11target_archE1030ELNS1_3gpuE2ELNS1_3repE0EEENS1_30default_config_static_selectorELNS0_4arch9wavefront6targetE0EEEvS12_ ; -- Begin function _ZN7rocprim17ROCPRIM_400000_NS6detail17trampoline_kernelINS0_13select_configILj256ELj13ELNS0_17block_load_methodE3ELS4_3ELS4_3ELNS0_20block_scan_algorithmE0ELj4294967295EEENS1_25partition_config_selectorILNS1_17partition_subalgoE4EjNS0_10empty_typeEbEEZZNS1_14partition_implILS8_4ELb0ES6_15HIP_vector_typeIjLj2EENS0_17counting_iteratorIjlEEPS9_SG_NS0_5tupleIJPjSI_NS0_16reverse_iteratorISI_EEEEENSH_IJSG_SG_SG_EEES9_SI_JZNS1_25segmented_radix_sort_implINS0_14default_configELb1EPKbPbPKlPlN2at6native12_GLOBAL__N_18offset_tEEE10hipError_tPvRmT1_PNSt15iterator_traitsIS12_E10value_typeET2_T3_PNS13_IS18_E10value_typeET4_jRbjT5_S1E_jjP12ihipStream_tbEUljE_ZNSN_ISO_Lb1ESQ_SR_ST_SU_SY_EESZ_S10_S11_S12_S16_S17_S18_S1B_S1C_jS1D_jS1E_S1E_jjS1G_bEUljE0_EEESZ_S10_S11_S18_S1C_S1E_T6_T7_T9_mT8_S1G_bDpT10_ENKUlT_T0_E_clISt17integral_constantIbLb1EES1T_IbLb0EEEEDaS1P_S1Q_EUlS1P_E_NS1_11comp_targetILNS1_3genE8ELNS1_11target_archE1030ELNS1_3gpuE2ELNS1_3repE0EEENS1_30default_config_static_selectorELNS0_4arch9wavefront6targetE0EEEvS12_
	.p2align	8
	.type	_ZN7rocprim17ROCPRIM_400000_NS6detail17trampoline_kernelINS0_13select_configILj256ELj13ELNS0_17block_load_methodE3ELS4_3ELS4_3ELNS0_20block_scan_algorithmE0ELj4294967295EEENS1_25partition_config_selectorILNS1_17partition_subalgoE4EjNS0_10empty_typeEbEEZZNS1_14partition_implILS8_4ELb0ES6_15HIP_vector_typeIjLj2EENS0_17counting_iteratorIjlEEPS9_SG_NS0_5tupleIJPjSI_NS0_16reverse_iteratorISI_EEEEENSH_IJSG_SG_SG_EEES9_SI_JZNS1_25segmented_radix_sort_implINS0_14default_configELb1EPKbPbPKlPlN2at6native12_GLOBAL__N_18offset_tEEE10hipError_tPvRmT1_PNSt15iterator_traitsIS12_E10value_typeET2_T3_PNS13_IS18_E10value_typeET4_jRbjT5_S1E_jjP12ihipStream_tbEUljE_ZNSN_ISO_Lb1ESQ_SR_ST_SU_SY_EESZ_S10_S11_S12_S16_S17_S18_S1B_S1C_jS1D_jS1E_S1E_jjS1G_bEUljE0_EEESZ_S10_S11_S18_S1C_S1E_T6_T7_T9_mT8_S1G_bDpT10_ENKUlT_T0_E_clISt17integral_constantIbLb1EES1T_IbLb0EEEEDaS1P_S1Q_EUlS1P_E_NS1_11comp_targetILNS1_3genE8ELNS1_11target_archE1030ELNS1_3gpuE2ELNS1_3repE0EEENS1_30default_config_static_selectorELNS0_4arch9wavefront6targetE0EEEvS12_,@function
_ZN7rocprim17ROCPRIM_400000_NS6detail17trampoline_kernelINS0_13select_configILj256ELj13ELNS0_17block_load_methodE3ELS4_3ELS4_3ELNS0_20block_scan_algorithmE0ELj4294967295EEENS1_25partition_config_selectorILNS1_17partition_subalgoE4EjNS0_10empty_typeEbEEZZNS1_14partition_implILS8_4ELb0ES6_15HIP_vector_typeIjLj2EENS0_17counting_iteratorIjlEEPS9_SG_NS0_5tupleIJPjSI_NS0_16reverse_iteratorISI_EEEEENSH_IJSG_SG_SG_EEES9_SI_JZNS1_25segmented_radix_sort_implINS0_14default_configELb1EPKbPbPKlPlN2at6native12_GLOBAL__N_18offset_tEEE10hipError_tPvRmT1_PNSt15iterator_traitsIS12_E10value_typeET2_T3_PNS13_IS18_E10value_typeET4_jRbjT5_S1E_jjP12ihipStream_tbEUljE_ZNSN_ISO_Lb1ESQ_SR_ST_SU_SY_EESZ_S10_S11_S12_S16_S17_S18_S1B_S1C_jS1D_jS1E_S1E_jjS1G_bEUljE0_EEESZ_S10_S11_S18_S1C_S1E_T6_T7_T9_mT8_S1G_bDpT10_ENKUlT_T0_E_clISt17integral_constantIbLb1EES1T_IbLb0EEEEDaS1P_S1Q_EUlS1P_E_NS1_11comp_targetILNS1_3genE8ELNS1_11target_archE1030ELNS1_3gpuE2ELNS1_3repE0EEENS1_30default_config_static_selectorELNS0_4arch9wavefront6targetE0EEEvS12_: ; @_ZN7rocprim17ROCPRIM_400000_NS6detail17trampoline_kernelINS0_13select_configILj256ELj13ELNS0_17block_load_methodE3ELS4_3ELS4_3ELNS0_20block_scan_algorithmE0ELj4294967295EEENS1_25partition_config_selectorILNS1_17partition_subalgoE4EjNS0_10empty_typeEbEEZZNS1_14partition_implILS8_4ELb0ES6_15HIP_vector_typeIjLj2EENS0_17counting_iteratorIjlEEPS9_SG_NS0_5tupleIJPjSI_NS0_16reverse_iteratorISI_EEEEENSH_IJSG_SG_SG_EEES9_SI_JZNS1_25segmented_radix_sort_implINS0_14default_configELb1EPKbPbPKlPlN2at6native12_GLOBAL__N_18offset_tEEE10hipError_tPvRmT1_PNSt15iterator_traitsIS12_E10value_typeET2_T3_PNS13_IS18_E10value_typeET4_jRbjT5_S1E_jjP12ihipStream_tbEUljE_ZNSN_ISO_Lb1ESQ_SR_ST_SU_SY_EESZ_S10_S11_S12_S16_S17_S18_S1B_S1C_jS1D_jS1E_S1E_jjS1G_bEUljE0_EEESZ_S10_S11_S18_S1C_S1E_T6_T7_T9_mT8_S1G_bDpT10_ENKUlT_T0_E_clISt17integral_constantIbLb1EES1T_IbLb0EEEEDaS1P_S1Q_EUlS1P_E_NS1_11comp_targetILNS1_3genE8ELNS1_11target_archE1030ELNS1_3gpuE2ELNS1_3repE0EEENS1_30default_config_static_selectorELNS0_4arch9wavefront6targetE0EEEvS12_
; %bb.0:
	s_endpgm
	.section	.rodata,"a",@progbits
	.p2align	6, 0x0
	.amdhsa_kernel _ZN7rocprim17ROCPRIM_400000_NS6detail17trampoline_kernelINS0_13select_configILj256ELj13ELNS0_17block_load_methodE3ELS4_3ELS4_3ELNS0_20block_scan_algorithmE0ELj4294967295EEENS1_25partition_config_selectorILNS1_17partition_subalgoE4EjNS0_10empty_typeEbEEZZNS1_14partition_implILS8_4ELb0ES6_15HIP_vector_typeIjLj2EENS0_17counting_iteratorIjlEEPS9_SG_NS0_5tupleIJPjSI_NS0_16reverse_iteratorISI_EEEEENSH_IJSG_SG_SG_EEES9_SI_JZNS1_25segmented_radix_sort_implINS0_14default_configELb1EPKbPbPKlPlN2at6native12_GLOBAL__N_18offset_tEEE10hipError_tPvRmT1_PNSt15iterator_traitsIS12_E10value_typeET2_T3_PNS13_IS18_E10value_typeET4_jRbjT5_S1E_jjP12ihipStream_tbEUljE_ZNSN_ISO_Lb1ESQ_SR_ST_SU_SY_EESZ_S10_S11_S12_S16_S17_S18_S1B_S1C_jS1D_jS1E_S1E_jjS1G_bEUljE0_EEESZ_S10_S11_S18_S1C_S1E_T6_T7_T9_mT8_S1G_bDpT10_ENKUlT_T0_E_clISt17integral_constantIbLb1EES1T_IbLb0EEEEDaS1P_S1Q_EUlS1P_E_NS1_11comp_targetILNS1_3genE8ELNS1_11target_archE1030ELNS1_3gpuE2ELNS1_3repE0EEENS1_30default_config_static_selectorELNS0_4arch9wavefront6targetE0EEEvS12_
		.amdhsa_group_segment_fixed_size 0
		.amdhsa_private_segment_fixed_size 0
		.amdhsa_kernarg_size 176
		.amdhsa_user_sgpr_count 6
		.amdhsa_user_sgpr_private_segment_buffer 1
		.amdhsa_user_sgpr_dispatch_ptr 0
		.amdhsa_user_sgpr_queue_ptr 0
		.amdhsa_user_sgpr_kernarg_segment_ptr 1
		.amdhsa_user_sgpr_dispatch_id 0
		.amdhsa_user_sgpr_flat_scratch_init 0
		.amdhsa_user_sgpr_private_segment_size 0
		.amdhsa_wavefront_size32 1
		.amdhsa_uses_dynamic_stack 0
		.amdhsa_system_sgpr_private_segment_wavefront_offset 0
		.amdhsa_system_sgpr_workgroup_id_x 1
		.amdhsa_system_sgpr_workgroup_id_y 0
		.amdhsa_system_sgpr_workgroup_id_z 0
		.amdhsa_system_sgpr_workgroup_info 0
		.amdhsa_system_vgpr_workitem_id 0
		.amdhsa_next_free_vgpr 1
		.amdhsa_next_free_sgpr 1
		.amdhsa_reserve_vcc 0
		.amdhsa_reserve_flat_scratch 0
		.amdhsa_float_round_mode_32 0
		.amdhsa_float_round_mode_16_64 0
		.amdhsa_float_denorm_mode_32 3
		.amdhsa_float_denorm_mode_16_64 3
		.amdhsa_dx10_clamp 1
		.amdhsa_ieee_mode 1
		.amdhsa_fp16_overflow 0
		.amdhsa_workgroup_processor_mode 1
		.amdhsa_memory_ordered 1
		.amdhsa_forward_progress 1
		.amdhsa_shared_vgpr_count 0
		.amdhsa_exception_fp_ieee_invalid_op 0
		.amdhsa_exception_fp_denorm_src 0
		.amdhsa_exception_fp_ieee_div_zero 0
		.amdhsa_exception_fp_ieee_overflow 0
		.amdhsa_exception_fp_ieee_underflow 0
		.amdhsa_exception_fp_ieee_inexact 0
		.amdhsa_exception_int_div_zero 0
	.end_amdhsa_kernel
	.section	.text._ZN7rocprim17ROCPRIM_400000_NS6detail17trampoline_kernelINS0_13select_configILj256ELj13ELNS0_17block_load_methodE3ELS4_3ELS4_3ELNS0_20block_scan_algorithmE0ELj4294967295EEENS1_25partition_config_selectorILNS1_17partition_subalgoE4EjNS0_10empty_typeEbEEZZNS1_14partition_implILS8_4ELb0ES6_15HIP_vector_typeIjLj2EENS0_17counting_iteratorIjlEEPS9_SG_NS0_5tupleIJPjSI_NS0_16reverse_iteratorISI_EEEEENSH_IJSG_SG_SG_EEES9_SI_JZNS1_25segmented_radix_sort_implINS0_14default_configELb1EPKbPbPKlPlN2at6native12_GLOBAL__N_18offset_tEEE10hipError_tPvRmT1_PNSt15iterator_traitsIS12_E10value_typeET2_T3_PNS13_IS18_E10value_typeET4_jRbjT5_S1E_jjP12ihipStream_tbEUljE_ZNSN_ISO_Lb1ESQ_SR_ST_SU_SY_EESZ_S10_S11_S12_S16_S17_S18_S1B_S1C_jS1D_jS1E_S1E_jjS1G_bEUljE0_EEESZ_S10_S11_S18_S1C_S1E_T6_T7_T9_mT8_S1G_bDpT10_ENKUlT_T0_E_clISt17integral_constantIbLb1EES1T_IbLb0EEEEDaS1P_S1Q_EUlS1P_E_NS1_11comp_targetILNS1_3genE8ELNS1_11target_archE1030ELNS1_3gpuE2ELNS1_3repE0EEENS1_30default_config_static_selectorELNS0_4arch9wavefront6targetE0EEEvS12_,"axG",@progbits,_ZN7rocprim17ROCPRIM_400000_NS6detail17trampoline_kernelINS0_13select_configILj256ELj13ELNS0_17block_load_methodE3ELS4_3ELS4_3ELNS0_20block_scan_algorithmE0ELj4294967295EEENS1_25partition_config_selectorILNS1_17partition_subalgoE4EjNS0_10empty_typeEbEEZZNS1_14partition_implILS8_4ELb0ES6_15HIP_vector_typeIjLj2EENS0_17counting_iteratorIjlEEPS9_SG_NS0_5tupleIJPjSI_NS0_16reverse_iteratorISI_EEEEENSH_IJSG_SG_SG_EEES9_SI_JZNS1_25segmented_radix_sort_implINS0_14default_configELb1EPKbPbPKlPlN2at6native12_GLOBAL__N_18offset_tEEE10hipError_tPvRmT1_PNSt15iterator_traitsIS12_E10value_typeET2_T3_PNS13_IS18_E10value_typeET4_jRbjT5_S1E_jjP12ihipStream_tbEUljE_ZNSN_ISO_Lb1ESQ_SR_ST_SU_SY_EESZ_S10_S11_S12_S16_S17_S18_S1B_S1C_jS1D_jS1E_S1E_jjS1G_bEUljE0_EEESZ_S10_S11_S18_S1C_S1E_T6_T7_T9_mT8_S1G_bDpT10_ENKUlT_T0_E_clISt17integral_constantIbLb1EES1T_IbLb0EEEEDaS1P_S1Q_EUlS1P_E_NS1_11comp_targetILNS1_3genE8ELNS1_11target_archE1030ELNS1_3gpuE2ELNS1_3repE0EEENS1_30default_config_static_selectorELNS0_4arch9wavefront6targetE0EEEvS12_,comdat
.Lfunc_end1483:
	.size	_ZN7rocprim17ROCPRIM_400000_NS6detail17trampoline_kernelINS0_13select_configILj256ELj13ELNS0_17block_load_methodE3ELS4_3ELS4_3ELNS0_20block_scan_algorithmE0ELj4294967295EEENS1_25partition_config_selectorILNS1_17partition_subalgoE4EjNS0_10empty_typeEbEEZZNS1_14partition_implILS8_4ELb0ES6_15HIP_vector_typeIjLj2EENS0_17counting_iteratorIjlEEPS9_SG_NS0_5tupleIJPjSI_NS0_16reverse_iteratorISI_EEEEENSH_IJSG_SG_SG_EEES9_SI_JZNS1_25segmented_radix_sort_implINS0_14default_configELb1EPKbPbPKlPlN2at6native12_GLOBAL__N_18offset_tEEE10hipError_tPvRmT1_PNSt15iterator_traitsIS12_E10value_typeET2_T3_PNS13_IS18_E10value_typeET4_jRbjT5_S1E_jjP12ihipStream_tbEUljE_ZNSN_ISO_Lb1ESQ_SR_ST_SU_SY_EESZ_S10_S11_S12_S16_S17_S18_S1B_S1C_jS1D_jS1E_S1E_jjS1G_bEUljE0_EEESZ_S10_S11_S18_S1C_S1E_T6_T7_T9_mT8_S1G_bDpT10_ENKUlT_T0_E_clISt17integral_constantIbLb1EES1T_IbLb0EEEEDaS1P_S1Q_EUlS1P_E_NS1_11comp_targetILNS1_3genE8ELNS1_11target_archE1030ELNS1_3gpuE2ELNS1_3repE0EEENS1_30default_config_static_selectorELNS0_4arch9wavefront6targetE0EEEvS12_, .Lfunc_end1483-_ZN7rocprim17ROCPRIM_400000_NS6detail17trampoline_kernelINS0_13select_configILj256ELj13ELNS0_17block_load_methodE3ELS4_3ELS4_3ELNS0_20block_scan_algorithmE0ELj4294967295EEENS1_25partition_config_selectorILNS1_17partition_subalgoE4EjNS0_10empty_typeEbEEZZNS1_14partition_implILS8_4ELb0ES6_15HIP_vector_typeIjLj2EENS0_17counting_iteratorIjlEEPS9_SG_NS0_5tupleIJPjSI_NS0_16reverse_iteratorISI_EEEEENSH_IJSG_SG_SG_EEES9_SI_JZNS1_25segmented_radix_sort_implINS0_14default_configELb1EPKbPbPKlPlN2at6native12_GLOBAL__N_18offset_tEEE10hipError_tPvRmT1_PNSt15iterator_traitsIS12_E10value_typeET2_T3_PNS13_IS18_E10value_typeET4_jRbjT5_S1E_jjP12ihipStream_tbEUljE_ZNSN_ISO_Lb1ESQ_SR_ST_SU_SY_EESZ_S10_S11_S12_S16_S17_S18_S1B_S1C_jS1D_jS1E_S1E_jjS1G_bEUljE0_EEESZ_S10_S11_S18_S1C_S1E_T6_T7_T9_mT8_S1G_bDpT10_ENKUlT_T0_E_clISt17integral_constantIbLb1EES1T_IbLb0EEEEDaS1P_S1Q_EUlS1P_E_NS1_11comp_targetILNS1_3genE8ELNS1_11target_archE1030ELNS1_3gpuE2ELNS1_3repE0EEENS1_30default_config_static_selectorELNS0_4arch9wavefront6targetE0EEEvS12_
                                        ; -- End function
	.set _ZN7rocprim17ROCPRIM_400000_NS6detail17trampoline_kernelINS0_13select_configILj256ELj13ELNS0_17block_load_methodE3ELS4_3ELS4_3ELNS0_20block_scan_algorithmE0ELj4294967295EEENS1_25partition_config_selectorILNS1_17partition_subalgoE4EjNS0_10empty_typeEbEEZZNS1_14partition_implILS8_4ELb0ES6_15HIP_vector_typeIjLj2EENS0_17counting_iteratorIjlEEPS9_SG_NS0_5tupleIJPjSI_NS0_16reverse_iteratorISI_EEEEENSH_IJSG_SG_SG_EEES9_SI_JZNS1_25segmented_radix_sort_implINS0_14default_configELb1EPKbPbPKlPlN2at6native12_GLOBAL__N_18offset_tEEE10hipError_tPvRmT1_PNSt15iterator_traitsIS12_E10value_typeET2_T3_PNS13_IS18_E10value_typeET4_jRbjT5_S1E_jjP12ihipStream_tbEUljE_ZNSN_ISO_Lb1ESQ_SR_ST_SU_SY_EESZ_S10_S11_S12_S16_S17_S18_S1B_S1C_jS1D_jS1E_S1E_jjS1G_bEUljE0_EEESZ_S10_S11_S18_S1C_S1E_T6_T7_T9_mT8_S1G_bDpT10_ENKUlT_T0_E_clISt17integral_constantIbLb1EES1T_IbLb0EEEEDaS1P_S1Q_EUlS1P_E_NS1_11comp_targetILNS1_3genE8ELNS1_11target_archE1030ELNS1_3gpuE2ELNS1_3repE0EEENS1_30default_config_static_selectorELNS0_4arch9wavefront6targetE0EEEvS12_.num_vgpr, 0
	.set _ZN7rocprim17ROCPRIM_400000_NS6detail17trampoline_kernelINS0_13select_configILj256ELj13ELNS0_17block_load_methodE3ELS4_3ELS4_3ELNS0_20block_scan_algorithmE0ELj4294967295EEENS1_25partition_config_selectorILNS1_17partition_subalgoE4EjNS0_10empty_typeEbEEZZNS1_14partition_implILS8_4ELb0ES6_15HIP_vector_typeIjLj2EENS0_17counting_iteratorIjlEEPS9_SG_NS0_5tupleIJPjSI_NS0_16reverse_iteratorISI_EEEEENSH_IJSG_SG_SG_EEES9_SI_JZNS1_25segmented_radix_sort_implINS0_14default_configELb1EPKbPbPKlPlN2at6native12_GLOBAL__N_18offset_tEEE10hipError_tPvRmT1_PNSt15iterator_traitsIS12_E10value_typeET2_T3_PNS13_IS18_E10value_typeET4_jRbjT5_S1E_jjP12ihipStream_tbEUljE_ZNSN_ISO_Lb1ESQ_SR_ST_SU_SY_EESZ_S10_S11_S12_S16_S17_S18_S1B_S1C_jS1D_jS1E_S1E_jjS1G_bEUljE0_EEESZ_S10_S11_S18_S1C_S1E_T6_T7_T9_mT8_S1G_bDpT10_ENKUlT_T0_E_clISt17integral_constantIbLb1EES1T_IbLb0EEEEDaS1P_S1Q_EUlS1P_E_NS1_11comp_targetILNS1_3genE8ELNS1_11target_archE1030ELNS1_3gpuE2ELNS1_3repE0EEENS1_30default_config_static_selectorELNS0_4arch9wavefront6targetE0EEEvS12_.num_agpr, 0
	.set _ZN7rocprim17ROCPRIM_400000_NS6detail17trampoline_kernelINS0_13select_configILj256ELj13ELNS0_17block_load_methodE3ELS4_3ELS4_3ELNS0_20block_scan_algorithmE0ELj4294967295EEENS1_25partition_config_selectorILNS1_17partition_subalgoE4EjNS0_10empty_typeEbEEZZNS1_14partition_implILS8_4ELb0ES6_15HIP_vector_typeIjLj2EENS0_17counting_iteratorIjlEEPS9_SG_NS0_5tupleIJPjSI_NS0_16reverse_iteratorISI_EEEEENSH_IJSG_SG_SG_EEES9_SI_JZNS1_25segmented_radix_sort_implINS0_14default_configELb1EPKbPbPKlPlN2at6native12_GLOBAL__N_18offset_tEEE10hipError_tPvRmT1_PNSt15iterator_traitsIS12_E10value_typeET2_T3_PNS13_IS18_E10value_typeET4_jRbjT5_S1E_jjP12ihipStream_tbEUljE_ZNSN_ISO_Lb1ESQ_SR_ST_SU_SY_EESZ_S10_S11_S12_S16_S17_S18_S1B_S1C_jS1D_jS1E_S1E_jjS1G_bEUljE0_EEESZ_S10_S11_S18_S1C_S1E_T6_T7_T9_mT8_S1G_bDpT10_ENKUlT_T0_E_clISt17integral_constantIbLb1EES1T_IbLb0EEEEDaS1P_S1Q_EUlS1P_E_NS1_11comp_targetILNS1_3genE8ELNS1_11target_archE1030ELNS1_3gpuE2ELNS1_3repE0EEENS1_30default_config_static_selectorELNS0_4arch9wavefront6targetE0EEEvS12_.numbered_sgpr, 0
	.set _ZN7rocprim17ROCPRIM_400000_NS6detail17trampoline_kernelINS0_13select_configILj256ELj13ELNS0_17block_load_methodE3ELS4_3ELS4_3ELNS0_20block_scan_algorithmE0ELj4294967295EEENS1_25partition_config_selectorILNS1_17partition_subalgoE4EjNS0_10empty_typeEbEEZZNS1_14partition_implILS8_4ELb0ES6_15HIP_vector_typeIjLj2EENS0_17counting_iteratorIjlEEPS9_SG_NS0_5tupleIJPjSI_NS0_16reverse_iteratorISI_EEEEENSH_IJSG_SG_SG_EEES9_SI_JZNS1_25segmented_radix_sort_implINS0_14default_configELb1EPKbPbPKlPlN2at6native12_GLOBAL__N_18offset_tEEE10hipError_tPvRmT1_PNSt15iterator_traitsIS12_E10value_typeET2_T3_PNS13_IS18_E10value_typeET4_jRbjT5_S1E_jjP12ihipStream_tbEUljE_ZNSN_ISO_Lb1ESQ_SR_ST_SU_SY_EESZ_S10_S11_S12_S16_S17_S18_S1B_S1C_jS1D_jS1E_S1E_jjS1G_bEUljE0_EEESZ_S10_S11_S18_S1C_S1E_T6_T7_T9_mT8_S1G_bDpT10_ENKUlT_T0_E_clISt17integral_constantIbLb1EES1T_IbLb0EEEEDaS1P_S1Q_EUlS1P_E_NS1_11comp_targetILNS1_3genE8ELNS1_11target_archE1030ELNS1_3gpuE2ELNS1_3repE0EEENS1_30default_config_static_selectorELNS0_4arch9wavefront6targetE0EEEvS12_.num_named_barrier, 0
	.set _ZN7rocprim17ROCPRIM_400000_NS6detail17trampoline_kernelINS0_13select_configILj256ELj13ELNS0_17block_load_methodE3ELS4_3ELS4_3ELNS0_20block_scan_algorithmE0ELj4294967295EEENS1_25partition_config_selectorILNS1_17partition_subalgoE4EjNS0_10empty_typeEbEEZZNS1_14partition_implILS8_4ELb0ES6_15HIP_vector_typeIjLj2EENS0_17counting_iteratorIjlEEPS9_SG_NS0_5tupleIJPjSI_NS0_16reverse_iteratorISI_EEEEENSH_IJSG_SG_SG_EEES9_SI_JZNS1_25segmented_radix_sort_implINS0_14default_configELb1EPKbPbPKlPlN2at6native12_GLOBAL__N_18offset_tEEE10hipError_tPvRmT1_PNSt15iterator_traitsIS12_E10value_typeET2_T3_PNS13_IS18_E10value_typeET4_jRbjT5_S1E_jjP12ihipStream_tbEUljE_ZNSN_ISO_Lb1ESQ_SR_ST_SU_SY_EESZ_S10_S11_S12_S16_S17_S18_S1B_S1C_jS1D_jS1E_S1E_jjS1G_bEUljE0_EEESZ_S10_S11_S18_S1C_S1E_T6_T7_T9_mT8_S1G_bDpT10_ENKUlT_T0_E_clISt17integral_constantIbLb1EES1T_IbLb0EEEEDaS1P_S1Q_EUlS1P_E_NS1_11comp_targetILNS1_3genE8ELNS1_11target_archE1030ELNS1_3gpuE2ELNS1_3repE0EEENS1_30default_config_static_selectorELNS0_4arch9wavefront6targetE0EEEvS12_.private_seg_size, 0
	.set _ZN7rocprim17ROCPRIM_400000_NS6detail17trampoline_kernelINS0_13select_configILj256ELj13ELNS0_17block_load_methodE3ELS4_3ELS4_3ELNS0_20block_scan_algorithmE0ELj4294967295EEENS1_25partition_config_selectorILNS1_17partition_subalgoE4EjNS0_10empty_typeEbEEZZNS1_14partition_implILS8_4ELb0ES6_15HIP_vector_typeIjLj2EENS0_17counting_iteratorIjlEEPS9_SG_NS0_5tupleIJPjSI_NS0_16reverse_iteratorISI_EEEEENSH_IJSG_SG_SG_EEES9_SI_JZNS1_25segmented_radix_sort_implINS0_14default_configELb1EPKbPbPKlPlN2at6native12_GLOBAL__N_18offset_tEEE10hipError_tPvRmT1_PNSt15iterator_traitsIS12_E10value_typeET2_T3_PNS13_IS18_E10value_typeET4_jRbjT5_S1E_jjP12ihipStream_tbEUljE_ZNSN_ISO_Lb1ESQ_SR_ST_SU_SY_EESZ_S10_S11_S12_S16_S17_S18_S1B_S1C_jS1D_jS1E_S1E_jjS1G_bEUljE0_EEESZ_S10_S11_S18_S1C_S1E_T6_T7_T9_mT8_S1G_bDpT10_ENKUlT_T0_E_clISt17integral_constantIbLb1EES1T_IbLb0EEEEDaS1P_S1Q_EUlS1P_E_NS1_11comp_targetILNS1_3genE8ELNS1_11target_archE1030ELNS1_3gpuE2ELNS1_3repE0EEENS1_30default_config_static_selectorELNS0_4arch9wavefront6targetE0EEEvS12_.uses_vcc, 0
	.set _ZN7rocprim17ROCPRIM_400000_NS6detail17trampoline_kernelINS0_13select_configILj256ELj13ELNS0_17block_load_methodE3ELS4_3ELS4_3ELNS0_20block_scan_algorithmE0ELj4294967295EEENS1_25partition_config_selectorILNS1_17partition_subalgoE4EjNS0_10empty_typeEbEEZZNS1_14partition_implILS8_4ELb0ES6_15HIP_vector_typeIjLj2EENS0_17counting_iteratorIjlEEPS9_SG_NS0_5tupleIJPjSI_NS0_16reverse_iteratorISI_EEEEENSH_IJSG_SG_SG_EEES9_SI_JZNS1_25segmented_radix_sort_implINS0_14default_configELb1EPKbPbPKlPlN2at6native12_GLOBAL__N_18offset_tEEE10hipError_tPvRmT1_PNSt15iterator_traitsIS12_E10value_typeET2_T3_PNS13_IS18_E10value_typeET4_jRbjT5_S1E_jjP12ihipStream_tbEUljE_ZNSN_ISO_Lb1ESQ_SR_ST_SU_SY_EESZ_S10_S11_S12_S16_S17_S18_S1B_S1C_jS1D_jS1E_S1E_jjS1G_bEUljE0_EEESZ_S10_S11_S18_S1C_S1E_T6_T7_T9_mT8_S1G_bDpT10_ENKUlT_T0_E_clISt17integral_constantIbLb1EES1T_IbLb0EEEEDaS1P_S1Q_EUlS1P_E_NS1_11comp_targetILNS1_3genE8ELNS1_11target_archE1030ELNS1_3gpuE2ELNS1_3repE0EEENS1_30default_config_static_selectorELNS0_4arch9wavefront6targetE0EEEvS12_.uses_flat_scratch, 0
	.set _ZN7rocprim17ROCPRIM_400000_NS6detail17trampoline_kernelINS0_13select_configILj256ELj13ELNS0_17block_load_methodE3ELS4_3ELS4_3ELNS0_20block_scan_algorithmE0ELj4294967295EEENS1_25partition_config_selectorILNS1_17partition_subalgoE4EjNS0_10empty_typeEbEEZZNS1_14partition_implILS8_4ELb0ES6_15HIP_vector_typeIjLj2EENS0_17counting_iteratorIjlEEPS9_SG_NS0_5tupleIJPjSI_NS0_16reverse_iteratorISI_EEEEENSH_IJSG_SG_SG_EEES9_SI_JZNS1_25segmented_radix_sort_implINS0_14default_configELb1EPKbPbPKlPlN2at6native12_GLOBAL__N_18offset_tEEE10hipError_tPvRmT1_PNSt15iterator_traitsIS12_E10value_typeET2_T3_PNS13_IS18_E10value_typeET4_jRbjT5_S1E_jjP12ihipStream_tbEUljE_ZNSN_ISO_Lb1ESQ_SR_ST_SU_SY_EESZ_S10_S11_S12_S16_S17_S18_S1B_S1C_jS1D_jS1E_S1E_jjS1G_bEUljE0_EEESZ_S10_S11_S18_S1C_S1E_T6_T7_T9_mT8_S1G_bDpT10_ENKUlT_T0_E_clISt17integral_constantIbLb1EES1T_IbLb0EEEEDaS1P_S1Q_EUlS1P_E_NS1_11comp_targetILNS1_3genE8ELNS1_11target_archE1030ELNS1_3gpuE2ELNS1_3repE0EEENS1_30default_config_static_selectorELNS0_4arch9wavefront6targetE0EEEvS12_.has_dyn_sized_stack, 0
	.set _ZN7rocprim17ROCPRIM_400000_NS6detail17trampoline_kernelINS0_13select_configILj256ELj13ELNS0_17block_load_methodE3ELS4_3ELS4_3ELNS0_20block_scan_algorithmE0ELj4294967295EEENS1_25partition_config_selectorILNS1_17partition_subalgoE4EjNS0_10empty_typeEbEEZZNS1_14partition_implILS8_4ELb0ES6_15HIP_vector_typeIjLj2EENS0_17counting_iteratorIjlEEPS9_SG_NS0_5tupleIJPjSI_NS0_16reverse_iteratorISI_EEEEENSH_IJSG_SG_SG_EEES9_SI_JZNS1_25segmented_radix_sort_implINS0_14default_configELb1EPKbPbPKlPlN2at6native12_GLOBAL__N_18offset_tEEE10hipError_tPvRmT1_PNSt15iterator_traitsIS12_E10value_typeET2_T3_PNS13_IS18_E10value_typeET4_jRbjT5_S1E_jjP12ihipStream_tbEUljE_ZNSN_ISO_Lb1ESQ_SR_ST_SU_SY_EESZ_S10_S11_S12_S16_S17_S18_S1B_S1C_jS1D_jS1E_S1E_jjS1G_bEUljE0_EEESZ_S10_S11_S18_S1C_S1E_T6_T7_T9_mT8_S1G_bDpT10_ENKUlT_T0_E_clISt17integral_constantIbLb1EES1T_IbLb0EEEEDaS1P_S1Q_EUlS1P_E_NS1_11comp_targetILNS1_3genE8ELNS1_11target_archE1030ELNS1_3gpuE2ELNS1_3repE0EEENS1_30default_config_static_selectorELNS0_4arch9wavefront6targetE0EEEvS12_.has_recursion, 0
	.set _ZN7rocprim17ROCPRIM_400000_NS6detail17trampoline_kernelINS0_13select_configILj256ELj13ELNS0_17block_load_methodE3ELS4_3ELS4_3ELNS0_20block_scan_algorithmE0ELj4294967295EEENS1_25partition_config_selectorILNS1_17partition_subalgoE4EjNS0_10empty_typeEbEEZZNS1_14partition_implILS8_4ELb0ES6_15HIP_vector_typeIjLj2EENS0_17counting_iteratorIjlEEPS9_SG_NS0_5tupleIJPjSI_NS0_16reverse_iteratorISI_EEEEENSH_IJSG_SG_SG_EEES9_SI_JZNS1_25segmented_radix_sort_implINS0_14default_configELb1EPKbPbPKlPlN2at6native12_GLOBAL__N_18offset_tEEE10hipError_tPvRmT1_PNSt15iterator_traitsIS12_E10value_typeET2_T3_PNS13_IS18_E10value_typeET4_jRbjT5_S1E_jjP12ihipStream_tbEUljE_ZNSN_ISO_Lb1ESQ_SR_ST_SU_SY_EESZ_S10_S11_S12_S16_S17_S18_S1B_S1C_jS1D_jS1E_S1E_jjS1G_bEUljE0_EEESZ_S10_S11_S18_S1C_S1E_T6_T7_T9_mT8_S1G_bDpT10_ENKUlT_T0_E_clISt17integral_constantIbLb1EES1T_IbLb0EEEEDaS1P_S1Q_EUlS1P_E_NS1_11comp_targetILNS1_3genE8ELNS1_11target_archE1030ELNS1_3gpuE2ELNS1_3repE0EEENS1_30default_config_static_selectorELNS0_4arch9wavefront6targetE0EEEvS12_.has_indirect_call, 0
	.section	.AMDGPU.csdata,"",@progbits
; Kernel info:
; codeLenInByte = 4
; TotalNumSgprs: 0
; NumVgprs: 0
; ScratchSize: 0
; MemoryBound: 0
; FloatMode: 240
; IeeeMode: 1
; LDSByteSize: 0 bytes/workgroup (compile time only)
; SGPRBlocks: 0
; VGPRBlocks: 0
; NumSGPRsForWavesPerEU: 1
; NumVGPRsForWavesPerEU: 1
; Occupancy: 16
; WaveLimiterHint : 0
; COMPUTE_PGM_RSRC2:SCRATCH_EN: 0
; COMPUTE_PGM_RSRC2:USER_SGPR: 6
; COMPUTE_PGM_RSRC2:TRAP_HANDLER: 0
; COMPUTE_PGM_RSRC2:TGID_X_EN: 1
; COMPUTE_PGM_RSRC2:TGID_Y_EN: 0
; COMPUTE_PGM_RSRC2:TGID_Z_EN: 0
; COMPUTE_PGM_RSRC2:TIDIG_COMP_CNT: 0
	.section	.text._ZN7rocprim17ROCPRIM_400000_NS6detail17trampoline_kernelINS0_13select_configILj256ELj13ELNS0_17block_load_methodE3ELS4_3ELS4_3ELNS0_20block_scan_algorithmE0ELj4294967295EEENS1_25partition_config_selectorILNS1_17partition_subalgoE4EjNS0_10empty_typeEbEEZZNS1_14partition_implILS8_4ELb0ES6_15HIP_vector_typeIjLj2EENS0_17counting_iteratorIjlEEPS9_SG_NS0_5tupleIJPjSI_NS0_16reverse_iteratorISI_EEEEENSH_IJSG_SG_SG_EEES9_SI_JZNS1_25segmented_radix_sort_implINS0_14default_configELb1EPKbPbPKlPlN2at6native12_GLOBAL__N_18offset_tEEE10hipError_tPvRmT1_PNSt15iterator_traitsIS12_E10value_typeET2_T3_PNS13_IS18_E10value_typeET4_jRbjT5_S1E_jjP12ihipStream_tbEUljE_ZNSN_ISO_Lb1ESQ_SR_ST_SU_SY_EESZ_S10_S11_S12_S16_S17_S18_S1B_S1C_jS1D_jS1E_S1E_jjS1G_bEUljE0_EEESZ_S10_S11_S18_S1C_S1E_T6_T7_T9_mT8_S1G_bDpT10_ENKUlT_T0_E_clISt17integral_constantIbLb0EES1T_IbLb1EEEEDaS1P_S1Q_EUlS1P_E_NS1_11comp_targetILNS1_3genE0ELNS1_11target_archE4294967295ELNS1_3gpuE0ELNS1_3repE0EEENS1_30default_config_static_selectorELNS0_4arch9wavefront6targetE0EEEvS12_,"axG",@progbits,_ZN7rocprim17ROCPRIM_400000_NS6detail17trampoline_kernelINS0_13select_configILj256ELj13ELNS0_17block_load_methodE3ELS4_3ELS4_3ELNS0_20block_scan_algorithmE0ELj4294967295EEENS1_25partition_config_selectorILNS1_17partition_subalgoE4EjNS0_10empty_typeEbEEZZNS1_14partition_implILS8_4ELb0ES6_15HIP_vector_typeIjLj2EENS0_17counting_iteratorIjlEEPS9_SG_NS0_5tupleIJPjSI_NS0_16reverse_iteratorISI_EEEEENSH_IJSG_SG_SG_EEES9_SI_JZNS1_25segmented_radix_sort_implINS0_14default_configELb1EPKbPbPKlPlN2at6native12_GLOBAL__N_18offset_tEEE10hipError_tPvRmT1_PNSt15iterator_traitsIS12_E10value_typeET2_T3_PNS13_IS18_E10value_typeET4_jRbjT5_S1E_jjP12ihipStream_tbEUljE_ZNSN_ISO_Lb1ESQ_SR_ST_SU_SY_EESZ_S10_S11_S12_S16_S17_S18_S1B_S1C_jS1D_jS1E_S1E_jjS1G_bEUljE0_EEESZ_S10_S11_S18_S1C_S1E_T6_T7_T9_mT8_S1G_bDpT10_ENKUlT_T0_E_clISt17integral_constantIbLb0EES1T_IbLb1EEEEDaS1P_S1Q_EUlS1P_E_NS1_11comp_targetILNS1_3genE0ELNS1_11target_archE4294967295ELNS1_3gpuE0ELNS1_3repE0EEENS1_30default_config_static_selectorELNS0_4arch9wavefront6targetE0EEEvS12_,comdat
	.globl	_ZN7rocprim17ROCPRIM_400000_NS6detail17trampoline_kernelINS0_13select_configILj256ELj13ELNS0_17block_load_methodE3ELS4_3ELS4_3ELNS0_20block_scan_algorithmE0ELj4294967295EEENS1_25partition_config_selectorILNS1_17partition_subalgoE4EjNS0_10empty_typeEbEEZZNS1_14partition_implILS8_4ELb0ES6_15HIP_vector_typeIjLj2EENS0_17counting_iteratorIjlEEPS9_SG_NS0_5tupleIJPjSI_NS0_16reverse_iteratorISI_EEEEENSH_IJSG_SG_SG_EEES9_SI_JZNS1_25segmented_radix_sort_implINS0_14default_configELb1EPKbPbPKlPlN2at6native12_GLOBAL__N_18offset_tEEE10hipError_tPvRmT1_PNSt15iterator_traitsIS12_E10value_typeET2_T3_PNS13_IS18_E10value_typeET4_jRbjT5_S1E_jjP12ihipStream_tbEUljE_ZNSN_ISO_Lb1ESQ_SR_ST_SU_SY_EESZ_S10_S11_S12_S16_S17_S18_S1B_S1C_jS1D_jS1E_S1E_jjS1G_bEUljE0_EEESZ_S10_S11_S18_S1C_S1E_T6_T7_T9_mT8_S1G_bDpT10_ENKUlT_T0_E_clISt17integral_constantIbLb0EES1T_IbLb1EEEEDaS1P_S1Q_EUlS1P_E_NS1_11comp_targetILNS1_3genE0ELNS1_11target_archE4294967295ELNS1_3gpuE0ELNS1_3repE0EEENS1_30default_config_static_selectorELNS0_4arch9wavefront6targetE0EEEvS12_ ; -- Begin function _ZN7rocprim17ROCPRIM_400000_NS6detail17trampoline_kernelINS0_13select_configILj256ELj13ELNS0_17block_load_methodE3ELS4_3ELS4_3ELNS0_20block_scan_algorithmE0ELj4294967295EEENS1_25partition_config_selectorILNS1_17partition_subalgoE4EjNS0_10empty_typeEbEEZZNS1_14partition_implILS8_4ELb0ES6_15HIP_vector_typeIjLj2EENS0_17counting_iteratorIjlEEPS9_SG_NS0_5tupleIJPjSI_NS0_16reverse_iteratorISI_EEEEENSH_IJSG_SG_SG_EEES9_SI_JZNS1_25segmented_radix_sort_implINS0_14default_configELb1EPKbPbPKlPlN2at6native12_GLOBAL__N_18offset_tEEE10hipError_tPvRmT1_PNSt15iterator_traitsIS12_E10value_typeET2_T3_PNS13_IS18_E10value_typeET4_jRbjT5_S1E_jjP12ihipStream_tbEUljE_ZNSN_ISO_Lb1ESQ_SR_ST_SU_SY_EESZ_S10_S11_S12_S16_S17_S18_S1B_S1C_jS1D_jS1E_S1E_jjS1G_bEUljE0_EEESZ_S10_S11_S18_S1C_S1E_T6_T7_T9_mT8_S1G_bDpT10_ENKUlT_T0_E_clISt17integral_constantIbLb0EES1T_IbLb1EEEEDaS1P_S1Q_EUlS1P_E_NS1_11comp_targetILNS1_3genE0ELNS1_11target_archE4294967295ELNS1_3gpuE0ELNS1_3repE0EEENS1_30default_config_static_selectorELNS0_4arch9wavefront6targetE0EEEvS12_
	.p2align	8
	.type	_ZN7rocprim17ROCPRIM_400000_NS6detail17trampoline_kernelINS0_13select_configILj256ELj13ELNS0_17block_load_methodE3ELS4_3ELS4_3ELNS0_20block_scan_algorithmE0ELj4294967295EEENS1_25partition_config_selectorILNS1_17partition_subalgoE4EjNS0_10empty_typeEbEEZZNS1_14partition_implILS8_4ELb0ES6_15HIP_vector_typeIjLj2EENS0_17counting_iteratorIjlEEPS9_SG_NS0_5tupleIJPjSI_NS0_16reverse_iteratorISI_EEEEENSH_IJSG_SG_SG_EEES9_SI_JZNS1_25segmented_radix_sort_implINS0_14default_configELb1EPKbPbPKlPlN2at6native12_GLOBAL__N_18offset_tEEE10hipError_tPvRmT1_PNSt15iterator_traitsIS12_E10value_typeET2_T3_PNS13_IS18_E10value_typeET4_jRbjT5_S1E_jjP12ihipStream_tbEUljE_ZNSN_ISO_Lb1ESQ_SR_ST_SU_SY_EESZ_S10_S11_S12_S16_S17_S18_S1B_S1C_jS1D_jS1E_S1E_jjS1G_bEUljE0_EEESZ_S10_S11_S18_S1C_S1E_T6_T7_T9_mT8_S1G_bDpT10_ENKUlT_T0_E_clISt17integral_constantIbLb0EES1T_IbLb1EEEEDaS1P_S1Q_EUlS1P_E_NS1_11comp_targetILNS1_3genE0ELNS1_11target_archE4294967295ELNS1_3gpuE0ELNS1_3repE0EEENS1_30default_config_static_selectorELNS0_4arch9wavefront6targetE0EEEvS12_,@function
_ZN7rocprim17ROCPRIM_400000_NS6detail17trampoline_kernelINS0_13select_configILj256ELj13ELNS0_17block_load_methodE3ELS4_3ELS4_3ELNS0_20block_scan_algorithmE0ELj4294967295EEENS1_25partition_config_selectorILNS1_17partition_subalgoE4EjNS0_10empty_typeEbEEZZNS1_14partition_implILS8_4ELb0ES6_15HIP_vector_typeIjLj2EENS0_17counting_iteratorIjlEEPS9_SG_NS0_5tupleIJPjSI_NS0_16reverse_iteratorISI_EEEEENSH_IJSG_SG_SG_EEES9_SI_JZNS1_25segmented_radix_sort_implINS0_14default_configELb1EPKbPbPKlPlN2at6native12_GLOBAL__N_18offset_tEEE10hipError_tPvRmT1_PNSt15iterator_traitsIS12_E10value_typeET2_T3_PNS13_IS18_E10value_typeET4_jRbjT5_S1E_jjP12ihipStream_tbEUljE_ZNSN_ISO_Lb1ESQ_SR_ST_SU_SY_EESZ_S10_S11_S12_S16_S17_S18_S1B_S1C_jS1D_jS1E_S1E_jjS1G_bEUljE0_EEESZ_S10_S11_S18_S1C_S1E_T6_T7_T9_mT8_S1G_bDpT10_ENKUlT_T0_E_clISt17integral_constantIbLb0EES1T_IbLb1EEEEDaS1P_S1Q_EUlS1P_E_NS1_11comp_targetILNS1_3genE0ELNS1_11target_archE4294967295ELNS1_3gpuE0ELNS1_3repE0EEENS1_30default_config_static_selectorELNS0_4arch9wavefront6targetE0EEEvS12_: ; @_ZN7rocprim17ROCPRIM_400000_NS6detail17trampoline_kernelINS0_13select_configILj256ELj13ELNS0_17block_load_methodE3ELS4_3ELS4_3ELNS0_20block_scan_algorithmE0ELj4294967295EEENS1_25partition_config_selectorILNS1_17partition_subalgoE4EjNS0_10empty_typeEbEEZZNS1_14partition_implILS8_4ELb0ES6_15HIP_vector_typeIjLj2EENS0_17counting_iteratorIjlEEPS9_SG_NS0_5tupleIJPjSI_NS0_16reverse_iteratorISI_EEEEENSH_IJSG_SG_SG_EEES9_SI_JZNS1_25segmented_radix_sort_implINS0_14default_configELb1EPKbPbPKlPlN2at6native12_GLOBAL__N_18offset_tEEE10hipError_tPvRmT1_PNSt15iterator_traitsIS12_E10value_typeET2_T3_PNS13_IS18_E10value_typeET4_jRbjT5_S1E_jjP12ihipStream_tbEUljE_ZNSN_ISO_Lb1ESQ_SR_ST_SU_SY_EESZ_S10_S11_S12_S16_S17_S18_S1B_S1C_jS1D_jS1E_S1E_jjS1G_bEUljE0_EEESZ_S10_S11_S18_S1C_S1E_T6_T7_T9_mT8_S1G_bDpT10_ENKUlT_T0_E_clISt17integral_constantIbLb0EES1T_IbLb1EEEEDaS1P_S1Q_EUlS1P_E_NS1_11comp_targetILNS1_3genE0ELNS1_11target_archE4294967295ELNS1_3gpuE0ELNS1_3repE0EEENS1_30default_config_static_selectorELNS0_4arch9wavefront6targetE0EEEvS12_
; %bb.0:
	.section	.rodata,"a",@progbits
	.p2align	6, 0x0
	.amdhsa_kernel _ZN7rocprim17ROCPRIM_400000_NS6detail17trampoline_kernelINS0_13select_configILj256ELj13ELNS0_17block_load_methodE3ELS4_3ELS4_3ELNS0_20block_scan_algorithmE0ELj4294967295EEENS1_25partition_config_selectorILNS1_17partition_subalgoE4EjNS0_10empty_typeEbEEZZNS1_14partition_implILS8_4ELb0ES6_15HIP_vector_typeIjLj2EENS0_17counting_iteratorIjlEEPS9_SG_NS0_5tupleIJPjSI_NS0_16reverse_iteratorISI_EEEEENSH_IJSG_SG_SG_EEES9_SI_JZNS1_25segmented_radix_sort_implINS0_14default_configELb1EPKbPbPKlPlN2at6native12_GLOBAL__N_18offset_tEEE10hipError_tPvRmT1_PNSt15iterator_traitsIS12_E10value_typeET2_T3_PNS13_IS18_E10value_typeET4_jRbjT5_S1E_jjP12ihipStream_tbEUljE_ZNSN_ISO_Lb1ESQ_SR_ST_SU_SY_EESZ_S10_S11_S12_S16_S17_S18_S1B_S1C_jS1D_jS1E_S1E_jjS1G_bEUljE0_EEESZ_S10_S11_S18_S1C_S1E_T6_T7_T9_mT8_S1G_bDpT10_ENKUlT_T0_E_clISt17integral_constantIbLb0EES1T_IbLb1EEEEDaS1P_S1Q_EUlS1P_E_NS1_11comp_targetILNS1_3genE0ELNS1_11target_archE4294967295ELNS1_3gpuE0ELNS1_3repE0EEENS1_30default_config_static_selectorELNS0_4arch9wavefront6targetE0EEEvS12_
		.amdhsa_group_segment_fixed_size 0
		.amdhsa_private_segment_fixed_size 0
		.amdhsa_kernarg_size 184
		.amdhsa_user_sgpr_count 6
		.amdhsa_user_sgpr_private_segment_buffer 1
		.amdhsa_user_sgpr_dispatch_ptr 0
		.amdhsa_user_sgpr_queue_ptr 0
		.amdhsa_user_sgpr_kernarg_segment_ptr 1
		.amdhsa_user_sgpr_dispatch_id 0
		.amdhsa_user_sgpr_flat_scratch_init 0
		.amdhsa_user_sgpr_private_segment_size 0
		.amdhsa_wavefront_size32 1
		.amdhsa_uses_dynamic_stack 0
		.amdhsa_system_sgpr_private_segment_wavefront_offset 0
		.amdhsa_system_sgpr_workgroup_id_x 1
		.amdhsa_system_sgpr_workgroup_id_y 0
		.amdhsa_system_sgpr_workgroup_id_z 0
		.amdhsa_system_sgpr_workgroup_info 0
		.amdhsa_system_vgpr_workitem_id 0
		.amdhsa_next_free_vgpr 1
		.amdhsa_next_free_sgpr 1
		.amdhsa_reserve_vcc 0
		.amdhsa_reserve_flat_scratch 0
		.amdhsa_float_round_mode_32 0
		.amdhsa_float_round_mode_16_64 0
		.amdhsa_float_denorm_mode_32 3
		.amdhsa_float_denorm_mode_16_64 3
		.amdhsa_dx10_clamp 1
		.amdhsa_ieee_mode 1
		.amdhsa_fp16_overflow 0
		.amdhsa_workgroup_processor_mode 1
		.amdhsa_memory_ordered 1
		.amdhsa_forward_progress 1
		.amdhsa_shared_vgpr_count 0
		.amdhsa_exception_fp_ieee_invalid_op 0
		.amdhsa_exception_fp_denorm_src 0
		.amdhsa_exception_fp_ieee_div_zero 0
		.amdhsa_exception_fp_ieee_overflow 0
		.amdhsa_exception_fp_ieee_underflow 0
		.amdhsa_exception_fp_ieee_inexact 0
		.amdhsa_exception_int_div_zero 0
	.end_amdhsa_kernel
	.section	.text._ZN7rocprim17ROCPRIM_400000_NS6detail17trampoline_kernelINS0_13select_configILj256ELj13ELNS0_17block_load_methodE3ELS4_3ELS4_3ELNS0_20block_scan_algorithmE0ELj4294967295EEENS1_25partition_config_selectorILNS1_17partition_subalgoE4EjNS0_10empty_typeEbEEZZNS1_14partition_implILS8_4ELb0ES6_15HIP_vector_typeIjLj2EENS0_17counting_iteratorIjlEEPS9_SG_NS0_5tupleIJPjSI_NS0_16reverse_iteratorISI_EEEEENSH_IJSG_SG_SG_EEES9_SI_JZNS1_25segmented_radix_sort_implINS0_14default_configELb1EPKbPbPKlPlN2at6native12_GLOBAL__N_18offset_tEEE10hipError_tPvRmT1_PNSt15iterator_traitsIS12_E10value_typeET2_T3_PNS13_IS18_E10value_typeET4_jRbjT5_S1E_jjP12ihipStream_tbEUljE_ZNSN_ISO_Lb1ESQ_SR_ST_SU_SY_EESZ_S10_S11_S12_S16_S17_S18_S1B_S1C_jS1D_jS1E_S1E_jjS1G_bEUljE0_EEESZ_S10_S11_S18_S1C_S1E_T6_T7_T9_mT8_S1G_bDpT10_ENKUlT_T0_E_clISt17integral_constantIbLb0EES1T_IbLb1EEEEDaS1P_S1Q_EUlS1P_E_NS1_11comp_targetILNS1_3genE0ELNS1_11target_archE4294967295ELNS1_3gpuE0ELNS1_3repE0EEENS1_30default_config_static_selectorELNS0_4arch9wavefront6targetE0EEEvS12_,"axG",@progbits,_ZN7rocprim17ROCPRIM_400000_NS6detail17trampoline_kernelINS0_13select_configILj256ELj13ELNS0_17block_load_methodE3ELS4_3ELS4_3ELNS0_20block_scan_algorithmE0ELj4294967295EEENS1_25partition_config_selectorILNS1_17partition_subalgoE4EjNS0_10empty_typeEbEEZZNS1_14partition_implILS8_4ELb0ES6_15HIP_vector_typeIjLj2EENS0_17counting_iteratorIjlEEPS9_SG_NS0_5tupleIJPjSI_NS0_16reverse_iteratorISI_EEEEENSH_IJSG_SG_SG_EEES9_SI_JZNS1_25segmented_radix_sort_implINS0_14default_configELb1EPKbPbPKlPlN2at6native12_GLOBAL__N_18offset_tEEE10hipError_tPvRmT1_PNSt15iterator_traitsIS12_E10value_typeET2_T3_PNS13_IS18_E10value_typeET4_jRbjT5_S1E_jjP12ihipStream_tbEUljE_ZNSN_ISO_Lb1ESQ_SR_ST_SU_SY_EESZ_S10_S11_S12_S16_S17_S18_S1B_S1C_jS1D_jS1E_S1E_jjS1G_bEUljE0_EEESZ_S10_S11_S18_S1C_S1E_T6_T7_T9_mT8_S1G_bDpT10_ENKUlT_T0_E_clISt17integral_constantIbLb0EES1T_IbLb1EEEEDaS1P_S1Q_EUlS1P_E_NS1_11comp_targetILNS1_3genE0ELNS1_11target_archE4294967295ELNS1_3gpuE0ELNS1_3repE0EEENS1_30default_config_static_selectorELNS0_4arch9wavefront6targetE0EEEvS12_,comdat
.Lfunc_end1484:
	.size	_ZN7rocprim17ROCPRIM_400000_NS6detail17trampoline_kernelINS0_13select_configILj256ELj13ELNS0_17block_load_methodE3ELS4_3ELS4_3ELNS0_20block_scan_algorithmE0ELj4294967295EEENS1_25partition_config_selectorILNS1_17partition_subalgoE4EjNS0_10empty_typeEbEEZZNS1_14partition_implILS8_4ELb0ES6_15HIP_vector_typeIjLj2EENS0_17counting_iteratorIjlEEPS9_SG_NS0_5tupleIJPjSI_NS0_16reverse_iteratorISI_EEEEENSH_IJSG_SG_SG_EEES9_SI_JZNS1_25segmented_radix_sort_implINS0_14default_configELb1EPKbPbPKlPlN2at6native12_GLOBAL__N_18offset_tEEE10hipError_tPvRmT1_PNSt15iterator_traitsIS12_E10value_typeET2_T3_PNS13_IS18_E10value_typeET4_jRbjT5_S1E_jjP12ihipStream_tbEUljE_ZNSN_ISO_Lb1ESQ_SR_ST_SU_SY_EESZ_S10_S11_S12_S16_S17_S18_S1B_S1C_jS1D_jS1E_S1E_jjS1G_bEUljE0_EEESZ_S10_S11_S18_S1C_S1E_T6_T7_T9_mT8_S1G_bDpT10_ENKUlT_T0_E_clISt17integral_constantIbLb0EES1T_IbLb1EEEEDaS1P_S1Q_EUlS1P_E_NS1_11comp_targetILNS1_3genE0ELNS1_11target_archE4294967295ELNS1_3gpuE0ELNS1_3repE0EEENS1_30default_config_static_selectorELNS0_4arch9wavefront6targetE0EEEvS12_, .Lfunc_end1484-_ZN7rocprim17ROCPRIM_400000_NS6detail17trampoline_kernelINS0_13select_configILj256ELj13ELNS0_17block_load_methodE3ELS4_3ELS4_3ELNS0_20block_scan_algorithmE0ELj4294967295EEENS1_25partition_config_selectorILNS1_17partition_subalgoE4EjNS0_10empty_typeEbEEZZNS1_14partition_implILS8_4ELb0ES6_15HIP_vector_typeIjLj2EENS0_17counting_iteratorIjlEEPS9_SG_NS0_5tupleIJPjSI_NS0_16reverse_iteratorISI_EEEEENSH_IJSG_SG_SG_EEES9_SI_JZNS1_25segmented_radix_sort_implINS0_14default_configELb1EPKbPbPKlPlN2at6native12_GLOBAL__N_18offset_tEEE10hipError_tPvRmT1_PNSt15iterator_traitsIS12_E10value_typeET2_T3_PNS13_IS18_E10value_typeET4_jRbjT5_S1E_jjP12ihipStream_tbEUljE_ZNSN_ISO_Lb1ESQ_SR_ST_SU_SY_EESZ_S10_S11_S12_S16_S17_S18_S1B_S1C_jS1D_jS1E_S1E_jjS1G_bEUljE0_EEESZ_S10_S11_S18_S1C_S1E_T6_T7_T9_mT8_S1G_bDpT10_ENKUlT_T0_E_clISt17integral_constantIbLb0EES1T_IbLb1EEEEDaS1P_S1Q_EUlS1P_E_NS1_11comp_targetILNS1_3genE0ELNS1_11target_archE4294967295ELNS1_3gpuE0ELNS1_3repE0EEENS1_30default_config_static_selectorELNS0_4arch9wavefront6targetE0EEEvS12_
                                        ; -- End function
	.set _ZN7rocprim17ROCPRIM_400000_NS6detail17trampoline_kernelINS0_13select_configILj256ELj13ELNS0_17block_load_methodE3ELS4_3ELS4_3ELNS0_20block_scan_algorithmE0ELj4294967295EEENS1_25partition_config_selectorILNS1_17partition_subalgoE4EjNS0_10empty_typeEbEEZZNS1_14partition_implILS8_4ELb0ES6_15HIP_vector_typeIjLj2EENS0_17counting_iteratorIjlEEPS9_SG_NS0_5tupleIJPjSI_NS0_16reverse_iteratorISI_EEEEENSH_IJSG_SG_SG_EEES9_SI_JZNS1_25segmented_radix_sort_implINS0_14default_configELb1EPKbPbPKlPlN2at6native12_GLOBAL__N_18offset_tEEE10hipError_tPvRmT1_PNSt15iterator_traitsIS12_E10value_typeET2_T3_PNS13_IS18_E10value_typeET4_jRbjT5_S1E_jjP12ihipStream_tbEUljE_ZNSN_ISO_Lb1ESQ_SR_ST_SU_SY_EESZ_S10_S11_S12_S16_S17_S18_S1B_S1C_jS1D_jS1E_S1E_jjS1G_bEUljE0_EEESZ_S10_S11_S18_S1C_S1E_T6_T7_T9_mT8_S1G_bDpT10_ENKUlT_T0_E_clISt17integral_constantIbLb0EES1T_IbLb1EEEEDaS1P_S1Q_EUlS1P_E_NS1_11comp_targetILNS1_3genE0ELNS1_11target_archE4294967295ELNS1_3gpuE0ELNS1_3repE0EEENS1_30default_config_static_selectorELNS0_4arch9wavefront6targetE0EEEvS12_.num_vgpr, 0
	.set _ZN7rocprim17ROCPRIM_400000_NS6detail17trampoline_kernelINS0_13select_configILj256ELj13ELNS0_17block_load_methodE3ELS4_3ELS4_3ELNS0_20block_scan_algorithmE0ELj4294967295EEENS1_25partition_config_selectorILNS1_17partition_subalgoE4EjNS0_10empty_typeEbEEZZNS1_14partition_implILS8_4ELb0ES6_15HIP_vector_typeIjLj2EENS0_17counting_iteratorIjlEEPS9_SG_NS0_5tupleIJPjSI_NS0_16reverse_iteratorISI_EEEEENSH_IJSG_SG_SG_EEES9_SI_JZNS1_25segmented_radix_sort_implINS0_14default_configELb1EPKbPbPKlPlN2at6native12_GLOBAL__N_18offset_tEEE10hipError_tPvRmT1_PNSt15iterator_traitsIS12_E10value_typeET2_T3_PNS13_IS18_E10value_typeET4_jRbjT5_S1E_jjP12ihipStream_tbEUljE_ZNSN_ISO_Lb1ESQ_SR_ST_SU_SY_EESZ_S10_S11_S12_S16_S17_S18_S1B_S1C_jS1D_jS1E_S1E_jjS1G_bEUljE0_EEESZ_S10_S11_S18_S1C_S1E_T6_T7_T9_mT8_S1G_bDpT10_ENKUlT_T0_E_clISt17integral_constantIbLb0EES1T_IbLb1EEEEDaS1P_S1Q_EUlS1P_E_NS1_11comp_targetILNS1_3genE0ELNS1_11target_archE4294967295ELNS1_3gpuE0ELNS1_3repE0EEENS1_30default_config_static_selectorELNS0_4arch9wavefront6targetE0EEEvS12_.num_agpr, 0
	.set _ZN7rocprim17ROCPRIM_400000_NS6detail17trampoline_kernelINS0_13select_configILj256ELj13ELNS0_17block_load_methodE3ELS4_3ELS4_3ELNS0_20block_scan_algorithmE0ELj4294967295EEENS1_25partition_config_selectorILNS1_17partition_subalgoE4EjNS0_10empty_typeEbEEZZNS1_14partition_implILS8_4ELb0ES6_15HIP_vector_typeIjLj2EENS0_17counting_iteratorIjlEEPS9_SG_NS0_5tupleIJPjSI_NS0_16reverse_iteratorISI_EEEEENSH_IJSG_SG_SG_EEES9_SI_JZNS1_25segmented_radix_sort_implINS0_14default_configELb1EPKbPbPKlPlN2at6native12_GLOBAL__N_18offset_tEEE10hipError_tPvRmT1_PNSt15iterator_traitsIS12_E10value_typeET2_T3_PNS13_IS18_E10value_typeET4_jRbjT5_S1E_jjP12ihipStream_tbEUljE_ZNSN_ISO_Lb1ESQ_SR_ST_SU_SY_EESZ_S10_S11_S12_S16_S17_S18_S1B_S1C_jS1D_jS1E_S1E_jjS1G_bEUljE0_EEESZ_S10_S11_S18_S1C_S1E_T6_T7_T9_mT8_S1G_bDpT10_ENKUlT_T0_E_clISt17integral_constantIbLb0EES1T_IbLb1EEEEDaS1P_S1Q_EUlS1P_E_NS1_11comp_targetILNS1_3genE0ELNS1_11target_archE4294967295ELNS1_3gpuE0ELNS1_3repE0EEENS1_30default_config_static_selectorELNS0_4arch9wavefront6targetE0EEEvS12_.numbered_sgpr, 0
	.set _ZN7rocprim17ROCPRIM_400000_NS6detail17trampoline_kernelINS0_13select_configILj256ELj13ELNS0_17block_load_methodE3ELS4_3ELS4_3ELNS0_20block_scan_algorithmE0ELj4294967295EEENS1_25partition_config_selectorILNS1_17partition_subalgoE4EjNS0_10empty_typeEbEEZZNS1_14partition_implILS8_4ELb0ES6_15HIP_vector_typeIjLj2EENS0_17counting_iteratorIjlEEPS9_SG_NS0_5tupleIJPjSI_NS0_16reverse_iteratorISI_EEEEENSH_IJSG_SG_SG_EEES9_SI_JZNS1_25segmented_radix_sort_implINS0_14default_configELb1EPKbPbPKlPlN2at6native12_GLOBAL__N_18offset_tEEE10hipError_tPvRmT1_PNSt15iterator_traitsIS12_E10value_typeET2_T3_PNS13_IS18_E10value_typeET4_jRbjT5_S1E_jjP12ihipStream_tbEUljE_ZNSN_ISO_Lb1ESQ_SR_ST_SU_SY_EESZ_S10_S11_S12_S16_S17_S18_S1B_S1C_jS1D_jS1E_S1E_jjS1G_bEUljE0_EEESZ_S10_S11_S18_S1C_S1E_T6_T7_T9_mT8_S1G_bDpT10_ENKUlT_T0_E_clISt17integral_constantIbLb0EES1T_IbLb1EEEEDaS1P_S1Q_EUlS1P_E_NS1_11comp_targetILNS1_3genE0ELNS1_11target_archE4294967295ELNS1_3gpuE0ELNS1_3repE0EEENS1_30default_config_static_selectorELNS0_4arch9wavefront6targetE0EEEvS12_.num_named_barrier, 0
	.set _ZN7rocprim17ROCPRIM_400000_NS6detail17trampoline_kernelINS0_13select_configILj256ELj13ELNS0_17block_load_methodE3ELS4_3ELS4_3ELNS0_20block_scan_algorithmE0ELj4294967295EEENS1_25partition_config_selectorILNS1_17partition_subalgoE4EjNS0_10empty_typeEbEEZZNS1_14partition_implILS8_4ELb0ES6_15HIP_vector_typeIjLj2EENS0_17counting_iteratorIjlEEPS9_SG_NS0_5tupleIJPjSI_NS0_16reverse_iteratorISI_EEEEENSH_IJSG_SG_SG_EEES9_SI_JZNS1_25segmented_radix_sort_implINS0_14default_configELb1EPKbPbPKlPlN2at6native12_GLOBAL__N_18offset_tEEE10hipError_tPvRmT1_PNSt15iterator_traitsIS12_E10value_typeET2_T3_PNS13_IS18_E10value_typeET4_jRbjT5_S1E_jjP12ihipStream_tbEUljE_ZNSN_ISO_Lb1ESQ_SR_ST_SU_SY_EESZ_S10_S11_S12_S16_S17_S18_S1B_S1C_jS1D_jS1E_S1E_jjS1G_bEUljE0_EEESZ_S10_S11_S18_S1C_S1E_T6_T7_T9_mT8_S1G_bDpT10_ENKUlT_T0_E_clISt17integral_constantIbLb0EES1T_IbLb1EEEEDaS1P_S1Q_EUlS1P_E_NS1_11comp_targetILNS1_3genE0ELNS1_11target_archE4294967295ELNS1_3gpuE0ELNS1_3repE0EEENS1_30default_config_static_selectorELNS0_4arch9wavefront6targetE0EEEvS12_.private_seg_size, 0
	.set _ZN7rocprim17ROCPRIM_400000_NS6detail17trampoline_kernelINS0_13select_configILj256ELj13ELNS0_17block_load_methodE3ELS4_3ELS4_3ELNS0_20block_scan_algorithmE0ELj4294967295EEENS1_25partition_config_selectorILNS1_17partition_subalgoE4EjNS0_10empty_typeEbEEZZNS1_14partition_implILS8_4ELb0ES6_15HIP_vector_typeIjLj2EENS0_17counting_iteratorIjlEEPS9_SG_NS0_5tupleIJPjSI_NS0_16reverse_iteratorISI_EEEEENSH_IJSG_SG_SG_EEES9_SI_JZNS1_25segmented_radix_sort_implINS0_14default_configELb1EPKbPbPKlPlN2at6native12_GLOBAL__N_18offset_tEEE10hipError_tPvRmT1_PNSt15iterator_traitsIS12_E10value_typeET2_T3_PNS13_IS18_E10value_typeET4_jRbjT5_S1E_jjP12ihipStream_tbEUljE_ZNSN_ISO_Lb1ESQ_SR_ST_SU_SY_EESZ_S10_S11_S12_S16_S17_S18_S1B_S1C_jS1D_jS1E_S1E_jjS1G_bEUljE0_EEESZ_S10_S11_S18_S1C_S1E_T6_T7_T9_mT8_S1G_bDpT10_ENKUlT_T0_E_clISt17integral_constantIbLb0EES1T_IbLb1EEEEDaS1P_S1Q_EUlS1P_E_NS1_11comp_targetILNS1_3genE0ELNS1_11target_archE4294967295ELNS1_3gpuE0ELNS1_3repE0EEENS1_30default_config_static_selectorELNS0_4arch9wavefront6targetE0EEEvS12_.uses_vcc, 0
	.set _ZN7rocprim17ROCPRIM_400000_NS6detail17trampoline_kernelINS0_13select_configILj256ELj13ELNS0_17block_load_methodE3ELS4_3ELS4_3ELNS0_20block_scan_algorithmE0ELj4294967295EEENS1_25partition_config_selectorILNS1_17partition_subalgoE4EjNS0_10empty_typeEbEEZZNS1_14partition_implILS8_4ELb0ES6_15HIP_vector_typeIjLj2EENS0_17counting_iteratorIjlEEPS9_SG_NS0_5tupleIJPjSI_NS0_16reverse_iteratorISI_EEEEENSH_IJSG_SG_SG_EEES9_SI_JZNS1_25segmented_radix_sort_implINS0_14default_configELb1EPKbPbPKlPlN2at6native12_GLOBAL__N_18offset_tEEE10hipError_tPvRmT1_PNSt15iterator_traitsIS12_E10value_typeET2_T3_PNS13_IS18_E10value_typeET4_jRbjT5_S1E_jjP12ihipStream_tbEUljE_ZNSN_ISO_Lb1ESQ_SR_ST_SU_SY_EESZ_S10_S11_S12_S16_S17_S18_S1B_S1C_jS1D_jS1E_S1E_jjS1G_bEUljE0_EEESZ_S10_S11_S18_S1C_S1E_T6_T7_T9_mT8_S1G_bDpT10_ENKUlT_T0_E_clISt17integral_constantIbLb0EES1T_IbLb1EEEEDaS1P_S1Q_EUlS1P_E_NS1_11comp_targetILNS1_3genE0ELNS1_11target_archE4294967295ELNS1_3gpuE0ELNS1_3repE0EEENS1_30default_config_static_selectorELNS0_4arch9wavefront6targetE0EEEvS12_.uses_flat_scratch, 0
	.set _ZN7rocprim17ROCPRIM_400000_NS6detail17trampoline_kernelINS0_13select_configILj256ELj13ELNS0_17block_load_methodE3ELS4_3ELS4_3ELNS0_20block_scan_algorithmE0ELj4294967295EEENS1_25partition_config_selectorILNS1_17partition_subalgoE4EjNS0_10empty_typeEbEEZZNS1_14partition_implILS8_4ELb0ES6_15HIP_vector_typeIjLj2EENS0_17counting_iteratorIjlEEPS9_SG_NS0_5tupleIJPjSI_NS0_16reverse_iteratorISI_EEEEENSH_IJSG_SG_SG_EEES9_SI_JZNS1_25segmented_radix_sort_implINS0_14default_configELb1EPKbPbPKlPlN2at6native12_GLOBAL__N_18offset_tEEE10hipError_tPvRmT1_PNSt15iterator_traitsIS12_E10value_typeET2_T3_PNS13_IS18_E10value_typeET4_jRbjT5_S1E_jjP12ihipStream_tbEUljE_ZNSN_ISO_Lb1ESQ_SR_ST_SU_SY_EESZ_S10_S11_S12_S16_S17_S18_S1B_S1C_jS1D_jS1E_S1E_jjS1G_bEUljE0_EEESZ_S10_S11_S18_S1C_S1E_T6_T7_T9_mT8_S1G_bDpT10_ENKUlT_T0_E_clISt17integral_constantIbLb0EES1T_IbLb1EEEEDaS1P_S1Q_EUlS1P_E_NS1_11comp_targetILNS1_3genE0ELNS1_11target_archE4294967295ELNS1_3gpuE0ELNS1_3repE0EEENS1_30default_config_static_selectorELNS0_4arch9wavefront6targetE0EEEvS12_.has_dyn_sized_stack, 0
	.set _ZN7rocprim17ROCPRIM_400000_NS6detail17trampoline_kernelINS0_13select_configILj256ELj13ELNS0_17block_load_methodE3ELS4_3ELS4_3ELNS0_20block_scan_algorithmE0ELj4294967295EEENS1_25partition_config_selectorILNS1_17partition_subalgoE4EjNS0_10empty_typeEbEEZZNS1_14partition_implILS8_4ELb0ES6_15HIP_vector_typeIjLj2EENS0_17counting_iteratorIjlEEPS9_SG_NS0_5tupleIJPjSI_NS0_16reverse_iteratorISI_EEEEENSH_IJSG_SG_SG_EEES9_SI_JZNS1_25segmented_radix_sort_implINS0_14default_configELb1EPKbPbPKlPlN2at6native12_GLOBAL__N_18offset_tEEE10hipError_tPvRmT1_PNSt15iterator_traitsIS12_E10value_typeET2_T3_PNS13_IS18_E10value_typeET4_jRbjT5_S1E_jjP12ihipStream_tbEUljE_ZNSN_ISO_Lb1ESQ_SR_ST_SU_SY_EESZ_S10_S11_S12_S16_S17_S18_S1B_S1C_jS1D_jS1E_S1E_jjS1G_bEUljE0_EEESZ_S10_S11_S18_S1C_S1E_T6_T7_T9_mT8_S1G_bDpT10_ENKUlT_T0_E_clISt17integral_constantIbLb0EES1T_IbLb1EEEEDaS1P_S1Q_EUlS1P_E_NS1_11comp_targetILNS1_3genE0ELNS1_11target_archE4294967295ELNS1_3gpuE0ELNS1_3repE0EEENS1_30default_config_static_selectorELNS0_4arch9wavefront6targetE0EEEvS12_.has_recursion, 0
	.set _ZN7rocprim17ROCPRIM_400000_NS6detail17trampoline_kernelINS0_13select_configILj256ELj13ELNS0_17block_load_methodE3ELS4_3ELS4_3ELNS0_20block_scan_algorithmE0ELj4294967295EEENS1_25partition_config_selectorILNS1_17partition_subalgoE4EjNS0_10empty_typeEbEEZZNS1_14partition_implILS8_4ELb0ES6_15HIP_vector_typeIjLj2EENS0_17counting_iteratorIjlEEPS9_SG_NS0_5tupleIJPjSI_NS0_16reverse_iteratorISI_EEEEENSH_IJSG_SG_SG_EEES9_SI_JZNS1_25segmented_radix_sort_implINS0_14default_configELb1EPKbPbPKlPlN2at6native12_GLOBAL__N_18offset_tEEE10hipError_tPvRmT1_PNSt15iterator_traitsIS12_E10value_typeET2_T3_PNS13_IS18_E10value_typeET4_jRbjT5_S1E_jjP12ihipStream_tbEUljE_ZNSN_ISO_Lb1ESQ_SR_ST_SU_SY_EESZ_S10_S11_S12_S16_S17_S18_S1B_S1C_jS1D_jS1E_S1E_jjS1G_bEUljE0_EEESZ_S10_S11_S18_S1C_S1E_T6_T7_T9_mT8_S1G_bDpT10_ENKUlT_T0_E_clISt17integral_constantIbLb0EES1T_IbLb1EEEEDaS1P_S1Q_EUlS1P_E_NS1_11comp_targetILNS1_3genE0ELNS1_11target_archE4294967295ELNS1_3gpuE0ELNS1_3repE0EEENS1_30default_config_static_selectorELNS0_4arch9wavefront6targetE0EEEvS12_.has_indirect_call, 0
	.section	.AMDGPU.csdata,"",@progbits
; Kernel info:
; codeLenInByte = 0
; TotalNumSgprs: 0
; NumVgprs: 0
; ScratchSize: 0
; MemoryBound: 0
; FloatMode: 240
; IeeeMode: 1
; LDSByteSize: 0 bytes/workgroup (compile time only)
; SGPRBlocks: 0
; VGPRBlocks: 0
; NumSGPRsForWavesPerEU: 1
; NumVGPRsForWavesPerEU: 1
; Occupancy: 16
; WaveLimiterHint : 0
; COMPUTE_PGM_RSRC2:SCRATCH_EN: 0
; COMPUTE_PGM_RSRC2:USER_SGPR: 6
; COMPUTE_PGM_RSRC2:TRAP_HANDLER: 0
; COMPUTE_PGM_RSRC2:TGID_X_EN: 1
; COMPUTE_PGM_RSRC2:TGID_Y_EN: 0
; COMPUTE_PGM_RSRC2:TGID_Z_EN: 0
; COMPUTE_PGM_RSRC2:TIDIG_COMP_CNT: 0
	.section	.text._ZN7rocprim17ROCPRIM_400000_NS6detail17trampoline_kernelINS0_13select_configILj256ELj13ELNS0_17block_load_methodE3ELS4_3ELS4_3ELNS0_20block_scan_algorithmE0ELj4294967295EEENS1_25partition_config_selectorILNS1_17partition_subalgoE4EjNS0_10empty_typeEbEEZZNS1_14partition_implILS8_4ELb0ES6_15HIP_vector_typeIjLj2EENS0_17counting_iteratorIjlEEPS9_SG_NS0_5tupleIJPjSI_NS0_16reverse_iteratorISI_EEEEENSH_IJSG_SG_SG_EEES9_SI_JZNS1_25segmented_radix_sort_implINS0_14default_configELb1EPKbPbPKlPlN2at6native12_GLOBAL__N_18offset_tEEE10hipError_tPvRmT1_PNSt15iterator_traitsIS12_E10value_typeET2_T3_PNS13_IS18_E10value_typeET4_jRbjT5_S1E_jjP12ihipStream_tbEUljE_ZNSN_ISO_Lb1ESQ_SR_ST_SU_SY_EESZ_S10_S11_S12_S16_S17_S18_S1B_S1C_jS1D_jS1E_S1E_jjS1G_bEUljE0_EEESZ_S10_S11_S18_S1C_S1E_T6_T7_T9_mT8_S1G_bDpT10_ENKUlT_T0_E_clISt17integral_constantIbLb0EES1T_IbLb1EEEEDaS1P_S1Q_EUlS1P_E_NS1_11comp_targetILNS1_3genE5ELNS1_11target_archE942ELNS1_3gpuE9ELNS1_3repE0EEENS1_30default_config_static_selectorELNS0_4arch9wavefront6targetE0EEEvS12_,"axG",@progbits,_ZN7rocprim17ROCPRIM_400000_NS6detail17trampoline_kernelINS0_13select_configILj256ELj13ELNS0_17block_load_methodE3ELS4_3ELS4_3ELNS0_20block_scan_algorithmE0ELj4294967295EEENS1_25partition_config_selectorILNS1_17partition_subalgoE4EjNS0_10empty_typeEbEEZZNS1_14partition_implILS8_4ELb0ES6_15HIP_vector_typeIjLj2EENS0_17counting_iteratorIjlEEPS9_SG_NS0_5tupleIJPjSI_NS0_16reverse_iteratorISI_EEEEENSH_IJSG_SG_SG_EEES9_SI_JZNS1_25segmented_radix_sort_implINS0_14default_configELb1EPKbPbPKlPlN2at6native12_GLOBAL__N_18offset_tEEE10hipError_tPvRmT1_PNSt15iterator_traitsIS12_E10value_typeET2_T3_PNS13_IS18_E10value_typeET4_jRbjT5_S1E_jjP12ihipStream_tbEUljE_ZNSN_ISO_Lb1ESQ_SR_ST_SU_SY_EESZ_S10_S11_S12_S16_S17_S18_S1B_S1C_jS1D_jS1E_S1E_jjS1G_bEUljE0_EEESZ_S10_S11_S18_S1C_S1E_T6_T7_T9_mT8_S1G_bDpT10_ENKUlT_T0_E_clISt17integral_constantIbLb0EES1T_IbLb1EEEEDaS1P_S1Q_EUlS1P_E_NS1_11comp_targetILNS1_3genE5ELNS1_11target_archE942ELNS1_3gpuE9ELNS1_3repE0EEENS1_30default_config_static_selectorELNS0_4arch9wavefront6targetE0EEEvS12_,comdat
	.globl	_ZN7rocprim17ROCPRIM_400000_NS6detail17trampoline_kernelINS0_13select_configILj256ELj13ELNS0_17block_load_methodE3ELS4_3ELS4_3ELNS0_20block_scan_algorithmE0ELj4294967295EEENS1_25partition_config_selectorILNS1_17partition_subalgoE4EjNS0_10empty_typeEbEEZZNS1_14partition_implILS8_4ELb0ES6_15HIP_vector_typeIjLj2EENS0_17counting_iteratorIjlEEPS9_SG_NS0_5tupleIJPjSI_NS0_16reverse_iteratorISI_EEEEENSH_IJSG_SG_SG_EEES9_SI_JZNS1_25segmented_radix_sort_implINS0_14default_configELb1EPKbPbPKlPlN2at6native12_GLOBAL__N_18offset_tEEE10hipError_tPvRmT1_PNSt15iterator_traitsIS12_E10value_typeET2_T3_PNS13_IS18_E10value_typeET4_jRbjT5_S1E_jjP12ihipStream_tbEUljE_ZNSN_ISO_Lb1ESQ_SR_ST_SU_SY_EESZ_S10_S11_S12_S16_S17_S18_S1B_S1C_jS1D_jS1E_S1E_jjS1G_bEUljE0_EEESZ_S10_S11_S18_S1C_S1E_T6_T7_T9_mT8_S1G_bDpT10_ENKUlT_T0_E_clISt17integral_constantIbLb0EES1T_IbLb1EEEEDaS1P_S1Q_EUlS1P_E_NS1_11comp_targetILNS1_3genE5ELNS1_11target_archE942ELNS1_3gpuE9ELNS1_3repE0EEENS1_30default_config_static_selectorELNS0_4arch9wavefront6targetE0EEEvS12_ ; -- Begin function _ZN7rocprim17ROCPRIM_400000_NS6detail17trampoline_kernelINS0_13select_configILj256ELj13ELNS0_17block_load_methodE3ELS4_3ELS4_3ELNS0_20block_scan_algorithmE0ELj4294967295EEENS1_25partition_config_selectorILNS1_17partition_subalgoE4EjNS0_10empty_typeEbEEZZNS1_14partition_implILS8_4ELb0ES6_15HIP_vector_typeIjLj2EENS0_17counting_iteratorIjlEEPS9_SG_NS0_5tupleIJPjSI_NS0_16reverse_iteratorISI_EEEEENSH_IJSG_SG_SG_EEES9_SI_JZNS1_25segmented_radix_sort_implINS0_14default_configELb1EPKbPbPKlPlN2at6native12_GLOBAL__N_18offset_tEEE10hipError_tPvRmT1_PNSt15iterator_traitsIS12_E10value_typeET2_T3_PNS13_IS18_E10value_typeET4_jRbjT5_S1E_jjP12ihipStream_tbEUljE_ZNSN_ISO_Lb1ESQ_SR_ST_SU_SY_EESZ_S10_S11_S12_S16_S17_S18_S1B_S1C_jS1D_jS1E_S1E_jjS1G_bEUljE0_EEESZ_S10_S11_S18_S1C_S1E_T6_T7_T9_mT8_S1G_bDpT10_ENKUlT_T0_E_clISt17integral_constantIbLb0EES1T_IbLb1EEEEDaS1P_S1Q_EUlS1P_E_NS1_11comp_targetILNS1_3genE5ELNS1_11target_archE942ELNS1_3gpuE9ELNS1_3repE0EEENS1_30default_config_static_selectorELNS0_4arch9wavefront6targetE0EEEvS12_
	.p2align	8
	.type	_ZN7rocprim17ROCPRIM_400000_NS6detail17trampoline_kernelINS0_13select_configILj256ELj13ELNS0_17block_load_methodE3ELS4_3ELS4_3ELNS0_20block_scan_algorithmE0ELj4294967295EEENS1_25partition_config_selectorILNS1_17partition_subalgoE4EjNS0_10empty_typeEbEEZZNS1_14partition_implILS8_4ELb0ES6_15HIP_vector_typeIjLj2EENS0_17counting_iteratorIjlEEPS9_SG_NS0_5tupleIJPjSI_NS0_16reverse_iteratorISI_EEEEENSH_IJSG_SG_SG_EEES9_SI_JZNS1_25segmented_radix_sort_implINS0_14default_configELb1EPKbPbPKlPlN2at6native12_GLOBAL__N_18offset_tEEE10hipError_tPvRmT1_PNSt15iterator_traitsIS12_E10value_typeET2_T3_PNS13_IS18_E10value_typeET4_jRbjT5_S1E_jjP12ihipStream_tbEUljE_ZNSN_ISO_Lb1ESQ_SR_ST_SU_SY_EESZ_S10_S11_S12_S16_S17_S18_S1B_S1C_jS1D_jS1E_S1E_jjS1G_bEUljE0_EEESZ_S10_S11_S18_S1C_S1E_T6_T7_T9_mT8_S1G_bDpT10_ENKUlT_T0_E_clISt17integral_constantIbLb0EES1T_IbLb1EEEEDaS1P_S1Q_EUlS1P_E_NS1_11comp_targetILNS1_3genE5ELNS1_11target_archE942ELNS1_3gpuE9ELNS1_3repE0EEENS1_30default_config_static_selectorELNS0_4arch9wavefront6targetE0EEEvS12_,@function
_ZN7rocprim17ROCPRIM_400000_NS6detail17trampoline_kernelINS0_13select_configILj256ELj13ELNS0_17block_load_methodE3ELS4_3ELS4_3ELNS0_20block_scan_algorithmE0ELj4294967295EEENS1_25partition_config_selectorILNS1_17partition_subalgoE4EjNS0_10empty_typeEbEEZZNS1_14partition_implILS8_4ELb0ES6_15HIP_vector_typeIjLj2EENS0_17counting_iteratorIjlEEPS9_SG_NS0_5tupleIJPjSI_NS0_16reverse_iteratorISI_EEEEENSH_IJSG_SG_SG_EEES9_SI_JZNS1_25segmented_radix_sort_implINS0_14default_configELb1EPKbPbPKlPlN2at6native12_GLOBAL__N_18offset_tEEE10hipError_tPvRmT1_PNSt15iterator_traitsIS12_E10value_typeET2_T3_PNS13_IS18_E10value_typeET4_jRbjT5_S1E_jjP12ihipStream_tbEUljE_ZNSN_ISO_Lb1ESQ_SR_ST_SU_SY_EESZ_S10_S11_S12_S16_S17_S18_S1B_S1C_jS1D_jS1E_S1E_jjS1G_bEUljE0_EEESZ_S10_S11_S18_S1C_S1E_T6_T7_T9_mT8_S1G_bDpT10_ENKUlT_T0_E_clISt17integral_constantIbLb0EES1T_IbLb1EEEEDaS1P_S1Q_EUlS1P_E_NS1_11comp_targetILNS1_3genE5ELNS1_11target_archE942ELNS1_3gpuE9ELNS1_3repE0EEENS1_30default_config_static_selectorELNS0_4arch9wavefront6targetE0EEEvS12_: ; @_ZN7rocprim17ROCPRIM_400000_NS6detail17trampoline_kernelINS0_13select_configILj256ELj13ELNS0_17block_load_methodE3ELS4_3ELS4_3ELNS0_20block_scan_algorithmE0ELj4294967295EEENS1_25partition_config_selectorILNS1_17partition_subalgoE4EjNS0_10empty_typeEbEEZZNS1_14partition_implILS8_4ELb0ES6_15HIP_vector_typeIjLj2EENS0_17counting_iteratorIjlEEPS9_SG_NS0_5tupleIJPjSI_NS0_16reverse_iteratorISI_EEEEENSH_IJSG_SG_SG_EEES9_SI_JZNS1_25segmented_radix_sort_implINS0_14default_configELb1EPKbPbPKlPlN2at6native12_GLOBAL__N_18offset_tEEE10hipError_tPvRmT1_PNSt15iterator_traitsIS12_E10value_typeET2_T3_PNS13_IS18_E10value_typeET4_jRbjT5_S1E_jjP12ihipStream_tbEUljE_ZNSN_ISO_Lb1ESQ_SR_ST_SU_SY_EESZ_S10_S11_S12_S16_S17_S18_S1B_S1C_jS1D_jS1E_S1E_jjS1G_bEUljE0_EEESZ_S10_S11_S18_S1C_S1E_T6_T7_T9_mT8_S1G_bDpT10_ENKUlT_T0_E_clISt17integral_constantIbLb0EES1T_IbLb1EEEEDaS1P_S1Q_EUlS1P_E_NS1_11comp_targetILNS1_3genE5ELNS1_11target_archE942ELNS1_3gpuE9ELNS1_3repE0EEENS1_30default_config_static_selectorELNS0_4arch9wavefront6targetE0EEEvS12_
; %bb.0:
	.section	.rodata,"a",@progbits
	.p2align	6, 0x0
	.amdhsa_kernel _ZN7rocprim17ROCPRIM_400000_NS6detail17trampoline_kernelINS0_13select_configILj256ELj13ELNS0_17block_load_methodE3ELS4_3ELS4_3ELNS0_20block_scan_algorithmE0ELj4294967295EEENS1_25partition_config_selectorILNS1_17partition_subalgoE4EjNS0_10empty_typeEbEEZZNS1_14partition_implILS8_4ELb0ES6_15HIP_vector_typeIjLj2EENS0_17counting_iteratorIjlEEPS9_SG_NS0_5tupleIJPjSI_NS0_16reverse_iteratorISI_EEEEENSH_IJSG_SG_SG_EEES9_SI_JZNS1_25segmented_radix_sort_implINS0_14default_configELb1EPKbPbPKlPlN2at6native12_GLOBAL__N_18offset_tEEE10hipError_tPvRmT1_PNSt15iterator_traitsIS12_E10value_typeET2_T3_PNS13_IS18_E10value_typeET4_jRbjT5_S1E_jjP12ihipStream_tbEUljE_ZNSN_ISO_Lb1ESQ_SR_ST_SU_SY_EESZ_S10_S11_S12_S16_S17_S18_S1B_S1C_jS1D_jS1E_S1E_jjS1G_bEUljE0_EEESZ_S10_S11_S18_S1C_S1E_T6_T7_T9_mT8_S1G_bDpT10_ENKUlT_T0_E_clISt17integral_constantIbLb0EES1T_IbLb1EEEEDaS1P_S1Q_EUlS1P_E_NS1_11comp_targetILNS1_3genE5ELNS1_11target_archE942ELNS1_3gpuE9ELNS1_3repE0EEENS1_30default_config_static_selectorELNS0_4arch9wavefront6targetE0EEEvS12_
		.amdhsa_group_segment_fixed_size 0
		.amdhsa_private_segment_fixed_size 0
		.amdhsa_kernarg_size 184
		.amdhsa_user_sgpr_count 6
		.amdhsa_user_sgpr_private_segment_buffer 1
		.amdhsa_user_sgpr_dispatch_ptr 0
		.amdhsa_user_sgpr_queue_ptr 0
		.amdhsa_user_sgpr_kernarg_segment_ptr 1
		.amdhsa_user_sgpr_dispatch_id 0
		.amdhsa_user_sgpr_flat_scratch_init 0
		.amdhsa_user_sgpr_private_segment_size 0
		.amdhsa_wavefront_size32 1
		.amdhsa_uses_dynamic_stack 0
		.amdhsa_system_sgpr_private_segment_wavefront_offset 0
		.amdhsa_system_sgpr_workgroup_id_x 1
		.amdhsa_system_sgpr_workgroup_id_y 0
		.amdhsa_system_sgpr_workgroup_id_z 0
		.amdhsa_system_sgpr_workgroup_info 0
		.amdhsa_system_vgpr_workitem_id 0
		.amdhsa_next_free_vgpr 1
		.amdhsa_next_free_sgpr 1
		.amdhsa_reserve_vcc 0
		.amdhsa_reserve_flat_scratch 0
		.amdhsa_float_round_mode_32 0
		.amdhsa_float_round_mode_16_64 0
		.amdhsa_float_denorm_mode_32 3
		.amdhsa_float_denorm_mode_16_64 3
		.amdhsa_dx10_clamp 1
		.amdhsa_ieee_mode 1
		.amdhsa_fp16_overflow 0
		.amdhsa_workgroup_processor_mode 1
		.amdhsa_memory_ordered 1
		.amdhsa_forward_progress 1
		.amdhsa_shared_vgpr_count 0
		.amdhsa_exception_fp_ieee_invalid_op 0
		.amdhsa_exception_fp_denorm_src 0
		.amdhsa_exception_fp_ieee_div_zero 0
		.amdhsa_exception_fp_ieee_overflow 0
		.amdhsa_exception_fp_ieee_underflow 0
		.amdhsa_exception_fp_ieee_inexact 0
		.amdhsa_exception_int_div_zero 0
	.end_amdhsa_kernel
	.section	.text._ZN7rocprim17ROCPRIM_400000_NS6detail17trampoline_kernelINS0_13select_configILj256ELj13ELNS0_17block_load_methodE3ELS4_3ELS4_3ELNS0_20block_scan_algorithmE0ELj4294967295EEENS1_25partition_config_selectorILNS1_17partition_subalgoE4EjNS0_10empty_typeEbEEZZNS1_14partition_implILS8_4ELb0ES6_15HIP_vector_typeIjLj2EENS0_17counting_iteratorIjlEEPS9_SG_NS0_5tupleIJPjSI_NS0_16reverse_iteratorISI_EEEEENSH_IJSG_SG_SG_EEES9_SI_JZNS1_25segmented_radix_sort_implINS0_14default_configELb1EPKbPbPKlPlN2at6native12_GLOBAL__N_18offset_tEEE10hipError_tPvRmT1_PNSt15iterator_traitsIS12_E10value_typeET2_T3_PNS13_IS18_E10value_typeET4_jRbjT5_S1E_jjP12ihipStream_tbEUljE_ZNSN_ISO_Lb1ESQ_SR_ST_SU_SY_EESZ_S10_S11_S12_S16_S17_S18_S1B_S1C_jS1D_jS1E_S1E_jjS1G_bEUljE0_EEESZ_S10_S11_S18_S1C_S1E_T6_T7_T9_mT8_S1G_bDpT10_ENKUlT_T0_E_clISt17integral_constantIbLb0EES1T_IbLb1EEEEDaS1P_S1Q_EUlS1P_E_NS1_11comp_targetILNS1_3genE5ELNS1_11target_archE942ELNS1_3gpuE9ELNS1_3repE0EEENS1_30default_config_static_selectorELNS0_4arch9wavefront6targetE0EEEvS12_,"axG",@progbits,_ZN7rocprim17ROCPRIM_400000_NS6detail17trampoline_kernelINS0_13select_configILj256ELj13ELNS0_17block_load_methodE3ELS4_3ELS4_3ELNS0_20block_scan_algorithmE0ELj4294967295EEENS1_25partition_config_selectorILNS1_17partition_subalgoE4EjNS0_10empty_typeEbEEZZNS1_14partition_implILS8_4ELb0ES6_15HIP_vector_typeIjLj2EENS0_17counting_iteratorIjlEEPS9_SG_NS0_5tupleIJPjSI_NS0_16reverse_iteratorISI_EEEEENSH_IJSG_SG_SG_EEES9_SI_JZNS1_25segmented_radix_sort_implINS0_14default_configELb1EPKbPbPKlPlN2at6native12_GLOBAL__N_18offset_tEEE10hipError_tPvRmT1_PNSt15iterator_traitsIS12_E10value_typeET2_T3_PNS13_IS18_E10value_typeET4_jRbjT5_S1E_jjP12ihipStream_tbEUljE_ZNSN_ISO_Lb1ESQ_SR_ST_SU_SY_EESZ_S10_S11_S12_S16_S17_S18_S1B_S1C_jS1D_jS1E_S1E_jjS1G_bEUljE0_EEESZ_S10_S11_S18_S1C_S1E_T6_T7_T9_mT8_S1G_bDpT10_ENKUlT_T0_E_clISt17integral_constantIbLb0EES1T_IbLb1EEEEDaS1P_S1Q_EUlS1P_E_NS1_11comp_targetILNS1_3genE5ELNS1_11target_archE942ELNS1_3gpuE9ELNS1_3repE0EEENS1_30default_config_static_selectorELNS0_4arch9wavefront6targetE0EEEvS12_,comdat
.Lfunc_end1485:
	.size	_ZN7rocprim17ROCPRIM_400000_NS6detail17trampoline_kernelINS0_13select_configILj256ELj13ELNS0_17block_load_methodE3ELS4_3ELS4_3ELNS0_20block_scan_algorithmE0ELj4294967295EEENS1_25partition_config_selectorILNS1_17partition_subalgoE4EjNS0_10empty_typeEbEEZZNS1_14partition_implILS8_4ELb0ES6_15HIP_vector_typeIjLj2EENS0_17counting_iteratorIjlEEPS9_SG_NS0_5tupleIJPjSI_NS0_16reverse_iteratorISI_EEEEENSH_IJSG_SG_SG_EEES9_SI_JZNS1_25segmented_radix_sort_implINS0_14default_configELb1EPKbPbPKlPlN2at6native12_GLOBAL__N_18offset_tEEE10hipError_tPvRmT1_PNSt15iterator_traitsIS12_E10value_typeET2_T3_PNS13_IS18_E10value_typeET4_jRbjT5_S1E_jjP12ihipStream_tbEUljE_ZNSN_ISO_Lb1ESQ_SR_ST_SU_SY_EESZ_S10_S11_S12_S16_S17_S18_S1B_S1C_jS1D_jS1E_S1E_jjS1G_bEUljE0_EEESZ_S10_S11_S18_S1C_S1E_T6_T7_T9_mT8_S1G_bDpT10_ENKUlT_T0_E_clISt17integral_constantIbLb0EES1T_IbLb1EEEEDaS1P_S1Q_EUlS1P_E_NS1_11comp_targetILNS1_3genE5ELNS1_11target_archE942ELNS1_3gpuE9ELNS1_3repE0EEENS1_30default_config_static_selectorELNS0_4arch9wavefront6targetE0EEEvS12_, .Lfunc_end1485-_ZN7rocprim17ROCPRIM_400000_NS6detail17trampoline_kernelINS0_13select_configILj256ELj13ELNS0_17block_load_methodE3ELS4_3ELS4_3ELNS0_20block_scan_algorithmE0ELj4294967295EEENS1_25partition_config_selectorILNS1_17partition_subalgoE4EjNS0_10empty_typeEbEEZZNS1_14partition_implILS8_4ELb0ES6_15HIP_vector_typeIjLj2EENS0_17counting_iteratorIjlEEPS9_SG_NS0_5tupleIJPjSI_NS0_16reverse_iteratorISI_EEEEENSH_IJSG_SG_SG_EEES9_SI_JZNS1_25segmented_radix_sort_implINS0_14default_configELb1EPKbPbPKlPlN2at6native12_GLOBAL__N_18offset_tEEE10hipError_tPvRmT1_PNSt15iterator_traitsIS12_E10value_typeET2_T3_PNS13_IS18_E10value_typeET4_jRbjT5_S1E_jjP12ihipStream_tbEUljE_ZNSN_ISO_Lb1ESQ_SR_ST_SU_SY_EESZ_S10_S11_S12_S16_S17_S18_S1B_S1C_jS1D_jS1E_S1E_jjS1G_bEUljE0_EEESZ_S10_S11_S18_S1C_S1E_T6_T7_T9_mT8_S1G_bDpT10_ENKUlT_T0_E_clISt17integral_constantIbLb0EES1T_IbLb1EEEEDaS1P_S1Q_EUlS1P_E_NS1_11comp_targetILNS1_3genE5ELNS1_11target_archE942ELNS1_3gpuE9ELNS1_3repE0EEENS1_30default_config_static_selectorELNS0_4arch9wavefront6targetE0EEEvS12_
                                        ; -- End function
	.set _ZN7rocprim17ROCPRIM_400000_NS6detail17trampoline_kernelINS0_13select_configILj256ELj13ELNS0_17block_load_methodE3ELS4_3ELS4_3ELNS0_20block_scan_algorithmE0ELj4294967295EEENS1_25partition_config_selectorILNS1_17partition_subalgoE4EjNS0_10empty_typeEbEEZZNS1_14partition_implILS8_4ELb0ES6_15HIP_vector_typeIjLj2EENS0_17counting_iteratorIjlEEPS9_SG_NS0_5tupleIJPjSI_NS0_16reverse_iteratorISI_EEEEENSH_IJSG_SG_SG_EEES9_SI_JZNS1_25segmented_radix_sort_implINS0_14default_configELb1EPKbPbPKlPlN2at6native12_GLOBAL__N_18offset_tEEE10hipError_tPvRmT1_PNSt15iterator_traitsIS12_E10value_typeET2_T3_PNS13_IS18_E10value_typeET4_jRbjT5_S1E_jjP12ihipStream_tbEUljE_ZNSN_ISO_Lb1ESQ_SR_ST_SU_SY_EESZ_S10_S11_S12_S16_S17_S18_S1B_S1C_jS1D_jS1E_S1E_jjS1G_bEUljE0_EEESZ_S10_S11_S18_S1C_S1E_T6_T7_T9_mT8_S1G_bDpT10_ENKUlT_T0_E_clISt17integral_constantIbLb0EES1T_IbLb1EEEEDaS1P_S1Q_EUlS1P_E_NS1_11comp_targetILNS1_3genE5ELNS1_11target_archE942ELNS1_3gpuE9ELNS1_3repE0EEENS1_30default_config_static_selectorELNS0_4arch9wavefront6targetE0EEEvS12_.num_vgpr, 0
	.set _ZN7rocprim17ROCPRIM_400000_NS6detail17trampoline_kernelINS0_13select_configILj256ELj13ELNS0_17block_load_methodE3ELS4_3ELS4_3ELNS0_20block_scan_algorithmE0ELj4294967295EEENS1_25partition_config_selectorILNS1_17partition_subalgoE4EjNS0_10empty_typeEbEEZZNS1_14partition_implILS8_4ELb0ES6_15HIP_vector_typeIjLj2EENS0_17counting_iteratorIjlEEPS9_SG_NS0_5tupleIJPjSI_NS0_16reverse_iteratorISI_EEEEENSH_IJSG_SG_SG_EEES9_SI_JZNS1_25segmented_radix_sort_implINS0_14default_configELb1EPKbPbPKlPlN2at6native12_GLOBAL__N_18offset_tEEE10hipError_tPvRmT1_PNSt15iterator_traitsIS12_E10value_typeET2_T3_PNS13_IS18_E10value_typeET4_jRbjT5_S1E_jjP12ihipStream_tbEUljE_ZNSN_ISO_Lb1ESQ_SR_ST_SU_SY_EESZ_S10_S11_S12_S16_S17_S18_S1B_S1C_jS1D_jS1E_S1E_jjS1G_bEUljE0_EEESZ_S10_S11_S18_S1C_S1E_T6_T7_T9_mT8_S1G_bDpT10_ENKUlT_T0_E_clISt17integral_constantIbLb0EES1T_IbLb1EEEEDaS1P_S1Q_EUlS1P_E_NS1_11comp_targetILNS1_3genE5ELNS1_11target_archE942ELNS1_3gpuE9ELNS1_3repE0EEENS1_30default_config_static_selectorELNS0_4arch9wavefront6targetE0EEEvS12_.num_agpr, 0
	.set _ZN7rocprim17ROCPRIM_400000_NS6detail17trampoline_kernelINS0_13select_configILj256ELj13ELNS0_17block_load_methodE3ELS4_3ELS4_3ELNS0_20block_scan_algorithmE0ELj4294967295EEENS1_25partition_config_selectorILNS1_17partition_subalgoE4EjNS0_10empty_typeEbEEZZNS1_14partition_implILS8_4ELb0ES6_15HIP_vector_typeIjLj2EENS0_17counting_iteratorIjlEEPS9_SG_NS0_5tupleIJPjSI_NS0_16reverse_iteratorISI_EEEEENSH_IJSG_SG_SG_EEES9_SI_JZNS1_25segmented_radix_sort_implINS0_14default_configELb1EPKbPbPKlPlN2at6native12_GLOBAL__N_18offset_tEEE10hipError_tPvRmT1_PNSt15iterator_traitsIS12_E10value_typeET2_T3_PNS13_IS18_E10value_typeET4_jRbjT5_S1E_jjP12ihipStream_tbEUljE_ZNSN_ISO_Lb1ESQ_SR_ST_SU_SY_EESZ_S10_S11_S12_S16_S17_S18_S1B_S1C_jS1D_jS1E_S1E_jjS1G_bEUljE0_EEESZ_S10_S11_S18_S1C_S1E_T6_T7_T9_mT8_S1G_bDpT10_ENKUlT_T0_E_clISt17integral_constantIbLb0EES1T_IbLb1EEEEDaS1P_S1Q_EUlS1P_E_NS1_11comp_targetILNS1_3genE5ELNS1_11target_archE942ELNS1_3gpuE9ELNS1_3repE0EEENS1_30default_config_static_selectorELNS0_4arch9wavefront6targetE0EEEvS12_.numbered_sgpr, 0
	.set _ZN7rocprim17ROCPRIM_400000_NS6detail17trampoline_kernelINS0_13select_configILj256ELj13ELNS0_17block_load_methodE3ELS4_3ELS4_3ELNS0_20block_scan_algorithmE0ELj4294967295EEENS1_25partition_config_selectorILNS1_17partition_subalgoE4EjNS0_10empty_typeEbEEZZNS1_14partition_implILS8_4ELb0ES6_15HIP_vector_typeIjLj2EENS0_17counting_iteratorIjlEEPS9_SG_NS0_5tupleIJPjSI_NS0_16reverse_iteratorISI_EEEEENSH_IJSG_SG_SG_EEES9_SI_JZNS1_25segmented_radix_sort_implINS0_14default_configELb1EPKbPbPKlPlN2at6native12_GLOBAL__N_18offset_tEEE10hipError_tPvRmT1_PNSt15iterator_traitsIS12_E10value_typeET2_T3_PNS13_IS18_E10value_typeET4_jRbjT5_S1E_jjP12ihipStream_tbEUljE_ZNSN_ISO_Lb1ESQ_SR_ST_SU_SY_EESZ_S10_S11_S12_S16_S17_S18_S1B_S1C_jS1D_jS1E_S1E_jjS1G_bEUljE0_EEESZ_S10_S11_S18_S1C_S1E_T6_T7_T9_mT8_S1G_bDpT10_ENKUlT_T0_E_clISt17integral_constantIbLb0EES1T_IbLb1EEEEDaS1P_S1Q_EUlS1P_E_NS1_11comp_targetILNS1_3genE5ELNS1_11target_archE942ELNS1_3gpuE9ELNS1_3repE0EEENS1_30default_config_static_selectorELNS0_4arch9wavefront6targetE0EEEvS12_.num_named_barrier, 0
	.set _ZN7rocprim17ROCPRIM_400000_NS6detail17trampoline_kernelINS0_13select_configILj256ELj13ELNS0_17block_load_methodE3ELS4_3ELS4_3ELNS0_20block_scan_algorithmE0ELj4294967295EEENS1_25partition_config_selectorILNS1_17partition_subalgoE4EjNS0_10empty_typeEbEEZZNS1_14partition_implILS8_4ELb0ES6_15HIP_vector_typeIjLj2EENS0_17counting_iteratorIjlEEPS9_SG_NS0_5tupleIJPjSI_NS0_16reverse_iteratorISI_EEEEENSH_IJSG_SG_SG_EEES9_SI_JZNS1_25segmented_radix_sort_implINS0_14default_configELb1EPKbPbPKlPlN2at6native12_GLOBAL__N_18offset_tEEE10hipError_tPvRmT1_PNSt15iterator_traitsIS12_E10value_typeET2_T3_PNS13_IS18_E10value_typeET4_jRbjT5_S1E_jjP12ihipStream_tbEUljE_ZNSN_ISO_Lb1ESQ_SR_ST_SU_SY_EESZ_S10_S11_S12_S16_S17_S18_S1B_S1C_jS1D_jS1E_S1E_jjS1G_bEUljE0_EEESZ_S10_S11_S18_S1C_S1E_T6_T7_T9_mT8_S1G_bDpT10_ENKUlT_T0_E_clISt17integral_constantIbLb0EES1T_IbLb1EEEEDaS1P_S1Q_EUlS1P_E_NS1_11comp_targetILNS1_3genE5ELNS1_11target_archE942ELNS1_3gpuE9ELNS1_3repE0EEENS1_30default_config_static_selectorELNS0_4arch9wavefront6targetE0EEEvS12_.private_seg_size, 0
	.set _ZN7rocprim17ROCPRIM_400000_NS6detail17trampoline_kernelINS0_13select_configILj256ELj13ELNS0_17block_load_methodE3ELS4_3ELS4_3ELNS0_20block_scan_algorithmE0ELj4294967295EEENS1_25partition_config_selectorILNS1_17partition_subalgoE4EjNS0_10empty_typeEbEEZZNS1_14partition_implILS8_4ELb0ES6_15HIP_vector_typeIjLj2EENS0_17counting_iteratorIjlEEPS9_SG_NS0_5tupleIJPjSI_NS0_16reverse_iteratorISI_EEEEENSH_IJSG_SG_SG_EEES9_SI_JZNS1_25segmented_radix_sort_implINS0_14default_configELb1EPKbPbPKlPlN2at6native12_GLOBAL__N_18offset_tEEE10hipError_tPvRmT1_PNSt15iterator_traitsIS12_E10value_typeET2_T3_PNS13_IS18_E10value_typeET4_jRbjT5_S1E_jjP12ihipStream_tbEUljE_ZNSN_ISO_Lb1ESQ_SR_ST_SU_SY_EESZ_S10_S11_S12_S16_S17_S18_S1B_S1C_jS1D_jS1E_S1E_jjS1G_bEUljE0_EEESZ_S10_S11_S18_S1C_S1E_T6_T7_T9_mT8_S1G_bDpT10_ENKUlT_T0_E_clISt17integral_constantIbLb0EES1T_IbLb1EEEEDaS1P_S1Q_EUlS1P_E_NS1_11comp_targetILNS1_3genE5ELNS1_11target_archE942ELNS1_3gpuE9ELNS1_3repE0EEENS1_30default_config_static_selectorELNS0_4arch9wavefront6targetE0EEEvS12_.uses_vcc, 0
	.set _ZN7rocprim17ROCPRIM_400000_NS6detail17trampoline_kernelINS0_13select_configILj256ELj13ELNS0_17block_load_methodE3ELS4_3ELS4_3ELNS0_20block_scan_algorithmE0ELj4294967295EEENS1_25partition_config_selectorILNS1_17partition_subalgoE4EjNS0_10empty_typeEbEEZZNS1_14partition_implILS8_4ELb0ES6_15HIP_vector_typeIjLj2EENS0_17counting_iteratorIjlEEPS9_SG_NS0_5tupleIJPjSI_NS0_16reverse_iteratorISI_EEEEENSH_IJSG_SG_SG_EEES9_SI_JZNS1_25segmented_radix_sort_implINS0_14default_configELb1EPKbPbPKlPlN2at6native12_GLOBAL__N_18offset_tEEE10hipError_tPvRmT1_PNSt15iterator_traitsIS12_E10value_typeET2_T3_PNS13_IS18_E10value_typeET4_jRbjT5_S1E_jjP12ihipStream_tbEUljE_ZNSN_ISO_Lb1ESQ_SR_ST_SU_SY_EESZ_S10_S11_S12_S16_S17_S18_S1B_S1C_jS1D_jS1E_S1E_jjS1G_bEUljE0_EEESZ_S10_S11_S18_S1C_S1E_T6_T7_T9_mT8_S1G_bDpT10_ENKUlT_T0_E_clISt17integral_constantIbLb0EES1T_IbLb1EEEEDaS1P_S1Q_EUlS1P_E_NS1_11comp_targetILNS1_3genE5ELNS1_11target_archE942ELNS1_3gpuE9ELNS1_3repE0EEENS1_30default_config_static_selectorELNS0_4arch9wavefront6targetE0EEEvS12_.uses_flat_scratch, 0
	.set _ZN7rocprim17ROCPRIM_400000_NS6detail17trampoline_kernelINS0_13select_configILj256ELj13ELNS0_17block_load_methodE3ELS4_3ELS4_3ELNS0_20block_scan_algorithmE0ELj4294967295EEENS1_25partition_config_selectorILNS1_17partition_subalgoE4EjNS0_10empty_typeEbEEZZNS1_14partition_implILS8_4ELb0ES6_15HIP_vector_typeIjLj2EENS0_17counting_iteratorIjlEEPS9_SG_NS0_5tupleIJPjSI_NS0_16reverse_iteratorISI_EEEEENSH_IJSG_SG_SG_EEES9_SI_JZNS1_25segmented_radix_sort_implINS0_14default_configELb1EPKbPbPKlPlN2at6native12_GLOBAL__N_18offset_tEEE10hipError_tPvRmT1_PNSt15iterator_traitsIS12_E10value_typeET2_T3_PNS13_IS18_E10value_typeET4_jRbjT5_S1E_jjP12ihipStream_tbEUljE_ZNSN_ISO_Lb1ESQ_SR_ST_SU_SY_EESZ_S10_S11_S12_S16_S17_S18_S1B_S1C_jS1D_jS1E_S1E_jjS1G_bEUljE0_EEESZ_S10_S11_S18_S1C_S1E_T6_T7_T9_mT8_S1G_bDpT10_ENKUlT_T0_E_clISt17integral_constantIbLb0EES1T_IbLb1EEEEDaS1P_S1Q_EUlS1P_E_NS1_11comp_targetILNS1_3genE5ELNS1_11target_archE942ELNS1_3gpuE9ELNS1_3repE0EEENS1_30default_config_static_selectorELNS0_4arch9wavefront6targetE0EEEvS12_.has_dyn_sized_stack, 0
	.set _ZN7rocprim17ROCPRIM_400000_NS6detail17trampoline_kernelINS0_13select_configILj256ELj13ELNS0_17block_load_methodE3ELS4_3ELS4_3ELNS0_20block_scan_algorithmE0ELj4294967295EEENS1_25partition_config_selectorILNS1_17partition_subalgoE4EjNS0_10empty_typeEbEEZZNS1_14partition_implILS8_4ELb0ES6_15HIP_vector_typeIjLj2EENS0_17counting_iteratorIjlEEPS9_SG_NS0_5tupleIJPjSI_NS0_16reverse_iteratorISI_EEEEENSH_IJSG_SG_SG_EEES9_SI_JZNS1_25segmented_radix_sort_implINS0_14default_configELb1EPKbPbPKlPlN2at6native12_GLOBAL__N_18offset_tEEE10hipError_tPvRmT1_PNSt15iterator_traitsIS12_E10value_typeET2_T3_PNS13_IS18_E10value_typeET4_jRbjT5_S1E_jjP12ihipStream_tbEUljE_ZNSN_ISO_Lb1ESQ_SR_ST_SU_SY_EESZ_S10_S11_S12_S16_S17_S18_S1B_S1C_jS1D_jS1E_S1E_jjS1G_bEUljE0_EEESZ_S10_S11_S18_S1C_S1E_T6_T7_T9_mT8_S1G_bDpT10_ENKUlT_T0_E_clISt17integral_constantIbLb0EES1T_IbLb1EEEEDaS1P_S1Q_EUlS1P_E_NS1_11comp_targetILNS1_3genE5ELNS1_11target_archE942ELNS1_3gpuE9ELNS1_3repE0EEENS1_30default_config_static_selectorELNS0_4arch9wavefront6targetE0EEEvS12_.has_recursion, 0
	.set _ZN7rocprim17ROCPRIM_400000_NS6detail17trampoline_kernelINS0_13select_configILj256ELj13ELNS0_17block_load_methodE3ELS4_3ELS4_3ELNS0_20block_scan_algorithmE0ELj4294967295EEENS1_25partition_config_selectorILNS1_17partition_subalgoE4EjNS0_10empty_typeEbEEZZNS1_14partition_implILS8_4ELb0ES6_15HIP_vector_typeIjLj2EENS0_17counting_iteratorIjlEEPS9_SG_NS0_5tupleIJPjSI_NS0_16reverse_iteratorISI_EEEEENSH_IJSG_SG_SG_EEES9_SI_JZNS1_25segmented_radix_sort_implINS0_14default_configELb1EPKbPbPKlPlN2at6native12_GLOBAL__N_18offset_tEEE10hipError_tPvRmT1_PNSt15iterator_traitsIS12_E10value_typeET2_T3_PNS13_IS18_E10value_typeET4_jRbjT5_S1E_jjP12ihipStream_tbEUljE_ZNSN_ISO_Lb1ESQ_SR_ST_SU_SY_EESZ_S10_S11_S12_S16_S17_S18_S1B_S1C_jS1D_jS1E_S1E_jjS1G_bEUljE0_EEESZ_S10_S11_S18_S1C_S1E_T6_T7_T9_mT8_S1G_bDpT10_ENKUlT_T0_E_clISt17integral_constantIbLb0EES1T_IbLb1EEEEDaS1P_S1Q_EUlS1P_E_NS1_11comp_targetILNS1_3genE5ELNS1_11target_archE942ELNS1_3gpuE9ELNS1_3repE0EEENS1_30default_config_static_selectorELNS0_4arch9wavefront6targetE0EEEvS12_.has_indirect_call, 0
	.section	.AMDGPU.csdata,"",@progbits
; Kernel info:
; codeLenInByte = 0
; TotalNumSgprs: 0
; NumVgprs: 0
; ScratchSize: 0
; MemoryBound: 0
; FloatMode: 240
; IeeeMode: 1
; LDSByteSize: 0 bytes/workgroup (compile time only)
; SGPRBlocks: 0
; VGPRBlocks: 0
; NumSGPRsForWavesPerEU: 1
; NumVGPRsForWavesPerEU: 1
; Occupancy: 16
; WaveLimiterHint : 0
; COMPUTE_PGM_RSRC2:SCRATCH_EN: 0
; COMPUTE_PGM_RSRC2:USER_SGPR: 6
; COMPUTE_PGM_RSRC2:TRAP_HANDLER: 0
; COMPUTE_PGM_RSRC2:TGID_X_EN: 1
; COMPUTE_PGM_RSRC2:TGID_Y_EN: 0
; COMPUTE_PGM_RSRC2:TGID_Z_EN: 0
; COMPUTE_PGM_RSRC2:TIDIG_COMP_CNT: 0
	.section	.text._ZN7rocprim17ROCPRIM_400000_NS6detail17trampoline_kernelINS0_13select_configILj256ELj13ELNS0_17block_load_methodE3ELS4_3ELS4_3ELNS0_20block_scan_algorithmE0ELj4294967295EEENS1_25partition_config_selectorILNS1_17partition_subalgoE4EjNS0_10empty_typeEbEEZZNS1_14partition_implILS8_4ELb0ES6_15HIP_vector_typeIjLj2EENS0_17counting_iteratorIjlEEPS9_SG_NS0_5tupleIJPjSI_NS0_16reverse_iteratorISI_EEEEENSH_IJSG_SG_SG_EEES9_SI_JZNS1_25segmented_radix_sort_implINS0_14default_configELb1EPKbPbPKlPlN2at6native12_GLOBAL__N_18offset_tEEE10hipError_tPvRmT1_PNSt15iterator_traitsIS12_E10value_typeET2_T3_PNS13_IS18_E10value_typeET4_jRbjT5_S1E_jjP12ihipStream_tbEUljE_ZNSN_ISO_Lb1ESQ_SR_ST_SU_SY_EESZ_S10_S11_S12_S16_S17_S18_S1B_S1C_jS1D_jS1E_S1E_jjS1G_bEUljE0_EEESZ_S10_S11_S18_S1C_S1E_T6_T7_T9_mT8_S1G_bDpT10_ENKUlT_T0_E_clISt17integral_constantIbLb0EES1T_IbLb1EEEEDaS1P_S1Q_EUlS1P_E_NS1_11comp_targetILNS1_3genE4ELNS1_11target_archE910ELNS1_3gpuE8ELNS1_3repE0EEENS1_30default_config_static_selectorELNS0_4arch9wavefront6targetE0EEEvS12_,"axG",@progbits,_ZN7rocprim17ROCPRIM_400000_NS6detail17trampoline_kernelINS0_13select_configILj256ELj13ELNS0_17block_load_methodE3ELS4_3ELS4_3ELNS0_20block_scan_algorithmE0ELj4294967295EEENS1_25partition_config_selectorILNS1_17partition_subalgoE4EjNS0_10empty_typeEbEEZZNS1_14partition_implILS8_4ELb0ES6_15HIP_vector_typeIjLj2EENS0_17counting_iteratorIjlEEPS9_SG_NS0_5tupleIJPjSI_NS0_16reverse_iteratorISI_EEEEENSH_IJSG_SG_SG_EEES9_SI_JZNS1_25segmented_radix_sort_implINS0_14default_configELb1EPKbPbPKlPlN2at6native12_GLOBAL__N_18offset_tEEE10hipError_tPvRmT1_PNSt15iterator_traitsIS12_E10value_typeET2_T3_PNS13_IS18_E10value_typeET4_jRbjT5_S1E_jjP12ihipStream_tbEUljE_ZNSN_ISO_Lb1ESQ_SR_ST_SU_SY_EESZ_S10_S11_S12_S16_S17_S18_S1B_S1C_jS1D_jS1E_S1E_jjS1G_bEUljE0_EEESZ_S10_S11_S18_S1C_S1E_T6_T7_T9_mT8_S1G_bDpT10_ENKUlT_T0_E_clISt17integral_constantIbLb0EES1T_IbLb1EEEEDaS1P_S1Q_EUlS1P_E_NS1_11comp_targetILNS1_3genE4ELNS1_11target_archE910ELNS1_3gpuE8ELNS1_3repE0EEENS1_30default_config_static_selectorELNS0_4arch9wavefront6targetE0EEEvS12_,comdat
	.globl	_ZN7rocprim17ROCPRIM_400000_NS6detail17trampoline_kernelINS0_13select_configILj256ELj13ELNS0_17block_load_methodE3ELS4_3ELS4_3ELNS0_20block_scan_algorithmE0ELj4294967295EEENS1_25partition_config_selectorILNS1_17partition_subalgoE4EjNS0_10empty_typeEbEEZZNS1_14partition_implILS8_4ELb0ES6_15HIP_vector_typeIjLj2EENS0_17counting_iteratorIjlEEPS9_SG_NS0_5tupleIJPjSI_NS0_16reverse_iteratorISI_EEEEENSH_IJSG_SG_SG_EEES9_SI_JZNS1_25segmented_radix_sort_implINS0_14default_configELb1EPKbPbPKlPlN2at6native12_GLOBAL__N_18offset_tEEE10hipError_tPvRmT1_PNSt15iterator_traitsIS12_E10value_typeET2_T3_PNS13_IS18_E10value_typeET4_jRbjT5_S1E_jjP12ihipStream_tbEUljE_ZNSN_ISO_Lb1ESQ_SR_ST_SU_SY_EESZ_S10_S11_S12_S16_S17_S18_S1B_S1C_jS1D_jS1E_S1E_jjS1G_bEUljE0_EEESZ_S10_S11_S18_S1C_S1E_T6_T7_T9_mT8_S1G_bDpT10_ENKUlT_T0_E_clISt17integral_constantIbLb0EES1T_IbLb1EEEEDaS1P_S1Q_EUlS1P_E_NS1_11comp_targetILNS1_3genE4ELNS1_11target_archE910ELNS1_3gpuE8ELNS1_3repE0EEENS1_30default_config_static_selectorELNS0_4arch9wavefront6targetE0EEEvS12_ ; -- Begin function _ZN7rocprim17ROCPRIM_400000_NS6detail17trampoline_kernelINS0_13select_configILj256ELj13ELNS0_17block_load_methodE3ELS4_3ELS4_3ELNS0_20block_scan_algorithmE0ELj4294967295EEENS1_25partition_config_selectorILNS1_17partition_subalgoE4EjNS0_10empty_typeEbEEZZNS1_14partition_implILS8_4ELb0ES6_15HIP_vector_typeIjLj2EENS0_17counting_iteratorIjlEEPS9_SG_NS0_5tupleIJPjSI_NS0_16reverse_iteratorISI_EEEEENSH_IJSG_SG_SG_EEES9_SI_JZNS1_25segmented_radix_sort_implINS0_14default_configELb1EPKbPbPKlPlN2at6native12_GLOBAL__N_18offset_tEEE10hipError_tPvRmT1_PNSt15iterator_traitsIS12_E10value_typeET2_T3_PNS13_IS18_E10value_typeET4_jRbjT5_S1E_jjP12ihipStream_tbEUljE_ZNSN_ISO_Lb1ESQ_SR_ST_SU_SY_EESZ_S10_S11_S12_S16_S17_S18_S1B_S1C_jS1D_jS1E_S1E_jjS1G_bEUljE0_EEESZ_S10_S11_S18_S1C_S1E_T6_T7_T9_mT8_S1G_bDpT10_ENKUlT_T0_E_clISt17integral_constantIbLb0EES1T_IbLb1EEEEDaS1P_S1Q_EUlS1P_E_NS1_11comp_targetILNS1_3genE4ELNS1_11target_archE910ELNS1_3gpuE8ELNS1_3repE0EEENS1_30default_config_static_selectorELNS0_4arch9wavefront6targetE0EEEvS12_
	.p2align	8
	.type	_ZN7rocprim17ROCPRIM_400000_NS6detail17trampoline_kernelINS0_13select_configILj256ELj13ELNS0_17block_load_methodE3ELS4_3ELS4_3ELNS0_20block_scan_algorithmE0ELj4294967295EEENS1_25partition_config_selectorILNS1_17partition_subalgoE4EjNS0_10empty_typeEbEEZZNS1_14partition_implILS8_4ELb0ES6_15HIP_vector_typeIjLj2EENS0_17counting_iteratorIjlEEPS9_SG_NS0_5tupleIJPjSI_NS0_16reverse_iteratorISI_EEEEENSH_IJSG_SG_SG_EEES9_SI_JZNS1_25segmented_radix_sort_implINS0_14default_configELb1EPKbPbPKlPlN2at6native12_GLOBAL__N_18offset_tEEE10hipError_tPvRmT1_PNSt15iterator_traitsIS12_E10value_typeET2_T3_PNS13_IS18_E10value_typeET4_jRbjT5_S1E_jjP12ihipStream_tbEUljE_ZNSN_ISO_Lb1ESQ_SR_ST_SU_SY_EESZ_S10_S11_S12_S16_S17_S18_S1B_S1C_jS1D_jS1E_S1E_jjS1G_bEUljE0_EEESZ_S10_S11_S18_S1C_S1E_T6_T7_T9_mT8_S1G_bDpT10_ENKUlT_T0_E_clISt17integral_constantIbLb0EES1T_IbLb1EEEEDaS1P_S1Q_EUlS1P_E_NS1_11comp_targetILNS1_3genE4ELNS1_11target_archE910ELNS1_3gpuE8ELNS1_3repE0EEENS1_30default_config_static_selectorELNS0_4arch9wavefront6targetE0EEEvS12_,@function
_ZN7rocprim17ROCPRIM_400000_NS6detail17trampoline_kernelINS0_13select_configILj256ELj13ELNS0_17block_load_methodE3ELS4_3ELS4_3ELNS0_20block_scan_algorithmE0ELj4294967295EEENS1_25partition_config_selectorILNS1_17partition_subalgoE4EjNS0_10empty_typeEbEEZZNS1_14partition_implILS8_4ELb0ES6_15HIP_vector_typeIjLj2EENS0_17counting_iteratorIjlEEPS9_SG_NS0_5tupleIJPjSI_NS0_16reverse_iteratorISI_EEEEENSH_IJSG_SG_SG_EEES9_SI_JZNS1_25segmented_radix_sort_implINS0_14default_configELb1EPKbPbPKlPlN2at6native12_GLOBAL__N_18offset_tEEE10hipError_tPvRmT1_PNSt15iterator_traitsIS12_E10value_typeET2_T3_PNS13_IS18_E10value_typeET4_jRbjT5_S1E_jjP12ihipStream_tbEUljE_ZNSN_ISO_Lb1ESQ_SR_ST_SU_SY_EESZ_S10_S11_S12_S16_S17_S18_S1B_S1C_jS1D_jS1E_S1E_jjS1G_bEUljE0_EEESZ_S10_S11_S18_S1C_S1E_T6_T7_T9_mT8_S1G_bDpT10_ENKUlT_T0_E_clISt17integral_constantIbLb0EES1T_IbLb1EEEEDaS1P_S1Q_EUlS1P_E_NS1_11comp_targetILNS1_3genE4ELNS1_11target_archE910ELNS1_3gpuE8ELNS1_3repE0EEENS1_30default_config_static_selectorELNS0_4arch9wavefront6targetE0EEEvS12_: ; @_ZN7rocprim17ROCPRIM_400000_NS6detail17trampoline_kernelINS0_13select_configILj256ELj13ELNS0_17block_load_methodE3ELS4_3ELS4_3ELNS0_20block_scan_algorithmE0ELj4294967295EEENS1_25partition_config_selectorILNS1_17partition_subalgoE4EjNS0_10empty_typeEbEEZZNS1_14partition_implILS8_4ELb0ES6_15HIP_vector_typeIjLj2EENS0_17counting_iteratorIjlEEPS9_SG_NS0_5tupleIJPjSI_NS0_16reverse_iteratorISI_EEEEENSH_IJSG_SG_SG_EEES9_SI_JZNS1_25segmented_radix_sort_implINS0_14default_configELb1EPKbPbPKlPlN2at6native12_GLOBAL__N_18offset_tEEE10hipError_tPvRmT1_PNSt15iterator_traitsIS12_E10value_typeET2_T3_PNS13_IS18_E10value_typeET4_jRbjT5_S1E_jjP12ihipStream_tbEUljE_ZNSN_ISO_Lb1ESQ_SR_ST_SU_SY_EESZ_S10_S11_S12_S16_S17_S18_S1B_S1C_jS1D_jS1E_S1E_jjS1G_bEUljE0_EEESZ_S10_S11_S18_S1C_S1E_T6_T7_T9_mT8_S1G_bDpT10_ENKUlT_T0_E_clISt17integral_constantIbLb0EES1T_IbLb1EEEEDaS1P_S1Q_EUlS1P_E_NS1_11comp_targetILNS1_3genE4ELNS1_11target_archE910ELNS1_3gpuE8ELNS1_3repE0EEENS1_30default_config_static_selectorELNS0_4arch9wavefront6targetE0EEEvS12_
; %bb.0:
	.section	.rodata,"a",@progbits
	.p2align	6, 0x0
	.amdhsa_kernel _ZN7rocprim17ROCPRIM_400000_NS6detail17trampoline_kernelINS0_13select_configILj256ELj13ELNS0_17block_load_methodE3ELS4_3ELS4_3ELNS0_20block_scan_algorithmE0ELj4294967295EEENS1_25partition_config_selectorILNS1_17partition_subalgoE4EjNS0_10empty_typeEbEEZZNS1_14partition_implILS8_4ELb0ES6_15HIP_vector_typeIjLj2EENS0_17counting_iteratorIjlEEPS9_SG_NS0_5tupleIJPjSI_NS0_16reverse_iteratorISI_EEEEENSH_IJSG_SG_SG_EEES9_SI_JZNS1_25segmented_radix_sort_implINS0_14default_configELb1EPKbPbPKlPlN2at6native12_GLOBAL__N_18offset_tEEE10hipError_tPvRmT1_PNSt15iterator_traitsIS12_E10value_typeET2_T3_PNS13_IS18_E10value_typeET4_jRbjT5_S1E_jjP12ihipStream_tbEUljE_ZNSN_ISO_Lb1ESQ_SR_ST_SU_SY_EESZ_S10_S11_S12_S16_S17_S18_S1B_S1C_jS1D_jS1E_S1E_jjS1G_bEUljE0_EEESZ_S10_S11_S18_S1C_S1E_T6_T7_T9_mT8_S1G_bDpT10_ENKUlT_T0_E_clISt17integral_constantIbLb0EES1T_IbLb1EEEEDaS1P_S1Q_EUlS1P_E_NS1_11comp_targetILNS1_3genE4ELNS1_11target_archE910ELNS1_3gpuE8ELNS1_3repE0EEENS1_30default_config_static_selectorELNS0_4arch9wavefront6targetE0EEEvS12_
		.amdhsa_group_segment_fixed_size 0
		.amdhsa_private_segment_fixed_size 0
		.amdhsa_kernarg_size 184
		.amdhsa_user_sgpr_count 6
		.amdhsa_user_sgpr_private_segment_buffer 1
		.amdhsa_user_sgpr_dispatch_ptr 0
		.amdhsa_user_sgpr_queue_ptr 0
		.amdhsa_user_sgpr_kernarg_segment_ptr 1
		.amdhsa_user_sgpr_dispatch_id 0
		.amdhsa_user_sgpr_flat_scratch_init 0
		.amdhsa_user_sgpr_private_segment_size 0
		.amdhsa_wavefront_size32 1
		.amdhsa_uses_dynamic_stack 0
		.amdhsa_system_sgpr_private_segment_wavefront_offset 0
		.amdhsa_system_sgpr_workgroup_id_x 1
		.amdhsa_system_sgpr_workgroup_id_y 0
		.amdhsa_system_sgpr_workgroup_id_z 0
		.amdhsa_system_sgpr_workgroup_info 0
		.amdhsa_system_vgpr_workitem_id 0
		.amdhsa_next_free_vgpr 1
		.amdhsa_next_free_sgpr 1
		.amdhsa_reserve_vcc 0
		.amdhsa_reserve_flat_scratch 0
		.amdhsa_float_round_mode_32 0
		.amdhsa_float_round_mode_16_64 0
		.amdhsa_float_denorm_mode_32 3
		.amdhsa_float_denorm_mode_16_64 3
		.amdhsa_dx10_clamp 1
		.amdhsa_ieee_mode 1
		.amdhsa_fp16_overflow 0
		.amdhsa_workgroup_processor_mode 1
		.amdhsa_memory_ordered 1
		.amdhsa_forward_progress 1
		.amdhsa_shared_vgpr_count 0
		.amdhsa_exception_fp_ieee_invalid_op 0
		.amdhsa_exception_fp_denorm_src 0
		.amdhsa_exception_fp_ieee_div_zero 0
		.amdhsa_exception_fp_ieee_overflow 0
		.amdhsa_exception_fp_ieee_underflow 0
		.amdhsa_exception_fp_ieee_inexact 0
		.amdhsa_exception_int_div_zero 0
	.end_amdhsa_kernel
	.section	.text._ZN7rocprim17ROCPRIM_400000_NS6detail17trampoline_kernelINS0_13select_configILj256ELj13ELNS0_17block_load_methodE3ELS4_3ELS4_3ELNS0_20block_scan_algorithmE0ELj4294967295EEENS1_25partition_config_selectorILNS1_17partition_subalgoE4EjNS0_10empty_typeEbEEZZNS1_14partition_implILS8_4ELb0ES6_15HIP_vector_typeIjLj2EENS0_17counting_iteratorIjlEEPS9_SG_NS0_5tupleIJPjSI_NS0_16reverse_iteratorISI_EEEEENSH_IJSG_SG_SG_EEES9_SI_JZNS1_25segmented_radix_sort_implINS0_14default_configELb1EPKbPbPKlPlN2at6native12_GLOBAL__N_18offset_tEEE10hipError_tPvRmT1_PNSt15iterator_traitsIS12_E10value_typeET2_T3_PNS13_IS18_E10value_typeET4_jRbjT5_S1E_jjP12ihipStream_tbEUljE_ZNSN_ISO_Lb1ESQ_SR_ST_SU_SY_EESZ_S10_S11_S12_S16_S17_S18_S1B_S1C_jS1D_jS1E_S1E_jjS1G_bEUljE0_EEESZ_S10_S11_S18_S1C_S1E_T6_T7_T9_mT8_S1G_bDpT10_ENKUlT_T0_E_clISt17integral_constantIbLb0EES1T_IbLb1EEEEDaS1P_S1Q_EUlS1P_E_NS1_11comp_targetILNS1_3genE4ELNS1_11target_archE910ELNS1_3gpuE8ELNS1_3repE0EEENS1_30default_config_static_selectorELNS0_4arch9wavefront6targetE0EEEvS12_,"axG",@progbits,_ZN7rocprim17ROCPRIM_400000_NS6detail17trampoline_kernelINS0_13select_configILj256ELj13ELNS0_17block_load_methodE3ELS4_3ELS4_3ELNS0_20block_scan_algorithmE0ELj4294967295EEENS1_25partition_config_selectorILNS1_17partition_subalgoE4EjNS0_10empty_typeEbEEZZNS1_14partition_implILS8_4ELb0ES6_15HIP_vector_typeIjLj2EENS0_17counting_iteratorIjlEEPS9_SG_NS0_5tupleIJPjSI_NS0_16reverse_iteratorISI_EEEEENSH_IJSG_SG_SG_EEES9_SI_JZNS1_25segmented_radix_sort_implINS0_14default_configELb1EPKbPbPKlPlN2at6native12_GLOBAL__N_18offset_tEEE10hipError_tPvRmT1_PNSt15iterator_traitsIS12_E10value_typeET2_T3_PNS13_IS18_E10value_typeET4_jRbjT5_S1E_jjP12ihipStream_tbEUljE_ZNSN_ISO_Lb1ESQ_SR_ST_SU_SY_EESZ_S10_S11_S12_S16_S17_S18_S1B_S1C_jS1D_jS1E_S1E_jjS1G_bEUljE0_EEESZ_S10_S11_S18_S1C_S1E_T6_T7_T9_mT8_S1G_bDpT10_ENKUlT_T0_E_clISt17integral_constantIbLb0EES1T_IbLb1EEEEDaS1P_S1Q_EUlS1P_E_NS1_11comp_targetILNS1_3genE4ELNS1_11target_archE910ELNS1_3gpuE8ELNS1_3repE0EEENS1_30default_config_static_selectorELNS0_4arch9wavefront6targetE0EEEvS12_,comdat
.Lfunc_end1486:
	.size	_ZN7rocprim17ROCPRIM_400000_NS6detail17trampoline_kernelINS0_13select_configILj256ELj13ELNS0_17block_load_methodE3ELS4_3ELS4_3ELNS0_20block_scan_algorithmE0ELj4294967295EEENS1_25partition_config_selectorILNS1_17partition_subalgoE4EjNS0_10empty_typeEbEEZZNS1_14partition_implILS8_4ELb0ES6_15HIP_vector_typeIjLj2EENS0_17counting_iteratorIjlEEPS9_SG_NS0_5tupleIJPjSI_NS0_16reverse_iteratorISI_EEEEENSH_IJSG_SG_SG_EEES9_SI_JZNS1_25segmented_radix_sort_implINS0_14default_configELb1EPKbPbPKlPlN2at6native12_GLOBAL__N_18offset_tEEE10hipError_tPvRmT1_PNSt15iterator_traitsIS12_E10value_typeET2_T3_PNS13_IS18_E10value_typeET4_jRbjT5_S1E_jjP12ihipStream_tbEUljE_ZNSN_ISO_Lb1ESQ_SR_ST_SU_SY_EESZ_S10_S11_S12_S16_S17_S18_S1B_S1C_jS1D_jS1E_S1E_jjS1G_bEUljE0_EEESZ_S10_S11_S18_S1C_S1E_T6_T7_T9_mT8_S1G_bDpT10_ENKUlT_T0_E_clISt17integral_constantIbLb0EES1T_IbLb1EEEEDaS1P_S1Q_EUlS1P_E_NS1_11comp_targetILNS1_3genE4ELNS1_11target_archE910ELNS1_3gpuE8ELNS1_3repE0EEENS1_30default_config_static_selectorELNS0_4arch9wavefront6targetE0EEEvS12_, .Lfunc_end1486-_ZN7rocprim17ROCPRIM_400000_NS6detail17trampoline_kernelINS0_13select_configILj256ELj13ELNS0_17block_load_methodE3ELS4_3ELS4_3ELNS0_20block_scan_algorithmE0ELj4294967295EEENS1_25partition_config_selectorILNS1_17partition_subalgoE4EjNS0_10empty_typeEbEEZZNS1_14partition_implILS8_4ELb0ES6_15HIP_vector_typeIjLj2EENS0_17counting_iteratorIjlEEPS9_SG_NS0_5tupleIJPjSI_NS0_16reverse_iteratorISI_EEEEENSH_IJSG_SG_SG_EEES9_SI_JZNS1_25segmented_radix_sort_implINS0_14default_configELb1EPKbPbPKlPlN2at6native12_GLOBAL__N_18offset_tEEE10hipError_tPvRmT1_PNSt15iterator_traitsIS12_E10value_typeET2_T3_PNS13_IS18_E10value_typeET4_jRbjT5_S1E_jjP12ihipStream_tbEUljE_ZNSN_ISO_Lb1ESQ_SR_ST_SU_SY_EESZ_S10_S11_S12_S16_S17_S18_S1B_S1C_jS1D_jS1E_S1E_jjS1G_bEUljE0_EEESZ_S10_S11_S18_S1C_S1E_T6_T7_T9_mT8_S1G_bDpT10_ENKUlT_T0_E_clISt17integral_constantIbLb0EES1T_IbLb1EEEEDaS1P_S1Q_EUlS1P_E_NS1_11comp_targetILNS1_3genE4ELNS1_11target_archE910ELNS1_3gpuE8ELNS1_3repE0EEENS1_30default_config_static_selectorELNS0_4arch9wavefront6targetE0EEEvS12_
                                        ; -- End function
	.set _ZN7rocprim17ROCPRIM_400000_NS6detail17trampoline_kernelINS0_13select_configILj256ELj13ELNS0_17block_load_methodE3ELS4_3ELS4_3ELNS0_20block_scan_algorithmE0ELj4294967295EEENS1_25partition_config_selectorILNS1_17partition_subalgoE4EjNS0_10empty_typeEbEEZZNS1_14partition_implILS8_4ELb0ES6_15HIP_vector_typeIjLj2EENS0_17counting_iteratorIjlEEPS9_SG_NS0_5tupleIJPjSI_NS0_16reverse_iteratorISI_EEEEENSH_IJSG_SG_SG_EEES9_SI_JZNS1_25segmented_radix_sort_implINS0_14default_configELb1EPKbPbPKlPlN2at6native12_GLOBAL__N_18offset_tEEE10hipError_tPvRmT1_PNSt15iterator_traitsIS12_E10value_typeET2_T3_PNS13_IS18_E10value_typeET4_jRbjT5_S1E_jjP12ihipStream_tbEUljE_ZNSN_ISO_Lb1ESQ_SR_ST_SU_SY_EESZ_S10_S11_S12_S16_S17_S18_S1B_S1C_jS1D_jS1E_S1E_jjS1G_bEUljE0_EEESZ_S10_S11_S18_S1C_S1E_T6_T7_T9_mT8_S1G_bDpT10_ENKUlT_T0_E_clISt17integral_constantIbLb0EES1T_IbLb1EEEEDaS1P_S1Q_EUlS1P_E_NS1_11comp_targetILNS1_3genE4ELNS1_11target_archE910ELNS1_3gpuE8ELNS1_3repE0EEENS1_30default_config_static_selectorELNS0_4arch9wavefront6targetE0EEEvS12_.num_vgpr, 0
	.set _ZN7rocprim17ROCPRIM_400000_NS6detail17trampoline_kernelINS0_13select_configILj256ELj13ELNS0_17block_load_methodE3ELS4_3ELS4_3ELNS0_20block_scan_algorithmE0ELj4294967295EEENS1_25partition_config_selectorILNS1_17partition_subalgoE4EjNS0_10empty_typeEbEEZZNS1_14partition_implILS8_4ELb0ES6_15HIP_vector_typeIjLj2EENS0_17counting_iteratorIjlEEPS9_SG_NS0_5tupleIJPjSI_NS0_16reverse_iteratorISI_EEEEENSH_IJSG_SG_SG_EEES9_SI_JZNS1_25segmented_radix_sort_implINS0_14default_configELb1EPKbPbPKlPlN2at6native12_GLOBAL__N_18offset_tEEE10hipError_tPvRmT1_PNSt15iterator_traitsIS12_E10value_typeET2_T3_PNS13_IS18_E10value_typeET4_jRbjT5_S1E_jjP12ihipStream_tbEUljE_ZNSN_ISO_Lb1ESQ_SR_ST_SU_SY_EESZ_S10_S11_S12_S16_S17_S18_S1B_S1C_jS1D_jS1E_S1E_jjS1G_bEUljE0_EEESZ_S10_S11_S18_S1C_S1E_T6_T7_T9_mT8_S1G_bDpT10_ENKUlT_T0_E_clISt17integral_constantIbLb0EES1T_IbLb1EEEEDaS1P_S1Q_EUlS1P_E_NS1_11comp_targetILNS1_3genE4ELNS1_11target_archE910ELNS1_3gpuE8ELNS1_3repE0EEENS1_30default_config_static_selectorELNS0_4arch9wavefront6targetE0EEEvS12_.num_agpr, 0
	.set _ZN7rocprim17ROCPRIM_400000_NS6detail17trampoline_kernelINS0_13select_configILj256ELj13ELNS0_17block_load_methodE3ELS4_3ELS4_3ELNS0_20block_scan_algorithmE0ELj4294967295EEENS1_25partition_config_selectorILNS1_17partition_subalgoE4EjNS0_10empty_typeEbEEZZNS1_14partition_implILS8_4ELb0ES6_15HIP_vector_typeIjLj2EENS0_17counting_iteratorIjlEEPS9_SG_NS0_5tupleIJPjSI_NS0_16reverse_iteratorISI_EEEEENSH_IJSG_SG_SG_EEES9_SI_JZNS1_25segmented_radix_sort_implINS0_14default_configELb1EPKbPbPKlPlN2at6native12_GLOBAL__N_18offset_tEEE10hipError_tPvRmT1_PNSt15iterator_traitsIS12_E10value_typeET2_T3_PNS13_IS18_E10value_typeET4_jRbjT5_S1E_jjP12ihipStream_tbEUljE_ZNSN_ISO_Lb1ESQ_SR_ST_SU_SY_EESZ_S10_S11_S12_S16_S17_S18_S1B_S1C_jS1D_jS1E_S1E_jjS1G_bEUljE0_EEESZ_S10_S11_S18_S1C_S1E_T6_T7_T9_mT8_S1G_bDpT10_ENKUlT_T0_E_clISt17integral_constantIbLb0EES1T_IbLb1EEEEDaS1P_S1Q_EUlS1P_E_NS1_11comp_targetILNS1_3genE4ELNS1_11target_archE910ELNS1_3gpuE8ELNS1_3repE0EEENS1_30default_config_static_selectorELNS0_4arch9wavefront6targetE0EEEvS12_.numbered_sgpr, 0
	.set _ZN7rocprim17ROCPRIM_400000_NS6detail17trampoline_kernelINS0_13select_configILj256ELj13ELNS0_17block_load_methodE3ELS4_3ELS4_3ELNS0_20block_scan_algorithmE0ELj4294967295EEENS1_25partition_config_selectorILNS1_17partition_subalgoE4EjNS0_10empty_typeEbEEZZNS1_14partition_implILS8_4ELb0ES6_15HIP_vector_typeIjLj2EENS0_17counting_iteratorIjlEEPS9_SG_NS0_5tupleIJPjSI_NS0_16reverse_iteratorISI_EEEEENSH_IJSG_SG_SG_EEES9_SI_JZNS1_25segmented_radix_sort_implINS0_14default_configELb1EPKbPbPKlPlN2at6native12_GLOBAL__N_18offset_tEEE10hipError_tPvRmT1_PNSt15iterator_traitsIS12_E10value_typeET2_T3_PNS13_IS18_E10value_typeET4_jRbjT5_S1E_jjP12ihipStream_tbEUljE_ZNSN_ISO_Lb1ESQ_SR_ST_SU_SY_EESZ_S10_S11_S12_S16_S17_S18_S1B_S1C_jS1D_jS1E_S1E_jjS1G_bEUljE0_EEESZ_S10_S11_S18_S1C_S1E_T6_T7_T9_mT8_S1G_bDpT10_ENKUlT_T0_E_clISt17integral_constantIbLb0EES1T_IbLb1EEEEDaS1P_S1Q_EUlS1P_E_NS1_11comp_targetILNS1_3genE4ELNS1_11target_archE910ELNS1_3gpuE8ELNS1_3repE0EEENS1_30default_config_static_selectorELNS0_4arch9wavefront6targetE0EEEvS12_.num_named_barrier, 0
	.set _ZN7rocprim17ROCPRIM_400000_NS6detail17trampoline_kernelINS0_13select_configILj256ELj13ELNS0_17block_load_methodE3ELS4_3ELS4_3ELNS0_20block_scan_algorithmE0ELj4294967295EEENS1_25partition_config_selectorILNS1_17partition_subalgoE4EjNS0_10empty_typeEbEEZZNS1_14partition_implILS8_4ELb0ES6_15HIP_vector_typeIjLj2EENS0_17counting_iteratorIjlEEPS9_SG_NS0_5tupleIJPjSI_NS0_16reverse_iteratorISI_EEEEENSH_IJSG_SG_SG_EEES9_SI_JZNS1_25segmented_radix_sort_implINS0_14default_configELb1EPKbPbPKlPlN2at6native12_GLOBAL__N_18offset_tEEE10hipError_tPvRmT1_PNSt15iterator_traitsIS12_E10value_typeET2_T3_PNS13_IS18_E10value_typeET4_jRbjT5_S1E_jjP12ihipStream_tbEUljE_ZNSN_ISO_Lb1ESQ_SR_ST_SU_SY_EESZ_S10_S11_S12_S16_S17_S18_S1B_S1C_jS1D_jS1E_S1E_jjS1G_bEUljE0_EEESZ_S10_S11_S18_S1C_S1E_T6_T7_T9_mT8_S1G_bDpT10_ENKUlT_T0_E_clISt17integral_constantIbLb0EES1T_IbLb1EEEEDaS1P_S1Q_EUlS1P_E_NS1_11comp_targetILNS1_3genE4ELNS1_11target_archE910ELNS1_3gpuE8ELNS1_3repE0EEENS1_30default_config_static_selectorELNS0_4arch9wavefront6targetE0EEEvS12_.private_seg_size, 0
	.set _ZN7rocprim17ROCPRIM_400000_NS6detail17trampoline_kernelINS0_13select_configILj256ELj13ELNS0_17block_load_methodE3ELS4_3ELS4_3ELNS0_20block_scan_algorithmE0ELj4294967295EEENS1_25partition_config_selectorILNS1_17partition_subalgoE4EjNS0_10empty_typeEbEEZZNS1_14partition_implILS8_4ELb0ES6_15HIP_vector_typeIjLj2EENS0_17counting_iteratorIjlEEPS9_SG_NS0_5tupleIJPjSI_NS0_16reverse_iteratorISI_EEEEENSH_IJSG_SG_SG_EEES9_SI_JZNS1_25segmented_radix_sort_implINS0_14default_configELb1EPKbPbPKlPlN2at6native12_GLOBAL__N_18offset_tEEE10hipError_tPvRmT1_PNSt15iterator_traitsIS12_E10value_typeET2_T3_PNS13_IS18_E10value_typeET4_jRbjT5_S1E_jjP12ihipStream_tbEUljE_ZNSN_ISO_Lb1ESQ_SR_ST_SU_SY_EESZ_S10_S11_S12_S16_S17_S18_S1B_S1C_jS1D_jS1E_S1E_jjS1G_bEUljE0_EEESZ_S10_S11_S18_S1C_S1E_T6_T7_T9_mT8_S1G_bDpT10_ENKUlT_T0_E_clISt17integral_constantIbLb0EES1T_IbLb1EEEEDaS1P_S1Q_EUlS1P_E_NS1_11comp_targetILNS1_3genE4ELNS1_11target_archE910ELNS1_3gpuE8ELNS1_3repE0EEENS1_30default_config_static_selectorELNS0_4arch9wavefront6targetE0EEEvS12_.uses_vcc, 0
	.set _ZN7rocprim17ROCPRIM_400000_NS6detail17trampoline_kernelINS0_13select_configILj256ELj13ELNS0_17block_load_methodE3ELS4_3ELS4_3ELNS0_20block_scan_algorithmE0ELj4294967295EEENS1_25partition_config_selectorILNS1_17partition_subalgoE4EjNS0_10empty_typeEbEEZZNS1_14partition_implILS8_4ELb0ES6_15HIP_vector_typeIjLj2EENS0_17counting_iteratorIjlEEPS9_SG_NS0_5tupleIJPjSI_NS0_16reverse_iteratorISI_EEEEENSH_IJSG_SG_SG_EEES9_SI_JZNS1_25segmented_radix_sort_implINS0_14default_configELb1EPKbPbPKlPlN2at6native12_GLOBAL__N_18offset_tEEE10hipError_tPvRmT1_PNSt15iterator_traitsIS12_E10value_typeET2_T3_PNS13_IS18_E10value_typeET4_jRbjT5_S1E_jjP12ihipStream_tbEUljE_ZNSN_ISO_Lb1ESQ_SR_ST_SU_SY_EESZ_S10_S11_S12_S16_S17_S18_S1B_S1C_jS1D_jS1E_S1E_jjS1G_bEUljE0_EEESZ_S10_S11_S18_S1C_S1E_T6_T7_T9_mT8_S1G_bDpT10_ENKUlT_T0_E_clISt17integral_constantIbLb0EES1T_IbLb1EEEEDaS1P_S1Q_EUlS1P_E_NS1_11comp_targetILNS1_3genE4ELNS1_11target_archE910ELNS1_3gpuE8ELNS1_3repE0EEENS1_30default_config_static_selectorELNS0_4arch9wavefront6targetE0EEEvS12_.uses_flat_scratch, 0
	.set _ZN7rocprim17ROCPRIM_400000_NS6detail17trampoline_kernelINS0_13select_configILj256ELj13ELNS0_17block_load_methodE3ELS4_3ELS4_3ELNS0_20block_scan_algorithmE0ELj4294967295EEENS1_25partition_config_selectorILNS1_17partition_subalgoE4EjNS0_10empty_typeEbEEZZNS1_14partition_implILS8_4ELb0ES6_15HIP_vector_typeIjLj2EENS0_17counting_iteratorIjlEEPS9_SG_NS0_5tupleIJPjSI_NS0_16reverse_iteratorISI_EEEEENSH_IJSG_SG_SG_EEES9_SI_JZNS1_25segmented_radix_sort_implINS0_14default_configELb1EPKbPbPKlPlN2at6native12_GLOBAL__N_18offset_tEEE10hipError_tPvRmT1_PNSt15iterator_traitsIS12_E10value_typeET2_T3_PNS13_IS18_E10value_typeET4_jRbjT5_S1E_jjP12ihipStream_tbEUljE_ZNSN_ISO_Lb1ESQ_SR_ST_SU_SY_EESZ_S10_S11_S12_S16_S17_S18_S1B_S1C_jS1D_jS1E_S1E_jjS1G_bEUljE0_EEESZ_S10_S11_S18_S1C_S1E_T6_T7_T9_mT8_S1G_bDpT10_ENKUlT_T0_E_clISt17integral_constantIbLb0EES1T_IbLb1EEEEDaS1P_S1Q_EUlS1P_E_NS1_11comp_targetILNS1_3genE4ELNS1_11target_archE910ELNS1_3gpuE8ELNS1_3repE0EEENS1_30default_config_static_selectorELNS0_4arch9wavefront6targetE0EEEvS12_.has_dyn_sized_stack, 0
	.set _ZN7rocprim17ROCPRIM_400000_NS6detail17trampoline_kernelINS0_13select_configILj256ELj13ELNS0_17block_load_methodE3ELS4_3ELS4_3ELNS0_20block_scan_algorithmE0ELj4294967295EEENS1_25partition_config_selectorILNS1_17partition_subalgoE4EjNS0_10empty_typeEbEEZZNS1_14partition_implILS8_4ELb0ES6_15HIP_vector_typeIjLj2EENS0_17counting_iteratorIjlEEPS9_SG_NS0_5tupleIJPjSI_NS0_16reverse_iteratorISI_EEEEENSH_IJSG_SG_SG_EEES9_SI_JZNS1_25segmented_radix_sort_implINS0_14default_configELb1EPKbPbPKlPlN2at6native12_GLOBAL__N_18offset_tEEE10hipError_tPvRmT1_PNSt15iterator_traitsIS12_E10value_typeET2_T3_PNS13_IS18_E10value_typeET4_jRbjT5_S1E_jjP12ihipStream_tbEUljE_ZNSN_ISO_Lb1ESQ_SR_ST_SU_SY_EESZ_S10_S11_S12_S16_S17_S18_S1B_S1C_jS1D_jS1E_S1E_jjS1G_bEUljE0_EEESZ_S10_S11_S18_S1C_S1E_T6_T7_T9_mT8_S1G_bDpT10_ENKUlT_T0_E_clISt17integral_constantIbLb0EES1T_IbLb1EEEEDaS1P_S1Q_EUlS1P_E_NS1_11comp_targetILNS1_3genE4ELNS1_11target_archE910ELNS1_3gpuE8ELNS1_3repE0EEENS1_30default_config_static_selectorELNS0_4arch9wavefront6targetE0EEEvS12_.has_recursion, 0
	.set _ZN7rocprim17ROCPRIM_400000_NS6detail17trampoline_kernelINS0_13select_configILj256ELj13ELNS0_17block_load_methodE3ELS4_3ELS4_3ELNS0_20block_scan_algorithmE0ELj4294967295EEENS1_25partition_config_selectorILNS1_17partition_subalgoE4EjNS0_10empty_typeEbEEZZNS1_14partition_implILS8_4ELb0ES6_15HIP_vector_typeIjLj2EENS0_17counting_iteratorIjlEEPS9_SG_NS0_5tupleIJPjSI_NS0_16reverse_iteratorISI_EEEEENSH_IJSG_SG_SG_EEES9_SI_JZNS1_25segmented_radix_sort_implINS0_14default_configELb1EPKbPbPKlPlN2at6native12_GLOBAL__N_18offset_tEEE10hipError_tPvRmT1_PNSt15iterator_traitsIS12_E10value_typeET2_T3_PNS13_IS18_E10value_typeET4_jRbjT5_S1E_jjP12ihipStream_tbEUljE_ZNSN_ISO_Lb1ESQ_SR_ST_SU_SY_EESZ_S10_S11_S12_S16_S17_S18_S1B_S1C_jS1D_jS1E_S1E_jjS1G_bEUljE0_EEESZ_S10_S11_S18_S1C_S1E_T6_T7_T9_mT8_S1G_bDpT10_ENKUlT_T0_E_clISt17integral_constantIbLb0EES1T_IbLb1EEEEDaS1P_S1Q_EUlS1P_E_NS1_11comp_targetILNS1_3genE4ELNS1_11target_archE910ELNS1_3gpuE8ELNS1_3repE0EEENS1_30default_config_static_selectorELNS0_4arch9wavefront6targetE0EEEvS12_.has_indirect_call, 0
	.section	.AMDGPU.csdata,"",@progbits
; Kernel info:
; codeLenInByte = 0
; TotalNumSgprs: 0
; NumVgprs: 0
; ScratchSize: 0
; MemoryBound: 0
; FloatMode: 240
; IeeeMode: 1
; LDSByteSize: 0 bytes/workgroup (compile time only)
; SGPRBlocks: 0
; VGPRBlocks: 0
; NumSGPRsForWavesPerEU: 1
; NumVGPRsForWavesPerEU: 1
; Occupancy: 16
; WaveLimiterHint : 0
; COMPUTE_PGM_RSRC2:SCRATCH_EN: 0
; COMPUTE_PGM_RSRC2:USER_SGPR: 6
; COMPUTE_PGM_RSRC2:TRAP_HANDLER: 0
; COMPUTE_PGM_RSRC2:TGID_X_EN: 1
; COMPUTE_PGM_RSRC2:TGID_Y_EN: 0
; COMPUTE_PGM_RSRC2:TGID_Z_EN: 0
; COMPUTE_PGM_RSRC2:TIDIG_COMP_CNT: 0
	.section	.text._ZN7rocprim17ROCPRIM_400000_NS6detail17trampoline_kernelINS0_13select_configILj256ELj13ELNS0_17block_load_methodE3ELS4_3ELS4_3ELNS0_20block_scan_algorithmE0ELj4294967295EEENS1_25partition_config_selectorILNS1_17partition_subalgoE4EjNS0_10empty_typeEbEEZZNS1_14partition_implILS8_4ELb0ES6_15HIP_vector_typeIjLj2EENS0_17counting_iteratorIjlEEPS9_SG_NS0_5tupleIJPjSI_NS0_16reverse_iteratorISI_EEEEENSH_IJSG_SG_SG_EEES9_SI_JZNS1_25segmented_radix_sort_implINS0_14default_configELb1EPKbPbPKlPlN2at6native12_GLOBAL__N_18offset_tEEE10hipError_tPvRmT1_PNSt15iterator_traitsIS12_E10value_typeET2_T3_PNS13_IS18_E10value_typeET4_jRbjT5_S1E_jjP12ihipStream_tbEUljE_ZNSN_ISO_Lb1ESQ_SR_ST_SU_SY_EESZ_S10_S11_S12_S16_S17_S18_S1B_S1C_jS1D_jS1E_S1E_jjS1G_bEUljE0_EEESZ_S10_S11_S18_S1C_S1E_T6_T7_T9_mT8_S1G_bDpT10_ENKUlT_T0_E_clISt17integral_constantIbLb0EES1T_IbLb1EEEEDaS1P_S1Q_EUlS1P_E_NS1_11comp_targetILNS1_3genE3ELNS1_11target_archE908ELNS1_3gpuE7ELNS1_3repE0EEENS1_30default_config_static_selectorELNS0_4arch9wavefront6targetE0EEEvS12_,"axG",@progbits,_ZN7rocprim17ROCPRIM_400000_NS6detail17trampoline_kernelINS0_13select_configILj256ELj13ELNS0_17block_load_methodE3ELS4_3ELS4_3ELNS0_20block_scan_algorithmE0ELj4294967295EEENS1_25partition_config_selectorILNS1_17partition_subalgoE4EjNS0_10empty_typeEbEEZZNS1_14partition_implILS8_4ELb0ES6_15HIP_vector_typeIjLj2EENS0_17counting_iteratorIjlEEPS9_SG_NS0_5tupleIJPjSI_NS0_16reverse_iteratorISI_EEEEENSH_IJSG_SG_SG_EEES9_SI_JZNS1_25segmented_radix_sort_implINS0_14default_configELb1EPKbPbPKlPlN2at6native12_GLOBAL__N_18offset_tEEE10hipError_tPvRmT1_PNSt15iterator_traitsIS12_E10value_typeET2_T3_PNS13_IS18_E10value_typeET4_jRbjT5_S1E_jjP12ihipStream_tbEUljE_ZNSN_ISO_Lb1ESQ_SR_ST_SU_SY_EESZ_S10_S11_S12_S16_S17_S18_S1B_S1C_jS1D_jS1E_S1E_jjS1G_bEUljE0_EEESZ_S10_S11_S18_S1C_S1E_T6_T7_T9_mT8_S1G_bDpT10_ENKUlT_T0_E_clISt17integral_constantIbLb0EES1T_IbLb1EEEEDaS1P_S1Q_EUlS1P_E_NS1_11comp_targetILNS1_3genE3ELNS1_11target_archE908ELNS1_3gpuE7ELNS1_3repE0EEENS1_30default_config_static_selectorELNS0_4arch9wavefront6targetE0EEEvS12_,comdat
	.globl	_ZN7rocprim17ROCPRIM_400000_NS6detail17trampoline_kernelINS0_13select_configILj256ELj13ELNS0_17block_load_methodE3ELS4_3ELS4_3ELNS0_20block_scan_algorithmE0ELj4294967295EEENS1_25partition_config_selectorILNS1_17partition_subalgoE4EjNS0_10empty_typeEbEEZZNS1_14partition_implILS8_4ELb0ES6_15HIP_vector_typeIjLj2EENS0_17counting_iteratorIjlEEPS9_SG_NS0_5tupleIJPjSI_NS0_16reverse_iteratorISI_EEEEENSH_IJSG_SG_SG_EEES9_SI_JZNS1_25segmented_radix_sort_implINS0_14default_configELb1EPKbPbPKlPlN2at6native12_GLOBAL__N_18offset_tEEE10hipError_tPvRmT1_PNSt15iterator_traitsIS12_E10value_typeET2_T3_PNS13_IS18_E10value_typeET4_jRbjT5_S1E_jjP12ihipStream_tbEUljE_ZNSN_ISO_Lb1ESQ_SR_ST_SU_SY_EESZ_S10_S11_S12_S16_S17_S18_S1B_S1C_jS1D_jS1E_S1E_jjS1G_bEUljE0_EEESZ_S10_S11_S18_S1C_S1E_T6_T7_T9_mT8_S1G_bDpT10_ENKUlT_T0_E_clISt17integral_constantIbLb0EES1T_IbLb1EEEEDaS1P_S1Q_EUlS1P_E_NS1_11comp_targetILNS1_3genE3ELNS1_11target_archE908ELNS1_3gpuE7ELNS1_3repE0EEENS1_30default_config_static_selectorELNS0_4arch9wavefront6targetE0EEEvS12_ ; -- Begin function _ZN7rocprim17ROCPRIM_400000_NS6detail17trampoline_kernelINS0_13select_configILj256ELj13ELNS0_17block_load_methodE3ELS4_3ELS4_3ELNS0_20block_scan_algorithmE0ELj4294967295EEENS1_25partition_config_selectorILNS1_17partition_subalgoE4EjNS0_10empty_typeEbEEZZNS1_14partition_implILS8_4ELb0ES6_15HIP_vector_typeIjLj2EENS0_17counting_iteratorIjlEEPS9_SG_NS0_5tupleIJPjSI_NS0_16reverse_iteratorISI_EEEEENSH_IJSG_SG_SG_EEES9_SI_JZNS1_25segmented_radix_sort_implINS0_14default_configELb1EPKbPbPKlPlN2at6native12_GLOBAL__N_18offset_tEEE10hipError_tPvRmT1_PNSt15iterator_traitsIS12_E10value_typeET2_T3_PNS13_IS18_E10value_typeET4_jRbjT5_S1E_jjP12ihipStream_tbEUljE_ZNSN_ISO_Lb1ESQ_SR_ST_SU_SY_EESZ_S10_S11_S12_S16_S17_S18_S1B_S1C_jS1D_jS1E_S1E_jjS1G_bEUljE0_EEESZ_S10_S11_S18_S1C_S1E_T6_T7_T9_mT8_S1G_bDpT10_ENKUlT_T0_E_clISt17integral_constantIbLb0EES1T_IbLb1EEEEDaS1P_S1Q_EUlS1P_E_NS1_11comp_targetILNS1_3genE3ELNS1_11target_archE908ELNS1_3gpuE7ELNS1_3repE0EEENS1_30default_config_static_selectorELNS0_4arch9wavefront6targetE0EEEvS12_
	.p2align	8
	.type	_ZN7rocprim17ROCPRIM_400000_NS6detail17trampoline_kernelINS0_13select_configILj256ELj13ELNS0_17block_load_methodE3ELS4_3ELS4_3ELNS0_20block_scan_algorithmE0ELj4294967295EEENS1_25partition_config_selectorILNS1_17partition_subalgoE4EjNS0_10empty_typeEbEEZZNS1_14partition_implILS8_4ELb0ES6_15HIP_vector_typeIjLj2EENS0_17counting_iteratorIjlEEPS9_SG_NS0_5tupleIJPjSI_NS0_16reverse_iteratorISI_EEEEENSH_IJSG_SG_SG_EEES9_SI_JZNS1_25segmented_radix_sort_implINS0_14default_configELb1EPKbPbPKlPlN2at6native12_GLOBAL__N_18offset_tEEE10hipError_tPvRmT1_PNSt15iterator_traitsIS12_E10value_typeET2_T3_PNS13_IS18_E10value_typeET4_jRbjT5_S1E_jjP12ihipStream_tbEUljE_ZNSN_ISO_Lb1ESQ_SR_ST_SU_SY_EESZ_S10_S11_S12_S16_S17_S18_S1B_S1C_jS1D_jS1E_S1E_jjS1G_bEUljE0_EEESZ_S10_S11_S18_S1C_S1E_T6_T7_T9_mT8_S1G_bDpT10_ENKUlT_T0_E_clISt17integral_constantIbLb0EES1T_IbLb1EEEEDaS1P_S1Q_EUlS1P_E_NS1_11comp_targetILNS1_3genE3ELNS1_11target_archE908ELNS1_3gpuE7ELNS1_3repE0EEENS1_30default_config_static_selectorELNS0_4arch9wavefront6targetE0EEEvS12_,@function
_ZN7rocprim17ROCPRIM_400000_NS6detail17trampoline_kernelINS0_13select_configILj256ELj13ELNS0_17block_load_methodE3ELS4_3ELS4_3ELNS0_20block_scan_algorithmE0ELj4294967295EEENS1_25partition_config_selectorILNS1_17partition_subalgoE4EjNS0_10empty_typeEbEEZZNS1_14partition_implILS8_4ELb0ES6_15HIP_vector_typeIjLj2EENS0_17counting_iteratorIjlEEPS9_SG_NS0_5tupleIJPjSI_NS0_16reverse_iteratorISI_EEEEENSH_IJSG_SG_SG_EEES9_SI_JZNS1_25segmented_radix_sort_implINS0_14default_configELb1EPKbPbPKlPlN2at6native12_GLOBAL__N_18offset_tEEE10hipError_tPvRmT1_PNSt15iterator_traitsIS12_E10value_typeET2_T3_PNS13_IS18_E10value_typeET4_jRbjT5_S1E_jjP12ihipStream_tbEUljE_ZNSN_ISO_Lb1ESQ_SR_ST_SU_SY_EESZ_S10_S11_S12_S16_S17_S18_S1B_S1C_jS1D_jS1E_S1E_jjS1G_bEUljE0_EEESZ_S10_S11_S18_S1C_S1E_T6_T7_T9_mT8_S1G_bDpT10_ENKUlT_T0_E_clISt17integral_constantIbLb0EES1T_IbLb1EEEEDaS1P_S1Q_EUlS1P_E_NS1_11comp_targetILNS1_3genE3ELNS1_11target_archE908ELNS1_3gpuE7ELNS1_3repE0EEENS1_30default_config_static_selectorELNS0_4arch9wavefront6targetE0EEEvS12_: ; @_ZN7rocprim17ROCPRIM_400000_NS6detail17trampoline_kernelINS0_13select_configILj256ELj13ELNS0_17block_load_methodE3ELS4_3ELS4_3ELNS0_20block_scan_algorithmE0ELj4294967295EEENS1_25partition_config_selectorILNS1_17partition_subalgoE4EjNS0_10empty_typeEbEEZZNS1_14partition_implILS8_4ELb0ES6_15HIP_vector_typeIjLj2EENS0_17counting_iteratorIjlEEPS9_SG_NS0_5tupleIJPjSI_NS0_16reverse_iteratorISI_EEEEENSH_IJSG_SG_SG_EEES9_SI_JZNS1_25segmented_radix_sort_implINS0_14default_configELb1EPKbPbPKlPlN2at6native12_GLOBAL__N_18offset_tEEE10hipError_tPvRmT1_PNSt15iterator_traitsIS12_E10value_typeET2_T3_PNS13_IS18_E10value_typeET4_jRbjT5_S1E_jjP12ihipStream_tbEUljE_ZNSN_ISO_Lb1ESQ_SR_ST_SU_SY_EESZ_S10_S11_S12_S16_S17_S18_S1B_S1C_jS1D_jS1E_S1E_jjS1G_bEUljE0_EEESZ_S10_S11_S18_S1C_S1E_T6_T7_T9_mT8_S1G_bDpT10_ENKUlT_T0_E_clISt17integral_constantIbLb0EES1T_IbLb1EEEEDaS1P_S1Q_EUlS1P_E_NS1_11comp_targetILNS1_3genE3ELNS1_11target_archE908ELNS1_3gpuE7ELNS1_3repE0EEENS1_30default_config_static_selectorELNS0_4arch9wavefront6targetE0EEEvS12_
; %bb.0:
	.section	.rodata,"a",@progbits
	.p2align	6, 0x0
	.amdhsa_kernel _ZN7rocprim17ROCPRIM_400000_NS6detail17trampoline_kernelINS0_13select_configILj256ELj13ELNS0_17block_load_methodE3ELS4_3ELS4_3ELNS0_20block_scan_algorithmE0ELj4294967295EEENS1_25partition_config_selectorILNS1_17partition_subalgoE4EjNS0_10empty_typeEbEEZZNS1_14partition_implILS8_4ELb0ES6_15HIP_vector_typeIjLj2EENS0_17counting_iteratorIjlEEPS9_SG_NS0_5tupleIJPjSI_NS0_16reverse_iteratorISI_EEEEENSH_IJSG_SG_SG_EEES9_SI_JZNS1_25segmented_radix_sort_implINS0_14default_configELb1EPKbPbPKlPlN2at6native12_GLOBAL__N_18offset_tEEE10hipError_tPvRmT1_PNSt15iterator_traitsIS12_E10value_typeET2_T3_PNS13_IS18_E10value_typeET4_jRbjT5_S1E_jjP12ihipStream_tbEUljE_ZNSN_ISO_Lb1ESQ_SR_ST_SU_SY_EESZ_S10_S11_S12_S16_S17_S18_S1B_S1C_jS1D_jS1E_S1E_jjS1G_bEUljE0_EEESZ_S10_S11_S18_S1C_S1E_T6_T7_T9_mT8_S1G_bDpT10_ENKUlT_T0_E_clISt17integral_constantIbLb0EES1T_IbLb1EEEEDaS1P_S1Q_EUlS1P_E_NS1_11comp_targetILNS1_3genE3ELNS1_11target_archE908ELNS1_3gpuE7ELNS1_3repE0EEENS1_30default_config_static_selectorELNS0_4arch9wavefront6targetE0EEEvS12_
		.amdhsa_group_segment_fixed_size 0
		.amdhsa_private_segment_fixed_size 0
		.amdhsa_kernarg_size 184
		.amdhsa_user_sgpr_count 6
		.amdhsa_user_sgpr_private_segment_buffer 1
		.amdhsa_user_sgpr_dispatch_ptr 0
		.amdhsa_user_sgpr_queue_ptr 0
		.amdhsa_user_sgpr_kernarg_segment_ptr 1
		.amdhsa_user_sgpr_dispatch_id 0
		.amdhsa_user_sgpr_flat_scratch_init 0
		.amdhsa_user_sgpr_private_segment_size 0
		.amdhsa_wavefront_size32 1
		.amdhsa_uses_dynamic_stack 0
		.amdhsa_system_sgpr_private_segment_wavefront_offset 0
		.amdhsa_system_sgpr_workgroup_id_x 1
		.amdhsa_system_sgpr_workgroup_id_y 0
		.amdhsa_system_sgpr_workgroup_id_z 0
		.amdhsa_system_sgpr_workgroup_info 0
		.amdhsa_system_vgpr_workitem_id 0
		.amdhsa_next_free_vgpr 1
		.amdhsa_next_free_sgpr 1
		.amdhsa_reserve_vcc 0
		.amdhsa_reserve_flat_scratch 0
		.amdhsa_float_round_mode_32 0
		.amdhsa_float_round_mode_16_64 0
		.amdhsa_float_denorm_mode_32 3
		.amdhsa_float_denorm_mode_16_64 3
		.amdhsa_dx10_clamp 1
		.amdhsa_ieee_mode 1
		.amdhsa_fp16_overflow 0
		.amdhsa_workgroup_processor_mode 1
		.amdhsa_memory_ordered 1
		.amdhsa_forward_progress 1
		.amdhsa_shared_vgpr_count 0
		.amdhsa_exception_fp_ieee_invalid_op 0
		.amdhsa_exception_fp_denorm_src 0
		.amdhsa_exception_fp_ieee_div_zero 0
		.amdhsa_exception_fp_ieee_overflow 0
		.amdhsa_exception_fp_ieee_underflow 0
		.amdhsa_exception_fp_ieee_inexact 0
		.amdhsa_exception_int_div_zero 0
	.end_amdhsa_kernel
	.section	.text._ZN7rocprim17ROCPRIM_400000_NS6detail17trampoline_kernelINS0_13select_configILj256ELj13ELNS0_17block_load_methodE3ELS4_3ELS4_3ELNS0_20block_scan_algorithmE0ELj4294967295EEENS1_25partition_config_selectorILNS1_17partition_subalgoE4EjNS0_10empty_typeEbEEZZNS1_14partition_implILS8_4ELb0ES6_15HIP_vector_typeIjLj2EENS0_17counting_iteratorIjlEEPS9_SG_NS0_5tupleIJPjSI_NS0_16reverse_iteratorISI_EEEEENSH_IJSG_SG_SG_EEES9_SI_JZNS1_25segmented_radix_sort_implINS0_14default_configELb1EPKbPbPKlPlN2at6native12_GLOBAL__N_18offset_tEEE10hipError_tPvRmT1_PNSt15iterator_traitsIS12_E10value_typeET2_T3_PNS13_IS18_E10value_typeET4_jRbjT5_S1E_jjP12ihipStream_tbEUljE_ZNSN_ISO_Lb1ESQ_SR_ST_SU_SY_EESZ_S10_S11_S12_S16_S17_S18_S1B_S1C_jS1D_jS1E_S1E_jjS1G_bEUljE0_EEESZ_S10_S11_S18_S1C_S1E_T6_T7_T9_mT8_S1G_bDpT10_ENKUlT_T0_E_clISt17integral_constantIbLb0EES1T_IbLb1EEEEDaS1P_S1Q_EUlS1P_E_NS1_11comp_targetILNS1_3genE3ELNS1_11target_archE908ELNS1_3gpuE7ELNS1_3repE0EEENS1_30default_config_static_selectorELNS0_4arch9wavefront6targetE0EEEvS12_,"axG",@progbits,_ZN7rocprim17ROCPRIM_400000_NS6detail17trampoline_kernelINS0_13select_configILj256ELj13ELNS0_17block_load_methodE3ELS4_3ELS4_3ELNS0_20block_scan_algorithmE0ELj4294967295EEENS1_25partition_config_selectorILNS1_17partition_subalgoE4EjNS0_10empty_typeEbEEZZNS1_14partition_implILS8_4ELb0ES6_15HIP_vector_typeIjLj2EENS0_17counting_iteratorIjlEEPS9_SG_NS0_5tupleIJPjSI_NS0_16reverse_iteratorISI_EEEEENSH_IJSG_SG_SG_EEES9_SI_JZNS1_25segmented_radix_sort_implINS0_14default_configELb1EPKbPbPKlPlN2at6native12_GLOBAL__N_18offset_tEEE10hipError_tPvRmT1_PNSt15iterator_traitsIS12_E10value_typeET2_T3_PNS13_IS18_E10value_typeET4_jRbjT5_S1E_jjP12ihipStream_tbEUljE_ZNSN_ISO_Lb1ESQ_SR_ST_SU_SY_EESZ_S10_S11_S12_S16_S17_S18_S1B_S1C_jS1D_jS1E_S1E_jjS1G_bEUljE0_EEESZ_S10_S11_S18_S1C_S1E_T6_T7_T9_mT8_S1G_bDpT10_ENKUlT_T0_E_clISt17integral_constantIbLb0EES1T_IbLb1EEEEDaS1P_S1Q_EUlS1P_E_NS1_11comp_targetILNS1_3genE3ELNS1_11target_archE908ELNS1_3gpuE7ELNS1_3repE0EEENS1_30default_config_static_selectorELNS0_4arch9wavefront6targetE0EEEvS12_,comdat
.Lfunc_end1487:
	.size	_ZN7rocprim17ROCPRIM_400000_NS6detail17trampoline_kernelINS0_13select_configILj256ELj13ELNS0_17block_load_methodE3ELS4_3ELS4_3ELNS0_20block_scan_algorithmE0ELj4294967295EEENS1_25partition_config_selectorILNS1_17partition_subalgoE4EjNS0_10empty_typeEbEEZZNS1_14partition_implILS8_4ELb0ES6_15HIP_vector_typeIjLj2EENS0_17counting_iteratorIjlEEPS9_SG_NS0_5tupleIJPjSI_NS0_16reverse_iteratorISI_EEEEENSH_IJSG_SG_SG_EEES9_SI_JZNS1_25segmented_radix_sort_implINS0_14default_configELb1EPKbPbPKlPlN2at6native12_GLOBAL__N_18offset_tEEE10hipError_tPvRmT1_PNSt15iterator_traitsIS12_E10value_typeET2_T3_PNS13_IS18_E10value_typeET4_jRbjT5_S1E_jjP12ihipStream_tbEUljE_ZNSN_ISO_Lb1ESQ_SR_ST_SU_SY_EESZ_S10_S11_S12_S16_S17_S18_S1B_S1C_jS1D_jS1E_S1E_jjS1G_bEUljE0_EEESZ_S10_S11_S18_S1C_S1E_T6_T7_T9_mT8_S1G_bDpT10_ENKUlT_T0_E_clISt17integral_constantIbLb0EES1T_IbLb1EEEEDaS1P_S1Q_EUlS1P_E_NS1_11comp_targetILNS1_3genE3ELNS1_11target_archE908ELNS1_3gpuE7ELNS1_3repE0EEENS1_30default_config_static_selectorELNS0_4arch9wavefront6targetE0EEEvS12_, .Lfunc_end1487-_ZN7rocprim17ROCPRIM_400000_NS6detail17trampoline_kernelINS0_13select_configILj256ELj13ELNS0_17block_load_methodE3ELS4_3ELS4_3ELNS0_20block_scan_algorithmE0ELj4294967295EEENS1_25partition_config_selectorILNS1_17partition_subalgoE4EjNS0_10empty_typeEbEEZZNS1_14partition_implILS8_4ELb0ES6_15HIP_vector_typeIjLj2EENS0_17counting_iteratorIjlEEPS9_SG_NS0_5tupleIJPjSI_NS0_16reverse_iteratorISI_EEEEENSH_IJSG_SG_SG_EEES9_SI_JZNS1_25segmented_radix_sort_implINS0_14default_configELb1EPKbPbPKlPlN2at6native12_GLOBAL__N_18offset_tEEE10hipError_tPvRmT1_PNSt15iterator_traitsIS12_E10value_typeET2_T3_PNS13_IS18_E10value_typeET4_jRbjT5_S1E_jjP12ihipStream_tbEUljE_ZNSN_ISO_Lb1ESQ_SR_ST_SU_SY_EESZ_S10_S11_S12_S16_S17_S18_S1B_S1C_jS1D_jS1E_S1E_jjS1G_bEUljE0_EEESZ_S10_S11_S18_S1C_S1E_T6_T7_T9_mT8_S1G_bDpT10_ENKUlT_T0_E_clISt17integral_constantIbLb0EES1T_IbLb1EEEEDaS1P_S1Q_EUlS1P_E_NS1_11comp_targetILNS1_3genE3ELNS1_11target_archE908ELNS1_3gpuE7ELNS1_3repE0EEENS1_30default_config_static_selectorELNS0_4arch9wavefront6targetE0EEEvS12_
                                        ; -- End function
	.set _ZN7rocprim17ROCPRIM_400000_NS6detail17trampoline_kernelINS0_13select_configILj256ELj13ELNS0_17block_load_methodE3ELS4_3ELS4_3ELNS0_20block_scan_algorithmE0ELj4294967295EEENS1_25partition_config_selectorILNS1_17partition_subalgoE4EjNS0_10empty_typeEbEEZZNS1_14partition_implILS8_4ELb0ES6_15HIP_vector_typeIjLj2EENS0_17counting_iteratorIjlEEPS9_SG_NS0_5tupleIJPjSI_NS0_16reverse_iteratorISI_EEEEENSH_IJSG_SG_SG_EEES9_SI_JZNS1_25segmented_radix_sort_implINS0_14default_configELb1EPKbPbPKlPlN2at6native12_GLOBAL__N_18offset_tEEE10hipError_tPvRmT1_PNSt15iterator_traitsIS12_E10value_typeET2_T3_PNS13_IS18_E10value_typeET4_jRbjT5_S1E_jjP12ihipStream_tbEUljE_ZNSN_ISO_Lb1ESQ_SR_ST_SU_SY_EESZ_S10_S11_S12_S16_S17_S18_S1B_S1C_jS1D_jS1E_S1E_jjS1G_bEUljE0_EEESZ_S10_S11_S18_S1C_S1E_T6_T7_T9_mT8_S1G_bDpT10_ENKUlT_T0_E_clISt17integral_constantIbLb0EES1T_IbLb1EEEEDaS1P_S1Q_EUlS1P_E_NS1_11comp_targetILNS1_3genE3ELNS1_11target_archE908ELNS1_3gpuE7ELNS1_3repE0EEENS1_30default_config_static_selectorELNS0_4arch9wavefront6targetE0EEEvS12_.num_vgpr, 0
	.set _ZN7rocprim17ROCPRIM_400000_NS6detail17trampoline_kernelINS0_13select_configILj256ELj13ELNS0_17block_load_methodE3ELS4_3ELS4_3ELNS0_20block_scan_algorithmE0ELj4294967295EEENS1_25partition_config_selectorILNS1_17partition_subalgoE4EjNS0_10empty_typeEbEEZZNS1_14partition_implILS8_4ELb0ES6_15HIP_vector_typeIjLj2EENS0_17counting_iteratorIjlEEPS9_SG_NS0_5tupleIJPjSI_NS0_16reverse_iteratorISI_EEEEENSH_IJSG_SG_SG_EEES9_SI_JZNS1_25segmented_radix_sort_implINS0_14default_configELb1EPKbPbPKlPlN2at6native12_GLOBAL__N_18offset_tEEE10hipError_tPvRmT1_PNSt15iterator_traitsIS12_E10value_typeET2_T3_PNS13_IS18_E10value_typeET4_jRbjT5_S1E_jjP12ihipStream_tbEUljE_ZNSN_ISO_Lb1ESQ_SR_ST_SU_SY_EESZ_S10_S11_S12_S16_S17_S18_S1B_S1C_jS1D_jS1E_S1E_jjS1G_bEUljE0_EEESZ_S10_S11_S18_S1C_S1E_T6_T7_T9_mT8_S1G_bDpT10_ENKUlT_T0_E_clISt17integral_constantIbLb0EES1T_IbLb1EEEEDaS1P_S1Q_EUlS1P_E_NS1_11comp_targetILNS1_3genE3ELNS1_11target_archE908ELNS1_3gpuE7ELNS1_3repE0EEENS1_30default_config_static_selectorELNS0_4arch9wavefront6targetE0EEEvS12_.num_agpr, 0
	.set _ZN7rocprim17ROCPRIM_400000_NS6detail17trampoline_kernelINS0_13select_configILj256ELj13ELNS0_17block_load_methodE3ELS4_3ELS4_3ELNS0_20block_scan_algorithmE0ELj4294967295EEENS1_25partition_config_selectorILNS1_17partition_subalgoE4EjNS0_10empty_typeEbEEZZNS1_14partition_implILS8_4ELb0ES6_15HIP_vector_typeIjLj2EENS0_17counting_iteratorIjlEEPS9_SG_NS0_5tupleIJPjSI_NS0_16reverse_iteratorISI_EEEEENSH_IJSG_SG_SG_EEES9_SI_JZNS1_25segmented_radix_sort_implINS0_14default_configELb1EPKbPbPKlPlN2at6native12_GLOBAL__N_18offset_tEEE10hipError_tPvRmT1_PNSt15iterator_traitsIS12_E10value_typeET2_T3_PNS13_IS18_E10value_typeET4_jRbjT5_S1E_jjP12ihipStream_tbEUljE_ZNSN_ISO_Lb1ESQ_SR_ST_SU_SY_EESZ_S10_S11_S12_S16_S17_S18_S1B_S1C_jS1D_jS1E_S1E_jjS1G_bEUljE0_EEESZ_S10_S11_S18_S1C_S1E_T6_T7_T9_mT8_S1G_bDpT10_ENKUlT_T0_E_clISt17integral_constantIbLb0EES1T_IbLb1EEEEDaS1P_S1Q_EUlS1P_E_NS1_11comp_targetILNS1_3genE3ELNS1_11target_archE908ELNS1_3gpuE7ELNS1_3repE0EEENS1_30default_config_static_selectorELNS0_4arch9wavefront6targetE0EEEvS12_.numbered_sgpr, 0
	.set _ZN7rocprim17ROCPRIM_400000_NS6detail17trampoline_kernelINS0_13select_configILj256ELj13ELNS0_17block_load_methodE3ELS4_3ELS4_3ELNS0_20block_scan_algorithmE0ELj4294967295EEENS1_25partition_config_selectorILNS1_17partition_subalgoE4EjNS0_10empty_typeEbEEZZNS1_14partition_implILS8_4ELb0ES6_15HIP_vector_typeIjLj2EENS0_17counting_iteratorIjlEEPS9_SG_NS0_5tupleIJPjSI_NS0_16reverse_iteratorISI_EEEEENSH_IJSG_SG_SG_EEES9_SI_JZNS1_25segmented_radix_sort_implINS0_14default_configELb1EPKbPbPKlPlN2at6native12_GLOBAL__N_18offset_tEEE10hipError_tPvRmT1_PNSt15iterator_traitsIS12_E10value_typeET2_T3_PNS13_IS18_E10value_typeET4_jRbjT5_S1E_jjP12ihipStream_tbEUljE_ZNSN_ISO_Lb1ESQ_SR_ST_SU_SY_EESZ_S10_S11_S12_S16_S17_S18_S1B_S1C_jS1D_jS1E_S1E_jjS1G_bEUljE0_EEESZ_S10_S11_S18_S1C_S1E_T6_T7_T9_mT8_S1G_bDpT10_ENKUlT_T0_E_clISt17integral_constantIbLb0EES1T_IbLb1EEEEDaS1P_S1Q_EUlS1P_E_NS1_11comp_targetILNS1_3genE3ELNS1_11target_archE908ELNS1_3gpuE7ELNS1_3repE0EEENS1_30default_config_static_selectorELNS0_4arch9wavefront6targetE0EEEvS12_.num_named_barrier, 0
	.set _ZN7rocprim17ROCPRIM_400000_NS6detail17trampoline_kernelINS0_13select_configILj256ELj13ELNS0_17block_load_methodE3ELS4_3ELS4_3ELNS0_20block_scan_algorithmE0ELj4294967295EEENS1_25partition_config_selectorILNS1_17partition_subalgoE4EjNS0_10empty_typeEbEEZZNS1_14partition_implILS8_4ELb0ES6_15HIP_vector_typeIjLj2EENS0_17counting_iteratorIjlEEPS9_SG_NS0_5tupleIJPjSI_NS0_16reverse_iteratorISI_EEEEENSH_IJSG_SG_SG_EEES9_SI_JZNS1_25segmented_radix_sort_implINS0_14default_configELb1EPKbPbPKlPlN2at6native12_GLOBAL__N_18offset_tEEE10hipError_tPvRmT1_PNSt15iterator_traitsIS12_E10value_typeET2_T3_PNS13_IS18_E10value_typeET4_jRbjT5_S1E_jjP12ihipStream_tbEUljE_ZNSN_ISO_Lb1ESQ_SR_ST_SU_SY_EESZ_S10_S11_S12_S16_S17_S18_S1B_S1C_jS1D_jS1E_S1E_jjS1G_bEUljE0_EEESZ_S10_S11_S18_S1C_S1E_T6_T7_T9_mT8_S1G_bDpT10_ENKUlT_T0_E_clISt17integral_constantIbLb0EES1T_IbLb1EEEEDaS1P_S1Q_EUlS1P_E_NS1_11comp_targetILNS1_3genE3ELNS1_11target_archE908ELNS1_3gpuE7ELNS1_3repE0EEENS1_30default_config_static_selectorELNS0_4arch9wavefront6targetE0EEEvS12_.private_seg_size, 0
	.set _ZN7rocprim17ROCPRIM_400000_NS6detail17trampoline_kernelINS0_13select_configILj256ELj13ELNS0_17block_load_methodE3ELS4_3ELS4_3ELNS0_20block_scan_algorithmE0ELj4294967295EEENS1_25partition_config_selectorILNS1_17partition_subalgoE4EjNS0_10empty_typeEbEEZZNS1_14partition_implILS8_4ELb0ES6_15HIP_vector_typeIjLj2EENS0_17counting_iteratorIjlEEPS9_SG_NS0_5tupleIJPjSI_NS0_16reverse_iteratorISI_EEEEENSH_IJSG_SG_SG_EEES9_SI_JZNS1_25segmented_radix_sort_implINS0_14default_configELb1EPKbPbPKlPlN2at6native12_GLOBAL__N_18offset_tEEE10hipError_tPvRmT1_PNSt15iterator_traitsIS12_E10value_typeET2_T3_PNS13_IS18_E10value_typeET4_jRbjT5_S1E_jjP12ihipStream_tbEUljE_ZNSN_ISO_Lb1ESQ_SR_ST_SU_SY_EESZ_S10_S11_S12_S16_S17_S18_S1B_S1C_jS1D_jS1E_S1E_jjS1G_bEUljE0_EEESZ_S10_S11_S18_S1C_S1E_T6_T7_T9_mT8_S1G_bDpT10_ENKUlT_T0_E_clISt17integral_constantIbLb0EES1T_IbLb1EEEEDaS1P_S1Q_EUlS1P_E_NS1_11comp_targetILNS1_3genE3ELNS1_11target_archE908ELNS1_3gpuE7ELNS1_3repE0EEENS1_30default_config_static_selectorELNS0_4arch9wavefront6targetE0EEEvS12_.uses_vcc, 0
	.set _ZN7rocprim17ROCPRIM_400000_NS6detail17trampoline_kernelINS0_13select_configILj256ELj13ELNS0_17block_load_methodE3ELS4_3ELS4_3ELNS0_20block_scan_algorithmE0ELj4294967295EEENS1_25partition_config_selectorILNS1_17partition_subalgoE4EjNS0_10empty_typeEbEEZZNS1_14partition_implILS8_4ELb0ES6_15HIP_vector_typeIjLj2EENS0_17counting_iteratorIjlEEPS9_SG_NS0_5tupleIJPjSI_NS0_16reverse_iteratorISI_EEEEENSH_IJSG_SG_SG_EEES9_SI_JZNS1_25segmented_radix_sort_implINS0_14default_configELb1EPKbPbPKlPlN2at6native12_GLOBAL__N_18offset_tEEE10hipError_tPvRmT1_PNSt15iterator_traitsIS12_E10value_typeET2_T3_PNS13_IS18_E10value_typeET4_jRbjT5_S1E_jjP12ihipStream_tbEUljE_ZNSN_ISO_Lb1ESQ_SR_ST_SU_SY_EESZ_S10_S11_S12_S16_S17_S18_S1B_S1C_jS1D_jS1E_S1E_jjS1G_bEUljE0_EEESZ_S10_S11_S18_S1C_S1E_T6_T7_T9_mT8_S1G_bDpT10_ENKUlT_T0_E_clISt17integral_constantIbLb0EES1T_IbLb1EEEEDaS1P_S1Q_EUlS1P_E_NS1_11comp_targetILNS1_3genE3ELNS1_11target_archE908ELNS1_3gpuE7ELNS1_3repE0EEENS1_30default_config_static_selectorELNS0_4arch9wavefront6targetE0EEEvS12_.uses_flat_scratch, 0
	.set _ZN7rocprim17ROCPRIM_400000_NS6detail17trampoline_kernelINS0_13select_configILj256ELj13ELNS0_17block_load_methodE3ELS4_3ELS4_3ELNS0_20block_scan_algorithmE0ELj4294967295EEENS1_25partition_config_selectorILNS1_17partition_subalgoE4EjNS0_10empty_typeEbEEZZNS1_14partition_implILS8_4ELb0ES6_15HIP_vector_typeIjLj2EENS0_17counting_iteratorIjlEEPS9_SG_NS0_5tupleIJPjSI_NS0_16reverse_iteratorISI_EEEEENSH_IJSG_SG_SG_EEES9_SI_JZNS1_25segmented_radix_sort_implINS0_14default_configELb1EPKbPbPKlPlN2at6native12_GLOBAL__N_18offset_tEEE10hipError_tPvRmT1_PNSt15iterator_traitsIS12_E10value_typeET2_T3_PNS13_IS18_E10value_typeET4_jRbjT5_S1E_jjP12ihipStream_tbEUljE_ZNSN_ISO_Lb1ESQ_SR_ST_SU_SY_EESZ_S10_S11_S12_S16_S17_S18_S1B_S1C_jS1D_jS1E_S1E_jjS1G_bEUljE0_EEESZ_S10_S11_S18_S1C_S1E_T6_T7_T9_mT8_S1G_bDpT10_ENKUlT_T0_E_clISt17integral_constantIbLb0EES1T_IbLb1EEEEDaS1P_S1Q_EUlS1P_E_NS1_11comp_targetILNS1_3genE3ELNS1_11target_archE908ELNS1_3gpuE7ELNS1_3repE0EEENS1_30default_config_static_selectorELNS0_4arch9wavefront6targetE0EEEvS12_.has_dyn_sized_stack, 0
	.set _ZN7rocprim17ROCPRIM_400000_NS6detail17trampoline_kernelINS0_13select_configILj256ELj13ELNS0_17block_load_methodE3ELS4_3ELS4_3ELNS0_20block_scan_algorithmE0ELj4294967295EEENS1_25partition_config_selectorILNS1_17partition_subalgoE4EjNS0_10empty_typeEbEEZZNS1_14partition_implILS8_4ELb0ES6_15HIP_vector_typeIjLj2EENS0_17counting_iteratorIjlEEPS9_SG_NS0_5tupleIJPjSI_NS0_16reverse_iteratorISI_EEEEENSH_IJSG_SG_SG_EEES9_SI_JZNS1_25segmented_radix_sort_implINS0_14default_configELb1EPKbPbPKlPlN2at6native12_GLOBAL__N_18offset_tEEE10hipError_tPvRmT1_PNSt15iterator_traitsIS12_E10value_typeET2_T3_PNS13_IS18_E10value_typeET4_jRbjT5_S1E_jjP12ihipStream_tbEUljE_ZNSN_ISO_Lb1ESQ_SR_ST_SU_SY_EESZ_S10_S11_S12_S16_S17_S18_S1B_S1C_jS1D_jS1E_S1E_jjS1G_bEUljE0_EEESZ_S10_S11_S18_S1C_S1E_T6_T7_T9_mT8_S1G_bDpT10_ENKUlT_T0_E_clISt17integral_constantIbLb0EES1T_IbLb1EEEEDaS1P_S1Q_EUlS1P_E_NS1_11comp_targetILNS1_3genE3ELNS1_11target_archE908ELNS1_3gpuE7ELNS1_3repE0EEENS1_30default_config_static_selectorELNS0_4arch9wavefront6targetE0EEEvS12_.has_recursion, 0
	.set _ZN7rocprim17ROCPRIM_400000_NS6detail17trampoline_kernelINS0_13select_configILj256ELj13ELNS0_17block_load_methodE3ELS4_3ELS4_3ELNS0_20block_scan_algorithmE0ELj4294967295EEENS1_25partition_config_selectorILNS1_17partition_subalgoE4EjNS0_10empty_typeEbEEZZNS1_14partition_implILS8_4ELb0ES6_15HIP_vector_typeIjLj2EENS0_17counting_iteratorIjlEEPS9_SG_NS0_5tupleIJPjSI_NS0_16reverse_iteratorISI_EEEEENSH_IJSG_SG_SG_EEES9_SI_JZNS1_25segmented_radix_sort_implINS0_14default_configELb1EPKbPbPKlPlN2at6native12_GLOBAL__N_18offset_tEEE10hipError_tPvRmT1_PNSt15iterator_traitsIS12_E10value_typeET2_T3_PNS13_IS18_E10value_typeET4_jRbjT5_S1E_jjP12ihipStream_tbEUljE_ZNSN_ISO_Lb1ESQ_SR_ST_SU_SY_EESZ_S10_S11_S12_S16_S17_S18_S1B_S1C_jS1D_jS1E_S1E_jjS1G_bEUljE0_EEESZ_S10_S11_S18_S1C_S1E_T6_T7_T9_mT8_S1G_bDpT10_ENKUlT_T0_E_clISt17integral_constantIbLb0EES1T_IbLb1EEEEDaS1P_S1Q_EUlS1P_E_NS1_11comp_targetILNS1_3genE3ELNS1_11target_archE908ELNS1_3gpuE7ELNS1_3repE0EEENS1_30default_config_static_selectorELNS0_4arch9wavefront6targetE0EEEvS12_.has_indirect_call, 0
	.section	.AMDGPU.csdata,"",@progbits
; Kernel info:
; codeLenInByte = 0
; TotalNumSgprs: 0
; NumVgprs: 0
; ScratchSize: 0
; MemoryBound: 0
; FloatMode: 240
; IeeeMode: 1
; LDSByteSize: 0 bytes/workgroup (compile time only)
; SGPRBlocks: 0
; VGPRBlocks: 0
; NumSGPRsForWavesPerEU: 1
; NumVGPRsForWavesPerEU: 1
; Occupancy: 16
; WaveLimiterHint : 0
; COMPUTE_PGM_RSRC2:SCRATCH_EN: 0
; COMPUTE_PGM_RSRC2:USER_SGPR: 6
; COMPUTE_PGM_RSRC2:TRAP_HANDLER: 0
; COMPUTE_PGM_RSRC2:TGID_X_EN: 1
; COMPUTE_PGM_RSRC2:TGID_Y_EN: 0
; COMPUTE_PGM_RSRC2:TGID_Z_EN: 0
; COMPUTE_PGM_RSRC2:TIDIG_COMP_CNT: 0
	.section	.text._ZN7rocprim17ROCPRIM_400000_NS6detail17trampoline_kernelINS0_13select_configILj256ELj13ELNS0_17block_load_methodE3ELS4_3ELS4_3ELNS0_20block_scan_algorithmE0ELj4294967295EEENS1_25partition_config_selectorILNS1_17partition_subalgoE4EjNS0_10empty_typeEbEEZZNS1_14partition_implILS8_4ELb0ES6_15HIP_vector_typeIjLj2EENS0_17counting_iteratorIjlEEPS9_SG_NS0_5tupleIJPjSI_NS0_16reverse_iteratorISI_EEEEENSH_IJSG_SG_SG_EEES9_SI_JZNS1_25segmented_radix_sort_implINS0_14default_configELb1EPKbPbPKlPlN2at6native12_GLOBAL__N_18offset_tEEE10hipError_tPvRmT1_PNSt15iterator_traitsIS12_E10value_typeET2_T3_PNS13_IS18_E10value_typeET4_jRbjT5_S1E_jjP12ihipStream_tbEUljE_ZNSN_ISO_Lb1ESQ_SR_ST_SU_SY_EESZ_S10_S11_S12_S16_S17_S18_S1B_S1C_jS1D_jS1E_S1E_jjS1G_bEUljE0_EEESZ_S10_S11_S18_S1C_S1E_T6_T7_T9_mT8_S1G_bDpT10_ENKUlT_T0_E_clISt17integral_constantIbLb0EES1T_IbLb1EEEEDaS1P_S1Q_EUlS1P_E_NS1_11comp_targetILNS1_3genE2ELNS1_11target_archE906ELNS1_3gpuE6ELNS1_3repE0EEENS1_30default_config_static_selectorELNS0_4arch9wavefront6targetE0EEEvS12_,"axG",@progbits,_ZN7rocprim17ROCPRIM_400000_NS6detail17trampoline_kernelINS0_13select_configILj256ELj13ELNS0_17block_load_methodE3ELS4_3ELS4_3ELNS0_20block_scan_algorithmE0ELj4294967295EEENS1_25partition_config_selectorILNS1_17partition_subalgoE4EjNS0_10empty_typeEbEEZZNS1_14partition_implILS8_4ELb0ES6_15HIP_vector_typeIjLj2EENS0_17counting_iteratorIjlEEPS9_SG_NS0_5tupleIJPjSI_NS0_16reverse_iteratorISI_EEEEENSH_IJSG_SG_SG_EEES9_SI_JZNS1_25segmented_radix_sort_implINS0_14default_configELb1EPKbPbPKlPlN2at6native12_GLOBAL__N_18offset_tEEE10hipError_tPvRmT1_PNSt15iterator_traitsIS12_E10value_typeET2_T3_PNS13_IS18_E10value_typeET4_jRbjT5_S1E_jjP12ihipStream_tbEUljE_ZNSN_ISO_Lb1ESQ_SR_ST_SU_SY_EESZ_S10_S11_S12_S16_S17_S18_S1B_S1C_jS1D_jS1E_S1E_jjS1G_bEUljE0_EEESZ_S10_S11_S18_S1C_S1E_T6_T7_T9_mT8_S1G_bDpT10_ENKUlT_T0_E_clISt17integral_constantIbLb0EES1T_IbLb1EEEEDaS1P_S1Q_EUlS1P_E_NS1_11comp_targetILNS1_3genE2ELNS1_11target_archE906ELNS1_3gpuE6ELNS1_3repE0EEENS1_30default_config_static_selectorELNS0_4arch9wavefront6targetE0EEEvS12_,comdat
	.globl	_ZN7rocprim17ROCPRIM_400000_NS6detail17trampoline_kernelINS0_13select_configILj256ELj13ELNS0_17block_load_methodE3ELS4_3ELS4_3ELNS0_20block_scan_algorithmE0ELj4294967295EEENS1_25partition_config_selectorILNS1_17partition_subalgoE4EjNS0_10empty_typeEbEEZZNS1_14partition_implILS8_4ELb0ES6_15HIP_vector_typeIjLj2EENS0_17counting_iteratorIjlEEPS9_SG_NS0_5tupleIJPjSI_NS0_16reverse_iteratorISI_EEEEENSH_IJSG_SG_SG_EEES9_SI_JZNS1_25segmented_radix_sort_implINS0_14default_configELb1EPKbPbPKlPlN2at6native12_GLOBAL__N_18offset_tEEE10hipError_tPvRmT1_PNSt15iterator_traitsIS12_E10value_typeET2_T3_PNS13_IS18_E10value_typeET4_jRbjT5_S1E_jjP12ihipStream_tbEUljE_ZNSN_ISO_Lb1ESQ_SR_ST_SU_SY_EESZ_S10_S11_S12_S16_S17_S18_S1B_S1C_jS1D_jS1E_S1E_jjS1G_bEUljE0_EEESZ_S10_S11_S18_S1C_S1E_T6_T7_T9_mT8_S1G_bDpT10_ENKUlT_T0_E_clISt17integral_constantIbLb0EES1T_IbLb1EEEEDaS1P_S1Q_EUlS1P_E_NS1_11comp_targetILNS1_3genE2ELNS1_11target_archE906ELNS1_3gpuE6ELNS1_3repE0EEENS1_30default_config_static_selectorELNS0_4arch9wavefront6targetE0EEEvS12_ ; -- Begin function _ZN7rocprim17ROCPRIM_400000_NS6detail17trampoline_kernelINS0_13select_configILj256ELj13ELNS0_17block_load_methodE3ELS4_3ELS4_3ELNS0_20block_scan_algorithmE0ELj4294967295EEENS1_25partition_config_selectorILNS1_17partition_subalgoE4EjNS0_10empty_typeEbEEZZNS1_14partition_implILS8_4ELb0ES6_15HIP_vector_typeIjLj2EENS0_17counting_iteratorIjlEEPS9_SG_NS0_5tupleIJPjSI_NS0_16reverse_iteratorISI_EEEEENSH_IJSG_SG_SG_EEES9_SI_JZNS1_25segmented_radix_sort_implINS0_14default_configELb1EPKbPbPKlPlN2at6native12_GLOBAL__N_18offset_tEEE10hipError_tPvRmT1_PNSt15iterator_traitsIS12_E10value_typeET2_T3_PNS13_IS18_E10value_typeET4_jRbjT5_S1E_jjP12ihipStream_tbEUljE_ZNSN_ISO_Lb1ESQ_SR_ST_SU_SY_EESZ_S10_S11_S12_S16_S17_S18_S1B_S1C_jS1D_jS1E_S1E_jjS1G_bEUljE0_EEESZ_S10_S11_S18_S1C_S1E_T6_T7_T9_mT8_S1G_bDpT10_ENKUlT_T0_E_clISt17integral_constantIbLb0EES1T_IbLb1EEEEDaS1P_S1Q_EUlS1P_E_NS1_11comp_targetILNS1_3genE2ELNS1_11target_archE906ELNS1_3gpuE6ELNS1_3repE0EEENS1_30default_config_static_selectorELNS0_4arch9wavefront6targetE0EEEvS12_
	.p2align	8
	.type	_ZN7rocprim17ROCPRIM_400000_NS6detail17trampoline_kernelINS0_13select_configILj256ELj13ELNS0_17block_load_methodE3ELS4_3ELS4_3ELNS0_20block_scan_algorithmE0ELj4294967295EEENS1_25partition_config_selectorILNS1_17partition_subalgoE4EjNS0_10empty_typeEbEEZZNS1_14partition_implILS8_4ELb0ES6_15HIP_vector_typeIjLj2EENS0_17counting_iteratorIjlEEPS9_SG_NS0_5tupleIJPjSI_NS0_16reverse_iteratorISI_EEEEENSH_IJSG_SG_SG_EEES9_SI_JZNS1_25segmented_radix_sort_implINS0_14default_configELb1EPKbPbPKlPlN2at6native12_GLOBAL__N_18offset_tEEE10hipError_tPvRmT1_PNSt15iterator_traitsIS12_E10value_typeET2_T3_PNS13_IS18_E10value_typeET4_jRbjT5_S1E_jjP12ihipStream_tbEUljE_ZNSN_ISO_Lb1ESQ_SR_ST_SU_SY_EESZ_S10_S11_S12_S16_S17_S18_S1B_S1C_jS1D_jS1E_S1E_jjS1G_bEUljE0_EEESZ_S10_S11_S18_S1C_S1E_T6_T7_T9_mT8_S1G_bDpT10_ENKUlT_T0_E_clISt17integral_constantIbLb0EES1T_IbLb1EEEEDaS1P_S1Q_EUlS1P_E_NS1_11comp_targetILNS1_3genE2ELNS1_11target_archE906ELNS1_3gpuE6ELNS1_3repE0EEENS1_30default_config_static_selectorELNS0_4arch9wavefront6targetE0EEEvS12_,@function
_ZN7rocprim17ROCPRIM_400000_NS6detail17trampoline_kernelINS0_13select_configILj256ELj13ELNS0_17block_load_methodE3ELS4_3ELS4_3ELNS0_20block_scan_algorithmE0ELj4294967295EEENS1_25partition_config_selectorILNS1_17partition_subalgoE4EjNS0_10empty_typeEbEEZZNS1_14partition_implILS8_4ELb0ES6_15HIP_vector_typeIjLj2EENS0_17counting_iteratorIjlEEPS9_SG_NS0_5tupleIJPjSI_NS0_16reverse_iteratorISI_EEEEENSH_IJSG_SG_SG_EEES9_SI_JZNS1_25segmented_radix_sort_implINS0_14default_configELb1EPKbPbPKlPlN2at6native12_GLOBAL__N_18offset_tEEE10hipError_tPvRmT1_PNSt15iterator_traitsIS12_E10value_typeET2_T3_PNS13_IS18_E10value_typeET4_jRbjT5_S1E_jjP12ihipStream_tbEUljE_ZNSN_ISO_Lb1ESQ_SR_ST_SU_SY_EESZ_S10_S11_S12_S16_S17_S18_S1B_S1C_jS1D_jS1E_S1E_jjS1G_bEUljE0_EEESZ_S10_S11_S18_S1C_S1E_T6_T7_T9_mT8_S1G_bDpT10_ENKUlT_T0_E_clISt17integral_constantIbLb0EES1T_IbLb1EEEEDaS1P_S1Q_EUlS1P_E_NS1_11comp_targetILNS1_3genE2ELNS1_11target_archE906ELNS1_3gpuE6ELNS1_3repE0EEENS1_30default_config_static_selectorELNS0_4arch9wavefront6targetE0EEEvS12_: ; @_ZN7rocprim17ROCPRIM_400000_NS6detail17trampoline_kernelINS0_13select_configILj256ELj13ELNS0_17block_load_methodE3ELS4_3ELS4_3ELNS0_20block_scan_algorithmE0ELj4294967295EEENS1_25partition_config_selectorILNS1_17partition_subalgoE4EjNS0_10empty_typeEbEEZZNS1_14partition_implILS8_4ELb0ES6_15HIP_vector_typeIjLj2EENS0_17counting_iteratorIjlEEPS9_SG_NS0_5tupleIJPjSI_NS0_16reverse_iteratorISI_EEEEENSH_IJSG_SG_SG_EEES9_SI_JZNS1_25segmented_radix_sort_implINS0_14default_configELb1EPKbPbPKlPlN2at6native12_GLOBAL__N_18offset_tEEE10hipError_tPvRmT1_PNSt15iterator_traitsIS12_E10value_typeET2_T3_PNS13_IS18_E10value_typeET4_jRbjT5_S1E_jjP12ihipStream_tbEUljE_ZNSN_ISO_Lb1ESQ_SR_ST_SU_SY_EESZ_S10_S11_S12_S16_S17_S18_S1B_S1C_jS1D_jS1E_S1E_jjS1G_bEUljE0_EEESZ_S10_S11_S18_S1C_S1E_T6_T7_T9_mT8_S1G_bDpT10_ENKUlT_T0_E_clISt17integral_constantIbLb0EES1T_IbLb1EEEEDaS1P_S1Q_EUlS1P_E_NS1_11comp_targetILNS1_3genE2ELNS1_11target_archE906ELNS1_3gpuE6ELNS1_3repE0EEENS1_30default_config_static_selectorELNS0_4arch9wavefront6targetE0EEEvS12_
; %bb.0:
	.section	.rodata,"a",@progbits
	.p2align	6, 0x0
	.amdhsa_kernel _ZN7rocprim17ROCPRIM_400000_NS6detail17trampoline_kernelINS0_13select_configILj256ELj13ELNS0_17block_load_methodE3ELS4_3ELS4_3ELNS0_20block_scan_algorithmE0ELj4294967295EEENS1_25partition_config_selectorILNS1_17partition_subalgoE4EjNS0_10empty_typeEbEEZZNS1_14partition_implILS8_4ELb0ES6_15HIP_vector_typeIjLj2EENS0_17counting_iteratorIjlEEPS9_SG_NS0_5tupleIJPjSI_NS0_16reverse_iteratorISI_EEEEENSH_IJSG_SG_SG_EEES9_SI_JZNS1_25segmented_radix_sort_implINS0_14default_configELb1EPKbPbPKlPlN2at6native12_GLOBAL__N_18offset_tEEE10hipError_tPvRmT1_PNSt15iterator_traitsIS12_E10value_typeET2_T3_PNS13_IS18_E10value_typeET4_jRbjT5_S1E_jjP12ihipStream_tbEUljE_ZNSN_ISO_Lb1ESQ_SR_ST_SU_SY_EESZ_S10_S11_S12_S16_S17_S18_S1B_S1C_jS1D_jS1E_S1E_jjS1G_bEUljE0_EEESZ_S10_S11_S18_S1C_S1E_T6_T7_T9_mT8_S1G_bDpT10_ENKUlT_T0_E_clISt17integral_constantIbLb0EES1T_IbLb1EEEEDaS1P_S1Q_EUlS1P_E_NS1_11comp_targetILNS1_3genE2ELNS1_11target_archE906ELNS1_3gpuE6ELNS1_3repE0EEENS1_30default_config_static_selectorELNS0_4arch9wavefront6targetE0EEEvS12_
		.amdhsa_group_segment_fixed_size 0
		.amdhsa_private_segment_fixed_size 0
		.amdhsa_kernarg_size 184
		.amdhsa_user_sgpr_count 6
		.amdhsa_user_sgpr_private_segment_buffer 1
		.amdhsa_user_sgpr_dispatch_ptr 0
		.amdhsa_user_sgpr_queue_ptr 0
		.amdhsa_user_sgpr_kernarg_segment_ptr 1
		.amdhsa_user_sgpr_dispatch_id 0
		.amdhsa_user_sgpr_flat_scratch_init 0
		.amdhsa_user_sgpr_private_segment_size 0
		.amdhsa_wavefront_size32 1
		.amdhsa_uses_dynamic_stack 0
		.amdhsa_system_sgpr_private_segment_wavefront_offset 0
		.amdhsa_system_sgpr_workgroup_id_x 1
		.amdhsa_system_sgpr_workgroup_id_y 0
		.amdhsa_system_sgpr_workgroup_id_z 0
		.amdhsa_system_sgpr_workgroup_info 0
		.amdhsa_system_vgpr_workitem_id 0
		.amdhsa_next_free_vgpr 1
		.amdhsa_next_free_sgpr 1
		.amdhsa_reserve_vcc 0
		.amdhsa_reserve_flat_scratch 0
		.amdhsa_float_round_mode_32 0
		.amdhsa_float_round_mode_16_64 0
		.amdhsa_float_denorm_mode_32 3
		.amdhsa_float_denorm_mode_16_64 3
		.amdhsa_dx10_clamp 1
		.amdhsa_ieee_mode 1
		.amdhsa_fp16_overflow 0
		.amdhsa_workgroup_processor_mode 1
		.amdhsa_memory_ordered 1
		.amdhsa_forward_progress 1
		.amdhsa_shared_vgpr_count 0
		.amdhsa_exception_fp_ieee_invalid_op 0
		.amdhsa_exception_fp_denorm_src 0
		.amdhsa_exception_fp_ieee_div_zero 0
		.amdhsa_exception_fp_ieee_overflow 0
		.amdhsa_exception_fp_ieee_underflow 0
		.amdhsa_exception_fp_ieee_inexact 0
		.amdhsa_exception_int_div_zero 0
	.end_amdhsa_kernel
	.section	.text._ZN7rocprim17ROCPRIM_400000_NS6detail17trampoline_kernelINS0_13select_configILj256ELj13ELNS0_17block_load_methodE3ELS4_3ELS4_3ELNS0_20block_scan_algorithmE0ELj4294967295EEENS1_25partition_config_selectorILNS1_17partition_subalgoE4EjNS0_10empty_typeEbEEZZNS1_14partition_implILS8_4ELb0ES6_15HIP_vector_typeIjLj2EENS0_17counting_iteratorIjlEEPS9_SG_NS0_5tupleIJPjSI_NS0_16reverse_iteratorISI_EEEEENSH_IJSG_SG_SG_EEES9_SI_JZNS1_25segmented_radix_sort_implINS0_14default_configELb1EPKbPbPKlPlN2at6native12_GLOBAL__N_18offset_tEEE10hipError_tPvRmT1_PNSt15iterator_traitsIS12_E10value_typeET2_T3_PNS13_IS18_E10value_typeET4_jRbjT5_S1E_jjP12ihipStream_tbEUljE_ZNSN_ISO_Lb1ESQ_SR_ST_SU_SY_EESZ_S10_S11_S12_S16_S17_S18_S1B_S1C_jS1D_jS1E_S1E_jjS1G_bEUljE0_EEESZ_S10_S11_S18_S1C_S1E_T6_T7_T9_mT8_S1G_bDpT10_ENKUlT_T0_E_clISt17integral_constantIbLb0EES1T_IbLb1EEEEDaS1P_S1Q_EUlS1P_E_NS1_11comp_targetILNS1_3genE2ELNS1_11target_archE906ELNS1_3gpuE6ELNS1_3repE0EEENS1_30default_config_static_selectorELNS0_4arch9wavefront6targetE0EEEvS12_,"axG",@progbits,_ZN7rocprim17ROCPRIM_400000_NS6detail17trampoline_kernelINS0_13select_configILj256ELj13ELNS0_17block_load_methodE3ELS4_3ELS4_3ELNS0_20block_scan_algorithmE0ELj4294967295EEENS1_25partition_config_selectorILNS1_17partition_subalgoE4EjNS0_10empty_typeEbEEZZNS1_14partition_implILS8_4ELb0ES6_15HIP_vector_typeIjLj2EENS0_17counting_iteratorIjlEEPS9_SG_NS0_5tupleIJPjSI_NS0_16reverse_iteratorISI_EEEEENSH_IJSG_SG_SG_EEES9_SI_JZNS1_25segmented_radix_sort_implINS0_14default_configELb1EPKbPbPKlPlN2at6native12_GLOBAL__N_18offset_tEEE10hipError_tPvRmT1_PNSt15iterator_traitsIS12_E10value_typeET2_T3_PNS13_IS18_E10value_typeET4_jRbjT5_S1E_jjP12ihipStream_tbEUljE_ZNSN_ISO_Lb1ESQ_SR_ST_SU_SY_EESZ_S10_S11_S12_S16_S17_S18_S1B_S1C_jS1D_jS1E_S1E_jjS1G_bEUljE0_EEESZ_S10_S11_S18_S1C_S1E_T6_T7_T9_mT8_S1G_bDpT10_ENKUlT_T0_E_clISt17integral_constantIbLb0EES1T_IbLb1EEEEDaS1P_S1Q_EUlS1P_E_NS1_11comp_targetILNS1_3genE2ELNS1_11target_archE906ELNS1_3gpuE6ELNS1_3repE0EEENS1_30default_config_static_selectorELNS0_4arch9wavefront6targetE0EEEvS12_,comdat
.Lfunc_end1488:
	.size	_ZN7rocprim17ROCPRIM_400000_NS6detail17trampoline_kernelINS0_13select_configILj256ELj13ELNS0_17block_load_methodE3ELS4_3ELS4_3ELNS0_20block_scan_algorithmE0ELj4294967295EEENS1_25partition_config_selectorILNS1_17partition_subalgoE4EjNS0_10empty_typeEbEEZZNS1_14partition_implILS8_4ELb0ES6_15HIP_vector_typeIjLj2EENS0_17counting_iteratorIjlEEPS9_SG_NS0_5tupleIJPjSI_NS0_16reverse_iteratorISI_EEEEENSH_IJSG_SG_SG_EEES9_SI_JZNS1_25segmented_radix_sort_implINS0_14default_configELb1EPKbPbPKlPlN2at6native12_GLOBAL__N_18offset_tEEE10hipError_tPvRmT1_PNSt15iterator_traitsIS12_E10value_typeET2_T3_PNS13_IS18_E10value_typeET4_jRbjT5_S1E_jjP12ihipStream_tbEUljE_ZNSN_ISO_Lb1ESQ_SR_ST_SU_SY_EESZ_S10_S11_S12_S16_S17_S18_S1B_S1C_jS1D_jS1E_S1E_jjS1G_bEUljE0_EEESZ_S10_S11_S18_S1C_S1E_T6_T7_T9_mT8_S1G_bDpT10_ENKUlT_T0_E_clISt17integral_constantIbLb0EES1T_IbLb1EEEEDaS1P_S1Q_EUlS1P_E_NS1_11comp_targetILNS1_3genE2ELNS1_11target_archE906ELNS1_3gpuE6ELNS1_3repE0EEENS1_30default_config_static_selectorELNS0_4arch9wavefront6targetE0EEEvS12_, .Lfunc_end1488-_ZN7rocprim17ROCPRIM_400000_NS6detail17trampoline_kernelINS0_13select_configILj256ELj13ELNS0_17block_load_methodE3ELS4_3ELS4_3ELNS0_20block_scan_algorithmE0ELj4294967295EEENS1_25partition_config_selectorILNS1_17partition_subalgoE4EjNS0_10empty_typeEbEEZZNS1_14partition_implILS8_4ELb0ES6_15HIP_vector_typeIjLj2EENS0_17counting_iteratorIjlEEPS9_SG_NS0_5tupleIJPjSI_NS0_16reverse_iteratorISI_EEEEENSH_IJSG_SG_SG_EEES9_SI_JZNS1_25segmented_radix_sort_implINS0_14default_configELb1EPKbPbPKlPlN2at6native12_GLOBAL__N_18offset_tEEE10hipError_tPvRmT1_PNSt15iterator_traitsIS12_E10value_typeET2_T3_PNS13_IS18_E10value_typeET4_jRbjT5_S1E_jjP12ihipStream_tbEUljE_ZNSN_ISO_Lb1ESQ_SR_ST_SU_SY_EESZ_S10_S11_S12_S16_S17_S18_S1B_S1C_jS1D_jS1E_S1E_jjS1G_bEUljE0_EEESZ_S10_S11_S18_S1C_S1E_T6_T7_T9_mT8_S1G_bDpT10_ENKUlT_T0_E_clISt17integral_constantIbLb0EES1T_IbLb1EEEEDaS1P_S1Q_EUlS1P_E_NS1_11comp_targetILNS1_3genE2ELNS1_11target_archE906ELNS1_3gpuE6ELNS1_3repE0EEENS1_30default_config_static_selectorELNS0_4arch9wavefront6targetE0EEEvS12_
                                        ; -- End function
	.set _ZN7rocprim17ROCPRIM_400000_NS6detail17trampoline_kernelINS0_13select_configILj256ELj13ELNS0_17block_load_methodE3ELS4_3ELS4_3ELNS0_20block_scan_algorithmE0ELj4294967295EEENS1_25partition_config_selectorILNS1_17partition_subalgoE4EjNS0_10empty_typeEbEEZZNS1_14partition_implILS8_4ELb0ES6_15HIP_vector_typeIjLj2EENS0_17counting_iteratorIjlEEPS9_SG_NS0_5tupleIJPjSI_NS0_16reverse_iteratorISI_EEEEENSH_IJSG_SG_SG_EEES9_SI_JZNS1_25segmented_radix_sort_implINS0_14default_configELb1EPKbPbPKlPlN2at6native12_GLOBAL__N_18offset_tEEE10hipError_tPvRmT1_PNSt15iterator_traitsIS12_E10value_typeET2_T3_PNS13_IS18_E10value_typeET4_jRbjT5_S1E_jjP12ihipStream_tbEUljE_ZNSN_ISO_Lb1ESQ_SR_ST_SU_SY_EESZ_S10_S11_S12_S16_S17_S18_S1B_S1C_jS1D_jS1E_S1E_jjS1G_bEUljE0_EEESZ_S10_S11_S18_S1C_S1E_T6_T7_T9_mT8_S1G_bDpT10_ENKUlT_T0_E_clISt17integral_constantIbLb0EES1T_IbLb1EEEEDaS1P_S1Q_EUlS1P_E_NS1_11comp_targetILNS1_3genE2ELNS1_11target_archE906ELNS1_3gpuE6ELNS1_3repE0EEENS1_30default_config_static_selectorELNS0_4arch9wavefront6targetE0EEEvS12_.num_vgpr, 0
	.set _ZN7rocprim17ROCPRIM_400000_NS6detail17trampoline_kernelINS0_13select_configILj256ELj13ELNS0_17block_load_methodE3ELS4_3ELS4_3ELNS0_20block_scan_algorithmE0ELj4294967295EEENS1_25partition_config_selectorILNS1_17partition_subalgoE4EjNS0_10empty_typeEbEEZZNS1_14partition_implILS8_4ELb0ES6_15HIP_vector_typeIjLj2EENS0_17counting_iteratorIjlEEPS9_SG_NS0_5tupleIJPjSI_NS0_16reverse_iteratorISI_EEEEENSH_IJSG_SG_SG_EEES9_SI_JZNS1_25segmented_radix_sort_implINS0_14default_configELb1EPKbPbPKlPlN2at6native12_GLOBAL__N_18offset_tEEE10hipError_tPvRmT1_PNSt15iterator_traitsIS12_E10value_typeET2_T3_PNS13_IS18_E10value_typeET4_jRbjT5_S1E_jjP12ihipStream_tbEUljE_ZNSN_ISO_Lb1ESQ_SR_ST_SU_SY_EESZ_S10_S11_S12_S16_S17_S18_S1B_S1C_jS1D_jS1E_S1E_jjS1G_bEUljE0_EEESZ_S10_S11_S18_S1C_S1E_T6_T7_T9_mT8_S1G_bDpT10_ENKUlT_T0_E_clISt17integral_constantIbLb0EES1T_IbLb1EEEEDaS1P_S1Q_EUlS1P_E_NS1_11comp_targetILNS1_3genE2ELNS1_11target_archE906ELNS1_3gpuE6ELNS1_3repE0EEENS1_30default_config_static_selectorELNS0_4arch9wavefront6targetE0EEEvS12_.num_agpr, 0
	.set _ZN7rocprim17ROCPRIM_400000_NS6detail17trampoline_kernelINS0_13select_configILj256ELj13ELNS0_17block_load_methodE3ELS4_3ELS4_3ELNS0_20block_scan_algorithmE0ELj4294967295EEENS1_25partition_config_selectorILNS1_17partition_subalgoE4EjNS0_10empty_typeEbEEZZNS1_14partition_implILS8_4ELb0ES6_15HIP_vector_typeIjLj2EENS0_17counting_iteratorIjlEEPS9_SG_NS0_5tupleIJPjSI_NS0_16reverse_iteratorISI_EEEEENSH_IJSG_SG_SG_EEES9_SI_JZNS1_25segmented_radix_sort_implINS0_14default_configELb1EPKbPbPKlPlN2at6native12_GLOBAL__N_18offset_tEEE10hipError_tPvRmT1_PNSt15iterator_traitsIS12_E10value_typeET2_T3_PNS13_IS18_E10value_typeET4_jRbjT5_S1E_jjP12ihipStream_tbEUljE_ZNSN_ISO_Lb1ESQ_SR_ST_SU_SY_EESZ_S10_S11_S12_S16_S17_S18_S1B_S1C_jS1D_jS1E_S1E_jjS1G_bEUljE0_EEESZ_S10_S11_S18_S1C_S1E_T6_T7_T9_mT8_S1G_bDpT10_ENKUlT_T0_E_clISt17integral_constantIbLb0EES1T_IbLb1EEEEDaS1P_S1Q_EUlS1P_E_NS1_11comp_targetILNS1_3genE2ELNS1_11target_archE906ELNS1_3gpuE6ELNS1_3repE0EEENS1_30default_config_static_selectorELNS0_4arch9wavefront6targetE0EEEvS12_.numbered_sgpr, 0
	.set _ZN7rocprim17ROCPRIM_400000_NS6detail17trampoline_kernelINS0_13select_configILj256ELj13ELNS0_17block_load_methodE3ELS4_3ELS4_3ELNS0_20block_scan_algorithmE0ELj4294967295EEENS1_25partition_config_selectorILNS1_17partition_subalgoE4EjNS0_10empty_typeEbEEZZNS1_14partition_implILS8_4ELb0ES6_15HIP_vector_typeIjLj2EENS0_17counting_iteratorIjlEEPS9_SG_NS0_5tupleIJPjSI_NS0_16reverse_iteratorISI_EEEEENSH_IJSG_SG_SG_EEES9_SI_JZNS1_25segmented_radix_sort_implINS0_14default_configELb1EPKbPbPKlPlN2at6native12_GLOBAL__N_18offset_tEEE10hipError_tPvRmT1_PNSt15iterator_traitsIS12_E10value_typeET2_T3_PNS13_IS18_E10value_typeET4_jRbjT5_S1E_jjP12ihipStream_tbEUljE_ZNSN_ISO_Lb1ESQ_SR_ST_SU_SY_EESZ_S10_S11_S12_S16_S17_S18_S1B_S1C_jS1D_jS1E_S1E_jjS1G_bEUljE0_EEESZ_S10_S11_S18_S1C_S1E_T6_T7_T9_mT8_S1G_bDpT10_ENKUlT_T0_E_clISt17integral_constantIbLb0EES1T_IbLb1EEEEDaS1P_S1Q_EUlS1P_E_NS1_11comp_targetILNS1_3genE2ELNS1_11target_archE906ELNS1_3gpuE6ELNS1_3repE0EEENS1_30default_config_static_selectorELNS0_4arch9wavefront6targetE0EEEvS12_.num_named_barrier, 0
	.set _ZN7rocprim17ROCPRIM_400000_NS6detail17trampoline_kernelINS0_13select_configILj256ELj13ELNS0_17block_load_methodE3ELS4_3ELS4_3ELNS0_20block_scan_algorithmE0ELj4294967295EEENS1_25partition_config_selectorILNS1_17partition_subalgoE4EjNS0_10empty_typeEbEEZZNS1_14partition_implILS8_4ELb0ES6_15HIP_vector_typeIjLj2EENS0_17counting_iteratorIjlEEPS9_SG_NS0_5tupleIJPjSI_NS0_16reverse_iteratorISI_EEEEENSH_IJSG_SG_SG_EEES9_SI_JZNS1_25segmented_radix_sort_implINS0_14default_configELb1EPKbPbPKlPlN2at6native12_GLOBAL__N_18offset_tEEE10hipError_tPvRmT1_PNSt15iterator_traitsIS12_E10value_typeET2_T3_PNS13_IS18_E10value_typeET4_jRbjT5_S1E_jjP12ihipStream_tbEUljE_ZNSN_ISO_Lb1ESQ_SR_ST_SU_SY_EESZ_S10_S11_S12_S16_S17_S18_S1B_S1C_jS1D_jS1E_S1E_jjS1G_bEUljE0_EEESZ_S10_S11_S18_S1C_S1E_T6_T7_T9_mT8_S1G_bDpT10_ENKUlT_T0_E_clISt17integral_constantIbLb0EES1T_IbLb1EEEEDaS1P_S1Q_EUlS1P_E_NS1_11comp_targetILNS1_3genE2ELNS1_11target_archE906ELNS1_3gpuE6ELNS1_3repE0EEENS1_30default_config_static_selectorELNS0_4arch9wavefront6targetE0EEEvS12_.private_seg_size, 0
	.set _ZN7rocprim17ROCPRIM_400000_NS6detail17trampoline_kernelINS0_13select_configILj256ELj13ELNS0_17block_load_methodE3ELS4_3ELS4_3ELNS0_20block_scan_algorithmE0ELj4294967295EEENS1_25partition_config_selectorILNS1_17partition_subalgoE4EjNS0_10empty_typeEbEEZZNS1_14partition_implILS8_4ELb0ES6_15HIP_vector_typeIjLj2EENS0_17counting_iteratorIjlEEPS9_SG_NS0_5tupleIJPjSI_NS0_16reverse_iteratorISI_EEEEENSH_IJSG_SG_SG_EEES9_SI_JZNS1_25segmented_radix_sort_implINS0_14default_configELb1EPKbPbPKlPlN2at6native12_GLOBAL__N_18offset_tEEE10hipError_tPvRmT1_PNSt15iterator_traitsIS12_E10value_typeET2_T3_PNS13_IS18_E10value_typeET4_jRbjT5_S1E_jjP12ihipStream_tbEUljE_ZNSN_ISO_Lb1ESQ_SR_ST_SU_SY_EESZ_S10_S11_S12_S16_S17_S18_S1B_S1C_jS1D_jS1E_S1E_jjS1G_bEUljE0_EEESZ_S10_S11_S18_S1C_S1E_T6_T7_T9_mT8_S1G_bDpT10_ENKUlT_T0_E_clISt17integral_constantIbLb0EES1T_IbLb1EEEEDaS1P_S1Q_EUlS1P_E_NS1_11comp_targetILNS1_3genE2ELNS1_11target_archE906ELNS1_3gpuE6ELNS1_3repE0EEENS1_30default_config_static_selectorELNS0_4arch9wavefront6targetE0EEEvS12_.uses_vcc, 0
	.set _ZN7rocprim17ROCPRIM_400000_NS6detail17trampoline_kernelINS0_13select_configILj256ELj13ELNS0_17block_load_methodE3ELS4_3ELS4_3ELNS0_20block_scan_algorithmE0ELj4294967295EEENS1_25partition_config_selectorILNS1_17partition_subalgoE4EjNS0_10empty_typeEbEEZZNS1_14partition_implILS8_4ELb0ES6_15HIP_vector_typeIjLj2EENS0_17counting_iteratorIjlEEPS9_SG_NS0_5tupleIJPjSI_NS0_16reverse_iteratorISI_EEEEENSH_IJSG_SG_SG_EEES9_SI_JZNS1_25segmented_radix_sort_implINS0_14default_configELb1EPKbPbPKlPlN2at6native12_GLOBAL__N_18offset_tEEE10hipError_tPvRmT1_PNSt15iterator_traitsIS12_E10value_typeET2_T3_PNS13_IS18_E10value_typeET4_jRbjT5_S1E_jjP12ihipStream_tbEUljE_ZNSN_ISO_Lb1ESQ_SR_ST_SU_SY_EESZ_S10_S11_S12_S16_S17_S18_S1B_S1C_jS1D_jS1E_S1E_jjS1G_bEUljE0_EEESZ_S10_S11_S18_S1C_S1E_T6_T7_T9_mT8_S1G_bDpT10_ENKUlT_T0_E_clISt17integral_constantIbLb0EES1T_IbLb1EEEEDaS1P_S1Q_EUlS1P_E_NS1_11comp_targetILNS1_3genE2ELNS1_11target_archE906ELNS1_3gpuE6ELNS1_3repE0EEENS1_30default_config_static_selectorELNS0_4arch9wavefront6targetE0EEEvS12_.uses_flat_scratch, 0
	.set _ZN7rocprim17ROCPRIM_400000_NS6detail17trampoline_kernelINS0_13select_configILj256ELj13ELNS0_17block_load_methodE3ELS4_3ELS4_3ELNS0_20block_scan_algorithmE0ELj4294967295EEENS1_25partition_config_selectorILNS1_17partition_subalgoE4EjNS0_10empty_typeEbEEZZNS1_14partition_implILS8_4ELb0ES6_15HIP_vector_typeIjLj2EENS0_17counting_iteratorIjlEEPS9_SG_NS0_5tupleIJPjSI_NS0_16reverse_iteratorISI_EEEEENSH_IJSG_SG_SG_EEES9_SI_JZNS1_25segmented_radix_sort_implINS0_14default_configELb1EPKbPbPKlPlN2at6native12_GLOBAL__N_18offset_tEEE10hipError_tPvRmT1_PNSt15iterator_traitsIS12_E10value_typeET2_T3_PNS13_IS18_E10value_typeET4_jRbjT5_S1E_jjP12ihipStream_tbEUljE_ZNSN_ISO_Lb1ESQ_SR_ST_SU_SY_EESZ_S10_S11_S12_S16_S17_S18_S1B_S1C_jS1D_jS1E_S1E_jjS1G_bEUljE0_EEESZ_S10_S11_S18_S1C_S1E_T6_T7_T9_mT8_S1G_bDpT10_ENKUlT_T0_E_clISt17integral_constantIbLb0EES1T_IbLb1EEEEDaS1P_S1Q_EUlS1P_E_NS1_11comp_targetILNS1_3genE2ELNS1_11target_archE906ELNS1_3gpuE6ELNS1_3repE0EEENS1_30default_config_static_selectorELNS0_4arch9wavefront6targetE0EEEvS12_.has_dyn_sized_stack, 0
	.set _ZN7rocprim17ROCPRIM_400000_NS6detail17trampoline_kernelINS0_13select_configILj256ELj13ELNS0_17block_load_methodE3ELS4_3ELS4_3ELNS0_20block_scan_algorithmE0ELj4294967295EEENS1_25partition_config_selectorILNS1_17partition_subalgoE4EjNS0_10empty_typeEbEEZZNS1_14partition_implILS8_4ELb0ES6_15HIP_vector_typeIjLj2EENS0_17counting_iteratorIjlEEPS9_SG_NS0_5tupleIJPjSI_NS0_16reverse_iteratorISI_EEEEENSH_IJSG_SG_SG_EEES9_SI_JZNS1_25segmented_radix_sort_implINS0_14default_configELb1EPKbPbPKlPlN2at6native12_GLOBAL__N_18offset_tEEE10hipError_tPvRmT1_PNSt15iterator_traitsIS12_E10value_typeET2_T3_PNS13_IS18_E10value_typeET4_jRbjT5_S1E_jjP12ihipStream_tbEUljE_ZNSN_ISO_Lb1ESQ_SR_ST_SU_SY_EESZ_S10_S11_S12_S16_S17_S18_S1B_S1C_jS1D_jS1E_S1E_jjS1G_bEUljE0_EEESZ_S10_S11_S18_S1C_S1E_T6_T7_T9_mT8_S1G_bDpT10_ENKUlT_T0_E_clISt17integral_constantIbLb0EES1T_IbLb1EEEEDaS1P_S1Q_EUlS1P_E_NS1_11comp_targetILNS1_3genE2ELNS1_11target_archE906ELNS1_3gpuE6ELNS1_3repE0EEENS1_30default_config_static_selectorELNS0_4arch9wavefront6targetE0EEEvS12_.has_recursion, 0
	.set _ZN7rocprim17ROCPRIM_400000_NS6detail17trampoline_kernelINS0_13select_configILj256ELj13ELNS0_17block_load_methodE3ELS4_3ELS4_3ELNS0_20block_scan_algorithmE0ELj4294967295EEENS1_25partition_config_selectorILNS1_17partition_subalgoE4EjNS0_10empty_typeEbEEZZNS1_14partition_implILS8_4ELb0ES6_15HIP_vector_typeIjLj2EENS0_17counting_iteratorIjlEEPS9_SG_NS0_5tupleIJPjSI_NS0_16reverse_iteratorISI_EEEEENSH_IJSG_SG_SG_EEES9_SI_JZNS1_25segmented_radix_sort_implINS0_14default_configELb1EPKbPbPKlPlN2at6native12_GLOBAL__N_18offset_tEEE10hipError_tPvRmT1_PNSt15iterator_traitsIS12_E10value_typeET2_T3_PNS13_IS18_E10value_typeET4_jRbjT5_S1E_jjP12ihipStream_tbEUljE_ZNSN_ISO_Lb1ESQ_SR_ST_SU_SY_EESZ_S10_S11_S12_S16_S17_S18_S1B_S1C_jS1D_jS1E_S1E_jjS1G_bEUljE0_EEESZ_S10_S11_S18_S1C_S1E_T6_T7_T9_mT8_S1G_bDpT10_ENKUlT_T0_E_clISt17integral_constantIbLb0EES1T_IbLb1EEEEDaS1P_S1Q_EUlS1P_E_NS1_11comp_targetILNS1_3genE2ELNS1_11target_archE906ELNS1_3gpuE6ELNS1_3repE0EEENS1_30default_config_static_selectorELNS0_4arch9wavefront6targetE0EEEvS12_.has_indirect_call, 0
	.section	.AMDGPU.csdata,"",@progbits
; Kernel info:
; codeLenInByte = 0
; TotalNumSgprs: 0
; NumVgprs: 0
; ScratchSize: 0
; MemoryBound: 0
; FloatMode: 240
; IeeeMode: 1
; LDSByteSize: 0 bytes/workgroup (compile time only)
; SGPRBlocks: 0
; VGPRBlocks: 0
; NumSGPRsForWavesPerEU: 1
; NumVGPRsForWavesPerEU: 1
; Occupancy: 16
; WaveLimiterHint : 0
; COMPUTE_PGM_RSRC2:SCRATCH_EN: 0
; COMPUTE_PGM_RSRC2:USER_SGPR: 6
; COMPUTE_PGM_RSRC2:TRAP_HANDLER: 0
; COMPUTE_PGM_RSRC2:TGID_X_EN: 1
; COMPUTE_PGM_RSRC2:TGID_Y_EN: 0
; COMPUTE_PGM_RSRC2:TGID_Z_EN: 0
; COMPUTE_PGM_RSRC2:TIDIG_COMP_CNT: 0
	.section	.text._ZN7rocprim17ROCPRIM_400000_NS6detail17trampoline_kernelINS0_13select_configILj256ELj13ELNS0_17block_load_methodE3ELS4_3ELS4_3ELNS0_20block_scan_algorithmE0ELj4294967295EEENS1_25partition_config_selectorILNS1_17partition_subalgoE4EjNS0_10empty_typeEbEEZZNS1_14partition_implILS8_4ELb0ES6_15HIP_vector_typeIjLj2EENS0_17counting_iteratorIjlEEPS9_SG_NS0_5tupleIJPjSI_NS0_16reverse_iteratorISI_EEEEENSH_IJSG_SG_SG_EEES9_SI_JZNS1_25segmented_radix_sort_implINS0_14default_configELb1EPKbPbPKlPlN2at6native12_GLOBAL__N_18offset_tEEE10hipError_tPvRmT1_PNSt15iterator_traitsIS12_E10value_typeET2_T3_PNS13_IS18_E10value_typeET4_jRbjT5_S1E_jjP12ihipStream_tbEUljE_ZNSN_ISO_Lb1ESQ_SR_ST_SU_SY_EESZ_S10_S11_S12_S16_S17_S18_S1B_S1C_jS1D_jS1E_S1E_jjS1G_bEUljE0_EEESZ_S10_S11_S18_S1C_S1E_T6_T7_T9_mT8_S1G_bDpT10_ENKUlT_T0_E_clISt17integral_constantIbLb0EES1T_IbLb1EEEEDaS1P_S1Q_EUlS1P_E_NS1_11comp_targetILNS1_3genE10ELNS1_11target_archE1200ELNS1_3gpuE4ELNS1_3repE0EEENS1_30default_config_static_selectorELNS0_4arch9wavefront6targetE0EEEvS12_,"axG",@progbits,_ZN7rocprim17ROCPRIM_400000_NS6detail17trampoline_kernelINS0_13select_configILj256ELj13ELNS0_17block_load_methodE3ELS4_3ELS4_3ELNS0_20block_scan_algorithmE0ELj4294967295EEENS1_25partition_config_selectorILNS1_17partition_subalgoE4EjNS0_10empty_typeEbEEZZNS1_14partition_implILS8_4ELb0ES6_15HIP_vector_typeIjLj2EENS0_17counting_iteratorIjlEEPS9_SG_NS0_5tupleIJPjSI_NS0_16reverse_iteratorISI_EEEEENSH_IJSG_SG_SG_EEES9_SI_JZNS1_25segmented_radix_sort_implINS0_14default_configELb1EPKbPbPKlPlN2at6native12_GLOBAL__N_18offset_tEEE10hipError_tPvRmT1_PNSt15iterator_traitsIS12_E10value_typeET2_T3_PNS13_IS18_E10value_typeET4_jRbjT5_S1E_jjP12ihipStream_tbEUljE_ZNSN_ISO_Lb1ESQ_SR_ST_SU_SY_EESZ_S10_S11_S12_S16_S17_S18_S1B_S1C_jS1D_jS1E_S1E_jjS1G_bEUljE0_EEESZ_S10_S11_S18_S1C_S1E_T6_T7_T9_mT8_S1G_bDpT10_ENKUlT_T0_E_clISt17integral_constantIbLb0EES1T_IbLb1EEEEDaS1P_S1Q_EUlS1P_E_NS1_11comp_targetILNS1_3genE10ELNS1_11target_archE1200ELNS1_3gpuE4ELNS1_3repE0EEENS1_30default_config_static_selectorELNS0_4arch9wavefront6targetE0EEEvS12_,comdat
	.globl	_ZN7rocprim17ROCPRIM_400000_NS6detail17trampoline_kernelINS0_13select_configILj256ELj13ELNS0_17block_load_methodE3ELS4_3ELS4_3ELNS0_20block_scan_algorithmE0ELj4294967295EEENS1_25partition_config_selectorILNS1_17partition_subalgoE4EjNS0_10empty_typeEbEEZZNS1_14partition_implILS8_4ELb0ES6_15HIP_vector_typeIjLj2EENS0_17counting_iteratorIjlEEPS9_SG_NS0_5tupleIJPjSI_NS0_16reverse_iteratorISI_EEEEENSH_IJSG_SG_SG_EEES9_SI_JZNS1_25segmented_radix_sort_implINS0_14default_configELb1EPKbPbPKlPlN2at6native12_GLOBAL__N_18offset_tEEE10hipError_tPvRmT1_PNSt15iterator_traitsIS12_E10value_typeET2_T3_PNS13_IS18_E10value_typeET4_jRbjT5_S1E_jjP12ihipStream_tbEUljE_ZNSN_ISO_Lb1ESQ_SR_ST_SU_SY_EESZ_S10_S11_S12_S16_S17_S18_S1B_S1C_jS1D_jS1E_S1E_jjS1G_bEUljE0_EEESZ_S10_S11_S18_S1C_S1E_T6_T7_T9_mT8_S1G_bDpT10_ENKUlT_T0_E_clISt17integral_constantIbLb0EES1T_IbLb1EEEEDaS1P_S1Q_EUlS1P_E_NS1_11comp_targetILNS1_3genE10ELNS1_11target_archE1200ELNS1_3gpuE4ELNS1_3repE0EEENS1_30default_config_static_selectorELNS0_4arch9wavefront6targetE0EEEvS12_ ; -- Begin function _ZN7rocprim17ROCPRIM_400000_NS6detail17trampoline_kernelINS0_13select_configILj256ELj13ELNS0_17block_load_methodE3ELS4_3ELS4_3ELNS0_20block_scan_algorithmE0ELj4294967295EEENS1_25partition_config_selectorILNS1_17partition_subalgoE4EjNS0_10empty_typeEbEEZZNS1_14partition_implILS8_4ELb0ES6_15HIP_vector_typeIjLj2EENS0_17counting_iteratorIjlEEPS9_SG_NS0_5tupleIJPjSI_NS0_16reverse_iteratorISI_EEEEENSH_IJSG_SG_SG_EEES9_SI_JZNS1_25segmented_radix_sort_implINS0_14default_configELb1EPKbPbPKlPlN2at6native12_GLOBAL__N_18offset_tEEE10hipError_tPvRmT1_PNSt15iterator_traitsIS12_E10value_typeET2_T3_PNS13_IS18_E10value_typeET4_jRbjT5_S1E_jjP12ihipStream_tbEUljE_ZNSN_ISO_Lb1ESQ_SR_ST_SU_SY_EESZ_S10_S11_S12_S16_S17_S18_S1B_S1C_jS1D_jS1E_S1E_jjS1G_bEUljE0_EEESZ_S10_S11_S18_S1C_S1E_T6_T7_T9_mT8_S1G_bDpT10_ENKUlT_T0_E_clISt17integral_constantIbLb0EES1T_IbLb1EEEEDaS1P_S1Q_EUlS1P_E_NS1_11comp_targetILNS1_3genE10ELNS1_11target_archE1200ELNS1_3gpuE4ELNS1_3repE0EEENS1_30default_config_static_selectorELNS0_4arch9wavefront6targetE0EEEvS12_
	.p2align	8
	.type	_ZN7rocprim17ROCPRIM_400000_NS6detail17trampoline_kernelINS0_13select_configILj256ELj13ELNS0_17block_load_methodE3ELS4_3ELS4_3ELNS0_20block_scan_algorithmE0ELj4294967295EEENS1_25partition_config_selectorILNS1_17partition_subalgoE4EjNS0_10empty_typeEbEEZZNS1_14partition_implILS8_4ELb0ES6_15HIP_vector_typeIjLj2EENS0_17counting_iteratorIjlEEPS9_SG_NS0_5tupleIJPjSI_NS0_16reverse_iteratorISI_EEEEENSH_IJSG_SG_SG_EEES9_SI_JZNS1_25segmented_radix_sort_implINS0_14default_configELb1EPKbPbPKlPlN2at6native12_GLOBAL__N_18offset_tEEE10hipError_tPvRmT1_PNSt15iterator_traitsIS12_E10value_typeET2_T3_PNS13_IS18_E10value_typeET4_jRbjT5_S1E_jjP12ihipStream_tbEUljE_ZNSN_ISO_Lb1ESQ_SR_ST_SU_SY_EESZ_S10_S11_S12_S16_S17_S18_S1B_S1C_jS1D_jS1E_S1E_jjS1G_bEUljE0_EEESZ_S10_S11_S18_S1C_S1E_T6_T7_T9_mT8_S1G_bDpT10_ENKUlT_T0_E_clISt17integral_constantIbLb0EES1T_IbLb1EEEEDaS1P_S1Q_EUlS1P_E_NS1_11comp_targetILNS1_3genE10ELNS1_11target_archE1200ELNS1_3gpuE4ELNS1_3repE0EEENS1_30default_config_static_selectorELNS0_4arch9wavefront6targetE0EEEvS12_,@function
_ZN7rocprim17ROCPRIM_400000_NS6detail17trampoline_kernelINS0_13select_configILj256ELj13ELNS0_17block_load_methodE3ELS4_3ELS4_3ELNS0_20block_scan_algorithmE0ELj4294967295EEENS1_25partition_config_selectorILNS1_17partition_subalgoE4EjNS0_10empty_typeEbEEZZNS1_14partition_implILS8_4ELb0ES6_15HIP_vector_typeIjLj2EENS0_17counting_iteratorIjlEEPS9_SG_NS0_5tupleIJPjSI_NS0_16reverse_iteratorISI_EEEEENSH_IJSG_SG_SG_EEES9_SI_JZNS1_25segmented_radix_sort_implINS0_14default_configELb1EPKbPbPKlPlN2at6native12_GLOBAL__N_18offset_tEEE10hipError_tPvRmT1_PNSt15iterator_traitsIS12_E10value_typeET2_T3_PNS13_IS18_E10value_typeET4_jRbjT5_S1E_jjP12ihipStream_tbEUljE_ZNSN_ISO_Lb1ESQ_SR_ST_SU_SY_EESZ_S10_S11_S12_S16_S17_S18_S1B_S1C_jS1D_jS1E_S1E_jjS1G_bEUljE0_EEESZ_S10_S11_S18_S1C_S1E_T6_T7_T9_mT8_S1G_bDpT10_ENKUlT_T0_E_clISt17integral_constantIbLb0EES1T_IbLb1EEEEDaS1P_S1Q_EUlS1P_E_NS1_11comp_targetILNS1_3genE10ELNS1_11target_archE1200ELNS1_3gpuE4ELNS1_3repE0EEENS1_30default_config_static_selectorELNS0_4arch9wavefront6targetE0EEEvS12_: ; @_ZN7rocprim17ROCPRIM_400000_NS6detail17trampoline_kernelINS0_13select_configILj256ELj13ELNS0_17block_load_methodE3ELS4_3ELS4_3ELNS0_20block_scan_algorithmE0ELj4294967295EEENS1_25partition_config_selectorILNS1_17partition_subalgoE4EjNS0_10empty_typeEbEEZZNS1_14partition_implILS8_4ELb0ES6_15HIP_vector_typeIjLj2EENS0_17counting_iteratorIjlEEPS9_SG_NS0_5tupleIJPjSI_NS0_16reverse_iteratorISI_EEEEENSH_IJSG_SG_SG_EEES9_SI_JZNS1_25segmented_radix_sort_implINS0_14default_configELb1EPKbPbPKlPlN2at6native12_GLOBAL__N_18offset_tEEE10hipError_tPvRmT1_PNSt15iterator_traitsIS12_E10value_typeET2_T3_PNS13_IS18_E10value_typeET4_jRbjT5_S1E_jjP12ihipStream_tbEUljE_ZNSN_ISO_Lb1ESQ_SR_ST_SU_SY_EESZ_S10_S11_S12_S16_S17_S18_S1B_S1C_jS1D_jS1E_S1E_jjS1G_bEUljE0_EEESZ_S10_S11_S18_S1C_S1E_T6_T7_T9_mT8_S1G_bDpT10_ENKUlT_T0_E_clISt17integral_constantIbLb0EES1T_IbLb1EEEEDaS1P_S1Q_EUlS1P_E_NS1_11comp_targetILNS1_3genE10ELNS1_11target_archE1200ELNS1_3gpuE4ELNS1_3repE0EEENS1_30default_config_static_selectorELNS0_4arch9wavefront6targetE0EEEvS12_
; %bb.0:
	.section	.rodata,"a",@progbits
	.p2align	6, 0x0
	.amdhsa_kernel _ZN7rocprim17ROCPRIM_400000_NS6detail17trampoline_kernelINS0_13select_configILj256ELj13ELNS0_17block_load_methodE3ELS4_3ELS4_3ELNS0_20block_scan_algorithmE0ELj4294967295EEENS1_25partition_config_selectorILNS1_17partition_subalgoE4EjNS0_10empty_typeEbEEZZNS1_14partition_implILS8_4ELb0ES6_15HIP_vector_typeIjLj2EENS0_17counting_iteratorIjlEEPS9_SG_NS0_5tupleIJPjSI_NS0_16reverse_iteratorISI_EEEEENSH_IJSG_SG_SG_EEES9_SI_JZNS1_25segmented_radix_sort_implINS0_14default_configELb1EPKbPbPKlPlN2at6native12_GLOBAL__N_18offset_tEEE10hipError_tPvRmT1_PNSt15iterator_traitsIS12_E10value_typeET2_T3_PNS13_IS18_E10value_typeET4_jRbjT5_S1E_jjP12ihipStream_tbEUljE_ZNSN_ISO_Lb1ESQ_SR_ST_SU_SY_EESZ_S10_S11_S12_S16_S17_S18_S1B_S1C_jS1D_jS1E_S1E_jjS1G_bEUljE0_EEESZ_S10_S11_S18_S1C_S1E_T6_T7_T9_mT8_S1G_bDpT10_ENKUlT_T0_E_clISt17integral_constantIbLb0EES1T_IbLb1EEEEDaS1P_S1Q_EUlS1P_E_NS1_11comp_targetILNS1_3genE10ELNS1_11target_archE1200ELNS1_3gpuE4ELNS1_3repE0EEENS1_30default_config_static_selectorELNS0_4arch9wavefront6targetE0EEEvS12_
		.amdhsa_group_segment_fixed_size 0
		.amdhsa_private_segment_fixed_size 0
		.amdhsa_kernarg_size 184
		.amdhsa_user_sgpr_count 6
		.amdhsa_user_sgpr_private_segment_buffer 1
		.amdhsa_user_sgpr_dispatch_ptr 0
		.amdhsa_user_sgpr_queue_ptr 0
		.amdhsa_user_sgpr_kernarg_segment_ptr 1
		.amdhsa_user_sgpr_dispatch_id 0
		.amdhsa_user_sgpr_flat_scratch_init 0
		.amdhsa_user_sgpr_private_segment_size 0
		.amdhsa_wavefront_size32 1
		.amdhsa_uses_dynamic_stack 0
		.amdhsa_system_sgpr_private_segment_wavefront_offset 0
		.amdhsa_system_sgpr_workgroup_id_x 1
		.amdhsa_system_sgpr_workgroup_id_y 0
		.amdhsa_system_sgpr_workgroup_id_z 0
		.amdhsa_system_sgpr_workgroup_info 0
		.amdhsa_system_vgpr_workitem_id 0
		.amdhsa_next_free_vgpr 1
		.amdhsa_next_free_sgpr 1
		.amdhsa_reserve_vcc 0
		.amdhsa_reserve_flat_scratch 0
		.amdhsa_float_round_mode_32 0
		.amdhsa_float_round_mode_16_64 0
		.amdhsa_float_denorm_mode_32 3
		.amdhsa_float_denorm_mode_16_64 3
		.amdhsa_dx10_clamp 1
		.amdhsa_ieee_mode 1
		.amdhsa_fp16_overflow 0
		.amdhsa_workgroup_processor_mode 1
		.amdhsa_memory_ordered 1
		.amdhsa_forward_progress 1
		.amdhsa_shared_vgpr_count 0
		.amdhsa_exception_fp_ieee_invalid_op 0
		.amdhsa_exception_fp_denorm_src 0
		.amdhsa_exception_fp_ieee_div_zero 0
		.amdhsa_exception_fp_ieee_overflow 0
		.amdhsa_exception_fp_ieee_underflow 0
		.amdhsa_exception_fp_ieee_inexact 0
		.amdhsa_exception_int_div_zero 0
	.end_amdhsa_kernel
	.section	.text._ZN7rocprim17ROCPRIM_400000_NS6detail17trampoline_kernelINS0_13select_configILj256ELj13ELNS0_17block_load_methodE3ELS4_3ELS4_3ELNS0_20block_scan_algorithmE0ELj4294967295EEENS1_25partition_config_selectorILNS1_17partition_subalgoE4EjNS0_10empty_typeEbEEZZNS1_14partition_implILS8_4ELb0ES6_15HIP_vector_typeIjLj2EENS0_17counting_iteratorIjlEEPS9_SG_NS0_5tupleIJPjSI_NS0_16reverse_iteratorISI_EEEEENSH_IJSG_SG_SG_EEES9_SI_JZNS1_25segmented_radix_sort_implINS0_14default_configELb1EPKbPbPKlPlN2at6native12_GLOBAL__N_18offset_tEEE10hipError_tPvRmT1_PNSt15iterator_traitsIS12_E10value_typeET2_T3_PNS13_IS18_E10value_typeET4_jRbjT5_S1E_jjP12ihipStream_tbEUljE_ZNSN_ISO_Lb1ESQ_SR_ST_SU_SY_EESZ_S10_S11_S12_S16_S17_S18_S1B_S1C_jS1D_jS1E_S1E_jjS1G_bEUljE0_EEESZ_S10_S11_S18_S1C_S1E_T6_T7_T9_mT8_S1G_bDpT10_ENKUlT_T0_E_clISt17integral_constantIbLb0EES1T_IbLb1EEEEDaS1P_S1Q_EUlS1P_E_NS1_11comp_targetILNS1_3genE10ELNS1_11target_archE1200ELNS1_3gpuE4ELNS1_3repE0EEENS1_30default_config_static_selectorELNS0_4arch9wavefront6targetE0EEEvS12_,"axG",@progbits,_ZN7rocprim17ROCPRIM_400000_NS6detail17trampoline_kernelINS0_13select_configILj256ELj13ELNS0_17block_load_methodE3ELS4_3ELS4_3ELNS0_20block_scan_algorithmE0ELj4294967295EEENS1_25partition_config_selectorILNS1_17partition_subalgoE4EjNS0_10empty_typeEbEEZZNS1_14partition_implILS8_4ELb0ES6_15HIP_vector_typeIjLj2EENS0_17counting_iteratorIjlEEPS9_SG_NS0_5tupleIJPjSI_NS0_16reverse_iteratorISI_EEEEENSH_IJSG_SG_SG_EEES9_SI_JZNS1_25segmented_radix_sort_implINS0_14default_configELb1EPKbPbPKlPlN2at6native12_GLOBAL__N_18offset_tEEE10hipError_tPvRmT1_PNSt15iterator_traitsIS12_E10value_typeET2_T3_PNS13_IS18_E10value_typeET4_jRbjT5_S1E_jjP12ihipStream_tbEUljE_ZNSN_ISO_Lb1ESQ_SR_ST_SU_SY_EESZ_S10_S11_S12_S16_S17_S18_S1B_S1C_jS1D_jS1E_S1E_jjS1G_bEUljE0_EEESZ_S10_S11_S18_S1C_S1E_T6_T7_T9_mT8_S1G_bDpT10_ENKUlT_T0_E_clISt17integral_constantIbLb0EES1T_IbLb1EEEEDaS1P_S1Q_EUlS1P_E_NS1_11comp_targetILNS1_3genE10ELNS1_11target_archE1200ELNS1_3gpuE4ELNS1_3repE0EEENS1_30default_config_static_selectorELNS0_4arch9wavefront6targetE0EEEvS12_,comdat
.Lfunc_end1489:
	.size	_ZN7rocprim17ROCPRIM_400000_NS6detail17trampoline_kernelINS0_13select_configILj256ELj13ELNS0_17block_load_methodE3ELS4_3ELS4_3ELNS0_20block_scan_algorithmE0ELj4294967295EEENS1_25partition_config_selectorILNS1_17partition_subalgoE4EjNS0_10empty_typeEbEEZZNS1_14partition_implILS8_4ELb0ES6_15HIP_vector_typeIjLj2EENS0_17counting_iteratorIjlEEPS9_SG_NS0_5tupleIJPjSI_NS0_16reverse_iteratorISI_EEEEENSH_IJSG_SG_SG_EEES9_SI_JZNS1_25segmented_radix_sort_implINS0_14default_configELb1EPKbPbPKlPlN2at6native12_GLOBAL__N_18offset_tEEE10hipError_tPvRmT1_PNSt15iterator_traitsIS12_E10value_typeET2_T3_PNS13_IS18_E10value_typeET4_jRbjT5_S1E_jjP12ihipStream_tbEUljE_ZNSN_ISO_Lb1ESQ_SR_ST_SU_SY_EESZ_S10_S11_S12_S16_S17_S18_S1B_S1C_jS1D_jS1E_S1E_jjS1G_bEUljE0_EEESZ_S10_S11_S18_S1C_S1E_T6_T7_T9_mT8_S1G_bDpT10_ENKUlT_T0_E_clISt17integral_constantIbLb0EES1T_IbLb1EEEEDaS1P_S1Q_EUlS1P_E_NS1_11comp_targetILNS1_3genE10ELNS1_11target_archE1200ELNS1_3gpuE4ELNS1_3repE0EEENS1_30default_config_static_selectorELNS0_4arch9wavefront6targetE0EEEvS12_, .Lfunc_end1489-_ZN7rocprim17ROCPRIM_400000_NS6detail17trampoline_kernelINS0_13select_configILj256ELj13ELNS0_17block_load_methodE3ELS4_3ELS4_3ELNS0_20block_scan_algorithmE0ELj4294967295EEENS1_25partition_config_selectorILNS1_17partition_subalgoE4EjNS0_10empty_typeEbEEZZNS1_14partition_implILS8_4ELb0ES6_15HIP_vector_typeIjLj2EENS0_17counting_iteratorIjlEEPS9_SG_NS0_5tupleIJPjSI_NS0_16reverse_iteratorISI_EEEEENSH_IJSG_SG_SG_EEES9_SI_JZNS1_25segmented_radix_sort_implINS0_14default_configELb1EPKbPbPKlPlN2at6native12_GLOBAL__N_18offset_tEEE10hipError_tPvRmT1_PNSt15iterator_traitsIS12_E10value_typeET2_T3_PNS13_IS18_E10value_typeET4_jRbjT5_S1E_jjP12ihipStream_tbEUljE_ZNSN_ISO_Lb1ESQ_SR_ST_SU_SY_EESZ_S10_S11_S12_S16_S17_S18_S1B_S1C_jS1D_jS1E_S1E_jjS1G_bEUljE0_EEESZ_S10_S11_S18_S1C_S1E_T6_T7_T9_mT8_S1G_bDpT10_ENKUlT_T0_E_clISt17integral_constantIbLb0EES1T_IbLb1EEEEDaS1P_S1Q_EUlS1P_E_NS1_11comp_targetILNS1_3genE10ELNS1_11target_archE1200ELNS1_3gpuE4ELNS1_3repE0EEENS1_30default_config_static_selectorELNS0_4arch9wavefront6targetE0EEEvS12_
                                        ; -- End function
	.set _ZN7rocprim17ROCPRIM_400000_NS6detail17trampoline_kernelINS0_13select_configILj256ELj13ELNS0_17block_load_methodE3ELS4_3ELS4_3ELNS0_20block_scan_algorithmE0ELj4294967295EEENS1_25partition_config_selectorILNS1_17partition_subalgoE4EjNS0_10empty_typeEbEEZZNS1_14partition_implILS8_4ELb0ES6_15HIP_vector_typeIjLj2EENS0_17counting_iteratorIjlEEPS9_SG_NS0_5tupleIJPjSI_NS0_16reverse_iteratorISI_EEEEENSH_IJSG_SG_SG_EEES9_SI_JZNS1_25segmented_radix_sort_implINS0_14default_configELb1EPKbPbPKlPlN2at6native12_GLOBAL__N_18offset_tEEE10hipError_tPvRmT1_PNSt15iterator_traitsIS12_E10value_typeET2_T3_PNS13_IS18_E10value_typeET4_jRbjT5_S1E_jjP12ihipStream_tbEUljE_ZNSN_ISO_Lb1ESQ_SR_ST_SU_SY_EESZ_S10_S11_S12_S16_S17_S18_S1B_S1C_jS1D_jS1E_S1E_jjS1G_bEUljE0_EEESZ_S10_S11_S18_S1C_S1E_T6_T7_T9_mT8_S1G_bDpT10_ENKUlT_T0_E_clISt17integral_constantIbLb0EES1T_IbLb1EEEEDaS1P_S1Q_EUlS1P_E_NS1_11comp_targetILNS1_3genE10ELNS1_11target_archE1200ELNS1_3gpuE4ELNS1_3repE0EEENS1_30default_config_static_selectorELNS0_4arch9wavefront6targetE0EEEvS12_.num_vgpr, 0
	.set _ZN7rocprim17ROCPRIM_400000_NS6detail17trampoline_kernelINS0_13select_configILj256ELj13ELNS0_17block_load_methodE3ELS4_3ELS4_3ELNS0_20block_scan_algorithmE0ELj4294967295EEENS1_25partition_config_selectorILNS1_17partition_subalgoE4EjNS0_10empty_typeEbEEZZNS1_14partition_implILS8_4ELb0ES6_15HIP_vector_typeIjLj2EENS0_17counting_iteratorIjlEEPS9_SG_NS0_5tupleIJPjSI_NS0_16reverse_iteratorISI_EEEEENSH_IJSG_SG_SG_EEES9_SI_JZNS1_25segmented_radix_sort_implINS0_14default_configELb1EPKbPbPKlPlN2at6native12_GLOBAL__N_18offset_tEEE10hipError_tPvRmT1_PNSt15iterator_traitsIS12_E10value_typeET2_T3_PNS13_IS18_E10value_typeET4_jRbjT5_S1E_jjP12ihipStream_tbEUljE_ZNSN_ISO_Lb1ESQ_SR_ST_SU_SY_EESZ_S10_S11_S12_S16_S17_S18_S1B_S1C_jS1D_jS1E_S1E_jjS1G_bEUljE0_EEESZ_S10_S11_S18_S1C_S1E_T6_T7_T9_mT8_S1G_bDpT10_ENKUlT_T0_E_clISt17integral_constantIbLb0EES1T_IbLb1EEEEDaS1P_S1Q_EUlS1P_E_NS1_11comp_targetILNS1_3genE10ELNS1_11target_archE1200ELNS1_3gpuE4ELNS1_3repE0EEENS1_30default_config_static_selectorELNS0_4arch9wavefront6targetE0EEEvS12_.num_agpr, 0
	.set _ZN7rocprim17ROCPRIM_400000_NS6detail17trampoline_kernelINS0_13select_configILj256ELj13ELNS0_17block_load_methodE3ELS4_3ELS4_3ELNS0_20block_scan_algorithmE0ELj4294967295EEENS1_25partition_config_selectorILNS1_17partition_subalgoE4EjNS0_10empty_typeEbEEZZNS1_14partition_implILS8_4ELb0ES6_15HIP_vector_typeIjLj2EENS0_17counting_iteratorIjlEEPS9_SG_NS0_5tupleIJPjSI_NS0_16reverse_iteratorISI_EEEEENSH_IJSG_SG_SG_EEES9_SI_JZNS1_25segmented_radix_sort_implINS0_14default_configELb1EPKbPbPKlPlN2at6native12_GLOBAL__N_18offset_tEEE10hipError_tPvRmT1_PNSt15iterator_traitsIS12_E10value_typeET2_T3_PNS13_IS18_E10value_typeET4_jRbjT5_S1E_jjP12ihipStream_tbEUljE_ZNSN_ISO_Lb1ESQ_SR_ST_SU_SY_EESZ_S10_S11_S12_S16_S17_S18_S1B_S1C_jS1D_jS1E_S1E_jjS1G_bEUljE0_EEESZ_S10_S11_S18_S1C_S1E_T6_T7_T9_mT8_S1G_bDpT10_ENKUlT_T0_E_clISt17integral_constantIbLb0EES1T_IbLb1EEEEDaS1P_S1Q_EUlS1P_E_NS1_11comp_targetILNS1_3genE10ELNS1_11target_archE1200ELNS1_3gpuE4ELNS1_3repE0EEENS1_30default_config_static_selectorELNS0_4arch9wavefront6targetE0EEEvS12_.numbered_sgpr, 0
	.set _ZN7rocprim17ROCPRIM_400000_NS6detail17trampoline_kernelINS0_13select_configILj256ELj13ELNS0_17block_load_methodE3ELS4_3ELS4_3ELNS0_20block_scan_algorithmE0ELj4294967295EEENS1_25partition_config_selectorILNS1_17partition_subalgoE4EjNS0_10empty_typeEbEEZZNS1_14partition_implILS8_4ELb0ES6_15HIP_vector_typeIjLj2EENS0_17counting_iteratorIjlEEPS9_SG_NS0_5tupleIJPjSI_NS0_16reverse_iteratorISI_EEEEENSH_IJSG_SG_SG_EEES9_SI_JZNS1_25segmented_radix_sort_implINS0_14default_configELb1EPKbPbPKlPlN2at6native12_GLOBAL__N_18offset_tEEE10hipError_tPvRmT1_PNSt15iterator_traitsIS12_E10value_typeET2_T3_PNS13_IS18_E10value_typeET4_jRbjT5_S1E_jjP12ihipStream_tbEUljE_ZNSN_ISO_Lb1ESQ_SR_ST_SU_SY_EESZ_S10_S11_S12_S16_S17_S18_S1B_S1C_jS1D_jS1E_S1E_jjS1G_bEUljE0_EEESZ_S10_S11_S18_S1C_S1E_T6_T7_T9_mT8_S1G_bDpT10_ENKUlT_T0_E_clISt17integral_constantIbLb0EES1T_IbLb1EEEEDaS1P_S1Q_EUlS1P_E_NS1_11comp_targetILNS1_3genE10ELNS1_11target_archE1200ELNS1_3gpuE4ELNS1_3repE0EEENS1_30default_config_static_selectorELNS0_4arch9wavefront6targetE0EEEvS12_.num_named_barrier, 0
	.set _ZN7rocprim17ROCPRIM_400000_NS6detail17trampoline_kernelINS0_13select_configILj256ELj13ELNS0_17block_load_methodE3ELS4_3ELS4_3ELNS0_20block_scan_algorithmE0ELj4294967295EEENS1_25partition_config_selectorILNS1_17partition_subalgoE4EjNS0_10empty_typeEbEEZZNS1_14partition_implILS8_4ELb0ES6_15HIP_vector_typeIjLj2EENS0_17counting_iteratorIjlEEPS9_SG_NS0_5tupleIJPjSI_NS0_16reverse_iteratorISI_EEEEENSH_IJSG_SG_SG_EEES9_SI_JZNS1_25segmented_radix_sort_implINS0_14default_configELb1EPKbPbPKlPlN2at6native12_GLOBAL__N_18offset_tEEE10hipError_tPvRmT1_PNSt15iterator_traitsIS12_E10value_typeET2_T3_PNS13_IS18_E10value_typeET4_jRbjT5_S1E_jjP12ihipStream_tbEUljE_ZNSN_ISO_Lb1ESQ_SR_ST_SU_SY_EESZ_S10_S11_S12_S16_S17_S18_S1B_S1C_jS1D_jS1E_S1E_jjS1G_bEUljE0_EEESZ_S10_S11_S18_S1C_S1E_T6_T7_T9_mT8_S1G_bDpT10_ENKUlT_T0_E_clISt17integral_constantIbLb0EES1T_IbLb1EEEEDaS1P_S1Q_EUlS1P_E_NS1_11comp_targetILNS1_3genE10ELNS1_11target_archE1200ELNS1_3gpuE4ELNS1_3repE0EEENS1_30default_config_static_selectorELNS0_4arch9wavefront6targetE0EEEvS12_.private_seg_size, 0
	.set _ZN7rocprim17ROCPRIM_400000_NS6detail17trampoline_kernelINS0_13select_configILj256ELj13ELNS0_17block_load_methodE3ELS4_3ELS4_3ELNS0_20block_scan_algorithmE0ELj4294967295EEENS1_25partition_config_selectorILNS1_17partition_subalgoE4EjNS0_10empty_typeEbEEZZNS1_14partition_implILS8_4ELb0ES6_15HIP_vector_typeIjLj2EENS0_17counting_iteratorIjlEEPS9_SG_NS0_5tupleIJPjSI_NS0_16reverse_iteratorISI_EEEEENSH_IJSG_SG_SG_EEES9_SI_JZNS1_25segmented_radix_sort_implINS0_14default_configELb1EPKbPbPKlPlN2at6native12_GLOBAL__N_18offset_tEEE10hipError_tPvRmT1_PNSt15iterator_traitsIS12_E10value_typeET2_T3_PNS13_IS18_E10value_typeET4_jRbjT5_S1E_jjP12ihipStream_tbEUljE_ZNSN_ISO_Lb1ESQ_SR_ST_SU_SY_EESZ_S10_S11_S12_S16_S17_S18_S1B_S1C_jS1D_jS1E_S1E_jjS1G_bEUljE0_EEESZ_S10_S11_S18_S1C_S1E_T6_T7_T9_mT8_S1G_bDpT10_ENKUlT_T0_E_clISt17integral_constantIbLb0EES1T_IbLb1EEEEDaS1P_S1Q_EUlS1P_E_NS1_11comp_targetILNS1_3genE10ELNS1_11target_archE1200ELNS1_3gpuE4ELNS1_3repE0EEENS1_30default_config_static_selectorELNS0_4arch9wavefront6targetE0EEEvS12_.uses_vcc, 0
	.set _ZN7rocprim17ROCPRIM_400000_NS6detail17trampoline_kernelINS0_13select_configILj256ELj13ELNS0_17block_load_methodE3ELS4_3ELS4_3ELNS0_20block_scan_algorithmE0ELj4294967295EEENS1_25partition_config_selectorILNS1_17partition_subalgoE4EjNS0_10empty_typeEbEEZZNS1_14partition_implILS8_4ELb0ES6_15HIP_vector_typeIjLj2EENS0_17counting_iteratorIjlEEPS9_SG_NS0_5tupleIJPjSI_NS0_16reverse_iteratorISI_EEEEENSH_IJSG_SG_SG_EEES9_SI_JZNS1_25segmented_radix_sort_implINS0_14default_configELb1EPKbPbPKlPlN2at6native12_GLOBAL__N_18offset_tEEE10hipError_tPvRmT1_PNSt15iterator_traitsIS12_E10value_typeET2_T3_PNS13_IS18_E10value_typeET4_jRbjT5_S1E_jjP12ihipStream_tbEUljE_ZNSN_ISO_Lb1ESQ_SR_ST_SU_SY_EESZ_S10_S11_S12_S16_S17_S18_S1B_S1C_jS1D_jS1E_S1E_jjS1G_bEUljE0_EEESZ_S10_S11_S18_S1C_S1E_T6_T7_T9_mT8_S1G_bDpT10_ENKUlT_T0_E_clISt17integral_constantIbLb0EES1T_IbLb1EEEEDaS1P_S1Q_EUlS1P_E_NS1_11comp_targetILNS1_3genE10ELNS1_11target_archE1200ELNS1_3gpuE4ELNS1_3repE0EEENS1_30default_config_static_selectorELNS0_4arch9wavefront6targetE0EEEvS12_.uses_flat_scratch, 0
	.set _ZN7rocprim17ROCPRIM_400000_NS6detail17trampoline_kernelINS0_13select_configILj256ELj13ELNS0_17block_load_methodE3ELS4_3ELS4_3ELNS0_20block_scan_algorithmE0ELj4294967295EEENS1_25partition_config_selectorILNS1_17partition_subalgoE4EjNS0_10empty_typeEbEEZZNS1_14partition_implILS8_4ELb0ES6_15HIP_vector_typeIjLj2EENS0_17counting_iteratorIjlEEPS9_SG_NS0_5tupleIJPjSI_NS0_16reverse_iteratorISI_EEEEENSH_IJSG_SG_SG_EEES9_SI_JZNS1_25segmented_radix_sort_implINS0_14default_configELb1EPKbPbPKlPlN2at6native12_GLOBAL__N_18offset_tEEE10hipError_tPvRmT1_PNSt15iterator_traitsIS12_E10value_typeET2_T3_PNS13_IS18_E10value_typeET4_jRbjT5_S1E_jjP12ihipStream_tbEUljE_ZNSN_ISO_Lb1ESQ_SR_ST_SU_SY_EESZ_S10_S11_S12_S16_S17_S18_S1B_S1C_jS1D_jS1E_S1E_jjS1G_bEUljE0_EEESZ_S10_S11_S18_S1C_S1E_T6_T7_T9_mT8_S1G_bDpT10_ENKUlT_T0_E_clISt17integral_constantIbLb0EES1T_IbLb1EEEEDaS1P_S1Q_EUlS1P_E_NS1_11comp_targetILNS1_3genE10ELNS1_11target_archE1200ELNS1_3gpuE4ELNS1_3repE0EEENS1_30default_config_static_selectorELNS0_4arch9wavefront6targetE0EEEvS12_.has_dyn_sized_stack, 0
	.set _ZN7rocprim17ROCPRIM_400000_NS6detail17trampoline_kernelINS0_13select_configILj256ELj13ELNS0_17block_load_methodE3ELS4_3ELS4_3ELNS0_20block_scan_algorithmE0ELj4294967295EEENS1_25partition_config_selectorILNS1_17partition_subalgoE4EjNS0_10empty_typeEbEEZZNS1_14partition_implILS8_4ELb0ES6_15HIP_vector_typeIjLj2EENS0_17counting_iteratorIjlEEPS9_SG_NS0_5tupleIJPjSI_NS0_16reverse_iteratorISI_EEEEENSH_IJSG_SG_SG_EEES9_SI_JZNS1_25segmented_radix_sort_implINS0_14default_configELb1EPKbPbPKlPlN2at6native12_GLOBAL__N_18offset_tEEE10hipError_tPvRmT1_PNSt15iterator_traitsIS12_E10value_typeET2_T3_PNS13_IS18_E10value_typeET4_jRbjT5_S1E_jjP12ihipStream_tbEUljE_ZNSN_ISO_Lb1ESQ_SR_ST_SU_SY_EESZ_S10_S11_S12_S16_S17_S18_S1B_S1C_jS1D_jS1E_S1E_jjS1G_bEUljE0_EEESZ_S10_S11_S18_S1C_S1E_T6_T7_T9_mT8_S1G_bDpT10_ENKUlT_T0_E_clISt17integral_constantIbLb0EES1T_IbLb1EEEEDaS1P_S1Q_EUlS1P_E_NS1_11comp_targetILNS1_3genE10ELNS1_11target_archE1200ELNS1_3gpuE4ELNS1_3repE0EEENS1_30default_config_static_selectorELNS0_4arch9wavefront6targetE0EEEvS12_.has_recursion, 0
	.set _ZN7rocprim17ROCPRIM_400000_NS6detail17trampoline_kernelINS0_13select_configILj256ELj13ELNS0_17block_load_methodE3ELS4_3ELS4_3ELNS0_20block_scan_algorithmE0ELj4294967295EEENS1_25partition_config_selectorILNS1_17partition_subalgoE4EjNS0_10empty_typeEbEEZZNS1_14partition_implILS8_4ELb0ES6_15HIP_vector_typeIjLj2EENS0_17counting_iteratorIjlEEPS9_SG_NS0_5tupleIJPjSI_NS0_16reverse_iteratorISI_EEEEENSH_IJSG_SG_SG_EEES9_SI_JZNS1_25segmented_radix_sort_implINS0_14default_configELb1EPKbPbPKlPlN2at6native12_GLOBAL__N_18offset_tEEE10hipError_tPvRmT1_PNSt15iterator_traitsIS12_E10value_typeET2_T3_PNS13_IS18_E10value_typeET4_jRbjT5_S1E_jjP12ihipStream_tbEUljE_ZNSN_ISO_Lb1ESQ_SR_ST_SU_SY_EESZ_S10_S11_S12_S16_S17_S18_S1B_S1C_jS1D_jS1E_S1E_jjS1G_bEUljE0_EEESZ_S10_S11_S18_S1C_S1E_T6_T7_T9_mT8_S1G_bDpT10_ENKUlT_T0_E_clISt17integral_constantIbLb0EES1T_IbLb1EEEEDaS1P_S1Q_EUlS1P_E_NS1_11comp_targetILNS1_3genE10ELNS1_11target_archE1200ELNS1_3gpuE4ELNS1_3repE0EEENS1_30default_config_static_selectorELNS0_4arch9wavefront6targetE0EEEvS12_.has_indirect_call, 0
	.section	.AMDGPU.csdata,"",@progbits
; Kernel info:
; codeLenInByte = 0
; TotalNumSgprs: 0
; NumVgprs: 0
; ScratchSize: 0
; MemoryBound: 0
; FloatMode: 240
; IeeeMode: 1
; LDSByteSize: 0 bytes/workgroup (compile time only)
; SGPRBlocks: 0
; VGPRBlocks: 0
; NumSGPRsForWavesPerEU: 1
; NumVGPRsForWavesPerEU: 1
; Occupancy: 16
; WaveLimiterHint : 0
; COMPUTE_PGM_RSRC2:SCRATCH_EN: 0
; COMPUTE_PGM_RSRC2:USER_SGPR: 6
; COMPUTE_PGM_RSRC2:TRAP_HANDLER: 0
; COMPUTE_PGM_RSRC2:TGID_X_EN: 1
; COMPUTE_PGM_RSRC2:TGID_Y_EN: 0
; COMPUTE_PGM_RSRC2:TGID_Z_EN: 0
; COMPUTE_PGM_RSRC2:TIDIG_COMP_CNT: 0
	.section	.text._ZN7rocprim17ROCPRIM_400000_NS6detail17trampoline_kernelINS0_13select_configILj256ELj13ELNS0_17block_load_methodE3ELS4_3ELS4_3ELNS0_20block_scan_algorithmE0ELj4294967295EEENS1_25partition_config_selectorILNS1_17partition_subalgoE4EjNS0_10empty_typeEbEEZZNS1_14partition_implILS8_4ELb0ES6_15HIP_vector_typeIjLj2EENS0_17counting_iteratorIjlEEPS9_SG_NS0_5tupleIJPjSI_NS0_16reverse_iteratorISI_EEEEENSH_IJSG_SG_SG_EEES9_SI_JZNS1_25segmented_radix_sort_implINS0_14default_configELb1EPKbPbPKlPlN2at6native12_GLOBAL__N_18offset_tEEE10hipError_tPvRmT1_PNSt15iterator_traitsIS12_E10value_typeET2_T3_PNS13_IS18_E10value_typeET4_jRbjT5_S1E_jjP12ihipStream_tbEUljE_ZNSN_ISO_Lb1ESQ_SR_ST_SU_SY_EESZ_S10_S11_S12_S16_S17_S18_S1B_S1C_jS1D_jS1E_S1E_jjS1G_bEUljE0_EEESZ_S10_S11_S18_S1C_S1E_T6_T7_T9_mT8_S1G_bDpT10_ENKUlT_T0_E_clISt17integral_constantIbLb0EES1T_IbLb1EEEEDaS1P_S1Q_EUlS1P_E_NS1_11comp_targetILNS1_3genE9ELNS1_11target_archE1100ELNS1_3gpuE3ELNS1_3repE0EEENS1_30default_config_static_selectorELNS0_4arch9wavefront6targetE0EEEvS12_,"axG",@progbits,_ZN7rocprim17ROCPRIM_400000_NS6detail17trampoline_kernelINS0_13select_configILj256ELj13ELNS0_17block_load_methodE3ELS4_3ELS4_3ELNS0_20block_scan_algorithmE0ELj4294967295EEENS1_25partition_config_selectorILNS1_17partition_subalgoE4EjNS0_10empty_typeEbEEZZNS1_14partition_implILS8_4ELb0ES6_15HIP_vector_typeIjLj2EENS0_17counting_iteratorIjlEEPS9_SG_NS0_5tupleIJPjSI_NS0_16reverse_iteratorISI_EEEEENSH_IJSG_SG_SG_EEES9_SI_JZNS1_25segmented_radix_sort_implINS0_14default_configELb1EPKbPbPKlPlN2at6native12_GLOBAL__N_18offset_tEEE10hipError_tPvRmT1_PNSt15iterator_traitsIS12_E10value_typeET2_T3_PNS13_IS18_E10value_typeET4_jRbjT5_S1E_jjP12ihipStream_tbEUljE_ZNSN_ISO_Lb1ESQ_SR_ST_SU_SY_EESZ_S10_S11_S12_S16_S17_S18_S1B_S1C_jS1D_jS1E_S1E_jjS1G_bEUljE0_EEESZ_S10_S11_S18_S1C_S1E_T6_T7_T9_mT8_S1G_bDpT10_ENKUlT_T0_E_clISt17integral_constantIbLb0EES1T_IbLb1EEEEDaS1P_S1Q_EUlS1P_E_NS1_11comp_targetILNS1_3genE9ELNS1_11target_archE1100ELNS1_3gpuE3ELNS1_3repE0EEENS1_30default_config_static_selectorELNS0_4arch9wavefront6targetE0EEEvS12_,comdat
	.globl	_ZN7rocprim17ROCPRIM_400000_NS6detail17trampoline_kernelINS0_13select_configILj256ELj13ELNS0_17block_load_methodE3ELS4_3ELS4_3ELNS0_20block_scan_algorithmE0ELj4294967295EEENS1_25partition_config_selectorILNS1_17partition_subalgoE4EjNS0_10empty_typeEbEEZZNS1_14partition_implILS8_4ELb0ES6_15HIP_vector_typeIjLj2EENS0_17counting_iteratorIjlEEPS9_SG_NS0_5tupleIJPjSI_NS0_16reverse_iteratorISI_EEEEENSH_IJSG_SG_SG_EEES9_SI_JZNS1_25segmented_radix_sort_implINS0_14default_configELb1EPKbPbPKlPlN2at6native12_GLOBAL__N_18offset_tEEE10hipError_tPvRmT1_PNSt15iterator_traitsIS12_E10value_typeET2_T3_PNS13_IS18_E10value_typeET4_jRbjT5_S1E_jjP12ihipStream_tbEUljE_ZNSN_ISO_Lb1ESQ_SR_ST_SU_SY_EESZ_S10_S11_S12_S16_S17_S18_S1B_S1C_jS1D_jS1E_S1E_jjS1G_bEUljE0_EEESZ_S10_S11_S18_S1C_S1E_T6_T7_T9_mT8_S1G_bDpT10_ENKUlT_T0_E_clISt17integral_constantIbLb0EES1T_IbLb1EEEEDaS1P_S1Q_EUlS1P_E_NS1_11comp_targetILNS1_3genE9ELNS1_11target_archE1100ELNS1_3gpuE3ELNS1_3repE0EEENS1_30default_config_static_selectorELNS0_4arch9wavefront6targetE0EEEvS12_ ; -- Begin function _ZN7rocprim17ROCPRIM_400000_NS6detail17trampoline_kernelINS0_13select_configILj256ELj13ELNS0_17block_load_methodE3ELS4_3ELS4_3ELNS0_20block_scan_algorithmE0ELj4294967295EEENS1_25partition_config_selectorILNS1_17partition_subalgoE4EjNS0_10empty_typeEbEEZZNS1_14partition_implILS8_4ELb0ES6_15HIP_vector_typeIjLj2EENS0_17counting_iteratorIjlEEPS9_SG_NS0_5tupleIJPjSI_NS0_16reverse_iteratorISI_EEEEENSH_IJSG_SG_SG_EEES9_SI_JZNS1_25segmented_radix_sort_implINS0_14default_configELb1EPKbPbPKlPlN2at6native12_GLOBAL__N_18offset_tEEE10hipError_tPvRmT1_PNSt15iterator_traitsIS12_E10value_typeET2_T3_PNS13_IS18_E10value_typeET4_jRbjT5_S1E_jjP12ihipStream_tbEUljE_ZNSN_ISO_Lb1ESQ_SR_ST_SU_SY_EESZ_S10_S11_S12_S16_S17_S18_S1B_S1C_jS1D_jS1E_S1E_jjS1G_bEUljE0_EEESZ_S10_S11_S18_S1C_S1E_T6_T7_T9_mT8_S1G_bDpT10_ENKUlT_T0_E_clISt17integral_constantIbLb0EES1T_IbLb1EEEEDaS1P_S1Q_EUlS1P_E_NS1_11comp_targetILNS1_3genE9ELNS1_11target_archE1100ELNS1_3gpuE3ELNS1_3repE0EEENS1_30default_config_static_selectorELNS0_4arch9wavefront6targetE0EEEvS12_
	.p2align	8
	.type	_ZN7rocprim17ROCPRIM_400000_NS6detail17trampoline_kernelINS0_13select_configILj256ELj13ELNS0_17block_load_methodE3ELS4_3ELS4_3ELNS0_20block_scan_algorithmE0ELj4294967295EEENS1_25partition_config_selectorILNS1_17partition_subalgoE4EjNS0_10empty_typeEbEEZZNS1_14partition_implILS8_4ELb0ES6_15HIP_vector_typeIjLj2EENS0_17counting_iteratorIjlEEPS9_SG_NS0_5tupleIJPjSI_NS0_16reverse_iteratorISI_EEEEENSH_IJSG_SG_SG_EEES9_SI_JZNS1_25segmented_radix_sort_implINS0_14default_configELb1EPKbPbPKlPlN2at6native12_GLOBAL__N_18offset_tEEE10hipError_tPvRmT1_PNSt15iterator_traitsIS12_E10value_typeET2_T3_PNS13_IS18_E10value_typeET4_jRbjT5_S1E_jjP12ihipStream_tbEUljE_ZNSN_ISO_Lb1ESQ_SR_ST_SU_SY_EESZ_S10_S11_S12_S16_S17_S18_S1B_S1C_jS1D_jS1E_S1E_jjS1G_bEUljE0_EEESZ_S10_S11_S18_S1C_S1E_T6_T7_T9_mT8_S1G_bDpT10_ENKUlT_T0_E_clISt17integral_constantIbLb0EES1T_IbLb1EEEEDaS1P_S1Q_EUlS1P_E_NS1_11comp_targetILNS1_3genE9ELNS1_11target_archE1100ELNS1_3gpuE3ELNS1_3repE0EEENS1_30default_config_static_selectorELNS0_4arch9wavefront6targetE0EEEvS12_,@function
_ZN7rocprim17ROCPRIM_400000_NS6detail17trampoline_kernelINS0_13select_configILj256ELj13ELNS0_17block_load_methodE3ELS4_3ELS4_3ELNS0_20block_scan_algorithmE0ELj4294967295EEENS1_25partition_config_selectorILNS1_17partition_subalgoE4EjNS0_10empty_typeEbEEZZNS1_14partition_implILS8_4ELb0ES6_15HIP_vector_typeIjLj2EENS0_17counting_iteratorIjlEEPS9_SG_NS0_5tupleIJPjSI_NS0_16reverse_iteratorISI_EEEEENSH_IJSG_SG_SG_EEES9_SI_JZNS1_25segmented_radix_sort_implINS0_14default_configELb1EPKbPbPKlPlN2at6native12_GLOBAL__N_18offset_tEEE10hipError_tPvRmT1_PNSt15iterator_traitsIS12_E10value_typeET2_T3_PNS13_IS18_E10value_typeET4_jRbjT5_S1E_jjP12ihipStream_tbEUljE_ZNSN_ISO_Lb1ESQ_SR_ST_SU_SY_EESZ_S10_S11_S12_S16_S17_S18_S1B_S1C_jS1D_jS1E_S1E_jjS1G_bEUljE0_EEESZ_S10_S11_S18_S1C_S1E_T6_T7_T9_mT8_S1G_bDpT10_ENKUlT_T0_E_clISt17integral_constantIbLb0EES1T_IbLb1EEEEDaS1P_S1Q_EUlS1P_E_NS1_11comp_targetILNS1_3genE9ELNS1_11target_archE1100ELNS1_3gpuE3ELNS1_3repE0EEENS1_30default_config_static_selectorELNS0_4arch9wavefront6targetE0EEEvS12_: ; @_ZN7rocprim17ROCPRIM_400000_NS6detail17trampoline_kernelINS0_13select_configILj256ELj13ELNS0_17block_load_methodE3ELS4_3ELS4_3ELNS0_20block_scan_algorithmE0ELj4294967295EEENS1_25partition_config_selectorILNS1_17partition_subalgoE4EjNS0_10empty_typeEbEEZZNS1_14partition_implILS8_4ELb0ES6_15HIP_vector_typeIjLj2EENS0_17counting_iteratorIjlEEPS9_SG_NS0_5tupleIJPjSI_NS0_16reverse_iteratorISI_EEEEENSH_IJSG_SG_SG_EEES9_SI_JZNS1_25segmented_radix_sort_implINS0_14default_configELb1EPKbPbPKlPlN2at6native12_GLOBAL__N_18offset_tEEE10hipError_tPvRmT1_PNSt15iterator_traitsIS12_E10value_typeET2_T3_PNS13_IS18_E10value_typeET4_jRbjT5_S1E_jjP12ihipStream_tbEUljE_ZNSN_ISO_Lb1ESQ_SR_ST_SU_SY_EESZ_S10_S11_S12_S16_S17_S18_S1B_S1C_jS1D_jS1E_S1E_jjS1G_bEUljE0_EEESZ_S10_S11_S18_S1C_S1E_T6_T7_T9_mT8_S1G_bDpT10_ENKUlT_T0_E_clISt17integral_constantIbLb0EES1T_IbLb1EEEEDaS1P_S1Q_EUlS1P_E_NS1_11comp_targetILNS1_3genE9ELNS1_11target_archE1100ELNS1_3gpuE3ELNS1_3repE0EEENS1_30default_config_static_selectorELNS0_4arch9wavefront6targetE0EEEvS12_
; %bb.0:
	.section	.rodata,"a",@progbits
	.p2align	6, 0x0
	.amdhsa_kernel _ZN7rocprim17ROCPRIM_400000_NS6detail17trampoline_kernelINS0_13select_configILj256ELj13ELNS0_17block_load_methodE3ELS4_3ELS4_3ELNS0_20block_scan_algorithmE0ELj4294967295EEENS1_25partition_config_selectorILNS1_17partition_subalgoE4EjNS0_10empty_typeEbEEZZNS1_14partition_implILS8_4ELb0ES6_15HIP_vector_typeIjLj2EENS0_17counting_iteratorIjlEEPS9_SG_NS0_5tupleIJPjSI_NS0_16reverse_iteratorISI_EEEEENSH_IJSG_SG_SG_EEES9_SI_JZNS1_25segmented_radix_sort_implINS0_14default_configELb1EPKbPbPKlPlN2at6native12_GLOBAL__N_18offset_tEEE10hipError_tPvRmT1_PNSt15iterator_traitsIS12_E10value_typeET2_T3_PNS13_IS18_E10value_typeET4_jRbjT5_S1E_jjP12ihipStream_tbEUljE_ZNSN_ISO_Lb1ESQ_SR_ST_SU_SY_EESZ_S10_S11_S12_S16_S17_S18_S1B_S1C_jS1D_jS1E_S1E_jjS1G_bEUljE0_EEESZ_S10_S11_S18_S1C_S1E_T6_T7_T9_mT8_S1G_bDpT10_ENKUlT_T0_E_clISt17integral_constantIbLb0EES1T_IbLb1EEEEDaS1P_S1Q_EUlS1P_E_NS1_11comp_targetILNS1_3genE9ELNS1_11target_archE1100ELNS1_3gpuE3ELNS1_3repE0EEENS1_30default_config_static_selectorELNS0_4arch9wavefront6targetE0EEEvS12_
		.amdhsa_group_segment_fixed_size 0
		.amdhsa_private_segment_fixed_size 0
		.amdhsa_kernarg_size 184
		.amdhsa_user_sgpr_count 6
		.amdhsa_user_sgpr_private_segment_buffer 1
		.amdhsa_user_sgpr_dispatch_ptr 0
		.amdhsa_user_sgpr_queue_ptr 0
		.amdhsa_user_sgpr_kernarg_segment_ptr 1
		.amdhsa_user_sgpr_dispatch_id 0
		.amdhsa_user_sgpr_flat_scratch_init 0
		.amdhsa_user_sgpr_private_segment_size 0
		.amdhsa_wavefront_size32 1
		.amdhsa_uses_dynamic_stack 0
		.amdhsa_system_sgpr_private_segment_wavefront_offset 0
		.amdhsa_system_sgpr_workgroup_id_x 1
		.amdhsa_system_sgpr_workgroup_id_y 0
		.amdhsa_system_sgpr_workgroup_id_z 0
		.amdhsa_system_sgpr_workgroup_info 0
		.amdhsa_system_vgpr_workitem_id 0
		.amdhsa_next_free_vgpr 1
		.amdhsa_next_free_sgpr 1
		.amdhsa_reserve_vcc 0
		.amdhsa_reserve_flat_scratch 0
		.amdhsa_float_round_mode_32 0
		.amdhsa_float_round_mode_16_64 0
		.amdhsa_float_denorm_mode_32 3
		.amdhsa_float_denorm_mode_16_64 3
		.amdhsa_dx10_clamp 1
		.amdhsa_ieee_mode 1
		.amdhsa_fp16_overflow 0
		.amdhsa_workgroup_processor_mode 1
		.amdhsa_memory_ordered 1
		.amdhsa_forward_progress 1
		.amdhsa_shared_vgpr_count 0
		.amdhsa_exception_fp_ieee_invalid_op 0
		.amdhsa_exception_fp_denorm_src 0
		.amdhsa_exception_fp_ieee_div_zero 0
		.amdhsa_exception_fp_ieee_overflow 0
		.amdhsa_exception_fp_ieee_underflow 0
		.amdhsa_exception_fp_ieee_inexact 0
		.amdhsa_exception_int_div_zero 0
	.end_amdhsa_kernel
	.section	.text._ZN7rocprim17ROCPRIM_400000_NS6detail17trampoline_kernelINS0_13select_configILj256ELj13ELNS0_17block_load_methodE3ELS4_3ELS4_3ELNS0_20block_scan_algorithmE0ELj4294967295EEENS1_25partition_config_selectorILNS1_17partition_subalgoE4EjNS0_10empty_typeEbEEZZNS1_14partition_implILS8_4ELb0ES6_15HIP_vector_typeIjLj2EENS0_17counting_iteratorIjlEEPS9_SG_NS0_5tupleIJPjSI_NS0_16reverse_iteratorISI_EEEEENSH_IJSG_SG_SG_EEES9_SI_JZNS1_25segmented_radix_sort_implINS0_14default_configELb1EPKbPbPKlPlN2at6native12_GLOBAL__N_18offset_tEEE10hipError_tPvRmT1_PNSt15iterator_traitsIS12_E10value_typeET2_T3_PNS13_IS18_E10value_typeET4_jRbjT5_S1E_jjP12ihipStream_tbEUljE_ZNSN_ISO_Lb1ESQ_SR_ST_SU_SY_EESZ_S10_S11_S12_S16_S17_S18_S1B_S1C_jS1D_jS1E_S1E_jjS1G_bEUljE0_EEESZ_S10_S11_S18_S1C_S1E_T6_T7_T9_mT8_S1G_bDpT10_ENKUlT_T0_E_clISt17integral_constantIbLb0EES1T_IbLb1EEEEDaS1P_S1Q_EUlS1P_E_NS1_11comp_targetILNS1_3genE9ELNS1_11target_archE1100ELNS1_3gpuE3ELNS1_3repE0EEENS1_30default_config_static_selectorELNS0_4arch9wavefront6targetE0EEEvS12_,"axG",@progbits,_ZN7rocprim17ROCPRIM_400000_NS6detail17trampoline_kernelINS0_13select_configILj256ELj13ELNS0_17block_load_methodE3ELS4_3ELS4_3ELNS0_20block_scan_algorithmE0ELj4294967295EEENS1_25partition_config_selectorILNS1_17partition_subalgoE4EjNS0_10empty_typeEbEEZZNS1_14partition_implILS8_4ELb0ES6_15HIP_vector_typeIjLj2EENS0_17counting_iteratorIjlEEPS9_SG_NS0_5tupleIJPjSI_NS0_16reverse_iteratorISI_EEEEENSH_IJSG_SG_SG_EEES9_SI_JZNS1_25segmented_radix_sort_implINS0_14default_configELb1EPKbPbPKlPlN2at6native12_GLOBAL__N_18offset_tEEE10hipError_tPvRmT1_PNSt15iterator_traitsIS12_E10value_typeET2_T3_PNS13_IS18_E10value_typeET4_jRbjT5_S1E_jjP12ihipStream_tbEUljE_ZNSN_ISO_Lb1ESQ_SR_ST_SU_SY_EESZ_S10_S11_S12_S16_S17_S18_S1B_S1C_jS1D_jS1E_S1E_jjS1G_bEUljE0_EEESZ_S10_S11_S18_S1C_S1E_T6_T7_T9_mT8_S1G_bDpT10_ENKUlT_T0_E_clISt17integral_constantIbLb0EES1T_IbLb1EEEEDaS1P_S1Q_EUlS1P_E_NS1_11comp_targetILNS1_3genE9ELNS1_11target_archE1100ELNS1_3gpuE3ELNS1_3repE0EEENS1_30default_config_static_selectorELNS0_4arch9wavefront6targetE0EEEvS12_,comdat
.Lfunc_end1490:
	.size	_ZN7rocprim17ROCPRIM_400000_NS6detail17trampoline_kernelINS0_13select_configILj256ELj13ELNS0_17block_load_methodE3ELS4_3ELS4_3ELNS0_20block_scan_algorithmE0ELj4294967295EEENS1_25partition_config_selectorILNS1_17partition_subalgoE4EjNS0_10empty_typeEbEEZZNS1_14partition_implILS8_4ELb0ES6_15HIP_vector_typeIjLj2EENS0_17counting_iteratorIjlEEPS9_SG_NS0_5tupleIJPjSI_NS0_16reverse_iteratorISI_EEEEENSH_IJSG_SG_SG_EEES9_SI_JZNS1_25segmented_radix_sort_implINS0_14default_configELb1EPKbPbPKlPlN2at6native12_GLOBAL__N_18offset_tEEE10hipError_tPvRmT1_PNSt15iterator_traitsIS12_E10value_typeET2_T3_PNS13_IS18_E10value_typeET4_jRbjT5_S1E_jjP12ihipStream_tbEUljE_ZNSN_ISO_Lb1ESQ_SR_ST_SU_SY_EESZ_S10_S11_S12_S16_S17_S18_S1B_S1C_jS1D_jS1E_S1E_jjS1G_bEUljE0_EEESZ_S10_S11_S18_S1C_S1E_T6_T7_T9_mT8_S1G_bDpT10_ENKUlT_T0_E_clISt17integral_constantIbLb0EES1T_IbLb1EEEEDaS1P_S1Q_EUlS1P_E_NS1_11comp_targetILNS1_3genE9ELNS1_11target_archE1100ELNS1_3gpuE3ELNS1_3repE0EEENS1_30default_config_static_selectorELNS0_4arch9wavefront6targetE0EEEvS12_, .Lfunc_end1490-_ZN7rocprim17ROCPRIM_400000_NS6detail17trampoline_kernelINS0_13select_configILj256ELj13ELNS0_17block_load_methodE3ELS4_3ELS4_3ELNS0_20block_scan_algorithmE0ELj4294967295EEENS1_25partition_config_selectorILNS1_17partition_subalgoE4EjNS0_10empty_typeEbEEZZNS1_14partition_implILS8_4ELb0ES6_15HIP_vector_typeIjLj2EENS0_17counting_iteratorIjlEEPS9_SG_NS0_5tupleIJPjSI_NS0_16reverse_iteratorISI_EEEEENSH_IJSG_SG_SG_EEES9_SI_JZNS1_25segmented_radix_sort_implINS0_14default_configELb1EPKbPbPKlPlN2at6native12_GLOBAL__N_18offset_tEEE10hipError_tPvRmT1_PNSt15iterator_traitsIS12_E10value_typeET2_T3_PNS13_IS18_E10value_typeET4_jRbjT5_S1E_jjP12ihipStream_tbEUljE_ZNSN_ISO_Lb1ESQ_SR_ST_SU_SY_EESZ_S10_S11_S12_S16_S17_S18_S1B_S1C_jS1D_jS1E_S1E_jjS1G_bEUljE0_EEESZ_S10_S11_S18_S1C_S1E_T6_T7_T9_mT8_S1G_bDpT10_ENKUlT_T0_E_clISt17integral_constantIbLb0EES1T_IbLb1EEEEDaS1P_S1Q_EUlS1P_E_NS1_11comp_targetILNS1_3genE9ELNS1_11target_archE1100ELNS1_3gpuE3ELNS1_3repE0EEENS1_30default_config_static_selectorELNS0_4arch9wavefront6targetE0EEEvS12_
                                        ; -- End function
	.set _ZN7rocprim17ROCPRIM_400000_NS6detail17trampoline_kernelINS0_13select_configILj256ELj13ELNS0_17block_load_methodE3ELS4_3ELS4_3ELNS0_20block_scan_algorithmE0ELj4294967295EEENS1_25partition_config_selectorILNS1_17partition_subalgoE4EjNS0_10empty_typeEbEEZZNS1_14partition_implILS8_4ELb0ES6_15HIP_vector_typeIjLj2EENS0_17counting_iteratorIjlEEPS9_SG_NS0_5tupleIJPjSI_NS0_16reverse_iteratorISI_EEEEENSH_IJSG_SG_SG_EEES9_SI_JZNS1_25segmented_radix_sort_implINS0_14default_configELb1EPKbPbPKlPlN2at6native12_GLOBAL__N_18offset_tEEE10hipError_tPvRmT1_PNSt15iterator_traitsIS12_E10value_typeET2_T3_PNS13_IS18_E10value_typeET4_jRbjT5_S1E_jjP12ihipStream_tbEUljE_ZNSN_ISO_Lb1ESQ_SR_ST_SU_SY_EESZ_S10_S11_S12_S16_S17_S18_S1B_S1C_jS1D_jS1E_S1E_jjS1G_bEUljE0_EEESZ_S10_S11_S18_S1C_S1E_T6_T7_T9_mT8_S1G_bDpT10_ENKUlT_T0_E_clISt17integral_constantIbLb0EES1T_IbLb1EEEEDaS1P_S1Q_EUlS1P_E_NS1_11comp_targetILNS1_3genE9ELNS1_11target_archE1100ELNS1_3gpuE3ELNS1_3repE0EEENS1_30default_config_static_selectorELNS0_4arch9wavefront6targetE0EEEvS12_.num_vgpr, 0
	.set _ZN7rocprim17ROCPRIM_400000_NS6detail17trampoline_kernelINS0_13select_configILj256ELj13ELNS0_17block_load_methodE3ELS4_3ELS4_3ELNS0_20block_scan_algorithmE0ELj4294967295EEENS1_25partition_config_selectorILNS1_17partition_subalgoE4EjNS0_10empty_typeEbEEZZNS1_14partition_implILS8_4ELb0ES6_15HIP_vector_typeIjLj2EENS0_17counting_iteratorIjlEEPS9_SG_NS0_5tupleIJPjSI_NS0_16reverse_iteratorISI_EEEEENSH_IJSG_SG_SG_EEES9_SI_JZNS1_25segmented_radix_sort_implINS0_14default_configELb1EPKbPbPKlPlN2at6native12_GLOBAL__N_18offset_tEEE10hipError_tPvRmT1_PNSt15iterator_traitsIS12_E10value_typeET2_T3_PNS13_IS18_E10value_typeET4_jRbjT5_S1E_jjP12ihipStream_tbEUljE_ZNSN_ISO_Lb1ESQ_SR_ST_SU_SY_EESZ_S10_S11_S12_S16_S17_S18_S1B_S1C_jS1D_jS1E_S1E_jjS1G_bEUljE0_EEESZ_S10_S11_S18_S1C_S1E_T6_T7_T9_mT8_S1G_bDpT10_ENKUlT_T0_E_clISt17integral_constantIbLb0EES1T_IbLb1EEEEDaS1P_S1Q_EUlS1P_E_NS1_11comp_targetILNS1_3genE9ELNS1_11target_archE1100ELNS1_3gpuE3ELNS1_3repE0EEENS1_30default_config_static_selectorELNS0_4arch9wavefront6targetE0EEEvS12_.num_agpr, 0
	.set _ZN7rocprim17ROCPRIM_400000_NS6detail17trampoline_kernelINS0_13select_configILj256ELj13ELNS0_17block_load_methodE3ELS4_3ELS4_3ELNS0_20block_scan_algorithmE0ELj4294967295EEENS1_25partition_config_selectorILNS1_17partition_subalgoE4EjNS0_10empty_typeEbEEZZNS1_14partition_implILS8_4ELb0ES6_15HIP_vector_typeIjLj2EENS0_17counting_iteratorIjlEEPS9_SG_NS0_5tupleIJPjSI_NS0_16reverse_iteratorISI_EEEEENSH_IJSG_SG_SG_EEES9_SI_JZNS1_25segmented_radix_sort_implINS0_14default_configELb1EPKbPbPKlPlN2at6native12_GLOBAL__N_18offset_tEEE10hipError_tPvRmT1_PNSt15iterator_traitsIS12_E10value_typeET2_T3_PNS13_IS18_E10value_typeET4_jRbjT5_S1E_jjP12ihipStream_tbEUljE_ZNSN_ISO_Lb1ESQ_SR_ST_SU_SY_EESZ_S10_S11_S12_S16_S17_S18_S1B_S1C_jS1D_jS1E_S1E_jjS1G_bEUljE0_EEESZ_S10_S11_S18_S1C_S1E_T6_T7_T9_mT8_S1G_bDpT10_ENKUlT_T0_E_clISt17integral_constantIbLb0EES1T_IbLb1EEEEDaS1P_S1Q_EUlS1P_E_NS1_11comp_targetILNS1_3genE9ELNS1_11target_archE1100ELNS1_3gpuE3ELNS1_3repE0EEENS1_30default_config_static_selectorELNS0_4arch9wavefront6targetE0EEEvS12_.numbered_sgpr, 0
	.set _ZN7rocprim17ROCPRIM_400000_NS6detail17trampoline_kernelINS0_13select_configILj256ELj13ELNS0_17block_load_methodE3ELS4_3ELS4_3ELNS0_20block_scan_algorithmE0ELj4294967295EEENS1_25partition_config_selectorILNS1_17partition_subalgoE4EjNS0_10empty_typeEbEEZZNS1_14partition_implILS8_4ELb0ES6_15HIP_vector_typeIjLj2EENS0_17counting_iteratorIjlEEPS9_SG_NS0_5tupleIJPjSI_NS0_16reverse_iteratorISI_EEEEENSH_IJSG_SG_SG_EEES9_SI_JZNS1_25segmented_radix_sort_implINS0_14default_configELb1EPKbPbPKlPlN2at6native12_GLOBAL__N_18offset_tEEE10hipError_tPvRmT1_PNSt15iterator_traitsIS12_E10value_typeET2_T3_PNS13_IS18_E10value_typeET4_jRbjT5_S1E_jjP12ihipStream_tbEUljE_ZNSN_ISO_Lb1ESQ_SR_ST_SU_SY_EESZ_S10_S11_S12_S16_S17_S18_S1B_S1C_jS1D_jS1E_S1E_jjS1G_bEUljE0_EEESZ_S10_S11_S18_S1C_S1E_T6_T7_T9_mT8_S1G_bDpT10_ENKUlT_T0_E_clISt17integral_constantIbLb0EES1T_IbLb1EEEEDaS1P_S1Q_EUlS1P_E_NS1_11comp_targetILNS1_3genE9ELNS1_11target_archE1100ELNS1_3gpuE3ELNS1_3repE0EEENS1_30default_config_static_selectorELNS0_4arch9wavefront6targetE0EEEvS12_.num_named_barrier, 0
	.set _ZN7rocprim17ROCPRIM_400000_NS6detail17trampoline_kernelINS0_13select_configILj256ELj13ELNS0_17block_load_methodE3ELS4_3ELS4_3ELNS0_20block_scan_algorithmE0ELj4294967295EEENS1_25partition_config_selectorILNS1_17partition_subalgoE4EjNS0_10empty_typeEbEEZZNS1_14partition_implILS8_4ELb0ES6_15HIP_vector_typeIjLj2EENS0_17counting_iteratorIjlEEPS9_SG_NS0_5tupleIJPjSI_NS0_16reverse_iteratorISI_EEEEENSH_IJSG_SG_SG_EEES9_SI_JZNS1_25segmented_radix_sort_implINS0_14default_configELb1EPKbPbPKlPlN2at6native12_GLOBAL__N_18offset_tEEE10hipError_tPvRmT1_PNSt15iterator_traitsIS12_E10value_typeET2_T3_PNS13_IS18_E10value_typeET4_jRbjT5_S1E_jjP12ihipStream_tbEUljE_ZNSN_ISO_Lb1ESQ_SR_ST_SU_SY_EESZ_S10_S11_S12_S16_S17_S18_S1B_S1C_jS1D_jS1E_S1E_jjS1G_bEUljE0_EEESZ_S10_S11_S18_S1C_S1E_T6_T7_T9_mT8_S1G_bDpT10_ENKUlT_T0_E_clISt17integral_constantIbLb0EES1T_IbLb1EEEEDaS1P_S1Q_EUlS1P_E_NS1_11comp_targetILNS1_3genE9ELNS1_11target_archE1100ELNS1_3gpuE3ELNS1_3repE0EEENS1_30default_config_static_selectorELNS0_4arch9wavefront6targetE0EEEvS12_.private_seg_size, 0
	.set _ZN7rocprim17ROCPRIM_400000_NS6detail17trampoline_kernelINS0_13select_configILj256ELj13ELNS0_17block_load_methodE3ELS4_3ELS4_3ELNS0_20block_scan_algorithmE0ELj4294967295EEENS1_25partition_config_selectorILNS1_17partition_subalgoE4EjNS0_10empty_typeEbEEZZNS1_14partition_implILS8_4ELb0ES6_15HIP_vector_typeIjLj2EENS0_17counting_iteratorIjlEEPS9_SG_NS0_5tupleIJPjSI_NS0_16reverse_iteratorISI_EEEEENSH_IJSG_SG_SG_EEES9_SI_JZNS1_25segmented_radix_sort_implINS0_14default_configELb1EPKbPbPKlPlN2at6native12_GLOBAL__N_18offset_tEEE10hipError_tPvRmT1_PNSt15iterator_traitsIS12_E10value_typeET2_T3_PNS13_IS18_E10value_typeET4_jRbjT5_S1E_jjP12ihipStream_tbEUljE_ZNSN_ISO_Lb1ESQ_SR_ST_SU_SY_EESZ_S10_S11_S12_S16_S17_S18_S1B_S1C_jS1D_jS1E_S1E_jjS1G_bEUljE0_EEESZ_S10_S11_S18_S1C_S1E_T6_T7_T9_mT8_S1G_bDpT10_ENKUlT_T0_E_clISt17integral_constantIbLb0EES1T_IbLb1EEEEDaS1P_S1Q_EUlS1P_E_NS1_11comp_targetILNS1_3genE9ELNS1_11target_archE1100ELNS1_3gpuE3ELNS1_3repE0EEENS1_30default_config_static_selectorELNS0_4arch9wavefront6targetE0EEEvS12_.uses_vcc, 0
	.set _ZN7rocprim17ROCPRIM_400000_NS6detail17trampoline_kernelINS0_13select_configILj256ELj13ELNS0_17block_load_methodE3ELS4_3ELS4_3ELNS0_20block_scan_algorithmE0ELj4294967295EEENS1_25partition_config_selectorILNS1_17partition_subalgoE4EjNS0_10empty_typeEbEEZZNS1_14partition_implILS8_4ELb0ES6_15HIP_vector_typeIjLj2EENS0_17counting_iteratorIjlEEPS9_SG_NS0_5tupleIJPjSI_NS0_16reverse_iteratorISI_EEEEENSH_IJSG_SG_SG_EEES9_SI_JZNS1_25segmented_radix_sort_implINS0_14default_configELb1EPKbPbPKlPlN2at6native12_GLOBAL__N_18offset_tEEE10hipError_tPvRmT1_PNSt15iterator_traitsIS12_E10value_typeET2_T3_PNS13_IS18_E10value_typeET4_jRbjT5_S1E_jjP12ihipStream_tbEUljE_ZNSN_ISO_Lb1ESQ_SR_ST_SU_SY_EESZ_S10_S11_S12_S16_S17_S18_S1B_S1C_jS1D_jS1E_S1E_jjS1G_bEUljE0_EEESZ_S10_S11_S18_S1C_S1E_T6_T7_T9_mT8_S1G_bDpT10_ENKUlT_T0_E_clISt17integral_constantIbLb0EES1T_IbLb1EEEEDaS1P_S1Q_EUlS1P_E_NS1_11comp_targetILNS1_3genE9ELNS1_11target_archE1100ELNS1_3gpuE3ELNS1_3repE0EEENS1_30default_config_static_selectorELNS0_4arch9wavefront6targetE0EEEvS12_.uses_flat_scratch, 0
	.set _ZN7rocprim17ROCPRIM_400000_NS6detail17trampoline_kernelINS0_13select_configILj256ELj13ELNS0_17block_load_methodE3ELS4_3ELS4_3ELNS0_20block_scan_algorithmE0ELj4294967295EEENS1_25partition_config_selectorILNS1_17partition_subalgoE4EjNS0_10empty_typeEbEEZZNS1_14partition_implILS8_4ELb0ES6_15HIP_vector_typeIjLj2EENS0_17counting_iteratorIjlEEPS9_SG_NS0_5tupleIJPjSI_NS0_16reverse_iteratorISI_EEEEENSH_IJSG_SG_SG_EEES9_SI_JZNS1_25segmented_radix_sort_implINS0_14default_configELb1EPKbPbPKlPlN2at6native12_GLOBAL__N_18offset_tEEE10hipError_tPvRmT1_PNSt15iterator_traitsIS12_E10value_typeET2_T3_PNS13_IS18_E10value_typeET4_jRbjT5_S1E_jjP12ihipStream_tbEUljE_ZNSN_ISO_Lb1ESQ_SR_ST_SU_SY_EESZ_S10_S11_S12_S16_S17_S18_S1B_S1C_jS1D_jS1E_S1E_jjS1G_bEUljE0_EEESZ_S10_S11_S18_S1C_S1E_T6_T7_T9_mT8_S1G_bDpT10_ENKUlT_T0_E_clISt17integral_constantIbLb0EES1T_IbLb1EEEEDaS1P_S1Q_EUlS1P_E_NS1_11comp_targetILNS1_3genE9ELNS1_11target_archE1100ELNS1_3gpuE3ELNS1_3repE0EEENS1_30default_config_static_selectorELNS0_4arch9wavefront6targetE0EEEvS12_.has_dyn_sized_stack, 0
	.set _ZN7rocprim17ROCPRIM_400000_NS6detail17trampoline_kernelINS0_13select_configILj256ELj13ELNS0_17block_load_methodE3ELS4_3ELS4_3ELNS0_20block_scan_algorithmE0ELj4294967295EEENS1_25partition_config_selectorILNS1_17partition_subalgoE4EjNS0_10empty_typeEbEEZZNS1_14partition_implILS8_4ELb0ES6_15HIP_vector_typeIjLj2EENS0_17counting_iteratorIjlEEPS9_SG_NS0_5tupleIJPjSI_NS0_16reverse_iteratorISI_EEEEENSH_IJSG_SG_SG_EEES9_SI_JZNS1_25segmented_radix_sort_implINS0_14default_configELb1EPKbPbPKlPlN2at6native12_GLOBAL__N_18offset_tEEE10hipError_tPvRmT1_PNSt15iterator_traitsIS12_E10value_typeET2_T3_PNS13_IS18_E10value_typeET4_jRbjT5_S1E_jjP12ihipStream_tbEUljE_ZNSN_ISO_Lb1ESQ_SR_ST_SU_SY_EESZ_S10_S11_S12_S16_S17_S18_S1B_S1C_jS1D_jS1E_S1E_jjS1G_bEUljE0_EEESZ_S10_S11_S18_S1C_S1E_T6_T7_T9_mT8_S1G_bDpT10_ENKUlT_T0_E_clISt17integral_constantIbLb0EES1T_IbLb1EEEEDaS1P_S1Q_EUlS1P_E_NS1_11comp_targetILNS1_3genE9ELNS1_11target_archE1100ELNS1_3gpuE3ELNS1_3repE0EEENS1_30default_config_static_selectorELNS0_4arch9wavefront6targetE0EEEvS12_.has_recursion, 0
	.set _ZN7rocprim17ROCPRIM_400000_NS6detail17trampoline_kernelINS0_13select_configILj256ELj13ELNS0_17block_load_methodE3ELS4_3ELS4_3ELNS0_20block_scan_algorithmE0ELj4294967295EEENS1_25partition_config_selectorILNS1_17partition_subalgoE4EjNS0_10empty_typeEbEEZZNS1_14partition_implILS8_4ELb0ES6_15HIP_vector_typeIjLj2EENS0_17counting_iteratorIjlEEPS9_SG_NS0_5tupleIJPjSI_NS0_16reverse_iteratorISI_EEEEENSH_IJSG_SG_SG_EEES9_SI_JZNS1_25segmented_radix_sort_implINS0_14default_configELb1EPKbPbPKlPlN2at6native12_GLOBAL__N_18offset_tEEE10hipError_tPvRmT1_PNSt15iterator_traitsIS12_E10value_typeET2_T3_PNS13_IS18_E10value_typeET4_jRbjT5_S1E_jjP12ihipStream_tbEUljE_ZNSN_ISO_Lb1ESQ_SR_ST_SU_SY_EESZ_S10_S11_S12_S16_S17_S18_S1B_S1C_jS1D_jS1E_S1E_jjS1G_bEUljE0_EEESZ_S10_S11_S18_S1C_S1E_T6_T7_T9_mT8_S1G_bDpT10_ENKUlT_T0_E_clISt17integral_constantIbLb0EES1T_IbLb1EEEEDaS1P_S1Q_EUlS1P_E_NS1_11comp_targetILNS1_3genE9ELNS1_11target_archE1100ELNS1_3gpuE3ELNS1_3repE0EEENS1_30default_config_static_selectorELNS0_4arch9wavefront6targetE0EEEvS12_.has_indirect_call, 0
	.section	.AMDGPU.csdata,"",@progbits
; Kernel info:
; codeLenInByte = 0
; TotalNumSgprs: 0
; NumVgprs: 0
; ScratchSize: 0
; MemoryBound: 0
; FloatMode: 240
; IeeeMode: 1
; LDSByteSize: 0 bytes/workgroup (compile time only)
; SGPRBlocks: 0
; VGPRBlocks: 0
; NumSGPRsForWavesPerEU: 1
; NumVGPRsForWavesPerEU: 1
; Occupancy: 16
; WaveLimiterHint : 0
; COMPUTE_PGM_RSRC2:SCRATCH_EN: 0
; COMPUTE_PGM_RSRC2:USER_SGPR: 6
; COMPUTE_PGM_RSRC2:TRAP_HANDLER: 0
; COMPUTE_PGM_RSRC2:TGID_X_EN: 1
; COMPUTE_PGM_RSRC2:TGID_Y_EN: 0
; COMPUTE_PGM_RSRC2:TGID_Z_EN: 0
; COMPUTE_PGM_RSRC2:TIDIG_COMP_CNT: 0
	.section	.text._ZN7rocprim17ROCPRIM_400000_NS6detail17trampoline_kernelINS0_13select_configILj256ELj13ELNS0_17block_load_methodE3ELS4_3ELS4_3ELNS0_20block_scan_algorithmE0ELj4294967295EEENS1_25partition_config_selectorILNS1_17partition_subalgoE4EjNS0_10empty_typeEbEEZZNS1_14partition_implILS8_4ELb0ES6_15HIP_vector_typeIjLj2EENS0_17counting_iteratorIjlEEPS9_SG_NS0_5tupleIJPjSI_NS0_16reverse_iteratorISI_EEEEENSH_IJSG_SG_SG_EEES9_SI_JZNS1_25segmented_radix_sort_implINS0_14default_configELb1EPKbPbPKlPlN2at6native12_GLOBAL__N_18offset_tEEE10hipError_tPvRmT1_PNSt15iterator_traitsIS12_E10value_typeET2_T3_PNS13_IS18_E10value_typeET4_jRbjT5_S1E_jjP12ihipStream_tbEUljE_ZNSN_ISO_Lb1ESQ_SR_ST_SU_SY_EESZ_S10_S11_S12_S16_S17_S18_S1B_S1C_jS1D_jS1E_S1E_jjS1G_bEUljE0_EEESZ_S10_S11_S18_S1C_S1E_T6_T7_T9_mT8_S1G_bDpT10_ENKUlT_T0_E_clISt17integral_constantIbLb0EES1T_IbLb1EEEEDaS1P_S1Q_EUlS1P_E_NS1_11comp_targetILNS1_3genE8ELNS1_11target_archE1030ELNS1_3gpuE2ELNS1_3repE0EEENS1_30default_config_static_selectorELNS0_4arch9wavefront6targetE0EEEvS12_,"axG",@progbits,_ZN7rocprim17ROCPRIM_400000_NS6detail17trampoline_kernelINS0_13select_configILj256ELj13ELNS0_17block_load_methodE3ELS4_3ELS4_3ELNS0_20block_scan_algorithmE0ELj4294967295EEENS1_25partition_config_selectorILNS1_17partition_subalgoE4EjNS0_10empty_typeEbEEZZNS1_14partition_implILS8_4ELb0ES6_15HIP_vector_typeIjLj2EENS0_17counting_iteratorIjlEEPS9_SG_NS0_5tupleIJPjSI_NS0_16reverse_iteratorISI_EEEEENSH_IJSG_SG_SG_EEES9_SI_JZNS1_25segmented_radix_sort_implINS0_14default_configELb1EPKbPbPKlPlN2at6native12_GLOBAL__N_18offset_tEEE10hipError_tPvRmT1_PNSt15iterator_traitsIS12_E10value_typeET2_T3_PNS13_IS18_E10value_typeET4_jRbjT5_S1E_jjP12ihipStream_tbEUljE_ZNSN_ISO_Lb1ESQ_SR_ST_SU_SY_EESZ_S10_S11_S12_S16_S17_S18_S1B_S1C_jS1D_jS1E_S1E_jjS1G_bEUljE0_EEESZ_S10_S11_S18_S1C_S1E_T6_T7_T9_mT8_S1G_bDpT10_ENKUlT_T0_E_clISt17integral_constantIbLb0EES1T_IbLb1EEEEDaS1P_S1Q_EUlS1P_E_NS1_11comp_targetILNS1_3genE8ELNS1_11target_archE1030ELNS1_3gpuE2ELNS1_3repE0EEENS1_30default_config_static_selectorELNS0_4arch9wavefront6targetE0EEEvS12_,comdat
	.globl	_ZN7rocprim17ROCPRIM_400000_NS6detail17trampoline_kernelINS0_13select_configILj256ELj13ELNS0_17block_load_methodE3ELS4_3ELS4_3ELNS0_20block_scan_algorithmE0ELj4294967295EEENS1_25partition_config_selectorILNS1_17partition_subalgoE4EjNS0_10empty_typeEbEEZZNS1_14partition_implILS8_4ELb0ES6_15HIP_vector_typeIjLj2EENS0_17counting_iteratorIjlEEPS9_SG_NS0_5tupleIJPjSI_NS0_16reverse_iteratorISI_EEEEENSH_IJSG_SG_SG_EEES9_SI_JZNS1_25segmented_radix_sort_implINS0_14default_configELb1EPKbPbPKlPlN2at6native12_GLOBAL__N_18offset_tEEE10hipError_tPvRmT1_PNSt15iterator_traitsIS12_E10value_typeET2_T3_PNS13_IS18_E10value_typeET4_jRbjT5_S1E_jjP12ihipStream_tbEUljE_ZNSN_ISO_Lb1ESQ_SR_ST_SU_SY_EESZ_S10_S11_S12_S16_S17_S18_S1B_S1C_jS1D_jS1E_S1E_jjS1G_bEUljE0_EEESZ_S10_S11_S18_S1C_S1E_T6_T7_T9_mT8_S1G_bDpT10_ENKUlT_T0_E_clISt17integral_constantIbLb0EES1T_IbLb1EEEEDaS1P_S1Q_EUlS1P_E_NS1_11comp_targetILNS1_3genE8ELNS1_11target_archE1030ELNS1_3gpuE2ELNS1_3repE0EEENS1_30default_config_static_selectorELNS0_4arch9wavefront6targetE0EEEvS12_ ; -- Begin function _ZN7rocprim17ROCPRIM_400000_NS6detail17trampoline_kernelINS0_13select_configILj256ELj13ELNS0_17block_load_methodE3ELS4_3ELS4_3ELNS0_20block_scan_algorithmE0ELj4294967295EEENS1_25partition_config_selectorILNS1_17partition_subalgoE4EjNS0_10empty_typeEbEEZZNS1_14partition_implILS8_4ELb0ES6_15HIP_vector_typeIjLj2EENS0_17counting_iteratorIjlEEPS9_SG_NS0_5tupleIJPjSI_NS0_16reverse_iteratorISI_EEEEENSH_IJSG_SG_SG_EEES9_SI_JZNS1_25segmented_radix_sort_implINS0_14default_configELb1EPKbPbPKlPlN2at6native12_GLOBAL__N_18offset_tEEE10hipError_tPvRmT1_PNSt15iterator_traitsIS12_E10value_typeET2_T3_PNS13_IS18_E10value_typeET4_jRbjT5_S1E_jjP12ihipStream_tbEUljE_ZNSN_ISO_Lb1ESQ_SR_ST_SU_SY_EESZ_S10_S11_S12_S16_S17_S18_S1B_S1C_jS1D_jS1E_S1E_jjS1G_bEUljE0_EEESZ_S10_S11_S18_S1C_S1E_T6_T7_T9_mT8_S1G_bDpT10_ENKUlT_T0_E_clISt17integral_constantIbLb0EES1T_IbLb1EEEEDaS1P_S1Q_EUlS1P_E_NS1_11comp_targetILNS1_3genE8ELNS1_11target_archE1030ELNS1_3gpuE2ELNS1_3repE0EEENS1_30default_config_static_selectorELNS0_4arch9wavefront6targetE0EEEvS12_
	.p2align	8
	.type	_ZN7rocprim17ROCPRIM_400000_NS6detail17trampoline_kernelINS0_13select_configILj256ELj13ELNS0_17block_load_methodE3ELS4_3ELS4_3ELNS0_20block_scan_algorithmE0ELj4294967295EEENS1_25partition_config_selectorILNS1_17partition_subalgoE4EjNS0_10empty_typeEbEEZZNS1_14partition_implILS8_4ELb0ES6_15HIP_vector_typeIjLj2EENS0_17counting_iteratorIjlEEPS9_SG_NS0_5tupleIJPjSI_NS0_16reverse_iteratorISI_EEEEENSH_IJSG_SG_SG_EEES9_SI_JZNS1_25segmented_radix_sort_implINS0_14default_configELb1EPKbPbPKlPlN2at6native12_GLOBAL__N_18offset_tEEE10hipError_tPvRmT1_PNSt15iterator_traitsIS12_E10value_typeET2_T3_PNS13_IS18_E10value_typeET4_jRbjT5_S1E_jjP12ihipStream_tbEUljE_ZNSN_ISO_Lb1ESQ_SR_ST_SU_SY_EESZ_S10_S11_S12_S16_S17_S18_S1B_S1C_jS1D_jS1E_S1E_jjS1G_bEUljE0_EEESZ_S10_S11_S18_S1C_S1E_T6_T7_T9_mT8_S1G_bDpT10_ENKUlT_T0_E_clISt17integral_constantIbLb0EES1T_IbLb1EEEEDaS1P_S1Q_EUlS1P_E_NS1_11comp_targetILNS1_3genE8ELNS1_11target_archE1030ELNS1_3gpuE2ELNS1_3repE0EEENS1_30default_config_static_selectorELNS0_4arch9wavefront6targetE0EEEvS12_,@function
_ZN7rocprim17ROCPRIM_400000_NS6detail17trampoline_kernelINS0_13select_configILj256ELj13ELNS0_17block_load_methodE3ELS4_3ELS4_3ELNS0_20block_scan_algorithmE0ELj4294967295EEENS1_25partition_config_selectorILNS1_17partition_subalgoE4EjNS0_10empty_typeEbEEZZNS1_14partition_implILS8_4ELb0ES6_15HIP_vector_typeIjLj2EENS0_17counting_iteratorIjlEEPS9_SG_NS0_5tupleIJPjSI_NS0_16reverse_iteratorISI_EEEEENSH_IJSG_SG_SG_EEES9_SI_JZNS1_25segmented_radix_sort_implINS0_14default_configELb1EPKbPbPKlPlN2at6native12_GLOBAL__N_18offset_tEEE10hipError_tPvRmT1_PNSt15iterator_traitsIS12_E10value_typeET2_T3_PNS13_IS18_E10value_typeET4_jRbjT5_S1E_jjP12ihipStream_tbEUljE_ZNSN_ISO_Lb1ESQ_SR_ST_SU_SY_EESZ_S10_S11_S12_S16_S17_S18_S1B_S1C_jS1D_jS1E_S1E_jjS1G_bEUljE0_EEESZ_S10_S11_S18_S1C_S1E_T6_T7_T9_mT8_S1G_bDpT10_ENKUlT_T0_E_clISt17integral_constantIbLb0EES1T_IbLb1EEEEDaS1P_S1Q_EUlS1P_E_NS1_11comp_targetILNS1_3genE8ELNS1_11target_archE1030ELNS1_3gpuE2ELNS1_3repE0EEENS1_30default_config_static_selectorELNS0_4arch9wavefront6targetE0EEEvS12_: ; @_ZN7rocprim17ROCPRIM_400000_NS6detail17trampoline_kernelINS0_13select_configILj256ELj13ELNS0_17block_load_methodE3ELS4_3ELS4_3ELNS0_20block_scan_algorithmE0ELj4294967295EEENS1_25partition_config_selectorILNS1_17partition_subalgoE4EjNS0_10empty_typeEbEEZZNS1_14partition_implILS8_4ELb0ES6_15HIP_vector_typeIjLj2EENS0_17counting_iteratorIjlEEPS9_SG_NS0_5tupleIJPjSI_NS0_16reverse_iteratorISI_EEEEENSH_IJSG_SG_SG_EEES9_SI_JZNS1_25segmented_radix_sort_implINS0_14default_configELb1EPKbPbPKlPlN2at6native12_GLOBAL__N_18offset_tEEE10hipError_tPvRmT1_PNSt15iterator_traitsIS12_E10value_typeET2_T3_PNS13_IS18_E10value_typeET4_jRbjT5_S1E_jjP12ihipStream_tbEUljE_ZNSN_ISO_Lb1ESQ_SR_ST_SU_SY_EESZ_S10_S11_S12_S16_S17_S18_S1B_S1C_jS1D_jS1E_S1E_jjS1G_bEUljE0_EEESZ_S10_S11_S18_S1C_S1E_T6_T7_T9_mT8_S1G_bDpT10_ENKUlT_T0_E_clISt17integral_constantIbLb0EES1T_IbLb1EEEEDaS1P_S1Q_EUlS1P_E_NS1_11comp_targetILNS1_3genE8ELNS1_11target_archE1030ELNS1_3gpuE2ELNS1_3repE0EEENS1_30default_config_static_selectorELNS0_4arch9wavefront6targetE0EEEvS12_
; %bb.0:
	s_clause 0x7
	s_load_dwordx2 s[34:35], s[4:5], 0x10
	s_load_dwordx4 s[28:31], s[4:5], 0x28
	s_load_dwordx2 s[14:15], s[4:5], 0x38
	s_load_dwordx4 s[24:27], s[4:5], 0x58
	s_load_dwordx2 s[2:3], s[4:5], 0x68
	s_load_dwordx2 s[36:37], s[4:5], 0x78
	;; [unrolled: 1-line block ×3, first 2 shown]
	s_load_dwordx8 s[16:23], s[4:5], 0x90
	v_cmp_eq_u32_e64 s0, 0, v0
	s_and_saveexec_b32 s1, s0
	s_cbranch_execz .LBB1491_4
; %bb.1:
	s_mov_b32 s7, exec_lo
	s_mov_b32 s6, exec_lo
	v_mbcnt_lo_u32_b32 v1, s7, 0
                                        ; implicit-def: $vgpr2
	v_cmpx_eq_u32_e32 0, v1
	s_cbranch_execz .LBB1491_3
; %bb.2:
	s_load_dwordx2 s[8:9], s[4:5], 0x88
	s_bcnt1_i32_b32 s7, s7
	v_mov_b32_e32 v2, 0
	v_mov_b32_e32 v3, s7
	s_waitcnt lgkmcnt(0)
	global_atomic_add v2, v2, v3, s[8:9] glc
.LBB1491_3:
	s_or_b32 exec_lo, exec_lo, s6
	s_waitcnt vmcnt(0)
	v_readfirstlane_b32 s6, v2
	v_mov_b32_e32 v2, 0
	v_add_nc_u32_e32 v1, s6, v1
	ds_write_b32 v2, v1
.LBB1491_4:
	s_or_b32 exec_lo, exec_lo, s1
	v_mov_b32_e32 v1, 0
	s_clause 0x1
	s_load_dword s6, s[4:5], 0x8
	s_load_dword s1, s[4:5], 0x80
	s_waitcnt lgkmcnt(0)
	s_barrier
	buffer_gl0_inv
	ds_read_b32 v5, v1
	s_waitcnt lgkmcnt(0)
	s_barrier
	buffer_gl0_inv
	global_load_dwordx4 v[1:4], v1, s[26:27]
	s_add_i32 s5, s6, s34
	s_mul_i32 s4, s1, 0xd00
	s_add_i32 s1, s1, -1
	s_add_u32 s6, s34, s4
	s_addc_u32 s7, s35, 0
	v_mul_lo_u32 v31, 0xd00, v5
	v_readfirstlane_b32 s27, v5
	v_cmp_gt_u64_e64 s3, s[2:3], s[6:7]
	v_cmp_ne_u32_e32 vcc_lo, s1, v5
	s_cmp_eq_u32 s27, s1
	s_cselect_b32 s26, -1, 0
	v_add3_u32 v5, v31, s5, v0
	s_or_b32 s1, s3, vcc_lo
	s_mov_b32 s3, -1
	s_and_b32 vcc_lo, exec_lo, s1
	v_add_nc_u32_e32 v6, 0x100, v5
	v_add_nc_u32_e32 v7, 0x200, v5
	v_add_nc_u32_e32 v8, 0x300, v5
	v_add_nc_u32_e32 v9, 0x400, v5
	v_add_nc_u32_e32 v10, 0x500, v5
	v_add_nc_u32_e32 v11, 0x600, v5
	v_add_nc_u32_e32 v12, 0x700, v5
	v_add_nc_u32_e32 v13, 0x800, v5
	v_add_nc_u32_e32 v14, 0x900, v5
	v_add_nc_u32_e32 v15, 0xa00, v5
	v_add_nc_u32_e32 v16, 0xb00, v5
	v_add_nc_u32_e32 v17, 0xc00, v5
	s_cbranch_vccz .LBB1491_6
; %bb.5:
	v_lshlrev_b32_e32 v18, 2, v0
	s_mov_b32 s3, 0
	ds_write2st64_b32 v18, v5, v6 offset1:4
	ds_write2st64_b32 v18, v7, v8 offset0:8 offset1:12
	ds_write2st64_b32 v18, v9, v10 offset0:16 offset1:20
	;; [unrolled: 1-line block ×5, first 2 shown]
	ds_write_b32 v18, v17 offset:12288
	s_waitcnt vmcnt(0) lgkmcnt(0)
	s_barrier
.LBB1491_6:
	s_andn2_b32 vcc_lo, exec_lo, s3
	s_add_i32 s4, s4, s34
	s_cbranch_vccnz .LBB1491_8
; %bb.7:
	v_lshlrev_b32_e32 v18, 2, v0
	ds_write2st64_b32 v18, v5, v6 offset1:4
	ds_write2st64_b32 v18, v7, v8 offset0:8 offset1:12
	ds_write2st64_b32 v18, v9, v10 offset0:16 offset1:20
	;; [unrolled: 1-line block ×5, first 2 shown]
	ds_write_b32 v18, v17 offset:12288
	s_waitcnt vmcnt(0) lgkmcnt(0)
	s_barrier
.LBB1491_8:
	v_mul_u32_u24_e32 v34, 13, v0
	s_waitcnt vmcnt(0)
	buffer_gl0_inv
	v_cndmask_b32_e64 v32, 0, 1, s1
	s_sub_i32 s33, s2, s4
	s_andn2_b32 vcc_lo, exec_lo, s1
	v_lshlrev_b32_e32 v5, 2, v34
	ds_read_b32 v33, v5 offset:48
	ds_read2_b32 v[13:14], v5 offset0:10 offset1:11
	ds_read2_b32 v[15:16], v5 offset0:8 offset1:9
	;; [unrolled: 1-line block ×4, first 2 shown]
	ds_read2_b32 v[23:24], v5 offset1:1
	ds_read2_b32 v[21:22], v5 offset0:2 offset1:3
	s_waitcnt lgkmcnt(0)
	s_barrier
	buffer_gl0_inv
	s_cbranch_vccnz .LBB1491_36
; %bb.9:
	v_add_nc_u32_e32 v5, s17, v23
	v_add_nc_u32_e32 v6, s19, v23
	s_mov_b32 s41, 0
	s_mov_b32 s40, 0
	s_mov_b32 s2, exec_lo
	v_mul_lo_u32 v5, v5, s16
	v_mul_lo_u32 v6, v6, s18
	v_sub_nc_u32_e32 v5, v5, v6
	v_cmp_lt_u32_e32 vcc_lo, s20, v5
	v_cmpx_ge_u32_e64 s20, v5
	s_cbranch_execz .LBB1491_11
; %bb.10:
	v_add_nc_u32_e32 v5, s22, v23
	v_add_nc_u32_e32 v6, s38, v23
	v_mul_lo_u32 v5, v5, s21
	v_mul_lo_u32 v6, v6, s23
	v_sub_nc_u32_e32 v5, v5, v6
	v_cmp_lt_u32_e64 s1, s39, v5
	s_and_b32 s40, s1, exec_lo
.LBB1491_11:
	s_or_b32 exec_lo, exec_lo, s2
	v_add_nc_u32_e32 v5, s17, v24
	v_add_nc_u32_e32 v6, s19, v24
	s_mov_b32 s3, exec_lo
	v_mul_lo_u32 v5, v5, s16
	v_mul_lo_u32 v6, v6, s18
	v_sub_nc_u32_e32 v5, v5, v6
	v_cmp_lt_u32_e64 s1, s20, v5
	v_cmpx_ge_u32_e64 s20, v5
	s_cbranch_execz .LBB1491_13
; %bb.12:
	v_add_nc_u32_e32 v5, s22, v24
	v_add_nc_u32_e32 v6, s38, v24
	v_mul_lo_u32 v5, v5, s21
	v_mul_lo_u32 v6, v6, s23
	v_sub_nc_u32_e32 v5, v5, v6
	v_cmp_lt_u32_e64 s2, s39, v5
	s_and_b32 s41, s2, exec_lo
.LBB1491_13:
	s_or_b32 exec_lo, exec_lo, s3
	v_add_nc_u32_e32 v5, s17, v21
	v_add_nc_u32_e32 v6, s19, v21
	s_mov_b32 s43, 0
	s_mov_b32 s42, 0
	s_mov_b32 s4, exec_lo
	v_mul_lo_u32 v5, v5, s16
	v_mul_lo_u32 v6, v6, s18
	v_sub_nc_u32_e32 v5, v5, v6
	v_cmp_lt_u32_e64 s2, s20, v5
	v_cmpx_ge_u32_e64 s20, v5
	s_cbranch_execz .LBB1491_15
; %bb.14:
	v_add_nc_u32_e32 v5, s22, v21
	v_add_nc_u32_e32 v6, s38, v21
	v_mul_lo_u32 v5, v5, s21
	v_mul_lo_u32 v6, v6, s23
	v_sub_nc_u32_e32 v5, v5, v6
	v_cmp_lt_u32_e64 s3, s39, v5
	s_and_b32 s42, s3, exec_lo
.LBB1491_15:
	s_or_b32 exec_lo, exec_lo, s4
	v_add_nc_u32_e32 v5, s17, v22
	v_add_nc_u32_e32 v6, s19, v22
	s_mov_b32 s5, exec_lo
	v_mul_lo_u32 v5, v5, s16
	v_mul_lo_u32 v6, v6, s18
	v_sub_nc_u32_e32 v5, v5, v6
	v_cmp_lt_u32_e64 s3, s20, v5
	v_cmpx_ge_u32_e64 s20, v5
	s_cbranch_execz .LBB1491_17
; %bb.16:
	v_add_nc_u32_e32 v5, s22, v22
	v_add_nc_u32_e32 v6, s38, v22
	v_mul_lo_u32 v5, v5, s21
	v_mul_lo_u32 v6, v6, s23
	v_sub_nc_u32_e32 v5, v5, v6
	v_cmp_lt_u32_e64 s4, s39, v5
	s_and_b32 s43, s4, exec_lo
.LBB1491_17:
	s_or_b32 exec_lo, exec_lo, s5
	v_add_nc_u32_e32 v5, s17, v19
	v_add_nc_u32_e32 v6, s19, v19
	s_mov_b32 s45, 0
	s_mov_b32 s44, 0
	s_mov_b32 s6, exec_lo
	v_mul_lo_u32 v5, v5, s16
	v_mul_lo_u32 v6, v6, s18
	v_sub_nc_u32_e32 v5, v5, v6
	v_cmp_lt_u32_e64 s4, s20, v5
	;; [unrolled: 40-line block ×6, first 2 shown]
	v_cmpx_ge_u32_e64 s20, v5
	s_cbranch_execz .LBB1491_35
; %bb.34:
	v_add_nc_u32_e32 v5, s22, v33
	v_add_nc_u32_e32 v6, s38, v33
	v_mul_lo_u32 v5, v5, s21
	v_mul_lo_u32 v6, v6, s23
	v_sub_nc_u32_e32 v5, v5, v6
	v_cmp_lt_u32_e64 s13, s39, v5
	s_and_b32 s53, s13, exec_lo
.LBB1491_35:
	s_or_b32 exec_lo, exec_lo, s54
	v_cndmask_b32_e64 v6, 0, 1, s1
	v_cndmask_b32_e64 v8, 0, 1, s3
	v_cndmask_b32_e64 v5, 0, 1, vcc_lo
	v_cndmask_b32_e64 v7, 0, 1, s2
	v_cndmask_b32_e64 v10, 0, 1, s5
	v_lshlrev_b16 v6, 8, v6
	v_lshlrev_b16 v8, 8, v8
	v_cndmask_b32_e64 v12, 0, 1, s7
	v_cndmask_b32_e64 v26, 0, 1, s9
	;; [unrolled: 1-line block ×3, first 2 shown]
	v_or_b32_e32 v5, v5, v6
	v_or_b32_sdwa v6, v7, v8 dst_sel:WORD_1 dst_unused:UNUSED_PAD src0_sel:DWORD src1_sel:DWORD
	v_cndmask_b32_e64 v7, 0, 1, s40
	v_cndmask_b32_e64 v9, 0, 1, s4
	;; [unrolled: 1-line block ×11, first 2 shown]
	v_or_b32_sdwa v35, v5, v6 dst_sel:DWORD dst_unused:UNUSED_PAD src0_sel:WORD_0 src1_sel:DWORD
	v_lshlrev_b16 v5, 8, v10
	v_lshlrev_b16 v6, 8, v12
	;; [unrolled: 1-line block ×5, first 2 shown]
	v_cndmask_b32_e64 v30, 0, 1, s49
	v_cndmask_b32_e64 v37, 0, 1, s47
	;; [unrolled: 1-line block ×5, first 2 shown]
	v_or_b32_e32 v5, v9, v5
	v_or_b32_sdwa v6, v11, v6 dst_sel:WORD_1 dst_unused:UNUSED_PAD src0_sel:DWORD src1_sel:DWORD
	v_or_b32_e32 v9, v25, v10
	v_or_b32_sdwa v10, v27, v12 dst_sel:WORD_1 dst_unused:UNUSED_PAD src0_sel:DWORD src1_sel:DWORD
	v_or_b32_e32 v7, v8, v7
	v_lshlrev_b16 v8, 8, v44
	v_lshlrev_b16 v11, 8, v41
	;; [unrolled: 1-line block ×5, first 2 shown]
	v_or_b32_sdwa v8, v45, v8 dst_sel:WORD_1 dst_unused:UNUSED_PAD src0_sel:DWORD src1_sel:DWORD
	v_or_b32_e32 v11, v43, v11
	v_or_b32_sdwa v12, v40, v12 dst_sel:WORD_1 dst_unused:UNUSED_PAD src0_sel:DWORD src1_sel:DWORD
	v_or_b32_e32 v25, v37, v25
	v_or_b32_sdwa v26, v30, v26 dst_sel:WORD_1 dst_unused:UNUSED_PAD src0_sel:DWORD src1_sel:DWORD
	v_cndmask_b32_e64 v39, 0, 1, s51
	v_cndmask_b32_e64 v42, 0, 1, s53
	v_or_b32_sdwa v37, v5, v6 dst_sel:DWORD dst_unused:UNUSED_PAD src0_sel:WORD_0 src1_sel:DWORD
	v_or_b32_sdwa v40, v9, v10 dst_sel:DWORD dst_unused:UNUSED_PAD src0_sel:WORD_0 src1_sel:DWORD
	;; [unrolled: 1-line block ×5, first 2 shown]
	s_and_b32 vcc_lo, exec_lo, s50
	s_add_i32 s5, s33, 0xd00
	s_cbranch_vccnz .LBB1491_37
	s_branch .LBB1491_114
.LBB1491_36:
                                        ; implicit-def: $vgpr42
                                        ; implicit-def: $vgpr39
                                        ; implicit-def: $vgpr38
                                        ; implicit-def: $vgpr36
                                        ; implicit-def: $vgpr41
                                        ; implicit-def: $vgpr40
                                        ; implicit-def: $vgpr37
                                        ; implicit-def: $vgpr35
	s_add_i32 s5, s33, 0xd00
	s_cbranch_execz .LBB1491_114
.LBB1491_37:
	v_mov_b32_e32 v6, 0
	v_mov_b32_e32 v5, 0
	s_mov_b32 s2, exec_lo
	v_cmpx_gt_u32_e64 s5, v34
	s_cbranch_execz .LBB1491_41
; %bb.38:
	v_add_nc_u32_e32 v5, s17, v23
	v_add_nc_u32_e32 v6, s19, v23
	s_mov_b32 s4, 0
	s_mov_b32 s3, exec_lo
	v_mul_lo_u32 v5, v5, s16
	v_mul_lo_u32 v6, v6, s18
	v_sub_nc_u32_e32 v5, v5, v6
	v_cmp_lt_u32_e32 vcc_lo, s20, v5
	v_cmpx_ge_u32_e64 s20, v5
	s_cbranch_execz .LBB1491_40
; %bb.39:
	v_add_nc_u32_e32 v5, s22, v23
	v_add_nc_u32_e32 v6, s38, v23
	v_mul_lo_u32 v5, v5, s21
	v_mul_lo_u32 v6, v6, s23
	v_sub_nc_u32_e32 v5, v5, v6
	v_cmp_lt_u32_e64 s1, s39, v5
	s_and_b32 s4, s1, exec_lo
.LBB1491_40:
	s_or_b32 exec_lo, exec_lo, s3
	v_cndmask_b32_e64 v6, 0, 1, s4
	v_cndmask_b32_e64 v5, 0, 1, vcc_lo
.LBB1491_41:
	s_or_b32 exec_lo, exec_lo, s2
	v_add_nc_u32_e32 v7, 1, v34
	v_lshlrev_b16 v25, 8, v6
	v_and_b32_e32 v10, 0xff, v5
	v_lshlrev_b16 v11, 8, 0
                                        ; implicit-def: $vgpr9
                                        ; implicit-def: $vgpr12
                                        ; implicit-def: $vgpr6
                                        ; implicit-def: $vgpr8
	v_cmp_le_u32_e32 vcc_lo, s5, v7
                                        ; implicit-def: $vgpr7
	s_and_saveexec_b32 s1, vcc_lo
	s_xor_b32 s1, exec_lo, s1
	s_cbranch_execz .LBB1491_43
; %bb.42:
	v_mov_b32_e32 v5, 8
	v_mov_b32_e32 v6, 0xff
	;; [unrolled: 1-line block ×3, first 2 shown]
	v_and_b32_e32 v8, 0xffff, v11
	v_and_b32_e32 v7, 0xffff, v11
	v_lshrrev_b32_sdwa v5, v5, v25 dst_sel:BYTE_1 dst_unused:UNUSED_PAD src0_sel:DWORD src1_sel:WORD_0
	v_and_b32_sdwa v6, v25, v6 dst_sel:DWORD dst_unused:UNUSED_PAD src0_sel:WORD_0 src1_sel:DWORD
                                        ; implicit-def: $vgpr25
	v_or_b32_e32 v5, v6, v5
	v_and_b32_e32 v6, 0xffff, v11
                                        ; implicit-def: $vgpr11
	v_and_b32_e32 v12, 0xffff, v5
                                        ; implicit-def: $vgpr5
.LBB1491_43:
	s_andn2_saveexec_b32 s2, s1
	s_cbranch_execz .LBB1491_47
; %bb.44:
	v_add_nc_u32_e32 v6, s17, v24
	v_add_nc_u32_e32 v7, s19, v24
	s_mov_b32 s3, 0
	s_mov_b32 s4, exec_lo
	v_mul_lo_u32 v6, v6, s16
	v_mul_lo_u32 v7, v7, s18
	v_sub_nc_u32_e32 v6, v6, v7
	v_cmp_lt_u32_e32 vcc_lo, s20, v6
	v_cmpx_ge_u32_e64 s20, v6
	s_cbranch_execz .LBB1491_46
; %bb.45:
	v_add_nc_u32_e32 v6, s22, v24
	v_add_nc_u32_e32 v7, s38, v24
	v_mul_lo_u32 v6, v6, s21
	v_mul_lo_u32 v7, v7, s23
	v_sub_nc_u32_e32 v6, v6, v7
	v_cmp_lt_u32_e64 s1, s39, v6
	s_and_b32 s3, s1, exec_lo
.LBB1491_46:
	s_or_b32 exec_lo, exec_lo, s4
	v_mov_b32_e32 v6, 0xff
	v_mov_b32_e32 v7, 8
	v_cndmask_b32_e64 v8, 0, 1, vcc_lo
	v_mov_b32_e32 v9, 0
	v_and_b32_sdwa v6, v25, v6 dst_sel:DWORD dst_unused:UNUSED_PAD src0_sel:WORD_0 src1_sel:DWORD
	v_lshrrev_b32_sdwa v7, v7, v25 dst_sel:BYTE_1 dst_unused:UNUSED_PAD src0_sel:DWORD src1_sel:WORD_0
	v_lshlrev_b16 v8, 8, v8
	v_or_b32_e32 v6, v6, v7
	v_cndmask_b32_e64 v7, 0, 1, s3
	v_or_b32_sdwa v5, v5, v8 dst_sel:DWORD dst_unused:UNUSED_PAD src0_sel:BYTE_0 src1_sel:DWORD
	v_and_b32_e32 v8, 0xffff, v11
	v_and_b32_e32 v12, 0xffff, v6
	v_mov_b32_e32 v6, 0
	v_and_b32_e32 v10, 0xffff, v5
	v_lshl_or_b32 v12, v7, 16, v12
	v_and_b32_e32 v7, 0xffff, v11
.LBB1491_47:
	s_or_b32 exec_lo, exec_lo, s2
	v_add_nc_u32_e32 v5, 2, v34
                                        ; implicit-def: $vgpr11
	v_cmp_le_u32_e32 vcc_lo, s5, v5
                                        ; implicit-def: $vgpr5
	s_and_saveexec_b32 s1, vcc_lo
	s_xor_b32 s1, exec_lo, s1
	s_cbranch_execz .LBB1491_49
; %bb.48:
	v_lshrrev_b32_e32 v5, 24, v10
	v_mov_b32_e32 v11, 8
	v_and_b32_e32 v25, 0xff0000, v12
	v_perm_b32 v8, v8, v8, 0x3060504
	v_perm_b32 v5, v5, v10, 0x40c0100
	v_lshrrev_b32_sdwa v10, v11, v5 dst_sel:BYTE_1 dst_unused:UNUSED_PAD src0_sel:DWORD src1_sel:DWORD
	v_or_b32_sdwa v10, v5, v10 dst_sel:DWORD dst_unused:UNUSED_PAD src0_sel:BYTE_0 src1_sel:DWORD
	v_and_b32_e32 v10, 0xffff, v10
	v_and_or_b32 v11, 0xff000000, v5, v10
	v_perm_b32 v5, v12, v25, 0x3020504
                                        ; implicit-def: $vgpr10
                                        ; implicit-def: $vgpr12
.LBB1491_49:
	s_andn2_saveexec_b32 s2, s1
	s_cbranch_execz .LBB1491_53
; %bb.50:
	v_add_nc_u32_e32 v5, s17, v21
	v_add_nc_u32_e32 v11, s19, v21
	s_mov_b32 s3, 0
	s_mov_b32 s4, exec_lo
	v_mul_lo_u32 v5, v5, s16
	v_mul_lo_u32 v11, v11, s18
	v_sub_nc_u32_e32 v5, v5, v11
	v_cmp_lt_u32_e32 vcc_lo, s20, v5
	v_cmpx_ge_u32_e64 s20, v5
	s_cbranch_execz .LBB1491_52
; %bb.51:
	v_add_nc_u32_e32 v5, s22, v21
	v_add_nc_u32_e32 v11, s38, v21
	v_mul_lo_u32 v5, v5, s21
	v_mul_lo_u32 v11, v11, s23
	v_sub_nc_u32_e32 v5, v5, v11
	v_cmp_lt_u32_e64 s1, s39, v5
	s_and_b32 s3, s1, exec_lo
.LBB1491_52:
	s_or_b32 exec_lo, exec_lo, s4
	v_mov_b32_e32 v5, 8
	v_mov_b32_e32 v11, 24
	v_cndmask_b32_e64 v26, 0, 1, s3
	v_mov_b32_e32 v27, 0xff
	v_cndmask_b32_e64 v25, 0, 1, vcc_lo
	v_lshrrev_b32_sdwa v28, v5, v10 dst_sel:BYTE_1 dst_unused:UNUSED_PAD src0_sel:DWORD src1_sel:DWORD
	v_lshrrev_b32_sdwa v11, v11, v10 dst_sel:BYTE_1 dst_unused:UNUSED_PAD src0_sel:DWORD src1_sel:DWORD
	;; [unrolled: 1-line block ×3, first 2 shown]
	v_lshlrev_b16 v26, 8, v26
	v_and_b32_sdwa v27, v12, v27 dst_sel:DWORD dst_unused:UNUSED_PAD src0_sel:WORD_1 src1_sel:DWORD
	v_or_b32_sdwa v10, v10, v28 dst_sel:DWORD dst_unused:UNUSED_PAD src0_sel:BYTE_0 src1_sel:DWORD
	v_or_b32_sdwa v11, v25, v11 dst_sel:WORD_1 dst_unused:UNUSED_PAD src0_sel:DWORD src1_sel:DWORD
	v_or_b32_sdwa v5, v12, v5 dst_sel:DWORD dst_unused:UNUSED_PAD src0_sel:BYTE_0 src1_sel:DWORD
	v_or_b32_sdwa v12, v27, v26 dst_sel:WORD_1 dst_unused:UNUSED_PAD src0_sel:DWORD src1_sel:DWORD
	v_or_b32_sdwa v11, v10, v11 dst_sel:DWORD dst_unused:UNUSED_PAD src0_sel:WORD_0 src1_sel:DWORD
	v_or_b32_sdwa v5, v5, v12 dst_sel:DWORD dst_unused:UNUSED_PAD src0_sel:WORD_0 src1_sel:DWORD
.LBB1491_53:
	s_or_b32 exec_lo, exec_lo, s2
	v_add_nc_u32_e32 v10, 3, v34
                                        ; implicit-def: $vgpr35
	v_cmp_le_u32_e32 vcc_lo, s5, v10
                                        ; implicit-def: $vgpr10
	s_and_saveexec_b32 s1, vcc_lo
	s_xor_b32 s1, exec_lo, s1
	s_cbranch_execz .LBB1491_55
; %bb.54:
	v_mov_b32_e32 v10, 24
	v_mov_b32_e32 v12, 0xff
	;; [unrolled: 1-line block ×3, first 2 shown]
	v_and_b32_e32 v26, 0xff0000, v11
	v_perm_b32 v8, v8, v8, 0x3060504
	v_lshrrev_b32_sdwa v10, v10, v9 dst_sel:BYTE_1 dst_unused:UNUSED_PAD src0_sel:DWORD src1_sel:DWORD
	v_and_b32_sdwa v12, v9, v12 dst_sel:DWORD dst_unused:UNUSED_PAD src0_sel:WORD_1 src1_sel:DWORD
	v_lshrrev_b32_sdwa v9, v25, v9 dst_sel:BYTE_1 dst_unused:UNUSED_PAD src0_sel:DWORD src1_sel:DWORD
	v_perm_b32 v35, v11, v26, 0x3020504
	v_perm_b32 v7, v7, v7, 0x3060504
                                        ; implicit-def: $vgpr11
	v_or_b32_sdwa v10, v12, v10 dst_sel:WORD_1 dst_unused:UNUSED_PAD src0_sel:DWORD src1_sel:DWORD
	v_or_b32_sdwa v10, v9, v10 dst_sel:DWORD dst_unused:UNUSED_PAD src0_sel:WORD_0 src1_sel:DWORD
                                        ; implicit-def: $vgpr9
.LBB1491_55:
	s_andn2_saveexec_b32 s2, s1
	s_cbranch_execz .LBB1491_59
; %bb.56:
	v_add_nc_u32_e32 v10, s17, v22
	v_add_nc_u32_e32 v12, s19, v22
	s_mov_b32 s3, 0
	s_mov_b32 s4, exec_lo
	v_mul_lo_u32 v10, v10, s16
	v_mul_lo_u32 v12, v12, s18
	v_sub_nc_u32_e32 v10, v10, v12
	v_cmp_lt_u32_e32 vcc_lo, s20, v10
	v_cmpx_ge_u32_e64 s20, v10
	s_cbranch_execz .LBB1491_58
; %bb.57:
	v_add_nc_u32_e32 v10, s22, v22
	v_add_nc_u32_e32 v12, s38, v22
	v_mul_lo_u32 v10, v10, s21
	v_mul_lo_u32 v12, v12, s23
	v_sub_nc_u32_e32 v10, v10, v12
	v_cmp_lt_u32_e64 s1, s39, v10
	s_and_b32 s3, s1, exec_lo
.LBB1491_58:
	s_or_b32 exec_lo, exec_lo, s4
	v_mov_b32_e32 v10, 8
	v_cndmask_b32_e64 v12, 0, 1, vcc_lo
	v_mov_b32_e32 v25, 0xff
	v_mov_b32_e32 v26, 24
	v_cndmask_b32_e64 v27, 0, 1, s3
	v_lshrrev_b32_sdwa v28, v10, v11 dst_sel:BYTE_1 dst_unused:UNUSED_PAD src0_sel:DWORD src1_sel:DWORD
	v_lshlrev_b16 v12, 8, v12
	v_and_b32_sdwa v29, v11, v25 dst_sel:DWORD dst_unused:UNUSED_PAD src0_sel:WORD_1 src1_sel:DWORD
	v_lshrrev_b32_sdwa v26, v26, v9 dst_sel:BYTE_1 dst_unused:UNUSED_PAD src0_sel:DWORD src1_sel:DWORD
	v_and_b32_sdwa v25, v9, v25 dst_sel:DWORD dst_unused:UNUSED_PAD src0_sel:WORD_1 src1_sel:DWORD
	v_lshrrev_b32_sdwa v9, v10, v9 dst_sel:BYTE_1 dst_unused:UNUSED_PAD src0_sel:DWORD src1_sel:DWORD
	v_or_b32_sdwa v10, v11, v28 dst_sel:DWORD dst_unused:UNUSED_PAD src0_sel:BYTE_0 src1_sel:DWORD
	v_or_b32_sdwa v11, v29, v12 dst_sel:WORD_1 dst_unused:UNUSED_PAD src0_sel:DWORD src1_sel:DWORD
	v_or_b32_sdwa v12, v25, v26 dst_sel:WORD_1 dst_unused:UNUSED_PAD src0_sel:DWORD src1_sel:DWORD
	v_or_b32_e32 v9, v27, v9
	v_or_b32_sdwa v35, v10, v11 dst_sel:DWORD dst_unused:UNUSED_PAD src0_sel:WORD_0 src1_sel:DWORD
	v_or_b32_sdwa v10, v9, v12 dst_sel:DWORD dst_unused:UNUSED_PAD src0_sel:WORD_0 src1_sel:DWORD
.LBB1491_59:
	s_or_b32 exec_lo, exec_lo, s2
	v_add_nc_u32_e32 v9, 4, v34
                                        ; implicit-def: $vgpr11
	v_cmp_le_u32_e32 vcc_lo, s5, v9
                                        ; implicit-def: $vgpr9
	s_and_saveexec_b32 s1, vcc_lo
	s_xor_b32 s1, exec_lo, s1
	s_cbranch_execz .LBB1491_61
; %bb.60:
	v_mov_b32_e32 v9, 24
	v_mov_b32_e32 v11, 0xff
	;; [unrolled: 1-line block ×3, first 2 shown]
	v_perm_b32 v7, v7, v7, 0x3060504
	v_lshrrev_b32_sdwa v25, v9, v8 dst_sel:BYTE_1 dst_unused:UNUSED_PAD src0_sel:DWORD src1_sel:DWORD
	v_and_b32_sdwa v26, v8, v11 dst_sel:DWORD dst_unused:UNUSED_PAD src0_sel:WORD_1 src1_sel:DWORD
	v_lshrrev_b32_sdwa v9, v9, v10 dst_sel:BYTE_1 dst_unused:UNUSED_PAD src0_sel:DWORD src1_sel:DWORD
	v_and_b32_sdwa v11, v10, v11 dst_sel:DWORD dst_unused:UNUSED_PAD src0_sel:WORD_1 src1_sel:DWORD
	v_lshrrev_b32_sdwa v8, v12, v8 dst_sel:BYTE_1 dst_unused:UNUSED_PAD src0_sel:DWORD src1_sel:DWORD
	v_or_b32_sdwa v12, v26, v25 dst_sel:WORD_1 dst_unused:UNUSED_PAD src0_sel:DWORD src1_sel:DWORD
	v_or_b32_e32 v11, v11, v9
	v_or_b32_sdwa v9, v8, v12 dst_sel:DWORD dst_unused:UNUSED_PAD src0_sel:WORD_0 src1_sel:DWORD
                                        ; implicit-def: $vgpr8
	v_perm_b32 v11, v11, v10, 0x5040c00
                                        ; implicit-def: $vgpr10
.LBB1491_61:
	s_andn2_saveexec_b32 s2, s1
	s_cbranch_execz .LBB1491_65
; %bb.62:
	v_add_nc_u32_e32 v9, s17, v19
	v_add_nc_u32_e32 v11, s19, v19
	s_mov_b32 s3, 0
	s_mov_b32 s4, exec_lo
	v_mul_lo_u32 v9, v9, s16
	v_mul_lo_u32 v11, v11, s18
	v_sub_nc_u32_e32 v9, v9, v11
	v_cmp_lt_u32_e32 vcc_lo, s20, v9
	v_cmpx_ge_u32_e64 s20, v9
	s_cbranch_execz .LBB1491_64
; %bb.63:
	v_add_nc_u32_e32 v9, s22, v19
	v_add_nc_u32_e32 v11, s38, v19
	v_mul_lo_u32 v9, v9, s21
	v_mul_lo_u32 v11, v11, s23
	v_sub_nc_u32_e32 v9, v9, v11
	v_cmp_lt_u32_e64 s1, s39, v9
	s_and_b32 s3, s1, exec_lo
.LBB1491_64:
	s_or_b32 exec_lo, exec_lo, s4
	v_mov_b32_e32 v9, 24
	v_mov_b32_e32 v11, 0xff
	;; [unrolled: 1-line block ×3, first 2 shown]
	v_cndmask_b32_e64 v25, 0, 1, s3
	v_cndmask_b32_e64 v26, 0, 1, vcc_lo
	v_lshrrev_b32_sdwa v27, v9, v8 dst_sel:BYTE_1 dst_unused:UNUSED_PAD src0_sel:DWORD src1_sel:DWORD
	v_and_b32_sdwa v28, v8, v11 dst_sel:DWORD dst_unused:UNUSED_PAD src0_sel:WORD_1 src1_sel:DWORD
	v_lshrrev_b32_sdwa v8, v12, v8 dst_sel:BYTE_1 dst_unused:UNUSED_PAD src0_sel:DWORD src1_sel:DWORD
	v_lshlrev_b16 v12, 8, v25
	v_lshrrev_b32_sdwa v9, v9, v10 dst_sel:BYTE_1 dst_unused:UNUSED_PAD src0_sel:DWORD src1_sel:DWORD
	v_and_b32_sdwa v11, v10, v11 dst_sel:DWORD dst_unused:UNUSED_PAD src0_sel:WORD_1 src1_sel:DWORD
	v_or_b32_sdwa v25, v28, v27 dst_sel:WORD_1 dst_unused:UNUSED_PAD src0_sel:DWORD src1_sel:DWORD
	v_or_b32_e32 v8, v26, v8
	v_or_b32_sdwa v10, v10, v12 dst_sel:DWORD dst_unused:UNUSED_PAD src0_sel:BYTE_0 src1_sel:DWORD
	v_or_b32_sdwa v11, v11, v9 dst_sel:WORD_1 dst_unused:UNUSED_PAD src0_sel:DWORD src1_sel:DWORD
	v_or_b32_sdwa v9, v8, v25 dst_sel:DWORD dst_unused:UNUSED_PAD src0_sel:WORD_0 src1_sel:DWORD
	v_or_b32_sdwa v11, v10, v11 dst_sel:DWORD dst_unused:UNUSED_PAD src0_sel:WORD_0 src1_sel:DWORD
.LBB1491_65:
	s_or_b32 exec_lo, exec_lo, s2
	v_add_nc_u32_e32 v8, 5, v34
                                        ; implicit-def: $vgpr10
	v_cmp_le_u32_e32 vcc_lo, s5, v8
                                        ; implicit-def: $vgpr8
	s_and_saveexec_b32 s1, vcc_lo
	s_xor_b32 s1, exec_lo, s1
	s_cbranch_execz .LBB1491_67
; %bb.66:
	v_lshrrev_b32_e32 v8, 24, v11
	v_mov_b32_e32 v10, 8
	v_mov_b32_e32 v12, 0xff
	v_perm_b32 v7, v7, v7, 0x3060504
	v_perm_b32 v8, v8, v11, 0x40c0100
	v_mov_b32_e32 v11, 24
	v_and_b32_sdwa v12, v9, v12 dst_sel:DWORD dst_unused:UNUSED_PAD src0_sel:WORD_1 src1_sel:DWORD
	v_lshrrev_b32_sdwa v10, v10, v8 dst_sel:BYTE_1 dst_unused:UNUSED_PAD src0_sel:DWORD src1_sel:DWORD
	v_lshrrev_b32_sdwa v11, v11, v9 dst_sel:BYTE_1 dst_unused:UNUSED_PAD src0_sel:DWORD src1_sel:DWORD
	v_or_b32_sdwa v10, v8, v10 dst_sel:DWORD dst_unused:UNUSED_PAD src0_sel:BYTE_0 src1_sel:DWORD
	v_or_b32_e32 v11, v12, v11
	v_and_b32_e32 v12, 0xffff, v10
	v_perm_b32 v10, v11, v9, 0x5040c00
                                        ; implicit-def: $vgpr9
                                        ; implicit-def: $vgpr11
	v_and_or_b32 v8, 0xff000000, v8, v12
.LBB1491_67:
	s_andn2_saveexec_b32 s2, s1
	s_cbranch_execz .LBB1491_71
; %bb.68:
	v_add_nc_u32_e32 v8, s17, v20
	v_add_nc_u32_e32 v10, s19, v20
	s_mov_b32 s3, 0
	s_mov_b32 s4, exec_lo
	v_mul_lo_u32 v8, v8, s16
	v_mul_lo_u32 v10, v10, s18
	v_sub_nc_u32_e32 v8, v8, v10
	v_cmp_lt_u32_e32 vcc_lo, s20, v8
	v_cmpx_ge_u32_e64 s20, v8
	s_cbranch_execz .LBB1491_70
; %bb.69:
	v_add_nc_u32_e32 v8, s22, v20
	v_add_nc_u32_e32 v10, s38, v20
	v_mul_lo_u32 v8, v8, s21
	v_mul_lo_u32 v10, v10, s23
	v_sub_nc_u32_e32 v8, v8, v10
	v_cmp_lt_u32_e64 s1, s39, v8
	s_and_b32 s3, s1, exec_lo
.LBB1491_70:
	s_or_b32 exec_lo, exec_lo, s4
	v_cndmask_b32_e64 v8, 0, 1, vcc_lo
	v_mov_b32_e32 v10, 24
	v_mov_b32_e32 v12, 0xff
	;; [unrolled: 1-line block ×3, first 2 shown]
	v_cndmask_b32_e64 v26, 0, 1, s3
	v_lshlrev_b16 v8, 8, v8
	v_lshrrev_b32_sdwa v27, v10, v9 dst_sel:BYTE_1 dst_unused:UNUSED_PAD src0_sel:DWORD src1_sel:DWORD
	v_and_b32_sdwa v12, v9, v12 dst_sel:DWORD dst_unused:UNUSED_PAD src0_sel:WORD_1 src1_sel:DWORD
	v_lshrrev_b32_sdwa v25, v25, v11 dst_sel:BYTE_1 dst_unused:UNUSED_PAD src0_sel:DWORD src1_sel:DWORD
	v_lshrrev_b32_sdwa v10, v10, v11 dst_sel:BYTE_1 dst_unused:UNUSED_PAD src0_sel:DWORD src1_sel:DWORD
	v_or_b32_sdwa v8, v9, v8 dst_sel:DWORD dst_unused:UNUSED_PAD src0_sel:BYTE_0 src1_sel:DWORD
	v_or_b32_sdwa v9, v12, v27 dst_sel:WORD_1 dst_unused:UNUSED_PAD src0_sel:DWORD src1_sel:DWORD
	v_or_b32_sdwa v11, v11, v25 dst_sel:DWORD dst_unused:UNUSED_PAD src0_sel:BYTE_0 src1_sel:DWORD
	v_or_b32_sdwa v12, v26, v10 dst_sel:WORD_1 dst_unused:UNUSED_PAD src0_sel:DWORD src1_sel:DWORD
	v_or_b32_sdwa v10, v8, v9 dst_sel:DWORD dst_unused:UNUSED_PAD src0_sel:WORD_0 src1_sel:DWORD
	v_or_b32_sdwa v8, v11, v12 dst_sel:DWORD dst_unused:UNUSED_PAD src0_sel:WORD_0 src1_sel:DWORD
.LBB1491_71:
	s_or_b32 exec_lo, exec_lo, s2
	v_add_nc_u32_e32 v9, 6, v34
                                        ; implicit-def: $vgpr36
	v_cmp_le_u32_e32 vcc_lo, s5, v9
                                        ; implicit-def: $vgpr9
	s_and_saveexec_b32 s1, vcc_lo
	s_xor_b32 s1, exec_lo, s1
	s_cbranch_execz .LBB1491_73
; %bb.72:
	v_lshrrev_b32_e32 v9, 24, v10
	v_mov_b32_e32 v11, 8
	v_perm_b32 v7, v7, v7, 0x3060504
	v_perm_b32 v9, v9, v10, 0x40c0100
	v_lshrrev_b32_sdwa v10, v11, v9 dst_sel:BYTE_1 dst_unused:UNUSED_PAD src0_sel:DWORD src1_sel:DWORD
	v_and_b32_e32 v11, 0xff0000, v8
	v_or_b32_sdwa v10, v9, v10 dst_sel:DWORD dst_unused:UNUSED_PAD src0_sel:BYTE_0 src1_sel:DWORD
	v_perm_b32 v36, v8, v11, 0x3020504
                                        ; implicit-def: $vgpr8
	v_and_b32_e32 v10, 0xffff, v10
	v_and_or_b32 v9, 0xff000000, v9, v10
                                        ; implicit-def: $vgpr10
.LBB1491_73:
	s_andn2_saveexec_b32 s2, s1
	s_cbranch_execz .LBB1491_77
; %bb.74:
	v_add_nc_u32_e32 v9, s17, v17
	v_add_nc_u32_e32 v11, s19, v17
	s_mov_b32 s3, 0
	s_mov_b32 s4, exec_lo
	v_mul_lo_u32 v9, v9, s16
	v_mul_lo_u32 v11, v11, s18
	v_sub_nc_u32_e32 v9, v9, v11
	v_cmp_lt_u32_e32 vcc_lo, s20, v9
	v_cmpx_ge_u32_e64 s20, v9
	s_cbranch_execz .LBB1491_76
; %bb.75:
	v_add_nc_u32_e32 v9, s22, v17
	v_add_nc_u32_e32 v11, s38, v17
	v_mul_lo_u32 v9, v9, s21
	v_mul_lo_u32 v11, v11, s23
	v_sub_nc_u32_e32 v9, v9, v11
	v_cmp_lt_u32_e64 s1, s39, v9
	s_and_b32 s3, s1, exec_lo
.LBB1491_76:
	s_or_b32 exec_lo, exec_lo, s4
	v_mov_b32_e32 v9, 8
	v_mov_b32_e32 v11, 24
	v_cndmask_b32_e64 v25, 0, 1, s3
	v_mov_b32_e32 v26, 0xff
	v_cndmask_b32_e64 v12, 0, 1, vcc_lo
	v_lshrrev_b32_sdwa v27, v9, v10 dst_sel:BYTE_1 dst_unused:UNUSED_PAD src0_sel:DWORD src1_sel:DWORD
	v_lshrrev_b32_sdwa v11, v11, v10 dst_sel:BYTE_1 dst_unused:UNUSED_PAD src0_sel:DWORD src1_sel:DWORD
	v_lshrrev_b32_sdwa v9, v9, v8 dst_sel:BYTE_1 dst_unused:UNUSED_PAD src0_sel:DWORD src1_sel:DWORD
	v_lshlrev_b16 v25, 8, v25
	v_and_b32_sdwa v26, v8, v26 dst_sel:DWORD dst_unused:UNUSED_PAD src0_sel:WORD_1 src1_sel:DWORD
	v_or_b32_sdwa v10, v10, v27 dst_sel:DWORD dst_unused:UNUSED_PAD src0_sel:BYTE_0 src1_sel:DWORD
	v_or_b32_sdwa v11, v12, v11 dst_sel:WORD_1 dst_unused:UNUSED_PAD src0_sel:DWORD src1_sel:DWORD
	v_or_b32_sdwa v8, v8, v9 dst_sel:DWORD dst_unused:UNUSED_PAD src0_sel:BYTE_0 src1_sel:DWORD
	v_or_b32_sdwa v12, v26, v25 dst_sel:WORD_1 dst_unused:UNUSED_PAD src0_sel:DWORD src1_sel:DWORD
	v_or_b32_sdwa v9, v10, v11 dst_sel:DWORD dst_unused:UNUSED_PAD src0_sel:WORD_0 src1_sel:DWORD
	v_or_b32_sdwa v36, v8, v12 dst_sel:DWORD dst_unused:UNUSED_PAD src0_sel:WORD_0 src1_sel:DWORD
.LBB1491_77:
	s_or_b32 exec_lo, exec_lo, s2
	v_add_nc_u32_e32 v8, 7, v34
                                        ; implicit-def: $vgpr37
	v_cmp_le_u32_e32 vcc_lo, s5, v8
                                        ; implicit-def: $vgpr8
	s_and_saveexec_b32 s1, vcc_lo
	s_xor_b32 s1, exec_lo, s1
	s_cbranch_execz .LBB1491_79
; %bb.78:
	v_mov_b32_e32 v8, 24
	v_mov_b32_e32 v10, 0xff
	;; [unrolled: 1-line block ×3, first 2 shown]
	v_lshrrev_b32_sdwa v8, v8, v7 dst_sel:BYTE_1 dst_unused:UNUSED_PAD src0_sel:DWORD src1_sel:DWORD
	v_and_b32_sdwa v10, v7, v10 dst_sel:DWORD dst_unused:UNUSED_PAD src0_sel:WORD_1 src1_sel:DWORD
	v_lshrrev_b32_sdwa v7, v11, v7 dst_sel:BYTE_1 dst_unused:UNUSED_PAD src0_sel:DWORD src1_sel:DWORD
	v_and_b32_e32 v11, 0xff0000, v9
	v_or_b32_sdwa v8, v10, v8 dst_sel:WORD_1 dst_unused:UNUSED_PAD src0_sel:DWORD src1_sel:DWORD
	v_perm_b32 v37, v9, v11, 0x3020504
                                        ; implicit-def: $vgpr9
	v_or_b32_sdwa v8, v7, v8 dst_sel:DWORD dst_unused:UNUSED_PAD src0_sel:WORD_0 src1_sel:DWORD
                                        ; implicit-def: $vgpr7
.LBB1491_79:
	s_andn2_saveexec_b32 s2, s1
	s_cbranch_execz .LBB1491_83
; %bb.80:
	v_add_nc_u32_e32 v8, s17, v18
	v_add_nc_u32_e32 v10, s19, v18
	s_mov_b32 s3, 0
	s_mov_b32 s4, exec_lo
	v_mul_lo_u32 v8, v8, s16
	v_mul_lo_u32 v10, v10, s18
	v_sub_nc_u32_e32 v8, v8, v10
	v_cmp_lt_u32_e32 vcc_lo, s20, v8
	v_cmpx_ge_u32_e64 s20, v8
	s_cbranch_execz .LBB1491_82
; %bb.81:
	v_add_nc_u32_e32 v8, s22, v18
	v_add_nc_u32_e32 v10, s38, v18
	v_mul_lo_u32 v8, v8, s21
	v_mul_lo_u32 v10, v10, s23
	v_sub_nc_u32_e32 v8, v8, v10
	v_cmp_lt_u32_e64 s1, s39, v8
	s_and_b32 s3, s1, exec_lo
.LBB1491_82:
	s_or_b32 exec_lo, exec_lo, s4
	v_mov_b32_e32 v8, 8
	v_cndmask_b32_e64 v10, 0, 1, vcc_lo
	v_mov_b32_e32 v11, 0xff
	v_mov_b32_e32 v12, 24
	v_cndmask_b32_e64 v25, 0, 1, s3
	v_lshrrev_b32_sdwa v26, v8, v9 dst_sel:BYTE_1 dst_unused:UNUSED_PAD src0_sel:DWORD src1_sel:DWORD
	v_lshlrev_b16 v10, 8, v10
	v_and_b32_sdwa v27, v9, v11 dst_sel:DWORD dst_unused:UNUSED_PAD src0_sel:WORD_1 src1_sel:DWORD
	v_lshrrev_b32_sdwa v12, v12, v7 dst_sel:BYTE_1 dst_unused:UNUSED_PAD src0_sel:DWORD src1_sel:DWORD
	v_and_b32_sdwa v11, v7, v11 dst_sel:DWORD dst_unused:UNUSED_PAD src0_sel:WORD_1 src1_sel:DWORD
	v_lshrrev_b32_sdwa v7, v8, v7 dst_sel:BYTE_1 dst_unused:UNUSED_PAD src0_sel:DWORD src1_sel:DWORD
	v_or_b32_sdwa v8, v9, v26 dst_sel:DWORD dst_unused:UNUSED_PAD src0_sel:BYTE_0 src1_sel:DWORD
	v_or_b32_sdwa v9, v27, v10 dst_sel:WORD_1 dst_unused:UNUSED_PAD src0_sel:DWORD src1_sel:DWORD
	v_or_b32_sdwa v10, v11, v12 dst_sel:WORD_1 dst_unused:UNUSED_PAD src0_sel:DWORD src1_sel:DWORD
	v_or_b32_e32 v7, v25, v7
	v_or_b32_sdwa v37, v8, v9 dst_sel:DWORD dst_unused:UNUSED_PAD src0_sel:WORD_0 src1_sel:DWORD
	v_or_b32_sdwa v8, v7, v10 dst_sel:DWORD dst_unused:UNUSED_PAD src0_sel:WORD_0 src1_sel:DWORD
.LBB1491_83:
	s_or_b32 exec_lo, exec_lo, s2
	v_add_nc_u32_e32 v7, 8, v34
                                        ; implicit-def: $vgpr9
	v_cmp_le_u32_e32 vcc_lo, s5, v7
                                        ; implicit-def: $vgpr7
	s_and_saveexec_b32 s1, vcc_lo
	s_xor_b32 s1, exec_lo, s1
	s_cbranch_execz .LBB1491_85
; %bb.84:
	v_mov_b32_e32 v7, 24
	v_mov_b32_e32 v9, 0xff
	;; [unrolled: 1-line block ×3, first 2 shown]
	v_perm_b32 v5, v5, v5, 0x3060504
	v_lshrrev_b32_sdwa v11, v7, v8 dst_sel:BYTE_1 dst_unused:UNUSED_PAD src0_sel:DWORD src1_sel:DWORD
	v_lshrrev_b32_sdwa v7, v7, v6 dst_sel:BYTE_1 dst_unused:UNUSED_PAD src0_sel:DWORD src1_sel:DWORD
	v_and_b32_sdwa v12, v6, v9 dst_sel:DWORD dst_unused:UNUSED_PAD src0_sel:WORD_1 src1_sel:DWORD
	v_and_b32_sdwa v9, v8, v9 dst_sel:DWORD dst_unused:UNUSED_PAD src0_sel:WORD_1 src1_sel:DWORD
	v_lshrrev_b32_sdwa v6, v10, v6 dst_sel:BYTE_1 dst_unused:UNUSED_PAD src0_sel:DWORD src1_sel:DWORD
	v_or_b32_sdwa v7, v12, v7 dst_sel:WORD_1 dst_unused:UNUSED_PAD src0_sel:DWORD src1_sel:DWORD
	v_or_b32_e32 v9, v9, v11
	v_or_b32_sdwa v7, v6, v7 dst_sel:DWORD dst_unused:UNUSED_PAD src0_sel:WORD_0 src1_sel:DWORD
	v_perm_b32 v9, v9, v8, 0x5040c00
                                        ; implicit-def: $vgpr6
                                        ; implicit-def: $vgpr8
.LBB1491_85:
	s_andn2_saveexec_b32 s2, s1
	s_cbranch_execz .LBB1491_89
; %bb.86:
	v_add_nc_u32_e32 v7, s17, v15
	v_add_nc_u32_e32 v9, s19, v15
	s_mov_b32 s3, 0
	s_mov_b32 s4, exec_lo
	v_mul_lo_u32 v7, v7, s16
	v_mul_lo_u32 v9, v9, s18
	v_sub_nc_u32_e32 v7, v7, v9
	v_cmp_lt_u32_e32 vcc_lo, s20, v7
	v_cmpx_ge_u32_e64 s20, v7
	s_cbranch_execz .LBB1491_88
; %bb.87:
	v_add_nc_u32_e32 v7, s22, v15
	v_add_nc_u32_e32 v9, s38, v15
	v_mul_lo_u32 v7, v7, s21
	v_mul_lo_u32 v9, v9, s23
	v_sub_nc_u32_e32 v7, v7, v9
	v_cmp_lt_u32_e64 s1, s39, v7
	s_and_b32 s3, s1, exec_lo
.LBB1491_88:
	s_or_b32 exec_lo, exec_lo, s4
	v_mov_b32_e32 v7, 24
	v_mov_b32_e32 v9, 0xff
	;; [unrolled: 1-line block ×3, first 2 shown]
	v_cndmask_b32_e64 v11, 0, 1, s3
	v_cndmask_b32_e64 v12, 0, 1, vcc_lo
	v_lshrrev_b32_sdwa v25, v7, v6 dst_sel:BYTE_1 dst_unused:UNUSED_PAD src0_sel:DWORD src1_sel:DWORD
	v_and_b32_sdwa v26, v6, v9 dst_sel:DWORD dst_unused:UNUSED_PAD src0_sel:WORD_1 src1_sel:DWORD
	v_lshrrev_b32_sdwa v6, v10, v6 dst_sel:BYTE_1 dst_unused:UNUSED_PAD src0_sel:DWORD src1_sel:DWORD
	v_lshlrev_b16 v10, 8, v11
	v_lshrrev_b32_sdwa v7, v7, v8 dst_sel:BYTE_1 dst_unused:UNUSED_PAD src0_sel:DWORD src1_sel:DWORD
	v_and_b32_sdwa v9, v8, v9 dst_sel:DWORD dst_unused:UNUSED_PAD src0_sel:WORD_1 src1_sel:DWORD
	v_or_b32_sdwa v11, v26, v25 dst_sel:WORD_1 dst_unused:UNUSED_PAD src0_sel:DWORD src1_sel:DWORD
	v_or_b32_e32 v6, v12, v6
	v_or_b32_sdwa v8, v8, v10 dst_sel:DWORD dst_unused:UNUSED_PAD src0_sel:BYTE_0 src1_sel:DWORD
	v_or_b32_sdwa v9, v9, v7 dst_sel:WORD_1 dst_unused:UNUSED_PAD src0_sel:DWORD src1_sel:DWORD
	v_or_b32_sdwa v7, v6, v11 dst_sel:DWORD dst_unused:UNUSED_PAD src0_sel:WORD_0 src1_sel:DWORD
	v_or_b32_sdwa v9, v8, v9 dst_sel:DWORD dst_unused:UNUSED_PAD src0_sel:WORD_0 src1_sel:DWORD
.LBB1491_89:
	s_or_b32 exec_lo, exec_lo, s2
	v_add_nc_u32_e32 v6, 9, v34
                                        ; implicit-def: $vgpr8
	v_cmp_le_u32_e32 vcc_lo, s5, v6
                                        ; implicit-def: $vgpr6
	s_and_saveexec_b32 s1, vcc_lo
	s_xor_b32 s1, exec_lo, s1
	s_cbranch_execz .LBB1491_91
; %bb.90:
	v_lshrrev_b32_e32 v6, 24, v9
	v_mov_b32_e32 v8, 8
	v_mov_b32_e32 v10, 0xff
	v_perm_b32 v5, v5, v5, 0x3060504
	v_perm_b32 v6, v6, v9, 0x40c0100
	v_mov_b32_e32 v9, 24
	v_and_b32_sdwa v10, v7, v10 dst_sel:DWORD dst_unused:UNUSED_PAD src0_sel:WORD_1 src1_sel:DWORD
	v_lshrrev_b32_sdwa v8, v8, v6 dst_sel:BYTE_1 dst_unused:UNUSED_PAD src0_sel:DWORD src1_sel:DWORD
	v_lshrrev_b32_sdwa v9, v9, v7 dst_sel:BYTE_1 dst_unused:UNUSED_PAD src0_sel:DWORD src1_sel:DWORD
	v_or_b32_sdwa v8, v6, v8 dst_sel:DWORD dst_unused:UNUSED_PAD src0_sel:BYTE_0 src1_sel:DWORD
	v_or_b32_e32 v9, v10, v9
	v_and_b32_e32 v10, 0xffff, v8
	v_perm_b32 v8, v9, v7, 0x5040c00
                                        ; implicit-def: $vgpr7
                                        ; implicit-def: $vgpr9
	v_and_or_b32 v6, 0xff000000, v6, v10
.LBB1491_91:
	s_andn2_saveexec_b32 s2, s1
	s_cbranch_execz .LBB1491_95
; %bb.92:
	v_add_nc_u32_e32 v6, s17, v16
	v_add_nc_u32_e32 v8, s19, v16
	s_mov_b32 s3, 0
	s_mov_b32 s4, exec_lo
	v_mul_lo_u32 v6, v6, s16
	v_mul_lo_u32 v8, v8, s18
	v_sub_nc_u32_e32 v6, v6, v8
	v_cmp_lt_u32_e32 vcc_lo, s20, v6
	v_cmpx_ge_u32_e64 s20, v6
	s_cbranch_execz .LBB1491_94
; %bb.93:
	v_add_nc_u32_e32 v6, s22, v16
	v_add_nc_u32_e32 v8, s38, v16
	v_mul_lo_u32 v6, v6, s21
	v_mul_lo_u32 v8, v8, s23
	v_sub_nc_u32_e32 v6, v6, v8
	v_cmp_lt_u32_e64 s1, s39, v6
	s_and_b32 s3, s1, exec_lo
.LBB1491_94:
	s_or_b32 exec_lo, exec_lo, s4
	v_cndmask_b32_e64 v6, 0, 1, vcc_lo
	v_mov_b32_e32 v8, 24
	v_mov_b32_e32 v10, 0xff
	;; [unrolled: 1-line block ×3, first 2 shown]
	v_cndmask_b32_e64 v12, 0, 1, s3
	v_lshlrev_b16 v6, 8, v6
	v_lshrrev_b32_sdwa v25, v8, v7 dst_sel:BYTE_1 dst_unused:UNUSED_PAD src0_sel:DWORD src1_sel:DWORD
	v_and_b32_sdwa v10, v7, v10 dst_sel:DWORD dst_unused:UNUSED_PAD src0_sel:WORD_1 src1_sel:DWORD
	v_lshrrev_b32_sdwa v11, v11, v9 dst_sel:BYTE_1 dst_unused:UNUSED_PAD src0_sel:DWORD src1_sel:DWORD
	v_lshrrev_b32_sdwa v8, v8, v9 dst_sel:BYTE_1 dst_unused:UNUSED_PAD src0_sel:DWORD src1_sel:DWORD
	v_or_b32_sdwa v6, v7, v6 dst_sel:DWORD dst_unused:UNUSED_PAD src0_sel:BYTE_0 src1_sel:DWORD
	v_or_b32_sdwa v7, v10, v25 dst_sel:WORD_1 dst_unused:UNUSED_PAD src0_sel:DWORD src1_sel:DWORD
	v_or_b32_sdwa v9, v9, v11 dst_sel:DWORD dst_unused:UNUSED_PAD src0_sel:BYTE_0 src1_sel:DWORD
	v_or_b32_sdwa v10, v12, v8 dst_sel:WORD_1 dst_unused:UNUSED_PAD src0_sel:DWORD src1_sel:DWORD
	v_or_b32_sdwa v8, v6, v7 dst_sel:DWORD dst_unused:UNUSED_PAD src0_sel:WORD_0 src1_sel:DWORD
	v_or_b32_sdwa v6, v9, v10 dst_sel:DWORD dst_unused:UNUSED_PAD src0_sel:WORD_0 src1_sel:DWORD
.LBB1491_95:
	s_or_b32 exec_lo, exec_lo, s2
	v_add_nc_u32_e32 v7, 10, v34
                                        ; implicit-def: $vgpr38
	v_cmp_le_u32_e32 vcc_lo, s5, v7
                                        ; implicit-def: $vgpr7
	s_and_saveexec_b32 s1, vcc_lo
	s_xor_b32 s1, exec_lo, s1
	s_cbranch_execz .LBB1491_97
; %bb.96:
	v_lshrrev_b32_e32 v7, 24, v8
	v_mov_b32_e32 v9, 8
	v_perm_b32 v5, v5, v5, 0x3060504
	v_perm_b32 v7, v7, v8, 0x40c0100
	v_lshrrev_b32_sdwa v8, v9, v7 dst_sel:BYTE_1 dst_unused:UNUSED_PAD src0_sel:DWORD src1_sel:DWORD
	v_and_b32_e32 v9, 0xff0000, v6
	v_or_b32_sdwa v8, v7, v8 dst_sel:DWORD dst_unused:UNUSED_PAD src0_sel:BYTE_0 src1_sel:DWORD
	v_perm_b32 v38, v6, v9, 0x3020504
                                        ; implicit-def: $vgpr6
	v_and_b32_e32 v8, 0xffff, v8
	v_and_or_b32 v7, 0xff000000, v7, v8
                                        ; implicit-def: $vgpr8
.LBB1491_97:
	s_andn2_saveexec_b32 s2, s1
	s_cbranch_execz .LBB1491_101
; %bb.98:
	v_add_nc_u32_e32 v7, s17, v13
	v_add_nc_u32_e32 v9, s19, v13
	s_mov_b32 s3, 0
	s_mov_b32 s4, exec_lo
	v_mul_lo_u32 v7, v7, s16
	v_mul_lo_u32 v9, v9, s18
	v_sub_nc_u32_e32 v7, v7, v9
	v_cmp_lt_u32_e32 vcc_lo, s20, v7
	v_cmpx_ge_u32_e64 s20, v7
	s_cbranch_execz .LBB1491_100
; %bb.99:
	v_add_nc_u32_e32 v7, s22, v13
	v_add_nc_u32_e32 v9, s38, v13
	v_mul_lo_u32 v7, v7, s21
	v_mul_lo_u32 v9, v9, s23
	v_sub_nc_u32_e32 v7, v7, v9
	v_cmp_lt_u32_e64 s1, s39, v7
	s_and_b32 s3, s1, exec_lo
.LBB1491_100:
	s_or_b32 exec_lo, exec_lo, s4
	v_mov_b32_e32 v7, 8
	v_mov_b32_e32 v9, 24
	v_cndmask_b32_e64 v11, 0, 1, s3
	v_mov_b32_e32 v12, 0xff
	v_cndmask_b32_e64 v10, 0, 1, vcc_lo
	v_lshrrev_b32_sdwa v25, v7, v8 dst_sel:BYTE_1 dst_unused:UNUSED_PAD src0_sel:DWORD src1_sel:DWORD
	v_lshrrev_b32_sdwa v9, v9, v8 dst_sel:BYTE_1 dst_unused:UNUSED_PAD src0_sel:DWORD src1_sel:DWORD
	;; [unrolled: 1-line block ×3, first 2 shown]
	v_lshlrev_b16 v11, 8, v11
	v_and_b32_sdwa v12, v6, v12 dst_sel:DWORD dst_unused:UNUSED_PAD src0_sel:WORD_1 src1_sel:DWORD
	v_or_b32_sdwa v8, v8, v25 dst_sel:DWORD dst_unused:UNUSED_PAD src0_sel:BYTE_0 src1_sel:DWORD
	v_or_b32_sdwa v9, v10, v9 dst_sel:WORD_1 dst_unused:UNUSED_PAD src0_sel:DWORD src1_sel:DWORD
	v_or_b32_sdwa v6, v6, v7 dst_sel:DWORD dst_unused:UNUSED_PAD src0_sel:BYTE_0 src1_sel:DWORD
	v_or_b32_sdwa v10, v12, v11 dst_sel:WORD_1 dst_unused:UNUSED_PAD src0_sel:DWORD src1_sel:DWORD
	v_or_b32_sdwa v7, v8, v9 dst_sel:DWORD dst_unused:UNUSED_PAD src0_sel:WORD_0 src1_sel:DWORD
	v_or_b32_sdwa v38, v6, v10 dst_sel:DWORD dst_unused:UNUSED_PAD src0_sel:WORD_0 src1_sel:DWORD
.LBB1491_101:
	s_or_b32 exec_lo, exec_lo, s2
	v_add_nc_u32_e32 v6, 11, v34
	v_mov_b32_e32 v39, 0
	s_mov_b32 s1, exec_lo
                                        ; implicit-def: $vgpr40
	v_cmpx_le_u32_e64 s5, v6
	s_xor_b32 s1, exec_lo, s1
; %bb.102:
	v_and_b32_e32 v6, 0xff0000, v7
	v_perm_b32 v5, v5, v5, 0x3060504
	v_perm_b32 v40, v7, v6, 0x3020504
                                        ; implicit-def: $vgpr7
; %bb.103:
	s_andn2_saveexec_b32 s2, s1
	s_cbranch_execz .LBB1491_107
; %bb.104:
	v_add_nc_u32_e32 v6, s17, v14
	v_add_nc_u32_e32 v8, s19, v14
	s_mov_b32 s3, 0
	s_mov_b32 s4, exec_lo
	v_mul_lo_u32 v6, v6, s16
	v_mul_lo_u32 v8, v8, s18
	v_sub_nc_u32_e32 v6, v6, v8
	v_cmp_lt_u32_e32 vcc_lo, s20, v6
	v_cmpx_ge_u32_e64 s20, v6
	s_cbranch_execz .LBB1491_106
; %bb.105:
	v_add_nc_u32_e32 v6, s22, v14
	v_add_nc_u32_e32 v8, s38, v14
	v_mul_lo_u32 v6, v6, s21
	v_mul_lo_u32 v8, v8, s23
	v_sub_nc_u32_e32 v6, v6, v8
	v_cmp_lt_u32_e64 s1, s39, v6
	s_and_b32 s3, s1, exec_lo
.LBB1491_106:
	s_or_b32 exec_lo, exec_lo, s4
	v_mov_b32_e32 v6, 8
	v_cndmask_b32_e64 v8, 0, 1, vcc_lo
	v_mov_b32_e32 v9, 0xff
	v_cndmask_b32_e64 v39, 0, 1, s3
	v_lshrrev_b32_sdwa v6, v6, v7 dst_sel:BYTE_1 dst_unused:UNUSED_PAD src0_sel:DWORD src1_sel:DWORD
	v_lshlrev_b16 v8, 8, v8
	v_and_b32_sdwa v9, v7, v9 dst_sel:DWORD dst_unused:UNUSED_PAD src0_sel:WORD_1 src1_sel:DWORD
	v_or_b32_sdwa v6, v7, v6 dst_sel:DWORD dst_unused:UNUSED_PAD src0_sel:BYTE_0 src1_sel:DWORD
	v_or_b32_sdwa v7, v9, v8 dst_sel:WORD_1 dst_unused:UNUSED_PAD src0_sel:DWORD src1_sel:DWORD
	v_or_b32_sdwa v40, v6, v7 dst_sel:DWORD dst_unused:UNUSED_PAD src0_sel:WORD_0 src1_sel:DWORD
.LBB1491_107:
	s_or_b32 exec_lo, exec_lo, s2
	v_add_nc_u32_e32 v6, 12, v34
	s_mov_b32 s1, exec_lo
                                        ; implicit-def: $vgpr41
	v_cmpx_le_u32_e64 s5, v6
	s_xor_b32 s1, exec_lo, s1
	s_cbranch_execz .LBB1491_109
; %bb.108:
	v_mov_b32_e32 v6, 24
	v_mov_b32_e32 v7, 0xff
	;; [unrolled: 1-line block ×3, first 2 shown]
	v_lshrrev_b32_sdwa v6, v6, v5 dst_sel:BYTE_1 dst_unused:UNUSED_PAD src0_sel:DWORD src1_sel:DWORD
	v_and_b32_sdwa v7, v5, v7 dst_sel:DWORD dst_unused:UNUSED_PAD src0_sel:WORD_1 src1_sel:DWORD
	v_lshrrev_b32_sdwa v5, v8, v5 dst_sel:BYTE_1 dst_unused:UNUSED_PAD src0_sel:DWORD src1_sel:DWORD
	v_or_b32_sdwa v6, v7, v6 dst_sel:WORD_1 dst_unused:UNUSED_PAD src0_sel:DWORD src1_sel:DWORD
	v_or_b32_sdwa v41, v5, v6 dst_sel:DWORD dst_unused:UNUSED_PAD src0_sel:WORD_0 src1_sel:DWORD
                                        ; implicit-def: $vgpr5
.LBB1491_109:
	s_or_saveexec_b32 s2, s1
	v_mov_b32_e32 v42, 0
	s_xor_b32 exec_lo, exec_lo, s2
	s_cbranch_execz .LBB1491_113
; %bb.110:
	v_add_nc_u32_e32 v6, s17, v33
	v_add_nc_u32_e32 v7, s19, v33
	s_mov_b32 s3, 0
	s_mov_b32 s4, exec_lo
	v_mul_lo_u32 v6, v6, s16
	v_mul_lo_u32 v7, v7, s18
	v_sub_nc_u32_e32 v6, v6, v7
	v_cmp_lt_u32_e32 vcc_lo, s20, v6
	v_cmpx_ge_u32_e64 s20, v6
	s_cbranch_execz .LBB1491_112
; %bb.111:
	v_add_nc_u32_e32 v6, s22, v33
	v_add_nc_u32_e32 v7, s38, v33
	v_mul_lo_u32 v6, v6, s21
	v_mul_lo_u32 v7, v7, s23
	v_sub_nc_u32_e32 v6, v6, v7
	v_cmp_lt_u32_e64 s1, s39, v6
	s_and_b32 s3, s1, exec_lo
.LBB1491_112:
	s_or_b32 exec_lo, exec_lo, s4
	v_mov_b32_e32 v6, 24
	v_mov_b32_e32 v7, 0xff
	;; [unrolled: 1-line block ×3, first 2 shown]
	v_cndmask_b32_e64 v9, 0, 1, vcc_lo
	v_cndmask_b32_e64 v42, 0, 1, s3
	v_lshrrev_b32_sdwa v6, v6, v5 dst_sel:BYTE_1 dst_unused:UNUSED_PAD src0_sel:DWORD src1_sel:DWORD
	v_and_b32_sdwa v7, v5, v7 dst_sel:DWORD dst_unused:UNUSED_PAD src0_sel:WORD_1 src1_sel:DWORD
	v_lshrrev_b32_sdwa v5, v8, v5 dst_sel:BYTE_1 dst_unused:UNUSED_PAD src0_sel:DWORD src1_sel:DWORD
	v_or_b32_sdwa v6, v7, v6 dst_sel:WORD_1 dst_unused:UNUSED_PAD src0_sel:DWORD src1_sel:DWORD
	v_or_b32_e32 v5, v9, v5
	v_or_b32_sdwa v41, v5, v6 dst_sel:DWORD dst_unused:UNUSED_PAD src0_sel:WORD_0 src1_sel:DWORD
.LBB1491_113:
	s_or_b32 exec_lo, exec_lo, s2
.LBB1491_114:
	v_and_b32_e32 v65, 0xff, v35
	v_bfe_u32 v66, v41, 8, 8
	v_bfe_u32 v62, v35, 8, 8
	;; [unrolled: 1-line block ×4, first 2 shown]
	v_lshrrev_b32_e32 v48, 24, v41
	v_lshrrev_b32_e32 v47, 24, v35
	v_and_b32_e32 v61, 0xff, v36
	v_and_b32_e32 v59, 0xff, v37
	v_bfe_u32 v60, v36, 8, 8
	v_add3_u32 v5, v62, v65, v64
	v_add3_u32 v6, v63, v66, v48
	v_bfe_u32 v57, v37, 8, 8
	v_bfe_u32 v58, v36, 16, 8
	;; [unrolled: 1-line block ×3, first 2 shown]
	v_lshrrev_b32_e32 v46, 24, v36
	v_add3_u32 v5, v5, v47, v59
	v_add3_u32 v6, v6, v61, v60
	v_lshrrev_b32_e32 v45, 24, v37
	v_and_b32_e32 v56, 0xff, v38
	v_and_b32_e32 v54, 0xff, v40
	v_bfe_u32 v55, v38, 8, 8
	v_add3_u32 v5, v5, v57, v52
	v_add3_u32 v6, v6, v58, v46
	v_bfe_u32 v51, v40, 8, 8
	v_bfe_u32 v53, v38, 16, 8
	;; [unrolled: 1-line block ×3, first 2 shown]
	v_lshrrev_b32_e32 v44, 24, v38
	v_add3_u32 v5, v5, v45, v54
	v_add3_u32 v6, v6, v56, v55
	v_mbcnt_lo_u32_b32 v67, -1, 0
	v_lshrrev_b32_e32 v43, 24, v40
	v_and_b32_e32 v50, 0xff, v39
	v_and_b32_e32 v7, 0xff, v41
	;; [unrolled: 1-line block ×3, first 2 shown]
	v_add3_u32 v5, v5, v51, v49
	v_add3_u32 v6, v6, v53, v44
	v_and_b32_e32 v69, 15, v67
	v_and_b32_e32 v71, 16, v67
	v_lshrrev_b32_e32 v68, 5, v0
	v_add3_u32 v72, v5, v43, v7
	v_add3_u32 v73, v6, v50, v8
	v_cmp_eq_u32_e64 s2, 0, v69
	v_cmp_lt_u32_e64 s1, 1, v69
	v_cmp_lt_u32_e64 s3, 3, v69
	v_or_b32_e32 v70, 31, v0
	s_cmp_lg_u32 s27, 0
	s_mov_b32 s4, -1
	v_cmp_lt_u32_e32 vcc_lo, 7, v69
	s_cbranch_scc0 .LBB1491_136
; %bb.115:
	v_mov_b32_dpp v5, v73 row_shr:1 row_mask:0xf bank_mask:0xf
	v_mov_b32_dpp v6, v72 row_shr:1 row_mask:0xf bank_mask:0xf
	s_mov_b32 s4, exec_lo
	v_add_nc_u32_e32 v5, v5, v73
	v_add_nc_u32_e32 v6, v6, v72
	v_cndmask_b32_e64 v5, v5, v73, s2
	v_cndmask_b32_e64 v6, v6, v72, s2
	v_mov_b32_dpp v7, v5 row_shr:2 row_mask:0xf bank_mask:0xf
	v_mov_b32_dpp v8, v6 row_shr:2 row_mask:0xf bank_mask:0xf
	v_add_nc_u32_e32 v7, v5, v7
	v_add_nc_u32_e32 v8, v6, v8
	v_cndmask_b32_e64 v5, v5, v7, s1
	v_cndmask_b32_e64 v6, v6, v8, s1
	v_mov_b32_dpp v7, v5 row_shr:4 row_mask:0xf bank_mask:0xf
	v_mov_b32_dpp v8, v6 row_shr:4 row_mask:0xf bank_mask:0xf
	;; [unrolled: 6-line block ×3, first 2 shown]
	v_add_nc_u32_e32 v7, v5, v7
	v_add_nc_u32_e32 v8, v6, v8
	v_cndmask_b32_e32 v5, v5, v7, vcc_lo
	v_cndmask_b32_e32 v6, v6, v8, vcc_lo
	v_cmp_eq_u32_e32 vcc_lo, 0, v71
	ds_swizzle_b32 v7, v5 offset:swizzle(BROADCAST,32,15)
	ds_swizzle_b32 v8, v6 offset:swizzle(BROADCAST,32,15)
	s_waitcnt lgkmcnt(1)
	v_add_nc_u32_e32 v7, v5, v7
	s_waitcnt lgkmcnt(0)
	v_add_nc_u32_e32 v8, v6, v8
	v_cmpx_eq_u32_e64 v0, v70
	s_cbranch_execz .LBB1491_117
; %bb.116:
	v_lshlrev_b32_e32 v11, 3, v68
	v_cndmask_b32_e32 v10, v7, v5, vcc_lo
	v_cndmask_b32_e32 v9, v8, v6, vcc_lo
	ds_write_b64 v11, v[9:10]
.LBB1491_117:
	s_or_b32 exec_lo, exec_lo, s4
	s_mov_b32 s4, exec_lo
	s_waitcnt lgkmcnt(0)
	s_barrier
	buffer_gl0_inv
	v_cmpx_gt_u32_e32 8, v0
	s_cbranch_execz .LBB1491_119
; %bb.118:
	v_lshlrev_b32_e32 v11, 3, v0
	v_and_b32_e32 v26, 7, v67
	ds_read_b64 v[9:10], v11
	v_cmp_eq_u32_e64 s3, 0, v26
	s_waitcnt lgkmcnt(0)
	v_mov_b32_dpp v12, v9 row_shr:1 row_mask:0xf bank_mask:0xf
	v_mov_b32_dpp v25, v10 row_shr:1 row_mask:0xf bank_mask:0xf
	v_add_nc_u32_e32 v12, v12, v9
	v_add_nc_u32_e32 v25, v25, v10
	v_cndmask_b32_e64 v9, v12, v9, s3
	v_cndmask_b32_e64 v10, v25, v10, s3
	v_cmp_lt_u32_e64 s3, 1, v26
	v_mov_b32_dpp v12, v9 row_shr:2 row_mask:0xf bank_mask:0xf
	v_mov_b32_dpp v25, v10 row_shr:2 row_mask:0xf bank_mask:0xf
	v_add_nc_u32_e32 v12, v9, v12
	v_add_nc_u32_e32 v25, v10, v25
	v_cndmask_b32_e64 v9, v9, v12, s3
	v_cndmask_b32_e64 v10, v10, v25, s3
	v_cmp_lt_u32_e64 s3, 3, v26
	v_mov_b32_dpp v12, v9 row_shr:4 row_mask:0xf bank_mask:0xf
	v_mov_b32_dpp v25, v10 row_shr:4 row_mask:0xf bank_mask:0xf
	v_cndmask_b32_e64 v12, 0, v12, s3
	v_cndmask_b32_e64 v25, 0, v25, s3
	v_add_nc_u32_e32 v9, v12, v9
	v_add_nc_u32_e32 v10, v25, v10
	ds_write_b64 v11, v[9:10]
.LBB1491_119:
	s_or_b32 exec_lo, exec_lo, s4
	v_cndmask_b32_e32 v5, v7, v5, vcc_lo
	v_cndmask_b32_e32 v6, v8, v6, vcc_lo
	s_mov_b32 s4, exec_lo
	v_cmp_gt_u32_e32 vcc_lo, 32, v0
	s_waitcnt lgkmcnt(0)
	s_barrier
	buffer_gl0_inv
                                        ; implicit-def: $vgpr25
	v_cmpx_lt_u32_e32 31, v0
	s_cbranch_execz .LBB1491_121
; %bb.120:
	v_lshl_add_u32 v7, v68, 3, -8
	ds_read_b64 v[25:26], v7
	s_waitcnt lgkmcnt(0)
	v_add_nc_u32_e32 v5, v26, v5
	v_add_nc_u32_e32 v6, v25, v6
.LBB1491_121:
	s_or_b32 exec_lo, exec_lo, s4
	v_sub_co_u32 v7, s3, v67, 1
	v_cmp_gt_i32_e64 s4, 0, v7
	v_cndmask_b32_e64 v7, v7, v67, s4
	v_lshlrev_b32_e32 v7, 2, v7
	ds_bpermute_b32 v74, v7, v6
	ds_bpermute_b32 v75, v7, v5
	s_and_saveexec_b32 s4, vcc_lo
	s_cbranch_execz .LBB1491_141
; %bb.122:
	v_mov_b32_e32 v8, 0
	ds_read_b64 v[5:6], v8 offset:56
	s_and_saveexec_b32 s6, s3
	s_cbranch_execz .LBB1491_124
; %bb.123:
	s_add_i32 s8, s27, 32
	s_mov_b32 s9, 0
	v_mov_b32_e32 v7, 1
	s_lshl_b64 s[8:9], s[8:9], 4
	s_add_u32 s8, s36, s8
	s_addc_u32 s9, s37, s9
	v_mov_b32_e32 v10, s9
	v_mov_b32_e32 v9, s8
	s_waitcnt lgkmcnt(0)
	;;#ASMSTART
	global_store_dwordx4 v[9:10], v[5:8] off	
s_waitcnt vmcnt(0)
	;;#ASMEND
.LBB1491_124:
	s_or_b32 exec_lo, exec_lo, s6
	v_xad_u32 v27, v67, -1, s27
	s_mov_b32 s7, 0
	v_add_nc_u32_e32 v7, 32, v27
	v_lshlrev_b64 v[9:10], 4, v[7:8]
	v_add_co_u32 v28, vcc_lo, s36, v9
	v_add_co_ci_u32_e64 v29, null, s37, v10, vcc_lo
	;;#ASMSTART
	global_load_dwordx4 v[9:12], v[28:29] off glc dlc	
s_waitcnt vmcnt(0)
	;;#ASMEND
	v_cmp_eq_u16_sdwa s8, v11, v8 src0_sel:BYTE_0 src1_sel:DWORD
	s_and_saveexec_b32 s6, s8
	s_cbranch_execz .LBB1491_128
; %bb.125:
	v_mov_b32_e32 v7, 0
.LBB1491_126:                           ; =>This Inner Loop Header: Depth=1
	;;#ASMSTART
	global_load_dwordx4 v[9:12], v[28:29] off glc dlc	
s_waitcnt vmcnt(0)
	;;#ASMEND
	v_cmp_ne_u16_sdwa s8, v11, v7 src0_sel:BYTE_0 src1_sel:DWORD
	s_or_b32 s7, s8, s7
	s_andn2_b32 exec_lo, exec_lo, s7
	s_cbranch_execnz .LBB1491_126
; %bb.127:
	s_or_b32 exec_lo, exec_lo, s7
.LBB1491_128:
	s_or_b32 exec_lo, exec_lo, s6
	v_cmp_ne_u32_e32 vcc_lo, 31, v67
	v_mov_b32_e32 v77, 2
	v_lshlrev_b32_e64 v78, v67, -1
	v_add_nc_u32_e32 v80, 2, v67
	v_add_nc_u32_e32 v82, 4, v67
	v_add_co_ci_u32_e64 v7, null, 0, v67, vcc_lo
	v_cmp_eq_u16_sdwa s6, v11, v77 src0_sel:BYTE_0 src1_sel:DWORD
	v_cmp_gt_u32_e32 vcc_lo, 30, v67
	v_add_nc_u32_e32 v84, 8, v67
	v_lshlrev_b32_e32 v76, 2, v7
	v_lshl_or_b32 v85, v67, 2, 64
	v_and_b32_e32 v12, s6, v78
	v_cndmask_b32_e64 v28, 0, 2, vcc_lo
	v_add_nc_u32_e32 v86, 16, v67
	ds_bpermute_b32 v7, v76, v10
	ds_bpermute_b32 v8, v76, v9
	v_or_b32_e32 v12, 0x80000000, v12
	v_add_lshl_u32 v79, v28, v67, 2
	v_ffbl_b32_e32 v12, v12
	v_cmp_lt_u32_e32 vcc_lo, v67, v12
	s_waitcnt lgkmcnt(1)
	v_add_nc_u32_e32 v7, v7, v10
	s_waitcnt lgkmcnt(0)
	v_add_nc_u32_e32 v8, v8, v9
	v_cndmask_b32_e32 v7, v10, v7, vcc_lo
	v_cndmask_b32_e32 v8, v9, v8, vcc_lo
	v_cmp_gt_u32_e32 vcc_lo, 28, v67
	ds_bpermute_b32 v9, v79, v7
	ds_bpermute_b32 v10, v79, v8
	v_cndmask_b32_e64 v28, 0, 4, vcc_lo
	v_cmp_gt_u32_e32 vcc_lo, v80, v12
	v_add_lshl_u32 v81, v28, v67, 2
	s_waitcnt lgkmcnt(1)
	v_add_nc_u32_e32 v9, v7, v9
	s_waitcnt lgkmcnt(0)
	v_add_nc_u32_e32 v10, v8, v10
	v_cndmask_b32_e32 v7, v9, v7, vcc_lo
	v_cndmask_b32_e32 v8, v10, v8, vcc_lo
	v_cmp_gt_u32_e32 vcc_lo, 24, v67
	ds_bpermute_b32 v9, v81, v7
	ds_bpermute_b32 v10, v81, v8
	v_cndmask_b32_e64 v28, 0, 8, vcc_lo
	v_cmp_gt_u32_e32 vcc_lo, v82, v12
	v_add_lshl_u32 v83, v28, v67, 2
	v_mov_b32_e32 v28, 0
	s_waitcnt lgkmcnt(1)
	v_add_nc_u32_e32 v9, v7, v9
	s_waitcnt lgkmcnt(0)
	v_add_nc_u32_e32 v10, v8, v10
	v_cndmask_b32_e32 v7, v9, v7, vcc_lo
	v_cndmask_b32_e32 v8, v10, v8, vcc_lo
	v_cmp_gt_u32_e32 vcc_lo, v84, v12
	ds_bpermute_b32 v9, v83, v7
	ds_bpermute_b32 v10, v83, v8
	s_waitcnt lgkmcnt(1)
	v_add_nc_u32_e32 v9, v7, v9
	s_waitcnt lgkmcnt(0)
	v_add_nc_u32_e32 v10, v8, v10
	v_cndmask_b32_e32 v7, v9, v7, vcc_lo
	v_cndmask_b32_e32 v8, v10, v8, vcc_lo
	v_cmp_le_u32_e32 vcc_lo, v86, v12
	ds_bpermute_b32 v10, v85, v7
	ds_bpermute_b32 v9, v85, v8
	s_waitcnt lgkmcnt(1)
	v_cndmask_b32_e32 v10, 0, v10, vcc_lo
	s_waitcnt lgkmcnt(0)
	v_cndmask_b32_e32 v9, 0, v9, vcc_lo
	v_add_nc_u32_e32 v10, v10, v7
	v_add_nc_u32_e32 v9, v9, v8
	s_branch .LBB1491_132
.LBB1491_129:                           ;   in Loop: Header=BB1491_132 Depth=1
	s_or_b32 exec_lo, exec_lo, s7
.LBB1491_130:                           ;   in Loop: Header=BB1491_132 Depth=1
	s_or_b32 exec_lo, exec_lo, s6
	ds_bpermute_b32 v12, v76, v9
	ds_bpermute_b32 v29, v76, v10
	v_cmp_eq_u16_sdwa s6, v11, v77 src0_sel:BYTE_0 src1_sel:DWORD
	v_subrev_nc_u32_e32 v27, 32, v27
	v_and_or_b32 v30, s6, v78, 0x80000000
	s_mov_b32 s6, 0
	v_ffbl_b32_e32 v30, v30
	v_cmp_lt_u32_e32 vcc_lo, v67, v30
	s_waitcnt lgkmcnt(1)
	v_add_nc_u32_e32 v12, v12, v9
	s_waitcnt lgkmcnt(0)
	v_add_nc_u32_e32 v29, v29, v10
	v_cndmask_b32_e32 v9, v9, v12, vcc_lo
	v_cndmask_b32_e32 v10, v10, v29, vcc_lo
	v_cmp_gt_u32_e32 vcc_lo, v80, v30
	ds_bpermute_b32 v12, v79, v9
	ds_bpermute_b32 v29, v79, v10
	s_waitcnt lgkmcnt(1)
	v_add_nc_u32_e32 v12, v9, v12
	s_waitcnt lgkmcnt(0)
	v_add_nc_u32_e32 v29, v10, v29
	v_cndmask_b32_e32 v9, v12, v9, vcc_lo
	v_cndmask_b32_e32 v10, v29, v10, vcc_lo
	v_cmp_gt_u32_e32 vcc_lo, v82, v30
	ds_bpermute_b32 v12, v81, v9
	ds_bpermute_b32 v29, v81, v10
	;; [unrolled: 9-line block ×3, first 2 shown]
	s_waitcnt lgkmcnt(1)
	v_add_nc_u32_e32 v12, v9, v12
	s_waitcnt lgkmcnt(0)
	v_add_nc_u32_e32 v29, v10, v29
	v_cndmask_b32_e32 v9, v12, v9, vcc_lo
	v_cndmask_b32_e32 v10, v29, v10, vcc_lo
	v_cmp_le_u32_e32 vcc_lo, v86, v30
	ds_bpermute_b32 v12, v85, v9
	ds_bpermute_b32 v29, v85, v10
	s_waitcnt lgkmcnt(1)
	v_cndmask_b32_e32 v12, 0, v12, vcc_lo
	s_waitcnt lgkmcnt(0)
	v_cndmask_b32_e32 v29, 0, v29, vcc_lo
	v_add3_u32 v9, v9, v7, v12
	v_add3_u32 v10, v10, v8, v29
.LBB1491_131:                           ;   in Loop: Header=BB1491_132 Depth=1
	s_and_b32 vcc_lo, exec_lo, s6
	s_cbranch_vccnz .LBB1491_137
.LBB1491_132:                           ; =>This Loop Header: Depth=1
                                        ;     Child Loop BB1491_135 Depth 2
	v_cmp_ne_u16_sdwa s6, v11, v77 src0_sel:BYTE_0 src1_sel:DWORD
	v_mov_b32_e32 v7, v9
	v_mov_b32_e32 v8, v10
                                        ; implicit-def: $vgpr11
                                        ; implicit-def: $vgpr9_vgpr10
	s_cmp_lg_u32 s6, exec_lo
	s_mov_b32 s6, -1
	s_cbranch_scc1 .LBB1491_131
; %bb.133:                              ;   in Loop: Header=BB1491_132 Depth=1
	v_lshlrev_b64 v[9:10], 4, v[27:28]
	v_add_co_u32 v29, vcc_lo, s36, v9
	v_add_co_ci_u32_e64 v30, null, s37, v10, vcc_lo
	;;#ASMSTART
	global_load_dwordx4 v[9:12], v[29:30] off glc dlc	
s_waitcnt vmcnt(0)
	;;#ASMEND
	v_cmp_eq_u16_sdwa s7, v11, v28 src0_sel:BYTE_0 src1_sel:DWORD
	s_and_saveexec_b32 s6, s7
	s_cbranch_execz .LBB1491_130
; %bb.134:                              ;   in Loop: Header=BB1491_132 Depth=1
	s_mov_b32 s7, 0
.LBB1491_135:                           ;   Parent Loop BB1491_132 Depth=1
                                        ; =>  This Inner Loop Header: Depth=2
	;;#ASMSTART
	global_load_dwordx4 v[9:12], v[29:30] off glc dlc	
s_waitcnt vmcnt(0)
	;;#ASMEND
	v_cmp_ne_u16_sdwa s8, v11, v28 src0_sel:BYTE_0 src1_sel:DWORD
	s_or_b32 s7, s8, s7
	s_andn2_b32 exec_lo, exec_lo, s7
	s_cbranch_execnz .LBB1491_135
	s_branch .LBB1491_129
.LBB1491_136:
                                        ; implicit-def: $vgpr25
                                        ; implicit-def: $vgpr7
                                        ; implicit-def: $vgpr26
	s_and_b32 vcc_lo, exec_lo, s4
	s_cbranch_vccnz .LBB1491_142
	s_branch .LBB1491_151
.LBB1491_137:
	s_and_saveexec_b32 s6, s3
	s_cbranch_execnz .LBB1491_379
; %bb.138:
	s_or_b32 exec_lo, exec_lo, s6
	s_and_saveexec_b32 s6, s3
	s_cbranch_execnz .LBB1491_380
.LBB1491_139:
	s_or_b32 exec_lo, exec_lo, s6
	s_and_b32 exec_lo, exec_lo, s0
.LBB1491_140:
	v_mov_b32_e32 v5, 0
	ds_write_b64 v5, v[7:8] offset:56
.LBB1491_141:
	s_or_b32 exec_lo, exec_lo, s4
	v_mov_b32_e32 v5, 0
	s_waitcnt lgkmcnt(0)
	s_barrier
	buffer_gl0_inv
	v_cndmask_b32_e64 v11, v75, v26, s3
	ds_read_b64 v[9:10], v5 offset:56
	s_waitcnt lgkmcnt(0)
	s_barrier
	buffer_gl0_inv
	ds_read_b128 v[5:8], v5 offset:13312
	v_cndmask_b32_e64 v12, v74, v25, s3
	v_add_nc_u32_e32 v11, v10, v11
	v_add_nc_u32_e32 v12, v9, v12
	v_cndmask_b32_e64 v25, v11, v10, s0
	v_cndmask_b32_e64 v26, v12, v9, s0
	s_branch .LBB1491_151
.LBB1491_142:
	s_waitcnt lgkmcnt(0)
	v_mov_b32_dpp v5, v72 row_shr:1 row_mask:0xf bank_mask:0xf
	v_mov_b32_dpp v6, v73 row_shr:1 row_mask:0xf bank_mask:0xf
	v_cmp_lt_u32_e32 vcc_lo, 3, v69
	v_add_nc_u32_e32 v5, v5, v72
	v_add_nc_u32_e32 v6, v6, v73
	v_cndmask_b32_e64 v5, v5, v72, s2
	v_cndmask_b32_e64 v6, v6, v73, s2
	s_mov_b32 s2, exec_lo
	v_mov_b32_dpp v7, v5 row_shr:2 row_mask:0xf bank_mask:0xf
	v_mov_b32_dpp v8, v6 row_shr:2 row_mask:0xf bank_mask:0xf
	v_add_nc_u32_e32 v7, v5, v7
	v_add_nc_u32_e32 v8, v6, v8
	v_cndmask_b32_e64 v5, v5, v7, s1
	v_cndmask_b32_e64 v6, v6, v8, s1
	v_mov_b32_dpp v7, v5 row_shr:4 row_mask:0xf bank_mask:0xf
	v_mov_b32_dpp v8, v6 row_shr:4 row_mask:0xf bank_mask:0xf
	v_add_nc_u32_e32 v7, v5, v7
	v_add_nc_u32_e32 v8, v6, v8
	v_cndmask_b32_e32 v7, v5, v7, vcc_lo
	v_cndmask_b32_e32 v6, v6, v8, vcc_lo
	v_cmp_lt_u32_e32 vcc_lo, 7, v69
	v_mov_b32_dpp v5, v7 row_shr:8 row_mask:0xf bank_mask:0xf
	v_mov_b32_dpp v8, v6 row_shr:8 row_mask:0xf bank_mask:0xf
	v_add_nc_u32_e32 v9, v7, v5
	v_add_nc_u32_e32 v5, v6, v8
	v_cndmask_b32_e32 v5, v6, v5, vcc_lo
	v_cndmask_b32_e32 v6, v7, v9, vcc_lo
	v_cmp_eq_u32_e32 vcc_lo, 0, v71
	ds_swizzle_b32 v7, v5 offset:swizzle(BROADCAST,32,15)
	ds_swizzle_b32 v8, v6 offset:swizzle(BROADCAST,32,15)
	s_waitcnt lgkmcnt(1)
	v_add_nc_u32_e32 v7, v5, v7
	s_waitcnt lgkmcnt(0)
	v_add_nc_u32_e32 v8, v6, v8
	v_cmpx_eq_u32_e64 v0, v70
	s_cbranch_execz .LBB1491_144
; %bb.143:
	v_cndmask_b32_e32 v9, v8, v6, vcc_lo
	v_cndmask_b32_e32 v10, v7, v5, vcc_lo
	v_lshlrev_b32_e32 v11, 3, v68
	ds_write_b64 v11, v[9:10]
.LBB1491_144:
	s_or_b32 exec_lo, exec_lo, s2
	s_mov_b32 s2, exec_lo
	s_waitcnt lgkmcnt(0)
	s_barrier
	buffer_gl0_inv
	v_cmpx_gt_u32_e32 8, v0
	s_cbranch_execz .LBB1491_146
; %bb.145:
	v_lshlrev_b32_e32 v11, 3, v0
	v_and_b32_e32 v26, 7, v67
	ds_read_b64 v[9:10], v11
	v_cmp_eq_u32_e64 s1, 0, v26
	s_waitcnt lgkmcnt(0)
	v_mov_b32_dpp v12, v9 row_shr:1 row_mask:0xf bank_mask:0xf
	v_mov_b32_dpp v25, v10 row_shr:1 row_mask:0xf bank_mask:0xf
	v_add_nc_u32_e32 v12, v12, v9
	v_add_nc_u32_e32 v25, v25, v10
	v_cndmask_b32_e64 v9, v12, v9, s1
	v_cndmask_b32_e64 v10, v25, v10, s1
	v_cmp_lt_u32_e64 s1, 1, v26
	v_mov_b32_dpp v12, v9 row_shr:2 row_mask:0xf bank_mask:0xf
	v_mov_b32_dpp v25, v10 row_shr:2 row_mask:0xf bank_mask:0xf
	v_add_nc_u32_e32 v12, v9, v12
	v_add_nc_u32_e32 v25, v10, v25
	v_cndmask_b32_e64 v9, v9, v12, s1
	v_cndmask_b32_e64 v10, v10, v25, s1
	v_cmp_lt_u32_e64 s1, 3, v26
	v_mov_b32_dpp v12, v9 row_shr:4 row_mask:0xf bank_mask:0xf
	v_mov_b32_dpp v25, v10 row_shr:4 row_mask:0xf bank_mask:0xf
	v_cndmask_b32_e64 v12, 0, v12, s1
	v_cndmask_b32_e64 v25, 0, v25, s1
	v_add_nc_u32_e32 v9, v12, v9
	v_add_nc_u32_e32 v10, v25, v10
	ds_write_b64 v11, v[9:10]
.LBB1491_146:
	s_or_b32 exec_lo, exec_lo, s2
	v_mov_b32_e32 v11, 0
	v_mov_b32_e32 v9, 0
	;; [unrolled: 1-line block ×3, first 2 shown]
	s_mov_b32 s2, exec_lo
	s_waitcnt lgkmcnt(0)
	s_barrier
	buffer_gl0_inv
	v_cmpx_lt_u32_e32 31, v0
; %bb.147:
	v_lshl_add_u32 v9, v68, 3, -8
	ds_read_b64 v[9:10], v9
; %bb.148:
	s_or_b32 exec_lo, exec_lo, s2
	v_sub_co_u32 v12, s1, v67, 1
	v_cndmask_b32_e32 v6, v8, v6, vcc_lo
	v_cndmask_b32_e32 v5, v7, v5, vcc_lo
	v_cmp_gt_i32_e64 s2, 0, v12
	s_waitcnt lgkmcnt(0)
	v_add_nc_u32_e32 v6, v9, v6
	v_add_nc_u32_e32 v5, v10, v5
	v_cndmask_b32_e64 v8, v12, v67, s2
	v_lshlrev_b32_e32 v7, 2, v8
	ds_bpermute_b32 v12, v7, v6
	ds_bpermute_b32 v25, v7, v5
	ds_read_b64 v[5:6], v11 offset:56
	s_and_saveexec_b32 s2, s0
	s_cbranch_execz .LBB1491_150
; %bb.149:
	s_add_u32 s6, s36, 0x200
	s_addc_u32 s7, s37, 0
	v_mov_b32_e32 v7, 2
	v_mov_b32_e32 v27, s7
	;; [unrolled: 1-line block ×4, first 2 shown]
	s_waitcnt lgkmcnt(0)
	;;#ASMSTART
	global_store_dwordx4 v[26:27], v[5:8] off	
s_waitcnt vmcnt(0)
	;;#ASMEND
.LBB1491_150:
	s_or_b32 exec_lo, exec_lo, s2
	s_waitcnt lgkmcnt(1)
	v_cndmask_b32_e64 v7, v25, v10, s1
	v_cndmask_b32_e64 v9, v12, v9, s1
	v_mov_b32_e32 v8, 0
	s_waitcnt lgkmcnt(0)
	s_barrier
	v_cndmask_b32_e64 v25, v7, 0, s0
	v_cndmask_b32_e64 v26, v9, 0, s0
	v_mov_b32_e32 v7, 0
	buffer_gl0_inv
.LBB1491_151:
	v_add_nc_u32_e32 v30, v25, v66
	v_add_nc_u32_e32 v29, v26, v65
	s_waitcnt lgkmcnt(0)
	v_sub_nc_u32_e32 v25, v25, v8
	v_lshrrev_b32_e32 v28, 8, v41
	v_lshlrev_b32_e32 v69, 1, v5
	v_add_nc_u32_e32 v63, v30, v63
	v_sub_nc_u32_e32 v30, v30, v8
	v_add_nc_u32_e32 v62, v29, v62
	v_sub_nc_u32_e32 v26, v26, v7
	;; [unrolled: 2-line block ×3, first 2 shown]
	v_add_nc_u32_e32 v30, v30, v5
	v_and_b32_e32 v28, 1, v28
	v_mov_b32_e32 v71, 1
	v_add3_u32 v34, v69, v6, v34
	v_add_nc_u32_e32 v75, v26, v25
	v_add_nc_u32_e32 v76, v30, v29
	v_add_co_u32 v1, vcc_lo, v1, v7
	v_add_co_ci_u32_e64 v2, null, 0, v2, vcc_lo
	v_sub_co_u32 v67, vcc_lo, v3, v5
	v_subrev_co_ci_u32_e64 v68, null, 0, v4, vcc_lo
	v_and_b32_sdwa v74, v71, v41 dst_sel:DWORD dst_unused:UNUSED_PAD src0_sel:DWORD src1_sel:WORD_1
	v_sub_nc_u32_e32 v76, v34, v76
	v_sub_nc_u32_e32 v75, v34, v75
	v_cmp_eq_u32_e32 vcc_lo, 1, v28
	v_lshrrev_b32_e32 v27, 8, v35
	v_add_nc_u32_e32 v65, v63, v48
	v_and_b32_e32 v70, 1, v35
	v_sub_nc_u32_e32 v63, v63, v8
	v_add_nc_u32_e32 v76, 1, v76
	v_cndmask_b32_e32 v25, v75, v25, vcc_lo
	v_cmp_eq_u32_e32 vcc_lo, 1, v74
	v_add_nc_u32_e32 v64, v62, v64
	v_and_b32_e32 v27, 1, v27
	v_sub_nc_u32_e32 v62, v62, v7
	v_add_nc_u32_e32 v63, v63, v5
	v_cndmask_b32_e32 v30, v76, v30, vcc_lo
	v_cmp_eq_u32_e32 vcc_lo, 1, v70
	v_and_b32_e32 v48, 1, v48
	v_add_nc_u32_e32 v61, v65, v61
	v_add_nc_u32_e32 v74, v63, v62
	v_and_b32_sdwa v35, v71, v35 dst_sel:DWORD dst_unused:UNUSED_PAD src0_sel:DWORD src1_sel:WORD_1
	v_cndmask_b32_e32 v70, v25, v26, vcc_lo
	v_cmp_eq_u32_e32 vcc_lo, 1, v27
	v_sub_nc_u32_e32 v65, v65, v8
	v_add_nc_u32_e32 v66, v64, v47
	v_add_nc_u32_e32 v60, v61, v60
	v_sub_nc_u32_e32 v61, v61, v8
	v_cndmask_b32_e32 v27, v30, v29, vcc_lo
	v_sub_nc_u32_e32 v29, v34, v74
	v_add_co_u32 v25, vcc_lo, v67, v8
	v_add_co_ci_u32_e64 v26, null, 0, v68, vcc_lo
	v_add_nc_u32_e32 v29, 2, v29
	v_cmp_eq_u32_e32 vcc_lo, 1, v48
	v_sub_nc_u32_e32 v48, v64, v7
	v_lshlrev_b32_e32 v30, 2, v70
	v_add_nc_u32_e32 v61, v61, v5
	v_lshlrev_b32_e32 v27, 2, v27
	v_cndmask_b32_e32 v29, v29, v63, vcc_lo
	v_add_nc_u32_e32 v63, v65, v5
	v_cmp_eq_u32_e32 vcc_lo, 1, v35
	v_sub_nc_u32_e32 v35, v66, v7
	v_lshrrev_b32_e32 v12, 8, v36
	ds_write_b32 v30, v23
	ds_write_b32 v27, v24
	v_and_b32_e32 v30, 1, v36
	v_cndmask_b32_e32 v29, v29, v62, vcc_lo
	v_add_nc_u32_e32 v62, v48, v63
	v_add_nc_u32_e32 v24, v35, v61
	;; [unrolled: 1-line block ×3, first 2 shown]
	v_and_b32_e32 v12, 1, v12
	v_lshlrev_b32_e32 v23, 2, v29
	v_sub_nc_u32_e32 v27, v34, v62
	v_and_b32_e32 v29, 1, v47
	v_sub_nc_u32_e32 v47, v60, v8
	v_sub_nc_u32_e32 v24, v34, v24
	v_cmp_eq_u32_e32 vcc_lo, 1, v30
	v_add_nc_u32_e32 v27, 3, v27
	v_add_nc_u32_e32 v57, v59, v57
	v_sub_nc_u32_e32 v59, v59, v7
	v_add_nc_u32_e32 v47, v47, v5
	v_add_nc_u32_e32 v24, 4, v24
	v_cndmask_b32_e32 v27, v27, v63, vcc_lo
	v_cmp_eq_u32_e32 vcc_lo, 1, v12
	v_add_nc_u32_e32 v58, v60, v58
	v_and_b32_e32 v30, 1, v37
	v_add_nc_u32_e32 v60, v59, v47
	v_lshrrev_b32_e32 v11, 8, v37
	v_cndmask_b32_e32 v12, v24, v61, vcc_lo
	v_cmp_eq_u32_e32 vcc_lo, 1, v29
	ds_write_b32 v23, v21
	v_and_b32_sdwa v23, v71, v36 dst_sel:DWORD dst_unused:UNUSED_PAD src0_sel:DWORD src1_sel:WORD_1
	v_add_nc_u32_e32 v72, v58, v46
	v_and_b32_e32 v11, 1, v11
	v_cndmask_b32_e32 v24, v27, v48, vcc_lo
	v_sub_nc_u32_e32 v27, v34, v60
	v_cmp_eq_u32_e32 vcc_lo, 1, v30
	v_add_nc_u32_e32 v52, v57, v52
	v_sub_nc_u32_e32 v29, v72, v8
	v_lshlrev_b32_e32 v21, 2, v24
	v_add_nc_u32_e32 v24, 5, v27
	v_cndmask_b32_e32 v12, v12, v35, vcc_lo
	v_sub_nc_u32_e32 v27, v58, v8
	v_cmp_eq_u32_e32 vcc_lo, 1, v23
	v_add_nc_u32_e32 v29, v29, v5
	v_add_nc_u32_e32 v56, v72, v56
	v_lshlrev_b32_e32 v12, 2, v12
	v_add_nc_u32_e32 v27, v27, v5
	v_cndmask_b32_e32 v23, v24, v47, vcc_lo
	v_sub_nc_u32_e32 v24, v57, v7
	v_cmp_eq_u32_e32 vcc_lo, 1, v11
	ds_write_b32 v21, v22
	ds_write_b32 v12, v19
	v_and_b32_e32 v22, 1, v46
	v_and_b32_e32 v35, 1, v38
	v_add_nc_u32_e32 v30, v24, v27
	v_cndmask_b32_e32 v11, v23, v59, vcc_lo
	v_sub_nc_u32_e32 v23, v52, v7
	v_cmp_eq_u32_e32 vcc_lo, 1, v22
	v_add_nc_u32_e32 v73, v52, v45
	v_sub_nc_u32_e32 v19, v34, v30
	v_sub_nc_u32_e32 v30, v56, v8
	v_add_nc_u32_e32 v12, v23, v29
	v_and_b32_sdwa v21, v71, v37 dst_sel:DWORD dst_unused:UNUSED_PAD src0_sel:DWORD src1_sel:WORD_1
	v_sub_nc_u32_e32 v36, v73, v7
	v_add_nc_u32_e32 v19, 6, v19
	v_add_nc_u32_e32 v30, v30, v5
	v_sub_nc_u32_e32 v12, v34, v12
	v_and_b32_e32 v22, 1, v45
	v_lshrrev_b32_e32 v10, 8, v38
	v_cndmask_b32_e32 v19, v19, v27, vcc_lo
	v_cmp_eq_u32_e32 vcc_lo, 1, v35
	v_add_nc_u32_e32 v12, 7, v12
	v_add_nc_u32_e32 v55, v56, v55
	v_add_nc_u32_e32 v27, v36, v30
	v_add_nc_u32_e32 v54, v73, v54
	v_and_b32_e32 v10, 1, v10
	v_cndmask_b32_e32 v12, v12, v29, vcc_lo
	v_cmp_eq_u32_e32 vcc_lo, 1, v21
	v_sub_nc_u32_e32 v21, v34, v27
	v_add_nc_u32_e32 v53, v55, v53
	v_lshlrev_b32_e32 v11, 2, v11
	v_add_nc_u32_e32 v51, v54, v51
	v_cndmask_b32_e32 v19, v19, v24, vcc_lo
	v_cmp_eq_u32_e32 vcc_lo, 1, v22
	v_sub_nc_u32_e32 v22, v55, v8
	v_add_nc_u32_e32 v21, 8, v21
	v_sub_nc_u32_e32 v24, v54, v7
	v_lshlrev_b32_e32 v19, 2, v19
	v_cndmask_b32_e32 v12, v12, v23, vcc_lo
	v_add_nc_u32_e32 v22, v22, v5
	v_cmp_eq_u32_e32 vcc_lo, 1, v10
	v_add_nc_u32_e32 v77, v53, v44
	v_and_b32_e32 v23, 1, v40
	v_lshlrev_b32_e32 v12, 2, v12
	ds_write_b32 v11, v20
	ds_write_b32 v19, v17
	;; [unrolled: 1-line block ×3, first 2 shown]
	v_cndmask_b32_e32 v10, v21, v30, vcc_lo
	v_add_nc_u32_e32 v21, v24, v22
	v_sub_nc_u32_e32 v12, v53, v8
	v_lshrrev_b32_e32 v9, 8, v40
	v_add_nc_u32_e32 v49, v51, v49
	v_cmp_eq_u32_e32 vcc_lo, 1, v23
	v_sub_nc_u32_e32 v11, v34, v21
	v_and_b32_sdwa v17, v71, v38 dst_sel:DWORD dst_unused:UNUSED_PAD src0_sel:DWORD src1_sel:WORD_1
	v_sub_nc_u32_e32 v18, v51, v7
	v_sub_nc_u32_e32 v19, v77, v8
	v_add_nc_u32_e32 v12, v12, v5
	v_cndmask_b32_e32 v10, v10, v36, vcc_lo
	v_and_b32_e32 v9, 1, v9
	v_add_nc_u32_e32 v11, 9, v11
	v_cmp_eq_u32_e32 vcc_lo, 1, v17
	v_sub_nc_u32_e32 v17, v49, v7
	v_add_nc_u32_e32 v19, v19, v5
	v_add_nc_u32_e32 v20, v18, v12
	;; [unrolled: 1-line block ×3, first 2 shown]
	v_cndmask_b32_e32 v11, v11, v22, vcc_lo
	v_cmp_eq_u32_e32 vcc_lo, 1, v9
	v_add_nc_u32_e32 v21, v17, v19
	v_sub_nc_u32_e32 v20, v34, v20
	v_and_b32_e32 v23, 1, v44
	v_add_nc_u32_e32 v50, v49, v43
	v_cndmask_b32_e32 v9, v11, v24, vcc_lo
	v_sub_nc_u32_e32 v11, v28, v8
	v_sub_nc_u32_e32 v21, v34, v21
	v_add_nc_u32_e32 v20, 10, v20
	v_and_b32_e32 v24, 1, v39
	v_cmp_eq_u32_e32 vcc_lo, 1, v23
	v_and_b32_sdwa v22, v71, v40 dst_sel:DWORD dst_unused:UNUSED_PAD src0_sel:DWORD src1_sel:WORD_1
	v_sub_nc_u32_e32 v7, v50, v7
	v_add_nc_u32_e32 v11, v11, v5
	v_add_nc_u32_e32 v21, 11, v21
	v_cndmask_b32_e32 v12, v20, v12, vcc_lo
	v_cmp_eq_u32_e32 vcc_lo, 1, v24
	v_and_b32_e32 v20, 1, v43
	v_add_nc_u32_e32 v27, v7, v11
	v_lshlrev_b32_e32 v10, 2, v10
	v_lshlrev_b32_e32 v9, 2, v9
	v_cndmask_b32_e32 v19, v21, v19, vcc_lo
	v_cmp_eq_u32_e32 vcc_lo, 1, v22
	v_sub_nc_u32_e32 v23, v34, v27
	v_cndmask_b32_e32 v12, v12, v18, vcc_lo
	v_and_b32_e32 v18, 1, v42
	v_cmp_eq_u32_e32 vcc_lo, 1, v20
	v_add_nc_u32_e32 v21, 12, v23
	v_lshlrev_b32_e32 v12, 2, v12
	v_cndmask_b32_e32 v17, v19, v17, vcc_lo
	v_and_b32_e32 v19, 1, v41
	v_cmp_eq_u32_e32 vcc_lo, 1, v18
	v_lshlrev_b32_e32 v17, 2, v17
	ds_write_b32 v10, v15
	ds_write_b32 v9, v16
	;; [unrolled: 1-line block ×4, first 2 shown]
	v_cndmask_b32_e32 v11, v21, v11, vcc_lo
	v_cmp_eq_u32_e32 vcc_lo, 1, v19
	v_add_co_u32 v9, s1, v6, v69
	v_add_co_ci_u32_e64 v10, null, 0, 0, s1
	v_cndmask_b32_e32 v7, v11, v7, vcc_lo
	v_add_co_u32 v11, s1, s34, v31
	v_add_co_ci_u32_e64 v12, null, s35, 0, s1
	v_lshlrev_b32_e32 v7, 2, v7
	v_add_nc_u32_e32 v14, v5, v6
	ds_write_b32 v7, v33
	v_add_co_u32 v7, vcc_lo, v9, v25
	v_add_co_ci_u32_e64 v9, null, v10, v26, vcc_lo
	s_waitcnt lgkmcnt(0)
	v_add_co_u32 v7, vcc_lo, v7, v1
	v_add_co_ci_u32_e64 v13, null, v9, v2, vcc_lo
	v_lshlrev_b64 v[9:10], 2, v[25:26]
	v_sub_co_u32 v7, vcc_lo, v11, v7
	v_sub_co_ci_u32_e64 v13, null, v12, v13, vcc_lo
	v_lshlrev_b64 v[11:12], 2, v[1:2]
	v_add_co_u32 v9, vcc_lo, s30, v9
	v_add_co_ci_u32_e64 v10, null, s31, v10, vcc_lo
	v_cmp_ne_u32_e32 vcc_lo, 1, v32
	v_add_co_u32 v11, s1, s28, v11
	v_add_co_ci_u32_e64 v12, null, s29, v12, s1
	s_mov_b32 s1, -1
	s_barrier
	buffer_gl0_inv
	s_cbranch_vccz .LBB1491_155
; %bb.152:
	s_and_b32 vcc_lo, exec_lo, s1
	s_cbranch_vccnz .LBB1491_260
.LBB1491_153:
	s_and_b32 s0, s0, s26
	s_and_saveexec_b32 s1, s0
	s_cbranch_execnz .LBB1491_378
.LBB1491_154:
	s_endpgm
.LBB1491_155:
	s_mov_b32 s1, exec_lo
	v_cmpx_ge_u32_e64 v0, v5
	s_xor_b32 s1, exec_lo, s1
	s_cbranch_execz .LBB1491_161
; %bb.156:
	s_mov_b32 s2, exec_lo
	v_cmpx_ge_u32_e64 v0, v14
	s_xor_b32 s2, exec_lo, s2
	s_cbranch_execz .LBB1491_158
; %bb.157:
	v_lshlrev_b32_e32 v15, 2, v0
	ds_read_b32 v17, v15
	v_add_co_u32 v15, vcc_lo, v7, v0
	v_add_co_ci_u32_e64 v16, null, 0, v13, vcc_lo
	v_lshlrev_b64 v[15:16], 2, v[15:16]
	v_sub_co_u32 v15, vcc_lo, s14, v15
	v_sub_co_ci_u32_e64 v16, null, s15, v16, vcc_lo
	s_waitcnt lgkmcnt(0)
	global_store_dword v[15:16], v17, off offset:-4
.LBB1491_158:
	s_andn2_saveexec_b32 s2, s2
	s_cbranch_execz .LBB1491_160
; %bb.159:
	v_lshlrev_b32_e32 v15, 2, v0
	v_readfirstlane_b32 s6, v9
	v_readfirstlane_b32 s7, v10
	ds_read_b32 v16, v15
	s_waitcnt lgkmcnt(0)
	global_store_dword v15, v16, s[6:7]
.LBB1491_160:
	s_or_b32 exec_lo, exec_lo, s2
.LBB1491_161:
	s_andn2_saveexec_b32 s1, s1
	s_cbranch_execz .LBB1491_163
; %bb.162:
	v_lshlrev_b32_e32 v15, 2, v0
	v_readfirstlane_b32 s2, v11
	v_readfirstlane_b32 s3, v12
	ds_read_b32 v16, v15
	s_waitcnt lgkmcnt(0)
	global_store_dword v15, v16, s[2:3]
.LBB1491_163:
	s_or_b32 exec_lo, exec_lo, s1
	v_or_b32_e32 v15, 0x100, v0
	s_mov_b32 s1, exec_lo
	v_cmpx_ge_u32_e64 v15, v5
	s_xor_b32 s1, exec_lo, s1
	s_cbranch_execz .LBB1491_169
; %bb.164:
	s_mov_b32 s2, exec_lo
	v_cmpx_ge_u32_e64 v15, v14
	s_xor_b32 s2, exec_lo, s2
	s_cbranch_execz .LBB1491_166
; %bb.165:
	v_lshlrev_b32_e32 v15, 2, v0
	ds_read_b32 v17, v15 offset:1024
	v_add_co_u32 v15, vcc_lo, v7, v0
	v_add_co_ci_u32_e64 v16, null, 0, v13, vcc_lo
	v_lshlrev_b64 v[15:16], 2, v[15:16]
	v_sub_co_u32 v15, vcc_lo, s14, v15
	v_sub_co_ci_u32_e64 v16, null, s15, v16, vcc_lo
	s_waitcnt lgkmcnt(0)
	global_store_dword v[15:16], v17, off offset:-1028
.LBB1491_166:
	s_andn2_saveexec_b32 s2, s2
	s_cbranch_execz .LBB1491_168
; %bb.167:
	v_lshlrev_b32_e32 v15, 2, v0
	v_readfirstlane_b32 s6, v9
	v_readfirstlane_b32 s7, v10
	ds_read_b32 v16, v15 offset:1024
	s_waitcnt lgkmcnt(0)
	global_store_dword v15, v16, s[6:7] offset:1024
.LBB1491_168:
	s_or_b32 exec_lo, exec_lo, s2
.LBB1491_169:
	s_andn2_saveexec_b32 s1, s1
	s_cbranch_execz .LBB1491_171
; %bb.170:
	v_lshlrev_b32_e32 v15, 2, v0
	v_readfirstlane_b32 s2, v11
	v_readfirstlane_b32 s3, v12
	ds_read_b32 v16, v15 offset:1024
	s_waitcnt lgkmcnt(0)
	global_store_dword v15, v16, s[2:3] offset:1024
.LBB1491_171:
	s_or_b32 exec_lo, exec_lo, s1
	v_or_b32_e32 v15, 0x200, v0
	s_mov_b32 s1, exec_lo
	v_cmpx_ge_u32_e64 v15, v5
	s_xor_b32 s1, exec_lo, s1
	s_cbranch_execz .LBB1491_177
; %bb.172:
	s_mov_b32 s2, exec_lo
	v_cmpx_ge_u32_e64 v15, v14
	s_xor_b32 s2, exec_lo, s2
	s_cbranch_execz .LBB1491_174
; %bb.173:
	v_lshlrev_b32_e32 v17, 2, v0
	v_add_co_u32 v15, vcc_lo, v7, v0
	v_add_co_ci_u32_e64 v16, null, 0, v13, vcc_lo
	ds_read_b32 v17, v17 offset:2048
	v_lshlrev_b64 v[15:16], 2, v[15:16]
	v_sub_co_u32 v15, vcc_lo, s14, v15
	v_sub_co_ci_u32_e64 v16, null, s15, v16, vcc_lo
	v_add_co_u32 v15, vcc_lo, 0xfffff800, v15
	v_add_co_ci_u32_e64 v16, null, -1, v16, vcc_lo
	s_waitcnt lgkmcnt(0)
	global_store_dword v[15:16], v17, off offset:-4
                                        ; implicit-def: $vgpr15
.LBB1491_174:
	s_andn2_saveexec_b32 s2, s2
	s_cbranch_execz .LBB1491_176
; %bb.175:
	v_lshlrev_b32_e32 v16, 2, v0
	v_lshlrev_b32_e32 v15, 2, v15
	v_readfirstlane_b32 s6, v9
	v_readfirstlane_b32 s7, v10
	ds_read_b32 v16, v16 offset:2048
	s_waitcnt lgkmcnt(0)
	global_store_dword v15, v16, s[6:7]
.LBB1491_176:
	s_or_b32 exec_lo, exec_lo, s2
                                        ; implicit-def: $vgpr15
.LBB1491_177:
	s_andn2_saveexec_b32 s1, s1
	s_cbranch_execz .LBB1491_179
; %bb.178:
	v_lshlrev_b32_e32 v16, 2, v0
	v_lshlrev_b32_e32 v15, 2, v15
	v_readfirstlane_b32 s2, v11
	v_readfirstlane_b32 s3, v12
	ds_read_b32 v16, v16 offset:2048
	s_waitcnt lgkmcnt(0)
	global_store_dword v15, v16, s[2:3]
.LBB1491_179:
	s_or_b32 exec_lo, exec_lo, s1
	v_or_b32_e32 v15, 0x300, v0
	s_mov_b32 s1, exec_lo
	v_cmpx_ge_u32_e64 v15, v5
	s_xor_b32 s1, exec_lo, s1
	s_cbranch_execz .LBB1491_185
; %bb.180:
	s_mov_b32 s2, exec_lo
	v_cmpx_ge_u32_e64 v15, v14
	s_xor_b32 s2, exec_lo, s2
	s_cbranch_execz .LBB1491_182
; %bb.181:
	v_lshlrev_b32_e32 v16, 2, v0
	v_add_co_u32 v15, vcc_lo, v7, v15
	ds_read_b32 v17, v16 offset:3072
	v_add_co_ci_u32_e64 v16, null, 0, v13, vcc_lo
	v_lshlrev_b64 v[15:16], 2, v[15:16]
	v_sub_co_u32 v15, vcc_lo, s14, v15
	v_sub_co_ci_u32_e64 v16, null, s15, v16, vcc_lo
	s_waitcnt lgkmcnt(0)
	global_store_dword v[15:16], v17, off offset:-4
                                        ; implicit-def: $vgpr15
.LBB1491_182:
	s_andn2_saveexec_b32 s2, s2
	s_cbranch_execz .LBB1491_184
; %bb.183:
	v_lshlrev_b32_e32 v16, 2, v0
	v_lshlrev_b32_e32 v15, 2, v15
	v_readfirstlane_b32 s6, v9
	v_readfirstlane_b32 s7, v10
	ds_read_b32 v16, v16 offset:3072
	s_waitcnt lgkmcnt(0)
	global_store_dword v15, v16, s[6:7]
.LBB1491_184:
	s_or_b32 exec_lo, exec_lo, s2
                                        ; implicit-def: $vgpr15
.LBB1491_185:
	s_andn2_saveexec_b32 s1, s1
	s_cbranch_execz .LBB1491_187
; %bb.186:
	v_lshlrev_b32_e32 v16, 2, v0
	v_lshlrev_b32_e32 v15, 2, v15
	v_readfirstlane_b32 s2, v11
	v_readfirstlane_b32 s3, v12
	ds_read_b32 v16, v16 offset:3072
	s_waitcnt lgkmcnt(0)
	global_store_dword v15, v16, s[2:3]
.LBB1491_187:
	s_or_b32 exec_lo, exec_lo, s1
	v_or_b32_e32 v15, 0x400, v0
	s_mov_b32 s1, exec_lo
	v_cmpx_ge_u32_e64 v15, v5
	s_xor_b32 s1, exec_lo, s1
	s_cbranch_execz .LBB1491_193
; %bb.188:
	s_mov_b32 s2, exec_lo
	v_cmpx_ge_u32_e64 v15, v14
	s_xor_b32 s2, exec_lo, s2
	s_cbranch_execz .LBB1491_190
; %bb.189:
	v_lshlrev_b32_e32 v16, 2, v0
	v_add_co_u32 v15, vcc_lo, v7, v15
	ds_read_b32 v17, v16 offset:4096
	v_add_co_ci_u32_e64 v16, null, 0, v13, vcc_lo
	v_lshlrev_b64 v[15:16], 2, v[15:16]
	v_sub_co_u32 v15, vcc_lo, s14, v15
	v_sub_co_ci_u32_e64 v16, null, s15, v16, vcc_lo
	s_waitcnt lgkmcnt(0)
	global_store_dword v[15:16], v17, off offset:-4
                                        ; implicit-def: $vgpr15
.LBB1491_190:
	s_andn2_saveexec_b32 s2, s2
	s_cbranch_execz .LBB1491_192
; %bb.191:
	v_lshlrev_b32_e32 v16, 2, v0
	v_lshlrev_b32_e32 v15, 2, v15
	v_readfirstlane_b32 s6, v9
	v_readfirstlane_b32 s7, v10
	ds_read_b32 v16, v16 offset:4096
	s_waitcnt lgkmcnt(0)
	global_store_dword v15, v16, s[6:7]
.LBB1491_192:
	s_or_b32 exec_lo, exec_lo, s2
                                        ; implicit-def: $vgpr15
.LBB1491_193:
	;; [unrolled: 48-line block ×10, first 2 shown]
	s_andn2_saveexec_b32 s1, s1
	s_cbranch_execz .LBB1491_259
; %bb.258:
	v_lshlrev_b32_e32 v16, 2, v0
	v_lshlrev_b32_e32 v15, 2, v15
	v_readfirstlane_b32 s2, v11
	v_readfirstlane_b32 s3, v12
	ds_read_b32 v16, v16 offset:12288
	s_waitcnt lgkmcnt(0)
	global_store_dword v15, v16, s[2:3]
.LBB1491_259:
	s_or_b32 exec_lo, exec_lo, s1
	s_branch .LBB1491_153
.LBB1491_260:
	s_mov_b32 s1, exec_lo
	v_cmpx_gt_u32_e64 s5, v0
	s_cbranch_execz .LBB1491_269
; %bb.261:
	s_mov_b32 s2, exec_lo
	v_cmpx_ge_u32_e64 v0, v5
	s_xor_b32 s2, exec_lo, s2
	s_cbranch_execz .LBB1491_267
; %bb.262:
	s_mov_b32 s3, exec_lo
	v_cmpx_ge_u32_e64 v0, v14
	s_xor_b32 s3, exec_lo, s3
	s_cbranch_execz .LBB1491_264
; %bb.263:
	v_lshlrev_b32_e32 v15, 2, v0
	ds_read_b32 v17, v15
	v_add_co_u32 v15, vcc_lo, v7, v0
	v_add_co_ci_u32_e64 v16, null, 0, v13, vcc_lo
	v_lshlrev_b64 v[15:16], 2, v[15:16]
	v_sub_co_u32 v15, vcc_lo, s14, v15
	v_sub_co_ci_u32_e64 v16, null, s15, v16, vcc_lo
	s_waitcnt lgkmcnt(0)
	global_store_dword v[15:16], v17, off offset:-4
.LBB1491_264:
	s_andn2_saveexec_b32 s3, s3
	s_cbranch_execz .LBB1491_266
; %bb.265:
	v_lshlrev_b32_e32 v15, 2, v0
	v_readfirstlane_b32 s6, v9
	v_readfirstlane_b32 s7, v10
	ds_read_b32 v16, v15
	s_waitcnt lgkmcnt(0)
	global_store_dword v15, v16, s[6:7]
.LBB1491_266:
	s_or_b32 exec_lo, exec_lo, s3
.LBB1491_267:
	s_andn2_saveexec_b32 s2, s2
	s_cbranch_execz .LBB1491_269
; %bb.268:
	v_lshlrev_b32_e32 v15, 2, v0
	v_readfirstlane_b32 s2, v11
	v_readfirstlane_b32 s3, v12
	ds_read_b32 v16, v15
	s_waitcnt lgkmcnt(0)
	global_store_dword v15, v16, s[2:3]
.LBB1491_269:
	s_or_b32 exec_lo, exec_lo, s1
	v_or_b32_e32 v15, 0x100, v0
	s_mov_b32 s1, exec_lo
	v_cmpx_gt_u32_e64 s5, v15
	s_cbranch_execz .LBB1491_278
; %bb.270:
	s_mov_b32 s2, exec_lo
	v_cmpx_ge_u32_e64 v15, v5
	s_xor_b32 s2, exec_lo, s2
	s_cbranch_execz .LBB1491_276
; %bb.271:
	s_mov_b32 s3, exec_lo
	v_cmpx_ge_u32_e64 v15, v14
	s_xor_b32 s3, exec_lo, s3
	s_cbranch_execz .LBB1491_273
; %bb.272:
	v_lshlrev_b32_e32 v15, 2, v0
	ds_read_b32 v17, v15 offset:1024
	v_add_co_u32 v15, vcc_lo, v7, v0
	v_add_co_ci_u32_e64 v16, null, 0, v13, vcc_lo
	v_lshlrev_b64 v[15:16], 2, v[15:16]
	v_sub_co_u32 v15, vcc_lo, s14, v15
	v_sub_co_ci_u32_e64 v16, null, s15, v16, vcc_lo
	s_waitcnt lgkmcnt(0)
	global_store_dword v[15:16], v17, off offset:-1028
.LBB1491_273:
	s_andn2_saveexec_b32 s3, s3
	s_cbranch_execz .LBB1491_275
; %bb.274:
	v_lshlrev_b32_e32 v15, 2, v0
	v_readfirstlane_b32 s6, v9
	v_readfirstlane_b32 s7, v10
	ds_read_b32 v16, v15 offset:1024
	s_waitcnt lgkmcnt(0)
	global_store_dword v15, v16, s[6:7] offset:1024
.LBB1491_275:
	s_or_b32 exec_lo, exec_lo, s3
.LBB1491_276:
	s_andn2_saveexec_b32 s2, s2
	s_cbranch_execz .LBB1491_278
; %bb.277:
	v_lshlrev_b32_e32 v15, 2, v0
	v_readfirstlane_b32 s2, v11
	v_readfirstlane_b32 s3, v12
	ds_read_b32 v16, v15 offset:1024
	s_waitcnt lgkmcnt(0)
	global_store_dword v15, v16, s[2:3] offset:1024
.LBB1491_278:
	s_or_b32 exec_lo, exec_lo, s1
	v_or_b32_e32 v15, 0x200, v0
	s_mov_b32 s1, exec_lo
	v_cmpx_gt_u32_e64 s5, v15
	s_cbranch_execz .LBB1491_287
; %bb.279:
	s_mov_b32 s2, exec_lo
	v_cmpx_ge_u32_e64 v15, v5
	s_xor_b32 s2, exec_lo, s2
	s_cbranch_execz .LBB1491_285
; %bb.280:
	s_mov_b32 s3, exec_lo
	v_cmpx_ge_u32_e64 v15, v14
	s_xor_b32 s3, exec_lo, s3
	s_cbranch_execz .LBB1491_282
; %bb.281:
	v_lshlrev_b32_e32 v17, 2, v0
	v_add_co_u32 v15, vcc_lo, v7, v0
	v_add_co_ci_u32_e64 v16, null, 0, v13, vcc_lo
	ds_read_b32 v17, v17 offset:2048
	v_lshlrev_b64 v[15:16], 2, v[15:16]
	v_sub_co_u32 v15, vcc_lo, s14, v15
	v_sub_co_ci_u32_e64 v16, null, s15, v16, vcc_lo
	v_add_co_u32 v15, vcc_lo, 0xfffff800, v15
	v_add_co_ci_u32_e64 v16, null, -1, v16, vcc_lo
	s_waitcnt lgkmcnt(0)
	global_store_dword v[15:16], v17, off offset:-4
                                        ; implicit-def: $vgpr15
.LBB1491_282:
	s_andn2_saveexec_b32 s3, s3
	s_cbranch_execz .LBB1491_284
; %bb.283:
	v_lshlrev_b32_e32 v16, 2, v0
	v_lshlrev_b32_e32 v15, 2, v15
	v_readfirstlane_b32 s6, v9
	v_readfirstlane_b32 s7, v10
	ds_read_b32 v16, v16 offset:2048
	s_waitcnt lgkmcnt(0)
	global_store_dword v15, v16, s[6:7]
.LBB1491_284:
	s_or_b32 exec_lo, exec_lo, s3
                                        ; implicit-def: $vgpr15
.LBB1491_285:
	s_andn2_saveexec_b32 s2, s2
	s_cbranch_execz .LBB1491_287
; %bb.286:
	v_lshlrev_b32_e32 v16, 2, v0
	v_lshlrev_b32_e32 v15, 2, v15
	v_readfirstlane_b32 s2, v11
	v_readfirstlane_b32 s3, v12
	ds_read_b32 v16, v16 offset:2048
	s_waitcnt lgkmcnt(0)
	global_store_dword v15, v16, s[2:3]
.LBB1491_287:
	s_or_b32 exec_lo, exec_lo, s1
	v_or_b32_e32 v15, 0x300, v0
	s_mov_b32 s1, exec_lo
	v_cmpx_gt_u32_e64 s5, v15
	s_cbranch_execz .LBB1491_296
; %bb.288:
	s_mov_b32 s2, exec_lo
	v_cmpx_ge_u32_e64 v15, v5
	s_xor_b32 s2, exec_lo, s2
	s_cbranch_execz .LBB1491_294
; %bb.289:
	s_mov_b32 s3, exec_lo
	v_cmpx_ge_u32_e64 v15, v14
	s_xor_b32 s3, exec_lo, s3
	s_cbranch_execz .LBB1491_291
; %bb.290:
	v_lshlrev_b32_e32 v16, 2, v0
	v_add_co_u32 v15, vcc_lo, v7, v15
	ds_read_b32 v17, v16 offset:3072
	v_add_co_ci_u32_e64 v16, null, 0, v13, vcc_lo
	v_lshlrev_b64 v[15:16], 2, v[15:16]
	v_sub_co_u32 v15, vcc_lo, s14, v15
	v_sub_co_ci_u32_e64 v16, null, s15, v16, vcc_lo
	s_waitcnt lgkmcnt(0)
	global_store_dword v[15:16], v17, off offset:-4
                                        ; implicit-def: $vgpr15
.LBB1491_291:
	s_andn2_saveexec_b32 s3, s3
	s_cbranch_execz .LBB1491_293
; %bb.292:
	v_lshlrev_b32_e32 v16, 2, v0
	v_lshlrev_b32_e32 v15, 2, v15
	v_readfirstlane_b32 s6, v9
	v_readfirstlane_b32 s7, v10
	ds_read_b32 v16, v16 offset:3072
	s_waitcnt lgkmcnt(0)
	global_store_dword v15, v16, s[6:7]
.LBB1491_293:
	s_or_b32 exec_lo, exec_lo, s3
                                        ; implicit-def: $vgpr15
.LBB1491_294:
	s_andn2_saveexec_b32 s2, s2
	s_cbranch_execz .LBB1491_296
; %bb.295:
	v_lshlrev_b32_e32 v16, 2, v0
	v_lshlrev_b32_e32 v15, 2, v15
	v_readfirstlane_b32 s2, v11
	v_readfirstlane_b32 s3, v12
	ds_read_b32 v16, v16 offset:3072
	s_waitcnt lgkmcnt(0)
	global_store_dword v15, v16, s[2:3]
.LBB1491_296:
	s_or_b32 exec_lo, exec_lo, s1
	v_or_b32_e32 v15, 0x400, v0
	s_mov_b32 s1, exec_lo
	v_cmpx_gt_u32_e64 s5, v15
	s_cbranch_execz .LBB1491_305
; %bb.297:
	s_mov_b32 s2, exec_lo
	v_cmpx_ge_u32_e64 v15, v5
	s_xor_b32 s2, exec_lo, s2
	s_cbranch_execz .LBB1491_303
; %bb.298:
	s_mov_b32 s3, exec_lo
	v_cmpx_ge_u32_e64 v15, v14
	s_xor_b32 s3, exec_lo, s3
	s_cbranch_execz .LBB1491_300
; %bb.299:
	v_lshlrev_b32_e32 v16, 2, v0
	v_add_co_u32 v15, vcc_lo, v7, v15
	ds_read_b32 v17, v16 offset:4096
	v_add_co_ci_u32_e64 v16, null, 0, v13, vcc_lo
	v_lshlrev_b64 v[15:16], 2, v[15:16]
	v_sub_co_u32 v15, vcc_lo, s14, v15
	v_sub_co_ci_u32_e64 v16, null, s15, v16, vcc_lo
	s_waitcnt lgkmcnt(0)
	global_store_dword v[15:16], v17, off offset:-4
                                        ; implicit-def: $vgpr15
.LBB1491_300:
	s_andn2_saveexec_b32 s3, s3
	s_cbranch_execz .LBB1491_302
; %bb.301:
	v_lshlrev_b32_e32 v16, 2, v0
	v_lshlrev_b32_e32 v15, 2, v15
	v_readfirstlane_b32 s6, v9
	v_readfirstlane_b32 s7, v10
	ds_read_b32 v16, v16 offset:4096
	s_waitcnt lgkmcnt(0)
	global_store_dword v15, v16, s[6:7]
.LBB1491_302:
	s_or_b32 exec_lo, exec_lo, s3
                                        ; implicit-def: $vgpr15
.LBB1491_303:
	s_andn2_saveexec_b32 s2, s2
	s_cbranch_execz .LBB1491_305
; %bb.304:
	v_lshlrev_b32_e32 v16, 2, v0
	v_lshlrev_b32_e32 v15, 2, v15
	v_readfirstlane_b32 s2, v11
	v_readfirstlane_b32 s3, v12
	ds_read_b32 v16, v16 offset:4096
	s_waitcnt lgkmcnt(0)
	global_store_dword v15, v16, s[2:3]
.LBB1491_305:
	;; [unrolled: 52-line block ×9, first 2 shown]
	s_or_b32 exec_lo, exec_lo, s1
	v_or_b32_e32 v15, 0xc00, v0
	s_mov_b32 s1, exec_lo
	v_cmpx_gt_u32_e64 s5, v15
	s_cbranch_execz .LBB1491_377
; %bb.369:
	s_mov_b32 s2, exec_lo
	v_cmpx_ge_u32_e64 v15, v5
	s_xor_b32 s2, exec_lo, s2
	s_cbranch_execz .LBB1491_375
; %bb.370:
	s_mov_b32 s3, exec_lo
	v_cmpx_ge_u32_e64 v15, v14
	s_xor_b32 s3, exec_lo, s3
	s_cbranch_execz .LBB1491_372
; %bb.371:
	v_lshlrev_b32_e32 v0, 2, v0
	v_add_co_u32 v9, vcc_lo, v7, v15
	v_add_co_ci_u32_e64 v10, null, 0, v13, vcc_lo
	ds_read_b32 v0, v0 offset:12288
                                        ; implicit-def: $vgpr15
	v_lshlrev_b64 v[9:10], 2, v[9:10]
	v_sub_co_u32 v9, vcc_lo, s14, v9
	v_sub_co_ci_u32_e64 v10, null, s15, v10, vcc_lo
	s_waitcnt lgkmcnt(0)
	global_store_dword v[9:10], v0, off offset:-4
                                        ; implicit-def: $vgpr0
                                        ; implicit-def: $vgpr9_vgpr10
.LBB1491_372:
	s_andn2_saveexec_b32 s3, s3
	s_cbranch_execz .LBB1491_374
; %bb.373:
	v_lshlrev_b32_e32 v0, 2, v0
	v_lshlrev_b32_e32 v7, 2, v15
	v_readfirstlane_b32 s4, v9
	v_readfirstlane_b32 s5, v10
	ds_read_b32 v0, v0 offset:12288
	s_waitcnt lgkmcnt(0)
	global_store_dword v7, v0, s[4:5]
.LBB1491_374:
	s_or_b32 exec_lo, exec_lo, s3
                                        ; implicit-def: $vgpr0
                                        ; implicit-def: $vgpr15
                                        ; implicit-def: $vgpr11_vgpr12
.LBB1491_375:
	s_andn2_saveexec_b32 s2, s2
	s_cbranch_execz .LBB1491_377
; %bb.376:
	v_lshlrev_b32_e32 v0, 2, v0
	v_lshlrev_b32_e32 v7, 2, v15
	v_readfirstlane_b32 s2, v11
	v_readfirstlane_b32 s3, v12
	ds_read_b32 v0, v0 offset:12288
	s_waitcnt lgkmcnt(0)
	global_store_dword v7, v0, s[2:3]
.LBB1491_377:
	s_or_b32 exec_lo, exec_lo, s1
	s_and_b32 s0, s0, s26
	s_and_saveexec_b32 s1, s0
	s_cbranch_execz .LBB1491_154
.LBB1491_378:
	v_add_co_u32 v0, vcc_lo, v3, v6
	v_add_co_ci_u32_e64 v4, null, 0, v4, vcc_lo
	v_mov_b32_e32 v6, 0
	v_add_co_u32 v3, vcc_lo, v0, v8
	v_add_co_ci_u32_e64 v4, null, 0, v4, vcc_lo
	v_add_co_u32 v1, vcc_lo, v1, v5
	v_add_co_ci_u32_e64 v2, null, 0, v2, vcc_lo
	global_store_dwordx4 v6, v[1:4], s[24:25]
	s_endpgm
.LBB1491_379:
	s_add_i32 s8, s27, 32
	s_mov_b32 s9, 0
	v_add_nc_u32_e32 v10, v8, v6
	s_lshl_b64 s[8:9], s[8:9], 4
	v_add_nc_u32_e32 v9, v7, v5
	s_add_u32 s8, s36, s8
	s_addc_u32 s9, s37, s9
	v_mov_b32_e32 v11, 2
	v_mov_b32_e32 v28, s9
	;; [unrolled: 1-line block ×4, first 2 shown]
	;;#ASMSTART
	global_store_dwordx4 v[27:28], v[9:12] off	
s_waitcnt vmcnt(0)
	;;#ASMEND
	s_or_b32 exec_lo, exec_lo, s6
	s_and_saveexec_b32 s6, s3
	s_cbranch_execz .LBB1491_139
.LBB1491_380:
	v_mov_b32_e32 v9, 0
	ds_write_b128 v9, v[5:8] offset:13312
	s_or_b32 exec_lo, exec_lo, s6
	s_and_b32 exec_lo, exec_lo, s0
	s_cbranch_execnz .LBB1491_140
	s_branch .LBB1491_141
	.section	.rodata,"a",@progbits
	.p2align	6, 0x0
	.amdhsa_kernel _ZN7rocprim17ROCPRIM_400000_NS6detail17trampoline_kernelINS0_13select_configILj256ELj13ELNS0_17block_load_methodE3ELS4_3ELS4_3ELNS0_20block_scan_algorithmE0ELj4294967295EEENS1_25partition_config_selectorILNS1_17partition_subalgoE4EjNS0_10empty_typeEbEEZZNS1_14partition_implILS8_4ELb0ES6_15HIP_vector_typeIjLj2EENS0_17counting_iteratorIjlEEPS9_SG_NS0_5tupleIJPjSI_NS0_16reverse_iteratorISI_EEEEENSH_IJSG_SG_SG_EEES9_SI_JZNS1_25segmented_radix_sort_implINS0_14default_configELb1EPKbPbPKlPlN2at6native12_GLOBAL__N_18offset_tEEE10hipError_tPvRmT1_PNSt15iterator_traitsIS12_E10value_typeET2_T3_PNS13_IS18_E10value_typeET4_jRbjT5_S1E_jjP12ihipStream_tbEUljE_ZNSN_ISO_Lb1ESQ_SR_ST_SU_SY_EESZ_S10_S11_S12_S16_S17_S18_S1B_S1C_jS1D_jS1E_S1E_jjS1G_bEUljE0_EEESZ_S10_S11_S18_S1C_S1E_T6_T7_T9_mT8_S1G_bDpT10_ENKUlT_T0_E_clISt17integral_constantIbLb0EES1T_IbLb1EEEEDaS1P_S1Q_EUlS1P_E_NS1_11comp_targetILNS1_3genE8ELNS1_11target_archE1030ELNS1_3gpuE2ELNS1_3repE0EEENS1_30default_config_static_selectorELNS0_4arch9wavefront6targetE0EEEvS12_
		.amdhsa_group_segment_fixed_size 13328
		.amdhsa_private_segment_fixed_size 0
		.amdhsa_kernarg_size 184
		.amdhsa_user_sgpr_count 6
		.amdhsa_user_sgpr_private_segment_buffer 1
		.amdhsa_user_sgpr_dispatch_ptr 0
		.amdhsa_user_sgpr_queue_ptr 0
		.amdhsa_user_sgpr_kernarg_segment_ptr 1
		.amdhsa_user_sgpr_dispatch_id 0
		.amdhsa_user_sgpr_flat_scratch_init 0
		.amdhsa_user_sgpr_private_segment_size 0
		.amdhsa_wavefront_size32 1
		.amdhsa_uses_dynamic_stack 0
		.amdhsa_system_sgpr_private_segment_wavefront_offset 0
		.amdhsa_system_sgpr_workgroup_id_x 1
		.amdhsa_system_sgpr_workgroup_id_y 0
		.amdhsa_system_sgpr_workgroup_id_z 0
		.amdhsa_system_sgpr_workgroup_info 0
		.amdhsa_system_vgpr_workitem_id 0
		.amdhsa_next_free_vgpr 87
		.amdhsa_next_free_sgpr 55
		.amdhsa_reserve_vcc 1
		.amdhsa_reserve_flat_scratch 0
		.amdhsa_float_round_mode_32 0
		.amdhsa_float_round_mode_16_64 0
		.amdhsa_float_denorm_mode_32 3
		.amdhsa_float_denorm_mode_16_64 3
		.amdhsa_dx10_clamp 1
		.amdhsa_ieee_mode 1
		.amdhsa_fp16_overflow 0
		.amdhsa_workgroup_processor_mode 1
		.amdhsa_memory_ordered 1
		.amdhsa_forward_progress 1
		.amdhsa_shared_vgpr_count 0
		.amdhsa_exception_fp_ieee_invalid_op 0
		.amdhsa_exception_fp_denorm_src 0
		.amdhsa_exception_fp_ieee_div_zero 0
		.amdhsa_exception_fp_ieee_overflow 0
		.amdhsa_exception_fp_ieee_underflow 0
		.amdhsa_exception_fp_ieee_inexact 0
		.amdhsa_exception_int_div_zero 0
	.end_amdhsa_kernel
	.section	.text._ZN7rocprim17ROCPRIM_400000_NS6detail17trampoline_kernelINS0_13select_configILj256ELj13ELNS0_17block_load_methodE3ELS4_3ELS4_3ELNS0_20block_scan_algorithmE0ELj4294967295EEENS1_25partition_config_selectorILNS1_17partition_subalgoE4EjNS0_10empty_typeEbEEZZNS1_14partition_implILS8_4ELb0ES6_15HIP_vector_typeIjLj2EENS0_17counting_iteratorIjlEEPS9_SG_NS0_5tupleIJPjSI_NS0_16reverse_iteratorISI_EEEEENSH_IJSG_SG_SG_EEES9_SI_JZNS1_25segmented_radix_sort_implINS0_14default_configELb1EPKbPbPKlPlN2at6native12_GLOBAL__N_18offset_tEEE10hipError_tPvRmT1_PNSt15iterator_traitsIS12_E10value_typeET2_T3_PNS13_IS18_E10value_typeET4_jRbjT5_S1E_jjP12ihipStream_tbEUljE_ZNSN_ISO_Lb1ESQ_SR_ST_SU_SY_EESZ_S10_S11_S12_S16_S17_S18_S1B_S1C_jS1D_jS1E_S1E_jjS1G_bEUljE0_EEESZ_S10_S11_S18_S1C_S1E_T6_T7_T9_mT8_S1G_bDpT10_ENKUlT_T0_E_clISt17integral_constantIbLb0EES1T_IbLb1EEEEDaS1P_S1Q_EUlS1P_E_NS1_11comp_targetILNS1_3genE8ELNS1_11target_archE1030ELNS1_3gpuE2ELNS1_3repE0EEENS1_30default_config_static_selectorELNS0_4arch9wavefront6targetE0EEEvS12_,"axG",@progbits,_ZN7rocprim17ROCPRIM_400000_NS6detail17trampoline_kernelINS0_13select_configILj256ELj13ELNS0_17block_load_methodE3ELS4_3ELS4_3ELNS0_20block_scan_algorithmE0ELj4294967295EEENS1_25partition_config_selectorILNS1_17partition_subalgoE4EjNS0_10empty_typeEbEEZZNS1_14partition_implILS8_4ELb0ES6_15HIP_vector_typeIjLj2EENS0_17counting_iteratorIjlEEPS9_SG_NS0_5tupleIJPjSI_NS0_16reverse_iteratorISI_EEEEENSH_IJSG_SG_SG_EEES9_SI_JZNS1_25segmented_radix_sort_implINS0_14default_configELb1EPKbPbPKlPlN2at6native12_GLOBAL__N_18offset_tEEE10hipError_tPvRmT1_PNSt15iterator_traitsIS12_E10value_typeET2_T3_PNS13_IS18_E10value_typeET4_jRbjT5_S1E_jjP12ihipStream_tbEUljE_ZNSN_ISO_Lb1ESQ_SR_ST_SU_SY_EESZ_S10_S11_S12_S16_S17_S18_S1B_S1C_jS1D_jS1E_S1E_jjS1G_bEUljE0_EEESZ_S10_S11_S18_S1C_S1E_T6_T7_T9_mT8_S1G_bDpT10_ENKUlT_T0_E_clISt17integral_constantIbLb0EES1T_IbLb1EEEEDaS1P_S1Q_EUlS1P_E_NS1_11comp_targetILNS1_3genE8ELNS1_11target_archE1030ELNS1_3gpuE2ELNS1_3repE0EEENS1_30default_config_static_selectorELNS0_4arch9wavefront6targetE0EEEvS12_,comdat
.Lfunc_end1491:
	.size	_ZN7rocprim17ROCPRIM_400000_NS6detail17trampoline_kernelINS0_13select_configILj256ELj13ELNS0_17block_load_methodE3ELS4_3ELS4_3ELNS0_20block_scan_algorithmE0ELj4294967295EEENS1_25partition_config_selectorILNS1_17partition_subalgoE4EjNS0_10empty_typeEbEEZZNS1_14partition_implILS8_4ELb0ES6_15HIP_vector_typeIjLj2EENS0_17counting_iteratorIjlEEPS9_SG_NS0_5tupleIJPjSI_NS0_16reverse_iteratorISI_EEEEENSH_IJSG_SG_SG_EEES9_SI_JZNS1_25segmented_radix_sort_implINS0_14default_configELb1EPKbPbPKlPlN2at6native12_GLOBAL__N_18offset_tEEE10hipError_tPvRmT1_PNSt15iterator_traitsIS12_E10value_typeET2_T3_PNS13_IS18_E10value_typeET4_jRbjT5_S1E_jjP12ihipStream_tbEUljE_ZNSN_ISO_Lb1ESQ_SR_ST_SU_SY_EESZ_S10_S11_S12_S16_S17_S18_S1B_S1C_jS1D_jS1E_S1E_jjS1G_bEUljE0_EEESZ_S10_S11_S18_S1C_S1E_T6_T7_T9_mT8_S1G_bDpT10_ENKUlT_T0_E_clISt17integral_constantIbLb0EES1T_IbLb1EEEEDaS1P_S1Q_EUlS1P_E_NS1_11comp_targetILNS1_3genE8ELNS1_11target_archE1030ELNS1_3gpuE2ELNS1_3repE0EEENS1_30default_config_static_selectorELNS0_4arch9wavefront6targetE0EEEvS12_, .Lfunc_end1491-_ZN7rocprim17ROCPRIM_400000_NS6detail17trampoline_kernelINS0_13select_configILj256ELj13ELNS0_17block_load_methodE3ELS4_3ELS4_3ELNS0_20block_scan_algorithmE0ELj4294967295EEENS1_25partition_config_selectorILNS1_17partition_subalgoE4EjNS0_10empty_typeEbEEZZNS1_14partition_implILS8_4ELb0ES6_15HIP_vector_typeIjLj2EENS0_17counting_iteratorIjlEEPS9_SG_NS0_5tupleIJPjSI_NS0_16reverse_iteratorISI_EEEEENSH_IJSG_SG_SG_EEES9_SI_JZNS1_25segmented_radix_sort_implINS0_14default_configELb1EPKbPbPKlPlN2at6native12_GLOBAL__N_18offset_tEEE10hipError_tPvRmT1_PNSt15iterator_traitsIS12_E10value_typeET2_T3_PNS13_IS18_E10value_typeET4_jRbjT5_S1E_jjP12ihipStream_tbEUljE_ZNSN_ISO_Lb1ESQ_SR_ST_SU_SY_EESZ_S10_S11_S12_S16_S17_S18_S1B_S1C_jS1D_jS1E_S1E_jjS1G_bEUljE0_EEESZ_S10_S11_S18_S1C_S1E_T6_T7_T9_mT8_S1G_bDpT10_ENKUlT_T0_E_clISt17integral_constantIbLb0EES1T_IbLb1EEEEDaS1P_S1Q_EUlS1P_E_NS1_11comp_targetILNS1_3genE8ELNS1_11target_archE1030ELNS1_3gpuE2ELNS1_3repE0EEENS1_30default_config_static_selectorELNS0_4arch9wavefront6targetE0EEEvS12_
                                        ; -- End function
	.set _ZN7rocprim17ROCPRIM_400000_NS6detail17trampoline_kernelINS0_13select_configILj256ELj13ELNS0_17block_load_methodE3ELS4_3ELS4_3ELNS0_20block_scan_algorithmE0ELj4294967295EEENS1_25partition_config_selectorILNS1_17partition_subalgoE4EjNS0_10empty_typeEbEEZZNS1_14partition_implILS8_4ELb0ES6_15HIP_vector_typeIjLj2EENS0_17counting_iteratorIjlEEPS9_SG_NS0_5tupleIJPjSI_NS0_16reverse_iteratorISI_EEEEENSH_IJSG_SG_SG_EEES9_SI_JZNS1_25segmented_radix_sort_implINS0_14default_configELb1EPKbPbPKlPlN2at6native12_GLOBAL__N_18offset_tEEE10hipError_tPvRmT1_PNSt15iterator_traitsIS12_E10value_typeET2_T3_PNS13_IS18_E10value_typeET4_jRbjT5_S1E_jjP12ihipStream_tbEUljE_ZNSN_ISO_Lb1ESQ_SR_ST_SU_SY_EESZ_S10_S11_S12_S16_S17_S18_S1B_S1C_jS1D_jS1E_S1E_jjS1G_bEUljE0_EEESZ_S10_S11_S18_S1C_S1E_T6_T7_T9_mT8_S1G_bDpT10_ENKUlT_T0_E_clISt17integral_constantIbLb0EES1T_IbLb1EEEEDaS1P_S1Q_EUlS1P_E_NS1_11comp_targetILNS1_3genE8ELNS1_11target_archE1030ELNS1_3gpuE2ELNS1_3repE0EEENS1_30default_config_static_selectorELNS0_4arch9wavefront6targetE0EEEvS12_.num_vgpr, 87
	.set _ZN7rocprim17ROCPRIM_400000_NS6detail17trampoline_kernelINS0_13select_configILj256ELj13ELNS0_17block_load_methodE3ELS4_3ELS4_3ELNS0_20block_scan_algorithmE0ELj4294967295EEENS1_25partition_config_selectorILNS1_17partition_subalgoE4EjNS0_10empty_typeEbEEZZNS1_14partition_implILS8_4ELb0ES6_15HIP_vector_typeIjLj2EENS0_17counting_iteratorIjlEEPS9_SG_NS0_5tupleIJPjSI_NS0_16reverse_iteratorISI_EEEEENSH_IJSG_SG_SG_EEES9_SI_JZNS1_25segmented_radix_sort_implINS0_14default_configELb1EPKbPbPKlPlN2at6native12_GLOBAL__N_18offset_tEEE10hipError_tPvRmT1_PNSt15iterator_traitsIS12_E10value_typeET2_T3_PNS13_IS18_E10value_typeET4_jRbjT5_S1E_jjP12ihipStream_tbEUljE_ZNSN_ISO_Lb1ESQ_SR_ST_SU_SY_EESZ_S10_S11_S12_S16_S17_S18_S1B_S1C_jS1D_jS1E_S1E_jjS1G_bEUljE0_EEESZ_S10_S11_S18_S1C_S1E_T6_T7_T9_mT8_S1G_bDpT10_ENKUlT_T0_E_clISt17integral_constantIbLb0EES1T_IbLb1EEEEDaS1P_S1Q_EUlS1P_E_NS1_11comp_targetILNS1_3genE8ELNS1_11target_archE1030ELNS1_3gpuE2ELNS1_3repE0EEENS1_30default_config_static_selectorELNS0_4arch9wavefront6targetE0EEEvS12_.num_agpr, 0
	.set _ZN7rocprim17ROCPRIM_400000_NS6detail17trampoline_kernelINS0_13select_configILj256ELj13ELNS0_17block_load_methodE3ELS4_3ELS4_3ELNS0_20block_scan_algorithmE0ELj4294967295EEENS1_25partition_config_selectorILNS1_17partition_subalgoE4EjNS0_10empty_typeEbEEZZNS1_14partition_implILS8_4ELb0ES6_15HIP_vector_typeIjLj2EENS0_17counting_iteratorIjlEEPS9_SG_NS0_5tupleIJPjSI_NS0_16reverse_iteratorISI_EEEEENSH_IJSG_SG_SG_EEES9_SI_JZNS1_25segmented_radix_sort_implINS0_14default_configELb1EPKbPbPKlPlN2at6native12_GLOBAL__N_18offset_tEEE10hipError_tPvRmT1_PNSt15iterator_traitsIS12_E10value_typeET2_T3_PNS13_IS18_E10value_typeET4_jRbjT5_S1E_jjP12ihipStream_tbEUljE_ZNSN_ISO_Lb1ESQ_SR_ST_SU_SY_EESZ_S10_S11_S12_S16_S17_S18_S1B_S1C_jS1D_jS1E_S1E_jjS1G_bEUljE0_EEESZ_S10_S11_S18_S1C_S1E_T6_T7_T9_mT8_S1G_bDpT10_ENKUlT_T0_E_clISt17integral_constantIbLb0EES1T_IbLb1EEEEDaS1P_S1Q_EUlS1P_E_NS1_11comp_targetILNS1_3genE8ELNS1_11target_archE1030ELNS1_3gpuE2ELNS1_3repE0EEENS1_30default_config_static_selectorELNS0_4arch9wavefront6targetE0EEEvS12_.numbered_sgpr, 55
	.set _ZN7rocprim17ROCPRIM_400000_NS6detail17trampoline_kernelINS0_13select_configILj256ELj13ELNS0_17block_load_methodE3ELS4_3ELS4_3ELNS0_20block_scan_algorithmE0ELj4294967295EEENS1_25partition_config_selectorILNS1_17partition_subalgoE4EjNS0_10empty_typeEbEEZZNS1_14partition_implILS8_4ELb0ES6_15HIP_vector_typeIjLj2EENS0_17counting_iteratorIjlEEPS9_SG_NS0_5tupleIJPjSI_NS0_16reverse_iteratorISI_EEEEENSH_IJSG_SG_SG_EEES9_SI_JZNS1_25segmented_radix_sort_implINS0_14default_configELb1EPKbPbPKlPlN2at6native12_GLOBAL__N_18offset_tEEE10hipError_tPvRmT1_PNSt15iterator_traitsIS12_E10value_typeET2_T3_PNS13_IS18_E10value_typeET4_jRbjT5_S1E_jjP12ihipStream_tbEUljE_ZNSN_ISO_Lb1ESQ_SR_ST_SU_SY_EESZ_S10_S11_S12_S16_S17_S18_S1B_S1C_jS1D_jS1E_S1E_jjS1G_bEUljE0_EEESZ_S10_S11_S18_S1C_S1E_T6_T7_T9_mT8_S1G_bDpT10_ENKUlT_T0_E_clISt17integral_constantIbLb0EES1T_IbLb1EEEEDaS1P_S1Q_EUlS1P_E_NS1_11comp_targetILNS1_3genE8ELNS1_11target_archE1030ELNS1_3gpuE2ELNS1_3repE0EEENS1_30default_config_static_selectorELNS0_4arch9wavefront6targetE0EEEvS12_.num_named_barrier, 0
	.set _ZN7rocprim17ROCPRIM_400000_NS6detail17trampoline_kernelINS0_13select_configILj256ELj13ELNS0_17block_load_methodE3ELS4_3ELS4_3ELNS0_20block_scan_algorithmE0ELj4294967295EEENS1_25partition_config_selectorILNS1_17partition_subalgoE4EjNS0_10empty_typeEbEEZZNS1_14partition_implILS8_4ELb0ES6_15HIP_vector_typeIjLj2EENS0_17counting_iteratorIjlEEPS9_SG_NS0_5tupleIJPjSI_NS0_16reverse_iteratorISI_EEEEENSH_IJSG_SG_SG_EEES9_SI_JZNS1_25segmented_radix_sort_implINS0_14default_configELb1EPKbPbPKlPlN2at6native12_GLOBAL__N_18offset_tEEE10hipError_tPvRmT1_PNSt15iterator_traitsIS12_E10value_typeET2_T3_PNS13_IS18_E10value_typeET4_jRbjT5_S1E_jjP12ihipStream_tbEUljE_ZNSN_ISO_Lb1ESQ_SR_ST_SU_SY_EESZ_S10_S11_S12_S16_S17_S18_S1B_S1C_jS1D_jS1E_S1E_jjS1G_bEUljE0_EEESZ_S10_S11_S18_S1C_S1E_T6_T7_T9_mT8_S1G_bDpT10_ENKUlT_T0_E_clISt17integral_constantIbLb0EES1T_IbLb1EEEEDaS1P_S1Q_EUlS1P_E_NS1_11comp_targetILNS1_3genE8ELNS1_11target_archE1030ELNS1_3gpuE2ELNS1_3repE0EEENS1_30default_config_static_selectorELNS0_4arch9wavefront6targetE0EEEvS12_.private_seg_size, 0
	.set _ZN7rocprim17ROCPRIM_400000_NS6detail17trampoline_kernelINS0_13select_configILj256ELj13ELNS0_17block_load_methodE3ELS4_3ELS4_3ELNS0_20block_scan_algorithmE0ELj4294967295EEENS1_25partition_config_selectorILNS1_17partition_subalgoE4EjNS0_10empty_typeEbEEZZNS1_14partition_implILS8_4ELb0ES6_15HIP_vector_typeIjLj2EENS0_17counting_iteratorIjlEEPS9_SG_NS0_5tupleIJPjSI_NS0_16reverse_iteratorISI_EEEEENSH_IJSG_SG_SG_EEES9_SI_JZNS1_25segmented_radix_sort_implINS0_14default_configELb1EPKbPbPKlPlN2at6native12_GLOBAL__N_18offset_tEEE10hipError_tPvRmT1_PNSt15iterator_traitsIS12_E10value_typeET2_T3_PNS13_IS18_E10value_typeET4_jRbjT5_S1E_jjP12ihipStream_tbEUljE_ZNSN_ISO_Lb1ESQ_SR_ST_SU_SY_EESZ_S10_S11_S12_S16_S17_S18_S1B_S1C_jS1D_jS1E_S1E_jjS1G_bEUljE0_EEESZ_S10_S11_S18_S1C_S1E_T6_T7_T9_mT8_S1G_bDpT10_ENKUlT_T0_E_clISt17integral_constantIbLb0EES1T_IbLb1EEEEDaS1P_S1Q_EUlS1P_E_NS1_11comp_targetILNS1_3genE8ELNS1_11target_archE1030ELNS1_3gpuE2ELNS1_3repE0EEENS1_30default_config_static_selectorELNS0_4arch9wavefront6targetE0EEEvS12_.uses_vcc, 1
	.set _ZN7rocprim17ROCPRIM_400000_NS6detail17trampoline_kernelINS0_13select_configILj256ELj13ELNS0_17block_load_methodE3ELS4_3ELS4_3ELNS0_20block_scan_algorithmE0ELj4294967295EEENS1_25partition_config_selectorILNS1_17partition_subalgoE4EjNS0_10empty_typeEbEEZZNS1_14partition_implILS8_4ELb0ES6_15HIP_vector_typeIjLj2EENS0_17counting_iteratorIjlEEPS9_SG_NS0_5tupleIJPjSI_NS0_16reverse_iteratorISI_EEEEENSH_IJSG_SG_SG_EEES9_SI_JZNS1_25segmented_radix_sort_implINS0_14default_configELb1EPKbPbPKlPlN2at6native12_GLOBAL__N_18offset_tEEE10hipError_tPvRmT1_PNSt15iterator_traitsIS12_E10value_typeET2_T3_PNS13_IS18_E10value_typeET4_jRbjT5_S1E_jjP12ihipStream_tbEUljE_ZNSN_ISO_Lb1ESQ_SR_ST_SU_SY_EESZ_S10_S11_S12_S16_S17_S18_S1B_S1C_jS1D_jS1E_S1E_jjS1G_bEUljE0_EEESZ_S10_S11_S18_S1C_S1E_T6_T7_T9_mT8_S1G_bDpT10_ENKUlT_T0_E_clISt17integral_constantIbLb0EES1T_IbLb1EEEEDaS1P_S1Q_EUlS1P_E_NS1_11comp_targetILNS1_3genE8ELNS1_11target_archE1030ELNS1_3gpuE2ELNS1_3repE0EEENS1_30default_config_static_selectorELNS0_4arch9wavefront6targetE0EEEvS12_.uses_flat_scratch, 0
	.set _ZN7rocprim17ROCPRIM_400000_NS6detail17trampoline_kernelINS0_13select_configILj256ELj13ELNS0_17block_load_methodE3ELS4_3ELS4_3ELNS0_20block_scan_algorithmE0ELj4294967295EEENS1_25partition_config_selectorILNS1_17partition_subalgoE4EjNS0_10empty_typeEbEEZZNS1_14partition_implILS8_4ELb0ES6_15HIP_vector_typeIjLj2EENS0_17counting_iteratorIjlEEPS9_SG_NS0_5tupleIJPjSI_NS0_16reverse_iteratorISI_EEEEENSH_IJSG_SG_SG_EEES9_SI_JZNS1_25segmented_radix_sort_implINS0_14default_configELb1EPKbPbPKlPlN2at6native12_GLOBAL__N_18offset_tEEE10hipError_tPvRmT1_PNSt15iterator_traitsIS12_E10value_typeET2_T3_PNS13_IS18_E10value_typeET4_jRbjT5_S1E_jjP12ihipStream_tbEUljE_ZNSN_ISO_Lb1ESQ_SR_ST_SU_SY_EESZ_S10_S11_S12_S16_S17_S18_S1B_S1C_jS1D_jS1E_S1E_jjS1G_bEUljE0_EEESZ_S10_S11_S18_S1C_S1E_T6_T7_T9_mT8_S1G_bDpT10_ENKUlT_T0_E_clISt17integral_constantIbLb0EES1T_IbLb1EEEEDaS1P_S1Q_EUlS1P_E_NS1_11comp_targetILNS1_3genE8ELNS1_11target_archE1030ELNS1_3gpuE2ELNS1_3repE0EEENS1_30default_config_static_selectorELNS0_4arch9wavefront6targetE0EEEvS12_.has_dyn_sized_stack, 0
	.set _ZN7rocprim17ROCPRIM_400000_NS6detail17trampoline_kernelINS0_13select_configILj256ELj13ELNS0_17block_load_methodE3ELS4_3ELS4_3ELNS0_20block_scan_algorithmE0ELj4294967295EEENS1_25partition_config_selectorILNS1_17partition_subalgoE4EjNS0_10empty_typeEbEEZZNS1_14partition_implILS8_4ELb0ES6_15HIP_vector_typeIjLj2EENS0_17counting_iteratorIjlEEPS9_SG_NS0_5tupleIJPjSI_NS0_16reverse_iteratorISI_EEEEENSH_IJSG_SG_SG_EEES9_SI_JZNS1_25segmented_radix_sort_implINS0_14default_configELb1EPKbPbPKlPlN2at6native12_GLOBAL__N_18offset_tEEE10hipError_tPvRmT1_PNSt15iterator_traitsIS12_E10value_typeET2_T3_PNS13_IS18_E10value_typeET4_jRbjT5_S1E_jjP12ihipStream_tbEUljE_ZNSN_ISO_Lb1ESQ_SR_ST_SU_SY_EESZ_S10_S11_S12_S16_S17_S18_S1B_S1C_jS1D_jS1E_S1E_jjS1G_bEUljE0_EEESZ_S10_S11_S18_S1C_S1E_T6_T7_T9_mT8_S1G_bDpT10_ENKUlT_T0_E_clISt17integral_constantIbLb0EES1T_IbLb1EEEEDaS1P_S1Q_EUlS1P_E_NS1_11comp_targetILNS1_3genE8ELNS1_11target_archE1030ELNS1_3gpuE2ELNS1_3repE0EEENS1_30default_config_static_selectorELNS0_4arch9wavefront6targetE0EEEvS12_.has_recursion, 0
	.set _ZN7rocprim17ROCPRIM_400000_NS6detail17trampoline_kernelINS0_13select_configILj256ELj13ELNS0_17block_load_methodE3ELS4_3ELS4_3ELNS0_20block_scan_algorithmE0ELj4294967295EEENS1_25partition_config_selectorILNS1_17partition_subalgoE4EjNS0_10empty_typeEbEEZZNS1_14partition_implILS8_4ELb0ES6_15HIP_vector_typeIjLj2EENS0_17counting_iteratorIjlEEPS9_SG_NS0_5tupleIJPjSI_NS0_16reverse_iteratorISI_EEEEENSH_IJSG_SG_SG_EEES9_SI_JZNS1_25segmented_radix_sort_implINS0_14default_configELb1EPKbPbPKlPlN2at6native12_GLOBAL__N_18offset_tEEE10hipError_tPvRmT1_PNSt15iterator_traitsIS12_E10value_typeET2_T3_PNS13_IS18_E10value_typeET4_jRbjT5_S1E_jjP12ihipStream_tbEUljE_ZNSN_ISO_Lb1ESQ_SR_ST_SU_SY_EESZ_S10_S11_S12_S16_S17_S18_S1B_S1C_jS1D_jS1E_S1E_jjS1G_bEUljE0_EEESZ_S10_S11_S18_S1C_S1E_T6_T7_T9_mT8_S1G_bDpT10_ENKUlT_T0_E_clISt17integral_constantIbLb0EES1T_IbLb1EEEEDaS1P_S1Q_EUlS1P_E_NS1_11comp_targetILNS1_3genE8ELNS1_11target_archE1030ELNS1_3gpuE2ELNS1_3repE0EEENS1_30default_config_static_selectorELNS0_4arch9wavefront6targetE0EEEvS12_.has_indirect_call, 0
	.section	.AMDGPU.csdata,"",@progbits
; Kernel info:
; codeLenInByte = 16368
; TotalNumSgprs: 57
; NumVgprs: 87
; ScratchSize: 0
; MemoryBound: 0
; FloatMode: 240
; IeeeMode: 1
; LDSByteSize: 13328 bytes/workgroup (compile time only)
; SGPRBlocks: 0
; VGPRBlocks: 10
; NumSGPRsForWavesPerEU: 57
; NumVGPRsForWavesPerEU: 87
; Occupancy: 10
; WaveLimiterHint : 1
; COMPUTE_PGM_RSRC2:SCRATCH_EN: 0
; COMPUTE_PGM_RSRC2:USER_SGPR: 6
; COMPUTE_PGM_RSRC2:TRAP_HANDLER: 0
; COMPUTE_PGM_RSRC2:TGID_X_EN: 1
; COMPUTE_PGM_RSRC2:TGID_Y_EN: 0
; COMPUTE_PGM_RSRC2:TGID_Z_EN: 0
; COMPUTE_PGM_RSRC2:TIDIG_COMP_CNT: 0
	.section	.text._ZN7rocprim17ROCPRIM_400000_NS6detail17trampoline_kernelINS0_13select_configILj256ELj13ELNS0_17block_load_methodE3ELS4_3ELS4_3ELNS0_20block_scan_algorithmE0ELj4294967295EEENS1_25partition_config_selectorILNS1_17partition_subalgoE3EjNS0_10empty_typeEbEEZZNS1_14partition_implILS8_3ELb0ES6_jNS0_17counting_iteratorIjlEEPS9_SE_NS0_5tupleIJPjSE_EEENSF_IJSE_SE_EEES9_SG_JZNS1_25segmented_radix_sort_implINS0_14default_configELb1EPKbPbPKlPlN2at6native12_GLOBAL__N_18offset_tEEE10hipError_tPvRmT1_PNSt15iterator_traitsISY_E10value_typeET2_T3_PNSZ_IS14_E10value_typeET4_jRbjT5_S1A_jjP12ihipStream_tbEUljE_EEESV_SW_SX_S14_S18_S1A_T6_T7_T9_mT8_S1C_bDpT10_ENKUlT_T0_E_clISt17integral_constantIbLb0EES1P_EEDaS1K_S1L_EUlS1K_E_NS1_11comp_targetILNS1_3genE0ELNS1_11target_archE4294967295ELNS1_3gpuE0ELNS1_3repE0EEENS1_30default_config_static_selectorELNS0_4arch9wavefront6targetE0EEEvSY_,"axG",@progbits,_ZN7rocprim17ROCPRIM_400000_NS6detail17trampoline_kernelINS0_13select_configILj256ELj13ELNS0_17block_load_methodE3ELS4_3ELS4_3ELNS0_20block_scan_algorithmE0ELj4294967295EEENS1_25partition_config_selectorILNS1_17partition_subalgoE3EjNS0_10empty_typeEbEEZZNS1_14partition_implILS8_3ELb0ES6_jNS0_17counting_iteratorIjlEEPS9_SE_NS0_5tupleIJPjSE_EEENSF_IJSE_SE_EEES9_SG_JZNS1_25segmented_radix_sort_implINS0_14default_configELb1EPKbPbPKlPlN2at6native12_GLOBAL__N_18offset_tEEE10hipError_tPvRmT1_PNSt15iterator_traitsISY_E10value_typeET2_T3_PNSZ_IS14_E10value_typeET4_jRbjT5_S1A_jjP12ihipStream_tbEUljE_EEESV_SW_SX_S14_S18_S1A_T6_T7_T9_mT8_S1C_bDpT10_ENKUlT_T0_E_clISt17integral_constantIbLb0EES1P_EEDaS1K_S1L_EUlS1K_E_NS1_11comp_targetILNS1_3genE0ELNS1_11target_archE4294967295ELNS1_3gpuE0ELNS1_3repE0EEENS1_30default_config_static_selectorELNS0_4arch9wavefront6targetE0EEEvSY_,comdat
	.globl	_ZN7rocprim17ROCPRIM_400000_NS6detail17trampoline_kernelINS0_13select_configILj256ELj13ELNS0_17block_load_methodE3ELS4_3ELS4_3ELNS0_20block_scan_algorithmE0ELj4294967295EEENS1_25partition_config_selectorILNS1_17partition_subalgoE3EjNS0_10empty_typeEbEEZZNS1_14partition_implILS8_3ELb0ES6_jNS0_17counting_iteratorIjlEEPS9_SE_NS0_5tupleIJPjSE_EEENSF_IJSE_SE_EEES9_SG_JZNS1_25segmented_radix_sort_implINS0_14default_configELb1EPKbPbPKlPlN2at6native12_GLOBAL__N_18offset_tEEE10hipError_tPvRmT1_PNSt15iterator_traitsISY_E10value_typeET2_T3_PNSZ_IS14_E10value_typeET4_jRbjT5_S1A_jjP12ihipStream_tbEUljE_EEESV_SW_SX_S14_S18_S1A_T6_T7_T9_mT8_S1C_bDpT10_ENKUlT_T0_E_clISt17integral_constantIbLb0EES1P_EEDaS1K_S1L_EUlS1K_E_NS1_11comp_targetILNS1_3genE0ELNS1_11target_archE4294967295ELNS1_3gpuE0ELNS1_3repE0EEENS1_30default_config_static_selectorELNS0_4arch9wavefront6targetE0EEEvSY_ ; -- Begin function _ZN7rocprim17ROCPRIM_400000_NS6detail17trampoline_kernelINS0_13select_configILj256ELj13ELNS0_17block_load_methodE3ELS4_3ELS4_3ELNS0_20block_scan_algorithmE0ELj4294967295EEENS1_25partition_config_selectorILNS1_17partition_subalgoE3EjNS0_10empty_typeEbEEZZNS1_14partition_implILS8_3ELb0ES6_jNS0_17counting_iteratorIjlEEPS9_SE_NS0_5tupleIJPjSE_EEENSF_IJSE_SE_EEES9_SG_JZNS1_25segmented_radix_sort_implINS0_14default_configELb1EPKbPbPKlPlN2at6native12_GLOBAL__N_18offset_tEEE10hipError_tPvRmT1_PNSt15iterator_traitsISY_E10value_typeET2_T3_PNSZ_IS14_E10value_typeET4_jRbjT5_S1A_jjP12ihipStream_tbEUljE_EEESV_SW_SX_S14_S18_S1A_T6_T7_T9_mT8_S1C_bDpT10_ENKUlT_T0_E_clISt17integral_constantIbLb0EES1P_EEDaS1K_S1L_EUlS1K_E_NS1_11comp_targetILNS1_3genE0ELNS1_11target_archE4294967295ELNS1_3gpuE0ELNS1_3repE0EEENS1_30default_config_static_selectorELNS0_4arch9wavefront6targetE0EEEvSY_
	.p2align	8
	.type	_ZN7rocprim17ROCPRIM_400000_NS6detail17trampoline_kernelINS0_13select_configILj256ELj13ELNS0_17block_load_methodE3ELS4_3ELS4_3ELNS0_20block_scan_algorithmE0ELj4294967295EEENS1_25partition_config_selectorILNS1_17partition_subalgoE3EjNS0_10empty_typeEbEEZZNS1_14partition_implILS8_3ELb0ES6_jNS0_17counting_iteratorIjlEEPS9_SE_NS0_5tupleIJPjSE_EEENSF_IJSE_SE_EEES9_SG_JZNS1_25segmented_radix_sort_implINS0_14default_configELb1EPKbPbPKlPlN2at6native12_GLOBAL__N_18offset_tEEE10hipError_tPvRmT1_PNSt15iterator_traitsISY_E10value_typeET2_T3_PNSZ_IS14_E10value_typeET4_jRbjT5_S1A_jjP12ihipStream_tbEUljE_EEESV_SW_SX_S14_S18_S1A_T6_T7_T9_mT8_S1C_bDpT10_ENKUlT_T0_E_clISt17integral_constantIbLb0EES1P_EEDaS1K_S1L_EUlS1K_E_NS1_11comp_targetILNS1_3genE0ELNS1_11target_archE4294967295ELNS1_3gpuE0ELNS1_3repE0EEENS1_30default_config_static_selectorELNS0_4arch9wavefront6targetE0EEEvSY_,@function
_ZN7rocprim17ROCPRIM_400000_NS6detail17trampoline_kernelINS0_13select_configILj256ELj13ELNS0_17block_load_methodE3ELS4_3ELS4_3ELNS0_20block_scan_algorithmE0ELj4294967295EEENS1_25partition_config_selectorILNS1_17partition_subalgoE3EjNS0_10empty_typeEbEEZZNS1_14partition_implILS8_3ELb0ES6_jNS0_17counting_iteratorIjlEEPS9_SE_NS0_5tupleIJPjSE_EEENSF_IJSE_SE_EEES9_SG_JZNS1_25segmented_radix_sort_implINS0_14default_configELb1EPKbPbPKlPlN2at6native12_GLOBAL__N_18offset_tEEE10hipError_tPvRmT1_PNSt15iterator_traitsISY_E10value_typeET2_T3_PNSZ_IS14_E10value_typeET4_jRbjT5_S1A_jjP12ihipStream_tbEUljE_EEESV_SW_SX_S14_S18_S1A_T6_T7_T9_mT8_S1C_bDpT10_ENKUlT_T0_E_clISt17integral_constantIbLb0EES1P_EEDaS1K_S1L_EUlS1K_E_NS1_11comp_targetILNS1_3genE0ELNS1_11target_archE4294967295ELNS1_3gpuE0ELNS1_3repE0EEENS1_30default_config_static_selectorELNS0_4arch9wavefront6targetE0EEEvSY_: ; @_ZN7rocprim17ROCPRIM_400000_NS6detail17trampoline_kernelINS0_13select_configILj256ELj13ELNS0_17block_load_methodE3ELS4_3ELS4_3ELNS0_20block_scan_algorithmE0ELj4294967295EEENS1_25partition_config_selectorILNS1_17partition_subalgoE3EjNS0_10empty_typeEbEEZZNS1_14partition_implILS8_3ELb0ES6_jNS0_17counting_iteratorIjlEEPS9_SE_NS0_5tupleIJPjSE_EEENSF_IJSE_SE_EEES9_SG_JZNS1_25segmented_radix_sort_implINS0_14default_configELb1EPKbPbPKlPlN2at6native12_GLOBAL__N_18offset_tEEE10hipError_tPvRmT1_PNSt15iterator_traitsISY_E10value_typeET2_T3_PNSZ_IS14_E10value_typeET4_jRbjT5_S1A_jjP12ihipStream_tbEUljE_EEESV_SW_SX_S14_S18_S1A_T6_T7_T9_mT8_S1C_bDpT10_ENKUlT_T0_E_clISt17integral_constantIbLb0EES1P_EEDaS1K_S1L_EUlS1K_E_NS1_11comp_targetILNS1_3genE0ELNS1_11target_archE4294967295ELNS1_3gpuE0ELNS1_3repE0EEENS1_30default_config_static_selectorELNS0_4arch9wavefront6targetE0EEEvSY_
; %bb.0:
	.section	.rodata,"a",@progbits
	.p2align	6, 0x0
	.amdhsa_kernel _ZN7rocprim17ROCPRIM_400000_NS6detail17trampoline_kernelINS0_13select_configILj256ELj13ELNS0_17block_load_methodE3ELS4_3ELS4_3ELNS0_20block_scan_algorithmE0ELj4294967295EEENS1_25partition_config_selectorILNS1_17partition_subalgoE3EjNS0_10empty_typeEbEEZZNS1_14partition_implILS8_3ELb0ES6_jNS0_17counting_iteratorIjlEEPS9_SE_NS0_5tupleIJPjSE_EEENSF_IJSE_SE_EEES9_SG_JZNS1_25segmented_radix_sort_implINS0_14default_configELb1EPKbPbPKlPlN2at6native12_GLOBAL__N_18offset_tEEE10hipError_tPvRmT1_PNSt15iterator_traitsISY_E10value_typeET2_T3_PNSZ_IS14_E10value_typeET4_jRbjT5_S1A_jjP12ihipStream_tbEUljE_EEESV_SW_SX_S14_S18_S1A_T6_T7_T9_mT8_S1C_bDpT10_ENKUlT_T0_E_clISt17integral_constantIbLb0EES1P_EEDaS1K_S1L_EUlS1K_E_NS1_11comp_targetILNS1_3genE0ELNS1_11target_archE4294967295ELNS1_3gpuE0ELNS1_3repE0EEENS1_30default_config_static_selectorELNS0_4arch9wavefront6targetE0EEEvSY_
		.amdhsa_group_segment_fixed_size 0
		.amdhsa_private_segment_fixed_size 0
		.amdhsa_kernarg_size 144
		.amdhsa_user_sgpr_count 6
		.amdhsa_user_sgpr_private_segment_buffer 1
		.amdhsa_user_sgpr_dispatch_ptr 0
		.amdhsa_user_sgpr_queue_ptr 0
		.amdhsa_user_sgpr_kernarg_segment_ptr 1
		.amdhsa_user_sgpr_dispatch_id 0
		.amdhsa_user_sgpr_flat_scratch_init 0
		.amdhsa_user_sgpr_private_segment_size 0
		.amdhsa_wavefront_size32 1
		.amdhsa_uses_dynamic_stack 0
		.amdhsa_system_sgpr_private_segment_wavefront_offset 0
		.amdhsa_system_sgpr_workgroup_id_x 1
		.amdhsa_system_sgpr_workgroup_id_y 0
		.amdhsa_system_sgpr_workgroup_id_z 0
		.amdhsa_system_sgpr_workgroup_info 0
		.amdhsa_system_vgpr_workitem_id 0
		.amdhsa_next_free_vgpr 1
		.amdhsa_next_free_sgpr 1
		.amdhsa_reserve_vcc 0
		.amdhsa_reserve_flat_scratch 0
		.amdhsa_float_round_mode_32 0
		.amdhsa_float_round_mode_16_64 0
		.amdhsa_float_denorm_mode_32 3
		.amdhsa_float_denorm_mode_16_64 3
		.amdhsa_dx10_clamp 1
		.amdhsa_ieee_mode 1
		.amdhsa_fp16_overflow 0
		.amdhsa_workgroup_processor_mode 1
		.amdhsa_memory_ordered 1
		.amdhsa_forward_progress 1
		.amdhsa_shared_vgpr_count 0
		.amdhsa_exception_fp_ieee_invalid_op 0
		.amdhsa_exception_fp_denorm_src 0
		.amdhsa_exception_fp_ieee_div_zero 0
		.amdhsa_exception_fp_ieee_overflow 0
		.amdhsa_exception_fp_ieee_underflow 0
		.amdhsa_exception_fp_ieee_inexact 0
		.amdhsa_exception_int_div_zero 0
	.end_amdhsa_kernel
	.section	.text._ZN7rocprim17ROCPRIM_400000_NS6detail17trampoline_kernelINS0_13select_configILj256ELj13ELNS0_17block_load_methodE3ELS4_3ELS4_3ELNS0_20block_scan_algorithmE0ELj4294967295EEENS1_25partition_config_selectorILNS1_17partition_subalgoE3EjNS0_10empty_typeEbEEZZNS1_14partition_implILS8_3ELb0ES6_jNS0_17counting_iteratorIjlEEPS9_SE_NS0_5tupleIJPjSE_EEENSF_IJSE_SE_EEES9_SG_JZNS1_25segmented_radix_sort_implINS0_14default_configELb1EPKbPbPKlPlN2at6native12_GLOBAL__N_18offset_tEEE10hipError_tPvRmT1_PNSt15iterator_traitsISY_E10value_typeET2_T3_PNSZ_IS14_E10value_typeET4_jRbjT5_S1A_jjP12ihipStream_tbEUljE_EEESV_SW_SX_S14_S18_S1A_T6_T7_T9_mT8_S1C_bDpT10_ENKUlT_T0_E_clISt17integral_constantIbLb0EES1P_EEDaS1K_S1L_EUlS1K_E_NS1_11comp_targetILNS1_3genE0ELNS1_11target_archE4294967295ELNS1_3gpuE0ELNS1_3repE0EEENS1_30default_config_static_selectorELNS0_4arch9wavefront6targetE0EEEvSY_,"axG",@progbits,_ZN7rocprim17ROCPRIM_400000_NS6detail17trampoline_kernelINS0_13select_configILj256ELj13ELNS0_17block_load_methodE3ELS4_3ELS4_3ELNS0_20block_scan_algorithmE0ELj4294967295EEENS1_25partition_config_selectorILNS1_17partition_subalgoE3EjNS0_10empty_typeEbEEZZNS1_14partition_implILS8_3ELb0ES6_jNS0_17counting_iteratorIjlEEPS9_SE_NS0_5tupleIJPjSE_EEENSF_IJSE_SE_EEES9_SG_JZNS1_25segmented_radix_sort_implINS0_14default_configELb1EPKbPbPKlPlN2at6native12_GLOBAL__N_18offset_tEEE10hipError_tPvRmT1_PNSt15iterator_traitsISY_E10value_typeET2_T3_PNSZ_IS14_E10value_typeET4_jRbjT5_S1A_jjP12ihipStream_tbEUljE_EEESV_SW_SX_S14_S18_S1A_T6_T7_T9_mT8_S1C_bDpT10_ENKUlT_T0_E_clISt17integral_constantIbLb0EES1P_EEDaS1K_S1L_EUlS1K_E_NS1_11comp_targetILNS1_3genE0ELNS1_11target_archE4294967295ELNS1_3gpuE0ELNS1_3repE0EEENS1_30default_config_static_selectorELNS0_4arch9wavefront6targetE0EEEvSY_,comdat
.Lfunc_end1492:
	.size	_ZN7rocprim17ROCPRIM_400000_NS6detail17trampoline_kernelINS0_13select_configILj256ELj13ELNS0_17block_load_methodE3ELS4_3ELS4_3ELNS0_20block_scan_algorithmE0ELj4294967295EEENS1_25partition_config_selectorILNS1_17partition_subalgoE3EjNS0_10empty_typeEbEEZZNS1_14partition_implILS8_3ELb0ES6_jNS0_17counting_iteratorIjlEEPS9_SE_NS0_5tupleIJPjSE_EEENSF_IJSE_SE_EEES9_SG_JZNS1_25segmented_radix_sort_implINS0_14default_configELb1EPKbPbPKlPlN2at6native12_GLOBAL__N_18offset_tEEE10hipError_tPvRmT1_PNSt15iterator_traitsISY_E10value_typeET2_T3_PNSZ_IS14_E10value_typeET4_jRbjT5_S1A_jjP12ihipStream_tbEUljE_EEESV_SW_SX_S14_S18_S1A_T6_T7_T9_mT8_S1C_bDpT10_ENKUlT_T0_E_clISt17integral_constantIbLb0EES1P_EEDaS1K_S1L_EUlS1K_E_NS1_11comp_targetILNS1_3genE0ELNS1_11target_archE4294967295ELNS1_3gpuE0ELNS1_3repE0EEENS1_30default_config_static_selectorELNS0_4arch9wavefront6targetE0EEEvSY_, .Lfunc_end1492-_ZN7rocprim17ROCPRIM_400000_NS6detail17trampoline_kernelINS0_13select_configILj256ELj13ELNS0_17block_load_methodE3ELS4_3ELS4_3ELNS0_20block_scan_algorithmE0ELj4294967295EEENS1_25partition_config_selectorILNS1_17partition_subalgoE3EjNS0_10empty_typeEbEEZZNS1_14partition_implILS8_3ELb0ES6_jNS0_17counting_iteratorIjlEEPS9_SE_NS0_5tupleIJPjSE_EEENSF_IJSE_SE_EEES9_SG_JZNS1_25segmented_radix_sort_implINS0_14default_configELb1EPKbPbPKlPlN2at6native12_GLOBAL__N_18offset_tEEE10hipError_tPvRmT1_PNSt15iterator_traitsISY_E10value_typeET2_T3_PNSZ_IS14_E10value_typeET4_jRbjT5_S1A_jjP12ihipStream_tbEUljE_EEESV_SW_SX_S14_S18_S1A_T6_T7_T9_mT8_S1C_bDpT10_ENKUlT_T0_E_clISt17integral_constantIbLb0EES1P_EEDaS1K_S1L_EUlS1K_E_NS1_11comp_targetILNS1_3genE0ELNS1_11target_archE4294967295ELNS1_3gpuE0ELNS1_3repE0EEENS1_30default_config_static_selectorELNS0_4arch9wavefront6targetE0EEEvSY_
                                        ; -- End function
	.set _ZN7rocprim17ROCPRIM_400000_NS6detail17trampoline_kernelINS0_13select_configILj256ELj13ELNS0_17block_load_methodE3ELS4_3ELS4_3ELNS0_20block_scan_algorithmE0ELj4294967295EEENS1_25partition_config_selectorILNS1_17partition_subalgoE3EjNS0_10empty_typeEbEEZZNS1_14partition_implILS8_3ELb0ES6_jNS0_17counting_iteratorIjlEEPS9_SE_NS0_5tupleIJPjSE_EEENSF_IJSE_SE_EEES9_SG_JZNS1_25segmented_radix_sort_implINS0_14default_configELb1EPKbPbPKlPlN2at6native12_GLOBAL__N_18offset_tEEE10hipError_tPvRmT1_PNSt15iterator_traitsISY_E10value_typeET2_T3_PNSZ_IS14_E10value_typeET4_jRbjT5_S1A_jjP12ihipStream_tbEUljE_EEESV_SW_SX_S14_S18_S1A_T6_T7_T9_mT8_S1C_bDpT10_ENKUlT_T0_E_clISt17integral_constantIbLb0EES1P_EEDaS1K_S1L_EUlS1K_E_NS1_11comp_targetILNS1_3genE0ELNS1_11target_archE4294967295ELNS1_3gpuE0ELNS1_3repE0EEENS1_30default_config_static_selectorELNS0_4arch9wavefront6targetE0EEEvSY_.num_vgpr, 0
	.set _ZN7rocprim17ROCPRIM_400000_NS6detail17trampoline_kernelINS0_13select_configILj256ELj13ELNS0_17block_load_methodE3ELS4_3ELS4_3ELNS0_20block_scan_algorithmE0ELj4294967295EEENS1_25partition_config_selectorILNS1_17partition_subalgoE3EjNS0_10empty_typeEbEEZZNS1_14partition_implILS8_3ELb0ES6_jNS0_17counting_iteratorIjlEEPS9_SE_NS0_5tupleIJPjSE_EEENSF_IJSE_SE_EEES9_SG_JZNS1_25segmented_radix_sort_implINS0_14default_configELb1EPKbPbPKlPlN2at6native12_GLOBAL__N_18offset_tEEE10hipError_tPvRmT1_PNSt15iterator_traitsISY_E10value_typeET2_T3_PNSZ_IS14_E10value_typeET4_jRbjT5_S1A_jjP12ihipStream_tbEUljE_EEESV_SW_SX_S14_S18_S1A_T6_T7_T9_mT8_S1C_bDpT10_ENKUlT_T0_E_clISt17integral_constantIbLb0EES1P_EEDaS1K_S1L_EUlS1K_E_NS1_11comp_targetILNS1_3genE0ELNS1_11target_archE4294967295ELNS1_3gpuE0ELNS1_3repE0EEENS1_30default_config_static_selectorELNS0_4arch9wavefront6targetE0EEEvSY_.num_agpr, 0
	.set _ZN7rocprim17ROCPRIM_400000_NS6detail17trampoline_kernelINS0_13select_configILj256ELj13ELNS0_17block_load_methodE3ELS4_3ELS4_3ELNS0_20block_scan_algorithmE0ELj4294967295EEENS1_25partition_config_selectorILNS1_17partition_subalgoE3EjNS0_10empty_typeEbEEZZNS1_14partition_implILS8_3ELb0ES6_jNS0_17counting_iteratorIjlEEPS9_SE_NS0_5tupleIJPjSE_EEENSF_IJSE_SE_EEES9_SG_JZNS1_25segmented_radix_sort_implINS0_14default_configELb1EPKbPbPKlPlN2at6native12_GLOBAL__N_18offset_tEEE10hipError_tPvRmT1_PNSt15iterator_traitsISY_E10value_typeET2_T3_PNSZ_IS14_E10value_typeET4_jRbjT5_S1A_jjP12ihipStream_tbEUljE_EEESV_SW_SX_S14_S18_S1A_T6_T7_T9_mT8_S1C_bDpT10_ENKUlT_T0_E_clISt17integral_constantIbLb0EES1P_EEDaS1K_S1L_EUlS1K_E_NS1_11comp_targetILNS1_3genE0ELNS1_11target_archE4294967295ELNS1_3gpuE0ELNS1_3repE0EEENS1_30default_config_static_selectorELNS0_4arch9wavefront6targetE0EEEvSY_.numbered_sgpr, 0
	.set _ZN7rocprim17ROCPRIM_400000_NS6detail17trampoline_kernelINS0_13select_configILj256ELj13ELNS0_17block_load_methodE3ELS4_3ELS4_3ELNS0_20block_scan_algorithmE0ELj4294967295EEENS1_25partition_config_selectorILNS1_17partition_subalgoE3EjNS0_10empty_typeEbEEZZNS1_14partition_implILS8_3ELb0ES6_jNS0_17counting_iteratorIjlEEPS9_SE_NS0_5tupleIJPjSE_EEENSF_IJSE_SE_EEES9_SG_JZNS1_25segmented_radix_sort_implINS0_14default_configELb1EPKbPbPKlPlN2at6native12_GLOBAL__N_18offset_tEEE10hipError_tPvRmT1_PNSt15iterator_traitsISY_E10value_typeET2_T3_PNSZ_IS14_E10value_typeET4_jRbjT5_S1A_jjP12ihipStream_tbEUljE_EEESV_SW_SX_S14_S18_S1A_T6_T7_T9_mT8_S1C_bDpT10_ENKUlT_T0_E_clISt17integral_constantIbLb0EES1P_EEDaS1K_S1L_EUlS1K_E_NS1_11comp_targetILNS1_3genE0ELNS1_11target_archE4294967295ELNS1_3gpuE0ELNS1_3repE0EEENS1_30default_config_static_selectorELNS0_4arch9wavefront6targetE0EEEvSY_.num_named_barrier, 0
	.set _ZN7rocprim17ROCPRIM_400000_NS6detail17trampoline_kernelINS0_13select_configILj256ELj13ELNS0_17block_load_methodE3ELS4_3ELS4_3ELNS0_20block_scan_algorithmE0ELj4294967295EEENS1_25partition_config_selectorILNS1_17partition_subalgoE3EjNS0_10empty_typeEbEEZZNS1_14partition_implILS8_3ELb0ES6_jNS0_17counting_iteratorIjlEEPS9_SE_NS0_5tupleIJPjSE_EEENSF_IJSE_SE_EEES9_SG_JZNS1_25segmented_radix_sort_implINS0_14default_configELb1EPKbPbPKlPlN2at6native12_GLOBAL__N_18offset_tEEE10hipError_tPvRmT1_PNSt15iterator_traitsISY_E10value_typeET2_T3_PNSZ_IS14_E10value_typeET4_jRbjT5_S1A_jjP12ihipStream_tbEUljE_EEESV_SW_SX_S14_S18_S1A_T6_T7_T9_mT8_S1C_bDpT10_ENKUlT_T0_E_clISt17integral_constantIbLb0EES1P_EEDaS1K_S1L_EUlS1K_E_NS1_11comp_targetILNS1_3genE0ELNS1_11target_archE4294967295ELNS1_3gpuE0ELNS1_3repE0EEENS1_30default_config_static_selectorELNS0_4arch9wavefront6targetE0EEEvSY_.private_seg_size, 0
	.set _ZN7rocprim17ROCPRIM_400000_NS6detail17trampoline_kernelINS0_13select_configILj256ELj13ELNS0_17block_load_methodE3ELS4_3ELS4_3ELNS0_20block_scan_algorithmE0ELj4294967295EEENS1_25partition_config_selectorILNS1_17partition_subalgoE3EjNS0_10empty_typeEbEEZZNS1_14partition_implILS8_3ELb0ES6_jNS0_17counting_iteratorIjlEEPS9_SE_NS0_5tupleIJPjSE_EEENSF_IJSE_SE_EEES9_SG_JZNS1_25segmented_radix_sort_implINS0_14default_configELb1EPKbPbPKlPlN2at6native12_GLOBAL__N_18offset_tEEE10hipError_tPvRmT1_PNSt15iterator_traitsISY_E10value_typeET2_T3_PNSZ_IS14_E10value_typeET4_jRbjT5_S1A_jjP12ihipStream_tbEUljE_EEESV_SW_SX_S14_S18_S1A_T6_T7_T9_mT8_S1C_bDpT10_ENKUlT_T0_E_clISt17integral_constantIbLb0EES1P_EEDaS1K_S1L_EUlS1K_E_NS1_11comp_targetILNS1_3genE0ELNS1_11target_archE4294967295ELNS1_3gpuE0ELNS1_3repE0EEENS1_30default_config_static_selectorELNS0_4arch9wavefront6targetE0EEEvSY_.uses_vcc, 0
	.set _ZN7rocprim17ROCPRIM_400000_NS6detail17trampoline_kernelINS0_13select_configILj256ELj13ELNS0_17block_load_methodE3ELS4_3ELS4_3ELNS0_20block_scan_algorithmE0ELj4294967295EEENS1_25partition_config_selectorILNS1_17partition_subalgoE3EjNS0_10empty_typeEbEEZZNS1_14partition_implILS8_3ELb0ES6_jNS0_17counting_iteratorIjlEEPS9_SE_NS0_5tupleIJPjSE_EEENSF_IJSE_SE_EEES9_SG_JZNS1_25segmented_radix_sort_implINS0_14default_configELb1EPKbPbPKlPlN2at6native12_GLOBAL__N_18offset_tEEE10hipError_tPvRmT1_PNSt15iterator_traitsISY_E10value_typeET2_T3_PNSZ_IS14_E10value_typeET4_jRbjT5_S1A_jjP12ihipStream_tbEUljE_EEESV_SW_SX_S14_S18_S1A_T6_T7_T9_mT8_S1C_bDpT10_ENKUlT_T0_E_clISt17integral_constantIbLb0EES1P_EEDaS1K_S1L_EUlS1K_E_NS1_11comp_targetILNS1_3genE0ELNS1_11target_archE4294967295ELNS1_3gpuE0ELNS1_3repE0EEENS1_30default_config_static_selectorELNS0_4arch9wavefront6targetE0EEEvSY_.uses_flat_scratch, 0
	.set _ZN7rocprim17ROCPRIM_400000_NS6detail17trampoline_kernelINS0_13select_configILj256ELj13ELNS0_17block_load_methodE3ELS4_3ELS4_3ELNS0_20block_scan_algorithmE0ELj4294967295EEENS1_25partition_config_selectorILNS1_17partition_subalgoE3EjNS0_10empty_typeEbEEZZNS1_14partition_implILS8_3ELb0ES6_jNS0_17counting_iteratorIjlEEPS9_SE_NS0_5tupleIJPjSE_EEENSF_IJSE_SE_EEES9_SG_JZNS1_25segmented_radix_sort_implINS0_14default_configELb1EPKbPbPKlPlN2at6native12_GLOBAL__N_18offset_tEEE10hipError_tPvRmT1_PNSt15iterator_traitsISY_E10value_typeET2_T3_PNSZ_IS14_E10value_typeET4_jRbjT5_S1A_jjP12ihipStream_tbEUljE_EEESV_SW_SX_S14_S18_S1A_T6_T7_T9_mT8_S1C_bDpT10_ENKUlT_T0_E_clISt17integral_constantIbLb0EES1P_EEDaS1K_S1L_EUlS1K_E_NS1_11comp_targetILNS1_3genE0ELNS1_11target_archE4294967295ELNS1_3gpuE0ELNS1_3repE0EEENS1_30default_config_static_selectorELNS0_4arch9wavefront6targetE0EEEvSY_.has_dyn_sized_stack, 0
	.set _ZN7rocprim17ROCPRIM_400000_NS6detail17trampoline_kernelINS0_13select_configILj256ELj13ELNS0_17block_load_methodE3ELS4_3ELS4_3ELNS0_20block_scan_algorithmE0ELj4294967295EEENS1_25partition_config_selectorILNS1_17partition_subalgoE3EjNS0_10empty_typeEbEEZZNS1_14partition_implILS8_3ELb0ES6_jNS0_17counting_iteratorIjlEEPS9_SE_NS0_5tupleIJPjSE_EEENSF_IJSE_SE_EEES9_SG_JZNS1_25segmented_radix_sort_implINS0_14default_configELb1EPKbPbPKlPlN2at6native12_GLOBAL__N_18offset_tEEE10hipError_tPvRmT1_PNSt15iterator_traitsISY_E10value_typeET2_T3_PNSZ_IS14_E10value_typeET4_jRbjT5_S1A_jjP12ihipStream_tbEUljE_EEESV_SW_SX_S14_S18_S1A_T6_T7_T9_mT8_S1C_bDpT10_ENKUlT_T0_E_clISt17integral_constantIbLb0EES1P_EEDaS1K_S1L_EUlS1K_E_NS1_11comp_targetILNS1_3genE0ELNS1_11target_archE4294967295ELNS1_3gpuE0ELNS1_3repE0EEENS1_30default_config_static_selectorELNS0_4arch9wavefront6targetE0EEEvSY_.has_recursion, 0
	.set _ZN7rocprim17ROCPRIM_400000_NS6detail17trampoline_kernelINS0_13select_configILj256ELj13ELNS0_17block_load_methodE3ELS4_3ELS4_3ELNS0_20block_scan_algorithmE0ELj4294967295EEENS1_25partition_config_selectorILNS1_17partition_subalgoE3EjNS0_10empty_typeEbEEZZNS1_14partition_implILS8_3ELb0ES6_jNS0_17counting_iteratorIjlEEPS9_SE_NS0_5tupleIJPjSE_EEENSF_IJSE_SE_EEES9_SG_JZNS1_25segmented_radix_sort_implINS0_14default_configELb1EPKbPbPKlPlN2at6native12_GLOBAL__N_18offset_tEEE10hipError_tPvRmT1_PNSt15iterator_traitsISY_E10value_typeET2_T3_PNSZ_IS14_E10value_typeET4_jRbjT5_S1A_jjP12ihipStream_tbEUljE_EEESV_SW_SX_S14_S18_S1A_T6_T7_T9_mT8_S1C_bDpT10_ENKUlT_T0_E_clISt17integral_constantIbLb0EES1P_EEDaS1K_S1L_EUlS1K_E_NS1_11comp_targetILNS1_3genE0ELNS1_11target_archE4294967295ELNS1_3gpuE0ELNS1_3repE0EEENS1_30default_config_static_selectorELNS0_4arch9wavefront6targetE0EEEvSY_.has_indirect_call, 0
	.section	.AMDGPU.csdata,"",@progbits
; Kernel info:
; codeLenInByte = 0
; TotalNumSgprs: 0
; NumVgprs: 0
; ScratchSize: 0
; MemoryBound: 0
; FloatMode: 240
; IeeeMode: 1
; LDSByteSize: 0 bytes/workgroup (compile time only)
; SGPRBlocks: 0
; VGPRBlocks: 0
; NumSGPRsForWavesPerEU: 1
; NumVGPRsForWavesPerEU: 1
; Occupancy: 16
; WaveLimiterHint : 0
; COMPUTE_PGM_RSRC2:SCRATCH_EN: 0
; COMPUTE_PGM_RSRC2:USER_SGPR: 6
; COMPUTE_PGM_RSRC2:TRAP_HANDLER: 0
; COMPUTE_PGM_RSRC2:TGID_X_EN: 1
; COMPUTE_PGM_RSRC2:TGID_Y_EN: 0
; COMPUTE_PGM_RSRC2:TGID_Z_EN: 0
; COMPUTE_PGM_RSRC2:TIDIG_COMP_CNT: 0
	.section	.text._ZN7rocprim17ROCPRIM_400000_NS6detail17trampoline_kernelINS0_13select_configILj256ELj13ELNS0_17block_load_methodE3ELS4_3ELS4_3ELNS0_20block_scan_algorithmE0ELj4294967295EEENS1_25partition_config_selectorILNS1_17partition_subalgoE3EjNS0_10empty_typeEbEEZZNS1_14partition_implILS8_3ELb0ES6_jNS0_17counting_iteratorIjlEEPS9_SE_NS0_5tupleIJPjSE_EEENSF_IJSE_SE_EEES9_SG_JZNS1_25segmented_radix_sort_implINS0_14default_configELb1EPKbPbPKlPlN2at6native12_GLOBAL__N_18offset_tEEE10hipError_tPvRmT1_PNSt15iterator_traitsISY_E10value_typeET2_T3_PNSZ_IS14_E10value_typeET4_jRbjT5_S1A_jjP12ihipStream_tbEUljE_EEESV_SW_SX_S14_S18_S1A_T6_T7_T9_mT8_S1C_bDpT10_ENKUlT_T0_E_clISt17integral_constantIbLb0EES1P_EEDaS1K_S1L_EUlS1K_E_NS1_11comp_targetILNS1_3genE5ELNS1_11target_archE942ELNS1_3gpuE9ELNS1_3repE0EEENS1_30default_config_static_selectorELNS0_4arch9wavefront6targetE0EEEvSY_,"axG",@progbits,_ZN7rocprim17ROCPRIM_400000_NS6detail17trampoline_kernelINS0_13select_configILj256ELj13ELNS0_17block_load_methodE3ELS4_3ELS4_3ELNS0_20block_scan_algorithmE0ELj4294967295EEENS1_25partition_config_selectorILNS1_17partition_subalgoE3EjNS0_10empty_typeEbEEZZNS1_14partition_implILS8_3ELb0ES6_jNS0_17counting_iteratorIjlEEPS9_SE_NS0_5tupleIJPjSE_EEENSF_IJSE_SE_EEES9_SG_JZNS1_25segmented_radix_sort_implINS0_14default_configELb1EPKbPbPKlPlN2at6native12_GLOBAL__N_18offset_tEEE10hipError_tPvRmT1_PNSt15iterator_traitsISY_E10value_typeET2_T3_PNSZ_IS14_E10value_typeET4_jRbjT5_S1A_jjP12ihipStream_tbEUljE_EEESV_SW_SX_S14_S18_S1A_T6_T7_T9_mT8_S1C_bDpT10_ENKUlT_T0_E_clISt17integral_constantIbLb0EES1P_EEDaS1K_S1L_EUlS1K_E_NS1_11comp_targetILNS1_3genE5ELNS1_11target_archE942ELNS1_3gpuE9ELNS1_3repE0EEENS1_30default_config_static_selectorELNS0_4arch9wavefront6targetE0EEEvSY_,comdat
	.globl	_ZN7rocprim17ROCPRIM_400000_NS6detail17trampoline_kernelINS0_13select_configILj256ELj13ELNS0_17block_load_methodE3ELS4_3ELS4_3ELNS0_20block_scan_algorithmE0ELj4294967295EEENS1_25partition_config_selectorILNS1_17partition_subalgoE3EjNS0_10empty_typeEbEEZZNS1_14partition_implILS8_3ELb0ES6_jNS0_17counting_iteratorIjlEEPS9_SE_NS0_5tupleIJPjSE_EEENSF_IJSE_SE_EEES9_SG_JZNS1_25segmented_radix_sort_implINS0_14default_configELb1EPKbPbPKlPlN2at6native12_GLOBAL__N_18offset_tEEE10hipError_tPvRmT1_PNSt15iterator_traitsISY_E10value_typeET2_T3_PNSZ_IS14_E10value_typeET4_jRbjT5_S1A_jjP12ihipStream_tbEUljE_EEESV_SW_SX_S14_S18_S1A_T6_T7_T9_mT8_S1C_bDpT10_ENKUlT_T0_E_clISt17integral_constantIbLb0EES1P_EEDaS1K_S1L_EUlS1K_E_NS1_11comp_targetILNS1_3genE5ELNS1_11target_archE942ELNS1_3gpuE9ELNS1_3repE0EEENS1_30default_config_static_selectorELNS0_4arch9wavefront6targetE0EEEvSY_ ; -- Begin function _ZN7rocprim17ROCPRIM_400000_NS6detail17trampoline_kernelINS0_13select_configILj256ELj13ELNS0_17block_load_methodE3ELS4_3ELS4_3ELNS0_20block_scan_algorithmE0ELj4294967295EEENS1_25partition_config_selectorILNS1_17partition_subalgoE3EjNS0_10empty_typeEbEEZZNS1_14partition_implILS8_3ELb0ES6_jNS0_17counting_iteratorIjlEEPS9_SE_NS0_5tupleIJPjSE_EEENSF_IJSE_SE_EEES9_SG_JZNS1_25segmented_radix_sort_implINS0_14default_configELb1EPKbPbPKlPlN2at6native12_GLOBAL__N_18offset_tEEE10hipError_tPvRmT1_PNSt15iterator_traitsISY_E10value_typeET2_T3_PNSZ_IS14_E10value_typeET4_jRbjT5_S1A_jjP12ihipStream_tbEUljE_EEESV_SW_SX_S14_S18_S1A_T6_T7_T9_mT8_S1C_bDpT10_ENKUlT_T0_E_clISt17integral_constantIbLb0EES1P_EEDaS1K_S1L_EUlS1K_E_NS1_11comp_targetILNS1_3genE5ELNS1_11target_archE942ELNS1_3gpuE9ELNS1_3repE0EEENS1_30default_config_static_selectorELNS0_4arch9wavefront6targetE0EEEvSY_
	.p2align	8
	.type	_ZN7rocprim17ROCPRIM_400000_NS6detail17trampoline_kernelINS0_13select_configILj256ELj13ELNS0_17block_load_methodE3ELS4_3ELS4_3ELNS0_20block_scan_algorithmE0ELj4294967295EEENS1_25partition_config_selectorILNS1_17partition_subalgoE3EjNS0_10empty_typeEbEEZZNS1_14partition_implILS8_3ELb0ES6_jNS0_17counting_iteratorIjlEEPS9_SE_NS0_5tupleIJPjSE_EEENSF_IJSE_SE_EEES9_SG_JZNS1_25segmented_radix_sort_implINS0_14default_configELb1EPKbPbPKlPlN2at6native12_GLOBAL__N_18offset_tEEE10hipError_tPvRmT1_PNSt15iterator_traitsISY_E10value_typeET2_T3_PNSZ_IS14_E10value_typeET4_jRbjT5_S1A_jjP12ihipStream_tbEUljE_EEESV_SW_SX_S14_S18_S1A_T6_T7_T9_mT8_S1C_bDpT10_ENKUlT_T0_E_clISt17integral_constantIbLb0EES1P_EEDaS1K_S1L_EUlS1K_E_NS1_11comp_targetILNS1_3genE5ELNS1_11target_archE942ELNS1_3gpuE9ELNS1_3repE0EEENS1_30default_config_static_selectorELNS0_4arch9wavefront6targetE0EEEvSY_,@function
_ZN7rocprim17ROCPRIM_400000_NS6detail17trampoline_kernelINS0_13select_configILj256ELj13ELNS0_17block_load_methodE3ELS4_3ELS4_3ELNS0_20block_scan_algorithmE0ELj4294967295EEENS1_25partition_config_selectorILNS1_17partition_subalgoE3EjNS0_10empty_typeEbEEZZNS1_14partition_implILS8_3ELb0ES6_jNS0_17counting_iteratorIjlEEPS9_SE_NS0_5tupleIJPjSE_EEENSF_IJSE_SE_EEES9_SG_JZNS1_25segmented_radix_sort_implINS0_14default_configELb1EPKbPbPKlPlN2at6native12_GLOBAL__N_18offset_tEEE10hipError_tPvRmT1_PNSt15iterator_traitsISY_E10value_typeET2_T3_PNSZ_IS14_E10value_typeET4_jRbjT5_S1A_jjP12ihipStream_tbEUljE_EEESV_SW_SX_S14_S18_S1A_T6_T7_T9_mT8_S1C_bDpT10_ENKUlT_T0_E_clISt17integral_constantIbLb0EES1P_EEDaS1K_S1L_EUlS1K_E_NS1_11comp_targetILNS1_3genE5ELNS1_11target_archE942ELNS1_3gpuE9ELNS1_3repE0EEENS1_30default_config_static_selectorELNS0_4arch9wavefront6targetE0EEEvSY_: ; @_ZN7rocprim17ROCPRIM_400000_NS6detail17trampoline_kernelINS0_13select_configILj256ELj13ELNS0_17block_load_methodE3ELS4_3ELS4_3ELNS0_20block_scan_algorithmE0ELj4294967295EEENS1_25partition_config_selectorILNS1_17partition_subalgoE3EjNS0_10empty_typeEbEEZZNS1_14partition_implILS8_3ELb0ES6_jNS0_17counting_iteratorIjlEEPS9_SE_NS0_5tupleIJPjSE_EEENSF_IJSE_SE_EEES9_SG_JZNS1_25segmented_radix_sort_implINS0_14default_configELb1EPKbPbPKlPlN2at6native12_GLOBAL__N_18offset_tEEE10hipError_tPvRmT1_PNSt15iterator_traitsISY_E10value_typeET2_T3_PNSZ_IS14_E10value_typeET4_jRbjT5_S1A_jjP12ihipStream_tbEUljE_EEESV_SW_SX_S14_S18_S1A_T6_T7_T9_mT8_S1C_bDpT10_ENKUlT_T0_E_clISt17integral_constantIbLb0EES1P_EEDaS1K_S1L_EUlS1K_E_NS1_11comp_targetILNS1_3genE5ELNS1_11target_archE942ELNS1_3gpuE9ELNS1_3repE0EEENS1_30default_config_static_selectorELNS0_4arch9wavefront6targetE0EEEvSY_
; %bb.0:
	.section	.rodata,"a",@progbits
	.p2align	6, 0x0
	.amdhsa_kernel _ZN7rocprim17ROCPRIM_400000_NS6detail17trampoline_kernelINS0_13select_configILj256ELj13ELNS0_17block_load_methodE3ELS4_3ELS4_3ELNS0_20block_scan_algorithmE0ELj4294967295EEENS1_25partition_config_selectorILNS1_17partition_subalgoE3EjNS0_10empty_typeEbEEZZNS1_14partition_implILS8_3ELb0ES6_jNS0_17counting_iteratorIjlEEPS9_SE_NS0_5tupleIJPjSE_EEENSF_IJSE_SE_EEES9_SG_JZNS1_25segmented_radix_sort_implINS0_14default_configELb1EPKbPbPKlPlN2at6native12_GLOBAL__N_18offset_tEEE10hipError_tPvRmT1_PNSt15iterator_traitsISY_E10value_typeET2_T3_PNSZ_IS14_E10value_typeET4_jRbjT5_S1A_jjP12ihipStream_tbEUljE_EEESV_SW_SX_S14_S18_S1A_T6_T7_T9_mT8_S1C_bDpT10_ENKUlT_T0_E_clISt17integral_constantIbLb0EES1P_EEDaS1K_S1L_EUlS1K_E_NS1_11comp_targetILNS1_3genE5ELNS1_11target_archE942ELNS1_3gpuE9ELNS1_3repE0EEENS1_30default_config_static_selectorELNS0_4arch9wavefront6targetE0EEEvSY_
		.amdhsa_group_segment_fixed_size 0
		.amdhsa_private_segment_fixed_size 0
		.amdhsa_kernarg_size 144
		.amdhsa_user_sgpr_count 6
		.amdhsa_user_sgpr_private_segment_buffer 1
		.amdhsa_user_sgpr_dispatch_ptr 0
		.amdhsa_user_sgpr_queue_ptr 0
		.amdhsa_user_sgpr_kernarg_segment_ptr 1
		.amdhsa_user_sgpr_dispatch_id 0
		.amdhsa_user_sgpr_flat_scratch_init 0
		.amdhsa_user_sgpr_private_segment_size 0
		.amdhsa_wavefront_size32 1
		.amdhsa_uses_dynamic_stack 0
		.amdhsa_system_sgpr_private_segment_wavefront_offset 0
		.amdhsa_system_sgpr_workgroup_id_x 1
		.amdhsa_system_sgpr_workgroup_id_y 0
		.amdhsa_system_sgpr_workgroup_id_z 0
		.amdhsa_system_sgpr_workgroup_info 0
		.amdhsa_system_vgpr_workitem_id 0
		.amdhsa_next_free_vgpr 1
		.amdhsa_next_free_sgpr 1
		.amdhsa_reserve_vcc 0
		.amdhsa_reserve_flat_scratch 0
		.amdhsa_float_round_mode_32 0
		.amdhsa_float_round_mode_16_64 0
		.amdhsa_float_denorm_mode_32 3
		.amdhsa_float_denorm_mode_16_64 3
		.amdhsa_dx10_clamp 1
		.amdhsa_ieee_mode 1
		.amdhsa_fp16_overflow 0
		.amdhsa_workgroup_processor_mode 1
		.amdhsa_memory_ordered 1
		.amdhsa_forward_progress 1
		.amdhsa_shared_vgpr_count 0
		.amdhsa_exception_fp_ieee_invalid_op 0
		.amdhsa_exception_fp_denorm_src 0
		.amdhsa_exception_fp_ieee_div_zero 0
		.amdhsa_exception_fp_ieee_overflow 0
		.amdhsa_exception_fp_ieee_underflow 0
		.amdhsa_exception_fp_ieee_inexact 0
		.amdhsa_exception_int_div_zero 0
	.end_amdhsa_kernel
	.section	.text._ZN7rocprim17ROCPRIM_400000_NS6detail17trampoline_kernelINS0_13select_configILj256ELj13ELNS0_17block_load_methodE3ELS4_3ELS4_3ELNS0_20block_scan_algorithmE0ELj4294967295EEENS1_25partition_config_selectorILNS1_17partition_subalgoE3EjNS0_10empty_typeEbEEZZNS1_14partition_implILS8_3ELb0ES6_jNS0_17counting_iteratorIjlEEPS9_SE_NS0_5tupleIJPjSE_EEENSF_IJSE_SE_EEES9_SG_JZNS1_25segmented_radix_sort_implINS0_14default_configELb1EPKbPbPKlPlN2at6native12_GLOBAL__N_18offset_tEEE10hipError_tPvRmT1_PNSt15iterator_traitsISY_E10value_typeET2_T3_PNSZ_IS14_E10value_typeET4_jRbjT5_S1A_jjP12ihipStream_tbEUljE_EEESV_SW_SX_S14_S18_S1A_T6_T7_T9_mT8_S1C_bDpT10_ENKUlT_T0_E_clISt17integral_constantIbLb0EES1P_EEDaS1K_S1L_EUlS1K_E_NS1_11comp_targetILNS1_3genE5ELNS1_11target_archE942ELNS1_3gpuE9ELNS1_3repE0EEENS1_30default_config_static_selectorELNS0_4arch9wavefront6targetE0EEEvSY_,"axG",@progbits,_ZN7rocprim17ROCPRIM_400000_NS6detail17trampoline_kernelINS0_13select_configILj256ELj13ELNS0_17block_load_methodE3ELS4_3ELS4_3ELNS0_20block_scan_algorithmE0ELj4294967295EEENS1_25partition_config_selectorILNS1_17partition_subalgoE3EjNS0_10empty_typeEbEEZZNS1_14partition_implILS8_3ELb0ES6_jNS0_17counting_iteratorIjlEEPS9_SE_NS0_5tupleIJPjSE_EEENSF_IJSE_SE_EEES9_SG_JZNS1_25segmented_radix_sort_implINS0_14default_configELb1EPKbPbPKlPlN2at6native12_GLOBAL__N_18offset_tEEE10hipError_tPvRmT1_PNSt15iterator_traitsISY_E10value_typeET2_T3_PNSZ_IS14_E10value_typeET4_jRbjT5_S1A_jjP12ihipStream_tbEUljE_EEESV_SW_SX_S14_S18_S1A_T6_T7_T9_mT8_S1C_bDpT10_ENKUlT_T0_E_clISt17integral_constantIbLb0EES1P_EEDaS1K_S1L_EUlS1K_E_NS1_11comp_targetILNS1_3genE5ELNS1_11target_archE942ELNS1_3gpuE9ELNS1_3repE0EEENS1_30default_config_static_selectorELNS0_4arch9wavefront6targetE0EEEvSY_,comdat
.Lfunc_end1493:
	.size	_ZN7rocprim17ROCPRIM_400000_NS6detail17trampoline_kernelINS0_13select_configILj256ELj13ELNS0_17block_load_methodE3ELS4_3ELS4_3ELNS0_20block_scan_algorithmE0ELj4294967295EEENS1_25partition_config_selectorILNS1_17partition_subalgoE3EjNS0_10empty_typeEbEEZZNS1_14partition_implILS8_3ELb0ES6_jNS0_17counting_iteratorIjlEEPS9_SE_NS0_5tupleIJPjSE_EEENSF_IJSE_SE_EEES9_SG_JZNS1_25segmented_radix_sort_implINS0_14default_configELb1EPKbPbPKlPlN2at6native12_GLOBAL__N_18offset_tEEE10hipError_tPvRmT1_PNSt15iterator_traitsISY_E10value_typeET2_T3_PNSZ_IS14_E10value_typeET4_jRbjT5_S1A_jjP12ihipStream_tbEUljE_EEESV_SW_SX_S14_S18_S1A_T6_T7_T9_mT8_S1C_bDpT10_ENKUlT_T0_E_clISt17integral_constantIbLb0EES1P_EEDaS1K_S1L_EUlS1K_E_NS1_11comp_targetILNS1_3genE5ELNS1_11target_archE942ELNS1_3gpuE9ELNS1_3repE0EEENS1_30default_config_static_selectorELNS0_4arch9wavefront6targetE0EEEvSY_, .Lfunc_end1493-_ZN7rocprim17ROCPRIM_400000_NS6detail17trampoline_kernelINS0_13select_configILj256ELj13ELNS0_17block_load_methodE3ELS4_3ELS4_3ELNS0_20block_scan_algorithmE0ELj4294967295EEENS1_25partition_config_selectorILNS1_17partition_subalgoE3EjNS0_10empty_typeEbEEZZNS1_14partition_implILS8_3ELb0ES6_jNS0_17counting_iteratorIjlEEPS9_SE_NS0_5tupleIJPjSE_EEENSF_IJSE_SE_EEES9_SG_JZNS1_25segmented_radix_sort_implINS0_14default_configELb1EPKbPbPKlPlN2at6native12_GLOBAL__N_18offset_tEEE10hipError_tPvRmT1_PNSt15iterator_traitsISY_E10value_typeET2_T3_PNSZ_IS14_E10value_typeET4_jRbjT5_S1A_jjP12ihipStream_tbEUljE_EEESV_SW_SX_S14_S18_S1A_T6_T7_T9_mT8_S1C_bDpT10_ENKUlT_T0_E_clISt17integral_constantIbLb0EES1P_EEDaS1K_S1L_EUlS1K_E_NS1_11comp_targetILNS1_3genE5ELNS1_11target_archE942ELNS1_3gpuE9ELNS1_3repE0EEENS1_30default_config_static_selectorELNS0_4arch9wavefront6targetE0EEEvSY_
                                        ; -- End function
	.set _ZN7rocprim17ROCPRIM_400000_NS6detail17trampoline_kernelINS0_13select_configILj256ELj13ELNS0_17block_load_methodE3ELS4_3ELS4_3ELNS0_20block_scan_algorithmE0ELj4294967295EEENS1_25partition_config_selectorILNS1_17partition_subalgoE3EjNS0_10empty_typeEbEEZZNS1_14partition_implILS8_3ELb0ES6_jNS0_17counting_iteratorIjlEEPS9_SE_NS0_5tupleIJPjSE_EEENSF_IJSE_SE_EEES9_SG_JZNS1_25segmented_radix_sort_implINS0_14default_configELb1EPKbPbPKlPlN2at6native12_GLOBAL__N_18offset_tEEE10hipError_tPvRmT1_PNSt15iterator_traitsISY_E10value_typeET2_T3_PNSZ_IS14_E10value_typeET4_jRbjT5_S1A_jjP12ihipStream_tbEUljE_EEESV_SW_SX_S14_S18_S1A_T6_T7_T9_mT8_S1C_bDpT10_ENKUlT_T0_E_clISt17integral_constantIbLb0EES1P_EEDaS1K_S1L_EUlS1K_E_NS1_11comp_targetILNS1_3genE5ELNS1_11target_archE942ELNS1_3gpuE9ELNS1_3repE0EEENS1_30default_config_static_selectorELNS0_4arch9wavefront6targetE0EEEvSY_.num_vgpr, 0
	.set _ZN7rocprim17ROCPRIM_400000_NS6detail17trampoline_kernelINS0_13select_configILj256ELj13ELNS0_17block_load_methodE3ELS4_3ELS4_3ELNS0_20block_scan_algorithmE0ELj4294967295EEENS1_25partition_config_selectorILNS1_17partition_subalgoE3EjNS0_10empty_typeEbEEZZNS1_14partition_implILS8_3ELb0ES6_jNS0_17counting_iteratorIjlEEPS9_SE_NS0_5tupleIJPjSE_EEENSF_IJSE_SE_EEES9_SG_JZNS1_25segmented_radix_sort_implINS0_14default_configELb1EPKbPbPKlPlN2at6native12_GLOBAL__N_18offset_tEEE10hipError_tPvRmT1_PNSt15iterator_traitsISY_E10value_typeET2_T3_PNSZ_IS14_E10value_typeET4_jRbjT5_S1A_jjP12ihipStream_tbEUljE_EEESV_SW_SX_S14_S18_S1A_T6_T7_T9_mT8_S1C_bDpT10_ENKUlT_T0_E_clISt17integral_constantIbLb0EES1P_EEDaS1K_S1L_EUlS1K_E_NS1_11comp_targetILNS1_3genE5ELNS1_11target_archE942ELNS1_3gpuE9ELNS1_3repE0EEENS1_30default_config_static_selectorELNS0_4arch9wavefront6targetE0EEEvSY_.num_agpr, 0
	.set _ZN7rocprim17ROCPRIM_400000_NS6detail17trampoline_kernelINS0_13select_configILj256ELj13ELNS0_17block_load_methodE3ELS4_3ELS4_3ELNS0_20block_scan_algorithmE0ELj4294967295EEENS1_25partition_config_selectorILNS1_17partition_subalgoE3EjNS0_10empty_typeEbEEZZNS1_14partition_implILS8_3ELb0ES6_jNS0_17counting_iteratorIjlEEPS9_SE_NS0_5tupleIJPjSE_EEENSF_IJSE_SE_EEES9_SG_JZNS1_25segmented_radix_sort_implINS0_14default_configELb1EPKbPbPKlPlN2at6native12_GLOBAL__N_18offset_tEEE10hipError_tPvRmT1_PNSt15iterator_traitsISY_E10value_typeET2_T3_PNSZ_IS14_E10value_typeET4_jRbjT5_S1A_jjP12ihipStream_tbEUljE_EEESV_SW_SX_S14_S18_S1A_T6_T7_T9_mT8_S1C_bDpT10_ENKUlT_T0_E_clISt17integral_constantIbLb0EES1P_EEDaS1K_S1L_EUlS1K_E_NS1_11comp_targetILNS1_3genE5ELNS1_11target_archE942ELNS1_3gpuE9ELNS1_3repE0EEENS1_30default_config_static_selectorELNS0_4arch9wavefront6targetE0EEEvSY_.numbered_sgpr, 0
	.set _ZN7rocprim17ROCPRIM_400000_NS6detail17trampoline_kernelINS0_13select_configILj256ELj13ELNS0_17block_load_methodE3ELS4_3ELS4_3ELNS0_20block_scan_algorithmE0ELj4294967295EEENS1_25partition_config_selectorILNS1_17partition_subalgoE3EjNS0_10empty_typeEbEEZZNS1_14partition_implILS8_3ELb0ES6_jNS0_17counting_iteratorIjlEEPS9_SE_NS0_5tupleIJPjSE_EEENSF_IJSE_SE_EEES9_SG_JZNS1_25segmented_radix_sort_implINS0_14default_configELb1EPKbPbPKlPlN2at6native12_GLOBAL__N_18offset_tEEE10hipError_tPvRmT1_PNSt15iterator_traitsISY_E10value_typeET2_T3_PNSZ_IS14_E10value_typeET4_jRbjT5_S1A_jjP12ihipStream_tbEUljE_EEESV_SW_SX_S14_S18_S1A_T6_T7_T9_mT8_S1C_bDpT10_ENKUlT_T0_E_clISt17integral_constantIbLb0EES1P_EEDaS1K_S1L_EUlS1K_E_NS1_11comp_targetILNS1_3genE5ELNS1_11target_archE942ELNS1_3gpuE9ELNS1_3repE0EEENS1_30default_config_static_selectorELNS0_4arch9wavefront6targetE0EEEvSY_.num_named_barrier, 0
	.set _ZN7rocprim17ROCPRIM_400000_NS6detail17trampoline_kernelINS0_13select_configILj256ELj13ELNS0_17block_load_methodE3ELS4_3ELS4_3ELNS0_20block_scan_algorithmE0ELj4294967295EEENS1_25partition_config_selectorILNS1_17partition_subalgoE3EjNS0_10empty_typeEbEEZZNS1_14partition_implILS8_3ELb0ES6_jNS0_17counting_iteratorIjlEEPS9_SE_NS0_5tupleIJPjSE_EEENSF_IJSE_SE_EEES9_SG_JZNS1_25segmented_radix_sort_implINS0_14default_configELb1EPKbPbPKlPlN2at6native12_GLOBAL__N_18offset_tEEE10hipError_tPvRmT1_PNSt15iterator_traitsISY_E10value_typeET2_T3_PNSZ_IS14_E10value_typeET4_jRbjT5_S1A_jjP12ihipStream_tbEUljE_EEESV_SW_SX_S14_S18_S1A_T6_T7_T9_mT8_S1C_bDpT10_ENKUlT_T0_E_clISt17integral_constantIbLb0EES1P_EEDaS1K_S1L_EUlS1K_E_NS1_11comp_targetILNS1_3genE5ELNS1_11target_archE942ELNS1_3gpuE9ELNS1_3repE0EEENS1_30default_config_static_selectorELNS0_4arch9wavefront6targetE0EEEvSY_.private_seg_size, 0
	.set _ZN7rocprim17ROCPRIM_400000_NS6detail17trampoline_kernelINS0_13select_configILj256ELj13ELNS0_17block_load_methodE3ELS4_3ELS4_3ELNS0_20block_scan_algorithmE0ELj4294967295EEENS1_25partition_config_selectorILNS1_17partition_subalgoE3EjNS0_10empty_typeEbEEZZNS1_14partition_implILS8_3ELb0ES6_jNS0_17counting_iteratorIjlEEPS9_SE_NS0_5tupleIJPjSE_EEENSF_IJSE_SE_EEES9_SG_JZNS1_25segmented_radix_sort_implINS0_14default_configELb1EPKbPbPKlPlN2at6native12_GLOBAL__N_18offset_tEEE10hipError_tPvRmT1_PNSt15iterator_traitsISY_E10value_typeET2_T3_PNSZ_IS14_E10value_typeET4_jRbjT5_S1A_jjP12ihipStream_tbEUljE_EEESV_SW_SX_S14_S18_S1A_T6_T7_T9_mT8_S1C_bDpT10_ENKUlT_T0_E_clISt17integral_constantIbLb0EES1P_EEDaS1K_S1L_EUlS1K_E_NS1_11comp_targetILNS1_3genE5ELNS1_11target_archE942ELNS1_3gpuE9ELNS1_3repE0EEENS1_30default_config_static_selectorELNS0_4arch9wavefront6targetE0EEEvSY_.uses_vcc, 0
	.set _ZN7rocprim17ROCPRIM_400000_NS6detail17trampoline_kernelINS0_13select_configILj256ELj13ELNS0_17block_load_methodE3ELS4_3ELS4_3ELNS0_20block_scan_algorithmE0ELj4294967295EEENS1_25partition_config_selectorILNS1_17partition_subalgoE3EjNS0_10empty_typeEbEEZZNS1_14partition_implILS8_3ELb0ES6_jNS0_17counting_iteratorIjlEEPS9_SE_NS0_5tupleIJPjSE_EEENSF_IJSE_SE_EEES9_SG_JZNS1_25segmented_radix_sort_implINS0_14default_configELb1EPKbPbPKlPlN2at6native12_GLOBAL__N_18offset_tEEE10hipError_tPvRmT1_PNSt15iterator_traitsISY_E10value_typeET2_T3_PNSZ_IS14_E10value_typeET4_jRbjT5_S1A_jjP12ihipStream_tbEUljE_EEESV_SW_SX_S14_S18_S1A_T6_T7_T9_mT8_S1C_bDpT10_ENKUlT_T0_E_clISt17integral_constantIbLb0EES1P_EEDaS1K_S1L_EUlS1K_E_NS1_11comp_targetILNS1_3genE5ELNS1_11target_archE942ELNS1_3gpuE9ELNS1_3repE0EEENS1_30default_config_static_selectorELNS0_4arch9wavefront6targetE0EEEvSY_.uses_flat_scratch, 0
	.set _ZN7rocprim17ROCPRIM_400000_NS6detail17trampoline_kernelINS0_13select_configILj256ELj13ELNS0_17block_load_methodE3ELS4_3ELS4_3ELNS0_20block_scan_algorithmE0ELj4294967295EEENS1_25partition_config_selectorILNS1_17partition_subalgoE3EjNS0_10empty_typeEbEEZZNS1_14partition_implILS8_3ELb0ES6_jNS0_17counting_iteratorIjlEEPS9_SE_NS0_5tupleIJPjSE_EEENSF_IJSE_SE_EEES9_SG_JZNS1_25segmented_radix_sort_implINS0_14default_configELb1EPKbPbPKlPlN2at6native12_GLOBAL__N_18offset_tEEE10hipError_tPvRmT1_PNSt15iterator_traitsISY_E10value_typeET2_T3_PNSZ_IS14_E10value_typeET4_jRbjT5_S1A_jjP12ihipStream_tbEUljE_EEESV_SW_SX_S14_S18_S1A_T6_T7_T9_mT8_S1C_bDpT10_ENKUlT_T0_E_clISt17integral_constantIbLb0EES1P_EEDaS1K_S1L_EUlS1K_E_NS1_11comp_targetILNS1_3genE5ELNS1_11target_archE942ELNS1_3gpuE9ELNS1_3repE0EEENS1_30default_config_static_selectorELNS0_4arch9wavefront6targetE0EEEvSY_.has_dyn_sized_stack, 0
	.set _ZN7rocprim17ROCPRIM_400000_NS6detail17trampoline_kernelINS0_13select_configILj256ELj13ELNS0_17block_load_methodE3ELS4_3ELS4_3ELNS0_20block_scan_algorithmE0ELj4294967295EEENS1_25partition_config_selectorILNS1_17partition_subalgoE3EjNS0_10empty_typeEbEEZZNS1_14partition_implILS8_3ELb0ES6_jNS0_17counting_iteratorIjlEEPS9_SE_NS0_5tupleIJPjSE_EEENSF_IJSE_SE_EEES9_SG_JZNS1_25segmented_radix_sort_implINS0_14default_configELb1EPKbPbPKlPlN2at6native12_GLOBAL__N_18offset_tEEE10hipError_tPvRmT1_PNSt15iterator_traitsISY_E10value_typeET2_T3_PNSZ_IS14_E10value_typeET4_jRbjT5_S1A_jjP12ihipStream_tbEUljE_EEESV_SW_SX_S14_S18_S1A_T6_T7_T9_mT8_S1C_bDpT10_ENKUlT_T0_E_clISt17integral_constantIbLb0EES1P_EEDaS1K_S1L_EUlS1K_E_NS1_11comp_targetILNS1_3genE5ELNS1_11target_archE942ELNS1_3gpuE9ELNS1_3repE0EEENS1_30default_config_static_selectorELNS0_4arch9wavefront6targetE0EEEvSY_.has_recursion, 0
	.set _ZN7rocprim17ROCPRIM_400000_NS6detail17trampoline_kernelINS0_13select_configILj256ELj13ELNS0_17block_load_methodE3ELS4_3ELS4_3ELNS0_20block_scan_algorithmE0ELj4294967295EEENS1_25partition_config_selectorILNS1_17partition_subalgoE3EjNS0_10empty_typeEbEEZZNS1_14partition_implILS8_3ELb0ES6_jNS0_17counting_iteratorIjlEEPS9_SE_NS0_5tupleIJPjSE_EEENSF_IJSE_SE_EEES9_SG_JZNS1_25segmented_radix_sort_implINS0_14default_configELb1EPKbPbPKlPlN2at6native12_GLOBAL__N_18offset_tEEE10hipError_tPvRmT1_PNSt15iterator_traitsISY_E10value_typeET2_T3_PNSZ_IS14_E10value_typeET4_jRbjT5_S1A_jjP12ihipStream_tbEUljE_EEESV_SW_SX_S14_S18_S1A_T6_T7_T9_mT8_S1C_bDpT10_ENKUlT_T0_E_clISt17integral_constantIbLb0EES1P_EEDaS1K_S1L_EUlS1K_E_NS1_11comp_targetILNS1_3genE5ELNS1_11target_archE942ELNS1_3gpuE9ELNS1_3repE0EEENS1_30default_config_static_selectorELNS0_4arch9wavefront6targetE0EEEvSY_.has_indirect_call, 0
	.section	.AMDGPU.csdata,"",@progbits
; Kernel info:
; codeLenInByte = 0
; TotalNumSgprs: 0
; NumVgprs: 0
; ScratchSize: 0
; MemoryBound: 0
; FloatMode: 240
; IeeeMode: 1
; LDSByteSize: 0 bytes/workgroup (compile time only)
; SGPRBlocks: 0
; VGPRBlocks: 0
; NumSGPRsForWavesPerEU: 1
; NumVGPRsForWavesPerEU: 1
; Occupancy: 16
; WaveLimiterHint : 0
; COMPUTE_PGM_RSRC2:SCRATCH_EN: 0
; COMPUTE_PGM_RSRC2:USER_SGPR: 6
; COMPUTE_PGM_RSRC2:TRAP_HANDLER: 0
; COMPUTE_PGM_RSRC2:TGID_X_EN: 1
; COMPUTE_PGM_RSRC2:TGID_Y_EN: 0
; COMPUTE_PGM_RSRC2:TGID_Z_EN: 0
; COMPUTE_PGM_RSRC2:TIDIG_COMP_CNT: 0
	.section	.text._ZN7rocprim17ROCPRIM_400000_NS6detail17trampoline_kernelINS0_13select_configILj256ELj13ELNS0_17block_load_methodE3ELS4_3ELS4_3ELNS0_20block_scan_algorithmE0ELj4294967295EEENS1_25partition_config_selectorILNS1_17partition_subalgoE3EjNS0_10empty_typeEbEEZZNS1_14partition_implILS8_3ELb0ES6_jNS0_17counting_iteratorIjlEEPS9_SE_NS0_5tupleIJPjSE_EEENSF_IJSE_SE_EEES9_SG_JZNS1_25segmented_radix_sort_implINS0_14default_configELb1EPKbPbPKlPlN2at6native12_GLOBAL__N_18offset_tEEE10hipError_tPvRmT1_PNSt15iterator_traitsISY_E10value_typeET2_T3_PNSZ_IS14_E10value_typeET4_jRbjT5_S1A_jjP12ihipStream_tbEUljE_EEESV_SW_SX_S14_S18_S1A_T6_T7_T9_mT8_S1C_bDpT10_ENKUlT_T0_E_clISt17integral_constantIbLb0EES1P_EEDaS1K_S1L_EUlS1K_E_NS1_11comp_targetILNS1_3genE4ELNS1_11target_archE910ELNS1_3gpuE8ELNS1_3repE0EEENS1_30default_config_static_selectorELNS0_4arch9wavefront6targetE0EEEvSY_,"axG",@progbits,_ZN7rocprim17ROCPRIM_400000_NS6detail17trampoline_kernelINS0_13select_configILj256ELj13ELNS0_17block_load_methodE3ELS4_3ELS4_3ELNS0_20block_scan_algorithmE0ELj4294967295EEENS1_25partition_config_selectorILNS1_17partition_subalgoE3EjNS0_10empty_typeEbEEZZNS1_14partition_implILS8_3ELb0ES6_jNS0_17counting_iteratorIjlEEPS9_SE_NS0_5tupleIJPjSE_EEENSF_IJSE_SE_EEES9_SG_JZNS1_25segmented_radix_sort_implINS0_14default_configELb1EPKbPbPKlPlN2at6native12_GLOBAL__N_18offset_tEEE10hipError_tPvRmT1_PNSt15iterator_traitsISY_E10value_typeET2_T3_PNSZ_IS14_E10value_typeET4_jRbjT5_S1A_jjP12ihipStream_tbEUljE_EEESV_SW_SX_S14_S18_S1A_T6_T7_T9_mT8_S1C_bDpT10_ENKUlT_T0_E_clISt17integral_constantIbLb0EES1P_EEDaS1K_S1L_EUlS1K_E_NS1_11comp_targetILNS1_3genE4ELNS1_11target_archE910ELNS1_3gpuE8ELNS1_3repE0EEENS1_30default_config_static_selectorELNS0_4arch9wavefront6targetE0EEEvSY_,comdat
	.globl	_ZN7rocprim17ROCPRIM_400000_NS6detail17trampoline_kernelINS0_13select_configILj256ELj13ELNS0_17block_load_methodE3ELS4_3ELS4_3ELNS0_20block_scan_algorithmE0ELj4294967295EEENS1_25partition_config_selectorILNS1_17partition_subalgoE3EjNS0_10empty_typeEbEEZZNS1_14partition_implILS8_3ELb0ES6_jNS0_17counting_iteratorIjlEEPS9_SE_NS0_5tupleIJPjSE_EEENSF_IJSE_SE_EEES9_SG_JZNS1_25segmented_radix_sort_implINS0_14default_configELb1EPKbPbPKlPlN2at6native12_GLOBAL__N_18offset_tEEE10hipError_tPvRmT1_PNSt15iterator_traitsISY_E10value_typeET2_T3_PNSZ_IS14_E10value_typeET4_jRbjT5_S1A_jjP12ihipStream_tbEUljE_EEESV_SW_SX_S14_S18_S1A_T6_T7_T9_mT8_S1C_bDpT10_ENKUlT_T0_E_clISt17integral_constantIbLb0EES1P_EEDaS1K_S1L_EUlS1K_E_NS1_11comp_targetILNS1_3genE4ELNS1_11target_archE910ELNS1_3gpuE8ELNS1_3repE0EEENS1_30default_config_static_selectorELNS0_4arch9wavefront6targetE0EEEvSY_ ; -- Begin function _ZN7rocprim17ROCPRIM_400000_NS6detail17trampoline_kernelINS0_13select_configILj256ELj13ELNS0_17block_load_methodE3ELS4_3ELS4_3ELNS0_20block_scan_algorithmE0ELj4294967295EEENS1_25partition_config_selectorILNS1_17partition_subalgoE3EjNS0_10empty_typeEbEEZZNS1_14partition_implILS8_3ELb0ES6_jNS0_17counting_iteratorIjlEEPS9_SE_NS0_5tupleIJPjSE_EEENSF_IJSE_SE_EEES9_SG_JZNS1_25segmented_radix_sort_implINS0_14default_configELb1EPKbPbPKlPlN2at6native12_GLOBAL__N_18offset_tEEE10hipError_tPvRmT1_PNSt15iterator_traitsISY_E10value_typeET2_T3_PNSZ_IS14_E10value_typeET4_jRbjT5_S1A_jjP12ihipStream_tbEUljE_EEESV_SW_SX_S14_S18_S1A_T6_T7_T9_mT8_S1C_bDpT10_ENKUlT_T0_E_clISt17integral_constantIbLb0EES1P_EEDaS1K_S1L_EUlS1K_E_NS1_11comp_targetILNS1_3genE4ELNS1_11target_archE910ELNS1_3gpuE8ELNS1_3repE0EEENS1_30default_config_static_selectorELNS0_4arch9wavefront6targetE0EEEvSY_
	.p2align	8
	.type	_ZN7rocprim17ROCPRIM_400000_NS6detail17trampoline_kernelINS0_13select_configILj256ELj13ELNS0_17block_load_methodE3ELS4_3ELS4_3ELNS0_20block_scan_algorithmE0ELj4294967295EEENS1_25partition_config_selectorILNS1_17partition_subalgoE3EjNS0_10empty_typeEbEEZZNS1_14partition_implILS8_3ELb0ES6_jNS0_17counting_iteratorIjlEEPS9_SE_NS0_5tupleIJPjSE_EEENSF_IJSE_SE_EEES9_SG_JZNS1_25segmented_radix_sort_implINS0_14default_configELb1EPKbPbPKlPlN2at6native12_GLOBAL__N_18offset_tEEE10hipError_tPvRmT1_PNSt15iterator_traitsISY_E10value_typeET2_T3_PNSZ_IS14_E10value_typeET4_jRbjT5_S1A_jjP12ihipStream_tbEUljE_EEESV_SW_SX_S14_S18_S1A_T6_T7_T9_mT8_S1C_bDpT10_ENKUlT_T0_E_clISt17integral_constantIbLb0EES1P_EEDaS1K_S1L_EUlS1K_E_NS1_11comp_targetILNS1_3genE4ELNS1_11target_archE910ELNS1_3gpuE8ELNS1_3repE0EEENS1_30default_config_static_selectorELNS0_4arch9wavefront6targetE0EEEvSY_,@function
_ZN7rocprim17ROCPRIM_400000_NS6detail17trampoline_kernelINS0_13select_configILj256ELj13ELNS0_17block_load_methodE3ELS4_3ELS4_3ELNS0_20block_scan_algorithmE0ELj4294967295EEENS1_25partition_config_selectorILNS1_17partition_subalgoE3EjNS0_10empty_typeEbEEZZNS1_14partition_implILS8_3ELb0ES6_jNS0_17counting_iteratorIjlEEPS9_SE_NS0_5tupleIJPjSE_EEENSF_IJSE_SE_EEES9_SG_JZNS1_25segmented_radix_sort_implINS0_14default_configELb1EPKbPbPKlPlN2at6native12_GLOBAL__N_18offset_tEEE10hipError_tPvRmT1_PNSt15iterator_traitsISY_E10value_typeET2_T3_PNSZ_IS14_E10value_typeET4_jRbjT5_S1A_jjP12ihipStream_tbEUljE_EEESV_SW_SX_S14_S18_S1A_T6_T7_T9_mT8_S1C_bDpT10_ENKUlT_T0_E_clISt17integral_constantIbLb0EES1P_EEDaS1K_S1L_EUlS1K_E_NS1_11comp_targetILNS1_3genE4ELNS1_11target_archE910ELNS1_3gpuE8ELNS1_3repE0EEENS1_30default_config_static_selectorELNS0_4arch9wavefront6targetE0EEEvSY_: ; @_ZN7rocprim17ROCPRIM_400000_NS6detail17trampoline_kernelINS0_13select_configILj256ELj13ELNS0_17block_load_methodE3ELS4_3ELS4_3ELNS0_20block_scan_algorithmE0ELj4294967295EEENS1_25partition_config_selectorILNS1_17partition_subalgoE3EjNS0_10empty_typeEbEEZZNS1_14partition_implILS8_3ELb0ES6_jNS0_17counting_iteratorIjlEEPS9_SE_NS0_5tupleIJPjSE_EEENSF_IJSE_SE_EEES9_SG_JZNS1_25segmented_radix_sort_implINS0_14default_configELb1EPKbPbPKlPlN2at6native12_GLOBAL__N_18offset_tEEE10hipError_tPvRmT1_PNSt15iterator_traitsISY_E10value_typeET2_T3_PNSZ_IS14_E10value_typeET4_jRbjT5_S1A_jjP12ihipStream_tbEUljE_EEESV_SW_SX_S14_S18_S1A_T6_T7_T9_mT8_S1C_bDpT10_ENKUlT_T0_E_clISt17integral_constantIbLb0EES1P_EEDaS1K_S1L_EUlS1K_E_NS1_11comp_targetILNS1_3genE4ELNS1_11target_archE910ELNS1_3gpuE8ELNS1_3repE0EEENS1_30default_config_static_selectorELNS0_4arch9wavefront6targetE0EEEvSY_
; %bb.0:
	.section	.rodata,"a",@progbits
	.p2align	6, 0x0
	.amdhsa_kernel _ZN7rocprim17ROCPRIM_400000_NS6detail17trampoline_kernelINS0_13select_configILj256ELj13ELNS0_17block_load_methodE3ELS4_3ELS4_3ELNS0_20block_scan_algorithmE0ELj4294967295EEENS1_25partition_config_selectorILNS1_17partition_subalgoE3EjNS0_10empty_typeEbEEZZNS1_14partition_implILS8_3ELb0ES6_jNS0_17counting_iteratorIjlEEPS9_SE_NS0_5tupleIJPjSE_EEENSF_IJSE_SE_EEES9_SG_JZNS1_25segmented_radix_sort_implINS0_14default_configELb1EPKbPbPKlPlN2at6native12_GLOBAL__N_18offset_tEEE10hipError_tPvRmT1_PNSt15iterator_traitsISY_E10value_typeET2_T3_PNSZ_IS14_E10value_typeET4_jRbjT5_S1A_jjP12ihipStream_tbEUljE_EEESV_SW_SX_S14_S18_S1A_T6_T7_T9_mT8_S1C_bDpT10_ENKUlT_T0_E_clISt17integral_constantIbLb0EES1P_EEDaS1K_S1L_EUlS1K_E_NS1_11comp_targetILNS1_3genE4ELNS1_11target_archE910ELNS1_3gpuE8ELNS1_3repE0EEENS1_30default_config_static_selectorELNS0_4arch9wavefront6targetE0EEEvSY_
		.amdhsa_group_segment_fixed_size 0
		.amdhsa_private_segment_fixed_size 0
		.amdhsa_kernarg_size 144
		.amdhsa_user_sgpr_count 6
		.amdhsa_user_sgpr_private_segment_buffer 1
		.amdhsa_user_sgpr_dispatch_ptr 0
		.amdhsa_user_sgpr_queue_ptr 0
		.amdhsa_user_sgpr_kernarg_segment_ptr 1
		.amdhsa_user_sgpr_dispatch_id 0
		.amdhsa_user_sgpr_flat_scratch_init 0
		.amdhsa_user_sgpr_private_segment_size 0
		.amdhsa_wavefront_size32 1
		.amdhsa_uses_dynamic_stack 0
		.amdhsa_system_sgpr_private_segment_wavefront_offset 0
		.amdhsa_system_sgpr_workgroup_id_x 1
		.amdhsa_system_sgpr_workgroup_id_y 0
		.amdhsa_system_sgpr_workgroup_id_z 0
		.amdhsa_system_sgpr_workgroup_info 0
		.amdhsa_system_vgpr_workitem_id 0
		.amdhsa_next_free_vgpr 1
		.amdhsa_next_free_sgpr 1
		.amdhsa_reserve_vcc 0
		.amdhsa_reserve_flat_scratch 0
		.amdhsa_float_round_mode_32 0
		.amdhsa_float_round_mode_16_64 0
		.amdhsa_float_denorm_mode_32 3
		.amdhsa_float_denorm_mode_16_64 3
		.amdhsa_dx10_clamp 1
		.amdhsa_ieee_mode 1
		.amdhsa_fp16_overflow 0
		.amdhsa_workgroup_processor_mode 1
		.amdhsa_memory_ordered 1
		.amdhsa_forward_progress 1
		.amdhsa_shared_vgpr_count 0
		.amdhsa_exception_fp_ieee_invalid_op 0
		.amdhsa_exception_fp_denorm_src 0
		.amdhsa_exception_fp_ieee_div_zero 0
		.amdhsa_exception_fp_ieee_overflow 0
		.amdhsa_exception_fp_ieee_underflow 0
		.amdhsa_exception_fp_ieee_inexact 0
		.amdhsa_exception_int_div_zero 0
	.end_amdhsa_kernel
	.section	.text._ZN7rocprim17ROCPRIM_400000_NS6detail17trampoline_kernelINS0_13select_configILj256ELj13ELNS0_17block_load_methodE3ELS4_3ELS4_3ELNS0_20block_scan_algorithmE0ELj4294967295EEENS1_25partition_config_selectorILNS1_17partition_subalgoE3EjNS0_10empty_typeEbEEZZNS1_14partition_implILS8_3ELb0ES6_jNS0_17counting_iteratorIjlEEPS9_SE_NS0_5tupleIJPjSE_EEENSF_IJSE_SE_EEES9_SG_JZNS1_25segmented_radix_sort_implINS0_14default_configELb1EPKbPbPKlPlN2at6native12_GLOBAL__N_18offset_tEEE10hipError_tPvRmT1_PNSt15iterator_traitsISY_E10value_typeET2_T3_PNSZ_IS14_E10value_typeET4_jRbjT5_S1A_jjP12ihipStream_tbEUljE_EEESV_SW_SX_S14_S18_S1A_T6_T7_T9_mT8_S1C_bDpT10_ENKUlT_T0_E_clISt17integral_constantIbLb0EES1P_EEDaS1K_S1L_EUlS1K_E_NS1_11comp_targetILNS1_3genE4ELNS1_11target_archE910ELNS1_3gpuE8ELNS1_3repE0EEENS1_30default_config_static_selectorELNS0_4arch9wavefront6targetE0EEEvSY_,"axG",@progbits,_ZN7rocprim17ROCPRIM_400000_NS6detail17trampoline_kernelINS0_13select_configILj256ELj13ELNS0_17block_load_methodE3ELS4_3ELS4_3ELNS0_20block_scan_algorithmE0ELj4294967295EEENS1_25partition_config_selectorILNS1_17partition_subalgoE3EjNS0_10empty_typeEbEEZZNS1_14partition_implILS8_3ELb0ES6_jNS0_17counting_iteratorIjlEEPS9_SE_NS0_5tupleIJPjSE_EEENSF_IJSE_SE_EEES9_SG_JZNS1_25segmented_radix_sort_implINS0_14default_configELb1EPKbPbPKlPlN2at6native12_GLOBAL__N_18offset_tEEE10hipError_tPvRmT1_PNSt15iterator_traitsISY_E10value_typeET2_T3_PNSZ_IS14_E10value_typeET4_jRbjT5_S1A_jjP12ihipStream_tbEUljE_EEESV_SW_SX_S14_S18_S1A_T6_T7_T9_mT8_S1C_bDpT10_ENKUlT_T0_E_clISt17integral_constantIbLb0EES1P_EEDaS1K_S1L_EUlS1K_E_NS1_11comp_targetILNS1_3genE4ELNS1_11target_archE910ELNS1_3gpuE8ELNS1_3repE0EEENS1_30default_config_static_selectorELNS0_4arch9wavefront6targetE0EEEvSY_,comdat
.Lfunc_end1494:
	.size	_ZN7rocprim17ROCPRIM_400000_NS6detail17trampoline_kernelINS0_13select_configILj256ELj13ELNS0_17block_load_methodE3ELS4_3ELS4_3ELNS0_20block_scan_algorithmE0ELj4294967295EEENS1_25partition_config_selectorILNS1_17partition_subalgoE3EjNS0_10empty_typeEbEEZZNS1_14partition_implILS8_3ELb0ES6_jNS0_17counting_iteratorIjlEEPS9_SE_NS0_5tupleIJPjSE_EEENSF_IJSE_SE_EEES9_SG_JZNS1_25segmented_radix_sort_implINS0_14default_configELb1EPKbPbPKlPlN2at6native12_GLOBAL__N_18offset_tEEE10hipError_tPvRmT1_PNSt15iterator_traitsISY_E10value_typeET2_T3_PNSZ_IS14_E10value_typeET4_jRbjT5_S1A_jjP12ihipStream_tbEUljE_EEESV_SW_SX_S14_S18_S1A_T6_T7_T9_mT8_S1C_bDpT10_ENKUlT_T0_E_clISt17integral_constantIbLb0EES1P_EEDaS1K_S1L_EUlS1K_E_NS1_11comp_targetILNS1_3genE4ELNS1_11target_archE910ELNS1_3gpuE8ELNS1_3repE0EEENS1_30default_config_static_selectorELNS0_4arch9wavefront6targetE0EEEvSY_, .Lfunc_end1494-_ZN7rocprim17ROCPRIM_400000_NS6detail17trampoline_kernelINS0_13select_configILj256ELj13ELNS0_17block_load_methodE3ELS4_3ELS4_3ELNS0_20block_scan_algorithmE0ELj4294967295EEENS1_25partition_config_selectorILNS1_17partition_subalgoE3EjNS0_10empty_typeEbEEZZNS1_14partition_implILS8_3ELb0ES6_jNS0_17counting_iteratorIjlEEPS9_SE_NS0_5tupleIJPjSE_EEENSF_IJSE_SE_EEES9_SG_JZNS1_25segmented_radix_sort_implINS0_14default_configELb1EPKbPbPKlPlN2at6native12_GLOBAL__N_18offset_tEEE10hipError_tPvRmT1_PNSt15iterator_traitsISY_E10value_typeET2_T3_PNSZ_IS14_E10value_typeET4_jRbjT5_S1A_jjP12ihipStream_tbEUljE_EEESV_SW_SX_S14_S18_S1A_T6_T7_T9_mT8_S1C_bDpT10_ENKUlT_T0_E_clISt17integral_constantIbLb0EES1P_EEDaS1K_S1L_EUlS1K_E_NS1_11comp_targetILNS1_3genE4ELNS1_11target_archE910ELNS1_3gpuE8ELNS1_3repE0EEENS1_30default_config_static_selectorELNS0_4arch9wavefront6targetE0EEEvSY_
                                        ; -- End function
	.set _ZN7rocprim17ROCPRIM_400000_NS6detail17trampoline_kernelINS0_13select_configILj256ELj13ELNS0_17block_load_methodE3ELS4_3ELS4_3ELNS0_20block_scan_algorithmE0ELj4294967295EEENS1_25partition_config_selectorILNS1_17partition_subalgoE3EjNS0_10empty_typeEbEEZZNS1_14partition_implILS8_3ELb0ES6_jNS0_17counting_iteratorIjlEEPS9_SE_NS0_5tupleIJPjSE_EEENSF_IJSE_SE_EEES9_SG_JZNS1_25segmented_radix_sort_implINS0_14default_configELb1EPKbPbPKlPlN2at6native12_GLOBAL__N_18offset_tEEE10hipError_tPvRmT1_PNSt15iterator_traitsISY_E10value_typeET2_T3_PNSZ_IS14_E10value_typeET4_jRbjT5_S1A_jjP12ihipStream_tbEUljE_EEESV_SW_SX_S14_S18_S1A_T6_T7_T9_mT8_S1C_bDpT10_ENKUlT_T0_E_clISt17integral_constantIbLb0EES1P_EEDaS1K_S1L_EUlS1K_E_NS1_11comp_targetILNS1_3genE4ELNS1_11target_archE910ELNS1_3gpuE8ELNS1_3repE0EEENS1_30default_config_static_selectorELNS0_4arch9wavefront6targetE0EEEvSY_.num_vgpr, 0
	.set _ZN7rocprim17ROCPRIM_400000_NS6detail17trampoline_kernelINS0_13select_configILj256ELj13ELNS0_17block_load_methodE3ELS4_3ELS4_3ELNS0_20block_scan_algorithmE0ELj4294967295EEENS1_25partition_config_selectorILNS1_17partition_subalgoE3EjNS0_10empty_typeEbEEZZNS1_14partition_implILS8_3ELb0ES6_jNS0_17counting_iteratorIjlEEPS9_SE_NS0_5tupleIJPjSE_EEENSF_IJSE_SE_EEES9_SG_JZNS1_25segmented_radix_sort_implINS0_14default_configELb1EPKbPbPKlPlN2at6native12_GLOBAL__N_18offset_tEEE10hipError_tPvRmT1_PNSt15iterator_traitsISY_E10value_typeET2_T3_PNSZ_IS14_E10value_typeET4_jRbjT5_S1A_jjP12ihipStream_tbEUljE_EEESV_SW_SX_S14_S18_S1A_T6_T7_T9_mT8_S1C_bDpT10_ENKUlT_T0_E_clISt17integral_constantIbLb0EES1P_EEDaS1K_S1L_EUlS1K_E_NS1_11comp_targetILNS1_3genE4ELNS1_11target_archE910ELNS1_3gpuE8ELNS1_3repE0EEENS1_30default_config_static_selectorELNS0_4arch9wavefront6targetE0EEEvSY_.num_agpr, 0
	.set _ZN7rocprim17ROCPRIM_400000_NS6detail17trampoline_kernelINS0_13select_configILj256ELj13ELNS0_17block_load_methodE3ELS4_3ELS4_3ELNS0_20block_scan_algorithmE0ELj4294967295EEENS1_25partition_config_selectorILNS1_17partition_subalgoE3EjNS0_10empty_typeEbEEZZNS1_14partition_implILS8_3ELb0ES6_jNS0_17counting_iteratorIjlEEPS9_SE_NS0_5tupleIJPjSE_EEENSF_IJSE_SE_EEES9_SG_JZNS1_25segmented_radix_sort_implINS0_14default_configELb1EPKbPbPKlPlN2at6native12_GLOBAL__N_18offset_tEEE10hipError_tPvRmT1_PNSt15iterator_traitsISY_E10value_typeET2_T3_PNSZ_IS14_E10value_typeET4_jRbjT5_S1A_jjP12ihipStream_tbEUljE_EEESV_SW_SX_S14_S18_S1A_T6_T7_T9_mT8_S1C_bDpT10_ENKUlT_T0_E_clISt17integral_constantIbLb0EES1P_EEDaS1K_S1L_EUlS1K_E_NS1_11comp_targetILNS1_3genE4ELNS1_11target_archE910ELNS1_3gpuE8ELNS1_3repE0EEENS1_30default_config_static_selectorELNS0_4arch9wavefront6targetE0EEEvSY_.numbered_sgpr, 0
	.set _ZN7rocprim17ROCPRIM_400000_NS6detail17trampoline_kernelINS0_13select_configILj256ELj13ELNS0_17block_load_methodE3ELS4_3ELS4_3ELNS0_20block_scan_algorithmE0ELj4294967295EEENS1_25partition_config_selectorILNS1_17partition_subalgoE3EjNS0_10empty_typeEbEEZZNS1_14partition_implILS8_3ELb0ES6_jNS0_17counting_iteratorIjlEEPS9_SE_NS0_5tupleIJPjSE_EEENSF_IJSE_SE_EEES9_SG_JZNS1_25segmented_radix_sort_implINS0_14default_configELb1EPKbPbPKlPlN2at6native12_GLOBAL__N_18offset_tEEE10hipError_tPvRmT1_PNSt15iterator_traitsISY_E10value_typeET2_T3_PNSZ_IS14_E10value_typeET4_jRbjT5_S1A_jjP12ihipStream_tbEUljE_EEESV_SW_SX_S14_S18_S1A_T6_T7_T9_mT8_S1C_bDpT10_ENKUlT_T0_E_clISt17integral_constantIbLb0EES1P_EEDaS1K_S1L_EUlS1K_E_NS1_11comp_targetILNS1_3genE4ELNS1_11target_archE910ELNS1_3gpuE8ELNS1_3repE0EEENS1_30default_config_static_selectorELNS0_4arch9wavefront6targetE0EEEvSY_.num_named_barrier, 0
	.set _ZN7rocprim17ROCPRIM_400000_NS6detail17trampoline_kernelINS0_13select_configILj256ELj13ELNS0_17block_load_methodE3ELS4_3ELS4_3ELNS0_20block_scan_algorithmE0ELj4294967295EEENS1_25partition_config_selectorILNS1_17partition_subalgoE3EjNS0_10empty_typeEbEEZZNS1_14partition_implILS8_3ELb0ES6_jNS0_17counting_iteratorIjlEEPS9_SE_NS0_5tupleIJPjSE_EEENSF_IJSE_SE_EEES9_SG_JZNS1_25segmented_radix_sort_implINS0_14default_configELb1EPKbPbPKlPlN2at6native12_GLOBAL__N_18offset_tEEE10hipError_tPvRmT1_PNSt15iterator_traitsISY_E10value_typeET2_T3_PNSZ_IS14_E10value_typeET4_jRbjT5_S1A_jjP12ihipStream_tbEUljE_EEESV_SW_SX_S14_S18_S1A_T6_T7_T9_mT8_S1C_bDpT10_ENKUlT_T0_E_clISt17integral_constantIbLb0EES1P_EEDaS1K_S1L_EUlS1K_E_NS1_11comp_targetILNS1_3genE4ELNS1_11target_archE910ELNS1_3gpuE8ELNS1_3repE0EEENS1_30default_config_static_selectorELNS0_4arch9wavefront6targetE0EEEvSY_.private_seg_size, 0
	.set _ZN7rocprim17ROCPRIM_400000_NS6detail17trampoline_kernelINS0_13select_configILj256ELj13ELNS0_17block_load_methodE3ELS4_3ELS4_3ELNS0_20block_scan_algorithmE0ELj4294967295EEENS1_25partition_config_selectorILNS1_17partition_subalgoE3EjNS0_10empty_typeEbEEZZNS1_14partition_implILS8_3ELb0ES6_jNS0_17counting_iteratorIjlEEPS9_SE_NS0_5tupleIJPjSE_EEENSF_IJSE_SE_EEES9_SG_JZNS1_25segmented_radix_sort_implINS0_14default_configELb1EPKbPbPKlPlN2at6native12_GLOBAL__N_18offset_tEEE10hipError_tPvRmT1_PNSt15iterator_traitsISY_E10value_typeET2_T3_PNSZ_IS14_E10value_typeET4_jRbjT5_S1A_jjP12ihipStream_tbEUljE_EEESV_SW_SX_S14_S18_S1A_T6_T7_T9_mT8_S1C_bDpT10_ENKUlT_T0_E_clISt17integral_constantIbLb0EES1P_EEDaS1K_S1L_EUlS1K_E_NS1_11comp_targetILNS1_3genE4ELNS1_11target_archE910ELNS1_3gpuE8ELNS1_3repE0EEENS1_30default_config_static_selectorELNS0_4arch9wavefront6targetE0EEEvSY_.uses_vcc, 0
	.set _ZN7rocprim17ROCPRIM_400000_NS6detail17trampoline_kernelINS0_13select_configILj256ELj13ELNS0_17block_load_methodE3ELS4_3ELS4_3ELNS0_20block_scan_algorithmE0ELj4294967295EEENS1_25partition_config_selectorILNS1_17partition_subalgoE3EjNS0_10empty_typeEbEEZZNS1_14partition_implILS8_3ELb0ES6_jNS0_17counting_iteratorIjlEEPS9_SE_NS0_5tupleIJPjSE_EEENSF_IJSE_SE_EEES9_SG_JZNS1_25segmented_radix_sort_implINS0_14default_configELb1EPKbPbPKlPlN2at6native12_GLOBAL__N_18offset_tEEE10hipError_tPvRmT1_PNSt15iterator_traitsISY_E10value_typeET2_T3_PNSZ_IS14_E10value_typeET4_jRbjT5_S1A_jjP12ihipStream_tbEUljE_EEESV_SW_SX_S14_S18_S1A_T6_T7_T9_mT8_S1C_bDpT10_ENKUlT_T0_E_clISt17integral_constantIbLb0EES1P_EEDaS1K_S1L_EUlS1K_E_NS1_11comp_targetILNS1_3genE4ELNS1_11target_archE910ELNS1_3gpuE8ELNS1_3repE0EEENS1_30default_config_static_selectorELNS0_4arch9wavefront6targetE0EEEvSY_.uses_flat_scratch, 0
	.set _ZN7rocprim17ROCPRIM_400000_NS6detail17trampoline_kernelINS0_13select_configILj256ELj13ELNS0_17block_load_methodE3ELS4_3ELS4_3ELNS0_20block_scan_algorithmE0ELj4294967295EEENS1_25partition_config_selectorILNS1_17partition_subalgoE3EjNS0_10empty_typeEbEEZZNS1_14partition_implILS8_3ELb0ES6_jNS0_17counting_iteratorIjlEEPS9_SE_NS0_5tupleIJPjSE_EEENSF_IJSE_SE_EEES9_SG_JZNS1_25segmented_radix_sort_implINS0_14default_configELb1EPKbPbPKlPlN2at6native12_GLOBAL__N_18offset_tEEE10hipError_tPvRmT1_PNSt15iterator_traitsISY_E10value_typeET2_T3_PNSZ_IS14_E10value_typeET4_jRbjT5_S1A_jjP12ihipStream_tbEUljE_EEESV_SW_SX_S14_S18_S1A_T6_T7_T9_mT8_S1C_bDpT10_ENKUlT_T0_E_clISt17integral_constantIbLb0EES1P_EEDaS1K_S1L_EUlS1K_E_NS1_11comp_targetILNS1_3genE4ELNS1_11target_archE910ELNS1_3gpuE8ELNS1_3repE0EEENS1_30default_config_static_selectorELNS0_4arch9wavefront6targetE0EEEvSY_.has_dyn_sized_stack, 0
	.set _ZN7rocprim17ROCPRIM_400000_NS6detail17trampoline_kernelINS0_13select_configILj256ELj13ELNS0_17block_load_methodE3ELS4_3ELS4_3ELNS0_20block_scan_algorithmE0ELj4294967295EEENS1_25partition_config_selectorILNS1_17partition_subalgoE3EjNS0_10empty_typeEbEEZZNS1_14partition_implILS8_3ELb0ES6_jNS0_17counting_iteratorIjlEEPS9_SE_NS0_5tupleIJPjSE_EEENSF_IJSE_SE_EEES9_SG_JZNS1_25segmented_radix_sort_implINS0_14default_configELb1EPKbPbPKlPlN2at6native12_GLOBAL__N_18offset_tEEE10hipError_tPvRmT1_PNSt15iterator_traitsISY_E10value_typeET2_T3_PNSZ_IS14_E10value_typeET4_jRbjT5_S1A_jjP12ihipStream_tbEUljE_EEESV_SW_SX_S14_S18_S1A_T6_T7_T9_mT8_S1C_bDpT10_ENKUlT_T0_E_clISt17integral_constantIbLb0EES1P_EEDaS1K_S1L_EUlS1K_E_NS1_11comp_targetILNS1_3genE4ELNS1_11target_archE910ELNS1_3gpuE8ELNS1_3repE0EEENS1_30default_config_static_selectorELNS0_4arch9wavefront6targetE0EEEvSY_.has_recursion, 0
	.set _ZN7rocprim17ROCPRIM_400000_NS6detail17trampoline_kernelINS0_13select_configILj256ELj13ELNS0_17block_load_methodE3ELS4_3ELS4_3ELNS0_20block_scan_algorithmE0ELj4294967295EEENS1_25partition_config_selectorILNS1_17partition_subalgoE3EjNS0_10empty_typeEbEEZZNS1_14partition_implILS8_3ELb0ES6_jNS0_17counting_iteratorIjlEEPS9_SE_NS0_5tupleIJPjSE_EEENSF_IJSE_SE_EEES9_SG_JZNS1_25segmented_radix_sort_implINS0_14default_configELb1EPKbPbPKlPlN2at6native12_GLOBAL__N_18offset_tEEE10hipError_tPvRmT1_PNSt15iterator_traitsISY_E10value_typeET2_T3_PNSZ_IS14_E10value_typeET4_jRbjT5_S1A_jjP12ihipStream_tbEUljE_EEESV_SW_SX_S14_S18_S1A_T6_T7_T9_mT8_S1C_bDpT10_ENKUlT_T0_E_clISt17integral_constantIbLb0EES1P_EEDaS1K_S1L_EUlS1K_E_NS1_11comp_targetILNS1_3genE4ELNS1_11target_archE910ELNS1_3gpuE8ELNS1_3repE0EEENS1_30default_config_static_selectorELNS0_4arch9wavefront6targetE0EEEvSY_.has_indirect_call, 0
	.section	.AMDGPU.csdata,"",@progbits
; Kernel info:
; codeLenInByte = 0
; TotalNumSgprs: 0
; NumVgprs: 0
; ScratchSize: 0
; MemoryBound: 0
; FloatMode: 240
; IeeeMode: 1
; LDSByteSize: 0 bytes/workgroup (compile time only)
; SGPRBlocks: 0
; VGPRBlocks: 0
; NumSGPRsForWavesPerEU: 1
; NumVGPRsForWavesPerEU: 1
; Occupancy: 16
; WaveLimiterHint : 0
; COMPUTE_PGM_RSRC2:SCRATCH_EN: 0
; COMPUTE_PGM_RSRC2:USER_SGPR: 6
; COMPUTE_PGM_RSRC2:TRAP_HANDLER: 0
; COMPUTE_PGM_RSRC2:TGID_X_EN: 1
; COMPUTE_PGM_RSRC2:TGID_Y_EN: 0
; COMPUTE_PGM_RSRC2:TGID_Z_EN: 0
; COMPUTE_PGM_RSRC2:TIDIG_COMP_CNT: 0
	.section	.text._ZN7rocprim17ROCPRIM_400000_NS6detail17trampoline_kernelINS0_13select_configILj256ELj13ELNS0_17block_load_methodE3ELS4_3ELS4_3ELNS0_20block_scan_algorithmE0ELj4294967295EEENS1_25partition_config_selectorILNS1_17partition_subalgoE3EjNS0_10empty_typeEbEEZZNS1_14partition_implILS8_3ELb0ES6_jNS0_17counting_iteratorIjlEEPS9_SE_NS0_5tupleIJPjSE_EEENSF_IJSE_SE_EEES9_SG_JZNS1_25segmented_radix_sort_implINS0_14default_configELb1EPKbPbPKlPlN2at6native12_GLOBAL__N_18offset_tEEE10hipError_tPvRmT1_PNSt15iterator_traitsISY_E10value_typeET2_T3_PNSZ_IS14_E10value_typeET4_jRbjT5_S1A_jjP12ihipStream_tbEUljE_EEESV_SW_SX_S14_S18_S1A_T6_T7_T9_mT8_S1C_bDpT10_ENKUlT_T0_E_clISt17integral_constantIbLb0EES1P_EEDaS1K_S1L_EUlS1K_E_NS1_11comp_targetILNS1_3genE3ELNS1_11target_archE908ELNS1_3gpuE7ELNS1_3repE0EEENS1_30default_config_static_selectorELNS0_4arch9wavefront6targetE0EEEvSY_,"axG",@progbits,_ZN7rocprim17ROCPRIM_400000_NS6detail17trampoline_kernelINS0_13select_configILj256ELj13ELNS0_17block_load_methodE3ELS4_3ELS4_3ELNS0_20block_scan_algorithmE0ELj4294967295EEENS1_25partition_config_selectorILNS1_17partition_subalgoE3EjNS0_10empty_typeEbEEZZNS1_14partition_implILS8_3ELb0ES6_jNS0_17counting_iteratorIjlEEPS9_SE_NS0_5tupleIJPjSE_EEENSF_IJSE_SE_EEES9_SG_JZNS1_25segmented_radix_sort_implINS0_14default_configELb1EPKbPbPKlPlN2at6native12_GLOBAL__N_18offset_tEEE10hipError_tPvRmT1_PNSt15iterator_traitsISY_E10value_typeET2_T3_PNSZ_IS14_E10value_typeET4_jRbjT5_S1A_jjP12ihipStream_tbEUljE_EEESV_SW_SX_S14_S18_S1A_T6_T7_T9_mT8_S1C_bDpT10_ENKUlT_T0_E_clISt17integral_constantIbLb0EES1P_EEDaS1K_S1L_EUlS1K_E_NS1_11comp_targetILNS1_3genE3ELNS1_11target_archE908ELNS1_3gpuE7ELNS1_3repE0EEENS1_30default_config_static_selectorELNS0_4arch9wavefront6targetE0EEEvSY_,comdat
	.globl	_ZN7rocprim17ROCPRIM_400000_NS6detail17trampoline_kernelINS0_13select_configILj256ELj13ELNS0_17block_load_methodE3ELS4_3ELS4_3ELNS0_20block_scan_algorithmE0ELj4294967295EEENS1_25partition_config_selectorILNS1_17partition_subalgoE3EjNS0_10empty_typeEbEEZZNS1_14partition_implILS8_3ELb0ES6_jNS0_17counting_iteratorIjlEEPS9_SE_NS0_5tupleIJPjSE_EEENSF_IJSE_SE_EEES9_SG_JZNS1_25segmented_radix_sort_implINS0_14default_configELb1EPKbPbPKlPlN2at6native12_GLOBAL__N_18offset_tEEE10hipError_tPvRmT1_PNSt15iterator_traitsISY_E10value_typeET2_T3_PNSZ_IS14_E10value_typeET4_jRbjT5_S1A_jjP12ihipStream_tbEUljE_EEESV_SW_SX_S14_S18_S1A_T6_T7_T9_mT8_S1C_bDpT10_ENKUlT_T0_E_clISt17integral_constantIbLb0EES1P_EEDaS1K_S1L_EUlS1K_E_NS1_11comp_targetILNS1_3genE3ELNS1_11target_archE908ELNS1_3gpuE7ELNS1_3repE0EEENS1_30default_config_static_selectorELNS0_4arch9wavefront6targetE0EEEvSY_ ; -- Begin function _ZN7rocprim17ROCPRIM_400000_NS6detail17trampoline_kernelINS0_13select_configILj256ELj13ELNS0_17block_load_methodE3ELS4_3ELS4_3ELNS0_20block_scan_algorithmE0ELj4294967295EEENS1_25partition_config_selectorILNS1_17partition_subalgoE3EjNS0_10empty_typeEbEEZZNS1_14partition_implILS8_3ELb0ES6_jNS0_17counting_iteratorIjlEEPS9_SE_NS0_5tupleIJPjSE_EEENSF_IJSE_SE_EEES9_SG_JZNS1_25segmented_radix_sort_implINS0_14default_configELb1EPKbPbPKlPlN2at6native12_GLOBAL__N_18offset_tEEE10hipError_tPvRmT1_PNSt15iterator_traitsISY_E10value_typeET2_T3_PNSZ_IS14_E10value_typeET4_jRbjT5_S1A_jjP12ihipStream_tbEUljE_EEESV_SW_SX_S14_S18_S1A_T6_T7_T9_mT8_S1C_bDpT10_ENKUlT_T0_E_clISt17integral_constantIbLb0EES1P_EEDaS1K_S1L_EUlS1K_E_NS1_11comp_targetILNS1_3genE3ELNS1_11target_archE908ELNS1_3gpuE7ELNS1_3repE0EEENS1_30default_config_static_selectorELNS0_4arch9wavefront6targetE0EEEvSY_
	.p2align	8
	.type	_ZN7rocprim17ROCPRIM_400000_NS6detail17trampoline_kernelINS0_13select_configILj256ELj13ELNS0_17block_load_methodE3ELS4_3ELS4_3ELNS0_20block_scan_algorithmE0ELj4294967295EEENS1_25partition_config_selectorILNS1_17partition_subalgoE3EjNS0_10empty_typeEbEEZZNS1_14partition_implILS8_3ELb0ES6_jNS0_17counting_iteratorIjlEEPS9_SE_NS0_5tupleIJPjSE_EEENSF_IJSE_SE_EEES9_SG_JZNS1_25segmented_radix_sort_implINS0_14default_configELb1EPKbPbPKlPlN2at6native12_GLOBAL__N_18offset_tEEE10hipError_tPvRmT1_PNSt15iterator_traitsISY_E10value_typeET2_T3_PNSZ_IS14_E10value_typeET4_jRbjT5_S1A_jjP12ihipStream_tbEUljE_EEESV_SW_SX_S14_S18_S1A_T6_T7_T9_mT8_S1C_bDpT10_ENKUlT_T0_E_clISt17integral_constantIbLb0EES1P_EEDaS1K_S1L_EUlS1K_E_NS1_11comp_targetILNS1_3genE3ELNS1_11target_archE908ELNS1_3gpuE7ELNS1_3repE0EEENS1_30default_config_static_selectorELNS0_4arch9wavefront6targetE0EEEvSY_,@function
_ZN7rocprim17ROCPRIM_400000_NS6detail17trampoline_kernelINS0_13select_configILj256ELj13ELNS0_17block_load_methodE3ELS4_3ELS4_3ELNS0_20block_scan_algorithmE0ELj4294967295EEENS1_25partition_config_selectorILNS1_17partition_subalgoE3EjNS0_10empty_typeEbEEZZNS1_14partition_implILS8_3ELb0ES6_jNS0_17counting_iteratorIjlEEPS9_SE_NS0_5tupleIJPjSE_EEENSF_IJSE_SE_EEES9_SG_JZNS1_25segmented_radix_sort_implINS0_14default_configELb1EPKbPbPKlPlN2at6native12_GLOBAL__N_18offset_tEEE10hipError_tPvRmT1_PNSt15iterator_traitsISY_E10value_typeET2_T3_PNSZ_IS14_E10value_typeET4_jRbjT5_S1A_jjP12ihipStream_tbEUljE_EEESV_SW_SX_S14_S18_S1A_T6_T7_T9_mT8_S1C_bDpT10_ENKUlT_T0_E_clISt17integral_constantIbLb0EES1P_EEDaS1K_S1L_EUlS1K_E_NS1_11comp_targetILNS1_3genE3ELNS1_11target_archE908ELNS1_3gpuE7ELNS1_3repE0EEENS1_30default_config_static_selectorELNS0_4arch9wavefront6targetE0EEEvSY_: ; @_ZN7rocprim17ROCPRIM_400000_NS6detail17trampoline_kernelINS0_13select_configILj256ELj13ELNS0_17block_load_methodE3ELS4_3ELS4_3ELNS0_20block_scan_algorithmE0ELj4294967295EEENS1_25partition_config_selectorILNS1_17partition_subalgoE3EjNS0_10empty_typeEbEEZZNS1_14partition_implILS8_3ELb0ES6_jNS0_17counting_iteratorIjlEEPS9_SE_NS0_5tupleIJPjSE_EEENSF_IJSE_SE_EEES9_SG_JZNS1_25segmented_radix_sort_implINS0_14default_configELb1EPKbPbPKlPlN2at6native12_GLOBAL__N_18offset_tEEE10hipError_tPvRmT1_PNSt15iterator_traitsISY_E10value_typeET2_T3_PNSZ_IS14_E10value_typeET4_jRbjT5_S1A_jjP12ihipStream_tbEUljE_EEESV_SW_SX_S14_S18_S1A_T6_T7_T9_mT8_S1C_bDpT10_ENKUlT_T0_E_clISt17integral_constantIbLb0EES1P_EEDaS1K_S1L_EUlS1K_E_NS1_11comp_targetILNS1_3genE3ELNS1_11target_archE908ELNS1_3gpuE7ELNS1_3repE0EEENS1_30default_config_static_selectorELNS0_4arch9wavefront6targetE0EEEvSY_
; %bb.0:
	.section	.rodata,"a",@progbits
	.p2align	6, 0x0
	.amdhsa_kernel _ZN7rocprim17ROCPRIM_400000_NS6detail17trampoline_kernelINS0_13select_configILj256ELj13ELNS0_17block_load_methodE3ELS4_3ELS4_3ELNS0_20block_scan_algorithmE0ELj4294967295EEENS1_25partition_config_selectorILNS1_17partition_subalgoE3EjNS0_10empty_typeEbEEZZNS1_14partition_implILS8_3ELb0ES6_jNS0_17counting_iteratorIjlEEPS9_SE_NS0_5tupleIJPjSE_EEENSF_IJSE_SE_EEES9_SG_JZNS1_25segmented_radix_sort_implINS0_14default_configELb1EPKbPbPKlPlN2at6native12_GLOBAL__N_18offset_tEEE10hipError_tPvRmT1_PNSt15iterator_traitsISY_E10value_typeET2_T3_PNSZ_IS14_E10value_typeET4_jRbjT5_S1A_jjP12ihipStream_tbEUljE_EEESV_SW_SX_S14_S18_S1A_T6_T7_T9_mT8_S1C_bDpT10_ENKUlT_T0_E_clISt17integral_constantIbLb0EES1P_EEDaS1K_S1L_EUlS1K_E_NS1_11comp_targetILNS1_3genE3ELNS1_11target_archE908ELNS1_3gpuE7ELNS1_3repE0EEENS1_30default_config_static_selectorELNS0_4arch9wavefront6targetE0EEEvSY_
		.amdhsa_group_segment_fixed_size 0
		.amdhsa_private_segment_fixed_size 0
		.amdhsa_kernarg_size 144
		.amdhsa_user_sgpr_count 6
		.amdhsa_user_sgpr_private_segment_buffer 1
		.amdhsa_user_sgpr_dispatch_ptr 0
		.amdhsa_user_sgpr_queue_ptr 0
		.amdhsa_user_sgpr_kernarg_segment_ptr 1
		.amdhsa_user_sgpr_dispatch_id 0
		.amdhsa_user_sgpr_flat_scratch_init 0
		.amdhsa_user_sgpr_private_segment_size 0
		.amdhsa_wavefront_size32 1
		.amdhsa_uses_dynamic_stack 0
		.amdhsa_system_sgpr_private_segment_wavefront_offset 0
		.amdhsa_system_sgpr_workgroup_id_x 1
		.amdhsa_system_sgpr_workgroup_id_y 0
		.amdhsa_system_sgpr_workgroup_id_z 0
		.amdhsa_system_sgpr_workgroup_info 0
		.amdhsa_system_vgpr_workitem_id 0
		.amdhsa_next_free_vgpr 1
		.amdhsa_next_free_sgpr 1
		.amdhsa_reserve_vcc 0
		.amdhsa_reserve_flat_scratch 0
		.amdhsa_float_round_mode_32 0
		.amdhsa_float_round_mode_16_64 0
		.amdhsa_float_denorm_mode_32 3
		.amdhsa_float_denorm_mode_16_64 3
		.amdhsa_dx10_clamp 1
		.amdhsa_ieee_mode 1
		.amdhsa_fp16_overflow 0
		.amdhsa_workgroup_processor_mode 1
		.amdhsa_memory_ordered 1
		.amdhsa_forward_progress 1
		.amdhsa_shared_vgpr_count 0
		.amdhsa_exception_fp_ieee_invalid_op 0
		.amdhsa_exception_fp_denorm_src 0
		.amdhsa_exception_fp_ieee_div_zero 0
		.amdhsa_exception_fp_ieee_overflow 0
		.amdhsa_exception_fp_ieee_underflow 0
		.amdhsa_exception_fp_ieee_inexact 0
		.amdhsa_exception_int_div_zero 0
	.end_amdhsa_kernel
	.section	.text._ZN7rocprim17ROCPRIM_400000_NS6detail17trampoline_kernelINS0_13select_configILj256ELj13ELNS0_17block_load_methodE3ELS4_3ELS4_3ELNS0_20block_scan_algorithmE0ELj4294967295EEENS1_25partition_config_selectorILNS1_17partition_subalgoE3EjNS0_10empty_typeEbEEZZNS1_14partition_implILS8_3ELb0ES6_jNS0_17counting_iteratorIjlEEPS9_SE_NS0_5tupleIJPjSE_EEENSF_IJSE_SE_EEES9_SG_JZNS1_25segmented_radix_sort_implINS0_14default_configELb1EPKbPbPKlPlN2at6native12_GLOBAL__N_18offset_tEEE10hipError_tPvRmT1_PNSt15iterator_traitsISY_E10value_typeET2_T3_PNSZ_IS14_E10value_typeET4_jRbjT5_S1A_jjP12ihipStream_tbEUljE_EEESV_SW_SX_S14_S18_S1A_T6_T7_T9_mT8_S1C_bDpT10_ENKUlT_T0_E_clISt17integral_constantIbLb0EES1P_EEDaS1K_S1L_EUlS1K_E_NS1_11comp_targetILNS1_3genE3ELNS1_11target_archE908ELNS1_3gpuE7ELNS1_3repE0EEENS1_30default_config_static_selectorELNS0_4arch9wavefront6targetE0EEEvSY_,"axG",@progbits,_ZN7rocprim17ROCPRIM_400000_NS6detail17trampoline_kernelINS0_13select_configILj256ELj13ELNS0_17block_load_methodE3ELS4_3ELS4_3ELNS0_20block_scan_algorithmE0ELj4294967295EEENS1_25partition_config_selectorILNS1_17partition_subalgoE3EjNS0_10empty_typeEbEEZZNS1_14partition_implILS8_3ELb0ES6_jNS0_17counting_iteratorIjlEEPS9_SE_NS0_5tupleIJPjSE_EEENSF_IJSE_SE_EEES9_SG_JZNS1_25segmented_radix_sort_implINS0_14default_configELb1EPKbPbPKlPlN2at6native12_GLOBAL__N_18offset_tEEE10hipError_tPvRmT1_PNSt15iterator_traitsISY_E10value_typeET2_T3_PNSZ_IS14_E10value_typeET4_jRbjT5_S1A_jjP12ihipStream_tbEUljE_EEESV_SW_SX_S14_S18_S1A_T6_T7_T9_mT8_S1C_bDpT10_ENKUlT_T0_E_clISt17integral_constantIbLb0EES1P_EEDaS1K_S1L_EUlS1K_E_NS1_11comp_targetILNS1_3genE3ELNS1_11target_archE908ELNS1_3gpuE7ELNS1_3repE0EEENS1_30default_config_static_selectorELNS0_4arch9wavefront6targetE0EEEvSY_,comdat
.Lfunc_end1495:
	.size	_ZN7rocprim17ROCPRIM_400000_NS6detail17trampoline_kernelINS0_13select_configILj256ELj13ELNS0_17block_load_methodE3ELS4_3ELS4_3ELNS0_20block_scan_algorithmE0ELj4294967295EEENS1_25partition_config_selectorILNS1_17partition_subalgoE3EjNS0_10empty_typeEbEEZZNS1_14partition_implILS8_3ELb0ES6_jNS0_17counting_iteratorIjlEEPS9_SE_NS0_5tupleIJPjSE_EEENSF_IJSE_SE_EEES9_SG_JZNS1_25segmented_radix_sort_implINS0_14default_configELb1EPKbPbPKlPlN2at6native12_GLOBAL__N_18offset_tEEE10hipError_tPvRmT1_PNSt15iterator_traitsISY_E10value_typeET2_T3_PNSZ_IS14_E10value_typeET4_jRbjT5_S1A_jjP12ihipStream_tbEUljE_EEESV_SW_SX_S14_S18_S1A_T6_T7_T9_mT8_S1C_bDpT10_ENKUlT_T0_E_clISt17integral_constantIbLb0EES1P_EEDaS1K_S1L_EUlS1K_E_NS1_11comp_targetILNS1_3genE3ELNS1_11target_archE908ELNS1_3gpuE7ELNS1_3repE0EEENS1_30default_config_static_selectorELNS0_4arch9wavefront6targetE0EEEvSY_, .Lfunc_end1495-_ZN7rocprim17ROCPRIM_400000_NS6detail17trampoline_kernelINS0_13select_configILj256ELj13ELNS0_17block_load_methodE3ELS4_3ELS4_3ELNS0_20block_scan_algorithmE0ELj4294967295EEENS1_25partition_config_selectorILNS1_17partition_subalgoE3EjNS0_10empty_typeEbEEZZNS1_14partition_implILS8_3ELb0ES6_jNS0_17counting_iteratorIjlEEPS9_SE_NS0_5tupleIJPjSE_EEENSF_IJSE_SE_EEES9_SG_JZNS1_25segmented_radix_sort_implINS0_14default_configELb1EPKbPbPKlPlN2at6native12_GLOBAL__N_18offset_tEEE10hipError_tPvRmT1_PNSt15iterator_traitsISY_E10value_typeET2_T3_PNSZ_IS14_E10value_typeET4_jRbjT5_S1A_jjP12ihipStream_tbEUljE_EEESV_SW_SX_S14_S18_S1A_T6_T7_T9_mT8_S1C_bDpT10_ENKUlT_T0_E_clISt17integral_constantIbLb0EES1P_EEDaS1K_S1L_EUlS1K_E_NS1_11comp_targetILNS1_3genE3ELNS1_11target_archE908ELNS1_3gpuE7ELNS1_3repE0EEENS1_30default_config_static_selectorELNS0_4arch9wavefront6targetE0EEEvSY_
                                        ; -- End function
	.set _ZN7rocprim17ROCPRIM_400000_NS6detail17trampoline_kernelINS0_13select_configILj256ELj13ELNS0_17block_load_methodE3ELS4_3ELS4_3ELNS0_20block_scan_algorithmE0ELj4294967295EEENS1_25partition_config_selectorILNS1_17partition_subalgoE3EjNS0_10empty_typeEbEEZZNS1_14partition_implILS8_3ELb0ES6_jNS0_17counting_iteratorIjlEEPS9_SE_NS0_5tupleIJPjSE_EEENSF_IJSE_SE_EEES9_SG_JZNS1_25segmented_radix_sort_implINS0_14default_configELb1EPKbPbPKlPlN2at6native12_GLOBAL__N_18offset_tEEE10hipError_tPvRmT1_PNSt15iterator_traitsISY_E10value_typeET2_T3_PNSZ_IS14_E10value_typeET4_jRbjT5_S1A_jjP12ihipStream_tbEUljE_EEESV_SW_SX_S14_S18_S1A_T6_T7_T9_mT8_S1C_bDpT10_ENKUlT_T0_E_clISt17integral_constantIbLb0EES1P_EEDaS1K_S1L_EUlS1K_E_NS1_11comp_targetILNS1_3genE3ELNS1_11target_archE908ELNS1_3gpuE7ELNS1_3repE0EEENS1_30default_config_static_selectorELNS0_4arch9wavefront6targetE0EEEvSY_.num_vgpr, 0
	.set _ZN7rocprim17ROCPRIM_400000_NS6detail17trampoline_kernelINS0_13select_configILj256ELj13ELNS0_17block_load_methodE3ELS4_3ELS4_3ELNS0_20block_scan_algorithmE0ELj4294967295EEENS1_25partition_config_selectorILNS1_17partition_subalgoE3EjNS0_10empty_typeEbEEZZNS1_14partition_implILS8_3ELb0ES6_jNS0_17counting_iteratorIjlEEPS9_SE_NS0_5tupleIJPjSE_EEENSF_IJSE_SE_EEES9_SG_JZNS1_25segmented_radix_sort_implINS0_14default_configELb1EPKbPbPKlPlN2at6native12_GLOBAL__N_18offset_tEEE10hipError_tPvRmT1_PNSt15iterator_traitsISY_E10value_typeET2_T3_PNSZ_IS14_E10value_typeET4_jRbjT5_S1A_jjP12ihipStream_tbEUljE_EEESV_SW_SX_S14_S18_S1A_T6_T7_T9_mT8_S1C_bDpT10_ENKUlT_T0_E_clISt17integral_constantIbLb0EES1P_EEDaS1K_S1L_EUlS1K_E_NS1_11comp_targetILNS1_3genE3ELNS1_11target_archE908ELNS1_3gpuE7ELNS1_3repE0EEENS1_30default_config_static_selectorELNS0_4arch9wavefront6targetE0EEEvSY_.num_agpr, 0
	.set _ZN7rocprim17ROCPRIM_400000_NS6detail17trampoline_kernelINS0_13select_configILj256ELj13ELNS0_17block_load_methodE3ELS4_3ELS4_3ELNS0_20block_scan_algorithmE0ELj4294967295EEENS1_25partition_config_selectorILNS1_17partition_subalgoE3EjNS0_10empty_typeEbEEZZNS1_14partition_implILS8_3ELb0ES6_jNS0_17counting_iteratorIjlEEPS9_SE_NS0_5tupleIJPjSE_EEENSF_IJSE_SE_EEES9_SG_JZNS1_25segmented_radix_sort_implINS0_14default_configELb1EPKbPbPKlPlN2at6native12_GLOBAL__N_18offset_tEEE10hipError_tPvRmT1_PNSt15iterator_traitsISY_E10value_typeET2_T3_PNSZ_IS14_E10value_typeET4_jRbjT5_S1A_jjP12ihipStream_tbEUljE_EEESV_SW_SX_S14_S18_S1A_T6_T7_T9_mT8_S1C_bDpT10_ENKUlT_T0_E_clISt17integral_constantIbLb0EES1P_EEDaS1K_S1L_EUlS1K_E_NS1_11comp_targetILNS1_3genE3ELNS1_11target_archE908ELNS1_3gpuE7ELNS1_3repE0EEENS1_30default_config_static_selectorELNS0_4arch9wavefront6targetE0EEEvSY_.numbered_sgpr, 0
	.set _ZN7rocprim17ROCPRIM_400000_NS6detail17trampoline_kernelINS0_13select_configILj256ELj13ELNS0_17block_load_methodE3ELS4_3ELS4_3ELNS0_20block_scan_algorithmE0ELj4294967295EEENS1_25partition_config_selectorILNS1_17partition_subalgoE3EjNS0_10empty_typeEbEEZZNS1_14partition_implILS8_3ELb0ES6_jNS0_17counting_iteratorIjlEEPS9_SE_NS0_5tupleIJPjSE_EEENSF_IJSE_SE_EEES9_SG_JZNS1_25segmented_radix_sort_implINS0_14default_configELb1EPKbPbPKlPlN2at6native12_GLOBAL__N_18offset_tEEE10hipError_tPvRmT1_PNSt15iterator_traitsISY_E10value_typeET2_T3_PNSZ_IS14_E10value_typeET4_jRbjT5_S1A_jjP12ihipStream_tbEUljE_EEESV_SW_SX_S14_S18_S1A_T6_T7_T9_mT8_S1C_bDpT10_ENKUlT_T0_E_clISt17integral_constantIbLb0EES1P_EEDaS1K_S1L_EUlS1K_E_NS1_11comp_targetILNS1_3genE3ELNS1_11target_archE908ELNS1_3gpuE7ELNS1_3repE0EEENS1_30default_config_static_selectorELNS0_4arch9wavefront6targetE0EEEvSY_.num_named_barrier, 0
	.set _ZN7rocprim17ROCPRIM_400000_NS6detail17trampoline_kernelINS0_13select_configILj256ELj13ELNS0_17block_load_methodE3ELS4_3ELS4_3ELNS0_20block_scan_algorithmE0ELj4294967295EEENS1_25partition_config_selectorILNS1_17partition_subalgoE3EjNS0_10empty_typeEbEEZZNS1_14partition_implILS8_3ELb0ES6_jNS0_17counting_iteratorIjlEEPS9_SE_NS0_5tupleIJPjSE_EEENSF_IJSE_SE_EEES9_SG_JZNS1_25segmented_radix_sort_implINS0_14default_configELb1EPKbPbPKlPlN2at6native12_GLOBAL__N_18offset_tEEE10hipError_tPvRmT1_PNSt15iterator_traitsISY_E10value_typeET2_T3_PNSZ_IS14_E10value_typeET4_jRbjT5_S1A_jjP12ihipStream_tbEUljE_EEESV_SW_SX_S14_S18_S1A_T6_T7_T9_mT8_S1C_bDpT10_ENKUlT_T0_E_clISt17integral_constantIbLb0EES1P_EEDaS1K_S1L_EUlS1K_E_NS1_11comp_targetILNS1_3genE3ELNS1_11target_archE908ELNS1_3gpuE7ELNS1_3repE0EEENS1_30default_config_static_selectorELNS0_4arch9wavefront6targetE0EEEvSY_.private_seg_size, 0
	.set _ZN7rocprim17ROCPRIM_400000_NS6detail17trampoline_kernelINS0_13select_configILj256ELj13ELNS0_17block_load_methodE3ELS4_3ELS4_3ELNS0_20block_scan_algorithmE0ELj4294967295EEENS1_25partition_config_selectorILNS1_17partition_subalgoE3EjNS0_10empty_typeEbEEZZNS1_14partition_implILS8_3ELb0ES6_jNS0_17counting_iteratorIjlEEPS9_SE_NS0_5tupleIJPjSE_EEENSF_IJSE_SE_EEES9_SG_JZNS1_25segmented_radix_sort_implINS0_14default_configELb1EPKbPbPKlPlN2at6native12_GLOBAL__N_18offset_tEEE10hipError_tPvRmT1_PNSt15iterator_traitsISY_E10value_typeET2_T3_PNSZ_IS14_E10value_typeET4_jRbjT5_S1A_jjP12ihipStream_tbEUljE_EEESV_SW_SX_S14_S18_S1A_T6_T7_T9_mT8_S1C_bDpT10_ENKUlT_T0_E_clISt17integral_constantIbLb0EES1P_EEDaS1K_S1L_EUlS1K_E_NS1_11comp_targetILNS1_3genE3ELNS1_11target_archE908ELNS1_3gpuE7ELNS1_3repE0EEENS1_30default_config_static_selectorELNS0_4arch9wavefront6targetE0EEEvSY_.uses_vcc, 0
	.set _ZN7rocprim17ROCPRIM_400000_NS6detail17trampoline_kernelINS0_13select_configILj256ELj13ELNS0_17block_load_methodE3ELS4_3ELS4_3ELNS0_20block_scan_algorithmE0ELj4294967295EEENS1_25partition_config_selectorILNS1_17partition_subalgoE3EjNS0_10empty_typeEbEEZZNS1_14partition_implILS8_3ELb0ES6_jNS0_17counting_iteratorIjlEEPS9_SE_NS0_5tupleIJPjSE_EEENSF_IJSE_SE_EEES9_SG_JZNS1_25segmented_radix_sort_implINS0_14default_configELb1EPKbPbPKlPlN2at6native12_GLOBAL__N_18offset_tEEE10hipError_tPvRmT1_PNSt15iterator_traitsISY_E10value_typeET2_T3_PNSZ_IS14_E10value_typeET4_jRbjT5_S1A_jjP12ihipStream_tbEUljE_EEESV_SW_SX_S14_S18_S1A_T6_T7_T9_mT8_S1C_bDpT10_ENKUlT_T0_E_clISt17integral_constantIbLb0EES1P_EEDaS1K_S1L_EUlS1K_E_NS1_11comp_targetILNS1_3genE3ELNS1_11target_archE908ELNS1_3gpuE7ELNS1_3repE0EEENS1_30default_config_static_selectorELNS0_4arch9wavefront6targetE0EEEvSY_.uses_flat_scratch, 0
	.set _ZN7rocprim17ROCPRIM_400000_NS6detail17trampoline_kernelINS0_13select_configILj256ELj13ELNS0_17block_load_methodE3ELS4_3ELS4_3ELNS0_20block_scan_algorithmE0ELj4294967295EEENS1_25partition_config_selectorILNS1_17partition_subalgoE3EjNS0_10empty_typeEbEEZZNS1_14partition_implILS8_3ELb0ES6_jNS0_17counting_iteratorIjlEEPS9_SE_NS0_5tupleIJPjSE_EEENSF_IJSE_SE_EEES9_SG_JZNS1_25segmented_radix_sort_implINS0_14default_configELb1EPKbPbPKlPlN2at6native12_GLOBAL__N_18offset_tEEE10hipError_tPvRmT1_PNSt15iterator_traitsISY_E10value_typeET2_T3_PNSZ_IS14_E10value_typeET4_jRbjT5_S1A_jjP12ihipStream_tbEUljE_EEESV_SW_SX_S14_S18_S1A_T6_T7_T9_mT8_S1C_bDpT10_ENKUlT_T0_E_clISt17integral_constantIbLb0EES1P_EEDaS1K_S1L_EUlS1K_E_NS1_11comp_targetILNS1_3genE3ELNS1_11target_archE908ELNS1_3gpuE7ELNS1_3repE0EEENS1_30default_config_static_selectorELNS0_4arch9wavefront6targetE0EEEvSY_.has_dyn_sized_stack, 0
	.set _ZN7rocprim17ROCPRIM_400000_NS6detail17trampoline_kernelINS0_13select_configILj256ELj13ELNS0_17block_load_methodE3ELS4_3ELS4_3ELNS0_20block_scan_algorithmE0ELj4294967295EEENS1_25partition_config_selectorILNS1_17partition_subalgoE3EjNS0_10empty_typeEbEEZZNS1_14partition_implILS8_3ELb0ES6_jNS0_17counting_iteratorIjlEEPS9_SE_NS0_5tupleIJPjSE_EEENSF_IJSE_SE_EEES9_SG_JZNS1_25segmented_radix_sort_implINS0_14default_configELb1EPKbPbPKlPlN2at6native12_GLOBAL__N_18offset_tEEE10hipError_tPvRmT1_PNSt15iterator_traitsISY_E10value_typeET2_T3_PNSZ_IS14_E10value_typeET4_jRbjT5_S1A_jjP12ihipStream_tbEUljE_EEESV_SW_SX_S14_S18_S1A_T6_T7_T9_mT8_S1C_bDpT10_ENKUlT_T0_E_clISt17integral_constantIbLb0EES1P_EEDaS1K_S1L_EUlS1K_E_NS1_11comp_targetILNS1_3genE3ELNS1_11target_archE908ELNS1_3gpuE7ELNS1_3repE0EEENS1_30default_config_static_selectorELNS0_4arch9wavefront6targetE0EEEvSY_.has_recursion, 0
	.set _ZN7rocprim17ROCPRIM_400000_NS6detail17trampoline_kernelINS0_13select_configILj256ELj13ELNS0_17block_load_methodE3ELS4_3ELS4_3ELNS0_20block_scan_algorithmE0ELj4294967295EEENS1_25partition_config_selectorILNS1_17partition_subalgoE3EjNS0_10empty_typeEbEEZZNS1_14partition_implILS8_3ELb0ES6_jNS0_17counting_iteratorIjlEEPS9_SE_NS0_5tupleIJPjSE_EEENSF_IJSE_SE_EEES9_SG_JZNS1_25segmented_radix_sort_implINS0_14default_configELb1EPKbPbPKlPlN2at6native12_GLOBAL__N_18offset_tEEE10hipError_tPvRmT1_PNSt15iterator_traitsISY_E10value_typeET2_T3_PNSZ_IS14_E10value_typeET4_jRbjT5_S1A_jjP12ihipStream_tbEUljE_EEESV_SW_SX_S14_S18_S1A_T6_T7_T9_mT8_S1C_bDpT10_ENKUlT_T0_E_clISt17integral_constantIbLb0EES1P_EEDaS1K_S1L_EUlS1K_E_NS1_11comp_targetILNS1_3genE3ELNS1_11target_archE908ELNS1_3gpuE7ELNS1_3repE0EEENS1_30default_config_static_selectorELNS0_4arch9wavefront6targetE0EEEvSY_.has_indirect_call, 0
	.section	.AMDGPU.csdata,"",@progbits
; Kernel info:
; codeLenInByte = 0
; TotalNumSgprs: 0
; NumVgprs: 0
; ScratchSize: 0
; MemoryBound: 0
; FloatMode: 240
; IeeeMode: 1
; LDSByteSize: 0 bytes/workgroup (compile time only)
; SGPRBlocks: 0
; VGPRBlocks: 0
; NumSGPRsForWavesPerEU: 1
; NumVGPRsForWavesPerEU: 1
; Occupancy: 16
; WaveLimiterHint : 0
; COMPUTE_PGM_RSRC2:SCRATCH_EN: 0
; COMPUTE_PGM_RSRC2:USER_SGPR: 6
; COMPUTE_PGM_RSRC2:TRAP_HANDLER: 0
; COMPUTE_PGM_RSRC2:TGID_X_EN: 1
; COMPUTE_PGM_RSRC2:TGID_Y_EN: 0
; COMPUTE_PGM_RSRC2:TGID_Z_EN: 0
; COMPUTE_PGM_RSRC2:TIDIG_COMP_CNT: 0
	.section	.text._ZN7rocprim17ROCPRIM_400000_NS6detail17trampoline_kernelINS0_13select_configILj256ELj13ELNS0_17block_load_methodE3ELS4_3ELS4_3ELNS0_20block_scan_algorithmE0ELj4294967295EEENS1_25partition_config_selectorILNS1_17partition_subalgoE3EjNS0_10empty_typeEbEEZZNS1_14partition_implILS8_3ELb0ES6_jNS0_17counting_iteratorIjlEEPS9_SE_NS0_5tupleIJPjSE_EEENSF_IJSE_SE_EEES9_SG_JZNS1_25segmented_radix_sort_implINS0_14default_configELb1EPKbPbPKlPlN2at6native12_GLOBAL__N_18offset_tEEE10hipError_tPvRmT1_PNSt15iterator_traitsISY_E10value_typeET2_T3_PNSZ_IS14_E10value_typeET4_jRbjT5_S1A_jjP12ihipStream_tbEUljE_EEESV_SW_SX_S14_S18_S1A_T6_T7_T9_mT8_S1C_bDpT10_ENKUlT_T0_E_clISt17integral_constantIbLb0EES1P_EEDaS1K_S1L_EUlS1K_E_NS1_11comp_targetILNS1_3genE2ELNS1_11target_archE906ELNS1_3gpuE6ELNS1_3repE0EEENS1_30default_config_static_selectorELNS0_4arch9wavefront6targetE0EEEvSY_,"axG",@progbits,_ZN7rocprim17ROCPRIM_400000_NS6detail17trampoline_kernelINS0_13select_configILj256ELj13ELNS0_17block_load_methodE3ELS4_3ELS4_3ELNS0_20block_scan_algorithmE0ELj4294967295EEENS1_25partition_config_selectorILNS1_17partition_subalgoE3EjNS0_10empty_typeEbEEZZNS1_14partition_implILS8_3ELb0ES6_jNS0_17counting_iteratorIjlEEPS9_SE_NS0_5tupleIJPjSE_EEENSF_IJSE_SE_EEES9_SG_JZNS1_25segmented_radix_sort_implINS0_14default_configELb1EPKbPbPKlPlN2at6native12_GLOBAL__N_18offset_tEEE10hipError_tPvRmT1_PNSt15iterator_traitsISY_E10value_typeET2_T3_PNSZ_IS14_E10value_typeET4_jRbjT5_S1A_jjP12ihipStream_tbEUljE_EEESV_SW_SX_S14_S18_S1A_T6_T7_T9_mT8_S1C_bDpT10_ENKUlT_T0_E_clISt17integral_constantIbLb0EES1P_EEDaS1K_S1L_EUlS1K_E_NS1_11comp_targetILNS1_3genE2ELNS1_11target_archE906ELNS1_3gpuE6ELNS1_3repE0EEENS1_30default_config_static_selectorELNS0_4arch9wavefront6targetE0EEEvSY_,comdat
	.globl	_ZN7rocprim17ROCPRIM_400000_NS6detail17trampoline_kernelINS0_13select_configILj256ELj13ELNS0_17block_load_methodE3ELS4_3ELS4_3ELNS0_20block_scan_algorithmE0ELj4294967295EEENS1_25partition_config_selectorILNS1_17partition_subalgoE3EjNS0_10empty_typeEbEEZZNS1_14partition_implILS8_3ELb0ES6_jNS0_17counting_iteratorIjlEEPS9_SE_NS0_5tupleIJPjSE_EEENSF_IJSE_SE_EEES9_SG_JZNS1_25segmented_radix_sort_implINS0_14default_configELb1EPKbPbPKlPlN2at6native12_GLOBAL__N_18offset_tEEE10hipError_tPvRmT1_PNSt15iterator_traitsISY_E10value_typeET2_T3_PNSZ_IS14_E10value_typeET4_jRbjT5_S1A_jjP12ihipStream_tbEUljE_EEESV_SW_SX_S14_S18_S1A_T6_T7_T9_mT8_S1C_bDpT10_ENKUlT_T0_E_clISt17integral_constantIbLb0EES1P_EEDaS1K_S1L_EUlS1K_E_NS1_11comp_targetILNS1_3genE2ELNS1_11target_archE906ELNS1_3gpuE6ELNS1_3repE0EEENS1_30default_config_static_selectorELNS0_4arch9wavefront6targetE0EEEvSY_ ; -- Begin function _ZN7rocprim17ROCPRIM_400000_NS6detail17trampoline_kernelINS0_13select_configILj256ELj13ELNS0_17block_load_methodE3ELS4_3ELS4_3ELNS0_20block_scan_algorithmE0ELj4294967295EEENS1_25partition_config_selectorILNS1_17partition_subalgoE3EjNS0_10empty_typeEbEEZZNS1_14partition_implILS8_3ELb0ES6_jNS0_17counting_iteratorIjlEEPS9_SE_NS0_5tupleIJPjSE_EEENSF_IJSE_SE_EEES9_SG_JZNS1_25segmented_radix_sort_implINS0_14default_configELb1EPKbPbPKlPlN2at6native12_GLOBAL__N_18offset_tEEE10hipError_tPvRmT1_PNSt15iterator_traitsISY_E10value_typeET2_T3_PNSZ_IS14_E10value_typeET4_jRbjT5_S1A_jjP12ihipStream_tbEUljE_EEESV_SW_SX_S14_S18_S1A_T6_T7_T9_mT8_S1C_bDpT10_ENKUlT_T0_E_clISt17integral_constantIbLb0EES1P_EEDaS1K_S1L_EUlS1K_E_NS1_11comp_targetILNS1_3genE2ELNS1_11target_archE906ELNS1_3gpuE6ELNS1_3repE0EEENS1_30default_config_static_selectorELNS0_4arch9wavefront6targetE0EEEvSY_
	.p2align	8
	.type	_ZN7rocprim17ROCPRIM_400000_NS6detail17trampoline_kernelINS0_13select_configILj256ELj13ELNS0_17block_load_methodE3ELS4_3ELS4_3ELNS0_20block_scan_algorithmE0ELj4294967295EEENS1_25partition_config_selectorILNS1_17partition_subalgoE3EjNS0_10empty_typeEbEEZZNS1_14partition_implILS8_3ELb0ES6_jNS0_17counting_iteratorIjlEEPS9_SE_NS0_5tupleIJPjSE_EEENSF_IJSE_SE_EEES9_SG_JZNS1_25segmented_radix_sort_implINS0_14default_configELb1EPKbPbPKlPlN2at6native12_GLOBAL__N_18offset_tEEE10hipError_tPvRmT1_PNSt15iterator_traitsISY_E10value_typeET2_T3_PNSZ_IS14_E10value_typeET4_jRbjT5_S1A_jjP12ihipStream_tbEUljE_EEESV_SW_SX_S14_S18_S1A_T6_T7_T9_mT8_S1C_bDpT10_ENKUlT_T0_E_clISt17integral_constantIbLb0EES1P_EEDaS1K_S1L_EUlS1K_E_NS1_11comp_targetILNS1_3genE2ELNS1_11target_archE906ELNS1_3gpuE6ELNS1_3repE0EEENS1_30default_config_static_selectorELNS0_4arch9wavefront6targetE0EEEvSY_,@function
_ZN7rocprim17ROCPRIM_400000_NS6detail17trampoline_kernelINS0_13select_configILj256ELj13ELNS0_17block_load_methodE3ELS4_3ELS4_3ELNS0_20block_scan_algorithmE0ELj4294967295EEENS1_25partition_config_selectorILNS1_17partition_subalgoE3EjNS0_10empty_typeEbEEZZNS1_14partition_implILS8_3ELb0ES6_jNS0_17counting_iteratorIjlEEPS9_SE_NS0_5tupleIJPjSE_EEENSF_IJSE_SE_EEES9_SG_JZNS1_25segmented_radix_sort_implINS0_14default_configELb1EPKbPbPKlPlN2at6native12_GLOBAL__N_18offset_tEEE10hipError_tPvRmT1_PNSt15iterator_traitsISY_E10value_typeET2_T3_PNSZ_IS14_E10value_typeET4_jRbjT5_S1A_jjP12ihipStream_tbEUljE_EEESV_SW_SX_S14_S18_S1A_T6_T7_T9_mT8_S1C_bDpT10_ENKUlT_T0_E_clISt17integral_constantIbLb0EES1P_EEDaS1K_S1L_EUlS1K_E_NS1_11comp_targetILNS1_3genE2ELNS1_11target_archE906ELNS1_3gpuE6ELNS1_3repE0EEENS1_30default_config_static_selectorELNS0_4arch9wavefront6targetE0EEEvSY_: ; @_ZN7rocprim17ROCPRIM_400000_NS6detail17trampoline_kernelINS0_13select_configILj256ELj13ELNS0_17block_load_methodE3ELS4_3ELS4_3ELNS0_20block_scan_algorithmE0ELj4294967295EEENS1_25partition_config_selectorILNS1_17partition_subalgoE3EjNS0_10empty_typeEbEEZZNS1_14partition_implILS8_3ELb0ES6_jNS0_17counting_iteratorIjlEEPS9_SE_NS0_5tupleIJPjSE_EEENSF_IJSE_SE_EEES9_SG_JZNS1_25segmented_radix_sort_implINS0_14default_configELb1EPKbPbPKlPlN2at6native12_GLOBAL__N_18offset_tEEE10hipError_tPvRmT1_PNSt15iterator_traitsISY_E10value_typeET2_T3_PNSZ_IS14_E10value_typeET4_jRbjT5_S1A_jjP12ihipStream_tbEUljE_EEESV_SW_SX_S14_S18_S1A_T6_T7_T9_mT8_S1C_bDpT10_ENKUlT_T0_E_clISt17integral_constantIbLb0EES1P_EEDaS1K_S1L_EUlS1K_E_NS1_11comp_targetILNS1_3genE2ELNS1_11target_archE906ELNS1_3gpuE6ELNS1_3repE0EEENS1_30default_config_static_selectorELNS0_4arch9wavefront6targetE0EEEvSY_
; %bb.0:
	.section	.rodata,"a",@progbits
	.p2align	6, 0x0
	.amdhsa_kernel _ZN7rocprim17ROCPRIM_400000_NS6detail17trampoline_kernelINS0_13select_configILj256ELj13ELNS0_17block_load_methodE3ELS4_3ELS4_3ELNS0_20block_scan_algorithmE0ELj4294967295EEENS1_25partition_config_selectorILNS1_17partition_subalgoE3EjNS0_10empty_typeEbEEZZNS1_14partition_implILS8_3ELb0ES6_jNS0_17counting_iteratorIjlEEPS9_SE_NS0_5tupleIJPjSE_EEENSF_IJSE_SE_EEES9_SG_JZNS1_25segmented_radix_sort_implINS0_14default_configELb1EPKbPbPKlPlN2at6native12_GLOBAL__N_18offset_tEEE10hipError_tPvRmT1_PNSt15iterator_traitsISY_E10value_typeET2_T3_PNSZ_IS14_E10value_typeET4_jRbjT5_S1A_jjP12ihipStream_tbEUljE_EEESV_SW_SX_S14_S18_S1A_T6_T7_T9_mT8_S1C_bDpT10_ENKUlT_T0_E_clISt17integral_constantIbLb0EES1P_EEDaS1K_S1L_EUlS1K_E_NS1_11comp_targetILNS1_3genE2ELNS1_11target_archE906ELNS1_3gpuE6ELNS1_3repE0EEENS1_30default_config_static_selectorELNS0_4arch9wavefront6targetE0EEEvSY_
		.amdhsa_group_segment_fixed_size 0
		.amdhsa_private_segment_fixed_size 0
		.amdhsa_kernarg_size 144
		.amdhsa_user_sgpr_count 6
		.amdhsa_user_sgpr_private_segment_buffer 1
		.amdhsa_user_sgpr_dispatch_ptr 0
		.amdhsa_user_sgpr_queue_ptr 0
		.amdhsa_user_sgpr_kernarg_segment_ptr 1
		.amdhsa_user_sgpr_dispatch_id 0
		.amdhsa_user_sgpr_flat_scratch_init 0
		.amdhsa_user_sgpr_private_segment_size 0
		.amdhsa_wavefront_size32 1
		.amdhsa_uses_dynamic_stack 0
		.amdhsa_system_sgpr_private_segment_wavefront_offset 0
		.amdhsa_system_sgpr_workgroup_id_x 1
		.amdhsa_system_sgpr_workgroup_id_y 0
		.amdhsa_system_sgpr_workgroup_id_z 0
		.amdhsa_system_sgpr_workgroup_info 0
		.amdhsa_system_vgpr_workitem_id 0
		.amdhsa_next_free_vgpr 1
		.amdhsa_next_free_sgpr 1
		.amdhsa_reserve_vcc 0
		.amdhsa_reserve_flat_scratch 0
		.amdhsa_float_round_mode_32 0
		.amdhsa_float_round_mode_16_64 0
		.amdhsa_float_denorm_mode_32 3
		.amdhsa_float_denorm_mode_16_64 3
		.amdhsa_dx10_clamp 1
		.amdhsa_ieee_mode 1
		.amdhsa_fp16_overflow 0
		.amdhsa_workgroup_processor_mode 1
		.amdhsa_memory_ordered 1
		.amdhsa_forward_progress 1
		.amdhsa_shared_vgpr_count 0
		.amdhsa_exception_fp_ieee_invalid_op 0
		.amdhsa_exception_fp_denorm_src 0
		.amdhsa_exception_fp_ieee_div_zero 0
		.amdhsa_exception_fp_ieee_overflow 0
		.amdhsa_exception_fp_ieee_underflow 0
		.amdhsa_exception_fp_ieee_inexact 0
		.amdhsa_exception_int_div_zero 0
	.end_amdhsa_kernel
	.section	.text._ZN7rocprim17ROCPRIM_400000_NS6detail17trampoline_kernelINS0_13select_configILj256ELj13ELNS0_17block_load_methodE3ELS4_3ELS4_3ELNS0_20block_scan_algorithmE0ELj4294967295EEENS1_25partition_config_selectorILNS1_17partition_subalgoE3EjNS0_10empty_typeEbEEZZNS1_14partition_implILS8_3ELb0ES6_jNS0_17counting_iteratorIjlEEPS9_SE_NS0_5tupleIJPjSE_EEENSF_IJSE_SE_EEES9_SG_JZNS1_25segmented_radix_sort_implINS0_14default_configELb1EPKbPbPKlPlN2at6native12_GLOBAL__N_18offset_tEEE10hipError_tPvRmT1_PNSt15iterator_traitsISY_E10value_typeET2_T3_PNSZ_IS14_E10value_typeET4_jRbjT5_S1A_jjP12ihipStream_tbEUljE_EEESV_SW_SX_S14_S18_S1A_T6_T7_T9_mT8_S1C_bDpT10_ENKUlT_T0_E_clISt17integral_constantIbLb0EES1P_EEDaS1K_S1L_EUlS1K_E_NS1_11comp_targetILNS1_3genE2ELNS1_11target_archE906ELNS1_3gpuE6ELNS1_3repE0EEENS1_30default_config_static_selectorELNS0_4arch9wavefront6targetE0EEEvSY_,"axG",@progbits,_ZN7rocprim17ROCPRIM_400000_NS6detail17trampoline_kernelINS0_13select_configILj256ELj13ELNS0_17block_load_methodE3ELS4_3ELS4_3ELNS0_20block_scan_algorithmE0ELj4294967295EEENS1_25partition_config_selectorILNS1_17partition_subalgoE3EjNS0_10empty_typeEbEEZZNS1_14partition_implILS8_3ELb0ES6_jNS0_17counting_iteratorIjlEEPS9_SE_NS0_5tupleIJPjSE_EEENSF_IJSE_SE_EEES9_SG_JZNS1_25segmented_radix_sort_implINS0_14default_configELb1EPKbPbPKlPlN2at6native12_GLOBAL__N_18offset_tEEE10hipError_tPvRmT1_PNSt15iterator_traitsISY_E10value_typeET2_T3_PNSZ_IS14_E10value_typeET4_jRbjT5_S1A_jjP12ihipStream_tbEUljE_EEESV_SW_SX_S14_S18_S1A_T6_T7_T9_mT8_S1C_bDpT10_ENKUlT_T0_E_clISt17integral_constantIbLb0EES1P_EEDaS1K_S1L_EUlS1K_E_NS1_11comp_targetILNS1_3genE2ELNS1_11target_archE906ELNS1_3gpuE6ELNS1_3repE0EEENS1_30default_config_static_selectorELNS0_4arch9wavefront6targetE0EEEvSY_,comdat
.Lfunc_end1496:
	.size	_ZN7rocprim17ROCPRIM_400000_NS6detail17trampoline_kernelINS0_13select_configILj256ELj13ELNS0_17block_load_methodE3ELS4_3ELS4_3ELNS0_20block_scan_algorithmE0ELj4294967295EEENS1_25partition_config_selectorILNS1_17partition_subalgoE3EjNS0_10empty_typeEbEEZZNS1_14partition_implILS8_3ELb0ES6_jNS0_17counting_iteratorIjlEEPS9_SE_NS0_5tupleIJPjSE_EEENSF_IJSE_SE_EEES9_SG_JZNS1_25segmented_radix_sort_implINS0_14default_configELb1EPKbPbPKlPlN2at6native12_GLOBAL__N_18offset_tEEE10hipError_tPvRmT1_PNSt15iterator_traitsISY_E10value_typeET2_T3_PNSZ_IS14_E10value_typeET4_jRbjT5_S1A_jjP12ihipStream_tbEUljE_EEESV_SW_SX_S14_S18_S1A_T6_T7_T9_mT8_S1C_bDpT10_ENKUlT_T0_E_clISt17integral_constantIbLb0EES1P_EEDaS1K_S1L_EUlS1K_E_NS1_11comp_targetILNS1_3genE2ELNS1_11target_archE906ELNS1_3gpuE6ELNS1_3repE0EEENS1_30default_config_static_selectorELNS0_4arch9wavefront6targetE0EEEvSY_, .Lfunc_end1496-_ZN7rocprim17ROCPRIM_400000_NS6detail17trampoline_kernelINS0_13select_configILj256ELj13ELNS0_17block_load_methodE3ELS4_3ELS4_3ELNS0_20block_scan_algorithmE0ELj4294967295EEENS1_25partition_config_selectorILNS1_17partition_subalgoE3EjNS0_10empty_typeEbEEZZNS1_14partition_implILS8_3ELb0ES6_jNS0_17counting_iteratorIjlEEPS9_SE_NS0_5tupleIJPjSE_EEENSF_IJSE_SE_EEES9_SG_JZNS1_25segmented_radix_sort_implINS0_14default_configELb1EPKbPbPKlPlN2at6native12_GLOBAL__N_18offset_tEEE10hipError_tPvRmT1_PNSt15iterator_traitsISY_E10value_typeET2_T3_PNSZ_IS14_E10value_typeET4_jRbjT5_S1A_jjP12ihipStream_tbEUljE_EEESV_SW_SX_S14_S18_S1A_T6_T7_T9_mT8_S1C_bDpT10_ENKUlT_T0_E_clISt17integral_constantIbLb0EES1P_EEDaS1K_S1L_EUlS1K_E_NS1_11comp_targetILNS1_3genE2ELNS1_11target_archE906ELNS1_3gpuE6ELNS1_3repE0EEENS1_30default_config_static_selectorELNS0_4arch9wavefront6targetE0EEEvSY_
                                        ; -- End function
	.set _ZN7rocprim17ROCPRIM_400000_NS6detail17trampoline_kernelINS0_13select_configILj256ELj13ELNS0_17block_load_methodE3ELS4_3ELS4_3ELNS0_20block_scan_algorithmE0ELj4294967295EEENS1_25partition_config_selectorILNS1_17partition_subalgoE3EjNS0_10empty_typeEbEEZZNS1_14partition_implILS8_3ELb0ES6_jNS0_17counting_iteratorIjlEEPS9_SE_NS0_5tupleIJPjSE_EEENSF_IJSE_SE_EEES9_SG_JZNS1_25segmented_radix_sort_implINS0_14default_configELb1EPKbPbPKlPlN2at6native12_GLOBAL__N_18offset_tEEE10hipError_tPvRmT1_PNSt15iterator_traitsISY_E10value_typeET2_T3_PNSZ_IS14_E10value_typeET4_jRbjT5_S1A_jjP12ihipStream_tbEUljE_EEESV_SW_SX_S14_S18_S1A_T6_T7_T9_mT8_S1C_bDpT10_ENKUlT_T0_E_clISt17integral_constantIbLb0EES1P_EEDaS1K_S1L_EUlS1K_E_NS1_11comp_targetILNS1_3genE2ELNS1_11target_archE906ELNS1_3gpuE6ELNS1_3repE0EEENS1_30default_config_static_selectorELNS0_4arch9wavefront6targetE0EEEvSY_.num_vgpr, 0
	.set _ZN7rocprim17ROCPRIM_400000_NS6detail17trampoline_kernelINS0_13select_configILj256ELj13ELNS0_17block_load_methodE3ELS4_3ELS4_3ELNS0_20block_scan_algorithmE0ELj4294967295EEENS1_25partition_config_selectorILNS1_17partition_subalgoE3EjNS0_10empty_typeEbEEZZNS1_14partition_implILS8_3ELb0ES6_jNS0_17counting_iteratorIjlEEPS9_SE_NS0_5tupleIJPjSE_EEENSF_IJSE_SE_EEES9_SG_JZNS1_25segmented_radix_sort_implINS0_14default_configELb1EPKbPbPKlPlN2at6native12_GLOBAL__N_18offset_tEEE10hipError_tPvRmT1_PNSt15iterator_traitsISY_E10value_typeET2_T3_PNSZ_IS14_E10value_typeET4_jRbjT5_S1A_jjP12ihipStream_tbEUljE_EEESV_SW_SX_S14_S18_S1A_T6_T7_T9_mT8_S1C_bDpT10_ENKUlT_T0_E_clISt17integral_constantIbLb0EES1P_EEDaS1K_S1L_EUlS1K_E_NS1_11comp_targetILNS1_3genE2ELNS1_11target_archE906ELNS1_3gpuE6ELNS1_3repE0EEENS1_30default_config_static_selectorELNS0_4arch9wavefront6targetE0EEEvSY_.num_agpr, 0
	.set _ZN7rocprim17ROCPRIM_400000_NS6detail17trampoline_kernelINS0_13select_configILj256ELj13ELNS0_17block_load_methodE3ELS4_3ELS4_3ELNS0_20block_scan_algorithmE0ELj4294967295EEENS1_25partition_config_selectorILNS1_17partition_subalgoE3EjNS0_10empty_typeEbEEZZNS1_14partition_implILS8_3ELb0ES6_jNS0_17counting_iteratorIjlEEPS9_SE_NS0_5tupleIJPjSE_EEENSF_IJSE_SE_EEES9_SG_JZNS1_25segmented_radix_sort_implINS0_14default_configELb1EPKbPbPKlPlN2at6native12_GLOBAL__N_18offset_tEEE10hipError_tPvRmT1_PNSt15iterator_traitsISY_E10value_typeET2_T3_PNSZ_IS14_E10value_typeET4_jRbjT5_S1A_jjP12ihipStream_tbEUljE_EEESV_SW_SX_S14_S18_S1A_T6_T7_T9_mT8_S1C_bDpT10_ENKUlT_T0_E_clISt17integral_constantIbLb0EES1P_EEDaS1K_S1L_EUlS1K_E_NS1_11comp_targetILNS1_3genE2ELNS1_11target_archE906ELNS1_3gpuE6ELNS1_3repE0EEENS1_30default_config_static_selectorELNS0_4arch9wavefront6targetE0EEEvSY_.numbered_sgpr, 0
	.set _ZN7rocprim17ROCPRIM_400000_NS6detail17trampoline_kernelINS0_13select_configILj256ELj13ELNS0_17block_load_methodE3ELS4_3ELS4_3ELNS0_20block_scan_algorithmE0ELj4294967295EEENS1_25partition_config_selectorILNS1_17partition_subalgoE3EjNS0_10empty_typeEbEEZZNS1_14partition_implILS8_3ELb0ES6_jNS0_17counting_iteratorIjlEEPS9_SE_NS0_5tupleIJPjSE_EEENSF_IJSE_SE_EEES9_SG_JZNS1_25segmented_radix_sort_implINS0_14default_configELb1EPKbPbPKlPlN2at6native12_GLOBAL__N_18offset_tEEE10hipError_tPvRmT1_PNSt15iterator_traitsISY_E10value_typeET2_T3_PNSZ_IS14_E10value_typeET4_jRbjT5_S1A_jjP12ihipStream_tbEUljE_EEESV_SW_SX_S14_S18_S1A_T6_T7_T9_mT8_S1C_bDpT10_ENKUlT_T0_E_clISt17integral_constantIbLb0EES1P_EEDaS1K_S1L_EUlS1K_E_NS1_11comp_targetILNS1_3genE2ELNS1_11target_archE906ELNS1_3gpuE6ELNS1_3repE0EEENS1_30default_config_static_selectorELNS0_4arch9wavefront6targetE0EEEvSY_.num_named_barrier, 0
	.set _ZN7rocprim17ROCPRIM_400000_NS6detail17trampoline_kernelINS0_13select_configILj256ELj13ELNS0_17block_load_methodE3ELS4_3ELS4_3ELNS0_20block_scan_algorithmE0ELj4294967295EEENS1_25partition_config_selectorILNS1_17partition_subalgoE3EjNS0_10empty_typeEbEEZZNS1_14partition_implILS8_3ELb0ES6_jNS0_17counting_iteratorIjlEEPS9_SE_NS0_5tupleIJPjSE_EEENSF_IJSE_SE_EEES9_SG_JZNS1_25segmented_radix_sort_implINS0_14default_configELb1EPKbPbPKlPlN2at6native12_GLOBAL__N_18offset_tEEE10hipError_tPvRmT1_PNSt15iterator_traitsISY_E10value_typeET2_T3_PNSZ_IS14_E10value_typeET4_jRbjT5_S1A_jjP12ihipStream_tbEUljE_EEESV_SW_SX_S14_S18_S1A_T6_T7_T9_mT8_S1C_bDpT10_ENKUlT_T0_E_clISt17integral_constantIbLb0EES1P_EEDaS1K_S1L_EUlS1K_E_NS1_11comp_targetILNS1_3genE2ELNS1_11target_archE906ELNS1_3gpuE6ELNS1_3repE0EEENS1_30default_config_static_selectorELNS0_4arch9wavefront6targetE0EEEvSY_.private_seg_size, 0
	.set _ZN7rocprim17ROCPRIM_400000_NS6detail17trampoline_kernelINS0_13select_configILj256ELj13ELNS0_17block_load_methodE3ELS4_3ELS4_3ELNS0_20block_scan_algorithmE0ELj4294967295EEENS1_25partition_config_selectorILNS1_17partition_subalgoE3EjNS0_10empty_typeEbEEZZNS1_14partition_implILS8_3ELb0ES6_jNS0_17counting_iteratorIjlEEPS9_SE_NS0_5tupleIJPjSE_EEENSF_IJSE_SE_EEES9_SG_JZNS1_25segmented_radix_sort_implINS0_14default_configELb1EPKbPbPKlPlN2at6native12_GLOBAL__N_18offset_tEEE10hipError_tPvRmT1_PNSt15iterator_traitsISY_E10value_typeET2_T3_PNSZ_IS14_E10value_typeET4_jRbjT5_S1A_jjP12ihipStream_tbEUljE_EEESV_SW_SX_S14_S18_S1A_T6_T7_T9_mT8_S1C_bDpT10_ENKUlT_T0_E_clISt17integral_constantIbLb0EES1P_EEDaS1K_S1L_EUlS1K_E_NS1_11comp_targetILNS1_3genE2ELNS1_11target_archE906ELNS1_3gpuE6ELNS1_3repE0EEENS1_30default_config_static_selectorELNS0_4arch9wavefront6targetE0EEEvSY_.uses_vcc, 0
	.set _ZN7rocprim17ROCPRIM_400000_NS6detail17trampoline_kernelINS0_13select_configILj256ELj13ELNS0_17block_load_methodE3ELS4_3ELS4_3ELNS0_20block_scan_algorithmE0ELj4294967295EEENS1_25partition_config_selectorILNS1_17partition_subalgoE3EjNS0_10empty_typeEbEEZZNS1_14partition_implILS8_3ELb0ES6_jNS0_17counting_iteratorIjlEEPS9_SE_NS0_5tupleIJPjSE_EEENSF_IJSE_SE_EEES9_SG_JZNS1_25segmented_radix_sort_implINS0_14default_configELb1EPKbPbPKlPlN2at6native12_GLOBAL__N_18offset_tEEE10hipError_tPvRmT1_PNSt15iterator_traitsISY_E10value_typeET2_T3_PNSZ_IS14_E10value_typeET4_jRbjT5_S1A_jjP12ihipStream_tbEUljE_EEESV_SW_SX_S14_S18_S1A_T6_T7_T9_mT8_S1C_bDpT10_ENKUlT_T0_E_clISt17integral_constantIbLb0EES1P_EEDaS1K_S1L_EUlS1K_E_NS1_11comp_targetILNS1_3genE2ELNS1_11target_archE906ELNS1_3gpuE6ELNS1_3repE0EEENS1_30default_config_static_selectorELNS0_4arch9wavefront6targetE0EEEvSY_.uses_flat_scratch, 0
	.set _ZN7rocprim17ROCPRIM_400000_NS6detail17trampoline_kernelINS0_13select_configILj256ELj13ELNS0_17block_load_methodE3ELS4_3ELS4_3ELNS0_20block_scan_algorithmE0ELj4294967295EEENS1_25partition_config_selectorILNS1_17partition_subalgoE3EjNS0_10empty_typeEbEEZZNS1_14partition_implILS8_3ELb0ES6_jNS0_17counting_iteratorIjlEEPS9_SE_NS0_5tupleIJPjSE_EEENSF_IJSE_SE_EEES9_SG_JZNS1_25segmented_radix_sort_implINS0_14default_configELb1EPKbPbPKlPlN2at6native12_GLOBAL__N_18offset_tEEE10hipError_tPvRmT1_PNSt15iterator_traitsISY_E10value_typeET2_T3_PNSZ_IS14_E10value_typeET4_jRbjT5_S1A_jjP12ihipStream_tbEUljE_EEESV_SW_SX_S14_S18_S1A_T6_T7_T9_mT8_S1C_bDpT10_ENKUlT_T0_E_clISt17integral_constantIbLb0EES1P_EEDaS1K_S1L_EUlS1K_E_NS1_11comp_targetILNS1_3genE2ELNS1_11target_archE906ELNS1_3gpuE6ELNS1_3repE0EEENS1_30default_config_static_selectorELNS0_4arch9wavefront6targetE0EEEvSY_.has_dyn_sized_stack, 0
	.set _ZN7rocprim17ROCPRIM_400000_NS6detail17trampoline_kernelINS0_13select_configILj256ELj13ELNS0_17block_load_methodE3ELS4_3ELS4_3ELNS0_20block_scan_algorithmE0ELj4294967295EEENS1_25partition_config_selectorILNS1_17partition_subalgoE3EjNS0_10empty_typeEbEEZZNS1_14partition_implILS8_3ELb0ES6_jNS0_17counting_iteratorIjlEEPS9_SE_NS0_5tupleIJPjSE_EEENSF_IJSE_SE_EEES9_SG_JZNS1_25segmented_radix_sort_implINS0_14default_configELb1EPKbPbPKlPlN2at6native12_GLOBAL__N_18offset_tEEE10hipError_tPvRmT1_PNSt15iterator_traitsISY_E10value_typeET2_T3_PNSZ_IS14_E10value_typeET4_jRbjT5_S1A_jjP12ihipStream_tbEUljE_EEESV_SW_SX_S14_S18_S1A_T6_T7_T9_mT8_S1C_bDpT10_ENKUlT_T0_E_clISt17integral_constantIbLb0EES1P_EEDaS1K_S1L_EUlS1K_E_NS1_11comp_targetILNS1_3genE2ELNS1_11target_archE906ELNS1_3gpuE6ELNS1_3repE0EEENS1_30default_config_static_selectorELNS0_4arch9wavefront6targetE0EEEvSY_.has_recursion, 0
	.set _ZN7rocprim17ROCPRIM_400000_NS6detail17trampoline_kernelINS0_13select_configILj256ELj13ELNS0_17block_load_methodE3ELS4_3ELS4_3ELNS0_20block_scan_algorithmE0ELj4294967295EEENS1_25partition_config_selectorILNS1_17partition_subalgoE3EjNS0_10empty_typeEbEEZZNS1_14partition_implILS8_3ELb0ES6_jNS0_17counting_iteratorIjlEEPS9_SE_NS0_5tupleIJPjSE_EEENSF_IJSE_SE_EEES9_SG_JZNS1_25segmented_radix_sort_implINS0_14default_configELb1EPKbPbPKlPlN2at6native12_GLOBAL__N_18offset_tEEE10hipError_tPvRmT1_PNSt15iterator_traitsISY_E10value_typeET2_T3_PNSZ_IS14_E10value_typeET4_jRbjT5_S1A_jjP12ihipStream_tbEUljE_EEESV_SW_SX_S14_S18_S1A_T6_T7_T9_mT8_S1C_bDpT10_ENKUlT_T0_E_clISt17integral_constantIbLb0EES1P_EEDaS1K_S1L_EUlS1K_E_NS1_11comp_targetILNS1_3genE2ELNS1_11target_archE906ELNS1_3gpuE6ELNS1_3repE0EEENS1_30default_config_static_selectorELNS0_4arch9wavefront6targetE0EEEvSY_.has_indirect_call, 0
	.section	.AMDGPU.csdata,"",@progbits
; Kernel info:
; codeLenInByte = 0
; TotalNumSgprs: 0
; NumVgprs: 0
; ScratchSize: 0
; MemoryBound: 0
; FloatMode: 240
; IeeeMode: 1
; LDSByteSize: 0 bytes/workgroup (compile time only)
; SGPRBlocks: 0
; VGPRBlocks: 0
; NumSGPRsForWavesPerEU: 1
; NumVGPRsForWavesPerEU: 1
; Occupancy: 16
; WaveLimiterHint : 0
; COMPUTE_PGM_RSRC2:SCRATCH_EN: 0
; COMPUTE_PGM_RSRC2:USER_SGPR: 6
; COMPUTE_PGM_RSRC2:TRAP_HANDLER: 0
; COMPUTE_PGM_RSRC2:TGID_X_EN: 1
; COMPUTE_PGM_RSRC2:TGID_Y_EN: 0
; COMPUTE_PGM_RSRC2:TGID_Z_EN: 0
; COMPUTE_PGM_RSRC2:TIDIG_COMP_CNT: 0
	.section	.text._ZN7rocprim17ROCPRIM_400000_NS6detail17trampoline_kernelINS0_13select_configILj256ELj13ELNS0_17block_load_methodE3ELS4_3ELS4_3ELNS0_20block_scan_algorithmE0ELj4294967295EEENS1_25partition_config_selectorILNS1_17partition_subalgoE3EjNS0_10empty_typeEbEEZZNS1_14partition_implILS8_3ELb0ES6_jNS0_17counting_iteratorIjlEEPS9_SE_NS0_5tupleIJPjSE_EEENSF_IJSE_SE_EEES9_SG_JZNS1_25segmented_radix_sort_implINS0_14default_configELb1EPKbPbPKlPlN2at6native12_GLOBAL__N_18offset_tEEE10hipError_tPvRmT1_PNSt15iterator_traitsISY_E10value_typeET2_T3_PNSZ_IS14_E10value_typeET4_jRbjT5_S1A_jjP12ihipStream_tbEUljE_EEESV_SW_SX_S14_S18_S1A_T6_T7_T9_mT8_S1C_bDpT10_ENKUlT_T0_E_clISt17integral_constantIbLb0EES1P_EEDaS1K_S1L_EUlS1K_E_NS1_11comp_targetILNS1_3genE10ELNS1_11target_archE1200ELNS1_3gpuE4ELNS1_3repE0EEENS1_30default_config_static_selectorELNS0_4arch9wavefront6targetE0EEEvSY_,"axG",@progbits,_ZN7rocprim17ROCPRIM_400000_NS6detail17trampoline_kernelINS0_13select_configILj256ELj13ELNS0_17block_load_methodE3ELS4_3ELS4_3ELNS0_20block_scan_algorithmE0ELj4294967295EEENS1_25partition_config_selectorILNS1_17partition_subalgoE3EjNS0_10empty_typeEbEEZZNS1_14partition_implILS8_3ELb0ES6_jNS0_17counting_iteratorIjlEEPS9_SE_NS0_5tupleIJPjSE_EEENSF_IJSE_SE_EEES9_SG_JZNS1_25segmented_radix_sort_implINS0_14default_configELb1EPKbPbPKlPlN2at6native12_GLOBAL__N_18offset_tEEE10hipError_tPvRmT1_PNSt15iterator_traitsISY_E10value_typeET2_T3_PNSZ_IS14_E10value_typeET4_jRbjT5_S1A_jjP12ihipStream_tbEUljE_EEESV_SW_SX_S14_S18_S1A_T6_T7_T9_mT8_S1C_bDpT10_ENKUlT_T0_E_clISt17integral_constantIbLb0EES1P_EEDaS1K_S1L_EUlS1K_E_NS1_11comp_targetILNS1_3genE10ELNS1_11target_archE1200ELNS1_3gpuE4ELNS1_3repE0EEENS1_30default_config_static_selectorELNS0_4arch9wavefront6targetE0EEEvSY_,comdat
	.globl	_ZN7rocprim17ROCPRIM_400000_NS6detail17trampoline_kernelINS0_13select_configILj256ELj13ELNS0_17block_load_methodE3ELS4_3ELS4_3ELNS0_20block_scan_algorithmE0ELj4294967295EEENS1_25partition_config_selectorILNS1_17partition_subalgoE3EjNS0_10empty_typeEbEEZZNS1_14partition_implILS8_3ELb0ES6_jNS0_17counting_iteratorIjlEEPS9_SE_NS0_5tupleIJPjSE_EEENSF_IJSE_SE_EEES9_SG_JZNS1_25segmented_radix_sort_implINS0_14default_configELb1EPKbPbPKlPlN2at6native12_GLOBAL__N_18offset_tEEE10hipError_tPvRmT1_PNSt15iterator_traitsISY_E10value_typeET2_T3_PNSZ_IS14_E10value_typeET4_jRbjT5_S1A_jjP12ihipStream_tbEUljE_EEESV_SW_SX_S14_S18_S1A_T6_T7_T9_mT8_S1C_bDpT10_ENKUlT_T0_E_clISt17integral_constantIbLb0EES1P_EEDaS1K_S1L_EUlS1K_E_NS1_11comp_targetILNS1_3genE10ELNS1_11target_archE1200ELNS1_3gpuE4ELNS1_3repE0EEENS1_30default_config_static_selectorELNS0_4arch9wavefront6targetE0EEEvSY_ ; -- Begin function _ZN7rocprim17ROCPRIM_400000_NS6detail17trampoline_kernelINS0_13select_configILj256ELj13ELNS0_17block_load_methodE3ELS4_3ELS4_3ELNS0_20block_scan_algorithmE0ELj4294967295EEENS1_25partition_config_selectorILNS1_17partition_subalgoE3EjNS0_10empty_typeEbEEZZNS1_14partition_implILS8_3ELb0ES6_jNS0_17counting_iteratorIjlEEPS9_SE_NS0_5tupleIJPjSE_EEENSF_IJSE_SE_EEES9_SG_JZNS1_25segmented_radix_sort_implINS0_14default_configELb1EPKbPbPKlPlN2at6native12_GLOBAL__N_18offset_tEEE10hipError_tPvRmT1_PNSt15iterator_traitsISY_E10value_typeET2_T3_PNSZ_IS14_E10value_typeET4_jRbjT5_S1A_jjP12ihipStream_tbEUljE_EEESV_SW_SX_S14_S18_S1A_T6_T7_T9_mT8_S1C_bDpT10_ENKUlT_T0_E_clISt17integral_constantIbLb0EES1P_EEDaS1K_S1L_EUlS1K_E_NS1_11comp_targetILNS1_3genE10ELNS1_11target_archE1200ELNS1_3gpuE4ELNS1_3repE0EEENS1_30default_config_static_selectorELNS0_4arch9wavefront6targetE0EEEvSY_
	.p2align	8
	.type	_ZN7rocprim17ROCPRIM_400000_NS6detail17trampoline_kernelINS0_13select_configILj256ELj13ELNS0_17block_load_methodE3ELS4_3ELS4_3ELNS0_20block_scan_algorithmE0ELj4294967295EEENS1_25partition_config_selectorILNS1_17partition_subalgoE3EjNS0_10empty_typeEbEEZZNS1_14partition_implILS8_3ELb0ES6_jNS0_17counting_iteratorIjlEEPS9_SE_NS0_5tupleIJPjSE_EEENSF_IJSE_SE_EEES9_SG_JZNS1_25segmented_radix_sort_implINS0_14default_configELb1EPKbPbPKlPlN2at6native12_GLOBAL__N_18offset_tEEE10hipError_tPvRmT1_PNSt15iterator_traitsISY_E10value_typeET2_T3_PNSZ_IS14_E10value_typeET4_jRbjT5_S1A_jjP12ihipStream_tbEUljE_EEESV_SW_SX_S14_S18_S1A_T6_T7_T9_mT8_S1C_bDpT10_ENKUlT_T0_E_clISt17integral_constantIbLb0EES1P_EEDaS1K_S1L_EUlS1K_E_NS1_11comp_targetILNS1_3genE10ELNS1_11target_archE1200ELNS1_3gpuE4ELNS1_3repE0EEENS1_30default_config_static_selectorELNS0_4arch9wavefront6targetE0EEEvSY_,@function
_ZN7rocprim17ROCPRIM_400000_NS6detail17trampoline_kernelINS0_13select_configILj256ELj13ELNS0_17block_load_methodE3ELS4_3ELS4_3ELNS0_20block_scan_algorithmE0ELj4294967295EEENS1_25partition_config_selectorILNS1_17partition_subalgoE3EjNS0_10empty_typeEbEEZZNS1_14partition_implILS8_3ELb0ES6_jNS0_17counting_iteratorIjlEEPS9_SE_NS0_5tupleIJPjSE_EEENSF_IJSE_SE_EEES9_SG_JZNS1_25segmented_radix_sort_implINS0_14default_configELb1EPKbPbPKlPlN2at6native12_GLOBAL__N_18offset_tEEE10hipError_tPvRmT1_PNSt15iterator_traitsISY_E10value_typeET2_T3_PNSZ_IS14_E10value_typeET4_jRbjT5_S1A_jjP12ihipStream_tbEUljE_EEESV_SW_SX_S14_S18_S1A_T6_T7_T9_mT8_S1C_bDpT10_ENKUlT_T0_E_clISt17integral_constantIbLb0EES1P_EEDaS1K_S1L_EUlS1K_E_NS1_11comp_targetILNS1_3genE10ELNS1_11target_archE1200ELNS1_3gpuE4ELNS1_3repE0EEENS1_30default_config_static_selectorELNS0_4arch9wavefront6targetE0EEEvSY_: ; @_ZN7rocprim17ROCPRIM_400000_NS6detail17trampoline_kernelINS0_13select_configILj256ELj13ELNS0_17block_load_methodE3ELS4_3ELS4_3ELNS0_20block_scan_algorithmE0ELj4294967295EEENS1_25partition_config_selectorILNS1_17partition_subalgoE3EjNS0_10empty_typeEbEEZZNS1_14partition_implILS8_3ELb0ES6_jNS0_17counting_iteratorIjlEEPS9_SE_NS0_5tupleIJPjSE_EEENSF_IJSE_SE_EEES9_SG_JZNS1_25segmented_radix_sort_implINS0_14default_configELb1EPKbPbPKlPlN2at6native12_GLOBAL__N_18offset_tEEE10hipError_tPvRmT1_PNSt15iterator_traitsISY_E10value_typeET2_T3_PNSZ_IS14_E10value_typeET4_jRbjT5_S1A_jjP12ihipStream_tbEUljE_EEESV_SW_SX_S14_S18_S1A_T6_T7_T9_mT8_S1C_bDpT10_ENKUlT_T0_E_clISt17integral_constantIbLb0EES1P_EEDaS1K_S1L_EUlS1K_E_NS1_11comp_targetILNS1_3genE10ELNS1_11target_archE1200ELNS1_3gpuE4ELNS1_3repE0EEENS1_30default_config_static_selectorELNS0_4arch9wavefront6targetE0EEEvSY_
; %bb.0:
	.section	.rodata,"a",@progbits
	.p2align	6, 0x0
	.amdhsa_kernel _ZN7rocprim17ROCPRIM_400000_NS6detail17trampoline_kernelINS0_13select_configILj256ELj13ELNS0_17block_load_methodE3ELS4_3ELS4_3ELNS0_20block_scan_algorithmE0ELj4294967295EEENS1_25partition_config_selectorILNS1_17partition_subalgoE3EjNS0_10empty_typeEbEEZZNS1_14partition_implILS8_3ELb0ES6_jNS0_17counting_iteratorIjlEEPS9_SE_NS0_5tupleIJPjSE_EEENSF_IJSE_SE_EEES9_SG_JZNS1_25segmented_radix_sort_implINS0_14default_configELb1EPKbPbPKlPlN2at6native12_GLOBAL__N_18offset_tEEE10hipError_tPvRmT1_PNSt15iterator_traitsISY_E10value_typeET2_T3_PNSZ_IS14_E10value_typeET4_jRbjT5_S1A_jjP12ihipStream_tbEUljE_EEESV_SW_SX_S14_S18_S1A_T6_T7_T9_mT8_S1C_bDpT10_ENKUlT_T0_E_clISt17integral_constantIbLb0EES1P_EEDaS1K_S1L_EUlS1K_E_NS1_11comp_targetILNS1_3genE10ELNS1_11target_archE1200ELNS1_3gpuE4ELNS1_3repE0EEENS1_30default_config_static_selectorELNS0_4arch9wavefront6targetE0EEEvSY_
		.amdhsa_group_segment_fixed_size 0
		.amdhsa_private_segment_fixed_size 0
		.amdhsa_kernarg_size 144
		.amdhsa_user_sgpr_count 6
		.amdhsa_user_sgpr_private_segment_buffer 1
		.amdhsa_user_sgpr_dispatch_ptr 0
		.amdhsa_user_sgpr_queue_ptr 0
		.amdhsa_user_sgpr_kernarg_segment_ptr 1
		.amdhsa_user_sgpr_dispatch_id 0
		.amdhsa_user_sgpr_flat_scratch_init 0
		.amdhsa_user_sgpr_private_segment_size 0
		.amdhsa_wavefront_size32 1
		.amdhsa_uses_dynamic_stack 0
		.amdhsa_system_sgpr_private_segment_wavefront_offset 0
		.amdhsa_system_sgpr_workgroup_id_x 1
		.amdhsa_system_sgpr_workgroup_id_y 0
		.amdhsa_system_sgpr_workgroup_id_z 0
		.amdhsa_system_sgpr_workgroup_info 0
		.amdhsa_system_vgpr_workitem_id 0
		.amdhsa_next_free_vgpr 1
		.amdhsa_next_free_sgpr 1
		.amdhsa_reserve_vcc 0
		.amdhsa_reserve_flat_scratch 0
		.amdhsa_float_round_mode_32 0
		.amdhsa_float_round_mode_16_64 0
		.amdhsa_float_denorm_mode_32 3
		.amdhsa_float_denorm_mode_16_64 3
		.amdhsa_dx10_clamp 1
		.amdhsa_ieee_mode 1
		.amdhsa_fp16_overflow 0
		.amdhsa_workgroup_processor_mode 1
		.amdhsa_memory_ordered 1
		.amdhsa_forward_progress 1
		.amdhsa_shared_vgpr_count 0
		.amdhsa_exception_fp_ieee_invalid_op 0
		.amdhsa_exception_fp_denorm_src 0
		.amdhsa_exception_fp_ieee_div_zero 0
		.amdhsa_exception_fp_ieee_overflow 0
		.amdhsa_exception_fp_ieee_underflow 0
		.amdhsa_exception_fp_ieee_inexact 0
		.amdhsa_exception_int_div_zero 0
	.end_amdhsa_kernel
	.section	.text._ZN7rocprim17ROCPRIM_400000_NS6detail17trampoline_kernelINS0_13select_configILj256ELj13ELNS0_17block_load_methodE3ELS4_3ELS4_3ELNS0_20block_scan_algorithmE0ELj4294967295EEENS1_25partition_config_selectorILNS1_17partition_subalgoE3EjNS0_10empty_typeEbEEZZNS1_14partition_implILS8_3ELb0ES6_jNS0_17counting_iteratorIjlEEPS9_SE_NS0_5tupleIJPjSE_EEENSF_IJSE_SE_EEES9_SG_JZNS1_25segmented_radix_sort_implINS0_14default_configELb1EPKbPbPKlPlN2at6native12_GLOBAL__N_18offset_tEEE10hipError_tPvRmT1_PNSt15iterator_traitsISY_E10value_typeET2_T3_PNSZ_IS14_E10value_typeET4_jRbjT5_S1A_jjP12ihipStream_tbEUljE_EEESV_SW_SX_S14_S18_S1A_T6_T7_T9_mT8_S1C_bDpT10_ENKUlT_T0_E_clISt17integral_constantIbLb0EES1P_EEDaS1K_S1L_EUlS1K_E_NS1_11comp_targetILNS1_3genE10ELNS1_11target_archE1200ELNS1_3gpuE4ELNS1_3repE0EEENS1_30default_config_static_selectorELNS0_4arch9wavefront6targetE0EEEvSY_,"axG",@progbits,_ZN7rocprim17ROCPRIM_400000_NS6detail17trampoline_kernelINS0_13select_configILj256ELj13ELNS0_17block_load_methodE3ELS4_3ELS4_3ELNS0_20block_scan_algorithmE0ELj4294967295EEENS1_25partition_config_selectorILNS1_17partition_subalgoE3EjNS0_10empty_typeEbEEZZNS1_14partition_implILS8_3ELb0ES6_jNS0_17counting_iteratorIjlEEPS9_SE_NS0_5tupleIJPjSE_EEENSF_IJSE_SE_EEES9_SG_JZNS1_25segmented_radix_sort_implINS0_14default_configELb1EPKbPbPKlPlN2at6native12_GLOBAL__N_18offset_tEEE10hipError_tPvRmT1_PNSt15iterator_traitsISY_E10value_typeET2_T3_PNSZ_IS14_E10value_typeET4_jRbjT5_S1A_jjP12ihipStream_tbEUljE_EEESV_SW_SX_S14_S18_S1A_T6_T7_T9_mT8_S1C_bDpT10_ENKUlT_T0_E_clISt17integral_constantIbLb0EES1P_EEDaS1K_S1L_EUlS1K_E_NS1_11comp_targetILNS1_3genE10ELNS1_11target_archE1200ELNS1_3gpuE4ELNS1_3repE0EEENS1_30default_config_static_selectorELNS0_4arch9wavefront6targetE0EEEvSY_,comdat
.Lfunc_end1497:
	.size	_ZN7rocprim17ROCPRIM_400000_NS6detail17trampoline_kernelINS0_13select_configILj256ELj13ELNS0_17block_load_methodE3ELS4_3ELS4_3ELNS0_20block_scan_algorithmE0ELj4294967295EEENS1_25partition_config_selectorILNS1_17partition_subalgoE3EjNS0_10empty_typeEbEEZZNS1_14partition_implILS8_3ELb0ES6_jNS0_17counting_iteratorIjlEEPS9_SE_NS0_5tupleIJPjSE_EEENSF_IJSE_SE_EEES9_SG_JZNS1_25segmented_radix_sort_implINS0_14default_configELb1EPKbPbPKlPlN2at6native12_GLOBAL__N_18offset_tEEE10hipError_tPvRmT1_PNSt15iterator_traitsISY_E10value_typeET2_T3_PNSZ_IS14_E10value_typeET4_jRbjT5_S1A_jjP12ihipStream_tbEUljE_EEESV_SW_SX_S14_S18_S1A_T6_T7_T9_mT8_S1C_bDpT10_ENKUlT_T0_E_clISt17integral_constantIbLb0EES1P_EEDaS1K_S1L_EUlS1K_E_NS1_11comp_targetILNS1_3genE10ELNS1_11target_archE1200ELNS1_3gpuE4ELNS1_3repE0EEENS1_30default_config_static_selectorELNS0_4arch9wavefront6targetE0EEEvSY_, .Lfunc_end1497-_ZN7rocprim17ROCPRIM_400000_NS6detail17trampoline_kernelINS0_13select_configILj256ELj13ELNS0_17block_load_methodE3ELS4_3ELS4_3ELNS0_20block_scan_algorithmE0ELj4294967295EEENS1_25partition_config_selectorILNS1_17partition_subalgoE3EjNS0_10empty_typeEbEEZZNS1_14partition_implILS8_3ELb0ES6_jNS0_17counting_iteratorIjlEEPS9_SE_NS0_5tupleIJPjSE_EEENSF_IJSE_SE_EEES9_SG_JZNS1_25segmented_radix_sort_implINS0_14default_configELb1EPKbPbPKlPlN2at6native12_GLOBAL__N_18offset_tEEE10hipError_tPvRmT1_PNSt15iterator_traitsISY_E10value_typeET2_T3_PNSZ_IS14_E10value_typeET4_jRbjT5_S1A_jjP12ihipStream_tbEUljE_EEESV_SW_SX_S14_S18_S1A_T6_T7_T9_mT8_S1C_bDpT10_ENKUlT_T0_E_clISt17integral_constantIbLb0EES1P_EEDaS1K_S1L_EUlS1K_E_NS1_11comp_targetILNS1_3genE10ELNS1_11target_archE1200ELNS1_3gpuE4ELNS1_3repE0EEENS1_30default_config_static_selectorELNS0_4arch9wavefront6targetE0EEEvSY_
                                        ; -- End function
	.set _ZN7rocprim17ROCPRIM_400000_NS6detail17trampoline_kernelINS0_13select_configILj256ELj13ELNS0_17block_load_methodE3ELS4_3ELS4_3ELNS0_20block_scan_algorithmE0ELj4294967295EEENS1_25partition_config_selectorILNS1_17partition_subalgoE3EjNS0_10empty_typeEbEEZZNS1_14partition_implILS8_3ELb0ES6_jNS0_17counting_iteratorIjlEEPS9_SE_NS0_5tupleIJPjSE_EEENSF_IJSE_SE_EEES9_SG_JZNS1_25segmented_radix_sort_implINS0_14default_configELb1EPKbPbPKlPlN2at6native12_GLOBAL__N_18offset_tEEE10hipError_tPvRmT1_PNSt15iterator_traitsISY_E10value_typeET2_T3_PNSZ_IS14_E10value_typeET4_jRbjT5_S1A_jjP12ihipStream_tbEUljE_EEESV_SW_SX_S14_S18_S1A_T6_T7_T9_mT8_S1C_bDpT10_ENKUlT_T0_E_clISt17integral_constantIbLb0EES1P_EEDaS1K_S1L_EUlS1K_E_NS1_11comp_targetILNS1_3genE10ELNS1_11target_archE1200ELNS1_3gpuE4ELNS1_3repE0EEENS1_30default_config_static_selectorELNS0_4arch9wavefront6targetE0EEEvSY_.num_vgpr, 0
	.set _ZN7rocprim17ROCPRIM_400000_NS6detail17trampoline_kernelINS0_13select_configILj256ELj13ELNS0_17block_load_methodE3ELS4_3ELS4_3ELNS0_20block_scan_algorithmE0ELj4294967295EEENS1_25partition_config_selectorILNS1_17partition_subalgoE3EjNS0_10empty_typeEbEEZZNS1_14partition_implILS8_3ELb0ES6_jNS0_17counting_iteratorIjlEEPS9_SE_NS0_5tupleIJPjSE_EEENSF_IJSE_SE_EEES9_SG_JZNS1_25segmented_radix_sort_implINS0_14default_configELb1EPKbPbPKlPlN2at6native12_GLOBAL__N_18offset_tEEE10hipError_tPvRmT1_PNSt15iterator_traitsISY_E10value_typeET2_T3_PNSZ_IS14_E10value_typeET4_jRbjT5_S1A_jjP12ihipStream_tbEUljE_EEESV_SW_SX_S14_S18_S1A_T6_T7_T9_mT8_S1C_bDpT10_ENKUlT_T0_E_clISt17integral_constantIbLb0EES1P_EEDaS1K_S1L_EUlS1K_E_NS1_11comp_targetILNS1_3genE10ELNS1_11target_archE1200ELNS1_3gpuE4ELNS1_3repE0EEENS1_30default_config_static_selectorELNS0_4arch9wavefront6targetE0EEEvSY_.num_agpr, 0
	.set _ZN7rocprim17ROCPRIM_400000_NS6detail17trampoline_kernelINS0_13select_configILj256ELj13ELNS0_17block_load_methodE3ELS4_3ELS4_3ELNS0_20block_scan_algorithmE0ELj4294967295EEENS1_25partition_config_selectorILNS1_17partition_subalgoE3EjNS0_10empty_typeEbEEZZNS1_14partition_implILS8_3ELb0ES6_jNS0_17counting_iteratorIjlEEPS9_SE_NS0_5tupleIJPjSE_EEENSF_IJSE_SE_EEES9_SG_JZNS1_25segmented_radix_sort_implINS0_14default_configELb1EPKbPbPKlPlN2at6native12_GLOBAL__N_18offset_tEEE10hipError_tPvRmT1_PNSt15iterator_traitsISY_E10value_typeET2_T3_PNSZ_IS14_E10value_typeET4_jRbjT5_S1A_jjP12ihipStream_tbEUljE_EEESV_SW_SX_S14_S18_S1A_T6_T7_T9_mT8_S1C_bDpT10_ENKUlT_T0_E_clISt17integral_constantIbLb0EES1P_EEDaS1K_S1L_EUlS1K_E_NS1_11comp_targetILNS1_3genE10ELNS1_11target_archE1200ELNS1_3gpuE4ELNS1_3repE0EEENS1_30default_config_static_selectorELNS0_4arch9wavefront6targetE0EEEvSY_.numbered_sgpr, 0
	.set _ZN7rocprim17ROCPRIM_400000_NS6detail17trampoline_kernelINS0_13select_configILj256ELj13ELNS0_17block_load_methodE3ELS4_3ELS4_3ELNS0_20block_scan_algorithmE0ELj4294967295EEENS1_25partition_config_selectorILNS1_17partition_subalgoE3EjNS0_10empty_typeEbEEZZNS1_14partition_implILS8_3ELb0ES6_jNS0_17counting_iteratorIjlEEPS9_SE_NS0_5tupleIJPjSE_EEENSF_IJSE_SE_EEES9_SG_JZNS1_25segmented_radix_sort_implINS0_14default_configELb1EPKbPbPKlPlN2at6native12_GLOBAL__N_18offset_tEEE10hipError_tPvRmT1_PNSt15iterator_traitsISY_E10value_typeET2_T3_PNSZ_IS14_E10value_typeET4_jRbjT5_S1A_jjP12ihipStream_tbEUljE_EEESV_SW_SX_S14_S18_S1A_T6_T7_T9_mT8_S1C_bDpT10_ENKUlT_T0_E_clISt17integral_constantIbLb0EES1P_EEDaS1K_S1L_EUlS1K_E_NS1_11comp_targetILNS1_3genE10ELNS1_11target_archE1200ELNS1_3gpuE4ELNS1_3repE0EEENS1_30default_config_static_selectorELNS0_4arch9wavefront6targetE0EEEvSY_.num_named_barrier, 0
	.set _ZN7rocprim17ROCPRIM_400000_NS6detail17trampoline_kernelINS0_13select_configILj256ELj13ELNS0_17block_load_methodE3ELS4_3ELS4_3ELNS0_20block_scan_algorithmE0ELj4294967295EEENS1_25partition_config_selectorILNS1_17partition_subalgoE3EjNS0_10empty_typeEbEEZZNS1_14partition_implILS8_3ELb0ES6_jNS0_17counting_iteratorIjlEEPS9_SE_NS0_5tupleIJPjSE_EEENSF_IJSE_SE_EEES9_SG_JZNS1_25segmented_radix_sort_implINS0_14default_configELb1EPKbPbPKlPlN2at6native12_GLOBAL__N_18offset_tEEE10hipError_tPvRmT1_PNSt15iterator_traitsISY_E10value_typeET2_T3_PNSZ_IS14_E10value_typeET4_jRbjT5_S1A_jjP12ihipStream_tbEUljE_EEESV_SW_SX_S14_S18_S1A_T6_T7_T9_mT8_S1C_bDpT10_ENKUlT_T0_E_clISt17integral_constantIbLb0EES1P_EEDaS1K_S1L_EUlS1K_E_NS1_11comp_targetILNS1_3genE10ELNS1_11target_archE1200ELNS1_3gpuE4ELNS1_3repE0EEENS1_30default_config_static_selectorELNS0_4arch9wavefront6targetE0EEEvSY_.private_seg_size, 0
	.set _ZN7rocprim17ROCPRIM_400000_NS6detail17trampoline_kernelINS0_13select_configILj256ELj13ELNS0_17block_load_methodE3ELS4_3ELS4_3ELNS0_20block_scan_algorithmE0ELj4294967295EEENS1_25partition_config_selectorILNS1_17partition_subalgoE3EjNS0_10empty_typeEbEEZZNS1_14partition_implILS8_3ELb0ES6_jNS0_17counting_iteratorIjlEEPS9_SE_NS0_5tupleIJPjSE_EEENSF_IJSE_SE_EEES9_SG_JZNS1_25segmented_radix_sort_implINS0_14default_configELb1EPKbPbPKlPlN2at6native12_GLOBAL__N_18offset_tEEE10hipError_tPvRmT1_PNSt15iterator_traitsISY_E10value_typeET2_T3_PNSZ_IS14_E10value_typeET4_jRbjT5_S1A_jjP12ihipStream_tbEUljE_EEESV_SW_SX_S14_S18_S1A_T6_T7_T9_mT8_S1C_bDpT10_ENKUlT_T0_E_clISt17integral_constantIbLb0EES1P_EEDaS1K_S1L_EUlS1K_E_NS1_11comp_targetILNS1_3genE10ELNS1_11target_archE1200ELNS1_3gpuE4ELNS1_3repE0EEENS1_30default_config_static_selectorELNS0_4arch9wavefront6targetE0EEEvSY_.uses_vcc, 0
	.set _ZN7rocprim17ROCPRIM_400000_NS6detail17trampoline_kernelINS0_13select_configILj256ELj13ELNS0_17block_load_methodE3ELS4_3ELS4_3ELNS0_20block_scan_algorithmE0ELj4294967295EEENS1_25partition_config_selectorILNS1_17partition_subalgoE3EjNS0_10empty_typeEbEEZZNS1_14partition_implILS8_3ELb0ES6_jNS0_17counting_iteratorIjlEEPS9_SE_NS0_5tupleIJPjSE_EEENSF_IJSE_SE_EEES9_SG_JZNS1_25segmented_radix_sort_implINS0_14default_configELb1EPKbPbPKlPlN2at6native12_GLOBAL__N_18offset_tEEE10hipError_tPvRmT1_PNSt15iterator_traitsISY_E10value_typeET2_T3_PNSZ_IS14_E10value_typeET4_jRbjT5_S1A_jjP12ihipStream_tbEUljE_EEESV_SW_SX_S14_S18_S1A_T6_T7_T9_mT8_S1C_bDpT10_ENKUlT_T0_E_clISt17integral_constantIbLb0EES1P_EEDaS1K_S1L_EUlS1K_E_NS1_11comp_targetILNS1_3genE10ELNS1_11target_archE1200ELNS1_3gpuE4ELNS1_3repE0EEENS1_30default_config_static_selectorELNS0_4arch9wavefront6targetE0EEEvSY_.uses_flat_scratch, 0
	.set _ZN7rocprim17ROCPRIM_400000_NS6detail17trampoline_kernelINS0_13select_configILj256ELj13ELNS0_17block_load_methodE3ELS4_3ELS4_3ELNS0_20block_scan_algorithmE0ELj4294967295EEENS1_25partition_config_selectorILNS1_17partition_subalgoE3EjNS0_10empty_typeEbEEZZNS1_14partition_implILS8_3ELb0ES6_jNS0_17counting_iteratorIjlEEPS9_SE_NS0_5tupleIJPjSE_EEENSF_IJSE_SE_EEES9_SG_JZNS1_25segmented_radix_sort_implINS0_14default_configELb1EPKbPbPKlPlN2at6native12_GLOBAL__N_18offset_tEEE10hipError_tPvRmT1_PNSt15iterator_traitsISY_E10value_typeET2_T3_PNSZ_IS14_E10value_typeET4_jRbjT5_S1A_jjP12ihipStream_tbEUljE_EEESV_SW_SX_S14_S18_S1A_T6_T7_T9_mT8_S1C_bDpT10_ENKUlT_T0_E_clISt17integral_constantIbLb0EES1P_EEDaS1K_S1L_EUlS1K_E_NS1_11comp_targetILNS1_3genE10ELNS1_11target_archE1200ELNS1_3gpuE4ELNS1_3repE0EEENS1_30default_config_static_selectorELNS0_4arch9wavefront6targetE0EEEvSY_.has_dyn_sized_stack, 0
	.set _ZN7rocprim17ROCPRIM_400000_NS6detail17trampoline_kernelINS0_13select_configILj256ELj13ELNS0_17block_load_methodE3ELS4_3ELS4_3ELNS0_20block_scan_algorithmE0ELj4294967295EEENS1_25partition_config_selectorILNS1_17partition_subalgoE3EjNS0_10empty_typeEbEEZZNS1_14partition_implILS8_3ELb0ES6_jNS0_17counting_iteratorIjlEEPS9_SE_NS0_5tupleIJPjSE_EEENSF_IJSE_SE_EEES9_SG_JZNS1_25segmented_radix_sort_implINS0_14default_configELb1EPKbPbPKlPlN2at6native12_GLOBAL__N_18offset_tEEE10hipError_tPvRmT1_PNSt15iterator_traitsISY_E10value_typeET2_T3_PNSZ_IS14_E10value_typeET4_jRbjT5_S1A_jjP12ihipStream_tbEUljE_EEESV_SW_SX_S14_S18_S1A_T6_T7_T9_mT8_S1C_bDpT10_ENKUlT_T0_E_clISt17integral_constantIbLb0EES1P_EEDaS1K_S1L_EUlS1K_E_NS1_11comp_targetILNS1_3genE10ELNS1_11target_archE1200ELNS1_3gpuE4ELNS1_3repE0EEENS1_30default_config_static_selectorELNS0_4arch9wavefront6targetE0EEEvSY_.has_recursion, 0
	.set _ZN7rocprim17ROCPRIM_400000_NS6detail17trampoline_kernelINS0_13select_configILj256ELj13ELNS0_17block_load_methodE3ELS4_3ELS4_3ELNS0_20block_scan_algorithmE0ELj4294967295EEENS1_25partition_config_selectorILNS1_17partition_subalgoE3EjNS0_10empty_typeEbEEZZNS1_14partition_implILS8_3ELb0ES6_jNS0_17counting_iteratorIjlEEPS9_SE_NS0_5tupleIJPjSE_EEENSF_IJSE_SE_EEES9_SG_JZNS1_25segmented_radix_sort_implINS0_14default_configELb1EPKbPbPKlPlN2at6native12_GLOBAL__N_18offset_tEEE10hipError_tPvRmT1_PNSt15iterator_traitsISY_E10value_typeET2_T3_PNSZ_IS14_E10value_typeET4_jRbjT5_S1A_jjP12ihipStream_tbEUljE_EEESV_SW_SX_S14_S18_S1A_T6_T7_T9_mT8_S1C_bDpT10_ENKUlT_T0_E_clISt17integral_constantIbLb0EES1P_EEDaS1K_S1L_EUlS1K_E_NS1_11comp_targetILNS1_3genE10ELNS1_11target_archE1200ELNS1_3gpuE4ELNS1_3repE0EEENS1_30default_config_static_selectorELNS0_4arch9wavefront6targetE0EEEvSY_.has_indirect_call, 0
	.section	.AMDGPU.csdata,"",@progbits
; Kernel info:
; codeLenInByte = 0
; TotalNumSgprs: 0
; NumVgprs: 0
; ScratchSize: 0
; MemoryBound: 0
; FloatMode: 240
; IeeeMode: 1
; LDSByteSize: 0 bytes/workgroup (compile time only)
; SGPRBlocks: 0
; VGPRBlocks: 0
; NumSGPRsForWavesPerEU: 1
; NumVGPRsForWavesPerEU: 1
; Occupancy: 16
; WaveLimiterHint : 0
; COMPUTE_PGM_RSRC2:SCRATCH_EN: 0
; COMPUTE_PGM_RSRC2:USER_SGPR: 6
; COMPUTE_PGM_RSRC2:TRAP_HANDLER: 0
; COMPUTE_PGM_RSRC2:TGID_X_EN: 1
; COMPUTE_PGM_RSRC2:TGID_Y_EN: 0
; COMPUTE_PGM_RSRC2:TGID_Z_EN: 0
; COMPUTE_PGM_RSRC2:TIDIG_COMP_CNT: 0
	.section	.text._ZN7rocprim17ROCPRIM_400000_NS6detail17trampoline_kernelINS0_13select_configILj256ELj13ELNS0_17block_load_methodE3ELS4_3ELS4_3ELNS0_20block_scan_algorithmE0ELj4294967295EEENS1_25partition_config_selectorILNS1_17partition_subalgoE3EjNS0_10empty_typeEbEEZZNS1_14partition_implILS8_3ELb0ES6_jNS0_17counting_iteratorIjlEEPS9_SE_NS0_5tupleIJPjSE_EEENSF_IJSE_SE_EEES9_SG_JZNS1_25segmented_radix_sort_implINS0_14default_configELb1EPKbPbPKlPlN2at6native12_GLOBAL__N_18offset_tEEE10hipError_tPvRmT1_PNSt15iterator_traitsISY_E10value_typeET2_T3_PNSZ_IS14_E10value_typeET4_jRbjT5_S1A_jjP12ihipStream_tbEUljE_EEESV_SW_SX_S14_S18_S1A_T6_T7_T9_mT8_S1C_bDpT10_ENKUlT_T0_E_clISt17integral_constantIbLb0EES1P_EEDaS1K_S1L_EUlS1K_E_NS1_11comp_targetILNS1_3genE9ELNS1_11target_archE1100ELNS1_3gpuE3ELNS1_3repE0EEENS1_30default_config_static_selectorELNS0_4arch9wavefront6targetE0EEEvSY_,"axG",@progbits,_ZN7rocprim17ROCPRIM_400000_NS6detail17trampoline_kernelINS0_13select_configILj256ELj13ELNS0_17block_load_methodE3ELS4_3ELS4_3ELNS0_20block_scan_algorithmE0ELj4294967295EEENS1_25partition_config_selectorILNS1_17partition_subalgoE3EjNS0_10empty_typeEbEEZZNS1_14partition_implILS8_3ELb0ES6_jNS0_17counting_iteratorIjlEEPS9_SE_NS0_5tupleIJPjSE_EEENSF_IJSE_SE_EEES9_SG_JZNS1_25segmented_radix_sort_implINS0_14default_configELb1EPKbPbPKlPlN2at6native12_GLOBAL__N_18offset_tEEE10hipError_tPvRmT1_PNSt15iterator_traitsISY_E10value_typeET2_T3_PNSZ_IS14_E10value_typeET4_jRbjT5_S1A_jjP12ihipStream_tbEUljE_EEESV_SW_SX_S14_S18_S1A_T6_T7_T9_mT8_S1C_bDpT10_ENKUlT_T0_E_clISt17integral_constantIbLb0EES1P_EEDaS1K_S1L_EUlS1K_E_NS1_11comp_targetILNS1_3genE9ELNS1_11target_archE1100ELNS1_3gpuE3ELNS1_3repE0EEENS1_30default_config_static_selectorELNS0_4arch9wavefront6targetE0EEEvSY_,comdat
	.globl	_ZN7rocprim17ROCPRIM_400000_NS6detail17trampoline_kernelINS0_13select_configILj256ELj13ELNS0_17block_load_methodE3ELS4_3ELS4_3ELNS0_20block_scan_algorithmE0ELj4294967295EEENS1_25partition_config_selectorILNS1_17partition_subalgoE3EjNS0_10empty_typeEbEEZZNS1_14partition_implILS8_3ELb0ES6_jNS0_17counting_iteratorIjlEEPS9_SE_NS0_5tupleIJPjSE_EEENSF_IJSE_SE_EEES9_SG_JZNS1_25segmented_radix_sort_implINS0_14default_configELb1EPKbPbPKlPlN2at6native12_GLOBAL__N_18offset_tEEE10hipError_tPvRmT1_PNSt15iterator_traitsISY_E10value_typeET2_T3_PNSZ_IS14_E10value_typeET4_jRbjT5_S1A_jjP12ihipStream_tbEUljE_EEESV_SW_SX_S14_S18_S1A_T6_T7_T9_mT8_S1C_bDpT10_ENKUlT_T0_E_clISt17integral_constantIbLb0EES1P_EEDaS1K_S1L_EUlS1K_E_NS1_11comp_targetILNS1_3genE9ELNS1_11target_archE1100ELNS1_3gpuE3ELNS1_3repE0EEENS1_30default_config_static_selectorELNS0_4arch9wavefront6targetE0EEEvSY_ ; -- Begin function _ZN7rocprim17ROCPRIM_400000_NS6detail17trampoline_kernelINS0_13select_configILj256ELj13ELNS0_17block_load_methodE3ELS4_3ELS4_3ELNS0_20block_scan_algorithmE0ELj4294967295EEENS1_25partition_config_selectorILNS1_17partition_subalgoE3EjNS0_10empty_typeEbEEZZNS1_14partition_implILS8_3ELb0ES6_jNS0_17counting_iteratorIjlEEPS9_SE_NS0_5tupleIJPjSE_EEENSF_IJSE_SE_EEES9_SG_JZNS1_25segmented_radix_sort_implINS0_14default_configELb1EPKbPbPKlPlN2at6native12_GLOBAL__N_18offset_tEEE10hipError_tPvRmT1_PNSt15iterator_traitsISY_E10value_typeET2_T3_PNSZ_IS14_E10value_typeET4_jRbjT5_S1A_jjP12ihipStream_tbEUljE_EEESV_SW_SX_S14_S18_S1A_T6_T7_T9_mT8_S1C_bDpT10_ENKUlT_T0_E_clISt17integral_constantIbLb0EES1P_EEDaS1K_S1L_EUlS1K_E_NS1_11comp_targetILNS1_3genE9ELNS1_11target_archE1100ELNS1_3gpuE3ELNS1_3repE0EEENS1_30default_config_static_selectorELNS0_4arch9wavefront6targetE0EEEvSY_
	.p2align	8
	.type	_ZN7rocprim17ROCPRIM_400000_NS6detail17trampoline_kernelINS0_13select_configILj256ELj13ELNS0_17block_load_methodE3ELS4_3ELS4_3ELNS0_20block_scan_algorithmE0ELj4294967295EEENS1_25partition_config_selectorILNS1_17partition_subalgoE3EjNS0_10empty_typeEbEEZZNS1_14partition_implILS8_3ELb0ES6_jNS0_17counting_iteratorIjlEEPS9_SE_NS0_5tupleIJPjSE_EEENSF_IJSE_SE_EEES9_SG_JZNS1_25segmented_radix_sort_implINS0_14default_configELb1EPKbPbPKlPlN2at6native12_GLOBAL__N_18offset_tEEE10hipError_tPvRmT1_PNSt15iterator_traitsISY_E10value_typeET2_T3_PNSZ_IS14_E10value_typeET4_jRbjT5_S1A_jjP12ihipStream_tbEUljE_EEESV_SW_SX_S14_S18_S1A_T6_T7_T9_mT8_S1C_bDpT10_ENKUlT_T0_E_clISt17integral_constantIbLb0EES1P_EEDaS1K_S1L_EUlS1K_E_NS1_11comp_targetILNS1_3genE9ELNS1_11target_archE1100ELNS1_3gpuE3ELNS1_3repE0EEENS1_30default_config_static_selectorELNS0_4arch9wavefront6targetE0EEEvSY_,@function
_ZN7rocprim17ROCPRIM_400000_NS6detail17trampoline_kernelINS0_13select_configILj256ELj13ELNS0_17block_load_methodE3ELS4_3ELS4_3ELNS0_20block_scan_algorithmE0ELj4294967295EEENS1_25partition_config_selectorILNS1_17partition_subalgoE3EjNS0_10empty_typeEbEEZZNS1_14partition_implILS8_3ELb0ES6_jNS0_17counting_iteratorIjlEEPS9_SE_NS0_5tupleIJPjSE_EEENSF_IJSE_SE_EEES9_SG_JZNS1_25segmented_radix_sort_implINS0_14default_configELb1EPKbPbPKlPlN2at6native12_GLOBAL__N_18offset_tEEE10hipError_tPvRmT1_PNSt15iterator_traitsISY_E10value_typeET2_T3_PNSZ_IS14_E10value_typeET4_jRbjT5_S1A_jjP12ihipStream_tbEUljE_EEESV_SW_SX_S14_S18_S1A_T6_T7_T9_mT8_S1C_bDpT10_ENKUlT_T0_E_clISt17integral_constantIbLb0EES1P_EEDaS1K_S1L_EUlS1K_E_NS1_11comp_targetILNS1_3genE9ELNS1_11target_archE1100ELNS1_3gpuE3ELNS1_3repE0EEENS1_30default_config_static_selectorELNS0_4arch9wavefront6targetE0EEEvSY_: ; @_ZN7rocprim17ROCPRIM_400000_NS6detail17trampoline_kernelINS0_13select_configILj256ELj13ELNS0_17block_load_methodE3ELS4_3ELS4_3ELNS0_20block_scan_algorithmE0ELj4294967295EEENS1_25partition_config_selectorILNS1_17partition_subalgoE3EjNS0_10empty_typeEbEEZZNS1_14partition_implILS8_3ELb0ES6_jNS0_17counting_iteratorIjlEEPS9_SE_NS0_5tupleIJPjSE_EEENSF_IJSE_SE_EEES9_SG_JZNS1_25segmented_radix_sort_implINS0_14default_configELb1EPKbPbPKlPlN2at6native12_GLOBAL__N_18offset_tEEE10hipError_tPvRmT1_PNSt15iterator_traitsISY_E10value_typeET2_T3_PNSZ_IS14_E10value_typeET4_jRbjT5_S1A_jjP12ihipStream_tbEUljE_EEESV_SW_SX_S14_S18_S1A_T6_T7_T9_mT8_S1C_bDpT10_ENKUlT_T0_E_clISt17integral_constantIbLb0EES1P_EEDaS1K_S1L_EUlS1K_E_NS1_11comp_targetILNS1_3genE9ELNS1_11target_archE1100ELNS1_3gpuE3ELNS1_3repE0EEENS1_30default_config_static_selectorELNS0_4arch9wavefront6targetE0EEEvSY_
; %bb.0:
	.section	.rodata,"a",@progbits
	.p2align	6, 0x0
	.amdhsa_kernel _ZN7rocprim17ROCPRIM_400000_NS6detail17trampoline_kernelINS0_13select_configILj256ELj13ELNS0_17block_load_methodE3ELS4_3ELS4_3ELNS0_20block_scan_algorithmE0ELj4294967295EEENS1_25partition_config_selectorILNS1_17partition_subalgoE3EjNS0_10empty_typeEbEEZZNS1_14partition_implILS8_3ELb0ES6_jNS0_17counting_iteratorIjlEEPS9_SE_NS0_5tupleIJPjSE_EEENSF_IJSE_SE_EEES9_SG_JZNS1_25segmented_radix_sort_implINS0_14default_configELb1EPKbPbPKlPlN2at6native12_GLOBAL__N_18offset_tEEE10hipError_tPvRmT1_PNSt15iterator_traitsISY_E10value_typeET2_T3_PNSZ_IS14_E10value_typeET4_jRbjT5_S1A_jjP12ihipStream_tbEUljE_EEESV_SW_SX_S14_S18_S1A_T6_T7_T9_mT8_S1C_bDpT10_ENKUlT_T0_E_clISt17integral_constantIbLb0EES1P_EEDaS1K_S1L_EUlS1K_E_NS1_11comp_targetILNS1_3genE9ELNS1_11target_archE1100ELNS1_3gpuE3ELNS1_3repE0EEENS1_30default_config_static_selectorELNS0_4arch9wavefront6targetE0EEEvSY_
		.amdhsa_group_segment_fixed_size 0
		.amdhsa_private_segment_fixed_size 0
		.amdhsa_kernarg_size 144
		.amdhsa_user_sgpr_count 6
		.amdhsa_user_sgpr_private_segment_buffer 1
		.amdhsa_user_sgpr_dispatch_ptr 0
		.amdhsa_user_sgpr_queue_ptr 0
		.amdhsa_user_sgpr_kernarg_segment_ptr 1
		.amdhsa_user_sgpr_dispatch_id 0
		.amdhsa_user_sgpr_flat_scratch_init 0
		.amdhsa_user_sgpr_private_segment_size 0
		.amdhsa_wavefront_size32 1
		.amdhsa_uses_dynamic_stack 0
		.amdhsa_system_sgpr_private_segment_wavefront_offset 0
		.amdhsa_system_sgpr_workgroup_id_x 1
		.amdhsa_system_sgpr_workgroup_id_y 0
		.amdhsa_system_sgpr_workgroup_id_z 0
		.amdhsa_system_sgpr_workgroup_info 0
		.amdhsa_system_vgpr_workitem_id 0
		.amdhsa_next_free_vgpr 1
		.amdhsa_next_free_sgpr 1
		.amdhsa_reserve_vcc 0
		.amdhsa_reserve_flat_scratch 0
		.amdhsa_float_round_mode_32 0
		.amdhsa_float_round_mode_16_64 0
		.amdhsa_float_denorm_mode_32 3
		.amdhsa_float_denorm_mode_16_64 3
		.amdhsa_dx10_clamp 1
		.amdhsa_ieee_mode 1
		.amdhsa_fp16_overflow 0
		.amdhsa_workgroup_processor_mode 1
		.amdhsa_memory_ordered 1
		.amdhsa_forward_progress 1
		.amdhsa_shared_vgpr_count 0
		.amdhsa_exception_fp_ieee_invalid_op 0
		.amdhsa_exception_fp_denorm_src 0
		.amdhsa_exception_fp_ieee_div_zero 0
		.amdhsa_exception_fp_ieee_overflow 0
		.amdhsa_exception_fp_ieee_underflow 0
		.amdhsa_exception_fp_ieee_inexact 0
		.amdhsa_exception_int_div_zero 0
	.end_amdhsa_kernel
	.section	.text._ZN7rocprim17ROCPRIM_400000_NS6detail17trampoline_kernelINS0_13select_configILj256ELj13ELNS0_17block_load_methodE3ELS4_3ELS4_3ELNS0_20block_scan_algorithmE0ELj4294967295EEENS1_25partition_config_selectorILNS1_17partition_subalgoE3EjNS0_10empty_typeEbEEZZNS1_14partition_implILS8_3ELb0ES6_jNS0_17counting_iteratorIjlEEPS9_SE_NS0_5tupleIJPjSE_EEENSF_IJSE_SE_EEES9_SG_JZNS1_25segmented_radix_sort_implINS0_14default_configELb1EPKbPbPKlPlN2at6native12_GLOBAL__N_18offset_tEEE10hipError_tPvRmT1_PNSt15iterator_traitsISY_E10value_typeET2_T3_PNSZ_IS14_E10value_typeET4_jRbjT5_S1A_jjP12ihipStream_tbEUljE_EEESV_SW_SX_S14_S18_S1A_T6_T7_T9_mT8_S1C_bDpT10_ENKUlT_T0_E_clISt17integral_constantIbLb0EES1P_EEDaS1K_S1L_EUlS1K_E_NS1_11comp_targetILNS1_3genE9ELNS1_11target_archE1100ELNS1_3gpuE3ELNS1_3repE0EEENS1_30default_config_static_selectorELNS0_4arch9wavefront6targetE0EEEvSY_,"axG",@progbits,_ZN7rocprim17ROCPRIM_400000_NS6detail17trampoline_kernelINS0_13select_configILj256ELj13ELNS0_17block_load_methodE3ELS4_3ELS4_3ELNS0_20block_scan_algorithmE0ELj4294967295EEENS1_25partition_config_selectorILNS1_17partition_subalgoE3EjNS0_10empty_typeEbEEZZNS1_14partition_implILS8_3ELb0ES6_jNS0_17counting_iteratorIjlEEPS9_SE_NS0_5tupleIJPjSE_EEENSF_IJSE_SE_EEES9_SG_JZNS1_25segmented_radix_sort_implINS0_14default_configELb1EPKbPbPKlPlN2at6native12_GLOBAL__N_18offset_tEEE10hipError_tPvRmT1_PNSt15iterator_traitsISY_E10value_typeET2_T3_PNSZ_IS14_E10value_typeET4_jRbjT5_S1A_jjP12ihipStream_tbEUljE_EEESV_SW_SX_S14_S18_S1A_T6_T7_T9_mT8_S1C_bDpT10_ENKUlT_T0_E_clISt17integral_constantIbLb0EES1P_EEDaS1K_S1L_EUlS1K_E_NS1_11comp_targetILNS1_3genE9ELNS1_11target_archE1100ELNS1_3gpuE3ELNS1_3repE0EEENS1_30default_config_static_selectorELNS0_4arch9wavefront6targetE0EEEvSY_,comdat
.Lfunc_end1498:
	.size	_ZN7rocprim17ROCPRIM_400000_NS6detail17trampoline_kernelINS0_13select_configILj256ELj13ELNS0_17block_load_methodE3ELS4_3ELS4_3ELNS0_20block_scan_algorithmE0ELj4294967295EEENS1_25partition_config_selectorILNS1_17partition_subalgoE3EjNS0_10empty_typeEbEEZZNS1_14partition_implILS8_3ELb0ES6_jNS0_17counting_iteratorIjlEEPS9_SE_NS0_5tupleIJPjSE_EEENSF_IJSE_SE_EEES9_SG_JZNS1_25segmented_radix_sort_implINS0_14default_configELb1EPKbPbPKlPlN2at6native12_GLOBAL__N_18offset_tEEE10hipError_tPvRmT1_PNSt15iterator_traitsISY_E10value_typeET2_T3_PNSZ_IS14_E10value_typeET4_jRbjT5_S1A_jjP12ihipStream_tbEUljE_EEESV_SW_SX_S14_S18_S1A_T6_T7_T9_mT8_S1C_bDpT10_ENKUlT_T0_E_clISt17integral_constantIbLb0EES1P_EEDaS1K_S1L_EUlS1K_E_NS1_11comp_targetILNS1_3genE9ELNS1_11target_archE1100ELNS1_3gpuE3ELNS1_3repE0EEENS1_30default_config_static_selectorELNS0_4arch9wavefront6targetE0EEEvSY_, .Lfunc_end1498-_ZN7rocprim17ROCPRIM_400000_NS6detail17trampoline_kernelINS0_13select_configILj256ELj13ELNS0_17block_load_methodE3ELS4_3ELS4_3ELNS0_20block_scan_algorithmE0ELj4294967295EEENS1_25partition_config_selectorILNS1_17partition_subalgoE3EjNS0_10empty_typeEbEEZZNS1_14partition_implILS8_3ELb0ES6_jNS0_17counting_iteratorIjlEEPS9_SE_NS0_5tupleIJPjSE_EEENSF_IJSE_SE_EEES9_SG_JZNS1_25segmented_radix_sort_implINS0_14default_configELb1EPKbPbPKlPlN2at6native12_GLOBAL__N_18offset_tEEE10hipError_tPvRmT1_PNSt15iterator_traitsISY_E10value_typeET2_T3_PNSZ_IS14_E10value_typeET4_jRbjT5_S1A_jjP12ihipStream_tbEUljE_EEESV_SW_SX_S14_S18_S1A_T6_T7_T9_mT8_S1C_bDpT10_ENKUlT_T0_E_clISt17integral_constantIbLb0EES1P_EEDaS1K_S1L_EUlS1K_E_NS1_11comp_targetILNS1_3genE9ELNS1_11target_archE1100ELNS1_3gpuE3ELNS1_3repE0EEENS1_30default_config_static_selectorELNS0_4arch9wavefront6targetE0EEEvSY_
                                        ; -- End function
	.set _ZN7rocprim17ROCPRIM_400000_NS6detail17trampoline_kernelINS0_13select_configILj256ELj13ELNS0_17block_load_methodE3ELS4_3ELS4_3ELNS0_20block_scan_algorithmE0ELj4294967295EEENS1_25partition_config_selectorILNS1_17partition_subalgoE3EjNS0_10empty_typeEbEEZZNS1_14partition_implILS8_3ELb0ES6_jNS0_17counting_iteratorIjlEEPS9_SE_NS0_5tupleIJPjSE_EEENSF_IJSE_SE_EEES9_SG_JZNS1_25segmented_radix_sort_implINS0_14default_configELb1EPKbPbPKlPlN2at6native12_GLOBAL__N_18offset_tEEE10hipError_tPvRmT1_PNSt15iterator_traitsISY_E10value_typeET2_T3_PNSZ_IS14_E10value_typeET4_jRbjT5_S1A_jjP12ihipStream_tbEUljE_EEESV_SW_SX_S14_S18_S1A_T6_T7_T9_mT8_S1C_bDpT10_ENKUlT_T0_E_clISt17integral_constantIbLb0EES1P_EEDaS1K_S1L_EUlS1K_E_NS1_11comp_targetILNS1_3genE9ELNS1_11target_archE1100ELNS1_3gpuE3ELNS1_3repE0EEENS1_30default_config_static_selectorELNS0_4arch9wavefront6targetE0EEEvSY_.num_vgpr, 0
	.set _ZN7rocprim17ROCPRIM_400000_NS6detail17trampoline_kernelINS0_13select_configILj256ELj13ELNS0_17block_load_methodE3ELS4_3ELS4_3ELNS0_20block_scan_algorithmE0ELj4294967295EEENS1_25partition_config_selectorILNS1_17partition_subalgoE3EjNS0_10empty_typeEbEEZZNS1_14partition_implILS8_3ELb0ES6_jNS0_17counting_iteratorIjlEEPS9_SE_NS0_5tupleIJPjSE_EEENSF_IJSE_SE_EEES9_SG_JZNS1_25segmented_radix_sort_implINS0_14default_configELb1EPKbPbPKlPlN2at6native12_GLOBAL__N_18offset_tEEE10hipError_tPvRmT1_PNSt15iterator_traitsISY_E10value_typeET2_T3_PNSZ_IS14_E10value_typeET4_jRbjT5_S1A_jjP12ihipStream_tbEUljE_EEESV_SW_SX_S14_S18_S1A_T6_T7_T9_mT8_S1C_bDpT10_ENKUlT_T0_E_clISt17integral_constantIbLb0EES1P_EEDaS1K_S1L_EUlS1K_E_NS1_11comp_targetILNS1_3genE9ELNS1_11target_archE1100ELNS1_3gpuE3ELNS1_3repE0EEENS1_30default_config_static_selectorELNS0_4arch9wavefront6targetE0EEEvSY_.num_agpr, 0
	.set _ZN7rocprim17ROCPRIM_400000_NS6detail17trampoline_kernelINS0_13select_configILj256ELj13ELNS0_17block_load_methodE3ELS4_3ELS4_3ELNS0_20block_scan_algorithmE0ELj4294967295EEENS1_25partition_config_selectorILNS1_17partition_subalgoE3EjNS0_10empty_typeEbEEZZNS1_14partition_implILS8_3ELb0ES6_jNS0_17counting_iteratorIjlEEPS9_SE_NS0_5tupleIJPjSE_EEENSF_IJSE_SE_EEES9_SG_JZNS1_25segmented_radix_sort_implINS0_14default_configELb1EPKbPbPKlPlN2at6native12_GLOBAL__N_18offset_tEEE10hipError_tPvRmT1_PNSt15iterator_traitsISY_E10value_typeET2_T3_PNSZ_IS14_E10value_typeET4_jRbjT5_S1A_jjP12ihipStream_tbEUljE_EEESV_SW_SX_S14_S18_S1A_T6_T7_T9_mT8_S1C_bDpT10_ENKUlT_T0_E_clISt17integral_constantIbLb0EES1P_EEDaS1K_S1L_EUlS1K_E_NS1_11comp_targetILNS1_3genE9ELNS1_11target_archE1100ELNS1_3gpuE3ELNS1_3repE0EEENS1_30default_config_static_selectorELNS0_4arch9wavefront6targetE0EEEvSY_.numbered_sgpr, 0
	.set _ZN7rocprim17ROCPRIM_400000_NS6detail17trampoline_kernelINS0_13select_configILj256ELj13ELNS0_17block_load_methodE3ELS4_3ELS4_3ELNS0_20block_scan_algorithmE0ELj4294967295EEENS1_25partition_config_selectorILNS1_17partition_subalgoE3EjNS0_10empty_typeEbEEZZNS1_14partition_implILS8_3ELb0ES6_jNS0_17counting_iteratorIjlEEPS9_SE_NS0_5tupleIJPjSE_EEENSF_IJSE_SE_EEES9_SG_JZNS1_25segmented_radix_sort_implINS0_14default_configELb1EPKbPbPKlPlN2at6native12_GLOBAL__N_18offset_tEEE10hipError_tPvRmT1_PNSt15iterator_traitsISY_E10value_typeET2_T3_PNSZ_IS14_E10value_typeET4_jRbjT5_S1A_jjP12ihipStream_tbEUljE_EEESV_SW_SX_S14_S18_S1A_T6_T7_T9_mT8_S1C_bDpT10_ENKUlT_T0_E_clISt17integral_constantIbLb0EES1P_EEDaS1K_S1L_EUlS1K_E_NS1_11comp_targetILNS1_3genE9ELNS1_11target_archE1100ELNS1_3gpuE3ELNS1_3repE0EEENS1_30default_config_static_selectorELNS0_4arch9wavefront6targetE0EEEvSY_.num_named_barrier, 0
	.set _ZN7rocprim17ROCPRIM_400000_NS6detail17trampoline_kernelINS0_13select_configILj256ELj13ELNS0_17block_load_methodE3ELS4_3ELS4_3ELNS0_20block_scan_algorithmE0ELj4294967295EEENS1_25partition_config_selectorILNS1_17partition_subalgoE3EjNS0_10empty_typeEbEEZZNS1_14partition_implILS8_3ELb0ES6_jNS0_17counting_iteratorIjlEEPS9_SE_NS0_5tupleIJPjSE_EEENSF_IJSE_SE_EEES9_SG_JZNS1_25segmented_radix_sort_implINS0_14default_configELb1EPKbPbPKlPlN2at6native12_GLOBAL__N_18offset_tEEE10hipError_tPvRmT1_PNSt15iterator_traitsISY_E10value_typeET2_T3_PNSZ_IS14_E10value_typeET4_jRbjT5_S1A_jjP12ihipStream_tbEUljE_EEESV_SW_SX_S14_S18_S1A_T6_T7_T9_mT8_S1C_bDpT10_ENKUlT_T0_E_clISt17integral_constantIbLb0EES1P_EEDaS1K_S1L_EUlS1K_E_NS1_11comp_targetILNS1_3genE9ELNS1_11target_archE1100ELNS1_3gpuE3ELNS1_3repE0EEENS1_30default_config_static_selectorELNS0_4arch9wavefront6targetE0EEEvSY_.private_seg_size, 0
	.set _ZN7rocprim17ROCPRIM_400000_NS6detail17trampoline_kernelINS0_13select_configILj256ELj13ELNS0_17block_load_methodE3ELS4_3ELS4_3ELNS0_20block_scan_algorithmE0ELj4294967295EEENS1_25partition_config_selectorILNS1_17partition_subalgoE3EjNS0_10empty_typeEbEEZZNS1_14partition_implILS8_3ELb0ES6_jNS0_17counting_iteratorIjlEEPS9_SE_NS0_5tupleIJPjSE_EEENSF_IJSE_SE_EEES9_SG_JZNS1_25segmented_radix_sort_implINS0_14default_configELb1EPKbPbPKlPlN2at6native12_GLOBAL__N_18offset_tEEE10hipError_tPvRmT1_PNSt15iterator_traitsISY_E10value_typeET2_T3_PNSZ_IS14_E10value_typeET4_jRbjT5_S1A_jjP12ihipStream_tbEUljE_EEESV_SW_SX_S14_S18_S1A_T6_T7_T9_mT8_S1C_bDpT10_ENKUlT_T0_E_clISt17integral_constantIbLb0EES1P_EEDaS1K_S1L_EUlS1K_E_NS1_11comp_targetILNS1_3genE9ELNS1_11target_archE1100ELNS1_3gpuE3ELNS1_3repE0EEENS1_30default_config_static_selectorELNS0_4arch9wavefront6targetE0EEEvSY_.uses_vcc, 0
	.set _ZN7rocprim17ROCPRIM_400000_NS6detail17trampoline_kernelINS0_13select_configILj256ELj13ELNS0_17block_load_methodE3ELS4_3ELS4_3ELNS0_20block_scan_algorithmE0ELj4294967295EEENS1_25partition_config_selectorILNS1_17partition_subalgoE3EjNS0_10empty_typeEbEEZZNS1_14partition_implILS8_3ELb0ES6_jNS0_17counting_iteratorIjlEEPS9_SE_NS0_5tupleIJPjSE_EEENSF_IJSE_SE_EEES9_SG_JZNS1_25segmented_radix_sort_implINS0_14default_configELb1EPKbPbPKlPlN2at6native12_GLOBAL__N_18offset_tEEE10hipError_tPvRmT1_PNSt15iterator_traitsISY_E10value_typeET2_T3_PNSZ_IS14_E10value_typeET4_jRbjT5_S1A_jjP12ihipStream_tbEUljE_EEESV_SW_SX_S14_S18_S1A_T6_T7_T9_mT8_S1C_bDpT10_ENKUlT_T0_E_clISt17integral_constantIbLb0EES1P_EEDaS1K_S1L_EUlS1K_E_NS1_11comp_targetILNS1_3genE9ELNS1_11target_archE1100ELNS1_3gpuE3ELNS1_3repE0EEENS1_30default_config_static_selectorELNS0_4arch9wavefront6targetE0EEEvSY_.uses_flat_scratch, 0
	.set _ZN7rocprim17ROCPRIM_400000_NS6detail17trampoline_kernelINS0_13select_configILj256ELj13ELNS0_17block_load_methodE3ELS4_3ELS4_3ELNS0_20block_scan_algorithmE0ELj4294967295EEENS1_25partition_config_selectorILNS1_17partition_subalgoE3EjNS0_10empty_typeEbEEZZNS1_14partition_implILS8_3ELb0ES6_jNS0_17counting_iteratorIjlEEPS9_SE_NS0_5tupleIJPjSE_EEENSF_IJSE_SE_EEES9_SG_JZNS1_25segmented_radix_sort_implINS0_14default_configELb1EPKbPbPKlPlN2at6native12_GLOBAL__N_18offset_tEEE10hipError_tPvRmT1_PNSt15iterator_traitsISY_E10value_typeET2_T3_PNSZ_IS14_E10value_typeET4_jRbjT5_S1A_jjP12ihipStream_tbEUljE_EEESV_SW_SX_S14_S18_S1A_T6_T7_T9_mT8_S1C_bDpT10_ENKUlT_T0_E_clISt17integral_constantIbLb0EES1P_EEDaS1K_S1L_EUlS1K_E_NS1_11comp_targetILNS1_3genE9ELNS1_11target_archE1100ELNS1_3gpuE3ELNS1_3repE0EEENS1_30default_config_static_selectorELNS0_4arch9wavefront6targetE0EEEvSY_.has_dyn_sized_stack, 0
	.set _ZN7rocprim17ROCPRIM_400000_NS6detail17trampoline_kernelINS0_13select_configILj256ELj13ELNS0_17block_load_methodE3ELS4_3ELS4_3ELNS0_20block_scan_algorithmE0ELj4294967295EEENS1_25partition_config_selectorILNS1_17partition_subalgoE3EjNS0_10empty_typeEbEEZZNS1_14partition_implILS8_3ELb0ES6_jNS0_17counting_iteratorIjlEEPS9_SE_NS0_5tupleIJPjSE_EEENSF_IJSE_SE_EEES9_SG_JZNS1_25segmented_radix_sort_implINS0_14default_configELb1EPKbPbPKlPlN2at6native12_GLOBAL__N_18offset_tEEE10hipError_tPvRmT1_PNSt15iterator_traitsISY_E10value_typeET2_T3_PNSZ_IS14_E10value_typeET4_jRbjT5_S1A_jjP12ihipStream_tbEUljE_EEESV_SW_SX_S14_S18_S1A_T6_T7_T9_mT8_S1C_bDpT10_ENKUlT_T0_E_clISt17integral_constantIbLb0EES1P_EEDaS1K_S1L_EUlS1K_E_NS1_11comp_targetILNS1_3genE9ELNS1_11target_archE1100ELNS1_3gpuE3ELNS1_3repE0EEENS1_30default_config_static_selectorELNS0_4arch9wavefront6targetE0EEEvSY_.has_recursion, 0
	.set _ZN7rocprim17ROCPRIM_400000_NS6detail17trampoline_kernelINS0_13select_configILj256ELj13ELNS0_17block_load_methodE3ELS4_3ELS4_3ELNS0_20block_scan_algorithmE0ELj4294967295EEENS1_25partition_config_selectorILNS1_17partition_subalgoE3EjNS0_10empty_typeEbEEZZNS1_14partition_implILS8_3ELb0ES6_jNS0_17counting_iteratorIjlEEPS9_SE_NS0_5tupleIJPjSE_EEENSF_IJSE_SE_EEES9_SG_JZNS1_25segmented_radix_sort_implINS0_14default_configELb1EPKbPbPKlPlN2at6native12_GLOBAL__N_18offset_tEEE10hipError_tPvRmT1_PNSt15iterator_traitsISY_E10value_typeET2_T3_PNSZ_IS14_E10value_typeET4_jRbjT5_S1A_jjP12ihipStream_tbEUljE_EEESV_SW_SX_S14_S18_S1A_T6_T7_T9_mT8_S1C_bDpT10_ENKUlT_T0_E_clISt17integral_constantIbLb0EES1P_EEDaS1K_S1L_EUlS1K_E_NS1_11comp_targetILNS1_3genE9ELNS1_11target_archE1100ELNS1_3gpuE3ELNS1_3repE0EEENS1_30default_config_static_selectorELNS0_4arch9wavefront6targetE0EEEvSY_.has_indirect_call, 0
	.section	.AMDGPU.csdata,"",@progbits
; Kernel info:
; codeLenInByte = 0
; TotalNumSgprs: 0
; NumVgprs: 0
; ScratchSize: 0
; MemoryBound: 0
; FloatMode: 240
; IeeeMode: 1
; LDSByteSize: 0 bytes/workgroup (compile time only)
; SGPRBlocks: 0
; VGPRBlocks: 0
; NumSGPRsForWavesPerEU: 1
; NumVGPRsForWavesPerEU: 1
; Occupancy: 16
; WaveLimiterHint : 0
; COMPUTE_PGM_RSRC2:SCRATCH_EN: 0
; COMPUTE_PGM_RSRC2:USER_SGPR: 6
; COMPUTE_PGM_RSRC2:TRAP_HANDLER: 0
; COMPUTE_PGM_RSRC2:TGID_X_EN: 1
; COMPUTE_PGM_RSRC2:TGID_Y_EN: 0
; COMPUTE_PGM_RSRC2:TGID_Z_EN: 0
; COMPUTE_PGM_RSRC2:TIDIG_COMP_CNT: 0
	.section	.text._ZN7rocprim17ROCPRIM_400000_NS6detail17trampoline_kernelINS0_13select_configILj256ELj13ELNS0_17block_load_methodE3ELS4_3ELS4_3ELNS0_20block_scan_algorithmE0ELj4294967295EEENS1_25partition_config_selectorILNS1_17partition_subalgoE3EjNS0_10empty_typeEbEEZZNS1_14partition_implILS8_3ELb0ES6_jNS0_17counting_iteratorIjlEEPS9_SE_NS0_5tupleIJPjSE_EEENSF_IJSE_SE_EEES9_SG_JZNS1_25segmented_radix_sort_implINS0_14default_configELb1EPKbPbPKlPlN2at6native12_GLOBAL__N_18offset_tEEE10hipError_tPvRmT1_PNSt15iterator_traitsISY_E10value_typeET2_T3_PNSZ_IS14_E10value_typeET4_jRbjT5_S1A_jjP12ihipStream_tbEUljE_EEESV_SW_SX_S14_S18_S1A_T6_T7_T9_mT8_S1C_bDpT10_ENKUlT_T0_E_clISt17integral_constantIbLb0EES1P_EEDaS1K_S1L_EUlS1K_E_NS1_11comp_targetILNS1_3genE8ELNS1_11target_archE1030ELNS1_3gpuE2ELNS1_3repE0EEENS1_30default_config_static_selectorELNS0_4arch9wavefront6targetE0EEEvSY_,"axG",@progbits,_ZN7rocprim17ROCPRIM_400000_NS6detail17trampoline_kernelINS0_13select_configILj256ELj13ELNS0_17block_load_methodE3ELS4_3ELS4_3ELNS0_20block_scan_algorithmE0ELj4294967295EEENS1_25partition_config_selectorILNS1_17partition_subalgoE3EjNS0_10empty_typeEbEEZZNS1_14partition_implILS8_3ELb0ES6_jNS0_17counting_iteratorIjlEEPS9_SE_NS0_5tupleIJPjSE_EEENSF_IJSE_SE_EEES9_SG_JZNS1_25segmented_radix_sort_implINS0_14default_configELb1EPKbPbPKlPlN2at6native12_GLOBAL__N_18offset_tEEE10hipError_tPvRmT1_PNSt15iterator_traitsISY_E10value_typeET2_T3_PNSZ_IS14_E10value_typeET4_jRbjT5_S1A_jjP12ihipStream_tbEUljE_EEESV_SW_SX_S14_S18_S1A_T6_T7_T9_mT8_S1C_bDpT10_ENKUlT_T0_E_clISt17integral_constantIbLb0EES1P_EEDaS1K_S1L_EUlS1K_E_NS1_11comp_targetILNS1_3genE8ELNS1_11target_archE1030ELNS1_3gpuE2ELNS1_3repE0EEENS1_30default_config_static_selectorELNS0_4arch9wavefront6targetE0EEEvSY_,comdat
	.globl	_ZN7rocprim17ROCPRIM_400000_NS6detail17trampoline_kernelINS0_13select_configILj256ELj13ELNS0_17block_load_methodE3ELS4_3ELS4_3ELNS0_20block_scan_algorithmE0ELj4294967295EEENS1_25partition_config_selectorILNS1_17partition_subalgoE3EjNS0_10empty_typeEbEEZZNS1_14partition_implILS8_3ELb0ES6_jNS0_17counting_iteratorIjlEEPS9_SE_NS0_5tupleIJPjSE_EEENSF_IJSE_SE_EEES9_SG_JZNS1_25segmented_radix_sort_implINS0_14default_configELb1EPKbPbPKlPlN2at6native12_GLOBAL__N_18offset_tEEE10hipError_tPvRmT1_PNSt15iterator_traitsISY_E10value_typeET2_T3_PNSZ_IS14_E10value_typeET4_jRbjT5_S1A_jjP12ihipStream_tbEUljE_EEESV_SW_SX_S14_S18_S1A_T6_T7_T9_mT8_S1C_bDpT10_ENKUlT_T0_E_clISt17integral_constantIbLb0EES1P_EEDaS1K_S1L_EUlS1K_E_NS1_11comp_targetILNS1_3genE8ELNS1_11target_archE1030ELNS1_3gpuE2ELNS1_3repE0EEENS1_30default_config_static_selectorELNS0_4arch9wavefront6targetE0EEEvSY_ ; -- Begin function _ZN7rocprim17ROCPRIM_400000_NS6detail17trampoline_kernelINS0_13select_configILj256ELj13ELNS0_17block_load_methodE3ELS4_3ELS4_3ELNS0_20block_scan_algorithmE0ELj4294967295EEENS1_25partition_config_selectorILNS1_17partition_subalgoE3EjNS0_10empty_typeEbEEZZNS1_14partition_implILS8_3ELb0ES6_jNS0_17counting_iteratorIjlEEPS9_SE_NS0_5tupleIJPjSE_EEENSF_IJSE_SE_EEES9_SG_JZNS1_25segmented_radix_sort_implINS0_14default_configELb1EPKbPbPKlPlN2at6native12_GLOBAL__N_18offset_tEEE10hipError_tPvRmT1_PNSt15iterator_traitsISY_E10value_typeET2_T3_PNSZ_IS14_E10value_typeET4_jRbjT5_S1A_jjP12ihipStream_tbEUljE_EEESV_SW_SX_S14_S18_S1A_T6_T7_T9_mT8_S1C_bDpT10_ENKUlT_T0_E_clISt17integral_constantIbLb0EES1P_EEDaS1K_S1L_EUlS1K_E_NS1_11comp_targetILNS1_3genE8ELNS1_11target_archE1030ELNS1_3gpuE2ELNS1_3repE0EEENS1_30default_config_static_selectorELNS0_4arch9wavefront6targetE0EEEvSY_
	.p2align	8
	.type	_ZN7rocprim17ROCPRIM_400000_NS6detail17trampoline_kernelINS0_13select_configILj256ELj13ELNS0_17block_load_methodE3ELS4_3ELS4_3ELNS0_20block_scan_algorithmE0ELj4294967295EEENS1_25partition_config_selectorILNS1_17partition_subalgoE3EjNS0_10empty_typeEbEEZZNS1_14partition_implILS8_3ELb0ES6_jNS0_17counting_iteratorIjlEEPS9_SE_NS0_5tupleIJPjSE_EEENSF_IJSE_SE_EEES9_SG_JZNS1_25segmented_radix_sort_implINS0_14default_configELb1EPKbPbPKlPlN2at6native12_GLOBAL__N_18offset_tEEE10hipError_tPvRmT1_PNSt15iterator_traitsISY_E10value_typeET2_T3_PNSZ_IS14_E10value_typeET4_jRbjT5_S1A_jjP12ihipStream_tbEUljE_EEESV_SW_SX_S14_S18_S1A_T6_T7_T9_mT8_S1C_bDpT10_ENKUlT_T0_E_clISt17integral_constantIbLb0EES1P_EEDaS1K_S1L_EUlS1K_E_NS1_11comp_targetILNS1_3genE8ELNS1_11target_archE1030ELNS1_3gpuE2ELNS1_3repE0EEENS1_30default_config_static_selectorELNS0_4arch9wavefront6targetE0EEEvSY_,@function
_ZN7rocprim17ROCPRIM_400000_NS6detail17trampoline_kernelINS0_13select_configILj256ELj13ELNS0_17block_load_methodE3ELS4_3ELS4_3ELNS0_20block_scan_algorithmE0ELj4294967295EEENS1_25partition_config_selectorILNS1_17partition_subalgoE3EjNS0_10empty_typeEbEEZZNS1_14partition_implILS8_3ELb0ES6_jNS0_17counting_iteratorIjlEEPS9_SE_NS0_5tupleIJPjSE_EEENSF_IJSE_SE_EEES9_SG_JZNS1_25segmented_radix_sort_implINS0_14default_configELb1EPKbPbPKlPlN2at6native12_GLOBAL__N_18offset_tEEE10hipError_tPvRmT1_PNSt15iterator_traitsISY_E10value_typeET2_T3_PNSZ_IS14_E10value_typeET4_jRbjT5_S1A_jjP12ihipStream_tbEUljE_EEESV_SW_SX_S14_S18_S1A_T6_T7_T9_mT8_S1C_bDpT10_ENKUlT_T0_E_clISt17integral_constantIbLb0EES1P_EEDaS1K_S1L_EUlS1K_E_NS1_11comp_targetILNS1_3genE8ELNS1_11target_archE1030ELNS1_3gpuE2ELNS1_3repE0EEENS1_30default_config_static_selectorELNS0_4arch9wavefront6targetE0EEEvSY_: ; @_ZN7rocprim17ROCPRIM_400000_NS6detail17trampoline_kernelINS0_13select_configILj256ELj13ELNS0_17block_load_methodE3ELS4_3ELS4_3ELNS0_20block_scan_algorithmE0ELj4294967295EEENS1_25partition_config_selectorILNS1_17partition_subalgoE3EjNS0_10empty_typeEbEEZZNS1_14partition_implILS8_3ELb0ES6_jNS0_17counting_iteratorIjlEEPS9_SE_NS0_5tupleIJPjSE_EEENSF_IJSE_SE_EEES9_SG_JZNS1_25segmented_radix_sort_implINS0_14default_configELb1EPKbPbPKlPlN2at6native12_GLOBAL__N_18offset_tEEE10hipError_tPvRmT1_PNSt15iterator_traitsISY_E10value_typeET2_T3_PNSZ_IS14_E10value_typeET4_jRbjT5_S1A_jjP12ihipStream_tbEUljE_EEESV_SW_SX_S14_S18_S1A_T6_T7_T9_mT8_S1C_bDpT10_ENKUlT_T0_E_clISt17integral_constantIbLb0EES1P_EEDaS1K_S1L_EUlS1K_E_NS1_11comp_targetILNS1_3genE8ELNS1_11target_archE1030ELNS1_3gpuE2ELNS1_3repE0EEENS1_30default_config_static_selectorELNS0_4arch9wavefront6targetE0EEEvSY_
; %bb.0:
	s_clause 0x6
	s_load_dword s0, s[4:5], 0x70
	s_load_dwordx2 s[16:17], s[4:5], 0x10
	s_load_dwordx4 s[12:15], s[4:5], 0x48
	s_load_dwordx2 s[18:19], s[4:5], 0x58
	s_load_dword s7, s[4:5], 0x8
	s_load_dwordx4 s[8:11], s[4:5], 0x78
	s_load_dword s1, s[4:5], 0x88
	s_mul_i32 s26, s6, 0xd00
	v_lshlrev_b32_e32 v42, 2, v0
	s_waitcnt lgkmcnt(0)
	s_mul_i32 s2, s0, 0xd00
	s_add_i32 s0, s0, -1
	s_add_i32 s3, s2, s16
	s_load_dwordx2 s[20:21], s[14:15], 0x0
	s_sub_i32 s25, s18, s3
	s_addk_i32 s25, 0xd00
	s_add_u32 s2, s16, s2
	s_addc_u32 s3, s17, 0
	s_cmp_eq_u32 s6, s0
	v_cmp_gt_u64_e64 s2, s[18:19], s[2:3]
	s_cselect_b32 s24, -1, 0
	s_cmp_lg_u32 s6, s0
	s_cselect_b32 s0, -1, 0
	s_add_i32 s3, s7, s26
	s_or_b32 s2, s0, s2
	s_add_i32 s3, s3, s16
	s_and_b32 vcc_lo, exec_lo, s2
	v_add_nc_u32_e32 v1, s3, v0
	s_mov_b32 s7, -1
	s_cbranch_vccz .LBB1499_2
; %bb.1:
	v_add_nc_u32_e32 v2, 0x100, v1
	v_add_nc_u32_e32 v3, 0x200, v1
	;; [unrolled: 1-line block ×12, first 2 shown]
	ds_write2st64_b32 v42, v1, v2 offset1:4
	ds_write2st64_b32 v42, v3, v4 offset0:8 offset1:12
	ds_write2st64_b32 v42, v5, v6 offset0:16 offset1:20
	;; [unrolled: 1-line block ×5, first 2 shown]
	ds_write_b32 v42, v13 offset:12288
	s_waitcnt lgkmcnt(0)
	s_mov_b32 s7, 0
	s_barrier
.LBB1499_2:
	v_cmp_gt_u32_e64 s0, s25, v0
	v_or_b32_e32 v41, 0x100, v0
	v_or_b32_e32 v40, 0x200, v0
	;; [unrolled: 1-line block ×12, first 2 shown]
	s_andn2_b32 vcc_lo, exec_lo, s7
	s_cbranch_vccnz .LBB1499_4
; %bb.3:
	v_add_nc_u32_e32 v2, s3, v41
	v_cmp_gt_u32_e32 vcc_lo, s25, v41
	v_add_nc_u32_e32 v3, s3, v40
	v_add_nc_u32_e32 v4, s3, v39
	;; [unrolled: 1-line block ×4, first 2 shown]
	v_cndmask_b32_e32 v2, 0, v2, vcc_lo
	v_cmp_gt_u32_e32 vcc_lo, s25, v40
	v_add_nc_u32_e32 v7, s3, v36
	v_add_nc_u32_e32 v8, s3, v35
	;; [unrolled: 1-line block ×4, first 2 shown]
	v_cndmask_b32_e32 v3, 0, v3, vcc_lo
	v_cmp_gt_u32_e32 vcc_lo, s25, v39
	v_add_nc_u32_e32 v11, s3, v32
	v_add_nc_u32_e32 v12, s3, v31
	v_cndmask_b32_e64 v1, 0, v1, s0
	v_add_nc_u32_e32 v13, s3, v30
	v_cndmask_b32_e32 v4, 0, v4, vcc_lo
	v_cmp_gt_u32_e32 vcc_lo, s25, v38
	v_cndmask_b32_e32 v5, 0, v5, vcc_lo
	v_cmp_gt_u32_e32 vcc_lo, s25, v37
	;; [unrolled: 2-line block ×9, first 2 shown]
	v_cndmask_b32_e32 v13, 0, v13, vcc_lo
	ds_write2st64_b32 v42, v1, v2 offset1:4
	ds_write2st64_b32 v42, v3, v4 offset0:8 offset1:12
	ds_write2st64_b32 v42, v5, v6 offset0:16 offset1:20
	;; [unrolled: 1-line block ×5, first 2 shown]
	ds_write_b32 v42, v13 offset:12288
	s_waitcnt lgkmcnt(0)
	s_barrier
.LBB1499_4:
	v_mul_u32_u24_e32 v45, 13, v0
	s_waitcnt lgkmcnt(0)
	buffer_gl0_inv
	v_cndmask_b32_e64 v43, 0, 1, s2
	s_andn2_b32 vcc_lo, exec_lo, s2
	v_lshlrev_b32_e32 v1, 2, v45
	ds_read2_b32 v[26:27], v1 offset0:2 offset1:3
	ds_read2_b32 v[22:23], v1 offset0:6 offset1:7
	;; [unrolled: 1-line block ×3, first 2 shown]
	ds_read2_b32 v[28:29], v1 offset1:1
	ds_read2_b32 v[18:19], v1 offset0:10 offset1:11
	ds_read_b32 v44, v1 offset:48
	ds_read2_b32 v[20:21], v1 offset0:8 offset1:9
	s_waitcnt lgkmcnt(0)
	s_barrier
	buffer_gl0_inv
	s_cbranch_vccnz .LBB1499_6
; %bb.5:
	v_add_nc_u32_e32 v1, s9, v27
	v_add_nc_u32_e32 v4, s9, v26
	;; [unrolled: 1-line block ×6, first 2 shown]
	v_mul_lo_u32 v4, v4, s8
	v_mul_lo_u32 v1, v1, s8
	;; [unrolled: 1-line block ×4, first 2 shown]
	v_add_nc_u32_e32 v3, s9, v28
	v_add_nc_u32_e32 v7, s11, v28
	v_mul_lo_u32 v2, v2, s8
	v_mul_lo_u32 v6, v6, s10
	v_add_nc_u32_e32 v10, s11, v25
	v_mul_lo_u32 v3, v3, s8
	v_mul_lo_u32 v7, v7, s10
	v_sub_nc_u32_e32 v1, v1, v5
	v_sub_nc_u32_e32 v4, v4, v8
	v_add_nc_u32_e32 v5, s9, v23
	v_add_nc_u32_e32 v8, s11, v23
	v_sub_nc_u32_e32 v2, v2, v6
	v_add_nc_u32_e32 v6, s9, v25
	v_add_nc_u32_e32 v9, s9, v22
	v_mul_lo_u32 v5, v5, s8
	v_mul_lo_u32 v8, v8, s10
	v_sub_nc_u32_e32 v3, v3, v7
	v_add_nc_u32_e32 v7, s9, v24
	v_add_nc_u32_e32 v11, s11, v22
	v_mul_lo_u32 v6, v6, s8
	v_mul_lo_u32 v10, v10, s10
	v_add_nc_u32_e32 v12, s11, v24
	v_mul_lo_u32 v9, v9, s8
	v_mul_lo_u32 v7, v7, s8
	;; [unrolled: 1-line block ×3, first 2 shown]
	v_sub_nc_u32_e32 v5, v5, v8
	v_mul_lo_u32 v8, v12, s10
	v_cmp_lt_u32_e32 vcc_lo, s1, v1
	v_sub_nc_u32_e32 v6, v6, v10
	v_add_nc_u32_e32 v10, s9, v19
	v_add_nc_u32_e32 v14, s11, v19
	;; [unrolled: 1-line block ×3, first 2 shown]
	v_cndmask_b32_e64 v1, 0, 1, vcc_lo
	v_cmp_lt_u32_e32 vcc_lo, s1, v2
	v_sub_nc_u32_e32 v7, v7, v8
	v_sub_nc_u32_e32 v8, v9, v11
	v_add_nc_u32_e32 v11, s9, v21
	v_mul_lo_u32 v10, v10, s8
	v_mul_lo_u32 v14, v14, s10
	v_cndmask_b32_e64 v2, 0, 1, vcc_lo
	v_cmp_lt_u32_e32 vcc_lo, s1, v5
	v_mul_lo_u32 v11, v11, s8
	v_mul_lo_u32 v15, v15, s10
	v_mov_b32_e32 v9, 8
	v_lshlrev_b16 v2, 8, v2
	v_cndmask_b32_e64 v5, 0, 1, vcc_lo
	v_cmp_lt_u32_e32 vcc_lo, s1, v6
	v_sub_nc_u32_e32 v10, v10, v14
	v_add_nc_u32_e32 v12, s9, v20
	v_add_nc_u32_e32 v16, s11, v20
	v_sub_nc_u32_e32 v11, v11, v15
	v_cndmask_b32_e64 v6, 0, 1, vcc_lo
	v_cmp_lt_u32_e32 vcc_lo, s1, v10
	v_lshrrev_b32_sdwa v2, v9, v2 dst_sel:BYTE_1 dst_unused:UNUSED_PAD src0_sel:DWORD src1_sel:DWORD
	v_add_nc_u32_e32 v13, s9, v18
	v_add_nc_u32_e32 v17, s11, v18
	v_mul_lo_u32 v12, v12, s8
	v_cndmask_b32_e64 v10, 0, 1, vcc_lo
	v_cmp_lt_u32_e32 vcc_lo, s1, v11
	v_mul_lo_u32 v16, v16, s10
	v_mul_lo_u32 v13, v13, s8
	;; [unrolled: 1-line block ×3, first 2 shown]
	v_add_nc_u32_e32 v14, s9, v44
	v_cndmask_b32_e64 v11, 0, 1, vcc_lo
	v_cmp_lt_u32_e32 vcc_lo, s1, v3
	v_add_nc_u32_e32 v15, s11, v44
	v_lshlrev_b16 v1, 8, v1
	v_sub_nc_u32_e32 v12, v12, v16
	v_lshlrev_b16 v11, 8, v11
	v_cndmask_b32_e64 v3, 0, 1, vcc_lo
	v_cmp_lt_u32_e32 vcc_lo, s1, v4
	v_sub_nc_u32_e32 v13, v13, v17
	v_mul_lo_u32 v14, v14, s8
	v_mul_lo_u32 v15, v15, s10
	v_or_b32_e32 v2, v3, v2
	v_cndmask_b32_e64 v3, 0, 1, vcc_lo
	v_cmp_lt_u32_e32 vcc_lo, s1, v7
	v_lshlrev_b16 v6, 8, v6
	v_lshlrev_b16 v10, 8, v10
	;; [unrolled: 1-line block ×3, first 2 shown]
	v_lshrrev_b32_sdwa v1, v9, v1 dst_sel:BYTE_1 dst_unused:UNUSED_PAD src0_sel:DWORD src1_sel:DWORD
	v_cndmask_b32_e64 v4, 0, 1, vcc_lo
	v_cmp_lt_u32_e32 vcc_lo, s1, v8
	v_lshrrev_b32_sdwa v8, v9, v11 dst_sel:BYTE_1 dst_unused:UNUSED_PAD src0_sel:DWORD src1_sel:DWORD
	v_lshrrev_b32_sdwa v6, v9, v6 dst_sel:BYTE_1 dst_unused:UNUSED_PAD src0_sel:DWORD src1_sel:DWORD
	v_sub_nc_u32_e32 v14, v14, v15
	v_lshrrev_b32_sdwa v9, v9, v10 dst_sel:BYTE_1 dst_unused:UNUSED_PAD src0_sel:DWORD src1_sel:DWORD
	v_cndmask_b32_e64 v7, 0, 1, vcc_lo
	v_cmp_lt_u32_e32 vcc_lo, s1, v12
	v_or_b32_sdwa v1, v3, v1 dst_sel:WORD_1 dst_unused:UNUSED_PAD src0_sel:DWORD src1_sel:DWORD
	v_or_b32_e32 v3, v4, v6
	v_or_b32_sdwa v4, v7, v5 dst_sel:WORD_1 dst_unused:UNUSED_PAD src0_sel:DWORD src1_sel:DWORD
	v_cndmask_b32_e64 v11, 0, 1, vcc_lo
	v_cmp_lt_u32_e32 vcc_lo, s1, v13
	v_or_b32_sdwa v50, v2, v1 dst_sel:DWORD dst_unused:UNUSED_PAD src0_sel:WORD_0 src1_sel:DWORD
	v_or_b32_sdwa v48, v3, v4 dst_sel:DWORD dst_unused:UNUSED_PAD src0_sel:WORD_0 src1_sel:DWORD
	v_or_b32_e32 v5, v11, v8
	v_cndmask_b32_e64 v10, 0, 1, vcc_lo
	v_cmp_lt_u32_e32 vcc_lo, s1, v14
	v_or_b32_sdwa v6, v10, v9 dst_sel:WORD_1 dst_unused:UNUSED_PAD src0_sel:DWORD src1_sel:DWORD
	v_cndmask_b32_e64 v46, 0, 1, vcc_lo
	v_or_b32_sdwa v47, v5, v6 dst_sel:DWORD dst_unused:UNUSED_PAD src0_sel:WORD_0 src1_sel:DWORD
	s_clause 0x1
	s_load_dwordx2 s[14:15], s[4:5], 0x28
	s_load_dwordx2 s[22:23], s[4:5], 0x68
	s_cbranch_execz .LBB1499_7
	s_branch .LBB1499_34
.LBB1499_6:
                                        ; implicit-def: $vgpr46
                                        ; implicit-def: $vgpr47
                                        ; implicit-def: $vgpr48
                                        ; implicit-def: $vgpr50
	s_clause 0x1
	s_load_dwordx2 s[14:15], s[4:5], 0x28
	s_load_dwordx2 s[22:23], s[4:5], 0x68
.LBB1499_7:
	v_mov_b32_e32 v2, 0
	v_mov_b32_e32 v1, 0
	s_mov_b32 s0, exec_lo
	v_cmpx_gt_u32_e64 s25, v45
	s_cbranch_execz .LBB1499_9
; %bb.8:
	v_add_nc_u32_e32 v1, s9, v28
	v_add_nc_u32_e32 v3, s11, v28
	v_mul_lo_u32 v1, v1, s8
	v_mul_lo_u32 v3, v3, s10
	v_sub_nc_u32_e32 v1, v1, v3
	v_cmp_lt_u32_e32 vcc_lo, s1, v1
	v_cndmask_b32_e64 v1, 0, 1, vcc_lo
.LBB1499_9:
	s_or_b32 exec_lo, exec_lo, s0
	v_add_nc_u32_e32 v3, 1, v45
	s_mov_b32 s0, exec_lo
	v_cmpx_gt_u32_e64 s25, v3
	s_cbranch_execz .LBB1499_11
; %bb.10:
	v_add_nc_u32_e32 v2, s9, v29
	v_add_nc_u32_e32 v3, s11, v29
	v_mul_lo_u32 v2, v2, s8
	v_mul_lo_u32 v3, v3, s10
	v_sub_nc_u32_e32 v2, v2, v3
	v_cmp_lt_u32_e32 vcc_lo, s1, v2
	v_cndmask_b32_e64 v2, 0, 1, vcc_lo
.LBB1499_11:
	s_or_b32 exec_lo, exec_lo, s0
	v_add_nc_u32_e32 v3, 2, v45
	v_mov_b32_e32 v4, 0
	v_cmp_gt_u32_e32 vcc_lo, s25, v3
	v_mov_b32_e32 v3, 0
	s_and_saveexec_b32 s0, vcc_lo
	s_cbranch_execz .LBB1499_13
; %bb.12:
	v_add_nc_u32_e32 v3, s9, v26
	v_add_nc_u32_e32 v5, s11, v26
	v_mul_lo_u32 v3, v3, s8
	v_mul_lo_u32 v5, v5, s10
	v_sub_nc_u32_e32 v3, v3, v5
	v_cmp_lt_u32_e32 vcc_lo, s1, v3
	v_cndmask_b32_e64 v3, 0, 1, vcc_lo
.LBB1499_13:
	s_or_b32 exec_lo, exec_lo, s0
	v_add_nc_u32_e32 v5, 3, v45
	s_mov_b32 s0, exec_lo
	v_cmpx_gt_u32_e64 s25, v5
	s_cbranch_execz .LBB1499_15
; %bb.14:
	v_add_nc_u32_e32 v4, s9, v27
	v_add_nc_u32_e32 v5, s11, v27
	v_mul_lo_u32 v4, v4, s8
	v_mul_lo_u32 v5, v5, s10
	v_sub_nc_u32_e32 v4, v4, v5
	v_cmp_lt_u32_e32 vcc_lo, s1, v4
	v_cndmask_b32_e64 v4, 0, 1, vcc_lo
.LBB1499_15:
	s_or_b32 exec_lo, exec_lo, s0
	v_add_nc_u32_e32 v5, 4, v45
	v_mov_b32_e32 v6, 0
	v_cmp_gt_u32_e32 vcc_lo, s25, v5
	v_mov_b32_e32 v5, 0
	s_and_saveexec_b32 s0, vcc_lo
	;; [unrolled: 30-line block ×5, first 2 shown]
	s_cbranch_execz .LBB1499_29
; %bb.28:
	v_add_nc_u32_e32 v11, s9, v18
	v_add_nc_u32_e32 v13, s11, v18
	v_mul_lo_u32 v11, v11, s8
	v_mul_lo_u32 v13, v13, s10
	v_sub_nc_u32_e32 v11, v11, v13
	v_cmp_lt_u32_e32 vcc_lo, s1, v11
	v_cndmask_b32_e64 v11, 0, 1, vcc_lo
.LBB1499_29:
	s_or_b32 exec_lo, exec_lo, s0
	v_add_nc_u32_e32 v13, 11, v45
	s_mov_b32 s0, exec_lo
	v_cmpx_gt_u32_e64 s25, v13
	s_cbranch_execz .LBB1499_31
; %bb.30:
	v_add_nc_u32_e32 v12, s9, v19
	v_add_nc_u32_e32 v13, s11, v19
	v_mul_lo_u32 v12, v12, s8
	v_mul_lo_u32 v13, v13, s10
	v_sub_nc_u32_e32 v12, v12, v13
	v_cmp_lt_u32_e32 vcc_lo, s1, v12
	v_cndmask_b32_e64 v12, 0, 1, vcc_lo
.LBB1499_31:
	s_or_b32 exec_lo, exec_lo, s0
	v_add_nc_u32_e32 v13, 12, v45
	v_mov_b32_e32 v46, 0
	s_mov_b32 s0, exec_lo
	v_cmpx_gt_u32_e64 s25, v13
	s_cbranch_execz .LBB1499_33
; %bb.32:
	v_add_nc_u32_e32 v13, s9, v44
	v_add_nc_u32_e32 v14, s11, v44
	v_mul_lo_u32 v13, v13, s8
	v_mul_lo_u32 v14, v14, s10
	v_sub_nc_u32_e32 v13, v13, v14
	v_cmp_lt_u32_e32 vcc_lo, s1, v13
	v_cndmask_b32_e64 v46, 0, 1, vcc_lo
.LBB1499_33:
	s_or_b32 exec_lo, exec_lo, s0
	v_lshlrev_b16 v2, 8, v2
	v_lshlrev_b16 v4, 8, v4
	;; [unrolled: 1-line block ×5, first 2 shown]
	v_or_b32_e32 v1, v1, v2
	v_lshlrev_b16 v2, 8, v12
	v_or_b32_sdwa v3, v3, v4 dst_sel:WORD_1 dst_unused:UNUSED_PAD src0_sel:DWORD src1_sel:DWORD
	v_or_b32_e32 v4, v5, v6
	v_or_b32_sdwa v5, v7, v8 dst_sel:WORD_1 dst_unused:UNUSED_PAD src0_sel:DWORD src1_sel:DWORD
	v_or_b32_e32 v6, v9, v10
	v_or_b32_sdwa v2, v11, v2 dst_sel:WORD_1 dst_unused:UNUSED_PAD src0_sel:DWORD src1_sel:DWORD
	v_or_b32_sdwa v50, v1, v3 dst_sel:DWORD dst_unused:UNUSED_PAD src0_sel:WORD_0 src1_sel:DWORD
	v_or_b32_sdwa v48, v4, v5 dst_sel:DWORD dst_unused:UNUSED_PAD src0_sel:WORD_0 src1_sel:DWORD
	;; [unrolled: 1-line block ×3, first 2 shown]
.LBB1499_34:
	v_and_b32_e32 v53, 0xff, v50
	v_bfe_u32 v54, v50, 8, 8
	v_bfe_u32 v55, v50, 16, 8
	v_lshrrev_b32_e32 v52, 24, v50
	v_and_b32_e32 v56, 0xff, v48
	v_bfe_u32 v57, v48, 8, 8
	v_bfe_u32 v58, v48, 16, 8
	v_add3_u32 v1, v54, v53, v55
	v_lshrrev_b32_e32 v51, 24, v48
	v_and_b32_e32 v59, 0xff, v47
	v_bfe_u32 v60, v47, 8, 8
	v_mbcnt_lo_u32_b32 v62, -1, 0
	v_add3_u32 v1, v1, v52, v56
	v_bfe_u32 v61, v47, 16, 8
	v_lshrrev_b32_e32 v49, 24, v47
	v_and_b32_e32 v2, 0xff, v46
	v_and_b32_e32 v3, 15, v62
	v_add3_u32 v1, v1, v57, v58
	v_or_b32_e32 v4, 31, v0
	v_and_b32_e32 v5, 16, v62
	v_lshrrev_b32_e32 v63, 5, v0
	v_cmp_eq_u32_e64 s5, 0, v3
	v_add3_u32 v1, v1, v51, v59
	v_cmp_lt_u32_e64 s4, 1, v3
	v_cmp_lt_u32_e64 s3, 3, v3
	;; [unrolled: 1-line block ×3, first 2 shown]
	v_cmp_eq_u32_e64 s1, 0, v5
	v_add3_u32 v1, v1, v60, v61
	v_cmp_eq_u32_e64 s0, v0, v4
	s_cmp_lg_u32 s6, 0
	s_mov_b32 s7, -1
	v_add3_u32 v64, v1, v49, v2
	s_cbranch_scc0 .LBB1499_56
; %bb.35:
	v_mov_b32_dpp v1, v64 row_shr:1 row_mask:0xf bank_mask:0xf
	v_cndmask_b32_e64 v1, v1, 0, s5
	v_add_nc_u32_e32 v1, v1, v64
	v_mov_b32_dpp v2, v1 row_shr:2 row_mask:0xf bank_mask:0xf
	v_cndmask_b32_e64 v2, 0, v2, s4
	v_add_nc_u32_e32 v1, v1, v2
	;; [unrolled: 3-line block ×4, first 2 shown]
	ds_swizzle_b32 v2, v1 offset:swizzle(BROADCAST,32,15)
	s_waitcnt lgkmcnt(0)
	v_cndmask_b32_e64 v2, v2, 0, s1
	v_add_nc_u32_e32 v1, v1, v2
	s_and_saveexec_b32 s7, s0
; %bb.36:
	v_lshlrev_b32_e32 v2, 2, v63
	ds_write_b32 v2, v1
; %bb.37:
	s_or_b32 exec_lo, exec_lo, s7
	s_mov_b32 s7, exec_lo
	s_waitcnt lgkmcnt(0)
	s_barrier
	buffer_gl0_inv
	v_cmpx_gt_u32_e32 8, v0
	s_cbranch_execz .LBB1499_39
; %bb.38:
	ds_read_b32 v2, v42
	v_and_b32_e32 v3, 7, v62
	v_cmp_ne_u32_e32 vcc_lo, 0, v3
	s_waitcnt lgkmcnt(0)
	v_mov_b32_dpp v4, v2 row_shr:1 row_mask:0xf bank_mask:0xf
	v_cndmask_b32_e32 v4, 0, v4, vcc_lo
	v_cmp_lt_u32_e32 vcc_lo, 1, v3
	v_add_nc_u32_e32 v2, v4, v2
	v_mov_b32_dpp v4, v2 row_shr:2 row_mask:0xf bank_mask:0xf
	v_cndmask_b32_e32 v4, 0, v4, vcc_lo
	v_cmp_lt_u32_e32 vcc_lo, 3, v3
	v_add_nc_u32_e32 v2, v2, v4
	v_mov_b32_dpp v4, v2 row_shr:4 row_mask:0xf bank_mask:0xf
	v_cndmask_b32_e32 v3, 0, v4, vcc_lo
	v_add_nc_u32_e32 v2, v2, v3
	ds_write_b32 v42, v2
.LBB1499_39:
	s_or_b32 exec_lo, exec_lo, s7
	s_mov_b32 s8, exec_lo
	v_cmp_gt_u32_e32 vcc_lo, 32, v0
	s_waitcnt lgkmcnt(0)
	s_barrier
	buffer_gl0_inv
                                        ; implicit-def: $vgpr10
	v_cmpx_lt_u32_e32 31, v0
	s_cbranch_execz .LBB1499_41
; %bb.40:
	v_lshl_add_u32 v2, v63, 2, -4
	ds_read_b32 v10, v2
	s_waitcnt lgkmcnt(0)
	v_add_nc_u32_e32 v1, v10, v1
.LBB1499_41:
	s_or_b32 exec_lo, exec_lo, s8
	v_sub_co_u32 v2, s7, v62, 1
	v_cmp_gt_i32_e64 s8, 0, v2
	v_cndmask_b32_e64 v2, v2, v62, s8
	v_lshlrev_b32_e32 v2, 2, v2
	ds_bpermute_b32 v11, v2, v1
	s_and_saveexec_b32 s8, vcc_lo
	s_cbranch_execz .LBB1499_61
; %bb.42:
	v_mov_b32_e32 v7, 0
	ds_read_b32 v1, v7 offset:28
	s_and_saveexec_b32 s9, s7
	s_cbranch_execz .LBB1499_44
; %bb.43:
	s_add_i32 s10, s6, 32
	s_mov_b32 s11, 0
	v_mov_b32_e32 v2, 1
	s_lshl_b64 s[10:11], s[10:11], 3
	s_add_u32 s10, s22, s10
	s_addc_u32 s11, s23, s11
	s_waitcnt lgkmcnt(0)
	global_store_dwordx2 v7, v[1:2], s[10:11]
.LBB1499_44:
	s_or_b32 exec_lo, exec_lo, s9
	v_xad_u32 v3, v62, -1, s6
	s_mov_b32 s10, 0
	v_add_nc_u32_e32 v6, 32, v3
	v_lshlrev_b64 v[4:5], 3, v[6:7]
	v_add_co_u32 v8, vcc_lo, s22, v4
	v_add_co_ci_u32_e64 v9, null, s23, v5, vcc_lo
	global_load_dwordx2 v[5:6], v[8:9], off glc dlc
	s_waitcnt vmcnt(0)
	v_cmp_eq_u16_sdwa s11, v6, v7 src0_sel:BYTE_0 src1_sel:DWORD
	s_and_saveexec_b32 s9, s11
	s_cbranch_execz .LBB1499_48
; %bb.45:
	v_mov_b32_e32 v2, 0
.LBB1499_46:                            ; =>This Inner Loop Header: Depth=1
	global_load_dwordx2 v[5:6], v[8:9], off glc dlc
	s_waitcnt vmcnt(0)
	v_cmp_ne_u16_sdwa s11, v6, v2 src0_sel:BYTE_0 src1_sel:DWORD
	s_or_b32 s10, s11, s10
	s_andn2_b32 exec_lo, exec_lo, s10
	s_cbranch_execnz .LBB1499_46
; %bb.47:
	s_or_b32 exec_lo, exec_lo, s10
.LBB1499_48:
	s_or_b32 exec_lo, exec_lo, s9
	v_cmp_ne_u32_e32 vcc_lo, 31, v62
	v_mov_b32_e32 v12, 2
	v_lshlrev_b32_e64 v13, v62, -1
	v_add_nc_u32_e32 v15, 2, v62
	v_add_nc_u32_e32 v17, 4, v62
	v_add_co_ci_u32_e64 v2, null, 0, v62, vcc_lo
	v_cmp_eq_u16_sdwa s9, v6, v12 src0_sel:BYTE_0 src1_sel:DWORD
	v_cmp_gt_u32_e32 vcc_lo, 30, v62
	v_add_nc_u32_e32 v66, 8, v62
	v_lshlrev_b32_e32 v9, 2, v2
	v_lshl_or_b32 v67, v62, 2, 64
	v_and_or_b32 v4, s9, v13, 0x80000000
	v_cndmask_b32_e64 v7, 0, 2, vcc_lo
	v_add_nc_u32_e32 v68, 16, v62
	ds_bpermute_b32 v2, v9, v5
	v_ffbl_b32_e32 v4, v4
	v_add_lshl_u32 v14, v7, v62, 2
	v_cmp_lt_u32_e32 vcc_lo, v62, v4
	s_waitcnt lgkmcnt(0)
	v_cndmask_b32_e32 v2, 0, v2, vcc_lo
	v_cmp_gt_u32_e32 vcc_lo, 28, v62
	v_add_nc_u32_e32 v2, v2, v5
	v_cndmask_b32_e64 v7, 0, 4, vcc_lo
	v_cmp_le_u32_e32 vcc_lo, v15, v4
	ds_bpermute_b32 v5, v14, v2
	v_add_lshl_u32 v16, v7, v62, 2
	s_waitcnt lgkmcnt(0)
	v_cndmask_b32_e32 v5, 0, v5, vcc_lo
	v_cmp_gt_u32_e32 vcc_lo, 24, v62
	v_add_nc_u32_e32 v2, v2, v5
	v_cndmask_b32_e64 v7, 0, 8, vcc_lo
	v_cmp_le_u32_e32 vcc_lo, v17, v4
	ds_bpermute_b32 v5, v16, v2
	v_add_lshl_u32 v65, v7, v62, 2
	s_waitcnt lgkmcnt(0)
	v_cndmask_b32_e32 v5, 0, v5, vcc_lo
	v_cmp_le_u32_e32 vcc_lo, v66, v4
	v_add_nc_u32_e32 v2, v2, v5
	ds_bpermute_b32 v5, v65, v2
	s_waitcnt lgkmcnt(0)
	v_cndmask_b32_e32 v5, 0, v5, vcc_lo
	v_cmp_le_u32_e32 vcc_lo, v68, v4
	v_add_nc_u32_e32 v2, v2, v5
	ds_bpermute_b32 v5, v67, v2
	s_waitcnt lgkmcnt(0)
	v_cndmask_b32_e32 v4, 0, v5, vcc_lo
	v_add_nc_u32_e32 v5, v2, v4
	v_mov_b32_e32 v4, 0
	s_branch .LBB1499_52
.LBB1499_49:                            ;   in Loop: Header=BB1499_52 Depth=1
	s_or_b32 exec_lo, exec_lo, s10
.LBB1499_50:                            ;   in Loop: Header=BB1499_52 Depth=1
	s_or_b32 exec_lo, exec_lo, s9
	ds_bpermute_b32 v7, v9, v5
	v_cmp_eq_u16_sdwa s9, v6, v12 src0_sel:BYTE_0 src1_sel:DWORD
	v_subrev_nc_u32_e32 v3, 32, v3
	v_and_or_b32 v8, s9, v13, 0x80000000
	s_mov_b32 s9, 0
	v_ffbl_b32_e32 v8, v8
	v_cmp_lt_u32_e32 vcc_lo, v62, v8
	s_waitcnt lgkmcnt(0)
	v_cndmask_b32_e32 v7, 0, v7, vcc_lo
	v_cmp_le_u32_e32 vcc_lo, v15, v8
	v_add_nc_u32_e32 v5, v7, v5
	ds_bpermute_b32 v7, v14, v5
	s_waitcnt lgkmcnt(0)
	v_cndmask_b32_e32 v7, 0, v7, vcc_lo
	v_cmp_le_u32_e32 vcc_lo, v17, v8
	v_add_nc_u32_e32 v5, v5, v7
	ds_bpermute_b32 v7, v16, v5
	s_waitcnt lgkmcnt(0)
	v_cndmask_b32_e32 v7, 0, v7, vcc_lo
	v_cmp_le_u32_e32 vcc_lo, v66, v8
	v_add_nc_u32_e32 v5, v5, v7
	ds_bpermute_b32 v7, v65, v5
	s_waitcnt lgkmcnt(0)
	v_cndmask_b32_e32 v7, 0, v7, vcc_lo
	v_cmp_le_u32_e32 vcc_lo, v68, v8
	v_add_nc_u32_e32 v5, v5, v7
	ds_bpermute_b32 v7, v67, v5
	s_waitcnt lgkmcnt(0)
	v_cndmask_b32_e32 v7, 0, v7, vcc_lo
	v_add3_u32 v5, v7, v2, v5
.LBB1499_51:                            ;   in Loop: Header=BB1499_52 Depth=1
	s_and_b32 vcc_lo, exec_lo, s9
	s_cbranch_vccnz .LBB1499_57
.LBB1499_52:                            ; =>This Loop Header: Depth=1
                                        ;     Child Loop BB1499_55 Depth 2
	v_cmp_ne_u16_sdwa s9, v6, v12 src0_sel:BYTE_0 src1_sel:DWORD
	v_mov_b32_e32 v2, v5
                                        ; implicit-def: $vgpr5
                                        ; implicit-def: $vgpr6
	s_cmp_lg_u32 s9, exec_lo
	s_mov_b32 s9, -1
	s_cbranch_scc1 .LBB1499_51
; %bb.53:                               ;   in Loop: Header=BB1499_52 Depth=1
	v_lshlrev_b64 v[5:6], 3, v[3:4]
	v_add_co_u32 v7, vcc_lo, s22, v5
	v_add_co_ci_u32_e64 v8, null, s23, v6, vcc_lo
	global_load_dwordx2 v[5:6], v[7:8], off glc dlc
	s_waitcnt vmcnt(0)
	v_cmp_eq_u16_sdwa s10, v6, v4 src0_sel:BYTE_0 src1_sel:DWORD
	s_and_saveexec_b32 s9, s10
	s_cbranch_execz .LBB1499_50
; %bb.54:                               ;   in Loop: Header=BB1499_52 Depth=1
	s_mov_b32 s10, 0
.LBB1499_55:                            ;   Parent Loop BB1499_52 Depth=1
                                        ; =>  This Inner Loop Header: Depth=2
	global_load_dwordx2 v[5:6], v[7:8], off glc dlc
	s_waitcnt vmcnt(0)
	v_cmp_ne_u16_sdwa s11, v6, v4 src0_sel:BYTE_0 src1_sel:DWORD
	s_or_b32 s10, s11, s10
	s_andn2_b32 exec_lo, exec_lo, s10
	s_cbranch_execnz .LBB1499_55
	s_branch .LBB1499_49
.LBB1499_56:
                                        ; implicit-def: $vgpr17
                                        ; implicit-def: $vgpr1_vgpr2_vgpr3_vgpr4_vgpr5_vgpr6_vgpr7_vgpr8_vgpr9_vgpr10_vgpr11_vgpr12_vgpr13_vgpr14_vgpr15_vgpr16
	s_and_b32 vcc_lo, exec_lo, s7
	s_cbranch_vccnz .LBB1499_62
	s_branch .LBB1499_71
.LBB1499_57:
	s_and_saveexec_b32 s9, s7
	s_cbranch_execz .LBB1499_59
; %bb.58:
	s_add_i32 s10, s6, 32
	s_mov_b32 s11, 0
	v_add_nc_u32_e32 v3, v2, v1
	v_mov_b32_e32 v4, 2
	s_lshl_b64 s[10:11], s[10:11], 3
	v_mov_b32_e32 v5, 0
	s_add_u32 s10, s22, s10
	s_addc_u32 s11, s23, s11
	global_store_dwordx2 v5, v[3:4], s[10:11]
	ds_write_b64 v5, v[1:2] offset:13312
.LBB1499_59:
	s_or_b32 exec_lo, exec_lo, s9
	v_cmp_eq_u32_e32 vcc_lo, 0, v0
	s_and_b32 exec_lo, exec_lo, vcc_lo
; %bb.60:
	v_mov_b32_e32 v1, 0
	ds_write_b32 v1, v2 offset:28
.LBB1499_61:
	s_or_b32 exec_lo, exec_lo, s8
	v_mov_b32_e32 v12, 0
	s_waitcnt lgkmcnt(0)
	s_waitcnt_vscnt null, 0x0
	s_barrier
	buffer_gl0_inv
	v_cndmask_b32_e64 v2, v11, v10, s7
	ds_read_b32 v1, v12 offset:28
	v_cmp_ne_u32_e32 vcc_lo, 0, v0
	s_waitcnt lgkmcnt(0)
	s_barrier
	buffer_gl0_inv
	ds_read_b64 v[16:17], v12 offset:13312
	v_cndmask_b32_e32 v2, 0, v2, vcc_lo
	v_add_nc_u32_e32 v1, v1, v2
	v_add_nc_u32_e32 v2, v1, v53
	;; [unrolled: 1-line block ×13, first 2 shown]
	s_branch .LBB1499_71
.LBB1499_62:
	v_mov_b32_dpp v1, v64 row_shr:1 row_mask:0xf bank_mask:0xf
	v_cndmask_b32_e64 v1, v1, 0, s5
	v_add_nc_u32_e32 v1, v1, v64
	v_mov_b32_dpp v2, v1 row_shr:2 row_mask:0xf bank_mask:0xf
	v_cndmask_b32_e64 v2, 0, v2, s4
	v_add_nc_u32_e32 v1, v1, v2
	;; [unrolled: 3-line block ×4, first 2 shown]
	ds_swizzle_b32 v2, v1 offset:swizzle(BROADCAST,32,15)
	s_waitcnt lgkmcnt(0)
	v_cndmask_b32_e64 v2, v2, 0, s1
	v_add_nc_u32_e32 v1, v1, v2
	s_and_saveexec_b32 s1, s0
; %bb.63:
	v_lshlrev_b32_e32 v2, 2, v63
	ds_write_b32 v2, v1
; %bb.64:
	s_or_b32 exec_lo, exec_lo, s1
	s_mov_b32 s0, exec_lo
	s_waitcnt lgkmcnt(0)
	s_barrier
	buffer_gl0_inv
	v_cmpx_gt_u32_e32 8, v0
	s_cbranch_execz .LBB1499_66
; %bb.65:
	ds_read_b32 v2, v42
	v_and_b32_e32 v3, 7, v62
	v_cmp_ne_u32_e32 vcc_lo, 0, v3
	s_waitcnt lgkmcnt(0)
	v_mov_b32_dpp v4, v2 row_shr:1 row_mask:0xf bank_mask:0xf
	v_cndmask_b32_e32 v4, 0, v4, vcc_lo
	v_cmp_lt_u32_e32 vcc_lo, 1, v3
	v_add_nc_u32_e32 v2, v4, v2
	v_mov_b32_dpp v4, v2 row_shr:2 row_mask:0xf bank_mask:0xf
	v_cndmask_b32_e32 v4, 0, v4, vcc_lo
	v_cmp_lt_u32_e32 vcc_lo, 3, v3
	v_add_nc_u32_e32 v2, v2, v4
	v_mov_b32_dpp v4, v2 row_shr:4 row_mask:0xf bank_mask:0xf
	v_cndmask_b32_e32 v3, 0, v4, vcc_lo
	v_add_nc_u32_e32 v2, v2, v3
	ds_write_b32 v42, v2
.LBB1499_66:
	s_or_b32 exec_lo, exec_lo, s0
	v_mov_b32_e32 v3, 0
	v_mov_b32_e32 v2, 0
	s_mov_b32 s0, exec_lo
	s_waitcnt lgkmcnt(0)
	s_barrier
	buffer_gl0_inv
	v_cmpx_lt_u32_e32 31, v0
; %bb.67:
	v_lshl_add_u32 v2, v63, 2, -4
	ds_read_b32 v2, v2
; %bb.68:
	s_or_b32 exec_lo, exec_lo, s0
	v_sub_co_u32 v4, vcc_lo, v62, 1
	s_waitcnt lgkmcnt(0)
	v_add_nc_u32_e32 v1, v2, v1
	ds_read_b32 v16, v3 offset:28
	v_cmp_gt_i32_e64 s0, 0, v4
	v_cndmask_b32_e64 v4, v4, v62, s0
	v_cmp_eq_u32_e64 s0, 0, v0
	v_lshlrev_b32_e32 v4, 2, v4
	ds_bpermute_b32 v1, v4, v1
	s_and_saveexec_b32 s1, s0
	s_cbranch_execz .LBB1499_70
; %bb.69:
	v_mov_b32_e32 v3, 0
	v_mov_b32_e32 v17, 2
	s_waitcnt lgkmcnt(1)
	global_store_dwordx2 v3, v[16:17], s[22:23] offset:256
.LBB1499_70:
	s_or_b32 exec_lo, exec_lo, s1
	s_waitcnt lgkmcnt(0)
	v_cndmask_b32_e32 v1, v1, v2, vcc_lo
	v_mov_b32_e32 v17, 0
	s_waitcnt_vscnt null, 0x0
	s_barrier
	buffer_gl0_inv
	v_cndmask_b32_e64 v1, v1, 0, s0
	v_add_nc_u32_e32 v2, v1, v53
	v_add_nc_u32_e32 v3, v2, v54
	;; [unrolled: 1-line block ×12, first 2 shown]
.LBB1499_71:
	s_waitcnt lgkmcnt(0)
	v_add_nc_u32_e32 v45, v16, v45
	v_sub_nc_u32_e32 v1, v1, v17
	v_and_b32_e32 v54, 1, v50
	v_lshrrev_b32_e32 v53, 8, v50
	v_sub_nc_u32_e32 v2, v2, v17
	v_sub_nc_u32_e32 v3, v3, v17
	v_sub_nc_u32_e32 v55, v45, v1
	v_cmp_eq_u32_e32 vcc_lo, 1, v54
	v_and_b32_e32 v53, 1, v53
	v_mov_b32_e32 v56, 1
	v_sub_nc_u32_e32 v54, v45, v2
	v_sub_nc_u32_e32 v4, v4, v17
	v_cndmask_b32_e32 v1, v55, v1, vcc_lo
	v_sub_nc_u32_e32 v55, v45, v3
	v_and_b32_sdwa v50, v56, v50 dst_sel:DWORD dst_unused:UNUSED_PAD src0_sel:DWORD src1_sel:WORD_1
	v_add_nc_u32_e32 v54, 1, v54
	v_cmp_eq_u32_e32 vcc_lo, 1, v53
	v_lshlrev_b32_e32 v1, 2, v1
	v_and_b32_e32 v52, 1, v52
	v_sub_nc_u32_e32 v57, v45, v4
	v_add_nc_u32_e32 v55, 2, v55
	v_lshrrev_b32_e32 v15, 8, v48
	ds_write_b32 v1, v28
	v_cndmask_b32_e32 v1, v54, v2, vcc_lo
	v_cmp_eq_u32_e32 vcc_lo, 1, v50
	v_add_nc_u32_e32 v57, 3, v57
	v_lshrrev_b32_e32 v14, 8, v47
	v_lshlrev_b32_e32 v1, 2, v1
	v_cndmask_b32_e32 v2, v55, v3, vcc_lo
	v_cmp_eq_u32_e32 vcc_lo, 1, v52
	ds_write_b32 v1, v29
	v_lshlrev_b32_e32 v2, 2, v2
	v_cndmask_b32_e32 v3, v57, v4, vcc_lo
	v_sub_nc_u32_e32 v4, v5, v17
	v_sub_nc_u32_e32 v5, v6, v17
	v_lshlrev_b32_e32 v3, 2, v3
	v_sub_nc_u32_e32 v1, v45, v4
	v_sub_nc_u32_e32 v6, v45, v5
	ds_write_b32 v2, v26
	ds_write_b32 v3, v27
	v_and_b32_e32 v2, 1, v48
	v_add_nc_u32_e32 v1, 4, v1
	v_add_nc_u32_e32 v3, 5, v6
	v_sub_nc_u32_e32 v6, v7, v17
	v_and_b32_e32 v7, 1, v15
	v_cmp_eq_u32_e32 vcc_lo, 1, v2
	v_sub_nc_u32_e32 v2, v8, v17
	v_and_b32_e32 v8, 1, v51
	v_add_co_u32 v15, s0, s20, v17
	v_cndmask_b32_e32 v1, v1, v4, vcc_lo
	v_sub_nc_u32_e32 v4, v45, v6
	v_cmp_eq_u32_e32 vcc_lo, 1, v7
	v_and_b32_sdwa v7, v56, v48 dst_sel:DWORD dst_unused:UNUSED_PAD src0_sel:DWORD src1_sel:WORD_1
	v_lshlrev_b32_e32 v1, 2, v1
	v_add_nc_u32_e32 v4, 6, v4
	v_cndmask_b32_e32 v3, v3, v5, vcc_lo
	v_sub_nc_u32_e32 v5, v45, v2
	v_cmp_eq_u32_e32 vcc_lo, 1, v7
	v_sub_nc_u32_e32 v7, v13, v17
	v_lshlrev_b32_e32 v3, 2, v3
	v_add_nc_u32_e32 v5, 7, v5
	v_cndmask_b32_e32 v4, v4, v6, vcc_lo
	v_cmp_eq_u32_e32 vcc_lo, 1, v8
	v_sub_nc_u32_e32 v6, v9, v17
	ds_write_b32 v1, v24
	ds_write_b32 v3, v25
	v_lshlrev_b32_e32 v3, 2, v4
	v_cndmask_b32_e32 v2, v5, v2, vcc_lo
	v_sub_nc_u32_e32 v1, v45, v6
	v_and_b32_e32 v5, 1, v47
	v_sub_nc_u32_e32 v4, v10, v17
	v_and_b32_e32 v10, 1, v49
	v_lshlrev_b32_e32 v2, 2, v2
	v_add_nc_u32_e32 v1, 8, v1
	ds_write_b32 v3, v22
	ds_write_b32 v2, v23
	v_cmp_eq_u32_e32 vcc_lo, 1, v5
	v_sub_nc_u32_e32 v3, v11, v17
	v_sub_nc_u32_e32 v2, v45, v4
	;; [unrolled: 1-line block ×3, first 2 shown]
	v_and_b32_e32 v11, 1, v46
	v_cndmask_b32_e32 v1, v1, v6, vcc_lo
	v_and_b32_e32 v6, 1, v14
	v_sub_nc_u32_e32 v8, v45, v3
	v_add_nc_u32_e32 v2, 9, v2
	v_sub_nc_u32_e32 v9, v45, v5
	v_lshlrev_b32_e32 v1, 2, v1
	v_cmp_eq_u32_e32 vcc_lo, 1, v6
	v_add_nc_u32_e32 v6, 10, v8
	v_and_b32_sdwa v8, v56, v47 dst_sel:DWORD dst_unused:UNUSED_PAD src0_sel:DWORD src1_sel:WORD_1
	v_add_nc_u32_e32 v9, 11, v9
	v_add_co_ci_u32_e64 v17, null, s21, 0, s0
	v_cndmask_b32_e32 v2, v2, v4, vcc_lo
	v_cmp_eq_u32_e32 vcc_lo, 1, v8
	v_sub_nc_u32_e32 v4, v45, v7
	v_lshlrev_b32_e32 v2, 2, v2
	v_cndmask_b32_e32 v3, v6, v3, vcc_lo
	v_cmp_eq_u32_e32 vcc_lo, 1, v10
	v_add_nc_u32_e32 v4, 12, v4
	v_lshlrev_b32_e32 v3, 2, v3
	v_cndmask_b32_e32 v5, v9, v5, vcc_lo
	v_cmp_eq_u32_e32 vcc_lo, 1, v11
	v_lshlrev_b32_e32 v5, 2, v5
	v_cndmask_b32_e32 v4, v4, v7, vcc_lo
	v_cmp_ne_u32_e32 vcc_lo, 1, v43
	v_lshlrev_b32_e32 v4, 2, v4
	ds_write_b32 v1, v20
	ds_write_b32 v2, v21
	;; [unrolled: 1-line block ×5, first 2 shown]
	s_waitcnt lgkmcnt(0)
	s_barrier
	buffer_gl0_inv
	ds_read2st64_b32 v[11:12], v42 offset1:4
	ds_read2st64_b32 v[9:10], v42 offset0:8 offset1:12
	ds_read2st64_b32 v[7:8], v42 offset0:16 offset1:20
	;; [unrolled: 1-line block ×5, first 2 shown]
	ds_read_b32 v18, v42 offset:12288
	s_cbranch_vccnz .LBB1499_125
; %bb.72:
	s_sub_u32 s0, s18, s26
	v_sub_co_u32 v13, vcc_lo, v15, s16
	s_subb_u32 s1, s19, 0
	v_add_co_u32 v19, s0, s0, v16
	v_subrev_co_ci_u32_e64 v14, null, s17, v17, vcc_lo
	v_add_co_ci_u32_e64 v20, null, s1, 0, s0
	v_add_co_u32 v19, vcc_lo, v19, v13
	s_mov_b32 s0, exec_lo
	v_add_co_ci_u32_e64 v20, null, v20, v14, vcc_lo
                                        ; implicit-def: $vgpr13_vgpr14
	v_cmpx_ge_u32_e64 v0, v16
	s_xor_b32 s0, exec_lo, s0
; %bb.73:
	v_not_b32_e32 v13, v0
	v_ashrrev_i32_e32 v14, 31, v13
	v_add_co_u32 v13, vcc_lo, v19, v13
	v_add_co_ci_u32_e64 v14, null, v20, v14, vcc_lo
; %bb.74:
	s_andn2_saveexec_b32 s0, s0
; %bb.75:
	v_add_co_u32 v13, vcc_lo, v15, v0
	v_add_co_ci_u32_e64 v14, null, 0, v17, vcc_lo
; %bb.76:
	s_or_b32 exec_lo, exec_lo, s0
	v_lshlrev_b64 v[13:14], 2, v[13:14]
	s_mov_b32 s0, exec_lo
	v_add_co_u32 v13, vcc_lo, s14, v13
	v_add_co_ci_u32_e64 v14, null, s15, v14, vcc_lo
	s_waitcnt lgkmcnt(6)
	global_store_dword v[13:14], v11, off
                                        ; implicit-def: $vgpr13_vgpr14
	v_cmpx_ge_u32_e64 v41, v16
	s_xor_b32 s0, exec_lo, s0
; %bb.77:
	v_xor_b32_e32 v13, 0xfffffeff, v0
	v_ashrrev_i32_e32 v14, 31, v13
	v_add_co_u32 v13, vcc_lo, v19, v13
	v_add_co_ci_u32_e64 v14, null, v20, v14, vcc_lo
; %bb.78:
	s_andn2_saveexec_b32 s0, s0
; %bb.79:
	v_add_co_u32 v13, vcc_lo, v15, v41
	v_add_co_ci_u32_e64 v14, null, 0, v17, vcc_lo
; %bb.80:
	s_or_b32 exec_lo, exec_lo, s0
	v_lshlrev_b64 v[13:14], 2, v[13:14]
	s_mov_b32 s0, exec_lo
	v_add_co_u32 v13, vcc_lo, s14, v13
	v_add_co_ci_u32_e64 v14, null, s15, v14, vcc_lo
	global_store_dword v[13:14], v12, off
                                        ; implicit-def: $vgpr13_vgpr14
	v_cmpx_ge_u32_e64 v40, v16
	s_xor_b32 s0, exec_lo, s0
; %bb.81:
	v_xor_b32_e32 v13, 0xfffffdff, v0
	v_ashrrev_i32_e32 v14, 31, v13
	v_add_co_u32 v13, vcc_lo, v19, v13
	v_add_co_ci_u32_e64 v14, null, v20, v14, vcc_lo
; %bb.82:
	s_andn2_saveexec_b32 s0, s0
; %bb.83:
	v_add_co_u32 v13, vcc_lo, v15, v40
	v_add_co_ci_u32_e64 v14, null, 0, v17, vcc_lo
; %bb.84:
	s_or_b32 exec_lo, exec_lo, s0
	v_lshlrev_b64 v[13:14], 2, v[13:14]
	s_mov_b32 s0, exec_lo
	v_add_co_u32 v13, vcc_lo, s14, v13
	v_add_co_ci_u32_e64 v14, null, s15, v14, vcc_lo
	s_waitcnt lgkmcnt(5)
	global_store_dword v[13:14], v9, off
                                        ; implicit-def: $vgpr13_vgpr14
	v_cmpx_ge_u32_e64 v39, v16
	s_xor_b32 s0, exec_lo, s0
; %bb.85:
	v_xor_b32_e32 v13, 0xfffffcff, v0
	v_ashrrev_i32_e32 v14, 31, v13
	v_add_co_u32 v13, vcc_lo, v19, v13
	v_add_co_ci_u32_e64 v14, null, v20, v14, vcc_lo
; %bb.86:
	s_andn2_saveexec_b32 s0, s0
; %bb.87:
	v_add_co_u32 v13, vcc_lo, v15, v39
	v_add_co_ci_u32_e64 v14, null, 0, v17, vcc_lo
; %bb.88:
	s_or_b32 exec_lo, exec_lo, s0
	v_lshlrev_b64 v[13:14], 2, v[13:14]
	s_mov_b32 s0, exec_lo
	v_add_co_u32 v13, vcc_lo, s14, v13
	v_add_co_ci_u32_e64 v14, null, s15, v14, vcc_lo
	global_store_dword v[13:14], v10, off
                                        ; implicit-def: $vgpr13_vgpr14
	v_cmpx_ge_u32_e64 v38, v16
	s_xor_b32 s0, exec_lo, s0
; %bb.89:
	v_xor_b32_e32 v13, 0xfffffbff, v0
	;; [unrolled: 41-line block ×6, first 2 shown]
	v_ashrrev_i32_e32 v14, 31, v13
	v_add_co_u32 v13, vcc_lo, v19, v13
	v_add_co_ci_u32_e64 v14, null, v20, v14, vcc_lo
; %bb.122:
	s_andn2_saveexec_b32 s0, s0
; %bb.123:
	v_add_co_u32 v13, vcc_lo, v15, v30
	v_add_co_ci_u32_e64 v14, null, 0, v17, vcc_lo
; %bb.124:
	s_or_b32 exec_lo, exec_lo, s0
	s_mov_b32 s0, -1
	s_branch .LBB1499_205
.LBB1499_125:
	s_mov_b32 s0, 0
                                        ; implicit-def: $vgpr13_vgpr14
	s_cbranch_execz .LBB1499_205
; %bb.126:
	s_add_u32 s1, s16, s26
	s_addc_u32 s2, s17, 0
	s_sub_u32 s1, s18, s1
	s_subb_u32 s2, s19, s2
	v_add_co_u32 v13, s1, s1, v16
	v_add_co_ci_u32_e64 v14, null, s2, 0, s1
	s_mov_b32 s1, exec_lo
	v_add_co_u32 v19, vcc_lo, v13, v15
	v_add_co_ci_u32_e64 v20, null, v14, v17, vcc_lo
	v_cmpx_gt_u32_e64 s25, v0
	s_cbranch_execz .LBB1499_162
; %bb.127:
	s_mov_b32 s2, exec_lo
                                        ; implicit-def: $vgpr13_vgpr14
	v_cmpx_ge_u32_e64 v0, v16
	s_xor_b32 s2, exec_lo, s2
; %bb.128:
	v_not_b32_e32 v13, v0
	v_ashrrev_i32_e32 v14, 31, v13
	v_add_co_u32 v13, vcc_lo, v19, v13
	v_add_co_ci_u32_e64 v14, null, v20, v14, vcc_lo
; %bb.129:
	s_andn2_saveexec_b32 s2, s2
; %bb.130:
	v_add_co_u32 v13, vcc_lo, v15, v0
	v_add_co_ci_u32_e64 v14, null, 0, v17, vcc_lo
; %bb.131:
	s_or_b32 exec_lo, exec_lo, s2
	v_lshlrev_b64 v[13:14], 2, v[13:14]
	v_add_co_u32 v13, vcc_lo, s14, v13
	v_add_co_ci_u32_e64 v14, null, s15, v14, vcc_lo
	s_waitcnt lgkmcnt(6)
	global_store_dword v[13:14], v11, off
	s_or_b32 exec_lo, exec_lo, s1
	s_mov_b32 s1, exec_lo
	v_cmpx_gt_u32_e64 s25, v41
	s_cbranch_execnz .LBB1499_163
.LBB1499_132:
	s_or_b32 exec_lo, exec_lo, s1
	s_mov_b32 s1, exec_lo
	v_cmpx_gt_u32_e64 s25, v40
	s_cbranch_execz .LBB1499_168
.LBB1499_133:
	s_mov_b32 s2, exec_lo
                                        ; implicit-def: $vgpr11_vgpr12
	v_cmpx_ge_u32_e64 v40, v16
	s_xor_b32 s2, exec_lo, s2
	s_cbranch_execz .LBB1499_135
; %bb.134:
	s_waitcnt lgkmcnt(6)
	v_xor_b32_e32 v11, 0xfffffdff, v0
                                        ; implicit-def: $vgpr40
	v_ashrrev_i32_e32 v12, 31, v11
	v_add_co_u32 v11, vcc_lo, v19, v11
	v_add_co_ci_u32_e64 v12, null, v20, v12, vcc_lo
.LBB1499_135:
	s_andn2_saveexec_b32 s2, s2
	s_cbranch_execz .LBB1499_137
; %bb.136:
	s_waitcnt lgkmcnt(6)
	v_add_co_u32 v11, vcc_lo, v15, v40
	v_add_co_ci_u32_e64 v12, null, 0, v17, vcc_lo
.LBB1499_137:
	s_or_b32 exec_lo, exec_lo, s2
	s_waitcnt lgkmcnt(6)
	v_lshlrev_b64 v[11:12], 2, v[11:12]
	v_add_co_u32 v11, vcc_lo, s14, v11
	v_add_co_ci_u32_e64 v12, null, s15, v12, vcc_lo
	s_waitcnt lgkmcnt(5)
	global_store_dword v[11:12], v9, off
	s_or_b32 exec_lo, exec_lo, s1
	s_mov_b32 s1, exec_lo
	v_cmpx_gt_u32_e64 s25, v39
	s_cbranch_execnz .LBB1499_169
.LBB1499_138:
	s_or_b32 exec_lo, exec_lo, s1
	s_mov_b32 s1, exec_lo
	v_cmpx_gt_u32_e64 s25, v38
	s_cbranch_execz .LBB1499_174
.LBB1499_139:
	s_mov_b32 s2, exec_lo
                                        ; implicit-def: $vgpr9_vgpr10
	v_cmpx_ge_u32_e64 v38, v16
	s_xor_b32 s2, exec_lo, s2
	s_cbranch_execz .LBB1499_141
; %bb.140:
	s_waitcnt lgkmcnt(5)
	v_xor_b32_e32 v9, 0xfffffbff, v0
                                        ; implicit-def: $vgpr38
	v_ashrrev_i32_e32 v10, 31, v9
	v_add_co_u32 v9, vcc_lo, v19, v9
	v_add_co_ci_u32_e64 v10, null, v20, v10, vcc_lo
.LBB1499_141:
	s_andn2_saveexec_b32 s2, s2
	s_cbranch_execz .LBB1499_143
; %bb.142:
	s_waitcnt lgkmcnt(5)
	v_add_co_u32 v9, vcc_lo, v15, v38
	v_add_co_ci_u32_e64 v10, null, 0, v17, vcc_lo
.LBB1499_143:
	s_or_b32 exec_lo, exec_lo, s2
	s_waitcnt lgkmcnt(5)
	v_lshlrev_b64 v[9:10], 2, v[9:10]
	v_add_co_u32 v9, vcc_lo, s14, v9
	v_add_co_ci_u32_e64 v10, null, s15, v10, vcc_lo
	s_waitcnt lgkmcnt(4)
	global_store_dword v[9:10], v7, off
	s_or_b32 exec_lo, exec_lo, s1
	s_mov_b32 s1, exec_lo
	v_cmpx_gt_u32_e64 s25, v37
	s_cbranch_execnz .LBB1499_175
.LBB1499_144:
	s_or_b32 exec_lo, exec_lo, s1
	s_mov_b32 s1, exec_lo
	v_cmpx_gt_u32_e64 s25, v36
	s_cbranch_execz .LBB1499_180
.LBB1499_145:
	s_mov_b32 s2, exec_lo
                                        ; implicit-def: $vgpr7_vgpr8
	v_cmpx_ge_u32_e64 v36, v16
	s_xor_b32 s2, exec_lo, s2
	s_cbranch_execz .LBB1499_147
; %bb.146:
	s_waitcnt lgkmcnt(4)
	v_xor_b32_e32 v7, 0xfffff9ff, v0
                                        ; implicit-def: $vgpr36
	v_ashrrev_i32_e32 v8, 31, v7
	v_add_co_u32 v7, vcc_lo, v19, v7
	v_add_co_ci_u32_e64 v8, null, v20, v8, vcc_lo
.LBB1499_147:
	s_andn2_saveexec_b32 s2, s2
	s_cbranch_execz .LBB1499_149
; %bb.148:
	s_waitcnt lgkmcnt(4)
	v_add_co_u32 v7, vcc_lo, v15, v36
	v_add_co_ci_u32_e64 v8, null, 0, v17, vcc_lo
.LBB1499_149:
	s_or_b32 exec_lo, exec_lo, s2
	s_waitcnt lgkmcnt(4)
	v_lshlrev_b64 v[7:8], 2, v[7:8]
	v_add_co_u32 v7, vcc_lo, s14, v7
	v_add_co_ci_u32_e64 v8, null, s15, v8, vcc_lo
	s_waitcnt lgkmcnt(3)
	global_store_dword v[7:8], v5, off
	s_or_b32 exec_lo, exec_lo, s1
	s_mov_b32 s1, exec_lo
	v_cmpx_gt_u32_e64 s25, v35
	s_cbranch_execnz .LBB1499_181
.LBB1499_150:
	s_or_b32 exec_lo, exec_lo, s1
	s_mov_b32 s1, exec_lo
	v_cmpx_gt_u32_e64 s25, v34
	s_cbranch_execz .LBB1499_186
.LBB1499_151:
	s_mov_b32 s2, exec_lo
                                        ; implicit-def: $vgpr5_vgpr6
	v_cmpx_ge_u32_e64 v34, v16
	s_xor_b32 s2, exec_lo, s2
	s_cbranch_execz .LBB1499_153
; %bb.152:
	s_waitcnt lgkmcnt(3)
	v_xor_b32_e32 v5, 0xfffff7ff, v0
                                        ; implicit-def: $vgpr34
	v_ashrrev_i32_e32 v6, 31, v5
	v_add_co_u32 v5, vcc_lo, v19, v5
	v_add_co_ci_u32_e64 v6, null, v20, v6, vcc_lo
.LBB1499_153:
	s_andn2_saveexec_b32 s2, s2
	s_cbranch_execz .LBB1499_155
; %bb.154:
	s_waitcnt lgkmcnt(3)
	v_add_co_u32 v5, vcc_lo, v15, v34
	v_add_co_ci_u32_e64 v6, null, 0, v17, vcc_lo
.LBB1499_155:
	s_or_b32 exec_lo, exec_lo, s2
	s_waitcnt lgkmcnt(3)
	v_lshlrev_b64 v[5:6], 2, v[5:6]
	v_add_co_u32 v5, vcc_lo, s14, v5
	v_add_co_ci_u32_e64 v6, null, s15, v6, vcc_lo
	s_waitcnt lgkmcnt(2)
	global_store_dword v[5:6], v3, off
	s_or_b32 exec_lo, exec_lo, s1
	s_mov_b32 s1, exec_lo
	v_cmpx_gt_u32_e64 s25, v33
	s_cbranch_execnz .LBB1499_187
.LBB1499_156:
	s_or_b32 exec_lo, exec_lo, s1
	s_mov_b32 s1, exec_lo
	v_cmpx_gt_u32_e64 s25, v32
	s_cbranch_execz .LBB1499_192
.LBB1499_157:
	s_mov_b32 s2, exec_lo
                                        ; implicit-def: $vgpr3_vgpr4
	v_cmpx_ge_u32_e64 v32, v16
	s_xor_b32 s2, exec_lo, s2
	s_cbranch_execz .LBB1499_159
; %bb.158:
	s_waitcnt lgkmcnt(2)
	v_xor_b32_e32 v3, 0xfffff5ff, v0
                                        ; implicit-def: $vgpr32
	v_ashrrev_i32_e32 v4, 31, v3
	v_add_co_u32 v3, vcc_lo, v19, v3
	v_add_co_ci_u32_e64 v4, null, v20, v4, vcc_lo
.LBB1499_159:
	s_andn2_saveexec_b32 s2, s2
	s_cbranch_execz .LBB1499_161
; %bb.160:
	s_waitcnt lgkmcnt(2)
	v_add_co_u32 v3, vcc_lo, v15, v32
	v_add_co_ci_u32_e64 v4, null, 0, v17, vcc_lo
.LBB1499_161:
	s_or_b32 exec_lo, exec_lo, s2
	s_waitcnt lgkmcnt(2)
	v_lshlrev_b64 v[3:4], 2, v[3:4]
	v_add_co_u32 v3, vcc_lo, s14, v3
	v_add_co_ci_u32_e64 v4, null, s15, v4, vcc_lo
	s_waitcnt lgkmcnt(1)
	global_store_dword v[3:4], v1, off
	s_or_b32 exec_lo, exec_lo, s1
	s_mov_b32 s1, exec_lo
	v_cmpx_gt_u32_e64 s25, v31
	s_cbranch_execz .LBB1499_198
	s_branch .LBB1499_193
.LBB1499_162:
	s_or_b32 exec_lo, exec_lo, s1
	s_mov_b32 s1, exec_lo
	v_cmpx_gt_u32_e64 s25, v41
	s_cbranch_execz .LBB1499_132
.LBB1499_163:
	s_mov_b32 s2, exec_lo
                                        ; implicit-def: $vgpr13_vgpr14
	v_cmpx_ge_u32_e64 v41, v16
	s_xor_b32 s2, exec_lo, s2
	s_cbranch_execz .LBB1499_165
; %bb.164:
	s_waitcnt lgkmcnt(6)
	v_xor_b32_e32 v11, 0xfffffeff, v0
                                        ; implicit-def: $vgpr41
	v_ashrrev_i32_e32 v14, 31, v11
	v_add_co_u32 v13, vcc_lo, v19, v11
	v_add_co_ci_u32_e64 v14, null, v20, v14, vcc_lo
.LBB1499_165:
	s_andn2_saveexec_b32 s2, s2
; %bb.166:
	v_add_co_u32 v13, vcc_lo, v15, v41
	v_add_co_ci_u32_e64 v14, null, 0, v17, vcc_lo
; %bb.167:
	s_or_b32 exec_lo, exec_lo, s2
	v_lshlrev_b64 v[13:14], 2, v[13:14]
	v_add_co_u32 v13, vcc_lo, s14, v13
	v_add_co_ci_u32_e64 v14, null, s15, v14, vcc_lo
	s_waitcnt lgkmcnt(6)
	global_store_dword v[13:14], v12, off
	s_or_b32 exec_lo, exec_lo, s1
	s_mov_b32 s1, exec_lo
	v_cmpx_gt_u32_e64 s25, v40
	s_cbranch_execnz .LBB1499_133
.LBB1499_168:
	s_or_b32 exec_lo, exec_lo, s1
	s_mov_b32 s1, exec_lo
	v_cmpx_gt_u32_e64 s25, v39
	s_cbranch_execz .LBB1499_138
.LBB1499_169:
	s_mov_b32 s2, exec_lo
                                        ; implicit-def: $vgpr11_vgpr12
	v_cmpx_ge_u32_e64 v39, v16
	s_xor_b32 s2, exec_lo, s2
	s_cbranch_execz .LBB1499_171
; %bb.170:
	s_waitcnt lgkmcnt(5)
	v_xor_b32_e32 v9, 0xfffffcff, v0
                                        ; implicit-def: $vgpr39
	v_ashrrev_i32_e32 v12, 31, v9
	v_add_co_u32 v11, vcc_lo, v19, v9
	v_add_co_ci_u32_e64 v12, null, v20, v12, vcc_lo
.LBB1499_171:
	s_andn2_saveexec_b32 s2, s2
	s_cbranch_execz .LBB1499_173
; %bb.172:
	s_waitcnt lgkmcnt(6)
	v_add_co_u32 v11, vcc_lo, v15, v39
	v_add_co_ci_u32_e64 v12, null, 0, v17, vcc_lo
.LBB1499_173:
	s_or_b32 exec_lo, exec_lo, s2
	s_waitcnt lgkmcnt(6)
	v_lshlrev_b64 v[11:12], 2, v[11:12]
	v_add_co_u32 v11, vcc_lo, s14, v11
	v_add_co_ci_u32_e64 v12, null, s15, v12, vcc_lo
	s_waitcnt lgkmcnt(5)
	global_store_dword v[11:12], v10, off
	s_or_b32 exec_lo, exec_lo, s1
	s_mov_b32 s1, exec_lo
	v_cmpx_gt_u32_e64 s25, v38
	s_cbranch_execnz .LBB1499_139
.LBB1499_174:
	s_or_b32 exec_lo, exec_lo, s1
	s_mov_b32 s1, exec_lo
	v_cmpx_gt_u32_e64 s25, v37
	s_cbranch_execz .LBB1499_144
.LBB1499_175:
	s_mov_b32 s2, exec_lo
                                        ; implicit-def: $vgpr9_vgpr10
	v_cmpx_ge_u32_e64 v37, v16
	s_xor_b32 s2, exec_lo, s2
	s_cbranch_execz .LBB1499_177
; %bb.176:
	s_waitcnt lgkmcnt(4)
	v_xor_b32_e32 v7, 0xfffffaff, v0
                                        ; implicit-def: $vgpr37
	v_ashrrev_i32_e32 v10, 31, v7
	v_add_co_u32 v9, vcc_lo, v19, v7
	v_add_co_ci_u32_e64 v10, null, v20, v10, vcc_lo
.LBB1499_177:
	s_andn2_saveexec_b32 s2, s2
	s_cbranch_execz .LBB1499_179
; %bb.178:
	s_waitcnt lgkmcnt(5)
	v_add_co_u32 v9, vcc_lo, v15, v37
	v_add_co_ci_u32_e64 v10, null, 0, v17, vcc_lo
.LBB1499_179:
	s_or_b32 exec_lo, exec_lo, s2
	s_waitcnt lgkmcnt(5)
	v_lshlrev_b64 v[9:10], 2, v[9:10]
	v_add_co_u32 v9, vcc_lo, s14, v9
	v_add_co_ci_u32_e64 v10, null, s15, v10, vcc_lo
	s_waitcnt lgkmcnt(4)
	global_store_dword v[9:10], v8, off
	s_or_b32 exec_lo, exec_lo, s1
	s_mov_b32 s1, exec_lo
	v_cmpx_gt_u32_e64 s25, v36
	s_cbranch_execnz .LBB1499_145
.LBB1499_180:
	s_or_b32 exec_lo, exec_lo, s1
	s_mov_b32 s1, exec_lo
	v_cmpx_gt_u32_e64 s25, v35
	s_cbranch_execz .LBB1499_150
.LBB1499_181:
	s_mov_b32 s2, exec_lo
                                        ; implicit-def: $vgpr7_vgpr8
	v_cmpx_ge_u32_e64 v35, v16
	s_xor_b32 s2, exec_lo, s2
	s_cbranch_execz .LBB1499_183
; %bb.182:
	s_waitcnt lgkmcnt(3)
	v_xor_b32_e32 v5, 0xfffff8ff, v0
                                        ; implicit-def: $vgpr35
	v_ashrrev_i32_e32 v8, 31, v5
	v_add_co_u32 v7, vcc_lo, v19, v5
	v_add_co_ci_u32_e64 v8, null, v20, v8, vcc_lo
.LBB1499_183:
	s_andn2_saveexec_b32 s2, s2
	s_cbranch_execz .LBB1499_185
; %bb.184:
	s_waitcnt lgkmcnt(4)
	v_add_co_u32 v7, vcc_lo, v15, v35
	v_add_co_ci_u32_e64 v8, null, 0, v17, vcc_lo
.LBB1499_185:
	s_or_b32 exec_lo, exec_lo, s2
	s_waitcnt lgkmcnt(4)
	v_lshlrev_b64 v[7:8], 2, v[7:8]
	v_add_co_u32 v7, vcc_lo, s14, v7
	v_add_co_ci_u32_e64 v8, null, s15, v8, vcc_lo
	s_waitcnt lgkmcnt(3)
	global_store_dword v[7:8], v6, off
	s_or_b32 exec_lo, exec_lo, s1
	s_mov_b32 s1, exec_lo
	v_cmpx_gt_u32_e64 s25, v34
	s_cbranch_execnz .LBB1499_151
.LBB1499_186:
	s_or_b32 exec_lo, exec_lo, s1
	s_mov_b32 s1, exec_lo
	v_cmpx_gt_u32_e64 s25, v33
	s_cbranch_execz .LBB1499_156
.LBB1499_187:
	s_mov_b32 s2, exec_lo
                                        ; implicit-def: $vgpr5_vgpr6
	v_cmpx_ge_u32_e64 v33, v16
	s_xor_b32 s2, exec_lo, s2
	s_cbranch_execz .LBB1499_189
; %bb.188:
	s_waitcnt lgkmcnt(2)
	v_xor_b32_e32 v3, 0xfffff6ff, v0
                                        ; implicit-def: $vgpr33
	v_ashrrev_i32_e32 v6, 31, v3
	v_add_co_u32 v5, vcc_lo, v19, v3
	v_add_co_ci_u32_e64 v6, null, v20, v6, vcc_lo
.LBB1499_189:
	s_andn2_saveexec_b32 s2, s2
	s_cbranch_execz .LBB1499_191
; %bb.190:
	s_waitcnt lgkmcnt(3)
	v_add_co_u32 v5, vcc_lo, v15, v33
	v_add_co_ci_u32_e64 v6, null, 0, v17, vcc_lo
.LBB1499_191:
	s_or_b32 exec_lo, exec_lo, s2
	s_waitcnt lgkmcnt(3)
	v_lshlrev_b64 v[5:6], 2, v[5:6]
	v_add_co_u32 v5, vcc_lo, s14, v5
	v_add_co_ci_u32_e64 v6, null, s15, v6, vcc_lo
	s_waitcnt lgkmcnt(2)
	global_store_dword v[5:6], v4, off
	s_or_b32 exec_lo, exec_lo, s1
	s_mov_b32 s1, exec_lo
	v_cmpx_gt_u32_e64 s25, v32
	s_cbranch_execnz .LBB1499_157
.LBB1499_192:
	s_or_b32 exec_lo, exec_lo, s1
	s_mov_b32 s1, exec_lo
	v_cmpx_gt_u32_e64 s25, v31
	s_cbranch_execz .LBB1499_198
.LBB1499_193:
	s_mov_b32 s2, exec_lo
                                        ; implicit-def: $vgpr3_vgpr4
	v_cmpx_ge_u32_e64 v31, v16
	s_xor_b32 s2, exec_lo, s2
	s_cbranch_execz .LBB1499_195
; %bb.194:
	s_waitcnt lgkmcnt(1)
	v_xor_b32_e32 v1, 0xfffff4ff, v0
                                        ; implicit-def: $vgpr31
	v_ashrrev_i32_e32 v4, 31, v1
	v_add_co_u32 v3, vcc_lo, v19, v1
	v_add_co_ci_u32_e64 v4, null, v20, v4, vcc_lo
.LBB1499_195:
	s_andn2_saveexec_b32 s2, s2
	s_cbranch_execz .LBB1499_197
; %bb.196:
	s_waitcnt lgkmcnt(2)
	v_add_co_u32 v3, vcc_lo, v15, v31
	v_add_co_ci_u32_e64 v4, null, 0, v17, vcc_lo
.LBB1499_197:
	s_or_b32 exec_lo, exec_lo, s2
	s_waitcnt lgkmcnt(2)
	v_lshlrev_b64 v[3:4], 2, v[3:4]
	v_add_co_u32 v3, vcc_lo, s14, v3
	v_add_co_ci_u32_e64 v4, null, s15, v4, vcc_lo
	s_waitcnt lgkmcnt(1)
	global_store_dword v[3:4], v2, off
.LBB1499_198:
	s_or_b32 exec_lo, exec_lo, s1
	s_mov_b32 s1, exec_lo
                                        ; implicit-def: $vgpr13_vgpr14
	v_cmpx_gt_u32_e64 s25, v30
	s_cbranch_execz .LBB1499_204
; %bb.199:
	s_mov_b32 s2, exec_lo
                                        ; implicit-def: $vgpr13_vgpr14
	v_cmpx_ge_u32_e64 v30, v16
	s_xor_b32 s2, exec_lo, s2
	s_cbranch_execz .LBB1499_201
; %bb.200:
	s_waitcnt lgkmcnt(1)
	v_xor_b32_e32 v1, 0xfffff3ff, v0
                                        ; implicit-def: $vgpr30
	v_ashrrev_i32_e32 v2, 31, v1
	v_add_co_u32 v13, vcc_lo, v19, v1
	v_add_co_ci_u32_e64 v14, null, v20, v2, vcc_lo
.LBB1499_201:
	s_andn2_saveexec_b32 s2, s2
; %bb.202:
	v_add_co_u32 v13, vcc_lo, v15, v30
	v_add_co_ci_u32_e64 v14, null, 0, v17, vcc_lo
; %bb.203:
	s_or_b32 exec_lo, exec_lo, s2
	s_or_b32 s0, s0, exec_lo
.LBB1499_204:
	s_or_b32 exec_lo, exec_lo, s1
.LBB1499_205:
	s_and_saveexec_b32 s1, s0
	s_cbranch_execz .LBB1499_207
; %bb.206:
	s_waitcnt lgkmcnt(1)
	v_lshlrev_b64 v[1:2], 2, v[13:14]
	v_add_co_u32 v1, vcc_lo, s14, v1
	v_add_co_ci_u32_e64 v2, null, s15, v2, vcc_lo
	s_waitcnt lgkmcnt(0)
	global_store_dword v[1:2], v18, off
.LBB1499_207:
	s_or_b32 exec_lo, exec_lo, s1
	v_cmp_eq_u32_e32 vcc_lo, 0, v0
	s_and_b32 s0, vcc_lo, s24
	s_and_saveexec_b32 s1, s0
	s_cbranch_execz .LBB1499_209
; %bb.208:
	v_add_co_u32 v0, vcc_lo, v15, v16
	s_waitcnt lgkmcnt(1)
	v_mov_b32_e32 v2, 0
	v_add_co_ci_u32_e64 v1, null, 0, v17, vcc_lo
	global_store_dwordx2 v2, v[0:1], s[12:13]
.LBB1499_209:
	s_endpgm
	.section	.rodata,"a",@progbits
	.p2align	6, 0x0
	.amdhsa_kernel _ZN7rocprim17ROCPRIM_400000_NS6detail17trampoline_kernelINS0_13select_configILj256ELj13ELNS0_17block_load_methodE3ELS4_3ELS4_3ELNS0_20block_scan_algorithmE0ELj4294967295EEENS1_25partition_config_selectorILNS1_17partition_subalgoE3EjNS0_10empty_typeEbEEZZNS1_14partition_implILS8_3ELb0ES6_jNS0_17counting_iteratorIjlEEPS9_SE_NS0_5tupleIJPjSE_EEENSF_IJSE_SE_EEES9_SG_JZNS1_25segmented_radix_sort_implINS0_14default_configELb1EPKbPbPKlPlN2at6native12_GLOBAL__N_18offset_tEEE10hipError_tPvRmT1_PNSt15iterator_traitsISY_E10value_typeET2_T3_PNSZ_IS14_E10value_typeET4_jRbjT5_S1A_jjP12ihipStream_tbEUljE_EEESV_SW_SX_S14_S18_S1A_T6_T7_T9_mT8_S1C_bDpT10_ENKUlT_T0_E_clISt17integral_constantIbLb0EES1P_EEDaS1K_S1L_EUlS1K_E_NS1_11comp_targetILNS1_3genE8ELNS1_11target_archE1030ELNS1_3gpuE2ELNS1_3repE0EEENS1_30default_config_static_selectorELNS0_4arch9wavefront6targetE0EEEvSY_
		.amdhsa_group_segment_fixed_size 13320
		.amdhsa_private_segment_fixed_size 0
		.amdhsa_kernarg_size 144
		.amdhsa_user_sgpr_count 6
		.amdhsa_user_sgpr_private_segment_buffer 1
		.amdhsa_user_sgpr_dispatch_ptr 0
		.amdhsa_user_sgpr_queue_ptr 0
		.amdhsa_user_sgpr_kernarg_segment_ptr 1
		.amdhsa_user_sgpr_dispatch_id 0
		.amdhsa_user_sgpr_flat_scratch_init 0
		.amdhsa_user_sgpr_private_segment_size 0
		.amdhsa_wavefront_size32 1
		.amdhsa_uses_dynamic_stack 0
		.amdhsa_system_sgpr_private_segment_wavefront_offset 0
		.amdhsa_system_sgpr_workgroup_id_x 1
		.amdhsa_system_sgpr_workgroup_id_y 0
		.amdhsa_system_sgpr_workgroup_id_z 0
		.amdhsa_system_sgpr_workgroup_info 0
		.amdhsa_system_vgpr_workitem_id 0
		.amdhsa_next_free_vgpr 69
		.amdhsa_next_free_sgpr 27
		.amdhsa_reserve_vcc 1
		.amdhsa_reserve_flat_scratch 0
		.amdhsa_float_round_mode_32 0
		.amdhsa_float_round_mode_16_64 0
		.amdhsa_float_denorm_mode_32 3
		.amdhsa_float_denorm_mode_16_64 3
		.amdhsa_dx10_clamp 1
		.amdhsa_ieee_mode 1
		.amdhsa_fp16_overflow 0
		.amdhsa_workgroup_processor_mode 1
		.amdhsa_memory_ordered 1
		.amdhsa_forward_progress 1
		.amdhsa_shared_vgpr_count 0
		.amdhsa_exception_fp_ieee_invalid_op 0
		.amdhsa_exception_fp_denorm_src 0
		.amdhsa_exception_fp_ieee_div_zero 0
		.amdhsa_exception_fp_ieee_overflow 0
		.amdhsa_exception_fp_ieee_underflow 0
		.amdhsa_exception_fp_ieee_inexact 0
		.amdhsa_exception_int_div_zero 0
	.end_amdhsa_kernel
	.section	.text._ZN7rocprim17ROCPRIM_400000_NS6detail17trampoline_kernelINS0_13select_configILj256ELj13ELNS0_17block_load_methodE3ELS4_3ELS4_3ELNS0_20block_scan_algorithmE0ELj4294967295EEENS1_25partition_config_selectorILNS1_17partition_subalgoE3EjNS0_10empty_typeEbEEZZNS1_14partition_implILS8_3ELb0ES6_jNS0_17counting_iteratorIjlEEPS9_SE_NS0_5tupleIJPjSE_EEENSF_IJSE_SE_EEES9_SG_JZNS1_25segmented_radix_sort_implINS0_14default_configELb1EPKbPbPKlPlN2at6native12_GLOBAL__N_18offset_tEEE10hipError_tPvRmT1_PNSt15iterator_traitsISY_E10value_typeET2_T3_PNSZ_IS14_E10value_typeET4_jRbjT5_S1A_jjP12ihipStream_tbEUljE_EEESV_SW_SX_S14_S18_S1A_T6_T7_T9_mT8_S1C_bDpT10_ENKUlT_T0_E_clISt17integral_constantIbLb0EES1P_EEDaS1K_S1L_EUlS1K_E_NS1_11comp_targetILNS1_3genE8ELNS1_11target_archE1030ELNS1_3gpuE2ELNS1_3repE0EEENS1_30default_config_static_selectorELNS0_4arch9wavefront6targetE0EEEvSY_,"axG",@progbits,_ZN7rocprim17ROCPRIM_400000_NS6detail17trampoline_kernelINS0_13select_configILj256ELj13ELNS0_17block_load_methodE3ELS4_3ELS4_3ELNS0_20block_scan_algorithmE0ELj4294967295EEENS1_25partition_config_selectorILNS1_17partition_subalgoE3EjNS0_10empty_typeEbEEZZNS1_14partition_implILS8_3ELb0ES6_jNS0_17counting_iteratorIjlEEPS9_SE_NS0_5tupleIJPjSE_EEENSF_IJSE_SE_EEES9_SG_JZNS1_25segmented_radix_sort_implINS0_14default_configELb1EPKbPbPKlPlN2at6native12_GLOBAL__N_18offset_tEEE10hipError_tPvRmT1_PNSt15iterator_traitsISY_E10value_typeET2_T3_PNSZ_IS14_E10value_typeET4_jRbjT5_S1A_jjP12ihipStream_tbEUljE_EEESV_SW_SX_S14_S18_S1A_T6_T7_T9_mT8_S1C_bDpT10_ENKUlT_T0_E_clISt17integral_constantIbLb0EES1P_EEDaS1K_S1L_EUlS1K_E_NS1_11comp_targetILNS1_3genE8ELNS1_11target_archE1030ELNS1_3gpuE2ELNS1_3repE0EEENS1_30default_config_static_selectorELNS0_4arch9wavefront6targetE0EEEvSY_,comdat
.Lfunc_end1499:
	.size	_ZN7rocprim17ROCPRIM_400000_NS6detail17trampoline_kernelINS0_13select_configILj256ELj13ELNS0_17block_load_methodE3ELS4_3ELS4_3ELNS0_20block_scan_algorithmE0ELj4294967295EEENS1_25partition_config_selectorILNS1_17partition_subalgoE3EjNS0_10empty_typeEbEEZZNS1_14partition_implILS8_3ELb0ES6_jNS0_17counting_iteratorIjlEEPS9_SE_NS0_5tupleIJPjSE_EEENSF_IJSE_SE_EEES9_SG_JZNS1_25segmented_radix_sort_implINS0_14default_configELb1EPKbPbPKlPlN2at6native12_GLOBAL__N_18offset_tEEE10hipError_tPvRmT1_PNSt15iterator_traitsISY_E10value_typeET2_T3_PNSZ_IS14_E10value_typeET4_jRbjT5_S1A_jjP12ihipStream_tbEUljE_EEESV_SW_SX_S14_S18_S1A_T6_T7_T9_mT8_S1C_bDpT10_ENKUlT_T0_E_clISt17integral_constantIbLb0EES1P_EEDaS1K_S1L_EUlS1K_E_NS1_11comp_targetILNS1_3genE8ELNS1_11target_archE1030ELNS1_3gpuE2ELNS1_3repE0EEENS1_30default_config_static_selectorELNS0_4arch9wavefront6targetE0EEEvSY_, .Lfunc_end1499-_ZN7rocprim17ROCPRIM_400000_NS6detail17trampoline_kernelINS0_13select_configILj256ELj13ELNS0_17block_load_methodE3ELS4_3ELS4_3ELNS0_20block_scan_algorithmE0ELj4294967295EEENS1_25partition_config_selectorILNS1_17partition_subalgoE3EjNS0_10empty_typeEbEEZZNS1_14partition_implILS8_3ELb0ES6_jNS0_17counting_iteratorIjlEEPS9_SE_NS0_5tupleIJPjSE_EEENSF_IJSE_SE_EEES9_SG_JZNS1_25segmented_radix_sort_implINS0_14default_configELb1EPKbPbPKlPlN2at6native12_GLOBAL__N_18offset_tEEE10hipError_tPvRmT1_PNSt15iterator_traitsISY_E10value_typeET2_T3_PNSZ_IS14_E10value_typeET4_jRbjT5_S1A_jjP12ihipStream_tbEUljE_EEESV_SW_SX_S14_S18_S1A_T6_T7_T9_mT8_S1C_bDpT10_ENKUlT_T0_E_clISt17integral_constantIbLb0EES1P_EEDaS1K_S1L_EUlS1K_E_NS1_11comp_targetILNS1_3genE8ELNS1_11target_archE1030ELNS1_3gpuE2ELNS1_3repE0EEENS1_30default_config_static_selectorELNS0_4arch9wavefront6targetE0EEEvSY_
                                        ; -- End function
	.set _ZN7rocprim17ROCPRIM_400000_NS6detail17trampoline_kernelINS0_13select_configILj256ELj13ELNS0_17block_load_methodE3ELS4_3ELS4_3ELNS0_20block_scan_algorithmE0ELj4294967295EEENS1_25partition_config_selectorILNS1_17partition_subalgoE3EjNS0_10empty_typeEbEEZZNS1_14partition_implILS8_3ELb0ES6_jNS0_17counting_iteratorIjlEEPS9_SE_NS0_5tupleIJPjSE_EEENSF_IJSE_SE_EEES9_SG_JZNS1_25segmented_radix_sort_implINS0_14default_configELb1EPKbPbPKlPlN2at6native12_GLOBAL__N_18offset_tEEE10hipError_tPvRmT1_PNSt15iterator_traitsISY_E10value_typeET2_T3_PNSZ_IS14_E10value_typeET4_jRbjT5_S1A_jjP12ihipStream_tbEUljE_EEESV_SW_SX_S14_S18_S1A_T6_T7_T9_mT8_S1C_bDpT10_ENKUlT_T0_E_clISt17integral_constantIbLb0EES1P_EEDaS1K_S1L_EUlS1K_E_NS1_11comp_targetILNS1_3genE8ELNS1_11target_archE1030ELNS1_3gpuE2ELNS1_3repE0EEENS1_30default_config_static_selectorELNS0_4arch9wavefront6targetE0EEEvSY_.num_vgpr, 69
	.set _ZN7rocprim17ROCPRIM_400000_NS6detail17trampoline_kernelINS0_13select_configILj256ELj13ELNS0_17block_load_methodE3ELS4_3ELS4_3ELNS0_20block_scan_algorithmE0ELj4294967295EEENS1_25partition_config_selectorILNS1_17partition_subalgoE3EjNS0_10empty_typeEbEEZZNS1_14partition_implILS8_3ELb0ES6_jNS0_17counting_iteratorIjlEEPS9_SE_NS0_5tupleIJPjSE_EEENSF_IJSE_SE_EEES9_SG_JZNS1_25segmented_radix_sort_implINS0_14default_configELb1EPKbPbPKlPlN2at6native12_GLOBAL__N_18offset_tEEE10hipError_tPvRmT1_PNSt15iterator_traitsISY_E10value_typeET2_T3_PNSZ_IS14_E10value_typeET4_jRbjT5_S1A_jjP12ihipStream_tbEUljE_EEESV_SW_SX_S14_S18_S1A_T6_T7_T9_mT8_S1C_bDpT10_ENKUlT_T0_E_clISt17integral_constantIbLb0EES1P_EEDaS1K_S1L_EUlS1K_E_NS1_11comp_targetILNS1_3genE8ELNS1_11target_archE1030ELNS1_3gpuE2ELNS1_3repE0EEENS1_30default_config_static_selectorELNS0_4arch9wavefront6targetE0EEEvSY_.num_agpr, 0
	.set _ZN7rocprim17ROCPRIM_400000_NS6detail17trampoline_kernelINS0_13select_configILj256ELj13ELNS0_17block_load_methodE3ELS4_3ELS4_3ELNS0_20block_scan_algorithmE0ELj4294967295EEENS1_25partition_config_selectorILNS1_17partition_subalgoE3EjNS0_10empty_typeEbEEZZNS1_14partition_implILS8_3ELb0ES6_jNS0_17counting_iteratorIjlEEPS9_SE_NS0_5tupleIJPjSE_EEENSF_IJSE_SE_EEES9_SG_JZNS1_25segmented_radix_sort_implINS0_14default_configELb1EPKbPbPKlPlN2at6native12_GLOBAL__N_18offset_tEEE10hipError_tPvRmT1_PNSt15iterator_traitsISY_E10value_typeET2_T3_PNSZ_IS14_E10value_typeET4_jRbjT5_S1A_jjP12ihipStream_tbEUljE_EEESV_SW_SX_S14_S18_S1A_T6_T7_T9_mT8_S1C_bDpT10_ENKUlT_T0_E_clISt17integral_constantIbLb0EES1P_EEDaS1K_S1L_EUlS1K_E_NS1_11comp_targetILNS1_3genE8ELNS1_11target_archE1030ELNS1_3gpuE2ELNS1_3repE0EEENS1_30default_config_static_selectorELNS0_4arch9wavefront6targetE0EEEvSY_.numbered_sgpr, 27
	.set _ZN7rocprim17ROCPRIM_400000_NS6detail17trampoline_kernelINS0_13select_configILj256ELj13ELNS0_17block_load_methodE3ELS4_3ELS4_3ELNS0_20block_scan_algorithmE0ELj4294967295EEENS1_25partition_config_selectorILNS1_17partition_subalgoE3EjNS0_10empty_typeEbEEZZNS1_14partition_implILS8_3ELb0ES6_jNS0_17counting_iteratorIjlEEPS9_SE_NS0_5tupleIJPjSE_EEENSF_IJSE_SE_EEES9_SG_JZNS1_25segmented_radix_sort_implINS0_14default_configELb1EPKbPbPKlPlN2at6native12_GLOBAL__N_18offset_tEEE10hipError_tPvRmT1_PNSt15iterator_traitsISY_E10value_typeET2_T3_PNSZ_IS14_E10value_typeET4_jRbjT5_S1A_jjP12ihipStream_tbEUljE_EEESV_SW_SX_S14_S18_S1A_T6_T7_T9_mT8_S1C_bDpT10_ENKUlT_T0_E_clISt17integral_constantIbLb0EES1P_EEDaS1K_S1L_EUlS1K_E_NS1_11comp_targetILNS1_3genE8ELNS1_11target_archE1030ELNS1_3gpuE2ELNS1_3repE0EEENS1_30default_config_static_selectorELNS0_4arch9wavefront6targetE0EEEvSY_.num_named_barrier, 0
	.set _ZN7rocprim17ROCPRIM_400000_NS6detail17trampoline_kernelINS0_13select_configILj256ELj13ELNS0_17block_load_methodE3ELS4_3ELS4_3ELNS0_20block_scan_algorithmE0ELj4294967295EEENS1_25partition_config_selectorILNS1_17partition_subalgoE3EjNS0_10empty_typeEbEEZZNS1_14partition_implILS8_3ELb0ES6_jNS0_17counting_iteratorIjlEEPS9_SE_NS0_5tupleIJPjSE_EEENSF_IJSE_SE_EEES9_SG_JZNS1_25segmented_radix_sort_implINS0_14default_configELb1EPKbPbPKlPlN2at6native12_GLOBAL__N_18offset_tEEE10hipError_tPvRmT1_PNSt15iterator_traitsISY_E10value_typeET2_T3_PNSZ_IS14_E10value_typeET4_jRbjT5_S1A_jjP12ihipStream_tbEUljE_EEESV_SW_SX_S14_S18_S1A_T6_T7_T9_mT8_S1C_bDpT10_ENKUlT_T0_E_clISt17integral_constantIbLb0EES1P_EEDaS1K_S1L_EUlS1K_E_NS1_11comp_targetILNS1_3genE8ELNS1_11target_archE1030ELNS1_3gpuE2ELNS1_3repE0EEENS1_30default_config_static_selectorELNS0_4arch9wavefront6targetE0EEEvSY_.private_seg_size, 0
	.set _ZN7rocprim17ROCPRIM_400000_NS6detail17trampoline_kernelINS0_13select_configILj256ELj13ELNS0_17block_load_methodE3ELS4_3ELS4_3ELNS0_20block_scan_algorithmE0ELj4294967295EEENS1_25partition_config_selectorILNS1_17partition_subalgoE3EjNS0_10empty_typeEbEEZZNS1_14partition_implILS8_3ELb0ES6_jNS0_17counting_iteratorIjlEEPS9_SE_NS0_5tupleIJPjSE_EEENSF_IJSE_SE_EEES9_SG_JZNS1_25segmented_radix_sort_implINS0_14default_configELb1EPKbPbPKlPlN2at6native12_GLOBAL__N_18offset_tEEE10hipError_tPvRmT1_PNSt15iterator_traitsISY_E10value_typeET2_T3_PNSZ_IS14_E10value_typeET4_jRbjT5_S1A_jjP12ihipStream_tbEUljE_EEESV_SW_SX_S14_S18_S1A_T6_T7_T9_mT8_S1C_bDpT10_ENKUlT_T0_E_clISt17integral_constantIbLb0EES1P_EEDaS1K_S1L_EUlS1K_E_NS1_11comp_targetILNS1_3genE8ELNS1_11target_archE1030ELNS1_3gpuE2ELNS1_3repE0EEENS1_30default_config_static_selectorELNS0_4arch9wavefront6targetE0EEEvSY_.uses_vcc, 1
	.set _ZN7rocprim17ROCPRIM_400000_NS6detail17trampoline_kernelINS0_13select_configILj256ELj13ELNS0_17block_load_methodE3ELS4_3ELS4_3ELNS0_20block_scan_algorithmE0ELj4294967295EEENS1_25partition_config_selectorILNS1_17partition_subalgoE3EjNS0_10empty_typeEbEEZZNS1_14partition_implILS8_3ELb0ES6_jNS0_17counting_iteratorIjlEEPS9_SE_NS0_5tupleIJPjSE_EEENSF_IJSE_SE_EEES9_SG_JZNS1_25segmented_radix_sort_implINS0_14default_configELb1EPKbPbPKlPlN2at6native12_GLOBAL__N_18offset_tEEE10hipError_tPvRmT1_PNSt15iterator_traitsISY_E10value_typeET2_T3_PNSZ_IS14_E10value_typeET4_jRbjT5_S1A_jjP12ihipStream_tbEUljE_EEESV_SW_SX_S14_S18_S1A_T6_T7_T9_mT8_S1C_bDpT10_ENKUlT_T0_E_clISt17integral_constantIbLb0EES1P_EEDaS1K_S1L_EUlS1K_E_NS1_11comp_targetILNS1_3genE8ELNS1_11target_archE1030ELNS1_3gpuE2ELNS1_3repE0EEENS1_30default_config_static_selectorELNS0_4arch9wavefront6targetE0EEEvSY_.uses_flat_scratch, 0
	.set _ZN7rocprim17ROCPRIM_400000_NS6detail17trampoline_kernelINS0_13select_configILj256ELj13ELNS0_17block_load_methodE3ELS4_3ELS4_3ELNS0_20block_scan_algorithmE0ELj4294967295EEENS1_25partition_config_selectorILNS1_17partition_subalgoE3EjNS0_10empty_typeEbEEZZNS1_14partition_implILS8_3ELb0ES6_jNS0_17counting_iteratorIjlEEPS9_SE_NS0_5tupleIJPjSE_EEENSF_IJSE_SE_EEES9_SG_JZNS1_25segmented_radix_sort_implINS0_14default_configELb1EPKbPbPKlPlN2at6native12_GLOBAL__N_18offset_tEEE10hipError_tPvRmT1_PNSt15iterator_traitsISY_E10value_typeET2_T3_PNSZ_IS14_E10value_typeET4_jRbjT5_S1A_jjP12ihipStream_tbEUljE_EEESV_SW_SX_S14_S18_S1A_T6_T7_T9_mT8_S1C_bDpT10_ENKUlT_T0_E_clISt17integral_constantIbLb0EES1P_EEDaS1K_S1L_EUlS1K_E_NS1_11comp_targetILNS1_3genE8ELNS1_11target_archE1030ELNS1_3gpuE2ELNS1_3repE0EEENS1_30default_config_static_selectorELNS0_4arch9wavefront6targetE0EEEvSY_.has_dyn_sized_stack, 0
	.set _ZN7rocprim17ROCPRIM_400000_NS6detail17trampoline_kernelINS0_13select_configILj256ELj13ELNS0_17block_load_methodE3ELS4_3ELS4_3ELNS0_20block_scan_algorithmE0ELj4294967295EEENS1_25partition_config_selectorILNS1_17partition_subalgoE3EjNS0_10empty_typeEbEEZZNS1_14partition_implILS8_3ELb0ES6_jNS0_17counting_iteratorIjlEEPS9_SE_NS0_5tupleIJPjSE_EEENSF_IJSE_SE_EEES9_SG_JZNS1_25segmented_radix_sort_implINS0_14default_configELb1EPKbPbPKlPlN2at6native12_GLOBAL__N_18offset_tEEE10hipError_tPvRmT1_PNSt15iterator_traitsISY_E10value_typeET2_T3_PNSZ_IS14_E10value_typeET4_jRbjT5_S1A_jjP12ihipStream_tbEUljE_EEESV_SW_SX_S14_S18_S1A_T6_T7_T9_mT8_S1C_bDpT10_ENKUlT_T0_E_clISt17integral_constantIbLb0EES1P_EEDaS1K_S1L_EUlS1K_E_NS1_11comp_targetILNS1_3genE8ELNS1_11target_archE1030ELNS1_3gpuE2ELNS1_3repE0EEENS1_30default_config_static_selectorELNS0_4arch9wavefront6targetE0EEEvSY_.has_recursion, 0
	.set _ZN7rocprim17ROCPRIM_400000_NS6detail17trampoline_kernelINS0_13select_configILj256ELj13ELNS0_17block_load_methodE3ELS4_3ELS4_3ELNS0_20block_scan_algorithmE0ELj4294967295EEENS1_25partition_config_selectorILNS1_17partition_subalgoE3EjNS0_10empty_typeEbEEZZNS1_14partition_implILS8_3ELb0ES6_jNS0_17counting_iteratorIjlEEPS9_SE_NS0_5tupleIJPjSE_EEENSF_IJSE_SE_EEES9_SG_JZNS1_25segmented_radix_sort_implINS0_14default_configELb1EPKbPbPKlPlN2at6native12_GLOBAL__N_18offset_tEEE10hipError_tPvRmT1_PNSt15iterator_traitsISY_E10value_typeET2_T3_PNSZ_IS14_E10value_typeET4_jRbjT5_S1A_jjP12ihipStream_tbEUljE_EEESV_SW_SX_S14_S18_S1A_T6_T7_T9_mT8_S1C_bDpT10_ENKUlT_T0_E_clISt17integral_constantIbLb0EES1P_EEDaS1K_S1L_EUlS1K_E_NS1_11comp_targetILNS1_3genE8ELNS1_11target_archE1030ELNS1_3gpuE2ELNS1_3repE0EEENS1_30default_config_static_selectorELNS0_4arch9wavefront6targetE0EEEvSY_.has_indirect_call, 0
	.section	.AMDGPU.csdata,"",@progbits
; Kernel info:
; codeLenInByte = 8564
; TotalNumSgprs: 29
; NumVgprs: 69
; ScratchSize: 0
; MemoryBound: 0
; FloatMode: 240
; IeeeMode: 1
; LDSByteSize: 13320 bytes/workgroup (compile time only)
; SGPRBlocks: 0
; VGPRBlocks: 8
; NumSGPRsForWavesPerEU: 29
; NumVGPRsForWavesPerEU: 69
; Occupancy: 12
; WaveLimiterHint : 0
; COMPUTE_PGM_RSRC2:SCRATCH_EN: 0
; COMPUTE_PGM_RSRC2:USER_SGPR: 6
; COMPUTE_PGM_RSRC2:TRAP_HANDLER: 0
; COMPUTE_PGM_RSRC2:TGID_X_EN: 1
; COMPUTE_PGM_RSRC2:TGID_Y_EN: 0
; COMPUTE_PGM_RSRC2:TGID_Z_EN: 0
; COMPUTE_PGM_RSRC2:TIDIG_COMP_CNT: 0
	.section	.text._ZN7rocprim17ROCPRIM_400000_NS6detail17trampoline_kernelINS0_13select_configILj256ELj13ELNS0_17block_load_methodE3ELS4_3ELS4_3ELNS0_20block_scan_algorithmE0ELj4294967295EEENS1_25partition_config_selectorILNS1_17partition_subalgoE3EjNS0_10empty_typeEbEEZZNS1_14partition_implILS8_3ELb0ES6_jNS0_17counting_iteratorIjlEEPS9_SE_NS0_5tupleIJPjSE_EEENSF_IJSE_SE_EEES9_SG_JZNS1_25segmented_radix_sort_implINS0_14default_configELb1EPKbPbPKlPlN2at6native12_GLOBAL__N_18offset_tEEE10hipError_tPvRmT1_PNSt15iterator_traitsISY_E10value_typeET2_T3_PNSZ_IS14_E10value_typeET4_jRbjT5_S1A_jjP12ihipStream_tbEUljE_EEESV_SW_SX_S14_S18_S1A_T6_T7_T9_mT8_S1C_bDpT10_ENKUlT_T0_E_clISt17integral_constantIbLb1EES1P_EEDaS1K_S1L_EUlS1K_E_NS1_11comp_targetILNS1_3genE0ELNS1_11target_archE4294967295ELNS1_3gpuE0ELNS1_3repE0EEENS1_30default_config_static_selectorELNS0_4arch9wavefront6targetE0EEEvSY_,"axG",@progbits,_ZN7rocprim17ROCPRIM_400000_NS6detail17trampoline_kernelINS0_13select_configILj256ELj13ELNS0_17block_load_methodE3ELS4_3ELS4_3ELNS0_20block_scan_algorithmE0ELj4294967295EEENS1_25partition_config_selectorILNS1_17partition_subalgoE3EjNS0_10empty_typeEbEEZZNS1_14partition_implILS8_3ELb0ES6_jNS0_17counting_iteratorIjlEEPS9_SE_NS0_5tupleIJPjSE_EEENSF_IJSE_SE_EEES9_SG_JZNS1_25segmented_radix_sort_implINS0_14default_configELb1EPKbPbPKlPlN2at6native12_GLOBAL__N_18offset_tEEE10hipError_tPvRmT1_PNSt15iterator_traitsISY_E10value_typeET2_T3_PNSZ_IS14_E10value_typeET4_jRbjT5_S1A_jjP12ihipStream_tbEUljE_EEESV_SW_SX_S14_S18_S1A_T6_T7_T9_mT8_S1C_bDpT10_ENKUlT_T0_E_clISt17integral_constantIbLb1EES1P_EEDaS1K_S1L_EUlS1K_E_NS1_11comp_targetILNS1_3genE0ELNS1_11target_archE4294967295ELNS1_3gpuE0ELNS1_3repE0EEENS1_30default_config_static_selectorELNS0_4arch9wavefront6targetE0EEEvSY_,comdat
	.globl	_ZN7rocprim17ROCPRIM_400000_NS6detail17trampoline_kernelINS0_13select_configILj256ELj13ELNS0_17block_load_methodE3ELS4_3ELS4_3ELNS0_20block_scan_algorithmE0ELj4294967295EEENS1_25partition_config_selectorILNS1_17partition_subalgoE3EjNS0_10empty_typeEbEEZZNS1_14partition_implILS8_3ELb0ES6_jNS0_17counting_iteratorIjlEEPS9_SE_NS0_5tupleIJPjSE_EEENSF_IJSE_SE_EEES9_SG_JZNS1_25segmented_radix_sort_implINS0_14default_configELb1EPKbPbPKlPlN2at6native12_GLOBAL__N_18offset_tEEE10hipError_tPvRmT1_PNSt15iterator_traitsISY_E10value_typeET2_T3_PNSZ_IS14_E10value_typeET4_jRbjT5_S1A_jjP12ihipStream_tbEUljE_EEESV_SW_SX_S14_S18_S1A_T6_T7_T9_mT8_S1C_bDpT10_ENKUlT_T0_E_clISt17integral_constantIbLb1EES1P_EEDaS1K_S1L_EUlS1K_E_NS1_11comp_targetILNS1_3genE0ELNS1_11target_archE4294967295ELNS1_3gpuE0ELNS1_3repE0EEENS1_30default_config_static_selectorELNS0_4arch9wavefront6targetE0EEEvSY_ ; -- Begin function _ZN7rocprim17ROCPRIM_400000_NS6detail17trampoline_kernelINS0_13select_configILj256ELj13ELNS0_17block_load_methodE3ELS4_3ELS4_3ELNS0_20block_scan_algorithmE0ELj4294967295EEENS1_25partition_config_selectorILNS1_17partition_subalgoE3EjNS0_10empty_typeEbEEZZNS1_14partition_implILS8_3ELb0ES6_jNS0_17counting_iteratorIjlEEPS9_SE_NS0_5tupleIJPjSE_EEENSF_IJSE_SE_EEES9_SG_JZNS1_25segmented_radix_sort_implINS0_14default_configELb1EPKbPbPKlPlN2at6native12_GLOBAL__N_18offset_tEEE10hipError_tPvRmT1_PNSt15iterator_traitsISY_E10value_typeET2_T3_PNSZ_IS14_E10value_typeET4_jRbjT5_S1A_jjP12ihipStream_tbEUljE_EEESV_SW_SX_S14_S18_S1A_T6_T7_T9_mT8_S1C_bDpT10_ENKUlT_T0_E_clISt17integral_constantIbLb1EES1P_EEDaS1K_S1L_EUlS1K_E_NS1_11comp_targetILNS1_3genE0ELNS1_11target_archE4294967295ELNS1_3gpuE0ELNS1_3repE0EEENS1_30default_config_static_selectorELNS0_4arch9wavefront6targetE0EEEvSY_
	.p2align	8
	.type	_ZN7rocprim17ROCPRIM_400000_NS6detail17trampoline_kernelINS0_13select_configILj256ELj13ELNS0_17block_load_methodE3ELS4_3ELS4_3ELNS0_20block_scan_algorithmE0ELj4294967295EEENS1_25partition_config_selectorILNS1_17partition_subalgoE3EjNS0_10empty_typeEbEEZZNS1_14partition_implILS8_3ELb0ES6_jNS0_17counting_iteratorIjlEEPS9_SE_NS0_5tupleIJPjSE_EEENSF_IJSE_SE_EEES9_SG_JZNS1_25segmented_radix_sort_implINS0_14default_configELb1EPKbPbPKlPlN2at6native12_GLOBAL__N_18offset_tEEE10hipError_tPvRmT1_PNSt15iterator_traitsISY_E10value_typeET2_T3_PNSZ_IS14_E10value_typeET4_jRbjT5_S1A_jjP12ihipStream_tbEUljE_EEESV_SW_SX_S14_S18_S1A_T6_T7_T9_mT8_S1C_bDpT10_ENKUlT_T0_E_clISt17integral_constantIbLb1EES1P_EEDaS1K_S1L_EUlS1K_E_NS1_11comp_targetILNS1_3genE0ELNS1_11target_archE4294967295ELNS1_3gpuE0ELNS1_3repE0EEENS1_30default_config_static_selectorELNS0_4arch9wavefront6targetE0EEEvSY_,@function
_ZN7rocprim17ROCPRIM_400000_NS6detail17trampoline_kernelINS0_13select_configILj256ELj13ELNS0_17block_load_methodE3ELS4_3ELS4_3ELNS0_20block_scan_algorithmE0ELj4294967295EEENS1_25partition_config_selectorILNS1_17partition_subalgoE3EjNS0_10empty_typeEbEEZZNS1_14partition_implILS8_3ELb0ES6_jNS0_17counting_iteratorIjlEEPS9_SE_NS0_5tupleIJPjSE_EEENSF_IJSE_SE_EEES9_SG_JZNS1_25segmented_radix_sort_implINS0_14default_configELb1EPKbPbPKlPlN2at6native12_GLOBAL__N_18offset_tEEE10hipError_tPvRmT1_PNSt15iterator_traitsISY_E10value_typeET2_T3_PNSZ_IS14_E10value_typeET4_jRbjT5_S1A_jjP12ihipStream_tbEUljE_EEESV_SW_SX_S14_S18_S1A_T6_T7_T9_mT8_S1C_bDpT10_ENKUlT_T0_E_clISt17integral_constantIbLb1EES1P_EEDaS1K_S1L_EUlS1K_E_NS1_11comp_targetILNS1_3genE0ELNS1_11target_archE4294967295ELNS1_3gpuE0ELNS1_3repE0EEENS1_30default_config_static_selectorELNS0_4arch9wavefront6targetE0EEEvSY_: ; @_ZN7rocprim17ROCPRIM_400000_NS6detail17trampoline_kernelINS0_13select_configILj256ELj13ELNS0_17block_load_methodE3ELS4_3ELS4_3ELNS0_20block_scan_algorithmE0ELj4294967295EEENS1_25partition_config_selectorILNS1_17partition_subalgoE3EjNS0_10empty_typeEbEEZZNS1_14partition_implILS8_3ELb0ES6_jNS0_17counting_iteratorIjlEEPS9_SE_NS0_5tupleIJPjSE_EEENSF_IJSE_SE_EEES9_SG_JZNS1_25segmented_radix_sort_implINS0_14default_configELb1EPKbPbPKlPlN2at6native12_GLOBAL__N_18offset_tEEE10hipError_tPvRmT1_PNSt15iterator_traitsISY_E10value_typeET2_T3_PNSZ_IS14_E10value_typeET4_jRbjT5_S1A_jjP12ihipStream_tbEUljE_EEESV_SW_SX_S14_S18_S1A_T6_T7_T9_mT8_S1C_bDpT10_ENKUlT_T0_E_clISt17integral_constantIbLb1EES1P_EEDaS1K_S1L_EUlS1K_E_NS1_11comp_targetILNS1_3genE0ELNS1_11target_archE4294967295ELNS1_3gpuE0ELNS1_3repE0EEENS1_30default_config_static_selectorELNS0_4arch9wavefront6targetE0EEEvSY_
; %bb.0:
	.section	.rodata,"a",@progbits
	.p2align	6, 0x0
	.amdhsa_kernel _ZN7rocprim17ROCPRIM_400000_NS6detail17trampoline_kernelINS0_13select_configILj256ELj13ELNS0_17block_load_methodE3ELS4_3ELS4_3ELNS0_20block_scan_algorithmE0ELj4294967295EEENS1_25partition_config_selectorILNS1_17partition_subalgoE3EjNS0_10empty_typeEbEEZZNS1_14partition_implILS8_3ELb0ES6_jNS0_17counting_iteratorIjlEEPS9_SE_NS0_5tupleIJPjSE_EEENSF_IJSE_SE_EEES9_SG_JZNS1_25segmented_radix_sort_implINS0_14default_configELb1EPKbPbPKlPlN2at6native12_GLOBAL__N_18offset_tEEE10hipError_tPvRmT1_PNSt15iterator_traitsISY_E10value_typeET2_T3_PNSZ_IS14_E10value_typeET4_jRbjT5_S1A_jjP12ihipStream_tbEUljE_EEESV_SW_SX_S14_S18_S1A_T6_T7_T9_mT8_S1C_bDpT10_ENKUlT_T0_E_clISt17integral_constantIbLb1EES1P_EEDaS1K_S1L_EUlS1K_E_NS1_11comp_targetILNS1_3genE0ELNS1_11target_archE4294967295ELNS1_3gpuE0ELNS1_3repE0EEENS1_30default_config_static_selectorELNS0_4arch9wavefront6targetE0EEEvSY_
		.amdhsa_group_segment_fixed_size 0
		.amdhsa_private_segment_fixed_size 0
		.amdhsa_kernarg_size 152
		.amdhsa_user_sgpr_count 6
		.amdhsa_user_sgpr_private_segment_buffer 1
		.amdhsa_user_sgpr_dispatch_ptr 0
		.amdhsa_user_sgpr_queue_ptr 0
		.amdhsa_user_sgpr_kernarg_segment_ptr 1
		.amdhsa_user_sgpr_dispatch_id 0
		.amdhsa_user_sgpr_flat_scratch_init 0
		.amdhsa_user_sgpr_private_segment_size 0
		.amdhsa_wavefront_size32 1
		.amdhsa_uses_dynamic_stack 0
		.amdhsa_system_sgpr_private_segment_wavefront_offset 0
		.amdhsa_system_sgpr_workgroup_id_x 1
		.amdhsa_system_sgpr_workgroup_id_y 0
		.amdhsa_system_sgpr_workgroup_id_z 0
		.amdhsa_system_sgpr_workgroup_info 0
		.amdhsa_system_vgpr_workitem_id 0
		.amdhsa_next_free_vgpr 1
		.amdhsa_next_free_sgpr 1
		.amdhsa_reserve_vcc 0
		.amdhsa_reserve_flat_scratch 0
		.amdhsa_float_round_mode_32 0
		.amdhsa_float_round_mode_16_64 0
		.amdhsa_float_denorm_mode_32 3
		.amdhsa_float_denorm_mode_16_64 3
		.amdhsa_dx10_clamp 1
		.amdhsa_ieee_mode 1
		.amdhsa_fp16_overflow 0
		.amdhsa_workgroup_processor_mode 1
		.amdhsa_memory_ordered 1
		.amdhsa_forward_progress 1
		.amdhsa_shared_vgpr_count 0
		.amdhsa_exception_fp_ieee_invalid_op 0
		.amdhsa_exception_fp_denorm_src 0
		.amdhsa_exception_fp_ieee_div_zero 0
		.amdhsa_exception_fp_ieee_overflow 0
		.amdhsa_exception_fp_ieee_underflow 0
		.amdhsa_exception_fp_ieee_inexact 0
		.amdhsa_exception_int_div_zero 0
	.end_amdhsa_kernel
	.section	.text._ZN7rocprim17ROCPRIM_400000_NS6detail17trampoline_kernelINS0_13select_configILj256ELj13ELNS0_17block_load_methodE3ELS4_3ELS4_3ELNS0_20block_scan_algorithmE0ELj4294967295EEENS1_25partition_config_selectorILNS1_17partition_subalgoE3EjNS0_10empty_typeEbEEZZNS1_14partition_implILS8_3ELb0ES6_jNS0_17counting_iteratorIjlEEPS9_SE_NS0_5tupleIJPjSE_EEENSF_IJSE_SE_EEES9_SG_JZNS1_25segmented_radix_sort_implINS0_14default_configELb1EPKbPbPKlPlN2at6native12_GLOBAL__N_18offset_tEEE10hipError_tPvRmT1_PNSt15iterator_traitsISY_E10value_typeET2_T3_PNSZ_IS14_E10value_typeET4_jRbjT5_S1A_jjP12ihipStream_tbEUljE_EEESV_SW_SX_S14_S18_S1A_T6_T7_T9_mT8_S1C_bDpT10_ENKUlT_T0_E_clISt17integral_constantIbLb1EES1P_EEDaS1K_S1L_EUlS1K_E_NS1_11comp_targetILNS1_3genE0ELNS1_11target_archE4294967295ELNS1_3gpuE0ELNS1_3repE0EEENS1_30default_config_static_selectorELNS0_4arch9wavefront6targetE0EEEvSY_,"axG",@progbits,_ZN7rocprim17ROCPRIM_400000_NS6detail17trampoline_kernelINS0_13select_configILj256ELj13ELNS0_17block_load_methodE3ELS4_3ELS4_3ELNS0_20block_scan_algorithmE0ELj4294967295EEENS1_25partition_config_selectorILNS1_17partition_subalgoE3EjNS0_10empty_typeEbEEZZNS1_14partition_implILS8_3ELb0ES6_jNS0_17counting_iteratorIjlEEPS9_SE_NS0_5tupleIJPjSE_EEENSF_IJSE_SE_EEES9_SG_JZNS1_25segmented_radix_sort_implINS0_14default_configELb1EPKbPbPKlPlN2at6native12_GLOBAL__N_18offset_tEEE10hipError_tPvRmT1_PNSt15iterator_traitsISY_E10value_typeET2_T3_PNSZ_IS14_E10value_typeET4_jRbjT5_S1A_jjP12ihipStream_tbEUljE_EEESV_SW_SX_S14_S18_S1A_T6_T7_T9_mT8_S1C_bDpT10_ENKUlT_T0_E_clISt17integral_constantIbLb1EES1P_EEDaS1K_S1L_EUlS1K_E_NS1_11comp_targetILNS1_3genE0ELNS1_11target_archE4294967295ELNS1_3gpuE0ELNS1_3repE0EEENS1_30default_config_static_selectorELNS0_4arch9wavefront6targetE0EEEvSY_,comdat
.Lfunc_end1500:
	.size	_ZN7rocprim17ROCPRIM_400000_NS6detail17trampoline_kernelINS0_13select_configILj256ELj13ELNS0_17block_load_methodE3ELS4_3ELS4_3ELNS0_20block_scan_algorithmE0ELj4294967295EEENS1_25partition_config_selectorILNS1_17partition_subalgoE3EjNS0_10empty_typeEbEEZZNS1_14partition_implILS8_3ELb0ES6_jNS0_17counting_iteratorIjlEEPS9_SE_NS0_5tupleIJPjSE_EEENSF_IJSE_SE_EEES9_SG_JZNS1_25segmented_radix_sort_implINS0_14default_configELb1EPKbPbPKlPlN2at6native12_GLOBAL__N_18offset_tEEE10hipError_tPvRmT1_PNSt15iterator_traitsISY_E10value_typeET2_T3_PNSZ_IS14_E10value_typeET4_jRbjT5_S1A_jjP12ihipStream_tbEUljE_EEESV_SW_SX_S14_S18_S1A_T6_T7_T9_mT8_S1C_bDpT10_ENKUlT_T0_E_clISt17integral_constantIbLb1EES1P_EEDaS1K_S1L_EUlS1K_E_NS1_11comp_targetILNS1_3genE0ELNS1_11target_archE4294967295ELNS1_3gpuE0ELNS1_3repE0EEENS1_30default_config_static_selectorELNS0_4arch9wavefront6targetE0EEEvSY_, .Lfunc_end1500-_ZN7rocprim17ROCPRIM_400000_NS6detail17trampoline_kernelINS0_13select_configILj256ELj13ELNS0_17block_load_methodE3ELS4_3ELS4_3ELNS0_20block_scan_algorithmE0ELj4294967295EEENS1_25partition_config_selectorILNS1_17partition_subalgoE3EjNS0_10empty_typeEbEEZZNS1_14partition_implILS8_3ELb0ES6_jNS0_17counting_iteratorIjlEEPS9_SE_NS0_5tupleIJPjSE_EEENSF_IJSE_SE_EEES9_SG_JZNS1_25segmented_radix_sort_implINS0_14default_configELb1EPKbPbPKlPlN2at6native12_GLOBAL__N_18offset_tEEE10hipError_tPvRmT1_PNSt15iterator_traitsISY_E10value_typeET2_T3_PNSZ_IS14_E10value_typeET4_jRbjT5_S1A_jjP12ihipStream_tbEUljE_EEESV_SW_SX_S14_S18_S1A_T6_T7_T9_mT8_S1C_bDpT10_ENKUlT_T0_E_clISt17integral_constantIbLb1EES1P_EEDaS1K_S1L_EUlS1K_E_NS1_11comp_targetILNS1_3genE0ELNS1_11target_archE4294967295ELNS1_3gpuE0ELNS1_3repE0EEENS1_30default_config_static_selectorELNS0_4arch9wavefront6targetE0EEEvSY_
                                        ; -- End function
	.set _ZN7rocprim17ROCPRIM_400000_NS6detail17trampoline_kernelINS0_13select_configILj256ELj13ELNS0_17block_load_methodE3ELS4_3ELS4_3ELNS0_20block_scan_algorithmE0ELj4294967295EEENS1_25partition_config_selectorILNS1_17partition_subalgoE3EjNS0_10empty_typeEbEEZZNS1_14partition_implILS8_3ELb0ES6_jNS0_17counting_iteratorIjlEEPS9_SE_NS0_5tupleIJPjSE_EEENSF_IJSE_SE_EEES9_SG_JZNS1_25segmented_radix_sort_implINS0_14default_configELb1EPKbPbPKlPlN2at6native12_GLOBAL__N_18offset_tEEE10hipError_tPvRmT1_PNSt15iterator_traitsISY_E10value_typeET2_T3_PNSZ_IS14_E10value_typeET4_jRbjT5_S1A_jjP12ihipStream_tbEUljE_EEESV_SW_SX_S14_S18_S1A_T6_T7_T9_mT8_S1C_bDpT10_ENKUlT_T0_E_clISt17integral_constantIbLb1EES1P_EEDaS1K_S1L_EUlS1K_E_NS1_11comp_targetILNS1_3genE0ELNS1_11target_archE4294967295ELNS1_3gpuE0ELNS1_3repE0EEENS1_30default_config_static_selectorELNS0_4arch9wavefront6targetE0EEEvSY_.num_vgpr, 0
	.set _ZN7rocprim17ROCPRIM_400000_NS6detail17trampoline_kernelINS0_13select_configILj256ELj13ELNS0_17block_load_methodE3ELS4_3ELS4_3ELNS0_20block_scan_algorithmE0ELj4294967295EEENS1_25partition_config_selectorILNS1_17partition_subalgoE3EjNS0_10empty_typeEbEEZZNS1_14partition_implILS8_3ELb0ES6_jNS0_17counting_iteratorIjlEEPS9_SE_NS0_5tupleIJPjSE_EEENSF_IJSE_SE_EEES9_SG_JZNS1_25segmented_radix_sort_implINS0_14default_configELb1EPKbPbPKlPlN2at6native12_GLOBAL__N_18offset_tEEE10hipError_tPvRmT1_PNSt15iterator_traitsISY_E10value_typeET2_T3_PNSZ_IS14_E10value_typeET4_jRbjT5_S1A_jjP12ihipStream_tbEUljE_EEESV_SW_SX_S14_S18_S1A_T6_T7_T9_mT8_S1C_bDpT10_ENKUlT_T0_E_clISt17integral_constantIbLb1EES1P_EEDaS1K_S1L_EUlS1K_E_NS1_11comp_targetILNS1_3genE0ELNS1_11target_archE4294967295ELNS1_3gpuE0ELNS1_3repE0EEENS1_30default_config_static_selectorELNS0_4arch9wavefront6targetE0EEEvSY_.num_agpr, 0
	.set _ZN7rocprim17ROCPRIM_400000_NS6detail17trampoline_kernelINS0_13select_configILj256ELj13ELNS0_17block_load_methodE3ELS4_3ELS4_3ELNS0_20block_scan_algorithmE0ELj4294967295EEENS1_25partition_config_selectorILNS1_17partition_subalgoE3EjNS0_10empty_typeEbEEZZNS1_14partition_implILS8_3ELb0ES6_jNS0_17counting_iteratorIjlEEPS9_SE_NS0_5tupleIJPjSE_EEENSF_IJSE_SE_EEES9_SG_JZNS1_25segmented_radix_sort_implINS0_14default_configELb1EPKbPbPKlPlN2at6native12_GLOBAL__N_18offset_tEEE10hipError_tPvRmT1_PNSt15iterator_traitsISY_E10value_typeET2_T3_PNSZ_IS14_E10value_typeET4_jRbjT5_S1A_jjP12ihipStream_tbEUljE_EEESV_SW_SX_S14_S18_S1A_T6_T7_T9_mT8_S1C_bDpT10_ENKUlT_T0_E_clISt17integral_constantIbLb1EES1P_EEDaS1K_S1L_EUlS1K_E_NS1_11comp_targetILNS1_3genE0ELNS1_11target_archE4294967295ELNS1_3gpuE0ELNS1_3repE0EEENS1_30default_config_static_selectorELNS0_4arch9wavefront6targetE0EEEvSY_.numbered_sgpr, 0
	.set _ZN7rocprim17ROCPRIM_400000_NS6detail17trampoline_kernelINS0_13select_configILj256ELj13ELNS0_17block_load_methodE3ELS4_3ELS4_3ELNS0_20block_scan_algorithmE0ELj4294967295EEENS1_25partition_config_selectorILNS1_17partition_subalgoE3EjNS0_10empty_typeEbEEZZNS1_14partition_implILS8_3ELb0ES6_jNS0_17counting_iteratorIjlEEPS9_SE_NS0_5tupleIJPjSE_EEENSF_IJSE_SE_EEES9_SG_JZNS1_25segmented_radix_sort_implINS0_14default_configELb1EPKbPbPKlPlN2at6native12_GLOBAL__N_18offset_tEEE10hipError_tPvRmT1_PNSt15iterator_traitsISY_E10value_typeET2_T3_PNSZ_IS14_E10value_typeET4_jRbjT5_S1A_jjP12ihipStream_tbEUljE_EEESV_SW_SX_S14_S18_S1A_T6_T7_T9_mT8_S1C_bDpT10_ENKUlT_T0_E_clISt17integral_constantIbLb1EES1P_EEDaS1K_S1L_EUlS1K_E_NS1_11comp_targetILNS1_3genE0ELNS1_11target_archE4294967295ELNS1_3gpuE0ELNS1_3repE0EEENS1_30default_config_static_selectorELNS0_4arch9wavefront6targetE0EEEvSY_.num_named_barrier, 0
	.set _ZN7rocprim17ROCPRIM_400000_NS6detail17trampoline_kernelINS0_13select_configILj256ELj13ELNS0_17block_load_methodE3ELS4_3ELS4_3ELNS0_20block_scan_algorithmE0ELj4294967295EEENS1_25partition_config_selectorILNS1_17partition_subalgoE3EjNS0_10empty_typeEbEEZZNS1_14partition_implILS8_3ELb0ES6_jNS0_17counting_iteratorIjlEEPS9_SE_NS0_5tupleIJPjSE_EEENSF_IJSE_SE_EEES9_SG_JZNS1_25segmented_radix_sort_implINS0_14default_configELb1EPKbPbPKlPlN2at6native12_GLOBAL__N_18offset_tEEE10hipError_tPvRmT1_PNSt15iterator_traitsISY_E10value_typeET2_T3_PNSZ_IS14_E10value_typeET4_jRbjT5_S1A_jjP12ihipStream_tbEUljE_EEESV_SW_SX_S14_S18_S1A_T6_T7_T9_mT8_S1C_bDpT10_ENKUlT_T0_E_clISt17integral_constantIbLb1EES1P_EEDaS1K_S1L_EUlS1K_E_NS1_11comp_targetILNS1_3genE0ELNS1_11target_archE4294967295ELNS1_3gpuE0ELNS1_3repE0EEENS1_30default_config_static_selectorELNS0_4arch9wavefront6targetE0EEEvSY_.private_seg_size, 0
	.set _ZN7rocprim17ROCPRIM_400000_NS6detail17trampoline_kernelINS0_13select_configILj256ELj13ELNS0_17block_load_methodE3ELS4_3ELS4_3ELNS0_20block_scan_algorithmE0ELj4294967295EEENS1_25partition_config_selectorILNS1_17partition_subalgoE3EjNS0_10empty_typeEbEEZZNS1_14partition_implILS8_3ELb0ES6_jNS0_17counting_iteratorIjlEEPS9_SE_NS0_5tupleIJPjSE_EEENSF_IJSE_SE_EEES9_SG_JZNS1_25segmented_radix_sort_implINS0_14default_configELb1EPKbPbPKlPlN2at6native12_GLOBAL__N_18offset_tEEE10hipError_tPvRmT1_PNSt15iterator_traitsISY_E10value_typeET2_T3_PNSZ_IS14_E10value_typeET4_jRbjT5_S1A_jjP12ihipStream_tbEUljE_EEESV_SW_SX_S14_S18_S1A_T6_T7_T9_mT8_S1C_bDpT10_ENKUlT_T0_E_clISt17integral_constantIbLb1EES1P_EEDaS1K_S1L_EUlS1K_E_NS1_11comp_targetILNS1_3genE0ELNS1_11target_archE4294967295ELNS1_3gpuE0ELNS1_3repE0EEENS1_30default_config_static_selectorELNS0_4arch9wavefront6targetE0EEEvSY_.uses_vcc, 0
	.set _ZN7rocprim17ROCPRIM_400000_NS6detail17trampoline_kernelINS0_13select_configILj256ELj13ELNS0_17block_load_methodE3ELS4_3ELS4_3ELNS0_20block_scan_algorithmE0ELj4294967295EEENS1_25partition_config_selectorILNS1_17partition_subalgoE3EjNS0_10empty_typeEbEEZZNS1_14partition_implILS8_3ELb0ES6_jNS0_17counting_iteratorIjlEEPS9_SE_NS0_5tupleIJPjSE_EEENSF_IJSE_SE_EEES9_SG_JZNS1_25segmented_radix_sort_implINS0_14default_configELb1EPKbPbPKlPlN2at6native12_GLOBAL__N_18offset_tEEE10hipError_tPvRmT1_PNSt15iterator_traitsISY_E10value_typeET2_T3_PNSZ_IS14_E10value_typeET4_jRbjT5_S1A_jjP12ihipStream_tbEUljE_EEESV_SW_SX_S14_S18_S1A_T6_T7_T9_mT8_S1C_bDpT10_ENKUlT_T0_E_clISt17integral_constantIbLb1EES1P_EEDaS1K_S1L_EUlS1K_E_NS1_11comp_targetILNS1_3genE0ELNS1_11target_archE4294967295ELNS1_3gpuE0ELNS1_3repE0EEENS1_30default_config_static_selectorELNS0_4arch9wavefront6targetE0EEEvSY_.uses_flat_scratch, 0
	.set _ZN7rocprim17ROCPRIM_400000_NS6detail17trampoline_kernelINS0_13select_configILj256ELj13ELNS0_17block_load_methodE3ELS4_3ELS4_3ELNS0_20block_scan_algorithmE0ELj4294967295EEENS1_25partition_config_selectorILNS1_17partition_subalgoE3EjNS0_10empty_typeEbEEZZNS1_14partition_implILS8_3ELb0ES6_jNS0_17counting_iteratorIjlEEPS9_SE_NS0_5tupleIJPjSE_EEENSF_IJSE_SE_EEES9_SG_JZNS1_25segmented_radix_sort_implINS0_14default_configELb1EPKbPbPKlPlN2at6native12_GLOBAL__N_18offset_tEEE10hipError_tPvRmT1_PNSt15iterator_traitsISY_E10value_typeET2_T3_PNSZ_IS14_E10value_typeET4_jRbjT5_S1A_jjP12ihipStream_tbEUljE_EEESV_SW_SX_S14_S18_S1A_T6_T7_T9_mT8_S1C_bDpT10_ENKUlT_T0_E_clISt17integral_constantIbLb1EES1P_EEDaS1K_S1L_EUlS1K_E_NS1_11comp_targetILNS1_3genE0ELNS1_11target_archE4294967295ELNS1_3gpuE0ELNS1_3repE0EEENS1_30default_config_static_selectorELNS0_4arch9wavefront6targetE0EEEvSY_.has_dyn_sized_stack, 0
	.set _ZN7rocprim17ROCPRIM_400000_NS6detail17trampoline_kernelINS0_13select_configILj256ELj13ELNS0_17block_load_methodE3ELS4_3ELS4_3ELNS0_20block_scan_algorithmE0ELj4294967295EEENS1_25partition_config_selectorILNS1_17partition_subalgoE3EjNS0_10empty_typeEbEEZZNS1_14partition_implILS8_3ELb0ES6_jNS0_17counting_iteratorIjlEEPS9_SE_NS0_5tupleIJPjSE_EEENSF_IJSE_SE_EEES9_SG_JZNS1_25segmented_radix_sort_implINS0_14default_configELb1EPKbPbPKlPlN2at6native12_GLOBAL__N_18offset_tEEE10hipError_tPvRmT1_PNSt15iterator_traitsISY_E10value_typeET2_T3_PNSZ_IS14_E10value_typeET4_jRbjT5_S1A_jjP12ihipStream_tbEUljE_EEESV_SW_SX_S14_S18_S1A_T6_T7_T9_mT8_S1C_bDpT10_ENKUlT_T0_E_clISt17integral_constantIbLb1EES1P_EEDaS1K_S1L_EUlS1K_E_NS1_11comp_targetILNS1_3genE0ELNS1_11target_archE4294967295ELNS1_3gpuE0ELNS1_3repE0EEENS1_30default_config_static_selectorELNS0_4arch9wavefront6targetE0EEEvSY_.has_recursion, 0
	.set _ZN7rocprim17ROCPRIM_400000_NS6detail17trampoline_kernelINS0_13select_configILj256ELj13ELNS0_17block_load_methodE3ELS4_3ELS4_3ELNS0_20block_scan_algorithmE0ELj4294967295EEENS1_25partition_config_selectorILNS1_17partition_subalgoE3EjNS0_10empty_typeEbEEZZNS1_14partition_implILS8_3ELb0ES6_jNS0_17counting_iteratorIjlEEPS9_SE_NS0_5tupleIJPjSE_EEENSF_IJSE_SE_EEES9_SG_JZNS1_25segmented_radix_sort_implINS0_14default_configELb1EPKbPbPKlPlN2at6native12_GLOBAL__N_18offset_tEEE10hipError_tPvRmT1_PNSt15iterator_traitsISY_E10value_typeET2_T3_PNSZ_IS14_E10value_typeET4_jRbjT5_S1A_jjP12ihipStream_tbEUljE_EEESV_SW_SX_S14_S18_S1A_T6_T7_T9_mT8_S1C_bDpT10_ENKUlT_T0_E_clISt17integral_constantIbLb1EES1P_EEDaS1K_S1L_EUlS1K_E_NS1_11comp_targetILNS1_3genE0ELNS1_11target_archE4294967295ELNS1_3gpuE0ELNS1_3repE0EEENS1_30default_config_static_selectorELNS0_4arch9wavefront6targetE0EEEvSY_.has_indirect_call, 0
	.section	.AMDGPU.csdata,"",@progbits
; Kernel info:
; codeLenInByte = 0
; TotalNumSgprs: 0
; NumVgprs: 0
; ScratchSize: 0
; MemoryBound: 0
; FloatMode: 240
; IeeeMode: 1
; LDSByteSize: 0 bytes/workgroup (compile time only)
; SGPRBlocks: 0
; VGPRBlocks: 0
; NumSGPRsForWavesPerEU: 1
; NumVGPRsForWavesPerEU: 1
; Occupancy: 16
; WaveLimiterHint : 0
; COMPUTE_PGM_RSRC2:SCRATCH_EN: 0
; COMPUTE_PGM_RSRC2:USER_SGPR: 6
; COMPUTE_PGM_RSRC2:TRAP_HANDLER: 0
; COMPUTE_PGM_RSRC2:TGID_X_EN: 1
; COMPUTE_PGM_RSRC2:TGID_Y_EN: 0
; COMPUTE_PGM_RSRC2:TGID_Z_EN: 0
; COMPUTE_PGM_RSRC2:TIDIG_COMP_CNT: 0
	.section	.text._ZN7rocprim17ROCPRIM_400000_NS6detail17trampoline_kernelINS0_13select_configILj256ELj13ELNS0_17block_load_methodE3ELS4_3ELS4_3ELNS0_20block_scan_algorithmE0ELj4294967295EEENS1_25partition_config_selectorILNS1_17partition_subalgoE3EjNS0_10empty_typeEbEEZZNS1_14partition_implILS8_3ELb0ES6_jNS0_17counting_iteratorIjlEEPS9_SE_NS0_5tupleIJPjSE_EEENSF_IJSE_SE_EEES9_SG_JZNS1_25segmented_radix_sort_implINS0_14default_configELb1EPKbPbPKlPlN2at6native12_GLOBAL__N_18offset_tEEE10hipError_tPvRmT1_PNSt15iterator_traitsISY_E10value_typeET2_T3_PNSZ_IS14_E10value_typeET4_jRbjT5_S1A_jjP12ihipStream_tbEUljE_EEESV_SW_SX_S14_S18_S1A_T6_T7_T9_mT8_S1C_bDpT10_ENKUlT_T0_E_clISt17integral_constantIbLb1EES1P_EEDaS1K_S1L_EUlS1K_E_NS1_11comp_targetILNS1_3genE5ELNS1_11target_archE942ELNS1_3gpuE9ELNS1_3repE0EEENS1_30default_config_static_selectorELNS0_4arch9wavefront6targetE0EEEvSY_,"axG",@progbits,_ZN7rocprim17ROCPRIM_400000_NS6detail17trampoline_kernelINS0_13select_configILj256ELj13ELNS0_17block_load_methodE3ELS4_3ELS4_3ELNS0_20block_scan_algorithmE0ELj4294967295EEENS1_25partition_config_selectorILNS1_17partition_subalgoE3EjNS0_10empty_typeEbEEZZNS1_14partition_implILS8_3ELb0ES6_jNS0_17counting_iteratorIjlEEPS9_SE_NS0_5tupleIJPjSE_EEENSF_IJSE_SE_EEES9_SG_JZNS1_25segmented_radix_sort_implINS0_14default_configELb1EPKbPbPKlPlN2at6native12_GLOBAL__N_18offset_tEEE10hipError_tPvRmT1_PNSt15iterator_traitsISY_E10value_typeET2_T3_PNSZ_IS14_E10value_typeET4_jRbjT5_S1A_jjP12ihipStream_tbEUljE_EEESV_SW_SX_S14_S18_S1A_T6_T7_T9_mT8_S1C_bDpT10_ENKUlT_T0_E_clISt17integral_constantIbLb1EES1P_EEDaS1K_S1L_EUlS1K_E_NS1_11comp_targetILNS1_3genE5ELNS1_11target_archE942ELNS1_3gpuE9ELNS1_3repE0EEENS1_30default_config_static_selectorELNS0_4arch9wavefront6targetE0EEEvSY_,comdat
	.globl	_ZN7rocprim17ROCPRIM_400000_NS6detail17trampoline_kernelINS0_13select_configILj256ELj13ELNS0_17block_load_methodE3ELS4_3ELS4_3ELNS0_20block_scan_algorithmE0ELj4294967295EEENS1_25partition_config_selectorILNS1_17partition_subalgoE3EjNS0_10empty_typeEbEEZZNS1_14partition_implILS8_3ELb0ES6_jNS0_17counting_iteratorIjlEEPS9_SE_NS0_5tupleIJPjSE_EEENSF_IJSE_SE_EEES9_SG_JZNS1_25segmented_radix_sort_implINS0_14default_configELb1EPKbPbPKlPlN2at6native12_GLOBAL__N_18offset_tEEE10hipError_tPvRmT1_PNSt15iterator_traitsISY_E10value_typeET2_T3_PNSZ_IS14_E10value_typeET4_jRbjT5_S1A_jjP12ihipStream_tbEUljE_EEESV_SW_SX_S14_S18_S1A_T6_T7_T9_mT8_S1C_bDpT10_ENKUlT_T0_E_clISt17integral_constantIbLb1EES1P_EEDaS1K_S1L_EUlS1K_E_NS1_11comp_targetILNS1_3genE5ELNS1_11target_archE942ELNS1_3gpuE9ELNS1_3repE0EEENS1_30default_config_static_selectorELNS0_4arch9wavefront6targetE0EEEvSY_ ; -- Begin function _ZN7rocprim17ROCPRIM_400000_NS6detail17trampoline_kernelINS0_13select_configILj256ELj13ELNS0_17block_load_methodE3ELS4_3ELS4_3ELNS0_20block_scan_algorithmE0ELj4294967295EEENS1_25partition_config_selectorILNS1_17partition_subalgoE3EjNS0_10empty_typeEbEEZZNS1_14partition_implILS8_3ELb0ES6_jNS0_17counting_iteratorIjlEEPS9_SE_NS0_5tupleIJPjSE_EEENSF_IJSE_SE_EEES9_SG_JZNS1_25segmented_radix_sort_implINS0_14default_configELb1EPKbPbPKlPlN2at6native12_GLOBAL__N_18offset_tEEE10hipError_tPvRmT1_PNSt15iterator_traitsISY_E10value_typeET2_T3_PNSZ_IS14_E10value_typeET4_jRbjT5_S1A_jjP12ihipStream_tbEUljE_EEESV_SW_SX_S14_S18_S1A_T6_T7_T9_mT8_S1C_bDpT10_ENKUlT_T0_E_clISt17integral_constantIbLb1EES1P_EEDaS1K_S1L_EUlS1K_E_NS1_11comp_targetILNS1_3genE5ELNS1_11target_archE942ELNS1_3gpuE9ELNS1_3repE0EEENS1_30default_config_static_selectorELNS0_4arch9wavefront6targetE0EEEvSY_
	.p2align	8
	.type	_ZN7rocprim17ROCPRIM_400000_NS6detail17trampoline_kernelINS0_13select_configILj256ELj13ELNS0_17block_load_methodE3ELS4_3ELS4_3ELNS0_20block_scan_algorithmE0ELj4294967295EEENS1_25partition_config_selectorILNS1_17partition_subalgoE3EjNS0_10empty_typeEbEEZZNS1_14partition_implILS8_3ELb0ES6_jNS0_17counting_iteratorIjlEEPS9_SE_NS0_5tupleIJPjSE_EEENSF_IJSE_SE_EEES9_SG_JZNS1_25segmented_radix_sort_implINS0_14default_configELb1EPKbPbPKlPlN2at6native12_GLOBAL__N_18offset_tEEE10hipError_tPvRmT1_PNSt15iterator_traitsISY_E10value_typeET2_T3_PNSZ_IS14_E10value_typeET4_jRbjT5_S1A_jjP12ihipStream_tbEUljE_EEESV_SW_SX_S14_S18_S1A_T6_T7_T9_mT8_S1C_bDpT10_ENKUlT_T0_E_clISt17integral_constantIbLb1EES1P_EEDaS1K_S1L_EUlS1K_E_NS1_11comp_targetILNS1_3genE5ELNS1_11target_archE942ELNS1_3gpuE9ELNS1_3repE0EEENS1_30default_config_static_selectorELNS0_4arch9wavefront6targetE0EEEvSY_,@function
_ZN7rocprim17ROCPRIM_400000_NS6detail17trampoline_kernelINS0_13select_configILj256ELj13ELNS0_17block_load_methodE3ELS4_3ELS4_3ELNS0_20block_scan_algorithmE0ELj4294967295EEENS1_25partition_config_selectorILNS1_17partition_subalgoE3EjNS0_10empty_typeEbEEZZNS1_14partition_implILS8_3ELb0ES6_jNS0_17counting_iteratorIjlEEPS9_SE_NS0_5tupleIJPjSE_EEENSF_IJSE_SE_EEES9_SG_JZNS1_25segmented_radix_sort_implINS0_14default_configELb1EPKbPbPKlPlN2at6native12_GLOBAL__N_18offset_tEEE10hipError_tPvRmT1_PNSt15iterator_traitsISY_E10value_typeET2_T3_PNSZ_IS14_E10value_typeET4_jRbjT5_S1A_jjP12ihipStream_tbEUljE_EEESV_SW_SX_S14_S18_S1A_T6_T7_T9_mT8_S1C_bDpT10_ENKUlT_T0_E_clISt17integral_constantIbLb1EES1P_EEDaS1K_S1L_EUlS1K_E_NS1_11comp_targetILNS1_3genE5ELNS1_11target_archE942ELNS1_3gpuE9ELNS1_3repE0EEENS1_30default_config_static_selectorELNS0_4arch9wavefront6targetE0EEEvSY_: ; @_ZN7rocprim17ROCPRIM_400000_NS6detail17trampoline_kernelINS0_13select_configILj256ELj13ELNS0_17block_load_methodE3ELS4_3ELS4_3ELNS0_20block_scan_algorithmE0ELj4294967295EEENS1_25partition_config_selectorILNS1_17partition_subalgoE3EjNS0_10empty_typeEbEEZZNS1_14partition_implILS8_3ELb0ES6_jNS0_17counting_iteratorIjlEEPS9_SE_NS0_5tupleIJPjSE_EEENSF_IJSE_SE_EEES9_SG_JZNS1_25segmented_radix_sort_implINS0_14default_configELb1EPKbPbPKlPlN2at6native12_GLOBAL__N_18offset_tEEE10hipError_tPvRmT1_PNSt15iterator_traitsISY_E10value_typeET2_T3_PNSZ_IS14_E10value_typeET4_jRbjT5_S1A_jjP12ihipStream_tbEUljE_EEESV_SW_SX_S14_S18_S1A_T6_T7_T9_mT8_S1C_bDpT10_ENKUlT_T0_E_clISt17integral_constantIbLb1EES1P_EEDaS1K_S1L_EUlS1K_E_NS1_11comp_targetILNS1_3genE5ELNS1_11target_archE942ELNS1_3gpuE9ELNS1_3repE0EEENS1_30default_config_static_selectorELNS0_4arch9wavefront6targetE0EEEvSY_
; %bb.0:
	.section	.rodata,"a",@progbits
	.p2align	6, 0x0
	.amdhsa_kernel _ZN7rocprim17ROCPRIM_400000_NS6detail17trampoline_kernelINS0_13select_configILj256ELj13ELNS0_17block_load_methodE3ELS4_3ELS4_3ELNS0_20block_scan_algorithmE0ELj4294967295EEENS1_25partition_config_selectorILNS1_17partition_subalgoE3EjNS0_10empty_typeEbEEZZNS1_14partition_implILS8_3ELb0ES6_jNS0_17counting_iteratorIjlEEPS9_SE_NS0_5tupleIJPjSE_EEENSF_IJSE_SE_EEES9_SG_JZNS1_25segmented_radix_sort_implINS0_14default_configELb1EPKbPbPKlPlN2at6native12_GLOBAL__N_18offset_tEEE10hipError_tPvRmT1_PNSt15iterator_traitsISY_E10value_typeET2_T3_PNSZ_IS14_E10value_typeET4_jRbjT5_S1A_jjP12ihipStream_tbEUljE_EEESV_SW_SX_S14_S18_S1A_T6_T7_T9_mT8_S1C_bDpT10_ENKUlT_T0_E_clISt17integral_constantIbLb1EES1P_EEDaS1K_S1L_EUlS1K_E_NS1_11comp_targetILNS1_3genE5ELNS1_11target_archE942ELNS1_3gpuE9ELNS1_3repE0EEENS1_30default_config_static_selectorELNS0_4arch9wavefront6targetE0EEEvSY_
		.amdhsa_group_segment_fixed_size 0
		.amdhsa_private_segment_fixed_size 0
		.amdhsa_kernarg_size 152
		.amdhsa_user_sgpr_count 6
		.amdhsa_user_sgpr_private_segment_buffer 1
		.amdhsa_user_sgpr_dispatch_ptr 0
		.amdhsa_user_sgpr_queue_ptr 0
		.amdhsa_user_sgpr_kernarg_segment_ptr 1
		.amdhsa_user_sgpr_dispatch_id 0
		.amdhsa_user_sgpr_flat_scratch_init 0
		.amdhsa_user_sgpr_private_segment_size 0
		.amdhsa_wavefront_size32 1
		.amdhsa_uses_dynamic_stack 0
		.amdhsa_system_sgpr_private_segment_wavefront_offset 0
		.amdhsa_system_sgpr_workgroup_id_x 1
		.amdhsa_system_sgpr_workgroup_id_y 0
		.amdhsa_system_sgpr_workgroup_id_z 0
		.amdhsa_system_sgpr_workgroup_info 0
		.amdhsa_system_vgpr_workitem_id 0
		.amdhsa_next_free_vgpr 1
		.amdhsa_next_free_sgpr 1
		.amdhsa_reserve_vcc 0
		.amdhsa_reserve_flat_scratch 0
		.amdhsa_float_round_mode_32 0
		.amdhsa_float_round_mode_16_64 0
		.amdhsa_float_denorm_mode_32 3
		.amdhsa_float_denorm_mode_16_64 3
		.amdhsa_dx10_clamp 1
		.amdhsa_ieee_mode 1
		.amdhsa_fp16_overflow 0
		.amdhsa_workgroup_processor_mode 1
		.amdhsa_memory_ordered 1
		.amdhsa_forward_progress 1
		.amdhsa_shared_vgpr_count 0
		.amdhsa_exception_fp_ieee_invalid_op 0
		.amdhsa_exception_fp_denorm_src 0
		.amdhsa_exception_fp_ieee_div_zero 0
		.amdhsa_exception_fp_ieee_overflow 0
		.amdhsa_exception_fp_ieee_underflow 0
		.amdhsa_exception_fp_ieee_inexact 0
		.amdhsa_exception_int_div_zero 0
	.end_amdhsa_kernel
	.section	.text._ZN7rocprim17ROCPRIM_400000_NS6detail17trampoline_kernelINS0_13select_configILj256ELj13ELNS0_17block_load_methodE3ELS4_3ELS4_3ELNS0_20block_scan_algorithmE0ELj4294967295EEENS1_25partition_config_selectorILNS1_17partition_subalgoE3EjNS0_10empty_typeEbEEZZNS1_14partition_implILS8_3ELb0ES6_jNS0_17counting_iteratorIjlEEPS9_SE_NS0_5tupleIJPjSE_EEENSF_IJSE_SE_EEES9_SG_JZNS1_25segmented_radix_sort_implINS0_14default_configELb1EPKbPbPKlPlN2at6native12_GLOBAL__N_18offset_tEEE10hipError_tPvRmT1_PNSt15iterator_traitsISY_E10value_typeET2_T3_PNSZ_IS14_E10value_typeET4_jRbjT5_S1A_jjP12ihipStream_tbEUljE_EEESV_SW_SX_S14_S18_S1A_T6_T7_T9_mT8_S1C_bDpT10_ENKUlT_T0_E_clISt17integral_constantIbLb1EES1P_EEDaS1K_S1L_EUlS1K_E_NS1_11comp_targetILNS1_3genE5ELNS1_11target_archE942ELNS1_3gpuE9ELNS1_3repE0EEENS1_30default_config_static_selectorELNS0_4arch9wavefront6targetE0EEEvSY_,"axG",@progbits,_ZN7rocprim17ROCPRIM_400000_NS6detail17trampoline_kernelINS0_13select_configILj256ELj13ELNS0_17block_load_methodE3ELS4_3ELS4_3ELNS0_20block_scan_algorithmE0ELj4294967295EEENS1_25partition_config_selectorILNS1_17partition_subalgoE3EjNS0_10empty_typeEbEEZZNS1_14partition_implILS8_3ELb0ES6_jNS0_17counting_iteratorIjlEEPS9_SE_NS0_5tupleIJPjSE_EEENSF_IJSE_SE_EEES9_SG_JZNS1_25segmented_radix_sort_implINS0_14default_configELb1EPKbPbPKlPlN2at6native12_GLOBAL__N_18offset_tEEE10hipError_tPvRmT1_PNSt15iterator_traitsISY_E10value_typeET2_T3_PNSZ_IS14_E10value_typeET4_jRbjT5_S1A_jjP12ihipStream_tbEUljE_EEESV_SW_SX_S14_S18_S1A_T6_T7_T9_mT8_S1C_bDpT10_ENKUlT_T0_E_clISt17integral_constantIbLb1EES1P_EEDaS1K_S1L_EUlS1K_E_NS1_11comp_targetILNS1_3genE5ELNS1_11target_archE942ELNS1_3gpuE9ELNS1_3repE0EEENS1_30default_config_static_selectorELNS0_4arch9wavefront6targetE0EEEvSY_,comdat
.Lfunc_end1501:
	.size	_ZN7rocprim17ROCPRIM_400000_NS6detail17trampoline_kernelINS0_13select_configILj256ELj13ELNS0_17block_load_methodE3ELS4_3ELS4_3ELNS0_20block_scan_algorithmE0ELj4294967295EEENS1_25partition_config_selectorILNS1_17partition_subalgoE3EjNS0_10empty_typeEbEEZZNS1_14partition_implILS8_3ELb0ES6_jNS0_17counting_iteratorIjlEEPS9_SE_NS0_5tupleIJPjSE_EEENSF_IJSE_SE_EEES9_SG_JZNS1_25segmented_radix_sort_implINS0_14default_configELb1EPKbPbPKlPlN2at6native12_GLOBAL__N_18offset_tEEE10hipError_tPvRmT1_PNSt15iterator_traitsISY_E10value_typeET2_T3_PNSZ_IS14_E10value_typeET4_jRbjT5_S1A_jjP12ihipStream_tbEUljE_EEESV_SW_SX_S14_S18_S1A_T6_T7_T9_mT8_S1C_bDpT10_ENKUlT_T0_E_clISt17integral_constantIbLb1EES1P_EEDaS1K_S1L_EUlS1K_E_NS1_11comp_targetILNS1_3genE5ELNS1_11target_archE942ELNS1_3gpuE9ELNS1_3repE0EEENS1_30default_config_static_selectorELNS0_4arch9wavefront6targetE0EEEvSY_, .Lfunc_end1501-_ZN7rocprim17ROCPRIM_400000_NS6detail17trampoline_kernelINS0_13select_configILj256ELj13ELNS0_17block_load_methodE3ELS4_3ELS4_3ELNS0_20block_scan_algorithmE0ELj4294967295EEENS1_25partition_config_selectorILNS1_17partition_subalgoE3EjNS0_10empty_typeEbEEZZNS1_14partition_implILS8_3ELb0ES6_jNS0_17counting_iteratorIjlEEPS9_SE_NS0_5tupleIJPjSE_EEENSF_IJSE_SE_EEES9_SG_JZNS1_25segmented_radix_sort_implINS0_14default_configELb1EPKbPbPKlPlN2at6native12_GLOBAL__N_18offset_tEEE10hipError_tPvRmT1_PNSt15iterator_traitsISY_E10value_typeET2_T3_PNSZ_IS14_E10value_typeET4_jRbjT5_S1A_jjP12ihipStream_tbEUljE_EEESV_SW_SX_S14_S18_S1A_T6_T7_T9_mT8_S1C_bDpT10_ENKUlT_T0_E_clISt17integral_constantIbLb1EES1P_EEDaS1K_S1L_EUlS1K_E_NS1_11comp_targetILNS1_3genE5ELNS1_11target_archE942ELNS1_3gpuE9ELNS1_3repE0EEENS1_30default_config_static_selectorELNS0_4arch9wavefront6targetE0EEEvSY_
                                        ; -- End function
	.set _ZN7rocprim17ROCPRIM_400000_NS6detail17trampoline_kernelINS0_13select_configILj256ELj13ELNS0_17block_load_methodE3ELS4_3ELS4_3ELNS0_20block_scan_algorithmE0ELj4294967295EEENS1_25partition_config_selectorILNS1_17partition_subalgoE3EjNS0_10empty_typeEbEEZZNS1_14partition_implILS8_3ELb0ES6_jNS0_17counting_iteratorIjlEEPS9_SE_NS0_5tupleIJPjSE_EEENSF_IJSE_SE_EEES9_SG_JZNS1_25segmented_radix_sort_implINS0_14default_configELb1EPKbPbPKlPlN2at6native12_GLOBAL__N_18offset_tEEE10hipError_tPvRmT1_PNSt15iterator_traitsISY_E10value_typeET2_T3_PNSZ_IS14_E10value_typeET4_jRbjT5_S1A_jjP12ihipStream_tbEUljE_EEESV_SW_SX_S14_S18_S1A_T6_T7_T9_mT8_S1C_bDpT10_ENKUlT_T0_E_clISt17integral_constantIbLb1EES1P_EEDaS1K_S1L_EUlS1K_E_NS1_11comp_targetILNS1_3genE5ELNS1_11target_archE942ELNS1_3gpuE9ELNS1_3repE0EEENS1_30default_config_static_selectorELNS0_4arch9wavefront6targetE0EEEvSY_.num_vgpr, 0
	.set _ZN7rocprim17ROCPRIM_400000_NS6detail17trampoline_kernelINS0_13select_configILj256ELj13ELNS0_17block_load_methodE3ELS4_3ELS4_3ELNS0_20block_scan_algorithmE0ELj4294967295EEENS1_25partition_config_selectorILNS1_17partition_subalgoE3EjNS0_10empty_typeEbEEZZNS1_14partition_implILS8_3ELb0ES6_jNS0_17counting_iteratorIjlEEPS9_SE_NS0_5tupleIJPjSE_EEENSF_IJSE_SE_EEES9_SG_JZNS1_25segmented_radix_sort_implINS0_14default_configELb1EPKbPbPKlPlN2at6native12_GLOBAL__N_18offset_tEEE10hipError_tPvRmT1_PNSt15iterator_traitsISY_E10value_typeET2_T3_PNSZ_IS14_E10value_typeET4_jRbjT5_S1A_jjP12ihipStream_tbEUljE_EEESV_SW_SX_S14_S18_S1A_T6_T7_T9_mT8_S1C_bDpT10_ENKUlT_T0_E_clISt17integral_constantIbLb1EES1P_EEDaS1K_S1L_EUlS1K_E_NS1_11comp_targetILNS1_3genE5ELNS1_11target_archE942ELNS1_3gpuE9ELNS1_3repE0EEENS1_30default_config_static_selectorELNS0_4arch9wavefront6targetE0EEEvSY_.num_agpr, 0
	.set _ZN7rocprim17ROCPRIM_400000_NS6detail17trampoline_kernelINS0_13select_configILj256ELj13ELNS0_17block_load_methodE3ELS4_3ELS4_3ELNS0_20block_scan_algorithmE0ELj4294967295EEENS1_25partition_config_selectorILNS1_17partition_subalgoE3EjNS0_10empty_typeEbEEZZNS1_14partition_implILS8_3ELb0ES6_jNS0_17counting_iteratorIjlEEPS9_SE_NS0_5tupleIJPjSE_EEENSF_IJSE_SE_EEES9_SG_JZNS1_25segmented_radix_sort_implINS0_14default_configELb1EPKbPbPKlPlN2at6native12_GLOBAL__N_18offset_tEEE10hipError_tPvRmT1_PNSt15iterator_traitsISY_E10value_typeET2_T3_PNSZ_IS14_E10value_typeET4_jRbjT5_S1A_jjP12ihipStream_tbEUljE_EEESV_SW_SX_S14_S18_S1A_T6_T7_T9_mT8_S1C_bDpT10_ENKUlT_T0_E_clISt17integral_constantIbLb1EES1P_EEDaS1K_S1L_EUlS1K_E_NS1_11comp_targetILNS1_3genE5ELNS1_11target_archE942ELNS1_3gpuE9ELNS1_3repE0EEENS1_30default_config_static_selectorELNS0_4arch9wavefront6targetE0EEEvSY_.numbered_sgpr, 0
	.set _ZN7rocprim17ROCPRIM_400000_NS6detail17trampoline_kernelINS0_13select_configILj256ELj13ELNS0_17block_load_methodE3ELS4_3ELS4_3ELNS0_20block_scan_algorithmE0ELj4294967295EEENS1_25partition_config_selectorILNS1_17partition_subalgoE3EjNS0_10empty_typeEbEEZZNS1_14partition_implILS8_3ELb0ES6_jNS0_17counting_iteratorIjlEEPS9_SE_NS0_5tupleIJPjSE_EEENSF_IJSE_SE_EEES9_SG_JZNS1_25segmented_radix_sort_implINS0_14default_configELb1EPKbPbPKlPlN2at6native12_GLOBAL__N_18offset_tEEE10hipError_tPvRmT1_PNSt15iterator_traitsISY_E10value_typeET2_T3_PNSZ_IS14_E10value_typeET4_jRbjT5_S1A_jjP12ihipStream_tbEUljE_EEESV_SW_SX_S14_S18_S1A_T6_T7_T9_mT8_S1C_bDpT10_ENKUlT_T0_E_clISt17integral_constantIbLb1EES1P_EEDaS1K_S1L_EUlS1K_E_NS1_11comp_targetILNS1_3genE5ELNS1_11target_archE942ELNS1_3gpuE9ELNS1_3repE0EEENS1_30default_config_static_selectorELNS0_4arch9wavefront6targetE0EEEvSY_.num_named_barrier, 0
	.set _ZN7rocprim17ROCPRIM_400000_NS6detail17trampoline_kernelINS0_13select_configILj256ELj13ELNS0_17block_load_methodE3ELS4_3ELS4_3ELNS0_20block_scan_algorithmE0ELj4294967295EEENS1_25partition_config_selectorILNS1_17partition_subalgoE3EjNS0_10empty_typeEbEEZZNS1_14partition_implILS8_3ELb0ES6_jNS0_17counting_iteratorIjlEEPS9_SE_NS0_5tupleIJPjSE_EEENSF_IJSE_SE_EEES9_SG_JZNS1_25segmented_radix_sort_implINS0_14default_configELb1EPKbPbPKlPlN2at6native12_GLOBAL__N_18offset_tEEE10hipError_tPvRmT1_PNSt15iterator_traitsISY_E10value_typeET2_T3_PNSZ_IS14_E10value_typeET4_jRbjT5_S1A_jjP12ihipStream_tbEUljE_EEESV_SW_SX_S14_S18_S1A_T6_T7_T9_mT8_S1C_bDpT10_ENKUlT_T0_E_clISt17integral_constantIbLb1EES1P_EEDaS1K_S1L_EUlS1K_E_NS1_11comp_targetILNS1_3genE5ELNS1_11target_archE942ELNS1_3gpuE9ELNS1_3repE0EEENS1_30default_config_static_selectorELNS0_4arch9wavefront6targetE0EEEvSY_.private_seg_size, 0
	.set _ZN7rocprim17ROCPRIM_400000_NS6detail17trampoline_kernelINS0_13select_configILj256ELj13ELNS0_17block_load_methodE3ELS4_3ELS4_3ELNS0_20block_scan_algorithmE0ELj4294967295EEENS1_25partition_config_selectorILNS1_17partition_subalgoE3EjNS0_10empty_typeEbEEZZNS1_14partition_implILS8_3ELb0ES6_jNS0_17counting_iteratorIjlEEPS9_SE_NS0_5tupleIJPjSE_EEENSF_IJSE_SE_EEES9_SG_JZNS1_25segmented_radix_sort_implINS0_14default_configELb1EPKbPbPKlPlN2at6native12_GLOBAL__N_18offset_tEEE10hipError_tPvRmT1_PNSt15iterator_traitsISY_E10value_typeET2_T3_PNSZ_IS14_E10value_typeET4_jRbjT5_S1A_jjP12ihipStream_tbEUljE_EEESV_SW_SX_S14_S18_S1A_T6_T7_T9_mT8_S1C_bDpT10_ENKUlT_T0_E_clISt17integral_constantIbLb1EES1P_EEDaS1K_S1L_EUlS1K_E_NS1_11comp_targetILNS1_3genE5ELNS1_11target_archE942ELNS1_3gpuE9ELNS1_3repE0EEENS1_30default_config_static_selectorELNS0_4arch9wavefront6targetE0EEEvSY_.uses_vcc, 0
	.set _ZN7rocprim17ROCPRIM_400000_NS6detail17trampoline_kernelINS0_13select_configILj256ELj13ELNS0_17block_load_methodE3ELS4_3ELS4_3ELNS0_20block_scan_algorithmE0ELj4294967295EEENS1_25partition_config_selectorILNS1_17partition_subalgoE3EjNS0_10empty_typeEbEEZZNS1_14partition_implILS8_3ELb0ES6_jNS0_17counting_iteratorIjlEEPS9_SE_NS0_5tupleIJPjSE_EEENSF_IJSE_SE_EEES9_SG_JZNS1_25segmented_radix_sort_implINS0_14default_configELb1EPKbPbPKlPlN2at6native12_GLOBAL__N_18offset_tEEE10hipError_tPvRmT1_PNSt15iterator_traitsISY_E10value_typeET2_T3_PNSZ_IS14_E10value_typeET4_jRbjT5_S1A_jjP12ihipStream_tbEUljE_EEESV_SW_SX_S14_S18_S1A_T6_T7_T9_mT8_S1C_bDpT10_ENKUlT_T0_E_clISt17integral_constantIbLb1EES1P_EEDaS1K_S1L_EUlS1K_E_NS1_11comp_targetILNS1_3genE5ELNS1_11target_archE942ELNS1_3gpuE9ELNS1_3repE0EEENS1_30default_config_static_selectorELNS0_4arch9wavefront6targetE0EEEvSY_.uses_flat_scratch, 0
	.set _ZN7rocprim17ROCPRIM_400000_NS6detail17trampoline_kernelINS0_13select_configILj256ELj13ELNS0_17block_load_methodE3ELS4_3ELS4_3ELNS0_20block_scan_algorithmE0ELj4294967295EEENS1_25partition_config_selectorILNS1_17partition_subalgoE3EjNS0_10empty_typeEbEEZZNS1_14partition_implILS8_3ELb0ES6_jNS0_17counting_iteratorIjlEEPS9_SE_NS0_5tupleIJPjSE_EEENSF_IJSE_SE_EEES9_SG_JZNS1_25segmented_radix_sort_implINS0_14default_configELb1EPKbPbPKlPlN2at6native12_GLOBAL__N_18offset_tEEE10hipError_tPvRmT1_PNSt15iterator_traitsISY_E10value_typeET2_T3_PNSZ_IS14_E10value_typeET4_jRbjT5_S1A_jjP12ihipStream_tbEUljE_EEESV_SW_SX_S14_S18_S1A_T6_T7_T9_mT8_S1C_bDpT10_ENKUlT_T0_E_clISt17integral_constantIbLb1EES1P_EEDaS1K_S1L_EUlS1K_E_NS1_11comp_targetILNS1_3genE5ELNS1_11target_archE942ELNS1_3gpuE9ELNS1_3repE0EEENS1_30default_config_static_selectorELNS0_4arch9wavefront6targetE0EEEvSY_.has_dyn_sized_stack, 0
	.set _ZN7rocprim17ROCPRIM_400000_NS6detail17trampoline_kernelINS0_13select_configILj256ELj13ELNS0_17block_load_methodE3ELS4_3ELS4_3ELNS0_20block_scan_algorithmE0ELj4294967295EEENS1_25partition_config_selectorILNS1_17partition_subalgoE3EjNS0_10empty_typeEbEEZZNS1_14partition_implILS8_3ELb0ES6_jNS0_17counting_iteratorIjlEEPS9_SE_NS0_5tupleIJPjSE_EEENSF_IJSE_SE_EEES9_SG_JZNS1_25segmented_radix_sort_implINS0_14default_configELb1EPKbPbPKlPlN2at6native12_GLOBAL__N_18offset_tEEE10hipError_tPvRmT1_PNSt15iterator_traitsISY_E10value_typeET2_T3_PNSZ_IS14_E10value_typeET4_jRbjT5_S1A_jjP12ihipStream_tbEUljE_EEESV_SW_SX_S14_S18_S1A_T6_T7_T9_mT8_S1C_bDpT10_ENKUlT_T0_E_clISt17integral_constantIbLb1EES1P_EEDaS1K_S1L_EUlS1K_E_NS1_11comp_targetILNS1_3genE5ELNS1_11target_archE942ELNS1_3gpuE9ELNS1_3repE0EEENS1_30default_config_static_selectorELNS0_4arch9wavefront6targetE0EEEvSY_.has_recursion, 0
	.set _ZN7rocprim17ROCPRIM_400000_NS6detail17trampoline_kernelINS0_13select_configILj256ELj13ELNS0_17block_load_methodE3ELS4_3ELS4_3ELNS0_20block_scan_algorithmE0ELj4294967295EEENS1_25partition_config_selectorILNS1_17partition_subalgoE3EjNS0_10empty_typeEbEEZZNS1_14partition_implILS8_3ELb0ES6_jNS0_17counting_iteratorIjlEEPS9_SE_NS0_5tupleIJPjSE_EEENSF_IJSE_SE_EEES9_SG_JZNS1_25segmented_radix_sort_implINS0_14default_configELb1EPKbPbPKlPlN2at6native12_GLOBAL__N_18offset_tEEE10hipError_tPvRmT1_PNSt15iterator_traitsISY_E10value_typeET2_T3_PNSZ_IS14_E10value_typeET4_jRbjT5_S1A_jjP12ihipStream_tbEUljE_EEESV_SW_SX_S14_S18_S1A_T6_T7_T9_mT8_S1C_bDpT10_ENKUlT_T0_E_clISt17integral_constantIbLb1EES1P_EEDaS1K_S1L_EUlS1K_E_NS1_11comp_targetILNS1_3genE5ELNS1_11target_archE942ELNS1_3gpuE9ELNS1_3repE0EEENS1_30default_config_static_selectorELNS0_4arch9wavefront6targetE0EEEvSY_.has_indirect_call, 0
	.section	.AMDGPU.csdata,"",@progbits
; Kernel info:
; codeLenInByte = 0
; TotalNumSgprs: 0
; NumVgprs: 0
; ScratchSize: 0
; MemoryBound: 0
; FloatMode: 240
; IeeeMode: 1
; LDSByteSize: 0 bytes/workgroup (compile time only)
; SGPRBlocks: 0
; VGPRBlocks: 0
; NumSGPRsForWavesPerEU: 1
; NumVGPRsForWavesPerEU: 1
; Occupancy: 16
; WaveLimiterHint : 0
; COMPUTE_PGM_RSRC2:SCRATCH_EN: 0
; COMPUTE_PGM_RSRC2:USER_SGPR: 6
; COMPUTE_PGM_RSRC2:TRAP_HANDLER: 0
; COMPUTE_PGM_RSRC2:TGID_X_EN: 1
; COMPUTE_PGM_RSRC2:TGID_Y_EN: 0
; COMPUTE_PGM_RSRC2:TGID_Z_EN: 0
; COMPUTE_PGM_RSRC2:TIDIG_COMP_CNT: 0
	.section	.text._ZN7rocprim17ROCPRIM_400000_NS6detail17trampoline_kernelINS0_13select_configILj256ELj13ELNS0_17block_load_methodE3ELS4_3ELS4_3ELNS0_20block_scan_algorithmE0ELj4294967295EEENS1_25partition_config_selectorILNS1_17partition_subalgoE3EjNS0_10empty_typeEbEEZZNS1_14partition_implILS8_3ELb0ES6_jNS0_17counting_iteratorIjlEEPS9_SE_NS0_5tupleIJPjSE_EEENSF_IJSE_SE_EEES9_SG_JZNS1_25segmented_radix_sort_implINS0_14default_configELb1EPKbPbPKlPlN2at6native12_GLOBAL__N_18offset_tEEE10hipError_tPvRmT1_PNSt15iterator_traitsISY_E10value_typeET2_T3_PNSZ_IS14_E10value_typeET4_jRbjT5_S1A_jjP12ihipStream_tbEUljE_EEESV_SW_SX_S14_S18_S1A_T6_T7_T9_mT8_S1C_bDpT10_ENKUlT_T0_E_clISt17integral_constantIbLb1EES1P_EEDaS1K_S1L_EUlS1K_E_NS1_11comp_targetILNS1_3genE4ELNS1_11target_archE910ELNS1_3gpuE8ELNS1_3repE0EEENS1_30default_config_static_selectorELNS0_4arch9wavefront6targetE0EEEvSY_,"axG",@progbits,_ZN7rocprim17ROCPRIM_400000_NS6detail17trampoline_kernelINS0_13select_configILj256ELj13ELNS0_17block_load_methodE3ELS4_3ELS4_3ELNS0_20block_scan_algorithmE0ELj4294967295EEENS1_25partition_config_selectorILNS1_17partition_subalgoE3EjNS0_10empty_typeEbEEZZNS1_14partition_implILS8_3ELb0ES6_jNS0_17counting_iteratorIjlEEPS9_SE_NS0_5tupleIJPjSE_EEENSF_IJSE_SE_EEES9_SG_JZNS1_25segmented_radix_sort_implINS0_14default_configELb1EPKbPbPKlPlN2at6native12_GLOBAL__N_18offset_tEEE10hipError_tPvRmT1_PNSt15iterator_traitsISY_E10value_typeET2_T3_PNSZ_IS14_E10value_typeET4_jRbjT5_S1A_jjP12ihipStream_tbEUljE_EEESV_SW_SX_S14_S18_S1A_T6_T7_T9_mT8_S1C_bDpT10_ENKUlT_T0_E_clISt17integral_constantIbLb1EES1P_EEDaS1K_S1L_EUlS1K_E_NS1_11comp_targetILNS1_3genE4ELNS1_11target_archE910ELNS1_3gpuE8ELNS1_3repE0EEENS1_30default_config_static_selectorELNS0_4arch9wavefront6targetE0EEEvSY_,comdat
	.globl	_ZN7rocprim17ROCPRIM_400000_NS6detail17trampoline_kernelINS0_13select_configILj256ELj13ELNS0_17block_load_methodE3ELS4_3ELS4_3ELNS0_20block_scan_algorithmE0ELj4294967295EEENS1_25partition_config_selectorILNS1_17partition_subalgoE3EjNS0_10empty_typeEbEEZZNS1_14partition_implILS8_3ELb0ES6_jNS0_17counting_iteratorIjlEEPS9_SE_NS0_5tupleIJPjSE_EEENSF_IJSE_SE_EEES9_SG_JZNS1_25segmented_radix_sort_implINS0_14default_configELb1EPKbPbPKlPlN2at6native12_GLOBAL__N_18offset_tEEE10hipError_tPvRmT1_PNSt15iterator_traitsISY_E10value_typeET2_T3_PNSZ_IS14_E10value_typeET4_jRbjT5_S1A_jjP12ihipStream_tbEUljE_EEESV_SW_SX_S14_S18_S1A_T6_T7_T9_mT8_S1C_bDpT10_ENKUlT_T0_E_clISt17integral_constantIbLb1EES1P_EEDaS1K_S1L_EUlS1K_E_NS1_11comp_targetILNS1_3genE4ELNS1_11target_archE910ELNS1_3gpuE8ELNS1_3repE0EEENS1_30default_config_static_selectorELNS0_4arch9wavefront6targetE0EEEvSY_ ; -- Begin function _ZN7rocprim17ROCPRIM_400000_NS6detail17trampoline_kernelINS0_13select_configILj256ELj13ELNS0_17block_load_methodE3ELS4_3ELS4_3ELNS0_20block_scan_algorithmE0ELj4294967295EEENS1_25partition_config_selectorILNS1_17partition_subalgoE3EjNS0_10empty_typeEbEEZZNS1_14partition_implILS8_3ELb0ES6_jNS0_17counting_iteratorIjlEEPS9_SE_NS0_5tupleIJPjSE_EEENSF_IJSE_SE_EEES9_SG_JZNS1_25segmented_radix_sort_implINS0_14default_configELb1EPKbPbPKlPlN2at6native12_GLOBAL__N_18offset_tEEE10hipError_tPvRmT1_PNSt15iterator_traitsISY_E10value_typeET2_T3_PNSZ_IS14_E10value_typeET4_jRbjT5_S1A_jjP12ihipStream_tbEUljE_EEESV_SW_SX_S14_S18_S1A_T6_T7_T9_mT8_S1C_bDpT10_ENKUlT_T0_E_clISt17integral_constantIbLb1EES1P_EEDaS1K_S1L_EUlS1K_E_NS1_11comp_targetILNS1_3genE4ELNS1_11target_archE910ELNS1_3gpuE8ELNS1_3repE0EEENS1_30default_config_static_selectorELNS0_4arch9wavefront6targetE0EEEvSY_
	.p2align	8
	.type	_ZN7rocprim17ROCPRIM_400000_NS6detail17trampoline_kernelINS0_13select_configILj256ELj13ELNS0_17block_load_methodE3ELS4_3ELS4_3ELNS0_20block_scan_algorithmE0ELj4294967295EEENS1_25partition_config_selectorILNS1_17partition_subalgoE3EjNS0_10empty_typeEbEEZZNS1_14partition_implILS8_3ELb0ES6_jNS0_17counting_iteratorIjlEEPS9_SE_NS0_5tupleIJPjSE_EEENSF_IJSE_SE_EEES9_SG_JZNS1_25segmented_radix_sort_implINS0_14default_configELb1EPKbPbPKlPlN2at6native12_GLOBAL__N_18offset_tEEE10hipError_tPvRmT1_PNSt15iterator_traitsISY_E10value_typeET2_T3_PNSZ_IS14_E10value_typeET4_jRbjT5_S1A_jjP12ihipStream_tbEUljE_EEESV_SW_SX_S14_S18_S1A_T6_T7_T9_mT8_S1C_bDpT10_ENKUlT_T0_E_clISt17integral_constantIbLb1EES1P_EEDaS1K_S1L_EUlS1K_E_NS1_11comp_targetILNS1_3genE4ELNS1_11target_archE910ELNS1_3gpuE8ELNS1_3repE0EEENS1_30default_config_static_selectorELNS0_4arch9wavefront6targetE0EEEvSY_,@function
_ZN7rocprim17ROCPRIM_400000_NS6detail17trampoline_kernelINS0_13select_configILj256ELj13ELNS0_17block_load_methodE3ELS4_3ELS4_3ELNS0_20block_scan_algorithmE0ELj4294967295EEENS1_25partition_config_selectorILNS1_17partition_subalgoE3EjNS0_10empty_typeEbEEZZNS1_14partition_implILS8_3ELb0ES6_jNS0_17counting_iteratorIjlEEPS9_SE_NS0_5tupleIJPjSE_EEENSF_IJSE_SE_EEES9_SG_JZNS1_25segmented_radix_sort_implINS0_14default_configELb1EPKbPbPKlPlN2at6native12_GLOBAL__N_18offset_tEEE10hipError_tPvRmT1_PNSt15iterator_traitsISY_E10value_typeET2_T3_PNSZ_IS14_E10value_typeET4_jRbjT5_S1A_jjP12ihipStream_tbEUljE_EEESV_SW_SX_S14_S18_S1A_T6_T7_T9_mT8_S1C_bDpT10_ENKUlT_T0_E_clISt17integral_constantIbLb1EES1P_EEDaS1K_S1L_EUlS1K_E_NS1_11comp_targetILNS1_3genE4ELNS1_11target_archE910ELNS1_3gpuE8ELNS1_3repE0EEENS1_30default_config_static_selectorELNS0_4arch9wavefront6targetE0EEEvSY_: ; @_ZN7rocprim17ROCPRIM_400000_NS6detail17trampoline_kernelINS0_13select_configILj256ELj13ELNS0_17block_load_methodE3ELS4_3ELS4_3ELNS0_20block_scan_algorithmE0ELj4294967295EEENS1_25partition_config_selectorILNS1_17partition_subalgoE3EjNS0_10empty_typeEbEEZZNS1_14partition_implILS8_3ELb0ES6_jNS0_17counting_iteratorIjlEEPS9_SE_NS0_5tupleIJPjSE_EEENSF_IJSE_SE_EEES9_SG_JZNS1_25segmented_radix_sort_implINS0_14default_configELb1EPKbPbPKlPlN2at6native12_GLOBAL__N_18offset_tEEE10hipError_tPvRmT1_PNSt15iterator_traitsISY_E10value_typeET2_T3_PNSZ_IS14_E10value_typeET4_jRbjT5_S1A_jjP12ihipStream_tbEUljE_EEESV_SW_SX_S14_S18_S1A_T6_T7_T9_mT8_S1C_bDpT10_ENKUlT_T0_E_clISt17integral_constantIbLb1EES1P_EEDaS1K_S1L_EUlS1K_E_NS1_11comp_targetILNS1_3genE4ELNS1_11target_archE910ELNS1_3gpuE8ELNS1_3repE0EEENS1_30default_config_static_selectorELNS0_4arch9wavefront6targetE0EEEvSY_
; %bb.0:
	.section	.rodata,"a",@progbits
	.p2align	6, 0x0
	.amdhsa_kernel _ZN7rocprim17ROCPRIM_400000_NS6detail17trampoline_kernelINS0_13select_configILj256ELj13ELNS0_17block_load_methodE3ELS4_3ELS4_3ELNS0_20block_scan_algorithmE0ELj4294967295EEENS1_25partition_config_selectorILNS1_17partition_subalgoE3EjNS0_10empty_typeEbEEZZNS1_14partition_implILS8_3ELb0ES6_jNS0_17counting_iteratorIjlEEPS9_SE_NS0_5tupleIJPjSE_EEENSF_IJSE_SE_EEES9_SG_JZNS1_25segmented_radix_sort_implINS0_14default_configELb1EPKbPbPKlPlN2at6native12_GLOBAL__N_18offset_tEEE10hipError_tPvRmT1_PNSt15iterator_traitsISY_E10value_typeET2_T3_PNSZ_IS14_E10value_typeET4_jRbjT5_S1A_jjP12ihipStream_tbEUljE_EEESV_SW_SX_S14_S18_S1A_T6_T7_T9_mT8_S1C_bDpT10_ENKUlT_T0_E_clISt17integral_constantIbLb1EES1P_EEDaS1K_S1L_EUlS1K_E_NS1_11comp_targetILNS1_3genE4ELNS1_11target_archE910ELNS1_3gpuE8ELNS1_3repE0EEENS1_30default_config_static_selectorELNS0_4arch9wavefront6targetE0EEEvSY_
		.amdhsa_group_segment_fixed_size 0
		.amdhsa_private_segment_fixed_size 0
		.amdhsa_kernarg_size 152
		.amdhsa_user_sgpr_count 6
		.amdhsa_user_sgpr_private_segment_buffer 1
		.amdhsa_user_sgpr_dispatch_ptr 0
		.amdhsa_user_sgpr_queue_ptr 0
		.amdhsa_user_sgpr_kernarg_segment_ptr 1
		.amdhsa_user_sgpr_dispatch_id 0
		.amdhsa_user_sgpr_flat_scratch_init 0
		.amdhsa_user_sgpr_private_segment_size 0
		.amdhsa_wavefront_size32 1
		.amdhsa_uses_dynamic_stack 0
		.amdhsa_system_sgpr_private_segment_wavefront_offset 0
		.amdhsa_system_sgpr_workgroup_id_x 1
		.amdhsa_system_sgpr_workgroup_id_y 0
		.amdhsa_system_sgpr_workgroup_id_z 0
		.amdhsa_system_sgpr_workgroup_info 0
		.amdhsa_system_vgpr_workitem_id 0
		.amdhsa_next_free_vgpr 1
		.amdhsa_next_free_sgpr 1
		.amdhsa_reserve_vcc 0
		.amdhsa_reserve_flat_scratch 0
		.amdhsa_float_round_mode_32 0
		.amdhsa_float_round_mode_16_64 0
		.amdhsa_float_denorm_mode_32 3
		.amdhsa_float_denorm_mode_16_64 3
		.amdhsa_dx10_clamp 1
		.amdhsa_ieee_mode 1
		.amdhsa_fp16_overflow 0
		.amdhsa_workgroup_processor_mode 1
		.amdhsa_memory_ordered 1
		.amdhsa_forward_progress 1
		.amdhsa_shared_vgpr_count 0
		.amdhsa_exception_fp_ieee_invalid_op 0
		.amdhsa_exception_fp_denorm_src 0
		.amdhsa_exception_fp_ieee_div_zero 0
		.amdhsa_exception_fp_ieee_overflow 0
		.amdhsa_exception_fp_ieee_underflow 0
		.amdhsa_exception_fp_ieee_inexact 0
		.amdhsa_exception_int_div_zero 0
	.end_amdhsa_kernel
	.section	.text._ZN7rocprim17ROCPRIM_400000_NS6detail17trampoline_kernelINS0_13select_configILj256ELj13ELNS0_17block_load_methodE3ELS4_3ELS4_3ELNS0_20block_scan_algorithmE0ELj4294967295EEENS1_25partition_config_selectorILNS1_17partition_subalgoE3EjNS0_10empty_typeEbEEZZNS1_14partition_implILS8_3ELb0ES6_jNS0_17counting_iteratorIjlEEPS9_SE_NS0_5tupleIJPjSE_EEENSF_IJSE_SE_EEES9_SG_JZNS1_25segmented_radix_sort_implINS0_14default_configELb1EPKbPbPKlPlN2at6native12_GLOBAL__N_18offset_tEEE10hipError_tPvRmT1_PNSt15iterator_traitsISY_E10value_typeET2_T3_PNSZ_IS14_E10value_typeET4_jRbjT5_S1A_jjP12ihipStream_tbEUljE_EEESV_SW_SX_S14_S18_S1A_T6_T7_T9_mT8_S1C_bDpT10_ENKUlT_T0_E_clISt17integral_constantIbLb1EES1P_EEDaS1K_S1L_EUlS1K_E_NS1_11comp_targetILNS1_3genE4ELNS1_11target_archE910ELNS1_3gpuE8ELNS1_3repE0EEENS1_30default_config_static_selectorELNS0_4arch9wavefront6targetE0EEEvSY_,"axG",@progbits,_ZN7rocprim17ROCPRIM_400000_NS6detail17trampoline_kernelINS0_13select_configILj256ELj13ELNS0_17block_load_methodE3ELS4_3ELS4_3ELNS0_20block_scan_algorithmE0ELj4294967295EEENS1_25partition_config_selectorILNS1_17partition_subalgoE3EjNS0_10empty_typeEbEEZZNS1_14partition_implILS8_3ELb0ES6_jNS0_17counting_iteratorIjlEEPS9_SE_NS0_5tupleIJPjSE_EEENSF_IJSE_SE_EEES9_SG_JZNS1_25segmented_radix_sort_implINS0_14default_configELb1EPKbPbPKlPlN2at6native12_GLOBAL__N_18offset_tEEE10hipError_tPvRmT1_PNSt15iterator_traitsISY_E10value_typeET2_T3_PNSZ_IS14_E10value_typeET4_jRbjT5_S1A_jjP12ihipStream_tbEUljE_EEESV_SW_SX_S14_S18_S1A_T6_T7_T9_mT8_S1C_bDpT10_ENKUlT_T0_E_clISt17integral_constantIbLb1EES1P_EEDaS1K_S1L_EUlS1K_E_NS1_11comp_targetILNS1_3genE4ELNS1_11target_archE910ELNS1_3gpuE8ELNS1_3repE0EEENS1_30default_config_static_selectorELNS0_4arch9wavefront6targetE0EEEvSY_,comdat
.Lfunc_end1502:
	.size	_ZN7rocprim17ROCPRIM_400000_NS6detail17trampoline_kernelINS0_13select_configILj256ELj13ELNS0_17block_load_methodE3ELS4_3ELS4_3ELNS0_20block_scan_algorithmE0ELj4294967295EEENS1_25partition_config_selectorILNS1_17partition_subalgoE3EjNS0_10empty_typeEbEEZZNS1_14partition_implILS8_3ELb0ES6_jNS0_17counting_iteratorIjlEEPS9_SE_NS0_5tupleIJPjSE_EEENSF_IJSE_SE_EEES9_SG_JZNS1_25segmented_radix_sort_implINS0_14default_configELb1EPKbPbPKlPlN2at6native12_GLOBAL__N_18offset_tEEE10hipError_tPvRmT1_PNSt15iterator_traitsISY_E10value_typeET2_T3_PNSZ_IS14_E10value_typeET4_jRbjT5_S1A_jjP12ihipStream_tbEUljE_EEESV_SW_SX_S14_S18_S1A_T6_T7_T9_mT8_S1C_bDpT10_ENKUlT_T0_E_clISt17integral_constantIbLb1EES1P_EEDaS1K_S1L_EUlS1K_E_NS1_11comp_targetILNS1_3genE4ELNS1_11target_archE910ELNS1_3gpuE8ELNS1_3repE0EEENS1_30default_config_static_selectorELNS0_4arch9wavefront6targetE0EEEvSY_, .Lfunc_end1502-_ZN7rocprim17ROCPRIM_400000_NS6detail17trampoline_kernelINS0_13select_configILj256ELj13ELNS0_17block_load_methodE3ELS4_3ELS4_3ELNS0_20block_scan_algorithmE0ELj4294967295EEENS1_25partition_config_selectorILNS1_17partition_subalgoE3EjNS0_10empty_typeEbEEZZNS1_14partition_implILS8_3ELb0ES6_jNS0_17counting_iteratorIjlEEPS9_SE_NS0_5tupleIJPjSE_EEENSF_IJSE_SE_EEES9_SG_JZNS1_25segmented_radix_sort_implINS0_14default_configELb1EPKbPbPKlPlN2at6native12_GLOBAL__N_18offset_tEEE10hipError_tPvRmT1_PNSt15iterator_traitsISY_E10value_typeET2_T3_PNSZ_IS14_E10value_typeET4_jRbjT5_S1A_jjP12ihipStream_tbEUljE_EEESV_SW_SX_S14_S18_S1A_T6_T7_T9_mT8_S1C_bDpT10_ENKUlT_T0_E_clISt17integral_constantIbLb1EES1P_EEDaS1K_S1L_EUlS1K_E_NS1_11comp_targetILNS1_3genE4ELNS1_11target_archE910ELNS1_3gpuE8ELNS1_3repE0EEENS1_30default_config_static_selectorELNS0_4arch9wavefront6targetE0EEEvSY_
                                        ; -- End function
	.set _ZN7rocprim17ROCPRIM_400000_NS6detail17trampoline_kernelINS0_13select_configILj256ELj13ELNS0_17block_load_methodE3ELS4_3ELS4_3ELNS0_20block_scan_algorithmE0ELj4294967295EEENS1_25partition_config_selectorILNS1_17partition_subalgoE3EjNS0_10empty_typeEbEEZZNS1_14partition_implILS8_3ELb0ES6_jNS0_17counting_iteratorIjlEEPS9_SE_NS0_5tupleIJPjSE_EEENSF_IJSE_SE_EEES9_SG_JZNS1_25segmented_radix_sort_implINS0_14default_configELb1EPKbPbPKlPlN2at6native12_GLOBAL__N_18offset_tEEE10hipError_tPvRmT1_PNSt15iterator_traitsISY_E10value_typeET2_T3_PNSZ_IS14_E10value_typeET4_jRbjT5_S1A_jjP12ihipStream_tbEUljE_EEESV_SW_SX_S14_S18_S1A_T6_T7_T9_mT8_S1C_bDpT10_ENKUlT_T0_E_clISt17integral_constantIbLb1EES1P_EEDaS1K_S1L_EUlS1K_E_NS1_11comp_targetILNS1_3genE4ELNS1_11target_archE910ELNS1_3gpuE8ELNS1_3repE0EEENS1_30default_config_static_selectorELNS0_4arch9wavefront6targetE0EEEvSY_.num_vgpr, 0
	.set _ZN7rocprim17ROCPRIM_400000_NS6detail17trampoline_kernelINS0_13select_configILj256ELj13ELNS0_17block_load_methodE3ELS4_3ELS4_3ELNS0_20block_scan_algorithmE0ELj4294967295EEENS1_25partition_config_selectorILNS1_17partition_subalgoE3EjNS0_10empty_typeEbEEZZNS1_14partition_implILS8_3ELb0ES6_jNS0_17counting_iteratorIjlEEPS9_SE_NS0_5tupleIJPjSE_EEENSF_IJSE_SE_EEES9_SG_JZNS1_25segmented_radix_sort_implINS0_14default_configELb1EPKbPbPKlPlN2at6native12_GLOBAL__N_18offset_tEEE10hipError_tPvRmT1_PNSt15iterator_traitsISY_E10value_typeET2_T3_PNSZ_IS14_E10value_typeET4_jRbjT5_S1A_jjP12ihipStream_tbEUljE_EEESV_SW_SX_S14_S18_S1A_T6_T7_T9_mT8_S1C_bDpT10_ENKUlT_T0_E_clISt17integral_constantIbLb1EES1P_EEDaS1K_S1L_EUlS1K_E_NS1_11comp_targetILNS1_3genE4ELNS1_11target_archE910ELNS1_3gpuE8ELNS1_3repE0EEENS1_30default_config_static_selectorELNS0_4arch9wavefront6targetE0EEEvSY_.num_agpr, 0
	.set _ZN7rocprim17ROCPRIM_400000_NS6detail17trampoline_kernelINS0_13select_configILj256ELj13ELNS0_17block_load_methodE3ELS4_3ELS4_3ELNS0_20block_scan_algorithmE0ELj4294967295EEENS1_25partition_config_selectorILNS1_17partition_subalgoE3EjNS0_10empty_typeEbEEZZNS1_14partition_implILS8_3ELb0ES6_jNS0_17counting_iteratorIjlEEPS9_SE_NS0_5tupleIJPjSE_EEENSF_IJSE_SE_EEES9_SG_JZNS1_25segmented_radix_sort_implINS0_14default_configELb1EPKbPbPKlPlN2at6native12_GLOBAL__N_18offset_tEEE10hipError_tPvRmT1_PNSt15iterator_traitsISY_E10value_typeET2_T3_PNSZ_IS14_E10value_typeET4_jRbjT5_S1A_jjP12ihipStream_tbEUljE_EEESV_SW_SX_S14_S18_S1A_T6_T7_T9_mT8_S1C_bDpT10_ENKUlT_T0_E_clISt17integral_constantIbLb1EES1P_EEDaS1K_S1L_EUlS1K_E_NS1_11comp_targetILNS1_3genE4ELNS1_11target_archE910ELNS1_3gpuE8ELNS1_3repE0EEENS1_30default_config_static_selectorELNS0_4arch9wavefront6targetE0EEEvSY_.numbered_sgpr, 0
	.set _ZN7rocprim17ROCPRIM_400000_NS6detail17trampoline_kernelINS0_13select_configILj256ELj13ELNS0_17block_load_methodE3ELS4_3ELS4_3ELNS0_20block_scan_algorithmE0ELj4294967295EEENS1_25partition_config_selectorILNS1_17partition_subalgoE3EjNS0_10empty_typeEbEEZZNS1_14partition_implILS8_3ELb0ES6_jNS0_17counting_iteratorIjlEEPS9_SE_NS0_5tupleIJPjSE_EEENSF_IJSE_SE_EEES9_SG_JZNS1_25segmented_radix_sort_implINS0_14default_configELb1EPKbPbPKlPlN2at6native12_GLOBAL__N_18offset_tEEE10hipError_tPvRmT1_PNSt15iterator_traitsISY_E10value_typeET2_T3_PNSZ_IS14_E10value_typeET4_jRbjT5_S1A_jjP12ihipStream_tbEUljE_EEESV_SW_SX_S14_S18_S1A_T6_T7_T9_mT8_S1C_bDpT10_ENKUlT_T0_E_clISt17integral_constantIbLb1EES1P_EEDaS1K_S1L_EUlS1K_E_NS1_11comp_targetILNS1_3genE4ELNS1_11target_archE910ELNS1_3gpuE8ELNS1_3repE0EEENS1_30default_config_static_selectorELNS0_4arch9wavefront6targetE0EEEvSY_.num_named_barrier, 0
	.set _ZN7rocprim17ROCPRIM_400000_NS6detail17trampoline_kernelINS0_13select_configILj256ELj13ELNS0_17block_load_methodE3ELS4_3ELS4_3ELNS0_20block_scan_algorithmE0ELj4294967295EEENS1_25partition_config_selectorILNS1_17partition_subalgoE3EjNS0_10empty_typeEbEEZZNS1_14partition_implILS8_3ELb0ES6_jNS0_17counting_iteratorIjlEEPS9_SE_NS0_5tupleIJPjSE_EEENSF_IJSE_SE_EEES9_SG_JZNS1_25segmented_radix_sort_implINS0_14default_configELb1EPKbPbPKlPlN2at6native12_GLOBAL__N_18offset_tEEE10hipError_tPvRmT1_PNSt15iterator_traitsISY_E10value_typeET2_T3_PNSZ_IS14_E10value_typeET4_jRbjT5_S1A_jjP12ihipStream_tbEUljE_EEESV_SW_SX_S14_S18_S1A_T6_T7_T9_mT8_S1C_bDpT10_ENKUlT_T0_E_clISt17integral_constantIbLb1EES1P_EEDaS1K_S1L_EUlS1K_E_NS1_11comp_targetILNS1_3genE4ELNS1_11target_archE910ELNS1_3gpuE8ELNS1_3repE0EEENS1_30default_config_static_selectorELNS0_4arch9wavefront6targetE0EEEvSY_.private_seg_size, 0
	.set _ZN7rocprim17ROCPRIM_400000_NS6detail17trampoline_kernelINS0_13select_configILj256ELj13ELNS0_17block_load_methodE3ELS4_3ELS4_3ELNS0_20block_scan_algorithmE0ELj4294967295EEENS1_25partition_config_selectorILNS1_17partition_subalgoE3EjNS0_10empty_typeEbEEZZNS1_14partition_implILS8_3ELb0ES6_jNS0_17counting_iteratorIjlEEPS9_SE_NS0_5tupleIJPjSE_EEENSF_IJSE_SE_EEES9_SG_JZNS1_25segmented_radix_sort_implINS0_14default_configELb1EPKbPbPKlPlN2at6native12_GLOBAL__N_18offset_tEEE10hipError_tPvRmT1_PNSt15iterator_traitsISY_E10value_typeET2_T3_PNSZ_IS14_E10value_typeET4_jRbjT5_S1A_jjP12ihipStream_tbEUljE_EEESV_SW_SX_S14_S18_S1A_T6_T7_T9_mT8_S1C_bDpT10_ENKUlT_T0_E_clISt17integral_constantIbLb1EES1P_EEDaS1K_S1L_EUlS1K_E_NS1_11comp_targetILNS1_3genE4ELNS1_11target_archE910ELNS1_3gpuE8ELNS1_3repE0EEENS1_30default_config_static_selectorELNS0_4arch9wavefront6targetE0EEEvSY_.uses_vcc, 0
	.set _ZN7rocprim17ROCPRIM_400000_NS6detail17trampoline_kernelINS0_13select_configILj256ELj13ELNS0_17block_load_methodE3ELS4_3ELS4_3ELNS0_20block_scan_algorithmE0ELj4294967295EEENS1_25partition_config_selectorILNS1_17partition_subalgoE3EjNS0_10empty_typeEbEEZZNS1_14partition_implILS8_3ELb0ES6_jNS0_17counting_iteratorIjlEEPS9_SE_NS0_5tupleIJPjSE_EEENSF_IJSE_SE_EEES9_SG_JZNS1_25segmented_radix_sort_implINS0_14default_configELb1EPKbPbPKlPlN2at6native12_GLOBAL__N_18offset_tEEE10hipError_tPvRmT1_PNSt15iterator_traitsISY_E10value_typeET2_T3_PNSZ_IS14_E10value_typeET4_jRbjT5_S1A_jjP12ihipStream_tbEUljE_EEESV_SW_SX_S14_S18_S1A_T6_T7_T9_mT8_S1C_bDpT10_ENKUlT_T0_E_clISt17integral_constantIbLb1EES1P_EEDaS1K_S1L_EUlS1K_E_NS1_11comp_targetILNS1_3genE4ELNS1_11target_archE910ELNS1_3gpuE8ELNS1_3repE0EEENS1_30default_config_static_selectorELNS0_4arch9wavefront6targetE0EEEvSY_.uses_flat_scratch, 0
	.set _ZN7rocprim17ROCPRIM_400000_NS6detail17trampoline_kernelINS0_13select_configILj256ELj13ELNS0_17block_load_methodE3ELS4_3ELS4_3ELNS0_20block_scan_algorithmE0ELj4294967295EEENS1_25partition_config_selectorILNS1_17partition_subalgoE3EjNS0_10empty_typeEbEEZZNS1_14partition_implILS8_3ELb0ES6_jNS0_17counting_iteratorIjlEEPS9_SE_NS0_5tupleIJPjSE_EEENSF_IJSE_SE_EEES9_SG_JZNS1_25segmented_radix_sort_implINS0_14default_configELb1EPKbPbPKlPlN2at6native12_GLOBAL__N_18offset_tEEE10hipError_tPvRmT1_PNSt15iterator_traitsISY_E10value_typeET2_T3_PNSZ_IS14_E10value_typeET4_jRbjT5_S1A_jjP12ihipStream_tbEUljE_EEESV_SW_SX_S14_S18_S1A_T6_T7_T9_mT8_S1C_bDpT10_ENKUlT_T0_E_clISt17integral_constantIbLb1EES1P_EEDaS1K_S1L_EUlS1K_E_NS1_11comp_targetILNS1_3genE4ELNS1_11target_archE910ELNS1_3gpuE8ELNS1_3repE0EEENS1_30default_config_static_selectorELNS0_4arch9wavefront6targetE0EEEvSY_.has_dyn_sized_stack, 0
	.set _ZN7rocprim17ROCPRIM_400000_NS6detail17trampoline_kernelINS0_13select_configILj256ELj13ELNS0_17block_load_methodE3ELS4_3ELS4_3ELNS0_20block_scan_algorithmE0ELj4294967295EEENS1_25partition_config_selectorILNS1_17partition_subalgoE3EjNS0_10empty_typeEbEEZZNS1_14partition_implILS8_3ELb0ES6_jNS0_17counting_iteratorIjlEEPS9_SE_NS0_5tupleIJPjSE_EEENSF_IJSE_SE_EEES9_SG_JZNS1_25segmented_radix_sort_implINS0_14default_configELb1EPKbPbPKlPlN2at6native12_GLOBAL__N_18offset_tEEE10hipError_tPvRmT1_PNSt15iterator_traitsISY_E10value_typeET2_T3_PNSZ_IS14_E10value_typeET4_jRbjT5_S1A_jjP12ihipStream_tbEUljE_EEESV_SW_SX_S14_S18_S1A_T6_T7_T9_mT8_S1C_bDpT10_ENKUlT_T0_E_clISt17integral_constantIbLb1EES1P_EEDaS1K_S1L_EUlS1K_E_NS1_11comp_targetILNS1_3genE4ELNS1_11target_archE910ELNS1_3gpuE8ELNS1_3repE0EEENS1_30default_config_static_selectorELNS0_4arch9wavefront6targetE0EEEvSY_.has_recursion, 0
	.set _ZN7rocprim17ROCPRIM_400000_NS6detail17trampoline_kernelINS0_13select_configILj256ELj13ELNS0_17block_load_methodE3ELS4_3ELS4_3ELNS0_20block_scan_algorithmE0ELj4294967295EEENS1_25partition_config_selectorILNS1_17partition_subalgoE3EjNS0_10empty_typeEbEEZZNS1_14partition_implILS8_3ELb0ES6_jNS0_17counting_iteratorIjlEEPS9_SE_NS0_5tupleIJPjSE_EEENSF_IJSE_SE_EEES9_SG_JZNS1_25segmented_radix_sort_implINS0_14default_configELb1EPKbPbPKlPlN2at6native12_GLOBAL__N_18offset_tEEE10hipError_tPvRmT1_PNSt15iterator_traitsISY_E10value_typeET2_T3_PNSZ_IS14_E10value_typeET4_jRbjT5_S1A_jjP12ihipStream_tbEUljE_EEESV_SW_SX_S14_S18_S1A_T6_T7_T9_mT8_S1C_bDpT10_ENKUlT_T0_E_clISt17integral_constantIbLb1EES1P_EEDaS1K_S1L_EUlS1K_E_NS1_11comp_targetILNS1_3genE4ELNS1_11target_archE910ELNS1_3gpuE8ELNS1_3repE0EEENS1_30default_config_static_selectorELNS0_4arch9wavefront6targetE0EEEvSY_.has_indirect_call, 0
	.section	.AMDGPU.csdata,"",@progbits
; Kernel info:
; codeLenInByte = 0
; TotalNumSgprs: 0
; NumVgprs: 0
; ScratchSize: 0
; MemoryBound: 0
; FloatMode: 240
; IeeeMode: 1
; LDSByteSize: 0 bytes/workgroup (compile time only)
; SGPRBlocks: 0
; VGPRBlocks: 0
; NumSGPRsForWavesPerEU: 1
; NumVGPRsForWavesPerEU: 1
; Occupancy: 16
; WaveLimiterHint : 0
; COMPUTE_PGM_RSRC2:SCRATCH_EN: 0
; COMPUTE_PGM_RSRC2:USER_SGPR: 6
; COMPUTE_PGM_RSRC2:TRAP_HANDLER: 0
; COMPUTE_PGM_RSRC2:TGID_X_EN: 1
; COMPUTE_PGM_RSRC2:TGID_Y_EN: 0
; COMPUTE_PGM_RSRC2:TGID_Z_EN: 0
; COMPUTE_PGM_RSRC2:TIDIG_COMP_CNT: 0
	.section	.text._ZN7rocprim17ROCPRIM_400000_NS6detail17trampoline_kernelINS0_13select_configILj256ELj13ELNS0_17block_load_methodE3ELS4_3ELS4_3ELNS0_20block_scan_algorithmE0ELj4294967295EEENS1_25partition_config_selectorILNS1_17partition_subalgoE3EjNS0_10empty_typeEbEEZZNS1_14partition_implILS8_3ELb0ES6_jNS0_17counting_iteratorIjlEEPS9_SE_NS0_5tupleIJPjSE_EEENSF_IJSE_SE_EEES9_SG_JZNS1_25segmented_radix_sort_implINS0_14default_configELb1EPKbPbPKlPlN2at6native12_GLOBAL__N_18offset_tEEE10hipError_tPvRmT1_PNSt15iterator_traitsISY_E10value_typeET2_T3_PNSZ_IS14_E10value_typeET4_jRbjT5_S1A_jjP12ihipStream_tbEUljE_EEESV_SW_SX_S14_S18_S1A_T6_T7_T9_mT8_S1C_bDpT10_ENKUlT_T0_E_clISt17integral_constantIbLb1EES1P_EEDaS1K_S1L_EUlS1K_E_NS1_11comp_targetILNS1_3genE3ELNS1_11target_archE908ELNS1_3gpuE7ELNS1_3repE0EEENS1_30default_config_static_selectorELNS0_4arch9wavefront6targetE0EEEvSY_,"axG",@progbits,_ZN7rocprim17ROCPRIM_400000_NS6detail17trampoline_kernelINS0_13select_configILj256ELj13ELNS0_17block_load_methodE3ELS4_3ELS4_3ELNS0_20block_scan_algorithmE0ELj4294967295EEENS1_25partition_config_selectorILNS1_17partition_subalgoE3EjNS0_10empty_typeEbEEZZNS1_14partition_implILS8_3ELb0ES6_jNS0_17counting_iteratorIjlEEPS9_SE_NS0_5tupleIJPjSE_EEENSF_IJSE_SE_EEES9_SG_JZNS1_25segmented_radix_sort_implINS0_14default_configELb1EPKbPbPKlPlN2at6native12_GLOBAL__N_18offset_tEEE10hipError_tPvRmT1_PNSt15iterator_traitsISY_E10value_typeET2_T3_PNSZ_IS14_E10value_typeET4_jRbjT5_S1A_jjP12ihipStream_tbEUljE_EEESV_SW_SX_S14_S18_S1A_T6_T7_T9_mT8_S1C_bDpT10_ENKUlT_T0_E_clISt17integral_constantIbLb1EES1P_EEDaS1K_S1L_EUlS1K_E_NS1_11comp_targetILNS1_3genE3ELNS1_11target_archE908ELNS1_3gpuE7ELNS1_3repE0EEENS1_30default_config_static_selectorELNS0_4arch9wavefront6targetE0EEEvSY_,comdat
	.globl	_ZN7rocprim17ROCPRIM_400000_NS6detail17trampoline_kernelINS0_13select_configILj256ELj13ELNS0_17block_load_methodE3ELS4_3ELS4_3ELNS0_20block_scan_algorithmE0ELj4294967295EEENS1_25partition_config_selectorILNS1_17partition_subalgoE3EjNS0_10empty_typeEbEEZZNS1_14partition_implILS8_3ELb0ES6_jNS0_17counting_iteratorIjlEEPS9_SE_NS0_5tupleIJPjSE_EEENSF_IJSE_SE_EEES9_SG_JZNS1_25segmented_radix_sort_implINS0_14default_configELb1EPKbPbPKlPlN2at6native12_GLOBAL__N_18offset_tEEE10hipError_tPvRmT1_PNSt15iterator_traitsISY_E10value_typeET2_T3_PNSZ_IS14_E10value_typeET4_jRbjT5_S1A_jjP12ihipStream_tbEUljE_EEESV_SW_SX_S14_S18_S1A_T6_T7_T9_mT8_S1C_bDpT10_ENKUlT_T0_E_clISt17integral_constantIbLb1EES1P_EEDaS1K_S1L_EUlS1K_E_NS1_11comp_targetILNS1_3genE3ELNS1_11target_archE908ELNS1_3gpuE7ELNS1_3repE0EEENS1_30default_config_static_selectorELNS0_4arch9wavefront6targetE0EEEvSY_ ; -- Begin function _ZN7rocprim17ROCPRIM_400000_NS6detail17trampoline_kernelINS0_13select_configILj256ELj13ELNS0_17block_load_methodE3ELS4_3ELS4_3ELNS0_20block_scan_algorithmE0ELj4294967295EEENS1_25partition_config_selectorILNS1_17partition_subalgoE3EjNS0_10empty_typeEbEEZZNS1_14partition_implILS8_3ELb0ES6_jNS0_17counting_iteratorIjlEEPS9_SE_NS0_5tupleIJPjSE_EEENSF_IJSE_SE_EEES9_SG_JZNS1_25segmented_radix_sort_implINS0_14default_configELb1EPKbPbPKlPlN2at6native12_GLOBAL__N_18offset_tEEE10hipError_tPvRmT1_PNSt15iterator_traitsISY_E10value_typeET2_T3_PNSZ_IS14_E10value_typeET4_jRbjT5_S1A_jjP12ihipStream_tbEUljE_EEESV_SW_SX_S14_S18_S1A_T6_T7_T9_mT8_S1C_bDpT10_ENKUlT_T0_E_clISt17integral_constantIbLb1EES1P_EEDaS1K_S1L_EUlS1K_E_NS1_11comp_targetILNS1_3genE3ELNS1_11target_archE908ELNS1_3gpuE7ELNS1_3repE0EEENS1_30default_config_static_selectorELNS0_4arch9wavefront6targetE0EEEvSY_
	.p2align	8
	.type	_ZN7rocprim17ROCPRIM_400000_NS6detail17trampoline_kernelINS0_13select_configILj256ELj13ELNS0_17block_load_methodE3ELS4_3ELS4_3ELNS0_20block_scan_algorithmE0ELj4294967295EEENS1_25partition_config_selectorILNS1_17partition_subalgoE3EjNS0_10empty_typeEbEEZZNS1_14partition_implILS8_3ELb0ES6_jNS0_17counting_iteratorIjlEEPS9_SE_NS0_5tupleIJPjSE_EEENSF_IJSE_SE_EEES9_SG_JZNS1_25segmented_radix_sort_implINS0_14default_configELb1EPKbPbPKlPlN2at6native12_GLOBAL__N_18offset_tEEE10hipError_tPvRmT1_PNSt15iterator_traitsISY_E10value_typeET2_T3_PNSZ_IS14_E10value_typeET4_jRbjT5_S1A_jjP12ihipStream_tbEUljE_EEESV_SW_SX_S14_S18_S1A_T6_T7_T9_mT8_S1C_bDpT10_ENKUlT_T0_E_clISt17integral_constantIbLb1EES1P_EEDaS1K_S1L_EUlS1K_E_NS1_11comp_targetILNS1_3genE3ELNS1_11target_archE908ELNS1_3gpuE7ELNS1_3repE0EEENS1_30default_config_static_selectorELNS0_4arch9wavefront6targetE0EEEvSY_,@function
_ZN7rocprim17ROCPRIM_400000_NS6detail17trampoline_kernelINS0_13select_configILj256ELj13ELNS0_17block_load_methodE3ELS4_3ELS4_3ELNS0_20block_scan_algorithmE0ELj4294967295EEENS1_25partition_config_selectorILNS1_17partition_subalgoE3EjNS0_10empty_typeEbEEZZNS1_14partition_implILS8_3ELb0ES6_jNS0_17counting_iteratorIjlEEPS9_SE_NS0_5tupleIJPjSE_EEENSF_IJSE_SE_EEES9_SG_JZNS1_25segmented_radix_sort_implINS0_14default_configELb1EPKbPbPKlPlN2at6native12_GLOBAL__N_18offset_tEEE10hipError_tPvRmT1_PNSt15iterator_traitsISY_E10value_typeET2_T3_PNSZ_IS14_E10value_typeET4_jRbjT5_S1A_jjP12ihipStream_tbEUljE_EEESV_SW_SX_S14_S18_S1A_T6_T7_T9_mT8_S1C_bDpT10_ENKUlT_T0_E_clISt17integral_constantIbLb1EES1P_EEDaS1K_S1L_EUlS1K_E_NS1_11comp_targetILNS1_3genE3ELNS1_11target_archE908ELNS1_3gpuE7ELNS1_3repE0EEENS1_30default_config_static_selectorELNS0_4arch9wavefront6targetE0EEEvSY_: ; @_ZN7rocprim17ROCPRIM_400000_NS6detail17trampoline_kernelINS0_13select_configILj256ELj13ELNS0_17block_load_methodE3ELS4_3ELS4_3ELNS0_20block_scan_algorithmE0ELj4294967295EEENS1_25partition_config_selectorILNS1_17partition_subalgoE3EjNS0_10empty_typeEbEEZZNS1_14partition_implILS8_3ELb0ES6_jNS0_17counting_iteratorIjlEEPS9_SE_NS0_5tupleIJPjSE_EEENSF_IJSE_SE_EEES9_SG_JZNS1_25segmented_radix_sort_implINS0_14default_configELb1EPKbPbPKlPlN2at6native12_GLOBAL__N_18offset_tEEE10hipError_tPvRmT1_PNSt15iterator_traitsISY_E10value_typeET2_T3_PNSZ_IS14_E10value_typeET4_jRbjT5_S1A_jjP12ihipStream_tbEUljE_EEESV_SW_SX_S14_S18_S1A_T6_T7_T9_mT8_S1C_bDpT10_ENKUlT_T0_E_clISt17integral_constantIbLb1EES1P_EEDaS1K_S1L_EUlS1K_E_NS1_11comp_targetILNS1_3genE3ELNS1_11target_archE908ELNS1_3gpuE7ELNS1_3repE0EEENS1_30default_config_static_selectorELNS0_4arch9wavefront6targetE0EEEvSY_
; %bb.0:
	.section	.rodata,"a",@progbits
	.p2align	6, 0x0
	.amdhsa_kernel _ZN7rocprim17ROCPRIM_400000_NS6detail17trampoline_kernelINS0_13select_configILj256ELj13ELNS0_17block_load_methodE3ELS4_3ELS4_3ELNS0_20block_scan_algorithmE0ELj4294967295EEENS1_25partition_config_selectorILNS1_17partition_subalgoE3EjNS0_10empty_typeEbEEZZNS1_14partition_implILS8_3ELb0ES6_jNS0_17counting_iteratorIjlEEPS9_SE_NS0_5tupleIJPjSE_EEENSF_IJSE_SE_EEES9_SG_JZNS1_25segmented_radix_sort_implINS0_14default_configELb1EPKbPbPKlPlN2at6native12_GLOBAL__N_18offset_tEEE10hipError_tPvRmT1_PNSt15iterator_traitsISY_E10value_typeET2_T3_PNSZ_IS14_E10value_typeET4_jRbjT5_S1A_jjP12ihipStream_tbEUljE_EEESV_SW_SX_S14_S18_S1A_T6_T7_T9_mT8_S1C_bDpT10_ENKUlT_T0_E_clISt17integral_constantIbLb1EES1P_EEDaS1K_S1L_EUlS1K_E_NS1_11comp_targetILNS1_3genE3ELNS1_11target_archE908ELNS1_3gpuE7ELNS1_3repE0EEENS1_30default_config_static_selectorELNS0_4arch9wavefront6targetE0EEEvSY_
		.amdhsa_group_segment_fixed_size 0
		.amdhsa_private_segment_fixed_size 0
		.amdhsa_kernarg_size 152
		.amdhsa_user_sgpr_count 6
		.amdhsa_user_sgpr_private_segment_buffer 1
		.amdhsa_user_sgpr_dispatch_ptr 0
		.amdhsa_user_sgpr_queue_ptr 0
		.amdhsa_user_sgpr_kernarg_segment_ptr 1
		.amdhsa_user_sgpr_dispatch_id 0
		.amdhsa_user_sgpr_flat_scratch_init 0
		.amdhsa_user_sgpr_private_segment_size 0
		.amdhsa_wavefront_size32 1
		.amdhsa_uses_dynamic_stack 0
		.amdhsa_system_sgpr_private_segment_wavefront_offset 0
		.amdhsa_system_sgpr_workgroup_id_x 1
		.amdhsa_system_sgpr_workgroup_id_y 0
		.amdhsa_system_sgpr_workgroup_id_z 0
		.amdhsa_system_sgpr_workgroup_info 0
		.amdhsa_system_vgpr_workitem_id 0
		.amdhsa_next_free_vgpr 1
		.amdhsa_next_free_sgpr 1
		.amdhsa_reserve_vcc 0
		.amdhsa_reserve_flat_scratch 0
		.amdhsa_float_round_mode_32 0
		.amdhsa_float_round_mode_16_64 0
		.amdhsa_float_denorm_mode_32 3
		.amdhsa_float_denorm_mode_16_64 3
		.amdhsa_dx10_clamp 1
		.amdhsa_ieee_mode 1
		.amdhsa_fp16_overflow 0
		.amdhsa_workgroup_processor_mode 1
		.amdhsa_memory_ordered 1
		.amdhsa_forward_progress 1
		.amdhsa_shared_vgpr_count 0
		.amdhsa_exception_fp_ieee_invalid_op 0
		.amdhsa_exception_fp_denorm_src 0
		.amdhsa_exception_fp_ieee_div_zero 0
		.amdhsa_exception_fp_ieee_overflow 0
		.amdhsa_exception_fp_ieee_underflow 0
		.amdhsa_exception_fp_ieee_inexact 0
		.amdhsa_exception_int_div_zero 0
	.end_amdhsa_kernel
	.section	.text._ZN7rocprim17ROCPRIM_400000_NS6detail17trampoline_kernelINS0_13select_configILj256ELj13ELNS0_17block_load_methodE3ELS4_3ELS4_3ELNS0_20block_scan_algorithmE0ELj4294967295EEENS1_25partition_config_selectorILNS1_17partition_subalgoE3EjNS0_10empty_typeEbEEZZNS1_14partition_implILS8_3ELb0ES6_jNS0_17counting_iteratorIjlEEPS9_SE_NS0_5tupleIJPjSE_EEENSF_IJSE_SE_EEES9_SG_JZNS1_25segmented_radix_sort_implINS0_14default_configELb1EPKbPbPKlPlN2at6native12_GLOBAL__N_18offset_tEEE10hipError_tPvRmT1_PNSt15iterator_traitsISY_E10value_typeET2_T3_PNSZ_IS14_E10value_typeET4_jRbjT5_S1A_jjP12ihipStream_tbEUljE_EEESV_SW_SX_S14_S18_S1A_T6_T7_T9_mT8_S1C_bDpT10_ENKUlT_T0_E_clISt17integral_constantIbLb1EES1P_EEDaS1K_S1L_EUlS1K_E_NS1_11comp_targetILNS1_3genE3ELNS1_11target_archE908ELNS1_3gpuE7ELNS1_3repE0EEENS1_30default_config_static_selectorELNS0_4arch9wavefront6targetE0EEEvSY_,"axG",@progbits,_ZN7rocprim17ROCPRIM_400000_NS6detail17trampoline_kernelINS0_13select_configILj256ELj13ELNS0_17block_load_methodE3ELS4_3ELS4_3ELNS0_20block_scan_algorithmE0ELj4294967295EEENS1_25partition_config_selectorILNS1_17partition_subalgoE3EjNS0_10empty_typeEbEEZZNS1_14partition_implILS8_3ELb0ES6_jNS0_17counting_iteratorIjlEEPS9_SE_NS0_5tupleIJPjSE_EEENSF_IJSE_SE_EEES9_SG_JZNS1_25segmented_radix_sort_implINS0_14default_configELb1EPKbPbPKlPlN2at6native12_GLOBAL__N_18offset_tEEE10hipError_tPvRmT1_PNSt15iterator_traitsISY_E10value_typeET2_T3_PNSZ_IS14_E10value_typeET4_jRbjT5_S1A_jjP12ihipStream_tbEUljE_EEESV_SW_SX_S14_S18_S1A_T6_T7_T9_mT8_S1C_bDpT10_ENKUlT_T0_E_clISt17integral_constantIbLb1EES1P_EEDaS1K_S1L_EUlS1K_E_NS1_11comp_targetILNS1_3genE3ELNS1_11target_archE908ELNS1_3gpuE7ELNS1_3repE0EEENS1_30default_config_static_selectorELNS0_4arch9wavefront6targetE0EEEvSY_,comdat
.Lfunc_end1503:
	.size	_ZN7rocprim17ROCPRIM_400000_NS6detail17trampoline_kernelINS0_13select_configILj256ELj13ELNS0_17block_load_methodE3ELS4_3ELS4_3ELNS0_20block_scan_algorithmE0ELj4294967295EEENS1_25partition_config_selectorILNS1_17partition_subalgoE3EjNS0_10empty_typeEbEEZZNS1_14partition_implILS8_3ELb0ES6_jNS0_17counting_iteratorIjlEEPS9_SE_NS0_5tupleIJPjSE_EEENSF_IJSE_SE_EEES9_SG_JZNS1_25segmented_radix_sort_implINS0_14default_configELb1EPKbPbPKlPlN2at6native12_GLOBAL__N_18offset_tEEE10hipError_tPvRmT1_PNSt15iterator_traitsISY_E10value_typeET2_T3_PNSZ_IS14_E10value_typeET4_jRbjT5_S1A_jjP12ihipStream_tbEUljE_EEESV_SW_SX_S14_S18_S1A_T6_T7_T9_mT8_S1C_bDpT10_ENKUlT_T0_E_clISt17integral_constantIbLb1EES1P_EEDaS1K_S1L_EUlS1K_E_NS1_11comp_targetILNS1_3genE3ELNS1_11target_archE908ELNS1_3gpuE7ELNS1_3repE0EEENS1_30default_config_static_selectorELNS0_4arch9wavefront6targetE0EEEvSY_, .Lfunc_end1503-_ZN7rocprim17ROCPRIM_400000_NS6detail17trampoline_kernelINS0_13select_configILj256ELj13ELNS0_17block_load_methodE3ELS4_3ELS4_3ELNS0_20block_scan_algorithmE0ELj4294967295EEENS1_25partition_config_selectorILNS1_17partition_subalgoE3EjNS0_10empty_typeEbEEZZNS1_14partition_implILS8_3ELb0ES6_jNS0_17counting_iteratorIjlEEPS9_SE_NS0_5tupleIJPjSE_EEENSF_IJSE_SE_EEES9_SG_JZNS1_25segmented_radix_sort_implINS0_14default_configELb1EPKbPbPKlPlN2at6native12_GLOBAL__N_18offset_tEEE10hipError_tPvRmT1_PNSt15iterator_traitsISY_E10value_typeET2_T3_PNSZ_IS14_E10value_typeET4_jRbjT5_S1A_jjP12ihipStream_tbEUljE_EEESV_SW_SX_S14_S18_S1A_T6_T7_T9_mT8_S1C_bDpT10_ENKUlT_T0_E_clISt17integral_constantIbLb1EES1P_EEDaS1K_S1L_EUlS1K_E_NS1_11comp_targetILNS1_3genE3ELNS1_11target_archE908ELNS1_3gpuE7ELNS1_3repE0EEENS1_30default_config_static_selectorELNS0_4arch9wavefront6targetE0EEEvSY_
                                        ; -- End function
	.set _ZN7rocprim17ROCPRIM_400000_NS6detail17trampoline_kernelINS0_13select_configILj256ELj13ELNS0_17block_load_methodE3ELS4_3ELS4_3ELNS0_20block_scan_algorithmE0ELj4294967295EEENS1_25partition_config_selectorILNS1_17partition_subalgoE3EjNS0_10empty_typeEbEEZZNS1_14partition_implILS8_3ELb0ES6_jNS0_17counting_iteratorIjlEEPS9_SE_NS0_5tupleIJPjSE_EEENSF_IJSE_SE_EEES9_SG_JZNS1_25segmented_radix_sort_implINS0_14default_configELb1EPKbPbPKlPlN2at6native12_GLOBAL__N_18offset_tEEE10hipError_tPvRmT1_PNSt15iterator_traitsISY_E10value_typeET2_T3_PNSZ_IS14_E10value_typeET4_jRbjT5_S1A_jjP12ihipStream_tbEUljE_EEESV_SW_SX_S14_S18_S1A_T6_T7_T9_mT8_S1C_bDpT10_ENKUlT_T0_E_clISt17integral_constantIbLb1EES1P_EEDaS1K_S1L_EUlS1K_E_NS1_11comp_targetILNS1_3genE3ELNS1_11target_archE908ELNS1_3gpuE7ELNS1_3repE0EEENS1_30default_config_static_selectorELNS0_4arch9wavefront6targetE0EEEvSY_.num_vgpr, 0
	.set _ZN7rocprim17ROCPRIM_400000_NS6detail17trampoline_kernelINS0_13select_configILj256ELj13ELNS0_17block_load_methodE3ELS4_3ELS4_3ELNS0_20block_scan_algorithmE0ELj4294967295EEENS1_25partition_config_selectorILNS1_17partition_subalgoE3EjNS0_10empty_typeEbEEZZNS1_14partition_implILS8_3ELb0ES6_jNS0_17counting_iteratorIjlEEPS9_SE_NS0_5tupleIJPjSE_EEENSF_IJSE_SE_EEES9_SG_JZNS1_25segmented_radix_sort_implINS0_14default_configELb1EPKbPbPKlPlN2at6native12_GLOBAL__N_18offset_tEEE10hipError_tPvRmT1_PNSt15iterator_traitsISY_E10value_typeET2_T3_PNSZ_IS14_E10value_typeET4_jRbjT5_S1A_jjP12ihipStream_tbEUljE_EEESV_SW_SX_S14_S18_S1A_T6_T7_T9_mT8_S1C_bDpT10_ENKUlT_T0_E_clISt17integral_constantIbLb1EES1P_EEDaS1K_S1L_EUlS1K_E_NS1_11comp_targetILNS1_3genE3ELNS1_11target_archE908ELNS1_3gpuE7ELNS1_3repE0EEENS1_30default_config_static_selectorELNS0_4arch9wavefront6targetE0EEEvSY_.num_agpr, 0
	.set _ZN7rocprim17ROCPRIM_400000_NS6detail17trampoline_kernelINS0_13select_configILj256ELj13ELNS0_17block_load_methodE3ELS4_3ELS4_3ELNS0_20block_scan_algorithmE0ELj4294967295EEENS1_25partition_config_selectorILNS1_17partition_subalgoE3EjNS0_10empty_typeEbEEZZNS1_14partition_implILS8_3ELb0ES6_jNS0_17counting_iteratorIjlEEPS9_SE_NS0_5tupleIJPjSE_EEENSF_IJSE_SE_EEES9_SG_JZNS1_25segmented_radix_sort_implINS0_14default_configELb1EPKbPbPKlPlN2at6native12_GLOBAL__N_18offset_tEEE10hipError_tPvRmT1_PNSt15iterator_traitsISY_E10value_typeET2_T3_PNSZ_IS14_E10value_typeET4_jRbjT5_S1A_jjP12ihipStream_tbEUljE_EEESV_SW_SX_S14_S18_S1A_T6_T7_T9_mT8_S1C_bDpT10_ENKUlT_T0_E_clISt17integral_constantIbLb1EES1P_EEDaS1K_S1L_EUlS1K_E_NS1_11comp_targetILNS1_3genE3ELNS1_11target_archE908ELNS1_3gpuE7ELNS1_3repE0EEENS1_30default_config_static_selectorELNS0_4arch9wavefront6targetE0EEEvSY_.numbered_sgpr, 0
	.set _ZN7rocprim17ROCPRIM_400000_NS6detail17trampoline_kernelINS0_13select_configILj256ELj13ELNS0_17block_load_methodE3ELS4_3ELS4_3ELNS0_20block_scan_algorithmE0ELj4294967295EEENS1_25partition_config_selectorILNS1_17partition_subalgoE3EjNS0_10empty_typeEbEEZZNS1_14partition_implILS8_3ELb0ES6_jNS0_17counting_iteratorIjlEEPS9_SE_NS0_5tupleIJPjSE_EEENSF_IJSE_SE_EEES9_SG_JZNS1_25segmented_radix_sort_implINS0_14default_configELb1EPKbPbPKlPlN2at6native12_GLOBAL__N_18offset_tEEE10hipError_tPvRmT1_PNSt15iterator_traitsISY_E10value_typeET2_T3_PNSZ_IS14_E10value_typeET4_jRbjT5_S1A_jjP12ihipStream_tbEUljE_EEESV_SW_SX_S14_S18_S1A_T6_T7_T9_mT8_S1C_bDpT10_ENKUlT_T0_E_clISt17integral_constantIbLb1EES1P_EEDaS1K_S1L_EUlS1K_E_NS1_11comp_targetILNS1_3genE3ELNS1_11target_archE908ELNS1_3gpuE7ELNS1_3repE0EEENS1_30default_config_static_selectorELNS0_4arch9wavefront6targetE0EEEvSY_.num_named_barrier, 0
	.set _ZN7rocprim17ROCPRIM_400000_NS6detail17trampoline_kernelINS0_13select_configILj256ELj13ELNS0_17block_load_methodE3ELS4_3ELS4_3ELNS0_20block_scan_algorithmE0ELj4294967295EEENS1_25partition_config_selectorILNS1_17partition_subalgoE3EjNS0_10empty_typeEbEEZZNS1_14partition_implILS8_3ELb0ES6_jNS0_17counting_iteratorIjlEEPS9_SE_NS0_5tupleIJPjSE_EEENSF_IJSE_SE_EEES9_SG_JZNS1_25segmented_radix_sort_implINS0_14default_configELb1EPKbPbPKlPlN2at6native12_GLOBAL__N_18offset_tEEE10hipError_tPvRmT1_PNSt15iterator_traitsISY_E10value_typeET2_T3_PNSZ_IS14_E10value_typeET4_jRbjT5_S1A_jjP12ihipStream_tbEUljE_EEESV_SW_SX_S14_S18_S1A_T6_T7_T9_mT8_S1C_bDpT10_ENKUlT_T0_E_clISt17integral_constantIbLb1EES1P_EEDaS1K_S1L_EUlS1K_E_NS1_11comp_targetILNS1_3genE3ELNS1_11target_archE908ELNS1_3gpuE7ELNS1_3repE0EEENS1_30default_config_static_selectorELNS0_4arch9wavefront6targetE0EEEvSY_.private_seg_size, 0
	.set _ZN7rocprim17ROCPRIM_400000_NS6detail17trampoline_kernelINS0_13select_configILj256ELj13ELNS0_17block_load_methodE3ELS4_3ELS4_3ELNS0_20block_scan_algorithmE0ELj4294967295EEENS1_25partition_config_selectorILNS1_17partition_subalgoE3EjNS0_10empty_typeEbEEZZNS1_14partition_implILS8_3ELb0ES6_jNS0_17counting_iteratorIjlEEPS9_SE_NS0_5tupleIJPjSE_EEENSF_IJSE_SE_EEES9_SG_JZNS1_25segmented_radix_sort_implINS0_14default_configELb1EPKbPbPKlPlN2at6native12_GLOBAL__N_18offset_tEEE10hipError_tPvRmT1_PNSt15iterator_traitsISY_E10value_typeET2_T3_PNSZ_IS14_E10value_typeET4_jRbjT5_S1A_jjP12ihipStream_tbEUljE_EEESV_SW_SX_S14_S18_S1A_T6_T7_T9_mT8_S1C_bDpT10_ENKUlT_T0_E_clISt17integral_constantIbLb1EES1P_EEDaS1K_S1L_EUlS1K_E_NS1_11comp_targetILNS1_3genE3ELNS1_11target_archE908ELNS1_3gpuE7ELNS1_3repE0EEENS1_30default_config_static_selectorELNS0_4arch9wavefront6targetE0EEEvSY_.uses_vcc, 0
	.set _ZN7rocprim17ROCPRIM_400000_NS6detail17trampoline_kernelINS0_13select_configILj256ELj13ELNS0_17block_load_methodE3ELS4_3ELS4_3ELNS0_20block_scan_algorithmE0ELj4294967295EEENS1_25partition_config_selectorILNS1_17partition_subalgoE3EjNS0_10empty_typeEbEEZZNS1_14partition_implILS8_3ELb0ES6_jNS0_17counting_iteratorIjlEEPS9_SE_NS0_5tupleIJPjSE_EEENSF_IJSE_SE_EEES9_SG_JZNS1_25segmented_radix_sort_implINS0_14default_configELb1EPKbPbPKlPlN2at6native12_GLOBAL__N_18offset_tEEE10hipError_tPvRmT1_PNSt15iterator_traitsISY_E10value_typeET2_T3_PNSZ_IS14_E10value_typeET4_jRbjT5_S1A_jjP12ihipStream_tbEUljE_EEESV_SW_SX_S14_S18_S1A_T6_T7_T9_mT8_S1C_bDpT10_ENKUlT_T0_E_clISt17integral_constantIbLb1EES1P_EEDaS1K_S1L_EUlS1K_E_NS1_11comp_targetILNS1_3genE3ELNS1_11target_archE908ELNS1_3gpuE7ELNS1_3repE0EEENS1_30default_config_static_selectorELNS0_4arch9wavefront6targetE0EEEvSY_.uses_flat_scratch, 0
	.set _ZN7rocprim17ROCPRIM_400000_NS6detail17trampoline_kernelINS0_13select_configILj256ELj13ELNS0_17block_load_methodE3ELS4_3ELS4_3ELNS0_20block_scan_algorithmE0ELj4294967295EEENS1_25partition_config_selectorILNS1_17partition_subalgoE3EjNS0_10empty_typeEbEEZZNS1_14partition_implILS8_3ELb0ES6_jNS0_17counting_iteratorIjlEEPS9_SE_NS0_5tupleIJPjSE_EEENSF_IJSE_SE_EEES9_SG_JZNS1_25segmented_radix_sort_implINS0_14default_configELb1EPKbPbPKlPlN2at6native12_GLOBAL__N_18offset_tEEE10hipError_tPvRmT1_PNSt15iterator_traitsISY_E10value_typeET2_T3_PNSZ_IS14_E10value_typeET4_jRbjT5_S1A_jjP12ihipStream_tbEUljE_EEESV_SW_SX_S14_S18_S1A_T6_T7_T9_mT8_S1C_bDpT10_ENKUlT_T0_E_clISt17integral_constantIbLb1EES1P_EEDaS1K_S1L_EUlS1K_E_NS1_11comp_targetILNS1_3genE3ELNS1_11target_archE908ELNS1_3gpuE7ELNS1_3repE0EEENS1_30default_config_static_selectorELNS0_4arch9wavefront6targetE0EEEvSY_.has_dyn_sized_stack, 0
	.set _ZN7rocprim17ROCPRIM_400000_NS6detail17trampoline_kernelINS0_13select_configILj256ELj13ELNS0_17block_load_methodE3ELS4_3ELS4_3ELNS0_20block_scan_algorithmE0ELj4294967295EEENS1_25partition_config_selectorILNS1_17partition_subalgoE3EjNS0_10empty_typeEbEEZZNS1_14partition_implILS8_3ELb0ES6_jNS0_17counting_iteratorIjlEEPS9_SE_NS0_5tupleIJPjSE_EEENSF_IJSE_SE_EEES9_SG_JZNS1_25segmented_radix_sort_implINS0_14default_configELb1EPKbPbPKlPlN2at6native12_GLOBAL__N_18offset_tEEE10hipError_tPvRmT1_PNSt15iterator_traitsISY_E10value_typeET2_T3_PNSZ_IS14_E10value_typeET4_jRbjT5_S1A_jjP12ihipStream_tbEUljE_EEESV_SW_SX_S14_S18_S1A_T6_T7_T9_mT8_S1C_bDpT10_ENKUlT_T0_E_clISt17integral_constantIbLb1EES1P_EEDaS1K_S1L_EUlS1K_E_NS1_11comp_targetILNS1_3genE3ELNS1_11target_archE908ELNS1_3gpuE7ELNS1_3repE0EEENS1_30default_config_static_selectorELNS0_4arch9wavefront6targetE0EEEvSY_.has_recursion, 0
	.set _ZN7rocprim17ROCPRIM_400000_NS6detail17trampoline_kernelINS0_13select_configILj256ELj13ELNS0_17block_load_methodE3ELS4_3ELS4_3ELNS0_20block_scan_algorithmE0ELj4294967295EEENS1_25partition_config_selectorILNS1_17partition_subalgoE3EjNS0_10empty_typeEbEEZZNS1_14partition_implILS8_3ELb0ES6_jNS0_17counting_iteratorIjlEEPS9_SE_NS0_5tupleIJPjSE_EEENSF_IJSE_SE_EEES9_SG_JZNS1_25segmented_radix_sort_implINS0_14default_configELb1EPKbPbPKlPlN2at6native12_GLOBAL__N_18offset_tEEE10hipError_tPvRmT1_PNSt15iterator_traitsISY_E10value_typeET2_T3_PNSZ_IS14_E10value_typeET4_jRbjT5_S1A_jjP12ihipStream_tbEUljE_EEESV_SW_SX_S14_S18_S1A_T6_T7_T9_mT8_S1C_bDpT10_ENKUlT_T0_E_clISt17integral_constantIbLb1EES1P_EEDaS1K_S1L_EUlS1K_E_NS1_11comp_targetILNS1_3genE3ELNS1_11target_archE908ELNS1_3gpuE7ELNS1_3repE0EEENS1_30default_config_static_selectorELNS0_4arch9wavefront6targetE0EEEvSY_.has_indirect_call, 0
	.section	.AMDGPU.csdata,"",@progbits
; Kernel info:
; codeLenInByte = 0
; TotalNumSgprs: 0
; NumVgprs: 0
; ScratchSize: 0
; MemoryBound: 0
; FloatMode: 240
; IeeeMode: 1
; LDSByteSize: 0 bytes/workgroup (compile time only)
; SGPRBlocks: 0
; VGPRBlocks: 0
; NumSGPRsForWavesPerEU: 1
; NumVGPRsForWavesPerEU: 1
; Occupancy: 16
; WaveLimiterHint : 0
; COMPUTE_PGM_RSRC2:SCRATCH_EN: 0
; COMPUTE_PGM_RSRC2:USER_SGPR: 6
; COMPUTE_PGM_RSRC2:TRAP_HANDLER: 0
; COMPUTE_PGM_RSRC2:TGID_X_EN: 1
; COMPUTE_PGM_RSRC2:TGID_Y_EN: 0
; COMPUTE_PGM_RSRC2:TGID_Z_EN: 0
; COMPUTE_PGM_RSRC2:TIDIG_COMP_CNT: 0
	.section	.text._ZN7rocprim17ROCPRIM_400000_NS6detail17trampoline_kernelINS0_13select_configILj256ELj13ELNS0_17block_load_methodE3ELS4_3ELS4_3ELNS0_20block_scan_algorithmE0ELj4294967295EEENS1_25partition_config_selectorILNS1_17partition_subalgoE3EjNS0_10empty_typeEbEEZZNS1_14partition_implILS8_3ELb0ES6_jNS0_17counting_iteratorIjlEEPS9_SE_NS0_5tupleIJPjSE_EEENSF_IJSE_SE_EEES9_SG_JZNS1_25segmented_radix_sort_implINS0_14default_configELb1EPKbPbPKlPlN2at6native12_GLOBAL__N_18offset_tEEE10hipError_tPvRmT1_PNSt15iterator_traitsISY_E10value_typeET2_T3_PNSZ_IS14_E10value_typeET4_jRbjT5_S1A_jjP12ihipStream_tbEUljE_EEESV_SW_SX_S14_S18_S1A_T6_T7_T9_mT8_S1C_bDpT10_ENKUlT_T0_E_clISt17integral_constantIbLb1EES1P_EEDaS1K_S1L_EUlS1K_E_NS1_11comp_targetILNS1_3genE2ELNS1_11target_archE906ELNS1_3gpuE6ELNS1_3repE0EEENS1_30default_config_static_selectorELNS0_4arch9wavefront6targetE0EEEvSY_,"axG",@progbits,_ZN7rocprim17ROCPRIM_400000_NS6detail17trampoline_kernelINS0_13select_configILj256ELj13ELNS0_17block_load_methodE3ELS4_3ELS4_3ELNS0_20block_scan_algorithmE0ELj4294967295EEENS1_25partition_config_selectorILNS1_17partition_subalgoE3EjNS0_10empty_typeEbEEZZNS1_14partition_implILS8_3ELb0ES6_jNS0_17counting_iteratorIjlEEPS9_SE_NS0_5tupleIJPjSE_EEENSF_IJSE_SE_EEES9_SG_JZNS1_25segmented_radix_sort_implINS0_14default_configELb1EPKbPbPKlPlN2at6native12_GLOBAL__N_18offset_tEEE10hipError_tPvRmT1_PNSt15iterator_traitsISY_E10value_typeET2_T3_PNSZ_IS14_E10value_typeET4_jRbjT5_S1A_jjP12ihipStream_tbEUljE_EEESV_SW_SX_S14_S18_S1A_T6_T7_T9_mT8_S1C_bDpT10_ENKUlT_T0_E_clISt17integral_constantIbLb1EES1P_EEDaS1K_S1L_EUlS1K_E_NS1_11comp_targetILNS1_3genE2ELNS1_11target_archE906ELNS1_3gpuE6ELNS1_3repE0EEENS1_30default_config_static_selectorELNS0_4arch9wavefront6targetE0EEEvSY_,comdat
	.globl	_ZN7rocprim17ROCPRIM_400000_NS6detail17trampoline_kernelINS0_13select_configILj256ELj13ELNS0_17block_load_methodE3ELS4_3ELS4_3ELNS0_20block_scan_algorithmE0ELj4294967295EEENS1_25partition_config_selectorILNS1_17partition_subalgoE3EjNS0_10empty_typeEbEEZZNS1_14partition_implILS8_3ELb0ES6_jNS0_17counting_iteratorIjlEEPS9_SE_NS0_5tupleIJPjSE_EEENSF_IJSE_SE_EEES9_SG_JZNS1_25segmented_radix_sort_implINS0_14default_configELb1EPKbPbPKlPlN2at6native12_GLOBAL__N_18offset_tEEE10hipError_tPvRmT1_PNSt15iterator_traitsISY_E10value_typeET2_T3_PNSZ_IS14_E10value_typeET4_jRbjT5_S1A_jjP12ihipStream_tbEUljE_EEESV_SW_SX_S14_S18_S1A_T6_T7_T9_mT8_S1C_bDpT10_ENKUlT_T0_E_clISt17integral_constantIbLb1EES1P_EEDaS1K_S1L_EUlS1K_E_NS1_11comp_targetILNS1_3genE2ELNS1_11target_archE906ELNS1_3gpuE6ELNS1_3repE0EEENS1_30default_config_static_selectorELNS0_4arch9wavefront6targetE0EEEvSY_ ; -- Begin function _ZN7rocprim17ROCPRIM_400000_NS6detail17trampoline_kernelINS0_13select_configILj256ELj13ELNS0_17block_load_methodE3ELS4_3ELS4_3ELNS0_20block_scan_algorithmE0ELj4294967295EEENS1_25partition_config_selectorILNS1_17partition_subalgoE3EjNS0_10empty_typeEbEEZZNS1_14partition_implILS8_3ELb0ES6_jNS0_17counting_iteratorIjlEEPS9_SE_NS0_5tupleIJPjSE_EEENSF_IJSE_SE_EEES9_SG_JZNS1_25segmented_radix_sort_implINS0_14default_configELb1EPKbPbPKlPlN2at6native12_GLOBAL__N_18offset_tEEE10hipError_tPvRmT1_PNSt15iterator_traitsISY_E10value_typeET2_T3_PNSZ_IS14_E10value_typeET4_jRbjT5_S1A_jjP12ihipStream_tbEUljE_EEESV_SW_SX_S14_S18_S1A_T6_T7_T9_mT8_S1C_bDpT10_ENKUlT_T0_E_clISt17integral_constantIbLb1EES1P_EEDaS1K_S1L_EUlS1K_E_NS1_11comp_targetILNS1_3genE2ELNS1_11target_archE906ELNS1_3gpuE6ELNS1_3repE0EEENS1_30default_config_static_selectorELNS0_4arch9wavefront6targetE0EEEvSY_
	.p2align	8
	.type	_ZN7rocprim17ROCPRIM_400000_NS6detail17trampoline_kernelINS0_13select_configILj256ELj13ELNS0_17block_load_methodE3ELS4_3ELS4_3ELNS0_20block_scan_algorithmE0ELj4294967295EEENS1_25partition_config_selectorILNS1_17partition_subalgoE3EjNS0_10empty_typeEbEEZZNS1_14partition_implILS8_3ELb0ES6_jNS0_17counting_iteratorIjlEEPS9_SE_NS0_5tupleIJPjSE_EEENSF_IJSE_SE_EEES9_SG_JZNS1_25segmented_radix_sort_implINS0_14default_configELb1EPKbPbPKlPlN2at6native12_GLOBAL__N_18offset_tEEE10hipError_tPvRmT1_PNSt15iterator_traitsISY_E10value_typeET2_T3_PNSZ_IS14_E10value_typeET4_jRbjT5_S1A_jjP12ihipStream_tbEUljE_EEESV_SW_SX_S14_S18_S1A_T6_T7_T9_mT8_S1C_bDpT10_ENKUlT_T0_E_clISt17integral_constantIbLb1EES1P_EEDaS1K_S1L_EUlS1K_E_NS1_11comp_targetILNS1_3genE2ELNS1_11target_archE906ELNS1_3gpuE6ELNS1_3repE0EEENS1_30default_config_static_selectorELNS0_4arch9wavefront6targetE0EEEvSY_,@function
_ZN7rocprim17ROCPRIM_400000_NS6detail17trampoline_kernelINS0_13select_configILj256ELj13ELNS0_17block_load_methodE3ELS4_3ELS4_3ELNS0_20block_scan_algorithmE0ELj4294967295EEENS1_25partition_config_selectorILNS1_17partition_subalgoE3EjNS0_10empty_typeEbEEZZNS1_14partition_implILS8_3ELb0ES6_jNS0_17counting_iteratorIjlEEPS9_SE_NS0_5tupleIJPjSE_EEENSF_IJSE_SE_EEES9_SG_JZNS1_25segmented_radix_sort_implINS0_14default_configELb1EPKbPbPKlPlN2at6native12_GLOBAL__N_18offset_tEEE10hipError_tPvRmT1_PNSt15iterator_traitsISY_E10value_typeET2_T3_PNSZ_IS14_E10value_typeET4_jRbjT5_S1A_jjP12ihipStream_tbEUljE_EEESV_SW_SX_S14_S18_S1A_T6_T7_T9_mT8_S1C_bDpT10_ENKUlT_T0_E_clISt17integral_constantIbLb1EES1P_EEDaS1K_S1L_EUlS1K_E_NS1_11comp_targetILNS1_3genE2ELNS1_11target_archE906ELNS1_3gpuE6ELNS1_3repE0EEENS1_30default_config_static_selectorELNS0_4arch9wavefront6targetE0EEEvSY_: ; @_ZN7rocprim17ROCPRIM_400000_NS6detail17trampoline_kernelINS0_13select_configILj256ELj13ELNS0_17block_load_methodE3ELS4_3ELS4_3ELNS0_20block_scan_algorithmE0ELj4294967295EEENS1_25partition_config_selectorILNS1_17partition_subalgoE3EjNS0_10empty_typeEbEEZZNS1_14partition_implILS8_3ELb0ES6_jNS0_17counting_iteratorIjlEEPS9_SE_NS0_5tupleIJPjSE_EEENSF_IJSE_SE_EEES9_SG_JZNS1_25segmented_radix_sort_implINS0_14default_configELb1EPKbPbPKlPlN2at6native12_GLOBAL__N_18offset_tEEE10hipError_tPvRmT1_PNSt15iterator_traitsISY_E10value_typeET2_T3_PNSZ_IS14_E10value_typeET4_jRbjT5_S1A_jjP12ihipStream_tbEUljE_EEESV_SW_SX_S14_S18_S1A_T6_T7_T9_mT8_S1C_bDpT10_ENKUlT_T0_E_clISt17integral_constantIbLb1EES1P_EEDaS1K_S1L_EUlS1K_E_NS1_11comp_targetILNS1_3genE2ELNS1_11target_archE906ELNS1_3gpuE6ELNS1_3repE0EEENS1_30default_config_static_selectorELNS0_4arch9wavefront6targetE0EEEvSY_
; %bb.0:
	.section	.rodata,"a",@progbits
	.p2align	6, 0x0
	.amdhsa_kernel _ZN7rocprim17ROCPRIM_400000_NS6detail17trampoline_kernelINS0_13select_configILj256ELj13ELNS0_17block_load_methodE3ELS4_3ELS4_3ELNS0_20block_scan_algorithmE0ELj4294967295EEENS1_25partition_config_selectorILNS1_17partition_subalgoE3EjNS0_10empty_typeEbEEZZNS1_14partition_implILS8_3ELb0ES6_jNS0_17counting_iteratorIjlEEPS9_SE_NS0_5tupleIJPjSE_EEENSF_IJSE_SE_EEES9_SG_JZNS1_25segmented_radix_sort_implINS0_14default_configELb1EPKbPbPKlPlN2at6native12_GLOBAL__N_18offset_tEEE10hipError_tPvRmT1_PNSt15iterator_traitsISY_E10value_typeET2_T3_PNSZ_IS14_E10value_typeET4_jRbjT5_S1A_jjP12ihipStream_tbEUljE_EEESV_SW_SX_S14_S18_S1A_T6_T7_T9_mT8_S1C_bDpT10_ENKUlT_T0_E_clISt17integral_constantIbLb1EES1P_EEDaS1K_S1L_EUlS1K_E_NS1_11comp_targetILNS1_3genE2ELNS1_11target_archE906ELNS1_3gpuE6ELNS1_3repE0EEENS1_30default_config_static_selectorELNS0_4arch9wavefront6targetE0EEEvSY_
		.amdhsa_group_segment_fixed_size 0
		.amdhsa_private_segment_fixed_size 0
		.amdhsa_kernarg_size 152
		.amdhsa_user_sgpr_count 6
		.amdhsa_user_sgpr_private_segment_buffer 1
		.amdhsa_user_sgpr_dispatch_ptr 0
		.amdhsa_user_sgpr_queue_ptr 0
		.amdhsa_user_sgpr_kernarg_segment_ptr 1
		.amdhsa_user_sgpr_dispatch_id 0
		.amdhsa_user_sgpr_flat_scratch_init 0
		.amdhsa_user_sgpr_private_segment_size 0
		.amdhsa_wavefront_size32 1
		.amdhsa_uses_dynamic_stack 0
		.amdhsa_system_sgpr_private_segment_wavefront_offset 0
		.amdhsa_system_sgpr_workgroup_id_x 1
		.amdhsa_system_sgpr_workgroup_id_y 0
		.amdhsa_system_sgpr_workgroup_id_z 0
		.amdhsa_system_sgpr_workgroup_info 0
		.amdhsa_system_vgpr_workitem_id 0
		.amdhsa_next_free_vgpr 1
		.amdhsa_next_free_sgpr 1
		.amdhsa_reserve_vcc 0
		.amdhsa_reserve_flat_scratch 0
		.amdhsa_float_round_mode_32 0
		.amdhsa_float_round_mode_16_64 0
		.amdhsa_float_denorm_mode_32 3
		.amdhsa_float_denorm_mode_16_64 3
		.amdhsa_dx10_clamp 1
		.amdhsa_ieee_mode 1
		.amdhsa_fp16_overflow 0
		.amdhsa_workgroup_processor_mode 1
		.amdhsa_memory_ordered 1
		.amdhsa_forward_progress 1
		.amdhsa_shared_vgpr_count 0
		.amdhsa_exception_fp_ieee_invalid_op 0
		.amdhsa_exception_fp_denorm_src 0
		.amdhsa_exception_fp_ieee_div_zero 0
		.amdhsa_exception_fp_ieee_overflow 0
		.amdhsa_exception_fp_ieee_underflow 0
		.amdhsa_exception_fp_ieee_inexact 0
		.amdhsa_exception_int_div_zero 0
	.end_amdhsa_kernel
	.section	.text._ZN7rocprim17ROCPRIM_400000_NS6detail17trampoline_kernelINS0_13select_configILj256ELj13ELNS0_17block_load_methodE3ELS4_3ELS4_3ELNS0_20block_scan_algorithmE0ELj4294967295EEENS1_25partition_config_selectorILNS1_17partition_subalgoE3EjNS0_10empty_typeEbEEZZNS1_14partition_implILS8_3ELb0ES6_jNS0_17counting_iteratorIjlEEPS9_SE_NS0_5tupleIJPjSE_EEENSF_IJSE_SE_EEES9_SG_JZNS1_25segmented_radix_sort_implINS0_14default_configELb1EPKbPbPKlPlN2at6native12_GLOBAL__N_18offset_tEEE10hipError_tPvRmT1_PNSt15iterator_traitsISY_E10value_typeET2_T3_PNSZ_IS14_E10value_typeET4_jRbjT5_S1A_jjP12ihipStream_tbEUljE_EEESV_SW_SX_S14_S18_S1A_T6_T7_T9_mT8_S1C_bDpT10_ENKUlT_T0_E_clISt17integral_constantIbLb1EES1P_EEDaS1K_S1L_EUlS1K_E_NS1_11comp_targetILNS1_3genE2ELNS1_11target_archE906ELNS1_3gpuE6ELNS1_3repE0EEENS1_30default_config_static_selectorELNS0_4arch9wavefront6targetE0EEEvSY_,"axG",@progbits,_ZN7rocprim17ROCPRIM_400000_NS6detail17trampoline_kernelINS0_13select_configILj256ELj13ELNS0_17block_load_methodE3ELS4_3ELS4_3ELNS0_20block_scan_algorithmE0ELj4294967295EEENS1_25partition_config_selectorILNS1_17partition_subalgoE3EjNS0_10empty_typeEbEEZZNS1_14partition_implILS8_3ELb0ES6_jNS0_17counting_iteratorIjlEEPS9_SE_NS0_5tupleIJPjSE_EEENSF_IJSE_SE_EEES9_SG_JZNS1_25segmented_radix_sort_implINS0_14default_configELb1EPKbPbPKlPlN2at6native12_GLOBAL__N_18offset_tEEE10hipError_tPvRmT1_PNSt15iterator_traitsISY_E10value_typeET2_T3_PNSZ_IS14_E10value_typeET4_jRbjT5_S1A_jjP12ihipStream_tbEUljE_EEESV_SW_SX_S14_S18_S1A_T6_T7_T9_mT8_S1C_bDpT10_ENKUlT_T0_E_clISt17integral_constantIbLb1EES1P_EEDaS1K_S1L_EUlS1K_E_NS1_11comp_targetILNS1_3genE2ELNS1_11target_archE906ELNS1_3gpuE6ELNS1_3repE0EEENS1_30default_config_static_selectorELNS0_4arch9wavefront6targetE0EEEvSY_,comdat
.Lfunc_end1504:
	.size	_ZN7rocprim17ROCPRIM_400000_NS6detail17trampoline_kernelINS0_13select_configILj256ELj13ELNS0_17block_load_methodE3ELS4_3ELS4_3ELNS0_20block_scan_algorithmE0ELj4294967295EEENS1_25partition_config_selectorILNS1_17partition_subalgoE3EjNS0_10empty_typeEbEEZZNS1_14partition_implILS8_3ELb0ES6_jNS0_17counting_iteratorIjlEEPS9_SE_NS0_5tupleIJPjSE_EEENSF_IJSE_SE_EEES9_SG_JZNS1_25segmented_radix_sort_implINS0_14default_configELb1EPKbPbPKlPlN2at6native12_GLOBAL__N_18offset_tEEE10hipError_tPvRmT1_PNSt15iterator_traitsISY_E10value_typeET2_T3_PNSZ_IS14_E10value_typeET4_jRbjT5_S1A_jjP12ihipStream_tbEUljE_EEESV_SW_SX_S14_S18_S1A_T6_T7_T9_mT8_S1C_bDpT10_ENKUlT_T0_E_clISt17integral_constantIbLb1EES1P_EEDaS1K_S1L_EUlS1K_E_NS1_11comp_targetILNS1_3genE2ELNS1_11target_archE906ELNS1_3gpuE6ELNS1_3repE0EEENS1_30default_config_static_selectorELNS0_4arch9wavefront6targetE0EEEvSY_, .Lfunc_end1504-_ZN7rocprim17ROCPRIM_400000_NS6detail17trampoline_kernelINS0_13select_configILj256ELj13ELNS0_17block_load_methodE3ELS4_3ELS4_3ELNS0_20block_scan_algorithmE0ELj4294967295EEENS1_25partition_config_selectorILNS1_17partition_subalgoE3EjNS0_10empty_typeEbEEZZNS1_14partition_implILS8_3ELb0ES6_jNS0_17counting_iteratorIjlEEPS9_SE_NS0_5tupleIJPjSE_EEENSF_IJSE_SE_EEES9_SG_JZNS1_25segmented_radix_sort_implINS0_14default_configELb1EPKbPbPKlPlN2at6native12_GLOBAL__N_18offset_tEEE10hipError_tPvRmT1_PNSt15iterator_traitsISY_E10value_typeET2_T3_PNSZ_IS14_E10value_typeET4_jRbjT5_S1A_jjP12ihipStream_tbEUljE_EEESV_SW_SX_S14_S18_S1A_T6_T7_T9_mT8_S1C_bDpT10_ENKUlT_T0_E_clISt17integral_constantIbLb1EES1P_EEDaS1K_S1L_EUlS1K_E_NS1_11comp_targetILNS1_3genE2ELNS1_11target_archE906ELNS1_3gpuE6ELNS1_3repE0EEENS1_30default_config_static_selectorELNS0_4arch9wavefront6targetE0EEEvSY_
                                        ; -- End function
	.set _ZN7rocprim17ROCPRIM_400000_NS6detail17trampoline_kernelINS0_13select_configILj256ELj13ELNS0_17block_load_methodE3ELS4_3ELS4_3ELNS0_20block_scan_algorithmE0ELj4294967295EEENS1_25partition_config_selectorILNS1_17partition_subalgoE3EjNS0_10empty_typeEbEEZZNS1_14partition_implILS8_3ELb0ES6_jNS0_17counting_iteratorIjlEEPS9_SE_NS0_5tupleIJPjSE_EEENSF_IJSE_SE_EEES9_SG_JZNS1_25segmented_radix_sort_implINS0_14default_configELb1EPKbPbPKlPlN2at6native12_GLOBAL__N_18offset_tEEE10hipError_tPvRmT1_PNSt15iterator_traitsISY_E10value_typeET2_T3_PNSZ_IS14_E10value_typeET4_jRbjT5_S1A_jjP12ihipStream_tbEUljE_EEESV_SW_SX_S14_S18_S1A_T6_T7_T9_mT8_S1C_bDpT10_ENKUlT_T0_E_clISt17integral_constantIbLb1EES1P_EEDaS1K_S1L_EUlS1K_E_NS1_11comp_targetILNS1_3genE2ELNS1_11target_archE906ELNS1_3gpuE6ELNS1_3repE0EEENS1_30default_config_static_selectorELNS0_4arch9wavefront6targetE0EEEvSY_.num_vgpr, 0
	.set _ZN7rocprim17ROCPRIM_400000_NS6detail17trampoline_kernelINS0_13select_configILj256ELj13ELNS0_17block_load_methodE3ELS4_3ELS4_3ELNS0_20block_scan_algorithmE0ELj4294967295EEENS1_25partition_config_selectorILNS1_17partition_subalgoE3EjNS0_10empty_typeEbEEZZNS1_14partition_implILS8_3ELb0ES6_jNS0_17counting_iteratorIjlEEPS9_SE_NS0_5tupleIJPjSE_EEENSF_IJSE_SE_EEES9_SG_JZNS1_25segmented_radix_sort_implINS0_14default_configELb1EPKbPbPKlPlN2at6native12_GLOBAL__N_18offset_tEEE10hipError_tPvRmT1_PNSt15iterator_traitsISY_E10value_typeET2_T3_PNSZ_IS14_E10value_typeET4_jRbjT5_S1A_jjP12ihipStream_tbEUljE_EEESV_SW_SX_S14_S18_S1A_T6_T7_T9_mT8_S1C_bDpT10_ENKUlT_T0_E_clISt17integral_constantIbLb1EES1P_EEDaS1K_S1L_EUlS1K_E_NS1_11comp_targetILNS1_3genE2ELNS1_11target_archE906ELNS1_3gpuE6ELNS1_3repE0EEENS1_30default_config_static_selectorELNS0_4arch9wavefront6targetE0EEEvSY_.num_agpr, 0
	.set _ZN7rocprim17ROCPRIM_400000_NS6detail17trampoline_kernelINS0_13select_configILj256ELj13ELNS0_17block_load_methodE3ELS4_3ELS4_3ELNS0_20block_scan_algorithmE0ELj4294967295EEENS1_25partition_config_selectorILNS1_17partition_subalgoE3EjNS0_10empty_typeEbEEZZNS1_14partition_implILS8_3ELb0ES6_jNS0_17counting_iteratorIjlEEPS9_SE_NS0_5tupleIJPjSE_EEENSF_IJSE_SE_EEES9_SG_JZNS1_25segmented_radix_sort_implINS0_14default_configELb1EPKbPbPKlPlN2at6native12_GLOBAL__N_18offset_tEEE10hipError_tPvRmT1_PNSt15iterator_traitsISY_E10value_typeET2_T3_PNSZ_IS14_E10value_typeET4_jRbjT5_S1A_jjP12ihipStream_tbEUljE_EEESV_SW_SX_S14_S18_S1A_T6_T7_T9_mT8_S1C_bDpT10_ENKUlT_T0_E_clISt17integral_constantIbLb1EES1P_EEDaS1K_S1L_EUlS1K_E_NS1_11comp_targetILNS1_3genE2ELNS1_11target_archE906ELNS1_3gpuE6ELNS1_3repE0EEENS1_30default_config_static_selectorELNS0_4arch9wavefront6targetE0EEEvSY_.numbered_sgpr, 0
	.set _ZN7rocprim17ROCPRIM_400000_NS6detail17trampoline_kernelINS0_13select_configILj256ELj13ELNS0_17block_load_methodE3ELS4_3ELS4_3ELNS0_20block_scan_algorithmE0ELj4294967295EEENS1_25partition_config_selectorILNS1_17partition_subalgoE3EjNS0_10empty_typeEbEEZZNS1_14partition_implILS8_3ELb0ES6_jNS0_17counting_iteratorIjlEEPS9_SE_NS0_5tupleIJPjSE_EEENSF_IJSE_SE_EEES9_SG_JZNS1_25segmented_radix_sort_implINS0_14default_configELb1EPKbPbPKlPlN2at6native12_GLOBAL__N_18offset_tEEE10hipError_tPvRmT1_PNSt15iterator_traitsISY_E10value_typeET2_T3_PNSZ_IS14_E10value_typeET4_jRbjT5_S1A_jjP12ihipStream_tbEUljE_EEESV_SW_SX_S14_S18_S1A_T6_T7_T9_mT8_S1C_bDpT10_ENKUlT_T0_E_clISt17integral_constantIbLb1EES1P_EEDaS1K_S1L_EUlS1K_E_NS1_11comp_targetILNS1_3genE2ELNS1_11target_archE906ELNS1_3gpuE6ELNS1_3repE0EEENS1_30default_config_static_selectorELNS0_4arch9wavefront6targetE0EEEvSY_.num_named_barrier, 0
	.set _ZN7rocprim17ROCPRIM_400000_NS6detail17trampoline_kernelINS0_13select_configILj256ELj13ELNS0_17block_load_methodE3ELS4_3ELS4_3ELNS0_20block_scan_algorithmE0ELj4294967295EEENS1_25partition_config_selectorILNS1_17partition_subalgoE3EjNS0_10empty_typeEbEEZZNS1_14partition_implILS8_3ELb0ES6_jNS0_17counting_iteratorIjlEEPS9_SE_NS0_5tupleIJPjSE_EEENSF_IJSE_SE_EEES9_SG_JZNS1_25segmented_radix_sort_implINS0_14default_configELb1EPKbPbPKlPlN2at6native12_GLOBAL__N_18offset_tEEE10hipError_tPvRmT1_PNSt15iterator_traitsISY_E10value_typeET2_T3_PNSZ_IS14_E10value_typeET4_jRbjT5_S1A_jjP12ihipStream_tbEUljE_EEESV_SW_SX_S14_S18_S1A_T6_T7_T9_mT8_S1C_bDpT10_ENKUlT_T0_E_clISt17integral_constantIbLb1EES1P_EEDaS1K_S1L_EUlS1K_E_NS1_11comp_targetILNS1_3genE2ELNS1_11target_archE906ELNS1_3gpuE6ELNS1_3repE0EEENS1_30default_config_static_selectorELNS0_4arch9wavefront6targetE0EEEvSY_.private_seg_size, 0
	.set _ZN7rocprim17ROCPRIM_400000_NS6detail17trampoline_kernelINS0_13select_configILj256ELj13ELNS0_17block_load_methodE3ELS4_3ELS4_3ELNS0_20block_scan_algorithmE0ELj4294967295EEENS1_25partition_config_selectorILNS1_17partition_subalgoE3EjNS0_10empty_typeEbEEZZNS1_14partition_implILS8_3ELb0ES6_jNS0_17counting_iteratorIjlEEPS9_SE_NS0_5tupleIJPjSE_EEENSF_IJSE_SE_EEES9_SG_JZNS1_25segmented_radix_sort_implINS0_14default_configELb1EPKbPbPKlPlN2at6native12_GLOBAL__N_18offset_tEEE10hipError_tPvRmT1_PNSt15iterator_traitsISY_E10value_typeET2_T3_PNSZ_IS14_E10value_typeET4_jRbjT5_S1A_jjP12ihipStream_tbEUljE_EEESV_SW_SX_S14_S18_S1A_T6_T7_T9_mT8_S1C_bDpT10_ENKUlT_T0_E_clISt17integral_constantIbLb1EES1P_EEDaS1K_S1L_EUlS1K_E_NS1_11comp_targetILNS1_3genE2ELNS1_11target_archE906ELNS1_3gpuE6ELNS1_3repE0EEENS1_30default_config_static_selectorELNS0_4arch9wavefront6targetE0EEEvSY_.uses_vcc, 0
	.set _ZN7rocprim17ROCPRIM_400000_NS6detail17trampoline_kernelINS0_13select_configILj256ELj13ELNS0_17block_load_methodE3ELS4_3ELS4_3ELNS0_20block_scan_algorithmE0ELj4294967295EEENS1_25partition_config_selectorILNS1_17partition_subalgoE3EjNS0_10empty_typeEbEEZZNS1_14partition_implILS8_3ELb0ES6_jNS0_17counting_iteratorIjlEEPS9_SE_NS0_5tupleIJPjSE_EEENSF_IJSE_SE_EEES9_SG_JZNS1_25segmented_radix_sort_implINS0_14default_configELb1EPKbPbPKlPlN2at6native12_GLOBAL__N_18offset_tEEE10hipError_tPvRmT1_PNSt15iterator_traitsISY_E10value_typeET2_T3_PNSZ_IS14_E10value_typeET4_jRbjT5_S1A_jjP12ihipStream_tbEUljE_EEESV_SW_SX_S14_S18_S1A_T6_T7_T9_mT8_S1C_bDpT10_ENKUlT_T0_E_clISt17integral_constantIbLb1EES1P_EEDaS1K_S1L_EUlS1K_E_NS1_11comp_targetILNS1_3genE2ELNS1_11target_archE906ELNS1_3gpuE6ELNS1_3repE0EEENS1_30default_config_static_selectorELNS0_4arch9wavefront6targetE0EEEvSY_.uses_flat_scratch, 0
	.set _ZN7rocprim17ROCPRIM_400000_NS6detail17trampoline_kernelINS0_13select_configILj256ELj13ELNS0_17block_load_methodE3ELS4_3ELS4_3ELNS0_20block_scan_algorithmE0ELj4294967295EEENS1_25partition_config_selectorILNS1_17partition_subalgoE3EjNS0_10empty_typeEbEEZZNS1_14partition_implILS8_3ELb0ES6_jNS0_17counting_iteratorIjlEEPS9_SE_NS0_5tupleIJPjSE_EEENSF_IJSE_SE_EEES9_SG_JZNS1_25segmented_radix_sort_implINS0_14default_configELb1EPKbPbPKlPlN2at6native12_GLOBAL__N_18offset_tEEE10hipError_tPvRmT1_PNSt15iterator_traitsISY_E10value_typeET2_T3_PNSZ_IS14_E10value_typeET4_jRbjT5_S1A_jjP12ihipStream_tbEUljE_EEESV_SW_SX_S14_S18_S1A_T6_T7_T9_mT8_S1C_bDpT10_ENKUlT_T0_E_clISt17integral_constantIbLb1EES1P_EEDaS1K_S1L_EUlS1K_E_NS1_11comp_targetILNS1_3genE2ELNS1_11target_archE906ELNS1_3gpuE6ELNS1_3repE0EEENS1_30default_config_static_selectorELNS0_4arch9wavefront6targetE0EEEvSY_.has_dyn_sized_stack, 0
	.set _ZN7rocprim17ROCPRIM_400000_NS6detail17trampoline_kernelINS0_13select_configILj256ELj13ELNS0_17block_load_methodE3ELS4_3ELS4_3ELNS0_20block_scan_algorithmE0ELj4294967295EEENS1_25partition_config_selectorILNS1_17partition_subalgoE3EjNS0_10empty_typeEbEEZZNS1_14partition_implILS8_3ELb0ES6_jNS0_17counting_iteratorIjlEEPS9_SE_NS0_5tupleIJPjSE_EEENSF_IJSE_SE_EEES9_SG_JZNS1_25segmented_radix_sort_implINS0_14default_configELb1EPKbPbPKlPlN2at6native12_GLOBAL__N_18offset_tEEE10hipError_tPvRmT1_PNSt15iterator_traitsISY_E10value_typeET2_T3_PNSZ_IS14_E10value_typeET4_jRbjT5_S1A_jjP12ihipStream_tbEUljE_EEESV_SW_SX_S14_S18_S1A_T6_T7_T9_mT8_S1C_bDpT10_ENKUlT_T0_E_clISt17integral_constantIbLb1EES1P_EEDaS1K_S1L_EUlS1K_E_NS1_11comp_targetILNS1_3genE2ELNS1_11target_archE906ELNS1_3gpuE6ELNS1_3repE0EEENS1_30default_config_static_selectorELNS0_4arch9wavefront6targetE0EEEvSY_.has_recursion, 0
	.set _ZN7rocprim17ROCPRIM_400000_NS6detail17trampoline_kernelINS0_13select_configILj256ELj13ELNS0_17block_load_methodE3ELS4_3ELS4_3ELNS0_20block_scan_algorithmE0ELj4294967295EEENS1_25partition_config_selectorILNS1_17partition_subalgoE3EjNS0_10empty_typeEbEEZZNS1_14partition_implILS8_3ELb0ES6_jNS0_17counting_iteratorIjlEEPS9_SE_NS0_5tupleIJPjSE_EEENSF_IJSE_SE_EEES9_SG_JZNS1_25segmented_radix_sort_implINS0_14default_configELb1EPKbPbPKlPlN2at6native12_GLOBAL__N_18offset_tEEE10hipError_tPvRmT1_PNSt15iterator_traitsISY_E10value_typeET2_T3_PNSZ_IS14_E10value_typeET4_jRbjT5_S1A_jjP12ihipStream_tbEUljE_EEESV_SW_SX_S14_S18_S1A_T6_T7_T9_mT8_S1C_bDpT10_ENKUlT_T0_E_clISt17integral_constantIbLb1EES1P_EEDaS1K_S1L_EUlS1K_E_NS1_11comp_targetILNS1_3genE2ELNS1_11target_archE906ELNS1_3gpuE6ELNS1_3repE0EEENS1_30default_config_static_selectorELNS0_4arch9wavefront6targetE0EEEvSY_.has_indirect_call, 0
	.section	.AMDGPU.csdata,"",@progbits
; Kernel info:
; codeLenInByte = 0
; TotalNumSgprs: 0
; NumVgprs: 0
; ScratchSize: 0
; MemoryBound: 0
; FloatMode: 240
; IeeeMode: 1
; LDSByteSize: 0 bytes/workgroup (compile time only)
; SGPRBlocks: 0
; VGPRBlocks: 0
; NumSGPRsForWavesPerEU: 1
; NumVGPRsForWavesPerEU: 1
; Occupancy: 16
; WaveLimiterHint : 0
; COMPUTE_PGM_RSRC2:SCRATCH_EN: 0
; COMPUTE_PGM_RSRC2:USER_SGPR: 6
; COMPUTE_PGM_RSRC2:TRAP_HANDLER: 0
; COMPUTE_PGM_RSRC2:TGID_X_EN: 1
; COMPUTE_PGM_RSRC2:TGID_Y_EN: 0
; COMPUTE_PGM_RSRC2:TGID_Z_EN: 0
; COMPUTE_PGM_RSRC2:TIDIG_COMP_CNT: 0
	.section	.text._ZN7rocprim17ROCPRIM_400000_NS6detail17trampoline_kernelINS0_13select_configILj256ELj13ELNS0_17block_load_methodE3ELS4_3ELS4_3ELNS0_20block_scan_algorithmE0ELj4294967295EEENS1_25partition_config_selectorILNS1_17partition_subalgoE3EjNS0_10empty_typeEbEEZZNS1_14partition_implILS8_3ELb0ES6_jNS0_17counting_iteratorIjlEEPS9_SE_NS0_5tupleIJPjSE_EEENSF_IJSE_SE_EEES9_SG_JZNS1_25segmented_radix_sort_implINS0_14default_configELb1EPKbPbPKlPlN2at6native12_GLOBAL__N_18offset_tEEE10hipError_tPvRmT1_PNSt15iterator_traitsISY_E10value_typeET2_T3_PNSZ_IS14_E10value_typeET4_jRbjT5_S1A_jjP12ihipStream_tbEUljE_EEESV_SW_SX_S14_S18_S1A_T6_T7_T9_mT8_S1C_bDpT10_ENKUlT_T0_E_clISt17integral_constantIbLb1EES1P_EEDaS1K_S1L_EUlS1K_E_NS1_11comp_targetILNS1_3genE10ELNS1_11target_archE1200ELNS1_3gpuE4ELNS1_3repE0EEENS1_30default_config_static_selectorELNS0_4arch9wavefront6targetE0EEEvSY_,"axG",@progbits,_ZN7rocprim17ROCPRIM_400000_NS6detail17trampoline_kernelINS0_13select_configILj256ELj13ELNS0_17block_load_methodE3ELS4_3ELS4_3ELNS0_20block_scan_algorithmE0ELj4294967295EEENS1_25partition_config_selectorILNS1_17partition_subalgoE3EjNS0_10empty_typeEbEEZZNS1_14partition_implILS8_3ELb0ES6_jNS0_17counting_iteratorIjlEEPS9_SE_NS0_5tupleIJPjSE_EEENSF_IJSE_SE_EEES9_SG_JZNS1_25segmented_radix_sort_implINS0_14default_configELb1EPKbPbPKlPlN2at6native12_GLOBAL__N_18offset_tEEE10hipError_tPvRmT1_PNSt15iterator_traitsISY_E10value_typeET2_T3_PNSZ_IS14_E10value_typeET4_jRbjT5_S1A_jjP12ihipStream_tbEUljE_EEESV_SW_SX_S14_S18_S1A_T6_T7_T9_mT8_S1C_bDpT10_ENKUlT_T0_E_clISt17integral_constantIbLb1EES1P_EEDaS1K_S1L_EUlS1K_E_NS1_11comp_targetILNS1_3genE10ELNS1_11target_archE1200ELNS1_3gpuE4ELNS1_3repE0EEENS1_30default_config_static_selectorELNS0_4arch9wavefront6targetE0EEEvSY_,comdat
	.globl	_ZN7rocprim17ROCPRIM_400000_NS6detail17trampoline_kernelINS0_13select_configILj256ELj13ELNS0_17block_load_methodE3ELS4_3ELS4_3ELNS0_20block_scan_algorithmE0ELj4294967295EEENS1_25partition_config_selectorILNS1_17partition_subalgoE3EjNS0_10empty_typeEbEEZZNS1_14partition_implILS8_3ELb0ES6_jNS0_17counting_iteratorIjlEEPS9_SE_NS0_5tupleIJPjSE_EEENSF_IJSE_SE_EEES9_SG_JZNS1_25segmented_radix_sort_implINS0_14default_configELb1EPKbPbPKlPlN2at6native12_GLOBAL__N_18offset_tEEE10hipError_tPvRmT1_PNSt15iterator_traitsISY_E10value_typeET2_T3_PNSZ_IS14_E10value_typeET4_jRbjT5_S1A_jjP12ihipStream_tbEUljE_EEESV_SW_SX_S14_S18_S1A_T6_T7_T9_mT8_S1C_bDpT10_ENKUlT_T0_E_clISt17integral_constantIbLb1EES1P_EEDaS1K_S1L_EUlS1K_E_NS1_11comp_targetILNS1_3genE10ELNS1_11target_archE1200ELNS1_3gpuE4ELNS1_3repE0EEENS1_30default_config_static_selectorELNS0_4arch9wavefront6targetE0EEEvSY_ ; -- Begin function _ZN7rocprim17ROCPRIM_400000_NS6detail17trampoline_kernelINS0_13select_configILj256ELj13ELNS0_17block_load_methodE3ELS4_3ELS4_3ELNS0_20block_scan_algorithmE0ELj4294967295EEENS1_25partition_config_selectorILNS1_17partition_subalgoE3EjNS0_10empty_typeEbEEZZNS1_14partition_implILS8_3ELb0ES6_jNS0_17counting_iteratorIjlEEPS9_SE_NS0_5tupleIJPjSE_EEENSF_IJSE_SE_EEES9_SG_JZNS1_25segmented_radix_sort_implINS0_14default_configELb1EPKbPbPKlPlN2at6native12_GLOBAL__N_18offset_tEEE10hipError_tPvRmT1_PNSt15iterator_traitsISY_E10value_typeET2_T3_PNSZ_IS14_E10value_typeET4_jRbjT5_S1A_jjP12ihipStream_tbEUljE_EEESV_SW_SX_S14_S18_S1A_T6_T7_T9_mT8_S1C_bDpT10_ENKUlT_T0_E_clISt17integral_constantIbLb1EES1P_EEDaS1K_S1L_EUlS1K_E_NS1_11comp_targetILNS1_3genE10ELNS1_11target_archE1200ELNS1_3gpuE4ELNS1_3repE0EEENS1_30default_config_static_selectorELNS0_4arch9wavefront6targetE0EEEvSY_
	.p2align	8
	.type	_ZN7rocprim17ROCPRIM_400000_NS6detail17trampoline_kernelINS0_13select_configILj256ELj13ELNS0_17block_load_methodE3ELS4_3ELS4_3ELNS0_20block_scan_algorithmE0ELj4294967295EEENS1_25partition_config_selectorILNS1_17partition_subalgoE3EjNS0_10empty_typeEbEEZZNS1_14partition_implILS8_3ELb0ES6_jNS0_17counting_iteratorIjlEEPS9_SE_NS0_5tupleIJPjSE_EEENSF_IJSE_SE_EEES9_SG_JZNS1_25segmented_radix_sort_implINS0_14default_configELb1EPKbPbPKlPlN2at6native12_GLOBAL__N_18offset_tEEE10hipError_tPvRmT1_PNSt15iterator_traitsISY_E10value_typeET2_T3_PNSZ_IS14_E10value_typeET4_jRbjT5_S1A_jjP12ihipStream_tbEUljE_EEESV_SW_SX_S14_S18_S1A_T6_T7_T9_mT8_S1C_bDpT10_ENKUlT_T0_E_clISt17integral_constantIbLb1EES1P_EEDaS1K_S1L_EUlS1K_E_NS1_11comp_targetILNS1_3genE10ELNS1_11target_archE1200ELNS1_3gpuE4ELNS1_3repE0EEENS1_30default_config_static_selectorELNS0_4arch9wavefront6targetE0EEEvSY_,@function
_ZN7rocprim17ROCPRIM_400000_NS6detail17trampoline_kernelINS0_13select_configILj256ELj13ELNS0_17block_load_methodE3ELS4_3ELS4_3ELNS0_20block_scan_algorithmE0ELj4294967295EEENS1_25partition_config_selectorILNS1_17partition_subalgoE3EjNS0_10empty_typeEbEEZZNS1_14partition_implILS8_3ELb0ES6_jNS0_17counting_iteratorIjlEEPS9_SE_NS0_5tupleIJPjSE_EEENSF_IJSE_SE_EEES9_SG_JZNS1_25segmented_radix_sort_implINS0_14default_configELb1EPKbPbPKlPlN2at6native12_GLOBAL__N_18offset_tEEE10hipError_tPvRmT1_PNSt15iterator_traitsISY_E10value_typeET2_T3_PNSZ_IS14_E10value_typeET4_jRbjT5_S1A_jjP12ihipStream_tbEUljE_EEESV_SW_SX_S14_S18_S1A_T6_T7_T9_mT8_S1C_bDpT10_ENKUlT_T0_E_clISt17integral_constantIbLb1EES1P_EEDaS1K_S1L_EUlS1K_E_NS1_11comp_targetILNS1_3genE10ELNS1_11target_archE1200ELNS1_3gpuE4ELNS1_3repE0EEENS1_30default_config_static_selectorELNS0_4arch9wavefront6targetE0EEEvSY_: ; @_ZN7rocprim17ROCPRIM_400000_NS6detail17trampoline_kernelINS0_13select_configILj256ELj13ELNS0_17block_load_methodE3ELS4_3ELS4_3ELNS0_20block_scan_algorithmE0ELj4294967295EEENS1_25partition_config_selectorILNS1_17partition_subalgoE3EjNS0_10empty_typeEbEEZZNS1_14partition_implILS8_3ELb0ES6_jNS0_17counting_iteratorIjlEEPS9_SE_NS0_5tupleIJPjSE_EEENSF_IJSE_SE_EEES9_SG_JZNS1_25segmented_radix_sort_implINS0_14default_configELb1EPKbPbPKlPlN2at6native12_GLOBAL__N_18offset_tEEE10hipError_tPvRmT1_PNSt15iterator_traitsISY_E10value_typeET2_T3_PNSZ_IS14_E10value_typeET4_jRbjT5_S1A_jjP12ihipStream_tbEUljE_EEESV_SW_SX_S14_S18_S1A_T6_T7_T9_mT8_S1C_bDpT10_ENKUlT_T0_E_clISt17integral_constantIbLb1EES1P_EEDaS1K_S1L_EUlS1K_E_NS1_11comp_targetILNS1_3genE10ELNS1_11target_archE1200ELNS1_3gpuE4ELNS1_3repE0EEENS1_30default_config_static_selectorELNS0_4arch9wavefront6targetE0EEEvSY_
; %bb.0:
	.section	.rodata,"a",@progbits
	.p2align	6, 0x0
	.amdhsa_kernel _ZN7rocprim17ROCPRIM_400000_NS6detail17trampoline_kernelINS0_13select_configILj256ELj13ELNS0_17block_load_methodE3ELS4_3ELS4_3ELNS0_20block_scan_algorithmE0ELj4294967295EEENS1_25partition_config_selectorILNS1_17partition_subalgoE3EjNS0_10empty_typeEbEEZZNS1_14partition_implILS8_3ELb0ES6_jNS0_17counting_iteratorIjlEEPS9_SE_NS0_5tupleIJPjSE_EEENSF_IJSE_SE_EEES9_SG_JZNS1_25segmented_radix_sort_implINS0_14default_configELb1EPKbPbPKlPlN2at6native12_GLOBAL__N_18offset_tEEE10hipError_tPvRmT1_PNSt15iterator_traitsISY_E10value_typeET2_T3_PNSZ_IS14_E10value_typeET4_jRbjT5_S1A_jjP12ihipStream_tbEUljE_EEESV_SW_SX_S14_S18_S1A_T6_T7_T9_mT8_S1C_bDpT10_ENKUlT_T0_E_clISt17integral_constantIbLb1EES1P_EEDaS1K_S1L_EUlS1K_E_NS1_11comp_targetILNS1_3genE10ELNS1_11target_archE1200ELNS1_3gpuE4ELNS1_3repE0EEENS1_30default_config_static_selectorELNS0_4arch9wavefront6targetE0EEEvSY_
		.amdhsa_group_segment_fixed_size 0
		.amdhsa_private_segment_fixed_size 0
		.amdhsa_kernarg_size 152
		.amdhsa_user_sgpr_count 6
		.amdhsa_user_sgpr_private_segment_buffer 1
		.amdhsa_user_sgpr_dispatch_ptr 0
		.amdhsa_user_sgpr_queue_ptr 0
		.amdhsa_user_sgpr_kernarg_segment_ptr 1
		.amdhsa_user_sgpr_dispatch_id 0
		.amdhsa_user_sgpr_flat_scratch_init 0
		.amdhsa_user_sgpr_private_segment_size 0
		.amdhsa_wavefront_size32 1
		.amdhsa_uses_dynamic_stack 0
		.amdhsa_system_sgpr_private_segment_wavefront_offset 0
		.amdhsa_system_sgpr_workgroup_id_x 1
		.amdhsa_system_sgpr_workgroup_id_y 0
		.amdhsa_system_sgpr_workgroup_id_z 0
		.amdhsa_system_sgpr_workgroup_info 0
		.amdhsa_system_vgpr_workitem_id 0
		.amdhsa_next_free_vgpr 1
		.amdhsa_next_free_sgpr 1
		.amdhsa_reserve_vcc 0
		.amdhsa_reserve_flat_scratch 0
		.amdhsa_float_round_mode_32 0
		.amdhsa_float_round_mode_16_64 0
		.amdhsa_float_denorm_mode_32 3
		.amdhsa_float_denorm_mode_16_64 3
		.amdhsa_dx10_clamp 1
		.amdhsa_ieee_mode 1
		.amdhsa_fp16_overflow 0
		.amdhsa_workgroup_processor_mode 1
		.amdhsa_memory_ordered 1
		.amdhsa_forward_progress 1
		.amdhsa_shared_vgpr_count 0
		.amdhsa_exception_fp_ieee_invalid_op 0
		.amdhsa_exception_fp_denorm_src 0
		.amdhsa_exception_fp_ieee_div_zero 0
		.amdhsa_exception_fp_ieee_overflow 0
		.amdhsa_exception_fp_ieee_underflow 0
		.amdhsa_exception_fp_ieee_inexact 0
		.amdhsa_exception_int_div_zero 0
	.end_amdhsa_kernel
	.section	.text._ZN7rocprim17ROCPRIM_400000_NS6detail17trampoline_kernelINS0_13select_configILj256ELj13ELNS0_17block_load_methodE3ELS4_3ELS4_3ELNS0_20block_scan_algorithmE0ELj4294967295EEENS1_25partition_config_selectorILNS1_17partition_subalgoE3EjNS0_10empty_typeEbEEZZNS1_14partition_implILS8_3ELb0ES6_jNS0_17counting_iteratorIjlEEPS9_SE_NS0_5tupleIJPjSE_EEENSF_IJSE_SE_EEES9_SG_JZNS1_25segmented_radix_sort_implINS0_14default_configELb1EPKbPbPKlPlN2at6native12_GLOBAL__N_18offset_tEEE10hipError_tPvRmT1_PNSt15iterator_traitsISY_E10value_typeET2_T3_PNSZ_IS14_E10value_typeET4_jRbjT5_S1A_jjP12ihipStream_tbEUljE_EEESV_SW_SX_S14_S18_S1A_T6_T7_T9_mT8_S1C_bDpT10_ENKUlT_T0_E_clISt17integral_constantIbLb1EES1P_EEDaS1K_S1L_EUlS1K_E_NS1_11comp_targetILNS1_3genE10ELNS1_11target_archE1200ELNS1_3gpuE4ELNS1_3repE0EEENS1_30default_config_static_selectorELNS0_4arch9wavefront6targetE0EEEvSY_,"axG",@progbits,_ZN7rocprim17ROCPRIM_400000_NS6detail17trampoline_kernelINS0_13select_configILj256ELj13ELNS0_17block_load_methodE3ELS4_3ELS4_3ELNS0_20block_scan_algorithmE0ELj4294967295EEENS1_25partition_config_selectorILNS1_17partition_subalgoE3EjNS0_10empty_typeEbEEZZNS1_14partition_implILS8_3ELb0ES6_jNS0_17counting_iteratorIjlEEPS9_SE_NS0_5tupleIJPjSE_EEENSF_IJSE_SE_EEES9_SG_JZNS1_25segmented_radix_sort_implINS0_14default_configELb1EPKbPbPKlPlN2at6native12_GLOBAL__N_18offset_tEEE10hipError_tPvRmT1_PNSt15iterator_traitsISY_E10value_typeET2_T3_PNSZ_IS14_E10value_typeET4_jRbjT5_S1A_jjP12ihipStream_tbEUljE_EEESV_SW_SX_S14_S18_S1A_T6_T7_T9_mT8_S1C_bDpT10_ENKUlT_T0_E_clISt17integral_constantIbLb1EES1P_EEDaS1K_S1L_EUlS1K_E_NS1_11comp_targetILNS1_3genE10ELNS1_11target_archE1200ELNS1_3gpuE4ELNS1_3repE0EEENS1_30default_config_static_selectorELNS0_4arch9wavefront6targetE0EEEvSY_,comdat
.Lfunc_end1505:
	.size	_ZN7rocprim17ROCPRIM_400000_NS6detail17trampoline_kernelINS0_13select_configILj256ELj13ELNS0_17block_load_methodE3ELS4_3ELS4_3ELNS0_20block_scan_algorithmE0ELj4294967295EEENS1_25partition_config_selectorILNS1_17partition_subalgoE3EjNS0_10empty_typeEbEEZZNS1_14partition_implILS8_3ELb0ES6_jNS0_17counting_iteratorIjlEEPS9_SE_NS0_5tupleIJPjSE_EEENSF_IJSE_SE_EEES9_SG_JZNS1_25segmented_radix_sort_implINS0_14default_configELb1EPKbPbPKlPlN2at6native12_GLOBAL__N_18offset_tEEE10hipError_tPvRmT1_PNSt15iterator_traitsISY_E10value_typeET2_T3_PNSZ_IS14_E10value_typeET4_jRbjT5_S1A_jjP12ihipStream_tbEUljE_EEESV_SW_SX_S14_S18_S1A_T6_T7_T9_mT8_S1C_bDpT10_ENKUlT_T0_E_clISt17integral_constantIbLb1EES1P_EEDaS1K_S1L_EUlS1K_E_NS1_11comp_targetILNS1_3genE10ELNS1_11target_archE1200ELNS1_3gpuE4ELNS1_3repE0EEENS1_30default_config_static_selectorELNS0_4arch9wavefront6targetE0EEEvSY_, .Lfunc_end1505-_ZN7rocprim17ROCPRIM_400000_NS6detail17trampoline_kernelINS0_13select_configILj256ELj13ELNS0_17block_load_methodE3ELS4_3ELS4_3ELNS0_20block_scan_algorithmE0ELj4294967295EEENS1_25partition_config_selectorILNS1_17partition_subalgoE3EjNS0_10empty_typeEbEEZZNS1_14partition_implILS8_3ELb0ES6_jNS0_17counting_iteratorIjlEEPS9_SE_NS0_5tupleIJPjSE_EEENSF_IJSE_SE_EEES9_SG_JZNS1_25segmented_radix_sort_implINS0_14default_configELb1EPKbPbPKlPlN2at6native12_GLOBAL__N_18offset_tEEE10hipError_tPvRmT1_PNSt15iterator_traitsISY_E10value_typeET2_T3_PNSZ_IS14_E10value_typeET4_jRbjT5_S1A_jjP12ihipStream_tbEUljE_EEESV_SW_SX_S14_S18_S1A_T6_T7_T9_mT8_S1C_bDpT10_ENKUlT_T0_E_clISt17integral_constantIbLb1EES1P_EEDaS1K_S1L_EUlS1K_E_NS1_11comp_targetILNS1_3genE10ELNS1_11target_archE1200ELNS1_3gpuE4ELNS1_3repE0EEENS1_30default_config_static_selectorELNS0_4arch9wavefront6targetE0EEEvSY_
                                        ; -- End function
	.set _ZN7rocprim17ROCPRIM_400000_NS6detail17trampoline_kernelINS0_13select_configILj256ELj13ELNS0_17block_load_methodE3ELS4_3ELS4_3ELNS0_20block_scan_algorithmE0ELj4294967295EEENS1_25partition_config_selectorILNS1_17partition_subalgoE3EjNS0_10empty_typeEbEEZZNS1_14partition_implILS8_3ELb0ES6_jNS0_17counting_iteratorIjlEEPS9_SE_NS0_5tupleIJPjSE_EEENSF_IJSE_SE_EEES9_SG_JZNS1_25segmented_radix_sort_implINS0_14default_configELb1EPKbPbPKlPlN2at6native12_GLOBAL__N_18offset_tEEE10hipError_tPvRmT1_PNSt15iterator_traitsISY_E10value_typeET2_T3_PNSZ_IS14_E10value_typeET4_jRbjT5_S1A_jjP12ihipStream_tbEUljE_EEESV_SW_SX_S14_S18_S1A_T6_T7_T9_mT8_S1C_bDpT10_ENKUlT_T0_E_clISt17integral_constantIbLb1EES1P_EEDaS1K_S1L_EUlS1K_E_NS1_11comp_targetILNS1_3genE10ELNS1_11target_archE1200ELNS1_3gpuE4ELNS1_3repE0EEENS1_30default_config_static_selectorELNS0_4arch9wavefront6targetE0EEEvSY_.num_vgpr, 0
	.set _ZN7rocprim17ROCPRIM_400000_NS6detail17trampoline_kernelINS0_13select_configILj256ELj13ELNS0_17block_load_methodE3ELS4_3ELS4_3ELNS0_20block_scan_algorithmE0ELj4294967295EEENS1_25partition_config_selectorILNS1_17partition_subalgoE3EjNS0_10empty_typeEbEEZZNS1_14partition_implILS8_3ELb0ES6_jNS0_17counting_iteratorIjlEEPS9_SE_NS0_5tupleIJPjSE_EEENSF_IJSE_SE_EEES9_SG_JZNS1_25segmented_radix_sort_implINS0_14default_configELb1EPKbPbPKlPlN2at6native12_GLOBAL__N_18offset_tEEE10hipError_tPvRmT1_PNSt15iterator_traitsISY_E10value_typeET2_T3_PNSZ_IS14_E10value_typeET4_jRbjT5_S1A_jjP12ihipStream_tbEUljE_EEESV_SW_SX_S14_S18_S1A_T6_T7_T9_mT8_S1C_bDpT10_ENKUlT_T0_E_clISt17integral_constantIbLb1EES1P_EEDaS1K_S1L_EUlS1K_E_NS1_11comp_targetILNS1_3genE10ELNS1_11target_archE1200ELNS1_3gpuE4ELNS1_3repE0EEENS1_30default_config_static_selectorELNS0_4arch9wavefront6targetE0EEEvSY_.num_agpr, 0
	.set _ZN7rocprim17ROCPRIM_400000_NS6detail17trampoline_kernelINS0_13select_configILj256ELj13ELNS0_17block_load_methodE3ELS4_3ELS4_3ELNS0_20block_scan_algorithmE0ELj4294967295EEENS1_25partition_config_selectorILNS1_17partition_subalgoE3EjNS0_10empty_typeEbEEZZNS1_14partition_implILS8_3ELb0ES6_jNS0_17counting_iteratorIjlEEPS9_SE_NS0_5tupleIJPjSE_EEENSF_IJSE_SE_EEES9_SG_JZNS1_25segmented_radix_sort_implINS0_14default_configELb1EPKbPbPKlPlN2at6native12_GLOBAL__N_18offset_tEEE10hipError_tPvRmT1_PNSt15iterator_traitsISY_E10value_typeET2_T3_PNSZ_IS14_E10value_typeET4_jRbjT5_S1A_jjP12ihipStream_tbEUljE_EEESV_SW_SX_S14_S18_S1A_T6_T7_T9_mT8_S1C_bDpT10_ENKUlT_T0_E_clISt17integral_constantIbLb1EES1P_EEDaS1K_S1L_EUlS1K_E_NS1_11comp_targetILNS1_3genE10ELNS1_11target_archE1200ELNS1_3gpuE4ELNS1_3repE0EEENS1_30default_config_static_selectorELNS0_4arch9wavefront6targetE0EEEvSY_.numbered_sgpr, 0
	.set _ZN7rocprim17ROCPRIM_400000_NS6detail17trampoline_kernelINS0_13select_configILj256ELj13ELNS0_17block_load_methodE3ELS4_3ELS4_3ELNS0_20block_scan_algorithmE0ELj4294967295EEENS1_25partition_config_selectorILNS1_17partition_subalgoE3EjNS0_10empty_typeEbEEZZNS1_14partition_implILS8_3ELb0ES6_jNS0_17counting_iteratorIjlEEPS9_SE_NS0_5tupleIJPjSE_EEENSF_IJSE_SE_EEES9_SG_JZNS1_25segmented_radix_sort_implINS0_14default_configELb1EPKbPbPKlPlN2at6native12_GLOBAL__N_18offset_tEEE10hipError_tPvRmT1_PNSt15iterator_traitsISY_E10value_typeET2_T3_PNSZ_IS14_E10value_typeET4_jRbjT5_S1A_jjP12ihipStream_tbEUljE_EEESV_SW_SX_S14_S18_S1A_T6_T7_T9_mT8_S1C_bDpT10_ENKUlT_T0_E_clISt17integral_constantIbLb1EES1P_EEDaS1K_S1L_EUlS1K_E_NS1_11comp_targetILNS1_3genE10ELNS1_11target_archE1200ELNS1_3gpuE4ELNS1_3repE0EEENS1_30default_config_static_selectorELNS0_4arch9wavefront6targetE0EEEvSY_.num_named_barrier, 0
	.set _ZN7rocprim17ROCPRIM_400000_NS6detail17trampoline_kernelINS0_13select_configILj256ELj13ELNS0_17block_load_methodE3ELS4_3ELS4_3ELNS0_20block_scan_algorithmE0ELj4294967295EEENS1_25partition_config_selectorILNS1_17partition_subalgoE3EjNS0_10empty_typeEbEEZZNS1_14partition_implILS8_3ELb0ES6_jNS0_17counting_iteratorIjlEEPS9_SE_NS0_5tupleIJPjSE_EEENSF_IJSE_SE_EEES9_SG_JZNS1_25segmented_radix_sort_implINS0_14default_configELb1EPKbPbPKlPlN2at6native12_GLOBAL__N_18offset_tEEE10hipError_tPvRmT1_PNSt15iterator_traitsISY_E10value_typeET2_T3_PNSZ_IS14_E10value_typeET4_jRbjT5_S1A_jjP12ihipStream_tbEUljE_EEESV_SW_SX_S14_S18_S1A_T6_T7_T9_mT8_S1C_bDpT10_ENKUlT_T0_E_clISt17integral_constantIbLb1EES1P_EEDaS1K_S1L_EUlS1K_E_NS1_11comp_targetILNS1_3genE10ELNS1_11target_archE1200ELNS1_3gpuE4ELNS1_3repE0EEENS1_30default_config_static_selectorELNS0_4arch9wavefront6targetE0EEEvSY_.private_seg_size, 0
	.set _ZN7rocprim17ROCPRIM_400000_NS6detail17trampoline_kernelINS0_13select_configILj256ELj13ELNS0_17block_load_methodE3ELS4_3ELS4_3ELNS0_20block_scan_algorithmE0ELj4294967295EEENS1_25partition_config_selectorILNS1_17partition_subalgoE3EjNS0_10empty_typeEbEEZZNS1_14partition_implILS8_3ELb0ES6_jNS0_17counting_iteratorIjlEEPS9_SE_NS0_5tupleIJPjSE_EEENSF_IJSE_SE_EEES9_SG_JZNS1_25segmented_radix_sort_implINS0_14default_configELb1EPKbPbPKlPlN2at6native12_GLOBAL__N_18offset_tEEE10hipError_tPvRmT1_PNSt15iterator_traitsISY_E10value_typeET2_T3_PNSZ_IS14_E10value_typeET4_jRbjT5_S1A_jjP12ihipStream_tbEUljE_EEESV_SW_SX_S14_S18_S1A_T6_T7_T9_mT8_S1C_bDpT10_ENKUlT_T0_E_clISt17integral_constantIbLb1EES1P_EEDaS1K_S1L_EUlS1K_E_NS1_11comp_targetILNS1_3genE10ELNS1_11target_archE1200ELNS1_3gpuE4ELNS1_3repE0EEENS1_30default_config_static_selectorELNS0_4arch9wavefront6targetE0EEEvSY_.uses_vcc, 0
	.set _ZN7rocprim17ROCPRIM_400000_NS6detail17trampoline_kernelINS0_13select_configILj256ELj13ELNS0_17block_load_methodE3ELS4_3ELS4_3ELNS0_20block_scan_algorithmE0ELj4294967295EEENS1_25partition_config_selectorILNS1_17partition_subalgoE3EjNS0_10empty_typeEbEEZZNS1_14partition_implILS8_3ELb0ES6_jNS0_17counting_iteratorIjlEEPS9_SE_NS0_5tupleIJPjSE_EEENSF_IJSE_SE_EEES9_SG_JZNS1_25segmented_radix_sort_implINS0_14default_configELb1EPKbPbPKlPlN2at6native12_GLOBAL__N_18offset_tEEE10hipError_tPvRmT1_PNSt15iterator_traitsISY_E10value_typeET2_T3_PNSZ_IS14_E10value_typeET4_jRbjT5_S1A_jjP12ihipStream_tbEUljE_EEESV_SW_SX_S14_S18_S1A_T6_T7_T9_mT8_S1C_bDpT10_ENKUlT_T0_E_clISt17integral_constantIbLb1EES1P_EEDaS1K_S1L_EUlS1K_E_NS1_11comp_targetILNS1_3genE10ELNS1_11target_archE1200ELNS1_3gpuE4ELNS1_3repE0EEENS1_30default_config_static_selectorELNS0_4arch9wavefront6targetE0EEEvSY_.uses_flat_scratch, 0
	.set _ZN7rocprim17ROCPRIM_400000_NS6detail17trampoline_kernelINS0_13select_configILj256ELj13ELNS0_17block_load_methodE3ELS4_3ELS4_3ELNS0_20block_scan_algorithmE0ELj4294967295EEENS1_25partition_config_selectorILNS1_17partition_subalgoE3EjNS0_10empty_typeEbEEZZNS1_14partition_implILS8_3ELb0ES6_jNS0_17counting_iteratorIjlEEPS9_SE_NS0_5tupleIJPjSE_EEENSF_IJSE_SE_EEES9_SG_JZNS1_25segmented_radix_sort_implINS0_14default_configELb1EPKbPbPKlPlN2at6native12_GLOBAL__N_18offset_tEEE10hipError_tPvRmT1_PNSt15iterator_traitsISY_E10value_typeET2_T3_PNSZ_IS14_E10value_typeET4_jRbjT5_S1A_jjP12ihipStream_tbEUljE_EEESV_SW_SX_S14_S18_S1A_T6_T7_T9_mT8_S1C_bDpT10_ENKUlT_T0_E_clISt17integral_constantIbLb1EES1P_EEDaS1K_S1L_EUlS1K_E_NS1_11comp_targetILNS1_3genE10ELNS1_11target_archE1200ELNS1_3gpuE4ELNS1_3repE0EEENS1_30default_config_static_selectorELNS0_4arch9wavefront6targetE0EEEvSY_.has_dyn_sized_stack, 0
	.set _ZN7rocprim17ROCPRIM_400000_NS6detail17trampoline_kernelINS0_13select_configILj256ELj13ELNS0_17block_load_methodE3ELS4_3ELS4_3ELNS0_20block_scan_algorithmE0ELj4294967295EEENS1_25partition_config_selectorILNS1_17partition_subalgoE3EjNS0_10empty_typeEbEEZZNS1_14partition_implILS8_3ELb0ES6_jNS0_17counting_iteratorIjlEEPS9_SE_NS0_5tupleIJPjSE_EEENSF_IJSE_SE_EEES9_SG_JZNS1_25segmented_radix_sort_implINS0_14default_configELb1EPKbPbPKlPlN2at6native12_GLOBAL__N_18offset_tEEE10hipError_tPvRmT1_PNSt15iterator_traitsISY_E10value_typeET2_T3_PNSZ_IS14_E10value_typeET4_jRbjT5_S1A_jjP12ihipStream_tbEUljE_EEESV_SW_SX_S14_S18_S1A_T6_T7_T9_mT8_S1C_bDpT10_ENKUlT_T0_E_clISt17integral_constantIbLb1EES1P_EEDaS1K_S1L_EUlS1K_E_NS1_11comp_targetILNS1_3genE10ELNS1_11target_archE1200ELNS1_3gpuE4ELNS1_3repE0EEENS1_30default_config_static_selectorELNS0_4arch9wavefront6targetE0EEEvSY_.has_recursion, 0
	.set _ZN7rocprim17ROCPRIM_400000_NS6detail17trampoline_kernelINS0_13select_configILj256ELj13ELNS0_17block_load_methodE3ELS4_3ELS4_3ELNS0_20block_scan_algorithmE0ELj4294967295EEENS1_25partition_config_selectorILNS1_17partition_subalgoE3EjNS0_10empty_typeEbEEZZNS1_14partition_implILS8_3ELb0ES6_jNS0_17counting_iteratorIjlEEPS9_SE_NS0_5tupleIJPjSE_EEENSF_IJSE_SE_EEES9_SG_JZNS1_25segmented_radix_sort_implINS0_14default_configELb1EPKbPbPKlPlN2at6native12_GLOBAL__N_18offset_tEEE10hipError_tPvRmT1_PNSt15iterator_traitsISY_E10value_typeET2_T3_PNSZ_IS14_E10value_typeET4_jRbjT5_S1A_jjP12ihipStream_tbEUljE_EEESV_SW_SX_S14_S18_S1A_T6_T7_T9_mT8_S1C_bDpT10_ENKUlT_T0_E_clISt17integral_constantIbLb1EES1P_EEDaS1K_S1L_EUlS1K_E_NS1_11comp_targetILNS1_3genE10ELNS1_11target_archE1200ELNS1_3gpuE4ELNS1_3repE0EEENS1_30default_config_static_selectorELNS0_4arch9wavefront6targetE0EEEvSY_.has_indirect_call, 0
	.section	.AMDGPU.csdata,"",@progbits
; Kernel info:
; codeLenInByte = 0
; TotalNumSgprs: 0
; NumVgprs: 0
; ScratchSize: 0
; MemoryBound: 0
; FloatMode: 240
; IeeeMode: 1
; LDSByteSize: 0 bytes/workgroup (compile time only)
; SGPRBlocks: 0
; VGPRBlocks: 0
; NumSGPRsForWavesPerEU: 1
; NumVGPRsForWavesPerEU: 1
; Occupancy: 16
; WaveLimiterHint : 0
; COMPUTE_PGM_RSRC2:SCRATCH_EN: 0
; COMPUTE_PGM_RSRC2:USER_SGPR: 6
; COMPUTE_PGM_RSRC2:TRAP_HANDLER: 0
; COMPUTE_PGM_RSRC2:TGID_X_EN: 1
; COMPUTE_PGM_RSRC2:TGID_Y_EN: 0
; COMPUTE_PGM_RSRC2:TGID_Z_EN: 0
; COMPUTE_PGM_RSRC2:TIDIG_COMP_CNT: 0
	.section	.text._ZN7rocprim17ROCPRIM_400000_NS6detail17trampoline_kernelINS0_13select_configILj256ELj13ELNS0_17block_load_methodE3ELS4_3ELS4_3ELNS0_20block_scan_algorithmE0ELj4294967295EEENS1_25partition_config_selectorILNS1_17partition_subalgoE3EjNS0_10empty_typeEbEEZZNS1_14partition_implILS8_3ELb0ES6_jNS0_17counting_iteratorIjlEEPS9_SE_NS0_5tupleIJPjSE_EEENSF_IJSE_SE_EEES9_SG_JZNS1_25segmented_radix_sort_implINS0_14default_configELb1EPKbPbPKlPlN2at6native12_GLOBAL__N_18offset_tEEE10hipError_tPvRmT1_PNSt15iterator_traitsISY_E10value_typeET2_T3_PNSZ_IS14_E10value_typeET4_jRbjT5_S1A_jjP12ihipStream_tbEUljE_EEESV_SW_SX_S14_S18_S1A_T6_T7_T9_mT8_S1C_bDpT10_ENKUlT_T0_E_clISt17integral_constantIbLb1EES1P_EEDaS1K_S1L_EUlS1K_E_NS1_11comp_targetILNS1_3genE9ELNS1_11target_archE1100ELNS1_3gpuE3ELNS1_3repE0EEENS1_30default_config_static_selectorELNS0_4arch9wavefront6targetE0EEEvSY_,"axG",@progbits,_ZN7rocprim17ROCPRIM_400000_NS6detail17trampoline_kernelINS0_13select_configILj256ELj13ELNS0_17block_load_methodE3ELS4_3ELS4_3ELNS0_20block_scan_algorithmE0ELj4294967295EEENS1_25partition_config_selectorILNS1_17partition_subalgoE3EjNS0_10empty_typeEbEEZZNS1_14partition_implILS8_3ELb0ES6_jNS0_17counting_iteratorIjlEEPS9_SE_NS0_5tupleIJPjSE_EEENSF_IJSE_SE_EEES9_SG_JZNS1_25segmented_radix_sort_implINS0_14default_configELb1EPKbPbPKlPlN2at6native12_GLOBAL__N_18offset_tEEE10hipError_tPvRmT1_PNSt15iterator_traitsISY_E10value_typeET2_T3_PNSZ_IS14_E10value_typeET4_jRbjT5_S1A_jjP12ihipStream_tbEUljE_EEESV_SW_SX_S14_S18_S1A_T6_T7_T9_mT8_S1C_bDpT10_ENKUlT_T0_E_clISt17integral_constantIbLb1EES1P_EEDaS1K_S1L_EUlS1K_E_NS1_11comp_targetILNS1_3genE9ELNS1_11target_archE1100ELNS1_3gpuE3ELNS1_3repE0EEENS1_30default_config_static_selectorELNS0_4arch9wavefront6targetE0EEEvSY_,comdat
	.globl	_ZN7rocprim17ROCPRIM_400000_NS6detail17trampoline_kernelINS0_13select_configILj256ELj13ELNS0_17block_load_methodE3ELS4_3ELS4_3ELNS0_20block_scan_algorithmE0ELj4294967295EEENS1_25partition_config_selectorILNS1_17partition_subalgoE3EjNS0_10empty_typeEbEEZZNS1_14partition_implILS8_3ELb0ES6_jNS0_17counting_iteratorIjlEEPS9_SE_NS0_5tupleIJPjSE_EEENSF_IJSE_SE_EEES9_SG_JZNS1_25segmented_radix_sort_implINS0_14default_configELb1EPKbPbPKlPlN2at6native12_GLOBAL__N_18offset_tEEE10hipError_tPvRmT1_PNSt15iterator_traitsISY_E10value_typeET2_T3_PNSZ_IS14_E10value_typeET4_jRbjT5_S1A_jjP12ihipStream_tbEUljE_EEESV_SW_SX_S14_S18_S1A_T6_T7_T9_mT8_S1C_bDpT10_ENKUlT_T0_E_clISt17integral_constantIbLb1EES1P_EEDaS1K_S1L_EUlS1K_E_NS1_11comp_targetILNS1_3genE9ELNS1_11target_archE1100ELNS1_3gpuE3ELNS1_3repE0EEENS1_30default_config_static_selectorELNS0_4arch9wavefront6targetE0EEEvSY_ ; -- Begin function _ZN7rocprim17ROCPRIM_400000_NS6detail17trampoline_kernelINS0_13select_configILj256ELj13ELNS0_17block_load_methodE3ELS4_3ELS4_3ELNS0_20block_scan_algorithmE0ELj4294967295EEENS1_25partition_config_selectorILNS1_17partition_subalgoE3EjNS0_10empty_typeEbEEZZNS1_14partition_implILS8_3ELb0ES6_jNS0_17counting_iteratorIjlEEPS9_SE_NS0_5tupleIJPjSE_EEENSF_IJSE_SE_EEES9_SG_JZNS1_25segmented_radix_sort_implINS0_14default_configELb1EPKbPbPKlPlN2at6native12_GLOBAL__N_18offset_tEEE10hipError_tPvRmT1_PNSt15iterator_traitsISY_E10value_typeET2_T3_PNSZ_IS14_E10value_typeET4_jRbjT5_S1A_jjP12ihipStream_tbEUljE_EEESV_SW_SX_S14_S18_S1A_T6_T7_T9_mT8_S1C_bDpT10_ENKUlT_T0_E_clISt17integral_constantIbLb1EES1P_EEDaS1K_S1L_EUlS1K_E_NS1_11comp_targetILNS1_3genE9ELNS1_11target_archE1100ELNS1_3gpuE3ELNS1_3repE0EEENS1_30default_config_static_selectorELNS0_4arch9wavefront6targetE0EEEvSY_
	.p2align	8
	.type	_ZN7rocprim17ROCPRIM_400000_NS6detail17trampoline_kernelINS0_13select_configILj256ELj13ELNS0_17block_load_methodE3ELS4_3ELS4_3ELNS0_20block_scan_algorithmE0ELj4294967295EEENS1_25partition_config_selectorILNS1_17partition_subalgoE3EjNS0_10empty_typeEbEEZZNS1_14partition_implILS8_3ELb0ES6_jNS0_17counting_iteratorIjlEEPS9_SE_NS0_5tupleIJPjSE_EEENSF_IJSE_SE_EEES9_SG_JZNS1_25segmented_radix_sort_implINS0_14default_configELb1EPKbPbPKlPlN2at6native12_GLOBAL__N_18offset_tEEE10hipError_tPvRmT1_PNSt15iterator_traitsISY_E10value_typeET2_T3_PNSZ_IS14_E10value_typeET4_jRbjT5_S1A_jjP12ihipStream_tbEUljE_EEESV_SW_SX_S14_S18_S1A_T6_T7_T9_mT8_S1C_bDpT10_ENKUlT_T0_E_clISt17integral_constantIbLb1EES1P_EEDaS1K_S1L_EUlS1K_E_NS1_11comp_targetILNS1_3genE9ELNS1_11target_archE1100ELNS1_3gpuE3ELNS1_3repE0EEENS1_30default_config_static_selectorELNS0_4arch9wavefront6targetE0EEEvSY_,@function
_ZN7rocprim17ROCPRIM_400000_NS6detail17trampoline_kernelINS0_13select_configILj256ELj13ELNS0_17block_load_methodE3ELS4_3ELS4_3ELNS0_20block_scan_algorithmE0ELj4294967295EEENS1_25partition_config_selectorILNS1_17partition_subalgoE3EjNS0_10empty_typeEbEEZZNS1_14partition_implILS8_3ELb0ES6_jNS0_17counting_iteratorIjlEEPS9_SE_NS0_5tupleIJPjSE_EEENSF_IJSE_SE_EEES9_SG_JZNS1_25segmented_radix_sort_implINS0_14default_configELb1EPKbPbPKlPlN2at6native12_GLOBAL__N_18offset_tEEE10hipError_tPvRmT1_PNSt15iterator_traitsISY_E10value_typeET2_T3_PNSZ_IS14_E10value_typeET4_jRbjT5_S1A_jjP12ihipStream_tbEUljE_EEESV_SW_SX_S14_S18_S1A_T6_T7_T9_mT8_S1C_bDpT10_ENKUlT_T0_E_clISt17integral_constantIbLb1EES1P_EEDaS1K_S1L_EUlS1K_E_NS1_11comp_targetILNS1_3genE9ELNS1_11target_archE1100ELNS1_3gpuE3ELNS1_3repE0EEENS1_30default_config_static_selectorELNS0_4arch9wavefront6targetE0EEEvSY_: ; @_ZN7rocprim17ROCPRIM_400000_NS6detail17trampoline_kernelINS0_13select_configILj256ELj13ELNS0_17block_load_methodE3ELS4_3ELS4_3ELNS0_20block_scan_algorithmE0ELj4294967295EEENS1_25partition_config_selectorILNS1_17partition_subalgoE3EjNS0_10empty_typeEbEEZZNS1_14partition_implILS8_3ELb0ES6_jNS0_17counting_iteratorIjlEEPS9_SE_NS0_5tupleIJPjSE_EEENSF_IJSE_SE_EEES9_SG_JZNS1_25segmented_radix_sort_implINS0_14default_configELb1EPKbPbPKlPlN2at6native12_GLOBAL__N_18offset_tEEE10hipError_tPvRmT1_PNSt15iterator_traitsISY_E10value_typeET2_T3_PNSZ_IS14_E10value_typeET4_jRbjT5_S1A_jjP12ihipStream_tbEUljE_EEESV_SW_SX_S14_S18_S1A_T6_T7_T9_mT8_S1C_bDpT10_ENKUlT_T0_E_clISt17integral_constantIbLb1EES1P_EEDaS1K_S1L_EUlS1K_E_NS1_11comp_targetILNS1_3genE9ELNS1_11target_archE1100ELNS1_3gpuE3ELNS1_3repE0EEENS1_30default_config_static_selectorELNS0_4arch9wavefront6targetE0EEEvSY_
; %bb.0:
	.section	.rodata,"a",@progbits
	.p2align	6, 0x0
	.amdhsa_kernel _ZN7rocprim17ROCPRIM_400000_NS6detail17trampoline_kernelINS0_13select_configILj256ELj13ELNS0_17block_load_methodE3ELS4_3ELS4_3ELNS0_20block_scan_algorithmE0ELj4294967295EEENS1_25partition_config_selectorILNS1_17partition_subalgoE3EjNS0_10empty_typeEbEEZZNS1_14partition_implILS8_3ELb0ES6_jNS0_17counting_iteratorIjlEEPS9_SE_NS0_5tupleIJPjSE_EEENSF_IJSE_SE_EEES9_SG_JZNS1_25segmented_radix_sort_implINS0_14default_configELb1EPKbPbPKlPlN2at6native12_GLOBAL__N_18offset_tEEE10hipError_tPvRmT1_PNSt15iterator_traitsISY_E10value_typeET2_T3_PNSZ_IS14_E10value_typeET4_jRbjT5_S1A_jjP12ihipStream_tbEUljE_EEESV_SW_SX_S14_S18_S1A_T6_T7_T9_mT8_S1C_bDpT10_ENKUlT_T0_E_clISt17integral_constantIbLb1EES1P_EEDaS1K_S1L_EUlS1K_E_NS1_11comp_targetILNS1_3genE9ELNS1_11target_archE1100ELNS1_3gpuE3ELNS1_3repE0EEENS1_30default_config_static_selectorELNS0_4arch9wavefront6targetE0EEEvSY_
		.amdhsa_group_segment_fixed_size 0
		.amdhsa_private_segment_fixed_size 0
		.amdhsa_kernarg_size 152
		.amdhsa_user_sgpr_count 6
		.amdhsa_user_sgpr_private_segment_buffer 1
		.amdhsa_user_sgpr_dispatch_ptr 0
		.amdhsa_user_sgpr_queue_ptr 0
		.amdhsa_user_sgpr_kernarg_segment_ptr 1
		.amdhsa_user_sgpr_dispatch_id 0
		.amdhsa_user_sgpr_flat_scratch_init 0
		.amdhsa_user_sgpr_private_segment_size 0
		.amdhsa_wavefront_size32 1
		.amdhsa_uses_dynamic_stack 0
		.amdhsa_system_sgpr_private_segment_wavefront_offset 0
		.amdhsa_system_sgpr_workgroup_id_x 1
		.amdhsa_system_sgpr_workgroup_id_y 0
		.amdhsa_system_sgpr_workgroup_id_z 0
		.amdhsa_system_sgpr_workgroup_info 0
		.amdhsa_system_vgpr_workitem_id 0
		.amdhsa_next_free_vgpr 1
		.amdhsa_next_free_sgpr 1
		.amdhsa_reserve_vcc 0
		.amdhsa_reserve_flat_scratch 0
		.amdhsa_float_round_mode_32 0
		.amdhsa_float_round_mode_16_64 0
		.amdhsa_float_denorm_mode_32 3
		.amdhsa_float_denorm_mode_16_64 3
		.amdhsa_dx10_clamp 1
		.amdhsa_ieee_mode 1
		.amdhsa_fp16_overflow 0
		.amdhsa_workgroup_processor_mode 1
		.amdhsa_memory_ordered 1
		.amdhsa_forward_progress 1
		.amdhsa_shared_vgpr_count 0
		.amdhsa_exception_fp_ieee_invalid_op 0
		.amdhsa_exception_fp_denorm_src 0
		.amdhsa_exception_fp_ieee_div_zero 0
		.amdhsa_exception_fp_ieee_overflow 0
		.amdhsa_exception_fp_ieee_underflow 0
		.amdhsa_exception_fp_ieee_inexact 0
		.amdhsa_exception_int_div_zero 0
	.end_amdhsa_kernel
	.section	.text._ZN7rocprim17ROCPRIM_400000_NS6detail17trampoline_kernelINS0_13select_configILj256ELj13ELNS0_17block_load_methodE3ELS4_3ELS4_3ELNS0_20block_scan_algorithmE0ELj4294967295EEENS1_25partition_config_selectorILNS1_17partition_subalgoE3EjNS0_10empty_typeEbEEZZNS1_14partition_implILS8_3ELb0ES6_jNS0_17counting_iteratorIjlEEPS9_SE_NS0_5tupleIJPjSE_EEENSF_IJSE_SE_EEES9_SG_JZNS1_25segmented_radix_sort_implINS0_14default_configELb1EPKbPbPKlPlN2at6native12_GLOBAL__N_18offset_tEEE10hipError_tPvRmT1_PNSt15iterator_traitsISY_E10value_typeET2_T3_PNSZ_IS14_E10value_typeET4_jRbjT5_S1A_jjP12ihipStream_tbEUljE_EEESV_SW_SX_S14_S18_S1A_T6_T7_T9_mT8_S1C_bDpT10_ENKUlT_T0_E_clISt17integral_constantIbLb1EES1P_EEDaS1K_S1L_EUlS1K_E_NS1_11comp_targetILNS1_3genE9ELNS1_11target_archE1100ELNS1_3gpuE3ELNS1_3repE0EEENS1_30default_config_static_selectorELNS0_4arch9wavefront6targetE0EEEvSY_,"axG",@progbits,_ZN7rocprim17ROCPRIM_400000_NS6detail17trampoline_kernelINS0_13select_configILj256ELj13ELNS0_17block_load_methodE3ELS4_3ELS4_3ELNS0_20block_scan_algorithmE0ELj4294967295EEENS1_25partition_config_selectorILNS1_17partition_subalgoE3EjNS0_10empty_typeEbEEZZNS1_14partition_implILS8_3ELb0ES6_jNS0_17counting_iteratorIjlEEPS9_SE_NS0_5tupleIJPjSE_EEENSF_IJSE_SE_EEES9_SG_JZNS1_25segmented_radix_sort_implINS0_14default_configELb1EPKbPbPKlPlN2at6native12_GLOBAL__N_18offset_tEEE10hipError_tPvRmT1_PNSt15iterator_traitsISY_E10value_typeET2_T3_PNSZ_IS14_E10value_typeET4_jRbjT5_S1A_jjP12ihipStream_tbEUljE_EEESV_SW_SX_S14_S18_S1A_T6_T7_T9_mT8_S1C_bDpT10_ENKUlT_T0_E_clISt17integral_constantIbLb1EES1P_EEDaS1K_S1L_EUlS1K_E_NS1_11comp_targetILNS1_3genE9ELNS1_11target_archE1100ELNS1_3gpuE3ELNS1_3repE0EEENS1_30default_config_static_selectorELNS0_4arch9wavefront6targetE0EEEvSY_,comdat
.Lfunc_end1506:
	.size	_ZN7rocprim17ROCPRIM_400000_NS6detail17trampoline_kernelINS0_13select_configILj256ELj13ELNS0_17block_load_methodE3ELS4_3ELS4_3ELNS0_20block_scan_algorithmE0ELj4294967295EEENS1_25partition_config_selectorILNS1_17partition_subalgoE3EjNS0_10empty_typeEbEEZZNS1_14partition_implILS8_3ELb0ES6_jNS0_17counting_iteratorIjlEEPS9_SE_NS0_5tupleIJPjSE_EEENSF_IJSE_SE_EEES9_SG_JZNS1_25segmented_radix_sort_implINS0_14default_configELb1EPKbPbPKlPlN2at6native12_GLOBAL__N_18offset_tEEE10hipError_tPvRmT1_PNSt15iterator_traitsISY_E10value_typeET2_T3_PNSZ_IS14_E10value_typeET4_jRbjT5_S1A_jjP12ihipStream_tbEUljE_EEESV_SW_SX_S14_S18_S1A_T6_T7_T9_mT8_S1C_bDpT10_ENKUlT_T0_E_clISt17integral_constantIbLb1EES1P_EEDaS1K_S1L_EUlS1K_E_NS1_11comp_targetILNS1_3genE9ELNS1_11target_archE1100ELNS1_3gpuE3ELNS1_3repE0EEENS1_30default_config_static_selectorELNS0_4arch9wavefront6targetE0EEEvSY_, .Lfunc_end1506-_ZN7rocprim17ROCPRIM_400000_NS6detail17trampoline_kernelINS0_13select_configILj256ELj13ELNS0_17block_load_methodE3ELS4_3ELS4_3ELNS0_20block_scan_algorithmE0ELj4294967295EEENS1_25partition_config_selectorILNS1_17partition_subalgoE3EjNS0_10empty_typeEbEEZZNS1_14partition_implILS8_3ELb0ES6_jNS0_17counting_iteratorIjlEEPS9_SE_NS0_5tupleIJPjSE_EEENSF_IJSE_SE_EEES9_SG_JZNS1_25segmented_radix_sort_implINS0_14default_configELb1EPKbPbPKlPlN2at6native12_GLOBAL__N_18offset_tEEE10hipError_tPvRmT1_PNSt15iterator_traitsISY_E10value_typeET2_T3_PNSZ_IS14_E10value_typeET4_jRbjT5_S1A_jjP12ihipStream_tbEUljE_EEESV_SW_SX_S14_S18_S1A_T6_T7_T9_mT8_S1C_bDpT10_ENKUlT_T0_E_clISt17integral_constantIbLb1EES1P_EEDaS1K_S1L_EUlS1K_E_NS1_11comp_targetILNS1_3genE9ELNS1_11target_archE1100ELNS1_3gpuE3ELNS1_3repE0EEENS1_30default_config_static_selectorELNS0_4arch9wavefront6targetE0EEEvSY_
                                        ; -- End function
	.set _ZN7rocprim17ROCPRIM_400000_NS6detail17trampoline_kernelINS0_13select_configILj256ELj13ELNS0_17block_load_methodE3ELS4_3ELS4_3ELNS0_20block_scan_algorithmE0ELj4294967295EEENS1_25partition_config_selectorILNS1_17partition_subalgoE3EjNS0_10empty_typeEbEEZZNS1_14partition_implILS8_3ELb0ES6_jNS0_17counting_iteratorIjlEEPS9_SE_NS0_5tupleIJPjSE_EEENSF_IJSE_SE_EEES9_SG_JZNS1_25segmented_radix_sort_implINS0_14default_configELb1EPKbPbPKlPlN2at6native12_GLOBAL__N_18offset_tEEE10hipError_tPvRmT1_PNSt15iterator_traitsISY_E10value_typeET2_T3_PNSZ_IS14_E10value_typeET4_jRbjT5_S1A_jjP12ihipStream_tbEUljE_EEESV_SW_SX_S14_S18_S1A_T6_T7_T9_mT8_S1C_bDpT10_ENKUlT_T0_E_clISt17integral_constantIbLb1EES1P_EEDaS1K_S1L_EUlS1K_E_NS1_11comp_targetILNS1_3genE9ELNS1_11target_archE1100ELNS1_3gpuE3ELNS1_3repE0EEENS1_30default_config_static_selectorELNS0_4arch9wavefront6targetE0EEEvSY_.num_vgpr, 0
	.set _ZN7rocprim17ROCPRIM_400000_NS6detail17trampoline_kernelINS0_13select_configILj256ELj13ELNS0_17block_load_methodE3ELS4_3ELS4_3ELNS0_20block_scan_algorithmE0ELj4294967295EEENS1_25partition_config_selectorILNS1_17partition_subalgoE3EjNS0_10empty_typeEbEEZZNS1_14partition_implILS8_3ELb0ES6_jNS0_17counting_iteratorIjlEEPS9_SE_NS0_5tupleIJPjSE_EEENSF_IJSE_SE_EEES9_SG_JZNS1_25segmented_radix_sort_implINS0_14default_configELb1EPKbPbPKlPlN2at6native12_GLOBAL__N_18offset_tEEE10hipError_tPvRmT1_PNSt15iterator_traitsISY_E10value_typeET2_T3_PNSZ_IS14_E10value_typeET4_jRbjT5_S1A_jjP12ihipStream_tbEUljE_EEESV_SW_SX_S14_S18_S1A_T6_T7_T9_mT8_S1C_bDpT10_ENKUlT_T0_E_clISt17integral_constantIbLb1EES1P_EEDaS1K_S1L_EUlS1K_E_NS1_11comp_targetILNS1_3genE9ELNS1_11target_archE1100ELNS1_3gpuE3ELNS1_3repE0EEENS1_30default_config_static_selectorELNS0_4arch9wavefront6targetE0EEEvSY_.num_agpr, 0
	.set _ZN7rocprim17ROCPRIM_400000_NS6detail17trampoline_kernelINS0_13select_configILj256ELj13ELNS0_17block_load_methodE3ELS4_3ELS4_3ELNS0_20block_scan_algorithmE0ELj4294967295EEENS1_25partition_config_selectorILNS1_17partition_subalgoE3EjNS0_10empty_typeEbEEZZNS1_14partition_implILS8_3ELb0ES6_jNS0_17counting_iteratorIjlEEPS9_SE_NS0_5tupleIJPjSE_EEENSF_IJSE_SE_EEES9_SG_JZNS1_25segmented_radix_sort_implINS0_14default_configELb1EPKbPbPKlPlN2at6native12_GLOBAL__N_18offset_tEEE10hipError_tPvRmT1_PNSt15iterator_traitsISY_E10value_typeET2_T3_PNSZ_IS14_E10value_typeET4_jRbjT5_S1A_jjP12ihipStream_tbEUljE_EEESV_SW_SX_S14_S18_S1A_T6_T7_T9_mT8_S1C_bDpT10_ENKUlT_T0_E_clISt17integral_constantIbLb1EES1P_EEDaS1K_S1L_EUlS1K_E_NS1_11comp_targetILNS1_3genE9ELNS1_11target_archE1100ELNS1_3gpuE3ELNS1_3repE0EEENS1_30default_config_static_selectorELNS0_4arch9wavefront6targetE0EEEvSY_.numbered_sgpr, 0
	.set _ZN7rocprim17ROCPRIM_400000_NS6detail17trampoline_kernelINS0_13select_configILj256ELj13ELNS0_17block_load_methodE3ELS4_3ELS4_3ELNS0_20block_scan_algorithmE0ELj4294967295EEENS1_25partition_config_selectorILNS1_17partition_subalgoE3EjNS0_10empty_typeEbEEZZNS1_14partition_implILS8_3ELb0ES6_jNS0_17counting_iteratorIjlEEPS9_SE_NS0_5tupleIJPjSE_EEENSF_IJSE_SE_EEES9_SG_JZNS1_25segmented_radix_sort_implINS0_14default_configELb1EPKbPbPKlPlN2at6native12_GLOBAL__N_18offset_tEEE10hipError_tPvRmT1_PNSt15iterator_traitsISY_E10value_typeET2_T3_PNSZ_IS14_E10value_typeET4_jRbjT5_S1A_jjP12ihipStream_tbEUljE_EEESV_SW_SX_S14_S18_S1A_T6_T7_T9_mT8_S1C_bDpT10_ENKUlT_T0_E_clISt17integral_constantIbLb1EES1P_EEDaS1K_S1L_EUlS1K_E_NS1_11comp_targetILNS1_3genE9ELNS1_11target_archE1100ELNS1_3gpuE3ELNS1_3repE0EEENS1_30default_config_static_selectorELNS0_4arch9wavefront6targetE0EEEvSY_.num_named_barrier, 0
	.set _ZN7rocprim17ROCPRIM_400000_NS6detail17trampoline_kernelINS0_13select_configILj256ELj13ELNS0_17block_load_methodE3ELS4_3ELS4_3ELNS0_20block_scan_algorithmE0ELj4294967295EEENS1_25partition_config_selectorILNS1_17partition_subalgoE3EjNS0_10empty_typeEbEEZZNS1_14partition_implILS8_3ELb0ES6_jNS0_17counting_iteratorIjlEEPS9_SE_NS0_5tupleIJPjSE_EEENSF_IJSE_SE_EEES9_SG_JZNS1_25segmented_radix_sort_implINS0_14default_configELb1EPKbPbPKlPlN2at6native12_GLOBAL__N_18offset_tEEE10hipError_tPvRmT1_PNSt15iterator_traitsISY_E10value_typeET2_T3_PNSZ_IS14_E10value_typeET4_jRbjT5_S1A_jjP12ihipStream_tbEUljE_EEESV_SW_SX_S14_S18_S1A_T6_T7_T9_mT8_S1C_bDpT10_ENKUlT_T0_E_clISt17integral_constantIbLb1EES1P_EEDaS1K_S1L_EUlS1K_E_NS1_11comp_targetILNS1_3genE9ELNS1_11target_archE1100ELNS1_3gpuE3ELNS1_3repE0EEENS1_30default_config_static_selectorELNS0_4arch9wavefront6targetE0EEEvSY_.private_seg_size, 0
	.set _ZN7rocprim17ROCPRIM_400000_NS6detail17trampoline_kernelINS0_13select_configILj256ELj13ELNS0_17block_load_methodE3ELS4_3ELS4_3ELNS0_20block_scan_algorithmE0ELj4294967295EEENS1_25partition_config_selectorILNS1_17partition_subalgoE3EjNS0_10empty_typeEbEEZZNS1_14partition_implILS8_3ELb0ES6_jNS0_17counting_iteratorIjlEEPS9_SE_NS0_5tupleIJPjSE_EEENSF_IJSE_SE_EEES9_SG_JZNS1_25segmented_radix_sort_implINS0_14default_configELb1EPKbPbPKlPlN2at6native12_GLOBAL__N_18offset_tEEE10hipError_tPvRmT1_PNSt15iterator_traitsISY_E10value_typeET2_T3_PNSZ_IS14_E10value_typeET4_jRbjT5_S1A_jjP12ihipStream_tbEUljE_EEESV_SW_SX_S14_S18_S1A_T6_T7_T9_mT8_S1C_bDpT10_ENKUlT_T0_E_clISt17integral_constantIbLb1EES1P_EEDaS1K_S1L_EUlS1K_E_NS1_11comp_targetILNS1_3genE9ELNS1_11target_archE1100ELNS1_3gpuE3ELNS1_3repE0EEENS1_30default_config_static_selectorELNS0_4arch9wavefront6targetE0EEEvSY_.uses_vcc, 0
	.set _ZN7rocprim17ROCPRIM_400000_NS6detail17trampoline_kernelINS0_13select_configILj256ELj13ELNS0_17block_load_methodE3ELS4_3ELS4_3ELNS0_20block_scan_algorithmE0ELj4294967295EEENS1_25partition_config_selectorILNS1_17partition_subalgoE3EjNS0_10empty_typeEbEEZZNS1_14partition_implILS8_3ELb0ES6_jNS0_17counting_iteratorIjlEEPS9_SE_NS0_5tupleIJPjSE_EEENSF_IJSE_SE_EEES9_SG_JZNS1_25segmented_radix_sort_implINS0_14default_configELb1EPKbPbPKlPlN2at6native12_GLOBAL__N_18offset_tEEE10hipError_tPvRmT1_PNSt15iterator_traitsISY_E10value_typeET2_T3_PNSZ_IS14_E10value_typeET4_jRbjT5_S1A_jjP12ihipStream_tbEUljE_EEESV_SW_SX_S14_S18_S1A_T6_T7_T9_mT8_S1C_bDpT10_ENKUlT_T0_E_clISt17integral_constantIbLb1EES1P_EEDaS1K_S1L_EUlS1K_E_NS1_11comp_targetILNS1_3genE9ELNS1_11target_archE1100ELNS1_3gpuE3ELNS1_3repE0EEENS1_30default_config_static_selectorELNS0_4arch9wavefront6targetE0EEEvSY_.uses_flat_scratch, 0
	.set _ZN7rocprim17ROCPRIM_400000_NS6detail17trampoline_kernelINS0_13select_configILj256ELj13ELNS0_17block_load_methodE3ELS4_3ELS4_3ELNS0_20block_scan_algorithmE0ELj4294967295EEENS1_25partition_config_selectorILNS1_17partition_subalgoE3EjNS0_10empty_typeEbEEZZNS1_14partition_implILS8_3ELb0ES6_jNS0_17counting_iteratorIjlEEPS9_SE_NS0_5tupleIJPjSE_EEENSF_IJSE_SE_EEES9_SG_JZNS1_25segmented_radix_sort_implINS0_14default_configELb1EPKbPbPKlPlN2at6native12_GLOBAL__N_18offset_tEEE10hipError_tPvRmT1_PNSt15iterator_traitsISY_E10value_typeET2_T3_PNSZ_IS14_E10value_typeET4_jRbjT5_S1A_jjP12ihipStream_tbEUljE_EEESV_SW_SX_S14_S18_S1A_T6_T7_T9_mT8_S1C_bDpT10_ENKUlT_T0_E_clISt17integral_constantIbLb1EES1P_EEDaS1K_S1L_EUlS1K_E_NS1_11comp_targetILNS1_3genE9ELNS1_11target_archE1100ELNS1_3gpuE3ELNS1_3repE0EEENS1_30default_config_static_selectorELNS0_4arch9wavefront6targetE0EEEvSY_.has_dyn_sized_stack, 0
	.set _ZN7rocprim17ROCPRIM_400000_NS6detail17trampoline_kernelINS0_13select_configILj256ELj13ELNS0_17block_load_methodE3ELS4_3ELS4_3ELNS0_20block_scan_algorithmE0ELj4294967295EEENS1_25partition_config_selectorILNS1_17partition_subalgoE3EjNS0_10empty_typeEbEEZZNS1_14partition_implILS8_3ELb0ES6_jNS0_17counting_iteratorIjlEEPS9_SE_NS0_5tupleIJPjSE_EEENSF_IJSE_SE_EEES9_SG_JZNS1_25segmented_radix_sort_implINS0_14default_configELb1EPKbPbPKlPlN2at6native12_GLOBAL__N_18offset_tEEE10hipError_tPvRmT1_PNSt15iterator_traitsISY_E10value_typeET2_T3_PNSZ_IS14_E10value_typeET4_jRbjT5_S1A_jjP12ihipStream_tbEUljE_EEESV_SW_SX_S14_S18_S1A_T6_T7_T9_mT8_S1C_bDpT10_ENKUlT_T0_E_clISt17integral_constantIbLb1EES1P_EEDaS1K_S1L_EUlS1K_E_NS1_11comp_targetILNS1_3genE9ELNS1_11target_archE1100ELNS1_3gpuE3ELNS1_3repE0EEENS1_30default_config_static_selectorELNS0_4arch9wavefront6targetE0EEEvSY_.has_recursion, 0
	.set _ZN7rocprim17ROCPRIM_400000_NS6detail17trampoline_kernelINS0_13select_configILj256ELj13ELNS0_17block_load_methodE3ELS4_3ELS4_3ELNS0_20block_scan_algorithmE0ELj4294967295EEENS1_25partition_config_selectorILNS1_17partition_subalgoE3EjNS0_10empty_typeEbEEZZNS1_14partition_implILS8_3ELb0ES6_jNS0_17counting_iteratorIjlEEPS9_SE_NS0_5tupleIJPjSE_EEENSF_IJSE_SE_EEES9_SG_JZNS1_25segmented_radix_sort_implINS0_14default_configELb1EPKbPbPKlPlN2at6native12_GLOBAL__N_18offset_tEEE10hipError_tPvRmT1_PNSt15iterator_traitsISY_E10value_typeET2_T3_PNSZ_IS14_E10value_typeET4_jRbjT5_S1A_jjP12ihipStream_tbEUljE_EEESV_SW_SX_S14_S18_S1A_T6_T7_T9_mT8_S1C_bDpT10_ENKUlT_T0_E_clISt17integral_constantIbLb1EES1P_EEDaS1K_S1L_EUlS1K_E_NS1_11comp_targetILNS1_3genE9ELNS1_11target_archE1100ELNS1_3gpuE3ELNS1_3repE0EEENS1_30default_config_static_selectorELNS0_4arch9wavefront6targetE0EEEvSY_.has_indirect_call, 0
	.section	.AMDGPU.csdata,"",@progbits
; Kernel info:
; codeLenInByte = 0
; TotalNumSgprs: 0
; NumVgprs: 0
; ScratchSize: 0
; MemoryBound: 0
; FloatMode: 240
; IeeeMode: 1
; LDSByteSize: 0 bytes/workgroup (compile time only)
; SGPRBlocks: 0
; VGPRBlocks: 0
; NumSGPRsForWavesPerEU: 1
; NumVGPRsForWavesPerEU: 1
; Occupancy: 16
; WaveLimiterHint : 0
; COMPUTE_PGM_RSRC2:SCRATCH_EN: 0
; COMPUTE_PGM_RSRC2:USER_SGPR: 6
; COMPUTE_PGM_RSRC2:TRAP_HANDLER: 0
; COMPUTE_PGM_RSRC2:TGID_X_EN: 1
; COMPUTE_PGM_RSRC2:TGID_Y_EN: 0
; COMPUTE_PGM_RSRC2:TGID_Z_EN: 0
; COMPUTE_PGM_RSRC2:TIDIG_COMP_CNT: 0
	.section	.text._ZN7rocprim17ROCPRIM_400000_NS6detail17trampoline_kernelINS0_13select_configILj256ELj13ELNS0_17block_load_methodE3ELS4_3ELS4_3ELNS0_20block_scan_algorithmE0ELj4294967295EEENS1_25partition_config_selectorILNS1_17partition_subalgoE3EjNS0_10empty_typeEbEEZZNS1_14partition_implILS8_3ELb0ES6_jNS0_17counting_iteratorIjlEEPS9_SE_NS0_5tupleIJPjSE_EEENSF_IJSE_SE_EEES9_SG_JZNS1_25segmented_radix_sort_implINS0_14default_configELb1EPKbPbPKlPlN2at6native12_GLOBAL__N_18offset_tEEE10hipError_tPvRmT1_PNSt15iterator_traitsISY_E10value_typeET2_T3_PNSZ_IS14_E10value_typeET4_jRbjT5_S1A_jjP12ihipStream_tbEUljE_EEESV_SW_SX_S14_S18_S1A_T6_T7_T9_mT8_S1C_bDpT10_ENKUlT_T0_E_clISt17integral_constantIbLb1EES1P_EEDaS1K_S1L_EUlS1K_E_NS1_11comp_targetILNS1_3genE8ELNS1_11target_archE1030ELNS1_3gpuE2ELNS1_3repE0EEENS1_30default_config_static_selectorELNS0_4arch9wavefront6targetE0EEEvSY_,"axG",@progbits,_ZN7rocprim17ROCPRIM_400000_NS6detail17trampoline_kernelINS0_13select_configILj256ELj13ELNS0_17block_load_methodE3ELS4_3ELS4_3ELNS0_20block_scan_algorithmE0ELj4294967295EEENS1_25partition_config_selectorILNS1_17partition_subalgoE3EjNS0_10empty_typeEbEEZZNS1_14partition_implILS8_3ELb0ES6_jNS0_17counting_iteratorIjlEEPS9_SE_NS0_5tupleIJPjSE_EEENSF_IJSE_SE_EEES9_SG_JZNS1_25segmented_radix_sort_implINS0_14default_configELb1EPKbPbPKlPlN2at6native12_GLOBAL__N_18offset_tEEE10hipError_tPvRmT1_PNSt15iterator_traitsISY_E10value_typeET2_T3_PNSZ_IS14_E10value_typeET4_jRbjT5_S1A_jjP12ihipStream_tbEUljE_EEESV_SW_SX_S14_S18_S1A_T6_T7_T9_mT8_S1C_bDpT10_ENKUlT_T0_E_clISt17integral_constantIbLb1EES1P_EEDaS1K_S1L_EUlS1K_E_NS1_11comp_targetILNS1_3genE8ELNS1_11target_archE1030ELNS1_3gpuE2ELNS1_3repE0EEENS1_30default_config_static_selectorELNS0_4arch9wavefront6targetE0EEEvSY_,comdat
	.globl	_ZN7rocprim17ROCPRIM_400000_NS6detail17trampoline_kernelINS0_13select_configILj256ELj13ELNS0_17block_load_methodE3ELS4_3ELS4_3ELNS0_20block_scan_algorithmE0ELj4294967295EEENS1_25partition_config_selectorILNS1_17partition_subalgoE3EjNS0_10empty_typeEbEEZZNS1_14partition_implILS8_3ELb0ES6_jNS0_17counting_iteratorIjlEEPS9_SE_NS0_5tupleIJPjSE_EEENSF_IJSE_SE_EEES9_SG_JZNS1_25segmented_radix_sort_implINS0_14default_configELb1EPKbPbPKlPlN2at6native12_GLOBAL__N_18offset_tEEE10hipError_tPvRmT1_PNSt15iterator_traitsISY_E10value_typeET2_T3_PNSZ_IS14_E10value_typeET4_jRbjT5_S1A_jjP12ihipStream_tbEUljE_EEESV_SW_SX_S14_S18_S1A_T6_T7_T9_mT8_S1C_bDpT10_ENKUlT_T0_E_clISt17integral_constantIbLb1EES1P_EEDaS1K_S1L_EUlS1K_E_NS1_11comp_targetILNS1_3genE8ELNS1_11target_archE1030ELNS1_3gpuE2ELNS1_3repE0EEENS1_30default_config_static_selectorELNS0_4arch9wavefront6targetE0EEEvSY_ ; -- Begin function _ZN7rocprim17ROCPRIM_400000_NS6detail17trampoline_kernelINS0_13select_configILj256ELj13ELNS0_17block_load_methodE3ELS4_3ELS4_3ELNS0_20block_scan_algorithmE0ELj4294967295EEENS1_25partition_config_selectorILNS1_17partition_subalgoE3EjNS0_10empty_typeEbEEZZNS1_14partition_implILS8_3ELb0ES6_jNS0_17counting_iteratorIjlEEPS9_SE_NS0_5tupleIJPjSE_EEENSF_IJSE_SE_EEES9_SG_JZNS1_25segmented_radix_sort_implINS0_14default_configELb1EPKbPbPKlPlN2at6native12_GLOBAL__N_18offset_tEEE10hipError_tPvRmT1_PNSt15iterator_traitsISY_E10value_typeET2_T3_PNSZ_IS14_E10value_typeET4_jRbjT5_S1A_jjP12ihipStream_tbEUljE_EEESV_SW_SX_S14_S18_S1A_T6_T7_T9_mT8_S1C_bDpT10_ENKUlT_T0_E_clISt17integral_constantIbLb1EES1P_EEDaS1K_S1L_EUlS1K_E_NS1_11comp_targetILNS1_3genE8ELNS1_11target_archE1030ELNS1_3gpuE2ELNS1_3repE0EEENS1_30default_config_static_selectorELNS0_4arch9wavefront6targetE0EEEvSY_
	.p2align	8
	.type	_ZN7rocprim17ROCPRIM_400000_NS6detail17trampoline_kernelINS0_13select_configILj256ELj13ELNS0_17block_load_methodE3ELS4_3ELS4_3ELNS0_20block_scan_algorithmE0ELj4294967295EEENS1_25partition_config_selectorILNS1_17partition_subalgoE3EjNS0_10empty_typeEbEEZZNS1_14partition_implILS8_3ELb0ES6_jNS0_17counting_iteratorIjlEEPS9_SE_NS0_5tupleIJPjSE_EEENSF_IJSE_SE_EEES9_SG_JZNS1_25segmented_radix_sort_implINS0_14default_configELb1EPKbPbPKlPlN2at6native12_GLOBAL__N_18offset_tEEE10hipError_tPvRmT1_PNSt15iterator_traitsISY_E10value_typeET2_T3_PNSZ_IS14_E10value_typeET4_jRbjT5_S1A_jjP12ihipStream_tbEUljE_EEESV_SW_SX_S14_S18_S1A_T6_T7_T9_mT8_S1C_bDpT10_ENKUlT_T0_E_clISt17integral_constantIbLb1EES1P_EEDaS1K_S1L_EUlS1K_E_NS1_11comp_targetILNS1_3genE8ELNS1_11target_archE1030ELNS1_3gpuE2ELNS1_3repE0EEENS1_30default_config_static_selectorELNS0_4arch9wavefront6targetE0EEEvSY_,@function
_ZN7rocprim17ROCPRIM_400000_NS6detail17trampoline_kernelINS0_13select_configILj256ELj13ELNS0_17block_load_methodE3ELS4_3ELS4_3ELNS0_20block_scan_algorithmE0ELj4294967295EEENS1_25partition_config_selectorILNS1_17partition_subalgoE3EjNS0_10empty_typeEbEEZZNS1_14partition_implILS8_3ELb0ES6_jNS0_17counting_iteratorIjlEEPS9_SE_NS0_5tupleIJPjSE_EEENSF_IJSE_SE_EEES9_SG_JZNS1_25segmented_radix_sort_implINS0_14default_configELb1EPKbPbPKlPlN2at6native12_GLOBAL__N_18offset_tEEE10hipError_tPvRmT1_PNSt15iterator_traitsISY_E10value_typeET2_T3_PNSZ_IS14_E10value_typeET4_jRbjT5_S1A_jjP12ihipStream_tbEUljE_EEESV_SW_SX_S14_S18_S1A_T6_T7_T9_mT8_S1C_bDpT10_ENKUlT_T0_E_clISt17integral_constantIbLb1EES1P_EEDaS1K_S1L_EUlS1K_E_NS1_11comp_targetILNS1_3genE8ELNS1_11target_archE1030ELNS1_3gpuE2ELNS1_3repE0EEENS1_30default_config_static_selectorELNS0_4arch9wavefront6targetE0EEEvSY_: ; @_ZN7rocprim17ROCPRIM_400000_NS6detail17trampoline_kernelINS0_13select_configILj256ELj13ELNS0_17block_load_methodE3ELS4_3ELS4_3ELNS0_20block_scan_algorithmE0ELj4294967295EEENS1_25partition_config_selectorILNS1_17partition_subalgoE3EjNS0_10empty_typeEbEEZZNS1_14partition_implILS8_3ELb0ES6_jNS0_17counting_iteratorIjlEEPS9_SE_NS0_5tupleIJPjSE_EEENSF_IJSE_SE_EEES9_SG_JZNS1_25segmented_radix_sort_implINS0_14default_configELb1EPKbPbPKlPlN2at6native12_GLOBAL__N_18offset_tEEE10hipError_tPvRmT1_PNSt15iterator_traitsISY_E10value_typeET2_T3_PNSZ_IS14_E10value_typeET4_jRbjT5_S1A_jjP12ihipStream_tbEUljE_EEESV_SW_SX_S14_S18_S1A_T6_T7_T9_mT8_S1C_bDpT10_ENKUlT_T0_E_clISt17integral_constantIbLb1EES1P_EEDaS1K_S1L_EUlS1K_E_NS1_11comp_targetILNS1_3genE8ELNS1_11target_archE1030ELNS1_3gpuE2ELNS1_3repE0EEENS1_30default_config_static_selectorELNS0_4arch9wavefront6targetE0EEEvSY_
; %bb.0:
	s_endpgm
	.section	.rodata,"a",@progbits
	.p2align	6, 0x0
	.amdhsa_kernel _ZN7rocprim17ROCPRIM_400000_NS6detail17trampoline_kernelINS0_13select_configILj256ELj13ELNS0_17block_load_methodE3ELS4_3ELS4_3ELNS0_20block_scan_algorithmE0ELj4294967295EEENS1_25partition_config_selectorILNS1_17partition_subalgoE3EjNS0_10empty_typeEbEEZZNS1_14partition_implILS8_3ELb0ES6_jNS0_17counting_iteratorIjlEEPS9_SE_NS0_5tupleIJPjSE_EEENSF_IJSE_SE_EEES9_SG_JZNS1_25segmented_radix_sort_implINS0_14default_configELb1EPKbPbPKlPlN2at6native12_GLOBAL__N_18offset_tEEE10hipError_tPvRmT1_PNSt15iterator_traitsISY_E10value_typeET2_T3_PNSZ_IS14_E10value_typeET4_jRbjT5_S1A_jjP12ihipStream_tbEUljE_EEESV_SW_SX_S14_S18_S1A_T6_T7_T9_mT8_S1C_bDpT10_ENKUlT_T0_E_clISt17integral_constantIbLb1EES1P_EEDaS1K_S1L_EUlS1K_E_NS1_11comp_targetILNS1_3genE8ELNS1_11target_archE1030ELNS1_3gpuE2ELNS1_3repE0EEENS1_30default_config_static_selectorELNS0_4arch9wavefront6targetE0EEEvSY_
		.amdhsa_group_segment_fixed_size 0
		.amdhsa_private_segment_fixed_size 0
		.amdhsa_kernarg_size 152
		.amdhsa_user_sgpr_count 6
		.amdhsa_user_sgpr_private_segment_buffer 1
		.amdhsa_user_sgpr_dispatch_ptr 0
		.amdhsa_user_sgpr_queue_ptr 0
		.amdhsa_user_sgpr_kernarg_segment_ptr 1
		.amdhsa_user_sgpr_dispatch_id 0
		.amdhsa_user_sgpr_flat_scratch_init 0
		.amdhsa_user_sgpr_private_segment_size 0
		.amdhsa_wavefront_size32 1
		.amdhsa_uses_dynamic_stack 0
		.amdhsa_system_sgpr_private_segment_wavefront_offset 0
		.amdhsa_system_sgpr_workgroup_id_x 1
		.amdhsa_system_sgpr_workgroup_id_y 0
		.amdhsa_system_sgpr_workgroup_id_z 0
		.amdhsa_system_sgpr_workgroup_info 0
		.amdhsa_system_vgpr_workitem_id 0
		.amdhsa_next_free_vgpr 1
		.amdhsa_next_free_sgpr 1
		.amdhsa_reserve_vcc 0
		.amdhsa_reserve_flat_scratch 0
		.amdhsa_float_round_mode_32 0
		.amdhsa_float_round_mode_16_64 0
		.amdhsa_float_denorm_mode_32 3
		.amdhsa_float_denorm_mode_16_64 3
		.amdhsa_dx10_clamp 1
		.amdhsa_ieee_mode 1
		.amdhsa_fp16_overflow 0
		.amdhsa_workgroup_processor_mode 1
		.amdhsa_memory_ordered 1
		.amdhsa_forward_progress 1
		.amdhsa_shared_vgpr_count 0
		.amdhsa_exception_fp_ieee_invalid_op 0
		.amdhsa_exception_fp_denorm_src 0
		.amdhsa_exception_fp_ieee_div_zero 0
		.amdhsa_exception_fp_ieee_overflow 0
		.amdhsa_exception_fp_ieee_underflow 0
		.amdhsa_exception_fp_ieee_inexact 0
		.amdhsa_exception_int_div_zero 0
	.end_amdhsa_kernel
	.section	.text._ZN7rocprim17ROCPRIM_400000_NS6detail17trampoline_kernelINS0_13select_configILj256ELj13ELNS0_17block_load_methodE3ELS4_3ELS4_3ELNS0_20block_scan_algorithmE0ELj4294967295EEENS1_25partition_config_selectorILNS1_17partition_subalgoE3EjNS0_10empty_typeEbEEZZNS1_14partition_implILS8_3ELb0ES6_jNS0_17counting_iteratorIjlEEPS9_SE_NS0_5tupleIJPjSE_EEENSF_IJSE_SE_EEES9_SG_JZNS1_25segmented_radix_sort_implINS0_14default_configELb1EPKbPbPKlPlN2at6native12_GLOBAL__N_18offset_tEEE10hipError_tPvRmT1_PNSt15iterator_traitsISY_E10value_typeET2_T3_PNSZ_IS14_E10value_typeET4_jRbjT5_S1A_jjP12ihipStream_tbEUljE_EEESV_SW_SX_S14_S18_S1A_T6_T7_T9_mT8_S1C_bDpT10_ENKUlT_T0_E_clISt17integral_constantIbLb1EES1P_EEDaS1K_S1L_EUlS1K_E_NS1_11comp_targetILNS1_3genE8ELNS1_11target_archE1030ELNS1_3gpuE2ELNS1_3repE0EEENS1_30default_config_static_selectorELNS0_4arch9wavefront6targetE0EEEvSY_,"axG",@progbits,_ZN7rocprim17ROCPRIM_400000_NS6detail17trampoline_kernelINS0_13select_configILj256ELj13ELNS0_17block_load_methodE3ELS4_3ELS4_3ELNS0_20block_scan_algorithmE0ELj4294967295EEENS1_25partition_config_selectorILNS1_17partition_subalgoE3EjNS0_10empty_typeEbEEZZNS1_14partition_implILS8_3ELb0ES6_jNS0_17counting_iteratorIjlEEPS9_SE_NS0_5tupleIJPjSE_EEENSF_IJSE_SE_EEES9_SG_JZNS1_25segmented_radix_sort_implINS0_14default_configELb1EPKbPbPKlPlN2at6native12_GLOBAL__N_18offset_tEEE10hipError_tPvRmT1_PNSt15iterator_traitsISY_E10value_typeET2_T3_PNSZ_IS14_E10value_typeET4_jRbjT5_S1A_jjP12ihipStream_tbEUljE_EEESV_SW_SX_S14_S18_S1A_T6_T7_T9_mT8_S1C_bDpT10_ENKUlT_T0_E_clISt17integral_constantIbLb1EES1P_EEDaS1K_S1L_EUlS1K_E_NS1_11comp_targetILNS1_3genE8ELNS1_11target_archE1030ELNS1_3gpuE2ELNS1_3repE0EEENS1_30default_config_static_selectorELNS0_4arch9wavefront6targetE0EEEvSY_,comdat
.Lfunc_end1507:
	.size	_ZN7rocprim17ROCPRIM_400000_NS6detail17trampoline_kernelINS0_13select_configILj256ELj13ELNS0_17block_load_methodE3ELS4_3ELS4_3ELNS0_20block_scan_algorithmE0ELj4294967295EEENS1_25partition_config_selectorILNS1_17partition_subalgoE3EjNS0_10empty_typeEbEEZZNS1_14partition_implILS8_3ELb0ES6_jNS0_17counting_iteratorIjlEEPS9_SE_NS0_5tupleIJPjSE_EEENSF_IJSE_SE_EEES9_SG_JZNS1_25segmented_radix_sort_implINS0_14default_configELb1EPKbPbPKlPlN2at6native12_GLOBAL__N_18offset_tEEE10hipError_tPvRmT1_PNSt15iterator_traitsISY_E10value_typeET2_T3_PNSZ_IS14_E10value_typeET4_jRbjT5_S1A_jjP12ihipStream_tbEUljE_EEESV_SW_SX_S14_S18_S1A_T6_T7_T9_mT8_S1C_bDpT10_ENKUlT_T0_E_clISt17integral_constantIbLb1EES1P_EEDaS1K_S1L_EUlS1K_E_NS1_11comp_targetILNS1_3genE8ELNS1_11target_archE1030ELNS1_3gpuE2ELNS1_3repE0EEENS1_30default_config_static_selectorELNS0_4arch9wavefront6targetE0EEEvSY_, .Lfunc_end1507-_ZN7rocprim17ROCPRIM_400000_NS6detail17trampoline_kernelINS0_13select_configILj256ELj13ELNS0_17block_load_methodE3ELS4_3ELS4_3ELNS0_20block_scan_algorithmE0ELj4294967295EEENS1_25partition_config_selectorILNS1_17partition_subalgoE3EjNS0_10empty_typeEbEEZZNS1_14partition_implILS8_3ELb0ES6_jNS0_17counting_iteratorIjlEEPS9_SE_NS0_5tupleIJPjSE_EEENSF_IJSE_SE_EEES9_SG_JZNS1_25segmented_radix_sort_implINS0_14default_configELb1EPKbPbPKlPlN2at6native12_GLOBAL__N_18offset_tEEE10hipError_tPvRmT1_PNSt15iterator_traitsISY_E10value_typeET2_T3_PNSZ_IS14_E10value_typeET4_jRbjT5_S1A_jjP12ihipStream_tbEUljE_EEESV_SW_SX_S14_S18_S1A_T6_T7_T9_mT8_S1C_bDpT10_ENKUlT_T0_E_clISt17integral_constantIbLb1EES1P_EEDaS1K_S1L_EUlS1K_E_NS1_11comp_targetILNS1_3genE8ELNS1_11target_archE1030ELNS1_3gpuE2ELNS1_3repE0EEENS1_30default_config_static_selectorELNS0_4arch9wavefront6targetE0EEEvSY_
                                        ; -- End function
	.set _ZN7rocprim17ROCPRIM_400000_NS6detail17trampoline_kernelINS0_13select_configILj256ELj13ELNS0_17block_load_methodE3ELS4_3ELS4_3ELNS0_20block_scan_algorithmE0ELj4294967295EEENS1_25partition_config_selectorILNS1_17partition_subalgoE3EjNS0_10empty_typeEbEEZZNS1_14partition_implILS8_3ELb0ES6_jNS0_17counting_iteratorIjlEEPS9_SE_NS0_5tupleIJPjSE_EEENSF_IJSE_SE_EEES9_SG_JZNS1_25segmented_radix_sort_implINS0_14default_configELb1EPKbPbPKlPlN2at6native12_GLOBAL__N_18offset_tEEE10hipError_tPvRmT1_PNSt15iterator_traitsISY_E10value_typeET2_T3_PNSZ_IS14_E10value_typeET4_jRbjT5_S1A_jjP12ihipStream_tbEUljE_EEESV_SW_SX_S14_S18_S1A_T6_T7_T9_mT8_S1C_bDpT10_ENKUlT_T0_E_clISt17integral_constantIbLb1EES1P_EEDaS1K_S1L_EUlS1K_E_NS1_11comp_targetILNS1_3genE8ELNS1_11target_archE1030ELNS1_3gpuE2ELNS1_3repE0EEENS1_30default_config_static_selectorELNS0_4arch9wavefront6targetE0EEEvSY_.num_vgpr, 0
	.set _ZN7rocprim17ROCPRIM_400000_NS6detail17trampoline_kernelINS0_13select_configILj256ELj13ELNS0_17block_load_methodE3ELS4_3ELS4_3ELNS0_20block_scan_algorithmE0ELj4294967295EEENS1_25partition_config_selectorILNS1_17partition_subalgoE3EjNS0_10empty_typeEbEEZZNS1_14partition_implILS8_3ELb0ES6_jNS0_17counting_iteratorIjlEEPS9_SE_NS0_5tupleIJPjSE_EEENSF_IJSE_SE_EEES9_SG_JZNS1_25segmented_radix_sort_implINS0_14default_configELb1EPKbPbPKlPlN2at6native12_GLOBAL__N_18offset_tEEE10hipError_tPvRmT1_PNSt15iterator_traitsISY_E10value_typeET2_T3_PNSZ_IS14_E10value_typeET4_jRbjT5_S1A_jjP12ihipStream_tbEUljE_EEESV_SW_SX_S14_S18_S1A_T6_T7_T9_mT8_S1C_bDpT10_ENKUlT_T0_E_clISt17integral_constantIbLb1EES1P_EEDaS1K_S1L_EUlS1K_E_NS1_11comp_targetILNS1_3genE8ELNS1_11target_archE1030ELNS1_3gpuE2ELNS1_3repE0EEENS1_30default_config_static_selectorELNS0_4arch9wavefront6targetE0EEEvSY_.num_agpr, 0
	.set _ZN7rocprim17ROCPRIM_400000_NS6detail17trampoline_kernelINS0_13select_configILj256ELj13ELNS0_17block_load_methodE3ELS4_3ELS4_3ELNS0_20block_scan_algorithmE0ELj4294967295EEENS1_25partition_config_selectorILNS1_17partition_subalgoE3EjNS0_10empty_typeEbEEZZNS1_14partition_implILS8_3ELb0ES6_jNS0_17counting_iteratorIjlEEPS9_SE_NS0_5tupleIJPjSE_EEENSF_IJSE_SE_EEES9_SG_JZNS1_25segmented_radix_sort_implINS0_14default_configELb1EPKbPbPKlPlN2at6native12_GLOBAL__N_18offset_tEEE10hipError_tPvRmT1_PNSt15iterator_traitsISY_E10value_typeET2_T3_PNSZ_IS14_E10value_typeET4_jRbjT5_S1A_jjP12ihipStream_tbEUljE_EEESV_SW_SX_S14_S18_S1A_T6_T7_T9_mT8_S1C_bDpT10_ENKUlT_T0_E_clISt17integral_constantIbLb1EES1P_EEDaS1K_S1L_EUlS1K_E_NS1_11comp_targetILNS1_3genE8ELNS1_11target_archE1030ELNS1_3gpuE2ELNS1_3repE0EEENS1_30default_config_static_selectorELNS0_4arch9wavefront6targetE0EEEvSY_.numbered_sgpr, 0
	.set _ZN7rocprim17ROCPRIM_400000_NS6detail17trampoline_kernelINS0_13select_configILj256ELj13ELNS0_17block_load_methodE3ELS4_3ELS4_3ELNS0_20block_scan_algorithmE0ELj4294967295EEENS1_25partition_config_selectorILNS1_17partition_subalgoE3EjNS0_10empty_typeEbEEZZNS1_14partition_implILS8_3ELb0ES6_jNS0_17counting_iteratorIjlEEPS9_SE_NS0_5tupleIJPjSE_EEENSF_IJSE_SE_EEES9_SG_JZNS1_25segmented_radix_sort_implINS0_14default_configELb1EPKbPbPKlPlN2at6native12_GLOBAL__N_18offset_tEEE10hipError_tPvRmT1_PNSt15iterator_traitsISY_E10value_typeET2_T3_PNSZ_IS14_E10value_typeET4_jRbjT5_S1A_jjP12ihipStream_tbEUljE_EEESV_SW_SX_S14_S18_S1A_T6_T7_T9_mT8_S1C_bDpT10_ENKUlT_T0_E_clISt17integral_constantIbLb1EES1P_EEDaS1K_S1L_EUlS1K_E_NS1_11comp_targetILNS1_3genE8ELNS1_11target_archE1030ELNS1_3gpuE2ELNS1_3repE0EEENS1_30default_config_static_selectorELNS0_4arch9wavefront6targetE0EEEvSY_.num_named_barrier, 0
	.set _ZN7rocprim17ROCPRIM_400000_NS6detail17trampoline_kernelINS0_13select_configILj256ELj13ELNS0_17block_load_methodE3ELS4_3ELS4_3ELNS0_20block_scan_algorithmE0ELj4294967295EEENS1_25partition_config_selectorILNS1_17partition_subalgoE3EjNS0_10empty_typeEbEEZZNS1_14partition_implILS8_3ELb0ES6_jNS0_17counting_iteratorIjlEEPS9_SE_NS0_5tupleIJPjSE_EEENSF_IJSE_SE_EEES9_SG_JZNS1_25segmented_radix_sort_implINS0_14default_configELb1EPKbPbPKlPlN2at6native12_GLOBAL__N_18offset_tEEE10hipError_tPvRmT1_PNSt15iterator_traitsISY_E10value_typeET2_T3_PNSZ_IS14_E10value_typeET4_jRbjT5_S1A_jjP12ihipStream_tbEUljE_EEESV_SW_SX_S14_S18_S1A_T6_T7_T9_mT8_S1C_bDpT10_ENKUlT_T0_E_clISt17integral_constantIbLb1EES1P_EEDaS1K_S1L_EUlS1K_E_NS1_11comp_targetILNS1_3genE8ELNS1_11target_archE1030ELNS1_3gpuE2ELNS1_3repE0EEENS1_30default_config_static_selectorELNS0_4arch9wavefront6targetE0EEEvSY_.private_seg_size, 0
	.set _ZN7rocprim17ROCPRIM_400000_NS6detail17trampoline_kernelINS0_13select_configILj256ELj13ELNS0_17block_load_methodE3ELS4_3ELS4_3ELNS0_20block_scan_algorithmE0ELj4294967295EEENS1_25partition_config_selectorILNS1_17partition_subalgoE3EjNS0_10empty_typeEbEEZZNS1_14partition_implILS8_3ELb0ES6_jNS0_17counting_iteratorIjlEEPS9_SE_NS0_5tupleIJPjSE_EEENSF_IJSE_SE_EEES9_SG_JZNS1_25segmented_radix_sort_implINS0_14default_configELb1EPKbPbPKlPlN2at6native12_GLOBAL__N_18offset_tEEE10hipError_tPvRmT1_PNSt15iterator_traitsISY_E10value_typeET2_T3_PNSZ_IS14_E10value_typeET4_jRbjT5_S1A_jjP12ihipStream_tbEUljE_EEESV_SW_SX_S14_S18_S1A_T6_T7_T9_mT8_S1C_bDpT10_ENKUlT_T0_E_clISt17integral_constantIbLb1EES1P_EEDaS1K_S1L_EUlS1K_E_NS1_11comp_targetILNS1_3genE8ELNS1_11target_archE1030ELNS1_3gpuE2ELNS1_3repE0EEENS1_30default_config_static_selectorELNS0_4arch9wavefront6targetE0EEEvSY_.uses_vcc, 0
	.set _ZN7rocprim17ROCPRIM_400000_NS6detail17trampoline_kernelINS0_13select_configILj256ELj13ELNS0_17block_load_methodE3ELS4_3ELS4_3ELNS0_20block_scan_algorithmE0ELj4294967295EEENS1_25partition_config_selectorILNS1_17partition_subalgoE3EjNS0_10empty_typeEbEEZZNS1_14partition_implILS8_3ELb0ES6_jNS0_17counting_iteratorIjlEEPS9_SE_NS0_5tupleIJPjSE_EEENSF_IJSE_SE_EEES9_SG_JZNS1_25segmented_radix_sort_implINS0_14default_configELb1EPKbPbPKlPlN2at6native12_GLOBAL__N_18offset_tEEE10hipError_tPvRmT1_PNSt15iterator_traitsISY_E10value_typeET2_T3_PNSZ_IS14_E10value_typeET4_jRbjT5_S1A_jjP12ihipStream_tbEUljE_EEESV_SW_SX_S14_S18_S1A_T6_T7_T9_mT8_S1C_bDpT10_ENKUlT_T0_E_clISt17integral_constantIbLb1EES1P_EEDaS1K_S1L_EUlS1K_E_NS1_11comp_targetILNS1_3genE8ELNS1_11target_archE1030ELNS1_3gpuE2ELNS1_3repE0EEENS1_30default_config_static_selectorELNS0_4arch9wavefront6targetE0EEEvSY_.uses_flat_scratch, 0
	.set _ZN7rocprim17ROCPRIM_400000_NS6detail17trampoline_kernelINS0_13select_configILj256ELj13ELNS0_17block_load_methodE3ELS4_3ELS4_3ELNS0_20block_scan_algorithmE0ELj4294967295EEENS1_25partition_config_selectorILNS1_17partition_subalgoE3EjNS0_10empty_typeEbEEZZNS1_14partition_implILS8_3ELb0ES6_jNS0_17counting_iteratorIjlEEPS9_SE_NS0_5tupleIJPjSE_EEENSF_IJSE_SE_EEES9_SG_JZNS1_25segmented_radix_sort_implINS0_14default_configELb1EPKbPbPKlPlN2at6native12_GLOBAL__N_18offset_tEEE10hipError_tPvRmT1_PNSt15iterator_traitsISY_E10value_typeET2_T3_PNSZ_IS14_E10value_typeET4_jRbjT5_S1A_jjP12ihipStream_tbEUljE_EEESV_SW_SX_S14_S18_S1A_T6_T7_T9_mT8_S1C_bDpT10_ENKUlT_T0_E_clISt17integral_constantIbLb1EES1P_EEDaS1K_S1L_EUlS1K_E_NS1_11comp_targetILNS1_3genE8ELNS1_11target_archE1030ELNS1_3gpuE2ELNS1_3repE0EEENS1_30default_config_static_selectorELNS0_4arch9wavefront6targetE0EEEvSY_.has_dyn_sized_stack, 0
	.set _ZN7rocprim17ROCPRIM_400000_NS6detail17trampoline_kernelINS0_13select_configILj256ELj13ELNS0_17block_load_methodE3ELS4_3ELS4_3ELNS0_20block_scan_algorithmE0ELj4294967295EEENS1_25partition_config_selectorILNS1_17partition_subalgoE3EjNS0_10empty_typeEbEEZZNS1_14partition_implILS8_3ELb0ES6_jNS0_17counting_iteratorIjlEEPS9_SE_NS0_5tupleIJPjSE_EEENSF_IJSE_SE_EEES9_SG_JZNS1_25segmented_radix_sort_implINS0_14default_configELb1EPKbPbPKlPlN2at6native12_GLOBAL__N_18offset_tEEE10hipError_tPvRmT1_PNSt15iterator_traitsISY_E10value_typeET2_T3_PNSZ_IS14_E10value_typeET4_jRbjT5_S1A_jjP12ihipStream_tbEUljE_EEESV_SW_SX_S14_S18_S1A_T6_T7_T9_mT8_S1C_bDpT10_ENKUlT_T0_E_clISt17integral_constantIbLb1EES1P_EEDaS1K_S1L_EUlS1K_E_NS1_11comp_targetILNS1_3genE8ELNS1_11target_archE1030ELNS1_3gpuE2ELNS1_3repE0EEENS1_30default_config_static_selectorELNS0_4arch9wavefront6targetE0EEEvSY_.has_recursion, 0
	.set _ZN7rocprim17ROCPRIM_400000_NS6detail17trampoline_kernelINS0_13select_configILj256ELj13ELNS0_17block_load_methodE3ELS4_3ELS4_3ELNS0_20block_scan_algorithmE0ELj4294967295EEENS1_25partition_config_selectorILNS1_17partition_subalgoE3EjNS0_10empty_typeEbEEZZNS1_14partition_implILS8_3ELb0ES6_jNS0_17counting_iteratorIjlEEPS9_SE_NS0_5tupleIJPjSE_EEENSF_IJSE_SE_EEES9_SG_JZNS1_25segmented_radix_sort_implINS0_14default_configELb1EPKbPbPKlPlN2at6native12_GLOBAL__N_18offset_tEEE10hipError_tPvRmT1_PNSt15iterator_traitsISY_E10value_typeET2_T3_PNSZ_IS14_E10value_typeET4_jRbjT5_S1A_jjP12ihipStream_tbEUljE_EEESV_SW_SX_S14_S18_S1A_T6_T7_T9_mT8_S1C_bDpT10_ENKUlT_T0_E_clISt17integral_constantIbLb1EES1P_EEDaS1K_S1L_EUlS1K_E_NS1_11comp_targetILNS1_3genE8ELNS1_11target_archE1030ELNS1_3gpuE2ELNS1_3repE0EEENS1_30default_config_static_selectorELNS0_4arch9wavefront6targetE0EEEvSY_.has_indirect_call, 0
	.section	.AMDGPU.csdata,"",@progbits
; Kernel info:
; codeLenInByte = 4
; TotalNumSgprs: 0
; NumVgprs: 0
; ScratchSize: 0
; MemoryBound: 0
; FloatMode: 240
; IeeeMode: 1
; LDSByteSize: 0 bytes/workgroup (compile time only)
; SGPRBlocks: 0
; VGPRBlocks: 0
; NumSGPRsForWavesPerEU: 1
; NumVGPRsForWavesPerEU: 1
; Occupancy: 16
; WaveLimiterHint : 0
; COMPUTE_PGM_RSRC2:SCRATCH_EN: 0
; COMPUTE_PGM_RSRC2:USER_SGPR: 6
; COMPUTE_PGM_RSRC2:TRAP_HANDLER: 0
; COMPUTE_PGM_RSRC2:TGID_X_EN: 1
; COMPUTE_PGM_RSRC2:TGID_Y_EN: 0
; COMPUTE_PGM_RSRC2:TGID_Z_EN: 0
; COMPUTE_PGM_RSRC2:TIDIG_COMP_CNT: 0
	.section	.text._ZN7rocprim17ROCPRIM_400000_NS6detail17trampoline_kernelINS0_13select_configILj256ELj13ELNS0_17block_load_methodE3ELS4_3ELS4_3ELNS0_20block_scan_algorithmE0ELj4294967295EEENS1_25partition_config_selectorILNS1_17partition_subalgoE3EjNS0_10empty_typeEbEEZZNS1_14partition_implILS8_3ELb0ES6_jNS0_17counting_iteratorIjlEEPS9_SE_NS0_5tupleIJPjSE_EEENSF_IJSE_SE_EEES9_SG_JZNS1_25segmented_radix_sort_implINS0_14default_configELb1EPKbPbPKlPlN2at6native12_GLOBAL__N_18offset_tEEE10hipError_tPvRmT1_PNSt15iterator_traitsISY_E10value_typeET2_T3_PNSZ_IS14_E10value_typeET4_jRbjT5_S1A_jjP12ihipStream_tbEUljE_EEESV_SW_SX_S14_S18_S1A_T6_T7_T9_mT8_S1C_bDpT10_ENKUlT_T0_E_clISt17integral_constantIbLb1EES1O_IbLb0EEEEDaS1K_S1L_EUlS1K_E_NS1_11comp_targetILNS1_3genE0ELNS1_11target_archE4294967295ELNS1_3gpuE0ELNS1_3repE0EEENS1_30default_config_static_selectorELNS0_4arch9wavefront6targetE0EEEvSY_,"axG",@progbits,_ZN7rocprim17ROCPRIM_400000_NS6detail17trampoline_kernelINS0_13select_configILj256ELj13ELNS0_17block_load_methodE3ELS4_3ELS4_3ELNS0_20block_scan_algorithmE0ELj4294967295EEENS1_25partition_config_selectorILNS1_17partition_subalgoE3EjNS0_10empty_typeEbEEZZNS1_14partition_implILS8_3ELb0ES6_jNS0_17counting_iteratorIjlEEPS9_SE_NS0_5tupleIJPjSE_EEENSF_IJSE_SE_EEES9_SG_JZNS1_25segmented_radix_sort_implINS0_14default_configELb1EPKbPbPKlPlN2at6native12_GLOBAL__N_18offset_tEEE10hipError_tPvRmT1_PNSt15iterator_traitsISY_E10value_typeET2_T3_PNSZ_IS14_E10value_typeET4_jRbjT5_S1A_jjP12ihipStream_tbEUljE_EEESV_SW_SX_S14_S18_S1A_T6_T7_T9_mT8_S1C_bDpT10_ENKUlT_T0_E_clISt17integral_constantIbLb1EES1O_IbLb0EEEEDaS1K_S1L_EUlS1K_E_NS1_11comp_targetILNS1_3genE0ELNS1_11target_archE4294967295ELNS1_3gpuE0ELNS1_3repE0EEENS1_30default_config_static_selectorELNS0_4arch9wavefront6targetE0EEEvSY_,comdat
	.globl	_ZN7rocprim17ROCPRIM_400000_NS6detail17trampoline_kernelINS0_13select_configILj256ELj13ELNS0_17block_load_methodE3ELS4_3ELS4_3ELNS0_20block_scan_algorithmE0ELj4294967295EEENS1_25partition_config_selectorILNS1_17partition_subalgoE3EjNS0_10empty_typeEbEEZZNS1_14partition_implILS8_3ELb0ES6_jNS0_17counting_iteratorIjlEEPS9_SE_NS0_5tupleIJPjSE_EEENSF_IJSE_SE_EEES9_SG_JZNS1_25segmented_radix_sort_implINS0_14default_configELb1EPKbPbPKlPlN2at6native12_GLOBAL__N_18offset_tEEE10hipError_tPvRmT1_PNSt15iterator_traitsISY_E10value_typeET2_T3_PNSZ_IS14_E10value_typeET4_jRbjT5_S1A_jjP12ihipStream_tbEUljE_EEESV_SW_SX_S14_S18_S1A_T6_T7_T9_mT8_S1C_bDpT10_ENKUlT_T0_E_clISt17integral_constantIbLb1EES1O_IbLb0EEEEDaS1K_S1L_EUlS1K_E_NS1_11comp_targetILNS1_3genE0ELNS1_11target_archE4294967295ELNS1_3gpuE0ELNS1_3repE0EEENS1_30default_config_static_selectorELNS0_4arch9wavefront6targetE0EEEvSY_ ; -- Begin function _ZN7rocprim17ROCPRIM_400000_NS6detail17trampoline_kernelINS0_13select_configILj256ELj13ELNS0_17block_load_methodE3ELS4_3ELS4_3ELNS0_20block_scan_algorithmE0ELj4294967295EEENS1_25partition_config_selectorILNS1_17partition_subalgoE3EjNS0_10empty_typeEbEEZZNS1_14partition_implILS8_3ELb0ES6_jNS0_17counting_iteratorIjlEEPS9_SE_NS0_5tupleIJPjSE_EEENSF_IJSE_SE_EEES9_SG_JZNS1_25segmented_radix_sort_implINS0_14default_configELb1EPKbPbPKlPlN2at6native12_GLOBAL__N_18offset_tEEE10hipError_tPvRmT1_PNSt15iterator_traitsISY_E10value_typeET2_T3_PNSZ_IS14_E10value_typeET4_jRbjT5_S1A_jjP12ihipStream_tbEUljE_EEESV_SW_SX_S14_S18_S1A_T6_T7_T9_mT8_S1C_bDpT10_ENKUlT_T0_E_clISt17integral_constantIbLb1EES1O_IbLb0EEEEDaS1K_S1L_EUlS1K_E_NS1_11comp_targetILNS1_3genE0ELNS1_11target_archE4294967295ELNS1_3gpuE0ELNS1_3repE0EEENS1_30default_config_static_selectorELNS0_4arch9wavefront6targetE0EEEvSY_
	.p2align	8
	.type	_ZN7rocprim17ROCPRIM_400000_NS6detail17trampoline_kernelINS0_13select_configILj256ELj13ELNS0_17block_load_methodE3ELS4_3ELS4_3ELNS0_20block_scan_algorithmE0ELj4294967295EEENS1_25partition_config_selectorILNS1_17partition_subalgoE3EjNS0_10empty_typeEbEEZZNS1_14partition_implILS8_3ELb0ES6_jNS0_17counting_iteratorIjlEEPS9_SE_NS0_5tupleIJPjSE_EEENSF_IJSE_SE_EEES9_SG_JZNS1_25segmented_radix_sort_implINS0_14default_configELb1EPKbPbPKlPlN2at6native12_GLOBAL__N_18offset_tEEE10hipError_tPvRmT1_PNSt15iterator_traitsISY_E10value_typeET2_T3_PNSZ_IS14_E10value_typeET4_jRbjT5_S1A_jjP12ihipStream_tbEUljE_EEESV_SW_SX_S14_S18_S1A_T6_T7_T9_mT8_S1C_bDpT10_ENKUlT_T0_E_clISt17integral_constantIbLb1EES1O_IbLb0EEEEDaS1K_S1L_EUlS1K_E_NS1_11comp_targetILNS1_3genE0ELNS1_11target_archE4294967295ELNS1_3gpuE0ELNS1_3repE0EEENS1_30default_config_static_selectorELNS0_4arch9wavefront6targetE0EEEvSY_,@function
_ZN7rocprim17ROCPRIM_400000_NS6detail17trampoline_kernelINS0_13select_configILj256ELj13ELNS0_17block_load_methodE3ELS4_3ELS4_3ELNS0_20block_scan_algorithmE0ELj4294967295EEENS1_25partition_config_selectorILNS1_17partition_subalgoE3EjNS0_10empty_typeEbEEZZNS1_14partition_implILS8_3ELb0ES6_jNS0_17counting_iteratorIjlEEPS9_SE_NS0_5tupleIJPjSE_EEENSF_IJSE_SE_EEES9_SG_JZNS1_25segmented_radix_sort_implINS0_14default_configELb1EPKbPbPKlPlN2at6native12_GLOBAL__N_18offset_tEEE10hipError_tPvRmT1_PNSt15iterator_traitsISY_E10value_typeET2_T3_PNSZ_IS14_E10value_typeET4_jRbjT5_S1A_jjP12ihipStream_tbEUljE_EEESV_SW_SX_S14_S18_S1A_T6_T7_T9_mT8_S1C_bDpT10_ENKUlT_T0_E_clISt17integral_constantIbLb1EES1O_IbLb0EEEEDaS1K_S1L_EUlS1K_E_NS1_11comp_targetILNS1_3genE0ELNS1_11target_archE4294967295ELNS1_3gpuE0ELNS1_3repE0EEENS1_30default_config_static_selectorELNS0_4arch9wavefront6targetE0EEEvSY_: ; @_ZN7rocprim17ROCPRIM_400000_NS6detail17trampoline_kernelINS0_13select_configILj256ELj13ELNS0_17block_load_methodE3ELS4_3ELS4_3ELNS0_20block_scan_algorithmE0ELj4294967295EEENS1_25partition_config_selectorILNS1_17partition_subalgoE3EjNS0_10empty_typeEbEEZZNS1_14partition_implILS8_3ELb0ES6_jNS0_17counting_iteratorIjlEEPS9_SE_NS0_5tupleIJPjSE_EEENSF_IJSE_SE_EEES9_SG_JZNS1_25segmented_radix_sort_implINS0_14default_configELb1EPKbPbPKlPlN2at6native12_GLOBAL__N_18offset_tEEE10hipError_tPvRmT1_PNSt15iterator_traitsISY_E10value_typeET2_T3_PNSZ_IS14_E10value_typeET4_jRbjT5_S1A_jjP12ihipStream_tbEUljE_EEESV_SW_SX_S14_S18_S1A_T6_T7_T9_mT8_S1C_bDpT10_ENKUlT_T0_E_clISt17integral_constantIbLb1EES1O_IbLb0EEEEDaS1K_S1L_EUlS1K_E_NS1_11comp_targetILNS1_3genE0ELNS1_11target_archE4294967295ELNS1_3gpuE0ELNS1_3repE0EEENS1_30default_config_static_selectorELNS0_4arch9wavefront6targetE0EEEvSY_
; %bb.0:
	.section	.rodata,"a",@progbits
	.p2align	6, 0x0
	.amdhsa_kernel _ZN7rocprim17ROCPRIM_400000_NS6detail17trampoline_kernelINS0_13select_configILj256ELj13ELNS0_17block_load_methodE3ELS4_3ELS4_3ELNS0_20block_scan_algorithmE0ELj4294967295EEENS1_25partition_config_selectorILNS1_17partition_subalgoE3EjNS0_10empty_typeEbEEZZNS1_14partition_implILS8_3ELb0ES6_jNS0_17counting_iteratorIjlEEPS9_SE_NS0_5tupleIJPjSE_EEENSF_IJSE_SE_EEES9_SG_JZNS1_25segmented_radix_sort_implINS0_14default_configELb1EPKbPbPKlPlN2at6native12_GLOBAL__N_18offset_tEEE10hipError_tPvRmT1_PNSt15iterator_traitsISY_E10value_typeET2_T3_PNSZ_IS14_E10value_typeET4_jRbjT5_S1A_jjP12ihipStream_tbEUljE_EEESV_SW_SX_S14_S18_S1A_T6_T7_T9_mT8_S1C_bDpT10_ENKUlT_T0_E_clISt17integral_constantIbLb1EES1O_IbLb0EEEEDaS1K_S1L_EUlS1K_E_NS1_11comp_targetILNS1_3genE0ELNS1_11target_archE4294967295ELNS1_3gpuE0ELNS1_3repE0EEENS1_30default_config_static_selectorELNS0_4arch9wavefront6targetE0EEEvSY_
		.amdhsa_group_segment_fixed_size 0
		.amdhsa_private_segment_fixed_size 0
		.amdhsa_kernarg_size 144
		.amdhsa_user_sgpr_count 6
		.amdhsa_user_sgpr_private_segment_buffer 1
		.amdhsa_user_sgpr_dispatch_ptr 0
		.amdhsa_user_sgpr_queue_ptr 0
		.amdhsa_user_sgpr_kernarg_segment_ptr 1
		.amdhsa_user_sgpr_dispatch_id 0
		.amdhsa_user_sgpr_flat_scratch_init 0
		.amdhsa_user_sgpr_private_segment_size 0
		.amdhsa_wavefront_size32 1
		.amdhsa_uses_dynamic_stack 0
		.amdhsa_system_sgpr_private_segment_wavefront_offset 0
		.amdhsa_system_sgpr_workgroup_id_x 1
		.amdhsa_system_sgpr_workgroup_id_y 0
		.amdhsa_system_sgpr_workgroup_id_z 0
		.amdhsa_system_sgpr_workgroup_info 0
		.amdhsa_system_vgpr_workitem_id 0
		.amdhsa_next_free_vgpr 1
		.amdhsa_next_free_sgpr 1
		.amdhsa_reserve_vcc 0
		.amdhsa_reserve_flat_scratch 0
		.amdhsa_float_round_mode_32 0
		.amdhsa_float_round_mode_16_64 0
		.amdhsa_float_denorm_mode_32 3
		.amdhsa_float_denorm_mode_16_64 3
		.amdhsa_dx10_clamp 1
		.amdhsa_ieee_mode 1
		.amdhsa_fp16_overflow 0
		.amdhsa_workgroup_processor_mode 1
		.amdhsa_memory_ordered 1
		.amdhsa_forward_progress 1
		.amdhsa_shared_vgpr_count 0
		.amdhsa_exception_fp_ieee_invalid_op 0
		.amdhsa_exception_fp_denorm_src 0
		.amdhsa_exception_fp_ieee_div_zero 0
		.amdhsa_exception_fp_ieee_overflow 0
		.amdhsa_exception_fp_ieee_underflow 0
		.amdhsa_exception_fp_ieee_inexact 0
		.amdhsa_exception_int_div_zero 0
	.end_amdhsa_kernel
	.section	.text._ZN7rocprim17ROCPRIM_400000_NS6detail17trampoline_kernelINS0_13select_configILj256ELj13ELNS0_17block_load_methodE3ELS4_3ELS4_3ELNS0_20block_scan_algorithmE0ELj4294967295EEENS1_25partition_config_selectorILNS1_17partition_subalgoE3EjNS0_10empty_typeEbEEZZNS1_14partition_implILS8_3ELb0ES6_jNS0_17counting_iteratorIjlEEPS9_SE_NS0_5tupleIJPjSE_EEENSF_IJSE_SE_EEES9_SG_JZNS1_25segmented_radix_sort_implINS0_14default_configELb1EPKbPbPKlPlN2at6native12_GLOBAL__N_18offset_tEEE10hipError_tPvRmT1_PNSt15iterator_traitsISY_E10value_typeET2_T3_PNSZ_IS14_E10value_typeET4_jRbjT5_S1A_jjP12ihipStream_tbEUljE_EEESV_SW_SX_S14_S18_S1A_T6_T7_T9_mT8_S1C_bDpT10_ENKUlT_T0_E_clISt17integral_constantIbLb1EES1O_IbLb0EEEEDaS1K_S1L_EUlS1K_E_NS1_11comp_targetILNS1_3genE0ELNS1_11target_archE4294967295ELNS1_3gpuE0ELNS1_3repE0EEENS1_30default_config_static_selectorELNS0_4arch9wavefront6targetE0EEEvSY_,"axG",@progbits,_ZN7rocprim17ROCPRIM_400000_NS6detail17trampoline_kernelINS0_13select_configILj256ELj13ELNS0_17block_load_methodE3ELS4_3ELS4_3ELNS0_20block_scan_algorithmE0ELj4294967295EEENS1_25partition_config_selectorILNS1_17partition_subalgoE3EjNS0_10empty_typeEbEEZZNS1_14partition_implILS8_3ELb0ES6_jNS0_17counting_iteratorIjlEEPS9_SE_NS0_5tupleIJPjSE_EEENSF_IJSE_SE_EEES9_SG_JZNS1_25segmented_radix_sort_implINS0_14default_configELb1EPKbPbPKlPlN2at6native12_GLOBAL__N_18offset_tEEE10hipError_tPvRmT1_PNSt15iterator_traitsISY_E10value_typeET2_T3_PNSZ_IS14_E10value_typeET4_jRbjT5_S1A_jjP12ihipStream_tbEUljE_EEESV_SW_SX_S14_S18_S1A_T6_T7_T9_mT8_S1C_bDpT10_ENKUlT_T0_E_clISt17integral_constantIbLb1EES1O_IbLb0EEEEDaS1K_S1L_EUlS1K_E_NS1_11comp_targetILNS1_3genE0ELNS1_11target_archE4294967295ELNS1_3gpuE0ELNS1_3repE0EEENS1_30default_config_static_selectorELNS0_4arch9wavefront6targetE0EEEvSY_,comdat
.Lfunc_end1508:
	.size	_ZN7rocprim17ROCPRIM_400000_NS6detail17trampoline_kernelINS0_13select_configILj256ELj13ELNS0_17block_load_methodE3ELS4_3ELS4_3ELNS0_20block_scan_algorithmE0ELj4294967295EEENS1_25partition_config_selectorILNS1_17partition_subalgoE3EjNS0_10empty_typeEbEEZZNS1_14partition_implILS8_3ELb0ES6_jNS0_17counting_iteratorIjlEEPS9_SE_NS0_5tupleIJPjSE_EEENSF_IJSE_SE_EEES9_SG_JZNS1_25segmented_radix_sort_implINS0_14default_configELb1EPKbPbPKlPlN2at6native12_GLOBAL__N_18offset_tEEE10hipError_tPvRmT1_PNSt15iterator_traitsISY_E10value_typeET2_T3_PNSZ_IS14_E10value_typeET4_jRbjT5_S1A_jjP12ihipStream_tbEUljE_EEESV_SW_SX_S14_S18_S1A_T6_T7_T9_mT8_S1C_bDpT10_ENKUlT_T0_E_clISt17integral_constantIbLb1EES1O_IbLb0EEEEDaS1K_S1L_EUlS1K_E_NS1_11comp_targetILNS1_3genE0ELNS1_11target_archE4294967295ELNS1_3gpuE0ELNS1_3repE0EEENS1_30default_config_static_selectorELNS0_4arch9wavefront6targetE0EEEvSY_, .Lfunc_end1508-_ZN7rocprim17ROCPRIM_400000_NS6detail17trampoline_kernelINS0_13select_configILj256ELj13ELNS0_17block_load_methodE3ELS4_3ELS4_3ELNS0_20block_scan_algorithmE0ELj4294967295EEENS1_25partition_config_selectorILNS1_17partition_subalgoE3EjNS0_10empty_typeEbEEZZNS1_14partition_implILS8_3ELb0ES6_jNS0_17counting_iteratorIjlEEPS9_SE_NS0_5tupleIJPjSE_EEENSF_IJSE_SE_EEES9_SG_JZNS1_25segmented_radix_sort_implINS0_14default_configELb1EPKbPbPKlPlN2at6native12_GLOBAL__N_18offset_tEEE10hipError_tPvRmT1_PNSt15iterator_traitsISY_E10value_typeET2_T3_PNSZ_IS14_E10value_typeET4_jRbjT5_S1A_jjP12ihipStream_tbEUljE_EEESV_SW_SX_S14_S18_S1A_T6_T7_T9_mT8_S1C_bDpT10_ENKUlT_T0_E_clISt17integral_constantIbLb1EES1O_IbLb0EEEEDaS1K_S1L_EUlS1K_E_NS1_11comp_targetILNS1_3genE0ELNS1_11target_archE4294967295ELNS1_3gpuE0ELNS1_3repE0EEENS1_30default_config_static_selectorELNS0_4arch9wavefront6targetE0EEEvSY_
                                        ; -- End function
	.set _ZN7rocprim17ROCPRIM_400000_NS6detail17trampoline_kernelINS0_13select_configILj256ELj13ELNS0_17block_load_methodE3ELS4_3ELS4_3ELNS0_20block_scan_algorithmE0ELj4294967295EEENS1_25partition_config_selectorILNS1_17partition_subalgoE3EjNS0_10empty_typeEbEEZZNS1_14partition_implILS8_3ELb0ES6_jNS0_17counting_iteratorIjlEEPS9_SE_NS0_5tupleIJPjSE_EEENSF_IJSE_SE_EEES9_SG_JZNS1_25segmented_radix_sort_implINS0_14default_configELb1EPKbPbPKlPlN2at6native12_GLOBAL__N_18offset_tEEE10hipError_tPvRmT1_PNSt15iterator_traitsISY_E10value_typeET2_T3_PNSZ_IS14_E10value_typeET4_jRbjT5_S1A_jjP12ihipStream_tbEUljE_EEESV_SW_SX_S14_S18_S1A_T6_T7_T9_mT8_S1C_bDpT10_ENKUlT_T0_E_clISt17integral_constantIbLb1EES1O_IbLb0EEEEDaS1K_S1L_EUlS1K_E_NS1_11comp_targetILNS1_3genE0ELNS1_11target_archE4294967295ELNS1_3gpuE0ELNS1_3repE0EEENS1_30default_config_static_selectorELNS0_4arch9wavefront6targetE0EEEvSY_.num_vgpr, 0
	.set _ZN7rocprim17ROCPRIM_400000_NS6detail17trampoline_kernelINS0_13select_configILj256ELj13ELNS0_17block_load_methodE3ELS4_3ELS4_3ELNS0_20block_scan_algorithmE0ELj4294967295EEENS1_25partition_config_selectorILNS1_17partition_subalgoE3EjNS0_10empty_typeEbEEZZNS1_14partition_implILS8_3ELb0ES6_jNS0_17counting_iteratorIjlEEPS9_SE_NS0_5tupleIJPjSE_EEENSF_IJSE_SE_EEES9_SG_JZNS1_25segmented_radix_sort_implINS0_14default_configELb1EPKbPbPKlPlN2at6native12_GLOBAL__N_18offset_tEEE10hipError_tPvRmT1_PNSt15iterator_traitsISY_E10value_typeET2_T3_PNSZ_IS14_E10value_typeET4_jRbjT5_S1A_jjP12ihipStream_tbEUljE_EEESV_SW_SX_S14_S18_S1A_T6_T7_T9_mT8_S1C_bDpT10_ENKUlT_T0_E_clISt17integral_constantIbLb1EES1O_IbLb0EEEEDaS1K_S1L_EUlS1K_E_NS1_11comp_targetILNS1_3genE0ELNS1_11target_archE4294967295ELNS1_3gpuE0ELNS1_3repE0EEENS1_30default_config_static_selectorELNS0_4arch9wavefront6targetE0EEEvSY_.num_agpr, 0
	.set _ZN7rocprim17ROCPRIM_400000_NS6detail17trampoline_kernelINS0_13select_configILj256ELj13ELNS0_17block_load_methodE3ELS4_3ELS4_3ELNS0_20block_scan_algorithmE0ELj4294967295EEENS1_25partition_config_selectorILNS1_17partition_subalgoE3EjNS0_10empty_typeEbEEZZNS1_14partition_implILS8_3ELb0ES6_jNS0_17counting_iteratorIjlEEPS9_SE_NS0_5tupleIJPjSE_EEENSF_IJSE_SE_EEES9_SG_JZNS1_25segmented_radix_sort_implINS0_14default_configELb1EPKbPbPKlPlN2at6native12_GLOBAL__N_18offset_tEEE10hipError_tPvRmT1_PNSt15iterator_traitsISY_E10value_typeET2_T3_PNSZ_IS14_E10value_typeET4_jRbjT5_S1A_jjP12ihipStream_tbEUljE_EEESV_SW_SX_S14_S18_S1A_T6_T7_T9_mT8_S1C_bDpT10_ENKUlT_T0_E_clISt17integral_constantIbLb1EES1O_IbLb0EEEEDaS1K_S1L_EUlS1K_E_NS1_11comp_targetILNS1_3genE0ELNS1_11target_archE4294967295ELNS1_3gpuE0ELNS1_3repE0EEENS1_30default_config_static_selectorELNS0_4arch9wavefront6targetE0EEEvSY_.numbered_sgpr, 0
	.set _ZN7rocprim17ROCPRIM_400000_NS6detail17trampoline_kernelINS0_13select_configILj256ELj13ELNS0_17block_load_methodE3ELS4_3ELS4_3ELNS0_20block_scan_algorithmE0ELj4294967295EEENS1_25partition_config_selectorILNS1_17partition_subalgoE3EjNS0_10empty_typeEbEEZZNS1_14partition_implILS8_3ELb0ES6_jNS0_17counting_iteratorIjlEEPS9_SE_NS0_5tupleIJPjSE_EEENSF_IJSE_SE_EEES9_SG_JZNS1_25segmented_radix_sort_implINS0_14default_configELb1EPKbPbPKlPlN2at6native12_GLOBAL__N_18offset_tEEE10hipError_tPvRmT1_PNSt15iterator_traitsISY_E10value_typeET2_T3_PNSZ_IS14_E10value_typeET4_jRbjT5_S1A_jjP12ihipStream_tbEUljE_EEESV_SW_SX_S14_S18_S1A_T6_T7_T9_mT8_S1C_bDpT10_ENKUlT_T0_E_clISt17integral_constantIbLb1EES1O_IbLb0EEEEDaS1K_S1L_EUlS1K_E_NS1_11comp_targetILNS1_3genE0ELNS1_11target_archE4294967295ELNS1_3gpuE0ELNS1_3repE0EEENS1_30default_config_static_selectorELNS0_4arch9wavefront6targetE0EEEvSY_.num_named_barrier, 0
	.set _ZN7rocprim17ROCPRIM_400000_NS6detail17trampoline_kernelINS0_13select_configILj256ELj13ELNS0_17block_load_methodE3ELS4_3ELS4_3ELNS0_20block_scan_algorithmE0ELj4294967295EEENS1_25partition_config_selectorILNS1_17partition_subalgoE3EjNS0_10empty_typeEbEEZZNS1_14partition_implILS8_3ELb0ES6_jNS0_17counting_iteratorIjlEEPS9_SE_NS0_5tupleIJPjSE_EEENSF_IJSE_SE_EEES9_SG_JZNS1_25segmented_radix_sort_implINS0_14default_configELb1EPKbPbPKlPlN2at6native12_GLOBAL__N_18offset_tEEE10hipError_tPvRmT1_PNSt15iterator_traitsISY_E10value_typeET2_T3_PNSZ_IS14_E10value_typeET4_jRbjT5_S1A_jjP12ihipStream_tbEUljE_EEESV_SW_SX_S14_S18_S1A_T6_T7_T9_mT8_S1C_bDpT10_ENKUlT_T0_E_clISt17integral_constantIbLb1EES1O_IbLb0EEEEDaS1K_S1L_EUlS1K_E_NS1_11comp_targetILNS1_3genE0ELNS1_11target_archE4294967295ELNS1_3gpuE0ELNS1_3repE0EEENS1_30default_config_static_selectorELNS0_4arch9wavefront6targetE0EEEvSY_.private_seg_size, 0
	.set _ZN7rocprim17ROCPRIM_400000_NS6detail17trampoline_kernelINS0_13select_configILj256ELj13ELNS0_17block_load_methodE3ELS4_3ELS4_3ELNS0_20block_scan_algorithmE0ELj4294967295EEENS1_25partition_config_selectorILNS1_17partition_subalgoE3EjNS0_10empty_typeEbEEZZNS1_14partition_implILS8_3ELb0ES6_jNS0_17counting_iteratorIjlEEPS9_SE_NS0_5tupleIJPjSE_EEENSF_IJSE_SE_EEES9_SG_JZNS1_25segmented_radix_sort_implINS0_14default_configELb1EPKbPbPKlPlN2at6native12_GLOBAL__N_18offset_tEEE10hipError_tPvRmT1_PNSt15iterator_traitsISY_E10value_typeET2_T3_PNSZ_IS14_E10value_typeET4_jRbjT5_S1A_jjP12ihipStream_tbEUljE_EEESV_SW_SX_S14_S18_S1A_T6_T7_T9_mT8_S1C_bDpT10_ENKUlT_T0_E_clISt17integral_constantIbLb1EES1O_IbLb0EEEEDaS1K_S1L_EUlS1K_E_NS1_11comp_targetILNS1_3genE0ELNS1_11target_archE4294967295ELNS1_3gpuE0ELNS1_3repE0EEENS1_30default_config_static_selectorELNS0_4arch9wavefront6targetE0EEEvSY_.uses_vcc, 0
	.set _ZN7rocprim17ROCPRIM_400000_NS6detail17trampoline_kernelINS0_13select_configILj256ELj13ELNS0_17block_load_methodE3ELS4_3ELS4_3ELNS0_20block_scan_algorithmE0ELj4294967295EEENS1_25partition_config_selectorILNS1_17partition_subalgoE3EjNS0_10empty_typeEbEEZZNS1_14partition_implILS8_3ELb0ES6_jNS0_17counting_iteratorIjlEEPS9_SE_NS0_5tupleIJPjSE_EEENSF_IJSE_SE_EEES9_SG_JZNS1_25segmented_radix_sort_implINS0_14default_configELb1EPKbPbPKlPlN2at6native12_GLOBAL__N_18offset_tEEE10hipError_tPvRmT1_PNSt15iterator_traitsISY_E10value_typeET2_T3_PNSZ_IS14_E10value_typeET4_jRbjT5_S1A_jjP12ihipStream_tbEUljE_EEESV_SW_SX_S14_S18_S1A_T6_T7_T9_mT8_S1C_bDpT10_ENKUlT_T0_E_clISt17integral_constantIbLb1EES1O_IbLb0EEEEDaS1K_S1L_EUlS1K_E_NS1_11comp_targetILNS1_3genE0ELNS1_11target_archE4294967295ELNS1_3gpuE0ELNS1_3repE0EEENS1_30default_config_static_selectorELNS0_4arch9wavefront6targetE0EEEvSY_.uses_flat_scratch, 0
	.set _ZN7rocprim17ROCPRIM_400000_NS6detail17trampoline_kernelINS0_13select_configILj256ELj13ELNS0_17block_load_methodE3ELS4_3ELS4_3ELNS0_20block_scan_algorithmE0ELj4294967295EEENS1_25partition_config_selectorILNS1_17partition_subalgoE3EjNS0_10empty_typeEbEEZZNS1_14partition_implILS8_3ELb0ES6_jNS0_17counting_iteratorIjlEEPS9_SE_NS0_5tupleIJPjSE_EEENSF_IJSE_SE_EEES9_SG_JZNS1_25segmented_radix_sort_implINS0_14default_configELb1EPKbPbPKlPlN2at6native12_GLOBAL__N_18offset_tEEE10hipError_tPvRmT1_PNSt15iterator_traitsISY_E10value_typeET2_T3_PNSZ_IS14_E10value_typeET4_jRbjT5_S1A_jjP12ihipStream_tbEUljE_EEESV_SW_SX_S14_S18_S1A_T6_T7_T9_mT8_S1C_bDpT10_ENKUlT_T0_E_clISt17integral_constantIbLb1EES1O_IbLb0EEEEDaS1K_S1L_EUlS1K_E_NS1_11comp_targetILNS1_3genE0ELNS1_11target_archE4294967295ELNS1_3gpuE0ELNS1_3repE0EEENS1_30default_config_static_selectorELNS0_4arch9wavefront6targetE0EEEvSY_.has_dyn_sized_stack, 0
	.set _ZN7rocprim17ROCPRIM_400000_NS6detail17trampoline_kernelINS0_13select_configILj256ELj13ELNS0_17block_load_methodE3ELS4_3ELS4_3ELNS0_20block_scan_algorithmE0ELj4294967295EEENS1_25partition_config_selectorILNS1_17partition_subalgoE3EjNS0_10empty_typeEbEEZZNS1_14partition_implILS8_3ELb0ES6_jNS0_17counting_iteratorIjlEEPS9_SE_NS0_5tupleIJPjSE_EEENSF_IJSE_SE_EEES9_SG_JZNS1_25segmented_radix_sort_implINS0_14default_configELb1EPKbPbPKlPlN2at6native12_GLOBAL__N_18offset_tEEE10hipError_tPvRmT1_PNSt15iterator_traitsISY_E10value_typeET2_T3_PNSZ_IS14_E10value_typeET4_jRbjT5_S1A_jjP12ihipStream_tbEUljE_EEESV_SW_SX_S14_S18_S1A_T6_T7_T9_mT8_S1C_bDpT10_ENKUlT_T0_E_clISt17integral_constantIbLb1EES1O_IbLb0EEEEDaS1K_S1L_EUlS1K_E_NS1_11comp_targetILNS1_3genE0ELNS1_11target_archE4294967295ELNS1_3gpuE0ELNS1_3repE0EEENS1_30default_config_static_selectorELNS0_4arch9wavefront6targetE0EEEvSY_.has_recursion, 0
	.set _ZN7rocprim17ROCPRIM_400000_NS6detail17trampoline_kernelINS0_13select_configILj256ELj13ELNS0_17block_load_methodE3ELS4_3ELS4_3ELNS0_20block_scan_algorithmE0ELj4294967295EEENS1_25partition_config_selectorILNS1_17partition_subalgoE3EjNS0_10empty_typeEbEEZZNS1_14partition_implILS8_3ELb0ES6_jNS0_17counting_iteratorIjlEEPS9_SE_NS0_5tupleIJPjSE_EEENSF_IJSE_SE_EEES9_SG_JZNS1_25segmented_radix_sort_implINS0_14default_configELb1EPKbPbPKlPlN2at6native12_GLOBAL__N_18offset_tEEE10hipError_tPvRmT1_PNSt15iterator_traitsISY_E10value_typeET2_T3_PNSZ_IS14_E10value_typeET4_jRbjT5_S1A_jjP12ihipStream_tbEUljE_EEESV_SW_SX_S14_S18_S1A_T6_T7_T9_mT8_S1C_bDpT10_ENKUlT_T0_E_clISt17integral_constantIbLb1EES1O_IbLb0EEEEDaS1K_S1L_EUlS1K_E_NS1_11comp_targetILNS1_3genE0ELNS1_11target_archE4294967295ELNS1_3gpuE0ELNS1_3repE0EEENS1_30default_config_static_selectorELNS0_4arch9wavefront6targetE0EEEvSY_.has_indirect_call, 0
	.section	.AMDGPU.csdata,"",@progbits
; Kernel info:
; codeLenInByte = 0
; TotalNumSgprs: 0
; NumVgprs: 0
; ScratchSize: 0
; MemoryBound: 0
; FloatMode: 240
; IeeeMode: 1
; LDSByteSize: 0 bytes/workgroup (compile time only)
; SGPRBlocks: 0
; VGPRBlocks: 0
; NumSGPRsForWavesPerEU: 1
; NumVGPRsForWavesPerEU: 1
; Occupancy: 16
; WaveLimiterHint : 0
; COMPUTE_PGM_RSRC2:SCRATCH_EN: 0
; COMPUTE_PGM_RSRC2:USER_SGPR: 6
; COMPUTE_PGM_RSRC2:TRAP_HANDLER: 0
; COMPUTE_PGM_RSRC2:TGID_X_EN: 1
; COMPUTE_PGM_RSRC2:TGID_Y_EN: 0
; COMPUTE_PGM_RSRC2:TGID_Z_EN: 0
; COMPUTE_PGM_RSRC2:TIDIG_COMP_CNT: 0
	.section	.text._ZN7rocprim17ROCPRIM_400000_NS6detail17trampoline_kernelINS0_13select_configILj256ELj13ELNS0_17block_load_methodE3ELS4_3ELS4_3ELNS0_20block_scan_algorithmE0ELj4294967295EEENS1_25partition_config_selectorILNS1_17partition_subalgoE3EjNS0_10empty_typeEbEEZZNS1_14partition_implILS8_3ELb0ES6_jNS0_17counting_iteratorIjlEEPS9_SE_NS0_5tupleIJPjSE_EEENSF_IJSE_SE_EEES9_SG_JZNS1_25segmented_radix_sort_implINS0_14default_configELb1EPKbPbPKlPlN2at6native12_GLOBAL__N_18offset_tEEE10hipError_tPvRmT1_PNSt15iterator_traitsISY_E10value_typeET2_T3_PNSZ_IS14_E10value_typeET4_jRbjT5_S1A_jjP12ihipStream_tbEUljE_EEESV_SW_SX_S14_S18_S1A_T6_T7_T9_mT8_S1C_bDpT10_ENKUlT_T0_E_clISt17integral_constantIbLb1EES1O_IbLb0EEEEDaS1K_S1L_EUlS1K_E_NS1_11comp_targetILNS1_3genE5ELNS1_11target_archE942ELNS1_3gpuE9ELNS1_3repE0EEENS1_30default_config_static_selectorELNS0_4arch9wavefront6targetE0EEEvSY_,"axG",@progbits,_ZN7rocprim17ROCPRIM_400000_NS6detail17trampoline_kernelINS0_13select_configILj256ELj13ELNS0_17block_load_methodE3ELS4_3ELS4_3ELNS0_20block_scan_algorithmE0ELj4294967295EEENS1_25partition_config_selectorILNS1_17partition_subalgoE3EjNS0_10empty_typeEbEEZZNS1_14partition_implILS8_3ELb0ES6_jNS0_17counting_iteratorIjlEEPS9_SE_NS0_5tupleIJPjSE_EEENSF_IJSE_SE_EEES9_SG_JZNS1_25segmented_radix_sort_implINS0_14default_configELb1EPKbPbPKlPlN2at6native12_GLOBAL__N_18offset_tEEE10hipError_tPvRmT1_PNSt15iterator_traitsISY_E10value_typeET2_T3_PNSZ_IS14_E10value_typeET4_jRbjT5_S1A_jjP12ihipStream_tbEUljE_EEESV_SW_SX_S14_S18_S1A_T6_T7_T9_mT8_S1C_bDpT10_ENKUlT_T0_E_clISt17integral_constantIbLb1EES1O_IbLb0EEEEDaS1K_S1L_EUlS1K_E_NS1_11comp_targetILNS1_3genE5ELNS1_11target_archE942ELNS1_3gpuE9ELNS1_3repE0EEENS1_30default_config_static_selectorELNS0_4arch9wavefront6targetE0EEEvSY_,comdat
	.globl	_ZN7rocprim17ROCPRIM_400000_NS6detail17trampoline_kernelINS0_13select_configILj256ELj13ELNS0_17block_load_methodE3ELS4_3ELS4_3ELNS0_20block_scan_algorithmE0ELj4294967295EEENS1_25partition_config_selectorILNS1_17partition_subalgoE3EjNS0_10empty_typeEbEEZZNS1_14partition_implILS8_3ELb0ES6_jNS0_17counting_iteratorIjlEEPS9_SE_NS0_5tupleIJPjSE_EEENSF_IJSE_SE_EEES9_SG_JZNS1_25segmented_radix_sort_implINS0_14default_configELb1EPKbPbPKlPlN2at6native12_GLOBAL__N_18offset_tEEE10hipError_tPvRmT1_PNSt15iterator_traitsISY_E10value_typeET2_T3_PNSZ_IS14_E10value_typeET4_jRbjT5_S1A_jjP12ihipStream_tbEUljE_EEESV_SW_SX_S14_S18_S1A_T6_T7_T9_mT8_S1C_bDpT10_ENKUlT_T0_E_clISt17integral_constantIbLb1EES1O_IbLb0EEEEDaS1K_S1L_EUlS1K_E_NS1_11comp_targetILNS1_3genE5ELNS1_11target_archE942ELNS1_3gpuE9ELNS1_3repE0EEENS1_30default_config_static_selectorELNS0_4arch9wavefront6targetE0EEEvSY_ ; -- Begin function _ZN7rocprim17ROCPRIM_400000_NS6detail17trampoline_kernelINS0_13select_configILj256ELj13ELNS0_17block_load_methodE3ELS4_3ELS4_3ELNS0_20block_scan_algorithmE0ELj4294967295EEENS1_25partition_config_selectorILNS1_17partition_subalgoE3EjNS0_10empty_typeEbEEZZNS1_14partition_implILS8_3ELb0ES6_jNS0_17counting_iteratorIjlEEPS9_SE_NS0_5tupleIJPjSE_EEENSF_IJSE_SE_EEES9_SG_JZNS1_25segmented_radix_sort_implINS0_14default_configELb1EPKbPbPKlPlN2at6native12_GLOBAL__N_18offset_tEEE10hipError_tPvRmT1_PNSt15iterator_traitsISY_E10value_typeET2_T3_PNSZ_IS14_E10value_typeET4_jRbjT5_S1A_jjP12ihipStream_tbEUljE_EEESV_SW_SX_S14_S18_S1A_T6_T7_T9_mT8_S1C_bDpT10_ENKUlT_T0_E_clISt17integral_constantIbLb1EES1O_IbLb0EEEEDaS1K_S1L_EUlS1K_E_NS1_11comp_targetILNS1_3genE5ELNS1_11target_archE942ELNS1_3gpuE9ELNS1_3repE0EEENS1_30default_config_static_selectorELNS0_4arch9wavefront6targetE0EEEvSY_
	.p2align	8
	.type	_ZN7rocprim17ROCPRIM_400000_NS6detail17trampoline_kernelINS0_13select_configILj256ELj13ELNS0_17block_load_methodE3ELS4_3ELS4_3ELNS0_20block_scan_algorithmE0ELj4294967295EEENS1_25partition_config_selectorILNS1_17partition_subalgoE3EjNS0_10empty_typeEbEEZZNS1_14partition_implILS8_3ELb0ES6_jNS0_17counting_iteratorIjlEEPS9_SE_NS0_5tupleIJPjSE_EEENSF_IJSE_SE_EEES9_SG_JZNS1_25segmented_radix_sort_implINS0_14default_configELb1EPKbPbPKlPlN2at6native12_GLOBAL__N_18offset_tEEE10hipError_tPvRmT1_PNSt15iterator_traitsISY_E10value_typeET2_T3_PNSZ_IS14_E10value_typeET4_jRbjT5_S1A_jjP12ihipStream_tbEUljE_EEESV_SW_SX_S14_S18_S1A_T6_T7_T9_mT8_S1C_bDpT10_ENKUlT_T0_E_clISt17integral_constantIbLb1EES1O_IbLb0EEEEDaS1K_S1L_EUlS1K_E_NS1_11comp_targetILNS1_3genE5ELNS1_11target_archE942ELNS1_3gpuE9ELNS1_3repE0EEENS1_30default_config_static_selectorELNS0_4arch9wavefront6targetE0EEEvSY_,@function
_ZN7rocprim17ROCPRIM_400000_NS6detail17trampoline_kernelINS0_13select_configILj256ELj13ELNS0_17block_load_methodE3ELS4_3ELS4_3ELNS0_20block_scan_algorithmE0ELj4294967295EEENS1_25partition_config_selectorILNS1_17partition_subalgoE3EjNS0_10empty_typeEbEEZZNS1_14partition_implILS8_3ELb0ES6_jNS0_17counting_iteratorIjlEEPS9_SE_NS0_5tupleIJPjSE_EEENSF_IJSE_SE_EEES9_SG_JZNS1_25segmented_radix_sort_implINS0_14default_configELb1EPKbPbPKlPlN2at6native12_GLOBAL__N_18offset_tEEE10hipError_tPvRmT1_PNSt15iterator_traitsISY_E10value_typeET2_T3_PNSZ_IS14_E10value_typeET4_jRbjT5_S1A_jjP12ihipStream_tbEUljE_EEESV_SW_SX_S14_S18_S1A_T6_T7_T9_mT8_S1C_bDpT10_ENKUlT_T0_E_clISt17integral_constantIbLb1EES1O_IbLb0EEEEDaS1K_S1L_EUlS1K_E_NS1_11comp_targetILNS1_3genE5ELNS1_11target_archE942ELNS1_3gpuE9ELNS1_3repE0EEENS1_30default_config_static_selectorELNS0_4arch9wavefront6targetE0EEEvSY_: ; @_ZN7rocprim17ROCPRIM_400000_NS6detail17trampoline_kernelINS0_13select_configILj256ELj13ELNS0_17block_load_methodE3ELS4_3ELS4_3ELNS0_20block_scan_algorithmE0ELj4294967295EEENS1_25partition_config_selectorILNS1_17partition_subalgoE3EjNS0_10empty_typeEbEEZZNS1_14partition_implILS8_3ELb0ES6_jNS0_17counting_iteratorIjlEEPS9_SE_NS0_5tupleIJPjSE_EEENSF_IJSE_SE_EEES9_SG_JZNS1_25segmented_radix_sort_implINS0_14default_configELb1EPKbPbPKlPlN2at6native12_GLOBAL__N_18offset_tEEE10hipError_tPvRmT1_PNSt15iterator_traitsISY_E10value_typeET2_T3_PNSZ_IS14_E10value_typeET4_jRbjT5_S1A_jjP12ihipStream_tbEUljE_EEESV_SW_SX_S14_S18_S1A_T6_T7_T9_mT8_S1C_bDpT10_ENKUlT_T0_E_clISt17integral_constantIbLb1EES1O_IbLb0EEEEDaS1K_S1L_EUlS1K_E_NS1_11comp_targetILNS1_3genE5ELNS1_11target_archE942ELNS1_3gpuE9ELNS1_3repE0EEENS1_30default_config_static_selectorELNS0_4arch9wavefront6targetE0EEEvSY_
; %bb.0:
	.section	.rodata,"a",@progbits
	.p2align	6, 0x0
	.amdhsa_kernel _ZN7rocprim17ROCPRIM_400000_NS6detail17trampoline_kernelINS0_13select_configILj256ELj13ELNS0_17block_load_methodE3ELS4_3ELS4_3ELNS0_20block_scan_algorithmE0ELj4294967295EEENS1_25partition_config_selectorILNS1_17partition_subalgoE3EjNS0_10empty_typeEbEEZZNS1_14partition_implILS8_3ELb0ES6_jNS0_17counting_iteratorIjlEEPS9_SE_NS0_5tupleIJPjSE_EEENSF_IJSE_SE_EEES9_SG_JZNS1_25segmented_radix_sort_implINS0_14default_configELb1EPKbPbPKlPlN2at6native12_GLOBAL__N_18offset_tEEE10hipError_tPvRmT1_PNSt15iterator_traitsISY_E10value_typeET2_T3_PNSZ_IS14_E10value_typeET4_jRbjT5_S1A_jjP12ihipStream_tbEUljE_EEESV_SW_SX_S14_S18_S1A_T6_T7_T9_mT8_S1C_bDpT10_ENKUlT_T0_E_clISt17integral_constantIbLb1EES1O_IbLb0EEEEDaS1K_S1L_EUlS1K_E_NS1_11comp_targetILNS1_3genE5ELNS1_11target_archE942ELNS1_3gpuE9ELNS1_3repE0EEENS1_30default_config_static_selectorELNS0_4arch9wavefront6targetE0EEEvSY_
		.amdhsa_group_segment_fixed_size 0
		.amdhsa_private_segment_fixed_size 0
		.amdhsa_kernarg_size 144
		.amdhsa_user_sgpr_count 6
		.amdhsa_user_sgpr_private_segment_buffer 1
		.amdhsa_user_sgpr_dispatch_ptr 0
		.amdhsa_user_sgpr_queue_ptr 0
		.amdhsa_user_sgpr_kernarg_segment_ptr 1
		.amdhsa_user_sgpr_dispatch_id 0
		.amdhsa_user_sgpr_flat_scratch_init 0
		.amdhsa_user_sgpr_private_segment_size 0
		.amdhsa_wavefront_size32 1
		.amdhsa_uses_dynamic_stack 0
		.amdhsa_system_sgpr_private_segment_wavefront_offset 0
		.amdhsa_system_sgpr_workgroup_id_x 1
		.amdhsa_system_sgpr_workgroup_id_y 0
		.amdhsa_system_sgpr_workgroup_id_z 0
		.amdhsa_system_sgpr_workgroup_info 0
		.amdhsa_system_vgpr_workitem_id 0
		.amdhsa_next_free_vgpr 1
		.amdhsa_next_free_sgpr 1
		.amdhsa_reserve_vcc 0
		.amdhsa_reserve_flat_scratch 0
		.amdhsa_float_round_mode_32 0
		.amdhsa_float_round_mode_16_64 0
		.amdhsa_float_denorm_mode_32 3
		.amdhsa_float_denorm_mode_16_64 3
		.amdhsa_dx10_clamp 1
		.amdhsa_ieee_mode 1
		.amdhsa_fp16_overflow 0
		.amdhsa_workgroup_processor_mode 1
		.amdhsa_memory_ordered 1
		.amdhsa_forward_progress 1
		.amdhsa_shared_vgpr_count 0
		.amdhsa_exception_fp_ieee_invalid_op 0
		.amdhsa_exception_fp_denorm_src 0
		.amdhsa_exception_fp_ieee_div_zero 0
		.amdhsa_exception_fp_ieee_overflow 0
		.amdhsa_exception_fp_ieee_underflow 0
		.amdhsa_exception_fp_ieee_inexact 0
		.amdhsa_exception_int_div_zero 0
	.end_amdhsa_kernel
	.section	.text._ZN7rocprim17ROCPRIM_400000_NS6detail17trampoline_kernelINS0_13select_configILj256ELj13ELNS0_17block_load_methodE3ELS4_3ELS4_3ELNS0_20block_scan_algorithmE0ELj4294967295EEENS1_25partition_config_selectorILNS1_17partition_subalgoE3EjNS0_10empty_typeEbEEZZNS1_14partition_implILS8_3ELb0ES6_jNS0_17counting_iteratorIjlEEPS9_SE_NS0_5tupleIJPjSE_EEENSF_IJSE_SE_EEES9_SG_JZNS1_25segmented_radix_sort_implINS0_14default_configELb1EPKbPbPKlPlN2at6native12_GLOBAL__N_18offset_tEEE10hipError_tPvRmT1_PNSt15iterator_traitsISY_E10value_typeET2_T3_PNSZ_IS14_E10value_typeET4_jRbjT5_S1A_jjP12ihipStream_tbEUljE_EEESV_SW_SX_S14_S18_S1A_T6_T7_T9_mT8_S1C_bDpT10_ENKUlT_T0_E_clISt17integral_constantIbLb1EES1O_IbLb0EEEEDaS1K_S1L_EUlS1K_E_NS1_11comp_targetILNS1_3genE5ELNS1_11target_archE942ELNS1_3gpuE9ELNS1_3repE0EEENS1_30default_config_static_selectorELNS0_4arch9wavefront6targetE0EEEvSY_,"axG",@progbits,_ZN7rocprim17ROCPRIM_400000_NS6detail17trampoline_kernelINS0_13select_configILj256ELj13ELNS0_17block_load_methodE3ELS4_3ELS4_3ELNS0_20block_scan_algorithmE0ELj4294967295EEENS1_25partition_config_selectorILNS1_17partition_subalgoE3EjNS0_10empty_typeEbEEZZNS1_14partition_implILS8_3ELb0ES6_jNS0_17counting_iteratorIjlEEPS9_SE_NS0_5tupleIJPjSE_EEENSF_IJSE_SE_EEES9_SG_JZNS1_25segmented_radix_sort_implINS0_14default_configELb1EPKbPbPKlPlN2at6native12_GLOBAL__N_18offset_tEEE10hipError_tPvRmT1_PNSt15iterator_traitsISY_E10value_typeET2_T3_PNSZ_IS14_E10value_typeET4_jRbjT5_S1A_jjP12ihipStream_tbEUljE_EEESV_SW_SX_S14_S18_S1A_T6_T7_T9_mT8_S1C_bDpT10_ENKUlT_T0_E_clISt17integral_constantIbLb1EES1O_IbLb0EEEEDaS1K_S1L_EUlS1K_E_NS1_11comp_targetILNS1_3genE5ELNS1_11target_archE942ELNS1_3gpuE9ELNS1_3repE0EEENS1_30default_config_static_selectorELNS0_4arch9wavefront6targetE0EEEvSY_,comdat
.Lfunc_end1509:
	.size	_ZN7rocprim17ROCPRIM_400000_NS6detail17trampoline_kernelINS0_13select_configILj256ELj13ELNS0_17block_load_methodE3ELS4_3ELS4_3ELNS0_20block_scan_algorithmE0ELj4294967295EEENS1_25partition_config_selectorILNS1_17partition_subalgoE3EjNS0_10empty_typeEbEEZZNS1_14partition_implILS8_3ELb0ES6_jNS0_17counting_iteratorIjlEEPS9_SE_NS0_5tupleIJPjSE_EEENSF_IJSE_SE_EEES9_SG_JZNS1_25segmented_radix_sort_implINS0_14default_configELb1EPKbPbPKlPlN2at6native12_GLOBAL__N_18offset_tEEE10hipError_tPvRmT1_PNSt15iterator_traitsISY_E10value_typeET2_T3_PNSZ_IS14_E10value_typeET4_jRbjT5_S1A_jjP12ihipStream_tbEUljE_EEESV_SW_SX_S14_S18_S1A_T6_T7_T9_mT8_S1C_bDpT10_ENKUlT_T0_E_clISt17integral_constantIbLb1EES1O_IbLb0EEEEDaS1K_S1L_EUlS1K_E_NS1_11comp_targetILNS1_3genE5ELNS1_11target_archE942ELNS1_3gpuE9ELNS1_3repE0EEENS1_30default_config_static_selectorELNS0_4arch9wavefront6targetE0EEEvSY_, .Lfunc_end1509-_ZN7rocprim17ROCPRIM_400000_NS6detail17trampoline_kernelINS0_13select_configILj256ELj13ELNS0_17block_load_methodE3ELS4_3ELS4_3ELNS0_20block_scan_algorithmE0ELj4294967295EEENS1_25partition_config_selectorILNS1_17partition_subalgoE3EjNS0_10empty_typeEbEEZZNS1_14partition_implILS8_3ELb0ES6_jNS0_17counting_iteratorIjlEEPS9_SE_NS0_5tupleIJPjSE_EEENSF_IJSE_SE_EEES9_SG_JZNS1_25segmented_radix_sort_implINS0_14default_configELb1EPKbPbPKlPlN2at6native12_GLOBAL__N_18offset_tEEE10hipError_tPvRmT1_PNSt15iterator_traitsISY_E10value_typeET2_T3_PNSZ_IS14_E10value_typeET4_jRbjT5_S1A_jjP12ihipStream_tbEUljE_EEESV_SW_SX_S14_S18_S1A_T6_T7_T9_mT8_S1C_bDpT10_ENKUlT_T0_E_clISt17integral_constantIbLb1EES1O_IbLb0EEEEDaS1K_S1L_EUlS1K_E_NS1_11comp_targetILNS1_3genE5ELNS1_11target_archE942ELNS1_3gpuE9ELNS1_3repE0EEENS1_30default_config_static_selectorELNS0_4arch9wavefront6targetE0EEEvSY_
                                        ; -- End function
	.set _ZN7rocprim17ROCPRIM_400000_NS6detail17trampoline_kernelINS0_13select_configILj256ELj13ELNS0_17block_load_methodE3ELS4_3ELS4_3ELNS0_20block_scan_algorithmE0ELj4294967295EEENS1_25partition_config_selectorILNS1_17partition_subalgoE3EjNS0_10empty_typeEbEEZZNS1_14partition_implILS8_3ELb0ES6_jNS0_17counting_iteratorIjlEEPS9_SE_NS0_5tupleIJPjSE_EEENSF_IJSE_SE_EEES9_SG_JZNS1_25segmented_radix_sort_implINS0_14default_configELb1EPKbPbPKlPlN2at6native12_GLOBAL__N_18offset_tEEE10hipError_tPvRmT1_PNSt15iterator_traitsISY_E10value_typeET2_T3_PNSZ_IS14_E10value_typeET4_jRbjT5_S1A_jjP12ihipStream_tbEUljE_EEESV_SW_SX_S14_S18_S1A_T6_T7_T9_mT8_S1C_bDpT10_ENKUlT_T0_E_clISt17integral_constantIbLb1EES1O_IbLb0EEEEDaS1K_S1L_EUlS1K_E_NS1_11comp_targetILNS1_3genE5ELNS1_11target_archE942ELNS1_3gpuE9ELNS1_3repE0EEENS1_30default_config_static_selectorELNS0_4arch9wavefront6targetE0EEEvSY_.num_vgpr, 0
	.set _ZN7rocprim17ROCPRIM_400000_NS6detail17trampoline_kernelINS0_13select_configILj256ELj13ELNS0_17block_load_methodE3ELS4_3ELS4_3ELNS0_20block_scan_algorithmE0ELj4294967295EEENS1_25partition_config_selectorILNS1_17partition_subalgoE3EjNS0_10empty_typeEbEEZZNS1_14partition_implILS8_3ELb0ES6_jNS0_17counting_iteratorIjlEEPS9_SE_NS0_5tupleIJPjSE_EEENSF_IJSE_SE_EEES9_SG_JZNS1_25segmented_radix_sort_implINS0_14default_configELb1EPKbPbPKlPlN2at6native12_GLOBAL__N_18offset_tEEE10hipError_tPvRmT1_PNSt15iterator_traitsISY_E10value_typeET2_T3_PNSZ_IS14_E10value_typeET4_jRbjT5_S1A_jjP12ihipStream_tbEUljE_EEESV_SW_SX_S14_S18_S1A_T6_T7_T9_mT8_S1C_bDpT10_ENKUlT_T0_E_clISt17integral_constantIbLb1EES1O_IbLb0EEEEDaS1K_S1L_EUlS1K_E_NS1_11comp_targetILNS1_3genE5ELNS1_11target_archE942ELNS1_3gpuE9ELNS1_3repE0EEENS1_30default_config_static_selectorELNS0_4arch9wavefront6targetE0EEEvSY_.num_agpr, 0
	.set _ZN7rocprim17ROCPRIM_400000_NS6detail17trampoline_kernelINS0_13select_configILj256ELj13ELNS0_17block_load_methodE3ELS4_3ELS4_3ELNS0_20block_scan_algorithmE0ELj4294967295EEENS1_25partition_config_selectorILNS1_17partition_subalgoE3EjNS0_10empty_typeEbEEZZNS1_14partition_implILS8_3ELb0ES6_jNS0_17counting_iteratorIjlEEPS9_SE_NS0_5tupleIJPjSE_EEENSF_IJSE_SE_EEES9_SG_JZNS1_25segmented_radix_sort_implINS0_14default_configELb1EPKbPbPKlPlN2at6native12_GLOBAL__N_18offset_tEEE10hipError_tPvRmT1_PNSt15iterator_traitsISY_E10value_typeET2_T3_PNSZ_IS14_E10value_typeET4_jRbjT5_S1A_jjP12ihipStream_tbEUljE_EEESV_SW_SX_S14_S18_S1A_T6_T7_T9_mT8_S1C_bDpT10_ENKUlT_T0_E_clISt17integral_constantIbLb1EES1O_IbLb0EEEEDaS1K_S1L_EUlS1K_E_NS1_11comp_targetILNS1_3genE5ELNS1_11target_archE942ELNS1_3gpuE9ELNS1_3repE0EEENS1_30default_config_static_selectorELNS0_4arch9wavefront6targetE0EEEvSY_.numbered_sgpr, 0
	.set _ZN7rocprim17ROCPRIM_400000_NS6detail17trampoline_kernelINS0_13select_configILj256ELj13ELNS0_17block_load_methodE3ELS4_3ELS4_3ELNS0_20block_scan_algorithmE0ELj4294967295EEENS1_25partition_config_selectorILNS1_17partition_subalgoE3EjNS0_10empty_typeEbEEZZNS1_14partition_implILS8_3ELb0ES6_jNS0_17counting_iteratorIjlEEPS9_SE_NS0_5tupleIJPjSE_EEENSF_IJSE_SE_EEES9_SG_JZNS1_25segmented_radix_sort_implINS0_14default_configELb1EPKbPbPKlPlN2at6native12_GLOBAL__N_18offset_tEEE10hipError_tPvRmT1_PNSt15iterator_traitsISY_E10value_typeET2_T3_PNSZ_IS14_E10value_typeET4_jRbjT5_S1A_jjP12ihipStream_tbEUljE_EEESV_SW_SX_S14_S18_S1A_T6_T7_T9_mT8_S1C_bDpT10_ENKUlT_T0_E_clISt17integral_constantIbLb1EES1O_IbLb0EEEEDaS1K_S1L_EUlS1K_E_NS1_11comp_targetILNS1_3genE5ELNS1_11target_archE942ELNS1_3gpuE9ELNS1_3repE0EEENS1_30default_config_static_selectorELNS0_4arch9wavefront6targetE0EEEvSY_.num_named_barrier, 0
	.set _ZN7rocprim17ROCPRIM_400000_NS6detail17trampoline_kernelINS0_13select_configILj256ELj13ELNS0_17block_load_methodE3ELS4_3ELS4_3ELNS0_20block_scan_algorithmE0ELj4294967295EEENS1_25partition_config_selectorILNS1_17partition_subalgoE3EjNS0_10empty_typeEbEEZZNS1_14partition_implILS8_3ELb0ES6_jNS0_17counting_iteratorIjlEEPS9_SE_NS0_5tupleIJPjSE_EEENSF_IJSE_SE_EEES9_SG_JZNS1_25segmented_radix_sort_implINS0_14default_configELb1EPKbPbPKlPlN2at6native12_GLOBAL__N_18offset_tEEE10hipError_tPvRmT1_PNSt15iterator_traitsISY_E10value_typeET2_T3_PNSZ_IS14_E10value_typeET4_jRbjT5_S1A_jjP12ihipStream_tbEUljE_EEESV_SW_SX_S14_S18_S1A_T6_T7_T9_mT8_S1C_bDpT10_ENKUlT_T0_E_clISt17integral_constantIbLb1EES1O_IbLb0EEEEDaS1K_S1L_EUlS1K_E_NS1_11comp_targetILNS1_3genE5ELNS1_11target_archE942ELNS1_3gpuE9ELNS1_3repE0EEENS1_30default_config_static_selectorELNS0_4arch9wavefront6targetE0EEEvSY_.private_seg_size, 0
	.set _ZN7rocprim17ROCPRIM_400000_NS6detail17trampoline_kernelINS0_13select_configILj256ELj13ELNS0_17block_load_methodE3ELS4_3ELS4_3ELNS0_20block_scan_algorithmE0ELj4294967295EEENS1_25partition_config_selectorILNS1_17partition_subalgoE3EjNS0_10empty_typeEbEEZZNS1_14partition_implILS8_3ELb0ES6_jNS0_17counting_iteratorIjlEEPS9_SE_NS0_5tupleIJPjSE_EEENSF_IJSE_SE_EEES9_SG_JZNS1_25segmented_radix_sort_implINS0_14default_configELb1EPKbPbPKlPlN2at6native12_GLOBAL__N_18offset_tEEE10hipError_tPvRmT1_PNSt15iterator_traitsISY_E10value_typeET2_T3_PNSZ_IS14_E10value_typeET4_jRbjT5_S1A_jjP12ihipStream_tbEUljE_EEESV_SW_SX_S14_S18_S1A_T6_T7_T9_mT8_S1C_bDpT10_ENKUlT_T0_E_clISt17integral_constantIbLb1EES1O_IbLb0EEEEDaS1K_S1L_EUlS1K_E_NS1_11comp_targetILNS1_3genE5ELNS1_11target_archE942ELNS1_3gpuE9ELNS1_3repE0EEENS1_30default_config_static_selectorELNS0_4arch9wavefront6targetE0EEEvSY_.uses_vcc, 0
	.set _ZN7rocprim17ROCPRIM_400000_NS6detail17trampoline_kernelINS0_13select_configILj256ELj13ELNS0_17block_load_methodE3ELS4_3ELS4_3ELNS0_20block_scan_algorithmE0ELj4294967295EEENS1_25partition_config_selectorILNS1_17partition_subalgoE3EjNS0_10empty_typeEbEEZZNS1_14partition_implILS8_3ELb0ES6_jNS0_17counting_iteratorIjlEEPS9_SE_NS0_5tupleIJPjSE_EEENSF_IJSE_SE_EEES9_SG_JZNS1_25segmented_radix_sort_implINS0_14default_configELb1EPKbPbPKlPlN2at6native12_GLOBAL__N_18offset_tEEE10hipError_tPvRmT1_PNSt15iterator_traitsISY_E10value_typeET2_T3_PNSZ_IS14_E10value_typeET4_jRbjT5_S1A_jjP12ihipStream_tbEUljE_EEESV_SW_SX_S14_S18_S1A_T6_T7_T9_mT8_S1C_bDpT10_ENKUlT_T0_E_clISt17integral_constantIbLb1EES1O_IbLb0EEEEDaS1K_S1L_EUlS1K_E_NS1_11comp_targetILNS1_3genE5ELNS1_11target_archE942ELNS1_3gpuE9ELNS1_3repE0EEENS1_30default_config_static_selectorELNS0_4arch9wavefront6targetE0EEEvSY_.uses_flat_scratch, 0
	.set _ZN7rocprim17ROCPRIM_400000_NS6detail17trampoline_kernelINS0_13select_configILj256ELj13ELNS0_17block_load_methodE3ELS4_3ELS4_3ELNS0_20block_scan_algorithmE0ELj4294967295EEENS1_25partition_config_selectorILNS1_17partition_subalgoE3EjNS0_10empty_typeEbEEZZNS1_14partition_implILS8_3ELb0ES6_jNS0_17counting_iteratorIjlEEPS9_SE_NS0_5tupleIJPjSE_EEENSF_IJSE_SE_EEES9_SG_JZNS1_25segmented_radix_sort_implINS0_14default_configELb1EPKbPbPKlPlN2at6native12_GLOBAL__N_18offset_tEEE10hipError_tPvRmT1_PNSt15iterator_traitsISY_E10value_typeET2_T3_PNSZ_IS14_E10value_typeET4_jRbjT5_S1A_jjP12ihipStream_tbEUljE_EEESV_SW_SX_S14_S18_S1A_T6_T7_T9_mT8_S1C_bDpT10_ENKUlT_T0_E_clISt17integral_constantIbLb1EES1O_IbLb0EEEEDaS1K_S1L_EUlS1K_E_NS1_11comp_targetILNS1_3genE5ELNS1_11target_archE942ELNS1_3gpuE9ELNS1_3repE0EEENS1_30default_config_static_selectorELNS0_4arch9wavefront6targetE0EEEvSY_.has_dyn_sized_stack, 0
	.set _ZN7rocprim17ROCPRIM_400000_NS6detail17trampoline_kernelINS0_13select_configILj256ELj13ELNS0_17block_load_methodE3ELS4_3ELS4_3ELNS0_20block_scan_algorithmE0ELj4294967295EEENS1_25partition_config_selectorILNS1_17partition_subalgoE3EjNS0_10empty_typeEbEEZZNS1_14partition_implILS8_3ELb0ES6_jNS0_17counting_iteratorIjlEEPS9_SE_NS0_5tupleIJPjSE_EEENSF_IJSE_SE_EEES9_SG_JZNS1_25segmented_radix_sort_implINS0_14default_configELb1EPKbPbPKlPlN2at6native12_GLOBAL__N_18offset_tEEE10hipError_tPvRmT1_PNSt15iterator_traitsISY_E10value_typeET2_T3_PNSZ_IS14_E10value_typeET4_jRbjT5_S1A_jjP12ihipStream_tbEUljE_EEESV_SW_SX_S14_S18_S1A_T6_T7_T9_mT8_S1C_bDpT10_ENKUlT_T0_E_clISt17integral_constantIbLb1EES1O_IbLb0EEEEDaS1K_S1L_EUlS1K_E_NS1_11comp_targetILNS1_3genE5ELNS1_11target_archE942ELNS1_3gpuE9ELNS1_3repE0EEENS1_30default_config_static_selectorELNS0_4arch9wavefront6targetE0EEEvSY_.has_recursion, 0
	.set _ZN7rocprim17ROCPRIM_400000_NS6detail17trampoline_kernelINS0_13select_configILj256ELj13ELNS0_17block_load_methodE3ELS4_3ELS4_3ELNS0_20block_scan_algorithmE0ELj4294967295EEENS1_25partition_config_selectorILNS1_17partition_subalgoE3EjNS0_10empty_typeEbEEZZNS1_14partition_implILS8_3ELb0ES6_jNS0_17counting_iteratorIjlEEPS9_SE_NS0_5tupleIJPjSE_EEENSF_IJSE_SE_EEES9_SG_JZNS1_25segmented_radix_sort_implINS0_14default_configELb1EPKbPbPKlPlN2at6native12_GLOBAL__N_18offset_tEEE10hipError_tPvRmT1_PNSt15iterator_traitsISY_E10value_typeET2_T3_PNSZ_IS14_E10value_typeET4_jRbjT5_S1A_jjP12ihipStream_tbEUljE_EEESV_SW_SX_S14_S18_S1A_T6_T7_T9_mT8_S1C_bDpT10_ENKUlT_T0_E_clISt17integral_constantIbLb1EES1O_IbLb0EEEEDaS1K_S1L_EUlS1K_E_NS1_11comp_targetILNS1_3genE5ELNS1_11target_archE942ELNS1_3gpuE9ELNS1_3repE0EEENS1_30default_config_static_selectorELNS0_4arch9wavefront6targetE0EEEvSY_.has_indirect_call, 0
	.section	.AMDGPU.csdata,"",@progbits
; Kernel info:
; codeLenInByte = 0
; TotalNumSgprs: 0
; NumVgprs: 0
; ScratchSize: 0
; MemoryBound: 0
; FloatMode: 240
; IeeeMode: 1
; LDSByteSize: 0 bytes/workgroup (compile time only)
; SGPRBlocks: 0
; VGPRBlocks: 0
; NumSGPRsForWavesPerEU: 1
; NumVGPRsForWavesPerEU: 1
; Occupancy: 16
; WaveLimiterHint : 0
; COMPUTE_PGM_RSRC2:SCRATCH_EN: 0
; COMPUTE_PGM_RSRC2:USER_SGPR: 6
; COMPUTE_PGM_RSRC2:TRAP_HANDLER: 0
; COMPUTE_PGM_RSRC2:TGID_X_EN: 1
; COMPUTE_PGM_RSRC2:TGID_Y_EN: 0
; COMPUTE_PGM_RSRC2:TGID_Z_EN: 0
; COMPUTE_PGM_RSRC2:TIDIG_COMP_CNT: 0
	.section	.text._ZN7rocprim17ROCPRIM_400000_NS6detail17trampoline_kernelINS0_13select_configILj256ELj13ELNS0_17block_load_methodE3ELS4_3ELS4_3ELNS0_20block_scan_algorithmE0ELj4294967295EEENS1_25partition_config_selectorILNS1_17partition_subalgoE3EjNS0_10empty_typeEbEEZZNS1_14partition_implILS8_3ELb0ES6_jNS0_17counting_iteratorIjlEEPS9_SE_NS0_5tupleIJPjSE_EEENSF_IJSE_SE_EEES9_SG_JZNS1_25segmented_radix_sort_implINS0_14default_configELb1EPKbPbPKlPlN2at6native12_GLOBAL__N_18offset_tEEE10hipError_tPvRmT1_PNSt15iterator_traitsISY_E10value_typeET2_T3_PNSZ_IS14_E10value_typeET4_jRbjT5_S1A_jjP12ihipStream_tbEUljE_EEESV_SW_SX_S14_S18_S1A_T6_T7_T9_mT8_S1C_bDpT10_ENKUlT_T0_E_clISt17integral_constantIbLb1EES1O_IbLb0EEEEDaS1K_S1L_EUlS1K_E_NS1_11comp_targetILNS1_3genE4ELNS1_11target_archE910ELNS1_3gpuE8ELNS1_3repE0EEENS1_30default_config_static_selectorELNS0_4arch9wavefront6targetE0EEEvSY_,"axG",@progbits,_ZN7rocprim17ROCPRIM_400000_NS6detail17trampoline_kernelINS0_13select_configILj256ELj13ELNS0_17block_load_methodE3ELS4_3ELS4_3ELNS0_20block_scan_algorithmE0ELj4294967295EEENS1_25partition_config_selectorILNS1_17partition_subalgoE3EjNS0_10empty_typeEbEEZZNS1_14partition_implILS8_3ELb0ES6_jNS0_17counting_iteratorIjlEEPS9_SE_NS0_5tupleIJPjSE_EEENSF_IJSE_SE_EEES9_SG_JZNS1_25segmented_radix_sort_implINS0_14default_configELb1EPKbPbPKlPlN2at6native12_GLOBAL__N_18offset_tEEE10hipError_tPvRmT1_PNSt15iterator_traitsISY_E10value_typeET2_T3_PNSZ_IS14_E10value_typeET4_jRbjT5_S1A_jjP12ihipStream_tbEUljE_EEESV_SW_SX_S14_S18_S1A_T6_T7_T9_mT8_S1C_bDpT10_ENKUlT_T0_E_clISt17integral_constantIbLb1EES1O_IbLb0EEEEDaS1K_S1L_EUlS1K_E_NS1_11comp_targetILNS1_3genE4ELNS1_11target_archE910ELNS1_3gpuE8ELNS1_3repE0EEENS1_30default_config_static_selectorELNS0_4arch9wavefront6targetE0EEEvSY_,comdat
	.globl	_ZN7rocprim17ROCPRIM_400000_NS6detail17trampoline_kernelINS0_13select_configILj256ELj13ELNS0_17block_load_methodE3ELS4_3ELS4_3ELNS0_20block_scan_algorithmE0ELj4294967295EEENS1_25partition_config_selectorILNS1_17partition_subalgoE3EjNS0_10empty_typeEbEEZZNS1_14partition_implILS8_3ELb0ES6_jNS0_17counting_iteratorIjlEEPS9_SE_NS0_5tupleIJPjSE_EEENSF_IJSE_SE_EEES9_SG_JZNS1_25segmented_radix_sort_implINS0_14default_configELb1EPKbPbPKlPlN2at6native12_GLOBAL__N_18offset_tEEE10hipError_tPvRmT1_PNSt15iterator_traitsISY_E10value_typeET2_T3_PNSZ_IS14_E10value_typeET4_jRbjT5_S1A_jjP12ihipStream_tbEUljE_EEESV_SW_SX_S14_S18_S1A_T6_T7_T9_mT8_S1C_bDpT10_ENKUlT_T0_E_clISt17integral_constantIbLb1EES1O_IbLb0EEEEDaS1K_S1L_EUlS1K_E_NS1_11comp_targetILNS1_3genE4ELNS1_11target_archE910ELNS1_3gpuE8ELNS1_3repE0EEENS1_30default_config_static_selectorELNS0_4arch9wavefront6targetE0EEEvSY_ ; -- Begin function _ZN7rocprim17ROCPRIM_400000_NS6detail17trampoline_kernelINS0_13select_configILj256ELj13ELNS0_17block_load_methodE3ELS4_3ELS4_3ELNS0_20block_scan_algorithmE0ELj4294967295EEENS1_25partition_config_selectorILNS1_17partition_subalgoE3EjNS0_10empty_typeEbEEZZNS1_14partition_implILS8_3ELb0ES6_jNS0_17counting_iteratorIjlEEPS9_SE_NS0_5tupleIJPjSE_EEENSF_IJSE_SE_EEES9_SG_JZNS1_25segmented_radix_sort_implINS0_14default_configELb1EPKbPbPKlPlN2at6native12_GLOBAL__N_18offset_tEEE10hipError_tPvRmT1_PNSt15iterator_traitsISY_E10value_typeET2_T3_PNSZ_IS14_E10value_typeET4_jRbjT5_S1A_jjP12ihipStream_tbEUljE_EEESV_SW_SX_S14_S18_S1A_T6_T7_T9_mT8_S1C_bDpT10_ENKUlT_T0_E_clISt17integral_constantIbLb1EES1O_IbLb0EEEEDaS1K_S1L_EUlS1K_E_NS1_11comp_targetILNS1_3genE4ELNS1_11target_archE910ELNS1_3gpuE8ELNS1_3repE0EEENS1_30default_config_static_selectorELNS0_4arch9wavefront6targetE0EEEvSY_
	.p2align	8
	.type	_ZN7rocprim17ROCPRIM_400000_NS6detail17trampoline_kernelINS0_13select_configILj256ELj13ELNS0_17block_load_methodE3ELS4_3ELS4_3ELNS0_20block_scan_algorithmE0ELj4294967295EEENS1_25partition_config_selectorILNS1_17partition_subalgoE3EjNS0_10empty_typeEbEEZZNS1_14partition_implILS8_3ELb0ES6_jNS0_17counting_iteratorIjlEEPS9_SE_NS0_5tupleIJPjSE_EEENSF_IJSE_SE_EEES9_SG_JZNS1_25segmented_radix_sort_implINS0_14default_configELb1EPKbPbPKlPlN2at6native12_GLOBAL__N_18offset_tEEE10hipError_tPvRmT1_PNSt15iterator_traitsISY_E10value_typeET2_T3_PNSZ_IS14_E10value_typeET4_jRbjT5_S1A_jjP12ihipStream_tbEUljE_EEESV_SW_SX_S14_S18_S1A_T6_T7_T9_mT8_S1C_bDpT10_ENKUlT_T0_E_clISt17integral_constantIbLb1EES1O_IbLb0EEEEDaS1K_S1L_EUlS1K_E_NS1_11comp_targetILNS1_3genE4ELNS1_11target_archE910ELNS1_3gpuE8ELNS1_3repE0EEENS1_30default_config_static_selectorELNS0_4arch9wavefront6targetE0EEEvSY_,@function
_ZN7rocprim17ROCPRIM_400000_NS6detail17trampoline_kernelINS0_13select_configILj256ELj13ELNS0_17block_load_methodE3ELS4_3ELS4_3ELNS0_20block_scan_algorithmE0ELj4294967295EEENS1_25partition_config_selectorILNS1_17partition_subalgoE3EjNS0_10empty_typeEbEEZZNS1_14partition_implILS8_3ELb0ES6_jNS0_17counting_iteratorIjlEEPS9_SE_NS0_5tupleIJPjSE_EEENSF_IJSE_SE_EEES9_SG_JZNS1_25segmented_radix_sort_implINS0_14default_configELb1EPKbPbPKlPlN2at6native12_GLOBAL__N_18offset_tEEE10hipError_tPvRmT1_PNSt15iterator_traitsISY_E10value_typeET2_T3_PNSZ_IS14_E10value_typeET4_jRbjT5_S1A_jjP12ihipStream_tbEUljE_EEESV_SW_SX_S14_S18_S1A_T6_T7_T9_mT8_S1C_bDpT10_ENKUlT_T0_E_clISt17integral_constantIbLb1EES1O_IbLb0EEEEDaS1K_S1L_EUlS1K_E_NS1_11comp_targetILNS1_3genE4ELNS1_11target_archE910ELNS1_3gpuE8ELNS1_3repE0EEENS1_30default_config_static_selectorELNS0_4arch9wavefront6targetE0EEEvSY_: ; @_ZN7rocprim17ROCPRIM_400000_NS6detail17trampoline_kernelINS0_13select_configILj256ELj13ELNS0_17block_load_methodE3ELS4_3ELS4_3ELNS0_20block_scan_algorithmE0ELj4294967295EEENS1_25partition_config_selectorILNS1_17partition_subalgoE3EjNS0_10empty_typeEbEEZZNS1_14partition_implILS8_3ELb0ES6_jNS0_17counting_iteratorIjlEEPS9_SE_NS0_5tupleIJPjSE_EEENSF_IJSE_SE_EEES9_SG_JZNS1_25segmented_radix_sort_implINS0_14default_configELb1EPKbPbPKlPlN2at6native12_GLOBAL__N_18offset_tEEE10hipError_tPvRmT1_PNSt15iterator_traitsISY_E10value_typeET2_T3_PNSZ_IS14_E10value_typeET4_jRbjT5_S1A_jjP12ihipStream_tbEUljE_EEESV_SW_SX_S14_S18_S1A_T6_T7_T9_mT8_S1C_bDpT10_ENKUlT_T0_E_clISt17integral_constantIbLb1EES1O_IbLb0EEEEDaS1K_S1L_EUlS1K_E_NS1_11comp_targetILNS1_3genE4ELNS1_11target_archE910ELNS1_3gpuE8ELNS1_3repE0EEENS1_30default_config_static_selectorELNS0_4arch9wavefront6targetE0EEEvSY_
; %bb.0:
	.section	.rodata,"a",@progbits
	.p2align	6, 0x0
	.amdhsa_kernel _ZN7rocprim17ROCPRIM_400000_NS6detail17trampoline_kernelINS0_13select_configILj256ELj13ELNS0_17block_load_methodE3ELS4_3ELS4_3ELNS0_20block_scan_algorithmE0ELj4294967295EEENS1_25partition_config_selectorILNS1_17partition_subalgoE3EjNS0_10empty_typeEbEEZZNS1_14partition_implILS8_3ELb0ES6_jNS0_17counting_iteratorIjlEEPS9_SE_NS0_5tupleIJPjSE_EEENSF_IJSE_SE_EEES9_SG_JZNS1_25segmented_radix_sort_implINS0_14default_configELb1EPKbPbPKlPlN2at6native12_GLOBAL__N_18offset_tEEE10hipError_tPvRmT1_PNSt15iterator_traitsISY_E10value_typeET2_T3_PNSZ_IS14_E10value_typeET4_jRbjT5_S1A_jjP12ihipStream_tbEUljE_EEESV_SW_SX_S14_S18_S1A_T6_T7_T9_mT8_S1C_bDpT10_ENKUlT_T0_E_clISt17integral_constantIbLb1EES1O_IbLb0EEEEDaS1K_S1L_EUlS1K_E_NS1_11comp_targetILNS1_3genE4ELNS1_11target_archE910ELNS1_3gpuE8ELNS1_3repE0EEENS1_30default_config_static_selectorELNS0_4arch9wavefront6targetE0EEEvSY_
		.amdhsa_group_segment_fixed_size 0
		.amdhsa_private_segment_fixed_size 0
		.amdhsa_kernarg_size 144
		.amdhsa_user_sgpr_count 6
		.amdhsa_user_sgpr_private_segment_buffer 1
		.amdhsa_user_sgpr_dispatch_ptr 0
		.amdhsa_user_sgpr_queue_ptr 0
		.amdhsa_user_sgpr_kernarg_segment_ptr 1
		.amdhsa_user_sgpr_dispatch_id 0
		.amdhsa_user_sgpr_flat_scratch_init 0
		.amdhsa_user_sgpr_private_segment_size 0
		.amdhsa_wavefront_size32 1
		.amdhsa_uses_dynamic_stack 0
		.amdhsa_system_sgpr_private_segment_wavefront_offset 0
		.amdhsa_system_sgpr_workgroup_id_x 1
		.amdhsa_system_sgpr_workgroup_id_y 0
		.amdhsa_system_sgpr_workgroup_id_z 0
		.amdhsa_system_sgpr_workgroup_info 0
		.amdhsa_system_vgpr_workitem_id 0
		.amdhsa_next_free_vgpr 1
		.amdhsa_next_free_sgpr 1
		.amdhsa_reserve_vcc 0
		.amdhsa_reserve_flat_scratch 0
		.amdhsa_float_round_mode_32 0
		.amdhsa_float_round_mode_16_64 0
		.amdhsa_float_denorm_mode_32 3
		.amdhsa_float_denorm_mode_16_64 3
		.amdhsa_dx10_clamp 1
		.amdhsa_ieee_mode 1
		.amdhsa_fp16_overflow 0
		.amdhsa_workgroup_processor_mode 1
		.amdhsa_memory_ordered 1
		.amdhsa_forward_progress 1
		.amdhsa_shared_vgpr_count 0
		.amdhsa_exception_fp_ieee_invalid_op 0
		.amdhsa_exception_fp_denorm_src 0
		.amdhsa_exception_fp_ieee_div_zero 0
		.amdhsa_exception_fp_ieee_overflow 0
		.amdhsa_exception_fp_ieee_underflow 0
		.amdhsa_exception_fp_ieee_inexact 0
		.amdhsa_exception_int_div_zero 0
	.end_amdhsa_kernel
	.section	.text._ZN7rocprim17ROCPRIM_400000_NS6detail17trampoline_kernelINS0_13select_configILj256ELj13ELNS0_17block_load_methodE3ELS4_3ELS4_3ELNS0_20block_scan_algorithmE0ELj4294967295EEENS1_25partition_config_selectorILNS1_17partition_subalgoE3EjNS0_10empty_typeEbEEZZNS1_14partition_implILS8_3ELb0ES6_jNS0_17counting_iteratorIjlEEPS9_SE_NS0_5tupleIJPjSE_EEENSF_IJSE_SE_EEES9_SG_JZNS1_25segmented_radix_sort_implINS0_14default_configELb1EPKbPbPKlPlN2at6native12_GLOBAL__N_18offset_tEEE10hipError_tPvRmT1_PNSt15iterator_traitsISY_E10value_typeET2_T3_PNSZ_IS14_E10value_typeET4_jRbjT5_S1A_jjP12ihipStream_tbEUljE_EEESV_SW_SX_S14_S18_S1A_T6_T7_T9_mT8_S1C_bDpT10_ENKUlT_T0_E_clISt17integral_constantIbLb1EES1O_IbLb0EEEEDaS1K_S1L_EUlS1K_E_NS1_11comp_targetILNS1_3genE4ELNS1_11target_archE910ELNS1_3gpuE8ELNS1_3repE0EEENS1_30default_config_static_selectorELNS0_4arch9wavefront6targetE0EEEvSY_,"axG",@progbits,_ZN7rocprim17ROCPRIM_400000_NS6detail17trampoline_kernelINS0_13select_configILj256ELj13ELNS0_17block_load_methodE3ELS4_3ELS4_3ELNS0_20block_scan_algorithmE0ELj4294967295EEENS1_25partition_config_selectorILNS1_17partition_subalgoE3EjNS0_10empty_typeEbEEZZNS1_14partition_implILS8_3ELb0ES6_jNS0_17counting_iteratorIjlEEPS9_SE_NS0_5tupleIJPjSE_EEENSF_IJSE_SE_EEES9_SG_JZNS1_25segmented_radix_sort_implINS0_14default_configELb1EPKbPbPKlPlN2at6native12_GLOBAL__N_18offset_tEEE10hipError_tPvRmT1_PNSt15iterator_traitsISY_E10value_typeET2_T3_PNSZ_IS14_E10value_typeET4_jRbjT5_S1A_jjP12ihipStream_tbEUljE_EEESV_SW_SX_S14_S18_S1A_T6_T7_T9_mT8_S1C_bDpT10_ENKUlT_T0_E_clISt17integral_constantIbLb1EES1O_IbLb0EEEEDaS1K_S1L_EUlS1K_E_NS1_11comp_targetILNS1_3genE4ELNS1_11target_archE910ELNS1_3gpuE8ELNS1_3repE0EEENS1_30default_config_static_selectorELNS0_4arch9wavefront6targetE0EEEvSY_,comdat
.Lfunc_end1510:
	.size	_ZN7rocprim17ROCPRIM_400000_NS6detail17trampoline_kernelINS0_13select_configILj256ELj13ELNS0_17block_load_methodE3ELS4_3ELS4_3ELNS0_20block_scan_algorithmE0ELj4294967295EEENS1_25partition_config_selectorILNS1_17partition_subalgoE3EjNS0_10empty_typeEbEEZZNS1_14partition_implILS8_3ELb0ES6_jNS0_17counting_iteratorIjlEEPS9_SE_NS0_5tupleIJPjSE_EEENSF_IJSE_SE_EEES9_SG_JZNS1_25segmented_radix_sort_implINS0_14default_configELb1EPKbPbPKlPlN2at6native12_GLOBAL__N_18offset_tEEE10hipError_tPvRmT1_PNSt15iterator_traitsISY_E10value_typeET2_T3_PNSZ_IS14_E10value_typeET4_jRbjT5_S1A_jjP12ihipStream_tbEUljE_EEESV_SW_SX_S14_S18_S1A_T6_T7_T9_mT8_S1C_bDpT10_ENKUlT_T0_E_clISt17integral_constantIbLb1EES1O_IbLb0EEEEDaS1K_S1L_EUlS1K_E_NS1_11comp_targetILNS1_3genE4ELNS1_11target_archE910ELNS1_3gpuE8ELNS1_3repE0EEENS1_30default_config_static_selectorELNS0_4arch9wavefront6targetE0EEEvSY_, .Lfunc_end1510-_ZN7rocprim17ROCPRIM_400000_NS6detail17trampoline_kernelINS0_13select_configILj256ELj13ELNS0_17block_load_methodE3ELS4_3ELS4_3ELNS0_20block_scan_algorithmE0ELj4294967295EEENS1_25partition_config_selectorILNS1_17partition_subalgoE3EjNS0_10empty_typeEbEEZZNS1_14partition_implILS8_3ELb0ES6_jNS0_17counting_iteratorIjlEEPS9_SE_NS0_5tupleIJPjSE_EEENSF_IJSE_SE_EEES9_SG_JZNS1_25segmented_radix_sort_implINS0_14default_configELb1EPKbPbPKlPlN2at6native12_GLOBAL__N_18offset_tEEE10hipError_tPvRmT1_PNSt15iterator_traitsISY_E10value_typeET2_T3_PNSZ_IS14_E10value_typeET4_jRbjT5_S1A_jjP12ihipStream_tbEUljE_EEESV_SW_SX_S14_S18_S1A_T6_T7_T9_mT8_S1C_bDpT10_ENKUlT_T0_E_clISt17integral_constantIbLb1EES1O_IbLb0EEEEDaS1K_S1L_EUlS1K_E_NS1_11comp_targetILNS1_3genE4ELNS1_11target_archE910ELNS1_3gpuE8ELNS1_3repE0EEENS1_30default_config_static_selectorELNS0_4arch9wavefront6targetE0EEEvSY_
                                        ; -- End function
	.set _ZN7rocprim17ROCPRIM_400000_NS6detail17trampoline_kernelINS0_13select_configILj256ELj13ELNS0_17block_load_methodE3ELS4_3ELS4_3ELNS0_20block_scan_algorithmE0ELj4294967295EEENS1_25partition_config_selectorILNS1_17partition_subalgoE3EjNS0_10empty_typeEbEEZZNS1_14partition_implILS8_3ELb0ES6_jNS0_17counting_iteratorIjlEEPS9_SE_NS0_5tupleIJPjSE_EEENSF_IJSE_SE_EEES9_SG_JZNS1_25segmented_radix_sort_implINS0_14default_configELb1EPKbPbPKlPlN2at6native12_GLOBAL__N_18offset_tEEE10hipError_tPvRmT1_PNSt15iterator_traitsISY_E10value_typeET2_T3_PNSZ_IS14_E10value_typeET4_jRbjT5_S1A_jjP12ihipStream_tbEUljE_EEESV_SW_SX_S14_S18_S1A_T6_T7_T9_mT8_S1C_bDpT10_ENKUlT_T0_E_clISt17integral_constantIbLb1EES1O_IbLb0EEEEDaS1K_S1L_EUlS1K_E_NS1_11comp_targetILNS1_3genE4ELNS1_11target_archE910ELNS1_3gpuE8ELNS1_3repE0EEENS1_30default_config_static_selectorELNS0_4arch9wavefront6targetE0EEEvSY_.num_vgpr, 0
	.set _ZN7rocprim17ROCPRIM_400000_NS6detail17trampoline_kernelINS0_13select_configILj256ELj13ELNS0_17block_load_methodE3ELS4_3ELS4_3ELNS0_20block_scan_algorithmE0ELj4294967295EEENS1_25partition_config_selectorILNS1_17partition_subalgoE3EjNS0_10empty_typeEbEEZZNS1_14partition_implILS8_3ELb0ES6_jNS0_17counting_iteratorIjlEEPS9_SE_NS0_5tupleIJPjSE_EEENSF_IJSE_SE_EEES9_SG_JZNS1_25segmented_radix_sort_implINS0_14default_configELb1EPKbPbPKlPlN2at6native12_GLOBAL__N_18offset_tEEE10hipError_tPvRmT1_PNSt15iterator_traitsISY_E10value_typeET2_T3_PNSZ_IS14_E10value_typeET4_jRbjT5_S1A_jjP12ihipStream_tbEUljE_EEESV_SW_SX_S14_S18_S1A_T6_T7_T9_mT8_S1C_bDpT10_ENKUlT_T0_E_clISt17integral_constantIbLb1EES1O_IbLb0EEEEDaS1K_S1L_EUlS1K_E_NS1_11comp_targetILNS1_3genE4ELNS1_11target_archE910ELNS1_3gpuE8ELNS1_3repE0EEENS1_30default_config_static_selectorELNS0_4arch9wavefront6targetE0EEEvSY_.num_agpr, 0
	.set _ZN7rocprim17ROCPRIM_400000_NS6detail17trampoline_kernelINS0_13select_configILj256ELj13ELNS0_17block_load_methodE3ELS4_3ELS4_3ELNS0_20block_scan_algorithmE0ELj4294967295EEENS1_25partition_config_selectorILNS1_17partition_subalgoE3EjNS0_10empty_typeEbEEZZNS1_14partition_implILS8_3ELb0ES6_jNS0_17counting_iteratorIjlEEPS9_SE_NS0_5tupleIJPjSE_EEENSF_IJSE_SE_EEES9_SG_JZNS1_25segmented_radix_sort_implINS0_14default_configELb1EPKbPbPKlPlN2at6native12_GLOBAL__N_18offset_tEEE10hipError_tPvRmT1_PNSt15iterator_traitsISY_E10value_typeET2_T3_PNSZ_IS14_E10value_typeET4_jRbjT5_S1A_jjP12ihipStream_tbEUljE_EEESV_SW_SX_S14_S18_S1A_T6_T7_T9_mT8_S1C_bDpT10_ENKUlT_T0_E_clISt17integral_constantIbLb1EES1O_IbLb0EEEEDaS1K_S1L_EUlS1K_E_NS1_11comp_targetILNS1_3genE4ELNS1_11target_archE910ELNS1_3gpuE8ELNS1_3repE0EEENS1_30default_config_static_selectorELNS0_4arch9wavefront6targetE0EEEvSY_.numbered_sgpr, 0
	.set _ZN7rocprim17ROCPRIM_400000_NS6detail17trampoline_kernelINS0_13select_configILj256ELj13ELNS0_17block_load_methodE3ELS4_3ELS4_3ELNS0_20block_scan_algorithmE0ELj4294967295EEENS1_25partition_config_selectorILNS1_17partition_subalgoE3EjNS0_10empty_typeEbEEZZNS1_14partition_implILS8_3ELb0ES6_jNS0_17counting_iteratorIjlEEPS9_SE_NS0_5tupleIJPjSE_EEENSF_IJSE_SE_EEES9_SG_JZNS1_25segmented_radix_sort_implINS0_14default_configELb1EPKbPbPKlPlN2at6native12_GLOBAL__N_18offset_tEEE10hipError_tPvRmT1_PNSt15iterator_traitsISY_E10value_typeET2_T3_PNSZ_IS14_E10value_typeET4_jRbjT5_S1A_jjP12ihipStream_tbEUljE_EEESV_SW_SX_S14_S18_S1A_T6_T7_T9_mT8_S1C_bDpT10_ENKUlT_T0_E_clISt17integral_constantIbLb1EES1O_IbLb0EEEEDaS1K_S1L_EUlS1K_E_NS1_11comp_targetILNS1_3genE4ELNS1_11target_archE910ELNS1_3gpuE8ELNS1_3repE0EEENS1_30default_config_static_selectorELNS0_4arch9wavefront6targetE0EEEvSY_.num_named_barrier, 0
	.set _ZN7rocprim17ROCPRIM_400000_NS6detail17trampoline_kernelINS0_13select_configILj256ELj13ELNS0_17block_load_methodE3ELS4_3ELS4_3ELNS0_20block_scan_algorithmE0ELj4294967295EEENS1_25partition_config_selectorILNS1_17partition_subalgoE3EjNS0_10empty_typeEbEEZZNS1_14partition_implILS8_3ELb0ES6_jNS0_17counting_iteratorIjlEEPS9_SE_NS0_5tupleIJPjSE_EEENSF_IJSE_SE_EEES9_SG_JZNS1_25segmented_radix_sort_implINS0_14default_configELb1EPKbPbPKlPlN2at6native12_GLOBAL__N_18offset_tEEE10hipError_tPvRmT1_PNSt15iterator_traitsISY_E10value_typeET2_T3_PNSZ_IS14_E10value_typeET4_jRbjT5_S1A_jjP12ihipStream_tbEUljE_EEESV_SW_SX_S14_S18_S1A_T6_T7_T9_mT8_S1C_bDpT10_ENKUlT_T0_E_clISt17integral_constantIbLb1EES1O_IbLb0EEEEDaS1K_S1L_EUlS1K_E_NS1_11comp_targetILNS1_3genE4ELNS1_11target_archE910ELNS1_3gpuE8ELNS1_3repE0EEENS1_30default_config_static_selectorELNS0_4arch9wavefront6targetE0EEEvSY_.private_seg_size, 0
	.set _ZN7rocprim17ROCPRIM_400000_NS6detail17trampoline_kernelINS0_13select_configILj256ELj13ELNS0_17block_load_methodE3ELS4_3ELS4_3ELNS0_20block_scan_algorithmE0ELj4294967295EEENS1_25partition_config_selectorILNS1_17partition_subalgoE3EjNS0_10empty_typeEbEEZZNS1_14partition_implILS8_3ELb0ES6_jNS0_17counting_iteratorIjlEEPS9_SE_NS0_5tupleIJPjSE_EEENSF_IJSE_SE_EEES9_SG_JZNS1_25segmented_radix_sort_implINS0_14default_configELb1EPKbPbPKlPlN2at6native12_GLOBAL__N_18offset_tEEE10hipError_tPvRmT1_PNSt15iterator_traitsISY_E10value_typeET2_T3_PNSZ_IS14_E10value_typeET4_jRbjT5_S1A_jjP12ihipStream_tbEUljE_EEESV_SW_SX_S14_S18_S1A_T6_T7_T9_mT8_S1C_bDpT10_ENKUlT_T0_E_clISt17integral_constantIbLb1EES1O_IbLb0EEEEDaS1K_S1L_EUlS1K_E_NS1_11comp_targetILNS1_3genE4ELNS1_11target_archE910ELNS1_3gpuE8ELNS1_3repE0EEENS1_30default_config_static_selectorELNS0_4arch9wavefront6targetE0EEEvSY_.uses_vcc, 0
	.set _ZN7rocprim17ROCPRIM_400000_NS6detail17trampoline_kernelINS0_13select_configILj256ELj13ELNS0_17block_load_methodE3ELS4_3ELS4_3ELNS0_20block_scan_algorithmE0ELj4294967295EEENS1_25partition_config_selectorILNS1_17partition_subalgoE3EjNS0_10empty_typeEbEEZZNS1_14partition_implILS8_3ELb0ES6_jNS0_17counting_iteratorIjlEEPS9_SE_NS0_5tupleIJPjSE_EEENSF_IJSE_SE_EEES9_SG_JZNS1_25segmented_radix_sort_implINS0_14default_configELb1EPKbPbPKlPlN2at6native12_GLOBAL__N_18offset_tEEE10hipError_tPvRmT1_PNSt15iterator_traitsISY_E10value_typeET2_T3_PNSZ_IS14_E10value_typeET4_jRbjT5_S1A_jjP12ihipStream_tbEUljE_EEESV_SW_SX_S14_S18_S1A_T6_T7_T9_mT8_S1C_bDpT10_ENKUlT_T0_E_clISt17integral_constantIbLb1EES1O_IbLb0EEEEDaS1K_S1L_EUlS1K_E_NS1_11comp_targetILNS1_3genE4ELNS1_11target_archE910ELNS1_3gpuE8ELNS1_3repE0EEENS1_30default_config_static_selectorELNS0_4arch9wavefront6targetE0EEEvSY_.uses_flat_scratch, 0
	.set _ZN7rocprim17ROCPRIM_400000_NS6detail17trampoline_kernelINS0_13select_configILj256ELj13ELNS0_17block_load_methodE3ELS4_3ELS4_3ELNS0_20block_scan_algorithmE0ELj4294967295EEENS1_25partition_config_selectorILNS1_17partition_subalgoE3EjNS0_10empty_typeEbEEZZNS1_14partition_implILS8_3ELb0ES6_jNS0_17counting_iteratorIjlEEPS9_SE_NS0_5tupleIJPjSE_EEENSF_IJSE_SE_EEES9_SG_JZNS1_25segmented_radix_sort_implINS0_14default_configELb1EPKbPbPKlPlN2at6native12_GLOBAL__N_18offset_tEEE10hipError_tPvRmT1_PNSt15iterator_traitsISY_E10value_typeET2_T3_PNSZ_IS14_E10value_typeET4_jRbjT5_S1A_jjP12ihipStream_tbEUljE_EEESV_SW_SX_S14_S18_S1A_T6_T7_T9_mT8_S1C_bDpT10_ENKUlT_T0_E_clISt17integral_constantIbLb1EES1O_IbLb0EEEEDaS1K_S1L_EUlS1K_E_NS1_11comp_targetILNS1_3genE4ELNS1_11target_archE910ELNS1_3gpuE8ELNS1_3repE0EEENS1_30default_config_static_selectorELNS0_4arch9wavefront6targetE0EEEvSY_.has_dyn_sized_stack, 0
	.set _ZN7rocprim17ROCPRIM_400000_NS6detail17trampoline_kernelINS0_13select_configILj256ELj13ELNS0_17block_load_methodE3ELS4_3ELS4_3ELNS0_20block_scan_algorithmE0ELj4294967295EEENS1_25partition_config_selectorILNS1_17partition_subalgoE3EjNS0_10empty_typeEbEEZZNS1_14partition_implILS8_3ELb0ES6_jNS0_17counting_iteratorIjlEEPS9_SE_NS0_5tupleIJPjSE_EEENSF_IJSE_SE_EEES9_SG_JZNS1_25segmented_radix_sort_implINS0_14default_configELb1EPKbPbPKlPlN2at6native12_GLOBAL__N_18offset_tEEE10hipError_tPvRmT1_PNSt15iterator_traitsISY_E10value_typeET2_T3_PNSZ_IS14_E10value_typeET4_jRbjT5_S1A_jjP12ihipStream_tbEUljE_EEESV_SW_SX_S14_S18_S1A_T6_T7_T9_mT8_S1C_bDpT10_ENKUlT_T0_E_clISt17integral_constantIbLb1EES1O_IbLb0EEEEDaS1K_S1L_EUlS1K_E_NS1_11comp_targetILNS1_3genE4ELNS1_11target_archE910ELNS1_3gpuE8ELNS1_3repE0EEENS1_30default_config_static_selectorELNS0_4arch9wavefront6targetE0EEEvSY_.has_recursion, 0
	.set _ZN7rocprim17ROCPRIM_400000_NS6detail17trampoline_kernelINS0_13select_configILj256ELj13ELNS0_17block_load_methodE3ELS4_3ELS4_3ELNS0_20block_scan_algorithmE0ELj4294967295EEENS1_25partition_config_selectorILNS1_17partition_subalgoE3EjNS0_10empty_typeEbEEZZNS1_14partition_implILS8_3ELb0ES6_jNS0_17counting_iteratorIjlEEPS9_SE_NS0_5tupleIJPjSE_EEENSF_IJSE_SE_EEES9_SG_JZNS1_25segmented_radix_sort_implINS0_14default_configELb1EPKbPbPKlPlN2at6native12_GLOBAL__N_18offset_tEEE10hipError_tPvRmT1_PNSt15iterator_traitsISY_E10value_typeET2_T3_PNSZ_IS14_E10value_typeET4_jRbjT5_S1A_jjP12ihipStream_tbEUljE_EEESV_SW_SX_S14_S18_S1A_T6_T7_T9_mT8_S1C_bDpT10_ENKUlT_T0_E_clISt17integral_constantIbLb1EES1O_IbLb0EEEEDaS1K_S1L_EUlS1K_E_NS1_11comp_targetILNS1_3genE4ELNS1_11target_archE910ELNS1_3gpuE8ELNS1_3repE0EEENS1_30default_config_static_selectorELNS0_4arch9wavefront6targetE0EEEvSY_.has_indirect_call, 0
	.section	.AMDGPU.csdata,"",@progbits
; Kernel info:
; codeLenInByte = 0
; TotalNumSgprs: 0
; NumVgprs: 0
; ScratchSize: 0
; MemoryBound: 0
; FloatMode: 240
; IeeeMode: 1
; LDSByteSize: 0 bytes/workgroup (compile time only)
; SGPRBlocks: 0
; VGPRBlocks: 0
; NumSGPRsForWavesPerEU: 1
; NumVGPRsForWavesPerEU: 1
; Occupancy: 16
; WaveLimiterHint : 0
; COMPUTE_PGM_RSRC2:SCRATCH_EN: 0
; COMPUTE_PGM_RSRC2:USER_SGPR: 6
; COMPUTE_PGM_RSRC2:TRAP_HANDLER: 0
; COMPUTE_PGM_RSRC2:TGID_X_EN: 1
; COMPUTE_PGM_RSRC2:TGID_Y_EN: 0
; COMPUTE_PGM_RSRC2:TGID_Z_EN: 0
; COMPUTE_PGM_RSRC2:TIDIG_COMP_CNT: 0
	.section	.text._ZN7rocprim17ROCPRIM_400000_NS6detail17trampoline_kernelINS0_13select_configILj256ELj13ELNS0_17block_load_methodE3ELS4_3ELS4_3ELNS0_20block_scan_algorithmE0ELj4294967295EEENS1_25partition_config_selectorILNS1_17partition_subalgoE3EjNS0_10empty_typeEbEEZZNS1_14partition_implILS8_3ELb0ES6_jNS0_17counting_iteratorIjlEEPS9_SE_NS0_5tupleIJPjSE_EEENSF_IJSE_SE_EEES9_SG_JZNS1_25segmented_radix_sort_implINS0_14default_configELb1EPKbPbPKlPlN2at6native12_GLOBAL__N_18offset_tEEE10hipError_tPvRmT1_PNSt15iterator_traitsISY_E10value_typeET2_T3_PNSZ_IS14_E10value_typeET4_jRbjT5_S1A_jjP12ihipStream_tbEUljE_EEESV_SW_SX_S14_S18_S1A_T6_T7_T9_mT8_S1C_bDpT10_ENKUlT_T0_E_clISt17integral_constantIbLb1EES1O_IbLb0EEEEDaS1K_S1L_EUlS1K_E_NS1_11comp_targetILNS1_3genE3ELNS1_11target_archE908ELNS1_3gpuE7ELNS1_3repE0EEENS1_30default_config_static_selectorELNS0_4arch9wavefront6targetE0EEEvSY_,"axG",@progbits,_ZN7rocprim17ROCPRIM_400000_NS6detail17trampoline_kernelINS0_13select_configILj256ELj13ELNS0_17block_load_methodE3ELS4_3ELS4_3ELNS0_20block_scan_algorithmE0ELj4294967295EEENS1_25partition_config_selectorILNS1_17partition_subalgoE3EjNS0_10empty_typeEbEEZZNS1_14partition_implILS8_3ELb0ES6_jNS0_17counting_iteratorIjlEEPS9_SE_NS0_5tupleIJPjSE_EEENSF_IJSE_SE_EEES9_SG_JZNS1_25segmented_radix_sort_implINS0_14default_configELb1EPKbPbPKlPlN2at6native12_GLOBAL__N_18offset_tEEE10hipError_tPvRmT1_PNSt15iterator_traitsISY_E10value_typeET2_T3_PNSZ_IS14_E10value_typeET4_jRbjT5_S1A_jjP12ihipStream_tbEUljE_EEESV_SW_SX_S14_S18_S1A_T6_T7_T9_mT8_S1C_bDpT10_ENKUlT_T0_E_clISt17integral_constantIbLb1EES1O_IbLb0EEEEDaS1K_S1L_EUlS1K_E_NS1_11comp_targetILNS1_3genE3ELNS1_11target_archE908ELNS1_3gpuE7ELNS1_3repE0EEENS1_30default_config_static_selectorELNS0_4arch9wavefront6targetE0EEEvSY_,comdat
	.globl	_ZN7rocprim17ROCPRIM_400000_NS6detail17trampoline_kernelINS0_13select_configILj256ELj13ELNS0_17block_load_methodE3ELS4_3ELS4_3ELNS0_20block_scan_algorithmE0ELj4294967295EEENS1_25partition_config_selectorILNS1_17partition_subalgoE3EjNS0_10empty_typeEbEEZZNS1_14partition_implILS8_3ELb0ES6_jNS0_17counting_iteratorIjlEEPS9_SE_NS0_5tupleIJPjSE_EEENSF_IJSE_SE_EEES9_SG_JZNS1_25segmented_radix_sort_implINS0_14default_configELb1EPKbPbPKlPlN2at6native12_GLOBAL__N_18offset_tEEE10hipError_tPvRmT1_PNSt15iterator_traitsISY_E10value_typeET2_T3_PNSZ_IS14_E10value_typeET4_jRbjT5_S1A_jjP12ihipStream_tbEUljE_EEESV_SW_SX_S14_S18_S1A_T6_T7_T9_mT8_S1C_bDpT10_ENKUlT_T0_E_clISt17integral_constantIbLb1EES1O_IbLb0EEEEDaS1K_S1L_EUlS1K_E_NS1_11comp_targetILNS1_3genE3ELNS1_11target_archE908ELNS1_3gpuE7ELNS1_3repE0EEENS1_30default_config_static_selectorELNS0_4arch9wavefront6targetE0EEEvSY_ ; -- Begin function _ZN7rocprim17ROCPRIM_400000_NS6detail17trampoline_kernelINS0_13select_configILj256ELj13ELNS0_17block_load_methodE3ELS4_3ELS4_3ELNS0_20block_scan_algorithmE0ELj4294967295EEENS1_25partition_config_selectorILNS1_17partition_subalgoE3EjNS0_10empty_typeEbEEZZNS1_14partition_implILS8_3ELb0ES6_jNS0_17counting_iteratorIjlEEPS9_SE_NS0_5tupleIJPjSE_EEENSF_IJSE_SE_EEES9_SG_JZNS1_25segmented_radix_sort_implINS0_14default_configELb1EPKbPbPKlPlN2at6native12_GLOBAL__N_18offset_tEEE10hipError_tPvRmT1_PNSt15iterator_traitsISY_E10value_typeET2_T3_PNSZ_IS14_E10value_typeET4_jRbjT5_S1A_jjP12ihipStream_tbEUljE_EEESV_SW_SX_S14_S18_S1A_T6_T7_T9_mT8_S1C_bDpT10_ENKUlT_T0_E_clISt17integral_constantIbLb1EES1O_IbLb0EEEEDaS1K_S1L_EUlS1K_E_NS1_11comp_targetILNS1_3genE3ELNS1_11target_archE908ELNS1_3gpuE7ELNS1_3repE0EEENS1_30default_config_static_selectorELNS0_4arch9wavefront6targetE0EEEvSY_
	.p2align	8
	.type	_ZN7rocprim17ROCPRIM_400000_NS6detail17trampoline_kernelINS0_13select_configILj256ELj13ELNS0_17block_load_methodE3ELS4_3ELS4_3ELNS0_20block_scan_algorithmE0ELj4294967295EEENS1_25partition_config_selectorILNS1_17partition_subalgoE3EjNS0_10empty_typeEbEEZZNS1_14partition_implILS8_3ELb0ES6_jNS0_17counting_iteratorIjlEEPS9_SE_NS0_5tupleIJPjSE_EEENSF_IJSE_SE_EEES9_SG_JZNS1_25segmented_radix_sort_implINS0_14default_configELb1EPKbPbPKlPlN2at6native12_GLOBAL__N_18offset_tEEE10hipError_tPvRmT1_PNSt15iterator_traitsISY_E10value_typeET2_T3_PNSZ_IS14_E10value_typeET4_jRbjT5_S1A_jjP12ihipStream_tbEUljE_EEESV_SW_SX_S14_S18_S1A_T6_T7_T9_mT8_S1C_bDpT10_ENKUlT_T0_E_clISt17integral_constantIbLb1EES1O_IbLb0EEEEDaS1K_S1L_EUlS1K_E_NS1_11comp_targetILNS1_3genE3ELNS1_11target_archE908ELNS1_3gpuE7ELNS1_3repE0EEENS1_30default_config_static_selectorELNS0_4arch9wavefront6targetE0EEEvSY_,@function
_ZN7rocprim17ROCPRIM_400000_NS6detail17trampoline_kernelINS0_13select_configILj256ELj13ELNS0_17block_load_methodE3ELS4_3ELS4_3ELNS0_20block_scan_algorithmE0ELj4294967295EEENS1_25partition_config_selectorILNS1_17partition_subalgoE3EjNS0_10empty_typeEbEEZZNS1_14partition_implILS8_3ELb0ES6_jNS0_17counting_iteratorIjlEEPS9_SE_NS0_5tupleIJPjSE_EEENSF_IJSE_SE_EEES9_SG_JZNS1_25segmented_radix_sort_implINS0_14default_configELb1EPKbPbPKlPlN2at6native12_GLOBAL__N_18offset_tEEE10hipError_tPvRmT1_PNSt15iterator_traitsISY_E10value_typeET2_T3_PNSZ_IS14_E10value_typeET4_jRbjT5_S1A_jjP12ihipStream_tbEUljE_EEESV_SW_SX_S14_S18_S1A_T6_T7_T9_mT8_S1C_bDpT10_ENKUlT_T0_E_clISt17integral_constantIbLb1EES1O_IbLb0EEEEDaS1K_S1L_EUlS1K_E_NS1_11comp_targetILNS1_3genE3ELNS1_11target_archE908ELNS1_3gpuE7ELNS1_3repE0EEENS1_30default_config_static_selectorELNS0_4arch9wavefront6targetE0EEEvSY_: ; @_ZN7rocprim17ROCPRIM_400000_NS6detail17trampoline_kernelINS0_13select_configILj256ELj13ELNS0_17block_load_methodE3ELS4_3ELS4_3ELNS0_20block_scan_algorithmE0ELj4294967295EEENS1_25partition_config_selectorILNS1_17partition_subalgoE3EjNS0_10empty_typeEbEEZZNS1_14partition_implILS8_3ELb0ES6_jNS0_17counting_iteratorIjlEEPS9_SE_NS0_5tupleIJPjSE_EEENSF_IJSE_SE_EEES9_SG_JZNS1_25segmented_radix_sort_implINS0_14default_configELb1EPKbPbPKlPlN2at6native12_GLOBAL__N_18offset_tEEE10hipError_tPvRmT1_PNSt15iterator_traitsISY_E10value_typeET2_T3_PNSZ_IS14_E10value_typeET4_jRbjT5_S1A_jjP12ihipStream_tbEUljE_EEESV_SW_SX_S14_S18_S1A_T6_T7_T9_mT8_S1C_bDpT10_ENKUlT_T0_E_clISt17integral_constantIbLb1EES1O_IbLb0EEEEDaS1K_S1L_EUlS1K_E_NS1_11comp_targetILNS1_3genE3ELNS1_11target_archE908ELNS1_3gpuE7ELNS1_3repE0EEENS1_30default_config_static_selectorELNS0_4arch9wavefront6targetE0EEEvSY_
; %bb.0:
	.section	.rodata,"a",@progbits
	.p2align	6, 0x0
	.amdhsa_kernel _ZN7rocprim17ROCPRIM_400000_NS6detail17trampoline_kernelINS0_13select_configILj256ELj13ELNS0_17block_load_methodE3ELS4_3ELS4_3ELNS0_20block_scan_algorithmE0ELj4294967295EEENS1_25partition_config_selectorILNS1_17partition_subalgoE3EjNS0_10empty_typeEbEEZZNS1_14partition_implILS8_3ELb0ES6_jNS0_17counting_iteratorIjlEEPS9_SE_NS0_5tupleIJPjSE_EEENSF_IJSE_SE_EEES9_SG_JZNS1_25segmented_radix_sort_implINS0_14default_configELb1EPKbPbPKlPlN2at6native12_GLOBAL__N_18offset_tEEE10hipError_tPvRmT1_PNSt15iterator_traitsISY_E10value_typeET2_T3_PNSZ_IS14_E10value_typeET4_jRbjT5_S1A_jjP12ihipStream_tbEUljE_EEESV_SW_SX_S14_S18_S1A_T6_T7_T9_mT8_S1C_bDpT10_ENKUlT_T0_E_clISt17integral_constantIbLb1EES1O_IbLb0EEEEDaS1K_S1L_EUlS1K_E_NS1_11comp_targetILNS1_3genE3ELNS1_11target_archE908ELNS1_3gpuE7ELNS1_3repE0EEENS1_30default_config_static_selectorELNS0_4arch9wavefront6targetE0EEEvSY_
		.amdhsa_group_segment_fixed_size 0
		.amdhsa_private_segment_fixed_size 0
		.amdhsa_kernarg_size 144
		.amdhsa_user_sgpr_count 6
		.amdhsa_user_sgpr_private_segment_buffer 1
		.amdhsa_user_sgpr_dispatch_ptr 0
		.amdhsa_user_sgpr_queue_ptr 0
		.amdhsa_user_sgpr_kernarg_segment_ptr 1
		.amdhsa_user_sgpr_dispatch_id 0
		.amdhsa_user_sgpr_flat_scratch_init 0
		.amdhsa_user_sgpr_private_segment_size 0
		.amdhsa_wavefront_size32 1
		.amdhsa_uses_dynamic_stack 0
		.amdhsa_system_sgpr_private_segment_wavefront_offset 0
		.amdhsa_system_sgpr_workgroup_id_x 1
		.amdhsa_system_sgpr_workgroup_id_y 0
		.amdhsa_system_sgpr_workgroup_id_z 0
		.amdhsa_system_sgpr_workgroup_info 0
		.amdhsa_system_vgpr_workitem_id 0
		.amdhsa_next_free_vgpr 1
		.amdhsa_next_free_sgpr 1
		.amdhsa_reserve_vcc 0
		.amdhsa_reserve_flat_scratch 0
		.amdhsa_float_round_mode_32 0
		.amdhsa_float_round_mode_16_64 0
		.amdhsa_float_denorm_mode_32 3
		.amdhsa_float_denorm_mode_16_64 3
		.amdhsa_dx10_clamp 1
		.amdhsa_ieee_mode 1
		.amdhsa_fp16_overflow 0
		.amdhsa_workgroup_processor_mode 1
		.amdhsa_memory_ordered 1
		.amdhsa_forward_progress 1
		.amdhsa_shared_vgpr_count 0
		.amdhsa_exception_fp_ieee_invalid_op 0
		.amdhsa_exception_fp_denorm_src 0
		.amdhsa_exception_fp_ieee_div_zero 0
		.amdhsa_exception_fp_ieee_overflow 0
		.amdhsa_exception_fp_ieee_underflow 0
		.amdhsa_exception_fp_ieee_inexact 0
		.amdhsa_exception_int_div_zero 0
	.end_amdhsa_kernel
	.section	.text._ZN7rocprim17ROCPRIM_400000_NS6detail17trampoline_kernelINS0_13select_configILj256ELj13ELNS0_17block_load_methodE3ELS4_3ELS4_3ELNS0_20block_scan_algorithmE0ELj4294967295EEENS1_25partition_config_selectorILNS1_17partition_subalgoE3EjNS0_10empty_typeEbEEZZNS1_14partition_implILS8_3ELb0ES6_jNS0_17counting_iteratorIjlEEPS9_SE_NS0_5tupleIJPjSE_EEENSF_IJSE_SE_EEES9_SG_JZNS1_25segmented_radix_sort_implINS0_14default_configELb1EPKbPbPKlPlN2at6native12_GLOBAL__N_18offset_tEEE10hipError_tPvRmT1_PNSt15iterator_traitsISY_E10value_typeET2_T3_PNSZ_IS14_E10value_typeET4_jRbjT5_S1A_jjP12ihipStream_tbEUljE_EEESV_SW_SX_S14_S18_S1A_T6_T7_T9_mT8_S1C_bDpT10_ENKUlT_T0_E_clISt17integral_constantIbLb1EES1O_IbLb0EEEEDaS1K_S1L_EUlS1K_E_NS1_11comp_targetILNS1_3genE3ELNS1_11target_archE908ELNS1_3gpuE7ELNS1_3repE0EEENS1_30default_config_static_selectorELNS0_4arch9wavefront6targetE0EEEvSY_,"axG",@progbits,_ZN7rocprim17ROCPRIM_400000_NS6detail17trampoline_kernelINS0_13select_configILj256ELj13ELNS0_17block_load_methodE3ELS4_3ELS4_3ELNS0_20block_scan_algorithmE0ELj4294967295EEENS1_25partition_config_selectorILNS1_17partition_subalgoE3EjNS0_10empty_typeEbEEZZNS1_14partition_implILS8_3ELb0ES6_jNS0_17counting_iteratorIjlEEPS9_SE_NS0_5tupleIJPjSE_EEENSF_IJSE_SE_EEES9_SG_JZNS1_25segmented_radix_sort_implINS0_14default_configELb1EPKbPbPKlPlN2at6native12_GLOBAL__N_18offset_tEEE10hipError_tPvRmT1_PNSt15iterator_traitsISY_E10value_typeET2_T3_PNSZ_IS14_E10value_typeET4_jRbjT5_S1A_jjP12ihipStream_tbEUljE_EEESV_SW_SX_S14_S18_S1A_T6_T7_T9_mT8_S1C_bDpT10_ENKUlT_T0_E_clISt17integral_constantIbLb1EES1O_IbLb0EEEEDaS1K_S1L_EUlS1K_E_NS1_11comp_targetILNS1_3genE3ELNS1_11target_archE908ELNS1_3gpuE7ELNS1_3repE0EEENS1_30default_config_static_selectorELNS0_4arch9wavefront6targetE0EEEvSY_,comdat
.Lfunc_end1511:
	.size	_ZN7rocprim17ROCPRIM_400000_NS6detail17trampoline_kernelINS0_13select_configILj256ELj13ELNS0_17block_load_methodE3ELS4_3ELS4_3ELNS0_20block_scan_algorithmE0ELj4294967295EEENS1_25partition_config_selectorILNS1_17partition_subalgoE3EjNS0_10empty_typeEbEEZZNS1_14partition_implILS8_3ELb0ES6_jNS0_17counting_iteratorIjlEEPS9_SE_NS0_5tupleIJPjSE_EEENSF_IJSE_SE_EEES9_SG_JZNS1_25segmented_radix_sort_implINS0_14default_configELb1EPKbPbPKlPlN2at6native12_GLOBAL__N_18offset_tEEE10hipError_tPvRmT1_PNSt15iterator_traitsISY_E10value_typeET2_T3_PNSZ_IS14_E10value_typeET4_jRbjT5_S1A_jjP12ihipStream_tbEUljE_EEESV_SW_SX_S14_S18_S1A_T6_T7_T9_mT8_S1C_bDpT10_ENKUlT_T0_E_clISt17integral_constantIbLb1EES1O_IbLb0EEEEDaS1K_S1L_EUlS1K_E_NS1_11comp_targetILNS1_3genE3ELNS1_11target_archE908ELNS1_3gpuE7ELNS1_3repE0EEENS1_30default_config_static_selectorELNS0_4arch9wavefront6targetE0EEEvSY_, .Lfunc_end1511-_ZN7rocprim17ROCPRIM_400000_NS6detail17trampoline_kernelINS0_13select_configILj256ELj13ELNS0_17block_load_methodE3ELS4_3ELS4_3ELNS0_20block_scan_algorithmE0ELj4294967295EEENS1_25partition_config_selectorILNS1_17partition_subalgoE3EjNS0_10empty_typeEbEEZZNS1_14partition_implILS8_3ELb0ES6_jNS0_17counting_iteratorIjlEEPS9_SE_NS0_5tupleIJPjSE_EEENSF_IJSE_SE_EEES9_SG_JZNS1_25segmented_radix_sort_implINS0_14default_configELb1EPKbPbPKlPlN2at6native12_GLOBAL__N_18offset_tEEE10hipError_tPvRmT1_PNSt15iterator_traitsISY_E10value_typeET2_T3_PNSZ_IS14_E10value_typeET4_jRbjT5_S1A_jjP12ihipStream_tbEUljE_EEESV_SW_SX_S14_S18_S1A_T6_T7_T9_mT8_S1C_bDpT10_ENKUlT_T0_E_clISt17integral_constantIbLb1EES1O_IbLb0EEEEDaS1K_S1L_EUlS1K_E_NS1_11comp_targetILNS1_3genE3ELNS1_11target_archE908ELNS1_3gpuE7ELNS1_3repE0EEENS1_30default_config_static_selectorELNS0_4arch9wavefront6targetE0EEEvSY_
                                        ; -- End function
	.set _ZN7rocprim17ROCPRIM_400000_NS6detail17trampoline_kernelINS0_13select_configILj256ELj13ELNS0_17block_load_methodE3ELS4_3ELS4_3ELNS0_20block_scan_algorithmE0ELj4294967295EEENS1_25partition_config_selectorILNS1_17partition_subalgoE3EjNS0_10empty_typeEbEEZZNS1_14partition_implILS8_3ELb0ES6_jNS0_17counting_iteratorIjlEEPS9_SE_NS0_5tupleIJPjSE_EEENSF_IJSE_SE_EEES9_SG_JZNS1_25segmented_radix_sort_implINS0_14default_configELb1EPKbPbPKlPlN2at6native12_GLOBAL__N_18offset_tEEE10hipError_tPvRmT1_PNSt15iterator_traitsISY_E10value_typeET2_T3_PNSZ_IS14_E10value_typeET4_jRbjT5_S1A_jjP12ihipStream_tbEUljE_EEESV_SW_SX_S14_S18_S1A_T6_T7_T9_mT8_S1C_bDpT10_ENKUlT_T0_E_clISt17integral_constantIbLb1EES1O_IbLb0EEEEDaS1K_S1L_EUlS1K_E_NS1_11comp_targetILNS1_3genE3ELNS1_11target_archE908ELNS1_3gpuE7ELNS1_3repE0EEENS1_30default_config_static_selectorELNS0_4arch9wavefront6targetE0EEEvSY_.num_vgpr, 0
	.set _ZN7rocprim17ROCPRIM_400000_NS6detail17trampoline_kernelINS0_13select_configILj256ELj13ELNS0_17block_load_methodE3ELS4_3ELS4_3ELNS0_20block_scan_algorithmE0ELj4294967295EEENS1_25partition_config_selectorILNS1_17partition_subalgoE3EjNS0_10empty_typeEbEEZZNS1_14partition_implILS8_3ELb0ES6_jNS0_17counting_iteratorIjlEEPS9_SE_NS0_5tupleIJPjSE_EEENSF_IJSE_SE_EEES9_SG_JZNS1_25segmented_radix_sort_implINS0_14default_configELb1EPKbPbPKlPlN2at6native12_GLOBAL__N_18offset_tEEE10hipError_tPvRmT1_PNSt15iterator_traitsISY_E10value_typeET2_T3_PNSZ_IS14_E10value_typeET4_jRbjT5_S1A_jjP12ihipStream_tbEUljE_EEESV_SW_SX_S14_S18_S1A_T6_T7_T9_mT8_S1C_bDpT10_ENKUlT_T0_E_clISt17integral_constantIbLb1EES1O_IbLb0EEEEDaS1K_S1L_EUlS1K_E_NS1_11comp_targetILNS1_3genE3ELNS1_11target_archE908ELNS1_3gpuE7ELNS1_3repE0EEENS1_30default_config_static_selectorELNS0_4arch9wavefront6targetE0EEEvSY_.num_agpr, 0
	.set _ZN7rocprim17ROCPRIM_400000_NS6detail17trampoline_kernelINS0_13select_configILj256ELj13ELNS0_17block_load_methodE3ELS4_3ELS4_3ELNS0_20block_scan_algorithmE0ELj4294967295EEENS1_25partition_config_selectorILNS1_17partition_subalgoE3EjNS0_10empty_typeEbEEZZNS1_14partition_implILS8_3ELb0ES6_jNS0_17counting_iteratorIjlEEPS9_SE_NS0_5tupleIJPjSE_EEENSF_IJSE_SE_EEES9_SG_JZNS1_25segmented_radix_sort_implINS0_14default_configELb1EPKbPbPKlPlN2at6native12_GLOBAL__N_18offset_tEEE10hipError_tPvRmT1_PNSt15iterator_traitsISY_E10value_typeET2_T3_PNSZ_IS14_E10value_typeET4_jRbjT5_S1A_jjP12ihipStream_tbEUljE_EEESV_SW_SX_S14_S18_S1A_T6_T7_T9_mT8_S1C_bDpT10_ENKUlT_T0_E_clISt17integral_constantIbLb1EES1O_IbLb0EEEEDaS1K_S1L_EUlS1K_E_NS1_11comp_targetILNS1_3genE3ELNS1_11target_archE908ELNS1_3gpuE7ELNS1_3repE0EEENS1_30default_config_static_selectorELNS0_4arch9wavefront6targetE0EEEvSY_.numbered_sgpr, 0
	.set _ZN7rocprim17ROCPRIM_400000_NS6detail17trampoline_kernelINS0_13select_configILj256ELj13ELNS0_17block_load_methodE3ELS4_3ELS4_3ELNS0_20block_scan_algorithmE0ELj4294967295EEENS1_25partition_config_selectorILNS1_17partition_subalgoE3EjNS0_10empty_typeEbEEZZNS1_14partition_implILS8_3ELb0ES6_jNS0_17counting_iteratorIjlEEPS9_SE_NS0_5tupleIJPjSE_EEENSF_IJSE_SE_EEES9_SG_JZNS1_25segmented_radix_sort_implINS0_14default_configELb1EPKbPbPKlPlN2at6native12_GLOBAL__N_18offset_tEEE10hipError_tPvRmT1_PNSt15iterator_traitsISY_E10value_typeET2_T3_PNSZ_IS14_E10value_typeET4_jRbjT5_S1A_jjP12ihipStream_tbEUljE_EEESV_SW_SX_S14_S18_S1A_T6_T7_T9_mT8_S1C_bDpT10_ENKUlT_T0_E_clISt17integral_constantIbLb1EES1O_IbLb0EEEEDaS1K_S1L_EUlS1K_E_NS1_11comp_targetILNS1_3genE3ELNS1_11target_archE908ELNS1_3gpuE7ELNS1_3repE0EEENS1_30default_config_static_selectorELNS0_4arch9wavefront6targetE0EEEvSY_.num_named_barrier, 0
	.set _ZN7rocprim17ROCPRIM_400000_NS6detail17trampoline_kernelINS0_13select_configILj256ELj13ELNS0_17block_load_methodE3ELS4_3ELS4_3ELNS0_20block_scan_algorithmE0ELj4294967295EEENS1_25partition_config_selectorILNS1_17partition_subalgoE3EjNS0_10empty_typeEbEEZZNS1_14partition_implILS8_3ELb0ES6_jNS0_17counting_iteratorIjlEEPS9_SE_NS0_5tupleIJPjSE_EEENSF_IJSE_SE_EEES9_SG_JZNS1_25segmented_radix_sort_implINS0_14default_configELb1EPKbPbPKlPlN2at6native12_GLOBAL__N_18offset_tEEE10hipError_tPvRmT1_PNSt15iterator_traitsISY_E10value_typeET2_T3_PNSZ_IS14_E10value_typeET4_jRbjT5_S1A_jjP12ihipStream_tbEUljE_EEESV_SW_SX_S14_S18_S1A_T6_T7_T9_mT8_S1C_bDpT10_ENKUlT_T0_E_clISt17integral_constantIbLb1EES1O_IbLb0EEEEDaS1K_S1L_EUlS1K_E_NS1_11comp_targetILNS1_3genE3ELNS1_11target_archE908ELNS1_3gpuE7ELNS1_3repE0EEENS1_30default_config_static_selectorELNS0_4arch9wavefront6targetE0EEEvSY_.private_seg_size, 0
	.set _ZN7rocprim17ROCPRIM_400000_NS6detail17trampoline_kernelINS0_13select_configILj256ELj13ELNS0_17block_load_methodE3ELS4_3ELS4_3ELNS0_20block_scan_algorithmE0ELj4294967295EEENS1_25partition_config_selectorILNS1_17partition_subalgoE3EjNS0_10empty_typeEbEEZZNS1_14partition_implILS8_3ELb0ES6_jNS0_17counting_iteratorIjlEEPS9_SE_NS0_5tupleIJPjSE_EEENSF_IJSE_SE_EEES9_SG_JZNS1_25segmented_radix_sort_implINS0_14default_configELb1EPKbPbPKlPlN2at6native12_GLOBAL__N_18offset_tEEE10hipError_tPvRmT1_PNSt15iterator_traitsISY_E10value_typeET2_T3_PNSZ_IS14_E10value_typeET4_jRbjT5_S1A_jjP12ihipStream_tbEUljE_EEESV_SW_SX_S14_S18_S1A_T6_T7_T9_mT8_S1C_bDpT10_ENKUlT_T0_E_clISt17integral_constantIbLb1EES1O_IbLb0EEEEDaS1K_S1L_EUlS1K_E_NS1_11comp_targetILNS1_3genE3ELNS1_11target_archE908ELNS1_3gpuE7ELNS1_3repE0EEENS1_30default_config_static_selectorELNS0_4arch9wavefront6targetE0EEEvSY_.uses_vcc, 0
	.set _ZN7rocprim17ROCPRIM_400000_NS6detail17trampoline_kernelINS0_13select_configILj256ELj13ELNS0_17block_load_methodE3ELS4_3ELS4_3ELNS0_20block_scan_algorithmE0ELj4294967295EEENS1_25partition_config_selectorILNS1_17partition_subalgoE3EjNS0_10empty_typeEbEEZZNS1_14partition_implILS8_3ELb0ES6_jNS0_17counting_iteratorIjlEEPS9_SE_NS0_5tupleIJPjSE_EEENSF_IJSE_SE_EEES9_SG_JZNS1_25segmented_radix_sort_implINS0_14default_configELb1EPKbPbPKlPlN2at6native12_GLOBAL__N_18offset_tEEE10hipError_tPvRmT1_PNSt15iterator_traitsISY_E10value_typeET2_T3_PNSZ_IS14_E10value_typeET4_jRbjT5_S1A_jjP12ihipStream_tbEUljE_EEESV_SW_SX_S14_S18_S1A_T6_T7_T9_mT8_S1C_bDpT10_ENKUlT_T0_E_clISt17integral_constantIbLb1EES1O_IbLb0EEEEDaS1K_S1L_EUlS1K_E_NS1_11comp_targetILNS1_3genE3ELNS1_11target_archE908ELNS1_3gpuE7ELNS1_3repE0EEENS1_30default_config_static_selectorELNS0_4arch9wavefront6targetE0EEEvSY_.uses_flat_scratch, 0
	.set _ZN7rocprim17ROCPRIM_400000_NS6detail17trampoline_kernelINS0_13select_configILj256ELj13ELNS0_17block_load_methodE3ELS4_3ELS4_3ELNS0_20block_scan_algorithmE0ELj4294967295EEENS1_25partition_config_selectorILNS1_17partition_subalgoE3EjNS0_10empty_typeEbEEZZNS1_14partition_implILS8_3ELb0ES6_jNS0_17counting_iteratorIjlEEPS9_SE_NS0_5tupleIJPjSE_EEENSF_IJSE_SE_EEES9_SG_JZNS1_25segmented_radix_sort_implINS0_14default_configELb1EPKbPbPKlPlN2at6native12_GLOBAL__N_18offset_tEEE10hipError_tPvRmT1_PNSt15iterator_traitsISY_E10value_typeET2_T3_PNSZ_IS14_E10value_typeET4_jRbjT5_S1A_jjP12ihipStream_tbEUljE_EEESV_SW_SX_S14_S18_S1A_T6_T7_T9_mT8_S1C_bDpT10_ENKUlT_T0_E_clISt17integral_constantIbLb1EES1O_IbLb0EEEEDaS1K_S1L_EUlS1K_E_NS1_11comp_targetILNS1_3genE3ELNS1_11target_archE908ELNS1_3gpuE7ELNS1_3repE0EEENS1_30default_config_static_selectorELNS0_4arch9wavefront6targetE0EEEvSY_.has_dyn_sized_stack, 0
	.set _ZN7rocprim17ROCPRIM_400000_NS6detail17trampoline_kernelINS0_13select_configILj256ELj13ELNS0_17block_load_methodE3ELS4_3ELS4_3ELNS0_20block_scan_algorithmE0ELj4294967295EEENS1_25partition_config_selectorILNS1_17partition_subalgoE3EjNS0_10empty_typeEbEEZZNS1_14partition_implILS8_3ELb0ES6_jNS0_17counting_iteratorIjlEEPS9_SE_NS0_5tupleIJPjSE_EEENSF_IJSE_SE_EEES9_SG_JZNS1_25segmented_radix_sort_implINS0_14default_configELb1EPKbPbPKlPlN2at6native12_GLOBAL__N_18offset_tEEE10hipError_tPvRmT1_PNSt15iterator_traitsISY_E10value_typeET2_T3_PNSZ_IS14_E10value_typeET4_jRbjT5_S1A_jjP12ihipStream_tbEUljE_EEESV_SW_SX_S14_S18_S1A_T6_T7_T9_mT8_S1C_bDpT10_ENKUlT_T0_E_clISt17integral_constantIbLb1EES1O_IbLb0EEEEDaS1K_S1L_EUlS1K_E_NS1_11comp_targetILNS1_3genE3ELNS1_11target_archE908ELNS1_3gpuE7ELNS1_3repE0EEENS1_30default_config_static_selectorELNS0_4arch9wavefront6targetE0EEEvSY_.has_recursion, 0
	.set _ZN7rocprim17ROCPRIM_400000_NS6detail17trampoline_kernelINS0_13select_configILj256ELj13ELNS0_17block_load_methodE3ELS4_3ELS4_3ELNS0_20block_scan_algorithmE0ELj4294967295EEENS1_25partition_config_selectorILNS1_17partition_subalgoE3EjNS0_10empty_typeEbEEZZNS1_14partition_implILS8_3ELb0ES6_jNS0_17counting_iteratorIjlEEPS9_SE_NS0_5tupleIJPjSE_EEENSF_IJSE_SE_EEES9_SG_JZNS1_25segmented_radix_sort_implINS0_14default_configELb1EPKbPbPKlPlN2at6native12_GLOBAL__N_18offset_tEEE10hipError_tPvRmT1_PNSt15iterator_traitsISY_E10value_typeET2_T3_PNSZ_IS14_E10value_typeET4_jRbjT5_S1A_jjP12ihipStream_tbEUljE_EEESV_SW_SX_S14_S18_S1A_T6_T7_T9_mT8_S1C_bDpT10_ENKUlT_T0_E_clISt17integral_constantIbLb1EES1O_IbLb0EEEEDaS1K_S1L_EUlS1K_E_NS1_11comp_targetILNS1_3genE3ELNS1_11target_archE908ELNS1_3gpuE7ELNS1_3repE0EEENS1_30default_config_static_selectorELNS0_4arch9wavefront6targetE0EEEvSY_.has_indirect_call, 0
	.section	.AMDGPU.csdata,"",@progbits
; Kernel info:
; codeLenInByte = 0
; TotalNumSgprs: 0
; NumVgprs: 0
; ScratchSize: 0
; MemoryBound: 0
; FloatMode: 240
; IeeeMode: 1
; LDSByteSize: 0 bytes/workgroup (compile time only)
; SGPRBlocks: 0
; VGPRBlocks: 0
; NumSGPRsForWavesPerEU: 1
; NumVGPRsForWavesPerEU: 1
; Occupancy: 16
; WaveLimiterHint : 0
; COMPUTE_PGM_RSRC2:SCRATCH_EN: 0
; COMPUTE_PGM_RSRC2:USER_SGPR: 6
; COMPUTE_PGM_RSRC2:TRAP_HANDLER: 0
; COMPUTE_PGM_RSRC2:TGID_X_EN: 1
; COMPUTE_PGM_RSRC2:TGID_Y_EN: 0
; COMPUTE_PGM_RSRC2:TGID_Z_EN: 0
; COMPUTE_PGM_RSRC2:TIDIG_COMP_CNT: 0
	.section	.text._ZN7rocprim17ROCPRIM_400000_NS6detail17trampoline_kernelINS0_13select_configILj256ELj13ELNS0_17block_load_methodE3ELS4_3ELS4_3ELNS0_20block_scan_algorithmE0ELj4294967295EEENS1_25partition_config_selectorILNS1_17partition_subalgoE3EjNS0_10empty_typeEbEEZZNS1_14partition_implILS8_3ELb0ES6_jNS0_17counting_iteratorIjlEEPS9_SE_NS0_5tupleIJPjSE_EEENSF_IJSE_SE_EEES9_SG_JZNS1_25segmented_radix_sort_implINS0_14default_configELb1EPKbPbPKlPlN2at6native12_GLOBAL__N_18offset_tEEE10hipError_tPvRmT1_PNSt15iterator_traitsISY_E10value_typeET2_T3_PNSZ_IS14_E10value_typeET4_jRbjT5_S1A_jjP12ihipStream_tbEUljE_EEESV_SW_SX_S14_S18_S1A_T6_T7_T9_mT8_S1C_bDpT10_ENKUlT_T0_E_clISt17integral_constantIbLb1EES1O_IbLb0EEEEDaS1K_S1L_EUlS1K_E_NS1_11comp_targetILNS1_3genE2ELNS1_11target_archE906ELNS1_3gpuE6ELNS1_3repE0EEENS1_30default_config_static_selectorELNS0_4arch9wavefront6targetE0EEEvSY_,"axG",@progbits,_ZN7rocprim17ROCPRIM_400000_NS6detail17trampoline_kernelINS0_13select_configILj256ELj13ELNS0_17block_load_methodE3ELS4_3ELS4_3ELNS0_20block_scan_algorithmE0ELj4294967295EEENS1_25partition_config_selectorILNS1_17partition_subalgoE3EjNS0_10empty_typeEbEEZZNS1_14partition_implILS8_3ELb0ES6_jNS0_17counting_iteratorIjlEEPS9_SE_NS0_5tupleIJPjSE_EEENSF_IJSE_SE_EEES9_SG_JZNS1_25segmented_radix_sort_implINS0_14default_configELb1EPKbPbPKlPlN2at6native12_GLOBAL__N_18offset_tEEE10hipError_tPvRmT1_PNSt15iterator_traitsISY_E10value_typeET2_T3_PNSZ_IS14_E10value_typeET4_jRbjT5_S1A_jjP12ihipStream_tbEUljE_EEESV_SW_SX_S14_S18_S1A_T6_T7_T9_mT8_S1C_bDpT10_ENKUlT_T0_E_clISt17integral_constantIbLb1EES1O_IbLb0EEEEDaS1K_S1L_EUlS1K_E_NS1_11comp_targetILNS1_3genE2ELNS1_11target_archE906ELNS1_3gpuE6ELNS1_3repE0EEENS1_30default_config_static_selectorELNS0_4arch9wavefront6targetE0EEEvSY_,comdat
	.globl	_ZN7rocprim17ROCPRIM_400000_NS6detail17trampoline_kernelINS0_13select_configILj256ELj13ELNS0_17block_load_methodE3ELS4_3ELS4_3ELNS0_20block_scan_algorithmE0ELj4294967295EEENS1_25partition_config_selectorILNS1_17partition_subalgoE3EjNS0_10empty_typeEbEEZZNS1_14partition_implILS8_3ELb0ES6_jNS0_17counting_iteratorIjlEEPS9_SE_NS0_5tupleIJPjSE_EEENSF_IJSE_SE_EEES9_SG_JZNS1_25segmented_radix_sort_implINS0_14default_configELb1EPKbPbPKlPlN2at6native12_GLOBAL__N_18offset_tEEE10hipError_tPvRmT1_PNSt15iterator_traitsISY_E10value_typeET2_T3_PNSZ_IS14_E10value_typeET4_jRbjT5_S1A_jjP12ihipStream_tbEUljE_EEESV_SW_SX_S14_S18_S1A_T6_T7_T9_mT8_S1C_bDpT10_ENKUlT_T0_E_clISt17integral_constantIbLb1EES1O_IbLb0EEEEDaS1K_S1L_EUlS1K_E_NS1_11comp_targetILNS1_3genE2ELNS1_11target_archE906ELNS1_3gpuE6ELNS1_3repE0EEENS1_30default_config_static_selectorELNS0_4arch9wavefront6targetE0EEEvSY_ ; -- Begin function _ZN7rocprim17ROCPRIM_400000_NS6detail17trampoline_kernelINS0_13select_configILj256ELj13ELNS0_17block_load_methodE3ELS4_3ELS4_3ELNS0_20block_scan_algorithmE0ELj4294967295EEENS1_25partition_config_selectorILNS1_17partition_subalgoE3EjNS0_10empty_typeEbEEZZNS1_14partition_implILS8_3ELb0ES6_jNS0_17counting_iteratorIjlEEPS9_SE_NS0_5tupleIJPjSE_EEENSF_IJSE_SE_EEES9_SG_JZNS1_25segmented_radix_sort_implINS0_14default_configELb1EPKbPbPKlPlN2at6native12_GLOBAL__N_18offset_tEEE10hipError_tPvRmT1_PNSt15iterator_traitsISY_E10value_typeET2_T3_PNSZ_IS14_E10value_typeET4_jRbjT5_S1A_jjP12ihipStream_tbEUljE_EEESV_SW_SX_S14_S18_S1A_T6_T7_T9_mT8_S1C_bDpT10_ENKUlT_T0_E_clISt17integral_constantIbLb1EES1O_IbLb0EEEEDaS1K_S1L_EUlS1K_E_NS1_11comp_targetILNS1_3genE2ELNS1_11target_archE906ELNS1_3gpuE6ELNS1_3repE0EEENS1_30default_config_static_selectorELNS0_4arch9wavefront6targetE0EEEvSY_
	.p2align	8
	.type	_ZN7rocprim17ROCPRIM_400000_NS6detail17trampoline_kernelINS0_13select_configILj256ELj13ELNS0_17block_load_methodE3ELS4_3ELS4_3ELNS0_20block_scan_algorithmE0ELj4294967295EEENS1_25partition_config_selectorILNS1_17partition_subalgoE3EjNS0_10empty_typeEbEEZZNS1_14partition_implILS8_3ELb0ES6_jNS0_17counting_iteratorIjlEEPS9_SE_NS0_5tupleIJPjSE_EEENSF_IJSE_SE_EEES9_SG_JZNS1_25segmented_radix_sort_implINS0_14default_configELb1EPKbPbPKlPlN2at6native12_GLOBAL__N_18offset_tEEE10hipError_tPvRmT1_PNSt15iterator_traitsISY_E10value_typeET2_T3_PNSZ_IS14_E10value_typeET4_jRbjT5_S1A_jjP12ihipStream_tbEUljE_EEESV_SW_SX_S14_S18_S1A_T6_T7_T9_mT8_S1C_bDpT10_ENKUlT_T0_E_clISt17integral_constantIbLb1EES1O_IbLb0EEEEDaS1K_S1L_EUlS1K_E_NS1_11comp_targetILNS1_3genE2ELNS1_11target_archE906ELNS1_3gpuE6ELNS1_3repE0EEENS1_30default_config_static_selectorELNS0_4arch9wavefront6targetE0EEEvSY_,@function
_ZN7rocprim17ROCPRIM_400000_NS6detail17trampoline_kernelINS0_13select_configILj256ELj13ELNS0_17block_load_methodE3ELS4_3ELS4_3ELNS0_20block_scan_algorithmE0ELj4294967295EEENS1_25partition_config_selectorILNS1_17partition_subalgoE3EjNS0_10empty_typeEbEEZZNS1_14partition_implILS8_3ELb0ES6_jNS0_17counting_iteratorIjlEEPS9_SE_NS0_5tupleIJPjSE_EEENSF_IJSE_SE_EEES9_SG_JZNS1_25segmented_radix_sort_implINS0_14default_configELb1EPKbPbPKlPlN2at6native12_GLOBAL__N_18offset_tEEE10hipError_tPvRmT1_PNSt15iterator_traitsISY_E10value_typeET2_T3_PNSZ_IS14_E10value_typeET4_jRbjT5_S1A_jjP12ihipStream_tbEUljE_EEESV_SW_SX_S14_S18_S1A_T6_T7_T9_mT8_S1C_bDpT10_ENKUlT_T0_E_clISt17integral_constantIbLb1EES1O_IbLb0EEEEDaS1K_S1L_EUlS1K_E_NS1_11comp_targetILNS1_3genE2ELNS1_11target_archE906ELNS1_3gpuE6ELNS1_3repE0EEENS1_30default_config_static_selectorELNS0_4arch9wavefront6targetE0EEEvSY_: ; @_ZN7rocprim17ROCPRIM_400000_NS6detail17trampoline_kernelINS0_13select_configILj256ELj13ELNS0_17block_load_methodE3ELS4_3ELS4_3ELNS0_20block_scan_algorithmE0ELj4294967295EEENS1_25partition_config_selectorILNS1_17partition_subalgoE3EjNS0_10empty_typeEbEEZZNS1_14partition_implILS8_3ELb0ES6_jNS0_17counting_iteratorIjlEEPS9_SE_NS0_5tupleIJPjSE_EEENSF_IJSE_SE_EEES9_SG_JZNS1_25segmented_radix_sort_implINS0_14default_configELb1EPKbPbPKlPlN2at6native12_GLOBAL__N_18offset_tEEE10hipError_tPvRmT1_PNSt15iterator_traitsISY_E10value_typeET2_T3_PNSZ_IS14_E10value_typeET4_jRbjT5_S1A_jjP12ihipStream_tbEUljE_EEESV_SW_SX_S14_S18_S1A_T6_T7_T9_mT8_S1C_bDpT10_ENKUlT_T0_E_clISt17integral_constantIbLb1EES1O_IbLb0EEEEDaS1K_S1L_EUlS1K_E_NS1_11comp_targetILNS1_3genE2ELNS1_11target_archE906ELNS1_3gpuE6ELNS1_3repE0EEENS1_30default_config_static_selectorELNS0_4arch9wavefront6targetE0EEEvSY_
; %bb.0:
	.section	.rodata,"a",@progbits
	.p2align	6, 0x0
	.amdhsa_kernel _ZN7rocprim17ROCPRIM_400000_NS6detail17trampoline_kernelINS0_13select_configILj256ELj13ELNS0_17block_load_methodE3ELS4_3ELS4_3ELNS0_20block_scan_algorithmE0ELj4294967295EEENS1_25partition_config_selectorILNS1_17partition_subalgoE3EjNS0_10empty_typeEbEEZZNS1_14partition_implILS8_3ELb0ES6_jNS0_17counting_iteratorIjlEEPS9_SE_NS0_5tupleIJPjSE_EEENSF_IJSE_SE_EEES9_SG_JZNS1_25segmented_radix_sort_implINS0_14default_configELb1EPKbPbPKlPlN2at6native12_GLOBAL__N_18offset_tEEE10hipError_tPvRmT1_PNSt15iterator_traitsISY_E10value_typeET2_T3_PNSZ_IS14_E10value_typeET4_jRbjT5_S1A_jjP12ihipStream_tbEUljE_EEESV_SW_SX_S14_S18_S1A_T6_T7_T9_mT8_S1C_bDpT10_ENKUlT_T0_E_clISt17integral_constantIbLb1EES1O_IbLb0EEEEDaS1K_S1L_EUlS1K_E_NS1_11comp_targetILNS1_3genE2ELNS1_11target_archE906ELNS1_3gpuE6ELNS1_3repE0EEENS1_30default_config_static_selectorELNS0_4arch9wavefront6targetE0EEEvSY_
		.amdhsa_group_segment_fixed_size 0
		.amdhsa_private_segment_fixed_size 0
		.amdhsa_kernarg_size 144
		.amdhsa_user_sgpr_count 6
		.amdhsa_user_sgpr_private_segment_buffer 1
		.amdhsa_user_sgpr_dispatch_ptr 0
		.amdhsa_user_sgpr_queue_ptr 0
		.amdhsa_user_sgpr_kernarg_segment_ptr 1
		.amdhsa_user_sgpr_dispatch_id 0
		.amdhsa_user_sgpr_flat_scratch_init 0
		.amdhsa_user_sgpr_private_segment_size 0
		.amdhsa_wavefront_size32 1
		.amdhsa_uses_dynamic_stack 0
		.amdhsa_system_sgpr_private_segment_wavefront_offset 0
		.amdhsa_system_sgpr_workgroup_id_x 1
		.amdhsa_system_sgpr_workgroup_id_y 0
		.amdhsa_system_sgpr_workgroup_id_z 0
		.amdhsa_system_sgpr_workgroup_info 0
		.amdhsa_system_vgpr_workitem_id 0
		.amdhsa_next_free_vgpr 1
		.amdhsa_next_free_sgpr 1
		.amdhsa_reserve_vcc 0
		.amdhsa_reserve_flat_scratch 0
		.amdhsa_float_round_mode_32 0
		.amdhsa_float_round_mode_16_64 0
		.amdhsa_float_denorm_mode_32 3
		.amdhsa_float_denorm_mode_16_64 3
		.amdhsa_dx10_clamp 1
		.amdhsa_ieee_mode 1
		.amdhsa_fp16_overflow 0
		.amdhsa_workgroup_processor_mode 1
		.amdhsa_memory_ordered 1
		.amdhsa_forward_progress 1
		.amdhsa_shared_vgpr_count 0
		.amdhsa_exception_fp_ieee_invalid_op 0
		.amdhsa_exception_fp_denorm_src 0
		.amdhsa_exception_fp_ieee_div_zero 0
		.amdhsa_exception_fp_ieee_overflow 0
		.amdhsa_exception_fp_ieee_underflow 0
		.amdhsa_exception_fp_ieee_inexact 0
		.amdhsa_exception_int_div_zero 0
	.end_amdhsa_kernel
	.section	.text._ZN7rocprim17ROCPRIM_400000_NS6detail17trampoline_kernelINS0_13select_configILj256ELj13ELNS0_17block_load_methodE3ELS4_3ELS4_3ELNS0_20block_scan_algorithmE0ELj4294967295EEENS1_25partition_config_selectorILNS1_17partition_subalgoE3EjNS0_10empty_typeEbEEZZNS1_14partition_implILS8_3ELb0ES6_jNS0_17counting_iteratorIjlEEPS9_SE_NS0_5tupleIJPjSE_EEENSF_IJSE_SE_EEES9_SG_JZNS1_25segmented_radix_sort_implINS0_14default_configELb1EPKbPbPKlPlN2at6native12_GLOBAL__N_18offset_tEEE10hipError_tPvRmT1_PNSt15iterator_traitsISY_E10value_typeET2_T3_PNSZ_IS14_E10value_typeET4_jRbjT5_S1A_jjP12ihipStream_tbEUljE_EEESV_SW_SX_S14_S18_S1A_T6_T7_T9_mT8_S1C_bDpT10_ENKUlT_T0_E_clISt17integral_constantIbLb1EES1O_IbLb0EEEEDaS1K_S1L_EUlS1K_E_NS1_11comp_targetILNS1_3genE2ELNS1_11target_archE906ELNS1_3gpuE6ELNS1_3repE0EEENS1_30default_config_static_selectorELNS0_4arch9wavefront6targetE0EEEvSY_,"axG",@progbits,_ZN7rocprim17ROCPRIM_400000_NS6detail17trampoline_kernelINS0_13select_configILj256ELj13ELNS0_17block_load_methodE3ELS4_3ELS4_3ELNS0_20block_scan_algorithmE0ELj4294967295EEENS1_25partition_config_selectorILNS1_17partition_subalgoE3EjNS0_10empty_typeEbEEZZNS1_14partition_implILS8_3ELb0ES6_jNS0_17counting_iteratorIjlEEPS9_SE_NS0_5tupleIJPjSE_EEENSF_IJSE_SE_EEES9_SG_JZNS1_25segmented_radix_sort_implINS0_14default_configELb1EPKbPbPKlPlN2at6native12_GLOBAL__N_18offset_tEEE10hipError_tPvRmT1_PNSt15iterator_traitsISY_E10value_typeET2_T3_PNSZ_IS14_E10value_typeET4_jRbjT5_S1A_jjP12ihipStream_tbEUljE_EEESV_SW_SX_S14_S18_S1A_T6_T7_T9_mT8_S1C_bDpT10_ENKUlT_T0_E_clISt17integral_constantIbLb1EES1O_IbLb0EEEEDaS1K_S1L_EUlS1K_E_NS1_11comp_targetILNS1_3genE2ELNS1_11target_archE906ELNS1_3gpuE6ELNS1_3repE0EEENS1_30default_config_static_selectorELNS0_4arch9wavefront6targetE0EEEvSY_,comdat
.Lfunc_end1512:
	.size	_ZN7rocprim17ROCPRIM_400000_NS6detail17trampoline_kernelINS0_13select_configILj256ELj13ELNS0_17block_load_methodE3ELS4_3ELS4_3ELNS0_20block_scan_algorithmE0ELj4294967295EEENS1_25partition_config_selectorILNS1_17partition_subalgoE3EjNS0_10empty_typeEbEEZZNS1_14partition_implILS8_3ELb0ES6_jNS0_17counting_iteratorIjlEEPS9_SE_NS0_5tupleIJPjSE_EEENSF_IJSE_SE_EEES9_SG_JZNS1_25segmented_radix_sort_implINS0_14default_configELb1EPKbPbPKlPlN2at6native12_GLOBAL__N_18offset_tEEE10hipError_tPvRmT1_PNSt15iterator_traitsISY_E10value_typeET2_T3_PNSZ_IS14_E10value_typeET4_jRbjT5_S1A_jjP12ihipStream_tbEUljE_EEESV_SW_SX_S14_S18_S1A_T6_T7_T9_mT8_S1C_bDpT10_ENKUlT_T0_E_clISt17integral_constantIbLb1EES1O_IbLb0EEEEDaS1K_S1L_EUlS1K_E_NS1_11comp_targetILNS1_3genE2ELNS1_11target_archE906ELNS1_3gpuE6ELNS1_3repE0EEENS1_30default_config_static_selectorELNS0_4arch9wavefront6targetE0EEEvSY_, .Lfunc_end1512-_ZN7rocprim17ROCPRIM_400000_NS6detail17trampoline_kernelINS0_13select_configILj256ELj13ELNS0_17block_load_methodE3ELS4_3ELS4_3ELNS0_20block_scan_algorithmE0ELj4294967295EEENS1_25partition_config_selectorILNS1_17partition_subalgoE3EjNS0_10empty_typeEbEEZZNS1_14partition_implILS8_3ELb0ES6_jNS0_17counting_iteratorIjlEEPS9_SE_NS0_5tupleIJPjSE_EEENSF_IJSE_SE_EEES9_SG_JZNS1_25segmented_radix_sort_implINS0_14default_configELb1EPKbPbPKlPlN2at6native12_GLOBAL__N_18offset_tEEE10hipError_tPvRmT1_PNSt15iterator_traitsISY_E10value_typeET2_T3_PNSZ_IS14_E10value_typeET4_jRbjT5_S1A_jjP12ihipStream_tbEUljE_EEESV_SW_SX_S14_S18_S1A_T6_T7_T9_mT8_S1C_bDpT10_ENKUlT_T0_E_clISt17integral_constantIbLb1EES1O_IbLb0EEEEDaS1K_S1L_EUlS1K_E_NS1_11comp_targetILNS1_3genE2ELNS1_11target_archE906ELNS1_3gpuE6ELNS1_3repE0EEENS1_30default_config_static_selectorELNS0_4arch9wavefront6targetE0EEEvSY_
                                        ; -- End function
	.set _ZN7rocprim17ROCPRIM_400000_NS6detail17trampoline_kernelINS0_13select_configILj256ELj13ELNS0_17block_load_methodE3ELS4_3ELS4_3ELNS0_20block_scan_algorithmE0ELj4294967295EEENS1_25partition_config_selectorILNS1_17partition_subalgoE3EjNS0_10empty_typeEbEEZZNS1_14partition_implILS8_3ELb0ES6_jNS0_17counting_iteratorIjlEEPS9_SE_NS0_5tupleIJPjSE_EEENSF_IJSE_SE_EEES9_SG_JZNS1_25segmented_radix_sort_implINS0_14default_configELb1EPKbPbPKlPlN2at6native12_GLOBAL__N_18offset_tEEE10hipError_tPvRmT1_PNSt15iterator_traitsISY_E10value_typeET2_T3_PNSZ_IS14_E10value_typeET4_jRbjT5_S1A_jjP12ihipStream_tbEUljE_EEESV_SW_SX_S14_S18_S1A_T6_T7_T9_mT8_S1C_bDpT10_ENKUlT_T0_E_clISt17integral_constantIbLb1EES1O_IbLb0EEEEDaS1K_S1L_EUlS1K_E_NS1_11comp_targetILNS1_3genE2ELNS1_11target_archE906ELNS1_3gpuE6ELNS1_3repE0EEENS1_30default_config_static_selectorELNS0_4arch9wavefront6targetE0EEEvSY_.num_vgpr, 0
	.set _ZN7rocprim17ROCPRIM_400000_NS6detail17trampoline_kernelINS0_13select_configILj256ELj13ELNS0_17block_load_methodE3ELS4_3ELS4_3ELNS0_20block_scan_algorithmE0ELj4294967295EEENS1_25partition_config_selectorILNS1_17partition_subalgoE3EjNS0_10empty_typeEbEEZZNS1_14partition_implILS8_3ELb0ES6_jNS0_17counting_iteratorIjlEEPS9_SE_NS0_5tupleIJPjSE_EEENSF_IJSE_SE_EEES9_SG_JZNS1_25segmented_radix_sort_implINS0_14default_configELb1EPKbPbPKlPlN2at6native12_GLOBAL__N_18offset_tEEE10hipError_tPvRmT1_PNSt15iterator_traitsISY_E10value_typeET2_T3_PNSZ_IS14_E10value_typeET4_jRbjT5_S1A_jjP12ihipStream_tbEUljE_EEESV_SW_SX_S14_S18_S1A_T6_T7_T9_mT8_S1C_bDpT10_ENKUlT_T0_E_clISt17integral_constantIbLb1EES1O_IbLb0EEEEDaS1K_S1L_EUlS1K_E_NS1_11comp_targetILNS1_3genE2ELNS1_11target_archE906ELNS1_3gpuE6ELNS1_3repE0EEENS1_30default_config_static_selectorELNS0_4arch9wavefront6targetE0EEEvSY_.num_agpr, 0
	.set _ZN7rocprim17ROCPRIM_400000_NS6detail17trampoline_kernelINS0_13select_configILj256ELj13ELNS0_17block_load_methodE3ELS4_3ELS4_3ELNS0_20block_scan_algorithmE0ELj4294967295EEENS1_25partition_config_selectorILNS1_17partition_subalgoE3EjNS0_10empty_typeEbEEZZNS1_14partition_implILS8_3ELb0ES6_jNS0_17counting_iteratorIjlEEPS9_SE_NS0_5tupleIJPjSE_EEENSF_IJSE_SE_EEES9_SG_JZNS1_25segmented_radix_sort_implINS0_14default_configELb1EPKbPbPKlPlN2at6native12_GLOBAL__N_18offset_tEEE10hipError_tPvRmT1_PNSt15iterator_traitsISY_E10value_typeET2_T3_PNSZ_IS14_E10value_typeET4_jRbjT5_S1A_jjP12ihipStream_tbEUljE_EEESV_SW_SX_S14_S18_S1A_T6_T7_T9_mT8_S1C_bDpT10_ENKUlT_T0_E_clISt17integral_constantIbLb1EES1O_IbLb0EEEEDaS1K_S1L_EUlS1K_E_NS1_11comp_targetILNS1_3genE2ELNS1_11target_archE906ELNS1_3gpuE6ELNS1_3repE0EEENS1_30default_config_static_selectorELNS0_4arch9wavefront6targetE0EEEvSY_.numbered_sgpr, 0
	.set _ZN7rocprim17ROCPRIM_400000_NS6detail17trampoline_kernelINS0_13select_configILj256ELj13ELNS0_17block_load_methodE3ELS4_3ELS4_3ELNS0_20block_scan_algorithmE0ELj4294967295EEENS1_25partition_config_selectorILNS1_17partition_subalgoE3EjNS0_10empty_typeEbEEZZNS1_14partition_implILS8_3ELb0ES6_jNS0_17counting_iteratorIjlEEPS9_SE_NS0_5tupleIJPjSE_EEENSF_IJSE_SE_EEES9_SG_JZNS1_25segmented_radix_sort_implINS0_14default_configELb1EPKbPbPKlPlN2at6native12_GLOBAL__N_18offset_tEEE10hipError_tPvRmT1_PNSt15iterator_traitsISY_E10value_typeET2_T3_PNSZ_IS14_E10value_typeET4_jRbjT5_S1A_jjP12ihipStream_tbEUljE_EEESV_SW_SX_S14_S18_S1A_T6_T7_T9_mT8_S1C_bDpT10_ENKUlT_T0_E_clISt17integral_constantIbLb1EES1O_IbLb0EEEEDaS1K_S1L_EUlS1K_E_NS1_11comp_targetILNS1_3genE2ELNS1_11target_archE906ELNS1_3gpuE6ELNS1_3repE0EEENS1_30default_config_static_selectorELNS0_4arch9wavefront6targetE0EEEvSY_.num_named_barrier, 0
	.set _ZN7rocprim17ROCPRIM_400000_NS6detail17trampoline_kernelINS0_13select_configILj256ELj13ELNS0_17block_load_methodE3ELS4_3ELS4_3ELNS0_20block_scan_algorithmE0ELj4294967295EEENS1_25partition_config_selectorILNS1_17partition_subalgoE3EjNS0_10empty_typeEbEEZZNS1_14partition_implILS8_3ELb0ES6_jNS0_17counting_iteratorIjlEEPS9_SE_NS0_5tupleIJPjSE_EEENSF_IJSE_SE_EEES9_SG_JZNS1_25segmented_radix_sort_implINS0_14default_configELb1EPKbPbPKlPlN2at6native12_GLOBAL__N_18offset_tEEE10hipError_tPvRmT1_PNSt15iterator_traitsISY_E10value_typeET2_T3_PNSZ_IS14_E10value_typeET4_jRbjT5_S1A_jjP12ihipStream_tbEUljE_EEESV_SW_SX_S14_S18_S1A_T6_T7_T9_mT8_S1C_bDpT10_ENKUlT_T0_E_clISt17integral_constantIbLb1EES1O_IbLb0EEEEDaS1K_S1L_EUlS1K_E_NS1_11comp_targetILNS1_3genE2ELNS1_11target_archE906ELNS1_3gpuE6ELNS1_3repE0EEENS1_30default_config_static_selectorELNS0_4arch9wavefront6targetE0EEEvSY_.private_seg_size, 0
	.set _ZN7rocprim17ROCPRIM_400000_NS6detail17trampoline_kernelINS0_13select_configILj256ELj13ELNS0_17block_load_methodE3ELS4_3ELS4_3ELNS0_20block_scan_algorithmE0ELj4294967295EEENS1_25partition_config_selectorILNS1_17partition_subalgoE3EjNS0_10empty_typeEbEEZZNS1_14partition_implILS8_3ELb0ES6_jNS0_17counting_iteratorIjlEEPS9_SE_NS0_5tupleIJPjSE_EEENSF_IJSE_SE_EEES9_SG_JZNS1_25segmented_radix_sort_implINS0_14default_configELb1EPKbPbPKlPlN2at6native12_GLOBAL__N_18offset_tEEE10hipError_tPvRmT1_PNSt15iterator_traitsISY_E10value_typeET2_T3_PNSZ_IS14_E10value_typeET4_jRbjT5_S1A_jjP12ihipStream_tbEUljE_EEESV_SW_SX_S14_S18_S1A_T6_T7_T9_mT8_S1C_bDpT10_ENKUlT_T0_E_clISt17integral_constantIbLb1EES1O_IbLb0EEEEDaS1K_S1L_EUlS1K_E_NS1_11comp_targetILNS1_3genE2ELNS1_11target_archE906ELNS1_3gpuE6ELNS1_3repE0EEENS1_30default_config_static_selectorELNS0_4arch9wavefront6targetE0EEEvSY_.uses_vcc, 0
	.set _ZN7rocprim17ROCPRIM_400000_NS6detail17trampoline_kernelINS0_13select_configILj256ELj13ELNS0_17block_load_methodE3ELS4_3ELS4_3ELNS0_20block_scan_algorithmE0ELj4294967295EEENS1_25partition_config_selectorILNS1_17partition_subalgoE3EjNS0_10empty_typeEbEEZZNS1_14partition_implILS8_3ELb0ES6_jNS0_17counting_iteratorIjlEEPS9_SE_NS0_5tupleIJPjSE_EEENSF_IJSE_SE_EEES9_SG_JZNS1_25segmented_radix_sort_implINS0_14default_configELb1EPKbPbPKlPlN2at6native12_GLOBAL__N_18offset_tEEE10hipError_tPvRmT1_PNSt15iterator_traitsISY_E10value_typeET2_T3_PNSZ_IS14_E10value_typeET4_jRbjT5_S1A_jjP12ihipStream_tbEUljE_EEESV_SW_SX_S14_S18_S1A_T6_T7_T9_mT8_S1C_bDpT10_ENKUlT_T0_E_clISt17integral_constantIbLb1EES1O_IbLb0EEEEDaS1K_S1L_EUlS1K_E_NS1_11comp_targetILNS1_3genE2ELNS1_11target_archE906ELNS1_3gpuE6ELNS1_3repE0EEENS1_30default_config_static_selectorELNS0_4arch9wavefront6targetE0EEEvSY_.uses_flat_scratch, 0
	.set _ZN7rocprim17ROCPRIM_400000_NS6detail17trampoline_kernelINS0_13select_configILj256ELj13ELNS0_17block_load_methodE3ELS4_3ELS4_3ELNS0_20block_scan_algorithmE0ELj4294967295EEENS1_25partition_config_selectorILNS1_17partition_subalgoE3EjNS0_10empty_typeEbEEZZNS1_14partition_implILS8_3ELb0ES6_jNS0_17counting_iteratorIjlEEPS9_SE_NS0_5tupleIJPjSE_EEENSF_IJSE_SE_EEES9_SG_JZNS1_25segmented_radix_sort_implINS0_14default_configELb1EPKbPbPKlPlN2at6native12_GLOBAL__N_18offset_tEEE10hipError_tPvRmT1_PNSt15iterator_traitsISY_E10value_typeET2_T3_PNSZ_IS14_E10value_typeET4_jRbjT5_S1A_jjP12ihipStream_tbEUljE_EEESV_SW_SX_S14_S18_S1A_T6_T7_T9_mT8_S1C_bDpT10_ENKUlT_T0_E_clISt17integral_constantIbLb1EES1O_IbLb0EEEEDaS1K_S1L_EUlS1K_E_NS1_11comp_targetILNS1_3genE2ELNS1_11target_archE906ELNS1_3gpuE6ELNS1_3repE0EEENS1_30default_config_static_selectorELNS0_4arch9wavefront6targetE0EEEvSY_.has_dyn_sized_stack, 0
	.set _ZN7rocprim17ROCPRIM_400000_NS6detail17trampoline_kernelINS0_13select_configILj256ELj13ELNS0_17block_load_methodE3ELS4_3ELS4_3ELNS0_20block_scan_algorithmE0ELj4294967295EEENS1_25partition_config_selectorILNS1_17partition_subalgoE3EjNS0_10empty_typeEbEEZZNS1_14partition_implILS8_3ELb0ES6_jNS0_17counting_iteratorIjlEEPS9_SE_NS0_5tupleIJPjSE_EEENSF_IJSE_SE_EEES9_SG_JZNS1_25segmented_radix_sort_implINS0_14default_configELb1EPKbPbPKlPlN2at6native12_GLOBAL__N_18offset_tEEE10hipError_tPvRmT1_PNSt15iterator_traitsISY_E10value_typeET2_T3_PNSZ_IS14_E10value_typeET4_jRbjT5_S1A_jjP12ihipStream_tbEUljE_EEESV_SW_SX_S14_S18_S1A_T6_T7_T9_mT8_S1C_bDpT10_ENKUlT_T0_E_clISt17integral_constantIbLb1EES1O_IbLb0EEEEDaS1K_S1L_EUlS1K_E_NS1_11comp_targetILNS1_3genE2ELNS1_11target_archE906ELNS1_3gpuE6ELNS1_3repE0EEENS1_30default_config_static_selectorELNS0_4arch9wavefront6targetE0EEEvSY_.has_recursion, 0
	.set _ZN7rocprim17ROCPRIM_400000_NS6detail17trampoline_kernelINS0_13select_configILj256ELj13ELNS0_17block_load_methodE3ELS4_3ELS4_3ELNS0_20block_scan_algorithmE0ELj4294967295EEENS1_25partition_config_selectorILNS1_17partition_subalgoE3EjNS0_10empty_typeEbEEZZNS1_14partition_implILS8_3ELb0ES6_jNS0_17counting_iteratorIjlEEPS9_SE_NS0_5tupleIJPjSE_EEENSF_IJSE_SE_EEES9_SG_JZNS1_25segmented_radix_sort_implINS0_14default_configELb1EPKbPbPKlPlN2at6native12_GLOBAL__N_18offset_tEEE10hipError_tPvRmT1_PNSt15iterator_traitsISY_E10value_typeET2_T3_PNSZ_IS14_E10value_typeET4_jRbjT5_S1A_jjP12ihipStream_tbEUljE_EEESV_SW_SX_S14_S18_S1A_T6_T7_T9_mT8_S1C_bDpT10_ENKUlT_T0_E_clISt17integral_constantIbLb1EES1O_IbLb0EEEEDaS1K_S1L_EUlS1K_E_NS1_11comp_targetILNS1_3genE2ELNS1_11target_archE906ELNS1_3gpuE6ELNS1_3repE0EEENS1_30default_config_static_selectorELNS0_4arch9wavefront6targetE0EEEvSY_.has_indirect_call, 0
	.section	.AMDGPU.csdata,"",@progbits
; Kernel info:
; codeLenInByte = 0
; TotalNumSgprs: 0
; NumVgprs: 0
; ScratchSize: 0
; MemoryBound: 0
; FloatMode: 240
; IeeeMode: 1
; LDSByteSize: 0 bytes/workgroup (compile time only)
; SGPRBlocks: 0
; VGPRBlocks: 0
; NumSGPRsForWavesPerEU: 1
; NumVGPRsForWavesPerEU: 1
; Occupancy: 16
; WaveLimiterHint : 0
; COMPUTE_PGM_RSRC2:SCRATCH_EN: 0
; COMPUTE_PGM_RSRC2:USER_SGPR: 6
; COMPUTE_PGM_RSRC2:TRAP_HANDLER: 0
; COMPUTE_PGM_RSRC2:TGID_X_EN: 1
; COMPUTE_PGM_RSRC2:TGID_Y_EN: 0
; COMPUTE_PGM_RSRC2:TGID_Z_EN: 0
; COMPUTE_PGM_RSRC2:TIDIG_COMP_CNT: 0
	.section	.text._ZN7rocprim17ROCPRIM_400000_NS6detail17trampoline_kernelINS0_13select_configILj256ELj13ELNS0_17block_load_methodE3ELS4_3ELS4_3ELNS0_20block_scan_algorithmE0ELj4294967295EEENS1_25partition_config_selectorILNS1_17partition_subalgoE3EjNS0_10empty_typeEbEEZZNS1_14partition_implILS8_3ELb0ES6_jNS0_17counting_iteratorIjlEEPS9_SE_NS0_5tupleIJPjSE_EEENSF_IJSE_SE_EEES9_SG_JZNS1_25segmented_radix_sort_implINS0_14default_configELb1EPKbPbPKlPlN2at6native12_GLOBAL__N_18offset_tEEE10hipError_tPvRmT1_PNSt15iterator_traitsISY_E10value_typeET2_T3_PNSZ_IS14_E10value_typeET4_jRbjT5_S1A_jjP12ihipStream_tbEUljE_EEESV_SW_SX_S14_S18_S1A_T6_T7_T9_mT8_S1C_bDpT10_ENKUlT_T0_E_clISt17integral_constantIbLb1EES1O_IbLb0EEEEDaS1K_S1L_EUlS1K_E_NS1_11comp_targetILNS1_3genE10ELNS1_11target_archE1200ELNS1_3gpuE4ELNS1_3repE0EEENS1_30default_config_static_selectorELNS0_4arch9wavefront6targetE0EEEvSY_,"axG",@progbits,_ZN7rocprim17ROCPRIM_400000_NS6detail17trampoline_kernelINS0_13select_configILj256ELj13ELNS0_17block_load_methodE3ELS4_3ELS4_3ELNS0_20block_scan_algorithmE0ELj4294967295EEENS1_25partition_config_selectorILNS1_17partition_subalgoE3EjNS0_10empty_typeEbEEZZNS1_14partition_implILS8_3ELb0ES6_jNS0_17counting_iteratorIjlEEPS9_SE_NS0_5tupleIJPjSE_EEENSF_IJSE_SE_EEES9_SG_JZNS1_25segmented_radix_sort_implINS0_14default_configELb1EPKbPbPKlPlN2at6native12_GLOBAL__N_18offset_tEEE10hipError_tPvRmT1_PNSt15iterator_traitsISY_E10value_typeET2_T3_PNSZ_IS14_E10value_typeET4_jRbjT5_S1A_jjP12ihipStream_tbEUljE_EEESV_SW_SX_S14_S18_S1A_T6_T7_T9_mT8_S1C_bDpT10_ENKUlT_T0_E_clISt17integral_constantIbLb1EES1O_IbLb0EEEEDaS1K_S1L_EUlS1K_E_NS1_11comp_targetILNS1_3genE10ELNS1_11target_archE1200ELNS1_3gpuE4ELNS1_3repE0EEENS1_30default_config_static_selectorELNS0_4arch9wavefront6targetE0EEEvSY_,comdat
	.globl	_ZN7rocprim17ROCPRIM_400000_NS6detail17trampoline_kernelINS0_13select_configILj256ELj13ELNS0_17block_load_methodE3ELS4_3ELS4_3ELNS0_20block_scan_algorithmE0ELj4294967295EEENS1_25partition_config_selectorILNS1_17partition_subalgoE3EjNS0_10empty_typeEbEEZZNS1_14partition_implILS8_3ELb0ES6_jNS0_17counting_iteratorIjlEEPS9_SE_NS0_5tupleIJPjSE_EEENSF_IJSE_SE_EEES9_SG_JZNS1_25segmented_radix_sort_implINS0_14default_configELb1EPKbPbPKlPlN2at6native12_GLOBAL__N_18offset_tEEE10hipError_tPvRmT1_PNSt15iterator_traitsISY_E10value_typeET2_T3_PNSZ_IS14_E10value_typeET4_jRbjT5_S1A_jjP12ihipStream_tbEUljE_EEESV_SW_SX_S14_S18_S1A_T6_T7_T9_mT8_S1C_bDpT10_ENKUlT_T0_E_clISt17integral_constantIbLb1EES1O_IbLb0EEEEDaS1K_S1L_EUlS1K_E_NS1_11comp_targetILNS1_3genE10ELNS1_11target_archE1200ELNS1_3gpuE4ELNS1_3repE0EEENS1_30default_config_static_selectorELNS0_4arch9wavefront6targetE0EEEvSY_ ; -- Begin function _ZN7rocprim17ROCPRIM_400000_NS6detail17trampoline_kernelINS0_13select_configILj256ELj13ELNS0_17block_load_methodE3ELS4_3ELS4_3ELNS0_20block_scan_algorithmE0ELj4294967295EEENS1_25partition_config_selectorILNS1_17partition_subalgoE3EjNS0_10empty_typeEbEEZZNS1_14partition_implILS8_3ELb0ES6_jNS0_17counting_iteratorIjlEEPS9_SE_NS0_5tupleIJPjSE_EEENSF_IJSE_SE_EEES9_SG_JZNS1_25segmented_radix_sort_implINS0_14default_configELb1EPKbPbPKlPlN2at6native12_GLOBAL__N_18offset_tEEE10hipError_tPvRmT1_PNSt15iterator_traitsISY_E10value_typeET2_T3_PNSZ_IS14_E10value_typeET4_jRbjT5_S1A_jjP12ihipStream_tbEUljE_EEESV_SW_SX_S14_S18_S1A_T6_T7_T9_mT8_S1C_bDpT10_ENKUlT_T0_E_clISt17integral_constantIbLb1EES1O_IbLb0EEEEDaS1K_S1L_EUlS1K_E_NS1_11comp_targetILNS1_3genE10ELNS1_11target_archE1200ELNS1_3gpuE4ELNS1_3repE0EEENS1_30default_config_static_selectorELNS0_4arch9wavefront6targetE0EEEvSY_
	.p2align	8
	.type	_ZN7rocprim17ROCPRIM_400000_NS6detail17trampoline_kernelINS0_13select_configILj256ELj13ELNS0_17block_load_methodE3ELS4_3ELS4_3ELNS0_20block_scan_algorithmE0ELj4294967295EEENS1_25partition_config_selectorILNS1_17partition_subalgoE3EjNS0_10empty_typeEbEEZZNS1_14partition_implILS8_3ELb0ES6_jNS0_17counting_iteratorIjlEEPS9_SE_NS0_5tupleIJPjSE_EEENSF_IJSE_SE_EEES9_SG_JZNS1_25segmented_radix_sort_implINS0_14default_configELb1EPKbPbPKlPlN2at6native12_GLOBAL__N_18offset_tEEE10hipError_tPvRmT1_PNSt15iterator_traitsISY_E10value_typeET2_T3_PNSZ_IS14_E10value_typeET4_jRbjT5_S1A_jjP12ihipStream_tbEUljE_EEESV_SW_SX_S14_S18_S1A_T6_T7_T9_mT8_S1C_bDpT10_ENKUlT_T0_E_clISt17integral_constantIbLb1EES1O_IbLb0EEEEDaS1K_S1L_EUlS1K_E_NS1_11comp_targetILNS1_3genE10ELNS1_11target_archE1200ELNS1_3gpuE4ELNS1_3repE0EEENS1_30default_config_static_selectorELNS0_4arch9wavefront6targetE0EEEvSY_,@function
_ZN7rocprim17ROCPRIM_400000_NS6detail17trampoline_kernelINS0_13select_configILj256ELj13ELNS0_17block_load_methodE3ELS4_3ELS4_3ELNS0_20block_scan_algorithmE0ELj4294967295EEENS1_25partition_config_selectorILNS1_17partition_subalgoE3EjNS0_10empty_typeEbEEZZNS1_14partition_implILS8_3ELb0ES6_jNS0_17counting_iteratorIjlEEPS9_SE_NS0_5tupleIJPjSE_EEENSF_IJSE_SE_EEES9_SG_JZNS1_25segmented_radix_sort_implINS0_14default_configELb1EPKbPbPKlPlN2at6native12_GLOBAL__N_18offset_tEEE10hipError_tPvRmT1_PNSt15iterator_traitsISY_E10value_typeET2_T3_PNSZ_IS14_E10value_typeET4_jRbjT5_S1A_jjP12ihipStream_tbEUljE_EEESV_SW_SX_S14_S18_S1A_T6_T7_T9_mT8_S1C_bDpT10_ENKUlT_T0_E_clISt17integral_constantIbLb1EES1O_IbLb0EEEEDaS1K_S1L_EUlS1K_E_NS1_11comp_targetILNS1_3genE10ELNS1_11target_archE1200ELNS1_3gpuE4ELNS1_3repE0EEENS1_30default_config_static_selectorELNS0_4arch9wavefront6targetE0EEEvSY_: ; @_ZN7rocprim17ROCPRIM_400000_NS6detail17trampoline_kernelINS0_13select_configILj256ELj13ELNS0_17block_load_methodE3ELS4_3ELS4_3ELNS0_20block_scan_algorithmE0ELj4294967295EEENS1_25partition_config_selectorILNS1_17partition_subalgoE3EjNS0_10empty_typeEbEEZZNS1_14partition_implILS8_3ELb0ES6_jNS0_17counting_iteratorIjlEEPS9_SE_NS0_5tupleIJPjSE_EEENSF_IJSE_SE_EEES9_SG_JZNS1_25segmented_radix_sort_implINS0_14default_configELb1EPKbPbPKlPlN2at6native12_GLOBAL__N_18offset_tEEE10hipError_tPvRmT1_PNSt15iterator_traitsISY_E10value_typeET2_T3_PNSZ_IS14_E10value_typeET4_jRbjT5_S1A_jjP12ihipStream_tbEUljE_EEESV_SW_SX_S14_S18_S1A_T6_T7_T9_mT8_S1C_bDpT10_ENKUlT_T0_E_clISt17integral_constantIbLb1EES1O_IbLb0EEEEDaS1K_S1L_EUlS1K_E_NS1_11comp_targetILNS1_3genE10ELNS1_11target_archE1200ELNS1_3gpuE4ELNS1_3repE0EEENS1_30default_config_static_selectorELNS0_4arch9wavefront6targetE0EEEvSY_
; %bb.0:
	.section	.rodata,"a",@progbits
	.p2align	6, 0x0
	.amdhsa_kernel _ZN7rocprim17ROCPRIM_400000_NS6detail17trampoline_kernelINS0_13select_configILj256ELj13ELNS0_17block_load_methodE3ELS4_3ELS4_3ELNS0_20block_scan_algorithmE0ELj4294967295EEENS1_25partition_config_selectorILNS1_17partition_subalgoE3EjNS0_10empty_typeEbEEZZNS1_14partition_implILS8_3ELb0ES6_jNS0_17counting_iteratorIjlEEPS9_SE_NS0_5tupleIJPjSE_EEENSF_IJSE_SE_EEES9_SG_JZNS1_25segmented_radix_sort_implINS0_14default_configELb1EPKbPbPKlPlN2at6native12_GLOBAL__N_18offset_tEEE10hipError_tPvRmT1_PNSt15iterator_traitsISY_E10value_typeET2_T3_PNSZ_IS14_E10value_typeET4_jRbjT5_S1A_jjP12ihipStream_tbEUljE_EEESV_SW_SX_S14_S18_S1A_T6_T7_T9_mT8_S1C_bDpT10_ENKUlT_T0_E_clISt17integral_constantIbLb1EES1O_IbLb0EEEEDaS1K_S1L_EUlS1K_E_NS1_11comp_targetILNS1_3genE10ELNS1_11target_archE1200ELNS1_3gpuE4ELNS1_3repE0EEENS1_30default_config_static_selectorELNS0_4arch9wavefront6targetE0EEEvSY_
		.amdhsa_group_segment_fixed_size 0
		.amdhsa_private_segment_fixed_size 0
		.amdhsa_kernarg_size 144
		.amdhsa_user_sgpr_count 6
		.amdhsa_user_sgpr_private_segment_buffer 1
		.amdhsa_user_sgpr_dispatch_ptr 0
		.amdhsa_user_sgpr_queue_ptr 0
		.amdhsa_user_sgpr_kernarg_segment_ptr 1
		.amdhsa_user_sgpr_dispatch_id 0
		.amdhsa_user_sgpr_flat_scratch_init 0
		.amdhsa_user_sgpr_private_segment_size 0
		.amdhsa_wavefront_size32 1
		.amdhsa_uses_dynamic_stack 0
		.amdhsa_system_sgpr_private_segment_wavefront_offset 0
		.amdhsa_system_sgpr_workgroup_id_x 1
		.amdhsa_system_sgpr_workgroup_id_y 0
		.amdhsa_system_sgpr_workgroup_id_z 0
		.amdhsa_system_sgpr_workgroup_info 0
		.amdhsa_system_vgpr_workitem_id 0
		.amdhsa_next_free_vgpr 1
		.amdhsa_next_free_sgpr 1
		.amdhsa_reserve_vcc 0
		.amdhsa_reserve_flat_scratch 0
		.amdhsa_float_round_mode_32 0
		.amdhsa_float_round_mode_16_64 0
		.amdhsa_float_denorm_mode_32 3
		.amdhsa_float_denorm_mode_16_64 3
		.amdhsa_dx10_clamp 1
		.amdhsa_ieee_mode 1
		.amdhsa_fp16_overflow 0
		.amdhsa_workgroup_processor_mode 1
		.amdhsa_memory_ordered 1
		.amdhsa_forward_progress 1
		.amdhsa_shared_vgpr_count 0
		.amdhsa_exception_fp_ieee_invalid_op 0
		.amdhsa_exception_fp_denorm_src 0
		.amdhsa_exception_fp_ieee_div_zero 0
		.amdhsa_exception_fp_ieee_overflow 0
		.amdhsa_exception_fp_ieee_underflow 0
		.amdhsa_exception_fp_ieee_inexact 0
		.amdhsa_exception_int_div_zero 0
	.end_amdhsa_kernel
	.section	.text._ZN7rocprim17ROCPRIM_400000_NS6detail17trampoline_kernelINS0_13select_configILj256ELj13ELNS0_17block_load_methodE3ELS4_3ELS4_3ELNS0_20block_scan_algorithmE0ELj4294967295EEENS1_25partition_config_selectorILNS1_17partition_subalgoE3EjNS0_10empty_typeEbEEZZNS1_14partition_implILS8_3ELb0ES6_jNS0_17counting_iteratorIjlEEPS9_SE_NS0_5tupleIJPjSE_EEENSF_IJSE_SE_EEES9_SG_JZNS1_25segmented_radix_sort_implINS0_14default_configELb1EPKbPbPKlPlN2at6native12_GLOBAL__N_18offset_tEEE10hipError_tPvRmT1_PNSt15iterator_traitsISY_E10value_typeET2_T3_PNSZ_IS14_E10value_typeET4_jRbjT5_S1A_jjP12ihipStream_tbEUljE_EEESV_SW_SX_S14_S18_S1A_T6_T7_T9_mT8_S1C_bDpT10_ENKUlT_T0_E_clISt17integral_constantIbLb1EES1O_IbLb0EEEEDaS1K_S1L_EUlS1K_E_NS1_11comp_targetILNS1_3genE10ELNS1_11target_archE1200ELNS1_3gpuE4ELNS1_3repE0EEENS1_30default_config_static_selectorELNS0_4arch9wavefront6targetE0EEEvSY_,"axG",@progbits,_ZN7rocprim17ROCPRIM_400000_NS6detail17trampoline_kernelINS0_13select_configILj256ELj13ELNS0_17block_load_methodE3ELS4_3ELS4_3ELNS0_20block_scan_algorithmE0ELj4294967295EEENS1_25partition_config_selectorILNS1_17partition_subalgoE3EjNS0_10empty_typeEbEEZZNS1_14partition_implILS8_3ELb0ES6_jNS0_17counting_iteratorIjlEEPS9_SE_NS0_5tupleIJPjSE_EEENSF_IJSE_SE_EEES9_SG_JZNS1_25segmented_radix_sort_implINS0_14default_configELb1EPKbPbPKlPlN2at6native12_GLOBAL__N_18offset_tEEE10hipError_tPvRmT1_PNSt15iterator_traitsISY_E10value_typeET2_T3_PNSZ_IS14_E10value_typeET4_jRbjT5_S1A_jjP12ihipStream_tbEUljE_EEESV_SW_SX_S14_S18_S1A_T6_T7_T9_mT8_S1C_bDpT10_ENKUlT_T0_E_clISt17integral_constantIbLb1EES1O_IbLb0EEEEDaS1K_S1L_EUlS1K_E_NS1_11comp_targetILNS1_3genE10ELNS1_11target_archE1200ELNS1_3gpuE4ELNS1_3repE0EEENS1_30default_config_static_selectorELNS0_4arch9wavefront6targetE0EEEvSY_,comdat
.Lfunc_end1513:
	.size	_ZN7rocprim17ROCPRIM_400000_NS6detail17trampoline_kernelINS0_13select_configILj256ELj13ELNS0_17block_load_methodE3ELS4_3ELS4_3ELNS0_20block_scan_algorithmE0ELj4294967295EEENS1_25partition_config_selectorILNS1_17partition_subalgoE3EjNS0_10empty_typeEbEEZZNS1_14partition_implILS8_3ELb0ES6_jNS0_17counting_iteratorIjlEEPS9_SE_NS0_5tupleIJPjSE_EEENSF_IJSE_SE_EEES9_SG_JZNS1_25segmented_radix_sort_implINS0_14default_configELb1EPKbPbPKlPlN2at6native12_GLOBAL__N_18offset_tEEE10hipError_tPvRmT1_PNSt15iterator_traitsISY_E10value_typeET2_T3_PNSZ_IS14_E10value_typeET4_jRbjT5_S1A_jjP12ihipStream_tbEUljE_EEESV_SW_SX_S14_S18_S1A_T6_T7_T9_mT8_S1C_bDpT10_ENKUlT_T0_E_clISt17integral_constantIbLb1EES1O_IbLb0EEEEDaS1K_S1L_EUlS1K_E_NS1_11comp_targetILNS1_3genE10ELNS1_11target_archE1200ELNS1_3gpuE4ELNS1_3repE0EEENS1_30default_config_static_selectorELNS0_4arch9wavefront6targetE0EEEvSY_, .Lfunc_end1513-_ZN7rocprim17ROCPRIM_400000_NS6detail17trampoline_kernelINS0_13select_configILj256ELj13ELNS0_17block_load_methodE3ELS4_3ELS4_3ELNS0_20block_scan_algorithmE0ELj4294967295EEENS1_25partition_config_selectorILNS1_17partition_subalgoE3EjNS0_10empty_typeEbEEZZNS1_14partition_implILS8_3ELb0ES6_jNS0_17counting_iteratorIjlEEPS9_SE_NS0_5tupleIJPjSE_EEENSF_IJSE_SE_EEES9_SG_JZNS1_25segmented_radix_sort_implINS0_14default_configELb1EPKbPbPKlPlN2at6native12_GLOBAL__N_18offset_tEEE10hipError_tPvRmT1_PNSt15iterator_traitsISY_E10value_typeET2_T3_PNSZ_IS14_E10value_typeET4_jRbjT5_S1A_jjP12ihipStream_tbEUljE_EEESV_SW_SX_S14_S18_S1A_T6_T7_T9_mT8_S1C_bDpT10_ENKUlT_T0_E_clISt17integral_constantIbLb1EES1O_IbLb0EEEEDaS1K_S1L_EUlS1K_E_NS1_11comp_targetILNS1_3genE10ELNS1_11target_archE1200ELNS1_3gpuE4ELNS1_3repE0EEENS1_30default_config_static_selectorELNS0_4arch9wavefront6targetE0EEEvSY_
                                        ; -- End function
	.set _ZN7rocprim17ROCPRIM_400000_NS6detail17trampoline_kernelINS0_13select_configILj256ELj13ELNS0_17block_load_methodE3ELS4_3ELS4_3ELNS0_20block_scan_algorithmE0ELj4294967295EEENS1_25partition_config_selectorILNS1_17partition_subalgoE3EjNS0_10empty_typeEbEEZZNS1_14partition_implILS8_3ELb0ES6_jNS0_17counting_iteratorIjlEEPS9_SE_NS0_5tupleIJPjSE_EEENSF_IJSE_SE_EEES9_SG_JZNS1_25segmented_radix_sort_implINS0_14default_configELb1EPKbPbPKlPlN2at6native12_GLOBAL__N_18offset_tEEE10hipError_tPvRmT1_PNSt15iterator_traitsISY_E10value_typeET2_T3_PNSZ_IS14_E10value_typeET4_jRbjT5_S1A_jjP12ihipStream_tbEUljE_EEESV_SW_SX_S14_S18_S1A_T6_T7_T9_mT8_S1C_bDpT10_ENKUlT_T0_E_clISt17integral_constantIbLb1EES1O_IbLb0EEEEDaS1K_S1L_EUlS1K_E_NS1_11comp_targetILNS1_3genE10ELNS1_11target_archE1200ELNS1_3gpuE4ELNS1_3repE0EEENS1_30default_config_static_selectorELNS0_4arch9wavefront6targetE0EEEvSY_.num_vgpr, 0
	.set _ZN7rocprim17ROCPRIM_400000_NS6detail17trampoline_kernelINS0_13select_configILj256ELj13ELNS0_17block_load_methodE3ELS4_3ELS4_3ELNS0_20block_scan_algorithmE0ELj4294967295EEENS1_25partition_config_selectorILNS1_17partition_subalgoE3EjNS0_10empty_typeEbEEZZNS1_14partition_implILS8_3ELb0ES6_jNS0_17counting_iteratorIjlEEPS9_SE_NS0_5tupleIJPjSE_EEENSF_IJSE_SE_EEES9_SG_JZNS1_25segmented_radix_sort_implINS0_14default_configELb1EPKbPbPKlPlN2at6native12_GLOBAL__N_18offset_tEEE10hipError_tPvRmT1_PNSt15iterator_traitsISY_E10value_typeET2_T3_PNSZ_IS14_E10value_typeET4_jRbjT5_S1A_jjP12ihipStream_tbEUljE_EEESV_SW_SX_S14_S18_S1A_T6_T7_T9_mT8_S1C_bDpT10_ENKUlT_T0_E_clISt17integral_constantIbLb1EES1O_IbLb0EEEEDaS1K_S1L_EUlS1K_E_NS1_11comp_targetILNS1_3genE10ELNS1_11target_archE1200ELNS1_3gpuE4ELNS1_3repE0EEENS1_30default_config_static_selectorELNS0_4arch9wavefront6targetE0EEEvSY_.num_agpr, 0
	.set _ZN7rocprim17ROCPRIM_400000_NS6detail17trampoline_kernelINS0_13select_configILj256ELj13ELNS0_17block_load_methodE3ELS4_3ELS4_3ELNS0_20block_scan_algorithmE0ELj4294967295EEENS1_25partition_config_selectorILNS1_17partition_subalgoE3EjNS0_10empty_typeEbEEZZNS1_14partition_implILS8_3ELb0ES6_jNS0_17counting_iteratorIjlEEPS9_SE_NS0_5tupleIJPjSE_EEENSF_IJSE_SE_EEES9_SG_JZNS1_25segmented_radix_sort_implINS0_14default_configELb1EPKbPbPKlPlN2at6native12_GLOBAL__N_18offset_tEEE10hipError_tPvRmT1_PNSt15iterator_traitsISY_E10value_typeET2_T3_PNSZ_IS14_E10value_typeET4_jRbjT5_S1A_jjP12ihipStream_tbEUljE_EEESV_SW_SX_S14_S18_S1A_T6_T7_T9_mT8_S1C_bDpT10_ENKUlT_T0_E_clISt17integral_constantIbLb1EES1O_IbLb0EEEEDaS1K_S1L_EUlS1K_E_NS1_11comp_targetILNS1_3genE10ELNS1_11target_archE1200ELNS1_3gpuE4ELNS1_3repE0EEENS1_30default_config_static_selectorELNS0_4arch9wavefront6targetE0EEEvSY_.numbered_sgpr, 0
	.set _ZN7rocprim17ROCPRIM_400000_NS6detail17trampoline_kernelINS0_13select_configILj256ELj13ELNS0_17block_load_methodE3ELS4_3ELS4_3ELNS0_20block_scan_algorithmE0ELj4294967295EEENS1_25partition_config_selectorILNS1_17partition_subalgoE3EjNS0_10empty_typeEbEEZZNS1_14partition_implILS8_3ELb0ES6_jNS0_17counting_iteratorIjlEEPS9_SE_NS0_5tupleIJPjSE_EEENSF_IJSE_SE_EEES9_SG_JZNS1_25segmented_radix_sort_implINS0_14default_configELb1EPKbPbPKlPlN2at6native12_GLOBAL__N_18offset_tEEE10hipError_tPvRmT1_PNSt15iterator_traitsISY_E10value_typeET2_T3_PNSZ_IS14_E10value_typeET4_jRbjT5_S1A_jjP12ihipStream_tbEUljE_EEESV_SW_SX_S14_S18_S1A_T6_T7_T9_mT8_S1C_bDpT10_ENKUlT_T0_E_clISt17integral_constantIbLb1EES1O_IbLb0EEEEDaS1K_S1L_EUlS1K_E_NS1_11comp_targetILNS1_3genE10ELNS1_11target_archE1200ELNS1_3gpuE4ELNS1_3repE0EEENS1_30default_config_static_selectorELNS0_4arch9wavefront6targetE0EEEvSY_.num_named_barrier, 0
	.set _ZN7rocprim17ROCPRIM_400000_NS6detail17trampoline_kernelINS0_13select_configILj256ELj13ELNS0_17block_load_methodE3ELS4_3ELS4_3ELNS0_20block_scan_algorithmE0ELj4294967295EEENS1_25partition_config_selectorILNS1_17partition_subalgoE3EjNS0_10empty_typeEbEEZZNS1_14partition_implILS8_3ELb0ES6_jNS0_17counting_iteratorIjlEEPS9_SE_NS0_5tupleIJPjSE_EEENSF_IJSE_SE_EEES9_SG_JZNS1_25segmented_radix_sort_implINS0_14default_configELb1EPKbPbPKlPlN2at6native12_GLOBAL__N_18offset_tEEE10hipError_tPvRmT1_PNSt15iterator_traitsISY_E10value_typeET2_T3_PNSZ_IS14_E10value_typeET4_jRbjT5_S1A_jjP12ihipStream_tbEUljE_EEESV_SW_SX_S14_S18_S1A_T6_T7_T9_mT8_S1C_bDpT10_ENKUlT_T0_E_clISt17integral_constantIbLb1EES1O_IbLb0EEEEDaS1K_S1L_EUlS1K_E_NS1_11comp_targetILNS1_3genE10ELNS1_11target_archE1200ELNS1_3gpuE4ELNS1_3repE0EEENS1_30default_config_static_selectorELNS0_4arch9wavefront6targetE0EEEvSY_.private_seg_size, 0
	.set _ZN7rocprim17ROCPRIM_400000_NS6detail17trampoline_kernelINS0_13select_configILj256ELj13ELNS0_17block_load_methodE3ELS4_3ELS4_3ELNS0_20block_scan_algorithmE0ELj4294967295EEENS1_25partition_config_selectorILNS1_17partition_subalgoE3EjNS0_10empty_typeEbEEZZNS1_14partition_implILS8_3ELb0ES6_jNS0_17counting_iteratorIjlEEPS9_SE_NS0_5tupleIJPjSE_EEENSF_IJSE_SE_EEES9_SG_JZNS1_25segmented_radix_sort_implINS0_14default_configELb1EPKbPbPKlPlN2at6native12_GLOBAL__N_18offset_tEEE10hipError_tPvRmT1_PNSt15iterator_traitsISY_E10value_typeET2_T3_PNSZ_IS14_E10value_typeET4_jRbjT5_S1A_jjP12ihipStream_tbEUljE_EEESV_SW_SX_S14_S18_S1A_T6_T7_T9_mT8_S1C_bDpT10_ENKUlT_T0_E_clISt17integral_constantIbLb1EES1O_IbLb0EEEEDaS1K_S1L_EUlS1K_E_NS1_11comp_targetILNS1_3genE10ELNS1_11target_archE1200ELNS1_3gpuE4ELNS1_3repE0EEENS1_30default_config_static_selectorELNS0_4arch9wavefront6targetE0EEEvSY_.uses_vcc, 0
	.set _ZN7rocprim17ROCPRIM_400000_NS6detail17trampoline_kernelINS0_13select_configILj256ELj13ELNS0_17block_load_methodE3ELS4_3ELS4_3ELNS0_20block_scan_algorithmE0ELj4294967295EEENS1_25partition_config_selectorILNS1_17partition_subalgoE3EjNS0_10empty_typeEbEEZZNS1_14partition_implILS8_3ELb0ES6_jNS0_17counting_iteratorIjlEEPS9_SE_NS0_5tupleIJPjSE_EEENSF_IJSE_SE_EEES9_SG_JZNS1_25segmented_radix_sort_implINS0_14default_configELb1EPKbPbPKlPlN2at6native12_GLOBAL__N_18offset_tEEE10hipError_tPvRmT1_PNSt15iterator_traitsISY_E10value_typeET2_T3_PNSZ_IS14_E10value_typeET4_jRbjT5_S1A_jjP12ihipStream_tbEUljE_EEESV_SW_SX_S14_S18_S1A_T6_T7_T9_mT8_S1C_bDpT10_ENKUlT_T0_E_clISt17integral_constantIbLb1EES1O_IbLb0EEEEDaS1K_S1L_EUlS1K_E_NS1_11comp_targetILNS1_3genE10ELNS1_11target_archE1200ELNS1_3gpuE4ELNS1_3repE0EEENS1_30default_config_static_selectorELNS0_4arch9wavefront6targetE0EEEvSY_.uses_flat_scratch, 0
	.set _ZN7rocprim17ROCPRIM_400000_NS6detail17trampoline_kernelINS0_13select_configILj256ELj13ELNS0_17block_load_methodE3ELS4_3ELS4_3ELNS0_20block_scan_algorithmE0ELj4294967295EEENS1_25partition_config_selectorILNS1_17partition_subalgoE3EjNS0_10empty_typeEbEEZZNS1_14partition_implILS8_3ELb0ES6_jNS0_17counting_iteratorIjlEEPS9_SE_NS0_5tupleIJPjSE_EEENSF_IJSE_SE_EEES9_SG_JZNS1_25segmented_radix_sort_implINS0_14default_configELb1EPKbPbPKlPlN2at6native12_GLOBAL__N_18offset_tEEE10hipError_tPvRmT1_PNSt15iterator_traitsISY_E10value_typeET2_T3_PNSZ_IS14_E10value_typeET4_jRbjT5_S1A_jjP12ihipStream_tbEUljE_EEESV_SW_SX_S14_S18_S1A_T6_T7_T9_mT8_S1C_bDpT10_ENKUlT_T0_E_clISt17integral_constantIbLb1EES1O_IbLb0EEEEDaS1K_S1L_EUlS1K_E_NS1_11comp_targetILNS1_3genE10ELNS1_11target_archE1200ELNS1_3gpuE4ELNS1_3repE0EEENS1_30default_config_static_selectorELNS0_4arch9wavefront6targetE0EEEvSY_.has_dyn_sized_stack, 0
	.set _ZN7rocprim17ROCPRIM_400000_NS6detail17trampoline_kernelINS0_13select_configILj256ELj13ELNS0_17block_load_methodE3ELS4_3ELS4_3ELNS0_20block_scan_algorithmE0ELj4294967295EEENS1_25partition_config_selectorILNS1_17partition_subalgoE3EjNS0_10empty_typeEbEEZZNS1_14partition_implILS8_3ELb0ES6_jNS0_17counting_iteratorIjlEEPS9_SE_NS0_5tupleIJPjSE_EEENSF_IJSE_SE_EEES9_SG_JZNS1_25segmented_radix_sort_implINS0_14default_configELb1EPKbPbPKlPlN2at6native12_GLOBAL__N_18offset_tEEE10hipError_tPvRmT1_PNSt15iterator_traitsISY_E10value_typeET2_T3_PNSZ_IS14_E10value_typeET4_jRbjT5_S1A_jjP12ihipStream_tbEUljE_EEESV_SW_SX_S14_S18_S1A_T6_T7_T9_mT8_S1C_bDpT10_ENKUlT_T0_E_clISt17integral_constantIbLb1EES1O_IbLb0EEEEDaS1K_S1L_EUlS1K_E_NS1_11comp_targetILNS1_3genE10ELNS1_11target_archE1200ELNS1_3gpuE4ELNS1_3repE0EEENS1_30default_config_static_selectorELNS0_4arch9wavefront6targetE0EEEvSY_.has_recursion, 0
	.set _ZN7rocprim17ROCPRIM_400000_NS6detail17trampoline_kernelINS0_13select_configILj256ELj13ELNS0_17block_load_methodE3ELS4_3ELS4_3ELNS0_20block_scan_algorithmE0ELj4294967295EEENS1_25partition_config_selectorILNS1_17partition_subalgoE3EjNS0_10empty_typeEbEEZZNS1_14partition_implILS8_3ELb0ES6_jNS0_17counting_iteratorIjlEEPS9_SE_NS0_5tupleIJPjSE_EEENSF_IJSE_SE_EEES9_SG_JZNS1_25segmented_radix_sort_implINS0_14default_configELb1EPKbPbPKlPlN2at6native12_GLOBAL__N_18offset_tEEE10hipError_tPvRmT1_PNSt15iterator_traitsISY_E10value_typeET2_T3_PNSZ_IS14_E10value_typeET4_jRbjT5_S1A_jjP12ihipStream_tbEUljE_EEESV_SW_SX_S14_S18_S1A_T6_T7_T9_mT8_S1C_bDpT10_ENKUlT_T0_E_clISt17integral_constantIbLb1EES1O_IbLb0EEEEDaS1K_S1L_EUlS1K_E_NS1_11comp_targetILNS1_3genE10ELNS1_11target_archE1200ELNS1_3gpuE4ELNS1_3repE0EEENS1_30default_config_static_selectorELNS0_4arch9wavefront6targetE0EEEvSY_.has_indirect_call, 0
	.section	.AMDGPU.csdata,"",@progbits
; Kernel info:
; codeLenInByte = 0
; TotalNumSgprs: 0
; NumVgprs: 0
; ScratchSize: 0
; MemoryBound: 0
; FloatMode: 240
; IeeeMode: 1
; LDSByteSize: 0 bytes/workgroup (compile time only)
; SGPRBlocks: 0
; VGPRBlocks: 0
; NumSGPRsForWavesPerEU: 1
; NumVGPRsForWavesPerEU: 1
; Occupancy: 16
; WaveLimiterHint : 0
; COMPUTE_PGM_RSRC2:SCRATCH_EN: 0
; COMPUTE_PGM_RSRC2:USER_SGPR: 6
; COMPUTE_PGM_RSRC2:TRAP_HANDLER: 0
; COMPUTE_PGM_RSRC2:TGID_X_EN: 1
; COMPUTE_PGM_RSRC2:TGID_Y_EN: 0
; COMPUTE_PGM_RSRC2:TGID_Z_EN: 0
; COMPUTE_PGM_RSRC2:TIDIG_COMP_CNT: 0
	.section	.text._ZN7rocprim17ROCPRIM_400000_NS6detail17trampoline_kernelINS0_13select_configILj256ELj13ELNS0_17block_load_methodE3ELS4_3ELS4_3ELNS0_20block_scan_algorithmE0ELj4294967295EEENS1_25partition_config_selectorILNS1_17partition_subalgoE3EjNS0_10empty_typeEbEEZZNS1_14partition_implILS8_3ELb0ES6_jNS0_17counting_iteratorIjlEEPS9_SE_NS0_5tupleIJPjSE_EEENSF_IJSE_SE_EEES9_SG_JZNS1_25segmented_radix_sort_implINS0_14default_configELb1EPKbPbPKlPlN2at6native12_GLOBAL__N_18offset_tEEE10hipError_tPvRmT1_PNSt15iterator_traitsISY_E10value_typeET2_T3_PNSZ_IS14_E10value_typeET4_jRbjT5_S1A_jjP12ihipStream_tbEUljE_EEESV_SW_SX_S14_S18_S1A_T6_T7_T9_mT8_S1C_bDpT10_ENKUlT_T0_E_clISt17integral_constantIbLb1EES1O_IbLb0EEEEDaS1K_S1L_EUlS1K_E_NS1_11comp_targetILNS1_3genE9ELNS1_11target_archE1100ELNS1_3gpuE3ELNS1_3repE0EEENS1_30default_config_static_selectorELNS0_4arch9wavefront6targetE0EEEvSY_,"axG",@progbits,_ZN7rocprim17ROCPRIM_400000_NS6detail17trampoline_kernelINS0_13select_configILj256ELj13ELNS0_17block_load_methodE3ELS4_3ELS4_3ELNS0_20block_scan_algorithmE0ELj4294967295EEENS1_25partition_config_selectorILNS1_17partition_subalgoE3EjNS0_10empty_typeEbEEZZNS1_14partition_implILS8_3ELb0ES6_jNS0_17counting_iteratorIjlEEPS9_SE_NS0_5tupleIJPjSE_EEENSF_IJSE_SE_EEES9_SG_JZNS1_25segmented_radix_sort_implINS0_14default_configELb1EPKbPbPKlPlN2at6native12_GLOBAL__N_18offset_tEEE10hipError_tPvRmT1_PNSt15iterator_traitsISY_E10value_typeET2_T3_PNSZ_IS14_E10value_typeET4_jRbjT5_S1A_jjP12ihipStream_tbEUljE_EEESV_SW_SX_S14_S18_S1A_T6_T7_T9_mT8_S1C_bDpT10_ENKUlT_T0_E_clISt17integral_constantIbLb1EES1O_IbLb0EEEEDaS1K_S1L_EUlS1K_E_NS1_11comp_targetILNS1_3genE9ELNS1_11target_archE1100ELNS1_3gpuE3ELNS1_3repE0EEENS1_30default_config_static_selectorELNS0_4arch9wavefront6targetE0EEEvSY_,comdat
	.globl	_ZN7rocprim17ROCPRIM_400000_NS6detail17trampoline_kernelINS0_13select_configILj256ELj13ELNS0_17block_load_methodE3ELS4_3ELS4_3ELNS0_20block_scan_algorithmE0ELj4294967295EEENS1_25partition_config_selectorILNS1_17partition_subalgoE3EjNS0_10empty_typeEbEEZZNS1_14partition_implILS8_3ELb0ES6_jNS0_17counting_iteratorIjlEEPS9_SE_NS0_5tupleIJPjSE_EEENSF_IJSE_SE_EEES9_SG_JZNS1_25segmented_radix_sort_implINS0_14default_configELb1EPKbPbPKlPlN2at6native12_GLOBAL__N_18offset_tEEE10hipError_tPvRmT1_PNSt15iterator_traitsISY_E10value_typeET2_T3_PNSZ_IS14_E10value_typeET4_jRbjT5_S1A_jjP12ihipStream_tbEUljE_EEESV_SW_SX_S14_S18_S1A_T6_T7_T9_mT8_S1C_bDpT10_ENKUlT_T0_E_clISt17integral_constantIbLb1EES1O_IbLb0EEEEDaS1K_S1L_EUlS1K_E_NS1_11comp_targetILNS1_3genE9ELNS1_11target_archE1100ELNS1_3gpuE3ELNS1_3repE0EEENS1_30default_config_static_selectorELNS0_4arch9wavefront6targetE0EEEvSY_ ; -- Begin function _ZN7rocprim17ROCPRIM_400000_NS6detail17trampoline_kernelINS0_13select_configILj256ELj13ELNS0_17block_load_methodE3ELS4_3ELS4_3ELNS0_20block_scan_algorithmE0ELj4294967295EEENS1_25partition_config_selectorILNS1_17partition_subalgoE3EjNS0_10empty_typeEbEEZZNS1_14partition_implILS8_3ELb0ES6_jNS0_17counting_iteratorIjlEEPS9_SE_NS0_5tupleIJPjSE_EEENSF_IJSE_SE_EEES9_SG_JZNS1_25segmented_radix_sort_implINS0_14default_configELb1EPKbPbPKlPlN2at6native12_GLOBAL__N_18offset_tEEE10hipError_tPvRmT1_PNSt15iterator_traitsISY_E10value_typeET2_T3_PNSZ_IS14_E10value_typeET4_jRbjT5_S1A_jjP12ihipStream_tbEUljE_EEESV_SW_SX_S14_S18_S1A_T6_T7_T9_mT8_S1C_bDpT10_ENKUlT_T0_E_clISt17integral_constantIbLb1EES1O_IbLb0EEEEDaS1K_S1L_EUlS1K_E_NS1_11comp_targetILNS1_3genE9ELNS1_11target_archE1100ELNS1_3gpuE3ELNS1_3repE0EEENS1_30default_config_static_selectorELNS0_4arch9wavefront6targetE0EEEvSY_
	.p2align	8
	.type	_ZN7rocprim17ROCPRIM_400000_NS6detail17trampoline_kernelINS0_13select_configILj256ELj13ELNS0_17block_load_methodE3ELS4_3ELS4_3ELNS0_20block_scan_algorithmE0ELj4294967295EEENS1_25partition_config_selectorILNS1_17partition_subalgoE3EjNS0_10empty_typeEbEEZZNS1_14partition_implILS8_3ELb0ES6_jNS0_17counting_iteratorIjlEEPS9_SE_NS0_5tupleIJPjSE_EEENSF_IJSE_SE_EEES9_SG_JZNS1_25segmented_radix_sort_implINS0_14default_configELb1EPKbPbPKlPlN2at6native12_GLOBAL__N_18offset_tEEE10hipError_tPvRmT1_PNSt15iterator_traitsISY_E10value_typeET2_T3_PNSZ_IS14_E10value_typeET4_jRbjT5_S1A_jjP12ihipStream_tbEUljE_EEESV_SW_SX_S14_S18_S1A_T6_T7_T9_mT8_S1C_bDpT10_ENKUlT_T0_E_clISt17integral_constantIbLb1EES1O_IbLb0EEEEDaS1K_S1L_EUlS1K_E_NS1_11comp_targetILNS1_3genE9ELNS1_11target_archE1100ELNS1_3gpuE3ELNS1_3repE0EEENS1_30default_config_static_selectorELNS0_4arch9wavefront6targetE0EEEvSY_,@function
_ZN7rocprim17ROCPRIM_400000_NS6detail17trampoline_kernelINS0_13select_configILj256ELj13ELNS0_17block_load_methodE3ELS4_3ELS4_3ELNS0_20block_scan_algorithmE0ELj4294967295EEENS1_25partition_config_selectorILNS1_17partition_subalgoE3EjNS0_10empty_typeEbEEZZNS1_14partition_implILS8_3ELb0ES6_jNS0_17counting_iteratorIjlEEPS9_SE_NS0_5tupleIJPjSE_EEENSF_IJSE_SE_EEES9_SG_JZNS1_25segmented_radix_sort_implINS0_14default_configELb1EPKbPbPKlPlN2at6native12_GLOBAL__N_18offset_tEEE10hipError_tPvRmT1_PNSt15iterator_traitsISY_E10value_typeET2_T3_PNSZ_IS14_E10value_typeET4_jRbjT5_S1A_jjP12ihipStream_tbEUljE_EEESV_SW_SX_S14_S18_S1A_T6_T7_T9_mT8_S1C_bDpT10_ENKUlT_T0_E_clISt17integral_constantIbLb1EES1O_IbLb0EEEEDaS1K_S1L_EUlS1K_E_NS1_11comp_targetILNS1_3genE9ELNS1_11target_archE1100ELNS1_3gpuE3ELNS1_3repE0EEENS1_30default_config_static_selectorELNS0_4arch9wavefront6targetE0EEEvSY_: ; @_ZN7rocprim17ROCPRIM_400000_NS6detail17trampoline_kernelINS0_13select_configILj256ELj13ELNS0_17block_load_methodE3ELS4_3ELS4_3ELNS0_20block_scan_algorithmE0ELj4294967295EEENS1_25partition_config_selectorILNS1_17partition_subalgoE3EjNS0_10empty_typeEbEEZZNS1_14partition_implILS8_3ELb0ES6_jNS0_17counting_iteratorIjlEEPS9_SE_NS0_5tupleIJPjSE_EEENSF_IJSE_SE_EEES9_SG_JZNS1_25segmented_radix_sort_implINS0_14default_configELb1EPKbPbPKlPlN2at6native12_GLOBAL__N_18offset_tEEE10hipError_tPvRmT1_PNSt15iterator_traitsISY_E10value_typeET2_T3_PNSZ_IS14_E10value_typeET4_jRbjT5_S1A_jjP12ihipStream_tbEUljE_EEESV_SW_SX_S14_S18_S1A_T6_T7_T9_mT8_S1C_bDpT10_ENKUlT_T0_E_clISt17integral_constantIbLb1EES1O_IbLb0EEEEDaS1K_S1L_EUlS1K_E_NS1_11comp_targetILNS1_3genE9ELNS1_11target_archE1100ELNS1_3gpuE3ELNS1_3repE0EEENS1_30default_config_static_selectorELNS0_4arch9wavefront6targetE0EEEvSY_
; %bb.0:
	.section	.rodata,"a",@progbits
	.p2align	6, 0x0
	.amdhsa_kernel _ZN7rocprim17ROCPRIM_400000_NS6detail17trampoline_kernelINS0_13select_configILj256ELj13ELNS0_17block_load_methodE3ELS4_3ELS4_3ELNS0_20block_scan_algorithmE0ELj4294967295EEENS1_25partition_config_selectorILNS1_17partition_subalgoE3EjNS0_10empty_typeEbEEZZNS1_14partition_implILS8_3ELb0ES6_jNS0_17counting_iteratorIjlEEPS9_SE_NS0_5tupleIJPjSE_EEENSF_IJSE_SE_EEES9_SG_JZNS1_25segmented_radix_sort_implINS0_14default_configELb1EPKbPbPKlPlN2at6native12_GLOBAL__N_18offset_tEEE10hipError_tPvRmT1_PNSt15iterator_traitsISY_E10value_typeET2_T3_PNSZ_IS14_E10value_typeET4_jRbjT5_S1A_jjP12ihipStream_tbEUljE_EEESV_SW_SX_S14_S18_S1A_T6_T7_T9_mT8_S1C_bDpT10_ENKUlT_T0_E_clISt17integral_constantIbLb1EES1O_IbLb0EEEEDaS1K_S1L_EUlS1K_E_NS1_11comp_targetILNS1_3genE9ELNS1_11target_archE1100ELNS1_3gpuE3ELNS1_3repE0EEENS1_30default_config_static_selectorELNS0_4arch9wavefront6targetE0EEEvSY_
		.amdhsa_group_segment_fixed_size 0
		.amdhsa_private_segment_fixed_size 0
		.amdhsa_kernarg_size 144
		.amdhsa_user_sgpr_count 6
		.amdhsa_user_sgpr_private_segment_buffer 1
		.amdhsa_user_sgpr_dispatch_ptr 0
		.amdhsa_user_sgpr_queue_ptr 0
		.amdhsa_user_sgpr_kernarg_segment_ptr 1
		.amdhsa_user_sgpr_dispatch_id 0
		.amdhsa_user_sgpr_flat_scratch_init 0
		.amdhsa_user_sgpr_private_segment_size 0
		.amdhsa_wavefront_size32 1
		.amdhsa_uses_dynamic_stack 0
		.amdhsa_system_sgpr_private_segment_wavefront_offset 0
		.amdhsa_system_sgpr_workgroup_id_x 1
		.amdhsa_system_sgpr_workgroup_id_y 0
		.amdhsa_system_sgpr_workgroup_id_z 0
		.amdhsa_system_sgpr_workgroup_info 0
		.amdhsa_system_vgpr_workitem_id 0
		.amdhsa_next_free_vgpr 1
		.amdhsa_next_free_sgpr 1
		.amdhsa_reserve_vcc 0
		.amdhsa_reserve_flat_scratch 0
		.amdhsa_float_round_mode_32 0
		.amdhsa_float_round_mode_16_64 0
		.amdhsa_float_denorm_mode_32 3
		.amdhsa_float_denorm_mode_16_64 3
		.amdhsa_dx10_clamp 1
		.amdhsa_ieee_mode 1
		.amdhsa_fp16_overflow 0
		.amdhsa_workgroup_processor_mode 1
		.amdhsa_memory_ordered 1
		.amdhsa_forward_progress 1
		.amdhsa_shared_vgpr_count 0
		.amdhsa_exception_fp_ieee_invalid_op 0
		.amdhsa_exception_fp_denorm_src 0
		.amdhsa_exception_fp_ieee_div_zero 0
		.amdhsa_exception_fp_ieee_overflow 0
		.amdhsa_exception_fp_ieee_underflow 0
		.amdhsa_exception_fp_ieee_inexact 0
		.amdhsa_exception_int_div_zero 0
	.end_amdhsa_kernel
	.section	.text._ZN7rocprim17ROCPRIM_400000_NS6detail17trampoline_kernelINS0_13select_configILj256ELj13ELNS0_17block_load_methodE3ELS4_3ELS4_3ELNS0_20block_scan_algorithmE0ELj4294967295EEENS1_25partition_config_selectorILNS1_17partition_subalgoE3EjNS0_10empty_typeEbEEZZNS1_14partition_implILS8_3ELb0ES6_jNS0_17counting_iteratorIjlEEPS9_SE_NS0_5tupleIJPjSE_EEENSF_IJSE_SE_EEES9_SG_JZNS1_25segmented_radix_sort_implINS0_14default_configELb1EPKbPbPKlPlN2at6native12_GLOBAL__N_18offset_tEEE10hipError_tPvRmT1_PNSt15iterator_traitsISY_E10value_typeET2_T3_PNSZ_IS14_E10value_typeET4_jRbjT5_S1A_jjP12ihipStream_tbEUljE_EEESV_SW_SX_S14_S18_S1A_T6_T7_T9_mT8_S1C_bDpT10_ENKUlT_T0_E_clISt17integral_constantIbLb1EES1O_IbLb0EEEEDaS1K_S1L_EUlS1K_E_NS1_11comp_targetILNS1_3genE9ELNS1_11target_archE1100ELNS1_3gpuE3ELNS1_3repE0EEENS1_30default_config_static_selectorELNS0_4arch9wavefront6targetE0EEEvSY_,"axG",@progbits,_ZN7rocprim17ROCPRIM_400000_NS6detail17trampoline_kernelINS0_13select_configILj256ELj13ELNS0_17block_load_methodE3ELS4_3ELS4_3ELNS0_20block_scan_algorithmE0ELj4294967295EEENS1_25partition_config_selectorILNS1_17partition_subalgoE3EjNS0_10empty_typeEbEEZZNS1_14partition_implILS8_3ELb0ES6_jNS0_17counting_iteratorIjlEEPS9_SE_NS0_5tupleIJPjSE_EEENSF_IJSE_SE_EEES9_SG_JZNS1_25segmented_radix_sort_implINS0_14default_configELb1EPKbPbPKlPlN2at6native12_GLOBAL__N_18offset_tEEE10hipError_tPvRmT1_PNSt15iterator_traitsISY_E10value_typeET2_T3_PNSZ_IS14_E10value_typeET4_jRbjT5_S1A_jjP12ihipStream_tbEUljE_EEESV_SW_SX_S14_S18_S1A_T6_T7_T9_mT8_S1C_bDpT10_ENKUlT_T0_E_clISt17integral_constantIbLb1EES1O_IbLb0EEEEDaS1K_S1L_EUlS1K_E_NS1_11comp_targetILNS1_3genE9ELNS1_11target_archE1100ELNS1_3gpuE3ELNS1_3repE0EEENS1_30default_config_static_selectorELNS0_4arch9wavefront6targetE0EEEvSY_,comdat
.Lfunc_end1514:
	.size	_ZN7rocprim17ROCPRIM_400000_NS6detail17trampoline_kernelINS0_13select_configILj256ELj13ELNS0_17block_load_methodE3ELS4_3ELS4_3ELNS0_20block_scan_algorithmE0ELj4294967295EEENS1_25partition_config_selectorILNS1_17partition_subalgoE3EjNS0_10empty_typeEbEEZZNS1_14partition_implILS8_3ELb0ES6_jNS0_17counting_iteratorIjlEEPS9_SE_NS0_5tupleIJPjSE_EEENSF_IJSE_SE_EEES9_SG_JZNS1_25segmented_radix_sort_implINS0_14default_configELb1EPKbPbPKlPlN2at6native12_GLOBAL__N_18offset_tEEE10hipError_tPvRmT1_PNSt15iterator_traitsISY_E10value_typeET2_T3_PNSZ_IS14_E10value_typeET4_jRbjT5_S1A_jjP12ihipStream_tbEUljE_EEESV_SW_SX_S14_S18_S1A_T6_T7_T9_mT8_S1C_bDpT10_ENKUlT_T0_E_clISt17integral_constantIbLb1EES1O_IbLb0EEEEDaS1K_S1L_EUlS1K_E_NS1_11comp_targetILNS1_3genE9ELNS1_11target_archE1100ELNS1_3gpuE3ELNS1_3repE0EEENS1_30default_config_static_selectorELNS0_4arch9wavefront6targetE0EEEvSY_, .Lfunc_end1514-_ZN7rocprim17ROCPRIM_400000_NS6detail17trampoline_kernelINS0_13select_configILj256ELj13ELNS0_17block_load_methodE3ELS4_3ELS4_3ELNS0_20block_scan_algorithmE0ELj4294967295EEENS1_25partition_config_selectorILNS1_17partition_subalgoE3EjNS0_10empty_typeEbEEZZNS1_14partition_implILS8_3ELb0ES6_jNS0_17counting_iteratorIjlEEPS9_SE_NS0_5tupleIJPjSE_EEENSF_IJSE_SE_EEES9_SG_JZNS1_25segmented_radix_sort_implINS0_14default_configELb1EPKbPbPKlPlN2at6native12_GLOBAL__N_18offset_tEEE10hipError_tPvRmT1_PNSt15iterator_traitsISY_E10value_typeET2_T3_PNSZ_IS14_E10value_typeET4_jRbjT5_S1A_jjP12ihipStream_tbEUljE_EEESV_SW_SX_S14_S18_S1A_T6_T7_T9_mT8_S1C_bDpT10_ENKUlT_T0_E_clISt17integral_constantIbLb1EES1O_IbLb0EEEEDaS1K_S1L_EUlS1K_E_NS1_11comp_targetILNS1_3genE9ELNS1_11target_archE1100ELNS1_3gpuE3ELNS1_3repE0EEENS1_30default_config_static_selectorELNS0_4arch9wavefront6targetE0EEEvSY_
                                        ; -- End function
	.set _ZN7rocprim17ROCPRIM_400000_NS6detail17trampoline_kernelINS0_13select_configILj256ELj13ELNS0_17block_load_methodE3ELS4_3ELS4_3ELNS0_20block_scan_algorithmE0ELj4294967295EEENS1_25partition_config_selectorILNS1_17partition_subalgoE3EjNS0_10empty_typeEbEEZZNS1_14partition_implILS8_3ELb0ES6_jNS0_17counting_iteratorIjlEEPS9_SE_NS0_5tupleIJPjSE_EEENSF_IJSE_SE_EEES9_SG_JZNS1_25segmented_radix_sort_implINS0_14default_configELb1EPKbPbPKlPlN2at6native12_GLOBAL__N_18offset_tEEE10hipError_tPvRmT1_PNSt15iterator_traitsISY_E10value_typeET2_T3_PNSZ_IS14_E10value_typeET4_jRbjT5_S1A_jjP12ihipStream_tbEUljE_EEESV_SW_SX_S14_S18_S1A_T6_T7_T9_mT8_S1C_bDpT10_ENKUlT_T0_E_clISt17integral_constantIbLb1EES1O_IbLb0EEEEDaS1K_S1L_EUlS1K_E_NS1_11comp_targetILNS1_3genE9ELNS1_11target_archE1100ELNS1_3gpuE3ELNS1_3repE0EEENS1_30default_config_static_selectorELNS0_4arch9wavefront6targetE0EEEvSY_.num_vgpr, 0
	.set _ZN7rocprim17ROCPRIM_400000_NS6detail17trampoline_kernelINS0_13select_configILj256ELj13ELNS0_17block_load_methodE3ELS4_3ELS4_3ELNS0_20block_scan_algorithmE0ELj4294967295EEENS1_25partition_config_selectorILNS1_17partition_subalgoE3EjNS0_10empty_typeEbEEZZNS1_14partition_implILS8_3ELb0ES6_jNS0_17counting_iteratorIjlEEPS9_SE_NS0_5tupleIJPjSE_EEENSF_IJSE_SE_EEES9_SG_JZNS1_25segmented_radix_sort_implINS0_14default_configELb1EPKbPbPKlPlN2at6native12_GLOBAL__N_18offset_tEEE10hipError_tPvRmT1_PNSt15iterator_traitsISY_E10value_typeET2_T3_PNSZ_IS14_E10value_typeET4_jRbjT5_S1A_jjP12ihipStream_tbEUljE_EEESV_SW_SX_S14_S18_S1A_T6_T7_T9_mT8_S1C_bDpT10_ENKUlT_T0_E_clISt17integral_constantIbLb1EES1O_IbLb0EEEEDaS1K_S1L_EUlS1K_E_NS1_11comp_targetILNS1_3genE9ELNS1_11target_archE1100ELNS1_3gpuE3ELNS1_3repE0EEENS1_30default_config_static_selectorELNS0_4arch9wavefront6targetE0EEEvSY_.num_agpr, 0
	.set _ZN7rocprim17ROCPRIM_400000_NS6detail17trampoline_kernelINS0_13select_configILj256ELj13ELNS0_17block_load_methodE3ELS4_3ELS4_3ELNS0_20block_scan_algorithmE0ELj4294967295EEENS1_25partition_config_selectorILNS1_17partition_subalgoE3EjNS0_10empty_typeEbEEZZNS1_14partition_implILS8_3ELb0ES6_jNS0_17counting_iteratorIjlEEPS9_SE_NS0_5tupleIJPjSE_EEENSF_IJSE_SE_EEES9_SG_JZNS1_25segmented_radix_sort_implINS0_14default_configELb1EPKbPbPKlPlN2at6native12_GLOBAL__N_18offset_tEEE10hipError_tPvRmT1_PNSt15iterator_traitsISY_E10value_typeET2_T3_PNSZ_IS14_E10value_typeET4_jRbjT5_S1A_jjP12ihipStream_tbEUljE_EEESV_SW_SX_S14_S18_S1A_T6_T7_T9_mT8_S1C_bDpT10_ENKUlT_T0_E_clISt17integral_constantIbLb1EES1O_IbLb0EEEEDaS1K_S1L_EUlS1K_E_NS1_11comp_targetILNS1_3genE9ELNS1_11target_archE1100ELNS1_3gpuE3ELNS1_3repE0EEENS1_30default_config_static_selectorELNS0_4arch9wavefront6targetE0EEEvSY_.numbered_sgpr, 0
	.set _ZN7rocprim17ROCPRIM_400000_NS6detail17trampoline_kernelINS0_13select_configILj256ELj13ELNS0_17block_load_methodE3ELS4_3ELS4_3ELNS0_20block_scan_algorithmE0ELj4294967295EEENS1_25partition_config_selectorILNS1_17partition_subalgoE3EjNS0_10empty_typeEbEEZZNS1_14partition_implILS8_3ELb0ES6_jNS0_17counting_iteratorIjlEEPS9_SE_NS0_5tupleIJPjSE_EEENSF_IJSE_SE_EEES9_SG_JZNS1_25segmented_radix_sort_implINS0_14default_configELb1EPKbPbPKlPlN2at6native12_GLOBAL__N_18offset_tEEE10hipError_tPvRmT1_PNSt15iterator_traitsISY_E10value_typeET2_T3_PNSZ_IS14_E10value_typeET4_jRbjT5_S1A_jjP12ihipStream_tbEUljE_EEESV_SW_SX_S14_S18_S1A_T6_T7_T9_mT8_S1C_bDpT10_ENKUlT_T0_E_clISt17integral_constantIbLb1EES1O_IbLb0EEEEDaS1K_S1L_EUlS1K_E_NS1_11comp_targetILNS1_3genE9ELNS1_11target_archE1100ELNS1_3gpuE3ELNS1_3repE0EEENS1_30default_config_static_selectorELNS0_4arch9wavefront6targetE0EEEvSY_.num_named_barrier, 0
	.set _ZN7rocprim17ROCPRIM_400000_NS6detail17trampoline_kernelINS0_13select_configILj256ELj13ELNS0_17block_load_methodE3ELS4_3ELS4_3ELNS0_20block_scan_algorithmE0ELj4294967295EEENS1_25partition_config_selectorILNS1_17partition_subalgoE3EjNS0_10empty_typeEbEEZZNS1_14partition_implILS8_3ELb0ES6_jNS0_17counting_iteratorIjlEEPS9_SE_NS0_5tupleIJPjSE_EEENSF_IJSE_SE_EEES9_SG_JZNS1_25segmented_radix_sort_implINS0_14default_configELb1EPKbPbPKlPlN2at6native12_GLOBAL__N_18offset_tEEE10hipError_tPvRmT1_PNSt15iterator_traitsISY_E10value_typeET2_T3_PNSZ_IS14_E10value_typeET4_jRbjT5_S1A_jjP12ihipStream_tbEUljE_EEESV_SW_SX_S14_S18_S1A_T6_T7_T9_mT8_S1C_bDpT10_ENKUlT_T0_E_clISt17integral_constantIbLb1EES1O_IbLb0EEEEDaS1K_S1L_EUlS1K_E_NS1_11comp_targetILNS1_3genE9ELNS1_11target_archE1100ELNS1_3gpuE3ELNS1_3repE0EEENS1_30default_config_static_selectorELNS0_4arch9wavefront6targetE0EEEvSY_.private_seg_size, 0
	.set _ZN7rocprim17ROCPRIM_400000_NS6detail17trampoline_kernelINS0_13select_configILj256ELj13ELNS0_17block_load_methodE3ELS4_3ELS4_3ELNS0_20block_scan_algorithmE0ELj4294967295EEENS1_25partition_config_selectorILNS1_17partition_subalgoE3EjNS0_10empty_typeEbEEZZNS1_14partition_implILS8_3ELb0ES6_jNS0_17counting_iteratorIjlEEPS9_SE_NS0_5tupleIJPjSE_EEENSF_IJSE_SE_EEES9_SG_JZNS1_25segmented_radix_sort_implINS0_14default_configELb1EPKbPbPKlPlN2at6native12_GLOBAL__N_18offset_tEEE10hipError_tPvRmT1_PNSt15iterator_traitsISY_E10value_typeET2_T3_PNSZ_IS14_E10value_typeET4_jRbjT5_S1A_jjP12ihipStream_tbEUljE_EEESV_SW_SX_S14_S18_S1A_T6_T7_T9_mT8_S1C_bDpT10_ENKUlT_T0_E_clISt17integral_constantIbLb1EES1O_IbLb0EEEEDaS1K_S1L_EUlS1K_E_NS1_11comp_targetILNS1_3genE9ELNS1_11target_archE1100ELNS1_3gpuE3ELNS1_3repE0EEENS1_30default_config_static_selectorELNS0_4arch9wavefront6targetE0EEEvSY_.uses_vcc, 0
	.set _ZN7rocprim17ROCPRIM_400000_NS6detail17trampoline_kernelINS0_13select_configILj256ELj13ELNS0_17block_load_methodE3ELS4_3ELS4_3ELNS0_20block_scan_algorithmE0ELj4294967295EEENS1_25partition_config_selectorILNS1_17partition_subalgoE3EjNS0_10empty_typeEbEEZZNS1_14partition_implILS8_3ELb0ES6_jNS0_17counting_iteratorIjlEEPS9_SE_NS0_5tupleIJPjSE_EEENSF_IJSE_SE_EEES9_SG_JZNS1_25segmented_radix_sort_implINS0_14default_configELb1EPKbPbPKlPlN2at6native12_GLOBAL__N_18offset_tEEE10hipError_tPvRmT1_PNSt15iterator_traitsISY_E10value_typeET2_T3_PNSZ_IS14_E10value_typeET4_jRbjT5_S1A_jjP12ihipStream_tbEUljE_EEESV_SW_SX_S14_S18_S1A_T6_T7_T9_mT8_S1C_bDpT10_ENKUlT_T0_E_clISt17integral_constantIbLb1EES1O_IbLb0EEEEDaS1K_S1L_EUlS1K_E_NS1_11comp_targetILNS1_3genE9ELNS1_11target_archE1100ELNS1_3gpuE3ELNS1_3repE0EEENS1_30default_config_static_selectorELNS0_4arch9wavefront6targetE0EEEvSY_.uses_flat_scratch, 0
	.set _ZN7rocprim17ROCPRIM_400000_NS6detail17trampoline_kernelINS0_13select_configILj256ELj13ELNS0_17block_load_methodE3ELS4_3ELS4_3ELNS0_20block_scan_algorithmE0ELj4294967295EEENS1_25partition_config_selectorILNS1_17partition_subalgoE3EjNS0_10empty_typeEbEEZZNS1_14partition_implILS8_3ELb0ES6_jNS0_17counting_iteratorIjlEEPS9_SE_NS0_5tupleIJPjSE_EEENSF_IJSE_SE_EEES9_SG_JZNS1_25segmented_radix_sort_implINS0_14default_configELb1EPKbPbPKlPlN2at6native12_GLOBAL__N_18offset_tEEE10hipError_tPvRmT1_PNSt15iterator_traitsISY_E10value_typeET2_T3_PNSZ_IS14_E10value_typeET4_jRbjT5_S1A_jjP12ihipStream_tbEUljE_EEESV_SW_SX_S14_S18_S1A_T6_T7_T9_mT8_S1C_bDpT10_ENKUlT_T0_E_clISt17integral_constantIbLb1EES1O_IbLb0EEEEDaS1K_S1L_EUlS1K_E_NS1_11comp_targetILNS1_3genE9ELNS1_11target_archE1100ELNS1_3gpuE3ELNS1_3repE0EEENS1_30default_config_static_selectorELNS0_4arch9wavefront6targetE0EEEvSY_.has_dyn_sized_stack, 0
	.set _ZN7rocprim17ROCPRIM_400000_NS6detail17trampoline_kernelINS0_13select_configILj256ELj13ELNS0_17block_load_methodE3ELS4_3ELS4_3ELNS0_20block_scan_algorithmE0ELj4294967295EEENS1_25partition_config_selectorILNS1_17partition_subalgoE3EjNS0_10empty_typeEbEEZZNS1_14partition_implILS8_3ELb0ES6_jNS0_17counting_iteratorIjlEEPS9_SE_NS0_5tupleIJPjSE_EEENSF_IJSE_SE_EEES9_SG_JZNS1_25segmented_radix_sort_implINS0_14default_configELb1EPKbPbPKlPlN2at6native12_GLOBAL__N_18offset_tEEE10hipError_tPvRmT1_PNSt15iterator_traitsISY_E10value_typeET2_T3_PNSZ_IS14_E10value_typeET4_jRbjT5_S1A_jjP12ihipStream_tbEUljE_EEESV_SW_SX_S14_S18_S1A_T6_T7_T9_mT8_S1C_bDpT10_ENKUlT_T0_E_clISt17integral_constantIbLb1EES1O_IbLb0EEEEDaS1K_S1L_EUlS1K_E_NS1_11comp_targetILNS1_3genE9ELNS1_11target_archE1100ELNS1_3gpuE3ELNS1_3repE0EEENS1_30default_config_static_selectorELNS0_4arch9wavefront6targetE0EEEvSY_.has_recursion, 0
	.set _ZN7rocprim17ROCPRIM_400000_NS6detail17trampoline_kernelINS0_13select_configILj256ELj13ELNS0_17block_load_methodE3ELS4_3ELS4_3ELNS0_20block_scan_algorithmE0ELj4294967295EEENS1_25partition_config_selectorILNS1_17partition_subalgoE3EjNS0_10empty_typeEbEEZZNS1_14partition_implILS8_3ELb0ES6_jNS0_17counting_iteratorIjlEEPS9_SE_NS0_5tupleIJPjSE_EEENSF_IJSE_SE_EEES9_SG_JZNS1_25segmented_radix_sort_implINS0_14default_configELb1EPKbPbPKlPlN2at6native12_GLOBAL__N_18offset_tEEE10hipError_tPvRmT1_PNSt15iterator_traitsISY_E10value_typeET2_T3_PNSZ_IS14_E10value_typeET4_jRbjT5_S1A_jjP12ihipStream_tbEUljE_EEESV_SW_SX_S14_S18_S1A_T6_T7_T9_mT8_S1C_bDpT10_ENKUlT_T0_E_clISt17integral_constantIbLb1EES1O_IbLb0EEEEDaS1K_S1L_EUlS1K_E_NS1_11comp_targetILNS1_3genE9ELNS1_11target_archE1100ELNS1_3gpuE3ELNS1_3repE0EEENS1_30default_config_static_selectorELNS0_4arch9wavefront6targetE0EEEvSY_.has_indirect_call, 0
	.section	.AMDGPU.csdata,"",@progbits
; Kernel info:
; codeLenInByte = 0
; TotalNumSgprs: 0
; NumVgprs: 0
; ScratchSize: 0
; MemoryBound: 0
; FloatMode: 240
; IeeeMode: 1
; LDSByteSize: 0 bytes/workgroup (compile time only)
; SGPRBlocks: 0
; VGPRBlocks: 0
; NumSGPRsForWavesPerEU: 1
; NumVGPRsForWavesPerEU: 1
; Occupancy: 16
; WaveLimiterHint : 0
; COMPUTE_PGM_RSRC2:SCRATCH_EN: 0
; COMPUTE_PGM_RSRC2:USER_SGPR: 6
; COMPUTE_PGM_RSRC2:TRAP_HANDLER: 0
; COMPUTE_PGM_RSRC2:TGID_X_EN: 1
; COMPUTE_PGM_RSRC2:TGID_Y_EN: 0
; COMPUTE_PGM_RSRC2:TGID_Z_EN: 0
; COMPUTE_PGM_RSRC2:TIDIG_COMP_CNT: 0
	.section	.text._ZN7rocprim17ROCPRIM_400000_NS6detail17trampoline_kernelINS0_13select_configILj256ELj13ELNS0_17block_load_methodE3ELS4_3ELS4_3ELNS0_20block_scan_algorithmE0ELj4294967295EEENS1_25partition_config_selectorILNS1_17partition_subalgoE3EjNS0_10empty_typeEbEEZZNS1_14partition_implILS8_3ELb0ES6_jNS0_17counting_iteratorIjlEEPS9_SE_NS0_5tupleIJPjSE_EEENSF_IJSE_SE_EEES9_SG_JZNS1_25segmented_radix_sort_implINS0_14default_configELb1EPKbPbPKlPlN2at6native12_GLOBAL__N_18offset_tEEE10hipError_tPvRmT1_PNSt15iterator_traitsISY_E10value_typeET2_T3_PNSZ_IS14_E10value_typeET4_jRbjT5_S1A_jjP12ihipStream_tbEUljE_EEESV_SW_SX_S14_S18_S1A_T6_T7_T9_mT8_S1C_bDpT10_ENKUlT_T0_E_clISt17integral_constantIbLb1EES1O_IbLb0EEEEDaS1K_S1L_EUlS1K_E_NS1_11comp_targetILNS1_3genE8ELNS1_11target_archE1030ELNS1_3gpuE2ELNS1_3repE0EEENS1_30default_config_static_selectorELNS0_4arch9wavefront6targetE0EEEvSY_,"axG",@progbits,_ZN7rocprim17ROCPRIM_400000_NS6detail17trampoline_kernelINS0_13select_configILj256ELj13ELNS0_17block_load_methodE3ELS4_3ELS4_3ELNS0_20block_scan_algorithmE0ELj4294967295EEENS1_25partition_config_selectorILNS1_17partition_subalgoE3EjNS0_10empty_typeEbEEZZNS1_14partition_implILS8_3ELb0ES6_jNS0_17counting_iteratorIjlEEPS9_SE_NS0_5tupleIJPjSE_EEENSF_IJSE_SE_EEES9_SG_JZNS1_25segmented_radix_sort_implINS0_14default_configELb1EPKbPbPKlPlN2at6native12_GLOBAL__N_18offset_tEEE10hipError_tPvRmT1_PNSt15iterator_traitsISY_E10value_typeET2_T3_PNSZ_IS14_E10value_typeET4_jRbjT5_S1A_jjP12ihipStream_tbEUljE_EEESV_SW_SX_S14_S18_S1A_T6_T7_T9_mT8_S1C_bDpT10_ENKUlT_T0_E_clISt17integral_constantIbLb1EES1O_IbLb0EEEEDaS1K_S1L_EUlS1K_E_NS1_11comp_targetILNS1_3genE8ELNS1_11target_archE1030ELNS1_3gpuE2ELNS1_3repE0EEENS1_30default_config_static_selectorELNS0_4arch9wavefront6targetE0EEEvSY_,comdat
	.globl	_ZN7rocprim17ROCPRIM_400000_NS6detail17trampoline_kernelINS0_13select_configILj256ELj13ELNS0_17block_load_methodE3ELS4_3ELS4_3ELNS0_20block_scan_algorithmE0ELj4294967295EEENS1_25partition_config_selectorILNS1_17partition_subalgoE3EjNS0_10empty_typeEbEEZZNS1_14partition_implILS8_3ELb0ES6_jNS0_17counting_iteratorIjlEEPS9_SE_NS0_5tupleIJPjSE_EEENSF_IJSE_SE_EEES9_SG_JZNS1_25segmented_radix_sort_implINS0_14default_configELb1EPKbPbPKlPlN2at6native12_GLOBAL__N_18offset_tEEE10hipError_tPvRmT1_PNSt15iterator_traitsISY_E10value_typeET2_T3_PNSZ_IS14_E10value_typeET4_jRbjT5_S1A_jjP12ihipStream_tbEUljE_EEESV_SW_SX_S14_S18_S1A_T6_T7_T9_mT8_S1C_bDpT10_ENKUlT_T0_E_clISt17integral_constantIbLb1EES1O_IbLb0EEEEDaS1K_S1L_EUlS1K_E_NS1_11comp_targetILNS1_3genE8ELNS1_11target_archE1030ELNS1_3gpuE2ELNS1_3repE0EEENS1_30default_config_static_selectorELNS0_4arch9wavefront6targetE0EEEvSY_ ; -- Begin function _ZN7rocprim17ROCPRIM_400000_NS6detail17trampoline_kernelINS0_13select_configILj256ELj13ELNS0_17block_load_methodE3ELS4_3ELS4_3ELNS0_20block_scan_algorithmE0ELj4294967295EEENS1_25partition_config_selectorILNS1_17partition_subalgoE3EjNS0_10empty_typeEbEEZZNS1_14partition_implILS8_3ELb0ES6_jNS0_17counting_iteratorIjlEEPS9_SE_NS0_5tupleIJPjSE_EEENSF_IJSE_SE_EEES9_SG_JZNS1_25segmented_radix_sort_implINS0_14default_configELb1EPKbPbPKlPlN2at6native12_GLOBAL__N_18offset_tEEE10hipError_tPvRmT1_PNSt15iterator_traitsISY_E10value_typeET2_T3_PNSZ_IS14_E10value_typeET4_jRbjT5_S1A_jjP12ihipStream_tbEUljE_EEESV_SW_SX_S14_S18_S1A_T6_T7_T9_mT8_S1C_bDpT10_ENKUlT_T0_E_clISt17integral_constantIbLb1EES1O_IbLb0EEEEDaS1K_S1L_EUlS1K_E_NS1_11comp_targetILNS1_3genE8ELNS1_11target_archE1030ELNS1_3gpuE2ELNS1_3repE0EEENS1_30default_config_static_selectorELNS0_4arch9wavefront6targetE0EEEvSY_
	.p2align	8
	.type	_ZN7rocprim17ROCPRIM_400000_NS6detail17trampoline_kernelINS0_13select_configILj256ELj13ELNS0_17block_load_methodE3ELS4_3ELS4_3ELNS0_20block_scan_algorithmE0ELj4294967295EEENS1_25partition_config_selectorILNS1_17partition_subalgoE3EjNS0_10empty_typeEbEEZZNS1_14partition_implILS8_3ELb0ES6_jNS0_17counting_iteratorIjlEEPS9_SE_NS0_5tupleIJPjSE_EEENSF_IJSE_SE_EEES9_SG_JZNS1_25segmented_radix_sort_implINS0_14default_configELb1EPKbPbPKlPlN2at6native12_GLOBAL__N_18offset_tEEE10hipError_tPvRmT1_PNSt15iterator_traitsISY_E10value_typeET2_T3_PNSZ_IS14_E10value_typeET4_jRbjT5_S1A_jjP12ihipStream_tbEUljE_EEESV_SW_SX_S14_S18_S1A_T6_T7_T9_mT8_S1C_bDpT10_ENKUlT_T0_E_clISt17integral_constantIbLb1EES1O_IbLb0EEEEDaS1K_S1L_EUlS1K_E_NS1_11comp_targetILNS1_3genE8ELNS1_11target_archE1030ELNS1_3gpuE2ELNS1_3repE0EEENS1_30default_config_static_selectorELNS0_4arch9wavefront6targetE0EEEvSY_,@function
_ZN7rocprim17ROCPRIM_400000_NS6detail17trampoline_kernelINS0_13select_configILj256ELj13ELNS0_17block_load_methodE3ELS4_3ELS4_3ELNS0_20block_scan_algorithmE0ELj4294967295EEENS1_25partition_config_selectorILNS1_17partition_subalgoE3EjNS0_10empty_typeEbEEZZNS1_14partition_implILS8_3ELb0ES6_jNS0_17counting_iteratorIjlEEPS9_SE_NS0_5tupleIJPjSE_EEENSF_IJSE_SE_EEES9_SG_JZNS1_25segmented_radix_sort_implINS0_14default_configELb1EPKbPbPKlPlN2at6native12_GLOBAL__N_18offset_tEEE10hipError_tPvRmT1_PNSt15iterator_traitsISY_E10value_typeET2_T3_PNSZ_IS14_E10value_typeET4_jRbjT5_S1A_jjP12ihipStream_tbEUljE_EEESV_SW_SX_S14_S18_S1A_T6_T7_T9_mT8_S1C_bDpT10_ENKUlT_T0_E_clISt17integral_constantIbLb1EES1O_IbLb0EEEEDaS1K_S1L_EUlS1K_E_NS1_11comp_targetILNS1_3genE8ELNS1_11target_archE1030ELNS1_3gpuE2ELNS1_3repE0EEENS1_30default_config_static_selectorELNS0_4arch9wavefront6targetE0EEEvSY_: ; @_ZN7rocprim17ROCPRIM_400000_NS6detail17trampoline_kernelINS0_13select_configILj256ELj13ELNS0_17block_load_methodE3ELS4_3ELS4_3ELNS0_20block_scan_algorithmE0ELj4294967295EEENS1_25partition_config_selectorILNS1_17partition_subalgoE3EjNS0_10empty_typeEbEEZZNS1_14partition_implILS8_3ELb0ES6_jNS0_17counting_iteratorIjlEEPS9_SE_NS0_5tupleIJPjSE_EEENSF_IJSE_SE_EEES9_SG_JZNS1_25segmented_radix_sort_implINS0_14default_configELb1EPKbPbPKlPlN2at6native12_GLOBAL__N_18offset_tEEE10hipError_tPvRmT1_PNSt15iterator_traitsISY_E10value_typeET2_T3_PNSZ_IS14_E10value_typeET4_jRbjT5_S1A_jjP12ihipStream_tbEUljE_EEESV_SW_SX_S14_S18_S1A_T6_T7_T9_mT8_S1C_bDpT10_ENKUlT_T0_E_clISt17integral_constantIbLb1EES1O_IbLb0EEEEDaS1K_S1L_EUlS1K_E_NS1_11comp_targetILNS1_3genE8ELNS1_11target_archE1030ELNS1_3gpuE2ELNS1_3repE0EEENS1_30default_config_static_selectorELNS0_4arch9wavefront6targetE0EEEvSY_
; %bb.0:
	s_endpgm
	.section	.rodata,"a",@progbits
	.p2align	6, 0x0
	.amdhsa_kernel _ZN7rocprim17ROCPRIM_400000_NS6detail17trampoline_kernelINS0_13select_configILj256ELj13ELNS0_17block_load_methodE3ELS4_3ELS4_3ELNS0_20block_scan_algorithmE0ELj4294967295EEENS1_25partition_config_selectorILNS1_17partition_subalgoE3EjNS0_10empty_typeEbEEZZNS1_14partition_implILS8_3ELb0ES6_jNS0_17counting_iteratorIjlEEPS9_SE_NS0_5tupleIJPjSE_EEENSF_IJSE_SE_EEES9_SG_JZNS1_25segmented_radix_sort_implINS0_14default_configELb1EPKbPbPKlPlN2at6native12_GLOBAL__N_18offset_tEEE10hipError_tPvRmT1_PNSt15iterator_traitsISY_E10value_typeET2_T3_PNSZ_IS14_E10value_typeET4_jRbjT5_S1A_jjP12ihipStream_tbEUljE_EEESV_SW_SX_S14_S18_S1A_T6_T7_T9_mT8_S1C_bDpT10_ENKUlT_T0_E_clISt17integral_constantIbLb1EES1O_IbLb0EEEEDaS1K_S1L_EUlS1K_E_NS1_11comp_targetILNS1_3genE8ELNS1_11target_archE1030ELNS1_3gpuE2ELNS1_3repE0EEENS1_30default_config_static_selectorELNS0_4arch9wavefront6targetE0EEEvSY_
		.amdhsa_group_segment_fixed_size 0
		.amdhsa_private_segment_fixed_size 0
		.amdhsa_kernarg_size 144
		.amdhsa_user_sgpr_count 6
		.amdhsa_user_sgpr_private_segment_buffer 1
		.amdhsa_user_sgpr_dispatch_ptr 0
		.amdhsa_user_sgpr_queue_ptr 0
		.amdhsa_user_sgpr_kernarg_segment_ptr 1
		.amdhsa_user_sgpr_dispatch_id 0
		.amdhsa_user_sgpr_flat_scratch_init 0
		.amdhsa_user_sgpr_private_segment_size 0
		.amdhsa_wavefront_size32 1
		.amdhsa_uses_dynamic_stack 0
		.amdhsa_system_sgpr_private_segment_wavefront_offset 0
		.amdhsa_system_sgpr_workgroup_id_x 1
		.amdhsa_system_sgpr_workgroup_id_y 0
		.amdhsa_system_sgpr_workgroup_id_z 0
		.amdhsa_system_sgpr_workgroup_info 0
		.amdhsa_system_vgpr_workitem_id 0
		.amdhsa_next_free_vgpr 1
		.amdhsa_next_free_sgpr 1
		.amdhsa_reserve_vcc 0
		.amdhsa_reserve_flat_scratch 0
		.amdhsa_float_round_mode_32 0
		.amdhsa_float_round_mode_16_64 0
		.amdhsa_float_denorm_mode_32 3
		.amdhsa_float_denorm_mode_16_64 3
		.amdhsa_dx10_clamp 1
		.amdhsa_ieee_mode 1
		.amdhsa_fp16_overflow 0
		.amdhsa_workgroup_processor_mode 1
		.amdhsa_memory_ordered 1
		.amdhsa_forward_progress 1
		.amdhsa_shared_vgpr_count 0
		.amdhsa_exception_fp_ieee_invalid_op 0
		.amdhsa_exception_fp_denorm_src 0
		.amdhsa_exception_fp_ieee_div_zero 0
		.amdhsa_exception_fp_ieee_overflow 0
		.amdhsa_exception_fp_ieee_underflow 0
		.amdhsa_exception_fp_ieee_inexact 0
		.amdhsa_exception_int_div_zero 0
	.end_amdhsa_kernel
	.section	.text._ZN7rocprim17ROCPRIM_400000_NS6detail17trampoline_kernelINS0_13select_configILj256ELj13ELNS0_17block_load_methodE3ELS4_3ELS4_3ELNS0_20block_scan_algorithmE0ELj4294967295EEENS1_25partition_config_selectorILNS1_17partition_subalgoE3EjNS0_10empty_typeEbEEZZNS1_14partition_implILS8_3ELb0ES6_jNS0_17counting_iteratorIjlEEPS9_SE_NS0_5tupleIJPjSE_EEENSF_IJSE_SE_EEES9_SG_JZNS1_25segmented_radix_sort_implINS0_14default_configELb1EPKbPbPKlPlN2at6native12_GLOBAL__N_18offset_tEEE10hipError_tPvRmT1_PNSt15iterator_traitsISY_E10value_typeET2_T3_PNSZ_IS14_E10value_typeET4_jRbjT5_S1A_jjP12ihipStream_tbEUljE_EEESV_SW_SX_S14_S18_S1A_T6_T7_T9_mT8_S1C_bDpT10_ENKUlT_T0_E_clISt17integral_constantIbLb1EES1O_IbLb0EEEEDaS1K_S1L_EUlS1K_E_NS1_11comp_targetILNS1_3genE8ELNS1_11target_archE1030ELNS1_3gpuE2ELNS1_3repE0EEENS1_30default_config_static_selectorELNS0_4arch9wavefront6targetE0EEEvSY_,"axG",@progbits,_ZN7rocprim17ROCPRIM_400000_NS6detail17trampoline_kernelINS0_13select_configILj256ELj13ELNS0_17block_load_methodE3ELS4_3ELS4_3ELNS0_20block_scan_algorithmE0ELj4294967295EEENS1_25partition_config_selectorILNS1_17partition_subalgoE3EjNS0_10empty_typeEbEEZZNS1_14partition_implILS8_3ELb0ES6_jNS0_17counting_iteratorIjlEEPS9_SE_NS0_5tupleIJPjSE_EEENSF_IJSE_SE_EEES9_SG_JZNS1_25segmented_radix_sort_implINS0_14default_configELb1EPKbPbPKlPlN2at6native12_GLOBAL__N_18offset_tEEE10hipError_tPvRmT1_PNSt15iterator_traitsISY_E10value_typeET2_T3_PNSZ_IS14_E10value_typeET4_jRbjT5_S1A_jjP12ihipStream_tbEUljE_EEESV_SW_SX_S14_S18_S1A_T6_T7_T9_mT8_S1C_bDpT10_ENKUlT_T0_E_clISt17integral_constantIbLb1EES1O_IbLb0EEEEDaS1K_S1L_EUlS1K_E_NS1_11comp_targetILNS1_3genE8ELNS1_11target_archE1030ELNS1_3gpuE2ELNS1_3repE0EEENS1_30default_config_static_selectorELNS0_4arch9wavefront6targetE0EEEvSY_,comdat
.Lfunc_end1515:
	.size	_ZN7rocprim17ROCPRIM_400000_NS6detail17trampoline_kernelINS0_13select_configILj256ELj13ELNS0_17block_load_methodE3ELS4_3ELS4_3ELNS0_20block_scan_algorithmE0ELj4294967295EEENS1_25partition_config_selectorILNS1_17partition_subalgoE3EjNS0_10empty_typeEbEEZZNS1_14partition_implILS8_3ELb0ES6_jNS0_17counting_iteratorIjlEEPS9_SE_NS0_5tupleIJPjSE_EEENSF_IJSE_SE_EEES9_SG_JZNS1_25segmented_radix_sort_implINS0_14default_configELb1EPKbPbPKlPlN2at6native12_GLOBAL__N_18offset_tEEE10hipError_tPvRmT1_PNSt15iterator_traitsISY_E10value_typeET2_T3_PNSZ_IS14_E10value_typeET4_jRbjT5_S1A_jjP12ihipStream_tbEUljE_EEESV_SW_SX_S14_S18_S1A_T6_T7_T9_mT8_S1C_bDpT10_ENKUlT_T0_E_clISt17integral_constantIbLb1EES1O_IbLb0EEEEDaS1K_S1L_EUlS1K_E_NS1_11comp_targetILNS1_3genE8ELNS1_11target_archE1030ELNS1_3gpuE2ELNS1_3repE0EEENS1_30default_config_static_selectorELNS0_4arch9wavefront6targetE0EEEvSY_, .Lfunc_end1515-_ZN7rocprim17ROCPRIM_400000_NS6detail17trampoline_kernelINS0_13select_configILj256ELj13ELNS0_17block_load_methodE3ELS4_3ELS4_3ELNS0_20block_scan_algorithmE0ELj4294967295EEENS1_25partition_config_selectorILNS1_17partition_subalgoE3EjNS0_10empty_typeEbEEZZNS1_14partition_implILS8_3ELb0ES6_jNS0_17counting_iteratorIjlEEPS9_SE_NS0_5tupleIJPjSE_EEENSF_IJSE_SE_EEES9_SG_JZNS1_25segmented_radix_sort_implINS0_14default_configELb1EPKbPbPKlPlN2at6native12_GLOBAL__N_18offset_tEEE10hipError_tPvRmT1_PNSt15iterator_traitsISY_E10value_typeET2_T3_PNSZ_IS14_E10value_typeET4_jRbjT5_S1A_jjP12ihipStream_tbEUljE_EEESV_SW_SX_S14_S18_S1A_T6_T7_T9_mT8_S1C_bDpT10_ENKUlT_T0_E_clISt17integral_constantIbLb1EES1O_IbLb0EEEEDaS1K_S1L_EUlS1K_E_NS1_11comp_targetILNS1_3genE8ELNS1_11target_archE1030ELNS1_3gpuE2ELNS1_3repE0EEENS1_30default_config_static_selectorELNS0_4arch9wavefront6targetE0EEEvSY_
                                        ; -- End function
	.set _ZN7rocprim17ROCPRIM_400000_NS6detail17trampoline_kernelINS0_13select_configILj256ELj13ELNS0_17block_load_methodE3ELS4_3ELS4_3ELNS0_20block_scan_algorithmE0ELj4294967295EEENS1_25partition_config_selectorILNS1_17partition_subalgoE3EjNS0_10empty_typeEbEEZZNS1_14partition_implILS8_3ELb0ES6_jNS0_17counting_iteratorIjlEEPS9_SE_NS0_5tupleIJPjSE_EEENSF_IJSE_SE_EEES9_SG_JZNS1_25segmented_radix_sort_implINS0_14default_configELb1EPKbPbPKlPlN2at6native12_GLOBAL__N_18offset_tEEE10hipError_tPvRmT1_PNSt15iterator_traitsISY_E10value_typeET2_T3_PNSZ_IS14_E10value_typeET4_jRbjT5_S1A_jjP12ihipStream_tbEUljE_EEESV_SW_SX_S14_S18_S1A_T6_T7_T9_mT8_S1C_bDpT10_ENKUlT_T0_E_clISt17integral_constantIbLb1EES1O_IbLb0EEEEDaS1K_S1L_EUlS1K_E_NS1_11comp_targetILNS1_3genE8ELNS1_11target_archE1030ELNS1_3gpuE2ELNS1_3repE0EEENS1_30default_config_static_selectorELNS0_4arch9wavefront6targetE0EEEvSY_.num_vgpr, 0
	.set _ZN7rocprim17ROCPRIM_400000_NS6detail17trampoline_kernelINS0_13select_configILj256ELj13ELNS0_17block_load_methodE3ELS4_3ELS4_3ELNS0_20block_scan_algorithmE0ELj4294967295EEENS1_25partition_config_selectorILNS1_17partition_subalgoE3EjNS0_10empty_typeEbEEZZNS1_14partition_implILS8_3ELb0ES6_jNS0_17counting_iteratorIjlEEPS9_SE_NS0_5tupleIJPjSE_EEENSF_IJSE_SE_EEES9_SG_JZNS1_25segmented_radix_sort_implINS0_14default_configELb1EPKbPbPKlPlN2at6native12_GLOBAL__N_18offset_tEEE10hipError_tPvRmT1_PNSt15iterator_traitsISY_E10value_typeET2_T3_PNSZ_IS14_E10value_typeET4_jRbjT5_S1A_jjP12ihipStream_tbEUljE_EEESV_SW_SX_S14_S18_S1A_T6_T7_T9_mT8_S1C_bDpT10_ENKUlT_T0_E_clISt17integral_constantIbLb1EES1O_IbLb0EEEEDaS1K_S1L_EUlS1K_E_NS1_11comp_targetILNS1_3genE8ELNS1_11target_archE1030ELNS1_3gpuE2ELNS1_3repE0EEENS1_30default_config_static_selectorELNS0_4arch9wavefront6targetE0EEEvSY_.num_agpr, 0
	.set _ZN7rocprim17ROCPRIM_400000_NS6detail17trampoline_kernelINS0_13select_configILj256ELj13ELNS0_17block_load_methodE3ELS4_3ELS4_3ELNS0_20block_scan_algorithmE0ELj4294967295EEENS1_25partition_config_selectorILNS1_17partition_subalgoE3EjNS0_10empty_typeEbEEZZNS1_14partition_implILS8_3ELb0ES6_jNS0_17counting_iteratorIjlEEPS9_SE_NS0_5tupleIJPjSE_EEENSF_IJSE_SE_EEES9_SG_JZNS1_25segmented_radix_sort_implINS0_14default_configELb1EPKbPbPKlPlN2at6native12_GLOBAL__N_18offset_tEEE10hipError_tPvRmT1_PNSt15iterator_traitsISY_E10value_typeET2_T3_PNSZ_IS14_E10value_typeET4_jRbjT5_S1A_jjP12ihipStream_tbEUljE_EEESV_SW_SX_S14_S18_S1A_T6_T7_T9_mT8_S1C_bDpT10_ENKUlT_T0_E_clISt17integral_constantIbLb1EES1O_IbLb0EEEEDaS1K_S1L_EUlS1K_E_NS1_11comp_targetILNS1_3genE8ELNS1_11target_archE1030ELNS1_3gpuE2ELNS1_3repE0EEENS1_30default_config_static_selectorELNS0_4arch9wavefront6targetE0EEEvSY_.numbered_sgpr, 0
	.set _ZN7rocprim17ROCPRIM_400000_NS6detail17trampoline_kernelINS0_13select_configILj256ELj13ELNS0_17block_load_methodE3ELS4_3ELS4_3ELNS0_20block_scan_algorithmE0ELj4294967295EEENS1_25partition_config_selectorILNS1_17partition_subalgoE3EjNS0_10empty_typeEbEEZZNS1_14partition_implILS8_3ELb0ES6_jNS0_17counting_iteratorIjlEEPS9_SE_NS0_5tupleIJPjSE_EEENSF_IJSE_SE_EEES9_SG_JZNS1_25segmented_radix_sort_implINS0_14default_configELb1EPKbPbPKlPlN2at6native12_GLOBAL__N_18offset_tEEE10hipError_tPvRmT1_PNSt15iterator_traitsISY_E10value_typeET2_T3_PNSZ_IS14_E10value_typeET4_jRbjT5_S1A_jjP12ihipStream_tbEUljE_EEESV_SW_SX_S14_S18_S1A_T6_T7_T9_mT8_S1C_bDpT10_ENKUlT_T0_E_clISt17integral_constantIbLb1EES1O_IbLb0EEEEDaS1K_S1L_EUlS1K_E_NS1_11comp_targetILNS1_3genE8ELNS1_11target_archE1030ELNS1_3gpuE2ELNS1_3repE0EEENS1_30default_config_static_selectorELNS0_4arch9wavefront6targetE0EEEvSY_.num_named_barrier, 0
	.set _ZN7rocprim17ROCPRIM_400000_NS6detail17trampoline_kernelINS0_13select_configILj256ELj13ELNS0_17block_load_methodE3ELS4_3ELS4_3ELNS0_20block_scan_algorithmE0ELj4294967295EEENS1_25partition_config_selectorILNS1_17partition_subalgoE3EjNS0_10empty_typeEbEEZZNS1_14partition_implILS8_3ELb0ES6_jNS0_17counting_iteratorIjlEEPS9_SE_NS0_5tupleIJPjSE_EEENSF_IJSE_SE_EEES9_SG_JZNS1_25segmented_radix_sort_implINS0_14default_configELb1EPKbPbPKlPlN2at6native12_GLOBAL__N_18offset_tEEE10hipError_tPvRmT1_PNSt15iterator_traitsISY_E10value_typeET2_T3_PNSZ_IS14_E10value_typeET4_jRbjT5_S1A_jjP12ihipStream_tbEUljE_EEESV_SW_SX_S14_S18_S1A_T6_T7_T9_mT8_S1C_bDpT10_ENKUlT_T0_E_clISt17integral_constantIbLb1EES1O_IbLb0EEEEDaS1K_S1L_EUlS1K_E_NS1_11comp_targetILNS1_3genE8ELNS1_11target_archE1030ELNS1_3gpuE2ELNS1_3repE0EEENS1_30default_config_static_selectorELNS0_4arch9wavefront6targetE0EEEvSY_.private_seg_size, 0
	.set _ZN7rocprim17ROCPRIM_400000_NS6detail17trampoline_kernelINS0_13select_configILj256ELj13ELNS0_17block_load_methodE3ELS4_3ELS4_3ELNS0_20block_scan_algorithmE0ELj4294967295EEENS1_25partition_config_selectorILNS1_17partition_subalgoE3EjNS0_10empty_typeEbEEZZNS1_14partition_implILS8_3ELb0ES6_jNS0_17counting_iteratorIjlEEPS9_SE_NS0_5tupleIJPjSE_EEENSF_IJSE_SE_EEES9_SG_JZNS1_25segmented_radix_sort_implINS0_14default_configELb1EPKbPbPKlPlN2at6native12_GLOBAL__N_18offset_tEEE10hipError_tPvRmT1_PNSt15iterator_traitsISY_E10value_typeET2_T3_PNSZ_IS14_E10value_typeET4_jRbjT5_S1A_jjP12ihipStream_tbEUljE_EEESV_SW_SX_S14_S18_S1A_T6_T7_T9_mT8_S1C_bDpT10_ENKUlT_T0_E_clISt17integral_constantIbLb1EES1O_IbLb0EEEEDaS1K_S1L_EUlS1K_E_NS1_11comp_targetILNS1_3genE8ELNS1_11target_archE1030ELNS1_3gpuE2ELNS1_3repE0EEENS1_30default_config_static_selectorELNS0_4arch9wavefront6targetE0EEEvSY_.uses_vcc, 0
	.set _ZN7rocprim17ROCPRIM_400000_NS6detail17trampoline_kernelINS0_13select_configILj256ELj13ELNS0_17block_load_methodE3ELS4_3ELS4_3ELNS0_20block_scan_algorithmE0ELj4294967295EEENS1_25partition_config_selectorILNS1_17partition_subalgoE3EjNS0_10empty_typeEbEEZZNS1_14partition_implILS8_3ELb0ES6_jNS0_17counting_iteratorIjlEEPS9_SE_NS0_5tupleIJPjSE_EEENSF_IJSE_SE_EEES9_SG_JZNS1_25segmented_radix_sort_implINS0_14default_configELb1EPKbPbPKlPlN2at6native12_GLOBAL__N_18offset_tEEE10hipError_tPvRmT1_PNSt15iterator_traitsISY_E10value_typeET2_T3_PNSZ_IS14_E10value_typeET4_jRbjT5_S1A_jjP12ihipStream_tbEUljE_EEESV_SW_SX_S14_S18_S1A_T6_T7_T9_mT8_S1C_bDpT10_ENKUlT_T0_E_clISt17integral_constantIbLb1EES1O_IbLb0EEEEDaS1K_S1L_EUlS1K_E_NS1_11comp_targetILNS1_3genE8ELNS1_11target_archE1030ELNS1_3gpuE2ELNS1_3repE0EEENS1_30default_config_static_selectorELNS0_4arch9wavefront6targetE0EEEvSY_.uses_flat_scratch, 0
	.set _ZN7rocprim17ROCPRIM_400000_NS6detail17trampoline_kernelINS0_13select_configILj256ELj13ELNS0_17block_load_methodE3ELS4_3ELS4_3ELNS0_20block_scan_algorithmE0ELj4294967295EEENS1_25partition_config_selectorILNS1_17partition_subalgoE3EjNS0_10empty_typeEbEEZZNS1_14partition_implILS8_3ELb0ES6_jNS0_17counting_iteratorIjlEEPS9_SE_NS0_5tupleIJPjSE_EEENSF_IJSE_SE_EEES9_SG_JZNS1_25segmented_radix_sort_implINS0_14default_configELb1EPKbPbPKlPlN2at6native12_GLOBAL__N_18offset_tEEE10hipError_tPvRmT1_PNSt15iterator_traitsISY_E10value_typeET2_T3_PNSZ_IS14_E10value_typeET4_jRbjT5_S1A_jjP12ihipStream_tbEUljE_EEESV_SW_SX_S14_S18_S1A_T6_T7_T9_mT8_S1C_bDpT10_ENKUlT_T0_E_clISt17integral_constantIbLb1EES1O_IbLb0EEEEDaS1K_S1L_EUlS1K_E_NS1_11comp_targetILNS1_3genE8ELNS1_11target_archE1030ELNS1_3gpuE2ELNS1_3repE0EEENS1_30default_config_static_selectorELNS0_4arch9wavefront6targetE0EEEvSY_.has_dyn_sized_stack, 0
	.set _ZN7rocprim17ROCPRIM_400000_NS6detail17trampoline_kernelINS0_13select_configILj256ELj13ELNS0_17block_load_methodE3ELS4_3ELS4_3ELNS0_20block_scan_algorithmE0ELj4294967295EEENS1_25partition_config_selectorILNS1_17partition_subalgoE3EjNS0_10empty_typeEbEEZZNS1_14partition_implILS8_3ELb0ES6_jNS0_17counting_iteratorIjlEEPS9_SE_NS0_5tupleIJPjSE_EEENSF_IJSE_SE_EEES9_SG_JZNS1_25segmented_radix_sort_implINS0_14default_configELb1EPKbPbPKlPlN2at6native12_GLOBAL__N_18offset_tEEE10hipError_tPvRmT1_PNSt15iterator_traitsISY_E10value_typeET2_T3_PNSZ_IS14_E10value_typeET4_jRbjT5_S1A_jjP12ihipStream_tbEUljE_EEESV_SW_SX_S14_S18_S1A_T6_T7_T9_mT8_S1C_bDpT10_ENKUlT_T0_E_clISt17integral_constantIbLb1EES1O_IbLb0EEEEDaS1K_S1L_EUlS1K_E_NS1_11comp_targetILNS1_3genE8ELNS1_11target_archE1030ELNS1_3gpuE2ELNS1_3repE0EEENS1_30default_config_static_selectorELNS0_4arch9wavefront6targetE0EEEvSY_.has_recursion, 0
	.set _ZN7rocprim17ROCPRIM_400000_NS6detail17trampoline_kernelINS0_13select_configILj256ELj13ELNS0_17block_load_methodE3ELS4_3ELS4_3ELNS0_20block_scan_algorithmE0ELj4294967295EEENS1_25partition_config_selectorILNS1_17partition_subalgoE3EjNS0_10empty_typeEbEEZZNS1_14partition_implILS8_3ELb0ES6_jNS0_17counting_iteratorIjlEEPS9_SE_NS0_5tupleIJPjSE_EEENSF_IJSE_SE_EEES9_SG_JZNS1_25segmented_radix_sort_implINS0_14default_configELb1EPKbPbPKlPlN2at6native12_GLOBAL__N_18offset_tEEE10hipError_tPvRmT1_PNSt15iterator_traitsISY_E10value_typeET2_T3_PNSZ_IS14_E10value_typeET4_jRbjT5_S1A_jjP12ihipStream_tbEUljE_EEESV_SW_SX_S14_S18_S1A_T6_T7_T9_mT8_S1C_bDpT10_ENKUlT_T0_E_clISt17integral_constantIbLb1EES1O_IbLb0EEEEDaS1K_S1L_EUlS1K_E_NS1_11comp_targetILNS1_3genE8ELNS1_11target_archE1030ELNS1_3gpuE2ELNS1_3repE0EEENS1_30default_config_static_selectorELNS0_4arch9wavefront6targetE0EEEvSY_.has_indirect_call, 0
	.section	.AMDGPU.csdata,"",@progbits
; Kernel info:
; codeLenInByte = 4
; TotalNumSgprs: 0
; NumVgprs: 0
; ScratchSize: 0
; MemoryBound: 0
; FloatMode: 240
; IeeeMode: 1
; LDSByteSize: 0 bytes/workgroup (compile time only)
; SGPRBlocks: 0
; VGPRBlocks: 0
; NumSGPRsForWavesPerEU: 1
; NumVGPRsForWavesPerEU: 1
; Occupancy: 16
; WaveLimiterHint : 0
; COMPUTE_PGM_RSRC2:SCRATCH_EN: 0
; COMPUTE_PGM_RSRC2:USER_SGPR: 6
; COMPUTE_PGM_RSRC2:TRAP_HANDLER: 0
; COMPUTE_PGM_RSRC2:TGID_X_EN: 1
; COMPUTE_PGM_RSRC2:TGID_Y_EN: 0
; COMPUTE_PGM_RSRC2:TGID_Z_EN: 0
; COMPUTE_PGM_RSRC2:TIDIG_COMP_CNT: 0
	.section	.text._ZN7rocprim17ROCPRIM_400000_NS6detail17trampoline_kernelINS0_13select_configILj256ELj13ELNS0_17block_load_methodE3ELS4_3ELS4_3ELNS0_20block_scan_algorithmE0ELj4294967295EEENS1_25partition_config_selectorILNS1_17partition_subalgoE3EjNS0_10empty_typeEbEEZZNS1_14partition_implILS8_3ELb0ES6_jNS0_17counting_iteratorIjlEEPS9_SE_NS0_5tupleIJPjSE_EEENSF_IJSE_SE_EEES9_SG_JZNS1_25segmented_radix_sort_implINS0_14default_configELb1EPKbPbPKlPlN2at6native12_GLOBAL__N_18offset_tEEE10hipError_tPvRmT1_PNSt15iterator_traitsISY_E10value_typeET2_T3_PNSZ_IS14_E10value_typeET4_jRbjT5_S1A_jjP12ihipStream_tbEUljE_EEESV_SW_SX_S14_S18_S1A_T6_T7_T9_mT8_S1C_bDpT10_ENKUlT_T0_E_clISt17integral_constantIbLb0EES1O_IbLb1EEEEDaS1K_S1L_EUlS1K_E_NS1_11comp_targetILNS1_3genE0ELNS1_11target_archE4294967295ELNS1_3gpuE0ELNS1_3repE0EEENS1_30default_config_static_selectorELNS0_4arch9wavefront6targetE0EEEvSY_,"axG",@progbits,_ZN7rocprim17ROCPRIM_400000_NS6detail17trampoline_kernelINS0_13select_configILj256ELj13ELNS0_17block_load_methodE3ELS4_3ELS4_3ELNS0_20block_scan_algorithmE0ELj4294967295EEENS1_25partition_config_selectorILNS1_17partition_subalgoE3EjNS0_10empty_typeEbEEZZNS1_14partition_implILS8_3ELb0ES6_jNS0_17counting_iteratorIjlEEPS9_SE_NS0_5tupleIJPjSE_EEENSF_IJSE_SE_EEES9_SG_JZNS1_25segmented_radix_sort_implINS0_14default_configELb1EPKbPbPKlPlN2at6native12_GLOBAL__N_18offset_tEEE10hipError_tPvRmT1_PNSt15iterator_traitsISY_E10value_typeET2_T3_PNSZ_IS14_E10value_typeET4_jRbjT5_S1A_jjP12ihipStream_tbEUljE_EEESV_SW_SX_S14_S18_S1A_T6_T7_T9_mT8_S1C_bDpT10_ENKUlT_T0_E_clISt17integral_constantIbLb0EES1O_IbLb1EEEEDaS1K_S1L_EUlS1K_E_NS1_11comp_targetILNS1_3genE0ELNS1_11target_archE4294967295ELNS1_3gpuE0ELNS1_3repE0EEENS1_30default_config_static_selectorELNS0_4arch9wavefront6targetE0EEEvSY_,comdat
	.globl	_ZN7rocprim17ROCPRIM_400000_NS6detail17trampoline_kernelINS0_13select_configILj256ELj13ELNS0_17block_load_methodE3ELS4_3ELS4_3ELNS0_20block_scan_algorithmE0ELj4294967295EEENS1_25partition_config_selectorILNS1_17partition_subalgoE3EjNS0_10empty_typeEbEEZZNS1_14partition_implILS8_3ELb0ES6_jNS0_17counting_iteratorIjlEEPS9_SE_NS0_5tupleIJPjSE_EEENSF_IJSE_SE_EEES9_SG_JZNS1_25segmented_radix_sort_implINS0_14default_configELb1EPKbPbPKlPlN2at6native12_GLOBAL__N_18offset_tEEE10hipError_tPvRmT1_PNSt15iterator_traitsISY_E10value_typeET2_T3_PNSZ_IS14_E10value_typeET4_jRbjT5_S1A_jjP12ihipStream_tbEUljE_EEESV_SW_SX_S14_S18_S1A_T6_T7_T9_mT8_S1C_bDpT10_ENKUlT_T0_E_clISt17integral_constantIbLb0EES1O_IbLb1EEEEDaS1K_S1L_EUlS1K_E_NS1_11comp_targetILNS1_3genE0ELNS1_11target_archE4294967295ELNS1_3gpuE0ELNS1_3repE0EEENS1_30default_config_static_selectorELNS0_4arch9wavefront6targetE0EEEvSY_ ; -- Begin function _ZN7rocprim17ROCPRIM_400000_NS6detail17trampoline_kernelINS0_13select_configILj256ELj13ELNS0_17block_load_methodE3ELS4_3ELS4_3ELNS0_20block_scan_algorithmE0ELj4294967295EEENS1_25partition_config_selectorILNS1_17partition_subalgoE3EjNS0_10empty_typeEbEEZZNS1_14partition_implILS8_3ELb0ES6_jNS0_17counting_iteratorIjlEEPS9_SE_NS0_5tupleIJPjSE_EEENSF_IJSE_SE_EEES9_SG_JZNS1_25segmented_radix_sort_implINS0_14default_configELb1EPKbPbPKlPlN2at6native12_GLOBAL__N_18offset_tEEE10hipError_tPvRmT1_PNSt15iterator_traitsISY_E10value_typeET2_T3_PNSZ_IS14_E10value_typeET4_jRbjT5_S1A_jjP12ihipStream_tbEUljE_EEESV_SW_SX_S14_S18_S1A_T6_T7_T9_mT8_S1C_bDpT10_ENKUlT_T0_E_clISt17integral_constantIbLb0EES1O_IbLb1EEEEDaS1K_S1L_EUlS1K_E_NS1_11comp_targetILNS1_3genE0ELNS1_11target_archE4294967295ELNS1_3gpuE0ELNS1_3repE0EEENS1_30default_config_static_selectorELNS0_4arch9wavefront6targetE0EEEvSY_
	.p2align	8
	.type	_ZN7rocprim17ROCPRIM_400000_NS6detail17trampoline_kernelINS0_13select_configILj256ELj13ELNS0_17block_load_methodE3ELS4_3ELS4_3ELNS0_20block_scan_algorithmE0ELj4294967295EEENS1_25partition_config_selectorILNS1_17partition_subalgoE3EjNS0_10empty_typeEbEEZZNS1_14partition_implILS8_3ELb0ES6_jNS0_17counting_iteratorIjlEEPS9_SE_NS0_5tupleIJPjSE_EEENSF_IJSE_SE_EEES9_SG_JZNS1_25segmented_radix_sort_implINS0_14default_configELb1EPKbPbPKlPlN2at6native12_GLOBAL__N_18offset_tEEE10hipError_tPvRmT1_PNSt15iterator_traitsISY_E10value_typeET2_T3_PNSZ_IS14_E10value_typeET4_jRbjT5_S1A_jjP12ihipStream_tbEUljE_EEESV_SW_SX_S14_S18_S1A_T6_T7_T9_mT8_S1C_bDpT10_ENKUlT_T0_E_clISt17integral_constantIbLb0EES1O_IbLb1EEEEDaS1K_S1L_EUlS1K_E_NS1_11comp_targetILNS1_3genE0ELNS1_11target_archE4294967295ELNS1_3gpuE0ELNS1_3repE0EEENS1_30default_config_static_selectorELNS0_4arch9wavefront6targetE0EEEvSY_,@function
_ZN7rocprim17ROCPRIM_400000_NS6detail17trampoline_kernelINS0_13select_configILj256ELj13ELNS0_17block_load_methodE3ELS4_3ELS4_3ELNS0_20block_scan_algorithmE0ELj4294967295EEENS1_25partition_config_selectorILNS1_17partition_subalgoE3EjNS0_10empty_typeEbEEZZNS1_14partition_implILS8_3ELb0ES6_jNS0_17counting_iteratorIjlEEPS9_SE_NS0_5tupleIJPjSE_EEENSF_IJSE_SE_EEES9_SG_JZNS1_25segmented_radix_sort_implINS0_14default_configELb1EPKbPbPKlPlN2at6native12_GLOBAL__N_18offset_tEEE10hipError_tPvRmT1_PNSt15iterator_traitsISY_E10value_typeET2_T3_PNSZ_IS14_E10value_typeET4_jRbjT5_S1A_jjP12ihipStream_tbEUljE_EEESV_SW_SX_S14_S18_S1A_T6_T7_T9_mT8_S1C_bDpT10_ENKUlT_T0_E_clISt17integral_constantIbLb0EES1O_IbLb1EEEEDaS1K_S1L_EUlS1K_E_NS1_11comp_targetILNS1_3genE0ELNS1_11target_archE4294967295ELNS1_3gpuE0ELNS1_3repE0EEENS1_30default_config_static_selectorELNS0_4arch9wavefront6targetE0EEEvSY_: ; @_ZN7rocprim17ROCPRIM_400000_NS6detail17trampoline_kernelINS0_13select_configILj256ELj13ELNS0_17block_load_methodE3ELS4_3ELS4_3ELNS0_20block_scan_algorithmE0ELj4294967295EEENS1_25partition_config_selectorILNS1_17partition_subalgoE3EjNS0_10empty_typeEbEEZZNS1_14partition_implILS8_3ELb0ES6_jNS0_17counting_iteratorIjlEEPS9_SE_NS0_5tupleIJPjSE_EEENSF_IJSE_SE_EEES9_SG_JZNS1_25segmented_radix_sort_implINS0_14default_configELb1EPKbPbPKlPlN2at6native12_GLOBAL__N_18offset_tEEE10hipError_tPvRmT1_PNSt15iterator_traitsISY_E10value_typeET2_T3_PNSZ_IS14_E10value_typeET4_jRbjT5_S1A_jjP12ihipStream_tbEUljE_EEESV_SW_SX_S14_S18_S1A_T6_T7_T9_mT8_S1C_bDpT10_ENKUlT_T0_E_clISt17integral_constantIbLb0EES1O_IbLb1EEEEDaS1K_S1L_EUlS1K_E_NS1_11comp_targetILNS1_3genE0ELNS1_11target_archE4294967295ELNS1_3gpuE0ELNS1_3repE0EEENS1_30default_config_static_selectorELNS0_4arch9wavefront6targetE0EEEvSY_
; %bb.0:
	.section	.rodata,"a",@progbits
	.p2align	6, 0x0
	.amdhsa_kernel _ZN7rocprim17ROCPRIM_400000_NS6detail17trampoline_kernelINS0_13select_configILj256ELj13ELNS0_17block_load_methodE3ELS4_3ELS4_3ELNS0_20block_scan_algorithmE0ELj4294967295EEENS1_25partition_config_selectorILNS1_17partition_subalgoE3EjNS0_10empty_typeEbEEZZNS1_14partition_implILS8_3ELb0ES6_jNS0_17counting_iteratorIjlEEPS9_SE_NS0_5tupleIJPjSE_EEENSF_IJSE_SE_EEES9_SG_JZNS1_25segmented_radix_sort_implINS0_14default_configELb1EPKbPbPKlPlN2at6native12_GLOBAL__N_18offset_tEEE10hipError_tPvRmT1_PNSt15iterator_traitsISY_E10value_typeET2_T3_PNSZ_IS14_E10value_typeET4_jRbjT5_S1A_jjP12ihipStream_tbEUljE_EEESV_SW_SX_S14_S18_S1A_T6_T7_T9_mT8_S1C_bDpT10_ENKUlT_T0_E_clISt17integral_constantIbLb0EES1O_IbLb1EEEEDaS1K_S1L_EUlS1K_E_NS1_11comp_targetILNS1_3genE0ELNS1_11target_archE4294967295ELNS1_3gpuE0ELNS1_3repE0EEENS1_30default_config_static_selectorELNS0_4arch9wavefront6targetE0EEEvSY_
		.amdhsa_group_segment_fixed_size 0
		.amdhsa_private_segment_fixed_size 0
		.amdhsa_kernarg_size 152
		.amdhsa_user_sgpr_count 6
		.amdhsa_user_sgpr_private_segment_buffer 1
		.amdhsa_user_sgpr_dispatch_ptr 0
		.amdhsa_user_sgpr_queue_ptr 0
		.amdhsa_user_sgpr_kernarg_segment_ptr 1
		.amdhsa_user_sgpr_dispatch_id 0
		.amdhsa_user_sgpr_flat_scratch_init 0
		.amdhsa_user_sgpr_private_segment_size 0
		.amdhsa_wavefront_size32 1
		.amdhsa_uses_dynamic_stack 0
		.amdhsa_system_sgpr_private_segment_wavefront_offset 0
		.amdhsa_system_sgpr_workgroup_id_x 1
		.amdhsa_system_sgpr_workgroup_id_y 0
		.amdhsa_system_sgpr_workgroup_id_z 0
		.amdhsa_system_sgpr_workgroup_info 0
		.amdhsa_system_vgpr_workitem_id 0
		.amdhsa_next_free_vgpr 1
		.amdhsa_next_free_sgpr 1
		.amdhsa_reserve_vcc 0
		.amdhsa_reserve_flat_scratch 0
		.amdhsa_float_round_mode_32 0
		.amdhsa_float_round_mode_16_64 0
		.amdhsa_float_denorm_mode_32 3
		.amdhsa_float_denorm_mode_16_64 3
		.amdhsa_dx10_clamp 1
		.amdhsa_ieee_mode 1
		.amdhsa_fp16_overflow 0
		.amdhsa_workgroup_processor_mode 1
		.amdhsa_memory_ordered 1
		.amdhsa_forward_progress 1
		.amdhsa_shared_vgpr_count 0
		.amdhsa_exception_fp_ieee_invalid_op 0
		.amdhsa_exception_fp_denorm_src 0
		.amdhsa_exception_fp_ieee_div_zero 0
		.amdhsa_exception_fp_ieee_overflow 0
		.amdhsa_exception_fp_ieee_underflow 0
		.amdhsa_exception_fp_ieee_inexact 0
		.amdhsa_exception_int_div_zero 0
	.end_amdhsa_kernel
	.section	.text._ZN7rocprim17ROCPRIM_400000_NS6detail17trampoline_kernelINS0_13select_configILj256ELj13ELNS0_17block_load_methodE3ELS4_3ELS4_3ELNS0_20block_scan_algorithmE0ELj4294967295EEENS1_25partition_config_selectorILNS1_17partition_subalgoE3EjNS0_10empty_typeEbEEZZNS1_14partition_implILS8_3ELb0ES6_jNS0_17counting_iteratorIjlEEPS9_SE_NS0_5tupleIJPjSE_EEENSF_IJSE_SE_EEES9_SG_JZNS1_25segmented_radix_sort_implINS0_14default_configELb1EPKbPbPKlPlN2at6native12_GLOBAL__N_18offset_tEEE10hipError_tPvRmT1_PNSt15iterator_traitsISY_E10value_typeET2_T3_PNSZ_IS14_E10value_typeET4_jRbjT5_S1A_jjP12ihipStream_tbEUljE_EEESV_SW_SX_S14_S18_S1A_T6_T7_T9_mT8_S1C_bDpT10_ENKUlT_T0_E_clISt17integral_constantIbLb0EES1O_IbLb1EEEEDaS1K_S1L_EUlS1K_E_NS1_11comp_targetILNS1_3genE0ELNS1_11target_archE4294967295ELNS1_3gpuE0ELNS1_3repE0EEENS1_30default_config_static_selectorELNS0_4arch9wavefront6targetE0EEEvSY_,"axG",@progbits,_ZN7rocprim17ROCPRIM_400000_NS6detail17trampoline_kernelINS0_13select_configILj256ELj13ELNS0_17block_load_methodE3ELS4_3ELS4_3ELNS0_20block_scan_algorithmE0ELj4294967295EEENS1_25partition_config_selectorILNS1_17partition_subalgoE3EjNS0_10empty_typeEbEEZZNS1_14partition_implILS8_3ELb0ES6_jNS0_17counting_iteratorIjlEEPS9_SE_NS0_5tupleIJPjSE_EEENSF_IJSE_SE_EEES9_SG_JZNS1_25segmented_radix_sort_implINS0_14default_configELb1EPKbPbPKlPlN2at6native12_GLOBAL__N_18offset_tEEE10hipError_tPvRmT1_PNSt15iterator_traitsISY_E10value_typeET2_T3_PNSZ_IS14_E10value_typeET4_jRbjT5_S1A_jjP12ihipStream_tbEUljE_EEESV_SW_SX_S14_S18_S1A_T6_T7_T9_mT8_S1C_bDpT10_ENKUlT_T0_E_clISt17integral_constantIbLb0EES1O_IbLb1EEEEDaS1K_S1L_EUlS1K_E_NS1_11comp_targetILNS1_3genE0ELNS1_11target_archE4294967295ELNS1_3gpuE0ELNS1_3repE0EEENS1_30default_config_static_selectorELNS0_4arch9wavefront6targetE0EEEvSY_,comdat
.Lfunc_end1516:
	.size	_ZN7rocprim17ROCPRIM_400000_NS6detail17trampoline_kernelINS0_13select_configILj256ELj13ELNS0_17block_load_methodE3ELS4_3ELS4_3ELNS0_20block_scan_algorithmE0ELj4294967295EEENS1_25partition_config_selectorILNS1_17partition_subalgoE3EjNS0_10empty_typeEbEEZZNS1_14partition_implILS8_3ELb0ES6_jNS0_17counting_iteratorIjlEEPS9_SE_NS0_5tupleIJPjSE_EEENSF_IJSE_SE_EEES9_SG_JZNS1_25segmented_radix_sort_implINS0_14default_configELb1EPKbPbPKlPlN2at6native12_GLOBAL__N_18offset_tEEE10hipError_tPvRmT1_PNSt15iterator_traitsISY_E10value_typeET2_T3_PNSZ_IS14_E10value_typeET4_jRbjT5_S1A_jjP12ihipStream_tbEUljE_EEESV_SW_SX_S14_S18_S1A_T6_T7_T9_mT8_S1C_bDpT10_ENKUlT_T0_E_clISt17integral_constantIbLb0EES1O_IbLb1EEEEDaS1K_S1L_EUlS1K_E_NS1_11comp_targetILNS1_3genE0ELNS1_11target_archE4294967295ELNS1_3gpuE0ELNS1_3repE0EEENS1_30default_config_static_selectorELNS0_4arch9wavefront6targetE0EEEvSY_, .Lfunc_end1516-_ZN7rocprim17ROCPRIM_400000_NS6detail17trampoline_kernelINS0_13select_configILj256ELj13ELNS0_17block_load_methodE3ELS4_3ELS4_3ELNS0_20block_scan_algorithmE0ELj4294967295EEENS1_25partition_config_selectorILNS1_17partition_subalgoE3EjNS0_10empty_typeEbEEZZNS1_14partition_implILS8_3ELb0ES6_jNS0_17counting_iteratorIjlEEPS9_SE_NS0_5tupleIJPjSE_EEENSF_IJSE_SE_EEES9_SG_JZNS1_25segmented_radix_sort_implINS0_14default_configELb1EPKbPbPKlPlN2at6native12_GLOBAL__N_18offset_tEEE10hipError_tPvRmT1_PNSt15iterator_traitsISY_E10value_typeET2_T3_PNSZ_IS14_E10value_typeET4_jRbjT5_S1A_jjP12ihipStream_tbEUljE_EEESV_SW_SX_S14_S18_S1A_T6_T7_T9_mT8_S1C_bDpT10_ENKUlT_T0_E_clISt17integral_constantIbLb0EES1O_IbLb1EEEEDaS1K_S1L_EUlS1K_E_NS1_11comp_targetILNS1_3genE0ELNS1_11target_archE4294967295ELNS1_3gpuE0ELNS1_3repE0EEENS1_30default_config_static_selectorELNS0_4arch9wavefront6targetE0EEEvSY_
                                        ; -- End function
	.set _ZN7rocprim17ROCPRIM_400000_NS6detail17trampoline_kernelINS0_13select_configILj256ELj13ELNS0_17block_load_methodE3ELS4_3ELS4_3ELNS0_20block_scan_algorithmE0ELj4294967295EEENS1_25partition_config_selectorILNS1_17partition_subalgoE3EjNS0_10empty_typeEbEEZZNS1_14partition_implILS8_3ELb0ES6_jNS0_17counting_iteratorIjlEEPS9_SE_NS0_5tupleIJPjSE_EEENSF_IJSE_SE_EEES9_SG_JZNS1_25segmented_radix_sort_implINS0_14default_configELb1EPKbPbPKlPlN2at6native12_GLOBAL__N_18offset_tEEE10hipError_tPvRmT1_PNSt15iterator_traitsISY_E10value_typeET2_T3_PNSZ_IS14_E10value_typeET4_jRbjT5_S1A_jjP12ihipStream_tbEUljE_EEESV_SW_SX_S14_S18_S1A_T6_T7_T9_mT8_S1C_bDpT10_ENKUlT_T0_E_clISt17integral_constantIbLb0EES1O_IbLb1EEEEDaS1K_S1L_EUlS1K_E_NS1_11comp_targetILNS1_3genE0ELNS1_11target_archE4294967295ELNS1_3gpuE0ELNS1_3repE0EEENS1_30default_config_static_selectorELNS0_4arch9wavefront6targetE0EEEvSY_.num_vgpr, 0
	.set _ZN7rocprim17ROCPRIM_400000_NS6detail17trampoline_kernelINS0_13select_configILj256ELj13ELNS0_17block_load_methodE3ELS4_3ELS4_3ELNS0_20block_scan_algorithmE0ELj4294967295EEENS1_25partition_config_selectorILNS1_17partition_subalgoE3EjNS0_10empty_typeEbEEZZNS1_14partition_implILS8_3ELb0ES6_jNS0_17counting_iteratorIjlEEPS9_SE_NS0_5tupleIJPjSE_EEENSF_IJSE_SE_EEES9_SG_JZNS1_25segmented_radix_sort_implINS0_14default_configELb1EPKbPbPKlPlN2at6native12_GLOBAL__N_18offset_tEEE10hipError_tPvRmT1_PNSt15iterator_traitsISY_E10value_typeET2_T3_PNSZ_IS14_E10value_typeET4_jRbjT5_S1A_jjP12ihipStream_tbEUljE_EEESV_SW_SX_S14_S18_S1A_T6_T7_T9_mT8_S1C_bDpT10_ENKUlT_T0_E_clISt17integral_constantIbLb0EES1O_IbLb1EEEEDaS1K_S1L_EUlS1K_E_NS1_11comp_targetILNS1_3genE0ELNS1_11target_archE4294967295ELNS1_3gpuE0ELNS1_3repE0EEENS1_30default_config_static_selectorELNS0_4arch9wavefront6targetE0EEEvSY_.num_agpr, 0
	.set _ZN7rocprim17ROCPRIM_400000_NS6detail17trampoline_kernelINS0_13select_configILj256ELj13ELNS0_17block_load_methodE3ELS4_3ELS4_3ELNS0_20block_scan_algorithmE0ELj4294967295EEENS1_25partition_config_selectorILNS1_17partition_subalgoE3EjNS0_10empty_typeEbEEZZNS1_14partition_implILS8_3ELb0ES6_jNS0_17counting_iteratorIjlEEPS9_SE_NS0_5tupleIJPjSE_EEENSF_IJSE_SE_EEES9_SG_JZNS1_25segmented_radix_sort_implINS0_14default_configELb1EPKbPbPKlPlN2at6native12_GLOBAL__N_18offset_tEEE10hipError_tPvRmT1_PNSt15iterator_traitsISY_E10value_typeET2_T3_PNSZ_IS14_E10value_typeET4_jRbjT5_S1A_jjP12ihipStream_tbEUljE_EEESV_SW_SX_S14_S18_S1A_T6_T7_T9_mT8_S1C_bDpT10_ENKUlT_T0_E_clISt17integral_constantIbLb0EES1O_IbLb1EEEEDaS1K_S1L_EUlS1K_E_NS1_11comp_targetILNS1_3genE0ELNS1_11target_archE4294967295ELNS1_3gpuE0ELNS1_3repE0EEENS1_30default_config_static_selectorELNS0_4arch9wavefront6targetE0EEEvSY_.numbered_sgpr, 0
	.set _ZN7rocprim17ROCPRIM_400000_NS6detail17trampoline_kernelINS0_13select_configILj256ELj13ELNS0_17block_load_methodE3ELS4_3ELS4_3ELNS0_20block_scan_algorithmE0ELj4294967295EEENS1_25partition_config_selectorILNS1_17partition_subalgoE3EjNS0_10empty_typeEbEEZZNS1_14partition_implILS8_3ELb0ES6_jNS0_17counting_iteratorIjlEEPS9_SE_NS0_5tupleIJPjSE_EEENSF_IJSE_SE_EEES9_SG_JZNS1_25segmented_radix_sort_implINS0_14default_configELb1EPKbPbPKlPlN2at6native12_GLOBAL__N_18offset_tEEE10hipError_tPvRmT1_PNSt15iterator_traitsISY_E10value_typeET2_T3_PNSZ_IS14_E10value_typeET4_jRbjT5_S1A_jjP12ihipStream_tbEUljE_EEESV_SW_SX_S14_S18_S1A_T6_T7_T9_mT8_S1C_bDpT10_ENKUlT_T0_E_clISt17integral_constantIbLb0EES1O_IbLb1EEEEDaS1K_S1L_EUlS1K_E_NS1_11comp_targetILNS1_3genE0ELNS1_11target_archE4294967295ELNS1_3gpuE0ELNS1_3repE0EEENS1_30default_config_static_selectorELNS0_4arch9wavefront6targetE0EEEvSY_.num_named_barrier, 0
	.set _ZN7rocprim17ROCPRIM_400000_NS6detail17trampoline_kernelINS0_13select_configILj256ELj13ELNS0_17block_load_methodE3ELS4_3ELS4_3ELNS0_20block_scan_algorithmE0ELj4294967295EEENS1_25partition_config_selectorILNS1_17partition_subalgoE3EjNS0_10empty_typeEbEEZZNS1_14partition_implILS8_3ELb0ES6_jNS0_17counting_iteratorIjlEEPS9_SE_NS0_5tupleIJPjSE_EEENSF_IJSE_SE_EEES9_SG_JZNS1_25segmented_radix_sort_implINS0_14default_configELb1EPKbPbPKlPlN2at6native12_GLOBAL__N_18offset_tEEE10hipError_tPvRmT1_PNSt15iterator_traitsISY_E10value_typeET2_T3_PNSZ_IS14_E10value_typeET4_jRbjT5_S1A_jjP12ihipStream_tbEUljE_EEESV_SW_SX_S14_S18_S1A_T6_T7_T9_mT8_S1C_bDpT10_ENKUlT_T0_E_clISt17integral_constantIbLb0EES1O_IbLb1EEEEDaS1K_S1L_EUlS1K_E_NS1_11comp_targetILNS1_3genE0ELNS1_11target_archE4294967295ELNS1_3gpuE0ELNS1_3repE0EEENS1_30default_config_static_selectorELNS0_4arch9wavefront6targetE0EEEvSY_.private_seg_size, 0
	.set _ZN7rocprim17ROCPRIM_400000_NS6detail17trampoline_kernelINS0_13select_configILj256ELj13ELNS0_17block_load_methodE3ELS4_3ELS4_3ELNS0_20block_scan_algorithmE0ELj4294967295EEENS1_25partition_config_selectorILNS1_17partition_subalgoE3EjNS0_10empty_typeEbEEZZNS1_14partition_implILS8_3ELb0ES6_jNS0_17counting_iteratorIjlEEPS9_SE_NS0_5tupleIJPjSE_EEENSF_IJSE_SE_EEES9_SG_JZNS1_25segmented_radix_sort_implINS0_14default_configELb1EPKbPbPKlPlN2at6native12_GLOBAL__N_18offset_tEEE10hipError_tPvRmT1_PNSt15iterator_traitsISY_E10value_typeET2_T3_PNSZ_IS14_E10value_typeET4_jRbjT5_S1A_jjP12ihipStream_tbEUljE_EEESV_SW_SX_S14_S18_S1A_T6_T7_T9_mT8_S1C_bDpT10_ENKUlT_T0_E_clISt17integral_constantIbLb0EES1O_IbLb1EEEEDaS1K_S1L_EUlS1K_E_NS1_11comp_targetILNS1_3genE0ELNS1_11target_archE4294967295ELNS1_3gpuE0ELNS1_3repE0EEENS1_30default_config_static_selectorELNS0_4arch9wavefront6targetE0EEEvSY_.uses_vcc, 0
	.set _ZN7rocprim17ROCPRIM_400000_NS6detail17trampoline_kernelINS0_13select_configILj256ELj13ELNS0_17block_load_methodE3ELS4_3ELS4_3ELNS0_20block_scan_algorithmE0ELj4294967295EEENS1_25partition_config_selectorILNS1_17partition_subalgoE3EjNS0_10empty_typeEbEEZZNS1_14partition_implILS8_3ELb0ES6_jNS0_17counting_iteratorIjlEEPS9_SE_NS0_5tupleIJPjSE_EEENSF_IJSE_SE_EEES9_SG_JZNS1_25segmented_radix_sort_implINS0_14default_configELb1EPKbPbPKlPlN2at6native12_GLOBAL__N_18offset_tEEE10hipError_tPvRmT1_PNSt15iterator_traitsISY_E10value_typeET2_T3_PNSZ_IS14_E10value_typeET4_jRbjT5_S1A_jjP12ihipStream_tbEUljE_EEESV_SW_SX_S14_S18_S1A_T6_T7_T9_mT8_S1C_bDpT10_ENKUlT_T0_E_clISt17integral_constantIbLb0EES1O_IbLb1EEEEDaS1K_S1L_EUlS1K_E_NS1_11comp_targetILNS1_3genE0ELNS1_11target_archE4294967295ELNS1_3gpuE0ELNS1_3repE0EEENS1_30default_config_static_selectorELNS0_4arch9wavefront6targetE0EEEvSY_.uses_flat_scratch, 0
	.set _ZN7rocprim17ROCPRIM_400000_NS6detail17trampoline_kernelINS0_13select_configILj256ELj13ELNS0_17block_load_methodE3ELS4_3ELS4_3ELNS0_20block_scan_algorithmE0ELj4294967295EEENS1_25partition_config_selectorILNS1_17partition_subalgoE3EjNS0_10empty_typeEbEEZZNS1_14partition_implILS8_3ELb0ES6_jNS0_17counting_iteratorIjlEEPS9_SE_NS0_5tupleIJPjSE_EEENSF_IJSE_SE_EEES9_SG_JZNS1_25segmented_radix_sort_implINS0_14default_configELb1EPKbPbPKlPlN2at6native12_GLOBAL__N_18offset_tEEE10hipError_tPvRmT1_PNSt15iterator_traitsISY_E10value_typeET2_T3_PNSZ_IS14_E10value_typeET4_jRbjT5_S1A_jjP12ihipStream_tbEUljE_EEESV_SW_SX_S14_S18_S1A_T6_T7_T9_mT8_S1C_bDpT10_ENKUlT_T0_E_clISt17integral_constantIbLb0EES1O_IbLb1EEEEDaS1K_S1L_EUlS1K_E_NS1_11comp_targetILNS1_3genE0ELNS1_11target_archE4294967295ELNS1_3gpuE0ELNS1_3repE0EEENS1_30default_config_static_selectorELNS0_4arch9wavefront6targetE0EEEvSY_.has_dyn_sized_stack, 0
	.set _ZN7rocprim17ROCPRIM_400000_NS6detail17trampoline_kernelINS0_13select_configILj256ELj13ELNS0_17block_load_methodE3ELS4_3ELS4_3ELNS0_20block_scan_algorithmE0ELj4294967295EEENS1_25partition_config_selectorILNS1_17partition_subalgoE3EjNS0_10empty_typeEbEEZZNS1_14partition_implILS8_3ELb0ES6_jNS0_17counting_iteratorIjlEEPS9_SE_NS0_5tupleIJPjSE_EEENSF_IJSE_SE_EEES9_SG_JZNS1_25segmented_radix_sort_implINS0_14default_configELb1EPKbPbPKlPlN2at6native12_GLOBAL__N_18offset_tEEE10hipError_tPvRmT1_PNSt15iterator_traitsISY_E10value_typeET2_T3_PNSZ_IS14_E10value_typeET4_jRbjT5_S1A_jjP12ihipStream_tbEUljE_EEESV_SW_SX_S14_S18_S1A_T6_T7_T9_mT8_S1C_bDpT10_ENKUlT_T0_E_clISt17integral_constantIbLb0EES1O_IbLb1EEEEDaS1K_S1L_EUlS1K_E_NS1_11comp_targetILNS1_3genE0ELNS1_11target_archE4294967295ELNS1_3gpuE0ELNS1_3repE0EEENS1_30default_config_static_selectorELNS0_4arch9wavefront6targetE0EEEvSY_.has_recursion, 0
	.set _ZN7rocprim17ROCPRIM_400000_NS6detail17trampoline_kernelINS0_13select_configILj256ELj13ELNS0_17block_load_methodE3ELS4_3ELS4_3ELNS0_20block_scan_algorithmE0ELj4294967295EEENS1_25partition_config_selectorILNS1_17partition_subalgoE3EjNS0_10empty_typeEbEEZZNS1_14partition_implILS8_3ELb0ES6_jNS0_17counting_iteratorIjlEEPS9_SE_NS0_5tupleIJPjSE_EEENSF_IJSE_SE_EEES9_SG_JZNS1_25segmented_radix_sort_implINS0_14default_configELb1EPKbPbPKlPlN2at6native12_GLOBAL__N_18offset_tEEE10hipError_tPvRmT1_PNSt15iterator_traitsISY_E10value_typeET2_T3_PNSZ_IS14_E10value_typeET4_jRbjT5_S1A_jjP12ihipStream_tbEUljE_EEESV_SW_SX_S14_S18_S1A_T6_T7_T9_mT8_S1C_bDpT10_ENKUlT_T0_E_clISt17integral_constantIbLb0EES1O_IbLb1EEEEDaS1K_S1L_EUlS1K_E_NS1_11comp_targetILNS1_3genE0ELNS1_11target_archE4294967295ELNS1_3gpuE0ELNS1_3repE0EEENS1_30default_config_static_selectorELNS0_4arch9wavefront6targetE0EEEvSY_.has_indirect_call, 0
	.section	.AMDGPU.csdata,"",@progbits
; Kernel info:
; codeLenInByte = 0
; TotalNumSgprs: 0
; NumVgprs: 0
; ScratchSize: 0
; MemoryBound: 0
; FloatMode: 240
; IeeeMode: 1
; LDSByteSize: 0 bytes/workgroup (compile time only)
; SGPRBlocks: 0
; VGPRBlocks: 0
; NumSGPRsForWavesPerEU: 1
; NumVGPRsForWavesPerEU: 1
; Occupancy: 16
; WaveLimiterHint : 0
; COMPUTE_PGM_RSRC2:SCRATCH_EN: 0
; COMPUTE_PGM_RSRC2:USER_SGPR: 6
; COMPUTE_PGM_RSRC2:TRAP_HANDLER: 0
; COMPUTE_PGM_RSRC2:TGID_X_EN: 1
; COMPUTE_PGM_RSRC2:TGID_Y_EN: 0
; COMPUTE_PGM_RSRC2:TGID_Z_EN: 0
; COMPUTE_PGM_RSRC2:TIDIG_COMP_CNT: 0
	.section	.text._ZN7rocprim17ROCPRIM_400000_NS6detail17trampoline_kernelINS0_13select_configILj256ELj13ELNS0_17block_load_methodE3ELS4_3ELS4_3ELNS0_20block_scan_algorithmE0ELj4294967295EEENS1_25partition_config_selectorILNS1_17partition_subalgoE3EjNS0_10empty_typeEbEEZZNS1_14partition_implILS8_3ELb0ES6_jNS0_17counting_iteratorIjlEEPS9_SE_NS0_5tupleIJPjSE_EEENSF_IJSE_SE_EEES9_SG_JZNS1_25segmented_radix_sort_implINS0_14default_configELb1EPKbPbPKlPlN2at6native12_GLOBAL__N_18offset_tEEE10hipError_tPvRmT1_PNSt15iterator_traitsISY_E10value_typeET2_T3_PNSZ_IS14_E10value_typeET4_jRbjT5_S1A_jjP12ihipStream_tbEUljE_EEESV_SW_SX_S14_S18_S1A_T6_T7_T9_mT8_S1C_bDpT10_ENKUlT_T0_E_clISt17integral_constantIbLb0EES1O_IbLb1EEEEDaS1K_S1L_EUlS1K_E_NS1_11comp_targetILNS1_3genE5ELNS1_11target_archE942ELNS1_3gpuE9ELNS1_3repE0EEENS1_30default_config_static_selectorELNS0_4arch9wavefront6targetE0EEEvSY_,"axG",@progbits,_ZN7rocprim17ROCPRIM_400000_NS6detail17trampoline_kernelINS0_13select_configILj256ELj13ELNS0_17block_load_methodE3ELS4_3ELS4_3ELNS0_20block_scan_algorithmE0ELj4294967295EEENS1_25partition_config_selectorILNS1_17partition_subalgoE3EjNS0_10empty_typeEbEEZZNS1_14partition_implILS8_3ELb0ES6_jNS0_17counting_iteratorIjlEEPS9_SE_NS0_5tupleIJPjSE_EEENSF_IJSE_SE_EEES9_SG_JZNS1_25segmented_radix_sort_implINS0_14default_configELb1EPKbPbPKlPlN2at6native12_GLOBAL__N_18offset_tEEE10hipError_tPvRmT1_PNSt15iterator_traitsISY_E10value_typeET2_T3_PNSZ_IS14_E10value_typeET4_jRbjT5_S1A_jjP12ihipStream_tbEUljE_EEESV_SW_SX_S14_S18_S1A_T6_T7_T9_mT8_S1C_bDpT10_ENKUlT_T0_E_clISt17integral_constantIbLb0EES1O_IbLb1EEEEDaS1K_S1L_EUlS1K_E_NS1_11comp_targetILNS1_3genE5ELNS1_11target_archE942ELNS1_3gpuE9ELNS1_3repE0EEENS1_30default_config_static_selectorELNS0_4arch9wavefront6targetE0EEEvSY_,comdat
	.globl	_ZN7rocprim17ROCPRIM_400000_NS6detail17trampoline_kernelINS0_13select_configILj256ELj13ELNS0_17block_load_methodE3ELS4_3ELS4_3ELNS0_20block_scan_algorithmE0ELj4294967295EEENS1_25partition_config_selectorILNS1_17partition_subalgoE3EjNS0_10empty_typeEbEEZZNS1_14partition_implILS8_3ELb0ES6_jNS0_17counting_iteratorIjlEEPS9_SE_NS0_5tupleIJPjSE_EEENSF_IJSE_SE_EEES9_SG_JZNS1_25segmented_radix_sort_implINS0_14default_configELb1EPKbPbPKlPlN2at6native12_GLOBAL__N_18offset_tEEE10hipError_tPvRmT1_PNSt15iterator_traitsISY_E10value_typeET2_T3_PNSZ_IS14_E10value_typeET4_jRbjT5_S1A_jjP12ihipStream_tbEUljE_EEESV_SW_SX_S14_S18_S1A_T6_T7_T9_mT8_S1C_bDpT10_ENKUlT_T0_E_clISt17integral_constantIbLb0EES1O_IbLb1EEEEDaS1K_S1L_EUlS1K_E_NS1_11comp_targetILNS1_3genE5ELNS1_11target_archE942ELNS1_3gpuE9ELNS1_3repE0EEENS1_30default_config_static_selectorELNS0_4arch9wavefront6targetE0EEEvSY_ ; -- Begin function _ZN7rocprim17ROCPRIM_400000_NS6detail17trampoline_kernelINS0_13select_configILj256ELj13ELNS0_17block_load_methodE3ELS4_3ELS4_3ELNS0_20block_scan_algorithmE0ELj4294967295EEENS1_25partition_config_selectorILNS1_17partition_subalgoE3EjNS0_10empty_typeEbEEZZNS1_14partition_implILS8_3ELb0ES6_jNS0_17counting_iteratorIjlEEPS9_SE_NS0_5tupleIJPjSE_EEENSF_IJSE_SE_EEES9_SG_JZNS1_25segmented_radix_sort_implINS0_14default_configELb1EPKbPbPKlPlN2at6native12_GLOBAL__N_18offset_tEEE10hipError_tPvRmT1_PNSt15iterator_traitsISY_E10value_typeET2_T3_PNSZ_IS14_E10value_typeET4_jRbjT5_S1A_jjP12ihipStream_tbEUljE_EEESV_SW_SX_S14_S18_S1A_T6_T7_T9_mT8_S1C_bDpT10_ENKUlT_T0_E_clISt17integral_constantIbLb0EES1O_IbLb1EEEEDaS1K_S1L_EUlS1K_E_NS1_11comp_targetILNS1_3genE5ELNS1_11target_archE942ELNS1_3gpuE9ELNS1_3repE0EEENS1_30default_config_static_selectorELNS0_4arch9wavefront6targetE0EEEvSY_
	.p2align	8
	.type	_ZN7rocprim17ROCPRIM_400000_NS6detail17trampoline_kernelINS0_13select_configILj256ELj13ELNS0_17block_load_methodE3ELS4_3ELS4_3ELNS0_20block_scan_algorithmE0ELj4294967295EEENS1_25partition_config_selectorILNS1_17partition_subalgoE3EjNS0_10empty_typeEbEEZZNS1_14partition_implILS8_3ELb0ES6_jNS0_17counting_iteratorIjlEEPS9_SE_NS0_5tupleIJPjSE_EEENSF_IJSE_SE_EEES9_SG_JZNS1_25segmented_radix_sort_implINS0_14default_configELb1EPKbPbPKlPlN2at6native12_GLOBAL__N_18offset_tEEE10hipError_tPvRmT1_PNSt15iterator_traitsISY_E10value_typeET2_T3_PNSZ_IS14_E10value_typeET4_jRbjT5_S1A_jjP12ihipStream_tbEUljE_EEESV_SW_SX_S14_S18_S1A_T6_T7_T9_mT8_S1C_bDpT10_ENKUlT_T0_E_clISt17integral_constantIbLb0EES1O_IbLb1EEEEDaS1K_S1L_EUlS1K_E_NS1_11comp_targetILNS1_3genE5ELNS1_11target_archE942ELNS1_3gpuE9ELNS1_3repE0EEENS1_30default_config_static_selectorELNS0_4arch9wavefront6targetE0EEEvSY_,@function
_ZN7rocprim17ROCPRIM_400000_NS6detail17trampoline_kernelINS0_13select_configILj256ELj13ELNS0_17block_load_methodE3ELS4_3ELS4_3ELNS0_20block_scan_algorithmE0ELj4294967295EEENS1_25partition_config_selectorILNS1_17partition_subalgoE3EjNS0_10empty_typeEbEEZZNS1_14partition_implILS8_3ELb0ES6_jNS0_17counting_iteratorIjlEEPS9_SE_NS0_5tupleIJPjSE_EEENSF_IJSE_SE_EEES9_SG_JZNS1_25segmented_radix_sort_implINS0_14default_configELb1EPKbPbPKlPlN2at6native12_GLOBAL__N_18offset_tEEE10hipError_tPvRmT1_PNSt15iterator_traitsISY_E10value_typeET2_T3_PNSZ_IS14_E10value_typeET4_jRbjT5_S1A_jjP12ihipStream_tbEUljE_EEESV_SW_SX_S14_S18_S1A_T6_T7_T9_mT8_S1C_bDpT10_ENKUlT_T0_E_clISt17integral_constantIbLb0EES1O_IbLb1EEEEDaS1K_S1L_EUlS1K_E_NS1_11comp_targetILNS1_3genE5ELNS1_11target_archE942ELNS1_3gpuE9ELNS1_3repE0EEENS1_30default_config_static_selectorELNS0_4arch9wavefront6targetE0EEEvSY_: ; @_ZN7rocprim17ROCPRIM_400000_NS6detail17trampoline_kernelINS0_13select_configILj256ELj13ELNS0_17block_load_methodE3ELS4_3ELS4_3ELNS0_20block_scan_algorithmE0ELj4294967295EEENS1_25partition_config_selectorILNS1_17partition_subalgoE3EjNS0_10empty_typeEbEEZZNS1_14partition_implILS8_3ELb0ES6_jNS0_17counting_iteratorIjlEEPS9_SE_NS0_5tupleIJPjSE_EEENSF_IJSE_SE_EEES9_SG_JZNS1_25segmented_radix_sort_implINS0_14default_configELb1EPKbPbPKlPlN2at6native12_GLOBAL__N_18offset_tEEE10hipError_tPvRmT1_PNSt15iterator_traitsISY_E10value_typeET2_T3_PNSZ_IS14_E10value_typeET4_jRbjT5_S1A_jjP12ihipStream_tbEUljE_EEESV_SW_SX_S14_S18_S1A_T6_T7_T9_mT8_S1C_bDpT10_ENKUlT_T0_E_clISt17integral_constantIbLb0EES1O_IbLb1EEEEDaS1K_S1L_EUlS1K_E_NS1_11comp_targetILNS1_3genE5ELNS1_11target_archE942ELNS1_3gpuE9ELNS1_3repE0EEENS1_30default_config_static_selectorELNS0_4arch9wavefront6targetE0EEEvSY_
; %bb.0:
	.section	.rodata,"a",@progbits
	.p2align	6, 0x0
	.amdhsa_kernel _ZN7rocprim17ROCPRIM_400000_NS6detail17trampoline_kernelINS0_13select_configILj256ELj13ELNS0_17block_load_methodE3ELS4_3ELS4_3ELNS0_20block_scan_algorithmE0ELj4294967295EEENS1_25partition_config_selectorILNS1_17partition_subalgoE3EjNS0_10empty_typeEbEEZZNS1_14partition_implILS8_3ELb0ES6_jNS0_17counting_iteratorIjlEEPS9_SE_NS0_5tupleIJPjSE_EEENSF_IJSE_SE_EEES9_SG_JZNS1_25segmented_radix_sort_implINS0_14default_configELb1EPKbPbPKlPlN2at6native12_GLOBAL__N_18offset_tEEE10hipError_tPvRmT1_PNSt15iterator_traitsISY_E10value_typeET2_T3_PNSZ_IS14_E10value_typeET4_jRbjT5_S1A_jjP12ihipStream_tbEUljE_EEESV_SW_SX_S14_S18_S1A_T6_T7_T9_mT8_S1C_bDpT10_ENKUlT_T0_E_clISt17integral_constantIbLb0EES1O_IbLb1EEEEDaS1K_S1L_EUlS1K_E_NS1_11comp_targetILNS1_3genE5ELNS1_11target_archE942ELNS1_3gpuE9ELNS1_3repE0EEENS1_30default_config_static_selectorELNS0_4arch9wavefront6targetE0EEEvSY_
		.amdhsa_group_segment_fixed_size 0
		.amdhsa_private_segment_fixed_size 0
		.amdhsa_kernarg_size 152
		.amdhsa_user_sgpr_count 6
		.amdhsa_user_sgpr_private_segment_buffer 1
		.amdhsa_user_sgpr_dispatch_ptr 0
		.amdhsa_user_sgpr_queue_ptr 0
		.amdhsa_user_sgpr_kernarg_segment_ptr 1
		.amdhsa_user_sgpr_dispatch_id 0
		.amdhsa_user_sgpr_flat_scratch_init 0
		.amdhsa_user_sgpr_private_segment_size 0
		.amdhsa_wavefront_size32 1
		.amdhsa_uses_dynamic_stack 0
		.amdhsa_system_sgpr_private_segment_wavefront_offset 0
		.amdhsa_system_sgpr_workgroup_id_x 1
		.amdhsa_system_sgpr_workgroup_id_y 0
		.amdhsa_system_sgpr_workgroup_id_z 0
		.amdhsa_system_sgpr_workgroup_info 0
		.amdhsa_system_vgpr_workitem_id 0
		.amdhsa_next_free_vgpr 1
		.amdhsa_next_free_sgpr 1
		.amdhsa_reserve_vcc 0
		.amdhsa_reserve_flat_scratch 0
		.amdhsa_float_round_mode_32 0
		.amdhsa_float_round_mode_16_64 0
		.amdhsa_float_denorm_mode_32 3
		.amdhsa_float_denorm_mode_16_64 3
		.amdhsa_dx10_clamp 1
		.amdhsa_ieee_mode 1
		.amdhsa_fp16_overflow 0
		.amdhsa_workgroup_processor_mode 1
		.amdhsa_memory_ordered 1
		.amdhsa_forward_progress 1
		.amdhsa_shared_vgpr_count 0
		.amdhsa_exception_fp_ieee_invalid_op 0
		.amdhsa_exception_fp_denorm_src 0
		.amdhsa_exception_fp_ieee_div_zero 0
		.amdhsa_exception_fp_ieee_overflow 0
		.amdhsa_exception_fp_ieee_underflow 0
		.amdhsa_exception_fp_ieee_inexact 0
		.amdhsa_exception_int_div_zero 0
	.end_amdhsa_kernel
	.section	.text._ZN7rocprim17ROCPRIM_400000_NS6detail17trampoline_kernelINS0_13select_configILj256ELj13ELNS0_17block_load_methodE3ELS4_3ELS4_3ELNS0_20block_scan_algorithmE0ELj4294967295EEENS1_25partition_config_selectorILNS1_17partition_subalgoE3EjNS0_10empty_typeEbEEZZNS1_14partition_implILS8_3ELb0ES6_jNS0_17counting_iteratorIjlEEPS9_SE_NS0_5tupleIJPjSE_EEENSF_IJSE_SE_EEES9_SG_JZNS1_25segmented_radix_sort_implINS0_14default_configELb1EPKbPbPKlPlN2at6native12_GLOBAL__N_18offset_tEEE10hipError_tPvRmT1_PNSt15iterator_traitsISY_E10value_typeET2_T3_PNSZ_IS14_E10value_typeET4_jRbjT5_S1A_jjP12ihipStream_tbEUljE_EEESV_SW_SX_S14_S18_S1A_T6_T7_T9_mT8_S1C_bDpT10_ENKUlT_T0_E_clISt17integral_constantIbLb0EES1O_IbLb1EEEEDaS1K_S1L_EUlS1K_E_NS1_11comp_targetILNS1_3genE5ELNS1_11target_archE942ELNS1_3gpuE9ELNS1_3repE0EEENS1_30default_config_static_selectorELNS0_4arch9wavefront6targetE0EEEvSY_,"axG",@progbits,_ZN7rocprim17ROCPRIM_400000_NS6detail17trampoline_kernelINS0_13select_configILj256ELj13ELNS0_17block_load_methodE3ELS4_3ELS4_3ELNS0_20block_scan_algorithmE0ELj4294967295EEENS1_25partition_config_selectorILNS1_17partition_subalgoE3EjNS0_10empty_typeEbEEZZNS1_14partition_implILS8_3ELb0ES6_jNS0_17counting_iteratorIjlEEPS9_SE_NS0_5tupleIJPjSE_EEENSF_IJSE_SE_EEES9_SG_JZNS1_25segmented_radix_sort_implINS0_14default_configELb1EPKbPbPKlPlN2at6native12_GLOBAL__N_18offset_tEEE10hipError_tPvRmT1_PNSt15iterator_traitsISY_E10value_typeET2_T3_PNSZ_IS14_E10value_typeET4_jRbjT5_S1A_jjP12ihipStream_tbEUljE_EEESV_SW_SX_S14_S18_S1A_T6_T7_T9_mT8_S1C_bDpT10_ENKUlT_T0_E_clISt17integral_constantIbLb0EES1O_IbLb1EEEEDaS1K_S1L_EUlS1K_E_NS1_11comp_targetILNS1_3genE5ELNS1_11target_archE942ELNS1_3gpuE9ELNS1_3repE0EEENS1_30default_config_static_selectorELNS0_4arch9wavefront6targetE0EEEvSY_,comdat
.Lfunc_end1517:
	.size	_ZN7rocprim17ROCPRIM_400000_NS6detail17trampoline_kernelINS0_13select_configILj256ELj13ELNS0_17block_load_methodE3ELS4_3ELS4_3ELNS0_20block_scan_algorithmE0ELj4294967295EEENS1_25partition_config_selectorILNS1_17partition_subalgoE3EjNS0_10empty_typeEbEEZZNS1_14partition_implILS8_3ELb0ES6_jNS0_17counting_iteratorIjlEEPS9_SE_NS0_5tupleIJPjSE_EEENSF_IJSE_SE_EEES9_SG_JZNS1_25segmented_radix_sort_implINS0_14default_configELb1EPKbPbPKlPlN2at6native12_GLOBAL__N_18offset_tEEE10hipError_tPvRmT1_PNSt15iterator_traitsISY_E10value_typeET2_T3_PNSZ_IS14_E10value_typeET4_jRbjT5_S1A_jjP12ihipStream_tbEUljE_EEESV_SW_SX_S14_S18_S1A_T6_T7_T9_mT8_S1C_bDpT10_ENKUlT_T0_E_clISt17integral_constantIbLb0EES1O_IbLb1EEEEDaS1K_S1L_EUlS1K_E_NS1_11comp_targetILNS1_3genE5ELNS1_11target_archE942ELNS1_3gpuE9ELNS1_3repE0EEENS1_30default_config_static_selectorELNS0_4arch9wavefront6targetE0EEEvSY_, .Lfunc_end1517-_ZN7rocprim17ROCPRIM_400000_NS6detail17trampoline_kernelINS0_13select_configILj256ELj13ELNS0_17block_load_methodE3ELS4_3ELS4_3ELNS0_20block_scan_algorithmE0ELj4294967295EEENS1_25partition_config_selectorILNS1_17partition_subalgoE3EjNS0_10empty_typeEbEEZZNS1_14partition_implILS8_3ELb0ES6_jNS0_17counting_iteratorIjlEEPS9_SE_NS0_5tupleIJPjSE_EEENSF_IJSE_SE_EEES9_SG_JZNS1_25segmented_radix_sort_implINS0_14default_configELb1EPKbPbPKlPlN2at6native12_GLOBAL__N_18offset_tEEE10hipError_tPvRmT1_PNSt15iterator_traitsISY_E10value_typeET2_T3_PNSZ_IS14_E10value_typeET4_jRbjT5_S1A_jjP12ihipStream_tbEUljE_EEESV_SW_SX_S14_S18_S1A_T6_T7_T9_mT8_S1C_bDpT10_ENKUlT_T0_E_clISt17integral_constantIbLb0EES1O_IbLb1EEEEDaS1K_S1L_EUlS1K_E_NS1_11comp_targetILNS1_3genE5ELNS1_11target_archE942ELNS1_3gpuE9ELNS1_3repE0EEENS1_30default_config_static_selectorELNS0_4arch9wavefront6targetE0EEEvSY_
                                        ; -- End function
	.set _ZN7rocprim17ROCPRIM_400000_NS6detail17trampoline_kernelINS0_13select_configILj256ELj13ELNS0_17block_load_methodE3ELS4_3ELS4_3ELNS0_20block_scan_algorithmE0ELj4294967295EEENS1_25partition_config_selectorILNS1_17partition_subalgoE3EjNS0_10empty_typeEbEEZZNS1_14partition_implILS8_3ELb0ES6_jNS0_17counting_iteratorIjlEEPS9_SE_NS0_5tupleIJPjSE_EEENSF_IJSE_SE_EEES9_SG_JZNS1_25segmented_radix_sort_implINS0_14default_configELb1EPKbPbPKlPlN2at6native12_GLOBAL__N_18offset_tEEE10hipError_tPvRmT1_PNSt15iterator_traitsISY_E10value_typeET2_T3_PNSZ_IS14_E10value_typeET4_jRbjT5_S1A_jjP12ihipStream_tbEUljE_EEESV_SW_SX_S14_S18_S1A_T6_T7_T9_mT8_S1C_bDpT10_ENKUlT_T0_E_clISt17integral_constantIbLb0EES1O_IbLb1EEEEDaS1K_S1L_EUlS1K_E_NS1_11comp_targetILNS1_3genE5ELNS1_11target_archE942ELNS1_3gpuE9ELNS1_3repE0EEENS1_30default_config_static_selectorELNS0_4arch9wavefront6targetE0EEEvSY_.num_vgpr, 0
	.set _ZN7rocprim17ROCPRIM_400000_NS6detail17trampoline_kernelINS0_13select_configILj256ELj13ELNS0_17block_load_methodE3ELS4_3ELS4_3ELNS0_20block_scan_algorithmE0ELj4294967295EEENS1_25partition_config_selectorILNS1_17partition_subalgoE3EjNS0_10empty_typeEbEEZZNS1_14partition_implILS8_3ELb0ES6_jNS0_17counting_iteratorIjlEEPS9_SE_NS0_5tupleIJPjSE_EEENSF_IJSE_SE_EEES9_SG_JZNS1_25segmented_radix_sort_implINS0_14default_configELb1EPKbPbPKlPlN2at6native12_GLOBAL__N_18offset_tEEE10hipError_tPvRmT1_PNSt15iterator_traitsISY_E10value_typeET2_T3_PNSZ_IS14_E10value_typeET4_jRbjT5_S1A_jjP12ihipStream_tbEUljE_EEESV_SW_SX_S14_S18_S1A_T6_T7_T9_mT8_S1C_bDpT10_ENKUlT_T0_E_clISt17integral_constantIbLb0EES1O_IbLb1EEEEDaS1K_S1L_EUlS1K_E_NS1_11comp_targetILNS1_3genE5ELNS1_11target_archE942ELNS1_3gpuE9ELNS1_3repE0EEENS1_30default_config_static_selectorELNS0_4arch9wavefront6targetE0EEEvSY_.num_agpr, 0
	.set _ZN7rocprim17ROCPRIM_400000_NS6detail17trampoline_kernelINS0_13select_configILj256ELj13ELNS0_17block_load_methodE3ELS4_3ELS4_3ELNS0_20block_scan_algorithmE0ELj4294967295EEENS1_25partition_config_selectorILNS1_17partition_subalgoE3EjNS0_10empty_typeEbEEZZNS1_14partition_implILS8_3ELb0ES6_jNS0_17counting_iteratorIjlEEPS9_SE_NS0_5tupleIJPjSE_EEENSF_IJSE_SE_EEES9_SG_JZNS1_25segmented_radix_sort_implINS0_14default_configELb1EPKbPbPKlPlN2at6native12_GLOBAL__N_18offset_tEEE10hipError_tPvRmT1_PNSt15iterator_traitsISY_E10value_typeET2_T3_PNSZ_IS14_E10value_typeET4_jRbjT5_S1A_jjP12ihipStream_tbEUljE_EEESV_SW_SX_S14_S18_S1A_T6_T7_T9_mT8_S1C_bDpT10_ENKUlT_T0_E_clISt17integral_constantIbLb0EES1O_IbLb1EEEEDaS1K_S1L_EUlS1K_E_NS1_11comp_targetILNS1_3genE5ELNS1_11target_archE942ELNS1_3gpuE9ELNS1_3repE0EEENS1_30default_config_static_selectorELNS0_4arch9wavefront6targetE0EEEvSY_.numbered_sgpr, 0
	.set _ZN7rocprim17ROCPRIM_400000_NS6detail17trampoline_kernelINS0_13select_configILj256ELj13ELNS0_17block_load_methodE3ELS4_3ELS4_3ELNS0_20block_scan_algorithmE0ELj4294967295EEENS1_25partition_config_selectorILNS1_17partition_subalgoE3EjNS0_10empty_typeEbEEZZNS1_14partition_implILS8_3ELb0ES6_jNS0_17counting_iteratorIjlEEPS9_SE_NS0_5tupleIJPjSE_EEENSF_IJSE_SE_EEES9_SG_JZNS1_25segmented_radix_sort_implINS0_14default_configELb1EPKbPbPKlPlN2at6native12_GLOBAL__N_18offset_tEEE10hipError_tPvRmT1_PNSt15iterator_traitsISY_E10value_typeET2_T3_PNSZ_IS14_E10value_typeET4_jRbjT5_S1A_jjP12ihipStream_tbEUljE_EEESV_SW_SX_S14_S18_S1A_T6_T7_T9_mT8_S1C_bDpT10_ENKUlT_T0_E_clISt17integral_constantIbLb0EES1O_IbLb1EEEEDaS1K_S1L_EUlS1K_E_NS1_11comp_targetILNS1_3genE5ELNS1_11target_archE942ELNS1_3gpuE9ELNS1_3repE0EEENS1_30default_config_static_selectorELNS0_4arch9wavefront6targetE0EEEvSY_.num_named_barrier, 0
	.set _ZN7rocprim17ROCPRIM_400000_NS6detail17trampoline_kernelINS0_13select_configILj256ELj13ELNS0_17block_load_methodE3ELS4_3ELS4_3ELNS0_20block_scan_algorithmE0ELj4294967295EEENS1_25partition_config_selectorILNS1_17partition_subalgoE3EjNS0_10empty_typeEbEEZZNS1_14partition_implILS8_3ELb0ES6_jNS0_17counting_iteratorIjlEEPS9_SE_NS0_5tupleIJPjSE_EEENSF_IJSE_SE_EEES9_SG_JZNS1_25segmented_radix_sort_implINS0_14default_configELb1EPKbPbPKlPlN2at6native12_GLOBAL__N_18offset_tEEE10hipError_tPvRmT1_PNSt15iterator_traitsISY_E10value_typeET2_T3_PNSZ_IS14_E10value_typeET4_jRbjT5_S1A_jjP12ihipStream_tbEUljE_EEESV_SW_SX_S14_S18_S1A_T6_T7_T9_mT8_S1C_bDpT10_ENKUlT_T0_E_clISt17integral_constantIbLb0EES1O_IbLb1EEEEDaS1K_S1L_EUlS1K_E_NS1_11comp_targetILNS1_3genE5ELNS1_11target_archE942ELNS1_3gpuE9ELNS1_3repE0EEENS1_30default_config_static_selectorELNS0_4arch9wavefront6targetE0EEEvSY_.private_seg_size, 0
	.set _ZN7rocprim17ROCPRIM_400000_NS6detail17trampoline_kernelINS0_13select_configILj256ELj13ELNS0_17block_load_methodE3ELS4_3ELS4_3ELNS0_20block_scan_algorithmE0ELj4294967295EEENS1_25partition_config_selectorILNS1_17partition_subalgoE3EjNS0_10empty_typeEbEEZZNS1_14partition_implILS8_3ELb0ES6_jNS0_17counting_iteratorIjlEEPS9_SE_NS0_5tupleIJPjSE_EEENSF_IJSE_SE_EEES9_SG_JZNS1_25segmented_radix_sort_implINS0_14default_configELb1EPKbPbPKlPlN2at6native12_GLOBAL__N_18offset_tEEE10hipError_tPvRmT1_PNSt15iterator_traitsISY_E10value_typeET2_T3_PNSZ_IS14_E10value_typeET4_jRbjT5_S1A_jjP12ihipStream_tbEUljE_EEESV_SW_SX_S14_S18_S1A_T6_T7_T9_mT8_S1C_bDpT10_ENKUlT_T0_E_clISt17integral_constantIbLb0EES1O_IbLb1EEEEDaS1K_S1L_EUlS1K_E_NS1_11comp_targetILNS1_3genE5ELNS1_11target_archE942ELNS1_3gpuE9ELNS1_3repE0EEENS1_30default_config_static_selectorELNS0_4arch9wavefront6targetE0EEEvSY_.uses_vcc, 0
	.set _ZN7rocprim17ROCPRIM_400000_NS6detail17trampoline_kernelINS0_13select_configILj256ELj13ELNS0_17block_load_methodE3ELS4_3ELS4_3ELNS0_20block_scan_algorithmE0ELj4294967295EEENS1_25partition_config_selectorILNS1_17partition_subalgoE3EjNS0_10empty_typeEbEEZZNS1_14partition_implILS8_3ELb0ES6_jNS0_17counting_iteratorIjlEEPS9_SE_NS0_5tupleIJPjSE_EEENSF_IJSE_SE_EEES9_SG_JZNS1_25segmented_radix_sort_implINS0_14default_configELb1EPKbPbPKlPlN2at6native12_GLOBAL__N_18offset_tEEE10hipError_tPvRmT1_PNSt15iterator_traitsISY_E10value_typeET2_T3_PNSZ_IS14_E10value_typeET4_jRbjT5_S1A_jjP12ihipStream_tbEUljE_EEESV_SW_SX_S14_S18_S1A_T6_T7_T9_mT8_S1C_bDpT10_ENKUlT_T0_E_clISt17integral_constantIbLb0EES1O_IbLb1EEEEDaS1K_S1L_EUlS1K_E_NS1_11comp_targetILNS1_3genE5ELNS1_11target_archE942ELNS1_3gpuE9ELNS1_3repE0EEENS1_30default_config_static_selectorELNS0_4arch9wavefront6targetE0EEEvSY_.uses_flat_scratch, 0
	.set _ZN7rocprim17ROCPRIM_400000_NS6detail17trampoline_kernelINS0_13select_configILj256ELj13ELNS0_17block_load_methodE3ELS4_3ELS4_3ELNS0_20block_scan_algorithmE0ELj4294967295EEENS1_25partition_config_selectorILNS1_17partition_subalgoE3EjNS0_10empty_typeEbEEZZNS1_14partition_implILS8_3ELb0ES6_jNS0_17counting_iteratorIjlEEPS9_SE_NS0_5tupleIJPjSE_EEENSF_IJSE_SE_EEES9_SG_JZNS1_25segmented_radix_sort_implINS0_14default_configELb1EPKbPbPKlPlN2at6native12_GLOBAL__N_18offset_tEEE10hipError_tPvRmT1_PNSt15iterator_traitsISY_E10value_typeET2_T3_PNSZ_IS14_E10value_typeET4_jRbjT5_S1A_jjP12ihipStream_tbEUljE_EEESV_SW_SX_S14_S18_S1A_T6_T7_T9_mT8_S1C_bDpT10_ENKUlT_T0_E_clISt17integral_constantIbLb0EES1O_IbLb1EEEEDaS1K_S1L_EUlS1K_E_NS1_11comp_targetILNS1_3genE5ELNS1_11target_archE942ELNS1_3gpuE9ELNS1_3repE0EEENS1_30default_config_static_selectorELNS0_4arch9wavefront6targetE0EEEvSY_.has_dyn_sized_stack, 0
	.set _ZN7rocprim17ROCPRIM_400000_NS6detail17trampoline_kernelINS0_13select_configILj256ELj13ELNS0_17block_load_methodE3ELS4_3ELS4_3ELNS0_20block_scan_algorithmE0ELj4294967295EEENS1_25partition_config_selectorILNS1_17partition_subalgoE3EjNS0_10empty_typeEbEEZZNS1_14partition_implILS8_3ELb0ES6_jNS0_17counting_iteratorIjlEEPS9_SE_NS0_5tupleIJPjSE_EEENSF_IJSE_SE_EEES9_SG_JZNS1_25segmented_radix_sort_implINS0_14default_configELb1EPKbPbPKlPlN2at6native12_GLOBAL__N_18offset_tEEE10hipError_tPvRmT1_PNSt15iterator_traitsISY_E10value_typeET2_T3_PNSZ_IS14_E10value_typeET4_jRbjT5_S1A_jjP12ihipStream_tbEUljE_EEESV_SW_SX_S14_S18_S1A_T6_T7_T9_mT8_S1C_bDpT10_ENKUlT_T0_E_clISt17integral_constantIbLb0EES1O_IbLb1EEEEDaS1K_S1L_EUlS1K_E_NS1_11comp_targetILNS1_3genE5ELNS1_11target_archE942ELNS1_3gpuE9ELNS1_3repE0EEENS1_30default_config_static_selectorELNS0_4arch9wavefront6targetE0EEEvSY_.has_recursion, 0
	.set _ZN7rocprim17ROCPRIM_400000_NS6detail17trampoline_kernelINS0_13select_configILj256ELj13ELNS0_17block_load_methodE3ELS4_3ELS4_3ELNS0_20block_scan_algorithmE0ELj4294967295EEENS1_25partition_config_selectorILNS1_17partition_subalgoE3EjNS0_10empty_typeEbEEZZNS1_14partition_implILS8_3ELb0ES6_jNS0_17counting_iteratorIjlEEPS9_SE_NS0_5tupleIJPjSE_EEENSF_IJSE_SE_EEES9_SG_JZNS1_25segmented_radix_sort_implINS0_14default_configELb1EPKbPbPKlPlN2at6native12_GLOBAL__N_18offset_tEEE10hipError_tPvRmT1_PNSt15iterator_traitsISY_E10value_typeET2_T3_PNSZ_IS14_E10value_typeET4_jRbjT5_S1A_jjP12ihipStream_tbEUljE_EEESV_SW_SX_S14_S18_S1A_T6_T7_T9_mT8_S1C_bDpT10_ENKUlT_T0_E_clISt17integral_constantIbLb0EES1O_IbLb1EEEEDaS1K_S1L_EUlS1K_E_NS1_11comp_targetILNS1_3genE5ELNS1_11target_archE942ELNS1_3gpuE9ELNS1_3repE0EEENS1_30default_config_static_selectorELNS0_4arch9wavefront6targetE0EEEvSY_.has_indirect_call, 0
	.section	.AMDGPU.csdata,"",@progbits
; Kernel info:
; codeLenInByte = 0
; TotalNumSgprs: 0
; NumVgprs: 0
; ScratchSize: 0
; MemoryBound: 0
; FloatMode: 240
; IeeeMode: 1
; LDSByteSize: 0 bytes/workgroup (compile time only)
; SGPRBlocks: 0
; VGPRBlocks: 0
; NumSGPRsForWavesPerEU: 1
; NumVGPRsForWavesPerEU: 1
; Occupancy: 16
; WaveLimiterHint : 0
; COMPUTE_PGM_RSRC2:SCRATCH_EN: 0
; COMPUTE_PGM_RSRC2:USER_SGPR: 6
; COMPUTE_PGM_RSRC2:TRAP_HANDLER: 0
; COMPUTE_PGM_RSRC2:TGID_X_EN: 1
; COMPUTE_PGM_RSRC2:TGID_Y_EN: 0
; COMPUTE_PGM_RSRC2:TGID_Z_EN: 0
; COMPUTE_PGM_RSRC2:TIDIG_COMP_CNT: 0
	.section	.text._ZN7rocprim17ROCPRIM_400000_NS6detail17trampoline_kernelINS0_13select_configILj256ELj13ELNS0_17block_load_methodE3ELS4_3ELS4_3ELNS0_20block_scan_algorithmE0ELj4294967295EEENS1_25partition_config_selectorILNS1_17partition_subalgoE3EjNS0_10empty_typeEbEEZZNS1_14partition_implILS8_3ELb0ES6_jNS0_17counting_iteratorIjlEEPS9_SE_NS0_5tupleIJPjSE_EEENSF_IJSE_SE_EEES9_SG_JZNS1_25segmented_radix_sort_implINS0_14default_configELb1EPKbPbPKlPlN2at6native12_GLOBAL__N_18offset_tEEE10hipError_tPvRmT1_PNSt15iterator_traitsISY_E10value_typeET2_T3_PNSZ_IS14_E10value_typeET4_jRbjT5_S1A_jjP12ihipStream_tbEUljE_EEESV_SW_SX_S14_S18_S1A_T6_T7_T9_mT8_S1C_bDpT10_ENKUlT_T0_E_clISt17integral_constantIbLb0EES1O_IbLb1EEEEDaS1K_S1L_EUlS1K_E_NS1_11comp_targetILNS1_3genE4ELNS1_11target_archE910ELNS1_3gpuE8ELNS1_3repE0EEENS1_30default_config_static_selectorELNS0_4arch9wavefront6targetE0EEEvSY_,"axG",@progbits,_ZN7rocprim17ROCPRIM_400000_NS6detail17trampoline_kernelINS0_13select_configILj256ELj13ELNS0_17block_load_methodE3ELS4_3ELS4_3ELNS0_20block_scan_algorithmE0ELj4294967295EEENS1_25partition_config_selectorILNS1_17partition_subalgoE3EjNS0_10empty_typeEbEEZZNS1_14partition_implILS8_3ELb0ES6_jNS0_17counting_iteratorIjlEEPS9_SE_NS0_5tupleIJPjSE_EEENSF_IJSE_SE_EEES9_SG_JZNS1_25segmented_radix_sort_implINS0_14default_configELb1EPKbPbPKlPlN2at6native12_GLOBAL__N_18offset_tEEE10hipError_tPvRmT1_PNSt15iterator_traitsISY_E10value_typeET2_T3_PNSZ_IS14_E10value_typeET4_jRbjT5_S1A_jjP12ihipStream_tbEUljE_EEESV_SW_SX_S14_S18_S1A_T6_T7_T9_mT8_S1C_bDpT10_ENKUlT_T0_E_clISt17integral_constantIbLb0EES1O_IbLb1EEEEDaS1K_S1L_EUlS1K_E_NS1_11comp_targetILNS1_3genE4ELNS1_11target_archE910ELNS1_3gpuE8ELNS1_3repE0EEENS1_30default_config_static_selectorELNS0_4arch9wavefront6targetE0EEEvSY_,comdat
	.globl	_ZN7rocprim17ROCPRIM_400000_NS6detail17trampoline_kernelINS0_13select_configILj256ELj13ELNS0_17block_load_methodE3ELS4_3ELS4_3ELNS0_20block_scan_algorithmE0ELj4294967295EEENS1_25partition_config_selectorILNS1_17partition_subalgoE3EjNS0_10empty_typeEbEEZZNS1_14partition_implILS8_3ELb0ES6_jNS0_17counting_iteratorIjlEEPS9_SE_NS0_5tupleIJPjSE_EEENSF_IJSE_SE_EEES9_SG_JZNS1_25segmented_radix_sort_implINS0_14default_configELb1EPKbPbPKlPlN2at6native12_GLOBAL__N_18offset_tEEE10hipError_tPvRmT1_PNSt15iterator_traitsISY_E10value_typeET2_T3_PNSZ_IS14_E10value_typeET4_jRbjT5_S1A_jjP12ihipStream_tbEUljE_EEESV_SW_SX_S14_S18_S1A_T6_T7_T9_mT8_S1C_bDpT10_ENKUlT_T0_E_clISt17integral_constantIbLb0EES1O_IbLb1EEEEDaS1K_S1L_EUlS1K_E_NS1_11comp_targetILNS1_3genE4ELNS1_11target_archE910ELNS1_3gpuE8ELNS1_3repE0EEENS1_30default_config_static_selectorELNS0_4arch9wavefront6targetE0EEEvSY_ ; -- Begin function _ZN7rocprim17ROCPRIM_400000_NS6detail17trampoline_kernelINS0_13select_configILj256ELj13ELNS0_17block_load_methodE3ELS4_3ELS4_3ELNS0_20block_scan_algorithmE0ELj4294967295EEENS1_25partition_config_selectorILNS1_17partition_subalgoE3EjNS0_10empty_typeEbEEZZNS1_14partition_implILS8_3ELb0ES6_jNS0_17counting_iteratorIjlEEPS9_SE_NS0_5tupleIJPjSE_EEENSF_IJSE_SE_EEES9_SG_JZNS1_25segmented_radix_sort_implINS0_14default_configELb1EPKbPbPKlPlN2at6native12_GLOBAL__N_18offset_tEEE10hipError_tPvRmT1_PNSt15iterator_traitsISY_E10value_typeET2_T3_PNSZ_IS14_E10value_typeET4_jRbjT5_S1A_jjP12ihipStream_tbEUljE_EEESV_SW_SX_S14_S18_S1A_T6_T7_T9_mT8_S1C_bDpT10_ENKUlT_T0_E_clISt17integral_constantIbLb0EES1O_IbLb1EEEEDaS1K_S1L_EUlS1K_E_NS1_11comp_targetILNS1_3genE4ELNS1_11target_archE910ELNS1_3gpuE8ELNS1_3repE0EEENS1_30default_config_static_selectorELNS0_4arch9wavefront6targetE0EEEvSY_
	.p2align	8
	.type	_ZN7rocprim17ROCPRIM_400000_NS6detail17trampoline_kernelINS0_13select_configILj256ELj13ELNS0_17block_load_methodE3ELS4_3ELS4_3ELNS0_20block_scan_algorithmE0ELj4294967295EEENS1_25partition_config_selectorILNS1_17partition_subalgoE3EjNS0_10empty_typeEbEEZZNS1_14partition_implILS8_3ELb0ES6_jNS0_17counting_iteratorIjlEEPS9_SE_NS0_5tupleIJPjSE_EEENSF_IJSE_SE_EEES9_SG_JZNS1_25segmented_radix_sort_implINS0_14default_configELb1EPKbPbPKlPlN2at6native12_GLOBAL__N_18offset_tEEE10hipError_tPvRmT1_PNSt15iterator_traitsISY_E10value_typeET2_T3_PNSZ_IS14_E10value_typeET4_jRbjT5_S1A_jjP12ihipStream_tbEUljE_EEESV_SW_SX_S14_S18_S1A_T6_T7_T9_mT8_S1C_bDpT10_ENKUlT_T0_E_clISt17integral_constantIbLb0EES1O_IbLb1EEEEDaS1K_S1L_EUlS1K_E_NS1_11comp_targetILNS1_3genE4ELNS1_11target_archE910ELNS1_3gpuE8ELNS1_3repE0EEENS1_30default_config_static_selectorELNS0_4arch9wavefront6targetE0EEEvSY_,@function
_ZN7rocprim17ROCPRIM_400000_NS6detail17trampoline_kernelINS0_13select_configILj256ELj13ELNS0_17block_load_methodE3ELS4_3ELS4_3ELNS0_20block_scan_algorithmE0ELj4294967295EEENS1_25partition_config_selectorILNS1_17partition_subalgoE3EjNS0_10empty_typeEbEEZZNS1_14partition_implILS8_3ELb0ES6_jNS0_17counting_iteratorIjlEEPS9_SE_NS0_5tupleIJPjSE_EEENSF_IJSE_SE_EEES9_SG_JZNS1_25segmented_radix_sort_implINS0_14default_configELb1EPKbPbPKlPlN2at6native12_GLOBAL__N_18offset_tEEE10hipError_tPvRmT1_PNSt15iterator_traitsISY_E10value_typeET2_T3_PNSZ_IS14_E10value_typeET4_jRbjT5_S1A_jjP12ihipStream_tbEUljE_EEESV_SW_SX_S14_S18_S1A_T6_T7_T9_mT8_S1C_bDpT10_ENKUlT_T0_E_clISt17integral_constantIbLb0EES1O_IbLb1EEEEDaS1K_S1L_EUlS1K_E_NS1_11comp_targetILNS1_3genE4ELNS1_11target_archE910ELNS1_3gpuE8ELNS1_3repE0EEENS1_30default_config_static_selectorELNS0_4arch9wavefront6targetE0EEEvSY_: ; @_ZN7rocprim17ROCPRIM_400000_NS6detail17trampoline_kernelINS0_13select_configILj256ELj13ELNS0_17block_load_methodE3ELS4_3ELS4_3ELNS0_20block_scan_algorithmE0ELj4294967295EEENS1_25partition_config_selectorILNS1_17partition_subalgoE3EjNS0_10empty_typeEbEEZZNS1_14partition_implILS8_3ELb0ES6_jNS0_17counting_iteratorIjlEEPS9_SE_NS0_5tupleIJPjSE_EEENSF_IJSE_SE_EEES9_SG_JZNS1_25segmented_radix_sort_implINS0_14default_configELb1EPKbPbPKlPlN2at6native12_GLOBAL__N_18offset_tEEE10hipError_tPvRmT1_PNSt15iterator_traitsISY_E10value_typeET2_T3_PNSZ_IS14_E10value_typeET4_jRbjT5_S1A_jjP12ihipStream_tbEUljE_EEESV_SW_SX_S14_S18_S1A_T6_T7_T9_mT8_S1C_bDpT10_ENKUlT_T0_E_clISt17integral_constantIbLb0EES1O_IbLb1EEEEDaS1K_S1L_EUlS1K_E_NS1_11comp_targetILNS1_3genE4ELNS1_11target_archE910ELNS1_3gpuE8ELNS1_3repE0EEENS1_30default_config_static_selectorELNS0_4arch9wavefront6targetE0EEEvSY_
; %bb.0:
	.section	.rodata,"a",@progbits
	.p2align	6, 0x0
	.amdhsa_kernel _ZN7rocprim17ROCPRIM_400000_NS6detail17trampoline_kernelINS0_13select_configILj256ELj13ELNS0_17block_load_methodE3ELS4_3ELS4_3ELNS0_20block_scan_algorithmE0ELj4294967295EEENS1_25partition_config_selectorILNS1_17partition_subalgoE3EjNS0_10empty_typeEbEEZZNS1_14partition_implILS8_3ELb0ES6_jNS0_17counting_iteratorIjlEEPS9_SE_NS0_5tupleIJPjSE_EEENSF_IJSE_SE_EEES9_SG_JZNS1_25segmented_radix_sort_implINS0_14default_configELb1EPKbPbPKlPlN2at6native12_GLOBAL__N_18offset_tEEE10hipError_tPvRmT1_PNSt15iterator_traitsISY_E10value_typeET2_T3_PNSZ_IS14_E10value_typeET4_jRbjT5_S1A_jjP12ihipStream_tbEUljE_EEESV_SW_SX_S14_S18_S1A_T6_T7_T9_mT8_S1C_bDpT10_ENKUlT_T0_E_clISt17integral_constantIbLb0EES1O_IbLb1EEEEDaS1K_S1L_EUlS1K_E_NS1_11comp_targetILNS1_3genE4ELNS1_11target_archE910ELNS1_3gpuE8ELNS1_3repE0EEENS1_30default_config_static_selectorELNS0_4arch9wavefront6targetE0EEEvSY_
		.amdhsa_group_segment_fixed_size 0
		.amdhsa_private_segment_fixed_size 0
		.amdhsa_kernarg_size 152
		.amdhsa_user_sgpr_count 6
		.amdhsa_user_sgpr_private_segment_buffer 1
		.amdhsa_user_sgpr_dispatch_ptr 0
		.amdhsa_user_sgpr_queue_ptr 0
		.amdhsa_user_sgpr_kernarg_segment_ptr 1
		.amdhsa_user_sgpr_dispatch_id 0
		.amdhsa_user_sgpr_flat_scratch_init 0
		.amdhsa_user_sgpr_private_segment_size 0
		.amdhsa_wavefront_size32 1
		.amdhsa_uses_dynamic_stack 0
		.amdhsa_system_sgpr_private_segment_wavefront_offset 0
		.amdhsa_system_sgpr_workgroup_id_x 1
		.amdhsa_system_sgpr_workgroup_id_y 0
		.amdhsa_system_sgpr_workgroup_id_z 0
		.amdhsa_system_sgpr_workgroup_info 0
		.amdhsa_system_vgpr_workitem_id 0
		.amdhsa_next_free_vgpr 1
		.amdhsa_next_free_sgpr 1
		.amdhsa_reserve_vcc 0
		.amdhsa_reserve_flat_scratch 0
		.amdhsa_float_round_mode_32 0
		.amdhsa_float_round_mode_16_64 0
		.amdhsa_float_denorm_mode_32 3
		.amdhsa_float_denorm_mode_16_64 3
		.amdhsa_dx10_clamp 1
		.amdhsa_ieee_mode 1
		.amdhsa_fp16_overflow 0
		.amdhsa_workgroup_processor_mode 1
		.amdhsa_memory_ordered 1
		.amdhsa_forward_progress 1
		.amdhsa_shared_vgpr_count 0
		.amdhsa_exception_fp_ieee_invalid_op 0
		.amdhsa_exception_fp_denorm_src 0
		.amdhsa_exception_fp_ieee_div_zero 0
		.amdhsa_exception_fp_ieee_overflow 0
		.amdhsa_exception_fp_ieee_underflow 0
		.amdhsa_exception_fp_ieee_inexact 0
		.amdhsa_exception_int_div_zero 0
	.end_amdhsa_kernel
	.section	.text._ZN7rocprim17ROCPRIM_400000_NS6detail17trampoline_kernelINS0_13select_configILj256ELj13ELNS0_17block_load_methodE3ELS4_3ELS4_3ELNS0_20block_scan_algorithmE0ELj4294967295EEENS1_25partition_config_selectorILNS1_17partition_subalgoE3EjNS0_10empty_typeEbEEZZNS1_14partition_implILS8_3ELb0ES6_jNS0_17counting_iteratorIjlEEPS9_SE_NS0_5tupleIJPjSE_EEENSF_IJSE_SE_EEES9_SG_JZNS1_25segmented_radix_sort_implINS0_14default_configELb1EPKbPbPKlPlN2at6native12_GLOBAL__N_18offset_tEEE10hipError_tPvRmT1_PNSt15iterator_traitsISY_E10value_typeET2_T3_PNSZ_IS14_E10value_typeET4_jRbjT5_S1A_jjP12ihipStream_tbEUljE_EEESV_SW_SX_S14_S18_S1A_T6_T7_T9_mT8_S1C_bDpT10_ENKUlT_T0_E_clISt17integral_constantIbLb0EES1O_IbLb1EEEEDaS1K_S1L_EUlS1K_E_NS1_11comp_targetILNS1_3genE4ELNS1_11target_archE910ELNS1_3gpuE8ELNS1_3repE0EEENS1_30default_config_static_selectorELNS0_4arch9wavefront6targetE0EEEvSY_,"axG",@progbits,_ZN7rocprim17ROCPRIM_400000_NS6detail17trampoline_kernelINS0_13select_configILj256ELj13ELNS0_17block_load_methodE3ELS4_3ELS4_3ELNS0_20block_scan_algorithmE0ELj4294967295EEENS1_25partition_config_selectorILNS1_17partition_subalgoE3EjNS0_10empty_typeEbEEZZNS1_14partition_implILS8_3ELb0ES6_jNS0_17counting_iteratorIjlEEPS9_SE_NS0_5tupleIJPjSE_EEENSF_IJSE_SE_EEES9_SG_JZNS1_25segmented_radix_sort_implINS0_14default_configELb1EPKbPbPKlPlN2at6native12_GLOBAL__N_18offset_tEEE10hipError_tPvRmT1_PNSt15iterator_traitsISY_E10value_typeET2_T3_PNSZ_IS14_E10value_typeET4_jRbjT5_S1A_jjP12ihipStream_tbEUljE_EEESV_SW_SX_S14_S18_S1A_T6_T7_T9_mT8_S1C_bDpT10_ENKUlT_T0_E_clISt17integral_constantIbLb0EES1O_IbLb1EEEEDaS1K_S1L_EUlS1K_E_NS1_11comp_targetILNS1_3genE4ELNS1_11target_archE910ELNS1_3gpuE8ELNS1_3repE0EEENS1_30default_config_static_selectorELNS0_4arch9wavefront6targetE0EEEvSY_,comdat
.Lfunc_end1518:
	.size	_ZN7rocprim17ROCPRIM_400000_NS6detail17trampoline_kernelINS0_13select_configILj256ELj13ELNS0_17block_load_methodE3ELS4_3ELS4_3ELNS0_20block_scan_algorithmE0ELj4294967295EEENS1_25partition_config_selectorILNS1_17partition_subalgoE3EjNS0_10empty_typeEbEEZZNS1_14partition_implILS8_3ELb0ES6_jNS0_17counting_iteratorIjlEEPS9_SE_NS0_5tupleIJPjSE_EEENSF_IJSE_SE_EEES9_SG_JZNS1_25segmented_radix_sort_implINS0_14default_configELb1EPKbPbPKlPlN2at6native12_GLOBAL__N_18offset_tEEE10hipError_tPvRmT1_PNSt15iterator_traitsISY_E10value_typeET2_T3_PNSZ_IS14_E10value_typeET4_jRbjT5_S1A_jjP12ihipStream_tbEUljE_EEESV_SW_SX_S14_S18_S1A_T6_T7_T9_mT8_S1C_bDpT10_ENKUlT_T0_E_clISt17integral_constantIbLb0EES1O_IbLb1EEEEDaS1K_S1L_EUlS1K_E_NS1_11comp_targetILNS1_3genE4ELNS1_11target_archE910ELNS1_3gpuE8ELNS1_3repE0EEENS1_30default_config_static_selectorELNS0_4arch9wavefront6targetE0EEEvSY_, .Lfunc_end1518-_ZN7rocprim17ROCPRIM_400000_NS6detail17trampoline_kernelINS0_13select_configILj256ELj13ELNS0_17block_load_methodE3ELS4_3ELS4_3ELNS0_20block_scan_algorithmE0ELj4294967295EEENS1_25partition_config_selectorILNS1_17partition_subalgoE3EjNS0_10empty_typeEbEEZZNS1_14partition_implILS8_3ELb0ES6_jNS0_17counting_iteratorIjlEEPS9_SE_NS0_5tupleIJPjSE_EEENSF_IJSE_SE_EEES9_SG_JZNS1_25segmented_radix_sort_implINS0_14default_configELb1EPKbPbPKlPlN2at6native12_GLOBAL__N_18offset_tEEE10hipError_tPvRmT1_PNSt15iterator_traitsISY_E10value_typeET2_T3_PNSZ_IS14_E10value_typeET4_jRbjT5_S1A_jjP12ihipStream_tbEUljE_EEESV_SW_SX_S14_S18_S1A_T6_T7_T9_mT8_S1C_bDpT10_ENKUlT_T0_E_clISt17integral_constantIbLb0EES1O_IbLb1EEEEDaS1K_S1L_EUlS1K_E_NS1_11comp_targetILNS1_3genE4ELNS1_11target_archE910ELNS1_3gpuE8ELNS1_3repE0EEENS1_30default_config_static_selectorELNS0_4arch9wavefront6targetE0EEEvSY_
                                        ; -- End function
	.set _ZN7rocprim17ROCPRIM_400000_NS6detail17trampoline_kernelINS0_13select_configILj256ELj13ELNS0_17block_load_methodE3ELS4_3ELS4_3ELNS0_20block_scan_algorithmE0ELj4294967295EEENS1_25partition_config_selectorILNS1_17partition_subalgoE3EjNS0_10empty_typeEbEEZZNS1_14partition_implILS8_3ELb0ES6_jNS0_17counting_iteratorIjlEEPS9_SE_NS0_5tupleIJPjSE_EEENSF_IJSE_SE_EEES9_SG_JZNS1_25segmented_radix_sort_implINS0_14default_configELb1EPKbPbPKlPlN2at6native12_GLOBAL__N_18offset_tEEE10hipError_tPvRmT1_PNSt15iterator_traitsISY_E10value_typeET2_T3_PNSZ_IS14_E10value_typeET4_jRbjT5_S1A_jjP12ihipStream_tbEUljE_EEESV_SW_SX_S14_S18_S1A_T6_T7_T9_mT8_S1C_bDpT10_ENKUlT_T0_E_clISt17integral_constantIbLb0EES1O_IbLb1EEEEDaS1K_S1L_EUlS1K_E_NS1_11comp_targetILNS1_3genE4ELNS1_11target_archE910ELNS1_3gpuE8ELNS1_3repE0EEENS1_30default_config_static_selectorELNS0_4arch9wavefront6targetE0EEEvSY_.num_vgpr, 0
	.set _ZN7rocprim17ROCPRIM_400000_NS6detail17trampoline_kernelINS0_13select_configILj256ELj13ELNS0_17block_load_methodE3ELS4_3ELS4_3ELNS0_20block_scan_algorithmE0ELj4294967295EEENS1_25partition_config_selectorILNS1_17partition_subalgoE3EjNS0_10empty_typeEbEEZZNS1_14partition_implILS8_3ELb0ES6_jNS0_17counting_iteratorIjlEEPS9_SE_NS0_5tupleIJPjSE_EEENSF_IJSE_SE_EEES9_SG_JZNS1_25segmented_radix_sort_implINS0_14default_configELb1EPKbPbPKlPlN2at6native12_GLOBAL__N_18offset_tEEE10hipError_tPvRmT1_PNSt15iterator_traitsISY_E10value_typeET2_T3_PNSZ_IS14_E10value_typeET4_jRbjT5_S1A_jjP12ihipStream_tbEUljE_EEESV_SW_SX_S14_S18_S1A_T6_T7_T9_mT8_S1C_bDpT10_ENKUlT_T0_E_clISt17integral_constantIbLb0EES1O_IbLb1EEEEDaS1K_S1L_EUlS1K_E_NS1_11comp_targetILNS1_3genE4ELNS1_11target_archE910ELNS1_3gpuE8ELNS1_3repE0EEENS1_30default_config_static_selectorELNS0_4arch9wavefront6targetE0EEEvSY_.num_agpr, 0
	.set _ZN7rocprim17ROCPRIM_400000_NS6detail17trampoline_kernelINS0_13select_configILj256ELj13ELNS0_17block_load_methodE3ELS4_3ELS4_3ELNS0_20block_scan_algorithmE0ELj4294967295EEENS1_25partition_config_selectorILNS1_17partition_subalgoE3EjNS0_10empty_typeEbEEZZNS1_14partition_implILS8_3ELb0ES6_jNS0_17counting_iteratorIjlEEPS9_SE_NS0_5tupleIJPjSE_EEENSF_IJSE_SE_EEES9_SG_JZNS1_25segmented_radix_sort_implINS0_14default_configELb1EPKbPbPKlPlN2at6native12_GLOBAL__N_18offset_tEEE10hipError_tPvRmT1_PNSt15iterator_traitsISY_E10value_typeET2_T3_PNSZ_IS14_E10value_typeET4_jRbjT5_S1A_jjP12ihipStream_tbEUljE_EEESV_SW_SX_S14_S18_S1A_T6_T7_T9_mT8_S1C_bDpT10_ENKUlT_T0_E_clISt17integral_constantIbLb0EES1O_IbLb1EEEEDaS1K_S1L_EUlS1K_E_NS1_11comp_targetILNS1_3genE4ELNS1_11target_archE910ELNS1_3gpuE8ELNS1_3repE0EEENS1_30default_config_static_selectorELNS0_4arch9wavefront6targetE0EEEvSY_.numbered_sgpr, 0
	.set _ZN7rocprim17ROCPRIM_400000_NS6detail17trampoline_kernelINS0_13select_configILj256ELj13ELNS0_17block_load_methodE3ELS4_3ELS4_3ELNS0_20block_scan_algorithmE0ELj4294967295EEENS1_25partition_config_selectorILNS1_17partition_subalgoE3EjNS0_10empty_typeEbEEZZNS1_14partition_implILS8_3ELb0ES6_jNS0_17counting_iteratorIjlEEPS9_SE_NS0_5tupleIJPjSE_EEENSF_IJSE_SE_EEES9_SG_JZNS1_25segmented_radix_sort_implINS0_14default_configELb1EPKbPbPKlPlN2at6native12_GLOBAL__N_18offset_tEEE10hipError_tPvRmT1_PNSt15iterator_traitsISY_E10value_typeET2_T3_PNSZ_IS14_E10value_typeET4_jRbjT5_S1A_jjP12ihipStream_tbEUljE_EEESV_SW_SX_S14_S18_S1A_T6_T7_T9_mT8_S1C_bDpT10_ENKUlT_T0_E_clISt17integral_constantIbLb0EES1O_IbLb1EEEEDaS1K_S1L_EUlS1K_E_NS1_11comp_targetILNS1_3genE4ELNS1_11target_archE910ELNS1_3gpuE8ELNS1_3repE0EEENS1_30default_config_static_selectorELNS0_4arch9wavefront6targetE0EEEvSY_.num_named_barrier, 0
	.set _ZN7rocprim17ROCPRIM_400000_NS6detail17trampoline_kernelINS0_13select_configILj256ELj13ELNS0_17block_load_methodE3ELS4_3ELS4_3ELNS0_20block_scan_algorithmE0ELj4294967295EEENS1_25partition_config_selectorILNS1_17partition_subalgoE3EjNS0_10empty_typeEbEEZZNS1_14partition_implILS8_3ELb0ES6_jNS0_17counting_iteratorIjlEEPS9_SE_NS0_5tupleIJPjSE_EEENSF_IJSE_SE_EEES9_SG_JZNS1_25segmented_radix_sort_implINS0_14default_configELb1EPKbPbPKlPlN2at6native12_GLOBAL__N_18offset_tEEE10hipError_tPvRmT1_PNSt15iterator_traitsISY_E10value_typeET2_T3_PNSZ_IS14_E10value_typeET4_jRbjT5_S1A_jjP12ihipStream_tbEUljE_EEESV_SW_SX_S14_S18_S1A_T6_T7_T9_mT8_S1C_bDpT10_ENKUlT_T0_E_clISt17integral_constantIbLb0EES1O_IbLb1EEEEDaS1K_S1L_EUlS1K_E_NS1_11comp_targetILNS1_3genE4ELNS1_11target_archE910ELNS1_3gpuE8ELNS1_3repE0EEENS1_30default_config_static_selectorELNS0_4arch9wavefront6targetE0EEEvSY_.private_seg_size, 0
	.set _ZN7rocprim17ROCPRIM_400000_NS6detail17trampoline_kernelINS0_13select_configILj256ELj13ELNS0_17block_load_methodE3ELS4_3ELS4_3ELNS0_20block_scan_algorithmE0ELj4294967295EEENS1_25partition_config_selectorILNS1_17partition_subalgoE3EjNS0_10empty_typeEbEEZZNS1_14partition_implILS8_3ELb0ES6_jNS0_17counting_iteratorIjlEEPS9_SE_NS0_5tupleIJPjSE_EEENSF_IJSE_SE_EEES9_SG_JZNS1_25segmented_radix_sort_implINS0_14default_configELb1EPKbPbPKlPlN2at6native12_GLOBAL__N_18offset_tEEE10hipError_tPvRmT1_PNSt15iterator_traitsISY_E10value_typeET2_T3_PNSZ_IS14_E10value_typeET4_jRbjT5_S1A_jjP12ihipStream_tbEUljE_EEESV_SW_SX_S14_S18_S1A_T6_T7_T9_mT8_S1C_bDpT10_ENKUlT_T0_E_clISt17integral_constantIbLb0EES1O_IbLb1EEEEDaS1K_S1L_EUlS1K_E_NS1_11comp_targetILNS1_3genE4ELNS1_11target_archE910ELNS1_3gpuE8ELNS1_3repE0EEENS1_30default_config_static_selectorELNS0_4arch9wavefront6targetE0EEEvSY_.uses_vcc, 0
	.set _ZN7rocprim17ROCPRIM_400000_NS6detail17trampoline_kernelINS0_13select_configILj256ELj13ELNS0_17block_load_methodE3ELS4_3ELS4_3ELNS0_20block_scan_algorithmE0ELj4294967295EEENS1_25partition_config_selectorILNS1_17partition_subalgoE3EjNS0_10empty_typeEbEEZZNS1_14partition_implILS8_3ELb0ES6_jNS0_17counting_iteratorIjlEEPS9_SE_NS0_5tupleIJPjSE_EEENSF_IJSE_SE_EEES9_SG_JZNS1_25segmented_radix_sort_implINS0_14default_configELb1EPKbPbPKlPlN2at6native12_GLOBAL__N_18offset_tEEE10hipError_tPvRmT1_PNSt15iterator_traitsISY_E10value_typeET2_T3_PNSZ_IS14_E10value_typeET4_jRbjT5_S1A_jjP12ihipStream_tbEUljE_EEESV_SW_SX_S14_S18_S1A_T6_T7_T9_mT8_S1C_bDpT10_ENKUlT_T0_E_clISt17integral_constantIbLb0EES1O_IbLb1EEEEDaS1K_S1L_EUlS1K_E_NS1_11comp_targetILNS1_3genE4ELNS1_11target_archE910ELNS1_3gpuE8ELNS1_3repE0EEENS1_30default_config_static_selectorELNS0_4arch9wavefront6targetE0EEEvSY_.uses_flat_scratch, 0
	.set _ZN7rocprim17ROCPRIM_400000_NS6detail17trampoline_kernelINS0_13select_configILj256ELj13ELNS0_17block_load_methodE3ELS4_3ELS4_3ELNS0_20block_scan_algorithmE0ELj4294967295EEENS1_25partition_config_selectorILNS1_17partition_subalgoE3EjNS0_10empty_typeEbEEZZNS1_14partition_implILS8_3ELb0ES6_jNS0_17counting_iteratorIjlEEPS9_SE_NS0_5tupleIJPjSE_EEENSF_IJSE_SE_EEES9_SG_JZNS1_25segmented_radix_sort_implINS0_14default_configELb1EPKbPbPKlPlN2at6native12_GLOBAL__N_18offset_tEEE10hipError_tPvRmT1_PNSt15iterator_traitsISY_E10value_typeET2_T3_PNSZ_IS14_E10value_typeET4_jRbjT5_S1A_jjP12ihipStream_tbEUljE_EEESV_SW_SX_S14_S18_S1A_T6_T7_T9_mT8_S1C_bDpT10_ENKUlT_T0_E_clISt17integral_constantIbLb0EES1O_IbLb1EEEEDaS1K_S1L_EUlS1K_E_NS1_11comp_targetILNS1_3genE4ELNS1_11target_archE910ELNS1_3gpuE8ELNS1_3repE0EEENS1_30default_config_static_selectorELNS0_4arch9wavefront6targetE0EEEvSY_.has_dyn_sized_stack, 0
	.set _ZN7rocprim17ROCPRIM_400000_NS6detail17trampoline_kernelINS0_13select_configILj256ELj13ELNS0_17block_load_methodE3ELS4_3ELS4_3ELNS0_20block_scan_algorithmE0ELj4294967295EEENS1_25partition_config_selectorILNS1_17partition_subalgoE3EjNS0_10empty_typeEbEEZZNS1_14partition_implILS8_3ELb0ES6_jNS0_17counting_iteratorIjlEEPS9_SE_NS0_5tupleIJPjSE_EEENSF_IJSE_SE_EEES9_SG_JZNS1_25segmented_radix_sort_implINS0_14default_configELb1EPKbPbPKlPlN2at6native12_GLOBAL__N_18offset_tEEE10hipError_tPvRmT1_PNSt15iterator_traitsISY_E10value_typeET2_T3_PNSZ_IS14_E10value_typeET4_jRbjT5_S1A_jjP12ihipStream_tbEUljE_EEESV_SW_SX_S14_S18_S1A_T6_T7_T9_mT8_S1C_bDpT10_ENKUlT_T0_E_clISt17integral_constantIbLb0EES1O_IbLb1EEEEDaS1K_S1L_EUlS1K_E_NS1_11comp_targetILNS1_3genE4ELNS1_11target_archE910ELNS1_3gpuE8ELNS1_3repE0EEENS1_30default_config_static_selectorELNS0_4arch9wavefront6targetE0EEEvSY_.has_recursion, 0
	.set _ZN7rocprim17ROCPRIM_400000_NS6detail17trampoline_kernelINS0_13select_configILj256ELj13ELNS0_17block_load_methodE3ELS4_3ELS4_3ELNS0_20block_scan_algorithmE0ELj4294967295EEENS1_25partition_config_selectorILNS1_17partition_subalgoE3EjNS0_10empty_typeEbEEZZNS1_14partition_implILS8_3ELb0ES6_jNS0_17counting_iteratorIjlEEPS9_SE_NS0_5tupleIJPjSE_EEENSF_IJSE_SE_EEES9_SG_JZNS1_25segmented_radix_sort_implINS0_14default_configELb1EPKbPbPKlPlN2at6native12_GLOBAL__N_18offset_tEEE10hipError_tPvRmT1_PNSt15iterator_traitsISY_E10value_typeET2_T3_PNSZ_IS14_E10value_typeET4_jRbjT5_S1A_jjP12ihipStream_tbEUljE_EEESV_SW_SX_S14_S18_S1A_T6_T7_T9_mT8_S1C_bDpT10_ENKUlT_T0_E_clISt17integral_constantIbLb0EES1O_IbLb1EEEEDaS1K_S1L_EUlS1K_E_NS1_11comp_targetILNS1_3genE4ELNS1_11target_archE910ELNS1_3gpuE8ELNS1_3repE0EEENS1_30default_config_static_selectorELNS0_4arch9wavefront6targetE0EEEvSY_.has_indirect_call, 0
	.section	.AMDGPU.csdata,"",@progbits
; Kernel info:
; codeLenInByte = 0
; TotalNumSgprs: 0
; NumVgprs: 0
; ScratchSize: 0
; MemoryBound: 0
; FloatMode: 240
; IeeeMode: 1
; LDSByteSize: 0 bytes/workgroup (compile time only)
; SGPRBlocks: 0
; VGPRBlocks: 0
; NumSGPRsForWavesPerEU: 1
; NumVGPRsForWavesPerEU: 1
; Occupancy: 16
; WaveLimiterHint : 0
; COMPUTE_PGM_RSRC2:SCRATCH_EN: 0
; COMPUTE_PGM_RSRC2:USER_SGPR: 6
; COMPUTE_PGM_RSRC2:TRAP_HANDLER: 0
; COMPUTE_PGM_RSRC2:TGID_X_EN: 1
; COMPUTE_PGM_RSRC2:TGID_Y_EN: 0
; COMPUTE_PGM_RSRC2:TGID_Z_EN: 0
; COMPUTE_PGM_RSRC2:TIDIG_COMP_CNT: 0
	.section	.text._ZN7rocprim17ROCPRIM_400000_NS6detail17trampoline_kernelINS0_13select_configILj256ELj13ELNS0_17block_load_methodE3ELS4_3ELS4_3ELNS0_20block_scan_algorithmE0ELj4294967295EEENS1_25partition_config_selectorILNS1_17partition_subalgoE3EjNS0_10empty_typeEbEEZZNS1_14partition_implILS8_3ELb0ES6_jNS0_17counting_iteratorIjlEEPS9_SE_NS0_5tupleIJPjSE_EEENSF_IJSE_SE_EEES9_SG_JZNS1_25segmented_radix_sort_implINS0_14default_configELb1EPKbPbPKlPlN2at6native12_GLOBAL__N_18offset_tEEE10hipError_tPvRmT1_PNSt15iterator_traitsISY_E10value_typeET2_T3_PNSZ_IS14_E10value_typeET4_jRbjT5_S1A_jjP12ihipStream_tbEUljE_EEESV_SW_SX_S14_S18_S1A_T6_T7_T9_mT8_S1C_bDpT10_ENKUlT_T0_E_clISt17integral_constantIbLb0EES1O_IbLb1EEEEDaS1K_S1L_EUlS1K_E_NS1_11comp_targetILNS1_3genE3ELNS1_11target_archE908ELNS1_3gpuE7ELNS1_3repE0EEENS1_30default_config_static_selectorELNS0_4arch9wavefront6targetE0EEEvSY_,"axG",@progbits,_ZN7rocprim17ROCPRIM_400000_NS6detail17trampoline_kernelINS0_13select_configILj256ELj13ELNS0_17block_load_methodE3ELS4_3ELS4_3ELNS0_20block_scan_algorithmE0ELj4294967295EEENS1_25partition_config_selectorILNS1_17partition_subalgoE3EjNS0_10empty_typeEbEEZZNS1_14partition_implILS8_3ELb0ES6_jNS0_17counting_iteratorIjlEEPS9_SE_NS0_5tupleIJPjSE_EEENSF_IJSE_SE_EEES9_SG_JZNS1_25segmented_radix_sort_implINS0_14default_configELb1EPKbPbPKlPlN2at6native12_GLOBAL__N_18offset_tEEE10hipError_tPvRmT1_PNSt15iterator_traitsISY_E10value_typeET2_T3_PNSZ_IS14_E10value_typeET4_jRbjT5_S1A_jjP12ihipStream_tbEUljE_EEESV_SW_SX_S14_S18_S1A_T6_T7_T9_mT8_S1C_bDpT10_ENKUlT_T0_E_clISt17integral_constantIbLb0EES1O_IbLb1EEEEDaS1K_S1L_EUlS1K_E_NS1_11comp_targetILNS1_3genE3ELNS1_11target_archE908ELNS1_3gpuE7ELNS1_3repE0EEENS1_30default_config_static_selectorELNS0_4arch9wavefront6targetE0EEEvSY_,comdat
	.globl	_ZN7rocprim17ROCPRIM_400000_NS6detail17trampoline_kernelINS0_13select_configILj256ELj13ELNS0_17block_load_methodE3ELS4_3ELS4_3ELNS0_20block_scan_algorithmE0ELj4294967295EEENS1_25partition_config_selectorILNS1_17partition_subalgoE3EjNS0_10empty_typeEbEEZZNS1_14partition_implILS8_3ELb0ES6_jNS0_17counting_iteratorIjlEEPS9_SE_NS0_5tupleIJPjSE_EEENSF_IJSE_SE_EEES9_SG_JZNS1_25segmented_radix_sort_implINS0_14default_configELb1EPKbPbPKlPlN2at6native12_GLOBAL__N_18offset_tEEE10hipError_tPvRmT1_PNSt15iterator_traitsISY_E10value_typeET2_T3_PNSZ_IS14_E10value_typeET4_jRbjT5_S1A_jjP12ihipStream_tbEUljE_EEESV_SW_SX_S14_S18_S1A_T6_T7_T9_mT8_S1C_bDpT10_ENKUlT_T0_E_clISt17integral_constantIbLb0EES1O_IbLb1EEEEDaS1K_S1L_EUlS1K_E_NS1_11comp_targetILNS1_3genE3ELNS1_11target_archE908ELNS1_3gpuE7ELNS1_3repE0EEENS1_30default_config_static_selectorELNS0_4arch9wavefront6targetE0EEEvSY_ ; -- Begin function _ZN7rocprim17ROCPRIM_400000_NS6detail17trampoline_kernelINS0_13select_configILj256ELj13ELNS0_17block_load_methodE3ELS4_3ELS4_3ELNS0_20block_scan_algorithmE0ELj4294967295EEENS1_25partition_config_selectorILNS1_17partition_subalgoE3EjNS0_10empty_typeEbEEZZNS1_14partition_implILS8_3ELb0ES6_jNS0_17counting_iteratorIjlEEPS9_SE_NS0_5tupleIJPjSE_EEENSF_IJSE_SE_EEES9_SG_JZNS1_25segmented_radix_sort_implINS0_14default_configELb1EPKbPbPKlPlN2at6native12_GLOBAL__N_18offset_tEEE10hipError_tPvRmT1_PNSt15iterator_traitsISY_E10value_typeET2_T3_PNSZ_IS14_E10value_typeET4_jRbjT5_S1A_jjP12ihipStream_tbEUljE_EEESV_SW_SX_S14_S18_S1A_T6_T7_T9_mT8_S1C_bDpT10_ENKUlT_T0_E_clISt17integral_constantIbLb0EES1O_IbLb1EEEEDaS1K_S1L_EUlS1K_E_NS1_11comp_targetILNS1_3genE3ELNS1_11target_archE908ELNS1_3gpuE7ELNS1_3repE0EEENS1_30default_config_static_selectorELNS0_4arch9wavefront6targetE0EEEvSY_
	.p2align	8
	.type	_ZN7rocprim17ROCPRIM_400000_NS6detail17trampoline_kernelINS0_13select_configILj256ELj13ELNS0_17block_load_methodE3ELS4_3ELS4_3ELNS0_20block_scan_algorithmE0ELj4294967295EEENS1_25partition_config_selectorILNS1_17partition_subalgoE3EjNS0_10empty_typeEbEEZZNS1_14partition_implILS8_3ELb0ES6_jNS0_17counting_iteratorIjlEEPS9_SE_NS0_5tupleIJPjSE_EEENSF_IJSE_SE_EEES9_SG_JZNS1_25segmented_radix_sort_implINS0_14default_configELb1EPKbPbPKlPlN2at6native12_GLOBAL__N_18offset_tEEE10hipError_tPvRmT1_PNSt15iterator_traitsISY_E10value_typeET2_T3_PNSZ_IS14_E10value_typeET4_jRbjT5_S1A_jjP12ihipStream_tbEUljE_EEESV_SW_SX_S14_S18_S1A_T6_T7_T9_mT8_S1C_bDpT10_ENKUlT_T0_E_clISt17integral_constantIbLb0EES1O_IbLb1EEEEDaS1K_S1L_EUlS1K_E_NS1_11comp_targetILNS1_3genE3ELNS1_11target_archE908ELNS1_3gpuE7ELNS1_3repE0EEENS1_30default_config_static_selectorELNS0_4arch9wavefront6targetE0EEEvSY_,@function
_ZN7rocprim17ROCPRIM_400000_NS6detail17trampoline_kernelINS0_13select_configILj256ELj13ELNS0_17block_load_methodE3ELS4_3ELS4_3ELNS0_20block_scan_algorithmE0ELj4294967295EEENS1_25partition_config_selectorILNS1_17partition_subalgoE3EjNS0_10empty_typeEbEEZZNS1_14partition_implILS8_3ELb0ES6_jNS0_17counting_iteratorIjlEEPS9_SE_NS0_5tupleIJPjSE_EEENSF_IJSE_SE_EEES9_SG_JZNS1_25segmented_radix_sort_implINS0_14default_configELb1EPKbPbPKlPlN2at6native12_GLOBAL__N_18offset_tEEE10hipError_tPvRmT1_PNSt15iterator_traitsISY_E10value_typeET2_T3_PNSZ_IS14_E10value_typeET4_jRbjT5_S1A_jjP12ihipStream_tbEUljE_EEESV_SW_SX_S14_S18_S1A_T6_T7_T9_mT8_S1C_bDpT10_ENKUlT_T0_E_clISt17integral_constantIbLb0EES1O_IbLb1EEEEDaS1K_S1L_EUlS1K_E_NS1_11comp_targetILNS1_3genE3ELNS1_11target_archE908ELNS1_3gpuE7ELNS1_3repE0EEENS1_30default_config_static_selectorELNS0_4arch9wavefront6targetE0EEEvSY_: ; @_ZN7rocprim17ROCPRIM_400000_NS6detail17trampoline_kernelINS0_13select_configILj256ELj13ELNS0_17block_load_methodE3ELS4_3ELS4_3ELNS0_20block_scan_algorithmE0ELj4294967295EEENS1_25partition_config_selectorILNS1_17partition_subalgoE3EjNS0_10empty_typeEbEEZZNS1_14partition_implILS8_3ELb0ES6_jNS0_17counting_iteratorIjlEEPS9_SE_NS0_5tupleIJPjSE_EEENSF_IJSE_SE_EEES9_SG_JZNS1_25segmented_radix_sort_implINS0_14default_configELb1EPKbPbPKlPlN2at6native12_GLOBAL__N_18offset_tEEE10hipError_tPvRmT1_PNSt15iterator_traitsISY_E10value_typeET2_T3_PNSZ_IS14_E10value_typeET4_jRbjT5_S1A_jjP12ihipStream_tbEUljE_EEESV_SW_SX_S14_S18_S1A_T6_T7_T9_mT8_S1C_bDpT10_ENKUlT_T0_E_clISt17integral_constantIbLb0EES1O_IbLb1EEEEDaS1K_S1L_EUlS1K_E_NS1_11comp_targetILNS1_3genE3ELNS1_11target_archE908ELNS1_3gpuE7ELNS1_3repE0EEENS1_30default_config_static_selectorELNS0_4arch9wavefront6targetE0EEEvSY_
; %bb.0:
	.section	.rodata,"a",@progbits
	.p2align	6, 0x0
	.amdhsa_kernel _ZN7rocprim17ROCPRIM_400000_NS6detail17trampoline_kernelINS0_13select_configILj256ELj13ELNS0_17block_load_methodE3ELS4_3ELS4_3ELNS0_20block_scan_algorithmE0ELj4294967295EEENS1_25partition_config_selectorILNS1_17partition_subalgoE3EjNS0_10empty_typeEbEEZZNS1_14partition_implILS8_3ELb0ES6_jNS0_17counting_iteratorIjlEEPS9_SE_NS0_5tupleIJPjSE_EEENSF_IJSE_SE_EEES9_SG_JZNS1_25segmented_radix_sort_implINS0_14default_configELb1EPKbPbPKlPlN2at6native12_GLOBAL__N_18offset_tEEE10hipError_tPvRmT1_PNSt15iterator_traitsISY_E10value_typeET2_T3_PNSZ_IS14_E10value_typeET4_jRbjT5_S1A_jjP12ihipStream_tbEUljE_EEESV_SW_SX_S14_S18_S1A_T6_T7_T9_mT8_S1C_bDpT10_ENKUlT_T0_E_clISt17integral_constantIbLb0EES1O_IbLb1EEEEDaS1K_S1L_EUlS1K_E_NS1_11comp_targetILNS1_3genE3ELNS1_11target_archE908ELNS1_3gpuE7ELNS1_3repE0EEENS1_30default_config_static_selectorELNS0_4arch9wavefront6targetE0EEEvSY_
		.amdhsa_group_segment_fixed_size 0
		.amdhsa_private_segment_fixed_size 0
		.amdhsa_kernarg_size 152
		.amdhsa_user_sgpr_count 6
		.amdhsa_user_sgpr_private_segment_buffer 1
		.amdhsa_user_sgpr_dispatch_ptr 0
		.amdhsa_user_sgpr_queue_ptr 0
		.amdhsa_user_sgpr_kernarg_segment_ptr 1
		.amdhsa_user_sgpr_dispatch_id 0
		.amdhsa_user_sgpr_flat_scratch_init 0
		.amdhsa_user_sgpr_private_segment_size 0
		.amdhsa_wavefront_size32 1
		.amdhsa_uses_dynamic_stack 0
		.amdhsa_system_sgpr_private_segment_wavefront_offset 0
		.amdhsa_system_sgpr_workgroup_id_x 1
		.amdhsa_system_sgpr_workgroup_id_y 0
		.amdhsa_system_sgpr_workgroup_id_z 0
		.amdhsa_system_sgpr_workgroup_info 0
		.amdhsa_system_vgpr_workitem_id 0
		.amdhsa_next_free_vgpr 1
		.amdhsa_next_free_sgpr 1
		.amdhsa_reserve_vcc 0
		.amdhsa_reserve_flat_scratch 0
		.amdhsa_float_round_mode_32 0
		.amdhsa_float_round_mode_16_64 0
		.amdhsa_float_denorm_mode_32 3
		.amdhsa_float_denorm_mode_16_64 3
		.amdhsa_dx10_clamp 1
		.amdhsa_ieee_mode 1
		.amdhsa_fp16_overflow 0
		.amdhsa_workgroup_processor_mode 1
		.amdhsa_memory_ordered 1
		.amdhsa_forward_progress 1
		.amdhsa_shared_vgpr_count 0
		.amdhsa_exception_fp_ieee_invalid_op 0
		.amdhsa_exception_fp_denorm_src 0
		.amdhsa_exception_fp_ieee_div_zero 0
		.amdhsa_exception_fp_ieee_overflow 0
		.amdhsa_exception_fp_ieee_underflow 0
		.amdhsa_exception_fp_ieee_inexact 0
		.amdhsa_exception_int_div_zero 0
	.end_amdhsa_kernel
	.section	.text._ZN7rocprim17ROCPRIM_400000_NS6detail17trampoline_kernelINS0_13select_configILj256ELj13ELNS0_17block_load_methodE3ELS4_3ELS4_3ELNS0_20block_scan_algorithmE0ELj4294967295EEENS1_25partition_config_selectorILNS1_17partition_subalgoE3EjNS0_10empty_typeEbEEZZNS1_14partition_implILS8_3ELb0ES6_jNS0_17counting_iteratorIjlEEPS9_SE_NS0_5tupleIJPjSE_EEENSF_IJSE_SE_EEES9_SG_JZNS1_25segmented_radix_sort_implINS0_14default_configELb1EPKbPbPKlPlN2at6native12_GLOBAL__N_18offset_tEEE10hipError_tPvRmT1_PNSt15iterator_traitsISY_E10value_typeET2_T3_PNSZ_IS14_E10value_typeET4_jRbjT5_S1A_jjP12ihipStream_tbEUljE_EEESV_SW_SX_S14_S18_S1A_T6_T7_T9_mT8_S1C_bDpT10_ENKUlT_T0_E_clISt17integral_constantIbLb0EES1O_IbLb1EEEEDaS1K_S1L_EUlS1K_E_NS1_11comp_targetILNS1_3genE3ELNS1_11target_archE908ELNS1_3gpuE7ELNS1_3repE0EEENS1_30default_config_static_selectorELNS0_4arch9wavefront6targetE0EEEvSY_,"axG",@progbits,_ZN7rocprim17ROCPRIM_400000_NS6detail17trampoline_kernelINS0_13select_configILj256ELj13ELNS0_17block_load_methodE3ELS4_3ELS4_3ELNS0_20block_scan_algorithmE0ELj4294967295EEENS1_25partition_config_selectorILNS1_17partition_subalgoE3EjNS0_10empty_typeEbEEZZNS1_14partition_implILS8_3ELb0ES6_jNS0_17counting_iteratorIjlEEPS9_SE_NS0_5tupleIJPjSE_EEENSF_IJSE_SE_EEES9_SG_JZNS1_25segmented_radix_sort_implINS0_14default_configELb1EPKbPbPKlPlN2at6native12_GLOBAL__N_18offset_tEEE10hipError_tPvRmT1_PNSt15iterator_traitsISY_E10value_typeET2_T3_PNSZ_IS14_E10value_typeET4_jRbjT5_S1A_jjP12ihipStream_tbEUljE_EEESV_SW_SX_S14_S18_S1A_T6_T7_T9_mT8_S1C_bDpT10_ENKUlT_T0_E_clISt17integral_constantIbLb0EES1O_IbLb1EEEEDaS1K_S1L_EUlS1K_E_NS1_11comp_targetILNS1_3genE3ELNS1_11target_archE908ELNS1_3gpuE7ELNS1_3repE0EEENS1_30default_config_static_selectorELNS0_4arch9wavefront6targetE0EEEvSY_,comdat
.Lfunc_end1519:
	.size	_ZN7rocprim17ROCPRIM_400000_NS6detail17trampoline_kernelINS0_13select_configILj256ELj13ELNS0_17block_load_methodE3ELS4_3ELS4_3ELNS0_20block_scan_algorithmE0ELj4294967295EEENS1_25partition_config_selectorILNS1_17partition_subalgoE3EjNS0_10empty_typeEbEEZZNS1_14partition_implILS8_3ELb0ES6_jNS0_17counting_iteratorIjlEEPS9_SE_NS0_5tupleIJPjSE_EEENSF_IJSE_SE_EEES9_SG_JZNS1_25segmented_radix_sort_implINS0_14default_configELb1EPKbPbPKlPlN2at6native12_GLOBAL__N_18offset_tEEE10hipError_tPvRmT1_PNSt15iterator_traitsISY_E10value_typeET2_T3_PNSZ_IS14_E10value_typeET4_jRbjT5_S1A_jjP12ihipStream_tbEUljE_EEESV_SW_SX_S14_S18_S1A_T6_T7_T9_mT8_S1C_bDpT10_ENKUlT_T0_E_clISt17integral_constantIbLb0EES1O_IbLb1EEEEDaS1K_S1L_EUlS1K_E_NS1_11comp_targetILNS1_3genE3ELNS1_11target_archE908ELNS1_3gpuE7ELNS1_3repE0EEENS1_30default_config_static_selectorELNS0_4arch9wavefront6targetE0EEEvSY_, .Lfunc_end1519-_ZN7rocprim17ROCPRIM_400000_NS6detail17trampoline_kernelINS0_13select_configILj256ELj13ELNS0_17block_load_methodE3ELS4_3ELS4_3ELNS0_20block_scan_algorithmE0ELj4294967295EEENS1_25partition_config_selectorILNS1_17partition_subalgoE3EjNS0_10empty_typeEbEEZZNS1_14partition_implILS8_3ELb0ES6_jNS0_17counting_iteratorIjlEEPS9_SE_NS0_5tupleIJPjSE_EEENSF_IJSE_SE_EEES9_SG_JZNS1_25segmented_radix_sort_implINS0_14default_configELb1EPKbPbPKlPlN2at6native12_GLOBAL__N_18offset_tEEE10hipError_tPvRmT1_PNSt15iterator_traitsISY_E10value_typeET2_T3_PNSZ_IS14_E10value_typeET4_jRbjT5_S1A_jjP12ihipStream_tbEUljE_EEESV_SW_SX_S14_S18_S1A_T6_T7_T9_mT8_S1C_bDpT10_ENKUlT_T0_E_clISt17integral_constantIbLb0EES1O_IbLb1EEEEDaS1K_S1L_EUlS1K_E_NS1_11comp_targetILNS1_3genE3ELNS1_11target_archE908ELNS1_3gpuE7ELNS1_3repE0EEENS1_30default_config_static_selectorELNS0_4arch9wavefront6targetE0EEEvSY_
                                        ; -- End function
	.set _ZN7rocprim17ROCPRIM_400000_NS6detail17trampoline_kernelINS0_13select_configILj256ELj13ELNS0_17block_load_methodE3ELS4_3ELS4_3ELNS0_20block_scan_algorithmE0ELj4294967295EEENS1_25partition_config_selectorILNS1_17partition_subalgoE3EjNS0_10empty_typeEbEEZZNS1_14partition_implILS8_3ELb0ES6_jNS0_17counting_iteratorIjlEEPS9_SE_NS0_5tupleIJPjSE_EEENSF_IJSE_SE_EEES9_SG_JZNS1_25segmented_radix_sort_implINS0_14default_configELb1EPKbPbPKlPlN2at6native12_GLOBAL__N_18offset_tEEE10hipError_tPvRmT1_PNSt15iterator_traitsISY_E10value_typeET2_T3_PNSZ_IS14_E10value_typeET4_jRbjT5_S1A_jjP12ihipStream_tbEUljE_EEESV_SW_SX_S14_S18_S1A_T6_T7_T9_mT8_S1C_bDpT10_ENKUlT_T0_E_clISt17integral_constantIbLb0EES1O_IbLb1EEEEDaS1K_S1L_EUlS1K_E_NS1_11comp_targetILNS1_3genE3ELNS1_11target_archE908ELNS1_3gpuE7ELNS1_3repE0EEENS1_30default_config_static_selectorELNS0_4arch9wavefront6targetE0EEEvSY_.num_vgpr, 0
	.set _ZN7rocprim17ROCPRIM_400000_NS6detail17trampoline_kernelINS0_13select_configILj256ELj13ELNS0_17block_load_methodE3ELS4_3ELS4_3ELNS0_20block_scan_algorithmE0ELj4294967295EEENS1_25partition_config_selectorILNS1_17partition_subalgoE3EjNS0_10empty_typeEbEEZZNS1_14partition_implILS8_3ELb0ES6_jNS0_17counting_iteratorIjlEEPS9_SE_NS0_5tupleIJPjSE_EEENSF_IJSE_SE_EEES9_SG_JZNS1_25segmented_radix_sort_implINS0_14default_configELb1EPKbPbPKlPlN2at6native12_GLOBAL__N_18offset_tEEE10hipError_tPvRmT1_PNSt15iterator_traitsISY_E10value_typeET2_T3_PNSZ_IS14_E10value_typeET4_jRbjT5_S1A_jjP12ihipStream_tbEUljE_EEESV_SW_SX_S14_S18_S1A_T6_T7_T9_mT8_S1C_bDpT10_ENKUlT_T0_E_clISt17integral_constantIbLb0EES1O_IbLb1EEEEDaS1K_S1L_EUlS1K_E_NS1_11comp_targetILNS1_3genE3ELNS1_11target_archE908ELNS1_3gpuE7ELNS1_3repE0EEENS1_30default_config_static_selectorELNS0_4arch9wavefront6targetE0EEEvSY_.num_agpr, 0
	.set _ZN7rocprim17ROCPRIM_400000_NS6detail17trampoline_kernelINS0_13select_configILj256ELj13ELNS0_17block_load_methodE3ELS4_3ELS4_3ELNS0_20block_scan_algorithmE0ELj4294967295EEENS1_25partition_config_selectorILNS1_17partition_subalgoE3EjNS0_10empty_typeEbEEZZNS1_14partition_implILS8_3ELb0ES6_jNS0_17counting_iteratorIjlEEPS9_SE_NS0_5tupleIJPjSE_EEENSF_IJSE_SE_EEES9_SG_JZNS1_25segmented_radix_sort_implINS0_14default_configELb1EPKbPbPKlPlN2at6native12_GLOBAL__N_18offset_tEEE10hipError_tPvRmT1_PNSt15iterator_traitsISY_E10value_typeET2_T3_PNSZ_IS14_E10value_typeET4_jRbjT5_S1A_jjP12ihipStream_tbEUljE_EEESV_SW_SX_S14_S18_S1A_T6_T7_T9_mT8_S1C_bDpT10_ENKUlT_T0_E_clISt17integral_constantIbLb0EES1O_IbLb1EEEEDaS1K_S1L_EUlS1K_E_NS1_11comp_targetILNS1_3genE3ELNS1_11target_archE908ELNS1_3gpuE7ELNS1_3repE0EEENS1_30default_config_static_selectorELNS0_4arch9wavefront6targetE0EEEvSY_.numbered_sgpr, 0
	.set _ZN7rocprim17ROCPRIM_400000_NS6detail17trampoline_kernelINS0_13select_configILj256ELj13ELNS0_17block_load_methodE3ELS4_3ELS4_3ELNS0_20block_scan_algorithmE0ELj4294967295EEENS1_25partition_config_selectorILNS1_17partition_subalgoE3EjNS0_10empty_typeEbEEZZNS1_14partition_implILS8_3ELb0ES6_jNS0_17counting_iteratorIjlEEPS9_SE_NS0_5tupleIJPjSE_EEENSF_IJSE_SE_EEES9_SG_JZNS1_25segmented_radix_sort_implINS0_14default_configELb1EPKbPbPKlPlN2at6native12_GLOBAL__N_18offset_tEEE10hipError_tPvRmT1_PNSt15iterator_traitsISY_E10value_typeET2_T3_PNSZ_IS14_E10value_typeET4_jRbjT5_S1A_jjP12ihipStream_tbEUljE_EEESV_SW_SX_S14_S18_S1A_T6_T7_T9_mT8_S1C_bDpT10_ENKUlT_T0_E_clISt17integral_constantIbLb0EES1O_IbLb1EEEEDaS1K_S1L_EUlS1K_E_NS1_11comp_targetILNS1_3genE3ELNS1_11target_archE908ELNS1_3gpuE7ELNS1_3repE0EEENS1_30default_config_static_selectorELNS0_4arch9wavefront6targetE0EEEvSY_.num_named_barrier, 0
	.set _ZN7rocprim17ROCPRIM_400000_NS6detail17trampoline_kernelINS0_13select_configILj256ELj13ELNS0_17block_load_methodE3ELS4_3ELS4_3ELNS0_20block_scan_algorithmE0ELj4294967295EEENS1_25partition_config_selectorILNS1_17partition_subalgoE3EjNS0_10empty_typeEbEEZZNS1_14partition_implILS8_3ELb0ES6_jNS0_17counting_iteratorIjlEEPS9_SE_NS0_5tupleIJPjSE_EEENSF_IJSE_SE_EEES9_SG_JZNS1_25segmented_radix_sort_implINS0_14default_configELb1EPKbPbPKlPlN2at6native12_GLOBAL__N_18offset_tEEE10hipError_tPvRmT1_PNSt15iterator_traitsISY_E10value_typeET2_T3_PNSZ_IS14_E10value_typeET4_jRbjT5_S1A_jjP12ihipStream_tbEUljE_EEESV_SW_SX_S14_S18_S1A_T6_T7_T9_mT8_S1C_bDpT10_ENKUlT_T0_E_clISt17integral_constantIbLb0EES1O_IbLb1EEEEDaS1K_S1L_EUlS1K_E_NS1_11comp_targetILNS1_3genE3ELNS1_11target_archE908ELNS1_3gpuE7ELNS1_3repE0EEENS1_30default_config_static_selectorELNS0_4arch9wavefront6targetE0EEEvSY_.private_seg_size, 0
	.set _ZN7rocprim17ROCPRIM_400000_NS6detail17trampoline_kernelINS0_13select_configILj256ELj13ELNS0_17block_load_methodE3ELS4_3ELS4_3ELNS0_20block_scan_algorithmE0ELj4294967295EEENS1_25partition_config_selectorILNS1_17partition_subalgoE3EjNS0_10empty_typeEbEEZZNS1_14partition_implILS8_3ELb0ES6_jNS0_17counting_iteratorIjlEEPS9_SE_NS0_5tupleIJPjSE_EEENSF_IJSE_SE_EEES9_SG_JZNS1_25segmented_radix_sort_implINS0_14default_configELb1EPKbPbPKlPlN2at6native12_GLOBAL__N_18offset_tEEE10hipError_tPvRmT1_PNSt15iterator_traitsISY_E10value_typeET2_T3_PNSZ_IS14_E10value_typeET4_jRbjT5_S1A_jjP12ihipStream_tbEUljE_EEESV_SW_SX_S14_S18_S1A_T6_T7_T9_mT8_S1C_bDpT10_ENKUlT_T0_E_clISt17integral_constantIbLb0EES1O_IbLb1EEEEDaS1K_S1L_EUlS1K_E_NS1_11comp_targetILNS1_3genE3ELNS1_11target_archE908ELNS1_3gpuE7ELNS1_3repE0EEENS1_30default_config_static_selectorELNS0_4arch9wavefront6targetE0EEEvSY_.uses_vcc, 0
	.set _ZN7rocprim17ROCPRIM_400000_NS6detail17trampoline_kernelINS0_13select_configILj256ELj13ELNS0_17block_load_methodE3ELS4_3ELS4_3ELNS0_20block_scan_algorithmE0ELj4294967295EEENS1_25partition_config_selectorILNS1_17partition_subalgoE3EjNS0_10empty_typeEbEEZZNS1_14partition_implILS8_3ELb0ES6_jNS0_17counting_iteratorIjlEEPS9_SE_NS0_5tupleIJPjSE_EEENSF_IJSE_SE_EEES9_SG_JZNS1_25segmented_radix_sort_implINS0_14default_configELb1EPKbPbPKlPlN2at6native12_GLOBAL__N_18offset_tEEE10hipError_tPvRmT1_PNSt15iterator_traitsISY_E10value_typeET2_T3_PNSZ_IS14_E10value_typeET4_jRbjT5_S1A_jjP12ihipStream_tbEUljE_EEESV_SW_SX_S14_S18_S1A_T6_T7_T9_mT8_S1C_bDpT10_ENKUlT_T0_E_clISt17integral_constantIbLb0EES1O_IbLb1EEEEDaS1K_S1L_EUlS1K_E_NS1_11comp_targetILNS1_3genE3ELNS1_11target_archE908ELNS1_3gpuE7ELNS1_3repE0EEENS1_30default_config_static_selectorELNS0_4arch9wavefront6targetE0EEEvSY_.uses_flat_scratch, 0
	.set _ZN7rocprim17ROCPRIM_400000_NS6detail17trampoline_kernelINS0_13select_configILj256ELj13ELNS0_17block_load_methodE3ELS4_3ELS4_3ELNS0_20block_scan_algorithmE0ELj4294967295EEENS1_25partition_config_selectorILNS1_17partition_subalgoE3EjNS0_10empty_typeEbEEZZNS1_14partition_implILS8_3ELb0ES6_jNS0_17counting_iteratorIjlEEPS9_SE_NS0_5tupleIJPjSE_EEENSF_IJSE_SE_EEES9_SG_JZNS1_25segmented_radix_sort_implINS0_14default_configELb1EPKbPbPKlPlN2at6native12_GLOBAL__N_18offset_tEEE10hipError_tPvRmT1_PNSt15iterator_traitsISY_E10value_typeET2_T3_PNSZ_IS14_E10value_typeET4_jRbjT5_S1A_jjP12ihipStream_tbEUljE_EEESV_SW_SX_S14_S18_S1A_T6_T7_T9_mT8_S1C_bDpT10_ENKUlT_T0_E_clISt17integral_constantIbLb0EES1O_IbLb1EEEEDaS1K_S1L_EUlS1K_E_NS1_11comp_targetILNS1_3genE3ELNS1_11target_archE908ELNS1_3gpuE7ELNS1_3repE0EEENS1_30default_config_static_selectorELNS0_4arch9wavefront6targetE0EEEvSY_.has_dyn_sized_stack, 0
	.set _ZN7rocprim17ROCPRIM_400000_NS6detail17trampoline_kernelINS0_13select_configILj256ELj13ELNS0_17block_load_methodE3ELS4_3ELS4_3ELNS0_20block_scan_algorithmE0ELj4294967295EEENS1_25partition_config_selectorILNS1_17partition_subalgoE3EjNS0_10empty_typeEbEEZZNS1_14partition_implILS8_3ELb0ES6_jNS0_17counting_iteratorIjlEEPS9_SE_NS0_5tupleIJPjSE_EEENSF_IJSE_SE_EEES9_SG_JZNS1_25segmented_radix_sort_implINS0_14default_configELb1EPKbPbPKlPlN2at6native12_GLOBAL__N_18offset_tEEE10hipError_tPvRmT1_PNSt15iterator_traitsISY_E10value_typeET2_T3_PNSZ_IS14_E10value_typeET4_jRbjT5_S1A_jjP12ihipStream_tbEUljE_EEESV_SW_SX_S14_S18_S1A_T6_T7_T9_mT8_S1C_bDpT10_ENKUlT_T0_E_clISt17integral_constantIbLb0EES1O_IbLb1EEEEDaS1K_S1L_EUlS1K_E_NS1_11comp_targetILNS1_3genE3ELNS1_11target_archE908ELNS1_3gpuE7ELNS1_3repE0EEENS1_30default_config_static_selectorELNS0_4arch9wavefront6targetE0EEEvSY_.has_recursion, 0
	.set _ZN7rocprim17ROCPRIM_400000_NS6detail17trampoline_kernelINS0_13select_configILj256ELj13ELNS0_17block_load_methodE3ELS4_3ELS4_3ELNS0_20block_scan_algorithmE0ELj4294967295EEENS1_25partition_config_selectorILNS1_17partition_subalgoE3EjNS0_10empty_typeEbEEZZNS1_14partition_implILS8_3ELb0ES6_jNS0_17counting_iteratorIjlEEPS9_SE_NS0_5tupleIJPjSE_EEENSF_IJSE_SE_EEES9_SG_JZNS1_25segmented_radix_sort_implINS0_14default_configELb1EPKbPbPKlPlN2at6native12_GLOBAL__N_18offset_tEEE10hipError_tPvRmT1_PNSt15iterator_traitsISY_E10value_typeET2_T3_PNSZ_IS14_E10value_typeET4_jRbjT5_S1A_jjP12ihipStream_tbEUljE_EEESV_SW_SX_S14_S18_S1A_T6_T7_T9_mT8_S1C_bDpT10_ENKUlT_T0_E_clISt17integral_constantIbLb0EES1O_IbLb1EEEEDaS1K_S1L_EUlS1K_E_NS1_11comp_targetILNS1_3genE3ELNS1_11target_archE908ELNS1_3gpuE7ELNS1_3repE0EEENS1_30default_config_static_selectorELNS0_4arch9wavefront6targetE0EEEvSY_.has_indirect_call, 0
	.section	.AMDGPU.csdata,"",@progbits
; Kernel info:
; codeLenInByte = 0
; TotalNumSgprs: 0
; NumVgprs: 0
; ScratchSize: 0
; MemoryBound: 0
; FloatMode: 240
; IeeeMode: 1
; LDSByteSize: 0 bytes/workgroup (compile time only)
; SGPRBlocks: 0
; VGPRBlocks: 0
; NumSGPRsForWavesPerEU: 1
; NumVGPRsForWavesPerEU: 1
; Occupancy: 16
; WaveLimiterHint : 0
; COMPUTE_PGM_RSRC2:SCRATCH_EN: 0
; COMPUTE_PGM_RSRC2:USER_SGPR: 6
; COMPUTE_PGM_RSRC2:TRAP_HANDLER: 0
; COMPUTE_PGM_RSRC2:TGID_X_EN: 1
; COMPUTE_PGM_RSRC2:TGID_Y_EN: 0
; COMPUTE_PGM_RSRC2:TGID_Z_EN: 0
; COMPUTE_PGM_RSRC2:TIDIG_COMP_CNT: 0
	.section	.text._ZN7rocprim17ROCPRIM_400000_NS6detail17trampoline_kernelINS0_13select_configILj256ELj13ELNS0_17block_load_methodE3ELS4_3ELS4_3ELNS0_20block_scan_algorithmE0ELj4294967295EEENS1_25partition_config_selectorILNS1_17partition_subalgoE3EjNS0_10empty_typeEbEEZZNS1_14partition_implILS8_3ELb0ES6_jNS0_17counting_iteratorIjlEEPS9_SE_NS0_5tupleIJPjSE_EEENSF_IJSE_SE_EEES9_SG_JZNS1_25segmented_radix_sort_implINS0_14default_configELb1EPKbPbPKlPlN2at6native12_GLOBAL__N_18offset_tEEE10hipError_tPvRmT1_PNSt15iterator_traitsISY_E10value_typeET2_T3_PNSZ_IS14_E10value_typeET4_jRbjT5_S1A_jjP12ihipStream_tbEUljE_EEESV_SW_SX_S14_S18_S1A_T6_T7_T9_mT8_S1C_bDpT10_ENKUlT_T0_E_clISt17integral_constantIbLb0EES1O_IbLb1EEEEDaS1K_S1L_EUlS1K_E_NS1_11comp_targetILNS1_3genE2ELNS1_11target_archE906ELNS1_3gpuE6ELNS1_3repE0EEENS1_30default_config_static_selectorELNS0_4arch9wavefront6targetE0EEEvSY_,"axG",@progbits,_ZN7rocprim17ROCPRIM_400000_NS6detail17trampoline_kernelINS0_13select_configILj256ELj13ELNS0_17block_load_methodE3ELS4_3ELS4_3ELNS0_20block_scan_algorithmE0ELj4294967295EEENS1_25partition_config_selectorILNS1_17partition_subalgoE3EjNS0_10empty_typeEbEEZZNS1_14partition_implILS8_3ELb0ES6_jNS0_17counting_iteratorIjlEEPS9_SE_NS0_5tupleIJPjSE_EEENSF_IJSE_SE_EEES9_SG_JZNS1_25segmented_radix_sort_implINS0_14default_configELb1EPKbPbPKlPlN2at6native12_GLOBAL__N_18offset_tEEE10hipError_tPvRmT1_PNSt15iterator_traitsISY_E10value_typeET2_T3_PNSZ_IS14_E10value_typeET4_jRbjT5_S1A_jjP12ihipStream_tbEUljE_EEESV_SW_SX_S14_S18_S1A_T6_T7_T9_mT8_S1C_bDpT10_ENKUlT_T0_E_clISt17integral_constantIbLb0EES1O_IbLb1EEEEDaS1K_S1L_EUlS1K_E_NS1_11comp_targetILNS1_3genE2ELNS1_11target_archE906ELNS1_3gpuE6ELNS1_3repE0EEENS1_30default_config_static_selectorELNS0_4arch9wavefront6targetE0EEEvSY_,comdat
	.globl	_ZN7rocprim17ROCPRIM_400000_NS6detail17trampoline_kernelINS0_13select_configILj256ELj13ELNS0_17block_load_methodE3ELS4_3ELS4_3ELNS0_20block_scan_algorithmE0ELj4294967295EEENS1_25partition_config_selectorILNS1_17partition_subalgoE3EjNS0_10empty_typeEbEEZZNS1_14partition_implILS8_3ELb0ES6_jNS0_17counting_iteratorIjlEEPS9_SE_NS0_5tupleIJPjSE_EEENSF_IJSE_SE_EEES9_SG_JZNS1_25segmented_radix_sort_implINS0_14default_configELb1EPKbPbPKlPlN2at6native12_GLOBAL__N_18offset_tEEE10hipError_tPvRmT1_PNSt15iterator_traitsISY_E10value_typeET2_T3_PNSZ_IS14_E10value_typeET4_jRbjT5_S1A_jjP12ihipStream_tbEUljE_EEESV_SW_SX_S14_S18_S1A_T6_T7_T9_mT8_S1C_bDpT10_ENKUlT_T0_E_clISt17integral_constantIbLb0EES1O_IbLb1EEEEDaS1K_S1L_EUlS1K_E_NS1_11comp_targetILNS1_3genE2ELNS1_11target_archE906ELNS1_3gpuE6ELNS1_3repE0EEENS1_30default_config_static_selectorELNS0_4arch9wavefront6targetE0EEEvSY_ ; -- Begin function _ZN7rocprim17ROCPRIM_400000_NS6detail17trampoline_kernelINS0_13select_configILj256ELj13ELNS0_17block_load_methodE3ELS4_3ELS4_3ELNS0_20block_scan_algorithmE0ELj4294967295EEENS1_25partition_config_selectorILNS1_17partition_subalgoE3EjNS0_10empty_typeEbEEZZNS1_14partition_implILS8_3ELb0ES6_jNS0_17counting_iteratorIjlEEPS9_SE_NS0_5tupleIJPjSE_EEENSF_IJSE_SE_EEES9_SG_JZNS1_25segmented_radix_sort_implINS0_14default_configELb1EPKbPbPKlPlN2at6native12_GLOBAL__N_18offset_tEEE10hipError_tPvRmT1_PNSt15iterator_traitsISY_E10value_typeET2_T3_PNSZ_IS14_E10value_typeET4_jRbjT5_S1A_jjP12ihipStream_tbEUljE_EEESV_SW_SX_S14_S18_S1A_T6_T7_T9_mT8_S1C_bDpT10_ENKUlT_T0_E_clISt17integral_constantIbLb0EES1O_IbLb1EEEEDaS1K_S1L_EUlS1K_E_NS1_11comp_targetILNS1_3genE2ELNS1_11target_archE906ELNS1_3gpuE6ELNS1_3repE0EEENS1_30default_config_static_selectorELNS0_4arch9wavefront6targetE0EEEvSY_
	.p2align	8
	.type	_ZN7rocprim17ROCPRIM_400000_NS6detail17trampoline_kernelINS0_13select_configILj256ELj13ELNS0_17block_load_methodE3ELS4_3ELS4_3ELNS0_20block_scan_algorithmE0ELj4294967295EEENS1_25partition_config_selectorILNS1_17partition_subalgoE3EjNS0_10empty_typeEbEEZZNS1_14partition_implILS8_3ELb0ES6_jNS0_17counting_iteratorIjlEEPS9_SE_NS0_5tupleIJPjSE_EEENSF_IJSE_SE_EEES9_SG_JZNS1_25segmented_radix_sort_implINS0_14default_configELb1EPKbPbPKlPlN2at6native12_GLOBAL__N_18offset_tEEE10hipError_tPvRmT1_PNSt15iterator_traitsISY_E10value_typeET2_T3_PNSZ_IS14_E10value_typeET4_jRbjT5_S1A_jjP12ihipStream_tbEUljE_EEESV_SW_SX_S14_S18_S1A_T6_T7_T9_mT8_S1C_bDpT10_ENKUlT_T0_E_clISt17integral_constantIbLb0EES1O_IbLb1EEEEDaS1K_S1L_EUlS1K_E_NS1_11comp_targetILNS1_3genE2ELNS1_11target_archE906ELNS1_3gpuE6ELNS1_3repE0EEENS1_30default_config_static_selectorELNS0_4arch9wavefront6targetE0EEEvSY_,@function
_ZN7rocprim17ROCPRIM_400000_NS6detail17trampoline_kernelINS0_13select_configILj256ELj13ELNS0_17block_load_methodE3ELS4_3ELS4_3ELNS0_20block_scan_algorithmE0ELj4294967295EEENS1_25partition_config_selectorILNS1_17partition_subalgoE3EjNS0_10empty_typeEbEEZZNS1_14partition_implILS8_3ELb0ES6_jNS0_17counting_iteratorIjlEEPS9_SE_NS0_5tupleIJPjSE_EEENSF_IJSE_SE_EEES9_SG_JZNS1_25segmented_radix_sort_implINS0_14default_configELb1EPKbPbPKlPlN2at6native12_GLOBAL__N_18offset_tEEE10hipError_tPvRmT1_PNSt15iterator_traitsISY_E10value_typeET2_T3_PNSZ_IS14_E10value_typeET4_jRbjT5_S1A_jjP12ihipStream_tbEUljE_EEESV_SW_SX_S14_S18_S1A_T6_T7_T9_mT8_S1C_bDpT10_ENKUlT_T0_E_clISt17integral_constantIbLb0EES1O_IbLb1EEEEDaS1K_S1L_EUlS1K_E_NS1_11comp_targetILNS1_3genE2ELNS1_11target_archE906ELNS1_3gpuE6ELNS1_3repE0EEENS1_30default_config_static_selectorELNS0_4arch9wavefront6targetE0EEEvSY_: ; @_ZN7rocprim17ROCPRIM_400000_NS6detail17trampoline_kernelINS0_13select_configILj256ELj13ELNS0_17block_load_methodE3ELS4_3ELS4_3ELNS0_20block_scan_algorithmE0ELj4294967295EEENS1_25partition_config_selectorILNS1_17partition_subalgoE3EjNS0_10empty_typeEbEEZZNS1_14partition_implILS8_3ELb0ES6_jNS0_17counting_iteratorIjlEEPS9_SE_NS0_5tupleIJPjSE_EEENSF_IJSE_SE_EEES9_SG_JZNS1_25segmented_radix_sort_implINS0_14default_configELb1EPKbPbPKlPlN2at6native12_GLOBAL__N_18offset_tEEE10hipError_tPvRmT1_PNSt15iterator_traitsISY_E10value_typeET2_T3_PNSZ_IS14_E10value_typeET4_jRbjT5_S1A_jjP12ihipStream_tbEUljE_EEESV_SW_SX_S14_S18_S1A_T6_T7_T9_mT8_S1C_bDpT10_ENKUlT_T0_E_clISt17integral_constantIbLb0EES1O_IbLb1EEEEDaS1K_S1L_EUlS1K_E_NS1_11comp_targetILNS1_3genE2ELNS1_11target_archE906ELNS1_3gpuE6ELNS1_3repE0EEENS1_30default_config_static_selectorELNS0_4arch9wavefront6targetE0EEEvSY_
; %bb.0:
	.section	.rodata,"a",@progbits
	.p2align	6, 0x0
	.amdhsa_kernel _ZN7rocprim17ROCPRIM_400000_NS6detail17trampoline_kernelINS0_13select_configILj256ELj13ELNS0_17block_load_methodE3ELS4_3ELS4_3ELNS0_20block_scan_algorithmE0ELj4294967295EEENS1_25partition_config_selectorILNS1_17partition_subalgoE3EjNS0_10empty_typeEbEEZZNS1_14partition_implILS8_3ELb0ES6_jNS0_17counting_iteratorIjlEEPS9_SE_NS0_5tupleIJPjSE_EEENSF_IJSE_SE_EEES9_SG_JZNS1_25segmented_radix_sort_implINS0_14default_configELb1EPKbPbPKlPlN2at6native12_GLOBAL__N_18offset_tEEE10hipError_tPvRmT1_PNSt15iterator_traitsISY_E10value_typeET2_T3_PNSZ_IS14_E10value_typeET4_jRbjT5_S1A_jjP12ihipStream_tbEUljE_EEESV_SW_SX_S14_S18_S1A_T6_T7_T9_mT8_S1C_bDpT10_ENKUlT_T0_E_clISt17integral_constantIbLb0EES1O_IbLb1EEEEDaS1K_S1L_EUlS1K_E_NS1_11comp_targetILNS1_3genE2ELNS1_11target_archE906ELNS1_3gpuE6ELNS1_3repE0EEENS1_30default_config_static_selectorELNS0_4arch9wavefront6targetE0EEEvSY_
		.amdhsa_group_segment_fixed_size 0
		.amdhsa_private_segment_fixed_size 0
		.amdhsa_kernarg_size 152
		.amdhsa_user_sgpr_count 6
		.amdhsa_user_sgpr_private_segment_buffer 1
		.amdhsa_user_sgpr_dispatch_ptr 0
		.amdhsa_user_sgpr_queue_ptr 0
		.amdhsa_user_sgpr_kernarg_segment_ptr 1
		.amdhsa_user_sgpr_dispatch_id 0
		.amdhsa_user_sgpr_flat_scratch_init 0
		.amdhsa_user_sgpr_private_segment_size 0
		.amdhsa_wavefront_size32 1
		.amdhsa_uses_dynamic_stack 0
		.amdhsa_system_sgpr_private_segment_wavefront_offset 0
		.amdhsa_system_sgpr_workgroup_id_x 1
		.amdhsa_system_sgpr_workgroup_id_y 0
		.amdhsa_system_sgpr_workgroup_id_z 0
		.amdhsa_system_sgpr_workgroup_info 0
		.amdhsa_system_vgpr_workitem_id 0
		.amdhsa_next_free_vgpr 1
		.amdhsa_next_free_sgpr 1
		.amdhsa_reserve_vcc 0
		.amdhsa_reserve_flat_scratch 0
		.amdhsa_float_round_mode_32 0
		.amdhsa_float_round_mode_16_64 0
		.amdhsa_float_denorm_mode_32 3
		.amdhsa_float_denorm_mode_16_64 3
		.amdhsa_dx10_clamp 1
		.amdhsa_ieee_mode 1
		.amdhsa_fp16_overflow 0
		.amdhsa_workgroup_processor_mode 1
		.amdhsa_memory_ordered 1
		.amdhsa_forward_progress 1
		.amdhsa_shared_vgpr_count 0
		.amdhsa_exception_fp_ieee_invalid_op 0
		.amdhsa_exception_fp_denorm_src 0
		.amdhsa_exception_fp_ieee_div_zero 0
		.amdhsa_exception_fp_ieee_overflow 0
		.amdhsa_exception_fp_ieee_underflow 0
		.amdhsa_exception_fp_ieee_inexact 0
		.amdhsa_exception_int_div_zero 0
	.end_amdhsa_kernel
	.section	.text._ZN7rocprim17ROCPRIM_400000_NS6detail17trampoline_kernelINS0_13select_configILj256ELj13ELNS0_17block_load_methodE3ELS4_3ELS4_3ELNS0_20block_scan_algorithmE0ELj4294967295EEENS1_25partition_config_selectorILNS1_17partition_subalgoE3EjNS0_10empty_typeEbEEZZNS1_14partition_implILS8_3ELb0ES6_jNS0_17counting_iteratorIjlEEPS9_SE_NS0_5tupleIJPjSE_EEENSF_IJSE_SE_EEES9_SG_JZNS1_25segmented_radix_sort_implINS0_14default_configELb1EPKbPbPKlPlN2at6native12_GLOBAL__N_18offset_tEEE10hipError_tPvRmT1_PNSt15iterator_traitsISY_E10value_typeET2_T3_PNSZ_IS14_E10value_typeET4_jRbjT5_S1A_jjP12ihipStream_tbEUljE_EEESV_SW_SX_S14_S18_S1A_T6_T7_T9_mT8_S1C_bDpT10_ENKUlT_T0_E_clISt17integral_constantIbLb0EES1O_IbLb1EEEEDaS1K_S1L_EUlS1K_E_NS1_11comp_targetILNS1_3genE2ELNS1_11target_archE906ELNS1_3gpuE6ELNS1_3repE0EEENS1_30default_config_static_selectorELNS0_4arch9wavefront6targetE0EEEvSY_,"axG",@progbits,_ZN7rocprim17ROCPRIM_400000_NS6detail17trampoline_kernelINS0_13select_configILj256ELj13ELNS0_17block_load_methodE3ELS4_3ELS4_3ELNS0_20block_scan_algorithmE0ELj4294967295EEENS1_25partition_config_selectorILNS1_17partition_subalgoE3EjNS0_10empty_typeEbEEZZNS1_14partition_implILS8_3ELb0ES6_jNS0_17counting_iteratorIjlEEPS9_SE_NS0_5tupleIJPjSE_EEENSF_IJSE_SE_EEES9_SG_JZNS1_25segmented_radix_sort_implINS0_14default_configELb1EPKbPbPKlPlN2at6native12_GLOBAL__N_18offset_tEEE10hipError_tPvRmT1_PNSt15iterator_traitsISY_E10value_typeET2_T3_PNSZ_IS14_E10value_typeET4_jRbjT5_S1A_jjP12ihipStream_tbEUljE_EEESV_SW_SX_S14_S18_S1A_T6_T7_T9_mT8_S1C_bDpT10_ENKUlT_T0_E_clISt17integral_constantIbLb0EES1O_IbLb1EEEEDaS1K_S1L_EUlS1K_E_NS1_11comp_targetILNS1_3genE2ELNS1_11target_archE906ELNS1_3gpuE6ELNS1_3repE0EEENS1_30default_config_static_selectorELNS0_4arch9wavefront6targetE0EEEvSY_,comdat
.Lfunc_end1520:
	.size	_ZN7rocprim17ROCPRIM_400000_NS6detail17trampoline_kernelINS0_13select_configILj256ELj13ELNS0_17block_load_methodE3ELS4_3ELS4_3ELNS0_20block_scan_algorithmE0ELj4294967295EEENS1_25partition_config_selectorILNS1_17partition_subalgoE3EjNS0_10empty_typeEbEEZZNS1_14partition_implILS8_3ELb0ES6_jNS0_17counting_iteratorIjlEEPS9_SE_NS0_5tupleIJPjSE_EEENSF_IJSE_SE_EEES9_SG_JZNS1_25segmented_radix_sort_implINS0_14default_configELb1EPKbPbPKlPlN2at6native12_GLOBAL__N_18offset_tEEE10hipError_tPvRmT1_PNSt15iterator_traitsISY_E10value_typeET2_T3_PNSZ_IS14_E10value_typeET4_jRbjT5_S1A_jjP12ihipStream_tbEUljE_EEESV_SW_SX_S14_S18_S1A_T6_T7_T9_mT8_S1C_bDpT10_ENKUlT_T0_E_clISt17integral_constantIbLb0EES1O_IbLb1EEEEDaS1K_S1L_EUlS1K_E_NS1_11comp_targetILNS1_3genE2ELNS1_11target_archE906ELNS1_3gpuE6ELNS1_3repE0EEENS1_30default_config_static_selectorELNS0_4arch9wavefront6targetE0EEEvSY_, .Lfunc_end1520-_ZN7rocprim17ROCPRIM_400000_NS6detail17trampoline_kernelINS0_13select_configILj256ELj13ELNS0_17block_load_methodE3ELS4_3ELS4_3ELNS0_20block_scan_algorithmE0ELj4294967295EEENS1_25partition_config_selectorILNS1_17partition_subalgoE3EjNS0_10empty_typeEbEEZZNS1_14partition_implILS8_3ELb0ES6_jNS0_17counting_iteratorIjlEEPS9_SE_NS0_5tupleIJPjSE_EEENSF_IJSE_SE_EEES9_SG_JZNS1_25segmented_radix_sort_implINS0_14default_configELb1EPKbPbPKlPlN2at6native12_GLOBAL__N_18offset_tEEE10hipError_tPvRmT1_PNSt15iterator_traitsISY_E10value_typeET2_T3_PNSZ_IS14_E10value_typeET4_jRbjT5_S1A_jjP12ihipStream_tbEUljE_EEESV_SW_SX_S14_S18_S1A_T6_T7_T9_mT8_S1C_bDpT10_ENKUlT_T0_E_clISt17integral_constantIbLb0EES1O_IbLb1EEEEDaS1K_S1L_EUlS1K_E_NS1_11comp_targetILNS1_3genE2ELNS1_11target_archE906ELNS1_3gpuE6ELNS1_3repE0EEENS1_30default_config_static_selectorELNS0_4arch9wavefront6targetE0EEEvSY_
                                        ; -- End function
	.set _ZN7rocprim17ROCPRIM_400000_NS6detail17trampoline_kernelINS0_13select_configILj256ELj13ELNS0_17block_load_methodE3ELS4_3ELS4_3ELNS0_20block_scan_algorithmE0ELj4294967295EEENS1_25partition_config_selectorILNS1_17partition_subalgoE3EjNS0_10empty_typeEbEEZZNS1_14partition_implILS8_3ELb0ES6_jNS0_17counting_iteratorIjlEEPS9_SE_NS0_5tupleIJPjSE_EEENSF_IJSE_SE_EEES9_SG_JZNS1_25segmented_radix_sort_implINS0_14default_configELb1EPKbPbPKlPlN2at6native12_GLOBAL__N_18offset_tEEE10hipError_tPvRmT1_PNSt15iterator_traitsISY_E10value_typeET2_T3_PNSZ_IS14_E10value_typeET4_jRbjT5_S1A_jjP12ihipStream_tbEUljE_EEESV_SW_SX_S14_S18_S1A_T6_T7_T9_mT8_S1C_bDpT10_ENKUlT_T0_E_clISt17integral_constantIbLb0EES1O_IbLb1EEEEDaS1K_S1L_EUlS1K_E_NS1_11comp_targetILNS1_3genE2ELNS1_11target_archE906ELNS1_3gpuE6ELNS1_3repE0EEENS1_30default_config_static_selectorELNS0_4arch9wavefront6targetE0EEEvSY_.num_vgpr, 0
	.set _ZN7rocprim17ROCPRIM_400000_NS6detail17trampoline_kernelINS0_13select_configILj256ELj13ELNS0_17block_load_methodE3ELS4_3ELS4_3ELNS0_20block_scan_algorithmE0ELj4294967295EEENS1_25partition_config_selectorILNS1_17partition_subalgoE3EjNS0_10empty_typeEbEEZZNS1_14partition_implILS8_3ELb0ES6_jNS0_17counting_iteratorIjlEEPS9_SE_NS0_5tupleIJPjSE_EEENSF_IJSE_SE_EEES9_SG_JZNS1_25segmented_radix_sort_implINS0_14default_configELb1EPKbPbPKlPlN2at6native12_GLOBAL__N_18offset_tEEE10hipError_tPvRmT1_PNSt15iterator_traitsISY_E10value_typeET2_T3_PNSZ_IS14_E10value_typeET4_jRbjT5_S1A_jjP12ihipStream_tbEUljE_EEESV_SW_SX_S14_S18_S1A_T6_T7_T9_mT8_S1C_bDpT10_ENKUlT_T0_E_clISt17integral_constantIbLb0EES1O_IbLb1EEEEDaS1K_S1L_EUlS1K_E_NS1_11comp_targetILNS1_3genE2ELNS1_11target_archE906ELNS1_3gpuE6ELNS1_3repE0EEENS1_30default_config_static_selectorELNS0_4arch9wavefront6targetE0EEEvSY_.num_agpr, 0
	.set _ZN7rocprim17ROCPRIM_400000_NS6detail17trampoline_kernelINS0_13select_configILj256ELj13ELNS0_17block_load_methodE3ELS4_3ELS4_3ELNS0_20block_scan_algorithmE0ELj4294967295EEENS1_25partition_config_selectorILNS1_17partition_subalgoE3EjNS0_10empty_typeEbEEZZNS1_14partition_implILS8_3ELb0ES6_jNS0_17counting_iteratorIjlEEPS9_SE_NS0_5tupleIJPjSE_EEENSF_IJSE_SE_EEES9_SG_JZNS1_25segmented_radix_sort_implINS0_14default_configELb1EPKbPbPKlPlN2at6native12_GLOBAL__N_18offset_tEEE10hipError_tPvRmT1_PNSt15iterator_traitsISY_E10value_typeET2_T3_PNSZ_IS14_E10value_typeET4_jRbjT5_S1A_jjP12ihipStream_tbEUljE_EEESV_SW_SX_S14_S18_S1A_T6_T7_T9_mT8_S1C_bDpT10_ENKUlT_T0_E_clISt17integral_constantIbLb0EES1O_IbLb1EEEEDaS1K_S1L_EUlS1K_E_NS1_11comp_targetILNS1_3genE2ELNS1_11target_archE906ELNS1_3gpuE6ELNS1_3repE0EEENS1_30default_config_static_selectorELNS0_4arch9wavefront6targetE0EEEvSY_.numbered_sgpr, 0
	.set _ZN7rocprim17ROCPRIM_400000_NS6detail17trampoline_kernelINS0_13select_configILj256ELj13ELNS0_17block_load_methodE3ELS4_3ELS4_3ELNS0_20block_scan_algorithmE0ELj4294967295EEENS1_25partition_config_selectorILNS1_17partition_subalgoE3EjNS0_10empty_typeEbEEZZNS1_14partition_implILS8_3ELb0ES6_jNS0_17counting_iteratorIjlEEPS9_SE_NS0_5tupleIJPjSE_EEENSF_IJSE_SE_EEES9_SG_JZNS1_25segmented_radix_sort_implINS0_14default_configELb1EPKbPbPKlPlN2at6native12_GLOBAL__N_18offset_tEEE10hipError_tPvRmT1_PNSt15iterator_traitsISY_E10value_typeET2_T3_PNSZ_IS14_E10value_typeET4_jRbjT5_S1A_jjP12ihipStream_tbEUljE_EEESV_SW_SX_S14_S18_S1A_T6_T7_T9_mT8_S1C_bDpT10_ENKUlT_T0_E_clISt17integral_constantIbLb0EES1O_IbLb1EEEEDaS1K_S1L_EUlS1K_E_NS1_11comp_targetILNS1_3genE2ELNS1_11target_archE906ELNS1_3gpuE6ELNS1_3repE0EEENS1_30default_config_static_selectorELNS0_4arch9wavefront6targetE0EEEvSY_.num_named_barrier, 0
	.set _ZN7rocprim17ROCPRIM_400000_NS6detail17trampoline_kernelINS0_13select_configILj256ELj13ELNS0_17block_load_methodE3ELS4_3ELS4_3ELNS0_20block_scan_algorithmE0ELj4294967295EEENS1_25partition_config_selectorILNS1_17partition_subalgoE3EjNS0_10empty_typeEbEEZZNS1_14partition_implILS8_3ELb0ES6_jNS0_17counting_iteratorIjlEEPS9_SE_NS0_5tupleIJPjSE_EEENSF_IJSE_SE_EEES9_SG_JZNS1_25segmented_radix_sort_implINS0_14default_configELb1EPKbPbPKlPlN2at6native12_GLOBAL__N_18offset_tEEE10hipError_tPvRmT1_PNSt15iterator_traitsISY_E10value_typeET2_T3_PNSZ_IS14_E10value_typeET4_jRbjT5_S1A_jjP12ihipStream_tbEUljE_EEESV_SW_SX_S14_S18_S1A_T6_T7_T9_mT8_S1C_bDpT10_ENKUlT_T0_E_clISt17integral_constantIbLb0EES1O_IbLb1EEEEDaS1K_S1L_EUlS1K_E_NS1_11comp_targetILNS1_3genE2ELNS1_11target_archE906ELNS1_3gpuE6ELNS1_3repE0EEENS1_30default_config_static_selectorELNS0_4arch9wavefront6targetE0EEEvSY_.private_seg_size, 0
	.set _ZN7rocprim17ROCPRIM_400000_NS6detail17trampoline_kernelINS0_13select_configILj256ELj13ELNS0_17block_load_methodE3ELS4_3ELS4_3ELNS0_20block_scan_algorithmE0ELj4294967295EEENS1_25partition_config_selectorILNS1_17partition_subalgoE3EjNS0_10empty_typeEbEEZZNS1_14partition_implILS8_3ELb0ES6_jNS0_17counting_iteratorIjlEEPS9_SE_NS0_5tupleIJPjSE_EEENSF_IJSE_SE_EEES9_SG_JZNS1_25segmented_radix_sort_implINS0_14default_configELb1EPKbPbPKlPlN2at6native12_GLOBAL__N_18offset_tEEE10hipError_tPvRmT1_PNSt15iterator_traitsISY_E10value_typeET2_T3_PNSZ_IS14_E10value_typeET4_jRbjT5_S1A_jjP12ihipStream_tbEUljE_EEESV_SW_SX_S14_S18_S1A_T6_T7_T9_mT8_S1C_bDpT10_ENKUlT_T0_E_clISt17integral_constantIbLb0EES1O_IbLb1EEEEDaS1K_S1L_EUlS1K_E_NS1_11comp_targetILNS1_3genE2ELNS1_11target_archE906ELNS1_3gpuE6ELNS1_3repE0EEENS1_30default_config_static_selectorELNS0_4arch9wavefront6targetE0EEEvSY_.uses_vcc, 0
	.set _ZN7rocprim17ROCPRIM_400000_NS6detail17trampoline_kernelINS0_13select_configILj256ELj13ELNS0_17block_load_methodE3ELS4_3ELS4_3ELNS0_20block_scan_algorithmE0ELj4294967295EEENS1_25partition_config_selectorILNS1_17partition_subalgoE3EjNS0_10empty_typeEbEEZZNS1_14partition_implILS8_3ELb0ES6_jNS0_17counting_iteratorIjlEEPS9_SE_NS0_5tupleIJPjSE_EEENSF_IJSE_SE_EEES9_SG_JZNS1_25segmented_radix_sort_implINS0_14default_configELb1EPKbPbPKlPlN2at6native12_GLOBAL__N_18offset_tEEE10hipError_tPvRmT1_PNSt15iterator_traitsISY_E10value_typeET2_T3_PNSZ_IS14_E10value_typeET4_jRbjT5_S1A_jjP12ihipStream_tbEUljE_EEESV_SW_SX_S14_S18_S1A_T6_T7_T9_mT8_S1C_bDpT10_ENKUlT_T0_E_clISt17integral_constantIbLb0EES1O_IbLb1EEEEDaS1K_S1L_EUlS1K_E_NS1_11comp_targetILNS1_3genE2ELNS1_11target_archE906ELNS1_3gpuE6ELNS1_3repE0EEENS1_30default_config_static_selectorELNS0_4arch9wavefront6targetE0EEEvSY_.uses_flat_scratch, 0
	.set _ZN7rocprim17ROCPRIM_400000_NS6detail17trampoline_kernelINS0_13select_configILj256ELj13ELNS0_17block_load_methodE3ELS4_3ELS4_3ELNS0_20block_scan_algorithmE0ELj4294967295EEENS1_25partition_config_selectorILNS1_17partition_subalgoE3EjNS0_10empty_typeEbEEZZNS1_14partition_implILS8_3ELb0ES6_jNS0_17counting_iteratorIjlEEPS9_SE_NS0_5tupleIJPjSE_EEENSF_IJSE_SE_EEES9_SG_JZNS1_25segmented_radix_sort_implINS0_14default_configELb1EPKbPbPKlPlN2at6native12_GLOBAL__N_18offset_tEEE10hipError_tPvRmT1_PNSt15iterator_traitsISY_E10value_typeET2_T3_PNSZ_IS14_E10value_typeET4_jRbjT5_S1A_jjP12ihipStream_tbEUljE_EEESV_SW_SX_S14_S18_S1A_T6_T7_T9_mT8_S1C_bDpT10_ENKUlT_T0_E_clISt17integral_constantIbLb0EES1O_IbLb1EEEEDaS1K_S1L_EUlS1K_E_NS1_11comp_targetILNS1_3genE2ELNS1_11target_archE906ELNS1_3gpuE6ELNS1_3repE0EEENS1_30default_config_static_selectorELNS0_4arch9wavefront6targetE0EEEvSY_.has_dyn_sized_stack, 0
	.set _ZN7rocprim17ROCPRIM_400000_NS6detail17trampoline_kernelINS0_13select_configILj256ELj13ELNS0_17block_load_methodE3ELS4_3ELS4_3ELNS0_20block_scan_algorithmE0ELj4294967295EEENS1_25partition_config_selectorILNS1_17partition_subalgoE3EjNS0_10empty_typeEbEEZZNS1_14partition_implILS8_3ELb0ES6_jNS0_17counting_iteratorIjlEEPS9_SE_NS0_5tupleIJPjSE_EEENSF_IJSE_SE_EEES9_SG_JZNS1_25segmented_radix_sort_implINS0_14default_configELb1EPKbPbPKlPlN2at6native12_GLOBAL__N_18offset_tEEE10hipError_tPvRmT1_PNSt15iterator_traitsISY_E10value_typeET2_T3_PNSZ_IS14_E10value_typeET4_jRbjT5_S1A_jjP12ihipStream_tbEUljE_EEESV_SW_SX_S14_S18_S1A_T6_T7_T9_mT8_S1C_bDpT10_ENKUlT_T0_E_clISt17integral_constantIbLb0EES1O_IbLb1EEEEDaS1K_S1L_EUlS1K_E_NS1_11comp_targetILNS1_3genE2ELNS1_11target_archE906ELNS1_3gpuE6ELNS1_3repE0EEENS1_30default_config_static_selectorELNS0_4arch9wavefront6targetE0EEEvSY_.has_recursion, 0
	.set _ZN7rocprim17ROCPRIM_400000_NS6detail17trampoline_kernelINS0_13select_configILj256ELj13ELNS0_17block_load_methodE3ELS4_3ELS4_3ELNS0_20block_scan_algorithmE0ELj4294967295EEENS1_25partition_config_selectorILNS1_17partition_subalgoE3EjNS0_10empty_typeEbEEZZNS1_14partition_implILS8_3ELb0ES6_jNS0_17counting_iteratorIjlEEPS9_SE_NS0_5tupleIJPjSE_EEENSF_IJSE_SE_EEES9_SG_JZNS1_25segmented_radix_sort_implINS0_14default_configELb1EPKbPbPKlPlN2at6native12_GLOBAL__N_18offset_tEEE10hipError_tPvRmT1_PNSt15iterator_traitsISY_E10value_typeET2_T3_PNSZ_IS14_E10value_typeET4_jRbjT5_S1A_jjP12ihipStream_tbEUljE_EEESV_SW_SX_S14_S18_S1A_T6_T7_T9_mT8_S1C_bDpT10_ENKUlT_T0_E_clISt17integral_constantIbLb0EES1O_IbLb1EEEEDaS1K_S1L_EUlS1K_E_NS1_11comp_targetILNS1_3genE2ELNS1_11target_archE906ELNS1_3gpuE6ELNS1_3repE0EEENS1_30default_config_static_selectorELNS0_4arch9wavefront6targetE0EEEvSY_.has_indirect_call, 0
	.section	.AMDGPU.csdata,"",@progbits
; Kernel info:
; codeLenInByte = 0
; TotalNumSgprs: 0
; NumVgprs: 0
; ScratchSize: 0
; MemoryBound: 0
; FloatMode: 240
; IeeeMode: 1
; LDSByteSize: 0 bytes/workgroup (compile time only)
; SGPRBlocks: 0
; VGPRBlocks: 0
; NumSGPRsForWavesPerEU: 1
; NumVGPRsForWavesPerEU: 1
; Occupancy: 16
; WaveLimiterHint : 0
; COMPUTE_PGM_RSRC2:SCRATCH_EN: 0
; COMPUTE_PGM_RSRC2:USER_SGPR: 6
; COMPUTE_PGM_RSRC2:TRAP_HANDLER: 0
; COMPUTE_PGM_RSRC2:TGID_X_EN: 1
; COMPUTE_PGM_RSRC2:TGID_Y_EN: 0
; COMPUTE_PGM_RSRC2:TGID_Z_EN: 0
; COMPUTE_PGM_RSRC2:TIDIG_COMP_CNT: 0
	.section	.text._ZN7rocprim17ROCPRIM_400000_NS6detail17trampoline_kernelINS0_13select_configILj256ELj13ELNS0_17block_load_methodE3ELS4_3ELS4_3ELNS0_20block_scan_algorithmE0ELj4294967295EEENS1_25partition_config_selectorILNS1_17partition_subalgoE3EjNS0_10empty_typeEbEEZZNS1_14partition_implILS8_3ELb0ES6_jNS0_17counting_iteratorIjlEEPS9_SE_NS0_5tupleIJPjSE_EEENSF_IJSE_SE_EEES9_SG_JZNS1_25segmented_radix_sort_implINS0_14default_configELb1EPKbPbPKlPlN2at6native12_GLOBAL__N_18offset_tEEE10hipError_tPvRmT1_PNSt15iterator_traitsISY_E10value_typeET2_T3_PNSZ_IS14_E10value_typeET4_jRbjT5_S1A_jjP12ihipStream_tbEUljE_EEESV_SW_SX_S14_S18_S1A_T6_T7_T9_mT8_S1C_bDpT10_ENKUlT_T0_E_clISt17integral_constantIbLb0EES1O_IbLb1EEEEDaS1K_S1L_EUlS1K_E_NS1_11comp_targetILNS1_3genE10ELNS1_11target_archE1200ELNS1_3gpuE4ELNS1_3repE0EEENS1_30default_config_static_selectorELNS0_4arch9wavefront6targetE0EEEvSY_,"axG",@progbits,_ZN7rocprim17ROCPRIM_400000_NS6detail17trampoline_kernelINS0_13select_configILj256ELj13ELNS0_17block_load_methodE3ELS4_3ELS4_3ELNS0_20block_scan_algorithmE0ELj4294967295EEENS1_25partition_config_selectorILNS1_17partition_subalgoE3EjNS0_10empty_typeEbEEZZNS1_14partition_implILS8_3ELb0ES6_jNS0_17counting_iteratorIjlEEPS9_SE_NS0_5tupleIJPjSE_EEENSF_IJSE_SE_EEES9_SG_JZNS1_25segmented_radix_sort_implINS0_14default_configELb1EPKbPbPKlPlN2at6native12_GLOBAL__N_18offset_tEEE10hipError_tPvRmT1_PNSt15iterator_traitsISY_E10value_typeET2_T3_PNSZ_IS14_E10value_typeET4_jRbjT5_S1A_jjP12ihipStream_tbEUljE_EEESV_SW_SX_S14_S18_S1A_T6_T7_T9_mT8_S1C_bDpT10_ENKUlT_T0_E_clISt17integral_constantIbLb0EES1O_IbLb1EEEEDaS1K_S1L_EUlS1K_E_NS1_11comp_targetILNS1_3genE10ELNS1_11target_archE1200ELNS1_3gpuE4ELNS1_3repE0EEENS1_30default_config_static_selectorELNS0_4arch9wavefront6targetE0EEEvSY_,comdat
	.globl	_ZN7rocprim17ROCPRIM_400000_NS6detail17trampoline_kernelINS0_13select_configILj256ELj13ELNS0_17block_load_methodE3ELS4_3ELS4_3ELNS0_20block_scan_algorithmE0ELj4294967295EEENS1_25partition_config_selectorILNS1_17partition_subalgoE3EjNS0_10empty_typeEbEEZZNS1_14partition_implILS8_3ELb0ES6_jNS0_17counting_iteratorIjlEEPS9_SE_NS0_5tupleIJPjSE_EEENSF_IJSE_SE_EEES9_SG_JZNS1_25segmented_radix_sort_implINS0_14default_configELb1EPKbPbPKlPlN2at6native12_GLOBAL__N_18offset_tEEE10hipError_tPvRmT1_PNSt15iterator_traitsISY_E10value_typeET2_T3_PNSZ_IS14_E10value_typeET4_jRbjT5_S1A_jjP12ihipStream_tbEUljE_EEESV_SW_SX_S14_S18_S1A_T6_T7_T9_mT8_S1C_bDpT10_ENKUlT_T0_E_clISt17integral_constantIbLb0EES1O_IbLb1EEEEDaS1K_S1L_EUlS1K_E_NS1_11comp_targetILNS1_3genE10ELNS1_11target_archE1200ELNS1_3gpuE4ELNS1_3repE0EEENS1_30default_config_static_selectorELNS0_4arch9wavefront6targetE0EEEvSY_ ; -- Begin function _ZN7rocprim17ROCPRIM_400000_NS6detail17trampoline_kernelINS0_13select_configILj256ELj13ELNS0_17block_load_methodE3ELS4_3ELS4_3ELNS0_20block_scan_algorithmE0ELj4294967295EEENS1_25partition_config_selectorILNS1_17partition_subalgoE3EjNS0_10empty_typeEbEEZZNS1_14partition_implILS8_3ELb0ES6_jNS0_17counting_iteratorIjlEEPS9_SE_NS0_5tupleIJPjSE_EEENSF_IJSE_SE_EEES9_SG_JZNS1_25segmented_radix_sort_implINS0_14default_configELb1EPKbPbPKlPlN2at6native12_GLOBAL__N_18offset_tEEE10hipError_tPvRmT1_PNSt15iterator_traitsISY_E10value_typeET2_T3_PNSZ_IS14_E10value_typeET4_jRbjT5_S1A_jjP12ihipStream_tbEUljE_EEESV_SW_SX_S14_S18_S1A_T6_T7_T9_mT8_S1C_bDpT10_ENKUlT_T0_E_clISt17integral_constantIbLb0EES1O_IbLb1EEEEDaS1K_S1L_EUlS1K_E_NS1_11comp_targetILNS1_3genE10ELNS1_11target_archE1200ELNS1_3gpuE4ELNS1_3repE0EEENS1_30default_config_static_selectorELNS0_4arch9wavefront6targetE0EEEvSY_
	.p2align	8
	.type	_ZN7rocprim17ROCPRIM_400000_NS6detail17trampoline_kernelINS0_13select_configILj256ELj13ELNS0_17block_load_methodE3ELS4_3ELS4_3ELNS0_20block_scan_algorithmE0ELj4294967295EEENS1_25partition_config_selectorILNS1_17partition_subalgoE3EjNS0_10empty_typeEbEEZZNS1_14partition_implILS8_3ELb0ES6_jNS0_17counting_iteratorIjlEEPS9_SE_NS0_5tupleIJPjSE_EEENSF_IJSE_SE_EEES9_SG_JZNS1_25segmented_radix_sort_implINS0_14default_configELb1EPKbPbPKlPlN2at6native12_GLOBAL__N_18offset_tEEE10hipError_tPvRmT1_PNSt15iterator_traitsISY_E10value_typeET2_T3_PNSZ_IS14_E10value_typeET4_jRbjT5_S1A_jjP12ihipStream_tbEUljE_EEESV_SW_SX_S14_S18_S1A_T6_T7_T9_mT8_S1C_bDpT10_ENKUlT_T0_E_clISt17integral_constantIbLb0EES1O_IbLb1EEEEDaS1K_S1L_EUlS1K_E_NS1_11comp_targetILNS1_3genE10ELNS1_11target_archE1200ELNS1_3gpuE4ELNS1_3repE0EEENS1_30default_config_static_selectorELNS0_4arch9wavefront6targetE0EEEvSY_,@function
_ZN7rocprim17ROCPRIM_400000_NS6detail17trampoline_kernelINS0_13select_configILj256ELj13ELNS0_17block_load_methodE3ELS4_3ELS4_3ELNS0_20block_scan_algorithmE0ELj4294967295EEENS1_25partition_config_selectorILNS1_17partition_subalgoE3EjNS0_10empty_typeEbEEZZNS1_14partition_implILS8_3ELb0ES6_jNS0_17counting_iteratorIjlEEPS9_SE_NS0_5tupleIJPjSE_EEENSF_IJSE_SE_EEES9_SG_JZNS1_25segmented_radix_sort_implINS0_14default_configELb1EPKbPbPKlPlN2at6native12_GLOBAL__N_18offset_tEEE10hipError_tPvRmT1_PNSt15iterator_traitsISY_E10value_typeET2_T3_PNSZ_IS14_E10value_typeET4_jRbjT5_S1A_jjP12ihipStream_tbEUljE_EEESV_SW_SX_S14_S18_S1A_T6_T7_T9_mT8_S1C_bDpT10_ENKUlT_T0_E_clISt17integral_constantIbLb0EES1O_IbLb1EEEEDaS1K_S1L_EUlS1K_E_NS1_11comp_targetILNS1_3genE10ELNS1_11target_archE1200ELNS1_3gpuE4ELNS1_3repE0EEENS1_30default_config_static_selectorELNS0_4arch9wavefront6targetE0EEEvSY_: ; @_ZN7rocprim17ROCPRIM_400000_NS6detail17trampoline_kernelINS0_13select_configILj256ELj13ELNS0_17block_load_methodE3ELS4_3ELS4_3ELNS0_20block_scan_algorithmE0ELj4294967295EEENS1_25partition_config_selectorILNS1_17partition_subalgoE3EjNS0_10empty_typeEbEEZZNS1_14partition_implILS8_3ELb0ES6_jNS0_17counting_iteratorIjlEEPS9_SE_NS0_5tupleIJPjSE_EEENSF_IJSE_SE_EEES9_SG_JZNS1_25segmented_radix_sort_implINS0_14default_configELb1EPKbPbPKlPlN2at6native12_GLOBAL__N_18offset_tEEE10hipError_tPvRmT1_PNSt15iterator_traitsISY_E10value_typeET2_T3_PNSZ_IS14_E10value_typeET4_jRbjT5_S1A_jjP12ihipStream_tbEUljE_EEESV_SW_SX_S14_S18_S1A_T6_T7_T9_mT8_S1C_bDpT10_ENKUlT_T0_E_clISt17integral_constantIbLb0EES1O_IbLb1EEEEDaS1K_S1L_EUlS1K_E_NS1_11comp_targetILNS1_3genE10ELNS1_11target_archE1200ELNS1_3gpuE4ELNS1_3repE0EEENS1_30default_config_static_selectorELNS0_4arch9wavefront6targetE0EEEvSY_
; %bb.0:
	.section	.rodata,"a",@progbits
	.p2align	6, 0x0
	.amdhsa_kernel _ZN7rocprim17ROCPRIM_400000_NS6detail17trampoline_kernelINS0_13select_configILj256ELj13ELNS0_17block_load_methodE3ELS4_3ELS4_3ELNS0_20block_scan_algorithmE0ELj4294967295EEENS1_25partition_config_selectorILNS1_17partition_subalgoE3EjNS0_10empty_typeEbEEZZNS1_14partition_implILS8_3ELb0ES6_jNS0_17counting_iteratorIjlEEPS9_SE_NS0_5tupleIJPjSE_EEENSF_IJSE_SE_EEES9_SG_JZNS1_25segmented_radix_sort_implINS0_14default_configELb1EPKbPbPKlPlN2at6native12_GLOBAL__N_18offset_tEEE10hipError_tPvRmT1_PNSt15iterator_traitsISY_E10value_typeET2_T3_PNSZ_IS14_E10value_typeET4_jRbjT5_S1A_jjP12ihipStream_tbEUljE_EEESV_SW_SX_S14_S18_S1A_T6_T7_T9_mT8_S1C_bDpT10_ENKUlT_T0_E_clISt17integral_constantIbLb0EES1O_IbLb1EEEEDaS1K_S1L_EUlS1K_E_NS1_11comp_targetILNS1_3genE10ELNS1_11target_archE1200ELNS1_3gpuE4ELNS1_3repE0EEENS1_30default_config_static_selectorELNS0_4arch9wavefront6targetE0EEEvSY_
		.amdhsa_group_segment_fixed_size 0
		.amdhsa_private_segment_fixed_size 0
		.amdhsa_kernarg_size 152
		.amdhsa_user_sgpr_count 6
		.amdhsa_user_sgpr_private_segment_buffer 1
		.amdhsa_user_sgpr_dispatch_ptr 0
		.amdhsa_user_sgpr_queue_ptr 0
		.amdhsa_user_sgpr_kernarg_segment_ptr 1
		.amdhsa_user_sgpr_dispatch_id 0
		.amdhsa_user_sgpr_flat_scratch_init 0
		.amdhsa_user_sgpr_private_segment_size 0
		.amdhsa_wavefront_size32 1
		.amdhsa_uses_dynamic_stack 0
		.amdhsa_system_sgpr_private_segment_wavefront_offset 0
		.amdhsa_system_sgpr_workgroup_id_x 1
		.amdhsa_system_sgpr_workgroup_id_y 0
		.amdhsa_system_sgpr_workgroup_id_z 0
		.amdhsa_system_sgpr_workgroup_info 0
		.amdhsa_system_vgpr_workitem_id 0
		.amdhsa_next_free_vgpr 1
		.amdhsa_next_free_sgpr 1
		.amdhsa_reserve_vcc 0
		.amdhsa_reserve_flat_scratch 0
		.amdhsa_float_round_mode_32 0
		.amdhsa_float_round_mode_16_64 0
		.amdhsa_float_denorm_mode_32 3
		.amdhsa_float_denorm_mode_16_64 3
		.amdhsa_dx10_clamp 1
		.amdhsa_ieee_mode 1
		.amdhsa_fp16_overflow 0
		.amdhsa_workgroup_processor_mode 1
		.amdhsa_memory_ordered 1
		.amdhsa_forward_progress 1
		.amdhsa_shared_vgpr_count 0
		.amdhsa_exception_fp_ieee_invalid_op 0
		.amdhsa_exception_fp_denorm_src 0
		.amdhsa_exception_fp_ieee_div_zero 0
		.amdhsa_exception_fp_ieee_overflow 0
		.amdhsa_exception_fp_ieee_underflow 0
		.amdhsa_exception_fp_ieee_inexact 0
		.amdhsa_exception_int_div_zero 0
	.end_amdhsa_kernel
	.section	.text._ZN7rocprim17ROCPRIM_400000_NS6detail17trampoline_kernelINS0_13select_configILj256ELj13ELNS0_17block_load_methodE3ELS4_3ELS4_3ELNS0_20block_scan_algorithmE0ELj4294967295EEENS1_25partition_config_selectorILNS1_17partition_subalgoE3EjNS0_10empty_typeEbEEZZNS1_14partition_implILS8_3ELb0ES6_jNS0_17counting_iteratorIjlEEPS9_SE_NS0_5tupleIJPjSE_EEENSF_IJSE_SE_EEES9_SG_JZNS1_25segmented_radix_sort_implINS0_14default_configELb1EPKbPbPKlPlN2at6native12_GLOBAL__N_18offset_tEEE10hipError_tPvRmT1_PNSt15iterator_traitsISY_E10value_typeET2_T3_PNSZ_IS14_E10value_typeET4_jRbjT5_S1A_jjP12ihipStream_tbEUljE_EEESV_SW_SX_S14_S18_S1A_T6_T7_T9_mT8_S1C_bDpT10_ENKUlT_T0_E_clISt17integral_constantIbLb0EES1O_IbLb1EEEEDaS1K_S1L_EUlS1K_E_NS1_11comp_targetILNS1_3genE10ELNS1_11target_archE1200ELNS1_3gpuE4ELNS1_3repE0EEENS1_30default_config_static_selectorELNS0_4arch9wavefront6targetE0EEEvSY_,"axG",@progbits,_ZN7rocprim17ROCPRIM_400000_NS6detail17trampoline_kernelINS0_13select_configILj256ELj13ELNS0_17block_load_methodE3ELS4_3ELS4_3ELNS0_20block_scan_algorithmE0ELj4294967295EEENS1_25partition_config_selectorILNS1_17partition_subalgoE3EjNS0_10empty_typeEbEEZZNS1_14partition_implILS8_3ELb0ES6_jNS0_17counting_iteratorIjlEEPS9_SE_NS0_5tupleIJPjSE_EEENSF_IJSE_SE_EEES9_SG_JZNS1_25segmented_radix_sort_implINS0_14default_configELb1EPKbPbPKlPlN2at6native12_GLOBAL__N_18offset_tEEE10hipError_tPvRmT1_PNSt15iterator_traitsISY_E10value_typeET2_T3_PNSZ_IS14_E10value_typeET4_jRbjT5_S1A_jjP12ihipStream_tbEUljE_EEESV_SW_SX_S14_S18_S1A_T6_T7_T9_mT8_S1C_bDpT10_ENKUlT_T0_E_clISt17integral_constantIbLb0EES1O_IbLb1EEEEDaS1K_S1L_EUlS1K_E_NS1_11comp_targetILNS1_3genE10ELNS1_11target_archE1200ELNS1_3gpuE4ELNS1_3repE0EEENS1_30default_config_static_selectorELNS0_4arch9wavefront6targetE0EEEvSY_,comdat
.Lfunc_end1521:
	.size	_ZN7rocprim17ROCPRIM_400000_NS6detail17trampoline_kernelINS0_13select_configILj256ELj13ELNS0_17block_load_methodE3ELS4_3ELS4_3ELNS0_20block_scan_algorithmE0ELj4294967295EEENS1_25partition_config_selectorILNS1_17partition_subalgoE3EjNS0_10empty_typeEbEEZZNS1_14partition_implILS8_3ELb0ES6_jNS0_17counting_iteratorIjlEEPS9_SE_NS0_5tupleIJPjSE_EEENSF_IJSE_SE_EEES9_SG_JZNS1_25segmented_radix_sort_implINS0_14default_configELb1EPKbPbPKlPlN2at6native12_GLOBAL__N_18offset_tEEE10hipError_tPvRmT1_PNSt15iterator_traitsISY_E10value_typeET2_T3_PNSZ_IS14_E10value_typeET4_jRbjT5_S1A_jjP12ihipStream_tbEUljE_EEESV_SW_SX_S14_S18_S1A_T6_T7_T9_mT8_S1C_bDpT10_ENKUlT_T0_E_clISt17integral_constantIbLb0EES1O_IbLb1EEEEDaS1K_S1L_EUlS1K_E_NS1_11comp_targetILNS1_3genE10ELNS1_11target_archE1200ELNS1_3gpuE4ELNS1_3repE0EEENS1_30default_config_static_selectorELNS0_4arch9wavefront6targetE0EEEvSY_, .Lfunc_end1521-_ZN7rocprim17ROCPRIM_400000_NS6detail17trampoline_kernelINS0_13select_configILj256ELj13ELNS0_17block_load_methodE3ELS4_3ELS4_3ELNS0_20block_scan_algorithmE0ELj4294967295EEENS1_25partition_config_selectorILNS1_17partition_subalgoE3EjNS0_10empty_typeEbEEZZNS1_14partition_implILS8_3ELb0ES6_jNS0_17counting_iteratorIjlEEPS9_SE_NS0_5tupleIJPjSE_EEENSF_IJSE_SE_EEES9_SG_JZNS1_25segmented_radix_sort_implINS0_14default_configELb1EPKbPbPKlPlN2at6native12_GLOBAL__N_18offset_tEEE10hipError_tPvRmT1_PNSt15iterator_traitsISY_E10value_typeET2_T3_PNSZ_IS14_E10value_typeET4_jRbjT5_S1A_jjP12ihipStream_tbEUljE_EEESV_SW_SX_S14_S18_S1A_T6_T7_T9_mT8_S1C_bDpT10_ENKUlT_T0_E_clISt17integral_constantIbLb0EES1O_IbLb1EEEEDaS1K_S1L_EUlS1K_E_NS1_11comp_targetILNS1_3genE10ELNS1_11target_archE1200ELNS1_3gpuE4ELNS1_3repE0EEENS1_30default_config_static_selectorELNS0_4arch9wavefront6targetE0EEEvSY_
                                        ; -- End function
	.set _ZN7rocprim17ROCPRIM_400000_NS6detail17trampoline_kernelINS0_13select_configILj256ELj13ELNS0_17block_load_methodE3ELS4_3ELS4_3ELNS0_20block_scan_algorithmE0ELj4294967295EEENS1_25partition_config_selectorILNS1_17partition_subalgoE3EjNS0_10empty_typeEbEEZZNS1_14partition_implILS8_3ELb0ES6_jNS0_17counting_iteratorIjlEEPS9_SE_NS0_5tupleIJPjSE_EEENSF_IJSE_SE_EEES9_SG_JZNS1_25segmented_radix_sort_implINS0_14default_configELb1EPKbPbPKlPlN2at6native12_GLOBAL__N_18offset_tEEE10hipError_tPvRmT1_PNSt15iterator_traitsISY_E10value_typeET2_T3_PNSZ_IS14_E10value_typeET4_jRbjT5_S1A_jjP12ihipStream_tbEUljE_EEESV_SW_SX_S14_S18_S1A_T6_T7_T9_mT8_S1C_bDpT10_ENKUlT_T0_E_clISt17integral_constantIbLb0EES1O_IbLb1EEEEDaS1K_S1L_EUlS1K_E_NS1_11comp_targetILNS1_3genE10ELNS1_11target_archE1200ELNS1_3gpuE4ELNS1_3repE0EEENS1_30default_config_static_selectorELNS0_4arch9wavefront6targetE0EEEvSY_.num_vgpr, 0
	.set _ZN7rocprim17ROCPRIM_400000_NS6detail17trampoline_kernelINS0_13select_configILj256ELj13ELNS0_17block_load_methodE3ELS4_3ELS4_3ELNS0_20block_scan_algorithmE0ELj4294967295EEENS1_25partition_config_selectorILNS1_17partition_subalgoE3EjNS0_10empty_typeEbEEZZNS1_14partition_implILS8_3ELb0ES6_jNS0_17counting_iteratorIjlEEPS9_SE_NS0_5tupleIJPjSE_EEENSF_IJSE_SE_EEES9_SG_JZNS1_25segmented_radix_sort_implINS0_14default_configELb1EPKbPbPKlPlN2at6native12_GLOBAL__N_18offset_tEEE10hipError_tPvRmT1_PNSt15iterator_traitsISY_E10value_typeET2_T3_PNSZ_IS14_E10value_typeET4_jRbjT5_S1A_jjP12ihipStream_tbEUljE_EEESV_SW_SX_S14_S18_S1A_T6_T7_T9_mT8_S1C_bDpT10_ENKUlT_T0_E_clISt17integral_constantIbLb0EES1O_IbLb1EEEEDaS1K_S1L_EUlS1K_E_NS1_11comp_targetILNS1_3genE10ELNS1_11target_archE1200ELNS1_3gpuE4ELNS1_3repE0EEENS1_30default_config_static_selectorELNS0_4arch9wavefront6targetE0EEEvSY_.num_agpr, 0
	.set _ZN7rocprim17ROCPRIM_400000_NS6detail17trampoline_kernelINS0_13select_configILj256ELj13ELNS0_17block_load_methodE3ELS4_3ELS4_3ELNS0_20block_scan_algorithmE0ELj4294967295EEENS1_25partition_config_selectorILNS1_17partition_subalgoE3EjNS0_10empty_typeEbEEZZNS1_14partition_implILS8_3ELb0ES6_jNS0_17counting_iteratorIjlEEPS9_SE_NS0_5tupleIJPjSE_EEENSF_IJSE_SE_EEES9_SG_JZNS1_25segmented_radix_sort_implINS0_14default_configELb1EPKbPbPKlPlN2at6native12_GLOBAL__N_18offset_tEEE10hipError_tPvRmT1_PNSt15iterator_traitsISY_E10value_typeET2_T3_PNSZ_IS14_E10value_typeET4_jRbjT5_S1A_jjP12ihipStream_tbEUljE_EEESV_SW_SX_S14_S18_S1A_T6_T7_T9_mT8_S1C_bDpT10_ENKUlT_T0_E_clISt17integral_constantIbLb0EES1O_IbLb1EEEEDaS1K_S1L_EUlS1K_E_NS1_11comp_targetILNS1_3genE10ELNS1_11target_archE1200ELNS1_3gpuE4ELNS1_3repE0EEENS1_30default_config_static_selectorELNS0_4arch9wavefront6targetE0EEEvSY_.numbered_sgpr, 0
	.set _ZN7rocprim17ROCPRIM_400000_NS6detail17trampoline_kernelINS0_13select_configILj256ELj13ELNS0_17block_load_methodE3ELS4_3ELS4_3ELNS0_20block_scan_algorithmE0ELj4294967295EEENS1_25partition_config_selectorILNS1_17partition_subalgoE3EjNS0_10empty_typeEbEEZZNS1_14partition_implILS8_3ELb0ES6_jNS0_17counting_iteratorIjlEEPS9_SE_NS0_5tupleIJPjSE_EEENSF_IJSE_SE_EEES9_SG_JZNS1_25segmented_radix_sort_implINS0_14default_configELb1EPKbPbPKlPlN2at6native12_GLOBAL__N_18offset_tEEE10hipError_tPvRmT1_PNSt15iterator_traitsISY_E10value_typeET2_T3_PNSZ_IS14_E10value_typeET4_jRbjT5_S1A_jjP12ihipStream_tbEUljE_EEESV_SW_SX_S14_S18_S1A_T6_T7_T9_mT8_S1C_bDpT10_ENKUlT_T0_E_clISt17integral_constantIbLb0EES1O_IbLb1EEEEDaS1K_S1L_EUlS1K_E_NS1_11comp_targetILNS1_3genE10ELNS1_11target_archE1200ELNS1_3gpuE4ELNS1_3repE0EEENS1_30default_config_static_selectorELNS0_4arch9wavefront6targetE0EEEvSY_.num_named_barrier, 0
	.set _ZN7rocprim17ROCPRIM_400000_NS6detail17trampoline_kernelINS0_13select_configILj256ELj13ELNS0_17block_load_methodE3ELS4_3ELS4_3ELNS0_20block_scan_algorithmE0ELj4294967295EEENS1_25partition_config_selectorILNS1_17partition_subalgoE3EjNS0_10empty_typeEbEEZZNS1_14partition_implILS8_3ELb0ES6_jNS0_17counting_iteratorIjlEEPS9_SE_NS0_5tupleIJPjSE_EEENSF_IJSE_SE_EEES9_SG_JZNS1_25segmented_radix_sort_implINS0_14default_configELb1EPKbPbPKlPlN2at6native12_GLOBAL__N_18offset_tEEE10hipError_tPvRmT1_PNSt15iterator_traitsISY_E10value_typeET2_T3_PNSZ_IS14_E10value_typeET4_jRbjT5_S1A_jjP12ihipStream_tbEUljE_EEESV_SW_SX_S14_S18_S1A_T6_T7_T9_mT8_S1C_bDpT10_ENKUlT_T0_E_clISt17integral_constantIbLb0EES1O_IbLb1EEEEDaS1K_S1L_EUlS1K_E_NS1_11comp_targetILNS1_3genE10ELNS1_11target_archE1200ELNS1_3gpuE4ELNS1_3repE0EEENS1_30default_config_static_selectorELNS0_4arch9wavefront6targetE0EEEvSY_.private_seg_size, 0
	.set _ZN7rocprim17ROCPRIM_400000_NS6detail17trampoline_kernelINS0_13select_configILj256ELj13ELNS0_17block_load_methodE3ELS4_3ELS4_3ELNS0_20block_scan_algorithmE0ELj4294967295EEENS1_25partition_config_selectorILNS1_17partition_subalgoE3EjNS0_10empty_typeEbEEZZNS1_14partition_implILS8_3ELb0ES6_jNS0_17counting_iteratorIjlEEPS9_SE_NS0_5tupleIJPjSE_EEENSF_IJSE_SE_EEES9_SG_JZNS1_25segmented_radix_sort_implINS0_14default_configELb1EPKbPbPKlPlN2at6native12_GLOBAL__N_18offset_tEEE10hipError_tPvRmT1_PNSt15iterator_traitsISY_E10value_typeET2_T3_PNSZ_IS14_E10value_typeET4_jRbjT5_S1A_jjP12ihipStream_tbEUljE_EEESV_SW_SX_S14_S18_S1A_T6_T7_T9_mT8_S1C_bDpT10_ENKUlT_T0_E_clISt17integral_constantIbLb0EES1O_IbLb1EEEEDaS1K_S1L_EUlS1K_E_NS1_11comp_targetILNS1_3genE10ELNS1_11target_archE1200ELNS1_3gpuE4ELNS1_3repE0EEENS1_30default_config_static_selectorELNS0_4arch9wavefront6targetE0EEEvSY_.uses_vcc, 0
	.set _ZN7rocprim17ROCPRIM_400000_NS6detail17trampoline_kernelINS0_13select_configILj256ELj13ELNS0_17block_load_methodE3ELS4_3ELS4_3ELNS0_20block_scan_algorithmE0ELj4294967295EEENS1_25partition_config_selectorILNS1_17partition_subalgoE3EjNS0_10empty_typeEbEEZZNS1_14partition_implILS8_3ELb0ES6_jNS0_17counting_iteratorIjlEEPS9_SE_NS0_5tupleIJPjSE_EEENSF_IJSE_SE_EEES9_SG_JZNS1_25segmented_radix_sort_implINS0_14default_configELb1EPKbPbPKlPlN2at6native12_GLOBAL__N_18offset_tEEE10hipError_tPvRmT1_PNSt15iterator_traitsISY_E10value_typeET2_T3_PNSZ_IS14_E10value_typeET4_jRbjT5_S1A_jjP12ihipStream_tbEUljE_EEESV_SW_SX_S14_S18_S1A_T6_T7_T9_mT8_S1C_bDpT10_ENKUlT_T0_E_clISt17integral_constantIbLb0EES1O_IbLb1EEEEDaS1K_S1L_EUlS1K_E_NS1_11comp_targetILNS1_3genE10ELNS1_11target_archE1200ELNS1_3gpuE4ELNS1_3repE0EEENS1_30default_config_static_selectorELNS0_4arch9wavefront6targetE0EEEvSY_.uses_flat_scratch, 0
	.set _ZN7rocprim17ROCPRIM_400000_NS6detail17trampoline_kernelINS0_13select_configILj256ELj13ELNS0_17block_load_methodE3ELS4_3ELS4_3ELNS0_20block_scan_algorithmE0ELj4294967295EEENS1_25partition_config_selectorILNS1_17partition_subalgoE3EjNS0_10empty_typeEbEEZZNS1_14partition_implILS8_3ELb0ES6_jNS0_17counting_iteratorIjlEEPS9_SE_NS0_5tupleIJPjSE_EEENSF_IJSE_SE_EEES9_SG_JZNS1_25segmented_radix_sort_implINS0_14default_configELb1EPKbPbPKlPlN2at6native12_GLOBAL__N_18offset_tEEE10hipError_tPvRmT1_PNSt15iterator_traitsISY_E10value_typeET2_T3_PNSZ_IS14_E10value_typeET4_jRbjT5_S1A_jjP12ihipStream_tbEUljE_EEESV_SW_SX_S14_S18_S1A_T6_T7_T9_mT8_S1C_bDpT10_ENKUlT_T0_E_clISt17integral_constantIbLb0EES1O_IbLb1EEEEDaS1K_S1L_EUlS1K_E_NS1_11comp_targetILNS1_3genE10ELNS1_11target_archE1200ELNS1_3gpuE4ELNS1_3repE0EEENS1_30default_config_static_selectorELNS0_4arch9wavefront6targetE0EEEvSY_.has_dyn_sized_stack, 0
	.set _ZN7rocprim17ROCPRIM_400000_NS6detail17trampoline_kernelINS0_13select_configILj256ELj13ELNS0_17block_load_methodE3ELS4_3ELS4_3ELNS0_20block_scan_algorithmE0ELj4294967295EEENS1_25partition_config_selectorILNS1_17partition_subalgoE3EjNS0_10empty_typeEbEEZZNS1_14partition_implILS8_3ELb0ES6_jNS0_17counting_iteratorIjlEEPS9_SE_NS0_5tupleIJPjSE_EEENSF_IJSE_SE_EEES9_SG_JZNS1_25segmented_radix_sort_implINS0_14default_configELb1EPKbPbPKlPlN2at6native12_GLOBAL__N_18offset_tEEE10hipError_tPvRmT1_PNSt15iterator_traitsISY_E10value_typeET2_T3_PNSZ_IS14_E10value_typeET4_jRbjT5_S1A_jjP12ihipStream_tbEUljE_EEESV_SW_SX_S14_S18_S1A_T6_T7_T9_mT8_S1C_bDpT10_ENKUlT_T0_E_clISt17integral_constantIbLb0EES1O_IbLb1EEEEDaS1K_S1L_EUlS1K_E_NS1_11comp_targetILNS1_3genE10ELNS1_11target_archE1200ELNS1_3gpuE4ELNS1_3repE0EEENS1_30default_config_static_selectorELNS0_4arch9wavefront6targetE0EEEvSY_.has_recursion, 0
	.set _ZN7rocprim17ROCPRIM_400000_NS6detail17trampoline_kernelINS0_13select_configILj256ELj13ELNS0_17block_load_methodE3ELS4_3ELS4_3ELNS0_20block_scan_algorithmE0ELj4294967295EEENS1_25partition_config_selectorILNS1_17partition_subalgoE3EjNS0_10empty_typeEbEEZZNS1_14partition_implILS8_3ELb0ES6_jNS0_17counting_iteratorIjlEEPS9_SE_NS0_5tupleIJPjSE_EEENSF_IJSE_SE_EEES9_SG_JZNS1_25segmented_radix_sort_implINS0_14default_configELb1EPKbPbPKlPlN2at6native12_GLOBAL__N_18offset_tEEE10hipError_tPvRmT1_PNSt15iterator_traitsISY_E10value_typeET2_T3_PNSZ_IS14_E10value_typeET4_jRbjT5_S1A_jjP12ihipStream_tbEUljE_EEESV_SW_SX_S14_S18_S1A_T6_T7_T9_mT8_S1C_bDpT10_ENKUlT_T0_E_clISt17integral_constantIbLb0EES1O_IbLb1EEEEDaS1K_S1L_EUlS1K_E_NS1_11comp_targetILNS1_3genE10ELNS1_11target_archE1200ELNS1_3gpuE4ELNS1_3repE0EEENS1_30default_config_static_selectorELNS0_4arch9wavefront6targetE0EEEvSY_.has_indirect_call, 0
	.section	.AMDGPU.csdata,"",@progbits
; Kernel info:
; codeLenInByte = 0
; TotalNumSgprs: 0
; NumVgprs: 0
; ScratchSize: 0
; MemoryBound: 0
; FloatMode: 240
; IeeeMode: 1
; LDSByteSize: 0 bytes/workgroup (compile time only)
; SGPRBlocks: 0
; VGPRBlocks: 0
; NumSGPRsForWavesPerEU: 1
; NumVGPRsForWavesPerEU: 1
; Occupancy: 16
; WaveLimiterHint : 0
; COMPUTE_PGM_RSRC2:SCRATCH_EN: 0
; COMPUTE_PGM_RSRC2:USER_SGPR: 6
; COMPUTE_PGM_RSRC2:TRAP_HANDLER: 0
; COMPUTE_PGM_RSRC2:TGID_X_EN: 1
; COMPUTE_PGM_RSRC2:TGID_Y_EN: 0
; COMPUTE_PGM_RSRC2:TGID_Z_EN: 0
; COMPUTE_PGM_RSRC2:TIDIG_COMP_CNT: 0
	.section	.text._ZN7rocprim17ROCPRIM_400000_NS6detail17trampoline_kernelINS0_13select_configILj256ELj13ELNS0_17block_load_methodE3ELS4_3ELS4_3ELNS0_20block_scan_algorithmE0ELj4294967295EEENS1_25partition_config_selectorILNS1_17partition_subalgoE3EjNS0_10empty_typeEbEEZZNS1_14partition_implILS8_3ELb0ES6_jNS0_17counting_iteratorIjlEEPS9_SE_NS0_5tupleIJPjSE_EEENSF_IJSE_SE_EEES9_SG_JZNS1_25segmented_radix_sort_implINS0_14default_configELb1EPKbPbPKlPlN2at6native12_GLOBAL__N_18offset_tEEE10hipError_tPvRmT1_PNSt15iterator_traitsISY_E10value_typeET2_T3_PNSZ_IS14_E10value_typeET4_jRbjT5_S1A_jjP12ihipStream_tbEUljE_EEESV_SW_SX_S14_S18_S1A_T6_T7_T9_mT8_S1C_bDpT10_ENKUlT_T0_E_clISt17integral_constantIbLb0EES1O_IbLb1EEEEDaS1K_S1L_EUlS1K_E_NS1_11comp_targetILNS1_3genE9ELNS1_11target_archE1100ELNS1_3gpuE3ELNS1_3repE0EEENS1_30default_config_static_selectorELNS0_4arch9wavefront6targetE0EEEvSY_,"axG",@progbits,_ZN7rocprim17ROCPRIM_400000_NS6detail17trampoline_kernelINS0_13select_configILj256ELj13ELNS0_17block_load_methodE3ELS4_3ELS4_3ELNS0_20block_scan_algorithmE0ELj4294967295EEENS1_25partition_config_selectorILNS1_17partition_subalgoE3EjNS0_10empty_typeEbEEZZNS1_14partition_implILS8_3ELb0ES6_jNS0_17counting_iteratorIjlEEPS9_SE_NS0_5tupleIJPjSE_EEENSF_IJSE_SE_EEES9_SG_JZNS1_25segmented_radix_sort_implINS0_14default_configELb1EPKbPbPKlPlN2at6native12_GLOBAL__N_18offset_tEEE10hipError_tPvRmT1_PNSt15iterator_traitsISY_E10value_typeET2_T3_PNSZ_IS14_E10value_typeET4_jRbjT5_S1A_jjP12ihipStream_tbEUljE_EEESV_SW_SX_S14_S18_S1A_T6_T7_T9_mT8_S1C_bDpT10_ENKUlT_T0_E_clISt17integral_constantIbLb0EES1O_IbLb1EEEEDaS1K_S1L_EUlS1K_E_NS1_11comp_targetILNS1_3genE9ELNS1_11target_archE1100ELNS1_3gpuE3ELNS1_3repE0EEENS1_30default_config_static_selectorELNS0_4arch9wavefront6targetE0EEEvSY_,comdat
	.globl	_ZN7rocprim17ROCPRIM_400000_NS6detail17trampoline_kernelINS0_13select_configILj256ELj13ELNS0_17block_load_methodE3ELS4_3ELS4_3ELNS0_20block_scan_algorithmE0ELj4294967295EEENS1_25partition_config_selectorILNS1_17partition_subalgoE3EjNS0_10empty_typeEbEEZZNS1_14partition_implILS8_3ELb0ES6_jNS0_17counting_iteratorIjlEEPS9_SE_NS0_5tupleIJPjSE_EEENSF_IJSE_SE_EEES9_SG_JZNS1_25segmented_radix_sort_implINS0_14default_configELb1EPKbPbPKlPlN2at6native12_GLOBAL__N_18offset_tEEE10hipError_tPvRmT1_PNSt15iterator_traitsISY_E10value_typeET2_T3_PNSZ_IS14_E10value_typeET4_jRbjT5_S1A_jjP12ihipStream_tbEUljE_EEESV_SW_SX_S14_S18_S1A_T6_T7_T9_mT8_S1C_bDpT10_ENKUlT_T0_E_clISt17integral_constantIbLb0EES1O_IbLb1EEEEDaS1K_S1L_EUlS1K_E_NS1_11comp_targetILNS1_3genE9ELNS1_11target_archE1100ELNS1_3gpuE3ELNS1_3repE0EEENS1_30default_config_static_selectorELNS0_4arch9wavefront6targetE0EEEvSY_ ; -- Begin function _ZN7rocprim17ROCPRIM_400000_NS6detail17trampoline_kernelINS0_13select_configILj256ELj13ELNS0_17block_load_methodE3ELS4_3ELS4_3ELNS0_20block_scan_algorithmE0ELj4294967295EEENS1_25partition_config_selectorILNS1_17partition_subalgoE3EjNS0_10empty_typeEbEEZZNS1_14partition_implILS8_3ELb0ES6_jNS0_17counting_iteratorIjlEEPS9_SE_NS0_5tupleIJPjSE_EEENSF_IJSE_SE_EEES9_SG_JZNS1_25segmented_radix_sort_implINS0_14default_configELb1EPKbPbPKlPlN2at6native12_GLOBAL__N_18offset_tEEE10hipError_tPvRmT1_PNSt15iterator_traitsISY_E10value_typeET2_T3_PNSZ_IS14_E10value_typeET4_jRbjT5_S1A_jjP12ihipStream_tbEUljE_EEESV_SW_SX_S14_S18_S1A_T6_T7_T9_mT8_S1C_bDpT10_ENKUlT_T0_E_clISt17integral_constantIbLb0EES1O_IbLb1EEEEDaS1K_S1L_EUlS1K_E_NS1_11comp_targetILNS1_3genE9ELNS1_11target_archE1100ELNS1_3gpuE3ELNS1_3repE0EEENS1_30default_config_static_selectorELNS0_4arch9wavefront6targetE0EEEvSY_
	.p2align	8
	.type	_ZN7rocprim17ROCPRIM_400000_NS6detail17trampoline_kernelINS0_13select_configILj256ELj13ELNS0_17block_load_methodE3ELS4_3ELS4_3ELNS0_20block_scan_algorithmE0ELj4294967295EEENS1_25partition_config_selectorILNS1_17partition_subalgoE3EjNS0_10empty_typeEbEEZZNS1_14partition_implILS8_3ELb0ES6_jNS0_17counting_iteratorIjlEEPS9_SE_NS0_5tupleIJPjSE_EEENSF_IJSE_SE_EEES9_SG_JZNS1_25segmented_radix_sort_implINS0_14default_configELb1EPKbPbPKlPlN2at6native12_GLOBAL__N_18offset_tEEE10hipError_tPvRmT1_PNSt15iterator_traitsISY_E10value_typeET2_T3_PNSZ_IS14_E10value_typeET4_jRbjT5_S1A_jjP12ihipStream_tbEUljE_EEESV_SW_SX_S14_S18_S1A_T6_T7_T9_mT8_S1C_bDpT10_ENKUlT_T0_E_clISt17integral_constantIbLb0EES1O_IbLb1EEEEDaS1K_S1L_EUlS1K_E_NS1_11comp_targetILNS1_3genE9ELNS1_11target_archE1100ELNS1_3gpuE3ELNS1_3repE0EEENS1_30default_config_static_selectorELNS0_4arch9wavefront6targetE0EEEvSY_,@function
_ZN7rocprim17ROCPRIM_400000_NS6detail17trampoline_kernelINS0_13select_configILj256ELj13ELNS0_17block_load_methodE3ELS4_3ELS4_3ELNS0_20block_scan_algorithmE0ELj4294967295EEENS1_25partition_config_selectorILNS1_17partition_subalgoE3EjNS0_10empty_typeEbEEZZNS1_14partition_implILS8_3ELb0ES6_jNS0_17counting_iteratorIjlEEPS9_SE_NS0_5tupleIJPjSE_EEENSF_IJSE_SE_EEES9_SG_JZNS1_25segmented_radix_sort_implINS0_14default_configELb1EPKbPbPKlPlN2at6native12_GLOBAL__N_18offset_tEEE10hipError_tPvRmT1_PNSt15iterator_traitsISY_E10value_typeET2_T3_PNSZ_IS14_E10value_typeET4_jRbjT5_S1A_jjP12ihipStream_tbEUljE_EEESV_SW_SX_S14_S18_S1A_T6_T7_T9_mT8_S1C_bDpT10_ENKUlT_T0_E_clISt17integral_constantIbLb0EES1O_IbLb1EEEEDaS1K_S1L_EUlS1K_E_NS1_11comp_targetILNS1_3genE9ELNS1_11target_archE1100ELNS1_3gpuE3ELNS1_3repE0EEENS1_30default_config_static_selectorELNS0_4arch9wavefront6targetE0EEEvSY_: ; @_ZN7rocprim17ROCPRIM_400000_NS6detail17trampoline_kernelINS0_13select_configILj256ELj13ELNS0_17block_load_methodE3ELS4_3ELS4_3ELNS0_20block_scan_algorithmE0ELj4294967295EEENS1_25partition_config_selectorILNS1_17partition_subalgoE3EjNS0_10empty_typeEbEEZZNS1_14partition_implILS8_3ELb0ES6_jNS0_17counting_iteratorIjlEEPS9_SE_NS0_5tupleIJPjSE_EEENSF_IJSE_SE_EEES9_SG_JZNS1_25segmented_radix_sort_implINS0_14default_configELb1EPKbPbPKlPlN2at6native12_GLOBAL__N_18offset_tEEE10hipError_tPvRmT1_PNSt15iterator_traitsISY_E10value_typeET2_T3_PNSZ_IS14_E10value_typeET4_jRbjT5_S1A_jjP12ihipStream_tbEUljE_EEESV_SW_SX_S14_S18_S1A_T6_T7_T9_mT8_S1C_bDpT10_ENKUlT_T0_E_clISt17integral_constantIbLb0EES1O_IbLb1EEEEDaS1K_S1L_EUlS1K_E_NS1_11comp_targetILNS1_3genE9ELNS1_11target_archE1100ELNS1_3gpuE3ELNS1_3repE0EEENS1_30default_config_static_selectorELNS0_4arch9wavefront6targetE0EEEvSY_
; %bb.0:
	.section	.rodata,"a",@progbits
	.p2align	6, 0x0
	.amdhsa_kernel _ZN7rocprim17ROCPRIM_400000_NS6detail17trampoline_kernelINS0_13select_configILj256ELj13ELNS0_17block_load_methodE3ELS4_3ELS4_3ELNS0_20block_scan_algorithmE0ELj4294967295EEENS1_25partition_config_selectorILNS1_17partition_subalgoE3EjNS0_10empty_typeEbEEZZNS1_14partition_implILS8_3ELb0ES6_jNS0_17counting_iteratorIjlEEPS9_SE_NS0_5tupleIJPjSE_EEENSF_IJSE_SE_EEES9_SG_JZNS1_25segmented_radix_sort_implINS0_14default_configELb1EPKbPbPKlPlN2at6native12_GLOBAL__N_18offset_tEEE10hipError_tPvRmT1_PNSt15iterator_traitsISY_E10value_typeET2_T3_PNSZ_IS14_E10value_typeET4_jRbjT5_S1A_jjP12ihipStream_tbEUljE_EEESV_SW_SX_S14_S18_S1A_T6_T7_T9_mT8_S1C_bDpT10_ENKUlT_T0_E_clISt17integral_constantIbLb0EES1O_IbLb1EEEEDaS1K_S1L_EUlS1K_E_NS1_11comp_targetILNS1_3genE9ELNS1_11target_archE1100ELNS1_3gpuE3ELNS1_3repE0EEENS1_30default_config_static_selectorELNS0_4arch9wavefront6targetE0EEEvSY_
		.amdhsa_group_segment_fixed_size 0
		.amdhsa_private_segment_fixed_size 0
		.amdhsa_kernarg_size 152
		.amdhsa_user_sgpr_count 6
		.amdhsa_user_sgpr_private_segment_buffer 1
		.amdhsa_user_sgpr_dispatch_ptr 0
		.amdhsa_user_sgpr_queue_ptr 0
		.amdhsa_user_sgpr_kernarg_segment_ptr 1
		.amdhsa_user_sgpr_dispatch_id 0
		.amdhsa_user_sgpr_flat_scratch_init 0
		.amdhsa_user_sgpr_private_segment_size 0
		.amdhsa_wavefront_size32 1
		.amdhsa_uses_dynamic_stack 0
		.amdhsa_system_sgpr_private_segment_wavefront_offset 0
		.amdhsa_system_sgpr_workgroup_id_x 1
		.amdhsa_system_sgpr_workgroup_id_y 0
		.amdhsa_system_sgpr_workgroup_id_z 0
		.amdhsa_system_sgpr_workgroup_info 0
		.amdhsa_system_vgpr_workitem_id 0
		.amdhsa_next_free_vgpr 1
		.amdhsa_next_free_sgpr 1
		.amdhsa_reserve_vcc 0
		.amdhsa_reserve_flat_scratch 0
		.amdhsa_float_round_mode_32 0
		.amdhsa_float_round_mode_16_64 0
		.amdhsa_float_denorm_mode_32 3
		.amdhsa_float_denorm_mode_16_64 3
		.amdhsa_dx10_clamp 1
		.amdhsa_ieee_mode 1
		.amdhsa_fp16_overflow 0
		.amdhsa_workgroup_processor_mode 1
		.amdhsa_memory_ordered 1
		.amdhsa_forward_progress 1
		.amdhsa_shared_vgpr_count 0
		.amdhsa_exception_fp_ieee_invalid_op 0
		.amdhsa_exception_fp_denorm_src 0
		.amdhsa_exception_fp_ieee_div_zero 0
		.amdhsa_exception_fp_ieee_overflow 0
		.amdhsa_exception_fp_ieee_underflow 0
		.amdhsa_exception_fp_ieee_inexact 0
		.amdhsa_exception_int_div_zero 0
	.end_amdhsa_kernel
	.section	.text._ZN7rocprim17ROCPRIM_400000_NS6detail17trampoline_kernelINS0_13select_configILj256ELj13ELNS0_17block_load_methodE3ELS4_3ELS4_3ELNS0_20block_scan_algorithmE0ELj4294967295EEENS1_25partition_config_selectorILNS1_17partition_subalgoE3EjNS0_10empty_typeEbEEZZNS1_14partition_implILS8_3ELb0ES6_jNS0_17counting_iteratorIjlEEPS9_SE_NS0_5tupleIJPjSE_EEENSF_IJSE_SE_EEES9_SG_JZNS1_25segmented_radix_sort_implINS0_14default_configELb1EPKbPbPKlPlN2at6native12_GLOBAL__N_18offset_tEEE10hipError_tPvRmT1_PNSt15iterator_traitsISY_E10value_typeET2_T3_PNSZ_IS14_E10value_typeET4_jRbjT5_S1A_jjP12ihipStream_tbEUljE_EEESV_SW_SX_S14_S18_S1A_T6_T7_T9_mT8_S1C_bDpT10_ENKUlT_T0_E_clISt17integral_constantIbLb0EES1O_IbLb1EEEEDaS1K_S1L_EUlS1K_E_NS1_11comp_targetILNS1_3genE9ELNS1_11target_archE1100ELNS1_3gpuE3ELNS1_3repE0EEENS1_30default_config_static_selectorELNS0_4arch9wavefront6targetE0EEEvSY_,"axG",@progbits,_ZN7rocprim17ROCPRIM_400000_NS6detail17trampoline_kernelINS0_13select_configILj256ELj13ELNS0_17block_load_methodE3ELS4_3ELS4_3ELNS0_20block_scan_algorithmE0ELj4294967295EEENS1_25partition_config_selectorILNS1_17partition_subalgoE3EjNS0_10empty_typeEbEEZZNS1_14partition_implILS8_3ELb0ES6_jNS0_17counting_iteratorIjlEEPS9_SE_NS0_5tupleIJPjSE_EEENSF_IJSE_SE_EEES9_SG_JZNS1_25segmented_radix_sort_implINS0_14default_configELb1EPKbPbPKlPlN2at6native12_GLOBAL__N_18offset_tEEE10hipError_tPvRmT1_PNSt15iterator_traitsISY_E10value_typeET2_T3_PNSZ_IS14_E10value_typeET4_jRbjT5_S1A_jjP12ihipStream_tbEUljE_EEESV_SW_SX_S14_S18_S1A_T6_T7_T9_mT8_S1C_bDpT10_ENKUlT_T0_E_clISt17integral_constantIbLb0EES1O_IbLb1EEEEDaS1K_S1L_EUlS1K_E_NS1_11comp_targetILNS1_3genE9ELNS1_11target_archE1100ELNS1_3gpuE3ELNS1_3repE0EEENS1_30default_config_static_selectorELNS0_4arch9wavefront6targetE0EEEvSY_,comdat
.Lfunc_end1522:
	.size	_ZN7rocprim17ROCPRIM_400000_NS6detail17trampoline_kernelINS0_13select_configILj256ELj13ELNS0_17block_load_methodE3ELS4_3ELS4_3ELNS0_20block_scan_algorithmE0ELj4294967295EEENS1_25partition_config_selectorILNS1_17partition_subalgoE3EjNS0_10empty_typeEbEEZZNS1_14partition_implILS8_3ELb0ES6_jNS0_17counting_iteratorIjlEEPS9_SE_NS0_5tupleIJPjSE_EEENSF_IJSE_SE_EEES9_SG_JZNS1_25segmented_radix_sort_implINS0_14default_configELb1EPKbPbPKlPlN2at6native12_GLOBAL__N_18offset_tEEE10hipError_tPvRmT1_PNSt15iterator_traitsISY_E10value_typeET2_T3_PNSZ_IS14_E10value_typeET4_jRbjT5_S1A_jjP12ihipStream_tbEUljE_EEESV_SW_SX_S14_S18_S1A_T6_T7_T9_mT8_S1C_bDpT10_ENKUlT_T0_E_clISt17integral_constantIbLb0EES1O_IbLb1EEEEDaS1K_S1L_EUlS1K_E_NS1_11comp_targetILNS1_3genE9ELNS1_11target_archE1100ELNS1_3gpuE3ELNS1_3repE0EEENS1_30default_config_static_selectorELNS0_4arch9wavefront6targetE0EEEvSY_, .Lfunc_end1522-_ZN7rocprim17ROCPRIM_400000_NS6detail17trampoline_kernelINS0_13select_configILj256ELj13ELNS0_17block_load_methodE3ELS4_3ELS4_3ELNS0_20block_scan_algorithmE0ELj4294967295EEENS1_25partition_config_selectorILNS1_17partition_subalgoE3EjNS0_10empty_typeEbEEZZNS1_14partition_implILS8_3ELb0ES6_jNS0_17counting_iteratorIjlEEPS9_SE_NS0_5tupleIJPjSE_EEENSF_IJSE_SE_EEES9_SG_JZNS1_25segmented_radix_sort_implINS0_14default_configELb1EPKbPbPKlPlN2at6native12_GLOBAL__N_18offset_tEEE10hipError_tPvRmT1_PNSt15iterator_traitsISY_E10value_typeET2_T3_PNSZ_IS14_E10value_typeET4_jRbjT5_S1A_jjP12ihipStream_tbEUljE_EEESV_SW_SX_S14_S18_S1A_T6_T7_T9_mT8_S1C_bDpT10_ENKUlT_T0_E_clISt17integral_constantIbLb0EES1O_IbLb1EEEEDaS1K_S1L_EUlS1K_E_NS1_11comp_targetILNS1_3genE9ELNS1_11target_archE1100ELNS1_3gpuE3ELNS1_3repE0EEENS1_30default_config_static_selectorELNS0_4arch9wavefront6targetE0EEEvSY_
                                        ; -- End function
	.set _ZN7rocprim17ROCPRIM_400000_NS6detail17trampoline_kernelINS0_13select_configILj256ELj13ELNS0_17block_load_methodE3ELS4_3ELS4_3ELNS0_20block_scan_algorithmE0ELj4294967295EEENS1_25partition_config_selectorILNS1_17partition_subalgoE3EjNS0_10empty_typeEbEEZZNS1_14partition_implILS8_3ELb0ES6_jNS0_17counting_iteratorIjlEEPS9_SE_NS0_5tupleIJPjSE_EEENSF_IJSE_SE_EEES9_SG_JZNS1_25segmented_radix_sort_implINS0_14default_configELb1EPKbPbPKlPlN2at6native12_GLOBAL__N_18offset_tEEE10hipError_tPvRmT1_PNSt15iterator_traitsISY_E10value_typeET2_T3_PNSZ_IS14_E10value_typeET4_jRbjT5_S1A_jjP12ihipStream_tbEUljE_EEESV_SW_SX_S14_S18_S1A_T6_T7_T9_mT8_S1C_bDpT10_ENKUlT_T0_E_clISt17integral_constantIbLb0EES1O_IbLb1EEEEDaS1K_S1L_EUlS1K_E_NS1_11comp_targetILNS1_3genE9ELNS1_11target_archE1100ELNS1_3gpuE3ELNS1_3repE0EEENS1_30default_config_static_selectorELNS0_4arch9wavefront6targetE0EEEvSY_.num_vgpr, 0
	.set _ZN7rocprim17ROCPRIM_400000_NS6detail17trampoline_kernelINS0_13select_configILj256ELj13ELNS0_17block_load_methodE3ELS4_3ELS4_3ELNS0_20block_scan_algorithmE0ELj4294967295EEENS1_25partition_config_selectorILNS1_17partition_subalgoE3EjNS0_10empty_typeEbEEZZNS1_14partition_implILS8_3ELb0ES6_jNS0_17counting_iteratorIjlEEPS9_SE_NS0_5tupleIJPjSE_EEENSF_IJSE_SE_EEES9_SG_JZNS1_25segmented_radix_sort_implINS0_14default_configELb1EPKbPbPKlPlN2at6native12_GLOBAL__N_18offset_tEEE10hipError_tPvRmT1_PNSt15iterator_traitsISY_E10value_typeET2_T3_PNSZ_IS14_E10value_typeET4_jRbjT5_S1A_jjP12ihipStream_tbEUljE_EEESV_SW_SX_S14_S18_S1A_T6_T7_T9_mT8_S1C_bDpT10_ENKUlT_T0_E_clISt17integral_constantIbLb0EES1O_IbLb1EEEEDaS1K_S1L_EUlS1K_E_NS1_11comp_targetILNS1_3genE9ELNS1_11target_archE1100ELNS1_3gpuE3ELNS1_3repE0EEENS1_30default_config_static_selectorELNS0_4arch9wavefront6targetE0EEEvSY_.num_agpr, 0
	.set _ZN7rocprim17ROCPRIM_400000_NS6detail17trampoline_kernelINS0_13select_configILj256ELj13ELNS0_17block_load_methodE3ELS4_3ELS4_3ELNS0_20block_scan_algorithmE0ELj4294967295EEENS1_25partition_config_selectorILNS1_17partition_subalgoE3EjNS0_10empty_typeEbEEZZNS1_14partition_implILS8_3ELb0ES6_jNS0_17counting_iteratorIjlEEPS9_SE_NS0_5tupleIJPjSE_EEENSF_IJSE_SE_EEES9_SG_JZNS1_25segmented_radix_sort_implINS0_14default_configELb1EPKbPbPKlPlN2at6native12_GLOBAL__N_18offset_tEEE10hipError_tPvRmT1_PNSt15iterator_traitsISY_E10value_typeET2_T3_PNSZ_IS14_E10value_typeET4_jRbjT5_S1A_jjP12ihipStream_tbEUljE_EEESV_SW_SX_S14_S18_S1A_T6_T7_T9_mT8_S1C_bDpT10_ENKUlT_T0_E_clISt17integral_constantIbLb0EES1O_IbLb1EEEEDaS1K_S1L_EUlS1K_E_NS1_11comp_targetILNS1_3genE9ELNS1_11target_archE1100ELNS1_3gpuE3ELNS1_3repE0EEENS1_30default_config_static_selectorELNS0_4arch9wavefront6targetE0EEEvSY_.numbered_sgpr, 0
	.set _ZN7rocprim17ROCPRIM_400000_NS6detail17trampoline_kernelINS0_13select_configILj256ELj13ELNS0_17block_load_methodE3ELS4_3ELS4_3ELNS0_20block_scan_algorithmE0ELj4294967295EEENS1_25partition_config_selectorILNS1_17partition_subalgoE3EjNS0_10empty_typeEbEEZZNS1_14partition_implILS8_3ELb0ES6_jNS0_17counting_iteratorIjlEEPS9_SE_NS0_5tupleIJPjSE_EEENSF_IJSE_SE_EEES9_SG_JZNS1_25segmented_radix_sort_implINS0_14default_configELb1EPKbPbPKlPlN2at6native12_GLOBAL__N_18offset_tEEE10hipError_tPvRmT1_PNSt15iterator_traitsISY_E10value_typeET2_T3_PNSZ_IS14_E10value_typeET4_jRbjT5_S1A_jjP12ihipStream_tbEUljE_EEESV_SW_SX_S14_S18_S1A_T6_T7_T9_mT8_S1C_bDpT10_ENKUlT_T0_E_clISt17integral_constantIbLb0EES1O_IbLb1EEEEDaS1K_S1L_EUlS1K_E_NS1_11comp_targetILNS1_3genE9ELNS1_11target_archE1100ELNS1_3gpuE3ELNS1_3repE0EEENS1_30default_config_static_selectorELNS0_4arch9wavefront6targetE0EEEvSY_.num_named_barrier, 0
	.set _ZN7rocprim17ROCPRIM_400000_NS6detail17trampoline_kernelINS0_13select_configILj256ELj13ELNS0_17block_load_methodE3ELS4_3ELS4_3ELNS0_20block_scan_algorithmE0ELj4294967295EEENS1_25partition_config_selectorILNS1_17partition_subalgoE3EjNS0_10empty_typeEbEEZZNS1_14partition_implILS8_3ELb0ES6_jNS0_17counting_iteratorIjlEEPS9_SE_NS0_5tupleIJPjSE_EEENSF_IJSE_SE_EEES9_SG_JZNS1_25segmented_radix_sort_implINS0_14default_configELb1EPKbPbPKlPlN2at6native12_GLOBAL__N_18offset_tEEE10hipError_tPvRmT1_PNSt15iterator_traitsISY_E10value_typeET2_T3_PNSZ_IS14_E10value_typeET4_jRbjT5_S1A_jjP12ihipStream_tbEUljE_EEESV_SW_SX_S14_S18_S1A_T6_T7_T9_mT8_S1C_bDpT10_ENKUlT_T0_E_clISt17integral_constantIbLb0EES1O_IbLb1EEEEDaS1K_S1L_EUlS1K_E_NS1_11comp_targetILNS1_3genE9ELNS1_11target_archE1100ELNS1_3gpuE3ELNS1_3repE0EEENS1_30default_config_static_selectorELNS0_4arch9wavefront6targetE0EEEvSY_.private_seg_size, 0
	.set _ZN7rocprim17ROCPRIM_400000_NS6detail17trampoline_kernelINS0_13select_configILj256ELj13ELNS0_17block_load_methodE3ELS4_3ELS4_3ELNS0_20block_scan_algorithmE0ELj4294967295EEENS1_25partition_config_selectorILNS1_17partition_subalgoE3EjNS0_10empty_typeEbEEZZNS1_14partition_implILS8_3ELb0ES6_jNS0_17counting_iteratorIjlEEPS9_SE_NS0_5tupleIJPjSE_EEENSF_IJSE_SE_EEES9_SG_JZNS1_25segmented_radix_sort_implINS0_14default_configELb1EPKbPbPKlPlN2at6native12_GLOBAL__N_18offset_tEEE10hipError_tPvRmT1_PNSt15iterator_traitsISY_E10value_typeET2_T3_PNSZ_IS14_E10value_typeET4_jRbjT5_S1A_jjP12ihipStream_tbEUljE_EEESV_SW_SX_S14_S18_S1A_T6_T7_T9_mT8_S1C_bDpT10_ENKUlT_T0_E_clISt17integral_constantIbLb0EES1O_IbLb1EEEEDaS1K_S1L_EUlS1K_E_NS1_11comp_targetILNS1_3genE9ELNS1_11target_archE1100ELNS1_3gpuE3ELNS1_3repE0EEENS1_30default_config_static_selectorELNS0_4arch9wavefront6targetE0EEEvSY_.uses_vcc, 0
	.set _ZN7rocprim17ROCPRIM_400000_NS6detail17trampoline_kernelINS0_13select_configILj256ELj13ELNS0_17block_load_methodE3ELS4_3ELS4_3ELNS0_20block_scan_algorithmE0ELj4294967295EEENS1_25partition_config_selectorILNS1_17partition_subalgoE3EjNS0_10empty_typeEbEEZZNS1_14partition_implILS8_3ELb0ES6_jNS0_17counting_iteratorIjlEEPS9_SE_NS0_5tupleIJPjSE_EEENSF_IJSE_SE_EEES9_SG_JZNS1_25segmented_radix_sort_implINS0_14default_configELb1EPKbPbPKlPlN2at6native12_GLOBAL__N_18offset_tEEE10hipError_tPvRmT1_PNSt15iterator_traitsISY_E10value_typeET2_T3_PNSZ_IS14_E10value_typeET4_jRbjT5_S1A_jjP12ihipStream_tbEUljE_EEESV_SW_SX_S14_S18_S1A_T6_T7_T9_mT8_S1C_bDpT10_ENKUlT_T0_E_clISt17integral_constantIbLb0EES1O_IbLb1EEEEDaS1K_S1L_EUlS1K_E_NS1_11comp_targetILNS1_3genE9ELNS1_11target_archE1100ELNS1_3gpuE3ELNS1_3repE0EEENS1_30default_config_static_selectorELNS0_4arch9wavefront6targetE0EEEvSY_.uses_flat_scratch, 0
	.set _ZN7rocprim17ROCPRIM_400000_NS6detail17trampoline_kernelINS0_13select_configILj256ELj13ELNS0_17block_load_methodE3ELS4_3ELS4_3ELNS0_20block_scan_algorithmE0ELj4294967295EEENS1_25partition_config_selectorILNS1_17partition_subalgoE3EjNS0_10empty_typeEbEEZZNS1_14partition_implILS8_3ELb0ES6_jNS0_17counting_iteratorIjlEEPS9_SE_NS0_5tupleIJPjSE_EEENSF_IJSE_SE_EEES9_SG_JZNS1_25segmented_radix_sort_implINS0_14default_configELb1EPKbPbPKlPlN2at6native12_GLOBAL__N_18offset_tEEE10hipError_tPvRmT1_PNSt15iterator_traitsISY_E10value_typeET2_T3_PNSZ_IS14_E10value_typeET4_jRbjT5_S1A_jjP12ihipStream_tbEUljE_EEESV_SW_SX_S14_S18_S1A_T6_T7_T9_mT8_S1C_bDpT10_ENKUlT_T0_E_clISt17integral_constantIbLb0EES1O_IbLb1EEEEDaS1K_S1L_EUlS1K_E_NS1_11comp_targetILNS1_3genE9ELNS1_11target_archE1100ELNS1_3gpuE3ELNS1_3repE0EEENS1_30default_config_static_selectorELNS0_4arch9wavefront6targetE0EEEvSY_.has_dyn_sized_stack, 0
	.set _ZN7rocprim17ROCPRIM_400000_NS6detail17trampoline_kernelINS0_13select_configILj256ELj13ELNS0_17block_load_methodE3ELS4_3ELS4_3ELNS0_20block_scan_algorithmE0ELj4294967295EEENS1_25partition_config_selectorILNS1_17partition_subalgoE3EjNS0_10empty_typeEbEEZZNS1_14partition_implILS8_3ELb0ES6_jNS0_17counting_iteratorIjlEEPS9_SE_NS0_5tupleIJPjSE_EEENSF_IJSE_SE_EEES9_SG_JZNS1_25segmented_radix_sort_implINS0_14default_configELb1EPKbPbPKlPlN2at6native12_GLOBAL__N_18offset_tEEE10hipError_tPvRmT1_PNSt15iterator_traitsISY_E10value_typeET2_T3_PNSZ_IS14_E10value_typeET4_jRbjT5_S1A_jjP12ihipStream_tbEUljE_EEESV_SW_SX_S14_S18_S1A_T6_T7_T9_mT8_S1C_bDpT10_ENKUlT_T0_E_clISt17integral_constantIbLb0EES1O_IbLb1EEEEDaS1K_S1L_EUlS1K_E_NS1_11comp_targetILNS1_3genE9ELNS1_11target_archE1100ELNS1_3gpuE3ELNS1_3repE0EEENS1_30default_config_static_selectorELNS0_4arch9wavefront6targetE0EEEvSY_.has_recursion, 0
	.set _ZN7rocprim17ROCPRIM_400000_NS6detail17trampoline_kernelINS0_13select_configILj256ELj13ELNS0_17block_load_methodE3ELS4_3ELS4_3ELNS0_20block_scan_algorithmE0ELj4294967295EEENS1_25partition_config_selectorILNS1_17partition_subalgoE3EjNS0_10empty_typeEbEEZZNS1_14partition_implILS8_3ELb0ES6_jNS0_17counting_iteratorIjlEEPS9_SE_NS0_5tupleIJPjSE_EEENSF_IJSE_SE_EEES9_SG_JZNS1_25segmented_radix_sort_implINS0_14default_configELb1EPKbPbPKlPlN2at6native12_GLOBAL__N_18offset_tEEE10hipError_tPvRmT1_PNSt15iterator_traitsISY_E10value_typeET2_T3_PNSZ_IS14_E10value_typeET4_jRbjT5_S1A_jjP12ihipStream_tbEUljE_EEESV_SW_SX_S14_S18_S1A_T6_T7_T9_mT8_S1C_bDpT10_ENKUlT_T0_E_clISt17integral_constantIbLb0EES1O_IbLb1EEEEDaS1K_S1L_EUlS1K_E_NS1_11comp_targetILNS1_3genE9ELNS1_11target_archE1100ELNS1_3gpuE3ELNS1_3repE0EEENS1_30default_config_static_selectorELNS0_4arch9wavefront6targetE0EEEvSY_.has_indirect_call, 0
	.section	.AMDGPU.csdata,"",@progbits
; Kernel info:
; codeLenInByte = 0
; TotalNumSgprs: 0
; NumVgprs: 0
; ScratchSize: 0
; MemoryBound: 0
; FloatMode: 240
; IeeeMode: 1
; LDSByteSize: 0 bytes/workgroup (compile time only)
; SGPRBlocks: 0
; VGPRBlocks: 0
; NumSGPRsForWavesPerEU: 1
; NumVGPRsForWavesPerEU: 1
; Occupancy: 16
; WaveLimiterHint : 0
; COMPUTE_PGM_RSRC2:SCRATCH_EN: 0
; COMPUTE_PGM_RSRC2:USER_SGPR: 6
; COMPUTE_PGM_RSRC2:TRAP_HANDLER: 0
; COMPUTE_PGM_RSRC2:TGID_X_EN: 1
; COMPUTE_PGM_RSRC2:TGID_Y_EN: 0
; COMPUTE_PGM_RSRC2:TGID_Z_EN: 0
; COMPUTE_PGM_RSRC2:TIDIG_COMP_CNT: 0
	.section	.text._ZN7rocprim17ROCPRIM_400000_NS6detail17trampoline_kernelINS0_13select_configILj256ELj13ELNS0_17block_load_methodE3ELS4_3ELS4_3ELNS0_20block_scan_algorithmE0ELj4294967295EEENS1_25partition_config_selectorILNS1_17partition_subalgoE3EjNS0_10empty_typeEbEEZZNS1_14partition_implILS8_3ELb0ES6_jNS0_17counting_iteratorIjlEEPS9_SE_NS0_5tupleIJPjSE_EEENSF_IJSE_SE_EEES9_SG_JZNS1_25segmented_radix_sort_implINS0_14default_configELb1EPKbPbPKlPlN2at6native12_GLOBAL__N_18offset_tEEE10hipError_tPvRmT1_PNSt15iterator_traitsISY_E10value_typeET2_T3_PNSZ_IS14_E10value_typeET4_jRbjT5_S1A_jjP12ihipStream_tbEUljE_EEESV_SW_SX_S14_S18_S1A_T6_T7_T9_mT8_S1C_bDpT10_ENKUlT_T0_E_clISt17integral_constantIbLb0EES1O_IbLb1EEEEDaS1K_S1L_EUlS1K_E_NS1_11comp_targetILNS1_3genE8ELNS1_11target_archE1030ELNS1_3gpuE2ELNS1_3repE0EEENS1_30default_config_static_selectorELNS0_4arch9wavefront6targetE0EEEvSY_,"axG",@progbits,_ZN7rocprim17ROCPRIM_400000_NS6detail17trampoline_kernelINS0_13select_configILj256ELj13ELNS0_17block_load_methodE3ELS4_3ELS4_3ELNS0_20block_scan_algorithmE0ELj4294967295EEENS1_25partition_config_selectorILNS1_17partition_subalgoE3EjNS0_10empty_typeEbEEZZNS1_14partition_implILS8_3ELb0ES6_jNS0_17counting_iteratorIjlEEPS9_SE_NS0_5tupleIJPjSE_EEENSF_IJSE_SE_EEES9_SG_JZNS1_25segmented_radix_sort_implINS0_14default_configELb1EPKbPbPKlPlN2at6native12_GLOBAL__N_18offset_tEEE10hipError_tPvRmT1_PNSt15iterator_traitsISY_E10value_typeET2_T3_PNSZ_IS14_E10value_typeET4_jRbjT5_S1A_jjP12ihipStream_tbEUljE_EEESV_SW_SX_S14_S18_S1A_T6_T7_T9_mT8_S1C_bDpT10_ENKUlT_T0_E_clISt17integral_constantIbLb0EES1O_IbLb1EEEEDaS1K_S1L_EUlS1K_E_NS1_11comp_targetILNS1_3genE8ELNS1_11target_archE1030ELNS1_3gpuE2ELNS1_3repE0EEENS1_30default_config_static_selectorELNS0_4arch9wavefront6targetE0EEEvSY_,comdat
	.globl	_ZN7rocprim17ROCPRIM_400000_NS6detail17trampoline_kernelINS0_13select_configILj256ELj13ELNS0_17block_load_methodE3ELS4_3ELS4_3ELNS0_20block_scan_algorithmE0ELj4294967295EEENS1_25partition_config_selectorILNS1_17partition_subalgoE3EjNS0_10empty_typeEbEEZZNS1_14partition_implILS8_3ELb0ES6_jNS0_17counting_iteratorIjlEEPS9_SE_NS0_5tupleIJPjSE_EEENSF_IJSE_SE_EEES9_SG_JZNS1_25segmented_radix_sort_implINS0_14default_configELb1EPKbPbPKlPlN2at6native12_GLOBAL__N_18offset_tEEE10hipError_tPvRmT1_PNSt15iterator_traitsISY_E10value_typeET2_T3_PNSZ_IS14_E10value_typeET4_jRbjT5_S1A_jjP12ihipStream_tbEUljE_EEESV_SW_SX_S14_S18_S1A_T6_T7_T9_mT8_S1C_bDpT10_ENKUlT_T0_E_clISt17integral_constantIbLb0EES1O_IbLb1EEEEDaS1K_S1L_EUlS1K_E_NS1_11comp_targetILNS1_3genE8ELNS1_11target_archE1030ELNS1_3gpuE2ELNS1_3repE0EEENS1_30default_config_static_selectorELNS0_4arch9wavefront6targetE0EEEvSY_ ; -- Begin function _ZN7rocprim17ROCPRIM_400000_NS6detail17trampoline_kernelINS0_13select_configILj256ELj13ELNS0_17block_load_methodE3ELS4_3ELS4_3ELNS0_20block_scan_algorithmE0ELj4294967295EEENS1_25partition_config_selectorILNS1_17partition_subalgoE3EjNS0_10empty_typeEbEEZZNS1_14partition_implILS8_3ELb0ES6_jNS0_17counting_iteratorIjlEEPS9_SE_NS0_5tupleIJPjSE_EEENSF_IJSE_SE_EEES9_SG_JZNS1_25segmented_radix_sort_implINS0_14default_configELb1EPKbPbPKlPlN2at6native12_GLOBAL__N_18offset_tEEE10hipError_tPvRmT1_PNSt15iterator_traitsISY_E10value_typeET2_T3_PNSZ_IS14_E10value_typeET4_jRbjT5_S1A_jjP12ihipStream_tbEUljE_EEESV_SW_SX_S14_S18_S1A_T6_T7_T9_mT8_S1C_bDpT10_ENKUlT_T0_E_clISt17integral_constantIbLb0EES1O_IbLb1EEEEDaS1K_S1L_EUlS1K_E_NS1_11comp_targetILNS1_3genE8ELNS1_11target_archE1030ELNS1_3gpuE2ELNS1_3repE0EEENS1_30default_config_static_selectorELNS0_4arch9wavefront6targetE0EEEvSY_
	.p2align	8
	.type	_ZN7rocprim17ROCPRIM_400000_NS6detail17trampoline_kernelINS0_13select_configILj256ELj13ELNS0_17block_load_methodE3ELS4_3ELS4_3ELNS0_20block_scan_algorithmE0ELj4294967295EEENS1_25partition_config_selectorILNS1_17partition_subalgoE3EjNS0_10empty_typeEbEEZZNS1_14partition_implILS8_3ELb0ES6_jNS0_17counting_iteratorIjlEEPS9_SE_NS0_5tupleIJPjSE_EEENSF_IJSE_SE_EEES9_SG_JZNS1_25segmented_radix_sort_implINS0_14default_configELb1EPKbPbPKlPlN2at6native12_GLOBAL__N_18offset_tEEE10hipError_tPvRmT1_PNSt15iterator_traitsISY_E10value_typeET2_T3_PNSZ_IS14_E10value_typeET4_jRbjT5_S1A_jjP12ihipStream_tbEUljE_EEESV_SW_SX_S14_S18_S1A_T6_T7_T9_mT8_S1C_bDpT10_ENKUlT_T0_E_clISt17integral_constantIbLb0EES1O_IbLb1EEEEDaS1K_S1L_EUlS1K_E_NS1_11comp_targetILNS1_3genE8ELNS1_11target_archE1030ELNS1_3gpuE2ELNS1_3repE0EEENS1_30default_config_static_selectorELNS0_4arch9wavefront6targetE0EEEvSY_,@function
_ZN7rocprim17ROCPRIM_400000_NS6detail17trampoline_kernelINS0_13select_configILj256ELj13ELNS0_17block_load_methodE3ELS4_3ELS4_3ELNS0_20block_scan_algorithmE0ELj4294967295EEENS1_25partition_config_selectorILNS1_17partition_subalgoE3EjNS0_10empty_typeEbEEZZNS1_14partition_implILS8_3ELb0ES6_jNS0_17counting_iteratorIjlEEPS9_SE_NS0_5tupleIJPjSE_EEENSF_IJSE_SE_EEES9_SG_JZNS1_25segmented_radix_sort_implINS0_14default_configELb1EPKbPbPKlPlN2at6native12_GLOBAL__N_18offset_tEEE10hipError_tPvRmT1_PNSt15iterator_traitsISY_E10value_typeET2_T3_PNSZ_IS14_E10value_typeET4_jRbjT5_S1A_jjP12ihipStream_tbEUljE_EEESV_SW_SX_S14_S18_S1A_T6_T7_T9_mT8_S1C_bDpT10_ENKUlT_T0_E_clISt17integral_constantIbLb0EES1O_IbLb1EEEEDaS1K_S1L_EUlS1K_E_NS1_11comp_targetILNS1_3genE8ELNS1_11target_archE1030ELNS1_3gpuE2ELNS1_3repE0EEENS1_30default_config_static_selectorELNS0_4arch9wavefront6targetE0EEEvSY_: ; @_ZN7rocprim17ROCPRIM_400000_NS6detail17trampoline_kernelINS0_13select_configILj256ELj13ELNS0_17block_load_methodE3ELS4_3ELS4_3ELNS0_20block_scan_algorithmE0ELj4294967295EEENS1_25partition_config_selectorILNS1_17partition_subalgoE3EjNS0_10empty_typeEbEEZZNS1_14partition_implILS8_3ELb0ES6_jNS0_17counting_iteratorIjlEEPS9_SE_NS0_5tupleIJPjSE_EEENSF_IJSE_SE_EEES9_SG_JZNS1_25segmented_radix_sort_implINS0_14default_configELb1EPKbPbPKlPlN2at6native12_GLOBAL__N_18offset_tEEE10hipError_tPvRmT1_PNSt15iterator_traitsISY_E10value_typeET2_T3_PNSZ_IS14_E10value_typeET4_jRbjT5_S1A_jjP12ihipStream_tbEUljE_EEESV_SW_SX_S14_S18_S1A_T6_T7_T9_mT8_S1C_bDpT10_ENKUlT_T0_E_clISt17integral_constantIbLb0EES1O_IbLb1EEEEDaS1K_S1L_EUlS1K_E_NS1_11comp_targetILNS1_3genE8ELNS1_11target_archE1030ELNS1_3gpuE2ELNS1_3repE0EEENS1_30default_config_static_selectorELNS0_4arch9wavefront6targetE0EEEvSY_
; %bb.0:
	s_clause 0x6
	s_load_dwordx2 s[18:19], s[4:5], 0x10
	s_load_dwordx2 s[16:17], s[4:5], 0x28
	;; [unrolled: 1-line block ×3, first 2 shown]
	s_load_dwordx4 s[12:15], s[4:5], 0x48
	s_load_dword s2, s[4:5], 0x90
	s_load_dwordx2 s[22:23], s[4:5], 0x68
	s_load_dwordx4 s[8:11], s[4:5], 0x80
	v_cmp_eq_u32_e64 s0, 0, v0
	s_and_saveexec_b32 s1, s0
	s_cbranch_execz .LBB1523_4
; %bb.1:
	s_mov_b32 s6, exec_lo
	s_mov_b32 s3, exec_lo
	v_mbcnt_lo_u32_b32 v1, s6, 0
                                        ; implicit-def: $vgpr2
	v_cmpx_eq_u32_e32 0, v1
	s_cbranch_execz .LBB1523_3
; %bb.2:
	s_load_dwordx2 s[24:25], s[4:5], 0x78
	s_bcnt1_i32_b32 s6, s6
	v_mov_b32_e32 v2, 0
	v_mov_b32_e32 v3, s6
	s_waitcnt lgkmcnt(0)
	global_atomic_add v2, v2, v3, s[24:25] glc
.LBB1523_3:
	s_or_b32 exec_lo, exec_lo, s3
	s_waitcnt vmcnt(0)
	v_readfirstlane_b32 s3, v2
	v_mov_b32_e32 v2, 0
	v_add_nc_u32_e32 v1, s3, v1
	ds_write_b32 v2, v1
.LBB1523_4:
	s_or_b32 exec_lo, exec_lo, s1
	v_mov_b32_e32 v1, 0
	s_clause 0x1
	s_load_dword s3, s[4:5], 0x8
	s_load_dword s1, s[4:5], 0x70
	s_waitcnt lgkmcnt(0)
	s_barrier
	buffer_gl0_inv
	ds_read_b32 v2, v1
	s_waitcnt lgkmcnt(0)
	s_barrier
	buffer_gl0_inv
	global_load_dwordx2 v[18:19], v1, s[14:15]
	v_lshlrev_b32_e32 v44, 2, v0
	s_add_i32 s4, s3, s18
	s_mul_i32 s5, s1, 0xd00
	s_add_i32 s1, s1, -1
	s_add_i32 s3, s5, s18
	s_sub_i32 s15, s20, s3
	v_readfirstlane_b32 s25, v2
	s_addk_i32 s15, 0xd00
	s_add_u32 s6, s18, s5
	s_addc_u32 s7, s19, 0
	v_cmp_ne_u32_e32 vcc_lo, s1, v2
	v_cmp_gt_u64_e64 s3, s[20:21], s[6:7]
	s_cmp_eq_u32 s25, s1
	s_mul_i32 s24, s25, 0xd00
	s_cselect_b32 s14, -1, 0
	s_mov_b32 s5, -1
	s_or_b32 s3, s3, vcc_lo
	s_and_b32 vcc_lo, exec_lo, s3
	s_cbranch_vccz .LBB1523_6
; %bb.5:
	v_add3_u32 v1, s24, s4, v0
	s_mov_b32 s5, 0
	v_add_nc_u32_e32 v2, 0x100, v1
	v_add_nc_u32_e32 v3, 0x200, v1
	;; [unrolled: 1-line block ×12, first 2 shown]
	ds_write2st64_b32 v44, v1, v2 offset1:4
	ds_write2st64_b32 v44, v3, v4 offset0:8 offset1:12
	ds_write2st64_b32 v44, v5, v6 offset0:16 offset1:20
	;; [unrolled: 1-line block ×5, first 2 shown]
	ds_write_b32 v44, v13 offset:12288
	s_waitcnt vmcnt(0) lgkmcnt(0)
	s_barrier
.LBB1523_6:
	v_cmp_gt_u32_e64 s1, s15, v0
	v_or_b32_e32 v43, 0x100, v0
	v_or_b32_e32 v42, 0x200, v0
	v_or_b32_e32 v41, 0x300, v0
	v_or_b32_e32 v40, 0x400, v0
	v_or_b32_e32 v39, 0x500, v0
	v_or_b32_e32 v38, 0x600, v0
	v_or_b32_e32 v37, 0x700, v0
	v_or_b32_e32 v36, 0x800, v0
	v_or_b32_e32 v35, 0x900, v0
	v_or_b32_e32 v34, 0xa00, v0
	v_or_b32_e32 v33, 0xb00, v0
	v_or_b32_e32 v32, 0xc00, v0
	s_andn2_b32 vcc_lo, exec_lo, s5
	s_cbranch_vccnz .LBB1523_8
; %bb.7:
	s_add_i32 s4, s24, s4
	v_cmp_gt_u32_e32 vcc_lo, s15, v43
	v_add_nc_u32_e32 v2, s4, v43
	v_add_nc_u32_e32 v3, s4, v42
	;; [unrolled: 1-line block ×5, first 2 shown]
	v_cndmask_b32_e32 v2, 0, v2, vcc_lo
	v_cmp_gt_u32_e32 vcc_lo, s15, v42
	v_add_nc_u32_e32 v7, s4, v38
	v_add_nc_u32_e32 v8, s4, v37
	;; [unrolled: 1-line block ×4, first 2 shown]
	v_cndmask_b32_e32 v3, 0, v3, vcc_lo
	v_cmp_gt_u32_e32 vcc_lo, s15, v41
	v_add_nc_u32_e32 v11, s4, v34
	v_add_nc_u32_e32 v1, s4, v0
	v_add_nc_u32_e32 v12, s4, v33
	v_add_nc_u32_e32 v13, s4, v32
	v_cndmask_b32_e32 v4, 0, v4, vcc_lo
	v_cmp_gt_u32_e32 vcc_lo, s15, v40
	v_cndmask_b32_e64 v1, 0, v1, s1
	v_cndmask_b32_e32 v5, 0, v5, vcc_lo
	v_cmp_gt_u32_e32 vcc_lo, s15, v39
	v_cndmask_b32_e32 v6, 0, v6, vcc_lo
	v_cmp_gt_u32_e32 vcc_lo, s15, v38
	;; [unrolled: 2-line block ×8, first 2 shown]
	v_cndmask_b32_e32 v13, 0, v13, vcc_lo
	ds_write2st64_b32 v44, v1, v2 offset1:4
	ds_write2st64_b32 v44, v3, v4 offset0:8 offset1:12
	ds_write2st64_b32 v44, v5, v6 offset0:16 offset1:20
	;; [unrolled: 1-line block ×5, first 2 shown]
	ds_write_b32 v44, v13 offset:12288
	s_waitcnt vmcnt(0) lgkmcnt(0)
	s_barrier
.LBB1523_8:
	v_mul_u32_u24_e32 v47, 13, v0
	s_waitcnt vmcnt(0)
	buffer_gl0_inv
	v_cndmask_b32_e64 v45, 0, 1, s3
	s_andn2_b32 vcc_lo, exec_lo, s3
	v_lshlrev_b32_e32 v1, 2, v47
	ds_read2_b32 v[28:29], v1 offset0:2 offset1:3
	ds_read2_b32 v[24:25], v1 offset0:6 offset1:7
	;; [unrolled: 1-line block ×3, first 2 shown]
	ds_read2_b32 v[30:31], v1 offset1:1
	ds_read2_b32 v[20:21], v1 offset0:10 offset1:11
	ds_read_b32 v46, v1 offset:48
	ds_read2_b32 v[22:23], v1 offset0:8 offset1:9
	s_waitcnt lgkmcnt(0)
	s_barrier
	buffer_gl0_inv
	s_cbranch_vccnz .LBB1523_10
; %bb.9:
	v_add_nc_u32_e32 v1, s9, v29
	v_add_nc_u32_e32 v4, s9, v28
	;; [unrolled: 1-line block ×6, first 2 shown]
	v_mul_lo_u32 v4, v4, s8
	v_mul_lo_u32 v1, v1, s8
	v_mul_lo_u32 v5, v5, s10
	v_mul_lo_u32 v8, v8, s10
	v_add_nc_u32_e32 v3, s9, v30
	v_add_nc_u32_e32 v7, s11, v30
	v_mul_lo_u32 v2, v2, s8
	v_mul_lo_u32 v6, v6, s10
	v_add_nc_u32_e32 v10, s11, v27
	v_mul_lo_u32 v3, v3, s8
	v_mul_lo_u32 v7, v7, s10
	v_sub_nc_u32_e32 v1, v1, v5
	v_sub_nc_u32_e32 v4, v4, v8
	v_add_nc_u32_e32 v5, s9, v25
	v_add_nc_u32_e32 v8, s11, v25
	v_sub_nc_u32_e32 v2, v2, v6
	v_add_nc_u32_e32 v6, s9, v27
	v_add_nc_u32_e32 v9, s9, v24
	v_mul_lo_u32 v5, v5, s8
	v_mul_lo_u32 v8, v8, s10
	v_sub_nc_u32_e32 v3, v3, v7
	v_add_nc_u32_e32 v7, s9, v26
	v_add_nc_u32_e32 v11, s11, v24
	v_mul_lo_u32 v6, v6, s8
	v_mul_lo_u32 v10, v10, s10
	v_add_nc_u32_e32 v12, s11, v26
	v_mul_lo_u32 v9, v9, s8
	v_mul_lo_u32 v7, v7, s8
	;; [unrolled: 1-line block ×3, first 2 shown]
	v_sub_nc_u32_e32 v5, v5, v8
	v_mul_lo_u32 v8, v12, s10
	v_cmp_lt_u32_e32 vcc_lo, s2, v1
	v_sub_nc_u32_e32 v6, v6, v10
	v_add_nc_u32_e32 v10, s9, v21
	v_add_nc_u32_e32 v14, s11, v21
	;; [unrolled: 1-line block ×3, first 2 shown]
	v_cndmask_b32_e64 v1, 0, 1, vcc_lo
	v_cmp_lt_u32_e32 vcc_lo, s2, v2
	v_sub_nc_u32_e32 v7, v7, v8
	v_sub_nc_u32_e32 v8, v9, v11
	v_add_nc_u32_e32 v11, s9, v23
	v_mul_lo_u32 v10, v10, s8
	v_mul_lo_u32 v14, v14, s10
	v_cndmask_b32_e64 v2, 0, 1, vcc_lo
	v_cmp_lt_u32_e32 vcc_lo, s2, v5
	v_mul_lo_u32 v11, v11, s8
	v_mul_lo_u32 v15, v15, s10
	v_mov_b32_e32 v9, 8
	v_lshlrev_b16 v2, 8, v2
	v_cndmask_b32_e64 v5, 0, 1, vcc_lo
	v_cmp_lt_u32_e32 vcc_lo, s2, v6
	v_sub_nc_u32_e32 v10, v10, v14
	v_add_nc_u32_e32 v12, s9, v22
	v_add_nc_u32_e32 v16, s11, v22
	v_sub_nc_u32_e32 v11, v11, v15
	v_cndmask_b32_e64 v6, 0, 1, vcc_lo
	v_cmp_lt_u32_e32 vcc_lo, s2, v10
	v_lshrrev_b32_sdwa v2, v9, v2 dst_sel:BYTE_1 dst_unused:UNUSED_PAD src0_sel:DWORD src1_sel:DWORD
	v_add_nc_u32_e32 v13, s9, v20
	v_add_nc_u32_e32 v17, s11, v20
	v_mul_lo_u32 v12, v12, s8
	v_cndmask_b32_e64 v10, 0, 1, vcc_lo
	v_cmp_lt_u32_e32 vcc_lo, s2, v11
	v_mul_lo_u32 v16, v16, s10
	v_mul_lo_u32 v13, v13, s8
	;; [unrolled: 1-line block ×3, first 2 shown]
	v_add_nc_u32_e32 v14, s9, v46
	v_cndmask_b32_e64 v11, 0, 1, vcc_lo
	v_cmp_lt_u32_e32 vcc_lo, s2, v3
	v_add_nc_u32_e32 v15, s11, v46
	v_lshlrev_b16 v1, 8, v1
	v_sub_nc_u32_e32 v12, v12, v16
	v_lshlrev_b16 v11, 8, v11
	v_cndmask_b32_e64 v3, 0, 1, vcc_lo
	v_cmp_lt_u32_e32 vcc_lo, s2, v4
	v_sub_nc_u32_e32 v13, v13, v17
	v_mul_lo_u32 v14, v14, s8
	v_mul_lo_u32 v15, v15, s10
	v_or_b32_e32 v2, v3, v2
	v_cndmask_b32_e64 v3, 0, 1, vcc_lo
	v_cmp_lt_u32_e32 vcc_lo, s2, v7
	v_lshlrev_b16 v6, 8, v6
	v_lshlrev_b16 v10, 8, v10
	;; [unrolled: 1-line block ×3, first 2 shown]
	v_lshrrev_b32_sdwa v1, v9, v1 dst_sel:BYTE_1 dst_unused:UNUSED_PAD src0_sel:DWORD src1_sel:DWORD
	v_cndmask_b32_e64 v4, 0, 1, vcc_lo
	v_cmp_lt_u32_e32 vcc_lo, s2, v8
	v_lshrrev_b32_sdwa v8, v9, v11 dst_sel:BYTE_1 dst_unused:UNUSED_PAD src0_sel:DWORD src1_sel:DWORD
	v_lshrrev_b32_sdwa v6, v9, v6 dst_sel:BYTE_1 dst_unused:UNUSED_PAD src0_sel:DWORD src1_sel:DWORD
	v_sub_nc_u32_e32 v14, v14, v15
	v_lshrrev_b32_sdwa v9, v9, v10 dst_sel:BYTE_1 dst_unused:UNUSED_PAD src0_sel:DWORD src1_sel:DWORD
	v_cndmask_b32_e64 v7, 0, 1, vcc_lo
	v_cmp_lt_u32_e32 vcc_lo, s2, v12
	v_or_b32_sdwa v1, v3, v1 dst_sel:WORD_1 dst_unused:UNUSED_PAD src0_sel:DWORD src1_sel:DWORD
	v_or_b32_e32 v3, v4, v6
	v_or_b32_sdwa v4, v7, v5 dst_sel:WORD_1 dst_unused:UNUSED_PAD src0_sel:DWORD src1_sel:DWORD
	v_cndmask_b32_e64 v11, 0, 1, vcc_lo
	v_cmp_lt_u32_e32 vcc_lo, s2, v13
	v_or_b32_sdwa v52, v2, v1 dst_sel:DWORD dst_unused:UNUSED_PAD src0_sel:WORD_0 src1_sel:DWORD
	v_or_b32_sdwa v50, v3, v4 dst_sel:DWORD dst_unused:UNUSED_PAD src0_sel:WORD_0 src1_sel:DWORD
	v_or_b32_e32 v5, v11, v8
	v_cndmask_b32_e64 v10, 0, 1, vcc_lo
	v_cmp_lt_u32_e32 vcc_lo, s2, v14
	v_or_b32_sdwa v6, v10, v9 dst_sel:WORD_1 dst_unused:UNUSED_PAD src0_sel:DWORD src1_sel:DWORD
	v_cndmask_b32_e64 v48, 0, 1, vcc_lo
	v_or_b32_sdwa v49, v5, v6 dst_sel:DWORD dst_unused:UNUSED_PAD src0_sel:WORD_0 src1_sel:DWORD
	s_cbranch_execz .LBB1523_11
	s_branch .LBB1523_38
.LBB1523_10:
                                        ; implicit-def: $vgpr48
                                        ; implicit-def: $vgpr49
                                        ; implicit-def: $vgpr50
                                        ; implicit-def: $vgpr52
.LBB1523_11:
	v_mov_b32_e32 v2, 0
	v_mov_b32_e32 v1, 0
	s_mov_b32 s1, exec_lo
	v_cmpx_gt_u32_e64 s15, v47
	s_cbranch_execz .LBB1523_13
; %bb.12:
	v_add_nc_u32_e32 v1, s9, v30
	v_add_nc_u32_e32 v3, s11, v30
	v_mul_lo_u32 v1, v1, s8
	v_mul_lo_u32 v3, v3, s10
	v_sub_nc_u32_e32 v1, v1, v3
	v_cmp_lt_u32_e32 vcc_lo, s2, v1
	v_cndmask_b32_e64 v1, 0, 1, vcc_lo
.LBB1523_13:
	s_or_b32 exec_lo, exec_lo, s1
	v_add_nc_u32_e32 v3, 1, v47
	s_mov_b32 s1, exec_lo
	v_cmpx_gt_u32_e64 s15, v3
	s_cbranch_execz .LBB1523_15
; %bb.14:
	v_add_nc_u32_e32 v2, s9, v31
	v_add_nc_u32_e32 v3, s11, v31
	v_mul_lo_u32 v2, v2, s8
	v_mul_lo_u32 v3, v3, s10
	v_sub_nc_u32_e32 v2, v2, v3
	v_cmp_lt_u32_e32 vcc_lo, s2, v2
	v_cndmask_b32_e64 v2, 0, 1, vcc_lo
.LBB1523_15:
	s_or_b32 exec_lo, exec_lo, s1
	v_add_nc_u32_e32 v3, 2, v47
	v_mov_b32_e32 v4, 0
	v_cmp_gt_u32_e32 vcc_lo, s15, v3
	v_mov_b32_e32 v3, 0
	s_and_saveexec_b32 s1, vcc_lo
	s_cbranch_execz .LBB1523_17
; %bb.16:
	v_add_nc_u32_e32 v3, s9, v28
	v_add_nc_u32_e32 v5, s11, v28
	v_mul_lo_u32 v3, v3, s8
	v_mul_lo_u32 v5, v5, s10
	v_sub_nc_u32_e32 v3, v3, v5
	v_cmp_lt_u32_e32 vcc_lo, s2, v3
	v_cndmask_b32_e64 v3, 0, 1, vcc_lo
.LBB1523_17:
	s_or_b32 exec_lo, exec_lo, s1
	v_add_nc_u32_e32 v5, 3, v47
	s_mov_b32 s1, exec_lo
	v_cmpx_gt_u32_e64 s15, v5
	s_cbranch_execz .LBB1523_19
; %bb.18:
	v_add_nc_u32_e32 v4, s9, v29
	v_add_nc_u32_e32 v5, s11, v29
	v_mul_lo_u32 v4, v4, s8
	v_mul_lo_u32 v5, v5, s10
	v_sub_nc_u32_e32 v4, v4, v5
	v_cmp_lt_u32_e32 vcc_lo, s2, v4
	v_cndmask_b32_e64 v4, 0, 1, vcc_lo
.LBB1523_19:
	s_or_b32 exec_lo, exec_lo, s1
	v_add_nc_u32_e32 v5, 4, v47
	v_mov_b32_e32 v6, 0
	v_cmp_gt_u32_e32 vcc_lo, s15, v5
	v_mov_b32_e32 v5, 0
	s_and_saveexec_b32 s1, vcc_lo
	;; [unrolled: 30-line block ×5, first 2 shown]
	s_cbranch_execz .LBB1523_33
; %bb.32:
	v_add_nc_u32_e32 v11, s9, v20
	v_add_nc_u32_e32 v13, s11, v20
	v_mul_lo_u32 v11, v11, s8
	v_mul_lo_u32 v13, v13, s10
	v_sub_nc_u32_e32 v11, v11, v13
	v_cmp_lt_u32_e32 vcc_lo, s2, v11
	v_cndmask_b32_e64 v11, 0, 1, vcc_lo
.LBB1523_33:
	s_or_b32 exec_lo, exec_lo, s1
	v_add_nc_u32_e32 v13, 11, v47
	s_mov_b32 s1, exec_lo
	v_cmpx_gt_u32_e64 s15, v13
	s_cbranch_execz .LBB1523_35
; %bb.34:
	v_add_nc_u32_e32 v12, s9, v21
	v_add_nc_u32_e32 v13, s11, v21
	v_mul_lo_u32 v12, v12, s8
	v_mul_lo_u32 v13, v13, s10
	v_sub_nc_u32_e32 v12, v12, v13
	v_cmp_lt_u32_e32 vcc_lo, s2, v12
	v_cndmask_b32_e64 v12, 0, 1, vcc_lo
.LBB1523_35:
	s_or_b32 exec_lo, exec_lo, s1
	v_add_nc_u32_e32 v13, 12, v47
	v_mov_b32_e32 v48, 0
	s_mov_b32 s1, exec_lo
	v_cmpx_gt_u32_e64 s15, v13
	s_cbranch_execz .LBB1523_37
; %bb.36:
	v_add_nc_u32_e32 v13, s9, v46
	v_add_nc_u32_e32 v14, s11, v46
	v_mul_lo_u32 v13, v13, s8
	v_mul_lo_u32 v14, v14, s10
	v_sub_nc_u32_e32 v13, v13, v14
	v_cmp_lt_u32_e32 vcc_lo, s2, v13
	v_cndmask_b32_e64 v48, 0, 1, vcc_lo
.LBB1523_37:
	s_or_b32 exec_lo, exec_lo, s1
	v_lshlrev_b16 v2, 8, v2
	v_lshlrev_b16 v4, 8, v4
	;; [unrolled: 1-line block ×5, first 2 shown]
	v_or_b32_e32 v1, v1, v2
	v_lshlrev_b16 v2, 8, v12
	v_or_b32_sdwa v3, v3, v4 dst_sel:WORD_1 dst_unused:UNUSED_PAD src0_sel:DWORD src1_sel:DWORD
	v_or_b32_e32 v4, v5, v6
	v_or_b32_sdwa v5, v7, v8 dst_sel:WORD_1 dst_unused:UNUSED_PAD src0_sel:DWORD src1_sel:DWORD
	v_or_b32_e32 v6, v9, v10
	v_or_b32_sdwa v2, v11, v2 dst_sel:WORD_1 dst_unused:UNUSED_PAD src0_sel:DWORD src1_sel:DWORD
	v_or_b32_sdwa v52, v1, v3 dst_sel:DWORD dst_unused:UNUSED_PAD src0_sel:WORD_0 src1_sel:DWORD
	v_or_b32_sdwa v50, v4, v5 dst_sel:DWORD dst_unused:UNUSED_PAD src0_sel:WORD_0 src1_sel:DWORD
	;; [unrolled: 1-line block ×3, first 2 shown]
.LBB1523_38:
	v_and_b32_e32 v55, 0xff, v52
	v_bfe_u32 v56, v52, 8, 8
	v_bfe_u32 v57, v52, 16, 8
	v_lshrrev_b32_e32 v54, 24, v52
	v_and_b32_e32 v58, 0xff, v50
	v_bfe_u32 v59, v50, 8, 8
	v_bfe_u32 v60, v50, 16, 8
	v_add3_u32 v1, v56, v55, v57
	v_lshrrev_b32_e32 v53, 24, v50
	v_and_b32_e32 v61, 0xff, v49
	v_bfe_u32 v62, v49, 8, 8
	v_mbcnt_lo_u32_b32 v64, -1, 0
	v_add3_u32 v1, v1, v54, v58
	v_bfe_u32 v63, v49, 16, 8
	v_lshrrev_b32_e32 v51, 24, v49
	v_and_b32_e32 v2, 0xff, v48
	v_and_b32_e32 v3, 15, v64
	v_add3_u32 v1, v1, v59, v60
	v_or_b32_e32 v4, 31, v0
	v_and_b32_e32 v5, 16, v64
	v_lshrrev_b32_e32 v65, 5, v0
	v_cmp_eq_u32_e64 s6, 0, v3
	v_add3_u32 v1, v1, v53, v61
	v_cmp_lt_u32_e64 s5, 1, v3
	v_cmp_lt_u32_e64 s4, 3, v3
	;; [unrolled: 1-line block ×3, first 2 shown]
	v_cmp_eq_u32_e64 s2, 0, v5
	v_add3_u32 v1, v1, v62, v63
	v_cmp_eq_u32_e64 s1, v0, v4
	s_cmp_lg_u32 s25, 0
	s_mov_b32 s7, -1
	v_add3_u32 v66, v1, v51, v2
	s_cbranch_scc0 .LBB1523_60
; %bb.39:
	v_mov_b32_dpp v1, v66 row_shr:1 row_mask:0xf bank_mask:0xf
	v_cndmask_b32_e64 v1, v1, 0, s6
	v_add_nc_u32_e32 v1, v1, v66
	v_mov_b32_dpp v2, v1 row_shr:2 row_mask:0xf bank_mask:0xf
	v_cndmask_b32_e64 v2, 0, v2, s5
	v_add_nc_u32_e32 v1, v1, v2
	;; [unrolled: 3-line block ×4, first 2 shown]
	ds_swizzle_b32 v2, v1 offset:swizzle(BROADCAST,32,15)
	s_waitcnt lgkmcnt(0)
	v_cndmask_b32_e64 v2, v2, 0, s2
	v_add_nc_u32_e32 v1, v1, v2
	s_and_saveexec_b32 s7, s1
; %bb.40:
	v_lshlrev_b32_e32 v2, 2, v65
	ds_write_b32 v2, v1
; %bb.41:
	s_or_b32 exec_lo, exec_lo, s7
	s_mov_b32 s7, exec_lo
	s_waitcnt lgkmcnt(0)
	s_barrier
	buffer_gl0_inv
	v_cmpx_gt_u32_e32 8, v0
	s_cbranch_execz .LBB1523_43
; %bb.42:
	ds_read_b32 v2, v44
	v_and_b32_e32 v3, 7, v64
	v_cmp_ne_u32_e32 vcc_lo, 0, v3
	s_waitcnt lgkmcnt(0)
	v_mov_b32_dpp v4, v2 row_shr:1 row_mask:0xf bank_mask:0xf
	v_cndmask_b32_e32 v4, 0, v4, vcc_lo
	v_cmp_lt_u32_e32 vcc_lo, 1, v3
	v_add_nc_u32_e32 v2, v4, v2
	v_mov_b32_dpp v4, v2 row_shr:2 row_mask:0xf bank_mask:0xf
	v_cndmask_b32_e32 v4, 0, v4, vcc_lo
	v_cmp_lt_u32_e32 vcc_lo, 3, v3
	v_add_nc_u32_e32 v2, v2, v4
	v_mov_b32_dpp v4, v2 row_shr:4 row_mask:0xf bank_mask:0xf
	v_cndmask_b32_e32 v3, 0, v4, vcc_lo
	v_add_nc_u32_e32 v2, v2, v3
	ds_write_b32 v44, v2
.LBB1523_43:
	s_or_b32 exec_lo, exec_lo, s7
	s_mov_b32 s8, exec_lo
	v_cmp_gt_u32_e32 vcc_lo, 32, v0
	s_waitcnt lgkmcnt(0)
	s_barrier
	buffer_gl0_inv
                                        ; implicit-def: $vgpr10
	v_cmpx_lt_u32_e32 31, v0
	s_cbranch_execz .LBB1523_45
; %bb.44:
	v_lshl_add_u32 v2, v65, 2, -4
	ds_read_b32 v10, v2
	s_waitcnt lgkmcnt(0)
	v_add_nc_u32_e32 v1, v10, v1
.LBB1523_45:
	s_or_b32 exec_lo, exec_lo, s8
	v_sub_co_u32 v2, s7, v64, 1
	v_cmp_gt_i32_e64 s8, 0, v2
	v_cndmask_b32_e64 v2, v2, v64, s8
	v_lshlrev_b32_e32 v2, 2, v2
	ds_bpermute_b32 v11, v2, v1
	s_and_saveexec_b32 s8, vcc_lo
	s_cbranch_execz .LBB1523_65
; %bb.46:
	v_mov_b32_e32 v7, 0
	ds_read_b32 v1, v7 offset:28
	s_and_saveexec_b32 s9, s7
	s_cbranch_execz .LBB1523_48
; %bb.47:
	s_add_i32 s10, s25, 32
	s_mov_b32 s11, 0
	v_mov_b32_e32 v2, 1
	s_lshl_b64 s[10:11], s[10:11], 3
	s_add_u32 s10, s22, s10
	s_addc_u32 s11, s23, s11
	s_waitcnt lgkmcnt(0)
	global_store_dwordx2 v7, v[1:2], s[10:11]
.LBB1523_48:
	s_or_b32 exec_lo, exec_lo, s9
	v_xad_u32 v3, v64, -1, s25
	s_mov_b32 s10, 0
	v_add_nc_u32_e32 v6, 32, v3
	v_lshlrev_b64 v[4:5], 3, v[6:7]
	v_add_co_u32 v8, vcc_lo, s22, v4
	v_add_co_ci_u32_e64 v9, null, s23, v5, vcc_lo
	global_load_dwordx2 v[5:6], v[8:9], off glc dlc
	s_waitcnt vmcnt(0)
	v_cmp_eq_u16_sdwa s11, v6, v7 src0_sel:BYTE_0 src1_sel:DWORD
	s_and_saveexec_b32 s9, s11
	s_cbranch_execz .LBB1523_52
; %bb.49:
	v_mov_b32_e32 v2, 0
.LBB1523_50:                            ; =>This Inner Loop Header: Depth=1
	global_load_dwordx2 v[5:6], v[8:9], off glc dlc
	s_waitcnt vmcnt(0)
	v_cmp_ne_u16_sdwa s11, v6, v2 src0_sel:BYTE_0 src1_sel:DWORD
	s_or_b32 s10, s11, s10
	s_andn2_b32 exec_lo, exec_lo, s10
	s_cbranch_execnz .LBB1523_50
; %bb.51:
	s_or_b32 exec_lo, exec_lo, s10
.LBB1523_52:
	s_or_b32 exec_lo, exec_lo, s9
	v_cmp_ne_u32_e32 vcc_lo, 31, v64
	v_mov_b32_e32 v12, 2
	v_lshlrev_b32_e64 v13, v64, -1
	v_add_nc_u32_e32 v15, 2, v64
	v_add_nc_u32_e32 v17, 4, v64
	v_add_co_ci_u32_e64 v2, null, 0, v64, vcc_lo
	v_cmp_eq_u16_sdwa s9, v6, v12 src0_sel:BYTE_0 src1_sel:DWORD
	v_cmp_gt_u32_e32 vcc_lo, 30, v64
	v_add_nc_u32_e32 v68, 8, v64
	v_lshlrev_b32_e32 v9, 2, v2
	v_lshl_or_b32 v69, v64, 2, 64
	v_and_or_b32 v4, s9, v13, 0x80000000
	v_cndmask_b32_e64 v7, 0, 2, vcc_lo
	v_add_nc_u32_e32 v70, 16, v64
	ds_bpermute_b32 v2, v9, v5
	v_ffbl_b32_e32 v4, v4
	v_add_lshl_u32 v14, v7, v64, 2
	v_cmp_lt_u32_e32 vcc_lo, v64, v4
	s_waitcnt lgkmcnt(0)
	v_cndmask_b32_e32 v2, 0, v2, vcc_lo
	v_cmp_gt_u32_e32 vcc_lo, 28, v64
	v_add_nc_u32_e32 v2, v2, v5
	v_cndmask_b32_e64 v7, 0, 4, vcc_lo
	v_cmp_le_u32_e32 vcc_lo, v15, v4
	ds_bpermute_b32 v5, v14, v2
	v_add_lshl_u32 v16, v7, v64, 2
	s_waitcnt lgkmcnt(0)
	v_cndmask_b32_e32 v5, 0, v5, vcc_lo
	v_cmp_gt_u32_e32 vcc_lo, 24, v64
	v_add_nc_u32_e32 v2, v2, v5
	v_cndmask_b32_e64 v7, 0, 8, vcc_lo
	v_cmp_le_u32_e32 vcc_lo, v17, v4
	ds_bpermute_b32 v5, v16, v2
	v_add_lshl_u32 v67, v7, v64, 2
	s_waitcnt lgkmcnt(0)
	v_cndmask_b32_e32 v5, 0, v5, vcc_lo
	v_cmp_le_u32_e32 vcc_lo, v68, v4
	v_add_nc_u32_e32 v2, v2, v5
	ds_bpermute_b32 v5, v67, v2
	s_waitcnt lgkmcnt(0)
	v_cndmask_b32_e32 v5, 0, v5, vcc_lo
	v_cmp_le_u32_e32 vcc_lo, v70, v4
	v_add_nc_u32_e32 v2, v2, v5
	ds_bpermute_b32 v5, v69, v2
	s_waitcnt lgkmcnt(0)
	v_cndmask_b32_e32 v4, 0, v5, vcc_lo
	v_add_nc_u32_e32 v5, v2, v4
	v_mov_b32_e32 v4, 0
	s_branch .LBB1523_56
.LBB1523_53:                            ;   in Loop: Header=BB1523_56 Depth=1
	s_or_b32 exec_lo, exec_lo, s10
.LBB1523_54:                            ;   in Loop: Header=BB1523_56 Depth=1
	s_or_b32 exec_lo, exec_lo, s9
	ds_bpermute_b32 v7, v9, v5
	v_cmp_eq_u16_sdwa s9, v6, v12 src0_sel:BYTE_0 src1_sel:DWORD
	v_subrev_nc_u32_e32 v3, 32, v3
	v_and_or_b32 v8, s9, v13, 0x80000000
	s_mov_b32 s9, 0
	v_ffbl_b32_e32 v8, v8
	v_cmp_lt_u32_e32 vcc_lo, v64, v8
	s_waitcnt lgkmcnt(0)
	v_cndmask_b32_e32 v7, 0, v7, vcc_lo
	v_cmp_le_u32_e32 vcc_lo, v15, v8
	v_add_nc_u32_e32 v5, v7, v5
	ds_bpermute_b32 v7, v14, v5
	s_waitcnt lgkmcnt(0)
	v_cndmask_b32_e32 v7, 0, v7, vcc_lo
	v_cmp_le_u32_e32 vcc_lo, v17, v8
	v_add_nc_u32_e32 v5, v5, v7
	ds_bpermute_b32 v7, v16, v5
	;; [unrolled: 5-line block ×4, first 2 shown]
	s_waitcnt lgkmcnt(0)
	v_cndmask_b32_e32 v7, 0, v7, vcc_lo
	v_add3_u32 v5, v7, v2, v5
.LBB1523_55:                            ;   in Loop: Header=BB1523_56 Depth=1
	s_and_b32 vcc_lo, exec_lo, s9
	s_cbranch_vccnz .LBB1523_61
.LBB1523_56:                            ; =>This Loop Header: Depth=1
                                        ;     Child Loop BB1523_59 Depth 2
	v_cmp_ne_u16_sdwa s9, v6, v12 src0_sel:BYTE_0 src1_sel:DWORD
	v_mov_b32_e32 v2, v5
                                        ; implicit-def: $vgpr5
                                        ; implicit-def: $vgpr6
	s_cmp_lg_u32 s9, exec_lo
	s_mov_b32 s9, -1
	s_cbranch_scc1 .LBB1523_55
; %bb.57:                               ;   in Loop: Header=BB1523_56 Depth=1
	v_lshlrev_b64 v[5:6], 3, v[3:4]
	v_add_co_u32 v7, vcc_lo, s22, v5
	v_add_co_ci_u32_e64 v8, null, s23, v6, vcc_lo
	global_load_dwordx2 v[5:6], v[7:8], off glc dlc
	s_waitcnt vmcnt(0)
	v_cmp_eq_u16_sdwa s10, v6, v4 src0_sel:BYTE_0 src1_sel:DWORD
	s_and_saveexec_b32 s9, s10
	s_cbranch_execz .LBB1523_54
; %bb.58:                               ;   in Loop: Header=BB1523_56 Depth=1
	s_mov_b32 s10, 0
.LBB1523_59:                            ;   Parent Loop BB1523_56 Depth=1
                                        ; =>  This Inner Loop Header: Depth=2
	global_load_dwordx2 v[5:6], v[7:8], off glc dlc
	s_waitcnt vmcnt(0)
	v_cmp_ne_u16_sdwa s11, v6, v4 src0_sel:BYTE_0 src1_sel:DWORD
	s_or_b32 s10, s11, s10
	s_andn2_b32 exec_lo, exec_lo, s10
	s_cbranch_execnz .LBB1523_59
	s_branch .LBB1523_53
.LBB1523_60:
                                        ; implicit-def: $vgpr17
                                        ; implicit-def: $vgpr1_vgpr2_vgpr3_vgpr4_vgpr5_vgpr6_vgpr7_vgpr8_vgpr9_vgpr10_vgpr11_vgpr12_vgpr13_vgpr14_vgpr15_vgpr16
	s_and_b32 vcc_lo, exec_lo, s7
	s_cbranch_vccnz .LBB1523_66
	s_branch .LBB1523_75
.LBB1523_61:
	s_and_saveexec_b32 s9, s7
	s_cbranch_execz .LBB1523_63
; %bb.62:
	s_add_i32 s10, s25, 32
	s_mov_b32 s11, 0
	v_add_nc_u32_e32 v3, v2, v1
	v_mov_b32_e32 v4, 2
	s_lshl_b64 s[10:11], s[10:11], 3
	v_mov_b32_e32 v5, 0
	s_add_u32 s10, s22, s10
	s_addc_u32 s11, s23, s11
	global_store_dwordx2 v5, v[3:4], s[10:11]
	ds_write_b64 v5, v[1:2] offset:13312
.LBB1523_63:
	s_or_b32 exec_lo, exec_lo, s9
	s_and_b32 exec_lo, exec_lo, s0
; %bb.64:
	v_mov_b32_e32 v1, 0
	ds_write_b32 v1, v2 offset:28
.LBB1523_65:
	s_or_b32 exec_lo, exec_lo, s8
	v_mov_b32_e32 v12, 0
	s_waitcnt lgkmcnt(0)
	s_waitcnt_vscnt null, 0x0
	s_barrier
	buffer_gl0_inv
	v_cndmask_b32_e64 v2, v11, v10, s7
	ds_read_b32 v1, v12 offset:28
	s_waitcnt lgkmcnt(0)
	s_barrier
	buffer_gl0_inv
	v_cndmask_b32_e64 v2, v2, 0, s0
	ds_read_b64 v[16:17], v12 offset:13312
	v_add_nc_u32_e32 v1, v1, v2
	v_add_nc_u32_e32 v2, v1, v55
	;; [unrolled: 1-line block ×13, first 2 shown]
	s_branch .LBB1523_75
.LBB1523_66:
	v_mov_b32_dpp v1, v66 row_shr:1 row_mask:0xf bank_mask:0xf
	v_cndmask_b32_e64 v1, v1, 0, s6
	v_add_nc_u32_e32 v1, v1, v66
	v_mov_b32_dpp v2, v1 row_shr:2 row_mask:0xf bank_mask:0xf
	v_cndmask_b32_e64 v2, 0, v2, s5
	v_add_nc_u32_e32 v1, v1, v2
	;; [unrolled: 3-line block ×4, first 2 shown]
	ds_swizzle_b32 v2, v1 offset:swizzle(BROADCAST,32,15)
	s_waitcnt lgkmcnt(0)
	v_cndmask_b32_e64 v2, v2, 0, s2
	v_add_nc_u32_e32 v1, v1, v2
	s_and_saveexec_b32 s2, s1
; %bb.67:
	v_lshlrev_b32_e32 v2, 2, v65
	ds_write_b32 v2, v1
; %bb.68:
	s_or_b32 exec_lo, exec_lo, s2
	s_mov_b32 s1, exec_lo
	s_waitcnt lgkmcnt(0)
	s_barrier
	buffer_gl0_inv
	v_cmpx_gt_u32_e32 8, v0
	s_cbranch_execz .LBB1523_70
; %bb.69:
	ds_read_b32 v2, v44
	v_and_b32_e32 v3, 7, v64
	v_cmp_ne_u32_e32 vcc_lo, 0, v3
	s_waitcnt lgkmcnt(0)
	v_mov_b32_dpp v4, v2 row_shr:1 row_mask:0xf bank_mask:0xf
	v_cndmask_b32_e32 v4, 0, v4, vcc_lo
	v_cmp_lt_u32_e32 vcc_lo, 1, v3
	v_add_nc_u32_e32 v2, v4, v2
	v_mov_b32_dpp v4, v2 row_shr:2 row_mask:0xf bank_mask:0xf
	v_cndmask_b32_e32 v4, 0, v4, vcc_lo
	v_cmp_lt_u32_e32 vcc_lo, 3, v3
	v_add_nc_u32_e32 v2, v2, v4
	v_mov_b32_dpp v4, v2 row_shr:4 row_mask:0xf bank_mask:0xf
	v_cndmask_b32_e32 v3, 0, v4, vcc_lo
	v_add_nc_u32_e32 v2, v2, v3
	ds_write_b32 v44, v2
.LBB1523_70:
	s_or_b32 exec_lo, exec_lo, s1
	v_mov_b32_e32 v3, 0
	v_mov_b32_e32 v2, 0
	s_mov_b32 s1, exec_lo
	s_waitcnt lgkmcnt(0)
	s_barrier
	buffer_gl0_inv
	v_cmpx_lt_u32_e32 31, v0
; %bb.71:
	v_lshl_add_u32 v2, v65, 2, -4
	ds_read_b32 v2, v2
; %bb.72:
	s_or_b32 exec_lo, exec_lo, s1
	v_sub_co_u32 v4, vcc_lo, v64, 1
	s_waitcnt lgkmcnt(0)
	v_add_nc_u32_e32 v1, v2, v1
	ds_read_b32 v16, v3 offset:28
	v_cmp_gt_i32_e64 s1, 0, v4
	v_cndmask_b32_e64 v4, v4, v64, s1
	v_lshlrev_b32_e32 v4, 2, v4
	ds_bpermute_b32 v1, v4, v1
	s_and_saveexec_b32 s1, s0
	s_cbranch_execz .LBB1523_74
; %bb.73:
	v_mov_b32_e32 v3, 0
	v_mov_b32_e32 v17, 2
	s_waitcnt lgkmcnt(1)
	global_store_dwordx2 v3, v[16:17], s[22:23] offset:256
.LBB1523_74:
	s_or_b32 exec_lo, exec_lo, s1
	s_waitcnt lgkmcnt(0)
	v_cndmask_b32_e32 v1, v1, v2, vcc_lo
	v_mov_b32_e32 v17, 0
	s_waitcnt_vscnt null, 0x0
	s_barrier
	buffer_gl0_inv
	v_cndmask_b32_e64 v1, v1, 0, s0
	v_add_nc_u32_e32 v2, v1, v55
	v_add_nc_u32_e32 v3, v2, v56
	;; [unrolled: 1-line block ×12, first 2 shown]
.LBB1523_75:
	s_waitcnt lgkmcnt(0)
	v_add_nc_u32_e32 v47, v16, v47
	v_sub_nc_u32_e32 v1, v1, v17
	v_and_b32_e32 v56, 1, v52
	v_lshrrev_b32_e32 v55, 8, v52
	v_sub_nc_u32_e32 v2, v2, v17
	v_sub_nc_u32_e32 v3, v3, v17
	;; [unrolled: 1-line block ×3, first 2 shown]
	v_cmp_eq_u32_e32 vcc_lo, 1, v56
	v_and_b32_e32 v55, 1, v55
	v_mov_b32_e32 v58, 1
	v_sub_nc_u32_e32 v56, v47, v2
	v_sub_nc_u32_e32 v4, v4, v17
	v_cndmask_b32_e32 v1, v57, v1, vcc_lo
	v_sub_nc_u32_e32 v57, v47, v3
	v_and_b32_sdwa v52, v58, v52 dst_sel:DWORD dst_unused:UNUSED_PAD src0_sel:DWORD src1_sel:WORD_1
	v_add_nc_u32_e32 v56, 1, v56
	v_cmp_eq_u32_e32 vcc_lo, 1, v55
	v_lshlrev_b32_e32 v1, 2, v1
	v_and_b32_e32 v54, 1, v54
	v_sub_nc_u32_e32 v59, v47, v4
	v_add_nc_u32_e32 v57, 2, v57
	v_lshrrev_b32_e32 v15, 8, v50
	ds_write_b32 v1, v30
	v_cndmask_b32_e32 v1, v56, v2, vcc_lo
	v_cmp_eq_u32_e32 vcc_lo, 1, v52
	v_add_nc_u32_e32 v59, 3, v59
	v_lshrrev_b32_e32 v14, 8, v49
	v_lshlrev_b32_e32 v1, 2, v1
	v_cndmask_b32_e32 v2, v57, v3, vcc_lo
	v_cmp_eq_u32_e32 vcc_lo, 1, v54
	ds_write_b32 v1, v31
	v_lshlrev_b32_e32 v2, 2, v2
	v_cndmask_b32_e32 v3, v59, v4, vcc_lo
	v_sub_nc_u32_e32 v4, v5, v17
	v_sub_nc_u32_e32 v5, v6, v17
	v_lshlrev_b32_e32 v3, 2, v3
	v_sub_nc_u32_e32 v1, v47, v4
	v_sub_nc_u32_e32 v6, v47, v5
	ds_write_b32 v2, v28
	ds_write_b32 v3, v29
	v_and_b32_e32 v2, 1, v50
	v_add_nc_u32_e32 v1, 4, v1
	v_add_nc_u32_e32 v3, 5, v6
	v_sub_nc_u32_e32 v6, v7, v17
	v_and_b32_e32 v7, 1, v15
	v_cmp_eq_u32_e32 vcc_lo, 1, v2
	v_sub_nc_u32_e32 v2, v8, v17
	v_and_b32_e32 v8, 1, v53
	v_add_co_u32 v15, s1, v18, v17
	v_cndmask_b32_e32 v1, v1, v4, vcc_lo
	v_sub_nc_u32_e32 v4, v47, v6
	v_cmp_eq_u32_e32 vcc_lo, 1, v7
	v_and_b32_sdwa v7, v58, v50 dst_sel:DWORD dst_unused:UNUSED_PAD src0_sel:DWORD src1_sel:WORD_1
	v_lshlrev_b32_e32 v1, 2, v1
	v_add_nc_u32_e32 v4, 6, v4
	v_cndmask_b32_e32 v3, v3, v5, vcc_lo
	v_sub_nc_u32_e32 v5, v47, v2
	v_cmp_eq_u32_e32 vcc_lo, 1, v7
	v_sub_nc_u32_e32 v7, v13, v17
	v_lshlrev_b32_e32 v3, 2, v3
	v_add_nc_u32_e32 v5, 7, v5
	v_cndmask_b32_e32 v4, v4, v6, vcc_lo
	v_cmp_eq_u32_e32 vcc_lo, 1, v8
	v_sub_nc_u32_e32 v6, v9, v17
	ds_write_b32 v1, v26
	ds_write_b32 v3, v27
	v_lshlrev_b32_e32 v3, 2, v4
	v_cndmask_b32_e32 v2, v5, v2, vcc_lo
	v_sub_nc_u32_e32 v1, v47, v6
	v_and_b32_e32 v5, 1, v49
	v_sub_nc_u32_e32 v4, v10, v17
	v_and_b32_e32 v10, 1, v51
	v_lshlrev_b32_e32 v2, 2, v2
	v_add_nc_u32_e32 v1, 8, v1
	ds_write_b32 v3, v24
	ds_write_b32 v2, v25
	v_cmp_eq_u32_e32 vcc_lo, 1, v5
	v_sub_nc_u32_e32 v3, v11, v17
	v_sub_nc_u32_e32 v2, v47, v4
	;; [unrolled: 1-line block ×3, first 2 shown]
	v_and_b32_e32 v11, 1, v48
	v_cndmask_b32_e32 v1, v1, v6, vcc_lo
	v_and_b32_e32 v6, 1, v14
	v_sub_nc_u32_e32 v8, v47, v3
	v_add_nc_u32_e32 v2, 9, v2
	v_sub_nc_u32_e32 v9, v47, v5
	v_lshlrev_b32_e32 v1, 2, v1
	v_cmp_eq_u32_e32 vcc_lo, 1, v6
	v_add_nc_u32_e32 v6, 10, v8
	v_and_b32_sdwa v8, v58, v49 dst_sel:DWORD dst_unused:UNUSED_PAD src0_sel:DWORD src1_sel:WORD_1
	v_add_nc_u32_e32 v9, 11, v9
	v_add_co_ci_u32_e64 v17, null, 0, v19, s1
	v_cndmask_b32_e32 v2, v2, v4, vcc_lo
	v_cmp_eq_u32_e32 vcc_lo, 1, v8
	v_sub_nc_u32_e32 v4, v47, v7
	v_lshlrev_b32_e32 v2, 2, v2
	v_cndmask_b32_e32 v3, v6, v3, vcc_lo
	v_cmp_eq_u32_e32 vcc_lo, 1, v10
	v_add_nc_u32_e32 v4, 12, v4
	v_lshlrev_b32_e32 v3, 2, v3
	v_cndmask_b32_e32 v5, v9, v5, vcc_lo
	v_cmp_eq_u32_e32 vcc_lo, 1, v11
	v_lshlrev_b32_e32 v5, 2, v5
	v_cndmask_b32_e32 v4, v4, v7, vcc_lo
	v_cmp_ne_u32_e32 vcc_lo, 1, v45
	v_lshlrev_b32_e32 v4, 2, v4
	ds_write_b32 v1, v22
	ds_write_b32 v2, v23
	;; [unrolled: 1-line block ×5, first 2 shown]
	s_waitcnt lgkmcnt(0)
	s_barrier
	buffer_gl0_inv
	ds_read2st64_b32 v[11:12], v44 offset1:4
	ds_read2st64_b32 v[9:10], v44 offset0:8 offset1:12
	ds_read2st64_b32 v[7:8], v44 offset0:16 offset1:20
	;; [unrolled: 1-line block ×5, first 2 shown]
	ds_read_b32 v20, v44 offset:12288
	s_cbranch_vccnz .LBB1523_132
; %bb.76:
	s_sub_u32 s1, s20, s24
	v_sub_co_u32 v13, vcc_lo, v15, s18
	s_subb_u32 s2, s21, 0
	v_add_co_u32 v18, s1, s1, v16
	v_subrev_co_ci_u32_e64 v14, null, s19, v17, vcc_lo
	v_add_co_ci_u32_e64 v19, null, s2, 0, s1
	v_add_co_u32 v18, vcc_lo, v18, v13
	s_mov_b32 s1, exec_lo
	v_add_co_ci_u32_e64 v19, null, v19, v14, vcc_lo
                                        ; implicit-def: $vgpr13_vgpr14
	v_cmpx_ge_u32_e64 v0, v16
	s_xor_b32 s1, exec_lo, s1
; %bb.77:
	v_not_b32_e32 v13, v0
	v_ashrrev_i32_e32 v14, 31, v13
	v_add_co_u32 v13, vcc_lo, v18, v13
	v_add_co_ci_u32_e64 v14, null, v19, v14, vcc_lo
; %bb.78:
	s_andn2_saveexec_b32 s1, s1
; %bb.79:
	v_add_co_u32 v13, vcc_lo, v15, v0
	v_add_co_ci_u32_e64 v14, null, 0, v17, vcc_lo
; %bb.80:
	s_or_b32 exec_lo, exec_lo, s1
	v_lshlrev_b64 v[13:14], 2, v[13:14]
	s_mov_b32 s1, exec_lo
	v_add_co_u32 v13, vcc_lo, s16, v13
	v_add_co_ci_u32_e64 v14, null, s17, v14, vcc_lo
	s_waitcnt lgkmcnt(6)
	global_store_dword v[13:14], v11, off
                                        ; implicit-def: $vgpr13_vgpr14
	v_cmpx_ge_u32_e64 v43, v16
	s_xor_b32 s1, exec_lo, s1
; %bb.81:
	v_xor_b32_e32 v13, 0xfffffeff, v0
	v_ashrrev_i32_e32 v14, 31, v13
	v_add_co_u32 v13, vcc_lo, v18, v13
	v_add_co_ci_u32_e64 v14, null, v19, v14, vcc_lo
; %bb.82:
	s_andn2_saveexec_b32 s1, s1
; %bb.83:
	v_add_co_u32 v13, vcc_lo, v15, v43
	v_add_co_ci_u32_e64 v14, null, 0, v17, vcc_lo
; %bb.84:
	s_or_b32 exec_lo, exec_lo, s1
	v_lshlrev_b64 v[13:14], 2, v[13:14]
	s_mov_b32 s1, exec_lo
	v_add_co_u32 v13, vcc_lo, s16, v13
	v_add_co_ci_u32_e64 v14, null, s17, v14, vcc_lo
	global_store_dword v[13:14], v12, off
                                        ; implicit-def: $vgpr13_vgpr14
	v_cmpx_ge_u32_e64 v42, v16
	s_xor_b32 s1, exec_lo, s1
; %bb.85:
	v_xor_b32_e32 v13, 0xfffffdff, v0
	v_ashrrev_i32_e32 v14, 31, v13
	v_add_co_u32 v13, vcc_lo, v18, v13
	v_add_co_ci_u32_e64 v14, null, v19, v14, vcc_lo
; %bb.86:
	s_andn2_saveexec_b32 s1, s1
; %bb.87:
	v_add_co_u32 v13, vcc_lo, v15, v42
	v_add_co_ci_u32_e64 v14, null, 0, v17, vcc_lo
; %bb.88:
	s_or_b32 exec_lo, exec_lo, s1
	v_lshlrev_b64 v[13:14], 2, v[13:14]
	s_mov_b32 s1, exec_lo
	v_add_co_u32 v13, vcc_lo, s16, v13
	v_add_co_ci_u32_e64 v14, null, s17, v14, vcc_lo
	s_waitcnt lgkmcnt(5)
	global_store_dword v[13:14], v9, off
                                        ; implicit-def: $vgpr13_vgpr14
	v_cmpx_ge_u32_e64 v41, v16
	s_xor_b32 s1, exec_lo, s1
; %bb.89:
	v_xor_b32_e32 v13, 0xfffffcff, v0
	v_ashrrev_i32_e32 v14, 31, v13
	v_add_co_u32 v13, vcc_lo, v18, v13
	v_add_co_ci_u32_e64 v14, null, v19, v14, vcc_lo
; %bb.90:
	s_andn2_saveexec_b32 s1, s1
; %bb.91:
	v_add_co_u32 v13, vcc_lo, v15, v41
	v_add_co_ci_u32_e64 v14, null, 0, v17, vcc_lo
; %bb.92:
	s_or_b32 exec_lo, exec_lo, s1
	v_lshlrev_b64 v[13:14], 2, v[13:14]
	s_mov_b32 s1, exec_lo
	v_add_co_u32 v13, vcc_lo, s16, v13
	v_add_co_ci_u32_e64 v14, null, s17, v14, vcc_lo
	global_store_dword v[13:14], v10, off
                                        ; implicit-def: $vgpr13_vgpr14
	v_cmpx_ge_u32_e64 v40, v16
	s_xor_b32 s1, exec_lo, s1
; %bb.93:
	v_xor_b32_e32 v13, 0xfffffbff, v0
	;; [unrolled: 41-line block ×6, first 2 shown]
	v_ashrrev_i32_e32 v14, 31, v13
	v_add_co_u32 v13, vcc_lo, v18, v13
	v_add_co_ci_u32_e64 v14, null, v19, v14, vcc_lo
; %bb.126:
	s_andn2_saveexec_b32 s1, s1
; %bb.127:
	v_add_co_u32 v13, vcc_lo, v15, v32
	v_add_co_ci_u32_e64 v14, null, 0, v17, vcc_lo
; %bb.128:
	s_or_b32 exec_lo, exec_lo, s1
	s_mov_b32 s1, -1
.LBB1523_129:
	s_and_saveexec_b32 s2, s1
	s_cbranch_execz .LBB1523_212
.LBB1523_130:
	s_waitcnt lgkmcnt(1)
	v_lshlrev_b64 v[0:1], 2, v[13:14]
	v_add_co_u32 v0, vcc_lo, s16, v0
	v_add_co_ci_u32_e64 v1, null, s17, v1, vcc_lo
	s_waitcnt lgkmcnt(0)
	global_store_dword v[0:1], v20, off
	s_or_b32 exec_lo, exec_lo, s2
	s_and_b32 s0, s0, s14
	s_and_saveexec_b32 s1, s0
	s_cbranch_execnz .LBB1523_213
.LBB1523_131:
	s_endpgm
.LBB1523_132:
	s_mov_b32 s1, 0
                                        ; implicit-def: $vgpr13_vgpr14
	s_cbranch_execz .LBB1523_129
; %bb.133:
	s_add_u32 s2, s18, s24
	s_addc_u32 s3, s19, 0
	s_sub_u32 s2, s20, s2
	s_subb_u32 s3, s21, s3
	v_add_co_u32 v13, s2, s2, v16
	v_add_co_ci_u32_e64 v14, null, s3, 0, s2
	s_mov_b32 s2, exec_lo
	v_add_co_u32 v18, vcc_lo, v13, v15
	v_add_co_ci_u32_e64 v19, null, v14, v17, vcc_lo
	v_cmpx_gt_u32_e64 s15, v0
	s_cbranch_execz .LBB1523_169
; %bb.134:
	s_mov_b32 s3, exec_lo
                                        ; implicit-def: $vgpr13_vgpr14
	v_cmpx_ge_u32_e64 v0, v16
	s_xor_b32 s3, exec_lo, s3
; %bb.135:
	v_not_b32_e32 v13, v0
	v_ashrrev_i32_e32 v14, 31, v13
	v_add_co_u32 v13, vcc_lo, v18, v13
	v_add_co_ci_u32_e64 v14, null, v19, v14, vcc_lo
; %bb.136:
	s_andn2_saveexec_b32 s3, s3
; %bb.137:
	v_add_co_u32 v13, vcc_lo, v15, v0
	v_add_co_ci_u32_e64 v14, null, 0, v17, vcc_lo
; %bb.138:
	s_or_b32 exec_lo, exec_lo, s3
	v_lshlrev_b64 v[13:14], 2, v[13:14]
	v_add_co_u32 v13, vcc_lo, s16, v13
	v_add_co_ci_u32_e64 v14, null, s17, v14, vcc_lo
	s_waitcnt lgkmcnt(6)
	global_store_dword v[13:14], v11, off
	s_or_b32 exec_lo, exec_lo, s2
	s_mov_b32 s2, exec_lo
	v_cmpx_gt_u32_e64 s15, v43
	s_cbranch_execnz .LBB1523_170
.LBB1523_139:
	s_or_b32 exec_lo, exec_lo, s2
	s_mov_b32 s2, exec_lo
	v_cmpx_gt_u32_e64 s15, v42
	s_cbranch_execz .LBB1523_175
.LBB1523_140:
	s_mov_b32 s3, exec_lo
                                        ; implicit-def: $vgpr11_vgpr12
	v_cmpx_ge_u32_e64 v42, v16
	s_xor_b32 s3, exec_lo, s3
	s_cbranch_execz .LBB1523_142
; %bb.141:
	s_waitcnt lgkmcnt(6)
	v_xor_b32_e32 v11, 0xfffffdff, v0
                                        ; implicit-def: $vgpr42
	v_ashrrev_i32_e32 v12, 31, v11
	v_add_co_u32 v11, vcc_lo, v18, v11
	v_add_co_ci_u32_e64 v12, null, v19, v12, vcc_lo
.LBB1523_142:
	s_andn2_saveexec_b32 s3, s3
	s_cbranch_execz .LBB1523_144
; %bb.143:
	s_waitcnt lgkmcnt(6)
	v_add_co_u32 v11, vcc_lo, v15, v42
	v_add_co_ci_u32_e64 v12, null, 0, v17, vcc_lo
.LBB1523_144:
	s_or_b32 exec_lo, exec_lo, s3
	s_waitcnt lgkmcnt(6)
	v_lshlrev_b64 v[11:12], 2, v[11:12]
	v_add_co_u32 v11, vcc_lo, s16, v11
	v_add_co_ci_u32_e64 v12, null, s17, v12, vcc_lo
	s_waitcnt lgkmcnt(5)
	global_store_dword v[11:12], v9, off
	s_or_b32 exec_lo, exec_lo, s2
	s_mov_b32 s2, exec_lo
	v_cmpx_gt_u32_e64 s15, v41
	s_cbranch_execnz .LBB1523_176
.LBB1523_145:
	s_or_b32 exec_lo, exec_lo, s2
	s_mov_b32 s2, exec_lo
	v_cmpx_gt_u32_e64 s15, v40
	s_cbranch_execz .LBB1523_181
.LBB1523_146:
	s_mov_b32 s3, exec_lo
                                        ; implicit-def: $vgpr9_vgpr10
	v_cmpx_ge_u32_e64 v40, v16
	s_xor_b32 s3, exec_lo, s3
	s_cbranch_execz .LBB1523_148
; %bb.147:
	s_waitcnt lgkmcnt(5)
	v_xor_b32_e32 v9, 0xfffffbff, v0
                                        ; implicit-def: $vgpr40
	v_ashrrev_i32_e32 v10, 31, v9
	v_add_co_u32 v9, vcc_lo, v18, v9
	v_add_co_ci_u32_e64 v10, null, v19, v10, vcc_lo
.LBB1523_148:
	s_andn2_saveexec_b32 s3, s3
	s_cbranch_execz .LBB1523_150
; %bb.149:
	s_waitcnt lgkmcnt(5)
	v_add_co_u32 v9, vcc_lo, v15, v40
	v_add_co_ci_u32_e64 v10, null, 0, v17, vcc_lo
.LBB1523_150:
	s_or_b32 exec_lo, exec_lo, s3
	s_waitcnt lgkmcnt(5)
	v_lshlrev_b64 v[9:10], 2, v[9:10]
	v_add_co_u32 v9, vcc_lo, s16, v9
	v_add_co_ci_u32_e64 v10, null, s17, v10, vcc_lo
	s_waitcnt lgkmcnt(4)
	global_store_dword v[9:10], v7, off
	s_or_b32 exec_lo, exec_lo, s2
	s_mov_b32 s2, exec_lo
	v_cmpx_gt_u32_e64 s15, v39
	s_cbranch_execnz .LBB1523_182
.LBB1523_151:
	s_or_b32 exec_lo, exec_lo, s2
	s_mov_b32 s2, exec_lo
	v_cmpx_gt_u32_e64 s15, v38
	s_cbranch_execz .LBB1523_187
.LBB1523_152:
	s_mov_b32 s3, exec_lo
                                        ; implicit-def: $vgpr7_vgpr8
	v_cmpx_ge_u32_e64 v38, v16
	s_xor_b32 s3, exec_lo, s3
	s_cbranch_execz .LBB1523_154
; %bb.153:
	s_waitcnt lgkmcnt(4)
	v_xor_b32_e32 v7, 0xfffff9ff, v0
                                        ; implicit-def: $vgpr38
	v_ashrrev_i32_e32 v8, 31, v7
	v_add_co_u32 v7, vcc_lo, v18, v7
	v_add_co_ci_u32_e64 v8, null, v19, v8, vcc_lo
.LBB1523_154:
	s_andn2_saveexec_b32 s3, s3
	s_cbranch_execz .LBB1523_156
; %bb.155:
	s_waitcnt lgkmcnt(4)
	v_add_co_u32 v7, vcc_lo, v15, v38
	v_add_co_ci_u32_e64 v8, null, 0, v17, vcc_lo
.LBB1523_156:
	s_or_b32 exec_lo, exec_lo, s3
	s_waitcnt lgkmcnt(4)
	v_lshlrev_b64 v[7:8], 2, v[7:8]
	v_add_co_u32 v7, vcc_lo, s16, v7
	v_add_co_ci_u32_e64 v8, null, s17, v8, vcc_lo
	s_waitcnt lgkmcnt(3)
	global_store_dword v[7:8], v5, off
	s_or_b32 exec_lo, exec_lo, s2
	s_mov_b32 s2, exec_lo
	v_cmpx_gt_u32_e64 s15, v37
	s_cbranch_execnz .LBB1523_188
.LBB1523_157:
	s_or_b32 exec_lo, exec_lo, s2
	s_mov_b32 s2, exec_lo
	v_cmpx_gt_u32_e64 s15, v36
	s_cbranch_execz .LBB1523_193
.LBB1523_158:
	s_mov_b32 s3, exec_lo
                                        ; implicit-def: $vgpr5_vgpr6
	v_cmpx_ge_u32_e64 v36, v16
	s_xor_b32 s3, exec_lo, s3
	s_cbranch_execz .LBB1523_160
; %bb.159:
	s_waitcnt lgkmcnt(3)
	v_xor_b32_e32 v5, 0xfffff7ff, v0
                                        ; implicit-def: $vgpr36
	v_ashrrev_i32_e32 v6, 31, v5
	v_add_co_u32 v5, vcc_lo, v18, v5
	v_add_co_ci_u32_e64 v6, null, v19, v6, vcc_lo
.LBB1523_160:
	s_andn2_saveexec_b32 s3, s3
	s_cbranch_execz .LBB1523_162
; %bb.161:
	s_waitcnt lgkmcnt(3)
	v_add_co_u32 v5, vcc_lo, v15, v36
	v_add_co_ci_u32_e64 v6, null, 0, v17, vcc_lo
.LBB1523_162:
	s_or_b32 exec_lo, exec_lo, s3
	s_waitcnt lgkmcnt(3)
	v_lshlrev_b64 v[5:6], 2, v[5:6]
	v_add_co_u32 v5, vcc_lo, s16, v5
	v_add_co_ci_u32_e64 v6, null, s17, v6, vcc_lo
	s_waitcnt lgkmcnt(2)
	global_store_dword v[5:6], v3, off
	s_or_b32 exec_lo, exec_lo, s2
	s_mov_b32 s2, exec_lo
	v_cmpx_gt_u32_e64 s15, v35
	s_cbranch_execnz .LBB1523_194
.LBB1523_163:
	s_or_b32 exec_lo, exec_lo, s2
	s_mov_b32 s2, exec_lo
	v_cmpx_gt_u32_e64 s15, v34
	s_cbranch_execz .LBB1523_199
.LBB1523_164:
	s_mov_b32 s3, exec_lo
                                        ; implicit-def: $vgpr3_vgpr4
	v_cmpx_ge_u32_e64 v34, v16
	s_xor_b32 s3, exec_lo, s3
	s_cbranch_execz .LBB1523_166
; %bb.165:
	s_waitcnt lgkmcnt(2)
	v_xor_b32_e32 v3, 0xfffff5ff, v0
                                        ; implicit-def: $vgpr34
	v_ashrrev_i32_e32 v4, 31, v3
	v_add_co_u32 v3, vcc_lo, v18, v3
	v_add_co_ci_u32_e64 v4, null, v19, v4, vcc_lo
.LBB1523_166:
	s_andn2_saveexec_b32 s3, s3
	s_cbranch_execz .LBB1523_168
; %bb.167:
	s_waitcnt lgkmcnt(2)
	v_add_co_u32 v3, vcc_lo, v15, v34
	v_add_co_ci_u32_e64 v4, null, 0, v17, vcc_lo
.LBB1523_168:
	s_or_b32 exec_lo, exec_lo, s3
	s_waitcnt lgkmcnt(2)
	v_lshlrev_b64 v[3:4], 2, v[3:4]
	v_add_co_u32 v3, vcc_lo, s16, v3
	v_add_co_ci_u32_e64 v4, null, s17, v4, vcc_lo
	s_waitcnt lgkmcnt(1)
	global_store_dword v[3:4], v1, off
	s_or_b32 exec_lo, exec_lo, s2
	s_mov_b32 s2, exec_lo
	v_cmpx_gt_u32_e64 s15, v33
	s_cbranch_execz .LBB1523_205
	s_branch .LBB1523_200
.LBB1523_169:
	s_or_b32 exec_lo, exec_lo, s2
	s_mov_b32 s2, exec_lo
	v_cmpx_gt_u32_e64 s15, v43
	s_cbranch_execz .LBB1523_139
.LBB1523_170:
	s_mov_b32 s3, exec_lo
                                        ; implicit-def: $vgpr13_vgpr14
	v_cmpx_ge_u32_e64 v43, v16
	s_xor_b32 s3, exec_lo, s3
	s_cbranch_execz .LBB1523_172
; %bb.171:
	s_waitcnt lgkmcnt(6)
	v_xor_b32_e32 v11, 0xfffffeff, v0
                                        ; implicit-def: $vgpr43
	v_ashrrev_i32_e32 v14, 31, v11
	v_add_co_u32 v13, vcc_lo, v18, v11
	v_add_co_ci_u32_e64 v14, null, v19, v14, vcc_lo
.LBB1523_172:
	s_andn2_saveexec_b32 s3, s3
; %bb.173:
	v_add_co_u32 v13, vcc_lo, v15, v43
	v_add_co_ci_u32_e64 v14, null, 0, v17, vcc_lo
; %bb.174:
	s_or_b32 exec_lo, exec_lo, s3
	v_lshlrev_b64 v[13:14], 2, v[13:14]
	v_add_co_u32 v13, vcc_lo, s16, v13
	v_add_co_ci_u32_e64 v14, null, s17, v14, vcc_lo
	s_waitcnt lgkmcnt(6)
	global_store_dword v[13:14], v12, off
	s_or_b32 exec_lo, exec_lo, s2
	s_mov_b32 s2, exec_lo
	v_cmpx_gt_u32_e64 s15, v42
	s_cbranch_execnz .LBB1523_140
.LBB1523_175:
	s_or_b32 exec_lo, exec_lo, s2
	s_mov_b32 s2, exec_lo
	v_cmpx_gt_u32_e64 s15, v41
	s_cbranch_execz .LBB1523_145
.LBB1523_176:
	s_mov_b32 s3, exec_lo
                                        ; implicit-def: $vgpr11_vgpr12
	v_cmpx_ge_u32_e64 v41, v16
	s_xor_b32 s3, exec_lo, s3
	s_cbranch_execz .LBB1523_178
; %bb.177:
	s_waitcnt lgkmcnt(5)
	v_xor_b32_e32 v9, 0xfffffcff, v0
                                        ; implicit-def: $vgpr41
	v_ashrrev_i32_e32 v12, 31, v9
	v_add_co_u32 v11, vcc_lo, v18, v9
	v_add_co_ci_u32_e64 v12, null, v19, v12, vcc_lo
.LBB1523_178:
	s_andn2_saveexec_b32 s3, s3
	s_cbranch_execz .LBB1523_180
; %bb.179:
	s_waitcnt lgkmcnt(6)
	v_add_co_u32 v11, vcc_lo, v15, v41
	v_add_co_ci_u32_e64 v12, null, 0, v17, vcc_lo
.LBB1523_180:
	s_or_b32 exec_lo, exec_lo, s3
	s_waitcnt lgkmcnt(6)
	v_lshlrev_b64 v[11:12], 2, v[11:12]
	v_add_co_u32 v11, vcc_lo, s16, v11
	v_add_co_ci_u32_e64 v12, null, s17, v12, vcc_lo
	s_waitcnt lgkmcnt(5)
	global_store_dword v[11:12], v10, off
	s_or_b32 exec_lo, exec_lo, s2
	s_mov_b32 s2, exec_lo
	v_cmpx_gt_u32_e64 s15, v40
	s_cbranch_execnz .LBB1523_146
.LBB1523_181:
	s_or_b32 exec_lo, exec_lo, s2
	s_mov_b32 s2, exec_lo
	v_cmpx_gt_u32_e64 s15, v39
	s_cbranch_execz .LBB1523_151
.LBB1523_182:
	s_mov_b32 s3, exec_lo
                                        ; implicit-def: $vgpr9_vgpr10
	v_cmpx_ge_u32_e64 v39, v16
	s_xor_b32 s3, exec_lo, s3
	s_cbranch_execz .LBB1523_184
; %bb.183:
	s_waitcnt lgkmcnt(4)
	v_xor_b32_e32 v7, 0xfffffaff, v0
                                        ; implicit-def: $vgpr39
	v_ashrrev_i32_e32 v10, 31, v7
	v_add_co_u32 v9, vcc_lo, v18, v7
	v_add_co_ci_u32_e64 v10, null, v19, v10, vcc_lo
.LBB1523_184:
	s_andn2_saveexec_b32 s3, s3
	s_cbranch_execz .LBB1523_186
; %bb.185:
	s_waitcnt lgkmcnt(5)
	v_add_co_u32 v9, vcc_lo, v15, v39
	v_add_co_ci_u32_e64 v10, null, 0, v17, vcc_lo
.LBB1523_186:
	s_or_b32 exec_lo, exec_lo, s3
	s_waitcnt lgkmcnt(5)
	v_lshlrev_b64 v[9:10], 2, v[9:10]
	v_add_co_u32 v9, vcc_lo, s16, v9
	v_add_co_ci_u32_e64 v10, null, s17, v10, vcc_lo
	s_waitcnt lgkmcnt(4)
	global_store_dword v[9:10], v8, off
	s_or_b32 exec_lo, exec_lo, s2
	s_mov_b32 s2, exec_lo
	v_cmpx_gt_u32_e64 s15, v38
	s_cbranch_execnz .LBB1523_152
.LBB1523_187:
	s_or_b32 exec_lo, exec_lo, s2
	s_mov_b32 s2, exec_lo
	v_cmpx_gt_u32_e64 s15, v37
	s_cbranch_execz .LBB1523_157
.LBB1523_188:
	s_mov_b32 s3, exec_lo
                                        ; implicit-def: $vgpr7_vgpr8
	v_cmpx_ge_u32_e64 v37, v16
	s_xor_b32 s3, exec_lo, s3
	s_cbranch_execz .LBB1523_190
; %bb.189:
	s_waitcnt lgkmcnt(3)
	v_xor_b32_e32 v5, 0xfffff8ff, v0
                                        ; implicit-def: $vgpr37
	v_ashrrev_i32_e32 v8, 31, v5
	v_add_co_u32 v7, vcc_lo, v18, v5
	v_add_co_ci_u32_e64 v8, null, v19, v8, vcc_lo
.LBB1523_190:
	s_andn2_saveexec_b32 s3, s3
	s_cbranch_execz .LBB1523_192
; %bb.191:
	s_waitcnt lgkmcnt(4)
	v_add_co_u32 v7, vcc_lo, v15, v37
	v_add_co_ci_u32_e64 v8, null, 0, v17, vcc_lo
.LBB1523_192:
	s_or_b32 exec_lo, exec_lo, s3
	s_waitcnt lgkmcnt(4)
	v_lshlrev_b64 v[7:8], 2, v[7:8]
	v_add_co_u32 v7, vcc_lo, s16, v7
	v_add_co_ci_u32_e64 v8, null, s17, v8, vcc_lo
	s_waitcnt lgkmcnt(3)
	global_store_dword v[7:8], v6, off
	s_or_b32 exec_lo, exec_lo, s2
	s_mov_b32 s2, exec_lo
	v_cmpx_gt_u32_e64 s15, v36
	s_cbranch_execnz .LBB1523_158
.LBB1523_193:
	s_or_b32 exec_lo, exec_lo, s2
	s_mov_b32 s2, exec_lo
	v_cmpx_gt_u32_e64 s15, v35
	s_cbranch_execz .LBB1523_163
.LBB1523_194:
	s_mov_b32 s3, exec_lo
                                        ; implicit-def: $vgpr5_vgpr6
	v_cmpx_ge_u32_e64 v35, v16
	s_xor_b32 s3, exec_lo, s3
	s_cbranch_execz .LBB1523_196
; %bb.195:
	s_waitcnt lgkmcnt(2)
	v_xor_b32_e32 v3, 0xfffff6ff, v0
                                        ; implicit-def: $vgpr35
	v_ashrrev_i32_e32 v6, 31, v3
	v_add_co_u32 v5, vcc_lo, v18, v3
	v_add_co_ci_u32_e64 v6, null, v19, v6, vcc_lo
.LBB1523_196:
	s_andn2_saveexec_b32 s3, s3
	s_cbranch_execz .LBB1523_198
; %bb.197:
	s_waitcnt lgkmcnt(3)
	v_add_co_u32 v5, vcc_lo, v15, v35
	v_add_co_ci_u32_e64 v6, null, 0, v17, vcc_lo
.LBB1523_198:
	s_or_b32 exec_lo, exec_lo, s3
	s_waitcnt lgkmcnt(3)
	v_lshlrev_b64 v[5:6], 2, v[5:6]
	v_add_co_u32 v5, vcc_lo, s16, v5
	v_add_co_ci_u32_e64 v6, null, s17, v6, vcc_lo
	s_waitcnt lgkmcnt(2)
	global_store_dword v[5:6], v4, off
	s_or_b32 exec_lo, exec_lo, s2
	s_mov_b32 s2, exec_lo
	v_cmpx_gt_u32_e64 s15, v34
	s_cbranch_execnz .LBB1523_164
.LBB1523_199:
	s_or_b32 exec_lo, exec_lo, s2
	s_mov_b32 s2, exec_lo
	v_cmpx_gt_u32_e64 s15, v33
	s_cbranch_execz .LBB1523_205
.LBB1523_200:
	s_mov_b32 s3, exec_lo
                                        ; implicit-def: $vgpr3_vgpr4
	v_cmpx_ge_u32_e64 v33, v16
	s_xor_b32 s3, exec_lo, s3
	s_cbranch_execz .LBB1523_202
; %bb.201:
	s_waitcnt lgkmcnt(1)
	v_xor_b32_e32 v1, 0xfffff4ff, v0
                                        ; implicit-def: $vgpr33
	v_ashrrev_i32_e32 v4, 31, v1
	v_add_co_u32 v3, vcc_lo, v18, v1
	v_add_co_ci_u32_e64 v4, null, v19, v4, vcc_lo
.LBB1523_202:
	s_andn2_saveexec_b32 s3, s3
	s_cbranch_execz .LBB1523_204
; %bb.203:
	s_waitcnt lgkmcnt(2)
	v_add_co_u32 v3, vcc_lo, v15, v33
	v_add_co_ci_u32_e64 v4, null, 0, v17, vcc_lo
.LBB1523_204:
	s_or_b32 exec_lo, exec_lo, s3
	s_waitcnt lgkmcnt(2)
	v_lshlrev_b64 v[3:4], 2, v[3:4]
	v_add_co_u32 v3, vcc_lo, s16, v3
	v_add_co_ci_u32_e64 v4, null, s17, v4, vcc_lo
	s_waitcnt lgkmcnt(1)
	global_store_dword v[3:4], v2, off
.LBB1523_205:
	s_or_b32 exec_lo, exec_lo, s2
	s_mov_b32 s2, exec_lo
                                        ; implicit-def: $vgpr13_vgpr14
	v_cmpx_gt_u32_e64 s15, v32
	s_cbranch_execz .LBB1523_211
; %bb.206:
	s_mov_b32 s3, exec_lo
                                        ; implicit-def: $vgpr13_vgpr14
	v_cmpx_ge_u32_e64 v32, v16
	s_xor_b32 s3, exec_lo, s3
	s_cbranch_execz .LBB1523_208
; %bb.207:
	v_xor_b32_e32 v0, 0xfffff3ff, v0
                                        ; implicit-def: $vgpr32
	s_waitcnt lgkmcnt(1)
	v_ashrrev_i32_e32 v1, 31, v0
	v_add_co_u32 v13, vcc_lo, v18, v0
	v_add_co_ci_u32_e64 v14, null, v19, v1, vcc_lo
.LBB1523_208:
	s_andn2_saveexec_b32 s3, s3
; %bb.209:
	v_add_co_u32 v13, vcc_lo, v15, v32
	v_add_co_ci_u32_e64 v14, null, 0, v17, vcc_lo
; %bb.210:
	s_or_b32 exec_lo, exec_lo, s3
	s_or_b32 s1, s1, exec_lo
.LBB1523_211:
	s_or_b32 exec_lo, exec_lo, s2
	s_and_saveexec_b32 s2, s1
	s_cbranch_execnz .LBB1523_130
.LBB1523_212:
	s_or_b32 exec_lo, exec_lo, s2
	s_and_b32 s0, s0, s14
	s_and_saveexec_b32 s1, s0
	s_cbranch_execz .LBB1523_131
.LBB1523_213:
	v_add_co_u32 v0, vcc_lo, v15, v16
	s_waitcnt lgkmcnt(1)
	v_mov_b32_e32 v2, 0
	v_add_co_ci_u32_e64 v1, null, 0, v17, vcc_lo
	global_store_dwordx2 v2, v[0:1], s[12:13]
	s_endpgm
	.section	.rodata,"a",@progbits
	.p2align	6, 0x0
	.amdhsa_kernel _ZN7rocprim17ROCPRIM_400000_NS6detail17trampoline_kernelINS0_13select_configILj256ELj13ELNS0_17block_load_methodE3ELS4_3ELS4_3ELNS0_20block_scan_algorithmE0ELj4294967295EEENS1_25partition_config_selectorILNS1_17partition_subalgoE3EjNS0_10empty_typeEbEEZZNS1_14partition_implILS8_3ELb0ES6_jNS0_17counting_iteratorIjlEEPS9_SE_NS0_5tupleIJPjSE_EEENSF_IJSE_SE_EEES9_SG_JZNS1_25segmented_radix_sort_implINS0_14default_configELb1EPKbPbPKlPlN2at6native12_GLOBAL__N_18offset_tEEE10hipError_tPvRmT1_PNSt15iterator_traitsISY_E10value_typeET2_T3_PNSZ_IS14_E10value_typeET4_jRbjT5_S1A_jjP12ihipStream_tbEUljE_EEESV_SW_SX_S14_S18_S1A_T6_T7_T9_mT8_S1C_bDpT10_ENKUlT_T0_E_clISt17integral_constantIbLb0EES1O_IbLb1EEEEDaS1K_S1L_EUlS1K_E_NS1_11comp_targetILNS1_3genE8ELNS1_11target_archE1030ELNS1_3gpuE2ELNS1_3repE0EEENS1_30default_config_static_selectorELNS0_4arch9wavefront6targetE0EEEvSY_
		.amdhsa_group_segment_fixed_size 13320
		.amdhsa_private_segment_fixed_size 0
		.amdhsa_kernarg_size 152
		.amdhsa_user_sgpr_count 6
		.amdhsa_user_sgpr_private_segment_buffer 1
		.amdhsa_user_sgpr_dispatch_ptr 0
		.amdhsa_user_sgpr_queue_ptr 0
		.amdhsa_user_sgpr_kernarg_segment_ptr 1
		.amdhsa_user_sgpr_dispatch_id 0
		.amdhsa_user_sgpr_flat_scratch_init 0
		.amdhsa_user_sgpr_private_segment_size 0
		.amdhsa_wavefront_size32 1
		.amdhsa_uses_dynamic_stack 0
		.amdhsa_system_sgpr_private_segment_wavefront_offset 0
		.amdhsa_system_sgpr_workgroup_id_x 1
		.amdhsa_system_sgpr_workgroup_id_y 0
		.amdhsa_system_sgpr_workgroup_id_z 0
		.amdhsa_system_sgpr_workgroup_info 0
		.amdhsa_system_vgpr_workitem_id 0
		.amdhsa_next_free_vgpr 71
		.amdhsa_next_free_sgpr 26
		.amdhsa_reserve_vcc 1
		.amdhsa_reserve_flat_scratch 0
		.amdhsa_float_round_mode_32 0
		.amdhsa_float_round_mode_16_64 0
		.amdhsa_float_denorm_mode_32 3
		.amdhsa_float_denorm_mode_16_64 3
		.amdhsa_dx10_clamp 1
		.amdhsa_ieee_mode 1
		.amdhsa_fp16_overflow 0
		.amdhsa_workgroup_processor_mode 1
		.amdhsa_memory_ordered 1
		.amdhsa_forward_progress 1
		.amdhsa_shared_vgpr_count 0
		.amdhsa_exception_fp_ieee_invalid_op 0
		.amdhsa_exception_fp_denorm_src 0
		.amdhsa_exception_fp_ieee_div_zero 0
		.amdhsa_exception_fp_ieee_overflow 0
		.amdhsa_exception_fp_ieee_underflow 0
		.amdhsa_exception_fp_ieee_inexact 0
		.amdhsa_exception_int_div_zero 0
	.end_amdhsa_kernel
	.section	.text._ZN7rocprim17ROCPRIM_400000_NS6detail17trampoline_kernelINS0_13select_configILj256ELj13ELNS0_17block_load_methodE3ELS4_3ELS4_3ELNS0_20block_scan_algorithmE0ELj4294967295EEENS1_25partition_config_selectorILNS1_17partition_subalgoE3EjNS0_10empty_typeEbEEZZNS1_14partition_implILS8_3ELb0ES6_jNS0_17counting_iteratorIjlEEPS9_SE_NS0_5tupleIJPjSE_EEENSF_IJSE_SE_EEES9_SG_JZNS1_25segmented_radix_sort_implINS0_14default_configELb1EPKbPbPKlPlN2at6native12_GLOBAL__N_18offset_tEEE10hipError_tPvRmT1_PNSt15iterator_traitsISY_E10value_typeET2_T3_PNSZ_IS14_E10value_typeET4_jRbjT5_S1A_jjP12ihipStream_tbEUljE_EEESV_SW_SX_S14_S18_S1A_T6_T7_T9_mT8_S1C_bDpT10_ENKUlT_T0_E_clISt17integral_constantIbLb0EES1O_IbLb1EEEEDaS1K_S1L_EUlS1K_E_NS1_11comp_targetILNS1_3genE8ELNS1_11target_archE1030ELNS1_3gpuE2ELNS1_3repE0EEENS1_30default_config_static_selectorELNS0_4arch9wavefront6targetE0EEEvSY_,"axG",@progbits,_ZN7rocprim17ROCPRIM_400000_NS6detail17trampoline_kernelINS0_13select_configILj256ELj13ELNS0_17block_load_methodE3ELS4_3ELS4_3ELNS0_20block_scan_algorithmE0ELj4294967295EEENS1_25partition_config_selectorILNS1_17partition_subalgoE3EjNS0_10empty_typeEbEEZZNS1_14partition_implILS8_3ELb0ES6_jNS0_17counting_iteratorIjlEEPS9_SE_NS0_5tupleIJPjSE_EEENSF_IJSE_SE_EEES9_SG_JZNS1_25segmented_radix_sort_implINS0_14default_configELb1EPKbPbPKlPlN2at6native12_GLOBAL__N_18offset_tEEE10hipError_tPvRmT1_PNSt15iterator_traitsISY_E10value_typeET2_T3_PNSZ_IS14_E10value_typeET4_jRbjT5_S1A_jjP12ihipStream_tbEUljE_EEESV_SW_SX_S14_S18_S1A_T6_T7_T9_mT8_S1C_bDpT10_ENKUlT_T0_E_clISt17integral_constantIbLb0EES1O_IbLb1EEEEDaS1K_S1L_EUlS1K_E_NS1_11comp_targetILNS1_3genE8ELNS1_11target_archE1030ELNS1_3gpuE2ELNS1_3repE0EEENS1_30default_config_static_selectorELNS0_4arch9wavefront6targetE0EEEvSY_,comdat
.Lfunc_end1523:
	.size	_ZN7rocprim17ROCPRIM_400000_NS6detail17trampoline_kernelINS0_13select_configILj256ELj13ELNS0_17block_load_methodE3ELS4_3ELS4_3ELNS0_20block_scan_algorithmE0ELj4294967295EEENS1_25partition_config_selectorILNS1_17partition_subalgoE3EjNS0_10empty_typeEbEEZZNS1_14partition_implILS8_3ELb0ES6_jNS0_17counting_iteratorIjlEEPS9_SE_NS0_5tupleIJPjSE_EEENSF_IJSE_SE_EEES9_SG_JZNS1_25segmented_radix_sort_implINS0_14default_configELb1EPKbPbPKlPlN2at6native12_GLOBAL__N_18offset_tEEE10hipError_tPvRmT1_PNSt15iterator_traitsISY_E10value_typeET2_T3_PNSZ_IS14_E10value_typeET4_jRbjT5_S1A_jjP12ihipStream_tbEUljE_EEESV_SW_SX_S14_S18_S1A_T6_T7_T9_mT8_S1C_bDpT10_ENKUlT_T0_E_clISt17integral_constantIbLb0EES1O_IbLb1EEEEDaS1K_S1L_EUlS1K_E_NS1_11comp_targetILNS1_3genE8ELNS1_11target_archE1030ELNS1_3gpuE2ELNS1_3repE0EEENS1_30default_config_static_selectorELNS0_4arch9wavefront6targetE0EEEvSY_, .Lfunc_end1523-_ZN7rocprim17ROCPRIM_400000_NS6detail17trampoline_kernelINS0_13select_configILj256ELj13ELNS0_17block_load_methodE3ELS4_3ELS4_3ELNS0_20block_scan_algorithmE0ELj4294967295EEENS1_25partition_config_selectorILNS1_17partition_subalgoE3EjNS0_10empty_typeEbEEZZNS1_14partition_implILS8_3ELb0ES6_jNS0_17counting_iteratorIjlEEPS9_SE_NS0_5tupleIJPjSE_EEENSF_IJSE_SE_EEES9_SG_JZNS1_25segmented_radix_sort_implINS0_14default_configELb1EPKbPbPKlPlN2at6native12_GLOBAL__N_18offset_tEEE10hipError_tPvRmT1_PNSt15iterator_traitsISY_E10value_typeET2_T3_PNSZ_IS14_E10value_typeET4_jRbjT5_S1A_jjP12ihipStream_tbEUljE_EEESV_SW_SX_S14_S18_S1A_T6_T7_T9_mT8_S1C_bDpT10_ENKUlT_T0_E_clISt17integral_constantIbLb0EES1O_IbLb1EEEEDaS1K_S1L_EUlS1K_E_NS1_11comp_targetILNS1_3genE8ELNS1_11target_archE1030ELNS1_3gpuE2ELNS1_3repE0EEENS1_30default_config_static_selectorELNS0_4arch9wavefront6targetE0EEEvSY_
                                        ; -- End function
	.set _ZN7rocprim17ROCPRIM_400000_NS6detail17trampoline_kernelINS0_13select_configILj256ELj13ELNS0_17block_load_methodE3ELS4_3ELS4_3ELNS0_20block_scan_algorithmE0ELj4294967295EEENS1_25partition_config_selectorILNS1_17partition_subalgoE3EjNS0_10empty_typeEbEEZZNS1_14partition_implILS8_3ELb0ES6_jNS0_17counting_iteratorIjlEEPS9_SE_NS0_5tupleIJPjSE_EEENSF_IJSE_SE_EEES9_SG_JZNS1_25segmented_radix_sort_implINS0_14default_configELb1EPKbPbPKlPlN2at6native12_GLOBAL__N_18offset_tEEE10hipError_tPvRmT1_PNSt15iterator_traitsISY_E10value_typeET2_T3_PNSZ_IS14_E10value_typeET4_jRbjT5_S1A_jjP12ihipStream_tbEUljE_EEESV_SW_SX_S14_S18_S1A_T6_T7_T9_mT8_S1C_bDpT10_ENKUlT_T0_E_clISt17integral_constantIbLb0EES1O_IbLb1EEEEDaS1K_S1L_EUlS1K_E_NS1_11comp_targetILNS1_3genE8ELNS1_11target_archE1030ELNS1_3gpuE2ELNS1_3repE0EEENS1_30default_config_static_selectorELNS0_4arch9wavefront6targetE0EEEvSY_.num_vgpr, 71
	.set _ZN7rocprim17ROCPRIM_400000_NS6detail17trampoline_kernelINS0_13select_configILj256ELj13ELNS0_17block_load_methodE3ELS4_3ELS4_3ELNS0_20block_scan_algorithmE0ELj4294967295EEENS1_25partition_config_selectorILNS1_17partition_subalgoE3EjNS0_10empty_typeEbEEZZNS1_14partition_implILS8_3ELb0ES6_jNS0_17counting_iteratorIjlEEPS9_SE_NS0_5tupleIJPjSE_EEENSF_IJSE_SE_EEES9_SG_JZNS1_25segmented_radix_sort_implINS0_14default_configELb1EPKbPbPKlPlN2at6native12_GLOBAL__N_18offset_tEEE10hipError_tPvRmT1_PNSt15iterator_traitsISY_E10value_typeET2_T3_PNSZ_IS14_E10value_typeET4_jRbjT5_S1A_jjP12ihipStream_tbEUljE_EEESV_SW_SX_S14_S18_S1A_T6_T7_T9_mT8_S1C_bDpT10_ENKUlT_T0_E_clISt17integral_constantIbLb0EES1O_IbLb1EEEEDaS1K_S1L_EUlS1K_E_NS1_11comp_targetILNS1_3genE8ELNS1_11target_archE1030ELNS1_3gpuE2ELNS1_3repE0EEENS1_30default_config_static_selectorELNS0_4arch9wavefront6targetE0EEEvSY_.num_agpr, 0
	.set _ZN7rocprim17ROCPRIM_400000_NS6detail17trampoline_kernelINS0_13select_configILj256ELj13ELNS0_17block_load_methodE3ELS4_3ELS4_3ELNS0_20block_scan_algorithmE0ELj4294967295EEENS1_25partition_config_selectorILNS1_17partition_subalgoE3EjNS0_10empty_typeEbEEZZNS1_14partition_implILS8_3ELb0ES6_jNS0_17counting_iteratorIjlEEPS9_SE_NS0_5tupleIJPjSE_EEENSF_IJSE_SE_EEES9_SG_JZNS1_25segmented_radix_sort_implINS0_14default_configELb1EPKbPbPKlPlN2at6native12_GLOBAL__N_18offset_tEEE10hipError_tPvRmT1_PNSt15iterator_traitsISY_E10value_typeET2_T3_PNSZ_IS14_E10value_typeET4_jRbjT5_S1A_jjP12ihipStream_tbEUljE_EEESV_SW_SX_S14_S18_S1A_T6_T7_T9_mT8_S1C_bDpT10_ENKUlT_T0_E_clISt17integral_constantIbLb0EES1O_IbLb1EEEEDaS1K_S1L_EUlS1K_E_NS1_11comp_targetILNS1_3genE8ELNS1_11target_archE1030ELNS1_3gpuE2ELNS1_3repE0EEENS1_30default_config_static_selectorELNS0_4arch9wavefront6targetE0EEEvSY_.numbered_sgpr, 26
	.set _ZN7rocprim17ROCPRIM_400000_NS6detail17trampoline_kernelINS0_13select_configILj256ELj13ELNS0_17block_load_methodE3ELS4_3ELS4_3ELNS0_20block_scan_algorithmE0ELj4294967295EEENS1_25partition_config_selectorILNS1_17partition_subalgoE3EjNS0_10empty_typeEbEEZZNS1_14partition_implILS8_3ELb0ES6_jNS0_17counting_iteratorIjlEEPS9_SE_NS0_5tupleIJPjSE_EEENSF_IJSE_SE_EEES9_SG_JZNS1_25segmented_radix_sort_implINS0_14default_configELb1EPKbPbPKlPlN2at6native12_GLOBAL__N_18offset_tEEE10hipError_tPvRmT1_PNSt15iterator_traitsISY_E10value_typeET2_T3_PNSZ_IS14_E10value_typeET4_jRbjT5_S1A_jjP12ihipStream_tbEUljE_EEESV_SW_SX_S14_S18_S1A_T6_T7_T9_mT8_S1C_bDpT10_ENKUlT_T0_E_clISt17integral_constantIbLb0EES1O_IbLb1EEEEDaS1K_S1L_EUlS1K_E_NS1_11comp_targetILNS1_3genE8ELNS1_11target_archE1030ELNS1_3gpuE2ELNS1_3repE0EEENS1_30default_config_static_selectorELNS0_4arch9wavefront6targetE0EEEvSY_.num_named_barrier, 0
	.set _ZN7rocprim17ROCPRIM_400000_NS6detail17trampoline_kernelINS0_13select_configILj256ELj13ELNS0_17block_load_methodE3ELS4_3ELS4_3ELNS0_20block_scan_algorithmE0ELj4294967295EEENS1_25partition_config_selectorILNS1_17partition_subalgoE3EjNS0_10empty_typeEbEEZZNS1_14partition_implILS8_3ELb0ES6_jNS0_17counting_iteratorIjlEEPS9_SE_NS0_5tupleIJPjSE_EEENSF_IJSE_SE_EEES9_SG_JZNS1_25segmented_radix_sort_implINS0_14default_configELb1EPKbPbPKlPlN2at6native12_GLOBAL__N_18offset_tEEE10hipError_tPvRmT1_PNSt15iterator_traitsISY_E10value_typeET2_T3_PNSZ_IS14_E10value_typeET4_jRbjT5_S1A_jjP12ihipStream_tbEUljE_EEESV_SW_SX_S14_S18_S1A_T6_T7_T9_mT8_S1C_bDpT10_ENKUlT_T0_E_clISt17integral_constantIbLb0EES1O_IbLb1EEEEDaS1K_S1L_EUlS1K_E_NS1_11comp_targetILNS1_3genE8ELNS1_11target_archE1030ELNS1_3gpuE2ELNS1_3repE0EEENS1_30default_config_static_selectorELNS0_4arch9wavefront6targetE0EEEvSY_.private_seg_size, 0
	.set _ZN7rocprim17ROCPRIM_400000_NS6detail17trampoline_kernelINS0_13select_configILj256ELj13ELNS0_17block_load_methodE3ELS4_3ELS4_3ELNS0_20block_scan_algorithmE0ELj4294967295EEENS1_25partition_config_selectorILNS1_17partition_subalgoE3EjNS0_10empty_typeEbEEZZNS1_14partition_implILS8_3ELb0ES6_jNS0_17counting_iteratorIjlEEPS9_SE_NS0_5tupleIJPjSE_EEENSF_IJSE_SE_EEES9_SG_JZNS1_25segmented_radix_sort_implINS0_14default_configELb1EPKbPbPKlPlN2at6native12_GLOBAL__N_18offset_tEEE10hipError_tPvRmT1_PNSt15iterator_traitsISY_E10value_typeET2_T3_PNSZ_IS14_E10value_typeET4_jRbjT5_S1A_jjP12ihipStream_tbEUljE_EEESV_SW_SX_S14_S18_S1A_T6_T7_T9_mT8_S1C_bDpT10_ENKUlT_T0_E_clISt17integral_constantIbLb0EES1O_IbLb1EEEEDaS1K_S1L_EUlS1K_E_NS1_11comp_targetILNS1_3genE8ELNS1_11target_archE1030ELNS1_3gpuE2ELNS1_3repE0EEENS1_30default_config_static_selectorELNS0_4arch9wavefront6targetE0EEEvSY_.uses_vcc, 1
	.set _ZN7rocprim17ROCPRIM_400000_NS6detail17trampoline_kernelINS0_13select_configILj256ELj13ELNS0_17block_load_methodE3ELS4_3ELS4_3ELNS0_20block_scan_algorithmE0ELj4294967295EEENS1_25partition_config_selectorILNS1_17partition_subalgoE3EjNS0_10empty_typeEbEEZZNS1_14partition_implILS8_3ELb0ES6_jNS0_17counting_iteratorIjlEEPS9_SE_NS0_5tupleIJPjSE_EEENSF_IJSE_SE_EEES9_SG_JZNS1_25segmented_radix_sort_implINS0_14default_configELb1EPKbPbPKlPlN2at6native12_GLOBAL__N_18offset_tEEE10hipError_tPvRmT1_PNSt15iterator_traitsISY_E10value_typeET2_T3_PNSZ_IS14_E10value_typeET4_jRbjT5_S1A_jjP12ihipStream_tbEUljE_EEESV_SW_SX_S14_S18_S1A_T6_T7_T9_mT8_S1C_bDpT10_ENKUlT_T0_E_clISt17integral_constantIbLb0EES1O_IbLb1EEEEDaS1K_S1L_EUlS1K_E_NS1_11comp_targetILNS1_3genE8ELNS1_11target_archE1030ELNS1_3gpuE2ELNS1_3repE0EEENS1_30default_config_static_selectorELNS0_4arch9wavefront6targetE0EEEvSY_.uses_flat_scratch, 0
	.set _ZN7rocprim17ROCPRIM_400000_NS6detail17trampoline_kernelINS0_13select_configILj256ELj13ELNS0_17block_load_methodE3ELS4_3ELS4_3ELNS0_20block_scan_algorithmE0ELj4294967295EEENS1_25partition_config_selectorILNS1_17partition_subalgoE3EjNS0_10empty_typeEbEEZZNS1_14partition_implILS8_3ELb0ES6_jNS0_17counting_iteratorIjlEEPS9_SE_NS0_5tupleIJPjSE_EEENSF_IJSE_SE_EEES9_SG_JZNS1_25segmented_radix_sort_implINS0_14default_configELb1EPKbPbPKlPlN2at6native12_GLOBAL__N_18offset_tEEE10hipError_tPvRmT1_PNSt15iterator_traitsISY_E10value_typeET2_T3_PNSZ_IS14_E10value_typeET4_jRbjT5_S1A_jjP12ihipStream_tbEUljE_EEESV_SW_SX_S14_S18_S1A_T6_T7_T9_mT8_S1C_bDpT10_ENKUlT_T0_E_clISt17integral_constantIbLb0EES1O_IbLb1EEEEDaS1K_S1L_EUlS1K_E_NS1_11comp_targetILNS1_3genE8ELNS1_11target_archE1030ELNS1_3gpuE2ELNS1_3repE0EEENS1_30default_config_static_selectorELNS0_4arch9wavefront6targetE0EEEvSY_.has_dyn_sized_stack, 0
	.set _ZN7rocprim17ROCPRIM_400000_NS6detail17trampoline_kernelINS0_13select_configILj256ELj13ELNS0_17block_load_methodE3ELS4_3ELS4_3ELNS0_20block_scan_algorithmE0ELj4294967295EEENS1_25partition_config_selectorILNS1_17partition_subalgoE3EjNS0_10empty_typeEbEEZZNS1_14partition_implILS8_3ELb0ES6_jNS0_17counting_iteratorIjlEEPS9_SE_NS0_5tupleIJPjSE_EEENSF_IJSE_SE_EEES9_SG_JZNS1_25segmented_radix_sort_implINS0_14default_configELb1EPKbPbPKlPlN2at6native12_GLOBAL__N_18offset_tEEE10hipError_tPvRmT1_PNSt15iterator_traitsISY_E10value_typeET2_T3_PNSZ_IS14_E10value_typeET4_jRbjT5_S1A_jjP12ihipStream_tbEUljE_EEESV_SW_SX_S14_S18_S1A_T6_T7_T9_mT8_S1C_bDpT10_ENKUlT_T0_E_clISt17integral_constantIbLb0EES1O_IbLb1EEEEDaS1K_S1L_EUlS1K_E_NS1_11comp_targetILNS1_3genE8ELNS1_11target_archE1030ELNS1_3gpuE2ELNS1_3repE0EEENS1_30default_config_static_selectorELNS0_4arch9wavefront6targetE0EEEvSY_.has_recursion, 0
	.set _ZN7rocprim17ROCPRIM_400000_NS6detail17trampoline_kernelINS0_13select_configILj256ELj13ELNS0_17block_load_methodE3ELS4_3ELS4_3ELNS0_20block_scan_algorithmE0ELj4294967295EEENS1_25partition_config_selectorILNS1_17partition_subalgoE3EjNS0_10empty_typeEbEEZZNS1_14partition_implILS8_3ELb0ES6_jNS0_17counting_iteratorIjlEEPS9_SE_NS0_5tupleIJPjSE_EEENSF_IJSE_SE_EEES9_SG_JZNS1_25segmented_radix_sort_implINS0_14default_configELb1EPKbPbPKlPlN2at6native12_GLOBAL__N_18offset_tEEE10hipError_tPvRmT1_PNSt15iterator_traitsISY_E10value_typeET2_T3_PNSZ_IS14_E10value_typeET4_jRbjT5_S1A_jjP12ihipStream_tbEUljE_EEESV_SW_SX_S14_S18_S1A_T6_T7_T9_mT8_S1C_bDpT10_ENKUlT_T0_E_clISt17integral_constantIbLb0EES1O_IbLb1EEEEDaS1K_S1L_EUlS1K_E_NS1_11comp_targetILNS1_3genE8ELNS1_11target_archE1030ELNS1_3gpuE2ELNS1_3repE0EEENS1_30default_config_static_selectorELNS0_4arch9wavefront6targetE0EEEvSY_.has_indirect_call, 0
	.section	.AMDGPU.csdata,"",@progbits
; Kernel info:
; codeLenInByte = 8704
; TotalNumSgprs: 28
; NumVgprs: 71
; ScratchSize: 0
; MemoryBound: 0
; FloatMode: 240
; IeeeMode: 1
; LDSByteSize: 13320 bytes/workgroup (compile time only)
; SGPRBlocks: 0
; VGPRBlocks: 8
; NumSGPRsForWavesPerEU: 28
; NumVGPRsForWavesPerEU: 71
; Occupancy: 12
; WaveLimiterHint : 0
; COMPUTE_PGM_RSRC2:SCRATCH_EN: 0
; COMPUTE_PGM_RSRC2:USER_SGPR: 6
; COMPUTE_PGM_RSRC2:TRAP_HANDLER: 0
; COMPUTE_PGM_RSRC2:TGID_X_EN: 1
; COMPUTE_PGM_RSRC2:TGID_Y_EN: 0
; COMPUTE_PGM_RSRC2:TGID_Z_EN: 0
; COMPUTE_PGM_RSRC2:TIDIG_COMP_CNT: 0
	.section	.text._ZN7rocprim17ROCPRIM_400000_NS6detail17trampoline_kernelINS0_14default_configENS1_36segmented_radix_sort_config_selectorIblEEZNS1_25segmented_radix_sort_implIS3_Lb1EPKbPbPKlPlN2at6native12_GLOBAL__N_18offset_tEEE10hipError_tPvRmT1_PNSt15iterator_traitsISK_E10value_typeET2_T3_PNSL_ISQ_E10value_typeET4_jRbjT5_SW_jjP12ihipStream_tbEUlT_E_NS1_11comp_targetILNS1_3genE0ELNS1_11target_archE4294967295ELNS1_3gpuE0ELNS1_3repE0EEENS1_30default_config_static_selectorELNS0_4arch9wavefront6targetE0EEEvSK_,"axG",@progbits,_ZN7rocprim17ROCPRIM_400000_NS6detail17trampoline_kernelINS0_14default_configENS1_36segmented_radix_sort_config_selectorIblEEZNS1_25segmented_radix_sort_implIS3_Lb1EPKbPbPKlPlN2at6native12_GLOBAL__N_18offset_tEEE10hipError_tPvRmT1_PNSt15iterator_traitsISK_E10value_typeET2_T3_PNSL_ISQ_E10value_typeET4_jRbjT5_SW_jjP12ihipStream_tbEUlT_E_NS1_11comp_targetILNS1_3genE0ELNS1_11target_archE4294967295ELNS1_3gpuE0ELNS1_3repE0EEENS1_30default_config_static_selectorELNS0_4arch9wavefront6targetE0EEEvSK_,comdat
	.globl	_ZN7rocprim17ROCPRIM_400000_NS6detail17trampoline_kernelINS0_14default_configENS1_36segmented_radix_sort_config_selectorIblEEZNS1_25segmented_radix_sort_implIS3_Lb1EPKbPbPKlPlN2at6native12_GLOBAL__N_18offset_tEEE10hipError_tPvRmT1_PNSt15iterator_traitsISK_E10value_typeET2_T3_PNSL_ISQ_E10value_typeET4_jRbjT5_SW_jjP12ihipStream_tbEUlT_E_NS1_11comp_targetILNS1_3genE0ELNS1_11target_archE4294967295ELNS1_3gpuE0ELNS1_3repE0EEENS1_30default_config_static_selectorELNS0_4arch9wavefront6targetE0EEEvSK_ ; -- Begin function _ZN7rocprim17ROCPRIM_400000_NS6detail17trampoline_kernelINS0_14default_configENS1_36segmented_radix_sort_config_selectorIblEEZNS1_25segmented_radix_sort_implIS3_Lb1EPKbPbPKlPlN2at6native12_GLOBAL__N_18offset_tEEE10hipError_tPvRmT1_PNSt15iterator_traitsISK_E10value_typeET2_T3_PNSL_ISQ_E10value_typeET4_jRbjT5_SW_jjP12ihipStream_tbEUlT_E_NS1_11comp_targetILNS1_3genE0ELNS1_11target_archE4294967295ELNS1_3gpuE0ELNS1_3repE0EEENS1_30default_config_static_selectorELNS0_4arch9wavefront6targetE0EEEvSK_
	.p2align	8
	.type	_ZN7rocprim17ROCPRIM_400000_NS6detail17trampoline_kernelINS0_14default_configENS1_36segmented_radix_sort_config_selectorIblEEZNS1_25segmented_radix_sort_implIS3_Lb1EPKbPbPKlPlN2at6native12_GLOBAL__N_18offset_tEEE10hipError_tPvRmT1_PNSt15iterator_traitsISK_E10value_typeET2_T3_PNSL_ISQ_E10value_typeET4_jRbjT5_SW_jjP12ihipStream_tbEUlT_E_NS1_11comp_targetILNS1_3genE0ELNS1_11target_archE4294967295ELNS1_3gpuE0ELNS1_3repE0EEENS1_30default_config_static_selectorELNS0_4arch9wavefront6targetE0EEEvSK_,@function
_ZN7rocprim17ROCPRIM_400000_NS6detail17trampoline_kernelINS0_14default_configENS1_36segmented_radix_sort_config_selectorIblEEZNS1_25segmented_radix_sort_implIS3_Lb1EPKbPbPKlPlN2at6native12_GLOBAL__N_18offset_tEEE10hipError_tPvRmT1_PNSt15iterator_traitsISK_E10value_typeET2_T3_PNSL_ISQ_E10value_typeET4_jRbjT5_SW_jjP12ihipStream_tbEUlT_E_NS1_11comp_targetILNS1_3genE0ELNS1_11target_archE4294967295ELNS1_3gpuE0ELNS1_3repE0EEENS1_30default_config_static_selectorELNS0_4arch9wavefront6targetE0EEEvSK_: ; @_ZN7rocprim17ROCPRIM_400000_NS6detail17trampoline_kernelINS0_14default_configENS1_36segmented_radix_sort_config_selectorIblEEZNS1_25segmented_radix_sort_implIS3_Lb1EPKbPbPKlPlN2at6native12_GLOBAL__N_18offset_tEEE10hipError_tPvRmT1_PNSt15iterator_traitsISK_E10value_typeET2_T3_PNSL_ISQ_E10value_typeET4_jRbjT5_SW_jjP12ihipStream_tbEUlT_E_NS1_11comp_targetILNS1_3genE0ELNS1_11target_archE4294967295ELNS1_3gpuE0ELNS1_3repE0EEENS1_30default_config_static_selectorELNS0_4arch9wavefront6targetE0EEEvSK_
; %bb.0:
	.section	.rodata,"a",@progbits
	.p2align	6, 0x0
	.amdhsa_kernel _ZN7rocprim17ROCPRIM_400000_NS6detail17trampoline_kernelINS0_14default_configENS1_36segmented_radix_sort_config_selectorIblEEZNS1_25segmented_radix_sort_implIS3_Lb1EPKbPbPKlPlN2at6native12_GLOBAL__N_18offset_tEEE10hipError_tPvRmT1_PNSt15iterator_traitsISK_E10value_typeET2_T3_PNSL_ISQ_E10value_typeET4_jRbjT5_SW_jjP12ihipStream_tbEUlT_E_NS1_11comp_targetILNS1_3genE0ELNS1_11target_archE4294967295ELNS1_3gpuE0ELNS1_3repE0EEENS1_30default_config_static_selectorELNS0_4arch9wavefront6targetE0EEEvSK_
		.amdhsa_group_segment_fixed_size 0
		.amdhsa_private_segment_fixed_size 0
		.amdhsa_kernarg_size 96
		.amdhsa_user_sgpr_count 6
		.amdhsa_user_sgpr_private_segment_buffer 1
		.amdhsa_user_sgpr_dispatch_ptr 0
		.amdhsa_user_sgpr_queue_ptr 0
		.amdhsa_user_sgpr_kernarg_segment_ptr 1
		.amdhsa_user_sgpr_dispatch_id 0
		.amdhsa_user_sgpr_flat_scratch_init 0
		.amdhsa_user_sgpr_private_segment_size 0
		.amdhsa_wavefront_size32 1
		.amdhsa_uses_dynamic_stack 0
		.amdhsa_system_sgpr_private_segment_wavefront_offset 0
		.amdhsa_system_sgpr_workgroup_id_x 1
		.amdhsa_system_sgpr_workgroup_id_y 0
		.amdhsa_system_sgpr_workgroup_id_z 0
		.amdhsa_system_sgpr_workgroup_info 0
		.amdhsa_system_vgpr_workitem_id 0
		.amdhsa_next_free_vgpr 1
		.amdhsa_next_free_sgpr 1
		.amdhsa_reserve_vcc 0
		.amdhsa_reserve_flat_scratch 0
		.amdhsa_float_round_mode_32 0
		.amdhsa_float_round_mode_16_64 0
		.amdhsa_float_denorm_mode_32 3
		.amdhsa_float_denorm_mode_16_64 3
		.amdhsa_dx10_clamp 1
		.amdhsa_ieee_mode 1
		.amdhsa_fp16_overflow 0
		.amdhsa_workgroup_processor_mode 1
		.amdhsa_memory_ordered 1
		.amdhsa_forward_progress 1
		.amdhsa_shared_vgpr_count 0
		.amdhsa_exception_fp_ieee_invalid_op 0
		.amdhsa_exception_fp_denorm_src 0
		.amdhsa_exception_fp_ieee_div_zero 0
		.amdhsa_exception_fp_ieee_overflow 0
		.amdhsa_exception_fp_ieee_underflow 0
		.amdhsa_exception_fp_ieee_inexact 0
		.amdhsa_exception_int_div_zero 0
	.end_amdhsa_kernel
	.section	.text._ZN7rocprim17ROCPRIM_400000_NS6detail17trampoline_kernelINS0_14default_configENS1_36segmented_radix_sort_config_selectorIblEEZNS1_25segmented_radix_sort_implIS3_Lb1EPKbPbPKlPlN2at6native12_GLOBAL__N_18offset_tEEE10hipError_tPvRmT1_PNSt15iterator_traitsISK_E10value_typeET2_T3_PNSL_ISQ_E10value_typeET4_jRbjT5_SW_jjP12ihipStream_tbEUlT_E_NS1_11comp_targetILNS1_3genE0ELNS1_11target_archE4294967295ELNS1_3gpuE0ELNS1_3repE0EEENS1_30default_config_static_selectorELNS0_4arch9wavefront6targetE0EEEvSK_,"axG",@progbits,_ZN7rocprim17ROCPRIM_400000_NS6detail17trampoline_kernelINS0_14default_configENS1_36segmented_radix_sort_config_selectorIblEEZNS1_25segmented_radix_sort_implIS3_Lb1EPKbPbPKlPlN2at6native12_GLOBAL__N_18offset_tEEE10hipError_tPvRmT1_PNSt15iterator_traitsISK_E10value_typeET2_T3_PNSL_ISQ_E10value_typeET4_jRbjT5_SW_jjP12ihipStream_tbEUlT_E_NS1_11comp_targetILNS1_3genE0ELNS1_11target_archE4294967295ELNS1_3gpuE0ELNS1_3repE0EEENS1_30default_config_static_selectorELNS0_4arch9wavefront6targetE0EEEvSK_,comdat
.Lfunc_end1524:
	.size	_ZN7rocprim17ROCPRIM_400000_NS6detail17trampoline_kernelINS0_14default_configENS1_36segmented_radix_sort_config_selectorIblEEZNS1_25segmented_radix_sort_implIS3_Lb1EPKbPbPKlPlN2at6native12_GLOBAL__N_18offset_tEEE10hipError_tPvRmT1_PNSt15iterator_traitsISK_E10value_typeET2_T3_PNSL_ISQ_E10value_typeET4_jRbjT5_SW_jjP12ihipStream_tbEUlT_E_NS1_11comp_targetILNS1_3genE0ELNS1_11target_archE4294967295ELNS1_3gpuE0ELNS1_3repE0EEENS1_30default_config_static_selectorELNS0_4arch9wavefront6targetE0EEEvSK_, .Lfunc_end1524-_ZN7rocprim17ROCPRIM_400000_NS6detail17trampoline_kernelINS0_14default_configENS1_36segmented_radix_sort_config_selectorIblEEZNS1_25segmented_radix_sort_implIS3_Lb1EPKbPbPKlPlN2at6native12_GLOBAL__N_18offset_tEEE10hipError_tPvRmT1_PNSt15iterator_traitsISK_E10value_typeET2_T3_PNSL_ISQ_E10value_typeET4_jRbjT5_SW_jjP12ihipStream_tbEUlT_E_NS1_11comp_targetILNS1_3genE0ELNS1_11target_archE4294967295ELNS1_3gpuE0ELNS1_3repE0EEENS1_30default_config_static_selectorELNS0_4arch9wavefront6targetE0EEEvSK_
                                        ; -- End function
	.set _ZN7rocprim17ROCPRIM_400000_NS6detail17trampoline_kernelINS0_14default_configENS1_36segmented_radix_sort_config_selectorIblEEZNS1_25segmented_radix_sort_implIS3_Lb1EPKbPbPKlPlN2at6native12_GLOBAL__N_18offset_tEEE10hipError_tPvRmT1_PNSt15iterator_traitsISK_E10value_typeET2_T3_PNSL_ISQ_E10value_typeET4_jRbjT5_SW_jjP12ihipStream_tbEUlT_E_NS1_11comp_targetILNS1_3genE0ELNS1_11target_archE4294967295ELNS1_3gpuE0ELNS1_3repE0EEENS1_30default_config_static_selectorELNS0_4arch9wavefront6targetE0EEEvSK_.num_vgpr, 0
	.set _ZN7rocprim17ROCPRIM_400000_NS6detail17trampoline_kernelINS0_14default_configENS1_36segmented_radix_sort_config_selectorIblEEZNS1_25segmented_radix_sort_implIS3_Lb1EPKbPbPKlPlN2at6native12_GLOBAL__N_18offset_tEEE10hipError_tPvRmT1_PNSt15iterator_traitsISK_E10value_typeET2_T3_PNSL_ISQ_E10value_typeET4_jRbjT5_SW_jjP12ihipStream_tbEUlT_E_NS1_11comp_targetILNS1_3genE0ELNS1_11target_archE4294967295ELNS1_3gpuE0ELNS1_3repE0EEENS1_30default_config_static_selectorELNS0_4arch9wavefront6targetE0EEEvSK_.num_agpr, 0
	.set _ZN7rocprim17ROCPRIM_400000_NS6detail17trampoline_kernelINS0_14default_configENS1_36segmented_radix_sort_config_selectorIblEEZNS1_25segmented_radix_sort_implIS3_Lb1EPKbPbPKlPlN2at6native12_GLOBAL__N_18offset_tEEE10hipError_tPvRmT1_PNSt15iterator_traitsISK_E10value_typeET2_T3_PNSL_ISQ_E10value_typeET4_jRbjT5_SW_jjP12ihipStream_tbEUlT_E_NS1_11comp_targetILNS1_3genE0ELNS1_11target_archE4294967295ELNS1_3gpuE0ELNS1_3repE0EEENS1_30default_config_static_selectorELNS0_4arch9wavefront6targetE0EEEvSK_.numbered_sgpr, 0
	.set _ZN7rocprim17ROCPRIM_400000_NS6detail17trampoline_kernelINS0_14default_configENS1_36segmented_radix_sort_config_selectorIblEEZNS1_25segmented_radix_sort_implIS3_Lb1EPKbPbPKlPlN2at6native12_GLOBAL__N_18offset_tEEE10hipError_tPvRmT1_PNSt15iterator_traitsISK_E10value_typeET2_T3_PNSL_ISQ_E10value_typeET4_jRbjT5_SW_jjP12ihipStream_tbEUlT_E_NS1_11comp_targetILNS1_3genE0ELNS1_11target_archE4294967295ELNS1_3gpuE0ELNS1_3repE0EEENS1_30default_config_static_selectorELNS0_4arch9wavefront6targetE0EEEvSK_.num_named_barrier, 0
	.set _ZN7rocprim17ROCPRIM_400000_NS6detail17trampoline_kernelINS0_14default_configENS1_36segmented_radix_sort_config_selectorIblEEZNS1_25segmented_radix_sort_implIS3_Lb1EPKbPbPKlPlN2at6native12_GLOBAL__N_18offset_tEEE10hipError_tPvRmT1_PNSt15iterator_traitsISK_E10value_typeET2_T3_PNSL_ISQ_E10value_typeET4_jRbjT5_SW_jjP12ihipStream_tbEUlT_E_NS1_11comp_targetILNS1_3genE0ELNS1_11target_archE4294967295ELNS1_3gpuE0ELNS1_3repE0EEENS1_30default_config_static_selectorELNS0_4arch9wavefront6targetE0EEEvSK_.private_seg_size, 0
	.set _ZN7rocprim17ROCPRIM_400000_NS6detail17trampoline_kernelINS0_14default_configENS1_36segmented_radix_sort_config_selectorIblEEZNS1_25segmented_radix_sort_implIS3_Lb1EPKbPbPKlPlN2at6native12_GLOBAL__N_18offset_tEEE10hipError_tPvRmT1_PNSt15iterator_traitsISK_E10value_typeET2_T3_PNSL_ISQ_E10value_typeET4_jRbjT5_SW_jjP12ihipStream_tbEUlT_E_NS1_11comp_targetILNS1_3genE0ELNS1_11target_archE4294967295ELNS1_3gpuE0ELNS1_3repE0EEENS1_30default_config_static_selectorELNS0_4arch9wavefront6targetE0EEEvSK_.uses_vcc, 0
	.set _ZN7rocprim17ROCPRIM_400000_NS6detail17trampoline_kernelINS0_14default_configENS1_36segmented_radix_sort_config_selectorIblEEZNS1_25segmented_radix_sort_implIS3_Lb1EPKbPbPKlPlN2at6native12_GLOBAL__N_18offset_tEEE10hipError_tPvRmT1_PNSt15iterator_traitsISK_E10value_typeET2_T3_PNSL_ISQ_E10value_typeET4_jRbjT5_SW_jjP12ihipStream_tbEUlT_E_NS1_11comp_targetILNS1_3genE0ELNS1_11target_archE4294967295ELNS1_3gpuE0ELNS1_3repE0EEENS1_30default_config_static_selectorELNS0_4arch9wavefront6targetE0EEEvSK_.uses_flat_scratch, 0
	.set _ZN7rocprim17ROCPRIM_400000_NS6detail17trampoline_kernelINS0_14default_configENS1_36segmented_radix_sort_config_selectorIblEEZNS1_25segmented_radix_sort_implIS3_Lb1EPKbPbPKlPlN2at6native12_GLOBAL__N_18offset_tEEE10hipError_tPvRmT1_PNSt15iterator_traitsISK_E10value_typeET2_T3_PNSL_ISQ_E10value_typeET4_jRbjT5_SW_jjP12ihipStream_tbEUlT_E_NS1_11comp_targetILNS1_3genE0ELNS1_11target_archE4294967295ELNS1_3gpuE0ELNS1_3repE0EEENS1_30default_config_static_selectorELNS0_4arch9wavefront6targetE0EEEvSK_.has_dyn_sized_stack, 0
	.set _ZN7rocprim17ROCPRIM_400000_NS6detail17trampoline_kernelINS0_14default_configENS1_36segmented_radix_sort_config_selectorIblEEZNS1_25segmented_radix_sort_implIS3_Lb1EPKbPbPKlPlN2at6native12_GLOBAL__N_18offset_tEEE10hipError_tPvRmT1_PNSt15iterator_traitsISK_E10value_typeET2_T3_PNSL_ISQ_E10value_typeET4_jRbjT5_SW_jjP12ihipStream_tbEUlT_E_NS1_11comp_targetILNS1_3genE0ELNS1_11target_archE4294967295ELNS1_3gpuE0ELNS1_3repE0EEENS1_30default_config_static_selectorELNS0_4arch9wavefront6targetE0EEEvSK_.has_recursion, 0
	.set _ZN7rocprim17ROCPRIM_400000_NS6detail17trampoline_kernelINS0_14default_configENS1_36segmented_radix_sort_config_selectorIblEEZNS1_25segmented_radix_sort_implIS3_Lb1EPKbPbPKlPlN2at6native12_GLOBAL__N_18offset_tEEE10hipError_tPvRmT1_PNSt15iterator_traitsISK_E10value_typeET2_T3_PNSL_ISQ_E10value_typeET4_jRbjT5_SW_jjP12ihipStream_tbEUlT_E_NS1_11comp_targetILNS1_3genE0ELNS1_11target_archE4294967295ELNS1_3gpuE0ELNS1_3repE0EEENS1_30default_config_static_selectorELNS0_4arch9wavefront6targetE0EEEvSK_.has_indirect_call, 0
	.section	.AMDGPU.csdata,"",@progbits
; Kernel info:
; codeLenInByte = 0
; TotalNumSgprs: 0
; NumVgprs: 0
; ScratchSize: 0
; MemoryBound: 0
; FloatMode: 240
; IeeeMode: 1
; LDSByteSize: 0 bytes/workgroup (compile time only)
; SGPRBlocks: 0
; VGPRBlocks: 0
; NumSGPRsForWavesPerEU: 1
; NumVGPRsForWavesPerEU: 1
; Occupancy: 16
; WaveLimiterHint : 0
; COMPUTE_PGM_RSRC2:SCRATCH_EN: 0
; COMPUTE_PGM_RSRC2:USER_SGPR: 6
; COMPUTE_PGM_RSRC2:TRAP_HANDLER: 0
; COMPUTE_PGM_RSRC2:TGID_X_EN: 1
; COMPUTE_PGM_RSRC2:TGID_Y_EN: 0
; COMPUTE_PGM_RSRC2:TGID_Z_EN: 0
; COMPUTE_PGM_RSRC2:TIDIG_COMP_CNT: 0
	.section	.text._ZN7rocprim17ROCPRIM_400000_NS6detail17trampoline_kernelINS0_14default_configENS1_36segmented_radix_sort_config_selectorIblEEZNS1_25segmented_radix_sort_implIS3_Lb1EPKbPbPKlPlN2at6native12_GLOBAL__N_18offset_tEEE10hipError_tPvRmT1_PNSt15iterator_traitsISK_E10value_typeET2_T3_PNSL_ISQ_E10value_typeET4_jRbjT5_SW_jjP12ihipStream_tbEUlT_E_NS1_11comp_targetILNS1_3genE5ELNS1_11target_archE942ELNS1_3gpuE9ELNS1_3repE0EEENS1_30default_config_static_selectorELNS0_4arch9wavefront6targetE0EEEvSK_,"axG",@progbits,_ZN7rocprim17ROCPRIM_400000_NS6detail17trampoline_kernelINS0_14default_configENS1_36segmented_radix_sort_config_selectorIblEEZNS1_25segmented_radix_sort_implIS3_Lb1EPKbPbPKlPlN2at6native12_GLOBAL__N_18offset_tEEE10hipError_tPvRmT1_PNSt15iterator_traitsISK_E10value_typeET2_T3_PNSL_ISQ_E10value_typeET4_jRbjT5_SW_jjP12ihipStream_tbEUlT_E_NS1_11comp_targetILNS1_3genE5ELNS1_11target_archE942ELNS1_3gpuE9ELNS1_3repE0EEENS1_30default_config_static_selectorELNS0_4arch9wavefront6targetE0EEEvSK_,comdat
	.globl	_ZN7rocprim17ROCPRIM_400000_NS6detail17trampoline_kernelINS0_14default_configENS1_36segmented_radix_sort_config_selectorIblEEZNS1_25segmented_radix_sort_implIS3_Lb1EPKbPbPKlPlN2at6native12_GLOBAL__N_18offset_tEEE10hipError_tPvRmT1_PNSt15iterator_traitsISK_E10value_typeET2_T3_PNSL_ISQ_E10value_typeET4_jRbjT5_SW_jjP12ihipStream_tbEUlT_E_NS1_11comp_targetILNS1_3genE5ELNS1_11target_archE942ELNS1_3gpuE9ELNS1_3repE0EEENS1_30default_config_static_selectorELNS0_4arch9wavefront6targetE0EEEvSK_ ; -- Begin function _ZN7rocprim17ROCPRIM_400000_NS6detail17trampoline_kernelINS0_14default_configENS1_36segmented_radix_sort_config_selectorIblEEZNS1_25segmented_radix_sort_implIS3_Lb1EPKbPbPKlPlN2at6native12_GLOBAL__N_18offset_tEEE10hipError_tPvRmT1_PNSt15iterator_traitsISK_E10value_typeET2_T3_PNSL_ISQ_E10value_typeET4_jRbjT5_SW_jjP12ihipStream_tbEUlT_E_NS1_11comp_targetILNS1_3genE5ELNS1_11target_archE942ELNS1_3gpuE9ELNS1_3repE0EEENS1_30default_config_static_selectorELNS0_4arch9wavefront6targetE0EEEvSK_
	.p2align	8
	.type	_ZN7rocprim17ROCPRIM_400000_NS6detail17trampoline_kernelINS0_14default_configENS1_36segmented_radix_sort_config_selectorIblEEZNS1_25segmented_radix_sort_implIS3_Lb1EPKbPbPKlPlN2at6native12_GLOBAL__N_18offset_tEEE10hipError_tPvRmT1_PNSt15iterator_traitsISK_E10value_typeET2_T3_PNSL_ISQ_E10value_typeET4_jRbjT5_SW_jjP12ihipStream_tbEUlT_E_NS1_11comp_targetILNS1_3genE5ELNS1_11target_archE942ELNS1_3gpuE9ELNS1_3repE0EEENS1_30default_config_static_selectorELNS0_4arch9wavefront6targetE0EEEvSK_,@function
_ZN7rocprim17ROCPRIM_400000_NS6detail17trampoline_kernelINS0_14default_configENS1_36segmented_radix_sort_config_selectorIblEEZNS1_25segmented_radix_sort_implIS3_Lb1EPKbPbPKlPlN2at6native12_GLOBAL__N_18offset_tEEE10hipError_tPvRmT1_PNSt15iterator_traitsISK_E10value_typeET2_T3_PNSL_ISQ_E10value_typeET4_jRbjT5_SW_jjP12ihipStream_tbEUlT_E_NS1_11comp_targetILNS1_3genE5ELNS1_11target_archE942ELNS1_3gpuE9ELNS1_3repE0EEENS1_30default_config_static_selectorELNS0_4arch9wavefront6targetE0EEEvSK_: ; @_ZN7rocprim17ROCPRIM_400000_NS6detail17trampoline_kernelINS0_14default_configENS1_36segmented_radix_sort_config_selectorIblEEZNS1_25segmented_radix_sort_implIS3_Lb1EPKbPbPKlPlN2at6native12_GLOBAL__N_18offset_tEEE10hipError_tPvRmT1_PNSt15iterator_traitsISK_E10value_typeET2_T3_PNSL_ISQ_E10value_typeET4_jRbjT5_SW_jjP12ihipStream_tbEUlT_E_NS1_11comp_targetILNS1_3genE5ELNS1_11target_archE942ELNS1_3gpuE9ELNS1_3repE0EEENS1_30default_config_static_selectorELNS0_4arch9wavefront6targetE0EEEvSK_
; %bb.0:
	.section	.rodata,"a",@progbits
	.p2align	6, 0x0
	.amdhsa_kernel _ZN7rocprim17ROCPRIM_400000_NS6detail17trampoline_kernelINS0_14default_configENS1_36segmented_radix_sort_config_selectorIblEEZNS1_25segmented_radix_sort_implIS3_Lb1EPKbPbPKlPlN2at6native12_GLOBAL__N_18offset_tEEE10hipError_tPvRmT1_PNSt15iterator_traitsISK_E10value_typeET2_T3_PNSL_ISQ_E10value_typeET4_jRbjT5_SW_jjP12ihipStream_tbEUlT_E_NS1_11comp_targetILNS1_3genE5ELNS1_11target_archE942ELNS1_3gpuE9ELNS1_3repE0EEENS1_30default_config_static_selectorELNS0_4arch9wavefront6targetE0EEEvSK_
		.amdhsa_group_segment_fixed_size 0
		.amdhsa_private_segment_fixed_size 0
		.amdhsa_kernarg_size 96
		.amdhsa_user_sgpr_count 6
		.amdhsa_user_sgpr_private_segment_buffer 1
		.amdhsa_user_sgpr_dispatch_ptr 0
		.amdhsa_user_sgpr_queue_ptr 0
		.amdhsa_user_sgpr_kernarg_segment_ptr 1
		.amdhsa_user_sgpr_dispatch_id 0
		.amdhsa_user_sgpr_flat_scratch_init 0
		.amdhsa_user_sgpr_private_segment_size 0
		.amdhsa_wavefront_size32 1
		.amdhsa_uses_dynamic_stack 0
		.amdhsa_system_sgpr_private_segment_wavefront_offset 0
		.amdhsa_system_sgpr_workgroup_id_x 1
		.amdhsa_system_sgpr_workgroup_id_y 0
		.amdhsa_system_sgpr_workgroup_id_z 0
		.amdhsa_system_sgpr_workgroup_info 0
		.amdhsa_system_vgpr_workitem_id 0
		.amdhsa_next_free_vgpr 1
		.amdhsa_next_free_sgpr 1
		.amdhsa_reserve_vcc 0
		.amdhsa_reserve_flat_scratch 0
		.amdhsa_float_round_mode_32 0
		.amdhsa_float_round_mode_16_64 0
		.amdhsa_float_denorm_mode_32 3
		.amdhsa_float_denorm_mode_16_64 3
		.amdhsa_dx10_clamp 1
		.amdhsa_ieee_mode 1
		.amdhsa_fp16_overflow 0
		.amdhsa_workgroup_processor_mode 1
		.amdhsa_memory_ordered 1
		.amdhsa_forward_progress 1
		.amdhsa_shared_vgpr_count 0
		.amdhsa_exception_fp_ieee_invalid_op 0
		.amdhsa_exception_fp_denorm_src 0
		.amdhsa_exception_fp_ieee_div_zero 0
		.amdhsa_exception_fp_ieee_overflow 0
		.amdhsa_exception_fp_ieee_underflow 0
		.amdhsa_exception_fp_ieee_inexact 0
		.amdhsa_exception_int_div_zero 0
	.end_amdhsa_kernel
	.section	.text._ZN7rocprim17ROCPRIM_400000_NS6detail17trampoline_kernelINS0_14default_configENS1_36segmented_radix_sort_config_selectorIblEEZNS1_25segmented_radix_sort_implIS3_Lb1EPKbPbPKlPlN2at6native12_GLOBAL__N_18offset_tEEE10hipError_tPvRmT1_PNSt15iterator_traitsISK_E10value_typeET2_T3_PNSL_ISQ_E10value_typeET4_jRbjT5_SW_jjP12ihipStream_tbEUlT_E_NS1_11comp_targetILNS1_3genE5ELNS1_11target_archE942ELNS1_3gpuE9ELNS1_3repE0EEENS1_30default_config_static_selectorELNS0_4arch9wavefront6targetE0EEEvSK_,"axG",@progbits,_ZN7rocprim17ROCPRIM_400000_NS6detail17trampoline_kernelINS0_14default_configENS1_36segmented_radix_sort_config_selectorIblEEZNS1_25segmented_radix_sort_implIS3_Lb1EPKbPbPKlPlN2at6native12_GLOBAL__N_18offset_tEEE10hipError_tPvRmT1_PNSt15iterator_traitsISK_E10value_typeET2_T3_PNSL_ISQ_E10value_typeET4_jRbjT5_SW_jjP12ihipStream_tbEUlT_E_NS1_11comp_targetILNS1_3genE5ELNS1_11target_archE942ELNS1_3gpuE9ELNS1_3repE0EEENS1_30default_config_static_selectorELNS0_4arch9wavefront6targetE0EEEvSK_,comdat
.Lfunc_end1525:
	.size	_ZN7rocprim17ROCPRIM_400000_NS6detail17trampoline_kernelINS0_14default_configENS1_36segmented_radix_sort_config_selectorIblEEZNS1_25segmented_radix_sort_implIS3_Lb1EPKbPbPKlPlN2at6native12_GLOBAL__N_18offset_tEEE10hipError_tPvRmT1_PNSt15iterator_traitsISK_E10value_typeET2_T3_PNSL_ISQ_E10value_typeET4_jRbjT5_SW_jjP12ihipStream_tbEUlT_E_NS1_11comp_targetILNS1_3genE5ELNS1_11target_archE942ELNS1_3gpuE9ELNS1_3repE0EEENS1_30default_config_static_selectorELNS0_4arch9wavefront6targetE0EEEvSK_, .Lfunc_end1525-_ZN7rocprim17ROCPRIM_400000_NS6detail17trampoline_kernelINS0_14default_configENS1_36segmented_radix_sort_config_selectorIblEEZNS1_25segmented_radix_sort_implIS3_Lb1EPKbPbPKlPlN2at6native12_GLOBAL__N_18offset_tEEE10hipError_tPvRmT1_PNSt15iterator_traitsISK_E10value_typeET2_T3_PNSL_ISQ_E10value_typeET4_jRbjT5_SW_jjP12ihipStream_tbEUlT_E_NS1_11comp_targetILNS1_3genE5ELNS1_11target_archE942ELNS1_3gpuE9ELNS1_3repE0EEENS1_30default_config_static_selectorELNS0_4arch9wavefront6targetE0EEEvSK_
                                        ; -- End function
	.set _ZN7rocprim17ROCPRIM_400000_NS6detail17trampoline_kernelINS0_14default_configENS1_36segmented_radix_sort_config_selectorIblEEZNS1_25segmented_radix_sort_implIS3_Lb1EPKbPbPKlPlN2at6native12_GLOBAL__N_18offset_tEEE10hipError_tPvRmT1_PNSt15iterator_traitsISK_E10value_typeET2_T3_PNSL_ISQ_E10value_typeET4_jRbjT5_SW_jjP12ihipStream_tbEUlT_E_NS1_11comp_targetILNS1_3genE5ELNS1_11target_archE942ELNS1_3gpuE9ELNS1_3repE0EEENS1_30default_config_static_selectorELNS0_4arch9wavefront6targetE0EEEvSK_.num_vgpr, 0
	.set _ZN7rocprim17ROCPRIM_400000_NS6detail17trampoline_kernelINS0_14default_configENS1_36segmented_radix_sort_config_selectorIblEEZNS1_25segmented_radix_sort_implIS3_Lb1EPKbPbPKlPlN2at6native12_GLOBAL__N_18offset_tEEE10hipError_tPvRmT1_PNSt15iterator_traitsISK_E10value_typeET2_T3_PNSL_ISQ_E10value_typeET4_jRbjT5_SW_jjP12ihipStream_tbEUlT_E_NS1_11comp_targetILNS1_3genE5ELNS1_11target_archE942ELNS1_3gpuE9ELNS1_3repE0EEENS1_30default_config_static_selectorELNS0_4arch9wavefront6targetE0EEEvSK_.num_agpr, 0
	.set _ZN7rocprim17ROCPRIM_400000_NS6detail17trampoline_kernelINS0_14default_configENS1_36segmented_radix_sort_config_selectorIblEEZNS1_25segmented_radix_sort_implIS3_Lb1EPKbPbPKlPlN2at6native12_GLOBAL__N_18offset_tEEE10hipError_tPvRmT1_PNSt15iterator_traitsISK_E10value_typeET2_T3_PNSL_ISQ_E10value_typeET4_jRbjT5_SW_jjP12ihipStream_tbEUlT_E_NS1_11comp_targetILNS1_3genE5ELNS1_11target_archE942ELNS1_3gpuE9ELNS1_3repE0EEENS1_30default_config_static_selectorELNS0_4arch9wavefront6targetE0EEEvSK_.numbered_sgpr, 0
	.set _ZN7rocprim17ROCPRIM_400000_NS6detail17trampoline_kernelINS0_14default_configENS1_36segmented_radix_sort_config_selectorIblEEZNS1_25segmented_radix_sort_implIS3_Lb1EPKbPbPKlPlN2at6native12_GLOBAL__N_18offset_tEEE10hipError_tPvRmT1_PNSt15iterator_traitsISK_E10value_typeET2_T3_PNSL_ISQ_E10value_typeET4_jRbjT5_SW_jjP12ihipStream_tbEUlT_E_NS1_11comp_targetILNS1_3genE5ELNS1_11target_archE942ELNS1_3gpuE9ELNS1_3repE0EEENS1_30default_config_static_selectorELNS0_4arch9wavefront6targetE0EEEvSK_.num_named_barrier, 0
	.set _ZN7rocprim17ROCPRIM_400000_NS6detail17trampoline_kernelINS0_14default_configENS1_36segmented_radix_sort_config_selectorIblEEZNS1_25segmented_radix_sort_implIS3_Lb1EPKbPbPKlPlN2at6native12_GLOBAL__N_18offset_tEEE10hipError_tPvRmT1_PNSt15iterator_traitsISK_E10value_typeET2_T3_PNSL_ISQ_E10value_typeET4_jRbjT5_SW_jjP12ihipStream_tbEUlT_E_NS1_11comp_targetILNS1_3genE5ELNS1_11target_archE942ELNS1_3gpuE9ELNS1_3repE0EEENS1_30default_config_static_selectorELNS0_4arch9wavefront6targetE0EEEvSK_.private_seg_size, 0
	.set _ZN7rocprim17ROCPRIM_400000_NS6detail17trampoline_kernelINS0_14default_configENS1_36segmented_radix_sort_config_selectorIblEEZNS1_25segmented_radix_sort_implIS3_Lb1EPKbPbPKlPlN2at6native12_GLOBAL__N_18offset_tEEE10hipError_tPvRmT1_PNSt15iterator_traitsISK_E10value_typeET2_T3_PNSL_ISQ_E10value_typeET4_jRbjT5_SW_jjP12ihipStream_tbEUlT_E_NS1_11comp_targetILNS1_3genE5ELNS1_11target_archE942ELNS1_3gpuE9ELNS1_3repE0EEENS1_30default_config_static_selectorELNS0_4arch9wavefront6targetE0EEEvSK_.uses_vcc, 0
	.set _ZN7rocprim17ROCPRIM_400000_NS6detail17trampoline_kernelINS0_14default_configENS1_36segmented_radix_sort_config_selectorIblEEZNS1_25segmented_radix_sort_implIS3_Lb1EPKbPbPKlPlN2at6native12_GLOBAL__N_18offset_tEEE10hipError_tPvRmT1_PNSt15iterator_traitsISK_E10value_typeET2_T3_PNSL_ISQ_E10value_typeET4_jRbjT5_SW_jjP12ihipStream_tbEUlT_E_NS1_11comp_targetILNS1_3genE5ELNS1_11target_archE942ELNS1_3gpuE9ELNS1_3repE0EEENS1_30default_config_static_selectorELNS0_4arch9wavefront6targetE0EEEvSK_.uses_flat_scratch, 0
	.set _ZN7rocprim17ROCPRIM_400000_NS6detail17trampoline_kernelINS0_14default_configENS1_36segmented_radix_sort_config_selectorIblEEZNS1_25segmented_radix_sort_implIS3_Lb1EPKbPbPKlPlN2at6native12_GLOBAL__N_18offset_tEEE10hipError_tPvRmT1_PNSt15iterator_traitsISK_E10value_typeET2_T3_PNSL_ISQ_E10value_typeET4_jRbjT5_SW_jjP12ihipStream_tbEUlT_E_NS1_11comp_targetILNS1_3genE5ELNS1_11target_archE942ELNS1_3gpuE9ELNS1_3repE0EEENS1_30default_config_static_selectorELNS0_4arch9wavefront6targetE0EEEvSK_.has_dyn_sized_stack, 0
	.set _ZN7rocprim17ROCPRIM_400000_NS6detail17trampoline_kernelINS0_14default_configENS1_36segmented_radix_sort_config_selectorIblEEZNS1_25segmented_radix_sort_implIS3_Lb1EPKbPbPKlPlN2at6native12_GLOBAL__N_18offset_tEEE10hipError_tPvRmT1_PNSt15iterator_traitsISK_E10value_typeET2_T3_PNSL_ISQ_E10value_typeET4_jRbjT5_SW_jjP12ihipStream_tbEUlT_E_NS1_11comp_targetILNS1_3genE5ELNS1_11target_archE942ELNS1_3gpuE9ELNS1_3repE0EEENS1_30default_config_static_selectorELNS0_4arch9wavefront6targetE0EEEvSK_.has_recursion, 0
	.set _ZN7rocprim17ROCPRIM_400000_NS6detail17trampoline_kernelINS0_14default_configENS1_36segmented_radix_sort_config_selectorIblEEZNS1_25segmented_radix_sort_implIS3_Lb1EPKbPbPKlPlN2at6native12_GLOBAL__N_18offset_tEEE10hipError_tPvRmT1_PNSt15iterator_traitsISK_E10value_typeET2_T3_PNSL_ISQ_E10value_typeET4_jRbjT5_SW_jjP12ihipStream_tbEUlT_E_NS1_11comp_targetILNS1_3genE5ELNS1_11target_archE942ELNS1_3gpuE9ELNS1_3repE0EEENS1_30default_config_static_selectorELNS0_4arch9wavefront6targetE0EEEvSK_.has_indirect_call, 0
	.section	.AMDGPU.csdata,"",@progbits
; Kernel info:
; codeLenInByte = 0
; TotalNumSgprs: 0
; NumVgprs: 0
; ScratchSize: 0
; MemoryBound: 0
; FloatMode: 240
; IeeeMode: 1
; LDSByteSize: 0 bytes/workgroup (compile time only)
; SGPRBlocks: 0
; VGPRBlocks: 0
; NumSGPRsForWavesPerEU: 1
; NumVGPRsForWavesPerEU: 1
; Occupancy: 16
; WaveLimiterHint : 0
; COMPUTE_PGM_RSRC2:SCRATCH_EN: 0
; COMPUTE_PGM_RSRC2:USER_SGPR: 6
; COMPUTE_PGM_RSRC2:TRAP_HANDLER: 0
; COMPUTE_PGM_RSRC2:TGID_X_EN: 1
; COMPUTE_PGM_RSRC2:TGID_Y_EN: 0
; COMPUTE_PGM_RSRC2:TGID_Z_EN: 0
; COMPUTE_PGM_RSRC2:TIDIG_COMP_CNT: 0
	.section	.text._ZN7rocprim17ROCPRIM_400000_NS6detail17trampoline_kernelINS0_14default_configENS1_36segmented_radix_sort_config_selectorIblEEZNS1_25segmented_radix_sort_implIS3_Lb1EPKbPbPKlPlN2at6native12_GLOBAL__N_18offset_tEEE10hipError_tPvRmT1_PNSt15iterator_traitsISK_E10value_typeET2_T3_PNSL_ISQ_E10value_typeET4_jRbjT5_SW_jjP12ihipStream_tbEUlT_E_NS1_11comp_targetILNS1_3genE4ELNS1_11target_archE910ELNS1_3gpuE8ELNS1_3repE0EEENS1_30default_config_static_selectorELNS0_4arch9wavefront6targetE0EEEvSK_,"axG",@progbits,_ZN7rocprim17ROCPRIM_400000_NS6detail17trampoline_kernelINS0_14default_configENS1_36segmented_radix_sort_config_selectorIblEEZNS1_25segmented_radix_sort_implIS3_Lb1EPKbPbPKlPlN2at6native12_GLOBAL__N_18offset_tEEE10hipError_tPvRmT1_PNSt15iterator_traitsISK_E10value_typeET2_T3_PNSL_ISQ_E10value_typeET4_jRbjT5_SW_jjP12ihipStream_tbEUlT_E_NS1_11comp_targetILNS1_3genE4ELNS1_11target_archE910ELNS1_3gpuE8ELNS1_3repE0EEENS1_30default_config_static_selectorELNS0_4arch9wavefront6targetE0EEEvSK_,comdat
	.globl	_ZN7rocprim17ROCPRIM_400000_NS6detail17trampoline_kernelINS0_14default_configENS1_36segmented_radix_sort_config_selectorIblEEZNS1_25segmented_radix_sort_implIS3_Lb1EPKbPbPKlPlN2at6native12_GLOBAL__N_18offset_tEEE10hipError_tPvRmT1_PNSt15iterator_traitsISK_E10value_typeET2_T3_PNSL_ISQ_E10value_typeET4_jRbjT5_SW_jjP12ihipStream_tbEUlT_E_NS1_11comp_targetILNS1_3genE4ELNS1_11target_archE910ELNS1_3gpuE8ELNS1_3repE0EEENS1_30default_config_static_selectorELNS0_4arch9wavefront6targetE0EEEvSK_ ; -- Begin function _ZN7rocprim17ROCPRIM_400000_NS6detail17trampoline_kernelINS0_14default_configENS1_36segmented_radix_sort_config_selectorIblEEZNS1_25segmented_radix_sort_implIS3_Lb1EPKbPbPKlPlN2at6native12_GLOBAL__N_18offset_tEEE10hipError_tPvRmT1_PNSt15iterator_traitsISK_E10value_typeET2_T3_PNSL_ISQ_E10value_typeET4_jRbjT5_SW_jjP12ihipStream_tbEUlT_E_NS1_11comp_targetILNS1_3genE4ELNS1_11target_archE910ELNS1_3gpuE8ELNS1_3repE0EEENS1_30default_config_static_selectorELNS0_4arch9wavefront6targetE0EEEvSK_
	.p2align	8
	.type	_ZN7rocprim17ROCPRIM_400000_NS6detail17trampoline_kernelINS0_14default_configENS1_36segmented_radix_sort_config_selectorIblEEZNS1_25segmented_radix_sort_implIS3_Lb1EPKbPbPKlPlN2at6native12_GLOBAL__N_18offset_tEEE10hipError_tPvRmT1_PNSt15iterator_traitsISK_E10value_typeET2_T3_PNSL_ISQ_E10value_typeET4_jRbjT5_SW_jjP12ihipStream_tbEUlT_E_NS1_11comp_targetILNS1_3genE4ELNS1_11target_archE910ELNS1_3gpuE8ELNS1_3repE0EEENS1_30default_config_static_selectorELNS0_4arch9wavefront6targetE0EEEvSK_,@function
_ZN7rocprim17ROCPRIM_400000_NS6detail17trampoline_kernelINS0_14default_configENS1_36segmented_radix_sort_config_selectorIblEEZNS1_25segmented_radix_sort_implIS3_Lb1EPKbPbPKlPlN2at6native12_GLOBAL__N_18offset_tEEE10hipError_tPvRmT1_PNSt15iterator_traitsISK_E10value_typeET2_T3_PNSL_ISQ_E10value_typeET4_jRbjT5_SW_jjP12ihipStream_tbEUlT_E_NS1_11comp_targetILNS1_3genE4ELNS1_11target_archE910ELNS1_3gpuE8ELNS1_3repE0EEENS1_30default_config_static_selectorELNS0_4arch9wavefront6targetE0EEEvSK_: ; @_ZN7rocprim17ROCPRIM_400000_NS6detail17trampoline_kernelINS0_14default_configENS1_36segmented_radix_sort_config_selectorIblEEZNS1_25segmented_radix_sort_implIS3_Lb1EPKbPbPKlPlN2at6native12_GLOBAL__N_18offset_tEEE10hipError_tPvRmT1_PNSt15iterator_traitsISK_E10value_typeET2_T3_PNSL_ISQ_E10value_typeET4_jRbjT5_SW_jjP12ihipStream_tbEUlT_E_NS1_11comp_targetILNS1_3genE4ELNS1_11target_archE910ELNS1_3gpuE8ELNS1_3repE0EEENS1_30default_config_static_selectorELNS0_4arch9wavefront6targetE0EEEvSK_
; %bb.0:
	.section	.rodata,"a",@progbits
	.p2align	6, 0x0
	.amdhsa_kernel _ZN7rocprim17ROCPRIM_400000_NS6detail17trampoline_kernelINS0_14default_configENS1_36segmented_radix_sort_config_selectorIblEEZNS1_25segmented_radix_sort_implIS3_Lb1EPKbPbPKlPlN2at6native12_GLOBAL__N_18offset_tEEE10hipError_tPvRmT1_PNSt15iterator_traitsISK_E10value_typeET2_T3_PNSL_ISQ_E10value_typeET4_jRbjT5_SW_jjP12ihipStream_tbEUlT_E_NS1_11comp_targetILNS1_3genE4ELNS1_11target_archE910ELNS1_3gpuE8ELNS1_3repE0EEENS1_30default_config_static_selectorELNS0_4arch9wavefront6targetE0EEEvSK_
		.amdhsa_group_segment_fixed_size 0
		.amdhsa_private_segment_fixed_size 0
		.amdhsa_kernarg_size 96
		.amdhsa_user_sgpr_count 6
		.amdhsa_user_sgpr_private_segment_buffer 1
		.amdhsa_user_sgpr_dispatch_ptr 0
		.amdhsa_user_sgpr_queue_ptr 0
		.amdhsa_user_sgpr_kernarg_segment_ptr 1
		.amdhsa_user_sgpr_dispatch_id 0
		.amdhsa_user_sgpr_flat_scratch_init 0
		.amdhsa_user_sgpr_private_segment_size 0
		.amdhsa_wavefront_size32 1
		.amdhsa_uses_dynamic_stack 0
		.amdhsa_system_sgpr_private_segment_wavefront_offset 0
		.amdhsa_system_sgpr_workgroup_id_x 1
		.amdhsa_system_sgpr_workgroup_id_y 0
		.amdhsa_system_sgpr_workgroup_id_z 0
		.amdhsa_system_sgpr_workgroup_info 0
		.amdhsa_system_vgpr_workitem_id 0
		.amdhsa_next_free_vgpr 1
		.amdhsa_next_free_sgpr 1
		.amdhsa_reserve_vcc 0
		.amdhsa_reserve_flat_scratch 0
		.amdhsa_float_round_mode_32 0
		.amdhsa_float_round_mode_16_64 0
		.amdhsa_float_denorm_mode_32 3
		.amdhsa_float_denorm_mode_16_64 3
		.amdhsa_dx10_clamp 1
		.amdhsa_ieee_mode 1
		.amdhsa_fp16_overflow 0
		.amdhsa_workgroup_processor_mode 1
		.amdhsa_memory_ordered 1
		.amdhsa_forward_progress 1
		.amdhsa_shared_vgpr_count 0
		.amdhsa_exception_fp_ieee_invalid_op 0
		.amdhsa_exception_fp_denorm_src 0
		.amdhsa_exception_fp_ieee_div_zero 0
		.amdhsa_exception_fp_ieee_overflow 0
		.amdhsa_exception_fp_ieee_underflow 0
		.amdhsa_exception_fp_ieee_inexact 0
		.amdhsa_exception_int_div_zero 0
	.end_amdhsa_kernel
	.section	.text._ZN7rocprim17ROCPRIM_400000_NS6detail17trampoline_kernelINS0_14default_configENS1_36segmented_radix_sort_config_selectorIblEEZNS1_25segmented_radix_sort_implIS3_Lb1EPKbPbPKlPlN2at6native12_GLOBAL__N_18offset_tEEE10hipError_tPvRmT1_PNSt15iterator_traitsISK_E10value_typeET2_T3_PNSL_ISQ_E10value_typeET4_jRbjT5_SW_jjP12ihipStream_tbEUlT_E_NS1_11comp_targetILNS1_3genE4ELNS1_11target_archE910ELNS1_3gpuE8ELNS1_3repE0EEENS1_30default_config_static_selectorELNS0_4arch9wavefront6targetE0EEEvSK_,"axG",@progbits,_ZN7rocprim17ROCPRIM_400000_NS6detail17trampoline_kernelINS0_14default_configENS1_36segmented_radix_sort_config_selectorIblEEZNS1_25segmented_radix_sort_implIS3_Lb1EPKbPbPKlPlN2at6native12_GLOBAL__N_18offset_tEEE10hipError_tPvRmT1_PNSt15iterator_traitsISK_E10value_typeET2_T3_PNSL_ISQ_E10value_typeET4_jRbjT5_SW_jjP12ihipStream_tbEUlT_E_NS1_11comp_targetILNS1_3genE4ELNS1_11target_archE910ELNS1_3gpuE8ELNS1_3repE0EEENS1_30default_config_static_selectorELNS0_4arch9wavefront6targetE0EEEvSK_,comdat
.Lfunc_end1526:
	.size	_ZN7rocprim17ROCPRIM_400000_NS6detail17trampoline_kernelINS0_14default_configENS1_36segmented_radix_sort_config_selectorIblEEZNS1_25segmented_radix_sort_implIS3_Lb1EPKbPbPKlPlN2at6native12_GLOBAL__N_18offset_tEEE10hipError_tPvRmT1_PNSt15iterator_traitsISK_E10value_typeET2_T3_PNSL_ISQ_E10value_typeET4_jRbjT5_SW_jjP12ihipStream_tbEUlT_E_NS1_11comp_targetILNS1_3genE4ELNS1_11target_archE910ELNS1_3gpuE8ELNS1_3repE0EEENS1_30default_config_static_selectorELNS0_4arch9wavefront6targetE0EEEvSK_, .Lfunc_end1526-_ZN7rocprim17ROCPRIM_400000_NS6detail17trampoline_kernelINS0_14default_configENS1_36segmented_radix_sort_config_selectorIblEEZNS1_25segmented_radix_sort_implIS3_Lb1EPKbPbPKlPlN2at6native12_GLOBAL__N_18offset_tEEE10hipError_tPvRmT1_PNSt15iterator_traitsISK_E10value_typeET2_T3_PNSL_ISQ_E10value_typeET4_jRbjT5_SW_jjP12ihipStream_tbEUlT_E_NS1_11comp_targetILNS1_3genE4ELNS1_11target_archE910ELNS1_3gpuE8ELNS1_3repE0EEENS1_30default_config_static_selectorELNS0_4arch9wavefront6targetE0EEEvSK_
                                        ; -- End function
	.set _ZN7rocprim17ROCPRIM_400000_NS6detail17trampoline_kernelINS0_14default_configENS1_36segmented_radix_sort_config_selectorIblEEZNS1_25segmented_radix_sort_implIS3_Lb1EPKbPbPKlPlN2at6native12_GLOBAL__N_18offset_tEEE10hipError_tPvRmT1_PNSt15iterator_traitsISK_E10value_typeET2_T3_PNSL_ISQ_E10value_typeET4_jRbjT5_SW_jjP12ihipStream_tbEUlT_E_NS1_11comp_targetILNS1_3genE4ELNS1_11target_archE910ELNS1_3gpuE8ELNS1_3repE0EEENS1_30default_config_static_selectorELNS0_4arch9wavefront6targetE0EEEvSK_.num_vgpr, 0
	.set _ZN7rocprim17ROCPRIM_400000_NS6detail17trampoline_kernelINS0_14default_configENS1_36segmented_radix_sort_config_selectorIblEEZNS1_25segmented_radix_sort_implIS3_Lb1EPKbPbPKlPlN2at6native12_GLOBAL__N_18offset_tEEE10hipError_tPvRmT1_PNSt15iterator_traitsISK_E10value_typeET2_T3_PNSL_ISQ_E10value_typeET4_jRbjT5_SW_jjP12ihipStream_tbEUlT_E_NS1_11comp_targetILNS1_3genE4ELNS1_11target_archE910ELNS1_3gpuE8ELNS1_3repE0EEENS1_30default_config_static_selectorELNS0_4arch9wavefront6targetE0EEEvSK_.num_agpr, 0
	.set _ZN7rocprim17ROCPRIM_400000_NS6detail17trampoline_kernelINS0_14default_configENS1_36segmented_radix_sort_config_selectorIblEEZNS1_25segmented_radix_sort_implIS3_Lb1EPKbPbPKlPlN2at6native12_GLOBAL__N_18offset_tEEE10hipError_tPvRmT1_PNSt15iterator_traitsISK_E10value_typeET2_T3_PNSL_ISQ_E10value_typeET4_jRbjT5_SW_jjP12ihipStream_tbEUlT_E_NS1_11comp_targetILNS1_3genE4ELNS1_11target_archE910ELNS1_3gpuE8ELNS1_3repE0EEENS1_30default_config_static_selectorELNS0_4arch9wavefront6targetE0EEEvSK_.numbered_sgpr, 0
	.set _ZN7rocprim17ROCPRIM_400000_NS6detail17trampoline_kernelINS0_14default_configENS1_36segmented_radix_sort_config_selectorIblEEZNS1_25segmented_radix_sort_implIS3_Lb1EPKbPbPKlPlN2at6native12_GLOBAL__N_18offset_tEEE10hipError_tPvRmT1_PNSt15iterator_traitsISK_E10value_typeET2_T3_PNSL_ISQ_E10value_typeET4_jRbjT5_SW_jjP12ihipStream_tbEUlT_E_NS1_11comp_targetILNS1_3genE4ELNS1_11target_archE910ELNS1_3gpuE8ELNS1_3repE0EEENS1_30default_config_static_selectorELNS0_4arch9wavefront6targetE0EEEvSK_.num_named_barrier, 0
	.set _ZN7rocprim17ROCPRIM_400000_NS6detail17trampoline_kernelINS0_14default_configENS1_36segmented_radix_sort_config_selectorIblEEZNS1_25segmented_radix_sort_implIS3_Lb1EPKbPbPKlPlN2at6native12_GLOBAL__N_18offset_tEEE10hipError_tPvRmT1_PNSt15iterator_traitsISK_E10value_typeET2_T3_PNSL_ISQ_E10value_typeET4_jRbjT5_SW_jjP12ihipStream_tbEUlT_E_NS1_11comp_targetILNS1_3genE4ELNS1_11target_archE910ELNS1_3gpuE8ELNS1_3repE0EEENS1_30default_config_static_selectorELNS0_4arch9wavefront6targetE0EEEvSK_.private_seg_size, 0
	.set _ZN7rocprim17ROCPRIM_400000_NS6detail17trampoline_kernelINS0_14default_configENS1_36segmented_radix_sort_config_selectorIblEEZNS1_25segmented_radix_sort_implIS3_Lb1EPKbPbPKlPlN2at6native12_GLOBAL__N_18offset_tEEE10hipError_tPvRmT1_PNSt15iterator_traitsISK_E10value_typeET2_T3_PNSL_ISQ_E10value_typeET4_jRbjT5_SW_jjP12ihipStream_tbEUlT_E_NS1_11comp_targetILNS1_3genE4ELNS1_11target_archE910ELNS1_3gpuE8ELNS1_3repE0EEENS1_30default_config_static_selectorELNS0_4arch9wavefront6targetE0EEEvSK_.uses_vcc, 0
	.set _ZN7rocprim17ROCPRIM_400000_NS6detail17trampoline_kernelINS0_14default_configENS1_36segmented_radix_sort_config_selectorIblEEZNS1_25segmented_radix_sort_implIS3_Lb1EPKbPbPKlPlN2at6native12_GLOBAL__N_18offset_tEEE10hipError_tPvRmT1_PNSt15iterator_traitsISK_E10value_typeET2_T3_PNSL_ISQ_E10value_typeET4_jRbjT5_SW_jjP12ihipStream_tbEUlT_E_NS1_11comp_targetILNS1_3genE4ELNS1_11target_archE910ELNS1_3gpuE8ELNS1_3repE0EEENS1_30default_config_static_selectorELNS0_4arch9wavefront6targetE0EEEvSK_.uses_flat_scratch, 0
	.set _ZN7rocprim17ROCPRIM_400000_NS6detail17trampoline_kernelINS0_14default_configENS1_36segmented_radix_sort_config_selectorIblEEZNS1_25segmented_radix_sort_implIS3_Lb1EPKbPbPKlPlN2at6native12_GLOBAL__N_18offset_tEEE10hipError_tPvRmT1_PNSt15iterator_traitsISK_E10value_typeET2_T3_PNSL_ISQ_E10value_typeET4_jRbjT5_SW_jjP12ihipStream_tbEUlT_E_NS1_11comp_targetILNS1_3genE4ELNS1_11target_archE910ELNS1_3gpuE8ELNS1_3repE0EEENS1_30default_config_static_selectorELNS0_4arch9wavefront6targetE0EEEvSK_.has_dyn_sized_stack, 0
	.set _ZN7rocprim17ROCPRIM_400000_NS6detail17trampoline_kernelINS0_14default_configENS1_36segmented_radix_sort_config_selectorIblEEZNS1_25segmented_radix_sort_implIS3_Lb1EPKbPbPKlPlN2at6native12_GLOBAL__N_18offset_tEEE10hipError_tPvRmT1_PNSt15iterator_traitsISK_E10value_typeET2_T3_PNSL_ISQ_E10value_typeET4_jRbjT5_SW_jjP12ihipStream_tbEUlT_E_NS1_11comp_targetILNS1_3genE4ELNS1_11target_archE910ELNS1_3gpuE8ELNS1_3repE0EEENS1_30default_config_static_selectorELNS0_4arch9wavefront6targetE0EEEvSK_.has_recursion, 0
	.set _ZN7rocprim17ROCPRIM_400000_NS6detail17trampoline_kernelINS0_14default_configENS1_36segmented_radix_sort_config_selectorIblEEZNS1_25segmented_radix_sort_implIS3_Lb1EPKbPbPKlPlN2at6native12_GLOBAL__N_18offset_tEEE10hipError_tPvRmT1_PNSt15iterator_traitsISK_E10value_typeET2_T3_PNSL_ISQ_E10value_typeET4_jRbjT5_SW_jjP12ihipStream_tbEUlT_E_NS1_11comp_targetILNS1_3genE4ELNS1_11target_archE910ELNS1_3gpuE8ELNS1_3repE0EEENS1_30default_config_static_selectorELNS0_4arch9wavefront6targetE0EEEvSK_.has_indirect_call, 0
	.section	.AMDGPU.csdata,"",@progbits
; Kernel info:
; codeLenInByte = 0
; TotalNumSgprs: 0
; NumVgprs: 0
; ScratchSize: 0
; MemoryBound: 0
; FloatMode: 240
; IeeeMode: 1
; LDSByteSize: 0 bytes/workgroup (compile time only)
; SGPRBlocks: 0
; VGPRBlocks: 0
; NumSGPRsForWavesPerEU: 1
; NumVGPRsForWavesPerEU: 1
; Occupancy: 16
; WaveLimiterHint : 0
; COMPUTE_PGM_RSRC2:SCRATCH_EN: 0
; COMPUTE_PGM_RSRC2:USER_SGPR: 6
; COMPUTE_PGM_RSRC2:TRAP_HANDLER: 0
; COMPUTE_PGM_RSRC2:TGID_X_EN: 1
; COMPUTE_PGM_RSRC2:TGID_Y_EN: 0
; COMPUTE_PGM_RSRC2:TGID_Z_EN: 0
; COMPUTE_PGM_RSRC2:TIDIG_COMP_CNT: 0
	.section	.text._ZN7rocprim17ROCPRIM_400000_NS6detail17trampoline_kernelINS0_14default_configENS1_36segmented_radix_sort_config_selectorIblEEZNS1_25segmented_radix_sort_implIS3_Lb1EPKbPbPKlPlN2at6native12_GLOBAL__N_18offset_tEEE10hipError_tPvRmT1_PNSt15iterator_traitsISK_E10value_typeET2_T3_PNSL_ISQ_E10value_typeET4_jRbjT5_SW_jjP12ihipStream_tbEUlT_E_NS1_11comp_targetILNS1_3genE3ELNS1_11target_archE908ELNS1_3gpuE7ELNS1_3repE0EEENS1_30default_config_static_selectorELNS0_4arch9wavefront6targetE0EEEvSK_,"axG",@progbits,_ZN7rocprim17ROCPRIM_400000_NS6detail17trampoline_kernelINS0_14default_configENS1_36segmented_radix_sort_config_selectorIblEEZNS1_25segmented_radix_sort_implIS3_Lb1EPKbPbPKlPlN2at6native12_GLOBAL__N_18offset_tEEE10hipError_tPvRmT1_PNSt15iterator_traitsISK_E10value_typeET2_T3_PNSL_ISQ_E10value_typeET4_jRbjT5_SW_jjP12ihipStream_tbEUlT_E_NS1_11comp_targetILNS1_3genE3ELNS1_11target_archE908ELNS1_3gpuE7ELNS1_3repE0EEENS1_30default_config_static_selectorELNS0_4arch9wavefront6targetE0EEEvSK_,comdat
	.globl	_ZN7rocprim17ROCPRIM_400000_NS6detail17trampoline_kernelINS0_14default_configENS1_36segmented_radix_sort_config_selectorIblEEZNS1_25segmented_radix_sort_implIS3_Lb1EPKbPbPKlPlN2at6native12_GLOBAL__N_18offset_tEEE10hipError_tPvRmT1_PNSt15iterator_traitsISK_E10value_typeET2_T3_PNSL_ISQ_E10value_typeET4_jRbjT5_SW_jjP12ihipStream_tbEUlT_E_NS1_11comp_targetILNS1_3genE3ELNS1_11target_archE908ELNS1_3gpuE7ELNS1_3repE0EEENS1_30default_config_static_selectorELNS0_4arch9wavefront6targetE0EEEvSK_ ; -- Begin function _ZN7rocprim17ROCPRIM_400000_NS6detail17trampoline_kernelINS0_14default_configENS1_36segmented_radix_sort_config_selectorIblEEZNS1_25segmented_radix_sort_implIS3_Lb1EPKbPbPKlPlN2at6native12_GLOBAL__N_18offset_tEEE10hipError_tPvRmT1_PNSt15iterator_traitsISK_E10value_typeET2_T3_PNSL_ISQ_E10value_typeET4_jRbjT5_SW_jjP12ihipStream_tbEUlT_E_NS1_11comp_targetILNS1_3genE3ELNS1_11target_archE908ELNS1_3gpuE7ELNS1_3repE0EEENS1_30default_config_static_selectorELNS0_4arch9wavefront6targetE0EEEvSK_
	.p2align	8
	.type	_ZN7rocprim17ROCPRIM_400000_NS6detail17trampoline_kernelINS0_14default_configENS1_36segmented_radix_sort_config_selectorIblEEZNS1_25segmented_radix_sort_implIS3_Lb1EPKbPbPKlPlN2at6native12_GLOBAL__N_18offset_tEEE10hipError_tPvRmT1_PNSt15iterator_traitsISK_E10value_typeET2_T3_PNSL_ISQ_E10value_typeET4_jRbjT5_SW_jjP12ihipStream_tbEUlT_E_NS1_11comp_targetILNS1_3genE3ELNS1_11target_archE908ELNS1_3gpuE7ELNS1_3repE0EEENS1_30default_config_static_selectorELNS0_4arch9wavefront6targetE0EEEvSK_,@function
_ZN7rocprim17ROCPRIM_400000_NS6detail17trampoline_kernelINS0_14default_configENS1_36segmented_radix_sort_config_selectorIblEEZNS1_25segmented_radix_sort_implIS3_Lb1EPKbPbPKlPlN2at6native12_GLOBAL__N_18offset_tEEE10hipError_tPvRmT1_PNSt15iterator_traitsISK_E10value_typeET2_T3_PNSL_ISQ_E10value_typeET4_jRbjT5_SW_jjP12ihipStream_tbEUlT_E_NS1_11comp_targetILNS1_3genE3ELNS1_11target_archE908ELNS1_3gpuE7ELNS1_3repE0EEENS1_30default_config_static_selectorELNS0_4arch9wavefront6targetE0EEEvSK_: ; @_ZN7rocprim17ROCPRIM_400000_NS6detail17trampoline_kernelINS0_14default_configENS1_36segmented_radix_sort_config_selectorIblEEZNS1_25segmented_radix_sort_implIS3_Lb1EPKbPbPKlPlN2at6native12_GLOBAL__N_18offset_tEEE10hipError_tPvRmT1_PNSt15iterator_traitsISK_E10value_typeET2_T3_PNSL_ISQ_E10value_typeET4_jRbjT5_SW_jjP12ihipStream_tbEUlT_E_NS1_11comp_targetILNS1_3genE3ELNS1_11target_archE908ELNS1_3gpuE7ELNS1_3repE0EEENS1_30default_config_static_selectorELNS0_4arch9wavefront6targetE0EEEvSK_
; %bb.0:
	.section	.rodata,"a",@progbits
	.p2align	6, 0x0
	.amdhsa_kernel _ZN7rocprim17ROCPRIM_400000_NS6detail17trampoline_kernelINS0_14default_configENS1_36segmented_radix_sort_config_selectorIblEEZNS1_25segmented_radix_sort_implIS3_Lb1EPKbPbPKlPlN2at6native12_GLOBAL__N_18offset_tEEE10hipError_tPvRmT1_PNSt15iterator_traitsISK_E10value_typeET2_T3_PNSL_ISQ_E10value_typeET4_jRbjT5_SW_jjP12ihipStream_tbEUlT_E_NS1_11comp_targetILNS1_3genE3ELNS1_11target_archE908ELNS1_3gpuE7ELNS1_3repE0EEENS1_30default_config_static_selectorELNS0_4arch9wavefront6targetE0EEEvSK_
		.amdhsa_group_segment_fixed_size 0
		.amdhsa_private_segment_fixed_size 0
		.amdhsa_kernarg_size 96
		.amdhsa_user_sgpr_count 6
		.amdhsa_user_sgpr_private_segment_buffer 1
		.amdhsa_user_sgpr_dispatch_ptr 0
		.amdhsa_user_sgpr_queue_ptr 0
		.amdhsa_user_sgpr_kernarg_segment_ptr 1
		.amdhsa_user_sgpr_dispatch_id 0
		.amdhsa_user_sgpr_flat_scratch_init 0
		.amdhsa_user_sgpr_private_segment_size 0
		.amdhsa_wavefront_size32 1
		.amdhsa_uses_dynamic_stack 0
		.amdhsa_system_sgpr_private_segment_wavefront_offset 0
		.amdhsa_system_sgpr_workgroup_id_x 1
		.amdhsa_system_sgpr_workgroup_id_y 0
		.amdhsa_system_sgpr_workgroup_id_z 0
		.amdhsa_system_sgpr_workgroup_info 0
		.amdhsa_system_vgpr_workitem_id 0
		.amdhsa_next_free_vgpr 1
		.amdhsa_next_free_sgpr 1
		.amdhsa_reserve_vcc 0
		.amdhsa_reserve_flat_scratch 0
		.amdhsa_float_round_mode_32 0
		.amdhsa_float_round_mode_16_64 0
		.amdhsa_float_denorm_mode_32 3
		.amdhsa_float_denorm_mode_16_64 3
		.amdhsa_dx10_clamp 1
		.amdhsa_ieee_mode 1
		.amdhsa_fp16_overflow 0
		.amdhsa_workgroup_processor_mode 1
		.amdhsa_memory_ordered 1
		.amdhsa_forward_progress 1
		.amdhsa_shared_vgpr_count 0
		.amdhsa_exception_fp_ieee_invalid_op 0
		.amdhsa_exception_fp_denorm_src 0
		.amdhsa_exception_fp_ieee_div_zero 0
		.amdhsa_exception_fp_ieee_overflow 0
		.amdhsa_exception_fp_ieee_underflow 0
		.amdhsa_exception_fp_ieee_inexact 0
		.amdhsa_exception_int_div_zero 0
	.end_amdhsa_kernel
	.section	.text._ZN7rocprim17ROCPRIM_400000_NS6detail17trampoline_kernelINS0_14default_configENS1_36segmented_radix_sort_config_selectorIblEEZNS1_25segmented_radix_sort_implIS3_Lb1EPKbPbPKlPlN2at6native12_GLOBAL__N_18offset_tEEE10hipError_tPvRmT1_PNSt15iterator_traitsISK_E10value_typeET2_T3_PNSL_ISQ_E10value_typeET4_jRbjT5_SW_jjP12ihipStream_tbEUlT_E_NS1_11comp_targetILNS1_3genE3ELNS1_11target_archE908ELNS1_3gpuE7ELNS1_3repE0EEENS1_30default_config_static_selectorELNS0_4arch9wavefront6targetE0EEEvSK_,"axG",@progbits,_ZN7rocprim17ROCPRIM_400000_NS6detail17trampoline_kernelINS0_14default_configENS1_36segmented_radix_sort_config_selectorIblEEZNS1_25segmented_radix_sort_implIS3_Lb1EPKbPbPKlPlN2at6native12_GLOBAL__N_18offset_tEEE10hipError_tPvRmT1_PNSt15iterator_traitsISK_E10value_typeET2_T3_PNSL_ISQ_E10value_typeET4_jRbjT5_SW_jjP12ihipStream_tbEUlT_E_NS1_11comp_targetILNS1_3genE3ELNS1_11target_archE908ELNS1_3gpuE7ELNS1_3repE0EEENS1_30default_config_static_selectorELNS0_4arch9wavefront6targetE0EEEvSK_,comdat
.Lfunc_end1527:
	.size	_ZN7rocprim17ROCPRIM_400000_NS6detail17trampoline_kernelINS0_14default_configENS1_36segmented_radix_sort_config_selectorIblEEZNS1_25segmented_radix_sort_implIS3_Lb1EPKbPbPKlPlN2at6native12_GLOBAL__N_18offset_tEEE10hipError_tPvRmT1_PNSt15iterator_traitsISK_E10value_typeET2_T3_PNSL_ISQ_E10value_typeET4_jRbjT5_SW_jjP12ihipStream_tbEUlT_E_NS1_11comp_targetILNS1_3genE3ELNS1_11target_archE908ELNS1_3gpuE7ELNS1_3repE0EEENS1_30default_config_static_selectorELNS0_4arch9wavefront6targetE0EEEvSK_, .Lfunc_end1527-_ZN7rocprim17ROCPRIM_400000_NS6detail17trampoline_kernelINS0_14default_configENS1_36segmented_radix_sort_config_selectorIblEEZNS1_25segmented_radix_sort_implIS3_Lb1EPKbPbPKlPlN2at6native12_GLOBAL__N_18offset_tEEE10hipError_tPvRmT1_PNSt15iterator_traitsISK_E10value_typeET2_T3_PNSL_ISQ_E10value_typeET4_jRbjT5_SW_jjP12ihipStream_tbEUlT_E_NS1_11comp_targetILNS1_3genE3ELNS1_11target_archE908ELNS1_3gpuE7ELNS1_3repE0EEENS1_30default_config_static_selectorELNS0_4arch9wavefront6targetE0EEEvSK_
                                        ; -- End function
	.set _ZN7rocprim17ROCPRIM_400000_NS6detail17trampoline_kernelINS0_14default_configENS1_36segmented_radix_sort_config_selectorIblEEZNS1_25segmented_radix_sort_implIS3_Lb1EPKbPbPKlPlN2at6native12_GLOBAL__N_18offset_tEEE10hipError_tPvRmT1_PNSt15iterator_traitsISK_E10value_typeET2_T3_PNSL_ISQ_E10value_typeET4_jRbjT5_SW_jjP12ihipStream_tbEUlT_E_NS1_11comp_targetILNS1_3genE3ELNS1_11target_archE908ELNS1_3gpuE7ELNS1_3repE0EEENS1_30default_config_static_selectorELNS0_4arch9wavefront6targetE0EEEvSK_.num_vgpr, 0
	.set _ZN7rocprim17ROCPRIM_400000_NS6detail17trampoline_kernelINS0_14default_configENS1_36segmented_radix_sort_config_selectorIblEEZNS1_25segmented_radix_sort_implIS3_Lb1EPKbPbPKlPlN2at6native12_GLOBAL__N_18offset_tEEE10hipError_tPvRmT1_PNSt15iterator_traitsISK_E10value_typeET2_T3_PNSL_ISQ_E10value_typeET4_jRbjT5_SW_jjP12ihipStream_tbEUlT_E_NS1_11comp_targetILNS1_3genE3ELNS1_11target_archE908ELNS1_3gpuE7ELNS1_3repE0EEENS1_30default_config_static_selectorELNS0_4arch9wavefront6targetE0EEEvSK_.num_agpr, 0
	.set _ZN7rocprim17ROCPRIM_400000_NS6detail17trampoline_kernelINS0_14default_configENS1_36segmented_radix_sort_config_selectorIblEEZNS1_25segmented_radix_sort_implIS3_Lb1EPKbPbPKlPlN2at6native12_GLOBAL__N_18offset_tEEE10hipError_tPvRmT1_PNSt15iterator_traitsISK_E10value_typeET2_T3_PNSL_ISQ_E10value_typeET4_jRbjT5_SW_jjP12ihipStream_tbEUlT_E_NS1_11comp_targetILNS1_3genE3ELNS1_11target_archE908ELNS1_3gpuE7ELNS1_3repE0EEENS1_30default_config_static_selectorELNS0_4arch9wavefront6targetE0EEEvSK_.numbered_sgpr, 0
	.set _ZN7rocprim17ROCPRIM_400000_NS6detail17trampoline_kernelINS0_14default_configENS1_36segmented_radix_sort_config_selectorIblEEZNS1_25segmented_radix_sort_implIS3_Lb1EPKbPbPKlPlN2at6native12_GLOBAL__N_18offset_tEEE10hipError_tPvRmT1_PNSt15iterator_traitsISK_E10value_typeET2_T3_PNSL_ISQ_E10value_typeET4_jRbjT5_SW_jjP12ihipStream_tbEUlT_E_NS1_11comp_targetILNS1_3genE3ELNS1_11target_archE908ELNS1_3gpuE7ELNS1_3repE0EEENS1_30default_config_static_selectorELNS0_4arch9wavefront6targetE0EEEvSK_.num_named_barrier, 0
	.set _ZN7rocprim17ROCPRIM_400000_NS6detail17trampoline_kernelINS0_14default_configENS1_36segmented_radix_sort_config_selectorIblEEZNS1_25segmented_radix_sort_implIS3_Lb1EPKbPbPKlPlN2at6native12_GLOBAL__N_18offset_tEEE10hipError_tPvRmT1_PNSt15iterator_traitsISK_E10value_typeET2_T3_PNSL_ISQ_E10value_typeET4_jRbjT5_SW_jjP12ihipStream_tbEUlT_E_NS1_11comp_targetILNS1_3genE3ELNS1_11target_archE908ELNS1_3gpuE7ELNS1_3repE0EEENS1_30default_config_static_selectorELNS0_4arch9wavefront6targetE0EEEvSK_.private_seg_size, 0
	.set _ZN7rocprim17ROCPRIM_400000_NS6detail17trampoline_kernelINS0_14default_configENS1_36segmented_radix_sort_config_selectorIblEEZNS1_25segmented_radix_sort_implIS3_Lb1EPKbPbPKlPlN2at6native12_GLOBAL__N_18offset_tEEE10hipError_tPvRmT1_PNSt15iterator_traitsISK_E10value_typeET2_T3_PNSL_ISQ_E10value_typeET4_jRbjT5_SW_jjP12ihipStream_tbEUlT_E_NS1_11comp_targetILNS1_3genE3ELNS1_11target_archE908ELNS1_3gpuE7ELNS1_3repE0EEENS1_30default_config_static_selectorELNS0_4arch9wavefront6targetE0EEEvSK_.uses_vcc, 0
	.set _ZN7rocprim17ROCPRIM_400000_NS6detail17trampoline_kernelINS0_14default_configENS1_36segmented_radix_sort_config_selectorIblEEZNS1_25segmented_radix_sort_implIS3_Lb1EPKbPbPKlPlN2at6native12_GLOBAL__N_18offset_tEEE10hipError_tPvRmT1_PNSt15iterator_traitsISK_E10value_typeET2_T3_PNSL_ISQ_E10value_typeET4_jRbjT5_SW_jjP12ihipStream_tbEUlT_E_NS1_11comp_targetILNS1_3genE3ELNS1_11target_archE908ELNS1_3gpuE7ELNS1_3repE0EEENS1_30default_config_static_selectorELNS0_4arch9wavefront6targetE0EEEvSK_.uses_flat_scratch, 0
	.set _ZN7rocprim17ROCPRIM_400000_NS6detail17trampoline_kernelINS0_14default_configENS1_36segmented_radix_sort_config_selectorIblEEZNS1_25segmented_radix_sort_implIS3_Lb1EPKbPbPKlPlN2at6native12_GLOBAL__N_18offset_tEEE10hipError_tPvRmT1_PNSt15iterator_traitsISK_E10value_typeET2_T3_PNSL_ISQ_E10value_typeET4_jRbjT5_SW_jjP12ihipStream_tbEUlT_E_NS1_11comp_targetILNS1_3genE3ELNS1_11target_archE908ELNS1_3gpuE7ELNS1_3repE0EEENS1_30default_config_static_selectorELNS0_4arch9wavefront6targetE0EEEvSK_.has_dyn_sized_stack, 0
	.set _ZN7rocprim17ROCPRIM_400000_NS6detail17trampoline_kernelINS0_14default_configENS1_36segmented_radix_sort_config_selectorIblEEZNS1_25segmented_radix_sort_implIS3_Lb1EPKbPbPKlPlN2at6native12_GLOBAL__N_18offset_tEEE10hipError_tPvRmT1_PNSt15iterator_traitsISK_E10value_typeET2_T3_PNSL_ISQ_E10value_typeET4_jRbjT5_SW_jjP12ihipStream_tbEUlT_E_NS1_11comp_targetILNS1_3genE3ELNS1_11target_archE908ELNS1_3gpuE7ELNS1_3repE0EEENS1_30default_config_static_selectorELNS0_4arch9wavefront6targetE0EEEvSK_.has_recursion, 0
	.set _ZN7rocprim17ROCPRIM_400000_NS6detail17trampoline_kernelINS0_14default_configENS1_36segmented_radix_sort_config_selectorIblEEZNS1_25segmented_radix_sort_implIS3_Lb1EPKbPbPKlPlN2at6native12_GLOBAL__N_18offset_tEEE10hipError_tPvRmT1_PNSt15iterator_traitsISK_E10value_typeET2_T3_PNSL_ISQ_E10value_typeET4_jRbjT5_SW_jjP12ihipStream_tbEUlT_E_NS1_11comp_targetILNS1_3genE3ELNS1_11target_archE908ELNS1_3gpuE7ELNS1_3repE0EEENS1_30default_config_static_selectorELNS0_4arch9wavefront6targetE0EEEvSK_.has_indirect_call, 0
	.section	.AMDGPU.csdata,"",@progbits
; Kernel info:
; codeLenInByte = 0
; TotalNumSgprs: 0
; NumVgprs: 0
; ScratchSize: 0
; MemoryBound: 0
; FloatMode: 240
; IeeeMode: 1
; LDSByteSize: 0 bytes/workgroup (compile time only)
; SGPRBlocks: 0
; VGPRBlocks: 0
; NumSGPRsForWavesPerEU: 1
; NumVGPRsForWavesPerEU: 1
; Occupancy: 16
; WaveLimiterHint : 0
; COMPUTE_PGM_RSRC2:SCRATCH_EN: 0
; COMPUTE_PGM_RSRC2:USER_SGPR: 6
; COMPUTE_PGM_RSRC2:TRAP_HANDLER: 0
; COMPUTE_PGM_RSRC2:TGID_X_EN: 1
; COMPUTE_PGM_RSRC2:TGID_Y_EN: 0
; COMPUTE_PGM_RSRC2:TGID_Z_EN: 0
; COMPUTE_PGM_RSRC2:TIDIG_COMP_CNT: 0
	.section	.text._ZN7rocprim17ROCPRIM_400000_NS6detail17trampoline_kernelINS0_14default_configENS1_36segmented_radix_sort_config_selectorIblEEZNS1_25segmented_radix_sort_implIS3_Lb1EPKbPbPKlPlN2at6native12_GLOBAL__N_18offset_tEEE10hipError_tPvRmT1_PNSt15iterator_traitsISK_E10value_typeET2_T3_PNSL_ISQ_E10value_typeET4_jRbjT5_SW_jjP12ihipStream_tbEUlT_E_NS1_11comp_targetILNS1_3genE2ELNS1_11target_archE906ELNS1_3gpuE6ELNS1_3repE0EEENS1_30default_config_static_selectorELNS0_4arch9wavefront6targetE0EEEvSK_,"axG",@progbits,_ZN7rocprim17ROCPRIM_400000_NS6detail17trampoline_kernelINS0_14default_configENS1_36segmented_radix_sort_config_selectorIblEEZNS1_25segmented_radix_sort_implIS3_Lb1EPKbPbPKlPlN2at6native12_GLOBAL__N_18offset_tEEE10hipError_tPvRmT1_PNSt15iterator_traitsISK_E10value_typeET2_T3_PNSL_ISQ_E10value_typeET4_jRbjT5_SW_jjP12ihipStream_tbEUlT_E_NS1_11comp_targetILNS1_3genE2ELNS1_11target_archE906ELNS1_3gpuE6ELNS1_3repE0EEENS1_30default_config_static_selectorELNS0_4arch9wavefront6targetE0EEEvSK_,comdat
	.globl	_ZN7rocprim17ROCPRIM_400000_NS6detail17trampoline_kernelINS0_14default_configENS1_36segmented_radix_sort_config_selectorIblEEZNS1_25segmented_radix_sort_implIS3_Lb1EPKbPbPKlPlN2at6native12_GLOBAL__N_18offset_tEEE10hipError_tPvRmT1_PNSt15iterator_traitsISK_E10value_typeET2_T3_PNSL_ISQ_E10value_typeET4_jRbjT5_SW_jjP12ihipStream_tbEUlT_E_NS1_11comp_targetILNS1_3genE2ELNS1_11target_archE906ELNS1_3gpuE6ELNS1_3repE0EEENS1_30default_config_static_selectorELNS0_4arch9wavefront6targetE0EEEvSK_ ; -- Begin function _ZN7rocprim17ROCPRIM_400000_NS6detail17trampoline_kernelINS0_14default_configENS1_36segmented_radix_sort_config_selectorIblEEZNS1_25segmented_radix_sort_implIS3_Lb1EPKbPbPKlPlN2at6native12_GLOBAL__N_18offset_tEEE10hipError_tPvRmT1_PNSt15iterator_traitsISK_E10value_typeET2_T3_PNSL_ISQ_E10value_typeET4_jRbjT5_SW_jjP12ihipStream_tbEUlT_E_NS1_11comp_targetILNS1_3genE2ELNS1_11target_archE906ELNS1_3gpuE6ELNS1_3repE0EEENS1_30default_config_static_selectorELNS0_4arch9wavefront6targetE0EEEvSK_
	.p2align	8
	.type	_ZN7rocprim17ROCPRIM_400000_NS6detail17trampoline_kernelINS0_14default_configENS1_36segmented_radix_sort_config_selectorIblEEZNS1_25segmented_radix_sort_implIS3_Lb1EPKbPbPKlPlN2at6native12_GLOBAL__N_18offset_tEEE10hipError_tPvRmT1_PNSt15iterator_traitsISK_E10value_typeET2_T3_PNSL_ISQ_E10value_typeET4_jRbjT5_SW_jjP12ihipStream_tbEUlT_E_NS1_11comp_targetILNS1_3genE2ELNS1_11target_archE906ELNS1_3gpuE6ELNS1_3repE0EEENS1_30default_config_static_selectorELNS0_4arch9wavefront6targetE0EEEvSK_,@function
_ZN7rocprim17ROCPRIM_400000_NS6detail17trampoline_kernelINS0_14default_configENS1_36segmented_radix_sort_config_selectorIblEEZNS1_25segmented_radix_sort_implIS3_Lb1EPKbPbPKlPlN2at6native12_GLOBAL__N_18offset_tEEE10hipError_tPvRmT1_PNSt15iterator_traitsISK_E10value_typeET2_T3_PNSL_ISQ_E10value_typeET4_jRbjT5_SW_jjP12ihipStream_tbEUlT_E_NS1_11comp_targetILNS1_3genE2ELNS1_11target_archE906ELNS1_3gpuE6ELNS1_3repE0EEENS1_30default_config_static_selectorELNS0_4arch9wavefront6targetE0EEEvSK_: ; @_ZN7rocprim17ROCPRIM_400000_NS6detail17trampoline_kernelINS0_14default_configENS1_36segmented_radix_sort_config_selectorIblEEZNS1_25segmented_radix_sort_implIS3_Lb1EPKbPbPKlPlN2at6native12_GLOBAL__N_18offset_tEEE10hipError_tPvRmT1_PNSt15iterator_traitsISK_E10value_typeET2_T3_PNSL_ISQ_E10value_typeET4_jRbjT5_SW_jjP12ihipStream_tbEUlT_E_NS1_11comp_targetILNS1_3genE2ELNS1_11target_archE906ELNS1_3gpuE6ELNS1_3repE0EEENS1_30default_config_static_selectorELNS0_4arch9wavefront6targetE0EEEvSK_
; %bb.0:
	.section	.rodata,"a",@progbits
	.p2align	6, 0x0
	.amdhsa_kernel _ZN7rocprim17ROCPRIM_400000_NS6detail17trampoline_kernelINS0_14default_configENS1_36segmented_radix_sort_config_selectorIblEEZNS1_25segmented_radix_sort_implIS3_Lb1EPKbPbPKlPlN2at6native12_GLOBAL__N_18offset_tEEE10hipError_tPvRmT1_PNSt15iterator_traitsISK_E10value_typeET2_T3_PNSL_ISQ_E10value_typeET4_jRbjT5_SW_jjP12ihipStream_tbEUlT_E_NS1_11comp_targetILNS1_3genE2ELNS1_11target_archE906ELNS1_3gpuE6ELNS1_3repE0EEENS1_30default_config_static_selectorELNS0_4arch9wavefront6targetE0EEEvSK_
		.amdhsa_group_segment_fixed_size 0
		.amdhsa_private_segment_fixed_size 0
		.amdhsa_kernarg_size 96
		.amdhsa_user_sgpr_count 6
		.amdhsa_user_sgpr_private_segment_buffer 1
		.amdhsa_user_sgpr_dispatch_ptr 0
		.amdhsa_user_sgpr_queue_ptr 0
		.amdhsa_user_sgpr_kernarg_segment_ptr 1
		.amdhsa_user_sgpr_dispatch_id 0
		.amdhsa_user_sgpr_flat_scratch_init 0
		.amdhsa_user_sgpr_private_segment_size 0
		.amdhsa_wavefront_size32 1
		.amdhsa_uses_dynamic_stack 0
		.amdhsa_system_sgpr_private_segment_wavefront_offset 0
		.amdhsa_system_sgpr_workgroup_id_x 1
		.amdhsa_system_sgpr_workgroup_id_y 0
		.amdhsa_system_sgpr_workgroup_id_z 0
		.amdhsa_system_sgpr_workgroup_info 0
		.amdhsa_system_vgpr_workitem_id 0
		.amdhsa_next_free_vgpr 1
		.amdhsa_next_free_sgpr 1
		.amdhsa_reserve_vcc 0
		.amdhsa_reserve_flat_scratch 0
		.amdhsa_float_round_mode_32 0
		.amdhsa_float_round_mode_16_64 0
		.amdhsa_float_denorm_mode_32 3
		.amdhsa_float_denorm_mode_16_64 3
		.amdhsa_dx10_clamp 1
		.amdhsa_ieee_mode 1
		.amdhsa_fp16_overflow 0
		.amdhsa_workgroup_processor_mode 1
		.amdhsa_memory_ordered 1
		.amdhsa_forward_progress 1
		.amdhsa_shared_vgpr_count 0
		.amdhsa_exception_fp_ieee_invalid_op 0
		.amdhsa_exception_fp_denorm_src 0
		.amdhsa_exception_fp_ieee_div_zero 0
		.amdhsa_exception_fp_ieee_overflow 0
		.amdhsa_exception_fp_ieee_underflow 0
		.amdhsa_exception_fp_ieee_inexact 0
		.amdhsa_exception_int_div_zero 0
	.end_amdhsa_kernel
	.section	.text._ZN7rocprim17ROCPRIM_400000_NS6detail17trampoline_kernelINS0_14default_configENS1_36segmented_radix_sort_config_selectorIblEEZNS1_25segmented_radix_sort_implIS3_Lb1EPKbPbPKlPlN2at6native12_GLOBAL__N_18offset_tEEE10hipError_tPvRmT1_PNSt15iterator_traitsISK_E10value_typeET2_T3_PNSL_ISQ_E10value_typeET4_jRbjT5_SW_jjP12ihipStream_tbEUlT_E_NS1_11comp_targetILNS1_3genE2ELNS1_11target_archE906ELNS1_3gpuE6ELNS1_3repE0EEENS1_30default_config_static_selectorELNS0_4arch9wavefront6targetE0EEEvSK_,"axG",@progbits,_ZN7rocprim17ROCPRIM_400000_NS6detail17trampoline_kernelINS0_14default_configENS1_36segmented_radix_sort_config_selectorIblEEZNS1_25segmented_radix_sort_implIS3_Lb1EPKbPbPKlPlN2at6native12_GLOBAL__N_18offset_tEEE10hipError_tPvRmT1_PNSt15iterator_traitsISK_E10value_typeET2_T3_PNSL_ISQ_E10value_typeET4_jRbjT5_SW_jjP12ihipStream_tbEUlT_E_NS1_11comp_targetILNS1_3genE2ELNS1_11target_archE906ELNS1_3gpuE6ELNS1_3repE0EEENS1_30default_config_static_selectorELNS0_4arch9wavefront6targetE0EEEvSK_,comdat
.Lfunc_end1528:
	.size	_ZN7rocprim17ROCPRIM_400000_NS6detail17trampoline_kernelINS0_14default_configENS1_36segmented_radix_sort_config_selectorIblEEZNS1_25segmented_radix_sort_implIS3_Lb1EPKbPbPKlPlN2at6native12_GLOBAL__N_18offset_tEEE10hipError_tPvRmT1_PNSt15iterator_traitsISK_E10value_typeET2_T3_PNSL_ISQ_E10value_typeET4_jRbjT5_SW_jjP12ihipStream_tbEUlT_E_NS1_11comp_targetILNS1_3genE2ELNS1_11target_archE906ELNS1_3gpuE6ELNS1_3repE0EEENS1_30default_config_static_selectorELNS0_4arch9wavefront6targetE0EEEvSK_, .Lfunc_end1528-_ZN7rocprim17ROCPRIM_400000_NS6detail17trampoline_kernelINS0_14default_configENS1_36segmented_radix_sort_config_selectorIblEEZNS1_25segmented_radix_sort_implIS3_Lb1EPKbPbPKlPlN2at6native12_GLOBAL__N_18offset_tEEE10hipError_tPvRmT1_PNSt15iterator_traitsISK_E10value_typeET2_T3_PNSL_ISQ_E10value_typeET4_jRbjT5_SW_jjP12ihipStream_tbEUlT_E_NS1_11comp_targetILNS1_3genE2ELNS1_11target_archE906ELNS1_3gpuE6ELNS1_3repE0EEENS1_30default_config_static_selectorELNS0_4arch9wavefront6targetE0EEEvSK_
                                        ; -- End function
	.set _ZN7rocprim17ROCPRIM_400000_NS6detail17trampoline_kernelINS0_14default_configENS1_36segmented_radix_sort_config_selectorIblEEZNS1_25segmented_radix_sort_implIS3_Lb1EPKbPbPKlPlN2at6native12_GLOBAL__N_18offset_tEEE10hipError_tPvRmT1_PNSt15iterator_traitsISK_E10value_typeET2_T3_PNSL_ISQ_E10value_typeET4_jRbjT5_SW_jjP12ihipStream_tbEUlT_E_NS1_11comp_targetILNS1_3genE2ELNS1_11target_archE906ELNS1_3gpuE6ELNS1_3repE0EEENS1_30default_config_static_selectorELNS0_4arch9wavefront6targetE0EEEvSK_.num_vgpr, 0
	.set _ZN7rocprim17ROCPRIM_400000_NS6detail17trampoline_kernelINS0_14default_configENS1_36segmented_radix_sort_config_selectorIblEEZNS1_25segmented_radix_sort_implIS3_Lb1EPKbPbPKlPlN2at6native12_GLOBAL__N_18offset_tEEE10hipError_tPvRmT1_PNSt15iterator_traitsISK_E10value_typeET2_T3_PNSL_ISQ_E10value_typeET4_jRbjT5_SW_jjP12ihipStream_tbEUlT_E_NS1_11comp_targetILNS1_3genE2ELNS1_11target_archE906ELNS1_3gpuE6ELNS1_3repE0EEENS1_30default_config_static_selectorELNS0_4arch9wavefront6targetE0EEEvSK_.num_agpr, 0
	.set _ZN7rocprim17ROCPRIM_400000_NS6detail17trampoline_kernelINS0_14default_configENS1_36segmented_radix_sort_config_selectorIblEEZNS1_25segmented_radix_sort_implIS3_Lb1EPKbPbPKlPlN2at6native12_GLOBAL__N_18offset_tEEE10hipError_tPvRmT1_PNSt15iterator_traitsISK_E10value_typeET2_T3_PNSL_ISQ_E10value_typeET4_jRbjT5_SW_jjP12ihipStream_tbEUlT_E_NS1_11comp_targetILNS1_3genE2ELNS1_11target_archE906ELNS1_3gpuE6ELNS1_3repE0EEENS1_30default_config_static_selectorELNS0_4arch9wavefront6targetE0EEEvSK_.numbered_sgpr, 0
	.set _ZN7rocprim17ROCPRIM_400000_NS6detail17trampoline_kernelINS0_14default_configENS1_36segmented_radix_sort_config_selectorIblEEZNS1_25segmented_radix_sort_implIS3_Lb1EPKbPbPKlPlN2at6native12_GLOBAL__N_18offset_tEEE10hipError_tPvRmT1_PNSt15iterator_traitsISK_E10value_typeET2_T3_PNSL_ISQ_E10value_typeET4_jRbjT5_SW_jjP12ihipStream_tbEUlT_E_NS1_11comp_targetILNS1_3genE2ELNS1_11target_archE906ELNS1_3gpuE6ELNS1_3repE0EEENS1_30default_config_static_selectorELNS0_4arch9wavefront6targetE0EEEvSK_.num_named_barrier, 0
	.set _ZN7rocprim17ROCPRIM_400000_NS6detail17trampoline_kernelINS0_14default_configENS1_36segmented_radix_sort_config_selectorIblEEZNS1_25segmented_radix_sort_implIS3_Lb1EPKbPbPKlPlN2at6native12_GLOBAL__N_18offset_tEEE10hipError_tPvRmT1_PNSt15iterator_traitsISK_E10value_typeET2_T3_PNSL_ISQ_E10value_typeET4_jRbjT5_SW_jjP12ihipStream_tbEUlT_E_NS1_11comp_targetILNS1_3genE2ELNS1_11target_archE906ELNS1_3gpuE6ELNS1_3repE0EEENS1_30default_config_static_selectorELNS0_4arch9wavefront6targetE0EEEvSK_.private_seg_size, 0
	.set _ZN7rocprim17ROCPRIM_400000_NS6detail17trampoline_kernelINS0_14default_configENS1_36segmented_radix_sort_config_selectorIblEEZNS1_25segmented_radix_sort_implIS3_Lb1EPKbPbPKlPlN2at6native12_GLOBAL__N_18offset_tEEE10hipError_tPvRmT1_PNSt15iterator_traitsISK_E10value_typeET2_T3_PNSL_ISQ_E10value_typeET4_jRbjT5_SW_jjP12ihipStream_tbEUlT_E_NS1_11comp_targetILNS1_3genE2ELNS1_11target_archE906ELNS1_3gpuE6ELNS1_3repE0EEENS1_30default_config_static_selectorELNS0_4arch9wavefront6targetE0EEEvSK_.uses_vcc, 0
	.set _ZN7rocprim17ROCPRIM_400000_NS6detail17trampoline_kernelINS0_14default_configENS1_36segmented_radix_sort_config_selectorIblEEZNS1_25segmented_radix_sort_implIS3_Lb1EPKbPbPKlPlN2at6native12_GLOBAL__N_18offset_tEEE10hipError_tPvRmT1_PNSt15iterator_traitsISK_E10value_typeET2_T3_PNSL_ISQ_E10value_typeET4_jRbjT5_SW_jjP12ihipStream_tbEUlT_E_NS1_11comp_targetILNS1_3genE2ELNS1_11target_archE906ELNS1_3gpuE6ELNS1_3repE0EEENS1_30default_config_static_selectorELNS0_4arch9wavefront6targetE0EEEvSK_.uses_flat_scratch, 0
	.set _ZN7rocprim17ROCPRIM_400000_NS6detail17trampoline_kernelINS0_14default_configENS1_36segmented_radix_sort_config_selectorIblEEZNS1_25segmented_radix_sort_implIS3_Lb1EPKbPbPKlPlN2at6native12_GLOBAL__N_18offset_tEEE10hipError_tPvRmT1_PNSt15iterator_traitsISK_E10value_typeET2_T3_PNSL_ISQ_E10value_typeET4_jRbjT5_SW_jjP12ihipStream_tbEUlT_E_NS1_11comp_targetILNS1_3genE2ELNS1_11target_archE906ELNS1_3gpuE6ELNS1_3repE0EEENS1_30default_config_static_selectorELNS0_4arch9wavefront6targetE0EEEvSK_.has_dyn_sized_stack, 0
	.set _ZN7rocprim17ROCPRIM_400000_NS6detail17trampoline_kernelINS0_14default_configENS1_36segmented_radix_sort_config_selectorIblEEZNS1_25segmented_radix_sort_implIS3_Lb1EPKbPbPKlPlN2at6native12_GLOBAL__N_18offset_tEEE10hipError_tPvRmT1_PNSt15iterator_traitsISK_E10value_typeET2_T3_PNSL_ISQ_E10value_typeET4_jRbjT5_SW_jjP12ihipStream_tbEUlT_E_NS1_11comp_targetILNS1_3genE2ELNS1_11target_archE906ELNS1_3gpuE6ELNS1_3repE0EEENS1_30default_config_static_selectorELNS0_4arch9wavefront6targetE0EEEvSK_.has_recursion, 0
	.set _ZN7rocprim17ROCPRIM_400000_NS6detail17trampoline_kernelINS0_14default_configENS1_36segmented_radix_sort_config_selectorIblEEZNS1_25segmented_radix_sort_implIS3_Lb1EPKbPbPKlPlN2at6native12_GLOBAL__N_18offset_tEEE10hipError_tPvRmT1_PNSt15iterator_traitsISK_E10value_typeET2_T3_PNSL_ISQ_E10value_typeET4_jRbjT5_SW_jjP12ihipStream_tbEUlT_E_NS1_11comp_targetILNS1_3genE2ELNS1_11target_archE906ELNS1_3gpuE6ELNS1_3repE0EEENS1_30default_config_static_selectorELNS0_4arch9wavefront6targetE0EEEvSK_.has_indirect_call, 0
	.section	.AMDGPU.csdata,"",@progbits
; Kernel info:
; codeLenInByte = 0
; TotalNumSgprs: 0
; NumVgprs: 0
; ScratchSize: 0
; MemoryBound: 0
; FloatMode: 240
; IeeeMode: 1
; LDSByteSize: 0 bytes/workgroup (compile time only)
; SGPRBlocks: 0
; VGPRBlocks: 0
; NumSGPRsForWavesPerEU: 1
; NumVGPRsForWavesPerEU: 1
; Occupancy: 16
; WaveLimiterHint : 0
; COMPUTE_PGM_RSRC2:SCRATCH_EN: 0
; COMPUTE_PGM_RSRC2:USER_SGPR: 6
; COMPUTE_PGM_RSRC2:TRAP_HANDLER: 0
; COMPUTE_PGM_RSRC2:TGID_X_EN: 1
; COMPUTE_PGM_RSRC2:TGID_Y_EN: 0
; COMPUTE_PGM_RSRC2:TGID_Z_EN: 0
; COMPUTE_PGM_RSRC2:TIDIG_COMP_CNT: 0
	.section	.text._ZN7rocprim17ROCPRIM_400000_NS6detail17trampoline_kernelINS0_14default_configENS1_36segmented_radix_sort_config_selectorIblEEZNS1_25segmented_radix_sort_implIS3_Lb1EPKbPbPKlPlN2at6native12_GLOBAL__N_18offset_tEEE10hipError_tPvRmT1_PNSt15iterator_traitsISK_E10value_typeET2_T3_PNSL_ISQ_E10value_typeET4_jRbjT5_SW_jjP12ihipStream_tbEUlT_E_NS1_11comp_targetILNS1_3genE10ELNS1_11target_archE1201ELNS1_3gpuE5ELNS1_3repE0EEENS1_30default_config_static_selectorELNS0_4arch9wavefront6targetE0EEEvSK_,"axG",@progbits,_ZN7rocprim17ROCPRIM_400000_NS6detail17trampoline_kernelINS0_14default_configENS1_36segmented_radix_sort_config_selectorIblEEZNS1_25segmented_radix_sort_implIS3_Lb1EPKbPbPKlPlN2at6native12_GLOBAL__N_18offset_tEEE10hipError_tPvRmT1_PNSt15iterator_traitsISK_E10value_typeET2_T3_PNSL_ISQ_E10value_typeET4_jRbjT5_SW_jjP12ihipStream_tbEUlT_E_NS1_11comp_targetILNS1_3genE10ELNS1_11target_archE1201ELNS1_3gpuE5ELNS1_3repE0EEENS1_30default_config_static_selectorELNS0_4arch9wavefront6targetE0EEEvSK_,comdat
	.globl	_ZN7rocprim17ROCPRIM_400000_NS6detail17trampoline_kernelINS0_14default_configENS1_36segmented_radix_sort_config_selectorIblEEZNS1_25segmented_radix_sort_implIS3_Lb1EPKbPbPKlPlN2at6native12_GLOBAL__N_18offset_tEEE10hipError_tPvRmT1_PNSt15iterator_traitsISK_E10value_typeET2_T3_PNSL_ISQ_E10value_typeET4_jRbjT5_SW_jjP12ihipStream_tbEUlT_E_NS1_11comp_targetILNS1_3genE10ELNS1_11target_archE1201ELNS1_3gpuE5ELNS1_3repE0EEENS1_30default_config_static_selectorELNS0_4arch9wavefront6targetE0EEEvSK_ ; -- Begin function _ZN7rocprim17ROCPRIM_400000_NS6detail17trampoline_kernelINS0_14default_configENS1_36segmented_radix_sort_config_selectorIblEEZNS1_25segmented_radix_sort_implIS3_Lb1EPKbPbPKlPlN2at6native12_GLOBAL__N_18offset_tEEE10hipError_tPvRmT1_PNSt15iterator_traitsISK_E10value_typeET2_T3_PNSL_ISQ_E10value_typeET4_jRbjT5_SW_jjP12ihipStream_tbEUlT_E_NS1_11comp_targetILNS1_3genE10ELNS1_11target_archE1201ELNS1_3gpuE5ELNS1_3repE0EEENS1_30default_config_static_selectorELNS0_4arch9wavefront6targetE0EEEvSK_
	.p2align	8
	.type	_ZN7rocprim17ROCPRIM_400000_NS6detail17trampoline_kernelINS0_14default_configENS1_36segmented_radix_sort_config_selectorIblEEZNS1_25segmented_radix_sort_implIS3_Lb1EPKbPbPKlPlN2at6native12_GLOBAL__N_18offset_tEEE10hipError_tPvRmT1_PNSt15iterator_traitsISK_E10value_typeET2_T3_PNSL_ISQ_E10value_typeET4_jRbjT5_SW_jjP12ihipStream_tbEUlT_E_NS1_11comp_targetILNS1_3genE10ELNS1_11target_archE1201ELNS1_3gpuE5ELNS1_3repE0EEENS1_30default_config_static_selectorELNS0_4arch9wavefront6targetE0EEEvSK_,@function
_ZN7rocprim17ROCPRIM_400000_NS6detail17trampoline_kernelINS0_14default_configENS1_36segmented_radix_sort_config_selectorIblEEZNS1_25segmented_radix_sort_implIS3_Lb1EPKbPbPKlPlN2at6native12_GLOBAL__N_18offset_tEEE10hipError_tPvRmT1_PNSt15iterator_traitsISK_E10value_typeET2_T3_PNSL_ISQ_E10value_typeET4_jRbjT5_SW_jjP12ihipStream_tbEUlT_E_NS1_11comp_targetILNS1_3genE10ELNS1_11target_archE1201ELNS1_3gpuE5ELNS1_3repE0EEENS1_30default_config_static_selectorELNS0_4arch9wavefront6targetE0EEEvSK_: ; @_ZN7rocprim17ROCPRIM_400000_NS6detail17trampoline_kernelINS0_14default_configENS1_36segmented_radix_sort_config_selectorIblEEZNS1_25segmented_radix_sort_implIS3_Lb1EPKbPbPKlPlN2at6native12_GLOBAL__N_18offset_tEEE10hipError_tPvRmT1_PNSt15iterator_traitsISK_E10value_typeET2_T3_PNSL_ISQ_E10value_typeET4_jRbjT5_SW_jjP12ihipStream_tbEUlT_E_NS1_11comp_targetILNS1_3genE10ELNS1_11target_archE1201ELNS1_3gpuE5ELNS1_3repE0EEENS1_30default_config_static_selectorELNS0_4arch9wavefront6targetE0EEEvSK_
; %bb.0:
	.section	.rodata,"a",@progbits
	.p2align	6, 0x0
	.amdhsa_kernel _ZN7rocprim17ROCPRIM_400000_NS6detail17trampoline_kernelINS0_14default_configENS1_36segmented_radix_sort_config_selectorIblEEZNS1_25segmented_radix_sort_implIS3_Lb1EPKbPbPKlPlN2at6native12_GLOBAL__N_18offset_tEEE10hipError_tPvRmT1_PNSt15iterator_traitsISK_E10value_typeET2_T3_PNSL_ISQ_E10value_typeET4_jRbjT5_SW_jjP12ihipStream_tbEUlT_E_NS1_11comp_targetILNS1_3genE10ELNS1_11target_archE1201ELNS1_3gpuE5ELNS1_3repE0EEENS1_30default_config_static_selectorELNS0_4arch9wavefront6targetE0EEEvSK_
		.amdhsa_group_segment_fixed_size 0
		.amdhsa_private_segment_fixed_size 0
		.amdhsa_kernarg_size 96
		.amdhsa_user_sgpr_count 6
		.amdhsa_user_sgpr_private_segment_buffer 1
		.amdhsa_user_sgpr_dispatch_ptr 0
		.amdhsa_user_sgpr_queue_ptr 0
		.amdhsa_user_sgpr_kernarg_segment_ptr 1
		.amdhsa_user_sgpr_dispatch_id 0
		.amdhsa_user_sgpr_flat_scratch_init 0
		.amdhsa_user_sgpr_private_segment_size 0
		.amdhsa_wavefront_size32 1
		.amdhsa_uses_dynamic_stack 0
		.amdhsa_system_sgpr_private_segment_wavefront_offset 0
		.amdhsa_system_sgpr_workgroup_id_x 1
		.amdhsa_system_sgpr_workgroup_id_y 0
		.amdhsa_system_sgpr_workgroup_id_z 0
		.amdhsa_system_sgpr_workgroup_info 0
		.amdhsa_system_vgpr_workitem_id 0
		.amdhsa_next_free_vgpr 1
		.amdhsa_next_free_sgpr 1
		.amdhsa_reserve_vcc 0
		.amdhsa_reserve_flat_scratch 0
		.amdhsa_float_round_mode_32 0
		.amdhsa_float_round_mode_16_64 0
		.amdhsa_float_denorm_mode_32 3
		.amdhsa_float_denorm_mode_16_64 3
		.amdhsa_dx10_clamp 1
		.amdhsa_ieee_mode 1
		.amdhsa_fp16_overflow 0
		.amdhsa_workgroup_processor_mode 1
		.amdhsa_memory_ordered 1
		.amdhsa_forward_progress 1
		.amdhsa_shared_vgpr_count 0
		.amdhsa_exception_fp_ieee_invalid_op 0
		.amdhsa_exception_fp_denorm_src 0
		.amdhsa_exception_fp_ieee_div_zero 0
		.amdhsa_exception_fp_ieee_overflow 0
		.amdhsa_exception_fp_ieee_underflow 0
		.amdhsa_exception_fp_ieee_inexact 0
		.amdhsa_exception_int_div_zero 0
	.end_amdhsa_kernel
	.section	.text._ZN7rocprim17ROCPRIM_400000_NS6detail17trampoline_kernelINS0_14default_configENS1_36segmented_radix_sort_config_selectorIblEEZNS1_25segmented_radix_sort_implIS3_Lb1EPKbPbPKlPlN2at6native12_GLOBAL__N_18offset_tEEE10hipError_tPvRmT1_PNSt15iterator_traitsISK_E10value_typeET2_T3_PNSL_ISQ_E10value_typeET4_jRbjT5_SW_jjP12ihipStream_tbEUlT_E_NS1_11comp_targetILNS1_3genE10ELNS1_11target_archE1201ELNS1_3gpuE5ELNS1_3repE0EEENS1_30default_config_static_selectorELNS0_4arch9wavefront6targetE0EEEvSK_,"axG",@progbits,_ZN7rocprim17ROCPRIM_400000_NS6detail17trampoline_kernelINS0_14default_configENS1_36segmented_radix_sort_config_selectorIblEEZNS1_25segmented_radix_sort_implIS3_Lb1EPKbPbPKlPlN2at6native12_GLOBAL__N_18offset_tEEE10hipError_tPvRmT1_PNSt15iterator_traitsISK_E10value_typeET2_T3_PNSL_ISQ_E10value_typeET4_jRbjT5_SW_jjP12ihipStream_tbEUlT_E_NS1_11comp_targetILNS1_3genE10ELNS1_11target_archE1201ELNS1_3gpuE5ELNS1_3repE0EEENS1_30default_config_static_selectorELNS0_4arch9wavefront6targetE0EEEvSK_,comdat
.Lfunc_end1529:
	.size	_ZN7rocprim17ROCPRIM_400000_NS6detail17trampoline_kernelINS0_14default_configENS1_36segmented_radix_sort_config_selectorIblEEZNS1_25segmented_radix_sort_implIS3_Lb1EPKbPbPKlPlN2at6native12_GLOBAL__N_18offset_tEEE10hipError_tPvRmT1_PNSt15iterator_traitsISK_E10value_typeET2_T3_PNSL_ISQ_E10value_typeET4_jRbjT5_SW_jjP12ihipStream_tbEUlT_E_NS1_11comp_targetILNS1_3genE10ELNS1_11target_archE1201ELNS1_3gpuE5ELNS1_3repE0EEENS1_30default_config_static_selectorELNS0_4arch9wavefront6targetE0EEEvSK_, .Lfunc_end1529-_ZN7rocprim17ROCPRIM_400000_NS6detail17trampoline_kernelINS0_14default_configENS1_36segmented_radix_sort_config_selectorIblEEZNS1_25segmented_radix_sort_implIS3_Lb1EPKbPbPKlPlN2at6native12_GLOBAL__N_18offset_tEEE10hipError_tPvRmT1_PNSt15iterator_traitsISK_E10value_typeET2_T3_PNSL_ISQ_E10value_typeET4_jRbjT5_SW_jjP12ihipStream_tbEUlT_E_NS1_11comp_targetILNS1_3genE10ELNS1_11target_archE1201ELNS1_3gpuE5ELNS1_3repE0EEENS1_30default_config_static_selectorELNS0_4arch9wavefront6targetE0EEEvSK_
                                        ; -- End function
	.set _ZN7rocprim17ROCPRIM_400000_NS6detail17trampoline_kernelINS0_14default_configENS1_36segmented_radix_sort_config_selectorIblEEZNS1_25segmented_radix_sort_implIS3_Lb1EPKbPbPKlPlN2at6native12_GLOBAL__N_18offset_tEEE10hipError_tPvRmT1_PNSt15iterator_traitsISK_E10value_typeET2_T3_PNSL_ISQ_E10value_typeET4_jRbjT5_SW_jjP12ihipStream_tbEUlT_E_NS1_11comp_targetILNS1_3genE10ELNS1_11target_archE1201ELNS1_3gpuE5ELNS1_3repE0EEENS1_30default_config_static_selectorELNS0_4arch9wavefront6targetE0EEEvSK_.num_vgpr, 0
	.set _ZN7rocprim17ROCPRIM_400000_NS6detail17trampoline_kernelINS0_14default_configENS1_36segmented_radix_sort_config_selectorIblEEZNS1_25segmented_radix_sort_implIS3_Lb1EPKbPbPKlPlN2at6native12_GLOBAL__N_18offset_tEEE10hipError_tPvRmT1_PNSt15iterator_traitsISK_E10value_typeET2_T3_PNSL_ISQ_E10value_typeET4_jRbjT5_SW_jjP12ihipStream_tbEUlT_E_NS1_11comp_targetILNS1_3genE10ELNS1_11target_archE1201ELNS1_3gpuE5ELNS1_3repE0EEENS1_30default_config_static_selectorELNS0_4arch9wavefront6targetE0EEEvSK_.num_agpr, 0
	.set _ZN7rocprim17ROCPRIM_400000_NS6detail17trampoline_kernelINS0_14default_configENS1_36segmented_radix_sort_config_selectorIblEEZNS1_25segmented_radix_sort_implIS3_Lb1EPKbPbPKlPlN2at6native12_GLOBAL__N_18offset_tEEE10hipError_tPvRmT1_PNSt15iterator_traitsISK_E10value_typeET2_T3_PNSL_ISQ_E10value_typeET4_jRbjT5_SW_jjP12ihipStream_tbEUlT_E_NS1_11comp_targetILNS1_3genE10ELNS1_11target_archE1201ELNS1_3gpuE5ELNS1_3repE0EEENS1_30default_config_static_selectorELNS0_4arch9wavefront6targetE0EEEvSK_.numbered_sgpr, 0
	.set _ZN7rocprim17ROCPRIM_400000_NS6detail17trampoline_kernelINS0_14default_configENS1_36segmented_radix_sort_config_selectorIblEEZNS1_25segmented_radix_sort_implIS3_Lb1EPKbPbPKlPlN2at6native12_GLOBAL__N_18offset_tEEE10hipError_tPvRmT1_PNSt15iterator_traitsISK_E10value_typeET2_T3_PNSL_ISQ_E10value_typeET4_jRbjT5_SW_jjP12ihipStream_tbEUlT_E_NS1_11comp_targetILNS1_3genE10ELNS1_11target_archE1201ELNS1_3gpuE5ELNS1_3repE0EEENS1_30default_config_static_selectorELNS0_4arch9wavefront6targetE0EEEvSK_.num_named_barrier, 0
	.set _ZN7rocprim17ROCPRIM_400000_NS6detail17trampoline_kernelINS0_14default_configENS1_36segmented_radix_sort_config_selectorIblEEZNS1_25segmented_radix_sort_implIS3_Lb1EPKbPbPKlPlN2at6native12_GLOBAL__N_18offset_tEEE10hipError_tPvRmT1_PNSt15iterator_traitsISK_E10value_typeET2_T3_PNSL_ISQ_E10value_typeET4_jRbjT5_SW_jjP12ihipStream_tbEUlT_E_NS1_11comp_targetILNS1_3genE10ELNS1_11target_archE1201ELNS1_3gpuE5ELNS1_3repE0EEENS1_30default_config_static_selectorELNS0_4arch9wavefront6targetE0EEEvSK_.private_seg_size, 0
	.set _ZN7rocprim17ROCPRIM_400000_NS6detail17trampoline_kernelINS0_14default_configENS1_36segmented_radix_sort_config_selectorIblEEZNS1_25segmented_radix_sort_implIS3_Lb1EPKbPbPKlPlN2at6native12_GLOBAL__N_18offset_tEEE10hipError_tPvRmT1_PNSt15iterator_traitsISK_E10value_typeET2_T3_PNSL_ISQ_E10value_typeET4_jRbjT5_SW_jjP12ihipStream_tbEUlT_E_NS1_11comp_targetILNS1_3genE10ELNS1_11target_archE1201ELNS1_3gpuE5ELNS1_3repE0EEENS1_30default_config_static_selectorELNS0_4arch9wavefront6targetE0EEEvSK_.uses_vcc, 0
	.set _ZN7rocprim17ROCPRIM_400000_NS6detail17trampoline_kernelINS0_14default_configENS1_36segmented_radix_sort_config_selectorIblEEZNS1_25segmented_radix_sort_implIS3_Lb1EPKbPbPKlPlN2at6native12_GLOBAL__N_18offset_tEEE10hipError_tPvRmT1_PNSt15iterator_traitsISK_E10value_typeET2_T3_PNSL_ISQ_E10value_typeET4_jRbjT5_SW_jjP12ihipStream_tbEUlT_E_NS1_11comp_targetILNS1_3genE10ELNS1_11target_archE1201ELNS1_3gpuE5ELNS1_3repE0EEENS1_30default_config_static_selectorELNS0_4arch9wavefront6targetE0EEEvSK_.uses_flat_scratch, 0
	.set _ZN7rocprim17ROCPRIM_400000_NS6detail17trampoline_kernelINS0_14default_configENS1_36segmented_radix_sort_config_selectorIblEEZNS1_25segmented_radix_sort_implIS3_Lb1EPKbPbPKlPlN2at6native12_GLOBAL__N_18offset_tEEE10hipError_tPvRmT1_PNSt15iterator_traitsISK_E10value_typeET2_T3_PNSL_ISQ_E10value_typeET4_jRbjT5_SW_jjP12ihipStream_tbEUlT_E_NS1_11comp_targetILNS1_3genE10ELNS1_11target_archE1201ELNS1_3gpuE5ELNS1_3repE0EEENS1_30default_config_static_selectorELNS0_4arch9wavefront6targetE0EEEvSK_.has_dyn_sized_stack, 0
	.set _ZN7rocprim17ROCPRIM_400000_NS6detail17trampoline_kernelINS0_14default_configENS1_36segmented_radix_sort_config_selectorIblEEZNS1_25segmented_radix_sort_implIS3_Lb1EPKbPbPKlPlN2at6native12_GLOBAL__N_18offset_tEEE10hipError_tPvRmT1_PNSt15iterator_traitsISK_E10value_typeET2_T3_PNSL_ISQ_E10value_typeET4_jRbjT5_SW_jjP12ihipStream_tbEUlT_E_NS1_11comp_targetILNS1_3genE10ELNS1_11target_archE1201ELNS1_3gpuE5ELNS1_3repE0EEENS1_30default_config_static_selectorELNS0_4arch9wavefront6targetE0EEEvSK_.has_recursion, 0
	.set _ZN7rocprim17ROCPRIM_400000_NS6detail17trampoline_kernelINS0_14default_configENS1_36segmented_radix_sort_config_selectorIblEEZNS1_25segmented_radix_sort_implIS3_Lb1EPKbPbPKlPlN2at6native12_GLOBAL__N_18offset_tEEE10hipError_tPvRmT1_PNSt15iterator_traitsISK_E10value_typeET2_T3_PNSL_ISQ_E10value_typeET4_jRbjT5_SW_jjP12ihipStream_tbEUlT_E_NS1_11comp_targetILNS1_3genE10ELNS1_11target_archE1201ELNS1_3gpuE5ELNS1_3repE0EEENS1_30default_config_static_selectorELNS0_4arch9wavefront6targetE0EEEvSK_.has_indirect_call, 0
	.section	.AMDGPU.csdata,"",@progbits
; Kernel info:
; codeLenInByte = 0
; TotalNumSgprs: 0
; NumVgprs: 0
; ScratchSize: 0
; MemoryBound: 0
; FloatMode: 240
; IeeeMode: 1
; LDSByteSize: 0 bytes/workgroup (compile time only)
; SGPRBlocks: 0
; VGPRBlocks: 0
; NumSGPRsForWavesPerEU: 1
; NumVGPRsForWavesPerEU: 1
; Occupancy: 16
; WaveLimiterHint : 0
; COMPUTE_PGM_RSRC2:SCRATCH_EN: 0
; COMPUTE_PGM_RSRC2:USER_SGPR: 6
; COMPUTE_PGM_RSRC2:TRAP_HANDLER: 0
; COMPUTE_PGM_RSRC2:TGID_X_EN: 1
; COMPUTE_PGM_RSRC2:TGID_Y_EN: 0
; COMPUTE_PGM_RSRC2:TGID_Z_EN: 0
; COMPUTE_PGM_RSRC2:TIDIG_COMP_CNT: 0
	.section	.text._ZN7rocprim17ROCPRIM_400000_NS6detail17trampoline_kernelINS0_14default_configENS1_36segmented_radix_sort_config_selectorIblEEZNS1_25segmented_radix_sort_implIS3_Lb1EPKbPbPKlPlN2at6native12_GLOBAL__N_18offset_tEEE10hipError_tPvRmT1_PNSt15iterator_traitsISK_E10value_typeET2_T3_PNSL_ISQ_E10value_typeET4_jRbjT5_SW_jjP12ihipStream_tbEUlT_E_NS1_11comp_targetILNS1_3genE10ELNS1_11target_archE1200ELNS1_3gpuE4ELNS1_3repE0EEENS1_30default_config_static_selectorELNS0_4arch9wavefront6targetE0EEEvSK_,"axG",@progbits,_ZN7rocprim17ROCPRIM_400000_NS6detail17trampoline_kernelINS0_14default_configENS1_36segmented_radix_sort_config_selectorIblEEZNS1_25segmented_radix_sort_implIS3_Lb1EPKbPbPKlPlN2at6native12_GLOBAL__N_18offset_tEEE10hipError_tPvRmT1_PNSt15iterator_traitsISK_E10value_typeET2_T3_PNSL_ISQ_E10value_typeET4_jRbjT5_SW_jjP12ihipStream_tbEUlT_E_NS1_11comp_targetILNS1_3genE10ELNS1_11target_archE1200ELNS1_3gpuE4ELNS1_3repE0EEENS1_30default_config_static_selectorELNS0_4arch9wavefront6targetE0EEEvSK_,comdat
	.globl	_ZN7rocprim17ROCPRIM_400000_NS6detail17trampoline_kernelINS0_14default_configENS1_36segmented_radix_sort_config_selectorIblEEZNS1_25segmented_radix_sort_implIS3_Lb1EPKbPbPKlPlN2at6native12_GLOBAL__N_18offset_tEEE10hipError_tPvRmT1_PNSt15iterator_traitsISK_E10value_typeET2_T3_PNSL_ISQ_E10value_typeET4_jRbjT5_SW_jjP12ihipStream_tbEUlT_E_NS1_11comp_targetILNS1_3genE10ELNS1_11target_archE1200ELNS1_3gpuE4ELNS1_3repE0EEENS1_30default_config_static_selectorELNS0_4arch9wavefront6targetE0EEEvSK_ ; -- Begin function _ZN7rocprim17ROCPRIM_400000_NS6detail17trampoline_kernelINS0_14default_configENS1_36segmented_radix_sort_config_selectorIblEEZNS1_25segmented_radix_sort_implIS3_Lb1EPKbPbPKlPlN2at6native12_GLOBAL__N_18offset_tEEE10hipError_tPvRmT1_PNSt15iterator_traitsISK_E10value_typeET2_T3_PNSL_ISQ_E10value_typeET4_jRbjT5_SW_jjP12ihipStream_tbEUlT_E_NS1_11comp_targetILNS1_3genE10ELNS1_11target_archE1200ELNS1_3gpuE4ELNS1_3repE0EEENS1_30default_config_static_selectorELNS0_4arch9wavefront6targetE0EEEvSK_
	.p2align	8
	.type	_ZN7rocprim17ROCPRIM_400000_NS6detail17trampoline_kernelINS0_14default_configENS1_36segmented_radix_sort_config_selectorIblEEZNS1_25segmented_radix_sort_implIS3_Lb1EPKbPbPKlPlN2at6native12_GLOBAL__N_18offset_tEEE10hipError_tPvRmT1_PNSt15iterator_traitsISK_E10value_typeET2_T3_PNSL_ISQ_E10value_typeET4_jRbjT5_SW_jjP12ihipStream_tbEUlT_E_NS1_11comp_targetILNS1_3genE10ELNS1_11target_archE1200ELNS1_3gpuE4ELNS1_3repE0EEENS1_30default_config_static_selectorELNS0_4arch9wavefront6targetE0EEEvSK_,@function
_ZN7rocprim17ROCPRIM_400000_NS6detail17trampoline_kernelINS0_14default_configENS1_36segmented_radix_sort_config_selectorIblEEZNS1_25segmented_radix_sort_implIS3_Lb1EPKbPbPKlPlN2at6native12_GLOBAL__N_18offset_tEEE10hipError_tPvRmT1_PNSt15iterator_traitsISK_E10value_typeET2_T3_PNSL_ISQ_E10value_typeET4_jRbjT5_SW_jjP12ihipStream_tbEUlT_E_NS1_11comp_targetILNS1_3genE10ELNS1_11target_archE1200ELNS1_3gpuE4ELNS1_3repE0EEENS1_30default_config_static_selectorELNS0_4arch9wavefront6targetE0EEEvSK_: ; @_ZN7rocprim17ROCPRIM_400000_NS6detail17trampoline_kernelINS0_14default_configENS1_36segmented_radix_sort_config_selectorIblEEZNS1_25segmented_radix_sort_implIS3_Lb1EPKbPbPKlPlN2at6native12_GLOBAL__N_18offset_tEEE10hipError_tPvRmT1_PNSt15iterator_traitsISK_E10value_typeET2_T3_PNSL_ISQ_E10value_typeET4_jRbjT5_SW_jjP12ihipStream_tbEUlT_E_NS1_11comp_targetILNS1_3genE10ELNS1_11target_archE1200ELNS1_3gpuE4ELNS1_3repE0EEENS1_30default_config_static_selectorELNS0_4arch9wavefront6targetE0EEEvSK_
; %bb.0:
	.section	.rodata,"a",@progbits
	.p2align	6, 0x0
	.amdhsa_kernel _ZN7rocprim17ROCPRIM_400000_NS6detail17trampoline_kernelINS0_14default_configENS1_36segmented_radix_sort_config_selectorIblEEZNS1_25segmented_radix_sort_implIS3_Lb1EPKbPbPKlPlN2at6native12_GLOBAL__N_18offset_tEEE10hipError_tPvRmT1_PNSt15iterator_traitsISK_E10value_typeET2_T3_PNSL_ISQ_E10value_typeET4_jRbjT5_SW_jjP12ihipStream_tbEUlT_E_NS1_11comp_targetILNS1_3genE10ELNS1_11target_archE1200ELNS1_3gpuE4ELNS1_3repE0EEENS1_30default_config_static_selectorELNS0_4arch9wavefront6targetE0EEEvSK_
		.amdhsa_group_segment_fixed_size 0
		.amdhsa_private_segment_fixed_size 0
		.amdhsa_kernarg_size 96
		.amdhsa_user_sgpr_count 6
		.amdhsa_user_sgpr_private_segment_buffer 1
		.amdhsa_user_sgpr_dispatch_ptr 0
		.amdhsa_user_sgpr_queue_ptr 0
		.amdhsa_user_sgpr_kernarg_segment_ptr 1
		.amdhsa_user_sgpr_dispatch_id 0
		.amdhsa_user_sgpr_flat_scratch_init 0
		.amdhsa_user_sgpr_private_segment_size 0
		.amdhsa_wavefront_size32 1
		.amdhsa_uses_dynamic_stack 0
		.amdhsa_system_sgpr_private_segment_wavefront_offset 0
		.amdhsa_system_sgpr_workgroup_id_x 1
		.amdhsa_system_sgpr_workgroup_id_y 0
		.amdhsa_system_sgpr_workgroup_id_z 0
		.amdhsa_system_sgpr_workgroup_info 0
		.amdhsa_system_vgpr_workitem_id 0
		.amdhsa_next_free_vgpr 1
		.amdhsa_next_free_sgpr 1
		.amdhsa_reserve_vcc 0
		.amdhsa_reserve_flat_scratch 0
		.amdhsa_float_round_mode_32 0
		.amdhsa_float_round_mode_16_64 0
		.amdhsa_float_denorm_mode_32 3
		.amdhsa_float_denorm_mode_16_64 3
		.amdhsa_dx10_clamp 1
		.amdhsa_ieee_mode 1
		.amdhsa_fp16_overflow 0
		.amdhsa_workgroup_processor_mode 1
		.amdhsa_memory_ordered 1
		.amdhsa_forward_progress 1
		.amdhsa_shared_vgpr_count 0
		.amdhsa_exception_fp_ieee_invalid_op 0
		.amdhsa_exception_fp_denorm_src 0
		.amdhsa_exception_fp_ieee_div_zero 0
		.amdhsa_exception_fp_ieee_overflow 0
		.amdhsa_exception_fp_ieee_underflow 0
		.amdhsa_exception_fp_ieee_inexact 0
		.amdhsa_exception_int_div_zero 0
	.end_amdhsa_kernel
	.section	.text._ZN7rocprim17ROCPRIM_400000_NS6detail17trampoline_kernelINS0_14default_configENS1_36segmented_radix_sort_config_selectorIblEEZNS1_25segmented_radix_sort_implIS3_Lb1EPKbPbPKlPlN2at6native12_GLOBAL__N_18offset_tEEE10hipError_tPvRmT1_PNSt15iterator_traitsISK_E10value_typeET2_T3_PNSL_ISQ_E10value_typeET4_jRbjT5_SW_jjP12ihipStream_tbEUlT_E_NS1_11comp_targetILNS1_3genE10ELNS1_11target_archE1200ELNS1_3gpuE4ELNS1_3repE0EEENS1_30default_config_static_selectorELNS0_4arch9wavefront6targetE0EEEvSK_,"axG",@progbits,_ZN7rocprim17ROCPRIM_400000_NS6detail17trampoline_kernelINS0_14default_configENS1_36segmented_radix_sort_config_selectorIblEEZNS1_25segmented_radix_sort_implIS3_Lb1EPKbPbPKlPlN2at6native12_GLOBAL__N_18offset_tEEE10hipError_tPvRmT1_PNSt15iterator_traitsISK_E10value_typeET2_T3_PNSL_ISQ_E10value_typeET4_jRbjT5_SW_jjP12ihipStream_tbEUlT_E_NS1_11comp_targetILNS1_3genE10ELNS1_11target_archE1200ELNS1_3gpuE4ELNS1_3repE0EEENS1_30default_config_static_selectorELNS0_4arch9wavefront6targetE0EEEvSK_,comdat
.Lfunc_end1530:
	.size	_ZN7rocprim17ROCPRIM_400000_NS6detail17trampoline_kernelINS0_14default_configENS1_36segmented_radix_sort_config_selectorIblEEZNS1_25segmented_radix_sort_implIS3_Lb1EPKbPbPKlPlN2at6native12_GLOBAL__N_18offset_tEEE10hipError_tPvRmT1_PNSt15iterator_traitsISK_E10value_typeET2_T3_PNSL_ISQ_E10value_typeET4_jRbjT5_SW_jjP12ihipStream_tbEUlT_E_NS1_11comp_targetILNS1_3genE10ELNS1_11target_archE1200ELNS1_3gpuE4ELNS1_3repE0EEENS1_30default_config_static_selectorELNS0_4arch9wavefront6targetE0EEEvSK_, .Lfunc_end1530-_ZN7rocprim17ROCPRIM_400000_NS6detail17trampoline_kernelINS0_14default_configENS1_36segmented_radix_sort_config_selectorIblEEZNS1_25segmented_radix_sort_implIS3_Lb1EPKbPbPKlPlN2at6native12_GLOBAL__N_18offset_tEEE10hipError_tPvRmT1_PNSt15iterator_traitsISK_E10value_typeET2_T3_PNSL_ISQ_E10value_typeET4_jRbjT5_SW_jjP12ihipStream_tbEUlT_E_NS1_11comp_targetILNS1_3genE10ELNS1_11target_archE1200ELNS1_3gpuE4ELNS1_3repE0EEENS1_30default_config_static_selectorELNS0_4arch9wavefront6targetE0EEEvSK_
                                        ; -- End function
	.set _ZN7rocprim17ROCPRIM_400000_NS6detail17trampoline_kernelINS0_14default_configENS1_36segmented_radix_sort_config_selectorIblEEZNS1_25segmented_radix_sort_implIS3_Lb1EPKbPbPKlPlN2at6native12_GLOBAL__N_18offset_tEEE10hipError_tPvRmT1_PNSt15iterator_traitsISK_E10value_typeET2_T3_PNSL_ISQ_E10value_typeET4_jRbjT5_SW_jjP12ihipStream_tbEUlT_E_NS1_11comp_targetILNS1_3genE10ELNS1_11target_archE1200ELNS1_3gpuE4ELNS1_3repE0EEENS1_30default_config_static_selectorELNS0_4arch9wavefront6targetE0EEEvSK_.num_vgpr, 0
	.set _ZN7rocprim17ROCPRIM_400000_NS6detail17trampoline_kernelINS0_14default_configENS1_36segmented_radix_sort_config_selectorIblEEZNS1_25segmented_radix_sort_implIS3_Lb1EPKbPbPKlPlN2at6native12_GLOBAL__N_18offset_tEEE10hipError_tPvRmT1_PNSt15iterator_traitsISK_E10value_typeET2_T3_PNSL_ISQ_E10value_typeET4_jRbjT5_SW_jjP12ihipStream_tbEUlT_E_NS1_11comp_targetILNS1_3genE10ELNS1_11target_archE1200ELNS1_3gpuE4ELNS1_3repE0EEENS1_30default_config_static_selectorELNS0_4arch9wavefront6targetE0EEEvSK_.num_agpr, 0
	.set _ZN7rocprim17ROCPRIM_400000_NS6detail17trampoline_kernelINS0_14default_configENS1_36segmented_radix_sort_config_selectorIblEEZNS1_25segmented_radix_sort_implIS3_Lb1EPKbPbPKlPlN2at6native12_GLOBAL__N_18offset_tEEE10hipError_tPvRmT1_PNSt15iterator_traitsISK_E10value_typeET2_T3_PNSL_ISQ_E10value_typeET4_jRbjT5_SW_jjP12ihipStream_tbEUlT_E_NS1_11comp_targetILNS1_3genE10ELNS1_11target_archE1200ELNS1_3gpuE4ELNS1_3repE0EEENS1_30default_config_static_selectorELNS0_4arch9wavefront6targetE0EEEvSK_.numbered_sgpr, 0
	.set _ZN7rocprim17ROCPRIM_400000_NS6detail17trampoline_kernelINS0_14default_configENS1_36segmented_radix_sort_config_selectorIblEEZNS1_25segmented_radix_sort_implIS3_Lb1EPKbPbPKlPlN2at6native12_GLOBAL__N_18offset_tEEE10hipError_tPvRmT1_PNSt15iterator_traitsISK_E10value_typeET2_T3_PNSL_ISQ_E10value_typeET4_jRbjT5_SW_jjP12ihipStream_tbEUlT_E_NS1_11comp_targetILNS1_3genE10ELNS1_11target_archE1200ELNS1_3gpuE4ELNS1_3repE0EEENS1_30default_config_static_selectorELNS0_4arch9wavefront6targetE0EEEvSK_.num_named_barrier, 0
	.set _ZN7rocprim17ROCPRIM_400000_NS6detail17trampoline_kernelINS0_14default_configENS1_36segmented_radix_sort_config_selectorIblEEZNS1_25segmented_radix_sort_implIS3_Lb1EPKbPbPKlPlN2at6native12_GLOBAL__N_18offset_tEEE10hipError_tPvRmT1_PNSt15iterator_traitsISK_E10value_typeET2_T3_PNSL_ISQ_E10value_typeET4_jRbjT5_SW_jjP12ihipStream_tbEUlT_E_NS1_11comp_targetILNS1_3genE10ELNS1_11target_archE1200ELNS1_3gpuE4ELNS1_3repE0EEENS1_30default_config_static_selectorELNS0_4arch9wavefront6targetE0EEEvSK_.private_seg_size, 0
	.set _ZN7rocprim17ROCPRIM_400000_NS6detail17trampoline_kernelINS0_14default_configENS1_36segmented_radix_sort_config_selectorIblEEZNS1_25segmented_radix_sort_implIS3_Lb1EPKbPbPKlPlN2at6native12_GLOBAL__N_18offset_tEEE10hipError_tPvRmT1_PNSt15iterator_traitsISK_E10value_typeET2_T3_PNSL_ISQ_E10value_typeET4_jRbjT5_SW_jjP12ihipStream_tbEUlT_E_NS1_11comp_targetILNS1_3genE10ELNS1_11target_archE1200ELNS1_3gpuE4ELNS1_3repE0EEENS1_30default_config_static_selectorELNS0_4arch9wavefront6targetE0EEEvSK_.uses_vcc, 0
	.set _ZN7rocprim17ROCPRIM_400000_NS6detail17trampoline_kernelINS0_14default_configENS1_36segmented_radix_sort_config_selectorIblEEZNS1_25segmented_radix_sort_implIS3_Lb1EPKbPbPKlPlN2at6native12_GLOBAL__N_18offset_tEEE10hipError_tPvRmT1_PNSt15iterator_traitsISK_E10value_typeET2_T3_PNSL_ISQ_E10value_typeET4_jRbjT5_SW_jjP12ihipStream_tbEUlT_E_NS1_11comp_targetILNS1_3genE10ELNS1_11target_archE1200ELNS1_3gpuE4ELNS1_3repE0EEENS1_30default_config_static_selectorELNS0_4arch9wavefront6targetE0EEEvSK_.uses_flat_scratch, 0
	.set _ZN7rocprim17ROCPRIM_400000_NS6detail17trampoline_kernelINS0_14default_configENS1_36segmented_radix_sort_config_selectorIblEEZNS1_25segmented_radix_sort_implIS3_Lb1EPKbPbPKlPlN2at6native12_GLOBAL__N_18offset_tEEE10hipError_tPvRmT1_PNSt15iterator_traitsISK_E10value_typeET2_T3_PNSL_ISQ_E10value_typeET4_jRbjT5_SW_jjP12ihipStream_tbEUlT_E_NS1_11comp_targetILNS1_3genE10ELNS1_11target_archE1200ELNS1_3gpuE4ELNS1_3repE0EEENS1_30default_config_static_selectorELNS0_4arch9wavefront6targetE0EEEvSK_.has_dyn_sized_stack, 0
	.set _ZN7rocprim17ROCPRIM_400000_NS6detail17trampoline_kernelINS0_14default_configENS1_36segmented_radix_sort_config_selectorIblEEZNS1_25segmented_radix_sort_implIS3_Lb1EPKbPbPKlPlN2at6native12_GLOBAL__N_18offset_tEEE10hipError_tPvRmT1_PNSt15iterator_traitsISK_E10value_typeET2_T3_PNSL_ISQ_E10value_typeET4_jRbjT5_SW_jjP12ihipStream_tbEUlT_E_NS1_11comp_targetILNS1_3genE10ELNS1_11target_archE1200ELNS1_3gpuE4ELNS1_3repE0EEENS1_30default_config_static_selectorELNS0_4arch9wavefront6targetE0EEEvSK_.has_recursion, 0
	.set _ZN7rocprim17ROCPRIM_400000_NS6detail17trampoline_kernelINS0_14default_configENS1_36segmented_radix_sort_config_selectorIblEEZNS1_25segmented_radix_sort_implIS3_Lb1EPKbPbPKlPlN2at6native12_GLOBAL__N_18offset_tEEE10hipError_tPvRmT1_PNSt15iterator_traitsISK_E10value_typeET2_T3_PNSL_ISQ_E10value_typeET4_jRbjT5_SW_jjP12ihipStream_tbEUlT_E_NS1_11comp_targetILNS1_3genE10ELNS1_11target_archE1200ELNS1_3gpuE4ELNS1_3repE0EEENS1_30default_config_static_selectorELNS0_4arch9wavefront6targetE0EEEvSK_.has_indirect_call, 0
	.section	.AMDGPU.csdata,"",@progbits
; Kernel info:
; codeLenInByte = 0
; TotalNumSgprs: 0
; NumVgprs: 0
; ScratchSize: 0
; MemoryBound: 0
; FloatMode: 240
; IeeeMode: 1
; LDSByteSize: 0 bytes/workgroup (compile time only)
; SGPRBlocks: 0
; VGPRBlocks: 0
; NumSGPRsForWavesPerEU: 1
; NumVGPRsForWavesPerEU: 1
; Occupancy: 16
; WaveLimiterHint : 0
; COMPUTE_PGM_RSRC2:SCRATCH_EN: 0
; COMPUTE_PGM_RSRC2:USER_SGPR: 6
; COMPUTE_PGM_RSRC2:TRAP_HANDLER: 0
; COMPUTE_PGM_RSRC2:TGID_X_EN: 1
; COMPUTE_PGM_RSRC2:TGID_Y_EN: 0
; COMPUTE_PGM_RSRC2:TGID_Z_EN: 0
; COMPUTE_PGM_RSRC2:TIDIG_COMP_CNT: 0
	.section	.text._ZN7rocprim17ROCPRIM_400000_NS6detail17trampoline_kernelINS0_14default_configENS1_36segmented_radix_sort_config_selectorIblEEZNS1_25segmented_radix_sort_implIS3_Lb1EPKbPbPKlPlN2at6native12_GLOBAL__N_18offset_tEEE10hipError_tPvRmT1_PNSt15iterator_traitsISK_E10value_typeET2_T3_PNSL_ISQ_E10value_typeET4_jRbjT5_SW_jjP12ihipStream_tbEUlT_E_NS1_11comp_targetILNS1_3genE9ELNS1_11target_archE1100ELNS1_3gpuE3ELNS1_3repE0EEENS1_30default_config_static_selectorELNS0_4arch9wavefront6targetE0EEEvSK_,"axG",@progbits,_ZN7rocprim17ROCPRIM_400000_NS6detail17trampoline_kernelINS0_14default_configENS1_36segmented_radix_sort_config_selectorIblEEZNS1_25segmented_radix_sort_implIS3_Lb1EPKbPbPKlPlN2at6native12_GLOBAL__N_18offset_tEEE10hipError_tPvRmT1_PNSt15iterator_traitsISK_E10value_typeET2_T3_PNSL_ISQ_E10value_typeET4_jRbjT5_SW_jjP12ihipStream_tbEUlT_E_NS1_11comp_targetILNS1_3genE9ELNS1_11target_archE1100ELNS1_3gpuE3ELNS1_3repE0EEENS1_30default_config_static_selectorELNS0_4arch9wavefront6targetE0EEEvSK_,comdat
	.globl	_ZN7rocprim17ROCPRIM_400000_NS6detail17trampoline_kernelINS0_14default_configENS1_36segmented_radix_sort_config_selectorIblEEZNS1_25segmented_radix_sort_implIS3_Lb1EPKbPbPKlPlN2at6native12_GLOBAL__N_18offset_tEEE10hipError_tPvRmT1_PNSt15iterator_traitsISK_E10value_typeET2_T3_PNSL_ISQ_E10value_typeET4_jRbjT5_SW_jjP12ihipStream_tbEUlT_E_NS1_11comp_targetILNS1_3genE9ELNS1_11target_archE1100ELNS1_3gpuE3ELNS1_3repE0EEENS1_30default_config_static_selectorELNS0_4arch9wavefront6targetE0EEEvSK_ ; -- Begin function _ZN7rocprim17ROCPRIM_400000_NS6detail17trampoline_kernelINS0_14default_configENS1_36segmented_radix_sort_config_selectorIblEEZNS1_25segmented_radix_sort_implIS3_Lb1EPKbPbPKlPlN2at6native12_GLOBAL__N_18offset_tEEE10hipError_tPvRmT1_PNSt15iterator_traitsISK_E10value_typeET2_T3_PNSL_ISQ_E10value_typeET4_jRbjT5_SW_jjP12ihipStream_tbEUlT_E_NS1_11comp_targetILNS1_3genE9ELNS1_11target_archE1100ELNS1_3gpuE3ELNS1_3repE0EEENS1_30default_config_static_selectorELNS0_4arch9wavefront6targetE0EEEvSK_
	.p2align	8
	.type	_ZN7rocprim17ROCPRIM_400000_NS6detail17trampoline_kernelINS0_14default_configENS1_36segmented_radix_sort_config_selectorIblEEZNS1_25segmented_radix_sort_implIS3_Lb1EPKbPbPKlPlN2at6native12_GLOBAL__N_18offset_tEEE10hipError_tPvRmT1_PNSt15iterator_traitsISK_E10value_typeET2_T3_PNSL_ISQ_E10value_typeET4_jRbjT5_SW_jjP12ihipStream_tbEUlT_E_NS1_11comp_targetILNS1_3genE9ELNS1_11target_archE1100ELNS1_3gpuE3ELNS1_3repE0EEENS1_30default_config_static_selectorELNS0_4arch9wavefront6targetE0EEEvSK_,@function
_ZN7rocprim17ROCPRIM_400000_NS6detail17trampoline_kernelINS0_14default_configENS1_36segmented_radix_sort_config_selectorIblEEZNS1_25segmented_radix_sort_implIS3_Lb1EPKbPbPKlPlN2at6native12_GLOBAL__N_18offset_tEEE10hipError_tPvRmT1_PNSt15iterator_traitsISK_E10value_typeET2_T3_PNSL_ISQ_E10value_typeET4_jRbjT5_SW_jjP12ihipStream_tbEUlT_E_NS1_11comp_targetILNS1_3genE9ELNS1_11target_archE1100ELNS1_3gpuE3ELNS1_3repE0EEENS1_30default_config_static_selectorELNS0_4arch9wavefront6targetE0EEEvSK_: ; @_ZN7rocprim17ROCPRIM_400000_NS6detail17trampoline_kernelINS0_14default_configENS1_36segmented_radix_sort_config_selectorIblEEZNS1_25segmented_radix_sort_implIS3_Lb1EPKbPbPKlPlN2at6native12_GLOBAL__N_18offset_tEEE10hipError_tPvRmT1_PNSt15iterator_traitsISK_E10value_typeET2_T3_PNSL_ISQ_E10value_typeET4_jRbjT5_SW_jjP12ihipStream_tbEUlT_E_NS1_11comp_targetILNS1_3genE9ELNS1_11target_archE1100ELNS1_3gpuE3ELNS1_3repE0EEENS1_30default_config_static_selectorELNS0_4arch9wavefront6targetE0EEEvSK_
; %bb.0:
	.section	.rodata,"a",@progbits
	.p2align	6, 0x0
	.amdhsa_kernel _ZN7rocprim17ROCPRIM_400000_NS6detail17trampoline_kernelINS0_14default_configENS1_36segmented_radix_sort_config_selectorIblEEZNS1_25segmented_radix_sort_implIS3_Lb1EPKbPbPKlPlN2at6native12_GLOBAL__N_18offset_tEEE10hipError_tPvRmT1_PNSt15iterator_traitsISK_E10value_typeET2_T3_PNSL_ISQ_E10value_typeET4_jRbjT5_SW_jjP12ihipStream_tbEUlT_E_NS1_11comp_targetILNS1_3genE9ELNS1_11target_archE1100ELNS1_3gpuE3ELNS1_3repE0EEENS1_30default_config_static_selectorELNS0_4arch9wavefront6targetE0EEEvSK_
		.amdhsa_group_segment_fixed_size 0
		.amdhsa_private_segment_fixed_size 0
		.amdhsa_kernarg_size 96
		.amdhsa_user_sgpr_count 6
		.amdhsa_user_sgpr_private_segment_buffer 1
		.amdhsa_user_sgpr_dispatch_ptr 0
		.amdhsa_user_sgpr_queue_ptr 0
		.amdhsa_user_sgpr_kernarg_segment_ptr 1
		.amdhsa_user_sgpr_dispatch_id 0
		.amdhsa_user_sgpr_flat_scratch_init 0
		.amdhsa_user_sgpr_private_segment_size 0
		.amdhsa_wavefront_size32 1
		.amdhsa_uses_dynamic_stack 0
		.amdhsa_system_sgpr_private_segment_wavefront_offset 0
		.amdhsa_system_sgpr_workgroup_id_x 1
		.amdhsa_system_sgpr_workgroup_id_y 0
		.amdhsa_system_sgpr_workgroup_id_z 0
		.amdhsa_system_sgpr_workgroup_info 0
		.amdhsa_system_vgpr_workitem_id 0
		.amdhsa_next_free_vgpr 1
		.amdhsa_next_free_sgpr 1
		.amdhsa_reserve_vcc 0
		.amdhsa_reserve_flat_scratch 0
		.amdhsa_float_round_mode_32 0
		.amdhsa_float_round_mode_16_64 0
		.amdhsa_float_denorm_mode_32 3
		.amdhsa_float_denorm_mode_16_64 3
		.amdhsa_dx10_clamp 1
		.amdhsa_ieee_mode 1
		.amdhsa_fp16_overflow 0
		.amdhsa_workgroup_processor_mode 1
		.amdhsa_memory_ordered 1
		.amdhsa_forward_progress 1
		.amdhsa_shared_vgpr_count 0
		.amdhsa_exception_fp_ieee_invalid_op 0
		.amdhsa_exception_fp_denorm_src 0
		.amdhsa_exception_fp_ieee_div_zero 0
		.amdhsa_exception_fp_ieee_overflow 0
		.amdhsa_exception_fp_ieee_underflow 0
		.amdhsa_exception_fp_ieee_inexact 0
		.amdhsa_exception_int_div_zero 0
	.end_amdhsa_kernel
	.section	.text._ZN7rocprim17ROCPRIM_400000_NS6detail17trampoline_kernelINS0_14default_configENS1_36segmented_radix_sort_config_selectorIblEEZNS1_25segmented_radix_sort_implIS3_Lb1EPKbPbPKlPlN2at6native12_GLOBAL__N_18offset_tEEE10hipError_tPvRmT1_PNSt15iterator_traitsISK_E10value_typeET2_T3_PNSL_ISQ_E10value_typeET4_jRbjT5_SW_jjP12ihipStream_tbEUlT_E_NS1_11comp_targetILNS1_3genE9ELNS1_11target_archE1100ELNS1_3gpuE3ELNS1_3repE0EEENS1_30default_config_static_selectorELNS0_4arch9wavefront6targetE0EEEvSK_,"axG",@progbits,_ZN7rocprim17ROCPRIM_400000_NS6detail17trampoline_kernelINS0_14default_configENS1_36segmented_radix_sort_config_selectorIblEEZNS1_25segmented_radix_sort_implIS3_Lb1EPKbPbPKlPlN2at6native12_GLOBAL__N_18offset_tEEE10hipError_tPvRmT1_PNSt15iterator_traitsISK_E10value_typeET2_T3_PNSL_ISQ_E10value_typeET4_jRbjT5_SW_jjP12ihipStream_tbEUlT_E_NS1_11comp_targetILNS1_3genE9ELNS1_11target_archE1100ELNS1_3gpuE3ELNS1_3repE0EEENS1_30default_config_static_selectorELNS0_4arch9wavefront6targetE0EEEvSK_,comdat
.Lfunc_end1531:
	.size	_ZN7rocprim17ROCPRIM_400000_NS6detail17trampoline_kernelINS0_14default_configENS1_36segmented_radix_sort_config_selectorIblEEZNS1_25segmented_radix_sort_implIS3_Lb1EPKbPbPKlPlN2at6native12_GLOBAL__N_18offset_tEEE10hipError_tPvRmT1_PNSt15iterator_traitsISK_E10value_typeET2_T3_PNSL_ISQ_E10value_typeET4_jRbjT5_SW_jjP12ihipStream_tbEUlT_E_NS1_11comp_targetILNS1_3genE9ELNS1_11target_archE1100ELNS1_3gpuE3ELNS1_3repE0EEENS1_30default_config_static_selectorELNS0_4arch9wavefront6targetE0EEEvSK_, .Lfunc_end1531-_ZN7rocprim17ROCPRIM_400000_NS6detail17trampoline_kernelINS0_14default_configENS1_36segmented_radix_sort_config_selectorIblEEZNS1_25segmented_radix_sort_implIS3_Lb1EPKbPbPKlPlN2at6native12_GLOBAL__N_18offset_tEEE10hipError_tPvRmT1_PNSt15iterator_traitsISK_E10value_typeET2_T3_PNSL_ISQ_E10value_typeET4_jRbjT5_SW_jjP12ihipStream_tbEUlT_E_NS1_11comp_targetILNS1_3genE9ELNS1_11target_archE1100ELNS1_3gpuE3ELNS1_3repE0EEENS1_30default_config_static_selectorELNS0_4arch9wavefront6targetE0EEEvSK_
                                        ; -- End function
	.set _ZN7rocprim17ROCPRIM_400000_NS6detail17trampoline_kernelINS0_14default_configENS1_36segmented_radix_sort_config_selectorIblEEZNS1_25segmented_radix_sort_implIS3_Lb1EPKbPbPKlPlN2at6native12_GLOBAL__N_18offset_tEEE10hipError_tPvRmT1_PNSt15iterator_traitsISK_E10value_typeET2_T3_PNSL_ISQ_E10value_typeET4_jRbjT5_SW_jjP12ihipStream_tbEUlT_E_NS1_11comp_targetILNS1_3genE9ELNS1_11target_archE1100ELNS1_3gpuE3ELNS1_3repE0EEENS1_30default_config_static_selectorELNS0_4arch9wavefront6targetE0EEEvSK_.num_vgpr, 0
	.set _ZN7rocprim17ROCPRIM_400000_NS6detail17trampoline_kernelINS0_14default_configENS1_36segmented_radix_sort_config_selectorIblEEZNS1_25segmented_radix_sort_implIS3_Lb1EPKbPbPKlPlN2at6native12_GLOBAL__N_18offset_tEEE10hipError_tPvRmT1_PNSt15iterator_traitsISK_E10value_typeET2_T3_PNSL_ISQ_E10value_typeET4_jRbjT5_SW_jjP12ihipStream_tbEUlT_E_NS1_11comp_targetILNS1_3genE9ELNS1_11target_archE1100ELNS1_3gpuE3ELNS1_3repE0EEENS1_30default_config_static_selectorELNS0_4arch9wavefront6targetE0EEEvSK_.num_agpr, 0
	.set _ZN7rocprim17ROCPRIM_400000_NS6detail17trampoline_kernelINS0_14default_configENS1_36segmented_radix_sort_config_selectorIblEEZNS1_25segmented_radix_sort_implIS3_Lb1EPKbPbPKlPlN2at6native12_GLOBAL__N_18offset_tEEE10hipError_tPvRmT1_PNSt15iterator_traitsISK_E10value_typeET2_T3_PNSL_ISQ_E10value_typeET4_jRbjT5_SW_jjP12ihipStream_tbEUlT_E_NS1_11comp_targetILNS1_3genE9ELNS1_11target_archE1100ELNS1_3gpuE3ELNS1_3repE0EEENS1_30default_config_static_selectorELNS0_4arch9wavefront6targetE0EEEvSK_.numbered_sgpr, 0
	.set _ZN7rocprim17ROCPRIM_400000_NS6detail17trampoline_kernelINS0_14default_configENS1_36segmented_radix_sort_config_selectorIblEEZNS1_25segmented_radix_sort_implIS3_Lb1EPKbPbPKlPlN2at6native12_GLOBAL__N_18offset_tEEE10hipError_tPvRmT1_PNSt15iterator_traitsISK_E10value_typeET2_T3_PNSL_ISQ_E10value_typeET4_jRbjT5_SW_jjP12ihipStream_tbEUlT_E_NS1_11comp_targetILNS1_3genE9ELNS1_11target_archE1100ELNS1_3gpuE3ELNS1_3repE0EEENS1_30default_config_static_selectorELNS0_4arch9wavefront6targetE0EEEvSK_.num_named_barrier, 0
	.set _ZN7rocprim17ROCPRIM_400000_NS6detail17trampoline_kernelINS0_14default_configENS1_36segmented_radix_sort_config_selectorIblEEZNS1_25segmented_radix_sort_implIS3_Lb1EPKbPbPKlPlN2at6native12_GLOBAL__N_18offset_tEEE10hipError_tPvRmT1_PNSt15iterator_traitsISK_E10value_typeET2_T3_PNSL_ISQ_E10value_typeET4_jRbjT5_SW_jjP12ihipStream_tbEUlT_E_NS1_11comp_targetILNS1_3genE9ELNS1_11target_archE1100ELNS1_3gpuE3ELNS1_3repE0EEENS1_30default_config_static_selectorELNS0_4arch9wavefront6targetE0EEEvSK_.private_seg_size, 0
	.set _ZN7rocprim17ROCPRIM_400000_NS6detail17trampoline_kernelINS0_14default_configENS1_36segmented_radix_sort_config_selectorIblEEZNS1_25segmented_radix_sort_implIS3_Lb1EPKbPbPKlPlN2at6native12_GLOBAL__N_18offset_tEEE10hipError_tPvRmT1_PNSt15iterator_traitsISK_E10value_typeET2_T3_PNSL_ISQ_E10value_typeET4_jRbjT5_SW_jjP12ihipStream_tbEUlT_E_NS1_11comp_targetILNS1_3genE9ELNS1_11target_archE1100ELNS1_3gpuE3ELNS1_3repE0EEENS1_30default_config_static_selectorELNS0_4arch9wavefront6targetE0EEEvSK_.uses_vcc, 0
	.set _ZN7rocprim17ROCPRIM_400000_NS6detail17trampoline_kernelINS0_14default_configENS1_36segmented_radix_sort_config_selectorIblEEZNS1_25segmented_radix_sort_implIS3_Lb1EPKbPbPKlPlN2at6native12_GLOBAL__N_18offset_tEEE10hipError_tPvRmT1_PNSt15iterator_traitsISK_E10value_typeET2_T3_PNSL_ISQ_E10value_typeET4_jRbjT5_SW_jjP12ihipStream_tbEUlT_E_NS1_11comp_targetILNS1_3genE9ELNS1_11target_archE1100ELNS1_3gpuE3ELNS1_3repE0EEENS1_30default_config_static_selectorELNS0_4arch9wavefront6targetE0EEEvSK_.uses_flat_scratch, 0
	.set _ZN7rocprim17ROCPRIM_400000_NS6detail17trampoline_kernelINS0_14default_configENS1_36segmented_radix_sort_config_selectorIblEEZNS1_25segmented_radix_sort_implIS3_Lb1EPKbPbPKlPlN2at6native12_GLOBAL__N_18offset_tEEE10hipError_tPvRmT1_PNSt15iterator_traitsISK_E10value_typeET2_T3_PNSL_ISQ_E10value_typeET4_jRbjT5_SW_jjP12ihipStream_tbEUlT_E_NS1_11comp_targetILNS1_3genE9ELNS1_11target_archE1100ELNS1_3gpuE3ELNS1_3repE0EEENS1_30default_config_static_selectorELNS0_4arch9wavefront6targetE0EEEvSK_.has_dyn_sized_stack, 0
	.set _ZN7rocprim17ROCPRIM_400000_NS6detail17trampoline_kernelINS0_14default_configENS1_36segmented_radix_sort_config_selectorIblEEZNS1_25segmented_radix_sort_implIS3_Lb1EPKbPbPKlPlN2at6native12_GLOBAL__N_18offset_tEEE10hipError_tPvRmT1_PNSt15iterator_traitsISK_E10value_typeET2_T3_PNSL_ISQ_E10value_typeET4_jRbjT5_SW_jjP12ihipStream_tbEUlT_E_NS1_11comp_targetILNS1_3genE9ELNS1_11target_archE1100ELNS1_3gpuE3ELNS1_3repE0EEENS1_30default_config_static_selectorELNS0_4arch9wavefront6targetE0EEEvSK_.has_recursion, 0
	.set _ZN7rocprim17ROCPRIM_400000_NS6detail17trampoline_kernelINS0_14default_configENS1_36segmented_radix_sort_config_selectorIblEEZNS1_25segmented_radix_sort_implIS3_Lb1EPKbPbPKlPlN2at6native12_GLOBAL__N_18offset_tEEE10hipError_tPvRmT1_PNSt15iterator_traitsISK_E10value_typeET2_T3_PNSL_ISQ_E10value_typeET4_jRbjT5_SW_jjP12ihipStream_tbEUlT_E_NS1_11comp_targetILNS1_3genE9ELNS1_11target_archE1100ELNS1_3gpuE3ELNS1_3repE0EEENS1_30default_config_static_selectorELNS0_4arch9wavefront6targetE0EEEvSK_.has_indirect_call, 0
	.section	.AMDGPU.csdata,"",@progbits
; Kernel info:
; codeLenInByte = 0
; TotalNumSgprs: 0
; NumVgprs: 0
; ScratchSize: 0
; MemoryBound: 0
; FloatMode: 240
; IeeeMode: 1
; LDSByteSize: 0 bytes/workgroup (compile time only)
; SGPRBlocks: 0
; VGPRBlocks: 0
; NumSGPRsForWavesPerEU: 1
; NumVGPRsForWavesPerEU: 1
; Occupancy: 16
; WaveLimiterHint : 0
; COMPUTE_PGM_RSRC2:SCRATCH_EN: 0
; COMPUTE_PGM_RSRC2:USER_SGPR: 6
; COMPUTE_PGM_RSRC2:TRAP_HANDLER: 0
; COMPUTE_PGM_RSRC2:TGID_X_EN: 1
; COMPUTE_PGM_RSRC2:TGID_Y_EN: 0
; COMPUTE_PGM_RSRC2:TGID_Z_EN: 0
; COMPUTE_PGM_RSRC2:TIDIG_COMP_CNT: 0
	.text
	.p2align	2                               ; -- Begin function _ZN7rocprim17ROCPRIM_400000_NS6detail40segmented_radix_sort_single_block_helperIblLj256ELj17ELb1EE4sortIPKbPbPKlPlEEbT_T0_T1_T2_jjjjRNS3_12storage_typeE
	.type	_ZN7rocprim17ROCPRIM_400000_NS6detail40segmented_radix_sort_single_block_helperIblLj256ELj17ELb1EE4sortIPKbPbPKlPlEEbT_T0_T1_T2_jjjjRNS3_12storage_typeE,@function
_ZN7rocprim17ROCPRIM_400000_NS6detail40segmented_radix_sort_single_block_helperIblLj256ELj17ELb1EE4sortIPKbPbPKlPlEEbT_T0_T1_T2_jjjjRNS3_12storage_typeE: ; @_ZN7rocprim17ROCPRIM_400000_NS6detail40segmented_radix_sort_single_block_helperIblLj256ELj17ELb1EE4sortIPKbPbPKlPlEEbT_T0_T1_T2_jjjjRNS3_12storage_typeE
; %bb.0:
	s_waitcnt vmcnt(0) expcnt(0) lgkmcnt(0)
	buffer_store_dword v40, off, s[0:3], s32 offset:248 ; 4-byte Folded Spill
	buffer_store_dword v41, off, s[0:3], s32 offset:244 ; 4-byte Folded Spill
	;; [unrolled: 1-line block ×62, first 2 shown]
	buffer_store_dword v158, off, s[0:3], s32 ; 4-byte Folded Spill
	v_sub_nc_u32_e32 v167, v9, v8
	s_mov_b32 s25, exec_lo
	v_cmpx_gt_u32_e32 0x1101, v167
	s_cbranch_execz .LBB1532_382
; %bb.1:
	v_bfe_u32 v14, v31, 10, 10
	v_bfe_u32 v15, v31, 20, 10
	v_and_b32_e32 v24, 0x3ff, v31
	v_mbcnt_lo_u32_b32 v31, -1, 0
	s_mov_b32 s4, exec_lo
	v_cmpx_lt_u32_e32 0x800, v167
	s_xor_b32 s26, exec_lo, s4
	s_cbranch_execz .LBB1532_151
; %bb.2:
	s_load_dwordx2 s[4:5], s[8:9], 0x0
	v_mov_b32_e32 v9, 0
	v_add_co_u32 v0, vcc_lo, v0, v8
	v_add_co_ci_u32_e64 v1, null, 0, v1, vcc_lo
	v_mov_b32_e32 v20, v9
	v_add_co_u32 v0, vcc_lo, v0, v31
	v_add_co_ci_u32_e64 v1, null, 0, v1, vcc_lo
	v_mov_b32_e32 v19, v9
	v_mov_b32_e32 v18, v9
	s_waitcnt lgkmcnt(0)
	s_cmp_lt_u32 s13, s5
	s_cselect_b32 s5, 14, 20
	s_add_u32 s6, s8, s5
	s_addc_u32 s7, s9, 0
	s_cmp_lt_u32 s12, s4
	global_load_ushort v16, v9, s[6:7]
	s_cselect_b32 s4, 12, 18
	s_add_u32 s4, s8, s4
	s_addc_u32 s5, s9, 0
	global_load_ushort v17, v9, s[4:5]
	s_waitcnt vmcnt(1)
	v_mad_u32_u24 v14, v15, v16, v14
	v_mov_b32_e32 v15, v9
	v_mov_b32_e32 v16, v9
	s_waitcnt vmcnt(0)
	v_mad_u64_u32 v[37:38], null, v14, v17, v[24:25]
	v_mov_b32_e32 v17, v9
	v_and_b32_e32 v14, 0xffffffe0, v37
	v_lshl_add_u32 v14, v14, 4, v14
	v_or_b32_e32 v21, v14, v31
	v_add_co_u32 v0, vcc_lo, v0, v14
	v_add_co_ci_u32_e64 v1, null, 0, v1, vcc_lo
	v_cmp_lt_u32_e32 vcc_lo, v21, v167
	s_and_saveexec_b32 s4, vcc_lo
	s_cbranch_execz .LBB1532_4
; %bb.3:
	flat_load_ubyte v20, v[0:1]
	v_mov_b32_e32 v19, v9
	v_mov_b32_e32 v18, v9
	;; [unrolled: 1-line block ×4, first 2 shown]
.LBB1532_4:
	s_or_b32 exec_lo, exec_lo, s4
	v_add_nc_u32_e32 v22, 32, v21
	v_cmp_lt_u32_e64 s4, v22, v167
	s_and_saveexec_b32 s5, s4
	s_cbranch_execz .LBB1532_6
; %bb.5:
	flat_load_ubyte v22, v[0:1] offset:32
	v_and_b32_e32 v16, 0xff, v16
	s_waitcnt vmcnt(0) lgkmcnt(0)
	v_perm_b32 v20, v20, v22, 0x7060004
.LBB1532_6:
	s_or_b32 exec_lo, exec_lo, s5
	v_add_nc_u32_e32 v22, 64, v21
	v_cmp_lt_u32_e64 s5, v22, v167
	s_and_saveexec_b32 s6, s5
	s_cbranch_execz .LBB1532_8
; %bb.7:
	flat_load_ubyte v22, v[0:1] offset:64
	v_and_b32_e32 v16, 0xff, v16
	s_waitcnt vmcnt(0) lgkmcnt(0)
	v_perm_b32 v20, v20, v22, 0x7000504
.LBB1532_8:
	;; [unrolled: 11-line block ×15, first 2 shown]
	s_or_b32 exec_lo, exec_lo, s23
	v_add_nc_u32_e32 v21, 0x200, v21
	v_cmp_lt_u32_e64 s23, v21, v167
	s_and_saveexec_b32 s24, s23
	s_cbranch_execz .LBB1532_36
; %bb.35:
	flat_load_ubyte v16, v[0:1] offset:512
.LBB1532_36:
	s_or_b32 exec_lo, exec_lo, s24
	v_lshlrev_b64 v[0:1], 3, v[8:9]
	v_lshlrev_b32_e32 v9, 3, v31
                                        ; implicit-def: $vgpr86_vgpr87
	v_add_co_u32 v21, s24, v4, v0
	v_add_co_ci_u32_e64 v22, null, v5, v1, s24
	v_lshlrev_b64 v[4:5], 3, v[14:15]
	v_add_co_u32 v9, s24, v21, v9
	v_add_co_ci_u32_e64 v14, null, 0, v22, s24
	v_add_co_u32 v4, s24, v9, v4
	v_add_co_ci_u32_e64 v5, null, v14, v5, s24
	s_and_saveexec_b32 s24, vcc_lo
	s_cbranch_execnz .LBB1532_204
; %bb.37:
	s_or_b32 exec_lo, exec_lo, s24
                                        ; implicit-def: $vgpr96_vgpr97
	s_and_saveexec_b32 s24, s4
	s_cbranch_execnz .LBB1532_205
.LBB1532_38:
	s_or_b32 exec_lo, exec_lo, s24
                                        ; implicit-def: $vgpr98_vgpr99
	s_and_saveexec_b32 s4, s5
	s_cbranch_execnz .LBB1532_206
.LBB1532_39:
	s_or_b32 exec_lo, exec_lo, s4
                                        ; implicit-def: $vgpr100_vgpr101
	s_and_saveexec_b32 s4, s6
	s_cbranch_execnz .LBB1532_207
.LBB1532_40:
	s_or_b32 exec_lo, exec_lo, s4
                                        ; implicit-def: $vgpr102_vgpr103
	s_and_saveexec_b32 s4, s7
	s_cbranch_execnz .LBB1532_208
.LBB1532_41:
	s_or_b32 exec_lo, exec_lo, s4
                                        ; implicit-def: $vgpr112_vgpr113
	s_and_saveexec_b32 s4, s10
	s_cbranch_execnz .LBB1532_209
.LBB1532_42:
	s_or_b32 exec_lo, exec_lo, s4
                                        ; implicit-def: $vgpr114_vgpr115
	s_and_saveexec_b32 s4, s11
	s_cbranch_execnz .LBB1532_210
.LBB1532_43:
	s_or_b32 exec_lo, exec_lo, s4
                                        ; implicit-def: $vgpr116_vgpr117
	s_and_saveexec_b32 s4, s14
	s_cbranch_execnz .LBB1532_211
.LBB1532_44:
	s_or_b32 exec_lo, exec_lo, s4
                                        ; implicit-def: $vgpr118_vgpr119
	s_and_saveexec_b32 s4, s15
	s_cbranch_execnz .LBB1532_212
.LBB1532_45:
	s_or_b32 exec_lo, exec_lo, s4
                                        ; implicit-def: $vgpr128_vgpr129
	s_and_saveexec_b32 s4, s16
	s_cbranch_execnz .LBB1532_213
.LBB1532_46:
	s_or_b32 exec_lo, exec_lo, s4
                                        ; implicit-def: $vgpr130_vgpr131
	s_and_saveexec_b32 s4, s17
	s_cbranch_execnz .LBB1532_214
.LBB1532_47:
	s_or_b32 exec_lo, exec_lo, s4
                                        ; implicit-def: $vgpr132_vgpr133
	s_and_saveexec_b32 s4, s18
	s_cbranch_execnz .LBB1532_215
.LBB1532_48:
	s_or_b32 exec_lo, exec_lo, s4
                                        ; implicit-def: $vgpr134_vgpr135
	s_and_saveexec_b32 s4, s19
	s_cbranch_execnz .LBB1532_216
.LBB1532_49:
	s_or_b32 exec_lo, exec_lo, s4
                                        ; implicit-def: $vgpr144_vgpr145
	s_and_saveexec_b32 s4, s20
	s_cbranch_execnz .LBB1532_217
.LBB1532_50:
	s_or_b32 exec_lo, exec_lo, s4
                                        ; implicit-def: $vgpr146_vgpr147
	s_and_saveexec_b32 s4, s21
	s_cbranch_execnz .LBB1532_218
.LBB1532_51:
	s_or_b32 exec_lo, exec_lo, s4
                                        ; implicit-def: $vgpr148_vgpr149
	s_and_saveexec_b32 s4, s22
	s_cbranch_execnz .LBB1532_219
.LBB1532_52:
	s_or_b32 exec_lo, exec_lo, s4
                                        ; implicit-def: $vgpr161_vgpr162
	s_and_saveexec_b32 s4, s23
	s_cbranch_execz .LBB1532_54
.LBB1532_53:
	v_add_co_u32 v4, vcc_lo, 0x1000, v4
	v_add_co_ci_u32_e64 v5, null, 0, v5, vcc_lo
	flat_load_dwordx2 v[161:162], v[4:5]
.LBB1532_54:
	s_or_b32 exec_lo, exec_lo, s4
	v_mov_b32_e32 v4, 1
	s_waitcnt vmcnt(0) lgkmcnt(0)
	v_and_b32_e32 v5, 1, v20
	v_and_b32_e32 v23, 1, v18
	;; [unrolled: 1-line block ×4, first 2 shown]
	v_and_b32_sdwa v15, v4, v20 dst_sel:DWORD dst_unused:UNUSED_PAD src0_sel:DWORD src1_sel:BYTE_1
	v_cmp_ne_u32_e32 vcc_lo, 1, v5
	v_and_b32_sdwa v22, v4, v20 dst_sel:DWORD dst_unused:UNUSED_PAD src0_sel:DWORD src1_sel:WORD_1
	v_and_b32_sdwa v14, v4, v18 dst_sel:DWORD dst_unused:UNUSED_PAD src0_sel:DWORD src1_sel:BYTE_1
	v_and_b32_sdwa v21, v4, v19 dst_sel:DWORD dst_unused:UNUSED_PAD src0_sel:DWORD src1_sel:BYTE_1
	v_and_b32_sdwa v25, v4, v18 dst_sel:DWORD dst_unused:UNUSED_PAD src0_sel:DWORD src1_sel:WORD_1
	v_cndmask_b32_e64 v5, 0, 1, vcc_lo
	v_cmp_eq_u32_e32 vcc_lo, 1, v15
	v_and_b32_sdwa v15, v4, v20 dst_sel:DWORD dst_unused:UNUSED_PAD src0_sel:DWORD src1_sel:BYTE_3
	v_cmp_eq_u32_e64 s5, 1, v14
	v_and_b32_e32 v14, 1, v19
	v_cmp_eq_u32_e64 s6, 1, v21
	s_xor_b32 s7, vcc_lo, -1
	v_cmp_ne_u32_e32 vcc_lo, 1, v22
	v_and_b32_sdwa v21, v4, v19 dst_sel:DWORD dst_unused:UNUSED_PAD src0_sel:DWORD src1_sel:WORD_1
	v_and_b32_sdwa v19, v4, v19 dst_sel:DWORD dst_unused:UNUSED_PAD src0_sel:DWORD src1_sel:BYTE_3
	v_and_b32_sdwa v18, v4, v18 dst_sel:DWORD dst_unused:UNUSED_PAD src0_sel:DWORD src1_sel:BYTE_3
	;; [unrolled: 1-line block ×3, first 2 shown]
	v_cndmask_b32_e64 v20, 0, 1, vcc_lo
	v_cmp_ne_u32_e32 vcc_lo, 1, v15
	v_and_b32_sdwa v9, v4, v17 dst_sel:DWORD dst_unused:UNUSED_PAD src0_sel:DWORD src1_sel:BYTE_1
	v_and_b32_sdwa v4, v4, v17 dst_sel:DWORD dst_unused:UNUSED_PAD src0_sel:DWORD src1_sel:WORD_1
	s_xor_b32 s6, s6, -1
	s_xor_b32 s5, s5, -1
	v_cndmask_b32_e64 v15, 0, 1, vcc_lo
	v_cmp_ne_u32_e32 vcc_lo, 1, v14
	v_cmp_eq_u32_e64 s4, 1, v9
	v_cndmask_b32_e64 v9, 0, 1, s7
	v_cndmask_b32_e64 v22, 0, 1, s6
	;; [unrolled: 1-line block ×3, first 2 shown]
	v_cndmask_b32_e64 v14, 0, 1, vcc_lo
	v_cmp_ne_u32_e32 vcc_lo, 1, v21
	s_xor_b32 s4, s4, -1
	v_lshlrev_b16 v22, 8, v22
	v_lshlrev_b16 v15, 8, v15
	;; [unrolled: 1-line block ×3, first 2 shown]
	v_cndmask_b32_e64 v21, 0, 1, vcc_lo
	v_cmp_ne_u32_e32 vcc_lo, 1, v19
	v_or_b32_e32 v14, v14, v22
	v_lshrrev_b32_e32 v244, 5, v37
	v_or_b32_e32 v5, v5, v9
	v_cmp_gt_u32_e64 s14, 8, v24
	v_cndmask_b32_e64 v19, 0, 1, vcc_lo
	v_cmp_ne_u32_e32 vcc_lo, 1, v23
	v_cmp_lt_u32_e64 s15, 31, v24
	v_cmp_eq_u32_e64 s16, 0, v24
	v_mov_b32_e32 v247, 0
	v_lshlrev_b16 v19, 8, v19
	v_cndmask_b32_e64 v23, 0, 1, vcc_lo
	v_cmp_ne_u32_e32 vcc_lo, 1, v25
	v_lshl_add_u32 v40, v24, 2, v12
	v_sub_nc_u32_e32 v77, v11, v10
	v_or_b32_sdwa v19, v21, v19 dst_sel:WORD_1 dst_unused:UNUSED_PAD src0_sel:DWORD src1_sel:DWORD
	s_mov_b32 s23, 0
	v_cndmask_b32_e64 v25, 0, 1, vcc_lo
	v_cmp_ne_u32_e32 vcc_lo, 1, v18
	s_waitcnt_vscnt null, 0x0
	s_barrier
	buffer_gl0_inv
	v_cndmask_b32_e64 v18, 0, 1, vcc_lo
	v_cmp_ne_u32_e32 vcc_lo, 1, v27
	v_cndmask_b32_e64 v27, 0, 1, s4
	s_getpc_b64 s[4:5]
	s_add_u32 s4, s4, _ZN7rocprim17ROCPRIM_400000_NS16block_radix_sortIbLj256ELj17ElLj1ELj1ELj8ELNS0_26block_radix_rank_algorithmE2ELNS0_18block_padding_hintE2ELNS0_4arch9wavefront6targetE0EE19radix_bits_per_passE@rel32@lo+4
	s_addc_u32 s5, s5, _ZN7rocprim17ROCPRIM_400000_NS16block_radix_sortIbLj256ELj17ElLj1ELj1ELj8ELNS0_26block_radix_rank_algorithmE2ELNS0_18block_padding_hintE2ELNS0_4arch9wavefront6targetE0EE19radix_bits_per_passE@rel32@hi+12
	s_load_dword s22, s[4:5], 0x0
	v_cndmask_b32_e64 v17, 0, 1, vcc_lo
	v_cmp_ne_u32_e32 vcc_lo, 1, v4
	v_lshlrev_b16 v27, 8, v27
	v_lshlrev_b16 v18, 8, v18
	;; [unrolled: 1-line block ×3, first 2 shown]
	v_cndmask_b32_e64 v4, 0, 1, vcc_lo
	v_cmp_ne_u32_e32 vcc_lo, 1, v28
	v_or_b32_sdwa v18, v25, v18 dst_sel:WORD_1 dst_unused:UNUSED_PAD src0_sel:DWORD src1_sel:DWORD
	v_or_b32_sdwa v4, v4, v17 dst_sel:WORD_1 dst_unused:UNUSED_PAD src0_sel:DWORD src1_sel:DWORD
	v_cndmask_b32_e64 v28, 0, 1, vcc_lo
	v_lshlrev_b16 v17, 8, v26
	v_cmp_ne_u32_e32 vcc_lo, 1, v16
	v_sub_co_u32 v16, s6, v31, 1
	v_or_b32_e32 v26, v28, v27
	v_or_b32_e32 v17, v23, v17
	v_cndmask_b32_e64 v23, 0, 1, vcc_lo
	v_cmp_gt_i32_e64 s11, 0, v16
	v_or_b32_sdwa v22, v26, v4 dst_sel:DWORD dst_unused:UNUSED_PAD src0_sel:WORD_0 src1_sel:DWORD
	v_or_b32_sdwa v4, v20, v15 dst_sel:WORD_1 dst_unused:UNUSED_PAD src0_sel:DWORD src1_sel:DWORD
	v_or_b32_sdwa v20, v14, v19 dst_sel:DWORD dst_unused:UNUSED_PAD src0_sel:WORD_0 src1_sel:DWORD
	v_lshl_add_u32 v14, v24, 5, v12
	v_and_b32_e32 v15, 16, v31
	v_or_b32_sdwa v21, v17, v18 dst_sel:DWORD dst_unused:UNUSED_PAD src0_sel:WORD_0 src1_sel:DWORD
	v_or_b32_sdwa v19, v5, v4 dst_sel:DWORD dst_unused:UNUSED_PAD src0_sel:WORD_0 src1_sel:DWORD
	v_and_b32_e32 v5, 0x3e0, v24
	v_add_nc_u32_e32 v9, 32, v14
	v_add_nc_u32_e32 v36, 36, v14
	;; [unrolled: 1-line block ×6, first 2 shown]
	v_and_b32_e32 v4, 15, v31
	v_add_nc_u32_e32 v242, 56, v14
	v_add_nc_u32_e32 v243, 60, v14
	v_min_u32_e32 v14, 0xe0, v5
	v_cmp_eq_u32_e64 s10, 0, v15
	v_cmp_eq_u32_e32 vcc_lo, 0, v4
	v_cmp_lt_u32_e64 s4, 1, v4
	v_cmp_lt_u32_e64 s5, 3, v4
	;; [unrolled: 1-line block ×3, first 2 shown]
	v_or_b32_e32 v4, 31, v14
	v_lshrrev_b32_e32 v14, 3, v24
	v_cndmask_b32_e64 v15, v16, v31, s11
	v_cmp_eq_u32_e64 s11, v24, v4
	v_mul_u32_u24_e32 v4, 17, v5
	v_and_b32_e32 v5, 0x7c, v14
	v_lshlrev_b32_e32 v245, 2, v15
	v_and_b32_e32 v15, 7, v31
	v_or_b32_e32 v14, v31, v4
	v_add_nc_u32_e32 v246, v12, v5
	v_cmp_lt_u32_e64 s18, 1, v15
	v_cmp_lt_u32_e64 s19, 3, v15
	v_add_co_u32 v4, s17, v12, v14
	v_add_co_ci_u32_e64 v5, null, 0, v13, s17
	v_cmp_eq_u32_e64 s17, 0, v15
	v_add_nc_u32_e32 v41, 0x1a0, v4
	v_add_nc_u32_e32 v42, 0x1c0, v4
	v_mad_u64_u32 v[25:26], null, v14, 7, v[4:5]
	v_add_nc_u32_e32 v5, 0x180, v4
	v_add_nc_u32_e32 v43, 0x1e0, v4
	;; [unrolled: 1-line block ×19, first 2 shown]
	s_branch .LBB1532_56
.LBB1532_55:                            ;   in Loop: Header=BB1532_56 Depth=1
	s_or_b32 exec_lo, exec_lo, s21
	s_and_b32 s20, exec_lo, s24
	s_or_b32 s23, s20, s23
	s_andn2_b32 exec_lo, exec_lo, s23
	s_cbranch_execz .LBB1532_98
.LBB1532_56:                            ; =>This Inner Loop Header: Depth=1
	s_waitcnt lgkmcnt(0)
	v_min_u32_e32 v26, s22, v77
	v_mov_b32_e32 v14, v19
	v_mov_b32_e32 v15, v20
	;; [unrolled: 1-line block ×5, first 2 shown]
	v_lshlrev_b32_e64 v19, v26, -1
	v_lshrrev_b32_sdwa v20, v10, v14 dst_sel:DWORD dst_unused:UNUSED_PAD src0_sel:DWORD src1_sel:BYTE_0
	v_mov_b32_e32 v50, v86
	v_mov_b32_e32 v84, v96
	;; [unrolled: 1-line block ×3, first 2 shown]
	v_not_b32_e32 v150, v19
	v_mov_b32_e32 v52, v100
	v_mov_b32_e32 v80, v102
	v_mov_b32_e32 v70, v112
	v_mov_b32_e32 v68, v114
	v_and_b32_e32 v19, v20, v150
	v_mov_b32_e32 v66, v116
	v_mov_b32_e32 v48, v118
	;; [unrolled: 1-line block ×4, first 2 shown]
	v_add_co_u32 v20, s20, v19, -1
	v_cndmask_b32_e64 v21, 0, 1, s20
	v_lshlrev_b32_e32 v19, 3, v19
	v_mov_b32_e32 v64, v132
	v_mov_b32_e32 v54, v134
	;; [unrolled: 1-line block ×3, first 2 shown]
	v_cmp_ne_u32_e64 s20, 0, v21
	v_mov_b32_e32 v28, v146
	v_mov_b32_e32 v32, v148
	;; [unrolled: 1-line block ×4, first 2 shown]
	v_xor_b32_e32 v20, s20, v20
	v_mov_b32_e32 v85, v97
	v_mov_b32_e32 v83, v99
	;; [unrolled: 1-line block ×4, first 2 shown]
	v_and_b32_e32 v21, exec_lo, v20
	v_add_lshl_u32 v20, v19, v244, 2
	v_mov_b32_e32 v71, v113
	v_mov_b32_e32 v69, v115
	;; [unrolled: 1-line block ×3, first 2 shown]
	v_mbcnt_lo_u32_b32 v19, v21, 0
	v_add_co_u32 v20, null, v12, v20
	v_cmp_ne_u32_e64 s21, 0, v21
	v_mov_b32_e32 v49, v119
	v_cmp_eq_u32_e64 s20, 0, v19
	v_mov_b32_e32 v39, v129
	v_mov_b32_e32 v35, v131
	;; [unrolled: 1-line block ×8, first 2 shown]
	v_add_co_u32 v20, null, v20, 32
	s_and_b32 s21, s21, s20
	ds_write_b32 v9, v247
	ds_write_b32 v36, v247
	;; [unrolled: 1-line block ×8, first 2 shown]
	s_waitcnt lgkmcnt(0)
	s_barrier
	buffer_gl0_inv
	; wave barrier
	s_and_saveexec_b32 s20, s21
; %bb.57:                               ;   in Loop: Header=BB1532_56 Depth=1
	v_bcnt_u32_b32 v21, v21, 0
	ds_write_b32 v20, v21
; %bb.58:                               ;   in Loop: Header=BB1532_56 Depth=1
	s_or_b32 exec_lo, exec_lo, s20
	v_lshrrev_b32_sdwa v21, v10, v14 dst_sel:DWORD dst_unused:UNUSED_PAD src0_sel:DWORD src1_sel:BYTE_1
	; wave barrier
	v_and_b32_e32 v21, v21, v150
	v_add_co_u32 v22, s20, v21, -1
	v_cndmask_b32_e64 v23, 0, 1, s20
	v_lshl_add_u32 v21, v21, 3, v244
	v_cmp_ne_u32_e64 s20, 0, v23
	v_lshl_add_u32 v23, v21, 2, v12
	v_xor_b32_e32 v22, s20, v22
	ds_read_b32 v21, v23 offset:32
	v_add_nc_u32_e32 v23, 32, v23
	; wave barrier
	v_and_b32_e32 v86, exec_lo, v22
	v_mbcnt_lo_u32_b32 v22, v86, 0
	v_cmp_ne_u32_e64 s21, 0, v86
	v_cmp_eq_u32_e64 s20, 0, v22
	s_and_b32 s21, s21, s20
	s_and_saveexec_b32 s20, s21
	s_cbranch_execz .LBB1532_60
; %bb.59:                               ;   in Loop: Header=BB1532_56 Depth=1
	s_waitcnt lgkmcnt(0)
	v_bcnt_u32_b32 v86, v86, v21
	ds_write_b32 v23, v86
.LBB1532_60:                            ;   in Loop: Header=BB1532_56 Depth=1
	s_or_b32 exec_lo, exec_lo, s20
	v_lshrrev_b32_sdwa v86, v10, v14 dst_sel:DWORD dst_unused:UNUSED_PAD src0_sel:DWORD src1_sel:BYTE_2
	; wave barrier
	v_and_b32_e32 v86, v86, v150
	v_add_co_u32 v87, s20, v86, -1
	v_cndmask_b32_e64 v96, 0, 1, s20
	v_lshl_add_u32 v86, v86, 3, v244
	v_cmp_ne_u32_e64 s20, 0, v96
	v_lshl_add_u32 v96, v86, 2, v12
	v_xor_b32_e32 v87, s20, v87
	ds_read_b32 v86, v96 offset:32
	v_add_nc_u32_e32 v96, 32, v96
	; wave barrier
	v_and_b32_e32 v97, exec_lo, v87
	v_mbcnt_lo_u32_b32 v87, v97, 0
	v_cmp_ne_u32_e64 s21, 0, v97
	v_cmp_eq_u32_e64 s20, 0, v87
	s_and_b32 s21, s21, s20
	s_and_saveexec_b32 s20, s21
	s_cbranch_execz .LBB1532_62
; %bb.61:                               ;   in Loop: Header=BB1532_56 Depth=1
	s_waitcnt lgkmcnt(0)
	v_bcnt_u32_b32 v97, v97, v86
	ds_write_b32 v96, v97
.LBB1532_62:                            ;   in Loop: Header=BB1532_56 Depth=1
	s_or_b32 exec_lo, exec_lo, s20
	v_alignbit_b32 v97, v15, v14, 24
	; wave barrier
	v_lshrrev_b32_sdwa v97, v10, v97 dst_sel:DWORD dst_unused:UNUSED_PAD src0_sel:DWORD src1_sel:BYTE_0
	v_and_b32_e32 v97, v97, v150
	v_add_co_u32 v98, s20, v97, -1
	v_cndmask_b32_e64 v99, 0, 1, s20
	v_lshl_add_u32 v97, v97, 3, v244
	v_cmp_ne_u32_e64 s20, 0, v99
	v_lshl_add_u32 v99, v97, 2, v12
	v_xor_b32_e32 v98, s20, v98
	ds_read_b32 v97, v99 offset:32
	v_add_nc_u32_e32 v99, 32, v99
	; wave barrier
	v_and_b32_e32 v100, exec_lo, v98
	v_mbcnt_lo_u32_b32 v98, v100, 0
	v_cmp_ne_u32_e64 s21, 0, v100
	v_cmp_eq_u32_e64 s20, 0, v98
	s_and_b32 s21, s21, s20
	s_and_saveexec_b32 s20, s21
	s_cbranch_execz .LBB1532_64
; %bb.63:                               ;   in Loop: Header=BB1532_56 Depth=1
	s_waitcnt lgkmcnt(0)
	v_bcnt_u32_b32 v100, v100, v97
	ds_write_b32 v99, v100
.LBB1532_64:                            ;   in Loop: Header=BB1532_56 Depth=1
	s_or_b32 exec_lo, exec_lo, s20
	v_lshrrev_b32_sdwa v100, v10, v15 dst_sel:DWORD dst_unused:UNUSED_PAD src0_sel:DWORD src1_sel:BYTE_0
	; wave barrier
	v_and_b32_e32 v100, v100, v150
	v_add_co_u32 v101, s20, v100, -1
	v_cndmask_b32_e64 v102, 0, 1, s20
	v_lshl_add_u32 v100, v100, 3, v244
	v_cmp_ne_u32_e64 s20, 0, v102
	v_lshl_add_u32 v102, v100, 2, v12
	v_xor_b32_e32 v101, s20, v101
	ds_read_b32 v100, v102 offset:32
	v_add_nc_u32_e32 v102, 32, v102
	; wave barrier
	v_and_b32_e32 v103, exec_lo, v101
	v_mbcnt_lo_u32_b32 v101, v103, 0
	v_cmp_ne_u32_e64 s21, 0, v103
	v_cmp_eq_u32_e64 s20, 0, v101
	s_and_b32 s21, s21, s20
	s_and_saveexec_b32 s20, s21
	s_cbranch_execz .LBB1532_66
; %bb.65:                               ;   in Loop: Header=BB1532_56 Depth=1
	s_waitcnt lgkmcnt(0)
	v_bcnt_u32_b32 v103, v103, v100
	ds_write_b32 v102, v103
.LBB1532_66:                            ;   in Loop: Header=BB1532_56 Depth=1
	s_or_b32 exec_lo, exec_lo, s20
	v_lshrrev_b32_sdwa v103, v10, v15 dst_sel:DWORD dst_unused:UNUSED_PAD src0_sel:DWORD src1_sel:BYTE_1
	; wave barrier
	v_and_b32_e32 v103, v103, v150
	v_add_co_u32 v112, s20, v103, -1
	v_cndmask_b32_e64 v113, 0, 1, s20
	v_lshl_add_u32 v103, v103, 3, v244
	v_cmp_ne_u32_e64 s20, 0, v113
	v_lshl_add_u32 v113, v103, 2, v12
	v_xor_b32_e32 v112, s20, v112
	ds_read_b32 v103, v113 offset:32
	v_add_nc_u32_e32 v113, 32, v113
	; wave barrier
	v_and_b32_e32 v114, exec_lo, v112
	v_mbcnt_lo_u32_b32 v112, v114, 0
	v_cmp_ne_u32_e64 s21, 0, v114
	v_cmp_eq_u32_e64 s20, 0, v112
	s_and_b32 s21, s21, s20
	s_and_saveexec_b32 s20, s21
	s_cbranch_execz .LBB1532_68
; %bb.67:                               ;   in Loop: Header=BB1532_56 Depth=1
	s_waitcnt lgkmcnt(0)
	v_bcnt_u32_b32 v114, v114, v103
	ds_write_b32 v113, v114
.LBB1532_68:                            ;   in Loop: Header=BB1532_56 Depth=1
	s_or_b32 exec_lo, exec_lo, s20
	v_lshrrev_b32_sdwa v114, v10, v15 dst_sel:DWORD dst_unused:UNUSED_PAD src0_sel:DWORD src1_sel:BYTE_2
	; wave barrier
	v_and_b32_e32 v114, v114, v150
	v_add_co_u32 v115, s20, v114, -1
	v_cndmask_b32_e64 v116, 0, 1, s20
	v_lshl_add_u32 v114, v114, 3, v244
	v_cmp_ne_u32_e64 s20, 0, v116
	v_lshl_add_u32 v116, v114, 2, v12
	v_xor_b32_e32 v115, s20, v115
	ds_read_b32 v114, v116 offset:32
	v_add_nc_u32_e32 v116, 32, v116
	; wave barrier
	v_and_b32_e32 v117, exec_lo, v115
	v_mbcnt_lo_u32_b32 v115, v117, 0
	v_cmp_ne_u32_e64 s21, 0, v117
	v_cmp_eq_u32_e64 s20, 0, v115
	s_and_b32 s21, s21, s20
	s_and_saveexec_b32 s20, s21
	s_cbranch_execz .LBB1532_70
; %bb.69:                               ;   in Loop: Header=BB1532_56 Depth=1
	s_waitcnt lgkmcnt(0)
	v_bcnt_u32_b32 v117, v117, v114
	ds_write_b32 v116, v117
.LBB1532_70:                            ;   in Loop: Header=BB1532_56 Depth=1
	s_or_b32 exec_lo, exec_lo, s20
	v_lshrrev_b32_e32 v78, 24, v15
	; wave barrier
	v_lshrrev_b32_e32 v117, v10, v78
	v_and_b32_e32 v117, v117, v150
	v_add_co_u32 v118, s20, v117, -1
	v_cndmask_b32_e64 v119, 0, 1, s20
	v_lshl_add_u32 v117, v117, 3, v244
	v_cmp_ne_u32_e64 s20, 0, v119
	v_lshl_add_u32 v119, v117, 2, v12
	v_xor_b32_e32 v118, s20, v118
	ds_read_b32 v117, v119 offset:32
	v_add_nc_u32_e32 v119, 32, v119
	; wave barrier
	v_and_b32_e32 v128, exec_lo, v118
	v_mbcnt_lo_u32_b32 v118, v128, 0
	v_cmp_ne_u32_e64 s21, 0, v128
	v_cmp_eq_u32_e64 s20, 0, v118
	s_and_b32 s21, s21, s20
	s_and_saveexec_b32 s20, s21
	s_cbranch_execz .LBB1532_72
; %bb.71:                               ;   in Loop: Header=BB1532_56 Depth=1
	s_waitcnt lgkmcnt(0)
	v_bcnt_u32_b32 v128, v128, v117
	ds_write_b32 v119, v128
.LBB1532_72:                            ;   in Loop: Header=BB1532_56 Depth=1
	s_or_b32 exec_lo, exec_lo, s20
	v_lshrrev_b32_sdwa v128, v10, v16 dst_sel:DWORD dst_unused:UNUSED_PAD src0_sel:DWORD src1_sel:BYTE_0
	; wave barrier
	v_and_b32_e32 v128, v128, v150
	v_add_co_u32 v129, s20, v128, -1
	v_cndmask_b32_e64 v130, 0, 1, s20
	v_lshl_add_u32 v128, v128, 3, v244
	v_cmp_ne_u32_e64 s20, 0, v130
	v_lshl_add_u32 v130, v128, 2, v12
	v_xor_b32_e32 v129, s20, v129
	ds_read_b32 v128, v130 offset:32
	v_add_nc_u32_e32 v130, 32, v130
	; wave barrier
	v_and_b32_e32 v131, exec_lo, v129
	v_mbcnt_lo_u32_b32 v129, v131, 0
	v_cmp_ne_u32_e64 s21, 0, v131
	v_cmp_eq_u32_e64 s20, 0, v129
	s_and_b32 s21, s21, s20
	s_and_saveexec_b32 s20, s21
	s_cbranch_execz .LBB1532_74
; %bb.73:                               ;   in Loop: Header=BB1532_56 Depth=1
	s_waitcnt lgkmcnt(0)
	v_bcnt_u32_b32 v131, v131, v128
	ds_write_b32 v130, v131
.LBB1532_74:                            ;   in Loop: Header=BB1532_56 Depth=1
	s_or_b32 exec_lo, exec_lo, s20
	v_lshrrev_b32_sdwa v131, v10, v16 dst_sel:DWORD dst_unused:UNUSED_PAD src0_sel:DWORD src1_sel:BYTE_1
	; wave barrier
	v_and_b32_e32 v131, v131, v150
	v_add_co_u32 v132, s20, v131, -1
	v_cndmask_b32_e64 v133, 0, 1, s20
	v_lshl_add_u32 v131, v131, 3, v244
	v_cmp_ne_u32_e64 s20, 0, v133
	v_lshl_add_u32 v133, v131, 2, v12
	v_xor_b32_e32 v132, s20, v132
	ds_read_b32 v131, v133 offset:32
	v_add_nc_u32_e32 v133, 32, v133
	; wave barrier
	v_and_b32_e32 v134, exec_lo, v132
	v_mbcnt_lo_u32_b32 v132, v134, 0
	v_cmp_ne_u32_e64 s21, 0, v134
	v_cmp_eq_u32_e64 s20, 0, v132
	s_and_b32 s21, s21, s20
	s_and_saveexec_b32 s20, s21
	s_cbranch_execz .LBB1532_76
; %bb.75:                               ;   in Loop: Header=BB1532_56 Depth=1
	s_waitcnt lgkmcnt(0)
	v_bcnt_u32_b32 v134, v134, v131
	ds_write_b32 v133, v134
.LBB1532_76:                            ;   in Loop: Header=BB1532_56 Depth=1
	s_or_b32 exec_lo, exec_lo, s20
	v_lshrrev_b32_sdwa v134, v10, v16 dst_sel:DWORD dst_unused:UNUSED_PAD src0_sel:DWORD src1_sel:BYTE_2
	; wave barrier
	v_and_b32_e32 v134, v134, v150
	v_add_co_u32 v135, s20, v134, -1
	v_cndmask_b32_e64 v144, 0, 1, s20
	v_lshl_add_u32 v134, v134, 3, v244
	v_cmp_ne_u32_e64 s20, 0, v144
	v_lshl_add_u32 v144, v134, 2, v12
	v_xor_b32_e32 v135, s20, v135
	ds_read_b32 v134, v144 offset:32
	v_add_nc_u32_e32 v144, 32, v144
	; wave barrier
	v_and_b32_e32 v145, exec_lo, v135
	v_mbcnt_lo_u32_b32 v135, v145, 0
	v_cmp_ne_u32_e64 s21, 0, v145
	v_cmp_eq_u32_e64 s20, 0, v135
	s_and_b32 s21, s21, s20
	s_and_saveexec_b32 s20, s21
	s_cbranch_execz .LBB1532_78
; %bb.77:                               ;   in Loop: Header=BB1532_56 Depth=1
	s_waitcnt lgkmcnt(0)
	v_bcnt_u32_b32 v145, v145, v134
	ds_write_b32 v144, v145
.LBB1532_78:                            ;   in Loop: Header=BB1532_56 Depth=1
	s_or_b32 exec_lo, exec_lo, s20
	v_alignbit_b32 v145, v17, v16, 24
	; wave barrier
	v_lshrrev_b32_sdwa v145, v10, v145 dst_sel:DWORD dst_unused:UNUSED_PAD src0_sel:DWORD src1_sel:BYTE_0
	v_and_b32_e32 v145, v145, v150
	v_add_co_u32 v146, s20, v145, -1
	v_cndmask_b32_e64 v147, 0, 1, s20
	v_lshl_add_u32 v145, v145, 3, v244
	v_cmp_ne_u32_e64 s20, 0, v147
	v_lshl_add_u32 v147, v145, 2, v12
	v_xor_b32_e32 v146, s20, v146
	ds_read_b32 v145, v147 offset:32
	v_add_nc_u32_e32 v147, 32, v147
	; wave barrier
	v_and_b32_e32 v148, exec_lo, v146
	v_mbcnt_lo_u32_b32 v146, v148, 0
	v_cmp_ne_u32_e64 s21, 0, v148
	v_cmp_eq_u32_e64 s20, 0, v146
	s_and_b32 s21, s21, s20
	s_and_saveexec_b32 s20, s21
	s_cbranch_execz .LBB1532_80
; %bb.79:                               ;   in Loop: Header=BB1532_56 Depth=1
	s_waitcnt lgkmcnt(0)
	v_bcnt_u32_b32 v148, v148, v145
	ds_write_b32 v147, v148
.LBB1532_80:                            ;   in Loop: Header=BB1532_56 Depth=1
	s_or_b32 exec_lo, exec_lo, s20
	v_lshrrev_b32_sdwa v148, v10, v17 dst_sel:DWORD dst_unused:UNUSED_PAD src0_sel:DWORD src1_sel:BYTE_0
	; wave barrier
	v_and_b32_e32 v148, v148, v150
	v_add_co_u32 v149, s20, v148, -1
	v_cndmask_b32_e64 v151, 0, 1, s20
	v_lshl_add_u32 v148, v148, 3, v244
	v_cmp_ne_u32_e64 s20, 0, v151
	v_lshl_add_u32 v160, v148, 2, v12
	v_xor_b32_e32 v149, s20, v149
	ds_read_b32 v148, v160 offset:32
	v_add_nc_u32_e32 v162, 32, v160
	; wave barrier
	v_and_b32_e32 v151, exec_lo, v149
	v_mbcnt_lo_u32_b32 v149, v151, 0
	v_cmp_ne_u32_e64 s21, 0, v151
	v_cmp_eq_u32_e64 s20, 0, v149
	s_and_b32 s21, s21, s20
	s_and_saveexec_b32 s20, s21
	s_cbranch_execz .LBB1532_82
; %bb.81:                               ;   in Loop: Header=BB1532_56 Depth=1
	s_waitcnt lgkmcnt(0)
	v_bcnt_u32_b32 v151, v151, v148
	ds_write_b32 v162, v151
.LBB1532_82:                            ;   in Loop: Header=BB1532_56 Depth=1
	s_or_b32 exec_lo, exec_lo, s20
	v_lshrrev_b32_sdwa v151, v10, v17 dst_sel:DWORD dst_unused:UNUSED_PAD src0_sel:DWORD src1_sel:BYTE_1
	; wave barrier
	v_and_b32_e32 v151, v151, v150
	v_add_co_u32 v160, s20, v151, -1
	v_cndmask_b32_e64 v161, 0, 1, s20
	v_lshl_add_u32 v151, v151, 3, v244
	v_cmp_ne_u32_e64 s20, 0, v161
	v_lshl_add_u32 v161, v151, 2, v12
	v_xor_b32_e32 v151, s20, v160
	ds_read_b32 v163, v161 offset:32
	v_add_nc_u32_e32 v165, 32, v161
	; wave barrier
	v_and_b32_e32 v151, exec_lo, v151
	v_mbcnt_lo_u32_b32 v164, v151, 0
	v_cmp_ne_u32_e64 s21, 0, v151
	v_cmp_eq_u32_e64 s20, 0, v164
	s_and_b32 s21, s21, s20
	s_and_saveexec_b32 s20, s21
	s_cbranch_execz .LBB1532_84
; %bb.83:                               ;   in Loop: Header=BB1532_56 Depth=1
	s_waitcnt lgkmcnt(0)
	v_bcnt_u32_b32 v151, v151, v163
	ds_write_b32 v165, v151
.LBB1532_84:                            ;   in Loop: Header=BB1532_56 Depth=1
	s_or_b32 exec_lo, exec_lo, s20
	v_lshrrev_b32_sdwa v151, v10, v17 dst_sel:DWORD dst_unused:UNUSED_PAD src0_sel:DWORD src1_sel:BYTE_2
	; wave barrier
	v_and_b32_e32 v151, v151, v150
	v_add_co_u32 v160, s20, v151, -1
	v_cndmask_b32_e64 v161, 0, 1, s20
	v_lshl_add_u32 v151, v151, 3, v244
	v_cmp_ne_u32_e64 s20, 0, v161
	v_lshl_add_u32 v161, v151, 2, v12
	v_xor_b32_e32 v151, s20, v160
	ds_read_b32 v166, v161 offset:32
	v_add_nc_u32_e32 v177, 32, v161
	; wave barrier
	v_and_b32_e32 v151, exec_lo, v151
	v_mbcnt_lo_u32_b32 v176, v151, 0
	v_cmp_ne_u32_e64 s21, 0, v151
	v_cmp_eq_u32_e64 s20, 0, v176
	s_and_b32 s21, s21, s20
	s_and_saveexec_b32 s20, s21
	s_cbranch_execz .LBB1532_86
; %bb.85:                               ;   in Loop: Header=BB1532_56 Depth=1
	s_waitcnt lgkmcnt(0)
	v_bcnt_u32_b32 v151, v151, v166
	ds_write_b32 v177, v151
.LBB1532_86:                            ;   in Loop: Header=BB1532_56 Depth=1
	s_or_b32 exec_lo, exec_lo, s20
	v_lshrrev_b32_e32 v79, 24, v17
	; wave barrier
	v_lshrrev_b32_e32 v151, v10, v79
	v_and_b32_e32 v151, v151, v150
	v_add_co_u32 v160, s20, v151, -1
	v_cndmask_b32_e64 v161, 0, 1, s20
	v_lshl_add_u32 v151, v151, 3, v244
	v_cmp_ne_u32_e64 s20, 0, v161
	v_lshl_add_u32 v161, v151, 2, v12
	v_xor_b32_e32 v151, s20, v160
	ds_read_b32 v178, v161 offset:32
	v_add_nc_u32_e32 v180, 32, v161
	; wave barrier
	v_and_b32_e32 v151, exec_lo, v151
	v_mbcnt_lo_u32_b32 v179, v151, 0
	v_cmp_ne_u32_e64 s21, 0, v151
	v_cmp_eq_u32_e64 s20, 0, v179
	s_and_b32 s21, s21, s20
	s_and_saveexec_b32 s20, s21
	s_cbranch_execz .LBB1532_88
; %bb.87:                               ;   in Loop: Header=BB1532_56 Depth=1
	s_waitcnt lgkmcnt(0)
	v_bcnt_u32_b32 v151, v151, v178
	ds_write_b32 v180, v151
.LBB1532_88:                            ;   in Loop: Header=BB1532_56 Depth=1
	s_or_b32 exec_lo, exec_lo, s20
	v_lshrrev_b32_sdwa v151, v10, v18 dst_sel:DWORD dst_unused:UNUSED_PAD src0_sel:DWORD src1_sel:BYTE_0
	; wave barrier
	v_and_b32_e32 v150, v151, v150
	v_add_co_u32 v151, s20, v150, -1
	v_cndmask_b32_e64 v160, 0, 1, s20
	v_lshl_add_u32 v150, v150, 3, v244
	v_cmp_ne_u32_e64 s20, 0, v160
	v_lshl_add_u32 v160, v150, 2, v12
	v_xor_b32_e32 v150, s20, v151
	ds_read_b32 v181, v160 offset:32
	v_add_nc_u32_e32 v183, 32, v160
	; wave barrier
	v_and_b32_e32 v150, exec_lo, v150
	v_mbcnt_lo_u32_b32 v182, v150, 0
	v_cmp_ne_u32_e64 s21, 0, v150
	v_cmp_eq_u32_e64 s20, 0, v182
	s_and_b32 s21, s21, s20
	s_and_saveexec_b32 s20, s21
	s_cbranch_execz .LBB1532_90
; %bb.89:                               ;   in Loop: Header=BB1532_56 Depth=1
	s_waitcnt lgkmcnt(0)
	v_bcnt_u32_b32 v150, v150, v181
	ds_write_b32 v183, v150
.LBB1532_90:                            ;   in Loop: Header=BB1532_56 Depth=1
	s_or_b32 exec_lo, exec_lo, s20
	; wave barrier
	s_waitcnt lgkmcnt(0)
	s_barrier
	buffer_gl0_inv
	ds_read_b32 v151, v9
	ds_read_b32 v160, v36
	;; [unrolled: 1-line block ×8, first 2 shown]
	s_waitcnt lgkmcnt(6)
	v_add_nc_u32_e32 v196, v160, v151
	s_waitcnt lgkmcnt(4)
	v_add3_u32 v196, v196, v161, v194
	s_waitcnt lgkmcnt(2)
	v_add3_u32 v196, v196, v150, v193
	;; [unrolled: 2-line block ×3, first 2 shown]
	v_mov_b32_dpp v196, v195 row_shr:1 row_mask:0xf bank_mask:0xf
	v_cndmask_b32_e64 v196, v196, 0, vcc_lo
	v_add_nc_u32_e32 v195, v196, v195
	v_mov_b32_dpp v196, v195 row_shr:2 row_mask:0xf bank_mask:0xf
	v_cndmask_b32_e64 v196, 0, v196, s4
	v_add_nc_u32_e32 v195, v195, v196
	v_mov_b32_dpp v196, v195 row_shr:4 row_mask:0xf bank_mask:0xf
	v_cndmask_b32_e64 v196, 0, v196, s5
	;; [unrolled: 3-line block ×3, first 2 shown]
	v_add_nc_u32_e32 v195, v195, v196
	ds_swizzle_b32 v196, v195 offset:swizzle(BROADCAST,32,15)
	s_waitcnt lgkmcnt(0)
	v_cndmask_b32_e64 v196, v196, 0, s10
	v_add_nc_u32_e32 v195, v195, v196
	s_and_saveexec_b32 s20, s11
; %bb.91:                               ;   in Loop: Header=BB1532_56 Depth=1
	ds_write_b32 v246, v195
; %bb.92:                               ;   in Loop: Header=BB1532_56 Depth=1
	s_or_b32 exec_lo, exec_lo, s20
	s_waitcnt lgkmcnt(0)
	s_barrier
	buffer_gl0_inv
	s_and_saveexec_b32 s20, s14
	s_cbranch_execz .LBB1532_94
; %bb.93:                               ;   in Loop: Header=BB1532_56 Depth=1
	ds_read_b32 v196, v40
	s_waitcnt lgkmcnt(0)
	v_mov_b32_dpp v197, v196 row_shr:1 row_mask:0xf bank_mask:0xf
	v_cndmask_b32_e64 v197, v197, 0, s17
	v_add_nc_u32_e32 v196, v197, v196
	v_mov_b32_dpp v197, v196 row_shr:2 row_mask:0xf bank_mask:0xf
	v_cndmask_b32_e64 v197, 0, v197, s18
	v_add_nc_u32_e32 v196, v196, v197
	;; [unrolled: 3-line block ×3, first 2 shown]
	ds_write_b32 v40, v196
.LBB1532_94:                            ;   in Loop: Header=BB1532_56 Depth=1
	s_or_b32 exec_lo, exec_lo, s20
	v_mov_b32_e32 v196, 0
	s_waitcnt lgkmcnt(0)
	s_barrier
	buffer_gl0_inv
	s_and_saveexec_b32 s20, s15
; %bb.95:                               ;   in Loop: Header=BB1532_56 Depth=1
	v_add_nc_u32_e32 v196, -4, v246
	ds_read_b32 v196, v196
; %bb.96:                               ;   in Loop: Header=BB1532_56 Depth=1
	s_or_b32 exec_lo, exec_lo, s20
	s_waitcnt lgkmcnt(0)
	v_add_nc_u32_e32 v195, v196, v195
	v_add_nc_u32_e32 v10, 8, v10
	v_lshrrev_b32_e32 v91, 8, v14
	v_lshrrev_b32_e32 v92, 16, v14
	;; [unrolled: 1-line block ×3, first 2 shown]
	ds_bpermute_b32 v195, v245, v195
	v_lshrrev_b32_e32 v93, 16, v15
	v_lshrrev_b32_e32 v88, 8, v16
	;; [unrolled: 1-line block ×5, first 2 shown]
	v_cmp_lt_u32_e64 s20, v10, v11
	s_mov_b32 s24, -1
	s_waitcnt lgkmcnt(0)
	v_cndmask_b32_e64 v195, v195, v196, s6
	v_cndmask_b32_e64 v195, v195, 0, s16
	v_add_nc_u32_e32 v196, v195, v151
	v_add_nc_u32_e32 v197, v196, v160
	ds_write_b32 v9, v195
	ds_write_b32 v36, v196
	;; [unrolled: 1-line block ×3, first 2 shown]
	v_add_nc_u32_e32 v198, v197, v161
	v_lshrrev_b64 v[160:161], 24, v[14:15]
	v_add_nc_u32_e32 v194, v198, v194
	v_add_nc_u32_e32 v161, v194, v150
	v_lshrrev_b64 v[150:151], 24, v[16:17]
	v_add_nc_u32_e32 v151, v161, v193
	v_add_nc_u32_e32 v192, v151, v192
	ds_write_b32 v231, v198
	ds_write_b32 v240, v194
	;; [unrolled: 1-line block ×5, first 2 shown]
	s_waitcnt lgkmcnt(0)
	s_barrier
	buffer_gl0_inv
	ds_read_b32 v20, v20
	ds_read_b32 v23, v23
	;; [unrolled: 1-line block ×17, first 2 shown]
	s_waitcnt lgkmcnt(0)
	v_add_nc_u32_e32 v125, v20, v19
	v_add3_u32 v124, v22, v21, v23
	v_add3_u32 v123, v87, v86, v96
	;; [unrolled: 1-line block ×13, first 2 shown]
	v_add_co_u32 v163, s21, v12, v125
	v_add3_u32 v94, v179, v178, v165
	v_add_co_ci_u32_e64 v164, null, 0, v13, s21
	v_add_co_u32 v165, s21, v12, v124
	v_add3_u32 v95, v176, v166, v162
	v_add_co_ci_u32_e64 v166, null, 0, v13, s21
	;; [unrolled: 3-line block ×3, first 2 shown]
	v_add_co_u32 v178, s21, v12, v122
	v_add_co_ci_u32_e64 v179, null, 0, v13, s21
	v_add_co_u32 v180, s21, v12, v121
	v_add_co_ci_u32_e64 v181, null, 0, v13, s21
	;; [unrolled: 2-line block ×14, first 2 shown]
                                        ; implicit-def: $vgpr19_vgpr20_vgpr21_vgpr22_vgpr23
                                        ; implicit-def: $vgpr86_vgpr87
                                        ; implicit-def: $vgpr96_vgpr97
                                        ; implicit-def: $vgpr98_vgpr99
                                        ; implicit-def: $vgpr100_vgpr101
                                        ; implicit-def: $vgpr102_vgpr103
                                        ; implicit-def: $vgpr112_vgpr113
                                        ; implicit-def: $vgpr114_vgpr115
                                        ; implicit-def: $vgpr116_vgpr117
                                        ; implicit-def: $vgpr118_vgpr119
                                        ; implicit-def: $vgpr128_vgpr129
                                        ; implicit-def: $vgpr130_vgpr131
                                        ; implicit-def: $vgpr132_vgpr133
                                        ; implicit-def: $vgpr134_vgpr135
                                        ; implicit-def: $vgpr144_vgpr145
                                        ; implicit-def: $vgpr146_vgpr147
                                        ; implicit-def: $vgpr148_vgpr149
                                        ; implicit-def: $vgpr161_vgpr162
	s_and_saveexec_b32 s21, s20
	s_cbranch_execz .LBB1532_55
; %bb.97:                               ;   in Loop: Header=BB1532_56 Depth=1
	v_add_nc_u32_e32 v19, 0x120, v4
	v_add_nc_u32_e32 v20, 0x100, v4
	;; [unrolled: 1-line block ×3, first 2 shown]
	s_barrier
	buffer_gl0_inv
	ds_write_b8 v163, v14
	ds_write_b8 v165, v91
	;; [unrolled: 1-line block ×17, first 2 shown]
	s_waitcnt lgkmcnt(0)
	s_barrier
	buffer_gl0_inv
	ds_read_u8 v23, v44
	ds_read_u8 v136, v41
	;; [unrolled: 1-line block ×8, first 2 shown]
	v_add_nc_u32_e32 v19, 0x140, v4
	v_add_nc_u32_e32 v20, 0xa0, v4
	;; [unrolled: 1-line block ×5, first 2 shown]
	ds_read_u8 v143, v19
	ds_read_u8 v152, v20
	;; [unrolled: 1-line block ×5, first 2 shown]
	v_mad_u64_u32 v[19:20], null, v125, 7, v[163:164]
	v_add_nc_u32_e32 v21, 32, v4
	v_add_nc_u32_e32 v22, 0x60, v4
	;; [unrolled: 1-line block ×3, first 2 shown]
	ds_read_u8 v164, v21
	ds_read_u8 v156, v4
	;; [unrolled: 1-line block ×4, first 2 shown]
	s_waitcnt lgkmcnt(0)
	s_barrier
	buffer_gl0_inv
	ds_write_b64 v19, v[50:51]
	v_mad_u64_u32 v[19:20], null, v124, 7, v[165:166]
	v_mad_u64_u32 v[20:21], null, v123, 7, v[176:177]
	;; [unrolled: 1-line block ×8, first 2 shown]
	ds_write_b64 v19, v[84:85]
	ds_write_b64 v20, v[82:83]
	;; [unrolled: 1-line block ×8, first 2 shown]
	v_mad_u64_u32 v[19:20], null, v108, 7, v[198:199]
	v_mad_u64_u32 v[20:21], null, v107, 7, v[208:209]
	;; [unrolled: 1-line block ×8, first 2 shown]
	ds_write_b64 v19, v[38:39]
	ds_write_b64 v20, v[34:35]
	;; [unrolled: 1-line block ×8, first 2 shown]
	s_waitcnt lgkmcnt(0)
	s_barrier
	buffer_gl0_inv
	ds_read_b64 v[86:87], v25
	ds_read_b64 v[96:97], v45
	;; [unrolled: 1-line block ×17, first 2 shown]
	v_perm_b32 v19, v137, v136, 0xc0c0004
	v_perm_b32 v20, v139, v138, 0xc0c0004
	;; [unrolled: 1-line block ×8, first 2 shown]
	v_lshl_or_b32 v22, v20, 16, v19
	v_lshl_or_b32 v21, v166, 16, v21
	;; [unrolled: 1-line block ×3, first 2 shown]
	v_add_nc_u32_e32 v77, -8, v77
	v_lshl_or_b32 v19, v181, 16, v164
	s_xor_b32 s24, exec_lo, -1
	s_waitcnt lgkmcnt(0)
	s_barrier
	buffer_gl0_inv
	s_branch .LBB1532_55
.LBB1532_98:
	s_or_b32 exec_lo, exec_lo, s23
	v_add_nc_u32_e32 v4, v12, v24
	v_lshl_add_u32 v5, v125, 3, v12
	v_lshl_add_u32 v9, v124, 3, v12
	v_lshl_add_u32 v10, v123, 3, v12
	s_barrier
	buffer_gl0_inv
	ds_write_b8 v163, v14
	ds_write_b8 v165, v91
	;; [unrolled: 1-line block ×17, first 2 shown]
	s_waitcnt lgkmcnt(0)
	s_barrier
	buffer_gl0_inv
	ds_read_u8 v118, v4
	ds_read_u8 v117, v4 offset:256
	ds_read_u8 v116, v4 offset:512
	;; [unrolled: 1-line block ×16, first 2 shown]
	s_waitcnt lgkmcnt(0)
	s_barrier
	buffer_gl0_inv
	ds_write_b64 v5, v[50:51]
	ds_write_b64 v9, v[84:85]
	;; [unrolled: 1-line block ×3, first 2 shown]
	v_lshl_add_u32 v5, v122, 3, v12
	v_lshl_add_u32 v9, v121, 3, v12
	;; [unrolled: 1-line block ×5, first 2 shown]
	ds_write_b64 v5, v[52:53]
	ds_write_b64 v9, v[80:81]
	;; [unrolled: 1-line block ×5, first 2 shown]
	v_lshl_add_u32 v5, v109, 3, v12
	v_lshl_add_u32 v9, v108, 3, v12
	;; [unrolled: 1-line block ×5, first 2 shown]
	ds_write_b64 v5, v[48:49]
	ds_write_b64 v9, v[38:39]
	;; [unrolled: 1-line block ×5, first 2 shown]
	v_mul_u32_u24_e32 v11, 7, v24
	v_lshl_add_u32 v5, v104, 3, v12
	v_lshl_add_u32 v9, v95, 3, v12
	;; [unrolled: 1-line block ×4, first 2 shown]
	v_add_nc_u32_e32 v4, v4, v11
	ds_write_b64 v5, v[30:31]
	ds_write_b64 v9, v[28:29]
	;; [unrolled: 1-line block ×3, first 2 shown]
	v_add_co_u32 v2, vcc_lo, v2, v8
	ds_write_b64 v12, v[26:27]
	s_waitcnt lgkmcnt(0)
	s_barrier
	buffer_gl0_inv
	ds_read2st64_b64 v[48:51], v4 offset1:4
	ds_read2st64_b64 v[33:36], v4 offset0:8 offset1:12
	ds_read2st64_b64 v[29:32], v4 offset0:16 offset1:20
	;; [unrolled: 1-line block ×7, first 2 shown]
	ds_read_b64 v[4:5], v4 offset:32768
	v_add_co_ci_u32_e64 v3, null, 0, v3, vcc_lo
	v_add_co_u32 v2, vcc_lo, v2, v37
	v_mov_b32_e32 v38, 0
	v_add_co_ci_u32_e64 v3, null, 0, v3, vcc_lo
	v_cmp_lt_u32_e64 s4, v37, v167
	s_waitcnt lgkmcnt(0)
	s_barrier
	buffer_gl0_inv
	s_and_saveexec_b32 s5, s4
	s_cbranch_execz .LBB1532_100
; %bb.99:
	v_xor_b32_e32 v8, 1, v118
	flat_store_byte v[2:3], v8
.LBB1532_100:
	s_or_b32 exec_lo, exec_lo, s5
	v_add_nc_u32_e32 v8, 0x100, v37
	v_cmp_lt_u32_e64 s17, v8, v167
	s_and_saveexec_b32 s5, s17
	s_cbranch_execz .LBB1532_102
; %bb.101:
	v_xor_b32_e32 v8, 1, v117
	flat_store_byte v[2:3], v8 offset:256
.LBB1532_102:
	s_or_b32 exec_lo, exec_lo, s5
	v_add_nc_u32_e32 v8, 0x200, v37
	v_cmp_lt_u32_e64 s15, v8, v167
	s_and_saveexec_b32 s5, s15
	s_cbranch_execz .LBB1532_104
; %bb.103:
	v_xor_b32_e32 v8, 1, v116
	flat_store_byte v[2:3], v8 offset:512
.LBB1532_104:
	;; [unrolled: 9-line block ×7, first 2 shown]
	s_or_b32 exec_lo, exec_lo, s10
	v_add_nc_u32_e32 v8, 0x800, v37
	v_cmp_lt_u32_e32 vcc_lo, v8, v167
	s_and_saveexec_b32 s16, vcc_lo
	s_cbranch_execz .LBB1532_116
; %bb.115:
	v_add_co_u32 v52, s10, 0x800, v2
	v_xor_b32_e32 v8, 1, v102
	v_add_co_ci_u32_e64 v53, null, 0, v3, s10
	flat_store_byte v[52:53], v8
.LBB1532_116:
	s_or_b32 exec_lo, exec_lo, s16
	v_add_nc_u32_e32 v8, 0x900, v37
	v_cmp_lt_u32_e64 s10, v8, v167
	s_and_saveexec_b32 s18, s10
	s_cbranch_execz .LBB1532_118
; %bb.117:
	v_add_co_u32 v52, s16, 0x800, v2
	v_xor_b32_e32 v8, 1, v101
	v_add_co_ci_u32_e64 v53, null, 0, v3, s16
	flat_store_byte v[52:53], v8 offset:256
.LBB1532_118:
	s_or_b32 exec_lo, exec_lo, s18
	v_add_nc_u32_e32 v8, 0xa00, v37
	v_cmp_lt_u32_e64 s16, v8, v167
	s_and_saveexec_b32 s19, s16
	s_cbranch_execz .LBB1532_120
; %bb.119:
	v_add_co_u32 v52, s18, 0x800, v2
	v_xor_b32_e32 v8, 1, v100
	v_add_co_ci_u32_e64 v53, null, 0, v3, s18
	flat_store_byte v[52:53], v8 offset:512
.LBB1532_120:
	;; [unrolled: 11-line block ×7, first 2 shown]
	s_or_b32 exec_lo, exec_lo, s24
	v_add_nc_u32_e32 v8, 0x1000, v37
	v_cmp_lt_u32_e64 s23, v8, v167
	s_and_saveexec_b32 s27, s23
	s_cbranch_execz .LBB1532_132
; %bb.131:
	v_add_co_u32 v2, s24, 0x1000, v2
	v_xor_b32_e32 v8, 1, v86
	v_add_co_ci_u32_e64 v3, null, 0, v3, s24
	flat_store_byte v[2:3], v8
.LBB1532_132:
	s_or_b32 exec_lo, exec_lo, s27
	v_lshlrev_b64 v[2:3], 3, v[37:38]
	v_add_co_u32 v0, s24, v6, v0
	v_add_co_ci_u32_e64 v1, null, v7, v1, s24
	v_add_co_u32 v0, s24, v0, v2
	v_add_co_ci_u32_e64 v1, null, v1, v3, s24
	s_and_saveexec_b32 s24, s4
	s_cbranch_execnz .LBB1532_220
; %bb.133:
	s_or_b32 exec_lo, exec_lo, s24
	s_and_saveexec_b32 s24, s17
	s_cbranch_execnz .LBB1532_221
.LBB1532_134:
	s_or_b32 exec_lo, exec_lo, s24
	s_and_saveexec_b32 s17, s15
	s_cbranch_execnz .LBB1532_222
.LBB1532_135:
	s_or_b32 exec_lo, exec_lo, s17
	s_and_saveexec_b32 s15, s14
	s_cbranch_execnz .LBB1532_223
.LBB1532_136:
	s_or_b32 exec_lo, exec_lo, s15
	s_and_saveexec_b32 s14, s11
	s_cbranch_execnz .LBB1532_224
.LBB1532_137:
	s_or_b32 exec_lo, exec_lo, s14
	s_and_saveexec_b32 s11, s7
	s_cbranch_execnz .LBB1532_225
.LBB1532_138:
	s_or_b32 exec_lo, exec_lo, s11
	s_and_saveexec_b32 s7, s6
	s_cbranch_execnz .LBB1532_226
.LBB1532_139:
	s_or_b32 exec_lo, exec_lo, s7
	s_and_saveexec_b32 s6, s5
	s_cbranch_execnz .LBB1532_227
.LBB1532_140:
	s_or_b32 exec_lo, exec_lo, s6
	s_and_saveexec_b32 s4, vcc_lo
	s_cbranch_execnz .LBB1532_228
.LBB1532_141:
	s_or_b32 exec_lo, exec_lo, s4
	s_and_saveexec_b32 s4, s10
	s_cbranch_execnz .LBB1532_229
.LBB1532_142:
	s_or_b32 exec_lo, exec_lo, s4
	s_and_saveexec_b32 s4, s16
	s_cbranch_execnz .LBB1532_230
.LBB1532_143:
	s_or_b32 exec_lo, exec_lo, s4
	s_and_saveexec_b32 s4, s18
	s_cbranch_execnz .LBB1532_231
.LBB1532_144:
	s_or_b32 exec_lo, exec_lo, s4
	s_and_saveexec_b32 s4, s19
	s_cbranch_execnz .LBB1532_232
.LBB1532_145:
	s_or_b32 exec_lo, exec_lo, s4
	s_and_saveexec_b32 s4, s20
	s_cbranch_execnz .LBB1532_233
.LBB1532_146:
	s_or_b32 exec_lo, exec_lo, s4
	s_and_saveexec_b32 s4, s21
	s_cbranch_execnz .LBB1532_234
.LBB1532_147:
	s_or_b32 exec_lo, exec_lo, s4
	s_and_saveexec_b32 s4, s22
	s_cbranch_execnz .LBB1532_235
.LBB1532_148:
	s_or_b32 exec_lo, exec_lo, s4
	s_and_saveexec_b32 s4, s23
	s_cbranch_execz .LBB1532_150
.LBB1532_149:
	v_add_co_u32 v0, vcc_lo, 0x8000, v0
	v_add_co_ci_u32_e64 v1, null, 0, v1, vcc_lo
	flat_store_dwordx2 v[0:1], v[4:5]
.LBB1532_150:
	s_or_b32 exec_lo, exec_lo, s4
                                        ; implicit-def: $vgpr167
                                        ; implicit-def: $vgpr0
                                        ; implicit-def: $vgpr1
                                        ; implicit-def: $vgpr2
                                        ; implicit-def: $vgpr3
                                        ; implicit-def: $vgpr4
                                        ; implicit-def: $vgpr5
                                        ; implicit-def: $vgpr6
                                        ; implicit-def: $vgpr7
                                        ; implicit-def: $vgpr8
                                        ; implicit-def: $vgpr10
                                        ; implicit-def: $vgpr11
                                        ; implicit-def: $vgpr12
                                        ; implicit-def: $vgpr13
                                        ; implicit-def: $vgpr14
                                        ; implicit-def: $vgpr15
                                        ; implicit-def: $vgpr24
                                        ; implicit-def: $vgpr31
.LBB1532_151:
	s_andn2_saveexec_b32 s4, s26
	s_cbranch_execz .LBB1532_382
; %bb.152:
	s_mov_b32 s4, exec_lo
	v_cmpx_lt_u32_e32 0x400, v167
	s_xor_b32 s22, exec_lo, s4
	s_cbranch_execz .LBB1532_262
; %bb.153:
	s_load_dwordx2 s[4:5], s[8:9], 0x0
	v_mov_b32_e32 v9, 0
	v_add_co_u32 v0, vcc_lo, v0, v8
	v_add_co_ci_u32_e64 v1, null, 0, v1, vcc_lo
	v_mov_b32_e32 v18, v9
	v_add_co_u32 v0, vcc_lo, v0, v31
	v_add_co_ci_u32_e64 v1, null, 0, v1, vcc_lo
	v_mov_b32_e32 v19, v9
	v_mov_b32_e32 v20, v9
	v_mov_b32_e32 v21, v9
	v_mov_b32_e32 v22, v9
	s_waitcnt lgkmcnt(0)
	s_cmp_lt_u32 s13, s5
	s_cselect_b32 s5, 14, 20
	s_add_u32 s6, s8, s5
	s_addc_u32 s7, s9, 0
	s_cmp_lt_u32 s12, s4
	global_load_ushort v16, v9, s[6:7]
	s_cselect_b32 s4, 12, 18
	s_add_u32 s4, s8, s4
	s_addc_u32 s5, s9, 0
	global_load_ushort v17, v9, s[4:5]
	s_waitcnt vmcnt(1)
	v_mad_u32_u24 v14, v15, v16, v14
	v_mov_b32_e32 v15, v9
	v_mov_b32_e32 v16, v9
	s_waitcnt vmcnt(0)
	v_mad_u64_u32 v[25:26], null, v14, v17, v[24:25]
	v_mov_b32_e32 v17, v9
	v_lshlrev_b32_e32 v14, 3, v25
	v_and_b32_e32 v14, 0xffffff00, v14
	v_or_b32_e32 v26, v14, v31
	v_add_co_u32 v0, vcc_lo, v0, v14
	v_add_co_ci_u32_e64 v1, null, 0, v1, vcc_lo
	v_cmp_lt_u32_e32 vcc_lo, v26, v167
	s_and_saveexec_b32 s4, vcc_lo
	s_cbranch_execz .LBB1532_155
; %bb.154:
	flat_load_ubyte v16, v[0:1]
	v_mov_b32_e32 v17, v9
	v_mov_b32_e32 v18, v9
	v_mov_b32_e32 v19, v9
	v_mov_b32_e32 v20, v9
	v_mov_b32_e32 v21, v9
	v_mov_b32_e32 v22, v9
.LBB1532_155:
	s_or_b32 exec_lo, exec_lo, s4
	v_or_b32_e32 v23, 32, v26
	v_cmp_lt_u32_e64 s4, v23, v167
	v_mov_b32_e32 v23, v9
	s_and_saveexec_b32 s5, s4
	s_cbranch_execz .LBB1532_157
; %bb.156:
	flat_load_ubyte v23, v[0:1] offset:32
.LBB1532_157:
	s_or_b32 exec_lo, exec_lo, s5
	v_or_b32_e32 v27, 64, v26
	v_cmp_lt_u32_e64 s5, v27, v167
	s_and_saveexec_b32 s6, s5
	s_cbranch_execz .LBB1532_159
; %bb.158:
	flat_load_ubyte v17, v[0:1] offset:64
.LBB1532_159:
	s_or_b32 exec_lo, exec_lo, s6
	v_or_b32_e32 v27, 0x60, v26
	v_cmp_lt_u32_e64 s6, v27, v167
	;; [unrolled: 8-line block ×6, first 2 shown]
	s_and_saveexec_b32 s15, s14
	s_cbranch_execz .LBB1532_169
; %bb.168:
	flat_load_ubyte v22, v[0:1] offset:224
.LBB1532_169:
	s_or_b32 exec_lo, exec_lo, s15
	v_lshlrev_b64 v[0:1], 3, v[8:9]
	v_lshlrev_b32_e32 v9, 3, v31
                                        ; implicit-def: $vgpr32_vgpr33
	v_add_co_u32 v26, s15, v4, v0
	v_add_co_ci_u32_e64 v27, null, v5, v1, s15
	v_lshlrev_b64 v[4:5], 3, v[14:15]
	v_add_co_u32 v9, s15, v26, v9
	v_add_co_ci_u32_e64 v14, null, 0, v27, s15
	v_add_co_u32 v4, s15, v9, v4
	v_add_co_ci_u32_e64 v5, null, v14, v5, s15
	s_and_saveexec_b32 s15, vcc_lo
	s_cbranch_execnz .LBB1532_295
; %bb.170:
	s_or_b32 exec_lo, exec_lo, s15
                                        ; implicit-def: $vgpr34_vgpr35
	s_and_saveexec_b32 s15, s4
	s_cbranch_execnz .LBB1532_296
.LBB1532_171:
	s_or_b32 exec_lo, exec_lo, s15
                                        ; implicit-def: $vgpr36_vgpr37
	s_and_saveexec_b32 s4, s5
	s_cbranch_execnz .LBB1532_297
.LBB1532_172:
	s_or_b32 exec_lo, exec_lo, s4
                                        ; implicit-def: $vgpr38_vgpr39
	s_and_saveexec_b32 s4, s6
	s_cbranch_execnz .LBB1532_298
.LBB1532_173:
	s_or_b32 exec_lo, exec_lo, s4
                                        ; implicit-def: $vgpr48_vgpr49
	s_and_saveexec_b32 s4, s7
	s_cbranch_execnz .LBB1532_299
.LBB1532_174:
	s_or_b32 exec_lo, exec_lo, s4
                                        ; implicit-def: $vgpr50_vgpr51
	s_and_saveexec_b32 s4, s10
	s_cbranch_execnz .LBB1532_300
.LBB1532_175:
	s_or_b32 exec_lo, exec_lo, s4
                                        ; implicit-def: $vgpr52_vgpr53
	s_and_saveexec_b32 s4, s11
	s_cbranch_execnz .LBB1532_301
.LBB1532_176:
	s_or_b32 exec_lo, exec_lo, s4
                                        ; implicit-def: $vgpr54_vgpr55
	s_and_saveexec_b32 s4, s14
	s_cbranch_execz .LBB1532_178
.LBB1532_177:
	flat_load_dwordx2 v[54:55], v[4:5] offset:1792
.LBB1532_178:
	s_or_b32 exec_lo, exec_lo, s4
	s_waitcnt vmcnt(0) lgkmcnt(0)
	v_and_b32_e32 v4, 1, v22
	v_and_b32_e32 v9, 1, v20
	;; [unrolled: 1-line block ×5, first 2 shown]
	v_cmp_eq_u32_e32 vcc_lo, 1, v4
	v_and_b32_e32 v4, 1, v16
	v_cmp_eq_u32_e64 s5, 1, v9
	v_and_b32_e32 v9, 1, v23
	v_cmp_eq_u32_e64 s4, 1, v5
	v_and_b32_e32 v5, 1, v19
	v_cmp_eq_u32_e64 s6, 1, v4
	v_cmp_eq_u32_e64 s14, 1, v15
	v_cmp_eq_u32_e64 s10, 1, v9
	;; [unrolled: 1-line block ×3, first 2 shown]
	v_lshl_add_u32 v19, v24, 5, v12
	s_xor_b32 s6, s6, -1
	v_cmp_eq_u32_e64 s7, 1, v5
	v_cndmask_b32_e64 v4, 0, 1, s6
	s_xor_b32 s6, s10, -1
	v_add_nc_u32_e32 v9, 32, v19
	v_cndmask_b32_e64 v5, 0, 1, s6
	s_xor_b32 s6, s14, -1
	v_add_nc_u32_e32 v98, 36, v19
	;; [unrolled: 3-line block ×3, first 2 shown]
	v_add_nc_u32_e32 v100, 44, v19
	v_add_nc_u32_e32 v101, 48, v19
	;; [unrolled: 1-line block ×5, first 2 shown]
	v_and_b32_e32 v19, 0x3e0, v24
	v_cndmask_b32_e64 v15, 0, 1, s6
	s_xor_b32 s6, s7, -1
	s_xor_b32 s5, s5, -1
	v_cndmask_b32_e64 v16, 0, 1, s6
	s_getpc_b64 s[6:7]
	s_add_u32 s6, s6, _ZN7rocprim17ROCPRIM_400000_NS16block_radix_sortIbLj256ELj8ElLj1ELj1ELj8ELNS0_26block_radix_rank_algorithmE2ELNS0_18block_padding_hintE2ELNS0_4arch9wavefront6targetE0EE19radix_bits_per_passE@rel32@lo+4
	s_addc_u32 s7, s7, _ZN7rocprim17ROCPRIM_400000_NS16block_radix_sortIbLj256ELj8ElLj1ELj1ELj8ELNS0_26block_radix_rank_algorithmE2ELNS0_18block_padding_hintE2ELNS0_4arch9wavefront6targetE0EE19radix_bits_per_passE@rel32@hi+12
	v_and_b32_e32 v22, 15, v31
	s_load_dword s23, s[6:7], 0x0
	v_min_u32_e32 v19, 0xe0, v19
	v_sub_co_u32 v26, s6, v31, 1
	s_xor_b32 s4, s4, -1
	v_cndmask_b32_e64 v17, 0, 1, s5
	v_cndmask_b32_e64 v18, 0, 1, s4
	s_xor_b32 s4, vcc_lo, -1
	v_lshlrev_b32_e32 v21, 3, v24
	v_cndmask_b32_e64 v20, 0, 1, s4
	v_cmp_eq_u32_e32 vcc_lo, 0, v22
	v_cmp_lt_u32_e64 s4, 1, v22
	v_cmp_lt_u32_e64 s5, 3, v22
	v_and_b32_e32 v23, 16, v31
	v_cmp_lt_u32_e64 s7, 7, v22
	v_or_b32_e32 v19, 31, v19
	v_lshrrev_b32_e32 v22, 3, v24
	v_cmp_gt_i32_e64 s11, 0, v26
	v_cmp_eq_u32_e64 s10, 0, v23
	v_and_or_b32 v21, 0x1f00, v21, v31
	v_lshlrev_b16 v5, 8, v5
	v_lshlrev_b16 v15, 8, v15
	v_cndmask_b32_e64 v23, v26, v31, s11
	v_cmp_eq_u32_e64 s11, v24, v19
	v_and_b32_e32 v19, 0x7c, v22
	v_add_nc_u32_e32 v118, v12, v21
	v_lshlrev_b16 v17, 8, v17
	v_and_b32_e32 v22, 7, v31
	v_or_b32_e32 v4, v4, v5
	v_add_nc_u32_e32 v115, v12, v19
	v_mul_u32_u24_e32 v19, 7, v21
	v_or_b32_sdwa v5, v14, v15 dst_sel:WORD_1 dst_unused:UNUSED_PAD src0_sel:DWORD src1_sel:DWORD
	v_or_b32_e32 v14, v16, v17
	v_lshrrev_b32_e32 v113, 5, v25
	v_cmp_gt_u32_e64 s14, 8, v24
	v_add_nc_u32_e32 v131, v118, v19
	v_lshlrev_b16 v19, 8, v20
	v_cmp_lt_u32_e64 s15, 31, v24
	v_lshlrev_b32_e32 v114, 2, v23
	v_cmp_eq_u32_e64 s16, 0, v24
	v_mov_b32_e32 v116, 0
	v_or_b32_sdwa v15, v18, v19 dst_sel:WORD_1 dst_unused:UNUSED_PAD src0_sel:DWORD src1_sel:DWORD
	v_lshl_add_u32 v117, v24, 2, v12
	v_cmp_eq_u32_e64 s17, 0, v22
	v_cmp_lt_u32_e64 s18, 1, v22
	v_cmp_lt_u32_e64 s19, 3, v22
	v_add_nc_u32_e32 v119, -4, v115
	v_add_nc_u32_e32 v128, 32, v118
	v_add_nc_u32_e32 v129, 64, v118
	;; [unrolled: 1-line block ×14, first 2 shown]
	v_or_b32_sdwa v4, v4, v5 dst_sel:DWORD dst_unused:UNUSED_PAD src0_sel:WORD_0 src1_sel:DWORD
	v_or_b32_sdwa v181, v14, v15 dst_sel:DWORD dst_unused:UNUSED_PAD src0_sel:WORD_0 src1_sel:DWORD
	v_sub_nc_u32_e32 v151, v11, v10
	s_mov_b32 s24, 0
	s_waitcnt lgkmcnt(0)
	s_waitcnt_vscnt null, 0x0
	s_barrier
	buffer_gl0_inv
	s_branch .LBB1532_180
.LBB1532_179:                           ;   in Loop: Header=BB1532_180 Depth=1
	s_or_b32 exec_lo, exec_lo, s21
	s_and_b32 s20, exec_lo, s26
	s_or_b32 s24, s20, s24
	s_andn2_b32 exec_lo, exec_lo, s24
	s_cbranch_execz .LBB1532_236
.LBB1532_180:                           ; =>This Inner Loop Header: Depth=1
	v_min_u32_e32 v5, s23, v151
	v_lshrrev_b32_sdwa v14, v10, v4 dst_sel:DWORD dst_unused:UNUSED_PAD src0_sel:DWORD src1_sel:BYTE_0
	v_mov_b32_e32 v30, v32
	v_mov_b32_e32 v31, v33
	;; [unrolled: 1-line block ×3, first 2 shown]
	v_lshlrev_b32_e64 v5, v5, -1
	v_mov_b32_e32 v26, v36
	v_mov_b32_e32 v20, v38
	;; [unrolled: 1-line block ×4, first 2 shown]
	v_not_b32_e32 v64, v5
	v_mov_b32_e32 v22, v52
	v_mov_b32_e32 v29, v35
	;; [unrolled: 1-line block ×4, first 2 shown]
	v_and_b32_e32 v5, v14, v64
	v_mov_b32_e32 v19, v49
	v_mov_b32_e32 v17, v51
	;; [unrolled: 1-line block ×3, first 2 shown]
	ds_write_b32 v9, v116
	ds_write_b32 v98, v116
	v_add_co_u32 v32, s20, v5, -1
	v_cndmask_b32_e64 v14, 0, 1, s20
	v_lshlrev_b32_e32 v33, 3, v5
	ds_write_b32 v99, v116
	ds_write_b32 v100, v116
	ds_write_b32 v101, v116
	ds_write_b32 v102, v116
	ds_write_b32 v103, v116
	v_cmp_ne_u32_e64 s20, 0, v14
	v_add_lshl_u32 v33, v33, v113, 2
	v_mov_b32_e32 v14, v54
	v_mov_b32_e32 v15, v55
	ds_write_b32 v112, v116
	v_xor_b32_e32 v32, s20, v32
	v_add_co_u32 v33, null, v12, v33
	s_waitcnt lgkmcnt(0)
	s_barrier
	v_and_b32_e32 v5, exec_lo, v32
	v_add_co_u32 v33, null, v33, 32
	buffer_gl0_inv
	v_mbcnt_lo_u32_b32 v32, v5, 0
	v_cmp_ne_u32_e64 s21, 0, v5
	; wave barrier
	v_cmp_eq_u32_e64 s20, 0, v32
	s_and_b32 s21, s21, s20
	s_and_saveexec_b32 s20, s21
; %bb.181:                              ;   in Loop: Header=BB1532_180 Depth=1
	v_bcnt_u32_b32 v5, v5, 0
	ds_write_b32 v33, v5
; %bb.182:                              ;   in Loop: Header=BB1532_180 Depth=1
	s_or_b32 exec_lo, exec_lo, s20
	v_lshrrev_b32_sdwa v5, v10, v4 dst_sel:DWORD dst_unused:UNUSED_PAD src0_sel:DWORD src1_sel:BYTE_1
	; wave barrier
	v_and_b32_e32 v5, v5, v64
	v_add_co_u32 v34, s20, v5, -1
	v_cndmask_b32_e64 v35, 0, 1, s20
	v_lshl_add_u32 v5, v5, 3, v113
	v_cmp_ne_u32_e64 s20, 0, v35
	v_lshl_add_u32 v36, v5, 2, v12
	v_xor_b32_e32 v5, s20, v34
	ds_read_b32 v34, v36 offset:32
	v_add_nc_u32_e32 v36, 32, v36
	; wave barrier
	v_and_b32_e32 v37, exec_lo, v5
	v_mov_b32_e32 v5, v181
	v_mbcnt_lo_u32_b32 v35, v37, 0
	v_cmp_ne_u32_e64 s21, 0, v37
	v_cmp_eq_u32_e64 s20, 0, v35
	s_and_b32 s21, s21, s20
	s_and_saveexec_b32 s20, s21
	s_cbranch_execz .LBB1532_184
; %bb.183:                              ;   in Loop: Header=BB1532_180 Depth=1
	s_waitcnt lgkmcnt(0)
	v_bcnt_u32_b32 v37, v37, v34
	ds_write_b32 v36, v37
.LBB1532_184:                           ;   in Loop: Header=BB1532_180 Depth=1
	s_or_b32 exec_lo, exec_lo, s20
	v_lshrrev_b32_sdwa v37, v10, v4 dst_sel:DWORD dst_unused:UNUSED_PAD src0_sel:DWORD src1_sel:BYTE_2
	; wave barrier
	v_and_b32_e32 v37, v37, v64
	v_add_co_u32 v38, s20, v37, -1
	v_cndmask_b32_e64 v39, 0, 1, s20
	v_lshl_add_u32 v37, v37, 3, v113
	v_cmp_ne_u32_e64 s20, 0, v39
	v_lshl_add_u32 v39, v37, 2, v12
	v_xor_b32_e32 v38, s20, v38
	ds_read_b32 v37, v39 offset:32
	v_add_nc_u32_e32 v39, 32, v39
	; wave barrier
	v_and_b32_e32 v48, exec_lo, v38
	v_mbcnt_lo_u32_b32 v38, v48, 0
	v_cmp_ne_u32_e64 s21, 0, v48
	v_cmp_eq_u32_e64 s20, 0, v38
	s_and_b32 s21, s21, s20
	s_and_saveexec_b32 s20, s21
	s_cbranch_execz .LBB1532_186
; %bb.185:                              ;   in Loop: Header=BB1532_180 Depth=1
	s_waitcnt lgkmcnt(0)
	v_bcnt_u32_b32 v48, v48, v37
	ds_write_b32 v39, v48
.LBB1532_186:                           ;   in Loop: Header=BB1532_180 Depth=1
	s_or_b32 exec_lo, exec_lo, s20
	v_alignbit_b32 v48, v5, v4, 24
	; wave barrier
	v_lshrrev_b32_sdwa v48, v10, v48 dst_sel:DWORD dst_unused:UNUSED_PAD src0_sel:DWORD src1_sel:BYTE_0
	v_and_b32_e32 v48, v48, v64
	v_add_co_u32 v49, s20, v48, -1
	v_cndmask_b32_e64 v50, 0, 1, s20
	v_lshl_add_u32 v48, v48, 3, v113
	v_cmp_ne_u32_e64 s20, 0, v50
	v_lshl_add_u32 v50, v48, 2, v12
	v_xor_b32_e32 v49, s20, v49
	ds_read_b32 v48, v50 offset:32
	v_add_nc_u32_e32 v50, 32, v50
	; wave barrier
	v_and_b32_e32 v51, exec_lo, v49
	v_mbcnt_lo_u32_b32 v49, v51, 0
	v_cmp_ne_u32_e64 s21, 0, v51
	v_cmp_eq_u32_e64 s20, 0, v49
	s_and_b32 s21, s21, s20
	s_and_saveexec_b32 s20, s21
	s_cbranch_execz .LBB1532_188
; %bb.187:                              ;   in Loop: Header=BB1532_180 Depth=1
	s_waitcnt lgkmcnt(0)
	v_bcnt_u32_b32 v51, v51, v48
	ds_write_b32 v50, v51
.LBB1532_188:                           ;   in Loop: Header=BB1532_180 Depth=1
	s_or_b32 exec_lo, exec_lo, s20
	v_lshrrev_b32_sdwa v51, v10, v5 dst_sel:DWORD dst_unused:UNUSED_PAD src0_sel:DWORD src1_sel:BYTE_0
	; wave barrier
	v_and_b32_e32 v51, v51, v64
	v_add_co_u32 v52, s20, v51, -1
	v_cndmask_b32_e64 v53, 0, 1, s20
	v_lshl_add_u32 v51, v51, 3, v113
	v_cmp_ne_u32_e64 s20, 0, v53
	v_lshl_add_u32 v53, v51, 2, v12
	v_xor_b32_e32 v52, s20, v52
	ds_read_b32 v51, v53 offset:32
	v_add_nc_u32_e32 v53, 32, v53
	; wave barrier
	v_and_b32_e32 v54, exec_lo, v52
	v_mbcnt_lo_u32_b32 v52, v54, 0
	v_cmp_ne_u32_e64 s21, 0, v54
	v_cmp_eq_u32_e64 s20, 0, v52
	s_and_b32 s21, s21, s20
	s_and_saveexec_b32 s20, s21
	s_cbranch_execz .LBB1532_190
; %bb.189:                              ;   in Loop: Header=BB1532_180 Depth=1
	s_waitcnt lgkmcnt(0)
	v_bcnt_u32_b32 v54, v54, v51
	ds_write_b32 v53, v54
.LBB1532_190:                           ;   in Loop: Header=BB1532_180 Depth=1
	s_or_b32 exec_lo, exec_lo, s20
	v_lshrrev_b32_sdwa v54, v10, v5 dst_sel:DWORD dst_unused:UNUSED_PAD src0_sel:DWORD src1_sel:BYTE_1
	; wave barrier
	v_and_b32_e32 v54, v54, v64
	v_add_co_u32 v55, s20, v54, -1
	v_cndmask_b32_e64 v65, 0, 1, s20
	v_lshl_add_u32 v54, v54, 3, v113
	v_cmp_ne_u32_e64 s20, 0, v65
	v_lshl_add_u32 v65, v54, 2, v12
	v_xor_b32_e32 v55, s20, v55
	ds_read_b32 v54, v65 offset:32
	v_add_nc_u32_e32 v65, 32, v65
	; wave barrier
	v_and_b32_e32 v66, exec_lo, v55
	v_mbcnt_lo_u32_b32 v55, v66, 0
	v_cmp_ne_u32_e64 s21, 0, v66
	v_cmp_eq_u32_e64 s20, 0, v55
	s_and_b32 s21, s21, s20
	s_and_saveexec_b32 s20, s21
	s_cbranch_execz .LBB1532_192
; %bb.191:                              ;   in Loop: Header=BB1532_180 Depth=1
	s_waitcnt lgkmcnt(0)
	v_bcnt_u32_b32 v66, v66, v54
	ds_write_b32 v65, v66
.LBB1532_192:                           ;   in Loop: Header=BB1532_180 Depth=1
	s_or_b32 exec_lo, exec_lo, s20
	v_lshrrev_b32_sdwa v66, v10, v5 dst_sel:DWORD dst_unused:UNUSED_PAD src0_sel:DWORD src1_sel:BYTE_2
	; wave barrier
	v_and_b32_e32 v66, v66, v64
	v_add_co_u32 v67, s20, v66, -1
	v_cndmask_b32_e64 v68, 0, 1, s20
	v_lshl_add_u32 v66, v66, 3, v113
	v_cmp_ne_u32_e64 s20, 0, v68
	v_lshl_add_u32 v68, v66, 2, v12
	v_xor_b32_e32 v67, s20, v67
	ds_read_b32 v66, v68 offset:32
	v_add_nc_u32_e32 v68, 32, v68
	; wave barrier
	v_and_b32_e32 v69, exec_lo, v67
	v_mbcnt_lo_u32_b32 v67, v69, 0
	v_cmp_ne_u32_e64 s21, 0, v69
	v_cmp_eq_u32_e64 s20, 0, v67
	s_and_b32 s21, s21, s20
	s_and_saveexec_b32 s20, s21
	s_cbranch_execz .LBB1532_194
; %bb.193:                              ;   in Loop: Header=BB1532_180 Depth=1
	s_waitcnt lgkmcnt(0)
	v_bcnt_u32_b32 v69, v69, v66
	ds_write_b32 v68, v69
.LBB1532_194:                           ;   in Loop: Header=BB1532_180 Depth=1
	s_or_b32 exec_lo, exec_lo, s20
	v_lshrrev_b32_e32 v160, 24, v5
	; wave barrier
	v_lshrrev_b32_e32 v69, v10, v160
	v_and_b32_e32 v64, v69, v64
	v_add_co_u32 v69, s20, v64, -1
	v_cndmask_b32_e64 v70, 0, 1, s20
	v_lshl_add_u32 v64, v64, 3, v113
	v_cmp_ne_u32_e64 s20, 0, v70
	v_lshl_add_u32 v70, v64, 2, v12
	v_xor_b32_e32 v69, s20, v69
	ds_read_b32 v64, v70 offset:32
	v_add_nc_u32_e32 v70, 32, v70
	; wave barrier
	v_and_b32_e32 v71, exec_lo, v69
	v_mbcnt_lo_u32_b32 v69, v71, 0
	v_cmp_ne_u32_e64 s21, 0, v71
	v_cmp_eq_u32_e64 s20, 0, v69
	s_and_b32 s21, s21, s20
	s_and_saveexec_b32 s20, s21
	s_cbranch_execz .LBB1532_196
; %bb.195:                              ;   in Loop: Header=BB1532_180 Depth=1
	s_waitcnt lgkmcnt(0)
	v_bcnt_u32_b32 v71, v71, v64
	ds_write_b32 v70, v71
.LBB1532_196:                           ;   in Loop: Header=BB1532_180 Depth=1
	s_or_b32 exec_lo, exec_lo, s20
	; wave barrier
	s_waitcnt lgkmcnt(0)
	s_barrier
	buffer_gl0_inv
	ds_read_b32 v80, v9
	ds_read_b32 v81, v98
	;; [unrolled: 1-line block ×8, first 2 shown]
	s_waitcnt lgkmcnt(6)
	v_add_nc_u32_e32 v87, v81, v80
	s_waitcnt lgkmcnt(4)
	v_add3_u32 v87, v87, v82, v83
	s_waitcnt lgkmcnt(2)
	v_add3_u32 v87, v87, v84, v85
	;; [unrolled: 2-line block ×3, first 2 shown]
	v_mov_b32_dpp v87, v86 row_shr:1 row_mask:0xf bank_mask:0xf
	v_cndmask_b32_e64 v87, v87, 0, vcc_lo
	v_add_nc_u32_e32 v86, v87, v86
	v_mov_b32_dpp v87, v86 row_shr:2 row_mask:0xf bank_mask:0xf
	v_cndmask_b32_e64 v87, 0, v87, s4
	v_add_nc_u32_e32 v86, v86, v87
	v_mov_b32_dpp v87, v86 row_shr:4 row_mask:0xf bank_mask:0xf
	v_cndmask_b32_e64 v87, 0, v87, s5
	;; [unrolled: 3-line block ×3, first 2 shown]
	v_add_nc_u32_e32 v86, v86, v87
	ds_swizzle_b32 v87, v86 offset:swizzle(BROADCAST,32,15)
	s_waitcnt lgkmcnt(0)
	v_cndmask_b32_e64 v87, v87, 0, s10
	v_add_nc_u32_e32 v86, v86, v87
	s_and_saveexec_b32 s20, s11
; %bb.197:                              ;   in Loop: Header=BB1532_180 Depth=1
	ds_write_b32 v115, v86
; %bb.198:                              ;   in Loop: Header=BB1532_180 Depth=1
	s_or_b32 exec_lo, exec_lo, s20
	s_waitcnt lgkmcnt(0)
	s_barrier
	buffer_gl0_inv
	s_and_saveexec_b32 s20, s14
	s_cbranch_execz .LBB1532_200
; %bb.199:                              ;   in Loop: Header=BB1532_180 Depth=1
	ds_read_b32 v87, v117
	s_waitcnt lgkmcnt(0)
	v_mov_b32_dpp v96, v87 row_shr:1 row_mask:0xf bank_mask:0xf
	v_cndmask_b32_e64 v96, v96, 0, s17
	v_add_nc_u32_e32 v87, v96, v87
	v_mov_b32_dpp v96, v87 row_shr:2 row_mask:0xf bank_mask:0xf
	v_cndmask_b32_e64 v96, 0, v96, s18
	v_add_nc_u32_e32 v87, v87, v96
	;; [unrolled: 3-line block ×3, first 2 shown]
	ds_write_b32 v117, v87
.LBB1532_200:                           ;   in Loop: Header=BB1532_180 Depth=1
	s_or_b32 exec_lo, exec_lo, s20
	v_mov_b32_e32 v87, 0
	s_waitcnt lgkmcnt(0)
	s_barrier
	buffer_gl0_inv
	s_and_saveexec_b32 s20, s15
; %bb.201:                              ;   in Loop: Header=BB1532_180 Depth=1
	ds_read_b32 v87, v119
; %bb.202:                              ;   in Loop: Header=BB1532_180 Depth=1
	s_or_b32 exec_lo, exec_lo, s20
	s_waitcnt lgkmcnt(0)
	v_add_nc_u32_e32 v86, v87, v86
	v_add_nc_u32_e32 v10, 8, v10
	v_mov_b32_e32 v177, v4
	v_lshrrev_b32_e32 v178, 8, v4
	v_lshrrev_b32_e32 v182, 16, v4
	ds_bpermute_b32 v86, v114, v86
	v_lshrrev_b32_e32 v179, 8, v5
	v_lshrrev_b32_e32 v180, 16, v5
	v_cmp_lt_u32_e64 s20, v10, v11
	s_mov_b32 s26, -1
                                        ; implicit-def: $vgpr181
	s_waitcnt lgkmcnt(0)
	v_cndmask_b32_e64 v86, v86, v87, s6
	v_cndmask_b32_e64 v86, v86, 0, s16
	v_add_nc_u32_e32 v80, v86, v80
	v_add_nc_u32_e32 v81, v80, v81
	ds_write_b32 v9, v86
	ds_write_b32 v98, v80
	;; [unrolled: 1-line block ×3, first 2 shown]
	v_lshrrev_b64 v[86:87], 24, v[4:5]
	v_add_nc_u32_e32 v82, v81, v82
	v_add_nc_u32_e32 v83, v82, v83
	;; [unrolled: 1-line block ×5, first 2 shown]
	ds_write_b32 v100, v82
	ds_write_b32 v101, v83
	;; [unrolled: 1-line block ×5, first 2 shown]
	s_waitcnt lgkmcnt(0)
	s_barrier
	buffer_gl0_inv
	ds_read_b32 v33, v33
	ds_read_b32 v36, v36
	;; [unrolled: 1-line block ×8, first 2 shown]
	s_waitcnt lgkmcnt(0)
	v_add_nc_u32_e32 v176, v33, v32
	v_add3_u32 v166, v35, v34, v36
	v_add3_u32 v165, v38, v37, v39
	;; [unrolled: 1-line block ×6, first 2 shown]
	v_add_co_u32 v68, s21, v12, v176
	v_add3_u32 v87, v69, v64, v70
	v_add_co_ci_u32_e64 v69, null, 0, v13, s21
	v_add_co_u32 v80, s21, v12, v166
	v_add_co_ci_u32_e64 v81, null, 0, v13, s21
	v_add_co_u32 v64, s21, v12, v165
	;; [unrolled: 2-line block ×7, first 2 shown]
	v_add_co_ci_u32_e64 v97, null, 0, v13, s21
                                        ; implicit-def: $vgpr32_vgpr33
                                        ; implicit-def: $vgpr34_vgpr35
                                        ; implicit-def: $vgpr36_vgpr37
                                        ; implicit-def: $vgpr38_vgpr39
                                        ; implicit-def: $vgpr48_vgpr49
                                        ; implicit-def: $vgpr50_vgpr51
                                        ; implicit-def: $vgpr52_vgpr53
                                        ; implicit-def: $vgpr54_vgpr55
	s_and_saveexec_b32 s21, s20
	s_cbranch_execz .LBB1532_179
; %bb.203:                              ;   in Loop: Header=BB1532_180 Depth=1
	v_mad_u64_u32 v[32:33], null, v176, 7, v[68:69]
	v_mad_u64_u32 v[33:34], null, v166, 7, v[80:81]
	;; [unrolled: 1-line block ×4, first 2 shown]
	s_barrier
	buffer_gl0_inv
	ds_write_b8 v68, v4
	ds_write_b8 v80, v178
	;; [unrolled: 1-line block ×8, first 2 shown]
	s_waitcnt lgkmcnt(0)
	s_barrier
	buffer_gl0_inv
	ds_read_u8 v4, v130
	ds_read_u8 v181, v129
	;; [unrolled: 1-line block ×8, first 2 shown]
	v_mad_u64_u32 v[36:37], null, v163, 7, v[70:71]
	v_mad_u64_u32 v[37:38], null, v162, 7, v[82:83]
	;; [unrolled: 1-line block ×4, first 2 shown]
	s_waitcnt lgkmcnt(0)
	s_barrier
	buffer_gl0_inv
	ds_write_b64 v32, v[30:31]
	ds_write_b64 v33, v[28:29]
	;; [unrolled: 1-line block ×8, first 2 shown]
	s_waitcnt lgkmcnt(0)
	s_barrier
	buffer_gl0_inv
	ds_read_b64 v[32:33], v131
	ds_read_b64 v[34:35], v144
	;; [unrolled: 1-line block ×8, first 2 shown]
	v_perm_b32 v183, v192, v183, 0xc0c0004
	v_perm_b32 v4, v181, v4, 0xc0c0004
	;; [unrolled: 1-line block ×4, first 2 shown]
	v_add_nc_u32_e32 v151, -8, v151
	s_xor_b32 s26, exec_lo, -1
	v_lshl_or_b32 v4, v4, 16, v183
	s_waitcnt lgkmcnt(0)
	v_lshl_or_b32 v181, v192, 16, v181
	s_barrier
	buffer_gl0_inv
	s_branch .LBB1532_179
.LBB1532_204:
	flat_load_dwordx2 v[86:87], v[4:5]
	s_or_b32 exec_lo, exec_lo, s24
                                        ; implicit-def: $vgpr96_vgpr97
	s_and_saveexec_b32 s24, s4
	s_cbranch_execz .LBB1532_38
.LBB1532_205:
	flat_load_dwordx2 v[96:97], v[4:5] offset:256
	s_or_b32 exec_lo, exec_lo, s24
                                        ; implicit-def: $vgpr98_vgpr99
	s_and_saveexec_b32 s4, s5
	s_cbranch_execz .LBB1532_39
.LBB1532_206:
	flat_load_dwordx2 v[98:99], v[4:5] offset:512
	s_or_b32 exec_lo, exec_lo, s4
                                        ; implicit-def: $vgpr100_vgpr101
	s_and_saveexec_b32 s4, s6
	s_cbranch_execz .LBB1532_40
.LBB1532_207:
	flat_load_dwordx2 v[100:101], v[4:5] offset:768
	s_or_b32 exec_lo, exec_lo, s4
                                        ; implicit-def: $vgpr102_vgpr103
	s_and_saveexec_b32 s4, s7
	s_cbranch_execz .LBB1532_41
.LBB1532_208:
	flat_load_dwordx2 v[102:103], v[4:5] offset:1024
	s_or_b32 exec_lo, exec_lo, s4
                                        ; implicit-def: $vgpr112_vgpr113
	s_and_saveexec_b32 s4, s10
	s_cbranch_execz .LBB1532_42
.LBB1532_209:
	flat_load_dwordx2 v[112:113], v[4:5] offset:1280
	s_or_b32 exec_lo, exec_lo, s4
                                        ; implicit-def: $vgpr114_vgpr115
	s_and_saveexec_b32 s4, s11
	s_cbranch_execz .LBB1532_43
.LBB1532_210:
	flat_load_dwordx2 v[114:115], v[4:5] offset:1536
	s_or_b32 exec_lo, exec_lo, s4
                                        ; implicit-def: $vgpr116_vgpr117
	s_and_saveexec_b32 s4, s14
	s_cbranch_execz .LBB1532_44
.LBB1532_211:
	flat_load_dwordx2 v[116:117], v[4:5] offset:1792
	s_or_b32 exec_lo, exec_lo, s4
                                        ; implicit-def: $vgpr118_vgpr119
	s_and_saveexec_b32 s4, s15
	s_cbranch_execz .LBB1532_45
.LBB1532_212:
	v_add_co_u32 v14, vcc_lo, 0x800, v4
	v_add_co_ci_u32_e64 v15, null, 0, v5, vcc_lo
	flat_load_dwordx2 v[118:119], v[14:15]
	s_or_b32 exec_lo, exec_lo, s4
                                        ; implicit-def: $vgpr128_vgpr129
	s_and_saveexec_b32 s4, s16
	s_cbranch_execz .LBB1532_46
.LBB1532_213:
	v_add_co_u32 v14, vcc_lo, 0x800, v4
	v_add_co_ci_u32_e64 v15, null, 0, v5, vcc_lo
	flat_load_dwordx2 v[128:129], v[14:15] offset:256
	s_or_b32 exec_lo, exec_lo, s4
                                        ; implicit-def: $vgpr130_vgpr131
	s_and_saveexec_b32 s4, s17
	s_cbranch_execz .LBB1532_47
.LBB1532_214:
	v_add_co_u32 v14, vcc_lo, 0x800, v4
	v_add_co_ci_u32_e64 v15, null, 0, v5, vcc_lo
	flat_load_dwordx2 v[130:131], v[14:15] offset:512
	s_or_b32 exec_lo, exec_lo, s4
                                        ; implicit-def: $vgpr132_vgpr133
	s_and_saveexec_b32 s4, s18
	s_cbranch_execz .LBB1532_48
.LBB1532_215:
	v_add_co_u32 v14, vcc_lo, 0x800, v4
	v_add_co_ci_u32_e64 v15, null, 0, v5, vcc_lo
	flat_load_dwordx2 v[132:133], v[14:15] offset:768
	s_or_b32 exec_lo, exec_lo, s4
                                        ; implicit-def: $vgpr134_vgpr135
	s_and_saveexec_b32 s4, s19
	s_cbranch_execz .LBB1532_49
.LBB1532_216:
	v_add_co_u32 v14, vcc_lo, 0x800, v4
	v_add_co_ci_u32_e64 v15, null, 0, v5, vcc_lo
	flat_load_dwordx2 v[134:135], v[14:15] offset:1024
	s_or_b32 exec_lo, exec_lo, s4
                                        ; implicit-def: $vgpr144_vgpr145
	s_and_saveexec_b32 s4, s20
	s_cbranch_execz .LBB1532_50
.LBB1532_217:
	v_add_co_u32 v14, vcc_lo, 0x800, v4
	v_add_co_ci_u32_e64 v15, null, 0, v5, vcc_lo
	flat_load_dwordx2 v[144:145], v[14:15] offset:1280
	s_or_b32 exec_lo, exec_lo, s4
                                        ; implicit-def: $vgpr146_vgpr147
	s_and_saveexec_b32 s4, s21
	s_cbranch_execz .LBB1532_51
.LBB1532_218:
	v_add_co_u32 v14, vcc_lo, 0x800, v4
	v_add_co_ci_u32_e64 v15, null, 0, v5, vcc_lo
	flat_load_dwordx2 v[146:147], v[14:15] offset:1536
	s_or_b32 exec_lo, exec_lo, s4
                                        ; implicit-def: $vgpr148_vgpr149
	s_and_saveexec_b32 s4, s22
	s_cbranch_execz .LBB1532_52
.LBB1532_219:
	v_add_co_u32 v14, vcc_lo, 0x800, v4
	v_add_co_ci_u32_e64 v15, null, 0, v5, vcc_lo
	flat_load_dwordx2 v[148:149], v[14:15] offset:1792
	s_or_b32 exec_lo, exec_lo, s4
                                        ; implicit-def: $vgpr161_vgpr162
	s_and_saveexec_b32 s4, s23
	s_cbranch_execnz .LBB1532_53
	s_branch .LBB1532_54
.LBB1532_220:
	flat_store_dwordx2 v[0:1], v[48:49]
	s_or_b32 exec_lo, exec_lo, s24
	s_and_saveexec_b32 s24, s17
	s_cbranch_execz .LBB1532_134
.LBB1532_221:
	v_add_co_u32 v2, s4, 0x800, v0
	v_add_co_ci_u32_e64 v3, null, 0, v1, s4
	flat_store_dwordx2 v[2:3], v[50:51]
	s_or_b32 exec_lo, exec_lo, s24
	s_and_saveexec_b32 s17, s15
	s_cbranch_execz .LBB1532_135
.LBB1532_222:
	v_add_co_u32 v2, s4, 0x1000, v0
	v_add_co_ci_u32_e64 v3, null, 0, v1, s4
	flat_store_dwordx2 v[2:3], v[33:34]
	s_or_b32 exec_lo, exec_lo, s17
	s_and_saveexec_b32 s15, s14
	s_cbranch_execz .LBB1532_136
.LBB1532_223:
	v_add_co_u32 v2, s4, 0x1800, v0
	v_add_co_ci_u32_e64 v3, null, 0, v1, s4
	flat_store_dwordx2 v[2:3], v[35:36]
	s_or_b32 exec_lo, exec_lo, s15
	s_and_saveexec_b32 s14, s11
	s_cbranch_execz .LBB1532_137
.LBB1532_224:
	v_add_co_u32 v2, s4, 0x2000, v0
	v_add_co_ci_u32_e64 v3, null, 0, v1, s4
	flat_store_dwordx2 v[2:3], v[29:30]
	s_or_b32 exec_lo, exec_lo, s14
	s_and_saveexec_b32 s11, s7
	s_cbranch_execz .LBB1532_138
.LBB1532_225:
	v_add_co_u32 v2, s4, 0x2800, v0
	v_add_co_ci_u32_e64 v3, null, 0, v1, s4
	flat_store_dwordx2 v[2:3], v[31:32]
	s_or_b32 exec_lo, exec_lo, s11
	s_and_saveexec_b32 s7, s6
	s_cbranch_execz .LBB1532_139
.LBB1532_226:
	v_add_co_u32 v2, s4, 0x3000, v0
	v_add_co_ci_u32_e64 v3, null, 0, v1, s4
	flat_store_dwordx2 v[2:3], v[25:26]
	s_or_b32 exec_lo, exec_lo, s7
	s_and_saveexec_b32 s6, s5
	s_cbranch_execz .LBB1532_140
.LBB1532_227:
	v_add_co_u32 v2, s4, 0x3800, v0
	v_add_co_ci_u32_e64 v3, null, 0, v1, s4
	flat_store_dwordx2 v[2:3], v[27:28]
	s_or_b32 exec_lo, exec_lo, s6
	s_and_saveexec_b32 s4, vcc_lo
	s_cbranch_execz .LBB1532_141
.LBB1532_228:
	v_add_co_u32 v2, vcc_lo, 0x4000, v0
	v_add_co_ci_u32_e64 v3, null, 0, v1, vcc_lo
	flat_store_dwordx2 v[2:3], v[21:22]
	s_or_b32 exec_lo, exec_lo, s4
	s_and_saveexec_b32 s4, s10
	s_cbranch_execz .LBB1532_142
.LBB1532_229:
	v_add_co_u32 v2, vcc_lo, 0x4800, v0
	v_add_co_ci_u32_e64 v3, null, 0, v1, vcc_lo
	flat_store_dwordx2 v[2:3], v[23:24]
	s_or_b32 exec_lo, exec_lo, s4
	s_and_saveexec_b32 s4, s16
	s_cbranch_execz .LBB1532_143
.LBB1532_230:
	v_add_co_u32 v2, vcc_lo, 0x5000, v0
	v_add_co_ci_u32_e64 v3, null, 0, v1, vcc_lo
	flat_store_dwordx2 v[2:3], v[17:18]
	s_or_b32 exec_lo, exec_lo, s4
	s_and_saveexec_b32 s4, s18
	s_cbranch_execz .LBB1532_144
.LBB1532_231:
	v_add_co_u32 v2, vcc_lo, 0x5800, v0
	v_add_co_ci_u32_e64 v3, null, 0, v1, vcc_lo
	flat_store_dwordx2 v[2:3], v[19:20]
	s_or_b32 exec_lo, exec_lo, s4
	s_and_saveexec_b32 s4, s19
	s_cbranch_execz .LBB1532_145
.LBB1532_232:
	v_add_co_u32 v2, vcc_lo, 0x6000, v0
	v_add_co_ci_u32_e64 v3, null, 0, v1, vcc_lo
	flat_store_dwordx2 v[2:3], v[13:14]
	s_or_b32 exec_lo, exec_lo, s4
	s_and_saveexec_b32 s4, s20
	s_cbranch_execz .LBB1532_146
.LBB1532_233:
	v_add_co_u32 v2, vcc_lo, 0x6800, v0
	v_add_co_ci_u32_e64 v3, null, 0, v1, vcc_lo
	flat_store_dwordx2 v[2:3], v[15:16]
	s_or_b32 exec_lo, exec_lo, s4
	s_and_saveexec_b32 s4, s21
	s_cbranch_execz .LBB1532_147
.LBB1532_234:
	v_add_co_u32 v2, vcc_lo, 0x7000, v0
	v_add_co_ci_u32_e64 v3, null, 0, v1, vcc_lo
	flat_store_dwordx2 v[2:3], v[9:10]
	s_or_b32 exec_lo, exec_lo, s4
	s_and_saveexec_b32 s4, s22
	s_cbranch_execz .LBB1532_148
.LBB1532_235:
	v_add_co_u32 v2, vcc_lo, 0x7800, v0
	v_add_co_ci_u32_e64 v3, null, 0, v1, vcc_lo
	flat_store_dwordx2 v[2:3], v[11:12]
	s_or_b32 exec_lo, exec_lo, s4
	s_and_saveexec_b32 s4, s23
	s_cbranch_execnz .LBB1532_149
	s_branch .LBB1532_150
.LBB1532_236:
	s_or_b32 exec_lo, exec_lo, s24
	v_mad_u64_u32 v[9:10], null, v176, 7, v[68:69]
	v_mad_u64_u32 v[10:11], null, v166, 7, v[80:81]
	v_add_nc_u32_e32 v38, v12, v24
	s_barrier
	buffer_gl0_inv
	ds_write_b8 v68, v177
	ds_write_b8 v80, v178
	ds_write_b8 v64, v182
	ds_write_b8 v66, v86
	ds_write_b8 v70, v5
	ds_write_b8 v82, v179
	ds_write_b8 v84, v180
	ds_write_b8 v96, v160
	s_waitcnt lgkmcnt(0)
	s_barrier
	buffer_gl0_inv
	ds_read_u8 v37, v38
	ds_read_u8 v36, v38 offset:256
	ds_read_u8 v35, v38 offset:512
	;; [unrolled: 1-line block ×7, first 2 shown]
	s_waitcnt lgkmcnt(0)
	s_barrier
	buffer_gl0_inv
	ds_write_b64 v9, v[30:31]
	ds_write_b64 v10, v[28:29]
	v_mad_u64_u32 v[9:10], null, v165, 7, v[64:65]
	v_mad_u64_u32 v[28:29], null, v161, 7, v[84:85]
	;; [unrolled: 1-line block ×4, first 2 shown]
	ds_write_b64 v9, v[26:27]
	v_mul_u32_u24_e32 v9, 7, v24
	v_mad_u64_u32 v[11:12], null, v163, 7, v[70:71]
	v_mad_u64_u32 v[12:13], null, v162, 7, v[82:83]
	v_add_nc_u32_e32 v9, v38, v9
	ds_write_b64 v10, v[20:21]
	ds_write_b64 v11, v[18:19]
	;; [unrolled: 1-line block ×5, first 2 shown]
	s_waitcnt lgkmcnt(0)
	s_barrier
	buffer_gl0_inv
	ds_read2st64_b64 v[21:24], v9 offset1:4
	ds_read2st64_b64 v[17:20], v9 offset0:8 offset1:12
	ds_read2st64_b64 v[13:16], v9 offset0:16 offset1:20
	;; [unrolled: 1-line block ×3, first 2 shown]
	v_add_co_u32 v2, vcc_lo, v2, v8
	v_add_co_ci_u32_e64 v3, null, 0, v3, vcc_lo
	v_mov_b32_e32 v26, 0
	v_add_co_u32 v2, vcc_lo, v2, v25
	v_add_co_ci_u32_e64 v3, null, 0, v3, vcc_lo
	v_cmp_lt_u32_e32 vcc_lo, v25, v167
	s_waitcnt lgkmcnt(0)
	s_barrier
	buffer_gl0_inv
	s_and_saveexec_b32 s4, vcc_lo
	s_cbranch_execz .LBB1532_238
; %bb.237:
	v_xor_b32_e32 v8, 1, v37
	flat_store_byte v[2:3], v8
.LBB1532_238:
	s_or_b32 exec_lo, exec_lo, s4
	v_add_nc_u32_e32 v8, 0x100, v25
	v_cmp_lt_u32_e64 s14, v8, v167
	s_and_saveexec_b32 s4, s14
	s_cbranch_execz .LBB1532_240
; %bb.239:
	v_xor_b32_e32 v8, 1, v36
	flat_store_byte v[2:3], v8 offset:256
.LBB1532_240:
	s_or_b32 exec_lo, exec_lo, s4
	v_add_nc_u32_e32 v8, 0x200, v25
	v_cmp_lt_u32_e64 s11, v8, v167
	s_and_saveexec_b32 s4, s11
	s_cbranch_execz .LBB1532_242
; %bb.241:
	v_xor_b32_e32 v8, 1, v35
	flat_store_byte v[2:3], v8 offset:512
.LBB1532_242:
	;; [unrolled: 9-line block ×7, first 2 shown]
	s_or_b32 exec_lo, exec_lo, s15
	v_lshlrev_b64 v[2:3], 3, v[25:26]
	v_add_co_u32 v0, s15, v6, v0
	v_add_co_ci_u32_e64 v1, null, v7, v1, s15
	v_add_co_u32 v0, s15, v0, v2
	v_add_co_ci_u32_e64 v1, null, v1, v3, s15
	s_and_saveexec_b32 s15, vcc_lo
	s_cbranch_execnz .LBB1532_302
; %bb.253:
	s_or_b32 exec_lo, exec_lo, s15
	s_and_saveexec_b32 s15, s14
	s_cbranch_execnz .LBB1532_303
.LBB1532_254:
	s_or_b32 exec_lo, exec_lo, s15
	s_and_saveexec_b32 s14, s11
	s_cbranch_execnz .LBB1532_304
.LBB1532_255:
	s_or_b32 exec_lo, exec_lo, s14
	s_and_saveexec_b32 s11, s10
	s_cbranch_execnz .LBB1532_305
.LBB1532_256:
	s_or_b32 exec_lo, exec_lo, s11
	s_and_saveexec_b32 s10, s7
	s_cbranch_execnz .LBB1532_306
.LBB1532_257:
	s_or_b32 exec_lo, exec_lo, s10
	s_and_saveexec_b32 s7, s6
	s_cbranch_execnz .LBB1532_307
.LBB1532_258:
	s_or_b32 exec_lo, exec_lo, s7
	s_and_saveexec_b32 s6, s5
	s_cbranch_execnz .LBB1532_308
.LBB1532_259:
	s_or_b32 exec_lo, exec_lo, s6
	s_and_saveexec_b32 s5, s4
	s_cbranch_execz .LBB1532_261
.LBB1532_260:
	v_add_co_u32 v0, vcc_lo, 0x3800, v0
	v_add_co_ci_u32_e64 v1, null, 0, v1, vcc_lo
	flat_store_dwordx2 v[0:1], v[11:12]
.LBB1532_261:
	s_or_b32 exec_lo, exec_lo, s5
                                        ; implicit-def: $vgpr167
                                        ; implicit-def: $vgpr0
                                        ; implicit-def: $vgpr1
                                        ; implicit-def: $vgpr2
                                        ; implicit-def: $vgpr3
                                        ; implicit-def: $vgpr4
                                        ; implicit-def: $vgpr5
                                        ; implicit-def: $vgpr6
                                        ; implicit-def: $vgpr7
                                        ; implicit-def: $vgpr8
                                        ; implicit-def: $vgpr10
                                        ; implicit-def: $vgpr11
                                        ; implicit-def: $vgpr12
                                        ; implicit-def: $vgpr13
                                        ; implicit-def: $vgpr14
                                        ; implicit-def: $vgpr15
                                        ; implicit-def: $vgpr24
                                        ; implicit-def: $vgpr31
.LBB1532_262:
	s_andn2_saveexec_b32 s4, s22
	s_cbranch_execz .LBB1532_382
; %bb.263:
	s_mov_b32 s4, exec_lo
	v_cmpx_lt_u32_e32 0x200, v167
	s_xor_b32 s22, exec_lo, s4
	s_cbranch_execz .LBB1532_323
; %bb.264:
	s_load_dwordx2 s[4:5], s[8:9], 0x0
	v_mov_b32_e32 v9, 0
	v_add_co_u32 v0, vcc_lo, v0, v8
	v_add_co_ci_u32_e64 v1, null, 0, v1, vcc_lo
	v_mov_b32_e32 v19, v9
	v_add_co_u32 v0, vcc_lo, v0, v31
	v_add_co_ci_u32_e64 v1, null, 0, v1, vcc_lo
	s_waitcnt lgkmcnt(0)
	s_cmp_lt_u32 s13, s5
	s_cselect_b32 s5, 14, 20
	s_add_u32 s6, s8, s5
	s_addc_u32 s7, s9, 0
	s_cmp_lt_u32 s12, s4
	global_load_ushort v16, v9, s[6:7]
	s_cselect_b32 s4, 12, 18
	s_add_u32 s4, s8, s4
	s_addc_u32 s5, s9, 0
	global_load_ushort v17, v9, s[4:5]
	s_waitcnt vmcnt(1)
	v_mad_u32_u24 v14, v15, v16, v14
	v_mov_b32_e32 v15, v9
	v_mov_b32_e32 v16, v9
	s_waitcnt vmcnt(0)
	v_mad_u64_u32 v[17:18], null, v14, v17, v[24:25]
	v_mov_b32_e32 v18, v9
	v_lshlrev_b32_e32 v14, 2, v17
	v_and_b32_e32 v14, 0xffffff80, v14
	v_or_b32_e32 v21, v14, v31
	v_add_co_u32 v0, vcc_lo, v0, v14
	v_add_co_ci_u32_e64 v1, null, 0, v1, vcc_lo
	v_cmp_lt_u32_e32 vcc_lo, v21, v167
	s_and_saveexec_b32 s4, vcc_lo
	s_cbranch_execz .LBB1532_266
; %bb.265:
	flat_load_ubyte v16, v[0:1]
	v_mov_b32_e32 v18, v9
	v_mov_b32_e32 v19, v9
.LBB1532_266:
	s_or_b32 exec_lo, exec_lo, s4
	v_or_b32_e32 v20, 32, v21
	v_cmp_lt_u32_e64 s4, v20, v167
	v_mov_b32_e32 v20, v9
	s_and_saveexec_b32 s5, s4
	s_cbranch_execz .LBB1532_268
; %bb.267:
	flat_load_ubyte v20, v[0:1] offset:32
.LBB1532_268:
	s_or_b32 exec_lo, exec_lo, s5
	v_or_b32_e32 v22, 64, v21
	v_cmp_lt_u32_e64 s5, v22, v167
	s_and_saveexec_b32 s6, s5
	s_cbranch_execz .LBB1532_270
; %bb.269:
	flat_load_ubyte v18, v[0:1] offset:64
.LBB1532_270:
	s_or_b32 exec_lo, exec_lo, s6
	v_or_b32_e32 v21, 0x60, v21
	v_cmp_lt_u32_e64 s6, v21, v167
	s_and_saveexec_b32 s7, s6
	s_cbranch_execz .LBB1532_272
; %bb.271:
	flat_load_ubyte v19, v[0:1] offset:96
.LBB1532_272:
	s_or_b32 exec_lo, exec_lo, s7
	v_lshlrev_b64 v[0:1], 3, v[8:9]
	v_lshlrev_b32_e32 v9, 3, v31
	v_add_co_u32 v21, s7, v4, v0
	v_add_co_ci_u32_e64 v22, null, v5, v1, s7
	v_lshlrev_b64 v[4:5], 3, v[14:15]
	v_add_co_u32 v9, s7, v21, v9
	v_add_co_ci_u32_e64 v14, null, 0, v22, s7
                                        ; implicit-def: $vgpr22_vgpr23
	v_add_co_u32 v4, s7, v9, v4
	v_add_co_ci_u32_e64 v5, null, v14, v5, s7
	s_and_saveexec_b32 s7, vcc_lo
	s_cbranch_execnz .LBB1532_347
; %bb.273:
	s_or_b32 exec_lo, exec_lo, s7
                                        ; implicit-def: $vgpr25_vgpr26
	s_and_saveexec_b32 s7, s4
	s_cbranch_execnz .LBB1532_348
.LBB1532_274:
	s_or_b32 exec_lo, exec_lo, s7
                                        ; implicit-def: $vgpr27_vgpr28
	s_and_saveexec_b32 s4, s5
	s_cbranch_execnz .LBB1532_349
.LBB1532_275:
	s_or_b32 exec_lo, exec_lo, s4
                                        ; implicit-def: $vgpr29_vgpr30
	s_and_saveexec_b32 s4, s6
	s_cbranch_execz .LBB1532_277
.LBB1532_276:
	flat_load_dwordx2 v[29:30], v[4:5] offset:768
.LBB1532_277:
	s_or_b32 exec_lo, exec_lo, s4
	s_waitcnt vmcnt(0) lgkmcnt(0)
	v_and_b32_e32 v4, 1, v20
	v_and_b32_e32 v5, 1, v19
	;; [unrolled: 1-line block ×4, first 2 shown]
	v_lshl_add_u32 v15, v24, 5, v12
	v_cmp_eq_u32_e32 vcc_lo, 1, v4
	v_cmp_eq_u32_e64 s4, 1, v5
	v_cmp_eq_u32_e64 s6, 1, v14
	;; [unrolled: 1-line block ×3, first 2 shown]
	v_add_nc_u32_e32 v16, 36, v15
	s_xor_b32 s7, vcc_lo, -1
	s_xor_b32 s4, s4, -1
	v_cndmask_b32_e64 v4, 0, 1, s7
	v_cndmask_b32_e64 v5, 0, 1, s4
	s_xor_b32 s4, s6, -1
	v_add_nc_u32_e32 v39, 40, v15
	v_cndmask_b32_e64 v9, 0, 1, s4
	s_xor_b32 s4, s5, -1
	v_lshlrev_b16 v4, 8, v4
	v_cndmask_b32_e64 v14, 0, 1, s4
	v_lshlrev_b16 v5, 8, v5
	v_add_nc_u32_e32 v50, 44, v15
	v_add_nc_u32_e32 v51, 48, v15
	v_or_b32_e32 v4, v9, v4
	v_add_nc_u32_e32 v9, 32, v15
	v_or_b32_sdwa v5, v14, v5 dst_sel:WORD_1 dst_unused:UNUSED_PAD src0_sel:DWORD src1_sel:DWORD
	v_add_nc_u32_e32 v52, 52, v15
	v_add_nc_u32_e32 v53, 56, v15
	;; [unrolled: 1-line block ×3, first 2 shown]
	v_sub_co_u32 v15, s6, v31, 1
	v_or_b32_sdwa v64, v4, v5 dst_sel:DWORD dst_unused:UNUSED_PAD src0_sel:WORD_0 src1_sel:DWORD
	v_and_b32_e32 v4, 0x3e0, v24
	v_and_b32_e32 v5, 15, v31
	;; [unrolled: 1-line block ×3, first 2 shown]
	v_cmp_gt_i32_e64 s14, 0, v15
	s_getpc_b64 s[4:5]
	s_add_u32 s4, s4, _ZN7rocprim17ROCPRIM_400000_NS16block_radix_sortIbLj256ELj4ElLj1ELj1ELj8ELNS0_26block_radix_rank_algorithmE2ELNS0_18block_padding_hintE2ELNS0_4arch9wavefront6targetE0EE19radix_bits_per_passE@rel32@lo+4
	s_addc_u32 s5, s5, _ZN7rocprim17ROCPRIM_400000_NS16block_radix_sortIbLj256ELj4ElLj1ELj1ELj8ELNS0_26block_radix_rank_algorithmE2ELNS0_18block_padding_hintE2ELNS0_4arch9wavefront6targetE0EE19radix_bits_per_passE@rel32@hi+12
	v_min_u32_e32 v4, 0xe0, v4
	s_load_dword s23, s[4:5], 0x0
	v_cmp_eq_u32_e32 vcc_lo, 0, v5
	v_cmp_lt_u32_e64 s4, 1, v5
	v_cmp_lt_u32_e64 s5, 3, v5
	v_or_b32_e32 v4, 31, v4
	v_cmp_lt_u32_e64 s7, 7, v5
	v_cmp_eq_u32_e64 s10, 0, v14
	v_cndmask_b32_e64 v5, v15, v31, s14
	v_lshlrev_b32_e32 v14, 2, v24
	v_cmp_eq_u32_e64 s11, v24, v4
	v_lshrrev_b32_e32 v4, 3, v24
	v_lshrrev_b32_e32 v55, 5, v17
	v_lshlrev_b32_e32 v65, 2, v5
	v_and_or_b32 v5, 0xf80, v14, v31
	v_cmp_gt_u32_e64 s14, 8, v24
	v_and_b32_e32 v4, 0x7c, v4
	v_cmp_lt_u32_e64 s15, 31, v24
	v_cmp_eq_u32_e64 s16, 0, v24
	v_add_nc_u32_e32 v68, v12, v5
	v_mul_u32_u24_e32 v5, 7, v5
	v_add_nc_u32_e32 v66, v12, v4
	v_and_b32_e32 v4, 7, v31
	v_mov_b32_e32 v67, 0
	v_add_nc_u32_e32 v69, v12, v14
	v_add_nc_u32_e32 v70, v68, v5
	v_add_nc_u32_e32 v71, -4, v66
	v_cmp_eq_u32_e64 s17, 0, v4
	v_cmp_lt_u32_e64 s18, 1, v4
	v_cmp_lt_u32_e64 s19, 3, v4
	v_add_nc_u32_e32 v80, 32, v68
	v_add_nc_u32_e32 v81, 64, v68
	;; [unrolled: 1-line block ×6, first 2 shown]
	v_sub_nc_u32_e32 v86, v11, v10
	s_mov_b32 s24, 0
	s_waitcnt lgkmcnt(0)
	s_waitcnt_vscnt null, 0x0
	s_barrier
	buffer_gl0_inv
	s_branch .LBB1532_279
.LBB1532_278:                           ;   in Loop: Header=BB1532_279 Depth=1
	s_or_b32 exec_lo, exec_lo, s21
	s_and_b32 s20, exec_lo, s26
	s_or_b32 s24, s20, s24
	s_andn2_b32 exec_lo, exec_lo, s24
	s_cbranch_execz .LBB1532_309
.LBB1532_279:                           ; =>This Inner Loop Header: Depth=1
	v_min_u32_e32 v4, s23, v86
	v_lshrrev_b32_sdwa v5, v10, v64 dst_sel:DWORD dst_unused:UNUSED_PAD src0_sel:DWORD src1_sel:BYTE_0
	v_mov_b32_e32 v18, v22
	v_mov_b32_e32 v19, v23
	;; [unrolled: 1-line block ×3, first 2 shown]
	v_lshlrev_b32_e64 v4, v4, -1
	v_mov_b32_e32 v15, v26
	v_mov_b32_e32 v20, v27
	;; [unrolled: 1-line block ×3, first 2 shown]
	ds_write_b32 v9, v67
	ds_write_b32 v16, v67
	v_not_b32_e32 v31, v4
	ds_write_b32 v39, v67
	ds_write_b32 v50, v67
	;; [unrolled: 1-line block ×6, first 2 shown]
	v_and_b32_e32 v32, v5, v31
	s_waitcnt lgkmcnt(0)
	s_barrier
	buffer_gl0_inv
	v_add_co_u32 v33, s20, v32, -1
	v_cndmask_b32_e64 v4, 0, 1, s20
	v_lshlrev_b32_e32 v23, 3, v32
	; wave barrier
	v_cmp_ne_u32_e64 s20, 0, v4
	v_add_lshl_u32 v23, v23, v55, 2
	v_mov_b32_e32 v4, v29
	v_mov_b32_e32 v5, v30
	v_xor_b32_e32 v22, s20, v33
	v_add_co_u32 v23, null, v12, v23
	v_and_b32_e32 v25, exec_lo, v22
	v_add_co_u32 v23, null, v23, 32
	v_mbcnt_lo_u32_b32 v22, v25, 0
	v_cmp_ne_u32_e64 s21, 0, v25
	v_cmp_eq_u32_e64 s20, 0, v22
	s_and_b32 s21, s21, s20
	s_and_saveexec_b32 s20, s21
; %bb.280:                              ;   in Loop: Header=BB1532_279 Depth=1
	v_bcnt_u32_b32 v25, v25, 0
	ds_write_b32 v23, v25
; %bb.281:                              ;   in Loop: Header=BB1532_279 Depth=1
	s_or_b32 exec_lo, exec_lo, s20
	v_lshrrev_b32_sdwa v25, v10, v64 dst_sel:DWORD dst_unused:UNUSED_PAD src0_sel:DWORD src1_sel:BYTE_1
	; wave barrier
	v_and_b32_e32 v25, v25, v31
	v_add_co_u32 v26, s20, v25, -1
	v_cndmask_b32_e64 v27, 0, 1, s20
	v_lshl_add_u32 v25, v25, 3, v55
	v_cmp_ne_u32_e64 s20, 0, v27
	v_lshl_add_u32 v27, v25, 2, v12
	v_xor_b32_e32 v26, s20, v26
	ds_read_b32 v25, v27 offset:32
	v_add_nc_u32_e32 v27, 32, v27
	; wave barrier
	v_and_b32_e32 v28, exec_lo, v26
	v_mbcnt_lo_u32_b32 v26, v28, 0
	v_cmp_ne_u32_e64 s21, 0, v28
	v_cmp_eq_u32_e64 s20, 0, v26
	s_and_b32 s21, s21, s20
	s_and_saveexec_b32 s20, s21
	s_cbranch_execz .LBB1532_283
; %bb.282:                              ;   in Loop: Header=BB1532_279 Depth=1
	s_waitcnt lgkmcnt(0)
	v_bcnt_u32_b32 v28, v28, v25
	ds_write_b32 v27, v28
.LBB1532_283:                           ;   in Loop: Header=BB1532_279 Depth=1
	s_or_b32 exec_lo, exec_lo, s20
	v_lshrrev_b32_sdwa v28, v10, v64 dst_sel:DWORD dst_unused:UNUSED_PAD src0_sel:DWORD src1_sel:BYTE_2
	; wave barrier
	v_and_b32_e32 v28, v28, v31
	v_add_co_u32 v29, s20, v28, -1
	v_cndmask_b32_e64 v30, 0, 1, s20
	v_lshl_add_u32 v28, v28, 3, v55
	v_cmp_ne_u32_e64 s20, 0, v30
	v_lshl_add_u32 v30, v28, 2, v12
	v_xor_b32_e32 v29, s20, v29
	ds_read_b32 v28, v30 offset:32
	v_add_nc_u32_e32 v30, 32, v30
	; wave barrier
	v_and_b32_e32 v32, exec_lo, v29
	v_mbcnt_lo_u32_b32 v29, v32, 0
	v_cmp_ne_u32_e64 s21, 0, v32
	v_cmp_eq_u32_e64 s20, 0, v29
	s_and_b32 s21, s21, s20
	s_and_saveexec_b32 s20, s21
	s_cbranch_execz .LBB1532_285
; %bb.284:                              ;   in Loop: Header=BB1532_279 Depth=1
	s_waitcnt lgkmcnt(0)
	v_bcnt_u32_b32 v32, v32, v28
	ds_write_b32 v30, v32
.LBB1532_285:                           ;   in Loop: Header=BB1532_279 Depth=1
	s_or_b32 exec_lo, exec_lo, s20
	v_lshrrev_b32_e32 v87, 24, v64
	; wave barrier
	v_lshrrev_b32_e32 v32, v10, v87
	v_and_b32_e32 v31, v32, v31
	v_add_co_u32 v32, s20, v31, -1
	v_cndmask_b32_e64 v33, 0, 1, s20
	v_lshl_add_u32 v31, v31, 3, v55
	v_cmp_ne_u32_e64 s20, 0, v33
	v_lshl_add_u32 v33, v31, 2, v12
	v_xor_b32_e32 v32, s20, v32
	ds_read_b32 v31, v33 offset:32
	v_add_nc_u32_e32 v33, 32, v33
	; wave barrier
	v_and_b32_e32 v34, exec_lo, v32
	v_mbcnt_lo_u32_b32 v32, v34, 0
	v_cmp_ne_u32_e64 s21, 0, v34
	v_cmp_eq_u32_e64 s20, 0, v32
	s_and_b32 s21, s21, s20
	s_and_saveexec_b32 s20, s21
	s_cbranch_execz .LBB1532_287
; %bb.286:                              ;   in Loop: Header=BB1532_279 Depth=1
	s_waitcnt lgkmcnt(0)
	v_bcnt_u32_b32 v34, v34, v31
	ds_write_b32 v33, v34
.LBB1532_287:                           ;   in Loop: Header=BB1532_279 Depth=1
	s_or_b32 exec_lo, exec_lo, s20
	; wave barrier
	s_waitcnt lgkmcnt(0)
	s_barrier
	buffer_gl0_inv
	ds_read_b32 v35, v9
	ds_read_b32 v36, v16
	;; [unrolled: 1-line block ×8, first 2 shown]
	s_waitcnt lgkmcnt(6)
	v_add_nc_u32_e32 v97, v36, v35
	s_waitcnt lgkmcnt(4)
	v_add3_u32 v97, v97, v37, v38
	s_waitcnt lgkmcnt(2)
	v_add3_u32 v97, v97, v48, v49
	;; [unrolled: 2-line block ×3, first 2 shown]
	v_mov_b32_dpp v97, v96 row_shr:1 row_mask:0xf bank_mask:0xf
	v_cndmask_b32_e64 v97, v97, 0, vcc_lo
	v_add_nc_u32_e32 v96, v97, v96
	v_mov_b32_dpp v97, v96 row_shr:2 row_mask:0xf bank_mask:0xf
	v_cndmask_b32_e64 v97, 0, v97, s4
	v_add_nc_u32_e32 v96, v96, v97
	v_mov_b32_dpp v97, v96 row_shr:4 row_mask:0xf bank_mask:0xf
	v_cndmask_b32_e64 v97, 0, v97, s5
	;; [unrolled: 3-line block ×3, first 2 shown]
	v_add_nc_u32_e32 v96, v96, v97
	ds_swizzle_b32 v97, v96 offset:swizzle(BROADCAST,32,15)
	s_waitcnt lgkmcnt(0)
	v_cndmask_b32_e64 v97, v97, 0, s10
	v_add_nc_u32_e32 v96, v96, v97
	s_and_saveexec_b32 s20, s11
; %bb.288:                              ;   in Loop: Header=BB1532_279 Depth=1
	ds_write_b32 v66, v96
; %bb.289:                              ;   in Loop: Header=BB1532_279 Depth=1
	s_or_b32 exec_lo, exec_lo, s20
	s_waitcnt lgkmcnt(0)
	s_barrier
	buffer_gl0_inv
	s_and_saveexec_b32 s20, s14
	s_cbranch_execz .LBB1532_291
; %bb.290:                              ;   in Loop: Header=BB1532_279 Depth=1
	ds_read_b32 v97, v69
	s_waitcnt lgkmcnt(0)
	v_mov_b32_dpp v98, v97 row_shr:1 row_mask:0xf bank_mask:0xf
	v_cndmask_b32_e64 v98, v98, 0, s17
	v_add_nc_u32_e32 v97, v98, v97
	v_mov_b32_dpp v98, v97 row_shr:2 row_mask:0xf bank_mask:0xf
	v_cndmask_b32_e64 v98, 0, v98, s18
	v_add_nc_u32_e32 v97, v97, v98
	;; [unrolled: 3-line block ×3, first 2 shown]
	ds_write_b32 v69, v97
.LBB1532_291:                           ;   in Loop: Header=BB1532_279 Depth=1
	s_or_b32 exec_lo, exec_lo, s20
	v_mov_b32_e32 v97, 0
	s_waitcnt lgkmcnt(0)
	s_barrier
	buffer_gl0_inv
	s_and_saveexec_b32 s20, s15
; %bb.292:                              ;   in Loop: Header=BB1532_279 Depth=1
	ds_read_b32 v97, v71
; %bb.293:                              ;   in Loop: Header=BB1532_279 Depth=1
	s_or_b32 exec_lo, exec_lo, s20
	s_waitcnt lgkmcnt(0)
	v_add_nc_u32_e32 v96, v97, v96
	v_add_nc_u32_e32 v10, 8, v10
	v_mov_b32_e32 v99, v64
	v_lshrrev_b32_e32 v100, 8, v64
	v_lshrrev_b32_e32 v101, 16, v64
	ds_bpermute_b32 v96, v65, v96
	s_mov_b32 s26, -1
	s_waitcnt lgkmcnt(0)
	v_cndmask_b32_e64 v96, v96, v97, s6
	v_cndmask_b32_e64 v96, v96, 0, s16
	v_add_nc_u32_e32 v35, v96, v35
	v_add_nc_u32_e32 v36, v35, v36
	ds_write_b32 v9, v96
	ds_write_b32 v16, v35
	;; [unrolled: 1-line block ×3, first 2 shown]
	v_add_nc_u32_e32 v37, v36, v37
	v_add_nc_u32_e32 v38, v37, v38
	;; [unrolled: 1-line block ×5, first 2 shown]
	ds_write_b32 v50, v37
	ds_write_b32 v51, v38
	;; [unrolled: 1-line block ×5, first 2 shown]
	s_waitcnt lgkmcnt(0)
	s_barrier
	buffer_gl0_inv
	ds_read_b32 v23, v23
	ds_read_b32 v27, v27
	ds_read_b32 v30, v30
	ds_read_b32 v33, v33
	s_waitcnt lgkmcnt(0)
	v_add_nc_u32_e32 v22, v23, v22
	v_add3_u32 v98, v26, v25, v27
	v_add3_u32 v97, v29, v28, v30
	;; [unrolled: 1-line block ×3, first 2 shown]
                                        ; implicit-def: $vgpr25_vgpr26
                                        ; implicit-def: $vgpr27_vgpr28
                                        ; implicit-def: $vgpr29_vgpr30
	v_add_co_u32 v48, s21, v12, v22
	v_add_co_ci_u32_e64 v49, null, 0, v13, s21
	v_add_co_u32 v31, s21, v12, v98
	v_add_co_ci_u32_e64 v32, null, 0, v13, s21
	v_add_co_u32 v35, s21, v12, v97
	v_mad_u64_u32 v[33:34], null, v22, 7, v[48:49]
	v_add_co_ci_u32_e64 v36, null, 0, v13, s21
	v_add_co_u32 v37, s21, v12, v96
	v_add_co_ci_u32_e64 v38, null, 0, v13, s21
	s_mov_b32 s21, exec_lo
                                        ; implicit-def: $vgpr22_vgpr23
	v_cmpx_lt_u32_e64 v10, v11
	s_cbranch_execz .LBB1532_278
; %bb.294:                              ;   in Loop: Header=BB1532_279 Depth=1
	s_barrier
	buffer_gl0_inv
	ds_write_b8 v48, v64
	ds_write_b8 v31, v100
	;; [unrolled: 1-line block ×4, first 2 shown]
	s_waitcnt lgkmcnt(0)
	s_barrier
	buffer_gl0_inv
	ds_read_u8 v34, v80
	ds_read_u8 v49, v68
	;; [unrolled: 1-line block ×4, first 2 shown]
	v_mad_u64_u32 v[22:23], null, v98, 7, v[31:32]
	v_mad_u64_u32 v[25:26], null, v97, 7, v[35:36]
	;; [unrolled: 1-line block ×3, first 2 shown]
	s_waitcnt lgkmcnt(0)
	s_barrier
	buffer_gl0_inv
	ds_write_b64 v33, v[18:19]
	ds_write_b64 v22, v[14:15]
	;; [unrolled: 1-line block ×4, first 2 shown]
	s_waitcnt lgkmcnt(0)
	s_barrier
	buffer_gl0_inv
	ds_read_b64 v[22:23], v70
	ds_read_b64 v[25:26], v83
	;; [unrolled: 1-line block ×4, first 2 shown]
	v_add_nc_u32_e32 v86, -8, v86
	s_xor_b32 s26, exec_lo, -1
	s_waitcnt lgkmcnt(0)
	v_perm_b32 v34, v49, v34, 0xc0c0004
	s_barrier
	v_perm_b32 v49, v102, v64, 0xc0c0004
	buffer_gl0_inv
	v_lshl_or_b32 v64, v49, 16, v34
	s_branch .LBB1532_278
.LBB1532_295:
	flat_load_dwordx2 v[32:33], v[4:5]
	s_or_b32 exec_lo, exec_lo, s15
                                        ; implicit-def: $vgpr34_vgpr35
	s_and_saveexec_b32 s15, s4
	s_cbranch_execz .LBB1532_171
.LBB1532_296:
	flat_load_dwordx2 v[34:35], v[4:5] offset:256
	s_or_b32 exec_lo, exec_lo, s15
                                        ; implicit-def: $vgpr36_vgpr37
	s_and_saveexec_b32 s4, s5
	s_cbranch_execz .LBB1532_172
.LBB1532_297:
	flat_load_dwordx2 v[36:37], v[4:5] offset:512
	s_or_b32 exec_lo, exec_lo, s4
                                        ; implicit-def: $vgpr38_vgpr39
	s_and_saveexec_b32 s4, s6
	s_cbranch_execz .LBB1532_173
.LBB1532_298:
	flat_load_dwordx2 v[38:39], v[4:5] offset:768
	s_or_b32 exec_lo, exec_lo, s4
                                        ; implicit-def: $vgpr48_vgpr49
	s_and_saveexec_b32 s4, s7
	s_cbranch_execz .LBB1532_174
.LBB1532_299:
	flat_load_dwordx2 v[48:49], v[4:5] offset:1024
	s_or_b32 exec_lo, exec_lo, s4
                                        ; implicit-def: $vgpr50_vgpr51
	s_and_saveexec_b32 s4, s10
	s_cbranch_execz .LBB1532_175
.LBB1532_300:
	flat_load_dwordx2 v[50:51], v[4:5] offset:1280
	s_or_b32 exec_lo, exec_lo, s4
                                        ; implicit-def: $vgpr52_vgpr53
	s_and_saveexec_b32 s4, s11
	s_cbranch_execz .LBB1532_176
.LBB1532_301:
	flat_load_dwordx2 v[52:53], v[4:5] offset:1536
	s_or_b32 exec_lo, exec_lo, s4
                                        ; implicit-def: $vgpr54_vgpr55
	s_and_saveexec_b32 s4, s14
	s_cbranch_execnz .LBB1532_177
	s_branch .LBB1532_178
.LBB1532_302:
	flat_store_dwordx2 v[0:1], v[21:22]
	s_or_b32 exec_lo, exec_lo, s15
	s_and_saveexec_b32 s15, s14
	s_cbranch_execz .LBB1532_254
.LBB1532_303:
	v_add_co_u32 v2, vcc_lo, 0x800, v0
	v_add_co_ci_u32_e64 v3, null, 0, v1, vcc_lo
	flat_store_dwordx2 v[2:3], v[23:24]
	s_or_b32 exec_lo, exec_lo, s15
	s_and_saveexec_b32 s14, s11
	s_cbranch_execz .LBB1532_255
.LBB1532_304:
	v_add_co_u32 v2, vcc_lo, 0x1000, v0
	v_add_co_ci_u32_e64 v3, null, 0, v1, vcc_lo
	flat_store_dwordx2 v[2:3], v[17:18]
	s_or_b32 exec_lo, exec_lo, s14
	s_and_saveexec_b32 s11, s10
	s_cbranch_execz .LBB1532_256
.LBB1532_305:
	v_add_co_u32 v2, vcc_lo, 0x1800, v0
	v_add_co_ci_u32_e64 v3, null, 0, v1, vcc_lo
	flat_store_dwordx2 v[2:3], v[19:20]
	s_or_b32 exec_lo, exec_lo, s11
	s_and_saveexec_b32 s10, s7
	s_cbranch_execz .LBB1532_257
.LBB1532_306:
	v_add_co_u32 v2, vcc_lo, 0x2000, v0
	v_add_co_ci_u32_e64 v3, null, 0, v1, vcc_lo
	flat_store_dwordx2 v[2:3], v[13:14]
	s_or_b32 exec_lo, exec_lo, s10
	s_and_saveexec_b32 s7, s6
	s_cbranch_execz .LBB1532_258
.LBB1532_307:
	v_add_co_u32 v2, vcc_lo, 0x2800, v0
	v_add_co_ci_u32_e64 v3, null, 0, v1, vcc_lo
	flat_store_dwordx2 v[2:3], v[15:16]
	s_or_b32 exec_lo, exec_lo, s7
	s_and_saveexec_b32 s6, s5
	s_cbranch_execz .LBB1532_259
.LBB1532_308:
	v_add_co_u32 v2, vcc_lo, 0x3000, v0
	v_add_co_ci_u32_e64 v3, null, 0, v1, vcc_lo
	flat_store_dwordx2 v[2:3], v[9:10]
	s_or_b32 exec_lo, exec_lo, s6
	s_and_saveexec_b32 s5, s4
	s_cbranch_execnz .LBB1532_260
	s_branch .LBB1532_261
.LBB1532_309:
	s_or_b32 exec_lo, exec_lo, s24
	v_mad_u64_u32 v[9:10], null, v98, 7, v[31:32]
	v_mad_u64_u32 v[10:11], null, v97, 7, v[35:36]
	v_add_nc_u32_e32 v13, v12, v24
	v_mad_u64_u32 v[11:12], null, v96, 7, v[37:38]
	v_mul_u32_u24_e32 v12, 7, v24
	s_barrier
	buffer_gl0_inv
	ds_write_b8 v48, v99
	ds_write_b8 v31, v100
	;; [unrolled: 1-line block ×4, first 2 shown]
	s_waitcnt lgkmcnt(0)
	s_barrier
	buffer_gl0_inv
	ds_read_u8 v26, v13
	ds_read_u8 v25, v13 offset:256
	ds_read_u8 v23, v13 offset:512
	ds_read_u8 v22, v13 offset:768
	s_waitcnt lgkmcnt(0)
	s_barrier
	buffer_gl0_inv
	ds_write_b64 v33, v[18:19]
	ds_write_b64 v9, v[14:15]
	;; [unrolled: 1-line block ×3, first 2 shown]
	v_add_nc_u32_e32 v9, v13, v12
	ds_write_b64 v11, v[4:5]
	s_waitcnt lgkmcnt(0)
	s_barrier
	buffer_gl0_inv
	ds_read2st64_b64 v[13:16], v9 offset1:4
	ds_read2st64_b64 v[9:12], v9 offset0:8 offset1:12
	v_add_co_u32 v2, vcc_lo, v2, v8
	v_add_co_ci_u32_e64 v3, null, 0, v3, vcc_lo
	v_mov_b32_e32 v18, 0
	v_add_co_u32 v2, vcc_lo, v2, v17
	v_add_co_ci_u32_e64 v3, null, 0, v3, vcc_lo
	v_cmp_lt_u32_e32 vcc_lo, v17, v167
	s_waitcnt lgkmcnt(0)
	s_barrier
	buffer_gl0_inv
	s_and_saveexec_b32 s4, vcc_lo
	s_cbranch_execz .LBB1532_311
; %bb.310:
	v_xor_b32_e32 v4, 1, v26
	flat_store_byte v[2:3], v4
.LBB1532_311:
	s_or_b32 exec_lo, exec_lo, s4
	v_add_nc_u32_e32 v4, 0x100, v17
	v_cmp_lt_u32_e64 s6, v4, v167
	s_and_saveexec_b32 s4, s6
	s_cbranch_execz .LBB1532_313
; %bb.312:
	v_xor_b32_e32 v4, 1, v25
	flat_store_byte v[2:3], v4 offset:256
.LBB1532_313:
	s_or_b32 exec_lo, exec_lo, s4
	v_add_nc_u32_e32 v4, 0x200, v17
	v_cmp_lt_u32_e64 s5, v4, v167
	s_and_saveexec_b32 s4, s5
	s_cbranch_execz .LBB1532_315
; %bb.314:
	v_xor_b32_e32 v4, 1, v23
	flat_store_byte v[2:3], v4 offset:512
.LBB1532_315:
	;; [unrolled: 9-line block ×3, first 2 shown]
	s_or_b32 exec_lo, exec_lo, s7
	v_lshlrev_b64 v[2:3], 3, v[17:18]
	v_add_co_u32 v0, s7, v6, v0
	v_add_co_ci_u32_e64 v1, null, v7, v1, s7
	v_add_co_u32 v0, s7, v0, v2
	v_add_co_ci_u32_e64 v1, null, v1, v3, s7
	s_and_saveexec_b32 s7, vcc_lo
	s_cbranch_execnz .LBB1532_350
; %bb.318:
	s_or_b32 exec_lo, exec_lo, s7
	s_and_saveexec_b32 s7, s6
	s_cbranch_execnz .LBB1532_351
.LBB1532_319:
	s_or_b32 exec_lo, exec_lo, s7
	s_and_saveexec_b32 s6, s5
	s_cbranch_execnz .LBB1532_352
.LBB1532_320:
	s_or_b32 exec_lo, exec_lo, s6
	s_and_saveexec_b32 s5, s4
	s_cbranch_execz .LBB1532_322
.LBB1532_321:
	v_add_co_u32 v0, vcc_lo, 0x1800, v0
	v_add_co_ci_u32_e64 v1, null, 0, v1, vcc_lo
	flat_store_dwordx2 v[0:1], v[11:12]
.LBB1532_322:
	s_or_b32 exec_lo, exec_lo, s5
                                        ; implicit-def: $vgpr167
                                        ; implicit-def: $vgpr0
                                        ; implicit-def: $vgpr1
                                        ; implicit-def: $vgpr2
                                        ; implicit-def: $vgpr3
                                        ; implicit-def: $vgpr4
                                        ; implicit-def: $vgpr5
                                        ; implicit-def: $vgpr6
                                        ; implicit-def: $vgpr7
                                        ; implicit-def: $vgpr8
                                        ; implicit-def: $vgpr10
                                        ; implicit-def: $vgpr11
                                        ; implicit-def: $vgpr12
                                        ; implicit-def: $vgpr13
                                        ; implicit-def: $vgpr14
                                        ; implicit-def: $vgpr15
                                        ; implicit-def: $vgpr24
                                        ; implicit-def: $vgpr31
.LBB1532_323:
	s_andn2_saveexec_b32 s4, s22
	s_cbranch_execz .LBB1532_382
; %bb.324:
	s_load_dwordx2 s[4:5], s[8:9], 0x0
	v_mov_b32_e32 v9, 0
	s_waitcnt lgkmcnt(0)
	s_cmp_lt_u32 s13, s5
	s_cselect_b32 s5, 14, 20
	s_add_u32 s6, s8, s5
	s_addc_u32 s7, s9, 0
	s_cmp_lt_u32 s12, s4
	global_load_ushort v16, v9, s[6:7]
	s_cselect_b32 s4, 12, 18
	s_add_u32 s4, s8, s4
	s_addc_u32 s5, s9, 0
	global_load_ushort v17, v9, s[4:5]
	s_mov_b32 s4, exec_lo
	s_waitcnt vmcnt(1)
	v_mad_u32_u24 v14, v15, v16, v14
	s_waitcnt vmcnt(0)
	v_mad_u64_u32 v[14:15], null, v14, v17, v[24:25]
	v_cmpx_lt_u32_e32 0x100, v167
	s_xor_b32 s18, exec_lo, s4
	s_cbranch_execz .LBB1532_362
; %bb.325:
	v_lshlrev_b32_e32 v15, 1, v14
	v_add_co_u32 v0, vcc_lo, v0, v8
	v_add_co_ci_u32_e64 v1, null, 0, v1, vcc_lo
	v_and_b32_e32 v15, 0xffffffc0, v15
	v_add_co_u32 v0, vcc_lo, v0, v31
	v_add_co_ci_u32_e64 v1, null, 0, v1, vcc_lo
	v_or_b32_e32 v17, v31, v15
	v_add_co_u32 v0, vcc_lo, v0, v15
	v_mov_b32_e32 v16, v9
	v_add_co_ci_u32_e64 v1, null, 0, v1, vcc_lo
	v_cmp_lt_u32_e32 vcc_lo, v17, v167
	v_mov_b32_e32 v21, v9
	s_and_saveexec_b32 s4, vcc_lo
	s_cbranch_execz .LBB1532_327
; %bb.326:
	flat_load_ubyte v21, v[0:1]
.LBB1532_327:
	s_or_b32 exec_lo, exec_lo, s4
	v_or_b32_e32 v17, 32, v17
	v_mov_b32_e32 v22, v9
	v_cmp_lt_u32_e64 s4, v17, v167
	s_and_saveexec_b32 s5, s4
	s_cbranch_execz .LBB1532_329
; %bb.328:
	flat_load_ubyte v22, v[0:1] offset:32
.LBB1532_329:
	s_or_b32 exec_lo, exec_lo, s5
	v_lshlrev_b64 v[0:1], 3, v[8:9]
	v_lshlrev_b32_e32 v9, 3, v31
	v_lshlrev_b64 v[15:16], 3, v[15:16]
	v_mov_b32_e32 v17, 0
	v_mov_b32_e32 v19, 0
	;; [unrolled: 1-line block ×3, first 2 shown]
	v_add_co_u32 v4, s5, v4, v0
	v_add_co_ci_u32_e64 v5, null, v5, v1, s5
	v_mov_b32_e32 v20, 0
	v_add_co_u32 v4, s5, v4, v9
	v_add_co_ci_u32_e64 v5, null, 0, v5, s5
	v_add_co_u32 v4, s5, v4, v15
	v_add_co_ci_u32_e64 v5, null, v5, v16, s5
	s_and_saveexec_b32 s5, vcc_lo
	s_cbranch_execz .LBB1532_331
; %bb.330:
	flat_load_dwordx2 v[19:20], v[4:5]
.LBB1532_331:
	s_or_b32 exec_lo, exec_lo, s5
	s_and_saveexec_b32 s5, s4
	s_cbranch_execz .LBB1532_333
; %bb.332:
	flat_load_dwordx2 v[17:18], v[4:5] offset:256
.LBB1532_333:
	s_or_b32 exec_lo, exec_lo, s5
	s_waitcnt vmcnt(0) lgkmcnt(0)
	v_and_b32_e32 v4, 1, v22
	v_and_b32_e32 v5, 1, v21
	s_getpc_b64 s[6:7]
	s_add_u32 s6, s6, _ZN7rocprim17ROCPRIM_400000_NS16block_radix_sortIbLj256ELj2ElLj1ELj1ELj8ELNS0_26block_radix_rank_algorithmE2ELNS0_18block_padding_hintE2ELNS0_4arch9wavefront6targetE0EE19radix_bits_per_passE@rel32@lo+4
	s_addc_u32 s7, s7, _ZN7rocprim17ROCPRIM_400000_NS16block_radix_sortIbLj256ELj2ElLj1ELj1ELj8ELNS0_26block_radix_rank_algorithmE2ELNS0_18block_padding_hintE2ELNS0_4arch9wavefront6targetE0EE19radix_bits_per_passE@rel32@hi+12
	v_lshl_add_u32 v15, v24, 5, v12
	v_and_b32_e32 v16, 0x3e0, v24
	v_cmp_eq_u32_e32 vcc_lo, 1, v4
	v_cmp_eq_u32_e64 s4, 1, v5
	v_and_b32_e32 v4, 15, v31
	s_load_dword s19, s[6:7], 0x0
	v_add_nc_u32_e32 v23, 32, v15
	s_xor_b32 s5, vcc_lo, -1
	s_xor_b32 s4, s4, -1
	v_cndmask_b32_e64 v5, 0, 1, s5
	v_cndmask_b32_e64 v21, 0, 1, s4
	v_add_nc_u32_e32 v32, 36, v15
	v_add_nc_u32_e32 v33, 40, v15
	v_add_nc_u32_e32 v34, 44, v15
	v_lshlrev_b16 v5, 8, v5
	v_add_nc_u32_e32 v35, 48, v15
	v_add_nc_u32_e32 v36, 52, v15
	;; [unrolled: 1-line block ×4, first 2 shown]
	v_or_b32_e32 v5, v21, v5
	v_min_u32_e32 v15, 0xe0, v16
	v_sub_co_u32 v16, s6, v31, 1
	v_cmp_eq_u32_e32 vcc_lo, 0, v4
	v_and_b32_e32 v39, 0xffff, v5
	v_cmp_lt_u32_e64 s4, 1, v4
	v_cmp_lt_u32_e64 s5, 3, v4
	v_and_b32_e32 v5, 16, v31
	v_or_b32_e32 v15, 31, v15
	v_cmp_lt_u32_e64 s7, 7, v4
	v_lshlrev_b32_e32 v4, 1, v24
	v_cmp_gt_i32_e64 s10, 0, v16
	v_cmp_eq_u32_e64 s8, 0, v5
	v_cmp_eq_u32_e64 s9, v24, v15
	v_lshrrev_b32_e32 v15, 3, v24
	v_and_or_b32 v4, 0x7c0, v4, v31
	v_cndmask_b32_e64 v5, v16, v31, s10
	v_lshrrev_b32_e32 v9, 5, v14
	v_cmp_gt_u32_e64 s10, 8, v24
	v_cmp_lt_u32_e64 s11, 31, v24
	v_cmp_eq_u32_e64 s12, 0, v24
	v_lshlrev_b32_e32 v48, 2, v5
	v_and_b32_e32 v5, 0x7c, v15
	v_and_b32_e32 v15, 7, v31
	v_add_nc_u32_e32 v31, v12, v4
	v_mul_u32_u24_e32 v4, 7, v4
	v_mov_b32_e32 v50, 0
	v_add_nc_u32_e32 v49, v12, v5
	v_lshl_add_u32 v51, v24, 2, v12
	v_cmp_eq_u32_e64 s13, 0, v15
	v_add_nc_u32_e32 v52, v31, v4
	v_cmp_lt_u32_e64 s14, 1, v15
	v_cmp_lt_u32_e64 s15, 3, v15
	v_add_nc_u32_e32 v53, -4, v49
	v_add_nc_u32_e32 v54, 32, v31
	v_add_nc_u32_e32 v55, 0x100, v52
	v_sub_nc_u32_e32 v64, v11, v10
	s_mov_b32 s20, 0
	s_waitcnt lgkmcnt(0)
	s_waitcnt_vscnt null, 0x0
	s_barrier
	buffer_gl0_inv
	s_branch .LBB1532_335
.LBB1532_334:                           ;   in Loop: Header=BB1532_335 Depth=1
	s_or_b32 exec_lo, exec_lo, s17
	s_and_b32 s16, exec_lo, s21
	s_or_b32 s20, s16, s20
	s_andn2_b32 exec_lo, exec_lo, s20
	s_cbranch_execz .LBB1532_353
.LBB1532_335:                           ; =>This Inner Loop Header: Depth=1
	v_min_u32_e32 v4, s19, v64
	v_lshrrev_b32_sdwa v5, v10, v39 dst_sel:DWORD dst_unused:UNUSED_PAD src0_sel:DWORD src1_sel:BYTE_0
	v_mov_b32_e32 v15, v19
	v_mov_b32_e32 v16, v20
	ds_write_b32 v23, v50
	ds_write_b32 v32, v50
	v_lshlrev_b32_e64 v4, v4, -1
	ds_write_b32 v33, v50
	ds_write_b32 v34, v50
	;; [unrolled: 1-line block ×6, first 2 shown]
	v_not_b32_e32 v21, v4
	s_waitcnt lgkmcnt(0)
	s_barrier
	buffer_gl0_inv
	v_and_b32_e32 v22, v5, v21
	; wave barrier
	v_add_co_u32 v25, s16, v22, -1
	v_cndmask_b32_e64 v4, 0, 1, s16
	v_cmp_ne_u32_e64 s16, 0, v4
	v_mov_b32_e32 v4, v17
	v_mov_b32_e32 v5, v18
	v_lshlrev_b32_e32 v18, 3, v22
	v_xor_b32_e32 v17, s16, v25
	v_add_lshl_u32 v18, v18, v9, 2
	v_and_b32_e32 v19, exec_lo, v17
	v_add_co_u32 v18, null, v12, v18
	v_mbcnt_lo_u32_b32 v17, v19, 0
	v_cmp_ne_u32_e64 s17, 0, v19
	v_add_co_u32 v18, null, v18, 32
	v_cmp_eq_u32_e64 s16, 0, v17
	s_and_b32 s17, s17, s16
	s_and_saveexec_b32 s16, s17
; %bb.336:                              ;   in Loop: Header=BB1532_335 Depth=1
	v_bcnt_u32_b32 v19, v19, 0
	ds_write_b32 v18, v19
; %bb.337:                              ;   in Loop: Header=BB1532_335 Depth=1
	s_or_b32 exec_lo, exec_lo, s16
	v_lshrrev_b16 v65, 8, v39
	; wave barrier
	v_lshrrev_b32_sdwa v19, v10, v65 dst_sel:DWORD dst_unused:UNUSED_PAD src0_sel:DWORD src1_sel:WORD_0
	v_and_b32_e32 v19, v19, v21
	v_add_co_u32 v20, s16, v19, -1
	v_cndmask_b32_e64 v21, 0, 1, s16
	v_lshl_add_u32 v19, v19, 3, v9
	v_cmp_ne_u32_e64 s16, 0, v21
	v_lshl_add_u32 v21, v19, 2, v12
	v_xor_b32_e32 v20, s16, v20
	ds_read_b32 v19, v21 offset:32
	v_add_nc_u32_e32 v21, 32, v21
	; wave barrier
	v_and_b32_e32 v22, exec_lo, v20
	v_mbcnt_lo_u32_b32 v20, v22, 0
	v_cmp_ne_u32_e64 s17, 0, v22
	v_cmp_eq_u32_e64 s16, 0, v20
	s_and_b32 s17, s17, s16
	s_and_saveexec_b32 s16, s17
	s_cbranch_execz .LBB1532_339
; %bb.338:                              ;   in Loop: Header=BB1532_335 Depth=1
	s_waitcnt lgkmcnt(0)
	v_bcnt_u32_b32 v22, v22, v19
	ds_write_b32 v21, v22
.LBB1532_339:                           ;   in Loop: Header=BB1532_335 Depth=1
	s_or_b32 exec_lo, exec_lo, s16
	; wave barrier
	s_waitcnt lgkmcnt(0)
	s_barrier
	buffer_gl0_inv
	ds_read_b32 v25, v23
	ds_read_b32 v26, v32
	;; [unrolled: 1-line block ×8, first 2 shown]
	s_waitcnt lgkmcnt(6)
	v_add_nc_u32_e32 v67, v26, v25
	s_waitcnt lgkmcnt(4)
	v_add3_u32 v67, v67, v27, v28
	s_waitcnt lgkmcnt(2)
	v_add3_u32 v67, v67, v29, v30
	;; [unrolled: 2-line block ×3, first 2 shown]
	v_mov_b32_dpp v67, v66 row_shr:1 row_mask:0xf bank_mask:0xf
	v_cndmask_b32_e64 v67, v67, 0, vcc_lo
	v_add_nc_u32_e32 v66, v67, v66
	v_mov_b32_dpp v67, v66 row_shr:2 row_mask:0xf bank_mask:0xf
	v_cndmask_b32_e64 v67, 0, v67, s4
	v_add_nc_u32_e32 v66, v66, v67
	v_mov_b32_dpp v67, v66 row_shr:4 row_mask:0xf bank_mask:0xf
	v_cndmask_b32_e64 v67, 0, v67, s5
	;; [unrolled: 3-line block ×3, first 2 shown]
	v_add_nc_u32_e32 v66, v66, v67
	ds_swizzle_b32 v67, v66 offset:swizzle(BROADCAST,32,15)
	s_waitcnt lgkmcnt(0)
	v_cndmask_b32_e64 v67, v67, 0, s8
	v_add_nc_u32_e32 v66, v66, v67
	s_and_saveexec_b32 s16, s9
; %bb.340:                              ;   in Loop: Header=BB1532_335 Depth=1
	ds_write_b32 v49, v66
; %bb.341:                              ;   in Loop: Header=BB1532_335 Depth=1
	s_or_b32 exec_lo, exec_lo, s16
	s_waitcnt lgkmcnt(0)
	s_barrier
	buffer_gl0_inv
	s_and_saveexec_b32 s16, s10
	s_cbranch_execz .LBB1532_343
; %bb.342:                              ;   in Loop: Header=BB1532_335 Depth=1
	ds_read_b32 v67, v51
	s_waitcnt lgkmcnt(0)
	v_mov_b32_dpp v68, v67 row_shr:1 row_mask:0xf bank_mask:0xf
	v_cndmask_b32_e64 v68, v68, 0, s13
	v_add_nc_u32_e32 v67, v68, v67
	v_mov_b32_dpp v68, v67 row_shr:2 row_mask:0xf bank_mask:0xf
	v_cndmask_b32_e64 v68, 0, v68, s14
	v_add_nc_u32_e32 v67, v67, v68
	;; [unrolled: 3-line block ×3, first 2 shown]
	ds_write_b32 v51, v67
.LBB1532_343:                           ;   in Loop: Header=BB1532_335 Depth=1
	s_or_b32 exec_lo, exec_lo, s16
	v_mov_b32_e32 v67, 0
	s_waitcnt lgkmcnt(0)
	s_barrier
	buffer_gl0_inv
	s_and_saveexec_b32 s16, s11
; %bb.344:                              ;   in Loop: Header=BB1532_335 Depth=1
	ds_read_b32 v67, v53
; %bb.345:                              ;   in Loop: Header=BB1532_335 Depth=1
	s_or_b32 exec_lo, exec_lo, s16
	s_waitcnt lgkmcnt(0)
	v_add_nc_u32_e32 v66, v67, v66
	v_add_nc_u32_e32 v10, 8, v10
	s_mov_b32 s21, -1
	s_mov_b32 s17, exec_lo
	ds_bpermute_b32 v66, v48, v66
	s_waitcnt lgkmcnt(0)
	v_cndmask_b32_e64 v66, v66, v67, s6
	v_cndmask_b32_e64 v66, v66, 0, s12
	v_add_nc_u32_e32 v25, v66, v25
	v_add_nc_u32_e32 v26, v25, v26
	ds_write_b32 v23, v66
	ds_write_b32 v32, v25
	;; [unrolled: 1-line block ×3, first 2 shown]
	v_add_nc_u32_e32 v27, v26, v27
	v_add_nc_u32_e32 v28, v27, v28
	;; [unrolled: 1-line block ×5, first 2 shown]
	ds_write_b32 v34, v27
	ds_write_b32 v35, v28
	;; [unrolled: 1-line block ×5, first 2 shown]
	s_waitcnt lgkmcnt(0)
	s_barrier
	buffer_gl0_inv
	ds_read_b32 v18, v18
	ds_read_b32 v21, v21
	s_waitcnt lgkmcnt(0)
	v_add_nc_u32_e32 v17, v18, v17
	v_add3_u32 v18, v20, v19, v21
                                        ; implicit-def: $vgpr19_vgpr20
	v_add_co_u32 v29, s16, v12, v17
	v_add_co_ci_u32_e64 v30, null, 0, v13, s16
	v_add_co_u32 v27, s16, v12, v18
	v_add_co_ci_u32_e64 v28, null, 0, v13, s16
	v_mad_u64_u32 v[25:26], null, v17, 7, v[29:30]
	v_mad_u64_u32 v[21:22], null, v18, 7, v[27:28]
	v_mov_b32_e32 v22, v39
                                        ; implicit-def: $vgpr17_vgpr18
	v_cmpx_lt_u32_e64 v10, v11
	s_cbranch_execz .LBB1532_334
; %bb.346:                              ;   in Loop: Header=BB1532_335 Depth=1
	s_barrier
	buffer_gl0_inv
	ds_write_b8 v29, v39
	ds_write_b8 v27, v65
	s_waitcnt lgkmcnt(0)
	s_barrier
	buffer_gl0_inv
	ds_read_u8 v26, v54
	ds_read_u8 v28, v31
	s_waitcnt lgkmcnt(0)
	s_barrier
	buffer_gl0_inv
	ds_write_b64 v25, v[15:16]
	ds_write_b64 v21, v[4:5]
	s_waitcnt lgkmcnt(0)
	s_barrier
	buffer_gl0_inv
	ds_read_b64 v[19:20], v52
	ds_read_b64 v[17:18], v55
	v_add_nc_u32_e32 v64, -8, v64
	s_xor_b32 s21, exec_lo, -1
	s_waitcnt lgkmcnt(0)
	s_barrier
	buffer_gl0_inv
	v_perm_b32 v39, v28, v26, 0xc0c0004
	s_branch .LBB1532_334
.LBB1532_347:
	flat_load_dwordx2 v[22:23], v[4:5]
	s_or_b32 exec_lo, exec_lo, s7
                                        ; implicit-def: $vgpr25_vgpr26
	s_and_saveexec_b32 s7, s4
	s_cbranch_execz .LBB1532_274
.LBB1532_348:
	flat_load_dwordx2 v[25:26], v[4:5] offset:256
	s_or_b32 exec_lo, exec_lo, s7
                                        ; implicit-def: $vgpr27_vgpr28
	s_and_saveexec_b32 s4, s5
	s_cbranch_execz .LBB1532_275
.LBB1532_349:
	flat_load_dwordx2 v[27:28], v[4:5] offset:512
	s_or_b32 exec_lo, exec_lo, s4
                                        ; implicit-def: $vgpr29_vgpr30
	s_and_saveexec_b32 s4, s6
	s_cbranch_execnz .LBB1532_276
	s_branch .LBB1532_277
.LBB1532_350:
	flat_store_dwordx2 v[0:1], v[13:14]
	s_or_b32 exec_lo, exec_lo, s7
	s_and_saveexec_b32 s7, s6
	s_cbranch_execz .LBB1532_319
.LBB1532_351:
	v_add_co_u32 v2, vcc_lo, 0x800, v0
	v_add_co_ci_u32_e64 v3, null, 0, v1, vcc_lo
	flat_store_dwordx2 v[2:3], v[15:16]
	s_or_b32 exec_lo, exec_lo, s7
	s_and_saveexec_b32 s6, s5
	s_cbranch_execz .LBB1532_320
.LBB1532_352:
	v_add_co_u32 v2, vcc_lo, 0x1000, v0
	v_add_co_ci_u32_e64 v3, null, 0, v1, vcc_lo
	flat_store_dwordx2 v[2:3], v[9:10]
	s_or_b32 exec_lo, exec_lo, s6
	s_and_saveexec_b32 s5, s4
	s_cbranch_execnz .LBB1532_321
	s_branch .LBB1532_322
.LBB1532_353:
	s_or_b32 exec_lo, exec_lo, s20
	v_add_nc_u32_e32 v9, v12, v24
	v_mul_u32_u24_e32 v10, 7, v24
	s_barrier
	buffer_gl0_inv
	ds_write_b8 v29, v22
	ds_write_b8 v27, v65
	s_waitcnt lgkmcnt(0)
	s_barrier
	buffer_gl0_inv
	ds_read_u8 v17, v9
	ds_read_u8 v13, v9 offset:256
	v_add_nc_u32_e32 v9, v9, v10
	s_waitcnt lgkmcnt(0)
	s_barrier
	buffer_gl0_inv
	ds_write_b64 v25, v[15:16]
	ds_write_b64 v21, v[4:5]
	s_waitcnt lgkmcnt(0)
	s_barrier
	buffer_gl0_inv
	ds_read2st64_b64 v[9:12], v9 offset1:4
	v_add_co_u32 v2, vcc_lo, v2, v8
	v_add_co_ci_u32_e64 v3, null, 0, v3, vcc_lo
	v_mov_b32_e32 v15, 0
	v_add_co_u32 v2, vcc_lo, v2, v14
	v_add_co_ci_u32_e64 v3, null, 0, v3, vcc_lo
	v_cmp_lt_u32_e32 vcc_lo, v14, v167
	s_waitcnt lgkmcnt(0)
	s_barrier
	buffer_gl0_inv
	s_and_saveexec_b32 s4, vcc_lo
	s_cbranch_execz .LBB1532_355
; %bb.354:
	v_xor_b32_e32 v4, 1, v17
	flat_store_byte v[2:3], v4
.LBB1532_355:
	s_or_b32 exec_lo, exec_lo, s4
	v_add_nc_u32_e32 v4, 0x100, v14
	v_cmp_lt_u32_e64 s4, v4, v167
	s_and_saveexec_b32 s5, s4
	s_cbranch_execz .LBB1532_357
; %bb.356:
	v_xor_b32_e32 v4, 1, v13
	flat_store_byte v[2:3], v4 offset:256
.LBB1532_357:
	s_or_b32 exec_lo, exec_lo, s5
	v_lshlrev_b64 v[2:3], 3, v[14:15]
	v_add_co_u32 v0, s5, v6, v0
	v_add_co_ci_u32_e64 v1, null, v7, v1, s5
	v_add_co_u32 v0, s5, v0, v2
	v_add_co_ci_u32_e64 v1, null, v1, v3, s5
	s_and_saveexec_b32 s5, vcc_lo
	s_cbranch_execz .LBB1532_359
; %bb.358:
	flat_store_dwordx2 v[0:1], v[9:10]
.LBB1532_359:
	s_or_b32 exec_lo, exec_lo, s5
	s_and_saveexec_b32 s5, s4
	s_cbranch_execz .LBB1532_361
; %bb.360:
	v_add_co_u32 v0, vcc_lo, 0x800, v0
	v_add_co_ci_u32_e64 v1, null, 0, v1, vcc_lo
	flat_store_dwordx2 v[0:1], v[11:12]
.LBB1532_361:
	s_or_b32 exec_lo, exec_lo, s5
                                        ; implicit-def: $vgpr14_vgpr15
                                        ; implicit-def: $vgpr8_vgpr9
                                        ; implicit-def: $vgpr167
                                        ; implicit-def: $vgpr0
                                        ; implicit-def: $vgpr1
                                        ; implicit-def: $vgpr2
                                        ; implicit-def: $vgpr3
                                        ; implicit-def: $vgpr4
                                        ; implicit-def: $vgpr5
                                        ; implicit-def: $vgpr6
                                        ; implicit-def: $vgpr7
                                        ; implicit-def: $vgpr10
                                        ; implicit-def: $vgpr11
                                        ; implicit-def: $vgpr12
                                        ; implicit-def: $vgpr13
                                        ; implicit-def: $vgpr24
                                        ; implicit-def: $vgpr31
.LBB1532_362:
	s_andn2_saveexec_b32 s4, s18
	s_cbranch_execz .LBB1532_382
; %bb.363:
	v_and_b32_e32 v17, 0xffffffe0, v14
	s_mov_b32 s4, -1
	v_or_b32_e32 v15, v31, v17
	v_cmp_lt_u32_e32 vcc_lo, v15, v167
	s_and_saveexec_b32 s5, vcc_lo
	s_cbranch_execz .LBB1532_365
; %bb.364:
	v_add_co_u32 v0, s4, v0, v8
	v_add_co_ci_u32_e64 v1, null, 0, v1, s4
	v_add_co_u32 v0, s4, v0, v31
	v_add_co_ci_u32_e64 v1, null, 0, v1, s4
	;; [unrolled: 2-line block ×3, first 2 shown]
	flat_load_ubyte v0, v[0:1]
	s_waitcnt vmcnt(0) lgkmcnt(0)
	v_and_b32_e32 v0, 1, v0
	v_cmp_eq_u32_e64 s4, 1, v0
	s_xor_b32 s4, s4, -1
	s_orn2_b32 s4, s4, exec_lo
.LBB1532_365:
	s_or_b32 exec_lo, exec_lo, s5
	v_lshlrev_b64 v[0:1], 3, v[8:9]
                                        ; implicit-def: $vgpr15_vgpr16
	s_and_saveexec_b32 s5, vcc_lo
	s_cbranch_execz .LBB1532_367
; %bb.366:
	v_mov_b32_e32 v18, 0
	v_lshlrev_b32_e32 v9, 3, v31
	v_add_co_u32 v15, vcc_lo, v4, v0
	v_add_co_ci_u32_e64 v16, null, v5, v1, vcc_lo
	v_lshlrev_b64 v[4:5], 3, v[17:18]
	v_add_co_u32 v9, vcc_lo, v15, v9
	v_add_co_ci_u32_e64 v15, null, 0, v16, vcc_lo
	v_add_co_u32 v4, vcc_lo, v9, v4
	v_add_co_ci_u32_e64 v5, null, v15, v5, vcc_lo
	flat_load_dwordx2 v[15:16], v[4:5]
.LBB1532_367:
	s_or_b32 exec_lo, exec_lo, s5
	v_lshl_add_u32 v4, v24, 5, v12
	s_getpc_b64 s[6:7]
	s_add_u32 s6, s6, _ZN7rocprim17ROCPRIM_400000_NS16block_radix_sortIbLj256ELj1ElLj1ELj1ELj8ELNS0_26block_radix_rank_algorithmE2ELNS0_18block_padding_hintE2ELNS0_4arch9wavefront6targetE0EE19radix_bits_per_passE@rel32@lo+4
	s_addc_u32 s7, s7, _ZN7rocprim17ROCPRIM_400000_NS16block_radix_sortIbLj256ELj1ElLj1ELj1ELj8ELNS0_26block_radix_rank_algorithmE2ELNS0_18block_padding_hintE2ELNS0_4arch9wavefront6targetE0EE19radix_bits_per_passE@rel32@hi+12
	v_and_b32_e32 v5, 15, v31
	s_load_dword s18, s[6:7], 0x0
	v_sub_co_u32 v28, s6, v31, 1
	v_add_nc_u32_e32 v9, 32, v4
	v_add_nc_u32_e32 v19, 36, v4
	;; [unrolled: 1-line block ×8, first 2 shown]
	v_and_b32_e32 v4, 0x3e0, v24
	v_cndmask_b32_e64 v37, 0, 1, s4
	v_cmp_eq_u32_e32 vcc_lo, 0, v5
	v_cmp_lt_u32_e64 s4, 1, v5
	v_cmp_lt_u32_e64 s5, 3, v5
	v_min_u32_e32 v17, 0xe0, v4
	v_and_b32_e32 v18, 16, v31
	v_cmp_lt_u32_e64 s7, 7, v5
	v_cmp_gt_i32_e64 s9, 0, v28
	v_or_b32_e32 v4, v31, v4
	v_or_b32_e32 v5, 31, v17
	v_lshrrev_b32_e32 v17, 3, v24
	v_cmp_eq_u32_e64 s8, 0, v18
	v_cndmask_b32_e64 v18, v28, v31, s9
	v_add_nc_u32_e32 v32, v12, v4
	v_cmp_eq_u32_e64 s9, v24, v5
	v_and_b32_e32 v5, 0x7c, v17
	v_mul_u32_u24_e32 v4, 7, v4
	v_lshrrev_b32_e32 v27, 5, v14
	v_cmp_gt_u32_e64 s10, 8, v24
	v_cmp_lt_u32_e64 s11, 31, v24
	v_add_nc_u32_e32 v29, v12, v5
	v_and_b32_e32 v5, 7, v31
	v_lshlrev_b32_e32 v28, 2, v18
	v_cmp_eq_u32_e64 s12, 0, v24
	v_mov_b32_e32 v30, 0
	v_lshl_add_u32 v31, v24, 2, v12
	v_cmp_eq_u32_e64 s13, 0, v5
	v_cmp_lt_u32_e64 s14, 1, v5
	v_cmp_lt_u32_e64 s15, 3, v5
	v_add_nc_u32_e32 v33, -4, v29
	v_add_nc_u32_e32 v34, v32, v4
	v_sub_nc_u32_e32 v35, v11, v10
	s_mov_b32 s19, 0
	s_waitcnt vmcnt(0) lgkmcnt(0)
	s_waitcnt_vscnt null, 0x0
	s_barrier
	buffer_gl0_inv
	s_branch .LBB1532_369
.LBB1532_368:                           ;   in Loop: Header=BB1532_369 Depth=1
	s_or_b32 exec_lo, exec_lo, s17
	s_and_b32 s16, exec_lo, s20
	s_or_b32 s19, s16, s19
	s_andn2_b32 exec_lo, exec_lo, s19
	s_cbranch_execz .LBB1532_379
.LBB1532_369:                           ; =>This Inner Loop Header: Depth=1
	v_mov_b32_e32 v36, v37
	v_min_u32_e32 v4, s18, v35
	ds_write_b32 v9, v30
	ds_write_b32 v19, v30
	;; [unrolled: 1-line block ×5, first 2 shown]
	v_lshrrev_b32_sdwa v5, v10, v36 dst_sel:DWORD dst_unused:UNUSED_PAD src0_sel:DWORD src1_sel:BYTE_0
	ds_write_b32 v23, v30
	ds_write_b32 v25, v30
	;; [unrolled: 1-line block ×3, first 2 shown]
	s_waitcnt lgkmcnt(0)
	s_barrier
	v_bfe_u32 v17, v5, 0, v4
	buffer_gl0_inv
	; wave barrier
	v_add_co_u32 v18, s16, v17, -1
	v_cndmask_b32_e64 v4, 0, 1, s16
	v_cmp_ne_u32_e64 s16, 0, v4
	v_mov_b32_e32 v4, v15
	v_mov_b32_e32 v5, v16
	v_lshlrev_b32_e32 v16, 3, v17
	v_xor_b32_e32 v15, s16, v18
	v_add_lshl_u32 v16, v16, v27, 2
	v_and_b32_e32 v17, exec_lo, v15
	v_add_co_u32 v16, null, v12, v16
	v_mbcnt_lo_u32_b32 v15, v17, 0
	v_cmp_ne_u32_e64 s17, 0, v17
	v_add_co_u32 v16, null, v16, 32
	v_cmp_eq_u32_e64 s16, 0, v15
	s_and_b32 s17, s17, s16
	s_and_saveexec_b32 s16, s17
; %bb.370:                              ;   in Loop: Header=BB1532_369 Depth=1
	v_bcnt_u32_b32 v17, v17, 0
	ds_write_b32 v16, v17
; %bb.371:                              ;   in Loop: Header=BB1532_369 Depth=1
	s_or_b32 exec_lo, exec_lo, s16
	; wave barrier
	s_waitcnt lgkmcnt(0)
	s_barrier
	buffer_gl0_inv
	ds_read_b32 v18, v9
	ds_read_b32 v37, v19
	;; [unrolled: 1-line block ×8, first 2 shown]
	s_waitcnt lgkmcnt(6)
	v_add_nc_u32_e32 v51, v37, v18
	s_waitcnt lgkmcnt(4)
	v_add3_u32 v51, v51, v38, v39
	s_waitcnt lgkmcnt(2)
	v_add3_u32 v51, v51, v48, v49
	;; [unrolled: 2-line block ×3, first 2 shown]
	v_mov_b32_dpp v51, v50 row_shr:1 row_mask:0xf bank_mask:0xf
	v_cndmask_b32_e64 v51, v51, 0, vcc_lo
	v_add_nc_u32_e32 v50, v51, v50
	v_mov_b32_dpp v51, v50 row_shr:2 row_mask:0xf bank_mask:0xf
	v_cndmask_b32_e64 v51, 0, v51, s4
	v_add_nc_u32_e32 v50, v50, v51
	v_mov_b32_dpp v51, v50 row_shr:4 row_mask:0xf bank_mask:0xf
	v_cndmask_b32_e64 v51, 0, v51, s5
	;; [unrolled: 3-line block ×3, first 2 shown]
	v_add_nc_u32_e32 v50, v50, v51
	ds_swizzle_b32 v51, v50 offset:swizzle(BROADCAST,32,15)
	s_waitcnt lgkmcnt(0)
	v_cndmask_b32_e64 v51, v51, 0, s8
	v_add_nc_u32_e32 v50, v50, v51
	s_and_saveexec_b32 s16, s9
; %bb.372:                              ;   in Loop: Header=BB1532_369 Depth=1
	ds_write_b32 v29, v50
; %bb.373:                              ;   in Loop: Header=BB1532_369 Depth=1
	s_or_b32 exec_lo, exec_lo, s16
	s_waitcnt lgkmcnt(0)
	s_barrier
	buffer_gl0_inv
	s_and_saveexec_b32 s16, s10
	s_cbranch_execz .LBB1532_375
; %bb.374:                              ;   in Loop: Header=BB1532_369 Depth=1
	ds_read_b32 v51, v31
	s_waitcnt lgkmcnt(0)
	v_mov_b32_dpp v52, v51 row_shr:1 row_mask:0xf bank_mask:0xf
	v_cndmask_b32_e64 v52, v52, 0, s13
	v_add_nc_u32_e32 v51, v52, v51
	v_mov_b32_dpp v52, v51 row_shr:2 row_mask:0xf bank_mask:0xf
	v_cndmask_b32_e64 v52, 0, v52, s14
	v_add_nc_u32_e32 v51, v51, v52
	;; [unrolled: 3-line block ×3, first 2 shown]
	ds_write_b32 v31, v51
.LBB1532_375:                           ;   in Loop: Header=BB1532_369 Depth=1
	s_or_b32 exec_lo, exec_lo, s16
	v_mov_b32_e32 v51, 0
	s_waitcnt lgkmcnt(0)
	s_barrier
	buffer_gl0_inv
	s_and_saveexec_b32 s16, s11
; %bb.376:                              ;   in Loop: Header=BB1532_369 Depth=1
	ds_read_b32 v51, v33
; %bb.377:                              ;   in Loop: Header=BB1532_369 Depth=1
	s_or_b32 exec_lo, exec_lo, s16
	s_waitcnt lgkmcnt(0)
	v_add_nc_u32_e32 v50, v51, v50
	v_add_nc_u32_e32 v10, 8, v10
	s_mov_b32 s20, -1
	ds_bpermute_b32 v50, v28, v50
	s_waitcnt lgkmcnt(0)
	v_cndmask_b32_e64 v50, v50, v51, s6
	v_cndmask_b32_e64 v50, v50, 0, s12
	v_add_nc_u32_e32 v18, v50, v18
	v_add_nc_u32_e32 v37, v18, v37
	ds_write_b32 v9, v50
	ds_write_b32 v19, v18
	;; [unrolled: 1-line block ×3, first 2 shown]
	v_add_nc_u32_e32 v38, v37, v38
                                        ; implicit-def: $vgpr37
	v_add_nc_u32_e32 v39, v38, v39
	v_add_nc_u32_e32 v48, v39, v48
	;; [unrolled: 1-line block ×4, first 2 shown]
	ds_write_b32 v21, v38
	ds_write_b32 v22, v39
	;; [unrolled: 1-line block ×5, first 2 shown]
	s_waitcnt lgkmcnt(0)
	s_barrier
	buffer_gl0_inv
	ds_read_b32 v16, v16
	s_waitcnt lgkmcnt(0)
	v_add_nc_u32_e32 v38, v16, v15
                                        ; implicit-def: $vgpr15_vgpr16
	v_add_co_u32 v17, s17, v12, v38
	v_add_co_ci_u32_e64 v18, null, 0, v13, s17
	s_mov_b32 s17, exec_lo
	v_cmpx_lt_u32_e64 v10, v11
	s_cbranch_execz .LBB1532_368
; %bb.378:                              ;   in Loop: Header=BB1532_369 Depth=1
	v_mad_u64_u32 v[15:16], null, v38, 7, v[17:18]
	s_barrier
	buffer_gl0_inv
	ds_write_b8 v17, v36
	s_waitcnt lgkmcnt(0)
	s_barrier
	buffer_gl0_inv
	ds_read_u8 v37, v32
	s_waitcnt lgkmcnt(0)
	s_barrier
	buffer_gl0_inv
	ds_write_b64 v15, v[4:5]
	s_waitcnt lgkmcnt(0)
	s_barrier
	buffer_gl0_inv
	ds_read_b64 v[15:16], v34
	v_add_nc_u32_e32 v35, -8, v35
	s_xor_b32 s20, exec_lo, -1
	s_waitcnt lgkmcnt(0)
	s_barrier
	buffer_gl0_inv
	s_branch .LBB1532_368
.LBB1532_379:
	s_or_b32 exec_lo, exec_lo, s19
	v_mad_u64_u32 v[10:11], null, v38, 7, v[17:18]
	v_add_nc_u32_e32 v12, v12, v24
	v_mul_u32_u24_e32 v11, 7, v24
	s_barrier
	buffer_gl0_inv
	ds_write_b8 v17, v36
	s_waitcnt lgkmcnt(0)
	v_add_nc_u32_e32 v11, v12, v11
	s_barrier
	buffer_gl0_inv
	ds_read_u8 v9, v12
	s_waitcnt lgkmcnt(0)
	s_barrier
	buffer_gl0_inv
	ds_write_b64 v10, v[4:5]
	s_waitcnt lgkmcnt(0)
	s_barrier
	buffer_gl0_inv
	ds_read_b64 v[4:5], v11
	s_mov_b32 s4, exec_lo
	s_waitcnt lgkmcnt(0)
	s_barrier
	buffer_gl0_inv
	v_cmpx_lt_u32_e64 v14, v167
	s_cbranch_execz .LBB1532_381
; %bb.380:
	v_add_co_u32 v2, vcc_lo, v2, v8
	v_mov_b32_e32 v15, 0
	v_add_co_ci_u32_e64 v3, null, 0, v3, vcc_lo
	v_add_co_u32 v2, vcc_lo, v2, v14
	v_lshlrev_b64 v[10:11], 3, v[14:15]
	v_add_co_ci_u32_e64 v3, null, 0, v3, vcc_lo
	v_add_co_u32 v0, vcc_lo, v6, v0
	v_add_co_ci_u32_e64 v1, null, v7, v1, vcc_lo
	v_xor_b32_e32 v6, 1, v9
	v_add_co_u32 v0, vcc_lo, v0, v10
	v_add_co_ci_u32_e64 v1, null, v1, v11, vcc_lo
	flat_store_byte v[2:3], v6
	flat_store_dwordx2 v[0:1], v[4:5]
.LBB1532_381:
	s_or_b32 exec_lo, exec_lo, s4
.LBB1532_382:
	s_or_b32 exec_lo, exec_lo, s25
	s_clause 0x3e
	buffer_load_dword v158, off, s[0:3], s32
	buffer_load_dword v157, off, s[0:3], s32 offset:4
	buffer_load_dword v156, off, s[0:3], s32 offset:8
	;; [unrolled: 1-line block ×62, first 2 shown]
	s_waitcnt vmcnt(0) lgkmcnt(0)
	s_setpc_b64 s[30:31]
.Lfunc_end1532:
	.size	_ZN7rocprim17ROCPRIM_400000_NS6detail40segmented_radix_sort_single_block_helperIblLj256ELj17ELb1EE4sortIPKbPbPKlPlEEbT_T0_T1_T2_jjjjRNS3_12storage_typeE, .Lfunc_end1532-_ZN7rocprim17ROCPRIM_400000_NS6detail40segmented_radix_sort_single_block_helperIblLj256ELj17ELb1EE4sortIPKbPbPKlPlEEbT_T0_T1_T2_jjjjRNS3_12storage_typeE
                                        ; -- End function
	.set .L_ZN7rocprim17ROCPRIM_400000_NS6detail40segmented_radix_sort_single_block_helperIblLj256ELj17ELb1EE4sortIPKbPbPKlPlEEbT_T0_T1_T2_jjjjRNS3_12storage_typeE.num_vgpr, 248
	.set .L_ZN7rocprim17ROCPRIM_400000_NS6detail40segmented_radix_sort_single_block_helperIblLj256ELj17ELb1EE4sortIPKbPbPKlPlEEbT_T0_T1_T2_jjjjRNS3_12storage_typeE.num_agpr, 0
	.set .L_ZN7rocprim17ROCPRIM_400000_NS6detail40segmented_radix_sort_single_block_helperIblLj256ELj17ELb1EE4sortIPKbPbPKlPlEEbT_T0_T1_T2_jjjjRNS3_12storage_typeE.numbered_sgpr, 33
	.set .L_ZN7rocprim17ROCPRIM_400000_NS6detail40segmented_radix_sort_single_block_helperIblLj256ELj17ELb1EE4sortIPKbPbPKlPlEEbT_T0_T1_T2_jjjjRNS3_12storage_typeE.num_named_barrier, 0
	.set .L_ZN7rocprim17ROCPRIM_400000_NS6detail40segmented_radix_sort_single_block_helperIblLj256ELj17ELb1EE4sortIPKbPbPKlPlEEbT_T0_T1_T2_jjjjRNS3_12storage_typeE.private_seg_size, 256
	.set .L_ZN7rocprim17ROCPRIM_400000_NS6detail40segmented_radix_sort_single_block_helperIblLj256ELj17ELb1EE4sortIPKbPbPKlPlEEbT_T0_T1_T2_jjjjRNS3_12storage_typeE.uses_vcc, 1
	.set .L_ZN7rocprim17ROCPRIM_400000_NS6detail40segmented_radix_sort_single_block_helperIblLj256ELj17ELb1EE4sortIPKbPbPKlPlEEbT_T0_T1_T2_jjjjRNS3_12storage_typeE.uses_flat_scratch, 0
	.set .L_ZN7rocprim17ROCPRIM_400000_NS6detail40segmented_radix_sort_single_block_helperIblLj256ELj17ELb1EE4sortIPKbPbPKlPlEEbT_T0_T1_T2_jjjjRNS3_12storage_typeE.has_dyn_sized_stack, 0
	.set .L_ZN7rocprim17ROCPRIM_400000_NS6detail40segmented_radix_sort_single_block_helperIblLj256ELj17ELb1EE4sortIPKbPbPKlPlEEbT_T0_T1_T2_jjjjRNS3_12storage_typeE.has_recursion, 0
	.set .L_ZN7rocprim17ROCPRIM_400000_NS6detail40segmented_radix_sort_single_block_helperIblLj256ELj17ELb1EE4sortIPKbPbPKlPlEEbT_T0_T1_T2_jjjjRNS3_12storage_typeE.has_indirect_call, 0
	.section	.AMDGPU.csdata,"",@progbits
; Function info:
; codeLenInByte = 23700
; TotalNumSgprs: 35
; NumVgprs: 248
; ScratchSize: 256
; MemoryBound: 1
	.section	.text._ZN7rocprim17ROCPRIM_400000_NS6detail17trampoline_kernelINS0_14default_configENS1_36segmented_radix_sort_config_selectorIblEEZNS1_25segmented_radix_sort_implIS3_Lb1EPKbPbPKlPlN2at6native12_GLOBAL__N_18offset_tEEE10hipError_tPvRmT1_PNSt15iterator_traitsISK_E10value_typeET2_T3_PNSL_ISQ_E10value_typeET4_jRbjT5_SW_jjP12ihipStream_tbEUlT_E_NS1_11comp_targetILNS1_3genE8ELNS1_11target_archE1030ELNS1_3gpuE2ELNS1_3repE0EEENS1_30default_config_static_selectorELNS0_4arch9wavefront6targetE0EEEvSK_,"axG",@progbits,_ZN7rocprim17ROCPRIM_400000_NS6detail17trampoline_kernelINS0_14default_configENS1_36segmented_radix_sort_config_selectorIblEEZNS1_25segmented_radix_sort_implIS3_Lb1EPKbPbPKlPlN2at6native12_GLOBAL__N_18offset_tEEE10hipError_tPvRmT1_PNSt15iterator_traitsISK_E10value_typeET2_T3_PNSL_ISQ_E10value_typeET4_jRbjT5_SW_jjP12ihipStream_tbEUlT_E_NS1_11comp_targetILNS1_3genE8ELNS1_11target_archE1030ELNS1_3gpuE2ELNS1_3repE0EEENS1_30default_config_static_selectorELNS0_4arch9wavefront6targetE0EEEvSK_,comdat
	.globl	_ZN7rocprim17ROCPRIM_400000_NS6detail17trampoline_kernelINS0_14default_configENS1_36segmented_radix_sort_config_selectorIblEEZNS1_25segmented_radix_sort_implIS3_Lb1EPKbPbPKlPlN2at6native12_GLOBAL__N_18offset_tEEE10hipError_tPvRmT1_PNSt15iterator_traitsISK_E10value_typeET2_T3_PNSL_ISQ_E10value_typeET4_jRbjT5_SW_jjP12ihipStream_tbEUlT_E_NS1_11comp_targetILNS1_3genE8ELNS1_11target_archE1030ELNS1_3gpuE2ELNS1_3repE0EEENS1_30default_config_static_selectorELNS0_4arch9wavefront6targetE0EEEvSK_ ; -- Begin function _ZN7rocprim17ROCPRIM_400000_NS6detail17trampoline_kernelINS0_14default_configENS1_36segmented_radix_sort_config_selectorIblEEZNS1_25segmented_radix_sort_implIS3_Lb1EPKbPbPKlPlN2at6native12_GLOBAL__N_18offset_tEEE10hipError_tPvRmT1_PNSt15iterator_traitsISK_E10value_typeET2_T3_PNSL_ISQ_E10value_typeET4_jRbjT5_SW_jjP12ihipStream_tbEUlT_E_NS1_11comp_targetILNS1_3genE8ELNS1_11target_archE1030ELNS1_3gpuE2ELNS1_3repE0EEENS1_30default_config_static_selectorELNS0_4arch9wavefront6targetE0EEEvSK_
	.p2align	8
	.type	_ZN7rocprim17ROCPRIM_400000_NS6detail17trampoline_kernelINS0_14default_configENS1_36segmented_radix_sort_config_selectorIblEEZNS1_25segmented_radix_sort_implIS3_Lb1EPKbPbPKlPlN2at6native12_GLOBAL__N_18offset_tEEE10hipError_tPvRmT1_PNSt15iterator_traitsISK_E10value_typeET2_T3_PNSL_ISQ_E10value_typeET4_jRbjT5_SW_jjP12ihipStream_tbEUlT_E_NS1_11comp_targetILNS1_3genE8ELNS1_11target_archE1030ELNS1_3gpuE2ELNS1_3repE0EEENS1_30default_config_static_selectorELNS0_4arch9wavefront6targetE0EEEvSK_,@function
_ZN7rocprim17ROCPRIM_400000_NS6detail17trampoline_kernelINS0_14default_configENS1_36segmented_radix_sort_config_selectorIblEEZNS1_25segmented_radix_sort_implIS3_Lb1EPKbPbPKlPlN2at6native12_GLOBAL__N_18offset_tEEE10hipError_tPvRmT1_PNSt15iterator_traitsISK_E10value_typeET2_T3_PNSL_ISQ_E10value_typeET4_jRbjT5_SW_jjP12ihipStream_tbEUlT_E_NS1_11comp_targetILNS1_3genE8ELNS1_11target_archE1030ELNS1_3gpuE2ELNS1_3repE0EEENS1_30default_config_static_selectorELNS0_4arch9wavefront6targetE0EEEvSK_: ; @_ZN7rocprim17ROCPRIM_400000_NS6detail17trampoline_kernelINS0_14default_configENS1_36segmented_radix_sort_config_selectorIblEEZNS1_25segmented_radix_sort_implIS3_Lb1EPKbPbPKlPlN2at6native12_GLOBAL__N_18offset_tEEE10hipError_tPvRmT1_PNSt15iterator_traitsISK_E10value_typeET2_T3_PNSL_ISQ_E10value_typeET4_jRbjT5_SW_jjP12ihipStream_tbEUlT_E_NS1_11comp_targetILNS1_3genE8ELNS1_11target_archE1030ELNS1_3gpuE2ELNS1_3repE0EEENS1_30default_config_static_selectorELNS0_4arch9wavefront6targetE0EEEvSK_
; %bb.0:
	s_load_dwordx2 s[12:13], s[4:5], 0x38
	s_mov_b32 s28, s7
	s_mov_b32 s7, 0
	s_add_u32 s0, s0, s8
	s_addc_u32 s1, s1, 0
	s_lshl_b64 s[14:15], s[6:7], 2
	s_load_dwordx4 s[8:11], s[4:5], 0x40
	s_mov_b32 s32, 0
	s_waitcnt lgkmcnt(0)
	s_add_u32 s12, s12, s14
	s_addc_u32 s13, s13, s15
	s_load_dword s7, s[12:13], 0x0
	s_waitcnt lgkmcnt(0)
	s_add_i32 s58, s7, s9
	s_add_i32 s59, s7, s11
	s_mul_i32 s58, s58, s8
	s_mul_i32 s59, s59, s10
	s_cmp_le_u32 s59, s58
	s_cbranch_scc1 .LBB1533_1254
; %bb.1:
	s_clause 0x3
	s_load_dword s7, s[4:5], 0x30
	s_load_dwordx4 s[52:55], s[4:5], 0x20
	s_load_dwordx4 s[40:43], s[4:5], 0x50
	s_load_dwordx8 s[44:51], s[4:5], 0x0
	s_waitcnt lgkmcnt(0)
	s_bitcmp1_b32 s7, 0
	s_mov_b32 s7, -1
	s_cselect_b32 s43, -1, 0
	s_sub_i32 s60, s59, s58
	s_cmpk_lt_u32 s60, 0x1101
	s_cbranch_scc0 .LBB1533_7
; %bb.2:
	v_cndmask_b32_e64 v3, 0, 1, s43
	s_and_b32 s7, s40, 1
	v_lshlrev_b32_e32 v41, 20, v2
	v_lshlrev_b32_e32 v42, 10, v1
	v_cmp_ne_u32_e32 vcc_lo, s7, v3
	s_mov_b32 s7, -1
	s_cbranch_vccnz .LBB1533_4
; %bb.3:
	s_mov_b64 s[10:11], src_shared_base
	v_or3_b32 v31, v0, v42, v41
	v_mov_b32_e32 v40, v0
	v_mov_b32_e32 v0, s44
	;; [unrolled: 1-line block ×17, first 2 shown]
	s_add_u32 s8, s4, 0x60
	s_addc_u32 s9, s5, 0
	s_getpc_b64 s[14:15]
	s_add_u32 s14, s14, _ZN7rocprim17ROCPRIM_400000_NS6detail40segmented_radix_sort_single_block_helperIblLj256ELj17ELb1EE4sortIPKbPbPKlPlEEbT_T0_T1_T2_jjjjRNS3_12storage_typeE@rel32@lo+4
	s_addc_u32 s15, s15, _ZN7rocprim17ROCPRIM_400000_NS6detail40segmented_radix_sort_single_block_helperIblLj256ELj17ELb1EE4sortIPKbPbPKlPlEEbT_T0_T1_T2_jjjjRNS3_12storage_typeE@rel32@hi+12
	s_mov_b32 s12, s6
	s_mov_b32 s13, s28
	;; [unrolled: 1-line block ×3, first 2 shown]
	s_mov_b64 s[36:37], s[4:5]
	s_swappc_b64 s[30:31], s[14:15]
	v_mov_b32_e32 v1, v43
	v_mov_b32_e32 v2, v44
	v_mov_b32_e32 v0, v40
	s_mov_b64 s[4:5], s[36:37]
	s_mov_b32 s6, s34
	s_mov_b32 s7, 0
.LBB1533_4:
	s_andn2_b32 vcc_lo, exec_lo, s7
	s_cbranch_vccnz .LBB1533_6
; %bb.5:
	s_mov_b64 s[10:11], src_shared_base
	v_or3_b32 v31, v0, v42, v41
	v_mov_b32_e32 v40, v0
	v_mov_b32_e32 v0, s44
	;; [unrolled: 1-line block ×17, first 2 shown]
	s_add_u32 s8, s4, 0x60
	s_addc_u32 s9, s5, 0
	s_getpc_b64 s[14:15]
	s_add_u32 s14, s14, _ZN7rocprim17ROCPRIM_400000_NS6detail40segmented_radix_sort_single_block_helperIblLj256ELj17ELb1EE4sortIPKbPbPKlPlEEbT_T0_T1_T2_jjjjRNS3_12storage_typeE@rel32@lo+4
	s_addc_u32 s15, s15, _ZN7rocprim17ROCPRIM_400000_NS6detail40segmented_radix_sort_single_block_helperIblLj256ELj17ELb1EE4sortIPKbPbPKlPlEEbT_T0_T1_T2_jjjjRNS3_12storage_typeE@rel32@hi+12
	s_mov_b32 s12, s6
	s_mov_b32 s13, s28
	;; [unrolled: 1-line block ×3, first 2 shown]
	s_mov_b64 s[36:37], s[4:5]
	s_swappc_b64 s[30:31], s[14:15]
	v_mov_b32_e32 v1, v41
	v_mov_b32_e32 v2, v42
	;; [unrolled: 1-line block ×3, first 2 shown]
	s_mov_b64 s[4:5], s[36:37]
	s_mov_b32 s6, s34
.LBB1533_6:
	s_mov_b32 s7, 0
.LBB1533_7:
	s_andn2_b32 vcc_lo, exec_lo, s7
	s_cbranch_vccnz .LBB1533_1254
; %bb.8:
	s_cmp_ge_u32 s41, s42
	s_cbranch_scc1 .LBB1533_1254
; %bb.9:
	v_lshlrev_b32_e32 v45, 2, v0
	v_and_b32_e32 v4, 3, v0
	v_and_b32_e32 v5, 0xe0, v0
	s_add_u32 s56, s4, 0x60
	v_lshrrev_b32_e32 v7, 3, v0
	v_mad_u32_u24 v66, v0, 12, v45
	v_lshlrev_b32_e32 v65, 2, v4
	v_min_u32_e32 v6, 0x60, v5
	v_or_b32_e32 v4, 31, v5
	v_mul_u32_u24_e32 v70, 17, v5
	v_add_nc_u32_e32 v71, v66, v45
	v_lshlrev_b32_e32 v5, 4, v0
	v_or_b32_e32 v6, 31, v6
	v_cmp_eq_u32_e64 s4, v0, v4
	v_add_nc_u32_e32 v4, 1, v0
	v_mbcnt_lo_u32_b32 v88, -1, 0
	v_sub_nc_u32_e32 v72, v71, v5
	v_lshlrev_b32_e32 v5, 3, v70
	v_cmp_eq_u32_e64 s8, v0, v6
	v_mul_u32_u24_e32 v73, 36, v4
	v_cmp_ne_u32_e64 s13, 0x80, v4
	v_and_b32_e32 v64, 28, v7
	v_add_co_u32 v75, s14, s54, v5
	v_add_co_ci_u32_e64 v76, null, s55, 0, s14
	v_add_co_u32 v4, s14, s48, v70
	v_add_co_ci_u32_e64 v6, null, s49, 0, s14
	;; [unrolled: 2-line block ×6, first 2 shown]
	v_add_co_u32 v86, s14, s50, v5
	v_add_co_u32 v47, s7, s48, v0
	v_add_co_ci_u32_e64 v87, null, s51, 0, s14
	v_add_co_u32 v89, s14, s44, v70
	v_add_co_u32 v92, vcc_lo, v4, v88
	v_mov_b32_e32 v3, 0
	v_or_b32_e32 v46, 0x100, v0
	v_add_co_ci_u32_e64 v48, null, s49, 0, s7
	v_or_b32_e32 v49, 0x200, v0
	v_or_b32_e32 v50, 0x300, v0
	;; [unrolled: 1-line block ×15, first 2 shown]
	v_cmp_gt_u32_e64 s7, 0x80, v0
	v_or_b32_e32 v67, 0x8a00, v64
	v_cmp_gt_u32_e64 s9, 4, v0
	v_add_nc_u32_e32 v68, 0x8a00, v45
	v_cmp_lt_u32_e64 s10, 31, v0
	v_add_nc_u32_e32 v69, 0x89fc, v64
	v_cmp_gt_u32_e64 s11, 8, v0
	v_cmp_eq_u32_e64 s12, 0, v0
	v_lshlrev_b32_e32 v74, 5, v0
	v_mul_u32_u24_e32 v77, 7, v0
	v_add_co_ci_u32_e64 v90, null, s45, 0, s14
	v_mov_b32_e32 v91, 1
	v_add_co_ci_u32_e64 v93, null, 0, v6, vcc_lo
	v_mov_b32_e32 v94, 0xffff
	s_addc_u32 s57, s5, 0
	s_mov_b32 s51, 0
	s_mov_b32 s61, s41
	s_branch .LBB1533_12
.LBB1533_10:                            ;   in Loop: Header=BB1533_12 Depth=1
	s_waitcnt lgkmcnt(0)
	s_barrier
.LBB1533_11:                            ;   in Loop: Header=BB1533_12 Depth=1
	s_add_i32 s61, s61, 7
	buffer_gl0_inv
	s_cmp_ge_u32 s61, s42
	s_cbranch_scc1 .LBB1533_1254
.LBB1533_12:                            ; =>This Loop Header: Depth=1
                                        ;     Child Loop BB1533_16 Depth 2
                                        ;     Child Loop BB1533_100 Depth 2
                                        ;     Child Loop BB1533_326 Depth 2
                                        ;     Child Loop BB1533_410 Depth 2
                                        ;     Child Loop BB1533_638 Depth 2
                                        ;     Child Loop BB1533_722 Depth 2
                                        ;     Child Loop BB1533_948 Depth 2
                                        ;     Child Loop BB1533_1032 Depth 2
	s_sub_i32 s5, s42, s61
	s_xor_b32 s43, s43, -1
	s_min_u32 s5, s5, 7
	ds_write2st64_b32 v45, v3, v3 offset1:4
	s_lshl_b32 s5, -1, s5
	s_waitcnt lgkmcnt(0)
	s_waitcnt_vscnt null, 0x0
	s_not_b32 s62, s5
	s_cmp_lg_u32 s61, s41
	s_mov_b32 s5, -1
	s_cbranch_scc0 .LBB1533_634
; %bb.13:                               ;   in Loop: Header=BB1533_12 Depth=1
	s_and_b32 vcc_lo, exec_lo, s43
	s_cbranch_vccz .LBB1533_323
; %bb.14:                               ;   in Loop: Header=BB1533_12 Depth=1
	v_mov_b32_e32 v17, 0
	v_mov_b32_e32 v20, 0
	;; [unrolled: 1-line block ×17, first 2 shown]
	s_mov_b32 s5, s60
	s_mov_b32 s16, s58
	s_barrier
	buffer_gl0_inv
	s_branch .LBB1533_16
.LBB1533_15:                            ;   in Loop: Header=BB1533_16 Depth=2
	s_or_b32 exec_lo, exec_lo, s15
	s_addk_i32 s5, 0xef00
	s_cmp_ge_u32 s14, s59
	s_mov_b32 s16, s14
	s_cbranch_scc1 .LBB1533_88
.LBB1533_16:                            ;   Parent Loop BB1533_12 Depth=1
                                        ; =>  This Inner Loop Header: Depth=2
	s_add_i32 s14, s16, 0x1100
	s_mov_b32 s15, -1
	s_cmp_gt_u32 s14, s59
                                        ; implicit-def: $vgpr21
                                        ; implicit-def: $vgpr22
                                        ; implicit-def: $vgpr23
                                        ; implicit-def: $vgpr24
                                        ; implicit-def: $vgpr25
                                        ; implicit-def: $vgpr26
                                        ; implicit-def: $vgpr27
                                        ; implicit-def: $vgpr28
                                        ; implicit-def: $vgpr29
                                        ; implicit-def: $vgpr30
                                        ; implicit-def: $vgpr31
                                        ; implicit-def: $vgpr32
                                        ; implicit-def: $vgpr33
                                        ; implicit-def: $vgpr34
                                        ; implicit-def: $vgpr35
                                        ; implicit-def: $vgpr36
                                        ; implicit-def: $vgpr37
	s_cbranch_scc1 .LBB1533_18
; %bb.17:                               ;   in Loop: Header=BB1533_16 Depth=2
	v_add_co_u32 v38, vcc_lo, v47, s16
	v_add_co_ci_u32_e64 v39, null, 0, v48, vcc_lo
	s_mov_b32 s15, 0
	v_add_co_u32 v21, vcc_lo, 0x800, v38
	v_add_co_ci_u32_e64 v22, null, 0, v39, vcc_lo
	v_add_co_u32 v23, vcc_lo, 0x1000, v38
	v_add_co_ci_u32_e64 v24, null, 0, v39, vcc_lo
	s_clause 0x10
	global_load_ubyte v36, v[21:22], off offset:1792
	global_load_ubyte v37, v[23:24], off
	global_load_ubyte v35, v[21:22], off offset:1536
	global_load_ubyte v34, v[21:22], off offset:1280
	;; [unrolled: 1-line block ×6, first 2 shown]
	global_load_ubyte v29, v[21:22], off
	global_load_ubyte v28, v[38:39], off offset:1792
	global_load_ubyte v27, v[38:39], off offset:1536
	;; [unrolled: 1-line block ×7, first 2 shown]
	global_load_ubyte v21, v[38:39], off
.LBB1533_18:                            ;   in Loop: Header=BB1533_16 Depth=2
	s_andn2_b32 vcc_lo, exec_lo, s15
	s_movk_i32 s15, 0x1100
	s_cbranch_vccnz .LBB1533_38
; %bb.19:                               ;   in Loop: Header=BB1533_16 Depth=2
	s_add_u32 s15, s48, s16
	s_addc_u32 s16, s49, 0
	s_mov_b32 s17, exec_lo
	v_cmpx_gt_u32_e64 s5, v0
	s_cbranch_execnz .LBB1533_72
; %bb.20:                               ;   in Loop: Header=BB1533_16 Depth=2
	s_or_b32 exec_lo, exec_lo, s17
	s_mov_b32 s17, exec_lo
	v_cmpx_gt_u32_e64 s5, v46
	s_cbranch_execnz .LBB1533_73
.LBB1533_21:                            ;   in Loop: Header=BB1533_16 Depth=2
	s_or_b32 exec_lo, exec_lo, s17
	s_mov_b32 s17, exec_lo
	v_cmpx_gt_u32_e64 s5, v49
	s_cbranch_execnz .LBB1533_74
.LBB1533_22:                            ;   in Loop: Header=BB1533_16 Depth=2
	s_or_b32 exec_lo, exec_lo, s17
	s_mov_b32 s17, exec_lo
	v_cmpx_gt_u32_e64 s5, v50
	s_cbranch_execnz .LBB1533_75
.LBB1533_23:                            ;   in Loop: Header=BB1533_16 Depth=2
	s_or_b32 exec_lo, exec_lo, s17
	s_mov_b32 s17, exec_lo
	v_cmpx_gt_u32_e64 s5, v51
	s_cbranch_execnz .LBB1533_76
.LBB1533_24:                            ;   in Loop: Header=BB1533_16 Depth=2
	s_or_b32 exec_lo, exec_lo, s17
	s_mov_b32 s17, exec_lo
	v_cmpx_gt_u32_e64 s5, v52
	s_cbranch_execnz .LBB1533_77
.LBB1533_25:                            ;   in Loop: Header=BB1533_16 Depth=2
	s_or_b32 exec_lo, exec_lo, s17
	s_mov_b32 s17, exec_lo
	v_cmpx_gt_u32_e64 s5, v53
	s_cbranch_execnz .LBB1533_78
.LBB1533_26:                            ;   in Loop: Header=BB1533_16 Depth=2
	s_or_b32 exec_lo, exec_lo, s17
	s_mov_b32 s17, exec_lo
	v_cmpx_gt_u32_e64 s5, v54
	s_cbranch_execnz .LBB1533_79
.LBB1533_27:                            ;   in Loop: Header=BB1533_16 Depth=2
	s_or_b32 exec_lo, exec_lo, s17
	s_mov_b32 s17, exec_lo
	v_cmpx_gt_u32_e64 s5, v55
	s_cbranch_execnz .LBB1533_80
.LBB1533_28:                            ;   in Loop: Header=BB1533_16 Depth=2
	s_or_b32 exec_lo, exec_lo, s17
	s_mov_b32 s17, exec_lo
	v_cmpx_gt_u32_e64 s5, v56
	s_cbranch_execnz .LBB1533_81
.LBB1533_29:                            ;   in Loop: Header=BB1533_16 Depth=2
	s_or_b32 exec_lo, exec_lo, s17
	s_mov_b32 s17, exec_lo
	v_cmpx_gt_u32_e64 s5, v57
	s_cbranch_execnz .LBB1533_82
.LBB1533_30:                            ;   in Loop: Header=BB1533_16 Depth=2
	s_or_b32 exec_lo, exec_lo, s17
	s_mov_b32 s17, exec_lo
	v_cmpx_gt_u32_e64 s5, v58
	s_cbranch_execnz .LBB1533_83
.LBB1533_31:                            ;   in Loop: Header=BB1533_16 Depth=2
	s_or_b32 exec_lo, exec_lo, s17
	s_mov_b32 s17, exec_lo
	v_cmpx_gt_u32_e64 s5, v59
	s_cbranch_execnz .LBB1533_84
.LBB1533_32:                            ;   in Loop: Header=BB1533_16 Depth=2
	s_or_b32 exec_lo, exec_lo, s17
	s_mov_b32 s17, exec_lo
	v_cmpx_gt_u32_e64 s5, v60
	s_cbranch_execnz .LBB1533_85
.LBB1533_33:                            ;   in Loop: Header=BB1533_16 Depth=2
	s_or_b32 exec_lo, exec_lo, s17
	s_mov_b32 s17, exec_lo
	v_cmpx_gt_u32_e64 s5, v61
	s_cbranch_execnz .LBB1533_86
.LBB1533_34:                            ;   in Loop: Header=BB1533_16 Depth=2
	s_or_b32 exec_lo, exec_lo, s17
	s_mov_b32 s17, exec_lo
	v_cmpx_gt_u32_e64 s5, v62
	s_cbranch_execnz .LBB1533_87
.LBB1533_35:                            ;   in Loop: Header=BB1533_16 Depth=2
	s_or_b32 exec_lo, exec_lo, s17
	s_mov_b32 s17, exec_lo
	v_cmpx_gt_u32_e64 s5, v63
	s_cbranch_execz .LBB1533_37
.LBB1533_36:                            ;   in Loop: Header=BB1533_16 Depth=2
	s_waitcnt vmcnt(0)
	v_add_co_u32 v21, s15, s15, v63
	v_add_co_ci_u32_e64 v22, null, s16, 0, s15
	global_load_ubyte v4, v[21:22], off
.LBB1533_37:                            ;   in Loop: Header=BB1533_16 Depth=2
	s_or_b32 exec_lo, exec_lo, s17
	s_waitcnt vmcnt(0)
	v_mov_b32_e32 v21, v17
	v_mov_b32_e32 v22, v20
	;; [unrolled: 1-line block ×17, first 2 shown]
	s_mov_b32 s15, s5
.LBB1533_38:                            ;   in Loop: Header=BB1533_16 Depth=2
	s_waitcnt vmcnt(15)
	v_mov_b32_e32 v4, v37
	v_mov_b32_e32 v5, v36
	s_waitcnt vmcnt(14)
	v_mov_b32_e32 v6, v35
	s_waitcnt vmcnt(13)
	v_mov_b32_e32 v7, v34
	s_waitcnt vmcnt(12)
	v_mov_b32_e32 v8, v33
	s_waitcnt vmcnt(11)
	v_mov_b32_e32 v9, v32
	s_waitcnt vmcnt(10)
	v_mov_b32_e32 v10, v31
	s_waitcnt vmcnt(9)
	v_mov_b32_e32 v11, v30
	s_waitcnt vmcnt(8)
	v_mov_b32_e32 v12, v29
	s_waitcnt vmcnt(7)
	v_mov_b32_e32 v13, v28
	s_waitcnt vmcnt(6)
	v_mov_b32_e32 v14, v27
	s_waitcnt vmcnt(5)
	v_mov_b32_e32 v15, v26
	s_waitcnt vmcnt(4)
	v_mov_b32_e32 v16, v25
	s_waitcnt vmcnt(3)
	v_mov_b32_e32 v18, v24
	s_waitcnt vmcnt(2)
	v_mov_b32_e32 v19, v23
	s_waitcnt vmcnt(1)
	v_mov_b32_e32 v20, v22
	s_waitcnt vmcnt(0)
	v_mov_b32_e32 v17, v21
	s_mov_b32 s16, exec_lo
	v_cmpx_gt_u32_e64 s15, v0
	s_cbranch_execnz .LBB1533_55
; %bb.39:                               ;   in Loop: Header=BB1533_16 Depth=2
	s_or_b32 exec_lo, exec_lo, s16
	s_mov_b32 s16, exec_lo
	v_cmpx_gt_u32_e64 s15, v46
	s_cbranch_execnz .LBB1533_56
.LBB1533_40:                            ;   in Loop: Header=BB1533_16 Depth=2
	s_or_b32 exec_lo, exec_lo, s16
	s_mov_b32 s16, exec_lo
	v_cmpx_gt_u32_e64 s15, v49
	s_cbranch_execnz .LBB1533_57
.LBB1533_41:                            ;   in Loop: Header=BB1533_16 Depth=2
	s_or_b32 exec_lo, exec_lo, s16
	s_mov_b32 s16, exec_lo
	v_cmpx_gt_u32_e64 s15, v50
	s_cbranch_execnz .LBB1533_58
.LBB1533_42:                            ;   in Loop: Header=BB1533_16 Depth=2
	s_or_b32 exec_lo, exec_lo, s16
	s_mov_b32 s16, exec_lo
	v_cmpx_gt_u32_e64 s15, v51
	s_cbranch_execnz .LBB1533_59
.LBB1533_43:                            ;   in Loop: Header=BB1533_16 Depth=2
	s_or_b32 exec_lo, exec_lo, s16
	s_mov_b32 s16, exec_lo
	v_cmpx_gt_u32_e64 s15, v52
	s_cbranch_execnz .LBB1533_60
.LBB1533_44:                            ;   in Loop: Header=BB1533_16 Depth=2
	s_or_b32 exec_lo, exec_lo, s16
	s_mov_b32 s16, exec_lo
	v_cmpx_gt_u32_e64 s15, v53
	s_cbranch_execnz .LBB1533_61
.LBB1533_45:                            ;   in Loop: Header=BB1533_16 Depth=2
	s_or_b32 exec_lo, exec_lo, s16
	s_mov_b32 s16, exec_lo
	v_cmpx_gt_u32_e64 s15, v54
	s_cbranch_execnz .LBB1533_62
.LBB1533_46:                            ;   in Loop: Header=BB1533_16 Depth=2
	s_or_b32 exec_lo, exec_lo, s16
	s_mov_b32 s16, exec_lo
	v_cmpx_gt_u32_e64 s15, v55
	s_cbranch_execnz .LBB1533_63
.LBB1533_47:                            ;   in Loop: Header=BB1533_16 Depth=2
	s_or_b32 exec_lo, exec_lo, s16
	s_mov_b32 s16, exec_lo
	v_cmpx_gt_u32_e64 s15, v56
	s_cbranch_execnz .LBB1533_64
.LBB1533_48:                            ;   in Loop: Header=BB1533_16 Depth=2
	s_or_b32 exec_lo, exec_lo, s16
	s_mov_b32 s16, exec_lo
	v_cmpx_gt_u32_e64 s15, v57
	s_cbranch_execnz .LBB1533_65
.LBB1533_49:                            ;   in Loop: Header=BB1533_16 Depth=2
	s_or_b32 exec_lo, exec_lo, s16
	s_mov_b32 s16, exec_lo
	v_cmpx_gt_u32_e64 s15, v58
	s_cbranch_execnz .LBB1533_66
.LBB1533_50:                            ;   in Loop: Header=BB1533_16 Depth=2
	s_or_b32 exec_lo, exec_lo, s16
	s_mov_b32 s16, exec_lo
	v_cmpx_gt_u32_e64 s15, v59
	s_cbranch_execnz .LBB1533_67
.LBB1533_51:                            ;   in Loop: Header=BB1533_16 Depth=2
	s_or_b32 exec_lo, exec_lo, s16
	s_mov_b32 s16, exec_lo
	v_cmpx_gt_u32_e64 s15, v60
	s_cbranch_execnz .LBB1533_68
.LBB1533_52:                            ;   in Loop: Header=BB1533_16 Depth=2
	s_or_b32 exec_lo, exec_lo, s16
	s_mov_b32 s16, exec_lo
	v_cmpx_gt_u32_e64 s15, v61
	s_cbranch_execnz .LBB1533_69
.LBB1533_53:                            ;   in Loop: Header=BB1533_16 Depth=2
	s_or_b32 exec_lo, exec_lo, s16
	s_mov_b32 s16, exec_lo
	v_cmpx_gt_u32_e64 s15, v62
	s_cbranch_execnz .LBB1533_70
.LBB1533_54:                            ;   in Loop: Header=BB1533_16 Depth=2
	s_or_b32 exec_lo, exec_lo, s16
	v_cmp_gt_u32_e32 vcc_lo, s15, v63
	s_and_saveexec_b32 s15, vcc_lo
	s_cbranch_execz .LBB1533_15
	s_branch .LBB1533_71
.LBB1533_55:                            ;   in Loop: Header=BB1533_16 Depth=2
	v_xor_b32_e32 v21, -1, v17
	v_and_b32_e32 v21, 1, v21
	v_lshrrev_b32_sdwa v21, s61, v21 dst_sel:DWORD dst_unused:UNUSED_PAD src0_sel:DWORD src1_sel:WORD_0
	v_and_b32_e32 v21, s62, v21
	v_lshl_or_b32 v21, v21, 4, v65
	ds_add_u32 v21, v91
	s_or_b32 exec_lo, exec_lo, s16
	s_mov_b32 s16, exec_lo
	v_cmpx_gt_u32_e64 s15, v46
	s_cbranch_execz .LBB1533_40
.LBB1533_56:                            ;   in Loop: Header=BB1533_16 Depth=2
	v_xor_b32_e32 v21, -1, v20
	v_and_b32_e32 v21, 1, v21
	v_lshrrev_b32_sdwa v21, s61, v21 dst_sel:DWORD dst_unused:UNUSED_PAD src0_sel:DWORD src1_sel:WORD_0
	v_and_b32_e32 v21, s62, v21
	v_lshl_or_b32 v21, v21, 4, v65
	ds_add_u32 v21, v91
	s_or_b32 exec_lo, exec_lo, s16
	s_mov_b32 s16, exec_lo
	v_cmpx_gt_u32_e64 s15, v49
	s_cbranch_execz .LBB1533_41
.LBB1533_57:                            ;   in Loop: Header=BB1533_16 Depth=2
	v_xor_b32_e32 v21, -1, v19
	v_and_b32_e32 v21, 1, v21
	v_lshrrev_b32_sdwa v21, s61, v21 dst_sel:DWORD dst_unused:UNUSED_PAD src0_sel:DWORD src1_sel:WORD_0
	v_and_b32_e32 v21, s62, v21
	v_lshl_or_b32 v21, v21, 4, v65
	ds_add_u32 v21, v91
	s_or_b32 exec_lo, exec_lo, s16
	s_mov_b32 s16, exec_lo
	v_cmpx_gt_u32_e64 s15, v50
	s_cbranch_execz .LBB1533_42
.LBB1533_58:                            ;   in Loop: Header=BB1533_16 Depth=2
	v_xor_b32_e32 v21, -1, v18
	v_and_b32_e32 v21, 1, v21
	v_lshrrev_b32_sdwa v21, s61, v21 dst_sel:DWORD dst_unused:UNUSED_PAD src0_sel:DWORD src1_sel:WORD_0
	v_and_b32_e32 v21, s62, v21
	v_lshl_or_b32 v21, v21, 4, v65
	ds_add_u32 v21, v91
	s_or_b32 exec_lo, exec_lo, s16
	s_mov_b32 s16, exec_lo
	v_cmpx_gt_u32_e64 s15, v51
	s_cbranch_execz .LBB1533_43
.LBB1533_59:                            ;   in Loop: Header=BB1533_16 Depth=2
	v_xor_b32_e32 v21, -1, v16
	v_and_b32_e32 v21, 1, v21
	v_lshrrev_b32_sdwa v21, s61, v21 dst_sel:DWORD dst_unused:UNUSED_PAD src0_sel:DWORD src1_sel:WORD_0
	v_and_b32_e32 v21, s62, v21
	v_lshl_or_b32 v21, v21, 4, v65
	ds_add_u32 v21, v91
	s_or_b32 exec_lo, exec_lo, s16
	s_mov_b32 s16, exec_lo
	v_cmpx_gt_u32_e64 s15, v52
	s_cbranch_execz .LBB1533_44
.LBB1533_60:                            ;   in Loop: Header=BB1533_16 Depth=2
	v_xor_b32_e32 v21, -1, v15
	v_and_b32_e32 v21, 1, v21
	v_lshrrev_b32_sdwa v21, s61, v21 dst_sel:DWORD dst_unused:UNUSED_PAD src0_sel:DWORD src1_sel:WORD_0
	v_and_b32_e32 v21, s62, v21
	v_lshl_or_b32 v21, v21, 4, v65
	ds_add_u32 v21, v91
	s_or_b32 exec_lo, exec_lo, s16
	s_mov_b32 s16, exec_lo
	v_cmpx_gt_u32_e64 s15, v53
	s_cbranch_execz .LBB1533_45
.LBB1533_61:                            ;   in Loop: Header=BB1533_16 Depth=2
	v_xor_b32_e32 v21, -1, v14
	v_and_b32_e32 v21, 1, v21
	v_lshrrev_b32_sdwa v21, s61, v21 dst_sel:DWORD dst_unused:UNUSED_PAD src0_sel:DWORD src1_sel:WORD_0
	v_and_b32_e32 v21, s62, v21
	v_lshl_or_b32 v21, v21, 4, v65
	ds_add_u32 v21, v91
	s_or_b32 exec_lo, exec_lo, s16
	s_mov_b32 s16, exec_lo
	v_cmpx_gt_u32_e64 s15, v54
	s_cbranch_execz .LBB1533_46
.LBB1533_62:                            ;   in Loop: Header=BB1533_16 Depth=2
	v_xor_b32_e32 v21, -1, v13
	v_and_b32_e32 v21, 1, v21
	v_lshrrev_b32_sdwa v21, s61, v21 dst_sel:DWORD dst_unused:UNUSED_PAD src0_sel:DWORD src1_sel:WORD_0
	v_and_b32_e32 v21, s62, v21
	v_lshl_or_b32 v21, v21, 4, v65
	ds_add_u32 v21, v91
	s_or_b32 exec_lo, exec_lo, s16
	s_mov_b32 s16, exec_lo
	v_cmpx_gt_u32_e64 s15, v55
	s_cbranch_execz .LBB1533_47
.LBB1533_63:                            ;   in Loop: Header=BB1533_16 Depth=2
	v_xor_b32_e32 v21, -1, v12
	v_and_b32_e32 v21, 1, v21
	v_lshrrev_b32_sdwa v21, s61, v21 dst_sel:DWORD dst_unused:UNUSED_PAD src0_sel:DWORD src1_sel:WORD_0
	v_and_b32_e32 v21, s62, v21
	v_lshl_or_b32 v21, v21, 4, v65
	ds_add_u32 v21, v91
	s_or_b32 exec_lo, exec_lo, s16
	s_mov_b32 s16, exec_lo
	v_cmpx_gt_u32_e64 s15, v56
	s_cbranch_execz .LBB1533_48
.LBB1533_64:                            ;   in Loop: Header=BB1533_16 Depth=2
	v_xor_b32_e32 v21, -1, v11
	v_and_b32_e32 v21, 1, v21
	v_lshrrev_b32_sdwa v21, s61, v21 dst_sel:DWORD dst_unused:UNUSED_PAD src0_sel:DWORD src1_sel:WORD_0
	v_and_b32_e32 v21, s62, v21
	v_lshl_or_b32 v21, v21, 4, v65
	ds_add_u32 v21, v91
	s_or_b32 exec_lo, exec_lo, s16
	s_mov_b32 s16, exec_lo
	v_cmpx_gt_u32_e64 s15, v57
	s_cbranch_execz .LBB1533_49
.LBB1533_65:                            ;   in Loop: Header=BB1533_16 Depth=2
	v_xor_b32_e32 v21, -1, v10
	v_and_b32_e32 v21, 1, v21
	v_lshrrev_b32_sdwa v21, s61, v21 dst_sel:DWORD dst_unused:UNUSED_PAD src0_sel:DWORD src1_sel:WORD_0
	v_and_b32_e32 v21, s62, v21
	v_lshl_or_b32 v21, v21, 4, v65
	ds_add_u32 v21, v91
	s_or_b32 exec_lo, exec_lo, s16
	s_mov_b32 s16, exec_lo
	v_cmpx_gt_u32_e64 s15, v58
	s_cbranch_execz .LBB1533_50
.LBB1533_66:                            ;   in Loop: Header=BB1533_16 Depth=2
	v_xor_b32_e32 v21, -1, v9
	v_and_b32_e32 v21, 1, v21
	v_lshrrev_b32_sdwa v21, s61, v21 dst_sel:DWORD dst_unused:UNUSED_PAD src0_sel:DWORD src1_sel:WORD_0
	v_and_b32_e32 v21, s62, v21
	v_lshl_or_b32 v21, v21, 4, v65
	ds_add_u32 v21, v91
	s_or_b32 exec_lo, exec_lo, s16
	s_mov_b32 s16, exec_lo
	v_cmpx_gt_u32_e64 s15, v59
	s_cbranch_execz .LBB1533_51
.LBB1533_67:                            ;   in Loop: Header=BB1533_16 Depth=2
	v_xor_b32_e32 v21, -1, v8
	v_and_b32_e32 v21, 1, v21
	v_lshrrev_b32_sdwa v21, s61, v21 dst_sel:DWORD dst_unused:UNUSED_PAD src0_sel:DWORD src1_sel:WORD_0
	v_and_b32_e32 v21, s62, v21
	v_lshl_or_b32 v21, v21, 4, v65
	ds_add_u32 v21, v91
	s_or_b32 exec_lo, exec_lo, s16
	s_mov_b32 s16, exec_lo
	v_cmpx_gt_u32_e64 s15, v60
	s_cbranch_execz .LBB1533_52
.LBB1533_68:                            ;   in Loop: Header=BB1533_16 Depth=2
	v_xor_b32_e32 v21, -1, v7
	v_and_b32_e32 v21, 1, v21
	v_lshrrev_b32_sdwa v21, s61, v21 dst_sel:DWORD dst_unused:UNUSED_PAD src0_sel:DWORD src1_sel:WORD_0
	v_and_b32_e32 v21, s62, v21
	v_lshl_or_b32 v21, v21, 4, v65
	ds_add_u32 v21, v91
	s_or_b32 exec_lo, exec_lo, s16
	s_mov_b32 s16, exec_lo
	v_cmpx_gt_u32_e64 s15, v61
	s_cbranch_execz .LBB1533_53
.LBB1533_69:                            ;   in Loop: Header=BB1533_16 Depth=2
	v_xor_b32_e32 v21, -1, v6
	v_and_b32_e32 v21, 1, v21
	v_lshrrev_b32_sdwa v21, s61, v21 dst_sel:DWORD dst_unused:UNUSED_PAD src0_sel:DWORD src1_sel:WORD_0
	v_and_b32_e32 v21, s62, v21
	v_lshl_or_b32 v21, v21, 4, v65
	ds_add_u32 v21, v91
	s_or_b32 exec_lo, exec_lo, s16
	s_mov_b32 s16, exec_lo
	v_cmpx_gt_u32_e64 s15, v62
	s_cbranch_execz .LBB1533_54
.LBB1533_70:                            ;   in Loop: Header=BB1533_16 Depth=2
	v_xor_b32_e32 v21, -1, v5
	v_and_b32_e32 v21, 1, v21
	v_lshrrev_b32_sdwa v21, s61, v21 dst_sel:DWORD dst_unused:UNUSED_PAD src0_sel:DWORD src1_sel:WORD_0
	v_and_b32_e32 v21, s62, v21
	v_lshl_or_b32 v21, v21, 4, v65
	ds_add_u32 v21, v91
	s_or_b32 exec_lo, exec_lo, s16
	v_cmp_gt_u32_e32 vcc_lo, s15, v63
	s_and_saveexec_b32 s15, vcc_lo
	s_cbranch_execz .LBB1533_15
.LBB1533_71:                            ;   in Loop: Header=BB1533_16 Depth=2
	v_xor_b32_e32 v21, -1, v4
	v_and_b32_e32 v21, 1, v21
	v_lshrrev_b32_sdwa v21, s61, v21 dst_sel:DWORD dst_unused:UNUSED_PAD src0_sel:DWORD src1_sel:WORD_0
	v_and_b32_e32 v21, s62, v21
	v_lshl_or_b32 v21, v21, 4, v65
	ds_add_u32 v21, v91
	s_branch .LBB1533_15
.LBB1533_72:                            ;   in Loop: Header=BB1533_16 Depth=2
	s_waitcnt vmcnt(0)
	v_add_co_u32 v21, s18, s15, v0
	v_add_co_ci_u32_e64 v22, null, s16, 0, s18
	global_load_ubyte v17, v[21:22], off
	s_or_b32 exec_lo, exec_lo, s17
	s_mov_b32 s17, exec_lo
	v_cmpx_gt_u32_e64 s5, v46
	s_cbranch_execz .LBB1533_21
.LBB1533_73:                            ;   in Loop: Header=BB1533_16 Depth=2
	v_add_co_u32 v20, s18, s15, v0
	s_waitcnt vmcnt(0)
	v_add_co_ci_u32_e64 v21, null, s16, 0, s18
	global_load_ubyte v20, v[20:21], off offset:256
	s_or_b32 exec_lo, exec_lo, s17
	s_mov_b32 s17, exec_lo
	v_cmpx_gt_u32_e64 s5, v49
	s_cbranch_execz .LBB1533_22
.LBB1533_74:                            ;   in Loop: Header=BB1533_16 Depth=2
	s_waitcnt vmcnt(0)
	v_add_co_u32 v21, s18, s15, v0
	v_add_co_ci_u32_e64 v22, null, s16, 0, s18
	global_load_ubyte v19, v[21:22], off offset:512
	s_or_b32 exec_lo, exec_lo, s17
	s_mov_b32 s17, exec_lo
	v_cmpx_gt_u32_e64 s5, v50
	s_cbranch_execz .LBB1533_23
.LBB1533_75:                            ;   in Loop: Header=BB1533_16 Depth=2
	s_waitcnt vmcnt(0)
	v_add_co_u32 v21, s18, s15, v0
	v_add_co_ci_u32_e64 v22, null, s16, 0, s18
	global_load_ubyte v18, v[21:22], off offset:768
	s_or_b32 exec_lo, exec_lo, s17
	s_mov_b32 s17, exec_lo
	v_cmpx_gt_u32_e64 s5, v51
	s_cbranch_execz .LBB1533_24
.LBB1533_76:                            ;   in Loop: Header=BB1533_16 Depth=2
	s_waitcnt vmcnt(0)
	v_add_co_u32 v21, s18, s15, v0
	v_add_co_ci_u32_e64 v22, null, s16, 0, s18
	global_load_ubyte v16, v[21:22], off offset:1024
	s_or_b32 exec_lo, exec_lo, s17
	s_mov_b32 s17, exec_lo
	v_cmpx_gt_u32_e64 s5, v52
	s_cbranch_execz .LBB1533_25
.LBB1533_77:                            ;   in Loop: Header=BB1533_16 Depth=2
	s_waitcnt vmcnt(0)
	v_add_co_u32 v21, s18, s15, v0
	v_add_co_ci_u32_e64 v22, null, s16, 0, s18
	global_load_ubyte v15, v[21:22], off offset:1280
	s_or_b32 exec_lo, exec_lo, s17
	s_mov_b32 s17, exec_lo
	v_cmpx_gt_u32_e64 s5, v53
	s_cbranch_execz .LBB1533_26
.LBB1533_78:                            ;   in Loop: Header=BB1533_16 Depth=2
	s_waitcnt vmcnt(0)
	v_add_co_u32 v21, s18, s15, v0
	v_add_co_ci_u32_e64 v22, null, s16, 0, s18
	global_load_ubyte v14, v[21:22], off offset:1536
	s_or_b32 exec_lo, exec_lo, s17
	s_mov_b32 s17, exec_lo
	v_cmpx_gt_u32_e64 s5, v54
	s_cbranch_execz .LBB1533_27
.LBB1533_79:                            ;   in Loop: Header=BB1533_16 Depth=2
	s_waitcnt vmcnt(0)
	v_add_co_u32 v21, s18, s15, v0
	v_add_co_ci_u32_e64 v22, null, s16, 0, s18
	global_load_ubyte v13, v[21:22], off offset:1792
	s_or_b32 exec_lo, exec_lo, s17
	s_mov_b32 s17, exec_lo
	v_cmpx_gt_u32_e64 s5, v55
	s_cbranch_execz .LBB1533_28
.LBB1533_80:                            ;   in Loop: Header=BB1533_16 Depth=2
	s_waitcnt vmcnt(0)
	v_add_co_u32 v21, s18, s15, v55
	v_add_co_ci_u32_e64 v22, null, s16, 0, s18
	global_load_ubyte v12, v[21:22], off
	s_or_b32 exec_lo, exec_lo, s17
	s_mov_b32 s17, exec_lo
	v_cmpx_gt_u32_e64 s5, v56
	s_cbranch_execz .LBB1533_29
.LBB1533_81:                            ;   in Loop: Header=BB1533_16 Depth=2
	s_waitcnt vmcnt(0)
	v_add_co_u32 v21, s18, s15, v56
	v_add_co_ci_u32_e64 v22, null, s16, 0, s18
	global_load_ubyte v11, v[21:22], off
	s_or_b32 exec_lo, exec_lo, s17
	s_mov_b32 s17, exec_lo
	v_cmpx_gt_u32_e64 s5, v57
	s_cbranch_execz .LBB1533_30
.LBB1533_82:                            ;   in Loop: Header=BB1533_16 Depth=2
	s_waitcnt vmcnt(0)
	v_add_co_u32 v21, s18, s15, v57
	v_add_co_ci_u32_e64 v22, null, s16, 0, s18
	global_load_ubyte v10, v[21:22], off
	s_or_b32 exec_lo, exec_lo, s17
	s_mov_b32 s17, exec_lo
	v_cmpx_gt_u32_e64 s5, v58
	s_cbranch_execz .LBB1533_31
.LBB1533_83:                            ;   in Loop: Header=BB1533_16 Depth=2
	s_waitcnt vmcnt(0)
	v_add_co_u32 v21, s18, s15, v58
	v_add_co_ci_u32_e64 v22, null, s16, 0, s18
	global_load_ubyte v9, v[21:22], off
	s_or_b32 exec_lo, exec_lo, s17
	s_mov_b32 s17, exec_lo
	v_cmpx_gt_u32_e64 s5, v59
	s_cbranch_execz .LBB1533_32
.LBB1533_84:                            ;   in Loop: Header=BB1533_16 Depth=2
	s_waitcnt vmcnt(0)
	v_add_co_u32 v21, s18, s15, v59
	v_add_co_ci_u32_e64 v22, null, s16, 0, s18
	global_load_ubyte v8, v[21:22], off
	s_or_b32 exec_lo, exec_lo, s17
	s_mov_b32 s17, exec_lo
	v_cmpx_gt_u32_e64 s5, v60
	s_cbranch_execz .LBB1533_33
.LBB1533_85:                            ;   in Loop: Header=BB1533_16 Depth=2
	s_waitcnt vmcnt(0)
	v_add_co_u32 v21, s18, s15, v60
	v_add_co_ci_u32_e64 v22, null, s16, 0, s18
	global_load_ubyte v7, v[21:22], off
	s_or_b32 exec_lo, exec_lo, s17
	s_mov_b32 s17, exec_lo
	v_cmpx_gt_u32_e64 s5, v61
	s_cbranch_execz .LBB1533_34
.LBB1533_86:                            ;   in Loop: Header=BB1533_16 Depth=2
	s_waitcnt vmcnt(0)
	v_add_co_u32 v21, s18, s15, v61
	v_add_co_ci_u32_e64 v22, null, s16, 0, s18
	global_load_ubyte v6, v[21:22], off
	s_or_b32 exec_lo, exec_lo, s17
	s_mov_b32 s17, exec_lo
	v_cmpx_gt_u32_e64 s5, v62
	s_cbranch_execz .LBB1533_35
.LBB1533_87:                            ;   in Loop: Header=BB1533_16 Depth=2
	s_waitcnt vmcnt(0)
	v_add_co_u32 v21, s18, s15, v62
	v_add_co_ci_u32_e64 v22, null, s16, 0, s18
	global_load_ubyte v5, v[21:22], off
	s_or_b32 exec_lo, exec_lo, s17
	s_mov_b32 s17, exec_lo
	v_cmpx_gt_u32_e64 s5, v63
	s_cbranch_execnz .LBB1533_36
	s_branch .LBB1533_37
.LBB1533_88:                            ;   in Loop: Header=BB1533_12 Depth=1
	v_mov_b32_e32 v4, 0
	s_waitcnt lgkmcnt(0)
	s_barrier
	buffer_gl0_inv
	s_and_saveexec_b32 s5, s7
	s_cbranch_execz .LBB1533_90
; %bb.89:                               ;   in Loop: Header=BB1533_12 Depth=1
	ds_read2_b64 v[4:7], v66 offset1:1
	s_waitcnt lgkmcnt(0)
	v_add_nc_u32_e32 v4, v5, v4
	v_add3_u32 v4, v4, v6, v7
.LBB1533_90:                            ;   in Loop: Header=BB1533_12 Depth=1
	s_or_b32 exec_lo, exec_lo, s5
	v_and_b32_e32 v5, 15, v88
	v_mov_b32_dpp v6, v4 row_shr:1 row_mask:0xf bank_mask:0xf
	v_and_b32_e32 v7, 16, v88
	v_cmp_eq_u32_e64 s5, 0, v5
	v_cmp_lt_u32_e64 s14, 1, v5
	v_cmp_lt_u32_e64 s15, 3, v5
	;; [unrolled: 1-line block ×3, first 2 shown]
	v_cmp_eq_u32_e64 s17, 0, v7
	v_cndmask_b32_e64 v6, v6, 0, s5
	v_add_nc_u32_e32 v4, v6, v4
	v_mov_b32_dpp v6, v4 row_shr:2 row_mask:0xf bank_mask:0xf
	v_cndmask_b32_e64 v6, 0, v6, s14
	v_add_nc_u32_e32 v4, v4, v6
	v_mov_b32_dpp v6, v4 row_shr:4 row_mask:0xf bank_mask:0xf
	;; [unrolled: 3-line block ×3, first 2 shown]
	v_cndmask_b32_e64 v5, 0, v6, s16
	v_bfe_i32 v6, v88, 4, 1
	v_add_nc_u32_e32 v4, v4, v5
	ds_swizzle_b32 v5, v4 offset:swizzle(BROADCAST,32,15)
	s_waitcnt lgkmcnt(0)
	v_and_b32_e32 v5, v6, v5
	v_add_nc_u32_e32 v4, v4, v5
	s_and_saveexec_b32 s18, s8
; %bb.91:                               ;   in Loop: Header=BB1533_12 Depth=1
	ds_write_b32 v67, v4
; %bb.92:                               ;   in Loop: Header=BB1533_12 Depth=1
	s_or_b32 exec_lo, exec_lo, s18
	s_waitcnt lgkmcnt(0)
	s_barrier
	buffer_gl0_inv
	s_and_saveexec_b32 s18, s9
	s_cbranch_execz .LBB1533_94
; %bb.93:                               ;   in Loop: Header=BB1533_12 Depth=1
	ds_read_b32 v5, v68
	v_and_b32_e32 v6, 3, v88
	v_cmp_ne_u32_e32 vcc_lo, 0, v6
	s_waitcnt lgkmcnt(0)
	v_mov_b32_dpp v7, v5 row_shr:1 row_mask:0xf bank_mask:0xf
	v_cndmask_b32_e32 v7, 0, v7, vcc_lo
	v_cmp_lt_u32_e32 vcc_lo, 1, v6
	v_add_nc_u32_e32 v5, v7, v5
	v_mov_b32_dpp v7, v5 row_shr:2 row_mask:0xf bank_mask:0xf
	v_cndmask_b32_e32 v6, 0, v7, vcc_lo
	v_add_nc_u32_e32 v5, v5, v6
	ds_write_b32 v68, v5
.LBB1533_94:                            ;   in Loop: Header=BB1533_12 Depth=1
	s_or_b32 exec_lo, exec_lo, s18
	v_mov_b32_e32 v5, 0
	s_waitcnt lgkmcnt(0)
	s_barrier
	buffer_gl0_inv
	s_and_saveexec_b32 s18, s10
; %bb.95:                               ;   in Loop: Header=BB1533_12 Depth=1
	ds_read_b32 v5, v69
; %bb.96:                               ;   in Loop: Header=BB1533_12 Depth=1
	s_or_b32 exec_lo, exec_lo, s18
	v_sub_co_u32 v6, s18, v88, 1
	s_waitcnt lgkmcnt(0)
	v_add_nc_u32_e32 v4, v5, v4
	s_barrier
	v_cmp_gt_i32_e32 vcc_lo, 0, v6
	buffer_gl0_inv
	v_cndmask_b32_e32 v6, v6, v88, vcc_lo
	v_lshlrev_b32_e32 v95, 2, v6
	ds_bpermute_b32 v4, v95, v4
	s_and_saveexec_b32 s19, s7
	s_cbranch_execz .LBB1533_98
; %bb.97:                               ;   in Loop: Header=BB1533_12 Depth=1
	s_waitcnt lgkmcnt(0)
	v_cndmask_b32_e64 v4, v4, v5, s18
	v_add_nc_u32_e32 v4, s58, v4
	ds_write_b32 v45, v4
.LBB1533_98:                            ;   in Loop: Header=BB1533_12 Depth=1
	s_or_b32 exec_lo, exec_lo, s19
	s_clause 0x1
	s_load_dword s19, s[56:57], 0x4
	s_load_dword s22, s[56:57], 0xc
	v_and_b32_e32 v5, 7, v88
	v_lshlrev_b32_e32 v6, 3, v88
	v_or_b32_e32 v96, v88, v70
	v_mov_b32_e32 v8, 0
	s_mov_b32 s63, s60
	s_mov_b32 s50, s58
	v_add_co_u32 v97, vcc_lo, v75, v6
	v_add_co_ci_u32_e64 v98, null, 0, v76, vcc_lo
	v_add_nc_u32_e32 v99, 32, v96
	v_add_nc_u32_e32 v100, 64, v96
	;; [unrolled: 1-line block ×8, first 2 shown]
	s_waitcnt lgkmcnt(0)
	s_cmp_lt_u32 s28, s19
	v_add_nc_u32_e32 v107, 0x120, v96
	s_cselect_b32 s19, 14, 20
	v_add_nc_u32_e32 v108, 0x140, v96
	s_add_u32 s20, s56, s19
	s_addc_u32 s21, s57, 0
	s_and_b32 s22, s22, 0xffff
	global_load_ushort v4, v3, s[20:21]
	v_cmp_eq_u32_e64 s19, 0, v5
	v_cmp_lt_u32_e64 s20, 1, v5
	v_cmp_lt_u32_e64 s21, 3, v5
	v_add_nc_u32_e32 v109, 0x160, v96
	v_add_nc_u32_e32 v110, 0x180, v96
	;; [unrolled: 1-line block ×6, first 2 shown]
                                        ; implicit-def: $vgpr9_vgpr10
                                        ; implicit-def: $vgpr11_vgpr12
                                        ; implicit-def: $vgpr13_vgpr14
                                        ; implicit-def: $vgpr15_vgpr16
                                        ; implicit-def: $vgpr17_vgpr18
                                        ; implicit-def: $vgpr19_vgpr20
                                        ; implicit-def: $vgpr23_vgpr24
                                        ; implicit-def: $vgpr27_vgpr28
                                        ; implicit-def: $vgpr31_vgpr32
                                        ; implicit-def: $vgpr21_vgpr22
                                        ; implicit-def: $vgpr25_vgpr26
                                        ; implicit-def: $vgpr29_vgpr30
                                        ; implicit-def: $vgpr33_vgpr34
                                        ; implicit-def: $vgpr35_vgpr36
                                        ; implicit-def: $vgpr37_vgpr38
                                        ; implicit-def: $vgpr39_vgpr40
                                        ; implicit-def: $vgpr41_vgpr42
                                        ; implicit-def: $vgpr116
                                        ; implicit-def: $vgpr117
                                        ; implicit-def: $vgpr118
                                        ; implicit-def: $vgpr119
                                        ; implicit-def: $vgpr120
                                        ; implicit-def: $vgpr121
                                        ; implicit-def: $vgpr122
                                        ; implicit-def: $vgpr123
                                        ; implicit-def: $vgpr124
                                        ; implicit-def: $vgpr125
                                        ; implicit-def: $vgpr126
                                        ; implicit-def: $vgpr127
                                        ; implicit-def: $vgpr128
                                        ; implicit-def: $vgpr129
                                        ; implicit-def: $vgpr130
                                        ; implicit-def: $vgpr131
                                        ; implicit-def: $vgpr132
                                        ; implicit-def: $vgpr133
                                        ; implicit-def: $vgpr134
	s_waitcnt vmcnt(0)
	v_mad_u32_u24 v4, v2, v4, v1
	v_mad_u64_u32 v[4:5], null, v4, s22, v[0:1]
	v_lshrrev_b32_e32 v4, 3, v4
	v_and_b32_e32 v115, 0x1ffffffc, v4
	s_branch .LBB1533_100
.LBB1533_99:                            ;   in Loop: Header=BB1533_100 Depth=2
	s_or_b32 exec_lo, exec_lo, s22
	s_addk_i32 s63, 0xef00
	s_cmp_lt_u32 s64, s59
	s_mov_b32 s50, s64
	s_cbranch_scc0 .LBB1533_322
.LBB1533_100:                           ;   Parent Loop BB1533_12 Depth=1
                                        ; =>  This Inner Loop Header: Depth=2
	s_add_i32 s64, s50, 0x1100
	s_cmp_gt_u32 s64, s59
	s_cbranch_scc1 .LBB1533_102
; %bb.101:                              ;   in Loop: Header=BB1533_100 Depth=2
	v_add_co_u32 v4, vcc_lo, v92, s50
	v_add_co_ci_u32_e64 v5, null, 0, v93, vcc_lo
	v_and_b32_sdwa v8, v94, v8 dst_sel:DWORD dst_unused:UNUSED_PAD src0_sel:DWORD src1_sel:BYTE_0
	s_mov_b32 s22, -1
	s_clause 0xf
	global_load_ubyte v6, v[4:5], off offset:416
	global_load_ubyte v7, v[4:5], off offset:480
	;; [unrolled: 1-line block ×14, first 2 shown]
	global_load_ubyte v145, v[4:5], off
	global_load_ubyte v4, v[4:5], off offset:96
	s_waitcnt vmcnt(12)
	v_perm_b32 v5, v44, v6, 0xc0c0004
	v_perm_b32 v6, v43, v7, 0xc0c0004
	s_waitcnt vmcnt(9)
	v_perm_b32 v44, v137, v136, 0xc0c0004
	s_waitcnt vmcnt(8)
	v_perm_b32 v43, v138, v135, 0xc0c0004
	v_lshl_or_b32 v7, v6, 16, v5
	s_waitcnt vmcnt(5)
	v_perm_b32 v136, v141, v140, 0xc0c0004
	s_waitcnt vmcnt(4)
	v_perm_b32 v135, v142, v139, 0xc0c0004
	v_lshl_or_b32 v6, v44, 16, v43
	;; [unrolled: 5-line block ×3, first 2 shown]
	v_lshl_or_b32 v4, v4, 16, v137
	s_movk_i32 s23, 0x1100
	s_cbranch_execz .LBB1533_103
	s_branch .LBB1533_121
.LBB1533_102:                           ;   in Loop: Header=BB1533_100 Depth=2
	s_mov_b32 s22, 0
                                        ; implicit-def: $vgpr4_vgpr5_vgpr6_vgpr7_vgpr8
	s_movk_i32 s23, 0x1100
.LBB1533_103:                           ;   in Loop: Header=BB1533_100 Depth=2
	v_mov_b32_e32 v7, v3
	v_mov_b32_e32 v4, v3
	;; [unrolled: 1-line block ×4, first 2 shown]
	v_add_co_u32 v43, vcc_lo, v92, s50
	v_mov_b32_e32 v8, v7
	v_add_co_ci_u32_e64 v44, null, 0, v93, vcc_lo
	v_mov_b32_e32 v7, v6
	v_mov_b32_e32 v6, v5
	;; [unrolled: 1-line block ×4, first 2 shown]
	s_mov_b32 s22, exec_lo
	v_cmpx_gt_u32_e64 s63, v96
	s_cbranch_execnz .LBB1533_307
; %bb.104:                              ;   in Loop: Header=BB1533_100 Depth=2
	s_or_b32 exec_lo, exec_lo, s22
	s_mov_b32 s22, exec_lo
	v_cmpx_gt_u32_e64 s63, v99
	s_cbranch_execnz .LBB1533_308
.LBB1533_105:                           ;   in Loop: Header=BB1533_100 Depth=2
	s_or_b32 exec_lo, exec_lo, s22
	s_mov_b32 s22, exec_lo
	v_cmpx_gt_u32_e64 s63, v100
	s_cbranch_execnz .LBB1533_309
.LBB1533_106:                           ;   in Loop: Header=BB1533_100 Depth=2
	s_or_b32 exec_lo, exec_lo, s22
	s_mov_b32 s22, exec_lo
	v_cmpx_gt_u32_e64 s63, v101
	s_cbranch_execnz .LBB1533_310
.LBB1533_107:                           ;   in Loop: Header=BB1533_100 Depth=2
	s_or_b32 exec_lo, exec_lo, s22
	s_mov_b32 s22, exec_lo
	v_cmpx_gt_u32_e64 s63, v102
	s_cbranch_execnz .LBB1533_311
.LBB1533_108:                           ;   in Loop: Header=BB1533_100 Depth=2
	s_or_b32 exec_lo, exec_lo, s22
	s_mov_b32 s22, exec_lo
	v_cmpx_gt_u32_e64 s63, v103
	s_cbranch_execnz .LBB1533_312
.LBB1533_109:                           ;   in Loop: Header=BB1533_100 Depth=2
	s_or_b32 exec_lo, exec_lo, s22
	s_mov_b32 s22, exec_lo
	v_cmpx_gt_u32_e64 s63, v104
	s_cbranch_execnz .LBB1533_313
.LBB1533_110:                           ;   in Loop: Header=BB1533_100 Depth=2
	s_or_b32 exec_lo, exec_lo, s22
	s_mov_b32 s22, exec_lo
	v_cmpx_gt_u32_e64 s63, v105
	s_cbranch_execnz .LBB1533_314
.LBB1533_111:                           ;   in Loop: Header=BB1533_100 Depth=2
	s_or_b32 exec_lo, exec_lo, s22
	s_mov_b32 s22, exec_lo
	v_cmpx_gt_u32_e64 s63, v106
	s_cbranch_execnz .LBB1533_315
.LBB1533_112:                           ;   in Loop: Header=BB1533_100 Depth=2
	s_or_b32 exec_lo, exec_lo, s22
	s_mov_b32 s22, exec_lo
	v_cmpx_gt_u32_e64 s63, v107
	s_cbranch_execnz .LBB1533_316
.LBB1533_113:                           ;   in Loop: Header=BB1533_100 Depth=2
	s_or_b32 exec_lo, exec_lo, s22
	s_mov_b32 s22, exec_lo
	v_cmpx_gt_u32_e64 s63, v108
	s_cbranch_execnz .LBB1533_317
.LBB1533_114:                           ;   in Loop: Header=BB1533_100 Depth=2
	s_or_b32 exec_lo, exec_lo, s22
	s_mov_b32 s22, exec_lo
	v_cmpx_gt_u32_e64 s63, v109
	s_cbranch_execnz .LBB1533_318
.LBB1533_115:                           ;   in Loop: Header=BB1533_100 Depth=2
	s_or_b32 exec_lo, exec_lo, s22
	s_mov_b32 s22, exec_lo
	v_cmpx_gt_u32_e64 s63, v110
	s_cbranch_execnz .LBB1533_319
.LBB1533_116:                           ;   in Loop: Header=BB1533_100 Depth=2
	s_or_b32 exec_lo, exec_lo, s22
	s_mov_b32 s22, exec_lo
	v_cmpx_gt_u32_e64 s63, v111
	s_cbranch_execnz .LBB1533_320
.LBB1533_117:                           ;   in Loop: Header=BB1533_100 Depth=2
	s_or_b32 exec_lo, exec_lo, s22
	s_mov_b32 s22, exec_lo
	v_cmpx_gt_u32_e64 s63, v112
	s_cbranch_execnz .LBB1533_321
.LBB1533_118:                           ;   in Loop: Header=BB1533_100 Depth=2
	s_or_b32 exec_lo, exec_lo, s22
	s_mov_b32 s22, exec_lo
	v_cmpx_gt_u32_e64 s63, v113
	s_cbranch_execz .LBB1533_120
.LBB1533_119:                           ;   in Loop: Header=BB1533_100 Depth=2
	global_load_ubyte v43, v[43:44], off offset:480
	v_and_b32_e32 v8, 0xff, v8
	s_waitcnt vmcnt(0)
	v_perm_b32 v7, v7, v43, 0x60504
.LBB1533_120:                           ;   in Loop: Header=BB1533_100 Depth=2
	s_or_b32 exec_lo, exec_lo, s22
	v_cmp_gt_u32_e64 s22, s63, v114
	s_sub_i32 s23, s59, s50
.LBB1533_121:                           ;   in Loop: Header=BB1533_100 Depth=2
	v_mov_b32_e32 v43, s63
	s_and_saveexec_b32 s24, s22
	s_cbranch_execz .LBB1533_123
; %bb.122:                              ;   in Loop: Header=BB1533_100 Depth=2
	v_add_co_u32 v43, vcc_lo, v92, s50
	v_add_co_ci_u32_e64 v44, null, s51, v93, vcc_lo
	global_load_ubyte v8, v[43:44], off offset:512
	v_mov_b32_e32 v43, s23
.LBB1533_123:                           ;   in Loop: Header=BB1533_100 Depth=2
	s_or_b32 exec_lo, exec_lo, s24
	s_waitcnt vmcnt(0)
	v_and_b32_e32 v44, 1, v4
	v_and_b32_sdwa v138, v91, v4 dst_sel:DWORD dst_unused:UNUSED_PAD src0_sel:DWORD src1_sel:BYTE_1
	v_and_b32_e32 v146, 0x1000000, v4
	v_and_b32_e32 v147, 0x10000, v4
	v_and_b32_sdwa v135, v91, v7 dst_sel:DWORD dst_unused:UNUSED_PAD src0_sel:DWORD src1_sel:BYTE_1
	v_cmp_eq_u32_e32 vcc_lo, 1, v44
	v_and_b32_sdwa v137, v91, v5 dst_sel:DWORD dst_unused:UNUSED_PAD src0_sel:DWORD src1_sel:BYTE_1
	v_and_b32_e32 v144, 0x1000000, v5
	v_and_b32_e32 v145, 0x10000, v5
	v_and_b32_e32 v5, 1, v5
	s_xor_b32 s22, vcc_lo, -1
	v_cmp_eq_u32_e64 s24, 1, v135
	v_cndmask_b32_e64 v44, 0, 1, s22
	v_and_b32_sdwa v136, v91, v6 dst_sel:DWORD dst_unused:UNUSED_PAD src0_sel:DWORD src1_sel:BYTE_1
	v_and_b32_e32 v139, 0x1000000, v7
	v_and_b32_e32 v140, 0x10000, v7
	;; [unrolled: 1-line block ×3, first 2 shown]
	v_lshrrev_b32_e32 v143, s61, v44
	v_and_b32_e32 v141, 0x1000000, v6
	v_and_b32_e32 v142, 0x10000, v6
	;; [unrolled: 1-line block ×3, first 2 shown]
	v_cmp_eq_u32_e64 s35, 1, v5
	v_and_b32_e32 v143, s62, v143
	v_and_b32_e32 v8, 1, v8
	v_cmp_eq_u32_e64 s29, 1, v136
	v_cmp_eq_u32_e64 s34, 1, v137
	v_cmp_eq_u32_e64 s38, 1, v138
	v_add_co_u32 v4, s22, v143, -1
	v_cndmask_b32_e64 v148, 0, 1, s22
	v_mul_u32_u24_e32 v5, 36, v143
	v_cmp_ne_u32_e64 s23, 0, v140
	v_cmp_eq_u32_e64 s25, 1, v7
	v_cmp_ne_u32_e64 s26, 0, v141
	v_cmp_ne_u32_e64 s22, 0, v148
	;; [unrolled: 1-line block ×3, first 2 shown]
	v_cmp_eq_u32_e64 s30, 1, v6
	v_cmp_ne_u32_e64 s31, 0, v144
	v_cmp_ne_u32_e64 s33, 0, v145
	v_xor_b32_e32 v4, s22, v4
	v_cmp_ne_u32_e64 s22, 0, v139
	v_cmp_ne_u32_e64 s36, 0, v146
	;; [unrolled: 1-line block ×3, first 2 shown]
	v_add_nc_u32_e32 v138, v115, v5
	v_and_b32_e32 v4, exec_lo, v4
	ds_write2_b32 v71, v3, v3 offset0:136 offset1:137
	ds_write2_b32 v71, v3, v3 offset0:138 offset1:139
	ds_write_b32 v71, v3 offset:560
	s_waitcnt lgkmcnt(0)
	v_cmp_eq_u32_e32 vcc_lo, 1, v8
	v_mbcnt_lo_u32_b32 v135, v4, 0
	v_cmp_ne_u32_e64 s40, 0, v4
	s_barrier
	buffer_gl0_inv
	v_cmp_eq_u32_e64 s39, 0, v135
	; wave barrier
	s_and_b32 s40, s40, s39
	s_and_saveexec_b32 s39, s40
; %bb.124:                              ;   in Loop: Header=BB1533_100 Depth=2
	v_bcnt_u32_b32 v4, v4, 0
	ds_write_b32 v138, v4 offset:544
; %bb.125:                              ;   in Loop: Header=BB1533_100 Depth=2
	s_or_b32 exec_lo, exec_lo, s39
	s_xor_b32 s38, s38, -1
	v_cndmask_b32_e64 v148, 0, 1, s38
	; wave barrier
	v_lshrrev_b32_e32 v4, s61, v148
	v_and_b32_e32 v5, s62, v4
	v_add_co_u32 v4, s38, v5, -1
	v_cndmask_b32_e64 v6, 0, 1, s38
	v_cmp_ne_u32_e64 s38, 0, v6
	v_mad_u32_u24 v6, v5, 36, v115
	v_mul_u32_u24_e32 v5, 36, v5
	v_xor_b32_e32 v4, s38, v4
	ds_read_b32 v136, v6 offset:544
	v_add_nc_u32_e32 v141, v115, v5
	; wave barrier
	v_and_b32_e32 v4, exec_lo, v4
	v_mbcnt_lo_u32_b32 v137, v4, 0
	v_cmp_ne_u32_e64 s39, 0, v4
	v_cmp_eq_u32_e64 s38, 0, v137
	s_and_b32 s39, s39, s38
	s_and_saveexec_b32 s38, s39
	s_cbranch_execz .LBB1533_127
; %bb.126:                              ;   in Loop: Header=BB1533_100 Depth=2
	s_waitcnt lgkmcnt(0)
	v_bcnt_u32_b32 v4, v4, v136
	ds_write_b32 v141, v4 offset:544
.LBB1533_127:                           ;   in Loop: Header=BB1533_100 Depth=2
	s_or_b32 exec_lo, exec_lo, s38
	s_xor_b32 s37, s37, -1
	v_cndmask_b32_e64 v151, 0, 1, s37
	; wave barrier
	v_lshrrev_b32_e32 v4, s61, v151
	v_and_b32_e32 v5, s62, v4
	v_add_co_u32 v4, s37, v5, -1
	v_cndmask_b32_e64 v6, 0, 1, s37
	v_cmp_ne_u32_e64 s37, 0, v6
	v_mad_u32_u24 v6, v5, 36, v115
	v_mul_u32_u24_e32 v5, 36, v5
	v_xor_b32_e32 v4, s37, v4
	ds_read_b32 v139, v6 offset:544
	v_add_nc_u32_e32 v144, v115, v5
	; wave barrier
	v_and_b32_e32 v4, exec_lo, v4
	v_mbcnt_lo_u32_b32 v140, v4, 0
	v_cmp_ne_u32_e64 s38, 0, v4
	v_cmp_eq_u32_e64 s37, 0, v140
	s_and_b32 s38, s38, s37
	s_and_saveexec_b32 s37, s38
	s_cbranch_execz .LBB1533_129
; %bb.128:                              ;   in Loop: Header=BB1533_100 Depth=2
	s_waitcnt lgkmcnt(0)
	v_bcnt_u32_b32 v4, v4, v139
	ds_write_b32 v144, v4 offset:544
.LBB1533_129:                           ;   in Loop: Header=BB1533_100 Depth=2
	s_or_b32 exec_lo, exec_lo, s37
	s_xor_b32 s36, s36, -1
	v_cndmask_b32_e64 v152, 0, 1, s36
	; wave barrier
	v_lshrrev_b32_e32 v4, s61, v152
	v_and_b32_e32 v5, s62, v4
	v_add_co_u32 v4, s36, v5, -1
	v_cndmask_b32_e64 v6, 0, 1, s36
	v_cmp_ne_u32_e64 s36, 0, v6
	v_mad_u32_u24 v6, v5, 36, v115
	v_mul_u32_u24_e32 v5, 36, v5
	v_xor_b32_e32 v4, s36, v4
	ds_read_b32 v142, v6 offset:544
	v_add_nc_u32_e32 v146, v115, v5
	; wave barrier
	v_and_b32_e32 v4, exec_lo, v4
	v_mbcnt_lo_u32_b32 v143, v4, 0
	v_cmp_ne_u32_e64 s37, 0, v4
	v_cmp_eq_u32_e64 s36, 0, v143
	s_and_b32 s37, s37, s36
	s_and_saveexec_b32 s36, s37
	s_cbranch_execz .LBB1533_131
; %bb.130:                              ;   in Loop: Header=BB1533_100 Depth=2
	s_waitcnt lgkmcnt(0)
	v_bcnt_u32_b32 v4, v4, v142
	ds_write_b32 v146, v4 offset:544
.LBB1533_131:                           ;   in Loop: Header=BB1533_100 Depth=2
	s_or_b32 exec_lo, exec_lo, s36
	s_xor_b32 s35, s35, -1
	v_cndmask_b32_e64 v153, 0, 1, s35
	; wave barrier
	v_lshrrev_b32_e32 v4, s61, v153
	v_and_b32_e32 v5, s62, v4
	v_add_co_u32 v4, s35, v5, -1
	v_cndmask_b32_e64 v6, 0, 1, s35
	v_cmp_ne_u32_e64 s35, 0, v6
	v_mad_u32_u24 v6, v5, 36, v115
	v_mul_u32_u24_e32 v5, 36, v5
	v_xor_b32_e32 v4, s35, v4
	ds_read_b32 v145, v6 offset:544
	v_add_nc_u32_e32 v147, v115, v5
	; wave barrier
	v_and_b32_e32 v4, exec_lo, v4
	v_mbcnt_lo_u32_b32 v154, v4, 0
	v_cmp_ne_u32_e64 s36, 0, v4
	v_cmp_eq_u32_e64 s35, 0, v154
	s_and_b32 s36, s36, s35
	s_and_saveexec_b32 s35, s36
	s_cbranch_execz .LBB1533_133
; %bb.132:                              ;   in Loop: Header=BB1533_100 Depth=2
	s_waitcnt lgkmcnt(0)
	v_bcnt_u32_b32 v4, v4, v145
	ds_write_b32 v147, v4 offset:544
.LBB1533_133:                           ;   in Loop: Header=BB1533_100 Depth=2
	s_or_b32 exec_lo, exec_lo, s35
	s_xor_b32 s34, s34, -1
	v_cndmask_b32_e64 v155, 0, 1, s34
	; wave barrier
	v_lshrrev_b32_e32 v4, s61, v155
	v_and_b32_e32 v5, s62, v4
	v_add_co_u32 v4, s34, v5, -1
	v_cndmask_b32_e64 v6, 0, 1, s34
	v_cmp_ne_u32_e64 s34, 0, v6
	v_mad_u32_u24 v6, v5, 36, v115
	v_mul_u32_u24_e32 v5, 36, v5
	v_xor_b32_e32 v4, s34, v4
	ds_read_b32 v156, v6 offset:544
	v_add_nc_u32_e32 v149, v115, v5
	; wave barrier
	v_and_b32_e32 v4, exec_lo, v4
	v_mbcnt_lo_u32_b32 v157, v4, 0
	v_cmp_ne_u32_e64 s35, 0, v4
	v_cmp_eq_u32_e64 s34, 0, v157
	s_and_b32 s35, s35, s34
	s_and_saveexec_b32 s34, s35
	s_cbranch_execz .LBB1533_135
; %bb.134:                              ;   in Loop: Header=BB1533_100 Depth=2
	s_waitcnt lgkmcnt(0)
	v_bcnt_u32_b32 v4, v4, v156
	ds_write_b32 v149, v4 offset:544
.LBB1533_135:                           ;   in Loop: Header=BB1533_100 Depth=2
	s_or_b32 exec_lo, exec_lo, s34
	s_xor_b32 s33, s33, -1
	v_cndmask_b32_e64 v158, 0, 1, s33
	; wave barrier
	v_lshrrev_b32_e32 v4, s61, v158
	v_and_b32_e32 v5, s62, v4
	v_add_co_u32 v4, s33, v5, -1
	v_cndmask_b32_e64 v6, 0, 1, s33
	v_cmp_ne_u32_e64 s33, 0, v6
	v_mad_u32_u24 v6, v5, 36, v115
	v_mul_u32_u24_e32 v5, 36, v5
	v_xor_b32_e32 v4, s33, v4
	ds_read_b32 v159, v6 offset:544
	v_add_nc_u32_e32 v150, v115, v5
	; wave barrier
	v_and_b32_e32 v4, exec_lo, v4
	v_mbcnt_lo_u32_b32 v160, v4, 0
	v_cmp_ne_u32_e64 s34, 0, v4
	v_cmp_eq_u32_e64 s33, 0, v160
	s_and_b32 s34, s34, s33
	s_and_saveexec_b32 s33, s34
	s_cbranch_execz .LBB1533_137
; %bb.136:                              ;   in Loop: Header=BB1533_100 Depth=2
	s_waitcnt lgkmcnt(0)
	v_bcnt_u32_b32 v4, v4, v159
	ds_write_b32 v150, v4 offset:544
.LBB1533_137:                           ;   in Loop: Header=BB1533_100 Depth=2
	s_or_b32 exec_lo, exec_lo, s33
	s_xor_b32 s31, s31, -1
	v_cndmask_b32_e64 v161, 0, 1, s31
	; wave barrier
	v_lshrrev_b32_e32 v4, s61, v161
	v_and_b32_e32 v5, s62, v4
	v_add_co_u32 v4, s31, v5, -1
	v_cndmask_b32_e64 v6, 0, 1, s31
	v_cmp_ne_u32_e64 s31, 0, v6
	v_mad_u32_u24 v6, v5, 36, v115
	v_mul_u32_u24_e32 v5, 36, v5
	v_xor_b32_e32 v4, s31, v4
	ds_read_b32 v162, v6 offset:544
	v_add_nc_u32_e32 v168, v115, v5
	; wave barrier
	v_and_b32_e32 v4, exec_lo, v4
	v_mbcnt_lo_u32_b32 v163, v4, 0
	v_cmp_ne_u32_e64 s33, 0, v4
	v_cmp_eq_u32_e64 s31, 0, v163
	s_and_b32 s33, s33, s31
	s_and_saveexec_b32 s31, s33
	s_cbranch_execz .LBB1533_139
; %bb.138:                              ;   in Loop: Header=BB1533_100 Depth=2
	s_waitcnt lgkmcnt(0)
	v_bcnt_u32_b32 v4, v4, v162
	ds_write_b32 v168, v4 offset:544
.LBB1533_139:                           ;   in Loop: Header=BB1533_100 Depth=2
	s_or_b32 exec_lo, exec_lo, s31
	s_xor_b32 s30, s30, -1
	v_cndmask_b32_e64 v164, 0, 1, s30
	; wave barrier
	v_lshrrev_b32_e32 v4, s61, v164
	v_and_b32_e32 v5, s62, v4
	v_add_co_u32 v4, s30, v5, -1
	v_cndmask_b32_e64 v6, 0, 1, s30
	v_cmp_ne_u32_e64 s30, 0, v6
	v_mad_u32_u24 v6, v5, 36, v115
	v_mul_u32_u24_e32 v5, 36, v5
	v_xor_b32_e32 v4, s30, v4
	ds_read_b32 v165, v6 offset:544
	v_add_nc_u32_e32 v172, v115, v5
	; wave barrier
	v_and_b32_e32 v4, exec_lo, v4
	v_mbcnt_lo_u32_b32 v166, v4, 0
	v_cmp_ne_u32_e64 s31, 0, v4
	v_cmp_eq_u32_e64 s30, 0, v166
	s_and_b32 s31, s31, s30
	s_and_saveexec_b32 s30, s31
	s_cbranch_execz .LBB1533_141
; %bb.140:                              ;   in Loop: Header=BB1533_100 Depth=2
	s_waitcnt lgkmcnt(0)
	v_bcnt_u32_b32 v4, v4, v165
	ds_write_b32 v172, v4 offset:544
.LBB1533_141:                           ;   in Loop: Header=BB1533_100 Depth=2
	s_or_b32 exec_lo, exec_lo, s30
	s_xor_b32 s29, s29, -1
	v_cndmask_b32_e64 v167, 0, 1, s29
	; wave barrier
	v_lshrrev_b32_e32 v4, s61, v167
	v_and_b32_e32 v5, s62, v4
	v_add_co_u32 v4, s29, v5, -1
	v_cndmask_b32_e64 v6, 0, 1, s29
	v_cmp_ne_u32_e64 s29, 0, v6
	v_mad_u32_u24 v6, v5, 36, v115
	v_mul_u32_u24_e32 v5, 36, v5
	v_xor_b32_e32 v4, s29, v4
	ds_read_b32 v169, v6 offset:544
	v_add_nc_u32_e32 v176, v115, v5
	; wave barrier
	v_and_b32_e32 v4, exec_lo, v4
	v_mbcnt_lo_u32_b32 v170, v4, 0
	v_cmp_ne_u32_e64 s30, 0, v4
	v_cmp_eq_u32_e64 s29, 0, v170
	s_and_b32 s30, s30, s29
	s_and_saveexec_b32 s29, s30
	s_cbranch_execz .LBB1533_143
; %bb.142:                              ;   in Loop: Header=BB1533_100 Depth=2
	s_waitcnt lgkmcnt(0)
	v_bcnt_u32_b32 v4, v4, v169
	ds_write_b32 v176, v4 offset:544
.LBB1533_143:                           ;   in Loop: Header=BB1533_100 Depth=2
	s_or_b32 exec_lo, exec_lo, s29
	s_xor_b32 s27, s27, -1
	v_cndmask_b32_e64 v171, 0, 1, s27
	; wave barrier
	v_lshrrev_b32_e32 v4, s61, v171
	v_and_b32_e32 v5, s62, v4
	v_add_co_u32 v4, s27, v5, -1
	v_cndmask_b32_e64 v6, 0, 1, s27
	v_cmp_ne_u32_e64 s27, 0, v6
	v_mad_u32_u24 v6, v5, 36, v115
	v_mul_u32_u24_e32 v5, 36, v5
	v_xor_b32_e32 v4, s27, v4
	ds_read_b32 v173, v6 offset:544
	v_add_nc_u32_e32 v180, v115, v5
	; wave barrier
	v_and_b32_e32 v4, exec_lo, v4
	v_mbcnt_lo_u32_b32 v174, v4, 0
	v_cmp_ne_u32_e64 s29, 0, v4
	v_cmp_eq_u32_e64 s27, 0, v174
	s_and_b32 s29, s29, s27
	s_and_saveexec_b32 s27, s29
	s_cbranch_execz .LBB1533_145
; %bb.144:                              ;   in Loop: Header=BB1533_100 Depth=2
	s_waitcnt lgkmcnt(0)
	v_bcnt_u32_b32 v4, v4, v173
	ds_write_b32 v180, v4 offset:544
.LBB1533_145:                           ;   in Loop: Header=BB1533_100 Depth=2
	s_or_b32 exec_lo, exec_lo, s27
	s_xor_b32 s26, s26, -1
	v_cndmask_b32_e64 v175, 0, 1, s26
	; wave barrier
	v_lshrrev_b32_e32 v4, s61, v175
	v_and_b32_e32 v5, s62, v4
	v_add_co_u32 v4, s26, v5, -1
	v_cndmask_b32_e64 v6, 0, 1, s26
	v_cmp_ne_u32_e64 s26, 0, v6
	v_mad_u32_u24 v6, v5, 36, v115
	v_mul_u32_u24_e32 v5, 36, v5
	v_xor_b32_e32 v4, s26, v4
	ds_read_b32 v177, v6 offset:544
	v_add_nc_u32_e32 v184, v115, v5
	; wave barrier
	v_and_b32_e32 v4, exec_lo, v4
	v_mbcnt_lo_u32_b32 v178, v4, 0
	v_cmp_ne_u32_e64 s27, 0, v4
	v_cmp_eq_u32_e64 s26, 0, v178
	s_and_b32 s27, s27, s26
	s_and_saveexec_b32 s26, s27
	s_cbranch_execz .LBB1533_147
; %bb.146:                              ;   in Loop: Header=BB1533_100 Depth=2
	s_waitcnt lgkmcnt(0)
	v_bcnt_u32_b32 v4, v4, v177
	ds_write_b32 v184, v4 offset:544
.LBB1533_147:                           ;   in Loop: Header=BB1533_100 Depth=2
	s_or_b32 exec_lo, exec_lo, s26
	s_xor_b32 s25, s25, -1
	v_cndmask_b32_e64 v179, 0, 1, s25
	; wave barrier
	v_lshrrev_b32_e32 v4, s61, v179
	v_and_b32_e32 v5, s62, v4
	v_add_co_u32 v4, s25, v5, -1
	v_cndmask_b32_e64 v6, 0, 1, s25
	v_cmp_ne_u32_e64 s25, 0, v6
	v_mad_u32_u24 v6, v5, 36, v115
	v_mul_u32_u24_e32 v5, 36, v5
	v_xor_b32_e32 v4, s25, v4
	ds_read_b32 v181, v6 offset:544
	v_add_nc_u32_e32 v188, v115, v5
	; wave barrier
	v_and_b32_e32 v4, exec_lo, v4
	v_mbcnt_lo_u32_b32 v182, v4, 0
	v_cmp_ne_u32_e64 s26, 0, v4
	v_cmp_eq_u32_e64 s25, 0, v182
	s_and_b32 s26, s26, s25
	s_and_saveexec_b32 s25, s26
	s_cbranch_execz .LBB1533_149
; %bb.148:                              ;   in Loop: Header=BB1533_100 Depth=2
	s_waitcnt lgkmcnt(0)
	v_bcnt_u32_b32 v4, v4, v181
	ds_write_b32 v188, v4 offset:544
.LBB1533_149:                           ;   in Loop: Header=BB1533_100 Depth=2
	s_or_b32 exec_lo, exec_lo, s25
	s_xor_b32 s24, s24, -1
	v_cndmask_b32_e64 v183, 0, 1, s24
	; wave barrier
	v_lshrrev_b32_e32 v4, s61, v183
	v_and_b32_e32 v5, s62, v4
	v_add_co_u32 v4, s24, v5, -1
	v_cndmask_b32_e64 v6, 0, 1, s24
	v_cmp_ne_u32_e64 s24, 0, v6
	v_mad_u32_u24 v6, v5, 36, v115
	v_mul_u32_u24_e32 v5, 36, v5
	v_xor_b32_e32 v4, s24, v4
	ds_read_b32 v185, v6 offset:544
	v_add_nc_u32_e32 v192, v115, v5
	; wave barrier
	v_and_b32_e32 v4, exec_lo, v4
	v_mbcnt_lo_u32_b32 v186, v4, 0
	v_cmp_ne_u32_e64 s25, 0, v4
	v_cmp_eq_u32_e64 s24, 0, v186
	s_and_b32 s25, s25, s24
	s_and_saveexec_b32 s24, s25
	s_cbranch_execz .LBB1533_151
; %bb.150:                              ;   in Loop: Header=BB1533_100 Depth=2
	s_waitcnt lgkmcnt(0)
	v_bcnt_u32_b32 v4, v4, v185
	ds_write_b32 v192, v4 offset:544
.LBB1533_151:                           ;   in Loop: Header=BB1533_100 Depth=2
	s_or_b32 exec_lo, exec_lo, s24
	s_xor_b32 s23, s23, -1
	v_cndmask_b32_e64 v187, 0, 1, s23
	; wave barrier
	v_lshrrev_b32_e32 v4, s61, v187
	v_and_b32_e32 v5, s62, v4
	v_add_co_u32 v4, s23, v5, -1
	v_cndmask_b32_e64 v6, 0, 1, s23
	v_cmp_ne_u32_e64 s23, 0, v6
	v_mad_u32_u24 v6, v5, 36, v115
	v_mul_u32_u24_e32 v5, 36, v5
	v_xor_b32_e32 v4, s23, v4
	ds_read_b32 v189, v6 offset:544
	v_add_nc_u32_e32 v195, v115, v5
	; wave barrier
	v_and_b32_e32 v4, exec_lo, v4
	v_mbcnt_lo_u32_b32 v190, v4, 0
	v_cmp_ne_u32_e64 s24, 0, v4
	v_cmp_eq_u32_e64 s23, 0, v190
	s_and_b32 s24, s24, s23
	s_and_saveexec_b32 s23, s24
	s_cbranch_execz .LBB1533_153
; %bb.152:                              ;   in Loop: Header=BB1533_100 Depth=2
	s_waitcnt lgkmcnt(0)
	v_bcnt_u32_b32 v4, v4, v189
	ds_write_b32 v195, v4 offset:544
.LBB1533_153:                           ;   in Loop: Header=BB1533_100 Depth=2
	s_or_b32 exec_lo, exec_lo, s23
	s_xor_b32 s22, s22, -1
	v_cndmask_b32_e64 v191, 0, 1, s22
	; wave barrier
	v_lshrrev_b32_e32 v4, s61, v191
	v_and_b32_e32 v5, s62, v4
	v_add_co_u32 v4, s22, v5, -1
	v_cndmask_b32_e64 v6, 0, 1, s22
	v_cmp_ne_u32_e64 s22, 0, v6
	v_mad_u32_u24 v6, v5, 36, v115
	v_mul_u32_u24_e32 v5, 36, v5
	v_xor_b32_e32 v4, s22, v4
	ds_read_b32 v193, v6 offset:544
	v_add_nc_u32_e32 v198, v115, v5
	; wave barrier
	v_and_b32_e32 v4, exec_lo, v4
	v_mbcnt_lo_u32_b32 v194, v4, 0
	v_cmp_ne_u32_e64 s23, 0, v4
	v_cmp_eq_u32_e64 s22, 0, v194
	s_and_b32 s23, s23, s22
	s_and_saveexec_b32 s22, s23
	s_cbranch_execz .LBB1533_155
; %bb.154:                              ;   in Loop: Header=BB1533_100 Depth=2
	s_waitcnt lgkmcnt(0)
	v_bcnt_u32_b32 v4, v4, v193
	ds_write_b32 v198, v4 offset:544
.LBB1533_155:                           ;   in Loop: Header=BB1533_100 Depth=2
	s_or_b32 exec_lo, exec_lo, s22
	s_xor_b32 s22, vcc_lo, -1
	v_cndmask_b32_e64 v8, 0, 1, s22
	; wave barrier
	v_lshrrev_b32_e32 v4, s61, v8
	v_and_b32_e32 v5, s62, v4
	v_add_co_u32 v4, s22, v5, -1
	v_cndmask_b32_e64 v6, 0, 1, s22
	v_cmp_ne_u32_e32 vcc_lo, 0, v6
	v_mad_u32_u24 v6, v5, 36, v115
	v_mul_u32_u24_e32 v5, 36, v5
	v_xor_b32_e32 v4, vcc_lo, v4
	ds_read_b32 v196, v6 offset:544
	v_add_nc_u32_e32 v199, v115, v5
	; wave barrier
	v_and_b32_e32 v4, exec_lo, v4
	v_mbcnt_lo_u32_b32 v197, v4, 0
	v_cmp_ne_u32_e64 s22, 0, v4
	v_cmp_eq_u32_e32 vcc_lo, 0, v197
	s_and_b32 s23, s22, vcc_lo
	s_and_saveexec_b32 s22, s23
	s_cbranch_execz .LBB1533_157
; %bb.156:                              ;   in Loop: Header=BB1533_100 Depth=2
	s_waitcnt lgkmcnt(0)
	v_bcnt_u32_b32 v4, v4, v196
	ds_write_b32 v199, v4 offset:544
.LBB1533_157:                           ;   in Loop: Header=BB1533_100 Depth=2
	s_or_b32 exec_lo, exec_lo, s22
	; wave barrier
	s_waitcnt lgkmcnt(0)
	s_barrier
	buffer_gl0_inv
	ds_read2_b32 v[6:7], v71 offset0:136 offset1:137
	ds_read2_b32 v[4:5], v71 offset0:138 offset1:139
	ds_read_b32 v200, v71 offset:560
	s_waitcnt lgkmcnt(1)
	v_add3_u32 v201, v7, v6, v4
	s_waitcnt lgkmcnt(0)
	v_add3_u32 v200, v201, v5, v200
	v_mov_b32_dpp v201, v200 row_shr:1 row_mask:0xf bank_mask:0xf
	v_cndmask_b32_e64 v201, v201, 0, s5
	v_add_nc_u32_e32 v200, v201, v200
	v_mov_b32_dpp v201, v200 row_shr:2 row_mask:0xf bank_mask:0xf
	v_cndmask_b32_e64 v201, 0, v201, s14
	v_add_nc_u32_e32 v200, v200, v201
	;; [unrolled: 3-line block ×4, first 2 shown]
	ds_swizzle_b32 v201, v200 offset:swizzle(BROADCAST,32,15)
	s_waitcnt lgkmcnt(0)
	v_cndmask_b32_e64 v201, v201, 0, s17
	v_add_nc_u32_e32 v200, v200, v201
	s_and_saveexec_b32 s22, s4
; %bb.158:                              ;   in Loop: Header=BB1533_100 Depth=2
	ds_write_b32 v64, v200 offset:512
; %bb.159:                              ;   in Loop: Header=BB1533_100 Depth=2
	s_or_b32 exec_lo, exec_lo, s22
	s_waitcnt lgkmcnt(0)
	s_barrier
	buffer_gl0_inv
	s_and_saveexec_b32 s22, s11
	s_cbranch_execz .LBB1533_161
; %bb.160:                              ;   in Loop: Header=BB1533_100 Depth=2
	ds_read_b32 v201, v72 offset:512
	s_waitcnt lgkmcnt(0)
	v_mov_b32_dpp v202, v201 row_shr:1 row_mask:0xf bank_mask:0xf
	v_cndmask_b32_e64 v202, v202, 0, s19
	v_add_nc_u32_e32 v201, v202, v201
	v_mov_b32_dpp v202, v201 row_shr:2 row_mask:0xf bank_mask:0xf
	v_cndmask_b32_e64 v202, 0, v202, s20
	v_add_nc_u32_e32 v201, v201, v202
	;; [unrolled: 3-line block ×3, first 2 shown]
	ds_write_b32 v72, v201 offset:512
.LBB1533_161:                           ;   in Loop: Header=BB1533_100 Depth=2
	s_or_b32 exec_lo, exec_lo, s22
	v_mov_b32_e32 v201, 0
	s_waitcnt lgkmcnt(0)
	s_barrier
	buffer_gl0_inv
	s_and_saveexec_b32 s22, s10
; %bb.162:                              ;   in Loop: Header=BB1533_100 Depth=2
	ds_read_b32 v201, v64 offset:508
; %bb.163:                              ;   in Loop: Header=BB1533_100 Depth=2
	s_or_b32 exec_lo, exec_lo, s22
	s_waitcnt lgkmcnt(0)
	v_add_nc_u32_e32 v200, v201, v200
	ds_bpermute_b32 v200, v95, v200
	s_waitcnt lgkmcnt(0)
	v_cndmask_b32_e64 v200, v200, v201, s18
	v_cndmask_b32_e64 v200, v200, 0, s12
	v_add_nc_u32_e32 v6, v200, v6
	v_add_nc_u32_e32 v7, v6, v7
	;; [unrolled: 1-line block ×4, first 2 shown]
	ds_write2_b32 v71, v200, v6 offset0:136 offset1:137
	ds_write2_b32 v71, v7, v4 offset0:138 offset1:139
	ds_write_b32 v71, v5 offset:560
	s_waitcnt lgkmcnt(0)
	s_barrier
	buffer_gl0_inv
	ds_read_b32 v4, v138 offset:544
	ds_read_b32 v5, v141 offset:544
	;; [unrolled: 1-line block ×17, first 2 shown]
	s_and_saveexec_b32 s22, s7
	s_cbranch_execz .LBB1533_167
; %bb.164:                              ;   in Loop: Header=BB1533_100 Depth=2
	v_add_nc_u32_e32 v133, v72, v74
	v_mov_b32_e32 v134, 0x1100
	ds_read_b32 v133, v133 offset:544
	s_and_saveexec_b32 s23, s13
; %bb.165:                              ;   in Loop: Header=BB1533_100 Depth=2
	ds_read_b32 v134, v73 offset:544
; %bb.166:                              ;   in Loop: Header=BB1533_100 Depth=2
	s_or_b32 exec_lo, exec_lo, s23
	s_waitcnt lgkmcnt(0)
	v_sub_nc_u32_e32 v134, v134, v133
.LBB1533_167:                           ;   in Loop: Header=BB1533_100 Depth=2
	s_or_b32 exec_lo, exec_lo, s22
	s_waitcnt lgkmcnt(0)
	s_barrier
	buffer_gl0_inv
	s_and_saveexec_b32 s22, s7
	s_cbranch_execz .LBB1533_169
; %bb.168:                              ;   in Loop: Header=BB1533_100 Depth=2
	ds_read_b32 v144, v45
	s_waitcnt lgkmcnt(0)
	v_sub_nc_u32_e32 v144, v144, v133
	ds_write_b32 v45, v144
.LBB1533_169:                           ;   in Loop: Header=BB1533_100 Depth=2
	s_or_b32 exec_lo, exec_lo, s22
	v_add_nc_u32_e32 v150, v4, v135
	v_add3_u32 v149, v137, v136, v5
	v_add3_u32 v147, v140, v139, v6
	;; [unrolled: 1-line block ×16, first 2 shown]
	v_cmp_lt_u32_e64 s39, v0, v43
	ds_write_b8 v150, v44 offset:512
	ds_write_b8 v149, v148 offset:512
	;; [unrolled: 1-line block ×17, first 2 shown]
	s_waitcnt lgkmcnt(0)
	s_barrier
	buffer_gl0_inv
	s_and_saveexec_b32 s22, s39
	s_cbranch_execnz .LBB1533_242
; %bb.170:                              ;   in Loop: Header=BB1533_100 Depth=2
	s_or_b32 exec_lo, exec_lo, s22
	v_cmp_lt_u32_e64 s38, v46, v43
	s_and_saveexec_b32 s22, s38
	s_cbranch_execnz .LBB1533_243
.LBB1533_171:                           ;   in Loop: Header=BB1533_100 Depth=2
	s_or_b32 exec_lo, exec_lo, s22
	v_cmp_lt_u32_e64 s37, v49, v43
	s_and_saveexec_b32 s22, s37
	s_cbranch_execnz .LBB1533_244
.LBB1533_172:                           ;   in Loop: Header=BB1533_100 Depth=2
	s_or_b32 exec_lo, exec_lo, s22
	v_cmp_lt_u32_e64 s36, v50, v43
	s_and_saveexec_b32 s22, s36
	s_cbranch_execnz .LBB1533_245
.LBB1533_173:                           ;   in Loop: Header=BB1533_100 Depth=2
	s_or_b32 exec_lo, exec_lo, s22
	v_cmp_lt_u32_e64 s35, v51, v43
	s_and_saveexec_b32 s22, s35
	s_cbranch_execnz .LBB1533_246
.LBB1533_174:                           ;   in Loop: Header=BB1533_100 Depth=2
	s_or_b32 exec_lo, exec_lo, s22
	v_cmp_lt_u32_e64 s34, v52, v43
	s_and_saveexec_b32 s22, s34
	s_cbranch_execnz .LBB1533_247
.LBB1533_175:                           ;   in Loop: Header=BB1533_100 Depth=2
	s_or_b32 exec_lo, exec_lo, s22
	v_cmp_lt_u32_e64 s33, v53, v43
	s_and_saveexec_b32 s22, s33
	s_cbranch_execnz .LBB1533_248
.LBB1533_176:                           ;   in Loop: Header=BB1533_100 Depth=2
	s_or_b32 exec_lo, exec_lo, s22
	v_cmp_lt_u32_e64 s31, v54, v43
	s_and_saveexec_b32 s22, s31
	s_cbranch_execnz .LBB1533_249
.LBB1533_177:                           ;   in Loop: Header=BB1533_100 Depth=2
	s_or_b32 exec_lo, exec_lo, s22
	v_cmp_lt_u32_e64 s30, v55, v43
	s_and_saveexec_b32 s22, s30
	s_cbranch_execnz .LBB1533_250
.LBB1533_178:                           ;   in Loop: Header=BB1533_100 Depth=2
	s_or_b32 exec_lo, exec_lo, s22
	v_cmp_lt_u32_e64 s29, v56, v43
	s_and_saveexec_b32 s22, s29
	s_cbranch_execnz .LBB1533_251
.LBB1533_179:                           ;   in Loop: Header=BB1533_100 Depth=2
	s_or_b32 exec_lo, exec_lo, s22
	v_cmp_lt_u32_e64 s27, v57, v43
	s_and_saveexec_b32 s22, s27
	s_cbranch_execnz .LBB1533_252
.LBB1533_180:                           ;   in Loop: Header=BB1533_100 Depth=2
	s_or_b32 exec_lo, exec_lo, s22
	v_cmp_lt_u32_e64 s26, v58, v43
	s_and_saveexec_b32 s22, s26
	s_cbranch_execnz .LBB1533_253
.LBB1533_181:                           ;   in Loop: Header=BB1533_100 Depth=2
	s_or_b32 exec_lo, exec_lo, s22
	v_cmp_lt_u32_e64 s25, v59, v43
	s_and_saveexec_b32 s22, s25
	s_cbranch_execnz .LBB1533_254
.LBB1533_182:                           ;   in Loop: Header=BB1533_100 Depth=2
	s_or_b32 exec_lo, exec_lo, s22
	v_cmp_lt_u32_e64 s24, v60, v43
	s_and_saveexec_b32 s22, s24
	s_cbranch_execnz .LBB1533_255
.LBB1533_183:                           ;   in Loop: Header=BB1533_100 Depth=2
	s_or_b32 exec_lo, exec_lo, s22
	v_cmp_lt_u32_e64 s23, v61, v43
	s_and_saveexec_b32 s22, s23
	s_cbranch_execnz .LBB1533_256
.LBB1533_184:                           ;   in Loop: Header=BB1533_100 Depth=2
	s_or_b32 exec_lo, exec_lo, s22
	v_cmp_lt_u32_e64 s22, v62, v43
	s_and_saveexec_b32 s40, s22
	s_cbranch_execnz .LBB1533_257
.LBB1533_185:                           ;   in Loop: Header=BB1533_100 Depth=2
	s_or_b32 exec_lo, exec_lo, s40
	v_cmp_lt_u32_e32 vcc_lo, v63, v43
	s_and_saveexec_b32 s40, vcc_lo
	s_cbranch_execz .LBB1533_187
.LBB1533_186:                           ;   in Loop: Header=BB1533_100 Depth=2
	ds_read_u8 v4, v0 offset:4608
	s_waitcnt lgkmcnt(0)
	v_and_b32_e32 v5, 1, v4
	v_xor_b32_e32 v4, 1, v4
	v_lshrrev_b32_e32 v5, s61, v5
	v_and_b32_e32 v5, s62, v5
	v_lshlrev_b32_e32 v5, 2, v5
	ds_read_b32 v5, v5
	s_waitcnt lgkmcnt(0)
	v_add_nc_u32_e32 v5, v5, v63
	global_store_byte v5, v4, s[46:47]
.LBB1533_187:                           ;   in Loop: Header=BB1533_100 Depth=2
	s_or_b32 exec_lo, exec_lo, s40
	s_lshl_b64 s[66:67], s[50:51], 3
	v_add_co_u32 v4, s40, v97, s66
	v_add_co_ci_u32_e64 v5, null, s67, v98, s40
	v_cmp_lt_u32_e64 s40, v96, v43
	s_and_saveexec_b32 s50, s40
	s_xor_b32 s40, exec_lo, s50
	s_cbranch_execnz .LBB1533_258
; %bb.188:                              ;   in Loop: Header=BB1533_100 Depth=2
	s_or_b32 exec_lo, exec_lo, s40
	s_mov_b32 s50, exec_lo
	v_cmpx_lt_u32_e64 v99, v43
	s_cbranch_execnz .LBB1533_259
.LBB1533_189:                           ;   in Loop: Header=BB1533_100 Depth=2
	s_or_b32 exec_lo, exec_lo, s50
	s_mov_b32 s50, exec_lo
	v_cmpx_lt_u32_e64 v100, v43
	s_cbranch_execnz .LBB1533_260
.LBB1533_190:                           ;   in Loop: Header=BB1533_100 Depth=2
	s_or_b32 exec_lo, exec_lo, s50
	s_mov_b32 s50, exec_lo
	v_cmpx_lt_u32_e64 v101, v43
	s_cbranch_execnz .LBB1533_261
.LBB1533_191:                           ;   in Loop: Header=BB1533_100 Depth=2
	s_or_b32 exec_lo, exec_lo, s50
	s_mov_b32 s50, exec_lo
	v_cmpx_lt_u32_e64 v102, v43
	s_cbranch_execnz .LBB1533_262
.LBB1533_192:                           ;   in Loop: Header=BB1533_100 Depth=2
	s_or_b32 exec_lo, exec_lo, s50
	s_mov_b32 s50, exec_lo
	v_cmpx_lt_u32_e64 v103, v43
	s_cbranch_execnz .LBB1533_263
.LBB1533_193:                           ;   in Loop: Header=BB1533_100 Depth=2
	s_or_b32 exec_lo, exec_lo, s50
	s_mov_b32 s50, exec_lo
	v_cmpx_lt_u32_e64 v104, v43
	s_cbranch_execnz .LBB1533_264
.LBB1533_194:                           ;   in Loop: Header=BB1533_100 Depth=2
	s_or_b32 exec_lo, exec_lo, s50
	s_mov_b32 s50, exec_lo
	v_cmpx_lt_u32_e64 v105, v43
	s_cbranch_execnz .LBB1533_265
.LBB1533_195:                           ;   in Loop: Header=BB1533_100 Depth=2
	s_or_b32 exec_lo, exec_lo, s50
	s_mov_b32 s50, exec_lo
	v_cmpx_lt_u32_e64 v106, v43
	s_cbranch_execnz .LBB1533_266
.LBB1533_196:                           ;   in Loop: Header=BB1533_100 Depth=2
	s_or_b32 exec_lo, exec_lo, s50
	s_mov_b32 s50, exec_lo
	v_cmpx_lt_u32_e64 v107, v43
	s_cbranch_execnz .LBB1533_267
.LBB1533_197:                           ;   in Loop: Header=BB1533_100 Depth=2
	s_or_b32 exec_lo, exec_lo, s50
	s_mov_b32 s50, exec_lo
	v_cmpx_lt_u32_e64 v108, v43
	s_cbranch_execnz .LBB1533_268
.LBB1533_198:                           ;   in Loop: Header=BB1533_100 Depth=2
	s_or_b32 exec_lo, exec_lo, s50
	s_mov_b32 s50, exec_lo
	v_cmpx_lt_u32_e64 v109, v43
	s_cbranch_execnz .LBB1533_269
.LBB1533_199:                           ;   in Loop: Header=BB1533_100 Depth=2
	s_or_b32 exec_lo, exec_lo, s50
	s_mov_b32 s50, exec_lo
	v_cmpx_lt_u32_e64 v110, v43
	s_cbranch_execnz .LBB1533_270
.LBB1533_200:                           ;   in Loop: Header=BB1533_100 Depth=2
	s_or_b32 exec_lo, exec_lo, s50
	s_mov_b32 s50, exec_lo
	v_cmpx_lt_u32_e64 v111, v43
	s_cbranch_execnz .LBB1533_271
.LBB1533_201:                           ;   in Loop: Header=BB1533_100 Depth=2
	s_or_b32 exec_lo, exec_lo, s50
	s_mov_b32 s50, exec_lo
	v_cmpx_lt_u32_e64 v112, v43
	s_cbranch_execnz .LBB1533_272
.LBB1533_202:                           ;   in Loop: Header=BB1533_100 Depth=2
	s_or_b32 exec_lo, exec_lo, s50
	s_mov_b32 s50, exec_lo
	v_cmpx_lt_u32_e64 v113, v43
	s_cbranch_execnz .LBB1533_273
.LBB1533_203:                           ;   in Loop: Header=BB1533_100 Depth=2
	s_or_b32 exec_lo, exec_lo, s50
	s_mov_b32 s50, exec_lo
	v_cmpx_lt_u32_e64 v114, v43
	s_cbranch_execnz .LBB1533_274
.LBB1533_204:                           ;   in Loop: Header=BB1533_100 Depth=2
	s_or_b32 exec_lo, exec_lo, s50
	s_and_saveexec_b32 s40, s39
	s_cbranch_execnz .LBB1533_275
.LBB1533_205:                           ;   in Loop: Header=BB1533_100 Depth=2
	s_or_b32 exec_lo, exec_lo, s40
	s_and_saveexec_b32 s40, s38
	s_cbranch_execnz .LBB1533_276
.LBB1533_206:                           ;   in Loop: Header=BB1533_100 Depth=2
	s_or_b32 exec_lo, exec_lo, s40
	s_and_saveexec_b32 s40, s37
	s_cbranch_execnz .LBB1533_277
.LBB1533_207:                           ;   in Loop: Header=BB1533_100 Depth=2
	s_or_b32 exec_lo, exec_lo, s40
	s_and_saveexec_b32 s40, s36
	s_cbranch_execnz .LBB1533_278
.LBB1533_208:                           ;   in Loop: Header=BB1533_100 Depth=2
	s_or_b32 exec_lo, exec_lo, s40
	s_and_saveexec_b32 s40, s35
	s_cbranch_execnz .LBB1533_279
.LBB1533_209:                           ;   in Loop: Header=BB1533_100 Depth=2
	s_or_b32 exec_lo, exec_lo, s40
	s_and_saveexec_b32 s40, s34
	s_cbranch_execnz .LBB1533_280
.LBB1533_210:                           ;   in Loop: Header=BB1533_100 Depth=2
	s_or_b32 exec_lo, exec_lo, s40
	s_and_saveexec_b32 s40, s33
	s_cbranch_execnz .LBB1533_281
.LBB1533_211:                           ;   in Loop: Header=BB1533_100 Depth=2
	s_or_b32 exec_lo, exec_lo, s40
	s_and_saveexec_b32 s40, s31
	s_cbranch_execnz .LBB1533_282
.LBB1533_212:                           ;   in Loop: Header=BB1533_100 Depth=2
	s_or_b32 exec_lo, exec_lo, s40
	s_and_saveexec_b32 s40, s30
	s_cbranch_execnz .LBB1533_283
.LBB1533_213:                           ;   in Loop: Header=BB1533_100 Depth=2
	s_or_b32 exec_lo, exec_lo, s40
	s_and_saveexec_b32 s40, s29
	s_cbranch_execnz .LBB1533_284
.LBB1533_214:                           ;   in Loop: Header=BB1533_100 Depth=2
	s_or_b32 exec_lo, exec_lo, s40
	s_and_saveexec_b32 s40, s27
	s_cbranch_execnz .LBB1533_285
.LBB1533_215:                           ;   in Loop: Header=BB1533_100 Depth=2
	s_or_b32 exec_lo, exec_lo, s40
	s_and_saveexec_b32 s40, s26
	s_cbranch_execnz .LBB1533_286
.LBB1533_216:                           ;   in Loop: Header=BB1533_100 Depth=2
	s_or_b32 exec_lo, exec_lo, s40
	s_and_saveexec_b32 s40, s25
	s_cbranch_execnz .LBB1533_287
.LBB1533_217:                           ;   in Loop: Header=BB1533_100 Depth=2
	s_or_b32 exec_lo, exec_lo, s40
	s_and_saveexec_b32 s40, s24
	s_cbranch_execnz .LBB1533_288
.LBB1533_218:                           ;   in Loop: Header=BB1533_100 Depth=2
	s_or_b32 exec_lo, exec_lo, s40
	s_and_saveexec_b32 s40, s23
	s_cbranch_execnz .LBB1533_289
.LBB1533_219:                           ;   in Loop: Header=BB1533_100 Depth=2
	s_or_b32 exec_lo, exec_lo, s40
	s_and_saveexec_b32 s40, s22
	s_cbranch_execnz .LBB1533_290
.LBB1533_220:                           ;   in Loop: Header=BB1533_100 Depth=2
	s_or_b32 exec_lo, exec_lo, s40
	s_and_saveexec_b32 s40, vcc_lo
	s_cbranch_execz .LBB1533_222
.LBB1533_221:                           ;   in Loop: Header=BB1533_100 Depth=2
	ds_read_u8 v4, v0 offset:4608
	s_waitcnt lgkmcnt(0)
	v_lshrrev_b32_e32 v4, s61, v4
	v_and_b32_e32 v116, s62, v4
.LBB1533_222:                           ;   in Loop: Header=BB1533_100 Depth=2
	s_or_b32 exec_lo, exec_lo, s40
	v_lshlrev_b32_e32 v4, 3, v150
	v_lshlrev_b32_e32 v5, 3, v149
	s_waitcnt vmcnt(0)
	s_waitcnt_vscnt null, 0x0
	s_barrier
	buffer_gl0_inv
	ds_write_b64 v4, v[41:42] offset:512
	ds_write_b64 v5, v[39:40] offset:512
	v_lshlrev_b32_e32 v4, 3, v147
	v_lshlrev_b32_e32 v5, 3, v146
	v_lshlrev_b32_e32 v43, 3, v145
	v_lshlrev_b32_e32 v44, 3, v144
	v_lshlrev_b32_e32 v143, 3, v143
	ds_write_b64 v4, v[37:38] offset:512
	ds_write_b64 v5, v[35:36] offset:512
	ds_write_b64 v43, v[33:34] offset:512
	ds_write_b64 v44, v[29:30] offset:512
	ds_write_b64 v143, v[25:26] offset:512
	v_lshlrev_b32_e32 v4, 3, v142
	v_lshlrev_b32_e32 v5, 3, v141
	v_lshlrev_b32_e32 v43, 3, v140
	v_lshlrev_b32_e32 v44, 3, v139
	v_lshlrev_b32_e32 v138, 3, v138
	ds_write_b64 v4, v[21:22] offset:512
	ds_write_b64 v5, v[31:32] offset:512
	ds_write_b64 v43, v[27:28] offset:512
	;; [unrolled: 10-line block ×3, first 2 shown]
	ds_write_b64 v7, v[11:12] offset:512
	ds_write_b64 v6, v[9:10] offset:512
	s_waitcnt lgkmcnt(0)
	s_barrier
	buffer_gl0_inv
	s_and_saveexec_b32 s40, s39
	s_cbranch_execnz .LBB1533_291
; %bb.223:                              ;   in Loop: Header=BB1533_100 Depth=2
	s_or_b32 exec_lo, exec_lo, s40
	s_and_saveexec_b32 s39, s38
	s_cbranch_execnz .LBB1533_292
.LBB1533_224:                           ;   in Loop: Header=BB1533_100 Depth=2
	s_or_b32 exec_lo, exec_lo, s39
	s_and_saveexec_b32 s38, s37
	s_cbranch_execnz .LBB1533_293
.LBB1533_225:                           ;   in Loop: Header=BB1533_100 Depth=2
	s_or_b32 exec_lo, exec_lo, s38
	s_and_saveexec_b32 s37, s36
	s_cbranch_execnz .LBB1533_294
.LBB1533_226:                           ;   in Loop: Header=BB1533_100 Depth=2
	s_or_b32 exec_lo, exec_lo, s37
	s_and_saveexec_b32 s36, s35
	s_cbranch_execnz .LBB1533_295
.LBB1533_227:                           ;   in Loop: Header=BB1533_100 Depth=2
	s_or_b32 exec_lo, exec_lo, s36
	s_and_saveexec_b32 s35, s34
	s_cbranch_execnz .LBB1533_296
.LBB1533_228:                           ;   in Loop: Header=BB1533_100 Depth=2
	s_or_b32 exec_lo, exec_lo, s35
	s_and_saveexec_b32 s34, s33
	s_cbranch_execnz .LBB1533_297
.LBB1533_229:                           ;   in Loop: Header=BB1533_100 Depth=2
	s_or_b32 exec_lo, exec_lo, s34
	s_and_saveexec_b32 s33, s31
	s_cbranch_execnz .LBB1533_298
.LBB1533_230:                           ;   in Loop: Header=BB1533_100 Depth=2
	s_or_b32 exec_lo, exec_lo, s33
	s_and_saveexec_b32 s31, s30
	s_cbranch_execnz .LBB1533_299
.LBB1533_231:                           ;   in Loop: Header=BB1533_100 Depth=2
	s_or_b32 exec_lo, exec_lo, s31
	s_and_saveexec_b32 s30, s29
	s_cbranch_execnz .LBB1533_300
.LBB1533_232:                           ;   in Loop: Header=BB1533_100 Depth=2
	s_or_b32 exec_lo, exec_lo, s30
	s_and_saveexec_b32 s29, s27
	s_cbranch_execnz .LBB1533_301
.LBB1533_233:                           ;   in Loop: Header=BB1533_100 Depth=2
	s_or_b32 exec_lo, exec_lo, s29
	s_and_saveexec_b32 s27, s26
	s_cbranch_execnz .LBB1533_302
.LBB1533_234:                           ;   in Loop: Header=BB1533_100 Depth=2
	s_or_b32 exec_lo, exec_lo, s27
	s_and_saveexec_b32 s26, s25
	s_cbranch_execnz .LBB1533_303
.LBB1533_235:                           ;   in Loop: Header=BB1533_100 Depth=2
	s_or_b32 exec_lo, exec_lo, s26
	s_and_saveexec_b32 s25, s24
	s_cbranch_execnz .LBB1533_304
.LBB1533_236:                           ;   in Loop: Header=BB1533_100 Depth=2
	s_or_b32 exec_lo, exec_lo, s25
	s_and_saveexec_b32 s24, s23
	s_cbranch_execnz .LBB1533_305
.LBB1533_237:                           ;   in Loop: Header=BB1533_100 Depth=2
	s_or_b32 exec_lo, exec_lo, s24
	s_and_saveexec_b32 s23, s22
	s_cbranch_execnz .LBB1533_306
.LBB1533_238:                           ;   in Loop: Header=BB1533_100 Depth=2
	s_or_b32 exec_lo, exec_lo, s23
	s_and_saveexec_b32 s22, vcc_lo
	s_cbranch_execz .LBB1533_240
.LBB1533_239:                           ;   in Loop: Header=BB1533_100 Depth=2
	v_lshlrev_b32_e32 v4, 2, v116
	v_mov_b32_e32 v7, v3
	ds_read_b32 v6, v4
	v_add_nc_u32_e32 v4, v0, v77
	ds_read_b64 v[4:5], v4 offset:33280
	s_waitcnt lgkmcnt(1)
	v_add_nc_u32_e32 v6, v6, v63
	v_lshlrev_b64 v[6:7], 3, v[6:7]
	v_add_co_u32 v6, vcc_lo, s52, v6
	v_add_co_ci_u32_e64 v7, null, s53, v7, vcc_lo
	s_waitcnt lgkmcnt(0)
	global_store_dwordx2 v[6:7], v[4:5], off
.LBB1533_240:                           ;   in Loop: Header=BB1533_100 Depth=2
	s_or_b32 exec_lo, exec_lo, s22
	s_waitcnt_vscnt null, 0x0
	s_barrier
	buffer_gl0_inv
	s_and_saveexec_b32 s22, s7
	s_cbranch_execz .LBB1533_99
; %bb.241:                              ;   in Loop: Header=BB1533_100 Depth=2
	ds_read_b32 v4, v45
	s_waitcnt lgkmcnt(0)
	v_add3_u32 v4, v133, v134, v4
	ds_write_b32 v45, v4
	s_branch .LBB1533_99
.LBB1533_242:                           ;   in Loop: Header=BB1533_100 Depth=2
	ds_read_u8 v4, v0 offset:512
	s_waitcnt lgkmcnt(0)
	v_and_b32_e32 v5, 1, v4
	v_xor_b32_e32 v4, 1, v4
	v_lshrrev_b32_e32 v5, s61, v5
	v_and_b32_e32 v5, s62, v5
	v_lshlrev_b32_e32 v5, 2, v5
	ds_read_b32 v5, v5
	s_waitcnt lgkmcnt(0)
	v_add_nc_u32_e32 v5, v5, v0
	global_store_byte v5, v4, s[46:47]
	s_or_b32 exec_lo, exec_lo, s22
	v_cmp_lt_u32_e64 s38, v46, v43
	s_and_saveexec_b32 s22, s38
	s_cbranch_execz .LBB1533_171
.LBB1533_243:                           ;   in Loop: Header=BB1533_100 Depth=2
	ds_read_u8 v4, v0 offset:768
	s_waitcnt lgkmcnt(0)
	v_and_b32_e32 v5, 1, v4
	v_xor_b32_e32 v4, 1, v4
	v_lshrrev_b32_e32 v5, s61, v5
	v_and_b32_e32 v5, s62, v5
	v_lshlrev_b32_e32 v5, 2, v5
	ds_read_b32 v5, v5
	s_waitcnt lgkmcnt(0)
	v_add_nc_u32_e32 v5, v5, v46
	global_store_byte v5, v4, s[46:47]
	s_or_b32 exec_lo, exec_lo, s22
	v_cmp_lt_u32_e64 s37, v49, v43
	s_and_saveexec_b32 s22, s37
	s_cbranch_execz .LBB1533_172
.LBB1533_244:                           ;   in Loop: Header=BB1533_100 Depth=2
	ds_read_u8 v4, v0 offset:1024
	s_waitcnt lgkmcnt(0)
	v_and_b32_e32 v5, 1, v4
	v_xor_b32_e32 v4, 1, v4
	v_lshrrev_b32_e32 v5, s61, v5
	v_and_b32_e32 v5, s62, v5
	v_lshlrev_b32_e32 v5, 2, v5
	ds_read_b32 v5, v5
	s_waitcnt lgkmcnt(0)
	v_add_nc_u32_e32 v5, v5, v49
	global_store_byte v5, v4, s[46:47]
	s_or_b32 exec_lo, exec_lo, s22
	v_cmp_lt_u32_e64 s36, v50, v43
	s_and_saveexec_b32 s22, s36
	s_cbranch_execz .LBB1533_173
.LBB1533_245:                           ;   in Loop: Header=BB1533_100 Depth=2
	ds_read_u8 v4, v0 offset:1280
	s_waitcnt lgkmcnt(0)
	v_and_b32_e32 v5, 1, v4
	v_xor_b32_e32 v4, 1, v4
	v_lshrrev_b32_e32 v5, s61, v5
	v_and_b32_e32 v5, s62, v5
	v_lshlrev_b32_e32 v5, 2, v5
	ds_read_b32 v5, v5
	s_waitcnt lgkmcnt(0)
	v_add_nc_u32_e32 v5, v5, v50
	global_store_byte v5, v4, s[46:47]
	s_or_b32 exec_lo, exec_lo, s22
	v_cmp_lt_u32_e64 s35, v51, v43
	s_and_saveexec_b32 s22, s35
	s_cbranch_execz .LBB1533_174
.LBB1533_246:                           ;   in Loop: Header=BB1533_100 Depth=2
	ds_read_u8 v4, v0 offset:1536
	s_waitcnt lgkmcnt(0)
	v_and_b32_e32 v5, 1, v4
	v_xor_b32_e32 v4, 1, v4
	v_lshrrev_b32_e32 v5, s61, v5
	v_and_b32_e32 v5, s62, v5
	v_lshlrev_b32_e32 v5, 2, v5
	ds_read_b32 v5, v5
	s_waitcnt lgkmcnt(0)
	v_add_nc_u32_e32 v5, v5, v51
	global_store_byte v5, v4, s[46:47]
	s_or_b32 exec_lo, exec_lo, s22
	v_cmp_lt_u32_e64 s34, v52, v43
	s_and_saveexec_b32 s22, s34
	s_cbranch_execz .LBB1533_175
.LBB1533_247:                           ;   in Loop: Header=BB1533_100 Depth=2
	ds_read_u8 v4, v0 offset:1792
	s_waitcnt lgkmcnt(0)
	v_and_b32_e32 v5, 1, v4
	v_xor_b32_e32 v4, 1, v4
	v_lshrrev_b32_e32 v5, s61, v5
	v_and_b32_e32 v5, s62, v5
	v_lshlrev_b32_e32 v5, 2, v5
	ds_read_b32 v5, v5
	s_waitcnt lgkmcnt(0)
	v_add_nc_u32_e32 v5, v5, v52
	global_store_byte v5, v4, s[46:47]
	s_or_b32 exec_lo, exec_lo, s22
	v_cmp_lt_u32_e64 s33, v53, v43
	s_and_saveexec_b32 s22, s33
	s_cbranch_execz .LBB1533_176
.LBB1533_248:                           ;   in Loop: Header=BB1533_100 Depth=2
	ds_read_u8 v4, v0 offset:2048
	s_waitcnt lgkmcnt(0)
	v_and_b32_e32 v5, 1, v4
	v_xor_b32_e32 v4, 1, v4
	v_lshrrev_b32_e32 v5, s61, v5
	v_and_b32_e32 v5, s62, v5
	v_lshlrev_b32_e32 v5, 2, v5
	ds_read_b32 v5, v5
	s_waitcnt lgkmcnt(0)
	v_add_nc_u32_e32 v5, v5, v53
	global_store_byte v5, v4, s[46:47]
	s_or_b32 exec_lo, exec_lo, s22
	v_cmp_lt_u32_e64 s31, v54, v43
	s_and_saveexec_b32 s22, s31
	s_cbranch_execz .LBB1533_177
.LBB1533_249:                           ;   in Loop: Header=BB1533_100 Depth=2
	ds_read_u8 v4, v0 offset:2304
	s_waitcnt lgkmcnt(0)
	v_and_b32_e32 v5, 1, v4
	v_xor_b32_e32 v4, 1, v4
	v_lshrrev_b32_e32 v5, s61, v5
	v_and_b32_e32 v5, s62, v5
	v_lshlrev_b32_e32 v5, 2, v5
	ds_read_b32 v5, v5
	s_waitcnt lgkmcnt(0)
	v_add_nc_u32_e32 v5, v5, v54
	global_store_byte v5, v4, s[46:47]
	s_or_b32 exec_lo, exec_lo, s22
	v_cmp_lt_u32_e64 s30, v55, v43
	s_and_saveexec_b32 s22, s30
	s_cbranch_execz .LBB1533_178
.LBB1533_250:                           ;   in Loop: Header=BB1533_100 Depth=2
	ds_read_u8 v4, v0 offset:2560
	s_waitcnt lgkmcnt(0)
	v_and_b32_e32 v5, 1, v4
	v_xor_b32_e32 v4, 1, v4
	v_lshrrev_b32_e32 v5, s61, v5
	v_and_b32_e32 v5, s62, v5
	v_lshlrev_b32_e32 v5, 2, v5
	ds_read_b32 v5, v5
	s_waitcnt lgkmcnt(0)
	v_add_nc_u32_e32 v5, v5, v55
	global_store_byte v5, v4, s[46:47]
	s_or_b32 exec_lo, exec_lo, s22
	v_cmp_lt_u32_e64 s29, v56, v43
	s_and_saveexec_b32 s22, s29
	s_cbranch_execz .LBB1533_179
.LBB1533_251:                           ;   in Loop: Header=BB1533_100 Depth=2
	ds_read_u8 v4, v0 offset:2816
	s_waitcnt lgkmcnt(0)
	v_and_b32_e32 v5, 1, v4
	v_xor_b32_e32 v4, 1, v4
	v_lshrrev_b32_e32 v5, s61, v5
	v_and_b32_e32 v5, s62, v5
	v_lshlrev_b32_e32 v5, 2, v5
	ds_read_b32 v5, v5
	s_waitcnt lgkmcnt(0)
	v_add_nc_u32_e32 v5, v5, v56
	global_store_byte v5, v4, s[46:47]
	s_or_b32 exec_lo, exec_lo, s22
	v_cmp_lt_u32_e64 s27, v57, v43
	s_and_saveexec_b32 s22, s27
	s_cbranch_execz .LBB1533_180
.LBB1533_252:                           ;   in Loop: Header=BB1533_100 Depth=2
	ds_read_u8 v4, v0 offset:3072
	s_waitcnt lgkmcnt(0)
	v_and_b32_e32 v5, 1, v4
	v_xor_b32_e32 v4, 1, v4
	v_lshrrev_b32_e32 v5, s61, v5
	v_and_b32_e32 v5, s62, v5
	v_lshlrev_b32_e32 v5, 2, v5
	ds_read_b32 v5, v5
	s_waitcnt lgkmcnt(0)
	v_add_nc_u32_e32 v5, v5, v57
	global_store_byte v5, v4, s[46:47]
	s_or_b32 exec_lo, exec_lo, s22
	v_cmp_lt_u32_e64 s26, v58, v43
	s_and_saveexec_b32 s22, s26
	s_cbranch_execz .LBB1533_181
.LBB1533_253:                           ;   in Loop: Header=BB1533_100 Depth=2
	ds_read_u8 v4, v0 offset:3328
	s_waitcnt lgkmcnt(0)
	v_and_b32_e32 v5, 1, v4
	v_xor_b32_e32 v4, 1, v4
	v_lshrrev_b32_e32 v5, s61, v5
	v_and_b32_e32 v5, s62, v5
	v_lshlrev_b32_e32 v5, 2, v5
	ds_read_b32 v5, v5
	s_waitcnt lgkmcnt(0)
	v_add_nc_u32_e32 v5, v5, v58
	global_store_byte v5, v4, s[46:47]
	s_or_b32 exec_lo, exec_lo, s22
	v_cmp_lt_u32_e64 s25, v59, v43
	s_and_saveexec_b32 s22, s25
	s_cbranch_execz .LBB1533_182
.LBB1533_254:                           ;   in Loop: Header=BB1533_100 Depth=2
	ds_read_u8 v4, v0 offset:3584
	s_waitcnt lgkmcnt(0)
	v_and_b32_e32 v5, 1, v4
	v_xor_b32_e32 v4, 1, v4
	v_lshrrev_b32_e32 v5, s61, v5
	v_and_b32_e32 v5, s62, v5
	v_lshlrev_b32_e32 v5, 2, v5
	ds_read_b32 v5, v5
	s_waitcnt lgkmcnt(0)
	v_add_nc_u32_e32 v5, v5, v59
	global_store_byte v5, v4, s[46:47]
	s_or_b32 exec_lo, exec_lo, s22
	v_cmp_lt_u32_e64 s24, v60, v43
	s_and_saveexec_b32 s22, s24
	s_cbranch_execz .LBB1533_183
.LBB1533_255:                           ;   in Loop: Header=BB1533_100 Depth=2
	ds_read_u8 v4, v0 offset:3840
	s_waitcnt lgkmcnt(0)
	v_and_b32_e32 v5, 1, v4
	v_xor_b32_e32 v4, 1, v4
	v_lshrrev_b32_e32 v5, s61, v5
	v_and_b32_e32 v5, s62, v5
	v_lshlrev_b32_e32 v5, 2, v5
	ds_read_b32 v5, v5
	s_waitcnt lgkmcnt(0)
	v_add_nc_u32_e32 v5, v5, v60
	global_store_byte v5, v4, s[46:47]
	s_or_b32 exec_lo, exec_lo, s22
	v_cmp_lt_u32_e64 s23, v61, v43
	s_and_saveexec_b32 s22, s23
	s_cbranch_execz .LBB1533_184
.LBB1533_256:                           ;   in Loop: Header=BB1533_100 Depth=2
	ds_read_u8 v4, v0 offset:4096
	s_waitcnt lgkmcnt(0)
	v_and_b32_e32 v5, 1, v4
	v_xor_b32_e32 v4, 1, v4
	v_lshrrev_b32_e32 v5, s61, v5
	v_and_b32_e32 v5, s62, v5
	v_lshlrev_b32_e32 v5, 2, v5
	ds_read_b32 v5, v5
	s_waitcnt lgkmcnt(0)
	v_add_nc_u32_e32 v5, v5, v61
	global_store_byte v5, v4, s[46:47]
	s_or_b32 exec_lo, exec_lo, s22
	v_cmp_lt_u32_e64 s22, v62, v43
	s_and_saveexec_b32 s40, s22
	s_cbranch_execz .LBB1533_185
.LBB1533_257:                           ;   in Loop: Header=BB1533_100 Depth=2
	ds_read_u8 v4, v0 offset:4352
	s_waitcnt lgkmcnt(0)
	v_and_b32_e32 v5, 1, v4
	v_xor_b32_e32 v4, 1, v4
	v_lshrrev_b32_e32 v5, s61, v5
	v_and_b32_e32 v5, s62, v5
	v_lshlrev_b32_e32 v5, 2, v5
	ds_read_b32 v5, v5
	s_waitcnt lgkmcnt(0)
	v_add_nc_u32_e32 v5, v5, v62
	global_store_byte v5, v4, s[46:47]
	s_or_b32 exec_lo, exec_lo, s40
	v_cmp_lt_u32_e32 vcc_lo, v63, v43
	s_and_saveexec_b32 s40, vcc_lo
	s_cbranch_execnz .LBB1533_186
	s_branch .LBB1533_187
.LBB1533_258:                           ;   in Loop: Header=BB1533_100 Depth=2
	global_load_dwordx2 v[41:42], v[4:5], off
	s_or_b32 exec_lo, exec_lo, s40
	s_mov_b32 s50, exec_lo
	v_cmpx_lt_u32_e64 v99, v43
	s_cbranch_execz .LBB1533_189
.LBB1533_259:                           ;   in Loop: Header=BB1533_100 Depth=2
	global_load_dwordx2 v[39:40], v[4:5], off offset:256
	s_or_b32 exec_lo, exec_lo, s50
	s_mov_b32 s50, exec_lo
	v_cmpx_lt_u32_e64 v100, v43
	s_cbranch_execz .LBB1533_190
.LBB1533_260:                           ;   in Loop: Header=BB1533_100 Depth=2
	global_load_dwordx2 v[37:38], v[4:5], off offset:512
	s_or_b32 exec_lo, exec_lo, s50
	s_mov_b32 s50, exec_lo
	v_cmpx_lt_u32_e64 v101, v43
	s_cbranch_execz .LBB1533_191
.LBB1533_261:                           ;   in Loop: Header=BB1533_100 Depth=2
	global_load_dwordx2 v[35:36], v[4:5], off offset:768
	s_or_b32 exec_lo, exec_lo, s50
	s_mov_b32 s50, exec_lo
	v_cmpx_lt_u32_e64 v102, v43
	s_cbranch_execz .LBB1533_192
.LBB1533_262:                           ;   in Loop: Header=BB1533_100 Depth=2
	global_load_dwordx2 v[33:34], v[4:5], off offset:1024
	s_or_b32 exec_lo, exec_lo, s50
	s_mov_b32 s50, exec_lo
	v_cmpx_lt_u32_e64 v103, v43
	s_cbranch_execz .LBB1533_193
.LBB1533_263:                           ;   in Loop: Header=BB1533_100 Depth=2
	global_load_dwordx2 v[29:30], v[4:5], off offset:1280
	s_or_b32 exec_lo, exec_lo, s50
	s_mov_b32 s50, exec_lo
	v_cmpx_lt_u32_e64 v104, v43
	s_cbranch_execz .LBB1533_194
.LBB1533_264:                           ;   in Loop: Header=BB1533_100 Depth=2
	global_load_dwordx2 v[25:26], v[4:5], off offset:1536
	s_or_b32 exec_lo, exec_lo, s50
	s_mov_b32 s50, exec_lo
	v_cmpx_lt_u32_e64 v105, v43
	s_cbranch_execz .LBB1533_195
.LBB1533_265:                           ;   in Loop: Header=BB1533_100 Depth=2
	global_load_dwordx2 v[21:22], v[4:5], off offset:1792
	s_or_b32 exec_lo, exec_lo, s50
	s_mov_b32 s50, exec_lo
	v_cmpx_lt_u32_e64 v106, v43
	s_cbranch_execz .LBB1533_196
.LBB1533_266:                           ;   in Loop: Header=BB1533_100 Depth=2
	v_add_co_u32 v31, s40, 0x800, v4
	v_add_co_ci_u32_e64 v32, null, 0, v5, s40
	global_load_dwordx2 v[31:32], v[31:32], off
	s_or_b32 exec_lo, exec_lo, s50
	s_mov_b32 s50, exec_lo
	v_cmpx_lt_u32_e64 v107, v43
	s_cbranch_execz .LBB1533_197
.LBB1533_267:                           ;   in Loop: Header=BB1533_100 Depth=2
	v_add_co_u32 v27, s40, 0x800, v4
	v_add_co_ci_u32_e64 v28, null, 0, v5, s40
	global_load_dwordx2 v[27:28], v[27:28], off offset:256
	s_or_b32 exec_lo, exec_lo, s50
	s_mov_b32 s50, exec_lo
	v_cmpx_lt_u32_e64 v108, v43
	s_cbranch_execz .LBB1533_198
.LBB1533_268:                           ;   in Loop: Header=BB1533_100 Depth=2
	v_add_co_u32 v23, s40, 0x800, v4
	v_add_co_ci_u32_e64 v24, null, 0, v5, s40
	global_load_dwordx2 v[23:24], v[23:24], off offset:512
	s_or_b32 exec_lo, exec_lo, s50
	s_mov_b32 s50, exec_lo
	v_cmpx_lt_u32_e64 v109, v43
	s_cbranch_execz .LBB1533_199
.LBB1533_269:                           ;   in Loop: Header=BB1533_100 Depth=2
	v_add_co_u32 v19, s40, 0x800, v4
	v_add_co_ci_u32_e64 v20, null, 0, v5, s40
	global_load_dwordx2 v[19:20], v[19:20], off offset:768
	s_or_b32 exec_lo, exec_lo, s50
	s_mov_b32 s50, exec_lo
	v_cmpx_lt_u32_e64 v110, v43
	s_cbranch_execz .LBB1533_200
.LBB1533_270:                           ;   in Loop: Header=BB1533_100 Depth=2
	v_add_co_u32 v17, s40, 0x800, v4
	v_add_co_ci_u32_e64 v18, null, 0, v5, s40
	global_load_dwordx2 v[17:18], v[17:18], off offset:1024
	s_or_b32 exec_lo, exec_lo, s50
	s_mov_b32 s50, exec_lo
	v_cmpx_lt_u32_e64 v111, v43
	s_cbranch_execz .LBB1533_201
.LBB1533_271:                           ;   in Loop: Header=BB1533_100 Depth=2
	v_add_co_u32 v15, s40, 0x800, v4
	v_add_co_ci_u32_e64 v16, null, 0, v5, s40
	global_load_dwordx2 v[15:16], v[15:16], off offset:1280
	s_or_b32 exec_lo, exec_lo, s50
	s_mov_b32 s50, exec_lo
	v_cmpx_lt_u32_e64 v112, v43
	s_cbranch_execz .LBB1533_202
.LBB1533_272:                           ;   in Loop: Header=BB1533_100 Depth=2
	v_add_co_u32 v13, s40, 0x800, v4
	v_add_co_ci_u32_e64 v14, null, 0, v5, s40
	global_load_dwordx2 v[13:14], v[13:14], off offset:1536
	s_or_b32 exec_lo, exec_lo, s50
	s_mov_b32 s50, exec_lo
	v_cmpx_lt_u32_e64 v113, v43
	s_cbranch_execz .LBB1533_203
.LBB1533_273:                           ;   in Loop: Header=BB1533_100 Depth=2
	v_add_co_u32 v11, s40, 0x800, v4
	v_add_co_ci_u32_e64 v12, null, 0, v5, s40
	global_load_dwordx2 v[11:12], v[11:12], off offset:1792
	s_or_b32 exec_lo, exec_lo, s50
	s_mov_b32 s50, exec_lo
	v_cmpx_lt_u32_e64 v114, v43
	s_cbranch_execz .LBB1533_204
.LBB1533_274:                           ;   in Loop: Header=BB1533_100 Depth=2
	v_add_co_u32 v4, s40, 0x1000, v4
	v_add_co_ci_u32_e64 v5, null, 0, v5, s40
	global_load_dwordx2 v[9:10], v[4:5], off
	s_or_b32 exec_lo, exec_lo, s50
	s_and_saveexec_b32 s40, s39
	s_cbranch_execz .LBB1533_205
.LBB1533_275:                           ;   in Loop: Header=BB1533_100 Depth=2
	ds_read_u8 v4, v0 offset:512
	s_waitcnt lgkmcnt(0)
	v_lshrrev_b32_e32 v4, s61, v4
	v_and_b32_e32 v132, s62, v4
	s_or_b32 exec_lo, exec_lo, s40
	s_and_saveexec_b32 s40, s38
	s_cbranch_execz .LBB1533_206
.LBB1533_276:                           ;   in Loop: Header=BB1533_100 Depth=2
	ds_read_u8 v4, v0 offset:768
	s_waitcnt lgkmcnt(0)
	v_lshrrev_b32_e32 v4, s61, v4
	v_and_b32_e32 v131, s62, v4
	s_or_b32 exec_lo, exec_lo, s40
	s_and_saveexec_b32 s40, s37
	s_cbranch_execz .LBB1533_207
.LBB1533_277:                           ;   in Loop: Header=BB1533_100 Depth=2
	ds_read_u8 v4, v0 offset:1024
	s_waitcnt lgkmcnt(0)
	v_lshrrev_b32_e32 v4, s61, v4
	v_and_b32_e32 v130, s62, v4
	s_or_b32 exec_lo, exec_lo, s40
	s_and_saveexec_b32 s40, s36
	s_cbranch_execz .LBB1533_208
.LBB1533_278:                           ;   in Loop: Header=BB1533_100 Depth=2
	ds_read_u8 v4, v0 offset:1280
	s_waitcnt lgkmcnt(0)
	v_lshrrev_b32_e32 v4, s61, v4
	v_and_b32_e32 v129, s62, v4
	s_or_b32 exec_lo, exec_lo, s40
	s_and_saveexec_b32 s40, s35
	s_cbranch_execz .LBB1533_209
.LBB1533_279:                           ;   in Loop: Header=BB1533_100 Depth=2
	ds_read_u8 v4, v0 offset:1536
	s_waitcnt lgkmcnt(0)
	v_lshrrev_b32_e32 v4, s61, v4
	v_and_b32_e32 v128, s62, v4
	s_or_b32 exec_lo, exec_lo, s40
	s_and_saveexec_b32 s40, s34
	s_cbranch_execz .LBB1533_210
.LBB1533_280:                           ;   in Loop: Header=BB1533_100 Depth=2
	ds_read_u8 v4, v0 offset:1792
	s_waitcnt lgkmcnt(0)
	v_lshrrev_b32_e32 v4, s61, v4
	v_and_b32_e32 v127, s62, v4
	s_or_b32 exec_lo, exec_lo, s40
	s_and_saveexec_b32 s40, s33
	s_cbranch_execz .LBB1533_211
.LBB1533_281:                           ;   in Loop: Header=BB1533_100 Depth=2
	ds_read_u8 v4, v0 offset:2048
	s_waitcnt lgkmcnt(0)
	v_lshrrev_b32_e32 v4, s61, v4
	v_and_b32_e32 v126, s62, v4
	s_or_b32 exec_lo, exec_lo, s40
	s_and_saveexec_b32 s40, s31
	s_cbranch_execz .LBB1533_212
.LBB1533_282:                           ;   in Loop: Header=BB1533_100 Depth=2
	ds_read_u8 v4, v0 offset:2304
	s_waitcnt lgkmcnt(0)
	v_lshrrev_b32_e32 v4, s61, v4
	v_and_b32_e32 v125, s62, v4
	s_or_b32 exec_lo, exec_lo, s40
	s_and_saveexec_b32 s40, s30
	s_cbranch_execz .LBB1533_213
.LBB1533_283:                           ;   in Loop: Header=BB1533_100 Depth=2
	ds_read_u8 v4, v0 offset:2560
	s_waitcnt lgkmcnt(0)
	v_lshrrev_b32_e32 v4, s61, v4
	v_and_b32_e32 v124, s62, v4
	s_or_b32 exec_lo, exec_lo, s40
	s_and_saveexec_b32 s40, s29
	s_cbranch_execz .LBB1533_214
.LBB1533_284:                           ;   in Loop: Header=BB1533_100 Depth=2
	ds_read_u8 v4, v0 offset:2816
	s_waitcnt lgkmcnt(0)
	v_lshrrev_b32_e32 v4, s61, v4
	v_and_b32_e32 v123, s62, v4
	s_or_b32 exec_lo, exec_lo, s40
	s_and_saveexec_b32 s40, s27
	s_cbranch_execz .LBB1533_215
.LBB1533_285:                           ;   in Loop: Header=BB1533_100 Depth=2
	ds_read_u8 v4, v0 offset:3072
	s_waitcnt lgkmcnt(0)
	v_lshrrev_b32_e32 v4, s61, v4
	v_and_b32_e32 v122, s62, v4
	s_or_b32 exec_lo, exec_lo, s40
	s_and_saveexec_b32 s40, s26
	s_cbranch_execz .LBB1533_216
.LBB1533_286:                           ;   in Loop: Header=BB1533_100 Depth=2
	ds_read_u8 v4, v0 offset:3328
	s_waitcnt lgkmcnt(0)
	v_lshrrev_b32_e32 v4, s61, v4
	v_and_b32_e32 v121, s62, v4
	s_or_b32 exec_lo, exec_lo, s40
	s_and_saveexec_b32 s40, s25
	s_cbranch_execz .LBB1533_217
.LBB1533_287:                           ;   in Loop: Header=BB1533_100 Depth=2
	ds_read_u8 v4, v0 offset:3584
	s_waitcnt lgkmcnt(0)
	v_lshrrev_b32_e32 v4, s61, v4
	v_and_b32_e32 v120, s62, v4
	s_or_b32 exec_lo, exec_lo, s40
	s_and_saveexec_b32 s40, s24
	s_cbranch_execz .LBB1533_218
.LBB1533_288:                           ;   in Loop: Header=BB1533_100 Depth=2
	ds_read_u8 v4, v0 offset:3840
	s_waitcnt lgkmcnt(0)
	v_lshrrev_b32_e32 v4, s61, v4
	v_and_b32_e32 v119, s62, v4
	s_or_b32 exec_lo, exec_lo, s40
	s_and_saveexec_b32 s40, s23
	s_cbranch_execz .LBB1533_219
.LBB1533_289:                           ;   in Loop: Header=BB1533_100 Depth=2
	ds_read_u8 v4, v0 offset:4096
	s_waitcnt lgkmcnt(0)
	v_lshrrev_b32_e32 v4, s61, v4
	v_and_b32_e32 v118, s62, v4
	s_or_b32 exec_lo, exec_lo, s40
	s_and_saveexec_b32 s40, s22
	s_cbranch_execz .LBB1533_220
.LBB1533_290:                           ;   in Loop: Header=BB1533_100 Depth=2
	ds_read_u8 v4, v0 offset:4352
	s_waitcnt lgkmcnt(0)
	v_lshrrev_b32_e32 v4, s61, v4
	v_and_b32_e32 v117, s62, v4
	s_or_b32 exec_lo, exec_lo, s40
	s_and_saveexec_b32 s40, vcc_lo
	s_cbranch_execnz .LBB1533_221
	s_branch .LBB1533_222
.LBB1533_291:                           ;   in Loop: Header=BB1533_100 Depth=2
	v_lshlrev_b32_e32 v4, 2, v132
	v_mov_b32_e32 v7, v3
	ds_read_b32 v6, v4
	v_add_nc_u32_e32 v4, v0, v77
	ds_read_b64 v[4:5], v4 offset:512
	s_waitcnt lgkmcnt(1)
	v_add_nc_u32_e32 v6, v6, v0
	v_lshlrev_b64 v[6:7], 3, v[6:7]
	v_add_co_u32 v6, s39, s52, v6
	v_add_co_ci_u32_e64 v7, null, s53, v7, s39
	s_waitcnt lgkmcnt(0)
	global_store_dwordx2 v[6:7], v[4:5], off
	s_or_b32 exec_lo, exec_lo, s40
	s_and_saveexec_b32 s39, s38
	s_cbranch_execz .LBB1533_224
.LBB1533_292:                           ;   in Loop: Header=BB1533_100 Depth=2
	v_lshlrev_b32_e32 v4, 2, v131
	v_mov_b32_e32 v7, v3
	ds_read_b32 v6, v4
	v_add_nc_u32_e32 v4, v0, v77
	ds_read_b64 v[4:5], v4 offset:2560
	s_waitcnt lgkmcnt(1)
	v_add_nc_u32_e32 v6, v6, v46
	v_lshlrev_b64 v[6:7], 3, v[6:7]
	v_add_co_u32 v6, s38, s52, v6
	v_add_co_ci_u32_e64 v7, null, s53, v7, s38
	s_waitcnt lgkmcnt(0)
	global_store_dwordx2 v[6:7], v[4:5], off
	s_or_b32 exec_lo, exec_lo, s39
	s_and_saveexec_b32 s38, s37
	s_cbranch_execz .LBB1533_225
.LBB1533_293:                           ;   in Loop: Header=BB1533_100 Depth=2
	v_lshlrev_b32_e32 v4, 2, v130
	v_mov_b32_e32 v7, v3
	ds_read_b32 v6, v4
	v_add_nc_u32_e32 v4, v0, v77
	ds_read_b64 v[4:5], v4 offset:4608
	s_waitcnt lgkmcnt(1)
	v_add_nc_u32_e32 v6, v6, v49
	v_lshlrev_b64 v[6:7], 3, v[6:7]
	v_add_co_u32 v6, s37, s52, v6
	v_add_co_ci_u32_e64 v7, null, s53, v7, s37
	s_waitcnt lgkmcnt(0)
	global_store_dwordx2 v[6:7], v[4:5], off
	s_or_b32 exec_lo, exec_lo, s38
	s_and_saveexec_b32 s37, s36
	s_cbranch_execz .LBB1533_226
.LBB1533_294:                           ;   in Loop: Header=BB1533_100 Depth=2
	v_lshlrev_b32_e32 v4, 2, v129
	v_mov_b32_e32 v7, v3
	ds_read_b32 v6, v4
	v_add_nc_u32_e32 v4, v0, v77
	ds_read_b64 v[4:5], v4 offset:6656
	s_waitcnt lgkmcnt(1)
	v_add_nc_u32_e32 v6, v6, v50
	v_lshlrev_b64 v[6:7], 3, v[6:7]
	v_add_co_u32 v6, s36, s52, v6
	v_add_co_ci_u32_e64 v7, null, s53, v7, s36
	s_waitcnt lgkmcnt(0)
	global_store_dwordx2 v[6:7], v[4:5], off
	s_or_b32 exec_lo, exec_lo, s37
	s_and_saveexec_b32 s36, s35
	s_cbranch_execz .LBB1533_227
.LBB1533_295:                           ;   in Loop: Header=BB1533_100 Depth=2
	v_lshlrev_b32_e32 v4, 2, v128
	v_mov_b32_e32 v7, v3
	ds_read_b32 v6, v4
	v_add_nc_u32_e32 v4, v0, v77
	ds_read_b64 v[4:5], v4 offset:8704
	s_waitcnt lgkmcnt(1)
	v_add_nc_u32_e32 v6, v6, v51
	v_lshlrev_b64 v[6:7], 3, v[6:7]
	v_add_co_u32 v6, s35, s52, v6
	v_add_co_ci_u32_e64 v7, null, s53, v7, s35
	s_waitcnt lgkmcnt(0)
	global_store_dwordx2 v[6:7], v[4:5], off
	s_or_b32 exec_lo, exec_lo, s36
	s_and_saveexec_b32 s35, s34
	s_cbranch_execz .LBB1533_228
.LBB1533_296:                           ;   in Loop: Header=BB1533_100 Depth=2
	v_lshlrev_b32_e32 v4, 2, v127
	v_mov_b32_e32 v7, v3
	ds_read_b32 v6, v4
	v_add_nc_u32_e32 v4, v0, v77
	ds_read_b64 v[4:5], v4 offset:10752
	s_waitcnt lgkmcnt(1)
	v_add_nc_u32_e32 v6, v6, v52
	v_lshlrev_b64 v[6:7], 3, v[6:7]
	v_add_co_u32 v6, s34, s52, v6
	v_add_co_ci_u32_e64 v7, null, s53, v7, s34
	s_waitcnt lgkmcnt(0)
	global_store_dwordx2 v[6:7], v[4:5], off
	s_or_b32 exec_lo, exec_lo, s35
	s_and_saveexec_b32 s34, s33
	s_cbranch_execz .LBB1533_229
.LBB1533_297:                           ;   in Loop: Header=BB1533_100 Depth=2
	v_lshlrev_b32_e32 v4, 2, v126
	v_mov_b32_e32 v7, v3
	ds_read_b32 v6, v4
	v_add_nc_u32_e32 v4, v0, v77
	ds_read_b64 v[4:5], v4 offset:12800
	s_waitcnt lgkmcnt(1)
	v_add_nc_u32_e32 v6, v6, v53
	v_lshlrev_b64 v[6:7], 3, v[6:7]
	v_add_co_u32 v6, s33, s52, v6
	v_add_co_ci_u32_e64 v7, null, s53, v7, s33
	s_waitcnt lgkmcnt(0)
	global_store_dwordx2 v[6:7], v[4:5], off
	s_or_b32 exec_lo, exec_lo, s34
	s_and_saveexec_b32 s33, s31
	s_cbranch_execz .LBB1533_230
.LBB1533_298:                           ;   in Loop: Header=BB1533_100 Depth=2
	v_lshlrev_b32_e32 v4, 2, v125
	v_mov_b32_e32 v7, v3
	ds_read_b32 v6, v4
	v_add_nc_u32_e32 v4, v0, v77
	ds_read_b64 v[4:5], v4 offset:14848
	s_waitcnt lgkmcnt(1)
	v_add_nc_u32_e32 v6, v6, v54
	v_lshlrev_b64 v[6:7], 3, v[6:7]
	v_add_co_u32 v6, s31, s52, v6
	v_add_co_ci_u32_e64 v7, null, s53, v7, s31
	s_waitcnt lgkmcnt(0)
	global_store_dwordx2 v[6:7], v[4:5], off
	s_or_b32 exec_lo, exec_lo, s33
	s_and_saveexec_b32 s31, s30
	s_cbranch_execz .LBB1533_231
.LBB1533_299:                           ;   in Loop: Header=BB1533_100 Depth=2
	v_lshlrev_b32_e32 v4, 2, v124
	v_mov_b32_e32 v7, v3
	ds_read_b32 v6, v4
	v_add_nc_u32_e32 v4, v0, v77
	ds_read_b64 v[4:5], v4 offset:16896
	s_waitcnt lgkmcnt(1)
	v_add_nc_u32_e32 v6, v6, v55
	v_lshlrev_b64 v[6:7], 3, v[6:7]
	v_add_co_u32 v6, s30, s52, v6
	v_add_co_ci_u32_e64 v7, null, s53, v7, s30
	s_waitcnt lgkmcnt(0)
	global_store_dwordx2 v[6:7], v[4:5], off
	s_or_b32 exec_lo, exec_lo, s31
	s_and_saveexec_b32 s30, s29
	s_cbranch_execz .LBB1533_232
.LBB1533_300:                           ;   in Loop: Header=BB1533_100 Depth=2
	v_lshlrev_b32_e32 v4, 2, v123
	v_mov_b32_e32 v7, v3
	ds_read_b32 v6, v4
	v_add_nc_u32_e32 v4, v0, v77
	ds_read_b64 v[4:5], v4 offset:18944
	s_waitcnt lgkmcnt(1)
	v_add_nc_u32_e32 v6, v6, v56
	v_lshlrev_b64 v[6:7], 3, v[6:7]
	v_add_co_u32 v6, s29, s52, v6
	v_add_co_ci_u32_e64 v7, null, s53, v7, s29
	s_waitcnt lgkmcnt(0)
	global_store_dwordx2 v[6:7], v[4:5], off
	s_or_b32 exec_lo, exec_lo, s30
	s_and_saveexec_b32 s29, s27
	s_cbranch_execz .LBB1533_233
.LBB1533_301:                           ;   in Loop: Header=BB1533_100 Depth=2
	v_lshlrev_b32_e32 v4, 2, v122
	v_mov_b32_e32 v7, v3
	ds_read_b32 v6, v4
	v_add_nc_u32_e32 v4, v0, v77
	ds_read_b64 v[4:5], v4 offset:20992
	s_waitcnt lgkmcnt(1)
	v_add_nc_u32_e32 v6, v6, v57
	v_lshlrev_b64 v[6:7], 3, v[6:7]
	v_add_co_u32 v6, s27, s52, v6
	v_add_co_ci_u32_e64 v7, null, s53, v7, s27
	s_waitcnt lgkmcnt(0)
	global_store_dwordx2 v[6:7], v[4:5], off
	s_or_b32 exec_lo, exec_lo, s29
	s_and_saveexec_b32 s27, s26
	s_cbranch_execz .LBB1533_234
.LBB1533_302:                           ;   in Loop: Header=BB1533_100 Depth=2
	v_lshlrev_b32_e32 v4, 2, v121
	v_mov_b32_e32 v7, v3
	ds_read_b32 v6, v4
	v_add_nc_u32_e32 v4, v0, v77
	ds_read_b64 v[4:5], v4 offset:23040
	s_waitcnt lgkmcnt(1)
	v_add_nc_u32_e32 v6, v6, v58
	v_lshlrev_b64 v[6:7], 3, v[6:7]
	v_add_co_u32 v6, s26, s52, v6
	v_add_co_ci_u32_e64 v7, null, s53, v7, s26
	s_waitcnt lgkmcnt(0)
	global_store_dwordx2 v[6:7], v[4:5], off
	s_or_b32 exec_lo, exec_lo, s27
	s_and_saveexec_b32 s26, s25
	s_cbranch_execz .LBB1533_235
.LBB1533_303:                           ;   in Loop: Header=BB1533_100 Depth=2
	v_lshlrev_b32_e32 v4, 2, v120
	v_mov_b32_e32 v7, v3
	ds_read_b32 v6, v4
	v_add_nc_u32_e32 v4, v0, v77
	ds_read_b64 v[4:5], v4 offset:25088
	s_waitcnt lgkmcnt(1)
	v_add_nc_u32_e32 v6, v6, v59
	v_lshlrev_b64 v[6:7], 3, v[6:7]
	v_add_co_u32 v6, s25, s52, v6
	v_add_co_ci_u32_e64 v7, null, s53, v7, s25
	s_waitcnt lgkmcnt(0)
	global_store_dwordx2 v[6:7], v[4:5], off
	s_or_b32 exec_lo, exec_lo, s26
	s_and_saveexec_b32 s25, s24
	s_cbranch_execz .LBB1533_236
.LBB1533_304:                           ;   in Loop: Header=BB1533_100 Depth=2
	v_lshlrev_b32_e32 v4, 2, v119
	v_mov_b32_e32 v7, v3
	ds_read_b32 v6, v4
	v_add_nc_u32_e32 v4, v0, v77
	ds_read_b64 v[4:5], v4 offset:27136
	s_waitcnt lgkmcnt(1)
	v_add_nc_u32_e32 v6, v6, v60
	v_lshlrev_b64 v[6:7], 3, v[6:7]
	v_add_co_u32 v6, s24, s52, v6
	v_add_co_ci_u32_e64 v7, null, s53, v7, s24
	s_waitcnt lgkmcnt(0)
	global_store_dwordx2 v[6:7], v[4:5], off
	s_or_b32 exec_lo, exec_lo, s25
	s_and_saveexec_b32 s24, s23
	s_cbranch_execz .LBB1533_237
.LBB1533_305:                           ;   in Loop: Header=BB1533_100 Depth=2
	v_lshlrev_b32_e32 v4, 2, v118
	v_mov_b32_e32 v7, v3
	ds_read_b32 v6, v4
	v_add_nc_u32_e32 v4, v0, v77
	ds_read_b64 v[4:5], v4 offset:29184
	s_waitcnt lgkmcnt(1)
	v_add_nc_u32_e32 v6, v6, v61
	v_lshlrev_b64 v[6:7], 3, v[6:7]
	v_add_co_u32 v6, s23, s52, v6
	v_add_co_ci_u32_e64 v7, null, s53, v7, s23
	s_waitcnt lgkmcnt(0)
	global_store_dwordx2 v[6:7], v[4:5], off
	s_or_b32 exec_lo, exec_lo, s24
	s_and_saveexec_b32 s23, s22
	s_cbranch_execz .LBB1533_238
.LBB1533_306:                           ;   in Loop: Header=BB1533_100 Depth=2
	v_lshlrev_b32_e32 v4, 2, v117
	v_mov_b32_e32 v7, v3
	ds_read_b32 v6, v4
	v_add_nc_u32_e32 v4, v0, v77
	ds_read_b64 v[4:5], v4 offset:31232
	s_waitcnt lgkmcnt(1)
	v_add_nc_u32_e32 v6, v6, v62
	v_lshlrev_b64 v[6:7], 3, v[6:7]
	v_add_co_u32 v6, s22, s52, v6
	v_add_co_ci_u32_e64 v7, null, s53, v7, s22
	s_waitcnt lgkmcnt(0)
	global_store_dwordx2 v[6:7], v[4:5], off
	s_or_b32 exec_lo, exec_lo, s23
	s_and_saveexec_b32 s22, vcc_lo
	s_cbranch_execnz .LBB1533_239
	s_branch .LBB1533_240
.LBB1533_307:                           ;   in Loop: Header=BB1533_100 Depth=2
	global_load_ubyte v4, v[43:44], off
	v_mov_b32_e32 v5, v3
	v_mov_b32_e32 v6, v3
	;; [unrolled: 1-line block ×4, first 2 shown]
	s_or_b32 exec_lo, exec_lo, s22
	s_mov_b32 s22, exec_lo
	v_cmpx_gt_u32_e64 s63, v99
	s_cbranch_execz .LBB1533_105
.LBB1533_308:                           ;   in Loop: Header=BB1533_100 Depth=2
	global_load_ubyte v135, v[43:44], off offset:32
	v_and_b32_e32 v8, 0xff, v8
	s_waitcnt vmcnt(0)
	v_perm_b32 v4, v4, v135, 0x7060004
	s_or_b32 exec_lo, exec_lo, s22
	s_mov_b32 s22, exec_lo
	v_cmpx_gt_u32_e64 s63, v100
	s_cbranch_execz .LBB1533_106
.LBB1533_309:                           ;   in Loop: Header=BB1533_100 Depth=2
	global_load_ubyte v135, v[43:44], off offset:64
	v_and_b32_e32 v8, 0xff, v8
	s_waitcnt vmcnt(0)
	v_perm_b32 v4, v4, v135, 0x7000504
	s_or_b32 exec_lo, exec_lo, s22
	s_mov_b32 s22, exec_lo
	v_cmpx_gt_u32_e64 s63, v101
	s_cbranch_execz .LBB1533_107
.LBB1533_310:                           ;   in Loop: Header=BB1533_100 Depth=2
	global_load_ubyte v135, v[43:44], off offset:96
	v_and_b32_e32 v8, 0xff, v8
	s_waitcnt vmcnt(0)
	v_perm_b32 v4, v4, v135, 0x60504
	s_or_b32 exec_lo, exec_lo, s22
	s_mov_b32 s22, exec_lo
	v_cmpx_gt_u32_e64 s63, v102
	s_cbranch_execz .LBB1533_108
.LBB1533_311:                           ;   in Loop: Header=BB1533_100 Depth=2
	global_load_ubyte v135, v[43:44], off offset:128
	v_and_b32_e32 v8, 0xff, v8
	s_waitcnt vmcnt(0)
	v_perm_b32 v5, v135, v5, 0x3020104
	s_or_b32 exec_lo, exec_lo, s22
	s_mov_b32 s22, exec_lo
	v_cmpx_gt_u32_e64 s63, v103
	s_cbranch_execz .LBB1533_109
.LBB1533_312:                           ;   in Loop: Header=BB1533_100 Depth=2
	global_load_ubyte v135, v[43:44], off offset:160
	v_and_b32_e32 v8, 0xff, v8
	s_waitcnt vmcnt(0)
	v_perm_b32 v5, v5, v135, 0x7060004
	s_or_b32 exec_lo, exec_lo, s22
	s_mov_b32 s22, exec_lo
	v_cmpx_gt_u32_e64 s63, v104
	s_cbranch_execz .LBB1533_110
.LBB1533_313:                           ;   in Loop: Header=BB1533_100 Depth=2
	global_load_ubyte v135, v[43:44], off offset:192
	v_and_b32_e32 v8, 0xff, v8
	s_waitcnt vmcnt(0)
	v_perm_b32 v5, v5, v135, 0x7000504
	s_or_b32 exec_lo, exec_lo, s22
	s_mov_b32 s22, exec_lo
	v_cmpx_gt_u32_e64 s63, v105
	s_cbranch_execz .LBB1533_111
.LBB1533_314:                           ;   in Loop: Header=BB1533_100 Depth=2
	global_load_ubyte v135, v[43:44], off offset:224
	v_and_b32_e32 v8, 0xff, v8
	s_waitcnt vmcnt(0)
	v_perm_b32 v5, v5, v135, 0x60504
	s_or_b32 exec_lo, exec_lo, s22
	s_mov_b32 s22, exec_lo
	v_cmpx_gt_u32_e64 s63, v106
	s_cbranch_execz .LBB1533_112
.LBB1533_315:                           ;   in Loop: Header=BB1533_100 Depth=2
	global_load_ubyte v135, v[43:44], off offset:256
	v_and_b32_e32 v8, 0xff, v8
	s_waitcnt vmcnt(0)
	v_perm_b32 v6, v135, v6, 0x3020104
	s_or_b32 exec_lo, exec_lo, s22
	s_mov_b32 s22, exec_lo
	v_cmpx_gt_u32_e64 s63, v107
	s_cbranch_execz .LBB1533_113
.LBB1533_316:                           ;   in Loop: Header=BB1533_100 Depth=2
	global_load_ubyte v135, v[43:44], off offset:288
	v_and_b32_e32 v8, 0xff, v8
	s_waitcnt vmcnt(0)
	v_perm_b32 v6, v6, v135, 0x7060004
	s_or_b32 exec_lo, exec_lo, s22
	s_mov_b32 s22, exec_lo
	v_cmpx_gt_u32_e64 s63, v108
	s_cbranch_execz .LBB1533_114
.LBB1533_317:                           ;   in Loop: Header=BB1533_100 Depth=2
	global_load_ubyte v135, v[43:44], off offset:320
	v_and_b32_e32 v8, 0xff, v8
	s_waitcnt vmcnt(0)
	v_perm_b32 v6, v6, v135, 0x7000504
	s_or_b32 exec_lo, exec_lo, s22
	s_mov_b32 s22, exec_lo
	v_cmpx_gt_u32_e64 s63, v109
	s_cbranch_execz .LBB1533_115
.LBB1533_318:                           ;   in Loop: Header=BB1533_100 Depth=2
	global_load_ubyte v135, v[43:44], off offset:352
	v_and_b32_e32 v8, 0xff, v8
	s_waitcnt vmcnt(0)
	v_perm_b32 v6, v6, v135, 0x60504
	s_or_b32 exec_lo, exec_lo, s22
	s_mov_b32 s22, exec_lo
	v_cmpx_gt_u32_e64 s63, v110
	s_cbranch_execz .LBB1533_116
.LBB1533_319:                           ;   in Loop: Header=BB1533_100 Depth=2
	global_load_ubyte v135, v[43:44], off offset:384
	v_and_b32_e32 v8, 0xff, v8
	s_waitcnt vmcnt(0)
	v_perm_b32 v7, v135, v7, 0x3020104
	s_or_b32 exec_lo, exec_lo, s22
	s_mov_b32 s22, exec_lo
	v_cmpx_gt_u32_e64 s63, v111
	s_cbranch_execz .LBB1533_117
.LBB1533_320:                           ;   in Loop: Header=BB1533_100 Depth=2
	global_load_ubyte v135, v[43:44], off offset:416
	v_and_b32_e32 v8, 0xff, v8
	s_waitcnt vmcnt(0)
	v_perm_b32 v7, v7, v135, 0x7060004
	s_or_b32 exec_lo, exec_lo, s22
	s_mov_b32 s22, exec_lo
	v_cmpx_gt_u32_e64 s63, v112
	s_cbranch_execz .LBB1533_118
.LBB1533_321:                           ;   in Loop: Header=BB1533_100 Depth=2
	global_load_ubyte v135, v[43:44], off offset:448
	v_and_b32_e32 v8, 0xff, v8
	s_waitcnt vmcnt(0)
	v_perm_b32 v7, v7, v135, 0x7000504
	s_or_b32 exec_lo, exec_lo, s22
	s_mov_b32 s22, exec_lo
	v_cmpx_gt_u32_e64 s63, v113
	s_cbranch_execnz .LBB1533_119
	s_branch .LBB1533_120
.LBB1533_322:                           ;   in Loop: Header=BB1533_12 Depth=1
	s_waitcnt lgkmcnt(0)
	s_mov_b32 s5, 0
	s_barrier
.LBB1533_323:                           ;   in Loop: Header=BB1533_12 Depth=1
	s_and_b32 vcc_lo, exec_lo, s5
	s_cbranch_vccz .LBB1533_633
; %bb.324:                              ;   in Loop: Header=BB1533_12 Depth=1
	v_mov_b32_e32 v17, 0
	v_mov_b32_e32 v20, 0
	;; [unrolled: 1-line block ×17, first 2 shown]
	s_mov_b32 s5, s60
	s_mov_b32 s16, s58
	s_barrier
	buffer_gl0_inv
	s_branch .LBB1533_326
.LBB1533_325:                           ;   in Loop: Header=BB1533_326 Depth=2
	s_or_b32 exec_lo, exec_lo, s15
	s_addk_i32 s5, 0xef00
	s_cmp_ge_u32 s14, s59
	s_mov_b32 s16, s14
	s_cbranch_scc1 .LBB1533_398
.LBB1533_326:                           ;   Parent Loop BB1533_12 Depth=1
                                        ; =>  This Inner Loop Header: Depth=2
	s_add_i32 s14, s16, 0x1100
	s_mov_b32 s15, -1
	s_cmp_gt_u32 s14, s59
                                        ; implicit-def: $vgpr21
                                        ; implicit-def: $vgpr22
                                        ; implicit-def: $vgpr23
                                        ; implicit-def: $vgpr24
                                        ; implicit-def: $vgpr25
                                        ; implicit-def: $vgpr26
                                        ; implicit-def: $vgpr27
                                        ; implicit-def: $vgpr28
                                        ; implicit-def: $vgpr29
                                        ; implicit-def: $vgpr30
                                        ; implicit-def: $vgpr31
                                        ; implicit-def: $vgpr32
                                        ; implicit-def: $vgpr33
                                        ; implicit-def: $vgpr34
                                        ; implicit-def: $vgpr35
                                        ; implicit-def: $vgpr36
                                        ; implicit-def: $vgpr37
	s_cbranch_scc1 .LBB1533_328
; %bb.327:                              ;   in Loop: Header=BB1533_326 Depth=2
	v_add_co_u32 v38, vcc_lo, v78, s16
	v_add_co_ci_u32_e64 v39, null, 0, v79, vcc_lo
	s_mov_b32 s15, 0
	v_add_co_u32 v21, vcc_lo, 0x800, v38
	v_add_co_ci_u32_e64 v22, null, 0, v39, vcc_lo
	v_add_co_u32 v23, vcc_lo, 0x1000, v38
	v_add_co_ci_u32_e64 v24, null, 0, v39, vcc_lo
	s_clause 0x10
	global_load_ubyte v36, v[21:22], off offset:1792
	global_load_ubyte v37, v[23:24], off
	global_load_ubyte v35, v[21:22], off offset:1536
	global_load_ubyte v34, v[21:22], off offset:1280
	;; [unrolled: 1-line block ×6, first 2 shown]
	global_load_ubyte v29, v[21:22], off
	global_load_ubyte v28, v[38:39], off offset:1792
	global_load_ubyte v27, v[38:39], off offset:1536
	;; [unrolled: 1-line block ×7, first 2 shown]
	global_load_ubyte v21, v[38:39], off
.LBB1533_328:                           ;   in Loop: Header=BB1533_326 Depth=2
	s_andn2_b32 vcc_lo, exec_lo, s15
	s_movk_i32 s15, 0x1100
	s_cbranch_vccnz .LBB1533_348
; %bb.329:                              ;   in Loop: Header=BB1533_326 Depth=2
	s_add_u32 s15, s46, s16
	s_addc_u32 s16, s47, 0
	s_mov_b32 s17, exec_lo
	v_cmpx_gt_u32_e64 s5, v0
	s_cbranch_execnz .LBB1533_382
; %bb.330:                              ;   in Loop: Header=BB1533_326 Depth=2
	s_or_b32 exec_lo, exec_lo, s17
	s_mov_b32 s17, exec_lo
	v_cmpx_gt_u32_e64 s5, v46
	s_cbranch_execnz .LBB1533_383
.LBB1533_331:                           ;   in Loop: Header=BB1533_326 Depth=2
	s_or_b32 exec_lo, exec_lo, s17
	s_mov_b32 s17, exec_lo
	v_cmpx_gt_u32_e64 s5, v49
	s_cbranch_execnz .LBB1533_384
.LBB1533_332:                           ;   in Loop: Header=BB1533_326 Depth=2
	s_or_b32 exec_lo, exec_lo, s17
	s_mov_b32 s17, exec_lo
	v_cmpx_gt_u32_e64 s5, v50
	s_cbranch_execnz .LBB1533_385
.LBB1533_333:                           ;   in Loop: Header=BB1533_326 Depth=2
	s_or_b32 exec_lo, exec_lo, s17
	s_mov_b32 s17, exec_lo
	v_cmpx_gt_u32_e64 s5, v51
	s_cbranch_execnz .LBB1533_386
.LBB1533_334:                           ;   in Loop: Header=BB1533_326 Depth=2
	s_or_b32 exec_lo, exec_lo, s17
	s_mov_b32 s17, exec_lo
	v_cmpx_gt_u32_e64 s5, v52
	s_cbranch_execnz .LBB1533_387
.LBB1533_335:                           ;   in Loop: Header=BB1533_326 Depth=2
	s_or_b32 exec_lo, exec_lo, s17
	s_mov_b32 s17, exec_lo
	v_cmpx_gt_u32_e64 s5, v53
	s_cbranch_execnz .LBB1533_388
.LBB1533_336:                           ;   in Loop: Header=BB1533_326 Depth=2
	s_or_b32 exec_lo, exec_lo, s17
	s_mov_b32 s17, exec_lo
	v_cmpx_gt_u32_e64 s5, v54
	s_cbranch_execnz .LBB1533_389
.LBB1533_337:                           ;   in Loop: Header=BB1533_326 Depth=2
	s_or_b32 exec_lo, exec_lo, s17
	s_mov_b32 s17, exec_lo
	v_cmpx_gt_u32_e64 s5, v55
	s_cbranch_execnz .LBB1533_390
.LBB1533_338:                           ;   in Loop: Header=BB1533_326 Depth=2
	s_or_b32 exec_lo, exec_lo, s17
	s_mov_b32 s17, exec_lo
	v_cmpx_gt_u32_e64 s5, v56
	s_cbranch_execnz .LBB1533_391
.LBB1533_339:                           ;   in Loop: Header=BB1533_326 Depth=2
	s_or_b32 exec_lo, exec_lo, s17
	s_mov_b32 s17, exec_lo
	v_cmpx_gt_u32_e64 s5, v57
	s_cbranch_execnz .LBB1533_392
.LBB1533_340:                           ;   in Loop: Header=BB1533_326 Depth=2
	s_or_b32 exec_lo, exec_lo, s17
	s_mov_b32 s17, exec_lo
	v_cmpx_gt_u32_e64 s5, v58
	s_cbranch_execnz .LBB1533_393
.LBB1533_341:                           ;   in Loop: Header=BB1533_326 Depth=2
	s_or_b32 exec_lo, exec_lo, s17
	s_mov_b32 s17, exec_lo
	v_cmpx_gt_u32_e64 s5, v59
	s_cbranch_execnz .LBB1533_394
.LBB1533_342:                           ;   in Loop: Header=BB1533_326 Depth=2
	s_or_b32 exec_lo, exec_lo, s17
	s_mov_b32 s17, exec_lo
	v_cmpx_gt_u32_e64 s5, v60
	s_cbranch_execnz .LBB1533_395
.LBB1533_343:                           ;   in Loop: Header=BB1533_326 Depth=2
	s_or_b32 exec_lo, exec_lo, s17
	s_mov_b32 s17, exec_lo
	v_cmpx_gt_u32_e64 s5, v61
	s_cbranch_execnz .LBB1533_396
.LBB1533_344:                           ;   in Loop: Header=BB1533_326 Depth=2
	s_or_b32 exec_lo, exec_lo, s17
	s_mov_b32 s17, exec_lo
	v_cmpx_gt_u32_e64 s5, v62
	s_cbranch_execnz .LBB1533_397
.LBB1533_345:                           ;   in Loop: Header=BB1533_326 Depth=2
	s_or_b32 exec_lo, exec_lo, s17
	s_mov_b32 s17, exec_lo
	v_cmpx_gt_u32_e64 s5, v63
	s_cbranch_execz .LBB1533_347
.LBB1533_346:                           ;   in Loop: Header=BB1533_326 Depth=2
	s_waitcnt vmcnt(0)
	v_add_co_u32 v21, s15, s15, v63
	v_add_co_ci_u32_e64 v22, null, s16, 0, s15
	global_load_ubyte v4, v[21:22], off
.LBB1533_347:                           ;   in Loop: Header=BB1533_326 Depth=2
	s_or_b32 exec_lo, exec_lo, s17
	s_waitcnt vmcnt(0)
	v_mov_b32_e32 v21, v17
	v_mov_b32_e32 v22, v20
	;; [unrolled: 1-line block ×17, first 2 shown]
	s_mov_b32 s15, s5
.LBB1533_348:                           ;   in Loop: Header=BB1533_326 Depth=2
	s_waitcnt vmcnt(15)
	v_mov_b32_e32 v4, v37
	v_mov_b32_e32 v5, v36
	s_waitcnt vmcnt(14)
	v_mov_b32_e32 v6, v35
	s_waitcnt vmcnt(13)
	;; [unrolled: 2-line block ×15, first 2 shown]
	v_mov_b32_e32 v17, v21
	s_mov_b32 s16, exec_lo
	v_cmpx_gt_u32_e64 s15, v0
	s_cbranch_execnz .LBB1533_365
; %bb.349:                              ;   in Loop: Header=BB1533_326 Depth=2
	s_or_b32 exec_lo, exec_lo, s16
	s_mov_b32 s16, exec_lo
	v_cmpx_gt_u32_e64 s15, v46
	s_cbranch_execnz .LBB1533_366
.LBB1533_350:                           ;   in Loop: Header=BB1533_326 Depth=2
	s_or_b32 exec_lo, exec_lo, s16
	s_mov_b32 s16, exec_lo
	v_cmpx_gt_u32_e64 s15, v49
	s_cbranch_execnz .LBB1533_367
.LBB1533_351:                           ;   in Loop: Header=BB1533_326 Depth=2
	s_or_b32 exec_lo, exec_lo, s16
	s_mov_b32 s16, exec_lo
	v_cmpx_gt_u32_e64 s15, v50
	s_cbranch_execnz .LBB1533_368
.LBB1533_352:                           ;   in Loop: Header=BB1533_326 Depth=2
	s_or_b32 exec_lo, exec_lo, s16
	s_mov_b32 s16, exec_lo
	v_cmpx_gt_u32_e64 s15, v51
	s_cbranch_execnz .LBB1533_369
.LBB1533_353:                           ;   in Loop: Header=BB1533_326 Depth=2
	s_or_b32 exec_lo, exec_lo, s16
	s_mov_b32 s16, exec_lo
	v_cmpx_gt_u32_e64 s15, v52
	s_cbranch_execnz .LBB1533_370
.LBB1533_354:                           ;   in Loop: Header=BB1533_326 Depth=2
	s_or_b32 exec_lo, exec_lo, s16
	s_mov_b32 s16, exec_lo
	v_cmpx_gt_u32_e64 s15, v53
	s_cbranch_execnz .LBB1533_371
.LBB1533_355:                           ;   in Loop: Header=BB1533_326 Depth=2
	s_or_b32 exec_lo, exec_lo, s16
	s_mov_b32 s16, exec_lo
	v_cmpx_gt_u32_e64 s15, v54
	s_cbranch_execnz .LBB1533_372
.LBB1533_356:                           ;   in Loop: Header=BB1533_326 Depth=2
	s_or_b32 exec_lo, exec_lo, s16
	s_mov_b32 s16, exec_lo
	v_cmpx_gt_u32_e64 s15, v55
	s_cbranch_execnz .LBB1533_373
.LBB1533_357:                           ;   in Loop: Header=BB1533_326 Depth=2
	s_or_b32 exec_lo, exec_lo, s16
	s_mov_b32 s16, exec_lo
	v_cmpx_gt_u32_e64 s15, v56
	s_cbranch_execnz .LBB1533_374
.LBB1533_358:                           ;   in Loop: Header=BB1533_326 Depth=2
	s_or_b32 exec_lo, exec_lo, s16
	s_mov_b32 s16, exec_lo
	v_cmpx_gt_u32_e64 s15, v57
	s_cbranch_execnz .LBB1533_375
.LBB1533_359:                           ;   in Loop: Header=BB1533_326 Depth=2
	s_or_b32 exec_lo, exec_lo, s16
	s_mov_b32 s16, exec_lo
	v_cmpx_gt_u32_e64 s15, v58
	s_cbranch_execnz .LBB1533_376
.LBB1533_360:                           ;   in Loop: Header=BB1533_326 Depth=2
	s_or_b32 exec_lo, exec_lo, s16
	s_mov_b32 s16, exec_lo
	v_cmpx_gt_u32_e64 s15, v59
	s_cbranch_execnz .LBB1533_377
.LBB1533_361:                           ;   in Loop: Header=BB1533_326 Depth=2
	s_or_b32 exec_lo, exec_lo, s16
	s_mov_b32 s16, exec_lo
	v_cmpx_gt_u32_e64 s15, v60
	s_cbranch_execnz .LBB1533_378
.LBB1533_362:                           ;   in Loop: Header=BB1533_326 Depth=2
	s_or_b32 exec_lo, exec_lo, s16
	s_mov_b32 s16, exec_lo
	v_cmpx_gt_u32_e64 s15, v61
	s_cbranch_execnz .LBB1533_379
.LBB1533_363:                           ;   in Loop: Header=BB1533_326 Depth=2
	s_or_b32 exec_lo, exec_lo, s16
	s_mov_b32 s16, exec_lo
	v_cmpx_gt_u32_e64 s15, v62
	s_cbranch_execnz .LBB1533_380
.LBB1533_364:                           ;   in Loop: Header=BB1533_326 Depth=2
	s_or_b32 exec_lo, exec_lo, s16
	v_cmp_gt_u32_e32 vcc_lo, s15, v63
	s_and_saveexec_b32 s15, vcc_lo
	s_cbranch_execz .LBB1533_325
	s_branch .LBB1533_381
.LBB1533_365:                           ;   in Loop: Header=BB1533_326 Depth=2
	v_xor_b32_e32 v21, -1, v17
	v_and_b32_e32 v21, 1, v21
	v_lshrrev_b32_sdwa v21, s61, v21 dst_sel:DWORD dst_unused:UNUSED_PAD src0_sel:DWORD src1_sel:WORD_0
	v_and_b32_e32 v21, s62, v21
	v_lshl_or_b32 v21, v21, 4, v65
	ds_add_u32 v21, v91
	s_or_b32 exec_lo, exec_lo, s16
	s_mov_b32 s16, exec_lo
	v_cmpx_gt_u32_e64 s15, v46
	s_cbranch_execz .LBB1533_350
.LBB1533_366:                           ;   in Loop: Header=BB1533_326 Depth=2
	v_xor_b32_e32 v21, -1, v20
	v_and_b32_e32 v21, 1, v21
	v_lshrrev_b32_sdwa v21, s61, v21 dst_sel:DWORD dst_unused:UNUSED_PAD src0_sel:DWORD src1_sel:WORD_0
	v_and_b32_e32 v21, s62, v21
	v_lshl_or_b32 v21, v21, 4, v65
	ds_add_u32 v21, v91
	s_or_b32 exec_lo, exec_lo, s16
	s_mov_b32 s16, exec_lo
	v_cmpx_gt_u32_e64 s15, v49
	s_cbranch_execz .LBB1533_351
.LBB1533_367:                           ;   in Loop: Header=BB1533_326 Depth=2
	v_xor_b32_e32 v21, -1, v19
	v_and_b32_e32 v21, 1, v21
	v_lshrrev_b32_sdwa v21, s61, v21 dst_sel:DWORD dst_unused:UNUSED_PAD src0_sel:DWORD src1_sel:WORD_0
	v_and_b32_e32 v21, s62, v21
	v_lshl_or_b32 v21, v21, 4, v65
	ds_add_u32 v21, v91
	s_or_b32 exec_lo, exec_lo, s16
	s_mov_b32 s16, exec_lo
	v_cmpx_gt_u32_e64 s15, v50
	s_cbranch_execz .LBB1533_352
.LBB1533_368:                           ;   in Loop: Header=BB1533_326 Depth=2
	v_xor_b32_e32 v21, -1, v18
	v_and_b32_e32 v21, 1, v21
	v_lshrrev_b32_sdwa v21, s61, v21 dst_sel:DWORD dst_unused:UNUSED_PAD src0_sel:DWORD src1_sel:WORD_0
	v_and_b32_e32 v21, s62, v21
	v_lshl_or_b32 v21, v21, 4, v65
	ds_add_u32 v21, v91
	s_or_b32 exec_lo, exec_lo, s16
	s_mov_b32 s16, exec_lo
	v_cmpx_gt_u32_e64 s15, v51
	s_cbranch_execz .LBB1533_353
.LBB1533_369:                           ;   in Loop: Header=BB1533_326 Depth=2
	v_xor_b32_e32 v21, -1, v16
	v_and_b32_e32 v21, 1, v21
	v_lshrrev_b32_sdwa v21, s61, v21 dst_sel:DWORD dst_unused:UNUSED_PAD src0_sel:DWORD src1_sel:WORD_0
	v_and_b32_e32 v21, s62, v21
	v_lshl_or_b32 v21, v21, 4, v65
	ds_add_u32 v21, v91
	s_or_b32 exec_lo, exec_lo, s16
	s_mov_b32 s16, exec_lo
	v_cmpx_gt_u32_e64 s15, v52
	s_cbranch_execz .LBB1533_354
.LBB1533_370:                           ;   in Loop: Header=BB1533_326 Depth=2
	v_xor_b32_e32 v21, -1, v15
	v_and_b32_e32 v21, 1, v21
	v_lshrrev_b32_sdwa v21, s61, v21 dst_sel:DWORD dst_unused:UNUSED_PAD src0_sel:DWORD src1_sel:WORD_0
	v_and_b32_e32 v21, s62, v21
	v_lshl_or_b32 v21, v21, 4, v65
	ds_add_u32 v21, v91
	s_or_b32 exec_lo, exec_lo, s16
	s_mov_b32 s16, exec_lo
	v_cmpx_gt_u32_e64 s15, v53
	s_cbranch_execz .LBB1533_355
.LBB1533_371:                           ;   in Loop: Header=BB1533_326 Depth=2
	v_xor_b32_e32 v21, -1, v14
	v_and_b32_e32 v21, 1, v21
	v_lshrrev_b32_sdwa v21, s61, v21 dst_sel:DWORD dst_unused:UNUSED_PAD src0_sel:DWORD src1_sel:WORD_0
	v_and_b32_e32 v21, s62, v21
	v_lshl_or_b32 v21, v21, 4, v65
	ds_add_u32 v21, v91
	s_or_b32 exec_lo, exec_lo, s16
	s_mov_b32 s16, exec_lo
	v_cmpx_gt_u32_e64 s15, v54
	s_cbranch_execz .LBB1533_356
.LBB1533_372:                           ;   in Loop: Header=BB1533_326 Depth=2
	v_xor_b32_e32 v21, -1, v13
	v_and_b32_e32 v21, 1, v21
	v_lshrrev_b32_sdwa v21, s61, v21 dst_sel:DWORD dst_unused:UNUSED_PAD src0_sel:DWORD src1_sel:WORD_0
	v_and_b32_e32 v21, s62, v21
	v_lshl_or_b32 v21, v21, 4, v65
	ds_add_u32 v21, v91
	s_or_b32 exec_lo, exec_lo, s16
	s_mov_b32 s16, exec_lo
	v_cmpx_gt_u32_e64 s15, v55
	s_cbranch_execz .LBB1533_357
.LBB1533_373:                           ;   in Loop: Header=BB1533_326 Depth=2
	v_xor_b32_e32 v21, -1, v12
	v_and_b32_e32 v21, 1, v21
	v_lshrrev_b32_sdwa v21, s61, v21 dst_sel:DWORD dst_unused:UNUSED_PAD src0_sel:DWORD src1_sel:WORD_0
	v_and_b32_e32 v21, s62, v21
	v_lshl_or_b32 v21, v21, 4, v65
	ds_add_u32 v21, v91
	s_or_b32 exec_lo, exec_lo, s16
	s_mov_b32 s16, exec_lo
	v_cmpx_gt_u32_e64 s15, v56
	s_cbranch_execz .LBB1533_358
.LBB1533_374:                           ;   in Loop: Header=BB1533_326 Depth=2
	v_xor_b32_e32 v21, -1, v11
	v_and_b32_e32 v21, 1, v21
	v_lshrrev_b32_sdwa v21, s61, v21 dst_sel:DWORD dst_unused:UNUSED_PAD src0_sel:DWORD src1_sel:WORD_0
	v_and_b32_e32 v21, s62, v21
	v_lshl_or_b32 v21, v21, 4, v65
	ds_add_u32 v21, v91
	s_or_b32 exec_lo, exec_lo, s16
	s_mov_b32 s16, exec_lo
	v_cmpx_gt_u32_e64 s15, v57
	s_cbranch_execz .LBB1533_359
.LBB1533_375:                           ;   in Loop: Header=BB1533_326 Depth=2
	v_xor_b32_e32 v21, -1, v10
	v_and_b32_e32 v21, 1, v21
	v_lshrrev_b32_sdwa v21, s61, v21 dst_sel:DWORD dst_unused:UNUSED_PAD src0_sel:DWORD src1_sel:WORD_0
	v_and_b32_e32 v21, s62, v21
	v_lshl_or_b32 v21, v21, 4, v65
	ds_add_u32 v21, v91
	s_or_b32 exec_lo, exec_lo, s16
	s_mov_b32 s16, exec_lo
	v_cmpx_gt_u32_e64 s15, v58
	s_cbranch_execz .LBB1533_360
.LBB1533_376:                           ;   in Loop: Header=BB1533_326 Depth=2
	v_xor_b32_e32 v21, -1, v9
	v_and_b32_e32 v21, 1, v21
	v_lshrrev_b32_sdwa v21, s61, v21 dst_sel:DWORD dst_unused:UNUSED_PAD src0_sel:DWORD src1_sel:WORD_0
	v_and_b32_e32 v21, s62, v21
	v_lshl_or_b32 v21, v21, 4, v65
	ds_add_u32 v21, v91
	s_or_b32 exec_lo, exec_lo, s16
	s_mov_b32 s16, exec_lo
	v_cmpx_gt_u32_e64 s15, v59
	s_cbranch_execz .LBB1533_361
.LBB1533_377:                           ;   in Loop: Header=BB1533_326 Depth=2
	v_xor_b32_e32 v21, -1, v8
	v_and_b32_e32 v21, 1, v21
	v_lshrrev_b32_sdwa v21, s61, v21 dst_sel:DWORD dst_unused:UNUSED_PAD src0_sel:DWORD src1_sel:WORD_0
	v_and_b32_e32 v21, s62, v21
	v_lshl_or_b32 v21, v21, 4, v65
	ds_add_u32 v21, v91
	s_or_b32 exec_lo, exec_lo, s16
	s_mov_b32 s16, exec_lo
	v_cmpx_gt_u32_e64 s15, v60
	s_cbranch_execz .LBB1533_362
.LBB1533_378:                           ;   in Loop: Header=BB1533_326 Depth=2
	v_xor_b32_e32 v21, -1, v7
	v_and_b32_e32 v21, 1, v21
	v_lshrrev_b32_sdwa v21, s61, v21 dst_sel:DWORD dst_unused:UNUSED_PAD src0_sel:DWORD src1_sel:WORD_0
	v_and_b32_e32 v21, s62, v21
	v_lshl_or_b32 v21, v21, 4, v65
	ds_add_u32 v21, v91
	s_or_b32 exec_lo, exec_lo, s16
	s_mov_b32 s16, exec_lo
	v_cmpx_gt_u32_e64 s15, v61
	s_cbranch_execz .LBB1533_363
.LBB1533_379:                           ;   in Loop: Header=BB1533_326 Depth=2
	v_xor_b32_e32 v21, -1, v6
	v_and_b32_e32 v21, 1, v21
	v_lshrrev_b32_sdwa v21, s61, v21 dst_sel:DWORD dst_unused:UNUSED_PAD src0_sel:DWORD src1_sel:WORD_0
	v_and_b32_e32 v21, s62, v21
	v_lshl_or_b32 v21, v21, 4, v65
	ds_add_u32 v21, v91
	s_or_b32 exec_lo, exec_lo, s16
	s_mov_b32 s16, exec_lo
	v_cmpx_gt_u32_e64 s15, v62
	s_cbranch_execz .LBB1533_364
.LBB1533_380:                           ;   in Loop: Header=BB1533_326 Depth=2
	v_xor_b32_e32 v21, -1, v5
	v_and_b32_e32 v21, 1, v21
	v_lshrrev_b32_sdwa v21, s61, v21 dst_sel:DWORD dst_unused:UNUSED_PAD src0_sel:DWORD src1_sel:WORD_0
	v_and_b32_e32 v21, s62, v21
	v_lshl_or_b32 v21, v21, 4, v65
	ds_add_u32 v21, v91
	s_or_b32 exec_lo, exec_lo, s16
	v_cmp_gt_u32_e32 vcc_lo, s15, v63
	s_and_saveexec_b32 s15, vcc_lo
	s_cbranch_execz .LBB1533_325
.LBB1533_381:                           ;   in Loop: Header=BB1533_326 Depth=2
	v_xor_b32_e32 v21, -1, v4
	v_and_b32_e32 v21, 1, v21
	v_lshrrev_b32_sdwa v21, s61, v21 dst_sel:DWORD dst_unused:UNUSED_PAD src0_sel:DWORD src1_sel:WORD_0
	v_and_b32_e32 v21, s62, v21
	v_lshl_or_b32 v21, v21, 4, v65
	ds_add_u32 v21, v91
	s_branch .LBB1533_325
.LBB1533_382:                           ;   in Loop: Header=BB1533_326 Depth=2
	s_waitcnt vmcnt(0)
	v_add_co_u32 v21, s18, s15, v0
	v_add_co_ci_u32_e64 v22, null, s16, 0, s18
	global_load_ubyte v17, v[21:22], off
	s_or_b32 exec_lo, exec_lo, s17
	s_mov_b32 s17, exec_lo
	v_cmpx_gt_u32_e64 s5, v46
	s_cbranch_execz .LBB1533_331
.LBB1533_383:                           ;   in Loop: Header=BB1533_326 Depth=2
	v_add_co_u32 v20, s18, s15, v0
	s_waitcnt vmcnt(0)
	v_add_co_ci_u32_e64 v21, null, s16, 0, s18
	global_load_ubyte v20, v[20:21], off offset:256
	s_or_b32 exec_lo, exec_lo, s17
	s_mov_b32 s17, exec_lo
	v_cmpx_gt_u32_e64 s5, v49
	s_cbranch_execz .LBB1533_332
.LBB1533_384:                           ;   in Loop: Header=BB1533_326 Depth=2
	s_waitcnt vmcnt(0)
	v_add_co_u32 v21, s18, s15, v0
	v_add_co_ci_u32_e64 v22, null, s16, 0, s18
	global_load_ubyte v19, v[21:22], off offset:512
	s_or_b32 exec_lo, exec_lo, s17
	s_mov_b32 s17, exec_lo
	v_cmpx_gt_u32_e64 s5, v50
	s_cbranch_execz .LBB1533_333
.LBB1533_385:                           ;   in Loop: Header=BB1533_326 Depth=2
	s_waitcnt vmcnt(0)
	v_add_co_u32 v21, s18, s15, v0
	v_add_co_ci_u32_e64 v22, null, s16, 0, s18
	global_load_ubyte v18, v[21:22], off offset:768
	s_or_b32 exec_lo, exec_lo, s17
	s_mov_b32 s17, exec_lo
	v_cmpx_gt_u32_e64 s5, v51
	s_cbranch_execz .LBB1533_334
.LBB1533_386:                           ;   in Loop: Header=BB1533_326 Depth=2
	s_waitcnt vmcnt(0)
	v_add_co_u32 v21, s18, s15, v0
	v_add_co_ci_u32_e64 v22, null, s16, 0, s18
	global_load_ubyte v16, v[21:22], off offset:1024
	s_or_b32 exec_lo, exec_lo, s17
	s_mov_b32 s17, exec_lo
	v_cmpx_gt_u32_e64 s5, v52
	s_cbranch_execz .LBB1533_335
.LBB1533_387:                           ;   in Loop: Header=BB1533_326 Depth=2
	s_waitcnt vmcnt(0)
	v_add_co_u32 v21, s18, s15, v0
	v_add_co_ci_u32_e64 v22, null, s16, 0, s18
	global_load_ubyte v15, v[21:22], off offset:1280
	s_or_b32 exec_lo, exec_lo, s17
	s_mov_b32 s17, exec_lo
	v_cmpx_gt_u32_e64 s5, v53
	s_cbranch_execz .LBB1533_336
.LBB1533_388:                           ;   in Loop: Header=BB1533_326 Depth=2
	s_waitcnt vmcnt(0)
	v_add_co_u32 v21, s18, s15, v0
	v_add_co_ci_u32_e64 v22, null, s16, 0, s18
	global_load_ubyte v14, v[21:22], off offset:1536
	s_or_b32 exec_lo, exec_lo, s17
	s_mov_b32 s17, exec_lo
	v_cmpx_gt_u32_e64 s5, v54
	s_cbranch_execz .LBB1533_337
.LBB1533_389:                           ;   in Loop: Header=BB1533_326 Depth=2
	s_waitcnt vmcnt(0)
	v_add_co_u32 v21, s18, s15, v0
	v_add_co_ci_u32_e64 v22, null, s16, 0, s18
	global_load_ubyte v13, v[21:22], off offset:1792
	s_or_b32 exec_lo, exec_lo, s17
	s_mov_b32 s17, exec_lo
	v_cmpx_gt_u32_e64 s5, v55
	s_cbranch_execz .LBB1533_338
.LBB1533_390:                           ;   in Loop: Header=BB1533_326 Depth=2
	s_waitcnt vmcnt(0)
	v_add_co_u32 v21, s18, s15, v55
	v_add_co_ci_u32_e64 v22, null, s16, 0, s18
	global_load_ubyte v12, v[21:22], off
	s_or_b32 exec_lo, exec_lo, s17
	s_mov_b32 s17, exec_lo
	v_cmpx_gt_u32_e64 s5, v56
	s_cbranch_execz .LBB1533_339
.LBB1533_391:                           ;   in Loop: Header=BB1533_326 Depth=2
	s_waitcnt vmcnt(0)
	v_add_co_u32 v21, s18, s15, v56
	v_add_co_ci_u32_e64 v22, null, s16, 0, s18
	global_load_ubyte v11, v[21:22], off
	s_or_b32 exec_lo, exec_lo, s17
	s_mov_b32 s17, exec_lo
	v_cmpx_gt_u32_e64 s5, v57
	s_cbranch_execz .LBB1533_340
.LBB1533_392:                           ;   in Loop: Header=BB1533_326 Depth=2
	s_waitcnt vmcnt(0)
	v_add_co_u32 v21, s18, s15, v57
	v_add_co_ci_u32_e64 v22, null, s16, 0, s18
	global_load_ubyte v10, v[21:22], off
	s_or_b32 exec_lo, exec_lo, s17
	s_mov_b32 s17, exec_lo
	v_cmpx_gt_u32_e64 s5, v58
	s_cbranch_execz .LBB1533_341
.LBB1533_393:                           ;   in Loop: Header=BB1533_326 Depth=2
	s_waitcnt vmcnt(0)
	v_add_co_u32 v21, s18, s15, v58
	v_add_co_ci_u32_e64 v22, null, s16, 0, s18
	global_load_ubyte v9, v[21:22], off
	s_or_b32 exec_lo, exec_lo, s17
	s_mov_b32 s17, exec_lo
	v_cmpx_gt_u32_e64 s5, v59
	s_cbranch_execz .LBB1533_342
.LBB1533_394:                           ;   in Loop: Header=BB1533_326 Depth=2
	s_waitcnt vmcnt(0)
	v_add_co_u32 v21, s18, s15, v59
	v_add_co_ci_u32_e64 v22, null, s16, 0, s18
	global_load_ubyte v8, v[21:22], off
	s_or_b32 exec_lo, exec_lo, s17
	s_mov_b32 s17, exec_lo
	v_cmpx_gt_u32_e64 s5, v60
	s_cbranch_execz .LBB1533_343
.LBB1533_395:                           ;   in Loop: Header=BB1533_326 Depth=2
	s_waitcnt vmcnt(0)
	v_add_co_u32 v21, s18, s15, v60
	v_add_co_ci_u32_e64 v22, null, s16, 0, s18
	global_load_ubyte v7, v[21:22], off
	s_or_b32 exec_lo, exec_lo, s17
	s_mov_b32 s17, exec_lo
	v_cmpx_gt_u32_e64 s5, v61
	s_cbranch_execz .LBB1533_344
.LBB1533_396:                           ;   in Loop: Header=BB1533_326 Depth=2
	s_waitcnt vmcnt(0)
	v_add_co_u32 v21, s18, s15, v61
	v_add_co_ci_u32_e64 v22, null, s16, 0, s18
	global_load_ubyte v6, v[21:22], off
	s_or_b32 exec_lo, exec_lo, s17
	s_mov_b32 s17, exec_lo
	v_cmpx_gt_u32_e64 s5, v62
	s_cbranch_execz .LBB1533_345
.LBB1533_397:                           ;   in Loop: Header=BB1533_326 Depth=2
	s_waitcnt vmcnt(0)
	v_add_co_u32 v21, s18, s15, v62
	v_add_co_ci_u32_e64 v22, null, s16, 0, s18
	global_load_ubyte v5, v[21:22], off
	s_or_b32 exec_lo, exec_lo, s17
	s_mov_b32 s17, exec_lo
	v_cmpx_gt_u32_e64 s5, v63
	s_cbranch_execnz .LBB1533_346
	s_branch .LBB1533_347
.LBB1533_398:                           ;   in Loop: Header=BB1533_12 Depth=1
	v_mov_b32_e32 v4, 0
	s_waitcnt lgkmcnt(0)
	s_barrier
	buffer_gl0_inv
	s_and_saveexec_b32 s5, s7
	s_cbranch_execz .LBB1533_400
; %bb.399:                              ;   in Loop: Header=BB1533_12 Depth=1
	ds_read2_b64 v[4:7], v66 offset1:1
	s_waitcnt lgkmcnt(0)
	v_add_nc_u32_e32 v4, v5, v4
	v_add3_u32 v4, v4, v6, v7
.LBB1533_400:                           ;   in Loop: Header=BB1533_12 Depth=1
	s_or_b32 exec_lo, exec_lo, s5
	v_and_b32_e32 v5, 15, v88
	v_mov_b32_dpp v6, v4 row_shr:1 row_mask:0xf bank_mask:0xf
	v_and_b32_e32 v7, 16, v88
	v_cmp_eq_u32_e64 s5, 0, v5
	v_cmp_lt_u32_e64 s14, 1, v5
	v_cmp_lt_u32_e64 s15, 3, v5
	;; [unrolled: 1-line block ×3, first 2 shown]
	v_cmp_eq_u32_e64 s17, 0, v7
	v_cndmask_b32_e64 v6, v6, 0, s5
	v_add_nc_u32_e32 v4, v6, v4
	v_mov_b32_dpp v6, v4 row_shr:2 row_mask:0xf bank_mask:0xf
	v_cndmask_b32_e64 v6, 0, v6, s14
	v_add_nc_u32_e32 v4, v4, v6
	v_mov_b32_dpp v6, v4 row_shr:4 row_mask:0xf bank_mask:0xf
	;; [unrolled: 3-line block ×3, first 2 shown]
	v_cndmask_b32_e64 v5, 0, v6, s16
	v_bfe_i32 v6, v88, 4, 1
	v_add_nc_u32_e32 v4, v4, v5
	ds_swizzle_b32 v5, v4 offset:swizzle(BROADCAST,32,15)
	s_waitcnt lgkmcnt(0)
	v_and_b32_e32 v5, v6, v5
	v_add_nc_u32_e32 v4, v4, v5
	s_and_saveexec_b32 s18, s8
; %bb.401:                              ;   in Loop: Header=BB1533_12 Depth=1
	ds_write_b32 v67, v4
; %bb.402:                              ;   in Loop: Header=BB1533_12 Depth=1
	s_or_b32 exec_lo, exec_lo, s18
	s_waitcnt lgkmcnt(0)
	s_barrier
	buffer_gl0_inv
	s_and_saveexec_b32 s18, s9
	s_cbranch_execz .LBB1533_404
; %bb.403:                              ;   in Loop: Header=BB1533_12 Depth=1
	ds_read_b32 v5, v68
	v_and_b32_e32 v6, 3, v88
	v_cmp_ne_u32_e32 vcc_lo, 0, v6
	s_waitcnt lgkmcnt(0)
	v_mov_b32_dpp v7, v5 row_shr:1 row_mask:0xf bank_mask:0xf
	v_cndmask_b32_e32 v7, 0, v7, vcc_lo
	v_cmp_lt_u32_e32 vcc_lo, 1, v6
	v_add_nc_u32_e32 v5, v7, v5
	v_mov_b32_dpp v7, v5 row_shr:2 row_mask:0xf bank_mask:0xf
	v_cndmask_b32_e32 v6, 0, v7, vcc_lo
	v_add_nc_u32_e32 v5, v5, v6
	ds_write_b32 v68, v5
.LBB1533_404:                           ;   in Loop: Header=BB1533_12 Depth=1
	s_or_b32 exec_lo, exec_lo, s18
	v_mov_b32_e32 v5, 0
	s_waitcnt lgkmcnt(0)
	s_barrier
	buffer_gl0_inv
	s_and_saveexec_b32 s18, s10
; %bb.405:                              ;   in Loop: Header=BB1533_12 Depth=1
	ds_read_b32 v5, v69
; %bb.406:                              ;   in Loop: Header=BB1533_12 Depth=1
	s_or_b32 exec_lo, exec_lo, s18
	v_sub_co_u32 v6, s18, v88, 1
	s_waitcnt lgkmcnt(0)
	v_add_nc_u32_e32 v4, v5, v4
	s_barrier
	v_cmp_gt_i32_e32 vcc_lo, 0, v6
	buffer_gl0_inv
	v_cndmask_b32_e32 v6, v6, v88, vcc_lo
	v_lshlrev_b32_e32 v95, 2, v6
	ds_bpermute_b32 v4, v95, v4
	s_and_saveexec_b32 s19, s7
	s_cbranch_execz .LBB1533_408
; %bb.407:                              ;   in Loop: Header=BB1533_12 Depth=1
	s_waitcnt lgkmcnt(0)
	v_cndmask_b32_e64 v4, v4, v5, s18
	v_add_nc_u32_e32 v4, s58, v4
	ds_write_b32 v45, v4
.LBB1533_408:                           ;   in Loop: Header=BB1533_12 Depth=1
	s_or_b32 exec_lo, exec_lo, s19
	s_load_dwordx2 s[20:21], s[56:57], 0x0
	v_lshlrev_b32_e32 v7, 3, v88
	v_and_b32_e32 v6, 7, v88
	v_or_b32_e32 v96, v88, v70
	v_add_co_u32 v97, vcc_lo, v82, v88
	v_add_co_ci_u32_e64 v98, null, 0, v83, vcc_lo
	v_add_co_u32 v99, vcc_lo, v80, v7
	v_add_co_ci_u32_e64 v100, null, 0, v81, vcc_lo
	v_add_nc_u32_e32 v101, 32, v96
	v_add_nc_u32_e32 v102, 64, v96
	;; [unrolled: 1-line block ×8, first 2 shown]
	s_waitcnt lgkmcnt(0)
	s_cmp_lt_u32 s28, s21
	v_add_nc_u32_e32 v109, 0x120, v96
	s_cselect_b32 s19, 14, 20
	v_add_nc_u32_e32 v110, 0x140, v96
	s_add_u32 s22, s56, s19
	s_addc_u32 s23, s57, 0
	s_cmp_lt_u32 s6, s20
	global_load_ushort v4, v3, s[22:23]
	s_cselect_b32 s19, 12, 18
	v_add_nc_u32_e32 v111, 0x160, v96
	s_add_u32 s20, s56, s19
	s_addc_u32 s21, s57, 0
	v_cmp_eq_u32_e64 s19, 0, v6
	global_load_ushort v5, v3, s[20:21]
	v_cmp_lt_u32_e64 s20, 1, v6
	v_cmp_lt_u32_e64 s21, 3, v6
	v_add_nc_u32_e32 v112, 0x180, v96
	v_add_nc_u32_e32 v113, 0x1a0, v96
	v_add_nc_u32_e32 v114, 0x1c0, v96
	v_add_nc_u32_e32 v115, 0x1e0, v96
	v_add_nc_u32_e32 v116, 0x200, v96
	v_mov_b32_e32 v8, 0
	s_mov_b32 s63, s60
	s_mov_b32 s50, s58
                                        ; implicit-def: $vgpr9_vgpr10
                                        ; implicit-def: $vgpr11_vgpr12
                                        ; implicit-def: $vgpr13_vgpr14
                                        ; implicit-def: $vgpr15_vgpr16
                                        ; implicit-def: $vgpr17_vgpr18
                                        ; implicit-def: $vgpr19_vgpr20
                                        ; implicit-def: $vgpr23_vgpr24
                                        ; implicit-def: $vgpr27_vgpr28
                                        ; implicit-def: $vgpr31_vgpr32
                                        ; implicit-def: $vgpr21_vgpr22
                                        ; implicit-def: $vgpr25_vgpr26
                                        ; implicit-def: $vgpr29_vgpr30
                                        ; implicit-def: $vgpr33_vgpr34
                                        ; implicit-def: $vgpr35_vgpr36
                                        ; implicit-def: $vgpr37_vgpr38
                                        ; implicit-def: $vgpr39_vgpr40
                                        ; implicit-def: $vgpr41_vgpr42
                                        ; implicit-def: $vgpr118
                                        ; implicit-def: $vgpr119
                                        ; implicit-def: $vgpr120
                                        ; implicit-def: $vgpr121
                                        ; implicit-def: $vgpr122
                                        ; implicit-def: $vgpr123
                                        ; implicit-def: $vgpr124
                                        ; implicit-def: $vgpr125
                                        ; implicit-def: $vgpr126
                                        ; implicit-def: $vgpr127
                                        ; implicit-def: $vgpr128
                                        ; implicit-def: $vgpr129
                                        ; implicit-def: $vgpr130
                                        ; implicit-def: $vgpr131
                                        ; implicit-def: $vgpr132
                                        ; implicit-def: $vgpr133
                                        ; implicit-def: $vgpr134
                                        ; implicit-def: $vgpr135
                                        ; implicit-def: $vgpr136
	s_waitcnt vmcnt(1)
	v_mad_u32_u24 v4, v2, v4, v1
	s_waitcnt vmcnt(0)
	v_mad_u64_u32 v[4:5], null, v4, v5, v[0:1]
	v_lshrrev_b32_e32 v4, 3, v4
	v_and_b32_e32 v117, 0x1ffffffc, v4
	s_branch .LBB1533_410
.LBB1533_409:                           ;   in Loop: Header=BB1533_410 Depth=2
	s_or_b32 exec_lo, exec_lo, s22
	s_addk_i32 s63, 0xef00
	s_cmp_lt_u32 s64, s59
	s_mov_b32 s50, s64
	s_cbranch_scc0 .LBB1533_632
.LBB1533_410:                           ;   Parent Loop BB1533_12 Depth=1
                                        ; =>  This Inner Loop Header: Depth=2
	s_add_i32 s64, s50, 0x1100
	s_cmp_gt_u32 s64, s59
	s_cbranch_scc1 .LBB1533_412
; %bb.411:                              ;   in Loop: Header=BB1533_410 Depth=2
	v_add_co_u32 v4, vcc_lo, v97, s50
	v_add_co_ci_u32_e64 v5, null, 0, v98, vcc_lo
	v_and_b32_sdwa v8, v94, v8 dst_sel:DWORD dst_unused:UNUSED_PAD src0_sel:DWORD src1_sel:BYTE_0
	s_mov_b32 s22, -1
	s_clause 0xf
	global_load_ubyte v6, v[4:5], off offset:416
	global_load_ubyte v7, v[4:5], off offset:480
	;; [unrolled: 1-line block ×14, first 2 shown]
	global_load_ubyte v147, v[4:5], off
	global_load_ubyte v4, v[4:5], off offset:96
	s_waitcnt vmcnt(12)
	v_perm_b32 v5, v44, v6, 0xc0c0004
	v_perm_b32 v6, v43, v7, 0xc0c0004
	s_waitcnt vmcnt(9)
	v_perm_b32 v44, v139, v138, 0xc0c0004
	s_waitcnt vmcnt(8)
	v_perm_b32 v43, v140, v137, 0xc0c0004
	v_lshl_or_b32 v7, v6, 16, v5
	s_waitcnt vmcnt(5)
	v_perm_b32 v138, v143, v142, 0xc0c0004
	s_waitcnt vmcnt(4)
	v_perm_b32 v137, v144, v141, 0xc0c0004
	v_lshl_or_b32 v6, v44, 16, v43
	;; [unrolled: 5-line block ×3, first 2 shown]
	v_lshl_or_b32 v4, v4, 16, v139
	s_movk_i32 s23, 0x1100
	s_cbranch_execz .LBB1533_413
	s_branch .LBB1533_431
.LBB1533_412:                           ;   in Loop: Header=BB1533_410 Depth=2
	s_mov_b32 s22, 0
                                        ; implicit-def: $vgpr4_vgpr5_vgpr6_vgpr7_vgpr8
	s_movk_i32 s23, 0x1100
.LBB1533_413:                           ;   in Loop: Header=BB1533_410 Depth=2
	v_mov_b32_e32 v7, v3
	v_mov_b32_e32 v4, v3
	v_mov_b32_e32 v5, v3
	v_mov_b32_e32 v6, v3
	v_add_co_u32 v43, vcc_lo, v97, s50
	v_mov_b32_e32 v8, v7
	v_add_co_ci_u32_e64 v44, null, 0, v98, vcc_lo
	v_mov_b32_e32 v7, v6
	v_mov_b32_e32 v6, v5
	;; [unrolled: 1-line block ×4, first 2 shown]
	s_mov_b32 s22, exec_lo
	v_cmpx_gt_u32_e64 s63, v96
	s_cbranch_execnz .LBB1533_617
; %bb.414:                              ;   in Loop: Header=BB1533_410 Depth=2
	s_or_b32 exec_lo, exec_lo, s22
	s_mov_b32 s22, exec_lo
	v_cmpx_gt_u32_e64 s63, v101
	s_cbranch_execnz .LBB1533_618
.LBB1533_415:                           ;   in Loop: Header=BB1533_410 Depth=2
	s_or_b32 exec_lo, exec_lo, s22
	s_mov_b32 s22, exec_lo
	v_cmpx_gt_u32_e64 s63, v102
	s_cbranch_execnz .LBB1533_619
.LBB1533_416:                           ;   in Loop: Header=BB1533_410 Depth=2
	s_or_b32 exec_lo, exec_lo, s22
	s_mov_b32 s22, exec_lo
	v_cmpx_gt_u32_e64 s63, v103
	s_cbranch_execnz .LBB1533_620
.LBB1533_417:                           ;   in Loop: Header=BB1533_410 Depth=2
	s_or_b32 exec_lo, exec_lo, s22
	s_mov_b32 s22, exec_lo
	v_cmpx_gt_u32_e64 s63, v104
	s_cbranch_execnz .LBB1533_621
.LBB1533_418:                           ;   in Loop: Header=BB1533_410 Depth=2
	s_or_b32 exec_lo, exec_lo, s22
	s_mov_b32 s22, exec_lo
	v_cmpx_gt_u32_e64 s63, v105
	s_cbranch_execnz .LBB1533_622
.LBB1533_419:                           ;   in Loop: Header=BB1533_410 Depth=2
	s_or_b32 exec_lo, exec_lo, s22
	s_mov_b32 s22, exec_lo
	v_cmpx_gt_u32_e64 s63, v106
	s_cbranch_execnz .LBB1533_623
.LBB1533_420:                           ;   in Loop: Header=BB1533_410 Depth=2
	s_or_b32 exec_lo, exec_lo, s22
	s_mov_b32 s22, exec_lo
	v_cmpx_gt_u32_e64 s63, v107
	s_cbranch_execnz .LBB1533_624
.LBB1533_421:                           ;   in Loop: Header=BB1533_410 Depth=2
	s_or_b32 exec_lo, exec_lo, s22
	s_mov_b32 s22, exec_lo
	v_cmpx_gt_u32_e64 s63, v108
	s_cbranch_execnz .LBB1533_625
.LBB1533_422:                           ;   in Loop: Header=BB1533_410 Depth=2
	s_or_b32 exec_lo, exec_lo, s22
	s_mov_b32 s22, exec_lo
	v_cmpx_gt_u32_e64 s63, v109
	s_cbranch_execnz .LBB1533_626
.LBB1533_423:                           ;   in Loop: Header=BB1533_410 Depth=2
	s_or_b32 exec_lo, exec_lo, s22
	s_mov_b32 s22, exec_lo
	v_cmpx_gt_u32_e64 s63, v110
	s_cbranch_execnz .LBB1533_627
.LBB1533_424:                           ;   in Loop: Header=BB1533_410 Depth=2
	s_or_b32 exec_lo, exec_lo, s22
	s_mov_b32 s22, exec_lo
	v_cmpx_gt_u32_e64 s63, v111
	s_cbranch_execnz .LBB1533_628
.LBB1533_425:                           ;   in Loop: Header=BB1533_410 Depth=2
	s_or_b32 exec_lo, exec_lo, s22
	s_mov_b32 s22, exec_lo
	v_cmpx_gt_u32_e64 s63, v112
	s_cbranch_execnz .LBB1533_629
.LBB1533_426:                           ;   in Loop: Header=BB1533_410 Depth=2
	s_or_b32 exec_lo, exec_lo, s22
	s_mov_b32 s22, exec_lo
	v_cmpx_gt_u32_e64 s63, v113
	s_cbranch_execnz .LBB1533_630
.LBB1533_427:                           ;   in Loop: Header=BB1533_410 Depth=2
	s_or_b32 exec_lo, exec_lo, s22
	s_mov_b32 s22, exec_lo
	v_cmpx_gt_u32_e64 s63, v114
	s_cbranch_execnz .LBB1533_631
.LBB1533_428:                           ;   in Loop: Header=BB1533_410 Depth=2
	s_or_b32 exec_lo, exec_lo, s22
	s_mov_b32 s22, exec_lo
	v_cmpx_gt_u32_e64 s63, v115
	s_cbranch_execz .LBB1533_430
.LBB1533_429:                           ;   in Loop: Header=BB1533_410 Depth=2
	global_load_ubyte v43, v[43:44], off offset:480
	v_and_b32_e32 v8, 0xff, v8
	s_waitcnt vmcnt(0)
	v_perm_b32 v7, v7, v43, 0x60504
.LBB1533_430:                           ;   in Loop: Header=BB1533_410 Depth=2
	s_or_b32 exec_lo, exec_lo, s22
	v_cmp_gt_u32_e64 s22, s63, v116
	s_sub_i32 s23, s59, s50
.LBB1533_431:                           ;   in Loop: Header=BB1533_410 Depth=2
	v_mov_b32_e32 v43, s63
	s_and_saveexec_b32 s24, s22
	s_cbranch_execz .LBB1533_433
; %bb.432:                              ;   in Loop: Header=BB1533_410 Depth=2
	v_add_co_u32 v43, vcc_lo, v97, s50
	v_add_co_ci_u32_e64 v44, null, s51, v98, vcc_lo
	global_load_ubyte v8, v[43:44], off offset:512
	v_mov_b32_e32 v43, s23
.LBB1533_433:                           ;   in Loop: Header=BB1533_410 Depth=2
	s_or_b32 exec_lo, exec_lo, s24
	s_waitcnt vmcnt(0)
	v_and_b32_e32 v44, 1, v4
	v_and_b32_sdwa v140, v91, v4 dst_sel:DWORD dst_unused:UNUSED_PAD src0_sel:DWORD src1_sel:BYTE_1
	v_and_b32_e32 v148, 0x1000000, v4
	v_and_b32_e32 v149, 0x10000, v4
	v_and_b32_sdwa v137, v91, v7 dst_sel:DWORD dst_unused:UNUSED_PAD src0_sel:DWORD src1_sel:BYTE_1
	v_cmp_eq_u32_e32 vcc_lo, 1, v44
	v_and_b32_sdwa v139, v91, v5 dst_sel:DWORD dst_unused:UNUSED_PAD src0_sel:DWORD src1_sel:BYTE_1
	v_and_b32_e32 v146, 0x1000000, v5
	v_and_b32_e32 v147, 0x10000, v5
	;; [unrolled: 1-line block ×3, first 2 shown]
	s_xor_b32 s22, vcc_lo, -1
	v_cmp_eq_u32_e64 s24, 1, v137
	v_cndmask_b32_e64 v44, 0, 1, s22
	v_and_b32_sdwa v138, v91, v6 dst_sel:DWORD dst_unused:UNUSED_PAD src0_sel:DWORD src1_sel:BYTE_1
	v_and_b32_e32 v141, 0x1000000, v7
	v_and_b32_e32 v142, 0x10000, v7
	;; [unrolled: 1-line block ×3, first 2 shown]
	v_lshrrev_b32_e32 v145, s61, v44
	v_and_b32_e32 v143, 0x1000000, v6
	v_and_b32_e32 v144, 0x10000, v6
	;; [unrolled: 1-line block ×3, first 2 shown]
	v_cmp_eq_u32_e64 s35, 1, v5
	v_and_b32_e32 v145, s62, v145
	v_and_b32_e32 v8, 1, v8
	v_cmp_eq_u32_e64 s29, 1, v138
	v_cmp_eq_u32_e64 s34, 1, v139
	;; [unrolled: 1-line block ×3, first 2 shown]
	v_add_co_u32 v4, s22, v145, -1
	v_cndmask_b32_e64 v150, 0, 1, s22
	v_mul_u32_u24_e32 v5, 36, v145
	v_cmp_ne_u32_e64 s23, 0, v142
	v_cmp_eq_u32_e64 s25, 1, v7
	v_cmp_ne_u32_e64 s26, 0, v143
	v_cmp_ne_u32_e64 s22, 0, v150
	;; [unrolled: 1-line block ×3, first 2 shown]
	v_cmp_eq_u32_e64 s30, 1, v6
	v_cmp_ne_u32_e64 s31, 0, v146
	v_cmp_ne_u32_e64 s33, 0, v147
	v_xor_b32_e32 v4, s22, v4
	v_cmp_ne_u32_e64 s22, 0, v141
	v_cmp_ne_u32_e64 s36, 0, v148
	;; [unrolled: 1-line block ×3, first 2 shown]
	v_add_nc_u32_e32 v140, v117, v5
	v_and_b32_e32 v4, exec_lo, v4
	ds_write2_b32 v71, v3, v3 offset0:136 offset1:137
	ds_write2_b32 v71, v3, v3 offset0:138 offset1:139
	ds_write_b32 v71, v3 offset:560
	s_waitcnt lgkmcnt(0)
	v_cmp_eq_u32_e32 vcc_lo, 1, v8
	v_mbcnt_lo_u32_b32 v137, v4, 0
	v_cmp_ne_u32_e64 s40, 0, v4
	s_barrier
	buffer_gl0_inv
	v_cmp_eq_u32_e64 s39, 0, v137
	; wave barrier
	s_and_b32 s40, s40, s39
	s_and_saveexec_b32 s39, s40
; %bb.434:                              ;   in Loop: Header=BB1533_410 Depth=2
	v_bcnt_u32_b32 v4, v4, 0
	ds_write_b32 v140, v4 offset:544
; %bb.435:                              ;   in Loop: Header=BB1533_410 Depth=2
	s_or_b32 exec_lo, exec_lo, s39
	s_xor_b32 s38, s38, -1
	v_cndmask_b32_e64 v150, 0, 1, s38
	; wave barrier
	v_lshrrev_b32_e32 v4, s61, v150
	v_and_b32_e32 v5, s62, v4
	v_add_co_u32 v4, s38, v5, -1
	v_cndmask_b32_e64 v6, 0, 1, s38
	v_cmp_ne_u32_e64 s38, 0, v6
	v_mad_u32_u24 v6, v5, 36, v117
	v_mul_u32_u24_e32 v5, 36, v5
	v_xor_b32_e32 v4, s38, v4
	ds_read_b32 v138, v6 offset:544
	v_add_nc_u32_e32 v143, v117, v5
	; wave barrier
	v_and_b32_e32 v4, exec_lo, v4
	v_mbcnt_lo_u32_b32 v139, v4, 0
	v_cmp_ne_u32_e64 s39, 0, v4
	v_cmp_eq_u32_e64 s38, 0, v139
	s_and_b32 s39, s39, s38
	s_and_saveexec_b32 s38, s39
	s_cbranch_execz .LBB1533_437
; %bb.436:                              ;   in Loop: Header=BB1533_410 Depth=2
	s_waitcnt lgkmcnt(0)
	v_bcnt_u32_b32 v4, v4, v138
	ds_write_b32 v143, v4 offset:544
.LBB1533_437:                           ;   in Loop: Header=BB1533_410 Depth=2
	s_or_b32 exec_lo, exec_lo, s38
	s_xor_b32 s37, s37, -1
	v_cndmask_b32_e64 v153, 0, 1, s37
	; wave barrier
	v_lshrrev_b32_e32 v4, s61, v153
	v_and_b32_e32 v5, s62, v4
	v_add_co_u32 v4, s37, v5, -1
	v_cndmask_b32_e64 v6, 0, 1, s37
	v_cmp_ne_u32_e64 s37, 0, v6
	v_mad_u32_u24 v6, v5, 36, v117
	v_mul_u32_u24_e32 v5, 36, v5
	v_xor_b32_e32 v4, s37, v4
	ds_read_b32 v141, v6 offset:544
	v_add_nc_u32_e32 v146, v117, v5
	; wave barrier
	v_and_b32_e32 v4, exec_lo, v4
	v_mbcnt_lo_u32_b32 v142, v4, 0
	v_cmp_ne_u32_e64 s38, 0, v4
	v_cmp_eq_u32_e64 s37, 0, v142
	s_and_b32 s38, s38, s37
	s_and_saveexec_b32 s37, s38
	s_cbranch_execz .LBB1533_439
; %bb.438:                              ;   in Loop: Header=BB1533_410 Depth=2
	s_waitcnt lgkmcnt(0)
	v_bcnt_u32_b32 v4, v4, v141
	ds_write_b32 v146, v4 offset:544
.LBB1533_439:                           ;   in Loop: Header=BB1533_410 Depth=2
	;; [unrolled: 27-line block ×15, first 2 shown]
	s_or_b32 exec_lo, exec_lo, s22
	s_xor_b32 s22, vcc_lo, -1
	v_cndmask_b32_e64 v8, 0, 1, s22
	; wave barrier
	v_lshrrev_b32_e32 v4, s61, v8
	v_and_b32_e32 v5, s62, v4
	v_add_co_u32 v4, s22, v5, -1
	v_cndmask_b32_e64 v6, 0, 1, s22
	v_cmp_ne_u32_e32 vcc_lo, 0, v6
	v_mad_u32_u24 v6, v5, 36, v117
	v_mul_u32_u24_e32 v5, 36, v5
	v_xor_b32_e32 v4, vcc_lo, v4
	ds_read_b32 v198, v6 offset:544
	v_add_nc_u32_e32 v201, v117, v5
	; wave barrier
	v_and_b32_e32 v4, exec_lo, v4
	v_mbcnt_lo_u32_b32 v199, v4, 0
	v_cmp_ne_u32_e64 s22, 0, v4
	v_cmp_eq_u32_e32 vcc_lo, 0, v199
	s_and_b32 s23, s22, vcc_lo
	s_and_saveexec_b32 s22, s23
	s_cbranch_execz .LBB1533_467
; %bb.466:                              ;   in Loop: Header=BB1533_410 Depth=2
	s_waitcnt lgkmcnt(0)
	v_bcnt_u32_b32 v4, v4, v198
	ds_write_b32 v201, v4 offset:544
.LBB1533_467:                           ;   in Loop: Header=BB1533_410 Depth=2
	s_or_b32 exec_lo, exec_lo, s22
	; wave barrier
	s_waitcnt lgkmcnt(0)
	s_barrier
	buffer_gl0_inv
	ds_read2_b32 v[6:7], v71 offset0:136 offset1:137
	ds_read2_b32 v[4:5], v71 offset0:138 offset1:139
	ds_read_b32 v202, v71 offset:560
	s_waitcnt lgkmcnt(1)
	v_add3_u32 v203, v7, v6, v4
	s_waitcnt lgkmcnt(0)
	v_add3_u32 v202, v203, v5, v202
	v_mov_b32_dpp v203, v202 row_shr:1 row_mask:0xf bank_mask:0xf
	v_cndmask_b32_e64 v203, v203, 0, s5
	v_add_nc_u32_e32 v202, v203, v202
	v_mov_b32_dpp v203, v202 row_shr:2 row_mask:0xf bank_mask:0xf
	v_cndmask_b32_e64 v203, 0, v203, s14
	v_add_nc_u32_e32 v202, v202, v203
	;; [unrolled: 3-line block ×4, first 2 shown]
	ds_swizzle_b32 v203, v202 offset:swizzle(BROADCAST,32,15)
	s_waitcnt lgkmcnt(0)
	v_cndmask_b32_e64 v203, v203, 0, s17
	v_add_nc_u32_e32 v202, v202, v203
	s_and_saveexec_b32 s22, s4
; %bb.468:                              ;   in Loop: Header=BB1533_410 Depth=2
	ds_write_b32 v64, v202 offset:512
; %bb.469:                              ;   in Loop: Header=BB1533_410 Depth=2
	s_or_b32 exec_lo, exec_lo, s22
	s_waitcnt lgkmcnt(0)
	s_barrier
	buffer_gl0_inv
	s_and_saveexec_b32 s22, s11
	s_cbranch_execz .LBB1533_471
; %bb.470:                              ;   in Loop: Header=BB1533_410 Depth=2
	ds_read_b32 v203, v72 offset:512
	s_waitcnt lgkmcnt(0)
	v_mov_b32_dpp v204, v203 row_shr:1 row_mask:0xf bank_mask:0xf
	v_cndmask_b32_e64 v204, v204, 0, s19
	v_add_nc_u32_e32 v203, v204, v203
	v_mov_b32_dpp v204, v203 row_shr:2 row_mask:0xf bank_mask:0xf
	v_cndmask_b32_e64 v204, 0, v204, s20
	v_add_nc_u32_e32 v203, v203, v204
	;; [unrolled: 3-line block ×3, first 2 shown]
	ds_write_b32 v72, v203 offset:512
.LBB1533_471:                           ;   in Loop: Header=BB1533_410 Depth=2
	s_or_b32 exec_lo, exec_lo, s22
	v_mov_b32_e32 v203, 0
	s_waitcnt lgkmcnt(0)
	s_barrier
	buffer_gl0_inv
	s_and_saveexec_b32 s22, s10
; %bb.472:                              ;   in Loop: Header=BB1533_410 Depth=2
	ds_read_b32 v203, v64 offset:508
; %bb.473:                              ;   in Loop: Header=BB1533_410 Depth=2
	s_or_b32 exec_lo, exec_lo, s22
	s_waitcnt lgkmcnt(0)
	v_add_nc_u32_e32 v202, v203, v202
	ds_bpermute_b32 v202, v95, v202
	s_waitcnt lgkmcnt(0)
	v_cndmask_b32_e64 v202, v202, v203, s18
	v_cndmask_b32_e64 v202, v202, 0, s12
	v_add_nc_u32_e32 v6, v202, v6
	v_add_nc_u32_e32 v7, v6, v7
	;; [unrolled: 1-line block ×4, first 2 shown]
	ds_write2_b32 v71, v202, v6 offset0:136 offset1:137
	ds_write2_b32 v71, v7, v4 offset0:138 offset1:139
	ds_write_b32 v71, v5 offset:560
	s_waitcnt lgkmcnt(0)
	s_barrier
	buffer_gl0_inv
	ds_read_b32 v4, v140 offset:544
	ds_read_b32 v5, v143 offset:544
	;; [unrolled: 1-line block ×17, first 2 shown]
	s_and_saveexec_b32 s22, s7
	s_cbranch_execz .LBB1533_477
; %bb.474:                              ;   in Loop: Header=BB1533_410 Depth=2
	v_add_nc_u32_e32 v135, v72, v74
	v_mov_b32_e32 v136, 0x1100
	ds_read_b32 v135, v135 offset:544
	s_and_saveexec_b32 s23, s13
; %bb.475:                              ;   in Loop: Header=BB1533_410 Depth=2
	ds_read_b32 v136, v73 offset:544
; %bb.476:                              ;   in Loop: Header=BB1533_410 Depth=2
	s_or_b32 exec_lo, exec_lo, s23
	s_waitcnt lgkmcnt(0)
	v_sub_nc_u32_e32 v136, v136, v135
.LBB1533_477:                           ;   in Loop: Header=BB1533_410 Depth=2
	s_or_b32 exec_lo, exec_lo, s22
	s_waitcnt lgkmcnt(0)
	s_barrier
	buffer_gl0_inv
	s_and_saveexec_b32 s22, s7
	s_cbranch_execz .LBB1533_479
; %bb.478:                              ;   in Loop: Header=BB1533_410 Depth=2
	ds_read_b32 v146, v45
	s_waitcnt lgkmcnt(0)
	v_sub_nc_u32_e32 v146, v146, v135
	ds_write_b32 v45, v146
.LBB1533_479:                           ;   in Loop: Header=BB1533_410 Depth=2
	s_or_b32 exec_lo, exec_lo, s22
	v_add_nc_u32_e32 v152, v4, v137
	v_add3_u32 v151, v139, v138, v5
	v_add3_u32 v149, v142, v141, v6
	;; [unrolled: 1-line block ×16, first 2 shown]
	v_cmp_lt_u32_e64 s39, v0, v43
	ds_write_b8 v152, v44 offset:512
	ds_write_b8 v151, v150 offset:512
	;; [unrolled: 1-line block ×17, first 2 shown]
	s_waitcnt lgkmcnt(0)
	s_barrier
	buffer_gl0_inv
	s_and_saveexec_b32 s22, s39
	s_cbranch_execnz .LBB1533_552
; %bb.480:                              ;   in Loop: Header=BB1533_410 Depth=2
	s_or_b32 exec_lo, exec_lo, s22
	v_cmp_lt_u32_e64 s38, v46, v43
	s_and_saveexec_b32 s22, s38
	s_cbranch_execnz .LBB1533_553
.LBB1533_481:                           ;   in Loop: Header=BB1533_410 Depth=2
	s_or_b32 exec_lo, exec_lo, s22
	v_cmp_lt_u32_e64 s37, v49, v43
	s_and_saveexec_b32 s22, s37
	s_cbranch_execnz .LBB1533_554
.LBB1533_482:                           ;   in Loop: Header=BB1533_410 Depth=2
	s_or_b32 exec_lo, exec_lo, s22
	v_cmp_lt_u32_e64 s36, v50, v43
	s_and_saveexec_b32 s22, s36
	s_cbranch_execnz .LBB1533_555
.LBB1533_483:                           ;   in Loop: Header=BB1533_410 Depth=2
	s_or_b32 exec_lo, exec_lo, s22
	v_cmp_lt_u32_e64 s35, v51, v43
	s_and_saveexec_b32 s22, s35
	s_cbranch_execnz .LBB1533_556
.LBB1533_484:                           ;   in Loop: Header=BB1533_410 Depth=2
	s_or_b32 exec_lo, exec_lo, s22
	v_cmp_lt_u32_e64 s34, v52, v43
	s_and_saveexec_b32 s22, s34
	s_cbranch_execnz .LBB1533_557
.LBB1533_485:                           ;   in Loop: Header=BB1533_410 Depth=2
	s_or_b32 exec_lo, exec_lo, s22
	v_cmp_lt_u32_e64 s33, v53, v43
	s_and_saveexec_b32 s22, s33
	s_cbranch_execnz .LBB1533_558
.LBB1533_486:                           ;   in Loop: Header=BB1533_410 Depth=2
	s_or_b32 exec_lo, exec_lo, s22
	v_cmp_lt_u32_e64 s31, v54, v43
	s_and_saveexec_b32 s22, s31
	s_cbranch_execnz .LBB1533_559
.LBB1533_487:                           ;   in Loop: Header=BB1533_410 Depth=2
	s_or_b32 exec_lo, exec_lo, s22
	v_cmp_lt_u32_e64 s30, v55, v43
	s_and_saveexec_b32 s22, s30
	s_cbranch_execnz .LBB1533_560
.LBB1533_488:                           ;   in Loop: Header=BB1533_410 Depth=2
	s_or_b32 exec_lo, exec_lo, s22
	v_cmp_lt_u32_e64 s29, v56, v43
	s_and_saveexec_b32 s22, s29
	s_cbranch_execnz .LBB1533_561
.LBB1533_489:                           ;   in Loop: Header=BB1533_410 Depth=2
	s_or_b32 exec_lo, exec_lo, s22
	v_cmp_lt_u32_e64 s27, v57, v43
	s_and_saveexec_b32 s22, s27
	s_cbranch_execnz .LBB1533_562
.LBB1533_490:                           ;   in Loop: Header=BB1533_410 Depth=2
	s_or_b32 exec_lo, exec_lo, s22
	v_cmp_lt_u32_e64 s26, v58, v43
	s_and_saveexec_b32 s22, s26
	s_cbranch_execnz .LBB1533_563
.LBB1533_491:                           ;   in Loop: Header=BB1533_410 Depth=2
	s_or_b32 exec_lo, exec_lo, s22
	v_cmp_lt_u32_e64 s25, v59, v43
	s_and_saveexec_b32 s22, s25
	s_cbranch_execnz .LBB1533_564
.LBB1533_492:                           ;   in Loop: Header=BB1533_410 Depth=2
	s_or_b32 exec_lo, exec_lo, s22
	v_cmp_lt_u32_e64 s24, v60, v43
	s_and_saveexec_b32 s22, s24
	s_cbranch_execnz .LBB1533_565
.LBB1533_493:                           ;   in Loop: Header=BB1533_410 Depth=2
	s_or_b32 exec_lo, exec_lo, s22
	v_cmp_lt_u32_e64 s23, v61, v43
	s_and_saveexec_b32 s22, s23
	s_cbranch_execnz .LBB1533_566
.LBB1533_494:                           ;   in Loop: Header=BB1533_410 Depth=2
	s_or_b32 exec_lo, exec_lo, s22
	v_cmp_lt_u32_e64 s22, v62, v43
	s_and_saveexec_b32 s40, s22
	s_cbranch_execnz .LBB1533_567
.LBB1533_495:                           ;   in Loop: Header=BB1533_410 Depth=2
	s_or_b32 exec_lo, exec_lo, s40
	v_cmp_lt_u32_e32 vcc_lo, v63, v43
	s_and_saveexec_b32 s40, vcc_lo
	s_cbranch_execz .LBB1533_497
.LBB1533_496:                           ;   in Loop: Header=BB1533_410 Depth=2
	ds_read_u8 v4, v0 offset:4608
	s_waitcnt lgkmcnt(0)
	v_and_b32_e32 v5, 1, v4
	v_xor_b32_e32 v4, 1, v4
	v_lshrrev_b32_e32 v5, s61, v5
	v_and_b32_e32 v5, s62, v5
	v_lshlrev_b32_e32 v5, 2, v5
	ds_read_b32 v5, v5
	s_waitcnt lgkmcnt(0)
	v_add_nc_u32_e32 v5, v5, v63
	global_store_byte v5, v4, s[48:49]
.LBB1533_497:                           ;   in Loop: Header=BB1533_410 Depth=2
	s_or_b32 exec_lo, exec_lo, s40
	s_lshl_b64 s[66:67], s[50:51], 3
	v_add_co_u32 v4, s40, v99, s66
	v_add_co_ci_u32_e64 v5, null, s67, v100, s40
	v_cmp_lt_u32_e64 s40, v96, v43
	s_and_saveexec_b32 s50, s40
	s_xor_b32 s40, exec_lo, s50
	s_cbranch_execnz .LBB1533_568
; %bb.498:                              ;   in Loop: Header=BB1533_410 Depth=2
	s_or_b32 exec_lo, exec_lo, s40
	s_mov_b32 s50, exec_lo
	v_cmpx_lt_u32_e64 v101, v43
	s_cbranch_execnz .LBB1533_569
.LBB1533_499:                           ;   in Loop: Header=BB1533_410 Depth=2
	s_or_b32 exec_lo, exec_lo, s50
	s_mov_b32 s50, exec_lo
	v_cmpx_lt_u32_e64 v102, v43
	s_cbranch_execnz .LBB1533_570
.LBB1533_500:                           ;   in Loop: Header=BB1533_410 Depth=2
	s_or_b32 exec_lo, exec_lo, s50
	s_mov_b32 s50, exec_lo
	v_cmpx_lt_u32_e64 v103, v43
	s_cbranch_execnz .LBB1533_571
.LBB1533_501:                           ;   in Loop: Header=BB1533_410 Depth=2
	s_or_b32 exec_lo, exec_lo, s50
	s_mov_b32 s50, exec_lo
	v_cmpx_lt_u32_e64 v104, v43
	s_cbranch_execnz .LBB1533_572
.LBB1533_502:                           ;   in Loop: Header=BB1533_410 Depth=2
	s_or_b32 exec_lo, exec_lo, s50
	s_mov_b32 s50, exec_lo
	v_cmpx_lt_u32_e64 v105, v43
	s_cbranch_execnz .LBB1533_573
.LBB1533_503:                           ;   in Loop: Header=BB1533_410 Depth=2
	s_or_b32 exec_lo, exec_lo, s50
	s_mov_b32 s50, exec_lo
	v_cmpx_lt_u32_e64 v106, v43
	s_cbranch_execnz .LBB1533_574
.LBB1533_504:                           ;   in Loop: Header=BB1533_410 Depth=2
	s_or_b32 exec_lo, exec_lo, s50
	s_mov_b32 s50, exec_lo
	v_cmpx_lt_u32_e64 v107, v43
	s_cbranch_execnz .LBB1533_575
.LBB1533_505:                           ;   in Loop: Header=BB1533_410 Depth=2
	s_or_b32 exec_lo, exec_lo, s50
	s_mov_b32 s50, exec_lo
	v_cmpx_lt_u32_e64 v108, v43
	s_cbranch_execnz .LBB1533_576
.LBB1533_506:                           ;   in Loop: Header=BB1533_410 Depth=2
	s_or_b32 exec_lo, exec_lo, s50
	s_mov_b32 s50, exec_lo
	v_cmpx_lt_u32_e64 v109, v43
	s_cbranch_execnz .LBB1533_577
.LBB1533_507:                           ;   in Loop: Header=BB1533_410 Depth=2
	s_or_b32 exec_lo, exec_lo, s50
	s_mov_b32 s50, exec_lo
	v_cmpx_lt_u32_e64 v110, v43
	s_cbranch_execnz .LBB1533_578
.LBB1533_508:                           ;   in Loop: Header=BB1533_410 Depth=2
	s_or_b32 exec_lo, exec_lo, s50
	s_mov_b32 s50, exec_lo
	v_cmpx_lt_u32_e64 v111, v43
	s_cbranch_execnz .LBB1533_579
.LBB1533_509:                           ;   in Loop: Header=BB1533_410 Depth=2
	s_or_b32 exec_lo, exec_lo, s50
	s_mov_b32 s50, exec_lo
	v_cmpx_lt_u32_e64 v112, v43
	s_cbranch_execnz .LBB1533_580
.LBB1533_510:                           ;   in Loop: Header=BB1533_410 Depth=2
	s_or_b32 exec_lo, exec_lo, s50
	s_mov_b32 s50, exec_lo
	v_cmpx_lt_u32_e64 v113, v43
	s_cbranch_execnz .LBB1533_581
.LBB1533_511:                           ;   in Loop: Header=BB1533_410 Depth=2
	s_or_b32 exec_lo, exec_lo, s50
	s_mov_b32 s50, exec_lo
	v_cmpx_lt_u32_e64 v114, v43
	s_cbranch_execnz .LBB1533_582
.LBB1533_512:                           ;   in Loop: Header=BB1533_410 Depth=2
	s_or_b32 exec_lo, exec_lo, s50
	s_mov_b32 s50, exec_lo
	v_cmpx_lt_u32_e64 v115, v43
	s_cbranch_execnz .LBB1533_583
.LBB1533_513:                           ;   in Loop: Header=BB1533_410 Depth=2
	s_or_b32 exec_lo, exec_lo, s50
	s_mov_b32 s50, exec_lo
	v_cmpx_lt_u32_e64 v116, v43
	s_cbranch_execnz .LBB1533_584
.LBB1533_514:                           ;   in Loop: Header=BB1533_410 Depth=2
	s_or_b32 exec_lo, exec_lo, s50
	s_and_saveexec_b32 s40, s39
	s_cbranch_execnz .LBB1533_585
.LBB1533_515:                           ;   in Loop: Header=BB1533_410 Depth=2
	s_or_b32 exec_lo, exec_lo, s40
	s_and_saveexec_b32 s40, s38
	s_cbranch_execnz .LBB1533_586
.LBB1533_516:                           ;   in Loop: Header=BB1533_410 Depth=2
	s_or_b32 exec_lo, exec_lo, s40
	s_and_saveexec_b32 s40, s37
	s_cbranch_execnz .LBB1533_587
.LBB1533_517:                           ;   in Loop: Header=BB1533_410 Depth=2
	s_or_b32 exec_lo, exec_lo, s40
	s_and_saveexec_b32 s40, s36
	s_cbranch_execnz .LBB1533_588
.LBB1533_518:                           ;   in Loop: Header=BB1533_410 Depth=2
	s_or_b32 exec_lo, exec_lo, s40
	s_and_saveexec_b32 s40, s35
	s_cbranch_execnz .LBB1533_589
.LBB1533_519:                           ;   in Loop: Header=BB1533_410 Depth=2
	s_or_b32 exec_lo, exec_lo, s40
	s_and_saveexec_b32 s40, s34
	s_cbranch_execnz .LBB1533_590
.LBB1533_520:                           ;   in Loop: Header=BB1533_410 Depth=2
	s_or_b32 exec_lo, exec_lo, s40
	s_and_saveexec_b32 s40, s33
	s_cbranch_execnz .LBB1533_591
.LBB1533_521:                           ;   in Loop: Header=BB1533_410 Depth=2
	s_or_b32 exec_lo, exec_lo, s40
	s_and_saveexec_b32 s40, s31
	s_cbranch_execnz .LBB1533_592
.LBB1533_522:                           ;   in Loop: Header=BB1533_410 Depth=2
	s_or_b32 exec_lo, exec_lo, s40
	s_and_saveexec_b32 s40, s30
	s_cbranch_execnz .LBB1533_593
.LBB1533_523:                           ;   in Loop: Header=BB1533_410 Depth=2
	s_or_b32 exec_lo, exec_lo, s40
	s_and_saveexec_b32 s40, s29
	s_cbranch_execnz .LBB1533_594
.LBB1533_524:                           ;   in Loop: Header=BB1533_410 Depth=2
	s_or_b32 exec_lo, exec_lo, s40
	s_and_saveexec_b32 s40, s27
	s_cbranch_execnz .LBB1533_595
.LBB1533_525:                           ;   in Loop: Header=BB1533_410 Depth=2
	s_or_b32 exec_lo, exec_lo, s40
	s_and_saveexec_b32 s40, s26
	s_cbranch_execnz .LBB1533_596
.LBB1533_526:                           ;   in Loop: Header=BB1533_410 Depth=2
	s_or_b32 exec_lo, exec_lo, s40
	s_and_saveexec_b32 s40, s25
	s_cbranch_execnz .LBB1533_597
.LBB1533_527:                           ;   in Loop: Header=BB1533_410 Depth=2
	s_or_b32 exec_lo, exec_lo, s40
	s_and_saveexec_b32 s40, s24
	s_cbranch_execnz .LBB1533_598
.LBB1533_528:                           ;   in Loop: Header=BB1533_410 Depth=2
	s_or_b32 exec_lo, exec_lo, s40
	s_and_saveexec_b32 s40, s23
	s_cbranch_execnz .LBB1533_599
.LBB1533_529:                           ;   in Loop: Header=BB1533_410 Depth=2
	s_or_b32 exec_lo, exec_lo, s40
	s_and_saveexec_b32 s40, s22
	s_cbranch_execnz .LBB1533_600
.LBB1533_530:                           ;   in Loop: Header=BB1533_410 Depth=2
	s_or_b32 exec_lo, exec_lo, s40
	s_and_saveexec_b32 s40, vcc_lo
	s_cbranch_execz .LBB1533_532
.LBB1533_531:                           ;   in Loop: Header=BB1533_410 Depth=2
	ds_read_u8 v4, v0 offset:4608
	s_waitcnt lgkmcnt(0)
	v_lshrrev_b32_e32 v4, s61, v4
	v_and_b32_e32 v118, s62, v4
.LBB1533_532:                           ;   in Loop: Header=BB1533_410 Depth=2
	s_or_b32 exec_lo, exec_lo, s40
	v_lshlrev_b32_e32 v4, 3, v152
	v_lshlrev_b32_e32 v5, 3, v151
	s_waitcnt vmcnt(0)
	s_waitcnt_vscnt null, 0x0
	s_barrier
	buffer_gl0_inv
	ds_write_b64 v4, v[41:42] offset:512
	ds_write_b64 v5, v[39:40] offset:512
	v_lshlrev_b32_e32 v4, 3, v149
	v_lshlrev_b32_e32 v5, 3, v148
	v_lshlrev_b32_e32 v43, 3, v147
	v_lshlrev_b32_e32 v44, 3, v146
	v_lshlrev_b32_e32 v145, 3, v145
	ds_write_b64 v4, v[37:38] offset:512
	ds_write_b64 v5, v[35:36] offset:512
	ds_write_b64 v43, v[33:34] offset:512
	ds_write_b64 v44, v[29:30] offset:512
	ds_write_b64 v145, v[25:26] offset:512
	v_lshlrev_b32_e32 v4, 3, v144
	v_lshlrev_b32_e32 v5, 3, v143
	v_lshlrev_b32_e32 v43, 3, v142
	v_lshlrev_b32_e32 v44, 3, v141
	v_lshlrev_b32_e32 v140, 3, v140
	ds_write_b64 v4, v[21:22] offset:512
	ds_write_b64 v5, v[31:32] offset:512
	ds_write_b64 v43, v[27:28] offset:512
	;; [unrolled: 10-line block ×3, first 2 shown]
	ds_write_b64 v7, v[11:12] offset:512
	ds_write_b64 v6, v[9:10] offset:512
	s_waitcnt lgkmcnt(0)
	s_barrier
	buffer_gl0_inv
	s_and_saveexec_b32 s40, s39
	s_cbranch_execnz .LBB1533_601
; %bb.533:                              ;   in Loop: Header=BB1533_410 Depth=2
	s_or_b32 exec_lo, exec_lo, s40
	s_and_saveexec_b32 s39, s38
	s_cbranch_execnz .LBB1533_602
.LBB1533_534:                           ;   in Loop: Header=BB1533_410 Depth=2
	s_or_b32 exec_lo, exec_lo, s39
	s_and_saveexec_b32 s38, s37
	s_cbranch_execnz .LBB1533_603
.LBB1533_535:                           ;   in Loop: Header=BB1533_410 Depth=2
	s_or_b32 exec_lo, exec_lo, s38
	s_and_saveexec_b32 s37, s36
	s_cbranch_execnz .LBB1533_604
.LBB1533_536:                           ;   in Loop: Header=BB1533_410 Depth=2
	s_or_b32 exec_lo, exec_lo, s37
	s_and_saveexec_b32 s36, s35
	s_cbranch_execnz .LBB1533_605
.LBB1533_537:                           ;   in Loop: Header=BB1533_410 Depth=2
	s_or_b32 exec_lo, exec_lo, s36
	s_and_saveexec_b32 s35, s34
	s_cbranch_execnz .LBB1533_606
.LBB1533_538:                           ;   in Loop: Header=BB1533_410 Depth=2
	s_or_b32 exec_lo, exec_lo, s35
	s_and_saveexec_b32 s34, s33
	s_cbranch_execnz .LBB1533_607
.LBB1533_539:                           ;   in Loop: Header=BB1533_410 Depth=2
	s_or_b32 exec_lo, exec_lo, s34
	s_and_saveexec_b32 s33, s31
	s_cbranch_execnz .LBB1533_608
.LBB1533_540:                           ;   in Loop: Header=BB1533_410 Depth=2
	s_or_b32 exec_lo, exec_lo, s33
	s_and_saveexec_b32 s31, s30
	s_cbranch_execnz .LBB1533_609
.LBB1533_541:                           ;   in Loop: Header=BB1533_410 Depth=2
	s_or_b32 exec_lo, exec_lo, s31
	s_and_saveexec_b32 s30, s29
	s_cbranch_execnz .LBB1533_610
.LBB1533_542:                           ;   in Loop: Header=BB1533_410 Depth=2
	s_or_b32 exec_lo, exec_lo, s30
	s_and_saveexec_b32 s29, s27
	s_cbranch_execnz .LBB1533_611
.LBB1533_543:                           ;   in Loop: Header=BB1533_410 Depth=2
	s_or_b32 exec_lo, exec_lo, s29
	s_and_saveexec_b32 s27, s26
	s_cbranch_execnz .LBB1533_612
.LBB1533_544:                           ;   in Loop: Header=BB1533_410 Depth=2
	s_or_b32 exec_lo, exec_lo, s27
	s_and_saveexec_b32 s26, s25
	s_cbranch_execnz .LBB1533_613
.LBB1533_545:                           ;   in Loop: Header=BB1533_410 Depth=2
	s_or_b32 exec_lo, exec_lo, s26
	s_and_saveexec_b32 s25, s24
	s_cbranch_execnz .LBB1533_614
.LBB1533_546:                           ;   in Loop: Header=BB1533_410 Depth=2
	s_or_b32 exec_lo, exec_lo, s25
	s_and_saveexec_b32 s24, s23
	s_cbranch_execnz .LBB1533_615
.LBB1533_547:                           ;   in Loop: Header=BB1533_410 Depth=2
	s_or_b32 exec_lo, exec_lo, s24
	s_and_saveexec_b32 s23, s22
	s_cbranch_execnz .LBB1533_616
.LBB1533_548:                           ;   in Loop: Header=BB1533_410 Depth=2
	s_or_b32 exec_lo, exec_lo, s23
	s_and_saveexec_b32 s22, vcc_lo
	s_cbranch_execz .LBB1533_550
.LBB1533_549:                           ;   in Loop: Header=BB1533_410 Depth=2
	v_lshlrev_b32_e32 v4, 2, v118
	v_mov_b32_e32 v7, v3
	ds_read_b32 v6, v4
	v_add_nc_u32_e32 v4, v0, v77
	ds_read_b64 v[4:5], v4 offset:33280
	s_waitcnt lgkmcnt(1)
	v_add_nc_u32_e32 v6, v6, v63
	v_lshlrev_b64 v[6:7], 3, v[6:7]
	v_add_co_u32 v6, vcc_lo, s54, v6
	v_add_co_ci_u32_e64 v7, null, s55, v7, vcc_lo
	s_waitcnt lgkmcnt(0)
	global_store_dwordx2 v[6:7], v[4:5], off
.LBB1533_550:                           ;   in Loop: Header=BB1533_410 Depth=2
	s_or_b32 exec_lo, exec_lo, s22
	s_waitcnt_vscnt null, 0x0
	s_barrier
	buffer_gl0_inv
	s_and_saveexec_b32 s22, s7
	s_cbranch_execz .LBB1533_409
; %bb.551:                              ;   in Loop: Header=BB1533_410 Depth=2
	ds_read_b32 v4, v45
	s_waitcnt lgkmcnt(0)
	v_add3_u32 v4, v135, v136, v4
	ds_write_b32 v45, v4
	s_branch .LBB1533_409
.LBB1533_552:                           ;   in Loop: Header=BB1533_410 Depth=2
	ds_read_u8 v4, v0 offset:512
	s_waitcnt lgkmcnt(0)
	v_and_b32_e32 v5, 1, v4
	v_xor_b32_e32 v4, 1, v4
	v_lshrrev_b32_e32 v5, s61, v5
	v_and_b32_e32 v5, s62, v5
	v_lshlrev_b32_e32 v5, 2, v5
	ds_read_b32 v5, v5
	s_waitcnt lgkmcnt(0)
	v_add_nc_u32_e32 v5, v5, v0
	global_store_byte v5, v4, s[48:49]
	s_or_b32 exec_lo, exec_lo, s22
	v_cmp_lt_u32_e64 s38, v46, v43
	s_and_saveexec_b32 s22, s38
	s_cbranch_execz .LBB1533_481
.LBB1533_553:                           ;   in Loop: Header=BB1533_410 Depth=2
	ds_read_u8 v4, v0 offset:768
	s_waitcnt lgkmcnt(0)
	v_and_b32_e32 v5, 1, v4
	v_xor_b32_e32 v4, 1, v4
	v_lshrrev_b32_e32 v5, s61, v5
	v_and_b32_e32 v5, s62, v5
	v_lshlrev_b32_e32 v5, 2, v5
	ds_read_b32 v5, v5
	s_waitcnt lgkmcnt(0)
	v_add_nc_u32_e32 v5, v5, v46
	global_store_byte v5, v4, s[48:49]
	s_or_b32 exec_lo, exec_lo, s22
	v_cmp_lt_u32_e64 s37, v49, v43
	s_and_saveexec_b32 s22, s37
	s_cbranch_execz .LBB1533_482
.LBB1533_554:                           ;   in Loop: Header=BB1533_410 Depth=2
	ds_read_u8 v4, v0 offset:1024
	s_waitcnt lgkmcnt(0)
	v_and_b32_e32 v5, 1, v4
	v_xor_b32_e32 v4, 1, v4
	v_lshrrev_b32_e32 v5, s61, v5
	v_and_b32_e32 v5, s62, v5
	v_lshlrev_b32_e32 v5, 2, v5
	ds_read_b32 v5, v5
	s_waitcnt lgkmcnt(0)
	v_add_nc_u32_e32 v5, v5, v49
	global_store_byte v5, v4, s[48:49]
	s_or_b32 exec_lo, exec_lo, s22
	v_cmp_lt_u32_e64 s36, v50, v43
	s_and_saveexec_b32 s22, s36
	s_cbranch_execz .LBB1533_483
.LBB1533_555:                           ;   in Loop: Header=BB1533_410 Depth=2
	ds_read_u8 v4, v0 offset:1280
	s_waitcnt lgkmcnt(0)
	v_and_b32_e32 v5, 1, v4
	v_xor_b32_e32 v4, 1, v4
	v_lshrrev_b32_e32 v5, s61, v5
	v_and_b32_e32 v5, s62, v5
	v_lshlrev_b32_e32 v5, 2, v5
	ds_read_b32 v5, v5
	s_waitcnt lgkmcnt(0)
	v_add_nc_u32_e32 v5, v5, v50
	global_store_byte v5, v4, s[48:49]
	s_or_b32 exec_lo, exec_lo, s22
	v_cmp_lt_u32_e64 s35, v51, v43
	s_and_saveexec_b32 s22, s35
	s_cbranch_execz .LBB1533_484
.LBB1533_556:                           ;   in Loop: Header=BB1533_410 Depth=2
	ds_read_u8 v4, v0 offset:1536
	s_waitcnt lgkmcnt(0)
	v_and_b32_e32 v5, 1, v4
	v_xor_b32_e32 v4, 1, v4
	v_lshrrev_b32_e32 v5, s61, v5
	v_and_b32_e32 v5, s62, v5
	v_lshlrev_b32_e32 v5, 2, v5
	ds_read_b32 v5, v5
	s_waitcnt lgkmcnt(0)
	v_add_nc_u32_e32 v5, v5, v51
	global_store_byte v5, v4, s[48:49]
	s_or_b32 exec_lo, exec_lo, s22
	v_cmp_lt_u32_e64 s34, v52, v43
	s_and_saveexec_b32 s22, s34
	s_cbranch_execz .LBB1533_485
.LBB1533_557:                           ;   in Loop: Header=BB1533_410 Depth=2
	ds_read_u8 v4, v0 offset:1792
	s_waitcnt lgkmcnt(0)
	v_and_b32_e32 v5, 1, v4
	v_xor_b32_e32 v4, 1, v4
	v_lshrrev_b32_e32 v5, s61, v5
	v_and_b32_e32 v5, s62, v5
	v_lshlrev_b32_e32 v5, 2, v5
	ds_read_b32 v5, v5
	s_waitcnt lgkmcnt(0)
	v_add_nc_u32_e32 v5, v5, v52
	global_store_byte v5, v4, s[48:49]
	s_or_b32 exec_lo, exec_lo, s22
	v_cmp_lt_u32_e64 s33, v53, v43
	s_and_saveexec_b32 s22, s33
	s_cbranch_execz .LBB1533_486
.LBB1533_558:                           ;   in Loop: Header=BB1533_410 Depth=2
	ds_read_u8 v4, v0 offset:2048
	s_waitcnt lgkmcnt(0)
	v_and_b32_e32 v5, 1, v4
	v_xor_b32_e32 v4, 1, v4
	v_lshrrev_b32_e32 v5, s61, v5
	v_and_b32_e32 v5, s62, v5
	v_lshlrev_b32_e32 v5, 2, v5
	ds_read_b32 v5, v5
	s_waitcnt lgkmcnt(0)
	v_add_nc_u32_e32 v5, v5, v53
	global_store_byte v5, v4, s[48:49]
	s_or_b32 exec_lo, exec_lo, s22
	v_cmp_lt_u32_e64 s31, v54, v43
	s_and_saveexec_b32 s22, s31
	s_cbranch_execz .LBB1533_487
.LBB1533_559:                           ;   in Loop: Header=BB1533_410 Depth=2
	ds_read_u8 v4, v0 offset:2304
	s_waitcnt lgkmcnt(0)
	v_and_b32_e32 v5, 1, v4
	v_xor_b32_e32 v4, 1, v4
	v_lshrrev_b32_e32 v5, s61, v5
	v_and_b32_e32 v5, s62, v5
	v_lshlrev_b32_e32 v5, 2, v5
	ds_read_b32 v5, v5
	s_waitcnt lgkmcnt(0)
	v_add_nc_u32_e32 v5, v5, v54
	global_store_byte v5, v4, s[48:49]
	s_or_b32 exec_lo, exec_lo, s22
	v_cmp_lt_u32_e64 s30, v55, v43
	s_and_saveexec_b32 s22, s30
	s_cbranch_execz .LBB1533_488
.LBB1533_560:                           ;   in Loop: Header=BB1533_410 Depth=2
	ds_read_u8 v4, v0 offset:2560
	s_waitcnt lgkmcnt(0)
	v_and_b32_e32 v5, 1, v4
	v_xor_b32_e32 v4, 1, v4
	v_lshrrev_b32_e32 v5, s61, v5
	v_and_b32_e32 v5, s62, v5
	v_lshlrev_b32_e32 v5, 2, v5
	ds_read_b32 v5, v5
	s_waitcnt lgkmcnt(0)
	v_add_nc_u32_e32 v5, v5, v55
	global_store_byte v5, v4, s[48:49]
	s_or_b32 exec_lo, exec_lo, s22
	v_cmp_lt_u32_e64 s29, v56, v43
	s_and_saveexec_b32 s22, s29
	s_cbranch_execz .LBB1533_489
.LBB1533_561:                           ;   in Loop: Header=BB1533_410 Depth=2
	ds_read_u8 v4, v0 offset:2816
	s_waitcnt lgkmcnt(0)
	v_and_b32_e32 v5, 1, v4
	v_xor_b32_e32 v4, 1, v4
	v_lshrrev_b32_e32 v5, s61, v5
	v_and_b32_e32 v5, s62, v5
	v_lshlrev_b32_e32 v5, 2, v5
	ds_read_b32 v5, v5
	s_waitcnt lgkmcnt(0)
	v_add_nc_u32_e32 v5, v5, v56
	global_store_byte v5, v4, s[48:49]
	s_or_b32 exec_lo, exec_lo, s22
	v_cmp_lt_u32_e64 s27, v57, v43
	s_and_saveexec_b32 s22, s27
	s_cbranch_execz .LBB1533_490
.LBB1533_562:                           ;   in Loop: Header=BB1533_410 Depth=2
	ds_read_u8 v4, v0 offset:3072
	s_waitcnt lgkmcnt(0)
	v_and_b32_e32 v5, 1, v4
	v_xor_b32_e32 v4, 1, v4
	v_lshrrev_b32_e32 v5, s61, v5
	v_and_b32_e32 v5, s62, v5
	v_lshlrev_b32_e32 v5, 2, v5
	ds_read_b32 v5, v5
	s_waitcnt lgkmcnt(0)
	v_add_nc_u32_e32 v5, v5, v57
	global_store_byte v5, v4, s[48:49]
	s_or_b32 exec_lo, exec_lo, s22
	v_cmp_lt_u32_e64 s26, v58, v43
	s_and_saveexec_b32 s22, s26
	s_cbranch_execz .LBB1533_491
.LBB1533_563:                           ;   in Loop: Header=BB1533_410 Depth=2
	ds_read_u8 v4, v0 offset:3328
	s_waitcnt lgkmcnt(0)
	v_and_b32_e32 v5, 1, v4
	v_xor_b32_e32 v4, 1, v4
	v_lshrrev_b32_e32 v5, s61, v5
	v_and_b32_e32 v5, s62, v5
	v_lshlrev_b32_e32 v5, 2, v5
	ds_read_b32 v5, v5
	s_waitcnt lgkmcnt(0)
	v_add_nc_u32_e32 v5, v5, v58
	global_store_byte v5, v4, s[48:49]
	s_or_b32 exec_lo, exec_lo, s22
	v_cmp_lt_u32_e64 s25, v59, v43
	s_and_saveexec_b32 s22, s25
	s_cbranch_execz .LBB1533_492
.LBB1533_564:                           ;   in Loop: Header=BB1533_410 Depth=2
	ds_read_u8 v4, v0 offset:3584
	s_waitcnt lgkmcnt(0)
	v_and_b32_e32 v5, 1, v4
	v_xor_b32_e32 v4, 1, v4
	v_lshrrev_b32_e32 v5, s61, v5
	v_and_b32_e32 v5, s62, v5
	v_lshlrev_b32_e32 v5, 2, v5
	ds_read_b32 v5, v5
	s_waitcnt lgkmcnt(0)
	v_add_nc_u32_e32 v5, v5, v59
	global_store_byte v5, v4, s[48:49]
	s_or_b32 exec_lo, exec_lo, s22
	v_cmp_lt_u32_e64 s24, v60, v43
	s_and_saveexec_b32 s22, s24
	s_cbranch_execz .LBB1533_493
.LBB1533_565:                           ;   in Loop: Header=BB1533_410 Depth=2
	ds_read_u8 v4, v0 offset:3840
	s_waitcnt lgkmcnt(0)
	v_and_b32_e32 v5, 1, v4
	v_xor_b32_e32 v4, 1, v4
	v_lshrrev_b32_e32 v5, s61, v5
	v_and_b32_e32 v5, s62, v5
	v_lshlrev_b32_e32 v5, 2, v5
	ds_read_b32 v5, v5
	s_waitcnt lgkmcnt(0)
	v_add_nc_u32_e32 v5, v5, v60
	global_store_byte v5, v4, s[48:49]
	s_or_b32 exec_lo, exec_lo, s22
	v_cmp_lt_u32_e64 s23, v61, v43
	s_and_saveexec_b32 s22, s23
	s_cbranch_execz .LBB1533_494
.LBB1533_566:                           ;   in Loop: Header=BB1533_410 Depth=2
	ds_read_u8 v4, v0 offset:4096
	s_waitcnt lgkmcnt(0)
	v_and_b32_e32 v5, 1, v4
	v_xor_b32_e32 v4, 1, v4
	v_lshrrev_b32_e32 v5, s61, v5
	v_and_b32_e32 v5, s62, v5
	v_lshlrev_b32_e32 v5, 2, v5
	ds_read_b32 v5, v5
	s_waitcnt lgkmcnt(0)
	v_add_nc_u32_e32 v5, v5, v61
	global_store_byte v5, v4, s[48:49]
	s_or_b32 exec_lo, exec_lo, s22
	v_cmp_lt_u32_e64 s22, v62, v43
	s_and_saveexec_b32 s40, s22
	s_cbranch_execz .LBB1533_495
.LBB1533_567:                           ;   in Loop: Header=BB1533_410 Depth=2
	ds_read_u8 v4, v0 offset:4352
	s_waitcnt lgkmcnt(0)
	v_and_b32_e32 v5, 1, v4
	v_xor_b32_e32 v4, 1, v4
	v_lshrrev_b32_e32 v5, s61, v5
	v_and_b32_e32 v5, s62, v5
	v_lshlrev_b32_e32 v5, 2, v5
	ds_read_b32 v5, v5
	s_waitcnt lgkmcnt(0)
	v_add_nc_u32_e32 v5, v5, v62
	global_store_byte v5, v4, s[48:49]
	s_or_b32 exec_lo, exec_lo, s40
	v_cmp_lt_u32_e32 vcc_lo, v63, v43
	s_and_saveexec_b32 s40, vcc_lo
	s_cbranch_execnz .LBB1533_496
	s_branch .LBB1533_497
.LBB1533_568:                           ;   in Loop: Header=BB1533_410 Depth=2
	global_load_dwordx2 v[41:42], v[4:5], off
	s_or_b32 exec_lo, exec_lo, s40
	s_mov_b32 s50, exec_lo
	v_cmpx_lt_u32_e64 v101, v43
	s_cbranch_execz .LBB1533_499
.LBB1533_569:                           ;   in Loop: Header=BB1533_410 Depth=2
	global_load_dwordx2 v[39:40], v[4:5], off offset:256
	s_or_b32 exec_lo, exec_lo, s50
	s_mov_b32 s50, exec_lo
	v_cmpx_lt_u32_e64 v102, v43
	s_cbranch_execz .LBB1533_500
.LBB1533_570:                           ;   in Loop: Header=BB1533_410 Depth=2
	global_load_dwordx2 v[37:38], v[4:5], off offset:512
	s_or_b32 exec_lo, exec_lo, s50
	s_mov_b32 s50, exec_lo
	v_cmpx_lt_u32_e64 v103, v43
	s_cbranch_execz .LBB1533_501
.LBB1533_571:                           ;   in Loop: Header=BB1533_410 Depth=2
	global_load_dwordx2 v[35:36], v[4:5], off offset:768
	s_or_b32 exec_lo, exec_lo, s50
	s_mov_b32 s50, exec_lo
	v_cmpx_lt_u32_e64 v104, v43
	s_cbranch_execz .LBB1533_502
.LBB1533_572:                           ;   in Loop: Header=BB1533_410 Depth=2
	global_load_dwordx2 v[33:34], v[4:5], off offset:1024
	s_or_b32 exec_lo, exec_lo, s50
	s_mov_b32 s50, exec_lo
	v_cmpx_lt_u32_e64 v105, v43
	s_cbranch_execz .LBB1533_503
.LBB1533_573:                           ;   in Loop: Header=BB1533_410 Depth=2
	global_load_dwordx2 v[29:30], v[4:5], off offset:1280
	s_or_b32 exec_lo, exec_lo, s50
	s_mov_b32 s50, exec_lo
	v_cmpx_lt_u32_e64 v106, v43
	s_cbranch_execz .LBB1533_504
.LBB1533_574:                           ;   in Loop: Header=BB1533_410 Depth=2
	global_load_dwordx2 v[25:26], v[4:5], off offset:1536
	s_or_b32 exec_lo, exec_lo, s50
	s_mov_b32 s50, exec_lo
	v_cmpx_lt_u32_e64 v107, v43
	s_cbranch_execz .LBB1533_505
.LBB1533_575:                           ;   in Loop: Header=BB1533_410 Depth=2
	global_load_dwordx2 v[21:22], v[4:5], off offset:1792
	s_or_b32 exec_lo, exec_lo, s50
	s_mov_b32 s50, exec_lo
	v_cmpx_lt_u32_e64 v108, v43
	s_cbranch_execz .LBB1533_506
.LBB1533_576:                           ;   in Loop: Header=BB1533_410 Depth=2
	v_add_co_u32 v31, s40, 0x800, v4
	v_add_co_ci_u32_e64 v32, null, 0, v5, s40
	global_load_dwordx2 v[31:32], v[31:32], off
	s_or_b32 exec_lo, exec_lo, s50
	s_mov_b32 s50, exec_lo
	v_cmpx_lt_u32_e64 v109, v43
	s_cbranch_execz .LBB1533_507
.LBB1533_577:                           ;   in Loop: Header=BB1533_410 Depth=2
	v_add_co_u32 v27, s40, 0x800, v4
	v_add_co_ci_u32_e64 v28, null, 0, v5, s40
	global_load_dwordx2 v[27:28], v[27:28], off offset:256
	s_or_b32 exec_lo, exec_lo, s50
	s_mov_b32 s50, exec_lo
	v_cmpx_lt_u32_e64 v110, v43
	s_cbranch_execz .LBB1533_508
.LBB1533_578:                           ;   in Loop: Header=BB1533_410 Depth=2
	v_add_co_u32 v23, s40, 0x800, v4
	v_add_co_ci_u32_e64 v24, null, 0, v5, s40
	global_load_dwordx2 v[23:24], v[23:24], off offset:512
	s_or_b32 exec_lo, exec_lo, s50
	s_mov_b32 s50, exec_lo
	v_cmpx_lt_u32_e64 v111, v43
	s_cbranch_execz .LBB1533_509
.LBB1533_579:                           ;   in Loop: Header=BB1533_410 Depth=2
	v_add_co_u32 v19, s40, 0x800, v4
	v_add_co_ci_u32_e64 v20, null, 0, v5, s40
	global_load_dwordx2 v[19:20], v[19:20], off offset:768
	s_or_b32 exec_lo, exec_lo, s50
	s_mov_b32 s50, exec_lo
	v_cmpx_lt_u32_e64 v112, v43
	s_cbranch_execz .LBB1533_510
.LBB1533_580:                           ;   in Loop: Header=BB1533_410 Depth=2
	v_add_co_u32 v17, s40, 0x800, v4
	v_add_co_ci_u32_e64 v18, null, 0, v5, s40
	global_load_dwordx2 v[17:18], v[17:18], off offset:1024
	s_or_b32 exec_lo, exec_lo, s50
	s_mov_b32 s50, exec_lo
	v_cmpx_lt_u32_e64 v113, v43
	s_cbranch_execz .LBB1533_511
.LBB1533_581:                           ;   in Loop: Header=BB1533_410 Depth=2
	v_add_co_u32 v15, s40, 0x800, v4
	v_add_co_ci_u32_e64 v16, null, 0, v5, s40
	global_load_dwordx2 v[15:16], v[15:16], off offset:1280
	s_or_b32 exec_lo, exec_lo, s50
	s_mov_b32 s50, exec_lo
	v_cmpx_lt_u32_e64 v114, v43
	s_cbranch_execz .LBB1533_512
.LBB1533_582:                           ;   in Loop: Header=BB1533_410 Depth=2
	v_add_co_u32 v13, s40, 0x800, v4
	v_add_co_ci_u32_e64 v14, null, 0, v5, s40
	global_load_dwordx2 v[13:14], v[13:14], off offset:1536
	s_or_b32 exec_lo, exec_lo, s50
	s_mov_b32 s50, exec_lo
	v_cmpx_lt_u32_e64 v115, v43
	s_cbranch_execz .LBB1533_513
.LBB1533_583:                           ;   in Loop: Header=BB1533_410 Depth=2
	v_add_co_u32 v11, s40, 0x800, v4
	v_add_co_ci_u32_e64 v12, null, 0, v5, s40
	global_load_dwordx2 v[11:12], v[11:12], off offset:1792
	s_or_b32 exec_lo, exec_lo, s50
	s_mov_b32 s50, exec_lo
	v_cmpx_lt_u32_e64 v116, v43
	s_cbranch_execz .LBB1533_514
.LBB1533_584:                           ;   in Loop: Header=BB1533_410 Depth=2
	v_add_co_u32 v4, s40, 0x1000, v4
	v_add_co_ci_u32_e64 v5, null, 0, v5, s40
	global_load_dwordx2 v[9:10], v[4:5], off
	s_or_b32 exec_lo, exec_lo, s50
	s_and_saveexec_b32 s40, s39
	s_cbranch_execz .LBB1533_515
.LBB1533_585:                           ;   in Loop: Header=BB1533_410 Depth=2
	ds_read_u8 v4, v0 offset:512
	s_waitcnt lgkmcnt(0)
	v_lshrrev_b32_e32 v4, s61, v4
	v_and_b32_e32 v134, s62, v4
	s_or_b32 exec_lo, exec_lo, s40
	s_and_saveexec_b32 s40, s38
	s_cbranch_execz .LBB1533_516
.LBB1533_586:                           ;   in Loop: Header=BB1533_410 Depth=2
	ds_read_u8 v4, v0 offset:768
	s_waitcnt lgkmcnt(0)
	v_lshrrev_b32_e32 v4, s61, v4
	v_and_b32_e32 v133, s62, v4
	s_or_b32 exec_lo, exec_lo, s40
	s_and_saveexec_b32 s40, s37
	s_cbranch_execz .LBB1533_517
.LBB1533_587:                           ;   in Loop: Header=BB1533_410 Depth=2
	ds_read_u8 v4, v0 offset:1024
	s_waitcnt lgkmcnt(0)
	v_lshrrev_b32_e32 v4, s61, v4
	v_and_b32_e32 v132, s62, v4
	s_or_b32 exec_lo, exec_lo, s40
	s_and_saveexec_b32 s40, s36
	s_cbranch_execz .LBB1533_518
.LBB1533_588:                           ;   in Loop: Header=BB1533_410 Depth=2
	ds_read_u8 v4, v0 offset:1280
	s_waitcnt lgkmcnt(0)
	v_lshrrev_b32_e32 v4, s61, v4
	v_and_b32_e32 v131, s62, v4
	s_or_b32 exec_lo, exec_lo, s40
	s_and_saveexec_b32 s40, s35
	s_cbranch_execz .LBB1533_519
.LBB1533_589:                           ;   in Loop: Header=BB1533_410 Depth=2
	ds_read_u8 v4, v0 offset:1536
	s_waitcnt lgkmcnt(0)
	v_lshrrev_b32_e32 v4, s61, v4
	v_and_b32_e32 v130, s62, v4
	s_or_b32 exec_lo, exec_lo, s40
	s_and_saveexec_b32 s40, s34
	s_cbranch_execz .LBB1533_520
.LBB1533_590:                           ;   in Loop: Header=BB1533_410 Depth=2
	ds_read_u8 v4, v0 offset:1792
	s_waitcnt lgkmcnt(0)
	v_lshrrev_b32_e32 v4, s61, v4
	v_and_b32_e32 v129, s62, v4
	s_or_b32 exec_lo, exec_lo, s40
	s_and_saveexec_b32 s40, s33
	s_cbranch_execz .LBB1533_521
.LBB1533_591:                           ;   in Loop: Header=BB1533_410 Depth=2
	ds_read_u8 v4, v0 offset:2048
	s_waitcnt lgkmcnt(0)
	v_lshrrev_b32_e32 v4, s61, v4
	v_and_b32_e32 v128, s62, v4
	s_or_b32 exec_lo, exec_lo, s40
	s_and_saveexec_b32 s40, s31
	s_cbranch_execz .LBB1533_522
.LBB1533_592:                           ;   in Loop: Header=BB1533_410 Depth=2
	ds_read_u8 v4, v0 offset:2304
	s_waitcnt lgkmcnt(0)
	v_lshrrev_b32_e32 v4, s61, v4
	v_and_b32_e32 v127, s62, v4
	s_or_b32 exec_lo, exec_lo, s40
	s_and_saveexec_b32 s40, s30
	s_cbranch_execz .LBB1533_523
.LBB1533_593:                           ;   in Loop: Header=BB1533_410 Depth=2
	ds_read_u8 v4, v0 offset:2560
	s_waitcnt lgkmcnt(0)
	v_lshrrev_b32_e32 v4, s61, v4
	v_and_b32_e32 v126, s62, v4
	s_or_b32 exec_lo, exec_lo, s40
	s_and_saveexec_b32 s40, s29
	s_cbranch_execz .LBB1533_524
.LBB1533_594:                           ;   in Loop: Header=BB1533_410 Depth=2
	ds_read_u8 v4, v0 offset:2816
	s_waitcnt lgkmcnt(0)
	v_lshrrev_b32_e32 v4, s61, v4
	v_and_b32_e32 v125, s62, v4
	s_or_b32 exec_lo, exec_lo, s40
	s_and_saveexec_b32 s40, s27
	s_cbranch_execz .LBB1533_525
.LBB1533_595:                           ;   in Loop: Header=BB1533_410 Depth=2
	ds_read_u8 v4, v0 offset:3072
	s_waitcnt lgkmcnt(0)
	v_lshrrev_b32_e32 v4, s61, v4
	v_and_b32_e32 v124, s62, v4
	s_or_b32 exec_lo, exec_lo, s40
	s_and_saveexec_b32 s40, s26
	s_cbranch_execz .LBB1533_526
.LBB1533_596:                           ;   in Loop: Header=BB1533_410 Depth=2
	ds_read_u8 v4, v0 offset:3328
	s_waitcnt lgkmcnt(0)
	v_lshrrev_b32_e32 v4, s61, v4
	v_and_b32_e32 v123, s62, v4
	s_or_b32 exec_lo, exec_lo, s40
	s_and_saveexec_b32 s40, s25
	s_cbranch_execz .LBB1533_527
.LBB1533_597:                           ;   in Loop: Header=BB1533_410 Depth=2
	ds_read_u8 v4, v0 offset:3584
	s_waitcnt lgkmcnt(0)
	v_lshrrev_b32_e32 v4, s61, v4
	v_and_b32_e32 v122, s62, v4
	s_or_b32 exec_lo, exec_lo, s40
	s_and_saveexec_b32 s40, s24
	s_cbranch_execz .LBB1533_528
.LBB1533_598:                           ;   in Loop: Header=BB1533_410 Depth=2
	ds_read_u8 v4, v0 offset:3840
	s_waitcnt lgkmcnt(0)
	v_lshrrev_b32_e32 v4, s61, v4
	v_and_b32_e32 v121, s62, v4
	s_or_b32 exec_lo, exec_lo, s40
	s_and_saveexec_b32 s40, s23
	s_cbranch_execz .LBB1533_529
.LBB1533_599:                           ;   in Loop: Header=BB1533_410 Depth=2
	ds_read_u8 v4, v0 offset:4096
	s_waitcnt lgkmcnt(0)
	v_lshrrev_b32_e32 v4, s61, v4
	v_and_b32_e32 v120, s62, v4
	s_or_b32 exec_lo, exec_lo, s40
	s_and_saveexec_b32 s40, s22
	s_cbranch_execz .LBB1533_530
.LBB1533_600:                           ;   in Loop: Header=BB1533_410 Depth=2
	ds_read_u8 v4, v0 offset:4352
	s_waitcnt lgkmcnt(0)
	v_lshrrev_b32_e32 v4, s61, v4
	v_and_b32_e32 v119, s62, v4
	s_or_b32 exec_lo, exec_lo, s40
	s_and_saveexec_b32 s40, vcc_lo
	s_cbranch_execnz .LBB1533_531
	s_branch .LBB1533_532
.LBB1533_601:                           ;   in Loop: Header=BB1533_410 Depth=2
	v_lshlrev_b32_e32 v4, 2, v134
	v_mov_b32_e32 v7, v3
	ds_read_b32 v6, v4
	v_add_nc_u32_e32 v4, v0, v77
	ds_read_b64 v[4:5], v4 offset:512
	s_waitcnt lgkmcnt(1)
	v_add_nc_u32_e32 v6, v6, v0
	v_lshlrev_b64 v[6:7], 3, v[6:7]
	v_add_co_u32 v6, s39, s54, v6
	v_add_co_ci_u32_e64 v7, null, s55, v7, s39
	s_waitcnt lgkmcnt(0)
	global_store_dwordx2 v[6:7], v[4:5], off
	s_or_b32 exec_lo, exec_lo, s40
	s_and_saveexec_b32 s39, s38
	s_cbranch_execz .LBB1533_534
.LBB1533_602:                           ;   in Loop: Header=BB1533_410 Depth=2
	v_lshlrev_b32_e32 v4, 2, v133
	v_mov_b32_e32 v7, v3
	ds_read_b32 v6, v4
	v_add_nc_u32_e32 v4, v0, v77
	ds_read_b64 v[4:5], v4 offset:2560
	s_waitcnt lgkmcnt(1)
	v_add_nc_u32_e32 v6, v6, v46
	v_lshlrev_b64 v[6:7], 3, v[6:7]
	v_add_co_u32 v6, s38, s54, v6
	v_add_co_ci_u32_e64 v7, null, s55, v7, s38
	s_waitcnt lgkmcnt(0)
	global_store_dwordx2 v[6:7], v[4:5], off
	s_or_b32 exec_lo, exec_lo, s39
	s_and_saveexec_b32 s38, s37
	s_cbranch_execz .LBB1533_535
.LBB1533_603:                           ;   in Loop: Header=BB1533_410 Depth=2
	v_lshlrev_b32_e32 v4, 2, v132
	v_mov_b32_e32 v7, v3
	ds_read_b32 v6, v4
	v_add_nc_u32_e32 v4, v0, v77
	ds_read_b64 v[4:5], v4 offset:4608
	s_waitcnt lgkmcnt(1)
	v_add_nc_u32_e32 v6, v6, v49
	v_lshlrev_b64 v[6:7], 3, v[6:7]
	v_add_co_u32 v6, s37, s54, v6
	v_add_co_ci_u32_e64 v7, null, s55, v7, s37
	s_waitcnt lgkmcnt(0)
	global_store_dwordx2 v[6:7], v[4:5], off
	s_or_b32 exec_lo, exec_lo, s38
	s_and_saveexec_b32 s37, s36
	s_cbranch_execz .LBB1533_536
.LBB1533_604:                           ;   in Loop: Header=BB1533_410 Depth=2
	v_lshlrev_b32_e32 v4, 2, v131
	v_mov_b32_e32 v7, v3
	ds_read_b32 v6, v4
	v_add_nc_u32_e32 v4, v0, v77
	ds_read_b64 v[4:5], v4 offset:6656
	s_waitcnt lgkmcnt(1)
	v_add_nc_u32_e32 v6, v6, v50
	v_lshlrev_b64 v[6:7], 3, v[6:7]
	v_add_co_u32 v6, s36, s54, v6
	v_add_co_ci_u32_e64 v7, null, s55, v7, s36
	s_waitcnt lgkmcnt(0)
	global_store_dwordx2 v[6:7], v[4:5], off
	s_or_b32 exec_lo, exec_lo, s37
	s_and_saveexec_b32 s36, s35
	s_cbranch_execz .LBB1533_537
.LBB1533_605:                           ;   in Loop: Header=BB1533_410 Depth=2
	v_lshlrev_b32_e32 v4, 2, v130
	v_mov_b32_e32 v7, v3
	ds_read_b32 v6, v4
	v_add_nc_u32_e32 v4, v0, v77
	ds_read_b64 v[4:5], v4 offset:8704
	s_waitcnt lgkmcnt(1)
	v_add_nc_u32_e32 v6, v6, v51
	v_lshlrev_b64 v[6:7], 3, v[6:7]
	v_add_co_u32 v6, s35, s54, v6
	v_add_co_ci_u32_e64 v7, null, s55, v7, s35
	s_waitcnt lgkmcnt(0)
	global_store_dwordx2 v[6:7], v[4:5], off
	s_or_b32 exec_lo, exec_lo, s36
	s_and_saveexec_b32 s35, s34
	s_cbranch_execz .LBB1533_538
.LBB1533_606:                           ;   in Loop: Header=BB1533_410 Depth=2
	v_lshlrev_b32_e32 v4, 2, v129
	v_mov_b32_e32 v7, v3
	ds_read_b32 v6, v4
	v_add_nc_u32_e32 v4, v0, v77
	ds_read_b64 v[4:5], v4 offset:10752
	s_waitcnt lgkmcnt(1)
	v_add_nc_u32_e32 v6, v6, v52
	v_lshlrev_b64 v[6:7], 3, v[6:7]
	v_add_co_u32 v6, s34, s54, v6
	v_add_co_ci_u32_e64 v7, null, s55, v7, s34
	s_waitcnt lgkmcnt(0)
	global_store_dwordx2 v[6:7], v[4:5], off
	s_or_b32 exec_lo, exec_lo, s35
	s_and_saveexec_b32 s34, s33
	s_cbranch_execz .LBB1533_539
.LBB1533_607:                           ;   in Loop: Header=BB1533_410 Depth=2
	v_lshlrev_b32_e32 v4, 2, v128
	v_mov_b32_e32 v7, v3
	ds_read_b32 v6, v4
	v_add_nc_u32_e32 v4, v0, v77
	ds_read_b64 v[4:5], v4 offset:12800
	s_waitcnt lgkmcnt(1)
	v_add_nc_u32_e32 v6, v6, v53
	v_lshlrev_b64 v[6:7], 3, v[6:7]
	v_add_co_u32 v6, s33, s54, v6
	v_add_co_ci_u32_e64 v7, null, s55, v7, s33
	s_waitcnt lgkmcnt(0)
	global_store_dwordx2 v[6:7], v[4:5], off
	s_or_b32 exec_lo, exec_lo, s34
	s_and_saveexec_b32 s33, s31
	s_cbranch_execz .LBB1533_540
.LBB1533_608:                           ;   in Loop: Header=BB1533_410 Depth=2
	v_lshlrev_b32_e32 v4, 2, v127
	v_mov_b32_e32 v7, v3
	ds_read_b32 v6, v4
	v_add_nc_u32_e32 v4, v0, v77
	ds_read_b64 v[4:5], v4 offset:14848
	s_waitcnt lgkmcnt(1)
	v_add_nc_u32_e32 v6, v6, v54
	v_lshlrev_b64 v[6:7], 3, v[6:7]
	v_add_co_u32 v6, s31, s54, v6
	v_add_co_ci_u32_e64 v7, null, s55, v7, s31
	s_waitcnt lgkmcnt(0)
	global_store_dwordx2 v[6:7], v[4:5], off
	s_or_b32 exec_lo, exec_lo, s33
	s_and_saveexec_b32 s31, s30
	s_cbranch_execz .LBB1533_541
.LBB1533_609:                           ;   in Loop: Header=BB1533_410 Depth=2
	v_lshlrev_b32_e32 v4, 2, v126
	v_mov_b32_e32 v7, v3
	ds_read_b32 v6, v4
	v_add_nc_u32_e32 v4, v0, v77
	ds_read_b64 v[4:5], v4 offset:16896
	s_waitcnt lgkmcnt(1)
	v_add_nc_u32_e32 v6, v6, v55
	v_lshlrev_b64 v[6:7], 3, v[6:7]
	v_add_co_u32 v6, s30, s54, v6
	v_add_co_ci_u32_e64 v7, null, s55, v7, s30
	s_waitcnt lgkmcnt(0)
	global_store_dwordx2 v[6:7], v[4:5], off
	s_or_b32 exec_lo, exec_lo, s31
	s_and_saveexec_b32 s30, s29
	s_cbranch_execz .LBB1533_542
.LBB1533_610:                           ;   in Loop: Header=BB1533_410 Depth=2
	v_lshlrev_b32_e32 v4, 2, v125
	v_mov_b32_e32 v7, v3
	ds_read_b32 v6, v4
	v_add_nc_u32_e32 v4, v0, v77
	ds_read_b64 v[4:5], v4 offset:18944
	s_waitcnt lgkmcnt(1)
	v_add_nc_u32_e32 v6, v6, v56
	v_lshlrev_b64 v[6:7], 3, v[6:7]
	v_add_co_u32 v6, s29, s54, v6
	v_add_co_ci_u32_e64 v7, null, s55, v7, s29
	s_waitcnt lgkmcnt(0)
	global_store_dwordx2 v[6:7], v[4:5], off
	s_or_b32 exec_lo, exec_lo, s30
	s_and_saveexec_b32 s29, s27
	s_cbranch_execz .LBB1533_543
.LBB1533_611:                           ;   in Loop: Header=BB1533_410 Depth=2
	v_lshlrev_b32_e32 v4, 2, v124
	v_mov_b32_e32 v7, v3
	ds_read_b32 v6, v4
	v_add_nc_u32_e32 v4, v0, v77
	ds_read_b64 v[4:5], v4 offset:20992
	s_waitcnt lgkmcnt(1)
	v_add_nc_u32_e32 v6, v6, v57
	v_lshlrev_b64 v[6:7], 3, v[6:7]
	v_add_co_u32 v6, s27, s54, v6
	v_add_co_ci_u32_e64 v7, null, s55, v7, s27
	s_waitcnt lgkmcnt(0)
	global_store_dwordx2 v[6:7], v[4:5], off
	s_or_b32 exec_lo, exec_lo, s29
	s_and_saveexec_b32 s27, s26
	s_cbranch_execz .LBB1533_544
.LBB1533_612:                           ;   in Loop: Header=BB1533_410 Depth=2
	v_lshlrev_b32_e32 v4, 2, v123
	v_mov_b32_e32 v7, v3
	ds_read_b32 v6, v4
	v_add_nc_u32_e32 v4, v0, v77
	ds_read_b64 v[4:5], v4 offset:23040
	s_waitcnt lgkmcnt(1)
	v_add_nc_u32_e32 v6, v6, v58
	v_lshlrev_b64 v[6:7], 3, v[6:7]
	v_add_co_u32 v6, s26, s54, v6
	v_add_co_ci_u32_e64 v7, null, s55, v7, s26
	s_waitcnt lgkmcnt(0)
	global_store_dwordx2 v[6:7], v[4:5], off
	s_or_b32 exec_lo, exec_lo, s27
	s_and_saveexec_b32 s26, s25
	s_cbranch_execz .LBB1533_545
.LBB1533_613:                           ;   in Loop: Header=BB1533_410 Depth=2
	v_lshlrev_b32_e32 v4, 2, v122
	v_mov_b32_e32 v7, v3
	ds_read_b32 v6, v4
	v_add_nc_u32_e32 v4, v0, v77
	ds_read_b64 v[4:5], v4 offset:25088
	s_waitcnt lgkmcnt(1)
	v_add_nc_u32_e32 v6, v6, v59
	v_lshlrev_b64 v[6:7], 3, v[6:7]
	v_add_co_u32 v6, s25, s54, v6
	v_add_co_ci_u32_e64 v7, null, s55, v7, s25
	s_waitcnt lgkmcnt(0)
	global_store_dwordx2 v[6:7], v[4:5], off
	s_or_b32 exec_lo, exec_lo, s26
	s_and_saveexec_b32 s25, s24
	s_cbranch_execz .LBB1533_546
.LBB1533_614:                           ;   in Loop: Header=BB1533_410 Depth=2
	v_lshlrev_b32_e32 v4, 2, v121
	v_mov_b32_e32 v7, v3
	ds_read_b32 v6, v4
	v_add_nc_u32_e32 v4, v0, v77
	ds_read_b64 v[4:5], v4 offset:27136
	s_waitcnt lgkmcnt(1)
	v_add_nc_u32_e32 v6, v6, v60
	v_lshlrev_b64 v[6:7], 3, v[6:7]
	v_add_co_u32 v6, s24, s54, v6
	v_add_co_ci_u32_e64 v7, null, s55, v7, s24
	s_waitcnt lgkmcnt(0)
	global_store_dwordx2 v[6:7], v[4:5], off
	s_or_b32 exec_lo, exec_lo, s25
	s_and_saveexec_b32 s24, s23
	s_cbranch_execz .LBB1533_547
.LBB1533_615:                           ;   in Loop: Header=BB1533_410 Depth=2
	v_lshlrev_b32_e32 v4, 2, v120
	v_mov_b32_e32 v7, v3
	ds_read_b32 v6, v4
	v_add_nc_u32_e32 v4, v0, v77
	ds_read_b64 v[4:5], v4 offset:29184
	s_waitcnt lgkmcnt(1)
	v_add_nc_u32_e32 v6, v6, v61
	v_lshlrev_b64 v[6:7], 3, v[6:7]
	v_add_co_u32 v6, s23, s54, v6
	v_add_co_ci_u32_e64 v7, null, s55, v7, s23
	s_waitcnt lgkmcnt(0)
	global_store_dwordx2 v[6:7], v[4:5], off
	s_or_b32 exec_lo, exec_lo, s24
	s_and_saveexec_b32 s23, s22
	s_cbranch_execz .LBB1533_548
.LBB1533_616:                           ;   in Loop: Header=BB1533_410 Depth=2
	v_lshlrev_b32_e32 v4, 2, v119
	v_mov_b32_e32 v7, v3
	ds_read_b32 v6, v4
	v_add_nc_u32_e32 v4, v0, v77
	ds_read_b64 v[4:5], v4 offset:31232
	s_waitcnt lgkmcnt(1)
	v_add_nc_u32_e32 v6, v6, v62
	v_lshlrev_b64 v[6:7], 3, v[6:7]
	v_add_co_u32 v6, s22, s54, v6
	v_add_co_ci_u32_e64 v7, null, s55, v7, s22
	s_waitcnt lgkmcnt(0)
	global_store_dwordx2 v[6:7], v[4:5], off
	s_or_b32 exec_lo, exec_lo, s23
	s_and_saveexec_b32 s22, vcc_lo
	s_cbranch_execnz .LBB1533_549
	s_branch .LBB1533_550
.LBB1533_617:                           ;   in Loop: Header=BB1533_410 Depth=2
	global_load_ubyte v4, v[43:44], off
	v_mov_b32_e32 v5, v3
	v_mov_b32_e32 v6, v3
	;; [unrolled: 1-line block ×4, first 2 shown]
	s_or_b32 exec_lo, exec_lo, s22
	s_mov_b32 s22, exec_lo
	v_cmpx_gt_u32_e64 s63, v101
	s_cbranch_execz .LBB1533_415
.LBB1533_618:                           ;   in Loop: Header=BB1533_410 Depth=2
	global_load_ubyte v137, v[43:44], off offset:32
	v_and_b32_e32 v8, 0xff, v8
	s_waitcnt vmcnt(0)
	v_perm_b32 v4, v4, v137, 0x7060004
	s_or_b32 exec_lo, exec_lo, s22
	s_mov_b32 s22, exec_lo
	v_cmpx_gt_u32_e64 s63, v102
	s_cbranch_execz .LBB1533_416
.LBB1533_619:                           ;   in Loop: Header=BB1533_410 Depth=2
	global_load_ubyte v137, v[43:44], off offset:64
	v_and_b32_e32 v8, 0xff, v8
	s_waitcnt vmcnt(0)
	v_perm_b32 v4, v4, v137, 0x7000504
	s_or_b32 exec_lo, exec_lo, s22
	s_mov_b32 s22, exec_lo
	v_cmpx_gt_u32_e64 s63, v103
	s_cbranch_execz .LBB1533_417
.LBB1533_620:                           ;   in Loop: Header=BB1533_410 Depth=2
	global_load_ubyte v137, v[43:44], off offset:96
	v_and_b32_e32 v8, 0xff, v8
	s_waitcnt vmcnt(0)
	v_perm_b32 v4, v4, v137, 0x60504
	s_or_b32 exec_lo, exec_lo, s22
	s_mov_b32 s22, exec_lo
	v_cmpx_gt_u32_e64 s63, v104
	s_cbranch_execz .LBB1533_418
.LBB1533_621:                           ;   in Loop: Header=BB1533_410 Depth=2
	global_load_ubyte v137, v[43:44], off offset:128
	v_and_b32_e32 v8, 0xff, v8
	s_waitcnt vmcnt(0)
	v_perm_b32 v5, v137, v5, 0x3020104
	s_or_b32 exec_lo, exec_lo, s22
	s_mov_b32 s22, exec_lo
	v_cmpx_gt_u32_e64 s63, v105
	s_cbranch_execz .LBB1533_419
.LBB1533_622:                           ;   in Loop: Header=BB1533_410 Depth=2
	global_load_ubyte v137, v[43:44], off offset:160
	v_and_b32_e32 v8, 0xff, v8
	s_waitcnt vmcnt(0)
	v_perm_b32 v5, v5, v137, 0x7060004
	s_or_b32 exec_lo, exec_lo, s22
	s_mov_b32 s22, exec_lo
	v_cmpx_gt_u32_e64 s63, v106
	s_cbranch_execz .LBB1533_420
.LBB1533_623:                           ;   in Loop: Header=BB1533_410 Depth=2
	global_load_ubyte v137, v[43:44], off offset:192
	v_and_b32_e32 v8, 0xff, v8
	s_waitcnt vmcnt(0)
	v_perm_b32 v5, v5, v137, 0x7000504
	s_or_b32 exec_lo, exec_lo, s22
	s_mov_b32 s22, exec_lo
	v_cmpx_gt_u32_e64 s63, v107
	s_cbranch_execz .LBB1533_421
.LBB1533_624:                           ;   in Loop: Header=BB1533_410 Depth=2
	global_load_ubyte v137, v[43:44], off offset:224
	v_and_b32_e32 v8, 0xff, v8
	s_waitcnt vmcnt(0)
	v_perm_b32 v5, v5, v137, 0x60504
	s_or_b32 exec_lo, exec_lo, s22
	s_mov_b32 s22, exec_lo
	v_cmpx_gt_u32_e64 s63, v108
	s_cbranch_execz .LBB1533_422
.LBB1533_625:                           ;   in Loop: Header=BB1533_410 Depth=2
	global_load_ubyte v137, v[43:44], off offset:256
	v_and_b32_e32 v8, 0xff, v8
	s_waitcnt vmcnt(0)
	v_perm_b32 v6, v137, v6, 0x3020104
	s_or_b32 exec_lo, exec_lo, s22
	s_mov_b32 s22, exec_lo
	v_cmpx_gt_u32_e64 s63, v109
	s_cbranch_execz .LBB1533_423
.LBB1533_626:                           ;   in Loop: Header=BB1533_410 Depth=2
	global_load_ubyte v137, v[43:44], off offset:288
	v_and_b32_e32 v8, 0xff, v8
	s_waitcnt vmcnt(0)
	v_perm_b32 v6, v6, v137, 0x7060004
	s_or_b32 exec_lo, exec_lo, s22
	s_mov_b32 s22, exec_lo
	v_cmpx_gt_u32_e64 s63, v110
	s_cbranch_execz .LBB1533_424
.LBB1533_627:                           ;   in Loop: Header=BB1533_410 Depth=2
	global_load_ubyte v137, v[43:44], off offset:320
	v_and_b32_e32 v8, 0xff, v8
	s_waitcnt vmcnt(0)
	v_perm_b32 v6, v6, v137, 0x7000504
	s_or_b32 exec_lo, exec_lo, s22
	s_mov_b32 s22, exec_lo
	v_cmpx_gt_u32_e64 s63, v111
	s_cbranch_execz .LBB1533_425
.LBB1533_628:                           ;   in Loop: Header=BB1533_410 Depth=2
	global_load_ubyte v137, v[43:44], off offset:352
	v_and_b32_e32 v8, 0xff, v8
	s_waitcnt vmcnt(0)
	v_perm_b32 v6, v6, v137, 0x60504
	s_or_b32 exec_lo, exec_lo, s22
	s_mov_b32 s22, exec_lo
	v_cmpx_gt_u32_e64 s63, v112
	s_cbranch_execz .LBB1533_426
.LBB1533_629:                           ;   in Loop: Header=BB1533_410 Depth=2
	global_load_ubyte v137, v[43:44], off offset:384
	v_and_b32_e32 v8, 0xff, v8
	s_waitcnt vmcnt(0)
	v_perm_b32 v7, v137, v7, 0x3020104
	s_or_b32 exec_lo, exec_lo, s22
	s_mov_b32 s22, exec_lo
	v_cmpx_gt_u32_e64 s63, v113
	s_cbranch_execz .LBB1533_427
.LBB1533_630:                           ;   in Loop: Header=BB1533_410 Depth=2
	global_load_ubyte v137, v[43:44], off offset:416
	v_and_b32_e32 v8, 0xff, v8
	s_waitcnt vmcnt(0)
	v_perm_b32 v7, v7, v137, 0x7060004
	s_or_b32 exec_lo, exec_lo, s22
	s_mov_b32 s22, exec_lo
	v_cmpx_gt_u32_e64 s63, v114
	s_cbranch_execz .LBB1533_428
.LBB1533_631:                           ;   in Loop: Header=BB1533_410 Depth=2
	global_load_ubyte v137, v[43:44], off offset:448
	v_and_b32_e32 v8, 0xff, v8
	s_waitcnt vmcnt(0)
	v_perm_b32 v7, v7, v137, 0x7000504
	s_or_b32 exec_lo, exec_lo, s22
	s_mov_b32 s22, exec_lo
	v_cmpx_gt_u32_e64 s63, v115
	s_cbranch_execnz .LBB1533_429
	s_branch .LBB1533_430
.LBB1533_632:                           ;   in Loop: Header=BB1533_12 Depth=1
	s_waitcnt lgkmcnt(0)
	s_barrier
.LBB1533_633:                           ;   in Loop: Header=BB1533_12 Depth=1
	s_mov_b32 s5, 0
.LBB1533_634:                           ;   in Loop: Header=BB1533_12 Depth=1
	s_andn2_b32 vcc_lo, exec_lo, s5
	s_cbranch_vccnz .LBB1533_11
; %bb.635:                              ;   in Loop: Header=BB1533_12 Depth=1
	s_and_b32 vcc_lo, exec_lo, s43
	s_mov_b32 s5, -1
	s_cbranch_vccz .LBB1533_945
; %bb.636:                              ;   in Loop: Header=BB1533_12 Depth=1
	v_mov_b32_e32 v17, 0
	v_mov_b32_e32 v20, 0
	;; [unrolled: 1-line block ×17, first 2 shown]
	s_mov_b32 s5, s60
	s_mov_b32 s16, s58
	s_barrier
	buffer_gl0_inv
	s_branch .LBB1533_638
.LBB1533_637:                           ;   in Loop: Header=BB1533_638 Depth=2
	s_or_b32 exec_lo, exec_lo, s15
	s_addk_i32 s5, 0xef00
	s_cmp_ge_u32 s14, s59
	s_mov_b32 s16, s14
	s_cbranch_scc1 .LBB1533_710
.LBB1533_638:                           ;   Parent Loop BB1533_12 Depth=1
                                        ; =>  This Inner Loop Header: Depth=2
	s_add_i32 s14, s16, 0x1100
	s_mov_b32 s15, -1
	s_cmp_gt_u32 s14, s59
                                        ; implicit-def: $vgpr21
                                        ; implicit-def: $vgpr22
                                        ; implicit-def: $vgpr23
                                        ; implicit-def: $vgpr24
                                        ; implicit-def: $vgpr25
                                        ; implicit-def: $vgpr26
                                        ; implicit-def: $vgpr27
                                        ; implicit-def: $vgpr28
                                        ; implicit-def: $vgpr29
                                        ; implicit-def: $vgpr30
                                        ; implicit-def: $vgpr31
                                        ; implicit-def: $vgpr32
                                        ; implicit-def: $vgpr33
                                        ; implicit-def: $vgpr34
                                        ; implicit-def: $vgpr35
                                        ; implicit-def: $vgpr36
                                        ; implicit-def: $vgpr37
	s_cbranch_scc1 .LBB1533_640
; %bb.639:                              ;   in Loop: Header=BB1533_638 Depth=2
	v_add_co_u32 v38, vcc_lo, v84, s16
	v_add_co_ci_u32_e64 v39, null, 0, v85, vcc_lo
	s_mov_b32 s15, 0
	v_add_co_u32 v21, vcc_lo, 0x800, v38
	v_add_co_ci_u32_e64 v22, null, 0, v39, vcc_lo
	v_add_co_u32 v23, vcc_lo, 0x1000, v38
	v_add_co_ci_u32_e64 v24, null, 0, v39, vcc_lo
	s_clause 0x10
	global_load_ubyte v36, v[21:22], off offset:1792
	global_load_ubyte v37, v[23:24], off
	global_load_ubyte v35, v[21:22], off offset:1536
	global_load_ubyte v34, v[21:22], off offset:1280
	;; [unrolled: 1-line block ×6, first 2 shown]
	global_load_ubyte v29, v[21:22], off
	global_load_ubyte v28, v[38:39], off offset:1792
	global_load_ubyte v27, v[38:39], off offset:1536
	;; [unrolled: 1-line block ×7, first 2 shown]
	global_load_ubyte v21, v[38:39], off
.LBB1533_640:                           ;   in Loop: Header=BB1533_638 Depth=2
	s_andn2_b32 vcc_lo, exec_lo, s15
	s_movk_i32 s15, 0x1100
	s_cbranch_vccnz .LBB1533_660
; %bb.641:                              ;   in Loop: Header=BB1533_638 Depth=2
	s_add_u32 s15, s44, s16
	s_addc_u32 s16, s45, 0
	s_mov_b32 s17, exec_lo
	v_cmpx_gt_u32_e64 s5, v0
	s_cbranch_execnz .LBB1533_694
; %bb.642:                              ;   in Loop: Header=BB1533_638 Depth=2
	s_or_b32 exec_lo, exec_lo, s17
	s_mov_b32 s17, exec_lo
	v_cmpx_gt_u32_e64 s5, v46
	s_cbranch_execnz .LBB1533_695
.LBB1533_643:                           ;   in Loop: Header=BB1533_638 Depth=2
	s_or_b32 exec_lo, exec_lo, s17
	s_mov_b32 s17, exec_lo
	v_cmpx_gt_u32_e64 s5, v49
	s_cbranch_execnz .LBB1533_696
.LBB1533_644:                           ;   in Loop: Header=BB1533_638 Depth=2
	s_or_b32 exec_lo, exec_lo, s17
	s_mov_b32 s17, exec_lo
	v_cmpx_gt_u32_e64 s5, v50
	s_cbranch_execnz .LBB1533_697
.LBB1533_645:                           ;   in Loop: Header=BB1533_638 Depth=2
	s_or_b32 exec_lo, exec_lo, s17
	s_mov_b32 s17, exec_lo
	v_cmpx_gt_u32_e64 s5, v51
	s_cbranch_execnz .LBB1533_698
.LBB1533_646:                           ;   in Loop: Header=BB1533_638 Depth=2
	s_or_b32 exec_lo, exec_lo, s17
	s_mov_b32 s17, exec_lo
	v_cmpx_gt_u32_e64 s5, v52
	s_cbranch_execnz .LBB1533_699
.LBB1533_647:                           ;   in Loop: Header=BB1533_638 Depth=2
	s_or_b32 exec_lo, exec_lo, s17
	s_mov_b32 s17, exec_lo
	v_cmpx_gt_u32_e64 s5, v53
	s_cbranch_execnz .LBB1533_700
.LBB1533_648:                           ;   in Loop: Header=BB1533_638 Depth=2
	s_or_b32 exec_lo, exec_lo, s17
	s_mov_b32 s17, exec_lo
	v_cmpx_gt_u32_e64 s5, v54
	s_cbranch_execnz .LBB1533_701
.LBB1533_649:                           ;   in Loop: Header=BB1533_638 Depth=2
	s_or_b32 exec_lo, exec_lo, s17
	s_mov_b32 s17, exec_lo
	v_cmpx_gt_u32_e64 s5, v55
	s_cbranch_execnz .LBB1533_702
.LBB1533_650:                           ;   in Loop: Header=BB1533_638 Depth=2
	s_or_b32 exec_lo, exec_lo, s17
	s_mov_b32 s17, exec_lo
	v_cmpx_gt_u32_e64 s5, v56
	s_cbranch_execnz .LBB1533_703
.LBB1533_651:                           ;   in Loop: Header=BB1533_638 Depth=2
	s_or_b32 exec_lo, exec_lo, s17
	s_mov_b32 s17, exec_lo
	v_cmpx_gt_u32_e64 s5, v57
	s_cbranch_execnz .LBB1533_704
.LBB1533_652:                           ;   in Loop: Header=BB1533_638 Depth=2
	s_or_b32 exec_lo, exec_lo, s17
	s_mov_b32 s17, exec_lo
	v_cmpx_gt_u32_e64 s5, v58
	s_cbranch_execnz .LBB1533_705
.LBB1533_653:                           ;   in Loop: Header=BB1533_638 Depth=2
	s_or_b32 exec_lo, exec_lo, s17
	s_mov_b32 s17, exec_lo
	v_cmpx_gt_u32_e64 s5, v59
	s_cbranch_execnz .LBB1533_706
.LBB1533_654:                           ;   in Loop: Header=BB1533_638 Depth=2
	s_or_b32 exec_lo, exec_lo, s17
	s_mov_b32 s17, exec_lo
	v_cmpx_gt_u32_e64 s5, v60
	s_cbranch_execnz .LBB1533_707
.LBB1533_655:                           ;   in Loop: Header=BB1533_638 Depth=2
	s_or_b32 exec_lo, exec_lo, s17
	s_mov_b32 s17, exec_lo
	v_cmpx_gt_u32_e64 s5, v61
	s_cbranch_execnz .LBB1533_708
.LBB1533_656:                           ;   in Loop: Header=BB1533_638 Depth=2
	s_or_b32 exec_lo, exec_lo, s17
	s_mov_b32 s17, exec_lo
	v_cmpx_gt_u32_e64 s5, v62
	s_cbranch_execnz .LBB1533_709
.LBB1533_657:                           ;   in Loop: Header=BB1533_638 Depth=2
	s_or_b32 exec_lo, exec_lo, s17
	s_mov_b32 s17, exec_lo
	v_cmpx_gt_u32_e64 s5, v63
	s_cbranch_execz .LBB1533_659
.LBB1533_658:                           ;   in Loop: Header=BB1533_638 Depth=2
	s_waitcnt vmcnt(0)
	v_add_co_u32 v21, s15, s15, v63
	v_add_co_ci_u32_e64 v22, null, s16, 0, s15
	global_load_ubyte v4, v[21:22], off
.LBB1533_659:                           ;   in Loop: Header=BB1533_638 Depth=2
	s_or_b32 exec_lo, exec_lo, s17
	s_waitcnt vmcnt(0)
	v_mov_b32_e32 v21, v17
	v_mov_b32_e32 v22, v20
	;; [unrolled: 1-line block ×17, first 2 shown]
	s_mov_b32 s15, s5
.LBB1533_660:                           ;   in Loop: Header=BB1533_638 Depth=2
	s_waitcnt vmcnt(15)
	v_mov_b32_e32 v4, v37
	v_mov_b32_e32 v5, v36
	s_waitcnt vmcnt(14)
	v_mov_b32_e32 v6, v35
	s_waitcnt vmcnt(13)
	v_mov_b32_e32 v7, v34
	s_waitcnt vmcnt(12)
	v_mov_b32_e32 v8, v33
	s_waitcnt vmcnt(11)
	v_mov_b32_e32 v9, v32
	s_waitcnt vmcnt(10)
	v_mov_b32_e32 v10, v31
	s_waitcnt vmcnt(9)
	v_mov_b32_e32 v11, v30
	s_waitcnt vmcnt(8)
	v_mov_b32_e32 v12, v29
	s_waitcnt vmcnt(7)
	v_mov_b32_e32 v13, v28
	s_waitcnt vmcnt(6)
	v_mov_b32_e32 v14, v27
	s_waitcnt vmcnt(5)
	v_mov_b32_e32 v15, v26
	s_waitcnt vmcnt(4)
	v_mov_b32_e32 v16, v25
	s_waitcnt vmcnt(3)
	v_mov_b32_e32 v18, v24
	s_waitcnt vmcnt(2)
	v_mov_b32_e32 v19, v23
	s_waitcnt vmcnt(1)
	v_mov_b32_e32 v20, v22
	s_waitcnt vmcnt(0)
	v_mov_b32_e32 v17, v21
	s_mov_b32 s16, exec_lo
	v_cmpx_gt_u32_e64 s15, v0
	s_cbranch_execnz .LBB1533_677
; %bb.661:                              ;   in Loop: Header=BB1533_638 Depth=2
	s_or_b32 exec_lo, exec_lo, s16
	s_mov_b32 s16, exec_lo
	v_cmpx_gt_u32_e64 s15, v46
	s_cbranch_execnz .LBB1533_678
.LBB1533_662:                           ;   in Loop: Header=BB1533_638 Depth=2
	s_or_b32 exec_lo, exec_lo, s16
	s_mov_b32 s16, exec_lo
	v_cmpx_gt_u32_e64 s15, v49
	s_cbranch_execnz .LBB1533_679
.LBB1533_663:                           ;   in Loop: Header=BB1533_638 Depth=2
	s_or_b32 exec_lo, exec_lo, s16
	s_mov_b32 s16, exec_lo
	v_cmpx_gt_u32_e64 s15, v50
	s_cbranch_execnz .LBB1533_680
.LBB1533_664:                           ;   in Loop: Header=BB1533_638 Depth=2
	s_or_b32 exec_lo, exec_lo, s16
	s_mov_b32 s16, exec_lo
	v_cmpx_gt_u32_e64 s15, v51
	s_cbranch_execnz .LBB1533_681
.LBB1533_665:                           ;   in Loop: Header=BB1533_638 Depth=2
	s_or_b32 exec_lo, exec_lo, s16
	s_mov_b32 s16, exec_lo
	v_cmpx_gt_u32_e64 s15, v52
	s_cbranch_execnz .LBB1533_682
.LBB1533_666:                           ;   in Loop: Header=BB1533_638 Depth=2
	s_or_b32 exec_lo, exec_lo, s16
	s_mov_b32 s16, exec_lo
	v_cmpx_gt_u32_e64 s15, v53
	s_cbranch_execnz .LBB1533_683
.LBB1533_667:                           ;   in Loop: Header=BB1533_638 Depth=2
	s_or_b32 exec_lo, exec_lo, s16
	s_mov_b32 s16, exec_lo
	v_cmpx_gt_u32_e64 s15, v54
	s_cbranch_execnz .LBB1533_684
.LBB1533_668:                           ;   in Loop: Header=BB1533_638 Depth=2
	s_or_b32 exec_lo, exec_lo, s16
	s_mov_b32 s16, exec_lo
	v_cmpx_gt_u32_e64 s15, v55
	s_cbranch_execnz .LBB1533_685
.LBB1533_669:                           ;   in Loop: Header=BB1533_638 Depth=2
	s_or_b32 exec_lo, exec_lo, s16
	s_mov_b32 s16, exec_lo
	v_cmpx_gt_u32_e64 s15, v56
	s_cbranch_execnz .LBB1533_686
.LBB1533_670:                           ;   in Loop: Header=BB1533_638 Depth=2
	s_or_b32 exec_lo, exec_lo, s16
	s_mov_b32 s16, exec_lo
	v_cmpx_gt_u32_e64 s15, v57
	s_cbranch_execnz .LBB1533_687
.LBB1533_671:                           ;   in Loop: Header=BB1533_638 Depth=2
	s_or_b32 exec_lo, exec_lo, s16
	s_mov_b32 s16, exec_lo
	v_cmpx_gt_u32_e64 s15, v58
	s_cbranch_execnz .LBB1533_688
.LBB1533_672:                           ;   in Loop: Header=BB1533_638 Depth=2
	s_or_b32 exec_lo, exec_lo, s16
	s_mov_b32 s16, exec_lo
	v_cmpx_gt_u32_e64 s15, v59
	s_cbranch_execnz .LBB1533_689
.LBB1533_673:                           ;   in Loop: Header=BB1533_638 Depth=2
	s_or_b32 exec_lo, exec_lo, s16
	s_mov_b32 s16, exec_lo
	v_cmpx_gt_u32_e64 s15, v60
	s_cbranch_execnz .LBB1533_690
.LBB1533_674:                           ;   in Loop: Header=BB1533_638 Depth=2
	s_or_b32 exec_lo, exec_lo, s16
	s_mov_b32 s16, exec_lo
	v_cmpx_gt_u32_e64 s15, v61
	s_cbranch_execnz .LBB1533_691
.LBB1533_675:                           ;   in Loop: Header=BB1533_638 Depth=2
	s_or_b32 exec_lo, exec_lo, s16
	s_mov_b32 s16, exec_lo
	v_cmpx_gt_u32_e64 s15, v62
	s_cbranch_execnz .LBB1533_692
.LBB1533_676:                           ;   in Loop: Header=BB1533_638 Depth=2
	s_or_b32 exec_lo, exec_lo, s16
	v_cmp_gt_u32_e32 vcc_lo, s15, v63
	s_and_saveexec_b32 s15, vcc_lo
	s_cbranch_execz .LBB1533_637
	s_branch .LBB1533_693
.LBB1533_677:                           ;   in Loop: Header=BB1533_638 Depth=2
	v_xor_b32_e32 v21, -1, v17
	v_and_b32_e32 v21, 1, v21
	v_lshrrev_b32_sdwa v21, s41, v21 dst_sel:DWORD dst_unused:UNUSED_PAD src0_sel:DWORD src1_sel:WORD_0
	v_and_b32_e32 v21, s62, v21
	v_lshl_or_b32 v21, v21, 4, v65
	ds_add_u32 v21, v91
	s_or_b32 exec_lo, exec_lo, s16
	s_mov_b32 s16, exec_lo
	v_cmpx_gt_u32_e64 s15, v46
	s_cbranch_execz .LBB1533_662
.LBB1533_678:                           ;   in Loop: Header=BB1533_638 Depth=2
	v_xor_b32_e32 v21, -1, v20
	v_and_b32_e32 v21, 1, v21
	v_lshrrev_b32_sdwa v21, s41, v21 dst_sel:DWORD dst_unused:UNUSED_PAD src0_sel:DWORD src1_sel:WORD_0
	v_and_b32_e32 v21, s62, v21
	v_lshl_or_b32 v21, v21, 4, v65
	ds_add_u32 v21, v91
	s_or_b32 exec_lo, exec_lo, s16
	s_mov_b32 s16, exec_lo
	v_cmpx_gt_u32_e64 s15, v49
	s_cbranch_execz .LBB1533_663
.LBB1533_679:                           ;   in Loop: Header=BB1533_638 Depth=2
	v_xor_b32_e32 v21, -1, v19
	v_and_b32_e32 v21, 1, v21
	v_lshrrev_b32_sdwa v21, s41, v21 dst_sel:DWORD dst_unused:UNUSED_PAD src0_sel:DWORD src1_sel:WORD_0
	v_and_b32_e32 v21, s62, v21
	v_lshl_or_b32 v21, v21, 4, v65
	ds_add_u32 v21, v91
	s_or_b32 exec_lo, exec_lo, s16
	s_mov_b32 s16, exec_lo
	v_cmpx_gt_u32_e64 s15, v50
	s_cbranch_execz .LBB1533_664
.LBB1533_680:                           ;   in Loop: Header=BB1533_638 Depth=2
	v_xor_b32_e32 v21, -1, v18
	v_and_b32_e32 v21, 1, v21
	v_lshrrev_b32_sdwa v21, s41, v21 dst_sel:DWORD dst_unused:UNUSED_PAD src0_sel:DWORD src1_sel:WORD_0
	v_and_b32_e32 v21, s62, v21
	v_lshl_or_b32 v21, v21, 4, v65
	ds_add_u32 v21, v91
	s_or_b32 exec_lo, exec_lo, s16
	s_mov_b32 s16, exec_lo
	v_cmpx_gt_u32_e64 s15, v51
	s_cbranch_execz .LBB1533_665
.LBB1533_681:                           ;   in Loop: Header=BB1533_638 Depth=2
	v_xor_b32_e32 v21, -1, v16
	v_and_b32_e32 v21, 1, v21
	v_lshrrev_b32_sdwa v21, s41, v21 dst_sel:DWORD dst_unused:UNUSED_PAD src0_sel:DWORD src1_sel:WORD_0
	v_and_b32_e32 v21, s62, v21
	v_lshl_or_b32 v21, v21, 4, v65
	ds_add_u32 v21, v91
	s_or_b32 exec_lo, exec_lo, s16
	s_mov_b32 s16, exec_lo
	v_cmpx_gt_u32_e64 s15, v52
	s_cbranch_execz .LBB1533_666
.LBB1533_682:                           ;   in Loop: Header=BB1533_638 Depth=2
	v_xor_b32_e32 v21, -1, v15
	v_and_b32_e32 v21, 1, v21
	v_lshrrev_b32_sdwa v21, s41, v21 dst_sel:DWORD dst_unused:UNUSED_PAD src0_sel:DWORD src1_sel:WORD_0
	v_and_b32_e32 v21, s62, v21
	v_lshl_or_b32 v21, v21, 4, v65
	ds_add_u32 v21, v91
	s_or_b32 exec_lo, exec_lo, s16
	s_mov_b32 s16, exec_lo
	v_cmpx_gt_u32_e64 s15, v53
	s_cbranch_execz .LBB1533_667
.LBB1533_683:                           ;   in Loop: Header=BB1533_638 Depth=2
	v_xor_b32_e32 v21, -1, v14
	v_and_b32_e32 v21, 1, v21
	v_lshrrev_b32_sdwa v21, s41, v21 dst_sel:DWORD dst_unused:UNUSED_PAD src0_sel:DWORD src1_sel:WORD_0
	v_and_b32_e32 v21, s62, v21
	v_lshl_or_b32 v21, v21, 4, v65
	ds_add_u32 v21, v91
	s_or_b32 exec_lo, exec_lo, s16
	s_mov_b32 s16, exec_lo
	v_cmpx_gt_u32_e64 s15, v54
	s_cbranch_execz .LBB1533_668
.LBB1533_684:                           ;   in Loop: Header=BB1533_638 Depth=2
	v_xor_b32_e32 v21, -1, v13
	v_and_b32_e32 v21, 1, v21
	v_lshrrev_b32_sdwa v21, s41, v21 dst_sel:DWORD dst_unused:UNUSED_PAD src0_sel:DWORD src1_sel:WORD_0
	v_and_b32_e32 v21, s62, v21
	v_lshl_or_b32 v21, v21, 4, v65
	ds_add_u32 v21, v91
	s_or_b32 exec_lo, exec_lo, s16
	s_mov_b32 s16, exec_lo
	v_cmpx_gt_u32_e64 s15, v55
	s_cbranch_execz .LBB1533_669
.LBB1533_685:                           ;   in Loop: Header=BB1533_638 Depth=2
	v_xor_b32_e32 v21, -1, v12
	v_and_b32_e32 v21, 1, v21
	v_lshrrev_b32_sdwa v21, s41, v21 dst_sel:DWORD dst_unused:UNUSED_PAD src0_sel:DWORD src1_sel:WORD_0
	v_and_b32_e32 v21, s62, v21
	v_lshl_or_b32 v21, v21, 4, v65
	ds_add_u32 v21, v91
	s_or_b32 exec_lo, exec_lo, s16
	s_mov_b32 s16, exec_lo
	v_cmpx_gt_u32_e64 s15, v56
	s_cbranch_execz .LBB1533_670
.LBB1533_686:                           ;   in Loop: Header=BB1533_638 Depth=2
	v_xor_b32_e32 v21, -1, v11
	v_and_b32_e32 v21, 1, v21
	v_lshrrev_b32_sdwa v21, s41, v21 dst_sel:DWORD dst_unused:UNUSED_PAD src0_sel:DWORD src1_sel:WORD_0
	v_and_b32_e32 v21, s62, v21
	v_lshl_or_b32 v21, v21, 4, v65
	ds_add_u32 v21, v91
	s_or_b32 exec_lo, exec_lo, s16
	s_mov_b32 s16, exec_lo
	v_cmpx_gt_u32_e64 s15, v57
	s_cbranch_execz .LBB1533_671
.LBB1533_687:                           ;   in Loop: Header=BB1533_638 Depth=2
	v_xor_b32_e32 v21, -1, v10
	v_and_b32_e32 v21, 1, v21
	v_lshrrev_b32_sdwa v21, s41, v21 dst_sel:DWORD dst_unused:UNUSED_PAD src0_sel:DWORD src1_sel:WORD_0
	v_and_b32_e32 v21, s62, v21
	v_lshl_or_b32 v21, v21, 4, v65
	ds_add_u32 v21, v91
	s_or_b32 exec_lo, exec_lo, s16
	s_mov_b32 s16, exec_lo
	v_cmpx_gt_u32_e64 s15, v58
	s_cbranch_execz .LBB1533_672
.LBB1533_688:                           ;   in Loop: Header=BB1533_638 Depth=2
	v_xor_b32_e32 v21, -1, v9
	v_and_b32_e32 v21, 1, v21
	v_lshrrev_b32_sdwa v21, s41, v21 dst_sel:DWORD dst_unused:UNUSED_PAD src0_sel:DWORD src1_sel:WORD_0
	v_and_b32_e32 v21, s62, v21
	v_lshl_or_b32 v21, v21, 4, v65
	ds_add_u32 v21, v91
	s_or_b32 exec_lo, exec_lo, s16
	s_mov_b32 s16, exec_lo
	v_cmpx_gt_u32_e64 s15, v59
	s_cbranch_execz .LBB1533_673
.LBB1533_689:                           ;   in Loop: Header=BB1533_638 Depth=2
	v_xor_b32_e32 v21, -1, v8
	v_and_b32_e32 v21, 1, v21
	v_lshrrev_b32_sdwa v21, s41, v21 dst_sel:DWORD dst_unused:UNUSED_PAD src0_sel:DWORD src1_sel:WORD_0
	v_and_b32_e32 v21, s62, v21
	v_lshl_or_b32 v21, v21, 4, v65
	ds_add_u32 v21, v91
	s_or_b32 exec_lo, exec_lo, s16
	s_mov_b32 s16, exec_lo
	v_cmpx_gt_u32_e64 s15, v60
	s_cbranch_execz .LBB1533_674
.LBB1533_690:                           ;   in Loop: Header=BB1533_638 Depth=2
	v_xor_b32_e32 v21, -1, v7
	v_and_b32_e32 v21, 1, v21
	v_lshrrev_b32_sdwa v21, s41, v21 dst_sel:DWORD dst_unused:UNUSED_PAD src0_sel:DWORD src1_sel:WORD_0
	v_and_b32_e32 v21, s62, v21
	v_lshl_or_b32 v21, v21, 4, v65
	ds_add_u32 v21, v91
	s_or_b32 exec_lo, exec_lo, s16
	s_mov_b32 s16, exec_lo
	v_cmpx_gt_u32_e64 s15, v61
	s_cbranch_execz .LBB1533_675
.LBB1533_691:                           ;   in Loop: Header=BB1533_638 Depth=2
	v_xor_b32_e32 v21, -1, v6
	v_and_b32_e32 v21, 1, v21
	v_lshrrev_b32_sdwa v21, s41, v21 dst_sel:DWORD dst_unused:UNUSED_PAD src0_sel:DWORD src1_sel:WORD_0
	v_and_b32_e32 v21, s62, v21
	v_lshl_or_b32 v21, v21, 4, v65
	ds_add_u32 v21, v91
	s_or_b32 exec_lo, exec_lo, s16
	s_mov_b32 s16, exec_lo
	v_cmpx_gt_u32_e64 s15, v62
	s_cbranch_execz .LBB1533_676
.LBB1533_692:                           ;   in Loop: Header=BB1533_638 Depth=2
	v_xor_b32_e32 v21, -1, v5
	v_and_b32_e32 v21, 1, v21
	v_lshrrev_b32_sdwa v21, s41, v21 dst_sel:DWORD dst_unused:UNUSED_PAD src0_sel:DWORD src1_sel:WORD_0
	v_and_b32_e32 v21, s62, v21
	v_lshl_or_b32 v21, v21, 4, v65
	ds_add_u32 v21, v91
	s_or_b32 exec_lo, exec_lo, s16
	v_cmp_gt_u32_e32 vcc_lo, s15, v63
	s_and_saveexec_b32 s15, vcc_lo
	s_cbranch_execz .LBB1533_637
.LBB1533_693:                           ;   in Loop: Header=BB1533_638 Depth=2
	v_xor_b32_e32 v21, -1, v4
	v_and_b32_e32 v21, 1, v21
	v_lshrrev_b32_sdwa v21, s41, v21 dst_sel:DWORD dst_unused:UNUSED_PAD src0_sel:DWORD src1_sel:WORD_0
	v_and_b32_e32 v21, s62, v21
	v_lshl_or_b32 v21, v21, 4, v65
	ds_add_u32 v21, v91
	s_branch .LBB1533_637
.LBB1533_694:                           ;   in Loop: Header=BB1533_638 Depth=2
	s_waitcnt vmcnt(0)
	v_add_co_u32 v21, s18, s15, v0
	v_add_co_ci_u32_e64 v22, null, s16, 0, s18
	global_load_ubyte v17, v[21:22], off
	s_or_b32 exec_lo, exec_lo, s17
	s_mov_b32 s17, exec_lo
	v_cmpx_gt_u32_e64 s5, v46
	s_cbranch_execz .LBB1533_643
.LBB1533_695:                           ;   in Loop: Header=BB1533_638 Depth=2
	v_add_co_u32 v20, s18, s15, v0
	s_waitcnt vmcnt(0)
	v_add_co_ci_u32_e64 v21, null, s16, 0, s18
	global_load_ubyte v20, v[20:21], off offset:256
	s_or_b32 exec_lo, exec_lo, s17
	s_mov_b32 s17, exec_lo
	v_cmpx_gt_u32_e64 s5, v49
	s_cbranch_execz .LBB1533_644
.LBB1533_696:                           ;   in Loop: Header=BB1533_638 Depth=2
	s_waitcnt vmcnt(0)
	v_add_co_u32 v21, s18, s15, v0
	v_add_co_ci_u32_e64 v22, null, s16, 0, s18
	global_load_ubyte v19, v[21:22], off offset:512
	s_or_b32 exec_lo, exec_lo, s17
	s_mov_b32 s17, exec_lo
	v_cmpx_gt_u32_e64 s5, v50
	s_cbranch_execz .LBB1533_645
.LBB1533_697:                           ;   in Loop: Header=BB1533_638 Depth=2
	s_waitcnt vmcnt(0)
	v_add_co_u32 v21, s18, s15, v0
	v_add_co_ci_u32_e64 v22, null, s16, 0, s18
	global_load_ubyte v18, v[21:22], off offset:768
	s_or_b32 exec_lo, exec_lo, s17
	s_mov_b32 s17, exec_lo
	v_cmpx_gt_u32_e64 s5, v51
	s_cbranch_execz .LBB1533_646
.LBB1533_698:                           ;   in Loop: Header=BB1533_638 Depth=2
	s_waitcnt vmcnt(0)
	v_add_co_u32 v21, s18, s15, v0
	v_add_co_ci_u32_e64 v22, null, s16, 0, s18
	global_load_ubyte v16, v[21:22], off offset:1024
	s_or_b32 exec_lo, exec_lo, s17
	s_mov_b32 s17, exec_lo
	v_cmpx_gt_u32_e64 s5, v52
	s_cbranch_execz .LBB1533_647
.LBB1533_699:                           ;   in Loop: Header=BB1533_638 Depth=2
	s_waitcnt vmcnt(0)
	v_add_co_u32 v21, s18, s15, v0
	v_add_co_ci_u32_e64 v22, null, s16, 0, s18
	global_load_ubyte v15, v[21:22], off offset:1280
	s_or_b32 exec_lo, exec_lo, s17
	s_mov_b32 s17, exec_lo
	v_cmpx_gt_u32_e64 s5, v53
	s_cbranch_execz .LBB1533_648
.LBB1533_700:                           ;   in Loop: Header=BB1533_638 Depth=2
	s_waitcnt vmcnt(0)
	v_add_co_u32 v21, s18, s15, v0
	v_add_co_ci_u32_e64 v22, null, s16, 0, s18
	global_load_ubyte v14, v[21:22], off offset:1536
	s_or_b32 exec_lo, exec_lo, s17
	s_mov_b32 s17, exec_lo
	v_cmpx_gt_u32_e64 s5, v54
	s_cbranch_execz .LBB1533_649
.LBB1533_701:                           ;   in Loop: Header=BB1533_638 Depth=2
	s_waitcnt vmcnt(0)
	v_add_co_u32 v21, s18, s15, v0
	v_add_co_ci_u32_e64 v22, null, s16, 0, s18
	global_load_ubyte v13, v[21:22], off offset:1792
	s_or_b32 exec_lo, exec_lo, s17
	s_mov_b32 s17, exec_lo
	v_cmpx_gt_u32_e64 s5, v55
	s_cbranch_execz .LBB1533_650
.LBB1533_702:                           ;   in Loop: Header=BB1533_638 Depth=2
	s_waitcnt vmcnt(0)
	v_add_co_u32 v21, s18, s15, v55
	v_add_co_ci_u32_e64 v22, null, s16, 0, s18
	global_load_ubyte v12, v[21:22], off
	s_or_b32 exec_lo, exec_lo, s17
	s_mov_b32 s17, exec_lo
	v_cmpx_gt_u32_e64 s5, v56
	s_cbranch_execz .LBB1533_651
.LBB1533_703:                           ;   in Loop: Header=BB1533_638 Depth=2
	s_waitcnt vmcnt(0)
	v_add_co_u32 v21, s18, s15, v56
	v_add_co_ci_u32_e64 v22, null, s16, 0, s18
	global_load_ubyte v11, v[21:22], off
	s_or_b32 exec_lo, exec_lo, s17
	s_mov_b32 s17, exec_lo
	v_cmpx_gt_u32_e64 s5, v57
	s_cbranch_execz .LBB1533_652
.LBB1533_704:                           ;   in Loop: Header=BB1533_638 Depth=2
	s_waitcnt vmcnt(0)
	v_add_co_u32 v21, s18, s15, v57
	v_add_co_ci_u32_e64 v22, null, s16, 0, s18
	global_load_ubyte v10, v[21:22], off
	s_or_b32 exec_lo, exec_lo, s17
	s_mov_b32 s17, exec_lo
	v_cmpx_gt_u32_e64 s5, v58
	s_cbranch_execz .LBB1533_653
.LBB1533_705:                           ;   in Loop: Header=BB1533_638 Depth=2
	s_waitcnt vmcnt(0)
	v_add_co_u32 v21, s18, s15, v58
	v_add_co_ci_u32_e64 v22, null, s16, 0, s18
	global_load_ubyte v9, v[21:22], off
	s_or_b32 exec_lo, exec_lo, s17
	s_mov_b32 s17, exec_lo
	v_cmpx_gt_u32_e64 s5, v59
	s_cbranch_execz .LBB1533_654
.LBB1533_706:                           ;   in Loop: Header=BB1533_638 Depth=2
	s_waitcnt vmcnt(0)
	v_add_co_u32 v21, s18, s15, v59
	v_add_co_ci_u32_e64 v22, null, s16, 0, s18
	global_load_ubyte v8, v[21:22], off
	s_or_b32 exec_lo, exec_lo, s17
	s_mov_b32 s17, exec_lo
	v_cmpx_gt_u32_e64 s5, v60
	s_cbranch_execz .LBB1533_655
.LBB1533_707:                           ;   in Loop: Header=BB1533_638 Depth=2
	s_waitcnt vmcnt(0)
	v_add_co_u32 v21, s18, s15, v60
	v_add_co_ci_u32_e64 v22, null, s16, 0, s18
	global_load_ubyte v7, v[21:22], off
	s_or_b32 exec_lo, exec_lo, s17
	s_mov_b32 s17, exec_lo
	v_cmpx_gt_u32_e64 s5, v61
	s_cbranch_execz .LBB1533_656
.LBB1533_708:                           ;   in Loop: Header=BB1533_638 Depth=2
	s_waitcnt vmcnt(0)
	v_add_co_u32 v21, s18, s15, v61
	v_add_co_ci_u32_e64 v22, null, s16, 0, s18
	global_load_ubyte v6, v[21:22], off
	s_or_b32 exec_lo, exec_lo, s17
	s_mov_b32 s17, exec_lo
	v_cmpx_gt_u32_e64 s5, v62
	s_cbranch_execz .LBB1533_657
.LBB1533_709:                           ;   in Loop: Header=BB1533_638 Depth=2
	s_waitcnt vmcnt(0)
	v_add_co_u32 v21, s18, s15, v62
	v_add_co_ci_u32_e64 v22, null, s16, 0, s18
	global_load_ubyte v5, v[21:22], off
	s_or_b32 exec_lo, exec_lo, s17
	s_mov_b32 s17, exec_lo
	v_cmpx_gt_u32_e64 s5, v63
	s_cbranch_execnz .LBB1533_658
	s_branch .LBB1533_659
.LBB1533_710:                           ;   in Loop: Header=BB1533_12 Depth=1
	v_mov_b32_e32 v4, 0
	s_waitcnt lgkmcnt(0)
	s_barrier
	buffer_gl0_inv
	s_and_saveexec_b32 s5, s7
	s_cbranch_execz .LBB1533_712
; %bb.711:                              ;   in Loop: Header=BB1533_12 Depth=1
	ds_read2_b64 v[4:7], v66 offset1:1
	s_waitcnt lgkmcnt(0)
	v_add_nc_u32_e32 v4, v5, v4
	v_add3_u32 v4, v4, v6, v7
.LBB1533_712:                           ;   in Loop: Header=BB1533_12 Depth=1
	s_or_b32 exec_lo, exec_lo, s5
	v_and_b32_e32 v5, 15, v88
	v_mov_b32_dpp v6, v4 row_shr:1 row_mask:0xf bank_mask:0xf
	v_and_b32_e32 v7, 16, v88
	v_cmp_eq_u32_e64 s5, 0, v5
	v_cmp_lt_u32_e64 s14, 1, v5
	v_cmp_lt_u32_e64 s15, 3, v5
	;; [unrolled: 1-line block ×3, first 2 shown]
	v_cmp_eq_u32_e64 s17, 0, v7
	v_cndmask_b32_e64 v6, v6, 0, s5
	v_add_nc_u32_e32 v4, v6, v4
	v_mov_b32_dpp v6, v4 row_shr:2 row_mask:0xf bank_mask:0xf
	v_cndmask_b32_e64 v6, 0, v6, s14
	v_add_nc_u32_e32 v4, v4, v6
	v_mov_b32_dpp v6, v4 row_shr:4 row_mask:0xf bank_mask:0xf
	;; [unrolled: 3-line block ×3, first 2 shown]
	v_cndmask_b32_e64 v5, 0, v6, s16
	v_bfe_i32 v6, v88, 4, 1
	v_add_nc_u32_e32 v4, v4, v5
	ds_swizzle_b32 v5, v4 offset:swizzle(BROADCAST,32,15)
	s_waitcnt lgkmcnt(0)
	v_and_b32_e32 v5, v6, v5
	v_add_nc_u32_e32 v4, v4, v5
	s_and_saveexec_b32 s18, s8
; %bb.713:                              ;   in Loop: Header=BB1533_12 Depth=1
	ds_write_b32 v67, v4
; %bb.714:                              ;   in Loop: Header=BB1533_12 Depth=1
	s_or_b32 exec_lo, exec_lo, s18
	s_waitcnt lgkmcnt(0)
	s_barrier
	buffer_gl0_inv
	s_and_saveexec_b32 s18, s9
	s_cbranch_execz .LBB1533_716
; %bb.715:                              ;   in Loop: Header=BB1533_12 Depth=1
	ds_read_b32 v5, v68
	v_and_b32_e32 v6, 3, v88
	v_cmp_ne_u32_e32 vcc_lo, 0, v6
	s_waitcnt lgkmcnt(0)
	v_mov_b32_dpp v7, v5 row_shr:1 row_mask:0xf bank_mask:0xf
	v_cndmask_b32_e32 v7, 0, v7, vcc_lo
	v_cmp_lt_u32_e32 vcc_lo, 1, v6
	v_add_nc_u32_e32 v5, v7, v5
	v_mov_b32_dpp v7, v5 row_shr:2 row_mask:0xf bank_mask:0xf
	v_cndmask_b32_e32 v6, 0, v7, vcc_lo
	v_add_nc_u32_e32 v5, v5, v6
	ds_write_b32 v68, v5
.LBB1533_716:                           ;   in Loop: Header=BB1533_12 Depth=1
	s_or_b32 exec_lo, exec_lo, s18
	v_mov_b32_e32 v5, 0
	s_waitcnt lgkmcnt(0)
	s_barrier
	buffer_gl0_inv
	s_and_saveexec_b32 s18, s10
; %bb.717:                              ;   in Loop: Header=BB1533_12 Depth=1
	ds_read_b32 v5, v69
; %bb.718:                              ;   in Loop: Header=BB1533_12 Depth=1
	s_or_b32 exec_lo, exec_lo, s18
	v_sub_co_u32 v6, s18, v88, 1
	s_waitcnt lgkmcnt(0)
	v_add_nc_u32_e32 v4, v5, v4
	s_barrier
	v_cmp_gt_i32_e32 vcc_lo, 0, v6
	buffer_gl0_inv
	v_cndmask_b32_e32 v6, v6, v88, vcc_lo
	v_lshlrev_b32_e32 v95, 2, v6
	ds_bpermute_b32 v4, v95, v4
	s_and_saveexec_b32 s19, s7
	s_cbranch_execz .LBB1533_720
; %bb.719:                              ;   in Loop: Header=BB1533_12 Depth=1
	s_waitcnt lgkmcnt(0)
	v_cndmask_b32_e64 v4, v4, v5, s18
	v_add_nc_u32_e32 v4, s58, v4
	ds_write_b32 v45, v4
.LBB1533_720:                           ;   in Loop: Header=BB1533_12 Depth=1
	s_or_b32 exec_lo, exec_lo, s19
	s_load_dwordx2 s[20:21], s[56:57], 0x0
	v_lshlrev_b32_e32 v7, 3, v88
	v_and_b32_e32 v6, 7, v88
	v_or_b32_e32 v96, v88, v70
	v_add_co_u32 v97, vcc_lo, v89, v88
	v_add_co_ci_u32_e64 v98, null, 0, v90, vcc_lo
	v_add_co_u32 v99, vcc_lo, v86, v7
	v_add_co_ci_u32_e64 v100, null, 0, v87, vcc_lo
	v_add_nc_u32_e32 v101, 32, v96
	v_add_nc_u32_e32 v102, 64, v96
	v_add_nc_u32_e32 v103, 0x60, v96
	v_add_nc_u32_e32 v104, 0x80, v96
	v_add_nc_u32_e32 v105, 0xa0, v96
	v_add_nc_u32_e32 v106, 0xc0, v96
	v_add_nc_u32_e32 v107, 0xe0, v96
	v_add_nc_u32_e32 v108, 0x100, v96
	s_waitcnt lgkmcnt(0)
	s_cmp_lt_u32 s28, s21
	v_add_nc_u32_e32 v109, 0x120, v96
	s_cselect_b32 s19, 14, 20
	v_add_nc_u32_e32 v110, 0x140, v96
	s_add_u32 s22, s56, s19
	s_addc_u32 s23, s57, 0
	s_cmp_lt_u32 s6, s20
	global_load_ushort v4, v3, s[22:23]
	s_cselect_b32 s19, 12, 18
	v_add_nc_u32_e32 v111, 0x160, v96
	s_add_u32 s20, s56, s19
	s_addc_u32 s21, s57, 0
	v_cmp_eq_u32_e64 s19, 0, v6
	global_load_ushort v5, v3, s[20:21]
	v_cmp_lt_u32_e64 s20, 1, v6
	v_cmp_lt_u32_e64 s21, 3, v6
	v_add_nc_u32_e32 v112, 0x180, v96
	v_add_nc_u32_e32 v113, 0x1a0, v96
	;; [unrolled: 1-line block ×5, first 2 shown]
	v_mov_b32_e32 v8, 0
	s_mov_b32 s63, s60
	s_mov_b32 s50, s58
                                        ; implicit-def: $vgpr9_vgpr10
                                        ; implicit-def: $vgpr11_vgpr12
                                        ; implicit-def: $vgpr13_vgpr14
                                        ; implicit-def: $vgpr15_vgpr16
                                        ; implicit-def: $vgpr17_vgpr18
                                        ; implicit-def: $vgpr19_vgpr20
                                        ; implicit-def: $vgpr23_vgpr24
                                        ; implicit-def: $vgpr27_vgpr28
                                        ; implicit-def: $vgpr31_vgpr32
                                        ; implicit-def: $vgpr21_vgpr22
                                        ; implicit-def: $vgpr25_vgpr26
                                        ; implicit-def: $vgpr29_vgpr30
                                        ; implicit-def: $vgpr33_vgpr34
                                        ; implicit-def: $vgpr35_vgpr36
                                        ; implicit-def: $vgpr37_vgpr38
                                        ; implicit-def: $vgpr39_vgpr40
                                        ; implicit-def: $vgpr41_vgpr42
                                        ; implicit-def: $vgpr118
                                        ; implicit-def: $vgpr119
                                        ; implicit-def: $vgpr120
                                        ; implicit-def: $vgpr121
                                        ; implicit-def: $vgpr122
                                        ; implicit-def: $vgpr123
                                        ; implicit-def: $vgpr124
                                        ; implicit-def: $vgpr125
                                        ; implicit-def: $vgpr126
                                        ; implicit-def: $vgpr127
                                        ; implicit-def: $vgpr128
                                        ; implicit-def: $vgpr129
                                        ; implicit-def: $vgpr130
                                        ; implicit-def: $vgpr131
                                        ; implicit-def: $vgpr132
                                        ; implicit-def: $vgpr133
                                        ; implicit-def: $vgpr134
                                        ; implicit-def: $vgpr135
                                        ; implicit-def: $vgpr136
	s_waitcnt vmcnt(1)
	v_mad_u32_u24 v4, v2, v4, v1
	s_waitcnt vmcnt(0)
	v_mad_u64_u32 v[4:5], null, v4, v5, v[0:1]
	v_lshrrev_b32_e32 v4, 3, v4
	v_and_b32_e32 v117, 0x1ffffffc, v4
	s_branch .LBB1533_722
.LBB1533_721:                           ;   in Loop: Header=BB1533_722 Depth=2
	s_or_b32 exec_lo, exec_lo, s22
	s_addk_i32 s63, 0xef00
	s_cmp_lt_u32 s64, s59
	s_mov_b32 s50, s64
	s_cbranch_scc0 .LBB1533_944
.LBB1533_722:                           ;   Parent Loop BB1533_12 Depth=1
                                        ; =>  This Inner Loop Header: Depth=2
	s_add_i32 s64, s50, 0x1100
	s_cmp_gt_u32 s64, s59
	s_cbranch_scc1 .LBB1533_724
; %bb.723:                              ;   in Loop: Header=BB1533_722 Depth=2
	v_add_co_u32 v4, vcc_lo, v97, s50
	v_add_co_ci_u32_e64 v5, null, 0, v98, vcc_lo
	v_and_b32_sdwa v8, v94, v8 dst_sel:DWORD dst_unused:UNUSED_PAD src0_sel:DWORD src1_sel:BYTE_0
	s_mov_b32 s22, -1
	s_clause 0xf
	global_load_ubyte v6, v[4:5], off offset:416
	global_load_ubyte v7, v[4:5], off offset:480
	;; [unrolled: 1-line block ×14, first 2 shown]
	global_load_ubyte v147, v[4:5], off
	global_load_ubyte v4, v[4:5], off offset:96
	s_waitcnt vmcnt(12)
	v_perm_b32 v5, v44, v6, 0xc0c0004
	v_perm_b32 v6, v43, v7, 0xc0c0004
	s_waitcnt vmcnt(9)
	v_perm_b32 v44, v139, v138, 0xc0c0004
	s_waitcnt vmcnt(8)
	v_perm_b32 v43, v140, v137, 0xc0c0004
	v_lshl_or_b32 v7, v6, 16, v5
	s_waitcnt vmcnt(5)
	v_perm_b32 v138, v143, v142, 0xc0c0004
	s_waitcnt vmcnt(4)
	v_perm_b32 v137, v144, v141, 0xc0c0004
	v_lshl_or_b32 v6, v44, 16, v43
	;; [unrolled: 5-line block ×3, first 2 shown]
	v_lshl_or_b32 v4, v4, 16, v139
	s_movk_i32 s23, 0x1100
	s_cbranch_execz .LBB1533_725
	s_branch .LBB1533_743
.LBB1533_724:                           ;   in Loop: Header=BB1533_722 Depth=2
	s_mov_b32 s22, 0
                                        ; implicit-def: $vgpr4_vgpr5_vgpr6_vgpr7_vgpr8
	s_movk_i32 s23, 0x1100
.LBB1533_725:                           ;   in Loop: Header=BB1533_722 Depth=2
	v_mov_b32_e32 v7, v3
	v_mov_b32_e32 v4, v3
	;; [unrolled: 1-line block ×4, first 2 shown]
	v_add_co_u32 v43, vcc_lo, v97, s50
	v_mov_b32_e32 v8, v7
	v_add_co_ci_u32_e64 v44, null, 0, v98, vcc_lo
	v_mov_b32_e32 v7, v6
	v_mov_b32_e32 v6, v5
	;; [unrolled: 1-line block ×4, first 2 shown]
	s_mov_b32 s22, exec_lo
	v_cmpx_gt_u32_e64 s63, v96
	s_cbranch_execnz .LBB1533_929
; %bb.726:                              ;   in Loop: Header=BB1533_722 Depth=2
	s_or_b32 exec_lo, exec_lo, s22
	s_mov_b32 s22, exec_lo
	v_cmpx_gt_u32_e64 s63, v101
	s_cbranch_execnz .LBB1533_930
.LBB1533_727:                           ;   in Loop: Header=BB1533_722 Depth=2
	s_or_b32 exec_lo, exec_lo, s22
	s_mov_b32 s22, exec_lo
	v_cmpx_gt_u32_e64 s63, v102
	s_cbranch_execnz .LBB1533_931
.LBB1533_728:                           ;   in Loop: Header=BB1533_722 Depth=2
	s_or_b32 exec_lo, exec_lo, s22
	s_mov_b32 s22, exec_lo
	v_cmpx_gt_u32_e64 s63, v103
	s_cbranch_execnz .LBB1533_932
.LBB1533_729:                           ;   in Loop: Header=BB1533_722 Depth=2
	s_or_b32 exec_lo, exec_lo, s22
	s_mov_b32 s22, exec_lo
	v_cmpx_gt_u32_e64 s63, v104
	s_cbranch_execnz .LBB1533_933
.LBB1533_730:                           ;   in Loop: Header=BB1533_722 Depth=2
	s_or_b32 exec_lo, exec_lo, s22
	s_mov_b32 s22, exec_lo
	v_cmpx_gt_u32_e64 s63, v105
	s_cbranch_execnz .LBB1533_934
.LBB1533_731:                           ;   in Loop: Header=BB1533_722 Depth=2
	s_or_b32 exec_lo, exec_lo, s22
	s_mov_b32 s22, exec_lo
	v_cmpx_gt_u32_e64 s63, v106
	s_cbranch_execnz .LBB1533_935
.LBB1533_732:                           ;   in Loop: Header=BB1533_722 Depth=2
	s_or_b32 exec_lo, exec_lo, s22
	s_mov_b32 s22, exec_lo
	v_cmpx_gt_u32_e64 s63, v107
	s_cbranch_execnz .LBB1533_936
.LBB1533_733:                           ;   in Loop: Header=BB1533_722 Depth=2
	s_or_b32 exec_lo, exec_lo, s22
	s_mov_b32 s22, exec_lo
	v_cmpx_gt_u32_e64 s63, v108
	s_cbranch_execnz .LBB1533_937
.LBB1533_734:                           ;   in Loop: Header=BB1533_722 Depth=2
	s_or_b32 exec_lo, exec_lo, s22
	s_mov_b32 s22, exec_lo
	v_cmpx_gt_u32_e64 s63, v109
	s_cbranch_execnz .LBB1533_938
.LBB1533_735:                           ;   in Loop: Header=BB1533_722 Depth=2
	s_or_b32 exec_lo, exec_lo, s22
	s_mov_b32 s22, exec_lo
	v_cmpx_gt_u32_e64 s63, v110
	s_cbranch_execnz .LBB1533_939
.LBB1533_736:                           ;   in Loop: Header=BB1533_722 Depth=2
	s_or_b32 exec_lo, exec_lo, s22
	s_mov_b32 s22, exec_lo
	v_cmpx_gt_u32_e64 s63, v111
	s_cbranch_execnz .LBB1533_940
.LBB1533_737:                           ;   in Loop: Header=BB1533_722 Depth=2
	s_or_b32 exec_lo, exec_lo, s22
	s_mov_b32 s22, exec_lo
	v_cmpx_gt_u32_e64 s63, v112
	s_cbranch_execnz .LBB1533_941
.LBB1533_738:                           ;   in Loop: Header=BB1533_722 Depth=2
	s_or_b32 exec_lo, exec_lo, s22
	s_mov_b32 s22, exec_lo
	v_cmpx_gt_u32_e64 s63, v113
	s_cbranch_execnz .LBB1533_942
.LBB1533_739:                           ;   in Loop: Header=BB1533_722 Depth=2
	s_or_b32 exec_lo, exec_lo, s22
	s_mov_b32 s22, exec_lo
	v_cmpx_gt_u32_e64 s63, v114
	s_cbranch_execnz .LBB1533_943
.LBB1533_740:                           ;   in Loop: Header=BB1533_722 Depth=2
	s_or_b32 exec_lo, exec_lo, s22
	s_mov_b32 s22, exec_lo
	v_cmpx_gt_u32_e64 s63, v115
	s_cbranch_execz .LBB1533_742
.LBB1533_741:                           ;   in Loop: Header=BB1533_722 Depth=2
	global_load_ubyte v43, v[43:44], off offset:480
	v_and_b32_e32 v8, 0xff, v8
	s_waitcnt vmcnt(0)
	v_perm_b32 v7, v7, v43, 0x60504
.LBB1533_742:                           ;   in Loop: Header=BB1533_722 Depth=2
	s_or_b32 exec_lo, exec_lo, s22
	v_cmp_gt_u32_e64 s22, s63, v116
	s_sub_i32 s23, s59, s50
.LBB1533_743:                           ;   in Loop: Header=BB1533_722 Depth=2
	v_mov_b32_e32 v43, s63
	s_and_saveexec_b32 s24, s22
	s_cbranch_execz .LBB1533_745
; %bb.744:                              ;   in Loop: Header=BB1533_722 Depth=2
	v_add_co_u32 v43, vcc_lo, v97, s50
	v_add_co_ci_u32_e64 v44, null, s51, v98, vcc_lo
	global_load_ubyte v8, v[43:44], off offset:512
	v_mov_b32_e32 v43, s23
.LBB1533_745:                           ;   in Loop: Header=BB1533_722 Depth=2
	s_or_b32 exec_lo, exec_lo, s24
	s_waitcnt vmcnt(0)
	v_and_b32_e32 v44, 1, v4
	v_and_b32_sdwa v140, v91, v4 dst_sel:DWORD dst_unused:UNUSED_PAD src0_sel:DWORD src1_sel:BYTE_1
	v_and_b32_e32 v148, 0x1000000, v4
	v_and_b32_e32 v149, 0x10000, v4
	v_and_b32_sdwa v137, v91, v7 dst_sel:DWORD dst_unused:UNUSED_PAD src0_sel:DWORD src1_sel:BYTE_1
	v_cmp_eq_u32_e32 vcc_lo, 1, v44
	v_and_b32_sdwa v139, v91, v5 dst_sel:DWORD dst_unused:UNUSED_PAD src0_sel:DWORD src1_sel:BYTE_1
	v_and_b32_e32 v146, 0x1000000, v5
	v_and_b32_e32 v147, 0x10000, v5
	;; [unrolled: 1-line block ×3, first 2 shown]
	s_xor_b32 s22, vcc_lo, -1
	v_cmp_eq_u32_e64 s24, 1, v137
	v_cndmask_b32_e64 v44, 0, 1, s22
	v_and_b32_sdwa v138, v91, v6 dst_sel:DWORD dst_unused:UNUSED_PAD src0_sel:DWORD src1_sel:BYTE_1
	v_and_b32_e32 v141, 0x1000000, v7
	v_and_b32_e32 v142, 0x10000, v7
	;; [unrolled: 1-line block ×3, first 2 shown]
	v_lshrrev_b32_e32 v145, s41, v44
	v_and_b32_e32 v143, 0x1000000, v6
	v_and_b32_e32 v144, 0x10000, v6
	v_and_b32_e32 v6, 1, v6
	v_cmp_eq_u32_e64 s35, 1, v5
	v_and_b32_e32 v145, s62, v145
	v_and_b32_e32 v8, 1, v8
	v_cmp_eq_u32_e64 s29, 1, v138
	v_cmp_eq_u32_e64 s34, 1, v139
	;; [unrolled: 1-line block ×3, first 2 shown]
	v_add_co_u32 v4, s22, v145, -1
	v_cndmask_b32_e64 v150, 0, 1, s22
	v_mul_u32_u24_e32 v5, 36, v145
	v_cmp_ne_u32_e64 s23, 0, v142
	v_cmp_eq_u32_e64 s25, 1, v7
	v_cmp_ne_u32_e64 s26, 0, v143
	v_cmp_ne_u32_e64 s22, 0, v150
	;; [unrolled: 1-line block ×3, first 2 shown]
	v_cmp_eq_u32_e64 s30, 1, v6
	v_cmp_ne_u32_e64 s31, 0, v146
	v_cmp_ne_u32_e64 s33, 0, v147
	v_xor_b32_e32 v4, s22, v4
	v_cmp_ne_u32_e64 s22, 0, v141
	v_cmp_ne_u32_e64 s36, 0, v148
	;; [unrolled: 1-line block ×3, first 2 shown]
	v_add_nc_u32_e32 v140, v117, v5
	v_and_b32_e32 v4, exec_lo, v4
	ds_write2_b32 v71, v3, v3 offset0:136 offset1:137
	ds_write2_b32 v71, v3, v3 offset0:138 offset1:139
	ds_write_b32 v71, v3 offset:560
	s_waitcnt lgkmcnt(0)
	v_cmp_eq_u32_e32 vcc_lo, 1, v8
	v_mbcnt_lo_u32_b32 v137, v4, 0
	v_cmp_ne_u32_e64 s40, 0, v4
	s_barrier
	buffer_gl0_inv
	v_cmp_eq_u32_e64 s39, 0, v137
	; wave barrier
	s_and_b32 s40, s40, s39
	s_and_saveexec_b32 s39, s40
; %bb.746:                              ;   in Loop: Header=BB1533_722 Depth=2
	v_bcnt_u32_b32 v4, v4, 0
	ds_write_b32 v140, v4 offset:544
; %bb.747:                              ;   in Loop: Header=BB1533_722 Depth=2
	s_or_b32 exec_lo, exec_lo, s39
	s_xor_b32 s38, s38, -1
	v_cndmask_b32_e64 v150, 0, 1, s38
	; wave barrier
	v_lshrrev_b32_e32 v4, s41, v150
	v_and_b32_e32 v5, s62, v4
	v_add_co_u32 v4, s38, v5, -1
	v_cndmask_b32_e64 v6, 0, 1, s38
	v_cmp_ne_u32_e64 s38, 0, v6
	v_mad_u32_u24 v6, v5, 36, v117
	v_mul_u32_u24_e32 v5, 36, v5
	v_xor_b32_e32 v4, s38, v4
	ds_read_b32 v138, v6 offset:544
	v_add_nc_u32_e32 v143, v117, v5
	; wave barrier
	v_and_b32_e32 v4, exec_lo, v4
	v_mbcnt_lo_u32_b32 v139, v4, 0
	v_cmp_ne_u32_e64 s39, 0, v4
	v_cmp_eq_u32_e64 s38, 0, v139
	s_and_b32 s39, s39, s38
	s_and_saveexec_b32 s38, s39
	s_cbranch_execz .LBB1533_749
; %bb.748:                              ;   in Loop: Header=BB1533_722 Depth=2
	s_waitcnt lgkmcnt(0)
	v_bcnt_u32_b32 v4, v4, v138
	ds_write_b32 v143, v4 offset:544
.LBB1533_749:                           ;   in Loop: Header=BB1533_722 Depth=2
	s_or_b32 exec_lo, exec_lo, s38
	s_xor_b32 s37, s37, -1
	v_cndmask_b32_e64 v153, 0, 1, s37
	; wave barrier
	v_lshrrev_b32_e32 v4, s41, v153
	v_and_b32_e32 v5, s62, v4
	v_add_co_u32 v4, s37, v5, -1
	v_cndmask_b32_e64 v6, 0, 1, s37
	v_cmp_ne_u32_e64 s37, 0, v6
	v_mad_u32_u24 v6, v5, 36, v117
	v_mul_u32_u24_e32 v5, 36, v5
	v_xor_b32_e32 v4, s37, v4
	ds_read_b32 v141, v6 offset:544
	v_add_nc_u32_e32 v146, v117, v5
	; wave barrier
	v_and_b32_e32 v4, exec_lo, v4
	v_mbcnt_lo_u32_b32 v142, v4, 0
	v_cmp_ne_u32_e64 s38, 0, v4
	v_cmp_eq_u32_e64 s37, 0, v142
	s_and_b32 s38, s38, s37
	s_and_saveexec_b32 s37, s38
	s_cbranch_execz .LBB1533_751
; %bb.750:                              ;   in Loop: Header=BB1533_722 Depth=2
	s_waitcnt lgkmcnt(0)
	v_bcnt_u32_b32 v4, v4, v141
	ds_write_b32 v146, v4 offset:544
.LBB1533_751:                           ;   in Loop: Header=BB1533_722 Depth=2
	;; [unrolled: 27-line block ×15, first 2 shown]
	s_or_b32 exec_lo, exec_lo, s22
	s_xor_b32 s22, vcc_lo, -1
	v_cndmask_b32_e64 v8, 0, 1, s22
	; wave barrier
	v_lshrrev_b32_e32 v4, s41, v8
	v_and_b32_e32 v5, s62, v4
	v_add_co_u32 v4, s22, v5, -1
	v_cndmask_b32_e64 v6, 0, 1, s22
	v_cmp_ne_u32_e32 vcc_lo, 0, v6
	v_mad_u32_u24 v6, v5, 36, v117
	v_mul_u32_u24_e32 v5, 36, v5
	v_xor_b32_e32 v4, vcc_lo, v4
	ds_read_b32 v198, v6 offset:544
	v_add_nc_u32_e32 v201, v117, v5
	; wave barrier
	v_and_b32_e32 v4, exec_lo, v4
	v_mbcnt_lo_u32_b32 v199, v4, 0
	v_cmp_ne_u32_e64 s22, 0, v4
	v_cmp_eq_u32_e32 vcc_lo, 0, v199
	s_and_b32 s23, s22, vcc_lo
	s_and_saveexec_b32 s22, s23
	s_cbranch_execz .LBB1533_779
; %bb.778:                              ;   in Loop: Header=BB1533_722 Depth=2
	s_waitcnt lgkmcnt(0)
	v_bcnt_u32_b32 v4, v4, v198
	ds_write_b32 v201, v4 offset:544
.LBB1533_779:                           ;   in Loop: Header=BB1533_722 Depth=2
	s_or_b32 exec_lo, exec_lo, s22
	; wave barrier
	s_waitcnt lgkmcnt(0)
	s_barrier
	buffer_gl0_inv
	ds_read2_b32 v[6:7], v71 offset0:136 offset1:137
	ds_read2_b32 v[4:5], v71 offset0:138 offset1:139
	ds_read_b32 v202, v71 offset:560
	s_waitcnt lgkmcnt(1)
	v_add3_u32 v203, v7, v6, v4
	s_waitcnt lgkmcnt(0)
	v_add3_u32 v202, v203, v5, v202
	v_mov_b32_dpp v203, v202 row_shr:1 row_mask:0xf bank_mask:0xf
	v_cndmask_b32_e64 v203, v203, 0, s5
	v_add_nc_u32_e32 v202, v203, v202
	v_mov_b32_dpp v203, v202 row_shr:2 row_mask:0xf bank_mask:0xf
	v_cndmask_b32_e64 v203, 0, v203, s14
	v_add_nc_u32_e32 v202, v202, v203
	;; [unrolled: 3-line block ×4, first 2 shown]
	ds_swizzle_b32 v203, v202 offset:swizzle(BROADCAST,32,15)
	s_waitcnt lgkmcnt(0)
	v_cndmask_b32_e64 v203, v203, 0, s17
	v_add_nc_u32_e32 v202, v202, v203
	s_and_saveexec_b32 s22, s4
; %bb.780:                              ;   in Loop: Header=BB1533_722 Depth=2
	ds_write_b32 v64, v202 offset:512
; %bb.781:                              ;   in Loop: Header=BB1533_722 Depth=2
	s_or_b32 exec_lo, exec_lo, s22
	s_waitcnt lgkmcnt(0)
	s_barrier
	buffer_gl0_inv
	s_and_saveexec_b32 s22, s11
	s_cbranch_execz .LBB1533_783
; %bb.782:                              ;   in Loop: Header=BB1533_722 Depth=2
	ds_read_b32 v203, v72 offset:512
	s_waitcnt lgkmcnt(0)
	v_mov_b32_dpp v204, v203 row_shr:1 row_mask:0xf bank_mask:0xf
	v_cndmask_b32_e64 v204, v204, 0, s19
	v_add_nc_u32_e32 v203, v204, v203
	v_mov_b32_dpp v204, v203 row_shr:2 row_mask:0xf bank_mask:0xf
	v_cndmask_b32_e64 v204, 0, v204, s20
	v_add_nc_u32_e32 v203, v203, v204
	;; [unrolled: 3-line block ×3, first 2 shown]
	ds_write_b32 v72, v203 offset:512
.LBB1533_783:                           ;   in Loop: Header=BB1533_722 Depth=2
	s_or_b32 exec_lo, exec_lo, s22
	v_mov_b32_e32 v203, 0
	s_waitcnt lgkmcnt(0)
	s_barrier
	buffer_gl0_inv
	s_and_saveexec_b32 s22, s10
; %bb.784:                              ;   in Loop: Header=BB1533_722 Depth=2
	ds_read_b32 v203, v64 offset:508
; %bb.785:                              ;   in Loop: Header=BB1533_722 Depth=2
	s_or_b32 exec_lo, exec_lo, s22
	s_waitcnt lgkmcnt(0)
	v_add_nc_u32_e32 v202, v203, v202
	ds_bpermute_b32 v202, v95, v202
	s_waitcnt lgkmcnt(0)
	v_cndmask_b32_e64 v202, v202, v203, s18
	v_cndmask_b32_e64 v202, v202, 0, s12
	v_add_nc_u32_e32 v6, v202, v6
	v_add_nc_u32_e32 v7, v6, v7
	;; [unrolled: 1-line block ×4, first 2 shown]
	ds_write2_b32 v71, v202, v6 offset0:136 offset1:137
	ds_write2_b32 v71, v7, v4 offset0:138 offset1:139
	ds_write_b32 v71, v5 offset:560
	s_waitcnt lgkmcnt(0)
	s_barrier
	buffer_gl0_inv
	ds_read_b32 v4, v140 offset:544
	ds_read_b32 v5, v143 offset:544
	;; [unrolled: 1-line block ×17, first 2 shown]
	s_and_saveexec_b32 s22, s7
	s_cbranch_execz .LBB1533_789
; %bb.786:                              ;   in Loop: Header=BB1533_722 Depth=2
	v_add_nc_u32_e32 v135, v72, v74
	v_mov_b32_e32 v136, 0x1100
	ds_read_b32 v135, v135 offset:544
	s_and_saveexec_b32 s23, s13
; %bb.787:                              ;   in Loop: Header=BB1533_722 Depth=2
	ds_read_b32 v136, v73 offset:544
; %bb.788:                              ;   in Loop: Header=BB1533_722 Depth=2
	s_or_b32 exec_lo, exec_lo, s23
	s_waitcnt lgkmcnt(0)
	v_sub_nc_u32_e32 v136, v136, v135
.LBB1533_789:                           ;   in Loop: Header=BB1533_722 Depth=2
	s_or_b32 exec_lo, exec_lo, s22
	s_waitcnt lgkmcnt(0)
	s_barrier
	buffer_gl0_inv
	s_and_saveexec_b32 s22, s7
	s_cbranch_execz .LBB1533_791
; %bb.790:                              ;   in Loop: Header=BB1533_722 Depth=2
	ds_read_b32 v146, v45
	s_waitcnt lgkmcnt(0)
	v_sub_nc_u32_e32 v146, v146, v135
	ds_write_b32 v45, v146
.LBB1533_791:                           ;   in Loop: Header=BB1533_722 Depth=2
	s_or_b32 exec_lo, exec_lo, s22
	v_add_nc_u32_e32 v152, v4, v137
	v_add3_u32 v151, v139, v138, v5
	v_add3_u32 v149, v142, v141, v6
	;; [unrolled: 1-line block ×16, first 2 shown]
	v_cmp_lt_u32_e64 s39, v0, v43
	ds_write_b8 v152, v44 offset:512
	ds_write_b8 v151, v150 offset:512
	;; [unrolled: 1-line block ×17, first 2 shown]
	s_waitcnt lgkmcnt(0)
	s_barrier
	buffer_gl0_inv
	s_and_saveexec_b32 s22, s39
	s_cbranch_execnz .LBB1533_864
; %bb.792:                              ;   in Loop: Header=BB1533_722 Depth=2
	s_or_b32 exec_lo, exec_lo, s22
	v_cmp_lt_u32_e64 s38, v46, v43
	s_and_saveexec_b32 s22, s38
	s_cbranch_execnz .LBB1533_865
.LBB1533_793:                           ;   in Loop: Header=BB1533_722 Depth=2
	s_or_b32 exec_lo, exec_lo, s22
	v_cmp_lt_u32_e64 s37, v49, v43
	s_and_saveexec_b32 s22, s37
	s_cbranch_execnz .LBB1533_866
.LBB1533_794:                           ;   in Loop: Header=BB1533_722 Depth=2
	s_or_b32 exec_lo, exec_lo, s22
	v_cmp_lt_u32_e64 s36, v50, v43
	s_and_saveexec_b32 s22, s36
	s_cbranch_execnz .LBB1533_867
.LBB1533_795:                           ;   in Loop: Header=BB1533_722 Depth=2
	s_or_b32 exec_lo, exec_lo, s22
	v_cmp_lt_u32_e64 s35, v51, v43
	s_and_saveexec_b32 s22, s35
	s_cbranch_execnz .LBB1533_868
.LBB1533_796:                           ;   in Loop: Header=BB1533_722 Depth=2
	s_or_b32 exec_lo, exec_lo, s22
	v_cmp_lt_u32_e64 s34, v52, v43
	s_and_saveexec_b32 s22, s34
	s_cbranch_execnz .LBB1533_869
.LBB1533_797:                           ;   in Loop: Header=BB1533_722 Depth=2
	s_or_b32 exec_lo, exec_lo, s22
	v_cmp_lt_u32_e64 s33, v53, v43
	s_and_saveexec_b32 s22, s33
	s_cbranch_execnz .LBB1533_870
.LBB1533_798:                           ;   in Loop: Header=BB1533_722 Depth=2
	s_or_b32 exec_lo, exec_lo, s22
	v_cmp_lt_u32_e64 s31, v54, v43
	s_and_saveexec_b32 s22, s31
	s_cbranch_execnz .LBB1533_871
.LBB1533_799:                           ;   in Loop: Header=BB1533_722 Depth=2
	s_or_b32 exec_lo, exec_lo, s22
	v_cmp_lt_u32_e64 s30, v55, v43
	s_and_saveexec_b32 s22, s30
	s_cbranch_execnz .LBB1533_872
.LBB1533_800:                           ;   in Loop: Header=BB1533_722 Depth=2
	s_or_b32 exec_lo, exec_lo, s22
	v_cmp_lt_u32_e64 s29, v56, v43
	s_and_saveexec_b32 s22, s29
	s_cbranch_execnz .LBB1533_873
.LBB1533_801:                           ;   in Loop: Header=BB1533_722 Depth=2
	s_or_b32 exec_lo, exec_lo, s22
	v_cmp_lt_u32_e64 s27, v57, v43
	s_and_saveexec_b32 s22, s27
	s_cbranch_execnz .LBB1533_874
.LBB1533_802:                           ;   in Loop: Header=BB1533_722 Depth=2
	s_or_b32 exec_lo, exec_lo, s22
	v_cmp_lt_u32_e64 s26, v58, v43
	s_and_saveexec_b32 s22, s26
	s_cbranch_execnz .LBB1533_875
.LBB1533_803:                           ;   in Loop: Header=BB1533_722 Depth=2
	s_or_b32 exec_lo, exec_lo, s22
	v_cmp_lt_u32_e64 s25, v59, v43
	s_and_saveexec_b32 s22, s25
	s_cbranch_execnz .LBB1533_876
.LBB1533_804:                           ;   in Loop: Header=BB1533_722 Depth=2
	s_or_b32 exec_lo, exec_lo, s22
	v_cmp_lt_u32_e64 s24, v60, v43
	s_and_saveexec_b32 s22, s24
	s_cbranch_execnz .LBB1533_877
.LBB1533_805:                           ;   in Loop: Header=BB1533_722 Depth=2
	s_or_b32 exec_lo, exec_lo, s22
	v_cmp_lt_u32_e64 s23, v61, v43
	s_and_saveexec_b32 s22, s23
	s_cbranch_execnz .LBB1533_878
.LBB1533_806:                           ;   in Loop: Header=BB1533_722 Depth=2
	s_or_b32 exec_lo, exec_lo, s22
	v_cmp_lt_u32_e64 s22, v62, v43
	s_and_saveexec_b32 s40, s22
	s_cbranch_execnz .LBB1533_879
.LBB1533_807:                           ;   in Loop: Header=BB1533_722 Depth=2
	s_or_b32 exec_lo, exec_lo, s40
	v_cmp_lt_u32_e32 vcc_lo, v63, v43
	s_and_saveexec_b32 s40, vcc_lo
	s_cbranch_execz .LBB1533_809
.LBB1533_808:                           ;   in Loop: Header=BB1533_722 Depth=2
	ds_read_u8 v4, v0 offset:4608
	s_waitcnt lgkmcnt(0)
	v_and_b32_e32 v5, 1, v4
	v_xor_b32_e32 v4, 1, v4
	v_lshrrev_b32_e32 v5, s41, v5
	v_and_b32_e32 v5, s62, v5
	v_lshlrev_b32_e32 v5, 2, v5
	ds_read_b32 v5, v5
	s_waitcnt lgkmcnt(0)
	v_add_nc_u32_e32 v5, v5, v63
	global_store_byte v5, v4, s[46:47]
.LBB1533_809:                           ;   in Loop: Header=BB1533_722 Depth=2
	s_or_b32 exec_lo, exec_lo, s40
	s_lshl_b64 s[66:67], s[50:51], 3
	v_add_co_u32 v4, s40, v99, s66
	v_add_co_ci_u32_e64 v5, null, s67, v100, s40
	v_cmp_lt_u32_e64 s40, v96, v43
	s_and_saveexec_b32 s50, s40
	s_xor_b32 s40, exec_lo, s50
	s_cbranch_execnz .LBB1533_880
; %bb.810:                              ;   in Loop: Header=BB1533_722 Depth=2
	s_or_b32 exec_lo, exec_lo, s40
	s_mov_b32 s50, exec_lo
	v_cmpx_lt_u32_e64 v101, v43
	s_cbranch_execnz .LBB1533_881
.LBB1533_811:                           ;   in Loop: Header=BB1533_722 Depth=2
	s_or_b32 exec_lo, exec_lo, s50
	s_mov_b32 s50, exec_lo
	v_cmpx_lt_u32_e64 v102, v43
	s_cbranch_execnz .LBB1533_882
.LBB1533_812:                           ;   in Loop: Header=BB1533_722 Depth=2
	s_or_b32 exec_lo, exec_lo, s50
	s_mov_b32 s50, exec_lo
	v_cmpx_lt_u32_e64 v103, v43
	s_cbranch_execnz .LBB1533_883
.LBB1533_813:                           ;   in Loop: Header=BB1533_722 Depth=2
	s_or_b32 exec_lo, exec_lo, s50
	s_mov_b32 s50, exec_lo
	v_cmpx_lt_u32_e64 v104, v43
	s_cbranch_execnz .LBB1533_884
.LBB1533_814:                           ;   in Loop: Header=BB1533_722 Depth=2
	s_or_b32 exec_lo, exec_lo, s50
	s_mov_b32 s50, exec_lo
	v_cmpx_lt_u32_e64 v105, v43
	s_cbranch_execnz .LBB1533_885
.LBB1533_815:                           ;   in Loop: Header=BB1533_722 Depth=2
	s_or_b32 exec_lo, exec_lo, s50
	s_mov_b32 s50, exec_lo
	v_cmpx_lt_u32_e64 v106, v43
	s_cbranch_execnz .LBB1533_886
.LBB1533_816:                           ;   in Loop: Header=BB1533_722 Depth=2
	s_or_b32 exec_lo, exec_lo, s50
	s_mov_b32 s50, exec_lo
	v_cmpx_lt_u32_e64 v107, v43
	s_cbranch_execnz .LBB1533_887
.LBB1533_817:                           ;   in Loop: Header=BB1533_722 Depth=2
	s_or_b32 exec_lo, exec_lo, s50
	s_mov_b32 s50, exec_lo
	v_cmpx_lt_u32_e64 v108, v43
	s_cbranch_execnz .LBB1533_888
.LBB1533_818:                           ;   in Loop: Header=BB1533_722 Depth=2
	s_or_b32 exec_lo, exec_lo, s50
	s_mov_b32 s50, exec_lo
	v_cmpx_lt_u32_e64 v109, v43
	s_cbranch_execnz .LBB1533_889
.LBB1533_819:                           ;   in Loop: Header=BB1533_722 Depth=2
	s_or_b32 exec_lo, exec_lo, s50
	s_mov_b32 s50, exec_lo
	v_cmpx_lt_u32_e64 v110, v43
	s_cbranch_execnz .LBB1533_890
.LBB1533_820:                           ;   in Loop: Header=BB1533_722 Depth=2
	s_or_b32 exec_lo, exec_lo, s50
	s_mov_b32 s50, exec_lo
	v_cmpx_lt_u32_e64 v111, v43
	s_cbranch_execnz .LBB1533_891
.LBB1533_821:                           ;   in Loop: Header=BB1533_722 Depth=2
	s_or_b32 exec_lo, exec_lo, s50
	s_mov_b32 s50, exec_lo
	v_cmpx_lt_u32_e64 v112, v43
	s_cbranch_execnz .LBB1533_892
.LBB1533_822:                           ;   in Loop: Header=BB1533_722 Depth=2
	s_or_b32 exec_lo, exec_lo, s50
	s_mov_b32 s50, exec_lo
	v_cmpx_lt_u32_e64 v113, v43
	s_cbranch_execnz .LBB1533_893
.LBB1533_823:                           ;   in Loop: Header=BB1533_722 Depth=2
	s_or_b32 exec_lo, exec_lo, s50
	s_mov_b32 s50, exec_lo
	v_cmpx_lt_u32_e64 v114, v43
	s_cbranch_execnz .LBB1533_894
.LBB1533_824:                           ;   in Loop: Header=BB1533_722 Depth=2
	s_or_b32 exec_lo, exec_lo, s50
	s_mov_b32 s50, exec_lo
	v_cmpx_lt_u32_e64 v115, v43
	s_cbranch_execnz .LBB1533_895
.LBB1533_825:                           ;   in Loop: Header=BB1533_722 Depth=2
	s_or_b32 exec_lo, exec_lo, s50
	s_mov_b32 s50, exec_lo
	v_cmpx_lt_u32_e64 v116, v43
	s_cbranch_execnz .LBB1533_896
.LBB1533_826:                           ;   in Loop: Header=BB1533_722 Depth=2
	s_or_b32 exec_lo, exec_lo, s50
	s_and_saveexec_b32 s40, s39
	s_cbranch_execnz .LBB1533_897
.LBB1533_827:                           ;   in Loop: Header=BB1533_722 Depth=2
	s_or_b32 exec_lo, exec_lo, s40
	s_and_saveexec_b32 s40, s38
	s_cbranch_execnz .LBB1533_898
.LBB1533_828:                           ;   in Loop: Header=BB1533_722 Depth=2
	s_or_b32 exec_lo, exec_lo, s40
	s_and_saveexec_b32 s40, s37
	s_cbranch_execnz .LBB1533_899
.LBB1533_829:                           ;   in Loop: Header=BB1533_722 Depth=2
	s_or_b32 exec_lo, exec_lo, s40
	s_and_saveexec_b32 s40, s36
	s_cbranch_execnz .LBB1533_900
.LBB1533_830:                           ;   in Loop: Header=BB1533_722 Depth=2
	s_or_b32 exec_lo, exec_lo, s40
	s_and_saveexec_b32 s40, s35
	s_cbranch_execnz .LBB1533_901
.LBB1533_831:                           ;   in Loop: Header=BB1533_722 Depth=2
	s_or_b32 exec_lo, exec_lo, s40
	s_and_saveexec_b32 s40, s34
	s_cbranch_execnz .LBB1533_902
.LBB1533_832:                           ;   in Loop: Header=BB1533_722 Depth=2
	s_or_b32 exec_lo, exec_lo, s40
	s_and_saveexec_b32 s40, s33
	s_cbranch_execnz .LBB1533_903
.LBB1533_833:                           ;   in Loop: Header=BB1533_722 Depth=2
	s_or_b32 exec_lo, exec_lo, s40
	s_and_saveexec_b32 s40, s31
	s_cbranch_execnz .LBB1533_904
.LBB1533_834:                           ;   in Loop: Header=BB1533_722 Depth=2
	s_or_b32 exec_lo, exec_lo, s40
	s_and_saveexec_b32 s40, s30
	s_cbranch_execnz .LBB1533_905
.LBB1533_835:                           ;   in Loop: Header=BB1533_722 Depth=2
	s_or_b32 exec_lo, exec_lo, s40
	s_and_saveexec_b32 s40, s29
	s_cbranch_execnz .LBB1533_906
.LBB1533_836:                           ;   in Loop: Header=BB1533_722 Depth=2
	s_or_b32 exec_lo, exec_lo, s40
	s_and_saveexec_b32 s40, s27
	s_cbranch_execnz .LBB1533_907
.LBB1533_837:                           ;   in Loop: Header=BB1533_722 Depth=2
	s_or_b32 exec_lo, exec_lo, s40
	s_and_saveexec_b32 s40, s26
	s_cbranch_execnz .LBB1533_908
.LBB1533_838:                           ;   in Loop: Header=BB1533_722 Depth=2
	s_or_b32 exec_lo, exec_lo, s40
	s_and_saveexec_b32 s40, s25
	s_cbranch_execnz .LBB1533_909
.LBB1533_839:                           ;   in Loop: Header=BB1533_722 Depth=2
	s_or_b32 exec_lo, exec_lo, s40
	s_and_saveexec_b32 s40, s24
	s_cbranch_execnz .LBB1533_910
.LBB1533_840:                           ;   in Loop: Header=BB1533_722 Depth=2
	s_or_b32 exec_lo, exec_lo, s40
	s_and_saveexec_b32 s40, s23
	s_cbranch_execnz .LBB1533_911
.LBB1533_841:                           ;   in Loop: Header=BB1533_722 Depth=2
	s_or_b32 exec_lo, exec_lo, s40
	s_and_saveexec_b32 s40, s22
	s_cbranch_execnz .LBB1533_912
.LBB1533_842:                           ;   in Loop: Header=BB1533_722 Depth=2
	s_or_b32 exec_lo, exec_lo, s40
	s_and_saveexec_b32 s40, vcc_lo
	s_cbranch_execz .LBB1533_844
.LBB1533_843:                           ;   in Loop: Header=BB1533_722 Depth=2
	ds_read_u8 v4, v0 offset:4608
	s_waitcnt lgkmcnt(0)
	v_lshrrev_b32_e32 v4, s41, v4
	v_and_b32_e32 v118, s62, v4
.LBB1533_844:                           ;   in Loop: Header=BB1533_722 Depth=2
	s_or_b32 exec_lo, exec_lo, s40
	v_lshlrev_b32_e32 v4, 3, v152
	v_lshlrev_b32_e32 v5, 3, v151
	s_waitcnt vmcnt(0)
	s_waitcnt_vscnt null, 0x0
	s_barrier
	buffer_gl0_inv
	ds_write_b64 v4, v[41:42] offset:512
	ds_write_b64 v5, v[39:40] offset:512
	v_lshlrev_b32_e32 v4, 3, v149
	v_lshlrev_b32_e32 v5, 3, v148
	v_lshlrev_b32_e32 v43, 3, v147
	v_lshlrev_b32_e32 v44, 3, v146
	v_lshlrev_b32_e32 v145, 3, v145
	ds_write_b64 v4, v[37:38] offset:512
	ds_write_b64 v5, v[35:36] offset:512
	ds_write_b64 v43, v[33:34] offset:512
	ds_write_b64 v44, v[29:30] offset:512
	ds_write_b64 v145, v[25:26] offset:512
	v_lshlrev_b32_e32 v4, 3, v144
	v_lshlrev_b32_e32 v5, 3, v143
	v_lshlrev_b32_e32 v43, 3, v142
	v_lshlrev_b32_e32 v44, 3, v141
	v_lshlrev_b32_e32 v140, 3, v140
	ds_write_b64 v4, v[21:22] offset:512
	ds_write_b64 v5, v[31:32] offset:512
	ds_write_b64 v43, v[27:28] offset:512
	;; [unrolled: 10-line block ×3, first 2 shown]
	ds_write_b64 v7, v[11:12] offset:512
	ds_write_b64 v6, v[9:10] offset:512
	s_waitcnt lgkmcnt(0)
	s_barrier
	buffer_gl0_inv
	s_and_saveexec_b32 s40, s39
	s_cbranch_execnz .LBB1533_913
; %bb.845:                              ;   in Loop: Header=BB1533_722 Depth=2
	s_or_b32 exec_lo, exec_lo, s40
	s_and_saveexec_b32 s39, s38
	s_cbranch_execnz .LBB1533_914
.LBB1533_846:                           ;   in Loop: Header=BB1533_722 Depth=2
	s_or_b32 exec_lo, exec_lo, s39
	s_and_saveexec_b32 s38, s37
	s_cbranch_execnz .LBB1533_915
.LBB1533_847:                           ;   in Loop: Header=BB1533_722 Depth=2
	s_or_b32 exec_lo, exec_lo, s38
	s_and_saveexec_b32 s37, s36
	s_cbranch_execnz .LBB1533_916
.LBB1533_848:                           ;   in Loop: Header=BB1533_722 Depth=2
	s_or_b32 exec_lo, exec_lo, s37
	s_and_saveexec_b32 s36, s35
	s_cbranch_execnz .LBB1533_917
.LBB1533_849:                           ;   in Loop: Header=BB1533_722 Depth=2
	s_or_b32 exec_lo, exec_lo, s36
	s_and_saveexec_b32 s35, s34
	s_cbranch_execnz .LBB1533_918
.LBB1533_850:                           ;   in Loop: Header=BB1533_722 Depth=2
	s_or_b32 exec_lo, exec_lo, s35
	s_and_saveexec_b32 s34, s33
	s_cbranch_execnz .LBB1533_919
.LBB1533_851:                           ;   in Loop: Header=BB1533_722 Depth=2
	s_or_b32 exec_lo, exec_lo, s34
	s_and_saveexec_b32 s33, s31
	s_cbranch_execnz .LBB1533_920
.LBB1533_852:                           ;   in Loop: Header=BB1533_722 Depth=2
	s_or_b32 exec_lo, exec_lo, s33
	s_and_saveexec_b32 s31, s30
	s_cbranch_execnz .LBB1533_921
.LBB1533_853:                           ;   in Loop: Header=BB1533_722 Depth=2
	s_or_b32 exec_lo, exec_lo, s31
	s_and_saveexec_b32 s30, s29
	s_cbranch_execnz .LBB1533_922
.LBB1533_854:                           ;   in Loop: Header=BB1533_722 Depth=2
	s_or_b32 exec_lo, exec_lo, s30
	s_and_saveexec_b32 s29, s27
	s_cbranch_execnz .LBB1533_923
.LBB1533_855:                           ;   in Loop: Header=BB1533_722 Depth=2
	s_or_b32 exec_lo, exec_lo, s29
	s_and_saveexec_b32 s27, s26
	s_cbranch_execnz .LBB1533_924
.LBB1533_856:                           ;   in Loop: Header=BB1533_722 Depth=2
	s_or_b32 exec_lo, exec_lo, s27
	s_and_saveexec_b32 s26, s25
	s_cbranch_execnz .LBB1533_925
.LBB1533_857:                           ;   in Loop: Header=BB1533_722 Depth=2
	s_or_b32 exec_lo, exec_lo, s26
	s_and_saveexec_b32 s25, s24
	s_cbranch_execnz .LBB1533_926
.LBB1533_858:                           ;   in Loop: Header=BB1533_722 Depth=2
	s_or_b32 exec_lo, exec_lo, s25
	s_and_saveexec_b32 s24, s23
	s_cbranch_execnz .LBB1533_927
.LBB1533_859:                           ;   in Loop: Header=BB1533_722 Depth=2
	s_or_b32 exec_lo, exec_lo, s24
	s_and_saveexec_b32 s23, s22
	s_cbranch_execnz .LBB1533_928
.LBB1533_860:                           ;   in Loop: Header=BB1533_722 Depth=2
	s_or_b32 exec_lo, exec_lo, s23
	s_and_saveexec_b32 s22, vcc_lo
	s_cbranch_execz .LBB1533_862
.LBB1533_861:                           ;   in Loop: Header=BB1533_722 Depth=2
	v_lshlrev_b32_e32 v4, 2, v118
	v_mov_b32_e32 v7, v3
	ds_read_b32 v6, v4
	v_add_nc_u32_e32 v4, v0, v77
	ds_read_b64 v[4:5], v4 offset:33280
	s_waitcnt lgkmcnt(1)
	v_add_nc_u32_e32 v6, v6, v63
	v_lshlrev_b64 v[6:7], 3, v[6:7]
	v_add_co_u32 v6, vcc_lo, s52, v6
	v_add_co_ci_u32_e64 v7, null, s53, v7, vcc_lo
	s_waitcnt lgkmcnt(0)
	global_store_dwordx2 v[6:7], v[4:5], off
.LBB1533_862:                           ;   in Loop: Header=BB1533_722 Depth=2
	s_or_b32 exec_lo, exec_lo, s22
	s_waitcnt_vscnt null, 0x0
	s_barrier
	buffer_gl0_inv
	s_and_saveexec_b32 s22, s7
	s_cbranch_execz .LBB1533_721
; %bb.863:                              ;   in Loop: Header=BB1533_722 Depth=2
	ds_read_b32 v4, v45
	s_waitcnt lgkmcnt(0)
	v_add3_u32 v4, v135, v136, v4
	ds_write_b32 v45, v4
	s_branch .LBB1533_721
.LBB1533_864:                           ;   in Loop: Header=BB1533_722 Depth=2
	ds_read_u8 v4, v0 offset:512
	s_waitcnt lgkmcnt(0)
	v_and_b32_e32 v5, 1, v4
	v_xor_b32_e32 v4, 1, v4
	v_lshrrev_b32_e32 v5, s41, v5
	v_and_b32_e32 v5, s62, v5
	v_lshlrev_b32_e32 v5, 2, v5
	ds_read_b32 v5, v5
	s_waitcnt lgkmcnt(0)
	v_add_nc_u32_e32 v5, v5, v0
	global_store_byte v5, v4, s[46:47]
	s_or_b32 exec_lo, exec_lo, s22
	v_cmp_lt_u32_e64 s38, v46, v43
	s_and_saveexec_b32 s22, s38
	s_cbranch_execz .LBB1533_793
.LBB1533_865:                           ;   in Loop: Header=BB1533_722 Depth=2
	ds_read_u8 v4, v0 offset:768
	s_waitcnt lgkmcnt(0)
	v_and_b32_e32 v5, 1, v4
	v_xor_b32_e32 v4, 1, v4
	v_lshrrev_b32_e32 v5, s41, v5
	v_and_b32_e32 v5, s62, v5
	v_lshlrev_b32_e32 v5, 2, v5
	ds_read_b32 v5, v5
	s_waitcnt lgkmcnt(0)
	v_add_nc_u32_e32 v5, v5, v46
	global_store_byte v5, v4, s[46:47]
	s_or_b32 exec_lo, exec_lo, s22
	v_cmp_lt_u32_e64 s37, v49, v43
	s_and_saveexec_b32 s22, s37
	s_cbranch_execz .LBB1533_794
.LBB1533_866:                           ;   in Loop: Header=BB1533_722 Depth=2
	ds_read_u8 v4, v0 offset:1024
	s_waitcnt lgkmcnt(0)
	v_and_b32_e32 v5, 1, v4
	v_xor_b32_e32 v4, 1, v4
	v_lshrrev_b32_e32 v5, s41, v5
	v_and_b32_e32 v5, s62, v5
	v_lshlrev_b32_e32 v5, 2, v5
	ds_read_b32 v5, v5
	s_waitcnt lgkmcnt(0)
	v_add_nc_u32_e32 v5, v5, v49
	global_store_byte v5, v4, s[46:47]
	s_or_b32 exec_lo, exec_lo, s22
	v_cmp_lt_u32_e64 s36, v50, v43
	s_and_saveexec_b32 s22, s36
	s_cbranch_execz .LBB1533_795
.LBB1533_867:                           ;   in Loop: Header=BB1533_722 Depth=2
	ds_read_u8 v4, v0 offset:1280
	s_waitcnt lgkmcnt(0)
	v_and_b32_e32 v5, 1, v4
	v_xor_b32_e32 v4, 1, v4
	v_lshrrev_b32_e32 v5, s41, v5
	v_and_b32_e32 v5, s62, v5
	v_lshlrev_b32_e32 v5, 2, v5
	ds_read_b32 v5, v5
	s_waitcnt lgkmcnt(0)
	v_add_nc_u32_e32 v5, v5, v50
	global_store_byte v5, v4, s[46:47]
	s_or_b32 exec_lo, exec_lo, s22
	v_cmp_lt_u32_e64 s35, v51, v43
	s_and_saveexec_b32 s22, s35
	s_cbranch_execz .LBB1533_796
.LBB1533_868:                           ;   in Loop: Header=BB1533_722 Depth=2
	ds_read_u8 v4, v0 offset:1536
	s_waitcnt lgkmcnt(0)
	v_and_b32_e32 v5, 1, v4
	v_xor_b32_e32 v4, 1, v4
	v_lshrrev_b32_e32 v5, s41, v5
	v_and_b32_e32 v5, s62, v5
	v_lshlrev_b32_e32 v5, 2, v5
	ds_read_b32 v5, v5
	s_waitcnt lgkmcnt(0)
	v_add_nc_u32_e32 v5, v5, v51
	global_store_byte v5, v4, s[46:47]
	s_or_b32 exec_lo, exec_lo, s22
	v_cmp_lt_u32_e64 s34, v52, v43
	s_and_saveexec_b32 s22, s34
	s_cbranch_execz .LBB1533_797
.LBB1533_869:                           ;   in Loop: Header=BB1533_722 Depth=2
	ds_read_u8 v4, v0 offset:1792
	s_waitcnt lgkmcnt(0)
	v_and_b32_e32 v5, 1, v4
	v_xor_b32_e32 v4, 1, v4
	v_lshrrev_b32_e32 v5, s41, v5
	v_and_b32_e32 v5, s62, v5
	v_lshlrev_b32_e32 v5, 2, v5
	ds_read_b32 v5, v5
	s_waitcnt lgkmcnt(0)
	v_add_nc_u32_e32 v5, v5, v52
	global_store_byte v5, v4, s[46:47]
	s_or_b32 exec_lo, exec_lo, s22
	v_cmp_lt_u32_e64 s33, v53, v43
	s_and_saveexec_b32 s22, s33
	s_cbranch_execz .LBB1533_798
.LBB1533_870:                           ;   in Loop: Header=BB1533_722 Depth=2
	ds_read_u8 v4, v0 offset:2048
	s_waitcnt lgkmcnt(0)
	v_and_b32_e32 v5, 1, v4
	v_xor_b32_e32 v4, 1, v4
	v_lshrrev_b32_e32 v5, s41, v5
	v_and_b32_e32 v5, s62, v5
	v_lshlrev_b32_e32 v5, 2, v5
	ds_read_b32 v5, v5
	s_waitcnt lgkmcnt(0)
	v_add_nc_u32_e32 v5, v5, v53
	global_store_byte v5, v4, s[46:47]
	s_or_b32 exec_lo, exec_lo, s22
	v_cmp_lt_u32_e64 s31, v54, v43
	s_and_saveexec_b32 s22, s31
	s_cbranch_execz .LBB1533_799
.LBB1533_871:                           ;   in Loop: Header=BB1533_722 Depth=2
	ds_read_u8 v4, v0 offset:2304
	s_waitcnt lgkmcnt(0)
	v_and_b32_e32 v5, 1, v4
	v_xor_b32_e32 v4, 1, v4
	v_lshrrev_b32_e32 v5, s41, v5
	v_and_b32_e32 v5, s62, v5
	v_lshlrev_b32_e32 v5, 2, v5
	ds_read_b32 v5, v5
	s_waitcnt lgkmcnt(0)
	v_add_nc_u32_e32 v5, v5, v54
	global_store_byte v5, v4, s[46:47]
	s_or_b32 exec_lo, exec_lo, s22
	v_cmp_lt_u32_e64 s30, v55, v43
	s_and_saveexec_b32 s22, s30
	s_cbranch_execz .LBB1533_800
.LBB1533_872:                           ;   in Loop: Header=BB1533_722 Depth=2
	ds_read_u8 v4, v0 offset:2560
	s_waitcnt lgkmcnt(0)
	v_and_b32_e32 v5, 1, v4
	v_xor_b32_e32 v4, 1, v4
	v_lshrrev_b32_e32 v5, s41, v5
	v_and_b32_e32 v5, s62, v5
	v_lshlrev_b32_e32 v5, 2, v5
	ds_read_b32 v5, v5
	s_waitcnt lgkmcnt(0)
	v_add_nc_u32_e32 v5, v5, v55
	global_store_byte v5, v4, s[46:47]
	s_or_b32 exec_lo, exec_lo, s22
	v_cmp_lt_u32_e64 s29, v56, v43
	s_and_saveexec_b32 s22, s29
	s_cbranch_execz .LBB1533_801
.LBB1533_873:                           ;   in Loop: Header=BB1533_722 Depth=2
	ds_read_u8 v4, v0 offset:2816
	s_waitcnt lgkmcnt(0)
	v_and_b32_e32 v5, 1, v4
	v_xor_b32_e32 v4, 1, v4
	v_lshrrev_b32_e32 v5, s41, v5
	v_and_b32_e32 v5, s62, v5
	v_lshlrev_b32_e32 v5, 2, v5
	ds_read_b32 v5, v5
	s_waitcnt lgkmcnt(0)
	v_add_nc_u32_e32 v5, v5, v56
	global_store_byte v5, v4, s[46:47]
	s_or_b32 exec_lo, exec_lo, s22
	v_cmp_lt_u32_e64 s27, v57, v43
	s_and_saveexec_b32 s22, s27
	s_cbranch_execz .LBB1533_802
.LBB1533_874:                           ;   in Loop: Header=BB1533_722 Depth=2
	ds_read_u8 v4, v0 offset:3072
	s_waitcnt lgkmcnt(0)
	v_and_b32_e32 v5, 1, v4
	v_xor_b32_e32 v4, 1, v4
	v_lshrrev_b32_e32 v5, s41, v5
	v_and_b32_e32 v5, s62, v5
	v_lshlrev_b32_e32 v5, 2, v5
	ds_read_b32 v5, v5
	s_waitcnt lgkmcnt(0)
	v_add_nc_u32_e32 v5, v5, v57
	global_store_byte v5, v4, s[46:47]
	s_or_b32 exec_lo, exec_lo, s22
	v_cmp_lt_u32_e64 s26, v58, v43
	s_and_saveexec_b32 s22, s26
	s_cbranch_execz .LBB1533_803
.LBB1533_875:                           ;   in Loop: Header=BB1533_722 Depth=2
	ds_read_u8 v4, v0 offset:3328
	s_waitcnt lgkmcnt(0)
	v_and_b32_e32 v5, 1, v4
	v_xor_b32_e32 v4, 1, v4
	v_lshrrev_b32_e32 v5, s41, v5
	v_and_b32_e32 v5, s62, v5
	v_lshlrev_b32_e32 v5, 2, v5
	ds_read_b32 v5, v5
	s_waitcnt lgkmcnt(0)
	v_add_nc_u32_e32 v5, v5, v58
	global_store_byte v5, v4, s[46:47]
	s_or_b32 exec_lo, exec_lo, s22
	v_cmp_lt_u32_e64 s25, v59, v43
	s_and_saveexec_b32 s22, s25
	s_cbranch_execz .LBB1533_804
.LBB1533_876:                           ;   in Loop: Header=BB1533_722 Depth=2
	ds_read_u8 v4, v0 offset:3584
	s_waitcnt lgkmcnt(0)
	v_and_b32_e32 v5, 1, v4
	v_xor_b32_e32 v4, 1, v4
	v_lshrrev_b32_e32 v5, s41, v5
	v_and_b32_e32 v5, s62, v5
	v_lshlrev_b32_e32 v5, 2, v5
	ds_read_b32 v5, v5
	s_waitcnt lgkmcnt(0)
	v_add_nc_u32_e32 v5, v5, v59
	global_store_byte v5, v4, s[46:47]
	s_or_b32 exec_lo, exec_lo, s22
	v_cmp_lt_u32_e64 s24, v60, v43
	s_and_saveexec_b32 s22, s24
	s_cbranch_execz .LBB1533_805
.LBB1533_877:                           ;   in Loop: Header=BB1533_722 Depth=2
	ds_read_u8 v4, v0 offset:3840
	s_waitcnt lgkmcnt(0)
	v_and_b32_e32 v5, 1, v4
	v_xor_b32_e32 v4, 1, v4
	v_lshrrev_b32_e32 v5, s41, v5
	v_and_b32_e32 v5, s62, v5
	v_lshlrev_b32_e32 v5, 2, v5
	ds_read_b32 v5, v5
	s_waitcnt lgkmcnt(0)
	v_add_nc_u32_e32 v5, v5, v60
	global_store_byte v5, v4, s[46:47]
	s_or_b32 exec_lo, exec_lo, s22
	v_cmp_lt_u32_e64 s23, v61, v43
	s_and_saveexec_b32 s22, s23
	s_cbranch_execz .LBB1533_806
.LBB1533_878:                           ;   in Loop: Header=BB1533_722 Depth=2
	ds_read_u8 v4, v0 offset:4096
	s_waitcnt lgkmcnt(0)
	v_and_b32_e32 v5, 1, v4
	v_xor_b32_e32 v4, 1, v4
	v_lshrrev_b32_e32 v5, s41, v5
	v_and_b32_e32 v5, s62, v5
	v_lshlrev_b32_e32 v5, 2, v5
	ds_read_b32 v5, v5
	s_waitcnt lgkmcnt(0)
	v_add_nc_u32_e32 v5, v5, v61
	global_store_byte v5, v4, s[46:47]
	s_or_b32 exec_lo, exec_lo, s22
	v_cmp_lt_u32_e64 s22, v62, v43
	s_and_saveexec_b32 s40, s22
	s_cbranch_execz .LBB1533_807
.LBB1533_879:                           ;   in Loop: Header=BB1533_722 Depth=2
	ds_read_u8 v4, v0 offset:4352
	s_waitcnt lgkmcnt(0)
	v_and_b32_e32 v5, 1, v4
	v_xor_b32_e32 v4, 1, v4
	v_lshrrev_b32_e32 v5, s41, v5
	v_and_b32_e32 v5, s62, v5
	v_lshlrev_b32_e32 v5, 2, v5
	ds_read_b32 v5, v5
	s_waitcnt lgkmcnt(0)
	v_add_nc_u32_e32 v5, v5, v62
	global_store_byte v5, v4, s[46:47]
	s_or_b32 exec_lo, exec_lo, s40
	v_cmp_lt_u32_e32 vcc_lo, v63, v43
	s_and_saveexec_b32 s40, vcc_lo
	s_cbranch_execnz .LBB1533_808
	s_branch .LBB1533_809
.LBB1533_880:                           ;   in Loop: Header=BB1533_722 Depth=2
	global_load_dwordx2 v[41:42], v[4:5], off
	s_or_b32 exec_lo, exec_lo, s40
	s_mov_b32 s50, exec_lo
	v_cmpx_lt_u32_e64 v101, v43
	s_cbranch_execz .LBB1533_811
.LBB1533_881:                           ;   in Loop: Header=BB1533_722 Depth=2
	global_load_dwordx2 v[39:40], v[4:5], off offset:256
	s_or_b32 exec_lo, exec_lo, s50
	s_mov_b32 s50, exec_lo
	v_cmpx_lt_u32_e64 v102, v43
	s_cbranch_execz .LBB1533_812
.LBB1533_882:                           ;   in Loop: Header=BB1533_722 Depth=2
	global_load_dwordx2 v[37:38], v[4:5], off offset:512
	s_or_b32 exec_lo, exec_lo, s50
	s_mov_b32 s50, exec_lo
	v_cmpx_lt_u32_e64 v103, v43
	s_cbranch_execz .LBB1533_813
.LBB1533_883:                           ;   in Loop: Header=BB1533_722 Depth=2
	global_load_dwordx2 v[35:36], v[4:5], off offset:768
	s_or_b32 exec_lo, exec_lo, s50
	s_mov_b32 s50, exec_lo
	v_cmpx_lt_u32_e64 v104, v43
	s_cbranch_execz .LBB1533_814
.LBB1533_884:                           ;   in Loop: Header=BB1533_722 Depth=2
	global_load_dwordx2 v[33:34], v[4:5], off offset:1024
	s_or_b32 exec_lo, exec_lo, s50
	s_mov_b32 s50, exec_lo
	v_cmpx_lt_u32_e64 v105, v43
	s_cbranch_execz .LBB1533_815
.LBB1533_885:                           ;   in Loop: Header=BB1533_722 Depth=2
	global_load_dwordx2 v[29:30], v[4:5], off offset:1280
	s_or_b32 exec_lo, exec_lo, s50
	s_mov_b32 s50, exec_lo
	v_cmpx_lt_u32_e64 v106, v43
	s_cbranch_execz .LBB1533_816
.LBB1533_886:                           ;   in Loop: Header=BB1533_722 Depth=2
	global_load_dwordx2 v[25:26], v[4:5], off offset:1536
	s_or_b32 exec_lo, exec_lo, s50
	s_mov_b32 s50, exec_lo
	v_cmpx_lt_u32_e64 v107, v43
	s_cbranch_execz .LBB1533_817
.LBB1533_887:                           ;   in Loop: Header=BB1533_722 Depth=2
	global_load_dwordx2 v[21:22], v[4:5], off offset:1792
	s_or_b32 exec_lo, exec_lo, s50
	s_mov_b32 s50, exec_lo
	v_cmpx_lt_u32_e64 v108, v43
	s_cbranch_execz .LBB1533_818
.LBB1533_888:                           ;   in Loop: Header=BB1533_722 Depth=2
	v_add_co_u32 v31, s40, 0x800, v4
	v_add_co_ci_u32_e64 v32, null, 0, v5, s40
	global_load_dwordx2 v[31:32], v[31:32], off
	s_or_b32 exec_lo, exec_lo, s50
	s_mov_b32 s50, exec_lo
	v_cmpx_lt_u32_e64 v109, v43
	s_cbranch_execz .LBB1533_819
.LBB1533_889:                           ;   in Loop: Header=BB1533_722 Depth=2
	v_add_co_u32 v27, s40, 0x800, v4
	v_add_co_ci_u32_e64 v28, null, 0, v5, s40
	global_load_dwordx2 v[27:28], v[27:28], off offset:256
	s_or_b32 exec_lo, exec_lo, s50
	s_mov_b32 s50, exec_lo
	v_cmpx_lt_u32_e64 v110, v43
	s_cbranch_execz .LBB1533_820
.LBB1533_890:                           ;   in Loop: Header=BB1533_722 Depth=2
	v_add_co_u32 v23, s40, 0x800, v4
	v_add_co_ci_u32_e64 v24, null, 0, v5, s40
	global_load_dwordx2 v[23:24], v[23:24], off offset:512
	s_or_b32 exec_lo, exec_lo, s50
	s_mov_b32 s50, exec_lo
	v_cmpx_lt_u32_e64 v111, v43
	s_cbranch_execz .LBB1533_821
.LBB1533_891:                           ;   in Loop: Header=BB1533_722 Depth=2
	v_add_co_u32 v19, s40, 0x800, v4
	v_add_co_ci_u32_e64 v20, null, 0, v5, s40
	global_load_dwordx2 v[19:20], v[19:20], off offset:768
	s_or_b32 exec_lo, exec_lo, s50
	s_mov_b32 s50, exec_lo
	v_cmpx_lt_u32_e64 v112, v43
	s_cbranch_execz .LBB1533_822
.LBB1533_892:                           ;   in Loop: Header=BB1533_722 Depth=2
	v_add_co_u32 v17, s40, 0x800, v4
	v_add_co_ci_u32_e64 v18, null, 0, v5, s40
	global_load_dwordx2 v[17:18], v[17:18], off offset:1024
	s_or_b32 exec_lo, exec_lo, s50
	s_mov_b32 s50, exec_lo
	v_cmpx_lt_u32_e64 v113, v43
	s_cbranch_execz .LBB1533_823
.LBB1533_893:                           ;   in Loop: Header=BB1533_722 Depth=2
	v_add_co_u32 v15, s40, 0x800, v4
	v_add_co_ci_u32_e64 v16, null, 0, v5, s40
	global_load_dwordx2 v[15:16], v[15:16], off offset:1280
	s_or_b32 exec_lo, exec_lo, s50
	s_mov_b32 s50, exec_lo
	v_cmpx_lt_u32_e64 v114, v43
	s_cbranch_execz .LBB1533_824
.LBB1533_894:                           ;   in Loop: Header=BB1533_722 Depth=2
	v_add_co_u32 v13, s40, 0x800, v4
	v_add_co_ci_u32_e64 v14, null, 0, v5, s40
	global_load_dwordx2 v[13:14], v[13:14], off offset:1536
	s_or_b32 exec_lo, exec_lo, s50
	s_mov_b32 s50, exec_lo
	v_cmpx_lt_u32_e64 v115, v43
	s_cbranch_execz .LBB1533_825
.LBB1533_895:                           ;   in Loop: Header=BB1533_722 Depth=2
	v_add_co_u32 v11, s40, 0x800, v4
	v_add_co_ci_u32_e64 v12, null, 0, v5, s40
	global_load_dwordx2 v[11:12], v[11:12], off offset:1792
	s_or_b32 exec_lo, exec_lo, s50
	s_mov_b32 s50, exec_lo
	v_cmpx_lt_u32_e64 v116, v43
	s_cbranch_execz .LBB1533_826
.LBB1533_896:                           ;   in Loop: Header=BB1533_722 Depth=2
	v_add_co_u32 v4, s40, 0x1000, v4
	v_add_co_ci_u32_e64 v5, null, 0, v5, s40
	global_load_dwordx2 v[9:10], v[4:5], off
	s_or_b32 exec_lo, exec_lo, s50
	s_and_saveexec_b32 s40, s39
	s_cbranch_execz .LBB1533_827
.LBB1533_897:                           ;   in Loop: Header=BB1533_722 Depth=2
	ds_read_u8 v4, v0 offset:512
	s_waitcnt lgkmcnt(0)
	v_lshrrev_b32_e32 v4, s41, v4
	v_and_b32_e32 v134, s62, v4
	s_or_b32 exec_lo, exec_lo, s40
	s_and_saveexec_b32 s40, s38
	s_cbranch_execz .LBB1533_828
.LBB1533_898:                           ;   in Loop: Header=BB1533_722 Depth=2
	ds_read_u8 v4, v0 offset:768
	s_waitcnt lgkmcnt(0)
	v_lshrrev_b32_e32 v4, s41, v4
	v_and_b32_e32 v133, s62, v4
	s_or_b32 exec_lo, exec_lo, s40
	s_and_saveexec_b32 s40, s37
	s_cbranch_execz .LBB1533_829
.LBB1533_899:                           ;   in Loop: Header=BB1533_722 Depth=2
	ds_read_u8 v4, v0 offset:1024
	s_waitcnt lgkmcnt(0)
	v_lshrrev_b32_e32 v4, s41, v4
	v_and_b32_e32 v132, s62, v4
	s_or_b32 exec_lo, exec_lo, s40
	s_and_saveexec_b32 s40, s36
	s_cbranch_execz .LBB1533_830
.LBB1533_900:                           ;   in Loop: Header=BB1533_722 Depth=2
	ds_read_u8 v4, v0 offset:1280
	s_waitcnt lgkmcnt(0)
	v_lshrrev_b32_e32 v4, s41, v4
	v_and_b32_e32 v131, s62, v4
	s_or_b32 exec_lo, exec_lo, s40
	s_and_saveexec_b32 s40, s35
	s_cbranch_execz .LBB1533_831
.LBB1533_901:                           ;   in Loop: Header=BB1533_722 Depth=2
	ds_read_u8 v4, v0 offset:1536
	s_waitcnt lgkmcnt(0)
	v_lshrrev_b32_e32 v4, s41, v4
	v_and_b32_e32 v130, s62, v4
	s_or_b32 exec_lo, exec_lo, s40
	s_and_saveexec_b32 s40, s34
	s_cbranch_execz .LBB1533_832
.LBB1533_902:                           ;   in Loop: Header=BB1533_722 Depth=2
	ds_read_u8 v4, v0 offset:1792
	s_waitcnt lgkmcnt(0)
	v_lshrrev_b32_e32 v4, s41, v4
	v_and_b32_e32 v129, s62, v4
	s_or_b32 exec_lo, exec_lo, s40
	s_and_saveexec_b32 s40, s33
	s_cbranch_execz .LBB1533_833
.LBB1533_903:                           ;   in Loop: Header=BB1533_722 Depth=2
	ds_read_u8 v4, v0 offset:2048
	s_waitcnt lgkmcnt(0)
	v_lshrrev_b32_e32 v4, s41, v4
	v_and_b32_e32 v128, s62, v4
	s_or_b32 exec_lo, exec_lo, s40
	s_and_saveexec_b32 s40, s31
	s_cbranch_execz .LBB1533_834
.LBB1533_904:                           ;   in Loop: Header=BB1533_722 Depth=2
	ds_read_u8 v4, v0 offset:2304
	s_waitcnt lgkmcnt(0)
	v_lshrrev_b32_e32 v4, s41, v4
	v_and_b32_e32 v127, s62, v4
	s_or_b32 exec_lo, exec_lo, s40
	s_and_saveexec_b32 s40, s30
	s_cbranch_execz .LBB1533_835
.LBB1533_905:                           ;   in Loop: Header=BB1533_722 Depth=2
	ds_read_u8 v4, v0 offset:2560
	s_waitcnt lgkmcnt(0)
	v_lshrrev_b32_e32 v4, s41, v4
	v_and_b32_e32 v126, s62, v4
	s_or_b32 exec_lo, exec_lo, s40
	s_and_saveexec_b32 s40, s29
	s_cbranch_execz .LBB1533_836
.LBB1533_906:                           ;   in Loop: Header=BB1533_722 Depth=2
	ds_read_u8 v4, v0 offset:2816
	s_waitcnt lgkmcnt(0)
	v_lshrrev_b32_e32 v4, s41, v4
	v_and_b32_e32 v125, s62, v4
	s_or_b32 exec_lo, exec_lo, s40
	s_and_saveexec_b32 s40, s27
	s_cbranch_execz .LBB1533_837
.LBB1533_907:                           ;   in Loop: Header=BB1533_722 Depth=2
	ds_read_u8 v4, v0 offset:3072
	s_waitcnt lgkmcnt(0)
	v_lshrrev_b32_e32 v4, s41, v4
	v_and_b32_e32 v124, s62, v4
	s_or_b32 exec_lo, exec_lo, s40
	s_and_saveexec_b32 s40, s26
	s_cbranch_execz .LBB1533_838
.LBB1533_908:                           ;   in Loop: Header=BB1533_722 Depth=2
	ds_read_u8 v4, v0 offset:3328
	s_waitcnt lgkmcnt(0)
	v_lshrrev_b32_e32 v4, s41, v4
	v_and_b32_e32 v123, s62, v4
	s_or_b32 exec_lo, exec_lo, s40
	s_and_saveexec_b32 s40, s25
	s_cbranch_execz .LBB1533_839
.LBB1533_909:                           ;   in Loop: Header=BB1533_722 Depth=2
	ds_read_u8 v4, v0 offset:3584
	s_waitcnt lgkmcnt(0)
	v_lshrrev_b32_e32 v4, s41, v4
	v_and_b32_e32 v122, s62, v4
	s_or_b32 exec_lo, exec_lo, s40
	s_and_saveexec_b32 s40, s24
	s_cbranch_execz .LBB1533_840
.LBB1533_910:                           ;   in Loop: Header=BB1533_722 Depth=2
	ds_read_u8 v4, v0 offset:3840
	s_waitcnt lgkmcnt(0)
	v_lshrrev_b32_e32 v4, s41, v4
	v_and_b32_e32 v121, s62, v4
	s_or_b32 exec_lo, exec_lo, s40
	s_and_saveexec_b32 s40, s23
	s_cbranch_execz .LBB1533_841
.LBB1533_911:                           ;   in Loop: Header=BB1533_722 Depth=2
	ds_read_u8 v4, v0 offset:4096
	s_waitcnt lgkmcnt(0)
	v_lshrrev_b32_e32 v4, s41, v4
	v_and_b32_e32 v120, s62, v4
	s_or_b32 exec_lo, exec_lo, s40
	s_and_saveexec_b32 s40, s22
	s_cbranch_execz .LBB1533_842
.LBB1533_912:                           ;   in Loop: Header=BB1533_722 Depth=2
	ds_read_u8 v4, v0 offset:4352
	s_waitcnt lgkmcnt(0)
	v_lshrrev_b32_e32 v4, s41, v4
	v_and_b32_e32 v119, s62, v4
	s_or_b32 exec_lo, exec_lo, s40
	s_and_saveexec_b32 s40, vcc_lo
	s_cbranch_execnz .LBB1533_843
	s_branch .LBB1533_844
.LBB1533_913:                           ;   in Loop: Header=BB1533_722 Depth=2
	v_lshlrev_b32_e32 v4, 2, v134
	v_mov_b32_e32 v7, v3
	ds_read_b32 v6, v4
	v_add_nc_u32_e32 v4, v0, v77
	ds_read_b64 v[4:5], v4 offset:512
	s_waitcnt lgkmcnt(1)
	v_add_nc_u32_e32 v6, v6, v0
	v_lshlrev_b64 v[6:7], 3, v[6:7]
	v_add_co_u32 v6, s39, s52, v6
	v_add_co_ci_u32_e64 v7, null, s53, v7, s39
	s_waitcnt lgkmcnt(0)
	global_store_dwordx2 v[6:7], v[4:5], off
	s_or_b32 exec_lo, exec_lo, s40
	s_and_saveexec_b32 s39, s38
	s_cbranch_execz .LBB1533_846
.LBB1533_914:                           ;   in Loop: Header=BB1533_722 Depth=2
	v_lshlrev_b32_e32 v4, 2, v133
	v_mov_b32_e32 v7, v3
	ds_read_b32 v6, v4
	v_add_nc_u32_e32 v4, v0, v77
	ds_read_b64 v[4:5], v4 offset:2560
	s_waitcnt lgkmcnt(1)
	v_add_nc_u32_e32 v6, v6, v46
	v_lshlrev_b64 v[6:7], 3, v[6:7]
	v_add_co_u32 v6, s38, s52, v6
	v_add_co_ci_u32_e64 v7, null, s53, v7, s38
	s_waitcnt lgkmcnt(0)
	global_store_dwordx2 v[6:7], v[4:5], off
	s_or_b32 exec_lo, exec_lo, s39
	s_and_saveexec_b32 s38, s37
	s_cbranch_execz .LBB1533_847
.LBB1533_915:                           ;   in Loop: Header=BB1533_722 Depth=2
	v_lshlrev_b32_e32 v4, 2, v132
	v_mov_b32_e32 v7, v3
	ds_read_b32 v6, v4
	v_add_nc_u32_e32 v4, v0, v77
	ds_read_b64 v[4:5], v4 offset:4608
	s_waitcnt lgkmcnt(1)
	v_add_nc_u32_e32 v6, v6, v49
	v_lshlrev_b64 v[6:7], 3, v[6:7]
	v_add_co_u32 v6, s37, s52, v6
	v_add_co_ci_u32_e64 v7, null, s53, v7, s37
	s_waitcnt lgkmcnt(0)
	global_store_dwordx2 v[6:7], v[4:5], off
	s_or_b32 exec_lo, exec_lo, s38
	s_and_saveexec_b32 s37, s36
	s_cbranch_execz .LBB1533_848
.LBB1533_916:                           ;   in Loop: Header=BB1533_722 Depth=2
	v_lshlrev_b32_e32 v4, 2, v131
	v_mov_b32_e32 v7, v3
	ds_read_b32 v6, v4
	v_add_nc_u32_e32 v4, v0, v77
	ds_read_b64 v[4:5], v4 offset:6656
	s_waitcnt lgkmcnt(1)
	v_add_nc_u32_e32 v6, v6, v50
	v_lshlrev_b64 v[6:7], 3, v[6:7]
	v_add_co_u32 v6, s36, s52, v6
	v_add_co_ci_u32_e64 v7, null, s53, v7, s36
	s_waitcnt lgkmcnt(0)
	global_store_dwordx2 v[6:7], v[4:5], off
	s_or_b32 exec_lo, exec_lo, s37
	s_and_saveexec_b32 s36, s35
	s_cbranch_execz .LBB1533_849
.LBB1533_917:                           ;   in Loop: Header=BB1533_722 Depth=2
	v_lshlrev_b32_e32 v4, 2, v130
	v_mov_b32_e32 v7, v3
	ds_read_b32 v6, v4
	v_add_nc_u32_e32 v4, v0, v77
	ds_read_b64 v[4:5], v4 offset:8704
	s_waitcnt lgkmcnt(1)
	v_add_nc_u32_e32 v6, v6, v51
	v_lshlrev_b64 v[6:7], 3, v[6:7]
	v_add_co_u32 v6, s35, s52, v6
	v_add_co_ci_u32_e64 v7, null, s53, v7, s35
	s_waitcnt lgkmcnt(0)
	global_store_dwordx2 v[6:7], v[4:5], off
	s_or_b32 exec_lo, exec_lo, s36
	s_and_saveexec_b32 s35, s34
	s_cbranch_execz .LBB1533_850
.LBB1533_918:                           ;   in Loop: Header=BB1533_722 Depth=2
	v_lshlrev_b32_e32 v4, 2, v129
	v_mov_b32_e32 v7, v3
	ds_read_b32 v6, v4
	v_add_nc_u32_e32 v4, v0, v77
	ds_read_b64 v[4:5], v4 offset:10752
	s_waitcnt lgkmcnt(1)
	v_add_nc_u32_e32 v6, v6, v52
	v_lshlrev_b64 v[6:7], 3, v[6:7]
	v_add_co_u32 v6, s34, s52, v6
	v_add_co_ci_u32_e64 v7, null, s53, v7, s34
	s_waitcnt lgkmcnt(0)
	global_store_dwordx2 v[6:7], v[4:5], off
	s_or_b32 exec_lo, exec_lo, s35
	s_and_saveexec_b32 s34, s33
	s_cbranch_execz .LBB1533_851
.LBB1533_919:                           ;   in Loop: Header=BB1533_722 Depth=2
	v_lshlrev_b32_e32 v4, 2, v128
	v_mov_b32_e32 v7, v3
	ds_read_b32 v6, v4
	v_add_nc_u32_e32 v4, v0, v77
	ds_read_b64 v[4:5], v4 offset:12800
	s_waitcnt lgkmcnt(1)
	v_add_nc_u32_e32 v6, v6, v53
	v_lshlrev_b64 v[6:7], 3, v[6:7]
	v_add_co_u32 v6, s33, s52, v6
	v_add_co_ci_u32_e64 v7, null, s53, v7, s33
	s_waitcnt lgkmcnt(0)
	global_store_dwordx2 v[6:7], v[4:5], off
	s_or_b32 exec_lo, exec_lo, s34
	s_and_saveexec_b32 s33, s31
	s_cbranch_execz .LBB1533_852
.LBB1533_920:                           ;   in Loop: Header=BB1533_722 Depth=2
	v_lshlrev_b32_e32 v4, 2, v127
	v_mov_b32_e32 v7, v3
	ds_read_b32 v6, v4
	v_add_nc_u32_e32 v4, v0, v77
	ds_read_b64 v[4:5], v4 offset:14848
	s_waitcnt lgkmcnt(1)
	v_add_nc_u32_e32 v6, v6, v54
	v_lshlrev_b64 v[6:7], 3, v[6:7]
	v_add_co_u32 v6, s31, s52, v6
	v_add_co_ci_u32_e64 v7, null, s53, v7, s31
	s_waitcnt lgkmcnt(0)
	global_store_dwordx2 v[6:7], v[4:5], off
	s_or_b32 exec_lo, exec_lo, s33
	s_and_saveexec_b32 s31, s30
	s_cbranch_execz .LBB1533_853
.LBB1533_921:                           ;   in Loop: Header=BB1533_722 Depth=2
	v_lshlrev_b32_e32 v4, 2, v126
	v_mov_b32_e32 v7, v3
	ds_read_b32 v6, v4
	v_add_nc_u32_e32 v4, v0, v77
	ds_read_b64 v[4:5], v4 offset:16896
	s_waitcnt lgkmcnt(1)
	v_add_nc_u32_e32 v6, v6, v55
	v_lshlrev_b64 v[6:7], 3, v[6:7]
	v_add_co_u32 v6, s30, s52, v6
	v_add_co_ci_u32_e64 v7, null, s53, v7, s30
	s_waitcnt lgkmcnt(0)
	global_store_dwordx2 v[6:7], v[4:5], off
	s_or_b32 exec_lo, exec_lo, s31
	s_and_saveexec_b32 s30, s29
	s_cbranch_execz .LBB1533_854
.LBB1533_922:                           ;   in Loop: Header=BB1533_722 Depth=2
	v_lshlrev_b32_e32 v4, 2, v125
	v_mov_b32_e32 v7, v3
	ds_read_b32 v6, v4
	v_add_nc_u32_e32 v4, v0, v77
	ds_read_b64 v[4:5], v4 offset:18944
	s_waitcnt lgkmcnt(1)
	v_add_nc_u32_e32 v6, v6, v56
	v_lshlrev_b64 v[6:7], 3, v[6:7]
	v_add_co_u32 v6, s29, s52, v6
	v_add_co_ci_u32_e64 v7, null, s53, v7, s29
	s_waitcnt lgkmcnt(0)
	global_store_dwordx2 v[6:7], v[4:5], off
	s_or_b32 exec_lo, exec_lo, s30
	s_and_saveexec_b32 s29, s27
	s_cbranch_execz .LBB1533_855
.LBB1533_923:                           ;   in Loop: Header=BB1533_722 Depth=2
	v_lshlrev_b32_e32 v4, 2, v124
	v_mov_b32_e32 v7, v3
	ds_read_b32 v6, v4
	v_add_nc_u32_e32 v4, v0, v77
	ds_read_b64 v[4:5], v4 offset:20992
	s_waitcnt lgkmcnt(1)
	v_add_nc_u32_e32 v6, v6, v57
	v_lshlrev_b64 v[6:7], 3, v[6:7]
	v_add_co_u32 v6, s27, s52, v6
	v_add_co_ci_u32_e64 v7, null, s53, v7, s27
	s_waitcnt lgkmcnt(0)
	global_store_dwordx2 v[6:7], v[4:5], off
	s_or_b32 exec_lo, exec_lo, s29
	s_and_saveexec_b32 s27, s26
	s_cbranch_execz .LBB1533_856
.LBB1533_924:                           ;   in Loop: Header=BB1533_722 Depth=2
	v_lshlrev_b32_e32 v4, 2, v123
	v_mov_b32_e32 v7, v3
	ds_read_b32 v6, v4
	v_add_nc_u32_e32 v4, v0, v77
	ds_read_b64 v[4:5], v4 offset:23040
	s_waitcnt lgkmcnt(1)
	v_add_nc_u32_e32 v6, v6, v58
	v_lshlrev_b64 v[6:7], 3, v[6:7]
	v_add_co_u32 v6, s26, s52, v6
	v_add_co_ci_u32_e64 v7, null, s53, v7, s26
	s_waitcnt lgkmcnt(0)
	global_store_dwordx2 v[6:7], v[4:5], off
	s_or_b32 exec_lo, exec_lo, s27
	s_and_saveexec_b32 s26, s25
	s_cbranch_execz .LBB1533_857
.LBB1533_925:                           ;   in Loop: Header=BB1533_722 Depth=2
	v_lshlrev_b32_e32 v4, 2, v122
	v_mov_b32_e32 v7, v3
	ds_read_b32 v6, v4
	v_add_nc_u32_e32 v4, v0, v77
	ds_read_b64 v[4:5], v4 offset:25088
	s_waitcnt lgkmcnt(1)
	v_add_nc_u32_e32 v6, v6, v59
	v_lshlrev_b64 v[6:7], 3, v[6:7]
	v_add_co_u32 v6, s25, s52, v6
	v_add_co_ci_u32_e64 v7, null, s53, v7, s25
	s_waitcnt lgkmcnt(0)
	global_store_dwordx2 v[6:7], v[4:5], off
	s_or_b32 exec_lo, exec_lo, s26
	s_and_saveexec_b32 s25, s24
	s_cbranch_execz .LBB1533_858
.LBB1533_926:                           ;   in Loop: Header=BB1533_722 Depth=2
	v_lshlrev_b32_e32 v4, 2, v121
	v_mov_b32_e32 v7, v3
	ds_read_b32 v6, v4
	v_add_nc_u32_e32 v4, v0, v77
	ds_read_b64 v[4:5], v4 offset:27136
	s_waitcnt lgkmcnt(1)
	v_add_nc_u32_e32 v6, v6, v60
	v_lshlrev_b64 v[6:7], 3, v[6:7]
	v_add_co_u32 v6, s24, s52, v6
	v_add_co_ci_u32_e64 v7, null, s53, v7, s24
	s_waitcnt lgkmcnt(0)
	global_store_dwordx2 v[6:7], v[4:5], off
	s_or_b32 exec_lo, exec_lo, s25
	s_and_saveexec_b32 s24, s23
	s_cbranch_execz .LBB1533_859
.LBB1533_927:                           ;   in Loop: Header=BB1533_722 Depth=2
	v_lshlrev_b32_e32 v4, 2, v120
	v_mov_b32_e32 v7, v3
	ds_read_b32 v6, v4
	v_add_nc_u32_e32 v4, v0, v77
	ds_read_b64 v[4:5], v4 offset:29184
	s_waitcnt lgkmcnt(1)
	v_add_nc_u32_e32 v6, v6, v61
	v_lshlrev_b64 v[6:7], 3, v[6:7]
	v_add_co_u32 v6, s23, s52, v6
	v_add_co_ci_u32_e64 v7, null, s53, v7, s23
	s_waitcnt lgkmcnt(0)
	global_store_dwordx2 v[6:7], v[4:5], off
	s_or_b32 exec_lo, exec_lo, s24
	s_and_saveexec_b32 s23, s22
	s_cbranch_execz .LBB1533_860
.LBB1533_928:                           ;   in Loop: Header=BB1533_722 Depth=2
	v_lshlrev_b32_e32 v4, 2, v119
	v_mov_b32_e32 v7, v3
	ds_read_b32 v6, v4
	v_add_nc_u32_e32 v4, v0, v77
	ds_read_b64 v[4:5], v4 offset:31232
	s_waitcnt lgkmcnt(1)
	v_add_nc_u32_e32 v6, v6, v62
	v_lshlrev_b64 v[6:7], 3, v[6:7]
	v_add_co_u32 v6, s22, s52, v6
	v_add_co_ci_u32_e64 v7, null, s53, v7, s22
	s_waitcnt lgkmcnt(0)
	global_store_dwordx2 v[6:7], v[4:5], off
	s_or_b32 exec_lo, exec_lo, s23
	s_and_saveexec_b32 s22, vcc_lo
	s_cbranch_execnz .LBB1533_861
	s_branch .LBB1533_862
.LBB1533_929:                           ;   in Loop: Header=BB1533_722 Depth=2
	global_load_ubyte v4, v[43:44], off
	v_mov_b32_e32 v5, v3
	v_mov_b32_e32 v6, v3
	;; [unrolled: 1-line block ×4, first 2 shown]
	s_or_b32 exec_lo, exec_lo, s22
	s_mov_b32 s22, exec_lo
	v_cmpx_gt_u32_e64 s63, v101
	s_cbranch_execz .LBB1533_727
.LBB1533_930:                           ;   in Loop: Header=BB1533_722 Depth=2
	global_load_ubyte v137, v[43:44], off offset:32
	v_and_b32_e32 v8, 0xff, v8
	s_waitcnt vmcnt(0)
	v_perm_b32 v4, v4, v137, 0x7060004
	s_or_b32 exec_lo, exec_lo, s22
	s_mov_b32 s22, exec_lo
	v_cmpx_gt_u32_e64 s63, v102
	s_cbranch_execz .LBB1533_728
.LBB1533_931:                           ;   in Loop: Header=BB1533_722 Depth=2
	global_load_ubyte v137, v[43:44], off offset:64
	v_and_b32_e32 v8, 0xff, v8
	s_waitcnt vmcnt(0)
	v_perm_b32 v4, v4, v137, 0x7000504
	s_or_b32 exec_lo, exec_lo, s22
	s_mov_b32 s22, exec_lo
	v_cmpx_gt_u32_e64 s63, v103
	s_cbranch_execz .LBB1533_729
.LBB1533_932:                           ;   in Loop: Header=BB1533_722 Depth=2
	global_load_ubyte v137, v[43:44], off offset:96
	v_and_b32_e32 v8, 0xff, v8
	s_waitcnt vmcnt(0)
	v_perm_b32 v4, v4, v137, 0x60504
	s_or_b32 exec_lo, exec_lo, s22
	s_mov_b32 s22, exec_lo
	v_cmpx_gt_u32_e64 s63, v104
	s_cbranch_execz .LBB1533_730
.LBB1533_933:                           ;   in Loop: Header=BB1533_722 Depth=2
	global_load_ubyte v137, v[43:44], off offset:128
	v_and_b32_e32 v8, 0xff, v8
	s_waitcnt vmcnt(0)
	v_perm_b32 v5, v137, v5, 0x3020104
	s_or_b32 exec_lo, exec_lo, s22
	s_mov_b32 s22, exec_lo
	v_cmpx_gt_u32_e64 s63, v105
	s_cbranch_execz .LBB1533_731
.LBB1533_934:                           ;   in Loop: Header=BB1533_722 Depth=2
	global_load_ubyte v137, v[43:44], off offset:160
	v_and_b32_e32 v8, 0xff, v8
	s_waitcnt vmcnt(0)
	v_perm_b32 v5, v5, v137, 0x7060004
	s_or_b32 exec_lo, exec_lo, s22
	s_mov_b32 s22, exec_lo
	v_cmpx_gt_u32_e64 s63, v106
	s_cbranch_execz .LBB1533_732
.LBB1533_935:                           ;   in Loop: Header=BB1533_722 Depth=2
	global_load_ubyte v137, v[43:44], off offset:192
	v_and_b32_e32 v8, 0xff, v8
	s_waitcnt vmcnt(0)
	v_perm_b32 v5, v5, v137, 0x7000504
	s_or_b32 exec_lo, exec_lo, s22
	s_mov_b32 s22, exec_lo
	v_cmpx_gt_u32_e64 s63, v107
	s_cbranch_execz .LBB1533_733
.LBB1533_936:                           ;   in Loop: Header=BB1533_722 Depth=2
	global_load_ubyte v137, v[43:44], off offset:224
	v_and_b32_e32 v8, 0xff, v8
	s_waitcnt vmcnt(0)
	v_perm_b32 v5, v5, v137, 0x60504
	s_or_b32 exec_lo, exec_lo, s22
	s_mov_b32 s22, exec_lo
	v_cmpx_gt_u32_e64 s63, v108
	s_cbranch_execz .LBB1533_734
.LBB1533_937:                           ;   in Loop: Header=BB1533_722 Depth=2
	global_load_ubyte v137, v[43:44], off offset:256
	v_and_b32_e32 v8, 0xff, v8
	s_waitcnt vmcnt(0)
	v_perm_b32 v6, v137, v6, 0x3020104
	s_or_b32 exec_lo, exec_lo, s22
	s_mov_b32 s22, exec_lo
	v_cmpx_gt_u32_e64 s63, v109
	s_cbranch_execz .LBB1533_735
.LBB1533_938:                           ;   in Loop: Header=BB1533_722 Depth=2
	global_load_ubyte v137, v[43:44], off offset:288
	v_and_b32_e32 v8, 0xff, v8
	s_waitcnt vmcnt(0)
	v_perm_b32 v6, v6, v137, 0x7060004
	s_or_b32 exec_lo, exec_lo, s22
	s_mov_b32 s22, exec_lo
	v_cmpx_gt_u32_e64 s63, v110
	s_cbranch_execz .LBB1533_736
.LBB1533_939:                           ;   in Loop: Header=BB1533_722 Depth=2
	global_load_ubyte v137, v[43:44], off offset:320
	v_and_b32_e32 v8, 0xff, v8
	s_waitcnt vmcnt(0)
	v_perm_b32 v6, v6, v137, 0x7000504
	s_or_b32 exec_lo, exec_lo, s22
	s_mov_b32 s22, exec_lo
	v_cmpx_gt_u32_e64 s63, v111
	s_cbranch_execz .LBB1533_737
.LBB1533_940:                           ;   in Loop: Header=BB1533_722 Depth=2
	global_load_ubyte v137, v[43:44], off offset:352
	v_and_b32_e32 v8, 0xff, v8
	s_waitcnt vmcnt(0)
	v_perm_b32 v6, v6, v137, 0x60504
	s_or_b32 exec_lo, exec_lo, s22
	s_mov_b32 s22, exec_lo
	v_cmpx_gt_u32_e64 s63, v112
	s_cbranch_execz .LBB1533_738
.LBB1533_941:                           ;   in Loop: Header=BB1533_722 Depth=2
	global_load_ubyte v137, v[43:44], off offset:384
	v_and_b32_e32 v8, 0xff, v8
	s_waitcnt vmcnt(0)
	v_perm_b32 v7, v137, v7, 0x3020104
	s_or_b32 exec_lo, exec_lo, s22
	s_mov_b32 s22, exec_lo
	v_cmpx_gt_u32_e64 s63, v113
	s_cbranch_execz .LBB1533_739
.LBB1533_942:                           ;   in Loop: Header=BB1533_722 Depth=2
	global_load_ubyte v137, v[43:44], off offset:416
	v_and_b32_e32 v8, 0xff, v8
	s_waitcnt vmcnt(0)
	v_perm_b32 v7, v7, v137, 0x7060004
	s_or_b32 exec_lo, exec_lo, s22
	s_mov_b32 s22, exec_lo
	v_cmpx_gt_u32_e64 s63, v114
	s_cbranch_execz .LBB1533_740
.LBB1533_943:                           ;   in Loop: Header=BB1533_722 Depth=2
	global_load_ubyte v137, v[43:44], off offset:448
	v_and_b32_e32 v8, 0xff, v8
	s_waitcnt vmcnt(0)
	v_perm_b32 v7, v7, v137, 0x7000504
	s_or_b32 exec_lo, exec_lo, s22
	s_mov_b32 s22, exec_lo
	v_cmpx_gt_u32_e64 s63, v115
	s_cbranch_execnz .LBB1533_741
	s_branch .LBB1533_742
.LBB1533_944:                           ;   in Loop: Header=BB1533_12 Depth=1
	s_waitcnt lgkmcnt(0)
	s_mov_b32 s5, 0
	s_barrier
.LBB1533_945:                           ;   in Loop: Header=BB1533_12 Depth=1
	s_and_b32 vcc_lo, exec_lo, s5
	s_cbranch_vccz .LBB1533_11
; %bb.946:                              ;   in Loop: Header=BB1533_12 Depth=1
	v_mov_b32_e32 v17, 0
	v_mov_b32_e32 v20, 0
	v_mov_b32_e32 v19, 0
	v_mov_b32_e32 v18, 0
	v_mov_b32_e32 v16, 0
	v_mov_b32_e32 v15, 0
	v_mov_b32_e32 v14, 0
	v_mov_b32_e32 v13, 0
	v_mov_b32_e32 v12, 0
	v_mov_b32_e32 v11, 0
	v_mov_b32_e32 v10, 0
	v_mov_b32_e32 v9, 0
	v_mov_b32_e32 v8, 0
	v_mov_b32_e32 v7, 0
	v_mov_b32_e32 v6, 0
	v_mov_b32_e32 v5, 0
	v_mov_b32_e32 v4, 0
	s_mov_b32 s5, s60
	s_mov_b32 s16, s58
	s_barrier
	buffer_gl0_inv
	s_branch .LBB1533_948
.LBB1533_947:                           ;   in Loop: Header=BB1533_948 Depth=2
	s_or_b32 exec_lo, exec_lo, s15
	s_addk_i32 s5, 0xef00
	s_cmp_ge_u32 s14, s59
	s_mov_b32 s16, s14
	s_cbranch_scc1 .LBB1533_1020
.LBB1533_948:                           ;   Parent Loop BB1533_12 Depth=1
                                        ; =>  This Inner Loop Header: Depth=2
	s_add_i32 s14, s16, 0x1100
	s_mov_b32 s15, -1
	s_cmp_gt_u32 s14, s59
                                        ; implicit-def: $vgpr21
                                        ; implicit-def: $vgpr22
                                        ; implicit-def: $vgpr23
                                        ; implicit-def: $vgpr24
                                        ; implicit-def: $vgpr25
                                        ; implicit-def: $vgpr26
                                        ; implicit-def: $vgpr27
                                        ; implicit-def: $vgpr28
                                        ; implicit-def: $vgpr29
                                        ; implicit-def: $vgpr30
                                        ; implicit-def: $vgpr31
                                        ; implicit-def: $vgpr32
                                        ; implicit-def: $vgpr33
                                        ; implicit-def: $vgpr34
                                        ; implicit-def: $vgpr35
                                        ; implicit-def: $vgpr36
                                        ; implicit-def: $vgpr37
	s_cbranch_scc1 .LBB1533_950
; %bb.949:                              ;   in Loop: Header=BB1533_948 Depth=2
	v_add_co_u32 v38, vcc_lo, v84, s16
	v_add_co_ci_u32_e64 v39, null, 0, v85, vcc_lo
	s_mov_b32 s15, 0
	v_add_co_u32 v21, vcc_lo, 0x800, v38
	v_add_co_ci_u32_e64 v22, null, 0, v39, vcc_lo
	v_add_co_u32 v23, vcc_lo, 0x1000, v38
	v_add_co_ci_u32_e64 v24, null, 0, v39, vcc_lo
	s_clause 0x10
	global_load_ubyte v36, v[21:22], off offset:1792
	global_load_ubyte v37, v[23:24], off
	global_load_ubyte v35, v[21:22], off offset:1536
	global_load_ubyte v34, v[21:22], off offset:1280
	;; [unrolled: 1-line block ×6, first 2 shown]
	global_load_ubyte v29, v[21:22], off
	global_load_ubyte v28, v[38:39], off offset:1792
	global_load_ubyte v27, v[38:39], off offset:1536
	;; [unrolled: 1-line block ×7, first 2 shown]
	global_load_ubyte v21, v[38:39], off
.LBB1533_950:                           ;   in Loop: Header=BB1533_948 Depth=2
	s_andn2_b32 vcc_lo, exec_lo, s15
	s_movk_i32 s15, 0x1100
	s_cbranch_vccnz .LBB1533_970
; %bb.951:                              ;   in Loop: Header=BB1533_948 Depth=2
	s_add_u32 s15, s44, s16
	s_addc_u32 s16, s45, 0
	s_mov_b32 s17, exec_lo
	v_cmpx_gt_u32_e64 s5, v0
	s_cbranch_execnz .LBB1533_1004
; %bb.952:                              ;   in Loop: Header=BB1533_948 Depth=2
	s_or_b32 exec_lo, exec_lo, s17
	s_mov_b32 s17, exec_lo
	v_cmpx_gt_u32_e64 s5, v46
	s_cbranch_execnz .LBB1533_1005
.LBB1533_953:                           ;   in Loop: Header=BB1533_948 Depth=2
	s_or_b32 exec_lo, exec_lo, s17
	s_mov_b32 s17, exec_lo
	v_cmpx_gt_u32_e64 s5, v49
	s_cbranch_execnz .LBB1533_1006
.LBB1533_954:                           ;   in Loop: Header=BB1533_948 Depth=2
	s_or_b32 exec_lo, exec_lo, s17
	s_mov_b32 s17, exec_lo
	v_cmpx_gt_u32_e64 s5, v50
	s_cbranch_execnz .LBB1533_1007
.LBB1533_955:                           ;   in Loop: Header=BB1533_948 Depth=2
	s_or_b32 exec_lo, exec_lo, s17
	s_mov_b32 s17, exec_lo
	v_cmpx_gt_u32_e64 s5, v51
	s_cbranch_execnz .LBB1533_1008
.LBB1533_956:                           ;   in Loop: Header=BB1533_948 Depth=2
	s_or_b32 exec_lo, exec_lo, s17
	s_mov_b32 s17, exec_lo
	v_cmpx_gt_u32_e64 s5, v52
	s_cbranch_execnz .LBB1533_1009
.LBB1533_957:                           ;   in Loop: Header=BB1533_948 Depth=2
	s_or_b32 exec_lo, exec_lo, s17
	s_mov_b32 s17, exec_lo
	v_cmpx_gt_u32_e64 s5, v53
	s_cbranch_execnz .LBB1533_1010
.LBB1533_958:                           ;   in Loop: Header=BB1533_948 Depth=2
	s_or_b32 exec_lo, exec_lo, s17
	s_mov_b32 s17, exec_lo
	v_cmpx_gt_u32_e64 s5, v54
	s_cbranch_execnz .LBB1533_1011
.LBB1533_959:                           ;   in Loop: Header=BB1533_948 Depth=2
	s_or_b32 exec_lo, exec_lo, s17
	s_mov_b32 s17, exec_lo
	v_cmpx_gt_u32_e64 s5, v55
	s_cbranch_execnz .LBB1533_1012
.LBB1533_960:                           ;   in Loop: Header=BB1533_948 Depth=2
	s_or_b32 exec_lo, exec_lo, s17
	s_mov_b32 s17, exec_lo
	v_cmpx_gt_u32_e64 s5, v56
	s_cbranch_execnz .LBB1533_1013
.LBB1533_961:                           ;   in Loop: Header=BB1533_948 Depth=2
	s_or_b32 exec_lo, exec_lo, s17
	s_mov_b32 s17, exec_lo
	v_cmpx_gt_u32_e64 s5, v57
	s_cbranch_execnz .LBB1533_1014
.LBB1533_962:                           ;   in Loop: Header=BB1533_948 Depth=2
	s_or_b32 exec_lo, exec_lo, s17
	s_mov_b32 s17, exec_lo
	v_cmpx_gt_u32_e64 s5, v58
	s_cbranch_execnz .LBB1533_1015
.LBB1533_963:                           ;   in Loop: Header=BB1533_948 Depth=2
	s_or_b32 exec_lo, exec_lo, s17
	s_mov_b32 s17, exec_lo
	v_cmpx_gt_u32_e64 s5, v59
	s_cbranch_execnz .LBB1533_1016
.LBB1533_964:                           ;   in Loop: Header=BB1533_948 Depth=2
	s_or_b32 exec_lo, exec_lo, s17
	s_mov_b32 s17, exec_lo
	v_cmpx_gt_u32_e64 s5, v60
	s_cbranch_execnz .LBB1533_1017
.LBB1533_965:                           ;   in Loop: Header=BB1533_948 Depth=2
	s_or_b32 exec_lo, exec_lo, s17
	s_mov_b32 s17, exec_lo
	v_cmpx_gt_u32_e64 s5, v61
	s_cbranch_execnz .LBB1533_1018
.LBB1533_966:                           ;   in Loop: Header=BB1533_948 Depth=2
	s_or_b32 exec_lo, exec_lo, s17
	s_mov_b32 s17, exec_lo
	v_cmpx_gt_u32_e64 s5, v62
	s_cbranch_execnz .LBB1533_1019
.LBB1533_967:                           ;   in Loop: Header=BB1533_948 Depth=2
	s_or_b32 exec_lo, exec_lo, s17
	s_mov_b32 s17, exec_lo
	v_cmpx_gt_u32_e64 s5, v63
	s_cbranch_execz .LBB1533_969
.LBB1533_968:                           ;   in Loop: Header=BB1533_948 Depth=2
	s_waitcnt vmcnt(0)
	v_add_co_u32 v21, s15, s15, v63
	v_add_co_ci_u32_e64 v22, null, s16, 0, s15
	global_load_ubyte v4, v[21:22], off
.LBB1533_969:                           ;   in Loop: Header=BB1533_948 Depth=2
	s_or_b32 exec_lo, exec_lo, s17
	s_waitcnt vmcnt(0)
	v_mov_b32_e32 v21, v17
	v_mov_b32_e32 v22, v20
	;; [unrolled: 1-line block ×17, first 2 shown]
	s_mov_b32 s15, s5
.LBB1533_970:                           ;   in Loop: Header=BB1533_948 Depth=2
	s_waitcnt vmcnt(15)
	v_mov_b32_e32 v4, v37
	v_mov_b32_e32 v5, v36
	s_waitcnt vmcnt(14)
	v_mov_b32_e32 v6, v35
	s_waitcnt vmcnt(13)
	;; [unrolled: 2-line block ×15, first 2 shown]
	v_mov_b32_e32 v17, v21
	s_mov_b32 s16, exec_lo
	v_cmpx_gt_u32_e64 s15, v0
	s_cbranch_execnz .LBB1533_987
; %bb.971:                              ;   in Loop: Header=BB1533_948 Depth=2
	s_or_b32 exec_lo, exec_lo, s16
	s_mov_b32 s16, exec_lo
	v_cmpx_gt_u32_e64 s15, v46
	s_cbranch_execnz .LBB1533_988
.LBB1533_972:                           ;   in Loop: Header=BB1533_948 Depth=2
	s_or_b32 exec_lo, exec_lo, s16
	s_mov_b32 s16, exec_lo
	v_cmpx_gt_u32_e64 s15, v49
	s_cbranch_execnz .LBB1533_989
.LBB1533_973:                           ;   in Loop: Header=BB1533_948 Depth=2
	s_or_b32 exec_lo, exec_lo, s16
	s_mov_b32 s16, exec_lo
	v_cmpx_gt_u32_e64 s15, v50
	s_cbranch_execnz .LBB1533_990
.LBB1533_974:                           ;   in Loop: Header=BB1533_948 Depth=2
	s_or_b32 exec_lo, exec_lo, s16
	s_mov_b32 s16, exec_lo
	v_cmpx_gt_u32_e64 s15, v51
	s_cbranch_execnz .LBB1533_991
.LBB1533_975:                           ;   in Loop: Header=BB1533_948 Depth=2
	s_or_b32 exec_lo, exec_lo, s16
	s_mov_b32 s16, exec_lo
	v_cmpx_gt_u32_e64 s15, v52
	s_cbranch_execnz .LBB1533_992
.LBB1533_976:                           ;   in Loop: Header=BB1533_948 Depth=2
	s_or_b32 exec_lo, exec_lo, s16
	s_mov_b32 s16, exec_lo
	v_cmpx_gt_u32_e64 s15, v53
	s_cbranch_execnz .LBB1533_993
.LBB1533_977:                           ;   in Loop: Header=BB1533_948 Depth=2
	s_or_b32 exec_lo, exec_lo, s16
	s_mov_b32 s16, exec_lo
	v_cmpx_gt_u32_e64 s15, v54
	s_cbranch_execnz .LBB1533_994
.LBB1533_978:                           ;   in Loop: Header=BB1533_948 Depth=2
	s_or_b32 exec_lo, exec_lo, s16
	s_mov_b32 s16, exec_lo
	v_cmpx_gt_u32_e64 s15, v55
	s_cbranch_execnz .LBB1533_995
.LBB1533_979:                           ;   in Loop: Header=BB1533_948 Depth=2
	s_or_b32 exec_lo, exec_lo, s16
	s_mov_b32 s16, exec_lo
	v_cmpx_gt_u32_e64 s15, v56
	s_cbranch_execnz .LBB1533_996
.LBB1533_980:                           ;   in Loop: Header=BB1533_948 Depth=2
	s_or_b32 exec_lo, exec_lo, s16
	s_mov_b32 s16, exec_lo
	v_cmpx_gt_u32_e64 s15, v57
	s_cbranch_execnz .LBB1533_997
.LBB1533_981:                           ;   in Loop: Header=BB1533_948 Depth=2
	s_or_b32 exec_lo, exec_lo, s16
	s_mov_b32 s16, exec_lo
	v_cmpx_gt_u32_e64 s15, v58
	s_cbranch_execnz .LBB1533_998
.LBB1533_982:                           ;   in Loop: Header=BB1533_948 Depth=2
	s_or_b32 exec_lo, exec_lo, s16
	s_mov_b32 s16, exec_lo
	v_cmpx_gt_u32_e64 s15, v59
	s_cbranch_execnz .LBB1533_999
.LBB1533_983:                           ;   in Loop: Header=BB1533_948 Depth=2
	s_or_b32 exec_lo, exec_lo, s16
	s_mov_b32 s16, exec_lo
	v_cmpx_gt_u32_e64 s15, v60
	s_cbranch_execnz .LBB1533_1000
.LBB1533_984:                           ;   in Loop: Header=BB1533_948 Depth=2
	s_or_b32 exec_lo, exec_lo, s16
	s_mov_b32 s16, exec_lo
	v_cmpx_gt_u32_e64 s15, v61
	s_cbranch_execnz .LBB1533_1001
.LBB1533_985:                           ;   in Loop: Header=BB1533_948 Depth=2
	s_or_b32 exec_lo, exec_lo, s16
	s_mov_b32 s16, exec_lo
	v_cmpx_gt_u32_e64 s15, v62
	s_cbranch_execnz .LBB1533_1002
.LBB1533_986:                           ;   in Loop: Header=BB1533_948 Depth=2
	s_or_b32 exec_lo, exec_lo, s16
	v_cmp_gt_u32_e32 vcc_lo, s15, v63
	s_and_saveexec_b32 s15, vcc_lo
	s_cbranch_execz .LBB1533_947
	s_branch .LBB1533_1003
.LBB1533_987:                           ;   in Loop: Header=BB1533_948 Depth=2
	v_xor_b32_e32 v21, -1, v17
	v_and_b32_e32 v21, 1, v21
	v_lshrrev_b32_sdwa v21, s41, v21 dst_sel:DWORD dst_unused:UNUSED_PAD src0_sel:DWORD src1_sel:WORD_0
	v_and_b32_e32 v21, s62, v21
	v_lshl_or_b32 v21, v21, 4, v65
	ds_add_u32 v21, v91
	s_or_b32 exec_lo, exec_lo, s16
	s_mov_b32 s16, exec_lo
	v_cmpx_gt_u32_e64 s15, v46
	s_cbranch_execz .LBB1533_972
.LBB1533_988:                           ;   in Loop: Header=BB1533_948 Depth=2
	v_xor_b32_e32 v21, -1, v20
	v_and_b32_e32 v21, 1, v21
	v_lshrrev_b32_sdwa v21, s41, v21 dst_sel:DWORD dst_unused:UNUSED_PAD src0_sel:DWORD src1_sel:WORD_0
	v_and_b32_e32 v21, s62, v21
	v_lshl_or_b32 v21, v21, 4, v65
	ds_add_u32 v21, v91
	s_or_b32 exec_lo, exec_lo, s16
	s_mov_b32 s16, exec_lo
	v_cmpx_gt_u32_e64 s15, v49
	s_cbranch_execz .LBB1533_973
.LBB1533_989:                           ;   in Loop: Header=BB1533_948 Depth=2
	v_xor_b32_e32 v21, -1, v19
	v_and_b32_e32 v21, 1, v21
	v_lshrrev_b32_sdwa v21, s41, v21 dst_sel:DWORD dst_unused:UNUSED_PAD src0_sel:DWORD src1_sel:WORD_0
	v_and_b32_e32 v21, s62, v21
	v_lshl_or_b32 v21, v21, 4, v65
	ds_add_u32 v21, v91
	s_or_b32 exec_lo, exec_lo, s16
	s_mov_b32 s16, exec_lo
	v_cmpx_gt_u32_e64 s15, v50
	s_cbranch_execz .LBB1533_974
.LBB1533_990:                           ;   in Loop: Header=BB1533_948 Depth=2
	v_xor_b32_e32 v21, -1, v18
	v_and_b32_e32 v21, 1, v21
	v_lshrrev_b32_sdwa v21, s41, v21 dst_sel:DWORD dst_unused:UNUSED_PAD src0_sel:DWORD src1_sel:WORD_0
	v_and_b32_e32 v21, s62, v21
	v_lshl_or_b32 v21, v21, 4, v65
	ds_add_u32 v21, v91
	s_or_b32 exec_lo, exec_lo, s16
	s_mov_b32 s16, exec_lo
	v_cmpx_gt_u32_e64 s15, v51
	s_cbranch_execz .LBB1533_975
.LBB1533_991:                           ;   in Loop: Header=BB1533_948 Depth=2
	v_xor_b32_e32 v21, -1, v16
	v_and_b32_e32 v21, 1, v21
	v_lshrrev_b32_sdwa v21, s41, v21 dst_sel:DWORD dst_unused:UNUSED_PAD src0_sel:DWORD src1_sel:WORD_0
	v_and_b32_e32 v21, s62, v21
	v_lshl_or_b32 v21, v21, 4, v65
	ds_add_u32 v21, v91
	s_or_b32 exec_lo, exec_lo, s16
	s_mov_b32 s16, exec_lo
	v_cmpx_gt_u32_e64 s15, v52
	s_cbranch_execz .LBB1533_976
.LBB1533_992:                           ;   in Loop: Header=BB1533_948 Depth=2
	v_xor_b32_e32 v21, -1, v15
	v_and_b32_e32 v21, 1, v21
	v_lshrrev_b32_sdwa v21, s41, v21 dst_sel:DWORD dst_unused:UNUSED_PAD src0_sel:DWORD src1_sel:WORD_0
	v_and_b32_e32 v21, s62, v21
	v_lshl_or_b32 v21, v21, 4, v65
	ds_add_u32 v21, v91
	s_or_b32 exec_lo, exec_lo, s16
	s_mov_b32 s16, exec_lo
	v_cmpx_gt_u32_e64 s15, v53
	s_cbranch_execz .LBB1533_977
.LBB1533_993:                           ;   in Loop: Header=BB1533_948 Depth=2
	v_xor_b32_e32 v21, -1, v14
	v_and_b32_e32 v21, 1, v21
	v_lshrrev_b32_sdwa v21, s41, v21 dst_sel:DWORD dst_unused:UNUSED_PAD src0_sel:DWORD src1_sel:WORD_0
	v_and_b32_e32 v21, s62, v21
	v_lshl_or_b32 v21, v21, 4, v65
	ds_add_u32 v21, v91
	s_or_b32 exec_lo, exec_lo, s16
	s_mov_b32 s16, exec_lo
	v_cmpx_gt_u32_e64 s15, v54
	s_cbranch_execz .LBB1533_978
.LBB1533_994:                           ;   in Loop: Header=BB1533_948 Depth=2
	v_xor_b32_e32 v21, -1, v13
	v_and_b32_e32 v21, 1, v21
	v_lshrrev_b32_sdwa v21, s41, v21 dst_sel:DWORD dst_unused:UNUSED_PAD src0_sel:DWORD src1_sel:WORD_0
	v_and_b32_e32 v21, s62, v21
	v_lshl_or_b32 v21, v21, 4, v65
	ds_add_u32 v21, v91
	s_or_b32 exec_lo, exec_lo, s16
	s_mov_b32 s16, exec_lo
	v_cmpx_gt_u32_e64 s15, v55
	s_cbranch_execz .LBB1533_979
.LBB1533_995:                           ;   in Loop: Header=BB1533_948 Depth=2
	v_xor_b32_e32 v21, -1, v12
	v_and_b32_e32 v21, 1, v21
	v_lshrrev_b32_sdwa v21, s41, v21 dst_sel:DWORD dst_unused:UNUSED_PAD src0_sel:DWORD src1_sel:WORD_0
	v_and_b32_e32 v21, s62, v21
	v_lshl_or_b32 v21, v21, 4, v65
	ds_add_u32 v21, v91
	s_or_b32 exec_lo, exec_lo, s16
	s_mov_b32 s16, exec_lo
	v_cmpx_gt_u32_e64 s15, v56
	s_cbranch_execz .LBB1533_980
.LBB1533_996:                           ;   in Loop: Header=BB1533_948 Depth=2
	v_xor_b32_e32 v21, -1, v11
	v_and_b32_e32 v21, 1, v21
	v_lshrrev_b32_sdwa v21, s41, v21 dst_sel:DWORD dst_unused:UNUSED_PAD src0_sel:DWORD src1_sel:WORD_0
	v_and_b32_e32 v21, s62, v21
	v_lshl_or_b32 v21, v21, 4, v65
	ds_add_u32 v21, v91
	s_or_b32 exec_lo, exec_lo, s16
	s_mov_b32 s16, exec_lo
	v_cmpx_gt_u32_e64 s15, v57
	s_cbranch_execz .LBB1533_981
.LBB1533_997:                           ;   in Loop: Header=BB1533_948 Depth=2
	v_xor_b32_e32 v21, -1, v10
	v_and_b32_e32 v21, 1, v21
	v_lshrrev_b32_sdwa v21, s41, v21 dst_sel:DWORD dst_unused:UNUSED_PAD src0_sel:DWORD src1_sel:WORD_0
	v_and_b32_e32 v21, s62, v21
	v_lshl_or_b32 v21, v21, 4, v65
	ds_add_u32 v21, v91
	s_or_b32 exec_lo, exec_lo, s16
	s_mov_b32 s16, exec_lo
	v_cmpx_gt_u32_e64 s15, v58
	s_cbranch_execz .LBB1533_982
.LBB1533_998:                           ;   in Loop: Header=BB1533_948 Depth=2
	v_xor_b32_e32 v21, -1, v9
	v_and_b32_e32 v21, 1, v21
	v_lshrrev_b32_sdwa v21, s41, v21 dst_sel:DWORD dst_unused:UNUSED_PAD src0_sel:DWORD src1_sel:WORD_0
	v_and_b32_e32 v21, s62, v21
	v_lshl_or_b32 v21, v21, 4, v65
	ds_add_u32 v21, v91
	s_or_b32 exec_lo, exec_lo, s16
	s_mov_b32 s16, exec_lo
	v_cmpx_gt_u32_e64 s15, v59
	s_cbranch_execz .LBB1533_983
.LBB1533_999:                           ;   in Loop: Header=BB1533_948 Depth=2
	v_xor_b32_e32 v21, -1, v8
	v_and_b32_e32 v21, 1, v21
	v_lshrrev_b32_sdwa v21, s41, v21 dst_sel:DWORD dst_unused:UNUSED_PAD src0_sel:DWORD src1_sel:WORD_0
	v_and_b32_e32 v21, s62, v21
	v_lshl_or_b32 v21, v21, 4, v65
	ds_add_u32 v21, v91
	s_or_b32 exec_lo, exec_lo, s16
	s_mov_b32 s16, exec_lo
	v_cmpx_gt_u32_e64 s15, v60
	s_cbranch_execz .LBB1533_984
.LBB1533_1000:                          ;   in Loop: Header=BB1533_948 Depth=2
	v_xor_b32_e32 v21, -1, v7
	v_and_b32_e32 v21, 1, v21
	v_lshrrev_b32_sdwa v21, s41, v21 dst_sel:DWORD dst_unused:UNUSED_PAD src0_sel:DWORD src1_sel:WORD_0
	v_and_b32_e32 v21, s62, v21
	v_lshl_or_b32 v21, v21, 4, v65
	ds_add_u32 v21, v91
	s_or_b32 exec_lo, exec_lo, s16
	s_mov_b32 s16, exec_lo
	v_cmpx_gt_u32_e64 s15, v61
	s_cbranch_execz .LBB1533_985
.LBB1533_1001:                          ;   in Loop: Header=BB1533_948 Depth=2
	v_xor_b32_e32 v21, -1, v6
	v_and_b32_e32 v21, 1, v21
	v_lshrrev_b32_sdwa v21, s41, v21 dst_sel:DWORD dst_unused:UNUSED_PAD src0_sel:DWORD src1_sel:WORD_0
	v_and_b32_e32 v21, s62, v21
	v_lshl_or_b32 v21, v21, 4, v65
	ds_add_u32 v21, v91
	s_or_b32 exec_lo, exec_lo, s16
	s_mov_b32 s16, exec_lo
	v_cmpx_gt_u32_e64 s15, v62
	s_cbranch_execz .LBB1533_986
.LBB1533_1002:                          ;   in Loop: Header=BB1533_948 Depth=2
	v_xor_b32_e32 v21, -1, v5
	v_and_b32_e32 v21, 1, v21
	v_lshrrev_b32_sdwa v21, s41, v21 dst_sel:DWORD dst_unused:UNUSED_PAD src0_sel:DWORD src1_sel:WORD_0
	v_and_b32_e32 v21, s62, v21
	v_lshl_or_b32 v21, v21, 4, v65
	ds_add_u32 v21, v91
	s_or_b32 exec_lo, exec_lo, s16
	v_cmp_gt_u32_e32 vcc_lo, s15, v63
	s_and_saveexec_b32 s15, vcc_lo
	s_cbranch_execz .LBB1533_947
.LBB1533_1003:                          ;   in Loop: Header=BB1533_948 Depth=2
	v_xor_b32_e32 v21, -1, v4
	v_and_b32_e32 v21, 1, v21
	v_lshrrev_b32_sdwa v21, s41, v21 dst_sel:DWORD dst_unused:UNUSED_PAD src0_sel:DWORD src1_sel:WORD_0
	v_and_b32_e32 v21, s62, v21
	v_lshl_or_b32 v21, v21, 4, v65
	ds_add_u32 v21, v91
	s_branch .LBB1533_947
.LBB1533_1004:                          ;   in Loop: Header=BB1533_948 Depth=2
	s_waitcnt vmcnt(0)
	v_add_co_u32 v21, s18, s15, v0
	v_add_co_ci_u32_e64 v22, null, s16, 0, s18
	global_load_ubyte v17, v[21:22], off
	s_or_b32 exec_lo, exec_lo, s17
	s_mov_b32 s17, exec_lo
	v_cmpx_gt_u32_e64 s5, v46
	s_cbranch_execz .LBB1533_953
.LBB1533_1005:                          ;   in Loop: Header=BB1533_948 Depth=2
	v_add_co_u32 v20, s18, s15, v0
	s_waitcnt vmcnt(0)
	v_add_co_ci_u32_e64 v21, null, s16, 0, s18
	global_load_ubyte v20, v[20:21], off offset:256
	s_or_b32 exec_lo, exec_lo, s17
	s_mov_b32 s17, exec_lo
	v_cmpx_gt_u32_e64 s5, v49
	s_cbranch_execz .LBB1533_954
.LBB1533_1006:                          ;   in Loop: Header=BB1533_948 Depth=2
	s_waitcnt vmcnt(0)
	v_add_co_u32 v21, s18, s15, v0
	v_add_co_ci_u32_e64 v22, null, s16, 0, s18
	global_load_ubyte v19, v[21:22], off offset:512
	s_or_b32 exec_lo, exec_lo, s17
	s_mov_b32 s17, exec_lo
	v_cmpx_gt_u32_e64 s5, v50
	s_cbranch_execz .LBB1533_955
.LBB1533_1007:                          ;   in Loop: Header=BB1533_948 Depth=2
	s_waitcnt vmcnt(0)
	v_add_co_u32 v21, s18, s15, v0
	v_add_co_ci_u32_e64 v22, null, s16, 0, s18
	global_load_ubyte v18, v[21:22], off offset:768
	s_or_b32 exec_lo, exec_lo, s17
	s_mov_b32 s17, exec_lo
	v_cmpx_gt_u32_e64 s5, v51
	s_cbranch_execz .LBB1533_956
.LBB1533_1008:                          ;   in Loop: Header=BB1533_948 Depth=2
	s_waitcnt vmcnt(0)
	v_add_co_u32 v21, s18, s15, v0
	v_add_co_ci_u32_e64 v22, null, s16, 0, s18
	global_load_ubyte v16, v[21:22], off offset:1024
	s_or_b32 exec_lo, exec_lo, s17
	s_mov_b32 s17, exec_lo
	v_cmpx_gt_u32_e64 s5, v52
	s_cbranch_execz .LBB1533_957
.LBB1533_1009:                          ;   in Loop: Header=BB1533_948 Depth=2
	s_waitcnt vmcnt(0)
	v_add_co_u32 v21, s18, s15, v0
	v_add_co_ci_u32_e64 v22, null, s16, 0, s18
	global_load_ubyte v15, v[21:22], off offset:1280
	s_or_b32 exec_lo, exec_lo, s17
	s_mov_b32 s17, exec_lo
	v_cmpx_gt_u32_e64 s5, v53
	s_cbranch_execz .LBB1533_958
.LBB1533_1010:                          ;   in Loop: Header=BB1533_948 Depth=2
	s_waitcnt vmcnt(0)
	v_add_co_u32 v21, s18, s15, v0
	v_add_co_ci_u32_e64 v22, null, s16, 0, s18
	global_load_ubyte v14, v[21:22], off offset:1536
	s_or_b32 exec_lo, exec_lo, s17
	s_mov_b32 s17, exec_lo
	v_cmpx_gt_u32_e64 s5, v54
	s_cbranch_execz .LBB1533_959
.LBB1533_1011:                          ;   in Loop: Header=BB1533_948 Depth=2
	s_waitcnt vmcnt(0)
	v_add_co_u32 v21, s18, s15, v0
	v_add_co_ci_u32_e64 v22, null, s16, 0, s18
	global_load_ubyte v13, v[21:22], off offset:1792
	s_or_b32 exec_lo, exec_lo, s17
	s_mov_b32 s17, exec_lo
	v_cmpx_gt_u32_e64 s5, v55
	s_cbranch_execz .LBB1533_960
.LBB1533_1012:                          ;   in Loop: Header=BB1533_948 Depth=2
	s_waitcnt vmcnt(0)
	v_add_co_u32 v21, s18, s15, v55
	v_add_co_ci_u32_e64 v22, null, s16, 0, s18
	global_load_ubyte v12, v[21:22], off
	s_or_b32 exec_lo, exec_lo, s17
	s_mov_b32 s17, exec_lo
	v_cmpx_gt_u32_e64 s5, v56
	s_cbranch_execz .LBB1533_961
.LBB1533_1013:                          ;   in Loop: Header=BB1533_948 Depth=2
	s_waitcnt vmcnt(0)
	v_add_co_u32 v21, s18, s15, v56
	v_add_co_ci_u32_e64 v22, null, s16, 0, s18
	global_load_ubyte v11, v[21:22], off
	s_or_b32 exec_lo, exec_lo, s17
	s_mov_b32 s17, exec_lo
	v_cmpx_gt_u32_e64 s5, v57
	s_cbranch_execz .LBB1533_962
.LBB1533_1014:                          ;   in Loop: Header=BB1533_948 Depth=2
	s_waitcnt vmcnt(0)
	v_add_co_u32 v21, s18, s15, v57
	v_add_co_ci_u32_e64 v22, null, s16, 0, s18
	global_load_ubyte v10, v[21:22], off
	s_or_b32 exec_lo, exec_lo, s17
	s_mov_b32 s17, exec_lo
	v_cmpx_gt_u32_e64 s5, v58
	s_cbranch_execz .LBB1533_963
.LBB1533_1015:                          ;   in Loop: Header=BB1533_948 Depth=2
	s_waitcnt vmcnt(0)
	v_add_co_u32 v21, s18, s15, v58
	v_add_co_ci_u32_e64 v22, null, s16, 0, s18
	global_load_ubyte v9, v[21:22], off
	s_or_b32 exec_lo, exec_lo, s17
	s_mov_b32 s17, exec_lo
	v_cmpx_gt_u32_e64 s5, v59
	s_cbranch_execz .LBB1533_964
.LBB1533_1016:                          ;   in Loop: Header=BB1533_948 Depth=2
	s_waitcnt vmcnt(0)
	v_add_co_u32 v21, s18, s15, v59
	v_add_co_ci_u32_e64 v22, null, s16, 0, s18
	global_load_ubyte v8, v[21:22], off
	s_or_b32 exec_lo, exec_lo, s17
	s_mov_b32 s17, exec_lo
	v_cmpx_gt_u32_e64 s5, v60
	s_cbranch_execz .LBB1533_965
.LBB1533_1017:                          ;   in Loop: Header=BB1533_948 Depth=2
	s_waitcnt vmcnt(0)
	v_add_co_u32 v21, s18, s15, v60
	v_add_co_ci_u32_e64 v22, null, s16, 0, s18
	global_load_ubyte v7, v[21:22], off
	s_or_b32 exec_lo, exec_lo, s17
	s_mov_b32 s17, exec_lo
	v_cmpx_gt_u32_e64 s5, v61
	s_cbranch_execz .LBB1533_966
.LBB1533_1018:                          ;   in Loop: Header=BB1533_948 Depth=2
	s_waitcnt vmcnt(0)
	v_add_co_u32 v21, s18, s15, v61
	v_add_co_ci_u32_e64 v22, null, s16, 0, s18
	global_load_ubyte v6, v[21:22], off
	s_or_b32 exec_lo, exec_lo, s17
	s_mov_b32 s17, exec_lo
	v_cmpx_gt_u32_e64 s5, v62
	s_cbranch_execz .LBB1533_967
.LBB1533_1019:                          ;   in Loop: Header=BB1533_948 Depth=2
	s_waitcnt vmcnt(0)
	v_add_co_u32 v21, s18, s15, v62
	v_add_co_ci_u32_e64 v22, null, s16, 0, s18
	global_load_ubyte v5, v[21:22], off
	s_or_b32 exec_lo, exec_lo, s17
	s_mov_b32 s17, exec_lo
	v_cmpx_gt_u32_e64 s5, v63
	s_cbranch_execnz .LBB1533_968
	s_branch .LBB1533_969
.LBB1533_1020:                          ;   in Loop: Header=BB1533_12 Depth=1
	v_mov_b32_e32 v4, 0
	s_waitcnt lgkmcnt(0)
	s_barrier
	buffer_gl0_inv
	s_and_saveexec_b32 s5, s7
	s_cbranch_execz .LBB1533_1022
; %bb.1021:                             ;   in Loop: Header=BB1533_12 Depth=1
	ds_read2_b64 v[4:7], v66 offset1:1
	s_waitcnt lgkmcnt(0)
	v_add_nc_u32_e32 v4, v5, v4
	v_add3_u32 v4, v4, v6, v7
.LBB1533_1022:                          ;   in Loop: Header=BB1533_12 Depth=1
	s_or_b32 exec_lo, exec_lo, s5
	v_and_b32_e32 v5, 15, v88
	v_mov_b32_dpp v6, v4 row_shr:1 row_mask:0xf bank_mask:0xf
	v_and_b32_e32 v7, 16, v88
	v_cmp_eq_u32_e64 s5, 0, v5
	v_cmp_lt_u32_e64 s14, 1, v5
	v_cmp_lt_u32_e64 s15, 3, v5
	;; [unrolled: 1-line block ×3, first 2 shown]
	v_cmp_eq_u32_e64 s17, 0, v7
	v_cndmask_b32_e64 v6, v6, 0, s5
	v_add_nc_u32_e32 v4, v6, v4
	v_mov_b32_dpp v6, v4 row_shr:2 row_mask:0xf bank_mask:0xf
	v_cndmask_b32_e64 v6, 0, v6, s14
	v_add_nc_u32_e32 v4, v4, v6
	v_mov_b32_dpp v6, v4 row_shr:4 row_mask:0xf bank_mask:0xf
	;; [unrolled: 3-line block ×3, first 2 shown]
	v_cndmask_b32_e64 v5, 0, v6, s16
	v_bfe_i32 v6, v88, 4, 1
	v_add_nc_u32_e32 v4, v4, v5
	ds_swizzle_b32 v5, v4 offset:swizzle(BROADCAST,32,15)
	s_waitcnt lgkmcnt(0)
	v_and_b32_e32 v5, v6, v5
	v_add_nc_u32_e32 v4, v4, v5
	s_and_saveexec_b32 s18, s8
; %bb.1023:                             ;   in Loop: Header=BB1533_12 Depth=1
	ds_write_b32 v67, v4
; %bb.1024:                             ;   in Loop: Header=BB1533_12 Depth=1
	s_or_b32 exec_lo, exec_lo, s18
	s_waitcnt lgkmcnt(0)
	s_barrier
	buffer_gl0_inv
	s_and_saveexec_b32 s18, s9
	s_cbranch_execz .LBB1533_1026
; %bb.1025:                             ;   in Loop: Header=BB1533_12 Depth=1
	ds_read_b32 v5, v68
	v_and_b32_e32 v6, 3, v88
	v_cmp_ne_u32_e32 vcc_lo, 0, v6
	s_waitcnt lgkmcnt(0)
	v_mov_b32_dpp v7, v5 row_shr:1 row_mask:0xf bank_mask:0xf
	v_cndmask_b32_e32 v7, 0, v7, vcc_lo
	v_cmp_lt_u32_e32 vcc_lo, 1, v6
	v_add_nc_u32_e32 v5, v7, v5
	v_mov_b32_dpp v7, v5 row_shr:2 row_mask:0xf bank_mask:0xf
	v_cndmask_b32_e32 v6, 0, v7, vcc_lo
	v_add_nc_u32_e32 v5, v5, v6
	ds_write_b32 v68, v5
.LBB1533_1026:                          ;   in Loop: Header=BB1533_12 Depth=1
	s_or_b32 exec_lo, exec_lo, s18
	v_mov_b32_e32 v5, 0
	s_waitcnt lgkmcnt(0)
	s_barrier
	buffer_gl0_inv
	s_and_saveexec_b32 s18, s10
; %bb.1027:                             ;   in Loop: Header=BB1533_12 Depth=1
	ds_read_b32 v5, v69
; %bb.1028:                             ;   in Loop: Header=BB1533_12 Depth=1
	s_or_b32 exec_lo, exec_lo, s18
	v_sub_co_u32 v6, s18, v88, 1
	s_waitcnt lgkmcnt(0)
	v_add_nc_u32_e32 v4, v5, v4
	s_barrier
	v_cmp_gt_i32_e32 vcc_lo, 0, v6
	buffer_gl0_inv
	v_cndmask_b32_e32 v6, v6, v88, vcc_lo
	v_lshlrev_b32_e32 v95, 2, v6
	ds_bpermute_b32 v4, v95, v4
	s_and_saveexec_b32 s19, s7
	s_cbranch_execz .LBB1533_1030
; %bb.1029:                             ;   in Loop: Header=BB1533_12 Depth=1
	s_waitcnt lgkmcnt(0)
	v_cndmask_b32_e64 v4, v4, v5, s18
	v_add_nc_u32_e32 v4, s58, v4
	ds_write_b32 v45, v4
.LBB1533_1030:                          ;   in Loop: Header=BB1533_12 Depth=1
	s_or_b32 exec_lo, exec_lo, s19
	s_load_dwordx2 s[20:21], s[56:57], 0x0
	v_lshlrev_b32_e32 v7, 3, v88
	v_and_b32_e32 v6, 7, v88
	v_or_b32_e32 v96, v88, v70
	v_add_co_u32 v97, vcc_lo, v89, v88
	v_add_co_ci_u32_e64 v98, null, 0, v90, vcc_lo
	v_add_co_u32 v99, vcc_lo, v86, v7
	v_add_co_ci_u32_e64 v100, null, 0, v87, vcc_lo
	v_add_nc_u32_e32 v101, 32, v96
	v_add_nc_u32_e32 v102, 64, v96
	;; [unrolled: 1-line block ×8, first 2 shown]
	s_waitcnt lgkmcnt(0)
	s_cmp_lt_u32 s28, s21
	v_add_nc_u32_e32 v109, 0x120, v96
	s_cselect_b32 s19, 14, 20
	v_add_nc_u32_e32 v110, 0x140, v96
	s_add_u32 s22, s56, s19
	s_addc_u32 s23, s57, 0
	s_cmp_lt_u32 s6, s20
	global_load_ushort v4, v3, s[22:23]
	s_cselect_b32 s19, 12, 18
	v_add_nc_u32_e32 v111, 0x160, v96
	s_add_u32 s20, s56, s19
	s_addc_u32 s21, s57, 0
	v_cmp_eq_u32_e64 s19, 0, v6
	global_load_ushort v5, v3, s[20:21]
	v_cmp_lt_u32_e64 s20, 1, v6
	v_cmp_lt_u32_e64 s21, 3, v6
	v_add_nc_u32_e32 v112, 0x180, v96
	v_add_nc_u32_e32 v113, 0x1a0, v96
	;; [unrolled: 1-line block ×5, first 2 shown]
	v_mov_b32_e32 v8, 0
	s_mov_b32 s63, s60
	s_mov_b32 s50, s58
                                        ; implicit-def: $vgpr9_vgpr10
                                        ; implicit-def: $vgpr11_vgpr12
                                        ; implicit-def: $vgpr13_vgpr14
                                        ; implicit-def: $vgpr15_vgpr16
                                        ; implicit-def: $vgpr17_vgpr18
                                        ; implicit-def: $vgpr19_vgpr20
                                        ; implicit-def: $vgpr23_vgpr24
                                        ; implicit-def: $vgpr27_vgpr28
                                        ; implicit-def: $vgpr31_vgpr32
                                        ; implicit-def: $vgpr21_vgpr22
                                        ; implicit-def: $vgpr25_vgpr26
                                        ; implicit-def: $vgpr29_vgpr30
                                        ; implicit-def: $vgpr33_vgpr34
                                        ; implicit-def: $vgpr35_vgpr36
                                        ; implicit-def: $vgpr37_vgpr38
                                        ; implicit-def: $vgpr39_vgpr40
                                        ; implicit-def: $vgpr41_vgpr42
                                        ; implicit-def: $vgpr118
                                        ; implicit-def: $vgpr119
                                        ; implicit-def: $vgpr120
                                        ; implicit-def: $vgpr121
                                        ; implicit-def: $vgpr122
                                        ; implicit-def: $vgpr123
                                        ; implicit-def: $vgpr124
                                        ; implicit-def: $vgpr125
                                        ; implicit-def: $vgpr126
                                        ; implicit-def: $vgpr127
                                        ; implicit-def: $vgpr128
                                        ; implicit-def: $vgpr129
                                        ; implicit-def: $vgpr130
                                        ; implicit-def: $vgpr131
                                        ; implicit-def: $vgpr132
                                        ; implicit-def: $vgpr133
                                        ; implicit-def: $vgpr134
                                        ; implicit-def: $vgpr135
                                        ; implicit-def: $vgpr136
	s_waitcnt vmcnt(1)
	v_mad_u32_u24 v4, v2, v4, v1
	s_waitcnt vmcnt(0)
	v_mad_u64_u32 v[4:5], null, v4, v5, v[0:1]
	v_lshrrev_b32_e32 v4, 3, v4
	v_and_b32_e32 v117, 0x1ffffffc, v4
	s_branch .LBB1533_1032
.LBB1533_1031:                          ;   in Loop: Header=BB1533_1032 Depth=2
	s_or_b32 exec_lo, exec_lo, s22
	s_addk_i32 s63, 0xef00
	s_cmp_lt_u32 s64, s59
	s_mov_b32 s50, s64
	s_cbranch_scc0 .LBB1533_10
.LBB1533_1032:                          ;   Parent Loop BB1533_12 Depth=1
                                        ; =>  This Inner Loop Header: Depth=2
	s_add_i32 s64, s50, 0x1100
	s_cmp_gt_u32 s64, s59
	s_cbranch_scc1 .LBB1533_1034
; %bb.1033:                             ;   in Loop: Header=BB1533_1032 Depth=2
	v_add_co_u32 v4, vcc_lo, v97, s50
	v_add_co_ci_u32_e64 v5, null, 0, v98, vcc_lo
	v_and_b32_sdwa v8, v94, v8 dst_sel:DWORD dst_unused:UNUSED_PAD src0_sel:DWORD src1_sel:BYTE_0
	s_mov_b32 s22, -1
	s_clause 0xf
	global_load_ubyte v6, v[4:5], off offset:416
	global_load_ubyte v7, v[4:5], off offset:480
	global_load_ubyte v43, v[4:5], off offset:448
	global_load_ubyte v44, v[4:5], off offset:384
	global_load_ubyte v137, v[4:5], off offset:288
	global_load_ubyte v138, v[4:5], off offset:352
	global_load_ubyte v139, v[4:5], off offset:320
	global_load_ubyte v140, v[4:5], off offset:256
	global_load_ubyte v141, v[4:5], off offset:160
	global_load_ubyte v142, v[4:5], off offset:224
	global_load_ubyte v143, v[4:5], off offset:192
	global_load_ubyte v144, v[4:5], off offset:128
	global_load_ubyte v145, v[4:5], off offset:32
	global_load_ubyte v146, v[4:5], off offset:64
	global_load_ubyte v147, v[4:5], off
	global_load_ubyte v4, v[4:5], off offset:96
	s_waitcnt vmcnt(12)
	v_perm_b32 v5, v44, v6, 0xc0c0004
	v_perm_b32 v6, v43, v7, 0xc0c0004
	s_waitcnt vmcnt(9)
	v_perm_b32 v44, v139, v138, 0xc0c0004
	s_waitcnt vmcnt(8)
	v_perm_b32 v43, v140, v137, 0xc0c0004
	v_lshl_or_b32 v7, v6, 16, v5
	s_waitcnt vmcnt(5)
	v_perm_b32 v138, v143, v142, 0xc0c0004
	s_waitcnt vmcnt(4)
	v_perm_b32 v137, v144, v141, 0xc0c0004
	v_lshl_or_b32 v6, v44, 16, v43
	;; [unrolled: 5-line block ×3, first 2 shown]
	v_lshl_or_b32 v4, v4, 16, v139
	s_movk_i32 s23, 0x1100
	s_cbranch_execz .LBB1533_1035
	s_branch .LBB1533_1053
.LBB1533_1034:                          ;   in Loop: Header=BB1533_1032 Depth=2
	s_mov_b32 s22, 0
                                        ; implicit-def: $vgpr4_vgpr5_vgpr6_vgpr7_vgpr8
	s_movk_i32 s23, 0x1100
.LBB1533_1035:                          ;   in Loop: Header=BB1533_1032 Depth=2
	v_mov_b32_e32 v7, v3
	v_mov_b32_e32 v4, v3
	;; [unrolled: 1-line block ×4, first 2 shown]
	v_add_co_u32 v43, vcc_lo, v97, s50
	v_mov_b32_e32 v8, v7
	v_add_co_ci_u32_e64 v44, null, 0, v98, vcc_lo
	v_mov_b32_e32 v7, v6
	v_mov_b32_e32 v6, v5
	;; [unrolled: 1-line block ×4, first 2 shown]
	s_mov_b32 s22, exec_lo
	v_cmpx_gt_u32_e64 s63, v96
	s_cbranch_execnz .LBB1533_1239
; %bb.1036:                             ;   in Loop: Header=BB1533_1032 Depth=2
	s_or_b32 exec_lo, exec_lo, s22
	s_mov_b32 s22, exec_lo
	v_cmpx_gt_u32_e64 s63, v101
	s_cbranch_execnz .LBB1533_1240
.LBB1533_1037:                          ;   in Loop: Header=BB1533_1032 Depth=2
	s_or_b32 exec_lo, exec_lo, s22
	s_mov_b32 s22, exec_lo
	v_cmpx_gt_u32_e64 s63, v102
	s_cbranch_execnz .LBB1533_1241
.LBB1533_1038:                          ;   in Loop: Header=BB1533_1032 Depth=2
	s_or_b32 exec_lo, exec_lo, s22
	s_mov_b32 s22, exec_lo
	v_cmpx_gt_u32_e64 s63, v103
	s_cbranch_execnz .LBB1533_1242
.LBB1533_1039:                          ;   in Loop: Header=BB1533_1032 Depth=2
	s_or_b32 exec_lo, exec_lo, s22
	s_mov_b32 s22, exec_lo
	v_cmpx_gt_u32_e64 s63, v104
	s_cbranch_execnz .LBB1533_1243
.LBB1533_1040:                          ;   in Loop: Header=BB1533_1032 Depth=2
	s_or_b32 exec_lo, exec_lo, s22
	s_mov_b32 s22, exec_lo
	v_cmpx_gt_u32_e64 s63, v105
	s_cbranch_execnz .LBB1533_1244
.LBB1533_1041:                          ;   in Loop: Header=BB1533_1032 Depth=2
	s_or_b32 exec_lo, exec_lo, s22
	s_mov_b32 s22, exec_lo
	v_cmpx_gt_u32_e64 s63, v106
	s_cbranch_execnz .LBB1533_1245
.LBB1533_1042:                          ;   in Loop: Header=BB1533_1032 Depth=2
	s_or_b32 exec_lo, exec_lo, s22
	s_mov_b32 s22, exec_lo
	v_cmpx_gt_u32_e64 s63, v107
	s_cbranch_execnz .LBB1533_1246
.LBB1533_1043:                          ;   in Loop: Header=BB1533_1032 Depth=2
	s_or_b32 exec_lo, exec_lo, s22
	s_mov_b32 s22, exec_lo
	v_cmpx_gt_u32_e64 s63, v108
	s_cbranch_execnz .LBB1533_1247
.LBB1533_1044:                          ;   in Loop: Header=BB1533_1032 Depth=2
	s_or_b32 exec_lo, exec_lo, s22
	s_mov_b32 s22, exec_lo
	v_cmpx_gt_u32_e64 s63, v109
	s_cbranch_execnz .LBB1533_1248
.LBB1533_1045:                          ;   in Loop: Header=BB1533_1032 Depth=2
	s_or_b32 exec_lo, exec_lo, s22
	s_mov_b32 s22, exec_lo
	v_cmpx_gt_u32_e64 s63, v110
	s_cbranch_execnz .LBB1533_1249
.LBB1533_1046:                          ;   in Loop: Header=BB1533_1032 Depth=2
	s_or_b32 exec_lo, exec_lo, s22
	s_mov_b32 s22, exec_lo
	v_cmpx_gt_u32_e64 s63, v111
	s_cbranch_execnz .LBB1533_1250
.LBB1533_1047:                          ;   in Loop: Header=BB1533_1032 Depth=2
	s_or_b32 exec_lo, exec_lo, s22
	s_mov_b32 s22, exec_lo
	v_cmpx_gt_u32_e64 s63, v112
	s_cbranch_execnz .LBB1533_1251
.LBB1533_1048:                          ;   in Loop: Header=BB1533_1032 Depth=2
	s_or_b32 exec_lo, exec_lo, s22
	s_mov_b32 s22, exec_lo
	v_cmpx_gt_u32_e64 s63, v113
	s_cbranch_execnz .LBB1533_1252
.LBB1533_1049:                          ;   in Loop: Header=BB1533_1032 Depth=2
	s_or_b32 exec_lo, exec_lo, s22
	s_mov_b32 s22, exec_lo
	v_cmpx_gt_u32_e64 s63, v114
	s_cbranch_execnz .LBB1533_1253
.LBB1533_1050:                          ;   in Loop: Header=BB1533_1032 Depth=2
	s_or_b32 exec_lo, exec_lo, s22
	s_mov_b32 s22, exec_lo
	v_cmpx_gt_u32_e64 s63, v115
	s_cbranch_execz .LBB1533_1052
.LBB1533_1051:                          ;   in Loop: Header=BB1533_1032 Depth=2
	global_load_ubyte v43, v[43:44], off offset:480
	v_and_b32_e32 v8, 0xff, v8
	s_waitcnt vmcnt(0)
	v_perm_b32 v7, v7, v43, 0x60504
.LBB1533_1052:                          ;   in Loop: Header=BB1533_1032 Depth=2
	s_or_b32 exec_lo, exec_lo, s22
	v_cmp_gt_u32_e64 s22, s63, v116
	s_sub_i32 s23, s59, s50
.LBB1533_1053:                          ;   in Loop: Header=BB1533_1032 Depth=2
	v_mov_b32_e32 v43, s63
	s_and_saveexec_b32 s24, s22
	s_cbranch_execz .LBB1533_1055
; %bb.1054:                             ;   in Loop: Header=BB1533_1032 Depth=2
	v_add_co_u32 v43, vcc_lo, v97, s50
	v_add_co_ci_u32_e64 v44, null, s51, v98, vcc_lo
	global_load_ubyte v8, v[43:44], off offset:512
	v_mov_b32_e32 v43, s23
.LBB1533_1055:                          ;   in Loop: Header=BB1533_1032 Depth=2
	s_or_b32 exec_lo, exec_lo, s24
	s_waitcnt vmcnt(0)
	v_and_b32_e32 v44, 1, v4
	v_and_b32_sdwa v140, v91, v4 dst_sel:DWORD dst_unused:UNUSED_PAD src0_sel:DWORD src1_sel:BYTE_1
	v_and_b32_e32 v148, 0x1000000, v4
	v_and_b32_e32 v149, 0x10000, v4
	v_and_b32_sdwa v137, v91, v7 dst_sel:DWORD dst_unused:UNUSED_PAD src0_sel:DWORD src1_sel:BYTE_1
	v_cmp_eq_u32_e32 vcc_lo, 1, v44
	v_and_b32_sdwa v139, v91, v5 dst_sel:DWORD dst_unused:UNUSED_PAD src0_sel:DWORD src1_sel:BYTE_1
	v_and_b32_e32 v146, 0x1000000, v5
	v_and_b32_e32 v147, 0x10000, v5
	;; [unrolled: 1-line block ×3, first 2 shown]
	s_xor_b32 s22, vcc_lo, -1
	v_cmp_eq_u32_e64 s24, 1, v137
	v_cndmask_b32_e64 v44, 0, 1, s22
	v_and_b32_sdwa v138, v91, v6 dst_sel:DWORD dst_unused:UNUSED_PAD src0_sel:DWORD src1_sel:BYTE_1
	v_and_b32_e32 v141, 0x1000000, v7
	v_and_b32_e32 v142, 0x10000, v7
	;; [unrolled: 1-line block ×3, first 2 shown]
	v_lshrrev_b32_e32 v145, s41, v44
	v_and_b32_e32 v143, 0x1000000, v6
	v_and_b32_e32 v144, 0x10000, v6
	;; [unrolled: 1-line block ×3, first 2 shown]
	v_cmp_eq_u32_e64 s35, 1, v5
	v_and_b32_e32 v145, s62, v145
	v_and_b32_e32 v8, 1, v8
	v_cmp_eq_u32_e64 s29, 1, v138
	v_cmp_eq_u32_e64 s34, 1, v139
	;; [unrolled: 1-line block ×3, first 2 shown]
	v_add_co_u32 v4, s22, v145, -1
	v_cndmask_b32_e64 v150, 0, 1, s22
	v_mul_u32_u24_e32 v5, 36, v145
	v_cmp_ne_u32_e64 s23, 0, v142
	v_cmp_eq_u32_e64 s25, 1, v7
	v_cmp_ne_u32_e64 s26, 0, v143
	v_cmp_ne_u32_e64 s22, 0, v150
	;; [unrolled: 1-line block ×3, first 2 shown]
	v_cmp_eq_u32_e64 s30, 1, v6
	v_cmp_ne_u32_e64 s31, 0, v146
	v_cmp_ne_u32_e64 s33, 0, v147
	v_xor_b32_e32 v4, s22, v4
	v_cmp_ne_u32_e64 s22, 0, v141
	v_cmp_ne_u32_e64 s36, 0, v148
	;; [unrolled: 1-line block ×3, first 2 shown]
	v_add_nc_u32_e32 v140, v117, v5
	v_and_b32_e32 v4, exec_lo, v4
	ds_write2_b32 v71, v3, v3 offset0:136 offset1:137
	ds_write2_b32 v71, v3, v3 offset0:138 offset1:139
	ds_write_b32 v71, v3 offset:560
	s_waitcnt lgkmcnt(0)
	v_cmp_eq_u32_e32 vcc_lo, 1, v8
	v_mbcnt_lo_u32_b32 v137, v4, 0
	v_cmp_ne_u32_e64 s40, 0, v4
	s_barrier
	buffer_gl0_inv
	v_cmp_eq_u32_e64 s39, 0, v137
	; wave barrier
	s_and_b32 s40, s40, s39
	s_and_saveexec_b32 s39, s40
; %bb.1056:                             ;   in Loop: Header=BB1533_1032 Depth=2
	v_bcnt_u32_b32 v4, v4, 0
	ds_write_b32 v140, v4 offset:544
; %bb.1057:                             ;   in Loop: Header=BB1533_1032 Depth=2
	s_or_b32 exec_lo, exec_lo, s39
	s_xor_b32 s38, s38, -1
	v_cndmask_b32_e64 v150, 0, 1, s38
	; wave barrier
	v_lshrrev_b32_e32 v4, s41, v150
	v_and_b32_e32 v5, s62, v4
	v_add_co_u32 v4, s38, v5, -1
	v_cndmask_b32_e64 v6, 0, 1, s38
	v_cmp_ne_u32_e64 s38, 0, v6
	v_mad_u32_u24 v6, v5, 36, v117
	v_mul_u32_u24_e32 v5, 36, v5
	v_xor_b32_e32 v4, s38, v4
	ds_read_b32 v138, v6 offset:544
	v_add_nc_u32_e32 v143, v117, v5
	; wave barrier
	v_and_b32_e32 v4, exec_lo, v4
	v_mbcnt_lo_u32_b32 v139, v4, 0
	v_cmp_ne_u32_e64 s39, 0, v4
	v_cmp_eq_u32_e64 s38, 0, v139
	s_and_b32 s39, s39, s38
	s_and_saveexec_b32 s38, s39
	s_cbranch_execz .LBB1533_1059
; %bb.1058:                             ;   in Loop: Header=BB1533_1032 Depth=2
	s_waitcnt lgkmcnt(0)
	v_bcnt_u32_b32 v4, v4, v138
	ds_write_b32 v143, v4 offset:544
.LBB1533_1059:                          ;   in Loop: Header=BB1533_1032 Depth=2
	s_or_b32 exec_lo, exec_lo, s38
	s_xor_b32 s37, s37, -1
	v_cndmask_b32_e64 v153, 0, 1, s37
	; wave barrier
	v_lshrrev_b32_e32 v4, s41, v153
	v_and_b32_e32 v5, s62, v4
	v_add_co_u32 v4, s37, v5, -1
	v_cndmask_b32_e64 v6, 0, 1, s37
	v_cmp_ne_u32_e64 s37, 0, v6
	v_mad_u32_u24 v6, v5, 36, v117
	v_mul_u32_u24_e32 v5, 36, v5
	v_xor_b32_e32 v4, s37, v4
	ds_read_b32 v141, v6 offset:544
	v_add_nc_u32_e32 v146, v117, v5
	; wave barrier
	v_and_b32_e32 v4, exec_lo, v4
	v_mbcnt_lo_u32_b32 v142, v4, 0
	v_cmp_ne_u32_e64 s38, 0, v4
	v_cmp_eq_u32_e64 s37, 0, v142
	s_and_b32 s38, s38, s37
	s_and_saveexec_b32 s37, s38
	s_cbranch_execz .LBB1533_1061
; %bb.1060:                             ;   in Loop: Header=BB1533_1032 Depth=2
	s_waitcnt lgkmcnt(0)
	v_bcnt_u32_b32 v4, v4, v141
	ds_write_b32 v146, v4 offset:544
.LBB1533_1061:                          ;   in Loop: Header=BB1533_1032 Depth=2
	;; [unrolled: 27-line block ×15, first 2 shown]
	s_or_b32 exec_lo, exec_lo, s22
	s_xor_b32 s22, vcc_lo, -1
	v_cndmask_b32_e64 v8, 0, 1, s22
	; wave barrier
	v_lshrrev_b32_e32 v4, s41, v8
	v_and_b32_e32 v5, s62, v4
	v_add_co_u32 v4, s22, v5, -1
	v_cndmask_b32_e64 v6, 0, 1, s22
	v_cmp_ne_u32_e32 vcc_lo, 0, v6
	v_mad_u32_u24 v6, v5, 36, v117
	v_mul_u32_u24_e32 v5, 36, v5
	v_xor_b32_e32 v4, vcc_lo, v4
	ds_read_b32 v198, v6 offset:544
	v_add_nc_u32_e32 v201, v117, v5
	; wave barrier
	v_and_b32_e32 v4, exec_lo, v4
	v_mbcnt_lo_u32_b32 v199, v4, 0
	v_cmp_ne_u32_e64 s22, 0, v4
	v_cmp_eq_u32_e32 vcc_lo, 0, v199
	s_and_b32 s23, s22, vcc_lo
	s_and_saveexec_b32 s22, s23
	s_cbranch_execz .LBB1533_1089
; %bb.1088:                             ;   in Loop: Header=BB1533_1032 Depth=2
	s_waitcnt lgkmcnt(0)
	v_bcnt_u32_b32 v4, v4, v198
	ds_write_b32 v201, v4 offset:544
.LBB1533_1089:                          ;   in Loop: Header=BB1533_1032 Depth=2
	s_or_b32 exec_lo, exec_lo, s22
	; wave barrier
	s_waitcnt lgkmcnt(0)
	s_barrier
	buffer_gl0_inv
	ds_read2_b32 v[6:7], v71 offset0:136 offset1:137
	ds_read2_b32 v[4:5], v71 offset0:138 offset1:139
	ds_read_b32 v202, v71 offset:560
	s_waitcnt lgkmcnt(1)
	v_add3_u32 v203, v7, v6, v4
	s_waitcnt lgkmcnt(0)
	v_add3_u32 v202, v203, v5, v202
	v_mov_b32_dpp v203, v202 row_shr:1 row_mask:0xf bank_mask:0xf
	v_cndmask_b32_e64 v203, v203, 0, s5
	v_add_nc_u32_e32 v202, v203, v202
	v_mov_b32_dpp v203, v202 row_shr:2 row_mask:0xf bank_mask:0xf
	v_cndmask_b32_e64 v203, 0, v203, s14
	v_add_nc_u32_e32 v202, v202, v203
	;; [unrolled: 3-line block ×4, first 2 shown]
	ds_swizzle_b32 v203, v202 offset:swizzle(BROADCAST,32,15)
	s_waitcnt lgkmcnt(0)
	v_cndmask_b32_e64 v203, v203, 0, s17
	v_add_nc_u32_e32 v202, v202, v203
	s_and_saveexec_b32 s22, s4
; %bb.1090:                             ;   in Loop: Header=BB1533_1032 Depth=2
	ds_write_b32 v64, v202 offset:512
; %bb.1091:                             ;   in Loop: Header=BB1533_1032 Depth=2
	s_or_b32 exec_lo, exec_lo, s22
	s_waitcnt lgkmcnt(0)
	s_barrier
	buffer_gl0_inv
	s_and_saveexec_b32 s22, s11
	s_cbranch_execz .LBB1533_1093
; %bb.1092:                             ;   in Loop: Header=BB1533_1032 Depth=2
	ds_read_b32 v203, v72 offset:512
	s_waitcnt lgkmcnt(0)
	v_mov_b32_dpp v204, v203 row_shr:1 row_mask:0xf bank_mask:0xf
	v_cndmask_b32_e64 v204, v204, 0, s19
	v_add_nc_u32_e32 v203, v204, v203
	v_mov_b32_dpp v204, v203 row_shr:2 row_mask:0xf bank_mask:0xf
	v_cndmask_b32_e64 v204, 0, v204, s20
	v_add_nc_u32_e32 v203, v203, v204
	;; [unrolled: 3-line block ×3, first 2 shown]
	ds_write_b32 v72, v203 offset:512
.LBB1533_1093:                          ;   in Loop: Header=BB1533_1032 Depth=2
	s_or_b32 exec_lo, exec_lo, s22
	v_mov_b32_e32 v203, 0
	s_waitcnt lgkmcnt(0)
	s_barrier
	buffer_gl0_inv
	s_and_saveexec_b32 s22, s10
; %bb.1094:                             ;   in Loop: Header=BB1533_1032 Depth=2
	ds_read_b32 v203, v64 offset:508
; %bb.1095:                             ;   in Loop: Header=BB1533_1032 Depth=2
	s_or_b32 exec_lo, exec_lo, s22
	s_waitcnt lgkmcnt(0)
	v_add_nc_u32_e32 v202, v203, v202
	ds_bpermute_b32 v202, v95, v202
	s_waitcnt lgkmcnt(0)
	v_cndmask_b32_e64 v202, v202, v203, s18
	v_cndmask_b32_e64 v202, v202, 0, s12
	v_add_nc_u32_e32 v6, v202, v6
	v_add_nc_u32_e32 v7, v6, v7
	;; [unrolled: 1-line block ×4, first 2 shown]
	ds_write2_b32 v71, v202, v6 offset0:136 offset1:137
	ds_write2_b32 v71, v7, v4 offset0:138 offset1:139
	ds_write_b32 v71, v5 offset:560
	s_waitcnt lgkmcnt(0)
	s_barrier
	buffer_gl0_inv
	ds_read_b32 v4, v140 offset:544
	ds_read_b32 v5, v143 offset:544
	;; [unrolled: 1-line block ×17, first 2 shown]
	s_and_saveexec_b32 s22, s7
	s_cbranch_execz .LBB1533_1099
; %bb.1096:                             ;   in Loop: Header=BB1533_1032 Depth=2
	v_add_nc_u32_e32 v135, v72, v74
	v_mov_b32_e32 v136, 0x1100
	ds_read_b32 v135, v135 offset:544
	s_and_saveexec_b32 s23, s13
; %bb.1097:                             ;   in Loop: Header=BB1533_1032 Depth=2
	ds_read_b32 v136, v73 offset:544
; %bb.1098:                             ;   in Loop: Header=BB1533_1032 Depth=2
	s_or_b32 exec_lo, exec_lo, s23
	s_waitcnt lgkmcnt(0)
	v_sub_nc_u32_e32 v136, v136, v135
.LBB1533_1099:                          ;   in Loop: Header=BB1533_1032 Depth=2
	s_or_b32 exec_lo, exec_lo, s22
	s_waitcnt lgkmcnt(0)
	s_barrier
	buffer_gl0_inv
	s_and_saveexec_b32 s22, s7
	s_cbranch_execz .LBB1533_1101
; %bb.1100:                             ;   in Loop: Header=BB1533_1032 Depth=2
	ds_read_b32 v146, v45
	s_waitcnt lgkmcnt(0)
	v_sub_nc_u32_e32 v146, v146, v135
	ds_write_b32 v45, v146
.LBB1533_1101:                          ;   in Loop: Header=BB1533_1032 Depth=2
	s_or_b32 exec_lo, exec_lo, s22
	v_add_nc_u32_e32 v152, v4, v137
	v_add3_u32 v151, v139, v138, v5
	v_add3_u32 v149, v142, v141, v6
	;; [unrolled: 1-line block ×16, first 2 shown]
	v_cmp_lt_u32_e64 s38, v0, v43
	ds_write_b8 v152, v44 offset:512
	ds_write_b8 v151, v150 offset:512
	;; [unrolled: 1-line block ×17, first 2 shown]
	s_waitcnt lgkmcnt(0)
	s_barrier
	buffer_gl0_inv
	s_and_saveexec_b32 s22, s38
	s_cbranch_execnz .LBB1533_1174
; %bb.1102:                             ;   in Loop: Header=BB1533_1032 Depth=2
	s_or_b32 exec_lo, exec_lo, s22
	v_cmp_lt_u32_e64 s39, v46, v43
	s_and_saveexec_b32 s22, s39
	s_cbranch_execnz .LBB1533_1175
.LBB1533_1103:                          ;   in Loop: Header=BB1533_1032 Depth=2
	s_or_b32 exec_lo, exec_lo, s22
	v_cmp_lt_u32_e64 s37, v49, v43
	s_and_saveexec_b32 s22, s37
	s_cbranch_execnz .LBB1533_1176
.LBB1533_1104:                          ;   in Loop: Header=BB1533_1032 Depth=2
	s_or_b32 exec_lo, exec_lo, s22
	v_cmp_lt_u32_e64 s36, v50, v43
	s_and_saveexec_b32 s22, s36
	s_cbranch_execnz .LBB1533_1177
.LBB1533_1105:                          ;   in Loop: Header=BB1533_1032 Depth=2
	s_or_b32 exec_lo, exec_lo, s22
	v_cmp_lt_u32_e64 s35, v51, v43
	s_and_saveexec_b32 s22, s35
	s_cbranch_execnz .LBB1533_1178
.LBB1533_1106:                          ;   in Loop: Header=BB1533_1032 Depth=2
	s_or_b32 exec_lo, exec_lo, s22
	v_cmp_lt_u32_e64 s34, v52, v43
	s_and_saveexec_b32 s22, s34
	s_cbranch_execnz .LBB1533_1179
.LBB1533_1107:                          ;   in Loop: Header=BB1533_1032 Depth=2
	s_or_b32 exec_lo, exec_lo, s22
	v_cmp_lt_u32_e64 s33, v53, v43
	s_and_saveexec_b32 s22, s33
	s_cbranch_execnz .LBB1533_1180
.LBB1533_1108:                          ;   in Loop: Header=BB1533_1032 Depth=2
	s_or_b32 exec_lo, exec_lo, s22
	v_cmp_lt_u32_e64 s31, v54, v43
	s_and_saveexec_b32 s22, s31
	s_cbranch_execnz .LBB1533_1181
.LBB1533_1109:                          ;   in Loop: Header=BB1533_1032 Depth=2
	s_or_b32 exec_lo, exec_lo, s22
	v_cmp_lt_u32_e64 s30, v55, v43
	s_and_saveexec_b32 s22, s30
	s_cbranch_execnz .LBB1533_1182
.LBB1533_1110:                          ;   in Loop: Header=BB1533_1032 Depth=2
	s_or_b32 exec_lo, exec_lo, s22
	v_cmp_lt_u32_e64 s29, v56, v43
	s_and_saveexec_b32 s22, s29
	s_cbranch_execnz .LBB1533_1183
.LBB1533_1111:                          ;   in Loop: Header=BB1533_1032 Depth=2
	s_or_b32 exec_lo, exec_lo, s22
	v_cmp_lt_u32_e64 s27, v57, v43
	s_and_saveexec_b32 s22, s27
	s_cbranch_execnz .LBB1533_1184
.LBB1533_1112:                          ;   in Loop: Header=BB1533_1032 Depth=2
	s_or_b32 exec_lo, exec_lo, s22
	v_cmp_lt_u32_e64 s26, v58, v43
	s_and_saveexec_b32 s22, s26
	s_cbranch_execnz .LBB1533_1185
.LBB1533_1113:                          ;   in Loop: Header=BB1533_1032 Depth=2
	s_or_b32 exec_lo, exec_lo, s22
	v_cmp_lt_u32_e64 s25, v59, v43
	s_and_saveexec_b32 s22, s25
	s_cbranch_execnz .LBB1533_1186
.LBB1533_1114:                          ;   in Loop: Header=BB1533_1032 Depth=2
	s_or_b32 exec_lo, exec_lo, s22
	v_cmp_lt_u32_e64 s24, v60, v43
	s_and_saveexec_b32 s22, s24
	s_cbranch_execnz .LBB1533_1187
.LBB1533_1115:                          ;   in Loop: Header=BB1533_1032 Depth=2
	s_or_b32 exec_lo, exec_lo, s22
	v_cmp_lt_u32_e64 s23, v61, v43
	s_and_saveexec_b32 s22, s23
	s_cbranch_execnz .LBB1533_1188
.LBB1533_1116:                          ;   in Loop: Header=BB1533_1032 Depth=2
	s_or_b32 exec_lo, exec_lo, s22
	v_cmp_lt_u32_e64 s22, v62, v43
	s_and_saveexec_b32 s40, s22
	s_cbranch_execnz .LBB1533_1189
.LBB1533_1117:                          ;   in Loop: Header=BB1533_1032 Depth=2
	s_or_b32 exec_lo, exec_lo, s40
	v_cmp_lt_u32_e32 vcc_lo, v63, v43
	s_and_saveexec_b32 s40, vcc_lo
	s_cbranch_execz .LBB1533_1119
.LBB1533_1118:                          ;   in Loop: Header=BB1533_1032 Depth=2
	ds_read_u8 v4, v0 offset:4608
	s_waitcnt lgkmcnt(0)
	v_and_b32_e32 v5, 1, v4
	v_xor_b32_e32 v4, 1, v4
	v_lshrrev_b32_e32 v5, s41, v5
	v_and_b32_e32 v5, s62, v5
	v_lshlrev_b32_e32 v5, 2, v5
	ds_read_b32 v5, v5
	s_waitcnt lgkmcnt(0)
	v_add_nc_u32_e32 v5, v5, v63
	global_store_byte v5, v4, s[48:49]
.LBB1533_1119:                          ;   in Loop: Header=BB1533_1032 Depth=2
	s_or_b32 exec_lo, exec_lo, s40
	s_lshl_b64 s[66:67], s[50:51], 3
	v_add_co_u32 v4, s40, v99, s66
	v_add_co_ci_u32_e64 v5, null, s67, v100, s40
	v_cmp_lt_u32_e64 s40, v96, v43
	s_and_saveexec_b32 s50, s40
	s_xor_b32 s40, exec_lo, s50
	s_cbranch_execnz .LBB1533_1190
; %bb.1120:                             ;   in Loop: Header=BB1533_1032 Depth=2
	s_or_b32 exec_lo, exec_lo, s40
	s_mov_b32 s50, exec_lo
	v_cmpx_lt_u32_e64 v101, v43
	s_cbranch_execnz .LBB1533_1191
.LBB1533_1121:                          ;   in Loop: Header=BB1533_1032 Depth=2
	s_or_b32 exec_lo, exec_lo, s50
	s_mov_b32 s50, exec_lo
	v_cmpx_lt_u32_e64 v102, v43
	s_cbranch_execnz .LBB1533_1192
.LBB1533_1122:                          ;   in Loop: Header=BB1533_1032 Depth=2
	s_or_b32 exec_lo, exec_lo, s50
	s_mov_b32 s50, exec_lo
	v_cmpx_lt_u32_e64 v103, v43
	s_cbranch_execnz .LBB1533_1193
.LBB1533_1123:                          ;   in Loop: Header=BB1533_1032 Depth=2
	s_or_b32 exec_lo, exec_lo, s50
	s_mov_b32 s50, exec_lo
	v_cmpx_lt_u32_e64 v104, v43
	s_cbranch_execnz .LBB1533_1194
.LBB1533_1124:                          ;   in Loop: Header=BB1533_1032 Depth=2
	s_or_b32 exec_lo, exec_lo, s50
	s_mov_b32 s50, exec_lo
	v_cmpx_lt_u32_e64 v105, v43
	s_cbranch_execnz .LBB1533_1195
.LBB1533_1125:                          ;   in Loop: Header=BB1533_1032 Depth=2
	s_or_b32 exec_lo, exec_lo, s50
	s_mov_b32 s50, exec_lo
	v_cmpx_lt_u32_e64 v106, v43
	s_cbranch_execnz .LBB1533_1196
.LBB1533_1126:                          ;   in Loop: Header=BB1533_1032 Depth=2
	s_or_b32 exec_lo, exec_lo, s50
	s_mov_b32 s50, exec_lo
	v_cmpx_lt_u32_e64 v107, v43
	s_cbranch_execnz .LBB1533_1197
.LBB1533_1127:                          ;   in Loop: Header=BB1533_1032 Depth=2
	s_or_b32 exec_lo, exec_lo, s50
	s_mov_b32 s50, exec_lo
	v_cmpx_lt_u32_e64 v108, v43
	s_cbranch_execnz .LBB1533_1198
.LBB1533_1128:                          ;   in Loop: Header=BB1533_1032 Depth=2
	s_or_b32 exec_lo, exec_lo, s50
	s_mov_b32 s50, exec_lo
	v_cmpx_lt_u32_e64 v109, v43
	s_cbranch_execnz .LBB1533_1199
.LBB1533_1129:                          ;   in Loop: Header=BB1533_1032 Depth=2
	s_or_b32 exec_lo, exec_lo, s50
	s_mov_b32 s50, exec_lo
	v_cmpx_lt_u32_e64 v110, v43
	s_cbranch_execnz .LBB1533_1200
.LBB1533_1130:                          ;   in Loop: Header=BB1533_1032 Depth=2
	s_or_b32 exec_lo, exec_lo, s50
	s_mov_b32 s50, exec_lo
	v_cmpx_lt_u32_e64 v111, v43
	s_cbranch_execnz .LBB1533_1201
.LBB1533_1131:                          ;   in Loop: Header=BB1533_1032 Depth=2
	s_or_b32 exec_lo, exec_lo, s50
	s_mov_b32 s50, exec_lo
	v_cmpx_lt_u32_e64 v112, v43
	s_cbranch_execnz .LBB1533_1202
.LBB1533_1132:                          ;   in Loop: Header=BB1533_1032 Depth=2
	s_or_b32 exec_lo, exec_lo, s50
	s_mov_b32 s50, exec_lo
	v_cmpx_lt_u32_e64 v113, v43
	s_cbranch_execnz .LBB1533_1203
.LBB1533_1133:                          ;   in Loop: Header=BB1533_1032 Depth=2
	s_or_b32 exec_lo, exec_lo, s50
	s_mov_b32 s50, exec_lo
	v_cmpx_lt_u32_e64 v114, v43
	s_cbranch_execnz .LBB1533_1204
.LBB1533_1134:                          ;   in Loop: Header=BB1533_1032 Depth=2
	s_or_b32 exec_lo, exec_lo, s50
	s_mov_b32 s50, exec_lo
	v_cmpx_lt_u32_e64 v115, v43
	s_cbranch_execnz .LBB1533_1205
.LBB1533_1135:                          ;   in Loop: Header=BB1533_1032 Depth=2
	s_or_b32 exec_lo, exec_lo, s50
	s_mov_b32 s50, exec_lo
	v_cmpx_lt_u32_e64 v116, v43
	s_cbranch_execnz .LBB1533_1206
.LBB1533_1136:                          ;   in Loop: Header=BB1533_1032 Depth=2
	s_or_b32 exec_lo, exec_lo, s50
	s_and_saveexec_b32 s40, s38
	s_cbranch_execnz .LBB1533_1207
.LBB1533_1137:                          ;   in Loop: Header=BB1533_1032 Depth=2
	s_or_b32 exec_lo, exec_lo, s40
	s_and_saveexec_b32 s40, s39
	s_cbranch_execnz .LBB1533_1208
.LBB1533_1138:                          ;   in Loop: Header=BB1533_1032 Depth=2
	s_or_b32 exec_lo, exec_lo, s40
	s_and_saveexec_b32 s40, s37
	s_cbranch_execnz .LBB1533_1209
.LBB1533_1139:                          ;   in Loop: Header=BB1533_1032 Depth=2
	s_or_b32 exec_lo, exec_lo, s40
	s_and_saveexec_b32 s40, s36
	s_cbranch_execnz .LBB1533_1210
.LBB1533_1140:                          ;   in Loop: Header=BB1533_1032 Depth=2
	s_or_b32 exec_lo, exec_lo, s40
	s_and_saveexec_b32 s40, s35
	s_cbranch_execnz .LBB1533_1211
.LBB1533_1141:                          ;   in Loop: Header=BB1533_1032 Depth=2
	s_or_b32 exec_lo, exec_lo, s40
	s_and_saveexec_b32 s40, s34
	s_cbranch_execnz .LBB1533_1212
.LBB1533_1142:                          ;   in Loop: Header=BB1533_1032 Depth=2
	s_or_b32 exec_lo, exec_lo, s40
	s_and_saveexec_b32 s40, s33
	s_cbranch_execnz .LBB1533_1213
.LBB1533_1143:                          ;   in Loop: Header=BB1533_1032 Depth=2
	s_or_b32 exec_lo, exec_lo, s40
	s_and_saveexec_b32 s40, s31
	s_cbranch_execnz .LBB1533_1214
.LBB1533_1144:                          ;   in Loop: Header=BB1533_1032 Depth=2
	s_or_b32 exec_lo, exec_lo, s40
	s_and_saveexec_b32 s40, s30
	s_cbranch_execnz .LBB1533_1215
.LBB1533_1145:                          ;   in Loop: Header=BB1533_1032 Depth=2
	s_or_b32 exec_lo, exec_lo, s40
	s_and_saveexec_b32 s40, s29
	s_cbranch_execnz .LBB1533_1216
.LBB1533_1146:                          ;   in Loop: Header=BB1533_1032 Depth=2
	s_or_b32 exec_lo, exec_lo, s40
	s_and_saveexec_b32 s40, s27
	s_cbranch_execnz .LBB1533_1217
.LBB1533_1147:                          ;   in Loop: Header=BB1533_1032 Depth=2
	s_or_b32 exec_lo, exec_lo, s40
	s_and_saveexec_b32 s40, s26
	s_cbranch_execnz .LBB1533_1218
.LBB1533_1148:                          ;   in Loop: Header=BB1533_1032 Depth=2
	s_or_b32 exec_lo, exec_lo, s40
	s_and_saveexec_b32 s40, s25
	s_cbranch_execnz .LBB1533_1219
.LBB1533_1149:                          ;   in Loop: Header=BB1533_1032 Depth=2
	s_or_b32 exec_lo, exec_lo, s40
	s_and_saveexec_b32 s40, s24
	s_cbranch_execnz .LBB1533_1220
.LBB1533_1150:                          ;   in Loop: Header=BB1533_1032 Depth=2
	s_or_b32 exec_lo, exec_lo, s40
	s_and_saveexec_b32 s40, s23
	s_cbranch_execnz .LBB1533_1221
.LBB1533_1151:                          ;   in Loop: Header=BB1533_1032 Depth=2
	s_or_b32 exec_lo, exec_lo, s40
	s_and_saveexec_b32 s40, s22
	s_cbranch_execnz .LBB1533_1222
.LBB1533_1152:                          ;   in Loop: Header=BB1533_1032 Depth=2
	s_or_b32 exec_lo, exec_lo, s40
	s_and_saveexec_b32 s40, vcc_lo
	s_cbranch_execz .LBB1533_1154
.LBB1533_1153:                          ;   in Loop: Header=BB1533_1032 Depth=2
	ds_read_u8 v4, v0 offset:4608
	s_waitcnt lgkmcnt(0)
	v_lshrrev_b32_e32 v4, s41, v4
	v_and_b32_e32 v118, s62, v4
.LBB1533_1154:                          ;   in Loop: Header=BB1533_1032 Depth=2
	s_or_b32 exec_lo, exec_lo, s40
	v_lshlrev_b32_e32 v4, 3, v152
	s_waitcnt vmcnt(0)
	s_waitcnt_vscnt null, 0x0
	v_lshlrev_b32_e32 v5, 3, v151
	s_barrier
	buffer_gl0_inv
	ds_write_b64 v4, v[41:42] offset:512
	v_lshlrev_b32_e32 v4, 3, v149
	ds_write_b64 v5, v[39:40] offset:512
	v_lshlrev_b32_e32 v5, 3, v148
	v_lshlrev_b32_e32 v43, 3, v147
	;; [unrolled: 1-line block ×3, first 2 shown]
	ds_write_b64 v4, v[37:38] offset:512
	v_lshlrev_b32_e32 v4, 3, v145
	ds_write_b64 v5, v[35:36] offset:512
	ds_write_b64 v43, v[33:34] offset:512
	;; [unrolled: 1-line block ×3, first 2 shown]
	v_lshlrev_b32_e32 v5, 3, v144
	v_lshlrev_b32_e32 v43, 3, v142
	v_lshlrev_b32_e32 v44, 3, v141
	ds_write_b64 v4, v[25:26] offset:512
	v_lshlrev_b32_e32 v4, 3, v143
	ds_write_b64 v5, v[21:22] offset:512
	v_lshlrev_b32_e32 v5, 3, v140
	ds_write_b64 v4, v[31:32] offset:512
	ds_write_b64 v43, v[27:28] offset:512
	;; [unrolled: 1-line block ×3, first 2 shown]
	v_lshlrev_b32_e32 v4, 3, v139
	ds_write_b64 v5, v[19:20] offset:512
	v_lshlrev_b32_e32 v5, 3, v138
	v_lshlrev_b32_e32 v6, 3, v6
	;; [unrolled: 1-line block ×3, first 2 shown]
	ds_write_b64 v4, v[17:18] offset:512
	v_add_nc_u32_e32 v4, v0, v77
	v_lshlrev_b32_e32 v7, 3, v7
	ds_write_b64 v5, v[15:16] offset:512
	ds_write_b64 v43, v[13:14] offset:512
	;; [unrolled: 1-line block ×4, first 2 shown]
	s_waitcnt lgkmcnt(0)
	s_barrier
	buffer_gl0_inv
	s_and_saveexec_b32 s40, s38
	s_cbranch_execnz .LBB1533_1223
; %bb.1155:                             ;   in Loop: Header=BB1533_1032 Depth=2
	s_or_b32 exec_lo, exec_lo, s40
	s_and_saveexec_b32 s40, s39
	s_cbranch_execnz .LBB1533_1224
.LBB1533_1156:                          ;   in Loop: Header=BB1533_1032 Depth=2
	s_or_b32 exec_lo, exec_lo, s40
	s_and_saveexec_b32 s38, s37
	s_cbranch_execnz .LBB1533_1225
.LBB1533_1157:                          ;   in Loop: Header=BB1533_1032 Depth=2
	s_or_b32 exec_lo, exec_lo, s38
	s_and_saveexec_b32 s37, s36
	s_cbranch_execnz .LBB1533_1226
.LBB1533_1158:                          ;   in Loop: Header=BB1533_1032 Depth=2
	s_or_b32 exec_lo, exec_lo, s37
	s_and_saveexec_b32 s36, s35
	s_cbranch_execnz .LBB1533_1227
.LBB1533_1159:                          ;   in Loop: Header=BB1533_1032 Depth=2
	s_or_b32 exec_lo, exec_lo, s36
	s_and_saveexec_b32 s35, s34
	s_cbranch_execnz .LBB1533_1228
.LBB1533_1160:                          ;   in Loop: Header=BB1533_1032 Depth=2
	s_or_b32 exec_lo, exec_lo, s35
	s_and_saveexec_b32 s34, s33
	s_cbranch_execnz .LBB1533_1229
.LBB1533_1161:                          ;   in Loop: Header=BB1533_1032 Depth=2
	s_or_b32 exec_lo, exec_lo, s34
	s_and_saveexec_b32 s33, s31
	s_cbranch_execnz .LBB1533_1230
.LBB1533_1162:                          ;   in Loop: Header=BB1533_1032 Depth=2
	s_or_b32 exec_lo, exec_lo, s33
	s_and_saveexec_b32 s31, s30
	s_cbranch_execnz .LBB1533_1231
.LBB1533_1163:                          ;   in Loop: Header=BB1533_1032 Depth=2
	s_or_b32 exec_lo, exec_lo, s31
	s_and_saveexec_b32 s30, s29
	s_cbranch_execnz .LBB1533_1232
.LBB1533_1164:                          ;   in Loop: Header=BB1533_1032 Depth=2
	s_or_b32 exec_lo, exec_lo, s30
	s_and_saveexec_b32 s29, s27
	s_cbranch_execnz .LBB1533_1233
.LBB1533_1165:                          ;   in Loop: Header=BB1533_1032 Depth=2
	s_or_b32 exec_lo, exec_lo, s29
	s_and_saveexec_b32 s27, s26
	s_cbranch_execnz .LBB1533_1234
.LBB1533_1166:                          ;   in Loop: Header=BB1533_1032 Depth=2
	s_or_b32 exec_lo, exec_lo, s27
	s_and_saveexec_b32 s26, s25
	s_cbranch_execnz .LBB1533_1235
.LBB1533_1167:                          ;   in Loop: Header=BB1533_1032 Depth=2
	s_or_b32 exec_lo, exec_lo, s26
	s_and_saveexec_b32 s25, s24
	s_cbranch_execnz .LBB1533_1236
.LBB1533_1168:                          ;   in Loop: Header=BB1533_1032 Depth=2
	s_or_b32 exec_lo, exec_lo, s25
	s_and_saveexec_b32 s24, s23
	s_cbranch_execnz .LBB1533_1237
.LBB1533_1169:                          ;   in Loop: Header=BB1533_1032 Depth=2
	s_or_b32 exec_lo, exec_lo, s24
	s_and_saveexec_b32 s23, s22
	s_cbranch_execnz .LBB1533_1238
.LBB1533_1170:                          ;   in Loop: Header=BB1533_1032 Depth=2
	s_or_b32 exec_lo, exec_lo, s23
	s_and_saveexec_b32 s22, vcc_lo
	s_cbranch_execz .LBB1533_1172
.LBB1533_1171:                          ;   in Loop: Header=BB1533_1032 Depth=2
	v_lshlrev_b32_e32 v5, 2, v118
	v_mov_b32_e32 v7, v3
	ds_read_b32 v6, v5
	ds_read_b64 v[4:5], v4 offset:33280
	s_waitcnt lgkmcnt(1)
	v_add_nc_u32_e32 v6, v6, v63
	v_lshlrev_b64 v[6:7], 3, v[6:7]
	v_add_co_u32 v6, vcc_lo, s54, v6
	v_add_co_ci_u32_e64 v7, null, s55, v7, vcc_lo
	s_waitcnt lgkmcnt(0)
	global_store_dwordx2 v[6:7], v[4:5], off
.LBB1533_1172:                          ;   in Loop: Header=BB1533_1032 Depth=2
	s_or_b32 exec_lo, exec_lo, s22
	s_waitcnt_vscnt null, 0x0
	s_barrier
	buffer_gl0_inv
	s_and_saveexec_b32 s22, s7
	s_cbranch_execz .LBB1533_1031
; %bb.1173:                             ;   in Loop: Header=BB1533_1032 Depth=2
	ds_read_b32 v4, v45
	s_waitcnt lgkmcnt(0)
	v_add3_u32 v4, v135, v136, v4
	ds_write_b32 v45, v4
	s_branch .LBB1533_1031
.LBB1533_1174:                          ;   in Loop: Header=BB1533_1032 Depth=2
	ds_read_u8 v4, v0 offset:512
	s_waitcnt lgkmcnt(0)
	v_and_b32_e32 v5, 1, v4
	v_xor_b32_e32 v4, 1, v4
	v_lshrrev_b32_e32 v5, s41, v5
	v_and_b32_e32 v5, s62, v5
	v_lshlrev_b32_e32 v5, 2, v5
	ds_read_b32 v5, v5
	s_waitcnt lgkmcnt(0)
	v_add_nc_u32_e32 v5, v5, v0
	global_store_byte v5, v4, s[48:49]
	s_or_b32 exec_lo, exec_lo, s22
	v_cmp_lt_u32_e64 s39, v46, v43
	s_and_saveexec_b32 s22, s39
	s_cbranch_execz .LBB1533_1103
.LBB1533_1175:                          ;   in Loop: Header=BB1533_1032 Depth=2
	ds_read_u8 v4, v0 offset:768
	s_waitcnt lgkmcnt(0)
	v_and_b32_e32 v5, 1, v4
	v_xor_b32_e32 v4, 1, v4
	v_lshrrev_b32_e32 v5, s41, v5
	v_and_b32_e32 v5, s62, v5
	v_lshlrev_b32_e32 v5, 2, v5
	ds_read_b32 v5, v5
	s_waitcnt lgkmcnt(0)
	v_add_nc_u32_e32 v5, v5, v46
	global_store_byte v5, v4, s[48:49]
	s_or_b32 exec_lo, exec_lo, s22
	v_cmp_lt_u32_e64 s37, v49, v43
	s_and_saveexec_b32 s22, s37
	s_cbranch_execz .LBB1533_1104
.LBB1533_1176:                          ;   in Loop: Header=BB1533_1032 Depth=2
	ds_read_u8 v4, v0 offset:1024
	s_waitcnt lgkmcnt(0)
	v_and_b32_e32 v5, 1, v4
	v_xor_b32_e32 v4, 1, v4
	v_lshrrev_b32_e32 v5, s41, v5
	v_and_b32_e32 v5, s62, v5
	v_lshlrev_b32_e32 v5, 2, v5
	ds_read_b32 v5, v5
	s_waitcnt lgkmcnt(0)
	v_add_nc_u32_e32 v5, v5, v49
	global_store_byte v5, v4, s[48:49]
	s_or_b32 exec_lo, exec_lo, s22
	v_cmp_lt_u32_e64 s36, v50, v43
	s_and_saveexec_b32 s22, s36
	s_cbranch_execz .LBB1533_1105
.LBB1533_1177:                          ;   in Loop: Header=BB1533_1032 Depth=2
	ds_read_u8 v4, v0 offset:1280
	s_waitcnt lgkmcnt(0)
	v_and_b32_e32 v5, 1, v4
	v_xor_b32_e32 v4, 1, v4
	v_lshrrev_b32_e32 v5, s41, v5
	v_and_b32_e32 v5, s62, v5
	v_lshlrev_b32_e32 v5, 2, v5
	ds_read_b32 v5, v5
	s_waitcnt lgkmcnt(0)
	v_add_nc_u32_e32 v5, v5, v50
	global_store_byte v5, v4, s[48:49]
	s_or_b32 exec_lo, exec_lo, s22
	v_cmp_lt_u32_e64 s35, v51, v43
	s_and_saveexec_b32 s22, s35
	s_cbranch_execz .LBB1533_1106
.LBB1533_1178:                          ;   in Loop: Header=BB1533_1032 Depth=2
	ds_read_u8 v4, v0 offset:1536
	s_waitcnt lgkmcnt(0)
	v_and_b32_e32 v5, 1, v4
	v_xor_b32_e32 v4, 1, v4
	v_lshrrev_b32_e32 v5, s41, v5
	v_and_b32_e32 v5, s62, v5
	v_lshlrev_b32_e32 v5, 2, v5
	ds_read_b32 v5, v5
	s_waitcnt lgkmcnt(0)
	v_add_nc_u32_e32 v5, v5, v51
	global_store_byte v5, v4, s[48:49]
	s_or_b32 exec_lo, exec_lo, s22
	v_cmp_lt_u32_e64 s34, v52, v43
	s_and_saveexec_b32 s22, s34
	s_cbranch_execz .LBB1533_1107
.LBB1533_1179:                          ;   in Loop: Header=BB1533_1032 Depth=2
	ds_read_u8 v4, v0 offset:1792
	s_waitcnt lgkmcnt(0)
	v_and_b32_e32 v5, 1, v4
	v_xor_b32_e32 v4, 1, v4
	v_lshrrev_b32_e32 v5, s41, v5
	v_and_b32_e32 v5, s62, v5
	v_lshlrev_b32_e32 v5, 2, v5
	ds_read_b32 v5, v5
	s_waitcnt lgkmcnt(0)
	v_add_nc_u32_e32 v5, v5, v52
	global_store_byte v5, v4, s[48:49]
	s_or_b32 exec_lo, exec_lo, s22
	v_cmp_lt_u32_e64 s33, v53, v43
	s_and_saveexec_b32 s22, s33
	s_cbranch_execz .LBB1533_1108
.LBB1533_1180:                          ;   in Loop: Header=BB1533_1032 Depth=2
	ds_read_u8 v4, v0 offset:2048
	s_waitcnt lgkmcnt(0)
	v_and_b32_e32 v5, 1, v4
	v_xor_b32_e32 v4, 1, v4
	v_lshrrev_b32_e32 v5, s41, v5
	v_and_b32_e32 v5, s62, v5
	v_lshlrev_b32_e32 v5, 2, v5
	ds_read_b32 v5, v5
	s_waitcnt lgkmcnt(0)
	v_add_nc_u32_e32 v5, v5, v53
	global_store_byte v5, v4, s[48:49]
	s_or_b32 exec_lo, exec_lo, s22
	v_cmp_lt_u32_e64 s31, v54, v43
	s_and_saveexec_b32 s22, s31
	s_cbranch_execz .LBB1533_1109
.LBB1533_1181:                          ;   in Loop: Header=BB1533_1032 Depth=2
	ds_read_u8 v4, v0 offset:2304
	s_waitcnt lgkmcnt(0)
	v_and_b32_e32 v5, 1, v4
	v_xor_b32_e32 v4, 1, v4
	v_lshrrev_b32_e32 v5, s41, v5
	v_and_b32_e32 v5, s62, v5
	v_lshlrev_b32_e32 v5, 2, v5
	ds_read_b32 v5, v5
	s_waitcnt lgkmcnt(0)
	v_add_nc_u32_e32 v5, v5, v54
	global_store_byte v5, v4, s[48:49]
	s_or_b32 exec_lo, exec_lo, s22
	v_cmp_lt_u32_e64 s30, v55, v43
	s_and_saveexec_b32 s22, s30
	s_cbranch_execz .LBB1533_1110
.LBB1533_1182:                          ;   in Loop: Header=BB1533_1032 Depth=2
	ds_read_u8 v4, v0 offset:2560
	s_waitcnt lgkmcnt(0)
	v_and_b32_e32 v5, 1, v4
	v_xor_b32_e32 v4, 1, v4
	v_lshrrev_b32_e32 v5, s41, v5
	v_and_b32_e32 v5, s62, v5
	v_lshlrev_b32_e32 v5, 2, v5
	ds_read_b32 v5, v5
	s_waitcnt lgkmcnt(0)
	v_add_nc_u32_e32 v5, v5, v55
	global_store_byte v5, v4, s[48:49]
	s_or_b32 exec_lo, exec_lo, s22
	v_cmp_lt_u32_e64 s29, v56, v43
	s_and_saveexec_b32 s22, s29
	s_cbranch_execz .LBB1533_1111
.LBB1533_1183:                          ;   in Loop: Header=BB1533_1032 Depth=2
	ds_read_u8 v4, v0 offset:2816
	s_waitcnt lgkmcnt(0)
	v_and_b32_e32 v5, 1, v4
	v_xor_b32_e32 v4, 1, v4
	v_lshrrev_b32_e32 v5, s41, v5
	v_and_b32_e32 v5, s62, v5
	v_lshlrev_b32_e32 v5, 2, v5
	ds_read_b32 v5, v5
	s_waitcnt lgkmcnt(0)
	v_add_nc_u32_e32 v5, v5, v56
	global_store_byte v5, v4, s[48:49]
	s_or_b32 exec_lo, exec_lo, s22
	v_cmp_lt_u32_e64 s27, v57, v43
	s_and_saveexec_b32 s22, s27
	s_cbranch_execz .LBB1533_1112
.LBB1533_1184:                          ;   in Loop: Header=BB1533_1032 Depth=2
	ds_read_u8 v4, v0 offset:3072
	s_waitcnt lgkmcnt(0)
	v_and_b32_e32 v5, 1, v4
	v_xor_b32_e32 v4, 1, v4
	v_lshrrev_b32_e32 v5, s41, v5
	v_and_b32_e32 v5, s62, v5
	v_lshlrev_b32_e32 v5, 2, v5
	ds_read_b32 v5, v5
	s_waitcnt lgkmcnt(0)
	v_add_nc_u32_e32 v5, v5, v57
	global_store_byte v5, v4, s[48:49]
	s_or_b32 exec_lo, exec_lo, s22
	v_cmp_lt_u32_e64 s26, v58, v43
	s_and_saveexec_b32 s22, s26
	s_cbranch_execz .LBB1533_1113
.LBB1533_1185:                          ;   in Loop: Header=BB1533_1032 Depth=2
	ds_read_u8 v4, v0 offset:3328
	s_waitcnt lgkmcnt(0)
	v_and_b32_e32 v5, 1, v4
	v_xor_b32_e32 v4, 1, v4
	v_lshrrev_b32_e32 v5, s41, v5
	v_and_b32_e32 v5, s62, v5
	v_lshlrev_b32_e32 v5, 2, v5
	ds_read_b32 v5, v5
	s_waitcnt lgkmcnt(0)
	v_add_nc_u32_e32 v5, v5, v58
	global_store_byte v5, v4, s[48:49]
	s_or_b32 exec_lo, exec_lo, s22
	v_cmp_lt_u32_e64 s25, v59, v43
	s_and_saveexec_b32 s22, s25
	s_cbranch_execz .LBB1533_1114
.LBB1533_1186:                          ;   in Loop: Header=BB1533_1032 Depth=2
	ds_read_u8 v4, v0 offset:3584
	s_waitcnt lgkmcnt(0)
	v_and_b32_e32 v5, 1, v4
	v_xor_b32_e32 v4, 1, v4
	v_lshrrev_b32_e32 v5, s41, v5
	v_and_b32_e32 v5, s62, v5
	v_lshlrev_b32_e32 v5, 2, v5
	ds_read_b32 v5, v5
	s_waitcnt lgkmcnt(0)
	v_add_nc_u32_e32 v5, v5, v59
	global_store_byte v5, v4, s[48:49]
	s_or_b32 exec_lo, exec_lo, s22
	v_cmp_lt_u32_e64 s24, v60, v43
	s_and_saveexec_b32 s22, s24
	s_cbranch_execz .LBB1533_1115
.LBB1533_1187:                          ;   in Loop: Header=BB1533_1032 Depth=2
	ds_read_u8 v4, v0 offset:3840
	s_waitcnt lgkmcnt(0)
	v_and_b32_e32 v5, 1, v4
	v_xor_b32_e32 v4, 1, v4
	v_lshrrev_b32_e32 v5, s41, v5
	v_and_b32_e32 v5, s62, v5
	v_lshlrev_b32_e32 v5, 2, v5
	ds_read_b32 v5, v5
	s_waitcnt lgkmcnt(0)
	v_add_nc_u32_e32 v5, v5, v60
	global_store_byte v5, v4, s[48:49]
	s_or_b32 exec_lo, exec_lo, s22
	v_cmp_lt_u32_e64 s23, v61, v43
	s_and_saveexec_b32 s22, s23
	s_cbranch_execz .LBB1533_1116
.LBB1533_1188:                          ;   in Loop: Header=BB1533_1032 Depth=2
	ds_read_u8 v4, v0 offset:4096
	s_waitcnt lgkmcnt(0)
	v_and_b32_e32 v5, 1, v4
	v_xor_b32_e32 v4, 1, v4
	v_lshrrev_b32_e32 v5, s41, v5
	v_and_b32_e32 v5, s62, v5
	v_lshlrev_b32_e32 v5, 2, v5
	ds_read_b32 v5, v5
	s_waitcnt lgkmcnt(0)
	v_add_nc_u32_e32 v5, v5, v61
	global_store_byte v5, v4, s[48:49]
	s_or_b32 exec_lo, exec_lo, s22
	v_cmp_lt_u32_e64 s22, v62, v43
	s_and_saveexec_b32 s40, s22
	s_cbranch_execz .LBB1533_1117
.LBB1533_1189:                          ;   in Loop: Header=BB1533_1032 Depth=2
	ds_read_u8 v4, v0 offset:4352
	s_waitcnt lgkmcnt(0)
	v_and_b32_e32 v5, 1, v4
	v_xor_b32_e32 v4, 1, v4
	v_lshrrev_b32_e32 v5, s41, v5
	v_and_b32_e32 v5, s62, v5
	v_lshlrev_b32_e32 v5, 2, v5
	ds_read_b32 v5, v5
	s_waitcnt lgkmcnt(0)
	v_add_nc_u32_e32 v5, v5, v62
	global_store_byte v5, v4, s[48:49]
	s_or_b32 exec_lo, exec_lo, s40
	v_cmp_lt_u32_e32 vcc_lo, v63, v43
	s_and_saveexec_b32 s40, vcc_lo
	s_cbranch_execnz .LBB1533_1118
	s_branch .LBB1533_1119
.LBB1533_1190:                          ;   in Loop: Header=BB1533_1032 Depth=2
	global_load_dwordx2 v[41:42], v[4:5], off
	s_or_b32 exec_lo, exec_lo, s40
	s_mov_b32 s50, exec_lo
	v_cmpx_lt_u32_e64 v101, v43
	s_cbranch_execz .LBB1533_1121
.LBB1533_1191:                          ;   in Loop: Header=BB1533_1032 Depth=2
	global_load_dwordx2 v[39:40], v[4:5], off offset:256
	s_or_b32 exec_lo, exec_lo, s50
	s_mov_b32 s50, exec_lo
	v_cmpx_lt_u32_e64 v102, v43
	s_cbranch_execz .LBB1533_1122
.LBB1533_1192:                          ;   in Loop: Header=BB1533_1032 Depth=2
	global_load_dwordx2 v[37:38], v[4:5], off offset:512
	s_or_b32 exec_lo, exec_lo, s50
	s_mov_b32 s50, exec_lo
	v_cmpx_lt_u32_e64 v103, v43
	s_cbranch_execz .LBB1533_1123
.LBB1533_1193:                          ;   in Loop: Header=BB1533_1032 Depth=2
	global_load_dwordx2 v[35:36], v[4:5], off offset:768
	s_or_b32 exec_lo, exec_lo, s50
	s_mov_b32 s50, exec_lo
	v_cmpx_lt_u32_e64 v104, v43
	s_cbranch_execz .LBB1533_1124
.LBB1533_1194:                          ;   in Loop: Header=BB1533_1032 Depth=2
	global_load_dwordx2 v[33:34], v[4:5], off offset:1024
	s_or_b32 exec_lo, exec_lo, s50
	s_mov_b32 s50, exec_lo
	v_cmpx_lt_u32_e64 v105, v43
	s_cbranch_execz .LBB1533_1125
.LBB1533_1195:                          ;   in Loop: Header=BB1533_1032 Depth=2
	global_load_dwordx2 v[29:30], v[4:5], off offset:1280
	s_or_b32 exec_lo, exec_lo, s50
	s_mov_b32 s50, exec_lo
	v_cmpx_lt_u32_e64 v106, v43
	s_cbranch_execz .LBB1533_1126
.LBB1533_1196:                          ;   in Loop: Header=BB1533_1032 Depth=2
	global_load_dwordx2 v[25:26], v[4:5], off offset:1536
	s_or_b32 exec_lo, exec_lo, s50
	s_mov_b32 s50, exec_lo
	v_cmpx_lt_u32_e64 v107, v43
	s_cbranch_execz .LBB1533_1127
.LBB1533_1197:                          ;   in Loop: Header=BB1533_1032 Depth=2
	global_load_dwordx2 v[21:22], v[4:5], off offset:1792
	s_or_b32 exec_lo, exec_lo, s50
	s_mov_b32 s50, exec_lo
	v_cmpx_lt_u32_e64 v108, v43
	s_cbranch_execz .LBB1533_1128
.LBB1533_1198:                          ;   in Loop: Header=BB1533_1032 Depth=2
	v_add_co_u32 v31, s40, 0x800, v4
	v_add_co_ci_u32_e64 v32, null, 0, v5, s40
	global_load_dwordx2 v[31:32], v[31:32], off
	s_or_b32 exec_lo, exec_lo, s50
	s_mov_b32 s50, exec_lo
	v_cmpx_lt_u32_e64 v109, v43
	s_cbranch_execz .LBB1533_1129
.LBB1533_1199:                          ;   in Loop: Header=BB1533_1032 Depth=2
	v_add_co_u32 v27, s40, 0x800, v4
	v_add_co_ci_u32_e64 v28, null, 0, v5, s40
	global_load_dwordx2 v[27:28], v[27:28], off offset:256
	s_or_b32 exec_lo, exec_lo, s50
	s_mov_b32 s50, exec_lo
	v_cmpx_lt_u32_e64 v110, v43
	s_cbranch_execz .LBB1533_1130
.LBB1533_1200:                          ;   in Loop: Header=BB1533_1032 Depth=2
	v_add_co_u32 v23, s40, 0x800, v4
	v_add_co_ci_u32_e64 v24, null, 0, v5, s40
	global_load_dwordx2 v[23:24], v[23:24], off offset:512
	s_or_b32 exec_lo, exec_lo, s50
	s_mov_b32 s50, exec_lo
	v_cmpx_lt_u32_e64 v111, v43
	s_cbranch_execz .LBB1533_1131
.LBB1533_1201:                          ;   in Loop: Header=BB1533_1032 Depth=2
	v_add_co_u32 v19, s40, 0x800, v4
	v_add_co_ci_u32_e64 v20, null, 0, v5, s40
	global_load_dwordx2 v[19:20], v[19:20], off offset:768
	s_or_b32 exec_lo, exec_lo, s50
	s_mov_b32 s50, exec_lo
	v_cmpx_lt_u32_e64 v112, v43
	s_cbranch_execz .LBB1533_1132
.LBB1533_1202:                          ;   in Loop: Header=BB1533_1032 Depth=2
	v_add_co_u32 v17, s40, 0x800, v4
	v_add_co_ci_u32_e64 v18, null, 0, v5, s40
	global_load_dwordx2 v[17:18], v[17:18], off offset:1024
	s_or_b32 exec_lo, exec_lo, s50
	s_mov_b32 s50, exec_lo
	v_cmpx_lt_u32_e64 v113, v43
	s_cbranch_execz .LBB1533_1133
.LBB1533_1203:                          ;   in Loop: Header=BB1533_1032 Depth=2
	v_add_co_u32 v15, s40, 0x800, v4
	v_add_co_ci_u32_e64 v16, null, 0, v5, s40
	global_load_dwordx2 v[15:16], v[15:16], off offset:1280
	s_or_b32 exec_lo, exec_lo, s50
	s_mov_b32 s50, exec_lo
	v_cmpx_lt_u32_e64 v114, v43
	s_cbranch_execz .LBB1533_1134
.LBB1533_1204:                          ;   in Loop: Header=BB1533_1032 Depth=2
	v_add_co_u32 v13, s40, 0x800, v4
	v_add_co_ci_u32_e64 v14, null, 0, v5, s40
	global_load_dwordx2 v[13:14], v[13:14], off offset:1536
	s_or_b32 exec_lo, exec_lo, s50
	s_mov_b32 s50, exec_lo
	v_cmpx_lt_u32_e64 v115, v43
	s_cbranch_execz .LBB1533_1135
.LBB1533_1205:                          ;   in Loop: Header=BB1533_1032 Depth=2
	v_add_co_u32 v11, s40, 0x800, v4
	v_add_co_ci_u32_e64 v12, null, 0, v5, s40
	global_load_dwordx2 v[11:12], v[11:12], off offset:1792
	s_or_b32 exec_lo, exec_lo, s50
	s_mov_b32 s50, exec_lo
	v_cmpx_lt_u32_e64 v116, v43
	s_cbranch_execz .LBB1533_1136
.LBB1533_1206:                          ;   in Loop: Header=BB1533_1032 Depth=2
	v_add_co_u32 v4, s40, 0x1000, v4
	v_add_co_ci_u32_e64 v5, null, 0, v5, s40
	global_load_dwordx2 v[9:10], v[4:5], off
	s_or_b32 exec_lo, exec_lo, s50
	s_and_saveexec_b32 s40, s38
	s_cbranch_execz .LBB1533_1137
.LBB1533_1207:                          ;   in Loop: Header=BB1533_1032 Depth=2
	ds_read_u8 v4, v0 offset:512
	s_waitcnt lgkmcnt(0)
	v_lshrrev_b32_e32 v4, s41, v4
	v_and_b32_e32 v134, s62, v4
	s_or_b32 exec_lo, exec_lo, s40
	s_and_saveexec_b32 s40, s39
	s_cbranch_execz .LBB1533_1138
.LBB1533_1208:                          ;   in Loop: Header=BB1533_1032 Depth=2
	ds_read_u8 v4, v0 offset:768
	s_waitcnt lgkmcnt(0)
	v_lshrrev_b32_e32 v4, s41, v4
	v_and_b32_e32 v133, s62, v4
	s_or_b32 exec_lo, exec_lo, s40
	s_and_saveexec_b32 s40, s37
	s_cbranch_execz .LBB1533_1139
.LBB1533_1209:                          ;   in Loop: Header=BB1533_1032 Depth=2
	ds_read_u8 v4, v0 offset:1024
	s_waitcnt lgkmcnt(0)
	v_lshrrev_b32_e32 v4, s41, v4
	v_and_b32_e32 v132, s62, v4
	s_or_b32 exec_lo, exec_lo, s40
	s_and_saveexec_b32 s40, s36
	s_cbranch_execz .LBB1533_1140
.LBB1533_1210:                          ;   in Loop: Header=BB1533_1032 Depth=2
	ds_read_u8 v4, v0 offset:1280
	s_waitcnt lgkmcnt(0)
	v_lshrrev_b32_e32 v4, s41, v4
	v_and_b32_e32 v131, s62, v4
	s_or_b32 exec_lo, exec_lo, s40
	s_and_saveexec_b32 s40, s35
	s_cbranch_execz .LBB1533_1141
.LBB1533_1211:                          ;   in Loop: Header=BB1533_1032 Depth=2
	ds_read_u8 v4, v0 offset:1536
	s_waitcnt lgkmcnt(0)
	v_lshrrev_b32_e32 v4, s41, v4
	v_and_b32_e32 v130, s62, v4
	s_or_b32 exec_lo, exec_lo, s40
	s_and_saveexec_b32 s40, s34
	s_cbranch_execz .LBB1533_1142
.LBB1533_1212:                          ;   in Loop: Header=BB1533_1032 Depth=2
	ds_read_u8 v4, v0 offset:1792
	s_waitcnt lgkmcnt(0)
	v_lshrrev_b32_e32 v4, s41, v4
	v_and_b32_e32 v129, s62, v4
	s_or_b32 exec_lo, exec_lo, s40
	s_and_saveexec_b32 s40, s33
	s_cbranch_execz .LBB1533_1143
.LBB1533_1213:                          ;   in Loop: Header=BB1533_1032 Depth=2
	ds_read_u8 v4, v0 offset:2048
	s_waitcnt lgkmcnt(0)
	v_lshrrev_b32_e32 v4, s41, v4
	v_and_b32_e32 v128, s62, v4
	s_or_b32 exec_lo, exec_lo, s40
	s_and_saveexec_b32 s40, s31
	s_cbranch_execz .LBB1533_1144
.LBB1533_1214:                          ;   in Loop: Header=BB1533_1032 Depth=2
	ds_read_u8 v4, v0 offset:2304
	s_waitcnt lgkmcnt(0)
	v_lshrrev_b32_e32 v4, s41, v4
	v_and_b32_e32 v127, s62, v4
	s_or_b32 exec_lo, exec_lo, s40
	s_and_saveexec_b32 s40, s30
	s_cbranch_execz .LBB1533_1145
.LBB1533_1215:                          ;   in Loop: Header=BB1533_1032 Depth=2
	ds_read_u8 v4, v0 offset:2560
	s_waitcnt lgkmcnt(0)
	v_lshrrev_b32_e32 v4, s41, v4
	v_and_b32_e32 v126, s62, v4
	s_or_b32 exec_lo, exec_lo, s40
	s_and_saveexec_b32 s40, s29
	s_cbranch_execz .LBB1533_1146
.LBB1533_1216:                          ;   in Loop: Header=BB1533_1032 Depth=2
	ds_read_u8 v4, v0 offset:2816
	s_waitcnt lgkmcnt(0)
	v_lshrrev_b32_e32 v4, s41, v4
	v_and_b32_e32 v125, s62, v4
	s_or_b32 exec_lo, exec_lo, s40
	s_and_saveexec_b32 s40, s27
	s_cbranch_execz .LBB1533_1147
.LBB1533_1217:                          ;   in Loop: Header=BB1533_1032 Depth=2
	ds_read_u8 v4, v0 offset:3072
	s_waitcnt lgkmcnt(0)
	v_lshrrev_b32_e32 v4, s41, v4
	v_and_b32_e32 v124, s62, v4
	s_or_b32 exec_lo, exec_lo, s40
	s_and_saveexec_b32 s40, s26
	s_cbranch_execz .LBB1533_1148
.LBB1533_1218:                          ;   in Loop: Header=BB1533_1032 Depth=2
	ds_read_u8 v4, v0 offset:3328
	s_waitcnt lgkmcnt(0)
	v_lshrrev_b32_e32 v4, s41, v4
	v_and_b32_e32 v123, s62, v4
	s_or_b32 exec_lo, exec_lo, s40
	s_and_saveexec_b32 s40, s25
	s_cbranch_execz .LBB1533_1149
.LBB1533_1219:                          ;   in Loop: Header=BB1533_1032 Depth=2
	ds_read_u8 v4, v0 offset:3584
	s_waitcnt lgkmcnt(0)
	v_lshrrev_b32_e32 v4, s41, v4
	v_and_b32_e32 v122, s62, v4
	s_or_b32 exec_lo, exec_lo, s40
	s_and_saveexec_b32 s40, s24
	s_cbranch_execz .LBB1533_1150
.LBB1533_1220:                          ;   in Loop: Header=BB1533_1032 Depth=2
	ds_read_u8 v4, v0 offset:3840
	s_waitcnt lgkmcnt(0)
	v_lshrrev_b32_e32 v4, s41, v4
	v_and_b32_e32 v121, s62, v4
	s_or_b32 exec_lo, exec_lo, s40
	s_and_saveexec_b32 s40, s23
	s_cbranch_execz .LBB1533_1151
.LBB1533_1221:                          ;   in Loop: Header=BB1533_1032 Depth=2
	ds_read_u8 v4, v0 offset:4096
	s_waitcnt lgkmcnt(0)
	v_lshrrev_b32_e32 v4, s41, v4
	v_and_b32_e32 v120, s62, v4
	s_or_b32 exec_lo, exec_lo, s40
	s_and_saveexec_b32 s40, s22
	s_cbranch_execz .LBB1533_1152
.LBB1533_1222:                          ;   in Loop: Header=BB1533_1032 Depth=2
	ds_read_u8 v4, v0 offset:4352
	s_waitcnt lgkmcnt(0)
	v_lshrrev_b32_e32 v4, s41, v4
	v_and_b32_e32 v119, s62, v4
	s_or_b32 exec_lo, exec_lo, s40
	s_and_saveexec_b32 s40, vcc_lo
	s_cbranch_execnz .LBB1533_1153
	s_branch .LBB1533_1154
.LBB1533_1223:                          ;   in Loop: Header=BB1533_1032 Depth=2
	v_lshlrev_b32_e32 v5, 2, v134
	v_mov_b32_e32 v44, v3
	ds_read_b32 v7, v5
	ds_read_b64 v[5:6], v4 offset:512
	s_waitcnt lgkmcnt(1)
	v_add_nc_u32_e32 v43, v7, v0
	v_lshlrev_b64 v[43:44], 3, v[43:44]
	v_add_co_u32 v43, s38, s54, v43
	v_add_co_ci_u32_e64 v44, null, s55, v44, s38
	s_waitcnt lgkmcnt(0)
	global_store_dwordx2 v[43:44], v[5:6], off
	s_or_b32 exec_lo, exec_lo, s40
	s_and_saveexec_b32 s40, s39
	s_cbranch_execz .LBB1533_1156
.LBB1533_1224:                          ;   in Loop: Header=BB1533_1032 Depth=2
	v_lshlrev_b32_e32 v5, 2, v133
	v_mov_b32_e32 v44, v3
	ds_read_b32 v7, v5
	ds_read_b64 v[5:6], v4 offset:2560
	s_waitcnt lgkmcnt(1)
	v_add_nc_u32_e32 v43, v7, v46
	v_lshlrev_b64 v[43:44], 3, v[43:44]
	v_add_co_u32 v43, s38, s54, v43
	v_add_co_ci_u32_e64 v44, null, s55, v44, s38
	s_waitcnt lgkmcnt(0)
	global_store_dwordx2 v[43:44], v[5:6], off
	s_or_b32 exec_lo, exec_lo, s40
	s_and_saveexec_b32 s38, s37
	s_cbranch_execz .LBB1533_1157
.LBB1533_1225:                          ;   in Loop: Header=BB1533_1032 Depth=2
	v_lshlrev_b32_e32 v5, 2, v132
	v_mov_b32_e32 v44, v3
	ds_read_b32 v7, v5
	ds_read_b64 v[5:6], v4 offset:4608
	s_waitcnt lgkmcnt(1)
	v_add_nc_u32_e32 v43, v7, v49
	v_lshlrev_b64 v[43:44], 3, v[43:44]
	v_add_co_u32 v43, s37, s54, v43
	v_add_co_ci_u32_e64 v44, null, s55, v44, s37
	s_waitcnt lgkmcnt(0)
	global_store_dwordx2 v[43:44], v[5:6], off
	s_or_b32 exec_lo, exec_lo, s38
	s_and_saveexec_b32 s37, s36
	s_cbranch_execz .LBB1533_1158
.LBB1533_1226:                          ;   in Loop: Header=BB1533_1032 Depth=2
	v_lshlrev_b32_e32 v5, 2, v131
	v_mov_b32_e32 v44, v3
	ds_read_b32 v7, v5
	ds_read_b64 v[5:6], v4 offset:6656
	s_waitcnt lgkmcnt(1)
	v_add_nc_u32_e32 v43, v7, v50
	v_lshlrev_b64 v[43:44], 3, v[43:44]
	v_add_co_u32 v43, s36, s54, v43
	v_add_co_ci_u32_e64 v44, null, s55, v44, s36
	s_waitcnt lgkmcnt(0)
	global_store_dwordx2 v[43:44], v[5:6], off
	s_or_b32 exec_lo, exec_lo, s37
	s_and_saveexec_b32 s36, s35
	s_cbranch_execz .LBB1533_1159
.LBB1533_1227:                          ;   in Loop: Header=BB1533_1032 Depth=2
	v_lshlrev_b32_e32 v5, 2, v130
	v_mov_b32_e32 v44, v3
	ds_read_b32 v7, v5
	ds_read_b64 v[5:6], v4 offset:8704
	s_waitcnt lgkmcnt(1)
	v_add_nc_u32_e32 v43, v7, v51
	v_lshlrev_b64 v[43:44], 3, v[43:44]
	v_add_co_u32 v43, s35, s54, v43
	v_add_co_ci_u32_e64 v44, null, s55, v44, s35
	s_waitcnt lgkmcnt(0)
	global_store_dwordx2 v[43:44], v[5:6], off
	s_or_b32 exec_lo, exec_lo, s36
	s_and_saveexec_b32 s35, s34
	s_cbranch_execz .LBB1533_1160
.LBB1533_1228:                          ;   in Loop: Header=BB1533_1032 Depth=2
	v_lshlrev_b32_e32 v5, 2, v129
	v_mov_b32_e32 v44, v3
	ds_read_b32 v7, v5
	ds_read_b64 v[5:6], v4 offset:10752
	s_waitcnt lgkmcnt(1)
	v_add_nc_u32_e32 v43, v7, v52
	v_lshlrev_b64 v[43:44], 3, v[43:44]
	v_add_co_u32 v43, s34, s54, v43
	v_add_co_ci_u32_e64 v44, null, s55, v44, s34
	s_waitcnt lgkmcnt(0)
	global_store_dwordx2 v[43:44], v[5:6], off
	s_or_b32 exec_lo, exec_lo, s35
	s_and_saveexec_b32 s34, s33
	s_cbranch_execz .LBB1533_1161
.LBB1533_1229:                          ;   in Loop: Header=BB1533_1032 Depth=2
	v_lshlrev_b32_e32 v5, 2, v128
	v_mov_b32_e32 v44, v3
	ds_read_b32 v7, v5
	ds_read_b64 v[5:6], v4 offset:12800
	s_waitcnt lgkmcnt(1)
	v_add_nc_u32_e32 v43, v7, v53
	v_lshlrev_b64 v[43:44], 3, v[43:44]
	v_add_co_u32 v43, s33, s54, v43
	v_add_co_ci_u32_e64 v44, null, s55, v44, s33
	s_waitcnt lgkmcnt(0)
	global_store_dwordx2 v[43:44], v[5:6], off
	s_or_b32 exec_lo, exec_lo, s34
	s_and_saveexec_b32 s33, s31
	s_cbranch_execz .LBB1533_1162
.LBB1533_1230:                          ;   in Loop: Header=BB1533_1032 Depth=2
	v_lshlrev_b32_e32 v5, 2, v127
	v_mov_b32_e32 v44, v3
	ds_read_b32 v7, v5
	ds_read_b64 v[5:6], v4 offset:14848
	s_waitcnt lgkmcnt(1)
	v_add_nc_u32_e32 v43, v7, v54
	v_lshlrev_b64 v[43:44], 3, v[43:44]
	v_add_co_u32 v43, s31, s54, v43
	v_add_co_ci_u32_e64 v44, null, s55, v44, s31
	s_waitcnt lgkmcnt(0)
	global_store_dwordx2 v[43:44], v[5:6], off
	s_or_b32 exec_lo, exec_lo, s33
	s_and_saveexec_b32 s31, s30
	s_cbranch_execz .LBB1533_1163
.LBB1533_1231:                          ;   in Loop: Header=BB1533_1032 Depth=2
	v_lshlrev_b32_e32 v5, 2, v126
	v_mov_b32_e32 v44, v3
	ds_read_b32 v7, v5
	ds_read_b64 v[5:6], v4 offset:16896
	s_waitcnt lgkmcnt(1)
	v_add_nc_u32_e32 v43, v7, v55
	v_lshlrev_b64 v[43:44], 3, v[43:44]
	v_add_co_u32 v43, s30, s54, v43
	v_add_co_ci_u32_e64 v44, null, s55, v44, s30
	s_waitcnt lgkmcnt(0)
	global_store_dwordx2 v[43:44], v[5:6], off
	s_or_b32 exec_lo, exec_lo, s31
	s_and_saveexec_b32 s30, s29
	s_cbranch_execz .LBB1533_1164
.LBB1533_1232:                          ;   in Loop: Header=BB1533_1032 Depth=2
	v_lshlrev_b32_e32 v5, 2, v125
	v_mov_b32_e32 v44, v3
	ds_read_b32 v7, v5
	ds_read_b64 v[5:6], v4 offset:18944
	s_waitcnt lgkmcnt(1)
	v_add_nc_u32_e32 v43, v7, v56
	v_lshlrev_b64 v[43:44], 3, v[43:44]
	v_add_co_u32 v43, s29, s54, v43
	v_add_co_ci_u32_e64 v44, null, s55, v44, s29
	s_waitcnt lgkmcnt(0)
	global_store_dwordx2 v[43:44], v[5:6], off
	s_or_b32 exec_lo, exec_lo, s30
	s_and_saveexec_b32 s29, s27
	s_cbranch_execz .LBB1533_1165
.LBB1533_1233:                          ;   in Loop: Header=BB1533_1032 Depth=2
	v_lshlrev_b32_e32 v5, 2, v124
	v_mov_b32_e32 v44, v3
	ds_read_b32 v7, v5
	ds_read_b64 v[5:6], v4 offset:20992
	s_waitcnt lgkmcnt(1)
	v_add_nc_u32_e32 v43, v7, v57
	v_lshlrev_b64 v[43:44], 3, v[43:44]
	v_add_co_u32 v43, s27, s54, v43
	v_add_co_ci_u32_e64 v44, null, s55, v44, s27
	s_waitcnt lgkmcnt(0)
	global_store_dwordx2 v[43:44], v[5:6], off
	s_or_b32 exec_lo, exec_lo, s29
	s_and_saveexec_b32 s27, s26
	s_cbranch_execz .LBB1533_1166
.LBB1533_1234:                          ;   in Loop: Header=BB1533_1032 Depth=2
	v_lshlrev_b32_e32 v5, 2, v123
	v_mov_b32_e32 v44, v3
	ds_read_b32 v7, v5
	ds_read_b64 v[5:6], v4 offset:23040
	s_waitcnt lgkmcnt(1)
	v_add_nc_u32_e32 v43, v7, v58
	v_lshlrev_b64 v[43:44], 3, v[43:44]
	v_add_co_u32 v43, s26, s54, v43
	v_add_co_ci_u32_e64 v44, null, s55, v44, s26
	s_waitcnt lgkmcnt(0)
	global_store_dwordx2 v[43:44], v[5:6], off
	s_or_b32 exec_lo, exec_lo, s27
	s_and_saveexec_b32 s26, s25
	s_cbranch_execz .LBB1533_1167
.LBB1533_1235:                          ;   in Loop: Header=BB1533_1032 Depth=2
	v_lshlrev_b32_e32 v5, 2, v122
	v_mov_b32_e32 v44, v3
	ds_read_b32 v7, v5
	ds_read_b64 v[5:6], v4 offset:25088
	s_waitcnt lgkmcnt(1)
	v_add_nc_u32_e32 v43, v7, v59
	v_lshlrev_b64 v[43:44], 3, v[43:44]
	v_add_co_u32 v43, s25, s54, v43
	v_add_co_ci_u32_e64 v44, null, s55, v44, s25
	s_waitcnt lgkmcnt(0)
	global_store_dwordx2 v[43:44], v[5:6], off
	s_or_b32 exec_lo, exec_lo, s26
	s_and_saveexec_b32 s25, s24
	s_cbranch_execz .LBB1533_1168
.LBB1533_1236:                          ;   in Loop: Header=BB1533_1032 Depth=2
	v_lshlrev_b32_e32 v5, 2, v121
	v_mov_b32_e32 v44, v3
	ds_read_b32 v7, v5
	ds_read_b64 v[5:6], v4 offset:27136
	s_waitcnt lgkmcnt(1)
	v_add_nc_u32_e32 v43, v7, v60
	v_lshlrev_b64 v[43:44], 3, v[43:44]
	v_add_co_u32 v43, s24, s54, v43
	v_add_co_ci_u32_e64 v44, null, s55, v44, s24
	s_waitcnt lgkmcnt(0)
	global_store_dwordx2 v[43:44], v[5:6], off
	s_or_b32 exec_lo, exec_lo, s25
	s_and_saveexec_b32 s24, s23
	s_cbranch_execz .LBB1533_1169
.LBB1533_1237:                          ;   in Loop: Header=BB1533_1032 Depth=2
	v_lshlrev_b32_e32 v5, 2, v120
	v_mov_b32_e32 v44, v3
	ds_read_b32 v7, v5
	ds_read_b64 v[5:6], v4 offset:29184
	s_waitcnt lgkmcnt(1)
	v_add_nc_u32_e32 v43, v7, v61
	v_lshlrev_b64 v[43:44], 3, v[43:44]
	v_add_co_u32 v43, s23, s54, v43
	v_add_co_ci_u32_e64 v44, null, s55, v44, s23
	s_waitcnt lgkmcnt(0)
	global_store_dwordx2 v[43:44], v[5:6], off
	s_or_b32 exec_lo, exec_lo, s24
	s_and_saveexec_b32 s23, s22
	s_cbranch_execz .LBB1533_1170
.LBB1533_1238:                          ;   in Loop: Header=BB1533_1032 Depth=2
	v_lshlrev_b32_e32 v5, 2, v119
	v_mov_b32_e32 v44, v3
	ds_read_b32 v7, v5
	ds_read_b64 v[5:6], v4 offset:31232
	s_waitcnt lgkmcnt(1)
	v_add_nc_u32_e32 v43, v7, v62
	v_lshlrev_b64 v[43:44], 3, v[43:44]
	v_add_co_u32 v43, s22, s54, v43
	v_add_co_ci_u32_e64 v44, null, s55, v44, s22
	s_waitcnt lgkmcnt(0)
	global_store_dwordx2 v[43:44], v[5:6], off
	s_or_b32 exec_lo, exec_lo, s23
	s_and_saveexec_b32 s22, vcc_lo
	s_cbranch_execnz .LBB1533_1171
	s_branch .LBB1533_1172
.LBB1533_1239:                          ;   in Loop: Header=BB1533_1032 Depth=2
	global_load_ubyte v4, v[43:44], off
	v_mov_b32_e32 v5, v3
	v_mov_b32_e32 v6, v3
	;; [unrolled: 1-line block ×4, first 2 shown]
	s_or_b32 exec_lo, exec_lo, s22
	s_mov_b32 s22, exec_lo
	v_cmpx_gt_u32_e64 s63, v101
	s_cbranch_execz .LBB1533_1037
.LBB1533_1240:                          ;   in Loop: Header=BB1533_1032 Depth=2
	global_load_ubyte v137, v[43:44], off offset:32
	v_and_b32_e32 v8, 0xff, v8
	s_waitcnt vmcnt(0)
	v_perm_b32 v4, v4, v137, 0x7060004
	s_or_b32 exec_lo, exec_lo, s22
	s_mov_b32 s22, exec_lo
	v_cmpx_gt_u32_e64 s63, v102
	s_cbranch_execz .LBB1533_1038
.LBB1533_1241:                          ;   in Loop: Header=BB1533_1032 Depth=2
	global_load_ubyte v137, v[43:44], off offset:64
	v_and_b32_e32 v8, 0xff, v8
	s_waitcnt vmcnt(0)
	v_perm_b32 v4, v4, v137, 0x7000504
	s_or_b32 exec_lo, exec_lo, s22
	s_mov_b32 s22, exec_lo
	v_cmpx_gt_u32_e64 s63, v103
	s_cbranch_execz .LBB1533_1039
.LBB1533_1242:                          ;   in Loop: Header=BB1533_1032 Depth=2
	global_load_ubyte v137, v[43:44], off offset:96
	v_and_b32_e32 v8, 0xff, v8
	s_waitcnt vmcnt(0)
	v_perm_b32 v4, v4, v137, 0x60504
	s_or_b32 exec_lo, exec_lo, s22
	s_mov_b32 s22, exec_lo
	v_cmpx_gt_u32_e64 s63, v104
	s_cbranch_execz .LBB1533_1040
.LBB1533_1243:                          ;   in Loop: Header=BB1533_1032 Depth=2
	global_load_ubyte v137, v[43:44], off offset:128
	v_and_b32_e32 v8, 0xff, v8
	s_waitcnt vmcnt(0)
	v_perm_b32 v5, v137, v5, 0x3020104
	s_or_b32 exec_lo, exec_lo, s22
	s_mov_b32 s22, exec_lo
	v_cmpx_gt_u32_e64 s63, v105
	s_cbranch_execz .LBB1533_1041
.LBB1533_1244:                          ;   in Loop: Header=BB1533_1032 Depth=2
	global_load_ubyte v137, v[43:44], off offset:160
	v_and_b32_e32 v8, 0xff, v8
	s_waitcnt vmcnt(0)
	v_perm_b32 v5, v5, v137, 0x7060004
	s_or_b32 exec_lo, exec_lo, s22
	s_mov_b32 s22, exec_lo
	v_cmpx_gt_u32_e64 s63, v106
	s_cbranch_execz .LBB1533_1042
.LBB1533_1245:                          ;   in Loop: Header=BB1533_1032 Depth=2
	global_load_ubyte v137, v[43:44], off offset:192
	v_and_b32_e32 v8, 0xff, v8
	s_waitcnt vmcnt(0)
	v_perm_b32 v5, v5, v137, 0x7000504
	s_or_b32 exec_lo, exec_lo, s22
	s_mov_b32 s22, exec_lo
	v_cmpx_gt_u32_e64 s63, v107
	s_cbranch_execz .LBB1533_1043
.LBB1533_1246:                          ;   in Loop: Header=BB1533_1032 Depth=2
	global_load_ubyte v137, v[43:44], off offset:224
	v_and_b32_e32 v8, 0xff, v8
	s_waitcnt vmcnt(0)
	v_perm_b32 v5, v5, v137, 0x60504
	s_or_b32 exec_lo, exec_lo, s22
	s_mov_b32 s22, exec_lo
	v_cmpx_gt_u32_e64 s63, v108
	s_cbranch_execz .LBB1533_1044
.LBB1533_1247:                          ;   in Loop: Header=BB1533_1032 Depth=2
	global_load_ubyte v137, v[43:44], off offset:256
	v_and_b32_e32 v8, 0xff, v8
	s_waitcnt vmcnt(0)
	v_perm_b32 v6, v137, v6, 0x3020104
	s_or_b32 exec_lo, exec_lo, s22
	s_mov_b32 s22, exec_lo
	v_cmpx_gt_u32_e64 s63, v109
	s_cbranch_execz .LBB1533_1045
.LBB1533_1248:                          ;   in Loop: Header=BB1533_1032 Depth=2
	global_load_ubyte v137, v[43:44], off offset:288
	v_and_b32_e32 v8, 0xff, v8
	s_waitcnt vmcnt(0)
	v_perm_b32 v6, v6, v137, 0x7060004
	s_or_b32 exec_lo, exec_lo, s22
	s_mov_b32 s22, exec_lo
	v_cmpx_gt_u32_e64 s63, v110
	s_cbranch_execz .LBB1533_1046
.LBB1533_1249:                          ;   in Loop: Header=BB1533_1032 Depth=2
	global_load_ubyte v137, v[43:44], off offset:320
	v_and_b32_e32 v8, 0xff, v8
	s_waitcnt vmcnt(0)
	v_perm_b32 v6, v6, v137, 0x7000504
	s_or_b32 exec_lo, exec_lo, s22
	s_mov_b32 s22, exec_lo
	v_cmpx_gt_u32_e64 s63, v111
	s_cbranch_execz .LBB1533_1047
.LBB1533_1250:                          ;   in Loop: Header=BB1533_1032 Depth=2
	global_load_ubyte v137, v[43:44], off offset:352
	v_and_b32_e32 v8, 0xff, v8
	s_waitcnt vmcnt(0)
	v_perm_b32 v6, v6, v137, 0x60504
	s_or_b32 exec_lo, exec_lo, s22
	s_mov_b32 s22, exec_lo
	v_cmpx_gt_u32_e64 s63, v112
	s_cbranch_execz .LBB1533_1048
.LBB1533_1251:                          ;   in Loop: Header=BB1533_1032 Depth=2
	global_load_ubyte v137, v[43:44], off offset:384
	v_and_b32_e32 v8, 0xff, v8
	s_waitcnt vmcnt(0)
	v_perm_b32 v7, v137, v7, 0x3020104
	s_or_b32 exec_lo, exec_lo, s22
	s_mov_b32 s22, exec_lo
	v_cmpx_gt_u32_e64 s63, v113
	s_cbranch_execz .LBB1533_1049
.LBB1533_1252:                          ;   in Loop: Header=BB1533_1032 Depth=2
	global_load_ubyte v137, v[43:44], off offset:416
	v_and_b32_e32 v8, 0xff, v8
	s_waitcnt vmcnt(0)
	v_perm_b32 v7, v7, v137, 0x7060004
	s_or_b32 exec_lo, exec_lo, s22
	s_mov_b32 s22, exec_lo
	v_cmpx_gt_u32_e64 s63, v114
	s_cbranch_execz .LBB1533_1050
.LBB1533_1253:                          ;   in Loop: Header=BB1533_1032 Depth=2
	global_load_ubyte v137, v[43:44], off offset:448
	v_and_b32_e32 v8, 0xff, v8
	s_waitcnt vmcnt(0)
	v_perm_b32 v7, v7, v137, 0x7000504
	s_or_b32 exec_lo, exec_lo, s22
	s_mov_b32 s22, exec_lo
	v_cmpx_gt_u32_e64 s63, v115
	s_cbranch_execnz .LBB1533_1051
	s_branch .LBB1533_1052
.LBB1533_1254:
	s_endpgm
	.section	.rodata,"a",@progbits
	.p2align	6, 0x0
	.amdhsa_kernel _ZN7rocprim17ROCPRIM_400000_NS6detail17trampoline_kernelINS0_14default_configENS1_36segmented_radix_sort_config_selectorIblEEZNS1_25segmented_radix_sort_implIS3_Lb1EPKbPbPKlPlN2at6native12_GLOBAL__N_18offset_tEEE10hipError_tPvRmT1_PNSt15iterator_traitsISK_E10value_typeET2_T3_PNSL_ISQ_E10value_typeET4_jRbjT5_SW_jjP12ihipStream_tbEUlT_E_NS1_11comp_targetILNS1_3genE8ELNS1_11target_archE1030ELNS1_3gpuE2ELNS1_3repE0EEENS1_30default_config_static_selectorELNS0_4arch9wavefront6targetE0EEEvSK_
		.amdhsa_group_segment_fixed_size 35344
		.amdhsa_private_segment_fixed_size 256
		.amdhsa_kernarg_size 352
		.amdhsa_user_sgpr_count 6
		.amdhsa_user_sgpr_private_segment_buffer 1
		.amdhsa_user_sgpr_dispatch_ptr 0
		.amdhsa_user_sgpr_queue_ptr 0
		.amdhsa_user_sgpr_kernarg_segment_ptr 1
		.amdhsa_user_sgpr_dispatch_id 0
		.amdhsa_user_sgpr_flat_scratch_init 0
		.amdhsa_user_sgpr_private_segment_size 0
		.amdhsa_wavefront_size32 1
		.amdhsa_uses_dynamic_stack 0
		.amdhsa_system_sgpr_private_segment_wavefront_offset 1
		.amdhsa_system_sgpr_workgroup_id_x 1
		.amdhsa_system_sgpr_workgroup_id_y 1
		.amdhsa_system_sgpr_workgroup_id_z 0
		.amdhsa_system_sgpr_workgroup_info 0
		.amdhsa_system_vgpr_workitem_id 2
		.amdhsa_next_free_vgpr 248
		.amdhsa_next_free_sgpr 68
		.amdhsa_reserve_vcc 1
		.amdhsa_reserve_flat_scratch 0
		.amdhsa_float_round_mode_32 0
		.amdhsa_float_round_mode_16_64 0
		.amdhsa_float_denorm_mode_32 3
		.amdhsa_float_denorm_mode_16_64 3
		.amdhsa_dx10_clamp 1
		.amdhsa_ieee_mode 1
		.amdhsa_fp16_overflow 0
		.amdhsa_workgroup_processor_mode 1
		.amdhsa_memory_ordered 1
		.amdhsa_forward_progress 1
		.amdhsa_shared_vgpr_count 0
		.amdhsa_exception_fp_ieee_invalid_op 0
		.amdhsa_exception_fp_denorm_src 0
		.amdhsa_exception_fp_ieee_div_zero 0
		.amdhsa_exception_fp_ieee_overflow 0
		.amdhsa_exception_fp_ieee_underflow 0
		.amdhsa_exception_fp_ieee_inexact 0
		.amdhsa_exception_int_div_zero 0
	.end_amdhsa_kernel
	.section	.text._ZN7rocprim17ROCPRIM_400000_NS6detail17trampoline_kernelINS0_14default_configENS1_36segmented_radix_sort_config_selectorIblEEZNS1_25segmented_radix_sort_implIS3_Lb1EPKbPbPKlPlN2at6native12_GLOBAL__N_18offset_tEEE10hipError_tPvRmT1_PNSt15iterator_traitsISK_E10value_typeET2_T3_PNSL_ISQ_E10value_typeET4_jRbjT5_SW_jjP12ihipStream_tbEUlT_E_NS1_11comp_targetILNS1_3genE8ELNS1_11target_archE1030ELNS1_3gpuE2ELNS1_3repE0EEENS1_30default_config_static_selectorELNS0_4arch9wavefront6targetE0EEEvSK_,"axG",@progbits,_ZN7rocprim17ROCPRIM_400000_NS6detail17trampoline_kernelINS0_14default_configENS1_36segmented_radix_sort_config_selectorIblEEZNS1_25segmented_radix_sort_implIS3_Lb1EPKbPbPKlPlN2at6native12_GLOBAL__N_18offset_tEEE10hipError_tPvRmT1_PNSt15iterator_traitsISK_E10value_typeET2_T3_PNSL_ISQ_E10value_typeET4_jRbjT5_SW_jjP12ihipStream_tbEUlT_E_NS1_11comp_targetILNS1_3genE8ELNS1_11target_archE1030ELNS1_3gpuE2ELNS1_3repE0EEENS1_30default_config_static_selectorELNS0_4arch9wavefront6targetE0EEEvSK_,comdat
.Lfunc_end1533:
	.size	_ZN7rocprim17ROCPRIM_400000_NS6detail17trampoline_kernelINS0_14default_configENS1_36segmented_radix_sort_config_selectorIblEEZNS1_25segmented_radix_sort_implIS3_Lb1EPKbPbPKlPlN2at6native12_GLOBAL__N_18offset_tEEE10hipError_tPvRmT1_PNSt15iterator_traitsISK_E10value_typeET2_T3_PNSL_ISQ_E10value_typeET4_jRbjT5_SW_jjP12ihipStream_tbEUlT_E_NS1_11comp_targetILNS1_3genE8ELNS1_11target_archE1030ELNS1_3gpuE2ELNS1_3repE0EEENS1_30default_config_static_selectorELNS0_4arch9wavefront6targetE0EEEvSK_, .Lfunc_end1533-_ZN7rocprim17ROCPRIM_400000_NS6detail17trampoline_kernelINS0_14default_configENS1_36segmented_radix_sort_config_selectorIblEEZNS1_25segmented_radix_sort_implIS3_Lb1EPKbPbPKlPlN2at6native12_GLOBAL__N_18offset_tEEE10hipError_tPvRmT1_PNSt15iterator_traitsISK_E10value_typeET2_T3_PNSL_ISQ_E10value_typeET4_jRbjT5_SW_jjP12ihipStream_tbEUlT_E_NS1_11comp_targetILNS1_3genE8ELNS1_11target_archE1030ELNS1_3gpuE2ELNS1_3repE0EEENS1_30default_config_static_selectorELNS0_4arch9wavefront6targetE0EEEvSK_
                                        ; -- End function
	.set _ZN7rocprim17ROCPRIM_400000_NS6detail17trampoline_kernelINS0_14default_configENS1_36segmented_radix_sort_config_selectorIblEEZNS1_25segmented_radix_sort_implIS3_Lb1EPKbPbPKlPlN2at6native12_GLOBAL__N_18offset_tEEE10hipError_tPvRmT1_PNSt15iterator_traitsISK_E10value_typeET2_T3_PNSL_ISQ_E10value_typeET4_jRbjT5_SW_jjP12ihipStream_tbEUlT_E_NS1_11comp_targetILNS1_3genE8ELNS1_11target_archE1030ELNS1_3gpuE2ELNS1_3repE0EEENS1_30default_config_static_selectorELNS0_4arch9wavefront6targetE0EEEvSK_.num_vgpr, max(205, .L_ZN7rocprim17ROCPRIM_400000_NS6detail40segmented_radix_sort_single_block_helperIblLj256ELj17ELb1EE4sortIPKbPbPKlPlEEbT_T0_T1_T2_jjjjRNS3_12storage_typeE.num_vgpr)
	.set _ZN7rocprim17ROCPRIM_400000_NS6detail17trampoline_kernelINS0_14default_configENS1_36segmented_radix_sort_config_selectorIblEEZNS1_25segmented_radix_sort_implIS3_Lb1EPKbPbPKlPlN2at6native12_GLOBAL__N_18offset_tEEE10hipError_tPvRmT1_PNSt15iterator_traitsISK_E10value_typeET2_T3_PNSL_ISQ_E10value_typeET4_jRbjT5_SW_jjP12ihipStream_tbEUlT_E_NS1_11comp_targetILNS1_3genE8ELNS1_11target_archE1030ELNS1_3gpuE2ELNS1_3repE0EEENS1_30default_config_static_selectorELNS0_4arch9wavefront6targetE0EEEvSK_.num_agpr, max(0, .L_ZN7rocprim17ROCPRIM_400000_NS6detail40segmented_radix_sort_single_block_helperIblLj256ELj17ELb1EE4sortIPKbPbPKlPlEEbT_T0_T1_T2_jjjjRNS3_12storage_typeE.num_agpr)
	.set _ZN7rocprim17ROCPRIM_400000_NS6detail17trampoline_kernelINS0_14default_configENS1_36segmented_radix_sort_config_selectorIblEEZNS1_25segmented_radix_sort_implIS3_Lb1EPKbPbPKlPlN2at6native12_GLOBAL__N_18offset_tEEE10hipError_tPvRmT1_PNSt15iterator_traitsISK_E10value_typeET2_T3_PNSL_ISQ_E10value_typeET4_jRbjT5_SW_jjP12ihipStream_tbEUlT_E_NS1_11comp_targetILNS1_3genE8ELNS1_11target_archE1030ELNS1_3gpuE2ELNS1_3repE0EEENS1_30default_config_static_selectorELNS0_4arch9wavefront6targetE0EEEvSK_.numbered_sgpr, max(68, .L_ZN7rocprim17ROCPRIM_400000_NS6detail40segmented_radix_sort_single_block_helperIblLj256ELj17ELb1EE4sortIPKbPbPKlPlEEbT_T0_T1_T2_jjjjRNS3_12storage_typeE.numbered_sgpr)
	.set _ZN7rocprim17ROCPRIM_400000_NS6detail17trampoline_kernelINS0_14default_configENS1_36segmented_radix_sort_config_selectorIblEEZNS1_25segmented_radix_sort_implIS3_Lb1EPKbPbPKlPlN2at6native12_GLOBAL__N_18offset_tEEE10hipError_tPvRmT1_PNSt15iterator_traitsISK_E10value_typeET2_T3_PNSL_ISQ_E10value_typeET4_jRbjT5_SW_jjP12ihipStream_tbEUlT_E_NS1_11comp_targetILNS1_3genE8ELNS1_11target_archE1030ELNS1_3gpuE2ELNS1_3repE0EEENS1_30default_config_static_selectorELNS0_4arch9wavefront6targetE0EEEvSK_.num_named_barrier, max(0, .L_ZN7rocprim17ROCPRIM_400000_NS6detail40segmented_radix_sort_single_block_helperIblLj256ELj17ELb1EE4sortIPKbPbPKlPlEEbT_T0_T1_T2_jjjjRNS3_12storage_typeE.num_named_barrier)
	.set _ZN7rocprim17ROCPRIM_400000_NS6detail17trampoline_kernelINS0_14default_configENS1_36segmented_radix_sort_config_selectorIblEEZNS1_25segmented_radix_sort_implIS3_Lb1EPKbPbPKlPlN2at6native12_GLOBAL__N_18offset_tEEE10hipError_tPvRmT1_PNSt15iterator_traitsISK_E10value_typeET2_T3_PNSL_ISQ_E10value_typeET4_jRbjT5_SW_jjP12ihipStream_tbEUlT_E_NS1_11comp_targetILNS1_3genE8ELNS1_11target_archE1030ELNS1_3gpuE2ELNS1_3repE0EEENS1_30default_config_static_selectorELNS0_4arch9wavefront6targetE0EEEvSK_.private_seg_size, 0+max(.L_ZN7rocprim17ROCPRIM_400000_NS6detail40segmented_radix_sort_single_block_helperIblLj256ELj17ELb1EE4sortIPKbPbPKlPlEEbT_T0_T1_T2_jjjjRNS3_12storage_typeE.private_seg_size)
	.set _ZN7rocprim17ROCPRIM_400000_NS6detail17trampoline_kernelINS0_14default_configENS1_36segmented_radix_sort_config_selectorIblEEZNS1_25segmented_radix_sort_implIS3_Lb1EPKbPbPKlPlN2at6native12_GLOBAL__N_18offset_tEEE10hipError_tPvRmT1_PNSt15iterator_traitsISK_E10value_typeET2_T3_PNSL_ISQ_E10value_typeET4_jRbjT5_SW_jjP12ihipStream_tbEUlT_E_NS1_11comp_targetILNS1_3genE8ELNS1_11target_archE1030ELNS1_3gpuE2ELNS1_3repE0EEENS1_30default_config_static_selectorELNS0_4arch9wavefront6targetE0EEEvSK_.uses_vcc, or(1, .L_ZN7rocprim17ROCPRIM_400000_NS6detail40segmented_radix_sort_single_block_helperIblLj256ELj17ELb1EE4sortIPKbPbPKlPlEEbT_T0_T1_T2_jjjjRNS3_12storage_typeE.uses_vcc)
	.set _ZN7rocprim17ROCPRIM_400000_NS6detail17trampoline_kernelINS0_14default_configENS1_36segmented_radix_sort_config_selectorIblEEZNS1_25segmented_radix_sort_implIS3_Lb1EPKbPbPKlPlN2at6native12_GLOBAL__N_18offset_tEEE10hipError_tPvRmT1_PNSt15iterator_traitsISK_E10value_typeET2_T3_PNSL_ISQ_E10value_typeET4_jRbjT5_SW_jjP12ihipStream_tbEUlT_E_NS1_11comp_targetILNS1_3genE8ELNS1_11target_archE1030ELNS1_3gpuE2ELNS1_3repE0EEENS1_30default_config_static_selectorELNS0_4arch9wavefront6targetE0EEEvSK_.uses_flat_scratch, or(0, .L_ZN7rocprim17ROCPRIM_400000_NS6detail40segmented_radix_sort_single_block_helperIblLj256ELj17ELb1EE4sortIPKbPbPKlPlEEbT_T0_T1_T2_jjjjRNS3_12storage_typeE.uses_flat_scratch)
	.set _ZN7rocprim17ROCPRIM_400000_NS6detail17trampoline_kernelINS0_14default_configENS1_36segmented_radix_sort_config_selectorIblEEZNS1_25segmented_radix_sort_implIS3_Lb1EPKbPbPKlPlN2at6native12_GLOBAL__N_18offset_tEEE10hipError_tPvRmT1_PNSt15iterator_traitsISK_E10value_typeET2_T3_PNSL_ISQ_E10value_typeET4_jRbjT5_SW_jjP12ihipStream_tbEUlT_E_NS1_11comp_targetILNS1_3genE8ELNS1_11target_archE1030ELNS1_3gpuE2ELNS1_3repE0EEENS1_30default_config_static_selectorELNS0_4arch9wavefront6targetE0EEEvSK_.has_dyn_sized_stack, or(0, .L_ZN7rocprim17ROCPRIM_400000_NS6detail40segmented_radix_sort_single_block_helperIblLj256ELj17ELb1EE4sortIPKbPbPKlPlEEbT_T0_T1_T2_jjjjRNS3_12storage_typeE.has_dyn_sized_stack)
	.set _ZN7rocprim17ROCPRIM_400000_NS6detail17trampoline_kernelINS0_14default_configENS1_36segmented_radix_sort_config_selectorIblEEZNS1_25segmented_radix_sort_implIS3_Lb1EPKbPbPKlPlN2at6native12_GLOBAL__N_18offset_tEEE10hipError_tPvRmT1_PNSt15iterator_traitsISK_E10value_typeET2_T3_PNSL_ISQ_E10value_typeET4_jRbjT5_SW_jjP12ihipStream_tbEUlT_E_NS1_11comp_targetILNS1_3genE8ELNS1_11target_archE1030ELNS1_3gpuE2ELNS1_3repE0EEENS1_30default_config_static_selectorELNS0_4arch9wavefront6targetE0EEEvSK_.has_recursion, or(0, .L_ZN7rocprim17ROCPRIM_400000_NS6detail40segmented_radix_sort_single_block_helperIblLj256ELj17ELb1EE4sortIPKbPbPKlPlEEbT_T0_T1_T2_jjjjRNS3_12storage_typeE.has_recursion)
	.set _ZN7rocprim17ROCPRIM_400000_NS6detail17trampoline_kernelINS0_14default_configENS1_36segmented_radix_sort_config_selectorIblEEZNS1_25segmented_radix_sort_implIS3_Lb1EPKbPbPKlPlN2at6native12_GLOBAL__N_18offset_tEEE10hipError_tPvRmT1_PNSt15iterator_traitsISK_E10value_typeET2_T3_PNSL_ISQ_E10value_typeET4_jRbjT5_SW_jjP12ihipStream_tbEUlT_E_NS1_11comp_targetILNS1_3genE8ELNS1_11target_archE1030ELNS1_3gpuE2ELNS1_3repE0EEENS1_30default_config_static_selectorELNS0_4arch9wavefront6targetE0EEEvSK_.has_indirect_call, or(0, .L_ZN7rocprim17ROCPRIM_400000_NS6detail40segmented_radix_sort_single_block_helperIblLj256ELj17ELb1EE4sortIPKbPbPKlPlEEbT_T0_T1_T2_jjjjRNS3_12storage_typeE.has_indirect_call)
	.section	.AMDGPU.csdata,"",@progbits
; Kernel info:
; codeLenInByte = 57560
; TotalNumSgprs: 70
; NumVgprs: 248
; ScratchSize: 256
; MemoryBound: 0
; FloatMode: 240
; IeeeMode: 1
; LDSByteSize: 35344 bytes/workgroup (compile time only)
; SGPRBlocks: 0
; VGPRBlocks: 30
; NumSGPRsForWavesPerEU: 70
; NumVGPRsForWavesPerEU: 248
; Occupancy: 4
; WaveLimiterHint : 1
; COMPUTE_PGM_RSRC2:SCRATCH_EN: 1
; COMPUTE_PGM_RSRC2:USER_SGPR: 6
; COMPUTE_PGM_RSRC2:TRAP_HANDLER: 0
; COMPUTE_PGM_RSRC2:TGID_X_EN: 1
; COMPUTE_PGM_RSRC2:TGID_Y_EN: 1
; COMPUTE_PGM_RSRC2:TGID_Z_EN: 0
; COMPUTE_PGM_RSRC2:TIDIG_COMP_CNT: 2
	.section	.text._ZN7rocprim17ROCPRIM_400000_NS6detail17trampoline_kernelINS0_14default_configENS1_36segmented_radix_sort_config_selectorIblEEZNS1_25segmented_radix_sort_implIS3_Lb1EPKbPbPKlPlN2at6native12_GLOBAL__N_18offset_tEEE10hipError_tPvRmT1_PNSt15iterator_traitsISK_E10value_typeET2_T3_PNSL_ISQ_E10value_typeET4_jRbjT5_SW_jjP12ihipStream_tbEUlT_E0_NS1_11comp_targetILNS1_3genE0ELNS1_11target_archE4294967295ELNS1_3gpuE0ELNS1_3repE0EEENS1_60segmented_radix_sort_warp_sort_medium_config_static_selectorELNS0_4arch9wavefront6targetE0EEEvSK_,"axG",@progbits,_ZN7rocprim17ROCPRIM_400000_NS6detail17trampoline_kernelINS0_14default_configENS1_36segmented_radix_sort_config_selectorIblEEZNS1_25segmented_radix_sort_implIS3_Lb1EPKbPbPKlPlN2at6native12_GLOBAL__N_18offset_tEEE10hipError_tPvRmT1_PNSt15iterator_traitsISK_E10value_typeET2_T3_PNSL_ISQ_E10value_typeET4_jRbjT5_SW_jjP12ihipStream_tbEUlT_E0_NS1_11comp_targetILNS1_3genE0ELNS1_11target_archE4294967295ELNS1_3gpuE0ELNS1_3repE0EEENS1_60segmented_radix_sort_warp_sort_medium_config_static_selectorELNS0_4arch9wavefront6targetE0EEEvSK_,comdat
	.globl	_ZN7rocprim17ROCPRIM_400000_NS6detail17trampoline_kernelINS0_14default_configENS1_36segmented_radix_sort_config_selectorIblEEZNS1_25segmented_radix_sort_implIS3_Lb1EPKbPbPKlPlN2at6native12_GLOBAL__N_18offset_tEEE10hipError_tPvRmT1_PNSt15iterator_traitsISK_E10value_typeET2_T3_PNSL_ISQ_E10value_typeET4_jRbjT5_SW_jjP12ihipStream_tbEUlT_E0_NS1_11comp_targetILNS1_3genE0ELNS1_11target_archE4294967295ELNS1_3gpuE0ELNS1_3repE0EEENS1_60segmented_radix_sort_warp_sort_medium_config_static_selectorELNS0_4arch9wavefront6targetE0EEEvSK_ ; -- Begin function _ZN7rocprim17ROCPRIM_400000_NS6detail17trampoline_kernelINS0_14default_configENS1_36segmented_radix_sort_config_selectorIblEEZNS1_25segmented_radix_sort_implIS3_Lb1EPKbPbPKlPlN2at6native12_GLOBAL__N_18offset_tEEE10hipError_tPvRmT1_PNSt15iterator_traitsISK_E10value_typeET2_T3_PNSL_ISQ_E10value_typeET4_jRbjT5_SW_jjP12ihipStream_tbEUlT_E0_NS1_11comp_targetILNS1_3genE0ELNS1_11target_archE4294967295ELNS1_3gpuE0ELNS1_3repE0EEENS1_60segmented_radix_sort_warp_sort_medium_config_static_selectorELNS0_4arch9wavefront6targetE0EEEvSK_
	.p2align	8
	.type	_ZN7rocprim17ROCPRIM_400000_NS6detail17trampoline_kernelINS0_14default_configENS1_36segmented_radix_sort_config_selectorIblEEZNS1_25segmented_radix_sort_implIS3_Lb1EPKbPbPKlPlN2at6native12_GLOBAL__N_18offset_tEEE10hipError_tPvRmT1_PNSt15iterator_traitsISK_E10value_typeET2_T3_PNSL_ISQ_E10value_typeET4_jRbjT5_SW_jjP12ihipStream_tbEUlT_E0_NS1_11comp_targetILNS1_3genE0ELNS1_11target_archE4294967295ELNS1_3gpuE0ELNS1_3repE0EEENS1_60segmented_radix_sort_warp_sort_medium_config_static_selectorELNS0_4arch9wavefront6targetE0EEEvSK_,@function
_ZN7rocprim17ROCPRIM_400000_NS6detail17trampoline_kernelINS0_14default_configENS1_36segmented_radix_sort_config_selectorIblEEZNS1_25segmented_radix_sort_implIS3_Lb1EPKbPbPKlPlN2at6native12_GLOBAL__N_18offset_tEEE10hipError_tPvRmT1_PNSt15iterator_traitsISK_E10value_typeET2_T3_PNSL_ISQ_E10value_typeET4_jRbjT5_SW_jjP12ihipStream_tbEUlT_E0_NS1_11comp_targetILNS1_3genE0ELNS1_11target_archE4294967295ELNS1_3gpuE0ELNS1_3repE0EEENS1_60segmented_radix_sort_warp_sort_medium_config_static_selectorELNS0_4arch9wavefront6targetE0EEEvSK_: ; @_ZN7rocprim17ROCPRIM_400000_NS6detail17trampoline_kernelINS0_14default_configENS1_36segmented_radix_sort_config_selectorIblEEZNS1_25segmented_radix_sort_implIS3_Lb1EPKbPbPKlPlN2at6native12_GLOBAL__N_18offset_tEEE10hipError_tPvRmT1_PNSt15iterator_traitsISK_E10value_typeET2_T3_PNSL_ISQ_E10value_typeET4_jRbjT5_SW_jjP12ihipStream_tbEUlT_E0_NS1_11comp_targetILNS1_3genE0ELNS1_11target_archE4294967295ELNS1_3gpuE0ELNS1_3repE0EEENS1_60segmented_radix_sort_warp_sort_medium_config_static_selectorELNS0_4arch9wavefront6targetE0EEEvSK_
; %bb.0:
	.section	.rodata,"a",@progbits
	.p2align	6, 0x0
	.amdhsa_kernel _ZN7rocprim17ROCPRIM_400000_NS6detail17trampoline_kernelINS0_14default_configENS1_36segmented_radix_sort_config_selectorIblEEZNS1_25segmented_radix_sort_implIS3_Lb1EPKbPbPKlPlN2at6native12_GLOBAL__N_18offset_tEEE10hipError_tPvRmT1_PNSt15iterator_traitsISK_E10value_typeET2_T3_PNSL_ISQ_E10value_typeET4_jRbjT5_SW_jjP12ihipStream_tbEUlT_E0_NS1_11comp_targetILNS1_3genE0ELNS1_11target_archE4294967295ELNS1_3gpuE0ELNS1_3repE0EEENS1_60segmented_radix_sort_warp_sort_medium_config_static_selectorELNS0_4arch9wavefront6targetE0EEEvSK_
		.amdhsa_group_segment_fixed_size 0
		.amdhsa_private_segment_fixed_size 0
		.amdhsa_kernarg_size 88
		.amdhsa_user_sgpr_count 6
		.amdhsa_user_sgpr_private_segment_buffer 1
		.amdhsa_user_sgpr_dispatch_ptr 0
		.amdhsa_user_sgpr_queue_ptr 0
		.amdhsa_user_sgpr_kernarg_segment_ptr 1
		.amdhsa_user_sgpr_dispatch_id 0
		.amdhsa_user_sgpr_flat_scratch_init 0
		.amdhsa_user_sgpr_private_segment_size 0
		.amdhsa_wavefront_size32 1
		.amdhsa_uses_dynamic_stack 0
		.amdhsa_system_sgpr_private_segment_wavefront_offset 0
		.amdhsa_system_sgpr_workgroup_id_x 1
		.amdhsa_system_sgpr_workgroup_id_y 0
		.amdhsa_system_sgpr_workgroup_id_z 0
		.amdhsa_system_sgpr_workgroup_info 0
		.amdhsa_system_vgpr_workitem_id 0
		.amdhsa_next_free_vgpr 1
		.amdhsa_next_free_sgpr 1
		.amdhsa_reserve_vcc 0
		.amdhsa_reserve_flat_scratch 0
		.amdhsa_float_round_mode_32 0
		.amdhsa_float_round_mode_16_64 0
		.amdhsa_float_denorm_mode_32 3
		.amdhsa_float_denorm_mode_16_64 3
		.amdhsa_dx10_clamp 1
		.amdhsa_ieee_mode 1
		.amdhsa_fp16_overflow 0
		.amdhsa_workgroup_processor_mode 1
		.amdhsa_memory_ordered 1
		.amdhsa_forward_progress 1
		.amdhsa_shared_vgpr_count 0
		.amdhsa_exception_fp_ieee_invalid_op 0
		.amdhsa_exception_fp_denorm_src 0
		.amdhsa_exception_fp_ieee_div_zero 0
		.amdhsa_exception_fp_ieee_overflow 0
		.amdhsa_exception_fp_ieee_underflow 0
		.amdhsa_exception_fp_ieee_inexact 0
		.amdhsa_exception_int_div_zero 0
	.end_amdhsa_kernel
	.section	.text._ZN7rocprim17ROCPRIM_400000_NS6detail17trampoline_kernelINS0_14default_configENS1_36segmented_radix_sort_config_selectorIblEEZNS1_25segmented_radix_sort_implIS3_Lb1EPKbPbPKlPlN2at6native12_GLOBAL__N_18offset_tEEE10hipError_tPvRmT1_PNSt15iterator_traitsISK_E10value_typeET2_T3_PNSL_ISQ_E10value_typeET4_jRbjT5_SW_jjP12ihipStream_tbEUlT_E0_NS1_11comp_targetILNS1_3genE0ELNS1_11target_archE4294967295ELNS1_3gpuE0ELNS1_3repE0EEENS1_60segmented_radix_sort_warp_sort_medium_config_static_selectorELNS0_4arch9wavefront6targetE0EEEvSK_,"axG",@progbits,_ZN7rocprim17ROCPRIM_400000_NS6detail17trampoline_kernelINS0_14default_configENS1_36segmented_radix_sort_config_selectorIblEEZNS1_25segmented_radix_sort_implIS3_Lb1EPKbPbPKlPlN2at6native12_GLOBAL__N_18offset_tEEE10hipError_tPvRmT1_PNSt15iterator_traitsISK_E10value_typeET2_T3_PNSL_ISQ_E10value_typeET4_jRbjT5_SW_jjP12ihipStream_tbEUlT_E0_NS1_11comp_targetILNS1_3genE0ELNS1_11target_archE4294967295ELNS1_3gpuE0ELNS1_3repE0EEENS1_60segmented_radix_sort_warp_sort_medium_config_static_selectorELNS0_4arch9wavefront6targetE0EEEvSK_,comdat
.Lfunc_end1534:
	.size	_ZN7rocprim17ROCPRIM_400000_NS6detail17trampoline_kernelINS0_14default_configENS1_36segmented_radix_sort_config_selectorIblEEZNS1_25segmented_radix_sort_implIS3_Lb1EPKbPbPKlPlN2at6native12_GLOBAL__N_18offset_tEEE10hipError_tPvRmT1_PNSt15iterator_traitsISK_E10value_typeET2_T3_PNSL_ISQ_E10value_typeET4_jRbjT5_SW_jjP12ihipStream_tbEUlT_E0_NS1_11comp_targetILNS1_3genE0ELNS1_11target_archE4294967295ELNS1_3gpuE0ELNS1_3repE0EEENS1_60segmented_radix_sort_warp_sort_medium_config_static_selectorELNS0_4arch9wavefront6targetE0EEEvSK_, .Lfunc_end1534-_ZN7rocprim17ROCPRIM_400000_NS6detail17trampoline_kernelINS0_14default_configENS1_36segmented_radix_sort_config_selectorIblEEZNS1_25segmented_radix_sort_implIS3_Lb1EPKbPbPKlPlN2at6native12_GLOBAL__N_18offset_tEEE10hipError_tPvRmT1_PNSt15iterator_traitsISK_E10value_typeET2_T3_PNSL_ISQ_E10value_typeET4_jRbjT5_SW_jjP12ihipStream_tbEUlT_E0_NS1_11comp_targetILNS1_3genE0ELNS1_11target_archE4294967295ELNS1_3gpuE0ELNS1_3repE0EEENS1_60segmented_radix_sort_warp_sort_medium_config_static_selectorELNS0_4arch9wavefront6targetE0EEEvSK_
                                        ; -- End function
	.set _ZN7rocprim17ROCPRIM_400000_NS6detail17trampoline_kernelINS0_14default_configENS1_36segmented_radix_sort_config_selectorIblEEZNS1_25segmented_radix_sort_implIS3_Lb1EPKbPbPKlPlN2at6native12_GLOBAL__N_18offset_tEEE10hipError_tPvRmT1_PNSt15iterator_traitsISK_E10value_typeET2_T3_PNSL_ISQ_E10value_typeET4_jRbjT5_SW_jjP12ihipStream_tbEUlT_E0_NS1_11comp_targetILNS1_3genE0ELNS1_11target_archE4294967295ELNS1_3gpuE0ELNS1_3repE0EEENS1_60segmented_radix_sort_warp_sort_medium_config_static_selectorELNS0_4arch9wavefront6targetE0EEEvSK_.num_vgpr, 0
	.set _ZN7rocprim17ROCPRIM_400000_NS6detail17trampoline_kernelINS0_14default_configENS1_36segmented_radix_sort_config_selectorIblEEZNS1_25segmented_radix_sort_implIS3_Lb1EPKbPbPKlPlN2at6native12_GLOBAL__N_18offset_tEEE10hipError_tPvRmT1_PNSt15iterator_traitsISK_E10value_typeET2_T3_PNSL_ISQ_E10value_typeET4_jRbjT5_SW_jjP12ihipStream_tbEUlT_E0_NS1_11comp_targetILNS1_3genE0ELNS1_11target_archE4294967295ELNS1_3gpuE0ELNS1_3repE0EEENS1_60segmented_radix_sort_warp_sort_medium_config_static_selectorELNS0_4arch9wavefront6targetE0EEEvSK_.num_agpr, 0
	.set _ZN7rocprim17ROCPRIM_400000_NS6detail17trampoline_kernelINS0_14default_configENS1_36segmented_radix_sort_config_selectorIblEEZNS1_25segmented_radix_sort_implIS3_Lb1EPKbPbPKlPlN2at6native12_GLOBAL__N_18offset_tEEE10hipError_tPvRmT1_PNSt15iterator_traitsISK_E10value_typeET2_T3_PNSL_ISQ_E10value_typeET4_jRbjT5_SW_jjP12ihipStream_tbEUlT_E0_NS1_11comp_targetILNS1_3genE0ELNS1_11target_archE4294967295ELNS1_3gpuE0ELNS1_3repE0EEENS1_60segmented_radix_sort_warp_sort_medium_config_static_selectorELNS0_4arch9wavefront6targetE0EEEvSK_.numbered_sgpr, 0
	.set _ZN7rocprim17ROCPRIM_400000_NS6detail17trampoline_kernelINS0_14default_configENS1_36segmented_radix_sort_config_selectorIblEEZNS1_25segmented_radix_sort_implIS3_Lb1EPKbPbPKlPlN2at6native12_GLOBAL__N_18offset_tEEE10hipError_tPvRmT1_PNSt15iterator_traitsISK_E10value_typeET2_T3_PNSL_ISQ_E10value_typeET4_jRbjT5_SW_jjP12ihipStream_tbEUlT_E0_NS1_11comp_targetILNS1_3genE0ELNS1_11target_archE4294967295ELNS1_3gpuE0ELNS1_3repE0EEENS1_60segmented_radix_sort_warp_sort_medium_config_static_selectorELNS0_4arch9wavefront6targetE0EEEvSK_.num_named_barrier, 0
	.set _ZN7rocprim17ROCPRIM_400000_NS6detail17trampoline_kernelINS0_14default_configENS1_36segmented_radix_sort_config_selectorIblEEZNS1_25segmented_radix_sort_implIS3_Lb1EPKbPbPKlPlN2at6native12_GLOBAL__N_18offset_tEEE10hipError_tPvRmT1_PNSt15iterator_traitsISK_E10value_typeET2_T3_PNSL_ISQ_E10value_typeET4_jRbjT5_SW_jjP12ihipStream_tbEUlT_E0_NS1_11comp_targetILNS1_3genE0ELNS1_11target_archE4294967295ELNS1_3gpuE0ELNS1_3repE0EEENS1_60segmented_radix_sort_warp_sort_medium_config_static_selectorELNS0_4arch9wavefront6targetE0EEEvSK_.private_seg_size, 0
	.set _ZN7rocprim17ROCPRIM_400000_NS6detail17trampoline_kernelINS0_14default_configENS1_36segmented_radix_sort_config_selectorIblEEZNS1_25segmented_radix_sort_implIS3_Lb1EPKbPbPKlPlN2at6native12_GLOBAL__N_18offset_tEEE10hipError_tPvRmT1_PNSt15iterator_traitsISK_E10value_typeET2_T3_PNSL_ISQ_E10value_typeET4_jRbjT5_SW_jjP12ihipStream_tbEUlT_E0_NS1_11comp_targetILNS1_3genE0ELNS1_11target_archE4294967295ELNS1_3gpuE0ELNS1_3repE0EEENS1_60segmented_radix_sort_warp_sort_medium_config_static_selectorELNS0_4arch9wavefront6targetE0EEEvSK_.uses_vcc, 0
	.set _ZN7rocprim17ROCPRIM_400000_NS6detail17trampoline_kernelINS0_14default_configENS1_36segmented_radix_sort_config_selectorIblEEZNS1_25segmented_radix_sort_implIS3_Lb1EPKbPbPKlPlN2at6native12_GLOBAL__N_18offset_tEEE10hipError_tPvRmT1_PNSt15iterator_traitsISK_E10value_typeET2_T3_PNSL_ISQ_E10value_typeET4_jRbjT5_SW_jjP12ihipStream_tbEUlT_E0_NS1_11comp_targetILNS1_3genE0ELNS1_11target_archE4294967295ELNS1_3gpuE0ELNS1_3repE0EEENS1_60segmented_radix_sort_warp_sort_medium_config_static_selectorELNS0_4arch9wavefront6targetE0EEEvSK_.uses_flat_scratch, 0
	.set _ZN7rocprim17ROCPRIM_400000_NS6detail17trampoline_kernelINS0_14default_configENS1_36segmented_radix_sort_config_selectorIblEEZNS1_25segmented_radix_sort_implIS3_Lb1EPKbPbPKlPlN2at6native12_GLOBAL__N_18offset_tEEE10hipError_tPvRmT1_PNSt15iterator_traitsISK_E10value_typeET2_T3_PNSL_ISQ_E10value_typeET4_jRbjT5_SW_jjP12ihipStream_tbEUlT_E0_NS1_11comp_targetILNS1_3genE0ELNS1_11target_archE4294967295ELNS1_3gpuE0ELNS1_3repE0EEENS1_60segmented_radix_sort_warp_sort_medium_config_static_selectorELNS0_4arch9wavefront6targetE0EEEvSK_.has_dyn_sized_stack, 0
	.set _ZN7rocprim17ROCPRIM_400000_NS6detail17trampoline_kernelINS0_14default_configENS1_36segmented_radix_sort_config_selectorIblEEZNS1_25segmented_radix_sort_implIS3_Lb1EPKbPbPKlPlN2at6native12_GLOBAL__N_18offset_tEEE10hipError_tPvRmT1_PNSt15iterator_traitsISK_E10value_typeET2_T3_PNSL_ISQ_E10value_typeET4_jRbjT5_SW_jjP12ihipStream_tbEUlT_E0_NS1_11comp_targetILNS1_3genE0ELNS1_11target_archE4294967295ELNS1_3gpuE0ELNS1_3repE0EEENS1_60segmented_radix_sort_warp_sort_medium_config_static_selectorELNS0_4arch9wavefront6targetE0EEEvSK_.has_recursion, 0
	.set _ZN7rocprim17ROCPRIM_400000_NS6detail17trampoline_kernelINS0_14default_configENS1_36segmented_radix_sort_config_selectorIblEEZNS1_25segmented_radix_sort_implIS3_Lb1EPKbPbPKlPlN2at6native12_GLOBAL__N_18offset_tEEE10hipError_tPvRmT1_PNSt15iterator_traitsISK_E10value_typeET2_T3_PNSL_ISQ_E10value_typeET4_jRbjT5_SW_jjP12ihipStream_tbEUlT_E0_NS1_11comp_targetILNS1_3genE0ELNS1_11target_archE4294967295ELNS1_3gpuE0ELNS1_3repE0EEENS1_60segmented_radix_sort_warp_sort_medium_config_static_selectorELNS0_4arch9wavefront6targetE0EEEvSK_.has_indirect_call, 0
	.section	.AMDGPU.csdata,"",@progbits
; Kernel info:
; codeLenInByte = 0
; TotalNumSgprs: 0
; NumVgprs: 0
; ScratchSize: 0
; MemoryBound: 0
; FloatMode: 240
; IeeeMode: 1
; LDSByteSize: 0 bytes/workgroup (compile time only)
; SGPRBlocks: 0
; VGPRBlocks: 0
; NumSGPRsForWavesPerEU: 1
; NumVGPRsForWavesPerEU: 1
; Occupancy: 16
; WaveLimiterHint : 0
; COMPUTE_PGM_RSRC2:SCRATCH_EN: 0
; COMPUTE_PGM_RSRC2:USER_SGPR: 6
; COMPUTE_PGM_RSRC2:TRAP_HANDLER: 0
; COMPUTE_PGM_RSRC2:TGID_X_EN: 1
; COMPUTE_PGM_RSRC2:TGID_Y_EN: 0
; COMPUTE_PGM_RSRC2:TGID_Z_EN: 0
; COMPUTE_PGM_RSRC2:TIDIG_COMP_CNT: 0
	.section	.text._ZN7rocprim17ROCPRIM_400000_NS6detail17trampoline_kernelINS0_14default_configENS1_36segmented_radix_sort_config_selectorIblEEZNS1_25segmented_radix_sort_implIS3_Lb1EPKbPbPKlPlN2at6native12_GLOBAL__N_18offset_tEEE10hipError_tPvRmT1_PNSt15iterator_traitsISK_E10value_typeET2_T3_PNSL_ISQ_E10value_typeET4_jRbjT5_SW_jjP12ihipStream_tbEUlT_E0_NS1_11comp_targetILNS1_3genE5ELNS1_11target_archE942ELNS1_3gpuE9ELNS1_3repE0EEENS1_60segmented_radix_sort_warp_sort_medium_config_static_selectorELNS0_4arch9wavefront6targetE0EEEvSK_,"axG",@progbits,_ZN7rocprim17ROCPRIM_400000_NS6detail17trampoline_kernelINS0_14default_configENS1_36segmented_radix_sort_config_selectorIblEEZNS1_25segmented_radix_sort_implIS3_Lb1EPKbPbPKlPlN2at6native12_GLOBAL__N_18offset_tEEE10hipError_tPvRmT1_PNSt15iterator_traitsISK_E10value_typeET2_T3_PNSL_ISQ_E10value_typeET4_jRbjT5_SW_jjP12ihipStream_tbEUlT_E0_NS1_11comp_targetILNS1_3genE5ELNS1_11target_archE942ELNS1_3gpuE9ELNS1_3repE0EEENS1_60segmented_radix_sort_warp_sort_medium_config_static_selectorELNS0_4arch9wavefront6targetE0EEEvSK_,comdat
	.globl	_ZN7rocprim17ROCPRIM_400000_NS6detail17trampoline_kernelINS0_14default_configENS1_36segmented_radix_sort_config_selectorIblEEZNS1_25segmented_radix_sort_implIS3_Lb1EPKbPbPKlPlN2at6native12_GLOBAL__N_18offset_tEEE10hipError_tPvRmT1_PNSt15iterator_traitsISK_E10value_typeET2_T3_PNSL_ISQ_E10value_typeET4_jRbjT5_SW_jjP12ihipStream_tbEUlT_E0_NS1_11comp_targetILNS1_3genE5ELNS1_11target_archE942ELNS1_3gpuE9ELNS1_3repE0EEENS1_60segmented_radix_sort_warp_sort_medium_config_static_selectorELNS0_4arch9wavefront6targetE0EEEvSK_ ; -- Begin function _ZN7rocprim17ROCPRIM_400000_NS6detail17trampoline_kernelINS0_14default_configENS1_36segmented_radix_sort_config_selectorIblEEZNS1_25segmented_radix_sort_implIS3_Lb1EPKbPbPKlPlN2at6native12_GLOBAL__N_18offset_tEEE10hipError_tPvRmT1_PNSt15iterator_traitsISK_E10value_typeET2_T3_PNSL_ISQ_E10value_typeET4_jRbjT5_SW_jjP12ihipStream_tbEUlT_E0_NS1_11comp_targetILNS1_3genE5ELNS1_11target_archE942ELNS1_3gpuE9ELNS1_3repE0EEENS1_60segmented_radix_sort_warp_sort_medium_config_static_selectorELNS0_4arch9wavefront6targetE0EEEvSK_
	.p2align	8
	.type	_ZN7rocprim17ROCPRIM_400000_NS6detail17trampoline_kernelINS0_14default_configENS1_36segmented_radix_sort_config_selectorIblEEZNS1_25segmented_radix_sort_implIS3_Lb1EPKbPbPKlPlN2at6native12_GLOBAL__N_18offset_tEEE10hipError_tPvRmT1_PNSt15iterator_traitsISK_E10value_typeET2_T3_PNSL_ISQ_E10value_typeET4_jRbjT5_SW_jjP12ihipStream_tbEUlT_E0_NS1_11comp_targetILNS1_3genE5ELNS1_11target_archE942ELNS1_3gpuE9ELNS1_3repE0EEENS1_60segmented_radix_sort_warp_sort_medium_config_static_selectorELNS0_4arch9wavefront6targetE0EEEvSK_,@function
_ZN7rocprim17ROCPRIM_400000_NS6detail17trampoline_kernelINS0_14default_configENS1_36segmented_radix_sort_config_selectorIblEEZNS1_25segmented_radix_sort_implIS3_Lb1EPKbPbPKlPlN2at6native12_GLOBAL__N_18offset_tEEE10hipError_tPvRmT1_PNSt15iterator_traitsISK_E10value_typeET2_T3_PNSL_ISQ_E10value_typeET4_jRbjT5_SW_jjP12ihipStream_tbEUlT_E0_NS1_11comp_targetILNS1_3genE5ELNS1_11target_archE942ELNS1_3gpuE9ELNS1_3repE0EEENS1_60segmented_radix_sort_warp_sort_medium_config_static_selectorELNS0_4arch9wavefront6targetE0EEEvSK_: ; @_ZN7rocprim17ROCPRIM_400000_NS6detail17trampoline_kernelINS0_14default_configENS1_36segmented_radix_sort_config_selectorIblEEZNS1_25segmented_radix_sort_implIS3_Lb1EPKbPbPKlPlN2at6native12_GLOBAL__N_18offset_tEEE10hipError_tPvRmT1_PNSt15iterator_traitsISK_E10value_typeET2_T3_PNSL_ISQ_E10value_typeET4_jRbjT5_SW_jjP12ihipStream_tbEUlT_E0_NS1_11comp_targetILNS1_3genE5ELNS1_11target_archE942ELNS1_3gpuE9ELNS1_3repE0EEENS1_60segmented_radix_sort_warp_sort_medium_config_static_selectorELNS0_4arch9wavefront6targetE0EEEvSK_
; %bb.0:
	.section	.rodata,"a",@progbits
	.p2align	6, 0x0
	.amdhsa_kernel _ZN7rocprim17ROCPRIM_400000_NS6detail17trampoline_kernelINS0_14default_configENS1_36segmented_radix_sort_config_selectorIblEEZNS1_25segmented_radix_sort_implIS3_Lb1EPKbPbPKlPlN2at6native12_GLOBAL__N_18offset_tEEE10hipError_tPvRmT1_PNSt15iterator_traitsISK_E10value_typeET2_T3_PNSL_ISQ_E10value_typeET4_jRbjT5_SW_jjP12ihipStream_tbEUlT_E0_NS1_11comp_targetILNS1_3genE5ELNS1_11target_archE942ELNS1_3gpuE9ELNS1_3repE0EEENS1_60segmented_radix_sort_warp_sort_medium_config_static_selectorELNS0_4arch9wavefront6targetE0EEEvSK_
		.amdhsa_group_segment_fixed_size 0
		.amdhsa_private_segment_fixed_size 0
		.amdhsa_kernarg_size 88
		.amdhsa_user_sgpr_count 6
		.amdhsa_user_sgpr_private_segment_buffer 1
		.amdhsa_user_sgpr_dispatch_ptr 0
		.amdhsa_user_sgpr_queue_ptr 0
		.amdhsa_user_sgpr_kernarg_segment_ptr 1
		.amdhsa_user_sgpr_dispatch_id 0
		.amdhsa_user_sgpr_flat_scratch_init 0
		.amdhsa_user_sgpr_private_segment_size 0
		.amdhsa_wavefront_size32 1
		.amdhsa_uses_dynamic_stack 0
		.amdhsa_system_sgpr_private_segment_wavefront_offset 0
		.amdhsa_system_sgpr_workgroup_id_x 1
		.amdhsa_system_sgpr_workgroup_id_y 0
		.amdhsa_system_sgpr_workgroup_id_z 0
		.amdhsa_system_sgpr_workgroup_info 0
		.amdhsa_system_vgpr_workitem_id 0
		.amdhsa_next_free_vgpr 1
		.amdhsa_next_free_sgpr 1
		.amdhsa_reserve_vcc 0
		.amdhsa_reserve_flat_scratch 0
		.amdhsa_float_round_mode_32 0
		.amdhsa_float_round_mode_16_64 0
		.amdhsa_float_denorm_mode_32 3
		.amdhsa_float_denorm_mode_16_64 3
		.amdhsa_dx10_clamp 1
		.amdhsa_ieee_mode 1
		.amdhsa_fp16_overflow 0
		.amdhsa_workgroup_processor_mode 1
		.amdhsa_memory_ordered 1
		.amdhsa_forward_progress 1
		.amdhsa_shared_vgpr_count 0
		.amdhsa_exception_fp_ieee_invalid_op 0
		.amdhsa_exception_fp_denorm_src 0
		.amdhsa_exception_fp_ieee_div_zero 0
		.amdhsa_exception_fp_ieee_overflow 0
		.amdhsa_exception_fp_ieee_underflow 0
		.amdhsa_exception_fp_ieee_inexact 0
		.amdhsa_exception_int_div_zero 0
	.end_amdhsa_kernel
	.section	.text._ZN7rocprim17ROCPRIM_400000_NS6detail17trampoline_kernelINS0_14default_configENS1_36segmented_radix_sort_config_selectorIblEEZNS1_25segmented_radix_sort_implIS3_Lb1EPKbPbPKlPlN2at6native12_GLOBAL__N_18offset_tEEE10hipError_tPvRmT1_PNSt15iterator_traitsISK_E10value_typeET2_T3_PNSL_ISQ_E10value_typeET4_jRbjT5_SW_jjP12ihipStream_tbEUlT_E0_NS1_11comp_targetILNS1_3genE5ELNS1_11target_archE942ELNS1_3gpuE9ELNS1_3repE0EEENS1_60segmented_radix_sort_warp_sort_medium_config_static_selectorELNS0_4arch9wavefront6targetE0EEEvSK_,"axG",@progbits,_ZN7rocprim17ROCPRIM_400000_NS6detail17trampoline_kernelINS0_14default_configENS1_36segmented_radix_sort_config_selectorIblEEZNS1_25segmented_radix_sort_implIS3_Lb1EPKbPbPKlPlN2at6native12_GLOBAL__N_18offset_tEEE10hipError_tPvRmT1_PNSt15iterator_traitsISK_E10value_typeET2_T3_PNSL_ISQ_E10value_typeET4_jRbjT5_SW_jjP12ihipStream_tbEUlT_E0_NS1_11comp_targetILNS1_3genE5ELNS1_11target_archE942ELNS1_3gpuE9ELNS1_3repE0EEENS1_60segmented_radix_sort_warp_sort_medium_config_static_selectorELNS0_4arch9wavefront6targetE0EEEvSK_,comdat
.Lfunc_end1535:
	.size	_ZN7rocprim17ROCPRIM_400000_NS6detail17trampoline_kernelINS0_14default_configENS1_36segmented_radix_sort_config_selectorIblEEZNS1_25segmented_radix_sort_implIS3_Lb1EPKbPbPKlPlN2at6native12_GLOBAL__N_18offset_tEEE10hipError_tPvRmT1_PNSt15iterator_traitsISK_E10value_typeET2_T3_PNSL_ISQ_E10value_typeET4_jRbjT5_SW_jjP12ihipStream_tbEUlT_E0_NS1_11comp_targetILNS1_3genE5ELNS1_11target_archE942ELNS1_3gpuE9ELNS1_3repE0EEENS1_60segmented_radix_sort_warp_sort_medium_config_static_selectorELNS0_4arch9wavefront6targetE0EEEvSK_, .Lfunc_end1535-_ZN7rocprim17ROCPRIM_400000_NS6detail17trampoline_kernelINS0_14default_configENS1_36segmented_radix_sort_config_selectorIblEEZNS1_25segmented_radix_sort_implIS3_Lb1EPKbPbPKlPlN2at6native12_GLOBAL__N_18offset_tEEE10hipError_tPvRmT1_PNSt15iterator_traitsISK_E10value_typeET2_T3_PNSL_ISQ_E10value_typeET4_jRbjT5_SW_jjP12ihipStream_tbEUlT_E0_NS1_11comp_targetILNS1_3genE5ELNS1_11target_archE942ELNS1_3gpuE9ELNS1_3repE0EEENS1_60segmented_radix_sort_warp_sort_medium_config_static_selectorELNS0_4arch9wavefront6targetE0EEEvSK_
                                        ; -- End function
	.set _ZN7rocprim17ROCPRIM_400000_NS6detail17trampoline_kernelINS0_14default_configENS1_36segmented_radix_sort_config_selectorIblEEZNS1_25segmented_radix_sort_implIS3_Lb1EPKbPbPKlPlN2at6native12_GLOBAL__N_18offset_tEEE10hipError_tPvRmT1_PNSt15iterator_traitsISK_E10value_typeET2_T3_PNSL_ISQ_E10value_typeET4_jRbjT5_SW_jjP12ihipStream_tbEUlT_E0_NS1_11comp_targetILNS1_3genE5ELNS1_11target_archE942ELNS1_3gpuE9ELNS1_3repE0EEENS1_60segmented_radix_sort_warp_sort_medium_config_static_selectorELNS0_4arch9wavefront6targetE0EEEvSK_.num_vgpr, 0
	.set _ZN7rocprim17ROCPRIM_400000_NS6detail17trampoline_kernelINS0_14default_configENS1_36segmented_radix_sort_config_selectorIblEEZNS1_25segmented_radix_sort_implIS3_Lb1EPKbPbPKlPlN2at6native12_GLOBAL__N_18offset_tEEE10hipError_tPvRmT1_PNSt15iterator_traitsISK_E10value_typeET2_T3_PNSL_ISQ_E10value_typeET4_jRbjT5_SW_jjP12ihipStream_tbEUlT_E0_NS1_11comp_targetILNS1_3genE5ELNS1_11target_archE942ELNS1_3gpuE9ELNS1_3repE0EEENS1_60segmented_radix_sort_warp_sort_medium_config_static_selectorELNS0_4arch9wavefront6targetE0EEEvSK_.num_agpr, 0
	.set _ZN7rocprim17ROCPRIM_400000_NS6detail17trampoline_kernelINS0_14default_configENS1_36segmented_radix_sort_config_selectorIblEEZNS1_25segmented_radix_sort_implIS3_Lb1EPKbPbPKlPlN2at6native12_GLOBAL__N_18offset_tEEE10hipError_tPvRmT1_PNSt15iterator_traitsISK_E10value_typeET2_T3_PNSL_ISQ_E10value_typeET4_jRbjT5_SW_jjP12ihipStream_tbEUlT_E0_NS1_11comp_targetILNS1_3genE5ELNS1_11target_archE942ELNS1_3gpuE9ELNS1_3repE0EEENS1_60segmented_radix_sort_warp_sort_medium_config_static_selectorELNS0_4arch9wavefront6targetE0EEEvSK_.numbered_sgpr, 0
	.set _ZN7rocprim17ROCPRIM_400000_NS6detail17trampoline_kernelINS0_14default_configENS1_36segmented_radix_sort_config_selectorIblEEZNS1_25segmented_radix_sort_implIS3_Lb1EPKbPbPKlPlN2at6native12_GLOBAL__N_18offset_tEEE10hipError_tPvRmT1_PNSt15iterator_traitsISK_E10value_typeET2_T3_PNSL_ISQ_E10value_typeET4_jRbjT5_SW_jjP12ihipStream_tbEUlT_E0_NS1_11comp_targetILNS1_3genE5ELNS1_11target_archE942ELNS1_3gpuE9ELNS1_3repE0EEENS1_60segmented_radix_sort_warp_sort_medium_config_static_selectorELNS0_4arch9wavefront6targetE0EEEvSK_.num_named_barrier, 0
	.set _ZN7rocprim17ROCPRIM_400000_NS6detail17trampoline_kernelINS0_14default_configENS1_36segmented_radix_sort_config_selectorIblEEZNS1_25segmented_radix_sort_implIS3_Lb1EPKbPbPKlPlN2at6native12_GLOBAL__N_18offset_tEEE10hipError_tPvRmT1_PNSt15iterator_traitsISK_E10value_typeET2_T3_PNSL_ISQ_E10value_typeET4_jRbjT5_SW_jjP12ihipStream_tbEUlT_E0_NS1_11comp_targetILNS1_3genE5ELNS1_11target_archE942ELNS1_3gpuE9ELNS1_3repE0EEENS1_60segmented_radix_sort_warp_sort_medium_config_static_selectorELNS0_4arch9wavefront6targetE0EEEvSK_.private_seg_size, 0
	.set _ZN7rocprim17ROCPRIM_400000_NS6detail17trampoline_kernelINS0_14default_configENS1_36segmented_radix_sort_config_selectorIblEEZNS1_25segmented_radix_sort_implIS3_Lb1EPKbPbPKlPlN2at6native12_GLOBAL__N_18offset_tEEE10hipError_tPvRmT1_PNSt15iterator_traitsISK_E10value_typeET2_T3_PNSL_ISQ_E10value_typeET4_jRbjT5_SW_jjP12ihipStream_tbEUlT_E0_NS1_11comp_targetILNS1_3genE5ELNS1_11target_archE942ELNS1_3gpuE9ELNS1_3repE0EEENS1_60segmented_radix_sort_warp_sort_medium_config_static_selectorELNS0_4arch9wavefront6targetE0EEEvSK_.uses_vcc, 0
	.set _ZN7rocprim17ROCPRIM_400000_NS6detail17trampoline_kernelINS0_14default_configENS1_36segmented_radix_sort_config_selectorIblEEZNS1_25segmented_radix_sort_implIS3_Lb1EPKbPbPKlPlN2at6native12_GLOBAL__N_18offset_tEEE10hipError_tPvRmT1_PNSt15iterator_traitsISK_E10value_typeET2_T3_PNSL_ISQ_E10value_typeET4_jRbjT5_SW_jjP12ihipStream_tbEUlT_E0_NS1_11comp_targetILNS1_3genE5ELNS1_11target_archE942ELNS1_3gpuE9ELNS1_3repE0EEENS1_60segmented_radix_sort_warp_sort_medium_config_static_selectorELNS0_4arch9wavefront6targetE0EEEvSK_.uses_flat_scratch, 0
	.set _ZN7rocprim17ROCPRIM_400000_NS6detail17trampoline_kernelINS0_14default_configENS1_36segmented_radix_sort_config_selectorIblEEZNS1_25segmented_radix_sort_implIS3_Lb1EPKbPbPKlPlN2at6native12_GLOBAL__N_18offset_tEEE10hipError_tPvRmT1_PNSt15iterator_traitsISK_E10value_typeET2_T3_PNSL_ISQ_E10value_typeET4_jRbjT5_SW_jjP12ihipStream_tbEUlT_E0_NS1_11comp_targetILNS1_3genE5ELNS1_11target_archE942ELNS1_3gpuE9ELNS1_3repE0EEENS1_60segmented_radix_sort_warp_sort_medium_config_static_selectorELNS0_4arch9wavefront6targetE0EEEvSK_.has_dyn_sized_stack, 0
	.set _ZN7rocprim17ROCPRIM_400000_NS6detail17trampoline_kernelINS0_14default_configENS1_36segmented_radix_sort_config_selectorIblEEZNS1_25segmented_radix_sort_implIS3_Lb1EPKbPbPKlPlN2at6native12_GLOBAL__N_18offset_tEEE10hipError_tPvRmT1_PNSt15iterator_traitsISK_E10value_typeET2_T3_PNSL_ISQ_E10value_typeET4_jRbjT5_SW_jjP12ihipStream_tbEUlT_E0_NS1_11comp_targetILNS1_3genE5ELNS1_11target_archE942ELNS1_3gpuE9ELNS1_3repE0EEENS1_60segmented_radix_sort_warp_sort_medium_config_static_selectorELNS0_4arch9wavefront6targetE0EEEvSK_.has_recursion, 0
	.set _ZN7rocprim17ROCPRIM_400000_NS6detail17trampoline_kernelINS0_14default_configENS1_36segmented_radix_sort_config_selectorIblEEZNS1_25segmented_radix_sort_implIS3_Lb1EPKbPbPKlPlN2at6native12_GLOBAL__N_18offset_tEEE10hipError_tPvRmT1_PNSt15iterator_traitsISK_E10value_typeET2_T3_PNSL_ISQ_E10value_typeET4_jRbjT5_SW_jjP12ihipStream_tbEUlT_E0_NS1_11comp_targetILNS1_3genE5ELNS1_11target_archE942ELNS1_3gpuE9ELNS1_3repE0EEENS1_60segmented_radix_sort_warp_sort_medium_config_static_selectorELNS0_4arch9wavefront6targetE0EEEvSK_.has_indirect_call, 0
	.section	.AMDGPU.csdata,"",@progbits
; Kernel info:
; codeLenInByte = 0
; TotalNumSgprs: 0
; NumVgprs: 0
; ScratchSize: 0
; MemoryBound: 0
; FloatMode: 240
; IeeeMode: 1
; LDSByteSize: 0 bytes/workgroup (compile time only)
; SGPRBlocks: 0
; VGPRBlocks: 0
; NumSGPRsForWavesPerEU: 1
; NumVGPRsForWavesPerEU: 1
; Occupancy: 16
; WaveLimiterHint : 0
; COMPUTE_PGM_RSRC2:SCRATCH_EN: 0
; COMPUTE_PGM_RSRC2:USER_SGPR: 6
; COMPUTE_PGM_RSRC2:TRAP_HANDLER: 0
; COMPUTE_PGM_RSRC2:TGID_X_EN: 1
; COMPUTE_PGM_RSRC2:TGID_Y_EN: 0
; COMPUTE_PGM_RSRC2:TGID_Z_EN: 0
; COMPUTE_PGM_RSRC2:TIDIG_COMP_CNT: 0
	.section	.text._ZN7rocprim17ROCPRIM_400000_NS6detail17trampoline_kernelINS0_14default_configENS1_36segmented_radix_sort_config_selectorIblEEZNS1_25segmented_radix_sort_implIS3_Lb1EPKbPbPKlPlN2at6native12_GLOBAL__N_18offset_tEEE10hipError_tPvRmT1_PNSt15iterator_traitsISK_E10value_typeET2_T3_PNSL_ISQ_E10value_typeET4_jRbjT5_SW_jjP12ihipStream_tbEUlT_E0_NS1_11comp_targetILNS1_3genE4ELNS1_11target_archE910ELNS1_3gpuE8ELNS1_3repE0EEENS1_60segmented_radix_sort_warp_sort_medium_config_static_selectorELNS0_4arch9wavefront6targetE0EEEvSK_,"axG",@progbits,_ZN7rocprim17ROCPRIM_400000_NS6detail17trampoline_kernelINS0_14default_configENS1_36segmented_radix_sort_config_selectorIblEEZNS1_25segmented_radix_sort_implIS3_Lb1EPKbPbPKlPlN2at6native12_GLOBAL__N_18offset_tEEE10hipError_tPvRmT1_PNSt15iterator_traitsISK_E10value_typeET2_T3_PNSL_ISQ_E10value_typeET4_jRbjT5_SW_jjP12ihipStream_tbEUlT_E0_NS1_11comp_targetILNS1_3genE4ELNS1_11target_archE910ELNS1_3gpuE8ELNS1_3repE0EEENS1_60segmented_radix_sort_warp_sort_medium_config_static_selectorELNS0_4arch9wavefront6targetE0EEEvSK_,comdat
	.globl	_ZN7rocprim17ROCPRIM_400000_NS6detail17trampoline_kernelINS0_14default_configENS1_36segmented_radix_sort_config_selectorIblEEZNS1_25segmented_radix_sort_implIS3_Lb1EPKbPbPKlPlN2at6native12_GLOBAL__N_18offset_tEEE10hipError_tPvRmT1_PNSt15iterator_traitsISK_E10value_typeET2_T3_PNSL_ISQ_E10value_typeET4_jRbjT5_SW_jjP12ihipStream_tbEUlT_E0_NS1_11comp_targetILNS1_3genE4ELNS1_11target_archE910ELNS1_3gpuE8ELNS1_3repE0EEENS1_60segmented_radix_sort_warp_sort_medium_config_static_selectorELNS0_4arch9wavefront6targetE0EEEvSK_ ; -- Begin function _ZN7rocprim17ROCPRIM_400000_NS6detail17trampoline_kernelINS0_14default_configENS1_36segmented_radix_sort_config_selectorIblEEZNS1_25segmented_radix_sort_implIS3_Lb1EPKbPbPKlPlN2at6native12_GLOBAL__N_18offset_tEEE10hipError_tPvRmT1_PNSt15iterator_traitsISK_E10value_typeET2_T3_PNSL_ISQ_E10value_typeET4_jRbjT5_SW_jjP12ihipStream_tbEUlT_E0_NS1_11comp_targetILNS1_3genE4ELNS1_11target_archE910ELNS1_3gpuE8ELNS1_3repE0EEENS1_60segmented_radix_sort_warp_sort_medium_config_static_selectorELNS0_4arch9wavefront6targetE0EEEvSK_
	.p2align	8
	.type	_ZN7rocprim17ROCPRIM_400000_NS6detail17trampoline_kernelINS0_14default_configENS1_36segmented_radix_sort_config_selectorIblEEZNS1_25segmented_radix_sort_implIS3_Lb1EPKbPbPKlPlN2at6native12_GLOBAL__N_18offset_tEEE10hipError_tPvRmT1_PNSt15iterator_traitsISK_E10value_typeET2_T3_PNSL_ISQ_E10value_typeET4_jRbjT5_SW_jjP12ihipStream_tbEUlT_E0_NS1_11comp_targetILNS1_3genE4ELNS1_11target_archE910ELNS1_3gpuE8ELNS1_3repE0EEENS1_60segmented_radix_sort_warp_sort_medium_config_static_selectorELNS0_4arch9wavefront6targetE0EEEvSK_,@function
_ZN7rocprim17ROCPRIM_400000_NS6detail17trampoline_kernelINS0_14default_configENS1_36segmented_radix_sort_config_selectorIblEEZNS1_25segmented_radix_sort_implIS3_Lb1EPKbPbPKlPlN2at6native12_GLOBAL__N_18offset_tEEE10hipError_tPvRmT1_PNSt15iterator_traitsISK_E10value_typeET2_T3_PNSL_ISQ_E10value_typeET4_jRbjT5_SW_jjP12ihipStream_tbEUlT_E0_NS1_11comp_targetILNS1_3genE4ELNS1_11target_archE910ELNS1_3gpuE8ELNS1_3repE0EEENS1_60segmented_radix_sort_warp_sort_medium_config_static_selectorELNS0_4arch9wavefront6targetE0EEEvSK_: ; @_ZN7rocprim17ROCPRIM_400000_NS6detail17trampoline_kernelINS0_14default_configENS1_36segmented_radix_sort_config_selectorIblEEZNS1_25segmented_radix_sort_implIS3_Lb1EPKbPbPKlPlN2at6native12_GLOBAL__N_18offset_tEEE10hipError_tPvRmT1_PNSt15iterator_traitsISK_E10value_typeET2_T3_PNSL_ISQ_E10value_typeET4_jRbjT5_SW_jjP12ihipStream_tbEUlT_E0_NS1_11comp_targetILNS1_3genE4ELNS1_11target_archE910ELNS1_3gpuE8ELNS1_3repE0EEENS1_60segmented_radix_sort_warp_sort_medium_config_static_selectorELNS0_4arch9wavefront6targetE0EEEvSK_
; %bb.0:
	.section	.rodata,"a",@progbits
	.p2align	6, 0x0
	.amdhsa_kernel _ZN7rocprim17ROCPRIM_400000_NS6detail17trampoline_kernelINS0_14default_configENS1_36segmented_radix_sort_config_selectorIblEEZNS1_25segmented_radix_sort_implIS3_Lb1EPKbPbPKlPlN2at6native12_GLOBAL__N_18offset_tEEE10hipError_tPvRmT1_PNSt15iterator_traitsISK_E10value_typeET2_T3_PNSL_ISQ_E10value_typeET4_jRbjT5_SW_jjP12ihipStream_tbEUlT_E0_NS1_11comp_targetILNS1_3genE4ELNS1_11target_archE910ELNS1_3gpuE8ELNS1_3repE0EEENS1_60segmented_radix_sort_warp_sort_medium_config_static_selectorELNS0_4arch9wavefront6targetE0EEEvSK_
		.amdhsa_group_segment_fixed_size 0
		.amdhsa_private_segment_fixed_size 0
		.amdhsa_kernarg_size 88
		.amdhsa_user_sgpr_count 6
		.amdhsa_user_sgpr_private_segment_buffer 1
		.amdhsa_user_sgpr_dispatch_ptr 0
		.amdhsa_user_sgpr_queue_ptr 0
		.amdhsa_user_sgpr_kernarg_segment_ptr 1
		.amdhsa_user_sgpr_dispatch_id 0
		.amdhsa_user_sgpr_flat_scratch_init 0
		.amdhsa_user_sgpr_private_segment_size 0
		.amdhsa_wavefront_size32 1
		.amdhsa_uses_dynamic_stack 0
		.amdhsa_system_sgpr_private_segment_wavefront_offset 0
		.amdhsa_system_sgpr_workgroup_id_x 1
		.amdhsa_system_sgpr_workgroup_id_y 0
		.amdhsa_system_sgpr_workgroup_id_z 0
		.amdhsa_system_sgpr_workgroup_info 0
		.amdhsa_system_vgpr_workitem_id 0
		.amdhsa_next_free_vgpr 1
		.amdhsa_next_free_sgpr 1
		.amdhsa_reserve_vcc 0
		.amdhsa_reserve_flat_scratch 0
		.amdhsa_float_round_mode_32 0
		.amdhsa_float_round_mode_16_64 0
		.amdhsa_float_denorm_mode_32 3
		.amdhsa_float_denorm_mode_16_64 3
		.amdhsa_dx10_clamp 1
		.amdhsa_ieee_mode 1
		.amdhsa_fp16_overflow 0
		.amdhsa_workgroup_processor_mode 1
		.amdhsa_memory_ordered 1
		.amdhsa_forward_progress 1
		.amdhsa_shared_vgpr_count 0
		.amdhsa_exception_fp_ieee_invalid_op 0
		.amdhsa_exception_fp_denorm_src 0
		.amdhsa_exception_fp_ieee_div_zero 0
		.amdhsa_exception_fp_ieee_overflow 0
		.amdhsa_exception_fp_ieee_underflow 0
		.amdhsa_exception_fp_ieee_inexact 0
		.amdhsa_exception_int_div_zero 0
	.end_amdhsa_kernel
	.section	.text._ZN7rocprim17ROCPRIM_400000_NS6detail17trampoline_kernelINS0_14default_configENS1_36segmented_radix_sort_config_selectorIblEEZNS1_25segmented_radix_sort_implIS3_Lb1EPKbPbPKlPlN2at6native12_GLOBAL__N_18offset_tEEE10hipError_tPvRmT1_PNSt15iterator_traitsISK_E10value_typeET2_T3_PNSL_ISQ_E10value_typeET4_jRbjT5_SW_jjP12ihipStream_tbEUlT_E0_NS1_11comp_targetILNS1_3genE4ELNS1_11target_archE910ELNS1_3gpuE8ELNS1_3repE0EEENS1_60segmented_radix_sort_warp_sort_medium_config_static_selectorELNS0_4arch9wavefront6targetE0EEEvSK_,"axG",@progbits,_ZN7rocprim17ROCPRIM_400000_NS6detail17trampoline_kernelINS0_14default_configENS1_36segmented_radix_sort_config_selectorIblEEZNS1_25segmented_radix_sort_implIS3_Lb1EPKbPbPKlPlN2at6native12_GLOBAL__N_18offset_tEEE10hipError_tPvRmT1_PNSt15iterator_traitsISK_E10value_typeET2_T3_PNSL_ISQ_E10value_typeET4_jRbjT5_SW_jjP12ihipStream_tbEUlT_E0_NS1_11comp_targetILNS1_3genE4ELNS1_11target_archE910ELNS1_3gpuE8ELNS1_3repE0EEENS1_60segmented_radix_sort_warp_sort_medium_config_static_selectorELNS0_4arch9wavefront6targetE0EEEvSK_,comdat
.Lfunc_end1536:
	.size	_ZN7rocprim17ROCPRIM_400000_NS6detail17trampoline_kernelINS0_14default_configENS1_36segmented_radix_sort_config_selectorIblEEZNS1_25segmented_radix_sort_implIS3_Lb1EPKbPbPKlPlN2at6native12_GLOBAL__N_18offset_tEEE10hipError_tPvRmT1_PNSt15iterator_traitsISK_E10value_typeET2_T3_PNSL_ISQ_E10value_typeET4_jRbjT5_SW_jjP12ihipStream_tbEUlT_E0_NS1_11comp_targetILNS1_3genE4ELNS1_11target_archE910ELNS1_3gpuE8ELNS1_3repE0EEENS1_60segmented_radix_sort_warp_sort_medium_config_static_selectorELNS0_4arch9wavefront6targetE0EEEvSK_, .Lfunc_end1536-_ZN7rocprim17ROCPRIM_400000_NS6detail17trampoline_kernelINS0_14default_configENS1_36segmented_radix_sort_config_selectorIblEEZNS1_25segmented_radix_sort_implIS3_Lb1EPKbPbPKlPlN2at6native12_GLOBAL__N_18offset_tEEE10hipError_tPvRmT1_PNSt15iterator_traitsISK_E10value_typeET2_T3_PNSL_ISQ_E10value_typeET4_jRbjT5_SW_jjP12ihipStream_tbEUlT_E0_NS1_11comp_targetILNS1_3genE4ELNS1_11target_archE910ELNS1_3gpuE8ELNS1_3repE0EEENS1_60segmented_radix_sort_warp_sort_medium_config_static_selectorELNS0_4arch9wavefront6targetE0EEEvSK_
                                        ; -- End function
	.set _ZN7rocprim17ROCPRIM_400000_NS6detail17trampoline_kernelINS0_14default_configENS1_36segmented_radix_sort_config_selectorIblEEZNS1_25segmented_radix_sort_implIS3_Lb1EPKbPbPKlPlN2at6native12_GLOBAL__N_18offset_tEEE10hipError_tPvRmT1_PNSt15iterator_traitsISK_E10value_typeET2_T3_PNSL_ISQ_E10value_typeET4_jRbjT5_SW_jjP12ihipStream_tbEUlT_E0_NS1_11comp_targetILNS1_3genE4ELNS1_11target_archE910ELNS1_3gpuE8ELNS1_3repE0EEENS1_60segmented_radix_sort_warp_sort_medium_config_static_selectorELNS0_4arch9wavefront6targetE0EEEvSK_.num_vgpr, 0
	.set _ZN7rocprim17ROCPRIM_400000_NS6detail17trampoline_kernelINS0_14default_configENS1_36segmented_radix_sort_config_selectorIblEEZNS1_25segmented_radix_sort_implIS3_Lb1EPKbPbPKlPlN2at6native12_GLOBAL__N_18offset_tEEE10hipError_tPvRmT1_PNSt15iterator_traitsISK_E10value_typeET2_T3_PNSL_ISQ_E10value_typeET4_jRbjT5_SW_jjP12ihipStream_tbEUlT_E0_NS1_11comp_targetILNS1_3genE4ELNS1_11target_archE910ELNS1_3gpuE8ELNS1_3repE0EEENS1_60segmented_radix_sort_warp_sort_medium_config_static_selectorELNS0_4arch9wavefront6targetE0EEEvSK_.num_agpr, 0
	.set _ZN7rocprim17ROCPRIM_400000_NS6detail17trampoline_kernelINS0_14default_configENS1_36segmented_radix_sort_config_selectorIblEEZNS1_25segmented_radix_sort_implIS3_Lb1EPKbPbPKlPlN2at6native12_GLOBAL__N_18offset_tEEE10hipError_tPvRmT1_PNSt15iterator_traitsISK_E10value_typeET2_T3_PNSL_ISQ_E10value_typeET4_jRbjT5_SW_jjP12ihipStream_tbEUlT_E0_NS1_11comp_targetILNS1_3genE4ELNS1_11target_archE910ELNS1_3gpuE8ELNS1_3repE0EEENS1_60segmented_radix_sort_warp_sort_medium_config_static_selectorELNS0_4arch9wavefront6targetE0EEEvSK_.numbered_sgpr, 0
	.set _ZN7rocprim17ROCPRIM_400000_NS6detail17trampoline_kernelINS0_14default_configENS1_36segmented_radix_sort_config_selectorIblEEZNS1_25segmented_radix_sort_implIS3_Lb1EPKbPbPKlPlN2at6native12_GLOBAL__N_18offset_tEEE10hipError_tPvRmT1_PNSt15iterator_traitsISK_E10value_typeET2_T3_PNSL_ISQ_E10value_typeET4_jRbjT5_SW_jjP12ihipStream_tbEUlT_E0_NS1_11comp_targetILNS1_3genE4ELNS1_11target_archE910ELNS1_3gpuE8ELNS1_3repE0EEENS1_60segmented_radix_sort_warp_sort_medium_config_static_selectorELNS0_4arch9wavefront6targetE0EEEvSK_.num_named_barrier, 0
	.set _ZN7rocprim17ROCPRIM_400000_NS6detail17trampoline_kernelINS0_14default_configENS1_36segmented_radix_sort_config_selectorIblEEZNS1_25segmented_radix_sort_implIS3_Lb1EPKbPbPKlPlN2at6native12_GLOBAL__N_18offset_tEEE10hipError_tPvRmT1_PNSt15iterator_traitsISK_E10value_typeET2_T3_PNSL_ISQ_E10value_typeET4_jRbjT5_SW_jjP12ihipStream_tbEUlT_E0_NS1_11comp_targetILNS1_3genE4ELNS1_11target_archE910ELNS1_3gpuE8ELNS1_3repE0EEENS1_60segmented_radix_sort_warp_sort_medium_config_static_selectorELNS0_4arch9wavefront6targetE0EEEvSK_.private_seg_size, 0
	.set _ZN7rocprim17ROCPRIM_400000_NS6detail17trampoline_kernelINS0_14default_configENS1_36segmented_radix_sort_config_selectorIblEEZNS1_25segmented_radix_sort_implIS3_Lb1EPKbPbPKlPlN2at6native12_GLOBAL__N_18offset_tEEE10hipError_tPvRmT1_PNSt15iterator_traitsISK_E10value_typeET2_T3_PNSL_ISQ_E10value_typeET4_jRbjT5_SW_jjP12ihipStream_tbEUlT_E0_NS1_11comp_targetILNS1_3genE4ELNS1_11target_archE910ELNS1_3gpuE8ELNS1_3repE0EEENS1_60segmented_radix_sort_warp_sort_medium_config_static_selectorELNS0_4arch9wavefront6targetE0EEEvSK_.uses_vcc, 0
	.set _ZN7rocprim17ROCPRIM_400000_NS6detail17trampoline_kernelINS0_14default_configENS1_36segmented_radix_sort_config_selectorIblEEZNS1_25segmented_radix_sort_implIS3_Lb1EPKbPbPKlPlN2at6native12_GLOBAL__N_18offset_tEEE10hipError_tPvRmT1_PNSt15iterator_traitsISK_E10value_typeET2_T3_PNSL_ISQ_E10value_typeET4_jRbjT5_SW_jjP12ihipStream_tbEUlT_E0_NS1_11comp_targetILNS1_3genE4ELNS1_11target_archE910ELNS1_3gpuE8ELNS1_3repE0EEENS1_60segmented_radix_sort_warp_sort_medium_config_static_selectorELNS0_4arch9wavefront6targetE0EEEvSK_.uses_flat_scratch, 0
	.set _ZN7rocprim17ROCPRIM_400000_NS6detail17trampoline_kernelINS0_14default_configENS1_36segmented_radix_sort_config_selectorIblEEZNS1_25segmented_radix_sort_implIS3_Lb1EPKbPbPKlPlN2at6native12_GLOBAL__N_18offset_tEEE10hipError_tPvRmT1_PNSt15iterator_traitsISK_E10value_typeET2_T3_PNSL_ISQ_E10value_typeET4_jRbjT5_SW_jjP12ihipStream_tbEUlT_E0_NS1_11comp_targetILNS1_3genE4ELNS1_11target_archE910ELNS1_3gpuE8ELNS1_3repE0EEENS1_60segmented_radix_sort_warp_sort_medium_config_static_selectorELNS0_4arch9wavefront6targetE0EEEvSK_.has_dyn_sized_stack, 0
	.set _ZN7rocprim17ROCPRIM_400000_NS6detail17trampoline_kernelINS0_14default_configENS1_36segmented_radix_sort_config_selectorIblEEZNS1_25segmented_radix_sort_implIS3_Lb1EPKbPbPKlPlN2at6native12_GLOBAL__N_18offset_tEEE10hipError_tPvRmT1_PNSt15iterator_traitsISK_E10value_typeET2_T3_PNSL_ISQ_E10value_typeET4_jRbjT5_SW_jjP12ihipStream_tbEUlT_E0_NS1_11comp_targetILNS1_3genE4ELNS1_11target_archE910ELNS1_3gpuE8ELNS1_3repE0EEENS1_60segmented_radix_sort_warp_sort_medium_config_static_selectorELNS0_4arch9wavefront6targetE0EEEvSK_.has_recursion, 0
	.set _ZN7rocprim17ROCPRIM_400000_NS6detail17trampoline_kernelINS0_14default_configENS1_36segmented_radix_sort_config_selectorIblEEZNS1_25segmented_radix_sort_implIS3_Lb1EPKbPbPKlPlN2at6native12_GLOBAL__N_18offset_tEEE10hipError_tPvRmT1_PNSt15iterator_traitsISK_E10value_typeET2_T3_PNSL_ISQ_E10value_typeET4_jRbjT5_SW_jjP12ihipStream_tbEUlT_E0_NS1_11comp_targetILNS1_3genE4ELNS1_11target_archE910ELNS1_3gpuE8ELNS1_3repE0EEENS1_60segmented_radix_sort_warp_sort_medium_config_static_selectorELNS0_4arch9wavefront6targetE0EEEvSK_.has_indirect_call, 0
	.section	.AMDGPU.csdata,"",@progbits
; Kernel info:
; codeLenInByte = 0
; TotalNumSgprs: 0
; NumVgprs: 0
; ScratchSize: 0
; MemoryBound: 0
; FloatMode: 240
; IeeeMode: 1
; LDSByteSize: 0 bytes/workgroup (compile time only)
; SGPRBlocks: 0
; VGPRBlocks: 0
; NumSGPRsForWavesPerEU: 1
; NumVGPRsForWavesPerEU: 1
; Occupancy: 16
; WaveLimiterHint : 0
; COMPUTE_PGM_RSRC2:SCRATCH_EN: 0
; COMPUTE_PGM_RSRC2:USER_SGPR: 6
; COMPUTE_PGM_RSRC2:TRAP_HANDLER: 0
; COMPUTE_PGM_RSRC2:TGID_X_EN: 1
; COMPUTE_PGM_RSRC2:TGID_Y_EN: 0
; COMPUTE_PGM_RSRC2:TGID_Z_EN: 0
; COMPUTE_PGM_RSRC2:TIDIG_COMP_CNT: 0
	.section	.text._ZN7rocprim17ROCPRIM_400000_NS6detail17trampoline_kernelINS0_14default_configENS1_36segmented_radix_sort_config_selectorIblEEZNS1_25segmented_radix_sort_implIS3_Lb1EPKbPbPKlPlN2at6native12_GLOBAL__N_18offset_tEEE10hipError_tPvRmT1_PNSt15iterator_traitsISK_E10value_typeET2_T3_PNSL_ISQ_E10value_typeET4_jRbjT5_SW_jjP12ihipStream_tbEUlT_E0_NS1_11comp_targetILNS1_3genE3ELNS1_11target_archE908ELNS1_3gpuE7ELNS1_3repE0EEENS1_60segmented_radix_sort_warp_sort_medium_config_static_selectorELNS0_4arch9wavefront6targetE0EEEvSK_,"axG",@progbits,_ZN7rocprim17ROCPRIM_400000_NS6detail17trampoline_kernelINS0_14default_configENS1_36segmented_radix_sort_config_selectorIblEEZNS1_25segmented_radix_sort_implIS3_Lb1EPKbPbPKlPlN2at6native12_GLOBAL__N_18offset_tEEE10hipError_tPvRmT1_PNSt15iterator_traitsISK_E10value_typeET2_T3_PNSL_ISQ_E10value_typeET4_jRbjT5_SW_jjP12ihipStream_tbEUlT_E0_NS1_11comp_targetILNS1_3genE3ELNS1_11target_archE908ELNS1_3gpuE7ELNS1_3repE0EEENS1_60segmented_radix_sort_warp_sort_medium_config_static_selectorELNS0_4arch9wavefront6targetE0EEEvSK_,comdat
	.globl	_ZN7rocprim17ROCPRIM_400000_NS6detail17trampoline_kernelINS0_14default_configENS1_36segmented_radix_sort_config_selectorIblEEZNS1_25segmented_radix_sort_implIS3_Lb1EPKbPbPKlPlN2at6native12_GLOBAL__N_18offset_tEEE10hipError_tPvRmT1_PNSt15iterator_traitsISK_E10value_typeET2_T3_PNSL_ISQ_E10value_typeET4_jRbjT5_SW_jjP12ihipStream_tbEUlT_E0_NS1_11comp_targetILNS1_3genE3ELNS1_11target_archE908ELNS1_3gpuE7ELNS1_3repE0EEENS1_60segmented_radix_sort_warp_sort_medium_config_static_selectorELNS0_4arch9wavefront6targetE0EEEvSK_ ; -- Begin function _ZN7rocprim17ROCPRIM_400000_NS6detail17trampoline_kernelINS0_14default_configENS1_36segmented_radix_sort_config_selectorIblEEZNS1_25segmented_radix_sort_implIS3_Lb1EPKbPbPKlPlN2at6native12_GLOBAL__N_18offset_tEEE10hipError_tPvRmT1_PNSt15iterator_traitsISK_E10value_typeET2_T3_PNSL_ISQ_E10value_typeET4_jRbjT5_SW_jjP12ihipStream_tbEUlT_E0_NS1_11comp_targetILNS1_3genE3ELNS1_11target_archE908ELNS1_3gpuE7ELNS1_3repE0EEENS1_60segmented_radix_sort_warp_sort_medium_config_static_selectorELNS0_4arch9wavefront6targetE0EEEvSK_
	.p2align	8
	.type	_ZN7rocprim17ROCPRIM_400000_NS6detail17trampoline_kernelINS0_14default_configENS1_36segmented_radix_sort_config_selectorIblEEZNS1_25segmented_radix_sort_implIS3_Lb1EPKbPbPKlPlN2at6native12_GLOBAL__N_18offset_tEEE10hipError_tPvRmT1_PNSt15iterator_traitsISK_E10value_typeET2_T3_PNSL_ISQ_E10value_typeET4_jRbjT5_SW_jjP12ihipStream_tbEUlT_E0_NS1_11comp_targetILNS1_3genE3ELNS1_11target_archE908ELNS1_3gpuE7ELNS1_3repE0EEENS1_60segmented_radix_sort_warp_sort_medium_config_static_selectorELNS0_4arch9wavefront6targetE0EEEvSK_,@function
_ZN7rocprim17ROCPRIM_400000_NS6detail17trampoline_kernelINS0_14default_configENS1_36segmented_radix_sort_config_selectorIblEEZNS1_25segmented_radix_sort_implIS3_Lb1EPKbPbPKlPlN2at6native12_GLOBAL__N_18offset_tEEE10hipError_tPvRmT1_PNSt15iterator_traitsISK_E10value_typeET2_T3_PNSL_ISQ_E10value_typeET4_jRbjT5_SW_jjP12ihipStream_tbEUlT_E0_NS1_11comp_targetILNS1_3genE3ELNS1_11target_archE908ELNS1_3gpuE7ELNS1_3repE0EEENS1_60segmented_radix_sort_warp_sort_medium_config_static_selectorELNS0_4arch9wavefront6targetE0EEEvSK_: ; @_ZN7rocprim17ROCPRIM_400000_NS6detail17trampoline_kernelINS0_14default_configENS1_36segmented_radix_sort_config_selectorIblEEZNS1_25segmented_radix_sort_implIS3_Lb1EPKbPbPKlPlN2at6native12_GLOBAL__N_18offset_tEEE10hipError_tPvRmT1_PNSt15iterator_traitsISK_E10value_typeET2_T3_PNSL_ISQ_E10value_typeET4_jRbjT5_SW_jjP12ihipStream_tbEUlT_E0_NS1_11comp_targetILNS1_3genE3ELNS1_11target_archE908ELNS1_3gpuE7ELNS1_3repE0EEENS1_60segmented_radix_sort_warp_sort_medium_config_static_selectorELNS0_4arch9wavefront6targetE0EEEvSK_
; %bb.0:
	.section	.rodata,"a",@progbits
	.p2align	6, 0x0
	.amdhsa_kernel _ZN7rocprim17ROCPRIM_400000_NS6detail17trampoline_kernelINS0_14default_configENS1_36segmented_radix_sort_config_selectorIblEEZNS1_25segmented_radix_sort_implIS3_Lb1EPKbPbPKlPlN2at6native12_GLOBAL__N_18offset_tEEE10hipError_tPvRmT1_PNSt15iterator_traitsISK_E10value_typeET2_T3_PNSL_ISQ_E10value_typeET4_jRbjT5_SW_jjP12ihipStream_tbEUlT_E0_NS1_11comp_targetILNS1_3genE3ELNS1_11target_archE908ELNS1_3gpuE7ELNS1_3repE0EEENS1_60segmented_radix_sort_warp_sort_medium_config_static_selectorELNS0_4arch9wavefront6targetE0EEEvSK_
		.amdhsa_group_segment_fixed_size 0
		.amdhsa_private_segment_fixed_size 0
		.amdhsa_kernarg_size 88
		.amdhsa_user_sgpr_count 6
		.amdhsa_user_sgpr_private_segment_buffer 1
		.amdhsa_user_sgpr_dispatch_ptr 0
		.amdhsa_user_sgpr_queue_ptr 0
		.amdhsa_user_sgpr_kernarg_segment_ptr 1
		.amdhsa_user_sgpr_dispatch_id 0
		.amdhsa_user_sgpr_flat_scratch_init 0
		.amdhsa_user_sgpr_private_segment_size 0
		.amdhsa_wavefront_size32 1
		.amdhsa_uses_dynamic_stack 0
		.amdhsa_system_sgpr_private_segment_wavefront_offset 0
		.amdhsa_system_sgpr_workgroup_id_x 1
		.amdhsa_system_sgpr_workgroup_id_y 0
		.amdhsa_system_sgpr_workgroup_id_z 0
		.amdhsa_system_sgpr_workgroup_info 0
		.amdhsa_system_vgpr_workitem_id 0
		.amdhsa_next_free_vgpr 1
		.amdhsa_next_free_sgpr 1
		.amdhsa_reserve_vcc 0
		.amdhsa_reserve_flat_scratch 0
		.amdhsa_float_round_mode_32 0
		.amdhsa_float_round_mode_16_64 0
		.amdhsa_float_denorm_mode_32 3
		.amdhsa_float_denorm_mode_16_64 3
		.amdhsa_dx10_clamp 1
		.amdhsa_ieee_mode 1
		.amdhsa_fp16_overflow 0
		.amdhsa_workgroup_processor_mode 1
		.amdhsa_memory_ordered 1
		.amdhsa_forward_progress 1
		.amdhsa_shared_vgpr_count 0
		.amdhsa_exception_fp_ieee_invalid_op 0
		.amdhsa_exception_fp_denorm_src 0
		.amdhsa_exception_fp_ieee_div_zero 0
		.amdhsa_exception_fp_ieee_overflow 0
		.amdhsa_exception_fp_ieee_underflow 0
		.amdhsa_exception_fp_ieee_inexact 0
		.amdhsa_exception_int_div_zero 0
	.end_amdhsa_kernel
	.section	.text._ZN7rocprim17ROCPRIM_400000_NS6detail17trampoline_kernelINS0_14default_configENS1_36segmented_radix_sort_config_selectorIblEEZNS1_25segmented_radix_sort_implIS3_Lb1EPKbPbPKlPlN2at6native12_GLOBAL__N_18offset_tEEE10hipError_tPvRmT1_PNSt15iterator_traitsISK_E10value_typeET2_T3_PNSL_ISQ_E10value_typeET4_jRbjT5_SW_jjP12ihipStream_tbEUlT_E0_NS1_11comp_targetILNS1_3genE3ELNS1_11target_archE908ELNS1_3gpuE7ELNS1_3repE0EEENS1_60segmented_radix_sort_warp_sort_medium_config_static_selectorELNS0_4arch9wavefront6targetE0EEEvSK_,"axG",@progbits,_ZN7rocprim17ROCPRIM_400000_NS6detail17trampoline_kernelINS0_14default_configENS1_36segmented_radix_sort_config_selectorIblEEZNS1_25segmented_radix_sort_implIS3_Lb1EPKbPbPKlPlN2at6native12_GLOBAL__N_18offset_tEEE10hipError_tPvRmT1_PNSt15iterator_traitsISK_E10value_typeET2_T3_PNSL_ISQ_E10value_typeET4_jRbjT5_SW_jjP12ihipStream_tbEUlT_E0_NS1_11comp_targetILNS1_3genE3ELNS1_11target_archE908ELNS1_3gpuE7ELNS1_3repE0EEENS1_60segmented_radix_sort_warp_sort_medium_config_static_selectorELNS0_4arch9wavefront6targetE0EEEvSK_,comdat
.Lfunc_end1537:
	.size	_ZN7rocprim17ROCPRIM_400000_NS6detail17trampoline_kernelINS0_14default_configENS1_36segmented_radix_sort_config_selectorIblEEZNS1_25segmented_radix_sort_implIS3_Lb1EPKbPbPKlPlN2at6native12_GLOBAL__N_18offset_tEEE10hipError_tPvRmT1_PNSt15iterator_traitsISK_E10value_typeET2_T3_PNSL_ISQ_E10value_typeET4_jRbjT5_SW_jjP12ihipStream_tbEUlT_E0_NS1_11comp_targetILNS1_3genE3ELNS1_11target_archE908ELNS1_3gpuE7ELNS1_3repE0EEENS1_60segmented_radix_sort_warp_sort_medium_config_static_selectorELNS0_4arch9wavefront6targetE0EEEvSK_, .Lfunc_end1537-_ZN7rocprim17ROCPRIM_400000_NS6detail17trampoline_kernelINS0_14default_configENS1_36segmented_radix_sort_config_selectorIblEEZNS1_25segmented_radix_sort_implIS3_Lb1EPKbPbPKlPlN2at6native12_GLOBAL__N_18offset_tEEE10hipError_tPvRmT1_PNSt15iterator_traitsISK_E10value_typeET2_T3_PNSL_ISQ_E10value_typeET4_jRbjT5_SW_jjP12ihipStream_tbEUlT_E0_NS1_11comp_targetILNS1_3genE3ELNS1_11target_archE908ELNS1_3gpuE7ELNS1_3repE0EEENS1_60segmented_radix_sort_warp_sort_medium_config_static_selectorELNS0_4arch9wavefront6targetE0EEEvSK_
                                        ; -- End function
	.set _ZN7rocprim17ROCPRIM_400000_NS6detail17trampoline_kernelINS0_14default_configENS1_36segmented_radix_sort_config_selectorIblEEZNS1_25segmented_radix_sort_implIS3_Lb1EPKbPbPKlPlN2at6native12_GLOBAL__N_18offset_tEEE10hipError_tPvRmT1_PNSt15iterator_traitsISK_E10value_typeET2_T3_PNSL_ISQ_E10value_typeET4_jRbjT5_SW_jjP12ihipStream_tbEUlT_E0_NS1_11comp_targetILNS1_3genE3ELNS1_11target_archE908ELNS1_3gpuE7ELNS1_3repE0EEENS1_60segmented_radix_sort_warp_sort_medium_config_static_selectorELNS0_4arch9wavefront6targetE0EEEvSK_.num_vgpr, 0
	.set _ZN7rocprim17ROCPRIM_400000_NS6detail17trampoline_kernelINS0_14default_configENS1_36segmented_radix_sort_config_selectorIblEEZNS1_25segmented_radix_sort_implIS3_Lb1EPKbPbPKlPlN2at6native12_GLOBAL__N_18offset_tEEE10hipError_tPvRmT1_PNSt15iterator_traitsISK_E10value_typeET2_T3_PNSL_ISQ_E10value_typeET4_jRbjT5_SW_jjP12ihipStream_tbEUlT_E0_NS1_11comp_targetILNS1_3genE3ELNS1_11target_archE908ELNS1_3gpuE7ELNS1_3repE0EEENS1_60segmented_radix_sort_warp_sort_medium_config_static_selectorELNS0_4arch9wavefront6targetE0EEEvSK_.num_agpr, 0
	.set _ZN7rocprim17ROCPRIM_400000_NS6detail17trampoline_kernelINS0_14default_configENS1_36segmented_radix_sort_config_selectorIblEEZNS1_25segmented_radix_sort_implIS3_Lb1EPKbPbPKlPlN2at6native12_GLOBAL__N_18offset_tEEE10hipError_tPvRmT1_PNSt15iterator_traitsISK_E10value_typeET2_T3_PNSL_ISQ_E10value_typeET4_jRbjT5_SW_jjP12ihipStream_tbEUlT_E0_NS1_11comp_targetILNS1_3genE3ELNS1_11target_archE908ELNS1_3gpuE7ELNS1_3repE0EEENS1_60segmented_radix_sort_warp_sort_medium_config_static_selectorELNS0_4arch9wavefront6targetE0EEEvSK_.numbered_sgpr, 0
	.set _ZN7rocprim17ROCPRIM_400000_NS6detail17trampoline_kernelINS0_14default_configENS1_36segmented_radix_sort_config_selectorIblEEZNS1_25segmented_radix_sort_implIS3_Lb1EPKbPbPKlPlN2at6native12_GLOBAL__N_18offset_tEEE10hipError_tPvRmT1_PNSt15iterator_traitsISK_E10value_typeET2_T3_PNSL_ISQ_E10value_typeET4_jRbjT5_SW_jjP12ihipStream_tbEUlT_E0_NS1_11comp_targetILNS1_3genE3ELNS1_11target_archE908ELNS1_3gpuE7ELNS1_3repE0EEENS1_60segmented_radix_sort_warp_sort_medium_config_static_selectorELNS0_4arch9wavefront6targetE0EEEvSK_.num_named_barrier, 0
	.set _ZN7rocprim17ROCPRIM_400000_NS6detail17trampoline_kernelINS0_14default_configENS1_36segmented_radix_sort_config_selectorIblEEZNS1_25segmented_radix_sort_implIS3_Lb1EPKbPbPKlPlN2at6native12_GLOBAL__N_18offset_tEEE10hipError_tPvRmT1_PNSt15iterator_traitsISK_E10value_typeET2_T3_PNSL_ISQ_E10value_typeET4_jRbjT5_SW_jjP12ihipStream_tbEUlT_E0_NS1_11comp_targetILNS1_3genE3ELNS1_11target_archE908ELNS1_3gpuE7ELNS1_3repE0EEENS1_60segmented_radix_sort_warp_sort_medium_config_static_selectorELNS0_4arch9wavefront6targetE0EEEvSK_.private_seg_size, 0
	.set _ZN7rocprim17ROCPRIM_400000_NS6detail17trampoline_kernelINS0_14default_configENS1_36segmented_radix_sort_config_selectorIblEEZNS1_25segmented_radix_sort_implIS3_Lb1EPKbPbPKlPlN2at6native12_GLOBAL__N_18offset_tEEE10hipError_tPvRmT1_PNSt15iterator_traitsISK_E10value_typeET2_T3_PNSL_ISQ_E10value_typeET4_jRbjT5_SW_jjP12ihipStream_tbEUlT_E0_NS1_11comp_targetILNS1_3genE3ELNS1_11target_archE908ELNS1_3gpuE7ELNS1_3repE0EEENS1_60segmented_radix_sort_warp_sort_medium_config_static_selectorELNS0_4arch9wavefront6targetE0EEEvSK_.uses_vcc, 0
	.set _ZN7rocprim17ROCPRIM_400000_NS6detail17trampoline_kernelINS0_14default_configENS1_36segmented_radix_sort_config_selectorIblEEZNS1_25segmented_radix_sort_implIS3_Lb1EPKbPbPKlPlN2at6native12_GLOBAL__N_18offset_tEEE10hipError_tPvRmT1_PNSt15iterator_traitsISK_E10value_typeET2_T3_PNSL_ISQ_E10value_typeET4_jRbjT5_SW_jjP12ihipStream_tbEUlT_E0_NS1_11comp_targetILNS1_3genE3ELNS1_11target_archE908ELNS1_3gpuE7ELNS1_3repE0EEENS1_60segmented_radix_sort_warp_sort_medium_config_static_selectorELNS0_4arch9wavefront6targetE0EEEvSK_.uses_flat_scratch, 0
	.set _ZN7rocprim17ROCPRIM_400000_NS6detail17trampoline_kernelINS0_14default_configENS1_36segmented_radix_sort_config_selectorIblEEZNS1_25segmented_radix_sort_implIS3_Lb1EPKbPbPKlPlN2at6native12_GLOBAL__N_18offset_tEEE10hipError_tPvRmT1_PNSt15iterator_traitsISK_E10value_typeET2_T3_PNSL_ISQ_E10value_typeET4_jRbjT5_SW_jjP12ihipStream_tbEUlT_E0_NS1_11comp_targetILNS1_3genE3ELNS1_11target_archE908ELNS1_3gpuE7ELNS1_3repE0EEENS1_60segmented_radix_sort_warp_sort_medium_config_static_selectorELNS0_4arch9wavefront6targetE0EEEvSK_.has_dyn_sized_stack, 0
	.set _ZN7rocprim17ROCPRIM_400000_NS6detail17trampoline_kernelINS0_14default_configENS1_36segmented_radix_sort_config_selectorIblEEZNS1_25segmented_radix_sort_implIS3_Lb1EPKbPbPKlPlN2at6native12_GLOBAL__N_18offset_tEEE10hipError_tPvRmT1_PNSt15iterator_traitsISK_E10value_typeET2_T3_PNSL_ISQ_E10value_typeET4_jRbjT5_SW_jjP12ihipStream_tbEUlT_E0_NS1_11comp_targetILNS1_3genE3ELNS1_11target_archE908ELNS1_3gpuE7ELNS1_3repE0EEENS1_60segmented_radix_sort_warp_sort_medium_config_static_selectorELNS0_4arch9wavefront6targetE0EEEvSK_.has_recursion, 0
	.set _ZN7rocprim17ROCPRIM_400000_NS6detail17trampoline_kernelINS0_14default_configENS1_36segmented_radix_sort_config_selectorIblEEZNS1_25segmented_radix_sort_implIS3_Lb1EPKbPbPKlPlN2at6native12_GLOBAL__N_18offset_tEEE10hipError_tPvRmT1_PNSt15iterator_traitsISK_E10value_typeET2_T3_PNSL_ISQ_E10value_typeET4_jRbjT5_SW_jjP12ihipStream_tbEUlT_E0_NS1_11comp_targetILNS1_3genE3ELNS1_11target_archE908ELNS1_3gpuE7ELNS1_3repE0EEENS1_60segmented_radix_sort_warp_sort_medium_config_static_selectorELNS0_4arch9wavefront6targetE0EEEvSK_.has_indirect_call, 0
	.section	.AMDGPU.csdata,"",@progbits
; Kernel info:
; codeLenInByte = 0
; TotalNumSgprs: 0
; NumVgprs: 0
; ScratchSize: 0
; MemoryBound: 0
; FloatMode: 240
; IeeeMode: 1
; LDSByteSize: 0 bytes/workgroup (compile time only)
; SGPRBlocks: 0
; VGPRBlocks: 0
; NumSGPRsForWavesPerEU: 1
; NumVGPRsForWavesPerEU: 1
; Occupancy: 16
; WaveLimiterHint : 0
; COMPUTE_PGM_RSRC2:SCRATCH_EN: 0
; COMPUTE_PGM_RSRC2:USER_SGPR: 6
; COMPUTE_PGM_RSRC2:TRAP_HANDLER: 0
; COMPUTE_PGM_RSRC2:TGID_X_EN: 1
; COMPUTE_PGM_RSRC2:TGID_Y_EN: 0
; COMPUTE_PGM_RSRC2:TGID_Z_EN: 0
; COMPUTE_PGM_RSRC2:TIDIG_COMP_CNT: 0
	.section	.text._ZN7rocprim17ROCPRIM_400000_NS6detail17trampoline_kernelINS0_14default_configENS1_36segmented_radix_sort_config_selectorIblEEZNS1_25segmented_radix_sort_implIS3_Lb1EPKbPbPKlPlN2at6native12_GLOBAL__N_18offset_tEEE10hipError_tPvRmT1_PNSt15iterator_traitsISK_E10value_typeET2_T3_PNSL_ISQ_E10value_typeET4_jRbjT5_SW_jjP12ihipStream_tbEUlT_E0_NS1_11comp_targetILNS1_3genE2ELNS1_11target_archE906ELNS1_3gpuE6ELNS1_3repE0EEENS1_60segmented_radix_sort_warp_sort_medium_config_static_selectorELNS0_4arch9wavefront6targetE0EEEvSK_,"axG",@progbits,_ZN7rocprim17ROCPRIM_400000_NS6detail17trampoline_kernelINS0_14default_configENS1_36segmented_radix_sort_config_selectorIblEEZNS1_25segmented_radix_sort_implIS3_Lb1EPKbPbPKlPlN2at6native12_GLOBAL__N_18offset_tEEE10hipError_tPvRmT1_PNSt15iterator_traitsISK_E10value_typeET2_T3_PNSL_ISQ_E10value_typeET4_jRbjT5_SW_jjP12ihipStream_tbEUlT_E0_NS1_11comp_targetILNS1_3genE2ELNS1_11target_archE906ELNS1_3gpuE6ELNS1_3repE0EEENS1_60segmented_radix_sort_warp_sort_medium_config_static_selectorELNS0_4arch9wavefront6targetE0EEEvSK_,comdat
	.globl	_ZN7rocprim17ROCPRIM_400000_NS6detail17trampoline_kernelINS0_14default_configENS1_36segmented_radix_sort_config_selectorIblEEZNS1_25segmented_radix_sort_implIS3_Lb1EPKbPbPKlPlN2at6native12_GLOBAL__N_18offset_tEEE10hipError_tPvRmT1_PNSt15iterator_traitsISK_E10value_typeET2_T3_PNSL_ISQ_E10value_typeET4_jRbjT5_SW_jjP12ihipStream_tbEUlT_E0_NS1_11comp_targetILNS1_3genE2ELNS1_11target_archE906ELNS1_3gpuE6ELNS1_3repE0EEENS1_60segmented_radix_sort_warp_sort_medium_config_static_selectorELNS0_4arch9wavefront6targetE0EEEvSK_ ; -- Begin function _ZN7rocprim17ROCPRIM_400000_NS6detail17trampoline_kernelINS0_14default_configENS1_36segmented_radix_sort_config_selectorIblEEZNS1_25segmented_radix_sort_implIS3_Lb1EPKbPbPKlPlN2at6native12_GLOBAL__N_18offset_tEEE10hipError_tPvRmT1_PNSt15iterator_traitsISK_E10value_typeET2_T3_PNSL_ISQ_E10value_typeET4_jRbjT5_SW_jjP12ihipStream_tbEUlT_E0_NS1_11comp_targetILNS1_3genE2ELNS1_11target_archE906ELNS1_3gpuE6ELNS1_3repE0EEENS1_60segmented_radix_sort_warp_sort_medium_config_static_selectorELNS0_4arch9wavefront6targetE0EEEvSK_
	.p2align	8
	.type	_ZN7rocprim17ROCPRIM_400000_NS6detail17trampoline_kernelINS0_14default_configENS1_36segmented_radix_sort_config_selectorIblEEZNS1_25segmented_radix_sort_implIS3_Lb1EPKbPbPKlPlN2at6native12_GLOBAL__N_18offset_tEEE10hipError_tPvRmT1_PNSt15iterator_traitsISK_E10value_typeET2_T3_PNSL_ISQ_E10value_typeET4_jRbjT5_SW_jjP12ihipStream_tbEUlT_E0_NS1_11comp_targetILNS1_3genE2ELNS1_11target_archE906ELNS1_3gpuE6ELNS1_3repE0EEENS1_60segmented_radix_sort_warp_sort_medium_config_static_selectorELNS0_4arch9wavefront6targetE0EEEvSK_,@function
_ZN7rocprim17ROCPRIM_400000_NS6detail17trampoline_kernelINS0_14default_configENS1_36segmented_radix_sort_config_selectorIblEEZNS1_25segmented_radix_sort_implIS3_Lb1EPKbPbPKlPlN2at6native12_GLOBAL__N_18offset_tEEE10hipError_tPvRmT1_PNSt15iterator_traitsISK_E10value_typeET2_T3_PNSL_ISQ_E10value_typeET4_jRbjT5_SW_jjP12ihipStream_tbEUlT_E0_NS1_11comp_targetILNS1_3genE2ELNS1_11target_archE906ELNS1_3gpuE6ELNS1_3repE0EEENS1_60segmented_radix_sort_warp_sort_medium_config_static_selectorELNS0_4arch9wavefront6targetE0EEEvSK_: ; @_ZN7rocprim17ROCPRIM_400000_NS6detail17trampoline_kernelINS0_14default_configENS1_36segmented_radix_sort_config_selectorIblEEZNS1_25segmented_radix_sort_implIS3_Lb1EPKbPbPKlPlN2at6native12_GLOBAL__N_18offset_tEEE10hipError_tPvRmT1_PNSt15iterator_traitsISK_E10value_typeET2_T3_PNSL_ISQ_E10value_typeET4_jRbjT5_SW_jjP12ihipStream_tbEUlT_E0_NS1_11comp_targetILNS1_3genE2ELNS1_11target_archE906ELNS1_3gpuE6ELNS1_3repE0EEENS1_60segmented_radix_sort_warp_sort_medium_config_static_selectorELNS0_4arch9wavefront6targetE0EEEvSK_
; %bb.0:
	.section	.rodata,"a",@progbits
	.p2align	6, 0x0
	.amdhsa_kernel _ZN7rocprim17ROCPRIM_400000_NS6detail17trampoline_kernelINS0_14default_configENS1_36segmented_radix_sort_config_selectorIblEEZNS1_25segmented_radix_sort_implIS3_Lb1EPKbPbPKlPlN2at6native12_GLOBAL__N_18offset_tEEE10hipError_tPvRmT1_PNSt15iterator_traitsISK_E10value_typeET2_T3_PNSL_ISQ_E10value_typeET4_jRbjT5_SW_jjP12ihipStream_tbEUlT_E0_NS1_11comp_targetILNS1_3genE2ELNS1_11target_archE906ELNS1_3gpuE6ELNS1_3repE0EEENS1_60segmented_radix_sort_warp_sort_medium_config_static_selectorELNS0_4arch9wavefront6targetE0EEEvSK_
		.amdhsa_group_segment_fixed_size 0
		.amdhsa_private_segment_fixed_size 0
		.amdhsa_kernarg_size 88
		.amdhsa_user_sgpr_count 6
		.amdhsa_user_sgpr_private_segment_buffer 1
		.amdhsa_user_sgpr_dispatch_ptr 0
		.amdhsa_user_sgpr_queue_ptr 0
		.amdhsa_user_sgpr_kernarg_segment_ptr 1
		.amdhsa_user_sgpr_dispatch_id 0
		.amdhsa_user_sgpr_flat_scratch_init 0
		.amdhsa_user_sgpr_private_segment_size 0
		.amdhsa_wavefront_size32 1
		.amdhsa_uses_dynamic_stack 0
		.amdhsa_system_sgpr_private_segment_wavefront_offset 0
		.amdhsa_system_sgpr_workgroup_id_x 1
		.amdhsa_system_sgpr_workgroup_id_y 0
		.amdhsa_system_sgpr_workgroup_id_z 0
		.amdhsa_system_sgpr_workgroup_info 0
		.amdhsa_system_vgpr_workitem_id 0
		.amdhsa_next_free_vgpr 1
		.amdhsa_next_free_sgpr 1
		.amdhsa_reserve_vcc 0
		.amdhsa_reserve_flat_scratch 0
		.amdhsa_float_round_mode_32 0
		.amdhsa_float_round_mode_16_64 0
		.amdhsa_float_denorm_mode_32 3
		.amdhsa_float_denorm_mode_16_64 3
		.amdhsa_dx10_clamp 1
		.amdhsa_ieee_mode 1
		.amdhsa_fp16_overflow 0
		.amdhsa_workgroup_processor_mode 1
		.amdhsa_memory_ordered 1
		.amdhsa_forward_progress 1
		.amdhsa_shared_vgpr_count 0
		.amdhsa_exception_fp_ieee_invalid_op 0
		.amdhsa_exception_fp_denorm_src 0
		.amdhsa_exception_fp_ieee_div_zero 0
		.amdhsa_exception_fp_ieee_overflow 0
		.amdhsa_exception_fp_ieee_underflow 0
		.amdhsa_exception_fp_ieee_inexact 0
		.amdhsa_exception_int_div_zero 0
	.end_amdhsa_kernel
	.section	.text._ZN7rocprim17ROCPRIM_400000_NS6detail17trampoline_kernelINS0_14default_configENS1_36segmented_radix_sort_config_selectorIblEEZNS1_25segmented_radix_sort_implIS3_Lb1EPKbPbPKlPlN2at6native12_GLOBAL__N_18offset_tEEE10hipError_tPvRmT1_PNSt15iterator_traitsISK_E10value_typeET2_T3_PNSL_ISQ_E10value_typeET4_jRbjT5_SW_jjP12ihipStream_tbEUlT_E0_NS1_11comp_targetILNS1_3genE2ELNS1_11target_archE906ELNS1_3gpuE6ELNS1_3repE0EEENS1_60segmented_radix_sort_warp_sort_medium_config_static_selectorELNS0_4arch9wavefront6targetE0EEEvSK_,"axG",@progbits,_ZN7rocprim17ROCPRIM_400000_NS6detail17trampoline_kernelINS0_14default_configENS1_36segmented_radix_sort_config_selectorIblEEZNS1_25segmented_radix_sort_implIS3_Lb1EPKbPbPKlPlN2at6native12_GLOBAL__N_18offset_tEEE10hipError_tPvRmT1_PNSt15iterator_traitsISK_E10value_typeET2_T3_PNSL_ISQ_E10value_typeET4_jRbjT5_SW_jjP12ihipStream_tbEUlT_E0_NS1_11comp_targetILNS1_3genE2ELNS1_11target_archE906ELNS1_3gpuE6ELNS1_3repE0EEENS1_60segmented_radix_sort_warp_sort_medium_config_static_selectorELNS0_4arch9wavefront6targetE0EEEvSK_,comdat
.Lfunc_end1538:
	.size	_ZN7rocprim17ROCPRIM_400000_NS6detail17trampoline_kernelINS0_14default_configENS1_36segmented_radix_sort_config_selectorIblEEZNS1_25segmented_radix_sort_implIS3_Lb1EPKbPbPKlPlN2at6native12_GLOBAL__N_18offset_tEEE10hipError_tPvRmT1_PNSt15iterator_traitsISK_E10value_typeET2_T3_PNSL_ISQ_E10value_typeET4_jRbjT5_SW_jjP12ihipStream_tbEUlT_E0_NS1_11comp_targetILNS1_3genE2ELNS1_11target_archE906ELNS1_3gpuE6ELNS1_3repE0EEENS1_60segmented_radix_sort_warp_sort_medium_config_static_selectorELNS0_4arch9wavefront6targetE0EEEvSK_, .Lfunc_end1538-_ZN7rocprim17ROCPRIM_400000_NS6detail17trampoline_kernelINS0_14default_configENS1_36segmented_radix_sort_config_selectorIblEEZNS1_25segmented_radix_sort_implIS3_Lb1EPKbPbPKlPlN2at6native12_GLOBAL__N_18offset_tEEE10hipError_tPvRmT1_PNSt15iterator_traitsISK_E10value_typeET2_T3_PNSL_ISQ_E10value_typeET4_jRbjT5_SW_jjP12ihipStream_tbEUlT_E0_NS1_11comp_targetILNS1_3genE2ELNS1_11target_archE906ELNS1_3gpuE6ELNS1_3repE0EEENS1_60segmented_radix_sort_warp_sort_medium_config_static_selectorELNS0_4arch9wavefront6targetE0EEEvSK_
                                        ; -- End function
	.set _ZN7rocprim17ROCPRIM_400000_NS6detail17trampoline_kernelINS0_14default_configENS1_36segmented_radix_sort_config_selectorIblEEZNS1_25segmented_radix_sort_implIS3_Lb1EPKbPbPKlPlN2at6native12_GLOBAL__N_18offset_tEEE10hipError_tPvRmT1_PNSt15iterator_traitsISK_E10value_typeET2_T3_PNSL_ISQ_E10value_typeET4_jRbjT5_SW_jjP12ihipStream_tbEUlT_E0_NS1_11comp_targetILNS1_3genE2ELNS1_11target_archE906ELNS1_3gpuE6ELNS1_3repE0EEENS1_60segmented_radix_sort_warp_sort_medium_config_static_selectorELNS0_4arch9wavefront6targetE0EEEvSK_.num_vgpr, 0
	.set _ZN7rocprim17ROCPRIM_400000_NS6detail17trampoline_kernelINS0_14default_configENS1_36segmented_radix_sort_config_selectorIblEEZNS1_25segmented_radix_sort_implIS3_Lb1EPKbPbPKlPlN2at6native12_GLOBAL__N_18offset_tEEE10hipError_tPvRmT1_PNSt15iterator_traitsISK_E10value_typeET2_T3_PNSL_ISQ_E10value_typeET4_jRbjT5_SW_jjP12ihipStream_tbEUlT_E0_NS1_11comp_targetILNS1_3genE2ELNS1_11target_archE906ELNS1_3gpuE6ELNS1_3repE0EEENS1_60segmented_radix_sort_warp_sort_medium_config_static_selectorELNS0_4arch9wavefront6targetE0EEEvSK_.num_agpr, 0
	.set _ZN7rocprim17ROCPRIM_400000_NS6detail17trampoline_kernelINS0_14default_configENS1_36segmented_radix_sort_config_selectorIblEEZNS1_25segmented_radix_sort_implIS3_Lb1EPKbPbPKlPlN2at6native12_GLOBAL__N_18offset_tEEE10hipError_tPvRmT1_PNSt15iterator_traitsISK_E10value_typeET2_T3_PNSL_ISQ_E10value_typeET4_jRbjT5_SW_jjP12ihipStream_tbEUlT_E0_NS1_11comp_targetILNS1_3genE2ELNS1_11target_archE906ELNS1_3gpuE6ELNS1_3repE0EEENS1_60segmented_radix_sort_warp_sort_medium_config_static_selectorELNS0_4arch9wavefront6targetE0EEEvSK_.numbered_sgpr, 0
	.set _ZN7rocprim17ROCPRIM_400000_NS6detail17trampoline_kernelINS0_14default_configENS1_36segmented_radix_sort_config_selectorIblEEZNS1_25segmented_radix_sort_implIS3_Lb1EPKbPbPKlPlN2at6native12_GLOBAL__N_18offset_tEEE10hipError_tPvRmT1_PNSt15iterator_traitsISK_E10value_typeET2_T3_PNSL_ISQ_E10value_typeET4_jRbjT5_SW_jjP12ihipStream_tbEUlT_E0_NS1_11comp_targetILNS1_3genE2ELNS1_11target_archE906ELNS1_3gpuE6ELNS1_3repE0EEENS1_60segmented_radix_sort_warp_sort_medium_config_static_selectorELNS0_4arch9wavefront6targetE0EEEvSK_.num_named_barrier, 0
	.set _ZN7rocprim17ROCPRIM_400000_NS6detail17trampoline_kernelINS0_14default_configENS1_36segmented_radix_sort_config_selectorIblEEZNS1_25segmented_radix_sort_implIS3_Lb1EPKbPbPKlPlN2at6native12_GLOBAL__N_18offset_tEEE10hipError_tPvRmT1_PNSt15iterator_traitsISK_E10value_typeET2_T3_PNSL_ISQ_E10value_typeET4_jRbjT5_SW_jjP12ihipStream_tbEUlT_E0_NS1_11comp_targetILNS1_3genE2ELNS1_11target_archE906ELNS1_3gpuE6ELNS1_3repE0EEENS1_60segmented_radix_sort_warp_sort_medium_config_static_selectorELNS0_4arch9wavefront6targetE0EEEvSK_.private_seg_size, 0
	.set _ZN7rocprim17ROCPRIM_400000_NS6detail17trampoline_kernelINS0_14default_configENS1_36segmented_radix_sort_config_selectorIblEEZNS1_25segmented_radix_sort_implIS3_Lb1EPKbPbPKlPlN2at6native12_GLOBAL__N_18offset_tEEE10hipError_tPvRmT1_PNSt15iterator_traitsISK_E10value_typeET2_T3_PNSL_ISQ_E10value_typeET4_jRbjT5_SW_jjP12ihipStream_tbEUlT_E0_NS1_11comp_targetILNS1_3genE2ELNS1_11target_archE906ELNS1_3gpuE6ELNS1_3repE0EEENS1_60segmented_radix_sort_warp_sort_medium_config_static_selectorELNS0_4arch9wavefront6targetE0EEEvSK_.uses_vcc, 0
	.set _ZN7rocprim17ROCPRIM_400000_NS6detail17trampoline_kernelINS0_14default_configENS1_36segmented_radix_sort_config_selectorIblEEZNS1_25segmented_radix_sort_implIS3_Lb1EPKbPbPKlPlN2at6native12_GLOBAL__N_18offset_tEEE10hipError_tPvRmT1_PNSt15iterator_traitsISK_E10value_typeET2_T3_PNSL_ISQ_E10value_typeET4_jRbjT5_SW_jjP12ihipStream_tbEUlT_E0_NS1_11comp_targetILNS1_3genE2ELNS1_11target_archE906ELNS1_3gpuE6ELNS1_3repE0EEENS1_60segmented_radix_sort_warp_sort_medium_config_static_selectorELNS0_4arch9wavefront6targetE0EEEvSK_.uses_flat_scratch, 0
	.set _ZN7rocprim17ROCPRIM_400000_NS6detail17trampoline_kernelINS0_14default_configENS1_36segmented_radix_sort_config_selectorIblEEZNS1_25segmented_radix_sort_implIS3_Lb1EPKbPbPKlPlN2at6native12_GLOBAL__N_18offset_tEEE10hipError_tPvRmT1_PNSt15iterator_traitsISK_E10value_typeET2_T3_PNSL_ISQ_E10value_typeET4_jRbjT5_SW_jjP12ihipStream_tbEUlT_E0_NS1_11comp_targetILNS1_3genE2ELNS1_11target_archE906ELNS1_3gpuE6ELNS1_3repE0EEENS1_60segmented_radix_sort_warp_sort_medium_config_static_selectorELNS0_4arch9wavefront6targetE0EEEvSK_.has_dyn_sized_stack, 0
	.set _ZN7rocprim17ROCPRIM_400000_NS6detail17trampoline_kernelINS0_14default_configENS1_36segmented_radix_sort_config_selectorIblEEZNS1_25segmented_radix_sort_implIS3_Lb1EPKbPbPKlPlN2at6native12_GLOBAL__N_18offset_tEEE10hipError_tPvRmT1_PNSt15iterator_traitsISK_E10value_typeET2_T3_PNSL_ISQ_E10value_typeET4_jRbjT5_SW_jjP12ihipStream_tbEUlT_E0_NS1_11comp_targetILNS1_3genE2ELNS1_11target_archE906ELNS1_3gpuE6ELNS1_3repE0EEENS1_60segmented_radix_sort_warp_sort_medium_config_static_selectorELNS0_4arch9wavefront6targetE0EEEvSK_.has_recursion, 0
	.set _ZN7rocprim17ROCPRIM_400000_NS6detail17trampoline_kernelINS0_14default_configENS1_36segmented_radix_sort_config_selectorIblEEZNS1_25segmented_radix_sort_implIS3_Lb1EPKbPbPKlPlN2at6native12_GLOBAL__N_18offset_tEEE10hipError_tPvRmT1_PNSt15iterator_traitsISK_E10value_typeET2_T3_PNSL_ISQ_E10value_typeET4_jRbjT5_SW_jjP12ihipStream_tbEUlT_E0_NS1_11comp_targetILNS1_3genE2ELNS1_11target_archE906ELNS1_3gpuE6ELNS1_3repE0EEENS1_60segmented_radix_sort_warp_sort_medium_config_static_selectorELNS0_4arch9wavefront6targetE0EEEvSK_.has_indirect_call, 0
	.section	.AMDGPU.csdata,"",@progbits
; Kernel info:
; codeLenInByte = 0
; TotalNumSgprs: 0
; NumVgprs: 0
; ScratchSize: 0
; MemoryBound: 0
; FloatMode: 240
; IeeeMode: 1
; LDSByteSize: 0 bytes/workgroup (compile time only)
; SGPRBlocks: 0
; VGPRBlocks: 0
; NumSGPRsForWavesPerEU: 1
; NumVGPRsForWavesPerEU: 1
; Occupancy: 16
; WaveLimiterHint : 0
; COMPUTE_PGM_RSRC2:SCRATCH_EN: 0
; COMPUTE_PGM_RSRC2:USER_SGPR: 6
; COMPUTE_PGM_RSRC2:TRAP_HANDLER: 0
; COMPUTE_PGM_RSRC2:TGID_X_EN: 1
; COMPUTE_PGM_RSRC2:TGID_Y_EN: 0
; COMPUTE_PGM_RSRC2:TGID_Z_EN: 0
; COMPUTE_PGM_RSRC2:TIDIG_COMP_CNT: 0
	.section	.text._ZN7rocprim17ROCPRIM_400000_NS6detail17trampoline_kernelINS0_14default_configENS1_36segmented_radix_sort_config_selectorIblEEZNS1_25segmented_radix_sort_implIS3_Lb1EPKbPbPKlPlN2at6native12_GLOBAL__N_18offset_tEEE10hipError_tPvRmT1_PNSt15iterator_traitsISK_E10value_typeET2_T3_PNSL_ISQ_E10value_typeET4_jRbjT5_SW_jjP12ihipStream_tbEUlT_E0_NS1_11comp_targetILNS1_3genE10ELNS1_11target_archE1201ELNS1_3gpuE5ELNS1_3repE0EEENS1_60segmented_radix_sort_warp_sort_medium_config_static_selectorELNS0_4arch9wavefront6targetE0EEEvSK_,"axG",@progbits,_ZN7rocprim17ROCPRIM_400000_NS6detail17trampoline_kernelINS0_14default_configENS1_36segmented_radix_sort_config_selectorIblEEZNS1_25segmented_radix_sort_implIS3_Lb1EPKbPbPKlPlN2at6native12_GLOBAL__N_18offset_tEEE10hipError_tPvRmT1_PNSt15iterator_traitsISK_E10value_typeET2_T3_PNSL_ISQ_E10value_typeET4_jRbjT5_SW_jjP12ihipStream_tbEUlT_E0_NS1_11comp_targetILNS1_3genE10ELNS1_11target_archE1201ELNS1_3gpuE5ELNS1_3repE0EEENS1_60segmented_radix_sort_warp_sort_medium_config_static_selectorELNS0_4arch9wavefront6targetE0EEEvSK_,comdat
	.globl	_ZN7rocprim17ROCPRIM_400000_NS6detail17trampoline_kernelINS0_14default_configENS1_36segmented_radix_sort_config_selectorIblEEZNS1_25segmented_radix_sort_implIS3_Lb1EPKbPbPKlPlN2at6native12_GLOBAL__N_18offset_tEEE10hipError_tPvRmT1_PNSt15iterator_traitsISK_E10value_typeET2_T3_PNSL_ISQ_E10value_typeET4_jRbjT5_SW_jjP12ihipStream_tbEUlT_E0_NS1_11comp_targetILNS1_3genE10ELNS1_11target_archE1201ELNS1_3gpuE5ELNS1_3repE0EEENS1_60segmented_radix_sort_warp_sort_medium_config_static_selectorELNS0_4arch9wavefront6targetE0EEEvSK_ ; -- Begin function _ZN7rocprim17ROCPRIM_400000_NS6detail17trampoline_kernelINS0_14default_configENS1_36segmented_radix_sort_config_selectorIblEEZNS1_25segmented_radix_sort_implIS3_Lb1EPKbPbPKlPlN2at6native12_GLOBAL__N_18offset_tEEE10hipError_tPvRmT1_PNSt15iterator_traitsISK_E10value_typeET2_T3_PNSL_ISQ_E10value_typeET4_jRbjT5_SW_jjP12ihipStream_tbEUlT_E0_NS1_11comp_targetILNS1_3genE10ELNS1_11target_archE1201ELNS1_3gpuE5ELNS1_3repE0EEENS1_60segmented_radix_sort_warp_sort_medium_config_static_selectorELNS0_4arch9wavefront6targetE0EEEvSK_
	.p2align	8
	.type	_ZN7rocprim17ROCPRIM_400000_NS6detail17trampoline_kernelINS0_14default_configENS1_36segmented_radix_sort_config_selectorIblEEZNS1_25segmented_radix_sort_implIS3_Lb1EPKbPbPKlPlN2at6native12_GLOBAL__N_18offset_tEEE10hipError_tPvRmT1_PNSt15iterator_traitsISK_E10value_typeET2_T3_PNSL_ISQ_E10value_typeET4_jRbjT5_SW_jjP12ihipStream_tbEUlT_E0_NS1_11comp_targetILNS1_3genE10ELNS1_11target_archE1201ELNS1_3gpuE5ELNS1_3repE0EEENS1_60segmented_radix_sort_warp_sort_medium_config_static_selectorELNS0_4arch9wavefront6targetE0EEEvSK_,@function
_ZN7rocprim17ROCPRIM_400000_NS6detail17trampoline_kernelINS0_14default_configENS1_36segmented_radix_sort_config_selectorIblEEZNS1_25segmented_radix_sort_implIS3_Lb1EPKbPbPKlPlN2at6native12_GLOBAL__N_18offset_tEEE10hipError_tPvRmT1_PNSt15iterator_traitsISK_E10value_typeET2_T3_PNSL_ISQ_E10value_typeET4_jRbjT5_SW_jjP12ihipStream_tbEUlT_E0_NS1_11comp_targetILNS1_3genE10ELNS1_11target_archE1201ELNS1_3gpuE5ELNS1_3repE0EEENS1_60segmented_radix_sort_warp_sort_medium_config_static_selectorELNS0_4arch9wavefront6targetE0EEEvSK_: ; @_ZN7rocprim17ROCPRIM_400000_NS6detail17trampoline_kernelINS0_14default_configENS1_36segmented_radix_sort_config_selectorIblEEZNS1_25segmented_radix_sort_implIS3_Lb1EPKbPbPKlPlN2at6native12_GLOBAL__N_18offset_tEEE10hipError_tPvRmT1_PNSt15iterator_traitsISK_E10value_typeET2_T3_PNSL_ISQ_E10value_typeET4_jRbjT5_SW_jjP12ihipStream_tbEUlT_E0_NS1_11comp_targetILNS1_3genE10ELNS1_11target_archE1201ELNS1_3gpuE5ELNS1_3repE0EEENS1_60segmented_radix_sort_warp_sort_medium_config_static_selectorELNS0_4arch9wavefront6targetE0EEEvSK_
; %bb.0:
	.section	.rodata,"a",@progbits
	.p2align	6, 0x0
	.amdhsa_kernel _ZN7rocprim17ROCPRIM_400000_NS6detail17trampoline_kernelINS0_14default_configENS1_36segmented_radix_sort_config_selectorIblEEZNS1_25segmented_radix_sort_implIS3_Lb1EPKbPbPKlPlN2at6native12_GLOBAL__N_18offset_tEEE10hipError_tPvRmT1_PNSt15iterator_traitsISK_E10value_typeET2_T3_PNSL_ISQ_E10value_typeET4_jRbjT5_SW_jjP12ihipStream_tbEUlT_E0_NS1_11comp_targetILNS1_3genE10ELNS1_11target_archE1201ELNS1_3gpuE5ELNS1_3repE0EEENS1_60segmented_radix_sort_warp_sort_medium_config_static_selectorELNS0_4arch9wavefront6targetE0EEEvSK_
		.amdhsa_group_segment_fixed_size 0
		.amdhsa_private_segment_fixed_size 0
		.amdhsa_kernarg_size 88
		.amdhsa_user_sgpr_count 6
		.amdhsa_user_sgpr_private_segment_buffer 1
		.amdhsa_user_sgpr_dispatch_ptr 0
		.amdhsa_user_sgpr_queue_ptr 0
		.amdhsa_user_sgpr_kernarg_segment_ptr 1
		.amdhsa_user_sgpr_dispatch_id 0
		.amdhsa_user_sgpr_flat_scratch_init 0
		.amdhsa_user_sgpr_private_segment_size 0
		.amdhsa_wavefront_size32 1
		.amdhsa_uses_dynamic_stack 0
		.amdhsa_system_sgpr_private_segment_wavefront_offset 0
		.amdhsa_system_sgpr_workgroup_id_x 1
		.amdhsa_system_sgpr_workgroup_id_y 0
		.amdhsa_system_sgpr_workgroup_id_z 0
		.amdhsa_system_sgpr_workgroup_info 0
		.amdhsa_system_vgpr_workitem_id 0
		.amdhsa_next_free_vgpr 1
		.amdhsa_next_free_sgpr 1
		.amdhsa_reserve_vcc 0
		.amdhsa_reserve_flat_scratch 0
		.amdhsa_float_round_mode_32 0
		.amdhsa_float_round_mode_16_64 0
		.amdhsa_float_denorm_mode_32 3
		.amdhsa_float_denorm_mode_16_64 3
		.amdhsa_dx10_clamp 1
		.amdhsa_ieee_mode 1
		.amdhsa_fp16_overflow 0
		.amdhsa_workgroup_processor_mode 1
		.amdhsa_memory_ordered 1
		.amdhsa_forward_progress 1
		.amdhsa_shared_vgpr_count 0
		.amdhsa_exception_fp_ieee_invalid_op 0
		.amdhsa_exception_fp_denorm_src 0
		.amdhsa_exception_fp_ieee_div_zero 0
		.amdhsa_exception_fp_ieee_overflow 0
		.amdhsa_exception_fp_ieee_underflow 0
		.amdhsa_exception_fp_ieee_inexact 0
		.amdhsa_exception_int_div_zero 0
	.end_amdhsa_kernel
	.section	.text._ZN7rocprim17ROCPRIM_400000_NS6detail17trampoline_kernelINS0_14default_configENS1_36segmented_radix_sort_config_selectorIblEEZNS1_25segmented_radix_sort_implIS3_Lb1EPKbPbPKlPlN2at6native12_GLOBAL__N_18offset_tEEE10hipError_tPvRmT1_PNSt15iterator_traitsISK_E10value_typeET2_T3_PNSL_ISQ_E10value_typeET4_jRbjT5_SW_jjP12ihipStream_tbEUlT_E0_NS1_11comp_targetILNS1_3genE10ELNS1_11target_archE1201ELNS1_3gpuE5ELNS1_3repE0EEENS1_60segmented_radix_sort_warp_sort_medium_config_static_selectorELNS0_4arch9wavefront6targetE0EEEvSK_,"axG",@progbits,_ZN7rocprim17ROCPRIM_400000_NS6detail17trampoline_kernelINS0_14default_configENS1_36segmented_radix_sort_config_selectorIblEEZNS1_25segmented_radix_sort_implIS3_Lb1EPKbPbPKlPlN2at6native12_GLOBAL__N_18offset_tEEE10hipError_tPvRmT1_PNSt15iterator_traitsISK_E10value_typeET2_T3_PNSL_ISQ_E10value_typeET4_jRbjT5_SW_jjP12ihipStream_tbEUlT_E0_NS1_11comp_targetILNS1_3genE10ELNS1_11target_archE1201ELNS1_3gpuE5ELNS1_3repE0EEENS1_60segmented_radix_sort_warp_sort_medium_config_static_selectorELNS0_4arch9wavefront6targetE0EEEvSK_,comdat
.Lfunc_end1539:
	.size	_ZN7rocprim17ROCPRIM_400000_NS6detail17trampoline_kernelINS0_14default_configENS1_36segmented_radix_sort_config_selectorIblEEZNS1_25segmented_radix_sort_implIS3_Lb1EPKbPbPKlPlN2at6native12_GLOBAL__N_18offset_tEEE10hipError_tPvRmT1_PNSt15iterator_traitsISK_E10value_typeET2_T3_PNSL_ISQ_E10value_typeET4_jRbjT5_SW_jjP12ihipStream_tbEUlT_E0_NS1_11comp_targetILNS1_3genE10ELNS1_11target_archE1201ELNS1_3gpuE5ELNS1_3repE0EEENS1_60segmented_radix_sort_warp_sort_medium_config_static_selectorELNS0_4arch9wavefront6targetE0EEEvSK_, .Lfunc_end1539-_ZN7rocprim17ROCPRIM_400000_NS6detail17trampoline_kernelINS0_14default_configENS1_36segmented_radix_sort_config_selectorIblEEZNS1_25segmented_radix_sort_implIS3_Lb1EPKbPbPKlPlN2at6native12_GLOBAL__N_18offset_tEEE10hipError_tPvRmT1_PNSt15iterator_traitsISK_E10value_typeET2_T3_PNSL_ISQ_E10value_typeET4_jRbjT5_SW_jjP12ihipStream_tbEUlT_E0_NS1_11comp_targetILNS1_3genE10ELNS1_11target_archE1201ELNS1_3gpuE5ELNS1_3repE0EEENS1_60segmented_radix_sort_warp_sort_medium_config_static_selectorELNS0_4arch9wavefront6targetE0EEEvSK_
                                        ; -- End function
	.set _ZN7rocprim17ROCPRIM_400000_NS6detail17trampoline_kernelINS0_14default_configENS1_36segmented_radix_sort_config_selectorIblEEZNS1_25segmented_radix_sort_implIS3_Lb1EPKbPbPKlPlN2at6native12_GLOBAL__N_18offset_tEEE10hipError_tPvRmT1_PNSt15iterator_traitsISK_E10value_typeET2_T3_PNSL_ISQ_E10value_typeET4_jRbjT5_SW_jjP12ihipStream_tbEUlT_E0_NS1_11comp_targetILNS1_3genE10ELNS1_11target_archE1201ELNS1_3gpuE5ELNS1_3repE0EEENS1_60segmented_radix_sort_warp_sort_medium_config_static_selectorELNS0_4arch9wavefront6targetE0EEEvSK_.num_vgpr, 0
	.set _ZN7rocprim17ROCPRIM_400000_NS6detail17trampoline_kernelINS0_14default_configENS1_36segmented_radix_sort_config_selectorIblEEZNS1_25segmented_radix_sort_implIS3_Lb1EPKbPbPKlPlN2at6native12_GLOBAL__N_18offset_tEEE10hipError_tPvRmT1_PNSt15iterator_traitsISK_E10value_typeET2_T3_PNSL_ISQ_E10value_typeET4_jRbjT5_SW_jjP12ihipStream_tbEUlT_E0_NS1_11comp_targetILNS1_3genE10ELNS1_11target_archE1201ELNS1_3gpuE5ELNS1_3repE0EEENS1_60segmented_radix_sort_warp_sort_medium_config_static_selectorELNS0_4arch9wavefront6targetE0EEEvSK_.num_agpr, 0
	.set _ZN7rocprim17ROCPRIM_400000_NS6detail17trampoline_kernelINS0_14default_configENS1_36segmented_radix_sort_config_selectorIblEEZNS1_25segmented_radix_sort_implIS3_Lb1EPKbPbPKlPlN2at6native12_GLOBAL__N_18offset_tEEE10hipError_tPvRmT1_PNSt15iterator_traitsISK_E10value_typeET2_T3_PNSL_ISQ_E10value_typeET4_jRbjT5_SW_jjP12ihipStream_tbEUlT_E0_NS1_11comp_targetILNS1_3genE10ELNS1_11target_archE1201ELNS1_3gpuE5ELNS1_3repE0EEENS1_60segmented_radix_sort_warp_sort_medium_config_static_selectorELNS0_4arch9wavefront6targetE0EEEvSK_.numbered_sgpr, 0
	.set _ZN7rocprim17ROCPRIM_400000_NS6detail17trampoline_kernelINS0_14default_configENS1_36segmented_radix_sort_config_selectorIblEEZNS1_25segmented_radix_sort_implIS3_Lb1EPKbPbPKlPlN2at6native12_GLOBAL__N_18offset_tEEE10hipError_tPvRmT1_PNSt15iterator_traitsISK_E10value_typeET2_T3_PNSL_ISQ_E10value_typeET4_jRbjT5_SW_jjP12ihipStream_tbEUlT_E0_NS1_11comp_targetILNS1_3genE10ELNS1_11target_archE1201ELNS1_3gpuE5ELNS1_3repE0EEENS1_60segmented_radix_sort_warp_sort_medium_config_static_selectorELNS0_4arch9wavefront6targetE0EEEvSK_.num_named_barrier, 0
	.set _ZN7rocprim17ROCPRIM_400000_NS6detail17trampoline_kernelINS0_14default_configENS1_36segmented_radix_sort_config_selectorIblEEZNS1_25segmented_radix_sort_implIS3_Lb1EPKbPbPKlPlN2at6native12_GLOBAL__N_18offset_tEEE10hipError_tPvRmT1_PNSt15iterator_traitsISK_E10value_typeET2_T3_PNSL_ISQ_E10value_typeET4_jRbjT5_SW_jjP12ihipStream_tbEUlT_E0_NS1_11comp_targetILNS1_3genE10ELNS1_11target_archE1201ELNS1_3gpuE5ELNS1_3repE0EEENS1_60segmented_radix_sort_warp_sort_medium_config_static_selectorELNS0_4arch9wavefront6targetE0EEEvSK_.private_seg_size, 0
	.set _ZN7rocprim17ROCPRIM_400000_NS6detail17trampoline_kernelINS0_14default_configENS1_36segmented_radix_sort_config_selectorIblEEZNS1_25segmented_radix_sort_implIS3_Lb1EPKbPbPKlPlN2at6native12_GLOBAL__N_18offset_tEEE10hipError_tPvRmT1_PNSt15iterator_traitsISK_E10value_typeET2_T3_PNSL_ISQ_E10value_typeET4_jRbjT5_SW_jjP12ihipStream_tbEUlT_E0_NS1_11comp_targetILNS1_3genE10ELNS1_11target_archE1201ELNS1_3gpuE5ELNS1_3repE0EEENS1_60segmented_radix_sort_warp_sort_medium_config_static_selectorELNS0_4arch9wavefront6targetE0EEEvSK_.uses_vcc, 0
	.set _ZN7rocprim17ROCPRIM_400000_NS6detail17trampoline_kernelINS0_14default_configENS1_36segmented_radix_sort_config_selectorIblEEZNS1_25segmented_radix_sort_implIS3_Lb1EPKbPbPKlPlN2at6native12_GLOBAL__N_18offset_tEEE10hipError_tPvRmT1_PNSt15iterator_traitsISK_E10value_typeET2_T3_PNSL_ISQ_E10value_typeET4_jRbjT5_SW_jjP12ihipStream_tbEUlT_E0_NS1_11comp_targetILNS1_3genE10ELNS1_11target_archE1201ELNS1_3gpuE5ELNS1_3repE0EEENS1_60segmented_radix_sort_warp_sort_medium_config_static_selectorELNS0_4arch9wavefront6targetE0EEEvSK_.uses_flat_scratch, 0
	.set _ZN7rocprim17ROCPRIM_400000_NS6detail17trampoline_kernelINS0_14default_configENS1_36segmented_radix_sort_config_selectorIblEEZNS1_25segmented_radix_sort_implIS3_Lb1EPKbPbPKlPlN2at6native12_GLOBAL__N_18offset_tEEE10hipError_tPvRmT1_PNSt15iterator_traitsISK_E10value_typeET2_T3_PNSL_ISQ_E10value_typeET4_jRbjT5_SW_jjP12ihipStream_tbEUlT_E0_NS1_11comp_targetILNS1_3genE10ELNS1_11target_archE1201ELNS1_3gpuE5ELNS1_3repE0EEENS1_60segmented_radix_sort_warp_sort_medium_config_static_selectorELNS0_4arch9wavefront6targetE0EEEvSK_.has_dyn_sized_stack, 0
	.set _ZN7rocprim17ROCPRIM_400000_NS6detail17trampoline_kernelINS0_14default_configENS1_36segmented_radix_sort_config_selectorIblEEZNS1_25segmented_radix_sort_implIS3_Lb1EPKbPbPKlPlN2at6native12_GLOBAL__N_18offset_tEEE10hipError_tPvRmT1_PNSt15iterator_traitsISK_E10value_typeET2_T3_PNSL_ISQ_E10value_typeET4_jRbjT5_SW_jjP12ihipStream_tbEUlT_E0_NS1_11comp_targetILNS1_3genE10ELNS1_11target_archE1201ELNS1_3gpuE5ELNS1_3repE0EEENS1_60segmented_radix_sort_warp_sort_medium_config_static_selectorELNS0_4arch9wavefront6targetE0EEEvSK_.has_recursion, 0
	.set _ZN7rocprim17ROCPRIM_400000_NS6detail17trampoline_kernelINS0_14default_configENS1_36segmented_radix_sort_config_selectorIblEEZNS1_25segmented_radix_sort_implIS3_Lb1EPKbPbPKlPlN2at6native12_GLOBAL__N_18offset_tEEE10hipError_tPvRmT1_PNSt15iterator_traitsISK_E10value_typeET2_T3_PNSL_ISQ_E10value_typeET4_jRbjT5_SW_jjP12ihipStream_tbEUlT_E0_NS1_11comp_targetILNS1_3genE10ELNS1_11target_archE1201ELNS1_3gpuE5ELNS1_3repE0EEENS1_60segmented_radix_sort_warp_sort_medium_config_static_selectorELNS0_4arch9wavefront6targetE0EEEvSK_.has_indirect_call, 0
	.section	.AMDGPU.csdata,"",@progbits
; Kernel info:
; codeLenInByte = 0
; TotalNumSgprs: 0
; NumVgprs: 0
; ScratchSize: 0
; MemoryBound: 0
; FloatMode: 240
; IeeeMode: 1
; LDSByteSize: 0 bytes/workgroup (compile time only)
; SGPRBlocks: 0
; VGPRBlocks: 0
; NumSGPRsForWavesPerEU: 1
; NumVGPRsForWavesPerEU: 1
; Occupancy: 16
; WaveLimiterHint : 0
; COMPUTE_PGM_RSRC2:SCRATCH_EN: 0
; COMPUTE_PGM_RSRC2:USER_SGPR: 6
; COMPUTE_PGM_RSRC2:TRAP_HANDLER: 0
; COMPUTE_PGM_RSRC2:TGID_X_EN: 1
; COMPUTE_PGM_RSRC2:TGID_Y_EN: 0
; COMPUTE_PGM_RSRC2:TGID_Z_EN: 0
; COMPUTE_PGM_RSRC2:TIDIG_COMP_CNT: 0
	.section	.text._ZN7rocprim17ROCPRIM_400000_NS6detail17trampoline_kernelINS0_14default_configENS1_36segmented_radix_sort_config_selectorIblEEZNS1_25segmented_radix_sort_implIS3_Lb1EPKbPbPKlPlN2at6native12_GLOBAL__N_18offset_tEEE10hipError_tPvRmT1_PNSt15iterator_traitsISK_E10value_typeET2_T3_PNSL_ISQ_E10value_typeET4_jRbjT5_SW_jjP12ihipStream_tbEUlT_E0_NS1_11comp_targetILNS1_3genE10ELNS1_11target_archE1200ELNS1_3gpuE4ELNS1_3repE0EEENS1_60segmented_radix_sort_warp_sort_medium_config_static_selectorELNS0_4arch9wavefront6targetE0EEEvSK_,"axG",@progbits,_ZN7rocprim17ROCPRIM_400000_NS6detail17trampoline_kernelINS0_14default_configENS1_36segmented_radix_sort_config_selectorIblEEZNS1_25segmented_radix_sort_implIS3_Lb1EPKbPbPKlPlN2at6native12_GLOBAL__N_18offset_tEEE10hipError_tPvRmT1_PNSt15iterator_traitsISK_E10value_typeET2_T3_PNSL_ISQ_E10value_typeET4_jRbjT5_SW_jjP12ihipStream_tbEUlT_E0_NS1_11comp_targetILNS1_3genE10ELNS1_11target_archE1200ELNS1_3gpuE4ELNS1_3repE0EEENS1_60segmented_radix_sort_warp_sort_medium_config_static_selectorELNS0_4arch9wavefront6targetE0EEEvSK_,comdat
	.globl	_ZN7rocprim17ROCPRIM_400000_NS6detail17trampoline_kernelINS0_14default_configENS1_36segmented_radix_sort_config_selectorIblEEZNS1_25segmented_radix_sort_implIS3_Lb1EPKbPbPKlPlN2at6native12_GLOBAL__N_18offset_tEEE10hipError_tPvRmT1_PNSt15iterator_traitsISK_E10value_typeET2_T3_PNSL_ISQ_E10value_typeET4_jRbjT5_SW_jjP12ihipStream_tbEUlT_E0_NS1_11comp_targetILNS1_3genE10ELNS1_11target_archE1200ELNS1_3gpuE4ELNS1_3repE0EEENS1_60segmented_radix_sort_warp_sort_medium_config_static_selectorELNS0_4arch9wavefront6targetE0EEEvSK_ ; -- Begin function _ZN7rocprim17ROCPRIM_400000_NS6detail17trampoline_kernelINS0_14default_configENS1_36segmented_radix_sort_config_selectorIblEEZNS1_25segmented_radix_sort_implIS3_Lb1EPKbPbPKlPlN2at6native12_GLOBAL__N_18offset_tEEE10hipError_tPvRmT1_PNSt15iterator_traitsISK_E10value_typeET2_T3_PNSL_ISQ_E10value_typeET4_jRbjT5_SW_jjP12ihipStream_tbEUlT_E0_NS1_11comp_targetILNS1_3genE10ELNS1_11target_archE1200ELNS1_3gpuE4ELNS1_3repE0EEENS1_60segmented_radix_sort_warp_sort_medium_config_static_selectorELNS0_4arch9wavefront6targetE0EEEvSK_
	.p2align	8
	.type	_ZN7rocprim17ROCPRIM_400000_NS6detail17trampoline_kernelINS0_14default_configENS1_36segmented_radix_sort_config_selectorIblEEZNS1_25segmented_radix_sort_implIS3_Lb1EPKbPbPKlPlN2at6native12_GLOBAL__N_18offset_tEEE10hipError_tPvRmT1_PNSt15iterator_traitsISK_E10value_typeET2_T3_PNSL_ISQ_E10value_typeET4_jRbjT5_SW_jjP12ihipStream_tbEUlT_E0_NS1_11comp_targetILNS1_3genE10ELNS1_11target_archE1200ELNS1_3gpuE4ELNS1_3repE0EEENS1_60segmented_radix_sort_warp_sort_medium_config_static_selectorELNS0_4arch9wavefront6targetE0EEEvSK_,@function
_ZN7rocprim17ROCPRIM_400000_NS6detail17trampoline_kernelINS0_14default_configENS1_36segmented_radix_sort_config_selectorIblEEZNS1_25segmented_radix_sort_implIS3_Lb1EPKbPbPKlPlN2at6native12_GLOBAL__N_18offset_tEEE10hipError_tPvRmT1_PNSt15iterator_traitsISK_E10value_typeET2_T3_PNSL_ISQ_E10value_typeET4_jRbjT5_SW_jjP12ihipStream_tbEUlT_E0_NS1_11comp_targetILNS1_3genE10ELNS1_11target_archE1200ELNS1_3gpuE4ELNS1_3repE0EEENS1_60segmented_radix_sort_warp_sort_medium_config_static_selectorELNS0_4arch9wavefront6targetE0EEEvSK_: ; @_ZN7rocprim17ROCPRIM_400000_NS6detail17trampoline_kernelINS0_14default_configENS1_36segmented_radix_sort_config_selectorIblEEZNS1_25segmented_radix_sort_implIS3_Lb1EPKbPbPKlPlN2at6native12_GLOBAL__N_18offset_tEEE10hipError_tPvRmT1_PNSt15iterator_traitsISK_E10value_typeET2_T3_PNSL_ISQ_E10value_typeET4_jRbjT5_SW_jjP12ihipStream_tbEUlT_E0_NS1_11comp_targetILNS1_3genE10ELNS1_11target_archE1200ELNS1_3gpuE4ELNS1_3repE0EEENS1_60segmented_radix_sort_warp_sort_medium_config_static_selectorELNS0_4arch9wavefront6targetE0EEEvSK_
; %bb.0:
	.section	.rodata,"a",@progbits
	.p2align	6, 0x0
	.amdhsa_kernel _ZN7rocprim17ROCPRIM_400000_NS6detail17trampoline_kernelINS0_14default_configENS1_36segmented_radix_sort_config_selectorIblEEZNS1_25segmented_radix_sort_implIS3_Lb1EPKbPbPKlPlN2at6native12_GLOBAL__N_18offset_tEEE10hipError_tPvRmT1_PNSt15iterator_traitsISK_E10value_typeET2_T3_PNSL_ISQ_E10value_typeET4_jRbjT5_SW_jjP12ihipStream_tbEUlT_E0_NS1_11comp_targetILNS1_3genE10ELNS1_11target_archE1200ELNS1_3gpuE4ELNS1_3repE0EEENS1_60segmented_radix_sort_warp_sort_medium_config_static_selectorELNS0_4arch9wavefront6targetE0EEEvSK_
		.amdhsa_group_segment_fixed_size 0
		.amdhsa_private_segment_fixed_size 0
		.amdhsa_kernarg_size 88
		.amdhsa_user_sgpr_count 6
		.amdhsa_user_sgpr_private_segment_buffer 1
		.amdhsa_user_sgpr_dispatch_ptr 0
		.amdhsa_user_sgpr_queue_ptr 0
		.amdhsa_user_sgpr_kernarg_segment_ptr 1
		.amdhsa_user_sgpr_dispatch_id 0
		.amdhsa_user_sgpr_flat_scratch_init 0
		.amdhsa_user_sgpr_private_segment_size 0
		.amdhsa_wavefront_size32 1
		.amdhsa_uses_dynamic_stack 0
		.amdhsa_system_sgpr_private_segment_wavefront_offset 0
		.amdhsa_system_sgpr_workgroup_id_x 1
		.amdhsa_system_sgpr_workgroup_id_y 0
		.amdhsa_system_sgpr_workgroup_id_z 0
		.amdhsa_system_sgpr_workgroup_info 0
		.amdhsa_system_vgpr_workitem_id 0
		.amdhsa_next_free_vgpr 1
		.amdhsa_next_free_sgpr 1
		.amdhsa_reserve_vcc 0
		.amdhsa_reserve_flat_scratch 0
		.amdhsa_float_round_mode_32 0
		.amdhsa_float_round_mode_16_64 0
		.amdhsa_float_denorm_mode_32 3
		.amdhsa_float_denorm_mode_16_64 3
		.amdhsa_dx10_clamp 1
		.amdhsa_ieee_mode 1
		.amdhsa_fp16_overflow 0
		.amdhsa_workgroup_processor_mode 1
		.amdhsa_memory_ordered 1
		.amdhsa_forward_progress 1
		.amdhsa_shared_vgpr_count 0
		.amdhsa_exception_fp_ieee_invalid_op 0
		.amdhsa_exception_fp_denorm_src 0
		.amdhsa_exception_fp_ieee_div_zero 0
		.amdhsa_exception_fp_ieee_overflow 0
		.amdhsa_exception_fp_ieee_underflow 0
		.amdhsa_exception_fp_ieee_inexact 0
		.amdhsa_exception_int_div_zero 0
	.end_amdhsa_kernel
	.section	.text._ZN7rocprim17ROCPRIM_400000_NS6detail17trampoline_kernelINS0_14default_configENS1_36segmented_radix_sort_config_selectorIblEEZNS1_25segmented_radix_sort_implIS3_Lb1EPKbPbPKlPlN2at6native12_GLOBAL__N_18offset_tEEE10hipError_tPvRmT1_PNSt15iterator_traitsISK_E10value_typeET2_T3_PNSL_ISQ_E10value_typeET4_jRbjT5_SW_jjP12ihipStream_tbEUlT_E0_NS1_11comp_targetILNS1_3genE10ELNS1_11target_archE1200ELNS1_3gpuE4ELNS1_3repE0EEENS1_60segmented_radix_sort_warp_sort_medium_config_static_selectorELNS0_4arch9wavefront6targetE0EEEvSK_,"axG",@progbits,_ZN7rocprim17ROCPRIM_400000_NS6detail17trampoline_kernelINS0_14default_configENS1_36segmented_radix_sort_config_selectorIblEEZNS1_25segmented_radix_sort_implIS3_Lb1EPKbPbPKlPlN2at6native12_GLOBAL__N_18offset_tEEE10hipError_tPvRmT1_PNSt15iterator_traitsISK_E10value_typeET2_T3_PNSL_ISQ_E10value_typeET4_jRbjT5_SW_jjP12ihipStream_tbEUlT_E0_NS1_11comp_targetILNS1_3genE10ELNS1_11target_archE1200ELNS1_3gpuE4ELNS1_3repE0EEENS1_60segmented_radix_sort_warp_sort_medium_config_static_selectorELNS0_4arch9wavefront6targetE0EEEvSK_,comdat
.Lfunc_end1540:
	.size	_ZN7rocprim17ROCPRIM_400000_NS6detail17trampoline_kernelINS0_14default_configENS1_36segmented_radix_sort_config_selectorIblEEZNS1_25segmented_radix_sort_implIS3_Lb1EPKbPbPKlPlN2at6native12_GLOBAL__N_18offset_tEEE10hipError_tPvRmT1_PNSt15iterator_traitsISK_E10value_typeET2_T3_PNSL_ISQ_E10value_typeET4_jRbjT5_SW_jjP12ihipStream_tbEUlT_E0_NS1_11comp_targetILNS1_3genE10ELNS1_11target_archE1200ELNS1_3gpuE4ELNS1_3repE0EEENS1_60segmented_radix_sort_warp_sort_medium_config_static_selectorELNS0_4arch9wavefront6targetE0EEEvSK_, .Lfunc_end1540-_ZN7rocprim17ROCPRIM_400000_NS6detail17trampoline_kernelINS0_14default_configENS1_36segmented_radix_sort_config_selectorIblEEZNS1_25segmented_radix_sort_implIS3_Lb1EPKbPbPKlPlN2at6native12_GLOBAL__N_18offset_tEEE10hipError_tPvRmT1_PNSt15iterator_traitsISK_E10value_typeET2_T3_PNSL_ISQ_E10value_typeET4_jRbjT5_SW_jjP12ihipStream_tbEUlT_E0_NS1_11comp_targetILNS1_3genE10ELNS1_11target_archE1200ELNS1_3gpuE4ELNS1_3repE0EEENS1_60segmented_radix_sort_warp_sort_medium_config_static_selectorELNS0_4arch9wavefront6targetE0EEEvSK_
                                        ; -- End function
	.set _ZN7rocprim17ROCPRIM_400000_NS6detail17trampoline_kernelINS0_14default_configENS1_36segmented_radix_sort_config_selectorIblEEZNS1_25segmented_radix_sort_implIS3_Lb1EPKbPbPKlPlN2at6native12_GLOBAL__N_18offset_tEEE10hipError_tPvRmT1_PNSt15iterator_traitsISK_E10value_typeET2_T3_PNSL_ISQ_E10value_typeET4_jRbjT5_SW_jjP12ihipStream_tbEUlT_E0_NS1_11comp_targetILNS1_3genE10ELNS1_11target_archE1200ELNS1_3gpuE4ELNS1_3repE0EEENS1_60segmented_radix_sort_warp_sort_medium_config_static_selectorELNS0_4arch9wavefront6targetE0EEEvSK_.num_vgpr, 0
	.set _ZN7rocprim17ROCPRIM_400000_NS6detail17trampoline_kernelINS0_14default_configENS1_36segmented_radix_sort_config_selectorIblEEZNS1_25segmented_radix_sort_implIS3_Lb1EPKbPbPKlPlN2at6native12_GLOBAL__N_18offset_tEEE10hipError_tPvRmT1_PNSt15iterator_traitsISK_E10value_typeET2_T3_PNSL_ISQ_E10value_typeET4_jRbjT5_SW_jjP12ihipStream_tbEUlT_E0_NS1_11comp_targetILNS1_3genE10ELNS1_11target_archE1200ELNS1_3gpuE4ELNS1_3repE0EEENS1_60segmented_radix_sort_warp_sort_medium_config_static_selectorELNS0_4arch9wavefront6targetE0EEEvSK_.num_agpr, 0
	.set _ZN7rocprim17ROCPRIM_400000_NS6detail17trampoline_kernelINS0_14default_configENS1_36segmented_radix_sort_config_selectorIblEEZNS1_25segmented_radix_sort_implIS3_Lb1EPKbPbPKlPlN2at6native12_GLOBAL__N_18offset_tEEE10hipError_tPvRmT1_PNSt15iterator_traitsISK_E10value_typeET2_T3_PNSL_ISQ_E10value_typeET4_jRbjT5_SW_jjP12ihipStream_tbEUlT_E0_NS1_11comp_targetILNS1_3genE10ELNS1_11target_archE1200ELNS1_3gpuE4ELNS1_3repE0EEENS1_60segmented_radix_sort_warp_sort_medium_config_static_selectorELNS0_4arch9wavefront6targetE0EEEvSK_.numbered_sgpr, 0
	.set _ZN7rocprim17ROCPRIM_400000_NS6detail17trampoline_kernelINS0_14default_configENS1_36segmented_radix_sort_config_selectorIblEEZNS1_25segmented_radix_sort_implIS3_Lb1EPKbPbPKlPlN2at6native12_GLOBAL__N_18offset_tEEE10hipError_tPvRmT1_PNSt15iterator_traitsISK_E10value_typeET2_T3_PNSL_ISQ_E10value_typeET4_jRbjT5_SW_jjP12ihipStream_tbEUlT_E0_NS1_11comp_targetILNS1_3genE10ELNS1_11target_archE1200ELNS1_3gpuE4ELNS1_3repE0EEENS1_60segmented_radix_sort_warp_sort_medium_config_static_selectorELNS0_4arch9wavefront6targetE0EEEvSK_.num_named_barrier, 0
	.set _ZN7rocprim17ROCPRIM_400000_NS6detail17trampoline_kernelINS0_14default_configENS1_36segmented_radix_sort_config_selectorIblEEZNS1_25segmented_radix_sort_implIS3_Lb1EPKbPbPKlPlN2at6native12_GLOBAL__N_18offset_tEEE10hipError_tPvRmT1_PNSt15iterator_traitsISK_E10value_typeET2_T3_PNSL_ISQ_E10value_typeET4_jRbjT5_SW_jjP12ihipStream_tbEUlT_E0_NS1_11comp_targetILNS1_3genE10ELNS1_11target_archE1200ELNS1_3gpuE4ELNS1_3repE0EEENS1_60segmented_radix_sort_warp_sort_medium_config_static_selectorELNS0_4arch9wavefront6targetE0EEEvSK_.private_seg_size, 0
	.set _ZN7rocprim17ROCPRIM_400000_NS6detail17trampoline_kernelINS0_14default_configENS1_36segmented_radix_sort_config_selectorIblEEZNS1_25segmented_radix_sort_implIS3_Lb1EPKbPbPKlPlN2at6native12_GLOBAL__N_18offset_tEEE10hipError_tPvRmT1_PNSt15iterator_traitsISK_E10value_typeET2_T3_PNSL_ISQ_E10value_typeET4_jRbjT5_SW_jjP12ihipStream_tbEUlT_E0_NS1_11comp_targetILNS1_3genE10ELNS1_11target_archE1200ELNS1_3gpuE4ELNS1_3repE0EEENS1_60segmented_radix_sort_warp_sort_medium_config_static_selectorELNS0_4arch9wavefront6targetE0EEEvSK_.uses_vcc, 0
	.set _ZN7rocprim17ROCPRIM_400000_NS6detail17trampoline_kernelINS0_14default_configENS1_36segmented_radix_sort_config_selectorIblEEZNS1_25segmented_radix_sort_implIS3_Lb1EPKbPbPKlPlN2at6native12_GLOBAL__N_18offset_tEEE10hipError_tPvRmT1_PNSt15iterator_traitsISK_E10value_typeET2_T3_PNSL_ISQ_E10value_typeET4_jRbjT5_SW_jjP12ihipStream_tbEUlT_E0_NS1_11comp_targetILNS1_3genE10ELNS1_11target_archE1200ELNS1_3gpuE4ELNS1_3repE0EEENS1_60segmented_radix_sort_warp_sort_medium_config_static_selectorELNS0_4arch9wavefront6targetE0EEEvSK_.uses_flat_scratch, 0
	.set _ZN7rocprim17ROCPRIM_400000_NS6detail17trampoline_kernelINS0_14default_configENS1_36segmented_radix_sort_config_selectorIblEEZNS1_25segmented_radix_sort_implIS3_Lb1EPKbPbPKlPlN2at6native12_GLOBAL__N_18offset_tEEE10hipError_tPvRmT1_PNSt15iterator_traitsISK_E10value_typeET2_T3_PNSL_ISQ_E10value_typeET4_jRbjT5_SW_jjP12ihipStream_tbEUlT_E0_NS1_11comp_targetILNS1_3genE10ELNS1_11target_archE1200ELNS1_3gpuE4ELNS1_3repE0EEENS1_60segmented_radix_sort_warp_sort_medium_config_static_selectorELNS0_4arch9wavefront6targetE0EEEvSK_.has_dyn_sized_stack, 0
	.set _ZN7rocprim17ROCPRIM_400000_NS6detail17trampoline_kernelINS0_14default_configENS1_36segmented_radix_sort_config_selectorIblEEZNS1_25segmented_radix_sort_implIS3_Lb1EPKbPbPKlPlN2at6native12_GLOBAL__N_18offset_tEEE10hipError_tPvRmT1_PNSt15iterator_traitsISK_E10value_typeET2_T3_PNSL_ISQ_E10value_typeET4_jRbjT5_SW_jjP12ihipStream_tbEUlT_E0_NS1_11comp_targetILNS1_3genE10ELNS1_11target_archE1200ELNS1_3gpuE4ELNS1_3repE0EEENS1_60segmented_radix_sort_warp_sort_medium_config_static_selectorELNS0_4arch9wavefront6targetE0EEEvSK_.has_recursion, 0
	.set _ZN7rocprim17ROCPRIM_400000_NS6detail17trampoline_kernelINS0_14default_configENS1_36segmented_radix_sort_config_selectorIblEEZNS1_25segmented_radix_sort_implIS3_Lb1EPKbPbPKlPlN2at6native12_GLOBAL__N_18offset_tEEE10hipError_tPvRmT1_PNSt15iterator_traitsISK_E10value_typeET2_T3_PNSL_ISQ_E10value_typeET4_jRbjT5_SW_jjP12ihipStream_tbEUlT_E0_NS1_11comp_targetILNS1_3genE10ELNS1_11target_archE1200ELNS1_3gpuE4ELNS1_3repE0EEENS1_60segmented_radix_sort_warp_sort_medium_config_static_selectorELNS0_4arch9wavefront6targetE0EEEvSK_.has_indirect_call, 0
	.section	.AMDGPU.csdata,"",@progbits
; Kernel info:
; codeLenInByte = 0
; TotalNumSgprs: 0
; NumVgprs: 0
; ScratchSize: 0
; MemoryBound: 0
; FloatMode: 240
; IeeeMode: 1
; LDSByteSize: 0 bytes/workgroup (compile time only)
; SGPRBlocks: 0
; VGPRBlocks: 0
; NumSGPRsForWavesPerEU: 1
; NumVGPRsForWavesPerEU: 1
; Occupancy: 16
; WaveLimiterHint : 0
; COMPUTE_PGM_RSRC2:SCRATCH_EN: 0
; COMPUTE_PGM_RSRC2:USER_SGPR: 6
; COMPUTE_PGM_RSRC2:TRAP_HANDLER: 0
; COMPUTE_PGM_RSRC2:TGID_X_EN: 1
; COMPUTE_PGM_RSRC2:TGID_Y_EN: 0
; COMPUTE_PGM_RSRC2:TGID_Z_EN: 0
; COMPUTE_PGM_RSRC2:TIDIG_COMP_CNT: 0
	.section	.text._ZN7rocprim17ROCPRIM_400000_NS6detail17trampoline_kernelINS0_14default_configENS1_36segmented_radix_sort_config_selectorIblEEZNS1_25segmented_radix_sort_implIS3_Lb1EPKbPbPKlPlN2at6native12_GLOBAL__N_18offset_tEEE10hipError_tPvRmT1_PNSt15iterator_traitsISK_E10value_typeET2_T3_PNSL_ISQ_E10value_typeET4_jRbjT5_SW_jjP12ihipStream_tbEUlT_E0_NS1_11comp_targetILNS1_3genE9ELNS1_11target_archE1100ELNS1_3gpuE3ELNS1_3repE0EEENS1_60segmented_radix_sort_warp_sort_medium_config_static_selectorELNS0_4arch9wavefront6targetE0EEEvSK_,"axG",@progbits,_ZN7rocprim17ROCPRIM_400000_NS6detail17trampoline_kernelINS0_14default_configENS1_36segmented_radix_sort_config_selectorIblEEZNS1_25segmented_radix_sort_implIS3_Lb1EPKbPbPKlPlN2at6native12_GLOBAL__N_18offset_tEEE10hipError_tPvRmT1_PNSt15iterator_traitsISK_E10value_typeET2_T3_PNSL_ISQ_E10value_typeET4_jRbjT5_SW_jjP12ihipStream_tbEUlT_E0_NS1_11comp_targetILNS1_3genE9ELNS1_11target_archE1100ELNS1_3gpuE3ELNS1_3repE0EEENS1_60segmented_radix_sort_warp_sort_medium_config_static_selectorELNS0_4arch9wavefront6targetE0EEEvSK_,comdat
	.globl	_ZN7rocprim17ROCPRIM_400000_NS6detail17trampoline_kernelINS0_14default_configENS1_36segmented_radix_sort_config_selectorIblEEZNS1_25segmented_radix_sort_implIS3_Lb1EPKbPbPKlPlN2at6native12_GLOBAL__N_18offset_tEEE10hipError_tPvRmT1_PNSt15iterator_traitsISK_E10value_typeET2_T3_PNSL_ISQ_E10value_typeET4_jRbjT5_SW_jjP12ihipStream_tbEUlT_E0_NS1_11comp_targetILNS1_3genE9ELNS1_11target_archE1100ELNS1_3gpuE3ELNS1_3repE0EEENS1_60segmented_radix_sort_warp_sort_medium_config_static_selectorELNS0_4arch9wavefront6targetE0EEEvSK_ ; -- Begin function _ZN7rocprim17ROCPRIM_400000_NS6detail17trampoline_kernelINS0_14default_configENS1_36segmented_radix_sort_config_selectorIblEEZNS1_25segmented_radix_sort_implIS3_Lb1EPKbPbPKlPlN2at6native12_GLOBAL__N_18offset_tEEE10hipError_tPvRmT1_PNSt15iterator_traitsISK_E10value_typeET2_T3_PNSL_ISQ_E10value_typeET4_jRbjT5_SW_jjP12ihipStream_tbEUlT_E0_NS1_11comp_targetILNS1_3genE9ELNS1_11target_archE1100ELNS1_3gpuE3ELNS1_3repE0EEENS1_60segmented_radix_sort_warp_sort_medium_config_static_selectorELNS0_4arch9wavefront6targetE0EEEvSK_
	.p2align	8
	.type	_ZN7rocprim17ROCPRIM_400000_NS6detail17trampoline_kernelINS0_14default_configENS1_36segmented_radix_sort_config_selectorIblEEZNS1_25segmented_radix_sort_implIS3_Lb1EPKbPbPKlPlN2at6native12_GLOBAL__N_18offset_tEEE10hipError_tPvRmT1_PNSt15iterator_traitsISK_E10value_typeET2_T3_PNSL_ISQ_E10value_typeET4_jRbjT5_SW_jjP12ihipStream_tbEUlT_E0_NS1_11comp_targetILNS1_3genE9ELNS1_11target_archE1100ELNS1_3gpuE3ELNS1_3repE0EEENS1_60segmented_radix_sort_warp_sort_medium_config_static_selectorELNS0_4arch9wavefront6targetE0EEEvSK_,@function
_ZN7rocprim17ROCPRIM_400000_NS6detail17trampoline_kernelINS0_14default_configENS1_36segmented_radix_sort_config_selectorIblEEZNS1_25segmented_radix_sort_implIS3_Lb1EPKbPbPKlPlN2at6native12_GLOBAL__N_18offset_tEEE10hipError_tPvRmT1_PNSt15iterator_traitsISK_E10value_typeET2_T3_PNSL_ISQ_E10value_typeET4_jRbjT5_SW_jjP12ihipStream_tbEUlT_E0_NS1_11comp_targetILNS1_3genE9ELNS1_11target_archE1100ELNS1_3gpuE3ELNS1_3repE0EEENS1_60segmented_radix_sort_warp_sort_medium_config_static_selectorELNS0_4arch9wavefront6targetE0EEEvSK_: ; @_ZN7rocprim17ROCPRIM_400000_NS6detail17trampoline_kernelINS0_14default_configENS1_36segmented_radix_sort_config_selectorIblEEZNS1_25segmented_radix_sort_implIS3_Lb1EPKbPbPKlPlN2at6native12_GLOBAL__N_18offset_tEEE10hipError_tPvRmT1_PNSt15iterator_traitsISK_E10value_typeET2_T3_PNSL_ISQ_E10value_typeET4_jRbjT5_SW_jjP12ihipStream_tbEUlT_E0_NS1_11comp_targetILNS1_3genE9ELNS1_11target_archE1100ELNS1_3gpuE3ELNS1_3repE0EEENS1_60segmented_radix_sort_warp_sort_medium_config_static_selectorELNS0_4arch9wavefront6targetE0EEEvSK_
; %bb.0:
	.section	.rodata,"a",@progbits
	.p2align	6, 0x0
	.amdhsa_kernel _ZN7rocprim17ROCPRIM_400000_NS6detail17trampoline_kernelINS0_14default_configENS1_36segmented_radix_sort_config_selectorIblEEZNS1_25segmented_radix_sort_implIS3_Lb1EPKbPbPKlPlN2at6native12_GLOBAL__N_18offset_tEEE10hipError_tPvRmT1_PNSt15iterator_traitsISK_E10value_typeET2_T3_PNSL_ISQ_E10value_typeET4_jRbjT5_SW_jjP12ihipStream_tbEUlT_E0_NS1_11comp_targetILNS1_3genE9ELNS1_11target_archE1100ELNS1_3gpuE3ELNS1_3repE0EEENS1_60segmented_radix_sort_warp_sort_medium_config_static_selectorELNS0_4arch9wavefront6targetE0EEEvSK_
		.amdhsa_group_segment_fixed_size 0
		.amdhsa_private_segment_fixed_size 0
		.amdhsa_kernarg_size 88
		.amdhsa_user_sgpr_count 6
		.amdhsa_user_sgpr_private_segment_buffer 1
		.amdhsa_user_sgpr_dispatch_ptr 0
		.amdhsa_user_sgpr_queue_ptr 0
		.amdhsa_user_sgpr_kernarg_segment_ptr 1
		.amdhsa_user_sgpr_dispatch_id 0
		.amdhsa_user_sgpr_flat_scratch_init 0
		.amdhsa_user_sgpr_private_segment_size 0
		.amdhsa_wavefront_size32 1
		.amdhsa_uses_dynamic_stack 0
		.amdhsa_system_sgpr_private_segment_wavefront_offset 0
		.amdhsa_system_sgpr_workgroup_id_x 1
		.amdhsa_system_sgpr_workgroup_id_y 0
		.amdhsa_system_sgpr_workgroup_id_z 0
		.amdhsa_system_sgpr_workgroup_info 0
		.amdhsa_system_vgpr_workitem_id 0
		.amdhsa_next_free_vgpr 1
		.amdhsa_next_free_sgpr 1
		.amdhsa_reserve_vcc 0
		.amdhsa_reserve_flat_scratch 0
		.amdhsa_float_round_mode_32 0
		.amdhsa_float_round_mode_16_64 0
		.amdhsa_float_denorm_mode_32 3
		.amdhsa_float_denorm_mode_16_64 3
		.amdhsa_dx10_clamp 1
		.amdhsa_ieee_mode 1
		.amdhsa_fp16_overflow 0
		.amdhsa_workgroup_processor_mode 1
		.amdhsa_memory_ordered 1
		.amdhsa_forward_progress 1
		.amdhsa_shared_vgpr_count 0
		.amdhsa_exception_fp_ieee_invalid_op 0
		.amdhsa_exception_fp_denorm_src 0
		.amdhsa_exception_fp_ieee_div_zero 0
		.amdhsa_exception_fp_ieee_overflow 0
		.amdhsa_exception_fp_ieee_underflow 0
		.amdhsa_exception_fp_ieee_inexact 0
		.amdhsa_exception_int_div_zero 0
	.end_amdhsa_kernel
	.section	.text._ZN7rocprim17ROCPRIM_400000_NS6detail17trampoline_kernelINS0_14default_configENS1_36segmented_radix_sort_config_selectorIblEEZNS1_25segmented_radix_sort_implIS3_Lb1EPKbPbPKlPlN2at6native12_GLOBAL__N_18offset_tEEE10hipError_tPvRmT1_PNSt15iterator_traitsISK_E10value_typeET2_T3_PNSL_ISQ_E10value_typeET4_jRbjT5_SW_jjP12ihipStream_tbEUlT_E0_NS1_11comp_targetILNS1_3genE9ELNS1_11target_archE1100ELNS1_3gpuE3ELNS1_3repE0EEENS1_60segmented_radix_sort_warp_sort_medium_config_static_selectorELNS0_4arch9wavefront6targetE0EEEvSK_,"axG",@progbits,_ZN7rocprim17ROCPRIM_400000_NS6detail17trampoline_kernelINS0_14default_configENS1_36segmented_radix_sort_config_selectorIblEEZNS1_25segmented_radix_sort_implIS3_Lb1EPKbPbPKlPlN2at6native12_GLOBAL__N_18offset_tEEE10hipError_tPvRmT1_PNSt15iterator_traitsISK_E10value_typeET2_T3_PNSL_ISQ_E10value_typeET4_jRbjT5_SW_jjP12ihipStream_tbEUlT_E0_NS1_11comp_targetILNS1_3genE9ELNS1_11target_archE1100ELNS1_3gpuE3ELNS1_3repE0EEENS1_60segmented_radix_sort_warp_sort_medium_config_static_selectorELNS0_4arch9wavefront6targetE0EEEvSK_,comdat
.Lfunc_end1541:
	.size	_ZN7rocprim17ROCPRIM_400000_NS6detail17trampoline_kernelINS0_14default_configENS1_36segmented_radix_sort_config_selectorIblEEZNS1_25segmented_radix_sort_implIS3_Lb1EPKbPbPKlPlN2at6native12_GLOBAL__N_18offset_tEEE10hipError_tPvRmT1_PNSt15iterator_traitsISK_E10value_typeET2_T3_PNSL_ISQ_E10value_typeET4_jRbjT5_SW_jjP12ihipStream_tbEUlT_E0_NS1_11comp_targetILNS1_3genE9ELNS1_11target_archE1100ELNS1_3gpuE3ELNS1_3repE0EEENS1_60segmented_radix_sort_warp_sort_medium_config_static_selectorELNS0_4arch9wavefront6targetE0EEEvSK_, .Lfunc_end1541-_ZN7rocprim17ROCPRIM_400000_NS6detail17trampoline_kernelINS0_14default_configENS1_36segmented_radix_sort_config_selectorIblEEZNS1_25segmented_radix_sort_implIS3_Lb1EPKbPbPKlPlN2at6native12_GLOBAL__N_18offset_tEEE10hipError_tPvRmT1_PNSt15iterator_traitsISK_E10value_typeET2_T3_PNSL_ISQ_E10value_typeET4_jRbjT5_SW_jjP12ihipStream_tbEUlT_E0_NS1_11comp_targetILNS1_3genE9ELNS1_11target_archE1100ELNS1_3gpuE3ELNS1_3repE0EEENS1_60segmented_radix_sort_warp_sort_medium_config_static_selectorELNS0_4arch9wavefront6targetE0EEEvSK_
                                        ; -- End function
	.set _ZN7rocprim17ROCPRIM_400000_NS6detail17trampoline_kernelINS0_14default_configENS1_36segmented_radix_sort_config_selectorIblEEZNS1_25segmented_radix_sort_implIS3_Lb1EPKbPbPKlPlN2at6native12_GLOBAL__N_18offset_tEEE10hipError_tPvRmT1_PNSt15iterator_traitsISK_E10value_typeET2_T3_PNSL_ISQ_E10value_typeET4_jRbjT5_SW_jjP12ihipStream_tbEUlT_E0_NS1_11comp_targetILNS1_3genE9ELNS1_11target_archE1100ELNS1_3gpuE3ELNS1_3repE0EEENS1_60segmented_radix_sort_warp_sort_medium_config_static_selectorELNS0_4arch9wavefront6targetE0EEEvSK_.num_vgpr, 0
	.set _ZN7rocprim17ROCPRIM_400000_NS6detail17trampoline_kernelINS0_14default_configENS1_36segmented_radix_sort_config_selectorIblEEZNS1_25segmented_radix_sort_implIS3_Lb1EPKbPbPKlPlN2at6native12_GLOBAL__N_18offset_tEEE10hipError_tPvRmT1_PNSt15iterator_traitsISK_E10value_typeET2_T3_PNSL_ISQ_E10value_typeET4_jRbjT5_SW_jjP12ihipStream_tbEUlT_E0_NS1_11comp_targetILNS1_3genE9ELNS1_11target_archE1100ELNS1_3gpuE3ELNS1_3repE0EEENS1_60segmented_radix_sort_warp_sort_medium_config_static_selectorELNS0_4arch9wavefront6targetE0EEEvSK_.num_agpr, 0
	.set _ZN7rocprim17ROCPRIM_400000_NS6detail17trampoline_kernelINS0_14default_configENS1_36segmented_radix_sort_config_selectorIblEEZNS1_25segmented_radix_sort_implIS3_Lb1EPKbPbPKlPlN2at6native12_GLOBAL__N_18offset_tEEE10hipError_tPvRmT1_PNSt15iterator_traitsISK_E10value_typeET2_T3_PNSL_ISQ_E10value_typeET4_jRbjT5_SW_jjP12ihipStream_tbEUlT_E0_NS1_11comp_targetILNS1_3genE9ELNS1_11target_archE1100ELNS1_3gpuE3ELNS1_3repE0EEENS1_60segmented_radix_sort_warp_sort_medium_config_static_selectorELNS0_4arch9wavefront6targetE0EEEvSK_.numbered_sgpr, 0
	.set _ZN7rocprim17ROCPRIM_400000_NS6detail17trampoline_kernelINS0_14default_configENS1_36segmented_radix_sort_config_selectorIblEEZNS1_25segmented_radix_sort_implIS3_Lb1EPKbPbPKlPlN2at6native12_GLOBAL__N_18offset_tEEE10hipError_tPvRmT1_PNSt15iterator_traitsISK_E10value_typeET2_T3_PNSL_ISQ_E10value_typeET4_jRbjT5_SW_jjP12ihipStream_tbEUlT_E0_NS1_11comp_targetILNS1_3genE9ELNS1_11target_archE1100ELNS1_3gpuE3ELNS1_3repE0EEENS1_60segmented_radix_sort_warp_sort_medium_config_static_selectorELNS0_4arch9wavefront6targetE0EEEvSK_.num_named_barrier, 0
	.set _ZN7rocprim17ROCPRIM_400000_NS6detail17trampoline_kernelINS0_14default_configENS1_36segmented_radix_sort_config_selectorIblEEZNS1_25segmented_radix_sort_implIS3_Lb1EPKbPbPKlPlN2at6native12_GLOBAL__N_18offset_tEEE10hipError_tPvRmT1_PNSt15iterator_traitsISK_E10value_typeET2_T3_PNSL_ISQ_E10value_typeET4_jRbjT5_SW_jjP12ihipStream_tbEUlT_E0_NS1_11comp_targetILNS1_3genE9ELNS1_11target_archE1100ELNS1_3gpuE3ELNS1_3repE0EEENS1_60segmented_radix_sort_warp_sort_medium_config_static_selectorELNS0_4arch9wavefront6targetE0EEEvSK_.private_seg_size, 0
	.set _ZN7rocprim17ROCPRIM_400000_NS6detail17trampoline_kernelINS0_14default_configENS1_36segmented_radix_sort_config_selectorIblEEZNS1_25segmented_radix_sort_implIS3_Lb1EPKbPbPKlPlN2at6native12_GLOBAL__N_18offset_tEEE10hipError_tPvRmT1_PNSt15iterator_traitsISK_E10value_typeET2_T3_PNSL_ISQ_E10value_typeET4_jRbjT5_SW_jjP12ihipStream_tbEUlT_E0_NS1_11comp_targetILNS1_3genE9ELNS1_11target_archE1100ELNS1_3gpuE3ELNS1_3repE0EEENS1_60segmented_radix_sort_warp_sort_medium_config_static_selectorELNS0_4arch9wavefront6targetE0EEEvSK_.uses_vcc, 0
	.set _ZN7rocprim17ROCPRIM_400000_NS6detail17trampoline_kernelINS0_14default_configENS1_36segmented_radix_sort_config_selectorIblEEZNS1_25segmented_radix_sort_implIS3_Lb1EPKbPbPKlPlN2at6native12_GLOBAL__N_18offset_tEEE10hipError_tPvRmT1_PNSt15iterator_traitsISK_E10value_typeET2_T3_PNSL_ISQ_E10value_typeET4_jRbjT5_SW_jjP12ihipStream_tbEUlT_E0_NS1_11comp_targetILNS1_3genE9ELNS1_11target_archE1100ELNS1_3gpuE3ELNS1_3repE0EEENS1_60segmented_radix_sort_warp_sort_medium_config_static_selectorELNS0_4arch9wavefront6targetE0EEEvSK_.uses_flat_scratch, 0
	.set _ZN7rocprim17ROCPRIM_400000_NS6detail17trampoline_kernelINS0_14default_configENS1_36segmented_radix_sort_config_selectorIblEEZNS1_25segmented_radix_sort_implIS3_Lb1EPKbPbPKlPlN2at6native12_GLOBAL__N_18offset_tEEE10hipError_tPvRmT1_PNSt15iterator_traitsISK_E10value_typeET2_T3_PNSL_ISQ_E10value_typeET4_jRbjT5_SW_jjP12ihipStream_tbEUlT_E0_NS1_11comp_targetILNS1_3genE9ELNS1_11target_archE1100ELNS1_3gpuE3ELNS1_3repE0EEENS1_60segmented_radix_sort_warp_sort_medium_config_static_selectorELNS0_4arch9wavefront6targetE0EEEvSK_.has_dyn_sized_stack, 0
	.set _ZN7rocprim17ROCPRIM_400000_NS6detail17trampoline_kernelINS0_14default_configENS1_36segmented_radix_sort_config_selectorIblEEZNS1_25segmented_radix_sort_implIS3_Lb1EPKbPbPKlPlN2at6native12_GLOBAL__N_18offset_tEEE10hipError_tPvRmT1_PNSt15iterator_traitsISK_E10value_typeET2_T3_PNSL_ISQ_E10value_typeET4_jRbjT5_SW_jjP12ihipStream_tbEUlT_E0_NS1_11comp_targetILNS1_3genE9ELNS1_11target_archE1100ELNS1_3gpuE3ELNS1_3repE0EEENS1_60segmented_radix_sort_warp_sort_medium_config_static_selectorELNS0_4arch9wavefront6targetE0EEEvSK_.has_recursion, 0
	.set _ZN7rocprim17ROCPRIM_400000_NS6detail17trampoline_kernelINS0_14default_configENS1_36segmented_radix_sort_config_selectorIblEEZNS1_25segmented_radix_sort_implIS3_Lb1EPKbPbPKlPlN2at6native12_GLOBAL__N_18offset_tEEE10hipError_tPvRmT1_PNSt15iterator_traitsISK_E10value_typeET2_T3_PNSL_ISQ_E10value_typeET4_jRbjT5_SW_jjP12ihipStream_tbEUlT_E0_NS1_11comp_targetILNS1_3genE9ELNS1_11target_archE1100ELNS1_3gpuE3ELNS1_3repE0EEENS1_60segmented_radix_sort_warp_sort_medium_config_static_selectorELNS0_4arch9wavefront6targetE0EEEvSK_.has_indirect_call, 0
	.section	.AMDGPU.csdata,"",@progbits
; Kernel info:
; codeLenInByte = 0
; TotalNumSgprs: 0
; NumVgprs: 0
; ScratchSize: 0
; MemoryBound: 0
; FloatMode: 240
; IeeeMode: 1
; LDSByteSize: 0 bytes/workgroup (compile time only)
; SGPRBlocks: 0
; VGPRBlocks: 0
; NumSGPRsForWavesPerEU: 1
; NumVGPRsForWavesPerEU: 1
; Occupancy: 16
; WaveLimiterHint : 0
; COMPUTE_PGM_RSRC2:SCRATCH_EN: 0
; COMPUTE_PGM_RSRC2:USER_SGPR: 6
; COMPUTE_PGM_RSRC2:TRAP_HANDLER: 0
; COMPUTE_PGM_RSRC2:TGID_X_EN: 1
; COMPUTE_PGM_RSRC2:TGID_Y_EN: 0
; COMPUTE_PGM_RSRC2:TGID_Z_EN: 0
; COMPUTE_PGM_RSRC2:TIDIG_COMP_CNT: 0
	.text
	.p2align	2                               ; -- Begin function _ZN7rocprim17ROCPRIM_400000_NS6detail26segmented_warp_sort_helperINS1_20WarpSortHelperConfigILj32ELj4ELj256EEEblLi256ELb1EvE4sortIPKbPbPKlPlEEvT_T0_T1_T2_jjjjRNS5_12storage_typeE
	.type	_ZN7rocprim17ROCPRIM_400000_NS6detail26segmented_warp_sort_helperINS1_20WarpSortHelperConfigILj32ELj4ELj256EEEblLi256ELb1EvE4sortIPKbPbPKlPlEEvT_T0_T1_T2_jjjjRNS5_12storage_typeE,@function
_ZN7rocprim17ROCPRIM_400000_NS6detail26segmented_warp_sort_helperINS1_20WarpSortHelperConfigILj32ELj4ELj256EEEblLi256ELb1EvE4sortIPKbPbPKlPlEEvT_T0_T1_T2_jjjjRNS5_12storage_typeE: ; @_ZN7rocprim17ROCPRIM_400000_NS6detail26segmented_warp_sort_helperINS1_20WarpSortHelperConfigILj32ELj4ELj256EEEblLi256ELb1EvE4sortIPKbPbPKlPlEEvT_T0_T1_T2_jjjjRNS5_12storage_typeE
; %bb.0:
	s_waitcnt vmcnt(0) expcnt(0) lgkmcnt(0)
	v_mbcnt_lo_u32_b32 v15, -1, 0
	v_add_co_u32 v0, vcc_lo, v0, v8
	v_sub_nc_u32_e32 v14, v9, v8
	v_mov_b32_e32 v26, 0
	v_lshlrev_b32_e32 v30, 2, v15
	v_add_co_ci_u32_e64 v1, null, 0, v1, vcc_lo
	v_mov_b32_e32 v36, 0
	v_mov_b32_e32 v9, v26
	v_add_co_u32 v0, vcc_lo, v0, v30
	v_add_co_ci_u32_e64 v1, null, 0, v1, vcc_lo
	v_cmp_lt_u32_e32 vcc_lo, v30, v14
	s_and_saveexec_b32 s4, vcc_lo
	s_cbranch_execz .LBB1542_2
; %bb.1:
	flat_load_ubyte v36, v[0:1]
.LBB1542_2:
	s_or_b32 exec_lo, exec_lo, s4
	v_or_b32_e32 v15, 1, v30
	v_cmp_lt_u32_e64 s4, v15, v14
	s_and_saveexec_b32 s5, s4
	s_cbranch_execz .LBB1542_4
; %bb.3:
	flat_load_ubyte v26, v[0:1] offset:1
.LBB1542_4:
	s_or_b32 exec_lo, exec_lo, s5
	v_or_b32_e32 v15, 2, v30
	v_mov_b32_e32 v35, 0
	v_mov_b32_e32 v27, 0
	v_cmp_lt_u32_e64 s5, v15, v14
	s_and_saveexec_b32 s6, s5
	s_cbranch_execz .LBB1542_6
; %bb.5:
	flat_load_ubyte v27, v[0:1] offset:2
.LBB1542_6:
	s_or_b32 exec_lo, exec_lo, s6
	v_or_b32_e32 v15, 3, v30
	v_cmp_lt_u32_e64 s6, v15, v14
	s_and_saveexec_b32 s7, s6
	s_cbranch_execz .LBB1542_8
; %bb.7:
	flat_load_ubyte v35, v[0:1] offset:3
.LBB1542_8:
	s_or_b32 exec_lo, exec_lo, s7
	v_lshlrev_b64 v[0:1], 3, v[8:9]
	v_lshlrev_b32_e32 v34, 3, v30
	v_mov_b32_e32 v22, 0
	v_mov_b32_e32 v23, 0
	; wave barrier
	v_add_co_u32 v9, s7, v4, v0
	v_add_co_ci_u32_e64 v14, null, v5, v1, s7
	v_mov_b32_e32 v4, 0
	v_add_co_u32 v16, s7, v9, v34
	v_mov_b32_e32 v5, 0
	v_add_co_ci_u32_e64 v17, null, 0, v14, s7
	s_and_saveexec_b32 s7, vcc_lo
	s_cbranch_execz .LBB1542_10
; %bb.9:
	flat_load_dwordx2 v[4:5], v[16:17]
.LBB1542_10:
	s_or_b32 exec_lo, exec_lo, s7
	s_mov_b32 s7, 0
	v_mov_b32_e32 v18, s7
	v_mov_b32_e32 v19, s7
	;; [unrolled: 1-line block ×6, first 2 shown]
	s_and_saveexec_b32 s10, s4
	s_cbranch_execz .LBB1542_12
; %bb.11:
	flat_load_dwordx2 v[18:19], v[16:17] offset:8
	v_mov_b32_e32 v24, s7
	v_mov_b32_e32 v25, s7
	;; [unrolled: 1-line block ×4, first 2 shown]
	s_waitcnt vmcnt(0) lgkmcnt(0)
	v_mov_b32_e32 v23, v19
	v_mov_b32_e32 v22, v18
.LBB1542_12:
	s_or_b32 exec_lo, exec_lo, s10
	v_mov_b32_e32 v20, 0
	v_mov_b32_e32 v14, 0
	;; [unrolled: 1-line block ×4, first 2 shown]
	s_and_saveexec_b32 s7, s5
	s_cbranch_execz .LBB1542_14
; %bb.13:
	flat_load_dwordx2 v[24:25], v[16:17] offset:16
	s_mov_b32 s10, 0
	v_mov_b32_e32 v32, s10
	v_mov_b32_e32 v33, s10
	s_waitcnt vmcnt(0) lgkmcnt(0)
	v_mov_b32_e32 v14, v24
	v_mov_b32_e32 v15, v25
.LBB1542_14:
	s_or_b32 exec_lo, exec_lo, s7
	s_and_saveexec_b32 s7, s6
	s_cbranch_execz .LBB1542_16
; %bb.15:
	flat_load_dwordx2 v[32:33], v[16:17] offset:24
	s_waitcnt vmcnt(0) lgkmcnt(0)
	v_mov_b32_e32 v20, v32
	v_mov_b32_e32 v21, v33
.LBB1542_16:
	s_or_b32 exec_lo, exec_lo, s7
	v_cmp_ne_u32_e64 s7, 0, v10
	v_cmp_ne_u32_e64 s10, 8, v11
	v_bfe_u32 v16, v31, 10, 10
	v_bfe_u32 v17, v31, 20, 10
	v_and_b32_e32 v9, 0x3ff, v31
	s_or_b32 s7, s7, s10
	; wave barrier
	s_and_saveexec_b32 s10, s7
	s_xor_b32 s16, exec_lo, s10
	s_cbranch_execz .LBB1542_80
; %bb.17:
	s_load_dwordx2 s[14:15], s[8:9], 0x0
	v_cmp_ne_u32_e64 s7, 0, v11
	v_cmp_ne_u32_e64 s10, 0, v10
	v_mov_b32_e32 v10, 0
	s_xor_b32 s7, s10, s7
	v_cndmask_b32_e64 v28, 0, 1, s7
	buffer_store_byte v28, off, s[0:3], s32 offset:6
	buffer_load_ubyte v28, off, s[0:3], s32 offset:6
	s_waitcnt lgkmcnt(0)
	s_cmp_lt_u32 s13, s15
	s_cselect_b32 s10, 14, 20
	s_add_u32 s10, s8, s10
	s_addc_u32 s11, s9, 0
	s_cmp_lt_u32 s12, s14
	global_load_ushort v11, v10, s[10:11]
	s_cselect_b32 s10, 12, 18
	s_mov_b32 s14, exec_lo
	s_add_u32 s10, s8, s10
	s_addc_u32 s11, s9, 0
	global_load_ushort v10, v10, s[10:11]
	s_waitcnt vmcnt(1)
	v_mad_u32_u24 v11, v17, v11, v16
	s_waitcnt vmcnt(0)
	v_mul_lo_u32 v10, v11, v10
	v_and_b32_e32 v11, 1, v28
	v_cmp_eq_u32_e64 s7, 1, v11
	v_add_lshl_u32 v9, v10, v9, 2
	v_and_b32_e32 v10, 1, v11
	buffer_store_byte v11, off, s[0:3], s32 offset:5
	buffer_store_byte v10, off, s[0:3], s32 offset:4
	v_cmpx_gt_u32_e32 0x400, v9
	s_cbranch_execz .LBB1542_29
; %bb.18:
	buffer_load_ubyte v10, off, s[0:3], s32 offset:4
	s_waitcnt vmcnt(0)
	v_and_b32_e32 v11, v10, v26
	v_and_b32_e32 v14, v10, v36
	;; [unrolled: 1-line block ×8, first 2 shown]
	v_cmp_gt_u16_e64 s10, v11, v14
	v_mov_b32_e32 v11, v27
	v_cmp_gt_u16_e64 s11, v15, v16
	v_cndmask_b32_e64 v17, v19, v5, s10
	v_cndmask_b32_e64 v16, v18, v4, s10
	;; [unrolled: 1-line block ×4, first 2 shown]
	v_mov_b32_e32 v18, v24
	v_mov_b32_e32 v19, v25
	s_and_saveexec_b32 s15, s11
	s_cbranch_execz .LBB1542_20
; %bb.19:
	v_mov_b32_e32 v18, v32
	v_mov_b32_e32 v19, v33
	;; [unrolled: 1-line block ×7, first 2 shown]
.LBB1542_20:
	s_or_b32 exec_lo, exec_lo, s15
	v_cndmask_b32_e64 v4, v26, v36, s10
	v_mov_b32_e32 v20, v32
	v_mov_b32_e32 v29, v21
	;; [unrolled: 1-line block ×4, first 2 shown]
	v_and_b32_e32 v5, v4, v10
	v_mov_b32_e32 v28, v20
	v_mov_b32_e32 v27, v19
	;; [unrolled: 1-line block ×4, first 2 shown]
	v_cmp_le_u16_sdwa s11, v21, v5 src0_sel:BYTE_0 src1_sel:BYTE_0
	v_mov_b32_e32 v24, v16
                                        ; implicit-def: $vgpr31
	s_and_saveexec_b32 s15, s11
	s_xor_b32 s11, exec_lo, s15
; %bb.21:
	v_and_b32_e32 v31, v11, v10
                                        ; implicit-def: $vgpr22_vgpr23_vgpr24_vgpr25_vgpr26_vgpr27_vgpr28_vgpr29
; %bb.22:
	s_or_saveexec_b32 s11, s11
	v_mov_b32_e32 v21, v33
	v_mov_b32_e32 v24, v4
	s_xor_b32 exec_lo, exec_lo, s11
	s_cbranch_execz .LBB1542_24
; %bb.23:
	v_mov_b32_e32 v24, v18
	v_mov_b32_e32 v25, v19
	;; [unrolled: 1-line block ×18, first 2 shown]
.LBB1542_24:
	s_or_b32 exec_lo, exec_lo, s11
	v_cndmask_b32_e64 v25, v36, 1, s10
	v_and_b32_e32 v22, v35, v10
	v_and_b32_e32 v4, v25, v10
	v_cmp_gt_u16_sdwa s15, v22, v31 src0_sel:BYTE_0 src1_sel:BYTE_0
	v_cmp_gt_u16_sdwa s10, v5, v4 src0_sel:BYTE_0 src1_sel:BYTE_0
	v_cndmask_b32_e64 v23, v17, v15, s10
	v_cndmask_b32_e64 v22, v16, v14, s10
	;; [unrolled: 1-line block ×4, first 2 shown]
	v_mov_b32_e32 v16, v11
	s_and_saveexec_b32 s11, s15
	s_cbranch_execz .LBB1542_26
; %bb.25:
	v_mov_b32_e32 v14, v18
	v_mov_b32_e32 v15, v19
	;; [unrolled: 1-line block ×9, first 2 shown]
.LBB1542_26:
	s_or_b32 exec_lo, exec_lo, s11
	v_cndmask_b32_e64 v26, v24, v25, s10
	v_mov_b32_e32 v14, v18
	v_mov_b32_e32 v15, v19
	;; [unrolled: 1-line block ×3, first 2 shown]
	v_and_b32_e32 v10, v26, v10
	v_cmp_gt_u16_sdwa s15, v31, v10 src0_sel:BYTE_0 src1_sel:BYTE_0
	s_and_saveexec_b32 s11, s15
; %bb.27:
	v_mov_b32_e32 v14, v22
	v_mov_b32_e32 v15, v23
	;; [unrolled: 1-line block ×6, first 2 shown]
; %bb.28:
	s_or_b32 exec_lo, exec_lo, s11
	v_cndmask_b32_e64 v36, v25, v24, s10
.LBB1542_29:
	s_or_b32 exec_lo, exec_lo, s14
	v_and_b32_e32 v16, 0xffffff80, v9
	v_and_b32_e32 v31, 0x78, v30
	s_mov_b32 s11, exec_lo
	v_add_co_u32 v11, s10, v12, v16
	v_add_co_ci_u32_e64 v12, null, 0, v13, s10
	v_or_b32_e32 v13, 4, v30
	v_mad_u64_u32 v[9:10], null, v16, 7, v[11:12]
	v_cndmask_b32_e64 v12, 0, 1, s7
	v_add_nc_u32_e32 v10, v11, v30
	buffer_store_byte v12, off, s[0:3], s32 offset:3
	v_lshl_add_u32 v25, v30, 3, v9
	ds_write_b8 v10, v36
	ds_write_b8 v10, v26 offset:1
	ds_write_b8 v10, v27 offset:2
	ds_write_b8 v10, v35 offset:3
	ds_write2_b64 v25, v[4:5], v[22:23] offset0:128 offset1:129
	ds_write2_b64 v25, v[14:15], v[20:21] offset0:130 offset1:131
	; wave barrier
	buffer_load_ubyte v17, off, s[0:3], s32 offset:3
	v_sub_nc_u32_e64 v12, 0x400, v16 clamp
	v_and_b32_e32 v16, 4, v30
	v_min_u32_e32 v28, v12, v13
	v_min_u32_e32 v32, v12, v16
	v_add_nc_u32_e32 v13, 4, v28
	v_min_u32_e32 v29, v12, v13
	v_sub_nc_u32_e32 v13, v28, v31
	v_sub_nc_u32_e32 v16, v29, v28
	v_min_u32_e32 v13, v32, v13
	v_sub_nc_u32_e64 v33, v32, v16 clamp
	s_waitcnt vmcnt(0)
	v_and_b32_e32 v17, 1, v17
	v_cmp_eq_u32_e64 s7, 1, v17
	buffer_store_byte v17, off, s[0:3], s32 offset:2
	v_cmpx_lt_u32_e64 v33, v13
	s_cbranch_execz .LBB1542_33
; %bb.30:
	buffer_load_ubyte v16, off, s[0:3], s32 offset:2
	v_add_co_u32 v17, null, v11, v31
	v_add_co_u32 v18, null, v11, v28
	s_mov_b32 s14, 0
	.p2align	6
.LBB1542_31:                            ; =>This Inner Loop Header: Depth=1
	v_add_nc_u32_e32 v19, v13, v33
	v_lshrrev_b32_e32 v19, 1, v19
	v_not_b32_e32 v24, v19
	v_add_nc_u32_e32 v37, v17, v19
	v_add_nc_u32_e32 v38, 1, v19
	v_add3_u32 v24, v32, v24, v18
	ds_read_u8 v37, v37
	ds_read_u8 v24, v24
	s_waitcnt vmcnt(0) lgkmcnt(1)
	v_and_b32_e32 v37, v37, v16
	s_waitcnt lgkmcnt(0)
	v_and_b32_e32 v24, v24, v16
	v_and_b32_e32 v37, 1, v37
	;; [unrolled: 1-line block ×3, first 2 shown]
	v_cmp_gt_u16_e64 s10, v24, v37
	v_cndmask_b32_e64 v13, v13, v19, s10
	v_cndmask_b32_e64 v33, v38, v33, s10
	v_cmp_ge_u32_e64 s10, v33, v13
	s_or_b32 s14, s10, s14
	s_andn2_b32 exec_lo, exec_lo, s14
	s_cbranch_execnz .LBB1542_31
; %bb.32:
	s_or_b32 exec_lo, exec_lo, s14
.LBB1542_33:
	s_or_b32 exec_lo, exec_lo, s11
	v_cndmask_b32_e64 v37, 0, 1, s7
	v_add_nc_u32_e32 v38, v28, v32
	v_add_nc_u32_e32 v32, v33, v31
	;; [unrolled: 1-line block ×4, first 2 shown]
	buffer_store_byte v37, off, s[0:3], s32 offset:1
	buffer_load_ubyte v37, off, s[0:3], s32 offset:1
	v_sub_nc_u32_e32 v31, v38, v33
	v_cmp_le_u32_e64 s7, v32, v28
	v_add_nc_u32_e32 v17, 0x408, v25
	v_add_nc_u32_e32 v18, 2, v10
	;; [unrolled: 1-line block ×3, first 2 shown]
	v_cmp_le_u32_e64 s10, v31, v29
	v_add_nc_u32_e32 v24, 3, v10
	v_add_nc_u32_e32 v25, 0x418, v25
	s_or_b32 s7, s7, s10
	s_waitcnt vmcnt(0)
	v_and_b32_e32 v33, 1, v37
	buffer_store_byte v33, off, s[0:3], s32
	s_and_saveexec_b32 s17, s7
	s_cbranch_execz .LBB1542_39
; %bb.34:
	v_cmp_ge_u32_e64 s7, v32, v28
	s_mov_b32 s11, exec_lo
                                        ; implicit-def: $vgpr26
	v_cmpx_lt_u32_e64 v32, v28
; %bb.35:
	v_add_nc_u32_e32 v4, v11, v32
	ds_read_u8 v26, v4
; %bb.36:
	s_or_b32 exec_lo, exec_lo, s11
	v_cmp_ge_u32_e64 s10, v31, v29
	s_mov_b32 s14, exec_lo
                                        ; implicit-def: $vgpr27
	v_cmpx_lt_u32_e64 v31, v29
; %bb.37:
	v_add_nc_u32_e32 v4, v11, v31
	ds_read_u8 v27, v4
; %bb.38:
	s_or_b32 exec_lo, exec_lo, s14
	buffer_load_ubyte v4, off, s[0:3], s32
	v_cndmask_b32_e64 v15, 0, 1, s10
	s_or_b32 s7, s7, s10
	s_waitcnt vmcnt(0) lgkmcnt(0)
	v_and_b32_e32 v5, v4, v27
	v_and_b32_e32 v14, v4, v26
	;; [unrolled: 1-line block ×4, first 2 shown]
	v_cmp_le_u16_e64 s11, v5, v14
	v_cndmask_b32_e64 v5, 0, 1, s11
	v_cndmask_b32_e64 v5, v5, v15, s7
	v_and_b32_e32 v5, 1, v5
	v_cmp_eq_u32_e64 s7, 1, v5
	v_cndmask_b32_e64 v5, v31, v32, s7
	v_cndmask_b32_e64 v14, v29, v28, s7
	;; [unrolled: 1-line block ×3, first 2 shown]
	v_add_nc_u32_e32 v15, 1, v5
	v_add_nc_u32_e32 v14, -1, v14
	v_lshl_add_u32 v5, v5, 3, v9
	v_min_u32_e32 v14, v15, v14
	v_add_nc_u32_e32 v14, v11, v14
	ds_read_u8 v14, v14
	s_waitcnt lgkmcnt(0)
	v_cndmask_b32_e64 v33, v14, v27, s7
	v_cndmask_b32_e64 v35, v26, v14, s7
	;; [unrolled: 1-line block ×4, first 2 shown]
	v_and_b32_e32 v20, v33, v4
	v_and_b32_e32 v21, v35, v4
	v_cmp_lt_u32_e64 s10, v14, v28
	v_cmp_ge_u32_e64 s11, v15, v29
	v_cmp_le_u16_sdwa s14, v20, v21 src0_sel:BYTE_0 src1_sel:BYTE_0
	s_and_b32 s10, s10, s14
	s_or_b32 s10, s11, s10
	v_cndmask_b32_e64 v20, v15, v14, s10
	v_cndmask_b32_e64 v21, v29, v28, s10
	;; [unrolled: 1-line block ×3, first 2 shown]
	v_add_nc_u32_e32 v22, 1, v20
	v_add_nc_u32_e32 v21, -1, v21
	v_cndmask_b32_e64 v14, v14, v22, s10
	v_min_u32_e32 v21, v22, v21
	v_cndmask_b32_e64 v15, v22, v15, s10
	v_cmp_lt_u32_e64 s11, v14, v28
	v_add_nc_u32_e32 v21, v11, v21
	v_cmp_ge_u32_e64 s14, v15, v29
	ds_read_u8 v21, v21
	s_waitcnt lgkmcnt(0)
	v_cndmask_b32_e64 v31, v21, v33, s10
	v_cndmask_b32_e64 v32, v35, v21, s10
	v_and_b32_e32 v21, v31, v4
	v_and_b32_e32 v23, v32, v4
	v_cmp_le_u16_sdwa s15, v21, v23 src0_sel:BYTE_0 src1_sel:BYTE_0
	s_and_b32 s11, s11, s15
	s_or_b32 s11, s14, s11
	v_cndmask_b32_e64 v21, v15, v14, s11
	v_cndmask_b32_e64 v22, v29, v28, s11
	;; [unrolled: 1-line block ×3, first 2 shown]
	v_add_nc_u32_e32 v23, 1, v21
	v_add_nc_u32_e32 v22, -1, v22
	v_cndmask_b32_e64 v14, v14, v23, s11
	v_min_u32_e32 v22, v23, v22
	v_cndmask_b32_e64 v15, v23, v15, s11
	v_cmp_lt_u32_e64 s14, v14, v28
	v_add_nc_u32_e32 v22, v11, v22
	v_cmp_ge_u32_e64 s15, v15, v29
	ds_read_u8 v22, v22
	s_waitcnt lgkmcnt(0)
	v_cndmask_b32_e64 v37, v22, v31, s11
	v_cndmask_b32_e64 v38, v32, v22, s11
	v_and_b32_e32 v22, v37, v4
	v_and_b32_e32 v4, v38, v4
	v_cmp_le_u16_sdwa s18, v22, v4 src0_sel:BYTE_0 src1_sel:BYTE_0
	s_and_b32 s14, s14, s18
	s_or_b32 s14, s15, s14
	v_cndmask_b32_e64 v4, v15, v14, s14
	v_lshl_add_u32 v14, v20, 3, v9
	v_lshl_add_u32 v15, v21, 3, v9
	v_cndmask_b32_e64 v35, v37, v38, s14
	v_lshl_add_u32 v20, v4, 3, v9
	ds_read_b64 v[4:5], v5 offset:1024
	ds_read_b64 v[22:23], v14 offset:1024
	;; [unrolled: 1-line block ×4, first 2 shown]
.LBB1542_39:
	s_or_b32 exec_lo, exec_lo, s17
	; wave barrier
	ds_write_b8 v10, v36
	s_waitcnt lgkmcnt(4)
	ds_write_b64 v13, v[4:5]
	ds_write_b8 v16, v26
	s_waitcnt lgkmcnt(5)
	ds_write_b64 v17, v[22:23]
	;; [unrolled: 3-line block ×4, first 2 shown]
	; wave barrier
	buffer_load_ubyte v33, off, s[0:3], s32 offset:3
	v_and_b32_e32 v31, 0x70, v30
	v_and_b32_e32 v32, 12, v30
	s_mov_b32 s11, exec_lo
	v_or_b32_e32 v28, 8, v31
	v_min_u32_e32 v32, v12, v32
	v_min_u32_e32 v28, v12, v28
	v_add_nc_u32_e32 v29, 8, v28
	v_sub_nc_u32_e32 v37, v28, v31
	v_min_u32_e32 v29, v12, v29
	v_min_u32_e32 v37, v32, v37
	v_sub_nc_u32_e32 v38, v29, v28
	s_waitcnt vmcnt(0)
	v_and_b32_e32 v39, 1, v33
	v_sub_nc_u32_e64 v33, v32, v38 clamp
	v_cmp_eq_u32_e64 s7, 1, v39
	buffer_store_byte v39, off, s[0:3], s32 offset:2
	v_cmpx_lt_u32_e64 v33, v37
	s_cbranch_execz .LBB1542_43
; %bb.40:
	buffer_load_ubyte v38, off, s[0:3], s32 offset:2
	v_add_co_u32 v39, null, v11, v31
	v_add_co_u32 v48, null, v11, v28
	s_mov_b32 s14, 0
	.p2align	6
.LBB1542_41:                            ; =>This Inner Loop Header: Depth=1
	v_add_nc_u32_e32 v49, v37, v33
	v_lshrrev_b32_e32 v49, 1, v49
	v_not_b32_e32 v50, v49
	v_add_nc_u32_e32 v51, v39, v49
	v_add_nc_u32_e32 v52, 1, v49
	v_add3_u32 v50, v32, v50, v48
	ds_read_u8 v51, v51
	ds_read_u8 v50, v50
	s_waitcnt vmcnt(0) lgkmcnt(1)
	v_and_b32_e32 v51, v51, v38
	s_waitcnt lgkmcnt(0)
	v_and_b32_e32 v50, v50, v38
	v_and_b32_e32 v51, 1, v51
	;; [unrolled: 1-line block ×3, first 2 shown]
	v_cmp_gt_u16_e64 s10, v50, v51
	v_cndmask_b32_e64 v37, v37, v49, s10
	v_cndmask_b32_e64 v33, v52, v33, s10
	v_cmp_ge_u32_e64 s10, v33, v37
	s_or_b32 s14, s10, s14
	s_andn2_b32 exec_lo, exec_lo, s14
	s_cbranch_execnz .LBB1542_41
; %bb.42:
	s_or_b32 exec_lo, exec_lo, s14
.LBB1542_43:
	s_or_b32 exec_lo, exec_lo, s11
	v_cndmask_b32_e64 v37, 0, 1, s7
	v_add_nc_u32_e32 v38, v28, v32
	v_add_nc_u32_e32 v32, v33, v31
	buffer_store_byte v37, off, s[0:3], s32 offset:1
	buffer_load_ubyte v37, off, s[0:3], s32 offset:1
	v_sub_nc_u32_e32 v31, v38, v33
	v_cmp_le_u32_e64 s7, v32, v28
	v_cmp_le_u32_e64 s10, v31, v29
	s_or_b32 s7, s7, s10
	s_waitcnt vmcnt(0)
	v_and_b32_e32 v33, 1, v37
	buffer_store_byte v33, off, s[0:3], s32
	s_and_saveexec_b32 s17, s7
	s_cbranch_execz .LBB1542_49
; %bb.44:
	v_cmp_ge_u32_e64 s7, v32, v28
	s_mov_b32 s11, exec_lo
                                        ; implicit-def: $vgpr26
	v_cmpx_lt_u32_e64 v32, v28
; %bb.45:
	v_add_nc_u32_e32 v4, v11, v32
	ds_read_u8 v26, v4
; %bb.46:
	s_or_b32 exec_lo, exec_lo, s11
	v_cmp_ge_u32_e64 s10, v31, v29
	s_mov_b32 s14, exec_lo
                                        ; implicit-def: $vgpr27
	v_cmpx_lt_u32_e64 v31, v29
; %bb.47:
	v_add_nc_u32_e32 v4, v11, v31
	ds_read_u8 v27, v4
; %bb.48:
	s_or_b32 exec_lo, exec_lo, s14
	buffer_load_ubyte v4, off, s[0:3], s32
	v_cndmask_b32_e64 v15, 0, 1, s10
	s_or_b32 s7, s7, s10
	s_waitcnt vmcnt(0) lgkmcnt(0)
	v_and_b32_e32 v5, v4, v27
	v_and_b32_e32 v14, v4, v26
	;; [unrolled: 1-line block ×4, first 2 shown]
	v_cmp_le_u16_e64 s11, v5, v14
	v_cndmask_b32_e64 v5, 0, 1, s11
	v_cndmask_b32_e64 v5, v5, v15, s7
	v_and_b32_e32 v5, 1, v5
	v_cmp_eq_u32_e64 s7, 1, v5
	v_cndmask_b32_e64 v5, v31, v32, s7
	v_cndmask_b32_e64 v14, v29, v28, s7
	;; [unrolled: 1-line block ×3, first 2 shown]
	v_add_nc_u32_e32 v15, 1, v5
	v_add_nc_u32_e32 v14, -1, v14
	v_lshl_add_u32 v5, v5, 3, v9
	v_min_u32_e32 v14, v15, v14
	v_add_nc_u32_e32 v14, v11, v14
	ds_read_u8 v14, v14
	s_waitcnt lgkmcnt(0)
	v_cndmask_b32_e64 v33, v14, v27, s7
	v_cndmask_b32_e64 v35, v26, v14, s7
	;; [unrolled: 1-line block ×4, first 2 shown]
	v_and_b32_e32 v20, v33, v4
	v_and_b32_e32 v21, v35, v4
	v_cmp_lt_u32_e64 s10, v14, v28
	v_cmp_ge_u32_e64 s11, v15, v29
	v_cmp_le_u16_sdwa s14, v20, v21 src0_sel:BYTE_0 src1_sel:BYTE_0
	s_and_b32 s10, s10, s14
	s_or_b32 s10, s11, s10
	v_cndmask_b32_e64 v20, v15, v14, s10
	v_cndmask_b32_e64 v21, v29, v28, s10
	;; [unrolled: 1-line block ×3, first 2 shown]
	v_add_nc_u32_e32 v22, 1, v20
	v_add_nc_u32_e32 v21, -1, v21
	v_cndmask_b32_e64 v14, v14, v22, s10
	v_min_u32_e32 v21, v22, v21
	v_cndmask_b32_e64 v15, v22, v15, s10
	v_cmp_lt_u32_e64 s11, v14, v28
	v_add_nc_u32_e32 v21, v11, v21
	v_cmp_ge_u32_e64 s14, v15, v29
	ds_read_u8 v21, v21
	s_waitcnt lgkmcnt(0)
	v_cndmask_b32_e64 v31, v21, v33, s10
	v_cndmask_b32_e64 v32, v35, v21, s10
	v_and_b32_e32 v21, v31, v4
	v_and_b32_e32 v23, v32, v4
	v_cmp_le_u16_sdwa s15, v21, v23 src0_sel:BYTE_0 src1_sel:BYTE_0
	s_and_b32 s11, s11, s15
	s_or_b32 s11, s14, s11
	v_cndmask_b32_e64 v21, v15, v14, s11
	v_cndmask_b32_e64 v22, v29, v28, s11
	;; [unrolled: 1-line block ×3, first 2 shown]
	v_add_nc_u32_e32 v23, 1, v21
	v_add_nc_u32_e32 v22, -1, v22
	v_cndmask_b32_e64 v14, v14, v23, s11
	v_min_u32_e32 v22, v23, v22
	v_cndmask_b32_e64 v15, v23, v15, s11
	v_cmp_lt_u32_e64 s14, v14, v28
	v_add_nc_u32_e32 v22, v11, v22
	v_cmp_ge_u32_e64 s15, v15, v29
	ds_read_u8 v22, v22
	s_waitcnt lgkmcnt(0)
	v_cndmask_b32_e64 v37, v22, v31, s11
	v_cndmask_b32_e64 v38, v32, v22, s11
	v_and_b32_e32 v22, v37, v4
	v_and_b32_e32 v4, v38, v4
	v_cmp_le_u16_sdwa s18, v22, v4 src0_sel:BYTE_0 src1_sel:BYTE_0
	s_and_b32 s14, s14, s18
	s_or_b32 s14, s15, s14
	v_cndmask_b32_e64 v4, v15, v14, s14
	v_lshl_add_u32 v14, v20, 3, v9
	v_lshl_add_u32 v15, v21, 3, v9
	v_cndmask_b32_e64 v35, v37, v38, s14
	v_lshl_add_u32 v20, v4, 3, v9
	ds_read_b64 v[4:5], v5 offset:1024
	ds_read_b64 v[22:23], v14 offset:1024
	;; [unrolled: 1-line block ×4, first 2 shown]
.LBB1542_49:
	s_or_b32 exec_lo, exec_lo, s17
	; wave barrier
	ds_write_b8 v10, v36
	s_waitcnt lgkmcnt(4)
	ds_write_b64 v13, v[4:5]
	ds_write_b8 v16, v26
	s_waitcnt lgkmcnt(5)
	ds_write_b64 v17, v[22:23]
	;; [unrolled: 3-line block ×4, first 2 shown]
	; wave barrier
	buffer_load_ubyte v33, off, s[0:3], s32 offset:3
	v_and_b32_e32 v31, 0x60, v30
	v_and_b32_e32 v32, 28, v30
	s_mov_b32 s11, exec_lo
	v_or_b32_e32 v28, 16, v31
	v_min_u32_e32 v32, v12, v32
	v_min_u32_e32 v28, v12, v28
	v_add_nc_u32_e32 v29, 16, v28
	v_sub_nc_u32_e32 v37, v28, v31
	v_min_u32_e32 v29, v12, v29
	v_min_u32_e32 v37, v32, v37
	v_sub_nc_u32_e32 v38, v29, v28
	s_waitcnt vmcnt(0)
	v_and_b32_e32 v39, 1, v33
	v_sub_nc_u32_e64 v33, v32, v38 clamp
	v_cmp_eq_u32_e64 s7, 1, v39
	buffer_store_byte v39, off, s[0:3], s32 offset:2
	v_cmpx_lt_u32_e64 v33, v37
	s_cbranch_execz .LBB1542_53
; %bb.50:
	buffer_load_ubyte v38, off, s[0:3], s32 offset:2
	v_add_co_u32 v39, null, v11, v31
	v_add_co_u32 v48, null, v11, v28
	s_mov_b32 s14, 0
	.p2align	6
.LBB1542_51:                            ; =>This Inner Loop Header: Depth=1
	v_add_nc_u32_e32 v49, v37, v33
	v_lshrrev_b32_e32 v49, 1, v49
	v_not_b32_e32 v50, v49
	v_add_nc_u32_e32 v51, v39, v49
	v_add_nc_u32_e32 v52, 1, v49
	v_add3_u32 v50, v32, v50, v48
	ds_read_u8 v51, v51
	ds_read_u8 v50, v50
	s_waitcnt vmcnt(0) lgkmcnt(1)
	v_and_b32_e32 v51, v51, v38
	s_waitcnt lgkmcnt(0)
	v_and_b32_e32 v50, v50, v38
	v_and_b32_e32 v51, 1, v51
	;; [unrolled: 1-line block ×3, first 2 shown]
	v_cmp_gt_u16_e64 s10, v50, v51
	v_cndmask_b32_e64 v37, v37, v49, s10
	v_cndmask_b32_e64 v33, v52, v33, s10
	v_cmp_ge_u32_e64 s10, v33, v37
	s_or_b32 s14, s10, s14
	s_andn2_b32 exec_lo, exec_lo, s14
	s_cbranch_execnz .LBB1542_51
; %bb.52:
	s_or_b32 exec_lo, exec_lo, s14
.LBB1542_53:
	s_or_b32 exec_lo, exec_lo, s11
	v_cndmask_b32_e64 v37, 0, 1, s7
	v_add_nc_u32_e32 v38, v28, v32
	v_add_nc_u32_e32 v32, v33, v31
	buffer_store_byte v37, off, s[0:3], s32 offset:1
	buffer_load_ubyte v37, off, s[0:3], s32 offset:1
	v_sub_nc_u32_e32 v31, v38, v33
	v_cmp_le_u32_e64 s7, v32, v28
	v_cmp_le_u32_e64 s10, v31, v29
	s_or_b32 s7, s7, s10
	s_waitcnt vmcnt(0)
	v_and_b32_e32 v33, 1, v37
	buffer_store_byte v33, off, s[0:3], s32
	s_and_saveexec_b32 s17, s7
	s_cbranch_execz .LBB1542_59
; %bb.54:
	v_cmp_ge_u32_e64 s7, v32, v28
	s_mov_b32 s11, exec_lo
                                        ; implicit-def: $vgpr26
	v_cmpx_lt_u32_e64 v32, v28
; %bb.55:
	v_add_nc_u32_e32 v4, v11, v32
	ds_read_u8 v26, v4
; %bb.56:
	s_or_b32 exec_lo, exec_lo, s11
	v_cmp_ge_u32_e64 s10, v31, v29
	s_mov_b32 s14, exec_lo
                                        ; implicit-def: $vgpr27
	v_cmpx_lt_u32_e64 v31, v29
; %bb.57:
	v_add_nc_u32_e32 v4, v11, v31
	ds_read_u8 v27, v4
; %bb.58:
	s_or_b32 exec_lo, exec_lo, s14
	buffer_load_ubyte v4, off, s[0:3], s32
	v_cndmask_b32_e64 v15, 0, 1, s10
	s_or_b32 s7, s7, s10
	s_waitcnt vmcnt(0) lgkmcnt(0)
	v_and_b32_e32 v5, v4, v27
	v_and_b32_e32 v14, v4, v26
	;; [unrolled: 1-line block ×4, first 2 shown]
	v_cmp_le_u16_e64 s11, v5, v14
	v_cndmask_b32_e64 v5, 0, 1, s11
	v_cndmask_b32_e64 v5, v5, v15, s7
	v_and_b32_e32 v5, 1, v5
	v_cmp_eq_u32_e64 s7, 1, v5
	v_cndmask_b32_e64 v5, v31, v32, s7
	v_cndmask_b32_e64 v14, v29, v28, s7
	;; [unrolled: 1-line block ×3, first 2 shown]
	v_add_nc_u32_e32 v15, 1, v5
	v_add_nc_u32_e32 v14, -1, v14
	v_lshl_add_u32 v5, v5, 3, v9
	v_min_u32_e32 v14, v15, v14
	v_add_nc_u32_e32 v14, v11, v14
	ds_read_u8 v14, v14
	s_waitcnt lgkmcnt(0)
	v_cndmask_b32_e64 v33, v14, v27, s7
	v_cndmask_b32_e64 v35, v26, v14, s7
	;; [unrolled: 1-line block ×4, first 2 shown]
	v_and_b32_e32 v20, v33, v4
	v_and_b32_e32 v21, v35, v4
	v_cmp_lt_u32_e64 s10, v14, v28
	v_cmp_ge_u32_e64 s11, v15, v29
	v_cmp_le_u16_sdwa s14, v20, v21 src0_sel:BYTE_0 src1_sel:BYTE_0
	s_and_b32 s10, s10, s14
	s_or_b32 s10, s11, s10
	v_cndmask_b32_e64 v20, v15, v14, s10
	v_cndmask_b32_e64 v21, v29, v28, s10
	;; [unrolled: 1-line block ×3, first 2 shown]
	v_add_nc_u32_e32 v22, 1, v20
	v_add_nc_u32_e32 v21, -1, v21
	v_cndmask_b32_e64 v14, v14, v22, s10
	v_min_u32_e32 v21, v22, v21
	v_cndmask_b32_e64 v15, v22, v15, s10
	v_cmp_lt_u32_e64 s11, v14, v28
	v_add_nc_u32_e32 v21, v11, v21
	v_cmp_ge_u32_e64 s14, v15, v29
	ds_read_u8 v21, v21
	s_waitcnt lgkmcnt(0)
	v_cndmask_b32_e64 v31, v21, v33, s10
	v_cndmask_b32_e64 v32, v35, v21, s10
	v_and_b32_e32 v21, v31, v4
	v_and_b32_e32 v23, v32, v4
	v_cmp_le_u16_sdwa s15, v21, v23 src0_sel:BYTE_0 src1_sel:BYTE_0
	s_and_b32 s11, s11, s15
	s_or_b32 s11, s14, s11
	v_cndmask_b32_e64 v21, v15, v14, s11
	v_cndmask_b32_e64 v22, v29, v28, s11
	;; [unrolled: 1-line block ×3, first 2 shown]
	v_add_nc_u32_e32 v23, 1, v21
	v_add_nc_u32_e32 v22, -1, v22
	v_cndmask_b32_e64 v14, v14, v23, s11
	v_min_u32_e32 v22, v23, v22
	v_cndmask_b32_e64 v15, v23, v15, s11
	v_cmp_lt_u32_e64 s14, v14, v28
	v_add_nc_u32_e32 v22, v11, v22
	v_cmp_ge_u32_e64 s15, v15, v29
	ds_read_u8 v22, v22
	s_waitcnt lgkmcnt(0)
	v_cndmask_b32_e64 v37, v22, v31, s11
	v_cndmask_b32_e64 v38, v32, v22, s11
	v_and_b32_e32 v22, v37, v4
	v_and_b32_e32 v4, v38, v4
	v_cmp_le_u16_sdwa s18, v22, v4 src0_sel:BYTE_0 src1_sel:BYTE_0
	s_and_b32 s14, s14, s18
	s_or_b32 s14, s15, s14
	v_cndmask_b32_e64 v4, v15, v14, s14
	v_lshl_add_u32 v14, v20, 3, v9
	v_lshl_add_u32 v15, v21, 3, v9
	v_cndmask_b32_e64 v35, v37, v38, s14
	v_lshl_add_u32 v20, v4, 3, v9
	ds_read_b64 v[4:5], v5 offset:1024
	ds_read_b64 v[22:23], v14 offset:1024
	;; [unrolled: 1-line block ×4, first 2 shown]
.LBB1542_59:
	s_or_b32 exec_lo, exec_lo, s17
	; wave barrier
	ds_write_b8 v10, v36
	s_waitcnt lgkmcnt(4)
	ds_write_b64 v13, v[4:5]
	ds_write_b8 v16, v26
	s_waitcnt lgkmcnt(5)
	ds_write_b64 v17, v[22:23]
	;; [unrolled: 3-line block ×4, first 2 shown]
	; wave barrier
	buffer_load_ubyte v33, off, s[0:3], s32 offset:3
	v_and_b32_e32 v31, 64, v30
	v_and_b32_e32 v32, 60, v30
	s_mov_b32 s11, exec_lo
	v_or_b32_e32 v28, 32, v31
	v_min_u32_e32 v32, v12, v32
	v_min_u32_e32 v28, v12, v28
	v_add_nc_u32_e32 v29, 32, v28
	v_sub_nc_u32_e32 v37, v28, v31
	v_min_u32_e32 v29, v12, v29
	v_min_u32_e32 v37, v32, v37
	v_sub_nc_u32_e32 v38, v29, v28
	s_waitcnt vmcnt(0)
	v_and_b32_e32 v39, 1, v33
	v_sub_nc_u32_e64 v33, v32, v38 clamp
	v_cmp_eq_u32_e64 s7, 1, v39
	buffer_store_byte v39, off, s[0:3], s32 offset:2
	v_cmpx_lt_u32_e64 v33, v37
	s_cbranch_execz .LBB1542_63
; %bb.60:
	buffer_load_ubyte v38, off, s[0:3], s32 offset:2
	v_add_co_u32 v39, null, v11, v31
	v_add_co_u32 v48, null, v11, v28
	s_mov_b32 s14, 0
	.p2align	6
.LBB1542_61:                            ; =>This Inner Loop Header: Depth=1
	v_add_nc_u32_e32 v49, v37, v33
	v_lshrrev_b32_e32 v49, 1, v49
	v_not_b32_e32 v50, v49
	v_add_nc_u32_e32 v51, v39, v49
	v_add_nc_u32_e32 v52, 1, v49
	v_add3_u32 v50, v32, v50, v48
	ds_read_u8 v51, v51
	ds_read_u8 v50, v50
	s_waitcnt vmcnt(0) lgkmcnt(1)
	v_and_b32_e32 v51, v51, v38
	s_waitcnt lgkmcnt(0)
	v_and_b32_e32 v50, v50, v38
	v_and_b32_e32 v51, 1, v51
	;; [unrolled: 1-line block ×3, first 2 shown]
	v_cmp_gt_u16_e64 s10, v50, v51
	v_cndmask_b32_e64 v37, v37, v49, s10
	v_cndmask_b32_e64 v33, v52, v33, s10
	v_cmp_ge_u32_e64 s10, v33, v37
	s_or_b32 s14, s10, s14
	s_andn2_b32 exec_lo, exec_lo, s14
	s_cbranch_execnz .LBB1542_61
; %bb.62:
	s_or_b32 exec_lo, exec_lo, s14
.LBB1542_63:
	s_or_b32 exec_lo, exec_lo, s11
	v_cndmask_b32_e64 v37, 0, 1, s7
	v_add_nc_u32_e32 v38, v28, v32
	v_add_nc_u32_e32 v32, v33, v31
	buffer_store_byte v37, off, s[0:3], s32 offset:1
	buffer_load_ubyte v37, off, s[0:3], s32 offset:1
	v_sub_nc_u32_e32 v31, v38, v33
	v_cmp_le_u32_e64 s7, v32, v28
	v_cmp_le_u32_e64 s10, v31, v29
	s_or_b32 s7, s7, s10
	s_waitcnt vmcnt(0)
	v_and_b32_e32 v33, 1, v37
	buffer_store_byte v33, off, s[0:3], s32
	s_and_saveexec_b32 s17, s7
	s_cbranch_execz .LBB1542_69
; %bb.64:
	v_cmp_ge_u32_e64 s7, v32, v28
	s_mov_b32 s11, exec_lo
                                        ; implicit-def: $vgpr26
	v_cmpx_lt_u32_e64 v32, v28
; %bb.65:
	v_add_nc_u32_e32 v4, v11, v32
	ds_read_u8 v26, v4
; %bb.66:
	s_or_b32 exec_lo, exec_lo, s11
	v_cmp_ge_u32_e64 s10, v31, v29
	s_mov_b32 s14, exec_lo
                                        ; implicit-def: $vgpr27
	v_cmpx_lt_u32_e64 v31, v29
; %bb.67:
	v_add_nc_u32_e32 v4, v11, v31
	ds_read_u8 v27, v4
; %bb.68:
	s_or_b32 exec_lo, exec_lo, s14
	buffer_load_ubyte v4, off, s[0:3], s32
	v_cndmask_b32_e64 v15, 0, 1, s10
	s_or_b32 s7, s7, s10
	s_waitcnt vmcnt(0) lgkmcnt(0)
	v_and_b32_e32 v5, v4, v27
	v_and_b32_e32 v14, v4, v26
	;; [unrolled: 1-line block ×4, first 2 shown]
	v_cmp_le_u16_e64 s11, v5, v14
	v_cndmask_b32_e64 v5, 0, 1, s11
	v_cndmask_b32_e64 v5, v5, v15, s7
	v_and_b32_e32 v5, 1, v5
	v_cmp_eq_u32_e64 s7, 1, v5
	v_cndmask_b32_e64 v5, v31, v32, s7
	v_cndmask_b32_e64 v14, v29, v28, s7
	;; [unrolled: 1-line block ×3, first 2 shown]
	v_add_nc_u32_e32 v15, 1, v5
	v_add_nc_u32_e32 v14, -1, v14
	v_lshl_add_u32 v5, v5, 3, v9
	v_min_u32_e32 v14, v15, v14
	v_add_nc_u32_e32 v14, v11, v14
	ds_read_u8 v14, v14
	s_waitcnt lgkmcnt(0)
	v_cndmask_b32_e64 v33, v14, v27, s7
	v_cndmask_b32_e64 v35, v26, v14, s7
	;; [unrolled: 1-line block ×4, first 2 shown]
	v_and_b32_e32 v20, v33, v4
	v_and_b32_e32 v21, v35, v4
	v_cmp_lt_u32_e64 s10, v14, v28
	v_cmp_ge_u32_e64 s11, v15, v29
	v_cmp_le_u16_sdwa s14, v20, v21 src0_sel:BYTE_0 src1_sel:BYTE_0
	s_and_b32 s10, s10, s14
	s_or_b32 s10, s11, s10
	v_cndmask_b32_e64 v20, v15, v14, s10
	v_cndmask_b32_e64 v21, v29, v28, s10
	;; [unrolled: 1-line block ×3, first 2 shown]
	v_add_nc_u32_e32 v22, 1, v20
	v_add_nc_u32_e32 v21, -1, v21
	v_cndmask_b32_e64 v14, v14, v22, s10
	v_min_u32_e32 v21, v22, v21
	v_cndmask_b32_e64 v15, v22, v15, s10
	v_cmp_lt_u32_e64 s11, v14, v28
	v_add_nc_u32_e32 v21, v11, v21
	v_cmp_ge_u32_e64 s14, v15, v29
	ds_read_u8 v21, v21
	s_waitcnt lgkmcnt(0)
	v_cndmask_b32_e64 v31, v21, v33, s10
	v_cndmask_b32_e64 v32, v35, v21, s10
	v_and_b32_e32 v21, v31, v4
	v_and_b32_e32 v23, v32, v4
	v_cmp_le_u16_sdwa s15, v21, v23 src0_sel:BYTE_0 src1_sel:BYTE_0
	s_and_b32 s11, s11, s15
	s_or_b32 s11, s14, s11
	v_cndmask_b32_e64 v21, v15, v14, s11
	v_cndmask_b32_e64 v22, v29, v28, s11
	;; [unrolled: 1-line block ×3, first 2 shown]
	v_add_nc_u32_e32 v23, 1, v21
	v_add_nc_u32_e32 v22, -1, v22
	v_cndmask_b32_e64 v14, v14, v23, s11
	v_min_u32_e32 v22, v23, v22
	v_cndmask_b32_e64 v15, v23, v15, s11
	v_cmp_lt_u32_e64 s14, v14, v28
	v_add_nc_u32_e32 v22, v11, v22
	v_cmp_ge_u32_e64 s15, v15, v29
	ds_read_u8 v22, v22
	s_waitcnt lgkmcnt(0)
	v_cndmask_b32_e64 v37, v22, v31, s11
	v_cndmask_b32_e64 v38, v32, v22, s11
	v_and_b32_e32 v22, v37, v4
	v_and_b32_e32 v4, v38, v4
	v_cmp_le_u16_sdwa s18, v22, v4 src0_sel:BYTE_0 src1_sel:BYTE_0
	s_and_b32 s14, s14, s18
	s_or_b32 s14, s15, s14
	v_cndmask_b32_e64 v4, v15, v14, s14
	v_lshl_add_u32 v14, v20, 3, v9
	v_lshl_add_u32 v15, v21, 3, v9
	v_cndmask_b32_e64 v35, v37, v38, s14
	v_lshl_add_u32 v20, v4, 3, v9
	ds_read_b64 v[4:5], v5 offset:1024
	ds_read_b64 v[22:23], v14 offset:1024
	;; [unrolled: 1-line block ×4, first 2 shown]
.LBB1542_69:
	s_or_b32 exec_lo, exec_lo, s17
	; wave barrier
	ds_write_b8 v10, v36
	s_waitcnt lgkmcnt(4)
	ds_write_b64 v13, v[4:5]
	ds_write_b8 v16, v26
	s_waitcnt lgkmcnt(5)
	ds_write_b64 v17, v[22:23]
	;; [unrolled: 3-line block ×4, first 2 shown]
	; wave barrier
	buffer_load_ubyte v18, off, s[0:3], s32 offset:3
	v_min_u32_e32 v10, 64, v12
	v_min_u32_e32 v16, v12, v30
	s_mov_b32 s11, exec_lo
	v_add_nc_u32_e32 v13, 64, v10
	v_min_u32_e32 v17, v16, v10
	v_min_u32_e32 v13, v12, v13
	v_sub_nc_u32_e32 v12, v13, v10
	v_sub_nc_u32_e64 v12, v16, v12 clamp
	s_waitcnt vmcnt(0)
	v_and_b32_e32 v18, 1, v18
	v_cmp_eq_u32_e64 s7, 1, v18
	buffer_store_byte v18, off, s[0:3], s32 offset:2
	v_cmpx_lt_u32_e64 v12, v17
	s_cbranch_execz .LBB1542_73
; %bb.70:
	buffer_load_ubyte v18, off, s[0:3], s32 offset:2
	v_add_co_u32 v19, null, v11, v10
	s_mov_b32 s14, 0
	.p2align	6
.LBB1542_71:                            ; =>This Inner Loop Header: Depth=1
	v_add_nc_u32_e32 v24, v17, v12
	v_lshrrev_b32_e32 v24, 1, v24
	v_not_b32_e32 v25, v24
	v_add_nc_u32_e32 v28, v11, v24
	v_add_nc_u32_e32 v29, 1, v24
	v_add3_u32 v25, v16, v25, v19
	ds_read_u8 v28, v28
	ds_read_u8 v25, v25
	s_waitcnt vmcnt(0) lgkmcnt(1)
	v_and_b32_e32 v28, v28, v18
	s_waitcnt lgkmcnt(0)
	v_and_b32_e32 v25, v25, v18
	v_and_b32_e32 v28, 1, v28
	;; [unrolled: 1-line block ×3, first 2 shown]
	v_cmp_gt_u16_e64 s10, v25, v28
	v_cndmask_b32_e64 v17, v17, v24, s10
	v_cndmask_b32_e64 v12, v29, v12, s10
	v_cmp_ge_u32_e64 s10, v12, v17
	s_or_b32 s14, s10, s14
	s_andn2_b32 exec_lo, exec_lo, s14
	s_cbranch_execnz .LBB1542_71
; %bb.72:
	s_or_b32 exec_lo, exec_lo, s14
.LBB1542_73:
	s_or_b32 exec_lo, exec_lo, s11
	v_cndmask_b32_e64 v17, 0, 1, s7
	v_add_nc_u32_e32 v16, v10, v16
	v_cmp_le_u32_e64 s7, v12, v10
	buffer_store_byte v17, off, s[0:3], s32 offset:1
	buffer_load_ubyte v17, off, s[0:3], s32 offset:1
	v_sub_nc_u32_e32 v18, v16, v12
	v_cmp_le_u32_e64 s10, v18, v13
	s_or_b32 s7, s7, s10
	s_waitcnt vmcnt(0)
	v_and_b32_e32 v16, 1, v17
	buffer_store_byte v16, off, s[0:3], s32
	s_and_saveexec_b32 s17, s7
	s_cbranch_execz .LBB1542_79
; %bb.74:
	v_cmp_ge_u32_e64 s7, v12, v10
	s_mov_b32 s11, exec_lo
                                        ; implicit-def: $vgpr16
	v_cmpx_lt_u32_e64 v12, v10
; %bb.75:
	v_add_nc_u32_e32 v4, v11, v12
	ds_read_u8 v16, v4
; %bb.76:
	s_or_b32 exec_lo, exec_lo, s11
	v_cmp_ge_u32_e64 s10, v18, v13
	s_mov_b32 s14, exec_lo
                                        ; implicit-def: $vgpr17
	v_cmpx_lt_u32_e64 v18, v13
; %bb.77:
	v_add_nc_u32_e32 v4, v11, v18
	ds_read_u8 v17, v4
; %bb.78:
	s_or_b32 exec_lo, exec_lo, s14
	buffer_load_ubyte v4, off, s[0:3], s32
	v_cndmask_b32_e64 v15, 0, 1, s10
	s_or_b32 s7, s7, s10
	s_waitcnt vmcnt(0) lgkmcnt(0)
	v_and_b32_e32 v5, v4, v17
	v_and_b32_e32 v14, v4, v16
	;; [unrolled: 1-line block ×4, first 2 shown]
	v_cmp_le_u16_e64 s11, v5, v14
	v_cndmask_b32_e64 v5, 0, 1, s11
	v_cndmask_b32_e64 v5, v5, v15, s7
	v_and_b32_e32 v5, 1, v5
	v_cmp_eq_u32_e64 s7, 1, v5
	v_cndmask_b32_e64 v5, v18, v12, s7
	v_cndmask_b32_e64 v14, v13, v10, s7
	;; [unrolled: 1-line block ×3, first 2 shown]
	v_add_nc_u32_e32 v15, 1, v5
	v_add_nc_u32_e32 v14, -1, v14
	v_lshl_add_u32 v5, v5, 3, v9
	v_cndmask_b32_e64 v12, v12, v15, s7
	v_min_u32_e32 v14, v15, v14
	v_cndmask_b32_e64 v15, v15, v18, s7
	v_cmp_lt_u32_e64 s10, v12, v10
	v_add_nc_u32_e32 v14, v11, v14
	v_cmp_ge_u32_e64 s11, v15, v13
	ds_read_u8 v14, v14
	s_waitcnt lgkmcnt(0)
	v_cndmask_b32_e64 v19, v14, v17, s7
	v_cndmask_b32_e64 v24, v16, v14, s7
	v_and_b32_e32 v14, v19, v4
	v_and_b32_e32 v20, v24, v4
	v_cmp_le_u16_sdwa s14, v14, v20 src0_sel:BYTE_0 src1_sel:BYTE_0
	s_and_b32 s10, s10, s14
	s_or_b32 s10, s11, s10
	v_cndmask_b32_e64 v14, v15, v12, s10
	v_cndmask_b32_e64 v18, v13, v10, s10
	v_cndmask_b32_e64 v26, v19, v24, s10
	v_add_nc_u32_e32 v20, 1, v14
	v_add_nc_u32_e32 v18, -1, v18
	v_cndmask_b32_e64 v12, v12, v20, s10
	v_min_u32_e32 v18, v20, v18
	v_cndmask_b32_e64 v15, v20, v15, s10
	v_cmp_lt_u32_e64 s11, v12, v10
	v_add_nc_u32_e32 v18, v11, v18
	v_cmp_ge_u32_e64 s14, v15, v13
	ds_read_u8 v18, v18
	s_waitcnt lgkmcnt(0)
	v_cndmask_b32_e64 v25, v18, v19, s10
	v_cndmask_b32_e64 v18, v24, v18, s10
	v_and_b32_e32 v21, v25, v4
	v_and_b32_e32 v22, v18, v4
	v_cmp_le_u16_sdwa s15, v21, v22 src0_sel:BYTE_0 src1_sel:BYTE_0
	s_and_b32 s11, s11, s15
	s_or_b32 s11, s14, s11
	v_cndmask_b32_e64 v20, v15, v12, s11
	v_cndmask_b32_e64 v21, v13, v10, s11
	;; [unrolled: 1-line block ×3, first 2 shown]
	v_add_nc_u32_e32 v22, 1, v20
	v_add_nc_u32_e32 v21, -1, v21
	v_cndmask_b32_e64 v12, v12, v22, s11
	v_min_u32_e32 v21, v22, v21
	v_cndmask_b32_e64 v15, v22, v15, s11
	v_cmp_lt_u32_e64 s14, v12, v10
	v_add_nc_u32_e32 v11, v11, v21
	v_cmp_ge_u32_e64 s15, v15, v13
	v_lshl_add_u32 v10, v14, 3, v9
	ds_read_u8 v11, v11
	s_waitcnt lgkmcnt(0)
	v_cndmask_b32_e64 v28, v11, v25, s11
	v_cndmask_b32_e64 v11, v18, v11, s11
	v_and_b32_e32 v21, v28, v4
	v_and_b32_e32 v4, v11, v4
	v_cmp_le_u16_sdwa s18, v21, v4 src0_sel:BYTE_0 src1_sel:BYTE_0
	s_and_b32 s14, s14, s18
	s_or_b32 s14, s15, s14
	v_cndmask_b32_e64 v4, v15, v12, s14
	v_lshl_add_u32 v12, v20, 3, v9
	v_cndmask_b32_e64 v35, v28, v11, s14
	v_lshl_add_u32 v9, v4, 3, v9
	ds_read_b64 v[4:5], v5 offset:1024
	ds_read_b64 v[22:23], v10 offset:1024
	;; [unrolled: 1-line block ×4, first 2 shown]
.LBB1542_79:
	s_or_b32 exec_lo, exec_lo, s17
	; wave barrier
	s_waitcnt lgkmcnt(0)
	s_waitcnt_vscnt null, 0x0
	s_barrier
	buffer_gl0_inv
                                        ; implicit-def: $vgpr12
                                        ; implicit-def: $vgpr13
                                        ; implicit-def: $vgpr16
                                        ; implicit-def: $vgpr17
                                        ; implicit-def: $vgpr9
                                        ; implicit-def: $vgpr32_vgpr33
                                        ; implicit-def: $vgpr24_vgpr25
                                        ; implicit-def: $vgpr18_vgpr19
.LBB1542_80:
	s_andn2_saveexec_b32 s14, s16
	s_cbranch_execz .LBB1542_136
; %bb.81:
	s_load_dwordx2 s[10:11], s[8:9], 0x0
	v_mov_b32_e32 v10, 0
	s_waitcnt lgkmcnt(0)
	s_cmp_lt_u32 s13, s11
	s_cselect_b32 s7, 14, 20
	s_add_u32 s16, s8, s7
	s_addc_u32 s17, s9, 0
	s_cmp_lt_u32 s12, s10
	global_load_ushort v11, v10, s[16:17]
	s_cselect_b32 s7, 12, 18
	s_mov_b32 s10, exec_lo
	s_add_u32 s8, s8, s7
	s_addc_u32 s9, s9, 0
	global_load_ushort v10, v10, s[8:9]
	s_waitcnt vmcnt(1)
	v_mad_u32_u24 v11, v17, v11, v16
	s_waitcnt vmcnt(0)
	v_mul_lo_u32 v10, v11, v10
	v_add_lshl_u32 v9, v10, v9, 2
	v_cmpx_gt_u32_e32 0x400, v9
	s_cbranch_execz .LBB1542_85
; %bb.82:
	v_cmp_gt_u16_sdwa s7, v26, v36 src0_sel:BYTE_0 src1_sel:BYTE_0
	v_cmp_gt_u16_sdwa s8, v35, v27 src0_sel:BYTE_0 src1_sel:BYTE_0
	v_cndmask_b32_e64 v14, v26, 0, s7
	v_cndmask_b32_e64 v17, v27, 1, s8
	v_cndmask_b32_e64 v10, v36, 1, s7
	v_cndmask_b32_e64 v11, v35, 0, s8
	v_cndmask_b32_e64 v15, v4, v18, s7
	v_cndmask_b32_e64 v16, v5, v19, s7
	v_cmp_gt_u16_sdwa s9, v17, v14 src0_sel:BYTE_0 src1_sel:BYTE_0
	v_cndmask_b32_e64 v5, v19, v5, s7
	v_cndmask_b32_e64 v4, v18, v4, s7
	;; [unrolled: 1-line block ×9, first 2 shown]
	v_cmp_gt_u16_sdwa s7, v14, v10 src0_sel:BYTE_0 src1_sel:BYTE_0
	v_cmp_gt_u16_sdwa s8, v11, v17 src0_sel:BYTE_0 src1_sel:BYTE_0
	v_cndmask_b32_e64 v25, v20, v4, s9
	v_cndmask_b32_e64 v20, v4, v20, s9
	;; [unrolled: 1-line block ×13, first 2 shown]
	v_cmp_gt_u16_sdwa s11, v27, v26 src0_sel:BYTE_0 src1_sel:BYTE_0
	s_and_saveexec_b32 s9, s11
	s_cbranch_execz .LBB1542_84
; %bb.83:
	v_mov_b32_e32 v17, v15
	v_mov_b32_e32 v16, v14
	;; [unrolled: 1-line block ×8, first 2 shown]
.LBB1542_84:
	s_or_b32 exec_lo, exec_lo, s9
	v_cndmask_b32_e64 v36, v10, 1, s7
	v_cndmask_b32_e64 v35, v11, 0, s8
.LBB1542_85:
	s_or_b32 exec_lo, exec_lo, s10
	v_and_b32_e32 v9, 0xffffff80, v9
	v_or_b32_e32 v10, 4, v30
	v_and_b32_e32 v31, 0x78, v30
	s_mov_b32 s8, exec_lo
	v_sub_nc_u32_e64 v16, 0x400, v9 clamp
	v_add_co_u32 v11, s7, v12, v9
	v_add_co_ci_u32_e64 v12, null, 0, v13, s7
	v_min_u32_e32 v28, v16, v10
	v_and_b32_e32 v13, 4, v30
	v_add_nc_u32_e32 v10, 4, v28
	v_min_u32_e32 v32, v16, v13
	v_sub_nc_u32_e32 v17, v28, v31
	v_min_u32_e32 v29, v16, v10
	v_mad_u64_u32 v[9:10], null, v9, 7, v[11:12]
	v_add_nc_u32_e32 v10, v11, v30
	v_sub_nc_u32_e32 v12, v29, v28
	v_lshl_add_u32 v13, v30, 3, v9
	v_sub_nc_u32_e64 v33, v32, v12 clamp
	v_min_u32_e32 v12, v32, v17
	ds_write_b8 v10, v36
	ds_write_b8 v10, v26 offset:1
	ds_write2_b64 v13, v[4:5], v[22:23] offset0:128 offset1:129
	ds_write_b8 v10, v27 offset:2
	ds_write_b8 v10, v35 offset:3
	ds_write2_b64 v13, v[14:15], v[20:21] offset0:130 offset1:131
	; wave barrier
	v_cmpx_lt_u32_e64 v33, v12
	s_cbranch_execz .LBB1542_89
; %bb.86:
	v_add_co_u32 v17, null, v11, v31
	v_add_co_u32 v18, null, v11, v28
	s_mov_b32 s9, 0
	.p2align	6
.LBB1542_87:                            ; =>This Inner Loop Header: Depth=1
	v_add_nc_u32_e32 v19, v12, v33
	v_lshrrev_b32_e32 v19, 1, v19
	v_not_b32_e32 v24, v19
	v_add_nc_u32_e32 v25, v17, v19
	v_add_nc_u32_e32 v37, 1, v19
	v_add3_u32 v24, v32, v24, v18
	ds_read_u8 v25, v25
	ds_read_u8 v24, v24
	s_waitcnt lgkmcnt(0)
	v_cmp_gt_u16_e64 s7, v24, v25
	v_cndmask_b32_e64 v12, v12, v19, s7
	v_cndmask_b32_e64 v33, v37, v33, s7
	v_cmp_ge_u32_e64 s7, v33, v12
	s_or_b32 s9, s7, s9
	s_andn2_b32 exec_lo, exec_lo, s9
	s_cbranch_execnz .LBB1542_87
; %bb.88:
	s_or_b32 exec_lo, exec_lo, s9
.LBB1542_89:
	s_or_b32 exec_lo, exec_lo, s8
	v_add_nc_u32_e32 v37, v28, v32
	v_add_nc_u32_e32 v32, v33, v31
	v_add_nc_u32_e32 v25, 0x400, v13
	v_add_nc_u32_e32 v17, 1, v10
	v_add_nc_u32_e32 v18, 0x408, v13
	v_sub_nc_u32_e32 v31, v37, v33
	v_cmp_le_u32_e64 s7, v32, v28
	v_add_nc_u32_e32 v19, 2, v10
	v_add_nc_u32_e32 v24, 0x410, v13
	;; [unrolled: 1-line block ×3, first 2 shown]
	v_cmp_le_u32_e64 s8, v31, v29
	v_add_nc_u32_e32 v13, 0x418, v13
	s_or_b32 s7, s7, s8
	s_and_saveexec_b32 s12, s7
	s_cbranch_execz .LBB1542_95
; %bb.90:
	v_cmp_lt_u32_e64 s7, v32, v28
                                        ; implicit-def: $vgpr26
	s_and_saveexec_b32 s8, s7
; %bb.91:
	v_add_nc_u32_e32 v4, v11, v32
	ds_read_u8 v26, v4
; %bb.92:
	s_or_b32 exec_lo, exec_lo, s8
	v_cmp_ge_u32_e64 s8, v31, v29
	s_mov_b32 s10, exec_lo
                                        ; implicit-def: $vgpr27
	v_cmpx_lt_u32_e64 v31, v29
; %bb.93:
	v_add_nc_u32_e32 v4, v11, v31
	ds_read_u8 v27, v4
; %bb.94:
	s_or_b32 exec_lo, exec_lo, s10
	s_waitcnt lgkmcnt(0)
	v_cmp_le_u16_sdwa s9, v27, v26 src0_sel:BYTE_0 src1_sel:BYTE_0
	s_and_b32 s7, s7, s9
	s_or_b32 s7, s8, s7
	v_cndmask_b32_e64 v4, v31, v32, s7
	v_cndmask_b32_e64 v5, v29, v28, s7
	;; [unrolled: 1-line block ×3, first 2 shown]
	v_add_nc_u32_e32 v14, 1, v4
	v_add_nc_u32_e32 v5, -1, v5
	v_lshl_add_u32 v4, v4, 3, v9
	v_cndmask_b32_e64 v15, v32, v14, s7
	v_min_u32_e32 v5, v14, v5
	v_cmp_lt_u32_e64 s8, v15, v28
	v_add_nc_u32_e32 v5, v11, v5
	ds_read_u8 v5, v5
	s_waitcnt lgkmcnt(0)
	v_cndmask_b32_e64 v32, v5, v27, s7
	v_cndmask_b32_e64 v33, v26, v5, s7
	;; [unrolled: 1-line block ×3, first 2 shown]
	v_cmp_le_u16_sdwa s10, v32, v33 src0_sel:BYTE_0 src1_sel:BYTE_0
	v_cmp_ge_u32_e64 s9, v5, v29
	s_and_b32 s8, s8, s10
	s_or_b32 s8, s9, s8
	v_cndmask_b32_e64 v14, v5, v15, s8
	v_cndmask_b32_e64 v20, v29, v28, s8
	;; [unrolled: 1-line block ×3, first 2 shown]
	v_add_nc_u32_e32 v21, 1, v14
	v_add_nc_u32_e32 v20, -1, v20
	v_lshl_add_u32 v14, v14, 3, v9
	v_cndmask_b32_e64 v15, v15, v21, s8
	v_min_u32_e32 v20, v21, v20
	v_cndmask_b32_e64 v5, v21, v5, s8
	v_cmp_lt_u32_e64 s9, v15, v28
	v_add_nc_u32_e32 v20, v11, v20
	v_cmp_ge_u32_e64 s10, v5, v29
	ds_read_u8 v20, v20
	s_waitcnt lgkmcnt(0)
	v_cndmask_b32_e64 v31, v20, v32, s8
	v_cndmask_b32_e64 v35, v33, v20, s8
	v_cmp_le_u16_sdwa s11, v31, v35 src0_sel:BYTE_0 src1_sel:BYTE_0
	s_and_b32 s9, s9, s11
	s_or_b32 s9, s10, s9
	v_cndmask_b32_e64 v20, v5, v15, s9
	v_cndmask_b32_e64 v21, v29, v28, s9
	;; [unrolled: 1-line block ×3, first 2 shown]
	v_add_nc_u32_e32 v22, 1, v20
	v_add_nc_u32_e32 v21, -1, v21
	v_cndmask_b32_e64 v15, v15, v22, s9
	v_min_u32_e32 v21, v22, v21
	v_cndmask_b32_e64 v5, v22, v5, s9
	v_cmp_lt_u32_e64 s10, v15, v28
	v_add_nc_u32_e32 v21, v11, v21
	v_cmp_ge_u32_e64 s11, v5, v29
	ds_read_u8 v21, v21
	s_waitcnt lgkmcnt(0)
	v_cndmask_b32_e64 v37, v21, v31, s9
	v_cndmask_b32_e64 v38, v35, v21, s9
	v_cmp_le_u16_sdwa s13, v37, v38 src0_sel:BYTE_0 src1_sel:BYTE_0
	s_and_b32 s10, s10, s13
	s_or_b32 s10, s11, s10
	v_cndmask_b32_e64 v5, v5, v15, s10
	v_lshl_add_u32 v15, v20, 3, v9
	v_cndmask_b32_e64 v35, v37, v38, s10
	v_lshl_add_u32 v20, v5, 3, v9
	ds_read_b64 v[4:5], v4 offset:1024
	ds_read_b64 v[22:23], v14 offset:1024
	ds_read_b64 v[14:15], v15 offset:1024
	ds_read_b64 v[20:21], v20 offset:1024
.LBB1542_95:
	s_or_b32 exec_lo, exec_lo, s12
	v_and_b32_e32 v31, 0x70, v30
	v_and_b32_e32 v32, 12, v30
	s_mov_b32 s8, exec_lo
	; wave barrier
	v_or_b32_e32 v28, 8, v31
	v_min_u32_e32 v32, v16, v32
	ds_write_b8 v10, v36
	s_waitcnt lgkmcnt(4)
	ds_write_b64 v25, v[4:5]
	ds_write_b8 v17, v26
	s_waitcnt lgkmcnt(5)
	ds_write_b64 v18, v[22:23]
	;; [unrolled: 3-line block ×4, first 2 shown]
	v_min_u32_e32 v28, v16, v28
	; wave barrier
	v_add_nc_u32_e32 v29, 8, v28
	v_sub_nc_u32_e32 v37, v28, v31
	v_min_u32_e32 v29, v16, v29
	v_min_u32_e32 v37, v32, v37
	v_sub_nc_u32_e32 v33, v29, v28
	v_sub_nc_u32_e64 v33, v32, v33 clamp
	v_cmpx_lt_u32_e64 v33, v37
	s_cbranch_execz .LBB1542_99
; %bb.96:
	v_add_co_u32 v38, null, v11, v31
	v_add_co_u32 v39, null, v11, v28
	s_mov_b32 s9, 0
	.p2align	6
.LBB1542_97:                            ; =>This Inner Loop Header: Depth=1
	v_add_nc_u32_e32 v48, v37, v33
	v_lshrrev_b32_e32 v48, 1, v48
	v_not_b32_e32 v49, v48
	v_add_nc_u32_e32 v50, v38, v48
	v_add_nc_u32_e32 v51, 1, v48
	v_add3_u32 v49, v32, v49, v39
	ds_read_u8 v50, v50
	ds_read_u8 v49, v49
	s_waitcnt lgkmcnt(0)
	v_cmp_gt_u16_e64 s7, v49, v50
	v_cndmask_b32_e64 v37, v37, v48, s7
	v_cndmask_b32_e64 v33, v51, v33, s7
	v_cmp_ge_u32_e64 s7, v33, v37
	s_or_b32 s9, s7, s9
	s_andn2_b32 exec_lo, exec_lo, s9
	s_cbranch_execnz .LBB1542_97
; %bb.98:
	s_or_b32 exec_lo, exec_lo, s9
.LBB1542_99:
	s_or_b32 exec_lo, exec_lo, s8
	v_add_nc_u32_e32 v37, v28, v32
	v_add_nc_u32_e32 v32, v33, v31
	v_sub_nc_u32_e32 v31, v37, v33
	v_cmp_le_u32_e64 s7, v32, v28
	v_cmp_le_u32_e64 s8, v31, v29
	s_or_b32 s7, s7, s8
	s_and_saveexec_b32 s12, s7
	s_cbranch_execz .LBB1542_105
; %bb.100:
	v_cmp_lt_u32_e64 s7, v32, v28
                                        ; implicit-def: $vgpr26
	s_and_saveexec_b32 s8, s7
; %bb.101:
	v_add_nc_u32_e32 v4, v11, v32
	ds_read_u8 v26, v4
; %bb.102:
	s_or_b32 exec_lo, exec_lo, s8
	v_cmp_ge_u32_e64 s8, v31, v29
	s_mov_b32 s10, exec_lo
                                        ; implicit-def: $vgpr27
	v_cmpx_lt_u32_e64 v31, v29
; %bb.103:
	v_add_nc_u32_e32 v4, v11, v31
	ds_read_u8 v27, v4
; %bb.104:
	s_or_b32 exec_lo, exec_lo, s10
	s_waitcnt lgkmcnt(0)
	v_cmp_le_u16_sdwa s9, v27, v26 src0_sel:BYTE_0 src1_sel:BYTE_0
	s_and_b32 s7, s7, s9
	s_or_b32 s7, s8, s7
	v_cndmask_b32_e64 v4, v31, v32, s7
	v_cndmask_b32_e64 v5, v29, v28, s7
	;; [unrolled: 1-line block ×3, first 2 shown]
	v_add_nc_u32_e32 v14, 1, v4
	v_add_nc_u32_e32 v5, -1, v5
	v_lshl_add_u32 v4, v4, 3, v9
	v_cndmask_b32_e64 v15, v32, v14, s7
	v_min_u32_e32 v5, v14, v5
	v_cmp_lt_u32_e64 s8, v15, v28
	v_add_nc_u32_e32 v5, v11, v5
	ds_read_u8 v5, v5
	s_waitcnt lgkmcnt(0)
	v_cndmask_b32_e64 v32, v5, v27, s7
	v_cndmask_b32_e64 v33, v26, v5, s7
	;; [unrolled: 1-line block ×3, first 2 shown]
	v_cmp_le_u16_sdwa s10, v32, v33 src0_sel:BYTE_0 src1_sel:BYTE_0
	v_cmp_ge_u32_e64 s9, v5, v29
	s_and_b32 s8, s8, s10
	s_or_b32 s8, s9, s8
	v_cndmask_b32_e64 v14, v5, v15, s8
	v_cndmask_b32_e64 v20, v29, v28, s8
	;; [unrolled: 1-line block ×3, first 2 shown]
	v_add_nc_u32_e32 v21, 1, v14
	v_add_nc_u32_e32 v20, -1, v20
	v_lshl_add_u32 v14, v14, 3, v9
	v_cndmask_b32_e64 v15, v15, v21, s8
	v_min_u32_e32 v20, v21, v20
	v_cndmask_b32_e64 v5, v21, v5, s8
	v_cmp_lt_u32_e64 s9, v15, v28
	v_add_nc_u32_e32 v20, v11, v20
	v_cmp_ge_u32_e64 s10, v5, v29
	ds_read_u8 v20, v20
	s_waitcnt lgkmcnt(0)
	v_cndmask_b32_e64 v31, v20, v32, s8
	v_cndmask_b32_e64 v35, v33, v20, s8
	v_cmp_le_u16_sdwa s11, v31, v35 src0_sel:BYTE_0 src1_sel:BYTE_0
	s_and_b32 s9, s9, s11
	s_or_b32 s9, s10, s9
	v_cndmask_b32_e64 v20, v5, v15, s9
	v_cndmask_b32_e64 v21, v29, v28, s9
	;; [unrolled: 1-line block ×3, first 2 shown]
	v_add_nc_u32_e32 v22, 1, v20
	v_add_nc_u32_e32 v21, -1, v21
	v_cndmask_b32_e64 v15, v15, v22, s9
	v_min_u32_e32 v21, v22, v21
	v_cndmask_b32_e64 v5, v22, v5, s9
	v_cmp_lt_u32_e64 s10, v15, v28
	v_add_nc_u32_e32 v21, v11, v21
	v_cmp_ge_u32_e64 s11, v5, v29
	ds_read_u8 v21, v21
	s_waitcnt lgkmcnt(0)
	v_cndmask_b32_e64 v37, v21, v31, s9
	v_cndmask_b32_e64 v38, v35, v21, s9
	v_cmp_le_u16_sdwa s13, v37, v38 src0_sel:BYTE_0 src1_sel:BYTE_0
	s_and_b32 s10, s10, s13
	s_or_b32 s10, s11, s10
	v_cndmask_b32_e64 v5, v5, v15, s10
	v_lshl_add_u32 v15, v20, 3, v9
	v_cndmask_b32_e64 v35, v37, v38, s10
	v_lshl_add_u32 v20, v5, 3, v9
	ds_read_b64 v[4:5], v4 offset:1024
	ds_read_b64 v[22:23], v14 offset:1024
	ds_read_b64 v[14:15], v15 offset:1024
	ds_read_b64 v[20:21], v20 offset:1024
.LBB1542_105:
	s_or_b32 exec_lo, exec_lo, s12
	v_and_b32_e32 v31, 0x60, v30
	v_and_b32_e32 v32, 28, v30
	s_mov_b32 s8, exec_lo
	; wave barrier
	v_or_b32_e32 v28, 16, v31
	v_min_u32_e32 v32, v16, v32
	ds_write_b8 v10, v36
	s_waitcnt lgkmcnt(4)
	ds_write_b64 v25, v[4:5]
	ds_write_b8 v17, v26
	s_waitcnt lgkmcnt(5)
	ds_write_b64 v18, v[22:23]
	;; [unrolled: 3-line block ×4, first 2 shown]
	v_min_u32_e32 v28, v16, v28
	; wave barrier
	v_add_nc_u32_e32 v29, 16, v28
	v_sub_nc_u32_e32 v37, v28, v31
	v_min_u32_e32 v29, v16, v29
	v_min_u32_e32 v37, v32, v37
	v_sub_nc_u32_e32 v33, v29, v28
	v_sub_nc_u32_e64 v33, v32, v33 clamp
	v_cmpx_lt_u32_e64 v33, v37
	s_cbranch_execz .LBB1542_109
; %bb.106:
	v_add_co_u32 v38, null, v11, v31
	v_add_co_u32 v39, null, v11, v28
	s_mov_b32 s9, 0
	.p2align	6
.LBB1542_107:                           ; =>This Inner Loop Header: Depth=1
	v_add_nc_u32_e32 v48, v37, v33
	v_lshrrev_b32_e32 v48, 1, v48
	v_not_b32_e32 v49, v48
	v_add_nc_u32_e32 v50, v38, v48
	v_add_nc_u32_e32 v51, 1, v48
	v_add3_u32 v49, v32, v49, v39
	ds_read_u8 v50, v50
	ds_read_u8 v49, v49
	s_waitcnt lgkmcnt(0)
	v_cmp_gt_u16_e64 s7, v49, v50
	v_cndmask_b32_e64 v37, v37, v48, s7
	v_cndmask_b32_e64 v33, v51, v33, s7
	v_cmp_ge_u32_e64 s7, v33, v37
	s_or_b32 s9, s7, s9
	s_andn2_b32 exec_lo, exec_lo, s9
	s_cbranch_execnz .LBB1542_107
; %bb.108:
	s_or_b32 exec_lo, exec_lo, s9
.LBB1542_109:
	s_or_b32 exec_lo, exec_lo, s8
	v_add_nc_u32_e32 v37, v28, v32
	v_add_nc_u32_e32 v32, v33, v31
	v_sub_nc_u32_e32 v31, v37, v33
	v_cmp_le_u32_e64 s7, v32, v28
	v_cmp_le_u32_e64 s8, v31, v29
	s_or_b32 s7, s7, s8
	s_and_saveexec_b32 s12, s7
	s_cbranch_execz .LBB1542_115
; %bb.110:
	v_cmp_lt_u32_e64 s7, v32, v28
                                        ; implicit-def: $vgpr26
	s_and_saveexec_b32 s8, s7
; %bb.111:
	v_add_nc_u32_e32 v4, v11, v32
	ds_read_u8 v26, v4
; %bb.112:
	s_or_b32 exec_lo, exec_lo, s8
	v_cmp_ge_u32_e64 s8, v31, v29
	s_mov_b32 s10, exec_lo
                                        ; implicit-def: $vgpr27
	v_cmpx_lt_u32_e64 v31, v29
; %bb.113:
	v_add_nc_u32_e32 v4, v11, v31
	ds_read_u8 v27, v4
; %bb.114:
	s_or_b32 exec_lo, exec_lo, s10
	s_waitcnt lgkmcnt(0)
	v_cmp_le_u16_sdwa s9, v27, v26 src0_sel:BYTE_0 src1_sel:BYTE_0
	s_and_b32 s7, s7, s9
	s_or_b32 s7, s8, s7
	v_cndmask_b32_e64 v4, v31, v32, s7
	v_cndmask_b32_e64 v5, v29, v28, s7
	;; [unrolled: 1-line block ×3, first 2 shown]
	v_add_nc_u32_e32 v14, 1, v4
	v_add_nc_u32_e32 v5, -1, v5
	v_lshl_add_u32 v4, v4, 3, v9
	v_cndmask_b32_e64 v15, v32, v14, s7
	v_min_u32_e32 v5, v14, v5
	v_cmp_lt_u32_e64 s8, v15, v28
	v_add_nc_u32_e32 v5, v11, v5
	ds_read_u8 v5, v5
	s_waitcnt lgkmcnt(0)
	v_cndmask_b32_e64 v32, v5, v27, s7
	v_cndmask_b32_e64 v33, v26, v5, s7
	v_cndmask_b32_e64 v5, v14, v31, s7
	v_cmp_le_u16_sdwa s10, v32, v33 src0_sel:BYTE_0 src1_sel:BYTE_0
	v_cmp_ge_u32_e64 s9, v5, v29
	s_and_b32 s8, s8, s10
	s_or_b32 s8, s9, s8
	v_cndmask_b32_e64 v14, v5, v15, s8
	v_cndmask_b32_e64 v20, v29, v28, s8
	;; [unrolled: 1-line block ×3, first 2 shown]
	v_add_nc_u32_e32 v21, 1, v14
	v_add_nc_u32_e32 v20, -1, v20
	v_lshl_add_u32 v14, v14, 3, v9
	v_cndmask_b32_e64 v15, v15, v21, s8
	v_min_u32_e32 v20, v21, v20
	v_cndmask_b32_e64 v5, v21, v5, s8
	v_cmp_lt_u32_e64 s9, v15, v28
	v_add_nc_u32_e32 v20, v11, v20
	v_cmp_ge_u32_e64 s10, v5, v29
	ds_read_u8 v20, v20
	s_waitcnt lgkmcnt(0)
	v_cndmask_b32_e64 v31, v20, v32, s8
	v_cndmask_b32_e64 v35, v33, v20, s8
	v_cmp_le_u16_sdwa s11, v31, v35 src0_sel:BYTE_0 src1_sel:BYTE_0
	s_and_b32 s9, s9, s11
	s_or_b32 s9, s10, s9
	v_cndmask_b32_e64 v20, v5, v15, s9
	v_cndmask_b32_e64 v21, v29, v28, s9
	;; [unrolled: 1-line block ×3, first 2 shown]
	v_add_nc_u32_e32 v22, 1, v20
	v_add_nc_u32_e32 v21, -1, v21
	v_cndmask_b32_e64 v15, v15, v22, s9
	v_min_u32_e32 v21, v22, v21
	v_cndmask_b32_e64 v5, v22, v5, s9
	v_cmp_lt_u32_e64 s10, v15, v28
	v_add_nc_u32_e32 v21, v11, v21
	v_cmp_ge_u32_e64 s11, v5, v29
	ds_read_u8 v21, v21
	s_waitcnt lgkmcnt(0)
	v_cndmask_b32_e64 v37, v21, v31, s9
	v_cndmask_b32_e64 v38, v35, v21, s9
	v_cmp_le_u16_sdwa s13, v37, v38 src0_sel:BYTE_0 src1_sel:BYTE_0
	s_and_b32 s10, s10, s13
	s_or_b32 s10, s11, s10
	v_cndmask_b32_e64 v5, v5, v15, s10
	v_lshl_add_u32 v15, v20, 3, v9
	v_cndmask_b32_e64 v35, v37, v38, s10
	v_lshl_add_u32 v20, v5, 3, v9
	ds_read_b64 v[4:5], v4 offset:1024
	ds_read_b64 v[22:23], v14 offset:1024
	ds_read_b64 v[14:15], v15 offset:1024
	ds_read_b64 v[20:21], v20 offset:1024
.LBB1542_115:
	s_or_b32 exec_lo, exec_lo, s12
	v_and_b32_e32 v31, 64, v30
	v_and_b32_e32 v32, 60, v30
	s_mov_b32 s8, exec_lo
	; wave barrier
	v_or_b32_e32 v28, 32, v31
	v_min_u32_e32 v32, v16, v32
	ds_write_b8 v10, v36
	s_waitcnt lgkmcnt(4)
	ds_write_b64 v25, v[4:5]
	ds_write_b8 v17, v26
	s_waitcnt lgkmcnt(5)
	ds_write_b64 v18, v[22:23]
	;; [unrolled: 3-line block ×4, first 2 shown]
	v_min_u32_e32 v28, v16, v28
	; wave barrier
	v_add_nc_u32_e32 v29, 32, v28
	v_sub_nc_u32_e32 v37, v28, v31
	v_min_u32_e32 v29, v16, v29
	v_min_u32_e32 v37, v32, v37
	v_sub_nc_u32_e32 v33, v29, v28
	v_sub_nc_u32_e64 v33, v32, v33 clamp
	v_cmpx_lt_u32_e64 v33, v37
	s_cbranch_execz .LBB1542_119
; %bb.116:
	v_add_co_u32 v38, null, v11, v31
	v_add_co_u32 v39, null, v11, v28
	s_mov_b32 s9, 0
	.p2align	6
.LBB1542_117:                           ; =>This Inner Loop Header: Depth=1
	v_add_nc_u32_e32 v48, v37, v33
	v_lshrrev_b32_e32 v48, 1, v48
	v_not_b32_e32 v49, v48
	v_add_nc_u32_e32 v50, v38, v48
	v_add_nc_u32_e32 v51, 1, v48
	v_add3_u32 v49, v32, v49, v39
	ds_read_u8 v50, v50
	ds_read_u8 v49, v49
	s_waitcnt lgkmcnt(0)
	v_cmp_gt_u16_e64 s7, v49, v50
	v_cndmask_b32_e64 v37, v37, v48, s7
	v_cndmask_b32_e64 v33, v51, v33, s7
	v_cmp_ge_u32_e64 s7, v33, v37
	s_or_b32 s9, s7, s9
	s_andn2_b32 exec_lo, exec_lo, s9
	s_cbranch_execnz .LBB1542_117
; %bb.118:
	s_or_b32 exec_lo, exec_lo, s9
.LBB1542_119:
	s_or_b32 exec_lo, exec_lo, s8
	v_add_nc_u32_e32 v37, v28, v32
	v_add_nc_u32_e32 v32, v33, v31
	v_sub_nc_u32_e32 v31, v37, v33
	v_cmp_le_u32_e64 s7, v32, v28
	v_cmp_le_u32_e64 s8, v31, v29
	s_or_b32 s7, s7, s8
	s_and_saveexec_b32 s12, s7
	s_cbranch_execz .LBB1542_125
; %bb.120:
	v_cmp_lt_u32_e64 s7, v32, v28
                                        ; implicit-def: $vgpr26
	s_and_saveexec_b32 s8, s7
; %bb.121:
	v_add_nc_u32_e32 v4, v11, v32
	ds_read_u8 v26, v4
; %bb.122:
	s_or_b32 exec_lo, exec_lo, s8
	v_cmp_ge_u32_e64 s8, v31, v29
	s_mov_b32 s10, exec_lo
                                        ; implicit-def: $vgpr27
	v_cmpx_lt_u32_e64 v31, v29
; %bb.123:
	v_add_nc_u32_e32 v4, v11, v31
	ds_read_u8 v27, v4
; %bb.124:
	s_or_b32 exec_lo, exec_lo, s10
	s_waitcnt lgkmcnt(0)
	v_cmp_le_u16_sdwa s9, v27, v26 src0_sel:BYTE_0 src1_sel:BYTE_0
	s_and_b32 s7, s7, s9
	s_or_b32 s7, s8, s7
	v_cndmask_b32_e64 v4, v31, v32, s7
	v_cndmask_b32_e64 v5, v29, v28, s7
	;; [unrolled: 1-line block ×3, first 2 shown]
	v_add_nc_u32_e32 v14, 1, v4
	v_add_nc_u32_e32 v5, -1, v5
	v_lshl_add_u32 v4, v4, 3, v9
	v_cndmask_b32_e64 v15, v32, v14, s7
	v_min_u32_e32 v5, v14, v5
	v_cmp_lt_u32_e64 s8, v15, v28
	v_add_nc_u32_e32 v5, v11, v5
	ds_read_u8 v5, v5
	s_waitcnt lgkmcnt(0)
	v_cndmask_b32_e64 v32, v5, v27, s7
	v_cndmask_b32_e64 v33, v26, v5, s7
	;; [unrolled: 1-line block ×3, first 2 shown]
	v_cmp_le_u16_sdwa s10, v32, v33 src0_sel:BYTE_0 src1_sel:BYTE_0
	v_cmp_ge_u32_e64 s9, v5, v29
	s_and_b32 s8, s8, s10
	s_or_b32 s8, s9, s8
	v_cndmask_b32_e64 v14, v5, v15, s8
	v_cndmask_b32_e64 v20, v29, v28, s8
	;; [unrolled: 1-line block ×3, first 2 shown]
	v_add_nc_u32_e32 v21, 1, v14
	v_add_nc_u32_e32 v20, -1, v20
	v_lshl_add_u32 v14, v14, 3, v9
	v_cndmask_b32_e64 v15, v15, v21, s8
	v_min_u32_e32 v20, v21, v20
	v_cndmask_b32_e64 v5, v21, v5, s8
	v_cmp_lt_u32_e64 s9, v15, v28
	v_add_nc_u32_e32 v20, v11, v20
	v_cmp_ge_u32_e64 s10, v5, v29
	ds_read_u8 v20, v20
	s_waitcnt lgkmcnt(0)
	v_cndmask_b32_e64 v31, v20, v32, s8
	v_cndmask_b32_e64 v35, v33, v20, s8
	v_cmp_le_u16_sdwa s11, v31, v35 src0_sel:BYTE_0 src1_sel:BYTE_0
	s_and_b32 s9, s9, s11
	s_or_b32 s9, s10, s9
	v_cndmask_b32_e64 v20, v5, v15, s9
	v_cndmask_b32_e64 v21, v29, v28, s9
	;; [unrolled: 1-line block ×3, first 2 shown]
	v_add_nc_u32_e32 v22, 1, v20
	v_add_nc_u32_e32 v21, -1, v21
	v_cndmask_b32_e64 v15, v15, v22, s9
	v_min_u32_e32 v21, v22, v21
	v_cndmask_b32_e64 v5, v22, v5, s9
	v_cmp_lt_u32_e64 s10, v15, v28
	v_add_nc_u32_e32 v21, v11, v21
	v_cmp_ge_u32_e64 s11, v5, v29
	ds_read_u8 v21, v21
	s_waitcnt lgkmcnt(0)
	v_cndmask_b32_e64 v37, v21, v31, s9
	v_cndmask_b32_e64 v38, v35, v21, s9
	v_cmp_le_u16_sdwa s13, v37, v38 src0_sel:BYTE_0 src1_sel:BYTE_0
	s_and_b32 s10, s10, s13
	s_or_b32 s10, s11, s10
	v_cndmask_b32_e64 v5, v5, v15, s10
	v_lshl_add_u32 v15, v20, 3, v9
	v_cndmask_b32_e64 v35, v37, v38, s10
	v_lshl_add_u32 v20, v5, 3, v9
	ds_read_b64 v[4:5], v4 offset:1024
	ds_read_b64 v[22:23], v14 offset:1024
	;; [unrolled: 1-line block ×4, first 2 shown]
.LBB1542_125:
	s_or_b32 exec_lo, exec_lo, s12
	v_min_u32_e32 v28, 64, v16
	; wave barrier
	ds_write_b8 v10, v36
	s_waitcnt lgkmcnt(4)
	ds_write_b64 v25, v[4:5]
	s_mov_b32 s8, exec_lo
	v_add_nc_u32_e32 v29, 64, v28
	ds_write_b8 v17, v26
	s_waitcnt lgkmcnt(5)
	ds_write_b64 v18, v[22:23]
	ds_write_b8 v19, v27
	s_waitcnt lgkmcnt(6)
	ds_write_b64 v24, v[14:15]
	;; [unrolled: 3-line block ×3, first 2 shown]
	; wave barrier
	v_min_u32_e32 v29, v16, v29
	v_min_u32_e32 v16, v16, v30
	v_sub_nc_u32_e32 v31, v29, v28
	v_min_u32_e32 v25, v16, v28
	v_sub_nc_u32_e64 v10, v16, v31 clamp
	v_cmpx_lt_u32_e64 v10, v25
	s_cbranch_execz .LBB1542_129
; %bb.126:
	v_add_co_u32 v12, null, v11, v28
	s_mov_b32 s9, 0
	.p2align	6
.LBB1542_127:                           ; =>This Inner Loop Header: Depth=1
	v_add_nc_u32_e32 v13, v25, v10
	v_lshrrev_b32_e32 v13, 1, v13
	v_not_b32_e32 v17, v13
	v_add_nc_u32_e32 v18, v11, v13
	v_add_nc_u32_e32 v19, 1, v13
	v_add3_u32 v17, v16, v17, v12
	ds_read_u8 v18, v18
	ds_read_u8 v17, v17
	s_waitcnt lgkmcnt(0)
	v_cmp_gt_u16_e64 s7, v17, v18
	v_cndmask_b32_e64 v25, v25, v13, s7
	v_cndmask_b32_e64 v10, v19, v10, s7
	v_cmp_ge_u32_e64 s7, v10, v25
	s_or_b32 s9, s7, s9
	s_andn2_b32 exec_lo, exec_lo, s9
	s_cbranch_execnz .LBB1542_127
; %bb.128:
	s_or_b32 exec_lo, exec_lo, s9
.LBB1542_129:
	s_or_b32 exec_lo, exec_lo, s8
	v_add_nc_u32_e32 v12, v28, v16
	v_cmp_le_u32_e64 s7, v10, v28
	v_sub_nc_u32_e32 v16, v12, v10
	v_cmp_le_u32_e64 s8, v16, v29
	s_or_b32 s7, s7, s8
	s_and_saveexec_b32 s12, s7
	s_cbranch_execz .LBB1542_135
; %bb.130:
	v_cmp_lt_u32_e64 s7, v10, v28
                                        ; implicit-def: $vgpr12
	s_and_saveexec_b32 s8, s7
; %bb.131:
	v_add_nc_u32_e32 v4, v11, v10
	ds_read_u8 v12, v4
; %bb.132:
	s_or_b32 exec_lo, exec_lo, s8
	v_cmp_ge_u32_e64 s8, v16, v29
	s_mov_b32 s10, exec_lo
                                        ; implicit-def: $vgpr13
	v_cmpx_lt_u32_e64 v16, v29
; %bb.133:
	v_add_nc_u32_e32 v4, v11, v16
	ds_read_u8 v13, v4
; %bb.134:
	s_or_b32 exec_lo, exec_lo, s10
	s_waitcnt lgkmcnt(0)
	v_cmp_le_u16_sdwa s9, v13, v12 src0_sel:BYTE_0 src1_sel:BYTE_0
	s_and_b32 s7, s7, s9
	s_or_b32 s7, s8, s7
	v_cndmask_b32_e64 v4, v16, v10, s7
	v_cndmask_b32_e64 v5, v29, v28, s7
	;; [unrolled: 1-line block ×3, first 2 shown]
	v_add_nc_u32_e32 v14, 1, v4
	v_add_nc_u32_e32 v5, -1, v5
	v_lshl_add_u32 v4, v4, 3, v9
	v_cndmask_b32_e64 v10, v10, v14, s7
	v_min_u32_e32 v5, v14, v5
	v_cmp_lt_u32_e64 s8, v10, v28
	v_add_nc_u32_e32 v5, v11, v5
	ds_read_u8 v5, v5
	s_waitcnt lgkmcnt(0)
	v_cndmask_b32_e64 v17, v5, v13, s7
	v_cndmask_b32_e64 v18, v12, v5, s7
	;; [unrolled: 1-line block ×3, first 2 shown]
	v_cmp_le_u16_sdwa s10, v17, v18 src0_sel:BYTE_0 src1_sel:BYTE_0
	v_cmp_ge_u32_e64 s9, v5, v29
	s_and_b32 s8, s8, s10
	s_or_b32 s8, s9, s8
	v_cndmask_b32_e64 v14, v5, v10, s8
	v_cndmask_b32_e64 v15, v29, v28, s8
	;; [unrolled: 1-line block ×3, first 2 shown]
	v_add_nc_u32_e32 v16, 1, v14
	v_add_nc_u32_e32 v15, -1, v15
	v_cndmask_b32_e64 v10, v10, v16, s8
	v_min_u32_e32 v15, v16, v15
	v_cndmask_b32_e64 v5, v16, v5, s8
	v_cmp_lt_u32_e64 s9, v10, v28
	v_add_nc_u32_e32 v15, v11, v15
	v_cmp_ge_u32_e64 s10, v5, v29
	ds_read_u8 v15, v15
	s_waitcnt lgkmcnt(0)
	v_cndmask_b32_e64 v19, v15, v17, s8
	v_cndmask_b32_e64 v24, v18, v15, s8
	v_cmp_le_u16_sdwa s11, v19, v24 src0_sel:BYTE_0 src1_sel:BYTE_0
	s_and_b32 s9, s9, s11
	s_or_b32 s9, s10, s9
	v_cndmask_b32_e64 v15, v5, v10, s9
	v_cndmask_b32_e64 v16, v29, v28, s9
	;; [unrolled: 1-line block ×3, first 2 shown]
	v_add_nc_u32_e32 v20, 1, v15
	v_add_nc_u32_e32 v16, -1, v16
	v_cndmask_b32_e64 v10, v10, v20, s9
	v_min_u32_e32 v16, v20, v16
	v_cndmask_b32_e64 v5, v20, v5, s9
	v_cmp_lt_u32_e64 s10, v10, v28
	v_add_nc_u32_e32 v11, v11, v16
	v_cmp_ge_u32_e64 s11, v5, v29
	ds_read_u8 v11, v11
	s_waitcnt lgkmcnt(0)
	v_cndmask_b32_e64 v16, v11, v19, s9
	v_cndmask_b32_e64 v11, v24, v11, s9
	v_cmp_le_u16_sdwa s13, v16, v11 src0_sel:BYTE_0 src1_sel:BYTE_0
	s_and_b32 s10, s10, s13
	s_or_b32 s10, s11, s10
	v_cndmask_b32_e64 v5, v5, v10, s10
	v_lshl_add_u32 v10, v14, 3, v9
	v_lshl_add_u32 v14, v15, 3, v9
	v_cndmask_b32_e64 v35, v16, v11, s10
	v_lshl_add_u32 v9, v5, 3, v9
	ds_read_b64 v[4:5], v4 offset:1024
	ds_read_b64 v[22:23], v10 offset:1024
	ds_read_b64 v[14:15], v14 offset:1024
	ds_read_b64 v[20:21], v9 offset:1024
.LBB1542_135:
	s_or_b32 exec_lo, exec_lo, s12
	; wave barrier
	s_waitcnt lgkmcnt(0)
	s_waitcnt_vscnt null, 0x0
	s_barrier
	buffer_gl0_inv
.LBB1542_136:
	s_or_b32 exec_lo, exec_lo, s14
	v_add_co_u32 v2, s7, v2, v8
	v_add_co_ci_u32_e64 v3, null, 0, v3, s7
	v_add_co_u32 v2, s7, v2, v30
	v_add_co_ci_u32_e64 v3, null, 0, v3, s7
	; wave barrier
	s_and_saveexec_b32 s7, vcc_lo
	s_cbranch_execnz .LBB1542_146
; %bb.137:
	s_or_b32 exec_lo, exec_lo, s7
	s_and_saveexec_b32 s7, s4
	s_cbranch_execnz .LBB1542_147
.LBB1542_138:
	s_or_b32 exec_lo, exec_lo, s7
	s_and_saveexec_b32 s7, s5
	s_cbranch_execnz .LBB1542_148
.LBB1542_139:
	s_or_b32 exec_lo, exec_lo, s7
	s_and_saveexec_b32 s7, s6
	s_cbranch_execz .LBB1542_141
.LBB1542_140:
	s_waitcnt vmcnt(0) lgkmcnt(0)
	flat_store_byte v[2:3], v35 offset:3
.LBB1542_141:
	s_or_b32 exec_lo, exec_lo, s7
	v_add_co_u32 v0, s7, v6, v0
	v_add_co_ci_u32_e64 v1, null, v7, v1, s7
	v_add_co_u32 v0, s7, v0, v34
	v_add_co_ci_u32_e64 v1, null, 0, v1, s7
	; wave barrier
	s_and_saveexec_b32 s7, vcc_lo
	s_cbranch_execnz .LBB1542_149
; %bb.142:
	s_or_b32 exec_lo, exec_lo, s7
	s_and_saveexec_b32 s7, s4
	s_cbranch_execnz .LBB1542_150
.LBB1542_143:
	s_or_b32 exec_lo, exec_lo, s7
	s_and_saveexec_b32 s4, s5
	s_cbranch_execnz .LBB1542_151
.LBB1542_144:
	s_or_b32 exec_lo, exec_lo, s4
	s_and_saveexec_b32 s4, s6
	s_cbranch_execnz .LBB1542_152
.LBB1542_145:
	s_or_b32 exec_lo, exec_lo, s4
	s_waitcnt vmcnt(0) lgkmcnt(0)
	s_setpc_b64 s[30:31]
.LBB1542_146:
	s_waitcnt vmcnt(0) lgkmcnt(0)
	flat_store_byte v[2:3], v36
	s_or_b32 exec_lo, exec_lo, s7
	s_and_saveexec_b32 s7, s4
	s_cbranch_execz .LBB1542_138
.LBB1542_147:
	s_waitcnt vmcnt(0) lgkmcnt(0)
	flat_store_byte v[2:3], v26 offset:1
	s_or_b32 exec_lo, exec_lo, s7
	s_and_saveexec_b32 s7, s5
	s_cbranch_execz .LBB1542_139
.LBB1542_148:
	s_waitcnt vmcnt(0) lgkmcnt(0)
	flat_store_byte v[2:3], v27 offset:2
	s_or_b32 exec_lo, exec_lo, s7
	s_and_saveexec_b32 s7, s6
	s_cbranch_execnz .LBB1542_140
	s_branch .LBB1542_141
.LBB1542_149:
	s_waitcnt vmcnt(0) lgkmcnt(0)
	flat_store_dwordx2 v[0:1], v[4:5]
	s_or_b32 exec_lo, exec_lo, s7
	s_and_saveexec_b32 s7, s4
	s_cbranch_execz .LBB1542_143
.LBB1542_150:
	flat_store_dwordx2 v[0:1], v[22:23] offset:8
	s_or_b32 exec_lo, exec_lo, s7
	s_and_saveexec_b32 s4, s5
	s_cbranch_execz .LBB1542_144
.LBB1542_151:
	flat_store_dwordx2 v[0:1], v[14:15] offset:16
	s_or_b32 exec_lo, exec_lo, s4
	s_and_saveexec_b32 s4, s6
	s_cbranch_execz .LBB1542_145
.LBB1542_152:
	flat_store_dwordx2 v[0:1], v[20:21] offset:24
	s_or_b32 exec_lo, exec_lo, s4
	s_waitcnt vmcnt(0) lgkmcnt(0)
	s_setpc_b64 s[30:31]
.Lfunc_end1542:
	.size	_ZN7rocprim17ROCPRIM_400000_NS6detail26segmented_warp_sort_helperINS1_20WarpSortHelperConfigILj32ELj4ELj256EEEblLi256ELb1EvE4sortIPKbPbPKlPlEEvT_T0_T1_T2_jjjjRNS5_12storage_typeE, .Lfunc_end1542-_ZN7rocprim17ROCPRIM_400000_NS6detail26segmented_warp_sort_helperINS1_20WarpSortHelperConfigILj32ELj4ELj256EEEblLi256ELb1EvE4sortIPKbPbPKlPlEEvT_T0_T1_T2_jjjjRNS5_12storage_typeE
                                        ; -- End function
	.set .L_ZN7rocprim17ROCPRIM_400000_NS6detail26segmented_warp_sort_helperINS1_20WarpSortHelperConfigILj32ELj4ELj256EEEblLi256ELb1EvE4sortIPKbPbPKlPlEEvT_T0_T1_T2_jjjjRNS5_12storage_typeE.num_vgpr, 53
	.set .L_ZN7rocprim17ROCPRIM_400000_NS6detail26segmented_warp_sort_helperINS1_20WarpSortHelperConfigILj32ELj4ELj256EEEblLi256ELb1EvE4sortIPKbPbPKlPlEEvT_T0_T1_T2_jjjjRNS5_12storage_typeE.num_agpr, 0
	.set .L_ZN7rocprim17ROCPRIM_400000_NS6detail26segmented_warp_sort_helperINS1_20WarpSortHelperConfigILj32ELj4ELj256EEEblLi256ELb1EvE4sortIPKbPbPKlPlEEvT_T0_T1_T2_jjjjRNS5_12storage_typeE.numbered_sgpr, 33
	.set .L_ZN7rocprim17ROCPRIM_400000_NS6detail26segmented_warp_sort_helperINS1_20WarpSortHelperConfigILj32ELj4ELj256EEEblLi256ELb1EvE4sortIPKbPbPKlPlEEvT_T0_T1_T2_jjjjRNS5_12storage_typeE.num_named_barrier, 0
	.set .L_ZN7rocprim17ROCPRIM_400000_NS6detail26segmented_warp_sort_helperINS1_20WarpSortHelperConfigILj32ELj4ELj256EEEblLi256ELb1EvE4sortIPKbPbPKlPlEEvT_T0_T1_T2_jjjjRNS5_12storage_typeE.private_seg_size, 12
	.set .L_ZN7rocprim17ROCPRIM_400000_NS6detail26segmented_warp_sort_helperINS1_20WarpSortHelperConfigILj32ELj4ELj256EEEblLi256ELb1EvE4sortIPKbPbPKlPlEEvT_T0_T1_T2_jjjjRNS5_12storage_typeE.uses_vcc, 1
	.set .L_ZN7rocprim17ROCPRIM_400000_NS6detail26segmented_warp_sort_helperINS1_20WarpSortHelperConfigILj32ELj4ELj256EEEblLi256ELb1EvE4sortIPKbPbPKlPlEEvT_T0_T1_T2_jjjjRNS5_12storage_typeE.uses_flat_scratch, 0
	.set .L_ZN7rocprim17ROCPRIM_400000_NS6detail26segmented_warp_sort_helperINS1_20WarpSortHelperConfigILj32ELj4ELj256EEEblLi256ELb1EvE4sortIPKbPbPKlPlEEvT_T0_T1_T2_jjjjRNS5_12storage_typeE.has_dyn_sized_stack, 0
	.set .L_ZN7rocprim17ROCPRIM_400000_NS6detail26segmented_warp_sort_helperINS1_20WarpSortHelperConfigILj32ELj4ELj256EEEblLi256ELb1EvE4sortIPKbPbPKlPlEEvT_T0_T1_T2_jjjjRNS5_12storage_typeE.has_recursion, 0
	.set .L_ZN7rocprim17ROCPRIM_400000_NS6detail26segmented_warp_sort_helperINS1_20WarpSortHelperConfigILj32ELj4ELj256EEEblLi256ELb1EvE4sortIPKbPbPKlPlEEvT_T0_T1_T2_jjjjRNS5_12storage_typeE.has_indirect_call, 0
	.section	.AMDGPU.csdata,"",@progbits
; Function info:
; codeLenInByte = 11512
; TotalNumSgprs: 35
; NumVgprs: 53
; ScratchSize: 12
; MemoryBound: 1
	.section	.text._ZN7rocprim17ROCPRIM_400000_NS6detail17trampoline_kernelINS0_14default_configENS1_36segmented_radix_sort_config_selectorIblEEZNS1_25segmented_radix_sort_implIS3_Lb1EPKbPbPKlPlN2at6native12_GLOBAL__N_18offset_tEEE10hipError_tPvRmT1_PNSt15iterator_traitsISK_E10value_typeET2_T3_PNSL_ISQ_E10value_typeET4_jRbjT5_SW_jjP12ihipStream_tbEUlT_E0_NS1_11comp_targetILNS1_3genE8ELNS1_11target_archE1030ELNS1_3gpuE2ELNS1_3repE0EEENS1_60segmented_radix_sort_warp_sort_medium_config_static_selectorELNS0_4arch9wavefront6targetE0EEEvSK_,"axG",@progbits,_ZN7rocprim17ROCPRIM_400000_NS6detail17trampoline_kernelINS0_14default_configENS1_36segmented_radix_sort_config_selectorIblEEZNS1_25segmented_radix_sort_implIS3_Lb1EPKbPbPKlPlN2at6native12_GLOBAL__N_18offset_tEEE10hipError_tPvRmT1_PNSt15iterator_traitsISK_E10value_typeET2_T3_PNSL_ISQ_E10value_typeET4_jRbjT5_SW_jjP12ihipStream_tbEUlT_E0_NS1_11comp_targetILNS1_3genE8ELNS1_11target_archE1030ELNS1_3gpuE2ELNS1_3repE0EEENS1_60segmented_radix_sort_warp_sort_medium_config_static_selectorELNS0_4arch9wavefront6targetE0EEEvSK_,comdat
	.globl	_ZN7rocprim17ROCPRIM_400000_NS6detail17trampoline_kernelINS0_14default_configENS1_36segmented_radix_sort_config_selectorIblEEZNS1_25segmented_radix_sort_implIS3_Lb1EPKbPbPKlPlN2at6native12_GLOBAL__N_18offset_tEEE10hipError_tPvRmT1_PNSt15iterator_traitsISK_E10value_typeET2_T3_PNSL_ISQ_E10value_typeET4_jRbjT5_SW_jjP12ihipStream_tbEUlT_E0_NS1_11comp_targetILNS1_3genE8ELNS1_11target_archE1030ELNS1_3gpuE2ELNS1_3repE0EEENS1_60segmented_radix_sort_warp_sort_medium_config_static_selectorELNS0_4arch9wavefront6targetE0EEEvSK_ ; -- Begin function _ZN7rocprim17ROCPRIM_400000_NS6detail17trampoline_kernelINS0_14default_configENS1_36segmented_radix_sort_config_selectorIblEEZNS1_25segmented_radix_sort_implIS3_Lb1EPKbPbPKlPlN2at6native12_GLOBAL__N_18offset_tEEE10hipError_tPvRmT1_PNSt15iterator_traitsISK_E10value_typeET2_T3_PNSL_ISQ_E10value_typeET4_jRbjT5_SW_jjP12ihipStream_tbEUlT_E0_NS1_11comp_targetILNS1_3genE8ELNS1_11target_archE1030ELNS1_3gpuE2ELNS1_3repE0EEENS1_60segmented_radix_sort_warp_sort_medium_config_static_selectorELNS0_4arch9wavefront6targetE0EEEvSK_
	.p2align	8
	.type	_ZN7rocprim17ROCPRIM_400000_NS6detail17trampoline_kernelINS0_14default_configENS1_36segmented_radix_sort_config_selectorIblEEZNS1_25segmented_radix_sort_implIS3_Lb1EPKbPbPKlPlN2at6native12_GLOBAL__N_18offset_tEEE10hipError_tPvRmT1_PNSt15iterator_traitsISK_E10value_typeET2_T3_PNSL_ISQ_E10value_typeET4_jRbjT5_SW_jjP12ihipStream_tbEUlT_E0_NS1_11comp_targetILNS1_3genE8ELNS1_11target_archE1030ELNS1_3gpuE2ELNS1_3repE0EEENS1_60segmented_radix_sort_warp_sort_medium_config_static_selectorELNS0_4arch9wavefront6targetE0EEEvSK_,@function
_ZN7rocprim17ROCPRIM_400000_NS6detail17trampoline_kernelINS0_14default_configENS1_36segmented_radix_sort_config_selectorIblEEZNS1_25segmented_radix_sort_implIS3_Lb1EPKbPbPKlPlN2at6native12_GLOBAL__N_18offset_tEEE10hipError_tPvRmT1_PNSt15iterator_traitsISK_E10value_typeET2_T3_PNSL_ISQ_E10value_typeET4_jRbjT5_SW_jjP12ihipStream_tbEUlT_E0_NS1_11comp_targetILNS1_3genE8ELNS1_11target_archE1030ELNS1_3gpuE2ELNS1_3repE0EEENS1_60segmented_radix_sort_warp_sort_medium_config_static_selectorELNS0_4arch9wavefront6targetE0EEEvSK_: ; @_ZN7rocprim17ROCPRIM_400000_NS6detail17trampoline_kernelINS0_14default_configENS1_36segmented_radix_sort_config_selectorIblEEZNS1_25segmented_radix_sort_implIS3_Lb1EPKbPbPKlPlN2at6native12_GLOBAL__N_18offset_tEEE10hipError_tPvRmT1_PNSt15iterator_traitsISK_E10value_typeET2_T3_PNSL_ISQ_E10value_typeET4_jRbjT5_SW_jjP12ihipStream_tbEUlT_E0_NS1_11comp_targetILNS1_3genE8ELNS1_11target_archE1030ELNS1_3gpuE2ELNS1_3repE0EEENS1_60segmented_radix_sort_warp_sort_medium_config_static_selectorELNS0_4arch9wavefront6targetE0EEEvSK_
; %bb.0:
	s_add_u32 s0, s0, s8
	s_load_dword s8, s[4:5], 0x64
	s_addc_u32 s1, s1, 0
	s_mov_b32 s32, 0
	s_waitcnt lgkmcnt(0)
	s_lshr_b32 s9, s8, 16
	s_and_b32 s8, s8, 0xffff
	v_mad_u32_u24 v3, v2, s9, v1
	s_load_dword s9, s[4:5], 0x34
	v_mad_u64_u32 v[3:4], null, v3, s8, v[0:1]
	s_mov_b32 s8, exec_lo
	v_lshrrev_b32_e32 v3, 5, v3
	v_lshl_add_u32 v3, s6, 3, v3
	s_waitcnt lgkmcnt(0)
	v_cmpx_gt_u32_e64 s9, v3
	s_cbranch_execz .LBB1543_6
; %bb.1:
	s_clause 0x1
	s_load_dwordx2 s[12:13], s[4:5], 0x38
	s_load_dwordx4 s[8:11], s[4:5], 0x40
	v_mov_b32_e32 v4, 0
	v_lshlrev_b64 v[3:4], 2, v[3:4]
	s_waitcnt lgkmcnt(0)
	v_add_co_u32 v3, vcc_lo, s12, v3
	v_add_co_ci_u32_e64 v4, null, s13, v4, vcc_lo
	global_load_dword v3, v[3:4], off
	s_waitcnt vmcnt(0)
	v_add_nc_u32_e32 v4, s9, v3
	v_add_nc_u32_e32 v3, s11, v3
	v_mul_lo_u32 v8, v4, s8
	v_mul_lo_u32 v40, v3, s10
	v_cmp_gt_u32_e32 vcc_lo, v40, v8
	s_and_b32 exec_lo, exec_lo, vcc_lo
	s_cbranch_execz .LBB1543_6
; %bb.2:
	s_clause 0x3
	s_load_dword s8, s[4:5], 0x30
	s_load_dwordx4 s[36:39], s[4:5], 0x20
	s_load_dwordx8 s[20:27], s[4:5], 0x0
	s_load_dwordx2 s[28:29], s[4:5], 0x50
	v_lshlrev_b32_e32 v42, 20, v2
	v_lshlrev_b32_e32 v43, 10, v1
	s_waitcnt lgkmcnt(0)
	s_bitcmp0_b32 s8, 0
	s_mov_b32 s8, -1
	s_cbranch_scc0 .LBB1543_4
; %bb.3:
	s_mov_b64 s[10:11], src_shared_base
	v_or3_b32 v31, v0, v43, v42
	v_mov_b32_e32 v41, v0
	v_mov_b32_e32 v0, s20
	;; [unrolled: 1-line block ×14, first 2 shown]
	s_add_u32 s8, s4, 0x58
	s_addc_u32 s9, s5, 0
	s_getpc_b64 s[14:15]
	s_add_u32 s14, s14, _ZN7rocprim17ROCPRIM_400000_NS6detail26segmented_warp_sort_helperINS1_20WarpSortHelperConfigILj32ELj4ELj256EEEblLi256ELb1EvE4sortIPKbPbPKlPlEEvT_T0_T1_T2_jjjjRNS5_12storage_typeE@rel32@lo+4
	s_addc_u32 s15, s15, _ZN7rocprim17ROCPRIM_400000_NS6detail26segmented_warp_sort_helperINS1_20WarpSortHelperConfigILj32ELj4ELj256EEEblLi256ELb1EvE4sortIPKbPbPKlPlEEvT_T0_T1_T2_jjjjRNS5_12storage_typeE@rel32@hi+12
	s_mov_b32 s12, s6
	s_mov_b32 s13, s7
	s_mov_b64 s[22:23], s[4:5]
	s_mov_b32 s19, s7
	s_mov_b32 s33, s6
	s_swappc_b64 s[30:31], s[14:15]
	v_mov_b32_e32 v0, v41
	s_mov_b32 s6, s33
	s_mov_b32 s7, s19
	s_mov_b64 s[4:5], s[22:23]
	s_mov_b32 s8, 0
.LBB1543_4:
	s_andn2_b32 vcc_lo, exec_lo, s8
	s_cbranch_vccnz .LBB1543_6
; %bb.5:
	s_mov_b64 s[10:11], src_shared_base
	v_or3_b32 v31, v0, v43, v42
	v_mov_b32_e32 v0, s20
	v_mov_b32_e32 v1, s21
	;; [unrolled: 1-line block ×13, first 2 shown]
	s_add_u32 s8, s4, 0x58
	s_addc_u32 s9, s5, 0
	s_getpc_b64 s[4:5]
	s_add_u32 s4, s4, _ZN7rocprim17ROCPRIM_400000_NS6detail26segmented_warp_sort_helperINS1_20WarpSortHelperConfigILj32ELj4ELj256EEEblLi256ELb1EvE4sortIPKbPbPKlPlEEvT_T0_T1_T2_jjjjRNS5_12storage_typeE@rel32@lo+4
	s_addc_u32 s5, s5, _ZN7rocprim17ROCPRIM_400000_NS6detail26segmented_warp_sort_helperINS1_20WarpSortHelperConfigILj32ELj4ELj256EEEblLi256ELb1EvE4sortIPKbPbPKlPlEEvT_T0_T1_T2_jjjjRNS5_12storage_typeE@rel32@hi+12
	s_mov_b32 s12, s6
	s_mov_b32 s13, s7
	s_swappc_b64 s[30:31], s[4:5]
.LBB1543_6:
	s_endpgm
	.section	.rodata,"a",@progbits
	.p2align	6, 0x0
	.amdhsa_kernel _ZN7rocprim17ROCPRIM_400000_NS6detail17trampoline_kernelINS0_14default_configENS1_36segmented_radix_sort_config_selectorIblEEZNS1_25segmented_radix_sort_implIS3_Lb1EPKbPbPKlPlN2at6native12_GLOBAL__N_18offset_tEEE10hipError_tPvRmT1_PNSt15iterator_traitsISK_E10value_typeET2_T3_PNSL_ISQ_E10value_typeET4_jRbjT5_SW_jjP12ihipStream_tbEUlT_E0_NS1_11comp_targetILNS1_3genE8ELNS1_11target_archE1030ELNS1_3gpuE2ELNS1_3repE0EEENS1_60segmented_radix_sort_warp_sort_medium_config_static_selectorELNS0_4arch9wavefront6targetE0EEEvSK_
		.amdhsa_group_segment_fixed_size 9216
		.amdhsa_private_segment_fixed_size 12
		.amdhsa_kernarg_size 344
		.amdhsa_user_sgpr_count 6
		.amdhsa_user_sgpr_private_segment_buffer 1
		.amdhsa_user_sgpr_dispatch_ptr 0
		.amdhsa_user_sgpr_queue_ptr 0
		.amdhsa_user_sgpr_kernarg_segment_ptr 1
		.amdhsa_user_sgpr_dispatch_id 0
		.amdhsa_user_sgpr_flat_scratch_init 0
		.amdhsa_user_sgpr_private_segment_size 0
		.amdhsa_wavefront_size32 1
		.amdhsa_uses_dynamic_stack 0
		.amdhsa_system_sgpr_private_segment_wavefront_offset 1
		.amdhsa_system_sgpr_workgroup_id_x 1
		.amdhsa_system_sgpr_workgroup_id_y 1
		.amdhsa_system_sgpr_workgroup_id_z 0
		.amdhsa_system_sgpr_workgroup_info 0
		.amdhsa_system_vgpr_workitem_id 2
		.amdhsa_next_free_vgpr 53
		.amdhsa_next_free_sgpr 40
		.amdhsa_reserve_vcc 1
		.amdhsa_reserve_flat_scratch 0
		.amdhsa_float_round_mode_32 0
		.amdhsa_float_round_mode_16_64 0
		.amdhsa_float_denorm_mode_32 3
		.amdhsa_float_denorm_mode_16_64 3
		.amdhsa_dx10_clamp 1
		.amdhsa_ieee_mode 1
		.amdhsa_fp16_overflow 0
		.amdhsa_workgroup_processor_mode 1
		.amdhsa_memory_ordered 1
		.amdhsa_forward_progress 1
		.amdhsa_shared_vgpr_count 0
		.amdhsa_exception_fp_ieee_invalid_op 0
		.amdhsa_exception_fp_denorm_src 0
		.amdhsa_exception_fp_ieee_div_zero 0
		.amdhsa_exception_fp_ieee_overflow 0
		.amdhsa_exception_fp_ieee_underflow 0
		.amdhsa_exception_fp_ieee_inexact 0
		.amdhsa_exception_int_div_zero 0
	.end_amdhsa_kernel
	.section	.text._ZN7rocprim17ROCPRIM_400000_NS6detail17trampoline_kernelINS0_14default_configENS1_36segmented_radix_sort_config_selectorIblEEZNS1_25segmented_radix_sort_implIS3_Lb1EPKbPbPKlPlN2at6native12_GLOBAL__N_18offset_tEEE10hipError_tPvRmT1_PNSt15iterator_traitsISK_E10value_typeET2_T3_PNSL_ISQ_E10value_typeET4_jRbjT5_SW_jjP12ihipStream_tbEUlT_E0_NS1_11comp_targetILNS1_3genE8ELNS1_11target_archE1030ELNS1_3gpuE2ELNS1_3repE0EEENS1_60segmented_radix_sort_warp_sort_medium_config_static_selectorELNS0_4arch9wavefront6targetE0EEEvSK_,"axG",@progbits,_ZN7rocprim17ROCPRIM_400000_NS6detail17trampoline_kernelINS0_14default_configENS1_36segmented_radix_sort_config_selectorIblEEZNS1_25segmented_radix_sort_implIS3_Lb1EPKbPbPKlPlN2at6native12_GLOBAL__N_18offset_tEEE10hipError_tPvRmT1_PNSt15iterator_traitsISK_E10value_typeET2_T3_PNSL_ISQ_E10value_typeET4_jRbjT5_SW_jjP12ihipStream_tbEUlT_E0_NS1_11comp_targetILNS1_3genE8ELNS1_11target_archE1030ELNS1_3gpuE2ELNS1_3repE0EEENS1_60segmented_radix_sort_warp_sort_medium_config_static_selectorELNS0_4arch9wavefront6targetE0EEEvSK_,comdat
.Lfunc_end1543:
	.size	_ZN7rocprim17ROCPRIM_400000_NS6detail17trampoline_kernelINS0_14default_configENS1_36segmented_radix_sort_config_selectorIblEEZNS1_25segmented_radix_sort_implIS3_Lb1EPKbPbPKlPlN2at6native12_GLOBAL__N_18offset_tEEE10hipError_tPvRmT1_PNSt15iterator_traitsISK_E10value_typeET2_T3_PNSL_ISQ_E10value_typeET4_jRbjT5_SW_jjP12ihipStream_tbEUlT_E0_NS1_11comp_targetILNS1_3genE8ELNS1_11target_archE1030ELNS1_3gpuE2ELNS1_3repE0EEENS1_60segmented_radix_sort_warp_sort_medium_config_static_selectorELNS0_4arch9wavefront6targetE0EEEvSK_, .Lfunc_end1543-_ZN7rocprim17ROCPRIM_400000_NS6detail17trampoline_kernelINS0_14default_configENS1_36segmented_radix_sort_config_selectorIblEEZNS1_25segmented_radix_sort_implIS3_Lb1EPKbPbPKlPlN2at6native12_GLOBAL__N_18offset_tEEE10hipError_tPvRmT1_PNSt15iterator_traitsISK_E10value_typeET2_T3_PNSL_ISQ_E10value_typeET4_jRbjT5_SW_jjP12ihipStream_tbEUlT_E0_NS1_11comp_targetILNS1_3genE8ELNS1_11target_archE1030ELNS1_3gpuE2ELNS1_3repE0EEENS1_60segmented_radix_sort_warp_sort_medium_config_static_selectorELNS0_4arch9wavefront6targetE0EEEvSK_
                                        ; -- End function
	.set _ZN7rocprim17ROCPRIM_400000_NS6detail17trampoline_kernelINS0_14default_configENS1_36segmented_radix_sort_config_selectorIblEEZNS1_25segmented_radix_sort_implIS3_Lb1EPKbPbPKlPlN2at6native12_GLOBAL__N_18offset_tEEE10hipError_tPvRmT1_PNSt15iterator_traitsISK_E10value_typeET2_T3_PNSL_ISQ_E10value_typeET4_jRbjT5_SW_jjP12ihipStream_tbEUlT_E0_NS1_11comp_targetILNS1_3genE8ELNS1_11target_archE1030ELNS1_3gpuE2ELNS1_3repE0EEENS1_60segmented_radix_sort_warp_sort_medium_config_static_selectorELNS0_4arch9wavefront6targetE0EEEvSK_.num_vgpr, max(44, .L_ZN7rocprim17ROCPRIM_400000_NS6detail26segmented_warp_sort_helperINS1_20WarpSortHelperConfigILj32ELj4ELj256EEEblLi256ELb1EvE4sortIPKbPbPKlPlEEvT_T0_T1_T2_jjjjRNS5_12storage_typeE.num_vgpr)
	.set _ZN7rocprim17ROCPRIM_400000_NS6detail17trampoline_kernelINS0_14default_configENS1_36segmented_radix_sort_config_selectorIblEEZNS1_25segmented_radix_sort_implIS3_Lb1EPKbPbPKlPlN2at6native12_GLOBAL__N_18offset_tEEE10hipError_tPvRmT1_PNSt15iterator_traitsISK_E10value_typeET2_T3_PNSL_ISQ_E10value_typeET4_jRbjT5_SW_jjP12ihipStream_tbEUlT_E0_NS1_11comp_targetILNS1_3genE8ELNS1_11target_archE1030ELNS1_3gpuE2ELNS1_3repE0EEENS1_60segmented_radix_sort_warp_sort_medium_config_static_selectorELNS0_4arch9wavefront6targetE0EEEvSK_.num_agpr, max(0, .L_ZN7rocprim17ROCPRIM_400000_NS6detail26segmented_warp_sort_helperINS1_20WarpSortHelperConfigILj32ELj4ELj256EEEblLi256ELb1EvE4sortIPKbPbPKlPlEEvT_T0_T1_T2_jjjjRNS5_12storage_typeE.num_agpr)
	.set _ZN7rocprim17ROCPRIM_400000_NS6detail17trampoline_kernelINS0_14default_configENS1_36segmented_radix_sort_config_selectorIblEEZNS1_25segmented_radix_sort_implIS3_Lb1EPKbPbPKlPlN2at6native12_GLOBAL__N_18offset_tEEE10hipError_tPvRmT1_PNSt15iterator_traitsISK_E10value_typeET2_T3_PNSL_ISQ_E10value_typeET4_jRbjT5_SW_jjP12ihipStream_tbEUlT_E0_NS1_11comp_targetILNS1_3genE8ELNS1_11target_archE1030ELNS1_3gpuE2ELNS1_3repE0EEENS1_60segmented_radix_sort_warp_sort_medium_config_static_selectorELNS0_4arch9wavefront6targetE0EEEvSK_.numbered_sgpr, max(40, .L_ZN7rocprim17ROCPRIM_400000_NS6detail26segmented_warp_sort_helperINS1_20WarpSortHelperConfigILj32ELj4ELj256EEEblLi256ELb1EvE4sortIPKbPbPKlPlEEvT_T0_T1_T2_jjjjRNS5_12storage_typeE.numbered_sgpr)
	.set _ZN7rocprim17ROCPRIM_400000_NS6detail17trampoline_kernelINS0_14default_configENS1_36segmented_radix_sort_config_selectorIblEEZNS1_25segmented_radix_sort_implIS3_Lb1EPKbPbPKlPlN2at6native12_GLOBAL__N_18offset_tEEE10hipError_tPvRmT1_PNSt15iterator_traitsISK_E10value_typeET2_T3_PNSL_ISQ_E10value_typeET4_jRbjT5_SW_jjP12ihipStream_tbEUlT_E0_NS1_11comp_targetILNS1_3genE8ELNS1_11target_archE1030ELNS1_3gpuE2ELNS1_3repE0EEENS1_60segmented_radix_sort_warp_sort_medium_config_static_selectorELNS0_4arch9wavefront6targetE0EEEvSK_.num_named_barrier, max(0, .L_ZN7rocprim17ROCPRIM_400000_NS6detail26segmented_warp_sort_helperINS1_20WarpSortHelperConfigILj32ELj4ELj256EEEblLi256ELb1EvE4sortIPKbPbPKlPlEEvT_T0_T1_T2_jjjjRNS5_12storage_typeE.num_named_barrier)
	.set _ZN7rocprim17ROCPRIM_400000_NS6detail17trampoline_kernelINS0_14default_configENS1_36segmented_radix_sort_config_selectorIblEEZNS1_25segmented_radix_sort_implIS3_Lb1EPKbPbPKlPlN2at6native12_GLOBAL__N_18offset_tEEE10hipError_tPvRmT1_PNSt15iterator_traitsISK_E10value_typeET2_T3_PNSL_ISQ_E10value_typeET4_jRbjT5_SW_jjP12ihipStream_tbEUlT_E0_NS1_11comp_targetILNS1_3genE8ELNS1_11target_archE1030ELNS1_3gpuE2ELNS1_3repE0EEENS1_60segmented_radix_sort_warp_sort_medium_config_static_selectorELNS0_4arch9wavefront6targetE0EEEvSK_.private_seg_size, 0+max(.L_ZN7rocprim17ROCPRIM_400000_NS6detail26segmented_warp_sort_helperINS1_20WarpSortHelperConfigILj32ELj4ELj256EEEblLi256ELb1EvE4sortIPKbPbPKlPlEEvT_T0_T1_T2_jjjjRNS5_12storage_typeE.private_seg_size)
	.set _ZN7rocprim17ROCPRIM_400000_NS6detail17trampoline_kernelINS0_14default_configENS1_36segmented_radix_sort_config_selectorIblEEZNS1_25segmented_radix_sort_implIS3_Lb1EPKbPbPKlPlN2at6native12_GLOBAL__N_18offset_tEEE10hipError_tPvRmT1_PNSt15iterator_traitsISK_E10value_typeET2_T3_PNSL_ISQ_E10value_typeET4_jRbjT5_SW_jjP12ihipStream_tbEUlT_E0_NS1_11comp_targetILNS1_3genE8ELNS1_11target_archE1030ELNS1_3gpuE2ELNS1_3repE0EEENS1_60segmented_radix_sort_warp_sort_medium_config_static_selectorELNS0_4arch9wavefront6targetE0EEEvSK_.uses_vcc, or(1, .L_ZN7rocprim17ROCPRIM_400000_NS6detail26segmented_warp_sort_helperINS1_20WarpSortHelperConfigILj32ELj4ELj256EEEblLi256ELb1EvE4sortIPKbPbPKlPlEEvT_T0_T1_T2_jjjjRNS5_12storage_typeE.uses_vcc)
	.set _ZN7rocprim17ROCPRIM_400000_NS6detail17trampoline_kernelINS0_14default_configENS1_36segmented_radix_sort_config_selectorIblEEZNS1_25segmented_radix_sort_implIS3_Lb1EPKbPbPKlPlN2at6native12_GLOBAL__N_18offset_tEEE10hipError_tPvRmT1_PNSt15iterator_traitsISK_E10value_typeET2_T3_PNSL_ISQ_E10value_typeET4_jRbjT5_SW_jjP12ihipStream_tbEUlT_E0_NS1_11comp_targetILNS1_3genE8ELNS1_11target_archE1030ELNS1_3gpuE2ELNS1_3repE0EEENS1_60segmented_radix_sort_warp_sort_medium_config_static_selectorELNS0_4arch9wavefront6targetE0EEEvSK_.uses_flat_scratch, or(0, .L_ZN7rocprim17ROCPRIM_400000_NS6detail26segmented_warp_sort_helperINS1_20WarpSortHelperConfigILj32ELj4ELj256EEEblLi256ELb1EvE4sortIPKbPbPKlPlEEvT_T0_T1_T2_jjjjRNS5_12storage_typeE.uses_flat_scratch)
	.set _ZN7rocprim17ROCPRIM_400000_NS6detail17trampoline_kernelINS0_14default_configENS1_36segmented_radix_sort_config_selectorIblEEZNS1_25segmented_radix_sort_implIS3_Lb1EPKbPbPKlPlN2at6native12_GLOBAL__N_18offset_tEEE10hipError_tPvRmT1_PNSt15iterator_traitsISK_E10value_typeET2_T3_PNSL_ISQ_E10value_typeET4_jRbjT5_SW_jjP12ihipStream_tbEUlT_E0_NS1_11comp_targetILNS1_3genE8ELNS1_11target_archE1030ELNS1_3gpuE2ELNS1_3repE0EEENS1_60segmented_radix_sort_warp_sort_medium_config_static_selectorELNS0_4arch9wavefront6targetE0EEEvSK_.has_dyn_sized_stack, or(0, .L_ZN7rocprim17ROCPRIM_400000_NS6detail26segmented_warp_sort_helperINS1_20WarpSortHelperConfigILj32ELj4ELj256EEEblLi256ELb1EvE4sortIPKbPbPKlPlEEvT_T0_T1_T2_jjjjRNS5_12storage_typeE.has_dyn_sized_stack)
	.set _ZN7rocprim17ROCPRIM_400000_NS6detail17trampoline_kernelINS0_14default_configENS1_36segmented_radix_sort_config_selectorIblEEZNS1_25segmented_radix_sort_implIS3_Lb1EPKbPbPKlPlN2at6native12_GLOBAL__N_18offset_tEEE10hipError_tPvRmT1_PNSt15iterator_traitsISK_E10value_typeET2_T3_PNSL_ISQ_E10value_typeET4_jRbjT5_SW_jjP12ihipStream_tbEUlT_E0_NS1_11comp_targetILNS1_3genE8ELNS1_11target_archE1030ELNS1_3gpuE2ELNS1_3repE0EEENS1_60segmented_radix_sort_warp_sort_medium_config_static_selectorELNS0_4arch9wavefront6targetE0EEEvSK_.has_recursion, or(0, .L_ZN7rocprim17ROCPRIM_400000_NS6detail26segmented_warp_sort_helperINS1_20WarpSortHelperConfigILj32ELj4ELj256EEEblLi256ELb1EvE4sortIPKbPbPKlPlEEvT_T0_T1_T2_jjjjRNS5_12storage_typeE.has_recursion)
	.set _ZN7rocprim17ROCPRIM_400000_NS6detail17trampoline_kernelINS0_14default_configENS1_36segmented_radix_sort_config_selectorIblEEZNS1_25segmented_radix_sort_implIS3_Lb1EPKbPbPKlPlN2at6native12_GLOBAL__N_18offset_tEEE10hipError_tPvRmT1_PNSt15iterator_traitsISK_E10value_typeET2_T3_PNSL_ISQ_E10value_typeET4_jRbjT5_SW_jjP12ihipStream_tbEUlT_E0_NS1_11comp_targetILNS1_3genE8ELNS1_11target_archE1030ELNS1_3gpuE2ELNS1_3repE0EEENS1_60segmented_radix_sort_warp_sort_medium_config_static_selectorELNS0_4arch9wavefront6targetE0EEEvSK_.has_indirect_call, or(0, .L_ZN7rocprim17ROCPRIM_400000_NS6detail26segmented_warp_sort_helperINS1_20WarpSortHelperConfigILj32ELj4ELj256EEEblLi256ELb1EvE4sortIPKbPbPKlPlEEvT_T0_T1_T2_jjjjRNS5_12storage_typeE.has_indirect_call)
	.section	.AMDGPU.csdata,"",@progbits
; Kernel info:
; codeLenInByte = 516
; TotalNumSgprs: 42
; NumVgprs: 53
; ScratchSize: 12
; MemoryBound: 0
; FloatMode: 240
; IeeeMode: 1
; LDSByteSize: 9216 bytes/workgroup (compile time only)
; SGPRBlocks: 0
; VGPRBlocks: 6
; NumSGPRsForWavesPerEU: 42
; NumVGPRsForWavesPerEU: 53
; Occupancy: 16
; WaveLimiterHint : 0
; COMPUTE_PGM_RSRC2:SCRATCH_EN: 1
; COMPUTE_PGM_RSRC2:USER_SGPR: 6
; COMPUTE_PGM_RSRC2:TRAP_HANDLER: 0
; COMPUTE_PGM_RSRC2:TGID_X_EN: 1
; COMPUTE_PGM_RSRC2:TGID_Y_EN: 1
; COMPUTE_PGM_RSRC2:TGID_Z_EN: 0
; COMPUTE_PGM_RSRC2:TIDIG_COMP_CNT: 2
	.section	.text._ZN7rocprim17ROCPRIM_400000_NS6detail17trampoline_kernelINS0_14default_configENS1_36segmented_radix_sort_config_selectorIblEEZNS1_25segmented_radix_sort_implIS3_Lb1EPKbPbPKlPlN2at6native12_GLOBAL__N_18offset_tEEE10hipError_tPvRmT1_PNSt15iterator_traitsISK_E10value_typeET2_T3_PNSL_ISQ_E10value_typeET4_jRbjT5_SW_jjP12ihipStream_tbEUlT_E1_NS1_11comp_targetILNS1_3genE0ELNS1_11target_archE4294967295ELNS1_3gpuE0ELNS1_3repE0EEENS1_59segmented_radix_sort_warp_sort_small_config_static_selectorELNS0_4arch9wavefront6targetE0EEEvSK_,"axG",@progbits,_ZN7rocprim17ROCPRIM_400000_NS6detail17trampoline_kernelINS0_14default_configENS1_36segmented_radix_sort_config_selectorIblEEZNS1_25segmented_radix_sort_implIS3_Lb1EPKbPbPKlPlN2at6native12_GLOBAL__N_18offset_tEEE10hipError_tPvRmT1_PNSt15iterator_traitsISK_E10value_typeET2_T3_PNSL_ISQ_E10value_typeET4_jRbjT5_SW_jjP12ihipStream_tbEUlT_E1_NS1_11comp_targetILNS1_3genE0ELNS1_11target_archE4294967295ELNS1_3gpuE0ELNS1_3repE0EEENS1_59segmented_radix_sort_warp_sort_small_config_static_selectorELNS0_4arch9wavefront6targetE0EEEvSK_,comdat
	.globl	_ZN7rocprim17ROCPRIM_400000_NS6detail17trampoline_kernelINS0_14default_configENS1_36segmented_radix_sort_config_selectorIblEEZNS1_25segmented_radix_sort_implIS3_Lb1EPKbPbPKlPlN2at6native12_GLOBAL__N_18offset_tEEE10hipError_tPvRmT1_PNSt15iterator_traitsISK_E10value_typeET2_T3_PNSL_ISQ_E10value_typeET4_jRbjT5_SW_jjP12ihipStream_tbEUlT_E1_NS1_11comp_targetILNS1_3genE0ELNS1_11target_archE4294967295ELNS1_3gpuE0ELNS1_3repE0EEENS1_59segmented_radix_sort_warp_sort_small_config_static_selectorELNS0_4arch9wavefront6targetE0EEEvSK_ ; -- Begin function _ZN7rocprim17ROCPRIM_400000_NS6detail17trampoline_kernelINS0_14default_configENS1_36segmented_radix_sort_config_selectorIblEEZNS1_25segmented_radix_sort_implIS3_Lb1EPKbPbPKlPlN2at6native12_GLOBAL__N_18offset_tEEE10hipError_tPvRmT1_PNSt15iterator_traitsISK_E10value_typeET2_T3_PNSL_ISQ_E10value_typeET4_jRbjT5_SW_jjP12ihipStream_tbEUlT_E1_NS1_11comp_targetILNS1_3genE0ELNS1_11target_archE4294967295ELNS1_3gpuE0ELNS1_3repE0EEENS1_59segmented_radix_sort_warp_sort_small_config_static_selectorELNS0_4arch9wavefront6targetE0EEEvSK_
	.p2align	8
	.type	_ZN7rocprim17ROCPRIM_400000_NS6detail17trampoline_kernelINS0_14default_configENS1_36segmented_radix_sort_config_selectorIblEEZNS1_25segmented_radix_sort_implIS3_Lb1EPKbPbPKlPlN2at6native12_GLOBAL__N_18offset_tEEE10hipError_tPvRmT1_PNSt15iterator_traitsISK_E10value_typeET2_T3_PNSL_ISQ_E10value_typeET4_jRbjT5_SW_jjP12ihipStream_tbEUlT_E1_NS1_11comp_targetILNS1_3genE0ELNS1_11target_archE4294967295ELNS1_3gpuE0ELNS1_3repE0EEENS1_59segmented_radix_sort_warp_sort_small_config_static_selectorELNS0_4arch9wavefront6targetE0EEEvSK_,@function
_ZN7rocprim17ROCPRIM_400000_NS6detail17trampoline_kernelINS0_14default_configENS1_36segmented_radix_sort_config_selectorIblEEZNS1_25segmented_radix_sort_implIS3_Lb1EPKbPbPKlPlN2at6native12_GLOBAL__N_18offset_tEEE10hipError_tPvRmT1_PNSt15iterator_traitsISK_E10value_typeET2_T3_PNSL_ISQ_E10value_typeET4_jRbjT5_SW_jjP12ihipStream_tbEUlT_E1_NS1_11comp_targetILNS1_3genE0ELNS1_11target_archE4294967295ELNS1_3gpuE0ELNS1_3repE0EEENS1_59segmented_radix_sort_warp_sort_small_config_static_selectorELNS0_4arch9wavefront6targetE0EEEvSK_: ; @_ZN7rocprim17ROCPRIM_400000_NS6detail17trampoline_kernelINS0_14default_configENS1_36segmented_radix_sort_config_selectorIblEEZNS1_25segmented_radix_sort_implIS3_Lb1EPKbPbPKlPlN2at6native12_GLOBAL__N_18offset_tEEE10hipError_tPvRmT1_PNSt15iterator_traitsISK_E10value_typeET2_T3_PNSL_ISQ_E10value_typeET4_jRbjT5_SW_jjP12ihipStream_tbEUlT_E1_NS1_11comp_targetILNS1_3genE0ELNS1_11target_archE4294967295ELNS1_3gpuE0ELNS1_3repE0EEENS1_59segmented_radix_sort_warp_sort_small_config_static_selectorELNS0_4arch9wavefront6targetE0EEEvSK_
; %bb.0:
	.section	.rodata,"a",@progbits
	.p2align	6, 0x0
	.amdhsa_kernel _ZN7rocprim17ROCPRIM_400000_NS6detail17trampoline_kernelINS0_14default_configENS1_36segmented_radix_sort_config_selectorIblEEZNS1_25segmented_radix_sort_implIS3_Lb1EPKbPbPKlPlN2at6native12_GLOBAL__N_18offset_tEEE10hipError_tPvRmT1_PNSt15iterator_traitsISK_E10value_typeET2_T3_PNSL_ISQ_E10value_typeET4_jRbjT5_SW_jjP12ihipStream_tbEUlT_E1_NS1_11comp_targetILNS1_3genE0ELNS1_11target_archE4294967295ELNS1_3gpuE0ELNS1_3repE0EEENS1_59segmented_radix_sort_warp_sort_small_config_static_selectorELNS0_4arch9wavefront6targetE0EEEvSK_
		.amdhsa_group_segment_fixed_size 0
		.amdhsa_private_segment_fixed_size 0
		.amdhsa_kernarg_size 88
		.amdhsa_user_sgpr_count 6
		.amdhsa_user_sgpr_private_segment_buffer 1
		.amdhsa_user_sgpr_dispatch_ptr 0
		.amdhsa_user_sgpr_queue_ptr 0
		.amdhsa_user_sgpr_kernarg_segment_ptr 1
		.amdhsa_user_sgpr_dispatch_id 0
		.amdhsa_user_sgpr_flat_scratch_init 0
		.amdhsa_user_sgpr_private_segment_size 0
		.amdhsa_wavefront_size32 1
		.amdhsa_uses_dynamic_stack 0
		.amdhsa_system_sgpr_private_segment_wavefront_offset 0
		.amdhsa_system_sgpr_workgroup_id_x 1
		.amdhsa_system_sgpr_workgroup_id_y 0
		.amdhsa_system_sgpr_workgroup_id_z 0
		.amdhsa_system_sgpr_workgroup_info 0
		.amdhsa_system_vgpr_workitem_id 0
		.amdhsa_next_free_vgpr 1
		.amdhsa_next_free_sgpr 1
		.amdhsa_reserve_vcc 0
		.amdhsa_reserve_flat_scratch 0
		.amdhsa_float_round_mode_32 0
		.amdhsa_float_round_mode_16_64 0
		.amdhsa_float_denorm_mode_32 3
		.amdhsa_float_denorm_mode_16_64 3
		.amdhsa_dx10_clamp 1
		.amdhsa_ieee_mode 1
		.amdhsa_fp16_overflow 0
		.amdhsa_workgroup_processor_mode 1
		.amdhsa_memory_ordered 1
		.amdhsa_forward_progress 1
		.amdhsa_shared_vgpr_count 0
		.amdhsa_exception_fp_ieee_invalid_op 0
		.amdhsa_exception_fp_denorm_src 0
		.amdhsa_exception_fp_ieee_div_zero 0
		.amdhsa_exception_fp_ieee_overflow 0
		.amdhsa_exception_fp_ieee_underflow 0
		.amdhsa_exception_fp_ieee_inexact 0
		.amdhsa_exception_int_div_zero 0
	.end_amdhsa_kernel
	.section	.text._ZN7rocprim17ROCPRIM_400000_NS6detail17trampoline_kernelINS0_14default_configENS1_36segmented_radix_sort_config_selectorIblEEZNS1_25segmented_radix_sort_implIS3_Lb1EPKbPbPKlPlN2at6native12_GLOBAL__N_18offset_tEEE10hipError_tPvRmT1_PNSt15iterator_traitsISK_E10value_typeET2_T3_PNSL_ISQ_E10value_typeET4_jRbjT5_SW_jjP12ihipStream_tbEUlT_E1_NS1_11comp_targetILNS1_3genE0ELNS1_11target_archE4294967295ELNS1_3gpuE0ELNS1_3repE0EEENS1_59segmented_radix_sort_warp_sort_small_config_static_selectorELNS0_4arch9wavefront6targetE0EEEvSK_,"axG",@progbits,_ZN7rocprim17ROCPRIM_400000_NS6detail17trampoline_kernelINS0_14default_configENS1_36segmented_radix_sort_config_selectorIblEEZNS1_25segmented_radix_sort_implIS3_Lb1EPKbPbPKlPlN2at6native12_GLOBAL__N_18offset_tEEE10hipError_tPvRmT1_PNSt15iterator_traitsISK_E10value_typeET2_T3_PNSL_ISQ_E10value_typeET4_jRbjT5_SW_jjP12ihipStream_tbEUlT_E1_NS1_11comp_targetILNS1_3genE0ELNS1_11target_archE4294967295ELNS1_3gpuE0ELNS1_3repE0EEENS1_59segmented_radix_sort_warp_sort_small_config_static_selectorELNS0_4arch9wavefront6targetE0EEEvSK_,comdat
.Lfunc_end1544:
	.size	_ZN7rocprim17ROCPRIM_400000_NS6detail17trampoline_kernelINS0_14default_configENS1_36segmented_radix_sort_config_selectorIblEEZNS1_25segmented_radix_sort_implIS3_Lb1EPKbPbPKlPlN2at6native12_GLOBAL__N_18offset_tEEE10hipError_tPvRmT1_PNSt15iterator_traitsISK_E10value_typeET2_T3_PNSL_ISQ_E10value_typeET4_jRbjT5_SW_jjP12ihipStream_tbEUlT_E1_NS1_11comp_targetILNS1_3genE0ELNS1_11target_archE4294967295ELNS1_3gpuE0ELNS1_3repE0EEENS1_59segmented_radix_sort_warp_sort_small_config_static_selectorELNS0_4arch9wavefront6targetE0EEEvSK_, .Lfunc_end1544-_ZN7rocprim17ROCPRIM_400000_NS6detail17trampoline_kernelINS0_14default_configENS1_36segmented_radix_sort_config_selectorIblEEZNS1_25segmented_radix_sort_implIS3_Lb1EPKbPbPKlPlN2at6native12_GLOBAL__N_18offset_tEEE10hipError_tPvRmT1_PNSt15iterator_traitsISK_E10value_typeET2_T3_PNSL_ISQ_E10value_typeET4_jRbjT5_SW_jjP12ihipStream_tbEUlT_E1_NS1_11comp_targetILNS1_3genE0ELNS1_11target_archE4294967295ELNS1_3gpuE0ELNS1_3repE0EEENS1_59segmented_radix_sort_warp_sort_small_config_static_selectorELNS0_4arch9wavefront6targetE0EEEvSK_
                                        ; -- End function
	.set _ZN7rocprim17ROCPRIM_400000_NS6detail17trampoline_kernelINS0_14default_configENS1_36segmented_radix_sort_config_selectorIblEEZNS1_25segmented_radix_sort_implIS3_Lb1EPKbPbPKlPlN2at6native12_GLOBAL__N_18offset_tEEE10hipError_tPvRmT1_PNSt15iterator_traitsISK_E10value_typeET2_T3_PNSL_ISQ_E10value_typeET4_jRbjT5_SW_jjP12ihipStream_tbEUlT_E1_NS1_11comp_targetILNS1_3genE0ELNS1_11target_archE4294967295ELNS1_3gpuE0ELNS1_3repE0EEENS1_59segmented_radix_sort_warp_sort_small_config_static_selectorELNS0_4arch9wavefront6targetE0EEEvSK_.num_vgpr, 0
	.set _ZN7rocprim17ROCPRIM_400000_NS6detail17trampoline_kernelINS0_14default_configENS1_36segmented_radix_sort_config_selectorIblEEZNS1_25segmented_radix_sort_implIS3_Lb1EPKbPbPKlPlN2at6native12_GLOBAL__N_18offset_tEEE10hipError_tPvRmT1_PNSt15iterator_traitsISK_E10value_typeET2_T3_PNSL_ISQ_E10value_typeET4_jRbjT5_SW_jjP12ihipStream_tbEUlT_E1_NS1_11comp_targetILNS1_3genE0ELNS1_11target_archE4294967295ELNS1_3gpuE0ELNS1_3repE0EEENS1_59segmented_radix_sort_warp_sort_small_config_static_selectorELNS0_4arch9wavefront6targetE0EEEvSK_.num_agpr, 0
	.set _ZN7rocprim17ROCPRIM_400000_NS6detail17trampoline_kernelINS0_14default_configENS1_36segmented_radix_sort_config_selectorIblEEZNS1_25segmented_radix_sort_implIS3_Lb1EPKbPbPKlPlN2at6native12_GLOBAL__N_18offset_tEEE10hipError_tPvRmT1_PNSt15iterator_traitsISK_E10value_typeET2_T3_PNSL_ISQ_E10value_typeET4_jRbjT5_SW_jjP12ihipStream_tbEUlT_E1_NS1_11comp_targetILNS1_3genE0ELNS1_11target_archE4294967295ELNS1_3gpuE0ELNS1_3repE0EEENS1_59segmented_radix_sort_warp_sort_small_config_static_selectorELNS0_4arch9wavefront6targetE0EEEvSK_.numbered_sgpr, 0
	.set _ZN7rocprim17ROCPRIM_400000_NS6detail17trampoline_kernelINS0_14default_configENS1_36segmented_radix_sort_config_selectorIblEEZNS1_25segmented_radix_sort_implIS3_Lb1EPKbPbPKlPlN2at6native12_GLOBAL__N_18offset_tEEE10hipError_tPvRmT1_PNSt15iterator_traitsISK_E10value_typeET2_T3_PNSL_ISQ_E10value_typeET4_jRbjT5_SW_jjP12ihipStream_tbEUlT_E1_NS1_11comp_targetILNS1_3genE0ELNS1_11target_archE4294967295ELNS1_3gpuE0ELNS1_3repE0EEENS1_59segmented_radix_sort_warp_sort_small_config_static_selectorELNS0_4arch9wavefront6targetE0EEEvSK_.num_named_barrier, 0
	.set _ZN7rocprim17ROCPRIM_400000_NS6detail17trampoline_kernelINS0_14default_configENS1_36segmented_radix_sort_config_selectorIblEEZNS1_25segmented_radix_sort_implIS3_Lb1EPKbPbPKlPlN2at6native12_GLOBAL__N_18offset_tEEE10hipError_tPvRmT1_PNSt15iterator_traitsISK_E10value_typeET2_T3_PNSL_ISQ_E10value_typeET4_jRbjT5_SW_jjP12ihipStream_tbEUlT_E1_NS1_11comp_targetILNS1_3genE0ELNS1_11target_archE4294967295ELNS1_3gpuE0ELNS1_3repE0EEENS1_59segmented_radix_sort_warp_sort_small_config_static_selectorELNS0_4arch9wavefront6targetE0EEEvSK_.private_seg_size, 0
	.set _ZN7rocprim17ROCPRIM_400000_NS6detail17trampoline_kernelINS0_14default_configENS1_36segmented_radix_sort_config_selectorIblEEZNS1_25segmented_radix_sort_implIS3_Lb1EPKbPbPKlPlN2at6native12_GLOBAL__N_18offset_tEEE10hipError_tPvRmT1_PNSt15iterator_traitsISK_E10value_typeET2_T3_PNSL_ISQ_E10value_typeET4_jRbjT5_SW_jjP12ihipStream_tbEUlT_E1_NS1_11comp_targetILNS1_3genE0ELNS1_11target_archE4294967295ELNS1_3gpuE0ELNS1_3repE0EEENS1_59segmented_radix_sort_warp_sort_small_config_static_selectorELNS0_4arch9wavefront6targetE0EEEvSK_.uses_vcc, 0
	.set _ZN7rocprim17ROCPRIM_400000_NS6detail17trampoline_kernelINS0_14default_configENS1_36segmented_radix_sort_config_selectorIblEEZNS1_25segmented_radix_sort_implIS3_Lb1EPKbPbPKlPlN2at6native12_GLOBAL__N_18offset_tEEE10hipError_tPvRmT1_PNSt15iterator_traitsISK_E10value_typeET2_T3_PNSL_ISQ_E10value_typeET4_jRbjT5_SW_jjP12ihipStream_tbEUlT_E1_NS1_11comp_targetILNS1_3genE0ELNS1_11target_archE4294967295ELNS1_3gpuE0ELNS1_3repE0EEENS1_59segmented_radix_sort_warp_sort_small_config_static_selectorELNS0_4arch9wavefront6targetE0EEEvSK_.uses_flat_scratch, 0
	.set _ZN7rocprim17ROCPRIM_400000_NS6detail17trampoline_kernelINS0_14default_configENS1_36segmented_radix_sort_config_selectorIblEEZNS1_25segmented_radix_sort_implIS3_Lb1EPKbPbPKlPlN2at6native12_GLOBAL__N_18offset_tEEE10hipError_tPvRmT1_PNSt15iterator_traitsISK_E10value_typeET2_T3_PNSL_ISQ_E10value_typeET4_jRbjT5_SW_jjP12ihipStream_tbEUlT_E1_NS1_11comp_targetILNS1_3genE0ELNS1_11target_archE4294967295ELNS1_3gpuE0ELNS1_3repE0EEENS1_59segmented_radix_sort_warp_sort_small_config_static_selectorELNS0_4arch9wavefront6targetE0EEEvSK_.has_dyn_sized_stack, 0
	.set _ZN7rocprim17ROCPRIM_400000_NS6detail17trampoline_kernelINS0_14default_configENS1_36segmented_radix_sort_config_selectorIblEEZNS1_25segmented_radix_sort_implIS3_Lb1EPKbPbPKlPlN2at6native12_GLOBAL__N_18offset_tEEE10hipError_tPvRmT1_PNSt15iterator_traitsISK_E10value_typeET2_T3_PNSL_ISQ_E10value_typeET4_jRbjT5_SW_jjP12ihipStream_tbEUlT_E1_NS1_11comp_targetILNS1_3genE0ELNS1_11target_archE4294967295ELNS1_3gpuE0ELNS1_3repE0EEENS1_59segmented_radix_sort_warp_sort_small_config_static_selectorELNS0_4arch9wavefront6targetE0EEEvSK_.has_recursion, 0
	.set _ZN7rocprim17ROCPRIM_400000_NS6detail17trampoline_kernelINS0_14default_configENS1_36segmented_radix_sort_config_selectorIblEEZNS1_25segmented_radix_sort_implIS3_Lb1EPKbPbPKlPlN2at6native12_GLOBAL__N_18offset_tEEE10hipError_tPvRmT1_PNSt15iterator_traitsISK_E10value_typeET2_T3_PNSL_ISQ_E10value_typeET4_jRbjT5_SW_jjP12ihipStream_tbEUlT_E1_NS1_11comp_targetILNS1_3genE0ELNS1_11target_archE4294967295ELNS1_3gpuE0ELNS1_3repE0EEENS1_59segmented_radix_sort_warp_sort_small_config_static_selectorELNS0_4arch9wavefront6targetE0EEEvSK_.has_indirect_call, 0
	.section	.AMDGPU.csdata,"",@progbits
; Kernel info:
; codeLenInByte = 0
; TotalNumSgprs: 0
; NumVgprs: 0
; ScratchSize: 0
; MemoryBound: 0
; FloatMode: 240
; IeeeMode: 1
; LDSByteSize: 0 bytes/workgroup (compile time only)
; SGPRBlocks: 0
; VGPRBlocks: 0
; NumSGPRsForWavesPerEU: 1
; NumVGPRsForWavesPerEU: 1
; Occupancy: 16
; WaveLimiterHint : 0
; COMPUTE_PGM_RSRC2:SCRATCH_EN: 0
; COMPUTE_PGM_RSRC2:USER_SGPR: 6
; COMPUTE_PGM_RSRC2:TRAP_HANDLER: 0
; COMPUTE_PGM_RSRC2:TGID_X_EN: 1
; COMPUTE_PGM_RSRC2:TGID_Y_EN: 0
; COMPUTE_PGM_RSRC2:TGID_Z_EN: 0
; COMPUTE_PGM_RSRC2:TIDIG_COMP_CNT: 0
	.section	.text._ZN7rocprim17ROCPRIM_400000_NS6detail17trampoline_kernelINS0_14default_configENS1_36segmented_radix_sort_config_selectorIblEEZNS1_25segmented_radix_sort_implIS3_Lb1EPKbPbPKlPlN2at6native12_GLOBAL__N_18offset_tEEE10hipError_tPvRmT1_PNSt15iterator_traitsISK_E10value_typeET2_T3_PNSL_ISQ_E10value_typeET4_jRbjT5_SW_jjP12ihipStream_tbEUlT_E1_NS1_11comp_targetILNS1_3genE5ELNS1_11target_archE942ELNS1_3gpuE9ELNS1_3repE0EEENS1_59segmented_radix_sort_warp_sort_small_config_static_selectorELNS0_4arch9wavefront6targetE0EEEvSK_,"axG",@progbits,_ZN7rocprim17ROCPRIM_400000_NS6detail17trampoline_kernelINS0_14default_configENS1_36segmented_radix_sort_config_selectorIblEEZNS1_25segmented_radix_sort_implIS3_Lb1EPKbPbPKlPlN2at6native12_GLOBAL__N_18offset_tEEE10hipError_tPvRmT1_PNSt15iterator_traitsISK_E10value_typeET2_T3_PNSL_ISQ_E10value_typeET4_jRbjT5_SW_jjP12ihipStream_tbEUlT_E1_NS1_11comp_targetILNS1_3genE5ELNS1_11target_archE942ELNS1_3gpuE9ELNS1_3repE0EEENS1_59segmented_radix_sort_warp_sort_small_config_static_selectorELNS0_4arch9wavefront6targetE0EEEvSK_,comdat
	.globl	_ZN7rocprim17ROCPRIM_400000_NS6detail17trampoline_kernelINS0_14default_configENS1_36segmented_radix_sort_config_selectorIblEEZNS1_25segmented_radix_sort_implIS3_Lb1EPKbPbPKlPlN2at6native12_GLOBAL__N_18offset_tEEE10hipError_tPvRmT1_PNSt15iterator_traitsISK_E10value_typeET2_T3_PNSL_ISQ_E10value_typeET4_jRbjT5_SW_jjP12ihipStream_tbEUlT_E1_NS1_11comp_targetILNS1_3genE5ELNS1_11target_archE942ELNS1_3gpuE9ELNS1_3repE0EEENS1_59segmented_radix_sort_warp_sort_small_config_static_selectorELNS0_4arch9wavefront6targetE0EEEvSK_ ; -- Begin function _ZN7rocprim17ROCPRIM_400000_NS6detail17trampoline_kernelINS0_14default_configENS1_36segmented_radix_sort_config_selectorIblEEZNS1_25segmented_radix_sort_implIS3_Lb1EPKbPbPKlPlN2at6native12_GLOBAL__N_18offset_tEEE10hipError_tPvRmT1_PNSt15iterator_traitsISK_E10value_typeET2_T3_PNSL_ISQ_E10value_typeET4_jRbjT5_SW_jjP12ihipStream_tbEUlT_E1_NS1_11comp_targetILNS1_3genE5ELNS1_11target_archE942ELNS1_3gpuE9ELNS1_3repE0EEENS1_59segmented_radix_sort_warp_sort_small_config_static_selectorELNS0_4arch9wavefront6targetE0EEEvSK_
	.p2align	8
	.type	_ZN7rocprim17ROCPRIM_400000_NS6detail17trampoline_kernelINS0_14default_configENS1_36segmented_radix_sort_config_selectorIblEEZNS1_25segmented_radix_sort_implIS3_Lb1EPKbPbPKlPlN2at6native12_GLOBAL__N_18offset_tEEE10hipError_tPvRmT1_PNSt15iterator_traitsISK_E10value_typeET2_T3_PNSL_ISQ_E10value_typeET4_jRbjT5_SW_jjP12ihipStream_tbEUlT_E1_NS1_11comp_targetILNS1_3genE5ELNS1_11target_archE942ELNS1_3gpuE9ELNS1_3repE0EEENS1_59segmented_radix_sort_warp_sort_small_config_static_selectorELNS0_4arch9wavefront6targetE0EEEvSK_,@function
_ZN7rocprim17ROCPRIM_400000_NS6detail17trampoline_kernelINS0_14default_configENS1_36segmented_radix_sort_config_selectorIblEEZNS1_25segmented_radix_sort_implIS3_Lb1EPKbPbPKlPlN2at6native12_GLOBAL__N_18offset_tEEE10hipError_tPvRmT1_PNSt15iterator_traitsISK_E10value_typeET2_T3_PNSL_ISQ_E10value_typeET4_jRbjT5_SW_jjP12ihipStream_tbEUlT_E1_NS1_11comp_targetILNS1_3genE5ELNS1_11target_archE942ELNS1_3gpuE9ELNS1_3repE0EEENS1_59segmented_radix_sort_warp_sort_small_config_static_selectorELNS0_4arch9wavefront6targetE0EEEvSK_: ; @_ZN7rocprim17ROCPRIM_400000_NS6detail17trampoline_kernelINS0_14default_configENS1_36segmented_radix_sort_config_selectorIblEEZNS1_25segmented_radix_sort_implIS3_Lb1EPKbPbPKlPlN2at6native12_GLOBAL__N_18offset_tEEE10hipError_tPvRmT1_PNSt15iterator_traitsISK_E10value_typeET2_T3_PNSL_ISQ_E10value_typeET4_jRbjT5_SW_jjP12ihipStream_tbEUlT_E1_NS1_11comp_targetILNS1_3genE5ELNS1_11target_archE942ELNS1_3gpuE9ELNS1_3repE0EEENS1_59segmented_radix_sort_warp_sort_small_config_static_selectorELNS0_4arch9wavefront6targetE0EEEvSK_
; %bb.0:
	.section	.rodata,"a",@progbits
	.p2align	6, 0x0
	.amdhsa_kernel _ZN7rocprim17ROCPRIM_400000_NS6detail17trampoline_kernelINS0_14default_configENS1_36segmented_radix_sort_config_selectorIblEEZNS1_25segmented_radix_sort_implIS3_Lb1EPKbPbPKlPlN2at6native12_GLOBAL__N_18offset_tEEE10hipError_tPvRmT1_PNSt15iterator_traitsISK_E10value_typeET2_T3_PNSL_ISQ_E10value_typeET4_jRbjT5_SW_jjP12ihipStream_tbEUlT_E1_NS1_11comp_targetILNS1_3genE5ELNS1_11target_archE942ELNS1_3gpuE9ELNS1_3repE0EEENS1_59segmented_radix_sort_warp_sort_small_config_static_selectorELNS0_4arch9wavefront6targetE0EEEvSK_
		.amdhsa_group_segment_fixed_size 0
		.amdhsa_private_segment_fixed_size 0
		.amdhsa_kernarg_size 88
		.amdhsa_user_sgpr_count 6
		.amdhsa_user_sgpr_private_segment_buffer 1
		.amdhsa_user_sgpr_dispatch_ptr 0
		.amdhsa_user_sgpr_queue_ptr 0
		.amdhsa_user_sgpr_kernarg_segment_ptr 1
		.amdhsa_user_sgpr_dispatch_id 0
		.amdhsa_user_sgpr_flat_scratch_init 0
		.amdhsa_user_sgpr_private_segment_size 0
		.amdhsa_wavefront_size32 1
		.amdhsa_uses_dynamic_stack 0
		.amdhsa_system_sgpr_private_segment_wavefront_offset 0
		.amdhsa_system_sgpr_workgroup_id_x 1
		.amdhsa_system_sgpr_workgroup_id_y 0
		.amdhsa_system_sgpr_workgroup_id_z 0
		.amdhsa_system_sgpr_workgroup_info 0
		.amdhsa_system_vgpr_workitem_id 0
		.amdhsa_next_free_vgpr 1
		.amdhsa_next_free_sgpr 1
		.amdhsa_reserve_vcc 0
		.amdhsa_reserve_flat_scratch 0
		.amdhsa_float_round_mode_32 0
		.amdhsa_float_round_mode_16_64 0
		.amdhsa_float_denorm_mode_32 3
		.amdhsa_float_denorm_mode_16_64 3
		.amdhsa_dx10_clamp 1
		.amdhsa_ieee_mode 1
		.amdhsa_fp16_overflow 0
		.amdhsa_workgroup_processor_mode 1
		.amdhsa_memory_ordered 1
		.amdhsa_forward_progress 1
		.amdhsa_shared_vgpr_count 0
		.amdhsa_exception_fp_ieee_invalid_op 0
		.amdhsa_exception_fp_denorm_src 0
		.amdhsa_exception_fp_ieee_div_zero 0
		.amdhsa_exception_fp_ieee_overflow 0
		.amdhsa_exception_fp_ieee_underflow 0
		.amdhsa_exception_fp_ieee_inexact 0
		.amdhsa_exception_int_div_zero 0
	.end_amdhsa_kernel
	.section	.text._ZN7rocprim17ROCPRIM_400000_NS6detail17trampoline_kernelINS0_14default_configENS1_36segmented_radix_sort_config_selectorIblEEZNS1_25segmented_radix_sort_implIS3_Lb1EPKbPbPKlPlN2at6native12_GLOBAL__N_18offset_tEEE10hipError_tPvRmT1_PNSt15iterator_traitsISK_E10value_typeET2_T3_PNSL_ISQ_E10value_typeET4_jRbjT5_SW_jjP12ihipStream_tbEUlT_E1_NS1_11comp_targetILNS1_3genE5ELNS1_11target_archE942ELNS1_3gpuE9ELNS1_3repE0EEENS1_59segmented_radix_sort_warp_sort_small_config_static_selectorELNS0_4arch9wavefront6targetE0EEEvSK_,"axG",@progbits,_ZN7rocprim17ROCPRIM_400000_NS6detail17trampoline_kernelINS0_14default_configENS1_36segmented_radix_sort_config_selectorIblEEZNS1_25segmented_radix_sort_implIS3_Lb1EPKbPbPKlPlN2at6native12_GLOBAL__N_18offset_tEEE10hipError_tPvRmT1_PNSt15iterator_traitsISK_E10value_typeET2_T3_PNSL_ISQ_E10value_typeET4_jRbjT5_SW_jjP12ihipStream_tbEUlT_E1_NS1_11comp_targetILNS1_3genE5ELNS1_11target_archE942ELNS1_3gpuE9ELNS1_3repE0EEENS1_59segmented_radix_sort_warp_sort_small_config_static_selectorELNS0_4arch9wavefront6targetE0EEEvSK_,comdat
.Lfunc_end1545:
	.size	_ZN7rocprim17ROCPRIM_400000_NS6detail17trampoline_kernelINS0_14default_configENS1_36segmented_radix_sort_config_selectorIblEEZNS1_25segmented_radix_sort_implIS3_Lb1EPKbPbPKlPlN2at6native12_GLOBAL__N_18offset_tEEE10hipError_tPvRmT1_PNSt15iterator_traitsISK_E10value_typeET2_T3_PNSL_ISQ_E10value_typeET4_jRbjT5_SW_jjP12ihipStream_tbEUlT_E1_NS1_11comp_targetILNS1_3genE5ELNS1_11target_archE942ELNS1_3gpuE9ELNS1_3repE0EEENS1_59segmented_radix_sort_warp_sort_small_config_static_selectorELNS0_4arch9wavefront6targetE0EEEvSK_, .Lfunc_end1545-_ZN7rocprim17ROCPRIM_400000_NS6detail17trampoline_kernelINS0_14default_configENS1_36segmented_radix_sort_config_selectorIblEEZNS1_25segmented_radix_sort_implIS3_Lb1EPKbPbPKlPlN2at6native12_GLOBAL__N_18offset_tEEE10hipError_tPvRmT1_PNSt15iterator_traitsISK_E10value_typeET2_T3_PNSL_ISQ_E10value_typeET4_jRbjT5_SW_jjP12ihipStream_tbEUlT_E1_NS1_11comp_targetILNS1_3genE5ELNS1_11target_archE942ELNS1_3gpuE9ELNS1_3repE0EEENS1_59segmented_radix_sort_warp_sort_small_config_static_selectorELNS0_4arch9wavefront6targetE0EEEvSK_
                                        ; -- End function
	.set _ZN7rocprim17ROCPRIM_400000_NS6detail17trampoline_kernelINS0_14default_configENS1_36segmented_radix_sort_config_selectorIblEEZNS1_25segmented_radix_sort_implIS3_Lb1EPKbPbPKlPlN2at6native12_GLOBAL__N_18offset_tEEE10hipError_tPvRmT1_PNSt15iterator_traitsISK_E10value_typeET2_T3_PNSL_ISQ_E10value_typeET4_jRbjT5_SW_jjP12ihipStream_tbEUlT_E1_NS1_11comp_targetILNS1_3genE5ELNS1_11target_archE942ELNS1_3gpuE9ELNS1_3repE0EEENS1_59segmented_radix_sort_warp_sort_small_config_static_selectorELNS0_4arch9wavefront6targetE0EEEvSK_.num_vgpr, 0
	.set _ZN7rocprim17ROCPRIM_400000_NS6detail17trampoline_kernelINS0_14default_configENS1_36segmented_radix_sort_config_selectorIblEEZNS1_25segmented_radix_sort_implIS3_Lb1EPKbPbPKlPlN2at6native12_GLOBAL__N_18offset_tEEE10hipError_tPvRmT1_PNSt15iterator_traitsISK_E10value_typeET2_T3_PNSL_ISQ_E10value_typeET4_jRbjT5_SW_jjP12ihipStream_tbEUlT_E1_NS1_11comp_targetILNS1_3genE5ELNS1_11target_archE942ELNS1_3gpuE9ELNS1_3repE0EEENS1_59segmented_radix_sort_warp_sort_small_config_static_selectorELNS0_4arch9wavefront6targetE0EEEvSK_.num_agpr, 0
	.set _ZN7rocprim17ROCPRIM_400000_NS6detail17trampoline_kernelINS0_14default_configENS1_36segmented_radix_sort_config_selectorIblEEZNS1_25segmented_radix_sort_implIS3_Lb1EPKbPbPKlPlN2at6native12_GLOBAL__N_18offset_tEEE10hipError_tPvRmT1_PNSt15iterator_traitsISK_E10value_typeET2_T3_PNSL_ISQ_E10value_typeET4_jRbjT5_SW_jjP12ihipStream_tbEUlT_E1_NS1_11comp_targetILNS1_3genE5ELNS1_11target_archE942ELNS1_3gpuE9ELNS1_3repE0EEENS1_59segmented_radix_sort_warp_sort_small_config_static_selectorELNS0_4arch9wavefront6targetE0EEEvSK_.numbered_sgpr, 0
	.set _ZN7rocprim17ROCPRIM_400000_NS6detail17trampoline_kernelINS0_14default_configENS1_36segmented_radix_sort_config_selectorIblEEZNS1_25segmented_radix_sort_implIS3_Lb1EPKbPbPKlPlN2at6native12_GLOBAL__N_18offset_tEEE10hipError_tPvRmT1_PNSt15iterator_traitsISK_E10value_typeET2_T3_PNSL_ISQ_E10value_typeET4_jRbjT5_SW_jjP12ihipStream_tbEUlT_E1_NS1_11comp_targetILNS1_3genE5ELNS1_11target_archE942ELNS1_3gpuE9ELNS1_3repE0EEENS1_59segmented_radix_sort_warp_sort_small_config_static_selectorELNS0_4arch9wavefront6targetE0EEEvSK_.num_named_barrier, 0
	.set _ZN7rocprim17ROCPRIM_400000_NS6detail17trampoline_kernelINS0_14default_configENS1_36segmented_radix_sort_config_selectorIblEEZNS1_25segmented_radix_sort_implIS3_Lb1EPKbPbPKlPlN2at6native12_GLOBAL__N_18offset_tEEE10hipError_tPvRmT1_PNSt15iterator_traitsISK_E10value_typeET2_T3_PNSL_ISQ_E10value_typeET4_jRbjT5_SW_jjP12ihipStream_tbEUlT_E1_NS1_11comp_targetILNS1_3genE5ELNS1_11target_archE942ELNS1_3gpuE9ELNS1_3repE0EEENS1_59segmented_radix_sort_warp_sort_small_config_static_selectorELNS0_4arch9wavefront6targetE0EEEvSK_.private_seg_size, 0
	.set _ZN7rocprim17ROCPRIM_400000_NS6detail17trampoline_kernelINS0_14default_configENS1_36segmented_radix_sort_config_selectorIblEEZNS1_25segmented_radix_sort_implIS3_Lb1EPKbPbPKlPlN2at6native12_GLOBAL__N_18offset_tEEE10hipError_tPvRmT1_PNSt15iterator_traitsISK_E10value_typeET2_T3_PNSL_ISQ_E10value_typeET4_jRbjT5_SW_jjP12ihipStream_tbEUlT_E1_NS1_11comp_targetILNS1_3genE5ELNS1_11target_archE942ELNS1_3gpuE9ELNS1_3repE0EEENS1_59segmented_radix_sort_warp_sort_small_config_static_selectorELNS0_4arch9wavefront6targetE0EEEvSK_.uses_vcc, 0
	.set _ZN7rocprim17ROCPRIM_400000_NS6detail17trampoline_kernelINS0_14default_configENS1_36segmented_radix_sort_config_selectorIblEEZNS1_25segmented_radix_sort_implIS3_Lb1EPKbPbPKlPlN2at6native12_GLOBAL__N_18offset_tEEE10hipError_tPvRmT1_PNSt15iterator_traitsISK_E10value_typeET2_T3_PNSL_ISQ_E10value_typeET4_jRbjT5_SW_jjP12ihipStream_tbEUlT_E1_NS1_11comp_targetILNS1_3genE5ELNS1_11target_archE942ELNS1_3gpuE9ELNS1_3repE0EEENS1_59segmented_radix_sort_warp_sort_small_config_static_selectorELNS0_4arch9wavefront6targetE0EEEvSK_.uses_flat_scratch, 0
	.set _ZN7rocprim17ROCPRIM_400000_NS6detail17trampoline_kernelINS0_14default_configENS1_36segmented_radix_sort_config_selectorIblEEZNS1_25segmented_radix_sort_implIS3_Lb1EPKbPbPKlPlN2at6native12_GLOBAL__N_18offset_tEEE10hipError_tPvRmT1_PNSt15iterator_traitsISK_E10value_typeET2_T3_PNSL_ISQ_E10value_typeET4_jRbjT5_SW_jjP12ihipStream_tbEUlT_E1_NS1_11comp_targetILNS1_3genE5ELNS1_11target_archE942ELNS1_3gpuE9ELNS1_3repE0EEENS1_59segmented_radix_sort_warp_sort_small_config_static_selectorELNS0_4arch9wavefront6targetE0EEEvSK_.has_dyn_sized_stack, 0
	.set _ZN7rocprim17ROCPRIM_400000_NS6detail17trampoline_kernelINS0_14default_configENS1_36segmented_radix_sort_config_selectorIblEEZNS1_25segmented_radix_sort_implIS3_Lb1EPKbPbPKlPlN2at6native12_GLOBAL__N_18offset_tEEE10hipError_tPvRmT1_PNSt15iterator_traitsISK_E10value_typeET2_T3_PNSL_ISQ_E10value_typeET4_jRbjT5_SW_jjP12ihipStream_tbEUlT_E1_NS1_11comp_targetILNS1_3genE5ELNS1_11target_archE942ELNS1_3gpuE9ELNS1_3repE0EEENS1_59segmented_radix_sort_warp_sort_small_config_static_selectorELNS0_4arch9wavefront6targetE0EEEvSK_.has_recursion, 0
	.set _ZN7rocprim17ROCPRIM_400000_NS6detail17trampoline_kernelINS0_14default_configENS1_36segmented_radix_sort_config_selectorIblEEZNS1_25segmented_radix_sort_implIS3_Lb1EPKbPbPKlPlN2at6native12_GLOBAL__N_18offset_tEEE10hipError_tPvRmT1_PNSt15iterator_traitsISK_E10value_typeET2_T3_PNSL_ISQ_E10value_typeET4_jRbjT5_SW_jjP12ihipStream_tbEUlT_E1_NS1_11comp_targetILNS1_3genE5ELNS1_11target_archE942ELNS1_3gpuE9ELNS1_3repE0EEENS1_59segmented_radix_sort_warp_sort_small_config_static_selectorELNS0_4arch9wavefront6targetE0EEEvSK_.has_indirect_call, 0
	.section	.AMDGPU.csdata,"",@progbits
; Kernel info:
; codeLenInByte = 0
; TotalNumSgprs: 0
; NumVgprs: 0
; ScratchSize: 0
; MemoryBound: 0
; FloatMode: 240
; IeeeMode: 1
; LDSByteSize: 0 bytes/workgroup (compile time only)
; SGPRBlocks: 0
; VGPRBlocks: 0
; NumSGPRsForWavesPerEU: 1
; NumVGPRsForWavesPerEU: 1
; Occupancy: 16
; WaveLimiterHint : 0
; COMPUTE_PGM_RSRC2:SCRATCH_EN: 0
; COMPUTE_PGM_RSRC2:USER_SGPR: 6
; COMPUTE_PGM_RSRC2:TRAP_HANDLER: 0
; COMPUTE_PGM_RSRC2:TGID_X_EN: 1
; COMPUTE_PGM_RSRC2:TGID_Y_EN: 0
; COMPUTE_PGM_RSRC2:TGID_Z_EN: 0
; COMPUTE_PGM_RSRC2:TIDIG_COMP_CNT: 0
	.section	.text._ZN7rocprim17ROCPRIM_400000_NS6detail17trampoline_kernelINS0_14default_configENS1_36segmented_radix_sort_config_selectorIblEEZNS1_25segmented_radix_sort_implIS3_Lb1EPKbPbPKlPlN2at6native12_GLOBAL__N_18offset_tEEE10hipError_tPvRmT1_PNSt15iterator_traitsISK_E10value_typeET2_T3_PNSL_ISQ_E10value_typeET4_jRbjT5_SW_jjP12ihipStream_tbEUlT_E1_NS1_11comp_targetILNS1_3genE4ELNS1_11target_archE910ELNS1_3gpuE8ELNS1_3repE0EEENS1_59segmented_radix_sort_warp_sort_small_config_static_selectorELNS0_4arch9wavefront6targetE0EEEvSK_,"axG",@progbits,_ZN7rocprim17ROCPRIM_400000_NS6detail17trampoline_kernelINS0_14default_configENS1_36segmented_radix_sort_config_selectorIblEEZNS1_25segmented_radix_sort_implIS3_Lb1EPKbPbPKlPlN2at6native12_GLOBAL__N_18offset_tEEE10hipError_tPvRmT1_PNSt15iterator_traitsISK_E10value_typeET2_T3_PNSL_ISQ_E10value_typeET4_jRbjT5_SW_jjP12ihipStream_tbEUlT_E1_NS1_11comp_targetILNS1_3genE4ELNS1_11target_archE910ELNS1_3gpuE8ELNS1_3repE0EEENS1_59segmented_radix_sort_warp_sort_small_config_static_selectorELNS0_4arch9wavefront6targetE0EEEvSK_,comdat
	.globl	_ZN7rocprim17ROCPRIM_400000_NS6detail17trampoline_kernelINS0_14default_configENS1_36segmented_radix_sort_config_selectorIblEEZNS1_25segmented_radix_sort_implIS3_Lb1EPKbPbPKlPlN2at6native12_GLOBAL__N_18offset_tEEE10hipError_tPvRmT1_PNSt15iterator_traitsISK_E10value_typeET2_T3_PNSL_ISQ_E10value_typeET4_jRbjT5_SW_jjP12ihipStream_tbEUlT_E1_NS1_11comp_targetILNS1_3genE4ELNS1_11target_archE910ELNS1_3gpuE8ELNS1_3repE0EEENS1_59segmented_radix_sort_warp_sort_small_config_static_selectorELNS0_4arch9wavefront6targetE0EEEvSK_ ; -- Begin function _ZN7rocprim17ROCPRIM_400000_NS6detail17trampoline_kernelINS0_14default_configENS1_36segmented_radix_sort_config_selectorIblEEZNS1_25segmented_radix_sort_implIS3_Lb1EPKbPbPKlPlN2at6native12_GLOBAL__N_18offset_tEEE10hipError_tPvRmT1_PNSt15iterator_traitsISK_E10value_typeET2_T3_PNSL_ISQ_E10value_typeET4_jRbjT5_SW_jjP12ihipStream_tbEUlT_E1_NS1_11comp_targetILNS1_3genE4ELNS1_11target_archE910ELNS1_3gpuE8ELNS1_3repE0EEENS1_59segmented_radix_sort_warp_sort_small_config_static_selectorELNS0_4arch9wavefront6targetE0EEEvSK_
	.p2align	8
	.type	_ZN7rocprim17ROCPRIM_400000_NS6detail17trampoline_kernelINS0_14default_configENS1_36segmented_radix_sort_config_selectorIblEEZNS1_25segmented_radix_sort_implIS3_Lb1EPKbPbPKlPlN2at6native12_GLOBAL__N_18offset_tEEE10hipError_tPvRmT1_PNSt15iterator_traitsISK_E10value_typeET2_T3_PNSL_ISQ_E10value_typeET4_jRbjT5_SW_jjP12ihipStream_tbEUlT_E1_NS1_11comp_targetILNS1_3genE4ELNS1_11target_archE910ELNS1_3gpuE8ELNS1_3repE0EEENS1_59segmented_radix_sort_warp_sort_small_config_static_selectorELNS0_4arch9wavefront6targetE0EEEvSK_,@function
_ZN7rocprim17ROCPRIM_400000_NS6detail17trampoline_kernelINS0_14default_configENS1_36segmented_radix_sort_config_selectorIblEEZNS1_25segmented_radix_sort_implIS3_Lb1EPKbPbPKlPlN2at6native12_GLOBAL__N_18offset_tEEE10hipError_tPvRmT1_PNSt15iterator_traitsISK_E10value_typeET2_T3_PNSL_ISQ_E10value_typeET4_jRbjT5_SW_jjP12ihipStream_tbEUlT_E1_NS1_11comp_targetILNS1_3genE4ELNS1_11target_archE910ELNS1_3gpuE8ELNS1_3repE0EEENS1_59segmented_radix_sort_warp_sort_small_config_static_selectorELNS0_4arch9wavefront6targetE0EEEvSK_: ; @_ZN7rocprim17ROCPRIM_400000_NS6detail17trampoline_kernelINS0_14default_configENS1_36segmented_radix_sort_config_selectorIblEEZNS1_25segmented_radix_sort_implIS3_Lb1EPKbPbPKlPlN2at6native12_GLOBAL__N_18offset_tEEE10hipError_tPvRmT1_PNSt15iterator_traitsISK_E10value_typeET2_T3_PNSL_ISQ_E10value_typeET4_jRbjT5_SW_jjP12ihipStream_tbEUlT_E1_NS1_11comp_targetILNS1_3genE4ELNS1_11target_archE910ELNS1_3gpuE8ELNS1_3repE0EEENS1_59segmented_radix_sort_warp_sort_small_config_static_selectorELNS0_4arch9wavefront6targetE0EEEvSK_
; %bb.0:
	.section	.rodata,"a",@progbits
	.p2align	6, 0x0
	.amdhsa_kernel _ZN7rocprim17ROCPRIM_400000_NS6detail17trampoline_kernelINS0_14default_configENS1_36segmented_radix_sort_config_selectorIblEEZNS1_25segmented_radix_sort_implIS3_Lb1EPKbPbPKlPlN2at6native12_GLOBAL__N_18offset_tEEE10hipError_tPvRmT1_PNSt15iterator_traitsISK_E10value_typeET2_T3_PNSL_ISQ_E10value_typeET4_jRbjT5_SW_jjP12ihipStream_tbEUlT_E1_NS1_11comp_targetILNS1_3genE4ELNS1_11target_archE910ELNS1_3gpuE8ELNS1_3repE0EEENS1_59segmented_radix_sort_warp_sort_small_config_static_selectorELNS0_4arch9wavefront6targetE0EEEvSK_
		.amdhsa_group_segment_fixed_size 0
		.amdhsa_private_segment_fixed_size 0
		.amdhsa_kernarg_size 88
		.amdhsa_user_sgpr_count 6
		.amdhsa_user_sgpr_private_segment_buffer 1
		.amdhsa_user_sgpr_dispatch_ptr 0
		.amdhsa_user_sgpr_queue_ptr 0
		.amdhsa_user_sgpr_kernarg_segment_ptr 1
		.amdhsa_user_sgpr_dispatch_id 0
		.amdhsa_user_sgpr_flat_scratch_init 0
		.amdhsa_user_sgpr_private_segment_size 0
		.amdhsa_wavefront_size32 1
		.amdhsa_uses_dynamic_stack 0
		.amdhsa_system_sgpr_private_segment_wavefront_offset 0
		.amdhsa_system_sgpr_workgroup_id_x 1
		.amdhsa_system_sgpr_workgroup_id_y 0
		.amdhsa_system_sgpr_workgroup_id_z 0
		.amdhsa_system_sgpr_workgroup_info 0
		.amdhsa_system_vgpr_workitem_id 0
		.amdhsa_next_free_vgpr 1
		.amdhsa_next_free_sgpr 1
		.amdhsa_reserve_vcc 0
		.amdhsa_reserve_flat_scratch 0
		.amdhsa_float_round_mode_32 0
		.amdhsa_float_round_mode_16_64 0
		.amdhsa_float_denorm_mode_32 3
		.amdhsa_float_denorm_mode_16_64 3
		.amdhsa_dx10_clamp 1
		.amdhsa_ieee_mode 1
		.amdhsa_fp16_overflow 0
		.amdhsa_workgroup_processor_mode 1
		.amdhsa_memory_ordered 1
		.amdhsa_forward_progress 1
		.amdhsa_shared_vgpr_count 0
		.amdhsa_exception_fp_ieee_invalid_op 0
		.amdhsa_exception_fp_denorm_src 0
		.amdhsa_exception_fp_ieee_div_zero 0
		.amdhsa_exception_fp_ieee_overflow 0
		.amdhsa_exception_fp_ieee_underflow 0
		.amdhsa_exception_fp_ieee_inexact 0
		.amdhsa_exception_int_div_zero 0
	.end_amdhsa_kernel
	.section	.text._ZN7rocprim17ROCPRIM_400000_NS6detail17trampoline_kernelINS0_14default_configENS1_36segmented_radix_sort_config_selectorIblEEZNS1_25segmented_radix_sort_implIS3_Lb1EPKbPbPKlPlN2at6native12_GLOBAL__N_18offset_tEEE10hipError_tPvRmT1_PNSt15iterator_traitsISK_E10value_typeET2_T3_PNSL_ISQ_E10value_typeET4_jRbjT5_SW_jjP12ihipStream_tbEUlT_E1_NS1_11comp_targetILNS1_3genE4ELNS1_11target_archE910ELNS1_3gpuE8ELNS1_3repE0EEENS1_59segmented_radix_sort_warp_sort_small_config_static_selectorELNS0_4arch9wavefront6targetE0EEEvSK_,"axG",@progbits,_ZN7rocprim17ROCPRIM_400000_NS6detail17trampoline_kernelINS0_14default_configENS1_36segmented_radix_sort_config_selectorIblEEZNS1_25segmented_radix_sort_implIS3_Lb1EPKbPbPKlPlN2at6native12_GLOBAL__N_18offset_tEEE10hipError_tPvRmT1_PNSt15iterator_traitsISK_E10value_typeET2_T3_PNSL_ISQ_E10value_typeET4_jRbjT5_SW_jjP12ihipStream_tbEUlT_E1_NS1_11comp_targetILNS1_3genE4ELNS1_11target_archE910ELNS1_3gpuE8ELNS1_3repE0EEENS1_59segmented_radix_sort_warp_sort_small_config_static_selectorELNS0_4arch9wavefront6targetE0EEEvSK_,comdat
.Lfunc_end1546:
	.size	_ZN7rocprim17ROCPRIM_400000_NS6detail17trampoline_kernelINS0_14default_configENS1_36segmented_radix_sort_config_selectorIblEEZNS1_25segmented_radix_sort_implIS3_Lb1EPKbPbPKlPlN2at6native12_GLOBAL__N_18offset_tEEE10hipError_tPvRmT1_PNSt15iterator_traitsISK_E10value_typeET2_T3_PNSL_ISQ_E10value_typeET4_jRbjT5_SW_jjP12ihipStream_tbEUlT_E1_NS1_11comp_targetILNS1_3genE4ELNS1_11target_archE910ELNS1_3gpuE8ELNS1_3repE0EEENS1_59segmented_radix_sort_warp_sort_small_config_static_selectorELNS0_4arch9wavefront6targetE0EEEvSK_, .Lfunc_end1546-_ZN7rocprim17ROCPRIM_400000_NS6detail17trampoline_kernelINS0_14default_configENS1_36segmented_radix_sort_config_selectorIblEEZNS1_25segmented_radix_sort_implIS3_Lb1EPKbPbPKlPlN2at6native12_GLOBAL__N_18offset_tEEE10hipError_tPvRmT1_PNSt15iterator_traitsISK_E10value_typeET2_T3_PNSL_ISQ_E10value_typeET4_jRbjT5_SW_jjP12ihipStream_tbEUlT_E1_NS1_11comp_targetILNS1_3genE4ELNS1_11target_archE910ELNS1_3gpuE8ELNS1_3repE0EEENS1_59segmented_radix_sort_warp_sort_small_config_static_selectorELNS0_4arch9wavefront6targetE0EEEvSK_
                                        ; -- End function
	.set _ZN7rocprim17ROCPRIM_400000_NS6detail17trampoline_kernelINS0_14default_configENS1_36segmented_radix_sort_config_selectorIblEEZNS1_25segmented_radix_sort_implIS3_Lb1EPKbPbPKlPlN2at6native12_GLOBAL__N_18offset_tEEE10hipError_tPvRmT1_PNSt15iterator_traitsISK_E10value_typeET2_T3_PNSL_ISQ_E10value_typeET4_jRbjT5_SW_jjP12ihipStream_tbEUlT_E1_NS1_11comp_targetILNS1_3genE4ELNS1_11target_archE910ELNS1_3gpuE8ELNS1_3repE0EEENS1_59segmented_radix_sort_warp_sort_small_config_static_selectorELNS0_4arch9wavefront6targetE0EEEvSK_.num_vgpr, 0
	.set _ZN7rocprim17ROCPRIM_400000_NS6detail17trampoline_kernelINS0_14default_configENS1_36segmented_radix_sort_config_selectorIblEEZNS1_25segmented_radix_sort_implIS3_Lb1EPKbPbPKlPlN2at6native12_GLOBAL__N_18offset_tEEE10hipError_tPvRmT1_PNSt15iterator_traitsISK_E10value_typeET2_T3_PNSL_ISQ_E10value_typeET4_jRbjT5_SW_jjP12ihipStream_tbEUlT_E1_NS1_11comp_targetILNS1_3genE4ELNS1_11target_archE910ELNS1_3gpuE8ELNS1_3repE0EEENS1_59segmented_radix_sort_warp_sort_small_config_static_selectorELNS0_4arch9wavefront6targetE0EEEvSK_.num_agpr, 0
	.set _ZN7rocprim17ROCPRIM_400000_NS6detail17trampoline_kernelINS0_14default_configENS1_36segmented_radix_sort_config_selectorIblEEZNS1_25segmented_radix_sort_implIS3_Lb1EPKbPbPKlPlN2at6native12_GLOBAL__N_18offset_tEEE10hipError_tPvRmT1_PNSt15iterator_traitsISK_E10value_typeET2_T3_PNSL_ISQ_E10value_typeET4_jRbjT5_SW_jjP12ihipStream_tbEUlT_E1_NS1_11comp_targetILNS1_3genE4ELNS1_11target_archE910ELNS1_3gpuE8ELNS1_3repE0EEENS1_59segmented_radix_sort_warp_sort_small_config_static_selectorELNS0_4arch9wavefront6targetE0EEEvSK_.numbered_sgpr, 0
	.set _ZN7rocprim17ROCPRIM_400000_NS6detail17trampoline_kernelINS0_14default_configENS1_36segmented_radix_sort_config_selectorIblEEZNS1_25segmented_radix_sort_implIS3_Lb1EPKbPbPKlPlN2at6native12_GLOBAL__N_18offset_tEEE10hipError_tPvRmT1_PNSt15iterator_traitsISK_E10value_typeET2_T3_PNSL_ISQ_E10value_typeET4_jRbjT5_SW_jjP12ihipStream_tbEUlT_E1_NS1_11comp_targetILNS1_3genE4ELNS1_11target_archE910ELNS1_3gpuE8ELNS1_3repE0EEENS1_59segmented_radix_sort_warp_sort_small_config_static_selectorELNS0_4arch9wavefront6targetE0EEEvSK_.num_named_barrier, 0
	.set _ZN7rocprim17ROCPRIM_400000_NS6detail17trampoline_kernelINS0_14default_configENS1_36segmented_radix_sort_config_selectorIblEEZNS1_25segmented_radix_sort_implIS3_Lb1EPKbPbPKlPlN2at6native12_GLOBAL__N_18offset_tEEE10hipError_tPvRmT1_PNSt15iterator_traitsISK_E10value_typeET2_T3_PNSL_ISQ_E10value_typeET4_jRbjT5_SW_jjP12ihipStream_tbEUlT_E1_NS1_11comp_targetILNS1_3genE4ELNS1_11target_archE910ELNS1_3gpuE8ELNS1_3repE0EEENS1_59segmented_radix_sort_warp_sort_small_config_static_selectorELNS0_4arch9wavefront6targetE0EEEvSK_.private_seg_size, 0
	.set _ZN7rocprim17ROCPRIM_400000_NS6detail17trampoline_kernelINS0_14default_configENS1_36segmented_radix_sort_config_selectorIblEEZNS1_25segmented_radix_sort_implIS3_Lb1EPKbPbPKlPlN2at6native12_GLOBAL__N_18offset_tEEE10hipError_tPvRmT1_PNSt15iterator_traitsISK_E10value_typeET2_T3_PNSL_ISQ_E10value_typeET4_jRbjT5_SW_jjP12ihipStream_tbEUlT_E1_NS1_11comp_targetILNS1_3genE4ELNS1_11target_archE910ELNS1_3gpuE8ELNS1_3repE0EEENS1_59segmented_radix_sort_warp_sort_small_config_static_selectorELNS0_4arch9wavefront6targetE0EEEvSK_.uses_vcc, 0
	.set _ZN7rocprim17ROCPRIM_400000_NS6detail17trampoline_kernelINS0_14default_configENS1_36segmented_radix_sort_config_selectorIblEEZNS1_25segmented_radix_sort_implIS3_Lb1EPKbPbPKlPlN2at6native12_GLOBAL__N_18offset_tEEE10hipError_tPvRmT1_PNSt15iterator_traitsISK_E10value_typeET2_T3_PNSL_ISQ_E10value_typeET4_jRbjT5_SW_jjP12ihipStream_tbEUlT_E1_NS1_11comp_targetILNS1_3genE4ELNS1_11target_archE910ELNS1_3gpuE8ELNS1_3repE0EEENS1_59segmented_radix_sort_warp_sort_small_config_static_selectorELNS0_4arch9wavefront6targetE0EEEvSK_.uses_flat_scratch, 0
	.set _ZN7rocprim17ROCPRIM_400000_NS6detail17trampoline_kernelINS0_14default_configENS1_36segmented_radix_sort_config_selectorIblEEZNS1_25segmented_radix_sort_implIS3_Lb1EPKbPbPKlPlN2at6native12_GLOBAL__N_18offset_tEEE10hipError_tPvRmT1_PNSt15iterator_traitsISK_E10value_typeET2_T3_PNSL_ISQ_E10value_typeET4_jRbjT5_SW_jjP12ihipStream_tbEUlT_E1_NS1_11comp_targetILNS1_3genE4ELNS1_11target_archE910ELNS1_3gpuE8ELNS1_3repE0EEENS1_59segmented_radix_sort_warp_sort_small_config_static_selectorELNS0_4arch9wavefront6targetE0EEEvSK_.has_dyn_sized_stack, 0
	.set _ZN7rocprim17ROCPRIM_400000_NS6detail17trampoline_kernelINS0_14default_configENS1_36segmented_radix_sort_config_selectorIblEEZNS1_25segmented_radix_sort_implIS3_Lb1EPKbPbPKlPlN2at6native12_GLOBAL__N_18offset_tEEE10hipError_tPvRmT1_PNSt15iterator_traitsISK_E10value_typeET2_T3_PNSL_ISQ_E10value_typeET4_jRbjT5_SW_jjP12ihipStream_tbEUlT_E1_NS1_11comp_targetILNS1_3genE4ELNS1_11target_archE910ELNS1_3gpuE8ELNS1_3repE0EEENS1_59segmented_radix_sort_warp_sort_small_config_static_selectorELNS0_4arch9wavefront6targetE0EEEvSK_.has_recursion, 0
	.set _ZN7rocprim17ROCPRIM_400000_NS6detail17trampoline_kernelINS0_14default_configENS1_36segmented_radix_sort_config_selectorIblEEZNS1_25segmented_radix_sort_implIS3_Lb1EPKbPbPKlPlN2at6native12_GLOBAL__N_18offset_tEEE10hipError_tPvRmT1_PNSt15iterator_traitsISK_E10value_typeET2_T3_PNSL_ISQ_E10value_typeET4_jRbjT5_SW_jjP12ihipStream_tbEUlT_E1_NS1_11comp_targetILNS1_3genE4ELNS1_11target_archE910ELNS1_3gpuE8ELNS1_3repE0EEENS1_59segmented_radix_sort_warp_sort_small_config_static_selectorELNS0_4arch9wavefront6targetE0EEEvSK_.has_indirect_call, 0
	.section	.AMDGPU.csdata,"",@progbits
; Kernel info:
; codeLenInByte = 0
; TotalNumSgprs: 0
; NumVgprs: 0
; ScratchSize: 0
; MemoryBound: 0
; FloatMode: 240
; IeeeMode: 1
; LDSByteSize: 0 bytes/workgroup (compile time only)
; SGPRBlocks: 0
; VGPRBlocks: 0
; NumSGPRsForWavesPerEU: 1
; NumVGPRsForWavesPerEU: 1
; Occupancy: 16
; WaveLimiterHint : 0
; COMPUTE_PGM_RSRC2:SCRATCH_EN: 0
; COMPUTE_PGM_RSRC2:USER_SGPR: 6
; COMPUTE_PGM_RSRC2:TRAP_HANDLER: 0
; COMPUTE_PGM_RSRC2:TGID_X_EN: 1
; COMPUTE_PGM_RSRC2:TGID_Y_EN: 0
; COMPUTE_PGM_RSRC2:TGID_Z_EN: 0
; COMPUTE_PGM_RSRC2:TIDIG_COMP_CNT: 0
	.section	.text._ZN7rocprim17ROCPRIM_400000_NS6detail17trampoline_kernelINS0_14default_configENS1_36segmented_radix_sort_config_selectorIblEEZNS1_25segmented_radix_sort_implIS3_Lb1EPKbPbPKlPlN2at6native12_GLOBAL__N_18offset_tEEE10hipError_tPvRmT1_PNSt15iterator_traitsISK_E10value_typeET2_T3_PNSL_ISQ_E10value_typeET4_jRbjT5_SW_jjP12ihipStream_tbEUlT_E1_NS1_11comp_targetILNS1_3genE3ELNS1_11target_archE908ELNS1_3gpuE7ELNS1_3repE0EEENS1_59segmented_radix_sort_warp_sort_small_config_static_selectorELNS0_4arch9wavefront6targetE0EEEvSK_,"axG",@progbits,_ZN7rocprim17ROCPRIM_400000_NS6detail17trampoline_kernelINS0_14default_configENS1_36segmented_radix_sort_config_selectorIblEEZNS1_25segmented_radix_sort_implIS3_Lb1EPKbPbPKlPlN2at6native12_GLOBAL__N_18offset_tEEE10hipError_tPvRmT1_PNSt15iterator_traitsISK_E10value_typeET2_T3_PNSL_ISQ_E10value_typeET4_jRbjT5_SW_jjP12ihipStream_tbEUlT_E1_NS1_11comp_targetILNS1_3genE3ELNS1_11target_archE908ELNS1_3gpuE7ELNS1_3repE0EEENS1_59segmented_radix_sort_warp_sort_small_config_static_selectorELNS0_4arch9wavefront6targetE0EEEvSK_,comdat
	.globl	_ZN7rocprim17ROCPRIM_400000_NS6detail17trampoline_kernelINS0_14default_configENS1_36segmented_radix_sort_config_selectorIblEEZNS1_25segmented_radix_sort_implIS3_Lb1EPKbPbPKlPlN2at6native12_GLOBAL__N_18offset_tEEE10hipError_tPvRmT1_PNSt15iterator_traitsISK_E10value_typeET2_T3_PNSL_ISQ_E10value_typeET4_jRbjT5_SW_jjP12ihipStream_tbEUlT_E1_NS1_11comp_targetILNS1_3genE3ELNS1_11target_archE908ELNS1_3gpuE7ELNS1_3repE0EEENS1_59segmented_radix_sort_warp_sort_small_config_static_selectorELNS0_4arch9wavefront6targetE0EEEvSK_ ; -- Begin function _ZN7rocprim17ROCPRIM_400000_NS6detail17trampoline_kernelINS0_14default_configENS1_36segmented_radix_sort_config_selectorIblEEZNS1_25segmented_radix_sort_implIS3_Lb1EPKbPbPKlPlN2at6native12_GLOBAL__N_18offset_tEEE10hipError_tPvRmT1_PNSt15iterator_traitsISK_E10value_typeET2_T3_PNSL_ISQ_E10value_typeET4_jRbjT5_SW_jjP12ihipStream_tbEUlT_E1_NS1_11comp_targetILNS1_3genE3ELNS1_11target_archE908ELNS1_3gpuE7ELNS1_3repE0EEENS1_59segmented_radix_sort_warp_sort_small_config_static_selectorELNS0_4arch9wavefront6targetE0EEEvSK_
	.p2align	8
	.type	_ZN7rocprim17ROCPRIM_400000_NS6detail17trampoline_kernelINS0_14default_configENS1_36segmented_radix_sort_config_selectorIblEEZNS1_25segmented_radix_sort_implIS3_Lb1EPKbPbPKlPlN2at6native12_GLOBAL__N_18offset_tEEE10hipError_tPvRmT1_PNSt15iterator_traitsISK_E10value_typeET2_T3_PNSL_ISQ_E10value_typeET4_jRbjT5_SW_jjP12ihipStream_tbEUlT_E1_NS1_11comp_targetILNS1_3genE3ELNS1_11target_archE908ELNS1_3gpuE7ELNS1_3repE0EEENS1_59segmented_radix_sort_warp_sort_small_config_static_selectorELNS0_4arch9wavefront6targetE0EEEvSK_,@function
_ZN7rocprim17ROCPRIM_400000_NS6detail17trampoline_kernelINS0_14default_configENS1_36segmented_radix_sort_config_selectorIblEEZNS1_25segmented_radix_sort_implIS3_Lb1EPKbPbPKlPlN2at6native12_GLOBAL__N_18offset_tEEE10hipError_tPvRmT1_PNSt15iterator_traitsISK_E10value_typeET2_T3_PNSL_ISQ_E10value_typeET4_jRbjT5_SW_jjP12ihipStream_tbEUlT_E1_NS1_11comp_targetILNS1_3genE3ELNS1_11target_archE908ELNS1_3gpuE7ELNS1_3repE0EEENS1_59segmented_radix_sort_warp_sort_small_config_static_selectorELNS0_4arch9wavefront6targetE0EEEvSK_: ; @_ZN7rocprim17ROCPRIM_400000_NS6detail17trampoline_kernelINS0_14default_configENS1_36segmented_radix_sort_config_selectorIblEEZNS1_25segmented_radix_sort_implIS3_Lb1EPKbPbPKlPlN2at6native12_GLOBAL__N_18offset_tEEE10hipError_tPvRmT1_PNSt15iterator_traitsISK_E10value_typeET2_T3_PNSL_ISQ_E10value_typeET4_jRbjT5_SW_jjP12ihipStream_tbEUlT_E1_NS1_11comp_targetILNS1_3genE3ELNS1_11target_archE908ELNS1_3gpuE7ELNS1_3repE0EEENS1_59segmented_radix_sort_warp_sort_small_config_static_selectorELNS0_4arch9wavefront6targetE0EEEvSK_
; %bb.0:
	.section	.rodata,"a",@progbits
	.p2align	6, 0x0
	.amdhsa_kernel _ZN7rocprim17ROCPRIM_400000_NS6detail17trampoline_kernelINS0_14default_configENS1_36segmented_radix_sort_config_selectorIblEEZNS1_25segmented_radix_sort_implIS3_Lb1EPKbPbPKlPlN2at6native12_GLOBAL__N_18offset_tEEE10hipError_tPvRmT1_PNSt15iterator_traitsISK_E10value_typeET2_T3_PNSL_ISQ_E10value_typeET4_jRbjT5_SW_jjP12ihipStream_tbEUlT_E1_NS1_11comp_targetILNS1_3genE3ELNS1_11target_archE908ELNS1_3gpuE7ELNS1_3repE0EEENS1_59segmented_radix_sort_warp_sort_small_config_static_selectorELNS0_4arch9wavefront6targetE0EEEvSK_
		.amdhsa_group_segment_fixed_size 0
		.amdhsa_private_segment_fixed_size 0
		.amdhsa_kernarg_size 88
		.amdhsa_user_sgpr_count 6
		.amdhsa_user_sgpr_private_segment_buffer 1
		.amdhsa_user_sgpr_dispatch_ptr 0
		.amdhsa_user_sgpr_queue_ptr 0
		.amdhsa_user_sgpr_kernarg_segment_ptr 1
		.amdhsa_user_sgpr_dispatch_id 0
		.amdhsa_user_sgpr_flat_scratch_init 0
		.amdhsa_user_sgpr_private_segment_size 0
		.amdhsa_wavefront_size32 1
		.amdhsa_uses_dynamic_stack 0
		.amdhsa_system_sgpr_private_segment_wavefront_offset 0
		.amdhsa_system_sgpr_workgroup_id_x 1
		.amdhsa_system_sgpr_workgroup_id_y 0
		.amdhsa_system_sgpr_workgroup_id_z 0
		.amdhsa_system_sgpr_workgroup_info 0
		.amdhsa_system_vgpr_workitem_id 0
		.amdhsa_next_free_vgpr 1
		.amdhsa_next_free_sgpr 1
		.amdhsa_reserve_vcc 0
		.amdhsa_reserve_flat_scratch 0
		.amdhsa_float_round_mode_32 0
		.amdhsa_float_round_mode_16_64 0
		.amdhsa_float_denorm_mode_32 3
		.amdhsa_float_denorm_mode_16_64 3
		.amdhsa_dx10_clamp 1
		.amdhsa_ieee_mode 1
		.amdhsa_fp16_overflow 0
		.amdhsa_workgroup_processor_mode 1
		.amdhsa_memory_ordered 1
		.amdhsa_forward_progress 1
		.amdhsa_shared_vgpr_count 0
		.amdhsa_exception_fp_ieee_invalid_op 0
		.amdhsa_exception_fp_denorm_src 0
		.amdhsa_exception_fp_ieee_div_zero 0
		.amdhsa_exception_fp_ieee_overflow 0
		.amdhsa_exception_fp_ieee_underflow 0
		.amdhsa_exception_fp_ieee_inexact 0
		.amdhsa_exception_int_div_zero 0
	.end_amdhsa_kernel
	.section	.text._ZN7rocprim17ROCPRIM_400000_NS6detail17trampoline_kernelINS0_14default_configENS1_36segmented_radix_sort_config_selectorIblEEZNS1_25segmented_radix_sort_implIS3_Lb1EPKbPbPKlPlN2at6native12_GLOBAL__N_18offset_tEEE10hipError_tPvRmT1_PNSt15iterator_traitsISK_E10value_typeET2_T3_PNSL_ISQ_E10value_typeET4_jRbjT5_SW_jjP12ihipStream_tbEUlT_E1_NS1_11comp_targetILNS1_3genE3ELNS1_11target_archE908ELNS1_3gpuE7ELNS1_3repE0EEENS1_59segmented_radix_sort_warp_sort_small_config_static_selectorELNS0_4arch9wavefront6targetE0EEEvSK_,"axG",@progbits,_ZN7rocprim17ROCPRIM_400000_NS6detail17trampoline_kernelINS0_14default_configENS1_36segmented_radix_sort_config_selectorIblEEZNS1_25segmented_radix_sort_implIS3_Lb1EPKbPbPKlPlN2at6native12_GLOBAL__N_18offset_tEEE10hipError_tPvRmT1_PNSt15iterator_traitsISK_E10value_typeET2_T3_PNSL_ISQ_E10value_typeET4_jRbjT5_SW_jjP12ihipStream_tbEUlT_E1_NS1_11comp_targetILNS1_3genE3ELNS1_11target_archE908ELNS1_3gpuE7ELNS1_3repE0EEENS1_59segmented_radix_sort_warp_sort_small_config_static_selectorELNS0_4arch9wavefront6targetE0EEEvSK_,comdat
.Lfunc_end1547:
	.size	_ZN7rocprim17ROCPRIM_400000_NS6detail17trampoline_kernelINS0_14default_configENS1_36segmented_radix_sort_config_selectorIblEEZNS1_25segmented_radix_sort_implIS3_Lb1EPKbPbPKlPlN2at6native12_GLOBAL__N_18offset_tEEE10hipError_tPvRmT1_PNSt15iterator_traitsISK_E10value_typeET2_T3_PNSL_ISQ_E10value_typeET4_jRbjT5_SW_jjP12ihipStream_tbEUlT_E1_NS1_11comp_targetILNS1_3genE3ELNS1_11target_archE908ELNS1_3gpuE7ELNS1_3repE0EEENS1_59segmented_radix_sort_warp_sort_small_config_static_selectorELNS0_4arch9wavefront6targetE0EEEvSK_, .Lfunc_end1547-_ZN7rocprim17ROCPRIM_400000_NS6detail17trampoline_kernelINS0_14default_configENS1_36segmented_radix_sort_config_selectorIblEEZNS1_25segmented_radix_sort_implIS3_Lb1EPKbPbPKlPlN2at6native12_GLOBAL__N_18offset_tEEE10hipError_tPvRmT1_PNSt15iterator_traitsISK_E10value_typeET2_T3_PNSL_ISQ_E10value_typeET4_jRbjT5_SW_jjP12ihipStream_tbEUlT_E1_NS1_11comp_targetILNS1_3genE3ELNS1_11target_archE908ELNS1_3gpuE7ELNS1_3repE0EEENS1_59segmented_radix_sort_warp_sort_small_config_static_selectorELNS0_4arch9wavefront6targetE0EEEvSK_
                                        ; -- End function
	.set _ZN7rocprim17ROCPRIM_400000_NS6detail17trampoline_kernelINS0_14default_configENS1_36segmented_radix_sort_config_selectorIblEEZNS1_25segmented_radix_sort_implIS3_Lb1EPKbPbPKlPlN2at6native12_GLOBAL__N_18offset_tEEE10hipError_tPvRmT1_PNSt15iterator_traitsISK_E10value_typeET2_T3_PNSL_ISQ_E10value_typeET4_jRbjT5_SW_jjP12ihipStream_tbEUlT_E1_NS1_11comp_targetILNS1_3genE3ELNS1_11target_archE908ELNS1_3gpuE7ELNS1_3repE0EEENS1_59segmented_radix_sort_warp_sort_small_config_static_selectorELNS0_4arch9wavefront6targetE0EEEvSK_.num_vgpr, 0
	.set _ZN7rocprim17ROCPRIM_400000_NS6detail17trampoline_kernelINS0_14default_configENS1_36segmented_radix_sort_config_selectorIblEEZNS1_25segmented_radix_sort_implIS3_Lb1EPKbPbPKlPlN2at6native12_GLOBAL__N_18offset_tEEE10hipError_tPvRmT1_PNSt15iterator_traitsISK_E10value_typeET2_T3_PNSL_ISQ_E10value_typeET4_jRbjT5_SW_jjP12ihipStream_tbEUlT_E1_NS1_11comp_targetILNS1_3genE3ELNS1_11target_archE908ELNS1_3gpuE7ELNS1_3repE0EEENS1_59segmented_radix_sort_warp_sort_small_config_static_selectorELNS0_4arch9wavefront6targetE0EEEvSK_.num_agpr, 0
	.set _ZN7rocprim17ROCPRIM_400000_NS6detail17trampoline_kernelINS0_14default_configENS1_36segmented_radix_sort_config_selectorIblEEZNS1_25segmented_radix_sort_implIS3_Lb1EPKbPbPKlPlN2at6native12_GLOBAL__N_18offset_tEEE10hipError_tPvRmT1_PNSt15iterator_traitsISK_E10value_typeET2_T3_PNSL_ISQ_E10value_typeET4_jRbjT5_SW_jjP12ihipStream_tbEUlT_E1_NS1_11comp_targetILNS1_3genE3ELNS1_11target_archE908ELNS1_3gpuE7ELNS1_3repE0EEENS1_59segmented_radix_sort_warp_sort_small_config_static_selectorELNS0_4arch9wavefront6targetE0EEEvSK_.numbered_sgpr, 0
	.set _ZN7rocprim17ROCPRIM_400000_NS6detail17trampoline_kernelINS0_14default_configENS1_36segmented_radix_sort_config_selectorIblEEZNS1_25segmented_radix_sort_implIS3_Lb1EPKbPbPKlPlN2at6native12_GLOBAL__N_18offset_tEEE10hipError_tPvRmT1_PNSt15iterator_traitsISK_E10value_typeET2_T3_PNSL_ISQ_E10value_typeET4_jRbjT5_SW_jjP12ihipStream_tbEUlT_E1_NS1_11comp_targetILNS1_3genE3ELNS1_11target_archE908ELNS1_3gpuE7ELNS1_3repE0EEENS1_59segmented_radix_sort_warp_sort_small_config_static_selectorELNS0_4arch9wavefront6targetE0EEEvSK_.num_named_barrier, 0
	.set _ZN7rocprim17ROCPRIM_400000_NS6detail17trampoline_kernelINS0_14default_configENS1_36segmented_radix_sort_config_selectorIblEEZNS1_25segmented_radix_sort_implIS3_Lb1EPKbPbPKlPlN2at6native12_GLOBAL__N_18offset_tEEE10hipError_tPvRmT1_PNSt15iterator_traitsISK_E10value_typeET2_T3_PNSL_ISQ_E10value_typeET4_jRbjT5_SW_jjP12ihipStream_tbEUlT_E1_NS1_11comp_targetILNS1_3genE3ELNS1_11target_archE908ELNS1_3gpuE7ELNS1_3repE0EEENS1_59segmented_radix_sort_warp_sort_small_config_static_selectorELNS0_4arch9wavefront6targetE0EEEvSK_.private_seg_size, 0
	.set _ZN7rocprim17ROCPRIM_400000_NS6detail17trampoline_kernelINS0_14default_configENS1_36segmented_radix_sort_config_selectorIblEEZNS1_25segmented_radix_sort_implIS3_Lb1EPKbPbPKlPlN2at6native12_GLOBAL__N_18offset_tEEE10hipError_tPvRmT1_PNSt15iterator_traitsISK_E10value_typeET2_T3_PNSL_ISQ_E10value_typeET4_jRbjT5_SW_jjP12ihipStream_tbEUlT_E1_NS1_11comp_targetILNS1_3genE3ELNS1_11target_archE908ELNS1_3gpuE7ELNS1_3repE0EEENS1_59segmented_radix_sort_warp_sort_small_config_static_selectorELNS0_4arch9wavefront6targetE0EEEvSK_.uses_vcc, 0
	.set _ZN7rocprim17ROCPRIM_400000_NS6detail17trampoline_kernelINS0_14default_configENS1_36segmented_radix_sort_config_selectorIblEEZNS1_25segmented_radix_sort_implIS3_Lb1EPKbPbPKlPlN2at6native12_GLOBAL__N_18offset_tEEE10hipError_tPvRmT1_PNSt15iterator_traitsISK_E10value_typeET2_T3_PNSL_ISQ_E10value_typeET4_jRbjT5_SW_jjP12ihipStream_tbEUlT_E1_NS1_11comp_targetILNS1_3genE3ELNS1_11target_archE908ELNS1_3gpuE7ELNS1_3repE0EEENS1_59segmented_radix_sort_warp_sort_small_config_static_selectorELNS0_4arch9wavefront6targetE0EEEvSK_.uses_flat_scratch, 0
	.set _ZN7rocprim17ROCPRIM_400000_NS6detail17trampoline_kernelINS0_14default_configENS1_36segmented_radix_sort_config_selectorIblEEZNS1_25segmented_radix_sort_implIS3_Lb1EPKbPbPKlPlN2at6native12_GLOBAL__N_18offset_tEEE10hipError_tPvRmT1_PNSt15iterator_traitsISK_E10value_typeET2_T3_PNSL_ISQ_E10value_typeET4_jRbjT5_SW_jjP12ihipStream_tbEUlT_E1_NS1_11comp_targetILNS1_3genE3ELNS1_11target_archE908ELNS1_3gpuE7ELNS1_3repE0EEENS1_59segmented_radix_sort_warp_sort_small_config_static_selectorELNS0_4arch9wavefront6targetE0EEEvSK_.has_dyn_sized_stack, 0
	.set _ZN7rocprim17ROCPRIM_400000_NS6detail17trampoline_kernelINS0_14default_configENS1_36segmented_radix_sort_config_selectorIblEEZNS1_25segmented_radix_sort_implIS3_Lb1EPKbPbPKlPlN2at6native12_GLOBAL__N_18offset_tEEE10hipError_tPvRmT1_PNSt15iterator_traitsISK_E10value_typeET2_T3_PNSL_ISQ_E10value_typeET4_jRbjT5_SW_jjP12ihipStream_tbEUlT_E1_NS1_11comp_targetILNS1_3genE3ELNS1_11target_archE908ELNS1_3gpuE7ELNS1_3repE0EEENS1_59segmented_radix_sort_warp_sort_small_config_static_selectorELNS0_4arch9wavefront6targetE0EEEvSK_.has_recursion, 0
	.set _ZN7rocprim17ROCPRIM_400000_NS6detail17trampoline_kernelINS0_14default_configENS1_36segmented_radix_sort_config_selectorIblEEZNS1_25segmented_radix_sort_implIS3_Lb1EPKbPbPKlPlN2at6native12_GLOBAL__N_18offset_tEEE10hipError_tPvRmT1_PNSt15iterator_traitsISK_E10value_typeET2_T3_PNSL_ISQ_E10value_typeET4_jRbjT5_SW_jjP12ihipStream_tbEUlT_E1_NS1_11comp_targetILNS1_3genE3ELNS1_11target_archE908ELNS1_3gpuE7ELNS1_3repE0EEENS1_59segmented_radix_sort_warp_sort_small_config_static_selectorELNS0_4arch9wavefront6targetE0EEEvSK_.has_indirect_call, 0
	.section	.AMDGPU.csdata,"",@progbits
; Kernel info:
; codeLenInByte = 0
; TotalNumSgprs: 0
; NumVgprs: 0
; ScratchSize: 0
; MemoryBound: 0
; FloatMode: 240
; IeeeMode: 1
; LDSByteSize: 0 bytes/workgroup (compile time only)
; SGPRBlocks: 0
; VGPRBlocks: 0
; NumSGPRsForWavesPerEU: 1
; NumVGPRsForWavesPerEU: 1
; Occupancy: 16
; WaveLimiterHint : 0
; COMPUTE_PGM_RSRC2:SCRATCH_EN: 0
; COMPUTE_PGM_RSRC2:USER_SGPR: 6
; COMPUTE_PGM_RSRC2:TRAP_HANDLER: 0
; COMPUTE_PGM_RSRC2:TGID_X_EN: 1
; COMPUTE_PGM_RSRC2:TGID_Y_EN: 0
; COMPUTE_PGM_RSRC2:TGID_Z_EN: 0
; COMPUTE_PGM_RSRC2:TIDIG_COMP_CNT: 0
	.section	.text._ZN7rocprim17ROCPRIM_400000_NS6detail17trampoline_kernelINS0_14default_configENS1_36segmented_radix_sort_config_selectorIblEEZNS1_25segmented_radix_sort_implIS3_Lb1EPKbPbPKlPlN2at6native12_GLOBAL__N_18offset_tEEE10hipError_tPvRmT1_PNSt15iterator_traitsISK_E10value_typeET2_T3_PNSL_ISQ_E10value_typeET4_jRbjT5_SW_jjP12ihipStream_tbEUlT_E1_NS1_11comp_targetILNS1_3genE2ELNS1_11target_archE906ELNS1_3gpuE6ELNS1_3repE0EEENS1_59segmented_radix_sort_warp_sort_small_config_static_selectorELNS0_4arch9wavefront6targetE0EEEvSK_,"axG",@progbits,_ZN7rocprim17ROCPRIM_400000_NS6detail17trampoline_kernelINS0_14default_configENS1_36segmented_radix_sort_config_selectorIblEEZNS1_25segmented_radix_sort_implIS3_Lb1EPKbPbPKlPlN2at6native12_GLOBAL__N_18offset_tEEE10hipError_tPvRmT1_PNSt15iterator_traitsISK_E10value_typeET2_T3_PNSL_ISQ_E10value_typeET4_jRbjT5_SW_jjP12ihipStream_tbEUlT_E1_NS1_11comp_targetILNS1_3genE2ELNS1_11target_archE906ELNS1_3gpuE6ELNS1_3repE0EEENS1_59segmented_radix_sort_warp_sort_small_config_static_selectorELNS0_4arch9wavefront6targetE0EEEvSK_,comdat
	.globl	_ZN7rocprim17ROCPRIM_400000_NS6detail17trampoline_kernelINS0_14default_configENS1_36segmented_radix_sort_config_selectorIblEEZNS1_25segmented_radix_sort_implIS3_Lb1EPKbPbPKlPlN2at6native12_GLOBAL__N_18offset_tEEE10hipError_tPvRmT1_PNSt15iterator_traitsISK_E10value_typeET2_T3_PNSL_ISQ_E10value_typeET4_jRbjT5_SW_jjP12ihipStream_tbEUlT_E1_NS1_11comp_targetILNS1_3genE2ELNS1_11target_archE906ELNS1_3gpuE6ELNS1_3repE0EEENS1_59segmented_radix_sort_warp_sort_small_config_static_selectorELNS0_4arch9wavefront6targetE0EEEvSK_ ; -- Begin function _ZN7rocprim17ROCPRIM_400000_NS6detail17trampoline_kernelINS0_14default_configENS1_36segmented_radix_sort_config_selectorIblEEZNS1_25segmented_radix_sort_implIS3_Lb1EPKbPbPKlPlN2at6native12_GLOBAL__N_18offset_tEEE10hipError_tPvRmT1_PNSt15iterator_traitsISK_E10value_typeET2_T3_PNSL_ISQ_E10value_typeET4_jRbjT5_SW_jjP12ihipStream_tbEUlT_E1_NS1_11comp_targetILNS1_3genE2ELNS1_11target_archE906ELNS1_3gpuE6ELNS1_3repE0EEENS1_59segmented_radix_sort_warp_sort_small_config_static_selectorELNS0_4arch9wavefront6targetE0EEEvSK_
	.p2align	8
	.type	_ZN7rocprim17ROCPRIM_400000_NS6detail17trampoline_kernelINS0_14default_configENS1_36segmented_radix_sort_config_selectorIblEEZNS1_25segmented_radix_sort_implIS3_Lb1EPKbPbPKlPlN2at6native12_GLOBAL__N_18offset_tEEE10hipError_tPvRmT1_PNSt15iterator_traitsISK_E10value_typeET2_T3_PNSL_ISQ_E10value_typeET4_jRbjT5_SW_jjP12ihipStream_tbEUlT_E1_NS1_11comp_targetILNS1_3genE2ELNS1_11target_archE906ELNS1_3gpuE6ELNS1_3repE0EEENS1_59segmented_radix_sort_warp_sort_small_config_static_selectorELNS0_4arch9wavefront6targetE0EEEvSK_,@function
_ZN7rocprim17ROCPRIM_400000_NS6detail17trampoline_kernelINS0_14default_configENS1_36segmented_radix_sort_config_selectorIblEEZNS1_25segmented_radix_sort_implIS3_Lb1EPKbPbPKlPlN2at6native12_GLOBAL__N_18offset_tEEE10hipError_tPvRmT1_PNSt15iterator_traitsISK_E10value_typeET2_T3_PNSL_ISQ_E10value_typeET4_jRbjT5_SW_jjP12ihipStream_tbEUlT_E1_NS1_11comp_targetILNS1_3genE2ELNS1_11target_archE906ELNS1_3gpuE6ELNS1_3repE0EEENS1_59segmented_radix_sort_warp_sort_small_config_static_selectorELNS0_4arch9wavefront6targetE0EEEvSK_: ; @_ZN7rocprim17ROCPRIM_400000_NS6detail17trampoline_kernelINS0_14default_configENS1_36segmented_radix_sort_config_selectorIblEEZNS1_25segmented_radix_sort_implIS3_Lb1EPKbPbPKlPlN2at6native12_GLOBAL__N_18offset_tEEE10hipError_tPvRmT1_PNSt15iterator_traitsISK_E10value_typeET2_T3_PNSL_ISQ_E10value_typeET4_jRbjT5_SW_jjP12ihipStream_tbEUlT_E1_NS1_11comp_targetILNS1_3genE2ELNS1_11target_archE906ELNS1_3gpuE6ELNS1_3repE0EEENS1_59segmented_radix_sort_warp_sort_small_config_static_selectorELNS0_4arch9wavefront6targetE0EEEvSK_
; %bb.0:
	.section	.rodata,"a",@progbits
	.p2align	6, 0x0
	.amdhsa_kernel _ZN7rocprim17ROCPRIM_400000_NS6detail17trampoline_kernelINS0_14default_configENS1_36segmented_radix_sort_config_selectorIblEEZNS1_25segmented_radix_sort_implIS3_Lb1EPKbPbPKlPlN2at6native12_GLOBAL__N_18offset_tEEE10hipError_tPvRmT1_PNSt15iterator_traitsISK_E10value_typeET2_T3_PNSL_ISQ_E10value_typeET4_jRbjT5_SW_jjP12ihipStream_tbEUlT_E1_NS1_11comp_targetILNS1_3genE2ELNS1_11target_archE906ELNS1_3gpuE6ELNS1_3repE0EEENS1_59segmented_radix_sort_warp_sort_small_config_static_selectorELNS0_4arch9wavefront6targetE0EEEvSK_
		.amdhsa_group_segment_fixed_size 0
		.amdhsa_private_segment_fixed_size 0
		.amdhsa_kernarg_size 88
		.amdhsa_user_sgpr_count 6
		.amdhsa_user_sgpr_private_segment_buffer 1
		.amdhsa_user_sgpr_dispatch_ptr 0
		.amdhsa_user_sgpr_queue_ptr 0
		.amdhsa_user_sgpr_kernarg_segment_ptr 1
		.amdhsa_user_sgpr_dispatch_id 0
		.amdhsa_user_sgpr_flat_scratch_init 0
		.amdhsa_user_sgpr_private_segment_size 0
		.amdhsa_wavefront_size32 1
		.amdhsa_uses_dynamic_stack 0
		.amdhsa_system_sgpr_private_segment_wavefront_offset 0
		.amdhsa_system_sgpr_workgroup_id_x 1
		.amdhsa_system_sgpr_workgroup_id_y 0
		.amdhsa_system_sgpr_workgroup_id_z 0
		.amdhsa_system_sgpr_workgroup_info 0
		.amdhsa_system_vgpr_workitem_id 0
		.amdhsa_next_free_vgpr 1
		.amdhsa_next_free_sgpr 1
		.amdhsa_reserve_vcc 0
		.amdhsa_reserve_flat_scratch 0
		.amdhsa_float_round_mode_32 0
		.amdhsa_float_round_mode_16_64 0
		.amdhsa_float_denorm_mode_32 3
		.amdhsa_float_denorm_mode_16_64 3
		.amdhsa_dx10_clamp 1
		.amdhsa_ieee_mode 1
		.amdhsa_fp16_overflow 0
		.amdhsa_workgroup_processor_mode 1
		.amdhsa_memory_ordered 1
		.amdhsa_forward_progress 1
		.amdhsa_shared_vgpr_count 0
		.amdhsa_exception_fp_ieee_invalid_op 0
		.amdhsa_exception_fp_denorm_src 0
		.amdhsa_exception_fp_ieee_div_zero 0
		.amdhsa_exception_fp_ieee_overflow 0
		.amdhsa_exception_fp_ieee_underflow 0
		.amdhsa_exception_fp_ieee_inexact 0
		.amdhsa_exception_int_div_zero 0
	.end_amdhsa_kernel
	.section	.text._ZN7rocprim17ROCPRIM_400000_NS6detail17trampoline_kernelINS0_14default_configENS1_36segmented_radix_sort_config_selectorIblEEZNS1_25segmented_radix_sort_implIS3_Lb1EPKbPbPKlPlN2at6native12_GLOBAL__N_18offset_tEEE10hipError_tPvRmT1_PNSt15iterator_traitsISK_E10value_typeET2_T3_PNSL_ISQ_E10value_typeET4_jRbjT5_SW_jjP12ihipStream_tbEUlT_E1_NS1_11comp_targetILNS1_3genE2ELNS1_11target_archE906ELNS1_3gpuE6ELNS1_3repE0EEENS1_59segmented_radix_sort_warp_sort_small_config_static_selectorELNS0_4arch9wavefront6targetE0EEEvSK_,"axG",@progbits,_ZN7rocprim17ROCPRIM_400000_NS6detail17trampoline_kernelINS0_14default_configENS1_36segmented_radix_sort_config_selectorIblEEZNS1_25segmented_radix_sort_implIS3_Lb1EPKbPbPKlPlN2at6native12_GLOBAL__N_18offset_tEEE10hipError_tPvRmT1_PNSt15iterator_traitsISK_E10value_typeET2_T3_PNSL_ISQ_E10value_typeET4_jRbjT5_SW_jjP12ihipStream_tbEUlT_E1_NS1_11comp_targetILNS1_3genE2ELNS1_11target_archE906ELNS1_3gpuE6ELNS1_3repE0EEENS1_59segmented_radix_sort_warp_sort_small_config_static_selectorELNS0_4arch9wavefront6targetE0EEEvSK_,comdat
.Lfunc_end1548:
	.size	_ZN7rocprim17ROCPRIM_400000_NS6detail17trampoline_kernelINS0_14default_configENS1_36segmented_radix_sort_config_selectorIblEEZNS1_25segmented_radix_sort_implIS3_Lb1EPKbPbPKlPlN2at6native12_GLOBAL__N_18offset_tEEE10hipError_tPvRmT1_PNSt15iterator_traitsISK_E10value_typeET2_T3_PNSL_ISQ_E10value_typeET4_jRbjT5_SW_jjP12ihipStream_tbEUlT_E1_NS1_11comp_targetILNS1_3genE2ELNS1_11target_archE906ELNS1_3gpuE6ELNS1_3repE0EEENS1_59segmented_radix_sort_warp_sort_small_config_static_selectorELNS0_4arch9wavefront6targetE0EEEvSK_, .Lfunc_end1548-_ZN7rocprim17ROCPRIM_400000_NS6detail17trampoline_kernelINS0_14default_configENS1_36segmented_radix_sort_config_selectorIblEEZNS1_25segmented_radix_sort_implIS3_Lb1EPKbPbPKlPlN2at6native12_GLOBAL__N_18offset_tEEE10hipError_tPvRmT1_PNSt15iterator_traitsISK_E10value_typeET2_T3_PNSL_ISQ_E10value_typeET4_jRbjT5_SW_jjP12ihipStream_tbEUlT_E1_NS1_11comp_targetILNS1_3genE2ELNS1_11target_archE906ELNS1_3gpuE6ELNS1_3repE0EEENS1_59segmented_radix_sort_warp_sort_small_config_static_selectorELNS0_4arch9wavefront6targetE0EEEvSK_
                                        ; -- End function
	.set _ZN7rocprim17ROCPRIM_400000_NS6detail17trampoline_kernelINS0_14default_configENS1_36segmented_radix_sort_config_selectorIblEEZNS1_25segmented_radix_sort_implIS3_Lb1EPKbPbPKlPlN2at6native12_GLOBAL__N_18offset_tEEE10hipError_tPvRmT1_PNSt15iterator_traitsISK_E10value_typeET2_T3_PNSL_ISQ_E10value_typeET4_jRbjT5_SW_jjP12ihipStream_tbEUlT_E1_NS1_11comp_targetILNS1_3genE2ELNS1_11target_archE906ELNS1_3gpuE6ELNS1_3repE0EEENS1_59segmented_radix_sort_warp_sort_small_config_static_selectorELNS0_4arch9wavefront6targetE0EEEvSK_.num_vgpr, 0
	.set _ZN7rocprim17ROCPRIM_400000_NS6detail17trampoline_kernelINS0_14default_configENS1_36segmented_radix_sort_config_selectorIblEEZNS1_25segmented_radix_sort_implIS3_Lb1EPKbPbPKlPlN2at6native12_GLOBAL__N_18offset_tEEE10hipError_tPvRmT1_PNSt15iterator_traitsISK_E10value_typeET2_T3_PNSL_ISQ_E10value_typeET4_jRbjT5_SW_jjP12ihipStream_tbEUlT_E1_NS1_11comp_targetILNS1_3genE2ELNS1_11target_archE906ELNS1_3gpuE6ELNS1_3repE0EEENS1_59segmented_radix_sort_warp_sort_small_config_static_selectorELNS0_4arch9wavefront6targetE0EEEvSK_.num_agpr, 0
	.set _ZN7rocprim17ROCPRIM_400000_NS6detail17trampoline_kernelINS0_14default_configENS1_36segmented_radix_sort_config_selectorIblEEZNS1_25segmented_radix_sort_implIS3_Lb1EPKbPbPKlPlN2at6native12_GLOBAL__N_18offset_tEEE10hipError_tPvRmT1_PNSt15iterator_traitsISK_E10value_typeET2_T3_PNSL_ISQ_E10value_typeET4_jRbjT5_SW_jjP12ihipStream_tbEUlT_E1_NS1_11comp_targetILNS1_3genE2ELNS1_11target_archE906ELNS1_3gpuE6ELNS1_3repE0EEENS1_59segmented_radix_sort_warp_sort_small_config_static_selectorELNS0_4arch9wavefront6targetE0EEEvSK_.numbered_sgpr, 0
	.set _ZN7rocprim17ROCPRIM_400000_NS6detail17trampoline_kernelINS0_14default_configENS1_36segmented_radix_sort_config_selectorIblEEZNS1_25segmented_radix_sort_implIS3_Lb1EPKbPbPKlPlN2at6native12_GLOBAL__N_18offset_tEEE10hipError_tPvRmT1_PNSt15iterator_traitsISK_E10value_typeET2_T3_PNSL_ISQ_E10value_typeET4_jRbjT5_SW_jjP12ihipStream_tbEUlT_E1_NS1_11comp_targetILNS1_3genE2ELNS1_11target_archE906ELNS1_3gpuE6ELNS1_3repE0EEENS1_59segmented_radix_sort_warp_sort_small_config_static_selectorELNS0_4arch9wavefront6targetE0EEEvSK_.num_named_barrier, 0
	.set _ZN7rocprim17ROCPRIM_400000_NS6detail17trampoline_kernelINS0_14default_configENS1_36segmented_radix_sort_config_selectorIblEEZNS1_25segmented_radix_sort_implIS3_Lb1EPKbPbPKlPlN2at6native12_GLOBAL__N_18offset_tEEE10hipError_tPvRmT1_PNSt15iterator_traitsISK_E10value_typeET2_T3_PNSL_ISQ_E10value_typeET4_jRbjT5_SW_jjP12ihipStream_tbEUlT_E1_NS1_11comp_targetILNS1_3genE2ELNS1_11target_archE906ELNS1_3gpuE6ELNS1_3repE0EEENS1_59segmented_radix_sort_warp_sort_small_config_static_selectorELNS0_4arch9wavefront6targetE0EEEvSK_.private_seg_size, 0
	.set _ZN7rocprim17ROCPRIM_400000_NS6detail17trampoline_kernelINS0_14default_configENS1_36segmented_radix_sort_config_selectorIblEEZNS1_25segmented_radix_sort_implIS3_Lb1EPKbPbPKlPlN2at6native12_GLOBAL__N_18offset_tEEE10hipError_tPvRmT1_PNSt15iterator_traitsISK_E10value_typeET2_T3_PNSL_ISQ_E10value_typeET4_jRbjT5_SW_jjP12ihipStream_tbEUlT_E1_NS1_11comp_targetILNS1_3genE2ELNS1_11target_archE906ELNS1_3gpuE6ELNS1_3repE0EEENS1_59segmented_radix_sort_warp_sort_small_config_static_selectorELNS0_4arch9wavefront6targetE0EEEvSK_.uses_vcc, 0
	.set _ZN7rocprim17ROCPRIM_400000_NS6detail17trampoline_kernelINS0_14default_configENS1_36segmented_radix_sort_config_selectorIblEEZNS1_25segmented_radix_sort_implIS3_Lb1EPKbPbPKlPlN2at6native12_GLOBAL__N_18offset_tEEE10hipError_tPvRmT1_PNSt15iterator_traitsISK_E10value_typeET2_T3_PNSL_ISQ_E10value_typeET4_jRbjT5_SW_jjP12ihipStream_tbEUlT_E1_NS1_11comp_targetILNS1_3genE2ELNS1_11target_archE906ELNS1_3gpuE6ELNS1_3repE0EEENS1_59segmented_radix_sort_warp_sort_small_config_static_selectorELNS0_4arch9wavefront6targetE0EEEvSK_.uses_flat_scratch, 0
	.set _ZN7rocprim17ROCPRIM_400000_NS6detail17trampoline_kernelINS0_14default_configENS1_36segmented_radix_sort_config_selectorIblEEZNS1_25segmented_radix_sort_implIS3_Lb1EPKbPbPKlPlN2at6native12_GLOBAL__N_18offset_tEEE10hipError_tPvRmT1_PNSt15iterator_traitsISK_E10value_typeET2_T3_PNSL_ISQ_E10value_typeET4_jRbjT5_SW_jjP12ihipStream_tbEUlT_E1_NS1_11comp_targetILNS1_3genE2ELNS1_11target_archE906ELNS1_3gpuE6ELNS1_3repE0EEENS1_59segmented_radix_sort_warp_sort_small_config_static_selectorELNS0_4arch9wavefront6targetE0EEEvSK_.has_dyn_sized_stack, 0
	.set _ZN7rocprim17ROCPRIM_400000_NS6detail17trampoline_kernelINS0_14default_configENS1_36segmented_radix_sort_config_selectorIblEEZNS1_25segmented_radix_sort_implIS3_Lb1EPKbPbPKlPlN2at6native12_GLOBAL__N_18offset_tEEE10hipError_tPvRmT1_PNSt15iterator_traitsISK_E10value_typeET2_T3_PNSL_ISQ_E10value_typeET4_jRbjT5_SW_jjP12ihipStream_tbEUlT_E1_NS1_11comp_targetILNS1_3genE2ELNS1_11target_archE906ELNS1_3gpuE6ELNS1_3repE0EEENS1_59segmented_radix_sort_warp_sort_small_config_static_selectorELNS0_4arch9wavefront6targetE0EEEvSK_.has_recursion, 0
	.set _ZN7rocprim17ROCPRIM_400000_NS6detail17trampoline_kernelINS0_14default_configENS1_36segmented_radix_sort_config_selectorIblEEZNS1_25segmented_radix_sort_implIS3_Lb1EPKbPbPKlPlN2at6native12_GLOBAL__N_18offset_tEEE10hipError_tPvRmT1_PNSt15iterator_traitsISK_E10value_typeET2_T3_PNSL_ISQ_E10value_typeET4_jRbjT5_SW_jjP12ihipStream_tbEUlT_E1_NS1_11comp_targetILNS1_3genE2ELNS1_11target_archE906ELNS1_3gpuE6ELNS1_3repE0EEENS1_59segmented_radix_sort_warp_sort_small_config_static_selectorELNS0_4arch9wavefront6targetE0EEEvSK_.has_indirect_call, 0
	.section	.AMDGPU.csdata,"",@progbits
; Kernel info:
; codeLenInByte = 0
; TotalNumSgprs: 0
; NumVgprs: 0
; ScratchSize: 0
; MemoryBound: 0
; FloatMode: 240
; IeeeMode: 1
; LDSByteSize: 0 bytes/workgroup (compile time only)
; SGPRBlocks: 0
; VGPRBlocks: 0
; NumSGPRsForWavesPerEU: 1
; NumVGPRsForWavesPerEU: 1
; Occupancy: 16
; WaveLimiterHint : 0
; COMPUTE_PGM_RSRC2:SCRATCH_EN: 0
; COMPUTE_PGM_RSRC2:USER_SGPR: 6
; COMPUTE_PGM_RSRC2:TRAP_HANDLER: 0
; COMPUTE_PGM_RSRC2:TGID_X_EN: 1
; COMPUTE_PGM_RSRC2:TGID_Y_EN: 0
; COMPUTE_PGM_RSRC2:TGID_Z_EN: 0
; COMPUTE_PGM_RSRC2:TIDIG_COMP_CNT: 0
	.section	.text._ZN7rocprim17ROCPRIM_400000_NS6detail17trampoline_kernelINS0_14default_configENS1_36segmented_radix_sort_config_selectorIblEEZNS1_25segmented_radix_sort_implIS3_Lb1EPKbPbPKlPlN2at6native12_GLOBAL__N_18offset_tEEE10hipError_tPvRmT1_PNSt15iterator_traitsISK_E10value_typeET2_T3_PNSL_ISQ_E10value_typeET4_jRbjT5_SW_jjP12ihipStream_tbEUlT_E1_NS1_11comp_targetILNS1_3genE10ELNS1_11target_archE1201ELNS1_3gpuE5ELNS1_3repE0EEENS1_59segmented_radix_sort_warp_sort_small_config_static_selectorELNS0_4arch9wavefront6targetE0EEEvSK_,"axG",@progbits,_ZN7rocprim17ROCPRIM_400000_NS6detail17trampoline_kernelINS0_14default_configENS1_36segmented_radix_sort_config_selectorIblEEZNS1_25segmented_radix_sort_implIS3_Lb1EPKbPbPKlPlN2at6native12_GLOBAL__N_18offset_tEEE10hipError_tPvRmT1_PNSt15iterator_traitsISK_E10value_typeET2_T3_PNSL_ISQ_E10value_typeET4_jRbjT5_SW_jjP12ihipStream_tbEUlT_E1_NS1_11comp_targetILNS1_3genE10ELNS1_11target_archE1201ELNS1_3gpuE5ELNS1_3repE0EEENS1_59segmented_radix_sort_warp_sort_small_config_static_selectorELNS0_4arch9wavefront6targetE0EEEvSK_,comdat
	.globl	_ZN7rocprim17ROCPRIM_400000_NS6detail17trampoline_kernelINS0_14default_configENS1_36segmented_radix_sort_config_selectorIblEEZNS1_25segmented_radix_sort_implIS3_Lb1EPKbPbPKlPlN2at6native12_GLOBAL__N_18offset_tEEE10hipError_tPvRmT1_PNSt15iterator_traitsISK_E10value_typeET2_T3_PNSL_ISQ_E10value_typeET4_jRbjT5_SW_jjP12ihipStream_tbEUlT_E1_NS1_11comp_targetILNS1_3genE10ELNS1_11target_archE1201ELNS1_3gpuE5ELNS1_3repE0EEENS1_59segmented_radix_sort_warp_sort_small_config_static_selectorELNS0_4arch9wavefront6targetE0EEEvSK_ ; -- Begin function _ZN7rocprim17ROCPRIM_400000_NS6detail17trampoline_kernelINS0_14default_configENS1_36segmented_radix_sort_config_selectorIblEEZNS1_25segmented_radix_sort_implIS3_Lb1EPKbPbPKlPlN2at6native12_GLOBAL__N_18offset_tEEE10hipError_tPvRmT1_PNSt15iterator_traitsISK_E10value_typeET2_T3_PNSL_ISQ_E10value_typeET4_jRbjT5_SW_jjP12ihipStream_tbEUlT_E1_NS1_11comp_targetILNS1_3genE10ELNS1_11target_archE1201ELNS1_3gpuE5ELNS1_3repE0EEENS1_59segmented_radix_sort_warp_sort_small_config_static_selectorELNS0_4arch9wavefront6targetE0EEEvSK_
	.p2align	8
	.type	_ZN7rocprim17ROCPRIM_400000_NS6detail17trampoline_kernelINS0_14default_configENS1_36segmented_radix_sort_config_selectorIblEEZNS1_25segmented_radix_sort_implIS3_Lb1EPKbPbPKlPlN2at6native12_GLOBAL__N_18offset_tEEE10hipError_tPvRmT1_PNSt15iterator_traitsISK_E10value_typeET2_T3_PNSL_ISQ_E10value_typeET4_jRbjT5_SW_jjP12ihipStream_tbEUlT_E1_NS1_11comp_targetILNS1_3genE10ELNS1_11target_archE1201ELNS1_3gpuE5ELNS1_3repE0EEENS1_59segmented_radix_sort_warp_sort_small_config_static_selectorELNS0_4arch9wavefront6targetE0EEEvSK_,@function
_ZN7rocprim17ROCPRIM_400000_NS6detail17trampoline_kernelINS0_14default_configENS1_36segmented_radix_sort_config_selectorIblEEZNS1_25segmented_radix_sort_implIS3_Lb1EPKbPbPKlPlN2at6native12_GLOBAL__N_18offset_tEEE10hipError_tPvRmT1_PNSt15iterator_traitsISK_E10value_typeET2_T3_PNSL_ISQ_E10value_typeET4_jRbjT5_SW_jjP12ihipStream_tbEUlT_E1_NS1_11comp_targetILNS1_3genE10ELNS1_11target_archE1201ELNS1_3gpuE5ELNS1_3repE0EEENS1_59segmented_radix_sort_warp_sort_small_config_static_selectorELNS0_4arch9wavefront6targetE0EEEvSK_: ; @_ZN7rocprim17ROCPRIM_400000_NS6detail17trampoline_kernelINS0_14default_configENS1_36segmented_radix_sort_config_selectorIblEEZNS1_25segmented_radix_sort_implIS3_Lb1EPKbPbPKlPlN2at6native12_GLOBAL__N_18offset_tEEE10hipError_tPvRmT1_PNSt15iterator_traitsISK_E10value_typeET2_T3_PNSL_ISQ_E10value_typeET4_jRbjT5_SW_jjP12ihipStream_tbEUlT_E1_NS1_11comp_targetILNS1_3genE10ELNS1_11target_archE1201ELNS1_3gpuE5ELNS1_3repE0EEENS1_59segmented_radix_sort_warp_sort_small_config_static_selectorELNS0_4arch9wavefront6targetE0EEEvSK_
; %bb.0:
	.section	.rodata,"a",@progbits
	.p2align	6, 0x0
	.amdhsa_kernel _ZN7rocprim17ROCPRIM_400000_NS6detail17trampoline_kernelINS0_14default_configENS1_36segmented_radix_sort_config_selectorIblEEZNS1_25segmented_radix_sort_implIS3_Lb1EPKbPbPKlPlN2at6native12_GLOBAL__N_18offset_tEEE10hipError_tPvRmT1_PNSt15iterator_traitsISK_E10value_typeET2_T3_PNSL_ISQ_E10value_typeET4_jRbjT5_SW_jjP12ihipStream_tbEUlT_E1_NS1_11comp_targetILNS1_3genE10ELNS1_11target_archE1201ELNS1_3gpuE5ELNS1_3repE0EEENS1_59segmented_radix_sort_warp_sort_small_config_static_selectorELNS0_4arch9wavefront6targetE0EEEvSK_
		.amdhsa_group_segment_fixed_size 0
		.amdhsa_private_segment_fixed_size 0
		.amdhsa_kernarg_size 88
		.amdhsa_user_sgpr_count 6
		.amdhsa_user_sgpr_private_segment_buffer 1
		.amdhsa_user_sgpr_dispatch_ptr 0
		.amdhsa_user_sgpr_queue_ptr 0
		.amdhsa_user_sgpr_kernarg_segment_ptr 1
		.amdhsa_user_sgpr_dispatch_id 0
		.amdhsa_user_sgpr_flat_scratch_init 0
		.amdhsa_user_sgpr_private_segment_size 0
		.amdhsa_wavefront_size32 1
		.amdhsa_uses_dynamic_stack 0
		.amdhsa_system_sgpr_private_segment_wavefront_offset 0
		.amdhsa_system_sgpr_workgroup_id_x 1
		.amdhsa_system_sgpr_workgroup_id_y 0
		.amdhsa_system_sgpr_workgroup_id_z 0
		.amdhsa_system_sgpr_workgroup_info 0
		.amdhsa_system_vgpr_workitem_id 0
		.amdhsa_next_free_vgpr 1
		.amdhsa_next_free_sgpr 1
		.amdhsa_reserve_vcc 0
		.amdhsa_reserve_flat_scratch 0
		.amdhsa_float_round_mode_32 0
		.amdhsa_float_round_mode_16_64 0
		.amdhsa_float_denorm_mode_32 3
		.amdhsa_float_denorm_mode_16_64 3
		.amdhsa_dx10_clamp 1
		.amdhsa_ieee_mode 1
		.amdhsa_fp16_overflow 0
		.amdhsa_workgroup_processor_mode 1
		.amdhsa_memory_ordered 1
		.amdhsa_forward_progress 1
		.amdhsa_shared_vgpr_count 0
		.amdhsa_exception_fp_ieee_invalid_op 0
		.amdhsa_exception_fp_denorm_src 0
		.amdhsa_exception_fp_ieee_div_zero 0
		.amdhsa_exception_fp_ieee_overflow 0
		.amdhsa_exception_fp_ieee_underflow 0
		.amdhsa_exception_fp_ieee_inexact 0
		.amdhsa_exception_int_div_zero 0
	.end_amdhsa_kernel
	.section	.text._ZN7rocprim17ROCPRIM_400000_NS6detail17trampoline_kernelINS0_14default_configENS1_36segmented_radix_sort_config_selectorIblEEZNS1_25segmented_radix_sort_implIS3_Lb1EPKbPbPKlPlN2at6native12_GLOBAL__N_18offset_tEEE10hipError_tPvRmT1_PNSt15iterator_traitsISK_E10value_typeET2_T3_PNSL_ISQ_E10value_typeET4_jRbjT5_SW_jjP12ihipStream_tbEUlT_E1_NS1_11comp_targetILNS1_3genE10ELNS1_11target_archE1201ELNS1_3gpuE5ELNS1_3repE0EEENS1_59segmented_radix_sort_warp_sort_small_config_static_selectorELNS0_4arch9wavefront6targetE0EEEvSK_,"axG",@progbits,_ZN7rocprim17ROCPRIM_400000_NS6detail17trampoline_kernelINS0_14default_configENS1_36segmented_radix_sort_config_selectorIblEEZNS1_25segmented_radix_sort_implIS3_Lb1EPKbPbPKlPlN2at6native12_GLOBAL__N_18offset_tEEE10hipError_tPvRmT1_PNSt15iterator_traitsISK_E10value_typeET2_T3_PNSL_ISQ_E10value_typeET4_jRbjT5_SW_jjP12ihipStream_tbEUlT_E1_NS1_11comp_targetILNS1_3genE10ELNS1_11target_archE1201ELNS1_3gpuE5ELNS1_3repE0EEENS1_59segmented_radix_sort_warp_sort_small_config_static_selectorELNS0_4arch9wavefront6targetE0EEEvSK_,comdat
.Lfunc_end1549:
	.size	_ZN7rocprim17ROCPRIM_400000_NS6detail17trampoline_kernelINS0_14default_configENS1_36segmented_radix_sort_config_selectorIblEEZNS1_25segmented_radix_sort_implIS3_Lb1EPKbPbPKlPlN2at6native12_GLOBAL__N_18offset_tEEE10hipError_tPvRmT1_PNSt15iterator_traitsISK_E10value_typeET2_T3_PNSL_ISQ_E10value_typeET4_jRbjT5_SW_jjP12ihipStream_tbEUlT_E1_NS1_11comp_targetILNS1_3genE10ELNS1_11target_archE1201ELNS1_3gpuE5ELNS1_3repE0EEENS1_59segmented_radix_sort_warp_sort_small_config_static_selectorELNS0_4arch9wavefront6targetE0EEEvSK_, .Lfunc_end1549-_ZN7rocprim17ROCPRIM_400000_NS6detail17trampoline_kernelINS0_14default_configENS1_36segmented_radix_sort_config_selectorIblEEZNS1_25segmented_radix_sort_implIS3_Lb1EPKbPbPKlPlN2at6native12_GLOBAL__N_18offset_tEEE10hipError_tPvRmT1_PNSt15iterator_traitsISK_E10value_typeET2_T3_PNSL_ISQ_E10value_typeET4_jRbjT5_SW_jjP12ihipStream_tbEUlT_E1_NS1_11comp_targetILNS1_3genE10ELNS1_11target_archE1201ELNS1_3gpuE5ELNS1_3repE0EEENS1_59segmented_radix_sort_warp_sort_small_config_static_selectorELNS0_4arch9wavefront6targetE0EEEvSK_
                                        ; -- End function
	.set _ZN7rocprim17ROCPRIM_400000_NS6detail17trampoline_kernelINS0_14default_configENS1_36segmented_radix_sort_config_selectorIblEEZNS1_25segmented_radix_sort_implIS3_Lb1EPKbPbPKlPlN2at6native12_GLOBAL__N_18offset_tEEE10hipError_tPvRmT1_PNSt15iterator_traitsISK_E10value_typeET2_T3_PNSL_ISQ_E10value_typeET4_jRbjT5_SW_jjP12ihipStream_tbEUlT_E1_NS1_11comp_targetILNS1_3genE10ELNS1_11target_archE1201ELNS1_3gpuE5ELNS1_3repE0EEENS1_59segmented_radix_sort_warp_sort_small_config_static_selectorELNS0_4arch9wavefront6targetE0EEEvSK_.num_vgpr, 0
	.set _ZN7rocprim17ROCPRIM_400000_NS6detail17trampoline_kernelINS0_14default_configENS1_36segmented_radix_sort_config_selectorIblEEZNS1_25segmented_radix_sort_implIS3_Lb1EPKbPbPKlPlN2at6native12_GLOBAL__N_18offset_tEEE10hipError_tPvRmT1_PNSt15iterator_traitsISK_E10value_typeET2_T3_PNSL_ISQ_E10value_typeET4_jRbjT5_SW_jjP12ihipStream_tbEUlT_E1_NS1_11comp_targetILNS1_3genE10ELNS1_11target_archE1201ELNS1_3gpuE5ELNS1_3repE0EEENS1_59segmented_radix_sort_warp_sort_small_config_static_selectorELNS0_4arch9wavefront6targetE0EEEvSK_.num_agpr, 0
	.set _ZN7rocprim17ROCPRIM_400000_NS6detail17trampoline_kernelINS0_14default_configENS1_36segmented_radix_sort_config_selectorIblEEZNS1_25segmented_radix_sort_implIS3_Lb1EPKbPbPKlPlN2at6native12_GLOBAL__N_18offset_tEEE10hipError_tPvRmT1_PNSt15iterator_traitsISK_E10value_typeET2_T3_PNSL_ISQ_E10value_typeET4_jRbjT5_SW_jjP12ihipStream_tbEUlT_E1_NS1_11comp_targetILNS1_3genE10ELNS1_11target_archE1201ELNS1_3gpuE5ELNS1_3repE0EEENS1_59segmented_radix_sort_warp_sort_small_config_static_selectorELNS0_4arch9wavefront6targetE0EEEvSK_.numbered_sgpr, 0
	.set _ZN7rocprim17ROCPRIM_400000_NS6detail17trampoline_kernelINS0_14default_configENS1_36segmented_radix_sort_config_selectorIblEEZNS1_25segmented_radix_sort_implIS3_Lb1EPKbPbPKlPlN2at6native12_GLOBAL__N_18offset_tEEE10hipError_tPvRmT1_PNSt15iterator_traitsISK_E10value_typeET2_T3_PNSL_ISQ_E10value_typeET4_jRbjT5_SW_jjP12ihipStream_tbEUlT_E1_NS1_11comp_targetILNS1_3genE10ELNS1_11target_archE1201ELNS1_3gpuE5ELNS1_3repE0EEENS1_59segmented_radix_sort_warp_sort_small_config_static_selectorELNS0_4arch9wavefront6targetE0EEEvSK_.num_named_barrier, 0
	.set _ZN7rocprim17ROCPRIM_400000_NS6detail17trampoline_kernelINS0_14default_configENS1_36segmented_radix_sort_config_selectorIblEEZNS1_25segmented_radix_sort_implIS3_Lb1EPKbPbPKlPlN2at6native12_GLOBAL__N_18offset_tEEE10hipError_tPvRmT1_PNSt15iterator_traitsISK_E10value_typeET2_T3_PNSL_ISQ_E10value_typeET4_jRbjT5_SW_jjP12ihipStream_tbEUlT_E1_NS1_11comp_targetILNS1_3genE10ELNS1_11target_archE1201ELNS1_3gpuE5ELNS1_3repE0EEENS1_59segmented_radix_sort_warp_sort_small_config_static_selectorELNS0_4arch9wavefront6targetE0EEEvSK_.private_seg_size, 0
	.set _ZN7rocprim17ROCPRIM_400000_NS6detail17trampoline_kernelINS0_14default_configENS1_36segmented_radix_sort_config_selectorIblEEZNS1_25segmented_radix_sort_implIS3_Lb1EPKbPbPKlPlN2at6native12_GLOBAL__N_18offset_tEEE10hipError_tPvRmT1_PNSt15iterator_traitsISK_E10value_typeET2_T3_PNSL_ISQ_E10value_typeET4_jRbjT5_SW_jjP12ihipStream_tbEUlT_E1_NS1_11comp_targetILNS1_3genE10ELNS1_11target_archE1201ELNS1_3gpuE5ELNS1_3repE0EEENS1_59segmented_radix_sort_warp_sort_small_config_static_selectorELNS0_4arch9wavefront6targetE0EEEvSK_.uses_vcc, 0
	.set _ZN7rocprim17ROCPRIM_400000_NS6detail17trampoline_kernelINS0_14default_configENS1_36segmented_radix_sort_config_selectorIblEEZNS1_25segmented_radix_sort_implIS3_Lb1EPKbPbPKlPlN2at6native12_GLOBAL__N_18offset_tEEE10hipError_tPvRmT1_PNSt15iterator_traitsISK_E10value_typeET2_T3_PNSL_ISQ_E10value_typeET4_jRbjT5_SW_jjP12ihipStream_tbEUlT_E1_NS1_11comp_targetILNS1_3genE10ELNS1_11target_archE1201ELNS1_3gpuE5ELNS1_3repE0EEENS1_59segmented_radix_sort_warp_sort_small_config_static_selectorELNS0_4arch9wavefront6targetE0EEEvSK_.uses_flat_scratch, 0
	.set _ZN7rocprim17ROCPRIM_400000_NS6detail17trampoline_kernelINS0_14default_configENS1_36segmented_radix_sort_config_selectorIblEEZNS1_25segmented_radix_sort_implIS3_Lb1EPKbPbPKlPlN2at6native12_GLOBAL__N_18offset_tEEE10hipError_tPvRmT1_PNSt15iterator_traitsISK_E10value_typeET2_T3_PNSL_ISQ_E10value_typeET4_jRbjT5_SW_jjP12ihipStream_tbEUlT_E1_NS1_11comp_targetILNS1_3genE10ELNS1_11target_archE1201ELNS1_3gpuE5ELNS1_3repE0EEENS1_59segmented_radix_sort_warp_sort_small_config_static_selectorELNS0_4arch9wavefront6targetE0EEEvSK_.has_dyn_sized_stack, 0
	.set _ZN7rocprim17ROCPRIM_400000_NS6detail17trampoline_kernelINS0_14default_configENS1_36segmented_radix_sort_config_selectorIblEEZNS1_25segmented_radix_sort_implIS3_Lb1EPKbPbPKlPlN2at6native12_GLOBAL__N_18offset_tEEE10hipError_tPvRmT1_PNSt15iterator_traitsISK_E10value_typeET2_T3_PNSL_ISQ_E10value_typeET4_jRbjT5_SW_jjP12ihipStream_tbEUlT_E1_NS1_11comp_targetILNS1_3genE10ELNS1_11target_archE1201ELNS1_3gpuE5ELNS1_3repE0EEENS1_59segmented_radix_sort_warp_sort_small_config_static_selectorELNS0_4arch9wavefront6targetE0EEEvSK_.has_recursion, 0
	.set _ZN7rocprim17ROCPRIM_400000_NS6detail17trampoline_kernelINS0_14default_configENS1_36segmented_radix_sort_config_selectorIblEEZNS1_25segmented_radix_sort_implIS3_Lb1EPKbPbPKlPlN2at6native12_GLOBAL__N_18offset_tEEE10hipError_tPvRmT1_PNSt15iterator_traitsISK_E10value_typeET2_T3_PNSL_ISQ_E10value_typeET4_jRbjT5_SW_jjP12ihipStream_tbEUlT_E1_NS1_11comp_targetILNS1_3genE10ELNS1_11target_archE1201ELNS1_3gpuE5ELNS1_3repE0EEENS1_59segmented_radix_sort_warp_sort_small_config_static_selectorELNS0_4arch9wavefront6targetE0EEEvSK_.has_indirect_call, 0
	.section	.AMDGPU.csdata,"",@progbits
; Kernel info:
; codeLenInByte = 0
; TotalNumSgprs: 0
; NumVgprs: 0
; ScratchSize: 0
; MemoryBound: 0
; FloatMode: 240
; IeeeMode: 1
; LDSByteSize: 0 bytes/workgroup (compile time only)
; SGPRBlocks: 0
; VGPRBlocks: 0
; NumSGPRsForWavesPerEU: 1
; NumVGPRsForWavesPerEU: 1
; Occupancy: 16
; WaveLimiterHint : 0
; COMPUTE_PGM_RSRC2:SCRATCH_EN: 0
; COMPUTE_PGM_RSRC2:USER_SGPR: 6
; COMPUTE_PGM_RSRC2:TRAP_HANDLER: 0
; COMPUTE_PGM_RSRC2:TGID_X_EN: 1
; COMPUTE_PGM_RSRC2:TGID_Y_EN: 0
; COMPUTE_PGM_RSRC2:TGID_Z_EN: 0
; COMPUTE_PGM_RSRC2:TIDIG_COMP_CNT: 0
	.section	.text._ZN7rocprim17ROCPRIM_400000_NS6detail17trampoline_kernelINS0_14default_configENS1_36segmented_radix_sort_config_selectorIblEEZNS1_25segmented_radix_sort_implIS3_Lb1EPKbPbPKlPlN2at6native12_GLOBAL__N_18offset_tEEE10hipError_tPvRmT1_PNSt15iterator_traitsISK_E10value_typeET2_T3_PNSL_ISQ_E10value_typeET4_jRbjT5_SW_jjP12ihipStream_tbEUlT_E1_NS1_11comp_targetILNS1_3genE10ELNS1_11target_archE1200ELNS1_3gpuE4ELNS1_3repE0EEENS1_59segmented_radix_sort_warp_sort_small_config_static_selectorELNS0_4arch9wavefront6targetE0EEEvSK_,"axG",@progbits,_ZN7rocprim17ROCPRIM_400000_NS6detail17trampoline_kernelINS0_14default_configENS1_36segmented_radix_sort_config_selectorIblEEZNS1_25segmented_radix_sort_implIS3_Lb1EPKbPbPKlPlN2at6native12_GLOBAL__N_18offset_tEEE10hipError_tPvRmT1_PNSt15iterator_traitsISK_E10value_typeET2_T3_PNSL_ISQ_E10value_typeET4_jRbjT5_SW_jjP12ihipStream_tbEUlT_E1_NS1_11comp_targetILNS1_3genE10ELNS1_11target_archE1200ELNS1_3gpuE4ELNS1_3repE0EEENS1_59segmented_radix_sort_warp_sort_small_config_static_selectorELNS0_4arch9wavefront6targetE0EEEvSK_,comdat
	.globl	_ZN7rocprim17ROCPRIM_400000_NS6detail17trampoline_kernelINS0_14default_configENS1_36segmented_radix_sort_config_selectorIblEEZNS1_25segmented_radix_sort_implIS3_Lb1EPKbPbPKlPlN2at6native12_GLOBAL__N_18offset_tEEE10hipError_tPvRmT1_PNSt15iterator_traitsISK_E10value_typeET2_T3_PNSL_ISQ_E10value_typeET4_jRbjT5_SW_jjP12ihipStream_tbEUlT_E1_NS1_11comp_targetILNS1_3genE10ELNS1_11target_archE1200ELNS1_3gpuE4ELNS1_3repE0EEENS1_59segmented_radix_sort_warp_sort_small_config_static_selectorELNS0_4arch9wavefront6targetE0EEEvSK_ ; -- Begin function _ZN7rocprim17ROCPRIM_400000_NS6detail17trampoline_kernelINS0_14default_configENS1_36segmented_radix_sort_config_selectorIblEEZNS1_25segmented_radix_sort_implIS3_Lb1EPKbPbPKlPlN2at6native12_GLOBAL__N_18offset_tEEE10hipError_tPvRmT1_PNSt15iterator_traitsISK_E10value_typeET2_T3_PNSL_ISQ_E10value_typeET4_jRbjT5_SW_jjP12ihipStream_tbEUlT_E1_NS1_11comp_targetILNS1_3genE10ELNS1_11target_archE1200ELNS1_3gpuE4ELNS1_3repE0EEENS1_59segmented_radix_sort_warp_sort_small_config_static_selectorELNS0_4arch9wavefront6targetE0EEEvSK_
	.p2align	8
	.type	_ZN7rocprim17ROCPRIM_400000_NS6detail17trampoline_kernelINS0_14default_configENS1_36segmented_radix_sort_config_selectorIblEEZNS1_25segmented_radix_sort_implIS3_Lb1EPKbPbPKlPlN2at6native12_GLOBAL__N_18offset_tEEE10hipError_tPvRmT1_PNSt15iterator_traitsISK_E10value_typeET2_T3_PNSL_ISQ_E10value_typeET4_jRbjT5_SW_jjP12ihipStream_tbEUlT_E1_NS1_11comp_targetILNS1_3genE10ELNS1_11target_archE1200ELNS1_3gpuE4ELNS1_3repE0EEENS1_59segmented_radix_sort_warp_sort_small_config_static_selectorELNS0_4arch9wavefront6targetE0EEEvSK_,@function
_ZN7rocprim17ROCPRIM_400000_NS6detail17trampoline_kernelINS0_14default_configENS1_36segmented_radix_sort_config_selectorIblEEZNS1_25segmented_radix_sort_implIS3_Lb1EPKbPbPKlPlN2at6native12_GLOBAL__N_18offset_tEEE10hipError_tPvRmT1_PNSt15iterator_traitsISK_E10value_typeET2_T3_PNSL_ISQ_E10value_typeET4_jRbjT5_SW_jjP12ihipStream_tbEUlT_E1_NS1_11comp_targetILNS1_3genE10ELNS1_11target_archE1200ELNS1_3gpuE4ELNS1_3repE0EEENS1_59segmented_radix_sort_warp_sort_small_config_static_selectorELNS0_4arch9wavefront6targetE0EEEvSK_: ; @_ZN7rocprim17ROCPRIM_400000_NS6detail17trampoline_kernelINS0_14default_configENS1_36segmented_radix_sort_config_selectorIblEEZNS1_25segmented_radix_sort_implIS3_Lb1EPKbPbPKlPlN2at6native12_GLOBAL__N_18offset_tEEE10hipError_tPvRmT1_PNSt15iterator_traitsISK_E10value_typeET2_T3_PNSL_ISQ_E10value_typeET4_jRbjT5_SW_jjP12ihipStream_tbEUlT_E1_NS1_11comp_targetILNS1_3genE10ELNS1_11target_archE1200ELNS1_3gpuE4ELNS1_3repE0EEENS1_59segmented_radix_sort_warp_sort_small_config_static_selectorELNS0_4arch9wavefront6targetE0EEEvSK_
; %bb.0:
	.section	.rodata,"a",@progbits
	.p2align	6, 0x0
	.amdhsa_kernel _ZN7rocprim17ROCPRIM_400000_NS6detail17trampoline_kernelINS0_14default_configENS1_36segmented_radix_sort_config_selectorIblEEZNS1_25segmented_radix_sort_implIS3_Lb1EPKbPbPKlPlN2at6native12_GLOBAL__N_18offset_tEEE10hipError_tPvRmT1_PNSt15iterator_traitsISK_E10value_typeET2_T3_PNSL_ISQ_E10value_typeET4_jRbjT5_SW_jjP12ihipStream_tbEUlT_E1_NS1_11comp_targetILNS1_3genE10ELNS1_11target_archE1200ELNS1_3gpuE4ELNS1_3repE0EEENS1_59segmented_radix_sort_warp_sort_small_config_static_selectorELNS0_4arch9wavefront6targetE0EEEvSK_
		.amdhsa_group_segment_fixed_size 0
		.amdhsa_private_segment_fixed_size 0
		.amdhsa_kernarg_size 88
		.amdhsa_user_sgpr_count 6
		.amdhsa_user_sgpr_private_segment_buffer 1
		.amdhsa_user_sgpr_dispatch_ptr 0
		.amdhsa_user_sgpr_queue_ptr 0
		.amdhsa_user_sgpr_kernarg_segment_ptr 1
		.amdhsa_user_sgpr_dispatch_id 0
		.amdhsa_user_sgpr_flat_scratch_init 0
		.amdhsa_user_sgpr_private_segment_size 0
		.amdhsa_wavefront_size32 1
		.amdhsa_uses_dynamic_stack 0
		.amdhsa_system_sgpr_private_segment_wavefront_offset 0
		.amdhsa_system_sgpr_workgroup_id_x 1
		.amdhsa_system_sgpr_workgroup_id_y 0
		.amdhsa_system_sgpr_workgroup_id_z 0
		.amdhsa_system_sgpr_workgroup_info 0
		.amdhsa_system_vgpr_workitem_id 0
		.amdhsa_next_free_vgpr 1
		.amdhsa_next_free_sgpr 1
		.amdhsa_reserve_vcc 0
		.amdhsa_reserve_flat_scratch 0
		.amdhsa_float_round_mode_32 0
		.amdhsa_float_round_mode_16_64 0
		.amdhsa_float_denorm_mode_32 3
		.amdhsa_float_denorm_mode_16_64 3
		.amdhsa_dx10_clamp 1
		.amdhsa_ieee_mode 1
		.amdhsa_fp16_overflow 0
		.amdhsa_workgroup_processor_mode 1
		.amdhsa_memory_ordered 1
		.amdhsa_forward_progress 1
		.amdhsa_shared_vgpr_count 0
		.amdhsa_exception_fp_ieee_invalid_op 0
		.amdhsa_exception_fp_denorm_src 0
		.amdhsa_exception_fp_ieee_div_zero 0
		.amdhsa_exception_fp_ieee_overflow 0
		.amdhsa_exception_fp_ieee_underflow 0
		.amdhsa_exception_fp_ieee_inexact 0
		.amdhsa_exception_int_div_zero 0
	.end_amdhsa_kernel
	.section	.text._ZN7rocprim17ROCPRIM_400000_NS6detail17trampoline_kernelINS0_14default_configENS1_36segmented_radix_sort_config_selectorIblEEZNS1_25segmented_radix_sort_implIS3_Lb1EPKbPbPKlPlN2at6native12_GLOBAL__N_18offset_tEEE10hipError_tPvRmT1_PNSt15iterator_traitsISK_E10value_typeET2_T3_PNSL_ISQ_E10value_typeET4_jRbjT5_SW_jjP12ihipStream_tbEUlT_E1_NS1_11comp_targetILNS1_3genE10ELNS1_11target_archE1200ELNS1_3gpuE4ELNS1_3repE0EEENS1_59segmented_radix_sort_warp_sort_small_config_static_selectorELNS0_4arch9wavefront6targetE0EEEvSK_,"axG",@progbits,_ZN7rocprim17ROCPRIM_400000_NS6detail17trampoline_kernelINS0_14default_configENS1_36segmented_radix_sort_config_selectorIblEEZNS1_25segmented_radix_sort_implIS3_Lb1EPKbPbPKlPlN2at6native12_GLOBAL__N_18offset_tEEE10hipError_tPvRmT1_PNSt15iterator_traitsISK_E10value_typeET2_T3_PNSL_ISQ_E10value_typeET4_jRbjT5_SW_jjP12ihipStream_tbEUlT_E1_NS1_11comp_targetILNS1_3genE10ELNS1_11target_archE1200ELNS1_3gpuE4ELNS1_3repE0EEENS1_59segmented_radix_sort_warp_sort_small_config_static_selectorELNS0_4arch9wavefront6targetE0EEEvSK_,comdat
.Lfunc_end1550:
	.size	_ZN7rocprim17ROCPRIM_400000_NS6detail17trampoline_kernelINS0_14default_configENS1_36segmented_radix_sort_config_selectorIblEEZNS1_25segmented_radix_sort_implIS3_Lb1EPKbPbPKlPlN2at6native12_GLOBAL__N_18offset_tEEE10hipError_tPvRmT1_PNSt15iterator_traitsISK_E10value_typeET2_T3_PNSL_ISQ_E10value_typeET4_jRbjT5_SW_jjP12ihipStream_tbEUlT_E1_NS1_11comp_targetILNS1_3genE10ELNS1_11target_archE1200ELNS1_3gpuE4ELNS1_3repE0EEENS1_59segmented_radix_sort_warp_sort_small_config_static_selectorELNS0_4arch9wavefront6targetE0EEEvSK_, .Lfunc_end1550-_ZN7rocprim17ROCPRIM_400000_NS6detail17trampoline_kernelINS0_14default_configENS1_36segmented_radix_sort_config_selectorIblEEZNS1_25segmented_radix_sort_implIS3_Lb1EPKbPbPKlPlN2at6native12_GLOBAL__N_18offset_tEEE10hipError_tPvRmT1_PNSt15iterator_traitsISK_E10value_typeET2_T3_PNSL_ISQ_E10value_typeET4_jRbjT5_SW_jjP12ihipStream_tbEUlT_E1_NS1_11comp_targetILNS1_3genE10ELNS1_11target_archE1200ELNS1_3gpuE4ELNS1_3repE0EEENS1_59segmented_radix_sort_warp_sort_small_config_static_selectorELNS0_4arch9wavefront6targetE0EEEvSK_
                                        ; -- End function
	.set _ZN7rocprim17ROCPRIM_400000_NS6detail17trampoline_kernelINS0_14default_configENS1_36segmented_radix_sort_config_selectorIblEEZNS1_25segmented_radix_sort_implIS3_Lb1EPKbPbPKlPlN2at6native12_GLOBAL__N_18offset_tEEE10hipError_tPvRmT1_PNSt15iterator_traitsISK_E10value_typeET2_T3_PNSL_ISQ_E10value_typeET4_jRbjT5_SW_jjP12ihipStream_tbEUlT_E1_NS1_11comp_targetILNS1_3genE10ELNS1_11target_archE1200ELNS1_3gpuE4ELNS1_3repE0EEENS1_59segmented_radix_sort_warp_sort_small_config_static_selectorELNS0_4arch9wavefront6targetE0EEEvSK_.num_vgpr, 0
	.set _ZN7rocprim17ROCPRIM_400000_NS6detail17trampoline_kernelINS0_14default_configENS1_36segmented_radix_sort_config_selectorIblEEZNS1_25segmented_radix_sort_implIS3_Lb1EPKbPbPKlPlN2at6native12_GLOBAL__N_18offset_tEEE10hipError_tPvRmT1_PNSt15iterator_traitsISK_E10value_typeET2_T3_PNSL_ISQ_E10value_typeET4_jRbjT5_SW_jjP12ihipStream_tbEUlT_E1_NS1_11comp_targetILNS1_3genE10ELNS1_11target_archE1200ELNS1_3gpuE4ELNS1_3repE0EEENS1_59segmented_radix_sort_warp_sort_small_config_static_selectorELNS0_4arch9wavefront6targetE0EEEvSK_.num_agpr, 0
	.set _ZN7rocprim17ROCPRIM_400000_NS6detail17trampoline_kernelINS0_14default_configENS1_36segmented_radix_sort_config_selectorIblEEZNS1_25segmented_radix_sort_implIS3_Lb1EPKbPbPKlPlN2at6native12_GLOBAL__N_18offset_tEEE10hipError_tPvRmT1_PNSt15iterator_traitsISK_E10value_typeET2_T3_PNSL_ISQ_E10value_typeET4_jRbjT5_SW_jjP12ihipStream_tbEUlT_E1_NS1_11comp_targetILNS1_3genE10ELNS1_11target_archE1200ELNS1_3gpuE4ELNS1_3repE0EEENS1_59segmented_radix_sort_warp_sort_small_config_static_selectorELNS0_4arch9wavefront6targetE0EEEvSK_.numbered_sgpr, 0
	.set _ZN7rocprim17ROCPRIM_400000_NS6detail17trampoline_kernelINS0_14default_configENS1_36segmented_radix_sort_config_selectorIblEEZNS1_25segmented_radix_sort_implIS3_Lb1EPKbPbPKlPlN2at6native12_GLOBAL__N_18offset_tEEE10hipError_tPvRmT1_PNSt15iterator_traitsISK_E10value_typeET2_T3_PNSL_ISQ_E10value_typeET4_jRbjT5_SW_jjP12ihipStream_tbEUlT_E1_NS1_11comp_targetILNS1_3genE10ELNS1_11target_archE1200ELNS1_3gpuE4ELNS1_3repE0EEENS1_59segmented_radix_sort_warp_sort_small_config_static_selectorELNS0_4arch9wavefront6targetE0EEEvSK_.num_named_barrier, 0
	.set _ZN7rocprim17ROCPRIM_400000_NS6detail17trampoline_kernelINS0_14default_configENS1_36segmented_radix_sort_config_selectorIblEEZNS1_25segmented_radix_sort_implIS3_Lb1EPKbPbPKlPlN2at6native12_GLOBAL__N_18offset_tEEE10hipError_tPvRmT1_PNSt15iterator_traitsISK_E10value_typeET2_T3_PNSL_ISQ_E10value_typeET4_jRbjT5_SW_jjP12ihipStream_tbEUlT_E1_NS1_11comp_targetILNS1_3genE10ELNS1_11target_archE1200ELNS1_3gpuE4ELNS1_3repE0EEENS1_59segmented_radix_sort_warp_sort_small_config_static_selectorELNS0_4arch9wavefront6targetE0EEEvSK_.private_seg_size, 0
	.set _ZN7rocprim17ROCPRIM_400000_NS6detail17trampoline_kernelINS0_14default_configENS1_36segmented_radix_sort_config_selectorIblEEZNS1_25segmented_radix_sort_implIS3_Lb1EPKbPbPKlPlN2at6native12_GLOBAL__N_18offset_tEEE10hipError_tPvRmT1_PNSt15iterator_traitsISK_E10value_typeET2_T3_PNSL_ISQ_E10value_typeET4_jRbjT5_SW_jjP12ihipStream_tbEUlT_E1_NS1_11comp_targetILNS1_3genE10ELNS1_11target_archE1200ELNS1_3gpuE4ELNS1_3repE0EEENS1_59segmented_radix_sort_warp_sort_small_config_static_selectorELNS0_4arch9wavefront6targetE0EEEvSK_.uses_vcc, 0
	.set _ZN7rocprim17ROCPRIM_400000_NS6detail17trampoline_kernelINS0_14default_configENS1_36segmented_radix_sort_config_selectorIblEEZNS1_25segmented_radix_sort_implIS3_Lb1EPKbPbPKlPlN2at6native12_GLOBAL__N_18offset_tEEE10hipError_tPvRmT1_PNSt15iterator_traitsISK_E10value_typeET2_T3_PNSL_ISQ_E10value_typeET4_jRbjT5_SW_jjP12ihipStream_tbEUlT_E1_NS1_11comp_targetILNS1_3genE10ELNS1_11target_archE1200ELNS1_3gpuE4ELNS1_3repE0EEENS1_59segmented_radix_sort_warp_sort_small_config_static_selectorELNS0_4arch9wavefront6targetE0EEEvSK_.uses_flat_scratch, 0
	.set _ZN7rocprim17ROCPRIM_400000_NS6detail17trampoline_kernelINS0_14default_configENS1_36segmented_radix_sort_config_selectorIblEEZNS1_25segmented_radix_sort_implIS3_Lb1EPKbPbPKlPlN2at6native12_GLOBAL__N_18offset_tEEE10hipError_tPvRmT1_PNSt15iterator_traitsISK_E10value_typeET2_T3_PNSL_ISQ_E10value_typeET4_jRbjT5_SW_jjP12ihipStream_tbEUlT_E1_NS1_11comp_targetILNS1_3genE10ELNS1_11target_archE1200ELNS1_3gpuE4ELNS1_3repE0EEENS1_59segmented_radix_sort_warp_sort_small_config_static_selectorELNS0_4arch9wavefront6targetE0EEEvSK_.has_dyn_sized_stack, 0
	.set _ZN7rocprim17ROCPRIM_400000_NS6detail17trampoline_kernelINS0_14default_configENS1_36segmented_radix_sort_config_selectorIblEEZNS1_25segmented_radix_sort_implIS3_Lb1EPKbPbPKlPlN2at6native12_GLOBAL__N_18offset_tEEE10hipError_tPvRmT1_PNSt15iterator_traitsISK_E10value_typeET2_T3_PNSL_ISQ_E10value_typeET4_jRbjT5_SW_jjP12ihipStream_tbEUlT_E1_NS1_11comp_targetILNS1_3genE10ELNS1_11target_archE1200ELNS1_3gpuE4ELNS1_3repE0EEENS1_59segmented_radix_sort_warp_sort_small_config_static_selectorELNS0_4arch9wavefront6targetE0EEEvSK_.has_recursion, 0
	.set _ZN7rocprim17ROCPRIM_400000_NS6detail17trampoline_kernelINS0_14default_configENS1_36segmented_radix_sort_config_selectorIblEEZNS1_25segmented_radix_sort_implIS3_Lb1EPKbPbPKlPlN2at6native12_GLOBAL__N_18offset_tEEE10hipError_tPvRmT1_PNSt15iterator_traitsISK_E10value_typeET2_T3_PNSL_ISQ_E10value_typeET4_jRbjT5_SW_jjP12ihipStream_tbEUlT_E1_NS1_11comp_targetILNS1_3genE10ELNS1_11target_archE1200ELNS1_3gpuE4ELNS1_3repE0EEENS1_59segmented_radix_sort_warp_sort_small_config_static_selectorELNS0_4arch9wavefront6targetE0EEEvSK_.has_indirect_call, 0
	.section	.AMDGPU.csdata,"",@progbits
; Kernel info:
; codeLenInByte = 0
; TotalNumSgprs: 0
; NumVgprs: 0
; ScratchSize: 0
; MemoryBound: 0
; FloatMode: 240
; IeeeMode: 1
; LDSByteSize: 0 bytes/workgroup (compile time only)
; SGPRBlocks: 0
; VGPRBlocks: 0
; NumSGPRsForWavesPerEU: 1
; NumVGPRsForWavesPerEU: 1
; Occupancy: 16
; WaveLimiterHint : 0
; COMPUTE_PGM_RSRC2:SCRATCH_EN: 0
; COMPUTE_PGM_RSRC2:USER_SGPR: 6
; COMPUTE_PGM_RSRC2:TRAP_HANDLER: 0
; COMPUTE_PGM_RSRC2:TGID_X_EN: 1
; COMPUTE_PGM_RSRC2:TGID_Y_EN: 0
; COMPUTE_PGM_RSRC2:TGID_Z_EN: 0
; COMPUTE_PGM_RSRC2:TIDIG_COMP_CNT: 0
	.section	.text._ZN7rocprim17ROCPRIM_400000_NS6detail17trampoline_kernelINS0_14default_configENS1_36segmented_radix_sort_config_selectorIblEEZNS1_25segmented_radix_sort_implIS3_Lb1EPKbPbPKlPlN2at6native12_GLOBAL__N_18offset_tEEE10hipError_tPvRmT1_PNSt15iterator_traitsISK_E10value_typeET2_T3_PNSL_ISQ_E10value_typeET4_jRbjT5_SW_jjP12ihipStream_tbEUlT_E1_NS1_11comp_targetILNS1_3genE9ELNS1_11target_archE1100ELNS1_3gpuE3ELNS1_3repE0EEENS1_59segmented_radix_sort_warp_sort_small_config_static_selectorELNS0_4arch9wavefront6targetE0EEEvSK_,"axG",@progbits,_ZN7rocprim17ROCPRIM_400000_NS6detail17trampoline_kernelINS0_14default_configENS1_36segmented_radix_sort_config_selectorIblEEZNS1_25segmented_radix_sort_implIS3_Lb1EPKbPbPKlPlN2at6native12_GLOBAL__N_18offset_tEEE10hipError_tPvRmT1_PNSt15iterator_traitsISK_E10value_typeET2_T3_PNSL_ISQ_E10value_typeET4_jRbjT5_SW_jjP12ihipStream_tbEUlT_E1_NS1_11comp_targetILNS1_3genE9ELNS1_11target_archE1100ELNS1_3gpuE3ELNS1_3repE0EEENS1_59segmented_radix_sort_warp_sort_small_config_static_selectorELNS0_4arch9wavefront6targetE0EEEvSK_,comdat
	.globl	_ZN7rocprim17ROCPRIM_400000_NS6detail17trampoline_kernelINS0_14default_configENS1_36segmented_radix_sort_config_selectorIblEEZNS1_25segmented_radix_sort_implIS3_Lb1EPKbPbPKlPlN2at6native12_GLOBAL__N_18offset_tEEE10hipError_tPvRmT1_PNSt15iterator_traitsISK_E10value_typeET2_T3_PNSL_ISQ_E10value_typeET4_jRbjT5_SW_jjP12ihipStream_tbEUlT_E1_NS1_11comp_targetILNS1_3genE9ELNS1_11target_archE1100ELNS1_3gpuE3ELNS1_3repE0EEENS1_59segmented_radix_sort_warp_sort_small_config_static_selectorELNS0_4arch9wavefront6targetE0EEEvSK_ ; -- Begin function _ZN7rocprim17ROCPRIM_400000_NS6detail17trampoline_kernelINS0_14default_configENS1_36segmented_radix_sort_config_selectorIblEEZNS1_25segmented_radix_sort_implIS3_Lb1EPKbPbPKlPlN2at6native12_GLOBAL__N_18offset_tEEE10hipError_tPvRmT1_PNSt15iterator_traitsISK_E10value_typeET2_T3_PNSL_ISQ_E10value_typeET4_jRbjT5_SW_jjP12ihipStream_tbEUlT_E1_NS1_11comp_targetILNS1_3genE9ELNS1_11target_archE1100ELNS1_3gpuE3ELNS1_3repE0EEENS1_59segmented_radix_sort_warp_sort_small_config_static_selectorELNS0_4arch9wavefront6targetE0EEEvSK_
	.p2align	8
	.type	_ZN7rocprim17ROCPRIM_400000_NS6detail17trampoline_kernelINS0_14default_configENS1_36segmented_radix_sort_config_selectorIblEEZNS1_25segmented_radix_sort_implIS3_Lb1EPKbPbPKlPlN2at6native12_GLOBAL__N_18offset_tEEE10hipError_tPvRmT1_PNSt15iterator_traitsISK_E10value_typeET2_T3_PNSL_ISQ_E10value_typeET4_jRbjT5_SW_jjP12ihipStream_tbEUlT_E1_NS1_11comp_targetILNS1_3genE9ELNS1_11target_archE1100ELNS1_3gpuE3ELNS1_3repE0EEENS1_59segmented_radix_sort_warp_sort_small_config_static_selectorELNS0_4arch9wavefront6targetE0EEEvSK_,@function
_ZN7rocprim17ROCPRIM_400000_NS6detail17trampoline_kernelINS0_14default_configENS1_36segmented_radix_sort_config_selectorIblEEZNS1_25segmented_radix_sort_implIS3_Lb1EPKbPbPKlPlN2at6native12_GLOBAL__N_18offset_tEEE10hipError_tPvRmT1_PNSt15iterator_traitsISK_E10value_typeET2_T3_PNSL_ISQ_E10value_typeET4_jRbjT5_SW_jjP12ihipStream_tbEUlT_E1_NS1_11comp_targetILNS1_3genE9ELNS1_11target_archE1100ELNS1_3gpuE3ELNS1_3repE0EEENS1_59segmented_radix_sort_warp_sort_small_config_static_selectorELNS0_4arch9wavefront6targetE0EEEvSK_: ; @_ZN7rocprim17ROCPRIM_400000_NS6detail17trampoline_kernelINS0_14default_configENS1_36segmented_radix_sort_config_selectorIblEEZNS1_25segmented_radix_sort_implIS3_Lb1EPKbPbPKlPlN2at6native12_GLOBAL__N_18offset_tEEE10hipError_tPvRmT1_PNSt15iterator_traitsISK_E10value_typeET2_T3_PNSL_ISQ_E10value_typeET4_jRbjT5_SW_jjP12ihipStream_tbEUlT_E1_NS1_11comp_targetILNS1_3genE9ELNS1_11target_archE1100ELNS1_3gpuE3ELNS1_3repE0EEENS1_59segmented_radix_sort_warp_sort_small_config_static_selectorELNS0_4arch9wavefront6targetE0EEEvSK_
; %bb.0:
	.section	.rodata,"a",@progbits
	.p2align	6, 0x0
	.amdhsa_kernel _ZN7rocprim17ROCPRIM_400000_NS6detail17trampoline_kernelINS0_14default_configENS1_36segmented_radix_sort_config_selectorIblEEZNS1_25segmented_radix_sort_implIS3_Lb1EPKbPbPKlPlN2at6native12_GLOBAL__N_18offset_tEEE10hipError_tPvRmT1_PNSt15iterator_traitsISK_E10value_typeET2_T3_PNSL_ISQ_E10value_typeET4_jRbjT5_SW_jjP12ihipStream_tbEUlT_E1_NS1_11comp_targetILNS1_3genE9ELNS1_11target_archE1100ELNS1_3gpuE3ELNS1_3repE0EEENS1_59segmented_radix_sort_warp_sort_small_config_static_selectorELNS0_4arch9wavefront6targetE0EEEvSK_
		.amdhsa_group_segment_fixed_size 0
		.amdhsa_private_segment_fixed_size 0
		.amdhsa_kernarg_size 88
		.amdhsa_user_sgpr_count 6
		.amdhsa_user_sgpr_private_segment_buffer 1
		.amdhsa_user_sgpr_dispatch_ptr 0
		.amdhsa_user_sgpr_queue_ptr 0
		.amdhsa_user_sgpr_kernarg_segment_ptr 1
		.amdhsa_user_sgpr_dispatch_id 0
		.amdhsa_user_sgpr_flat_scratch_init 0
		.amdhsa_user_sgpr_private_segment_size 0
		.amdhsa_wavefront_size32 1
		.amdhsa_uses_dynamic_stack 0
		.amdhsa_system_sgpr_private_segment_wavefront_offset 0
		.amdhsa_system_sgpr_workgroup_id_x 1
		.amdhsa_system_sgpr_workgroup_id_y 0
		.amdhsa_system_sgpr_workgroup_id_z 0
		.amdhsa_system_sgpr_workgroup_info 0
		.amdhsa_system_vgpr_workitem_id 0
		.amdhsa_next_free_vgpr 1
		.amdhsa_next_free_sgpr 1
		.amdhsa_reserve_vcc 0
		.amdhsa_reserve_flat_scratch 0
		.amdhsa_float_round_mode_32 0
		.amdhsa_float_round_mode_16_64 0
		.amdhsa_float_denorm_mode_32 3
		.amdhsa_float_denorm_mode_16_64 3
		.amdhsa_dx10_clamp 1
		.amdhsa_ieee_mode 1
		.amdhsa_fp16_overflow 0
		.amdhsa_workgroup_processor_mode 1
		.amdhsa_memory_ordered 1
		.amdhsa_forward_progress 1
		.amdhsa_shared_vgpr_count 0
		.amdhsa_exception_fp_ieee_invalid_op 0
		.amdhsa_exception_fp_denorm_src 0
		.amdhsa_exception_fp_ieee_div_zero 0
		.amdhsa_exception_fp_ieee_overflow 0
		.amdhsa_exception_fp_ieee_underflow 0
		.amdhsa_exception_fp_ieee_inexact 0
		.amdhsa_exception_int_div_zero 0
	.end_amdhsa_kernel
	.section	.text._ZN7rocprim17ROCPRIM_400000_NS6detail17trampoline_kernelINS0_14default_configENS1_36segmented_radix_sort_config_selectorIblEEZNS1_25segmented_radix_sort_implIS3_Lb1EPKbPbPKlPlN2at6native12_GLOBAL__N_18offset_tEEE10hipError_tPvRmT1_PNSt15iterator_traitsISK_E10value_typeET2_T3_PNSL_ISQ_E10value_typeET4_jRbjT5_SW_jjP12ihipStream_tbEUlT_E1_NS1_11comp_targetILNS1_3genE9ELNS1_11target_archE1100ELNS1_3gpuE3ELNS1_3repE0EEENS1_59segmented_radix_sort_warp_sort_small_config_static_selectorELNS0_4arch9wavefront6targetE0EEEvSK_,"axG",@progbits,_ZN7rocprim17ROCPRIM_400000_NS6detail17trampoline_kernelINS0_14default_configENS1_36segmented_radix_sort_config_selectorIblEEZNS1_25segmented_radix_sort_implIS3_Lb1EPKbPbPKlPlN2at6native12_GLOBAL__N_18offset_tEEE10hipError_tPvRmT1_PNSt15iterator_traitsISK_E10value_typeET2_T3_PNSL_ISQ_E10value_typeET4_jRbjT5_SW_jjP12ihipStream_tbEUlT_E1_NS1_11comp_targetILNS1_3genE9ELNS1_11target_archE1100ELNS1_3gpuE3ELNS1_3repE0EEENS1_59segmented_radix_sort_warp_sort_small_config_static_selectorELNS0_4arch9wavefront6targetE0EEEvSK_,comdat
.Lfunc_end1551:
	.size	_ZN7rocprim17ROCPRIM_400000_NS6detail17trampoline_kernelINS0_14default_configENS1_36segmented_radix_sort_config_selectorIblEEZNS1_25segmented_radix_sort_implIS3_Lb1EPKbPbPKlPlN2at6native12_GLOBAL__N_18offset_tEEE10hipError_tPvRmT1_PNSt15iterator_traitsISK_E10value_typeET2_T3_PNSL_ISQ_E10value_typeET4_jRbjT5_SW_jjP12ihipStream_tbEUlT_E1_NS1_11comp_targetILNS1_3genE9ELNS1_11target_archE1100ELNS1_3gpuE3ELNS1_3repE0EEENS1_59segmented_radix_sort_warp_sort_small_config_static_selectorELNS0_4arch9wavefront6targetE0EEEvSK_, .Lfunc_end1551-_ZN7rocprim17ROCPRIM_400000_NS6detail17trampoline_kernelINS0_14default_configENS1_36segmented_radix_sort_config_selectorIblEEZNS1_25segmented_radix_sort_implIS3_Lb1EPKbPbPKlPlN2at6native12_GLOBAL__N_18offset_tEEE10hipError_tPvRmT1_PNSt15iterator_traitsISK_E10value_typeET2_T3_PNSL_ISQ_E10value_typeET4_jRbjT5_SW_jjP12ihipStream_tbEUlT_E1_NS1_11comp_targetILNS1_3genE9ELNS1_11target_archE1100ELNS1_3gpuE3ELNS1_3repE0EEENS1_59segmented_radix_sort_warp_sort_small_config_static_selectorELNS0_4arch9wavefront6targetE0EEEvSK_
                                        ; -- End function
	.set _ZN7rocprim17ROCPRIM_400000_NS6detail17trampoline_kernelINS0_14default_configENS1_36segmented_radix_sort_config_selectorIblEEZNS1_25segmented_radix_sort_implIS3_Lb1EPKbPbPKlPlN2at6native12_GLOBAL__N_18offset_tEEE10hipError_tPvRmT1_PNSt15iterator_traitsISK_E10value_typeET2_T3_PNSL_ISQ_E10value_typeET4_jRbjT5_SW_jjP12ihipStream_tbEUlT_E1_NS1_11comp_targetILNS1_3genE9ELNS1_11target_archE1100ELNS1_3gpuE3ELNS1_3repE0EEENS1_59segmented_radix_sort_warp_sort_small_config_static_selectorELNS0_4arch9wavefront6targetE0EEEvSK_.num_vgpr, 0
	.set _ZN7rocprim17ROCPRIM_400000_NS6detail17trampoline_kernelINS0_14default_configENS1_36segmented_radix_sort_config_selectorIblEEZNS1_25segmented_radix_sort_implIS3_Lb1EPKbPbPKlPlN2at6native12_GLOBAL__N_18offset_tEEE10hipError_tPvRmT1_PNSt15iterator_traitsISK_E10value_typeET2_T3_PNSL_ISQ_E10value_typeET4_jRbjT5_SW_jjP12ihipStream_tbEUlT_E1_NS1_11comp_targetILNS1_3genE9ELNS1_11target_archE1100ELNS1_3gpuE3ELNS1_3repE0EEENS1_59segmented_radix_sort_warp_sort_small_config_static_selectorELNS0_4arch9wavefront6targetE0EEEvSK_.num_agpr, 0
	.set _ZN7rocprim17ROCPRIM_400000_NS6detail17trampoline_kernelINS0_14default_configENS1_36segmented_radix_sort_config_selectorIblEEZNS1_25segmented_radix_sort_implIS3_Lb1EPKbPbPKlPlN2at6native12_GLOBAL__N_18offset_tEEE10hipError_tPvRmT1_PNSt15iterator_traitsISK_E10value_typeET2_T3_PNSL_ISQ_E10value_typeET4_jRbjT5_SW_jjP12ihipStream_tbEUlT_E1_NS1_11comp_targetILNS1_3genE9ELNS1_11target_archE1100ELNS1_3gpuE3ELNS1_3repE0EEENS1_59segmented_radix_sort_warp_sort_small_config_static_selectorELNS0_4arch9wavefront6targetE0EEEvSK_.numbered_sgpr, 0
	.set _ZN7rocprim17ROCPRIM_400000_NS6detail17trampoline_kernelINS0_14default_configENS1_36segmented_radix_sort_config_selectorIblEEZNS1_25segmented_radix_sort_implIS3_Lb1EPKbPbPKlPlN2at6native12_GLOBAL__N_18offset_tEEE10hipError_tPvRmT1_PNSt15iterator_traitsISK_E10value_typeET2_T3_PNSL_ISQ_E10value_typeET4_jRbjT5_SW_jjP12ihipStream_tbEUlT_E1_NS1_11comp_targetILNS1_3genE9ELNS1_11target_archE1100ELNS1_3gpuE3ELNS1_3repE0EEENS1_59segmented_radix_sort_warp_sort_small_config_static_selectorELNS0_4arch9wavefront6targetE0EEEvSK_.num_named_barrier, 0
	.set _ZN7rocprim17ROCPRIM_400000_NS6detail17trampoline_kernelINS0_14default_configENS1_36segmented_radix_sort_config_selectorIblEEZNS1_25segmented_radix_sort_implIS3_Lb1EPKbPbPKlPlN2at6native12_GLOBAL__N_18offset_tEEE10hipError_tPvRmT1_PNSt15iterator_traitsISK_E10value_typeET2_T3_PNSL_ISQ_E10value_typeET4_jRbjT5_SW_jjP12ihipStream_tbEUlT_E1_NS1_11comp_targetILNS1_3genE9ELNS1_11target_archE1100ELNS1_3gpuE3ELNS1_3repE0EEENS1_59segmented_radix_sort_warp_sort_small_config_static_selectorELNS0_4arch9wavefront6targetE0EEEvSK_.private_seg_size, 0
	.set _ZN7rocprim17ROCPRIM_400000_NS6detail17trampoline_kernelINS0_14default_configENS1_36segmented_radix_sort_config_selectorIblEEZNS1_25segmented_radix_sort_implIS3_Lb1EPKbPbPKlPlN2at6native12_GLOBAL__N_18offset_tEEE10hipError_tPvRmT1_PNSt15iterator_traitsISK_E10value_typeET2_T3_PNSL_ISQ_E10value_typeET4_jRbjT5_SW_jjP12ihipStream_tbEUlT_E1_NS1_11comp_targetILNS1_3genE9ELNS1_11target_archE1100ELNS1_3gpuE3ELNS1_3repE0EEENS1_59segmented_radix_sort_warp_sort_small_config_static_selectorELNS0_4arch9wavefront6targetE0EEEvSK_.uses_vcc, 0
	.set _ZN7rocprim17ROCPRIM_400000_NS6detail17trampoline_kernelINS0_14default_configENS1_36segmented_radix_sort_config_selectorIblEEZNS1_25segmented_radix_sort_implIS3_Lb1EPKbPbPKlPlN2at6native12_GLOBAL__N_18offset_tEEE10hipError_tPvRmT1_PNSt15iterator_traitsISK_E10value_typeET2_T3_PNSL_ISQ_E10value_typeET4_jRbjT5_SW_jjP12ihipStream_tbEUlT_E1_NS1_11comp_targetILNS1_3genE9ELNS1_11target_archE1100ELNS1_3gpuE3ELNS1_3repE0EEENS1_59segmented_radix_sort_warp_sort_small_config_static_selectorELNS0_4arch9wavefront6targetE0EEEvSK_.uses_flat_scratch, 0
	.set _ZN7rocprim17ROCPRIM_400000_NS6detail17trampoline_kernelINS0_14default_configENS1_36segmented_radix_sort_config_selectorIblEEZNS1_25segmented_radix_sort_implIS3_Lb1EPKbPbPKlPlN2at6native12_GLOBAL__N_18offset_tEEE10hipError_tPvRmT1_PNSt15iterator_traitsISK_E10value_typeET2_T3_PNSL_ISQ_E10value_typeET4_jRbjT5_SW_jjP12ihipStream_tbEUlT_E1_NS1_11comp_targetILNS1_3genE9ELNS1_11target_archE1100ELNS1_3gpuE3ELNS1_3repE0EEENS1_59segmented_radix_sort_warp_sort_small_config_static_selectorELNS0_4arch9wavefront6targetE0EEEvSK_.has_dyn_sized_stack, 0
	.set _ZN7rocprim17ROCPRIM_400000_NS6detail17trampoline_kernelINS0_14default_configENS1_36segmented_radix_sort_config_selectorIblEEZNS1_25segmented_radix_sort_implIS3_Lb1EPKbPbPKlPlN2at6native12_GLOBAL__N_18offset_tEEE10hipError_tPvRmT1_PNSt15iterator_traitsISK_E10value_typeET2_T3_PNSL_ISQ_E10value_typeET4_jRbjT5_SW_jjP12ihipStream_tbEUlT_E1_NS1_11comp_targetILNS1_3genE9ELNS1_11target_archE1100ELNS1_3gpuE3ELNS1_3repE0EEENS1_59segmented_radix_sort_warp_sort_small_config_static_selectorELNS0_4arch9wavefront6targetE0EEEvSK_.has_recursion, 0
	.set _ZN7rocprim17ROCPRIM_400000_NS6detail17trampoline_kernelINS0_14default_configENS1_36segmented_radix_sort_config_selectorIblEEZNS1_25segmented_radix_sort_implIS3_Lb1EPKbPbPKlPlN2at6native12_GLOBAL__N_18offset_tEEE10hipError_tPvRmT1_PNSt15iterator_traitsISK_E10value_typeET2_T3_PNSL_ISQ_E10value_typeET4_jRbjT5_SW_jjP12ihipStream_tbEUlT_E1_NS1_11comp_targetILNS1_3genE9ELNS1_11target_archE1100ELNS1_3gpuE3ELNS1_3repE0EEENS1_59segmented_radix_sort_warp_sort_small_config_static_selectorELNS0_4arch9wavefront6targetE0EEEvSK_.has_indirect_call, 0
	.section	.AMDGPU.csdata,"",@progbits
; Kernel info:
; codeLenInByte = 0
; TotalNumSgprs: 0
; NumVgprs: 0
; ScratchSize: 0
; MemoryBound: 0
; FloatMode: 240
; IeeeMode: 1
; LDSByteSize: 0 bytes/workgroup (compile time only)
; SGPRBlocks: 0
; VGPRBlocks: 0
; NumSGPRsForWavesPerEU: 1
; NumVGPRsForWavesPerEU: 1
; Occupancy: 16
; WaveLimiterHint : 0
; COMPUTE_PGM_RSRC2:SCRATCH_EN: 0
; COMPUTE_PGM_RSRC2:USER_SGPR: 6
; COMPUTE_PGM_RSRC2:TRAP_HANDLER: 0
; COMPUTE_PGM_RSRC2:TGID_X_EN: 1
; COMPUTE_PGM_RSRC2:TGID_Y_EN: 0
; COMPUTE_PGM_RSRC2:TGID_Z_EN: 0
; COMPUTE_PGM_RSRC2:TIDIG_COMP_CNT: 0
	.section	.text._ZN7rocprim17ROCPRIM_400000_NS6detail17trampoline_kernelINS0_14default_configENS1_36segmented_radix_sort_config_selectorIblEEZNS1_25segmented_radix_sort_implIS3_Lb1EPKbPbPKlPlN2at6native12_GLOBAL__N_18offset_tEEE10hipError_tPvRmT1_PNSt15iterator_traitsISK_E10value_typeET2_T3_PNSL_ISQ_E10value_typeET4_jRbjT5_SW_jjP12ihipStream_tbEUlT_E1_NS1_11comp_targetILNS1_3genE8ELNS1_11target_archE1030ELNS1_3gpuE2ELNS1_3repE0EEENS1_59segmented_radix_sort_warp_sort_small_config_static_selectorELNS0_4arch9wavefront6targetE0EEEvSK_,"axG",@progbits,_ZN7rocprim17ROCPRIM_400000_NS6detail17trampoline_kernelINS0_14default_configENS1_36segmented_radix_sort_config_selectorIblEEZNS1_25segmented_radix_sort_implIS3_Lb1EPKbPbPKlPlN2at6native12_GLOBAL__N_18offset_tEEE10hipError_tPvRmT1_PNSt15iterator_traitsISK_E10value_typeET2_T3_PNSL_ISQ_E10value_typeET4_jRbjT5_SW_jjP12ihipStream_tbEUlT_E1_NS1_11comp_targetILNS1_3genE8ELNS1_11target_archE1030ELNS1_3gpuE2ELNS1_3repE0EEENS1_59segmented_radix_sort_warp_sort_small_config_static_selectorELNS0_4arch9wavefront6targetE0EEEvSK_,comdat
	.globl	_ZN7rocprim17ROCPRIM_400000_NS6detail17trampoline_kernelINS0_14default_configENS1_36segmented_radix_sort_config_selectorIblEEZNS1_25segmented_radix_sort_implIS3_Lb1EPKbPbPKlPlN2at6native12_GLOBAL__N_18offset_tEEE10hipError_tPvRmT1_PNSt15iterator_traitsISK_E10value_typeET2_T3_PNSL_ISQ_E10value_typeET4_jRbjT5_SW_jjP12ihipStream_tbEUlT_E1_NS1_11comp_targetILNS1_3genE8ELNS1_11target_archE1030ELNS1_3gpuE2ELNS1_3repE0EEENS1_59segmented_radix_sort_warp_sort_small_config_static_selectorELNS0_4arch9wavefront6targetE0EEEvSK_ ; -- Begin function _ZN7rocprim17ROCPRIM_400000_NS6detail17trampoline_kernelINS0_14default_configENS1_36segmented_radix_sort_config_selectorIblEEZNS1_25segmented_radix_sort_implIS3_Lb1EPKbPbPKlPlN2at6native12_GLOBAL__N_18offset_tEEE10hipError_tPvRmT1_PNSt15iterator_traitsISK_E10value_typeET2_T3_PNSL_ISQ_E10value_typeET4_jRbjT5_SW_jjP12ihipStream_tbEUlT_E1_NS1_11comp_targetILNS1_3genE8ELNS1_11target_archE1030ELNS1_3gpuE2ELNS1_3repE0EEENS1_59segmented_radix_sort_warp_sort_small_config_static_selectorELNS0_4arch9wavefront6targetE0EEEvSK_
	.p2align	8
	.type	_ZN7rocprim17ROCPRIM_400000_NS6detail17trampoline_kernelINS0_14default_configENS1_36segmented_radix_sort_config_selectorIblEEZNS1_25segmented_radix_sort_implIS3_Lb1EPKbPbPKlPlN2at6native12_GLOBAL__N_18offset_tEEE10hipError_tPvRmT1_PNSt15iterator_traitsISK_E10value_typeET2_T3_PNSL_ISQ_E10value_typeET4_jRbjT5_SW_jjP12ihipStream_tbEUlT_E1_NS1_11comp_targetILNS1_3genE8ELNS1_11target_archE1030ELNS1_3gpuE2ELNS1_3repE0EEENS1_59segmented_radix_sort_warp_sort_small_config_static_selectorELNS0_4arch9wavefront6targetE0EEEvSK_,@function
_ZN7rocprim17ROCPRIM_400000_NS6detail17trampoline_kernelINS0_14default_configENS1_36segmented_radix_sort_config_selectorIblEEZNS1_25segmented_radix_sort_implIS3_Lb1EPKbPbPKlPlN2at6native12_GLOBAL__N_18offset_tEEE10hipError_tPvRmT1_PNSt15iterator_traitsISK_E10value_typeET2_T3_PNSL_ISQ_E10value_typeET4_jRbjT5_SW_jjP12ihipStream_tbEUlT_E1_NS1_11comp_targetILNS1_3genE8ELNS1_11target_archE1030ELNS1_3gpuE2ELNS1_3repE0EEENS1_59segmented_radix_sort_warp_sort_small_config_static_selectorELNS0_4arch9wavefront6targetE0EEEvSK_: ; @_ZN7rocprim17ROCPRIM_400000_NS6detail17trampoline_kernelINS0_14default_configENS1_36segmented_radix_sort_config_selectorIblEEZNS1_25segmented_radix_sort_implIS3_Lb1EPKbPbPKlPlN2at6native12_GLOBAL__N_18offset_tEEE10hipError_tPvRmT1_PNSt15iterator_traitsISK_E10value_typeET2_T3_PNSL_ISQ_E10value_typeET4_jRbjT5_SW_jjP12ihipStream_tbEUlT_E1_NS1_11comp_targetILNS1_3genE8ELNS1_11target_archE1030ELNS1_3gpuE2ELNS1_3repE0EEENS1_59segmented_radix_sort_warp_sort_small_config_static_selectorELNS0_4arch9wavefront6targetE0EEEvSK_
; %bb.0:
	s_add_u32 s0, s0, s8
	s_load_dword s8, s[4:5], 0x64
	s_addc_u32 s1, s1, 0
	s_mov_b32 s32, 0
	s_waitcnt lgkmcnt(0)
	s_lshr_b32 s9, s8, 16
	s_and_b32 s8, s8, 0xffff
	v_mad_u32_u24 v3, v2, s9, v1
	s_load_dword s9, s[4:5], 0x34
	v_mad_u64_u32 v[3:4], null, v3, s8, v[0:1]
	s_mov_b32 s8, exec_lo
	v_lshrrev_b32_e32 v3, 5, v3
	v_lshl_add_u32 v3, s6, 3, v3
	s_waitcnt lgkmcnt(0)
	v_cmpx_gt_u32_e64 s9, v3
	s_cbranch_execz .LBB1552_6
; %bb.1:
	s_clause 0x1
	s_load_dwordx2 s[12:13], s[4:5], 0x38
	s_load_dwordx4 s[8:11], s[4:5], 0x40
	v_mov_b32_e32 v4, 0
	v_lshlrev_b64 v[3:4], 2, v[3:4]
	s_waitcnt lgkmcnt(0)
	v_sub_co_u32 v3, vcc_lo, s12, v3
	v_sub_co_ci_u32_e64 v4, null, s13, v4, vcc_lo
	global_load_dword v3, v[3:4], off offset:-4
	s_waitcnt vmcnt(0)
	v_add_nc_u32_e32 v4, s9, v3
	v_add_nc_u32_e32 v3, s11, v3
	v_mul_lo_u32 v8, v4, s8
	v_mul_lo_u32 v40, v3, s10
	v_cmp_gt_u32_e32 vcc_lo, v40, v8
	s_and_b32 exec_lo, exec_lo, vcc_lo
	s_cbranch_execz .LBB1552_6
; %bb.2:
	s_clause 0x3
	s_load_dword s8, s[4:5], 0x30
	s_load_dwordx4 s[36:39], s[4:5], 0x20
	s_load_dwordx8 s[20:27], s[4:5], 0x0
	s_load_dwordx2 s[28:29], s[4:5], 0x50
	v_lshlrev_b32_e32 v42, 20, v2
	v_lshlrev_b32_e32 v43, 10, v1
	s_waitcnt lgkmcnt(0)
	s_bitcmp0_b32 s8, 0
	s_mov_b32 s8, -1
	s_cbranch_scc0 .LBB1552_4
; %bb.3:
	s_mov_b64 s[10:11], src_shared_base
	v_or3_b32 v31, v0, v43, v42
	v_mov_b32_e32 v41, v0
	v_mov_b32_e32 v0, s20
	;; [unrolled: 1-line block ×14, first 2 shown]
	s_add_u32 s8, s4, 0x58
	s_addc_u32 s9, s5, 0
	s_getpc_b64 s[14:15]
	s_add_u32 s14, s14, _ZN7rocprim17ROCPRIM_400000_NS6detail26segmented_warp_sort_helperINS1_20WarpSortHelperConfigILj32ELj4ELj256EEEblLi256ELb1EvE4sortIPKbPbPKlPlEEvT_T0_T1_T2_jjjjRNS5_12storage_typeE@rel32@lo+4
	s_addc_u32 s15, s15, _ZN7rocprim17ROCPRIM_400000_NS6detail26segmented_warp_sort_helperINS1_20WarpSortHelperConfigILj32ELj4ELj256EEEblLi256ELb1EvE4sortIPKbPbPKlPlEEvT_T0_T1_T2_jjjjRNS5_12storage_typeE@rel32@hi+12
	s_mov_b32 s12, s6
	s_mov_b32 s13, s7
	s_mov_b64 s[22:23], s[4:5]
	s_mov_b32 s19, s7
	s_mov_b32 s33, s6
	s_swappc_b64 s[30:31], s[14:15]
	v_mov_b32_e32 v0, v41
	s_mov_b32 s6, s33
	s_mov_b32 s7, s19
	s_mov_b64 s[4:5], s[22:23]
	s_mov_b32 s8, 0
.LBB1552_4:
	s_andn2_b32 vcc_lo, exec_lo, s8
	s_cbranch_vccnz .LBB1552_6
; %bb.5:
	s_mov_b64 s[10:11], src_shared_base
	v_or3_b32 v31, v0, v43, v42
	v_mov_b32_e32 v0, s20
	v_mov_b32_e32 v1, s21
	;; [unrolled: 1-line block ×13, first 2 shown]
	s_add_u32 s8, s4, 0x58
	s_addc_u32 s9, s5, 0
	s_getpc_b64 s[4:5]
	s_add_u32 s4, s4, _ZN7rocprim17ROCPRIM_400000_NS6detail26segmented_warp_sort_helperINS1_20WarpSortHelperConfigILj32ELj4ELj256EEEblLi256ELb1EvE4sortIPKbPbPKlPlEEvT_T0_T1_T2_jjjjRNS5_12storage_typeE@rel32@lo+4
	s_addc_u32 s5, s5, _ZN7rocprim17ROCPRIM_400000_NS6detail26segmented_warp_sort_helperINS1_20WarpSortHelperConfigILj32ELj4ELj256EEEblLi256ELb1EvE4sortIPKbPbPKlPlEEvT_T0_T1_T2_jjjjRNS5_12storage_typeE@rel32@hi+12
	s_mov_b32 s12, s6
	s_mov_b32 s13, s7
	s_swappc_b64 s[30:31], s[4:5]
.LBB1552_6:
	s_endpgm
	.section	.rodata,"a",@progbits
	.p2align	6, 0x0
	.amdhsa_kernel _ZN7rocprim17ROCPRIM_400000_NS6detail17trampoline_kernelINS0_14default_configENS1_36segmented_radix_sort_config_selectorIblEEZNS1_25segmented_radix_sort_implIS3_Lb1EPKbPbPKlPlN2at6native12_GLOBAL__N_18offset_tEEE10hipError_tPvRmT1_PNSt15iterator_traitsISK_E10value_typeET2_T3_PNSL_ISQ_E10value_typeET4_jRbjT5_SW_jjP12ihipStream_tbEUlT_E1_NS1_11comp_targetILNS1_3genE8ELNS1_11target_archE1030ELNS1_3gpuE2ELNS1_3repE0EEENS1_59segmented_radix_sort_warp_sort_small_config_static_selectorELNS0_4arch9wavefront6targetE0EEEvSK_
		.amdhsa_group_segment_fixed_size 9216
		.amdhsa_private_segment_fixed_size 12
		.amdhsa_kernarg_size 344
		.amdhsa_user_sgpr_count 6
		.amdhsa_user_sgpr_private_segment_buffer 1
		.amdhsa_user_sgpr_dispatch_ptr 0
		.amdhsa_user_sgpr_queue_ptr 0
		.amdhsa_user_sgpr_kernarg_segment_ptr 1
		.amdhsa_user_sgpr_dispatch_id 0
		.amdhsa_user_sgpr_flat_scratch_init 0
		.amdhsa_user_sgpr_private_segment_size 0
		.amdhsa_wavefront_size32 1
		.amdhsa_uses_dynamic_stack 0
		.amdhsa_system_sgpr_private_segment_wavefront_offset 1
		.amdhsa_system_sgpr_workgroup_id_x 1
		.amdhsa_system_sgpr_workgroup_id_y 1
		.amdhsa_system_sgpr_workgroup_id_z 0
		.amdhsa_system_sgpr_workgroup_info 0
		.amdhsa_system_vgpr_workitem_id 2
		.amdhsa_next_free_vgpr 53
		.amdhsa_next_free_sgpr 40
		.amdhsa_reserve_vcc 1
		.amdhsa_reserve_flat_scratch 0
		.amdhsa_float_round_mode_32 0
		.amdhsa_float_round_mode_16_64 0
		.amdhsa_float_denorm_mode_32 3
		.amdhsa_float_denorm_mode_16_64 3
		.amdhsa_dx10_clamp 1
		.amdhsa_ieee_mode 1
		.amdhsa_fp16_overflow 0
		.amdhsa_workgroup_processor_mode 1
		.amdhsa_memory_ordered 1
		.amdhsa_forward_progress 1
		.amdhsa_shared_vgpr_count 0
		.amdhsa_exception_fp_ieee_invalid_op 0
		.amdhsa_exception_fp_denorm_src 0
		.amdhsa_exception_fp_ieee_div_zero 0
		.amdhsa_exception_fp_ieee_overflow 0
		.amdhsa_exception_fp_ieee_underflow 0
		.amdhsa_exception_fp_ieee_inexact 0
		.amdhsa_exception_int_div_zero 0
	.end_amdhsa_kernel
	.section	.text._ZN7rocprim17ROCPRIM_400000_NS6detail17trampoline_kernelINS0_14default_configENS1_36segmented_radix_sort_config_selectorIblEEZNS1_25segmented_radix_sort_implIS3_Lb1EPKbPbPKlPlN2at6native12_GLOBAL__N_18offset_tEEE10hipError_tPvRmT1_PNSt15iterator_traitsISK_E10value_typeET2_T3_PNSL_ISQ_E10value_typeET4_jRbjT5_SW_jjP12ihipStream_tbEUlT_E1_NS1_11comp_targetILNS1_3genE8ELNS1_11target_archE1030ELNS1_3gpuE2ELNS1_3repE0EEENS1_59segmented_radix_sort_warp_sort_small_config_static_selectorELNS0_4arch9wavefront6targetE0EEEvSK_,"axG",@progbits,_ZN7rocprim17ROCPRIM_400000_NS6detail17trampoline_kernelINS0_14default_configENS1_36segmented_radix_sort_config_selectorIblEEZNS1_25segmented_radix_sort_implIS3_Lb1EPKbPbPKlPlN2at6native12_GLOBAL__N_18offset_tEEE10hipError_tPvRmT1_PNSt15iterator_traitsISK_E10value_typeET2_T3_PNSL_ISQ_E10value_typeET4_jRbjT5_SW_jjP12ihipStream_tbEUlT_E1_NS1_11comp_targetILNS1_3genE8ELNS1_11target_archE1030ELNS1_3gpuE2ELNS1_3repE0EEENS1_59segmented_radix_sort_warp_sort_small_config_static_selectorELNS0_4arch9wavefront6targetE0EEEvSK_,comdat
.Lfunc_end1552:
	.size	_ZN7rocprim17ROCPRIM_400000_NS6detail17trampoline_kernelINS0_14default_configENS1_36segmented_radix_sort_config_selectorIblEEZNS1_25segmented_radix_sort_implIS3_Lb1EPKbPbPKlPlN2at6native12_GLOBAL__N_18offset_tEEE10hipError_tPvRmT1_PNSt15iterator_traitsISK_E10value_typeET2_T3_PNSL_ISQ_E10value_typeET4_jRbjT5_SW_jjP12ihipStream_tbEUlT_E1_NS1_11comp_targetILNS1_3genE8ELNS1_11target_archE1030ELNS1_3gpuE2ELNS1_3repE0EEENS1_59segmented_radix_sort_warp_sort_small_config_static_selectorELNS0_4arch9wavefront6targetE0EEEvSK_, .Lfunc_end1552-_ZN7rocprim17ROCPRIM_400000_NS6detail17trampoline_kernelINS0_14default_configENS1_36segmented_radix_sort_config_selectorIblEEZNS1_25segmented_radix_sort_implIS3_Lb1EPKbPbPKlPlN2at6native12_GLOBAL__N_18offset_tEEE10hipError_tPvRmT1_PNSt15iterator_traitsISK_E10value_typeET2_T3_PNSL_ISQ_E10value_typeET4_jRbjT5_SW_jjP12ihipStream_tbEUlT_E1_NS1_11comp_targetILNS1_3genE8ELNS1_11target_archE1030ELNS1_3gpuE2ELNS1_3repE0EEENS1_59segmented_radix_sort_warp_sort_small_config_static_selectorELNS0_4arch9wavefront6targetE0EEEvSK_
                                        ; -- End function
	.set _ZN7rocprim17ROCPRIM_400000_NS6detail17trampoline_kernelINS0_14default_configENS1_36segmented_radix_sort_config_selectorIblEEZNS1_25segmented_radix_sort_implIS3_Lb1EPKbPbPKlPlN2at6native12_GLOBAL__N_18offset_tEEE10hipError_tPvRmT1_PNSt15iterator_traitsISK_E10value_typeET2_T3_PNSL_ISQ_E10value_typeET4_jRbjT5_SW_jjP12ihipStream_tbEUlT_E1_NS1_11comp_targetILNS1_3genE8ELNS1_11target_archE1030ELNS1_3gpuE2ELNS1_3repE0EEENS1_59segmented_radix_sort_warp_sort_small_config_static_selectorELNS0_4arch9wavefront6targetE0EEEvSK_.num_vgpr, max(44, .L_ZN7rocprim17ROCPRIM_400000_NS6detail26segmented_warp_sort_helperINS1_20WarpSortHelperConfigILj32ELj4ELj256EEEblLi256ELb1EvE4sortIPKbPbPKlPlEEvT_T0_T1_T2_jjjjRNS5_12storage_typeE.num_vgpr)
	.set _ZN7rocprim17ROCPRIM_400000_NS6detail17trampoline_kernelINS0_14default_configENS1_36segmented_radix_sort_config_selectorIblEEZNS1_25segmented_radix_sort_implIS3_Lb1EPKbPbPKlPlN2at6native12_GLOBAL__N_18offset_tEEE10hipError_tPvRmT1_PNSt15iterator_traitsISK_E10value_typeET2_T3_PNSL_ISQ_E10value_typeET4_jRbjT5_SW_jjP12ihipStream_tbEUlT_E1_NS1_11comp_targetILNS1_3genE8ELNS1_11target_archE1030ELNS1_3gpuE2ELNS1_3repE0EEENS1_59segmented_radix_sort_warp_sort_small_config_static_selectorELNS0_4arch9wavefront6targetE0EEEvSK_.num_agpr, max(0, .L_ZN7rocprim17ROCPRIM_400000_NS6detail26segmented_warp_sort_helperINS1_20WarpSortHelperConfigILj32ELj4ELj256EEEblLi256ELb1EvE4sortIPKbPbPKlPlEEvT_T0_T1_T2_jjjjRNS5_12storage_typeE.num_agpr)
	.set _ZN7rocprim17ROCPRIM_400000_NS6detail17trampoline_kernelINS0_14default_configENS1_36segmented_radix_sort_config_selectorIblEEZNS1_25segmented_radix_sort_implIS3_Lb1EPKbPbPKlPlN2at6native12_GLOBAL__N_18offset_tEEE10hipError_tPvRmT1_PNSt15iterator_traitsISK_E10value_typeET2_T3_PNSL_ISQ_E10value_typeET4_jRbjT5_SW_jjP12ihipStream_tbEUlT_E1_NS1_11comp_targetILNS1_3genE8ELNS1_11target_archE1030ELNS1_3gpuE2ELNS1_3repE0EEENS1_59segmented_radix_sort_warp_sort_small_config_static_selectorELNS0_4arch9wavefront6targetE0EEEvSK_.numbered_sgpr, max(40, .L_ZN7rocprim17ROCPRIM_400000_NS6detail26segmented_warp_sort_helperINS1_20WarpSortHelperConfigILj32ELj4ELj256EEEblLi256ELb1EvE4sortIPKbPbPKlPlEEvT_T0_T1_T2_jjjjRNS5_12storage_typeE.numbered_sgpr)
	.set _ZN7rocprim17ROCPRIM_400000_NS6detail17trampoline_kernelINS0_14default_configENS1_36segmented_radix_sort_config_selectorIblEEZNS1_25segmented_radix_sort_implIS3_Lb1EPKbPbPKlPlN2at6native12_GLOBAL__N_18offset_tEEE10hipError_tPvRmT1_PNSt15iterator_traitsISK_E10value_typeET2_T3_PNSL_ISQ_E10value_typeET4_jRbjT5_SW_jjP12ihipStream_tbEUlT_E1_NS1_11comp_targetILNS1_3genE8ELNS1_11target_archE1030ELNS1_3gpuE2ELNS1_3repE0EEENS1_59segmented_radix_sort_warp_sort_small_config_static_selectorELNS0_4arch9wavefront6targetE0EEEvSK_.num_named_barrier, max(0, .L_ZN7rocprim17ROCPRIM_400000_NS6detail26segmented_warp_sort_helperINS1_20WarpSortHelperConfigILj32ELj4ELj256EEEblLi256ELb1EvE4sortIPKbPbPKlPlEEvT_T0_T1_T2_jjjjRNS5_12storage_typeE.num_named_barrier)
	.set _ZN7rocprim17ROCPRIM_400000_NS6detail17trampoline_kernelINS0_14default_configENS1_36segmented_radix_sort_config_selectorIblEEZNS1_25segmented_radix_sort_implIS3_Lb1EPKbPbPKlPlN2at6native12_GLOBAL__N_18offset_tEEE10hipError_tPvRmT1_PNSt15iterator_traitsISK_E10value_typeET2_T3_PNSL_ISQ_E10value_typeET4_jRbjT5_SW_jjP12ihipStream_tbEUlT_E1_NS1_11comp_targetILNS1_3genE8ELNS1_11target_archE1030ELNS1_3gpuE2ELNS1_3repE0EEENS1_59segmented_radix_sort_warp_sort_small_config_static_selectorELNS0_4arch9wavefront6targetE0EEEvSK_.private_seg_size, 0+max(.L_ZN7rocprim17ROCPRIM_400000_NS6detail26segmented_warp_sort_helperINS1_20WarpSortHelperConfigILj32ELj4ELj256EEEblLi256ELb1EvE4sortIPKbPbPKlPlEEvT_T0_T1_T2_jjjjRNS5_12storage_typeE.private_seg_size)
	.set _ZN7rocprim17ROCPRIM_400000_NS6detail17trampoline_kernelINS0_14default_configENS1_36segmented_radix_sort_config_selectorIblEEZNS1_25segmented_radix_sort_implIS3_Lb1EPKbPbPKlPlN2at6native12_GLOBAL__N_18offset_tEEE10hipError_tPvRmT1_PNSt15iterator_traitsISK_E10value_typeET2_T3_PNSL_ISQ_E10value_typeET4_jRbjT5_SW_jjP12ihipStream_tbEUlT_E1_NS1_11comp_targetILNS1_3genE8ELNS1_11target_archE1030ELNS1_3gpuE2ELNS1_3repE0EEENS1_59segmented_radix_sort_warp_sort_small_config_static_selectorELNS0_4arch9wavefront6targetE0EEEvSK_.uses_vcc, or(1, .L_ZN7rocprim17ROCPRIM_400000_NS6detail26segmented_warp_sort_helperINS1_20WarpSortHelperConfigILj32ELj4ELj256EEEblLi256ELb1EvE4sortIPKbPbPKlPlEEvT_T0_T1_T2_jjjjRNS5_12storage_typeE.uses_vcc)
	.set _ZN7rocprim17ROCPRIM_400000_NS6detail17trampoline_kernelINS0_14default_configENS1_36segmented_radix_sort_config_selectorIblEEZNS1_25segmented_radix_sort_implIS3_Lb1EPKbPbPKlPlN2at6native12_GLOBAL__N_18offset_tEEE10hipError_tPvRmT1_PNSt15iterator_traitsISK_E10value_typeET2_T3_PNSL_ISQ_E10value_typeET4_jRbjT5_SW_jjP12ihipStream_tbEUlT_E1_NS1_11comp_targetILNS1_3genE8ELNS1_11target_archE1030ELNS1_3gpuE2ELNS1_3repE0EEENS1_59segmented_radix_sort_warp_sort_small_config_static_selectorELNS0_4arch9wavefront6targetE0EEEvSK_.uses_flat_scratch, or(0, .L_ZN7rocprim17ROCPRIM_400000_NS6detail26segmented_warp_sort_helperINS1_20WarpSortHelperConfigILj32ELj4ELj256EEEblLi256ELb1EvE4sortIPKbPbPKlPlEEvT_T0_T1_T2_jjjjRNS5_12storage_typeE.uses_flat_scratch)
	.set _ZN7rocprim17ROCPRIM_400000_NS6detail17trampoline_kernelINS0_14default_configENS1_36segmented_radix_sort_config_selectorIblEEZNS1_25segmented_radix_sort_implIS3_Lb1EPKbPbPKlPlN2at6native12_GLOBAL__N_18offset_tEEE10hipError_tPvRmT1_PNSt15iterator_traitsISK_E10value_typeET2_T3_PNSL_ISQ_E10value_typeET4_jRbjT5_SW_jjP12ihipStream_tbEUlT_E1_NS1_11comp_targetILNS1_3genE8ELNS1_11target_archE1030ELNS1_3gpuE2ELNS1_3repE0EEENS1_59segmented_radix_sort_warp_sort_small_config_static_selectorELNS0_4arch9wavefront6targetE0EEEvSK_.has_dyn_sized_stack, or(0, .L_ZN7rocprim17ROCPRIM_400000_NS6detail26segmented_warp_sort_helperINS1_20WarpSortHelperConfigILj32ELj4ELj256EEEblLi256ELb1EvE4sortIPKbPbPKlPlEEvT_T0_T1_T2_jjjjRNS5_12storage_typeE.has_dyn_sized_stack)
	.set _ZN7rocprim17ROCPRIM_400000_NS6detail17trampoline_kernelINS0_14default_configENS1_36segmented_radix_sort_config_selectorIblEEZNS1_25segmented_radix_sort_implIS3_Lb1EPKbPbPKlPlN2at6native12_GLOBAL__N_18offset_tEEE10hipError_tPvRmT1_PNSt15iterator_traitsISK_E10value_typeET2_T3_PNSL_ISQ_E10value_typeET4_jRbjT5_SW_jjP12ihipStream_tbEUlT_E1_NS1_11comp_targetILNS1_3genE8ELNS1_11target_archE1030ELNS1_3gpuE2ELNS1_3repE0EEENS1_59segmented_radix_sort_warp_sort_small_config_static_selectorELNS0_4arch9wavefront6targetE0EEEvSK_.has_recursion, or(0, .L_ZN7rocprim17ROCPRIM_400000_NS6detail26segmented_warp_sort_helperINS1_20WarpSortHelperConfigILj32ELj4ELj256EEEblLi256ELb1EvE4sortIPKbPbPKlPlEEvT_T0_T1_T2_jjjjRNS5_12storage_typeE.has_recursion)
	.set _ZN7rocprim17ROCPRIM_400000_NS6detail17trampoline_kernelINS0_14default_configENS1_36segmented_radix_sort_config_selectorIblEEZNS1_25segmented_radix_sort_implIS3_Lb1EPKbPbPKlPlN2at6native12_GLOBAL__N_18offset_tEEE10hipError_tPvRmT1_PNSt15iterator_traitsISK_E10value_typeET2_T3_PNSL_ISQ_E10value_typeET4_jRbjT5_SW_jjP12ihipStream_tbEUlT_E1_NS1_11comp_targetILNS1_3genE8ELNS1_11target_archE1030ELNS1_3gpuE2ELNS1_3repE0EEENS1_59segmented_radix_sort_warp_sort_small_config_static_selectorELNS0_4arch9wavefront6targetE0EEEvSK_.has_indirect_call, or(0, .L_ZN7rocprim17ROCPRIM_400000_NS6detail26segmented_warp_sort_helperINS1_20WarpSortHelperConfigILj32ELj4ELj256EEEblLi256ELb1EvE4sortIPKbPbPKlPlEEvT_T0_T1_T2_jjjjRNS5_12storage_typeE.has_indirect_call)
	.section	.AMDGPU.csdata,"",@progbits
; Kernel info:
; codeLenInByte = 516
; TotalNumSgprs: 42
; NumVgprs: 53
; ScratchSize: 12
; MemoryBound: 0
; FloatMode: 240
; IeeeMode: 1
; LDSByteSize: 9216 bytes/workgroup (compile time only)
; SGPRBlocks: 0
; VGPRBlocks: 6
; NumSGPRsForWavesPerEU: 42
; NumVGPRsForWavesPerEU: 53
; Occupancy: 16
; WaveLimiterHint : 0
; COMPUTE_PGM_RSRC2:SCRATCH_EN: 1
; COMPUTE_PGM_RSRC2:USER_SGPR: 6
; COMPUTE_PGM_RSRC2:TRAP_HANDLER: 0
; COMPUTE_PGM_RSRC2:TGID_X_EN: 1
; COMPUTE_PGM_RSRC2:TGID_Y_EN: 1
; COMPUTE_PGM_RSRC2:TGID_Z_EN: 0
; COMPUTE_PGM_RSRC2:TIDIG_COMP_CNT: 2
	.section	.text._ZN7rocprim17ROCPRIM_400000_NS6detail17trampoline_kernelINS0_14default_configENS1_36segmented_radix_sort_config_selectorIblEEZNS1_25segmented_radix_sort_implIS3_Lb1EPKbPbPKlPlN2at6native12_GLOBAL__N_18offset_tEEE10hipError_tPvRmT1_PNSt15iterator_traitsISK_E10value_typeET2_T3_PNSL_ISQ_E10value_typeET4_jRbjT5_SW_jjP12ihipStream_tbEUlT_E2_NS1_11comp_targetILNS1_3genE0ELNS1_11target_archE4294967295ELNS1_3gpuE0ELNS1_3repE0EEENS1_30default_config_static_selectorELNS0_4arch9wavefront6targetE0EEEvSK_,"axG",@progbits,_ZN7rocprim17ROCPRIM_400000_NS6detail17trampoline_kernelINS0_14default_configENS1_36segmented_radix_sort_config_selectorIblEEZNS1_25segmented_radix_sort_implIS3_Lb1EPKbPbPKlPlN2at6native12_GLOBAL__N_18offset_tEEE10hipError_tPvRmT1_PNSt15iterator_traitsISK_E10value_typeET2_T3_PNSL_ISQ_E10value_typeET4_jRbjT5_SW_jjP12ihipStream_tbEUlT_E2_NS1_11comp_targetILNS1_3genE0ELNS1_11target_archE4294967295ELNS1_3gpuE0ELNS1_3repE0EEENS1_30default_config_static_selectorELNS0_4arch9wavefront6targetE0EEEvSK_,comdat
	.globl	_ZN7rocprim17ROCPRIM_400000_NS6detail17trampoline_kernelINS0_14default_configENS1_36segmented_radix_sort_config_selectorIblEEZNS1_25segmented_radix_sort_implIS3_Lb1EPKbPbPKlPlN2at6native12_GLOBAL__N_18offset_tEEE10hipError_tPvRmT1_PNSt15iterator_traitsISK_E10value_typeET2_T3_PNSL_ISQ_E10value_typeET4_jRbjT5_SW_jjP12ihipStream_tbEUlT_E2_NS1_11comp_targetILNS1_3genE0ELNS1_11target_archE4294967295ELNS1_3gpuE0ELNS1_3repE0EEENS1_30default_config_static_selectorELNS0_4arch9wavefront6targetE0EEEvSK_ ; -- Begin function _ZN7rocprim17ROCPRIM_400000_NS6detail17trampoline_kernelINS0_14default_configENS1_36segmented_radix_sort_config_selectorIblEEZNS1_25segmented_radix_sort_implIS3_Lb1EPKbPbPKlPlN2at6native12_GLOBAL__N_18offset_tEEE10hipError_tPvRmT1_PNSt15iterator_traitsISK_E10value_typeET2_T3_PNSL_ISQ_E10value_typeET4_jRbjT5_SW_jjP12ihipStream_tbEUlT_E2_NS1_11comp_targetILNS1_3genE0ELNS1_11target_archE4294967295ELNS1_3gpuE0ELNS1_3repE0EEENS1_30default_config_static_selectorELNS0_4arch9wavefront6targetE0EEEvSK_
	.p2align	8
	.type	_ZN7rocprim17ROCPRIM_400000_NS6detail17trampoline_kernelINS0_14default_configENS1_36segmented_radix_sort_config_selectorIblEEZNS1_25segmented_radix_sort_implIS3_Lb1EPKbPbPKlPlN2at6native12_GLOBAL__N_18offset_tEEE10hipError_tPvRmT1_PNSt15iterator_traitsISK_E10value_typeET2_T3_PNSL_ISQ_E10value_typeET4_jRbjT5_SW_jjP12ihipStream_tbEUlT_E2_NS1_11comp_targetILNS1_3genE0ELNS1_11target_archE4294967295ELNS1_3gpuE0ELNS1_3repE0EEENS1_30default_config_static_selectorELNS0_4arch9wavefront6targetE0EEEvSK_,@function
_ZN7rocprim17ROCPRIM_400000_NS6detail17trampoline_kernelINS0_14default_configENS1_36segmented_radix_sort_config_selectorIblEEZNS1_25segmented_radix_sort_implIS3_Lb1EPKbPbPKlPlN2at6native12_GLOBAL__N_18offset_tEEE10hipError_tPvRmT1_PNSt15iterator_traitsISK_E10value_typeET2_T3_PNSL_ISQ_E10value_typeET4_jRbjT5_SW_jjP12ihipStream_tbEUlT_E2_NS1_11comp_targetILNS1_3genE0ELNS1_11target_archE4294967295ELNS1_3gpuE0ELNS1_3repE0EEENS1_30default_config_static_selectorELNS0_4arch9wavefront6targetE0EEEvSK_: ; @_ZN7rocprim17ROCPRIM_400000_NS6detail17trampoline_kernelINS0_14default_configENS1_36segmented_radix_sort_config_selectorIblEEZNS1_25segmented_radix_sort_implIS3_Lb1EPKbPbPKlPlN2at6native12_GLOBAL__N_18offset_tEEE10hipError_tPvRmT1_PNSt15iterator_traitsISK_E10value_typeET2_T3_PNSL_ISQ_E10value_typeET4_jRbjT5_SW_jjP12ihipStream_tbEUlT_E2_NS1_11comp_targetILNS1_3genE0ELNS1_11target_archE4294967295ELNS1_3gpuE0ELNS1_3repE0EEENS1_30default_config_static_selectorELNS0_4arch9wavefront6targetE0EEEvSK_
; %bb.0:
	.section	.rodata,"a",@progbits
	.p2align	6, 0x0
	.amdhsa_kernel _ZN7rocprim17ROCPRIM_400000_NS6detail17trampoline_kernelINS0_14default_configENS1_36segmented_radix_sort_config_selectorIblEEZNS1_25segmented_radix_sort_implIS3_Lb1EPKbPbPKlPlN2at6native12_GLOBAL__N_18offset_tEEE10hipError_tPvRmT1_PNSt15iterator_traitsISK_E10value_typeET2_T3_PNSL_ISQ_E10value_typeET4_jRbjT5_SW_jjP12ihipStream_tbEUlT_E2_NS1_11comp_targetILNS1_3genE0ELNS1_11target_archE4294967295ELNS1_3gpuE0ELNS1_3repE0EEENS1_30default_config_static_selectorELNS0_4arch9wavefront6targetE0EEEvSK_
		.amdhsa_group_segment_fixed_size 0
		.amdhsa_private_segment_fixed_size 0
		.amdhsa_kernarg_size 80
		.amdhsa_user_sgpr_count 6
		.amdhsa_user_sgpr_private_segment_buffer 1
		.amdhsa_user_sgpr_dispatch_ptr 0
		.amdhsa_user_sgpr_queue_ptr 0
		.amdhsa_user_sgpr_kernarg_segment_ptr 1
		.amdhsa_user_sgpr_dispatch_id 0
		.amdhsa_user_sgpr_flat_scratch_init 0
		.amdhsa_user_sgpr_private_segment_size 0
		.amdhsa_wavefront_size32 1
		.amdhsa_uses_dynamic_stack 0
		.amdhsa_system_sgpr_private_segment_wavefront_offset 0
		.amdhsa_system_sgpr_workgroup_id_x 1
		.amdhsa_system_sgpr_workgroup_id_y 0
		.amdhsa_system_sgpr_workgroup_id_z 0
		.amdhsa_system_sgpr_workgroup_info 0
		.amdhsa_system_vgpr_workitem_id 0
		.amdhsa_next_free_vgpr 1
		.amdhsa_next_free_sgpr 1
		.amdhsa_reserve_vcc 0
		.amdhsa_reserve_flat_scratch 0
		.amdhsa_float_round_mode_32 0
		.amdhsa_float_round_mode_16_64 0
		.amdhsa_float_denorm_mode_32 3
		.amdhsa_float_denorm_mode_16_64 3
		.amdhsa_dx10_clamp 1
		.amdhsa_ieee_mode 1
		.amdhsa_fp16_overflow 0
		.amdhsa_workgroup_processor_mode 1
		.amdhsa_memory_ordered 1
		.amdhsa_forward_progress 1
		.amdhsa_shared_vgpr_count 0
		.amdhsa_exception_fp_ieee_invalid_op 0
		.amdhsa_exception_fp_denorm_src 0
		.amdhsa_exception_fp_ieee_div_zero 0
		.amdhsa_exception_fp_ieee_overflow 0
		.amdhsa_exception_fp_ieee_underflow 0
		.amdhsa_exception_fp_ieee_inexact 0
		.amdhsa_exception_int_div_zero 0
	.end_amdhsa_kernel
	.section	.text._ZN7rocprim17ROCPRIM_400000_NS6detail17trampoline_kernelINS0_14default_configENS1_36segmented_radix_sort_config_selectorIblEEZNS1_25segmented_radix_sort_implIS3_Lb1EPKbPbPKlPlN2at6native12_GLOBAL__N_18offset_tEEE10hipError_tPvRmT1_PNSt15iterator_traitsISK_E10value_typeET2_T3_PNSL_ISQ_E10value_typeET4_jRbjT5_SW_jjP12ihipStream_tbEUlT_E2_NS1_11comp_targetILNS1_3genE0ELNS1_11target_archE4294967295ELNS1_3gpuE0ELNS1_3repE0EEENS1_30default_config_static_selectorELNS0_4arch9wavefront6targetE0EEEvSK_,"axG",@progbits,_ZN7rocprim17ROCPRIM_400000_NS6detail17trampoline_kernelINS0_14default_configENS1_36segmented_radix_sort_config_selectorIblEEZNS1_25segmented_radix_sort_implIS3_Lb1EPKbPbPKlPlN2at6native12_GLOBAL__N_18offset_tEEE10hipError_tPvRmT1_PNSt15iterator_traitsISK_E10value_typeET2_T3_PNSL_ISQ_E10value_typeET4_jRbjT5_SW_jjP12ihipStream_tbEUlT_E2_NS1_11comp_targetILNS1_3genE0ELNS1_11target_archE4294967295ELNS1_3gpuE0ELNS1_3repE0EEENS1_30default_config_static_selectorELNS0_4arch9wavefront6targetE0EEEvSK_,comdat
.Lfunc_end1553:
	.size	_ZN7rocprim17ROCPRIM_400000_NS6detail17trampoline_kernelINS0_14default_configENS1_36segmented_radix_sort_config_selectorIblEEZNS1_25segmented_radix_sort_implIS3_Lb1EPKbPbPKlPlN2at6native12_GLOBAL__N_18offset_tEEE10hipError_tPvRmT1_PNSt15iterator_traitsISK_E10value_typeET2_T3_PNSL_ISQ_E10value_typeET4_jRbjT5_SW_jjP12ihipStream_tbEUlT_E2_NS1_11comp_targetILNS1_3genE0ELNS1_11target_archE4294967295ELNS1_3gpuE0ELNS1_3repE0EEENS1_30default_config_static_selectorELNS0_4arch9wavefront6targetE0EEEvSK_, .Lfunc_end1553-_ZN7rocprim17ROCPRIM_400000_NS6detail17trampoline_kernelINS0_14default_configENS1_36segmented_radix_sort_config_selectorIblEEZNS1_25segmented_radix_sort_implIS3_Lb1EPKbPbPKlPlN2at6native12_GLOBAL__N_18offset_tEEE10hipError_tPvRmT1_PNSt15iterator_traitsISK_E10value_typeET2_T3_PNSL_ISQ_E10value_typeET4_jRbjT5_SW_jjP12ihipStream_tbEUlT_E2_NS1_11comp_targetILNS1_3genE0ELNS1_11target_archE4294967295ELNS1_3gpuE0ELNS1_3repE0EEENS1_30default_config_static_selectorELNS0_4arch9wavefront6targetE0EEEvSK_
                                        ; -- End function
	.set _ZN7rocprim17ROCPRIM_400000_NS6detail17trampoline_kernelINS0_14default_configENS1_36segmented_radix_sort_config_selectorIblEEZNS1_25segmented_radix_sort_implIS3_Lb1EPKbPbPKlPlN2at6native12_GLOBAL__N_18offset_tEEE10hipError_tPvRmT1_PNSt15iterator_traitsISK_E10value_typeET2_T3_PNSL_ISQ_E10value_typeET4_jRbjT5_SW_jjP12ihipStream_tbEUlT_E2_NS1_11comp_targetILNS1_3genE0ELNS1_11target_archE4294967295ELNS1_3gpuE0ELNS1_3repE0EEENS1_30default_config_static_selectorELNS0_4arch9wavefront6targetE0EEEvSK_.num_vgpr, 0
	.set _ZN7rocprim17ROCPRIM_400000_NS6detail17trampoline_kernelINS0_14default_configENS1_36segmented_radix_sort_config_selectorIblEEZNS1_25segmented_radix_sort_implIS3_Lb1EPKbPbPKlPlN2at6native12_GLOBAL__N_18offset_tEEE10hipError_tPvRmT1_PNSt15iterator_traitsISK_E10value_typeET2_T3_PNSL_ISQ_E10value_typeET4_jRbjT5_SW_jjP12ihipStream_tbEUlT_E2_NS1_11comp_targetILNS1_3genE0ELNS1_11target_archE4294967295ELNS1_3gpuE0ELNS1_3repE0EEENS1_30default_config_static_selectorELNS0_4arch9wavefront6targetE0EEEvSK_.num_agpr, 0
	.set _ZN7rocprim17ROCPRIM_400000_NS6detail17trampoline_kernelINS0_14default_configENS1_36segmented_radix_sort_config_selectorIblEEZNS1_25segmented_radix_sort_implIS3_Lb1EPKbPbPKlPlN2at6native12_GLOBAL__N_18offset_tEEE10hipError_tPvRmT1_PNSt15iterator_traitsISK_E10value_typeET2_T3_PNSL_ISQ_E10value_typeET4_jRbjT5_SW_jjP12ihipStream_tbEUlT_E2_NS1_11comp_targetILNS1_3genE0ELNS1_11target_archE4294967295ELNS1_3gpuE0ELNS1_3repE0EEENS1_30default_config_static_selectorELNS0_4arch9wavefront6targetE0EEEvSK_.numbered_sgpr, 0
	.set _ZN7rocprim17ROCPRIM_400000_NS6detail17trampoline_kernelINS0_14default_configENS1_36segmented_radix_sort_config_selectorIblEEZNS1_25segmented_radix_sort_implIS3_Lb1EPKbPbPKlPlN2at6native12_GLOBAL__N_18offset_tEEE10hipError_tPvRmT1_PNSt15iterator_traitsISK_E10value_typeET2_T3_PNSL_ISQ_E10value_typeET4_jRbjT5_SW_jjP12ihipStream_tbEUlT_E2_NS1_11comp_targetILNS1_3genE0ELNS1_11target_archE4294967295ELNS1_3gpuE0ELNS1_3repE0EEENS1_30default_config_static_selectorELNS0_4arch9wavefront6targetE0EEEvSK_.num_named_barrier, 0
	.set _ZN7rocprim17ROCPRIM_400000_NS6detail17trampoline_kernelINS0_14default_configENS1_36segmented_radix_sort_config_selectorIblEEZNS1_25segmented_radix_sort_implIS3_Lb1EPKbPbPKlPlN2at6native12_GLOBAL__N_18offset_tEEE10hipError_tPvRmT1_PNSt15iterator_traitsISK_E10value_typeET2_T3_PNSL_ISQ_E10value_typeET4_jRbjT5_SW_jjP12ihipStream_tbEUlT_E2_NS1_11comp_targetILNS1_3genE0ELNS1_11target_archE4294967295ELNS1_3gpuE0ELNS1_3repE0EEENS1_30default_config_static_selectorELNS0_4arch9wavefront6targetE0EEEvSK_.private_seg_size, 0
	.set _ZN7rocprim17ROCPRIM_400000_NS6detail17trampoline_kernelINS0_14default_configENS1_36segmented_radix_sort_config_selectorIblEEZNS1_25segmented_radix_sort_implIS3_Lb1EPKbPbPKlPlN2at6native12_GLOBAL__N_18offset_tEEE10hipError_tPvRmT1_PNSt15iterator_traitsISK_E10value_typeET2_T3_PNSL_ISQ_E10value_typeET4_jRbjT5_SW_jjP12ihipStream_tbEUlT_E2_NS1_11comp_targetILNS1_3genE0ELNS1_11target_archE4294967295ELNS1_3gpuE0ELNS1_3repE0EEENS1_30default_config_static_selectorELNS0_4arch9wavefront6targetE0EEEvSK_.uses_vcc, 0
	.set _ZN7rocprim17ROCPRIM_400000_NS6detail17trampoline_kernelINS0_14default_configENS1_36segmented_radix_sort_config_selectorIblEEZNS1_25segmented_radix_sort_implIS3_Lb1EPKbPbPKlPlN2at6native12_GLOBAL__N_18offset_tEEE10hipError_tPvRmT1_PNSt15iterator_traitsISK_E10value_typeET2_T3_PNSL_ISQ_E10value_typeET4_jRbjT5_SW_jjP12ihipStream_tbEUlT_E2_NS1_11comp_targetILNS1_3genE0ELNS1_11target_archE4294967295ELNS1_3gpuE0ELNS1_3repE0EEENS1_30default_config_static_selectorELNS0_4arch9wavefront6targetE0EEEvSK_.uses_flat_scratch, 0
	.set _ZN7rocprim17ROCPRIM_400000_NS6detail17trampoline_kernelINS0_14default_configENS1_36segmented_radix_sort_config_selectorIblEEZNS1_25segmented_radix_sort_implIS3_Lb1EPKbPbPKlPlN2at6native12_GLOBAL__N_18offset_tEEE10hipError_tPvRmT1_PNSt15iterator_traitsISK_E10value_typeET2_T3_PNSL_ISQ_E10value_typeET4_jRbjT5_SW_jjP12ihipStream_tbEUlT_E2_NS1_11comp_targetILNS1_3genE0ELNS1_11target_archE4294967295ELNS1_3gpuE0ELNS1_3repE0EEENS1_30default_config_static_selectorELNS0_4arch9wavefront6targetE0EEEvSK_.has_dyn_sized_stack, 0
	.set _ZN7rocprim17ROCPRIM_400000_NS6detail17trampoline_kernelINS0_14default_configENS1_36segmented_radix_sort_config_selectorIblEEZNS1_25segmented_radix_sort_implIS3_Lb1EPKbPbPKlPlN2at6native12_GLOBAL__N_18offset_tEEE10hipError_tPvRmT1_PNSt15iterator_traitsISK_E10value_typeET2_T3_PNSL_ISQ_E10value_typeET4_jRbjT5_SW_jjP12ihipStream_tbEUlT_E2_NS1_11comp_targetILNS1_3genE0ELNS1_11target_archE4294967295ELNS1_3gpuE0ELNS1_3repE0EEENS1_30default_config_static_selectorELNS0_4arch9wavefront6targetE0EEEvSK_.has_recursion, 0
	.set _ZN7rocprim17ROCPRIM_400000_NS6detail17trampoline_kernelINS0_14default_configENS1_36segmented_radix_sort_config_selectorIblEEZNS1_25segmented_radix_sort_implIS3_Lb1EPKbPbPKlPlN2at6native12_GLOBAL__N_18offset_tEEE10hipError_tPvRmT1_PNSt15iterator_traitsISK_E10value_typeET2_T3_PNSL_ISQ_E10value_typeET4_jRbjT5_SW_jjP12ihipStream_tbEUlT_E2_NS1_11comp_targetILNS1_3genE0ELNS1_11target_archE4294967295ELNS1_3gpuE0ELNS1_3repE0EEENS1_30default_config_static_selectorELNS0_4arch9wavefront6targetE0EEEvSK_.has_indirect_call, 0
	.section	.AMDGPU.csdata,"",@progbits
; Kernel info:
; codeLenInByte = 0
; TotalNumSgprs: 0
; NumVgprs: 0
; ScratchSize: 0
; MemoryBound: 0
; FloatMode: 240
; IeeeMode: 1
; LDSByteSize: 0 bytes/workgroup (compile time only)
; SGPRBlocks: 0
; VGPRBlocks: 0
; NumSGPRsForWavesPerEU: 1
; NumVGPRsForWavesPerEU: 1
; Occupancy: 16
; WaveLimiterHint : 0
; COMPUTE_PGM_RSRC2:SCRATCH_EN: 0
; COMPUTE_PGM_RSRC2:USER_SGPR: 6
; COMPUTE_PGM_RSRC2:TRAP_HANDLER: 0
; COMPUTE_PGM_RSRC2:TGID_X_EN: 1
; COMPUTE_PGM_RSRC2:TGID_Y_EN: 0
; COMPUTE_PGM_RSRC2:TGID_Z_EN: 0
; COMPUTE_PGM_RSRC2:TIDIG_COMP_CNT: 0
	.section	.text._ZN7rocprim17ROCPRIM_400000_NS6detail17trampoline_kernelINS0_14default_configENS1_36segmented_radix_sort_config_selectorIblEEZNS1_25segmented_radix_sort_implIS3_Lb1EPKbPbPKlPlN2at6native12_GLOBAL__N_18offset_tEEE10hipError_tPvRmT1_PNSt15iterator_traitsISK_E10value_typeET2_T3_PNSL_ISQ_E10value_typeET4_jRbjT5_SW_jjP12ihipStream_tbEUlT_E2_NS1_11comp_targetILNS1_3genE5ELNS1_11target_archE942ELNS1_3gpuE9ELNS1_3repE0EEENS1_30default_config_static_selectorELNS0_4arch9wavefront6targetE0EEEvSK_,"axG",@progbits,_ZN7rocprim17ROCPRIM_400000_NS6detail17trampoline_kernelINS0_14default_configENS1_36segmented_radix_sort_config_selectorIblEEZNS1_25segmented_radix_sort_implIS3_Lb1EPKbPbPKlPlN2at6native12_GLOBAL__N_18offset_tEEE10hipError_tPvRmT1_PNSt15iterator_traitsISK_E10value_typeET2_T3_PNSL_ISQ_E10value_typeET4_jRbjT5_SW_jjP12ihipStream_tbEUlT_E2_NS1_11comp_targetILNS1_3genE5ELNS1_11target_archE942ELNS1_3gpuE9ELNS1_3repE0EEENS1_30default_config_static_selectorELNS0_4arch9wavefront6targetE0EEEvSK_,comdat
	.globl	_ZN7rocprim17ROCPRIM_400000_NS6detail17trampoline_kernelINS0_14default_configENS1_36segmented_radix_sort_config_selectorIblEEZNS1_25segmented_radix_sort_implIS3_Lb1EPKbPbPKlPlN2at6native12_GLOBAL__N_18offset_tEEE10hipError_tPvRmT1_PNSt15iterator_traitsISK_E10value_typeET2_T3_PNSL_ISQ_E10value_typeET4_jRbjT5_SW_jjP12ihipStream_tbEUlT_E2_NS1_11comp_targetILNS1_3genE5ELNS1_11target_archE942ELNS1_3gpuE9ELNS1_3repE0EEENS1_30default_config_static_selectorELNS0_4arch9wavefront6targetE0EEEvSK_ ; -- Begin function _ZN7rocprim17ROCPRIM_400000_NS6detail17trampoline_kernelINS0_14default_configENS1_36segmented_radix_sort_config_selectorIblEEZNS1_25segmented_radix_sort_implIS3_Lb1EPKbPbPKlPlN2at6native12_GLOBAL__N_18offset_tEEE10hipError_tPvRmT1_PNSt15iterator_traitsISK_E10value_typeET2_T3_PNSL_ISQ_E10value_typeET4_jRbjT5_SW_jjP12ihipStream_tbEUlT_E2_NS1_11comp_targetILNS1_3genE5ELNS1_11target_archE942ELNS1_3gpuE9ELNS1_3repE0EEENS1_30default_config_static_selectorELNS0_4arch9wavefront6targetE0EEEvSK_
	.p2align	8
	.type	_ZN7rocprim17ROCPRIM_400000_NS6detail17trampoline_kernelINS0_14default_configENS1_36segmented_radix_sort_config_selectorIblEEZNS1_25segmented_radix_sort_implIS3_Lb1EPKbPbPKlPlN2at6native12_GLOBAL__N_18offset_tEEE10hipError_tPvRmT1_PNSt15iterator_traitsISK_E10value_typeET2_T3_PNSL_ISQ_E10value_typeET4_jRbjT5_SW_jjP12ihipStream_tbEUlT_E2_NS1_11comp_targetILNS1_3genE5ELNS1_11target_archE942ELNS1_3gpuE9ELNS1_3repE0EEENS1_30default_config_static_selectorELNS0_4arch9wavefront6targetE0EEEvSK_,@function
_ZN7rocprim17ROCPRIM_400000_NS6detail17trampoline_kernelINS0_14default_configENS1_36segmented_radix_sort_config_selectorIblEEZNS1_25segmented_radix_sort_implIS3_Lb1EPKbPbPKlPlN2at6native12_GLOBAL__N_18offset_tEEE10hipError_tPvRmT1_PNSt15iterator_traitsISK_E10value_typeET2_T3_PNSL_ISQ_E10value_typeET4_jRbjT5_SW_jjP12ihipStream_tbEUlT_E2_NS1_11comp_targetILNS1_3genE5ELNS1_11target_archE942ELNS1_3gpuE9ELNS1_3repE0EEENS1_30default_config_static_selectorELNS0_4arch9wavefront6targetE0EEEvSK_: ; @_ZN7rocprim17ROCPRIM_400000_NS6detail17trampoline_kernelINS0_14default_configENS1_36segmented_radix_sort_config_selectorIblEEZNS1_25segmented_radix_sort_implIS3_Lb1EPKbPbPKlPlN2at6native12_GLOBAL__N_18offset_tEEE10hipError_tPvRmT1_PNSt15iterator_traitsISK_E10value_typeET2_T3_PNSL_ISQ_E10value_typeET4_jRbjT5_SW_jjP12ihipStream_tbEUlT_E2_NS1_11comp_targetILNS1_3genE5ELNS1_11target_archE942ELNS1_3gpuE9ELNS1_3repE0EEENS1_30default_config_static_selectorELNS0_4arch9wavefront6targetE0EEEvSK_
; %bb.0:
	.section	.rodata,"a",@progbits
	.p2align	6, 0x0
	.amdhsa_kernel _ZN7rocprim17ROCPRIM_400000_NS6detail17trampoline_kernelINS0_14default_configENS1_36segmented_radix_sort_config_selectorIblEEZNS1_25segmented_radix_sort_implIS3_Lb1EPKbPbPKlPlN2at6native12_GLOBAL__N_18offset_tEEE10hipError_tPvRmT1_PNSt15iterator_traitsISK_E10value_typeET2_T3_PNSL_ISQ_E10value_typeET4_jRbjT5_SW_jjP12ihipStream_tbEUlT_E2_NS1_11comp_targetILNS1_3genE5ELNS1_11target_archE942ELNS1_3gpuE9ELNS1_3repE0EEENS1_30default_config_static_selectorELNS0_4arch9wavefront6targetE0EEEvSK_
		.amdhsa_group_segment_fixed_size 0
		.amdhsa_private_segment_fixed_size 0
		.amdhsa_kernarg_size 80
		.amdhsa_user_sgpr_count 6
		.amdhsa_user_sgpr_private_segment_buffer 1
		.amdhsa_user_sgpr_dispatch_ptr 0
		.amdhsa_user_sgpr_queue_ptr 0
		.amdhsa_user_sgpr_kernarg_segment_ptr 1
		.amdhsa_user_sgpr_dispatch_id 0
		.amdhsa_user_sgpr_flat_scratch_init 0
		.amdhsa_user_sgpr_private_segment_size 0
		.amdhsa_wavefront_size32 1
		.amdhsa_uses_dynamic_stack 0
		.amdhsa_system_sgpr_private_segment_wavefront_offset 0
		.amdhsa_system_sgpr_workgroup_id_x 1
		.amdhsa_system_sgpr_workgroup_id_y 0
		.amdhsa_system_sgpr_workgroup_id_z 0
		.amdhsa_system_sgpr_workgroup_info 0
		.amdhsa_system_vgpr_workitem_id 0
		.amdhsa_next_free_vgpr 1
		.amdhsa_next_free_sgpr 1
		.amdhsa_reserve_vcc 0
		.amdhsa_reserve_flat_scratch 0
		.amdhsa_float_round_mode_32 0
		.amdhsa_float_round_mode_16_64 0
		.amdhsa_float_denorm_mode_32 3
		.amdhsa_float_denorm_mode_16_64 3
		.amdhsa_dx10_clamp 1
		.amdhsa_ieee_mode 1
		.amdhsa_fp16_overflow 0
		.amdhsa_workgroup_processor_mode 1
		.amdhsa_memory_ordered 1
		.amdhsa_forward_progress 1
		.amdhsa_shared_vgpr_count 0
		.amdhsa_exception_fp_ieee_invalid_op 0
		.amdhsa_exception_fp_denorm_src 0
		.amdhsa_exception_fp_ieee_div_zero 0
		.amdhsa_exception_fp_ieee_overflow 0
		.amdhsa_exception_fp_ieee_underflow 0
		.amdhsa_exception_fp_ieee_inexact 0
		.amdhsa_exception_int_div_zero 0
	.end_amdhsa_kernel
	.section	.text._ZN7rocprim17ROCPRIM_400000_NS6detail17trampoline_kernelINS0_14default_configENS1_36segmented_radix_sort_config_selectorIblEEZNS1_25segmented_radix_sort_implIS3_Lb1EPKbPbPKlPlN2at6native12_GLOBAL__N_18offset_tEEE10hipError_tPvRmT1_PNSt15iterator_traitsISK_E10value_typeET2_T3_PNSL_ISQ_E10value_typeET4_jRbjT5_SW_jjP12ihipStream_tbEUlT_E2_NS1_11comp_targetILNS1_3genE5ELNS1_11target_archE942ELNS1_3gpuE9ELNS1_3repE0EEENS1_30default_config_static_selectorELNS0_4arch9wavefront6targetE0EEEvSK_,"axG",@progbits,_ZN7rocprim17ROCPRIM_400000_NS6detail17trampoline_kernelINS0_14default_configENS1_36segmented_radix_sort_config_selectorIblEEZNS1_25segmented_radix_sort_implIS3_Lb1EPKbPbPKlPlN2at6native12_GLOBAL__N_18offset_tEEE10hipError_tPvRmT1_PNSt15iterator_traitsISK_E10value_typeET2_T3_PNSL_ISQ_E10value_typeET4_jRbjT5_SW_jjP12ihipStream_tbEUlT_E2_NS1_11comp_targetILNS1_3genE5ELNS1_11target_archE942ELNS1_3gpuE9ELNS1_3repE0EEENS1_30default_config_static_selectorELNS0_4arch9wavefront6targetE0EEEvSK_,comdat
.Lfunc_end1554:
	.size	_ZN7rocprim17ROCPRIM_400000_NS6detail17trampoline_kernelINS0_14default_configENS1_36segmented_radix_sort_config_selectorIblEEZNS1_25segmented_radix_sort_implIS3_Lb1EPKbPbPKlPlN2at6native12_GLOBAL__N_18offset_tEEE10hipError_tPvRmT1_PNSt15iterator_traitsISK_E10value_typeET2_T3_PNSL_ISQ_E10value_typeET4_jRbjT5_SW_jjP12ihipStream_tbEUlT_E2_NS1_11comp_targetILNS1_3genE5ELNS1_11target_archE942ELNS1_3gpuE9ELNS1_3repE0EEENS1_30default_config_static_selectorELNS0_4arch9wavefront6targetE0EEEvSK_, .Lfunc_end1554-_ZN7rocprim17ROCPRIM_400000_NS6detail17trampoline_kernelINS0_14default_configENS1_36segmented_radix_sort_config_selectorIblEEZNS1_25segmented_radix_sort_implIS3_Lb1EPKbPbPKlPlN2at6native12_GLOBAL__N_18offset_tEEE10hipError_tPvRmT1_PNSt15iterator_traitsISK_E10value_typeET2_T3_PNSL_ISQ_E10value_typeET4_jRbjT5_SW_jjP12ihipStream_tbEUlT_E2_NS1_11comp_targetILNS1_3genE5ELNS1_11target_archE942ELNS1_3gpuE9ELNS1_3repE0EEENS1_30default_config_static_selectorELNS0_4arch9wavefront6targetE0EEEvSK_
                                        ; -- End function
	.set _ZN7rocprim17ROCPRIM_400000_NS6detail17trampoline_kernelINS0_14default_configENS1_36segmented_radix_sort_config_selectorIblEEZNS1_25segmented_radix_sort_implIS3_Lb1EPKbPbPKlPlN2at6native12_GLOBAL__N_18offset_tEEE10hipError_tPvRmT1_PNSt15iterator_traitsISK_E10value_typeET2_T3_PNSL_ISQ_E10value_typeET4_jRbjT5_SW_jjP12ihipStream_tbEUlT_E2_NS1_11comp_targetILNS1_3genE5ELNS1_11target_archE942ELNS1_3gpuE9ELNS1_3repE0EEENS1_30default_config_static_selectorELNS0_4arch9wavefront6targetE0EEEvSK_.num_vgpr, 0
	.set _ZN7rocprim17ROCPRIM_400000_NS6detail17trampoline_kernelINS0_14default_configENS1_36segmented_radix_sort_config_selectorIblEEZNS1_25segmented_radix_sort_implIS3_Lb1EPKbPbPKlPlN2at6native12_GLOBAL__N_18offset_tEEE10hipError_tPvRmT1_PNSt15iterator_traitsISK_E10value_typeET2_T3_PNSL_ISQ_E10value_typeET4_jRbjT5_SW_jjP12ihipStream_tbEUlT_E2_NS1_11comp_targetILNS1_3genE5ELNS1_11target_archE942ELNS1_3gpuE9ELNS1_3repE0EEENS1_30default_config_static_selectorELNS0_4arch9wavefront6targetE0EEEvSK_.num_agpr, 0
	.set _ZN7rocprim17ROCPRIM_400000_NS6detail17trampoline_kernelINS0_14default_configENS1_36segmented_radix_sort_config_selectorIblEEZNS1_25segmented_radix_sort_implIS3_Lb1EPKbPbPKlPlN2at6native12_GLOBAL__N_18offset_tEEE10hipError_tPvRmT1_PNSt15iterator_traitsISK_E10value_typeET2_T3_PNSL_ISQ_E10value_typeET4_jRbjT5_SW_jjP12ihipStream_tbEUlT_E2_NS1_11comp_targetILNS1_3genE5ELNS1_11target_archE942ELNS1_3gpuE9ELNS1_3repE0EEENS1_30default_config_static_selectorELNS0_4arch9wavefront6targetE0EEEvSK_.numbered_sgpr, 0
	.set _ZN7rocprim17ROCPRIM_400000_NS6detail17trampoline_kernelINS0_14default_configENS1_36segmented_radix_sort_config_selectorIblEEZNS1_25segmented_radix_sort_implIS3_Lb1EPKbPbPKlPlN2at6native12_GLOBAL__N_18offset_tEEE10hipError_tPvRmT1_PNSt15iterator_traitsISK_E10value_typeET2_T3_PNSL_ISQ_E10value_typeET4_jRbjT5_SW_jjP12ihipStream_tbEUlT_E2_NS1_11comp_targetILNS1_3genE5ELNS1_11target_archE942ELNS1_3gpuE9ELNS1_3repE0EEENS1_30default_config_static_selectorELNS0_4arch9wavefront6targetE0EEEvSK_.num_named_barrier, 0
	.set _ZN7rocprim17ROCPRIM_400000_NS6detail17trampoline_kernelINS0_14default_configENS1_36segmented_radix_sort_config_selectorIblEEZNS1_25segmented_radix_sort_implIS3_Lb1EPKbPbPKlPlN2at6native12_GLOBAL__N_18offset_tEEE10hipError_tPvRmT1_PNSt15iterator_traitsISK_E10value_typeET2_T3_PNSL_ISQ_E10value_typeET4_jRbjT5_SW_jjP12ihipStream_tbEUlT_E2_NS1_11comp_targetILNS1_3genE5ELNS1_11target_archE942ELNS1_3gpuE9ELNS1_3repE0EEENS1_30default_config_static_selectorELNS0_4arch9wavefront6targetE0EEEvSK_.private_seg_size, 0
	.set _ZN7rocprim17ROCPRIM_400000_NS6detail17trampoline_kernelINS0_14default_configENS1_36segmented_radix_sort_config_selectorIblEEZNS1_25segmented_radix_sort_implIS3_Lb1EPKbPbPKlPlN2at6native12_GLOBAL__N_18offset_tEEE10hipError_tPvRmT1_PNSt15iterator_traitsISK_E10value_typeET2_T3_PNSL_ISQ_E10value_typeET4_jRbjT5_SW_jjP12ihipStream_tbEUlT_E2_NS1_11comp_targetILNS1_3genE5ELNS1_11target_archE942ELNS1_3gpuE9ELNS1_3repE0EEENS1_30default_config_static_selectorELNS0_4arch9wavefront6targetE0EEEvSK_.uses_vcc, 0
	.set _ZN7rocprim17ROCPRIM_400000_NS6detail17trampoline_kernelINS0_14default_configENS1_36segmented_radix_sort_config_selectorIblEEZNS1_25segmented_radix_sort_implIS3_Lb1EPKbPbPKlPlN2at6native12_GLOBAL__N_18offset_tEEE10hipError_tPvRmT1_PNSt15iterator_traitsISK_E10value_typeET2_T3_PNSL_ISQ_E10value_typeET4_jRbjT5_SW_jjP12ihipStream_tbEUlT_E2_NS1_11comp_targetILNS1_3genE5ELNS1_11target_archE942ELNS1_3gpuE9ELNS1_3repE0EEENS1_30default_config_static_selectorELNS0_4arch9wavefront6targetE0EEEvSK_.uses_flat_scratch, 0
	.set _ZN7rocprim17ROCPRIM_400000_NS6detail17trampoline_kernelINS0_14default_configENS1_36segmented_radix_sort_config_selectorIblEEZNS1_25segmented_radix_sort_implIS3_Lb1EPKbPbPKlPlN2at6native12_GLOBAL__N_18offset_tEEE10hipError_tPvRmT1_PNSt15iterator_traitsISK_E10value_typeET2_T3_PNSL_ISQ_E10value_typeET4_jRbjT5_SW_jjP12ihipStream_tbEUlT_E2_NS1_11comp_targetILNS1_3genE5ELNS1_11target_archE942ELNS1_3gpuE9ELNS1_3repE0EEENS1_30default_config_static_selectorELNS0_4arch9wavefront6targetE0EEEvSK_.has_dyn_sized_stack, 0
	.set _ZN7rocprim17ROCPRIM_400000_NS6detail17trampoline_kernelINS0_14default_configENS1_36segmented_radix_sort_config_selectorIblEEZNS1_25segmented_radix_sort_implIS3_Lb1EPKbPbPKlPlN2at6native12_GLOBAL__N_18offset_tEEE10hipError_tPvRmT1_PNSt15iterator_traitsISK_E10value_typeET2_T3_PNSL_ISQ_E10value_typeET4_jRbjT5_SW_jjP12ihipStream_tbEUlT_E2_NS1_11comp_targetILNS1_3genE5ELNS1_11target_archE942ELNS1_3gpuE9ELNS1_3repE0EEENS1_30default_config_static_selectorELNS0_4arch9wavefront6targetE0EEEvSK_.has_recursion, 0
	.set _ZN7rocprim17ROCPRIM_400000_NS6detail17trampoline_kernelINS0_14default_configENS1_36segmented_radix_sort_config_selectorIblEEZNS1_25segmented_radix_sort_implIS3_Lb1EPKbPbPKlPlN2at6native12_GLOBAL__N_18offset_tEEE10hipError_tPvRmT1_PNSt15iterator_traitsISK_E10value_typeET2_T3_PNSL_ISQ_E10value_typeET4_jRbjT5_SW_jjP12ihipStream_tbEUlT_E2_NS1_11comp_targetILNS1_3genE5ELNS1_11target_archE942ELNS1_3gpuE9ELNS1_3repE0EEENS1_30default_config_static_selectorELNS0_4arch9wavefront6targetE0EEEvSK_.has_indirect_call, 0
	.section	.AMDGPU.csdata,"",@progbits
; Kernel info:
; codeLenInByte = 0
; TotalNumSgprs: 0
; NumVgprs: 0
; ScratchSize: 0
; MemoryBound: 0
; FloatMode: 240
; IeeeMode: 1
; LDSByteSize: 0 bytes/workgroup (compile time only)
; SGPRBlocks: 0
; VGPRBlocks: 0
; NumSGPRsForWavesPerEU: 1
; NumVGPRsForWavesPerEU: 1
; Occupancy: 16
; WaveLimiterHint : 0
; COMPUTE_PGM_RSRC2:SCRATCH_EN: 0
; COMPUTE_PGM_RSRC2:USER_SGPR: 6
; COMPUTE_PGM_RSRC2:TRAP_HANDLER: 0
; COMPUTE_PGM_RSRC2:TGID_X_EN: 1
; COMPUTE_PGM_RSRC2:TGID_Y_EN: 0
; COMPUTE_PGM_RSRC2:TGID_Z_EN: 0
; COMPUTE_PGM_RSRC2:TIDIG_COMP_CNT: 0
	.section	.text._ZN7rocprim17ROCPRIM_400000_NS6detail17trampoline_kernelINS0_14default_configENS1_36segmented_radix_sort_config_selectorIblEEZNS1_25segmented_radix_sort_implIS3_Lb1EPKbPbPKlPlN2at6native12_GLOBAL__N_18offset_tEEE10hipError_tPvRmT1_PNSt15iterator_traitsISK_E10value_typeET2_T3_PNSL_ISQ_E10value_typeET4_jRbjT5_SW_jjP12ihipStream_tbEUlT_E2_NS1_11comp_targetILNS1_3genE4ELNS1_11target_archE910ELNS1_3gpuE8ELNS1_3repE0EEENS1_30default_config_static_selectorELNS0_4arch9wavefront6targetE0EEEvSK_,"axG",@progbits,_ZN7rocprim17ROCPRIM_400000_NS6detail17trampoline_kernelINS0_14default_configENS1_36segmented_radix_sort_config_selectorIblEEZNS1_25segmented_radix_sort_implIS3_Lb1EPKbPbPKlPlN2at6native12_GLOBAL__N_18offset_tEEE10hipError_tPvRmT1_PNSt15iterator_traitsISK_E10value_typeET2_T3_PNSL_ISQ_E10value_typeET4_jRbjT5_SW_jjP12ihipStream_tbEUlT_E2_NS1_11comp_targetILNS1_3genE4ELNS1_11target_archE910ELNS1_3gpuE8ELNS1_3repE0EEENS1_30default_config_static_selectorELNS0_4arch9wavefront6targetE0EEEvSK_,comdat
	.globl	_ZN7rocprim17ROCPRIM_400000_NS6detail17trampoline_kernelINS0_14default_configENS1_36segmented_radix_sort_config_selectorIblEEZNS1_25segmented_radix_sort_implIS3_Lb1EPKbPbPKlPlN2at6native12_GLOBAL__N_18offset_tEEE10hipError_tPvRmT1_PNSt15iterator_traitsISK_E10value_typeET2_T3_PNSL_ISQ_E10value_typeET4_jRbjT5_SW_jjP12ihipStream_tbEUlT_E2_NS1_11comp_targetILNS1_3genE4ELNS1_11target_archE910ELNS1_3gpuE8ELNS1_3repE0EEENS1_30default_config_static_selectorELNS0_4arch9wavefront6targetE0EEEvSK_ ; -- Begin function _ZN7rocprim17ROCPRIM_400000_NS6detail17trampoline_kernelINS0_14default_configENS1_36segmented_radix_sort_config_selectorIblEEZNS1_25segmented_radix_sort_implIS3_Lb1EPKbPbPKlPlN2at6native12_GLOBAL__N_18offset_tEEE10hipError_tPvRmT1_PNSt15iterator_traitsISK_E10value_typeET2_T3_PNSL_ISQ_E10value_typeET4_jRbjT5_SW_jjP12ihipStream_tbEUlT_E2_NS1_11comp_targetILNS1_3genE4ELNS1_11target_archE910ELNS1_3gpuE8ELNS1_3repE0EEENS1_30default_config_static_selectorELNS0_4arch9wavefront6targetE0EEEvSK_
	.p2align	8
	.type	_ZN7rocprim17ROCPRIM_400000_NS6detail17trampoline_kernelINS0_14default_configENS1_36segmented_radix_sort_config_selectorIblEEZNS1_25segmented_radix_sort_implIS3_Lb1EPKbPbPKlPlN2at6native12_GLOBAL__N_18offset_tEEE10hipError_tPvRmT1_PNSt15iterator_traitsISK_E10value_typeET2_T3_PNSL_ISQ_E10value_typeET4_jRbjT5_SW_jjP12ihipStream_tbEUlT_E2_NS1_11comp_targetILNS1_3genE4ELNS1_11target_archE910ELNS1_3gpuE8ELNS1_3repE0EEENS1_30default_config_static_selectorELNS0_4arch9wavefront6targetE0EEEvSK_,@function
_ZN7rocprim17ROCPRIM_400000_NS6detail17trampoline_kernelINS0_14default_configENS1_36segmented_radix_sort_config_selectorIblEEZNS1_25segmented_radix_sort_implIS3_Lb1EPKbPbPKlPlN2at6native12_GLOBAL__N_18offset_tEEE10hipError_tPvRmT1_PNSt15iterator_traitsISK_E10value_typeET2_T3_PNSL_ISQ_E10value_typeET4_jRbjT5_SW_jjP12ihipStream_tbEUlT_E2_NS1_11comp_targetILNS1_3genE4ELNS1_11target_archE910ELNS1_3gpuE8ELNS1_3repE0EEENS1_30default_config_static_selectorELNS0_4arch9wavefront6targetE0EEEvSK_: ; @_ZN7rocprim17ROCPRIM_400000_NS6detail17trampoline_kernelINS0_14default_configENS1_36segmented_radix_sort_config_selectorIblEEZNS1_25segmented_radix_sort_implIS3_Lb1EPKbPbPKlPlN2at6native12_GLOBAL__N_18offset_tEEE10hipError_tPvRmT1_PNSt15iterator_traitsISK_E10value_typeET2_T3_PNSL_ISQ_E10value_typeET4_jRbjT5_SW_jjP12ihipStream_tbEUlT_E2_NS1_11comp_targetILNS1_3genE4ELNS1_11target_archE910ELNS1_3gpuE8ELNS1_3repE0EEENS1_30default_config_static_selectorELNS0_4arch9wavefront6targetE0EEEvSK_
; %bb.0:
	.section	.rodata,"a",@progbits
	.p2align	6, 0x0
	.amdhsa_kernel _ZN7rocprim17ROCPRIM_400000_NS6detail17trampoline_kernelINS0_14default_configENS1_36segmented_radix_sort_config_selectorIblEEZNS1_25segmented_radix_sort_implIS3_Lb1EPKbPbPKlPlN2at6native12_GLOBAL__N_18offset_tEEE10hipError_tPvRmT1_PNSt15iterator_traitsISK_E10value_typeET2_T3_PNSL_ISQ_E10value_typeET4_jRbjT5_SW_jjP12ihipStream_tbEUlT_E2_NS1_11comp_targetILNS1_3genE4ELNS1_11target_archE910ELNS1_3gpuE8ELNS1_3repE0EEENS1_30default_config_static_selectorELNS0_4arch9wavefront6targetE0EEEvSK_
		.amdhsa_group_segment_fixed_size 0
		.amdhsa_private_segment_fixed_size 0
		.amdhsa_kernarg_size 80
		.amdhsa_user_sgpr_count 6
		.amdhsa_user_sgpr_private_segment_buffer 1
		.amdhsa_user_sgpr_dispatch_ptr 0
		.amdhsa_user_sgpr_queue_ptr 0
		.amdhsa_user_sgpr_kernarg_segment_ptr 1
		.amdhsa_user_sgpr_dispatch_id 0
		.amdhsa_user_sgpr_flat_scratch_init 0
		.amdhsa_user_sgpr_private_segment_size 0
		.amdhsa_wavefront_size32 1
		.amdhsa_uses_dynamic_stack 0
		.amdhsa_system_sgpr_private_segment_wavefront_offset 0
		.amdhsa_system_sgpr_workgroup_id_x 1
		.amdhsa_system_sgpr_workgroup_id_y 0
		.amdhsa_system_sgpr_workgroup_id_z 0
		.amdhsa_system_sgpr_workgroup_info 0
		.amdhsa_system_vgpr_workitem_id 0
		.amdhsa_next_free_vgpr 1
		.amdhsa_next_free_sgpr 1
		.amdhsa_reserve_vcc 0
		.amdhsa_reserve_flat_scratch 0
		.amdhsa_float_round_mode_32 0
		.amdhsa_float_round_mode_16_64 0
		.amdhsa_float_denorm_mode_32 3
		.amdhsa_float_denorm_mode_16_64 3
		.amdhsa_dx10_clamp 1
		.amdhsa_ieee_mode 1
		.amdhsa_fp16_overflow 0
		.amdhsa_workgroup_processor_mode 1
		.amdhsa_memory_ordered 1
		.amdhsa_forward_progress 1
		.amdhsa_shared_vgpr_count 0
		.amdhsa_exception_fp_ieee_invalid_op 0
		.amdhsa_exception_fp_denorm_src 0
		.amdhsa_exception_fp_ieee_div_zero 0
		.amdhsa_exception_fp_ieee_overflow 0
		.amdhsa_exception_fp_ieee_underflow 0
		.amdhsa_exception_fp_ieee_inexact 0
		.amdhsa_exception_int_div_zero 0
	.end_amdhsa_kernel
	.section	.text._ZN7rocprim17ROCPRIM_400000_NS6detail17trampoline_kernelINS0_14default_configENS1_36segmented_radix_sort_config_selectorIblEEZNS1_25segmented_radix_sort_implIS3_Lb1EPKbPbPKlPlN2at6native12_GLOBAL__N_18offset_tEEE10hipError_tPvRmT1_PNSt15iterator_traitsISK_E10value_typeET2_T3_PNSL_ISQ_E10value_typeET4_jRbjT5_SW_jjP12ihipStream_tbEUlT_E2_NS1_11comp_targetILNS1_3genE4ELNS1_11target_archE910ELNS1_3gpuE8ELNS1_3repE0EEENS1_30default_config_static_selectorELNS0_4arch9wavefront6targetE0EEEvSK_,"axG",@progbits,_ZN7rocprim17ROCPRIM_400000_NS6detail17trampoline_kernelINS0_14default_configENS1_36segmented_radix_sort_config_selectorIblEEZNS1_25segmented_radix_sort_implIS3_Lb1EPKbPbPKlPlN2at6native12_GLOBAL__N_18offset_tEEE10hipError_tPvRmT1_PNSt15iterator_traitsISK_E10value_typeET2_T3_PNSL_ISQ_E10value_typeET4_jRbjT5_SW_jjP12ihipStream_tbEUlT_E2_NS1_11comp_targetILNS1_3genE4ELNS1_11target_archE910ELNS1_3gpuE8ELNS1_3repE0EEENS1_30default_config_static_selectorELNS0_4arch9wavefront6targetE0EEEvSK_,comdat
.Lfunc_end1555:
	.size	_ZN7rocprim17ROCPRIM_400000_NS6detail17trampoline_kernelINS0_14default_configENS1_36segmented_radix_sort_config_selectorIblEEZNS1_25segmented_radix_sort_implIS3_Lb1EPKbPbPKlPlN2at6native12_GLOBAL__N_18offset_tEEE10hipError_tPvRmT1_PNSt15iterator_traitsISK_E10value_typeET2_T3_PNSL_ISQ_E10value_typeET4_jRbjT5_SW_jjP12ihipStream_tbEUlT_E2_NS1_11comp_targetILNS1_3genE4ELNS1_11target_archE910ELNS1_3gpuE8ELNS1_3repE0EEENS1_30default_config_static_selectorELNS0_4arch9wavefront6targetE0EEEvSK_, .Lfunc_end1555-_ZN7rocprim17ROCPRIM_400000_NS6detail17trampoline_kernelINS0_14default_configENS1_36segmented_radix_sort_config_selectorIblEEZNS1_25segmented_radix_sort_implIS3_Lb1EPKbPbPKlPlN2at6native12_GLOBAL__N_18offset_tEEE10hipError_tPvRmT1_PNSt15iterator_traitsISK_E10value_typeET2_T3_PNSL_ISQ_E10value_typeET4_jRbjT5_SW_jjP12ihipStream_tbEUlT_E2_NS1_11comp_targetILNS1_3genE4ELNS1_11target_archE910ELNS1_3gpuE8ELNS1_3repE0EEENS1_30default_config_static_selectorELNS0_4arch9wavefront6targetE0EEEvSK_
                                        ; -- End function
	.set _ZN7rocprim17ROCPRIM_400000_NS6detail17trampoline_kernelINS0_14default_configENS1_36segmented_radix_sort_config_selectorIblEEZNS1_25segmented_radix_sort_implIS3_Lb1EPKbPbPKlPlN2at6native12_GLOBAL__N_18offset_tEEE10hipError_tPvRmT1_PNSt15iterator_traitsISK_E10value_typeET2_T3_PNSL_ISQ_E10value_typeET4_jRbjT5_SW_jjP12ihipStream_tbEUlT_E2_NS1_11comp_targetILNS1_3genE4ELNS1_11target_archE910ELNS1_3gpuE8ELNS1_3repE0EEENS1_30default_config_static_selectorELNS0_4arch9wavefront6targetE0EEEvSK_.num_vgpr, 0
	.set _ZN7rocprim17ROCPRIM_400000_NS6detail17trampoline_kernelINS0_14default_configENS1_36segmented_radix_sort_config_selectorIblEEZNS1_25segmented_radix_sort_implIS3_Lb1EPKbPbPKlPlN2at6native12_GLOBAL__N_18offset_tEEE10hipError_tPvRmT1_PNSt15iterator_traitsISK_E10value_typeET2_T3_PNSL_ISQ_E10value_typeET4_jRbjT5_SW_jjP12ihipStream_tbEUlT_E2_NS1_11comp_targetILNS1_3genE4ELNS1_11target_archE910ELNS1_3gpuE8ELNS1_3repE0EEENS1_30default_config_static_selectorELNS0_4arch9wavefront6targetE0EEEvSK_.num_agpr, 0
	.set _ZN7rocprim17ROCPRIM_400000_NS6detail17trampoline_kernelINS0_14default_configENS1_36segmented_radix_sort_config_selectorIblEEZNS1_25segmented_radix_sort_implIS3_Lb1EPKbPbPKlPlN2at6native12_GLOBAL__N_18offset_tEEE10hipError_tPvRmT1_PNSt15iterator_traitsISK_E10value_typeET2_T3_PNSL_ISQ_E10value_typeET4_jRbjT5_SW_jjP12ihipStream_tbEUlT_E2_NS1_11comp_targetILNS1_3genE4ELNS1_11target_archE910ELNS1_3gpuE8ELNS1_3repE0EEENS1_30default_config_static_selectorELNS0_4arch9wavefront6targetE0EEEvSK_.numbered_sgpr, 0
	.set _ZN7rocprim17ROCPRIM_400000_NS6detail17trampoline_kernelINS0_14default_configENS1_36segmented_radix_sort_config_selectorIblEEZNS1_25segmented_radix_sort_implIS3_Lb1EPKbPbPKlPlN2at6native12_GLOBAL__N_18offset_tEEE10hipError_tPvRmT1_PNSt15iterator_traitsISK_E10value_typeET2_T3_PNSL_ISQ_E10value_typeET4_jRbjT5_SW_jjP12ihipStream_tbEUlT_E2_NS1_11comp_targetILNS1_3genE4ELNS1_11target_archE910ELNS1_3gpuE8ELNS1_3repE0EEENS1_30default_config_static_selectorELNS0_4arch9wavefront6targetE0EEEvSK_.num_named_barrier, 0
	.set _ZN7rocprim17ROCPRIM_400000_NS6detail17trampoline_kernelINS0_14default_configENS1_36segmented_radix_sort_config_selectorIblEEZNS1_25segmented_radix_sort_implIS3_Lb1EPKbPbPKlPlN2at6native12_GLOBAL__N_18offset_tEEE10hipError_tPvRmT1_PNSt15iterator_traitsISK_E10value_typeET2_T3_PNSL_ISQ_E10value_typeET4_jRbjT5_SW_jjP12ihipStream_tbEUlT_E2_NS1_11comp_targetILNS1_3genE4ELNS1_11target_archE910ELNS1_3gpuE8ELNS1_3repE0EEENS1_30default_config_static_selectorELNS0_4arch9wavefront6targetE0EEEvSK_.private_seg_size, 0
	.set _ZN7rocprim17ROCPRIM_400000_NS6detail17trampoline_kernelINS0_14default_configENS1_36segmented_radix_sort_config_selectorIblEEZNS1_25segmented_radix_sort_implIS3_Lb1EPKbPbPKlPlN2at6native12_GLOBAL__N_18offset_tEEE10hipError_tPvRmT1_PNSt15iterator_traitsISK_E10value_typeET2_T3_PNSL_ISQ_E10value_typeET4_jRbjT5_SW_jjP12ihipStream_tbEUlT_E2_NS1_11comp_targetILNS1_3genE4ELNS1_11target_archE910ELNS1_3gpuE8ELNS1_3repE0EEENS1_30default_config_static_selectorELNS0_4arch9wavefront6targetE0EEEvSK_.uses_vcc, 0
	.set _ZN7rocprim17ROCPRIM_400000_NS6detail17trampoline_kernelINS0_14default_configENS1_36segmented_radix_sort_config_selectorIblEEZNS1_25segmented_radix_sort_implIS3_Lb1EPKbPbPKlPlN2at6native12_GLOBAL__N_18offset_tEEE10hipError_tPvRmT1_PNSt15iterator_traitsISK_E10value_typeET2_T3_PNSL_ISQ_E10value_typeET4_jRbjT5_SW_jjP12ihipStream_tbEUlT_E2_NS1_11comp_targetILNS1_3genE4ELNS1_11target_archE910ELNS1_3gpuE8ELNS1_3repE0EEENS1_30default_config_static_selectorELNS0_4arch9wavefront6targetE0EEEvSK_.uses_flat_scratch, 0
	.set _ZN7rocprim17ROCPRIM_400000_NS6detail17trampoline_kernelINS0_14default_configENS1_36segmented_radix_sort_config_selectorIblEEZNS1_25segmented_radix_sort_implIS3_Lb1EPKbPbPKlPlN2at6native12_GLOBAL__N_18offset_tEEE10hipError_tPvRmT1_PNSt15iterator_traitsISK_E10value_typeET2_T3_PNSL_ISQ_E10value_typeET4_jRbjT5_SW_jjP12ihipStream_tbEUlT_E2_NS1_11comp_targetILNS1_3genE4ELNS1_11target_archE910ELNS1_3gpuE8ELNS1_3repE0EEENS1_30default_config_static_selectorELNS0_4arch9wavefront6targetE0EEEvSK_.has_dyn_sized_stack, 0
	.set _ZN7rocprim17ROCPRIM_400000_NS6detail17trampoline_kernelINS0_14default_configENS1_36segmented_radix_sort_config_selectorIblEEZNS1_25segmented_radix_sort_implIS3_Lb1EPKbPbPKlPlN2at6native12_GLOBAL__N_18offset_tEEE10hipError_tPvRmT1_PNSt15iterator_traitsISK_E10value_typeET2_T3_PNSL_ISQ_E10value_typeET4_jRbjT5_SW_jjP12ihipStream_tbEUlT_E2_NS1_11comp_targetILNS1_3genE4ELNS1_11target_archE910ELNS1_3gpuE8ELNS1_3repE0EEENS1_30default_config_static_selectorELNS0_4arch9wavefront6targetE0EEEvSK_.has_recursion, 0
	.set _ZN7rocprim17ROCPRIM_400000_NS6detail17trampoline_kernelINS0_14default_configENS1_36segmented_radix_sort_config_selectorIblEEZNS1_25segmented_radix_sort_implIS3_Lb1EPKbPbPKlPlN2at6native12_GLOBAL__N_18offset_tEEE10hipError_tPvRmT1_PNSt15iterator_traitsISK_E10value_typeET2_T3_PNSL_ISQ_E10value_typeET4_jRbjT5_SW_jjP12ihipStream_tbEUlT_E2_NS1_11comp_targetILNS1_3genE4ELNS1_11target_archE910ELNS1_3gpuE8ELNS1_3repE0EEENS1_30default_config_static_selectorELNS0_4arch9wavefront6targetE0EEEvSK_.has_indirect_call, 0
	.section	.AMDGPU.csdata,"",@progbits
; Kernel info:
; codeLenInByte = 0
; TotalNumSgprs: 0
; NumVgprs: 0
; ScratchSize: 0
; MemoryBound: 0
; FloatMode: 240
; IeeeMode: 1
; LDSByteSize: 0 bytes/workgroup (compile time only)
; SGPRBlocks: 0
; VGPRBlocks: 0
; NumSGPRsForWavesPerEU: 1
; NumVGPRsForWavesPerEU: 1
; Occupancy: 16
; WaveLimiterHint : 0
; COMPUTE_PGM_RSRC2:SCRATCH_EN: 0
; COMPUTE_PGM_RSRC2:USER_SGPR: 6
; COMPUTE_PGM_RSRC2:TRAP_HANDLER: 0
; COMPUTE_PGM_RSRC2:TGID_X_EN: 1
; COMPUTE_PGM_RSRC2:TGID_Y_EN: 0
; COMPUTE_PGM_RSRC2:TGID_Z_EN: 0
; COMPUTE_PGM_RSRC2:TIDIG_COMP_CNT: 0
	.section	.text._ZN7rocprim17ROCPRIM_400000_NS6detail17trampoline_kernelINS0_14default_configENS1_36segmented_radix_sort_config_selectorIblEEZNS1_25segmented_radix_sort_implIS3_Lb1EPKbPbPKlPlN2at6native12_GLOBAL__N_18offset_tEEE10hipError_tPvRmT1_PNSt15iterator_traitsISK_E10value_typeET2_T3_PNSL_ISQ_E10value_typeET4_jRbjT5_SW_jjP12ihipStream_tbEUlT_E2_NS1_11comp_targetILNS1_3genE3ELNS1_11target_archE908ELNS1_3gpuE7ELNS1_3repE0EEENS1_30default_config_static_selectorELNS0_4arch9wavefront6targetE0EEEvSK_,"axG",@progbits,_ZN7rocprim17ROCPRIM_400000_NS6detail17trampoline_kernelINS0_14default_configENS1_36segmented_radix_sort_config_selectorIblEEZNS1_25segmented_radix_sort_implIS3_Lb1EPKbPbPKlPlN2at6native12_GLOBAL__N_18offset_tEEE10hipError_tPvRmT1_PNSt15iterator_traitsISK_E10value_typeET2_T3_PNSL_ISQ_E10value_typeET4_jRbjT5_SW_jjP12ihipStream_tbEUlT_E2_NS1_11comp_targetILNS1_3genE3ELNS1_11target_archE908ELNS1_3gpuE7ELNS1_3repE0EEENS1_30default_config_static_selectorELNS0_4arch9wavefront6targetE0EEEvSK_,comdat
	.globl	_ZN7rocprim17ROCPRIM_400000_NS6detail17trampoline_kernelINS0_14default_configENS1_36segmented_radix_sort_config_selectorIblEEZNS1_25segmented_radix_sort_implIS3_Lb1EPKbPbPKlPlN2at6native12_GLOBAL__N_18offset_tEEE10hipError_tPvRmT1_PNSt15iterator_traitsISK_E10value_typeET2_T3_PNSL_ISQ_E10value_typeET4_jRbjT5_SW_jjP12ihipStream_tbEUlT_E2_NS1_11comp_targetILNS1_3genE3ELNS1_11target_archE908ELNS1_3gpuE7ELNS1_3repE0EEENS1_30default_config_static_selectorELNS0_4arch9wavefront6targetE0EEEvSK_ ; -- Begin function _ZN7rocprim17ROCPRIM_400000_NS6detail17trampoline_kernelINS0_14default_configENS1_36segmented_radix_sort_config_selectorIblEEZNS1_25segmented_radix_sort_implIS3_Lb1EPKbPbPKlPlN2at6native12_GLOBAL__N_18offset_tEEE10hipError_tPvRmT1_PNSt15iterator_traitsISK_E10value_typeET2_T3_PNSL_ISQ_E10value_typeET4_jRbjT5_SW_jjP12ihipStream_tbEUlT_E2_NS1_11comp_targetILNS1_3genE3ELNS1_11target_archE908ELNS1_3gpuE7ELNS1_3repE0EEENS1_30default_config_static_selectorELNS0_4arch9wavefront6targetE0EEEvSK_
	.p2align	8
	.type	_ZN7rocprim17ROCPRIM_400000_NS6detail17trampoline_kernelINS0_14default_configENS1_36segmented_radix_sort_config_selectorIblEEZNS1_25segmented_radix_sort_implIS3_Lb1EPKbPbPKlPlN2at6native12_GLOBAL__N_18offset_tEEE10hipError_tPvRmT1_PNSt15iterator_traitsISK_E10value_typeET2_T3_PNSL_ISQ_E10value_typeET4_jRbjT5_SW_jjP12ihipStream_tbEUlT_E2_NS1_11comp_targetILNS1_3genE3ELNS1_11target_archE908ELNS1_3gpuE7ELNS1_3repE0EEENS1_30default_config_static_selectorELNS0_4arch9wavefront6targetE0EEEvSK_,@function
_ZN7rocprim17ROCPRIM_400000_NS6detail17trampoline_kernelINS0_14default_configENS1_36segmented_radix_sort_config_selectorIblEEZNS1_25segmented_radix_sort_implIS3_Lb1EPKbPbPKlPlN2at6native12_GLOBAL__N_18offset_tEEE10hipError_tPvRmT1_PNSt15iterator_traitsISK_E10value_typeET2_T3_PNSL_ISQ_E10value_typeET4_jRbjT5_SW_jjP12ihipStream_tbEUlT_E2_NS1_11comp_targetILNS1_3genE3ELNS1_11target_archE908ELNS1_3gpuE7ELNS1_3repE0EEENS1_30default_config_static_selectorELNS0_4arch9wavefront6targetE0EEEvSK_: ; @_ZN7rocprim17ROCPRIM_400000_NS6detail17trampoline_kernelINS0_14default_configENS1_36segmented_radix_sort_config_selectorIblEEZNS1_25segmented_radix_sort_implIS3_Lb1EPKbPbPKlPlN2at6native12_GLOBAL__N_18offset_tEEE10hipError_tPvRmT1_PNSt15iterator_traitsISK_E10value_typeET2_T3_PNSL_ISQ_E10value_typeET4_jRbjT5_SW_jjP12ihipStream_tbEUlT_E2_NS1_11comp_targetILNS1_3genE3ELNS1_11target_archE908ELNS1_3gpuE7ELNS1_3repE0EEENS1_30default_config_static_selectorELNS0_4arch9wavefront6targetE0EEEvSK_
; %bb.0:
	.section	.rodata,"a",@progbits
	.p2align	6, 0x0
	.amdhsa_kernel _ZN7rocprim17ROCPRIM_400000_NS6detail17trampoline_kernelINS0_14default_configENS1_36segmented_radix_sort_config_selectorIblEEZNS1_25segmented_radix_sort_implIS3_Lb1EPKbPbPKlPlN2at6native12_GLOBAL__N_18offset_tEEE10hipError_tPvRmT1_PNSt15iterator_traitsISK_E10value_typeET2_T3_PNSL_ISQ_E10value_typeET4_jRbjT5_SW_jjP12ihipStream_tbEUlT_E2_NS1_11comp_targetILNS1_3genE3ELNS1_11target_archE908ELNS1_3gpuE7ELNS1_3repE0EEENS1_30default_config_static_selectorELNS0_4arch9wavefront6targetE0EEEvSK_
		.amdhsa_group_segment_fixed_size 0
		.amdhsa_private_segment_fixed_size 0
		.amdhsa_kernarg_size 80
		.amdhsa_user_sgpr_count 6
		.amdhsa_user_sgpr_private_segment_buffer 1
		.amdhsa_user_sgpr_dispatch_ptr 0
		.amdhsa_user_sgpr_queue_ptr 0
		.amdhsa_user_sgpr_kernarg_segment_ptr 1
		.amdhsa_user_sgpr_dispatch_id 0
		.amdhsa_user_sgpr_flat_scratch_init 0
		.amdhsa_user_sgpr_private_segment_size 0
		.amdhsa_wavefront_size32 1
		.amdhsa_uses_dynamic_stack 0
		.amdhsa_system_sgpr_private_segment_wavefront_offset 0
		.amdhsa_system_sgpr_workgroup_id_x 1
		.amdhsa_system_sgpr_workgroup_id_y 0
		.amdhsa_system_sgpr_workgroup_id_z 0
		.amdhsa_system_sgpr_workgroup_info 0
		.amdhsa_system_vgpr_workitem_id 0
		.amdhsa_next_free_vgpr 1
		.amdhsa_next_free_sgpr 1
		.amdhsa_reserve_vcc 0
		.amdhsa_reserve_flat_scratch 0
		.amdhsa_float_round_mode_32 0
		.amdhsa_float_round_mode_16_64 0
		.amdhsa_float_denorm_mode_32 3
		.amdhsa_float_denorm_mode_16_64 3
		.amdhsa_dx10_clamp 1
		.amdhsa_ieee_mode 1
		.amdhsa_fp16_overflow 0
		.amdhsa_workgroup_processor_mode 1
		.amdhsa_memory_ordered 1
		.amdhsa_forward_progress 1
		.amdhsa_shared_vgpr_count 0
		.amdhsa_exception_fp_ieee_invalid_op 0
		.amdhsa_exception_fp_denorm_src 0
		.amdhsa_exception_fp_ieee_div_zero 0
		.amdhsa_exception_fp_ieee_overflow 0
		.amdhsa_exception_fp_ieee_underflow 0
		.amdhsa_exception_fp_ieee_inexact 0
		.amdhsa_exception_int_div_zero 0
	.end_amdhsa_kernel
	.section	.text._ZN7rocprim17ROCPRIM_400000_NS6detail17trampoline_kernelINS0_14default_configENS1_36segmented_radix_sort_config_selectorIblEEZNS1_25segmented_radix_sort_implIS3_Lb1EPKbPbPKlPlN2at6native12_GLOBAL__N_18offset_tEEE10hipError_tPvRmT1_PNSt15iterator_traitsISK_E10value_typeET2_T3_PNSL_ISQ_E10value_typeET4_jRbjT5_SW_jjP12ihipStream_tbEUlT_E2_NS1_11comp_targetILNS1_3genE3ELNS1_11target_archE908ELNS1_3gpuE7ELNS1_3repE0EEENS1_30default_config_static_selectorELNS0_4arch9wavefront6targetE0EEEvSK_,"axG",@progbits,_ZN7rocprim17ROCPRIM_400000_NS6detail17trampoline_kernelINS0_14default_configENS1_36segmented_radix_sort_config_selectorIblEEZNS1_25segmented_radix_sort_implIS3_Lb1EPKbPbPKlPlN2at6native12_GLOBAL__N_18offset_tEEE10hipError_tPvRmT1_PNSt15iterator_traitsISK_E10value_typeET2_T3_PNSL_ISQ_E10value_typeET4_jRbjT5_SW_jjP12ihipStream_tbEUlT_E2_NS1_11comp_targetILNS1_3genE3ELNS1_11target_archE908ELNS1_3gpuE7ELNS1_3repE0EEENS1_30default_config_static_selectorELNS0_4arch9wavefront6targetE0EEEvSK_,comdat
.Lfunc_end1556:
	.size	_ZN7rocprim17ROCPRIM_400000_NS6detail17trampoline_kernelINS0_14default_configENS1_36segmented_radix_sort_config_selectorIblEEZNS1_25segmented_radix_sort_implIS3_Lb1EPKbPbPKlPlN2at6native12_GLOBAL__N_18offset_tEEE10hipError_tPvRmT1_PNSt15iterator_traitsISK_E10value_typeET2_T3_PNSL_ISQ_E10value_typeET4_jRbjT5_SW_jjP12ihipStream_tbEUlT_E2_NS1_11comp_targetILNS1_3genE3ELNS1_11target_archE908ELNS1_3gpuE7ELNS1_3repE0EEENS1_30default_config_static_selectorELNS0_4arch9wavefront6targetE0EEEvSK_, .Lfunc_end1556-_ZN7rocprim17ROCPRIM_400000_NS6detail17trampoline_kernelINS0_14default_configENS1_36segmented_radix_sort_config_selectorIblEEZNS1_25segmented_radix_sort_implIS3_Lb1EPKbPbPKlPlN2at6native12_GLOBAL__N_18offset_tEEE10hipError_tPvRmT1_PNSt15iterator_traitsISK_E10value_typeET2_T3_PNSL_ISQ_E10value_typeET4_jRbjT5_SW_jjP12ihipStream_tbEUlT_E2_NS1_11comp_targetILNS1_3genE3ELNS1_11target_archE908ELNS1_3gpuE7ELNS1_3repE0EEENS1_30default_config_static_selectorELNS0_4arch9wavefront6targetE0EEEvSK_
                                        ; -- End function
	.set _ZN7rocprim17ROCPRIM_400000_NS6detail17trampoline_kernelINS0_14default_configENS1_36segmented_radix_sort_config_selectorIblEEZNS1_25segmented_radix_sort_implIS3_Lb1EPKbPbPKlPlN2at6native12_GLOBAL__N_18offset_tEEE10hipError_tPvRmT1_PNSt15iterator_traitsISK_E10value_typeET2_T3_PNSL_ISQ_E10value_typeET4_jRbjT5_SW_jjP12ihipStream_tbEUlT_E2_NS1_11comp_targetILNS1_3genE3ELNS1_11target_archE908ELNS1_3gpuE7ELNS1_3repE0EEENS1_30default_config_static_selectorELNS0_4arch9wavefront6targetE0EEEvSK_.num_vgpr, 0
	.set _ZN7rocprim17ROCPRIM_400000_NS6detail17trampoline_kernelINS0_14default_configENS1_36segmented_radix_sort_config_selectorIblEEZNS1_25segmented_radix_sort_implIS3_Lb1EPKbPbPKlPlN2at6native12_GLOBAL__N_18offset_tEEE10hipError_tPvRmT1_PNSt15iterator_traitsISK_E10value_typeET2_T3_PNSL_ISQ_E10value_typeET4_jRbjT5_SW_jjP12ihipStream_tbEUlT_E2_NS1_11comp_targetILNS1_3genE3ELNS1_11target_archE908ELNS1_3gpuE7ELNS1_3repE0EEENS1_30default_config_static_selectorELNS0_4arch9wavefront6targetE0EEEvSK_.num_agpr, 0
	.set _ZN7rocprim17ROCPRIM_400000_NS6detail17trampoline_kernelINS0_14default_configENS1_36segmented_radix_sort_config_selectorIblEEZNS1_25segmented_radix_sort_implIS3_Lb1EPKbPbPKlPlN2at6native12_GLOBAL__N_18offset_tEEE10hipError_tPvRmT1_PNSt15iterator_traitsISK_E10value_typeET2_T3_PNSL_ISQ_E10value_typeET4_jRbjT5_SW_jjP12ihipStream_tbEUlT_E2_NS1_11comp_targetILNS1_3genE3ELNS1_11target_archE908ELNS1_3gpuE7ELNS1_3repE0EEENS1_30default_config_static_selectorELNS0_4arch9wavefront6targetE0EEEvSK_.numbered_sgpr, 0
	.set _ZN7rocprim17ROCPRIM_400000_NS6detail17trampoline_kernelINS0_14default_configENS1_36segmented_radix_sort_config_selectorIblEEZNS1_25segmented_radix_sort_implIS3_Lb1EPKbPbPKlPlN2at6native12_GLOBAL__N_18offset_tEEE10hipError_tPvRmT1_PNSt15iterator_traitsISK_E10value_typeET2_T3_PNSL_ISQ_E10value_typeET4_jRbjT5_SW_jjP12ihipStream_tbEUlT_E2_NS1_11comp_targetILNS1_3genE3ELNS1_11target_archE908ELNS1_3gpuE7ELNS1_3repE0EEENS1_30default_config_static_selectorELNS0_4arch9wavefront6targetE0EEEvSK_.num_named_barrier, 0
	.set _ZN7rocprim17ROCPRIM_400000_NS6detail17trampoline_kernelINS0_14default_configENS1_36segmented_radix_sort_config_selectorIblEEZNS1_25segmented_radix_sort_implIS3_Lb1EPKbPbPKlPlN2at6native12_GLOBAL__N_18offset_tEEE10hipError_tPvRmT1_PNSt15iterator_traitsISK_E10value_typeET2_T3_PNSL_ISQ_E10value_typeET4_jRbjT5_SW_jjP12ihipStream_tbEUlT_E2_NS1_11comp_targetILNS1_3genE3ELNS1_11target_archE908ELNS1_3gpuE7ELNS1_3repE0EEENS1_30default_config_static_selectorELNS0_4arch9wavefront6targetE0EEEvSK_.private_seg_size, 0
	.set _ZN7rocprim17ROCPRIM_400000_NS6detail17trampoline_kernelINS0_14default_configENS1_36segmented_radix_sort_config_selectorIblEEZNS1_25segmented_radix_sort_implIS3_Lb1EPKbPbPKlPlN2at6native12_GLOBAL__N_18offset_tEEE10hipError_tPvRmT1_PNSt15iterator_traitsISK_E10value_typeET2_T3_PNSL_ISQ_E10value_typeET4_jRbjT5_SW_jjP12ihipStream_tbEUlT_E2_NS1_11comp_targetILNS1_3genE3ELNS1_11target_archE908ELNS1_3gpuE7ELNS1_3repE0EEENS1_30default_config_static_selectorELNS0_4arch9wavefront6targetE0EEEvSK_.uses_vcc, 0
	.set _ZN7rocprim17ROCPRIM_400000_NS6detail17trampoline_kernelINS0_14default_configENS1_36segmented_radix_sort_config_selectorIblEEZNS1_25segmented_radix_sort_implIS3_Lb1EPKbPbPKlPlN2at6native12_GLOBAL__N_18offset_tEEE10hipError_tPvRmT1_PNSt15iterator_traitsISK_E10value_typeET2_T3_PNSL_ISQ_E10value_typeET4_jRbjT5_SW_jjP12ihipStream_tbEUlT_E2_NS1_11comp_targetILNS1_3genE3ELNS1_11target_archE908ELNS1_3gpuE7ELNS1_3repE0EEENS1_30default_config_static_selectorELNS0_4arch9wavefront6targetE0EEEvSK_.uses_flat_scratch, 0
	.set _ZN7rocprim17ROCPRIM_400000_NS6detail17trampoline_kernelINS0_14default_configENS1_36segmented_radix_sort_config_selectorIblEEZNS1_25segmented_radix_sort_implIS3_Lb1EPKbPbPKlPlN2at6native12_GLOBAL__N_18offset_tEEE10hipError_tPvRmT1_PNSt15iterator_traitsISK_E10value_typeET2_T3_PNSL_ISQ_E10value_typeET4_jRbjT5_SW_jjP12ihipStream_tbEUlT_E2_NS1_11comp_targetILNS1_3genE3ELNS1_11target_archE908ELNS1_3gpuE7ELNS1_3repE0EEENS1_30default_config_static_selectorELNS0_4arch9wavefront6targetE0EEEvSK_.has_dyn_sized_stack, 0
	.set _ZN7rocprim17ROCPRIM_400000_NS6detail17trampoline_kernelINS0_14default_configENS1_36segmented_radix_sort_config_selectorIblEEZNS1_25segmented_radix_sort_implIS3_Lb1EPKbPbPKlPlN2at6native12_GLOBAL__N_18offset_tEEE10hipError_tPvRmT1_PNSt15iterator_traitsISK_E10value_typeET2_T3_PNSL_ISQ_E10value_typeET4_jRbjT5_SW_jjP12ihipStream_tbEUlT_E2_NS1_11comp_targetILNS1_3genE3ELNS1_11target_archE908ELNS1_3gpuE7ELNS1_3repE0EEENS1_30default_config_static_selectorELNS0_4arch9wavefront6targetE0EEEvSK_.has_recursion, 0
	.set _ZN7rocprim17ROCPRIM_400000_NS6detail17trampoline_kernelINS0_14default_configENS1_36segmented_radix_sort_config_selectorIblEEZNS1_25segmented_radix_sort_implIS3_Lb1EPKbPbPKlPlN2at6native12_GLOBAL__N_18offset_tEEE10hipError_tPvRmT1_PNSt15iterator_traitsISK_E10value_typeET2_T3_PNSL_ISQ_E10value_typeET4_jRbjT5_SW_jjP12ihipStream_tbEUlT_E2_NS1_11comp_targetILNS1_3genE3ELNS1_11target_archE908ELNS1_3gpuE7ELNS1_3repE0EEENS1_30default_config_static_selectorELNS0_4arch9wavefront6targetE0EEEvSK_.has_indirect_call, 0
	.section	.AMDGPU.csdata,"",@progbits
; Kernel info:
; codeLenInByte = 0
; TotalNumSgprs: 0
; NumVgprs: 0
; ScratchSize: 0
; MemoryBound: 0
; FloatMode: 240
; IeeeMode: 1
; LDSByteSize: 0 bytes/workgroup (compile time only)
; SGPRBlocks: 0
; VGPRBlocks: 0
; NumSGPRsForWavesPerEU: 1
; NumVGPRsForWavesPerEU: 1
; Occupancy: 16
; WaveLimiterHint : 0
; COMPUTE_PGM_RSRC2:SCRATCH_EN: 0
; COMPUTE_PGM_RSRC2:USER_SGPR: 6
; COMPUTE_PGM_RSRC2:TRAP_HANDLER: 0
; COMPUTE_PGM_RSRC2:TGID_X_EN: 1
; COMPUTE_PGM_RSRC2:TGID_Y_EN: 0
; COMPUTE_PGM_RSRC2:TGID_Z_EN: 0
; COMPUTE_PGM_RSRC2:TIDIG_COMP_CNT: 0
	.section	.text._ZN7rocprim17ROCPRIM_400000_NS6detail17trampoline_kernelINS0_14default_configENS1_36segmented_radix_sort_config_selectorIblEEZNS1_25segmented_radix_sort_implIS3_Lb1EPKbPbPKlPlN2at6native12_GLOBAL__N_18offset_tEEE10hipError_tPvRmT1_PNSt15iterator_traitsISK_E10value_typeET2_T3_PNSL_ISQ_E10value_typeET4_jRbjT5_SW_jjP12ihipStream_tbEUlT_E2_NS1_11comp_targetILNS1_3genE2ELNS1_11target_archE906ELNS1_3gpuE6ELNS1_3repE0EEENS1_30default_config_static_selectorELNS0_4arch9wavefront6targetE0EEEvSK_,"axG",@progbits,_ZN7rocprim17ROCPRIM_400000_NS6detail17trampoline_kernelINS0_14default_configENS1_36segmented_radix_sort_config_selectorIblEEZNS1_25segmented_radix_sort_implIS3_Lb1EPKbPbPKlPlN2at6native12_GLOBAL__N_18offset_tEEE10hipError_tPvRmT1_PNSt15iterator_traitsISK_E10value_typeET2_T3_PNSL_ISQ_E10value_typeET4_jRbjT5_SW_jjP12ihipStream_tbEUlT_E2_NS1_11comp_targetILNS1_3genE2ELNS1_11target_archE906ELNS1_3gpuE6ELNS1_3repE0EEENS1_30default_config_static_selectorELNS0_4arch9wavefront6targetE0EEEvSK_,comdat
	.globl	_ZN7rocprim17ROCPRIM_400000_NS6detail17trampoline_kernelINS0_14default_configENS1_36segmented_radix_sort_config_selectorIblEEZNS1_25segmented_radix_sort_implIS3_Lb1EPKbPbPKlPlN2at6native12_GLOBAL__N_18offset_tEEE10hipError_tPvRmT1_PNSt15iterator_traitsISK_E10value_typeET2_T3_PNSL_ISQ_E10value_typeET4_jRbjT5_SW_jjP12ihipStream_tbEUlT_E2_NS1_11comp_targetILNS1_3genE2ELNS1_11target_archE906ELNS1_3gpuE6ELNS1_3repE0EEENS1_30default_config_static_selectorELNS0_4arch9wavefront6targetE0EEEvSK_ ; -- Begin function _ZN7rocprim17ROCPRIM_400000_NS6detail17trampoline_kernelINS0_14default_configENS1_36segmented_radix_sort_config_selectorIblEEZNS1_25segmented_radix_sort_implIS3_Lb1EPKbPbPKlPlN2at6native12_GLOBAL__N_18offset_tEEE10hipError_tPvRmT1_PNSt15iterator_traitsISK_E10value_typeET2_T3_PNSL_ISQ_E10value_typeET4_jRbjT5_SW_jjP12ihipStream_tbEUlT_E2_NS1_11comp_targetILNS1_3genE2ELNS1_11target_archE906ELNS1_3gpuE6ELNS1_3repE0EEENS1_30default_config_static_selectorELNS0_4arch9wavefront6targetE0EEEvSK_
	.p2align	8
	.type	_ZN7rocprim17ROCPRIM_400000_NS6detail17trampoline_kernelINS0_14default_configENS1_36segmented_radix_sort_config_selectorIblEEZNS1_25segmented_radix_sort_implIS3_Lb1EPKbPbPKlPlN2at6native12_GLOBAL__N_18offset_tEEE10hipError_tPvRmT1_PNSt15iterator_traitsISK_E10value_typeET2_T3_PNSL_ISQ_E10value_typeET4_jRbjT5_SW_jjP12ihipStream_tbEUlT_E2_NS1_11comp_targetILNS1_3genE2ELNS1_11target_archE906ELNS1_3gpuE6ELNS1_3repE0EEENS1_30default_config_static_selectorELNS0_4arch9wavefront6targetE0EEEvSK_,@function
_ZN7rocprim17ROCPRIM_400000_NS6detail17trampoline_kernelINS0_14default_configENS1_36segmented_radix_sort_config_selectorIblEEZNS1_25segmented_radix_sort_implIS3_Lb1EPKbPbPKlPlN2at6native12_GLOBAL__N_18offset_tEEE10hipError_tPvRmT1_PNSt15iterator_traitsISK_E10value_typeET2_T3_PNSL_ISQ_E10value_typeET4_jRbjT5_SW_jjP12ihipStream_tbEUlT_E2_NS1_11comp_targetILNS1_3genE2ELNS1_11target_archE906ELNS1_3gpuE6ELNS1_3repE0EEENS1_30default_config_static_selectorELNS0_4arch9wavefront6targetE0EEEvSK_: ; @_ZN7rocprim17ROCPRIM_400000_NS6detail17trampoline_kernelINS0_14default_configENS1_36segmented_radix_sort_config_selectorIblEEZNS1_25segmented_radix_sort_implIS3_Lb1EPKbPbPKlPlN2at6native12_GLOBAL__N_18offset_tEEE10hipError_tPvRmT1_PNSt15iterator_traitsISK_E10value_typeET2_T3_PNSL_ISQ_E10value_typeET4_jRbjT5_SW_jjP12ihipStream_tbEUlT_E2_NS1_11comp_targetILNS1_3genE2ELNS1_11target_archE906ELNS1_3gpuE6ELNS1_3repE0EEENS1_30default_config_static_selectorELNS0_4arch9wavefront6targetE0EEEvSK_
; %bb.0:
	.section	.rodata,"a",@progbits
	.p2align	6, 0x0
	.amdhsa_kernel _ZN7rocprim17ROCPRIM_400000_NS6detail17trampoline_kernelINS0_14default_configENS1_36segmented_radix_sort_config_selectorIblEEZNS1_25segmented_radix_sort_implIS3_Lb1EPKbPbPKlPlN2at6native12_GLOBAL__N_18offset_tEEE10hipError_tPvRmT1_PNSt15iterator_traitsISK_E10value_typeET2_T3_PNSL_ISQ_E10value_typeET4_jRbjT5_SW_jjP12ihipStream_tbEUlT_E2_NS1_11comp_targetILNS1_3genE2ELNS1_11target_archE906ELNS1_3gpuE6ELNS1_3repE0EEENS1_30default_config_static_selectorELNS0_4arch9wavefront6targetE0EEEvSK_
		.amdhsa_group_segment_fixed_size 0
		.amdhsa_private_segment_fixed_size 0
		.amdhsa_kernarg_size 80
		.amdhsa_user_sgpr_count 6
		.amdhsa_user_sgpr_private_segment_buffer 1
		.amdhsa_user_sgpr_dispatch_ptr 0
		.amdhsa_user_sgpr_queue_ptr 0
		.amdhsa_user_sgpr_kernarg_segment_ptr 1
		.amdhsa_user_sgpr_dispatch_id 0
		.amdhsa_user_sgpr_flat_scratch_init 0
		.amdhsa_user_sgpr_private_segment_size 0
		.amdhsa_wavefront_size32 1
		.amdhsa_uses_dynamic_stack 0
		.amdhsa_system_sgpr_private_segment_wavefront_offset 0
		.amdhsa_system_sgpr_workgroup_id_x 1
		.amdhsa_system_sgpr_workgroup_id_y 0
		.amdhsa_system_sgpr_workgroup_id_z 0
		.amdhsa_system_sgpr_workgroup_info 0
		.amdhsa_system_vgpr_workitem_id 0
		.amdhsa_next_free_vgpr 1
		.amdhsa_next_free_sgpr 1
		.amdhsa_reserve_vcc 0
		.amdhsa_reserve_flat_scratch 0
		.amdhsa_float_round_mode_32 0
		.amdhsa_float_round_mode_16_64 0
		.amdhsa_float_denorm_mode_32 3
		.amdhsa_float_denorm_mode_16_64 3
		.amdhsa_dx10_clamp 1
		.amdhsa_ieee_mode 1
		.amdhsa_fp16_overflow 0
		.amdhsa_workgroup_processor_mode 1
		.amdhsa_memory_ordered 1
		.amdhsa_forward_progress 1
		.amdhsa_shared_vgpr_count 0
		.amdhsa_exception_fp_ieee_invalid_op 0
		.amdhsa_exception_fp_denorm_src 0
		.amdhsa_exception_fp_ieee_div_zero 0
		.amdhsa_exception_fp_ieee_overflow 0
		.amdhsa_exception_fp_ieee_underflow 0
		.amdhsa_exception_fp_ieee_inexact 0
		.amdhsa_exception_int_div_zero 0
	.end_amdhsa_kernel
	.section	.text._ZN7rocprim17ROCPRIM_400000_NS6detail17trampoline_kernelINS0_14default_configENS1_36segmented_radix_sort_config_selectorIblEEZNS1_25segmented_radix_sort_implIS3_Lb1EPKbPbPKlPlN2at6native12_GLOBAL__N_18offset_tEEE10hipError_tPvRmT1_PNSt15iterator_traitsISK_E10value_typeET2_T3_PNSL_ISQ_E10value_typeET4_jRbjT5_SW_jjP12ihipStream_tbEUlT_E2_NS1_11comp_targetILNS1_3genE2ELNS1_11target_archE906ELNS1_3gpuE6ELNS1_3repE0EEENS1_30default_config_static_selectorELNS0_4arch9wavefront6targetE0EEEvSK_,"axG",@progbits,_ZN7rocprim17ROCPRIM_400000_NS6detail17trampoline_kernelINS0_14default_configENS1_36segmented_radix_sort_config_selectorIblEEZNS1_25segmented_radix_sort_implIS3_Lb1EPKbPbPKlPlN2at6native12_GLOBAL__N_18offset_tEEE10hipError_tPvRmT1_PNSt15iterator_traitsISK_E10value_typeET2_T3_PNSL_ISQ_E10value_typeET4_jRbjT5_SW_jjP12ihipStream_tbEUlT_E2_NS1_11comp_targetILNS1_3genE2ELNS1_11target_archE906ELNS1_3gpuE6ELNS1_3repE0EEENS1_30default_config_static_selectorELNS0_4arch9wavefront6targetE0EEEvSK_,comdat
.Lfunc_end1557:
	.size	_ZN7rocprim17ROCPRIM_400000_NS6detail17trampoline_kernelINS0_14default_configENS1_36segmented_radix_sort_config_selectorIblEEZNS1_25segmented_radix_sort_implIS3_Lb1EPKbPbPKlPlN2at6native12_GLOBAL__N_18offset_tEEE10hipError_tPvRmT1_PNSt15iterator_traitsISK_E10value_typeET2_T3_PNSL_ISQ_E10value_typeET4_jRbjT5_SW_jjP12ihipStream_tbEUlT_E2_NS1_11comp_targetILNS1_3genE2ELNS1_11target_archE906ELNS1_3gpuE6ELNS1_3repE0EEENS1_30default_config_static_selectorELNS0_4arch9wavefront6targetE0EEEvSK_, .Lfunc_end1557-_ZN7rocprim17ROCPRIM_400000_NS6detail17trampoline_kernelINS0_14default_configENS1_36segmented_radix_sort_config_selectorIblEEZNS1_25segmented_radix_sort_implIS3_Lb1EPKbPbPKlPlN2at6native12_GLOBAL__N_18offset_tEEE10hipError_tPvRmT1_PNSt15iterator_traitsISK_E10value_typeET2_T3_PNSL_ISQ_E10value_typeET4_jRbjT5_SW_jjP12ihipStream_tbEUlT_E2_NS1_11comp_targetILNS1_3genE2ELNS1_11target_archE906ELNS1_3gpuE6ELNS1_3repE0EEENS1_30default_config_static_selectorELNS0_4arch9wavefront6targetE0EEEvSK_
                                        ; -- End function
	.set _ZN7rocprim17ROCPRIM_400000_NS6detail17trampoline_kernelINS0_14default_configENS1_36segmented_radix_sort_config_selectorIblEEZNS1_25segmented_radix_sort_implIS3_Lb1EPKbPbPKlPlN2at6native12_GLOBAL__N_18offset_tEEE10hipError_tPvRmT1_PNSt15iterator_traitsISK_E10value_typeET2_T3_PNSL_ISQ_E10value_typeET4_jRbjT5_SW_jjP12ihipStream_tbEUlT_E2_NS1_11comp_targetILNS1_3genE2ELNS1_11target_archE906ELNS1_3gpuE6ELNS1_3repE0EEENS1_30default_config_static_selectorELNS0_4arch9wavefront6targetE0EEEvSK_.num_vgpr, 0
	.set _ZN7rocprim17ROCPRIM_400000_NS6detail17trampoline_kernelINS0_14default_configENS1_36segmented_radix_sort_config_selectorIblEEZNS1_25segmented_radix_sort_implIS3_Lb1EPKbPbPKlPlN2at6native12_GLOBAL__N_18offset_tEEE10hipError_tPvRmT1_PNSt15iterator_traitsISK_E10value_typeET2_T3_PNSL_ISQ_E10value_typeET4_jRbjT5_SW_jjP12ihipStream_tbEUlT_E2_NS1_11comp_targetILNS1_3genE2ELNS1_11target_archE906ELNS1_3gpuE6ELNS1_3repE0EEENS1_30default_config_static_selectorELNS0_4arch9wavefront6targetE0EEEvSK_.num_agpr, 0
	.set _ZN7rocprim17ROCPRIM_400000_NS6detail17trampoline_kernelINS0_14default_configENS1_36segmented_radix_sort_config_selectorIblEEZNS1_25segmented_radix_sort_implIS3_Lb1EPKbPbPKlPlN2at6native12_GLOBAL__N_18offset_tEEE10hipError_tPvRmT1_PNSt15iterator_traitsISK_E10value_typeET2_T3_PNSL_ISQ_E10value_typeET4_jRbjT5_SW_jjP12ihipStream_tbEUlT_E2_NS1_11comp_targetILNS1_3genE2ELNS1_11target_archE906ELNS1_3gpuE6ELNS1_3repE0EEENS1_30default_config_static_selectorELNS0_4arch9wavefront6targetE0EEEvSK_.numbered_sgpr, 0
	.set _ZN7rocprim17ROCPRIM_400000_NS6detail17trampoline_kernelINS0_14default_configENS1_36segmented_radix_sort_config_selectorIblEEZNS1_25segmented_radix_sort_implIS3_Lb1EPKbPbPKlPlN2at6native12_GLOBAL__N_18offset_tEEE10hipError_tPvRmT1_PNSt15iterator_traitsISK_E10value_typeET2_T3_PNSL_ISQ_E10value_typeET4_jRbjT5_SW_jjP12ihipStream_tbEUlT_E2_NS1_11comp_targetILNS1_3genE2ELNS1_11target_archE906ELNS1_3gpuE6ELNS1_3repE0EEENS1_30default_config_static_selectorELNS0_4arch9wavefront6targetE0EEEvSK_.num_named_barrier, 0
	.set _ZN7rocprim17ROCPRIM_400000_NS6detail17trampoline_kernelINS0_14default_configENS1_36segmented_radix_sort_config_selectorIblEEZNS1_25segmented_radix_sort_implIS3_Lb1EPKbPbPKlPlN2at6native12_GLOBAL__N_18offset_tEEE10hipError_tPvRmT1_PNSt15iterator_traitsISK_E10value_typeET2_T3_PNSL_ISQ_E10value_typeET4_jRbjT5_SW_jjP12ihipStream_tbEUlT_E2_NS1_11comp_targetILNS1_3genE2ELNS1_11target_archE906ELNS1_3gpuE6ELNS1_3repE0EEENS1_30default_config_static_selectorELNS0_4arch9wavefront6targetE0EEEvSK_.private_seg_size, 0
	.set _ZN7rocprim17ROCPRIM_400000_NS6detail17trampoline_kernelINS0_14default_configENS1_36segmented_radix_sort_config_selectorIblEEZNS1_25segmented_radix_sort_implIS3_Lb1EPKbPbPKlPlN2at6native12_GLOBAL__N_18offset_tEEE10hipError_tPvRmT1_PNSt15iterator_traitsISK_E10value_typeET2_T3_PNSL_ISQ_E10value_typeET4_jRbjT5_SW_jjP12ihipStream_tbEUlT_E2_NS1_11comp_targetILNS1_3genE2ELNS1_11target_archE906ELNS1_3gpuE6ELNS1_3repE0EEENS1_30default_config_static_selectorELNS0_4arch9wavefront6targetE0EEEvSK_.uses_vcc, 0
	.set _ZN7rocprim17ROCPRIM_400000_NS6detail17trampoline_kernelINS0_14default_configENS1_36segmented_radix_sort_config_selectorIblEEZNS1_25segmented_radix_sort_implIS3_Lb1EPKbPbPKlPlN2at6native12_GLOBAL__N_18offset_tEEE10hipError_tPvRmT1_PNSt15iterator_traitsISK_E10value_typeET2_T3_PNSL_ISQ_E10value_typeET4_jRbjT5_SW_jjP12ihipStream_tbEUlT_E2_NS1_11comp_targetILNS1_3genE2ELNS1_11target_archE906ELNS1_3gpuE6ELNS1_3repE0EEENS1_30default_config_static_selectorELNS0_4arch9wavefront6targetE0EEEvSK_.uses_flat_scratch, 0
	.set _ZN7rocprim17ROCPRIM_400000_NS6detail17trampoline_kernelINS0_14default_configENS1_36segmented_radix_sort_config_selectorIblEEZNS1_25segmented_radix_sort_implIS3_Lb1EPKbPbPKlPlN2at6native12_GLOBAL__N_18offset_tEEE10hipError_tPvRmT1_PNSt15iterator_traitsISK_E10value_typeET2_T3_PNSL_ISQ_E10value_typeET4_jRbjT5_SW_jjP12ihipStream_tbEUlT_E2_NS1_11comp_targetILNS1_3genE2ELNS1_11target_archE906ELNS1_3gpuE6ELNS1_3repE0EEENS1_30default_config_static_selectorELNS0_4arch9wavefront6targetE0EEEvSK_.has_dyn_sized_stack, 0
	.set _ZN7rocprim17ROCPRIM_400000_NS6detail17trampoline_kernelINS0_14default_configENS1_36segmented_radix_sort_config_selectorIblEEZNS1_25segmented_radix_sort_implIS3_Lb1EPKbPbPKlPlN2at6native12_GLOBAL__N_18offset_tEEE10hipError_tPvRmT1_PNSt15iterator_traitsISK_E10value_typeET2_T3_PNSL_ISQ_E10value_typeET4_jRbjT5_SW_jjP12ihipStream_tbEUlT_E2_NS1_11comp_targetILNS1_3genE2ELNS1_11target_archE906ELNS1_3gpuE6ELNS1_3repE0EEENS1_30default_config_static_selectorELNS0_4arch9wavefront6targetE0EEEvSK_.has_recursion, 0
	.set _ZN7rocprim17ROCPRIM_400000_NS6detail17trampoline_kernelINS0_14default_configENS1_36segmented_radix_sort_config_selectorIblEEZNS1_25segmented_radix_sort_implIS3_Lb1EPKbPbPKlPlN2at6native12_GLOBAL__N_18offset_tEEE10hipError_tPvRmT1_PNSt15iterator_traitsISK_E10value_typeET2_T3_PNSL_ISQ_E10value_typeET4_jRbjT5_SW_jjP12ihipStream_tbEUlT_E2_NS1_11comp_targetILNS1_3genE2ELNS1_11target_archE906ELNS1_3gpuE6ELNS1_3repE0EEENS1_30default_config_static_selectorELNS0_4arch9wavefront6targetE0EEEvSK_.has_indirect_call, 0
	.section	.AMDGPU.csdata,"",@progbits
; Kernel info:
; codeLenInByte = 0
; TotalNumSgprs: 0
; NumVgprs: 0
; ScratchSize: 0
; MemoryBound: 0
; FloatMode: 240
; IeeeMode: 1
; LDSByteSize: 0 bytes/workgroup (compile time only)
; SGPRBlocks: 0
; VGPRBlocks: 0
; NumSGPRsForWavesPerEU: 1
; NumVGPRsForWavesPerEU: 1
; Occupancy: 16
; WaveLimiterHint : 0
; COMPUTE_PGM_RSRC2:SCRATCH_EN: 0
; COMPUTE_PGM_RSRC2:USER_SGPR: 6
; COMPUTE_PGM_RSRC2:TRAP_HANDLER: 0
; COMPUTE_PGM_RSRC2:TGID_X_EN: 1
; COMPUTE_PGM_RSRC2:TGID_Y_EN: 0
; COMPUTE_PGM_RSRC2:TGID_Z_EN: 0
; COMPUTE_PGM_RSRC2:TIDIG_COMP_CNT: 0
	.section	.text._ZN7rocprim17ROCPRIM_400000_NS6detail17trampoline_kernelINS0_14default_configENS1_36segmented_radix_sort_config_selectorIblEEZNS1_25segmented_radix_sort_implIS3_Lb1EPKbPbPKlPlN2at6native12_GLOBAL__N_18offset_tEEE10hipError_tPvRmT1_PNSt15iterator_traitsISK_E10value_typeET2_T3_PNSL_ISQ_E10value_typeET4_jRbjT5_SW_jjP12ihipStream_tbEUlT_E2_NS1_11comp_targetILNS1_3genE10ELNS1_11target_archE1201ELNS1_3gpuE5ELNS1_3repE0EEENS1_30default_config_static_selectorELNS0_4arch9wavefront6targetE0EEEvSK_,"axG",@progbits,_ZN7rocprim17ROCPRIM_400000_NS6detail17trampoline_kernelINS0_14default_configENS1_36segmented_radix_sort_config_selectorIblEEZNS1_25segmented_radix_sort_implIS3_Lb1EPKbPbPKlPlN2at6native12_GLOBAL__N_18offset_tEEE10hipError_tPvRmT1_PNSt15iterator_traitsISK_E10value_typeET2_T3_PNSL_ISQ_E10value_typeET4_jRbjT5_SW_jjP12ihipStream_tbEUlT_E2_NS1_11comp_targetILNS1_3genE10ELNS1_11target_archE1201ELNS1_3gpuE5ELNS1_3repE0EEENS1_30default_config_static_selectorELNS0_4arch9wavefront6targetE0EEEvSK_,comdat
	.globl	_ZN7rocprim17ROCPRIM_400000_NS6detail17trampoline_kernelINS0_14default_configENS1_36segmented_radix_sort_config_selectorIblEEZNS1_25segmented_radix_sort_implIS3_Lb1EPKbPbPKlPlN2at6native12_GLOBAL__N_18offset_tEEE10hipError_tPvRmT1_PNSt15iterator_traitsISK_E10value_typeET2_T3_PNSL_ISQ_E10value_typeET4_jRbjT5_SW_jjP12ihipStream_tbEUlT_E2_NS1_11comp_targetILNS1_3genE10ELNS1_11target_archE1201ELNS1_3gpuE5ELNS1_3repE0EEENS1_30default_config_static_selectorELNS0_4arch9wavefront6targetE0EEEvSK_ ; -- Begin function _ZN7rocprim17ROCPRIM_400000_NS6detail17trampoline_kernelINS0_14default_configENS1_36segmented_radix_sort_config_selectorIblEEZNS1_25segmented_radix_sort_implIS3_Lb1EPKbPbPKlPlN2at6native12_GLOBAL__N_18offset_tEEE10hipError_tPvRmT1_PNSt15iterator_traitsISK_E10value_typeET2_T3_PNSL_ISQ_E10value_typeET4_jRbjT5_SW_jjP12ihipStream_tbEUlT_E2_NS1_11comp_targetILNS1_3genE10ELNS1_11target_archE1201ELNS1_3gpuE5ELNS1_3repE0EEENS1_30default_config_static_selectorELNS0_4arch9wavefront6targetE0EEEvSK_
	.p2align	8
	.type	_ZN7rocprim17ROCPRIM_400000_NS6detail17trampoline_kernelINS0_14default_configENS1_36segmented_radix_sort_config_selectorIblEEZNS1_25segmented_radix_sort_implIS3_Lb1EPKbPbPKlPlN2at6native12_GLOBAL__N_18offset_tEEE10hipError_tPvRmT1_PNSt15iterator_traitsISK_E10value_typeET2_T3_PNSL_ISQ_E10value_typeET4_jRbjT5_SW_jjP12ihipStream_tbEUlT_E2_NS1_11comp_targetILNS1_3genE10ELNS1_11target_archE1201ELNS1_3gpuE5ELNS1_3repE0EEENS1_30default_config_static_selectorELNS0_4arch9wavefront6targetE0EEEvSK_,@function
_ZN7rocprim17ROCPRIM_400000_NS6detail17trampoline_kernelINS0_14default_configENS1_36segmented_radix_sort_config_selectorIblEEZNS1_25segmented_radix_sort_implIS3_Lb1EPKbPbPKlPlN2at6native12_GLOBAL__N_18offset_tEEE10hipError_tPvRmT1_PNSt15iterator_traitsISK_E10value_typeET2_T3_PNSL_ISQ_E10value_typeET4_jRbjT5_SW_jjP12ihipStream_tbEUlT_E2_NS1_11comp_targetILNS1_3genE10ELNS1_11target_archE1201ELNS1_3gpuE5ELNS1_3repE0EEENS1_30default_config_static_selectorELNS0_4arch9wavefront6targetE0EEEvSK_: ; @_ZN7rocprim17ROCPRIM_400000_NS6detail17trampoline_kernelINS0_14default_configENS1_36segmented_radix_sort_config_selectorIblEEZNS1_25segmented_radix_sort_implIS3_Lb1EPKbPbPKlPlN2at6native12_GLOBAL__N_18offset_tEEE10hipError_tPvRmT1_PNSt15iterator_traitsISK_E10value_typeET2_T3_PNSL_ISQ_E10value_typeET4_jRbjT5_SW_jjP12ihipStream_tbEUlT_E2_NS1_11comp_targetILNS1_3genE10ELNS1_11target_archE1201ELNS1_3gpuE5ELNS1_3repE0EEENS1_30default_config_static_selectorELNS0_4arch9wavefront6targetE0EEEvSK_
; %bb.0:
	.section	.rodata,"a",@progbits
	.p2align	6, 0x0
	.amdhsa_kernel _ZN7rocprim17ROCPRIM_400000_NS6detail17trampoline_kernelINS0_14default_configENS1_36segmented_radix_sort_config_selectorIblEEZNS1_25segmented_radix_sort_implIS3_Lb1EPKbPbPKlPlN2at6native12_GLOBAL__N_18offset_tEEE10hipError_tPvRmT1_PNSt15iterator_traitsISK_E10value_typeET2_T3_PNSL_ISQ_E10value_typeET4_jRbjT5_SW_jjP12ihipStream_tbEUlT_E2_NS1_11comp_targetILNS1_3genE10ELNS1_11target_archE1201ELNS1_3gpuE5ELNS1_3repE0EEENS1_30default_config_static_selectorELNS0_4arch9wavefront6targetE0EEEvSK_
		.amdhsa_group_segment_fixed_size 0
		.amdhsa_private_segment_fixed_size 0
		.amdhsa_kernarg_size 80
		.amdhsa_user_sgpr_count 6
		.amdhsa_user_sgpr_private_segment_buffer 1
		.amdhsa_user_sgpr_dispatch_ptr 0
		.amdhsa_user_sgpr_queue_ptr 0
		.amdhsa_user_sgpr_kernarg_segment_ptr 1
		.amdhsa_user_sgpr_dispatch_id 0
		.amdhsa_user_sgpr_flat_scratch_init 0
		.amdhsa_user_sgpr_private_segment_size 0
		.amdhsa_wavefront_size32 1
		.amdhsa_uses_dynamic_stack 0
		.amdhsa_system_sgpr_private_segment_wavefront_offset 0
		.amdhsa_system_sgpr_workgroup_id_x 1
		.amdhsa_system_sgpr_workgroup_id_y 0
		.amdhsa_system_sgpr_workgroup_id_z 0
		.amdhsa_system_sgpr_workgroup_info 0
		.amdhsa_system_vgpr_workitem_id 0
		.amdhsa_next_free_vgpr 1
		.amdhsa_next_free_sgpr 1
		.amdhsa_reserve_vcc 0
		.amdhsa_reserve_flat_scratch 0
		.amdhsa_float_round_mode_32 0
		.amdhsa_float_round_mode_16_64 0
		.amdhsa_float_denorm_mode_32 3
		.amdhsa_float_denorm_mode_16_64 3
		.amdhsa_dx10_clamp 1
		.amdhsa_ieee_mode 1
		.amdhsa_fp16_overflow 0
		.amdhsa_workgroup_processor_mode 1
		.amdhsa_memory_ordered 1
		.amdhsa_forward_progress 1
		.amdhsa_shared_vgpr_count 0
		.amdhsa_exception_fp_ieee_invalid_op 0
		.amdhsa_exception_fp_denorm_src 0
		.amdhsa_exception_fp_ieee_div_zero 0
		.amdhsa_exception_fp_ieee_overflow 0
		.amdhsa_exception_fp_ieee_underflow 0
		.amdhsa_exception_fp_ieee_inexact 0
		.amdhsa_exception_int_div_zero 0
	.end_amdhsa_kernel
	.section	.text._ZN7rocprim17ROCPRIM_400000_NS6detail17trampoline_kernelINS0_14default_configENS1_36segmented_radix_sort_config_selectorIblEEZNS1_25segmented_radix_sort_implIS3_Lb1EPKbPbPKlPlN2at6native12_GLOBAL__N_18offset_tEEE10hipError_tPvRmT1_PNSt15iterator_traitsISK_E10value_typeET2_T3_PNSL_ISQ_E10value_typeET4_jRbjT5_SW_jjP12ihipStream_tbEUlT_E2_NS1_11comp_targetILNS1_3genE10ELNS1_11target_archE1201ELNS1_3gpuE5ELNS1_3repE0EEENS1_30default_config_static_selectorELNS0_4arch9wavefront6targetE0EEEvSK_,"axG",@progbits,_ZN7rocprim17ROCPRIM_400000_NS6detail17trampoline_kernelINS0_14default_configENS1_36segmented_radix_sort_config_selectorIblEEZNS1_25segmented_radix_sort_implIS3_Lb1EPKbPbPKlPlN2at6native12_GLOBAL__N_18offset_tEEE10hipError_tPvRmT1_PNSt15iterator_traitsISK_E10value_typeET2_T3_PNSL_ISQ_E10value_typeET4_jRbjT5_SW_jjP12ihipStream_tbEUlT_E2_NS1_11comp_targetILNS1_3genE10ELNS1_11target_archE1201ELNS1_3gpuE5ELNS1_3repE0EEENS1_30default_config_static_selectorELNS0_4arch9wavefront6targetE0EEEvSK_,comdat
.Lfunc_end1558:
	.size	_ZN7rocprim17ROCPRIM_400000_NS6detail17trampoline_kernelINS0_14default_configENS1_36segmented_radix_sort_config_selectorIblEEZNS1_25segmented_radix_sort_implIS3_Lb1EPKbPbPKlPlN2at6native12_GLOBAL__N_18offset_tEEE10hipError_tPvRmT1_PNSt15iterator_traitsISK_E10value_typeET2_T3_PNSL_ISQ_E10value_typeET4_jRbjT5_SW_jjP12ihipStream_tbEUlT_E2_NS1_11comp_targetILNS1_3genE10ELNS1_11target_archE1201ELNS1_3gpuE5ELNS1_3repE0EEENS1_30default_config_static_selectorELNS0_4arch9wavefront6targetE0EEEvSK_, .Lfunc_end1558-_ZN7rocprim17ROCPRIM_400000_NS6detail17trampoline_kernelINS0_14default_configENS1_36segmented_radix_sort_config_selectorIblEEZNS1_25segmented_radix_sort_implIS3_Lb1EPKbPbPKlPlN2at6native12_GLOBAL__N_18offset_tEEE10hipError_tPvRmT1_PNSt15iterator_traitsISK_E10value_typeET2_T3_PNSL_ISQ_E10value_typeET4_jRbjT5_SW_jjP12ihipStream_tbEUlT_E2_NS1_11comp_targetILNS1_3genE10ELNS1_11target_archE1201ELNS1_3gpuE5ELNS1_3repE0EEENS1_30default_config_static_selectorELNS0_4arch9wavefront6targetE0EEEvSK_
                                        ; -- End function
	.set _ZN7rocprim17ROCPRIM_400000_NS6detail17trampoline_kernelINS0_14default_configENS1_36segmented_radix_sort_config_selectorIblEEZNS1_25segmented_radix_sort_implIS3_Lb1EPKbPbPKlPlN2at6native12_GLOBAL__N_18offset_tEEE10hipError_tPvRmT1_PNSt15iterator_traitsISK_E10value_typeET2_T3_PNSL_ISQ_E10value_typeET4_jRbjT5_SW_jjP12ihipStream_tbEUlT_E2_NS1_11comp_targetILNS1_3genE10ELNS1_11target_archE1201ELNS1_3gpuE5ELNS1_3repE0EEENS1_30default_config_static_selectorELNS0_4arch9wavefront6targetE0EEEvSK_.num_vgpr, 0
	.set _ZN7rocprim17ROCPRIM_400000_NS6detail17trampoline_kernelINS0_14default_configENS1_36segmented_radix_sort_config_selectorIblEEZNS1_25segmented_radix_sort_implIS3_Lb1EPKbPbPKlPlN2at6native12_GLOBAL__N_18offset_tEEE10hipError_tPvRmT1_PNSt15iterator_traitsISK_E10value_typeET2_T3_PNSL_ISQ_E10value_typeET4_jRbjT5_SW_jjP12ihipStream_tbEUlT_E2_NS1_11comp_targetILNS1_3genE10ELNS1_11target_archE1201ELNS1_3gpuE5ELNS1_3repE0EEENS1_30default_config_static_selectorELNS0_4arch9wavefront6targetE0EEEvSK_.num_agpr, 0
	.set _ZN7rocprim17ROCPRIM_400000_NS6detail17trampoline_kernelINS0_14default_configENS1_36segmented_radix_sort_config_selectorIblEEZNS1_25segmented_radix_sort_implIS3_Lb1EPKbPbPKlPlN2at6native12_GLOBAL__N_18offset_tEEE10hipError_tPvRmT1_PNSt15iterator_traitsISK_E10value_typeET2_T3_PNSL_ISQ_E10value_typeET4_jRbjT5_SW_jjP12ihipStream_tbEUlT_E2_NS1_11comp_targetILNS1_3genE10ELNS1_11target_archE1201ELNS1_3gpuE5ELNS1_3repE0EEENS1_30default_config_static_selectorELNS0_4arch9wavefront6targetE0EEEvSK_.numbered_sgpr, 0
	.set _ZN7rocprim17ROCPRIM_400000_NS6detail17trampoline_kernelINS0_14default_configENS1_36segmented_radix_sort_config_selectorIblEEZNS1_25segmented_radix_sort_implIS3_Lb1EPKbPbPKlPlN2at6native12_GLOBAL__N_18offset_tEEE10hipError_tPvRmT1_PNSt15iterator_traitsISK_E10value_typeET2_T3_PNSL_ISQ_E10value_typeET4_jRbjT5_SW_jjP12ihipStream_tbEUlT_E2_NS1_11comp_targetILNS1_3genE10ELNS1_11target_archE1201ELNS1_3gpuE5ELNS1_3repE0EEENS1_30default_config_static_selectorELNS0_4arch9wavefront6targetE0EEEvSK_.num_named_barrier, 0
	.set _ZN7rocprim17ROCPRIM_400000_NS6detail17trampoline_kernelINS0_14default_configENS1_36segmented_radix_sort_config_selectorIblEEZNS1_25segmented_radix_sort_implIS3_Lb1EPKbPbPKlPlN2at6native12_GLOBAL__N_18offset_tEEE10hipError_tPvRmT1_PNSt15iterator_traitsISK_E10value_typeET2_T3_PNSL_ISQ_E10value_typeET4_jRbjT5_SW_jjP12ihipStream_tbEUlT_E2_NS1_11comp_targetILNS1_3genE10ELNS1_11target_archE1201ELNS1_3gpuE5ELNS1_3repE0EEENS1_30default_config_static_selectorELNS0_4arch9wavefront6targetE0EEEvSK_.private_seg_size, 0
	.set _ZN7rocprim17ROCPRIM_400000_NS6detail17trampoline_kernelINS0_14default_configENS1_36segmented_radix_sort_config_selectorIblEEZNS1_25segmented_radix_sort_implIS3_Lb1EPKbPbPKlPlN2at6native12_GLOBAL__N_18offset_tEEE10hipError_tPvRmT1_PNSt15iterator_traitsISK_E10value_typeET2_T3_PNSL_ISQ_E10value_typeET4_jRbjT5_SW_jjP12ihipStream_tbEUlT_E2_NS1_11comp_targetILNS1_3genE10ELNS1_11target_archE1201ELNS1_3gpuE5ELNS1_3repE0EEENS1_30default_config_static_selectorELNS0_4arch9wavefront6targetE0EEEvSK_.uses_vcc, 0
	.set _ZN7rocprim17ROCPRIM_400000_NS6detail17trampoline_kernelINS0_14default_configENS1_36segmented_radix_sort_config_selectorIblEEZNS1_25segmented_radix_sort_implIS3_Lb1EPKbPbPKlPlN2at6native12_GLOBAL__N_18offset_tEEE10hipError_tPvRmT1_PNSt15iterator_traitsISK_E10value_typeET2_T3_PNSL_ISQ_E10value_typeET4_jRbjT5_SW_jjP12ihipStream_tbEUlT_E2_NS1_11comp_targetILNS1_3genE10ELNS1_11target_archE1201ELNS1_3gpuE5ELNS1_3repE0EEENS1_30default_config_static_selectorELNS0_4arch9wavefront6targetE0EEEvSK_.uses_flat_scratch, 0
	.set _ZN7rocprim17ROCPRIM_400000_NS6detail17trampoline_kernelINS0_14default_configENS1_36segmented_radix_sort_config_selectorIblEEZNS1_25segmented_radix_sort_implIS3_Lb1EPKbPbPKlPlN2at6native12_GLOBAL__N_18offset_tEEE10hipError_tPvRmT1_PNSt15iterator_traitsISK_E10value_typeET2_T3_PNSL_ISQ_E10value_typeET4_jRbjT5_SW_jjP12ihipStream_tbEUlT_E2_NS1_11comp_targetILNS1_3genE10ELNS1_11target_archE1201ELNS1_3gpuE5ELNS1_3repE0EEENS1_30default_config_static_selectorELNS0_4arch9wavefront6targetE0EEEvSK_.has_dyn_sized_stack, 0
	.set _ZN7rocprim17ROCPRIM_400000_NS6detail17trampoline_kernelINS0_14default_configENS1_36segmented_radix_sort_config_selectorIblEEZNS1_25segmented_radix_sort_implIS3_Lb1EPKbPbPKlPlN2at6native12_GLOBAL__N_18offset_tEEE10hipError_tPvRmT1_PNSt15iterator_traitsISK_E10value_typeET2_T3_PNSL_ISQ_E10value_typeET4_jRbjT5_SW_jjP12ihipStream_tbEUlT_E2_NS1_11comp_targetILNS1_3genE10ELNS1_11target_archE1201ELNS1_3gpuE5ELNS1_3repE0EEENS1_30default_config_static_selectorELNS0_4arch9wavefront6targetE0EEEvSK_.has_recursion, 0
	.set _ZN7rocprim17ROCPRIM_400000_NS6detail17trampoline_kernelINS0_14default_configENS1_36segmented_radix_sort_config_selectorIblEEZNS1_25segmented_radix_sort_implIS3_Lb1EPKbPbPKlPlN2at6native12_GLOBAL__N_18offset_tEEE10hipError_tPvRmT1_PNSt15iterator_traitsISK_E10value_typeET2_T3_PNSL_ISQ_E10value_typeET4_jRbjT5_SW_jjP12ihipStream_tbEUlT_E2_NS1_11comp_targetILNS1_3genE10ELNS1_11target_archE1201ELNS1_3gpuE5ELNS1_3repE0EEENS1_30default_config_static_selectorELNS0_4arch9wavefront6targetE0EEEvSK_.has_indirect_call, 0
	.section	.AMDGPU.csdata,"",@progbits
; Kernel info:
; codeLenInByte = 0
; TotalNumSgprs: 0
; NumVgprs: 0
; ScratchSize: 0
; MemoryBound: 0
; FloatMode: 240
; IeeeMode: 1
; LDSByteSize: 0 bytes/workgroup (compile time only)
; SGPRBlocks: 0
; VGPRBlocks: 0
; NumSGPRsForWavesPerEU: 1
; NumVGPRsForWavesPerEU: 1
; Occupancy: 16
; WaveLimiterHint : 0
; COMPUTE_PGM_RSRC2:SCRATCH_EN: 0
; COMPUTE_PGM_RSRC2:USER_SGPR: 6
; COMPUTE_PGM_RSRC2:TRAP_HANDLER: 0
; COMPUTE_PGM_RSRC2:TGID_X_EN: 1
; COMPUTE_PGM_RSRC2:TGID_Y_EN: 0
; COMPUTE_PGM_RSRC2:TGID_Z_EN: 0
; COMPUTE_PGM_RSRC2:TIDIG_COMP_CNT: 0
	.section	.text._ZN7rocprim17ROCPRIM_400000_NS6detail17trampoline_kernelINS0_14default_configENS1_36segmented_radix_sort_config_selectorIblEEZNS1_25segmented_radix_sort_implIS3_Lb1EPKbPbPKlPlN2at6native12_GLOBAL__N_18offset_tEEE10hipError_tPvRmT1_PNSt15iterator_traitsISK_E10value_typeET2_T3_PNSL_ISQ_E10value_typeET4_jRbjT5_SW_jjP12ihipStream_tbEUlT_E2_NS1_11comp_targetILNS1_3genE10ELNS1_11target_archE1200ELNS1_3gpuE4ELNS1_3repE0EEENS1_30default_config_static_selectorELNS0_4arch9wavefront6targetE0EEEvSK_,"axG",@progbits,_ZN7rocprim17ROCPRIM_400000_NS6detail17trampoline_kernelINS0_14default_configENS1_36segmented_radix_sort_config_selectorIblEEZNS1_25segmented_radix_sort_implIS3_Lb1EPKbPbPKlPlN2at6native12_GLOBAL__N_18offset_tEEE10hipError_tPvRmT1_PNSt15iterator_traitsISK_E10value_typeET2_T3_PNSL_ISQ_E10value_typeET4_jRbjT5_SW_jjP12ihipStream_tbEUlT_E2_NS1_11comp_targetILNS1_3genE10ELNS1_11target_archE1200ELNS1_3gpuE4ELNS1_3repE0EEENS1_30default_config_static_selectorELNS0_4arch9wavefront6targetE0EEEvSK_,comdat
	.globl	_ZN7rocprim17ROCPRIM_400000_NS6detail17trampoline_kernelINS0_14default_configENS1_36segmented_radix_sort_config_selectorIblEEZNS1_25segmented_radix_sort_implIS3_Lb1EPKbPbPKlPlN2at6native12_GLOBAL__N_18offset_tEEE10hipError_tPvRmT1_PNSt15iterator_traitsISK_E10value_typeET2_T3_PNSL_ISQ_E10value_typeET4_jRbjT5_SW_jjP12ihipStream_tbEUlT_E2_NS1_11comp_targetILNS1_3genE10ELNS1_11target_archE1200ELNS1_3gpuE4ELNS1_3repE0EEENS1_30default_config_static_selectorELNS0_4arch9wavefront6targetE0EEEvSK_ ; -- Begin function _ZN7rocprim17ROCPRIM_400000_NS6detail17trampoline_kernelINS0_14default_configENS1_36segmented_radix_sort_config_selectorIblEEZNS1_25segmented_radix_sort_implIS3_Lb1EPKbPbPKlPlN2at6native12_GLOBAL__N_18offset_tEEE10hipError_tPvRmT1_PNSt15iterator_traitsISK_E10value_typeET2_T3_PNSL_ISQ_E10value_typeET4_jRbjT5_SW_jjP12ihipStream_tbEUlT_E2_NS1_11comp_targetILNS1_3genE10ELNS1_11target_archE1200ELNS1_3gpuE4ELNS1_3repE0EEENS1_30default_config_static_selectorELNS0_4arch9wavefront6targetE0EEEvSK_
	.p2align	8
	.type	_ZN7rocprim17ROCPRIM_400000_NS6detail17trampoline_kernelINS0_14default_configENS1_36segmented_radix_sort_config_selectorIblEEZNS1_25segmented_radix_sort_implIS3_Lb1EPKbPbPKlPlN2at6native12_GLOBAL__N_18offset_tEEE10hipError_tPvRmT1_PNSt15iterator_traitsISK_E10value_typeET2_T3_PNSL_ISQ_E10value_typeET4_jRbjT5_SW_jjP12ihipStream_tbEUlT_E2_NS1_11comp_targetILNS1_3genE10ELNS1_11target_archE1200ELNS1_3gpuE4ELNS1_3repE0EEENS1_30default_config_static_selectorELNS0_4arch9wavefront6targetE0EEEvSK_,@function
_ZN7rocprim17ROCPRIM_400000_NS6detail17trampoline_kernelINS0_14default_configENS1_36segmented_radix_sort_config_selectorIblEEZNS1_25segmented_radix_sort_implIS3_Lb1EPKbPbPKlPlN2at6native12_GLOBAL__N_18offset_tEEE10hipError_tPvRmT1_PNSt15iterator_traitsISK_E10value_typeET2_T3_PNSL_ISQ_E10value_typeET4_jRbjT5_SW_jjP12ihipStream_tbEUlT_E2_NS1_11comp_targetILNS1_3genE10ELNS1_11target_archE1200ELNS1_3gpuE4ELNS1_3repE0EEENS1_30default_config_static_selectorELNS0_4arch9wavefront6targetE0EEEvSK_: ; @_ZN7rocprim17ROCPRIM_400000_NS6detail17trampoline_kernelINS0_14default_configENS1_36segmented_radix_sort_config_selectorIblEEZNS1_25segmented_radix_sort_implIS3_Lb1EPKbPbPKlPlN2at6native12_GLOBAL__N_18offset_tEEE10hipError_tPvRmT1_PNSt15iterator_traitsISK_E10value_typeET2_T3_PNSL_ISQ_E10value_typeET4_jRbjT5_SW_jjP12ihipStream_tbEUlT_E2_NS1_11comp_targetILNS1_3genE10ELNS1_11target_archE1200ELNS1_3gpuE4ELNS1_3repE0EEENS1_30default_config_static_selectorELNS0_4arch9wavefront6targetE0EEEvSK_
; %bb.0:
	.section	.rodata,"a",@progbits
	.p2align	6, 0x0
	.amdhsa_kernel _ZN7rocprim17ROCPRIM_400000_NS6detail17trampoline_kernelINS0_14default_configENS1_36segmented_radix_sort_config_selectorIblEEZNS1_25segmented_radix_sort_implIS3_Lb1EPKbPbPKlPlN2at6native12_GLOBAL__N_18offset_tEEE10hipError_tPvRmT1_PNSt15iterator_traitsISK_E10value_typeET2_T3_PNSL_ISQ_E10value_typeET4_jRbjT5_SW_jjP12ihipStream_tbEUlT_E2_NS1_11comp_targetILNS1_3genE10ELNS1_11target_archE1200ELNS1_3gpuE4ELNS1_3repE0EEENS1_30default_config_static_selectorELNS0_4arch9wavefront6targetE0EEEvSK_
		.amdhsa_group_segment_fixed_size 0
		.amdhsa_private_segment_fixed_size 0
		.amdhsa_kernarg_size 80
		.amdhsa_user_sgpr_count 6
		.amdhsa_user_sgpr_private_segment_buffer 1
		.amdhsa_user_sgpr_dispatch_ptr 0
		.amdhsa_user_sgpr_queue_ptr 0
		.amdhsa_user_sgpr_kernarg_segment_ptr 1
		.amdhsa_user_sgpr_dispatch_id 0
		.amdhsa_user_sgpr_flat_scratch_init 0
		.amdhsa_user_sgpr_private_segment_size 0
		.amdhsa_wavefront_size32 1
		.amdhsa_uses_dynamic_stack 0
		.amdhsa_system_sgpr_private_segment_wavefront_offset 0
		.amdhsa_system_sgpr_workgroup_id_x 1
		.amdhsa_system_sgpr_workgroup_id_y 0
		.amdhsa_system_sgpr_workgroup_id_z 0
		.amdhsa_system_sgpr_workgroup_info 0
		.amdhsa_system_vgpr_workitem_id 0
		.amdhsa_next_free_vgpr 1
		.amdhsa_next_free_sgpr 1
		.amdhsa_reserve_vcc 0
		.amdhsa_reserve_flat_scratch 0
		.amdhsa_float_round_mode_32 0
		.amdhsa_float_round_mode_16_64 0
		.amdhsa_float_denorm_mode_32 3
		.amdhsa_float_denorm_mode_16_64 3
		.amdhsa_dx10_clamp 1
		.amdhsa_ieee_mode 1
		.amdhsa_fp16_overflow 0
		.amdhsa_workgroup_processor_mode 1
		.amdhsa_memory_ordered 1
		.amdhsa_forward_progress 1
		.amdhsa_shared_vgpr_count 0
		.amdhsa_exception_fp_ieee_invalid_op 0
		.amdhsa_exception_fp_denorm_src 0
		.amdhsa_exception_fp_ieee_div_zero 0
		.amdhsa_exception_fp_ieee_overflow 0
		.amdhsa_exception_fp_ieee_underflow 0
		.amdhsa_exception_fp_ieee_inexact 0
		.amdhsa_exception_int_div_zero 0
	.end_amdhsa_kernel
	.section	.text._ZN7rocprim17ROCPRIM_400000_NS6detail17trampoline_kernelINS0_14default_configENS1_36segmented_radix_sort_config_selectorIblEEZNS1_25segmented_radix_sort_implIS3_Lb1EPKbPbPKlPlN2at6native12_GLOBAL__N_18offset_tEEE10hipError_tPvRmT1_PNSt15iterator_traitsISK_E10value_typeET2_T3_PNSL_ISQ_E10value_typeET4_jRbjT5_SW_jjP12ihipStream_tbEUlT_E2_NS1_11comp_targetILNS1_3genE10ELNS1_11target_archE1200ELNS1_3gpuE4ELNS1_3repE0EEENS1_30default_config_static_selectorELNS0_4arch9wavefront6targetE0EEEvSK_,"axG",@progbits,_ZN7rocprim17ROCPRIM_400000_NS6detail17trampoline_kernelINS0_14default_configENS1_36segmented_radix_sort_config_selectorIblEEZNS1_25segmented_radix_sort_implIS3_Lb1EPKbPbPKlPlN2at6native12_GLOBAL__N_18offset_tEEE10hipError_tPvRmT1_PNSt15iterator_traitsISK_E10value_typeET2_T3_PNSL_ISQ_E10value_typeET4_jRbjT5_SW_jjP12ihipStream_tbEUlT_E2_NS1_11comp_targetILNS1_3genE10ELNS1_11target_archE1200ELNS1_3gpuE4ELNS1_3repE0EEENS1_30default_config_static_selectorELNS0_4arch9wavefront6targetE0EEEvSK_,comdat
.Lfunc_end1559:
	.size	_ZN7rocprim17ROCPRIM_400000_NS6detail17trampoline_kernelINS0_14default_configENS1_36segmented_radix_sort_config_selectorIblEEZNS1_25segmented_radix_sort_implIS3_Lb1EPKbPbPKlPlN2at6native12_GLOBAL__N_18offset_tEEE10hipError_tPvRmT1_PNSt15iterator_traitsISK_E10value_typeET2_T3_PNSL_ISQ_E10value_typeET4_jRbjT5_SW_jjP12ihipStream_tbEUlT_E2_NS1_11comp_targetILNS1_3genE10ELNS1_11target_archE1200ELNS1_3gpuE4ELNS1_3repE0EEENS1_30default_config_static_selectorELNS0_4arch9wavefront6targetE0EEEvSK_, .Lfunc_end1559-_ZN7rocprim17ROCPRIM_400000_NS6detail17trampoline_kernelINS0_14default_configENS1_36segmented_radix_sort_config_selectorIblEEZNS1_25segmented_radix_sort_implIS3_Lb1EPKbPbPKlPlN2at6native12_GLOBAL__N_18offset_tEEE10hipError_tPvRmT1_PNSt15iterator_traitsISK_E10value_typeET2_T3_PNSL_ISQ_E10value_typeET4_jRbjT5_SW_jjP12ihipStream_tbEUlT_E2_NS1_11comp_targetILNS1_3genE10ELNS1_11target_archE1200ELNS1_3gpuE4ELNS1_3repE0EEENS1_30default_config_static_selectorELNS0_4arch9wavefront6targetE0EEEvSK_
                                        ; -- End function
	.set _ZN7rocprim17ROCPRIM_400000_NS6detail17trampoline_kernelINS0_14default_configENS1_36segmented_radix_sort_config_selectorIblEEZNS1_25segmented_radix_sort_implIS3_Lb1EPKbPbPKlPlN2at6native12_GLOBAL__N_18offset_tEEE10hipError_tPvRmT1_PNSt15iterator_traitsISK_E10value_typeET2_T3_PNSL_ISQ_E10value_typeET4_jRbjT5_SW_jjP12ihipStream_tbEUlT_E2_NS1_11comp_targetILNS1_3genE10ELNS1_11target_archE1200ELNS1_3gpuE4ELNS1_3repE0EEENS1_30default_config_static_selectorELNS0_4arch9wavefront6targetE0EEEvSK_.num_vgpr, 0
	.set _ZN7rocprim17ROCPRIM_400000_NS6detail17trampoline_kernelINS0_14default_configENS1_36segmented_radix_sort_config_selectorIblEEZNS1_25segmented_radix_sort_implIS3_Lb1EPKbPbPKlPlN2at6native12_GLOBAL__N_18offset_tEEE10hipError_tPvRmT1_PNSt15iterator_traitsISK_E10value_typeET2_T3_PNSL_ISQ_E10value_typeET4_jRbjT5_SW_jjP12ihipStream_tbEUlT_E2_NS1_11comp_targetILNS1_3genE10ELNS1_11target_archE1200ELNS1_3gpuE4ELNS1_3repE0EEENS1_30default_config_static_selectorELNS0_4arch9wavefront6targetE0EEEvSK_.num_agpr, 0
	.set _ZN7rocprim17ROCPRIM_400000_NS6detail17trampoline_kernelINS0_14default_configENS1_36segmented_radix_sort_config_selectorIblEEZNS1_25segmented_radix_sort_implIS3_Lb1EPKbPbPKlPlN2at6native12_GLOBAL__N_18offset_tEEE10hipError_tPvRmT1_PNSt15iterator_traitsISK_E10value_typeET2_T3_PNSL_ISQ_E10value_typeET4_jRbjT5_SW_jjP12ihipStream_tbEUlT_E2_NS1_11comp_targetILNS1_3genE10ELNS1_11target_archE1200ELNS1_3gpuE4ELNS1_3repE0EEENS1_30default_config_static_selectorELNS0_4arch9wavefront6targetE0EEEvSK_.numbered_sgpr, 0
	.set _ZN7rocprim17ROCPRIM_400000_NS6detail17trampoline_kernelINS0_14default_configENS1_36segmented_radix_sort_config_selectorIblEEZNS1_25segmented_radix_sort_implIS3_Lb1EPKbPbPKlPlN2at6native12_GLOBAL__N_18offset_tEEE10hipError_tPvRmT1_PNSt15iterator_traitsISK_E10value_typeET2_T3_PNSL_ISQ_E10value_typeET4_jRbjT5_SW_jjP12ihipStream_tbEUlT_E2_NS1_11comp_targetILNS1_3genE10ELNS1_11target_archE1200ELNS1_3gpuE4ELNS1_3repE0EEENS1_30default_config_static_selectorELNS0_4arch9wavefront6targetE0EEEvSK_.num_named_barrier, 0
	.set _ZN7rocprim17ROCPRIM_400000_NS6detail17trampoline_kernelINS0_14default_configENS1_36segmented_radix_sort_config_selectorIblEEZNS1_25segmented_radix_sort_implIS3_Lb1EPKbPbPKlPlN2at6native12_GLOBAL__N_18offset_tEEE10hipError_tPvRmT1_PNSt15iterator_traitsISK_E10value_typeET2_T3_PNSL_ISQ_E10value_typeET4_jRbjT5_SW_jjP12ihipStream_tbEUlT_E2_NS1_11comp_targetILNS1_3genE10ELNS1_11target_archE1200ELNS1_3gpuE4ELNS1_3repE0EEENS1_30default_config_static_selectorELNS0_4arch9wavefront6targetE0EEEvSK_.private_seg_size, 0
	.set _ZN7rocprim17ROCPRIM_400000_NS6detail17trampoline_kernelINS0_14default_configENS1_36segmented_radix_sort_config_selectorIblEEZNS1_25segmented_radix_sort_implIS3_Lb1EPKbPbPKlPlN2at6native12_GLOBAL__N_18offset_tEEE10hipError_tPvRmT1_PNSt15iterator_traitsISK_E10value_typeET2_T3_PNSL_ISQ_E10value_typeET4_jRbjT5_SW_jjP12ihipStream_tbEUlT_E2_NS1_11comp_targetILNS1_3genE10ELNS1_11target_archE1200ELNS1_3gpuE4ELNS1_3repE0EEENS1_30default_config_static_selectorELNS0_4arch9wavefront6targetE0EEEvSK_.uses_vcc, 0
	.set _ZN7rocprim17ROCPRIM_400000_NS6detail17trampoline_kernelINS0_14default_configENS1_36segmented_radix_sort_config_selectorIblEEZNS1_25segmented_radix_sort_implIS3_Lb1EPKbPbPKlPlN2at6native12_GLOBAL__N_18offset_tEEE10hipError_tPvRmT1_PNSt15iterator_traitsISK_E10value_typeET2_T3_PNSL_ISQ_E10value_typeET4_jRbjT5_SW_jjP12ihipStream_tbEUlT_E2_NS1_11comp_targetILNS1_3genE10ELNS1_11target_archE1200ELNS1_3gpuE4ELNS1_3repE0EEENS1_30default_config_static_selectorELNS0_4arch9wavefront6targetE0EEEvSK_.uses_flat_scratch, 0
	.set _ZN7rocprim17ROCPRIM_400000_NS6detail17trampoline_kernelINS0_14default_configENS1_36segmented_radix_sort_config_selectorIblEEZNS1_25segmented_radix_sort_implIS3_Lb1EPKbPbPKlPlN2at6native12_GLOBAL__N_18offset_tEEE10hipError_tPvRmT1_PNSt15iterator_traitsISK_E10value_typeET2_T3_PNSL_ISQ_E10value_typeET4_jRbjT5_SW_jjP12ihipStream_tbEUlT_E2_NS1_11comp_targetILNS1_3genE10ELNS1_11target_archE1200ELNS1_3gpuE4ELNS1_3repE0EEENS1_30default_config_static_selectorELNS0_4arch9wavefront6targetE0EEEvSK_.has_dyn_sized_stack, 0
	.set _ZN7rocprim17ROCPRIM_400000_NS6detail17trampoline_kernelINS0_14default_configENS1_36segmented_radix_sort_config_selectorIblEEZNS1_25segmented_radix_sort_implIS3_Lb1EPKbPbPKlPlN2at6native12_GLOBAL__N_18offset_tEEE10hipError_tPvRmT1_PNSt15iterator_traitsISK_E10value_typeET2_T3_PNSL_ISQ_E10value_typeET4_jRbjT5_SW_jjP12ihipStream_tbEUlT_E2_NS1_11comp_targetILNS1_3genE10ELNS1_11target_archE1200ELNS1_3gpuE4ELNS1_3repE0EEENS1_30default_config_static_selectorELNS0_4arch9wavefront6targetE0EEEvSK_.has_recursion, 0
	.set _ZN7rocprim17ROCPRIM_400000_NS6detail17trampoline_kernelINS0_14default_configENS1_36segmented_radix_sort_config_selectorIblEEZNS1_25segmented_radix_sort_implIS3_Lb1EPKbPbPKlPlN2at6native12_GLOBAL__N_18offset_tEEE10hipError_tPvRmT1_PNSt15iterator_traitsISK_E10value_typeET2_T3_PNSL_ISQ_E10value_typeET4_jRbjT5_SW_jjP12ihipStream_tbEUlT_E2_NS1_11comp_targetILNS1_3genE10ELNS1_11target_archE1200ELNS1_3gpuE4ELNS1_3repE0EEENS1_30default_config_static_selectorELNS0_4arch9wavefront6targetE0EEEvSK_.has_indirect_call, 0
	.section	.AMDGPU.csdata,"",@progbits
; Kernel info:
; codeLenInByte = 0
; TotalNumSgprs: 0
; NumVgprs: 0
; ScratchSize: 0
; MemoryBound: 0
; FloatMode: 240
; IeeeMode: 1
; LDSByteSize: 0 bytes/workgroup (compile time only)
; SGPRBlocks: 0
; VGPRBlocks: 0
; NumSGPRsForWavesPerEU: 1
; NumVGPRsForWavesPerEU: 1
; Occupancy: 16
; WaveLimiterHint : 0
; COMPUTE_PGM_RSRC2:SCRATCH_EN: 0
; COMPUTE_PGM_RSRC2:USER_SGPR: 6
; COMPUTE_PGM_RSRC2:TRAP_HANDLER: 0
; COMPUTE_PGM_RSRC2:TGID_X_EN: 1
; COMPUTE_PGM_RSRC2:TGID_Y_EN: 0
; COMPUTE_PGM_RSRC2:TGID_Z_EN: 0
; COMPUTE_PGM_RSRC2:TIDIG_COMP_CNT: 0
	.section	.text._ZN7rocprim17ROCPRIM_400000_NS6detail17trampoline_kernelINS0_14default_configENS1_36segmented_radix_sort_config_selectorIblEEZNS1_25segmented_radix_sort_implIS3_Lb1EPKbPbPKlPlN2at6native12_GLOBAL__N_18offset_tEEE10hipError_tPvRmT1_PNSt15iterator_traitsISK_E10value_typeET2_T3_PNSL_ISQ_E10value_typeET4_jRbjT5_SW_jjP12ihipStream_tbEUlT_E2_NS1_11comp_targetILNS1_3genE9ELNS1_11target_archE1100ELNS1_3gpuE3ELNS1_3repE0EEENS1_30default_config_static_selectorELNS0_4arch9wavefront6targetE0EEEvSK_,"axG",@progbits,_ZN7rocprim17ROCPRIM_400000_NS6detail17trampoline_kernelINS0_14default_configENS1_36segmented_radix_sort_config_selectorIblEEZNS1_25segmented_radix_sort_implIS3_Lb1EPKbPbPKlPlN2at6native12_GLOBAL__N_18offset_tEEE10hipError_tPvRmT1_PNSt15iterator_traitsISK_E10value_typeET2_T3_PNSL_ISQ_E10value_typeET4_jRbjT5_SW_jjP12ihipStream_tbEUlT_E2_NS1_11comp_targetILNS1_3genE9ELNS1_11target_archE1100ELNS1_3gpuE3ELNS1_3repE0EEENS1_30default_config_static_selectorELNS0_4arch9wavefront6targetE0EEEvSK_,comdat
	.globl	_ZN7rocprim17ROCPRIM_400000_NS6detail17trampoline_kernelINS0_14default_configENS1_36segmented_radix_sort_config_selectorIblEEZNS1_25segmented_radix_sort_implIS3_Lb1EPKbPbPKlPlN2at6native12_GLOBAL__N_18offset_tEEE10hipError_tPvRmT1_PNSt15iterator_traitsISK_E10value_typeET2_T3_PNSL_ISQ_E10value_typeET4_jRbjT5_SW_jjP12ihipStream_tbEUlT_E2_NS1_11comp_targetILNS1_3genE9ELNS1_11target_archE1100ELNS1_3gpuE3ELNS1_3repE0EEENS1_30default_config_static_selectorELNS0_4arch9wavefront6targetE0EEEvSK_ ; -- Begin function _ZN7rocprim17ROCPRIM_400000_NS6detail17trampoline_kernelINS0_14default_configENS1_36segmented_radix_sort_config_selectorIblEEZNS1_25segmented_radix_sort_implIS3_Lb1EPKbPbPKlPlN2at6native12_GLOBAL__N_18offset_tEEE10hipError_tPvRmT1_PNSt15iterator_traitsISK_E10value_typeET2_T3_PNSL_ISQ_E10value_typeET4_jRbjT5_SW_jjP12ihipStream_tbEUlT_E2_NS1_11comp_targetILNS1_3genE9ELNS1_11target_archE1100ELNS1_3gpuE3ELNS1_3repE0EEENS1_30default_config_static_selectorELNS0_4arch9wavefront6targetE0EEEvSK_
	.p2align	8
	.type	_ZN7rocprim17ROCPRIM_400000_NS6detail17trampoline_kernelINS0_14default_configENS1_36segmented_radix_sort_config_selectorIblEEZNS1_25segmented_radix_sort_implIS3_Lb1EPKbPbPKlPlN2at6native12_GLOBAL__N_18offset_tEEE10hipError_tPvRmT1_PNSt15iterator_traitsISK_E10value_typeET2_T3_PNSL_ISQ_E10value_typeET4_jRbjT5_SW_jjP12ihipStream_tbEUlT_E2_NS1_11comp_targetILNS1_3genE9ELNS1_11target_archE1100ELNS1_3gpuE3ELNS1_3repE0EEENS1_30default_config_static_selectorELNS0_4arch9wavefront6targetE0EEEvSK_,@function
_ZN7rocprim17ROCPRIM_400000_NS6detail17trampoline_kernelINS0_14default_configENS1_36segmented_radix_sort_config_selectorIblEEZNS1_25segmented_radix_sort_implIS3_Lb1EPKbPbPKlPlN2at6native12_GLOBAL__N_18offset_tEEE10hipError_tPvRmT1_PNSt15iterator_traitsISK_E10value_typeET2_T3_PNSL_ISQ_E10value_typeET4_jRbjT5_SW_jjP12ihipStream_tbEUlT_E2_NS1_11comp_targetILNS1_3genE9ELNS1_11target_archE1100ELNS1_3gpuE3ELNS1_3repE0EEENS1_30default_config_static_selectorELNS0_4arch9wavefront6targetE0EEEvSK_: ; @_ZN7rocprim17ROCPRIM_400000_NS6detail17trampoline_kernelINS0_14default_configENS1_36segmented_radix_sort_config_selectorIblEEZNS1_25segmented_radix_sort_implIS3_Lb1EPKbPbPKlPlN2at6native12_GLOBAL__N_18offset_tEEE10hipError_tPvRmT1_PNSt15iterator_traitsISK_E10value_typeET2_T3_PNSL_ISQ_E10value_typeET4_jRbjT5_SW_jjP12ihipStream_tbEUlT_E2_NS1_11comp_targetILNS1_3genE9ELNS1_11target_archE1100ELNS1_3gpuE3ELNS1_3repE0EEENS1_30default_config_static_selectorELNS0_4arch9wavefront6targetE0EEEvSK_
; %bb.0:
	.section	.rodata,"a",@progbits
	.p2align	6, 0x0
	.amdhsa_kernel _ZN7rocprim17ROCPRIM_400000_NS6detail17trampoline_kernelINS0_14default_configENS1_36segmented_radix_sort_config_selectorIblEEZNS1_25segmented_radix_sort_implIS3_Lb1EPKbPbPKlPlN2at6native12_GLOBAL__N_18offset_tEEE10hipError_tPvRmT1_PNSt15iterator_traitsISK_E10value_typeET2_T3_PNSL_ISQ_E10value_typeET4_jRbjT5_SW_jjP12ihipStream_tbEUlT_E2_NS1_11comp_targetILNS1_3genE9ELNS1_11target_archE1100ELNS1_3gpuE3ELNS1_3repE0EEENS1_30default_config_static_selectorELNS0_4arch9wavefront6targetE0EEEvSK_
		.amdhsa_group_segment_fixed_size 0
		.amdhsa_private_segment_fixed_size 0
		.amdhsa_kernarg_size 80
		.amdhsa_user_sgpr_count 6
		.amdhsa_user_sgpr_private_segment_buffer 1
		.amdhsa_user_sgpr_dispatch_ptr 0
		.amdhsa_user_sgpr_queue_ptr 0
		.amdhsa_user_sgpr_kernarg_segment_ptr 1
		.amdhsa_user_sgpr_dispatch_id 0
		.amdhsa_user_sgpr_flat_scratch_init 0
		.amdhsa_user_sgpr_private_segment_size 0
		.amdhsa_wavefront_size32 1
		.amdhsa_uses_dynamic_stack 0
		.amdhsa_system_sgpr_private_segment_wavefront_offset 0
		.amdhsa_system_sgpr_workgroup_id_x 1
		.amdhsa_system_sgpr_workgroup_id_y 0
		.amdhsa_system_sgpr_workgroup_id_z 0
		.amdhsa_system_sgpr_workgroup_info 0
		.amdhsa_system_vgpr_workitem_id 0
		.amdhsa_next_free_vgpr 1
		.amdhsa_next_free_sgpr 1
		.amdhsa_reserve_vcc 0
		.amdhsa_reserve_flat_scratch 0
		.amdhsa_float_round_mode_32 0
		.amdhsa_float_round_mode_16_64 0
		.amdhsa_float_denorm_mode_32 3
		.amdhsa_float_denorm_mode_16_64 3
		.amdhsa_dx10_clamp 1
		.amdhsa_ieee_mode 1
		.amdhsa_fp16_overflow 0
		.amdhsa_workgroup_processor_mode 1
		.amdhsa_memory_ordered 1
		.amdhsa_forward_progress 1
		.amdhsa_shared_vgpr_count 0
		.amdhsa_exception_fp_ieee_invalid_op 0
		.amdhsa_exception_fp_denorm_src 0
		.amdhsa_exception_fp_ieee_div_zero 0
		.amdhsa_exception_fp_ieee_overflow 0
		.amdhsa_exception_fp_ieee_underflow 0
		.amdhsa_exception_fp_ieee_inexact 0
		.amdhsa_exception_int_div_zero 0
	.end_amdhsa_kernel
	.section	.text._ZN7rocprim17ROCPRIM_400000_NS6detail17trampoline_kernelINS0_14default_configENS1_36segmented_radix_sort_config_selectorIblEEZNS1_25segmented_radix_sort_implIS3_Lb1EPKbPbPKlPlN2at6native12_GLOBAL__N_18offset_tEEE10hipError_tPvRmT1_PNSt15iterator_traitsISK_E10value_typeET2_T3_PNSL_ISQ_E10value_typeET4_jRbjT5_SW_jjP12ihipStream_tbEUlT_E2_NS1_11comp_targetILNS1_3genE9ELNS1_11target_archE1100ELNS1_3gpuE3ELNS1_3repE0EEENS1_30default_config_static_selectorELNS0_4arch9wavefront6targetE0EEEvSK_,"axG",@progbits,_ZN7rocprim17ROCPRIM_400000_NS6detail17trampoline_kernelINS0_14default_configENS1_36segmented_radix_sort_config_selectorIblEEZNS1_25segmented_radix_sort_implIS3_Lb1EPKbPbPKlPlN2at6native12_GLOBAL__N_18offset_tEEE10hipError_tPvRmT1_PNSt15iterator_traitsISK_E10value_typeET2_T3_PNSL_ISQ_E10value_typeET4_jRbjT5_SW_jjP12ihipStream_tbEUlT_E2_NS1_11comp_targetILNS1_3genE9ELNS1_11target_archE1100ELNS1_3gpuE3ELNS1_3repE0EEENS1_30default_config_static_selectorELNS0_4arch9wavefront6targetE0EEEvSK_,comdat
.Lfunc_end1560:
	.size	_ZN7rocprim17ROCPRIM_400000_NS6detail17trampoline_kernelINS0_14default_configENS1_36segmented_radix_sort_config_selectorIblEEZNS1_25segmented_radix_sort_implIS3_Lb1EPKbPbPKlPlN2at6native12_GLOBAL__N_18offset_tEEE10hipError_tPvRmT1_PNSt15iterator_traitsISK_E10value_typeET2_T3_PNSL_ISQ_E10value_typeET4_jRbjT5_SW_jjP12ihipStream_tbEUlT_E2_NS1_11comp_targetILNS1_3genE9ELNS1_11target_archE1100ELNS1_3gpuE3ELNS1_3repE0EEENS1_30default_config_static_selectorELNS0_4arch9wavefront6targetE0EEEvSK_, .Lfunc_end1560-_ZN7rocprim17ROCPRIM_400000_NS6detail17trampoline_kernelINS0_14default_configENS1_36segmented_radix_sort_config_selectorIblEEZNS1_25segmented_radix_sort_implIS3_Lb1EPKbPbPKlPlN2at6native12_GLOBAL__N_18offset_tEEE10hipError_tPvRmT1_PNSt15iterator_traitsISK_E10value_typeET2_T3_PNSL_ISQ_E10value_typeET4_jRbjT5_SW_jjP12ihipStream_tbEUlT_E2_NS1_11comp_targetILNS1_3genE9ELNS1_11target_archE1100ELNS1_3gpuE3ELNS1_3repE0EEENS1_30default_config_static_selectorELNS0_4arch9wavefront6targetE0EEEvSK_
                                        ; -- End function
	.set _ZN7rocprim17ROCPRIM_400000_NS6detail17trampoline_kernelINS0_14default_configENS1_36segmented_radix_sort_config_selectorIblEEZNS1_25segmented_radix_sort_implIS3_Lb1EPKbPbPKlPlN2at6native12_GLOBAL__N_18offset_tEEE10hipError_tPvRmT1_PNSt15iterator_traitsISK_E10value_typeET2_T3_PNSL_ISQ_E10value_typeET4_jRbjT5_SW_jjP12ihipStream_tbEUlT_E2_NS1_11comp_targetILNS1_3genE9ELNS1_11target_archE1100ELNS1_3gpuE3ELNS1_3repE0EEENS1_30default_config_static_selectorELNS0_4arch9wavefront6targetE0EEEvSK_.num_vgpr, 0
	.set _ZN7rocprim17ROCPRIM_400000_NS6detail17trampoline_kernelINS0_14default_configENS1_36segmented_radix_sort_config_selectorIblEEZNS1_25segmented_radix_sort_implIS3_Lb1EPKbPbPKlPlN2at6native12_GLOBAL__N_18offset_tEEE10hipError_tPvRmT1_PNSt15iterator_traitsISK_E10value_typeET2_T3_PNSL_ISQ_E10value_typeET4_jRbjT5_SW_jjP12ihipStream_tbEUlT_E2_NS1_11comp_targetILNS1_3genE9ELNS1_11target_archE1100ELNS1_3gpuE3ELNS1_3repE0EEENS1_30default_config_static_selectorELNS0_4arch9wavefront6targetE0EEEvSK_.num_agpr, 0
	.set _ZN7rocprim17ROCPRIM_400000_NS6detail17trampoline_kernelINS0_14default_configENS1_36segmented_radix_sort_config_selectorIblEEZNS1_25segmented_radix_sort_implIS3_Lb1EPKbPbPKlPlN2at6native12_GLOBAL__N_18offset_tEEE10hipError_tPvRmT1_PNSt15iterator_traitsISK_E10value_typeET2_T3_PNSL_ISQ_E10value_typeET4_jRbjT5_SW_jjP12ihipStream_tbEUlT_E2_NS1_11comp_targetILNS1_3genE9ELNS1_11target_archE1100ELNS1_3gpuE3ELNS1_3repE0EEENS1_30default_config_static_selectorELNS0_4arch9wavefront6targetE0EEEvSK_.numbered_sgpr, 0
	.set _ZN7rocprim17ROCPRIM_400000_NS6detail17trampoline_kernelINS0_14default_configENS1_36segmented_radix_sort_config_selectorIblEEZNS1_25segmented_radix_sort_implIS3_Lb1EPKbPbPKlPlN2at6native12_GLOBAL__N_18offset_tEEE10hipError_tPvRmT1_PNSt15iterator_traitsISK_E10value_typeET2_T3_PNSL_ISQ_E10value_typeET4_jRbjT5_SW_jjP12ihipStream_tbEUlT_E2_NS1_11comp_targetILNS1_3genE9ELNS1_11target_archE1100ELNS1_3gpuE3ELNS1_3repE0EEENS1_30default_config_static_selectorELNS0_4arch9wavefront6targetE0EEEvSK_.num_named_barrier, 0
	.set _ZN7rocprim17ROCPRIM_400000_NS6detail17trampoline_kernelINS0_14default_configENS1_36segmented_radix_sort_config_selectorIblEEZNS1_25segmented_radix_sort_implIS3_Lb1EPKbPbPKlPlN2at6native12_GLOBAL__N_18offset_tEEE10hipError_tPvRmT1_PNSt15iterator_traitsISK_E10value_typeET2_T3_PNSL_ISQ_E10value_typeET4_jRbjT5_SW_jjP12ihipStream_tbEUlT_E2_NS1_11comp_targetILNS1_3genE9ELNS1_11target_archE1100ELNS1_3gpuE3ELNS1_3repE0EEENS1_30default_config_static_selectorELNS0_4arch9wavefront6targetE0EEEvSK_.private_seg_size, 0
	.set _ZN7rocprim17ROCPRIM_400000_NS6detail17trampoline_kernelINS0_14default_configENS1_36segmented_radix_sort_config_selectorIblEEZNS1_25segmented_radix_sort_implIS3_Lb1EPKbPbPKlPlN2at6native12_GLOBAL__N_18offset_tEEE10hipError_tPvRmT1_PNSt15iterator_traitsISK_E10value_typeET2_T3_PNSL_ISQ_E10value_typeET4_jRbjT5_SW_jjP12ihipStream_tbEUlT_E2_NS1_11comp_targetILNS1_3genE9ELNS1_11target_archE1100ELNS1_3gpuE3ELNS1_3repE0EEENS1_30default_config_static_selectorELNS0_4arch9wavefront6targetE0EEEvSK_.uses_vcc, 0
	.set _ZN7rocprim17ROCPRIM_400000_NS6detail17trampoline_kernelINS0_14default_configENS1_36segmented_radix_sort_config_selectorIblEEZNS1_25segmented_radix_sort_implIS3_Lb1EPKbPbPKlPlN2at6native12_GLOBAL__N_18offset_tEEE10hipError_tPvRmT1_PNSt15iterator_traitsISK_E10value_typeET2_T3_PNSL_ISQ_E10value_typeET4_jRbjT5_SW_jjP12ihipStream_tbEUlT_E2_NS1_11comp_targetILNS1_3genE9ELNS1_11target_archE1100ELNS1_3gpuE3ELNS1_3repE0EEENS1_30default_config_static_selectorELNS0_4arch9wavefront6targetE0EEEvSK_.uses_flat_scratch, 0
	.set _ZN7rocprim17ROCPRIM_400000_NS6detail17trampoline_kernelINS0_14default_configENS1_36segmented_radix_sort_config_selectorIblEEZNS1_25segmented_radix_sort_implIS3_Lb1EPKbPbPKlPlN2at6native12_GLOBAL__N_18offset_tEEE10hipError_tPvRmT1_PNSt15iterator_traitsISK_E10value_typeET2_T3_PNSL_ISQ_E10value_typeET4_jRbjT5_SW_jjP12ihipStream_tbEUlT_E2_NS1_11comp_targetILNS1_3genE9ELNS1_11target_archE1100ELNS1_3gpuE3ELNS1_3repE0EEENS1_30default_config_static_selectorELNS0_4arch9wavefront6targetE0EEEvSK_.has_dyn_sized_stack, 0
	.set _ZN7rocprim17ROCPRIM_400000_NS6detail17trampoline_kernelINS0_14default_configENS1_36segmented_radix_sort_config_selectorIblEEZNS1_25segmented_radix_sort_implIS3_Lb1EPKbPbPKlPlN2at6native12_GLOBAL__N_18offset_tEEE10hipError_tPvRmT1_PNSt15iterator_traitsISK_E10value_typeET2_T3_PNSL_ISQ_E10value_typeET4_jRbjT5_SW_jjP12ihipStream_tbEUlT_E2_NS1_11comp_targetILNS1_3genE9ELNS1_11target_archE1100ELNS1_3gpuE3ELNS1_3repE0EEENS1_30default_config_static_selectorELNS0_4arch9wavefront6targetE0EEEvSK_.has_recursion, 0
	.set _ZN7rocprim17ROCPRIM_400000_NS6detail17trampoline_kernelINS0_14default_configENS1_36segmented_radix_sort_config_selectorIblEEZNS1_25segmented_radix_sort_implIS3_Lb1EPKbPbPKlPlN2at6native12_GLOBAL__N_18offset_tEEE10hipError_tPvRmT1_PNSt15iterator_traitsISK_E10value_typeET2_T3_PNSL_ISQ_E10value_typeET4_jRbjT5_SW_jjP12ihipStream_tbEUlT_E2_NS1_11comp_targetILNS1_3genE9ELNS1_11target_archE1100ELNS1_3gpuE3ELNS1_3repE0EEENS1_30default_config_static_selectorELNS0_4arch9wavefront6targetE0EEEvSK_.has_indirect_call, 0
	.section	.AMDGPU.csdata,"",@progbits
; Kernel info:
; codeLenInByte = 0
; TotalNumSgprs: 0
; NumVgprs: 0
; ScratchSize: 0
; MemoryBound: 0
; FloatMode: 240
; IeeeMode: 1
; LDSByteSize: 0 bytes/workgroup (compile time only)
; SGPRBlocks: 0
; VGPRBlocks: 0
; NumSGPRsForWavesPerEU: 1
; NumVGPRsForWavesPerEU: 1
; Occupancy: 16
; WaveLimiterHint : 0
; COMPUTE_PGM_RSRC2:SCRATCH_EN: 0
; COMPUTE_PGM_RSRC2:USER_SGPR: 6
; COMPUTE_PGM_RSRC2:TRAP_HANDLER: 0
; COMPUTE_PGM_RSRC2:TGID_X_EN: 1
; COMPUTE_PGM_RSRC2:TGID_Y_EN: 0
; COMPUTE_PGM_RSRC2:TGID_Z_EN: 0
; COMPUTE_PGM_RSRC2:TIDIG_COMP_CNT: 0
	.section	.text._ZN7rocprim17ROCPRIM_400000_NS6detail17trampoline_kernelINS0_14default_configENS1_36segmented_radix_sort_config_selectorIblEEZNS1_25segmented_radix_sort_implIS3_Lb1EPKbPbPKlPlN2at6native12_GLOBAL__N_18offset_tEEE10hipError_tPvRmT1_PNSt15iterator_traitsISK_E10value_typeET2_T3_PNSL_ISQ_E10value_typeET4_jRbjT5_SW_jjP12ihipStream_tbEUlT_E2_NS1_11comp_targetILNS1_3genE8ELNS1_11target_archE1030ELNS1_3gpuE2ELNS1_3repE0EEENS1_30default_config_static_selectorELNS0_4arch9wavefront6targetE0EEEvSK_,"axG",@progbits,_ZN7rocprim17ROCPRIM_400000_NS6detail17trampoline_kernelINS0_14default_configENS1_36segmented_radix_sort_config_selectorIblEEZNS1_25segmented_radix_sort_implIS3_Lb1EPKbPbPKlPlN2at6native12_GLOBAL__N_18offset_tEEE10hipError_tPvRmT1_PNSt15iterator_traitsISK_E10value_typeET2_T3_PNSL_ISQ_E10value_typeET4_jRbjT5_SW_jjP12ihipStream_tbEUlT_E2_NS1_11comp_targetILNS1_3genE8ELNS1_11target_archE1030ELNS1_3gpuE2ELNS1_3repE0EEENS1_30default_config_static_selectorELNS0_4arch9wavefront6targetE0EEEvSK_,comdat
	.globl	_ZN7rocprim17ROCPRIM_400000_NS6detail17trampoline_kernelINS0_14default_configENS1_36segmented_radix_sort_config_selectorIblEEZNS1_25segmented_radix_sort_implIS3_Lb1EPKbPbPKlPlN2at6native12_GLOBAL__N_18offset_tEEE10hipError_tPvRmT1_PNSt15iterator_traitsISK_E10value_typeET2_T3_PNSL_ISQ_E10value_typeET4_jRbjT5_SW_jjP12ihipStream_tbEUlT_E2_NS1_11comp_targetILNS1_3genE8ELNS1_11target_archE1030ELNS1_3gpuE2ELNS1_3repE0EEENS1_30default_config_static_selectorELNS0_4arch9wavefront6targetE0EEEvSK_ ; -- Begin function _ZN7rocprim17ROCPRIM_400000_NS6detail17trampoline_kernelINS0_14default_configENS1_36segmented_radix_sort_config_selectorIblEEZNS1_25segmented_radix_sort_implIS3_Lb1EPKbPbPKlPlN2at6native12_GLOBAL__N_18offset_tEEE10hipError_tPvRmT1_PNSt15iterator_traitsISK_E10value_typeET2_T3_PNSL_ISQ_E10value_typeET4_jRbjT5_SW_jjP12ihipStream_tbEUlT_E2_NS1_11comp_targetILNS1_3genE8ELNS1_11target_archE1030ELNS1_3gpuE2ELNS1_3repE0EEENS1_30default_config_static_selectorELNS0_4arch9wavefront6targetE0EEEvSK_
	.p2align	8
	.type	_ZN7rocprim17ROCPRIM_400000_NS6detail17trampoline_kernelINS0_14default_configENS1_36segmented_radix_sort_config_selectorIblEEZNS1_25segmented_radix_sort_implIS3_Lb1EPKbPbPKlPlN2at6native12_GLOBAL__N_18offset_tEEE10hipError_tPvRmT1_PNSt15iterator_traitsISK_E10value_typeET2_T3_PNSL_ISQ_E10value_typeET4_jRbjT5_SW_jjP12ihipStream_tbEUlT_E2_NS1_11comp_targetILNS1_3genE8ELNS1_11target_archE1030ELNS1_3gpuE2ELNS1_3repE0EEENS1_30default_config_static_selectorELNS0_4arch9wavefront6targetE0EEEvSK_,@function
_ZN7rocprim17ROCPRIM_400000_NS6detail17trampoline_kernelINS0_14default_configENS1_36segmented_radix_sort_config_selectorIblEEZNS1_25segmented_radix_sort_implIS3_Lb1EPKbPbPKlPlN2at6native12_GLOBAL__N_18offset_tEEE10hipError_tPvRmT1_PNSt15iterator_traitsISK_E10value_typeET2_T3_PNSL_ISQ_E10value_typeET4_jRbjT5_SW_jjP12ihipStream_tbEUlT_E2_NS1_11comp_targetILNS1_3genE8ELNS1_11target_archE1030ELNS1_3gpuE2ELNS1_3repE0EEENS1_30default_config_static_selectorELNS0_4arch9wavefront6targetE0EEEvSK_: ; @_ZN7rocprim17ROCPRIM_400000_NS6detail17trampoline_kernelINS0_14default_configENS1_36segmented_radix_sort_config_selectorIblEEZNS1_25segmented_radix_sort_implIS3_Lb1EPKbPbPKlPlN2at6native12_GLOBAL__N_18offset_tEEE10hipError_tPvRmT1_PNSt15iterator_traitsISK_E10value_typeET2_T3_PNSL_ISQ_E10value_typeET4_jRbjT5_SW_jjP12ihipStream_tbEUlT_E2_NS1_11comp_targetILNS1_3genE8ELNS1_11target_archE1030ELNS1_3gpuE2ELNS1_3repE0EEENS1_30default_config_static_selectorELNS0_4arch9wavefront6targetE0EEEvSK_
; %bb.0:
	s_add_u32 s0, s0, s8
	s_load_dwordx4 s[8:11], s[4:5], 0x34
	s_addc_u32 s1, s1, 0
	s_mov_b32 s32, 0
	s_waitcnt lgkmcnt(0)
	s_add_i32 s58, s9, s6
	s_add_i32 s59, s11, s6
	s_mul_i32 s58, s58, s8
	s_mul_i32 s59, s59, s10
	s_cmp_le_u32 s59, s58
	s_cbranch_scc1 .LBB1561_1262
; %bb.1:
	s_clause 0x3
	s_load_dword s8, s[4:5], 0x30
	s_load_dwordx4 s[52:55], s[4:5], 0x20
	s_load_dwordx4 s[40:43], s[4:5], 0x44
	s_load_dwordx8 s[44:51], s[4:5], 0x0
	s_waitcnt lgkmcnt(0)
	s_bitcmp1_b32 s8, 0
	s_mov_b32 s8, -1
	s_cselect_b32 s43, -1, 0
	s_sub_i32 s60, s59, s58
	s_cmpk_lt_u32 s60, 0x1101
	s_cbranch_scc0 .LBB1561_15
; %bb.2:
	s_cmpk_lt_u32 s60, 0x81
	s_cbranch_scc0 .LBB1561_9
; %bb.3:
	s_load_dword s8, s[4:5], 0x5c
	s_mov_b32 s19, exec_lo
	s_waitcnt lgkmcnt(0)
	s_lshr_b32 s9, s8, 16
	s_and_b32 s8, s8, 0xffff
	v_mad_u32_u24 v3, v2, s9, v1
	v_mad_u64_u32 v[3:4], null, v3, s8, v[0:1]
	v_cmpx_gt_u32_e32 32, v3
	s_cbranch_execz .LBB1561_8
; %bb.4:
	v_cndmask_b32_e64 v3, 0, 1, s43
	s_and_b32 s8, s40, 1
	v_cmp_ne_u32_e32 vcc_lo, s8, v3
	s_mov_b32 s8, -1
	s_cbranch_vccnz .LBB1561_6
; %bb.5:
	v_lshlrev_b32_e32 v3, 20, v2
	v_lshlrev_b32_e32 v4, 10, v1
	s_mov_b64 s[10:11], src_shared_base
	v_mov_b32_e32 v40, v0
	v_mov_b32_e32 v41, v1
	;; [unrolled: 1-line block ×3, first 2 shown]
	v_or3_b32 v31, v0, v4, v3
	v_mov_b32_e32 v0, s44
	v_mov_b32_e32 v42, v2
	;; [unrolled: 1-line block ×14, first 2 shown]
	s_add_u32 s8, s4, 0x50
	s_addc_u32 s9, s5, 0
	s_getpc_b64 s[14:15]
	s_add_u32 s14, s14, _ZN7rocprim17ROCPRIM_400000_NS6detail26segmented_warp_sort_helperINS1_20WarpSortHelperConfigILj32ELj4ELj256EEEblLi256ELb1EvE4sortIPKbPbPKlPlEEvT_T0_T1_T2_jjjjRNS5_12storage_typeE@rel32@lo+4
	s_addc_u32 s15, s15, _ZN7rocprim17ROCPRIM_400000_NS6detail26segmented_warp_sort_helperINS1_20WarpSortHelperConfigILj32ELj4ELj256EEEblLi256ELb1EvE4sortIPKbPbPKlPlEEvT_T0_T1_T2_jjjjRNS5_12storage_typeE@rel32@hi+12
	s_mov_b32 s12, s6
	s_mov_b32 s13, s7
	s_mov_b64 s[20:21], s[4:5]
	s_mov_b32 s22, s7
	s_mov_b32 s23, s6
	s_swappc_b64 s[30:31], s[14:15]
	v_mov_b32_e32 v1, v41
	v_mov_b32_e32 v2, v42
	;; [unrolled: 1-line block ×3, first 2 shown]
	s_mov_b32 s6, s23
	s_mov_b32 s7, s22
	s_mov_b64 s[4:5], s[20:21]
	s_mov_b32 s8, 0
.LBB1561_6:
	s_andn2_b32 vcc_lo, exec_lo, s8
	s_cbranch_vccnz .LBB1561_8
; %bb.7:
	v_lshlrev_b32_e32 v3, 20, v2
	v_lshlrev_b32_e32 v4, 10, v1
	s_mov_b64 s[10:11], src_shared_base
	v_mov_b32_e32 v40, v0
	v_mov_b32_e32 v41, v1
	;; [unrolled: 1-line block ×3, first 2 shown]
	v_or3_b32 v31, v0, v4, v3
	v_mov_b32_e32 v0, s44
	v_mov_b32_e32 v42, v2
	;; [unrolled: 1-line block ×14, first 2 shown]
	s_add_u32 s8, s4, 0x50
	s_addc_u32 s9, s5, 0
	s_getpc_b64 s[14:15]
	s_add_u32 s14, s14, _ZN7rocprim17ROCPRIM_400000_NS6detail26segmented_warp_sort_helperINS1_20WarpSortHelperConfigILj32ELj4ELj256EEEblLi256ELb1EvE4sortIPKbPbPKlPlEEvT_T0_T1_T2_jjjjRNS5_12storage_typeE@rel32@lo+4
	s_addc_u32 s15, s15, _ZN7rocprim17ROCPRIM_400000_NS6detail26segmented_warp_sort_helperINS1_20WarpSortHelperConfigILj32ELj4ELj256EEEblLi256ELb1EvE4sortIPKbPbPKlPlEEvT_T0_T1_T2_jjjjRNS5_12storage_typeE@rel32@hi+12
	s_mov_b32 s12, s6
	s_mov_b32 s13, s7
	s_mov_b64 s[20:21], s[4:5]
	s_mov_b32 s23, s7
	s_mov_b32 s22, s6
	s_swappc_b64 s[30:31], s[14:15]
	v_mov_b32_e32 v1, v41
	v_mov_b32_e32 v2, v42
	;; [unrolled: 1-line block ×3, first 2 shown]
	s_mov_b32 s6, s22
	s_mov_b32 s7, s23
	s_mov_b64 s[4:5], s[20:21]
.LBB1561_8:
	s_or_b32 exec_lo, exec_lo, s19
	s_mov_b32 s8, 0
.LBB1561_9:
	s_andn2_b32 vcc_lo, exec_lo, s8
	s_cbranch_vccnz .LBB1561_14
; %bb.10:
	v_cndmask_b32_e64 v3, 0, 1, s43
	s_and_b32 s8, s40, 1
	v_lshlrev_b32_e32 v41, 20, v2
	v_lshlrev_b32_e32 v42, 10, v1
	v_cmp_ne_u32_e32 vcc_lo, s8, v3
	s_mov_b32 s8, -1
	s_cbranch_vccnz .LBB1561_12
; %bb.11:
	s_mov_b64 s[10:11], src_shared_base
	v_or3_b32 v31, v0, v42, v41
	v_mov_b32_e32 v40, v0
	v_mov_b32_e32 v0, s44
	;; [unrolled: 1-line block ×17, first 2 shown]
	s_add_u32 s8, s4, 0x50
	s_addc_u32 s9, s5, 0
	s_getpc_b64 s[14:15]
	s_add_u32 s14, s14, _ZN7rocprim17ROCPRIM_400000_NS6detail40segmented_radix_sort_single_block_helperIblLj256ELj17ELb1EE4sortIPKbPbPKlPlEEbT_T0_T1_T2_jjjjRNS3_12storage_typeE@rel32@lo+4
	s_addc_u32 s15, s15, _ZN7rocprim17ROCPRIM_400000_NS6detail40segmented_radix_sort_single_block_helperIblLj256ELj17ELb1EE4sortIPKbPbPKlPlEEbT_T0_T1_T2_jjjjRNS3_12storage_typeE@rel32@hi+12
	s_mov_b32 s12, s6
	s_mov_b32 s13, s7
	s_mov_b64 s[28:29], s[4:5]
	s_mov_b32 s33, s7
	s_mov_b32 s34, s6
	s_swappc_b64 s[30:31], s[14:15]
	v_mov_b32_e32 v1, v43
	v_mov_b32_e32 v2, v44
	;; [unrolled: 1-line block ×3, first 2 shown]
	s_mov_b32 s6, s34
	s_mov_b32 s7, s33
	s_mov_b64 s[4:5], s[28:29]
	s_mov_b32 s8, 0
.LBB1561_12:
	s_andn2_b32 vcc_lo, exec_lo, s8
	s_cbranch_vccnz .LBB1561_14
; %bb.13:
	s_mov_b64 s[10:11], src_shared_base
	v_or3_b32 v31, v0, v42, v41
	v_mov_b32_e32 v40, v0
	v_mov_b32_e32 v0, s44
	;; [unrolled: 1-line block ×17, first 2 shown]
	s_add_u32 s8, s4, 0x50
	s_addc_u32 s9, s5, 0
	s_getpc_b64 s[14:15]
	s_add_u32 s14, s14, _ZN7rocprim17ROCPRIM_400000_NS6detail40segmented_radix_sort_single_block_helperIblLj256ELj17ELb1EE4sortIPKbPbPKlPlEEbT_T0_T1_T2_jjjjRNS3_12storage_typeE@rel32@lo+4
	s_addc_u32 s15, s15, _ZN7rocprim17ROCPRIM_400000_NS6detail40segmented_radix_sort_single_block_helperIblLj256ELj17ELb1EE4sortIPKbPbPKlPlEEbT_T0_T1_T2_jjjjRNS3_12storage_typeE@rel32@hi+12
	s_mov_b32 s12, s6
	s_mov_b32 s13, s7
	s_mov_b64 s[28:29], s[4:5]
	s_mov_b32 s34, s7
	s_mov_b32 s33, s6
	s_swappc_b64 s[30:31], s[14:15]
	v_mov_b32_e32 v1, v41
	v_mov_b32_e32 v2, v42
	;; [unrolled: 1-line block ×3, first 2 shown]
	s_mov_b32 s6, s33
	s_mov_b32 s7, s34
	s_mov_b64 s[4:5], s[28:29]
.LBB1561_14:
	s_mov_b32 s8, 0
.LBB1561_15:
	s_andn2_b32 vcc_lo, exec_lo, s8
	s_cbranch_vccnz .LBB1561_1262
; %bb.16:
	s_cmp_ge_u32 s41, s42
	s_cbranch_scc1 .LBB1561_1262
; %bb.17:
	v_lshlrev_b32_e32 v45, 2, v0
	v_and_b32_e32 v4, 3, v0
	v_and_b32_e32 v5, 0xe0, v0
	s_add_u32 s56, s4, 0x50
	v_lshrrev_b32_e32 v7, 3, v0
	v_mad_u32_u24 v66, v0, 12, v45
	v_lshlrev_b32_e32 v65, 2, v4
	v_min_u32_e32 v6, 0x60, v5
	v_or_b32_e32 v4, 31, v5
	v_mul_u32_u24_e32 v70, 17, v5
	v_add_nc_u32_e32 v71, v66, v45
	v_lshlrev_b32_e32 v5, 4, v0
	v_or_b32_e32 v6, 31, v6
	v_cmp_eq_u32_e64 s4, v0, v4
	v_add_nc_u32_e32 v4, 1, v0
	v_mbcnt_lo_u32_b32 v88, -1, 0
	v_sub_nc_u32_e32 v72, v71, v5
	v_lshlrev_b32_e32 v5, 3, v70
	v_cmp_eq_u32_e64 s9, v0, v6
	v_mul_u32_u24_e32 v73, 36, v4
	v_cmp_ne_u32_e64 s14, 0x80, v4
	v_and_b32_e32 v64, 28, v7
	v_add_co_u32 v75, s15, s54, v5
	v_add_co_ci_u32_e64 v76, null, s55, 0, s15
	v_add_co_u32 v4, s15, s48, v70
	v_add_co_ci_u32_e64 v6, null, s49, 0, s15
	;; [unrolled: 2-line block ×6, first 2 shown]
	v_add_co_u32 v86, s15, s50, v5
	v_add_co_u32 v47, s8, s48, v0
	v_add_co_ci_u32_e64 v87, null, s51, 0, s15
	v_add_co_u32 v89, s15, s44, v70
	v_add_co_u32 v92, vcc_lo, v4, v88
	v_mov_b32_e32 v3, 0
	v_or_b32_e32 v46, 0x100, v0
	v_add_co_ci_u32_e64 v48, null, s49, 0, s8
	v_or_b32_e32 v49, 0x200, v0
	v_or_b32_e32 v50, 0x300, v0
	;; [unrolled: 1-line block ×15, first 2 shown]
	v_cmp_gt_u32_e64 s8, 0x80, v0
	v_or_b32_e32 v67, 0x8a00, v64
	v_cmp_gt_u32_e64 s10, 4, v0
	v_add_nc_u32_e32 v68, 0x8a00, v45
	v_cmp_lt_u32_e64 s11, 31, v0
	v_add_nc_u32_e32 v69, 0x89fc, v64
	v_cmp_gt_u32_e64 s12, 8, v0
	v_cmp_eq_u32_e64 s13, 0, v0
	v_lshlrev_b32_e32 v74, 5, v0
	v_mul_u32_u24_e32 v77, 7, v0
	v_add_co_ci_u32_e64 v90, null, s45, 0, s15
	v_mov_b32_e32 v91, 1
	v_add_co_ci_u32_e64 v93, null, 0, v6, vcc_lo
	v_mov_b32_e32 v94, 0xffff
	s_addc_u32 s57, s5, 0
	s_mov_b32 s51, 0
	s_mov_b32 s61, s41
	s_branch .LBB1561_20
.LBB1561_18:                            ;   in Loop: Header=BB1561_20 Depth=1
	s_waitcnt lgkmcnt(0)
	s_barrier
.LBB1561_19:                            ;   in Loop: Header=BB1561_20 Depth=1
	s_add_i32 s61, s61, 7
	buffer_gl0_inv
	s_cmp_ge_u32 s61, s42
	s_cbranch_scc1 .LBB1561_1262
.LBB1561_20:                            ; =>This Loop Header: Depth=1
                                        ;     Child Loop BB1561_24 Depth 2
                                        ;     Child Loop BB1561_108 Depth 2
                                        ;     Child Loop BB1561_334 Depth 2
                                        ;     Child Loop BB1561_418 Depth 2
                                        ;     Child Loop BB1561_646 Depth 2
                                        ;     Child Loop BB1561_730 Depth 2
                                        ;     Child Loop BB1561_956 Depth 2
                                        ;     Child Loop BB1561_1040 Depth 2
	s_sub_i32 s5, s42, s61
	s_xor_b32 s43, s43, -1
	s_min_u32 s5, s5, 7
	ds_write2st64_b32 v45, v3, v3 offset1:4
	s_lshl_b32 s5, -1, s5
	s_waitcnt lgkmcnt(0)
	s_waitcnt_vscnt null, 0x0
	s_not_b32 s62, s5
	s_cmp_lg_u32 s61, s41
	s_mov_b32 s5, -1
	s_cbranch_scc0 .LBB1561_642
; %bb.21:                               ;   in Loop: Header=BB1561_20 Depth=1
	s_and_b32 vcc_lo, exec_lo, s43
	s_cbranch_vccz .LBB1561_331
; %bb.22:                               ;   in Loop: Header=BB1561_20 Depth=1
	v_mov_b32_e32 v17, 0
	v_mov_b32_e32 v20, 0
	;; [unrolled: 1-line block ×17, first 2 shown]
	s_mov_b32 s5, s60
	s_mov_b32 s17, s58
	s_barrier
	buffer_gl0_inv
	s_branch .LBB1561_24
.LBB1561_23:                            ;   in Loop: Header=BB1561_24 Depth=2
	s_or_b32 exec_lo, exec_lo, s16
	s_addk_i32 s5, 0xef00
	s_cmp_ge_u32 s15, s59
	s_mov_b32 s17, s15
	s_cbranch_scc1 .LBB1561_96
.LBB1561_24:                            ;   Parent Loop BB1561_20 Depth=1
                                        ; =>  This Inner Loop Header: Depth=2
	s_add_i32 s15, s17, 0x1100
	s_mov_b32 s16, -1
	s_cmp_gt_u32 s15, s59
                                        ; implicit-def: $vgpr21
                                        ; implicit-def: $vgpr22
                                        ; implicit-def: $vgpr23
                                        ; implicit-def: $vgpr24
                                        ; implicit-def: $vgpr25
                                        ; implicit-def: $vgpr26
                                        ; implicit-def: $vgpr27
                                        ; implicit-def: $vgpr28
                                        ; implicit-def: $vgpr29
                                        ; implicit-def: $vgpr30
                                        ; implicit-def: $vgpr31
                                        ; implicit-def: $vgpr32
                                        ; implicit-def: $vgpr33
                                        ; implicit-def: $vgpr34
                                        ; implicit-def: $vgpr35
                                        ; implicit-def: $vgpr36
                                        ; implicit-def: $vgpr37
	s_cbranch_scc1 .LBB1561_26
; %bb.25:                               ;   in Loop: Header=BB1561_24 Depth=2
	v_add_co_u32 v38, vcc_lo, v47, s17
	v_add_co_ci_u32_e64 v39, null, 0, v48, vcc_lo
	s_mov_b32 s16, 0
	v_add_co_u32 v21, vcc_lo, 0x800, v38
	v_add_co_ci_u32_e64 v22, null, 0, v39, vcc_lo
	v_add_co_u32 v23, vcc_lo, 0x1000, v38
	v_add_co_ci_u32_e64 v24, null, 0, v39, vcc_lo
	s_clause 0x10
	global_load_ubyte v36, v[21:22], off offset:1792
	global_load_ubyte v37, v[23:24], off
	global_load_ubyte v35, v[21:22], off offset:1536
	global_load_ubyte v34, v[21:22], off offset:1280
	global_load_ubyte v33, v[21:22], off offset:1024
	global_load_ubyte v32, v[21:22], off offset:768
	global_load_ubyte v31, v[21:22], off offset:512
	global_load_ubyte v30, v[21:22], off offset:256
	global_load_ubyte v29, v[21:22], off
	global_load_ubyte v28, v[38:39], off offset:1792
	global_load_ubyte v27, v[38:39], off offset:1536
	;; [unrolled: 1-line block ×7, first 2 shown]
	global_load_ubyte v21, v[38:39], off
.LBB1561_26:                            ;   in Loop: Header=BB1561_24 Depth=2
	s_andn2_b32 vcc_lo, exec_lo, s16
	s_movk_i32 s16, 0x1100
	s_cbranch_vccnz .LBB1561_46
; %bb.27:                               ;   in Loop: Header=BB1561_24 Depth=2
	s_add_u32 s16, s48, s17
	s_addc_u32 s17, s49, 0
	s_mov_b32 s18, exec_lo
	v_cmpx_gt_u32_e64 s5, v0
	s_cbranch_execnz .LBB1561_80
; %bb.28:                               ;   in Loop: Header=BB1561_24 Depth=2
	s_or_b32 exec_lo, exec_lo, s18
	s_mov_b32 s18, exec_lo
	v_cmpx_gt_u32_e64 s5, v46
	s_cbranch_execnz .LBB1561_81
.LBB1561_29:                            ;   in Loop: Header=BB1561_24 Depth=2
	s_or_b32 exec_lo, exec_lo, s18
	s_mov_b32 s18, exec_lo
	v_cmpx_gt_u32_e64 s5, v49
	s_cbranch_execnz .LBB1561_82
.LBB1561_30:                            ;   in Loop: Header=BB1561_24 Depth=2
	s_or_b32 exec_lo, exec_lo, s18
	s_mov_b32 s18, exec_lo
	v_cmpx_gt_u32_e64 s5, v50
	s_cbranch_execnz .LBB1561_83
.LBB1561_31:                            ;   in Loop: Header=BB1561_24 Depth=2
	s_or_b32 exec_lo, exec_lo, s18
	s_mov_b32 s18, exec_lo
	v_cmpx_gt_u32_e64 s5, v51
	s_cbranch_execnz .LBB1561_84
.LBB1561_32:                            ;   in Loop: Header=BB1561_24 Depth=2
	s_or_b32 exec_lo, exec_lo, s18
	s_mov_b32 s18, exec_lo
	v_cmpx_gt_u32_e64 s5, v52
	s_cbranch_execnz .LBB1561_85
.LBB1561_33:                            ;   in Loop: Header=BB1561_24 Depth=2
	s_or_b32 exec_lo, exec_lo, s18
	s_mov_b32 s18, exec_lo
	v_cmpx_gt_u32_e64 s5, v53
	s_cbranch_execnz .LBB1561_86
.LBB1561_34:                            ;   in Loop: Header=BB1561_24 Depth=2
	s_or_b32 exec_lo, exec_lo, s18
	s_mov_b32 s18, exec_lo
	v_cmpx_gt_u32_e64 s5, v54
	s_cbranch_execnz .LBB1561_87
.LBB1561_35:                            ;   in Loop: Header=BB1561_24 Depth=2
	s_or_b32 exec_lo, exec_lo, s18
	s_mov_b32 s18, exec_lo
	v_cmpx_gt_u32_e64 s5, v55
	s_cbranch_execnz .LBB1561_88
.LBB1561_36:                            ;   in Loop: Header=BB1561_24 Depth=2
	s_or_b32 exec_lo, exec_lo, s18
	s_mov_b32 s18, exec_lo
	v_cmpx_gt_u32_e64 s5, v56
	s_cbranch_execnz .LBB1561_89
.LBB1561_37:                            ;   in Loop: Header=BB1561_24 Depth=2
	s_or_b32 exec_lo, exec_lo, s18
	s_mov_b32 s18, exec_lo
	v_cmpx_gt_u32_e64 s5, v57
	s_cbranch_execnz .LBB1561_90
.LBB1561_38:                            ;   in Loop: Header=BB1561_24 Depth=2
	s_or_b32 exec_lo, exec_lo, s18
	s_mov_b32 s18, exec_lo
	v_cmpx_gt_u32_e64 s5, v58
	s_cbranch_execnz .LBB1561_91
.LBB1561_39:                            ;   in Loop: Header=BB1561_24 Depth=2
	s_or_b32 exec_lo, exec_lo, s18
	s_mov_b32 s18, exec_lo
	v_cmpx_gt_u32_e64 s5, v59
	s_cbranch_execnz .LBB1561_92
.LBB1561_40:                            ;   in Loop: Header=BB1561_24 Depth=2
	s_or_b32 exec_lo, exec_lo, s18
	s_mov_b32 s18, exec_lo
	v_cmpx_gt_u32_e64 s5, v60
	s_cbranch_execnz .LBB1561_93
.LBB1561_41:                            ;   in Loop: Header=BB1561_24 Depth=2
	s_or_b32 exec_lo, exec_lo, s18
	s_mov_b32 s18, exec_lo
	v_cmpx_gt_u32_e64 s5, v61
	s_cbranch_execnz .LBB1561_94
.LBB1561_42:                            ;   in Loop: Header=BB1561_24 Depth=2
	s_or_b32 exec_lo, exec_lo, s18
	s_mov_b32 s18, exec_lo
	v_cmpx_gt_u32_e64 s5, v62
	s_cbranch_execnz .LBB1561_95
.LBB1561_43:                            ;   in Loop: Header=BB1561_24 Depth=2
	s_or_b32 exec_lo, exec_lo, s18
	s_mov_b32 s18, exec_lo
	v_cmpx_gt_u32_e64 s5, v63
	s_cbranch_execz .LBB1561_45
.LBB1561_44:                            ;   in Loop: Header=BB1561_24 Depth=2
	s_waitcnt vmcnt(0)
	v_add_co_u32 v21, s16, s16, v63
	v_add_co_ci_u32_e64 v22, null, s17, 0, s16
	global_load_ubyte v4, v[21:22], off
.LBB1561_45:                            ;   in Loop: Header=BB1561_24 Depth=2
	s_or_b32 exec_lo, exec_lo, s18
	s_waitcnt vmcnt(0)
	v_mov_b32_e32 v21, v17
	v_mov_b32_e32 v22, v20
	;; [unrolled: 1-line block ×17, first 2 shown]
	s_mov_b32 s16, s5
.LBB1561_46:                            ;   in Loop: Header=BB1561_24 Depth=2
	s_waitcnt vmcnt(15)
	v_mov_b32_e32 v4, v37
	v_mov_b32_e32 v5, v36
	s_waitcnt vmcnt(14)
	v_mov_b32_e32 v6, v35
	s_waitcnt vmcnt(13)
	;; [unrolled: 2-line block ×15, first 2 shown]
	v_mov_b32_e32 v17, v21
	s_mov_b32 s17, exec_lo
	v_cmpx_gt_u32_e64 s16, v0
	s_cbranch_execnz .LBB1561_63
; %bb.47:                               ;   in Loop: Header=BB1561_24 Depth=2
	s_or_b32 exec_lo, exec_lo, s17
	s_mov_b32 s17, exec_lo
	v_cmpx_gt_u32_e64 s16, v46
	s_cbranch_execnz .LBB1561_64
.LBB1561_48:                            ;   in Loop: Header=BB1561_24 Depth=2
	s_or_b32 exec_lo, exec_lo, s17
	s_mov_b32 s17, exec_lo
	v_cmpx_gt_u32_e64 s16, v49
	s_cbranch_execnz .LBB1561_65
.LBB1561_49:                            ;   in Loop: Header=BB1561_24 Depth=2
	s_or_b32 exec_lo, exec_lo, s17
	s_mov_b32 s17, exec_lo
	v_cmpx_gt_u32_e64 s16, v50
	s_cbranch_execnz .LBB1561_66
.LBB1561_50:                            ;   in Loop: Header=BB1561_24 Depth=2
	s_or_b32 exec_lo, exec_lo, s17
	s_mov_b32 s17, exec_lo
	v_cmpx_gt_u32_e64 s16, v51
	s_cbranch_execnz .LBB1561_67
.LBB1561_51:                            ;   in Loop: Header=BB1561_24 Depth=2
	s_or_b32 exec_lo, exec_lo, s17
	s_mov_b32 s17, exec_lo
	v_cmpx_gt_u32_e64 s16, v52
	s_cbranch_execnz .LBB1561_68
.LBB1561_52:                            ;   in Loop: Header=BB1561_24 Depth=2
	s_or_b32 exec_lo, exec_lo, s17
	s_mov_b32 s17, exec_lo
	v_cmpx_gt_u32_e64 s16, v53
	s_cbranch_execnz .LBB1561_69
.LBB1561_53:                            ;   in Loop: Header=BB1561_24 Depth=2
	s_or_b32 exec_lo, exec_lo, s17
	s_mov_b32 s17, exec_lo
	v_cmpx_gt_u32_e64 s16, v54
	s_cbranch_execnz .LBB1561_70
.LBB1561_54:                            ;   in Loop: Header=BB1561_24 Depth=2
	s_or_b32 exec_lo, exec_lo, s17
	s_mov_b32 s17, exec_lo
	v_cmpx_gt_u32_e64 s16, v55
	s_cbranch_execnz .LBB1561_71
.LBB1561_55:                            ;   in Loop: Header=BB1561_24 Depth=2
	s_or_b32 exec_lo, exec_lo, s17
	s_mov_b32 s17, exec_lo
	v_cmpx_gt_u32_e64 s16, v56
	s_cbranch_execnz .LBB1561_72
.LBB1561_56:                            ;   in Loop: Header=BB1561_24 Depth=2
	s_or_b32 exec_lo, exec_lo, s17
	s_mov_b32 s17, exec_lo
	v_cmpx_gt_u32_e64 s16, v57
	s_cbranch_execnz .LBB1561_73
.LBB1561_57:                            ;   in Loop: Header=BB1561_24 Depth=2
	s_or_b32 exec_lo, exec_lo, s17
	s_mov_b32 s17, exec_lo
	v_cmpx_gt_u32_e64 s16, v58
	s_cbranch_execnz .LBB1561_74
.LBB1561_58:                            ;   in Loop: Header=BB1561_24 Depth=2
	s_or_b32 exec_lo, exec_lo, s17
	s_mov_b32 s17, exec_lo
	v_cmpx_gt_u32_e64 s16, v59
	s_cbranch_execnz .LBB1561_75
.LBB1561_59:                            ;   in Loop: Header=BB1561_24 Depth=2
	s_or_b32 exec_lo, exec_lo, s17
	s_mov_b32 s17, exec_lo
	v_cmpx_gt_u32_e64 s16, v60
	s_cbranch_execnz .LBB1561_76
.LBB1561_60:                            ;   in Loop: Header=BB1561_24 Depth=2
	s_or_b32 exec_lo, exec_lo, s17
	s_mov_b32 s17, exec_lo
	v_cmpx_gt_u32_e64 s16, v61
	s_cbranch_execnz .LBB1561_77
.LBB1561_61:                            ;   in Loop: Header=BB1561_24 Depth=2
	s_or_b32 exec_lo, exec_lo, s17
	s_mov_b32 s17, exec_lo
	v_cmpx_gt_u32_e64 s16, v62
	s_cbranch_execnz .LBB1561_78
.LBB1561_62:                            ;   in Loop: Header=BB1561_24 Depth=2
	s_or_b32 exec_lo, exec_lo, s17
	v_cmp_gt_u32_e32 vcc_lo, s16, v63
	s_and_saveexec_b32 s16, vcc_lo
	s_cbranch_execz .LBB1561_23
	s_branch .LBB1561_79
.LBB1561_63:                            ;   in Loop: Header=BB1561_24 Depth=2
	v_xor_b32_e32 v21, -1, v17
	v_and_b32_e32 v21, 1, v21
	v_lshrrev_b32_sdwa v21, s61, v21 dst_sel:DWORD dst_unused:UNUSED_PAD src0_sel:DWORD src1_sel:WORD_0
	v_and_b32_e32 v21, s62, v21
	v_lshl_or_b32 v21, v21, 4, v65
	ds_add_u32 v21, v91
	s_or_b32 exec_lo, exec_lo, s17
	s_mov_b32 s17, exec_lo
	v_cmpx_gt_u32_e64 s16, v46
	s_cbranch_execz .LBB1561_48
.LBB1561_64:                            ;   in Loop: Header=BB1561_24 Depth=2
	v_xor_b32_e32 v21, -1, v20
	v_and_b32_e32 v21, 1, v21
	v_lshrrev_b32_sdwa v21, s61, v21 dst_sel:DWORD dst_unused:UNUSED_PAD src0_sel:DWORD src1_sel:WORD_0
	v_and_b32_e32 v21, s62, v21
	v_lshl_or_b32 v21, v21, 4, v65
	ds_add_u32 v21, v91
	s_or_b32 exec_lo, exec_lo, s17
	s_mov_b32 s17, exec_lo
	v_cmpx_gt_u32_e64 s16, v49
	s_cbranch_execz .LBB1561_49
.LBB1561_65:                            ;   in Loop: Header=BB1561_24 Depth=2
	v_xor_b32_e32 v21, -1, v19
	v_and_b32_e32 v21, 1, v21
	v_lshrrev_b32_sdwa v21, s61, v21 dst_sel:DWORD dst_unused:UNUSED_PAD src0_sel:DWORD src1_sel:WORD_0
	v_and_b32_e32 v21, s62, v21
	v_lshl_or_b32 v21, v21, 4, v65
	ds_add_u32 v21, v91
	s_or_b32 exec_lo, exec_lo, s17
	s_mov_b32 s17, exec_lo
	v_cmpx_gt_u32_e64 s16, v50
	s_cbranch_execz .LBB1561_50
.LBB1561_66:                            ;   in Loop: Header=BB1561_24 Depth=2
	v_xor_b32_e32 v21, -1, v18
	v_and_b32_e32 v21, 1, v21
	v_lshrrev_b32_sdwa v21, s61, v21 dst_sel:DWORD dst_unused:UNUSED_PAD src0_sel:DWORD src1_sel:WORD_0
	v_and_b32_e32 v21, s62, v21
	v_lshl_or_b32 v21, v21, 4, v65
	ds_add_u32 v21, v91
	s_or_b32 exec_lo, exec_lo, s17
	s_mov_b32 s17, exec_lo
	v_cmpx_gt_u32_e64 s16, v51
	s_cbranch_execz .LBB1561_51
.LBB1561_67:                            ;   in Loop: Header=BB1561_24 Depth=2
	v_xor_b32_e32 v21, -1, v16
	v_and_b32_e32 v21, 1, v21
	v_lshrrev_b32_sdwa v21, s61, v21 dst_sel:DWORD dst_unused:UNUSED_PAD src0_sel:DWORD src1_sel:WORD_0
	v_and_b32_e32 v21, s62, v21
	v_lshl_or_b32 v21, v21, 4, v65
	ds_add_u32 v21, v91
	s_or_b32 exec_lo, exec_lo, s17
	s_mov_b32 s17, exec_lo
	v_cmpx_gt_u32_e64 s16, v52
	s_cbranch_execz .LBB1561_52
.LBB1561_68:                            ;   in Loop: Header=BB1561_24 Depth=2
	v_xor_b32_e32 v21, -1, v15
	v_and_b32_e32 v21, 1, v21
	v_lshrrev_b32_sdwa v21, s61, v21 dst_sel:DWORD dst_unused:UNUSED_PAD src0_sel:DWORD src1_sel:WORD_0
	v_and_b32_e32 v21, s62, v21
	v_lshl_or_b32 v21, v21, 4, v65
	ds_add_u32 v21, v91
	s_or_b32 exec_lo, exec_lo, s17
	s_mov_b32 s17, exec_lo
	v_cmpx_gt_u32_e64 s16, v53
	s_cbranch_execz .LBB1561_53
.LBB1561_69:                            ;   in Loop: Header=BB1561_24 Depth=2
	v_xor_b32_e32 v21, -1, v14
	v_and_b32_e32 v21, 1, v21
	v_lshrrev_b32_sdwa v21, s61, v21 dst_sel:DWORD dst_unused:UNUSED_PAD src0_sel:DWORD src1_sel:WORD_0
	v_and_b32_e32 v21, s62, v21
	v_lshl_or_b32 v21, v21, 4, v65
	ds_add_u32 v21, v91
	s_or_b32 exec_lo, exec_lo, s17
	s_mov_b32 s17, exec_lo
	v_cmpx_gt_u32_e64 s16, v54
	s_cbranch_execz .LBB1561_54
.LBB1561_70:                            ;   in Loop: Header=BB1561_24 Depth=2
	v_xor_b32_e32 v21, -1, v13
	v_and_b32_e32 v21, 1, v21
	v_lshrrev_b32_sdwa v21, s61, v21 dst_sel:DWORD dst_unused:UNUSED_PAD src0_sel:DWORD src1_sel:WORD_0
	v_and_b32_e32 v21, s62, v21
	v_lshl_or_b32 v21, v21, 4, v65
	ds_add_u32 v21, v91
	s_or_b32 exec_lo, exec_lo, s17
	s_mov_b32 s17, exec_lo
	v_cmpx_gt_u32_e64 s16, v55
	s_cbranch_execz .LBB1561_55
.LBB1561_71:                            ;   in Loop: Header=BB1561_24 Depth=2
	v_xor_b32_e32 v21, -1, v12
	v_and_b32_e32 v21, 1, v21
	v_lshrrev_b32_sdwa v21, s61, v21 dst_sel:DWORD dst_unused:UNUSED_PAD src0_sel:DWORD src1_sel:WORD_0
	v_and_b32_e32 v21, s62, v21
	v_lshl_or_b32 v21, v21, 4, v65
	ds_add_u32 v21, v91
	s_or_b32 exec_lo, exec_lo, s17
	s_mov_b32 s17, exec_lo
	v_cmpx_gt_u32_e64 s16, v56
	s_cbranch_execz .LBB1561_56
.LBB1561_72:                            ;   in Loop: Header=BB1561_24 Depth=2
	v_xor_b32_e32 v21, -1, v11
	v_and_b32_e32 v21, 1, v21
	v_lshrrev_b32_sdwa v21, s61, v21 dst_sel:DWORD dst_unused:UNUSED_PAD src0_sel:DWORD src1_sel:WORD_0
	v_and_b32_e32 v21, s62, v21
	v_lshl_or_b32 v21, v21, 4, v65
	ds_add_u32 v21, v91
	s_or_b32 exec_lo, exec_lo, s17
	s_mov_b32 s17, exec_lo
	v_cmpx_gt_u32_e64 s16, v57
	s_cbranch_execz .LBB1561_57
.LBB1561_73:                            ;   in Loop: Header=BB1561_24 Depth=2
	v_xor_b32_e32 v21, -1, v10
	v_and_b32_e32 v21, 1, v21
	v_lshrrev_b32_sdwa v21, s61, v21 dst_sel:DWORD dst_unused:UNUSED_PAD src0_sel:DWORD src1_sel:WORD_0
	v_and_b32_e32 v21, s62, v21
	v_lshl_or_b32 v21, v21, 4, v65
	ds_add_u32 v21, v91
	s_or_b32 exec_lo, exec_lo, s17
	s_mov_b32 s17, exec_lo
	v_cmpx_gt_u32_e64 s16, v58
	s_cbranch_execz .LBB1561_58
.LBB1561_74:                            ;   in Loop: Header=BB1561_24 Depth=2
	v_xor_b32_e32 v21, -1, v9
	v_and_b32_e32 v21, 1, v21
	v_lshrrev_b32_sdwa v21, s61, v21 dst_sel:DWORD dst_unused:UNUSED_PAD src0_sel:DWORD src1_sel:WORD_0
	v_and_b32_e32 v21, s62, v21
	v_lshl_or_b32 v21, v21, 4, v65
	ds_add_u32 v21, v91
	s_or_b32 exec_lo, exec_lo, s17
	s_mov_b32 s17, exec_lo
	v_cmpx_gt_u32_e64 s16, v59
	s_cbranch_execz .LBB1561_59
.LBB1561_75:                            ;   in Loop: Header=BB1561_24 Depth=2
	v_xor_b32_e32 v21, -1, v8
	v_and_b32_e32 v21, 1, v21
	v_lshrrev_b32_sdwa v21, s61, v21 dst_sel:DWORD dst_unused:UNUSED_PAD src0_sel:DWORD src1_sel:WORD_0
	v_and_b32_e32 v21, s62, v21
	v_lshl_or_b32 v21, v21, 4, v65
	ds_add_u32 v21, v91
	s_or_b32 exec_lo, exec_lo, s17
	s_mov_b32 s17, exec_lo
	v_cmpx_gt_u32_e64 s16, v60
	s_cbranch_execz .LBB1561_60
.LBB1561_76:                            ;   in Loop: Header=BB1561_24 Depth=2
	v_xor_b32_e32 v21, -1, v7
	v_and_b32_e32 v21, 1, v21
	v_lshrrev_b32_sdwa v21, s61, v21 dst_sel:DWORD dst_unused:UNUSED_PAD src0_sel:DWORD src1_sel:WORD_0
	v_and_b32_e32 v21, s62, v21
	v_lshl_or_b32 v21, v21, 4, v65
	ds_add_u32 v21, v91
	s_or_b32 exec_lo, exec_lo, s17
	s_mov_b32 s17, exec_lo
	v_cmpx_gt_u32_e64 s16, v61
	s_cbranch_execz .LBB1561_61
.LBB1561_77:                            ;   in Loop: Header=BB1561_24 Depth=2
	v_xor_b32_e32 v21, -1, v6
	v_and_b32_e32 v21, 1, v21
	v_lshrrev_b32_sdwa v21, s61, v21 dst_sel:DWORD dst_unused:UNUSED_PAD src0_sel:DWORD src1_sel:WORD_0
	v_and_b32_e32 v21, s62, v21
	v_lshl_or_b32 v21, v21, 4, v65
	ds_add_u32 v21, v91
	s_or_b32 exec_lo, exec_lo, s17
	s_mov_b32 s17, exec_lo
	v_cmpx_gt_u32_e64 s16, v62
	s_cbranch_execz .LBB1561_62
.LBB1561_78:                            ;   in Loop: Header=BB1561_24 Depth=2
	v_xor_b32_e32 v21, -1, v5
	v_and_b32_e32 v21, 1, v21
	v_lshrrev_b32_sdwa v21, s61, v21 dst_sel:DWORD dst_unused:UNUSED_PAD src0_sel:DWORD src1_sel:WORD_0
	v_and_b32_e32 v21, s62, v21
	v_lshl_or_b32 v21, v21, 4, v65
	ds_add_u32 v21, v91
	s_or_b32 exec_lo, exec_lo, s17
	v_cmp_gt_u32_e32 vcc_lo, s16, v63
	s_and_saveexec_b32 s16, vcc_lo
	s_cbranch_execz .LBB1561_23
.LBB1561_79:                            ;   in Loop: Header=BB1561_24 Depth=2
	v_xor_b32_e32 v21, -1, v4
	v_and_b32_e32 v21, 1, v21
	v_lshrrev_b32_sdwa v21, s61, v21 dst_sel:DWORD dst_unused:UNUSED_PAD src0_sel:DWORD src1_sel:WORD_0
	v_and_b32_e32 v21, s62, v21
	v_lshl_or_b32 v21, v21, 4, v65
	ds_add_u32 v21, v91
	s_branch .LBB1561_23
.LBB1561_80:                            ;   in Loop: Header=BB1561_24 Depth=2
	s_waitcnt vmcnt(0)
	v_add_co_u32 v21, s19, s16, v0
	v_add_co_ci_u32_e64 v22, null, s17, 0, s19
	global_load_ubyte v17, v[21:22], off
	s_or_b32 exec_lo, exec_lo, s18
	s_mov_b32 s18, exec_lo
	v_cmpx_gt_u32_e64 s5, v46
	s_cbranch_execz .LBB1561_29
.LBB1561_81:                            ;   in Loop: Header=BB1561_24 Depth=2
	v_add_co_u32 v20, s19, s16, v0
	s_waitcnt vmcnt(0)
	v_add_co_ci_u32_e64 v21, null, s17, 0, s19
	global_load_ubyte v20, v[20:21], off offset:256
	s_or_b32 exec_lo, exec_lo, s18
	s_mov_b32 s18, exec_lo
	v_cmpx_gt_u32_e64 s5, v49
	s_cbranch_execz .LBB1561_30
.LBB1561_82:                            ;   in Loop: Header=BB1561_24 Depth=2
	s_waitcnt vmcnt(0)
	v_add_co_u32 v21, s19, s16, v0
	v_add_co_ci_u32_e64 v22, null, s17, 0, s19
	global_load_ubyte v19, v[21:22], off offset:512
	s_or_b32 exec_lo, exec_lo, s18
	s_mov_b32 s18, exec_lo
	v_cmpx_gt_u32_e64 s5, v50
	s_cbranch_execz .LBB1561_31
.LBB1561_83:                            ;   in Loop: Header=BB1561_24 Depth=2
	s_waitcnt vmcnt(0)
	v_add_co_u32 v21, s19, s16, v0
	v_add_co_ci_u32_e64 v22, null, s17, 0, s19
	global_load_ubyte v18, v[21:22], off offset:768
	s_or_b32 exec_lo, exec_lo, s18
	s_mov_b32 s18, exec_lo
	v_cmpx_gt_u32_e64 s5, v51
	s_cbranch_execz .LBB1561_32
.LBB1561_84:                            ;   in Loop: Header=BB1561_24 Depth=2
	s_waitcnt vmcnt(0)
	v_add_co_u32 v21, s19, s16, v0
	v_add_co_ci_u32_e64 v22, null, s17, 0, s19
	global_load_ubyte v16, v[21:22], off offset:1024
	s_or_b32 exec_lo, exec_lo, s18
	s_mov_b32 s18, exec_lo
	v_cmpx_gt_u32_e64 s5, v52
	s_cbranch_execz .LBB1561_33
.LBB1561_85:                            ;   in Loop: Header=BB1561_24 Depth=2
	s_waitcnt vmcnt(0)
	v_add_co_u32 v21, s19, s16, v0
	v_add_co_ci_u32_e64 v22, null, s17, 0, s19
	global_load_ubyte v15, v[21:22], off offset:1280
	s_or_b32 exec_lo, exec_lo, s18
	s_mov_b32 s18, exec_lo
	v_cmpx_gt_u32_e64 s5, v53
	s_cbranch_execz .LBB1561_34
.LBB1561_86:                            ;   in Loop: Header=BB1561_24 Depth=2
	s_waitcnt vmcnt(0)
	v_add_co_u32 v21, s19, s16, v0
	v_add_co_ci_u32_e64 v22, null, s17, 0, s19
	global_load_ubyte v14, v[21:22], off offset:1536
	s_or_b32 exec_lo, exec_lo, s18
	s_mov_b32 s18, exec_lo
	v_cmpx_gt_u32_e64 s5, v54
	s_cbranch_execz .LBB1561_35
.LBB1561_87:                            ;   in Loop: Header=BB1561_24 Depth=2
	s_waitcnt vmcnt(0)
	v_add_co_u32 v21, s19, s16, v0
	v_add_co_ci_u32_e64 v22, null, s17, 0, s19
	global_load_ubyte v13, v[21:22], off offset:1792
	s_or_b32 exec_lo, exec_lo, s18
	s_mov_b32 s18, exec_lo
	v_cmpx_gt_u32_e64 s5, v55
	s_cbranch_execz .LBB1561_36
.LBB1561_88:                            ;   in Loop: Header=BB1561_24 Depth=2
	s_waitcnt vmcnt(0)
	v_add_co_u32 v21, s19, s16, v55
	v_add_co_ci_u32_e64 v22, null, s17, 0, s19
	global_load_ubyte v12, v[21:22], off
	s_or_b32 exec_lo, exec_lo, s18
	s_mov_b32 s18, exec_lo
	v_cmpx_gt_u32_e64 s5, v56
	s_cbranch_execz .LBB1561_37
.LBB1561_89:                            ;   in Loop: Header=BB1561_24 Depth=2
	s_waitcnt vmcnt(0)
	v_add_co_u32 v21, s19, s16, v56
	v_add_co_ci_u32_e64 v22, null, s17, 0, s19
	global_load_ubyte v11, v[21:22], off
	s_or_b32 exec_lo, exec_lo, s18
	s_mov_b32 s18, exec_lo
	v_cmpx_gt_u32_e64 s5, v57
	s_cbranch_execz .LBB1561_38
.LBB1561_90:                            ;   in Loop: Header=BB1561_24 Depth=2
	s_waitcnt vmcnt(0)
	v_add_co_u32 v21, s19, s16, v57
	v_add_co_ci_u32_e64 v22, null, s17, 0, s19
	global_load_ubyte v10, v[21:22], off
	s_or_b32 exec_lo, exec_lo, s18
	s_mov_b32 s18, exec_lo
	v_cmpx_gt_u32_e64 s5, v58
	s_cbranch_execz .LBB1561_39
.LBB1561_91:                            ;   in Loop: Header=BB1561_24 Depth=2
	s_waitcnt vmcnt(0)
	v_add_co_u32 v21, s19, s16, v58
	v_add_co_ci_u32_e64 v22, null, s17, 0, s19
	global_load_ubyte v9, v[21:22], off
	s_or_b32 exec_lo, exec_lo, s18
	s_mov_b32 s18, exec_lo
	v_cmpx_gt_u32_e64 s5, v59
	s_cbranch_execz .LBB1561_40
.LBB1561_92:                            ;   in Loop: Header=BB1561_24 Depth=2
	s_waitcnt vmcnt(0)
	v_add_co_u32 v21, s19, s16, v59
	v_add_co_ci_u32_e64 v22, null, s17, 0, s19
	global_load_ubyte v8, v[21:22], off
	s_or_b32 exec_lo, exec_lo, s18
	s_mov_b32 s18, exec_lo
	v_cmpx_gt_u32_e64 s5, v60
	s_cbranch_execz .LBB1561_41
.LBB1561_93:                            ;   in Loop: Header=BB1561_24 Depth=2
	s_waitcnt vmcnt(0)
	v_add_co_u32 v21, s19, s16, v60
	v_add_co_ci_u32_e64 v22, null, s17, 0, s19
	global_load_ubyte v7, v[21:22], off
	s_or_b32 exec_lo, exec_lo, s18
	s_mov_b32 s18, exec_lo
	v_cmpx_gt_u32_e64 s5, v61
	s_cbranch_execz .LBB1561_42
.LBB1561_94:                            ;   in Loop: Header=BB1561_24 Depth=2
	s_waitcnt vmcnt(0)
	v_add_co_u32 v21, s19, s16, v61
	v_add_co_ci_u32_e64 v22, null, s17, 0, s19
	global_load_ubyte v6, v[21:22], off
	s_or_b32 exec_lo, exec_lo, s18
	s_mov_b32 s18, exec_lo
	v_cmpx_gt_u32_e64 s5, v62
	s_cbranch_execz .LBB1561_43
.LBB1561_95:                            ;   in Loop: Header=BB1561_24 Depth=2
	s_waitcnt vmcnt(0)
	v_add_co_u32 v21, s19, s16, v62
	v_add_co_ci_u32_e64 v22, null, s17, 0, s19
	global_load_ubyte v5, v[21:22], off
	s_or_b32 exec_lo, exec_lo, s18
	s_mov_b32 s18, exec_lo
	v_cmpx_gt_u32_e64 s5, v63
	s_cbranch_execnz .LBB1561_44
	s_branch .LBB1561_45
.LBB1561_96:                            ;   in Loop: Header=BB1561_20 Depth=1
	v_mov_b32_e32 v4, 0
	s_waitcnt lgkmcnt(0)
	s_barrier
	buffer_gl0_inv
	s_and_saveexec_b32 s5, s8
	s_cbranch_execz .LBB1561_98
; %bb.97:                               ;   in Loop: Header=BB1561_20 Depth=1
	ds_read2_b64 v[4:7], v66 offset1:1
	s_waitcnt lgkmcnt(0)
	v_add_nc_u32_e32 v4, v5, v4
	v_add3_u32 v4, v4, v6, v7
.LBB1561_98:                            ;   in Loop: Header=BB1561_20 Depth=1
	s_or_b32 exec_lo, exec_lo, s5
	v_and_b32_e32 v5, 15, v88
	v_mov_b32_dpp v6, v4 row_shr:1 row_mask:0xf bank_mask:0xf
	v_and_b32_e32 v7, 16, v88
	v_cmp_eq_u32_e64 s5, 0, v5
	v_cmp_lt_u32_e64 s15, 1, v5
	v_cmp_lt_u32_e64 s16, 3, v5
	;; [unrolled: 1-line block ×3, first 2 shown]
	v_cmp_eq_u32_e64 s18, 0, v7
	v_cndmask_b32_e64 v6, v6, 0, s5
	v_add_nc_u32_e32 v4, v6, v4
	v_mov_b32_dpp v6, v4 row_shr:2 row_mask:0xf bank_mask:0xf
	v_cndmask_b32_e64 v6, 0, v6, s15
	v_add_nc_u32_e32 v4, v4, v6
	v_mov_b32_dpp v6, v4 row_shr:4 row_mask:0xf bank_mask:0xf
	;; [unrolled: 3-line block ×3, first 2 shown]
	v_cndmask_b32_e64 v5, 0, v6, s17
	v_bfe_i32 v6, v88, 4, 1
	v_add_nc_u32_e32 v4, v4, v5
	ds_swizzle_b32 v5, v4 offset:swizzle(BROADCAST,32,15)
	s_waitcnt lgkmcnt(0)
	v_and_b32_e32 v5, v6, v5
	v_add_nc_u32_e32 v4, v4, v5
	s_and_saveexec_b32 s19, s9
; %bb.99:                               ;   in Loop: Header=BB1561_20 Depth=1
	ds_write_b32 v67, v4
; %bb.100:                              ;   in Loop: Header=BB1561_20 Depth=1
	s_or_b32 exec_lo, exec_lo, s19
	s_waitcnt lgkmcnt(0)
	s_barrier
	buffer_gl0_inv
	s_and_saveexec_b32 s19, s10
	s_cbranch_execz .LBB1561_102
; %bb.101:                              ;   in Loop: Header=BB1561_20 Depth=1
	ds_read_b32 v5, v68
	v_and_b32_e32 v6, 3, v88
	v_cmp_ne_u32_e32 vcc_lo, 0, v6
	s_waitcnt lgkmcnt(0)
	v_mov_b32_dpp v7, v5 row_shr:1 row_mask:0xf bank_mask:0xf
	v_cndmask_b32_e32 v7, 0, v7, vcc_lo
	v_cmp_lt_u32_e32 vcc_lo, 1, v6
	v_add_nc_u32_e32 v5, v7, v5
	v_mov_b32_dpp v7, v5 row_shr:2 row_mask:0xf bank_mask:0xf
	v_cndmask_b32_e32 v6, 0, v7, vcc_lo
	v_add_nc_u32_e32 v5, v5, v6
	ds_write_b32 v68, v5
.LBB1561_102:                           ;   in Loop: Header=BB1561_20 Depth=1
	s_or_b32 exec_lo, exec_lo, s19
	v_mov_b32_e32 v5, 0
	s_waitcnt lgkmcnt(0)
	s_barrier
	buffer_gl0_inv
	s_and_saveexec_b32 s19, s11
; %bb.103:                              ;   in Loop: Header=BB1561_20 Depth=1
	ds_read_b32 v5, v69
; %bb.104:                              ;   in Loop: Header=BB1561_20 Depth=1
	s_or_b32 exec_lo, exec_lo, s19
	v_sub_co_u32 v6, s19, v88, 1
	s_waitcnt lgkmcnt(0)
	v_add_nc_u32_e32 v4, v5, v4
	s_barrier
	v_cmp_gt_i32_e32 vcc_lo, 0, v6
	buffer_gl0_inv
	v_cndmask_b32_e32 v6, v6, v88, vcc_lo
	v_lshlrev_b32_e32 v95, 2, v6
	ds_bpermute_b32 v4, v95, v4
	s_and_saveexec_b32 s20, s8
	s_cbranch_execz .LBB1561_106
; %bb.105:                              ;   in Loop: Header=BB1561_20 Depth=1
	s_waitcnt lgkmcnt(0)
	v_cndmask_b32_e64 v4, v4, v5, s19
	v_add_nc_u32_e32 v4, s58, v4
	ds_write_b32 v45, v4
.LBB1561_106:                           ;   in Loop: Header=BB1561_20 Depth=1
	s_or_b32 exec_lo, exec_lo, s20
	s_clause 0x1
	s_load_dword s20, s[56:57], 0x4
	s_load_dword s23, s[56:57], 0xc
	v_and_b32_e32 v5, 7, v88
	v_lshlrev_b32_e32 v6, 3, v88
	v_or_b32_e32 v96, v88, v70
	v_mov_b32_e32 v8, 0
	s_mov_b32 s63, s60
	v_cmp_lt_u32_e64 s22, 3, v5
	v_add_co_u32 v97, vcc_lo, v75, v6
	v_add_co_ci_u32_e64 v98, null, 0, v76, vcc_lo
	v_add_nc_u32_e32 v99, 32, v96
	v_add_nc_u32_e32 v100, 64, v96
	;; [unrolled: 1-line block ×8, first 2 shown]
	s_waitcnt lgkmcnt(0)
	s_cmp_lt_u32 s7, s20
	v_add_nc_u32_e32 v107, 0x120, v96
	s_cselect_b32 s20, 14, 20
	v_add_nc_u32_e32 v108, 0x140, v96
	s_add_u32 s20, s56, s20
	s_addc_u32 s21, s57, 0
	s_and_b32 s23, s23, 0xffff
	global_load_ushort v4, v3, s[20:21]
	v_cmp_eq_u32_e64 s20, 0, v5
	v_cmp_lt_u32_e64 s21, 1, v5
	v_add_nc_u32_e32 v109, 0x160, v96
	v_add_nc_u32_e32 v110, 0x180, v96
	;; [unrolled: 1-line block ×6, first 2 shown]
	s_mov_b32 s50, s58
                                        ; implicit-def: $vgpr9_vgpr10
                                        ; implicit-def: $vgpr11_vgpr12
                                        ; implicit-def: $vgpr13_vgpr14
                                        ; implicit-def: $vgpr15_vgpr16
                                        ; implicit-def: $vgpr17_vgpr18
                                        ; implicit-def: $vgpr19_vgpr20
                                        ; implicit-def: $vgpr23_vgpr24
                                        ; implicit-def: $vgpr27_vgpr28
                                        ; implicit-def: $vgpr31_vgpr32
                                        ; implicit-def: $vgpr21_vgpr22
                                        ; implicit-def: $vgpr25_vgpr26
                                        ; implicit-def: $vgpr29_vgpr30
                                        ; implicit-def: $vgpr33_vgpr34
                                        ; implicit-def: $vgpr35_vgpr36
                                        ; implicit-def: $vgpr37_vgpr38
                                        ; implicit-def: $vgpr39_vgpr40
                                        ; implicit-def: $vgpr41_vgpr42
                                        ; implicit-def: $vgpr116
                                        ; implicit-def: $vgpr117
                                        ; implicit-def: $vgpr118
                                        ; implicit-def: $vgpr119
                                        ; implicit-def: $vgpr120
                                        ; implicit-def: $vgpr121
                                        ; implicit-def: $vgpr122
                                        ; implicit-def: $vgpr123
                                        ; implicit-def: $vgpr124
                                        ; implicit-def: $vgpr125
                                        ; implicit-def: $vgpr126
                                        ; implicit-def: $vgpr127
                                        ; implicit-def: $vgpr128
                                        ; implicit-def: $vgpr129
                                        ; implicit-def: $vgpr130
                                        ; implicit-def: $vgpr131
                                        ; implicit-def: $vgpr132
                                        ; implicit-def: $vgpr133
                                        ; implicit-def: $vgpr134
	s_waitcnt vmcnt(0)
	v_mad_u32_u24 v4, v2, v4, v1
	v_mad_u64_u32 v[4:5], null, v4, s23, v[0:1]
	v_lshrrev_b32_e32 v4, 3, v4
	v_and_b32_e32 v115, 0x1ffffffc, v4
	s_branch .LBB1561_108
.LBB1561_107:                           ;   in Loop: Header=BB1561_108 Depth=2
	s_or_b32 exec_lo, exec_lo, s23
	s_addk_i32 s63, 0xef00
	s_cmp_lt_u32 s64, s59
	s_mov_b32 s50, s64
	s_cbranch_scc0 .LBB1561_330
.LBB1561_108:                           ;   Parent Loop BB1561_20 Depth=1
                                        ; =>  This Inner Loop Header: Depth=2
	s_add_i32 s64, s50, 0x1100
	s_cmp_gt_u32 s64, s59
	s_cbranch_scc1 .LBB1561_110
; %bb.109:                              ;   in Loop: Header=BB1561_108 Depth=2
	v_add_co_u32 v4, vcc_lo, v92, s50
	v_add_co_ci_u32_e64 v5, null, 0, v93, vcc_lo
	v_and_b32_sdwa v8, v94, v8 dst_sel:DWORD dst_unused:UNUSED_PAD src0_sel:DWORD src1_sel:BYTE_0
	s_mov_b32 s23, -1
	s_clause 0xf
	global_load_ubyte v6, v[4:5], off offset:416
	global_load_ubyte v7, v[4:5], off offset:480
	;; [unrolled: 1-line block ×14, first 2 shown]
	global_load_ubyte v145, v[4:5], off
	global_load_ubyte v4, v[4:5], off offset:96
	s_waitcnt vmcnt(12)
	v_perm_b32 v5, v44, v6, 0xc0c0004
	v_perm_b32 v6, v43, v7, 0xc0c0004
	s_waitcnt vmcnt(9)
	v_perm_b32 v44, v137, v136, 0xc0c0004
	s_waitcnt vmcnt(8)
	v_perm_b32 v43, v138, v135, 0xc0c0004
	v_lshl_or_b32 v7, v6, 16, v5
	s_waitcnt vmcnt(5)
	v_perm_b32 v136, v141, v140, 0xc0c0004
	s_waitcnt vmcnt(4)
	v_perm_b32 v135, v142, v139, 0xc0c0004
	v_lshl_or_b32 v6, v44, 16, v43
	;; [unrolled: 5-line block ×3, first 2 shown]
	v_lshl_or_b32 v4, v4, 16, v137
	s_movk_i32 s24, 0x1100
	s_cbranch_execz .LBB1561_111
	s_branch .LBB1561_129
.LBB1561_110:                           ;   in Loop: Header=BB1561_108 Depth=2
	s_mov_b32 s23, 0
                                        ; implicit-def: $vgpr4_vgpr5_vgpr6_vgpr7_vgpr8
	s_movk_i32 s24, 0x1100
.LBB1561_111:                           ;   in Loop: Header=BB1561_108 Depth=2
	v_mov_b32_e32 v7, v3
	v_mov_b32_e32 v4, v3
	;; [unrolled: 1-line block ×4, first 2 shown]
	v_add_co_u32 v43, vcc_lo, v92, s50
	v_mov_b32_e32 v8, v7
	v_add_co_ci_u32_e64 v44, null, 0, v93, vcc_lo
	v_mov_b32_e32 v7, v6
	v_mov_b32_e32 v6, v5
	;; [unrolled: 1-line block ×4, first 2 shown]
	s_mov_b32 s23, exec_lo
	v_cmpx_gt_u32_e64 s63, v96
	s_cbranch_execnz .LBB1561_315
; %bb.112:                              ;   in Loop: Header=BB1561_108 Depth=2
	s_or_b32 exec_lo, exec_lo, s23
	s_mov_b32 s23, exec_lo
	v_cmpx_gt_u32_e64 s63, v99
	s_cbranch_execnz .LBB1561_316
.LBB1561_113:                           ;   in Loop: Header=BB1561_108 Depth=2
	s_or_b32 exec_lo, exec_lo, s23
	s_mov_b32 s23, exec_lo
	v_cmpx_gt_u32_e64 s63, v100
	s_cbranch_execnz .LBB1561_317
.LBB1561_114:                           ;   in Loop: Header=BB1561_108 Depth=2
	s_or_b32 exec_lo, exec_lo, s23
	s_mov_b32 s23, exec_lo
	v_cmpx_gt_u32_e64 s63, v101
	s_cbranch_execnz .LBB1561_318
.LBB1561_115:                           ;   in Loop: Header=BB1561_108 Depth=2
	s_or_b32 exec_lo, exec_lo, s23
	s_mov_b32 s23, exec_lo
	v_cmpx_gt_u32_e64 s63, v102
	s_cbranch_execnz .LBB1561_319
.LBB1561_116:                           ;   in Loop: Header=BB1561_108 Depth=2
	s_or_b32 exec_lo, exec_lo, s23
	s_mov_b32 s23, exec_lo
	v_cmpx_gt_u32_e64 s63, v103
	s_cbranch_execnz .LBB1561_320
.LBB1561_117:                           ;   in Loop: Header=BB1561_108 Depth=2
	s_or_b32 exec_lo, exec_lo, s23
	s_mov_b32 s23, exec_lo
	v_cmpx_gt_u32_e64 s63, v104
	s_cbranch_execnz .LBB1561_321
.LBB1561_118:                           ;   in Loop: Header=BB1561_108 Depth=2
	s_or_b32 exec_lo, exec_lo, s23
	s_mov_b32 s23, exec_lo
	v_cmpx_gt_u32_e64 s63, v105
	s_cbranch_execnz .LBB1561_322
.LBB1561_119:                           ;   in Loop: Header=BB1561_108 Depth=2
	s_or_b32 exec_lo, exec_lo, s23
	s_mov_b32 s23, exec_lo
	v_cmpx_gt_u32_e64 s63, v106
	s_cbranch_execnz .LBB1561_323
.LBB1561_120:                           ;   in Loop: Header=BB1561_108 Depth=2
	s_or_b32 exec_lo, exec_lo, s23
	s_mov_b32 s23, exec_lo
	v_cmpx_gt_u32_e64 s63, v107
	s_cbranch_execnz .LBB1561_324
.LBB1561_121:                           ;   in Loop: Header=BB1561_108 Depth=2
	s_or_b32 exec_lo, exec_lo, s23
	s_mov_b32 s23, exec_lo
	v_cmpx_gt_u32_e64 s63, v108
	s_cbranch_execnz .LBB1561_325
.LBB1561_122:                           ;   in Loop: Header=BB1561_108 Depth=2
	s_or_b32 exec_lo, exec_lo, s23
	s_mov_b32 s23, exec_lo
	v_cmpx_gt_u32_e64 s63, v109
	s_cbranch_execnz .LBB1561_326
.LBB1561_123:                           ;   in Loop: Header=BB1561_108 Depth=2
	s_or_b32 exec_lo, exec_lo, s23
	s_mov_b32 s23, exec_lo
	v_cmpx_gt_u32_e64 s63, v110
	s_cbranch_execnz .LBB1561_327
.LBB1561_124:                           ;   in Loop: Header=BB1561_108 Depth=2
	s_or_b32 exec_lo, exec_lo, s23
	s_mov_b32 s23, exec_lo
	v_cmpx_gt_u32_e64 s63, v111
	s_cbranch_execnz .LBB1561_328
.LBB1561_125:                           ;   in Loop: Header=BB1561_108 Depth=2
	s_or_b32 exec_lo, exec_lo, s23
	s_mov_b32 s23, exec_lo
	v_cmpx_gt_u32_e64 s63, v112
	s_cbranch_execnz .LBB1561_329
.LBB1561_126:                           ;   in Loop: Header=BB1561_108 Depth=2
	s_or_b32 exec_lo, exec_lo, s23
	s_mov_b32 s23, exec_lo
	v_cmpx_gt_u32_e64 s63, v113
	s_cbranch_execz .LBB1561_128
.LBB1561_127:                           ;   in Loop: Header=BB1561_108 Depth=2
	global_load_ubyte v43, v[43:44], off offset:480
	v_and_b32_e32 v8, 0xff, v8
	s_waitcnt vmcnt(0)
	v_perm_b32 v7, v7, v43, 0x60504
.LBB1561_128:                           ;   in Loop: Header=BB1561_108 Depth=2
	s_or_b32 exec_lo, exec_lo, s23
	v_cmp_gt_u32_e64 s23, s63, v114
	s_sub_i32 s24, s59, s50
.LBB1561_129:                           ;   in Loop: Header=BB1561_108 Depth=2
	v_mov_b32_e32 v43, s63
	s_and_saveexec_b32 s25, s23
	s_cbranch_execz .LBB1561_131
; %bb.130:                              ;   in Loop: Header=BB1561_108 Depth=2
	v_add_co_u32 v43, vcc_lo, v92, s50
	v_add_co_ci_u32_e64 v44, null, s51, v93, vcc_lo
	global_load_ubyte v8, v[43:44], off offset:512
	v_mov_b32_e32 v43, s24
.LBB1561_131:                           ;   in Loop: Header=BB1561_108 Depth=2
	s_or_b32 exec_lo, exec_lo, s25
	s_waitcnt vmcnt(0)
	v_and_b32_e32 v44, 1, v4
	v_and_b32_sdwa v138, v91, v4 dst_sel:DWORD dst_unused:UNUSED_PAD src0_sel:DWORD src1_sel:BYTE_1
	v_and_b32_e32 v146, 0x1000000, v4
	v_and_b32_e32 v147, 0x10000, v4
	v_and_b32_sdwa v135, v91, v7 dst_sel:DWORD dst_unused:UNUSED_PAD src0_sel:DWORD src1_sel:BYTE_1
	v_cmp_eq_u32_e32 vcc_lo, 1, v44
	v_and_b32_sdwa v137, v91, v5 dst_sel:DWORD dst_unused:UNUSED_PAD src0_sel:DWORD src1_sel:BYTE_1
	v_and_b32_e32 v144, 0x1000000, v5
	v_and_b32_e32 v145, 0x10000, v5
	;; [unrolled: 1-line block ×3, first 2 shown]
	s_xor_b32 s23, vcc_lo, -1
	v_cmp_eq_u32_e64 s25, 1, v135
	v_cndmask_b32_e64 v44, 0, 1, s23
	v_and_b32_sdwa v136, v91, v6 dst_sel:DWORD dst_unused:UNUSED_PAD src0_sel:DWORD src1_sel:BYTE_1
	v_and_b32_e32 v139, 0x1000000, v7
	v_and_b32_e32 v140, 0x10000, v7
	;; [unrolled: 1-line block ×3, first 2 shown]
	v_lshrrev_b32_e32 v143, s61, v44
	v_and_b32_e32 v141, 0x1000000, v6
	v_and_b32_e32 v142, 0x10000, v6
	;; [unrolled: 1-line block ×3, first 2 shown]
	v_cmp_eq_u32_e64 s35, 1, v5
	v_and_b32_e32 v143, s62, v143
	v_and_b32_e32 v8, 1, v8
	v_cmp_eq_u32_e64 s29, 1, v136
	v_cmp_eq_u32_e64 s34, 1, v137
	;; [unrolled: 1-line block ×3, first 2 shown]
	v_add_co_u32 v4, s23, v143, -1
	v_cndmask_b32_e64 v148, 0, 1, s23
	v_mul_u32_u24_e32 v5, 36, v143
	v_cmp_ne_u32_e64 s24, 0, v140
	v_cmp_eq_u32_e64 s26, 1, v7
	v_cmp_ne_u32_e64 s27, 0, v141
	v_cmp_ne_u32_e64 s23, 0, v148
	v_cmp_ne_u32_e64 s28, 0, v142
	v_cmp_eq_u32_e64 s30, 1, v6
	v_cmp_ne_u32_e64 s31, 0, v144
	v_cmp_ne_u32_e64 s33, 0, v145
	v_xor_b32_e32 v4, s23, v4
	v_cmp_ne_u32_e64 s23, 0, v139
	v_cmp_ne_u32_e64 s36, 0, v146
	;; [unrolled: 1-line block ×3, first 2 shown]
	v_add_nc_u32_e32 v138, v115, v5
	v_and_b32_e32 v4, exec_lo, v4
	ds_write2_b32 v71, v3, v3 offset0:136 offset1:137
	ds_write2_b32 v71, v3, v3 offset0:138 offset1:139
	ds_write_b32 v71, v3 offset:560
	s_waitcnt lgkmcnt(0)
	v_cmp_eq_u32_e32 vcc_lo, 1, v8
	v_mbcnt_lo_u32_b32 v135, v4, 0
	v_cmp_ne_u32_e64 s40, 0, v4
	s_barrier
	buffer_gl0_inv
	v_cmp_eq_u32_e64 s39, 0, v135
	; wave barrier
	s_and_b32 s40, s40, s39
	s_and_saveexec_b32 s39, s40
; %bb.132:                              ;   in Loop: Header=BB1561_108 Depth=2
	v_bcnt_u32_b32 v4, v4, 0
	ds_write_b32 v138, v4 offset:544
; %bb.133:                              ;   in Loop: Header=BB1561_108 Depth=2
	s_or_b32 exec_lo, exec_lo, s39
	s_xor_b32 s38, s38, -1
	v_cndmask_b32_e64 v148, 0, 1, s38
	; wave barrier
	v_lshrrev_b32_e32 v4, s61, v148
	v_and_b32_e32 v5, s62, v4
	v_add_co_u32 v4, s38, v5, -1
	v_cndmask_b32_e64 v6, 0, 1, s38
	v_cmp_ne_u32_e64 s38, 0, v6
	v_mad_u32_u24 v6, v5, 36, v115
	v_mul_u32_u24_e32 v5, 36, v5
	v_xor_b32_e32 v4, s38, v4
	ds_read_b32 v136, v6 offset:544
	v_add_nc_u32_e32 v141, v115, v5
	; wave barrier
	v_and_b32_e32 v4, exec_lo, v4
	v_mbcnt_lo_u32_b32 v137, v4, 0
	v_cmp_ne_u32_e64 s39, 0, v4
	v_cmp_eq_u32_e64 s38, 0, v137
	s_and_b32 s39, s39, s38
	s_and_saveexec_b32 s38, s39
	s_cbranch_execz .LBB1561_135
; %bb.134:                              ;   in Loop: Header=BB1561_108 Depth=2
	s_waitcnt lgkmcnt(0)
	v_bcnt_u32_b32 v4, v4, v136
	ds_write_b32 v141, v4 offset:544
.LBB1561_135:                           ;   in Loop: Header=BB1561_108 Depth=2
	s_or_b32 exec_lo, exec_lo, s38
	s_xor_b32 s37, s37, -1
	v_cndmask_b32_e64 v151, 0, 1, s37
	; wave barrier
	v_lshrrev_b32_e32 v4, s61, v151
	v_and_b32_e32 v5, s62, v4
	v_add_co_u32 v4, s37, v5, -1
	v_cndmask_b32_e64 v6, 0, 1, s37
	v_cmp_ne_u32_e64 s37, 0, v6
	v_mad_u32_u24 v6, v5, 36, v115
	v_mul_u32_u24_e32 v5, 36, v5
	v_xor_b32_e32 v4, s37, v4
	ds_read_b32 v139, v6 offset:544
	v_add_nc_u32_e32 v144, v115, v5
	; wave barrier
	v_and_b32_e32 v4, exec_lo, v4
	v_mbcnt_lo_u32_b32 v140, v4, 0
	v_cmp_ne_u32_e64 s38, 0, v4
	v_cmp_eq_u32_e64 s37, 0, v140
	s_and_b32 s38, s38, s37
	s_and_saveexec_b32 s37, s38
	s_cbranch_execz .LBB1561_137
; %bb.136:                              ;   in Loop: Header=BB1561_108 Depth=2
	s_waitcnt lgkmcnt(0)
	v_bcnt_u32_b32 v4, v4, v139
	ds_write_b32 v144, v4 offset:544
.LBB1561_137:                           ;   in Loop: Header=BB1561_108 Depth=2
	;; [unrolled: 27-line block ×15, first 2 shown]
	s_or_b32 exec_lo, exec_lo, s23
	s_xor_b32 s23, vcc_lo, -1
	v_cndmask_b32_e64 v8, 0, 1, s23
	; wave barrier
	v_lshrrev_b32_e32 v4, s61, v8
	v_and_b32_e32 v5, s62, v4
	v_add_co_u32 v4, s23, v5, -1
	v_cndmask_b32_e64 v6, 0, 1, s23
	v_cmp_ne_u32_e32 vcc_lo, 0, v6
	v_mad_u32_u24 v6, v5, 36, v115
	v_mul_u32_u24_e32 v5, 36, v5
	v_xor_b32_e32 v4, vcc_lo, v4
	ds_read_b32 v196, v6 offset:544
	v_add_nc_u32_e32 v199, v115, v5
	; wave barrier
	v_and_b32_e32 v4, exec_lo, v4
	v_mbcnt_lo_u32_b32 v197, v4, 0
	v_cmp_ne_u32_e64 s23, 0, v4
	v_cmp_eq_u32_e32 vcc_lo, 0, v197
	s_and_b32 s24, s23, vcc_lo
	s_and_saveexec_b32 s23, s24
	s_cbranch_execz .LBB1561_165
; %bb.164:                              ;   in Loop: Header=BB1561_108 Depth=2
	s_waitcnt lgkmcnt(0)
	v_bcnt_u32_b32 v4, v4, v196
	ds_write_b32 v199, v4 offset:544
.LBB1561_165:                           ;   in Loop: Header=BB1561_108 Depth=2
	s_or_b32 exec_lo, exec_lo, s23
	; wave barrier
	s_waitcnt lgkmcnt(0)
	s_barrier
	buffer_gl0_inv
	ds_read2_b32 v[6:7], v71 offset0:136 offset1:137
	ds_read2_b32 v[4:5], v71 offset0:138 offset1:139
	ds_read_b32 v200, v71 offset:560
	s_waitcnt lgkmcnt(1)
	v_add3_u32 v201, v7, v6, v4
	s_waitcnt lgkmcnt(0)
	v_add3_u32 v200, v201, v5, v200
	v_mov_b32_dpp v201, v200 row_shr:1 row_mask:0xf bank_mask:0xf
	v_cndmask_b32_e64 v201, v201, 0, s5
	v_add_nc_u32_e32 v200, v201, v200
	v_mov_b32_dpp v201, v200 row_shr:2 row_mask:0xf bank_mask:0xf
	v_cndmask_b32_e64 v201, 0, v201, s15
	v_add_nc_u32_e32 v200, v200, v201
	;; [unrolled: 3-line block ×4, first 2 shown]
	ds_swizzle_b32 v201, v200 offset:swizzle(BROADCAST,32,15)
	s_waitcnt lgkmcnt(0)
	v_cndmask_b32_e64 v201, v201, 0, s18
	v_add_nc_u32_e32 v200, v200, v201
	s_and_saveexec_b32 s23, s4
; %bb.166:                              ;   in Loop: Header=BB1561_108 Depth=2
	ds_write_b32 v64, v200 offset:512
; %bb.167:                              ;   in Loop: Header=BB1561_108 Depth=2
	s_or_b32 exec_lo, exec_lo, s23
	s_waitcnt lgkmcnt(0)
	s_barrier
	buffer_gl0_inv
	s_and_saveexec_b32 s23, s12
	s_cbranch_execz .LBB1561_169
; %bb.168:                              ;   in Loop: Header=BB1561_108 Depth=2
	ds_read_b32 v201, v72 offset:512
	s_waitcnt lgkmcnt(0)
	v_mov_b32_dpp v202, v201 row_shr:1 row_mask:0xf bank_mask:0xf
	v_cndmask_b32_e64 v202, v202, 0, s20
	v_add_nc_u32_e32 v201, v202, v201
	v_mov_b32_dpp v202, v201 row_shr:2 row_mask:0xf bank_mask:0xf
	v_cndmask_b32_e64 v202, 0, v202, s21
	v_add_nc_u32_e32 v201, v201, v202
	v_mov_b32_dpp v202, v201 row_shr:4 row_mask:0xf bank_mask:0xf
	v_cndmask_b32_e64 v202, 0, v202, s22
	v_add_nc_u32_e32 v201, v201, v202
	ds_write_b32 v72, v201 offset:512
.LBB1561_169:                           ;   in Loop: Header=BB1561_108 Depth=2
	s_or_b32 exec_lo, exec_lo, s23
	v_mov_b32_e32 v201, 0
	s_waitcnt lgkmcnt(0)
	s_barrier
	buffer_gl0_inv
	s_and_saveexec_b32 s23, s11
; %bb.170:                              ;   in Loop: Header=BB1561_108 Depth=2
	ds_read_b32 v201, v64 offset:508
; %bb.171:                              ;   in Loop: Header=BB1561_108 Depth=2
	s_or_b32 exec_lo, exec_lo, s23
	s_waitcnt lgkmcnt(0)
	v_add_nc_u32_e32 v200, v201, v200
	ds_bpermute_b32 v200, v95, v200
	s_waitcnt lgkmcnt(0)
	v_cndmask_b32_e64 v200, v200, v201, s19
	v_cndmask_b32_e64 v200, v200, 0, s13
	v_add_nc_u32_e32 v6, v200, v6
	v_add_nc_u32_e32 v7, v6, v7
	;; [unrolled: 1-line block ×4, first 2 shown]
	ds_write2_b32 v71, v200, v6 offset0:136 offset1:137
	ds_write2_b32 v71, v7, v4 offset0:138 offset1:139
	ds_write_b32 v71, v5 offset:560
	s_waitcnt lgkmcnt(0)
	s_barrier
	buffer_gl0_inv
	ds_read_b32 v4, v138 offset:544
	ds_read_b32 v5, v141 offset:544
	;; [unrolled: 1-line block ×17, first 2 shown]
	s_and_saveexec_b32 s23, s8
	s_cbranch_execz .LBB1561_175
; %bb.172:                              ;   in Loop: Header=BB1561_108 Depth=2
	v_add_nc_u32_e32 v133, v72, v74
	v_mov_b32_e32 v134, 0x1100
	ds_read_b32 v133, v133 offset:544
	s_and_saveexec_b32 s24, s14
; %bb.173:                              ;   in Loop: Header=BB1561_108 Depth=2
	ds_read_b32 v134, v73 offset:544
; %bb.174:                              ;   in Loop: Header=BB1561_108 Depth=2
	s_or_b32 exec_lo, exec_lo, s24
	s_waitcnt lgkmcnt(0)
	v_sub_nc_u32_e32 v134, v134, v133
.LBB1561_175:                           ;   in Loop: Header=BB1561_108 Depth=2
	s_or_b32 exec_lo, exec_lo, s23
	s_waitcnt lgkmcnt(0)
	s_barrier
	buffer_gl0_inv
	s_and_saveexec_b32 s23, s8
	s_cbranch_execz .LBB1561_177
; %bb.176:                              ;   in Loop: Header=BB1561_108 Depth=2
	ds_read_b32 v144, v45
	s_waitcnt lgkmcnt(0)
	v_sub_nc_u32_e32 v144, v144, v133
	ds_write_b32 v45, v144
.LBB1561_177:                           ;   in Loop: Header=BB1561_108 Depth=2
	s_or_b32 exec_lo, exec_lo, s23
	v_add_nc_u32_e32 v150, v4, v135
	v_add3_u32 v149, v137, v136, v5
	v_add3_u32 v147, v140, v139, v6
	;; [unrolled: 1-line block ×16, first 2 shown]
	v_cmp_lt_u32_e64 s39, v0, v43
	ds_write_b8 v150, v44 offset:512
	ds_write_b8 v149, v148 offset:512
	;; [unrolled: 1-line block ×17, first 2 shown]
	s_waitcnt lgkmcnt(0)
	s_barrier
	buffer_gl0_inv
	s_and_saveexec_b32 s23, s39
	s_cbranch_execnz .LBB1561_250
; %bb.178:                              ;   in Loop: Header=BB1561_108 Depth=2
	s_or_b32 exec_lo, exec_lo, s23
	v_cmp_lt_u32_e64 s38, v46, v43
	s_and_saveexec_b32 s23, s38
	s_cbranch_execnz .LBB1561_251
.LBB1561_179:                           ;   in Loop: Header=BB1561_108 Depth=2
	s_or_b32 exec_lo, exec_lo, s23
	v_cmp_lt_u32_e64 s37, v49, v43
	s_and_saveexec_b32 s23, s37
	s_cbranch_execnz .LBB1561_252
.LBB1561_180:                           ;   in Loop: Header=BB1561_108 Depth=2
	s_or_b32 exec_lo, exec_lo, s23
	v_cmp_lt_u32_e64 s36, v50, v43
	s_and_saveexec_b32 s23, s36
	s_cbranch_execnz .LBB1561_253
.LBB1561_181:                           ;   in Loop: Header=BB1561_108 Depth=2
	s_or_b32 exec_lo, exec_lo, s23
	v_cmp_lt_u32_e64 s35, v51, v43
	s_and_saveexec_b32 s23, s35
	s_cbranch_execnz .LBB1561_254
.LBB1561_182:                           ;   in Loop: Header=BB1561_108 Depth=2
	s_or_b32 exec_lo, exec_lo, s23
	v_cmp_lt_u32_e64 s34, v52, v43
	s_and_saveexec_b32 s23, s34
	s_cbranch_execnz .LBB1561_255
.LBB1561_183:                           ;   in Loop: Header=BB1561_108 Depth=2
	s_or_b32 exec_lo, exec_lo, s23
	v_cmp_lt_u32_e64 s33, v53, v43
	s_and_saveexec_b32 s23, s33
	s_cbranch_execnz .LBB1561_256
.LBB1561_184:                           ;   in Loop: Header=BB1561_108 Depth=2
	s_or_b32 exec_lo, exec_lo, s23
	v_cmp_lt_u32_e64 s31, v54, v43
	s_and_saveexec_b32 s23, s31
	s_cbranch_execnz .LBB1561_257
.LBB1561_185:                           ;   in Loop: Header=BB1561_108 Depth=2
	s_or_b32 exec_lo, exec_lo, s23
	v_cmp_lt_u32_e64 s30, v55, v43
	s_and_saveexec_b32 s23, s30
	s_cbranch_execnz .LBB1561_258
.LBB1561_186:                           ;   in Loop: Header=BB1561_108 Depth=2
	s_or_b32 exec_lo, exec_lo, s23
	v_cmp_lt_u32_e64 s29, v56, v43
	s_and_saveexec_b32 s23, s29
	s_cbranch_execnz .LBB1561_259
.LBB1561_187:                           ;   in Loop: Header=BB1561_108 Depth=2
	s_or_b32 exec_lo, exec_lo, s23
	v_cmp_lt_u32_e64 s28, v57, v43
	s_and_saveexec_b32 s23, s28
	s_cbranch_execnz .LBB1561_260
.LBB1561_188:                           ;   in Loop: Header=BB1561_108 Depth=2
	s_or_b32 exec_lo, exec_lo, s23
	v_cmp_lt_u32_e64 s27, v58, v43
	s_and_saveexec_b32 s23, s27
	s_cbranch_execnz .LBB1561_261
.LBB1561_189:                           ;   in Loop: Header=BB1561_108 Depth=2
	s_or_b32 exec_lo, exec_lo, s23
	v_cmp_lt_u32_e64 s26, v59, v43
	s_and_saveexec_b32 s23, s26
	s_cbranch_execnz .LBB1561_262
.LBB1561_190:                           ;   in Loop: Header=BB1561_108 Depth=2
	s_or_b32 exec_lo, exec_lo, s23
	v_cmp_lt_u32_e64 s25, v60, v43
	s_and_saveexec_b32 s23, s25
	s_cbranch_execnz .LBB1561_263
.LBB1561_191:                           ;   in Loop: Header=BB1561_108 Depth=2
	s_or_b32 exec_lo, exec_lo, s23
	v_cmp_lt_u32_e64 s24, v61, v43
	s_and_saveexec_b32 s23, s24
	s_cbranch_execnz .LBB1561_264
.LBB1561_192:                           ;   in Loop: Header=BB1561_108 Depth=2
	s_or_b32 exec_lo, exec_lo, s23
	v_cmp_lt_u32_e64 s23, v62, v43
	s_and_saveexec_b32 s40, s23
	s_cbranch_execnz .LBB1561_265
.LBB1561_193:                           ;   in Loop: Header=BB1561_108 Depth=2
	s_or_b32 exec_lo, exec_lo, s40
	v_cmp_lt_u32_e32 vcc_lo, v63, v43
	s_and_saveexec_b32 s40, vcc_lo
	s_cbranch_execz .LBB1561_195
.LBB1561_194:                           ;   in Loop: Header=BB1561_108 Depth=2
	ds_read_u8 v4, v0 offset:4608
	s_waitcnt lgkmcnt(0)
	v_and_b32_e32 v5, 1, v4
	v_xor_b32_e32 v4, 1, v4
	v_lshrrev_b32_e32 v5, s61, v5
	v_and_b32_e32 v5, s62, v5
	v_lshlrev_b32_e32 v5, 2, v5
	ds_read_b32 v5, v5
	s_waitcnt lgkmcnt(0)
	v_add_nc_u32_e32 v5, v5, v63
	global_store_byte v5, v4, s[46:47]
.LBB1561_195:                           ;   in Loop: Header=BB1561_108 Depth=2
	s_or_b32 exec_lo, exec_lo, s40
	s_lshl_b64 s[66:67], s[50:51], 3
	v_add_co_u32 v4, s40, v97, s66
	v_add_co_ci_u32_e64 v5, null, s67, v98, s40
	v_cmp_lt_u32_e64 s40, v96, v43
	s_and_saveexec_b32 s50, s40
	s_xor_b32 s40, exec_lo, s50
	s_cbranch_execnz .LBB1561_266
; %bb.196:                              ;   in Loop: Header=BB1561_108 Depth=2
	s_or_b32 exec_lo, exec_lo, s40
	s_mov_b32 s50, exec_lo
	v_cmpx_lt_u32_e64 v99, v43
	s_cbranch_execnz .LBB1561_267
.LBB1561_197:                           ;   in Loop: Header=BB1561_108 Depth=2
	s_or_b32 exec_lo, exec_lo, s50
	s_mov_b32 s50, exec_lo
	v_cmpx_lt_u32_e64 v100, v43
	s_cbranch_execnz .LBB1561_268
.LBB1561_198:                           ;   in Loop: Header=BB1561_108 Depth=2
	s_or_b32 exec_lo, exec_lo, s50
	s_mov_b32 s50, exec_lo
	v_cmpx_lt_u32_e64 v101, v43
	s_cbranch_execnz .LBB1561_269
.LBB1561_199:                           ;   in Loop: Header=BB1561_108 Depth=2
	s_or_b32 exec_lo, exec_lo, s50
	s_mov_b32 s50, exec_lo
	v_cmpx_lt_u32_e64 v102, v43
	s_cbranch_execnz .LBB1561_270
.LBB1561_200:                           ;   in Loop: Header=BB1561_108 Depth=2
	s_or_b32 exec_lo, exec_lo, s50
	s_mov_b32 s50, exec_lo
	v_cmpx_lt_u32_e64 v103, v43
	s_cbranch_execnz .LBB1561_271
.LBB1561_201:                           ;   in Loop: Header=BB1561_108 Depth=2
	s_or_b32 exec_lo, exec_lo, s50
	s_mov_b32 s50, exec_lo
	v_cmpx_lt_u32_e64 v104, v43
	s_cbranch_execnz .LBB1561_272
.LBB1561_202:                           ;   in Loop: Header=BB1561_108 Depth=2
	s_or_b32 exec_lo, exec_lo, s50
	s_mov_b32 s50, exec_lo
	v_cmpx_lt_u32_e64 v105, v43
	s_cbranch_execnz .LBB1561_273
.LBB1561_203:                           ;   in Loop: Header=BB1561_108 Depth=2
	s_or_b32 exec_lo, exec_lo, s50
	s_mov_b32 s50, exec_lo
	v_cmpx_lt_u32_e64 v106, v43
	s_cbranch_execnz .LBB1561_274
.LBB1561_204:                           ;   in Loop: Header=BB1561_108 Depth=2
	s_or_b32 exec_lo, exec_lo, s50
	s_mov_b32 s50, exec_lo
	v_cmpx_lt_u32_e64 v107, v43
	s_cbranch_execnz .LBB1561_275
.LBB1561_205:                           ;   in Loop: Header=BB1561_108 Depth=2
	s_or_b32 exec_lo, exec_lo, s50
	s_mov_b32 s50, exec_lo
	v_cmpx_lt_u32_e64 v108, v43
	s_cbranch_execnz .LBB1561_276
.LBB1561_206:                           ;   in Loop: Header=BB1561_108 Depth=2
	s_or_b32 exec_lo, exec_lo, s50
	s_mov_b32 s50, exec_lo
	v_cmpx_lt_u32_e64 v109, v43
	s_cbranch_execnz .LBB1561_277
.LBB1561_207:                           ;   in Loop: Header=BB1561_108 Depth=2
	s_or_b32 exec_lo, exec_lo, s50
	s_mov_b32 s50, exec_lo
	v_cmpx_lt_u32_e64 v110, v43
	s_cbranch_execnz .LBB1561_278
.LBB1561_208:                           ;   in Loop: Header=BB1561_108 Depth=2
	s_or_b32 exec_lo, exec_lo, s50
	s_mov_b32 s50, exec_lo
	v_cmpx_lt_u32_e64 v111, v43
	s_cbranch_execnz .LBB1561_279
.LBB1561_209:                           ;   in Loop: Header=BB1561_108 Depth=2
	s_or_b32 exec_lo, exec_lo, s50
	s_mov_b32 s50, exec_lo
	v_cmpx_lt_u32_e64 v112, v43
	s_cbranch_execnz .LBB1561_280
.LBB1561_210:                           ;   in Loop: Header=BB1561_108 Depth=2
	s_or_b32 exec_lo, exec_lo, s50
	s_mov_b32 s50, exec_lo
	v_cmpx_lt_u32_e64 v113, v43
	s_cbranch_execnz .LBB1561_281
.LBB1561_211:                           ;   in Loop: Header=BB1561_108 Depth=2
	s_or_b32 exec_lo, exec_lo, s50
	s_mov_b32 s50, exec_lo
	v_cmpx_lt_u32_e64 v114, v43
	s_cbranch_execnz .LBB1561_282
.LBB1561_212:                           ;   in Loop: Header=BB1561_108 Depth=2
	s_or_b32 exec_lo, exec_lo, s50
	s_and_saveexec_b32 s40, s39
	s_cbranch_execnz .LBB1561_283
.LBB1561_213:                           ;   in Loop: Header=BB1561_108 Depth=2
	s_or_b32 exec_lo, exec_lo, s40
	s_and_saveexec_b32 s40, s38
	s_cbranch_execnz .LBB1561_284
.LBB1561_214:                           ;   in Loop: Header=BB1561_108 Depth=2
	s_or_b32 exec_lo, exec_lo, s40
	s_and_saveexec_b32 s40, s37
	s_cbranch_execnz .LBB1561_285
.LBB1561_215:                           ;   in Loop: Header=BB1561_108 Depth=2
	s_or_b32 exec_lo, exec_lo, s40
	s_and_saveexec_b32 s40, s36
	s_cbranch_execnz .LBB1561_286
.LBB1561_216:                           ;   in Loop: Header=BB1561_108 Depth=2
	s_or_b32 exec_lo, exec_lo, s40
	s_and_saveexec_b32 s40, s35
	s_cbranch_execnz .LBB1561_287
.LBB1561_217:                           ;   in Loop: Header=BB1561_108 Depth=2
	s_or_b32 exec_lo, exec_lo, s40
	s_and_saveexec_b32 s40, s34
	s_cbranch_execnz .LBB1561_288
.LBB1561_218:                           ;   in Loop: Header=BB1561_108 Depth=2
	s_or_b32 exec_lo, exec_lo, s40
	s_and_saveexec_b32 s40, s33
	s_cbranch_execnz .LBB1561_289
.LBB1561_219:                           ;   in Loop: Header=BB1561_108 Depth=2
	s_or_b32 exec_lo, exec_lo, s40
	s_and_saveexec_b32 s40, s31
	s_cbranch_execnz .LBB1561_290
.LBB1561_220:                           ;   in Loop: Header=BB1561_108 Depth=2
	s_or_b32 exec_lo, exec_lo, s40
	s_and_saveexec_b32 s40, s30
	s_cbranch_execnz .LBB1561_291
.LBB1561_221:                           ;   in Loop: Header=BB1561_108 Depth=2
	s_or_b32 exec_lo, exec_lo, s40
	s_and_saveexec_b32 s40, s29
	s_cbranch_execnz .LBB1561_292
.LBB1561_222:                           ;   in Loop: Header=BB1561_108 Depth=2
	s_or_b32 exec_lo, exec_lo, s40
	s_and_saveexec_b32 s40, s28
	s_cbranch_execnz .LBB1561_293
.LBB1561_223:                           ;   in Loop: Header=BB1561_108 Depth=2
	s_or_b32 exec_lo, exec_lo, s40
	s_and_saveexec_b32 s40, s27
	s_cbranch_execnz .LBB1561_294
.LBB1561_224:                           ;   in Loop: Header=BB1561_108 Depth=2
	s_or_b32 exec_lo, exec_lo, s40
	s_and_saveexec_b32 s40, s26
	s_cbranch_execnz .LBB1561_295
.LBB1561_225:                           ;   in Loop: Header=BB1561_108 Depth=2
	s_or_b32 exec_lo, exec_lo, s40
	s_and_saveexec_b32 s40, s25
	s_cbranch_execnz .LBB1561_296
.LBB1561_226:                           ;   in Loop: Header=BB1561_108 Depth=2
	s_or_b32 exec_lo, exec_lo, s40
	s_and_saveexec_b32 s40, s24
	s_cbranch_execnz .LBB1561_297
.LBB1561_227:                           ;   in Loop: Header=BB1561_108 Depth=2
	s_or_b32 exec_lo, exec_lo, s40
	s_and_saveexec_b32 s40, s23
	s_cbranch_execnz .LBB1561_298
.LBB1561_228:                           ;   in Loop: Header=BB1561_108 Depth=2
	s_or_b32 exec_lo, exec_lo, s40
	s_and_saveexec_b32 s40, vcc_lo
	s_cbranch_execz .LBB1561_230
.LBB1561_229:                           ;   in Loop: Header=BB1561_108 Depth=2
	ds_read_u8 v4, v0 offset:4608
	s_waitcnt lgkmcnt(0)
	v_lshrrev_b32_e32 v4, s61, v4
	v_and_b32_e32 v116, s62, v4
.LBB1561_230:                           ;   in Loop: Header=BB1561_108 Depth=2
	s_or_b32 exec_lo, exec_lo, s40
	v_lshlrev_b32_e32 v4, 3, v150
	v_lshlrev_b32_e32 v5, 3, v149
	s_waitcnt vmcnt(0)
	s_waitcnt_vscnt null, 0x0
	s_barrier
	buffer_gl0_inv
	ds_write_b64 v4, v[41:42] offset:512
	ds_write_b64 v5, v[39:40] offset:512
	v_lshlrev_b32_e32 v4, 3, v147
	v_lshlrev_b32_e32 v5, 3, v146
	v_lshlrev_b32_e32 v43, 3, v145
	v_lshlrev_b32_e32 v44, 3, v144
	v_lshlrev_b32_e32 v143, 3, v143
	ds_write_b64 v4, v[37:38] offset:512
	ds_write_b64 v5, v[35:36] offset:512
	ds_write_b64 v43, v[33:34] offset:512
	ds_write_b64 v44, v[29:30] offset:512
	ds_write_b64 v143, v[25:26] offset:512
	v_lshlrev_b32_e32 v4, 3, v142
	v_lshlrev_b32_e32 v5, 3, v141
	v_lshlrev_b32_e32 v43, 3, v140
	v_lshlrev_b32_e32 v44, 3, v139
	v_lshlrev_b32_e32 v138, 3, v138
	ds_write_b64 v4, v[21:22] offset:512
	ds_write_b64 v5, v[31:32] offset:512
	ds_write_b64 v43, v[27:28] offset:512
	;; [unrolled: 10-line block ×3, first 2 shown]
	ds_write_b64 v7, v[11:12] offset:512
	ds_write_b64 v6, v[9:10] offset:512
	s_waitcnt lgkmcnt(0)
	s_barrier
	buffer_gl0_inv
	s_and_saveexec_b32 s40, s39
	s_cbranch_execnz .LBB1561_299
; %bb.231:                              ;   in Loop: Header=BB1561_108 Depth=2
	s_or_b32 exec_lo, exec_lo, s40
	s_and_saveexec_b32 s39, s38
	s_cbranch_execnz .LBB1561_300
.LBB1561_232:                           ;   in Loop: Header=BB1561_108 Depth=2
	s_or_b32 exec_lo, exec_lo, s39
	s_and_saveexec_b32 s38, s37
	s_cbranch_execnz .LBB1561_301
.LBB1561_233:                           ;   in Loop: Header=BB1561_108 Depth=2
	s_or_b32 exec_lo, exec_lo, s38
	s_and_saveexec_b32 s37, s36
	s_cbranch_execnz .LBB1561_302
.LBB1561_234:                           ;   in Loop: Header=BB1561_108 Depth=2
	s_or_b32 exec_lo, exec_lo, s37
	s_and_saveexec_b32 s36, s35
	s_cbranch_execnz .LBB1561_303
.LBB1561_235:                           ;   in Loop: Header=BB1561_108 Depth=2
	s_or_b32 exec_lo, exec_lo, s36
	s_and_saveexec_b32 s35, s34
	s_cbranch_execnz .LBB1561_304
.LBB1561_236:                           ;   in Loop: Header=BB1561_108 Depth=2
	s_or_b32 exec_lo, exec_lo, s35
	s_and_saveexec_b32 s34, s33
	s_cbranch_execnz .LBB1561_305
.LBB1561_237:                           ;   in Loop: Header=BB1561_108 Depth=2
	s_or_b32 exec_lo, exec_lo, s34
	s_and_saveexec_b32 s33, s31
	s_cbranch_execnz .LBB1561_306
.LBB1561_238:                           ;   in Loop: Header=BB1561_108 Depth=2
	s_or_b32 exec_lo, exec_lo, s33
	s_and_saveexec_b32 s31, s30
	s_cbranch_execnz .LBB1561_307
.LBB1561_239:                           ;   in Loop: Header=BB1561_108 Depth=2
	s_or_b32 exec_lo, exec_lo, s31
	s_and_saveexec_b32 s30, s29
	s_cbranch_execnz .LBB1561_308
.LBB1561_240:                           ;   in Loop: Header=BB1561_108 Depth=2
	s_or_b32 exec_lo, exec_lo, s30
	s_and_saveexec_b32 s29, s28
	s_cbranch_execnz .LBB1561_309
.LBB1561_241:                           ;   in Loop: Header=BB1561_108 Depth=2
	s_or_b32 exec_lo, exec_lo, s29
	s_and_saveexec_b32 s28, s27
	s_cbranch_execnz .LBB1561_310
.LBB1561_242:                           ;   in Loop: Header=BB1561_108 Depth=2
	s_or_b32 exec_lo, exec_lo, s28
	s_and_saveexec_b32 s27, s26
	s_cbranch_execnz .LBB1561_311
.LBB1561_243:                           ;   in Loop: Header=BB1561_108 Depth=2
	s_or_b32 exec_lo, exec_lo, s27
	s_and_saveexec_b32 s26, s25
	s_cbranch_execnz .LBB1561_312
.LBB1561_244:                           ;   in Loop: Header=BB1561_108 Depth=2
	s_or_b32 exec_lo, exec_lo, s26
	s_and_saveexec_b32 s25, s24
	s_cbranch_execnz .LBB1561_313
.LBB1561_245:                           ;   in Loop: Header=BB1561_108 Depth=2
	s_or_b32 exec_lo, exec_lo, s25
	s_and_saveexec_b32 s24, s23
	s_cbranch_execnz .LBB1561_314
.LBB1561_246:                           ;   in Loop: Header=BB1561_108 Depth=2
	s_or_b32 exec_lo, exec_lo, s24
	s_and_saveexec_b32 s23, vcc_lo
	s_cbranch_execz .LBB1561_248
.LBB1561_247:                           ;   in Loop: Header=BB1561_108 Depth=2
	v_lshlrev_b32_e32 v4, 2, v116
	v_mov_b32_e32 v7, v3
	ds_read_b32 v6, v4
	v_add_nc_u32_e32 v4, v0, v77
	ds_read_b64 v[4:5], v4 offset:33280
	s_waitcnt lgkmcnt(1)
	v_add_nc_u32_e32 v6, v6, v63
	v_lshlrev_b64 v[6:7], 3, v[6:7]
	v_add_co_u32 v6, vcc_lo, s52, v6
	v_add_co_ci_u32_e64 v7, null, s53, v7, vcc_lo
	s_waitcnt lgkmcnt(0)
	global_store_dwordx2 v[6:7], v[4:5], off
.LBB1561_248:                           ;   in Loop: Header=BB1561_108 Depth=2
	s_or_b32 exec_lo, exec_lo, s23
	s_waitcnt_vscnt null, 0x0
	s_barrier
	buffer_gl0_inv
	s_and_saveexec_b32 s23, s8
	s_cbranch_execz .LBB1561_107
; %bb.249:                              ;   in Loop: Header=BB1561_108 Depth=2
	ds_read_b32 v4, v45
	s_waitcnt lgkmcnt(0)
	v_add3_u32 v4, v133, v134, v4
	ds_write_b32 v45, v4
	s_branch .LBB1561_107
.LBB1561_250:                           ;   in Loop: Header=BB1561_108 Depth=2
	ds_read_u8 v4, v0 offset:512
	s_waitcnt lgkmcnt(0)
	v_and_b32_e32 v5, 1, v4
	v_xor_b32_e32 v4, 1, v4
	v_lshrrev_b32_e32 v5, s61, v5
	v_and_b32_e32 v5, s62, v5
	v_lshlrev_b32_e32 v5, 2, v5
	ds_read_b32 v5, v5
	s_waitcnt lgkmcnt(0)
	v_add_nc_u32_e32 v5, v5, v0
	global_store_byte v5, v4, s[46:47]
	s_or_b32 exec_lo, exec_lo, s23
	v_cmp_lt_u32_e64 s38, v46, v43
	s_and_saveexec_b32 s23, s38
	s_cbranch_execz .LBB1561_179
.LBB1561_251:                           ;   in Loop: Header=BB1561_108 Depth=2
	ds_read_u8 v4, v0 offset:768
	s_waitcnt lgkmcnt(0)
	v_and_b32_e32 v5, 1, v4
	v_xor_b32_e32 v4, 1, v4
	v_lshrrev_b32_e32 v5, s61, v5
	v_and_b32_e32 v5, s62, v5
	v_lshlrev_b32_e32 v5, 2, v5
	ds_read_b32 v5, v5
	s_waitcnt lgkmcnt(0)
	v_add_nc_u32_e32 v5, v5, v46
	global_store_byte v5, v4, s[46:47]
	s_or_b32 exec_lo, exec_lo, s23
	v_cmp_lt_u32_e64 s37, v49, v43
	s_and_saveexec_b32 s23, s37
	s_cbranch_execz .LBB1561_180
.LBB1561_252:                           ;   in Loop: Header=BB1561_108 Depth=2
	ds_read_u8 v4, v0 offset:1024
	s_waitcnt lgkmcnt(0)
	v_and_b32_e32 v5, 1, v4
	v_xor_b32_e32 v4, 1, v4
	v_lshrrev_b32_e32 v5, s61, v5
	v_and_b32_e32 v5, s62, v5
	v_lshlrev_b32_e32 v5, 2, v5
	ds_read_b32 v5, v5
	s_waitcnt lgkmcnt(0)
	v_add_nc_u32_e32 v5, v5, v49
	global_store_byte v5, v4, s[46:47]
	s_or_b32 exec_lo, exec_lo, s23
	v_cmp_lt_u32_e64 s36, v50, v43
	s_and_saveexec_b32 s23, s36
	s_cbranch_execz .LBB1561_181
.LBB1561_253:                           ;   in Loop: Header=BB1561_108 Depth=2
	ds_read_u8 v4, v0 offset:1280
	s_waitcnt lgkmcnt(0)
	v_and_b32_e32 v5, 1, v4
	v_xor_b32_e32 v4, 1, v4
	v_lshrrev_b32_e32 v5, s61, v5
	v_and_b32_e32 v5, s62, v5
	v_lshlrev_b32_e32 v5, 2, v5
	ds_read_b32 v5, v5
	s_waitcnt lgkmcnt(0)
	v_add_nc_u32_e32 v5, v5, v50
	global_store_byte v5, v4, s[46:47]
	s_or_b32 exec_lo, exec_lo, s23
	v_cmp_lt_u32_e64 s35, v51, v43
	s_and_saveexec_b32 s23, s35
	s_cbranch_execz .LBB1561_182
.LBB1561_254:                           ;   in Loop: Header=BB1561_108 Depth=2
	ds_read_u8 v4, v0 offset:1536
	s_waitcnt lgkmcnt(0)
	v_and_b32_e32 v5, 1, v4
	v_xor_b32_e32 v4, 1, v4
	v_lshrrev_b32_e32 v5, s61, v5
	v_and_b32_e32 v5, s62, v5
	v_lshlrev_b32_e32 v5, 2, v5
	ds_read_b32 v5, v5
	s_waitcnt lgkmcnt(0)
	v_add_nc_u32_e32 v5, v5, v51
	global_store_byte v5, v4, s[46:47]
	s_or_b32 exec_lo, exec_lo, s23
	v_cmp_lt_u32_e64 s34, v52, v43
	s_and_saveexec_b32 s23, s34
	s_cbranch_execz .LBB1561_183
.LBB1561_255:                           ;   in Loop: Header=BB1561_108 Depth=2
	ds_read_u8 v4, v0 offset:1792
	s_waitcnt lgkmcnt(0)
	v_and_b32_e32 v5, 1, v4
	v_xor_b32_e32 v4, 1, v4
	v_lshrrev_b32_e32 v5, s61, v5
	v_and_b32_e32 v5, s62, v5
	v_lshlrev_b32_e32 v5, 2, v5
	ds_read_b32 v5, v5
	s_waitcnt lgkmcnt(0)
	v_add_nc_u32_e32 v5, v5, v52
	global_store_byte v5, v4, s[46:47]
	s_or_b32 exec_lo, exec_lo, s23
	v_cmp_lt_u32_e64 s33, v53, v43
	s_and_saveexec_b32 s23, s33
	s_cbranch_execz .LBB1561_184
.LBB1561_256:                           ;   in Loop: Header=BB1561_108 Depth=2
	ds_read_u8 v4, v0 offset:2048
	s_waitcnt lgkmcnt(0)
	v_and_b32_e32 v5, 1, v4
	v_xor_b32_e32 v4, 1, v4
	v_lshrrev_b32_e32 v5, s61, v5
	v_and_b32_e32 v5, s62, v5
	v_lshlrev_b32_e32 v5, 2, v5
	ds_read_b32 v5, v5
	s_waitcnt lgkmcnt(0)
	v_add_nc_u32_e32 v5, v5, v53
	global_store_byte v5, v4, s[46:47]
	s_or_b32 exec_lo, exec_lo, s23
	v_cmp_lt_u32_e64 s31, v54, v43
	s_and_saveexec_b32 s23, s31
	s_cbranch_execz .LBB1561_185
.LBB1561_257:                           ;   in Loop: Header=BB1561_108 Depth=2
	ds_read_u8 v4, v0 offset:2304
	s_waitcnt lgkmcnt(0)
	v_and_b32_e32 v5, 1, v4
	v_xor_b32_e32 v4, 1, v4
	v_lshrrev_b32_e32 v5, s61, v5
	v_and_b32_e32 v5, s62, v5
	v_lshlrev_b32_e32 v5, 2, v5
	ds_read_b32 v5, v5
	s_waitcnt lgkmcnt(0)
	v_add_nc_u32_e32 v5, v5, v54
	global_store_byte v5, v4, s[46:47]
	s_or_b32 exec_lo, exec_lo, s23
	v_cmp_lt_u32_e64 s30, v55, v43
	s_and_saveexec_b32 s23, s30
	s_cbranch_execz .LBB1561_186
.LBB1561_258:                           ;   in Loop: Header=BB1561_108 Depth=2
	ds_read_u8 v4, v0 offset:2560
	s_waitcnt lgkmcnt(0)
	v_and_b32_e32 v5, 1, v4
	v_xor_b32_e32 v4, 1, v4
	v_lshrrev_b32_e32 v5, s61, v5
	v_and_b32_e32 v5, s62, v5
	v_lshlrev_b32_e32 v5, 2, v5
	ds_read_b32 v5, v5
	s_waitcnt lgkmcnt(0)
	v_add_nc_u32_e32 v5, v5, v55
	global_store_byte v5, v4, s[46:47]
	s_or_b32 exec_lo, exec_lo, s23
	v_cmp_lt_u32_e64 s29, v56, v43
	s_and_saveexec_b32 s23, s29
	s_cbranch_execz .LBB1561_187
.LBB1561_259:                           ;   in Loop: Header=BB1561_108 Depth=2
	ds_read_u8 v4, v0 offset:2816
	s_waitcnt lgkmcnt(0)
	v_and_b32_e32 v5, 1, v4
	v_xor_b32_e32 v4, 1, v4
	v_lshrrev_b32_e32 v5, s61, v5
	v_and_b32_e32 v5, s62, v5
	v_lshlrev_b32_e32 v5, 2, v5
	ds_read_b32 v5, v5
	s_waitcnt lgkmcnt(0)
	v_add_nc_u32_e32 v5, v5, v56
	global_store_byte v5, v4, s[46:47]
	s_or_b32 exec_lo, exec_lo, s23
	v_cmp_lt_u32_e64 s28, v57, v43
	s_and_saveexec_b32 s23, s28
	s_cbranch_execz .LBB1561_188
.LBB1561_260:                           ;   in Loop: Header=BB1561_108 Depth=2
	ds_read_u8 v4, v0 offset:3072
	s_waitcnt lgkmcnt(0)
	v_and_b32_e32 v5, 1, v4
	v_xor_b32_e32 v4, 1, v4
	v_lshrrev_b32_e32 v5, s61, v5
	v_and_b32_e32 v5, s62, v5
	v_lshlrev_b32_e32 v5, 2, v5
	ds_read_b32 v5, v5
	s_waitcnt lgkmcnt(0)
	v_add_nc_u32_e32 v5, v5, v57
	global_store_byte v5, v4, s[46:47]
	s_or_b32 exec_lo, exec_lo, s23
	v_cmp_lt_u32_e64 s27, v58, v43
	s_and_saveexec_b32 s23, s27
	s_cbranch_execz .LBB1561_189
.LBB1561_261:                           ;   in Loop: Header=BB1561_108 Depth=2
	ds_read_u8 v4, v0 offset:3328
	s_waitcnt lgkmcnt(0)
	v_and_b32_e32 v5, 1, v4
	v_xor_b32_e32 v4, 1, v4
	v_lshrrev_b32_e32 v5, s61, v5
	v_and_b32_e32 v5, s62, v5
	v_lshlrev_b32_e32 v5, 2, v5
	ds_read_b32 v5, v5
	s_waitcnt lgkmcnt(0)
	v_add_nc_u32_e32 v5, v5, v58
	global_store_byte v5, v4, s[46:47]
	s_or_b32 exec_lo, exec_lo, s23
	v_cmp_lt_u32_e64 s26, v59, v43
	s_and_saveexec_b32 s23, s26
	s_cbranch_execz .LBB1561_190
.LBB1561_262:                           ;   in Loop: Header=BB1561_108 Depth=2
	ds_read_u8 v4, v0 offset:3584
	s_waitcnt lgkmcnt(0)
	v_and_b32_e32 v5, 1, v4
	v_xor_b32_e32 v4, 1, v4
	v_lshrrev_b32_e32 v5, s61, v5
	v_and_b32_e32 v5, s62, v5
	v_lshlrev_b32_e32 v5, 2, v5
	ds_read_b32 v5, v5
	s_waitcnt lgkmcnt(0)
	v_add_nc_u32_e32 v5, v5, v59
	global_store_byte v5, v4, s[46:47]
	s_or_b32 exec_lo, exec_lo, s23
	v_cmp_lt_u32_e64 s25, v60, v43
	s_and_saveexec_b32 s23, s25
	s_cbranch_execz .LBB1561_191
.LBB1561_263:                           ;   in Loop: Header=BB1561_108 Depth=2
	ds_read_u8 v4, v0 offset:3840
	s_waitcnt lgkmcnt(0)
	v_and_b32_e32 v5, 1, v4
	v_xor_b32_e32 v4, 1, v4
	v_lshrrev_b32_e32 v5, s61, v5
	v_and_b32_e32 v5, s62, v5
	v_lshlrev_b32_e32 v5, 2, v5
	ds_read_b32 v5, v5
	s_waitcnt lgkmcnt(0)
	v_add_nc_u32_e32 v5, v5, v60
	global_store_byte v5, v4, s[46:47]
	s_or_b32 exec_lo, exec_lo, s23
	v_cmp_lt_u32_e64 s24, v61, v43
	s_and_saveexec_b32 s23, s24
	s_cbranch_execz .LBB1561_192
.LBB1561_264:                           ;   in Loop: Header=BB1561_108 Depth=2
	ds_read_u8 v4, v0 offset:4096
	s_waitcnt lgkmcnt(0)
	v_and_b32_e32 v5, 1, v4
	v_xor_b32_e32 v4, 1, v4
	v_lshrrev_b32_e32 v5, s61, v5
	v_and_b32_e32 v5, s62, v5
	v_lshlrev_b32_e32 v5, 2, v5
	ds_read_b32 v5, v5
	s_waitcnt lgkmcnt(0)
	v_add_nc_u32_e32 v5, v5, v61
	global_store_byte v5, v4, s[46:47]
	s_or_b32 exec_lo, exec_lo, s23
	v_cmp_lt_u32_e64 s23, v62, v43
	s_and_saveexec_b32 s40, s23
	s_cbranch_execz .LBB1561_193
.LBB1561_265:                           ;   in Loop: Header=BB1561_108 Depth=2
	ds_read_u8 v4, v0 offset:4352
	s_waitcnt lgkmcnt(0)
	v_and_b32_e32 v5, 1, v4
	v_xor_b32_e32 v4, 1, v4
	v_lshrrev_b32_e32 v5, s61, v5
	v_and_b32_e32 v5, s62, v5
	v_lshlrev_b32_e32 v5, 2, v5
	ds_read_b32 v5, v5
	s_waitcnt lgkmcnt(0)
	v_add_nc_u32_e32 v5, v5, v62
	global_store_byte v5, v4, s[46:47]
	s_or_b32 exec_lo, exec_lo, s40
	v_cmp_lt_u32_e32 vcc_lo, v63, v43
	s_and_saveexec_b32 s40, vcc_lo
	s_cbranch_execnz .LBB1561_194
	s_branch .LBB1561_195
.LBB1561_266:                           ;   in Loop: Header=BB1561_108 Depth=2
	global_load_dwordx2 v[41:42], v[4:5], off
	s_or_b32 exec_lo, exec_lo, s40
	s_mov_b32 s50, exec_lo
	v_cmpx_lt_u32_e64 v99, v43
	s_cbranch_execz .LBB1561_197
.LBB1561_267:                           ;   in Loop: Header=BB1561_108 Depth=2
	global_load_dwordx2 v[39:40], v[4:5], off offset:256
	s_or_b32 exec_lo, exec_lo, s50
	s_mov_b32 s50, exec_lo
	v_cmpx_lt_u32_e64 v100, v43
	s_cbranch_execz .LBB1561_198
.LBB1561_268:                           ;   in Loop: Header=BB1561_108 Depth=2
	global_load_dwordx2 v[37:38], v[4:5], off offset:512
	s_or_b32 exec_lo, exec_lo, s50
	s_mov_b32 s50, exec_lo
	v_cmpx_lt_u32_e64 v101, v43
	s_cbranch_execz .LBB1561_199
.LBB1561_269:                           ;   in Loop: Header=BB1561_108 Depth=2
	global_load_dwordx2 v[35:36], v[4:5], off offset:768
	s_or_b32 exec_lo, exec_lo, s50
	s_mov_b32 s50, exec_lo
	v_cmpx_lt_u32_e64 v102, v43
	s_cbranch_execz .LBB1561_200
.LBB1561_270:                           ;   in Loop: Header=BB1561_108 Depth=2
	global_load_dwordx2 v[33:34], v[4:5], off offset:1024
	s_or_b32 exec_lo, exec_lo, s50
	s_mov_b32 s50, exec_lo
	v_cmpx_lt_u32_e64 v103, v43
	s_cbranch_execz .LBB1561_201
.LBB1561_271:                           ;   in Loop: Header=BB1561_108 Depth=2
	global_load_dwordx2 v[29:30], v[4:5], off offset:1280
	s_or_b32 exec_lo, exec_lo, s50
	s_mov_b32 s50, exec_lo
	v_cmpx_lt_u32_e64 v104, v43
	s_cbranch_execz .LBB1561_202
.LBB1561_272:                           ;   in Loop: Header=BB1561_108 Depth=2
	global_load_dwordx2 v[25:26], v[4:5], off offset:1536
	s_or_b32 exec_lo, exec_lo, s50
	s_mov_b32 s50, exec_lo
	v_cmpx_lt_u32_e64 v105, v43
	s_cbranch_execz .LBB1561_203
.LBB1561_273:                           ;   in Loop: Header=BB1561_108 Depth=2
	global_load_dwordx2 v[21:22], v[4:5], off offset:1792
	s_or_b32 exec_lo, exec_lo, s50
	s_mov_b32 s50, exec_lo
	v_cmpx_lt_u32_e64 v106, v43
	s_cbranch_execz .LBB1561_204
.LBB1561_274:                           ;   in Loop: Header=BB1561_108 Depth=2
	v_add_co_u32 v31, s40, 0x800, v4
	v_add_co_ci_u32_e64 v32, null, 0, v5, s40
	global_load_dwordx2 v[31:32], v[31:32], off
	s_or_b32 exec_lo, exec_lo, s50
	s_mov_b32 s50, exec_lo
	v_cmpx_lt_u32_e64 v107, v43
	s_cbranch_execz .LBB1561_205
.LBB1561_275:                           ;   in Loop: Header=BB1561_108 Depth=2
	v_add_co_u32 v27, s40, 0x800, v4
	v_add_co_ci_u32_e64 v28, null, 0, v5, s40
	global_load_dwordx2 v[27:28], v[27:28], off offset:256
	s_or_b32 exec_lo, exec_lo, s50
	s_mov_b32 s50, exec_lo
	v_cmpx_lt_u32_e64 v108, v43
	s_cbranch_execz .LBB1561_206
.LBB1561_276:                           ;   in Loop: Header=BB1561_108 Depth=2
	v_add_co_u32 v23, s40, 0x800, v4
	v_add_co_ci_u32_e64 v24, null, 0, v5, s40
	global_load_dwordx2 v[23:24], v[23:24], off offset:512
	s_or_b32 exec_lo, exec_lo, s50
	s_mov_b32 s50, exec_lo
	v_cmpx_lt_u32_e64 v109, v43
	s_cbranch_execz .LBB1561_207
.LBB1561_277:                           ;   in Loop: Header=BB1561_108 Depth=2
	v_add_co_u32 v19, s40, 0x800, v4
	v_add_co_ci_u32_e64 v20, null, 0, v5, s40
	global_load_dwordx2 v[19:20], v[19:20], off offset:768
	s_or_b32 exec_lo, exec_lo, s50
	s_mov_b32 s50, exec_lo
	v_cmpx_lt_u32_e64 v110, v43
	s_cbranch_execz .LBB1561_208
.LBB1561_278:                           ;   in Loop: Header=BB1561_108 Depth=2
	v_add_co_u32 v17, s40, 0x800, v4
	v_add_co_ci_u32_e64 v18, null, 0, v5, s40
	global_load_dwordx2 v[17:18], v[17:18], off offset:1024
	s_or_b32 exec_lo, exec_lo, s50
	s_mov_b32 s50, exec_lo
	v_cmpx_lt_u32_e64 v111, v43
	s_cbranch_execz .LBB1561_209
.LBB1561_279:                           ;   in Loop: Header=BB1561_108 Depth=2
	v_add_co_u32 v15, s40, 0x800, v4
	v_add_co_ci_u32_e64 v16, null, 0, v5, s40
	global_load_dwordx2 v[15:16], v[15:16], off offset:1280
	s_or_b32 exec_lo, exec_lo, s50
	s_mov_b32 s50, exec_lo
	v_cmpx_lt_u32_e64 v112, v43
	s_cbranch_execz .LBB1561_210
.LBB1561_280:                           ;   in Loop: Header=BB1561_108 Depth=2
	v_add_co_u32 v13, s40, 0x800, v4
	v_add_co_ci_u32_e64 v14, null, 0, v5, s40
	global_load_dwordx2 v[13:14], v[13:14], off offset:1536
	s_or_b32 exec_lo, exec_lo, s50
	s_mov_b32 s50, exec_lo
	v_cmpx_lt_u32_e64 v113, v43
	s_cbranch_execz .LBB1561_211
.LBB1561_281:                           ;   in Loop: Header=BB1561_108 Depth=2
	v_add_co_u32 v11, s40, 0x800, v4
	v_add_co_ci_u32_e64 v12, null, 0, v5, s40
	global_load_dwordx2 v[11:12], v[11:12], off offset:1792
	s_or_b32 exec_lo, exec_lo, s50
	s_mov_b32 s50, exec_lo
	v_cmpx_lt_u32_e64 v114, v43
	s_cbranch_execz .LBB1561_212
.LBB1561_282:                           ;   in Loop: Header=BB1561_108 Depth=2
	v_add_co_u32 v4, s40, 0x1000, v4
	v_add_co_ci_u32_e64 v5, null, 0, v5, s40
	global_load_dwordx2 v[9:10], v[4:5], off
	s_or_b32 exec_lo, exec_lo, s50
	s_and_saveexec_b32 s40, s39
	s_cbranch_execz .LBB1561_213
.LBB1561_283:                           ;   in Loop: Header=BB1561_108 Depth=2
	ds_read_u8 v4, v0 offset:512
	s_waitcnt lgkmcnt(0)
	v_lshrrev_b32_e32 v4, s61, v4
	v_and_b32_e32 v132, s62, v4
	s_or_b32 exec_lo, exec_lo, s40
	s_and_saveexec_b32 s40, s38
	s_cbranch_execz .LBB1561_214
.LBB1561_284:                           ;   in Loop: Header=BB1561_108 Depth=2
	ds_read_u8 v4, v0 offset:768
	s_waitcnt lgkmcnt(0)
	v_lshrrev_b32_e32 v4, s61, v4
	v_and_b32_e32 v131, s62, v4
	s_or_b32 exec_lo, exec_lo, s40
	s_and_saveexec_b32 s40, s37
	s_cbranch_execz .LBB1561_215
.LBB1561_285:                           ;   in Loop: Header=BB1561_108 Depth=2
	ds_read_u8 v4, v0 offset:1024
	s_waitcnt lgkmcnt(0)
	v_lshrrev_b32_e32 v4, s61, v4
	v_and_b32_e32 v130, s62, v4
	s_or_b32 exec_lo, exec_lo, s40
	s_and_saveexec_b32 s40, s36
	s_cbranch_execz .LBB1561_216
.LBB1561_286:                           ;   in Loop: Header=BB1561_108 Depth=2
	ds_read_u8 v4, v0 offset:1280
	s_waitcnt lgkmcnt(0)
	v_lshrrev_b32_e32 v4, s61, v4
	v_and_b32_e32 v129, s62, v4
	s_or_b32 exec_lo, exec_lo, s40
	s_and_saveexec_b32 s40, s35
	s_cbranch_execz .LBB1561_217
.LBB1561_287:                           ;   in Loop: Header=BB1561_108 Depth=2
	ds_read_u8 v4, v0 offset:1536
	s_waitcnt lgkmcnt(0)
	v_lshrrev_b32_e32 v4, s61, v4
	v_and_b32_e32 v128, s62, v4
	s_or_b32 exec_lo, exec_lo, s40
	s_and_saveexec_b32 s40, s34
	s_cbranch_execz .LBB1561_218
.LBB1561_288:                           ;   in Loop: Header=BB1561_108 Depth=2
	ds_read_u8 v4, v0 offset:1792
	s_waitcnt lgkmcnt(0)
	v_lshrrev_b32_e32 v4, s61, v4
	v_and_b32_e32 v127, s62, v4
	s_or_b32 exec_lo, exec_lo, s40
	s_and_saveexec_b32 s40, s33
	s_cbranch_execz .LBB1561_219
.LBB1561_289:                           ;   in Loop: Header=BB1561_108 Depth=2
	ds_read_u8 v4, v0 offset:2048
	s_waitcnt lgkmcnt(0)
	v_lshrrev_b32_e32 v4, s61, v4
	v_and_b32_e32 v126, s62, v4
	s_or_b32 exec_lo, exec_lo, s40
	s_and_saveexec_b32 s40, s31
	s_cbranch_execz .LBB1561_220
.LBB1561_290:                           ;   in Loop: Header=BB1561_108 Depth=2
	ds_read_u8 v4, v0 offset:2304
	s_waitcnt lgkmcnt(0)
	v_lshrrev_b32_e32 v4, s61, v4
	v_and_b32_e32 v125, s62, v4
	s_or_b32 exec_lo, exec_lo, s40
	s_and_saveexec_b32 s40, s30
	s_cbranch_execz .LBB1561_221
.LBB1561_291:                           ;   in Loop: Header=BB1561_108 Depth=2
	ds_read_u8 v4, v0 offset:2560
	s_waitcnt lgkmcnt(0)
	v_lshrrev_b32_e32 v4, s61, v4
	v_and_b32_e32 v124, s62, v4
	s_or_b32 exec_lo, exec_lo, s40
	s_and_saveexec_b32 s40, s29
	s_cbranch_execz .LBB1561_222
.LBB1561_292:                           ;   in Loop: Header=BB1561_108 Depth=2
	ds_read_u8 v4, v0 offset:2816
	s_waitcnt lgkmcnt(0)
	v_lshrrev_b32_e32 v4, s61, v4
	v_and_b32_e32 v123, s62, v4
	s_or_b32 exec_lo, exec_lo, s40
	s_and_saveexec_b32 s40, s28
	s_cbranch_execz .LBB1561_223
.LBB1561_293:                           ;   in Loop: Header=BB1561_108 Depth=2
	ds_read_u8 v4, v0 offset:3072
	s_waitcnt lgkmcnt(0)
	v_lshrrev_b32_e32 v4, s61, v4
	v_and_b32_e32 v122, s62, v4
	s_or_b32 exec_lo, exec_lo, s40
	s_and_saveexec_b32 s40, s27
	s_cbranch_execz .LBB1561_224
.LBB1561_294:                           ;   in Loop: Header=BB1561_108 Depth=2
	ds_read_u8 v4, v0 offset:3328
	s_waitcnt lgkmcnt(0)
	v_lshrrev_b32_e32 v4, s61, v4
	v_and_b32_e32 v121, s62, v4
	s_or_b32 exec_lo, exec_lo, s40
	s_and_saveexec_b32 s40, s26
	s_cbranch_execz .LBB1561_225
.LBB1561_295:                           ;   in Loop: Header=BB1561_108 Depth=2
	ds_read_u8 v4, v0 offset:3584
	s_waitcnt lgkmcnt(0)
	v_lshrrev_b32_e32 v4, s61, v4
	v_and_b32_e32 v120, s62, v4
	s_or_b32 exec_lo, exec_lo, s40
	s_and_saveexec_b32 s40, s25
	s_cbranch_execz .LBB1561_226
.LBB1561_296:                           ;   in Loop: Header=BB1561_108 Depth=2
	ds_read_u8 v4, v0 offset:3840
	s_waitcnt lgkmcnt(0)
	v_lshrrev_b32_e32 v4, s61, v4
	v_and_b32_e32 v119, s62, v4
	s_or_b32 exec_lo, exec_lo, s40
	s_and_saveexec_b32 s40, s24
	s_cbranch_execz .LBB1561_227
.LBB1561_297:                           ;   in Loop: Header=BB1561_108 Depth=2
	ds_read_u8 v4, v0 offset:4096
	s_waitcnt lgkmcnt(0)
	v_lshrrev_b32_e32 v4, s61, v4
	v_and_b32_e32 v118, s62, v4
	s_or_b32 exec_lo, exec_lo, s40
	s_and_saveexec_b32 s40, s23
	s_cbranch_execz .LBB1561_228
.LBB1561_298:                           ;   in Loop: Header=BB1561_108 Depth=2
	ds_read_u8 v4, v0 offset:4352
	s_waitcnt lgkmcnt(0)
	v_lshrrev_b32_e32 v4, s61, v4
	v_and_b32_e32 v117, s62, v4
	s_or_b32 exec_lo, exec_lo, s40
	s_and_saveexec_b32 s40, vcc_lo
	s_cbranch_execnz .LBB1561_229
	s_branch .LBB1561_230
.LBB1561_299:                           ;   in Loop: Header=BB1561_108 Depth=2
	v_lshlrev_b32_e32 v4, 2, v132
	v_mov_b32_e32 v7, v3
	ds_read_b32 v6, v4
	v_add_nc_u32_e32 v4, v0, v77
	ds_read_b64 v[4:5], v4 offset:512
	s_waitcnt lgkmcnt(1)
	v_add_nc_u32_e32 v6, v6, v0
	v_lshlrev_b64 v[6:7], 3, v[6:7]
	v_add_co_u32 v6, s39, s52, v6
	v_add_co_ci_u32_e64 v7, null, s53, v7, s39
	s_waitcnt lgkmcnt(0)
	global_store_dwordx2 v[6:7], v[4:5], off
	s_or_b32 exec_lo, exec_lo, s40
	s_and_saveexec_b32 s39, s38
	s_cbranch_execz .LBB1561_232
.LBB1561_300:                           ;   in Loop: Header=BB1561_108 Depth=2
	v_lshlrev_b32_e32 v4, 2, v131
	v_mov_b32_e32 v7, v3
	ds_read_b32 v6, v4
	v_add_nc_u32_e32 v4, v0, v77
	ds_read_b64 v[4:5], v4 offset:2560
	s_waitcnt lgkmcnt(1)
	v_add_nc_u32_e32 v6, v6, v46
	v_lshlrev_b64 v[6:7], 3, v[6:7]
	v_add_co_u32 v6, s38, s52, v6
	v_add_co_ci_u32_e64 v7, null, s53, v7, s38
	s_waitcnt lgkmcnt(0)
	global_store_dwordx2 v[6:7], v[4:5], off
	s_or_b32 exec_lo, exec_lo, s39
	s_and_saveexec_b32 s38, s37
	s_cbranch_execz .LBB1561_233
.LBB1561_301:                           ;   in Loop: Header=BB1561_108 Depth=2
	v_lshlrev_b32_e32 v4, 2, v130
	v_mov_b32_e32 v7, v3
	ds_read_b32 v6, v4
	v_add_nc_u32_e32 v4, v0, v77
	ds_read_b64 v[4:5], v4 offset:4608
	s_waitcnt lgkmcnt(1)
	v_add_nc_u32_e32 v6, v6, v49
	v_lshlrev_b64 v[6:7], 3, v[6:7]
	v_add_co_u32 v6, s37, s52, v6
	v_add_co_ci_u32_e64 v7, null, s53, v7, s37
	s_waitcnt lgkmcnt(0)
	global_store_dwordx2 v[6:7], v[4:5], off
	s_or_b32 exec_lo, exec_lo, s38
	s_and_saveexec_b32 s37, s36
	s_cbranch_execz .LBB1561_234
.LBB1561_302:                           ;   in Loop: Header=BB1561_108 Depth=2
	v_lshlrev_b32_e32 v4, 2, v129
	v_mov_b32_e32 v7, v3
	ds_read_b32 v6, v4
	v_add_nc_u32_e32 v4, v0, v77
	ds_read_b64 v[4:5], v4 offset:6656
	s_waitcnt lgkmcnt(1)
	v_add_nc_u32_e32 v6, v6, v50
	v_lshlrev_b64 v[6:7], 3, v[6:7]
	v_add_co_u32 v6, s36, s52, v6
	v_add_co_ci_u32_e64 v7, null, s53, v7, s36
	s_waitcnt lgkmcnt(0)
	global_store_dwordx2 v[6:7], v[4:5], off
	s_or_b32 exec_lo, exec_lo, s37
	s_and_saveexec_b32 s36, s35
	s_cbranch_execz .LBB1561_235
.LBB1561_303:                           ;   in Loop: Header=BB1561_108 Depth=2
	v_lshlrev_b32_e32 v4, 2, v128
	v_mov_b32_e32 v7, v3
	ds_read_b32 v6, v4
	v_add_nc_u32_e32 v4, v0, v77
	ds_read_b64 v[4:5], v4 offset:8704
	s_waitcnt lgkmcnt(1)
	v_add_nc_u32_e32 v6, v6, v51
	v_lshlrev_b64 v[6:7], 3, v[6:7]
	v_add_co_u32 v6, s35, s52, v6
	v_add_co_ci_u32_e64 v7, null, s53, v7, s35
	s_waitcnt lgkmcnt(0)
	global_store_dwordx2 v[6:7], v[4:5], off
	s_or_b32 exec_lo, exec_lo, s36
	s_and_saveexec_b32 s35, s34
	s_cbranch_execz .LBB1561_236
.LBB1561_304:                           ;   in Loop: Header=BB1561_108 Depth=2
	v_lshlrev_b32_e32 v4, 2, v127
	v_mov_b32_e32 v7, v3
	ds_read_b32 v6, v4
	v_add_nc_u32_e32 v4, v0, v77
	ds_read_b64 v[4:5], v4 offset:10752
	s_waitcnt lgkmcnt(1)
	v_add_nc_u32_e32 v6, v6, v52
	v_lshlrev_b64 v[6:7], 3, v[6:7]
	v_add_co_u32 v6, s34, s52, v6
	v_add_co_ci_u32_e64 v7, null, s53, v7, s34
	s_waitcnt lgkmcnt(0)
	global_store_dwordx2 v[6:7], v[4:5], off
	s_or_b32 exec_lo, exec_lo, s35
	s_and_saveexec_b32 s34, s33
	s_cbranch_execz .LBB1561_237
.LBB1561_305:                           ;   in Loop: Header=BB1561_108 Depth=2
	v_lshlrev_b32_e32 v4, 2, v126
	v_mov_b32_e32 v7, v3
	ds_read_b32 v6, v4
	v_add_nc_u32_e32 v4, v0, v77
	ds_read_b64 v[4:5], v4 offset:12800
	s_waitcnt lgkmcnt(1)
	v_add_nc_u32_e32 v6, v6, v53
	v_lshlrev_b64 v[6:7], 3, v[6:7]
	v_add_co_u32 v6, s33, s52, v6
	v_add_co_ci_u32_e64 v7, null, s53, v7, s33
	s_waitcnt lgkmcnt(0)
	global_store_dwordx2 v[6:7], v[4:5], off
	s_or_b32 exec_lo, exec_lo, s34
	s_and_saveexec_b32 s33, s31
	s_cbranch_execz .LBB1561_238
.LBB1561_306:                           ;   in Loop: Header=BB1561_108 Depth=2
	v_lshlrev_b32_e32 v4, 2, v125
	v_mov_b32_e32 v7, v3
	ds_read_b32 v6, v4
	v_add_nc_u32_e32 v4, v0, v77
	ds_read_b64 v[4:5], v4 offset:14848
	s_waitcnt lgkmcnt(1)
	v_add_nc_u32_e32 v6, v6, v54
	v_lshlrev_b64 v[6:7], 3, v[6:7]
	v_add_co_u32 v6, s31, s52, v6
	v_add_co_ci_u32_e64 v7, null, s53, v7, s31
	s_waitcnt lgkmcnt(0)
	global_store_dwordx2 v[6:7], v[4:5], off
	s_or_b32 exec_lo, exec_lo, s33
	s_and_saveexec_b32 s31, s30
	s_cbranch_execz .LBB1561_239
.LBB1561_307:                           ;   in Loop: Header=BB1561_108 Depth=2
	v_lshlrev_b32_e32 v4, 2, v124
	v_mov_b32_e32 v7, v3
	ds_read_b32 v6, v4
	v_add_nc_u32_e32 v4, v0, v77
	ds_read_b64 v[4:5], v4 offset:16896
	s_waitcnt lgkmcnt(1)
	v_add_nc_u32_e32 v6, v6, v55
	v_lshlrev_b64 v[6:7], 3, v[6:7]
	v_add_co_u32 v6, s30, s52, v6
	v_add_co_ci_u32_e64 v7, null, s53, v7, s30
	s_waitcnt lgkmcnt(0)
	global_store_dwordx2 v[6:7], v[4:5], off
	s_or_b32 exec_lo, exec_lo, s31
	s_and_saveexec_b32 s30, s29
	s_cbranch_execz .LBB1561_240
.LBB1561_308:                           ;   in Loop: Header=BB1561_108 Depth=2
	v_lshlrev_b32_e32 v4, 2, v123
	v_mov_b32_e32 v7, v3
	ds_read_b32 v6, v4
	v_add_nc_u32_e32 v4, v0, v77
	ds_read_b64 v[4:5], v4 offset:18944
	s_waitcnt lgkmcnt(1)
	v_add_nc_u32_e32 v6, v6, v56
	v_lshlrev_b64 v[6:7], 3, v[6:7]
	v_add_co_u32 v6, s29, s52, v6
	v_add_co_ci_u32_e64 v7, null, s53, v7, s29
	s_waitcnt lgkmcnt(0)
	global_store_dwordx2 v[6:7], v[4:5], off
	s_or_b32 exec_lo, exec_lo, s30
	s_and_saveexec_b32 s29, s28
	s_cbranch_execz .LBB1561_241
.LBB1561_309:                           ;   in Loop: Header=BB1561_108 Depth=2
	v_lshlrev_b32_e32 v4, 2, v122
	v_mov_b32_e32 v7, v3
	ds_read_b32 v6, v4
	v_add_nc_u32_e32 v4, v0, v77
	ds_read_b64 v[4:5], v4 offset:20992
	s_waitcnt lgkmcnt(1)
	v_add_nc_u32_e32 v6, v6, v57
	v_lshlrev_b64 v[6:7], 3, v[6:7]
	v_add_co_u32 v6, s28, s52, v6
	v_add_co_ci_u32_e64 v7, null, s53, v7, s28
	s_waitcnt lgkmcnt(0)
	global_store_dwordx2 v[6:7], v[4:5], off
	s_or_b32 exec_lo, exec_lo, s29
	s_and_saveexec_b32 s28, s27
	s_cbranch_execz .LBB1561_242
.LBB1561_310:                           ;   in Loop: Header=BB1561_108 Depth=2
	v_lshlrev_b32_e32 v4, 2, v121
	v_mov_b32_e32 v7, v3
	ds_read_b32 v6, v4
	v_add_nc_u32_e32 v4, v0, v77
	ds_read_b64 v[4:5], v4 offset:23040
	s_waitcnt lgkmcnt(1)
	v_add_nc_u32_e32 v6, v6, v58
	v_lshlrev_b64 v[6:7], 3, v[6:7]
	v_add_co_u32 v6, s27, s52, v6
	v_add_co_ci_u32_e64 v7, null, s53, v7, s27
	s_waitcnt lgkmcnt(0)
	global_store_dwordx2 v[6:7], v[4:5], off
	s_or_b32 exec_lo, exec_lo, s28
	s_and_saveexec_b32 s27, s26
	s_cbranch_execz .LBB1561_243
.LBB1561_311:                           ;   in Loop: Header=BB1561_108 Depth=2
	v_lshlrev_b32_e32 v4, 2, v120
	v_mov_b32_e32 v7, v3
	ds_read_b32 v6, v4
	v_add_nc_u32_e32 v4, v0, v77
	ds_read_b64 v[4:5], v4 offset:25088
	s_waitcnt lgkmcnt(1)
	v_add_nc_u32_e32 v6, v6, v59
	v_lshlrev_b64 v[6:7], 3, v[6:7]
	v_add_co_u32 v6, s26, s52, v6
	v_add_co_ci_u32_e64 v7, null, s53, v7, s26
	s_waitcnt lgkmcnt(0)
	global_store_dwordx2 v[6:7], v[4:5], off
	s_or_b32 exec_lo, exec_lo, s27
	s_and_saveexec_b32 s26, s25
	s_cbranch_execz .LBB1561_244
.LBB1561_312:                           ;   in Loop: Header=BB1561_108 Depth=2
	v_lshlrev_b32_e32 v4, 2, v119
	v_mov_b32_e32 v7, v3
	ds_read_b32 v6, v4
	v_add_nc_u32_e32 v4, v0, v77
	ds_read_b64 v[4:5], v4 offset:27136
	s_waitcnt lgkmcnt(1)
	v_add_nc_u32_e32 v6, v6, v60
	v_lshlrev_b64 v[6:7], 3, v[6:7]
	v_add_co_u32 v6, s25, s52, v6
	v_add_co_ci_u32_e64 v7, null, s53, v7, s25
	s_waitcnt lgkmcnt(0)
	global_store_dwordx2 v[6:7], v[4:5], off
	s_or_b32 exec_lo, exec_lo, s26
	s_and_saveexec_b32 s25, s24
	s_cbranch_execz .LBB1561_245
.LBB1561_313:                           ;   in Loop: Header=BB1561_108 Depth=2
	v_lshlrev_b32_e32 v4, 2, v118
	v_mov_b32_e32 v7, v3
	ds_read_b32 v6, v4
	v_add_nc_u32_e32 v4, v0, v77
	ds_read_b64 v[4:5], v4 offset:29184
	s_waitcnt lgkmcnt(1)
	v_add_nc_u32_e32 v6, v6, v61
	v_lshlrev_b64 v[6:7], 3, v[6:7]
	v_add_co_u32 v6, s24, s52, v6
	v_add_co_ci_u32_e64 v7, null, s53, v7, s24
	s_waitcnt lgkmcnt(0)
	global_store_dwordx2 v[6:7], v[4:5], off
	s_or_b32 exec_lo, exec_lo, s25
	s_and_saveexec_b32 s24, s23
	s_cbranch_execz .LBB1561_246
.LBB1561_314:                           ;   in Loop: Header=BB1561_108 Depth=2
	v_lshlrev_b32_e32 v4, 2, v117
	v_mov_b32_e32 v7, v3
	ds_read_b32 v6, v4
	v_add_nc_u32_e32 v4, v0, v77
	ds_read_b64 v[4:5], v4 offset:31232
	s_waitcnt lgkmcnt(1)
	v_add_nc_u32_e32 v6, v6, v62
	v_lshlrev_b64 v[6:7], 3, v[6:7]
	v_add_co_u32 v6, s23, s52, v6
	v_add_co_ci_u32_e64 v7, null, s53, v7, s23
	s_waitcnt lgkmcnt(0)
	global_store_dwordx2 v[6:7], v[4:5], off
	s_or_b32 exec_lo, exec_lo, s24
	s_and_saveexec_b32 s23, vcc_lo
	s_cbranch_execnz .LBB1561_247
	s_branch .LBB1561_248
.LBB1561_315:                           ;   in Loop: Header=BB1561_108 Depth=2
	global_load_ubyte v4, v[43:44], off
	v_mov_b32_e32 v5, v3
	v_mov_b32_e32 v6, v3
	;; [unrolled: 1-line block ×4, first 2 shown]
	s_or_b32 exec_lo, exec_lo, s23
	s_mov_b32 s23, exec_lo
	v_cmpx_gt_u32_e64 s63, v99
	s_cbranch_execz .LBB1561_113
.LBB1561_316:                           ;   in Loop: Header=BB1561_108 Depth=2
	global_load_ubyte v135, v[43:44], off offset:32
	v_and_b32_e32 v8, 0xff, v8
	s_waitcnt vmcnt(0)
	v_perm_b32 v4, v4, v135, 0x7060004
	s_or_b32 exec_lo, exec_lo, s23
	s_mov_b32 s23, exec_lo
	v_cmpx_gt_u32_e64 s63, v100
	s_cbranch_execz .LBB1561_114
.LBB1561_317:                           ;   in Loop: Header=BB1561_108 Depth=2
	global_load_ubyte v135, v[43:44], off offset:64
	v_and_b32_e32 v8, 0xff, v8
	s_waitcnt vmcnt(0)
	v_perm_b32 v4, v4, v135, 0x7000504
	s_or_b32 exec_lo, exec_lo, s23
	s_mov_b32 s23, exec_lo
	v_cmpx_gt_u32_e64 s63, v101
	s_cbranch_execz .LBB1561_115
.LBB1561_318:                           ;   in Loop: Header=BB1561_108 Depth=2
	global_load_ubyte v135, v[43:44], off offset:96
	v_and_b32_e32 v8, 0xff, v8
	s_waitcnt vmcnt(0)
	v_perm_b32 v4, v4, v135, 0x60504
	s_or_b32 exec_lo, exec_lo, s23
	s_mov_b32 s23, exec_lo
	v_cmpx_gt_u32_e64 s63, v102
	s_cbranch_execz .LBB1561_116
.LBB1561_319:                           ;   in Loop: Header=BB1561_108 Depth=2
	global_load_ubyte v135, v[43:44], off offset:128
	v_and_b32_e32 v8, 0xff, v8
	s_waitcnt vmcnt(0)
	v_perm_b32 v5, v135, v5, 0x3020104
	s_or_b32 exec_lo, exec_lo, s23
	s_mov_b32 s23, exec_lo
	v_cmpx_gt_u32_e64 s63, v103
	s_cbranch_execz .LBB1561_117
.LBB1561_320:                           ;   in Loop: Header=BB1561_108 Depth=2
	global_load_ubyte v135, v[43:44], off offset:160
	v_and_b32_e32 v8, 0xff, v8
	s_waitcnt vmcnt(0)
	v_perm_b32 v5, v5, v135, 0x7060004
	s_or_b32 exec_lo, exec_lo, s23
	s_mov_b32 s23, exec_lo
	v_cmpx_gt_u32_e64 s63, v104
	s_cbranch_execz .LBB1561_118
.LBB1561_321:                           ;   in Loop: Header=BB1561_108 Depth=2
	global_load_ubyte v135, v[43:44], off offset:192
	v_and_b32_e32 v8, 0xff, v8
	s_waitcnt vmcnt(0)
	v_perm_b32 v5, v5, v135, 0x7000504
	s_or_b32 exec_lo, exec_lo, s23
	s_mov_b32 s23, exec_lo
	v_cmpx_gt_u32_e64 s63, v105
	s_cbranch_execz .LBB1561_119
.LBB1561_322:                           ;   in Loop: Header=BB1561_108 Depth=2
	global_load_ubyte v135, v[43:44], off offset:224
	v_and_b32_e32 v8, 0xff, v8
	s_waitcnt vmcnt(0)
	v_perm_b32 v5, v5, v135, 0x60504
	s_or_b32 exec_lo, exec_lo, s23
	s_mov_b32 s23, exec_lo
	v_cmpx_gt_u32_e64 s63, v106
	s_cbranch_execz .LBB1561_120
.LBB1561_323:                           ;   in Loop: Header=BB1561_108 Depth=2
	global_load_ubyte v135, v[43:44], off offset:256
	v_and_b32_e32 v8, 0xff, v8
	s_waitcnt vmcnt(0)
	v_perm_b32 v6, v135, v6, 0x3020104
	s_or_b32 exec_lo, exec_lo, s23
	s_mov_b32 s23, exec_lo
	v_cmpx_gt_u32_e64 s63, v107
	s_cbranch_execz .LBB1561_121
.LBB1561_324:                           ;   in Loop: Header=BB1561_108 Depth=2
	global_load_ubyte v135, v[43:44], off offset:288
	v_and_b32_e32 v8, 0xff, v8
	s_waitcnt vmcnt(0)
	v_perm_b32 v6, v6, v135, 0x7060004
	s_or_b32 exec_lo, exec_lo, s23
	s_mov_b32 s23, exec_lo
	v_cmpx_gt_u32_e64 s63, v108
	s_cbranch_execz .LBB1561_122
.LBB1561_325:                           ;   in Loop: Header=BB1561_108 Depth=2
	global_load_ubyte v135, v[43:44], off offset:320
	v_and_b32_e32 v8, 0xff, v8
	s_waitcnt vmcnt(0)
	v_perm_b32 v6, v6, v135, 0x7000504
	s_or_b32 exec_lo, exec_lo, s23
	s_mov_b32 s23, exec_lo
	v_cmpx_gt_u32_e64 s63, v109
	s_cbranch_execz .LBB1561_123
.LBB1561_326:                           ;   in Loop: Header=BB1561_108 Depth=2
	global_load_ubyte v135, v[43:44], off offset:352
	v_and_b32_e32 v8, 0xff, v8
	s_waitcnt vmcnt(0)
	v_perm_b32 v6, v6, v135, 0x60504
	s_or_b32 exec_lo, exec_lo, s23
	s_mov_b32 s23, exec_lo
	v_cmpx_gt_u32_e64 s63, v110
	s_cbranch_execz .LBB1561_124
.LBB1561_327:                           ;   in Loop: Header=BB1561_108 Depth=2
	global_load_ubyte v135, v[43:44], off offset:384
	v_and_b32_e32 v8, 0xff, v8
	s_waitcnt vmcnt(0)
	v_perm_b32 v7, v135, v7, 0x3020104
	s_or_b32 exec_lo, exec_lo, s23
	s_mov_b32 s23, exec_lo
	v_cmpx_gt_u32_e64 s63, v111
	s_cbranch_execz .LBB1561_125
.LBB1561_328:                           ;   in Loop: Header=BB1561_108 Depth=2
	global_load_ubyte v135, v[43:44], off offset:416
	v_and_b32_e32 v8, 0xff, v8
	s_waitcnt vmcnt(0)
	v_perm_b32 v7, v7, v135, 0x7060004
	s_or_b32 exec_lo, exec_lo, s23
	s_mov_b32 s23, exec_lo
	v_cmpx_gt_u32_e64 s63, v112
	s_cbranch_execz .LBB1561_126
.LBB1561_329:                           ;   in Loop: Header=BB1561_108 Depth=2
	global_load_ubyte v135, v[43:44], off offset:448
	v_and_b32_e32 v8, 0xff, v8
	s_waitcnt vmcnt(0)
	v_perm_b32 v7, v7, v135, 0x7000504
	s_or_b32 exec_lo, exec_lo, s23
	s_mov_b32 s23, exec_lo
	v_cmpx_gt_u32_e64 s63, v113
	s_cbranch_execnz .LBB1561_127
	s_branch .LBB1561_128
.LBB1561_330:                           ;   in Loop: Header=BB1561_20 Depth=1
	s_waitcnt lgkmcnt(0)
	s_mov_b32 s5, 0
	s_barrier
.LBB1561_331:                           ;   in Loop: Header=BB1561_20 Depth=1
	s_and_b32 vcc_lo, exec_lo, s5
	s_cbranch_vccz .LBB1561_641
; %bb.332:                              ;   in Loop: Header=BB1561_20 Depth=1
	v_mov_b32_e32 v17, 0
	v_mov_b32_e32 v20, 0
	;; [unrolled: 1-line block ×17, first 2 shown]
	s_mov_b32 s5, s60
	s_mov_b32 s17, s58
	s_barrier
	buffer_gl0_inv
	s_branch .LBB1561_334
.LBB1561_333:                           ;   in Loop: Header=BB1561_334 Depth=2
	s_or_b32 exec_lo, exec_lo, s16
	s_addk_i32 s5, 0xef00
	s_cmp_ge_u32 s15, s59
	s_mov_b32 s17, s15
	s_cbranch_scc1 .LBB1561_406
.LBB1561_334:                           ;   Parent Loop BB1561_20 Depth=1
                                        ; =>  This Inner Loop Header: Depth=2
	s_add_i32 s15, s17, 0x1100
	s_mov_b32 s16, -1
	s_cmp_gt_u32 s15, s59
                                        ; implicit-def: $vgpr21
                                        ; implicit-def: $vgpr22
                                        ; implicit-def: $vgpr23
                                        ; implicit-def: $vgpr24
                                        ; implicit-def: $vgpr25
                                        ; implicit-def: $vgpr26
                                        ; implicit-def: $vgpr27
                                        ; implicit-def: $vgpr28
                                        ; implicit-def: $vgpr29
                                        ; implicit-def: $vgpr30
                                        ; implicit-def: $vgpr31
                                        ; implicit-def: $vgpr32
                                        ; implicit-def: $vgpr33
                                        ; implicit-def: $vgpr34
                                        ; implicit-def: $vgpr35
                                        ; implicit-def: $vgpr36
                                        ; implicit-def: $vgpr37
	s_cbranch_scc1 .LBB1561_336
; %bb.335:                              ;   in Loop: Header=BB1561_334 Depth=2
	v_add_co_u32 v38, vcc_lo, v78, s17
	v_add_co_ci_u32_e64 v39, null, 0, v79, vcc_lo
	s_mov_b32 s16, 0
	v_add_co_u32 v21, vcc_lo, 0x800, v38
	v_add_co_ci_u32_e64 v22, null, 0, v39, vcc_lo
	v_add_co_u32 v23, vcc_lo, 0x1000, v38
	v_add_co_ci_u32_e64 v24, null, 0, v39, vcc_lo
	s_clause 0x10
	global_load_ubyte v36, v[21:22], off offset:1792
	global_load_ubyte v37, v[23:24], off
	global_load_ubyte v35, v[21:22], off offset:1536
	global_load_ubyte v34, v[21:22], off offset:1280
	global_load_ubyte v33, v[21:22], off offset:1024
	global_load_ubyte v32, v[21:22], off offset:768
	global_load_ubyte v31, v[21:22], off offset:512
	global_load_ubyte v30, v[21:22], off offset:256
	global_load_ubyte v29, v[21:22], off
	global_load_ubyte v28, v[38:39], off offset:1792
	global_load_ubyte v27, v[38:39], off offset:1536
	;; [unrolled: 1-line block ×7, first 2 shown]
	global_load_ubyte v21, v[38:39], off
.LBB1561_336:                           ;   in Loop: Header=BB1561_334 Depth=2
	s_andn2_b32 vcc_lo, exec_lo, s16
	s_movk_i32 s16, 0x1100
	s_cbranch_vccnz .LBB1561_356
; %bb.337:                              ;   in Loop: Header=BB1561_334 Depth=2
	s_add_u32 s16, s46, s17
	s_addc_u32 s17, s47, 0
	s_mov_b32 s18, exec_lo
	v_cmpx_gt_u32_e64 s5, v0
	s_cbranch_execnz .LBB1561_390
; %bb.338:                              ;   in Loop: Header=BB1561_334 Depth=2
	s_or_b32 exec_lo, exec_lo, s18
	s_mov_b32 s18, exec_lo
	v_cmpx_gt_u32_e64 s5, v46
	s_cbranch_execnz .LBB1561_391
.LBB1561_339:                           ;   in Loop: Header=BB1561_334 Depth=2
	s_or_b32 exec_lo, exec_lo, s18
	s_mov_b32 s18, exec_lo
	v_cmpx_gt_u32_e64 s5, v49
	s_cbranch_execnz .LBB1561_392
.LBB1561_340:                           ;   in Loop: Header=BB1561_334 Depth=2
	s_or_b32 exec_lo, exec_lo, s18
	s_mov_b32 s18, exec_lo
	v_cmpx_gt_u32_e64 s5, v50
	s_cbranch_execnz .LBB1561_393
.LBB1561_341:                           ;   in Loop: Header=BB1561_334 Depth=2
	s_or_b32 exec_lo, exec_lo, s18
	s_mov_b32 s18, exec_lo
	v_cmpx_gt_u32_e64 s5, v51
	s_cbranch_execnz .LBB1561_394
.LBB1561_342:                           ;   in Loop: Header=BB1561_334 Depth=2
	s_or_b32 exec_lo, exec_lo, s18
	s_mov_b32 s18, exec_lo
	v_cmpx_gt_u32_e64 s5, v52
	s_cbranch_execnz .LBB1561_395
.LBB1561_343:                           ;   in Loop: Header=BB1561_334 Depth=2
	s_or_b32 exec_lo, exec_lo, s18
	s_mov_b32 s18, exec_lo
	v_cmpx_gt_u32_e64 s5, v53
	s_cbranch_execnz .LBB1561_396
.LBB1561_344:                           ;   in Loop: Header=BB1561_334 Depth=2
	s_or_b32 exec_lo, exec_lo, s18
	s_mov_b32 s18, exec_lo
	v_cmpx_gt_u32_e64 s5, v54
	s_cbranch_execnz .LBB1561_397
.LBB1561_345:                           ;   in Loop: Header=BB1561_334 Depth=2
	s_or_b32 exec_lo, exec_lo, s18
	s_mov_b32 s18, exec_lo
	v_cmpx_gt_u32_e64 s5, v55
	s_cbranch_execnz .LBB1561_398
.LBB1561_346:                           ;   in Loop: Header=BB1561_334 Depth=2
	s_or_b32 exec_lo, exec_lo, s18
	s_mov_b32 s18, exec_lo
	v_cmpx_gt_u32_e64 s5, v56
	s_cbranch_execnz .LBB1561_399
.LBB1561_347:                           ;   in Loop: Header=BB1561_334 Depth=2
	s_or_b32 exec_lo, exec_lo, s18
	s_mov_b32 s18, exec_lo
	v_cmpx_gt_u32_e64 s5, v57
	s_cbranch_execnz .LBB1561_400
.LBB1561_348:                           ;   in Loop: Header=BB1561_334 Depth=2
	s_or_b32 exec_lo, exec_lo, s18
	s_mov_b32 s18, exec_lo
	v_cmpx_gt_u32_e64 s5, v58
	s_cbranch_execnz .LBB1561_401
.LBB1561_349:                           ;   in Loop: Header=BB1561_334 Depth=2
	s_or_b32 exec_lo, exec_lo, s18
	s_mov_b32 s18, exec_lo
	v_cmpx_gt_u32_e64 s5, v59
	s_cbranch_execnz .LBB1561_402
.LBB1561_350:                           ;   in Loop: Header=BB1561_334 Depth=2
	s_or_b32 exec_lo, exec_lo, s18
	s_mov_b32 s18, exec_lo
	v_cmpx_gt_u32_e64 s5, v60
	s_cbranch_execnz .LBB1561_403
.LBB1561_351:                           ;   in Loop: Header=BB1561_334 Depth=2
	s_or_b32 exec_lo, exec_lo, s18
	s_mov_b32 s18, exec_lo
	v_cmpx_gt_u32_e64 s5, v61
	s_cbranch_execnz .LBB1561_404
.LBB1561_352:                           ;   in Loop: Header=BB1561_334 Depth=2
	s_or_b32 exec_lo, exec_lo, s18
	s_mov_b32 s18, exec_lo
	v_cmpx_gt_u32_e64 s5, v62
	s_cbranch_execnz .LBB1561_405
.LBB1561_353:                           ;   in Loop: Header=BB1561_334 Depth=2
	s_or_b32 exec_lo, exec_lo, s18
	s_mov_b32 s18, exec_lo
	v_cmpx_gt_u32_e64 s5, v63
	s_cbranch_execz .LBB1561_355
.LBB1561_354:                           ;   in Loop: Header=BB1561_334 Depth=2
	s_waitcnt vmcnt(0)
	v_add_co_u32 v21, s16, s16, v63
	v_add_co_ci_u32_e64 v22, null, s17, 0, s16
	global_load_ubyte v4, v[21:22], off
.LBB1561_355:                           ;   in Loop: Header=BB1561_334 Depth=2
	s_or_b32 exec_lo, exec_lo, s18
	s_waitcnt vmcnt(0)
	v_mov_b32_e32 v21, v17
	v_mov_b32_e32 v22, v20
	;; [unrolled: 1-line block ×17, first 2 shown]
	s_mov_b32 s16, s5
.LBB1561_356:                           ;   in Loop: Header=BB1561_334 Depth=2
	s_waitcnt vmcnt(15)
	v_mov_b32_e32 v4, v37
	v_mov_b32_e32 v5, v36
	s_waitcnt vmcnt(14)
	v_mov_b32_e32 v6, v35
	s_waitcnt vmcnt(13)
	;; [unrolled: 2-line block ×15, first 2 shown]
	v_mov_b32_e32 v17, v21
	s_mov_b32 s17, exec_lo
	v_cmpx_gt_u32_e64 s16, v0
	s_cbranch_execnz .LBB1561_373
; %bb.357:                              ;   in Loop: Header=BB1561_334 Depth=2
	s_or_b32 exec_lo, exec_lo, s17
	s_mov_b32 s17, exec_lo
	v_cmpx_gt_u32_e64 s16, v46
	s_cbranch_execnz .LBB1561_374
.LBB1561_358:                           ;   in Loop: Header=BB1561_334 Depth=2
	s_or_b32 exec_lo, exec_lo, s17
	s_mov_b32 s17, exec_lo
	v_cmpx_gt_u32_e64 s16, v49
	s_cbranch_execnz .LBB1561_375
.LBB1561_359:                           ;   in Loop: Header=BB1561_334 Depth=2
	s_or_b32 exec_lo, exec_lo, s17
	s_mov_b32 s17, exec_lo
	v_cmpx_gt_u32_e64 s16, v50
	s_cbranch_execnz .LBB1561_376
.LBB1561_360:                           ;   in Loop: Header=BB1561_334 Depth=2
	s_or_b32 exec_lo, exec_lo, s17
	s_mov_b32 s17, exec_lo
	v_cmpx_gt_u32_e64 s16, v51
	s_cbranch_execnz .LBB1561_377
.LBB1561_361:                           ;   in Loop: Header=BB1561_334 Depth=2
	s_or_b32 exec_lo, exec_lo, s17
	s_mov_b32 s17, exec_lo
	v_cmpx_gt_u32_e64 s16, v52
	s_cbranch_execnz .LBB1561_378
.LBB1561_362:                           ;   in Loop: Header=BB1561_334 Depth=2
	s_or_b32 exec_lo, exec_lo, s17
	s_mov_b32 s17, exec_lo
	v_cmpx_gt_u32_e64 s16, v53
	s_cbranch_execnz .LBB1561_379
.LBB1561_363:                           ;   in Loop: Header=BB1561_334 Depth=2
	s_or_b32 exec_lo, exec_lo, s17
	s_mov_b32 s17, exec_lo
	v_cmpx_gt_u32_e64 s16, v54
	s_cbranch_execnz .LBB1561_380
.LBB1561_364:                           ;   in Loop: Header=BB1561_334 Depth=2
	s_or_b32 exec_lo, exec_lo, s17
	s_mov_b32 s17, exec_lo
	v_cmpx_gt_u32_e64 s16, v55
	s_cbranch_execnz .LBB1561_381
.LBB1561_365:                           ;   in Loop: Header=BB1561_334 Depth=2
	s_or_b32 exec_lo, exec_lo, s17
	s_mov_b32 s17, exec_lo
	v_cmpx_gt_u32_e64 s16, v56
	s_cbranch_execnz .LBB1561_382
.LBB1561_366:                           ;   in Loop: Header=BB1561_334 Depth=2
	s_or_b32 exec_lo, exec_lo, s17
	s_mov_b32 s17, exec_lo
	v_cmpx_gt_u32_e64 s16, v57
	s_cbranch_execnz .LBB1561_383
.LBB1561_367:                           ;   in Loop: Header=BB1561_334 Depth=2
	s_or_b32 exec_lo, exec_lo, s17
	s_mov_b32 s17, exec_lo
	v_cmpx_gt_u32_e64 s16, v58
	s_cbranch_execnz .LBB1561_384
.LBB1561_368:                           ;   in Loop: Header=BB1561_334 Depth=2
	s_or_b32 exec_lo, exec_lo, s17
	s_mov_b32 s17, exec_lo
	v_cmpx_gt_u32_e64 s16, v59
	s_cbranch_execnz .LBB1561_385
.LBB1561_369:                           ;   in Loop: Header=BB1561_334 Depth=2
	s_or_b32 exec_lo, exec_lo, s17
	s_mov_b32 s17, exec_lo
	v_cmpx_gt_u32_e64 s16, v60
	s_cbranch_execnz .LBB1561_386
.LBB1561_370:                           ;   in Loop: Header=BB1561_334 Depth=2
	s_or_b32 exec_lo, exec_lo, s17
	s_mov_b32 s17, exec_lo
	v_cmpx_gt_u32_e64 s16, v61
	s_cbranch_execnz .LBB1561_387
.LBB1561_371:                           ;   in Loop: Header=BB1561_334 Depth=2
	s_or_b32 exec_lo, exec_lo, s17
	s_mov_b32 s17, exec_lo
	v_cmpx_gt_u32_e64 s16, v62
	s_cbranch_execnz .LBB1561_388
.LBB1561_372:                           ;   in Loop: Header=BB1561_334 Depth=2
	s_or_b32 exec_lo, exec_lo, s17
	v_cmp_gt_u32_e32 vcc_lo, s16, v63
	s_and_saveexec_b32 s16, vcc_lo
	s_cbranch_execz .LBB1561_333
	s_branch .LBB1561_389
.LBB1561_373:                           ;   in Loop: Header=BB1561_334 Depth=2
	v_xor_b32_e32 v21, -1, v17
	v_and_b32_e32 v21, 1, v21
	v_lshrrev_b32_sdwa v21, s61, v21 dst_sel:DWORD dst_unused:UNUSED_PAD src0_sel:DWORD src1_sel:WORD_0
	v_and_b32_e32 v21, s62, v21
	v_lshl_or_b32 v21, v21, 4, v65
	ds_add_u32 v21, v91
	s_or_b32 exec_lo, exec_lo, s17
	s_mov_b32 s17, exec_lo
	v_cmpx_gt_u32_e64 s16, v46
	s_cbranch_execz .LBB1561_358
.LBB1561_374:                           ;   in Loop: Header=BB1561_334 Depth=2
	v_xor_b32_e32 v21, -1, v20
	v_and_b32_e32 v21, 1, v21
	v_lshrrev_b32_sdwa v21, s61, v21 dst_sel:DWORD dst_unused:UNUSED_PAD src0_sel:DWORD src1_sel:WORD_0
	v_and_b32_e32 v21, s62, v21
	v_lshl_or_b32 v21, v21, 4, v65
	ds_add_u32 v21, v91
	s_or_b32 exec_lo, exec_lo, s17
	s_mov_b32 s17, exec_lo
	v_cmpx_gt_u32_e64 s16, v49
	s_cbranch_execz .LBB1561_359
.LBB1561_375:                           ;   in Loop: Header=BB1561_334 Depth=2
	v_xor_b32_e32 v21, -1, v19
	v_and_b32_e32 v21, 1, v21
	v_lshrrev_b32_sdwa v21, s61, v21 dst_sel:DWORD dst_unused:UNUSED_PAD src0_sel:DWORD src1_sel:WORD_0
	v_and_b32_e32 v21, s62, v21
	v_lshl_or_b32 v21, v21, 4, v65
	ds_add_u32 v21, v91
	s_or_b32 exec_lo, exec_lo, s17
	s_mov_b32 s17, exec_lo
	v_cmpx_gt_u32_e64 s16, v50
	s_cbranch_execz .LBB1561_360
.LBB1561_376:                           ;   in Loop: Header=BB1561_334 Depth=2
	v_xor_b32_e32 v21, -1, v18
	v_and_b32_e32 v21, 1, v21
	v_lshrrev_b32_sdwa v21, s61, v21 dst_sel:DWORD dst_unused:UNUSED_PAD src0_sel:DWORD src1_sel:WORD_0
	v_and_b32_e32 v21, s62, v21
	v_lshl_or_b32 v21, v21, 4, v65
	ds_add_u32 v21, v91
	s_or_b32 exec_lo, exec_lo, s17
	s_mov_b32 s17, exec_lo
	v_cmpx_gt_u32_e64 s16, v51
	s_cbranch_execz .LBB1561_361
.LBB1561_377:                           ;   in Loop: Header=BB1561_334 Depth=2
	v_xor_b32_e32 v21, -1, v16
	v_and_b32_e32 v21, 1, v21
	v_lshrrev_b32_sdwa v21, s61, v21 dst_sel:DWORD dst_unused:UNUSED_PAD src0_sel:DWORD src1_sel:WORD_0
	v_and_b32_e32 v21, s62, v21
	v_lshl_or_b32 v21, v21, 4, v65
	ds_add_u32 v21, v91
	s_or_b32 exec_lo, exec_lo, s17
	s_mov_b32 s17, exec_lo
	v_cmpx_gt_u32_e64 s16, v52
	s_cbranch_execz .LBB1561_362
.LBB1561_378:                           ;   in Loop: Header=BB1561_334 Depth=2
	v_xor_b32_e32 v21, -1, v15
	v_and_b32_e32 v21, 1, v21
	v_lshrrev_b32_sdwa v21, s61, v21 dst_sel:DWORD dst_unused:UNUSED_PAD src0_sel:DWORD src1_sel:WORD_0
	v_and_b32_e32 v21, s62, v21
	v_lshl_or_b32 v21, v21, 4, v65
	ds_add_u32 v21, v91
	s_or_b32 exec_lo, exec_lo, s17
	s_mov_b32 s17, exec_lo
	v_cmpx_gt_u32_e64 s16, v53
	s_cbranch_execz .LBB1561_363
.LBB1561_379:                           ;   in Loop: Header=BB1561_334 Depth=2
	v_xor_b32_e32 v21, -1, v14
	v_and_b32_e32 v21, 1, v21
	v_lshrrev_b32_sdwa v21, s61, v21 dst_sel:DWORD dst_unused:UNUSED_PAD src0_sel:DWORD src1_sel:WORD_0
	v_and_b32_e32 v21, s62, v21
	v_lshl_or_b32 v21, v21, 4, v65
	ds_add_u32 v21, v91
	s_or_b32 exec_lo, exec_lo, s17
	s_mov_b32 s17, exec_lo
	v_cmpx_gt_u32_e64 s16, v54
	s_cbranch_execz .LBB1561_364
.LBB1561_380:                           ;   in Loop: Header=BB1561_334 Depth=2
	v_xor_b32_e32 v21, -1, v13
	v_and_b32_e32 v21, 1, v21
	v_lshrrev_b32_sdwa v21, s61, v21 dst_sel:DWORD dst_unused:UNUSED_PAD src0_sel:DWORD src1_sel:WORD_0
	v_and_b32_e32 v21, s62, v21
	v_lshl_or_b32 v21, v21, 4, v65
	ds_add_u32 v21, v91
	s_or_b32 exec_lo, exec_lo, s17
	s_mov_b32 s17, exec_lo
	v_cmpx_gt_u32_e64 s16, v55
	s_cbranch_execz .LBB1561_365
.LBB1561_381:                           ;   in Loop: Header=BB1561_334 Depth=2
	v_xor_b32_e32 v21, -1, v12
	v_and_b32_e32 v21, 1, v21
	v_lshrrev_b32_sdwa v21, s61, v21 dst_sel:DWORD dst_unused:UNUSED_PAD src0_sel:DWORD src1_sel:WORD_0
	v_and_b32_e32 v21, s62, v21
	v_lshl_or_b32 v21, v21, 4, v65
	ds_add_u32 v21, v91
	s_or_b32 exec_lo, exec_lo, s17
	s_mov_b32 s17, exec_lo
	v_cmpx_gt_u32_e64 s16, v56
	s_cbranch_execz .LBB1561_366
.LBB1561_382:                           ;   in Loop: Header=BB1561_334 Depth=2
	v_xor_b32_e32 v21, -1, v11
	v_and_b32_e32 v21, 1, v21
	v_lshrrev_b32_sdwa v21, s61, v21 dst_sel:DWORD dst_unused:UNUSED_PAD src0_sel:DWORD src1_sel:WORD_0
	v_and_b32_e32 v21, s62, v21
	v_lshl_or_b32 v21, v21, 4, v65
	ds_add_u32 v21, v91
	s_or_b32 exec_lo, exec_lo, s17
	s_mov_b32 s17, exec_lo
	v_cmpx_gt_u32_e64 s16, v57
	s_cbranch_execz .LBB1561_367
.LBB1561_383:                           ;   in Loop: Header=BB1561_334 Depth=2
	v_xor_b32_e32 v21, -1, v10
	v_and_b32_e32 v21, 1, v21
	v_lshrrev_b32_sdwa v21, s61, v21 dst_sel:DWORD dst_unused:UNUSED_PAD src0_sel:DWORD src1_sel:WORD_0
	v_and_b32_e32 v21, s62, v21
	v_lshl_or_b32 v21, v21, 4, v65
	ds_add_u32 v21, v91
	s_or_b32 exec_lo, exec_lo, s17
	s_mov_b32 s17, exec_lo
	v_cmpx_gt_u32_e64 s16, v58
	s_cbranch_execz .LBB1561_368
.LBB1561_384:                           ;   in Loop: Header=BB1561_334 Depth=2
	v_xor_b32_e32 v21, -1, v9
	v_and_b32_e32 v21, 1, v21
	v_lshrrev_b32_sdwa v21, s61, v21 dst_sel:DWORD dst_unused:UNUSED_PAD src0_sel:DWORD src1_sel:WORD_0
	v_and_b32_e32 v21, s62, v21
	v_lshl_or_b32 v21, v21, 4, v65
	ds_add_u32 v21, v91
	s_or_b32 exec_lo, exec_lo, s17
	s_mov_b32 s17, exec_lo
	v_cmpx_gt_u32_e64 s16, v59
	s_cbranch_execz .LBB1561_369
.LBB1561_385:                           ;   in Loop: Header=BB1561_334 Depth=2
	v_xor_b32_e32 v21, -1, v8
	v_and_b32_e32 v21, 1, v21
	v_lshrrev_b32_sdwa v21, s61, v21 dst_sel:DWORD dst_unused:UNUSED_PAD src0_sel:DWORD src1_sel:WORD_0
	v_and_b32_e32 v21, s62, v21
	v_lshl_or_b32 v21, v21, 4, v65
	ds_add_u32 v21, v91
	s_or_b32 exec_lo, exec_lo, s17
	s_mov_b32 s17, exec_lo
	v_cmpx_gt_u32_e64 s16, v60
	s_cbranch_execz .LBB1561_370
.LBB1561_386:                           ;   in Loop: Header=BB1561_334 Depth=2
	v_xor_b32_e32 v21, -1, v7
	v_and_b32_e32 v21, 1, v21
	v_lshrrev_b32_sdwa v21, s61, v21 dst_sel:DWORD dst_unused:UNUSED_PAD src0_sel:DWORD src1_sel:WORD_0
	v_and_b32_e32 v21, s62, v21
	v_lshl_or_b32 v21, v21, 4, v65
	ds_add_u32 v21, v91
	s_or_b32 exec_lo, exec_lo, s17
	s_mov_b32 s17, exec_lo
	v_cmpx_gt_u32_e64 s16, v61
	s_cbranch_execz .LBB1561_371
.LBB1561_387:                           ;   in Loop: Header=BB1561_334 Depth=2
	v_xor_b32_e32 v21, -1, v6
	v_and_b32_e32 v21, 1, v21
	v_lshrrev_b32_sdwa v21, s61, v21 dst_sel:DWORD dst_unused:UNUSED_PAD src0_sel:DWORD src1_sel:WORD_0
	v_and_b32_e32 v21, s62, v21
	v_lshl_or_b32 v21, v21, 4, v65
	ds_add_u32 v21, v91
	s_or_b32 exec_lo, exec_lo, s17
	s_mov_b32 s17, exec_lo
	v_cmpx_gt_u32_e64 s16, v62
	s_cbranch_execz .LBB1561_372
.LBB1561_388:                           ;   in Loop: Header=BB1561_334 Depth=2
	v_xor_b32_e32 v21, -1, v5
	v_and_b32_e32 v21, 1, v21
	v_lshrrev_b32_sdwa v21, s61, v21 dst_sel:DWORD dst_unused:UNUSED_PAD src0_sel:DWORD src1_sel:WORD_0
	v_and_b32_e32 v21, s62, v21
	v_lshl_or_b32 v21, v21, 4, v65
	ds_add_u32 v21, v91
	s_or_b32 exec_lo, exec_lo, s17
	v_cmp_gt_u32_e32 vcc_lo, s16, v63
	s_and_saveexec_b32 s16, vcc_lo
	s_cbranch_execz .LBB1561_333
.LBB1561_389:                           ;   in Loop: Header=BB1561_334 Depth=2
	v_xor_b32_e32 v21, -1, v4
	v_and_b32_e32 v21, 1, v21
	v_lshrrev_b32_sdwa v21, s61, v21 dst_sel:DWORD dst_unused:UNUSED_PAD src0_sel:DWORD src1_sel:WORD_0
	v_and_b32_e32 v21, s62, v21
	v_lshl_or_b32 v21, v21, 4, v65
	ds_add_u32 v21, v91
	s_branch .LBB1561_333
.LBB1561_390:                           ;   in Loop: Header=BB1561_334 Depth=2
	s_waitcnt vmcnt(0)
	v_add_co_u32 v21, s19, s16, v0
	v_add_co_ci_u32_e64 v22, null, s17, 0, s19
	global_load_ubyte v17, v[21:22], off
	s_or_b32 exec_lo, exec_lo, s18
	s_mov_b32 s18, exec_lo
	v_cmpx_gt_u32_e64 s5, v46
	s_cbranch_execz .LBB1561_339
.LBB1561_391:                           ;   in Loop: Header=BB1561_334 Depth=2
	v_add_co_u32 v20, s19, s16, v0
	s_waitcnt vmcnt(0)
	v_add_co_ci_u32_e64 v21, null, s17, 0, s19
	global_load_ubyte v20, v[20:21], off offset:256
	s_or_b32 exec_lo, exec_lo, s18
	s_mov_b32 s18, exec_lo
	v_cmpx_gt_u32_e64 s5, v49
	s_cbranch_execz .LBB1561_340
.LBB1561_392:                           ;   in Loop: Header=BB1561_334 Depth=2
	s_waitcnt vmcnt(0)
	v_add_co_u32 v21, s19, s16, v0
	v_add_co_ci_u32_e64 v22, null, s17, 0, s19
	global_load_ubyte v19, v[21:22], off offset:512
	s_or_b32 exec_lo, exec_lo, s18
	s_mov_b32 s18, exec_lo
	v_cmpx_gt_u32_e64 s5, v50
	s_cbranch_execz .LBB1561_341
.LBB1561_393:                           ;   in Loop: Header=BB1561_334 Depth=2
	s_waitcnt vmcnt(0)
	v_add_co_u32 v21, s19, s16, v0
	v_add_co_ci_u32_e64 v22, null, s17, 0, s19
	global_load_ubyte v18, v[21:22], off offset:768
	s_or_b32 exec_lo, exec_lo, s18
	s_mov_b32 s18, exec_lo
	v_cmpx_gt_u32_e64 s5, v51
	s_cbranch_execz .LBB1561_342
.LBB1561_394:                           ;   in Loop: Header=BB1561_334 Depth=2
	s_waitcnt vmcnt(0)
	v_add_co_u32 v21, s19, s16, v0
	v_add_co_ci_u32_e64 v22, null, s17, 0, s19
	global_load_ubyte v16, v[21:22], off offset:1024
	s_or_b32 exec_lo, exec_lo, s18
	s_mov_b32 s18, exec_lo
	v_cmpx_gt_u32_e64 s5, v52
	s_cbranch_execz .LBB1561_343
.LBB1561_395:                           ;   in Loop: Header=BB1561_334 Depth=2
	s_waitcnt vmcnt(0)
	v_add_co_u32 v21, s19, s16, v0
	v_add_co_ci_u32_e64 v22, null, s17, 0, s19
	global_load_ubyte v15, v[21:22], off offset:1280
	s_or_b32 exec_lo, exec_lo, s18
	s_mov_b32 s18, exec_lo
	v_cmpx_gt_u32_e64 s5, v53
	s_cbranch_execz .LBB1561_344
.LBB1561_396:                           ;   in Loop: Header=BB1561_334 Depth=2
	s_waitcnt vmcnt(0)
	v_add_co_u32 v21, s19, s16, v0
	v_add_co_ci_u32_e64 v22, null, s17, 0, s19
	global_load_ubyte v14, v[21:22], off offset:1536
	s_or_b32 exec_lo, exec_lo, s18
	s_mov_b32 s18, exec_lo
	v_cmpx_gt_u32_e64 s5, v54
	s_cbranch_execz .LBB1561_345
.LBB1561_397:                           ;   in Loop: Header=BB1561_334 Depth=2
	s_waitcnt vmcnt(0)
	v_add_co_u32 v21, s19, s16, v0
	v_add_co_ci_u32_e64 v22, null, s17, 0, s19
	global_load_ubyte v13, v[21:22], off offset:1792
	s_or_b32 exec_lo, exec_lo, s18
	s_mov_b32 s18, exec_lo
	v_cmpx_gt_u32_e64 s5, v55
	s_cbranch_execz .LBB1561_346
.LBB1561_398:                           ;   in Loop: Header=BB1561_334 Depth=2
	s_waitcnt vmcnt(0)
	v_add_co_u32 v21, s19, s16, v55
	v_add_co_ci_u32_e64 v22, null, s17, 0, s19
	global_load_ubyte v12, v[21:22], off
	s_or_b32 exec_lo, exec_lo, s18
	s_mov_b32 s18, exec_lo
	v_cmpx_gt_u32_e64 s5, v56
	s_cbranch_execz .LBB1561_347
.LBB1561_399:                           ;   in Loop: Header=BB1561_334 Depth=2
	s_waitcnt vmcnt(0)
	v_add_co_u32 v21, s19, s16, v56
	v_add_co_ci_u32_e64 v22, null, s17, 0, s19
	global_load_ubyte v11, v[21:22], off
	s_or_b32 exec_lo, exec_lo, s18
	s_mov_b32 s18, exec_lo
	v_cmpx_gt_u32_e64 s5, v57
	s_cbranch_execz .LBB1561_348
.LBB1561_400:                           ;   in Loop: Header=BB1561_334 Depth=2
	s_waitcnt vmcnt(0)
	v_add_co_u32 v21, s19, s16, v57
	v_add_co_ci_u32_e64 v22, null, s17, 0, s19
	global_load_ubyte v10, v[21:22], off
	s_or_b32 exec_lo, exec_lo, s18
	s_mov_b32 s18, exec_lo
	v_cmpx_gt_u32_e64 s5, v58
	s_cbranch_execz .LBB1561_349
.LBB1561_401:                           ;   in Loop: Header=BB1561_334 Depth=2
	s_waitcnt vmcnt(0)
	v_add_co_u32 v21, s19, s16, v58
	v_add_co_ci_u32_e64 v22, null, s17, 0, s19
	global_load_ubyte v9, v[21:22], off
	s_or_b32 exec_lo, exec_lo, s18
	s_mov_b32 s18, exec_lo
	v_cmpx_gt_u32_e64 s5, v59
	s_cbranch_execz .LBB1561_350
.LBB1561_402:                           ;   in Loop: Header=BB1561_334 Depth=2
	s_waitcnt vmcnt(0)
	v_add_co_u32 v21, s19, s16, v59
	v_add_co_ci_u32_e64 v22, null, s17, 0, s19
	global_load_ubyte v8, v[21:22], off
	s_or_b32 exec_lo, exec_lo, s18
	s_mov_b32 s18, exec_lo
	v_cmpx_gt_u32_e64 s5, v60
	s_cbranch_execz .LBB1561_351
.LBB1561_403:                           ;   in Loop: Header=BB1561_334 Depth=2
	s_waitcnt vmcnt(0)
	v_add_co_u32 v21, s19, s16, v60
	v_add_co_ci_u32_e64 v22, null, s17, 0, s19
	global_load_ubyte v7, v[21:22], off
	s_or_b32 exec_lo, exec_lo, s18
	s_mov_b32 s18, exec_lo
	v_cmpx_gt_u32_e64 s5, v61
	s_cbranch_execz .LBB1561_352
.LBB1561_404:                           ;   in Loop: Header=BB1561_334 Depth=2
	s_waitcnt vmcnt(0)
	v_add_co_u32 v21, s19, s16, v61
	v_add_co_ci_u32_e64 v22, null, s17, 0, s19
	global_load_ubyte v6, v[21:22], off
	s_or_b32 exec_lo, exec_lo, s18
	s_mov_b32 s18, exec_lo
	v_cmpx_gt_u32_e64 s5, v62
	s_cbranch_execz .LBB1561_353
.LBB1561_405:                           ;   in Loop: Header=BB1561_334 Depth=2
	s_waitcnt vmcnt(0)
	v_add_co_u32 v21, s19, s16, v62
	v_add_co_ci_u32_e64 v22, null, s17, 0, s19
	global_load_ubyte v5, v[21:22], off
	s_or_b32 exec_lo, exec_lo, s18
	s_mov_b32 s18, exec_lo
	v_cmpx_gt_u32_e64 s5, v63
	s_cbranch_execnz .LBB1561_354
	s_branch .LBB1561_355
.LBB1561_406:                           ;   in Loop: Header=BB1561_20 Depth=1
	v_mov_b32_e32 v4, 0
	s_waitcnt lgkmcnt(0)
	s_barrier
	buffer_gl0_inv
	s_and_saveexec_b32 s5, s8
	s_cbranch_execz .LBB1561_408
; %bb.407:                              ;   in Loop: Header=BB1561_20 Depth=1
	ds_read2_b64 v[4:7], v66 offset1:1
	s_waitcnt lgkmcnt(0)
	v_add_nc_u32_e32 v4, v5, v4
	v_add3_u32 v4, v4, v6, v7
.LBB1561_408:                           ;   in Loop: Header=BB1561_20 Depth=1
	s_or_b32 exec_lo, exec_lo, s5
	v_and_b32_e32 v5, 15, v88
	v_mov_b32_dpp v6, v4 row_shr:1 row_mask:0xf bank_mask:0xf
	v_and_b32_e32 v7, 16, v88
	v_cmp_eq_u32_e64 s5, 0, v5
	v_cmp_lt_u32_e64 s15, 1, v5
	v_cmp_lt_u32_e64 s16, 3, v5
	;; [unrolled: 1-line block ×3, first 2 shown]
	v_cmp_eq_u32_e64 s18, 0, v7
	v_cndmask_b32_e64 v6, v6, 0, s5
	v_add_nc_u32_e32 v4, v6, v4
	v_mov_b32_dpp v6, v4 row_shr:2 row_mask:0xf bank_mask:0xf
	v_cndmask_b32_e64 v6, 0, v6, s15
	v_add_nc_u32_e32 v4, v4, v6
	v_mov_b32_dpp v6, v4 row_shr:4 row_mask:0xf bank_mask:0xf
	;; [unrolled: 3-line block ×3, first 2 shown]
	v_cndmask_b32_e64 v5, 0, v6, s17
	v_bfe_i32 v6, v88, 4, 1
	v_add_nc_u32_e32 v4, v4, v5
	ds_swizzle_b32 v5, v4 offset:swizzle(BROADCAST,32,15)
	s_waitcnt lgkmcnt(0)
	v_and_b32_e32 v5, v6, v5
	v_add_nc_u32_e32 v4, v4, v5
	s_and_saveexec_b32 s19, s9
; %bb.409:                              ;   in Loop: Header=BB1561_20 Depth=1
	ds_write_b32 v67, v4
; %bb.410:                              ;   in Loop: Header=BB1561_20 Depth=1
	s_or_b32 exec_lo, exec_lo, s19
	s_waitcnt lgkmcnt(0)
	s_barrier
	buffer_gl0_inv
	s_and_saveexec_b32 s19, s10
	s_cbranch_execz .LBB1561_412
; %bb.411:                              ;   in Loop: Header=BB1561_20 Depth=1
	ds_read_b32 v5, v68
	v_and_b32_e32 v6, 3, v88
	v_cmp_ne_u32_e32 vcc_lo, 0, v6
	s_waitcnt lgkmcnt(0)
	v_mov_b32_dpp v7, v5 row_shr:1 row_mask:0xf bank_mask:0xf
	v_cndmask_b32_e32 v7, 0, v7, vcc_lo
	v_cmp_lt_u32_e32 vcc_lo, 1, v6
	v_add_nc_u32_e32 v5, v7, v5
	v_mov_b32_dpp v7, v5 row_shr:2 row_mask:0xf bank_mask:0xf
	v_cndmask_b32_e32 v6, 0, v7, vcc_lo
	v_add_nc_u32_e32 v5, v5, v6
	ds_write_b32 v68, v5
.LBB1561_412:                           ;   in Loop: Header=BB1561_20 Depth=1
	s_or_b32 exec_lo, exec_lo, s19
	v_mov_b32_e32 v5, 0
	s_waitcnt lgkmcnt(0)
	s_barrier
	buffer_gl0_inv
	s_and_saveexec_b32 s19, s11
; %bb.413:                              ;   in Loop: Header=BB1561_20 Depth=1
	ds_read_b32 v5, v69
; %bb.414:                              ;   in Loop: Header=BB1561_20 Depth=1
	s_or_b32 exec_lo, exec_lo, s19
	v_sub_co_u32 v6, s19, v88, 1
	s_waitcnt lgkmcnt(0)
	v_add_nc_u32_e32 v4, v5, v4
	s_barrier
	v_cmp_gt_i32_e32 vcc_lo, 0, v6
	buffer_gl0_inv
	v_cndmask_b32_e32 v6, v6, v88, vcc_lo
	v_lshlrev_b32_e32 v95, 2, v6
	ds_bpermute_b32 v4, v95, v4
	s_and_saveexec_b32 s20, s8
	s_cbranch_execz .LBB1561_416
; %bb.415:                              ;   in Loop: Header=BB1561_20 Depth=1
	s_waitcnt lgkmcnt(0)
	v_cndmask_b32_e64 v4, v4, v5, s19
	v_add_nc_u32_e32 v4, s58, v4
	ds_write_b32 v45, v4
.LBB1561_416:                           ;   in Loop: Header=BB1561_20 Depth=1
	s_or_b32 exec_lo, exec_lo, s20
	s_load_dwordx2 s[20:21], s[56:57], 0x0
	v_lshlrev_b32_e32 v7, 3, v88
	v_and_b32_e32 v6, 7, v88
	v_or_b32_e32 v96, v88, v70
	v_add_co_u32 v97, vcc_lo, v82, v88
	v_add_co_ci_u32_e64 v98, null, 0, v83, vcc_lo
	v_add_co_u32 v99, vcc_lo, v80, v7
	v_add_co_ci_u32_e64 v100, null, 0, v81, vcc_lo
	v_add_nc_u32_e32 v101, 32, v96
	v_add_nc_u32_e32 v102, 64, v96
	v_add_nc_u32_e32 v103, 0x60, v96
	v_add_nc_u32_e32 v104, 0x80, v96
	v_add_nc_u32_e32 v105, 0xa0, v96
	v_add_nc_u32_e32 v106, 0xc0, v96
	v_add_nc_u32_e32 v107, 0xe0, v96
	v_add_nc_u32_e32 v108, 0x100, v96
	s_waitcnt lgkmcnt(0)
	s_cmp_lt_u32 s7, s21
	v_add_nc_u32_e32 v109, 0x120, v96
	s_cselect_b32 s21, 14, 20
	v_add_nc_u32_e32 v110, 0x140, v96
	s_add_u32 s22, s56, s21
	s_addc_u32 s23, s57, 0
	s_cmp_lt_u32 s6, s20
	global_load_ushort v4, v3, s[22:23]
	s_cselect_b32 s20, 12, 18
	v_add_nc_u32_e32 v111, 0x160, v96
	s_add_u32 s20, s56, s20
	s_addc_u32 s21, s57, 0
	v_add_nc_u32_e32 v112, 0x180, v96
	global_load_ushort v5, v3, s[20:21]
	v_cmp_eq_u32_e64 s20, 0, v6
	v_cmp_lt_u32_e64 s21, 1, v6
	v_cmp_lt_u32_e64 s22, 3, v6
	v_add_nc_u32_e32 v113, 0x1a0, v96
	v_add_nc_u32_e32 v114, 0x1c0, v96
	;; [unrolled: 1-line block ×4, first 2 shown]
	v_mov_b32_e32 v8, 0
	s_mov_b32 s63, s60
	s_mov_b32 s50, s58
                                        ; implicit-def: $vgpr9_vgpr10
                                        ; implicit-def: $vgpr11_vgpr12
                                        ; implicit-def: $vgpr13_vgpr14
                                        ; implicit-def: $vgpr15_vgpr16
                                        ; implicit-def: $vgpr17_vgpr18
                                        ; implicit-def: $vgpr19_vgpr20
                                        ; implicit-def: $vgpr23_vgpr24
                                        ; implicit-def: $vgpr27_vgpr28
                                        ; implicit-def: $vgpr31_vgpr32
                                        ; implicit-def: $vgpr21_vgpr22
                                        ; implicit-def: $vgpr25_vgpr26
                                        ; implicit-def: $vgpr29_vgpr30
                                        ; implicit-def: $vgpr33_vgpr34
                                        ; implicit-def: $vgpr35_vgpr36
                                        ; implicit-def: $vgpr37_vgpr38
                                        ; implicit-def: $vgpr39_vgpr40
                                        ; implicit-def: $vgpr41_vgpr42
                                        ; implicit-def: $vgpr118
                                        ; implicit-def: $vgpr119
                                        ; implicit-def: $vgpr120
                                        ; implicit-def: $vgpr121
                                        ; implicit-def: $vgpr122
                                        ; implicit-def: $vgpr123
                                        ; implicit-def: $vgpr124
                                        ; implicit-def: $vgpr125
                                        ; implicit-def: $vgpr126
                                        ; implicit-def: $vgpr127
                                        ; implicit-def: $vgpr128
                                        ; implicit-def: $vgpr129
                                        ; implicit-def: $vgpr130
                                        ; implicit-def: $vgpr131
                                        ; implicit-def: $vgpr132
                                        ; implicit-def: $vgpr133
                                        ; implicit-def: $vgpr134
                                        ; implicit-def: $vgpr135
                                        ; implicit-def: $vgpr136
	s_waitcnt vmcnt(1)
	v_mad_u32_u24 v4, v2, v4, v1
	s_waitcnt vmcnt(0)
	v_mad_u64_u32 v[4:5], null, v4, v5, v[0:1]
	v_lshrrev_b32_e32 v4, 3, v4
	v_and_b32_e32 v117, 0x1ffffffc, v4
	s_branch .LBB1561_418
.LBB1561_417:                           ;   in Loop: Header=BB1561_418 Depth=2
	s_or_b32 exec_lo, exec_lo, s23
	s_addk_i32 s63, 0xef00
	s_cmp_lt_u32 s64, s59
	s_mov_b32 s50, s64
	s_cbranch_scc0 .LBB1561_640
.LBB1561_418:                           ;   Parent Loop BB1561_20 Depth=1
                                        ; =>  This Inner Loop Header: Depth=2
	s_add_i32 s64, s50, 0x1100
	s_cmp_gt_u32 s64, s59
	s_cbranch_scc1 .LBB1561_420
; %bb.419:                              ;   in Loop: Header=BB1561_418 Depth=2
	v_add_co_u32 v4, vcc_lo, v97, s50
	v_add_co_ci_u32_e64 v5, null, 0, v98, vcc_lo
	v_and_b32_sdwa v8, v94, v8 dst_sel:DWORD dst_unused:UNUSED_PAD src0_sel:DWORD src1_sel:BYTE_0
	s_mov_b32 s23, -1
	s_clause 0xf
	global_load_ubyte v6, v[4:5], off offset:416
	global_load_ubyte v7, v[4:5], off offset:480
	;; [unrolled: 1-line block ×14, first 2 shown]
	global_load_ubyte v147, v[4:5], off
	global_load_ubyte v4, v[4:5], off offset:96
	s_waitcnt vmcnt(12)
	v_perm_b32 v5, v44, v6, 0xc0c0004
	v_perm_b32 v6, v43, v7, 0xc0c0004
	s_waitcnt vmcnt(9)
	v_perm_b32 v44, v139, v138, 0xc0c0004
	s_waitcnt vmcnt(8)
	v_perm_b32 v43, v140, v137, 0xc0c0004
	v_lshl_or_b32 v7, v6, 16, v5
	s_waitcnt vmcnt(5)
	v_perm_b32 v138, v143, v142, 0xc0c0004
	s_waitcnt vmcnt(4)
	v_perm_b32 v137, v144, v141, 0xc0c0004
	v_lshl_or_b32 v6, v44, 16, v43
	s_waitcnt vmcnt(1)
	v_perm_b32 v139, v147, v145, 0xc0c0004
	s_waitcnt vmcnt(0)
	v_perm_b32 v4, v146, v4, 0xc0c0004
	v_lshl_or_b32 v5, v138, 16, v137
	v_lshl_or_b32 v4, v4, 16, v139
	s_movk_i32 s24, 0x1100
	s_cbranch_execz .LBB1561_421
	s_branch .LBB1561_439
.LBB1561_420:                           ;   in Loop: Header=BB1561_418 Depth=2
	s_mov_b32 s23, 0
                                        ; implicit-def: $vgpr4_vgpr5_vgpr6_vgpr7_vgpr8
	s_movk_i32 s24, 0x1100
.LBB1561_421:                           ;   in Loop: Header=BB1561_418 Depth=2
	v_mov_b32_e32 v7, v3
	v_mov_b32_e32 v4, v3
	;; [unrolled: 1-line block ×4, first 2 shown]
	v_add_co_u32 v43, vcc_lo, v97, s50
	v_mov_b32_e32 v8, v7
	v_add_co_ci_u32_e64 v44, null, 0, v98, vcc_lo
	v_mov_b32_e32 v7, v6
	v_mov_b32_e32 v6, v5
	;; [unrolled: 1-line block ×4, first 2 shown]
	s_mov_b32 s23, exec_lo
	v_cmpx_gt_u32_e64 s63, v96
	s_cbranch_execnz .LBB1561_625
; %bb.422:                              ;   in Loop: Header=BB1561_418 Depth=2
	s_or_b32 exec_lo, exec_lo, s23
	s_mov_b32 s23, exec_lo
	v_cmpx_gt_u32_e64 s63, v101
	s_cbranch_execnz .LBB1561_626
.LBB1561_423:                           ;   in Loop: Header=BB1561_418 Depth=2
	s_or_b32 exec_lo, exec_lo, s23
	s_mov_b32 s23, exec_lo
	v_cmpx_gt_u32_e64 s63, v102
	s_cbranch_execnz .LBB1561_627
.LBB1561_424:                           ;   in Loop: Header=BB1561_418 Depth=2
	s_or_b32 exec_lo, exec_lo, s23
	s_mov_b32 s23, exec_lo
	v_cmpx_gt_u32_e64 s63, v103
	s_cbranch_execnz .LBB1561_628
.LBB1561_425:                           ;   in Loop: Header=BB1561_418 Depth=2
	s_or_b32 exec_lo, exec_lo, s23
	s_mov_b32 s23, exec_lo
	v_cmpx_gt_u32_e64 s63, v104
	s_cbranch_execnz .LBB1561_629
.LBB1561_426:                           ;   in Loop: Header=BB1561_418 Depth=2
	s_or_b32 exec_lo, exec_lo, s23
	s_mov_b32 s23, exec_lo
	v_cmpx_gt_u32_e64 s63, v105
	s_cbranch_execnz .LBB1561_630
.LBB1561_427:                           ;   in Loop: Header=BB1561_418 Depth=2
	s_or_b32 exec_lo, exec_lo, s23
	s_mov_b32 s23, exec_lo
	v_cmpx_gt_u32_e64 s63, v106
	s_cbranch_execnz .LBB1561_631
.LBB1561_428:                           ;   in Loop: Header=BB1561_418 Depth=2
	s_or_b32 exec_lo, exec_lo, s23
	s_mov_b32 s23, exec_lo
	v_cmpx_gt_u32_e64 s63, v107
	s_cbranch_execnz .LBB1561_632
.LBB1561_429:                           ;   in Loop: Header=BB1561_418 Depth=2
	s_or_b32 exec_lo, exec_lo, s23
	s_mov_b32 s23, exec_lo
	v_cmpx_gt_u32_e64 s63, v108
	s_cbranch_execnz .LBB1561_633
.LBB1561_430:                           ;   in Loop: Header=BB1561_418 Depth=2
	s_or_b32 exec_lo, exec_lo, s23
	s_mov_b32 s23, exec_lo
	v_cmpx_gt_u32_e64 s63, v109
	s_cbranch_execnz .LBB1561_634
.LBB1561_431:                           ;   in Loop: Header=BB1561_418 Depth=2
	s_or_b32 exec_lo, exec_lo, s23
	s_mov_b32 s23, exec_lo
	v_cmpx_gt_u32_e64 s63, v110
	s_cbranch_execnz .LBB1561_635
.LBB1561_432:                           ;   in Loop: Header=BB1561_418 Depth=2
	s_or_b32 exec_lo, exec_lo, s23
	s_mov_b32 s23, exec_lo
	v_cmpx_gt_u32_e64 s63, v111
	s_cbranch_execnz .LBB1561_636
.LBB1561_433:                           ;   in Loop: Header=BB1561_418 Depth=2
	s_or_b32 exec_lo, exec_lo, s23
	s_mov_b32 s23, exec_lo
	v_cmpx_gt_u32_e64 s63, v112
	s_cbranch_execnz .LBB1561_637
.LBB1561_434:                           ;   in Loop: Header=BB1561_418 Depth=2
	s_or_b32 exec_lo, exec_lo, s23
	s_mov_b32 s23, exec_lo
	v_cmpx_gt_u32_e64 s63, v113
	s_cbranch_execnz .LBB1561_638
.LBB1561_435:                           ;   in Loop: Header=BB1561_418 Depth=2
	s_or_b32 exec_lo, exec_lo, s23
	s_mov_b32 s23, exec_lo
	v_cmpx_gt_u32_e64 s63, v114
	s_cbranch_execnz .LBB1561_639
.LBB1561_436:                           ;   in Loop: Header=BB1561_418 Depth=2
	s_or_b32 exec_lo, exec_lo, s23
	s_mov_b32 s23, exec_lo
	v_cmpx_gt_u32_e64 s63, v115
	s_cbranch_execz .LBB1561_438
.LBB1561_437:                           ;   in Loop: Header=BB1561_418 Depth=2
	global_load_ubyte v43, v[43:44], off offset:480
	v_and_b32_e32 v8, 0xff, v8
	s_waitcnt vmcnt(0)
	v_perm_b32 v7, v7, v43, 0x60504
.LBB1561_438:                           ;   in Loop: Header=BB1561_418 Depth=2
	s_or_b32 exec_lo, exec_lo, s23
	v_cmp_gt_u32_e64 s23, s63, v116
	s_sub_i32 s24, s59, s50
.LBB1561_439:                           ;   in Loop: Header=BB1561_418 Depth=2
	v_mov_b32_e32 v43, s63
	s_and_saveexec_b32 s25, s23
	s_cbranch_execz .LBB1561_441
; %bb.440:                              ;   in Loop: Header=BB1561_418 Depth=2
	v_add_co_u32 v43, vcc_lo, v97, s50
	v_add_co_ci_u32_e64 v44, null, s51, v98, vcc_lo
	global_load_ubyte v8, v[43:44], off offset:512
	v_mov_b32_e32 v43, s24
.LBB1561_441:                           ;   in Loop: Header=BB1561_418 Depth=2
	s_or_b32 exec_lo, exec_lo, s25
	s_waitcnt vmcnt(0)
	v_and_b32_e32 v44, 1, v4
	v_and_b32_sdwa v140, v91, v4 dst_sel:DWORD dst_unused:UNUSED_PAD src0_sel:DWORD src1_sel:BYTE_1
	v_and_b32_e32 v148, 0x1000000, v4
	v_and_b32_e32 v149, 0x10000, v4
	v_and_b32_sdwa v137, v91, v7 dst_sel:DWORD dst_unused:UNUSED_PAD src0_sel:DWORD src1_sel:BYTE_1
	v_cmp_eq_u32_e32 vcc_lo, 1, v44
	v_and_b32_sdwa v139, v91, v5 dst_sel:DWORD dst_unused:UNUSED_PAD src0_sel:DWORD src1_sel:BYTE_1
	v_and_b32_e32 v146, 0x1000000, v5
	v_and_b32_e32 v147, 0x10000, v5
	;; [unrolled: 1-line block ×3, first 2 shown]
	s_xor_b32 s23, vcc_lo, -1
	v_cmp_eq_u32_e64 s25, 1, v137
	v_cndmask_b32_e64 v44, 0, 1, s23
	v_and_b32_sdwa v138, v91, v6 dst_sel:DWORD dst_unused:UNUSED_PAD src0_sel:DWORD src1_sel:BYTE_1
	v_and_b32_e32 v141, 0x1000000, v7
	v_and_b32_e32 v142, 0x10000, v7
	;; [unrolled: 1-line block ×3, first 2 shown]
	v_lshrrev_b32_e32 v145, s61, v44
	v_and_b32_e32 v143, 0x1000000, v6
	v_and_b32_e32 v144, 0x10000, v6
	;; [unrolled: 1-line block ×3, first 2 shown]
	v_cmp_eq_u32_e64 s35, 1, v5
	v_and_b32_e32 v145, s62, v145
	v_and_b32_e32 v8, 1, v8
	v_cmp_eq_u32_e64 s29, 1, v138
	v_cmp_eq_u32_e64 s34, 1, v139
	;; [unrolled: 1-line block ×3, first 2 shown]
	v_add_co_u32 v4, s23, v145, -1
	v_cndmask_b32_e64 v150, 0, 1, s23
	v_mul_u32_u24_e32 v5, 36, v145
	v_cmp_ne_u32_e64 s24, 0, v142
	v_cmp_eq_u32_e64 s26, 1, v7
	v_cmp_ne_u32_e64 s27, 0, v143
	v_cmp_ne_u32_e64 s23, 0, v150
	;; [unrolled: 1-line block ×3, first 2 shown]
	v_cmp_eq_u32_e64 s30, 1, v6
	v_cmp_ne_u32_e64 s31, 0, v146
	v_cmp_ne_u32_e64 s33, 0, v147
	v_xor_b32_e32 v4, s23, v4
	v_cmp_ne_u32_e64 s23, 0, v141
	v_cmp_ne_u32_e64 s36, 0, v148
	;; [unrolled: 1-line block ×3, first 2 shown]
	v_add_nc_u32_e32 v140, v117, v5
	v_and_b32_e32 v4, exec_lo, v4
	ds_write2_b32 v71, v3, v3 offset0:136 offset1:137
	ds_write2_b32 v71, v3, v3 offset0:138 offset1:139
	ds_write_b32 v71, v3 offset:560
	s_waitcnt lgkmcnt(0)
	v_cmp_eq_u32_e32 vcc_lo, 1, v8
	v_mbcnt_lo_u32_b32 v137, v4, 0
	v_cmp_ne_u32_e64 s40, 0, v4
	s_barrier
	buffer_gl0_inv
	v_cmp_eq_u32_e64 s39, 0, v137
	; wave barrier
	s_and_b32 s40, s40, s39
	s_and_saveexec_b32 s39, s40
; %bb.442:                              ;   in Loop: Header=BB1561_418 Depth=2
	v_bcnt_u32_b32 v4, v4, 0
	ds_write_b32 v140, v4 offset:544
; %bb.443:                              ;   in Loop: Header=BB1561_418 Depth=2
	s_or_b32 exec_lo, exec_lo, s39
	s_xor_b32 s38, s38, -1
	v_cndmask_b32_e64 v150, 0, 1, s38
	; wave barrier
	v_lshrrev_b32_e32 v4, s61, v150
	v_and_b32_e32 v5, s62, v4
	v_add_co_u32 v4, s38, v5, -1
	v_cndmask_b32_e64 v6, 0, 1, s38
	v_cmp_ne_u32_e64 s38, 0, v6
	v_mad_u32_u24 v6, v5, 36, v117
	v_mul_u32_u24_e32 v5, 36, v5
	v_xor_b32_e32 v4, s38, v4
	ds_read_b32 v138, v6 offset:544
	v_add_nc_u32_e32 v143, v117, v5
	; wave barrier
	v_and_b32_e32 v4, exec_lo, v4
	v_mbcnt_lo_u32_b32 v139, v4, 0
	v_cmp_ne_u32_e64 s39, 0, v4
	v_cmp_eq_u32_e64 s38, 0, v139
	s_and_b32 s39, s39, s38
	s_and_saveexec_b32 s38, s39
	s_cbranch_execz .LBB1561_445
; %bb.444:                              ;   in Loop: Header=BB1561_418 Depth=2
	s_waitcnt lgkmcnt(0)
	v_bcnt_u32_b32 v4, v4, v138
	ds_write_b32 v143, v4 offset:544
.LBB1561_445:                           ;   in Loop: Header=BB1561_418 Depth=2
	s_or_b32 exec_lo, exec_lo, s38
	s_xor_b32 s37, s37, -1
	v_cndmask_b32_e64 v153, 0, 1, s37
	; wave barrier
	v_lshrrev_b32_e32 v4, s61, v153
	v_and_b32_e32 v5, s62, v4
	v_add_co_u32 v4, s37, v5, -1
	v_cndmask_b32_e64 v6, 0, 1, s37
	v_cmp_ne_u32_e64 s37, 0, v6
	v_mad_u32_u24 v6, v5, 36, v117
	v_mul_u32_u24_e32 v5, 36, v5
	v_xor_b32_e32 v4, s37, v4
	ds_read_b32 v141, v6 offset:544
	v_add_nc_u32_e32 v146, v117, v5
	; wave barrier
	v_and_b32_e32 v4, exec_lo, v4
	v_mbcnt_lo_u32_b32 v142, v4, 0
	v_cmp_ne_u32_e64 s38, 0, v4
	v_cmp_eq_u32_e64 s37, 0, v142
	s_and_b32 s38, s38, s37
	s_and_saveexec_b32 s37, s38
	s_cbranch_execz .LBB1561_447
; %bb.446:                              ;   in Loop: Header=BB1561_418 Depth=2
	s_waitcnt lgkmcnt(0)
	v_bcnt_u32_b32 v4, v4, v141
	ds_write_b32 v146, v4 offset:544
.LBB1561_447:                           ;   in Loop: Header=BB1561_418 Depth=2
	;; [unrolled: 27-line block ×15, first 2 shown]
	s_or_b32 exec_lo, exec_lo, s23
	s_xor_b32 s23, vcc_lo, -1
	v_cndmask_b32_e64 v8, 0, 1, s23
	; wave barrier
	v_lshrrev_b32_e32 v4, s61, v8
	v_and_b32_e32 v5, s62, v4
	v_add_co_u32 v4, s23, v5, -1
	v_cndmask_b32_e64 v6, 0, 1, s23
	v_cmp_ne_u32_e32 vcc_lo, 0, v6
	v_mad_u32_u24 v6, v5, 36, v117
	v_mul_u32_u24_e32 v5, 36, v5
	v_xor_b32_e32 v4, vcc_lo, v4
	ds_read_b32 v198, v6 offset:544
	v_add_nc_u32_e32 v201, v117, v5
	; wave barrier
	v_and_b32_e32 v4, exec_lo, v4
	v_mbcnt_lo_u32_b32 v199, v4, 0
	v_cmp_ne_u32_e64 s23, 0, v4
	v_cmp_eq_u32_e32 vcc_lo, 0, v199
	s_and_b32 s24, s23, vcc_lo
	s_and_saveexec_b32 s23, s24
	s_cbranch_execz .LBB1561_475
; %bb.474:                              ;   in Loop: Header=BB1561_418 Depth=2
	s_waitcnt lgkmcnt(0)
	v_bcnt_u32_b32 v4, v4, v198
	ds_write_b32 v201, v4 offset:544
.LBB1561_475:                           ;   in Loop: Header=BB1561_418 Depth=2
	s_or_b32 exec_lo, exec_lo, s23
	; wave barrier
	s_waitcnt lgkmcnt(0)
	s_barrier
	buffer_gl0_inv
	ds_read2_b32 v[6:7], v71 offset0:136 offset1:137
	ds_read2_b32 v[4:5], v71 offset0:138 offset1:139
	ds_read_b32 v202, v71 offset:560
	s_waitcnt lgkmcnt(1)
	v_add3_u32 v203, v7, v6, v4
	s_waitcnt lgkmcnt(0)
	v_add3_u32 v202, v203, v5, v202
	v_mov_b32_dpp v203, v202 row_shr:1 row_mask:0xf bank_mask:0xf
	v_cndmask_b32_e64 v203, v203, 0, s5
	v_add_nc_u32_e32 v202, v203, v202
	v_mov_b32_dpp v203, v202 row_shr:2 row_mask:0xf bank_mask:0xf
	v_cndmask_b32_e64 v203, 0, v203, s15
	v_add_nc_u32_e32 v202, v202, v203
	;; [unrolled: 3-line block ×4, first 2 shown]
	ds_swizzle_b32 v203, v202 offset:swizzle(BROADCAST,32,15)
	s_waitcnt lgkmcnt(0)
	v_cndmask_b32_e64 v203, v203, 0, s18
	v_add_nc_u32_e32 v202, v202, v203
	s_and_saveexec_b32 s23, s4
; %bb.476:                              ;   in Loop: Header=BB1561_418 Depth=2
	ds_write_b32 v64, v202 offset:512
; %bb.477:                              ;   in Loop: Header=BB1561_418 Depth=2
	s_or_b32 exec_lo, exec_lo, s23
	s_waitcnt lgkmcnt(0)
	s_barrier
	buffer_gl0_inv
	s_and_saveexec_b32 s23, s12
	s_cbranch_execz .LBB1561_479
; %bb.478:                              ;   in Loop: Header=BB1561_418 Depth=2
	ds_read_b32 v203, v72 offset:512
	s_waitcnt lgkmcnt(0)
	v_mov_b32_dpp v204, v203 row_shr:1 row_mask:0xf bank_mask:0xf
	v_cndmask_b32_e64 v204, v204, 0, s20
	v_add_nc_u32_e32 v203, v204, v203
	v_mov_b32_dpp v204, v203 row_shr:2 row_mask:0xf bank_mask:0xf
	v_cndmask_b32_e64 v204, 0, v204, s21
	v_add_nc_u32_e32 v203, v203, v204
	;; [unrolled: 3-line block ×3, first 2 shown]
	ds_write_b32 v72, v203 offset:512
.LBB1561_479:                           ;   in Loop: Header=BB1561_418 Depth=2
	s_or_b32 exec_lo, exec_lo, s23
	v_mov_b32_e32 v203, 0
	s_waitcnt lgkmcnt(0)
	s_barrier
	buffer_gl0_inv
	s_and_saveexec_b32 s23, s11
; %bb.480:                              ;   in Loop: Header=BB1561_418 Depth=2
	ds_read_b32 v203, v64 offset:508
; %bb.481:                              ;   in Loop: Header=BB1561_418 Depth=2
	s_or_b32 exec_lo, exec_lo, s23
	s_waitcnt lgkmcnt(0)
	v_add_nc_u32_e32 v202, v203, v202
	ds_bpermute_b32 v202, v95, v202
	s_waitcnt lgkmcnt(0)
	v_cndmask_b32_e64 v202, v202, v203, s19
	v_cndmask_b32_e64 v202, v202, 0, s13
	v_add_nc_u32_e32 v6, v202, v6
	v_add_nc_u32_e32 v7, v6, v7
	;; [unrolled: 1-line block ×4, first 2 shown]
	ds_write2_b32 v71, v202, v6 offset0:136 offset1:137
	ds_write2_b32 v71, v7, v4 offset0:138 offset1:139
	ds_write_b32 v71, v5 offset:560
	s_waitcnt lgkmcnt(0)
	s_barrier
	buffer_gl0_inv
	ds_read_b32 v4, v140 offset:544
	ds_read_b32 v5, v143 offset:544
	;; [unrolled: 1-line block ×17, first 2 shown]
	s_and_saveexec_b32 s23, s8
	s_cbranch_execz .LBB1561_485
; %bb.482:                              ;   in Loop: Header=BB1561_418 Depth=2
	v_add_nc_u32_e32 v135, v72, v74
	v_mov_b32_e32 v136, 0x1100
	ds_read_b32 v135, v135 offset:544
	s_and_saveexec_b32 s24, s14
; %bb.483:                              ;   in Loop: Header=BB1561_418 Depth=2
	ds_read_b32 v136, v73 offset:544
; %bb.484:                              ;   in Loop: Header=BB1561_418 Depth=2
	s_or_b32 exec_lo, exec_lo, s24
	s_waitcnt lgkmcnt(0)
	v_sub_nc_u32_e32 v136, v136, v135
.LBB1561_485:                           ;   in Loop: Header=BB1561_418 Depth=2
	s_or_b32 exec_lo, exec_lo, s23
	s_waitcnt lgkmcnt(0)
	s_barrier
	buffer_gl0_inv
	s_and_saveexec_b32 s23, s8
	s_cbranch_execz .LBB1561_487
; %bb.486:                              ;   in Loop: Header=BB1561_418 Depth=2
	ds_read_b32 v146, v45
	s_waitcnt lgkmcnt(0)
	v_sub_nc_u32_e32 v146, v146, v135
	ds_write_b32 v45, v146
.LBB1561_487:                           ;   in Loop: Header=BB1561_418 Depth=2
	s_or_b32 exec_lo, exec_lo, s23
	v_add_nc_u32_e32 v152, v4, v137
	v_add3_u32 v151, v139, v138, v5
	v_add3_u32 v149, v142, v141, v6
	;; [unrolled: 1-line block ×16, first 2 shown]
	v_cmp_lt_u32_e64 s39, v0, v43
	ds_write_b8 v152, v44 offset:512
	ds_write_b8 v151, v150 offset:512
	;; [unrolled: 1-line block ×17, first 2 shown]
	s_waitcnt lgkmcnt(0)
	s_barrier
	buffer_gl0_inv
	s_and_saveexec_b32 s23, s39
	s_cbranch_execnz .LBB1561_560
; %bb.488:                              ;   in Loop: Header=BB1561_418 Depth=2
	s_or_b32 exec_lo, exec_lo, s23
	v_cmp_lt_u32_e64 s38, v46, v43
	s_and_saveexec_b32 s23, s38
	s_cbranch_execnz .LBB1561_561
.LBB1561_489:                           ;   in Loop: Header=BB1561_418 Depth=2
	s_or_b32 exec_lo, exec_lo, s23
	v_cmp_lt_u32_e64 s37, v49, v43
	s_and_saveexec_b32 s23, s37
	s_cbranch_execnz .LBB1561_562
.LBB1561_490:                           ;   in Loop: Header=BB1561_418 Depth=2
	s_or_b32 exec_lo, exec_lo, s23
	v_cmp_lt_u32_e64 s36, v50, v43
	s_and_saveexec_b32 s23, s36
	s_cbranch_execnz .LBB1561_563
.LBB1561_491:                           ;   in Loop: Header=BB1561_418 Depth=2
	s_or_b32 exec_lo, exec_lo, s23
	v_cmp_lt_u32_e64 s35, v51, v43
	s_and_saveexec_b32 s23, s35
	s_cbranch_execnz .LBB1561_564
.LBB1561_492:                           ;   in Loop: Header=BB1561_418 Depth=2
	s_or_b32 exec_lo, exec_lo, s23
	v_cmp_lt_u32_e64 s34, v52, v43
	s_and_saveexec_b32 s23, s34
	s_cbranch_execnz .LBB1561_565
.LBB1561_493:                           ;   in Loop: Header=BB1561_418 Depth=2
	s_or_b32 exec_lo, exec_lo, s23
	v_cmp_lt_u32_e64 s33, v53, v43
	s_and_saveexec_b32 s23, s33
	s_cbranch_execnz .LBB1561_566
.LBB1561_494:                           ;   in Loop: Header=BB1561_418 Depth=2
	s_or_b32 exec_lo, exec_lo, s23
	v_cmp_lt_u32_e64 s31, v54, v43
	s_and_saveexec_b32 s23, s31
	s_cbranch_execnz .LBB1561_567
.LBB1561_495:                           ;   in Loop: Header=BB1561_418 Depth=2
	s_or_b32 exec_lo, exec_lo, s23
	v_cmp_lt_u32_e64 s30, v55, v43
	s_and_saveexec_b32 s23, s30
	s_cbranch_execnz .LBB1561_568
.LBB1561_496:                           ;   in Loop: Header=BB1561_418 Depth=2
	s_or_b32 exec_lo, exec_lo, s23
	v_cmp_lt_u32_e64 s29, v56, v43
	s_and_saveexec_b32 s23, s29
	s_cbranch_execnz .LBB1561_569
.LBB1561_497:                           ;   in Loop: Header=BB1561_418 Depth=2
	s_or_b32 exec_lo, exec_lo, s23
	v_cmp_lt_u32_e64 s28, v57, v43
	s_and_saveexec_b32 s23, s28
	s_cbranch_execnz .LBB1561_570
.LBB1561_498:                           ;   in Loop: Header=BB1561_418 Depth=2
	s_or_b32 exec_lo, exec_lo, s23
	v_cmp_lt_u32_e64 s27, v58, v43
	s_and_saveexec_b32 s23, s27
	s_cbranch_execnz .LBB1561_571
.LBB1561_499:                           ;   in Loop: Header=BB1561_418 Depth=2
	s_or_b32 exec_lo, exec_lo, s23
	v_cmp_lt_u32_e64 s26, v59, v43
	s_and_saveexec_b32 s23, s26
	s_cbranch_execnz .LBB1561_572
.LBB1561_500:                           ;   in Loop: Header=BB1561_418 Depth=2
	s_or_b32 exec_lo, exec_lo, s23
	v_cmp_lt_u32_e64 s25, v60, v43
	s_and_saveexec_b32 s23, s25
	s_cbranch_execnz .LBB1561_573
.LBB1561_501:                           ;   in Loop: Header=BB1561_418 Depth=2
	s_or_b32 exec_lo, exec_lo, s23
	v_cmp_lt_u32_e64 s24, v61, v43
	s_and_saveexec_b32 s23, s24
	s_cbranch_execnz .LBB1561_574
.LBB1561_502:                           ;   in Loop: Header=BB1561_418 Depth=2
	s_or_b32 exec_lo, exec_lo, s23
	v_cmp_lt_u32_e64 s23, v62, v43
	s_and_saveexec_b32 s40, s23
	s_cbranch_execnz .LBB1561_575
.LBB1561_503:                           ;   in Loop: Header=BB1561_418 Depth=2
	s_or_b32 exec_lo, exec_lo, s40
	v_cmp_lt_u32_e32 vcc_lo, v63, v43
	s_and_saveexec_b32 s40, vcc_lo
	s_cbranch_execz .LBB1561_505
.LBB1561_504:                           ;   in Loop: Header=BB1561_418 Depth=2
	ds_read_u8 v4, v0 offset:4608
	s_waitcnt lgkmcnt(0)
	v_and_b32_e32 v5, 1, v4
	v_xor_b32_e32 v4, 1, v4
	v_lshrrev_b32_e32 v5, s61, v5
	v_and_b32_e32 v5, s62, v5
	v_lshlrev_b32_e32 v5, 2, v5
	ds_read_b32 v5, v5
	s_waitcnt lgkmcnt(0)
	v_add_nc_u32_e32 v5, v5, v63
	global_store_byte v5, v4, s[48:49]
.LBB1561_505:                           ;   in Loop: Header=BB1561_418 Depth=2
	s_or_b32 exec_lo, exec_lo, s40
	s_lshl_b64 s[66:67], s[50:51], 3
	v_add_co_u32 v4, s40, v99, s66
	v_add_co_ci_u32_e64 v5, null, s67, v100, s40
	v_cmp_lt_u32_e64 s40, v96, v43
	s_and_saveexec_b32 s50, s40
	s_xor_b32 s40, exec_lo, s50
	s_cbranch_execnz .LBB1561_576
; %bb.506:                              ;   in Loop: Header=BB1561_418 Depth=2
	s_or_b32 exec_lo, exec_lo, s40
	s_mov_b32 s50, exec_lo
	v_cmpx_lt_u32_e64 v101, v43
	s_cbranch_execnz .LBB1561_577
.LBB1561_507:                           ;   in Loop: Header=BB1561_418 Depth=2
	s_or_b32 exec_lo, exec_lo, s50
	s_mov_b32 s50, exec_lo
	v_cmpx_lt_u32_e64 v102, v43
	s_cbranch_execnz .LBB1561_578
.LBB1561_508:                           ;   in Loop: Header=BB1561_418 Depth=2
	s_or_b32 exec_lo, exec_lo, s50
	s_mov_b32 s50, exec_lo
	v_cmpx_lt_u32_e64 v103, v43
	s_cbranch_execnz .LBB1561_579
.LBB1561_509:                           ;   in Loop: Header=BB1561_418 Depth=2
	s_or_b32 exec_lo, exec_lo, s50
	s_mov_b32 s50, exec_lo
	v_cmpx_lt_u32_e64 v104, v43
	s_cbranch_execnz .LBB1561_580
.LBB1561_510:                           ;   in Loop: Header=BB1561_418 Depth=2
	s_or_b32 exec_lo, exec_lo, s50
	s_mov_b32 s50, exec_lo
	v_cmpx_lt_u32_e64 v105, v43
	s_cbranch_execnz .LBB1561_581
.LBB1561_511:                           ;   in Loop: Header=BB1561_418 Depth=2
	s_or_b32 exec_lo, exec_lo, s50
	s_mov_b32 s50, exec_lo
	v_cmpx_lt_u32_e64 v106, v43
	s_cbranch_execnz .LBB1561_582
.LBB1561_512:                           ;   in Loop: Header=BB1561_418 Depth=2
	s_or_b32 exec_lo, exec_lo, s50
	s_mov_b32 s50, exec_lo
	v_cmpx_lt_u32_e64 v107, v43
	s_cbranch_execnz .LBB1561_583
.LBB1561_513:                           ;   in Loop: Header=BB1561_418 Depth=2
	s_or_b32 exec_lo, exec_lo, s50
	s_mov_b32 s50, exec_lo
	v_cmpx_lt_u32_e64 v108, v43
	s_cbranch_execnz .LBB1561_584
.LBB1561_514:                           ;   in Loop: Header=BB1561_418 Depth=2
	s_or_b32 exec_lo, exec_lo, s50
	s_mov_b32 s50, exec_lo
	v_cmpx_lt_u32_e64 v109, v43
	s_cbranch_execnz .LBB1561_585
.LBB1561_515:                           ;   in Loop: Header=BB1561_418 Depth=2
	s_or_b32 exec_lo, exec_lo, s50
	s_mov_b32 s50, exec_lo
	v_cmpx_lt_u32_e64 v110, v43
	s_cbranch_execnz .LBB1561_586
.LBB1561_516:                           ;   in Loop: Header=BB1561_418 Depth=2
	s_or_b32 exec_lo, exec_lo, s50
	s_mov_b32 s50, exec_lo
	v_cmpx_lt_u32_e64 v111, v43
	s_cbranch_execnz .LBB1561_587
.LBB1561_517:                           ;   in Loop: Header=BB1561_418 Depth=2
	s_or_b32 exec_lo, exec_lo, s50
	s_mov_b32 s50, exec_lo
	v_cmpx_lt_u32_e64 v112, v43
	s_cbranch_execnz .LBB1561_588
.LBB1561_518:                           ;   in Loop: Header=BB1561_418 Depth=2
	s_or_b32 exec_lo, exec_lo, s50
	s_mov_b32 s50, exec_lo
	v_cmpx_lt_u32_e64 v113, v43
	s_cbranch_execnz .LBB1561_589
.LBB1561_519:                           ;   in Loop: Header=BB1561_418 Depth=2
	s_or_b32 exec_lo, exec_lo, s50
	s_mov_b32 s50, exec_lo
	v_cmpx_lt_u32_e64 v114, v43
	s_cbranch_execnz .LBB1561_590
.LBB1561_520:                           ;   in Loop: Header=BB1561_418 Depth=2
	s_or_b32 exec_lo, exec_lo, s50
	s_mov_b32 s50, exec_lo
	v_cmpx_lt_u32_e64 v115, v43
	s_cbranch_execnz .LBB1561_591
.LBB1561_521:                           ;   in Loop: Header=BB1561_418 Depth=2
	s_or_b32 exec_lo, exec_lo, s50
	s_mov_b32 s50, exec_lo
	v_cmpx_lt_u32_e64 v116, v43
	s_cbranch_execnz .LBB1561_592
.LBB1561_522:                           ;   in Loop: Header=BB1561_418 Depth=2
	s_or_b32 exec_lo, exec_lo, s50
	s_and_saveexec_b32 s40, s39
	s_cbranch_execnz .LBB1561_593
.LBB1561_523:                           ;   in Loop: Header=BB1561_418 Depth=2
	s_or_b32 exec_lo, exec_lo, s40
	s_and_saveexec_b32 s40, s38
	s_cbranch_execnz .LBB1561_594
.LBB1561_524:                           ;   in Loop: Header=BB1561_418 Depth=2
	s_or_b32 exec_lo, exec_lo, s40
	s_and_saveexec_b32 s40, s37
	s_cbranch_execnz .LBB1561_595
.LBB1561_525:                           ;   in Loop: Header=BB1561_418 Depth=2
	s_or_b32 exec_lo, exec_lo, s40
	s_and_saveexec_b32 s40, s36
	s_cbranch_execnz .LBB1561_596
.LBB1561_526:                           ;   in Loop: Header=BB1561_418 Depth=2
	s_or_b32 exec_lo, exec_lo, s40
	s_and_saveexec_b32 s40, s35
	s_cbranch_execnz .LBB1561_597
.LBB1561_527:                           ;   in Loop: Header=BB1561_418 Depth=2
	s_or_b32 exec_lo, exec_lo, s40
	s_and_saveexec_b32 s40, s34
	s_cbranch_execnz .LBB1561_598
.LBB1561_528:                           ;   in Loop: Header=BB1561_418 Depth=2
	s_or_b32 exec_lo, exec_lo, s40
	s_and_saveexec_b32 s40, s33
	s_cbranch_execnz .LBB1561_599
.LBB1561_529:                           ;   in Loop: Header=BB1561_418 Depth=2
	s_or_b32 exec_lo, exec_lo, s40
	s_and_saveexec_b32 s40, s31
	s_cbranch_execnz .LBB1561_600
.LBB1561_530:                           ;   in Loop: Header=BB1561_418 Depth=2
	s_or_b32 exec_lo, exec_lo, s40
	s_and_saveexec_b32 s40, s30
	s_cbranch_execnz .LBB1561_601
.LBB1561_531:                           ;   in Loop: Header=BB1561_418 Depth=2
	s_or_b32 exec_lo, exec_lo, s40
	s_and_saveexec_b32 s40, s29
	s_cbranch_execnz .LBB1561_602
.LBB1561_532:                           ;   in Loop: Header=BB1561_418 Depth=2
	s_or_b32 exec_lo, exec_lo, s40
	s_and_saveexec_b32 s40, s28
	s_cbranch_execnz .LBB1561_603
.LBB1561_533:                           ;   in Loop: Header=BB1561_418 Depth=2
	s_or_b32 exec_lo, exec_lo, s40
	s_and_saveexec_b32 s40, s27
	s_cbranch_execnz .LBB1561_604
.LBB1561_534:                           ;   in Loop: Header=BB1561_418 Depth=2
	s_or_b32 exec_lo, exec_lo, s40
	s_and_saveexec_b32 s40, s26
	s_cbranch_execnz .LBB1561_605
.LBB1561_535:                           ;   in Loop: Header=BB1561_418 Depth=2
	s_or_b32 exec_lo, exec_lo, s40
	s_and_saveexec_b32 s40, s25
	s_cbranch_execnz .LBB1561_606
.LBB1561_536:                           ;   in Loop: Header=BB1561_418 Depth=2
	s_or_b32 exec_lo, exec_lo, s40
	s_and_saveexec_b32 s40, s24
	s_cbranch_execnz .LBB1561_607
.LBB1561_537:                           ;   in Loop: Header=BB1561_418 Depth=2
	s_or_b32 exec_lo, exec_lo, s40
	s_and_saveexec_b32 s40, s23
	s_cbranch_execnz .LBB1561_608
.LBB1561_538:                           ;   in Loop: Header=BB1561_418 Depth=2
	s_or_b32 exec_lo, exec_lo, s40
	s_and_saveexec_b32 s40, vcc_lo
	s_cbranch_execz .LBB1561_540
.LBB1561_539:                           ;   in Loop: Header=BB1561_418 Depth=2
	ds_read_u8 v4, v0 offset:4608
	s_waitcnt lgkmcnt(0)
	v_lshrrev_b32_e32 v4, s61, v4
	v_and_b32_e32 v118, s62, v4
.LBB1561_540:                           ;   in Loop: Header=BB1561_418 Depth=2
	s_or_b32 exec_lo, exec_lo, s40
	v_lshlrev_b32_e32 v4, 3, v152
	v_lshlrev_b32_e32 v5, 3, v151
	s_waitcnt vmcnt(0)
	s_waitcnt_vscnt null, 0x0
	s_barrier
	buffer_gl0_inv
	ds_write_b64 v4, v[41:42] offset:512
	ds_write_b64 v5, v[39:40] offset:512
	v_lshlrev_b32_e32 v4, 3, v149
	v_lshlrev_b32_e32 v5, 3, v148
	v_lshlrev_b32_e32 v43, 3, v147
	v_lshlrev_b32_e32 v44, 3, v146
	v_lshlrev_b32_e32 v145, 3, v145
	ds_write_b64 v4, v[37:38] offset:512
	ds_write_b64 v5, v[35:36] offset:512
	ds_write_b64 v43, v[33:34] offset:512
	ds_write_b64 v44, v[29:30] offset:512
	ds_write_b64 v145, v[25:26] offset:512
	v_lshlrev_b32_e32 v4, 3, v144
	v_lshlrev_b32_e32 v5, 3, v143
	v_lshlrev_b32_e32 v43, 3, v142
	v_lshlrev_b32_e32 v44, 3, v141
	v_lshlrev_b32_e32 v140, 3, v140
	ds_write_b64 v4, v[21:22] offset:512
	ds_write_b64 v5, v[31:32] offset:512
	ds_write_b64 v43, v[27:28] offset:512
	;; [unrolled: 10-line block ×3, first 2 shown]
	ds_write_b64 v7, v[11:12] offset:512
	ds_write_b64 v6, v[9:10] offset:512
	s_waitcnt lgkmcnt(0)
	s_barrier
	buffer_gl0_inv
	s_and_saveexec_b32 s40, s39
	s_cbranch_execnz .LBB1561_609
; %bb.541:                              ;   in Loop: Header=BB1561_418 Depth=2
	s_or_b32 exec_lo, exec_lo, s40
	s_and_saveexec_b32 s39, s38
	s_cbranch_execnz .LBB1561_610
.LBB1561_542:                           ;   in Loop: Header=BB1561_418 Depth=2
	s_or_b32 exec_lo, exec_lo, s39
	s_and_saveexec_b32 s38, s37
	s_cbranch_execnz .LBB1561_611
.LBB1561_543:                           ;   in Loop: Header=BB1561_418 Depth=2
	s_or_b32 exec_lo, exec_lo, s38
	s_and_saveexec_b32 s37, s36
	s_cbranch_execnz .LBB1561_612
.LBB1561_544:                           ;   in Loop: Header=BB1561_418 Depth=2
	s_or_b32 exec_lo, exec_lo, s37
	s_and_saveexec_b32 s36, s35
	s_cbranch_execnz .LBB1561_613
.LBB1561_545:                           ;   in Loop: Header=BB1561_418 Depth=2
	s_or_b32 exec_lo, exec_lo, s36
	s_and_saveexec_b32 s35, s34
	s_cbranch_execnz .LBB1561_614
.LBB1561_546:                           ;   in Loop: Header=BB1561_418 Depth=2
	s_or_b32 exec_lo, exec_lo, s35
	s_and_saveexec_b32 s34, s33
	s_cbranch_execnz .LBB1561_615
.LBB1561_547:                           ;   in Loop: Header=BB1561_418 Depth=2
	s_or_b32 exec_lo, exec_lo, s34
	s_and_saveexec_b32 s33, s31
	s_cbranch_execnz .LBB1561_616
.LBB1561_548:                           ;   in Loop: Header=BB1561_418 Depth=2
	s_or_b32 exec_lo, exec_lo, s33
	s_and_saveexec_b32 s31, s30
	s_cbranch_execnz .LBB1561_617
.LBB1561_549:                           ;   in Loop: Header=BB1561_418 Depth=2
	s_or_b32 exec_lo, exec_lo, s31
	s_and_saveexec_b32 s30, s29
	s_cbranch_execnz .LBB1561_618
.LBB1561_550:                           ;   in Loop: Header=BB1561_418 Depth=2
	s_or_b32 exec_lo, exec_lo, s30
	s_and_saveexec_b32 s29, s28
	s_cbranch_execnz .LBB1561_619
.LBB1561_551:                           ;   in Loop: Header=BB1561_418 Depth=2
	s_or_b32 exec_lo, exec_lo, s29
	s_and_saveexec_b32 s28, s27
	s_cbranch_execnz .LBB1561_620
.LBB1561_552:                           ;   in Loop: Header=BB1561_418 Depth=2
	s_or_b32 exec_lo, exec_lo, s28
	s_and_saveexec_b32 s27, s26
	s_cbranch_execnz .LBB1561_621
.LBB1561_553:                           ;   in Loop: Header=BB1561_418 Depth=2
	s_or_b32 exec_lo, exec_lo, s27
	s_and_saveexec_b32 s26, s25
	s_cbranch_execnz .LBB1561_622
.LBB1561_554:                           ;   in Loop: Header=BB1561_418 Depth=2
	s_or_b32 exec_lo, exec_lo, s26
	s_and_saveexec_b32 s25, s24
	s_cbranch_execnz .LBB1561_623
.LBB1561_555:                           ;   in Loop: Header=BB1561_418 Depth=2
	s_or_b32 exec_lo, exec_lo, s25
	s_and_saveexec_b32 s24, s23
	s_cbranch_execnz .LBB1561_624
.LBB1561_556:                           ;   in Loop: Header=BB1561_418 Depth=2
	s_or_b32 exec_lo, exec_lo, s24
	s_and_saveexec_b32 s23, vcc_lo
	s_cbranch_execz .LBB1561_558
.LBB1561_557:                           ;   in Loop: Header=BB1561_418 Depth=2
	v_lshlrev_b32_e32 v4, 2, v118
	v_mov_b32_e32 v7, v3
	ds_read_b32 v6, v4
	v_add_nc_u32_e32 v4, v0, v77
	ds_read_b64 v[4:5], v4 offset:33280
	s_waitcnt lgkmcnt(1)
	v_add_nc_u32_e32 v6, v6, v63
	v_lshlrev_b64 v[6:7], 3, v[6:7]
	v_add_co_u32 v6, vcc_lo, s54, v6
	v_add_co_ci_u32_e64 v7, null, s55, v7, vcc_lo
	s_waitcnt lgkmcnt(0)
	global_store_dwordx2 v[6:7], v[4:5], off
.LBB1561_558:                           ;   in Loop: Header=BB1561_418 Depth=2
	s_or_b32 exec_lo, exec_lo, s23
	s_waitcnt_vscnt null, 0x0
	s_barrier
	buffer_gl0_inv
	s_and_saveexec_b32 s23, s8
	s_cbranch_execz .LBB1561_417
; %bb.559:                              ;   in Loop: Header=BB1561_418 Depth=2
	ds_read_b32 v4, v45
	s_waitcnt lgkmcnt(0)
	v_add3_u32 v4, v135, v136, v4
	ds_write_b32 v45, v4
	s_branch .LBB1561_417
.LBB1561_560:                           ;   in Loop: Header=BB1561_418 Depth=2
	ds_read_u8 v4, v0 offset:512
	s_waitcnt lgkmcnt(0)
	v_and_b32_e32 v5, 1, v4
	v_xor_b32_e32 v4, 1, v4
	v_lshrrev_b32_e32 v5, s61, v5
	v_and_b32_e32 v5, s62, v5
	v_lshlrev_b32_e32 v5, 2, v5
	ds_read_b32 v5, v5
	s_waitcnt lgkmcnt(0)
	v_add_nc_u32_e32 v5, v5, v0
	global_store_byte v5, v4, s[48:49]
	s_or_b32 exec_lo, exec_lo, s23
	v_cmp_lt_u32_e64 s38, v46, v43
	s_and_saveexec_b32 s23, s38
	s_cbranch_execz .LBB1561_489
.LBB1561_561:                           ;   in Loop: Header=BB1561_418 Depth=2
	ds_read_u8 v4, v0 offset:768
	s_waitcnt lgkmcnt(0)
	v_and_b32_e32 v5, 1, v4
	v_xor_b32_e32 v4, 1, v4
	v_lshrrev_b32_e32 v5, s61, v5
	v_and_b32_e32 v5, s62, v5
	v_lshlrev_b32_e32 v5, 2, v5
	ds_read_b32 v5, v5
	s_waitcnt lgkmcnt(0)
	v_add_nc_u32_e32 v5, v5, v46
	global_store_byte v5, v4, s[48:49]
	s_or_b32 exec_lo, exec_lo, s23
	v_cmp_lt_u32_e64 s37, v49, v43
	s_and_saveexec_b32 s23, s37
	s_cbranch_execz .LBB1561_490
.LBB1561_562:                           ;   in Loop: Header=BB1561_418 Depth=2
	ds_read_u8 v4, v0 offset:1024
	s_waitcnt lgkmcnt(0)
	v_and_b32_e32 v5, 1, v4
	v_xor_b32_e32 v4, 1, v4
	v_lshrrev_b32_e32 v5, s61, v5
	v_and_b32_e32 v5, s62, v5
	v_lshlrev_b32_e32 v5, 2, v5
	ds_read_b32 v5, v5
	s_waitcnt lgkmcnt(0)
	v_add_nc_u32_e32 v5, v5, v49
	global_store_byte v5, v4, s[48:49]
	s_or_b32 exec_lo, exec_lo, s23
	v_cmp_lt_u32_e64 s36, v50, v43
	s_and_saveexec_b32 s23, s36
	s_cbranch_execz .LBB1561_491
.LBB1561_563:                           ;   in Loop: Header=BB1561_418 Depth=2
	ds_read_u8 v4, v0 offset:1280
	s_waitcnt lgkmcnt(0)
	v_and_b32_e32 v5, 1, v4
	v_xor_b32_e32 v4, 1, v4
	v_lshrrev_b32_e32 v5, s61, v5
	v_and_b32_e32 v5, s62, v5
	v_lshlrev_b32_e32 v5, 2, v5
	ds_read_b32 v5, v5
	s_waitcnt lgkmcnt(0)
	v_add_nc_u32_e32 v5, v5, v50
	global_store_byte v5, v4, s[48:49]
	s_or_b32 exec_lo, exec_lo, s23
	v_cmp_lt_u32_e64 s35, v51, v43
	s_and_saveexec_b32 s23, s35
	s_cbranch_execz .LBB1561_492
.LBB1561_564:                           ;   in Loop: Header=BB1561_418 Depth=2
	ds_read_u8 v4, v0 offset:1536
	s_waitcnt lgkmcnt(0)
	v_and_b32_e32 v5, 1, v4
	v_xor_b32_e32 v4, 1, v4
	v_lshrrev_b32_e32 v5, s61, v5
	v_and_b32_e32 v5, s62, v5
	v_lshlrev_b32_e32 v5, 2, v5
	ds_read_b32 v5, v5
	s_waitcnt lgkmcnt(0)
	v_add_nc_u32_e32 v5, v5, v51
	global_store_byte v5, v4, s[48:49]
	s_or_b32 exec_lo, exec_lo, s23
	v_cmp_lt_u32_e64 s34, v52, v43
	s_and_saveexec_b32 s23, s34
	s_cbranch_execz .LBB1561_493
.LBB1561_565:                           ;   in Loop: Header=BB1561_418 Depth=2
	ds_read_u8 v4, v0 offset:1792
	s_waitcnt lgkmcnt(0)
	v_and_b32_e32 v5, 1, v4
	v_xor_b32_e32 v4, 1, v4
	v_lshrrev_b32_e32 v5, s61, v5
	v_and_b32_e32 v5, s62, v5
	v_lshlrev_b32_e32 v5, 2, v5
	ds_read_b32 v5, v5
	s_waitcnt lgkmcnt(0)
	v_add_nc_u32_e32 v5, v5, v52
	global_store_byte v5, v4, s[48:49]
	s_or_b32 exec_lo, exec_lo, s23
	v_cmp_lt_u32_e64 s33, v53, v43
	s_and_saveexec_b32 s23, s33
	s_cbranch_execz .LBB1561_494
.LBB1561_566:                           ;   in Loop: Header=BB1561_418 Depth=2
	ds_read_u8 v4, v0 offset:2048
	s_waitcnt lgkmcnt(0)
	v_and_b32_e32 v5, 1, v4
	v_xor_b32_e32 v4, 1, v4
	v_lshrrev_b32_e32 v5, s61, v5
	v_and_b32_e32 v5, s62, v5
	v_lshlrev_b32_e32 v5, 2, v5
	ds_read_b32 v5, v5
	s_waitcnt lgkmcnt(0)
	v_add_nc_u32_e32 v5, v5, v53
	global_store_byte v5, v4, s[48:49]
	s_or_b32 exec_lo, exec_lo, s23
	v_cmp_lt_u32_e64 s31, v54, v43
	s_and_saveexec_b32 s23, s31
	s_cbranch_execz .LBB1561_495
.LBB1561_567:                           ;   in Loop: Header=BB1561_418 Depth=2
	ds_read_u8 v4, v0 offset:2304
	s_waitcnt lgkmcnt(0)
	v_and_b32_e32 v5, 1, v4
	v_xor_b32_e32 v4, 1, v4
	v_lshrrev_b32_e32 v5, s61, v5
	v_and_b32_e32 v5, s62, v5
	v_lshlrev_b32_e32 v5, 2, v5
	ds_read_b32 v5, v5
	s_waitcnt lgkmcnt(0)
	v_add_nc_u32_e32 v5, v5, v54
	global_store_byte v5, v4, s[48:49]
	s_or_b32 exec_lo, exec_lo, s23
	v_cmp_lt_u32_e64 s30, v55, v43
	s_and_saveexec_b32 s23, s30
	s_cbranch_execz .LBB1561_496
.LBB1561_568:                           ;   in Loop: Header=BB1561_418 Depth=2
	ds_read_u8 v4, v0 offset:2560
	s_waitcnt lgkmcnt(0)
	v_and_b32_e32 v5, 1, v4
	v_xor_b32_e32 v4, 1, v4
	v_lshrrev_b32_e32 v5, s61, v5
	v_and_b32_e32 v5, s62, v5
	v_lshlrev_b32_e32 v5, 2, v5
	ds_read_b32 v5, v5
	s_waitcnt lgkmcnt(0)
	v_add_nc_u32_e32 v5, v5, v55
	global_store_byte v5, v4, s[48:49]
	s_or_b32 exec_lo, exec_lo, s23
	v_cmp_lt_u32_e64 s29, v56, v43
	s_and_saveexec_b32 s23, s29
	s_cbranch_execz .LBB1561_497
.LBB1561_569:                           ;   in Loop: Header=BB1561_418 Depth=2
	ds_read_u8 v4, v0 offset:2816
	s_waitcnt lgkmcnt(0)
	v_and_b32_e32 v5, 1, v4
	v_xor_b32_e32 v4, 1, v4
	v_lshrrev_b32_e32 v5, s61, v5
	v_and_b32_e32 v5, s62, v5
	v_lshlrev_b32_e32 v5, 2, v5
	ds_read_b32 v5, v5
	s_waitcnt lgkmcnt(0)
	v_add_nc_u32_e32 v5, v5, v56
	global_store_byte v5, v4, s[48:49]
	s_or_b32 exec_lo, exec_lo, s23
	v_cmp_lt_u32_e64 s28, v57, v43
	s_and_saveexec_b32 s23, s28
	s_cbranch_execz .LBB1561_498
.LBB1561_570:                           ;   in Loop: Header=BB1561_418 Depth=2
	ds_read_u8 v4, v0 offset:3072
	s_waitcnt lgkmcnt(0)
	v_and_b32_e32 v5, 1, v4
	v_xor_b32_e32 v4, 1, v4
	v_lshrrev_b32_e32 v5, s61, v5
	v_and_b32_e32 v5, s62, v5
	v_lshlrev_b32_e32 v5, 2, v5
	ds_read_b32 v5, v5
	s_waitcnt lgkmcnt(0)
	v_add_nc_u32_e32 v5, v5, v57
	global_store_byte v5, v4, s[48:49]
	s_or_b32 exec_lo, exec_lo, s23
	v_cmp_lt_u32_e64 s27, v58, v43
	s_and_saveexec_b32 s23, s27
	s_cbranch_execz .LBB1561_499
.LBB1561_571:                           ;   in Loop: Header=BB1561_418 Depth=2
	ds_read_u8 v4, v0 offset:3328
	s_waitcnt lgkmcnt(0)
	v_and_b32_e32 v5, 1, v4
	v_xor_b32_e32 v4, 1, v4
	v_lshrrev_b32_e32 v5, s61, v5
	v_and_b32_e32 v5, s62, v5
	v_lshlrev_b32_e32 v5, 2, v5
	ds_read_b32 v5, v5
	s_waitcnt lgkmcnt(0)
	v_add_nc_u32_e32 v5, v5, v58
	global_store_byte v5, v4, s[48:49]
	s_or_b32 exec_lo, exec_lo, s23
	v_cmp_lt_u32_e64 s26, v59, v43
	s_and_saveexec_b32 s23, s26
	s_cbranch_execz .LBB1561_500
.LBB1561_572:                           ;   in Loop: Header=BB1561_418 Depth=2
	ds_read_u8 v4, v0 offset:3584
	s_waitcnt lgkmcnt(0)
	v_and_b32_e32 v5, 1, v4
	v_xor_b32_e32 v4, 1, v4
	v_lshrrev_b32_e32 v5, s61, v5
	v_and_b32_e32 v5, s62, v5
	v_lshlrev_b32_e32 v5, 2, v5
	ds_read_b32 v5, v5
	s_waitcnt lgkmcnt(0)
	v_add_nc_u32_e32 v5, v5, v59
	global_store_byte v5, v4, s[48:49]
	s_or_b32 exec_lo, exec_lo, s23
	v_cmp_lt_u32_e64 s25, v60, v43
	s_and_saveexec_b32 s23, s25
	s_cbranch_execz .LBB1561_501
.LBB1561_573:                           ;   in Loop: Header=BB1561_418 Depth=2
	ds_read_u8 v4, v0 offset:3840
	s_waitcnt lgkmcnt(0)
	v_and_b32_e32 v5, 1, v4
	v_xor_b32_e32 v4, 1, v4
	v_lshrrev_b32_e32 v5, s61, v5
	v_and_b32_e32 v5, s62, v5
	v_lshlrev_b32_e32 v5, 2, v5
	ds_read_b32 v5, v5
	s_waitcnt lgkmcnt(0)
	v_add_nc_u32_e32 v5, v5, v60
	global_store_byte v5, v4, s[48:49]
	s_or_b32 exec_lo, exec_lo, s23
	v_cmp_lt_u32_e64 s24, v61, v43
	s_and_saveexec_b32 s23, s24
	s_cbranch_execz .LBB1561_502
.LBB1561_574:                           ;   in Loop: Header=BB1561_418 Depth=2
	ds_read_u8 v4, v0 offset:4096
	s_waitcnt lgkmcnt(0)
	v_and_b32_e32 v5, 1, v4
	v_xor_b32_e32 v4, 1, v4
	v_lshrrev_b32_e32 v5, s61, v5
	v_and_b32_e32 v5, s62, v5
	v_lshlrev_b32_e32 v5, 2, v5
	ds_read_b32 v5, v5
	s_waitcnt lgkmcnt(0)
	v_add_nc_u32_e32 v5, v5, v61
	global_store_byte v5, v4, s[48:49]
	s_or_b32 exec_lo, exec_lo, s23
	v_cmp_lt_u32_e64 s23, v62, v43
	s_and_saveexec_b32 s40, s23
	s_cbranch_execz .LBB1561_503
.LBB1561_575:                           ;   in Loop: Header=BB1561_418 Depth=2
	ds_read_u8 v4, v0 offset:4352
	s_waitcnt lgkmcnt(0)
	v_and_b32_e32 v5, 1, v4
	v_xor_b32_e32 v4, 1, v4
	v_lshrrev_b32_e32 v5, s61, v5
	v_and_b32_e32 v5, s62, v5
	v_lshlrev_b32_e32 v5, 2, v5
	ds_read_b32 v5, v5
	s_waitcnt lgkmcnt(0)
	v_add_nc_u32_e32 v5, v5, v62
	global_store_byte v5, v4, s[48:49]
	s_or_b32 exec_lo, exec_lo, s40
	v_cmp_lt_u32_e32 vcc_lo, v63, v43
	s_and_saveexec_b32 s40, vcc_lo
	s_cbranch_execnz .LBB1561_504
	s_branch .LBB1561_505
.LBB1561_576:                           ;   in Loop: Header=BB1561_418 Depth=2
	global_load_dwordx2 v[41:42], v[4:5], off
	s_or_b32 exec_lo, exec_lo, s40
	s_mov_b32 s50, exec_lo
	v_cmpx_lt_u32_e64 v101, v43
	s_cbranch_execz .LBB1561_507
.LBB1561_577:                           ;   in Loop: Header=BB1561_418 Depth=2
	global_load_dwordx2 v[39:40], v[4:5], off offset:256
	s_or_b32 exec_lo, exec_lo, s50
	s_mov_b32 s50, exec_lo
	v_cmpx_lt_u32_e64 v102, v43
	s_cbranch_execz .LBB1561_508
.LBB1561_578:                           ;   in Loop: Header=BB1561_418 Depth=2
	global_load_dwordx2 v[37:38], v[4:5], off offset:512
	s_or_b32 exec_lo, exec_lo, s50
	s_mov_b32 s50, exec_lo
	v_cmpx_lt_u32_e64 v103, v43
	s_cbranch_execz .LBB1561_509
.LBB1561_579:                           ;   in Loop: Header=BB1561_418 Depth=2
	global_load_dwordx2 v[35:36], v[4:5], off offset:768
	s_or_b32 exec_lo, exec_lo, s50
	s_mov_b32 s50, exec_lo
	v_cmpx_lt_u32_e64 v104, v43
	s_cbranch_execz .LBB1561_510
.LBB1561_580:                           ;   in Loop: Header=BB1561_418 Depth=2
	global_load_dwordx2 v[33:34], v[4:5], off offset:1024
	s_or_b32 exec_lo, exec_lo, s50
	s_mov_b32 s50, exec_lo
	v_cmpx_lt_u32_e64 v105, v43
	s_cbranch_execz .LBB1561_511
.LBB1561_581:                           ;   in Loop: Header=BB1561_418 Depth=2
	global_load_dwordx2 v[29:30], v[4:5], off offset:1280
	s_or_b32 exec_lo, exec_lo, s50
	s_mov_b32 s50, exec_lo
	v_cmpx_lt_u32_e64 v106, v43
	s_cbranch_execz .LBB1561_512
.LBB1561_582:                           ;   in Loop: Header=BB1561_418 Depth=2
	global_load_dwordx2 v[25:26], v[4:5], off offset:1536
	s_or_b32 exec_lo, exec_lo, s50
	s_mov_b32 s50, exec_lo
	v_cmpx_lt_u32_e64 v107, v43
	s_cbranch_execz .LBB1561_513
.LBB1561_583:                           ;   in Loop: Header=BB1561_418 Depth=2
	global_load_dwordx2 v[21:22], v[4:5], off offset:1792
	s_or_b32 exec_lo, exec_lo, s50
	s_mov_b32 s50, exec_lo
	v_cmpx_lt_u32_e64 v108, v43
	s_cbranch_execz .LBB1561_514
.LBB1561_584:                           ;   in Loop: Header=BB1561_418 Depth=2
	v_add_co_u32 v31, s40, 0x800, v4
	v_add_co_ci_u32_e64 v32, null, 0, v5, s40
	global_load_dwordx2 v[31:32], v[31:32], off
	s_or_b32 exec_lo, exec_lo, s50
	s_mov_b32 s50, exec_lo
	v_cmpx_lt_u32_e64 v109, v43
	s_cbranch_execz .LBB1561_515
.LBB1561_585:                           ;   in Loop: Header=BB1561_418 Depth=2
	v_add_co_u32 v27, s40, 0x800, v4
	v_add_co_ci_u32_e64 v28, null, 0, v5, s40
	global_load_dwordx2 v[27:28], v[27:28], off offset:256
	s_or_b32 exec_lo, exec_lo, s50
	s_mov_b32 s50, exec_lo
	v_cmpx_lt_u32_e64 v110, v43
	s_cbranch_execz .LBB1561_516
.LBB1561_586:                           ;   in Loop: Header=BB1561_418 Depth=2
	v_add_co_u32 v23, s40, 0x800, v4
	v_add_co_ci_u32_e64 v24, null, 0, v5, s40
	global_load_dwordx2 v[23:24], v[23:24], off offset:512
	s_or_b32 exec_lo, exec_lo, s50
	s_mov_b32 s50, exec_lo
	v_cmpx_lt_u32_e64 v111, v43
	s_cbranch_execz .LBB1561_517
.LBB1561_587:                           ;   in Loop: Header=BB1561_418 Depth=2
	v_add_co_u32 v19, s40, 0x800, v4
	v_add_co_ci_u32_e64 v20, null, 0, v5, s40
	global_load_dwordx2 v[19:20], v[19:20], off offset:768
	s_or_b32 exec_lo, exec_lo, s50
	s_mov_b32 s50, exec_lo
	v_cmpx_lt_u32_e64 v112, v43
	s_cbranch_execz .LBB1561_518
.LBB1561_588:                           ;   in Loop: Header=BB1561_418 Depth=2
	v_add_co_u32 v17, s40, 0x800, v4
	v_add_co_ci_u32_e64 v18, null, 0, v5, s40
	global_load_dwordx2 v[17:18], v[17:18], off offset:1024
	s_or_b32 exec_lo, exec_lo, s50
	s_mov_b32 s50, exec_lo
	v_cmpx_lt_u32_e64 v113, v43
	s_cbranch_execz .LBB1561_519
.LBB1561_589:                           ;   in Loop: Header=BB1561_418 Depth=2
	v_add_co_u32 v15, s40, 0x800, v4
	v_add_co_ci_u32_e64 v16, null, 0, v5, s40
	global_load_dwordx2 v[15:16], v[15:16], off offset:1280
	s_or_b32 exec_lo, exec_lo, s50
	s_mov_b32 s50, exec_lo
	v_cmpx_lt_u32_e64 v114, v43
	s_cbranch_execz .LBB1561_520
.LBB1561_590:                           ;   in Loop: Header=BB1561_418 Depth=2
	v_add_co_u32 v13, s40, 0x800, v4
	v_add_co_ci_u32_e64 v14, null, 0, v5, s40
	global_load_dwordx2 v[13:14], v[13:14], off offset:1536
	s_or_b32 exec_lo, exec_lo, s50
	s_mov_b32 s50, exec_lo
	v_cmpx_lt_u32_e64 v115, v43
	s_cbranch_execz .LBB1561_521
.LBB1561_591:                           ;   in Loop: Header=BB1561_418 Depth=2
	v_add_co_u32 v11, s40, 0x800, v4
	v_add_co_ci_u32_e64 v12, null, 0, v5, s40
	global_load_dwordx2 v[11:12], v[11:12], off offset:1792
	s_or_b32 exec_lo, exec_lo, s50
	s_mov_b32 s50, exec_lo
	v_cmpx_lt_u32_e64 v116, v43
	s_cbranch_execz .LBB1561_522
.LBB1561_592:                           ;   in Loop: Header=BB1561_418 Depth=2
	v_add_co_u32 v4, s40, 0x1000, v4
	v_add_co_ci_u32_e64 v5, null, 0, v5, s40
	global_load_dwordx2 v[9:10], v[4:5], off
	s_or_b32 exec_lo, exec_lo, s50
	s_and_saveexec_b32 s40, s39
	s_cbranch_execz .LBB1561_523
.LBB1561_593:                           ;   in Loop: Header=BB1561_418 Depth=2
	ds_read_u8 v4, v0 offset:512
	s_waitcnt lgkmcnt(0)
	v_lshrrev_b32_e32 v4, s61, v4
	v_and_b32_e32 v134, s62, v4
	s_or_b32 exec_lo, exec_lo, s40
	s_and_saveexec_b32 s40, s38
	s_cbranch_execz .LBB1561_524
.LBB1561_594:                           ;   in Loop: Header=BB1561_418 Depth=2
	ds_read_u8 v4, v0 offset:768
	s_waitcnt lgkmcnt(0)
	v_lshrrev_b32_e32 v4, s61, v4
	v_and_b32_e32 v133, s62, v4
	s_or_b32 exec_lo, exec_lo, s40
	s_and_saveexec_b32 s40, s37
	s_cbranch_execz .LBB1561_525
.LBB1561_595:                           ;   in Loop: Header=BB1561_418 Depth=2
	ds_read_u8 v4, v0 offset:1024
	s_waitcnt lgkmcnt(0)
	v_lshrrev_b32_e32 v4, s61, v4
	v_and_b32_e32 v132, s62, v4
	s_or_b32 exec_lo, exec_lo, s40
	s_and_saveexec_b32 s40, s36
	s_cbranch_execz .LBB1561_526
.LBB1561_596:                           ;   in Loop: Header=BB1561_418 Depth=2
	ds_read_u8 v4, v0 offset:1280
	s_waitcnt lgkmcnt(0)
	v_lshrrev_b32_e32 v4, s61, v4
	v_and_b32_e32 v131, s62, v4
	s_or_b32 exec_lo, exec_lo, s40
	s_and_saveexec_b32 s40, s35
	s_cbranch_execz .LBB1561_527
.LBB1561_597:                           ;   in Loop: Header=BB1561_418 Depth=2
	ds_read_u8 v4, v0 offset:1536
	s_waitcnt lgkmcnt(0)
	v_lshrrev_b32_e32 v4, s61, v4
	v_and_b32_e32 v130, s62, v4
	s_or_b32 exec_lo, exec_lo, s40
	s_and_saveexec_b32 s40, s34
	s_cbranch_execz .LBB1561_528
.LBB1561_598:                           ;   in Loop: Header=BB1561_418 Depth=2
	ds_read_u8 v4, v0 offset:1792
	s_waitcnt lgkmcnt(0)
	v_lshrrev_b32_e32 v4, s61, v4
	v_and_b32_e32 v129, s62, v4
	s_or_b32 exec_lo, exec_lo, s40
	s_and_saveexec_b32 s40, s33
	s_cbranch_execz .LBB1561_529
.LBB1561_599:                           ;   in Loop: Header=BB1561_418 Depth=2
	ds_read_u8 v4, v0 offset:2048
	s_waitcnt lgkmcnt(0)
	v_lshrrev_b32_e32 v4, s61, v4
	v_and_b32_e32 v128, s62, v4
	s_or_b32 exec_lo, exec_lo, s40
	s_and_saveexec_b32 s40, s31
	s_cbranch_execz .LBB1561_530
.LBB1561_600:                           ;   in Loop: Header=BB1561_418 Depth=2
	ds_read_u8 v4, v0 offset:2304
	s_waitcnt lgkmcnt(0)
	v_lshrrev_b32_e32 v4, s61, v4
	v_and_b32_e32 v127, s62, v4
	s_or_b32 exec_lo, exec_lo, s40
	s_and_saveexec_b32 s40, s30
	s_cbranch_execz .LBB1561_531
.LBB1561_601:                           ;   in Loop: Header=BB1561_418 Depth=2
	ds_read_u8 v4, v0 offset:2560
	s_waitcnt lgkmcnt(0)
	v_lshrrev_b32_e32 v4, s61, v4
	v_and_b32_e32 v126, s62, v4
	s_or_b32 exec_lo, exec_lo, s40
	s_and_saveexec_b32 s40, s29
	s_cbranch_execz .LBB1561_532
.LBB1561_602:                           ;   in Loop: Header=BB1561_418 Depth=2
	ds_read_u8 v4, v0 offset:2816
	s_waitcnt lgkmcnt(0)
	v_lshrrev_b32_e32 v4, s61, v4
	v_and_b32_e32 v125, s62, v4
	s_or_b32 exec_lo, exec_lo, s40
	s_and_saveexec_b32 s40, s28
	s_cbranch_execz .LBB1561_533
.LBB1561_603:                           ;   in Loop: Header=BB1561_418 Depth=2
	ds_read_u8 v4, v0 offset:3072
	s_waitcnt lgkmcnt(0)
	v_lshrrev_b32_e32 v4, s61, v4
	v_and_b32_e32 v124, s62, v4
	s_or_b32 exec_lo, exec_lo, s40
	s_and_saveexec_b32 s40, s27
	s_cbranch_execz .LBB1561_534
.LBB1561_604:                           ;   in Loop: Header=BB1561_418 Depth=2
	ds_read_u8 v4, v0 offset:3328
	s_waitcnt lgkmcnt(0)
	v_lshrrev_b32_e32 v4, s61, v4
	v_and_b32_e32 v123, s62, v4
	s_or_b32 exec_lo, exec_lo, s40
	s_and_saveexec_b32 s40, s26
	s_cbranch_execz .LBB1561_535
.LBB1561_605:                           ;   in Loop: Header=BB1561_418 Depth=2
	ds_read_u8 v4, v0 offset:3584
	s_waitcnt lgkmcnt(0)
	v_lshrrev_b32_e32 v4, s61, v4
	v_and_b32_e32 v122, s62, v4
	s_or_b32 exec_lo, exec_lo, s40
	s_and_saveexec_b32 s40, s25
	s_cbranch_execz .LBB1561_536
.LBB1561_606:                           ;   in Loop: Header=BB1561_418 Depth=2
	ds_read_u8 v4, v0 offset:3840
	s_waitcnt lgkmcnt(0)
	v_lshrrev_b32_e32 v4, s61, v4
	v_and_b32_e32 v121, s62, v4
	s_or_b32 exec_lo, exec_lo, s40
	s_and_saveexec_b32 s40, s24
	s_cbranch_execz .LBB1561_537
.LBB1561_607:                           ;   in Loop: Header=BB1561_418 Depth=2
	ds_read_u8 v4, v0 offset:4096
	s_waitcnt lgkmcnt(0)
	v_lshrrev_b32_e32 v4, s61, v4
	v_and_b32_e32 v120, s62, v4
	s_or_b32 exec_lo, exec_lo, s40
	s_and_saveexec_b32 s40, s23
	s_cbranch_execz .LBB1561_538
.LBB1561_608:                           ;   in Loop: Header=BB1561_418 Depth=2
	ds_read_u8 v4, v0 offset:4352
	s_waitcnt lgkmcnt(0)
	v_lshrrev_b32_e32 v4, s61, v4
	v_and_b32_e32 v119, s62, v4
	s_or_b32 exec_lo, exec_lo, s40
	s_and_saveexec_b32 s40, vcc_lo
	s_cbranch_execnz .LBB1561_539
	s_branch .LBB1561_540
.LBB1561_609:                           ;   in Loop: Header=BB1561_418 Depth=2
	v_lshlrev_b32_e32 v4, 2, v134
	v_mov_b32_e32 v7, v3
	ds_read_b32 v6, v4
	v_add_nc_u32_e32 v4, v0, v77
	ds_read_b64 v[4:5], v4 offset:512
	s_waitcnt lgkmcnt(1)
	v_add_nc_u32_e32 v6, v6, v0
	v_lshlrev_b64 v[6:7], 3, v[6:7]
	v_add_co_u32 v6, s39, s54, v6
	v_add_co_ci_u32_e64 v7, null, s55, v7, s39
	s_waitcnt lgkmcnt(0)
	global_store_dwordx2 v[6:7], v[4:5], off
	s_or_b32 exec_lo, exec_lo, s40
	s_and_saveexec_b32 s39, s38
	s_cbranch_execz .LBB1561_542
.LBB1561_610:                           ;   in Loop: Header=BB1561_418 Depth=2
	v_lshlrev_b32_e32 v4, 2, v133
	v_mov_b32_e32 v7, v3
	ds_read_b32 v6, v4
	v_add_nc_u32_e32 v4, v0, v77
	ds_read_b64 v[4:5], v4 offset:2560
	s_waitcnt lgkmcnt(1)
	v_add_nc_u32_e32 v6, v6, v46
	v_lshlrev_b64 v[6:7], 3, v[6:7]
	v_add_co_u32 v6, s38, s54, v6
	v_add_co_ci_u32_e64 v7, null, s55, v7, s38
	s_waitcnt lgkmcnt(0)
	global_store_dwordx2 v[6:7], v[4:5], off
	s_or_b32 exec_lo, exec_lo, s39
	s_and_saveexec_b32 s38, s37
	s_cbranch_execz .LBB1561_543
.LBB1561_611:                           ;   in Loop: Header=BB1561_418 Depth=2
	v_lshlrev_b32_e32 v4, 2, v132
	v_mov_b32_e32 v7, v3
	ds_read_b32 v6, v4
	v_add_nc_u32_e32 v4, v0, v77
	ds_read_b64 v[4:5], v4 offset:4608
	s_waitcnt lgkmcnt(1)
	v_add_nc_u32_e32 v6, v6, v49
	v_lshlrev_b64 v[6:7], 3, v[6:7]
	v_add_co_u32 v6, s37, s54, v6
	v_add_co_ci_u32_e64 v7, null, s55, v7, s37
	s_waitcnt lgkmcnt(0)
	global_store_dwordx2 v[6:7], v[4:5], off
	s_or_b32 exec_lo, exec_lo, s38
	s_and_saveexec_b32 s37, s36
	s_cbranch_execz .LBB1561_544
.LBB1561_612:                           ;   in Loop: Header=BB1561_418 Depth=2
	v_lshlrev_b32_e32 v4, 2, v131
	v_mov_b32_e32 v7, v3
	ds_read_b32 v6, v4
	v_add_nc_u32_e32 v4, v0, v77
	ds_read_b64 v[4:5], v4 offset:6656
	s_waitcnt lgkmcnt(1)
	v_add_nc_u32_e32 v6, v6, v50
	v_lshlrev_b64 v[6:7], 3, v[6:7]
	v_add_co_u32 v6, s36, s54, v6
	v_add_co_ci_u32_e64 v7, null, s55, v7, s36
	s_waitcnt lgkmcnt(0)
	global_store_dwordx2 v[6:7], v[4:5], off
	s_or_b32 exec_lo, exec_lo, s37
	s_and_saveexec_b32 s36, s35
	s_cbranch_execz .LBB1561_545
.LBB1561_613:                           ;   in Loop: Header=BB1561_418 Depth=2
	v_lshlrev_b32_e32 v4, 2, v130
	v_mov_b32_e32 v7, v3
	ds_read_b32 v6, v4
	v_add_nc_u32_e32 v4, v0, v77
	ds_read_b64 v[4:5], v4 offset:8704
	s_waitcnt lgkmcnt(1)
	v_add_nc_u32_e32 v6, v6, v51
	v_lshlrev_b64 v[6:7], 3, v[6:7]
	v_add_co_u32 v6, s35, s54, v6
	v_add_co_ci_u32_e64 v7, null, s55, v7, s35
	s_waitcnt lgkmcnt(0)
	global_store_dwordx2 v[6:7], v[4:5], off
	s_or_b32 exec_lo, exec_lo, s36
	s_and_saveexec_b32 s35, s34
	s_cbranch_execz .LBB1561_546
.LBB1561_614:                           ;   in Loop: Header=BB1561_418 Depth=2
	v_lshlrev_b32_e32 v4, 2, v129
	v_mov_b32_e32 v7, v3
	ds_read_b32 v6, v4
	v_add_nc_u32_e32 v4, v0, v77
	ds_read_b64 v[4:5], v4 offset:10752
	s_waitcnt lgkmcnt(1)
	v_add_nc_u32_e32 v6, v6, v52
	v_lshlrev_b64 v[6:7], 3, v[6:7]
	v_add_co_u32 v6, s34, s54, v6
	v_add_co_ci_u32_e64 v7, null, s55, v7, s34
	s_waitcnt lgkmcnt(0)
	global_store_dwordx2 v[6:7], v[4:5], off
	s_or_b32 exec_lo, exec_lo, s35
	s_and_saveexec_b32 s34, s33
	s_cbranch_execz .LBB1561_547
.LBB1561_615:                           ;   in Loop: Header=BB1561_418 Depth=2
	v_lshlrev_b32_e32 v4, 2, v128
	v_mov_b32_e32 v7, v3
	ds_read_b32 v6, v4
	v_add_nc_u32_e32 v4, v0, v77
	ds_read_b64 v[4:5], v4 offset:12800
	s_waitcnt lgkmcnt(1)
	v_add_nc_u32_e32 v6, v6, v53
	v_lshlrev_b64 v[6:7], 3, v[6:7]
	v_add_co_u32 v6, s33, s54, v6
	v_add_co_ci_u32_e64 v7, null, s55, v7, s33
	s_waitcnt lgkmcnt(0)
	global_store_dwordx2 v[6:7], v[4:5], off
	s_or_b32 exec_lo, exec_lo, s34
	s_and_saveexec_b32 s33, s31
	s_cbranch_execz .LBB1561_548
.LBB1561_616:                           ;   in Loop: Header=BB1561_418 Depth=2
	v_lshlrev_b32_e32 v4, 2, v127
	v_mov_b32_e32 v7, v3
	ds_read_b32 v6, v4
	v_add_nc_u32_e32 v4, v0, v77
	ds_read_b64 v[4:5], v4 offset:14848
	s_waitcnt lgkmcnt(1)
	v_add_nc_u32_e32 v6, v6, v54
	v_lshlrev_b64 v[6:7], 3, v[6:7]
	v_add_co_u32 v6, s31, s54, v6
	v_add_co_ci_u32_e64 v7, null, s55, v7, s31
	s_waitcnt lgkmcnt(0)
	global_store_dwordx2 v[6:7], v[4:5], off
	s_or_b32 exec_lo, exec_lo, s33
	s_and_saveexec_b32 s31, s30
	s_cbranch_execz .LBB1561_549
.LBB1561_617:                           ;   in Loop: Header=BB1561_418 Depth=2
	v_lshlrev_b32_e32 v4, 2, v126
	v_mov_b32_e32 v7, v3
	ds_read_b32 v6, v4
	v_add_nc_u32_e32 v4, v0, v77
	ds_read_b64 v[4:5], v4 offset:16896
	s_waitcnt lgkmcnt(1)
	v_add_nc_u32_e32 v6, v6, v55
	v_lshlrev_b64 v[6:7], 3, v[6:7]
	v_add_co_u32 v6, s30, s54, v6
	v_add_co_ci_u32_e64 v7, null, s55, v7, s30
	s_waitcnt lgkmcnt(0)
	global_store_dwordx2 v[6:7], v[4:5], off
	s_or_b32 exec_lo, exec_lo, s31
	s_and_saveexec_b32 s30, s29
	s_cbranch_execz .LBB1561_550
.LBB1561_618:                           ;   in Loop: Header=BB1561_418 Depth=2
	v_lshlrev_b32_e32 v4, 2, v125
	v_mov_b32_e32 v7, v3
	ds_read_b32 v6, v4
	v_add_nc_u32_e32 v4, v0, v77
	ds_read_b64 v[4:5], v4 offset:18944
	s_waitcnt lgkmcnt(1)
	v_add_nc_u32_e32 v6, v6, v56
	v_lshlrev_b64 v[6:7], 3, v[6:7]
	v_add_co_u32 v6, s29, s54, v6
	v_add_co_ci_u32_e64 v7, null, s55, v7, s29
	s_waitcnt lgkmcnt(0)
	global_store_dwordx2 v[6:7], v[4:5], off
	s_or_b32 exec_lo, exec_lo, s30
	s_and_saveexec_b32 s29, s28
	s_cbranch_execz .LBB1561_551
.LBB1561_619:                           ;   in Loop: Header=BB1561_418 Depth=2
	v_lshlrev_b32_e32 v4, 2, v124
	v_mov_b32_e32 v7, v3
	ds_read_b32 v6, v4
	v_add_nc_u32_e32 v4, v0, v77
	ds_read_b64 v[4:5], v4 offset:20992
	s_waitcnt lgkmcnt(1)
	v_add_nc_u32_e32 v6, v6, v57
	v_lshlrev_b64 v[6:7], 3, v[6:7]
	v_add_co_u32 v6, s28, s54, v6
	v_add_co_ci_u32_e64 v7, null, s55, v7, s28
	s_waitcnt lgkmcnt(0)
	global_store_dwordx2 v[6:7], v[4:5], off
	s_or_b32 exec_lo, exec_lo, s29
	s_and_saveexec_b32 s28, s27
	s_cbranch_execz .LBB1561_552
.LBB1561_620:                           ;   in Loop: Header=BB1561_418 Depth=2
	v_lshlrev_b32_e32 v4, 2, v123
	v_mov_b32_e32 v7, v3
	ds_read_b32 v6, v4
	v_add_nc_u32_e32 v4, v0, v77
	ds_read_b64 v[4:5], v4 offset:23040
	s_waitcnt lgkmcnt(1)
	v_add_nc_u32_e32 v6, v6, v58
	v_lshlrev_b64 v[6:7], 3, v[6:7]
	v_add_co_u32 v6, s27, s54, v6
	v_add_co_ci_u32_e64 v7, null, s55, v7, s27
	s_waitcnt lgkmcnt(0)
	global_store_dwordx2 v[6:7], v[4:5], off
	s_or_b32 exec_lo, exec_lo, s28
	s_and_saveexec_b32 s27, s26
	s_cbranch_execz .LBB1561_553
.LBB1561_621:                           ;   in Loop: Header=BB1561_418 Depth=2
	v_lshlrev_b32_e32 v4, 2, v122
	v_mov_b32_e32 v7, v3
	ds_read_b32 v6, v4
	v_add_nc_u32_e32 v4, v0, v77
	ds_read_b64 v[4:5], v4 offset:25088
	s_waitcnt lgkmcnt(1)
	v_add_nc_u32_e32 v6, v6, v59
	v_lshlrev_b64 v[6:7], 3, v[6:7]
	v_add_co_u32 v6, s26, s54, v6
	v_add_co_ci_u32_e64 v7, null, s55, v7, s26
	s_waitcnt lgkmcnt(0)
	global_store_dwordx2 v[6:7], v[4:5], off
	s_or_b32 exec_lo, exec_lo, s27
	s_and_saveexec_b32 s26, s25
	s_cbranch_execz .LBB1561_554
.LBB1561_622:                           ;   in Loop: Header=BB1561_418 Depth=2
	v_lshlrev_b32_e32 v4, 2, v121
	v_mov_b32_e32 v7, v3
	ds_read_b32 v6, v4
	v_add_nc_u32_e32 v4, v0, v77
	ds_read_b64 v[4:5], v4 offset:27136
	s_waitcnt lgkmcnt(1)
	v_add_nc_u32_e32 v6, v6, v60
	v_lshlrev_b64 v[6:7], 3, v[6:7]
	v_add_co_u32 v6, s25, s54, v6
	v_add_co_ci_u32_e64 v7, null, s55, v7, s25
	s_waitcnt lgkmcnt(0)
	global_store_dwordx2 v[6:7], v[4:5], off
	s_or_b32 exec_lo, exec_lo, s26
	s_and_saveexec_b32 s25, s24
	s_cbranch_execz .LBB1561_555
.LBB1561_623:                           ;   in Loop: Header=BB1561_418 Depth=2
	v_lshlrev_b32_e32 v4, 2, v120
	v_mov_b32_e32 v7, v3
	ds_read_b32 v6, v4
	v_add_nc_u32_e32 v4, v0, v77
	ds_read_b64 v[4:5], v4 offset:29184
	s_waitcnt lgkmcnt(1)
	v_add_nc_u32_e32 v6, v6, v61
	v_lshlrev_b64 v[6:7], 3, v[6:7]
	v_add_co_u32 v6, s24, s54, v6
	v_add_co_ci_u32_e64 v7, null, s55, v7, s24
	s_waitcnt lgkmcnt(0)
	global_store_dwordx2 v[6:7], v[4:5], off
	s_or_b32 exec_lo, exec_lo, s25
	s_and_saveexec_b32 s24, s23
	s_cbranch_execz .LBB1561_556
.LBB1561_624:                           ;   in Loop: Header=BB1561_418 Depth=2
	v_lshlrev_b32_e32 v4, 2, v119
	v_mov_b32_e32 v7, v3
	ds_read_b32 v6, v4
	v_add_nc_u32_e32 v4, v0, v77
	ds_read_b64 v[4:5], v4 offset:31232
	s_waitcnt lgkmcnt(1)
	v_add_nc_u32_e32 v6, v6, v62
	v_lshlrev_b64 v[6:7], 3, v[6:7]
	v_add_co_u32 v6, s23, s54, v6
	v_add_co_ci_u32_e64 v7, null, s55, v7, s23
	s_waitcnt lgkmcnt(0)
	global_store_dwordx2 v[6:7], v[4:5], off
	s_or_b32 exec_lo, exec_lo, s24
	s_and_saveexec_b32 s23, vcc_lo
	s_cbranch_execnz .LBB1561_557
	s_branch .LBB1561_558
.LBB1561_625:                           ;   in Loop: Header=BB1561_418 Depth=2
	global_load_ubyte v4, v[43:44], off
	v_mov_b32_e32 v5, v3
	v_mov_b32_e32 v6, v3
	;; [unrolled: 1-line block ×4, first 2 shown]
	s_or_b32 exec_lo, exec_lo, s23
	s_mov_b32 s23, exec_lo
	v_cmpx_gt_u32_e64 s63, v101
	s_cbranch_execz .LBB1561_423
.LBB1561_626:                           ;   in Loop: Header=BB1561_418 Depth=2
	global_load_ubyte v137, v[43:44], off offset:32
	v_and_b32_e32 v8, 0xff, v8
	s_waitcnt vmcnt(0)
	v_perm_b32 v4, v4, v137, 0x7060004
	s_or_b32 exec_lo, exec_lo, s23
	s_mov_b32 s23, exec_lo
	v_cmpx_gt_u32_e64 s63, v102
	s_cbranch_execz .LBB1561_424
.LBB1561_627:                           ;   in Loop: Header=BB1561_418 Depth=2
	global_load_ubyte v137, v[43:44], off offset:64
	v_and_b32_e32 v8, 0xff, v8
	s_waitcnt vmcnt(0)
	v_perm_b32 v4, v4, v137, 0x7000504
	s_or_b32 exec_lo, exec_lo, s23
	s_mov_b32 s23, exec_lo
	v_cmpx_gt_u32_e64 s63, v103
	s_cbranch_execz .LBB1561_425
.LBB1561_628:                           ;   in Loop: Header=BB1561_418 Depth=2
	global_load_ubyte v137, v[43:44], off offset:96
	v_and_b32_e32 v8, 0xff, v8
	s_waitcnt vmcnt(0)
	v_perm_b32 v4, v4, v137, 0x60504
	s_or_b32 exec_lo, exec_lo, s23
	s_mov_b32 s23, exec_lo
	v_cmpx_gt_u32_e64 s63, v104
	s_cbranch_execz .LBB1561_426
.LBB1561_629:                           ;   in Loop: Header=BB1561_418 Depth=2
	global_load_ubyte v137, v[43:44], off offset:128
	v_and_b32_e32 v8, 0xff, v8
	s_waitcnt vmcnt(0)
	v_perm_b32 v5, v137, v5, 0x3020104
	s_or_b32 exec_lo, exec_lo, s23
	s_mov_b32 s23, exec_lo
	v_cmpx_gt_u32_e64 s63, v105
	s_cbranch_execz .LBB1561_427
.LBB1561_630:                           ;   in Loop: Header=BB1561_418 Depth=2
	global_load_ubyte v137, v[43:44], off offset:160
	v_and_b32_e32 v8, 0xff, v8
	s_waitcnt vmcnt(0)
	v_perm_b32 v5, v5, v137, 0x7060004
	s_or_b32 exec_lo, exec_lo, s23
	s_mov_b32 s23, exec_lo
	v_cmpx_gt_u32_e64 s63, v106
	s_cbranch_execz .LBB1561_428
.LBB1561_631:                           ;   in Loop: Header=BB1561_418 Depth=2
	global_load_ubyte v137, v[43:44], off offset:192
	v_and_b32_e32 v8, 0xff, v8
	s_waitcnt vmcnt(0)
	v_perm_b32 v5, v5, v137, 0x7000504
	s_or_b32 exec_lo, exec_lo, s23
	s_mov_b32 s23, exec_lo
	v_cmpx_gt_u32_e64 s63, v107
	s_cbranch_execz .LBB1561_429
.LBB1561_632:                           ;   in Loop: Header=BB1561_418 Depth=2
	global_load_ubyte v137, v[43:44], off offset:224
	v_and_b32_e32 v8, 0xff, v8
	s_waitcnt vmcnt(0)
	v_perm_b32 v5, v5, v137, 0x60504
	s_or_b32 exec_lo, exec_lo, s23
	s_mov_b32 s23, exec_lo
	v_cmpx_gt_u32_e64 s63, v108
	s_cbranch_execz .LBB1561_430
.LBB1561_633:                           ;   in Loop: Header=BB1561_418 Depth=2
	global_load_ubyte v137, v[43:44], off offset:256
	v_and_b32_e32 v8, 0xff, v8
	s_waitcnt vmcnt(0)
	v_perm_b32 v6, v137, v6, 0x3020104
	s_or_b32 exec_lo, exec_lo, s23
	s_mov_b32 s23, exec_lo
	v_cmpx_gt_u32_e64 s63, v109
	s_cbranch_execz .LBB1561_431
.LBB1561_634:                           ;   in Loop: Header=BB1561_418 Depth=2
	global_load_ubyte v137, v[43:44], off offset:288
	v_and_b32_e32 v8, 0xff, v8
	s_waitcnt vmcnt(0)
	v_perm_b32 v6, v6, v137, 0x7060004
	s_or_b32 exec_lo, exec_lo, s23
	s_mov_b32 s23, exec_lo
	v_cmpx_gt_u32_e64 s63, v110
	s_cbranch_execz .LBB1561_432
.LBB1561_635:                           ;   in Loop: Header=BB1561_418 Depth=2
	global_load_ubyte v137, v[43:44], off offset:320
	v_and_b32_e32 v8, 0xff, v8
	s_waitcnt vmcnt(0)
	v_perm_b32 v6, v6, v137, 0x7000504
	s_or_b32 exec_lo, exec_lo, s23
	s_mov_b32 s23, exec_lo
	v_cmpx_gt_u32_e64 s63, v111
	s_cbranch_execz .LBB1561_433
.LBB1561_636:                           ;   in Loop: Header=BB1561_418 Depth=2
	global_load_ubyte v137, v[43:44], off offset:352
	v_and_b32_e32 v8, 0xff, v8
	s_waitcnt vmcnt(0)
	v_perm_b32 v6, v6, v137, 0x60504
	s_or_b32 exec_lo, exec_lo, s23
	s_mov_b32 s23, exec_lo
	v_cmpx_gt_u32_e64 s63, v112
	s_cbranch_execz .LBB1561_434
.LBB1561_637:                           ;   in Loop: Header=BB1561_418 Depth=2
	global_load_ubyte v137, v[43:44], off offset:384
	v_and_b32_e32 v8, 0xff, v8
	s_waitcnt vmcnt(0)
	v_perm_b32 v7, v137, v7, 0x3020104
	s_or_b32 exec_lo, exec_lo, s23
	s_mov_b32 s23, exec_lo
	v_cmpx_gt_u32_e64 s63, v113
	s_cbranch_execz .LBB1561_435
.LBB1561_638:                           ;   in Loop: Header=BB1561_418 Depth=2
	global_load_ubyte v137, v[43:44], off offset:416
	v_and_b32_e32 v8, 0xff, v8
	s_waitcnt vmcnt(0)
	v_perm_b32 v7, v7, v137, 0x7060004
	s_or_b32 exec_lo, exec_lo, s23
	s_mov_b32 s23, exec_lo
	v_cmpx_gt_u32_e64 s63, v114
	s_cbranch_execz .LBB1561_436
.LBB1561_639:                           ;   in Loop: Header=BB1561_418 Depth=2
	global_load_ubyte v137, v[43:44], off offset:448
	v_and_b32_e32 v8, 0xff, v8
	s_waitcnt vmcnt(0)
	v_perm_b32 v7, v7, v137, 0x7000504
	s_or_b32 exec_lo, exec_lo, s23
	s_mov_b32 s23, exec_lo
	v_cmpx_gt_u32_e64 s63, v115
	s_cbranch_execnz .LBB1561_437
	s_branch .LBB1561_438
.LBB1561_640:                           ;   in Loop: Header=BB1561_20 Depth=1
	s_waitcnt lgkmcnt(0)
	s_barrier
.LBB1561_641:                           ;   in Loop: Header=BB1561_20 Depth=1
	s_mov_b32 s5, 0
.LBB1561_642:                           ;   in Loop: Header=BB1561_20 Depth=1
	s_andn2_b32 vcc_lo, exec_lo, s5
	s_cbranch_vccnz .LBB1561_19
; %bb.643:                              ;   in Loop: Header=BB1561_20 Depth=1
	s_and_b32 vcc_lo, exec_lo, s43
	s_mov_b32 s5, -1
	s_cbranch_vccz .LBB1561_953
; %bb.644:                              ;   in Loop: Header=BB1561_20 Depth=1
	v_mov_b32_e32 v17, 0
	v_mov_b32_e32 v20, 0
	;; [unrolled: 1-line block ×17, first 2 shown]
	s_mov_b32 s5, s60
	s_mov_b32 s17, s58
	s_barrier
	buffer_gl0_inv
	s_branch .LBB1561_646
.LBB1561_645:                           ;   in Loop: Header=BB1561_646 Depth=2
	s_or_b32 exec_lo, exec_lo, s16
	s_addk_i32 s5, 0xef00
	s_cmp_ge_u32 s15, s59
	s_mov_b32 s17, s15
	s_cbranch_scc1 .LBB1561_718
.LBB1561_646:                           ;   Parent Loop BB1561_20 Depth=1
                                        ; =>  This Inner Loop Header: Depth=2
	s_add_i32 s15, s17, 0x1100
	s_mov_b32 s16, -1
	s_cmp_gt_u32 s15, s59
                                        ; implicit-def: $vgpr21
                                        ; implicit-def: $vgpr22
                                        ; implicit-def: $vgpr23
                                        ; implicit-def: $vgpr24
                                        ; implicit-def: $vgpr25
                                        ; implicit-def: $vgpr26
                                        ; implicit-def: $vgpr27
                                        ; implicit-def: $vgpr28
                                        ; implicit-def: $vgpr29
                                        ; implicit-def: $vgpr30
                                        ; implicit-def: $vgpr31
                                        ; implicit-def: $vgpr32
                                        ; implicit-def: $vgpr33
                                        ; implicit-def: $vgpr34
                                        ; implicit-def: $vgpr35
                                        ; implicit-def: $vgpr36
                                        ; implicit-def: $vgpr37
	s_cbranch_scc1 .LBB1561_648
; %bb.647:                              ;   in Loop: Header=BB1561_646 Depth=2
	v_add_co_u32 v38, vcc_lo, v84, s17
	v_add_co_ci_u32_e64 v39, null, 0, v85, vcc_lo
	s_mov_b32 s16, 0
	v_add_co_u32 v21, vcc_lo, 0x800, v38
	v_add_co_ci_u32_e64 v22, null, 0, v39, vcc_lo
	v_add_co_u32 v23, vcc_lo, 0x1000, v38
	v_add_co_ci_u32_e64 v24, null, 0, v39, vcc_lo
	s_clause 0x10
	global_load_ubyte v36, v[21:22], off offset:1792
	global_load_ubyte v37, v[23:24], off
	global_load_ubyte v35, v[21:22], off offset:1536
	global_load_ubyte v34, v[21:22], off offset:1280
	;; [unrolled: 1-line block ×6, first 2 shown]
	global_load_ubyte v29, v[21:22], off
	global_load_ubyte v28, v[38:39], off offset:1792
	global_load_ubyte v27, v[38:39], off offset:1536
	;; [unrolled: 1-line block ×7, first 2 shown]
	global_load_ubyte v21, v[38:39], off
.LBB1561_648:                           ;   in Loop: Header=BB1561_646 Depth=2
	s_andn2_b32 vcc_lo, exec_lo, s16
	s_movk_i32 s16, 0x1100
	s_cbranch_vccnz .LBB1561_668
; %bb.649:                              ;   in Loop: Header=BB1561_646 Depth=2
	s_add_u32 s16, s44, s17
	s_addc_u32 s17, s45, 0
	s_mov_b32 s18, exec_lo
	v_cmpx_gt_u32_e64 s5, v0
	s_cbranch_execnz .LBB1561_702
; %bb.650:                              ;   in Loop: Header=BB1561_646 Depth=2
	s_or_b32 exec_lo, exec_lo, s18
	s_mov_b32 s18, exec_lo
	v_cmpx_gt_u32_e64 s5, v46
	s_cbranch_execnz .LBB1561_703
.LBB1561_651:                           ;   in Loop: Header=BB1561_646 Depth=2
	s_or_b32 exec_lo, exec_lo, s18
	s_mov_b32 s18, exec_lo
	v_cmpx_gt_u32_e64 s5, v49
	s_cbranch_execnz .LBB1561_704
.LBB1561_652:                           ;   in Loop: Header=BB1561_646 Depth=2
	s_or_b32 exec_lo, exec_lo, s18
	s_mov_b32 s18, exec_lo
	v_cmpx_gt_u32_e64 s5, v50
	s_cbranch_execnz .LBB1561_705
.LBB1561_653:                           ;   in Loop: Header=BB1561_646 Depth=2
	s_or_b32 exec_lo, exec_lo, s18
	s_mov_b32 s18, exec_lo
	v_cmpx_gt_u32_e64 s5, v51
	s_cbranch_execnz .LBB1561_706
.LBB1561_654:                           ;   in Loop: Header=BB1561_646 Depth=2
	s_or_b32 exec_lo, exec_lo, s18
	s_mov_b32 s18, exec_lo
	v_cmpx_gt_u32_e64 s5, v52
	s_cbranch_execnz .LBB1561_707
.LBB1561_655:                           ;   in Loop: Header=BB1561_646 Depth=2
	s_or_b32 exec_lo, exec_lo, s18
	s_mov_b32 s18, exec_lo
	v_cmpx_gt_u32_e64 s5, v53
	s_cbranch_execnz .LBB1561_708
.LBB1561_656:                           ;   in Loop: Header=BB1561_646 Depth=2
	s_or_b32 exec_lo, exec_lo, s18
	s_mov_b32 s18, exec_lo
	v_cmpx_gt_u32_e64 s5, v54
	s_cbranch_execnz .LBB1561_709
.LBB1561_657:                           ;   in Loop: Header=BB1561_646 Depth=2
	s_or_b32 exec_lo, exec_lo, s18
	s_mov_b32 s18, exec_lo
	v_cmpx_gt_u32_e64 s5, v55
	s_cbranch_execnz .LBB1561_710
.LBB1561_658:                           ;   in Loop: Header=BB1561_646 Depth=2
	s_or_b32 exec_lo, exec_lo, s18
	s_mov_b32 s18, exec_lo
	v_cmpx_gt_u32_e64 s5, v56
	s_cbranch_execnz .LBB1561_711
.LBB1561_659:                           ;   in Loop: Header=BB1561_646 Depth=2
	s_or_b32 exec_lo, exec_lo, s18
	s_mov_b32 s18, exec_lo
	v_cmpx_gt_u32_e64 s5, v57
	s_cbranch_execnz .LBB1561_712
.LBB1561_660:                           ;   in Loop: Header=BB1561_646 Depth=2
	s_or_b32 exec_lo, exec_lo, s18
	s_mov_b32 s18, exec_lo
	v_cmpx_gt_u32_e64 s5, v58
	s_cbranch_execnz .LBB1561_713
.LBB1561_661:                           ;   in Loop: Header=BB1561_646 Depth=2
	s_or_b32 exec_lo, exec_lo, s18
	s_mov_b32 s18, exec_lo
	v_cmpx_gt_u32_e64 s5, v59
	s_cbranch_execnz .LBB1561_714
.LBB1561_662:                           ;   in Loop: Header=BB1561_646 Depth=2
	s_or_b32 exec_lo, exec_lo, s18
	s_mov_b32 s18, exec_lo
	v_cmpx_gt_u32_e64 s5, v60
	s_cbranch_execnz .LBB1561_715
.LBB1561_663:                           ;   in Loop: Header=BB1561_646 Depth=2
	s_or_b32 exec_lo, exec_lo, s18
	s_mov_b32 s18, exec_lo
	v_cmpx_gt_u32_e64 s5, v61
	s_cbranch_execnz .LBB1561_716
.LBB1561_664:                           ;   in Loop: Header=BB1561_646 Depth=2
	s_or_b32 exec_lo, exec_lo, s18
	s_mov_b32 s18, exec_lo
	v_cmpx_gt_u32_e64 s5, v62
	s_cbranch_execnz .LBB1561_717
.LBB1561_665:                           ;   in Loop: Header=BB1561_646 Depth=2
	s_or_b32 exec_lo, exec_lo, s18
	s_mov_b32 s18, exec_lo
	v_cmpx_gt_u32_e64 s5, v63
	s_cbranch_execz .LBB1561_667
.LBB1561_666:                           ;   in Loop: Header=BB1561_646 Depth=2
	s_waitcnt vmcnt(0)
	v_add_co_u32 v21, s16, s16, v63
	v_add_co_ci_u32_e64 v22, null, s17, 0, s16
	global_load_ubyte v4, v[21:22], off
.LBB1561_667:                           ;   in Loop: Header=BB1561_646 Depth=2
	s_or_b32 exec_lo, exec_lo, s18
	s_waitcnt vmcnt(0)
	v_mov_b32_e32 v21, v17
	v_mov_b32_e32 v22, v20
	v_mov_b32_e32 v23, v19
	v_mov_b32_e32 v24, v18
	v_mov_b32_e32 v25, v16
	v_mov_b32_e32 v26, v15
	v_mov_b32_e32 v27, v14
	v_mov_b32_e32 v28, v13
	v_mov_b32_e32 v29, v12
	v_mov_b32_e32 v30, v11
	v_mov_b32_e32 v31, v10
	v_mov_b32_e32 v32, v9
	v_mov_b32_e32 v33, v8
	v_mov_b32_e32 v34, v7
	v_mov_b32_e32 v35, v6
	v_mov_b32_e32 v36, v5
	v_mov_b32_e32 v37, v4
	s_mov_b32 s16, s5
.LBB1561_668:                           ;   in Loop: Header=BB1561_646 Depth=2
	s_waitcnt vmcnt(15)
	v_mov_b32_e32 v4, v37
	v_mov_b32_e32 v5, v36
	s_waitcnt vmcnt(14)
	v_mov_b32_e32 v6, v35
	s_waitcnt vmcnt(13)
	;; [unrolled: 2-line block ×15, first 2 shown]
	v_mov_b32_e32 v17, v21
	s_mov_b32 s17, exec_lo
	v_cmpx_gt_u32_e64 s16, v0
	s_cbranch_execnz .LBB1561_685
; %bb.669:                              ;   in Loop: Header=BB1561_646 Depth=2
	s_or_b32 exec_lo, exec_lo, s17
	s_mov_b32 s17, exec_lo
	v_cmpx_gt_u32_e64 s16, v46
	s_cbranch_execnz .LBB1561_686
.LBB1561_670:                           ;   in Loop: Header=BB1561_646 Depth=2
	s_or_b32 exec_lo, exec_lo, s17
	s_mov_b32 s17, exec_lo
	v_cmpx_gt_u32_e64 s16, v49
	s_cbranch_execnz .LBB1561_687
.LBB1561_671:                           ;   in Loop: Header=BB1561_646 Depth=2
	s_or_b32 exec_lo, exec_lo, s17
	s_mov_b32 s17, exec_lo
	v_cmpx_gt_u32_e64 s16, v50
	s_cbranch_execnz .LBB1561_688
.LBB1561_672:                           ;   in Loop: Header=BB1561_646 Depth=2
	s_or_b32 exec_lo, exec_lo, s17
	s_mov_b32 s17, exec_lo
	v_cmpx_gt_u32_e64 s16, v51
	s_cbranch_execnz .LBB1561_689
.LBB1561_673:                           ;   in Loop: Header=BB1561_646 Depth=2
	s_or_b32 exec_lo, exec_lo, s17
	s_mov_b32 s17, exec_lo
	v_cmpx_gt_u32_e64 s16, v52
	s_cbranch_execnz .LBB1561_690
.LBB1561_674:                           ;   in Loop: Header=BB1561_646 Depth=2
	s_or_b32 exec_lo, exec_lo, s17
	s_mov_b32 s17, exec_lo
	v_cmpx_gt_u32_e64 s16, v53
	s_cbranch_execnz .LBB1561_691
.LBB1561_675:                           ;   in Loop: Header=BB1561_646 Depth=2
	s_or_b32 exec_lo, exec_lo, s17
	s_mov_b32 s17, exec_lo
	v_cmpx_gt_u32_e64 s16, v54
	s_cbranch_execnz .LBB1561_692
.LBB1561_676:                           ;   in Loop: Header=BB1561_646 Depth=2
	s_or_b32 exec_lo, exec_lo, s17
	s_mov_b32 s17, exec_lo
	v_cmpx_gt_u32_e64 s16, v55
	s_cbranch_execnz .LBB1561_693
.LBB1561_677:                           ;   in Loop: Header=BB1561_646 Depth=2
	s_or_b32 exec_lo, exec_lo, s17
	s_mov_b32 s17, exec_lo
	v_cmpx_gt_u32_e64 s16, v56
	s_cbranch_execnz .LBB1561_694
.LBB1561_678:                           ;   in Loop: Header=BB1561_646 Depth=2
	s_or_b32 exec_lo, exec_lo, s17
	s_mov_b32 s17, exec_lo
	v_cmpx_gt_u32_e64 s16, v57
	s_cbranch_execnz .LBB1561_695
.LBB1561_679:                           ;   in Loop: Header=BB1561_646 Depth=2
	s_or_b32 exec_lo, exec_lo, s17
	s_mov_b32 s17, exec_lo
	v_cmpx_gt_u32_e64 s16, v58
	s_cbranch_execnz .LBB1561_696
.LBB1561_680:                           ;   in Loop: Header=BB1561_646 Depth=2
	s_or_b32 exec_lo, exec_lo, s17
	s_mov_b32 s17, exec_lo
	v_cmpx_gt_u32_e64 s16, v59
	s_cbranch_execnz .LBB1561_697
.LBB1561_681:                           ;   in Loop: Header=BB1561_646 Depth=2
	s_or_b32 exec_lo, exec_lo, s17
	s_mov_b32 s17, exec_lo
	v_cmpx_gt_u32_e64 s16, v60
	s_cbranch_execnz .LBB1561_698
.LBB1561_682:                           ;   in Loop: Header=BB1561_646 Depth=2
	s_or_b32 exec_lo, exec_lo, s17
	s_mov_b32 s17, exec_lo
	v_cmpx_gt_u32_e64 s16, v61
	s_cbranch_execnz .LBB1561_699
.LBB1561_683:                           ;   in Loop: Header=BB1561_646 Depth=2
	s_or_b32 exec_lo, exec_lo, s17
	s_mov_b32 s17, exec_lo
	v_cmpx_gt_u32_e64 s16, v62
	s_cbranch_execnz .LBB1561_700
.LBB1561_684:                           ;   in Loop: Header=BB1561_646 Depth=2
	s_or_b32 exec_lo, exec_lo, s17
	v_cmp_gt_u32_e32 vcc_lo, s16, v63
	s_and_saveexec_b32 s16, vcc_lo
	s_cbranch_execz .LBB1561_645
	s_branch .LBB1561_701
.LBB1561_685:                           ;   in Loop: Header=BB1561_646 Depth=2
	v_xor_b32_e32 v21, -1, v17
	v_and_b32_e32 v21, 1, v21
	v_lshrrev_b32_sdwa v21, s41, v21 dst_sel:DWORD dst_unused:UNUSED_PAD src0_sel:DWORD src1_sel:WORD_0
	v_and_b32_e32 v21, s62, v21
	v_lshl_or_b32 v21, v21, 4, v65
	ds_add_u32 v21, v91
	s_or_b32 exec_lo, exec_lo, s17
	s_mov_b32 s17, exec_lo
	v_cmpx_gt_u32_e64 s16, v46
	s_cbranch_execz .LBB1561_670
.LBB1561_686:                           ;   in Loop: Header=BB1561_646 Depth=2
	v_xor_b32_e32 v21, -1, v20
	v_and_b32_e32 v21, 1, v21
	v_lshrrev_b32_sdwa v21, s41, v21 dst_sel:DWORD dst_unused:UNUSED_PAD src0_sel:DWORD src1_sel:WORD_0
	v_and_b32_e32 v21, s62, v21
	v_lshl_or_b32 v21, v21, 4, v65
	ds_add_u32 v21, v91
	s_or_b32 exec_lo, exec_lo, s17
	s_mov_b32 s17, exec_lo
	v_cmpx_gt_u32_e64 s16, v49
	s_cbranch_execz .LBB1561_671
.LBB1561_687:                           ;   in Loop: Header=BB1561_646 Depth=2
	v_xor_b32_e32 v21, -1, v19
	v_and_b32_e32 v21, 1, v21
	v_lshrrev_b32_sdwa v21, s41, v21 dst_sel:DWORD dst_unused:UNUSED_PAD src0_sel:DWORD src1_sel:WORD_0
	v_and_b32_e32 v21, s62, v21
	v_lshl_or_b32 v21, v21, 4, v65
	ds_add_u32 v21, v91
	s_or_b32 exec_lo, exec_lo, s17
	s_mov_b32 s17, exec_lo
	v_cmpx_gt_u32_e64 s16, v50
	s_cbranch_execz .LBB1561_672
.LBB1561_688:                           ;   in Loop: Header=BB1561_646 Depth=2
	v_xor_b32_e32 v21, -1, v18
	v_and_b32_e32 v21, 1, v21
	v_lshrrev_b32_sdwa v21, s41, v21 dst_sel:DWORD dst_unused:UNUSED_PAD src0_sel:DWORD src1_sel:WORD_0
	v_and_b32_e32 v21, s62, v21
	v_lshl_or_b32 v21, v21, 4, v65
	ds_add_u32 v21, v91
	s_or_b32 exec_lo, exec_lo, s17
	s_mov_b32 s17, exec_lo
	v_cmpx_gt_u32_e64 s16, v51
	s_cbranch_execz .LBB1561_673
.LBB1561_689:                           ;   in Loop: Header=BB1561_646 Depth=2
	v_xor_b32_e32 v21, -1, v16
	v_and_b32_e32 v21, 1, v21
	v_lshrrev_b32_sdwa v21, s41, v21 dst_sel:DWORD dst_unused:UNUSED_PAD src0_sel:DWORD src1_sel:WORD_0
	v_and_b32_e32 v21, s62, v21
	v_lshl_or_b32 v21, v21, 4, v65
	ds_add_u32 v21, v91
	s_or_b32 exec_lo, exec_lo, s17
	s_mov_b32 s17, exec_lo
	v_cmpx_gt_u32_e64 s16, v52
	s_cbranch_execz .LBB1561_674
.LBB1561_690:                           ;   in Loop: Header=BB1561_646 Depth=2
	v_xor_b32_e32 v21, -1, v15
	v_and_b32_e32 v21, 1, v21
	v_lshrrev_b32_sdwa v21, s41, v21 dst_sel:DWORD dst_unused:UNUSED_PAD src0_sel:DWORD src1_sel:WORD_0
	v_and_b32_e32 v21, s62, v21
	v_lshl_or_b32 v21, v21, 4, v65
	ds_add_u32 v21, v91
	s_or_b32 exec_lo, exec_lo, s17
	s_mov_b32 s17, exec_lo
	v_cmpx_gt_u32_e64 s16, v53
	s_cbranch_execz .LBB1561_675
.LBB1561_691:                           ;   in Loop: Header=BB1561_646 Depth=2
	v_xor_b32_e32 v21, -1, v14
	v_and_b32_e32 v21, 1, v21
	v_lshrrev_b32_sdwa v21, s41, v21 dst_sel:DWORD dst_unused:UNUSED_PAD src0_sel:DWORD src1_sel:WORD_0
	v_and_b32_e32 v21, s62, v21
	v_lshl_or_b32 v21, v21, 4, v65
	ds_add_u32 v21, v91
	s_or_b32 exec_lo, exec_lo, s17
	s_mov_b32 s17, exec_lo
	v_cmpx_gt_u32_e64 s16, v54
	s_cbranch_execz .LBB1561_676
.LBB1561_692:                           ;   in Loop: Header=BB1561_646 Depth=2
	v_xor_b32_e32 v21, -1, v13
	v_and_b32_e32 v21, 1, v21
	v_lshrrev_b32_sdwa v21, s41, v21 dst_sel:DWORD dst_unused:UNUSED_PAD src0_sel:DWORD src1_sel:WORD_0
	v_and_b32_e32 v21, s62, v21
	v_lshl_or_b32 v21, v21, 4, v65
	ds_add_u32 v21, v91
	s_or_b32 exec_lo, exec_lo, s17
	s_mov_b32 s17, exec_lo
	v_cmpx_gt_u32_e64 s16, v55
	s_cbranch_execz .LBB1561_677
.LBB1561_693:                           ;   in Loop: Header=BB1561_646 Depth=2
	v_xor_b32_e32 v21, -1, v12
	v_and_b32_e32 v21, 1, v21
	v_lshrrev_b32_sdwa v21, s41, v21 dst_sel:DWORD dst_unused:UNUSED_PAD src0_sel:DWORD src1_sel:WORD_0
	v_and_b32_e32 v21, s62, v21
	v_lshl_or_b32 v21, v21, 4, v65
	ds_add_u32 v21, v91
	s_or_b32 exec_lo, exec_lo, s17
	s_mov_b32 s17, exec_lo
	v_cmpx_gt_u32_e64 s16, v56
	s_cbranch_execz .LBB1561_678
.LBB1561_694:                           ;   in Loop: Header=BB1561_646 Depth=2
	v_xor_b32_e32 v21, -1, v11
	v_and_b32_e32 v21, 1, v21
	v_lshrrev_b32_sdwa v21, s41, v21 dst_sel:DWORD dst_unused:UNUSED_PAD src0_sel:DWORD src1_sel:WORD_0
	v_and_b32_e32 v21, s62, v21
	v_lshl_or_b32 v21, v21, 4, v65
	ds_add_u32 v21, v91
	s_or_b32 exec_lo, exec_lo, s17
	s_mov_b32 s17, exec_lo
	v_cmpx_gt_u32_e64 s16, v57
	s_cbranch_execz .LBB1561_679
.LBB1561_695:                           ;   in Loop: Header=BB1561_646 Depth=2
	v_xor_b32_e32 v21, -1, v10
	v_and_b32_e32 v21, 1, v21
	v_lshrrev_b32_sdwa v21, s41, v21 dst_sel:DWORD dst_unused:UNUSED_PAD src0_sel:DWORD src1_sel:WORD_0
	v_and_b32_e32 v21, s62, v21
	v_lshl_or_b32 v21, v21, 4, v65
	ds_add_u32 v21, v91
	s_or_b32 exec_lo, exec_lo, s17
	s_mov_b32 s17, exec_lo
	v_cmpx_gt_u32_e64 s16, v58
	s_cbranch_execz .LBB1561_680
.LBB1561_696:                           ;   in Loop: Header=BB1561_646 Depth=2
	v_xor_b32_e32 v21, -1, v9
	v_and_b32_e32 v21, 1, v21
	v_lshrrev_b32_sdwa v21, s41, v21 dst_sel:DWORD dst_unused:UNUSED_PAD src0_sel:DWORD src1_sel:WORD_0
	v_and_b32_e32 v21, s62, v21
	v_lshl_or_b32 v21, v21, 4, v65
	ds_add_u32 v21, v91
	s_or_b32 exec_lo, exec_lo, s17
	s_mov_b32 s17, exec_lo
	v_cmpx_gt_u32_e64 s16, v59
	s_cbranch_execz .LBB1561_681
.LBB1561_697:                           ;   in Loop: Header=BB1561_646 Depth=2
	v_xor_b32_e32 v21, -1, v8
	v_and_b32_e32 v21, 1, v21
	v_lshrrev_b32_sdwa v21, s41, v21 dst_sel:DWORD dst_unused:UNUSED_PAD src0_sel:DWORD src1_sel:WORD_0
	v_and_b32_e32 v21, s62, v21
	v_lshl_or_b32 v21, v21, 4, v65
	ds_add_u32 v21, v91
	s_or_b32 exec_lo, exec_lo, s17
	s_mov_b32 s17, exec_lo
	v_cmpx_gt_u32_e64 s16, v60
	s_cbranch_execz .LBB1561_682
.LBB1561_698:                           ;   in Loop: Header=BB1561_646 Depth=2
	v_xor_b32_e32 v21, -1, v7
	v_and_b32_e32 v21, 1, v21
	v_lshrrev_b32_sdwa v21, s41, v21 dst_sel:DWORD dst_unused:UNUSED_PAD src0_sel:DWORD src1_sel:WORD_0
	v_and_b32_e32 v21, s62, v21
	v_lshl_or_b32 v21, v21, 4, v65
	ds_add_u32 v21, v91
	s_or_b32 exec_lo, exec_lo, s17
	s_mov_b32 s17, exec_lo
	v_cmpx_gt_u32_e64 s16, v61
	s_cbranch_execz .LBB1561_683
.LBB1561_699:                           ;   in Loop: Header=BB1561_646 Depth=2
	v_xor_b32_e32 v21, -1, v6
	v_and_b32_e32 v21, 1, v21
	v_lshrrev_b32_sdwa v21, s41, v21 dst_sel:DWORD dst_unused:UNUSED_PAD src0_sel:DWORD src1_sel:WORD_0
	v_and_b32_e32 v21, s62, v21
	v_lshl_or_b32 v21, v21, 4, v65
	ds_add_u32 v21, v91
	s_or_b32 exec_lo, exec_lo, s17
	s_mov_b32 s17, exec_lo
	v_cmpx_gt_u32_e64 s16, v62
	s_cbranch_execz .LBB1561_684
.LBB1561_700:                           ;   in Loop: Header=BB1561_646 Depth=2
	v_xor_b32_e32 v21, -1, v5
	v_and_b32_e32 v21, 1, v21
	v_lshrrev_b32_sdwa v21, s41, v21 dst_sel:DWORD dst_unused:UNUSED_PAD src0_sel:DWORD src1_sel:WORD_0
	v_and_b32_e32 v21, s62, v21
	v_lshl_or_b32 v21, v21, 4, v65
	ds_add_u32 v21, v91
	s_or_b32 exec_lo, exec_lo, s17
	v_cmp_gt_u32_e32 vcc_lo, s16, v63
	s_and_saveexec_b32 s16, vcc_lo
	s_cbranch_execz .LBB1561_645
.LBB1561_701:                           ;   in Loop: Header=BB1561_646 Depth=2
	v_xor_b32_e32 v21, -1, v4
	v_and_b32_e32 v21, 1, v21
	v_lshrrev_b32_sdwa v21, s41, v21 dst_sel:DWORD dst_unused:UNUSED_PAD src0_sel:DWORD src1_sel:WORD_0
	v_and_b32_e32 v21, s62, v21
	v_lshl_or_b32 v21, v21, 4, v65
	ds_add_u32 v21, v91
	s_branch .LBB1561_645
.LBB1561_702:                           ;   in Loop: Header=BB1561_646 Depth=2
	s_waitcnt vmcnt(0)
	v_add_co_u32 v21, s19, s16, v0
	v_add_co_ci_u32_e64 v22, null, s17, 0, s19
	global_load_ubyte v17, v[21:22], off
	s_or_b32 exec_lo, exec_lo, s18
	s_mov_b32 s18, exec_lo
	v_cmpx_gt_u32_e64 s5, v46
	s_cbranch_execz .LBB1561_651
.LBB1561_703:                           ;   in Loop: Header=BB1561_646 Depth=2
	v_add_co_u32 v20, s19, s16, v0
	s_waitcnt vmcnt(0)
	v_add_co_ci_u32_e64 v21, null, s17, 0, s19
	global_load_ubyte v20, v[20:21], off offset:256
	s_or_b32 exec_lo, exec_lo, s18
	s_mov_b32 s18, exec_lo
	v_cmpx_gt_u32_e64 s5, v49
	s_cbranch_execz .LBB1561_652
.LBB1561_704:                           ;   in Loop: Header=BB1561_646 Depth=2
	s_waitcnt vmcnt(0)
	v_add_co_u32 v21, s19, s16, v0
	v_add_co_ci_u32_e64 v22, null, s17, 0, s19
	global_load_ubyte v19, v[21:22], off offset:512
	s_or_b32 exec_lo, exec_lo, s18
	s_mov_b32 s18, exec_lo
	v_cmpx_gt_u32_e64 s5, v50
	s_cbranch_execz .LBB1561_653
.LBB1561_705:                           ;   in Loop: Header=BB1561_646 Depth=2
	s_waitcnt vmcnt(0)
	v_add_co_u32 v21, s19, s16, v0
	v_add_co_ci_u32_e64 v22, null, s17, 0, s19
	global_load_ubyte v18, v[21:22], off offset:768
	s_or_b32 exec_lo, exec_lo, s18
	s_mov_b32 s18, exec_lo
	v_cmpx_gt_u32_e64 s5, v51
	s_cbranch_execz .LBB1561_654
.LBB1561_706:                           ;   in Loop: Header=BB1561_646 Depth=2
	s_waitcnt vmcnt(0)
	v_add_co_u32 v21, s19, s16, v0
	v_add_co_ci_u32_e64 v22, null, s17, 0, s19
	global_load_ubyte v16, v[21:22], off offset:1024
	s_or_b32 exec_lo, exec_lo, s18
	s_mov_b32 s18, exec_lo
	v_cmpx_gt_u32_e64 s5, v52
	s_cbranch_execz .LBB1561_655
.LBB1561_707:                           ;   in Loop: Header=BB1561_646 Depth=2
	s_waitcnt vmcnt(0)
	v_add_co_u32 v21, s19, s16, v0
	v_add_co_ci_u32_e64 v22, null, s17, 0, s19
	global_load_ubyte v15, v[21:22], off offset:1280
	s_or_b32 exec_lo, exec_lo, s18
	s_mov_b32 s18, exec_lo
	v_cmpx_gt_u32_e64 s5, v53
	s_cbranch_execz .LBB1561_656
.LBB1561_708:                           ;   in Loop: Header=BB1561_646 Depth=2
	s_waitcnt vmcnt(0)
	v_add_co_u32 v21, s19, s16, v0
	v_add_co_ci_u32_e64 v22, null, s17, 0, s19
	global_load_ubyte v14, v[21:22], off offset:1536
	s_or_b32 exec_lo, exec_lo, s18
	s_mov_b32 s18, exec_lo
	v_cmpx_gt_u32_e64 s5, v54
	s_cbranch_execz .LBB1561_657
.LBB1561_709:                           ;   in Loop: Header=BB1561_646 Depth=2
	s_waitcnt vmcnt(0)
	v_add_co_u32 v21, s19, s16, v0
	v_add_co_ci_u32_e64 v22, null, s17, 0, s19
	global_load_ubyte v13, v[21:22], off offset:1792
	s_or_b32 exec_lo, exec_lo, s18
	s_mov_b32 s18, exec_lo
	v_cmpx_gt_u32_e64 s5, v55
	s_cbranch_execz .LBB1561_658
.LBB1561_710:                           ;   in Loop: Header=BB1561_646 Depth=2
	s_waitcnt vmcnt(0)
	v_add_co_u32 v21, s19, s16, v55
	v_add_co_ci_u32_e64 v22, null, s17, 0, s19
	global_load_ubyte v12, v[21:22], off
	s_or_b32 exec_lo, exec_lo, s18
	s_mov_b32 s18, exec_lo
	v_cmpx_gt_u32_e64 s5, v56
	s_cbranch_execz .LBB1561_659
.LBB1561_711:                           ;   in Loop: Header=BB1561_646 Depth=2
	s_waitcnt vmcnt(0)
	v_add_co_u32 v21, s19, s16, v56
	v_add_co_ci_u32_e64 v22, null, s17, 0, s19
	global_load_ubyte v11, v[21:22], off
	s_or_b32 exec_lo, exec_lo, s18
	s_mov_b32 s18, exec_lo
	v_cmpx_gt_u32_e64 s5, v57
	s_cbranch_execz .LBB1561_660
.LBB1561_712:                           ;   in Loop: Header=BB1561_646 Depth=2
	s_waitcnt vmcnt(0)
	v_add_co_u32 v21, s19, s16, v57
	v_add_co_ci_u32_e64 v22, null, s17, 0, s19
	global_load_ubyte v10, v[21:22], off
	s_or_b32 exec_lo, exec_lo, s18
	s_mov_b32 s18, exec_lo
	v_cmpx_gt_u32_e64 s5, v58
	s_cbranch_execz .LBB1561_661
.LBB1561_713:                           ;   in Loop: Header=BB1561_646 Depth=2
	s_waitcnt vmcnt(0)
	v_add_co_u32 v21, s19, s16, v58
	v_add_co_ci_u32_e64 v22, null, s17, 0, s19
	global_load_ubyte v9, v[21:22], off
	s_or_b32 exec_lo, exec_lo, s18
	s_mov_b32 s18, exec_lo
	v_cmpx_gt_u32_e64 s5, v59
	s_cbranch_execz .LBB1561_662
.LBB1561_714:                           ;   in Loop: Header=BB1561_646 Depth=2
	s_waitcnt vmcnt(0)
	v_add_co_u32 v21, s19, s16, v59
	v_add_co_ci_u32_e64 v22, null, s17, 0, s19
	global_load_ubyte v8, v[21:22], off
	s_or_b32 exec_lo, exec_lo, s18
	s_mov_b32 s18, exec_lo
	v_cmpx_gt_u32_e64 s5, v60
	s_cbranch_execz .LBB1561_663
.LBB1561_715:                           ;   in Loop: Header=BB1561_646 Depth=2
	s_waitcnt vmcnt(0)
	v_add_co_u32 v21, s19, s16, v60
	v_add_co_ci_u32_e64 v22, null, s17, 0, s19
	global_load_ubyte v7, v[21:22], off
	s_or_b32 exec_lo, exec_lo, s18
	s_mov_b32 s18, exec_lo
	v_cmpx_gt_u32_e64 s5, v61
	s_cbranch_execz .LBB1561_664
.LBB1561_716:                           ;   in Loop: Header=BB1561_646 Depth=2
	s_waitcnt vmcnt(0)
	v_add_co_u32 v21, s19, s16, v61
	v_add_co_ci_u32_e64 v22, null, s17, 0, s19
	global_load_ubyte v6, v[21:22], off
	s_or_b32 exec_lo, exec_lo, s18
	s_mov_b32 s18, exec_lo
	v_cmpx_gt_u32_e64 s5, v62
	s_cbranch_execz .LBB1561_665
.LBB1561_717:                           ;   in Loop: Header=BB1561_646 Depth=2
	s_waitcnt vmcnt(0)
	v_add_co_u32 v21, s19, s16, v62
	v_add_co_ci_u32_e64 v22, null, s17, 0, s19
	global_load_ubyte v5, v[21:22], off
	s_or_b32 exec_lo, exec_lo, s18
	s_mov_b32 s18, exec_lo
	v_cmpx_gt_u32_e64 s5, v63
	s_cbranch_execnz .LBB1561_666
	s_branch .LBB1561_667
.LBB1561_718:                           ;   in Loop: Header=BB1561_20 Depth=1
	v_mov_b32_e32 v4, 0
	s_waitcnt lgkmcnt(0)
	s_barrier
	buffer_gl0_inv
	s_and_saveexec_b32 s5, s8
	s_cbranch_execz .LBB1561_720
; %bb.719:                              ;   in Loop: Header=BB1561_20 Depth=1
	ds_read2_b64 v[4:7], v66 offset1:1
	s_waitcnt lgkmcnt(0)
	v_add_nc_u32_e32 v4, v5, v4
	v_add3_u32 v4, v4, v6, v7
.LBB1561_720:                           ;   in Loop: Header=BB1561_20 Depth=1
	s_or_b32 exec_lo, exec_lo, s5
	v_and_b32_e32 v5, 15, v88
	v_mov_b32_dpp v6, v4 row_shr:1 row_mask:0xf bank_mask:0xf
	v_and_b32_e32 v7, 16, v88
	v_cmp_eq_u32_e64 s5, 0, v5
	v_cmp_lt_u32_e64 s15, 1, v5
	v_cmp_lt_u32_e64 s16, 3, v5
	;; [unrolled: 1-line block ×3, first 2 shown]
	v_cmp_eq_u32_e64 s18, 0, v7
	v_cndmask_b32_e64 v6, v6, 0, s5
	v_add_nc_u32_e32 v4, v6, v4
	v_mov_b32_dpp v6, v4 row_shr:2 row_mask:0xf bank_mask:0xf
	v_cndmask_b32_e64 v6, 0, v6, s15
	v_add_nc_u32_e32 v4, v4, v6
	v_mov_b32_dpp v6, v4 row_shr:4 row_mask:0xf bank_mask:0xf
	v_cndmask_b32_e64 v6, 0, v6, s16
	v_add_nc_u32_e32 v4, v4, v6
	v_mov_b32_dpp v6, v4 row_shr:8 row_mask:0xf bank_mask:0xf
	v_cndmask_b32_e64 v5, 0, v6, s17
	v_bfe_i32 v6, v88, 4, 1
	v_add_nc_u32_e32 v4, v4, v5
	ds_swizzle_b32 v5, v4 offset:swizzle(BROADCAST,32,15)
	s_waitcnt lgkmcnt(0)
	v_and_b32_e32 v5, v6, v5
	v_add_nc_u32_e32 v4, v4, v5
	s_and_saveexec_b32 s19, s9
; %bb.721:                              ;   in Loop: Header=BB1561_20 Depth=1
	ds_write_b32 v67, v4
; %bb.722:                              ;   in Loop: Header=BB1561_20 Depth=1
	s_or_b32 exec_lo, exec_lo, s19
	s_waitcnt lgkmcnt(0)
	s_barrier
	buffer_gl0_inv
	s_and_saveexec_b32 s19, s10
	s_cbranch_execz .LBB1561_724
; %bb.723:                              ;   in Loop: Header=BB1561_20 Depth=1
	ds_read_b32 v5, v68
	v_and_b32_e32 v6, 3, v88
	v_cmp_ne_u32_e32 vcc_lo, 0, v6
	s_waitcnt lgkmcnt(0)
	v_mov_b32_dpp v7, v5 row_shr:1 row_mask:0xf bank_mask:0xf
	v_cndmask_b32_e32 v7, 0, v7, vcc_lo
	v_cmp_lt_u32_e32 vcc_lo, 1, v6
	v_add_nc_u32_e32 v5, v7, v5
	v_mov_b32_dpp v7, v5 row_shr:2 row_mask:0xf bank_mask:0xf
	v_cndmask_b32_e32 v6, 0, v7, vcc_lo
	v_add_nc_u32_e32 v5, v5, v6
	ds_write_b32 v68, v5
.LBB1561_724:                           ;   in Loop: Header=BB1561_20 Depth=1
	s_or_b32 exec_lo, exec_lo, s19
	v_mov_b32_e32 v5, 0
	s_waitcnt lgkmcnt(0)
	s_barrier
	buffer_gl0_inv
	s_and_saveexec_b32 s19, s11
; %bb.725:                              ;   in Loop: Header=BB1561_20 Depth=1
	ds_read_b32 v5, v69
; %bb.726:                              ;   in Loop: Header=BB1561_20 Depth=1
	s_or_b32 exec_lo, exec_lo, s19
	v_sub_co_u32 v6, s19, v88, 1
	s_waitcnt lgkmcnt(0)
	v_add_nc_u32_e32 v4, v5, v4
	s_barrier
	v_cmp_gt_i32_e32 vcc_lo, 0, v6
	buffer_gl0_inv
	v_cndmask_b32_e32 v6, v6, v88, vcc_lo
	v_lshlrev_b32_e32 v95, 2, v6
	ds_bpermute_b32 v4, v95, v4
	s_and_saveexec_b32 s20, s8
	s_cbranch_execz .LBB1561_728
; %bb.727:                              ;   in Loop: Header=BB1561_20 Depth=1
	s_waitcnt lgkmcnt(0)
	v_cndmask_b32_e64 v4, v4, v5, s19
	v_add_nc_u32_e32 v4, s58, v4
	ds_write_b32 v45, v4
.LBB1561_728:                           ;   in Loop: Header=BB1561_20 Depth=1
	s_or_b32 exec_lo, exec_lo, s20
	s_load_dwordx2 s[20:21], s[56:57], 0x0
	v_lshlrev_b32_e32 v7, 3, v88
	v_and_b32_e32 v6, 7, v88
	v_or_b32_e32 v96, v88, v70
	v_add_co_u32 v97, vcc_lo, v89, v88
	v_add_co_ci_u32_e64 v98, null, 0, v90, vcc_lo
	v_add_co_u32 v99, vcc_lo, v86, v7
	v_add_co_ci_u32_e64 v100, null, 0, v87, vcc_lo
	v_add_nc_u32_e32 v101, 32, v96
	v_add_nc_u32_e32 v102, 64, v96
	;; [unrolled: 1-line block ×8, first 2 shown]
	s_waitcnt lgkmcnt(0)
	s_cmp_lt_u32 s7, s21
	v_add_nc_u32_e32 v109, 0x120, v96
	s_cselect_b32 s21, 14, 20
	v_add_nc_u32_e32 v110, 0x140, v96
	s_add_u32 s22, s56, s21
	s_addc_u32 s23, s57, 0
	s_cmp_lt_u32 s6, s20
	global_load_ushort v4, v3, s[22:23]
	s_cselect_b32 s20, 12, 18
	v_add_nc_u32_e32 v111, 0x160, v96
	s_add_u32 s20, s56, s20
	s_addc_u32 s21, s57, 0
	v_add_nc_u32_e32 v112, 0x180, v96
	global_load_ushort v5, v3, s[20:21]
	v_cmp_eq_u32_e64 s20, 0, v6
	v_cmp_lt_u32_e64 s21, 1, v6
	v_cmp_lt_u32_e64 s22, 3, v6
	v_add_nc_u32_e32 v113, 0x1a0, v96
	v_add_nc_u32_e32 v114, 0x1c0, v96
	;; [unrolled: 1-line block ×4, first 2 shown]
	v_mov_b32_e32 v8, 0
	s_mov_b32 s63, s60
	s_mov_b32 s50, s58
                                        ; implicit-def: $vgpr9_vgpr10
                                        ; implicit-def: $vgpr11_vgpr12
                                        ; implicit-def: $vgpr13_vgpr14
                                        ; implicit-def: $vgpr15_vgpr16
                                        ; implicit-def: $vgpr17_vgpr18
                                        ; implicit-def: $vgpr19_vgpr20
                                        ; implicit-def: $vgpr23_vgpr24
                                        ; implicit-def: $vgpr27_vgpr28
                                        ; implicit-def: $vgpr31_vgpr32
                                        ; implicit-def: $vgpr21_vgpr22
                                        ; implicit-def: $vgpr25_vgpr26
                                        ; implicit-def: $vgpr29_vgpr30
                                        ; implicit-def: $vgpr33_vgpr34
                                        ; implicit-def: $vgpr35_vgpr36
                                        ; implicit-def: $vgpr37_vgpr38
                                        ; implicit-def: $vgpr39_vgpr40
                                        ; implicit-def: $vgpr41_vgpr42
                                        ; implicit-def: $vgpr118
                                        ; implicit-def: $vgpr119
                                        ; implicit-def: $vgpr120
                                        ; implicit-def: $vgpr121
                                        ; implicit-def: $vgpr122
                                        ; implicit-def: $vgpr123
                                        ; implicit-def: $vgpr124
                                        ; implicit-def: $vgpr125
                                        ; implicit-def: $vgpr126
                                        ; implicit-def: $vgpr127
                                        ; implicit-def: $vgpr128
                                        ; implicit-def: $vgpr129
                                        ; implicit-def: $vgpr130
                                        ; implicit-def: $vgpr131
                                        ; implicit-def: $vgpr132
                                        ; implicit-def: $vgpr133
                                        ; implicit-def: $vgpr134
                                        ; implicit-def: $vgpr135
                                        ; implicit-def: $vgpr136
	s_waitcnt vmcnt(1)
	v_mad_u32_u24 v4, v2, v4, v1
	s_waitcnt vmcnt(0)
	v_mad_u64_u32 v[4:5], null, v4, v5, v[0:1]
	v_lshrrev_b32_e32 v4, 3, v4
	v_and_b32_e32 v117, 0x1ffffffc, v4
	s_branch .LBB1561_730
.LBB1561_729:                           ;   in Loop: Header=BB1561_730 Depth=2
	s_or_b32 exec_lo, exec_lo, s23
	s_addk_i32 s63, 0xef00
	s_cmp_lt_u32 s64, s59
	s_mov_b32 s50, s64
	s_cbranch_scc0 .LBB1561_952
.LBB1561_730:                           ;   Parent Loop BB1561_20 Depth=1
                                        ; =>  This Inner Loop Header: Depth=2
	s_add_i32 s64, s50, 0x1100
	s_cmp_gt_u32 s64, s59
	s_cbranch_scc1 .LBB1561_732
; %bb.731:                              ;   in Loop: Header=BB1561_730 Depth=2
	v_add_co_u32 v4, vcc_lo, v97, s50
	v_add_co_ci_u32_e64 v5, null, 0, v98, vcc_lo
	v_and_b32_sdwa v8, v94, v8 dst_sel:DWORD dst_unused:UNUSED_PAD src0_sel:DWORD src1_sel:BYTE_0
	s_mov_b32 s23, -1
	s_clause 0xf
	global_load_ubyte v6, v[4:5], off offset:416
	global_load_ubyte v7, v[4:5], off offset:480
	;; [unrolled: 1-line block ×14, first 2 shown]
	global_load_ubyte v147, v[4:5], off
	global_load_ubyte v4, v[4:5], off offset:96
	s_waitcnt vmcnt(12)
	v_perm_b32 v5, v44, v6, 0xc0c0004
	v_perm_b32 v6, v43, v7, 0xc0c0004
	s_waitcnt vmcnt(9)
	v_perm_b32 v44, v139, v138, 0xc0c0004
	s_waitcnt vmcnt(8)
	v_perm_b32 v43, v140, v137, 0xc0c0004
	v_lshl_or_b32 v7, v6, 16, v5
	s_waitcnt vmcnt(5)
	v_perm_b32 v138, v143, v142, 0xc0c0004
	s_waitcnt vmcnt(4)
	v_perm_b32 v137, v144, v141, 0xc0c0004
	v_lshl_or_b32 v6, v44, 16, v43
	s_waitcnt vmcnt(1)
	v_perm_b32 v139, v147, v145, 0xc0c0004
	s_waitcnt vmcnt(0)
	v_perm_b32 v4, v146, v4, 0xc0c0004
	v_lshl_or_b32 v5, v138, 16, v137
	v_lshl_or_b32 v4, v4, 16, v139
	s_movk_i32 s24, 0x1100
	s_cbranch_execz .LBB1561_733
	s_branch .LBB1561_751
.LBB1561_732:                           ;   in Loop: Header=BB1561_730 Depth=2
	s_mov_b32 s23, 0
                                        ; implicit-def: $vgpr4_vgpr5_vgpr6_vgpr7_vgpr8
	s_movk_i32 s24, 0x1100
.LBB1561_733:                           ;   in Loop: Header=BB1561_730 Depth=2
	v_mov_b32_e32 v7, v3
	v_mov_b32_e32 v4, v3
	;; [unrolled: 1-line block ×4, first 2 shown]
	v_add_co_u32 v43, vcc_lo, v97, s50
	v_mov_b32_e32 v8, v7
	v_add_co_ci_u32_e64 v44, null, 0, v98, vcc_lo
	v_mov_b32_e32 v7, v6
	v_mov_b32_e32 v6, v5
	;; [unrolled: 1-line block ×4, first 2 shown]
	s_mov_b32 s23, exec_lo
	v_cmpx_gt_u32_e64 s63, v96
	s_cbranch_execnz .LBB1561_937
; %bb.734:                              ;   in Loop: Header=BB1561_730 Depth=2
	s_or_b32 exec_lo, exec_lo, s23
	s_mov_b32 s23, exec_lo
	v_cmpx_gt_u32_e64 s63, v101
	s_cbranch_execnz .LBB1561_938
.LBB1561_735:                           ;   in Loop: Header=BB1561_730 Depth=2
	s_or_b32 exec_lo, exec_lo, s23
	s_mov_b32 s23, exec_lo
	v_cmpx_gt_u32_e64 s63, v102
	s_cbranch_execnz .LBB1561_939
.LBB1561_736:                           ;   in Loop: Header=BB1561_730 Depth=2
	s_or_b32 exec_lo, exec_lo, s23
	s_mov_b32 s23, exec_lo
	v_cmpx_gt_u32_e64 s63, v103
	s_cbranch_execnz .LBB1561_940
.LBB1561_737:                           ;   in Loop: Header=BB1561_730 Depth=2
	s_or_b32 exec_lo, exec_lo, s23
	s_mov_b32 s23, exec_lo
	v_cmpx_gt_u32_e64 s63, v104
	s_cbranch_execnz .LBB1561_941
.LBB1561_738:                           ;   in Loop: Header=BB1561_730 Depth=2
	s_or_b32 exec_lo, exec_lo, s23
	s_mov_b32 s23, exec_lo
	v_cmpx_gt_u32_e64 s63, v105
	s_cbranch_execnz .LBB1561_942
.LBB1561_739:                           ;   in Loop: Header=BB1561_730 Depth=2
	s_or_b32 exec_lo, exec_lo, s23
	s_mov_b32 s23, exec_lo
	v_cmpx_gt_u32_e64 s63, v106
	s_cbranch_execnz .LBB1561_943
.LBB1561_740:                           ;   in Loop: Header=BB1561_730 Depth=2
	s_or_b32 exec_lo, exec_lo, s23
	s_mov_b32 s23, exec_lo
	v_cmpx_gt_u32_e64 s63, v107
	s_cbranch_execnz .LBB1561_944
.LBB1561_741:                           ;   in Loop: Header=BB1561_730 Depth=2
	s_or_b32 exec_lo, exec_lo, s23
	s_mov_b32 s23, exec_lo
	v_cmpx_gt_u32_e64 s63, v108
	s_cbranch_execnz .LBB1561_945
.LBB1561_742:                           ;   in Loop: Header=BB1561_730 Depth=2
	s_or_b32 exec_lo, exec_lo, s23
	s_mov_b32 s23, exec_lo
	v_cmpx_gt_u32_e64 s63, v109
	s_cbranch_execnz .LBB1561_946
.LBB1561_743:                           ;   in Loop: Header=BB1561_730 Depth=2
	s_or_b32 exec_lo, exec_lo, s23
	s_mov_b32 s23, exec_lo
	v_cmpx_gt_u32_e64 s63, v110
	s_cbranch_execnz .LBB1561_947
.LBB1561_744:                           ;   in Loop: Header=BB1561_730 Depth=2
	s_or_b32 exec_lo, exec_lo, s23
	s_mov_b32 s23, exec_lo
	v_cmpx_gt_u32_e64 s63, v111
	s_cbranch_execnz .LBB1561_948
.LBB1561_745:                           ;   in Loop: Header=BB1561_730 Depth=2
	s_or_b32 exec_lo, exec_lo, s23
	s_mov_b32 s23, exec_lo
	v_cmpx_gt_u32_e64 s63, v112
	s_cbranch_execnz .LBB1561_949
.LBB1561_746:                           ;   in Loop: Header=BB1561_730 Depth=2
	s_or_b32 exec_lo, exec_lo, s23
	s_mov_b32 s23, exec_lo
	v_cmpx_gt_u32_e64 s63, v113
	s_cbranch_execnz .LBB1561_950
.LBB1561_747:                           ;   in Loop: Header=BB1561_730 Depth=2
	s_or_b32 exec_lo, exec_lo, s23
	s_mov_b32 s23, exec_lo
	v_cmpx_gt_u32_e64 s63, v114
	s_cbranch_execnz .LBB1561_951
.LBB1561_748:                           ;   in Loop: Header=BB1561_730 Depth=2
	s_or_b32 exec_lo, exec_lo, s23
	s_mov_b32 s23, exec_lo
	v_cmpx_gt_u32_e64 s63, v115
	s_cbranch_execz .LBB1561_750
.LBB1561_749:                           ;   in Loop: Header=BB1561_730 Depth=2
	global_load_ubyte v43, v[43:44], off offset:480
	v_and_b32_e32 v8, 0xff, v8
	s_waitcnt vmcnt(0)
	v_perm_b32 v7, v7, v43, 0x60504
.LBB1561_750:                           ;   in Loop: Header=BB1561_730 Depth=2
	s_or_b32 exec_lo, exec_lo, s23
	v_cmp_gt_u32_e64 s23, s63, v116
	s_sub_i32 s24, s59, s50
.LBB1561_751:                           ;   in Loop: Header=BB1561_730 Depth=2
	v_mov_b32_e32 v43, s63
	s_and_saveexec_b32 s25, s23
	s_cbranch_execz .LBB1561_753
; %bb.752:                              ;   in Loop: Header=BB1561_730 Depth=2
	v_add_co_u32 v43, vcc_lo, v97, s50
	v_add_co_ci_u32_e64 v44, null, s51, v98, vcc_lo
	global_load_ubyte v8, v[43:44], off offset:512
	v_mov_b32_e32 v43, s24
.LBB1561_753:                           ;   in Loop: Header=BB1561_730 Depth=2
	s_or_b32 exec_lo, exec_lo, s25
	s_waitcnt vmcnt(0)
	v_and_b32_e32 v44, 1, v4
	v_and_b32_sdwa v140, v91, v4 dst_sel:DWORD dst_unused:UNUSED_PAD src0_sel:DWORD src1_sel:BYTE_1
	v_and_b32_e32 v148, 0x1000000, v4
	v_and_b32_e32 v149, 0x10000, v4
	v_and_b32_sdwa v137, v91, v7 dst_sel:DWORD dst_unused:UNUSED_PAD src0_sel:DWORD src1_sel:BYTE_1
	v_cmp_eq_u32_e32 vcc_lo, 1, v44
	v_and_b32_sdwa v139, v91, v5 dst_sel:DWORD dst_unused:UNUSED_PAD src0_sel:DWORD src1_sel:BYTE_1
	v_and_b32_e32 v146, 0x1000000, v5
	v_and_b32_e32 v147, 0x10000, v5
	;; [unrolled: 1-line block ×3, first 2 shown]
	s_xor_b32 s23, vcc_lo, -1
	v_cmp_eq_u32_e64 s25, 1, v137
	v_cndmask_b32_e64 v44, 0, 1, s23
	v_and_b32_sdwa v138, v91, v6 dst_sel:DWORD dst_unused:UNUSED_PAD src0_sel:DWORD src1_sel:BYTE_1
	v_and_b32_e32 v141, 0x1000000, v7
	v_and_b32_e32 v142, 0x10000, v7
	;; [unrolled: 1-line block ×3, first 2 shown]
	v_lshrrev_b32_e32 v145, s41, v44
	v_and_b32_e32 v143, 0x1000000, v6
	v_and_b32_e32 v144, 0x10000, v6
	v_and_b32_e32 v6, 1, v6
	v_cmp_eq_u32_e64 s35, 1, v5
	v_and_b32_e32 v145, s62, v145
	v_and_b32_e32 v8, 1, v8
	v_cmp_eq_u32_e64 s29, 1, v138
	v_cmp_eq_u32_e64 s34, 1, v139
	;; [unrolled: 1-line block ×3, first 2 shown]
	v_add_co_u32 v4, s23, v145, -1
	v_cndmask_b32_e64 v150, 0, 1, s23
	v_mul_u32_u24_e32 v5, 36, v145
	v_cmp_ne_u32_e64 s24, 0, v142
	v_cmp_eq_u32_e64 s26, 1, v7
	v_cmp_ne_u32_e64 s27, 0, v143
	v_cmp_ne_u32_e64 s23, 0, v150
	;; [unrolled: 1-line block ×3, first 2 shown]
	v_cmp_eq_u32_e64 s30, 1, v6
	v_cmp_ne_u32_e64 s31, 0, v146
	v_cmp_ne_u32_e64 s33, 0, v147
	v_xor_b32_e32 v4, s23, v4
	v_cmp_ne_u32_e64 s23, 0, v141
	v_cmp_ne_u32_e64 s36, 0, v148
	;; [unrolled: 1-line block ×3, first 2 shown]
	v_add_nc_u32_e32 v140, v117, v5
	v_and_b32_e32 v4, exec_lo, v4
	ds_write2_b32 v71, v3, v3 offset0:136 offset1:137
	ds_write2_b32 v71, v3, v3 offset0:138 offset1:139
	ds_write_b32 v71, v3 offset:560
	s_waitcnt lgkmcnt(0)
	v_cmp_eq_u32_e32 vcc_lo, 1, v8
	v_mbcnt_lo_u32_b32 v137, v4, 0
	v_cmp_ne_u32_e64 s40, 0, v4
	s_barrier
	buffer_gl0_inv
	v_cmp_eq_u32_e64 s39, 0, v137
	; wave barrier
	s_and_b32 s40, s40, s39
	s_and_saveexec_b32 s39, s40
; %bb.754:                              ;   in Loop: Header=BB1561_730 Depth=2
	v_bcnt_u32_b32 v4, v4, 0
	ds_write_b32 v140, v4 offset:544
; %bb.755:                              ;   in Loop: Header=BB1561_730 Depth=2
	s_or_b32 exec_lo, exec_lo, s39
	s_xor_b32 s38, s38, -1
	v_cndmask_b32_e64 v150, 0, 1, s38
	; wave barrier
	v_lshrrev_b32_e32 v4, s41, v150
	v_and_b32_e32 v5, s62, v4
	v_add_co_u32 v4, s38, v5, -1
	v_cndmask_b32_e64 v6, 0, 1, s38
	v_cmp_ne_u32_e64 s38, 0, v6
	v_mad_u32_u24 v6, v5, 36, v117
	v_mul_u32_u24_e32 v5, 36, v5
	v_xor_b32_e32 v4, s38, v4
	ds_read_b32 v138, v6 offset:544
	v_add_nc_u32_e32 v143, v117, v5
	; wave barrier
	v_and_b32_e32 v4, exec_lo, v4
	v_mbcnt_lo_u32_b32 v139, v4, 0
	v_cmp_ne_u32_e64 s39, 0, v4
	v_cmp_eq_u32_e64 s38, 0, v139
	s_and_b32 s39, s39, s38
	s_and_saveexec_b32 s38, s39
	s_cbranch_execz .LBB1561_757
; %bb.756:                              ;   in Loop: Header=BB1561_730 Depth=2
	s_waitcnt lgkmcnt(0)
	v_bcnt_u32_b32 v4, v4, v138
	ds_write_b32 v143, v4 offset:544
.LBB1561_757:                           ;   in Loop: Header=BB1561_730 Depth=2
	s_or_b32 exec_lo, exec_lo, s38
	s_xor_b32 s37, s37, -1
	v_cndmask_b32_e64 v153, 0, 1, s37
	; wave barrier
	v_lshrrev_b32_e32 v4, s41, v153
	v_and_b32_e32 v5, s62, v4
	v_add_co_u32 v4, s37, v5, -1
	v_cndmask_b32_e64 v6, 0, 1, s37
	v_cmp_ne_u32_e64 s37, 0, v6
	v_mad_u32_u24 v6, v5, 36, v117
	v_mul_u32_u24_e32 v5, 36, v5
	v_xor_b32_e32 v4, s37, v4
	ds_read_b32 v141, v6 offset:544
	v_add_nc_u32_e32 v146, v117, v5
	; wave barrier
	v_and_b32_e32 v4, exec_lo, v4
	v_mbcnt_lo_u32_b32 v142, v4, 0
	v_cmp_ne_u32_e64 s38, 0, v4
	v_cmp_eq_u32_e64 s37, 0, v142
	s_and_b32 s38, s38, s37
	s_and_saveexec_b32 s37, s38
	s_cbranch_execz .LBB1561_759
; %bb.758:                              ;   in Loop: Header=BB1561_730 Depth=2
	s_waitcnt lgkmcnt(0)
	v_bcnt_u32_b32 v4, v4, v141
	ds_write_b32 v146, v4 offset:544
.LBB1561_759:                           ;   in Loop: Header=BB1561_730 Depth=2
	;; [unrolled: 27-line block ×15, first 2 shown]
	s_or_b32 exec_lo, exec_lo, s23
	s_xor_b32 s23, vcc_lo, -1
	v_cndmask_b32_e64 v8, 0, 1, s23
	; wave barrier
	v_lshrrev_b32_e32 v4, s41, v8
	v_and_b32_e32 v5, s62, v4
	v_add_co_u32 v4, s23, v5, -1
	v_cndmask_b32_e64 v6, 0, 1, s23
	v_cmp_ne_u32_e32 vcc_lo, 0, v6
	v_mad_u32_u24 v6, v5, 36, v117
	v_mul_u32_u24_e32 v5, 36, v5
	v_xor_b32_e32 v4, vcc_lo, v4
	ds_read_b32 v198, v6 offset:544
	v_add_nc_u32_e32 v201, v117, v5
	; wave barrier
	v_and_b32_e32 v4, exec_lo, v4
	v_mbcnt_lo_u32_b32 v199, v4, 0
	v_cmp_ne_u32_e64 s23, 0, v4
	v_cmp_eq_u32_e32 vcc_lo, 0, v199
	s_and_b32 s24, s23, vcc_lo
	s_and_saveexec_b32 s23, s24
	s_cbranch_execz .LBB1561_787
; %bb.786:                              ;   in Loop: Header=BB1561_730 Depth=2
	s_waitcnt lgkmcnt(0)
	v_bcnt_u32_b32 v4, v4, v198
	ds_write_b32 v201, v4 offset:544
.LBB1561_787:                           ;   in Loop: Header=BB1561_730 Depth=2
	s_or_b32 exec_lo, exec_lo, s23
	; wave barrier
	s_waitcnt lgkmcnt(0)
	s_barrier
	buffer_gl0_inv
	ds_read2_b32 v[6:7], v71 offset0:136 offset1:137
	ds_read2_b32 v[4:5], v71 offset0:138 offset1:139
	ds_read_b32 v202, v71 offset:560
	s_waitcnt lgkmcnt(1)
	v_add3_u32 v203, v7, v6, v4
	s_waitcnt lgkmcnt(0)
	v_add3_u32 v202, v203, v5, v202
	v_mov_b32_dpp v203, v202 row_shr:1 row_mask:0xf bank_mask:0xf
	v_cndmask_b32_e64 v203, v203, 0, s5
	v_add_nc_u32_e32 v202, v203, v202
	v_mov_b32_dpp v203, v202 row_shr:2 row_mask:0xf bank_mask:0xf
	v_cndmask_b32_e64 v203, 0, v203, s15
	v_add_nc_u32_e32 v202, v202, v203
	;; [unrolled: 3-line block ×4, first 2 shown]
	ds_swizzle_b32 v203, v202 offset:swizzle(BROADCAST,32,15)
	s_waitcnt lgkmcnt(0)
	v_cndmask_b32_e64 v203, v203, 0, s18
	v_add_nc_u32_e32 v202, v202, v203
	s_and_saveexec_b32 s23, s4
; %bb.788:                              ;   in Loop: Header=BB1561_730 Depth=2
	ds_write_b32 v64, v202 offset:512
; %bb.789:                              ;   in Loop: Header=BB1561_730 Depth=2
	s_or_b32 exec_lo, exec_lo, s23
	s_waitcnt lgkmcnt(0)
	s_barrier
	buffer_gl0_inv
	s_and_saveexec_b32 s23, s12
	s_cbranch_execz .LBB1561_791
; %bb.790:                              ;   in Loop: Header=BB1561_730 Depth=2
	ds_read_b32 v203, v72 offset:512
	s_waitcnt lgkmcnt(0)
	v_mov_b32_dpp v204, v203 row_shr:1 row_mask:0xf bank_mask:0xf
	v_cndmask_b32_e64 v204, v204, 0, s20
	v_add_nc_u32_e32 v203, v204, v203
	v_mov_b32_dpp v204, v203 row_shr:2 row_mask:0xf bank_mask:0xf
	v_cndmask_b32_e64 v204, 0, v204, s21
	v_add_nc_u32_e32 v203, v203, v204
	;; [unrolled: 3-line block ×3, first 2 shown]
	ds_write_b32 v72, v203 offset:512
.LBB1561_791:                           ;   in Loop: Header=BB1561_730 Depth=2
	s_or_b32 exec_lo, exec_lo, s23
	v_mov_b32_e32 v203, 0
	s_waitcnt lgkmcnt(0)
	s_barrier
	buffer_gl0_inv
	s_and_saveexec_b32 s23, s11
; %bb.792:                              ;   in Loop: Header=BB1561_730 Depth=2
	ds_read_b32 v203, v64 offset:508
; %bb.793:                              ;   in Loop: Header=BB1561_730 Depth=2
	s_or_b32 exec_lo, exec_lo, s23
	s_waitcnt lgkmcnt(0)
	v_add_nc_u32_e32 v202, v203, v202
	ds_bpermute_b32 v202, v95, v202
	s_waitcnt lgkmcnt(0)
	v_cndmask_b32_e64 v202, v202, v203, s19
	v_cndmask_b32_e64 v202, v202, 0, s13
	v_add_nc_u32_e32 v6, v202, v6
	v_add_nc_u32_e32 v7, v6, v7
	;; [unrolled: 1-line block ×4, first 2 shown]
	ds_write2_b32 v71, v202, v6 offset0:136 offset1:137
	ds_write2_b32 v71, v7, v4 offset0:138 offset1:139
	ds_write_b32 v71, v5 offset:560
	s_waitcnt lgkmcnt(0)
	s_barrier
	buffer_gl0_inv
	ds_read_b32 v4, v140 offset:544
	ds_read_b32 v5, v143 offset:544
	;; [unrolled: 1-line block ×17, first 2 shown]
	s_and_saveexec_b32 s23, s8
	s_cbranch_execz .LBB1561_797
; %bb.794:                              ;   in Loop: Header=BB1561_730 Depth=2
	v_add_nc_u32_e32 v135, v72, v74
	v_mov_b32_e32 v136, 0x1100
	ds_read_b32 v135, v135 offset:544
	s_and_saveexec_b32 s24, s14
; %bb.795:                              ;   in Loop: Header=BB1561_730 Depth=2
	ds_read_b32 v136, v73 offset:544
; %bb.796:                              ;   in Loop: Header=BB1561_730 Depth=2
	s_or_b32 exec_lo, exec_lo, s24
	s_waitcnt lgkmcnt(0)
	v_sub_nc_u32_e32 v136, v136, v135
.LBB1561_797:                           ;   in Loop: Header=BB1561_730 Depth=2
	s_or_b32 exec_lo, exec_lo, s23
	s_waitcnt lgkmcnt(0)
	s_barrier
	buffer_gl0_inv
	s_and_saveexec_b32 s23, s8
	s_cbranch_execz .LBB1561_799
; %bb.798:                              ;   in Loop: Header=BB1561_730 Depth=2
	ds_read_b32 v146, v45
	s_waitcnt lgkmcnt(0)
	v_sub_nc_u32_e32 v146, v146, v135
	ds_write_b32 v45, v146
.LBB1561_799:                           ;   in Loop: Header=BB1561_730 Depth=2
	s_or_b32 exec_lo, exec_lo, s23
	v_add_nc_u32_e32 v152, v4, v137
	v_add3_u32 v151, v139, v138, v5
	v_add3_u32 v149, v142, v141, v6
	;; [unrolled: 1-line block ×16, first 2 shown]
	v_cmp_lt_u32_e64 s39, v0, v43
	ds_write_b8 v152, v44 offset:512
	ds_write_b8 v151, v150 offset:512
	ds_write_b8 v149, v153 offset:512
	ds_write_b8 v148, v154 offset:512
	ds_write_b8 v147, v155 offset:512
	ds_write_b8 v146, v157 offset:512
	ds_write_b8 v145, v160 offset:512
	ds_write_b8 v144, v163 offset:512
	ds_write_b8 v143, v166 offset:512
	ds_write_b8 v142, v169 offset:512
	ds_write_b8 v141, v173 offset:512
	ds_write_b8 v140, v177 offset:512
	ds_write_b8 v139, v181 offset:512
	ds_write_b8 v138, v185 offset:512
	ds_write_b8 v137, v189 offset:512
	ds_write_b8 v7, v193 offset:512
	ds_write_b8 v6, v8 offset:512
	s_waitcnt lgkmcnt(0)
	s_barrier
	buffer_gl0_inv
	s_and_saveexec_b32 s23, s39
	s_cbranch_execnz .LBB1561_872
; %bb.800:                              ;   in Loop: Header=BB1561_730 Depth=2
	s_or_b32 exec_lo, exec_lo, s23
	v_cmp_lt_u32_e64 s38, v46, v43
	s_and_saveexec_b32 s23, s38
	s_cbranch_execnz .LBB1561_873
.LBB1561_801:                           ;   in Loop: Header=BB1561_730 Depth=2
	s_or_b32 exec_lo, exec_lo, s23
	v_cmp_lt_u32_e64 s37, v49, v43
	s_and_saveexec_b32 s23, s37
	s_cbranch_execnz .LBB1561_874
.LBB1561_802:                           ;   in Loop: Header=BB1561_730 Depth=2
	s_or_b32 exec_lo, exec_lo, s23
	v_cmp_lt_u32_e64 s36, v50, v43
	s_and_saveexec_b32 s23, s36
	s_cbranch_execnz .LBB1561_875
.LBB1561_803:                           ;   in Loop: Header=BB1561_730 Depth=2
	s_or_b32 exec_lo, exec_lo, s23
	v_cmp_lt_u32_e64 s35, v51, v43
	s_and_saveexec_b32 s23, s35
	s_cbranch_execnz .LBB1561_876
.LBB1561_804:                           ;   in Loop: Header=BB1561_730 Depth=2
	s_or_b32 exec_lo, exec_lo, s23
	v_cmp_lt_u32_e64 s34, v52, v43
	s_and_saveexec_b32 s23, s34
	s_cbranch_execnz .LBB1561_877
.LBB1561_805:                           ;   in Loop: Header=BB1561_730 Depth=2
	s_or_b32 exec_lo, exec_lo, s23
	v_cmp_lt_u32_e64 s33, v53, v43
	s_and_saveexec_b32 s23, s33
	s_cbranch_execnz .LBB1561_878
.LBB1561_806:                           ;   in Loop: Header=BB1561_730 Depth=2
	s_or_b32 exec_lo, exec_lo, s23
	v_cmp_lt_u32_e64 s31, v54, v43
	s_and_saveexec_b32 s23, s31
	s_cbranch_execnz .LBB1561_879
.LBB1561_807:                           ;   in Loop: Header=BB1561_730 Depth=2
	s_or_b32 exec_lo, exec_lo, s23
	v_cmp_lt_u32_e64 s30, v55, v43
	s_and_saveexec_b32 s23, s30
	s_cbranch_execnz .LBB1561_880
.LBB1561_808:                           ;   in Loop: Header=BB1561_730 Depth=2
	s_or_b32 exec_lo, exec_lo, s23
	v_cmp_lt_u32_e64 s29, v56, v43
	s_and_saveexec_b32 s23, s29
	s_cbranch_execnz .LBB1561_881
.LBB1561_809:                           ;   in Loop: Header=BB1561_730 Depth=2
	s_or_b32 exec_lo, exec_lo, s23
	v_cmp_lt_u32_e64 s28, v57, v43
	s_and_saveexec_b32 s23, s28
	s_cbranch_execnz .LBB1561_882
.LBB1561_810:                           ;   in Loop: Header=BB1561_730 Depth=2
	s_or_b32 exec_lo, exec_lo, s23
	v_cmp_lt_u32_e64 s27, v58, v43
	s_and_saveexec_b32 s23, s27
	s_cbranch_execnz .LBB1561_883
.LBB1561_811:                           ;   in Loop: Header=BB1561_730 Depth=2
	s_or_b32 exec_lo, exec_lo, s23
	v_cmp_lt_u32_e64 s26, v59, v43
	s_and_saveexec_b32 s23, s26
	s_cbranch_execnz .LBB1561_884
.LBB1561_812:                           ;   in Loop: Header=BB1561_730 Depth=2
	s_or_b32 exec_lo, exec_lo, s23
	v_cmp_lt_u32_e64 s25, v60, v43
	s_and_saveexec_b32 s23, s25
	s_cbranch_execnz .LBB1561_885
.LBB1561_813:                           ;   in Loop: Header=BB1561_730 Depth=2
	s_or_b32 exec_lo, exec_lo, s23
	v_cmp_lt_u32_e64 s24, v61, v43
	s_and_saveexec_b32 s23, s24
	s_cbranch_execnz .LBB1561_886
.LBB1561_814:                           ;   in Loop: Header=BB1561_730 Depth=2
	s_or_b32 exec_lo, exec_lo, s23
	v_cmp_lt_u32_e64 s23, v62, v43
	s_and_saveexec_b32 s40, s23
	s_cbranch_execnz .LBB1561_887
.LBB1561_815:                           ;   in Loop: Header=BB1561_730 Depth=2
	s_or_b32 exec_lo, exec_lo, s40
	v_cmp_lt_u32_e32 vcc_lo, v63, v43
	s_and_saveexec_b32 s40, vcc_lo
	s_cbranch_execz .LBB1561_817
.LBB1561_816:                           ;   in Loop: Header=BB1561_730 Depth=2
	ds_read_u8 v4, v0 offset:4608
	s_waitcnt lgkmcnt(0)
	v_and_b32_e32 v5, 1, v4
	v_xor_b32_e32 v4, 1, v4
	v_lshrrev_b32_e32 v5, s41, v5
	v_and_b32_e32 v5, s62, v5
	v_lshlrev_b32_e32 v5, 2, v5
	ds_read_b32 v5, v5
	s_waitcnt lgkmcnt(0)
	v_add_nc_u32_e32 v5, v5, v63
	global_store_byte v5, v4, s[46:47]
.LBB1561_817:                           ;   in Loop: Header=BB1561_730 Depth=2
	s_or_b32 exec_lo, exec_lo, s40
	s_lshl_b64 s[66:67], s[50:51], 3
	v_add_co_u32 v4, s40, v99, s66
	v_add_co_ci_u32_e64 v5, null, s67, v100, s40
	v_cmp_lt_u32_e64 s40, v96, v43
	s_and_saveexec_b32 s50, s40
	s_xor_b32 s40, exec_lo, s50
	s_cbranch_execnz .LBB1561_888
; %bb.818:                              ;   in Loop: Header=BB1561_730 Depth=2
	s_or_b32 exec_lo, exec_lo, s40
	s_mov_b32 s50, exec_lo
	v_cmpx_lt_u32_e64 v101, v43
	s_cbranch_execnz .LBB1561_889
.LBB1561_819:                           ;   in Loop: Header=BB1561_730 Depth=2
	s_or_b32 exec_lo, exec_lo, s50
	s_mov_b32 s50, exec_lo
	v_cmpx_lt_u32_e64 v102, v43
	s_cbranch_execnz .LBB1561_890
.LBB1561_820:                           ;   in Loop: Header=BB1561_730 Depth=2
	s_or_b32 exec_lo, exec_lo, s50
	s_mov_b32 s50, exec_lo
	v_cmpx_lt_u32_e64 v103, v43
	s_cbranch_execnz .LBB1561_891
.LBB1561_821:                           ;   in Loop: Header=BB1561_730 Depth=2
	s_or_b32 exec_lo, exec_lo, s50
	s_mov_b32 s50, exec_lo
	v_cmpx_lt_u32_e64 v104, v43
	s_cbranch_execnz .LBB1561_892
.LBB1561_822:                           ;   in Loop: Header=BB1561_730 Depth=2
	s_or_b32 exec_lo, exec_lo, s50
	s_mov_b32 s50, exec_lo
	v_cmpx_lt_u32_e64 v105, v43
	s_cbranch_execnz .LBB1561_893
.LBB1561_823:                           ;   in Loop: Header=BB1561_730 Depth=2
	s_or_b32 exec_lo, exec_lo, s50
	s_mov_b32 s50, exec_lo
	v_cmpx_lt_u32_e64 v106, v43
	s_cbranch_execnz .LBB1561_894
.LBB1561_824:                           ;   in Loop: Header=BB1561_730 Depth=2
	s_or_b32 exec_lo, exec_lo, s50
	s_mov_b32 s50, exec_lo
	v_cmpx_lt_u32_e64 v107, v43
	s_cbranch_execnz .LBB1561_895
.LBB1561_825:                           ;   in Loop: Header=BB1561_730 Depth=2
	s_or_b32 exec_lo, exec_lo, s50
	s_mov_b32 s50, exec_lo
	v_cmpx_lt_u32_e64 v108, v43
	s_cbranch_execnz .LBB1561_896
.LBB1561_826:                           ;   in Loop: Header=BB1561_730 Depth=2
	s_or_b32 exec_lo, exec_lo, s50
	s_mov_b32 s50, exec_lo
	v_cmpx_lt_u32_e64 v109, v43
	s_cbranch_execnz .LBB1561_897
.LBB1561_827:                           ;   in Loop: Header=BB1561_730 Depth=2
	s_or_b32 exec_lo, exec_lo, s50
	s_mov_b32 s50, exec_lo
	v_cmpx_lt_u32_e64 v110, v43
	s_cbranch_execnz .LBB1561_898
.LBB1561_828:                           ;   in Loop: Header=BB1561_730 Depth=2
	s_or_b32 exec_lo, exec_lo, s50
	s_mov_b32 s50, exec_lo
	v_cmpx_lt_u32_e64 v111, v43
	s_cbranch_execnz .LBB1561_899
.LBB1561_829:                           ;   in Loop: Header=BB1561_730 Depth=2
	s_or_b32 exec_lo, exec_lo, s50
	s_mov_b32 s50, exec_lo
	v_cmpx_lt_u32_e64 v112, v43
	s_cbranch_execnz .LBB1561_900
.LBB1561_830:                           ;   in Loop: Header=BB1561_730 Depth=2
	s_or_b32 exec_lo, exec_lo, s50
	s_mov_b32 s50, exec_lo
	v_cmpx_lt_u32_e64 v113, v43
	s_cbranch_execnz .LBB1561_901
.LBB1561_831:                           ;   in Loop: Header=BB1561_730 Depth=2
	s_or_b32 exec_lo, exec_lo, s50
	s_mov_b32 s50, exec_lo
	v_cmpx_lt_u32_e64 v114, v43
	s_cbranch_execnz .LBB1561_902
.LBB1561_832:                           ;   in Loop: Header=BB1561_730 Depth=2
	s_or_b32 exec_lo, exec_lo, s50
	s_mov_b32 s50, exec_lo
	v_cmpx_lt_u32_e64 v115, v43
	s_cbranch_execnz .LBB1561_903
.LBB1561_833:                           ;   in Loop: Header=BB1561_730 Depth=2
	s_or_b32 exec_lo, exec_lo, s50
	s_mov_b32 s50, exec_lo
	v_cmpx_lt_u32_e64 v116, v43
	s_cbranch_execnz .LBB1561_904
.LBB1561_834:                           ;   in Loop: Header=BB1561_730 Depth=2
	s_or_b32 exec_lo, exec_lo, s50
	s_and_saveexec_b32 s40, s39
	s_cbranch_execnz .LBB1561_905
.LBB1561_835:                           ;   in Loop: Header=BB1561_730 Depth=2
	s_or_b32 exec_lo, exec_lo, s40
	s_and_saveexec_b32 s40, s38
	s_cbranch_execnz .LBB1561_906
.LBB1561_836:                           ;   in Loop: Header=BB1561_730 Depth=2
	s_or_b32 exec_lo, exec_lo, s40
	s_and_saveexec_b32 s40, s37
	s_cbranch_execnz .LBB1561_907
.LBB1561_837:                           ;   in Loop: Header=BB1561_730 Depth=2
	s_or_b32 exec_lo, exec_lo, s40
	s_and_saveexec_b32 s40, s36
	s_cbranch_execnz .LBB1561_908
.LBB1561_838:                           ;   in Loop: Header=BB1561_730 Depth=2
	s_or_b32 exec_lo, exec_lo, s40
	s_and_saveexec_b32 s40, s35
	s_cbranch_execnz .LBB1561_909
.LBB1561_839:                           ;   in Loop: Header=BB1561_730 Depth=2
	s_or_b32 exec_lo, exec_lo, s40
	s_and_saveexec_b32 s40, s34
	s_cbranch_execnz .LBB1561_910
.LBB1561_840:                           ;   in Loop: Header=BB1561_730 Depth=2
	s_or_b32 exec_lo, exec_lo, s40
	s_and_saveexec_b32 s40, s33
	s_cbranch_execnz .LBB1561_911
.LBB1561_841:                           ;   in Loop: Header=BB1561_730 Depth=2
	s_or_b32 exec_lo, exec_lo, s40
	s_and_saveexec_b32 s40, s31
	s_cbranch_execnz .LBB1561_912
.LBB1561_842:                           ;   in Loop: Header=BB1561_730 Depth=2
	s_or_b32 exec_lo, exec_lo, s40
	s_and_saveexec_b32 s40, s30
	s_cbranch_execnz .LBB1561_913
.LBB1561_843:                           ;   in Loop: Header=BB1561_730 Depth=2
	s_or_b32 exec_lo, exec_lo, s40
	s_and_saveexec_b32 s40, s29
	s_cbranch_execnz .LBB1561_914
.LBB1561_844:                           ;   in Loop: Header=BB1561_730 Depth=2
	s_or_b32 exec_lo, exec_lo, s40
	s_and_saveexec_b32 s40, s28
	s_cbranch_execnz .LBB1561_915
.LBB1561_845:                           ;   in Loop: Header=BB1561_730 Depth=2
	s_or_b32 exec_lo, exec_lo, s40
	s_and_saveexec_b32 s40, s27
	s_cbranch_execnz .LBB1561_916
.LBB1561_846:                           ;   in Loop: Header=BB1561_730 Depth=2
	s_or_b32 exec_lo, exec_lo, s40
	s_and_saveexec_b32 s40, s26
	s_cbranch_execnz .LBB1561_917
.LBB1561_847:                           ;   in Loop: Header=BB1561_730 Depth=2
	s_or_b32 exec_lo, exec_lo, s40
	s_and_saveexec_b32 s40, s25
	s_cbranch_execnz .LBB1561_918
.LBB1561_848:                           ;   in Loop: Header=BB1561_730 Depth=2
	s_or_b32 exec_lo, exec_lo, s40
	s_and_saveexec_b32 s40, s24
	s_cbranch_execnz .LBB1561_919
.LBB1561_849:                           ;   in Loop: Header=BB1561_730 Depth=2
	s_or_b32 exec_lo, exec_lo, s40
	s_and_saveexec_b32 s40, s23
	s_cbranch_execnz .LBB1561_920
.LBB1561_850:                           ;   in Loop: Header=BB1561_730 Depth=2
	s_or_b32 exec_lo, exec_lo, s40
	s_and_saveexec_b32 s40, vcc_lo
	s_cbranch_execz .LBB1561_852
.LBB1561_851:                           ;   in Loop: Header=BB1561_730 Depth=2
	ds_read_u8 v4, v0 offset:4608
	s_waitcnt lgkmcnt(0)
	v_lshrrev_b32_e32 v4, s41, v4
	v_and_b32_e32 v118, s62, v4
.LBB1561_852:                           ;   in Loop: Header=BB1561_730 Depth=2
	s_or_b32 exec_lo, exec_lo, s40
	v_lshlrev_b32_e32 v4, 3, v152
	v_lshlrev_b32_e32 v5, 3, v151
	s_waitcnt vmcnt(0)
	s_waitcnt_vscnt null, 0x0
	s_barrier
	buffer_gl0_inv
	ds_write_b64 v4, v[41:42] offset:512
	ds_write_b64 v5, v[39:40] offset:512
	v_lshlrev_b32_e32 v4, 3, v149
	v_lshlrev_b32_e32 v5, 3, v148
	v_lshlrev_b32_e32 v43, 3, v147
	v_lshlrev_b32_e32 v44, 3, v146
	v_lshlrev_b32_e32 v145, 3, v145
	ds_write_b64 v4, v[37:38] offset:512
	ds_write_b64 v5, v[35:36] offset:512
	ds_write_b64 v43, v[33:34] offset:512
	ds_write_b64 v44, v[29:30] offset:512
	ds_write_b64 v145, v[25:26] offset:512
	v_lshlrev_b32_e32 v4, 3, v144
	v_lshlrev_b32_e32 v5, 3, v143
	v_lshlrev_b32_e32 v43, 3, v142
	v_lshlrev_b32_e32 v44, 3, v141
	v_lshlrev_b32_e32 v140, 3, v140
	ds_write_b64 v4, v[21:22] offset:512
	ds_write_b64 v5, v[31:32] offset:512
	ds_write_b64 v43, v[27:28] offset:512
	;; [unrolled: 10-line block ×3, first 2 shown]
	ds_write_b64 v7, v[11:12] offset:512
	ds_write_b64 v6, v[9:10] offset:512
	s_waitcnt lgkmcnt(0)
	s_barrier
	buffer_gl0_inv
	s_and_saveexec_b32 s40, s39
	s_cbranch_execnz .LBB1561_921
; %bb.853:                              ;   in Loop: Header=BB1561_730 Depth=2
	s_or_b32 exec_lo, exec_lo, s40
	s_and_saveexec_b32 s39, s38
	s_cbranch_execnz .LBB1561_922
.LBB1561_854:                           ;   in Loop: Header=BB1561_730 Depth=2
	s_or_b32 exec_lo, exec_lo, s39
	s_and_saveexec_b32 s38, s37
	s_cbranch_execnz .LBB1561_923
.LBB1561_855:                           ;   in Loop: Header=BB1561_730 Depth=2
	s_or_b32 exec_lo, exec_lo, s38
	s_and_saveexec_b32 s37, s36
	s_cbranch_execnz .LBB1561_924
.LBB1561_856:                           ;   in Loop: Header=BB1561_730 Depth=2
	s_or_b32 exec_lo, exec_lo, s37
	s_and_saveexec_b32 s36, s35
	s_cbranch_execnz .LBB1561_925
.LBB1561_857:                           ;   in Loop: Header=BB1561_730 Depth=2
	s_or_b32 exec_lo, exec_lo, s36
	s_and_saveexec_b32 s35, s34
	s_cbranch_execnz .LBB1561_926
.LBB1561_858:                           ;   in Loop: Header=BB1561_730 Depth=2
	s_or_b32 exec_lo, exec_lo, s35
	s_and_saveexec_b32 s34, s33
	s_cbranch_execnz .LBB1561_927
.LBB1561_859:                           ;   in Loop: Header=BB1561_730 Depth=2
	s_or_b32 exec_lo, exec_lo, s34
	s_and_saveexec_b32 s33, s31
	s_cbranch_execnz .LBB1561_928
.LBB1561_860:                           ;   in Loop: Header=BB1561_730 Depth=2
	s_or_b32 exec_lo, exec_lo, s33
	s_and_saveexec_b32 s31, s30
	s_cbranch_execnz .LBB1561_929
.LBB1561_861:                           ;   in Loop: Header=BB1561_730 Depth=2
	s_or_b32 exec_lo, exec_lo, s31
	s_and_saveexec_b32 s30, s29
	s_cbranch_execnz .LBB1561_930
.LBB1561_862:                           ;   in Loop: Header=BB1561_730 Depth=2
	s_or_b32 exec_lo, exec_lo, s30
	s_and_saveexec_b32 s29, s28
	s_cbranch_execnz .LBB1561_931
.LBB1561_863:                           ;   in Loop: Header=BB1561_730 Depth=2
	s_or_b32 exec_lo, exec_lo, s29
	s_and_saveexec_b32 s28, s27
	s_cbranch_execnz .LBB1561_932
.LBB1561_864:                           ;   in Loop: Header=BB1561_730 Depth=2
	s_or_b32 exec_lo, exec_lo, s28
	s_and_saveexec_b32 s27, s26
	s_cbranch_execnz .LBB1561_933
.LBB1561_865:                           ;   in Loop: Header=BB1561_730 Depth=2
	s_or_b32 exec_lo, exec_lo, s27
	s_and_saveexec_b32 s26, s25
	s_cbranch_execnz .LBB1561_934
.LBB1561_866:                           ;   in Loop: Header=BB1561_730 Depth=2
	s_or_b32 exec_lo, exec_lo, s26
	s_and_saveexec_b32 s25, s24
	s_cbranch_execnz .LBB1561_935
.LBB1561_867:                           ;   in Loop: Header=BB1561_730 Depth=2
	s_or_b32 exec_lo, exec_lo, s25
	s_and_saveexec_b32 s24, s23
	s_cbranch_execnz .LBB1561_936
.LBB1561_868:                           ;   in Loop: Header=BB1561_730 Depth=2
	s_or_b32 exec_lo, exec_lo, s24
	s_and_saveexec_b32 s23, vcc_lo
	s_cbranch_execz .LBB1561_870
.LBB1561_869:                           ;   in Loop: Header=BB1561_730 Depth=2
	v_lshlrev_b32_e32 v4, 2, v118
	v_mov_b32_e32 v7, v3
	ds_read_b32 v6, v4
	v_add_nc_u32_e32 v4, v0, v77
	ds_read_b64 v[4:5], v4 offset:33280
	s_waitcnt lgkmcnt(1)
	v_add_nc_u32_e32 v6, v6, v63
	v_lshlrev_b64 v[6:7], 3, v[6:7]
	v_add_co_u32 v6, vcc_lo, s52, v6
	v_add_co_ci_u32_e64 v7, null, s53, v7, vcc_lo
	s_waitcnt lgkmcnt(0)
	global_store_dwordx2 v[6:7], v[4:5], off
.LBB1561_870:                           ;   in Loop: Header=BB1561_730 Depth=2
	s_or_b32 exec_lo, exec_lo, s23
	s_waitcnt_vscnt null, 0x0
	s_barrier
	buffer_gl0_inv
	s_and_saveexec_b32 s23, s8
	s_cbranch_execz .LBB1561_729
; %bb.871:                              ;   in Loop: Header=BB1561_730 Depth=2
	ds_read_b32 v4, v45
	s_waitcnt lgkmcnt(0)
	v_add3_u32 v4, v135, v136, v4
	ds_write_b32 v45, v4
	s_branch .LBB1561_729
.LBB1561_872:                           ;   in Loop: Header=BB1561_730 Depth=2
	ds_read_u8 v4, v0 offset:512
	s_waitcnt lgkmcnt(0)
	v_and_b32_e32 v5, 1, v4
	v_xor_b32_e32 v4, 1, v4
	v_lshrrev_b32_e32 v5, s41, v5
	v_and_b32_e32 v5, s62, v5
	v_lshlrev_b32_e32 v5, 2, v5
	ds_read_b32 v5, v5
	s_waitcnt lgkmcnt(0)
	v_add_nc_u32_e32 v5, v5, v0
	global_store_byte v5, v4, s[46:47]
	s_or_b32 exec_lo, exec_lo, s23
	v_cmp_lt_u32_e64 s38, v46, v43
	s_and_saveexec_b32 s23, s38
	s_cbranch_execz .LBB1561_801
.LBB1561_873:                           ;   in Loop: Header=BB1561_730 Depth=2
	ds_read_u8 v4, v0 offset:768
	s_waitcnt lgkmcnt(0)
	v_and_b32_e32 v5, 1, v4
	v_xor_b32_e32 v4, 1, v4
	v_lshrrev_b32_e32 v5, s41, v5
	v_and_b32_e32 v5, s62, v5
	v_lshlrev_b32_e32 v5, 2, v5
	ds_read_b32 v5, v5
	s_waitcnt lgkmcnt(0)
	v_add_nc_u32_e32 v5, v5, v46
	global_store_byte v5, v4, s[46:47]
	s_or_b32 exec_lo, exec_lo, s23
	v_cmp_lt_u32_e64 s37, v49, v43
	s_and_saveexec_b32 s23, s37
	s_cbranch_execz .LBB1561_802
.LBB1561_874:                           ;   in Loop: Header=BB1561_730 Depth=2
	ds_read_u8 v4, v0 offset:1024
	s_waitcnt lgkmcnt(0)
	v_and_b32_e32 v5, 1, v4
	v_xor_b32_e32 v4, 1, v4
	v_lshrrev_b32_e32 v5, s41, v5
	v_and_b32_e32 v5, s62, v5
	v_lshlrev_b32_e32 v5, 2, v5
	ds_read_b32 v5, v5
	s_waitcnt lgkmcnt(0)
	v_add_nc_u32_e32 v5, v5, v49
	global_store_byte v5, v4, s[46:47]
	s_or_b32 exec_lo, exec_lo, s23
	v_cmp_lt_u32_e64 s36, v50, v43
	s_and_saveexec_b32 s23, s36
	s_cbranch_execz .LBB1561_803
.LBB1561_875:                           ;   in Loop: Header=BB1561_730 Depth=2
	ds_read_u8 v4, v0 offset:1280
	s_waitcnt lgkmcnt(0)
	v_and_b32_e32 v5, 1, v4
	v_xor_b32_e32 v4, 1, v4
	v_lshrrev_b32_e32 v5, s41, v5
	v_and_b32_e32 v5, s62, v5
	v_lshlrev_b32_e32 v5, 2, v5
	ds_read_b32 v5, v5
	s_waitcnt lgkmcnt(0)
	v_add_nc_u32_e32 v5, v5, v50
	global_store_byte v5, v4, s[46:47]
	s_or_b32 exec_lo, exec_lo, s23
	v_cmp_lt_u32_e64 s35, v51, v43
	s_and_saveexec_b32 s23, s35
	s_cbranch_execz .LBB1561_804
.LBB1561_876:                           ;   in Loop: Header=BB1561_730 Depth=2
	ds_read_u8 v4, v0 offset:1536
	s_waitcnt lgkmcnt(0)
	v_and_b32_e32 v5, 1, v4
	v_xor_b32_e32 v4, 1, v4
	v_lshrrev_b32_e32 v5, s41, v5
	v_and_b32_e32 v5, s62, v5
	v_lshlrev_b32_e32 v5, 2, v5
	ds_read_b32 v5, v5
	s_waitcnt lgkmcnt(0)
	v_add_nc_u32_e32 v5, v5, v51
	global_store_byte v5, v4, s[46:47]
	s_or_b32 exec_lo, exec_lo, s23
	v_cmp_lt_u32_e64 s34, v52, v43
	s_and_saveexec_b32 s23, s34
	s_cbranch_execz .LBB1561_805
.LBB1561_877:                           ;   in Loop: Header=BB1561_730 Depth=2
	ds_read_u8 v4, v0 offset:1792
	s_waitcnt lgkmcnt(0)
	v_and_b32_e32 v5, 1, v4
	v_xor_b32_e32 v4, 1, v4
	v_lshrrev_b32_e32 v5, s41, v5
	v_and_b32_e32 v5, s62, v5
	v_lshlrev_b32_e32 v5, 2, v5
	ds_read_b32 v5, v5
	s_waitcnt lgkmcnt(0)
	v_add_nc_u32_e32 v5, v5, v52
	global_store_byte v5, v4, s[46:47]
	s_or_b32 exec_lo, exec_lo, s23
	v_cmp_lt_u32_e64 s33, v53, v43
	s_and_saveexec_b32 s23, s33
	s_cbranch_execz .LBB1561_806
.LBB1561_878:                           ;   in Loop: Header=BB1561_730 Depth=2
	ds_read_u8 v4, v0 offset:2048
	s_waitcnt lgkmcnt(0)
	v_and_b32_e32 v5, 1, v4
	v_xor_b32_e32 v4, 1, v4
	v_lshrrev_b32_e32 v5, s41, v5
	v_and_b32_e32 v5, s62, v5
	v_lshlrev_b32_e32 v5, 2, v5
	ds_read_b32 v5, v5
	s_waitcnt lgkmcnt(0)
	v_add_nc_u32_e32 v5, v5, v53
	global_store_byte v5, v4, s[46:47]
	s_or_b32 exec_lo, exec_lo, s23
	v_cmp_lt_u32_e64 s31, v54, v43
	s_and_saveexec_b32 s23, s31
	s_cbranch_execz .LBB1561_807
.LBB1561_879:                           ;   in Loop: Header=BB1561_730 Depth=2
	ds_read_u8 v4, v0 offset:2304
	s_waitcnt lgkmcnt(0)
	v_and_b32_e32 v5, 1, v4
	v_xor_b32_e32 v4, 1, v4
	v_lshrrev_b32_e32 v5, s41, v5
	v_and_b32_e32 v5, s62, v5
	v_lshlrev_b32_e32 v5, 2, v5
	ds_read_b32 v5, v5
	s_waitcnt lgkmcnt(0)
	v_add_nc_u32_e32 v5, v5, v54
	global_store_byte v5, v4, s[46:47]
	s_or_b32 exec_lo, exec_lo, s23
	v_cmp_lt_u32_e64 s30, v55, v43
	s_and_saveexec_b32 s23, s30
	s_cbranch_execz .LBB1561_808
.LBB1561_880:                           ;   in Loop: Header=BB1561_730 Depth=2
	ds_read_u8 v4, v0 offset:2560
	s_waitcnt lgkmcnt(0)
	v_and_b32_e32 v5, 1, v4
	v_xor_b32_e32 v4, 1, v4
	v_lshrrev_b32_e32 v5, s41, v5
	v_and_b32_e32 v5, s62, v5
	v_lshlrev_b32_e32 v5, 2, v5
	ds_read_b32 v5, v5
	s_waitcnt lgkmcnt(0)
	v_add_nc_u32_e32 v5, v5, v55
	global_store_byte v5, v4, s[46:47]
	s_or_b32 exec_lo, exec_lo, s23
	v_cmp_lt_u32_e64 s29, v56, v43
	s_and_saveexec_b32 s23, s29
	s_cbranch_execz .LBB1561_809
.LBB1561_881:                           ;   in Loop: Header=BB1561_730 Depth=2
	ds_read_u8 v4, v0 offset:2816
	s_waitcnt lgkmcnt(0)
	v_and_b32_e32 v5, 1, v4
	v_xor_b32_e32 v4, 1, v4
	v_lshrrev_b32_e32 v5, s41, v5
	v_and_b32_e32 v5, s62, v5
	v_lshlrev_b32_e32 v5, 2, v5
	ds_read_b32 v5, v5
	s_waitcnt lgkmcnt(0)
	v_add_nc_u32_e32 v5, v5, v56
	global_store_byte v5, v4, s[46:47]
	s_or_b32 exec_lo, exec_lo, s23
	v_cmp_lt_u32_e64 s28, v57, v43
	s_and_saveexec_b32 s23, s28
	s_cbranch_execz .LBB1561_810
.LBB1561_882:                           ;   in Loop: Header=BB1561_730 Depth=2
	ds_read_u8 v4, v0 offset:3072
	s_waitcnt lgkmcnt(0)
	v_and_b32_e32 v5, 1, v4
	v_xor_b32_e32 v4, 1, v4
	v_lshrrev_b32_e32 v5, s41, v5
	v_and_b32_e32 v5, s62, v5
	v_lshlrev_b32_e32 v5, 2, v5
	ds_read_b32 v5, v5
	s_waitcnt lgkmcnt(0)
	v_add_nc_u32_e32 v5, v5, v57
	global_store_byte v5, v4, s[46:47]
	s_or_b32 exec_lo, exec_lo, s23
	v_cmp_lt_u32_e64 s27, v58, v43
	s_and_saveexec_b32 s23, s27
	s_cbranch_execz .LBB1561_811
.LBB1561_883:                           ;   in Loop: Header=BB1561_730 Depth=2
	ds_read_u8 v4, v0 offset:3328
	s_waitcnt lgkmcnt(0)
	v_and_b32_e32 v5, 1, v4
	v_xor_b32_e32 v4, 1, v4
	v_lshrrev_b32_e32 v5, s41, v5
	v_and_b32_e32 v5, s62, v5
	v_lshlrev_b32_e32 v5, 2, v5
	ds_read_b32 v5, v5
	s_waitcnt lgkmcnt(0)
	v_add_nc_u32_e32 v5, v5, v58
	global_store_byte v5, v4, s[46:47]
	s_or_b32 exec_lo, exec_lo, s23
	v_cmp_lt_u32_e64 s26, v59, v43
	s_and_saveexec_b32 s23, s26
	s_cbranch_execz .LBB1561_812
.LBB1561_884:                           ;   in Loop: Header=BB1561_730 Depth=2
	ds_read_u8 v4, v0 offset:3584
	s_waitcnt lgkmcnt(0)
	v_and_b32_e32 v5, 1, v4
	v_xor_b32_e32 v4, 1, v4
	v_lshrrev_b32_e32 v5, s41, v5
	v_and_b32_e32 v5, s62, v5
	v_lshlrev_b32_e32 v5, 2, v5
	ds_read_b32 v5, v5
	s_waitcnt lgkmcnt(0)
	v_add_nc_u32_e32 v5, v5, v59
	global_store_byte v5, v4, s[46:47]
	s_or_b32 exec_lo, exec_lo, s23
	v_cmp_lt_u32_e64 s25, v60, v43
	s_and_saveexec_b32 s23, s25
	s_cbranch_execz .LBB1561_813
.LBB1561_885:                           ;   in Loop: Header=BB1561_730 Depth=2
	ds_read_u8 v4, v0 offset:3840
	s_waitcnt lgkmcnt(0)
	v_and_b32_e32 v5, 1, v4
	v_xor_b32_e32 v4, 1, v4
	v_lshrrev_b32_e32 v5, s41, v5
	v_and_b32_e32 v5, s62, v5
	v_lshlrev_b32_e32 v5, 2, v5
	ds_read_b32 v5, v5
	s_waitcnt lgkmcnt(0)
	v_add_nc_u32_e32 v5, v5, v60
	global_store_byte v5, v4, s[46:47]
	s_or_b32 exec_lo, exec_lo, s23
	v_cmp_lt_u32_e64 s24, v61, v43
	s_and_saveexec_b32 s23, s24
	s_cbranch_execz .LBB1561_814
.LBB1561_886:                           ;   in Loop: Header=BB1561_730 Depth=2
	ds_read_u8 v4, v0 offset:4096
	s_waitcnt lgkmcnt(0)
	v_and_b32_e32 v5, 1, v4
	v_xor_b32_e32 v4, 1, v4
	v_lshrrev_b32_e32 v5, s41, v5
	v_and_b32_e32 v5, s62, v5
	v_lshlrev_b32_e32 v5, 2, v5
	ds_read_b32 v5, v5
	s_waitcnt lgkmcnt(0)
	v_add_nc_u32_e32 v5, v5, v61
	global_store_byte v5, v4, s[46:47]
	s_or_b32 exec_lo, exec_lo, s23
	v_cmp_lt_u32_e64 s23, v62, v43
	s_and_saveexec_b32 s40, s23
	s_cbranch_execz .LBB1561_815
.LBB1561_887:                           ;   in Loop: Header=BB1561_730 Depth=2
	ds_read_u8 v4, v0 offset:4352
	s_waitcnt lgkmcnt(0)
	v_and_b32_e32 v5, 1, v4
	v_xor_b32_e32 v4, 1, v4
	v_lshrrev_b32_e32 v5, s41, v5
	v_and_b32_e32 v5, s62, v5
	v_lshlrev_b32_e32 v5, 2, v5
	ds_read_b32 v5, v5
	s_waitcnt lgkmcnt(0)
	v_add_nc_u32_e32 v5, v5, v62
	global_store_byte v5, v4, s[46:47]
	s_or_b32 exec_lo, exec_lo, s40
	v_cmp_lt_u32_e32 vcc_lo, v63, v43
	s_and_saveexec_b32 s40, vcc_lo
	s_cbranch_execnz .LBB1561_816
	s_branch .LBB1561_817
.LBB1561_888:                           ;   in Loop: Header=BB1561_730 Depth=2
	global_load_dwordx2 v[41:42], v[4:5], off
	s_or_b32 exec_lo, exec_lo, s40
	s_mov_b32 s50, exec_lo
	v_cmpx_lt_u32_e64 v101, v43
	s_cbranch_execz .LBB1561_819
.LBB1561_889:                           ;   in Loop: Header=BB1561_730 Depth=2
	global_load_dwordx2 v[39:40], v[4:5], off offset:256
	s_or_b32 exec_lo, exec_lo, s50
	s_mov_b32 s50, exec_lo
	v_cmpx_lt_u32_e64 v102, v43
	s_cbranch_execz .LBB1561_820
.LBB1561_890:                           ;   in Loop: Header=BB1561_730 Depth=2
	global_load_dwordx2 v[37:38], v[4:5], off offset:512
	s_or_b32 exec_lo, exec_lo, s50
	s_mov_b32 s50, exec_lo
	v_cmpx_lt_u32_e64 v103, v43
	s_cbranch_execz .LBB1561_821
.LBB1561_891:                           ;   in Loop: Header=BB1561_730 Depth=2
	global_load_dwordx2 v[35:36], v[4:5], off offset:768
	s_or_b32 exec_lo, exec_lo, s50
	s_mov_b32 s50, exec_lo
	v_cmpx_lt_u32_e64 v104, v43
	s_cbranch_execz .LBB1561_822
.LBB1561_892:                           ;   in Loop: Header=BB1561_730 Depth=2
	global_load_dwordx2 v[33:34], v[4:5], off offset:1024
	s_or_b32 exec_lo, exec_lo, s50
	s_mov_b32 s50, exec_lo
	v_cmpx_lt_u32_e64 v105, v43
	s_cbranch_execz .LBB1561_823
.LBB1561_893:                           ;   in Loop: Header=BB1561_730 Depth=2
	global_load_dwordx2 v[29:30], v[4:5], off offset:1280
	s_or_b32 exec_lo, exec_lo, s50
	s_mov_b32 s50, exec_lo
	v_cmpx_lt_u32_e64 v106, v43
	s_cbranch_execz .LBB1561_824
.LBB1561_894:                           ;   in Loop: Header=BB1561_730 Depth=2
	global_load_dwordx2 v[25:26], v[4:5], off offset:1536
	s_or_b32 exec_lo, exec_lo, s50
	s_mov_b32 s50, exec_lo
	v_cmpx_lt_u32_e64 v107, v43
	s_cbranch_execz .LBB1561_825
.LBB1561_895:                           ;   in Loop: Header=BB1561_730 Depth=2
	global_load_dwordx2 v[21:22], v[4:5], off offset:1792
	s_or_b32 exec_lo, exec_lo, s50
	s_mov_b32 s50, exec_lo
	v_cmpx_lt_u32_e64 v108, v43
	s_cbranch_execz .LBB1561_826
.LBB1561_896:                           ;   in Loop: Header=BB1561_730 Depth=2
	v_add_co_u32 v31, s40, 0x800, v4
	v_add_co_ci_u32_e64 v32, null, 0, v5, s40
	global_load_dwordx2 v[31:32], v[31:32], off
	s_or_b32 exec_lo, exec_lo, s50
	s_mov_b32 s50, exec_lo
	v_cmpx_lt_u32_e64 v109, v43
	s_cbranch_execz .LBB1561_827
.LBB1561_897:                           ;   in Loop: Header=BB1561_730 Depth=2
	v_add_co_u32 v27, s40, 0x800, v4
	v_add_co_ci_u32_e64 v28, null, 0, v5, s40
	global_load_dwordx2 v[27:28], v[27:28], off offset:256
	s_or_b32 exec_lo, exec_lo, s50
	s_mov_b32 s50, exec_lo
	v_cmpx_lt_u32_e64 v110, v43
	s_cbranch_execz .LBB1561_828
.LBB1561_898:                           ;   in Loop: Header=BB1561_730 Depth=2
	v_add_co_u32 v23, s40, 0x800, v4
	v_add_co_ci_u32_e64 v24, null, 0, v5, s40
	global_load_dwordx2 v[23:24], v[23:24], off offset:512
	s_or_b32 exec_lo, exec_lo, s50
	s_mov_b32 s50, exec_lo
	v_cmpx_lt_u32_e64 v111, v43
	s_cbranch_execz .LBB1561_829
.LBB1561_899:                           ;   in Loop: Header=BB1561_730 Depth=2
	v_add_co_u32 v19, s40, 0x800, v4
	v_add_co_ci_u32_e64 v20, null, 0, v5, s40
	global_load_dwordx2 v[19:20], v[19:20], off offset:768
	s_or_b32 exec_lo, exec_lo, s50
	s_mov_b32 s50, exec_lo
	v_cmpx_lt_u32_e64 v112, v43
	s_cbranch_execz .LBB1561_830
.LBB1561_900:                           ;   in Loop: Header=BB1561_730 Depth=2
	v_add_co_u32 v17, s40, 0x800, v4
	v_add_co_ci_u32_e64 v18, null, 0, v5, s40
	global_load_dwordx2 v[17:18], v[17:18], off offset:1024
	s_or_b32 exec_lo, exec_lo, s50
	s_mov_b32 s50, exec_lo
	v_cmpx_lt_u32_e64 v113, v43
	s_cbranch_execz .LBB1561_831
.LBB1561_901:                           ;   in Loop: Header=BB1561_730 Depth=2
	v_add_co_u32 v15, s40, 0x800, v4
	v_add_co_ci_u32_e64 v16, null, 0, v5, s40
	global_load_dwordx2 v[15:16], v[15:16], off offset:1280
	s_or_b32 exec_lo, exec_lo, s50
	s_mov_b32 s50, exec_lo
	v_cmpx_lt_u32_e64 v114, v43
	s_cbranch_execz .LBB1561_832
.LBB1561_902:                           ;   in Loop: Header=BB1561_730 Depth=2
	v_add_co_u32 v13, s40, 0x800, v4
	v_add_co_ci_u32_e64 v14, null, 0, v5, s40
	global_load_dwordx2 v[13:14], v[13:14], off offset:1536
	s_or_b32 exec_lo, exec_lo, s50
	s_mov_b32 s50, exec_lo
	v_cmpx_lt_u32_e64 v115, v43
	s_cbranch_execz .LBB1561_833
.LBB1561_903:                           ;   in Loop: Header=BB1561_730 Depth=2
	v_add_co_u32 v11, s40, 0x800, v4
	v_add_co_ci_u32_e64 v12, null, 0, v5, s40
	global_load_dwordx2 v[11:12], v[11:12], off offset:1792
	s_or_b32 exec_lo, exec_lo, s50
	s_mov_b32 s50, exec_lo
	v_cmpx_lt_u32_e64 v116, v43
	s_cbranch_execz .LBB1561_834
.LBB1561_904:                           ;   in Loop: Header=BB1561_730 Depth=2
	v_add_co_u32 v4, s40, 0x1000, v4
	v_add_co_ci_u32_e64 v5, null, 0, v5, s40
	global_load_dwordx2 v[9:10], v[4:5], off
	s_or_b32 exec_lo, exec_lo, s50
	s_and_saveexec_b32 s40, s39
	s_cbranch_execz .LBB1561_835
.LBB1561_905:                           ;   in Loop: Header=BB1561_730 Depth=2
	ds_read_u8 v4, v0 offset:512
	s_waitcnt lgkmcnt(0)
	v_lshrrev_b32_e32 v4, s41, v4
	v_and_b32_e32 v134, s62, v4
	s_or_b32 exec_lo, exec_lo, s40
	s_and_saveexec_b32 s40, s38
	s_cbranch_execz .LBB1561_836
.LBB1561_906:                           ;   in Loop: Header=BB1561_730 Depth=2
	ds_read_u8 v4, v0 offset:768
	s_waitcnt lgkmcnt(0)
	v_lshrrev_b32_e32 v4, s41, v4
	v_and_b32_e32 v133, s62, v4
	s_or_b32 exec_lo, exec_lo, s40
	s_and_saveexec_b32 s40, s37
	s_cbranch_execz .LBB1561_837
.LBB1561_907:                           ;   in Loop: Header=BB1561_730 Depth=2
	ds_read_u8 v4, v0 offset:1024
	s_waitcnt lgkmcnt(0)
	v_lshrrev_b32_e32 v4, s41, v4
	v_and_b32_e32 v132, s62, v4
	s_or_b32 exec_lo, exec_lo, s40
	s_and_saveexec_b32 s40, s36
	s_cbranch_execz .LBB1561_838
.LBB1561_908:                           ;   in Loop: Header=BB1561_730 Depth=2
	ds_read_u8 v4, v0 offset:1280
	s_waitcnt lgkmcnt(0)
	v_lshrrev_b32_e32 v4, s41, v4
	v_and_b32_e32 v131, s62, v4
	s_or_b32 exec_lo, exec_lo, s40
	s_and_saveexec_b32 s40, s35
	s_cbranch_execz .LBB1561_839
.LBB1561_909:                           ;   in Loop: Header=BB1561_730 Depth=2
	ds_read_u8 v4, v0 offset:1536
	s_waitcnt lgkmcnt(0)
	v_lshrrev_b32_e32 v4, s41, v4
	v_and_b32_e32 v130, s62, v4
	s_or_b32 exec_lo, exec_lo, s40
	s_and_saveexec_b32 s40, s34
	s_cbranch_execz .LBB1561_840
.LBB1561_910:                           ;   in Loop: Header=BB1561_730 Depth=2
	ds_read_u8 v4, v0 offset:1792
	s_waitcnt lgkmcnt(0)
	v_lshrrev_b32_e32 v4, s41, v4
	v_and_b32_e32 v129, s62, v4
	s_or_b32 exec_lo, exec_lo, s40
	s_and_saveexec_b32 s40, s33
	s_cbranch_execz .LBB1561_841
.LBB1561_911:                           ;   in Loop: Header=BB1561_730 Depth=2
	ds_read_u8 v4, v0 offset:2048
	s_waitcnt lgkmcnt(0)
	v_lshrrev_b32_e32 v4, s41, v4
	v_and_b32_e32 v128, s62, v4
	s_or_b32 exec_lo, exec_lo, s40
	s_and_saveexec_b32 s40, s31
	s_cbranch_execz .LBB1561_842
.LBB1561_912:                           ;   in Loop: Header=BB1561_730 Depth=2
	ds_read_u8 v4, v0 offset:2304
	s_waitcnt lgkmcnt(0)
	v_lshrrev_b32_e32 v4, s41, v4
	v_and_b32_e32 v127, s62, v4
	s_or_b32 exec_lo, exec_lo, s40
	s_and_saveexec_b32 s40, s30
	s_cbranch_execz .LBB1561_843
.LBB1561_913:                           ;   in Loop: Header=BB1561_730 Depth=2
	ds_read_u8 v4, v0 offset:2560
	s_waitcnt lgkmcnt(0)
	v_lshrrev_b32_e32 v4, s41, v4
	v_and_b32_e32 v126, s62, v4
	s_or_b32 exec_lo, exec_lo, s40
	s_and_saveexec_b32 s40, s29
	s_cbranch_execz .LBB1561_844
.LBB1561_914:                           ;   in Loop: Header=BB1561_730 Depth=2
	ds_read_u8 v4, v0 offset:2816
	s_waitcnt lgkmcnt(0)
	v_lshrrev_b32_e32 v4, s41, v4
	v_and_b32_e32 v125, s62, v4
	s_or_b32 exec_lo, exec_lo, s40
	s_and_saveexec_b32 s40, s28
	s_cbranch_execz .LBB1561_845
.LBB1561_915:                           ;   in Loop: Header=BB1561_730 Depth=2
	ds_read_u8 v4, v0 offset:3072
	s_waitcnt lgkmcnt(0)
	v_lshrrev_b32_e32 v4, s41, v4
	v_and_b32_e32 v124, s62, v4
	s_or_b32 exec_lo, exec_lo, s40
	s_and_saveexec_b32 s40, s27
	s_cbranch_execz .LBB1561_846
.LBB1561_916:                           ;   in Loop: Header=BB1561_730 Depth=2
	ds_read_u8 v4, v0 offset:3328
	s_waitcnt lgkmcnt(0)
	v_lshrrev_b32_e32 v4, s41, v4
	v_and_b32_e32 v123, s62, v4
	s_or_b32 exec_lo, exec_lo, s40
	s_and_saveexec_b32 s40, s26
	s_cbranch_execz .LBB1561_847
.LBB1561_917:                           ;   in Loop: Header=BB1561_730 Depth=2
	ds_read_u8 v4, v0 offset:3584
	s_waitcnt lgkmcnt(0)
	v_lshrrev_b32_e32 v4, s41, v4
	v_and_b32_e32 v122, s62, v4
	s_or_b32 exec_lo, exec_lo, s40
	s_and_saveexec_b32 s40, s25
	s_cbranch_execz .LBB1561_848
.LBB1561_918:                           ;   in Loop: Header=BB1561_730 Depth=2
	ds_read_u8 v4, v0 offset:3840
	s_waitcnt lgkmcnt(0)
	v_lshrrev_b32_e32 v4, s41, v4
	v_and_b32_e32 v121, s62, v4
	s_or_b32 exec_lo, exec_lo, s40
	s_and_saveexec_b32 s40, s24
	s_cbranch_execz .LBB1561_849
.LBB1561_919:                           ;   in Loop: Header=BB1561_730 Depth=2
	ds_read_u8 v4, v0 offset:4096
	s_waitcnt lgkmcnt(0)
	v_lshrrev_b32_e32 v4, s41, v4
	v_and_b32_e32 v120, s62, v4
	s_or_b32 exec_lo, exec_lo, s40
	s_and_saveexec_b32 s40, s23
	s_cbranch_execz .LBB1561_850
.LBB1561_920:                           ;   in Loop: Header=BB1561_730 Depth=2
	ds_read_u8 v4, v0 offset:4352
	s_waitcnt lgkmcnt(0)
	v_lshrrev_b32_e32 v4, s41, v4
	v_and_b32_e32 v119, s62, v4
	s_or_b32 exec_lo, exec_lo, s40
	s_and_saveexec_b32 s40, vcc_lo
	s_cbranch_execnz .LBB1561_851
	s_branch .LBB1561_852
.LBB1561_921:                           ;   in Loop: Header=BB1561_730 Depth=2
	v_lshlrev_b32_e32 v4, 2, v134
	v_mov_b32_e32 v7, v3
	ds_read_b32 v6, v4
	v_add_nc_u32_e32 v4, v0, v77
	ds_read_b64 v[4:5], v4 offset:512
	s_waitcnt lgkmcnt(1)
	v_add_nc_u32_e32 v6, v6, v0
	v_lshlrev_b64 v[6:7], 3, v[6:7]
	v_add_co_u32 v6, s39, s52, v6
	v_add_co_ci_u32_e64 v7, null, s53, v7, s39
	s_waitcnt lgkmcnt(0)
	global_store_dwordx2 v[6:7], v[4:5], off
	s_or_b32 exec_lo, exec_lo, s40
	s_and_saveexec_b32 s39, s38
	s_cbranch_execz .LBB1561_854
.LBB1561_922:                           ;   in Loop: Header=BB1561_730 Depth=2
	v_lshlrev_b32_e32 v4, 2, v133
	v_mov_b32_e32 v7, v3
	ds_read_b32 v6, v4
	v_add_nc_u32_e32 v4, v0, v77
	ds_read_b64 v[4:5], v4 offset:2560
	s_waitcnt lgkmcnt(1)
	v_add_nc_u32_e32 v6, v6, v46
	v_lshlrev_b64 v[6:7], 3, v[6:7]
	v_add_co_u32 v6, s38, s52, v6
	v_add_co_ci_u32_e64 v7, null, s53, v7, s38
	s_waitcnt lgkmcnt(0)
	global_store_dwordx2 v[6:7], v[4:5], off
	s_or_b32 exec_lo, exec_lo, s39
	s_and_saveexec_b32 s38, s37
	s_cbranch_execz .LBB1561_855
.LBB1561_923:                           ;   in Loop: Header=BB1561_730 Depth=2
	v_lshlrev_b32_e32 v4, 2, v132
	v_mov_b32_e32 v7, v3
	ds_read_b32 v6, v4
	v_add_nc_u32_e32 v4, v0, v77
	ds_read_b64 v[4:5], v4 offset:4608
	s_waitcnt lgkmcnt(1)
	v_add_nc_u32_e32 v6, v6, v49
	v_lshlrev_b64 v[6:7], 3, v[6:7]
	v_add_co_u32 v6, s37, s52, v6
	v_add_co_ci_u32_e64 v7, null, s53, v7, s37
	s_waitcnt lgkmcnt(0)
	global_store_dwordx2 v[6:7], v[4:5], off
	s_or_b32 exec_lo, exec_lo, s38
	s_and_saveexec_b32 s37, s36
	s_cbranch_execz .LBB1561_856
.LBB1561_924:                           ;   in Loop: Header=BB1561_730 Depth=2
	v_lshlrev_b32_e32 v4, 2, v131
	v_mov_b32_e32 v7, v3
	ds_read_b32 v6, v4
	v_add_nc_u32_e32 v4, v0, v77
	ds_read_b64 v[4:5], v4 offset:6656
	s_waitcnt lgkmcnt(1)
	v_add_nc_u32_e32 v6, v6, v50
	v_lshlrev_b64 v[6:7], 3, v[6:7]
	v_add_co_u32 v6, s36, s52, v6
	v_add_co_ci_u32_e64 v7, null, s53, v7, s36
	s_waitcnt lgkmcnt(0)
	global_store_dwordx2 v[6:7], v[4:5], off
	s_or_b32 exec_lo, exec_lo, s37
	s_and_saveexec_b32 s36, s35
	s_cbranch_execz .LBB1561_857
.LBB1561_925:                           ;   in Loop: Header=BB1561_730 Depth=2
	v_lshlrev_b32_e32 v4, 2, v130
	v_mov_b32_e32 v7, v3
	ds_read_b32 v6, v4
	v_add_nc_u32_e32 v4, v0, v77
	ds_read_b64 v[4:5], v4 offset:8704
	s_waitcnt lgkmcnt(1)
	v_add_nc_u32_e32 v6, v6, v51
	v_lshlrev_b64 v[6:7], 3, v[6:7]
	v_add_co_u32 v6, s35, s52, v6
	v_add_co_ci_u32_e64 v7, null, s53, v7, s35
	s_waitcnt lgkmcnt(0)
	global_store_dwordx2 v[6:7], v[4:5], off
	s_or_b32 exec_lo, exec_lo, s36
	s_and_saveexec_b32 s35, s34
	s_cbranch_execz .LBB1561_858
.LBB1561_926:                           ;   in Loop: Header=BB1561_730 Depth=2
	v_lshlrev_b32_e32 v4, 2, v129
	v_mov_b32_e32 v7, v3
	ds_read_b32 v6, v4
	v_add_nc_u32_e32 v4, v0, v77
	ds_read_b64 v[4:5], v4 offset:10752
	s_waitcnt lgkmcnt(1)
	v_add_nc_u32_e32 v6, v6, v52
	v_lshlrev_b64 v[6:7], 3, v[6:7]
	v_add_co_u32 v6, s34, s52, v6
	v_add_co_ci_u32_e64 v7, null, s53, v7, s34
	s_waitcnt lgkmcnt(0)
	global_store_dwordx2 v[6:7], v[4:5], off
	s_or_b32 exec_lo, exec_lo, s35
	s_and_saveexec_b32 s34, s33
	s_cbranch_execz .LBB1561_859
.LBB1561_927:                           ;   in Loop: Header=BB1561_730 Depth=2
	v_lshlrev_b32_e32 v4, 2, v128
	v_mov_b32_e32 v7, v3
	ds_read_b32 v6, v4
	v_add_nc_u32_e32 v4, v0, v77
	ds_read_b64 v[4:5], v4 offset:12800
	s_waitcnt lgkmcnt(1)
	v_add_nc_u32_e32 v6, v6, v53
	v_lshlrev_b64 v[6:7], 3, v[6:7]
	v_add_co_u32 v6, s33, s52, v6
	v_add_co_ci_u32_e64 v7, null, s53, v7, s33
	s_waitcnt lgkmcnt(0)
	global_store_dwordx2 v[6:7], v[4:5], off
	s_or_b32 exec_lo, exec_lo, s34
	s_and_saveexec_b32 s33, s31
	s_cbranch_execz .LBB1561_860
.LBB1561_928:                           ;   in Loop: Header=BB1561_730 Depth=2
	v_lshlrev_b32_e32 v4, 2, v127
	v_mov_b32_e32 v7, v3
	ds_read_b32 v6, v4
	v_add_nc_u32_e32 v4, v0, v77
	ds_read_b64 v[4:5], v4 offset:14848
	s_waitcnt lgkmcnt(1)
	v_add_nc_u32_e32 v6, v6, v54
	v_lshlrev_b64 v[6:7], 3, v[6:7]
	v_add_co_u32 v6, s31, s52, v6
	v_add_co_ci_u32_e64 v7, null, s53, v7, s31
	s_waitcnt lgkmcnt(0)
	global_store_dwordx2 v[6:7], v[4:5], off
	s_or_b32 exec_lo, exec_lo, s33
	s_and_saveexec_b32 s31, s30
	s_cbranch_execz .LBB1561_861
.LBB1561_929:                           ;   in Loop: Header=BB1561_730 Depth=2
	v_lshlrev_b32_e32 v4, 2, v126
	v_mov_b32_e32 v7, v3
	ds_read_b32 v6, v4
	v_add_nc_u32_e32 v4, v0, v77
	ds_read_b64 v[4:5], v4 offset:16896
	s_waitcnt lgkmcnt(1)
	v_add_nc_u32_e32 v6, v6, v55
	v_lshlrev_b64 v[6:7], 3, v[6:7]
	v_add_co_u32 v6, s30, s52, v6
	v_add_co_ci_u32_e64 v7, null, s53, v7, s30
	s_waitcnt lgkmcnt(0)
	global_store_dwordx2 v[6:7], v[4:5], off
	s_or_b32 exec_lo, exec_lo, s31
	s_and_saveexec_b32 s30, s29
	s_cbranch_execz .LBB1561_862
.LBB1561_930:                           ;   in Loop: Header=BB1561_730 Depth=2
	v_lshlrev_b32_e32 v4, 2, v125
	v_mov_b32_e32 v7, v3
	ds_read_b32 v6, v4
	v_add_nc_u32_e32 v4, v0, v77
	ds_read_b64 v[4:5], v4 offset:18944
	s_waitcnt lgkmcnt(1)
	v_add_nc_u32_e32 v6, v6, v56
	v_lshlrev_b64 v[6:7], 3, v[6:7]
	v_add_co_u32 v6, s29, s52, v6
	v_add_co_ci_u32_e64 v7, null, s53, v7, s29
	s_waitcnt lgkmcnt(0)
	global_store_dwordx2 v[6:7], v[4:5], off
	s_or_b32 exec_lo, exec_lo, s30
	s_and_saveexec_b32 s29, s28
	s_cbranch_execz .LBB1561_863
.LBB1561_931:                           ;   in Loop: Header=BB1561_730 Depth=2
	v_lshlrev_b32_e32 v4, 2, v124
	v_mov_b32_e32 v7, v3
	ds_read_b32 v6, v4
	v_add_nc_u32_e32 v4, v0, v77
	ds_read_b64 v[4:5], v4 offset:20992
	s_waitcnt lgkmcnt(1)
	v_add_nc_u32_e32 v6, v6, v57
	v_lshlrev_b64 v[6:7], 3, v[6:7]
	v_add_co_u32 v6, s28, s52, v6
	v_add_co_ci_u32_e64 v7, null, s53, v7, s28
	s_waitcnt lgkmcnt(0)
	global_store_dwordx2 v[6:7], v[4:5], off
	s_or_b32 exec_lo, exec_lo, s29
	s_and_saveexec_b32 s28, s27
	s_cbranch_execz .LBB1561_864
.LBB1561_932:                           ;   in Loop: Header=BB1561_730 Depth=2
	v_lshlrev_b32_e32 v4, 2, v123
	v_mov_b32_e32 v7, v3
	ds_read_b32 v6, v4
	v_add_nc_u32_e32 v4, v0, v77
	ds_read_b64 v[4:5], v4 offset:23040
	s_waitcnt lgkmcnt(1)
	v_add_nc_u32_e32 v6, v6, v58
	v_lshlrev_b64 v[6:7], 3, v[6:7]
	v_add_co_u32 v6, s27, s52, v6
	v_add_co_ci_u32_e64 v7, null, s53, v7, s27
	s_waitcnt lgkmcnt(0)
	global_store_dwordx2 v[6:7], v[4:5], off
	s_or_b32 exec_lo, exec_lo, s28
	s_and_saveexec_b32 s27, s26
	s_cbranch_execz .LBB1561_865
.LBB1561_933:                           ;   in Loop: Header=BB1561_730 Depth=2
	v_lshlrev_b32_e32 v4, 2, v122
	v_mov_b32_e32 v7, v3
	ds_read_b32 v6, v4
	v_add_nc_u32_e32 v4, v0, v77
	ds_read_b64 v[4:5], v4 offset:25088
	s_waitcnt lgkmcnt(1)
	v_add_nc_u32_e32 v6, v6, v59
	v_lshlrev_b64 v[6:7], 3, v[6:7]
	v_add_co_u32 v6, s26, s52, v6
	v_add_co_ci_u32_e64 v7, null, s53, v7, s26
	s_waitcnt lgkmcnt(0)
	global_store_dwordx2 v[6:7], v[4:5], off
	s_or_b32 exec_lo, exec_lo, s27
	s_and_saveexec_b32 s26, s25
	s_cbranch_execz .LBB1561_866
.LBB1561_934:                           ;   in Loop: Header=BB1561_730 Depth=2
	v_lshlrev_b32_e32 v4, 2, v121
	v_mov_b32_e32 v7, v3
	ds_read_b32 v6, v4
	v_add_nc_u32_e32 v4, v0, v77
	ds_read_b64 v[4:5], v4 offset:27136
	s_waitcnt lgkmcnt(1)
	v_add_nc_u32_e32 v6, v6, v60
	v_lshlrev_b64 v[6:7], 3, v[6:7]
	v_add_co_u32 v6, s25, s52, v6
	v_add_co_ci_u32_e64 v7, null, s53, v7, s25
	s_waitcnt lgkmcnt(0)
	global_store_dwordx2 v[6:7], v[4:5], off
	s_or_b32 exec_lo, exec_lo, s26
	s_and_saveexec_b32 s25, s24
	s_cbranch_execz .LBB1561_867
.LBB1561_935:                           ;   in Loop: Header=BB1561_730 Depth=2
	v_lshlrev_b32_e32 v4, 2, v120
	v_mov_b32_e32 v7, v3
	ds_read_b32 v6, v4
	v_add_nc_u32_e32 v4, v0, v77
	ds_read_b64 v[4:5], v4 offset:29184
	s_waitcnt lgkmcnt(1)
	v_add_nc_u32_e32 v6, v6, v61
	v_lshlrev_b64 v[6:7], 3, v[6:7]
	v_add_co_u32 v6, s24, s52, v6
	v_add_co_ci_u32_e64 v7, null, s53, v7, s24
	s_waitcnt lgkmcnt(0)
	global_store_dwordx2 v[6:7], v[4:5], off
	s_or_b32 exec_lo, exec_lo, s25
	s_and_saveexec_b32 s24, s23
	s_cbranch_execz .LBB1561_868
.LBB1561_936:                           ;   in Loop: Header=BB1561_730 Depth=2
	v_lshlrev_b32_e32 v4, 2, v119
	v_mov_b32_e32 v7, v3
	ds_read_b32 v6, v4
	v_add_nc_u32_e32 v4, v0, v77
	ds_read_b64 v[4:5], v4 offset:31232
	s_waitcnt lgkmcnt(1)
	v_add_nc_u32_e32 v6, v6, v62
	v_lshlrev_b64 v[6:7], 3, v[6:7]
	v_add_co_u32 v6, s23, s52, v6
	v_add_co_ci_u32_e64 v7, null, s53, v7, s23
	s_waitcnt lgkmcnt(0)
	global_store_dwordx2 v[6:7], v[4:5], off
	s_or_b32 exec_lo, exec_lo, s24
	s_and_saveexec_b32 s23, vcc_lo
	s_cbranch_execnz .LBB1561_869
	s_branch .LBB1561_870
.LBB1561_937:                           ;   in Loop: Header=BB1561_730 Depth=2
	global_load_ubyte v4, v[43:44], off
	v_mov_b32_e32 v5, v3
	v_mov_b32_e32 v6, v3
	v_mov_b32_e32 v7, v3
	v_mov_b32_e32 v8, v3
	s_or_b32 exec_lo, exec_lo, s23
	s_mov_b32 s23, exec_lo
	v_cmpx_gt_u32_e64 s63, v101
	s_cbranch_execz .LBB1561_735
.LBB1561_938:                           ;   in Loop: Header=BB1561_730 Depth=2
	global_load_ubyte v137, v[43:44], off offset:32
	v_and_b32_e32 v8, 0xff, v8
	s_waitcnt vmcnt(0)
	v_perm_b32 v4, v4, v137, 0x7060004
	s_or_b32 exec_lo, exec_lo, s23
	s_mov_b32 s23, exec_lo
	v_cmpx_gt_u32_e64 s63, v102
	s_cbranch_execz .LBB1561_736
.LBB1561_939:                           ;   in Loop: Header=BB1561_730 Depth=2
	global_load_ubyte v137, v[43:44], off offset:64
	v_and_b32_e32 v8, 0xff, v8
	s_waitcnt vmcnt(0)
	v_perm_b32 v4, v4, v137, 0x7000504
	s_or_b32 exec_lo, exec_lo, s23
	s_mov_b32 s23, exec_lo
	v_cmpx_gt_u32_e64 s63, v103
	s_cbranch_execz .LBB1561_737
.LBB1561_940:                           ;   in Loop: Header=BB1561_730 Depth=2
	global_load_ubyte v137, v[43:44], off offset:96
	v_and_b32_e32 v8, 0xff, v8
	s_waitcnt vmcnt(0)
	v_perm_b32 v4, v4, v137, 0x60504
	s_or_b32 exec_lo, exec_lo, s23
	s_mov_b32 s23, exec_lo
	v_cmpx_gt_u32_e64 s63, v104
	s_cbranch_execz .LBB1561_738
.LBB1561_941:                           ;   in Loop: Header=BB1561_730 Depth=2
	global_load_ubyte v137, v[43:44], off offset:128
	v_and_b32_e32 v8, 0xff, v8
	s_waitcnt vmcnt(0)
	v_perm_b32 v5, v137, v5, 0x3020104
	s_or_b32 exec_lo, exec_lo, s23
	s_mov_b32 s23, exec_lo
	v_cmpx_gt_u32_e64 s63, v105
	s_cbranch_execz .LBB1561_739
.LBB1561_942:                           ;   in Loop: Header=BB1561_730 Depth=2
	global_load_ubyte v137, v[43:44], off offset:160
	v_and_b32_e32 v8, 0xff, v8
	s_waitcnt vmcnt(0)
	v_perm_b32 v5, v5, v137, 0x7060004
	s_or_b32 exec_lo, exec_lo, s23
	s_mov_b32 s23, exec_lo
	v_cmpx_gt_u32_e64 s63, v106
	s_cbranch_execz .LBB1561_740
.LBB1561_943:                           ;   in Loop: Header=BB1561_730 Depth=2
	global_load_ubyte v137, v[43:44], off offset:192
	v_and_b32_e32 v8, 0xff, v8
	s_waitcnt vmcnt(0)
	v_perm_b32 v5, v5, v137, 0x7000504
	s_or_b32 exec_lo, exec_lo, s23
	s_mov_b32 s23, exec_lo
	v_cmpx_gt_u32_e64 s63, v107
	s_cbranch_execz .LBB1561_741
.LBB1561_944:                           ;   in Loop: Header=BB1561_730 Depth=2
	global_load_ubyte v137, v[43:44], off offset:224
	v_and_b32_e32 v8, 0xff, v8
	s_waitcnt vmcnt(0)
	v_perm_b32 v5, v5, v137, 0x60504
	s_or_b32 exec_lo, exec_lo, s23
	s_mov_b32 s23, exec_lo
	v_cmpx_gt_u32_e64 s63, v108
	s_cbranch_execz .LBB1561_742
.LBB1561_945:                           ;   in Loop: Header=BB1561_730 Depth=2
	global_load_ubyte v137, v[43:44], off offset:256
	v_and_b32_e32 v8, 0xff, v8
	s_waitcnt vmcnt(0)
	v_perm_b32 v6, v137, v6, 0x3020104
	s_or_b32 exec_lo, exec_lo, s23
	s_mov_b32 s23, exec_lo
	v_cmpx_gt_u32_e64 s63, v109
	s_cbranch_execz .LBB1561_743
.LBB1561_946:                           ;   in Loop: Header=BB1561_730 Depth=2
	global_load_ubyte v137, v[43:44], off offset:288
	v_and_b32_e32 v8, 0xff, v8
	s_waitcnt vmcnt(0)
	v_perm_b32 v6, v6, v137, 0x7060004
	s_or_b32 exec_lo, exec_lo, s23
	s_mov_b32 s23, exec_lo
	v_cmpx_gt_u32_e64 s63, v110
	s_cbranch_execz .LBB1561_744
.LBB1561_947:                           ;   in Loop: Header=BB1561_730 Depth=2
	global_load_ubyte v137, v[43:44], off offset:320
	v_and_b32_e32 v8, 0xff, v8
	s_waitcnt vmcnt(0)
	v_perm_b32 v6, v6, v137, 0x7000504
	s_or_b32 exec_lo, exec_lo, s23
	s_mov_b32 s23, exec_lo
	v_cmpx_gt_u32_e64 s63, v111
	s_cbranch_execz .LBB1561_745
.LBB1561_948:                           ;   in Loop: Header=BB1561_730 Depth=2
	global_load_ubyte v137, v[43:44], off offset:352
	v_and_b32_e32 v8, 0xff, v8
	s_waitcnt vmcnt(0)
	v_perm_b32 v6, v6, v137, 0x60504
	s_or_b32 exec_lo, exec_lo, s23
	s_mov_b32 s23, exec_lo
	v_cmpx_gt_u32_e64 s63, v112
	s_cbranch_execz .LBB1561_746
.LBB1561_949:                           ;   in Loop: Header=BB1561_730 Depth=2
	global_load_ubyte v137, v[43:44], off offset:384
	v_and_b32_e32 v8, 0xff, v8
	s_waitcnt vmcnt(0)
	v_perm_b32 v7, v137, v7, 0x3020104
	s_or_b32 exec_lo, exec_lo, s23
	s_mov_b32 s23, exec_lo
	v_cmpx_gt_u32_e64 s63, v113
	s_cbranch_execz .LBB1561_747
.LBB1561_950:                           ;   in Loop: Header=BB1561_730 Depth=2
	global_load_ubyte v137, v[43:44], off offset:416
	v_and_b32_e32 v8, 0xff, v8
	s_waitcnt vmcnt(0)
	v_perm_b32 v7, v7, v137, 0x7060004
	s_or_b32 exec_lo, exec_lo, s23
	s_mov_b32 s23, exec_lo
	v_cmpx_gt_u32_e64 s63, v114
	s_cbranch_execz .LBB1561_748
.LBB1561_951:                           ;   in Loop: Header=BB1561_730 Depth=2
	global_load_ubyte v137, v[43:44], off offset:448
	v_and_b32_e32 v8, 0xff, v8
	s_waitcnt vmcnt(0)
	v_perm_b32 v7, v7, v137, 0x7000504
	s_or_b32 exec_lo, exec_lo, s23
	s_mov_b32 s23, exec_lo
	v_cmpx_gt_u32_e64 s63, v115
	s_cbranch_execnz .LBB1561_749
	s_branch .LBB1561_750
.LBB1561_952:                           ;   in Loop: Header=BB1561_20 Depth=1
	s_waitcnt lgkmcnt(0)
	s_mov_b32 s5, 0
	s_barrier
.LBB1561_953:                           ;   in Loop: Header=BB1561_20 Depth=1
	s_and_b32 vcc_lo, exec_lo, s5
	s_cbranch_vccz .LBB1561_19
; %bb.954:                              ;   in Loop: Header=BB1561_20 Depth=1
	v_mov_b32_e32 v17, 0
	v_mov_b32_e32 v20, 0
	;; [unrolled: 1-line block ×17, first 2 shown]
	s_mov_b32 s5, s60
	s_mov_b32 s17, s58
	s_barrier
	buffer_gl0_inv
	s_branch .LBB1561_956
.LBB1561_955:                           ;   in Loop: Header=BB1561_956 Depth=2
	s_or_b32 exec_lo, exec_lo, s16
	s_addk_i32 s5, 0xef00
	s_cmp_ge_u32 s15, s59
	s_mov_b32 s17, s15
	s_cbranch_scc1 .LBB1561_1028
.LBB1561_956:                           ;   Parent Loop BB1561_20 Depth=1
                                        ; =>  This Inner Loop Header: Depth=2
	s_add_i32 s15, s17, 0x1100
	s_mov_b32 s16, -1
	s_cmp_gt_u32 s15, s59
                                        ; implicit-def: $vgpr21
                                        ; implicit-def: $vgpr22
                                        ; implicit-def: $vgpr23
                                        ; implicit-def: $vgpr24
                                        ; implicit-def: $vgpr25
                                        ; implicit-def: $vgpr26
                                        ; implicit-def: $vgpr27
                                        ; implicit-def: $vgpr28
                                        ; implicit-def: $vgpr29
                                        ; implicit-def: $vgpr30
                                        ; implicit-def: $vgpr31
                                        ; implicit-def: $vgpr32
                                        ; implicit-def: $vgpr33
                                        ; implicit-def: $vgpr34
                                        ; implicit-def: $vgpr35
                                        ; implicit-def: $vgpr36
                                        ; implicit-def: $vgpr37
	s_cbranch_scc1 .LBB1561_958
; %bb.957:                              ;   in Loop: Header=BB1561_956 Depth=2
	v_add_co_u32 v38, vcc_lo, v84, s17
	v_add_co_ci_u32_e64 v39, null, 0, v85, vcc_lo
	s_mov_b32 s16, 0
	v_add_co_u32 v21, vcc_lo, 0x800, v38
	v_add_co_ci_u32_e64 v22, null, 0, v39, vcc_lo
	v_add_co_u32 v23, vcc_lo, 0x1000, v38
	v_add_co_ci_u32_e64 v24, null, 0, v39, vcc_lo
	s_clause 0x10
	global_load_ubyte v36, v[21:22], off offset:1792
	global_load_ubyte v37, v[23:24], off
	global_load_ubyte v35, v[21:22], off offset:1536
	global_load_ubyte v34, v[21:22], off offset:1280
	;; [unrolled: 1-line block ×6, first 2 shown]
	global_load_ubyte v29, v[21:22], off
	global_load_ubyte v28, v[38:39], off offset:1792
	global_load_ubyte v27, v[38:39], off offset:1536
	;; [unrolled: 1-line block ×7, first 2 shown]
	global_load_ubyte v21, v[38:39], off
.LBB1561_958:                           ;   in Loop: Header=BB1561_956 Depth=2
	s_andn2_b32 vcc_lo, exec_lo, s16
	s_movk_i32 s16, 0x1100
	s_cbranch_vccnz .LBB1561_978
; %bb.959:                              ;   in Loop: Header=BB1561_956 Depth=2
	s_add_u32 s16, s44, s17
	s_addc_u32 s17, s45, 0
	s_mov_b32 s18, exec_lo
	v_cmpx_gt_u32_e64 s5, v0
	s_cbranch_execnz .LBB1561_1012
; %bb.960:                              ;   in Loop: Header=BB1561_956 Depth=2
	s_or_b32 exec_lo, exec_lo, s18
	s_mov_b32 s18, exec_lo
	v_cmpx_gt_u32_e64 s5, v46
	s_cbranch_execnz .LBB1561_1013
.LBB1561_961:                           ;   in Loop: Header=BB1561_956 Depth=2
	s_or_b32 exec_lo, exec_lo, s18
	s_mov_b32 s18, exec_lo
	v_cmpx_gt_u32_e64 s5, v49
	s_cbranch_execnz .LBB1561_1014
.LBB1561_962:                           ;   in Loop: Header=BB1561_956 Depth=2
	s_or_b32 exec_lo, exec_lo, s18
	s_mov_b32 s18, exec_lo
	v_cmpx_gt_u32_e64 s5, v50
	s_cbranch_execnz .LBB1561_1015
.LBB1561_963:                           ;   in Loop: Header=BB1561_956 Depth=2
	s_or_b32 exec_lo, exec_lo, s18
	s_mov_b32 s18, exec_lo
	v_cmpx_gt_u32_e64 s5, v51
	s_cbranch_execnz .LBB1561_1016
.LBB1561_964:                           ;   in Loop: Header=BB1561_956 Depth=2
	s_or_b32 exec_lo, exec_lo, s18
	s_mov_b32 s18, exec_lo
	v_cmpx_gt_u32_e64 s5, v52
	s_cbranch_execnz .LBB1561_1017
.LBB1561_965:                           ;   in Loop: Header=BB1561_956 Depth=2
	s_or_b32 exec_lo, exec_lo, s18
	s_mov_b32 s18, exec_lo
	v_cmpx_gt_u32_e64 s5, v53
	s_cbranch_execnz .LBB1561_1018
.LBB1561_966:                           ;   in Loop: Header=BB1561_956 Depth=2
	s_or_b32 exec_lo, exec_lo, s18
	s_mov_b32 s18, exec_lo
	v_cmpx_gt_u32_e64 s5, v54
	s_cbranch_execnz .LBB1561_1019
.LBB1561_967:                           ;   in Loop: Header=BB1561_956 Depth=2
	s_or_b32 exec_lo, exec_lo, s18
	s_mov_b32 s18, exec_lo
	v_cmpx_gt_u32_e64 s5, v55
	s_cbranch_execnz .LBB1561_1020
.LBB1561_968:                           ;   in Loop: Header=BB1561_956 Depth=2
	s_or_b32 exec_lo, exec_lo, s18
	s_mov_b32 s18, exec_lo
	v_cmpx_gt_u32_e64 s5, v56
	s_cbranch_execnz .LBB1561_1021
.LBB1561_969:                           ;   in Loop: Header=BB1561_956 Depth=2
	s_or_b32 exec_lo, exec_lo, s18
	s_mov_b32 s18, exec_lo
	v_cmpx_gt_u32_e64 s5, v57
	s_cbranch_execnz .LBB1561_1022
.LBB1561_970:                           ;   in Loop: Header=BB1561_956 Depth=2
	s_or_b32 exec_lo, exec_lo, s18
	s_mov_b32 s18, exec_lo
	v_cmpx_gt_u32_e64 s5, v58
	s_cbranch_execnz .LBB1561_1023
.LBB1561_971:                           ;   in Loop: Header=BB1561_956 Depth=2
	s_or_b32 exec_lo, exec_lo, s18
	s_mov_b32 s18, exec_lo
	v_cmpx_gt_u32_e64 s5, v59
	s_cbranch_execnz .LBB1561_1024
.LBB1561_972:                           ;   in Loop: Header=BB1561_956 Depth=2
	s_or_b32 exec_lo, exec_lo, s18
	s_mov_b32 s18, exec_lo
	v_cmpx_gt_u32_e64 s5, v60
	s_cbranch_execnz .LBB1561_1025
.LBB1561_973:                           ;   in Loop: Header=BB1561_956 Depth=2
	s_or_b32 exec_lo, exec_lo, s18
	s_mov_b32 s18, exec_lo
	v_cmpx_gt_u32_e64 s5, v61
	s_cbranch_execnz .LBB1561_1026
.LBB1561_974:                           ;   in Loop: Header=BB1561_956 Depth=2
	s_or_b32 exec_lo, exec_lo, s18
	s_mov_b32 s18, exec_lo
	v_cmpx_gt_u32_e64 s5, v62
	s_cbranch_execnz .LBB1561_1027
.LBB1561_975:                           ;   in Loop: Header=BB1561_956 Depth=2
	s_or_b32 exec_lo, exec_lo, s18
	s_mov_b32 s18, exec_lo
	v_cmpx_gt_u32_e64 s5, v63
	s_cbranch_execz .LBB1561_977
.LBB1561_976:                           ;   in Loop: Header=BB1561_956 Depth=2
	s_waitcnt vmcnt(0)
	v_add_co_u32 v21, s16, s16, v63
	v_add_co_ci_u32_e64 v22, null, s17, 0, s16
	global_load_ubyte v4, v[21:22], off
.LBB1561_977:                           ;   in Loop: Header=BB1561_956 Depth=2
	s_or_b32 exec_lo, exec_lo, s18
	s_waitcnt vmcnt(0)
	v_mov_b32_e32 v21, v17
	v_mov_b32_e32 v22, v20
	;; [unrolled: 1-line block ×17, first 2 shown]
	s_mov_b32 s16, s5
.LBB1561_978:                           ;   in Loop: Header=BB1561_956 Depth=2
	s_waitcnt vmcnt(15)
	v_mov_b32_e32 v4, v37
	v_mov_b32_e32 v5, v36
	s_waitcnt vmcnt(14)
	v_mov_b32_e32 v6, v35
	s_waitcnt vmcnt(13)
	v_mov_b32_e32 v7, v34
	s_waitcnt vmcnt(12)
	v_mov_b32_e32 v8, v33
	s_waitcnt vmcnt(11)
	v_mov_b32_e32 v9, v32
	s_waitcnt vmcnt(10)
	v_mov_b32_e32 v10, v31
	s_waitcnt vmcnt(9)
	v_mov_b32_e32 v11, v30
	s_waitcnt vmcnt(8)
	v_mov_b32_e32 v12, v29
	s_waitcnt vmcnt(7)
	v_mov_b32_e32 v13, v28
	s_waitcnt vmcnt(6)
	v_mov_b32_e32 v14, v27
	s_waitcnt vmcnt(5)
	v_mov_b32_e32 v15, v26
	s_waitcnt vmcnt(4)
	v_mov_b32_e32 v16, v25
	s_waitcnt vmcnt(3)
	v_mov_b32_e32 v18, v24
	s_waitcnt vmcnt(2)
	v_mov_b32_e32 v19, v23
	s_waitcnt vmcnt(1)
	v_mov_b32_e32 v20, v22
	s_waitcnt vmcnt(0)
	v_mov_b32_e32 v17, v21
	s_mov_b32 s17, exec_lo
	v_cmpx_gt_u32_e64 s16, v0
	s_cbranch_execnz .LBB1561_995
; %bb.979:                              ;   in Loop: Header=BB1561_956 Depth=2
	s_or_b32 exec_lo, exec_lo, s17
	s_mov_b32 s17, exec_lo
	v_cmpx_gt_u32_e64 s16, v46
	s_cbranch_execnz .LBB1561_996
.LBB1561_980:                           ;   in Loop: Header=BB1561_956 Depth=2
	s_or_b32 exec_lo, exec_lo, s17
	s_mov_b32 s17, exec_lo
	v_cmpx_gt_u32_e64 s16, v49
	s_cbranch_execnz .LBB1561_997
.LBB1561_981:                           ;   in Loop: Header=BB1561_956 Depth=2
	s_or_b32 exec_lo, exec_lo, s17
	s_mov_b32 s17, exec_lo
	v_cmpx_gt_u32_e64 s16, v50
	s_cbranch_execnz .LBB1561_998
.LBB1561_982:                           ;   in Loop: Header=BB1561_956 Depth=2
	s_or_b32 exec_lo, exec_lo, s17
	s_mov_b32 s17, exec_lo
	v_cmpx_gt_u32_e64 s16, v51
	s_cbranch_execnz .LBB1561_999
.LBB1561_983:                           ;   in Loop: Header=BB1561_956 Depth=2
	s_or_b32 exec_lo, exec_lo, s17
	s_mov_b32 s17, exec_lo
	v_cmpx_gt_u32_e64 s16, v52
	s_cbranch_execnz .LBB1561_1000
.LBB1561_984:                           ;   in Loop: Header=BB1561_956 Depth=2
	s_or_b32 exec_lo, exec_lo, s17
	s_mov_b32 s17, exec_lo
	v_cmpx_gt_u32_e64 s16, v53
	s_cbranch_execnz .LBB1561_1001
.LBB1561_985:                           ;   in Loop: Header=BB1561_956 Depth=2
	s_or_b32 exec_lo, exec_lo, s17
	s_mov_b32 s17, exec_lo
	v_cmpx_gt_u32_e64 s16, v54
	s_cbranch_execnz .LBB1561_1002
.LBB1561_986:                           ;   in Loop: Header=BB1561_956 Depth=2
	s_or_b32 exec_lo, exec_lo, s17
	s_mov_b32 s17, exec_lo
	v_cmpx_gt_u32_e64 s16, v55
	s_cbranch_execnz .LBB1561_1003
.LBB1561_987:                           ;   in Loop: Header=BB1561_956 Depth=2
	s_or_b32 exec_lo, exec_lo, s17
	s_mov_b32 s17, exec_lo
	v_cmpx_gt_u32_e64 s16, v56
	s_cbranch_execnz .LBB1561_1004
.LBB1561_988:                           ;   in Loop: Header=BB1561_956 Depth=2
	s_or_b32 exec_lo, exec_lo, s17
	s_mov_b32 s17, exec_lo
	v_cmpx_gt_u32_e64 s16, v57
	s_cbranch_execnz .LBB1561_1005
.LBB1561_989:                           ;   in Loop: Header=BB1561_956 Depth=2
	s_or_b32 exec_lo, exec_lo, s17
	s_mov_b32 s17, exec_lo
	v_cmpx_gt_u32_e64 s16, v58
	s_cbranch_execnz .LBB1561_1006
.LBB1561_990:                           ;   in Loop: Header=BB1561_956 Depth=2
	s_or_b32 exec_lo, exec_lo, s17
	s_mov_b32 s17, exec_lo
	v_cmpx_gt_u32_e64 s16, v59
	s_cbranch_execnz .LBB1561_1007
.LBB1561_991:                           ;   in Loop: Header=BB1561_956 Depth=2
	s_or_b32 exec_lo, exec_lo, s17
	s_mov_b32 s17, exec_lo
	v_cmpx_gt_u32_e64 s16, v60
	s_cbranch_execnz .LBB1561_1008
.LBB1561_992:                           ;   in Loop: Header=BB1561_956 Depth=2
	s_or_b32 exec_lo, exec_lo, s17
	s_mov_b32 s17, exec_lo
	v_cmpx_gt_u32_e64 s16, v61
	s_cbranch_execnz .LBB1561_1009
.LBB1561_993:                           ;   in Loop: Header=BB1561_956 Depth=2
	s_or_b32 exec_lo, exec_lo, s17
	s_mov_b32 s17, exec_lo
	v_cmpx_gt_u32_e64 s16, v62
	s_cbranch_execnz .LBB1561_1010
.LBB1561_994:                           ;   in Loop: Header=BB1561_956 Depth=2
	s_or_b32 exec_lo, exec_lo, s17
	v_cmp_gt_u32_e32 vcc_lo, s16, v63
	s_and_saveexec_b32 s16, vcc_lo
	s_cbranch_execz .LBB1561_955
	s_branch .LBB1561_1011
.LBB1561_995:                           ;   in Loop: Header=BB1561_956 Depth=2
	v_xor_b32_e32 v21, -1, v17
	v_and_b32_e32 v21, 1, v21
	v_lshrrev_b32_sdwa v21, s41, v21 dst_sel:DWORD dst_unused:UNUSED_PAD src0_sel:DWORD src1_sel:WORD_0
	v_and_b32_e32 v21, s62, v21
	v_lshl_or_b32 v21, v21, 4, v65
	ds_add_u32 v21, v91
	s_or_b32 exec_lo, exec_lo, s17
	s_mov_b32 s17, exec_lo
	v_cmpx_gt_u32_e64 s16, v46
	s_cbranch_execz .LBB1561_980
.LBB1561_996:                           ;   in Loop: Header=BB1561_956 Depth=2
	v_xor_b32_e32 v21, -1, v20
	v_and_b32_e32 v21, 1, v21
	v_lshrrev_b32_sdwa v21, s41, v21 dst_sel:DWORD dst_unused:UNUSED_PAD src0_sel:DWORD src1_sel:WORD_0
	v_and_b32_e32 v21, s62, v21
	v_lshl_or_b32 v21, v21, 4, v65
	ds_add_u32 v21, v91
	s_or_b32 exec_lo, exec_lo, s17
	s_mov_b32 s17, exec_lo
	v_cmpx_gt_u32_e64 s16, v49
	s_cbranch_execz .LBB1561_981
.LBB1561_997:                           ;   in Loop: Header=BB1561_956 Depth=2
	v_xor_b32_e32 v21, -1, v19
	v_and_b32_e32 v21, 1, v21
	v_lshrrev_b32_sdwa v21, s41, v21 dst_sel:DWORD dst_unused:UNUSED_PAD src0_sel:DWORD src1_sel:WORD_0
	v_and_b32_e32 v21, s62, v21
	v_lshl_or_b32 v21, v21, 4, v65
	ds_add_u32 v21, v91
	s_or_b32 exec_lo, exec_lo, s17
	s_mov_b32 s17, exec_lo
	v_cmpx_gt_u32_e64 s16, v50
	s_cbranch_execz .LBB1561_982
.LBB1561_998:                           ;   in Loop: Header=BB1561_956 Depth=2
	v_xor_b32_e32 v21, -1, v18
	v_and_b32_e32 v21, 1, v21
	v_lshrrev_b32_sdwa v21, s41, v21 dst_sel:DWORD dst_unused:UNUSED_PAD src0_sel:DWORD src1_sel:WORD_0
	v_and_b32_e32 v21, s62, v21
	v_lshl_or_b32 v21, v21, 4, v65
	ds_add_u32 v21, v91
	s_or_b32 exec_lo, exec_lo, s17
	s_mov_b32 s17, exec_lo
	v_cmpx_gt_u32_e64 s16, v51
	s_cbranch_execz .LBB1561_983
.LBB1561_999:                           ;   in Loop: Header=BB1561_956 Depth=2
	v_xor_b32_e32 v21, -1, v16
	v_and_b32_e32 v21, 1, v21
	v_lshrrev_b32_sdwa v21, s41, v21 dst_sel:DWORD dst_unused:UNUSED_PAD src0_sel:DWORD src1_sel:WORD_0
	v_and_b32_e32 v21, s62, v21
	v_lshl_or_b32 v21, v21, 4, v65
	ds_add_u32 v21, v91
	s_or_b32 exec_lo, exec_lo, s17
	s_mov_b32 s17, exec_lo
	v_cmpx_gt_u32_e64 s16, v52
	s_cbranch_execz .LBB1561_984
.LBB1561_1000:                          ;   in Loop: Header=BB1561_956 Depth=2
	v_xor_b32_e32 v21, -1, v15
	v_and_b32_e32 v21, 1, v21
	v_lshrrev_b32_sdwa v21, s41, v21 dst_sel:DWORD dst_unused:UNUSED_PAD src0_sel:DWORD src1_sel:WORD_0
	v_and_b32_e32 v21, s62, v21
	v_lshl_or_b32 v21, v21, 4, v65
	ds_add_u32 v21, v91
	s_or_b32 exec_lo, exec_lo, s17
	s_mov_b32 s17, exec_lo
	v_cmpx_gt_u32_e64 s16, v53
	s_cbranch_execz .LBB1561_985
.LBB1561_1001:                          ;   in Loop: Header=BB1561_956 Depth=2
	v_xor_b32_e32 v21, -1, v14
	v_and_b32_e32 v21, 1, v21
	v_lshrrev_b32_sdwa v21, s41, v21 dst_sel:DWORD dst_unused:UNUSED_PAD src0_sel:DWORD src1_sel:WORD_0
	v_and_b32_e32 v21, s62, v21
	v_lshl_or_b32 v21, v21, 4, v65
	ds_add_u32 v21, v91
	s_or_b32 exec_lo, exec_lo, s17
	s_mov_b32 s17, exec_lo
	v_cmpx_gt_u32_e64 s16, v54
	s_cbranch_execz .LBB1561_986
.LBB1561_1002:                          ;   in Loop: Header=BB1561_956 Depth=2
	v_xor_b32_e32 v21, -1, v13
	v_and_b32_e32 v21, 1, v21
	v_lshrrev_b32_sdwa v21, s41, v21 dst_sel:DWORD dst_unused:UNUSED_PAD src0_sel:DWORD src1_sel:WORD_0
	v_and_b32_e32 v21, s62, v21
	v_lshl_or_b32 v21, v21, 4, v65
	ds_add_u32 v21, v91
	s_or_b32 exec_lo, exec_lo, s17
	s_mov_b32 s17, exec_lo
	v_cmpx_gt_u32_e64 s16, v55
	s_cbranch_execz .LBB1561_987
.LBB1561_1003:                          ;   in Loop: Header=BB1561_956 Depth=2
	v_xor_b32_e32 v21, -1, v12
	v_and_b32_e32 v21, 1, v21
	v_lshrrev_b32_sdwa v21, s41, v21 dst_sel:DWORD dst_unused:UNUSED_PAD src0_sel:DWORD src1_sel:WORD_0
	v_and_b32_e32 v21, s62, v21
	v_lshl_or_b32 v21, v21, 4, v65
	ds_add_u32 v21, v91
	s_or_b32 exec_lo, exec_lo, s17
	s_mov_b32 s17, exec_lo
	v_cmpx_gt_u32_e64 s16, v56
	s_cbranch_execz .LBB1561_988
.LBB1561_1004:                          ;   in Loop: Header=BB1561_956 Depth=2
	v_xor_b32_e32 v21, -1, v11
	v_and_b32_e32 v21, 1, v21
	v_lshrrev_b32_sdwa v21, s41, v21 dst_sel:DWORD dst_unused:UNUSED_PAD src0_sel:DWORD src1_sel:WORD_0
	v_and_b32_e32 v21, s62, v21
	v_lshl_or_b32 v21, v21, 4, v65
	ds_add_u32 v21, v91
	s_or_b32 exec_lo, exec_lo, s17
	s_mov_b32 s17, exec_lo
	v_cmpx_gt_u32_e64 s16, v57
	s_cbranch_execz .LBB1561_989
.LBB1561_1005:                          ;   in Loop: Header=BB1561_956 Depth=2
	v_xor_b32_e32 v21, -1, v10
	v_and_b32_e32 v21, 1, v21
	v_lshrrev_b32_sdwa v21, s41, v21 dst_sel:DWORD dst_unused:UNUSED_PAD src0_sel:DWORD src1_sel:WORD_0
	v_and_b32_e32 v21, s62, v21
	v_lshl_or_b32 v21, v21, 4, v65
	ds_add_u32 v21, v91
	s_or_b32 exec_lo, exec_lo, s17
	s_mov_b32 s17, exec_lo
	v_cmpx_gt_u32_e64 s16, v58
	s_cbranch_execz .LBB1561_990
.LBB1561_1006:                          ;   in Loop: Header=BB1561_956 Depth=2
	v_xor_b32_e32 v21, -1, v9
	v_and_b32_e32 v21, 1, v21
	v_lshrrev_b32_sdwa v21, s41, v21 dst_sel:DWORD dst_unused:UNUSED_PAD src0_sel:DWORD src1_sel:WORD_0
	v_and_b32_e32 v21, s62, v21
	v_lshl_or_b32 v21, v21, 4, v65
	ds_add_u32 v21, v91
	s_or_b32 exec_lo, exec_lo, s17
	s_mov_b32 s17, exec_lo
	v_cmpx_gt_u32_e64 s16, v59
	s_cbranch_execz .LBB1561_991
.LBB1561_1007:                          ;   in Loop: Header=BB1561_956 Depth=2
	v_xor_b32_e32 v21, -1, v8
	v_and_b32_e32 v21, 1, v21
	v_lshrrev_b32_sdwa v21, s41, v21 dst_sel:DWORD dst_unused:UNUSED_PAD src0_sel:DWORD src1_sel:WORD_0
	v_and_b32_e32 v21, s62, v21
	v_lshl_or_b32 v21, v21, 4, v65
	ds_add_u32 v21, v91
	s_or_b32 exec_lo, exec_lo, s17
	s_mov_b32 s17, exec_lo
	v_cmpx_gt_u32_e64 s16, v60
	s_cbranch_execz .LBB1561_992
.LBB1561_1008:                          ;   in Loop: Header=BB1561_956 Depth=2
	v_xor_b32_e32 v21, -1, v7
	v_and_b32_e32 v21, 1, v21
	v_lshrrev_b32_sdwa v21, s41, v21 dst_sel:DWORD dst_unused:UNUSED_PAD src0_sel:DWORD src1_sel:WORD_0
	v_and_b32_e32 v21, s62, v21
	v_lshl_or_b32 v21, v21, 4, v65
	ds_add_u32 v21, v91
	s_or_b32 exec_lo, exec_lo, s17
	s_mov_b32 s17, exec_lo
	v_cmpx_gt_u32_e64 s16, v61
	s_cbranch_execz .LBB1561_993
.LBB1561_1009:                          ;   in Loop: Header=BB1561_956 Depth=2
	v_xor_b32_e32 v21, -1, v6
	v_and_b32_e32 v21, 1, v21
	v_lshrrev_b32_sdwa v21, s41, v21 dst_sel:DWORD dst_unused:UNUSED_PAD src0_sel:DWORD src1_sel:WORD_0
	v_and_b32_e32 v21, s62, v21
	v_lshl_or_b32 v21, v21, 4, v65
	ds_add_u32 v21, v91
	s_or_b32 exec_lo, exec_lo, s17
	s_mov_b32 s17, exec_lo
	v_cmpx_gt_u32_e64 s16, v62
	s_cbranch_execz .LBB1561_994
.LBB1561_1010:                          ;   in Loop: Header=BB1561_956 Depth=2
	v_xor_b32_e32 v21, -1, v5
	v_and_b32_e32 v21, 1, v21
	v_lshrrev_b32_sdwa v21, s41, v21 dst_sel:DWORD dst_unused:UNUSED_PAD src0_sel:DWORD src1_sel:WORD_0
	v_and_b32_e32 v21, s62, v21
	v_lshl_or_b32 v21, v21, 4, v65
	ds_add_u32 v21, v91
	s_or_b32 exec_lo, exec_lo, s17
	v_cmp_gt_u32_e32 vcc_lo, s16, v63
	s_and_saveexec_b32 s16, vcc_lo
	s_cbranch_execz .LBB1561_955
.LBB1561_1011:                          ;   in Loop: Header=BB1561_956 Depth=2
	v_xor_b32_e32 v21, -1, v4
	v_and_b32_e32 v21, 1, v21
	v_lshrrev_b32_sdwa v21, s41, v21 dst_sel:DWORD dst_unused:UNUSED_PAD src0_sel:DWORD src1_sel:WORD_0
	v_and_b32_e32 v21, s62, v21
	v_lshl_or_b32 v21, v21, 4, v65
	ds_add_u32 v21, v91
	s_branch .LBB1561_955
.LBB1561_1012:                          ;   in Loop: Header=BB1561_956 Depth=2
	s_waitcnt vmcnt(0)
	v_add_co_u32 v21, s19, s16, v0
	v_add_co_ci_u32_e64 v22, null, s17, 0, s19
	global_load_ubyte v17, v[21:22], off
	s_or_b32 exec_lo, exec_lo, s18
	s_mov_b32 s18, exec_lo
	v_cmpx_gt_u32_e64 s5, v46
	s_cbranch_execz .LBB1561_961
.LBB1561_1013:                          ;   in Loop: Header=BB1561_956 Depth=2
	v_add_co_u32 v20, s19, s16, v0
	s_waitcnt vmcnt(0)
	v_add_co_ci_u32_e64 v21, null, s17, 0, s19
	global_load_ubyte v20, v[20:21], off offset:256
	s_or_b32 exec_lo, exec_lo, s18
	s_mov_b32 s18, exec_lo
	v_cmpx_gt_u32_e64 s5, v49
	s_cbranch_execz .LBB1561_962
.LBB1561_1014:                          ;   in Loop: Header=BB1561_956 Depth=2
	s_waitcnt vmcnt(0)
	v_add_co_u32 v21, s19, s16, v0
	v_add_co_ci_u32_e64 v22, null, s17, 0, s19
	global_load_ubyte v19, v[21:22], off offset:512
	s_or_b32 exec_lo, exec_lo, s18
	s_mov_b32 s18, exec_lo
	v_cmpx_gt_u32_e64 s5, v50
	s_cbranch_execz .LBB1561_963
.LBB1561_1015:                          ;   in Loop: Header=BB1561_956 Depth=2
	s_waitcnt vmcnt(0)
	v_add_co_u32 v21, s19, s16, v0
	v_add_co_ci_u32_e64 v22, null, s17, 0, s19
	global_load_ubyte v18, v[21:22], off offset:768
	s_or_b32 exec_lo, exec_lo, s18
	s_mov_b32 s18, exec_lo
	v_cmpx_gt_u32_e64 s5, v51
	s_cbranch_execz .LBB1561_964
.LBB1561_1016:                          ;   in Loop: Header=BB1561_956 Depth=2
	s_waitcnt vmcnt(0)
	v_add_co_u32 v21, s19, s16, v0
	v_add_co_ci_u32_e64 v22, null, s17, 0, s19
	global_load_ubyte v16, v[21:22], off offset:1024
	s_or_b32 exec_lo, exec_lo, s18
	s_mov_b32 s18, exec_lo
	v_cmpx_gt_u32_e64 s5, v52
	s_cbranch_execz .LBB1561_965
.LBB1561_1017:                          ;   in Loop: Header=BB1561_956 Depth=2
	s_waitcnt vmcnt(0)
	v_add_co_u32 v21, s19, s16, v0
	v_add_co_ci_u32_e64 v22, null, s17, 0, s19
	global_load_ubyte v15, v[21:22], off offset:1280
	s_or_b32 exec_lo, exec_lo, s18
	s_mov_b32 s18, exec_lo
	v_cmpx_gt_u32_e64 s5, v53
	s_cbranch_execz .LBB1561_966
.LBB1561_1018:                          ;   in Loop: Header=BB1561_956 Depth=2
	s_waitcnt vmcnt(0)
	v_add_co_u32 v21, s19, s16, v0
	v_add_co_ci_u32_e64 v22, null, s17, 0, s19
	global_load_ubyte v14, v[21:22], off offset:1536
	s_or_b32 exec_lo, exec_lo, s18
	s_mov_b32 s18, exec_lo
	v_cmpx_gt_u32_e64 s5, v54
	s_cbranch_execz .LBB1561_967
.LBB1561_1019:                          ;   in Loop: Header=BB1561_956 Depth=2
	s_waitcnt vmcnt(0)
	v_add_co_u32 v21, s19, s16, v0
	v_add_co_ci_u32_e64 v22, null, s17, 0, s19
	global_load_ubyte v13, v[21:22], off offset:1792
	s_or_b32 exec_lo, exec_lo, s18
	s_mov_b32 s18, exec_lo
	v_cmpx_gt_u32_e64 s5, v55
	s_cbranch_execz .LBB1561_968
.LBB1561_1020:                          ;   in Loop: Header=BB1561_956 Depth=2
	s_waitcnt vmcnt(0)
	v_add_co_u32 v21, s19, s16, v55
	v_add_co_ci_u32_e64 v22, null, s17, 0, s19
	global_load_ubyte v12, v[21:22], off
	s_or_b32 exec_lo, exec_lo, s18
	s_mov_b32 s18, exec_lo
	v_cmpx_gt_u32_e64 s5, v56
	s_cbranch_execz .LBB1561_969
.LBB1561_1021:                          ;   in Loop: Header=BB1561_956 Depth=2
	s_waitcnt vmcnt(0)
	v_add_co_u32 v21, s19, s16, v56
	v_add_co_ci_u32_e64 v22, null, s17, 0, s19
	global_load_ubyte v11, v[21:22], off
	s_or_b32 exec_lo, exec_lo, s18
	s_mov_b32 s18, exec_lo
	v_cmpx_gt_u32_e64 s5, v57
	s_cbranch_execz .LBB1561_970
.LBB1561_1022:                          ;   in Loop: Header=BB1561_956 Depth=2
	s_waitcnt vmcnt(0)
	v_add_co_u32 v21, s19, s16, v57
	v_add_co_ci_u32_e64 v22, null, s17, 0, s19
	global_load_ubyte v10, v[21:22], off
	s_or_b32 exec_lo, exec_lo, s18
	s_mov_b32 s18, exec_lo
	v_cmpx_gt_u32_e64 s5, v58
	s_cbranch_execz .LBB1561_971
.LBB1561_1023:                          ;   in Loop: Header=BB1561_956 Depth=2
	s_waitcnt vmcnt(0)
	v_add_co_u32 v21, s19, s16, v58
	v_add_co_ci_u32_e64 v22, null, s17, 0, s19
	global_load_ubyte v9, v[21:22], off
	s_or_b32 exec_lo, exec_lo, s18
	s_mov_b32 s18, exec_lo
	v_cmpx_gt_u32_e64 s5, v59
	s_cbranch_execz .LBB1561_972
.LBB1561_1024:                          ;   in Loop: Header=BB1561_956 Depth=2
	s_waitcnt vmcnt(0)
	v_add_co_u32 v21, s19, s16, v59
	v_add_co_ci_u32_e64 v22, null, s17, 0, s19
	global_load_ubyte v8, v[21:22], off
	s_or_b32 exec_lo, exec_lo, s18
	s_mov_b32 s18, exec_lo
	v_cmpx_gt_u32_e64 s5, v60
	s_cbranch_execz .LBB1561_973
.LBB1561_1025:                          ;   in Loop: Header=BB1561_956 Depth=2
	s_waitcnt vmcnt(0)
	v_add_co_u32 v21, s19, s16, v60
	v_add_co_ci_u32_e64 v22, null, s17, 0, s19
	global_load_ubyte v7, v[21:22], off
	s_or_b32 exec_lo, exec_lo, s18
	s_mov_b32 s18, exec_lo
	v_cmpx_gt_u32_e64 s5, v61
	s_cbranch_execz .LBB1561_974
.LBB1561_1026:                          ;   in Loop: Header=BB1561_956 Depth=2
	s_waitcnt vmcnt(0)
	v_add_co_u32 v21, s19, s16, v61
	v_add_co_ci_u32_e64 v22, null, s17, 0, s19
	global_load_ubyte v6, v[21:22], off
	s_or_b32 exec_lo, exec_lo, s18
	s_mov_b32 s18, exec_lo
	v_cmpx_gt_u32_e64 s5, v62
	s_cbranch_execz .LBB1561_975
.LBB1561_1027:                          ;   in Loop: Header=BB1561_956 Depth=2
	s_waitcnt vmcnt(0)
	v_add_co_u32 v21, s19, s16, v62
	v_add_co_ci_u32_e64 v22, null, s17, 0, s19
	global_load_ubyte v5, v[21:22], off
	s_or_b32 exec_lo, exec_lo, s18
	s_mov_b32 s18, exec_lo
	v_cmpx_gt_u32_e64 s5, v63
	s_cbranch_execnz .LBB1561_976
	s_branch .LBB1561_977
.LBB1561_1028:                          ;   in Loop: Header=BB1561_20 Depth=1
	v_mov_b32_e32 v4, 0
	s_waitcnt lgkmcnt(0)
	s_barrier
	buffer_gl0_inv
	s_and_saveexec_b32 s5, s8
	s_cbranch_execz .LBB1561_1030
; %bb.1029:                             ;   in Loop: Header=BB1561_20 Depth=1
	ds_read2_b64 v[4:7], v66 offset1:1
	s_waitcnt lgkmcnt(0)
	v_add_nc_u32_e32 v4, v5, v4
	v_add3_u32 v4, v4, v6, v7
.LBB1561_1030:                          ;   in Loop: Header=BB1561_20 Depth=1
	s_or_b32 exec_lo, exec_lo, s5
	v_and_b32_e32 v5, 15, v88
	v_mov_b32_dpp v6, v4 row_shr:1 row_mask:0xf bank_mask:0xf
	v_and_b32_e32 v7, 16, v88
	v_cmp_eq_u32_e64 s5, 0, v5
	v_cmp_lt_u32_e64 s15, 1, v5
	v_cmp_lt_u32_e64 s16, 3, v5
	;; [unrolled: 1-line block ×3, first 2 shown]
	v_cmp_eq_u32_e64 s18, 0, v7
	v_cndmask_b32_e64 v6, v6, 0, s5
	v_add_nc_u32_e32 v4, v6, v4
	v_mov_b32_dpp v6, v4 row_shr:2 row_mask:0xf bank_mask:0xf
	v_cndmask_b32_e64 v6, 0, v6, s15
	v_add_nc_u32_e32 v4, v4, v6
	v_mov_b32_dpp v6, v4 row_shr:4 row_mask:0xf bank_mask:0xf
	;; [unrolled: 3-line block ×3, first 2 shown]
	v_cndmask_b32_e64 v5, 0, v6, s17
	v_bfe_i32 v6, v88, 4, 1
	v_add_nc_u32_e32 v4, v4, v5
	ds_swizzle_b32 v5, v4 offset:swizzle(BROADCAST,32,15)
	s_waitcnt lgkmcnt(0)
	v_and_b32_e32 v5, v6, v5
	v_add_nc_u32_e32 v4, v4, v5
	s_and_saveexec_b32 s19, s9
; %bb.1031:                             ;   in Loop: Header=BB1561_20 Depth=1
	ds_write_b32 v67, v4
; %bb.1032:                             ;   in Loop: Header=BB1561_20 Depth=1
	s_or_b32 exec_lo, exec_lo, s19
	s_waitcnt lgkmcnt(0)
	s_barrier
	buffer_gl0_inv
	s_and_saveexec_b32 s19, s10
	s_cbranch_execz .LBB1561_1034
; %bb.1033:                             ;   in Loop: Header=BB1561_20 Depth=1
	ds_read_b32 v5, v68
	v_and_b32_e32 v6, 3, v88
	v_cmp_ne_u32_e32 vcc_lo, 0, v6
	s_waitcnt lgkmcnt(0)
	v_mov_b32_dpp v7, v5 row_shr:1 row_mask:0xf bank_mask:0xf
	v_cndmask_b32_e32 v7, 0, v7, vcc_lo
	v_cmp_lt_u32_e32 vcc_lo, 1, v6
	v_add_nc_u32_e32 v5, v7, v5
	v_mov_b32_dpp v7, v5 row_shr:2 row_mask:0xf bank_mask:0xf
	v_cndmask_b32_e32 v6, 0, v7, vcc_lo
	v_add_nc_u32_e32 v5, v5, v6
	ds_write_b32 v68, v5
.LBB1561_1034:                          ;   in Loop: Header=BB1561_20 Depth=1
	s_or_b32 exec_lo, exec_lo, s19
	v_mov_b32_e32 v5, 0
	s_waitcnt lgkmcnt(0)
	s_barrier
	buffer_gl0_inv
	s_and_saveexec_b32 s19, s11
; %bb.1035:                             ;   in Loop: Header=BB1561_20 Depth=1
	ds_read_b32 v5, v69
; %bb.1036:                             ;   in Loop: Header=BB1561_20 Depth=1
	s_or_b32 exec_lo, exec_lo, s19
	v_sub_co_u32 v6, s19, v88, 1
	s_waitcnt lgkmcnt(0)
	v_add_nc_u32_e32 v4, v5, v4
	s_barrier
	v_cmp_gt_i32_e32 vcc_lo, 0, v6
	buffer_gl0_inv
	v_cndmask_b32_e32 v6, v6, v88, vcc_lo
	v_lshlrev_b32_e32 v95, 2, v6
	ds_bpermute_b32 v4, v95, v4
	s_and_saveexec_b32 s20, s8
	s_cbranch_execz .LBB1561_1038
; %bb.1037:                             ;   in Loop: Header=BB1561_20 Depth=1
	s_waitcnt lgkmcnt(0)
	v_cndmask_b32_e64 v4, v4, v5, s19
	v_add_nc_u32_e32 v4, s58, v4
	ds_write_b32 v45, v4
.LBB1561_1038:                          ;   in Loop: Header=BB1561_20 Depth=1
	s_or_b32 exec_lo, exec_lo, s20
	s_load_dwordx2 s[20:21], s[56:57], 0x0
	v_lshlrev_b32_e32 v7, 3, v88
	v_and_b32_e32 v6, 7, v88
	v_or_b32_e32 v96, v88, v70
	v_add_co_u32 v97, vcc_lo, v89, v88
	v_add_co_ci_u32_e64 v98, null, 0, v90, vcc_lo
	v_add_co_u32 v99, vcc_lo, v86, v7
	v_add_co_ci_u32_e64 v100, null, 0, v87, vcc_lo
	v_add_nc_u32_e32 v101, 32, v96
	v_add_nc_u32_e32 v102, 64, v96
	;; [unrolled: 1-line block ×8, first 2 shown]
	s_waitcnt lgkmcnt(0)
	s_cmp_lt_u32 s7, s21
	v_add_nc_u32_e32 v109, 0x120, v96
	s_cselect_b32 s21, 14, 20
	v_add_nc_u32_e32 v110, 0x140, v96
	s_add_u32 s22, s56, s21
	s_addc_u32 s23, s57, 0
	s_cmp_lt_u32 s6, s20
	global_load_ushort v4, v3, s[22:23]
	s_cselect_b32 s20, 12, 18
	v_add_nc_u32_e32 v111, 0x160, v96
	s_add_u32 s20, s56, s20
	s_addc_u32 s21, s57, 0
	v_add_nc_u32_e32 v112, 0x180, v96
	global_load_ushort v5, v3, s[20:21]
	v_cmp_eq_u32_e64 s20, 0, v6
	v_cmp_lt_u32_e64 s21, 1, v6
	v_cmp_lt_u32_e64 s22, 3, v6
	v_add_nc_u32_e32 v113, 0x1a0, v96
	v_add_nc_u32_e32 v114, 0x1c0, v96
	;; [unrolled: 1-line block ×4, first 2 shown]
	v_mov_b32_e32 v8, 0
	s_mov_b32 s63, s60
	s_mov_b32 s50, s58
                                        ; implicit-def: $vgpr9_vgpr10
                                        ; implicit-def: $vgpr11_vgpr12
                                        ; implicit-def: $vgpr13_vgpr14
                                        ; implicit-def: $vgpr15_vgpr16
                                        ; implicit-def: $vgpr17_vgpr18
                                        ; implicit-def: $vgpr19_vgpr20
                                        ; implicit-def: $vgpr23_vgpr24
                                        ; implicit-def: $vgpr27_vgpr28
                                        ; implicit-def: $vgpr31_vgpr32
                                        ; implicit-def: $vgpr21_vgpr22
                                        ; implicit-def: $vgpr25_vgpr26
                                        ; implicit-def: $vgpr29_vgpr30
                                        ; implicit-def: $vgpr33_vgpr34
                                        ; implicit-def: $vgpr35_vgpr36
                                        ; implicit-def: $vgpr37_vgpr38
                                        ; implicit-def: $vgpr39_vgpr40
                                        ; implicit-def: $vgpr41_vgpr42
                                        ; implicit-def: $vgpr118
                                        ; implicit-def: $vgpr119
                                        ; implicit-def: $vgpr120
                                        ; implicit-def: $vgpr121
                                        ; implicit-def: $vgpr122
                                        ; implicit-def: $vgpr123
                                        ; implicit-def: $vgpr124
                                        ; implicit-def: $vgpr125
                                        ; implicit-def: $vgpr126
                                        ; implicit-def: $vgpr127
                                        ; implicit-def: $vgpr128
                                        ; implicit-def: $vgpr129
                                        ; implicit-def: $vgpr130
                                        ; implicit-def: $vgpr131
                                        ; implicit-def: $vgpr132
                                        ; implicit-def: $vgpr133
                                        ; implicit-def: $vgpr134
                                        ; implicit-def: $vgpr135
                                        ; implicit-def: $vgpr136
	s_waitcnt vmcnt(1)
	v_mad_u32_u24 v4, v2, v4, v1
	s_waitcnt vmcnt(0)
	v_mad_u64_u32 v[4:5], null, v4, v5, v[0:1]
	v_lshrrev_b32_e32 v4, 3, v4
	v_and_b32_e32 v117, 0x1ffffffc, v4
	s_branch .LBB1561_1040
.LBB1561_1039:                          ;   in Loop: Header=BB1561_1040 Depth=2
	s_or_b32 exec_lo, exec_lo, s23
	s_addk_i32 s63, 0xef00
	s_cmp_lt_u32 s64, s59
	s_mov_b32 s50, s64
	s_cbranch_scc0 .LBB1561_18
.LBB1561_1040:                          ;   Parent Loop BB1561_20 Depth=1
                                        ; =>  This Inner Loop Header: Depth=2
	s_add_i32 s64, s50, 0x1100
	s_cmp_gt_u32 s64, s59
	s_cbranch_scc1 .LBB1561_1042
; %bb.1041:                             ;   in Loop: Header=BB1561_1040 Depth=2
	v_add_co_u32 v4, vcc_lo, v97, s50
	v_add_co_ci_u32_e64 v5, null, 0, v98, vcc_lo
	v_and_b32_sdwa v8, v94, v8 dst_sel:DWORD dst_unused:UNUSED_PAD src0_sel:DWORD src1_sel:BYTE_0
	s_mov_b32 s23, -1
	s_clause 0xf
	global_load_ubyte v6, v[4:5], off offset:416
	global_load_ubyte v7, v[4:5], off offset:480
	global_load_ubyte v43, v[4:5], off offset:448
	global_load_ubyte v44, v[4:5], off offset:384
	global_load_ubyte v137, v[4:5], off offset:288
	global_load_ubyte v138, v[4:5], off offset:352
	global_load_ubyte v139, v[4:5], off offset:320
	global_load_ubyte v140, v[4:5], off offset:256
	global_load_ubyte v141, v[4:5], off offset:160
	global_load_ubyte v142, v[4:5], off offset:224
	global_load_ubyte v143, v[4:5], off offset:192
	global_load_ubyte v144, v[4:5], off offset:128
	global_load_ubyte v145, v[4:5], off offset:32
	global_load_ubyte v146, v[4:5], off offset:64
	global_load_ubyte v147, v[4:5], off
	global_load_ubyte v4, v[4:5], off offset:96
	s_waitcnt vmcnt(12)
	v_perm_b32 v5, v44, v6, 0xc0c0004
	v_perm_b32 v6, v43, v7, 0xc0c0004
	s_waitcnt vmcnt(9)
	v_perm_b32 v44, v139, v138, 0xc0c0004
	s_waitcnt vmcnt(8)
	v_perm_b32 v43, v140, v137, 0xc0c0004
	v_lshl_or_b32 v7, v6, 16, v5
	s_waitcnt vmcnt(5)
	v_perm_b32 v138, v143, v142, 0xc0c0004
	s_waitcnt vmcnt(4)
	v_perm_b32 v137, v144, v141, 0xc0c0004
	v_lshl_or_b32 v6, v44, 16, v43
	;; [unrolled: 5-line block ×3, first 2 shown]
	v_lshl_or_b32 v4, v4, 16, v139
	s_movk_i32 s24, 0x1100
	s_cbranch_execz .LBB1561_1043
	s_branch .LBB1561_1061
.LBB1561_1042:                          ;   in Loop: Header=BB1561_1040 Depth=2
	s_mov_b32 s23, 0
                                        ; implicit-def: $vgpr4_vgpr5_vgpr6_vgpr7_vgpr8
	s_movk_i32 s24, 0x1100
.LBB1561_1043:                          ;   in Loop: Header=BB1561_1040 Depth=2
	v_mov_b32_e32 v7, v3
	v_mov_b32_e32 v4, v3
	;; [unrolled: 1-line block ×4, first 2 shown]
	v_add_co_u32 v43, vcc_lo, v97, s50
	v_mov_b32_e32 v8, v7
	v_add_co_ci_u32_e64 v44, null, 0, v98, vcc_lo
	v_mov_b32_e32 v7, v6
	v_mov_b32_e32 v6, v5
	;; [unrolled: 1-line block ×4, first 2 shown]
	s_mov_b32 s23, exec_lo
	v_cmpx_gt_u32_e64 s63, v96
	s_cbranch_execnz .LBB1561_1247
; %bb.1044:                             ;   in Loop: Header=BB1561_1040 Depth=2
	s_or_b32 exec_lo, exec_lo, s23
	s_mov_b32 s23, exec_lo
	v_cmpx_gt_u32_e64 s63, v101
	s_cbranch_execnz .LBB1561_1248
.LBB1561_1045:                          ;   in Loop: Header=BB1561_1040 Depth=2
	s_or_b32 exec_lo, exec_lo, s23
	s_mov_b32 s23, exec_lo
	v_cmpx_gt_u32_e64 s63, v102
	s_cbranch_execnz .LBB1561_1249
.LBB1561_1046:                          ;   in Loop: Header=BB1561_1040 Depth=2
	s_or_b32 exec_lo, exec_lo, s23
	s_mov_b32 s23, exec_lo
	v_cmpx_gt_u32_e64 s63, v103
	s_cbranch_execnz .LBB1561_1250
.LBB1561_1047:                          ;   in Loop: Header=BB1561_1040 Depth=2
	s_or_b32 exec_lo, exec_lo, s23
	s_mov_b32 s23, exec_lo
	v_cmpx_gt_u32_e64 s63, v104
	s_cbranch_execnz .LBB1561_1251
.LBB1561_1048:                          ;   in Loop: Header=BB1561_1040 Depth=2
	s_or_b32 exec_lo, exec_lo, s23
	s_mov_b32 s23, exec_lo
	v_cmpx_gt_u32_e64 s63, v105
	s_cbranch_execnz .LBB1561_1252
.LBB1561_1049:                          ;   in Loop: Header=BB1561_1040 Depth=2
	s_or_b32 exec_lo, exec_lo, s23
	s_mov_b32 s23, exec_lo
	v_cmpx_gt_u32_e64 s63, v106
	s_cbranch_execnz .LBB1561_1253
.LBB1561_1050:                          ;   in Loop: Header=BB1561_1040 Depth=2
	s_or_b32 exec_lo, exec_lo, s23
	s_mov_b32 s23, exec_lo
	v_cmpx_gt_u32_e64 s63, v107
	s_cbranch_execnz .LBB1561_1254
.LBB1561_1051:                          ;   in Loop: Header=BB1561_1040 Depth=2
	s_or_b32 exec_lo, exec_lo, s23
	s_mov_b32 s23, exec_lo
	v_cmpx_gt_u32_e64 s63, v108
	s_cbranch_execnz .LBB1561_1255
.LBB1561_1052:                          ;   in Loop: Header=BB1561_1040 Depth=2
	s_or_b32 exec_lo, exec_lo, s23
	s_mov_b32 s23, exec_lo
	v_cmpx_gt_u32_e64 s63, v109
	s_cbranch_execnz .LBB1561_1256
.LBB1561_1053:                          ;   in Loop: Header=BB1561_1040 Depth=2
	s_or_b32 exec_lo, exec_lo, s23
	s_mov_b32 s23, exec_lo
	v_cmpx_gt_u32_e64 s63, v110
	s_cbranch_execnz .LBB1561_1257
.LBB1561_1054:                          ;   in Loop: Header=BB1561_1040 Depth=2
	s_or_b32 exec_lo, exec_lo, s23
	s_mov_b32 s23, exec_lo
	v_cmpx_gt_u32_e64 s63, v111
	s_cbranch_execnz .LBB1561_1258
.LBB1561_1055:                          ;   in Loop: Header=BB1561_1040 Depth=2
	s_or_b32 exec_lo, exec_lo, s23
	s_mov_b32 s23, exec_lo
	v_cmpx_gt_u32_e64 s63, v112
	s_cbranch_execnz .LBB1561_1259
.LBB1561_1056:                          ;   in Loop: Header=BB1561_1040 Depth=2
	s_or_b32 exec_lo, exec_lo, s23
	s_mov_b32 s23, exec_lo
	v_cmpx_gt_u32_e64 s63, v113
	s_cbranch_execnz .LBB1561_1260
.LBB1561_1057:                          ;   in Loop: Header=BB1561_1040 Depth=2
	s_or_b32 exec_lo, exec_lo, s23
	s_mov_b32 s23, exec_lo
	v_cmpx_gt_u32_e64 s63, v114
	s_cbranch_execnz .LBB1561_1261
.LBB1561_1058:                          ;   in Loop: Header=BB1561_1040 Depth=2
	s_or_b32 exec_lo, exec_lo, s23
	s_mov_b32 s23, exec_lo
	v_cmpx_gt_u32_e64 s63, v115
	s_cbranch_execz .LBB1561_1060
.LBB1561_1059:                          ;   in Loop: Header=BB1561_1040 Depth=2
	global_load_ubyte v43, v[43:44], off offset:480
	v_and_b32_e32 v8, 0xff, v8
	s_waitcnt vmcnt(0)
	v_perm_b32 v7, v7, v43, 0x60504
.LBB1561_1060:                          ;   in Loop: Header=BB1561_1040 Depth=2
	s_or_b32 exec_lo, exec_lo, s23
	v_cmp_gt_u32_e64 s23, s63, v116
	s_sub_i32 s24, s59, s50
.LBB1561_1061:                          ;   in Loop: Header=BB1561_1040 Depth=2
	v_mov_b32_e32 v43, s63
	s_and_saveexec_b32 s25, s23
	s_cbranch_execz .LBB1561_1063
; %bb.1062:                             ;   in Loop: Header=BB1561_1040 Depth=2
	v_add_co_u32 v43, vcc_lo, v97, s50
	v_add_co_ci_u32_e64 v44, null, s51, v98, vcc_lo
	global_load_ubyte v8, v[43:44], off offset:512
	v_mov_b32_e32 v43, s24
.LBB1561_1063:                          ;   in Loop: Header=BB1561_1040 Depth=2
	s_or_b32 exec_lo, exec_lo, s25
	s_waitcnt vmcnt(0)
	v_and_b32_e32 v44, 1, v4
	v_and_b32_sdwa v140, v91, v4 dst_sel:DWORD dst_unused:UNUSED_PAD src0_sel:DWORD src1_sel:BYTE_1
	v_and_b32_e32 v148, 0x1000000, v4
	v_and_b32_e32 v149, 0x10000, v4
	v_and_b32_sdwa v137, v91, v7 dst_sel:DWORD dst_unused:UNUSED_PAD src0_sel:DWORD src1_sel:BYTE_1
	v_cmp_eq_u32_e32 vcc_lo, 1, v44
	v_and_b32_sdwa v139, v91, v5 dst_sel:DWORD dst_unused:UNUSED_PAD src0_sel:DWORD src1_sel:BYTE_1
	v_and_b32_e32 v146, 0x1000000, v5
	v_and_b32_e32 v147, 0x10000, v5
	;; [unrolled: 1-line block ×3, first 2 shown]
	s_xor_b32 s23, vcc_lo, -1
	v_cmp_eq_u32_e64 s25, 1, v137
	v_cndmask_b32_e64 v44, 0, 1, s23
	v_and_b32_sdwa v138, v91, v6 dst_sel:DWORD dst_unused:UNUSED_PAD src0_sel:DWORD src1_sel:BYTE_1
	v_and_b32_e32 v141, 0x1000000, v7
	v_and_b32_e32 v142, 0x10000, v7
	;; [unrolled: 1-line block ×3, first 2 shown]
	v_lshrrev_b32_e32 v145, s41, v44
	v_and_b32_e32 v143, 0x1000000, v6
	v_and_b32_e32 v144, 0x10000, v6
	;; [unrolled: 1-line block ×3, first 2 shown]
	v_cmp_eq_u32_e64 s35, 1, v5
	v_and_b32_e32 v145, s62, v145
	v_and_b32_e32 v8, 1, v8
	v_cmp_eq_u32_e64 s29, 1, v138
	v_cmp_eq_u32_e64 s34, 1, v139
	;; [unrolled: 1-line block ×3, first 2 shown]
	v_add_co_u32 v4, s23, v145, -1
	v_cndmask_b32_e64 v150, 0, 1, s23
	v_mul_u32_u24_e32 v5, 36, v145
	v_cmp_ne_u32_e64 s24, 0, v142
	v_cmp_eq_u32_e64 s26, 1, v7
	v_cmp_ne_u32_e64 s27, 0, v143
	v_cmp_ne_u32_e64 s23, 0, v150
	;; [unrolled: 1-line block ×3, first 2 shown]
	v_cmp_eq_u32_e64 s30, 1, v6
	v_cmp_ne_u32_e64 s31, 0, v146
	v_cmp_ne_u32_e64 s33, 0, v147
	v_xor_b32_e32 v4, s23, v4
	v_cmp_ne_u32_e64 s23, 0, v141
	v_cmp_ne_u32_e64 s36, 0, v148
	;; [unrolled: 1-line block ×3, first 2 shown]
	v_add_nc_u32_e32 v140, v117, v5
	v_and_b32_e32 v4, exec_lo, v4
	ds_write2_b32 v71, v3, v3 offset0:136 offset1:137
	ds_write2_b32 v71, v3, v3 offset0:138 offset1:139
	ds_write_b32 v71, v3 offset:560
	s_waitcnt lgkmcnt(0)
	v_cmp_eq_u32_e32 vcc_lo, 1, v8
	v_mbcnt_lo_u32_b32 v137, v4, 0
	v_cmp_ne_u32_e64 s40, 0, v4
	s_barrier
	buffer_gl0_inv
	v_cmp_eq_u32_e64 s39, 0, v137
	; wave barrier
	s_and_b32 s40, s40, s39
	s_and_saveexec_b32 s39, s40
; %bb.1064:                             ;   in Loop: Header=BB1561_1040 Depth=2
	v_bcnt_u32_b32 v4, v4, 0
	ds_write_b32 v140, v4 offset:544
; %bb.1065:                             ;   in Loop: Header=BB1561_1040 Depth=2
	s_or_b32 exec_lo, exec_lo, s39
	s_xor_b32 s38, s38, -1
	v_cndmask_b32_e64 v150, 0, 1, s38
	; wave barrier
	v_lshrrev_b32_e32 v4, s41, v150
	v_and_b32_e32 v5, s62, v4
	v_add_co_u32 v4, s38, v5, -1
	v_cndmask_b32_e64 v6, 0, 1, s38
	v_cmp_ne_u32_e64 s38, 0, v6
	v_mad_u32_u24 v6, v5, 36, v117
	v_mul_u32_u24_e32 v5, 36, v5
	v_xor_b32_e32 v4, s38, v4
	ds_read_b32 v138, v6 offset:544
	v_add_nc_u32_e32 v143, v117, v5
	; wave barrier
	v_and_b32_e32 v4, exec_lo, v4
	v_mbcnt_lo_u32_b32 v139, v4, 0
	v_cmp_ne_u32_e64 s39, 0, v4
	v_cmp_eq_u32_e64 s38, 0, v139
	s_and_b32 s39, s39, s38
	s_and_saveexec_b32 s38, s39
	s_cbranch_execz .LBB1561_1067
; %bb.1066:                             ;   in Loop: Header=BB1561_1040 Depth=2
	s_waitcnt lgkmcnt(0)
	v_bcnt_u32_b32 v4, v4, v138
	ds_write_b32 v143, v4 offset:544
.LBB1561_1067:                          ;   in Loop: Header=BB1561_1040 Depth=2
	s_or_b32 exec_lo, exec_lo, s38
	s_xor_b32 s37, s37, -1
	v_cndmask_b32_e64 v153, 0, 1, s37
	; wave barrier
	v_lshrrev_b32_e32 v4, s41, v153
	v_and_b32_e32 v5, s62, v4
	v_add_co_u32 v4, s37, v5, -1
	v_cndmask_b32_e64 v6, 0, 1, s37
	v_cmp_ne_u32_e64 s37, 0, v6
	v_mad_u32_u24 v6, v5, 36, v117
	v_mul_u32_u24_e32 v5, 36, v5
	v_xor_b32_e32 v4, s37, v4
	ds_read_b32 v141, v6 offset:544
	v_add_nc_u32_e32 v146, v117, v5
	; wave barrier
	v_and_b32_e32 v4, exec_lo, v4
	v_mbcnt_lo_u32_b32 v142, v4, 0
	v_cmp_ne_u32_e64 s38, 0, v4
	v_cmp_eq_u32_e64 s37, 0, v142
	s_and_b32 s38, s38, s37
	s_and_saveexec_b32 s37, s38
	s_cbranch_execz .LBB1561_1069
; %bb.1068:                             ;   in Loop: Header=BB1561_1040 Depth=2
	s_waitcnt lgkmcnt(0)
	v_bcnt_u32_b32 v4, v4, v141
	ds_write_b32 v146, v4 offset:544
.LBB1561_1069:                          ;   in Loop: Header=BB1561_1040 Depth=2
	;; [unrolled: 27-line block ×15, first 2 shown]
	s_or_b32 exec_lo, exec_lo, s23
	s_xor_b32 s23, vcc_lo, -1
	v_cndmask_b32_e64 v8, 0, 1, s23
	; wave barrier
	v_lshrrev_b32_e32 v4, s41, v8
	v_and_b32_e32 v5, s62, v4
	v_add_co_u32 v4, s23, v5, -1
	v_cndmask_b32_e64 v6, 0, 1, s23
	v_cmp_ne_u32_e32 vcc_lo, 0, v6
	v_mad_u32_u24 v6, v5, 36, v117
	v_mul_u32_u24_e32 v5, 36, v5
	v_xor_b32_e32 v4, vcc_lo, v4
	ds_read_b32 v198, v6 offset:544
	v_add_nc_u32_e32 v201, v117, v5
	; wave barrier
	v_and_b32_e32 v4, exec_lo, v4
	v_mbcnt_lo_u32_b32 v199, v4, 0
	v_cmp_ne_u32_e64 s23, 0, v4
	v_cmp_eq_u32_e32 vcc_lo, 0, v199
	s_and_b32 s24, s23, vcc_lo
	s_and_saveexec_b32 s23, s24
	s_cbranch_execz .LBB1561_1097
; %bb.1096:                             ;   in Loop: Header=BB1561_1040 Depth=2
	s_waitcnt lgkmcnt(0)
	v_bcnt_u32_b32 v4, v4, v198
	ds_write_b32 v201, v4 offset:544
.LBB1561_1097:                          ;   in Loop: Header=BB1561_1040 Depth=2
	s_or_b32 exec_lo, exec_lo, s23
	; wave barrier
	s_waitcnt lgkmcnt(0)
	s_barrier
	buffer_gl0_inv
	ds_read2_b32 v[6:7], v71 offset0:136 offset1:137
	ds_read2_b32 v[4:5], v71 offset0:138 offset1:139
	ds_read_b32 v202, v71 offset:560
	s_waitcnt lgkmcnt(1)
	v_add3_u32 v203, v7, v6, v4
	s_waitcnt lgkmcnt(0)
	v_add3_u32 v202, v203, v5, v202
	v_mov_b32_dpp v203, v202 row_shr:1 row_mask:0xf bank_mask:0xf
	v_cndmask_b32_e64 v203, v203, 0, s5
	v_add_nc_u32_e32 v202, v203, v202
	v_mov_b32_dpp v203, v202 row_shr:2 row_mask:0xf bank_mask:0xf
	v_cndmask_b32_e64 v203, 0, v203, s15
	v_add_nc_u32_e32 v202, v202, v203
	;; [unrolled: 3-line block ×4, first 2 shown]
	ds_swizzle_b32 v203, v202 offset:swizzle(BROADCAST,32,15)
	s_waitcnt lgkmcnt(0)
	v_cndmask_b32_e64 v203, v203, 0, s18
	v_add_nc_u32_e32 v202, v202, v203
	s_and_saveexec_b32 s23, s4
; %bb.1098:                             ;   in Loop: Header=BB1561_1040 Depth=2
	ds_write_b32 v64, v202 offset:512
; %bb.1099:                             ;   in Loop: Header=BB1561_1040 Depth=2
	s_or_b32 exec_lo, exec_lo, s23
	s_waitcnt lgkmcnt(0)
	s_barrier
	buffer_gl0_inv
	s_and_saveexec_b32 s23, s12
	s_cbranch_execz .LBB1561_1101
; %bb.1100:                             ;   in Loop: Header=BB1561_1040 Depth=2
	ds_read_b32 v203, v72 offset:512
	s_waitcnt lgkmcnt(0)
	v_mov_b32_dpp v204, v203 row_shr:1 row_mask:0xf bank_mask:0xf
	v_cndmask_b32_e64 v204, v204, 0, s20
	v_add_nc_u32_e32 v203, v204, v203
	v_mov_b32_dpp v204, v203 row_shr:2 row_mask:0xf bank_mask:0xf
	v_cndmask_b32_e64 v204, 0, v204, s21
	v_add_nc_u32_e32 v203, v203, v204
	;; [unrolled: 3-line block ×3, first 2 shown]
	ds_write_b32 v72, v203 offset:512
.LBB1561_1101:                          ;   in Loop: Header=BB1561_1040 Depth=2
	s_or_b32 exec_lo, exec_lo, s23
	v_mov_b32_e32 v203, 0
	s_waitcnt lgkmcnt(0)
	s_barrier
	buffer_gl0_inv
	s_and_saveexec_b32 s23, s11
; %bb.1102:                             ;   in Loop: Header=BB1561_1040 Depth=2
	ds_read_b32 v203, v64 offset:508
; %bb.1103:                             ;   in Loop: Header=BB1561_1040 Depth=2
	s_or_b32 exec_lo, exec_lo, s23
	s_waitcnt lgkmcnt(0)
	v_add_nc_u32_e32 v202, v203, v202
	ds_bpermute_b32 v202, v95, v202
	s_waitcnt lgkmcnt(0)
	v_cndmask_b32_e64 v202, v202, v203, s19
	v_cndmask_b32_e64 v202, v202, 0, s13
	v_add_nc_u32_e32 v6, v202, v6
	v_add_nc_u32_e32 v7, v6, v7
	;; [unrolled: 1-line block ×4, first 2 shown]
	ds_write2_b32 v71, v202, v6 offset0:136 offset1:137
	ds_write2_b32 v71, v7, v4 offset0:138 offset1:139
	ds_write_b32 v71, v5 offset:560
	s_waitcnt lgkmcnt(0)
	s_barrier
	buffer_gl0_inv
	ds_read_b32 v4, v140 offset:544
	ds_read_b32 v5, v143 offset:544
	;; [unrolled: 1-line block ×17, first 2 shown]
	s_and_saveexec_b32 s23, s8
	s_cbranch_execz .LBB1561_1107
; %bb.1104:                             ;   in Loop: Header=BB1561_1040 Depth=2
	v_add_nc_u32_e32 v135, v72, v74
	v_mov_b32_e32 v136, 0x1100
	ds_read_b32 v135, v135 offset:544
	s_and_saveexec_b32 s24, s14
; %bb.1105:                             ;   in Loop: Header=BB1561_1040 Depth=2
	ds_read_b32 v136, v73 offset:544
; %bb.1106:                             ;   in Loop: Header=BB1561_1040 Depth=2
	s_or_b32 exec_lo, exec_lo, s24
	s_waitcnt lgkmcnt(0)
	v_sub_nc_u32_e32 v136, v136, v135
.LBB1561_1107:                          ;   in Loop: Header=BB1561_1040 Depth=2
	s_or_b32 exec_lo, exec_lo, s23
	s_waitcnt lgkmcnt(0)
	s_barrier
	buffer_gl0_inv
	s_and_saveexec_b32 s23, s8
	s_cbranch_execz .LBB1561_1109
; %bb.1108:                             ;   in Loop: Header=BB1561_1040 Depth=2
	ds_read_b32 v146, v45
	s_waitcnt lgkmcnt(0)
	v_sub_nc_u32_e32 v146, v146, v135
	ds_write_b32 v45, v146
.LBB1561_1109:                          ;   in Loop: Header=BB1561_1040 Depth=2
	s_or_b32 exec_lo, exec_lo, s23
	v_add_nc_u32_e32 v152, v4, v137
	v_add3_u32 v151, v139, v138, v5
	v_add3_u32 v149, v142, v141, v6
	;; [unrolled: 1-line block ×16, first 2 shown]
	v_cmp_lt_u32_e64 s38, v0, v43
	ds_write_b8 v152, v44 offset:512
	ds_write_b8 v151, v150 offset:512
	;; [unrolled: 1-line block ×17, first 2 shown]
	s_waitcnt lgkmcnt(0)
	s_barrier
	buffer_gl0_inv
	s_and_saveexec_b32 s23, s38
	s_cbranch_execnz .LBB1561_1182
; %bb.1110:                             ;   in Loop: Header=BB1561_1040 Depth=2
	s_or_b32 exec_lo, exec_lo, s23
	v_cmp_lt_u32_e64 s39, v46, v43
	s_and_saveexec_b32 s23, s39
	s_cbranch_execnz .LBB1561_1183
.LBB1561_1111:                          ;   in Loop: Header=BB1561_1040 Depth=2
	s_or_b32 exec_lo, exec_lo, s23
	v_cmp_lt_u32_e64 s37, v49, v43
	s_and_saveexec_b32 s23, s37
	s_cbranch_execnz .LBB1561_1184
.LBB1561_1112:                          ;   in Loop: Header=BB1561_1040 Depth=2
	s_or_b32 exec_lo, exec_lo, s23
	v_cmp_lt_u32_e64 s36, v50, v43
	s_and_saveexec_b32 s23, s36
	s_cbranch_execnz .LBB1561_1185
.LBB1561_1113:                          ;   in Loop: Header=BB1561_1040 Depth=2
	s_or_b32 exec_lo, exec_lo, s23
	v_cmp_lt_u32_e64 s35, v51, v43
	s_and_saveexec_b32 s23, s35
	s_cbranch_execnz .LBB1561_1186
.LBB1561_1114:                          ;   in Loop: Header=BB1561_1040 Depth=2
	s_or_b32 exec_lo, exec_lo, s23
	v_cmp_lt_u32_e64 s34, v52, v43
	s_and_saveexec_b32 s23, s34
	s_cbranch_execnz .LBB1561_1187
.LBB1561_1115:                          ;   in Loop: Header=BB1561_1040 Depth=2
	s_or_b32 exec_lo, exec_lo, s23
	v_cmp_lt_u32_e64 s33, v53, v43
	s_and_saveexec_b32 s23, s33
	s_cbranch_execnz .LBB1561_1188
.LBB1561_1116:                          ;   in Loop: Header=BB1561_1040 Depth=2
	s_or_b32 exec_lo, exec_lo, s23
	v_cmp_lt_u32_e64 s31, v54, v43
	s_and_saveexec_b32 s23, s31
	s_cbranch_execnz .LBB1561_1189
.LBB1561_1117:                          ;   in Loop: Header=BB1561_1040 Depth=2
	s_or_b32 exec_lo, exec_lo, s23
	v_cmp_lt_u32_e64 s30, v55, v43
	s_and_saveexec_b32 s23, s30
	s_cbranch_execnz .LBB1561_1190
.LBB1561_1118:                          ;   in Loop: Header=BB1561_1040 Depth=2
	s_or_b32 exec_lo, exec_lo, s23
	v_cmp_lt_u32_e64 s29, v56, v43
	s_and_saveexec_b32 s23, s29
	s_cbranch_execnz .LBB1561_1191
.LBB1561_1119:                          ;   in Loop: Header=BB1561_1040 Depth=2
	s_or_b32 exec_lo, exec_lo, s23
	v_cmp_lt_u32_e64 s28, v57, v43
	s_and_saveexec_b32 s23, s28
	s_cbranch_execnz .LBB1561_1192
.LBB1561_1120:                          ;   in Loop: Header=BB1561_1040 Depth=2
	s_or_b32 exec_lo, exec_lo, s23
	v_cmp_lt_u32_e64 s27, v58, v43
	s_and_saveexec_b32 s23, s27
	s_cbranch_execnz .LBB1561_1193
.LBB1561_1121:                          ;   in Loop: Header=BB1561_1040 Depth=2
	s_or_b32 exec_lo, exec_lo, s23
	v_cmp_lt_u32_e64 s26, v59, v43
	s_and_saveexec_b32 s23, s26
	s_cbranch_execnz .LBB1561_1194
.LBB1561_1122:                          ;   in Loop: Header=BB1561_1040 Depth=2
	s_or_b32 exec_lo, exec_lo, s23
	v_cmp_lt_u32_e64 s25, v60, v43
	s_and_saveexec_b32 s23, s25
	s_cbranch_execnz .LBB1561_1195
.LBB1561_1123:                          ;   in Loop: Header=BB1561_1040 Depth=2
	s_or_b32 exec_lo, exec_lo, s23
	v_cmp_lt_u32_e64 s24, v61, v43
	s_and_saveexec_b32 s23, s24
	s_cbranch_execnz .LBB1561_1196
.LBB1561_1124:                          ;   in Loop: Header=BB1561_1040 Depth=2
	s_or_b32 exec_lo, exec_lo, s23
	v_cmp_lt_u32_e64 s23, v62, v43
	s_and_saveexec_b32 s40, s23
	s_cbranch_execnz .LBB1561_1197
.LBB1561_1125:                          ;   in Loop: Header=BB1561_1040 Depth=2
	s_or_b32 exec_lo, exec_lo, s40
	v_cmp_lt_u32_e32 vcc_lo, v63, v43
	s_and_saveexec_b32 s40, vcc_lo
	s_cbranch_execz .LBB1561_1127
.LBB1561_1126:                          ;   in Loop: Header=BB1561_1040 Depth=2
	ds_read_u8 v4, v0 offset:4608
	s_waitcnt lgkmcnt(0)
	v_and_b32_e32 v5, 1, v4
	v_xor_b32_e32 v4, 1, v4
	v_lshrrev_b32_e32 v5, s41, v5
	v_and_b32_e32 v5, s62, v5
	v_lshlrev_b32_e32 v5, 2, v5
	ds_read_b32 v5, v5
	s_waitcnt lgkmcnt(0)
	v_add_nc_u32_e32 v5, v5, v63
	global_store_byte v5, v4, s[48:49]
.LBB1561_1127:                          ;   in Loop: Header=BB1561_1040 Depth=2
	s_or_b32 exec_lo, exec_lo, s40
	s_lshl_b64 s[66:67], s[50:51], 3
	v_add_co_u32 v4, s40, v99, s66
	v_add_co_ci_u32_e64 v5, null, s67, v100, s40
	v_cmp_lt_u32_e64 s40, v96, v43
	s_and_saveexec_b32 s50, s40
	s_xor_b32 s40, exec_lo, s50
	s_cbranch_execnz .LBB1561_1198
; %bb.1128:                             ;   in Loop: Header=BB1561_1040 Depth=2
	s_or_b32 exec_lo, exec_lo, s40
	s_mov_b32 s50, exec_lo
	v_cmpx_lt_u32_e64 v101, v43
	s_cbranch_execnz .LBB1561_1199
.LBB1561_1129:                          ;   in Loop: Header=BB1561_1040 Depth=2
	s_or_b32 exec_lo, exec_lo, s50
	s_mov_b32 s50, exec_lo
	v_cmpx_lt_u32_e64 v102, v43
	s_cbranch_execnz .LBB1561_1200
.LBB1561_1130:                          ;   in Loop: Header=BB1561_1040 Depth=2
	s_or_b32 exec_lo, exec_lo, s50
	s_mov_b32 s50, exec_lo
	v_cmpx_lt_u32_e64 v103, v43
	s_cbranch_execnz .LBB1561_1201
.LBB1561_1131:                          ;   in Loop: Header=BB1561_1040 Depth=2
	s_or_b32 exec_lo, exec_lo, s50
	s_mov_b32 s50, exec_lo
	v_cmpx_lt_u32_e64 v104, v43
	s_cbranch_execnz .LBB1561_1202
.LBB1561_1132:                          ;   in Loop: Header=BB1561_1040 Depth=2
	s_or_b32 exec_lo, exec_lo, s50
	s_mov_b32 s50, exec_lo
	v_cmpx_lt_u32_e64 v105, v43
	s_cbranch_execnz .LBB1561_1203
.LBB1561_1133:                          ;   in Loop: Header=BB1561_1040 Depth=2
	s_or_b32 exec_lo, exec_lo, s50
	s_mov_b32 s50, exec_lo
	v_cmpx_lt_u32_e64 v106, v43
	s_cbranch_execnz .LBB1561_1204
.LBB1561_1134:                          ;   in Loop: Header=BB1561_1040 Depth=2
	s_or_b32 exec_lo, exec_lo, s50
	s_mov_b32 s50, exec_lo
	v_cmpx_lt_u32_e64 v107, v43
	s_cbranch_execnz .LBB1561_1205
.LBB1561_1135:                          ;   in Loop: Header=BB1561_1040 Depth=2
	s_or_b32 exec_lo, exec_lo, s50
	s_mov_b32 s50, exec_lo
	v_cmpx_lt_u32_e64 v108, v43
	s_cbranch_execnz .LBB1561_1206
.LBB1561_1136:                          ;   in Loop: Header=BB1561_1040 Depth=2
	s_or_b32 exec_lo, exec_lo, s50
	s_mov_b32 s50, exec_lo
	v_cmpx_lt_u32_e64 v109, v43
	s_cbranch_execnz .LBB1561_1207
.LBB1561_1137:                          ;   in Loop: Header=BB1561_1040 Depth=2
	s_or_b32 exec_lo, exec_lo, s50
	s_mov_b32 s50, exec_lo
	v_cmpx_lt_u32_e64 v110, v43
	s_cbranch_execnz .LBB1561_1208
.LBB1561_1138:                          ;   in Loop: Header=BB1561_1040 Depth=2
	s_or_b32 exec_lo, exec_lo, s50
	s_mov_b32 s50, exec_lo
	v_cmpx_lt_u32_e64 v111, v43
	s_cbranch_execnz .LBB1561_1209
.LBB1561_1139:                          ;   in Loop: Header=BB1561_1040 Depth=2
	s_or_b32 exec_lo, exec_lo, s50
	s_mov_b32 s50, exec_lo
	v_cmpx_lt_u32_e64 v112, v43
	s_cbranch_execnz .LBB1561_1210
.LBB1561_1140:                          ;   in Loop: Header=BB1561_1040 Depth=2
	s_or_b32 exec_lo, exec_lo, s50
	s_mov_b32 s50, exec_lo
	v_cmpx_lt_u32_e64 v113, v43
	s_cbranch_execnz .LBB1561_1211
.LBB1561_1141:                          ;   in Loop: Header=BB1561_1040 Depth=2
	s_or_b32 exec_lo, exec_lo, s50
	s_mov_b32 s50, exec_lo
	v_cmpx_lt_u32_e64 v114, v43
	s_cbranch_execnz .LBB1561_1212
.LBB1561_1142:                          ;   in Loop: Header=BB1561_1040 Depth=2
	s_or_b32 exec_lo, exec_lo, s50
	s_mov_b32 s50, exec_lo
	v_cmpx_lt_u32_e64 v115, v43
	s_cbranch_execnz .LBB1561_1213
.LBB1561_1143:                          ;   in Loop: Header=BB1561_1040 Depth=2
	s_or_b32 exec_lo, exec_lo, s50
	s_mov_b32 s50, exec_lo
	v_cmpx_lt_u32_e64 v116, v43
	s_cbranch_execnz .LBB1561_1214
.LBB1561_1144:                          ;   in Loop: Header=BB1561_1040 Depth=2
	s_or_b32 exec_lo, exec_lo, s50
	s_and_saveexec_b32 s40, s38
	s_cbranch_execnz .LBB1561_1215
.LBB1561_1145:                          ;   in Loop: Header=BB1561_1040 Depth=2
	s_or_b32 exec_lo, exec_lo, s40
	s_and_saveexec_b32 s40, s39
	s_cbranch_execnz .LBB1561_1216
.LBB1561_1146:                          ;   in Loop: Header=BB1561_1040 Depth=2
	s_or_b32 exec_lo, exec_lo, s40
	s_and_saveexec_b32 s40, s37
	s_cbranch_execnz .LBB1561_1217
.LBB1561_1147:                          ;   in Loop: Header=BB1561_1040 Depth=2
	s_or_b32 exec_lo, exec_lo, s40
	s_and_saveexec_b32 s40, s36
	s_cbranch_execnz .LBB1561_1218
.LBB1561_1148:                          ;   in Loop: Header=BB1561_1040 Depth=2
	s_or_b32 exec_lo, exec_lo, s40
	s_and_saveexec_b32 s40, s35
	s_cbranch_execnz .LBB1561_1219
.LBB1561_1149:                          ;   in Loop: Header=BB1561_1040 Depth=2
	s_or_b32 exec_lo, exec_lo, s40
	s_and_saveexec_b32 s40, s34
	s_cbranch_execnz .LBB1561_1220
.LBB1561_1150:                          ;   in Loop: Header=BB1561_1040 Depth=2
	s_or_b32 exec_lo, exec_lo, s40
	s_and_saveexec_b32 s40, s33
	s_cbranch_execnz .LBB1561_1221
.LBB1561_1151:                          ;   in Loop: Header=BB1561_1040 Depth=2
	s_or_b32 exec_lo, exec_lo, s40
	s_and_saveexec_b32 s40, s31
	s_cbranch_execnz .LBB1561_1222
.LBB1561_1152:                          ;   in Loop: Header=BB1561_1040 Depth=2
	s_or_b32 exec_lo, exec_lo, s40
	s_and_saveexec_b32 s40, s30
	s_cbranch_execnz .LBB1561_1223
.LBB1561_1153:                          ;   in Loop: Header=BB1561_1040 Depth=2
	s_or_b32 exec_lo, exec_lo, s40
	s_and_saveexec_b32 s40, s29
	s_cbranch_execnz .LBB1561_1224
.LBB1561_1154:                          ;   in Loop: Header=BB1561_1040 Depth=2
	s_or_b32 exec_lo, exec_lo, s40
	s_and_saveexec_b32 s40, s28
	s_cbranch_execnz .LBB1561_1225
.LBB1561_1155:                          ;   in Loop: Header=BB1561_1040 Depth=2
	s_or_b32 exec_lo, exec_lo, s40
	s_and_saveexec_b32 s40, s27
	s_cbranch_execnz .LBB1561_1226
.LBB1561_1156:                          ;   in Loop: Header=BB1561_1040 Depth=2
	s_or_b32 exec_lo, exec_lo, s40
	s_and_saveexec_b32 s40, s26
	s_cbranch_execnz .LBB1561_1227
.LBB1561_1157:                          ;   in Loop: Header=BB1561_1040 Depth=2
	s_or_b32 exec_lo, exec_lo, s40
	s_and_saveexec_b32 s40, s25
	s_cbranch_execnz .LBB1561_1228
.LBB1561_1158:                          ;   in Loop: Header=BB1561_1040 Depth=2
	s_or_b32 exec_lo, exec_lo, s40
	s_and_saveexec_b32 s40, s24
	s_cbranch_execnz .LBB1561_1229
.LBB1561_1159:                          ;   in Loop: Header=BB1561_1040 Depth=2
	s_or_b32 exec_lo, exec_lo, s40
	s_and_saveexec_b32 s40, s23
	s_cbranch_execnz .LBB1561_1230
.LBB1561_1160:                          ;   in Loop: Header=BB1561_1040 Depth=2
	s_or_b32 exec_lo, exec_lo, s40
	s_and_saveexec_b32 s40, vcc_lo
	s_cbranch_execz .LBB1561_1162
.LBB1561_1161:                          ;   in Loop: Header=BB1561_1040 Depth=2
	ds_read_u8 v4, v0 offset:4608
	s_waitcnt lgkmcnt(0)
	v_lshrrev_b32_e32 v4, s41, v4
	v_and_b32_e32 v118, s62, v4
.LBB1561_1162:                          ;   in Loop: Header=BB1561_1040 Depth=2
	s_or_b32 exec_lo, exec_lo, s40
	v_lshlrev_b32_e32 v4, 3, v152
	s_waitcnt vmcnt(0)
	s_waitcnt_vscnt null, 0x0
	v_lshlrev_b32_e32 v5, 3, v151
	s_barrier
	buffer_gl0_inv
	ds_write_b64 v4, v[41:42] offset:512
	v_lshlrev_b32_e32 v4, 3, v149
	ds_write_b64 v5, v[39:40] offset:512
	v_lshlrev_b32_e32 v5, 3, v148
	v_lshlrev_b32_e32 v43, 3, v147
	;; [unrolled: 1-line block ×3, first 2 shown]
	ds_write_b64 v4, v[37:38] offset:512
	v_lshlrev_b32_e32 v4, 3, v145
	ds_write_b64 v5, v[35:36] offset:512
	ds_write_b64 v43, v[33:34] offset:512
	;; [unrolled: 1-line block ×3, first 2 shown]
	v_lshlrev_b32_e32 v5, 3, v144
	v_lshlrev_b32_e32 v43, 3, v142
	;; [unrolled: 1-line block ×3, first 2 shown]
	ds_write_b64 v4, v[25:26] offset:512
	v_lshlrev_b32_e32 v4, 3, v143
	ds_write_b64 v5, v[21:22] offset:512
	v_lshlrev_b32_e32 v5, 3, v140
	ds_write_b64 v4, v[31:32] offset:512
	ds_write_b64 v43, v[27:28] offset:512
	ds_write_b64 v44, v[23:24] offset:512
	v_lshlrev_b32_e32 v4, 3, v139
	ds_write_b64 v5, v[19:20] offset:512
	v_lshlrev_b32_e32 v5, 3, v138
	v_lshlrev_b32_e32 v6, 3, v6
	;; [unrolled: 1-line block ×3, first 2 shown]
	ds_write_b64 v4, v[17:18] offset:512
	v_add_nc_u32_e32 v4, v0, v77
	v_lshlrev_b32_e32 v7, 3, v7
	ds_write_b64 v5, v[15:16] offset:512
	ds_write_b64 v43, v[13:14] offset:512
	ds_write_b64 v7, v[11:12] offset:512
	ds_write_b64 v6, v[9:10] offset:512
	s_waitcnt lgkmcnt(0)
	s_barrier
	buffer_gl0_inv
	s_and_saveexec_b32 s40, s38
	s_cbranch_execnz .LBB1561_1231
; %bb.1163:                             ;   in Loop: Header=BB1561_1040 Depth=2
	s_or_b32 exec_lo, exec_lo, s40
	s_and_saveexec_b32 s40, s39
	s_cbranch_execnz .LBB1561_1232
.LBB1561_1164:                          ;   in Loop: Header=BB1561_1040 Depth=2
	s_or_b32 exec_lo, exec_lo, s40
	s_and_saveexec_b32 s38, s37
	s_cbranch_execnz .LBB1561_1233
.LBB1561_1165:                          ;   in Loop: Header=BB1561_1040 Depth=2
	s_or_b32 exec_lo, exec_lo, s38
	s_and_saveexec_b32 s37, s36
	s_cbranch_execnz .LBB1561_1234
.LBB1561_1166:                          ;   in Loop: Header=BB1561_1040 Depth=2
	s_or_b32 exec_lo, exec_lo, s37
	s_and_saveexec_b32 s36, s35
	s_cbranch_execnz .LBB1561_1235
.LBB1561_1167:                          ;   in Loop: Header=BB1561_1040 Depth=2
	s_or_b32 exec_lo, exec_lo, s36
	s_and_saveexec_b32 s35, s34
	s_cbranch_execnz .LBB1561_1236
.LBB1561_1168:                          ;   in Loop: Header=BB1561_1040 Depth=2
	s_or_b32 exec_lo, exec_lo, s35
	s_and_saveexec_b32 s34, s33
	s_cbranch_execnz .LBB1561_1237
.LBB1561_1169:                          ;   in Loop: Header=BB1561_1040 Depth=2
	s_or_b32 exec_lo, exec_lo, s34
	s_and_saveexec_b32 s33, s31
	s_cbranch_execnz .LBB1561_1238
.LBB1561_1170:                          ;   in Loop: Header=BB1561_1040 Depth=2
	s_or_b32 exec_lo, exec_lo, s33
	s_and_saveexec_b32 s31, s30
	s_cbranch_execnz .LBB1561_1239
.LBB1561_1171:                          ;   in Loop: Header=BB1561_1040 Depth=2
	s_or_b32 exec_lo, exec_lo, s31
	s_and_saveexec_b32 s30, s29
	s_cbranch_execnz .LBB1561_1240
.LBB1561_1172:                          ;   in Loop: Header=BB1561_1040 Depth=2
	s_or_b32 exec_lo, exec_lo, s30
	s_and_saveexec_b32 s29, s28
	s_cbranch_execnz .LBB1561_1241
.LBB1561_1173:                          ;   in Loop: Header=BB1561_1040 Depth=2
	s_or_b32 exec_lo, exec_lo, s29
	s_and_saveexec_b32 s28, s27
	s_cbranch_execnz .LBB1561_1242
.LBB1561_1174:                          ;   in Loop: Header=BB1561_1040 Depth=2
	s_or_b32 exec_lo, exec_lo, s28
	s_and_saveexec_b32 s27, s26
	s_cbranch_execnz .LBB1561_1243
.LBB1561_1175:                          ;   in Loop: Header=BB1561_1040 Depth=2
	s_or_b32 exec_lo, exec_lo, s27
	s_and_saveexec_b32 s26, s25
	s_cbranch_execnz .LBB1561_1244
.LBB1561_1176:                          ;   in Loop: Header=BB1561_1040 Depth=2
	s_or_b32 exec_lo, exec_lo, s26
	s_and_saveexec_b32 s25, s24
	s_cbranch_execnz .LBB1561_1245
.LBB1561_1177:                          ;   in Loop: Header=BB1561_1040 Depth=2
	s_or_b32 exec_lo, exec_lo, s25
	s_and_saveexec_b32 s24, s23
	s_cbranch_execnz .LBB1561_1246
.LBB1561_1178:                          ;   in Loop: Header=BB1561_1040 Depth=2
	s_or_b32 exec_lo, exec_lo, s24
	s_and_saveexec_b32 s23, vcc_lo
	s_cbranch_execz .LBB1561_1180
.LBB1561_1179:                          ;   in Loop: Header=BB1561_1040 Depth=2
	v_lshlrev_b32_e32 v5, 2, v118
	v_mov_b32_e32 v7, v3
	ds_read_b32 v6, v5
	ds_read_b64 v[4:5], v4 offset:33280
	s_waitcnt lgkmcnt(1)
	v_add_nc_u32_e32 v6, v6, v63
	v_lshlrev_b64 v[6:7], 3, v[6:7]
	v_add_co_u32 v6, vcc_lo, s54, v6
	v_add_co_ci_u32_e64 v7, null, s55, v7, vcc_lo
	s_waitcnt lgkmcnt(0)
	global_store_dwordx2 v[6:7], v[4:5], off
.LBB1561_1180:                          ;   in Loop: Header=BB1561_1040 Depth=2
	s_or_b32 exec_lo, exec_lo, s23
	s_waitcnt_vscnt null, 0x0
	s_barrier
	buffer_gl0_inv
	s_and_saveexec_b32 s23, s8
	s_cbranch_execz .LBB1561_1039
; %bb.1181:                             ;   in Loop: Header=BB1561_1040 Depth=2
	ds_read_b32 v4, v45
	s_waitcnt lgkmcnt(0)
	v_add3_u32 v4, v135, v136, v4
	ds_write_b32 v45, v4
	s_branch .LBB1561_1039
.LBB1561_1182:                          ;   in Loop: Header=BB1561_1040 Depth=2
	ds_read_u8 v4, v0 offset:512
	s_waitcnt lgkmcnt(0)
	v_and_b32_e32 v5, 1, v4
	v_xor_b32_e32 v4, 1, v4
	v_lshrrev_b32_e32 v5, s41, v5
	v_and_b32_e32 v5, s62, v5
	v_lshlrev_b32_e32 v5, 2, v5
	ds_read_b32 v5, v5
	s_waitcnt lgkmcnt(0)
	v_add_nc_u32_e32 v5, v5, v0
	global_store_byte v5, v4, s[48:49]
	s_or_b32 exec_lo, exec_lo, s23
	v_cmp_lt_u32_e64 s39, v46, v43
	s_and_saveexec_b32 s23, s39
	s_cbranch_execz .LBB1561_1111
.LBB1561_1183:                          ;   in Loop: Header=BB1561_1040 Depth=2
	ds_read_u8 v4, v0 offset:768
	s_waitcnt lgkmcnt(0)
	v_and_b32_e32 v5, 1, v4
	v_xor_b32_e32 v4, 1, v4
	v_lshrrev_b32_e32 v5, s41, v5
	v_and_b32_e32 v5, s62, v5
	v_lshlrev_b32_e32 v5, 2, v5
	ds_read_b32 v5, v5
	s_waitcnt lgkmcnt(0)
	v_add_nc_u32_e32 v5, v5, v46
	global_store_byte v5, v4, s[48:49]
	s_or_b32 exec_lo, exec_lo, s23
	v_cmp_lt_u32_e64 s37, v49, v43
	s_and_saveexec_b32 s23, s37
	s_cbranch_execz .LBB1561_1112
.LBB1561_1184:                          ;   in Loop: Header=BB1561_1040 Depth=2
	ds_read_u8 v4, v0 offset:1024
	s_waitcnt lgkmcnt(0)
	v_and_b32_e32 v5, 1, v4
	v_xor_b32_e32 v4, 1, v4
	v_lshrrev_b32_e32 v5, s41, v5
	v_and_b32_e32 v5, s62, v5
	v_lshlrev_b32_e32 v5, 2, v5
	ds_read_b32 v5, v5
	s_waitcnt lgkmcnt(0)
	v_add_nc_u32_e32 v5, v5, v49
	global_store_byte v5, v4, s[48:49]
	s_or_b32 exec_lo, exec_lo, s23
	v_cmp_lt_u32_e64 s36, v50, v43
	s_and_saveexec_b32 s23, s36
	s_cbranch_execz .LBB1561_1113
.LBB1561_1185:                          ;   in Loop: Header=BB1561_1040 Depth=2
	ds_read_u8 v4, v0 offset:1280
	s_waitcnt lgkmcnt(0)
	v_and_b32_e32 v5, 1, v4
	v_xor_b32_e32 v4, 1, v4
	v_lshrrev_b32_e32 v5, s41, v5
	v_and_b32_e32 v5, s62, v5
	v_lshlrev_b32_e32 v5, 2, v5
	ds_read_b32 v5, v5
	s_waitcnt lgkmcnt(0)
	v_add_nc_u32_e32 v5, v5, v50
	global_store_byte v5, v4, s[48:49]
	s_or_b32 exec_lo, exec_lo, s23
	v_cmp_lt_u32_e64 s35, v51, v43
	s_and_saveexec_b32 s23, s35
	s_cbranch_execz .LBB1561_1114
.LBB1561_1186:                          ;   in Loop: Header=BB1561_1040 Depth=2
	ds_read_u8 v4, v0 offset:1536
	s_waitcnt lgkmcnt(0)
	v_and_b32_e32 v5, 1, v4
	v_xor_b32_e32 v4, 1, v4
	v_lshrrev_b32_e32 v5, s41, v5
	v_and_b32_e32 v5, s62, v5
	v_lshlrev_b32_e32 v5, 2, v5
	ds_read_b32 v5, v5
	s_waitcnt lgkmcnt(0)
	v_add_nc_u32_e32 v5, v5, v51
	global_store_byte v5, v4, s[48:49]
	s_or_b32 exec_lo, exec_lo, s23
	v_cmp_lt_u32_e64 s34, v52, v43
	s_and_saveexec_b32 s23, s34
	s_cbranch_execz .LBB1561_1115
.LBB1561_1187:                          ;   in Loop: Header=BB1561_1040 Depth=2
	ds_read_u8 v4, v0 offset:1792
	s_waitcnt lgkmcnt(0)
	v_and_b32_e32 v5, 1, v4
	v_xor_b32_e32 v4, 1, v4
	v_lshrrev_b32_e32 v5, s41, v5
	v_and_b32_e32 v5, s62, v5
	v_lshlrev_b32_e32 v5, 2, v5
	ds_read_b32 v5, v5
	s_waitcnt lgkmcnt(0)
	v_add_nc_u32_e32 v5, v5, v52
	global_store_byte v5, v4, s[48:49]
	s_or_b32 exec_lo, exec_lo, s23
	v_cmp_lt_u32_e64 s33, v53, v43
	s_and_saveexec_b32 s23, s33
	s_cbranch_execz .LBB1561_1116
.LBB1561_1188:                          ;   in Loop: Header=BB1561_1040 Depth=2
	ds_read_u8 v4, v0 offset:2048
	s_waitcnt lgkmcnt(0)
	v_and_b32_e32 v5, 1, v4
	v_xor_b32_e32 v4, 1, v4
	v_lshrrev_b32_e32 v5, s41, v5
	v_and_b32_e32 v5, s62, v5
	v_lshlrev_b32_e32 v5, 2, v5
	ds_read_b32 v5, v5
	s_waitcnt lgkmcnt(0)
	v_add_nc_u32_e32 v5, v5, v53
	global_store_byte v5, v4, s[48:49]
	s_or_b32 exec_lo, exec_lo, s23
	v_cmp_lt_u32_e64 s31, v54, v43
	s_and_saveexec_b32 s23, s31
	s_cbranch_execz .LBB1561_1117
.LBB1561_1189:                          ;   in Loop: Header=BB1561_1040 Depth=2
	ds_read_u8 v4, v0 offset:2304
	s_waitcnt lgkmcnt(0)
	v_and_b32_e32 v5, 1, v4
	v_xor_b32_e32 v4, 1, v4
	v_lshrrev_b32_e32 v5, s41, v5
	v_and_b32_e32 v5, s62, v5
	v_lshlrev_b32_e32 v5, 2, v5
	ds_read_b32 v5, v5
	s_waitcnt lgkmcnt(0)
	v_add_nc_u32_e32 v5, v5, v54
	global_store_byte v5, v4, s[48:49]
	s_or_b32 exec_lo, exec_lo, s23
	v_cmp_lt_u32_e64 s30, v55, v43
	s_and_saveexec_b32 s23, s30
	s_cbranch_execz .LBB1561_1118
.LBB1561_1190:                          ;   in Loop: Header=BB1561_1040 Depth=2
	ds_read_u8 v4, v0 offset:2560
	s_waitcnt lgkmcnt(0)
	v_and_b32_e32 v5, 1, v4
	v_xor_b32_e32 v4, 1, v4
	v_lshrrev_b32_e32 v5, s41, v5
	v_and_b32_e32 v5, s62, v5
	v_lshlrev_b32_e32 v5, 2, v5
	ds_read_b32 v5, v5
	s_waitcnt lgkmcnt(0)
	v_add_nc_u32_e32 v5, v5, v55
	global_store_byte v5, v4, s[48:49]
	s_or_b32 exec_lo, exec_lo, s23
	v_cmp_lt_u32_e64 s29, v56, v43
	s_and_saveexec_b32 s23, s29
	s_cbranch_execz .LBB1561_1119
.LBB1561_1191:                          ;   in Loop: Header=BB1561_1040 Depth=2
	ds_read_u8 v4, v0 offset:2816
	s_waitcnt lgkmcnt(0)
	v_and_b32_e32 v5, 1, v4
	v_xor_b32_e32 v4, 1, v4
	v_lshrrev_b32_e32 v5, s41, v5
	v_and_b32_e32 v5, s62, v5
	v_lshlrev_b32_e32 v5, 2, v5
	ds_read_b32 v5, v5
	s_waitcnt lgkmcnt(0)
	v_add_nc_u32_e32 v5, v5, v56
	global_store_byte v5, v4, s[48:49]
	s_or_b32 exec_lo, exec_lo, s23
	v_cmp_lt_u32_e64 s28, v57, v43
	s_and_saveexec_b32 s23, s28
	s_cbranch_execz .LBB1561_1120
.LBB1561_1192:                          ;   in Loop: Header=BB1561_1040 Depth=2
	ds_read_u8 v4, v0 offset:3072
	s_waitcnt lgkmcnt(0)
	v_and_b32_e32 v5, 1, v4
	v_xor_b32_e32 v4, 1, v4
	v_lshrrev_b32_e32 v5, s41, v5
	v_and_b32_e32 v5, s62, v5
	v_lshlrev_b32_e32 v5, 2, v5
	ds_read_b32 v5, v5
	s_waitcnt lgkmcnt(0)
	v_add_nc_u32_e32 v5, v5, v57
	global_store_byte v5, v4, s[48:49]
	s_or_b32 exec_lo, exec_lo, s23
	v_cmp_lt_u32_e64 s27, v58, v43
	s_and_saveexec_b32 s23, s27
	s_cbranch_execz .LBB1561_1121
.LBB1561_1193:                          ;   in Loop: Header=BB1561_1040 Depth=2
	ds_read_u8 v4, v0 offset:3328
	s_waitcnt lgkmcnt(0)
	v_and_b32_e32 v5, 1, v4
	v_xor_b32_e32 v4, 1, v4
	v_lshrrev_b32_e32 v5, s41, v5
	v_and_b32_e32 v5, s62, v5
	v_lshlrev_b32_e32 v5, 2, v5
	ds_read_b32 v5, v5
	s_waitcnt lgkmcnt(0)
	v_add_nc_u32_e32 v5, v5, v58
	global_store_byte v5, v4, s[48:49]
	s_or_b32 exec_lo, exec_lo, s23
	v_cmp_lt_u32_e64 s26, v59, v43
	s_and_saveexec_b32 s23, s26
	s_cbranch_execz .LBB1561_1122
.LBB1561_1194:                          ;   in Loop: Header=BB1561_1040 Depth=2
	ds_read_u8 v4, v0 offset:3584
	s_waitcnt lgkmcnt(0)
	v_and_b32_e32 v5, 1, v4
	v_xor_b32_e32 v4, 1, v4
	v_lshrrev_b32_e32 v5, s41, v5
	v_and_b32_e32 v5, s62, v5
	v_lshlrev_b32_e32 v5, 2, v5
	ds_read_b32 v5, v5
	s_waitcnt lgkmcnt(0)
	v_add_nc_u32_e32 v5, v5, v59
	global_store_byte v5, v4, s[48:49]
	s_or_b32 exec_lo, exec_lo, s23
	v_cmp_lt_u32_e64 s25, v60, v43
	s_and_saveexec_b32 s23, s25
	s_cbranch_execz .LBB1561_1123
.LBB1561_1195:                          ;   in Loop: Header=BB1561_1040 Depth=2
	ds_read_u8 v4, v0 offset:3840
	s_waitcnt lgkmcnt(0)
	v_and_b32_e32 v5, 1, v4
	v_xor_b32_e32 v4, 1, v4
	v_lshrrev_b32_e32 v5, s41, v5
	v_and_b32_e32 v5, s62, v5
	v_lshlrev_b32_e32 v5, 2, v5
	ds_read_b32 v5, v5
	s_waitcnt lgkmcnt(0)
	v_add_nc_u32_e32 v5, v5, v60
	global_store_byte v5, v4, s[48:49]
	s_or_b32 exec_lo, exec_lo, s23
	v_cmp_lt_u32_e64 s24, v61, v43
	s_and_saveexec_b32 s23, s24
	s_cbranch_execz .LBB1561_1124
.LBB1561_1196:                          ;   in Loop: Header=BB1561_1040 Depth=2
	ds_read_u8 v4, v0 offset:4096
	s_waitcnt lgkmcnt(0)
	v_and_b32_e32 v5, 1, v4
	v_xor_b32_e32 v4, 1, v4
	v_lshrrev_b32_e32 v5, s41, v5
	v_and_b32_e32 v5, s62, v5
	v_lshlrev_b32_e32 v5, 2, v5
	ds_read_b32 v5, v5
	s_waitcnt lgkmcnt(0)
	v_add_nc_u32_e32 v5, v5, v61
	global_store_byte v5, v4, s[48:49]
	s_or_b32 exec_lo, exec_lo, s23
	v_cmp_lt_u32_e64 s23, v62, v43
	s_and_saveexec_b32 s40, s23
	s_cbranch_execz .LBB1561_1125
.LBB1561_1197:                          ;   in Loop: Header=BB1561_1040 Depth=2
	ds_read_u8 v4, v0 offset:4352
	s_waitcnt lgkmcnt(0)
	v_and_b32_e32 v5, 1, v4
	v_xor_b32_e32 v4, 1, v4
	v_lshrrev_b32_e32 v5, s41, v5
	v_and_b32_e32 v5, s62, v5
	v_lshlrev_b32_e32 v5, 2, v5
	ds_read_b32 v5, v5
	s_waitcnt lgkmcnt(0)
	v_add_nc_u32_e32 v5, v5, v62
	global_store_byte v5, v4, s[48:49]
	s_or_b32 exec_lo, exec_lo, s40
	v_cmp_lt_u32_e32 vcc_lo, v63, v43
	s_and_saveexec_b32 s40, vcc_lo
	s_cbranch_execnz .LBB1561_1126
	s_branch .LBB1561_1127
.LBB1561_1198:                          ;   in Loop: Header=BB1561_1040 Depth=2
	global_load_dwordx2 v[41:42], v[4:5], off
	s_or_b32 exec_lo, exec_lo, s40
	s_mov_b32 s50, exec_lo
	v_cmpx_lt_u32_e64 v101, v43
	s_cbranch_execz .LBB1561_1129
.LBB1561_1199:                          ;   in Loop: Header=BB1561_1040 Depth=2
	global_load_dwordx2 v[39:40], v[4:5], off offset:256
	s_or_b32 exec_lo, exec_lo, s50
	s_mov_b32 s50, exec_lo
	v_cmpx_lt_u32_e64 v102, v43
	s_cbranch_execz .LBB1561_1130
.LBB1561_1200:                          ;   in Loop: Header=BB1561_1040 Depth=2
	global_load_dwordx2 v[37:38], v[4:5], off offset:512
	s_or_b32 exec_lo, exec_lo, s50
	s_mov_b32 s50, exec_lo
	v_cmpx_lt_u32_e64 v103, v43
	s_cbranch_execz .LBB1561_1131
.LBB1561_1201:                          ;   in Loop: Header=BB1561_1040 Depth=2
	global_load_dwordx2 v[35:36], v[4:5], off offset:768
	s_or_b32 exec_lo, exec_lo, s50
	s_mov_b32 s50, exec_lo
	v_cmpx_lt_u32_e64 v104, v43
	s_cbranch_execz .LBB1561_1132
.LBB1561_1202:                          ;   in Loop: Header=BB1561_1040 Depth=2
	global_load_dwordx2 v[33:34], v[4:5], off offset:1024
	s_or_b32 exec_lo, exec_lo, s50
	s_mov_b32 s50, exec_lo
	v_cmpx_lt_u32_e64 v105, v43
	s_cbranch_execz .LBB1561_1133
.LBB1561_1203:                          ;   in Loop: Header=BB1561_1040 Depth=2
	global_load_dwordx2 v[29:30], v[4:5], off offset:1280
	s_or_b32 exec_lo, exec_lo, s50
	s_mov_b32 s50, exec_lo
	v_cmpx_lt_u32_e64 v106, v43
	s_cbranch_execz .LBB1561_1134
.LBB1561_1204:                          ;   in Loop: Header=BB1561_1040 Depth=2
	global_load_dwordx2 v[25:26], v[4:5], off offset:1536
	s_or_b32 exec_lo, exec_lo, s50
	s_mov_b32 s50, exec_lo
	v_cmpx_lt_u32_e64 v107, v43
	s_cbranch_execz .LBB1561_1135
.LBB1561_1205:                          ;   in Loop: Header=BB1561_1040 Depth=2
	global_load_dwordx2 v[21:22], v[4:5], off offset:1792
	s_or_b32 exec_lo, exec_lo, s50
	s_mov_b32 s50, exec_lo
	v_cmpx_lt_u32_e64 v108, v43
	s_cbranch_execz .LBB1561_1136
.LBB1561_1206:                          ;   in Loop: Header=BB1561_1040 Depth=2
	v_add_co_u32 v31, s40, 0x800, v4
	v_add_co_ci_u32_e64 v32, null, 0, v5, s40
	global_load_dwordx2 v[31:32], v[31:32], off
	s_or_b32 exec_lo, exec_lo, s50
	s_mov_b32 s50, exec_lo
	v_cmpx_lt_u32_e64 v109, v43
	s_cbranch_execz .LBB1561_1137
.LBB1561_1207:                          ;   in Loop: Header=BB1561_1040 Depth=2
	v_add_co_u32 v27, s40, 0x800, v4
	v_add_co_ci_u32_e64 v28, null, 0, v5, s40
	global_load_dwordx2 v[27:28], v[27:28], off offset:256
	s_or_b32 exec_lo, exec_lo, s50
	s_mov_b32 s50, exec_lo
	v_cmpx_lt_u32_e64 v110, v43
	s_cbranch_execz .LBB1561_1138
.LBB1561_1208:                          ;   in Loop: Header=BB1561_1040 Depth=2
	v_add_co_u32 v23, s40, 0x800, v4
	v_add_co_ci_u32_e64 v24, null, 0, v5, s40
	global_load_dwordx2 v[23:24], v[23:24], off offset:512
	s_or_b32 exec_lo, exec_lo, s50
	s_mov_b32 s50, exec_lo
	v_cmpx_lt_u32_e64 v111, v43
	s_cbranch_execz .LBB1561_1139
.LBB1561_1209:                          ;   in Loop: Header=BB1561_1040 Depth=2
	v_add_co_u32 v19, s40, 0x800, v4
	v_add_co_ci_u32_e64 v20, null, 0, v5, s40
	global_load_dwordx2 v[19:20], v[19:20], off offset:768
	s_or_b32 exec_lo, exec_lo, s50
	s_mov_b32 s50, exec_lo
	v_cmpx_lt_u32_e64 v112, v43
	s_cbranch_execz .LBB1561_1140
.LBB1561_1210:                          ;   in Loop: Header=BB1561_1040 Depth=2
	v_add_co_u32 v17, s40, 0x800, v4
	v_add_co_ci_u32_e64 v18, null, 0, v5, s40
	global_load_dwordx2 v[17:18], v[17:18], off offset:1024
	s_or_b32 exec_lo, exec_lo, s50
	s_mov_b32 s50, exec_lo
	v_cmpx_lt_u32_e64 v113, v43
	s_cbranch_execz .LBB1561_1141
.LBB1561_1211:                          ;   in Loop: Header=BB1561_1040 Depth=2
	v_add_co_u32 v15, s40, 0x800, v4
	v_add_co_ci_u32_e64 v16, null, 0, v5, s40
	global_load_dwordx2 v[15:16], v[15:16], off offset:1280
	s_or_b32 exec_lo, exec_lo, s50
	s_mov_b32 s50, exec_lo
	v_cmpx_lt_u32_e64 v114, v43
	s_cbranch_execz .LBB1561_1142
.LBB1561_1212:                          ;   in Loop: Header=BB1561_1040 Depth=2
	v_add_co_u32 v13, s40, 0x800, v4
	v_add_co_ci_u32_e64 v14, null, 0, v5, s40
	global_load_dwordx2 v[13:14], v[13:14], off offset:1536
	s_or_b32 exec_lo, exec_lo, s50
	s_mov_b32 s50, exec_lo
	v_cmpx_lt_u32_e64 v115, v43
	s_cbranch_execz .LBB1561_1143
.LBB1561_1213:                          ;   in Loop: Header=BB1561_1040 Depth=2
	v_add_co_u32 v11, s40, 0x800, v4
	v_add_co_ci_u32_e64 v12, null, 0, v5, s40
	global_load_dwordx2 v[11:12], v[11:12], off offset:1792
	s_or_b32 exec_lo, exec_lo, s50
	s_mov_b32 s50, exec_lo
	v_cmpx_lt_u32_e64 v116, v43
	s_cbranch_execz .LBB1561_1144
.LBB1561_1214:                          ;   in Loop: Header=BB1561_1040 Depth=2
	v_add_co_u32 v4, s40, 0x1000, v4
	v_add_co_ci_u32_e64 v5, null, 0, v5, s40
	global_load_dwordx2 v[9:10], v[4:5], off
	s_or_b32 exec_lo, exec_lo, s50
	s_and_saveexec_b32 s40, s38
	s_cbranch_execz .LBB1561_1145
.LBB1561_1215:                          ;   in Loop: Header=BB1561_1040 Depth=2
	ds_read_u8 v4, v0 offset:512
	s_waitcnt lgkmcnt(0)
	v_lshrrev_b32_e32 v4, s41, v4
	v_and_b32_e32 v134, s62, v4
	s_or_b32 exec_lo, exec_lo, s40
	s_and_saveexec_b32 s40, s39
	s_cbranch_execz .LBB1561_1146
.LBB1561_1216:                          ;   in Loop: Header=BB1561_1040 Depth=2
	ds_read_u8 v4, v0 offset:768
	s_waitcnt lgkmcnt(0)
	v_lshrrev_b32_e32 v4, s41, v4
	v_and_b32_e32 v133, s62, v4
	s_or_b32 exec_lo, exec_lo, s40
	s_and_saveexec_b32 s40, s37
	s_cbranch_execz .LBB1561_1147
.LBB1561_1217:                          ;   in Loop: Header=BB1561_1040 Depth=2
	ds_read_u8 v4, v0 offset:1024
	s_waitcnt lgkmcnt(0)
	v_lshrrev_b32_e32 v4, s41, v4
	v_and_b32_e32 v132, s62, v4
	s_or_b32 exec_lo, exec_lo, s40
	s_and_saveexec_b32 s40, s36
	s_cbranch_execz .LBB1561_1148
.LBB1561_1218:                          ;   in Loop: Header=BB1561_1040 Depth=2
	ds_read_u8 v4, v0 offset:1280
	s_waitcnt lgkmcnt(0)
	v_lshrrev_b32_e32 v4, s41, v4
	v_and_b32_e32 v131, s62, v4
	s_or_b32 exec_lo, exec_lo, s40
	s_and_saveexec_b32 s40, s35
	s_cbranch_execz .LBB1561_1149
.LBB1561_1219:                          ;   in Loop: Header=BB1561_1040 Depth=2
	ds_read_u8 v4, v0 offset:1536
	s_waitcnt lgkmcnt(0)
	v_lshrrev_b32_e32 v4, s41, v4
	v_and_b32_e32 v130, s62, v4
	s_or_b32 exec_lo, exec_lo, s40
	s_and_saveexec_b32 s40, s34
	s_cbranch_execz .LBB1561_1150
.LBB1561_1220:                          ;   in Loop: Header=BB1561_1040 Depth=2
	ds_read_u8 v4, v0 offset:1792
	s_waitcnt lgkmcnt(0)
	v_lshrrev_b32_e32 v4, s41, v4
	v_and_b32_e32 v129, s62, v4
	s_or_b32 exec_lo, exec_lo, s40
	s_and_saveexec_b32 s40, s33
	s_cbranch_execz .LBB1561_1151
.LBB1561_1221:                          ;   in Loop: Header=BB1561_1040 Depth=2
	ds_read_u8 v4, v0 offset:2048
	s_waitcnt lgkmcnt(0)
	v_lshrrev_b32_e32 v4, s41, v4
	v_and_b32_e32 v128, s62, v4
	s_or_b32 exec_lo, exec_lo, s40
	s_and_saveexec_b32 s40, s31
	s_cbranch_execz .LBB1561_1152
.LBB1561_1222:                          ;   in Loop: Header=BB1561_1040 Depth=2
	ds_read_u8 v4, v0 offset:2304
	s_waitcnt lgkmcnt(0)
	v_lshrrev_b32_e32 v4, s41, v4
	v_and_b32_e32 v127, s62, v4
	s_or_b32 exec_lo, exec_lo, s40
	s_and_saveexec_b32 s40, s30
	s_cbranch_execz .LBB1561_1153
.LBB1561_1223:                          ;   in Loop: Header=BB1561_1040 Depth=2
	ds_read_u8 v4, v0 offset:2560
	s_waitcnt lgkmcnt(0)
	v_lshrrev_b32_e32 v4, s41, v4
	v_and_b32_e32 v126, s62, v4
	s_or_b32 exec_lo, exec_lo, s40
	s_and_saveexec_b32 s40, s29
	s_cbranch_execz .LBB1561_1154
.LBB1561_1224:                          ;   in Loop: Header=BB1561_1040 Depth=2
	ds_read_u8 v4, v0 offset:2816
	s_waitcnt lgkmcnt(0)
	v_lshrrev_b32_e32 v4, s41, v4
	v_and_b32_e32 v125, s62, v4
	s_or_b32 exec_lo, exec_lo, s40
	s_and_saveexec_b32 s40, s28
	s_cbranch_execz .LBB1561_1155
.LBB1561_1225:                          ;   in Loop: Header=BB1561_1040 Depth=2
	ds_read_u8 v4, v0 offset:3072
	s_waitcnt lgkmcnt(0)
	v_lshrrev_b32_e32 v4, s41, v4
	v_and_b32_e32 v124, s62, v4
	s_or_b32 exec_lo, exec_lo, s40
	s_and_saveexec_b32 s40, s27
	s_cbranch_execz .LBB1561_1156
.LBB1561_1226:                          ;   in Loop: Header=BB1561_1040 Depth=2
	ds_read_u8 v4, v0 offset:3328
	s_waitcnt lgkmcnt(0)
	v_lshrrev_b32_e32 v4, s41, v4
	v_and_b32_e32 v123, s62, v4
	s_or_b32 exec_lo, exec_lo, s40
	s_and_saveexec_b32 s40, s26
	s_cbranch_execz .LBB1561_1157
.LBB1561_1227:                          ;   in Loop: Header=BB1561_1040 Depth=2
	ds_read_u8 v4, v0 offset:3584
	s_waitcnt lgkmcnt(0)
	v_lshrrev_b32_e32 v4, s41, v4
	v_and_b32_e32 v122, s62, v4
	s_or_b32 exec_lo, exec_lo, s40
	s_and_saveexec_b32 s40, s25
	s_cbranch_execz .LBB1561_1158
.LBB1561_1228:                          ;   in Loop: Header=BB1561_1040 Depth=2
	ds_read_u8 v4, v0 offset:3840
	s_waitcnt lgkmcnt(0)
	v_lshrrev_b32_e32 v4, s41, v4
	v_and_b32_e32 v121, s62, v4
	s_or_b32 exec_lo, exec_lo, s40
	s_and_saveexec_b32 s40, s24
	s_cbranch_execz .LBB1561_1159
.LBB1561_1229:                          ;   in Loop: Header=BB1561_1040 Depth=2
	ds_read_u8 v4, v0 offset:4096
	s_waitcnt lgkmcnt(0)
	v_lshrrev_b32_e32 v4, s41, v4
	v_and_b32_e32 v120, s62, v4
	s_or_b32 exec_lo, exec_lo, s40
	s_and_saveexec_b32 s40, s23
	s_cbranch_execz .LBB1561_1160
.LBB1561_1230:                          ;   in Loop: Header=BB1561_1040 Depth=2
	ds_read_u8 v4, v0 offset:4352
	s_waitcnt lgkmcnt(0)
	v_lshrrev_b32_e32 v4, s41, v4
	v_and_b32_e32 v119, s62, v4
	s_or_b32 exec_lo, exec_lo, s40
	s_and_saveexec_b32 s40, vcc_lo
	s_cbranch_execnz .LBB1561_1161
	s_branch .LBB1561_1162
.LBB1561_1231:                          ;   in Loop: Header=BB1561_1040 Depth=2
	v_lshlrev_b32_e32 v5, 2, v134
	v_mov_b32_e32 v44, v3
	ds_read_b32 v7, v5
	ds_read_b64 v[5:6], v4 offset:512
	s_waitcnt lgkmcnt(1)
	v_add_nc_u32_e32 v43, v7, v0
	v_lshlrev_b64 v[43:44], 3, v[43:44]
	v_add_co_u32 v43, s38, s54, v43
	v_add_co_ci_u32_e64 v44, null, s55, v44, s38
	s_waitcnt lgkmcnt(0)
	global_store_dwordx2 v[43:44], v[5:6], off
	s_or_b32 exec_lo, exec_lo, s40
	s_and_saveexec_b32 s40, s39
	s_cbranch_execz .LBB1561_1164
.LBB1561_1232:                          ;   in Loop: Header=BB1561_1040 Depth=2
	v_lshlrev_b32_e32 v5, 2, v133
	v_mov_b32_e32 v44, v3
	ds_read_b32 v7, v5
	ds_read_b64 v[5:6], v4 offset:2560
	s_waitcnt lgkmcnt(1)
	v_add_nc_u32_e32 v43, v7, v46
	v_lshlrev_b64 v[43:44], 3, v[43:44]
	v_add_co_u32 v43, s38, s54, v43
	v_add_co_ci_u32_e64 v44, null, s55, v44, s38
	s_waitcnt lgkmcnt(0)
	global_store_dwordx2 v[43:44], v[5:6], off
	s_or_b32 exec_lo, exec_lo, s40
	s_and_saveexec_b32 s38, s37
	s_cbranch_execz .LBB1561_1165
.LBB1561_1233:                          ;   in Loop: Header=BB1561_1040 Depth=2
	v_lshlrev_b32_e32 v5, 2, v132
	v_mov_b32_e32 v44, v3
	ds_read_b32 v7, v5
	ds_read_b64 v[5:6], v4 offset:4608
	s_waitcnt lgkmcnt(1)
	v_add_nc_u32_e32 v43, v7, v49
	v_lshlrev_b64 v[43:44], 3, v[43:44]
	v_add_co_u32 v43, s37, s54, v43
	v_add_co_ci_u32_e64 v44, null, s55, v44, s37
	s_waitcnt lgkmcnt(0)
	global_store_dwordx2 v[43:44], v[5:6], off
	s_or_b32 exec_lo, exec_lo, s38
	s_and_saveexec_b32 s37, s36
	s_cbranch_execz .LBB1561_1166
.LBB1561_1234:                          ;   in Loop: Header=BB1561_1040 Depth=2
	v_lshlrev_b32_e32 v5, 2, v131
	v_mov_b32_e32 v44, v3
	ds_read_b32 v7, v5
	ds_read_b64 v[5:6], v4 offset:6656
	s_waitcnt lgkmcnt(1)
	v_add_nc_u32_e32 v43, v7, v50
	v_lshlrev_b64 v[43:44], 3, v[43:44]
	v_add_co_u32 v43, s36, s54, v43
	v_add_co_ci_u32_e64 v44, null, s55, v44, s36
	s_waitcnt lgkmcnt(0)
	global_store_dwordx2 v[43:44], v[5:6], off
	s_or_b32 exec_lo, exec_lo, s37
	s_and_saveexec_b32 s36, s35
	s_cbranch_execz .LBB1561_1167
.LBB1561_1235:                          ;   in Loop: Header=BB1561_1040 Depth=2
	v_lshlrev_b32_e32 v5, 2, v130
	v_mov_b32_e32 v44, v3
	ds_read_b32 v7, v5
	ds_read_b64 v[5:6], v4 offset:8704
	s_waitcnt lgkmcnt(1)
	v_add_nc_u32_e32 v43, v7, v51
	v_lshlrev_b64 v[43:44], 3, v[43:44]
	v_add_co_u32 v43, s35, s54, v43
	v_add_co_ci_u32_e64 v44, null, s55, v44, s35
	s_waitcnt lgkmcnt(0)
	global_store_dwordx2 v[43:44], v[5:6], off
	s_or_b32 exec_lo, exec_lo, s36
	s_and_saveexec_b32 s35, s34
	s_cbranch_execz .LBB1561_1168
.LBB1561_1236:                          ;   in Loop: Header=BB1561_1040 Depth=2
	v_lshlrev_b32_e32 v5, 2, v129
	v_mov_b32_e32 v44, v3
	ds_read_b32 v7, v5
	ds_read_b64 v[5:6], v4 offset:10752
	s_waitcnt lgkmcnt(1)
	v_add_nc_u32_e32 v43, v7, v52
	v_lshlrev_b64 v[43:44], 3, v[43:44]
	v_add_co_u32 v43, s34, s54, v43
	v_add_co_ci_u32_e64 v44, null, s55, v44, s34
	s_waitcnt lgkmcnt(0)
	global_store_dwordx2 v[43:44], v[5:6], off
	s_or_b32 exec_lo, exec_lo, s35
	s_and_saveexec_b32 s34, s33
	s_cbranch_execz .LBB1561_1169
.LBB1561_1237:                          ;   in Loop: Header=BB1561_1040 Depth=2
	v_lshlrev_b32_e32 v5, 2, v128
	v_mov_b32_e32 v44, v3
	ds_read_b32 v7, v5
	ds_read_b64 v[5:6], v4 offset:12800
	s_waitcnt lgkmcnt(1)
	v_add_nc_u32_e32 v43, v7, v53
	v_lshlrev_b64 v[43:44], 3, v[43:44]
	v_add_co_u32 v43, s33, s54, v43
	v_add_co_ci_u32_e64 v44, null, s55, v44, s33
	s_waitcnt lgkmcnt(0)
	global_store_dwordx2 v[43:44], v[5:6], off
	s_or_b32 exec_lo, exec_lo, s34
	s_and_saveexec_b32 s33, s31
	s_cbranch_execz .LBB1561_1170
.LBB1561_1238:                          ;   in Loop: Header=BB1561_1040 Depth=2
	v_lshlrev_b32_e32 v5, 2, v127
	v_mov_b32_e32 v44, v3
	ds_read_b32 v7, v5
	ds_read_b64 v[5:6], v4 offset:14848
	s_waitcnt lgkmcnt(1)
	v_add_nc_u32_e32 v43, v7, v54
	v_lshlrev_b64 v[43:44], 3, v[43:44]
	v_add_co_u32 v43, s31, s54, v43
	v_add_co_ci_u32_e64 v44, null, s55, v44, s31
	s_waitcnt lgkmcnt(0)
	global_store_dwordx2 v[43:44], v[5:6], off
	s_or_b32 exec_lo, exec_lo, s33
	s_and_saveexec_b32 s31, s30
	s_cbranch_execz .LBB1561_1171
.LBB1561_1239:                          ;   in Loop: Header=BB1561_1040 Depth=2
	v_lshlrev_b32_e32 v5, 2, v126
	v_mov_b32_e32 v44, v3
	ds_read_b32 v7, v5
	ds_read_b64 v[5:6], v4 offset:16896
	s_waitcnt lgkmcnt(1)
	v_add_nc_u32_e32 v43, v7, v55
	v_lshlrev_b64 v[43:44], 3, v[43:44]
	v_add_co_u32 v43, s30, s54, v43
	v_add_co_ci_u32_e64 v44, null, s55, v44, s30
	s_waitcnt lgkmcnt(0)
	global_store_dwordx2 v[43:44], v[5:6], off
	s_or_b32 exec_lo, exec_lo, s31
	s_and_saveexec_b32 s30, s29
	s_cbranch_execz .LBB1561_1172
.LBB1561_1240:                          ;   in Loop: Header=BB1561_1040 Depth=2
	v_lshlrev_b32_e32 v5, 2, v125
	v_mov_b32_e32 v44, v3
	ds_read_b32 v7, v5
	ds_read_b64 v[5:6], v4 offset:18944
	s_waitcnt lgkmcnt(1)
	v_add_nc_u32_e32 v43, v7, v56
	v_lshlrev_b64 v[43:44], 3, v[43:44]
	v_add_co_u32 v43, s29, s54, v43
	v_add_co_ci_u32_e64 v44, null, s55, v44, s29
	s_waitcnt lgkmcnt(0)
	global_store_dwordx2 v[43:44], v[5:6], off
	s_or_b32 exec_lo, exec_lo, s30
	s_and_saveexec_b32 s29, s28
	s_cbranch_execz .LBB1561_1173
.LBB1561_1241:                          ;   in Loop: Header=BB1561_1040 Depth=2
	v_lshlrev_b32_e32 v5, 2, v124
	v_mov_b32_e32 v44, v3
	ds_read_b32 v7, v5
	ds_read_b64 v[5:6], v4 offset:20992
	s_waitcnt lgkmcnt(1)
	v_add_nc_u32_e32 v43, v7, v57
	v_lshlrev_b64 v[43:44], 3, v[43:44]
	v_add_co_u32 v43, s28, s54, v43
	v_add_co_ci_u32_e64 v44, null, s55, v44, s28
	s_waitcnt lgkmcnt(0)
	global_store_dwordx2 v[43:44], v[5:6], off
	s_or_b32 exec_lo, exec_lo, s29
	s_and_saveexec_b32 s28, s27
	s_cbranch_execz .LBB1561_1174
.LBB1561_1242:                          ;   in Loop: Header=BB1561_1040 Depth=2
	v_lshlrev_b32_e32 v5, 2, v123
	v_mov_b32_e32 v44, v3
	ds_read_b32 v7, v5
	ds_read_b64 v[5:6], v4 offset:23040
	s_waitcnt lgkmcnt(1)
	v_add_nc_u32_e32 v43, v7, v58
	v_lshlrev_b64 v[43:44], 3, v[43:44]
	v_add_co_u32 v43, s27, s54, v43
	v_add_co_ci_u32_e64 v44, null, s55, v44, s27
	s_waitcnt lgkmcnt(0)
	global_store_dwordx2 v[43:44], v[5:6], off
	s_or_b32 exec_lo, exec_lo, s28
	s_and_saveexec_b32 s27, s26
	s_cbranch_execz .LBB1561_1175
.LBB1561_1243:                          ;   in Loop: Header=BB1561_1040 Depth=2
	v_lshlrev_b32_e32 v5, 2, v122
	v_mov_b32_e32 v44, v3
	ds_read_b32 v7, v5
	ds_read_b64 v[5:6], v4 offset:25088
	s_waitcnt lgkmcnt(1)
	v_add_nc_u32_e32 v43, v7, v59
	v_lshlrev_b64 v[43:44], 3, v[43:44]
	v_add_co_u32 v43, s26, s54, v43
	v_add_co_ci_u32_e64 v44, null, s55, v44, s26
	s_waitcnt lgkmcnt(0)
	global_store_dwordx2 v[43:44], v[5:6], off
	s_or_b32 exec_lo, exec_lo, s27
	s_and_saveexec_b32 s26, s25
	s_cbranch_execz .LBB1561_1176
.LBB1561_1244:                          ;   in Loop: Header=BB1561_1040 Depth=2
	v_lshlrev_b32_e32 v5, 2, v121
	v_mov_b32_e32 v44, v3
	ds_read_b32 v7, v5
	ds_read_b64 v[5:6], v4 offset:27136
	s_waitcnt lgkmcnt(1)
	v_add_nc_u32_e32 v43, v7, v60
	v_lshlrev_b64 v[43:44], 3, v[43:44]
	v_add_co_u32 v43, s25, s54, v43
	v_add_co_ci_u32_e64 v44, null, s55, v44, s25
	s_waitcnt lgkmcnt(0)
	global_store_dwordx2 v[43:44], v[5:6], off
	s_or_b32 exec_lo, exec_lo, s26
	s_and_saveexec_b32 s25, s24
	s_cbranch_execz .LBB1561_1177
.LBB1561_1245:                          ;   in Loop: Header=BB1561_1040 Depth=2
	v_lshlrev_b32_e32 v5, 2, v120
	v_mov_b32_e32 v44, v3
	ds_read_b32 v7, v5
	ds_read_b64 v[5:6], v4 offset:29184
	s_waitcnt lgkmcnt(1)
	v_add_nc_u32_e32 v43, v7, v61
	v_lshlrev_b64 v[43:44], 3, v[43:44]
	v_add_co_u32 v43, s24, s54, v43
	v_add_co_ci_u32_e64 v44, null, s55, v44, s24
	s_waitcnt lgkmcnt(0)
	global_store_dwordx2 v[43:44], v[5:6], off
	s_or_b32 exec_lo, exec_lo, s25
	s_and_saveexec_b32 s24, s23
	s_cbranch_execz .LBB1561_1178
.LBB1561_1246:                          ;   in Loop: Header=BB1561_1040 Depth=2
	v_lshlrev_b32_e32 v5, 2, v119
	v_mov_b32_e32 v44, v3
	ds_read_b32 v7, v5
	ds_read_b64 v[5:6], v4 offset:31232
	s_waitcnt lgkmcnt(1)
	v_add_nc_u32_e32 v43, v7, v62
	v_lshlrev_b64 v[43:44], 3, v[43:44]
	v_add_co_u32 v43, s23, s54, v43
	v_add_co_ci_u32_e64 v44, null, s55, v44, s23
	s_waitcnt lgkmcnt(0)
	global_store_dwordx2 v[43:44], v[5:6], off
	s_or_b32 exec_lo, exec_lo, s24
	s_and_saveexec_b32 s23, vcc_lo
	s_cbranch_execnz .LBB1561_1179
	s_branch .LBB1561_1180
.LBB1561_1247:                          ;   in Loop: Header=BB1561_1040 Depth=2
	global_load_ubyte v4, v[43:44], off
	v_mov_b32_e32 v5, v3
	v_mov_b32_e32 v6, v3
	;; [unrolled: 1-line block ×4, first 2 shown]
	s_or_b32 exec_lo, exec_lo, s23
	s_mov_b32 s23, exec_lo
	v_cmpx_gt_u32_e64 s63, v101
	s_cbranch_execz .LBB1561_1045
.LBB1561_1248:                          ;   in Loop: Header=BB1561_1040 Depth=2
	global_load_ubyte v137, v[43:44], off offset:32
	v_and_b32_e32 v8, 0xff, v8
	s_waitcnt vmcnt(0)
	v_perm_b32 v4, v4, v137, 0x7060004
	s_or_b32 exec_lo, exec_lo, s23
	s_mov_b32 s23, exec_lo
	v_cmpx_gt_u32_e64 s63, v102
	s_cbranch_execz .LBB1561_1046
.LBB1561_1249:                          ;   in Loop: Header=BB1561_1040 Depth=2
	global_load_ubyte v137, v[43:44], off offset:64
	v_and_b32_e32 v8, 0xff, v8
	s_waitcnt vmcnt(0)
	v_perm_b32 v4, v4, v137, 0x7000504
	s_or_b32 exec_lo, exec_lo, s23
	s_mov_b32 s23, exec_lo
	v_cmpx_gt_u32_e64 s63, v103
	s_cbranch_execz .LBB1561_1047
.LBB1561_1250:                          ;   in Loop: Header=BB1561_1040 Depth=2
	global_load_ubyte v137, v[43:44], off offset:96
	v_and_b32_e32 v8, 0xff, v8
	s_waitcnt vmcnt(0)
	v_perm_b32 v4, v4, v137, 0x60504
	s_or_b32 exec_lo, exec_lo, s23
	s_mov_b32 s23, exec_lo
	v_cmpx_gt_u32_e64 s63, v104
	s_cbranch_execz .LBB1561_1048
.LBB1561_1251:                          ;   in Loop: Header=BB1561_1040 Depth=2
	global_load_ubyte v137, v[43:44], off offset:128
	v_and_b32_e32 v8, 0xff, v8
	s_waitcnt vmcnt(0)
	v_perm_b32 v5, v137, v5, 0x3020104
	s_or_b32 exec_lo, exec_lo, s23
	s_mov_b32 s23, exec_lo
	v_cmpx_gt_u32_e64 s63, v105
	s_cbranch_execz .LBB1561_1049
.LBB1561_1252:                          ;   in Loop: Header=BB1561_1040 Depth=2
	global_load_ubyte v137, v[43:44], off offset:160
	v_and_b32_e32 v8, 0xff, v8
	s_waitcnt vmcnt(0)
	v_perm_b32 v5, v5, v137, 0x7060004
	s_or_b32 exec_lo, exec_lo, s23
	s_mov_b32 s23, exec_lo
	v_cmpx_gt_u32_e64 s63, v106
	s_cbranch_execz .LBB1561_1050
.LBB1561_1253:                          ;   in Loop: Header=BB1561_1040 Depth=2
	global_load_ubyte v137, v[43:44], off offset:192
	v_and_b32_e32 v8, 0xff, v8
	s_waitcnt vmcnt(0)
	v_perm_b32 v5, v5, v137, 0x7000504
	s_or_b32 exec_lo, exec_lo, s23
	s_mov_b32 s23, exec_lo
	v_cmpx_gt_u32_e64 s63, v107
	s_cbranch_execz .LBB1561_1051
.LBB1561_1254:                          ;   in Loop: Header=BB1561_1040 Depth=2
	global_load_ubyte v137, v[43:44], off offset:224
	v_and_b32_e32 v8, 0xff, v8
	s_waitcnt vmcnt(0)
	v_perm_b32 v5, v5, v137, 0x60504
	s_or_b32 exec_lo, exec_lo, s23
	s_mov_b32 s23, exec_lo
	v_cmpx_gt_u32_e64 s63, v108
	s_cbranch_execz .LBB1561_1052
.LBB1561_1255:                          ;   in Loop: Header=BB1561_1040 Depth=2
	global_load_ubyte v137, v[43:44], off offset:256
	v_and_b32_e32 v8, 0xff, v8
	s_waitcnt vmcnt(0)
	v_perm_b32 v6, v137, v6, 0x3020104
	s_or_b32 exec_lo, exec_lo, s23
	s_mov_b32 s23, exec_lo
	v_cmpx_gt_u32_e64 s63, v109
	s_cbranch_execz .LBB1561_1053
.LBB1561_1256:                          ;   in Loop: Header=BB1561_1040 Depth=2
	global_load_ubyte v137, v[43:44], off offset:288
	v_and_b32_e32 v8, 0xff, v8
	s_waitcnt vmcnt(0)
	v_perm_b32 v6, v6, v137, 0x7060004
	s_or_b32 exec_lo, exec_lo, s23
	s_mov_b32 s23, exec_lo
	v_cmpx_gt_u32_e64 s63, v110
	s_cbranch_execz .LBB1561_1054
.LBB1561_1257:                          ;   in Loop: Header=BB1561_1040 Depth=2
	global_load_ubyte v137, v[43:44], off offset:320
	v_and_b32_e32 v8, 0xff, v8
	s_waitcnt vmcnt(0)
	v_perm_b32 v6, v6, v137, 0x7000504
	s_or_b32 exec_lo, exec_lo, s23
	s_mov_b32 s23, exec_lo
	v_cmpx_gt_u32_e64 s63, v111
	s_cbranch_execz .LBB1561_1055
.LBB1561_1258:                          ;   in Loop: Header=BB1561_1040 Depth=2
	global_load_ubyte v137, v[43:44], off offset:352
	v_and_b32_e32 v8, 0xff, v8
	s_waitcnt vmcnt(0)
	v_perm_b32 v6, v6, v137, 0x60504
	s_or_b32 exec_lo, exec_lo, s23
	s_mov_b32 s23, exec_lo
	v_cmpx_gt_u32_e64 s63, v112
	s_cbranch_execz .LBB1561_1056
.LBB1561_1259:                          ;   in Loop: Header=BB1561_1040 Depth=2
	global_load_ubyte v137, v[43:44], off offset:384
	v_and_b32_e32 v8, 0xff, v8
	s_waitcnt vmcnt(0)
	v_perm_b32 v7, v137, v7, 0x3020104
	s_or_b32 exec_lo, exec_lo, s23
	s_mov_b32 s23, exec_lo
	v_cmpx_gt_u32_e64 s63, v113
	s_cbranch_execz .LBB1561_1057
.LBB1561_1260:                          ;   in Loop: Header=BB1561_1040 Depth=2
	global_load_ubyte v137, v[43:44], off offset:416
	v_and_b32_e32 v8, 0xff, v8
	s_waitcnt vmcnt(0)
	v_perm_b32 v7, v7, v137, 0x7060004
	s_or_b32 exec_lo, exec_lo, s23
	s_mov_b32 s23, exec_lo
	v_cmpx_gt_u32_e64 s63, v114
	s_cbranch_execz .LBB1561_1058
.LBB1561_1261:                          ;   in Loop: Header=BB1561_1040 Depth=2
	global_load_ubyte v137, v[43:44], off offset:448
	v_and_b32_e32 v8, 0xff, v8
	s_waitcnt vmcnt(0)
	v_perm_b32 v7, v7, v137, 0x7000504
	s_or_b32 exec_lo, exec_lo, s23
	s_mov_b32 s23, exec_lo
	v_cmpx_gt_u32_e64 s63, v115
	s_cbranch_execnz .LBB1561_1059
	s_branch .LBB1561_1060
.LBB1561_1262:
	s_endpgm
	.section	.rodata,"a",@progbits
	.p2align	6, 0x0
	.amdhsa_kernel _ZN7rocprim17ROCPRIM_400000_NS6detail17trampoline_kernelINS0_14default_configENS1_36segmented_radix_sort_config_selectorIblEEZNS1_25segmented_radix_sort_implIS3_Lb1EPKbPbPKlPlN2at6native12_GLOBAL__N_18offset_tEEE10hipError_tPvRmT1_PNSt15iterator_traitsISK_E10value_typeET2_T3_PNSL_ISQ_E10value_typeET4_jRbjT5_SW_jjP12ihipStream_tbEUlT_E2_NS1_11comp_targetILNS1_3genE8ELNS1_11target_archE1030ELNS1_3gpuE2ELNS1_3repE0EEENS1_30default_config_static_selectorELNS0_4arch9wavefront6targetE0EEEvSK_
		.amdhsa_group_segment_fixed_size 35344
		.amdhsa_private_segment_fixed_size 256
		.amdhsa_kernarg_size 336
		.amdhsa_user_sgpr_count 6
		.amdhsa_user_sgpr_private_segment_buffer 1
		.amdhsa_user_sgpr_dispatch_ptr 0
		.amdhsa_user_sgpr_queue_ptr 0
		.amdhsa_user_sgpr_kernarg_segment_ptr 1
		.amdhsa_user_sgpr_dispatch_id 0
		.amdhsa_user_sgpr_flat_scratch_init 0
		.amdhsa_user_sgpr_private_segment_size 0
		.amdhsa_wavefront_size32 1
		.amdhsa_uses_dynamic_stack 0
		.amdhsa_system_sgpr_private_segment_wavefront_offset 1
		.amdhsa_system_sgpr_workgroup_id_x 1
		.amdhsa_system_sgpr_workgroup_id_y 1
		.amdhsa_system_sgpr_workgroup_id_z 0
		.amdhsa_system_sgpr_workgroup_info 0
		.amdhsa_system_vgpr_workitem_id 2
		.amdhsa_next_free_vgpr 248
		.amdhsa_next_free_sgpr 68
		.amdhsa_reserve_vcc 1
		.amdhsa_reserve_flat_scratch 0
		.amdhsa_float_round_mode_32 0
		.amdhsa_float_round_mode_16_64 0
		.amdhsa_float_denorm_mode_32 3
		.amdhsa_float_denorm_mode_16_64 3
		.amdhsa_dx10_clamp 1
		.amdhsa_ieee_mode 1
		.amdhsa_fp16_overflow 0
		.amdhsa_workgroup_processor_mode 1
		.amdhsa_memory_ordered 1
		.amdhsa_forward_progress 1
		.amdhsa_shared_vgpr_count 0
		.amdhsa_exception_fp_ieee_invalid_op 0
		.amdhsa_exception_fp_denorm_src 0
		.amdhsa_exception_fp_ieee_div_zero 0
		.amdhsa_exception_fp_ieee_overflow 0
		.amdhsa_exception_fp_ieee_underflow 0
		.amdhsa_exception_fp_ieee_inexact 0
		.amdhsa_exception_int_div_zero 0
	.end_amdhsa_kernel
	.section	.text._ZN7rocprim17ROCPRIM_400000_NS6detail17trampoline_kernelINS0_14default_configENS1_36segmented_radix_sort_config_selectorIblEEZNS1_25segmented_radix_sort_implIS3_Lb1EPKbPbPKlPlN2at6native12_GLOBAL__N_18offset_tEEE10hipError_tPvRmT1_PNSt15iterator_traitsISK_E10value_typeET2_T3_PNSL_ISQ_E10value_typeET4_jRbjT5_SW_jjP12ihipStream_tbEUlT_E2_NS1_11comp_targetILNS1_3genE8ELNS1_11target_archE1030ELNS1_3gpuE2ELNS1_3repE0EEENS1_30default_config_static_selectorELNS0_4arch9wavefront6targetE0EEEvSK_,"axG",@progbits,_ZN7rocprim17ROCPRIM_400000_NS6detail17trampoline_kernelINS0_14default_configENS1_36segmented_radix_sort_config_selectorIblEEZNS1_25segmented_radix_sort_implIS3_Lb1EPKbPbPKlPlN2at6native12_GLOBAL__N_18offset_tEEE10hipError_tPvRmT1_PNSt15iterator_traitsISK_E10value_typeET2_T3_PNSL_ISQ_E10value_typeET4_jRbjT5_SW_jjP12ihipStream_tbEUlT_E2_NS1_11comp_targetILNS1_3genE8ELNS1_11target_archE1030ELNS1_3gpuE2ELNS1_3repE0EEENS1_30default_config_static_selectorELNS0_4arch9wavefront6targetE0EEEvSK_,comdat
.Lfunc_end1561:
	.size	_ZN7rocprim17ROCPRIM_400000_NS6detail17trampoline_kernelINS0_14default_configENS1_36segmented_radix_sort_config_selectorIblEEZNS1_25segmented_radix_sort_implIS3_Lb1EPKbPbPKlPlN2at6native12_GLOBAL__N_18offset_tEEE10hipError_tPvRmT1_PNSt15iterator_traitsISK_E10value_typeET2_T3_PNSL_ISQ_E10value_typeET4_jRbjT5_SW_jjP12ihipStream_tbEUlT_E2_NS1_11comp_targetILNS1_3genE8ELNS1_11target_archE1030ELNS1_3gpuE2ELNS1_3repE0EEENS1_30default_config_static_selectorELNS0_4arch9wavefront6targetE0EEEvSK_, .Lfunc_end1561-_ZN7rocprim17ROCPRIM_400000_NS6detail17trampoline_kernelINS0_14default_configENS1_36segmented_radix_sort_config_selectorIblEEZNS1_25segmented_radix_sort_implIS3_Lb1EPKbPbPKlPlN2at6native12_GLOBAL__N_18offset_tEEE10hipError_tPvRmT1_PNSt15iterator_traitsISK_E10value_typeET2_T3_PNSL_ISQ_E10value_typeET4_jRbjT5_SW_jjP12ihipStream_tbEUlT_E2_NS1_11comp_targetILNS1_3genE8ELNS1_11target_archE1030ELNS1_3gpuE2ELNS1_3repE0EEENS1_30default_config_static_selectorELNS0_4arch9wavefront6targetE0EEEvSK_
                                        ; -- End function
	.set _ZN7rocprim17ROCPRIM_400000_NS6detail17trampoline_kernelINS0_14default_configENS1_36segmented_radix_sort_config_selectorIblEEZNS1_25segmented_radix_sort_implIS3_Lb1EPKbPbPKlPlN2at6native12_GLOBAL__N_18offset_tEEE10hipError_tPvRmT1_PNSt15iterator_traitsISK_E10value_typeET2_T3_PNSL_ISQ_E10value_typeET4_jRbjT5_SW_jjP12ihipStream_tbEUlT_E2_NS1_11comp_targetILNS1_3genE8ELNS1_11target_archE1030ELNS1_3gpuE2ELNS1_3repE0EEENS1_30default_config_static_selectorELNS0_4arch9wavefront6targetE0EEEvSK_.num_vgpr, max(205, .L_ZN7rocprim17ROCPRIM_400000_NS6detail26segmented_warp_sort_helperINS1_20WarpSortHelperConfigILj32ELj4ELj256EEEblLi256ELb1EvE4sortIPKbPbPKlPlEEvT_T0_T1_T2_jjjjRNS5_12storage_typeE.num_vgpr, .L_ZN7rocprim17ROCPRIM_400000_NS6detail40segmented_radix_sort_single_block_helperIblLj256ELj17ELb1EE4sortIPKbPbPKlPlEEbT_T0_T1_T2_jjjjRNS3_12storage_typeE.num_vgpr)
	.set _ZN7rocprim17ROCPRIM_400000_NS6detail17trampoline_kernelINS0_14default_configENS1_36segmented_radix_sort_config_selectorIblEEZNS1_25segmented_radix_sort_implIS3_Lb1EPKbPbPKlPlN2at6native12_GLOBAL__N_18offset_tEEE10hipError_tPvRmT1_PNSt15iterator_traitsISK_E10value_typeET2_T3_PNSL_ISQ_E10value_typeET4_jRbjT5_SW_jjP12ihipStream_tbEUlT_E2_NS1_11comp_targetILNS1_3genE8ELNS1_11target_archE1030ELNS1_3gpuE2ELNS1_3repE0EEENS1_30default_config_static_selectorELNS0_4arch9wavefront6targetE0EEEvSK_.num_agpr, max(0, .L_ZN7rocprim17ROCPRIM_400000_NS6detail26segmented_warp_sort_helperINS1_20WarpSortHelperConfigILj32ELj4ELj256EEEblLi256ELb1EvE4sortIPKbPbPKlPlEEvT_T0_T1_T2_jjjjRNS5_12storage_typeE.num_agpr, .L_ZN7rocprim17ROCPRIM_400000_NS6detail40segmented_radix_sort_single_block_helperIblLj256ELj17ELb1EE4sortIPKbPbPKlPlEEbT_T0_T1_T2_jjjjRNS3_12storage_typeE.num_agpr)
	.set _ZN7rocprim17ROCPRIM_400000_NS6detail17trampoline_kernelINS0_14default_configENS1_36segmented_radix_sort_config_selectorIblEEZNS1_25segmented_radix_sort_implIS3_Lb1EPKbPbPKlPlN2at6native12_GLOBAL__N_18offset_tEEE10hipError_tPvRmT1_PNSt15iterator_traitsISK_E10value_typeET2_T3_PNSL_ISQ_E10value_typeET4_jRbjT5_SW_jjP12ihipStream_tbEUlT_E2_NS1_11comp_targetILNS1_3genE8ELNS1_11target_archE1030ELNS1_3gpuE2ELNS1_3repE0EEENS1_30default_config_static_selectorELNS0_4arch9wavefront6targetE0EEEvSK_.numbered_sgpr, max(68, .L_ZN7rocprim17ROCPRIM_400000_NS6detail26segmented_warp_sort_helperINS1_20WarpSortHelperConfigILj32ELj4ELj256EEEblLi256ELb1EvE4sortIPKbPbPKlPlEEvT_T0_T1_T2_jjjjRNS5_12storage_typeE.numbered_sgpr, .L_ZN7rocprim17ROCPRIM_400000_NS6detail40segmented_radix_sort_single_block_helperIblLj256ELj17ELb1EE4sortIPKbPbPKlPlEEbT_T0_T1_T2_jjjjRNS3_12storage_typeE.numbered_sgpr)
	.set _ZN7rocprim17ROCPRIM_400000_NS6detail17trampoline_kernelINS0_14default_configENS1_36segmented_radix_sort_config_selectorIblEEZNS1_25segmented_radix_sort_implIS3_Lb1EPKbPbPKlPlN2at6native12_GLOBAL__N_18offset_tEEE10hipError_tPvRmT1_PNSt15iterator_traitsISK_E10value_typeET2_T3_PNSL_ISQ_E10value_typeET4_jRbjT5_SW_jjP12ihipStream_tbEUlT_E2_NS1_11comp_targetILNS1_3genE8ELNS1_11target_archE1030ELNS1_3gpuE2ELNS1_3repE0EEENS1_30default_config_static_selectorELNS0_4arch9wavefront6targetE0EEEvSK_.num_named_barrier, max(0, .L_ZN7rocprim17ROCPRIM_400000_NS6detail26segmented_warp_sort_helperINS1_20WarpSortHelperConfigILj32ELj4ELj256EEEblLi256ELb1EvE4sortIPKbPbPKlPlEEvT_T0_T1_T2_jjjjRNS5_12storage_typeE.num_named_barrier, .L_ZN7rocprim17ROCPRIM_400000_NS6detail40segmented_radix_sort_single_block_helperIblLj256ELj17ELb1EE4sortIPKbPbPKlPlEEbT_T0_T1_T2_jjjjRNS3_12storage_typeE.num_named_barrier)
	.set _ZN7rocprim17ROCPRIM_400000_NS6detail17trampoline_kernelINS0_14default_configENS1_36segmented_radix_sort_config_selectorIblEEZNS1_25segmented_radix_sort_implIS3_Lb1EPKbPbPKlPlN2at6native12_GLOBAL__N_18offset_tEEE10hipError_tPvRmT1_PNSt15iterator_traitsISK_E10value_typeET2_T3_PNSL_ISQ_E10value_typeET4_jRbjT5_SW_jjP12ihipStream_tbEUlT_E2_NS1_11comp_targetILNS1_3genE8ELNS1_11target_archE1030ELNS1_3gpuE2ELNS1_3repE0EEENS1_30default_config_static_selectorELNS0_4arch9wavefront6targetE0EEEvSK_.private_seg_size, 0+max(.L_ZN7rocprim17ROCPRIM_400000_NS6detail26segmented_warp_sort_helperINS1_20WarpSortHelperConfigILj32ELj4ELj256EEEblLi256ELb1EvE4sortIPKbPbPKlPlEEvT_T0_T1_T2_jjjjRNS5_12storage_typeE.private_seg_size, .L_ZN7rocprim17ROCPRIM_400000_NS6detail40segmented_radix_sort_single_block_helperIblLj256ELj17ELb1EE4sortIPKbPbPKlPlEEbT_T0_T1_T2_jjjjRNS3_12storage_typeE.private_seg_size)
	.set _ZN7rocprim17ROCPRIM_400000_NS6detail17trampoline_kernelINS0_14default_configENS1_36segmented_radix_sort_config_selectorIblEEZNS1_25segmented_radix_sort_implIS3_Lb1EPKbPbPKlPlN2at6native12_GLOBAL__N_18offset_tEEE10hipError_tPvRmT1_PNSt15iterator_traitsISK_E10value_typeET2_T3_PNSL_ISQ_E10value_typeET4_jRbjT5_SW_jjP12ihipStream_tbEUlT_E2_NS1_11comp_targetILNS1_3genE8ELNS1_11target_archE1030ELNS1_3gpuE2ELNS1_3repE0EEENS1_30default_config_static_selectorELNS0_4arch9wavefront6targetE0EEEvSK_.uses_vcc, or(1, .L_ZN7rocprim17ROCPRIM_400000_NS6detail26segmented_warp_sort_helperINS1_20WarpSortHelperConfigILj32ELj4ELj256EEEblLi256ELb1EvE4sortIPKbPbPKlPlEEvT_T0_T1_T2_jjjjRNS5_12storage_typeE.uses_vcc, .L_ZN7rocprim17ROCPRIM_400000_NS6detail40segmented_radix_sort_single_block_helperIblLj256ELj17ELb1EE4sortIPKbPbPKlPlEEbT_T0_T1_T2_jjjjRNS3_12storage_typeE.uses_vcc)
	.set _ZN7rocprim17ROCPRIM_400000_NS6detail17trampoline_kernelINS0_14default_configENS1_36segmented_radix_sort_config_selectorIblEEZNS1_25segmented_radix_sort_implIS3_Lb1EPKbPbPKlPlN2at6native12_GLOBAL__N_18offset_tEEE10hipError_tPvRmT1_PNSt15iterator_traitsISK_E10value_typeET2_T3_PNSL_ISQ_E10value_typeET4_jRbjT5_SW_jjP12ihipStream_tbEUlT_E2_NS1_11comp_targetILNS1_3genE8ELNS1_11target_archE1030ELNS1_3gpuE2ELNS1_3repE0EEENS1_30default_config_static_selectorELNS0_4arch9wavefront6targetE0EEEvSK_.uses_flat_scratch, or(0, .L_ZN7rocprim17ROCPRIM_400000_NS6detail26segmented_warp_sort_helperINS1_20WarpSortHelperConfigILj32ELj4ELj256EEEblLi256ELb1EvE4sortIPKbPbPKlPlEEvT_T0_T1_T2_jjjjRNS5_12storage_typeE.uses_flat_scratch, .L_ZN7rocprim17ROCPRIM_400000_NS6detail40segmented_radix_sort_single_block_helperIblLj256ELj17ELb1EE4sortIPKbPbPKlPlEEbT_T0_T1_T2_jjjjRNS3_12storage_typeE.uses_flat_scratch)
	.set _ZN7rocprim17ROCPRIM_400000_NS6detail17trampoline_kernelINS0_14default_configENS1_36segmented_radix_sort_config_selectorIblEEZNS1_25segmented_radix_sort_implIS3_Lb1EPKbPbPKlPlN2at6native12_GLOBAL__N_18offset_tEEE10hipError_tPvRmT1_PNSt15iterator_traitsISK_E10value_typeET2_T3_PNSL_ISQ_E10value_typeET4_jRbjT5_SW_jjP12ihipStream_tbEUlT_E2_NS1_11comp_targetILNS1_3genE8ELNS1_11target_archE1030ELNS1_3gpuE2ELNS1_3repE0EEENS1_30default_config_static_selectorELNS0_4arch9wavefront6targetE0EEEvSK_.has_dyn_sized_stack, or(0, .L_ZN7rocprim17ROCPRIM_400000_NS6detail26segmented_warp_sort_helperINS1_20WarpSortHelperConfigILj32ELj4ELj256EEEblLi256ELb1EvE4sortIPKbPbPKlPlEEvT_T0_T1_T2_jjjjRNS5_12storage_typeE.has_dyn_sized_stack, .L_ZN7rocprim17ROCPRIM_400000_NS6detail40segmented_radix_sort_single_block_helperIblLj256ELj17ELb1EE4sortIPKbPbPKlPlEEbT_T0_T1_T2_jjjjRNS3_12storage_typeE.has_dyn_sized_stack)
	.set _ZN7rocprim17ROCPRIM_400000_NS6detail17trampoline_kernelINS0_14default_configENS1_36segmented_radix_sort_config_selectorIblEEZNS1_25segmented_radix_sort_implIS3_Lb1EPKbPbPKlPlN2at6native12_GLOBAL__N_18offset_tEEE10hipError_tPvRmT1_PNSt15iterator_traitsISK_E10value_typeET2_T3_PNSL_ISQ_E10value_typeET4_jRbjT5_SW_jjP12ihipStream_tbEUlT_E2_NS1_11comp_targetILNS1_3genE8ELNS1_11target_archE1030ELNS1_3gpuE2ELNS1_3repE0EEENS1_30default_config_static_selectorELNS0_4arch9wavefront6targetE0EEEvSK_.has_recursion, or(0, .L_ZN7rocprim17ROCPRIM_400000_NS6detail26segmented_warp_sort_helperINS1_20WarpSortHelperConfigILj32ELj4ELj256EEEblLi256ELb1EvE4sortIPKbPbPKlPlEEvT_T0_T1_T2_jjjjRNS5_12storage_typeE.has_recursion, .L_ZN7rocprim17ROCPRIM_400000_NS6detail40segmented_radix_sort_single_block_helperIblLj256ELj17ELb1EE4sortIPKbPbPKlPlEEbT_T0_T1_T2_jjjjRNS3_12storage_typeE.has_recursion)
	.set _ZN7rocprim17ROCPRIM_400000_NS6detail17trampoline_kernelINS0_14default_configENS1_36segmented_radix_sort_config_selectorIblEEZNS1_25segmented_radix_sort_implIS3_Lb1EPKbPbPKlPlN2at6native12_GLOBAL__N_18offset_tEEE10hipError_tPvRmT1_PNSt15iterator_traitsISK_E10value_typeET2_T3_PNSL_ISQ_E10value_typeET4_jRbjT5_SW_jjP12ihipStream_tbEUlT_E2_NS1_11comp_targetILNS1_3genE8ELNS1_11target_archE1030ELNS1_3gpuE2ELNS1_3repE0EEENS1_30default_config_static_selectorELNS0_4arch9wavefront6targetE0EEEvSK_.has_indirect_call, or(0, .L_ZN7rocprim17ROCPRIM_400000_NS6detail26segmented_warp_sort_helperINS1_20WarpSortHelperConfigILj32ELj4ELj256EEEblLi256ELb1EvE4sortIPKbPbPKlPlEEvT_T0_T1_T2_jjjjRNS5_12storage_typeE.has_indirect_call, .L_ZN7rocprim17ROCPRIM_400000_NS6detail40segmented_radix_sort_single_block_helperIblLj256ELj17ELb1EE4sortIPKbPbPKlPlEEbT_T0_T1_T2_jjjjRNS3_12storage_typeE.has_indirect_call)
	.section	.AMDGPU.csdata,"",@progbits
; Kernel info:
; codeLenInByte = 57984
; TotalNumSgprs: 70
; NumVgprs: 248
; ScratchSize: 256
; MemoryBound: 0
; FloatMode: 240
; IeeeMode: 1
; LDSByteSize: 35344 bytes/workgroup (compile time only)
; SGPRBlocks: 0
; VGPRBlocks: 30
; NumSGPRsForWavesPerEU: 70
; NumVGPRsForWavesPerEU: 248
; Occupancy: 4
; WaveLimiterHint : 1
; COMPUTE_PGM_RSRC2:SCRATCH_EN: 1
; COMPUTE_PGM_RSRC2:USER_SGPR: 6
; COMPUTE_PGM_RSRC2:TRAP_HANDLER: 0
; COMPUTE_PGM_RSRC2:TGID_X_EN: 1
; COMPUTE_PGM_RSRC2:TGID_Y_EN: 1
; COMPUTE_PGM_RSRC2:TGID_Z_EN: 0
; COMPUTE_PGM_RSRC2:TIDIG_COMP_CNT: 2
	.section	.text._ZN7rocprim17ROCPRIM_400000_NS6detail17trampoline_kernelINS0_13select_configILj256ELj13ELNS0_17block_load_methodE3ELS4_3ELS4_3ELNS0_20block_scan_algorithmE0ELj4294967295EEENS1_25partition_config_selectorILNS1_17partition_subalgoE4EjNS0_10empty_typeEbEEZZNS1_14partition_implILS8_4ELb0ES6_15HIP_vector_typeIjLj2EENS0_17counting_iteratorIjlEEPS9_SG_NS0_5tupleIJPjSI_NS0_16reverse_iteratorISI_EEEEENSH_IJSG_SG_SG_EEES9_SI_JZNS1_25segmented_radix_sort_implINS0_14default_configELb0EPKbPbPKlPlN2at6native12_GLOBAL__N_18offset_tEEE10hipError_tPvRmT1_PNSt15iterator_traitsIS12_E10value_typeET2_T3_PNS13_IS18_E10value_typeET4_jRbjT5_S1E_jjP12ihipStream_tbEUljE_ZNSN_ISO_Lb0ESQ_SR_ST_SU_SY_EESZ_S10_S11_S12_S16_S17_S18_S1B_S1C_jS1D_jS1E_S1E_jjS1G_bEUljE0_EEESZ_S10_S11_S18_S1C_S1E_T6_T7_T9_mT8_S1G_bDpT10_ENKUlT_T0_E_clISt17integral_constantIbLb0EES1U_EEDaS1P_S1Q_EUlS1P_E_NS1_11comp_targetILNS1_3genE0ELNS1_11target_archE4294967295ELNS1_3gpuE0ELNS1_3repE0EEENS1_30default_config_static_selectorELNS0_4arch9wavefront6targetE0EEEvS12_,"axG",@progbits,_ZN7rocprim17ROCPRIM_400000_NS6detail17trampoline_kernelINS0_13select_configILj256ELj13ELNS0_17block_load_methodE3ELS4_3ELS4_3ELNS0_20block_scan_algorithmE0ELj4294967295EEENS1_25partition_config_selectorILNS1_17partition_subalgoE4EjNS0_10empty_typeEbEEZZNS1_14partition_implILS8_4ELb0ES6_15HIP_vector_typeIjLj2EENS0_17counting_iteratorIjlEEPS9_SG_NS0_5tupleIJPjSI_NS0_16reverse_iteratorISI_EEEEENSH_IJSG_SG_SG_EEES9_SI_JZNS1_25segmented_radix_sort_implINS0_14default_configELb0EPKbPbPKlPlN2at6native12_GLOBAL__N_18offset_tEEE10hipError_tPvRmT1_PNSt15iterator_traitsIS12_E10value_typeET2_T3_PNS13_IS18_E10value_typeET4_jRbjT5_S1E_jjP12ihipStream_tbEUljE_ZNSN_ISO_Lb0ESQ_SR_ST_SU_SY_EESZ_S10_S11_S12_S16_S17_S18_S1B_S1C_jS1D_jS1E_S1E_jjS1G_bEUljE0_EEESZ_S10_S11_S18_S1C_S1E_T6_T7_T9_mT8_S1G_bDpT10_ENKUlT_T0_E_clISt17integral_constantIbLb0EES1U_EEDaS1P_S1Q_EUlS1P_E_NS1_11comp_targetILNS1_3genE0ELNS1_11target_archE4294967295ELNS1_3gpuE0ELNS1_3repE0EEENS1_30default_config_static_selectorELNS0_4arch9wavefront6targetE0EEEvS12_,comdat
	.globl	_ZN7rocprim17ROCPRIM_400000_NS6detail17trampoline_kernelINS0_13select_configILj256ELj13ELNS0_17block_load_methodE3ELS4_3ELS4_3ELNS0_20block_scan_algorithmE0ELj4294967295EEENS1_25partition_config_selectorILNS1_17partition_subalgoE4EjNS0_10empty_typeEbEEZZNS1_14partition_implILS8_4ELb0ES6_15HIP_vector_typeIjLj2EENS0_17counting_iteratorIjlEEPS9_SG_NS0_5tupleIJPjSI_NS0_16reverse_iteratorISI_EEEEENSH_IJSG_SG_SG_EEES9_SI_JZNS1_25segmented_radix_sort_implINS0_14default_configELb0EPKbPbPKlPlN2at6native12_GLOBAL__N_18offset_tEEE10hipError_tPvRmT1_PNSt15iterator_traitsIS12_E10value_typeET2_T3_PNS13_IS18_E10value_typeET4_jRbjT5_S1E_jjP12ihipStream_tbEUljE_ZNSN_ISO_Lb0ESQ_SR_ST_SU_SY_EESZ_S10_S11_S12_S16_S17_S18_S1B_S1C_jS1D_jS1E_S1E_jjS1G_bEUljE0_EEESZ_S10_S11_S18_S1C_S1E_T6_T7_T9_mT8_S1G_bDpT10_ENKUlT_T0_E_clISt17integral_constantIbLb0EES1U_EEDaS1P_S1Q_EUlS1P_E_NS1_11comp_targetILNS1_3genE0ELNS1_11target_archE4294967295ELNS1_3gpuE0ELNS1_3repE0EEENS1_30default_config_static_selectorELNS0_4arch9wavefront6targetE0EEEvS12_ ; -- Begin function _ZN7rocprim17ROCPRIM_400000_NS6detail17trampoline_kernelINS0_13select_configILj256ELj13ELNS0_17block_load_methodE3ELS4_3ELS4_3ELNS0_20block_scan_algorithmE0ELj4294967295EEENS1_25partition_config_selectorILNS1_17partition_subalgoE4EjNS0_10empty_typeEbEEZZNS1_14partition_implILS8_4ELb0ES6_15HIP_vector_typeIjLj2EENS0_17counting_iteratorIjlEEPS9_SG_NS0_5tupleIJPjSI_NS0_16reverse_iteratorISI_EEEEENSH_IJSG_SG_SG_EEES9_SI_JZNS1_25segmented_radix_sort_implINS0_14default_configELb0EPKbPbPKlPlN2at6native12_GLOBAL__N_18offset_tEEE10hipError_tPvRmT1_PNSt15iterator_traitsIS12_E10value_typeET2_T3_PNS13_IS18_E10value_typeET4_jRbjT5_S1E_jjP12ihipStream_tbEUljE_ZNSN_ISO_Lb0ESQ_SR_ST_SU_SY_EESZ_S10_S11_S12_S16_S17_S18_S1B_S1C_jS1D_jS1E_S1E_jjS1G_bEUljE0_EEESZ_S10_S11_S18_S1C_S1E_T6_T7_T9_mT8_S1G_bDpT10_ENKUlT_T0_E_clISt17integral_constantIbLb0EES1U_EEDaS1P_S1Q_EUlS1P_E_NS1_11comp_targetILNS1_3genE0ELNS1_11target_archE4294967295ELNS1_3gpuE0ELNS1_3repE0EEENS1_30default_config_static_selectorELNS0_4arch9wavefront6targetE0EEEvS12_
	.p2align	8
	.type	_ZN7rocprim17ROCPRIM_400000_NS6detail17trampoline_kernelINS0_13select_configILj256ELj13ELNS0_17block_load_methodE3ELS4_3ELS4_3ELNS0_20block_scan_algorithmE0ELj4294967295EEENS1_25partition_config_selectorILNS1_17partition_subalgoE4EjNS0_10empty_typeEbEEZZNS1_14partition_implILS8_4ELb0ES6_15HIP_vector_typeIjLj2EENS0_17counting_iteratorIjlEEPS9_SG_NS0_5tupleIJPjSI_NS0_16reverse_iteratorISI_EEEEENSH_IJSG_SG_SG_EEES9_SI_JZNS1_25segmented_radix_sort_implINS0_14default_configELb0EPKbPbPKlPlN2at6native12_GLOBAL__N_18offset_tEEE10hipError_tPvRmT1_PNSt15iterator_traitsIS12_E10value_typeET2_T3_PNS13_IS18_E10value_typeET4_jRbjT5_S1E_jjP12ihipStream_tbEUljE_ZNSN_ISO_Lb0ESQ_SR_ST_SU_SY_EESZ_S10_S11_S12_S16_S17_S18_S1B_S1C_jS1D_jS1E_S1E_jjS1G_bEUljE0_EEESZ_S10_S11_S18_S1C_S1E_T6_T7_T9_mT8_S1G_bDpT10_ENKUlT_T0_E_clISt17integral_constantIbLb0EES1U_EEDaS1P_S1Q_EUlS1P_E_NS1_11comp_targetILNS1_3genE0ELNS1_11target_archE4294967295ELNS1_3gpuE0ELNS1_3repE0EEENS1_30default_config_static_selectorELNS0_4arch9wavefront6targetE0EEEvS12_,@function
_ZN7rocprim17ROCPRIM_400000_NS6detail17trampoline_kernelINS0_13select_configILj256ELj13ELNS0_17block_load_methodE3ELS4_3ELS4_3ELNS0_20block_scan_algorithmE0ELj4294967295EEENS1_25partition_config_selectorILNS1_17partition_subalgoE4EjNS0_10empty_typeEbEEZZNS1_14partition_implILS8_4ELb0ES6_15HIP_vector_typeIjLj2EENS0_17counting_iteratorIjlEEPS9_SG_NS0_5tupleIJPjSI_NS0_16reverse_iteratorISI_EEEEENSH_IJSG_SG_SG_EEES9_SI_JZNS1_25segmented_radix_sort_implINS0_14default_configELb0EPKbPbPKlPlN2at6native12_GLOBAL__N_18offset_tEEE10hipError_tPvRmT1_PNSt15iterator_traitsIS12_E10value_typeET2_T3_PNS13_IS18_E10value_typeET4_jRbjT5_S1E_jjP12ihipStream_tbEUljE_ZNSN_ISO_Lb0ESQ_SR_ST_SU_SY_EESZ_S10_S11_S12_S16_S17_S18_S1B_S1C_jS1D_jS1E_S1E_jjS1G_bEUljE0_EEESZ_S10_S11_S18_S1C_S1E_T6_T7_T9_mT8_S1G_bDpT10_ENKUlT_T0_E_clISt17integral_constantIbLb0EES1U_EEDaS1P_S1Q_EUlS1P_E_NS1_11comp_targetILNS1_3genE0ELNS1_11target_archE4294967295ELNS1_3gpuE0ELNS1_3repE0EEENS1_30default_config_static_selectorELNS0_4arch9wavefront6targetE0EEEvS12_: ; @_ZN7rocprim17ROCPRIM_400000_NS6detail17trampoline_kernelINS0_13select_configILj256ELj13ELNS0_17block_load_methodE3ELS4_3ELS4_3ELNS0_20block_scan_algorithmE0ELj4294967295EEENS1_25partition_config_selectorILNS1_17partition_subalgoE4EjNS0_10empty_typeEbEEZZNS1_14partition_implILS8_4ELb0ES6_15HIP_vector_typeIjLj2EENS0_17counting_iteratorIjlEEPS9_SG_NS0_5tupleIJPjSI_NS0_16reverse_iteratorISI_EEEEENSH_IJSG_SG_SG_EEES9_SI_JZNS1_25segmented_radix_sort_implINS0_14default_configELb0EPKbPbPKlPlN2at6native12_GLOBAL__N_18offset_tEEE10hipError_tPvRmT1_PNSt15iterator_traitsIS12_E10value_typeET2_T3_PNS13_IS18_E10value_typeET4_jRbjT5_S1E_jjP12ihipStream_tbEUljE_ZNSN_ISO_Lb0ESQ_SR_ST_SU_SY_EESZ_S10_S11_S12_S16_S17_S18_S1B_S1C_jS1D_jS1E_S1E_jjS1G_bEUljE0_EEESZ_S10_S11_S18_S1C_S1E_T6_T7_T9_mT8_S1G_bDpT10_ENKUlT_T0_E_clISt17integral_constantIbLb0EES1U_EEDaS1P_S1Q_EUlS1P_E_NS1_11comp_targetILNS1_3genE0ELNS1_11target_archE4294967295ELNS1_3gpuE0ELNS1_3repE0EEENS1_30default_config_static_selectorELNS0_4arch9wavefront6targetE0EEEvS12_
; %bb.0:
	.section	.rodata,"a",@progbits
	.p2align	6, 0x0
	.amdhsa_kernel _ZN7rocprim17ROCPRIM_400000_NS6detail17trampoline_kernelINS0_13select_configILj256ELj13ELNS0_17block_load_methodE3ELS4_3ELS4_3ELNS0_20block_scan_algorithmE0ELj4294967295EEENS1_25partition_config_selectorILNS1_17partition_subalgoE4EjNS0_10empty_typeEbEEZZNS1_14partition_implILS8_4ELb0ES6_15HIP_vector_typeIjLj2EENS0_17counting_iteratorIjlEEPS9_SG_NS0_5tupleIJPjSI_NS0_16reverse_iteratorISI_EEEEENSH_IJSG_SG_SG_EEES9_SI_JZNS1_25segmented_radix_sort_implINS0_14default_configELb0EPKbPbPKlPlN2at6native12_GLOBAL__N_18offset_tEEE10hipError_tPvRmT1_PNSt15iterator_traitsIS12_E10value_typeET2_T3_PNS13_IS18_E10value_typeET4_jRbjT5_S1E_jjP12ihipStream_tbEUljE_ZNSN_ISO_Lb0ESQ_SR_ST_SU_SY_EESZ_S10_S11_S12_S16_S17_S18_S1B_S1C_jS1D_jS1E_S1E_jjS1G_bEUljE0_EEESZ_S10_S11_S18_S1C_S1E_T6_T7_T9_mT8_S1G_bDpT10_ENKUlT_T0_E_clISt17integral_constantIbLb0EES1U_EEDaS1P_S1Q_EUlS1P_E_NS1_11comp_targetILNS1_3genE0ELNS1_11target_archE4294967295ELNS1_3gpuE0ELNS1_3repE0EEENS1_30default_config_static_selectorELNS0_4arch9wavefront6targetE0EEEvS12_
		.amdhsa_group_segment_fixed_size 0
		.amdhsa_private_segment_fixed_size 0
		.amdhsa_kernarg_size 176
		.amdhsa_user_sgpr_count 6
		.amdhsa_user_sgpr_private_segment_buffer 1
		.amdhsa_user_sgpr_dispatch_ptr 0
		.amdhsa_user_sgpr_queue_ptr 0
		.amdhsa_user_sgpr_kernarg_segment_ptr 1
		.amdhsa_user_sgpr_dispatch_id 0
		.amdhsa_user_sgpr_flat_scratch_init 0
		.amdhsa_user_sgpr_private_segment_size 0
		.amdhsa_wavefront_size32 1
		.amdhsa_uses_dynamic_stack 0
		.amdhsa_system_sgpr_private_segment_wavefront_offset 0
		.amdhsa_system_sgpr_workgroup_id_x 1
		.amdhsa_system_sgpr_workgroup_id_y 0
		.amdhsa_system_sgpr_workgroup_id_z 0
		.amdhsa_system_sgpr_workgroup_info 0
		.amdhsa_system_vgpr_workitem_id 0
		.amdhsa_next_free_vgpr 1
		.amdhsa_next_free_sgpr 1
		.amdhsa_reserve_vcc 0
		.amdhsa_reserve_flat_scratch 0
		.amdhsa_float_round_mode_32 0
		.amdhsa_float_round_mode_16_64 0
		.amdhsa_float_denorm_mode_32 3
		.amdhsa_float_denorm_mode_16_64 3
		.amdhsa_dx10_clamp 1
		.amdhsa_ieee_mode 1
		.amdhsa_fp16_overflow 0
		.amdhsa_workgroup_processor_mode 1
		.amdhsa_memory_ordered 1
		.amdhsa_forward_progress 1
		.amdhsa_shared_vgpr_count 0
		.amdhsa_exception_fp_ieee_invalid_op 0
		.amdhsa_exception_fp_denorm_src 0
		.amdhsa_exception_fp_ieee_div_zero 0
		.amdhsa_exception_fp_ieee_overflow 0
		.amdhsa_exception_fp_ieee_underflow 0
		.amdhsa_exception_fp_ieee_inexact 0
		.amdhsa_exception_int_div_zero 0
	.end_amdhsa_kernel
	.section	.text._ZN7rocprim17ROCPRIM_400000_NS6detail17trampoline_kernelINS0_13select_configILj256ELj13ELNS0_17block_load_methodE3ELS4_3ELS4_3ELNS0_20block_scan_algorithmE0ELj4294967295EEENS1_25partition_config_selectorILNS1_17partition_subalgoE4EjNS0_10empty_typeEbEEZZNS1_14partition_implILS8_4ELb0ES6_15HIP_vector_typeIjLj2EENS0_17counting_iteratorIjlEEPS9_SG_NS0_5tupleIJPjSI_NS0_16reverse_iteratorISI_EEEEENSH_IJSG_SG_SG_EEES9_SI_JZNS1_25segmented_radix_sort_implINS0_14default_configELb0EPKbPbPKlPlN2at6native12_GLOBAL__N_18offset_tEEE10hipError_tPvRmT1_PNSt15iterator_traitsIS12_E10value_typeET2_T3_PNS13_IS18_E10value_typeET4_jRbjT5_S1E_jjP12ihipStream_tbEUljE_ZNSN_ISO_Lb0ESQ_SR_ST_SU_SY_EESZ_S10_S11_S12_S16_S17_S18_S1B_S1C_jS1D_jS1E_S1E_jjS1G_bEUljE0_EEESZ_S10_S11_S18_S1C_S1E_T6_T7_T9_mT8_S1G_bDpT10_ENKUlT_T0_E_clISt17integral_constantIbLb0EES1U_EEDaS1P_S1Q_EUlS1P_E_NS1_11comp_targetILNS1_3genE0ELNS1_11target_archE4294967295ELNS1_3gpuE0ELNS1_3repE0EEENS1_30default_config_static_selectorELNS0_4arch9wavefront6targetE0EEEvS12_,"axG",@progbits,_ZN7rocprim17ROCPRIM_400000_NS6detail17trampoline_kernelINS0_13select_configILj256ELj13ELNS0_17block_load_methodE3ELS4_3ELS4_3ELNS0_20block_scan_algorithmE0ELj4294967295EEENS1_25partition_config_selectorILNS1_17partition_subalgoE4EjNS0_10empty_typeEbEEZZNS1_14partition_implILS8_4ELb0ES6_15HIP_vector_typeIjLj2EENS0_17counting_iteratorIjlEEPS9_SG_NS0_5tupleIJPjSI_NS0_16reverse_iteratorISI_EEEEENSH_IJSG_SG_SG_EEES9_SI_JZNS1_25segmented_radix_sort_implINS0_14default_configELb0EPKbPbPKlPlN2at6native12_GLOBAL__N_18offset_tEEE10hipError_tPvRmT1_PNSt15iterator_traitsIS12_E10value_typeET2_T3_PNS13_IS18_E10value_typeET4_jRbjT5_S1E_jjP12ihipStream_tbEUljE_ZNSN_ISO_Lb0ESQ_SR_ST_SU_SY_EESZ_S10_S11_S12_S16_S17_S18_S1B_S1C_jS1D_jS1E_S1E_jjS1G_bEUljE0_EEESZ_S10_S11_S18_S1C_S1E_T6_T7_T9_mT8_S1G_bDpT10_ENKUlT_T0_E_clISt17integral_constantIbLb0EES1U_EEDaS1P_S1Q_EUlS1P_E_NS1_11comp_targetILNS1_3genE0ELNS1_11target_archE4294967295ELNS1_3gpuE0ELNS1_3repE0EEENS1_30default_config_static_selectorELNS0_4arch9wavefront6targetE0EEEvS12_,comdat
.Lfunc_end1562:
	.size	_ZN7rocprim17ROCPRIM_400000_NS6detail17trampoline_kernelINS0_13select_configILj256ELj13ELNS0_17block_load_methodE3ELS4_3ELS4_3ELNS0_20block_scan_algorithmE0ELj4294967295EEENS1_25partition_config_selectorILNS1_17partition_subalgoE4EjNS0_10empty_typeEbEEZZNS1_14partition_implILS8_4ELb0ES6_15HIP_vector_typeIjLj2EENS0_17counting_iteratorIjlEEPS9_SG_NS0_5tupleIJPjSI_NS0_16reverse_iteratorISI_EEEEENSH_IJSG_SG_SG_EEES9_SI_JZNS1_25segmented_radix_sort_implINS0_14default_configELb0EPKbPbPKlPlN2at6native12_GLOBAL__N_18offset_tEEE10hipError_tPvRmT1_PNSt15iterator_traitsIS12_E10value_typeET2_T3_PNS13_IS18_E10value_typeET4_jRbjT5_S1E_jjP12ihipStream_tbEUljE_ZNSN_ISO_Lb0ESQ_SR_ST_SU_SY_EESZ_S10_S11_S12_S16_S17_S18_S1B_S1C_jS1D_jS1E_S1E_jjS1G_bEUljE0_EEESZ_S10_S11_S18_S1C_S1E_T6_T7_T9_mT8_S1G_bDpT10_ENKUlT_T0_E_clISt17integral_constantIbLb0EES1U_EEDaS1P_S1Q_EUlS1P_E_NS1_11comp_targetILNS1_3genE0ELNS1_11target_archE4294967295ELNS1_3gpuE0ELNS1_3repE0EEENS1_30default_config_static_selectorELNS0_4arch9wavefront6targetE0EEEvS12_, .Lfunc_end1562-_ZN7rocprim17ROCPRIM_400000_NS6detail17trampoline_kernelINS0_13select_configILj256ELj13ELNS0_17block_load_methodE3ELS4_3ELS4_3ELNS0_20block_scan_algorithmE0ELj4294967295EEENS1_25partition_config_selectorILNS1_17partition_subalgoE4EjNS0_10empty_typeEbEEZZNS1_14partition_implILS8_4ELb0ES6_15HIP_vector_typeIjLj2EENS0_17counting_iteratorIjlEEPS9_SG_NS0_5tupleIJPjSI_NS0_16reverse_iteratorISI_EEEEENSH_IJSG_SG_SG_EEES9_SI_JZNS1_25segmented_radix_sort_implINS0_14default_configELb0EPKbPbPKlPlN2at6native12_GLOBAL__N_18offset_tEEE10hipError_tPvRmT1_PNSt15iterator_traitsIS12_E10value_typeET2_T3_PNS13_IS18_E10value_typeET4_jRbjT5_S1E_jjP12ihipStream_tbEUljE_ZNSN_ISO_Lb0ESQ_SR_ST_SU_SY_EESZ_S10_S11_S12_S16_S17_S18_S1B_S1C_jS1D_jS1E_S1E_jjS1G_bEUljE0_EEESZ_S10_S11_S18_S1C_S1E_T6_T7_T9_mT8_S1G_bDpT10_ENKUlT_T0_E_clISt17integral_constantIbLb0EES1U_EEDaS1P_S1Q_EUlS1P_E_NS1_11comp_targetILNS1_3genE0ELNS1_11target_archE4294967295ELNS1_3gpuE0ELNS1_3repE0EEENS1_30default_config_static_selectorELNS0_4arch9wavefront6targetE0EEEvS12_
                                        ; -- End function
	.set _ZN7rocprim17ROCPRIM_400000_NS6detail17trampoline_kernelINS0_13select_configILj256ELj13ELNS0_17block_load_methodE3ELS4_3ELS4_3ELNS0_20block_scan_algorithmE0ELj4294967295EEENS1_25partition_config_selectorILNS1_17partition_subalgoE4EjNS0_10empty_typeEbEEZZNS1_14partition_implILS8_4ELb0ES6_15HIP_vector_typeIjLj2EENS0_17counting_iteratorIjlEEPS9_SG_NS0_5tupleIJPjSI_NS0_16reverse_iteratorISI_EEEEENSH_IJSG_SG_SG_EEES9_SI_JZNS1_25segmented_radix_sort_implINS0_14default_configELb0EPKbPbPKlPlN2at6native12_GLOBAL__N_18offset_tEEE10hipError_tPvRmT1_PNSt15iterator_traitsIS12_E10value_typeET2_T3_PNS13_IS18_E10value_typeET4_jRbjT5_S1E_jjP12ihipStream_tbEUljE_ZNSN_ISO_Lb0ESQ_SR_ST_SU_SY_EESZ_S10_S11_S12_S16_S17_S18_S1B_S1C_jS1D_jS1E_S1E_jjS1G_bEUljE0_EEESZ_S10_S11_S18_S1C_S1E_T6_T7_T9_mT8_S1G_bDpT10_ENKUlT_T0_E_clISt17integral_constantIbLb0EES1U_EEDaS1P_S1Q_EUlS1P_E_NS1_11comp_targetILNS1_3genE0ELNS1_11target_archE4294967295ELNS1_3gpuE0ELNS1_3repE0EEENS1_30default_config_static_selectorELNS0_4arch9wavefront6targetE0EEEvS12_.num_vgpr, 0
	.set _ZN7rocprim17ROCPRIM_400000_NS6detail17trampoline_kernelINS0_13select_configILj256ELj13ELNS0_17block_load_methodE3ELS4_3ELS4_3ELNS0_20block_scan_algorithmE0ELj4294967295EEENS1_25partition_config_selectorILNS1_17partition_subalgoE4EjNS0_10empty_typeEbEEZZNS1_14partition_implILS8_4ELb0ES6_15HIP_vector_typeIjLj2EENS0_17counting_iteratorIjlEEPS9_SG_NS0_5tupleIJPjSI_NS0_16reverse_iteratorISI_EEEEENSH_IJSG_SG_SG_EEES9_SI_JZNS1_25segmented_radix_sort_implINS0_14default_configELb0EPKbPbPKlPlN2at6native12_GLOBAL__N_18offset_tEEE10hipError_tPvRmT1_PNSt15iterator_traitsIS12_E10value_typeET2_T3_PNS13_IS18_E10value_typeET4_jRbjT5_S1E_jjP12ihipStream_tbEUljE_ZNSN_ISO_Lb0ESQ_SR_ST_SU_SY_EESZ_S10_S11_S12_S16_S17_S18_S1B_S1C_jS1D_jS1E_S1E_jjS1G_bEUljE0_EEESZ_S10_S11_S18_S1C_S1E_T6_T7_T9_mT8_S1G_bDpT10_ENKUlT_T0_E_clISt17integral_constantIbLb0EES1U_EEDaS1P_S1Q_EUlS1P_E_NS1_11comp_targetILNS1_3genE0ELNS1_11target_archE4294967295ELNS1_3gpuE0ELNS1_3repE0EEENS1_30default_config_static_selectorELNS0_4arch9wavefront6targetE0EEEvS12_.num_agpr, 0
	.set _ZN7rocprim17ROCPRIM_400000_NS6detail17trampoline_kernelINS0_13select_configILj256ELj13ELNS0_17block_load_methodE3ELS4_3ELS4_3ELNS0_20block_scan_algorithmE0ELj4294967295EEENS1_25partition_config_selectorILNS1_17partition_subalgoE4EjNS0_10empty_typeEbEEZZNS1_14partition_implILS8_4ELb0ES6_15HIP_vector_typeIjLj2EENS0_17counting_iteratorIjlEEPS9_SG_NS0_5tupleIJPjSI_NS0_16reverse_iteratorISI_EEEEENSH_IJSG_SG_SG_EEES9_SI_JZNS1_25segmented_radix_sort_implINS0_14default_configELb0EPKbPbPKlPlN2at6native12_GLOBAL__N_18offset_tEEE10hipError_tPvRmT1_PNSt15iterator_traitsIS12_E10value_typeET2_T3_PNS13_IS18_E10value_typeET4_jRbjT5_S1E_jjP12ihipStream_tbEUljE_ZNSN_ISO_Lb0ESQ_SR_ST_SU_SY_EESZ_S10_S11_S12_S16_S17_S18_S1B_S1C_jS1D_jS1E_S1E_jjS1G_bEUljE0_EEESZ_S10_S11_S18_S1C_S1E_T6_T7_T9_mT8_S1G_bDpT10_ENKUlT_T0_E_clISt17integral_constantIbLb0EES1U_EEDaS1P_S1Q_EUlS1P_E_NS1_11comp_targetILNS1_3genE0ELNS1_11target_archE4294967295ELNS1_3gpuE0ELNS1_3repE0EEENS1_30default_config_static_selectorELNS0_4arch9wavefront6targetE0EEEvS12_.numbered_sgpr, 0
	.set _ZN7rocprim17ROCPRIM_400000_NS6detail17trampoline_kernelINS0_13select_configILj256ELj13ELNS0_17block_load_methodE3ELS4_3ELS4_3ELNS0_20block_scan_algorithmE0ELj4294967295EEENS1_25partition_config_selectorILNS1_17partition_subalgoE4EjNS0_10empty_typeEbEEZZNS1_14partition_implILS8_4ELb0ES6_15HIP_vector_typeIjLj2EENS0_17counting_iteratorIjlEEPS9_SG_NS0_5tupleIJPjSI_NS0_16reverse_iteratorISI_EEEEENSH_IJSG_SG_SG_EEES9_SI_JZNS1_25segmented_radix_sort_implINS0_14default_configELb0EPKbPbPKlPlN2at6native12_GLOBAL__N_18offset_tEEE10hipError_tPvRmT1_PNSt15iterator_traitsIS12_E10value_typeET2_T3_PNS13_IS18_E10value_typeET4_jRbjT5_S1E_jjP12ihipStream_tbEUljE_ZNSN_ISO_Lb0ESQ_SR_ST_SU_SY_EESZ_S10_S11_S12_S16_S17_S18_S1B_S1C_jS1D_jS1E_S1E_jjS1G_bEUljE0_EEESZ_S10_S11_S18_S1C_S1E_T6_T7_T9_mT8_S1G_bDpT10_ENKUlT_T0_E_clISt17integral_constantIbLb0EES1U_EEDaS1P_S1Q_EUlS1P_E_NS1_11comp_targetILNS1_3genE0ELNS1_11target_archE4294967295ELNS1_3gpuE0ELNS1_3repE0EEENS1_30default_config_static_selectorELNS0_4arch9wavefront6targetE0EEEvS12_.num_named_barrier, 0
	.set _ZN7rocprim17ROCPRIM_400000_NS6detail17trampoline_kernelINS0_13select_configILj256ELj13ELNS0_17block_load_methodE3ELS4_3ELS4_3ELNS0_20block_scan_algorithmE0ELj4294967295EEENS1_25partition_config_selectorILNS1_17partition_subalgoE4EjNS0_10empty_typeEbEEZZNS1_14partition_implILS8_4ELb0ES6_15HIP_vector_typeIjLj2EENS0_17counting_iteratorIjlEEPS9_SG_NS0_5tupleIJPjSI_NS0_16reverse_iteratorISI_EEEEENSH_IJSG_SG_SG_EEES9_SI_JZNS1_25segmented_radix_sort_implINS0_14default_configELb0EPKbPbPKlPlN2at6native12_GLOBAL__N_18offset_tEEE10hipError_tPvRmT1_PNSt15iterator_traitsIS12_E10value_typeET2_T3_PNS13_IS18_E10value_typeET4_jRbjT5_S1E_jjP12ihipStream_tbEUljE_ZNSN_ISO_Lb0ESQ_SR_ST_SU_SY_EESZ_S10_S11_S12_S16_S17_S18_S1B_S1C_jS1D_jS1E_S1E_jjS1G_bEUljE0_EEESZ_S10_S11_S18_S1C_S1E_T6_T7_T9_mT8_S1G_bDpT10_ENKUlT_T0_E_clISt17integral_constantIbLb0EES1U_EEDaS1P_S1Q_EUlS1P_E_NS1_11comp_targetILNS1_3genE0ELNS1_11target_archE4294967295ELNS1_3gpuE0ELNS1_3repE0EEENS1_30default_config_static_selectorELNS0_4arch9wavefront6targetE0EEEvS12_.private_seg_size, 0
	.set _ZN7rocprim17ROCPRIM_400000_NS6detail17trampoline_kernelINS0_13select_configILj256ELj13ELNS0_17block_load_methodE3ELS4_3ELS4_3ELNS0_20block_scan_algorithmE0ELj4294967295EEENS1_25partition_config_selectorILNS1_17partition_subalgoE4EjNS0_10empty_typeEbEEZZNS1_14partition_implILS8_4ELb0ES6_15HIP_vector_typeIjLj2EENS0_17counting_iteratorIjlEEPS9_SG_NS0_5tupleIJPjSI_NS0_16reverse_iteratorISI_EEEEENSH_IJSG_SG_SG_EEES9_SI_JZNS1_25segmented_radix_sort_implINS0_14default_configELb0EPKbPbPKlPlN2at6native12_GLOBAL__N_18offset_tEEE10hipError_tPvRmT1_PNSt15iterator_traitsIS12_E10value_typeET2_T3_PNS13_IS18_E10value_typeET4_jRbjT5_S1E_jjP12ihipStream_tbEUljE_ZNSN_ISO_Lb0ESQ_SR_ST_SU_SY_EESZ_S10_S11_S12_S16_S17_S18_S1B_S1C_jS1D_jS1E_S1E_jjS1G_bEUljE0_EEESZ_S10_S11_S18_S1C_S1E_T6_T7_T9_mT8_S1G_bDpT10_ENKUlT_T0_E_clISt17integral_constantIbLb0EES1U_EEDaS1P_S1Q_EUlS1P_E_NS1_11comp_targetILNS1_3genE0ELNS1_11target_archE4294967295ELNS1_3gpuE0ELNS1_3repE0EEENS1_30default_config_static_selectorELNS0_4arch9wavefront6targetE0EEEvS12_.uses_vcc, 0
	.set _ZN7rocprim17ROCPRIM_400000_NS6detail17trampoline_kernelINS0_13select_configILj256ELj13ELNS0_17block_load_methodE3ELS4_3ELS4_3ELNS0_20block_scan_algorithmE0ELj4294967295EEENS1_25partition_config_selectorILNS1_17partition_subalgoE4EjNS0_10empty_typeEbEEZZNS1_14partition_implILS8_4ELb0ES6_15HIP_vector_typeIjLj2EENS0_17counting_iteratorIjlEEPS9_SG_NS0_5tupleIJPjSI_NS0_16reverse_iteratorISI_EEEEENSH_IJSG_SG_SG_EEES9_SI_JZNS1_25segmented_radix_sort_implINS0_14default_configELb0EPKbPbPKlPlN2at6native12_GLOBAL__N_18offset_tEEE10hipError_tPvRmT1_PNSt15iterator_traitsIS12_E10value_typeET2_T3_PNS13_IS18_E10value_typeET4_jRbjT5_S1E_jjP12ihipStream_tbEUljE_ZNSN_ISO_Lb0ESQ_SR_ST_SU_SY_EESZ_S10_S11_S12_S16_S17_S18_S1B_S1C_jS1D_jS1E_S1E_jjS1G_bEUljE0_EEESZ_S10_S11_S18_S1C_S1E_T6_T7_T9_mT8_S1G_bDpT10_ENKUlT_T0_E_clISt17integral_constantIbLb0EES1U_EEDaS1P_S1Q_EUlS1P_E_NS1_11comp_targetILNS1_3genE0ELNS1_11target_archE4294967295ELNS1_3gpuE0ELNS1_3repE0EEENS1_30default_config_static_selectorELNS0_4arch9wavefront6targetE0EEEvS12_.uses_flat_scratch, 0
	.set _ZN7rocprim17ROCPRIM_400000_NS6detail17trampoline_kernelINS0_13select_configILj256ELj13ELNS0_17block_load_methodE3ELS4_3ELS4_3ELNS0_20block_scan_algorithmE0ELj4294967295EEENS1_25partition_config_selectorILNS1_17partition_subalgoE4EjNS0_10empty_typeEbEEZZNS1_14partition_implILS8_4ELb0ES6_15HIP_vector_typeIjLj2EENS0_17counting_iteratorIjlEEPS9_SG_NS0_5tupleIJPjSI_NS0_16reverse_iteratorISI_EEEEENSH_IJSG_SG_SG_EEES9_SI_JZNS1_25segmented_radix_sort_implINS0_14default_configELb0EPKbPbPKlPlN2at6native12_GLOBAL__N_18offset_tEEE10hipError_tPvRmT1_PNSt15iterator_traitsIS12_E10value_typeET2_T3_PNS13_IS18_E10value_typeET4_jRbjT5_S1E_jjP12ihipStream_tbEUljE_ZNSN_ISO_Lb0ESQ_SR_ST_SU_SY_EESZ_S10_S11_S12_S16_S17_S18_S1B_S1C_jS1D_jS1E_S1E_jjS1G_bEUljE0_EEESZ_S10_S11_S18_S1C_S1E_T6_T7_T9_mT8_S1G_bDpT10_ENKUlT_T0_E_clISt17integral_constantIbLb0EES1U_EEDaS1P_S1Q_EUlS1P_E_NS1_11comp_targetILNS1_3genE0ELNS1_11target_archE4294967295ELNS1_3gpuE0ELNS1_3repE0EEENS1_30default_config_static_selectorELNS0_4arch9wavefront6targetE0EEEvS12_.has_dyn_sized_stack, 0
	.set _ZN7rocprim17ROCPRIM_400000_NS6detail17trampoline_kernelINS0_13select_configILj256ELj13ELNS0_17block_load_methodE3ELS4_3ELS4_3ELNS0_20block_scan_algorithmE0ELj4294967295EEENS1_25partition_config_selectorILNS1_17partition_subalgoE4EjNS0_10empty_typeEbEEZZNS1_14partition_implILS8_4ELb0ES6_15HIP_vector_typeIjLj2EENS0_17counting_iteratorIjlEEPS9_SG_NS0_5tupleIJPjSI_NS0_16reverse_iteratorISI_EEEEENSH_IJSG_SG_SG_EEES9_SI_JZNS1_25segmented_radix_sort_implINS0_14default_configELb0EPKbPbPKlPlN2at6native12_GLOBAL__N_18offset_tEEE10hipError_tPvRmT1_PNSt15iterator_traitsIS12_E10value_typeET2_T3_PNS13_IS18_E10value_typeET4_jRbjT5_S1E_jjP12ihipStream_tbEUljE_ZNSN_ISO_Lb0ESQ_SR_ST_SU_SY_EESZ_S10_S11_S12_S16_S17_S18_S1B_S1C_jS1D_jS1E_S1E_jjS1G_bEUljE0_EEESZ_S10_S11_S18_S1C_S1E_T6_T7_T9_mT8_S1G_bDpT10_ENKUlT_T0_E_clISt17integral_constantIbLb0EES1U_EEDaS1P_S1Q_EUlS1P_E_NS1_11comp_targetILNS1_3genE0ELNS1_11target_archE4294967295ELNS1_3gpuE0ELNS1_3repE0EEENS1_30default_config_static_selectorELNS0_4arch9wavefront6targetE0EEEvS12_.has_recursion, 0
	.set _ZN7rocprim17ROCPRIM_400000_NS6detail17trampoline_kernelINS0_13select_configILj256ELj13ELNS0_17block_load_methodE3ELS4_3ELS4_3ELNS0_20block_scan_algorithmE0ELj4294967295EEENS1_25partition_config_selectorILNS1_17partition_subalgoE4EjNS0_10empty_typeEbEEZZNS1_14partition_implILS8_4ELb0ES6_15HIP_vector_typeIjLj2EENS0_17counting_iteratorIjlEEPS9_SG_NS0_5tupleIJPjSI_NS0_16reverse_iteratorISI_EEEEENSH_IJSG_SG_SG_EEES9_SI_JZNS1_25segmented_radix_sort_implINS0_14default_configELb0EPKbPbPKlPlN2at6native12_GLOBAL__N_18offset_tEEE10hipError_tPvRmT1_PNSt15iterator_traitsIS12_E10value_typeET2_T3_PNS13_IS18_E10value_typeET4_jRbjT5_S1E_jjP12ihipStream_tbEUljE_ZNSN_ISO_Lb0ESQ_SR_ST_SU_SY_EESZ_S10_S11_S12_S16_S17_S18_S1B_S1C_jS1D_jS1E_S1E_jjS1G_bEUljE0_EEESZ_S10_S11_S18_S1C_S1E_T6_T7_T9_mT8_S1G_bDpT10_ENKUlT_T0_E_clISt17integral_constantIbLb0EES1U_EEDaS1P_S1Q_EUlS1P_E_NS1_11comp_targetILNS1_3genE0ELNS1_11target_archE4294967295ELNS1_3gpuE0ELNS1_3repE0EEENS1_30default_config_static_selectorELNS0_4arch9wavefront6targetE0EEEvS12_.has_indirect_call, 0
	.section	.AMDGPU.csdata,"",@progbits
; Kernel info:
; codeLenInByte = 0
; TotalNumSgprs: 0
; NumVgprs: 0
; ScratchSize: 0
; MemoryBound: 0
; FloatMode: 240
; IeeeMode: 1
; LDSByteSize: 0 bytes/workgroup (compile time only)
; SGPRBlocks: 0
; VGPRBlocks: 0
; NumSGPRsForWavesPerEU: 1
; NumVGPRsForWavesPerEU: 1
; Occupancy: 16
; WaveLimiterHint : 0
; COMPUTE_PGM_RSRC2:SCRATCH_EN: 0
; COMPUTE_PGM_RSRC2:USER_SGPR: 6
; COMPUTE_PGM_RSRC2:TRAP_HANDLER: 0
; COMPUTE_PGM_RSRC2:TGID_X_EN: 1
; COMPUTE_PGM_RSRC2:TGID_Y_EN: 0
; COMPUTE_PGM_RSRC2:TGID_Z_EN: 0
; COMPUTE_PGM_RSRC2:TIDIG_COMP_CNT: 0
	.section	.text._ZN7rocprim17ROCPRIM_400000_NS6detail17trampoline_kernelINS0_13select_configILj256ELj13ELNS0_17block_load_methodE3ELS4_3ELS4_3ELNS0_20block_scan_algorithmE0ELj4294967295EEENS1_25partition_config_selectorILNS1_17partition_subalgoE4EjNS0_10empty_typeEbEEZZNS1_14partition_implILS8_4ELb0ES6_15HIP_vector_typeIjLj2EENS0_17counting_iteratorIjlEEPS9_SG_NS0_5tupleIJPjSI_NS0_16reverse_iteratorISI_EEEEENSH_IJSG_SG_SG_EEES9_SI_JZNS1_25segmented_radix_sort_implINS0_14default_configELb0EPKbPbPKlPlN2at6native12_GLOBAL__N_18offset_tEEE10hipError_tPvRmT1_PNSt15iterator_traitsIS12_E10value_typeET2_T3_PNS13_IS18_E10value_typeET4_jRbjT5_S1E_jjP12ihipStream_tbEUljE_ZNSN_ISO_Lb0ESQ_SR_ST_SU_SY_EESZ_S10_S11_S12_S16_S17_S18_S1B_S1C_jS1D_jS1E_S1E_jjS1G_bEUljE0_EEESZ_S10_S11_S18_S1C_S1E_T6_T7_T9_mT8_S1G_bDpT10_ENKUlT_T0_E_clISt17integral_constantIbLb0EES1U_EEDaS1P_S1Q_EUlS1P_E_NS1_11comp_targetILNS1_3genE5ELNS1_11target_archE942ELNS1_3gpuE9ELNS1_3repE0EEENS1_30default_config_static_selectorELNS0_4arch9wavefront6targetE0EEEvS12_,"axG",@progbits,_ZN7rocprim17ROCPRIM_400000_NS6detail17trampoline_kernelINS0_13select_configILj256ELj13ELNS0_17block_load_methodE3ELS4_3ELS4_3ELNS0_20block_scan_algorithmE0ELj4294967295EEENS1_25partition_config_selectorILNS1_17partition_subalgoE4EjNS0_10empty_typeEbEEZZNS1_14partition_implILS8_4ELb0ES6_15HIP_vector_typeIjLj2EENS0_17counting_iteratorIjlEEPS9_SG_NS0_5tupleIJPjSI_NS0_16reverse_iteratorISI_EEEEENSH_IJSG_SG_SG_EEES9_SI_JZNS1_25segmented_radix_sort_implINS0_14default_configELb0EPKbPbPKlPlN2at6native12_GLOBAL__N_18offset_tEEE10hipError_tPvRmT1_PNSt15iterator_traitsIS12_E10value_typeET2_T3_PNS13_IS18_E10value_typeET4_jRbjT5_S1E_jjP12ihipStream_tbEUljE_ZNSN_ISO_Lb0ESQ_SR_ST_SU_SY_EESZ_S10_S11_S12_S16_S17_S18_S1B_S1C_jS1D_jS1E_S1E_jjS1G_bEUljE0_EEESZ_S10_S11_S18_S1C_S1E_T6_T7_T9_mT8_S1G_bDpT10_ENKUlT_T0_E_clISt17integral_constantIbLb0EES1U_EEDaS1P_S1Q_EUlS1P_E_NS1_11comp_targetILNS1_3genE5ELNS1_11target_archE942ELNS1_3gpuE9ELNS1_3repE0EEENS1_30default_config_static_selectorELNS0_4arch9wavefront6targetE0EEEvS12_,comdat
	.globl	_ZN7rocprim17ROCPRIM_400000_NS6detail17trampoline_kernelINS0_13select_configILj256ELj13ELNS0_17block_load_methodE3ELS4_3ELS4_3ELNS0_20block_scan_algorithmE0ELj4294967295EEENS1_25partition_config_selectorILNS1_17partition_subalgoE4EjNS0_10empty_typeEbEEZZNS1_14partition_implILS8_4ELb0ES6_15HIP_vector_typeIjLj2EENS0_17counting_iteratorIjlEEPS9_SG_NS0_5tupleIJPjSI_NS0_16reverse_iteratorISI_EEEEENSH_IJSG_SG_SG_EEES9_SI_JZNS1_25segmented_radix_sort_implINS0_14default_configELb0EPKbPbPKlPlN2at6native12_GLOBAL__N_18offset_tEEE10hipError_tPvRmT1_PNSt15iterator_traitsIS12_E10value_typeET2_T3_PNS13_IS18_E10value_typeET4_jRbjT5_S1E_jjP12ihipStream_tbEUljE_ZNSN_ISO_Lb0ESQ_SR_ST_SU_SY_EESZ_S10_S11_S12_S16_S17_S18_S1B_S1C_jS1D_jS1E_S1E_jjS1G_bEUljE0_EEESZ_S10_S11_S18_S1C_S1E_T6_T7_T9_mT8_S1G_bDpT10_ENKUlT_T0_E_clISt17integral_constantIbLb0EES1U_EEDaS1P_S1Q_EUlS1P_E_NS1_11comp_targetILNS1_3genE5ELNS1_11target_archE942ELNS1_3gpuE9ELNS1_3repE0EEENS1_30default_config_static_selectorELNS0_4arch9wavefront6targetE0EEEvS12_ ; -- Begin function _ZN7rocprim17ROCPRIM_400000_NS6detail17trampoline_kernelINS0_13select_configILj256ELj13ELNS0_17block_load_methodE3ELS4_3ELS4_3ELNS0_20block_scan_algorithmE0ELj4294967295EEENS1_25partition_config_selectorILNS1_17partition_subalgoE4EjNS0_10empty_typeEbEEZZNS1_14partition_implILS8_4ELb0ES6_15HIP_vector_typeIjLj2EENS0_17counting_iteratorIjlEEPS9_SG_NS0_5tupleIJPjSI_NS0_16reverse_iteratorISI_EEEEENSH_IJSG_SG_SG_EEES9_SI_JZNS1_25segmented_radix_sort_implINS0_14default_configELb0EPKbPbPKlPlN2at6native12_GLOBAL__N_18offset_tEEE10hipError_tPvRmT1_PNSt15iterator_traitsIS12_E10value_typeET2_T3_PNS13_IS18_E10value_typeET4_jRbjT5_S1E_jjP12ihipStream_tbEUljE_ZNSN_ISO_Lb0ESQ_SR_ST_SU_SY_EESZ_S10_S11_S12_S16_S17_S18_S1B_S1C_jS1D_jS1E_S1E_jjS1G_bEUljE0_EEESZ_S10_S11_S18_S1C_S1E_T6_T7_T9_mT8_S1G_bDpT10_ENKUlT_T0_E_clISt17integral_constantIbLb0EES1U_EEDaS1P_S1Q_EUlS1P_E_NS1_11comp_targetILNS1_3genE5ELNS1_11target_archE942ELNS1_3gpuE9ELNS1_3repE0EEENS1_30default_config_static_selectorELNS0_4arch9wavefront6targetE0EEEvS12_
	.p2align	8
	.type	_ZN7rocprim17ROCPRIM_400000_NS6detail17trampoline_kernelINS0_13select_configILj256ELj13ELNS0_17block_load_methodE3ELS4_3ELS4_3ELNS0_20block_scan_algorithmE0ELj4294967295EEENS1_25partition_config_selectorILNS1_17partition_subalgoE4EjNS0_10empty_typeEbEEZZNS1_14partition_implILS8_4ELb0ES6_15HIP_vector_typeIjLj2EENS0_17counting_iteratorIjlEEPS9_SG_NS0_5tupleIJPjSI_NS0_16reverse_iteratorISI_EEEEENSH_IJSG_SG_SG_EEES9_SI_JZNS1_25segmented_radix_sort_implINS0_14default_configELb0EPKbPbPKlPlN2at6native12_GLOBAL__N_18offset_tEEE10hipError_tPvRmT1_PNSt15iterator_traitsIS12_E10value_typeET2_T3_PNS13_IS18_E10value_typeET4_jRbjT5_S1E_jjP12ihipStream_tbEUljE_ZNSN_ISO_Lb0ESQ_SR_ST_SU_SY_EESZ_S10_S11_S12_S16_S17_S18_S1B_S1C_jS1D_jS1E_S1E_jjS1G_bEUljE0_EEESZ_S10_S11_S18_S1C_S1E_T6_T7_T9_mT8_S1G_bDpT10_ENKUlT_T0_E_clISt17integral_constantIbLb0EES1U_EEDaS1P_S1Q_EUlS1P_E_NS1_11comp_targetILNS1_3genE5ELNS1_11target_archE942ELNS1_3gpuE9ELNS1_3repE0EEENS1_30default_config_static_selectorELNS0_4arch9wavefront6targetE0EEEvS12_,@function
_ZN7rocprim17ROCPRIM_400000_NS6detail17trampoline_kernelINS0_13select_configILj256ELj13ELNS0_17block_load_methodE3ELS4_3ELS4_3ELNS0_20block_scan_algorithmE0ELj4294967295EEENS1_25partition_config_selectorILNS1_17partition_subalgoE4EjNS0_10empty_typeEbEEZZNS1_14partition_implILS8_4ELb0ES6_15HIP_vector_typeIjLj2EENS0_17counting_iteratorIjlEEPS9_SG_NS0_5tupleIJPjSI_NS0_16reverse_iteratorISI_EEEEENSH_IJSG_SG_SG_EEES9_SI_JZNS1_25segmented_radix_sort_implINS0_14default_configELb0EPKbPbPKlPlN2at6native12_GLOBAL__N_18offset_tEEE10hipError_tPvRmT1_PNSt15iterator_traitsIS12_E10value_typeET2_T3_PNS13_IS18_E10value_typeET4_jRbjT5_S1E_jjP12ihipStream_tbEUljE_ZNSN_ISO_Lb0ESQ_SR_ST_SU_SY_EESZ_S10_S11_S12_S16_S17_S18_S1B_S1C_jS1D_jS1E_S1E_jjS1G_bEUljE0_EEESZ_S10_S11_S18_S1C_S1E_T6_T7_T9_mT8_S1G_bDpT10_ENKUlT_T0_E_clISt17integral_constantIbLb0EES1U_EEDaS1P_S1Q_EUlS1P_E_NS1_11comp_targetILNS1_3genE5ELNS1_11target_archE942ELNS1_3gpuE9ELNS1_3repE0EEENS1_30default_config_static_selectorELNS0_4arch9wavefront6targetE0EEEvS12_: ; @_ZN7rocprim17ROCPRIM_400000_NS6detail17trampoline_kernelINS0_13select_configILj256ELj13ELNS0_17block_load_methodE3ELS4_3ELS4_3ELNS0_20block_scan_algorithmE0ELj4294967295EEENS1_25partition_config_selectorILNS1_17partition_subalgoE4EjNS0_10empty_typeEbEEZZNS1_14partition_implILS8_4ELb0ES6_15HIP_vector_typeIjLj2EENS0_17counting_iteratorIjlEEPS9_SG_NS0_5tupleIJPjSI_NS0_16reverse_iteratorISI_EEEEENSH_IJSG_SG_SG_EEES9_SI_JZNS1_25segmented_radix_sort_implINS0_14default_configELb0EPKbPbPKlPlN2at6native12_GLOBAL__N_18offset_tEEE10hipError_tPvRmT1_PNSt15iterator_traitsIS12_E10value_typeET2_T3_PNS13_IS18_E10value_typeET4_jRbjT5_S1E_jjP12ihipStream_tbEUljE_ZNSN_ISO_Lb0ESQ_SR_ST_SU_SY_EESZ_S10_S11_S12_S16_S17_S18_S1B_S1C_jS1D_jS1E_S1E_jjS1G_bEUljE0_EEESZ_S10_S11_S18_S1C_S1E_T6_T7_T9_mT8_S1G_bDpT10_ENKUlT_T0_E_clISt17integral_constantIbLb0EES1U_EEDaS1P_S1Q_EUlS1P_E_NS1_11comp_targetILNS1_3genE5ELNS1_11target_archE942ELNS1_3gpuE9ELNS1_3repE0EEENS1_30default_config_static_selectorELNS0_4arch9wavefront6targetE0EEEvS12_
; %bb.0:
	.section	.rodata,"a",@progbits
	.p2align	6, 0x0
	.amdhsa_kernel _ZN7rocprim17ROCPRIM_400000_NS6detail17trampoline_kernelINS0_13select_configILj256ELj13ELNS0_17block_load_methodE3ELS4_3ELS4_3ELNS0_20block_scan_algorithmE0ELj4294967295EEENS1_25partition_config_selectorILNS1_17partition_subalgoE4EjNS0_10empty_typeEbEEZZNS1_14partition_implILS8_4ELb0ES6_15HIP_vector_typeIjLj2EENS0_17counting_iteratorIjlEEPS9_SG_NS0_5tupleIJPjSI_NS0_16reverse_iteratorISI_EEEEENSH_IJSG_SG_SG_EEES9_SI_JZNS1_25segmented_radix_sort_implINS0_14default_configELb0EPKbPbPKlPlN2at6native12_GLOBAL__N_18offset_tEEE10hipError_tPvRmT1_PNSt15iterator_traitsIS12_E10value_typeET2_T3_PNS13_IS18_E10value_typeET4_jRbjT5_S1E_jjP12ihipStream_tbEUljE_ZNSN_ISO_Lb0ESQ_SR_ST_SU_SY_EESZ_S10_S11_S12_S16_S17_S18_S1B_S1C_jS1D_jS1E_S1E_jjS1G_bEUljE0_EEESZ_S10_S11_S18_S1C_S1E_T6_T7_T9_mT8_S1G_bDpT10_ENKUlT_T0_E_clISt17integral_constantIbLb0EES1U_EEDaS1P_S1Q_EUlS1P_E_NS1_11comp_targetILNS1_3genE5ELNS1_11target_archE942ELNS1_3gpuE9ELNS1_3repE0EEENS1_30default_config_static_selectorELNS0_4arch9wavefront6targetE0EEEvS12_
		.amdhsa_group_segment_fixed_size 0
		.amdhsa_private_segment_fixed_size 0
		.amdhsa_kernarg_size 176
		.amdhsa_user_sgpr_count 6
		.amdhsa_user_sgpr_private_segment_buffer 1
		.amdhsa_user_sgpr_dispatch_ptr 0
		.amdhsa_user_sgpr_queue_ptr 0
		.amdhsa_user_sgpr_kernarg_segment_ptr 1
		.amdhsa_user_sgpr_dispatch_id 0
		.amdhsa_user_sgpr_flat_scratch_init 0
		.amdhsa_user_sgpr_private_segment_size 0
		.amdhsa_wavefront_size32 1
		.amdhsa_uses_dynamic_stack 0
		.amdhsa_system_sgpr_private_segment_wavefront_offset 0
		.amdhsa_system_sgpr_workgroup_id_x 1
		.amdhsa_system_sgpr_workgroup_id_y 0
		.amdhsa_system_sgpr_workgroup_id_z 0
		.amdhsa_system_sgpr_workgroup_info 0
		.amdhsa_system_vgpr_workitem_id 0
		.amdhsa_next_free_vgpr 1
		.amdhsa_next_free_sgpr 1
		.amdhsa_reserve_vcc 0
		.amdhsa_reserve_flat_scratch 0
		.amdhsa_float_round_mode_32 0
		.amdhsa_float_round_mode_16_64 0
		.amdhsa_float_denorm_mode_32 3
		.amdhsa_float_denorm_mode_16_64 3
		.amdhsa_dx10_clamp 1
		.amdhsa_ieee_mode 1
		.amdhsa_fp16_overflow 0
		.amdhsa_workgroup_processor_mode 1
		.amdhsa_memory_ordered 1
		.amdhsa_forward_progress 1
		.amdhsa_shared_vgpr_count 0
		.amdhsa_exception_fp_ieee_invalid_op 0
		.amdhsa_exception_fp_denorm_src 0
		.amdhsa_exception_fp_ieee_div_zero 0
		.amdhsa_exception_fp_ieee_overflow 0
		.amdhsa_exception_fp_ieee_underflow 0
		.amdhsa_exception_fp_ieee_inexact 0
		.amdhsa_exception_int_div_zero 0
	.end_amdhsa_kernel
	.section	.text._ZN7rocprim17ROCPRIM_400000_NS6detail17trampoline_kernelINS0_13select_configILj256ELj13ELNS0_17block_load_methodE3ELS4_3ELS4_3ELNS0_20block_scan_algorithmE0ELj4294967295EEENS1_25partition_config_selectorILNS1_17partition_subalgoE4EjNS0_10empty_typeEbEEZZNS1_14partition_implILS8_4ELb0ES6_15HIP_vector_typeIjLj2EENS0_17counting_iteratorIjlEEPS9_SG_NS0_5tupleIJPjSI_NS0_16reverse_iteratorISI_EEEEENSH_IJSG_SG_SG_EEES9_SI_JZNS1_25segmented_radix_sort_implINS0_14default_configELb0EPKbPbPKlPlN2at6native12_GLOBAL__N_18offset_tEEE10hipError_tPvRmT1_PNSt15iterator_traitsIS12_E10value_typeET2_T3_PNS13_IS18_E10value_typeET4_jRbjT5_S1E_jjP12ihipStream_tbEUljE_ZNSN_ISO_Lb0ESQ_SR_ST_SU_SY_EESZ_S10_S11_S12_S16_S17_S18_S1B_S1C_jS1D_jS1E_S1E_jjS1G_bEUljE0_EEESZ_S10_S11_S18_S1C_S1E_T6_T7_T9_mT8_S1G_bDpT10_ENKUlT_T0_E_clISt17integral_constantIbLb0EES1U_EEDaS1P_S1Q_EUlS1P_E_NS1_11comp_targetILNS1_3genE5ELNS1_11target_archE942ELNS1_3gpuE9ELNS1_3repE0EEENS1_30default_config_static_selectorELNS0_4arch9wavefront6targetE0EEEvS12_,"axG",@progbits,_ZN7rocprim17ROCPRIM_400000_NS6detail17trampoline_kernelINS0_13select_configILj256ELj13ELNS0_17block_load_methodE3ELS4_3ELS4_3ELNS0_20block_scan_algorithmE0ELj4294967295EEENS1_25partition_config_selectorILNS1_17partition_subalgoE4EjNS0_10empty_typeEbEEZZNS1_14partition_implILS8_4ELb0ES6_15HIP_vector_typeIjLj2EENS0_17counting_iteratorIjlEEPS9_SG_NS0_5tupleIJPjSI_NS0_16reverse_iteratorISI_EEEEENSH_IJSG_SG_SG_EEES9_SI_JZNS1_25segmented_radix_sort_implINS0_14default_configELb0EPKbPbPKlPlN2at6native12_GLOBAL__N_18offset_tEEE10hipError_tPvRmT1_PNSt15iterator_traitsIS12_E10value_typeET2_T3_PNS13_IS18_E10value_typeET4_jRbjT5_S1E_jjP12ihipStream_tbEUljE_ZNSN_ISO_Lb0ESQ_SR_ST_SU_SY_EESZ_S10_S11_S12_S16_S17_S18_S1B_S1C_jS1D_jS1E_S1E_jjS1G_bEUljE0_EEESZ_S10_S11_S18_S1C_S1E_T6_T7_T9_mT8_S1G_bDpT10_ENKUlT_T0_E_clISt17integral_constantIbLb0EES1U_EEDaS1P_S1Q_EUlS1P_E_NS1_11comp_targetILNS1_3genE5ELNS1_11target_archE942ELNS1_3gpuE9ELNS1_3repE0EEENS1_30default_config_static_selectorELNS0_4arch9wavefront6targetE0EEEvS12_,comdat
.Lfunc_end1563:
	.size	_ZN7rocprim17ROCPRIM_400000_NS6detail17trampoline_kernelINS0_13select_configILj256ELj13ELNS0_17block_load_methodE3ELS4_3ELS4_3ELNS0_20block_scan_algorithmE0ELj4294967295EEENS1_25partition_config_selectorILNS1_17partition_subalgoE4EjNS0_10empty_typeEbEEZZNS1_14partition_implILS8_4ELb0ES6_15HIP_vector_typeIjLj2EENS0_17counting_iteratorIjlEEPS9_SG_NS0_5tupleIJPjSI_NS0_16reverse_iteratorISI_EEEEENSH_IJSG_SG_SG_EEES9_SI_JZNS1_25segmented_radix_sort_implINS0_14default_configELb0EPKbPbPKlPlN2at6native12_GLOBAL__N_18offset_tEEE10hipError_tPvRmT1_PNSt15iterator_traitsIS12_E10value_typeET2_T3_PNS13_IS18_E10value_typeET4_jRbjT5_S1E_jjP12ihipStream_tbEUljE_ZNSN_ISO_Lb0ESQ_SR_ST_SU_SY_EESZ_S10_S11_S12_S16_S17_S18_S1B_S1C_jS1D_jS1E_S1E_jjS1G_bEUljE0_EEESZ_S10_S11_S18_S1C_S1E_T6_T7_T9_mT8_S1G_bDpT10_ENKUlT_T0_E_clISt17integral_constantIbLb0EES1U_EEDaS1P_S1Q_EUlS1P_E_NS1_11comp_targetILNS1_3genE5ELNS1_11target_archE942ELNS1_3gpuE9ELNS1_3repE0EEENS1_30default_config_static_selectorELNS0_4arch9wavefront6targetE0EEEvS12_, .Lfunc_end1563-_ZN7rocprim17ROCPRIM_400000_NS6detail17trampoline_kernelINS0_13select_configILj256ELj13ELNS0_17block_load_methodE3ELS4_3ELS4_3ELNS0_20block_scan_algorithmE0ELj4294967295EEENS1_25partition_config_selectorILNS1_17partition_subalgoE4EjNS0_10empty_typeEbEEZZNS1_14partition_implILS8_4ELb0ES6_15HIP_vector_typeIjLj2EENS0_17counting_iteratorIjlEEPS9_SG_NS0_5tupleIJPjSI_NS0_16reverse_iteratorISI_EEEEENSH_IJSG_SG_SG_EEES9_SI_JZNS1_25segmented_radix_sort_implINS0_14default_configELb0EPKbPbPKlPlN2at6native12_GLOBAL__N_18offset_tEEE10hipError_tPvRmT1_PNSt15iterator_traitsIS12_E10value_typeET2_T3_PNS13_IS18_E10value_typeET4_jRbjT5_S1E_jjP12ihipStream_tbEUljE_ZNSN_ISO_Lb0ESQ_SR_ST_SU_SY_EESZ_S10_S11_S12_S16_S17_S18_S1B_S1C_jS1D_jS1E_S1E_jjS1G_bEUljE0_EEESZ_S10_S11_S18_S1C_S1E_T6_T7_T9_mT8_S1G_bDpT10_ENKUlT_T0_E_clISt17integral_constantIbLb0EES1U_EEDaS1P_S1Q_EUlS1P_E_NS1_11comp_targetILNS1_3genE5ELNS1_11target_archE942ELNS1_3gpuE9ELNS1_3repE0EEENS1_30default_config_static_selectorELNS0_4arch9wavefront6targetE0EEEvS12_
                                        ; -- End function
	.set _ZN7rocprim17ROCPRIM_400000_NS6detail17trampoline_kernelINS0_13select_configILj256ELj13ELNS0_17block_load_methodE3ELS4_3ELS4_3ELNS0_20block_scan_algorithmE0ELj4294967295EEENS1_25partition_config_selectorILNS1_17partition_subalgoE4EjNS0_10empty_typeEbEEZZNS1_14partition_implILS8_4ELb0ES6_15HIP_vector_typeIjLj2EENS0_17counting_iteratorIjlEEPS9_SG_NS0_5tupleIJPjSI_NS0_16reverse_iteratorISI_EEEEENSH_IJSG_SG_SG_EEES9_SI_JZNS1_25segmented_radix_sort_implINS0_14default_configELb0EPKbPbPKlPlN2at6native12_GLOBAL__N_18offset_tEEE10hipError_tPvRmT1_PNSt15iterator_traitsIS12_E10value_typeET2_T3_PNS13_IS18_E10value_typeET4_jRbjT5_S1E_jjP12ihipStream_tbEUljE_ZNSN_ISO_Lb0ESQ_SR_ST_SU_SY_EESZ_S10_S11_S12_S16_S17_S18_S1B_S1C_jS1D_jS1E_S1E_jjS1G_bEUljE0_EEESZ_S10_S11_S18_S1C_S1E_T6_T7_T9_mT8_S1G_bDpT10_ENKUlT_T0_E_clISt17integral_constantIbLb0EES1U_EEDaS1P_S1Q_EUlS1P_E_NS1_11comp_targetILNS1_3genE5ELNS1_11target_archE942ELNS1_3gpuE9ELNS1_3repE0EEENS1_30default_config_static_selectorELNS0_4arch9wavefront6targetE0EEEvS12_.num_vgpr, 0
	.set _ZN7rocprim17ROCPRIM_400000_NS6detail17trampoline_kernelINS0_13select_configILj256ELj13ELNS0_17block_load_methodE3ELS4_3ELS4_3ELNS0_20block_scan_algorithmE0ELj4294967295EEENS1_25partition_config_selectorILNS1_17partition_subalgoE4EjNS0_10empty_typeEbEEZZNS1_14partition_implILS8_4ELb0ES6_15HIP_vector_typeIjLj2EENS0_17counting_iteratorIjlEEPS9_SG_NS0_5tupleIJPjSI_NS0_16reverse_iteratorISI_EEEEENSH_IJSG_SG_SG_EEES9_SI_JZNS1_25segmented_radix_sort_implINS0_14default_configELb0EPKbPbPKlPlN2at6native12_GLOBAL__N_18offset_tEEE10hipError_tPvRmT1_PNSt15iterator_traitsIS12_E10value_typeET2_T3_PNS13_IS18_E10value_typeET4_jRbjT5_S1E_jjP12ihipStream_tbEUljE_ZNSN_ISO_Lb0ESQ_SR_ST_SU_SY_EESZ_S10_S11_S12_S16_S17_S18_S1B_S1C_jS1D_jS1E_S1E_jjS1G_bEUljE0_EEESZ_S10_S11_S18_S1C_S1E_T6_T7_T9_mT8_S1G_bDpT10_ENKUlT_T0_E_clISt17integral_constantIbLb0EES1U_EEDaS1P_S1Q_EUlS1P_E_NS1_11comp_targetILNS1_3genE5ELNS1_11target_archE942ELNS1_3gpuE9ELNS1_3repE0EEENS1_30default_config_static_selectorELNS0_4arch9wavefront6targetE0EEEvS12_.num_agpr, 0
	.set _ZN7rocprim17ROCPRIM_400000_NS6detail17trampoline_kernelINS0_13select_configILj256ELj13ELNS0_17block_load_methodE3ELS4_3ELS4_3ELNS0_20block_scan_algorithmE0ELj4294967295EEENS1_25partition_config_selectorILNS1_17partition_subalgoE4EjNS0_10empty_typeEbEEZZNS1_14partition_implILS8_4ELb0ES6_15HIP_vector_typeIjLj2EENS0_17counting_iteratorIjlEEPS9_SG_NS0_5tupleIJPjSI_NS0_16reverse_iteratorISI_EEEEENSH_IJSG_SG_SG_EEES9_SI_JZNS1_25segmented_radix_sort_implINS0_14default_configELb0EPKbPbPKlPlN2at6native12_GLOBAL__N_18offset_tEEE10hipError_tPvRmT1_PNSt15iterator_traitsIS12_E10value_typeET2_T3_PNS13_IS18_E10value_typeET4_jRbjT5_S1E_jjP12ihipStream_tbEUljE_ZNSN_ISO_Lb0ESQ_SR_ST_SU_SY_EESZ_S10_S11_S12_S16_S17_S18_S1B_S1C_jS1D_jS1E_S1E_jjS1G_bEUljE0_EEESZ_S10_S11_S18_S1C_S1E_T6_T7_T9_mT8_S1G_bDpT10_ENKUlT_T0_E_clISt17integral_constantIbLb0EES1U_EEDaS1P_S1Q_EUlS1P_E_NS1_11comp_targetILNS1_3genE5ELNS1_11target_archE942ELNS1_3gpuE9ELNS1_3repE0EEENS1_30default_config_static_selectorELNS0_4arch9wavefront6targetE0EEEvS12_.numbered_sgpr, 0
	.set _ZN7rocprim17ROCPRIM_400000_NS6detail17trampoline_kernelINS0_13select_configILj256ELj13ELNS0_17block_load_methodE3ELS4_3ELS4_3ELNS0_20block_scan_algorithmE0ELj4294967295EEENS1_25partition_config_selectorILNS1_17partition_subalgoE4EjNS0_10empty_typeEbEEZZNS1_14partition_implILS8_4ELb0ES6_15HIP_vector_typeIjLj2EENS0_17counting_iteratorIjlEEPS9_SG_NS0_5tupleIJPjSI_NS0_16reverse_iteratorISI_EEEEENSH_IJSG_SG_SG_EEES9_SI_JZNS1_25segmented_radix_sort_implINS0_14default_configELb0EPKbPbPKlPlN2at6native12_GLOBAL__N_18offset_tEEE10hipError_tPvRmT1_PNSt15iterator_traitsIS12_E10value_typeET2_T3_PNS13_IS18_E10value_typeET4_jRbjT5_S1E_jjP12ihipStream_tbEUljE_ZNSN_ISO_Lb0ESQ_SR_ST_SU_SY_EESZ_S10_S11_S12_S16_S17_S18_S1B_S1C_jS1D_jS1E_S1E_jjS1G_bEUljE0_EEESZ_S10_S11_S18_S1C_S1E_T6_T7_T9_mT8_S1G_bDpT10_ENKUlT_T0_E_clISt17integral_constantIbLb0EES1U_EEDaS1P_S1Q_EUlS1P_E_NS1_11comp_targetILNS1_3genE5ELNS1_11target_archE942ELNS1_3gpuE9ELNS1_3repE0EEENS1_30default_config_static_selectorELNS0_4arch9wavefront6targetE0EEEvS12_.num_named_barrier, 0
	.set _ZN7rocprim17ROCPRIM_400000_NS6detail17trampoline_kernelINS0_13select_configILj256ELj13ELNS0_17block_load_methodE3ELS4_3ELS4_3ELNS0_20block_scan_algorithmE0ELj4294967295EEENS1_25partition_config_selectorILNS1_17partition_subalgoE4EjNS0_10empty_typeEbEEZZNS1_14partition_implILS8_4ELb0ES6_15HIP_vector_typeIjLj2EENS0_17counting_iteratorIjlEEPS9_SG_NS0_5tupleIJPjSI_NS0_16reverse_iteratorISI_EEEEENSH_IJSG_SG_SG_EEES9_SI_JZNS1_25segmented_radix_sort_implINS0_14default_configELb0EPKbPbPKlPlN2at6native12_GLOBAL__N_18offset_tEEE10hipError_tPvRmT1_PNSt15iterator_traitsIS12_E10value_typeET2_T3_PNS13_IS18_E10value_typeET4_jRbjT5_S1E_jjP12ihipStream_tbEUljE_ZNSN_ISO_Lb0ESQ_SR_ST_SU_SY_EESZ_S10_S11_S12_S16_S17_S18_S1B_S1C_jS1D_jS1E_S1E_jjS1G_bEUljE0_EEESZ_S10_S11_S18_S1C_S1E_T6_T7_T9_mT8_S1G_bDpT10_ENKUlT_T0_E_clISt17integral_constantIbLb0EES1U_EEDaS1P_S1Q_EUlS1P_E_NS1_11comp_targetILNS1_3genE5ELNS1_11target_archE942ELNS1_3gpuE9ELNS1_3repE0EEENS1_30default_config_static_selectorELNS0_4arch9wavefront6targetE0EEEvS12_.private_seg_size, 0
	.set _ZN7rocprim17ROCPRIM_400000_NS6detail17trampoline_kernelINS0_13select_configILj256ELj13ELNS0_17block_load_methodE3ELS4_3ELS4_3ELNS0_20block_scan_algorithmE0ELj4294967295EEENS1_25partition_config_selectorILNS1_17partition_subalgoE4EjNS0_10empty_typeEbEEZZNS1_14partition_implILS8_4ELb0ES6_15HIP_vector_typeIjLj2EENS0_17counting_iteratorIjlEEPS9_SG_NS0_5tupleIJPjSI_NS0_16reverse_iteratorISI_EEEEENSH_IJSG_SG_SG_EEES9_SI_JZNS1_25segmented_radix_sort_implINS0_14default_configELb0EPKbPbPKlPlN2at6native12_GLOBAL__N_18offset_tEEE10hipError_tPvRmT1_PNSt15iterator_traitsIS12_E10value_typeET2_T3_PNS13_IS18_E10value_typeET4_jRbjT5_S1E_jjP12ihipStream_tbEUljE_ZNSN_ISO_Lb0ESQ_SR_ST_SU_SY_EESZ_S10_S11_S12_S16_S17_S18_S1B_S1C_jS1D_jS1E_S1E_jjS1G_bEUljE0_EEESZ_S10_S11_S18_S1C_S1E_T6_T7_T9_mT8_S1G_bDpT10_ENKUlT_T0_E_clISt17integral_constantIbLb0EES1U_EEDaS1P_S1Q_EUlS1P_E_NS1_11comp_targetILNS1_3genE5ELNS1_11target_archE942ELNS1_3gpuE9ELNS1_3repE0EEENS1_30default_config_static_selectorELNS0_4arch9wavefront6targetE0EEEvS12_.uses_vcc, 0
	.set _ZN7rocprim17ROCPRIM_400000_NS6detail17trampoline_kernelINS0_13select_configILj256ELj13ELNS0_17block_load_methodE3ELS4_3ELS4_3ELNS0_20block_scan_algorithmE0ELj4294967295EEENS1_25partition_config_selectorILNS1_17partition_subalgoE4EjNS0_10empty_typeEbEEZZNS1_14partition_implILS8_4ELb0ES6_15HIP_vector_typeIjLj2EENS0_17counting_iteratorIjlEEPS9_SG_NS0_5tupleIJPjSI_NS0_16reverse_iteratorISI_EEEEENSH_IJSG_SG_SG_EEES9_SI_JZNS1_25segmented_radix_sort_implINS0_14default_configELb0EPKbPbPKlPlN2at6native12_GLOBAL__N_18offset_tEEE10hipError_tPvRmT1_PNSt15iterator_traitsIS12_E10value_typeET2_T3_PNS13_IS18_E10value_typeET4_jRbjT5_S1E_jjP12ihipStream_tbEUljE_ZNSN_ISO_Lb0ESQ_SR_ST_SU_SY_EESZ_S10_S11_S12_S16_S17_S18_S1B_S1C_jS1D_jS1E_S1E_jjS1G_bEUljE0_EEESZ_S10_S11_S18_S1C_S1E_T6_T7_T9_mT8_S1G_bDpT10_ENKUlT_T0_E_clISt17integral_constantIbLb0EES1U_EEDaS1P_S1Q_EUlS1P_E_NS1_11comp_targetILNS1_3genE5ELNS1_11target_archE942ELNS1_3gpuE9ELNS1_3repE0EEENS1_30default_config_static_selectorELNS0_4arch9wavefront6targetE0EEEvS12_.uses_flat_scratch, 0
	.set _ZN7rocprim17ROCPRIM_400000_NS6detail17trampoline_kernelINS0_13select_configILj256ELj13ELNS0_17block_load_methodE3ELS4_3ELS4_3ELNS0_20block_scan_algorithmE0ELj4294967295EEENS1_25partition_config_selectorILNS1_17partition_subalgoE4EjNS0_10empty_typeEbEEZZNS1_14partition_implILS8_4ELb0ES6_15HIP_vector_typeIjLj2EENS0_17counting_iteratorIjlEEPS9_SG_NS0_5tupleIJPjSI_NS0_16reverse_iteratorISI_EEEEENSH_IJSG_SG_SG_EEES9_SI_JZNS1_25segmented_radix_sort_implINS0_14default_configELb0EPKbPbPKlPlN2at6native12_GLOBAL__N_18offset_tEEE10hipError_tPvRmT1_PNSt15iterator_traitsIS12_E10value_typeET2_T3_PNS13_IS18_E10value_typeET4_jRbjT5_S1E_jjP12ihipStream_tbEUljE_ZNSN_ISO_Lb0ESQ_SR_ST_SU_SY_EESZ_S10_S11_S12_S16_S17_S18_S1B_S1C_jS1D_jS1E_S1E_jjS1G_bEUljE0_EEESZ_S10_S11_S18_S1C_S1E_T6_T7_T9_mT8_S1G_bDpT10_ENKUlT_T0_E_clISt17integral_constantIbLb0EES1U_EEDaS1P_S1Q_EUlS1P_E_NS1_11comp_targetILNS1_3genE5ELNS1_11target_archE942ELNS1_3gpuE9ELNS1_3repE0EEENS1_30default_config_static_selectorELNS0_4arch9wavefront6targetE0EEEvS12_.has_dyn_sized_stack, 0
	.set _ZN7rocprim17ROCPRIM_400000_NS6detail17trampoline_kernelINS0_13select_configILj256ELj13ELNS0_17block_load_methodE3ELS4_3ELS4_3ELNS0_20block_scan_algorithmE0ELj4294967295EEENS1_25partition_config_selectorILNS1_17partition_subalgoE4EjNS0_10empty_typeEbEEZZNS1_14partition_implILS8_4ELb0ES6_15HIP_vector_typeIjLj2EENS0_17counting_iteratorIjlEEPS9_SG_NS0_5tupleIJPjSI_NS0_16reverse_iteratorISI_EEEEENSH_IJSG_SG_SG_EEES9_SI_JZNS1_25segmented_radix_sort_implINS0_14default_configELb0EPKbPbPKlPlN2at6native12_GLOBAL__N_18offset_tEEE10hipError_tPvRmT1_PNSt15iterator_traitsIS12_E10value_typeET2_T3_PNS13_IS18_E10value_typeET4_jRbjT5_S1E_jjP12ihipStream_tbEUljE_ZNSN_ISO_Lb0ESQ_SR_ST_SU_SY_EESZ_S10_S11_S12_S16_S17_S18_S1B_S1C_jS1D_jS1E_S1E_jjS1G_bEUljE0_EEESZ_S10_S11_S18_S1C_S1E_T6_T7_T9_mT8_S1G_bDpT10_ENKUlT_T0_E_clISt17integral_constantIbLb0EES1U_EEDaS1P_S1Q_EUlS1P_E_NS1_11comp_targetILNS1_3genE5ELNS1_11target_archE942ELNS1_3gpuE9ELNS1_3repE0EEENS1_30default_config_static_selectorELNS0_4arch9wavefront6targetE0EEEvS12_.has_recursion, 0
	.set _ZN7rocprim17ROCPRIM_400000_NS6detail17trampoline_kernelINS0_13select_configILj256ELj13ELNS0_17block_load_methodE3ELS4_3ELS4_3ELNS0_20block_scan_algorithmE0ELj4294967295EEENS1_25partition_config_selectorILNS1_17partition_subalgoE4EjNS0_10empty_typeEbEEZZNS1_14partition_implILS8_4ELb0ES6_15HIP_vector_typeIjLj2EENS0_17counting_iteratorIjlEEPS9_SG_NS0_5tupleIJPjSI_NS0_16reverse_iteratorISI_EEEEENSH_IJSG_SG_SG_EEES9_SI_JZNS1_25segmented_radix_sort_implINS0_14default_configELb0EPKbPbPKlPlN2at6native12_GLOBAL__N_18offset_tEEE10hipError_tPvRmT1_PNSt15iterator_traitsIS12_E10value_typeET2_T3_PNS13_IS18_E10value_typeET4_jRbjT5_S1E_jjP12ihipStream_tbEUljE_ZNSN_ISO_Lb0ESQ_SR_ST_SU_SY_EESZ_S10_S11_S12_S16_S17_S18_S1B_S1C_jS1D_jS1E_S1E_jjS1G_bEUljE0_EEESZ_S10_S11_S18_S1C_S1E_T6_T7_T9_mT8_S1G_bDpT10_ENKUlT_T0_E_clISt17integral_constantIbLb0EES1U_EEDaS1P_S1Q_EUlS1P_E_NS1_11comp_targetILNS1_3genE5ELNS1_11target_archE942ELNS1_3gpuE9ELNS1_3repE0EEENS1_30default_config_static_selectorELNS0_4arch9wavefront6targetE0EEEvS12_.has_indirect_call, 0
	.section	.AMDGPU.csdata,"",@progbits
; Kernel info:
; codeLenInByte = 0
; TotalNumSgprs: 0
; NumVgprs: 0
; ScratchSize: 0
; MemoryBound: 0
; FloatMode: 240
; IeeeMode: 1
; LDSByteSize: 0 bytes/workgroup (compile time only)
; SGPRBlocks: 0
; VGPRBlocks: 0
; NumSGPRsForWavesPerEU: 1
; NumVGPRsForWavesPerEU: 1
; Occupancy: 16
; WaveLimiterHint : 0
; COMPUTE_PGM_RSRC2:SCRATCH_EN: 0
; COMPUTE_PGM_RSRC2:USER_SGPR: 6
; COMPUTE_PGM_RSRC2:TRAP_HANDLER: 0
; COMPUTE_PGM_RSRC2:TGID_X_EN: 1
; COMPUTE_PGM_RSRC2:TGID_Y_EN: 0
; COMPUTE_PGM_RSRC2:TGID_Z_EN: 0
; COMPUTE_PGM_RSRC2:TIDIG_COMP_CNT: 0
	.section	.text._ZN7rocprim17ROCPRIM_400000_NS6detail17trampoline_kernelINS0_13select_configILj256ELj13ELNS0_17block_load_methodE3ELS4_3ELS4_3ELNS0_20block_scan_algorithmE0ELj4294967295EEENS1_25partition_config_selectorILNS1_17partition_subalgoE4EjNS0_10empty_typeEbEEZZNS1_14partition_implILS8_4ELb0ES6_15HIP_vector_typeIjLj2EENS0_17counting_iteratorIjlEEPS9_SG_NS0_5tupleIJPjSI_NS0_16reverse_iteratorISI_EEEEENSH_IJSG_SG_SG_EEES9_SI_JZNS1_25segmented_radix_sort_implINS0_14default_configELb0EPKbPbPKlPlN2at6native12_GLOBAL__N_18offset_tEEE10hipError_tPvRmT1_PNSt15iterator_traitsIS12_E10value_typeET2_T3_PNS13_IS18_E10value_typeET4_jRbjT5_S1E_jjP12ihipStream_tbEUljE_ZNSN_ISO_Lb0ESQ_SR_ST_SU_SY_EESZ_S10_S11_S12_S16_S17_S18_S1B_S1C_jS1D_jS1E_S1E_jjS1G_bEUljE0_EEESZ_S10_S11_S18_S1C_S1E_T6_T7_T9_mT8_S1G_bDpT10_ENKUlT_T0_E_clISt17integral_constantIbLb0EES1U_EEDaS1P_S1Q_EUlS1P_E_NS1_11comp_targetILNS1_3genE4ELNS1_11target_archE910ELNS1_3gpuE8ELNS1_3repE0EEENS1_30default_config_static_selectorELNS0_4arch9wavefront6targetE0EEEvS12_,"axG",@progbits,_ZN7rocprim17ROCPRIM_400000_NS6detail17trampoline_kernelINS0_13select_configILj256ELj13ELNS0_17block_load_methodE3ELS4_3ELS4_3ELNS0_20block_scan_algorithmE0ELj4294967295EEENS1_25partition_config_selectorILNS1_17partition_subalgoE4EjNS0_10empty_typeEbEEZZNS1_14partition_implILS8_4ELb0ES6_15HIP_vector_typeIjLj2EENS0_17counting_iteratorIjlEEPS9_SG_NS0_5tupleIJPjSI_NS0_16reverse_iteratorISI_EEEEENSH_IJSG_SG_SG_EEES9_SI_JZNS1_25segmented_radix_sort_implINS0_14default_configELb0EPKbPbPKlPlN2at6native12_GLOBAL__N_18offset_tEEE10hipError_tPvRmT1_PNSt15iterator_traitsIS12_E10value_typeET2_T3_PNS13_IS18_E10value_typeET4_jRbjT5_S1E_jjP12ihipStream_tbEUljE_ZNSN_ISO_Lb0ESQ_SR_ST_SU_SY_EESZ_S10_S11_S12_S16_S17_S18_S1B_S1C_jS1D_jS1E_S1E_jjS1G_bEUljE0_EEESZ_S10_S11_S18_S1C_S1E_T6_T7_T9_mT8_S1G_bDpT10_ENKUlT_T0_E_clISt17integral_constantIbLb0EES1U_EEDaS1P_S1Q_EUlS1P_E_NS1_11comp_targetILNS1_3genE4ELNS1_11target_archE910ELNS1_3gpuE8ELNS1_3repE0EEENS1_30default_config_static_selectorELNS0_4arch9wavefront6targetE0EEEvS12_,comdat
	.globl	_ZN7rocprim17ROCPRIM_400000_NS6detail17trampoline_kernelINS0_13select_configILj256ELj13ELNS0_17block_load_methodE3ELS4_3ELS4_3ELNS0_20block_scan_algorithmE0ELj4294967295EEENS1_25partition_config_selectorILNS1_17partition_subalgoE4EjNS0_10empty_typeEbEEZZNS1_14partition_implILS8_4ELb0ES6_15HIP_vector_typeIjLj2EENS0_17counting_iteratorIjlEEPS9_SG_NS0_5tupleIJPjSI_NS0_16reverse_iteratorISI_EEEEENSH_IJSG_SG_SG_EEES9_SI_JZNS1_25segmented_radix_sort_implINS0_14default_configELb0EPKbPbPKlPlN2at6native12_GLOBAL__N_18offset_tEEE10hipError_tPvRmT1_PNSt15iterator_traitsIS12_E10value_typeET2_T3_PNS13_IS18_E10value_typeET4_jRbjT5_S1E_jjP12ihipStream_tbEUljE_ZNSN_ISO_Lb0ESQ_SR_ST_SU_SY_EESZ_S10_S11_S12_S16_S17_S18_S1B_S1C_jS1D_jS1E_S1E_jjS1G_bEUljE0_EEESZ_S10_S11_S18_S1C_S1E_T6_T7_T9_mT8_S1G_bDpT10_ENKUlT_T0_E_clISt17integral_constantIbLb0EES1U_EEDaS1P_S1Q_EUlS1P_E_NS1_11comp_targetILNS1_3genE4ELNS1_11target_archE910ELNS1_3gpuE8ELNS1_3repE0EEENS1_30default_config_static_selectorELNS0_4arch9wavefront6targetE0EEEvS12_ ; -- Begin function _ZN7rocprim17ROCPRIM_400000_NS6detail17trampoline_kernelINS0_13select_configILj256ELj13ELNS0_17block_load_methodE3ELS4_3ELS4_3ELNS0_20block_scan_algorithmE0ELj4294967295EEENS1_25partition_config_selectorILNS1_17partition_subalgoE4EjNS0_10empty_typeEbEEZZNS1_14partition_implILS8_4ELb0ES6_15HIP_vector_typeIjLj2EENS0_17counting_iteratorIjlEEPS9_SG_NS0_5tupleIJPjSI_NS0_16reverse_iteratorISI_EEEEENSH_IJSG_SG_SG_EEES9_SI_JZNS1_25segmented_radix_sort_implINS0_14default_configELb0EPKbPbPKlPlN2at6native12_GLOBAL__N_18offset_tEEE10hipError_tPvRmT1_PNSt15iterator_traitsIS12_E10value_typeET2_T3_PNS13_IS18_E10value_typeET4_jRbjT5_S1E_jjP12ihipStream_tbEUljE_ZNSN_ISO_Lb0ESQ_SR_ST_SU_SY_EESZ_S10_S11_S12_S16_S17_S18_S1B_S1C_jS1D_jS1E_S1E_jjS1G_bEUljE0_EEESZ_S10_S11_S18_S1C_S1E_T6_T7_T9_mT8_S1G_bDpT10_ENKUlT_T0_E_clISt17integral_constantIbLb0EES1U_EEDaS1P_S1Q_EUlS1P_E_NS1_11comp_targetILNS1_3genE4ELNS1_11target_archE910ELNS1_3gpuE8ELNS1_3repE0EEENS1_30default_config_static_selectorELNS0_4arch9wavefront6targetE0EEEvS12_
	.p2align	8
	.type	_ZN7rocprim17ROCPRIM_400000_NS6detail17trampoline_kernelINS0_13select_configILj256ELj13ELNS0_17block_load_methodE3ELS4_3ELS4_3ELNS0_20block_scan_algorithmE0ELj4294967295EEENS1_25partition_config_selectorILNS1_17partition_subalgoE4EjNS0_10empty_typeEbEEZZNS1_14partition_implILS8_4ELb0ES6_15HIP_vector_typeIjLj2EENS0_17counting_iteratorIjlEEPS9_SG_NS0_5tupleIJPjSI_NS0_16reverse_iteratorISI_EEEEENSH_IJSG_SG_SG_EEES9_SI_JZNS1_25segmented_radix_sort_implINS0_14default_configELb0EPKbPbPKlPlN2at6native12_GLOBAL__N_18offset_tEEE10hipError_tPvRmT1_PNSt15iterator_traitsIS12_E10value_typeET2_T3_PNS13_IS18_E10value_typeET4_jRbjT5_S1E_jjP12ihipStream_tbEUljE_ZNSN_ISO_Lb0ESQ_SR_ST_SU_SY_EESZ_S10_S11_S12_S16_S17_S18_S1B_S1C_jS1D_jS1E_S1E_jjS1G_bEUljE0_EEESZ_S10_S11_S18_S1C_S1E_T6_T7_T9_mT8_S1G_bDpT10_ENKUlT_T0_E_clISt17integral_constantIbLb0EES1U_EEDaS1P_S1Q_EUlS1P_E_NS1_11comp_targetILNS1_3genE4ELNS1_11target_archE910ELNS1_3gpuE8ELNS1_3repE0EEENS1_30default_config_static_selectorELNS0_4arch9wavefront6targetE0EEEvS12_,@function
_ZN7rocprim17ROCPRIM_400000_NS6detail17trampoline_kernelINS0_13select_configILj256ELj13ELNS0_17block_load_methodE3ELS4_3ELS4_3ELNS0_20block_scan_algorithmE0ELj4294967295EEENS1_25partition_config_selectorILNS1_17partition_subalgoE4EjNS0_10empty_typeEbEEZZNS1_14partition_implILS8_4ELb0ES6_15HIP_vector_typeIjLj2EENS0_17counting_iteratorIjlEEPS9_SG_NS0_5tupleIJPjSI_NS0_16reverse_iteratorISI_EEEEENSH_IJSG_SG_SG_EEES9_SI_JZNS1_25segmented_radix_sort_implINS0_14default_configELb0EPKbPbPKlPlN2at6native12_GLOBAL__N_18offset_tEEE10hipError_tPvRmT1_PNSt15iterator_traitsIS12_E10value_typeET2_T3_PNS13_IS18_E10value_typeET4_jRbjT5_S1E_jjP12ihipStream_tbEUljE_ZNSN_ISO_Lb0ESQ_SR_ST_SU_SY_EESZ_S10_S11_S12_S16_S17_S18_S1B_S1C_jS1D_jS1E_S1E_jjS1G_bEUljE0_EEESZ_S10_S11_S18_S1C_S1E_T6_T7_T9_mT8_S1G_bDpT10_ENKUlT_T0_E_clISt17integral_constantIbLb0EES1U_EEDaS1P_S1Q_EUlS1P_E_NS1_11comp_targetILNS1_3genE4ELNS1_11target_archE910ELNS1_3gpuE8ELNS1_3repE0EEENS1_30default_config_static_selectorELNS0_4arch9wavefront6targetE0EEEvS12_: ; @_ZN7rocprim17ROCPRIM_400000_NS6detail17trampoline_kernelINS0_13select_configILj256ELj13ELNS0_17block_load_methodE3ELS4_3ELS4_3ELNS0_20block_scan_algorithmE0ELj4294967295EEENS1_25partition_config_selectorILNS1_17partition_subalgoE4EjNS0_10empty_typeEbEEZZNS1_14partition_implILS8_4ELb0ES6_15HIP_vector_typeIjLj2EENS0_17counting_iteratorIjlEEPS9_SG_NS0_5tupleIJPjSI_NS0_16reverse_iteratorISI_EEEEENSH_IJSG_SG_SG_EEES9_SI_JZNS1_25segmented_radix_sort_implINS0_14default_configELb0EPKbPbPKlPlN2at6native12_GLOBAL__N_18offset_tEEE10hipError_tPvRmT1_PNSt15iterator_traitsIS12_E10value_typeET2_T3_PNS13_IS18_E10value_typeET4_jRbjT5_S1E_jjP12ihipStream_tbEUljE_ZNSN_ISO_Lb0ESQ_SR_ST_SU_SY_EESZ_S10_S11_S12_S16_S17_S18_S1B_S1C_jS1D_jS1E_S1E_jjS1G_bEUljE0_EEESZ_S10_S11_S18_S1C_S1E_T6_T7_T9_mT8_S1G_bDpT10_ENKUlT_T0_E_clISt17integral_constantIbLb0EES1U_EEDaS1P_S1Q_EUlS1P_E_NS1_11comp_targetILNS1_3genE4ELNS1_11target_archE910ELNS1_3gpuE8ELNS1_3repE0EEENS1_30default_config_static_selectorELNS0_4arch9wavefront6targetE0EEEvS12_
; %bb.0:
	.section	.rodata,"a",@progbits
	.p2align	6, 0x0
	.amdhsa_kernel _ZN7rocprim17ROCPRIM_400000_NS6detail17trampoline_kernelINS0_13select_configILj256ELj13ELNS0_17block_load_methodE3ELS4_3ELS4_3ELNS0_20block_scan_algorithmE0ELj4294967295EEENS1_25partition_config_selectorILNS1_17partition_subalgoE4EjNS0_10empty_typeEbEEZZNS1_14partition_implILS8_4ELb0ES6_15HIP_vector_typeIjLj2EENS0_17counting_iteratorIjlEEPS9_SG_NS0_5tupleIJPjSI_NS0_16reverse_iteratorISI_EEEEENSH_IJSG_SG_SG_EEES9_SI_JZNS1_25segmented_radix_sort_implINS0_14default_configELb0EPKbPbPKlPlN2at6native12_GLOBAL__N_18offset_tEEE10hipError_tPvRmT1_PNSt15iterator_traitsIS12_E10value_typeET2_T3_PNS13_IS18_E10value_typeET4_jRbjT5_S1E_jjP12ihipStream_tbEUljE_ZNSN_ISO_Lb0ESQ_SR_ST_SU_SY_EESZ_S10_S11_S12_S16_S17_S18_S1B_S1C_jS1D_jS1E_S1E_jjS1G_bEUljE0_EEESZ_S10_S11_S18_S1C_S1E_T6_T7_T9_mT8_S1G_bDpT10_ENKUlT_T0_E_clISt17integral_constantIbLb0EES1U_EEDaS1P_S1Q_EUlS1P_E_NS1_11comp_targetILNS1_3genE4ELNS1_11target_archE910ELNS1_3gpuE8ELNS1_3repE0EEENS1_30default_config_static_selectorELNS0_4arch9wavefront6targetE0EEEvS12_
		.amdhsa_group_segment_fixed_size 0
		.amdhsa_private_segment_fixed_size 0
		.amdhsa_kernarg_size 176
		.amdhsa_user_sgpr_count 6
		.amdhsa_user_sgpr_private_segment_buffer 1
		.amdhsa_user_sgpr_dispatch_ptr 0
		.amdhsa_user_sgpr_queue_ptr 0
		.amdhsa_user_sgpr_kernarg_segment_ptr 1
		.amdhsa_user_sgpr_dispatch_id 0
		.amdhsa_user_sgpr_flat_scratch_init 0
		.amdhsa_user_sgpr_private_segment_size 0
		.amdhsa_wavefront_size32 1
		.amdhsa_uses_dynamic_stack 0
		.amdhsa_system_sgpr_private_segment_wavefront_offset 0
		.amdhsa_system_sgpr_workgroup_id_x 1
		.amdhsa_system_sgpr_workgroup_id_y 0
		.amdhsa_system_sgpr_workgroup_id_z 0
		.amdhsa_system_sgpr_workgroup_info 0
		.amdhsa_system_vgpr_workitem_id 0
		.amdhsa_next_free_vgpr 1
		.amdhsa_next_free_sgpr 1
		.amdhsa_reserve_vcc 0
		.amdhsa_reserve_flat_scratch 0
		.amdhsa_float_round_mode_32 0
		.amdhsa_float_round_mode_16_64 0
		.amdhsa_float_denorm_mode_32 3
		.amdhsa_float_denorm_mode_16_64 3
		.amdhsa_dx10_clamp 1
		.amdhsa_ieee_mode 1
		.amdhsa_fp16_overflow 0
		.amdhsa_workgroup_processor_mode 1
		.amdhsa_memory_ordered 1
		.amdhsa_forward_progress 1
		.amdhsa_shared_vgpr_count 0
		.amdhsa_exception_fp_ieee_invalid_op 0
		.amdhsa_exception_fp_denorm_src 0
		.amdhsa_exception_fp_ieee_div_zero 0
		.amdhsa_exception_fp_ieee_overflow 0
		.amdhsa_exception_fp_ieee_underflow 0
		.amdhsa_exception_fp_ieee_inexact 0
		.amdhsa_exception_int_div_zero 0
	.end_amdhsa_kernel
	.section	.text._ZN7rocprim17ROCPRIM_400000_NS6detail17trampoline_kernelINS0_13select_configILj256ELj13ELNS0_17block_load_methodE3ELS4_3ELS4_3ELNS0_20block_scan_algorithmE0ELj4294967295EEENS1_25partition_config_selectorILNS1_17partition_subalgoE4EjNS0_10empty_typeEbEEZZNS1_14partition_implILS8_4ELb0ES6_15HIP_vector_typeIjLj2EENS0_17counting_iteratorIjlEEPS9_SG_NS0_5tupleIJPjSI_NS0_16reverse_iteratorISI_EEEEENSH_IJSG_SG_SG_EEES9_SI_JZNS1_25segmented_radix_sort_implINS0_14default_configELb0EPKbPbPKlPlN2at6native12_GLOBAL__N_18offset_tEEE10hipError_tPvRmT1_PNSt15iterator_traitsIS12_E10value_typeET2_T3_PNS13_IS18_E10value_typeET4_jRbjT5_S1E_jjP12ihipStream_tbEUljE_ZNSN_ISO_Lb0ESQ_SR_ST_SU_SY_EESZ_S10_S11_S12_S16_S17_S18_S1B_S1C_jS1D_jS1E_S1E_jjS1G_bEUljE0_EEESZ_S10_S11_S18_S1C_S1E_T6_T7_T9_mT8_S1G_bDpT10_ENKUlT_T0_E_clISt17integral_constantIbLb0EES1U_EEDaS1P_S1Q_EUlS1P_E_NS1_11comp_targetILNS1_3genE4ELNS1_11target_archE910ELNS1_3gpuE8ELNS1_3repE0EEENS1_30default_config_static_selectorELNS0_4arch9wavefront6targetE0EEEvS12_,"axG",@progbits,_ZN7rocprim17ROCPRIM_400000_NS6detail17trampoline_kernelINS0_13select_configILj256ELj13ELNS0_17block_load_methodE3ELS4_3ELS4_3ELNS0_20block_scan_algorithmE0ELj4294967295EEENS1_25partition_config_selectorILNS1_17partition_subalgoE4EjNS0_10empty_typeEbEEZZNS1_14partition_implILS8_4ELb0ES6_15HIP_vector_typeIjLj2EENS0_17counting_iteratorIjlEEPS9_SG_NS0_5tupleIJPjSI_NS0_16reverse_iteratorISI_EEEEENSH_IJSG_SG_SG_EEES9_SI_JZNS1_25segmented_radix_sort_implINS0_14default_configELb0EPKbPbPKlPlN2at6native12_GLOBAL__N_18offset_tEEE10hipError_tPvRmT1_PNSt15iterator_traitsIS12_E10value_typeET2_T3_PNS13_IS18_E10value_typeET4_jRbjT5_S1E_jjP12ihipStream_tbEUljE_ZNSN_ISO_Lb0ESQ_SR_ST_SU_SY_EESZ_S10_S11_S12_S16_S17_S18_S1B_S1C_jS1D_jS1E_S1E_jjS1G_bEUljE0_EEESZ_S10_S11_S18_S1C_S1E_T6_T7_T9_mT8_S1G_bDpT10_ENKUlT_T0_E_clISt17integral_constantIbLb0EES1U_EEDaS1P_S1Q_EUlS1P_E_NS1_11comp_targetILNS1_3genE4ELNS1_11target_archE910ELNS1_3gpuE8ELNS1_3repE0EEENS1_30default_config_static_selectorELNS0_4arch9wavefront6targetE0EEEvS12_,comdat
.Lfunc_end1564:
	.size	_ZN7rocprim17ROCPRIM_400000_NS6detail17trampoline_kernelINS0_13select_configILj256ELj13ELNS0_17block_load_methodE3ELS4_3ELS4_3ELNS0_20block_scan_algorithmE0ELj4294967295EEENS1_25partition_config_selectorILNS1_17partition_subalgoE4EjNS0_10empty_typeEbEEZZNS1_14partition_implILS8_4ELb0ES6_15HIP_vector_typeIjLj2EENS0_17counting_iteratorIjlEEPS9_SG_NS0_5tupleIJPjSI_NS0_16reverse_iteratorISI_EEEEENSH_IJSG_SG_SG_EEES9_SI_JZNS1_25segmented_radix_sort_implINS0_14default_configELb0EPKbPbPKlPlN2at6native12_GLOBAL__N_18offset_tEEE10hipError_tPvRmT1_PNSt15iterator_traitsIS12_E10value_typeET2_T3_PNS13_IS18_E10value_typeET4_jRbjT5_S1E_jjP12ihipStream_tbEUljE_ZNSN_ISO_Lb0ESQ_SR_ST_SU_SY_EESZ_S10_S11_S12_S16_S17_S18_S1B_S1C_jS1D_jS1E_S1E_jjS1G_bEUljE0_EEESZ_S10_S11_S18_S1C_S1E_T6_T7_T9_mT8_S1G_bDpT10_ENKUlT_T0_E_clISt17integral_constantIbLb0EES1U_EEDaS1P_S1Q_EUlS1P_E_NS1_11comp_targetILNS1_3genE4ELNS1_11target_archE910ELNS1_3gpuE8ELNS1_3repE0EEENS1_30default_config_static_selectorELNS0_4arch9wavefront6targetE0EEEvS12_, .Lfunc_end1564-_ZN7rocprim17ROCPRIM_400000_NS6detail17trampoline_kernelINS0_13select_configILj256ELj13ELNS0_17block_load_methodE3ELS4_3ELS4_3ELNS0_20block_scan_algorithmE0ELj4294967295EEENS1_25partition_config_selectorILNS1_17partition_subalgoE4EjNS0_10empty_typeEbEEZZNS1_14partition_implILS8_4ELb0ES6_15HIP_vector_typeIjLj2EENS0_17counting_iteratorIjlEEPS9_SG_NS0_5tupleIJPjSI_NS0_16reverse_iteratorISI_EEEEENSH_IJSG_SG_SG_EEES9_SI_JZNS1_25segmented_radix_sort_implINS0_14default_configELb0EPKbPbPKlPlN2at6native12_GLOBAL__N_18offset_tEEE10hipError_tPvRmT1_PNSt15iterator_traitsIS12_E10value_typeET2_T3_PNS13_IS18_E10value_typeET4_jRbjT5_S1E_jjP12ihipStream_tbEUljE_ZNSN_ISO_Lb0ESQ_SR_ST_SU_SY_EESZ_S10_S11_S12_S16_S17_S18_S1B_S1C_jS1D_jS1E_S1E_jjS1G_bEUljE0_EEESZ_S10_S11_S18_S1C_S1E_T6_T7_T9_mT8_S1G_bDpT10_ENKUlT_T0_E_clISt17integral_constantIbLb0EES1U_EEDaS1P_S1Q_EUlS1P_E_NS1_11comp_targetILNS1_3genE4ELNS1_11target_archE910ELNS1_3gpuE8ELNS1_3repE0EEENS1_30default_config_static_selectorELNS0_4arch9wavefront6targetE0EEEvS12_
                                        ; -- End function
	.set _ZN7rocprim17ROCPRIM_400000_NS6detail17trampoline_kernelINS0_13select_configILj256ELj13ELNS0_17block_load_methodE3ELS4_3ELS4_3ELNS0_20block_scan_algorithmE0ELj4294967295EEENS1_25partition_config_selectorILNS1_17partition_subalgoE4EjNS0_10empty_typeEbEEZZNS1_14partition_implILS8_4ELb0ES6_15HIP_vector_typeIjLj2EENS0_17counting_iteratorIjlEEPS9_SG_NS0_5tupleIJPjSI_NS0_16reverse_iteratorISI_EEEEENSH_IJSG_SG_SG_EEES9_SI_JZNS1_25segmented_radix_sort_implINS0_14default_configELb0EPKbPbPKlPlN2at6native12_GLOBAL__N_18offset_tEEE10hipError_tPvRmT1_PNSt15iterator_traitsIS12_E10value_typeET2_T3_PNS13_IS18_E10value_typeET4_jRbjT5_S1E_jjP12ihipStream_tbEUljE_ZNSN_ISO_Lb0ESQ_SR_ST_SU_SY_EESZ_S10_S11_S12_S16_S17_S18_S1B_S1C_jS1D_jS1E_S1E_jjS1G_bEUljE0_EEESZ_S10_S11_S18_S1C_S1E_T6_T7_T9_mT8_S1G_bDpT10_ENKUlT_T0_E_clISt17integral_constantIbLb0EES1U_EEDaS1P_S1Q_EUlS1P_E_NS1_11comp_targetILNS1_3genE4ELNS1_11target_archE910ELNS1_3gpuE8ELNS1_3repE0EEENS1_30default_config_static_selectorELNS0_4arch9wavefront6targetE0EEEvS12_.num_vgpr, 0
	.set _ZN7rocprim17ROCPRIM_400000_NS6detail17trampoline_kernelINS0_13select_configILj256ELj13ELNS0_17block_load_methodE3ELS4_3ELS4_3ELNS0_20block_scan_algorithmE0ELj4294967295EEENS1_25partition_config_selectorILNS1_17partition_subalgoE4EjNS0_10empty_typeEbEEZZNS1_14partition_implILS8_4ELb0ES6_15HIP_vector_typeIjLj2EENS0_17counting_iteratorIjlEEPS9_SG_NS0_5tupleIJPjSI_NS0_16reverse_iteratorISI_EEEEENSH_IJSG_SG_SG_EEES9_SI_JZNS1_25segmented_radix_sort_implINS0_14default_configELb0EPKbPbPKlPlN2at6native12_GLOBAL__N_18offset_tEEE10hipError_tPvRmT1_PNSt15iterator_traitsIS12_E10value_typeET2_T3_PNS13_IS18_E10value_typeET4_jRbjT5_S1E_jjP12ihipStream_tbEUljE_ZNSN_ISO_Lb0ESQ_SR_ST_SU_SY_EESZ_S10_S11_S12_S16_S17_S18_S1B_S1C_jS1D_jS1E_S1E_jjS1G_bEUljE0_EEESZ_S10_S11_S18_S1C_S1E_T6_T7_T9_mT8_S1G_bDpT10_ENKUlT_T0_E_clISt17integral_constantIbLb0EES1U_EEDaS1P_S1Q_EUlS1P_E_NS1_11comp_targetILNS1_3genE4ELNS1_11target_archE910ELNS1_3gpuE8ELNS1_3repE0EEENS1_30default_config_static_selectorELNS0_4arch9wavefront6targetE0EEEvS12_.num_agpr, 0
	.set _ZN7rocprim17ROCPRIM_400000_NS6detail17trampoline_kernelINS0_13select_configILj256ELj13ELNS0_17block_load_methodE3ELS4_3ELS4_3ELNS0_20block_scan_algorithmE0ELj4294967295EEENS1_25partition_config_selectorILNS1_17partition_subalgoE4EjNS0_10empty_typeEbEEZZNS1_14partition_implILS8_4ELb0ES6_15HIP_vector_typeIjLj2EENS0_17counting_iteratorIjlEEPS9_SG_NS0_5tupleIJPjSI_NS0_16reverse_iteratorISI_EEEEENSH_IJSG_SG_SG_EEES9_SI_JZNS1_25segmented_radix_sort_implINS0_14default_configELb0EPKbPbPKlPlN2at6native12_GLOBAL__N_18offset_tEEE10hipError_tPvRmT1_PNSt15iterator_traitsIS12_E10value_typeET2_T3_PNS13_IS18_E10value_typeET4_jRbjT5_S1E_jjP12ihipStream_tbEUljE_ZNSN_ISO_Lb0ESQ_SR_ST_SU_SY_EESZ_S10_S11_S12_S16_S17_S18_S1B_S1C_jS1D_jS1E_S1E_jjS1G_bEUljE0_EEESZ_S10_S11_S18_S1C_S1E_T6_T7_T9_mT8_S1G_bDpT10_ENKUlT_T0_E_clISt17integral_constantIbLb0EES1U_EEDaS1P_S1Q_EUlS1P_E_NS1_11comp_targetILNS1_3genE4ELNS1_11target_archE910ELNS1_3gpuE8ELNS1_3repE0EEENS1_30default_config_static_selectorELNS0_4arch9wavefront6targetE0EEEvS12_.numbered_sgpr, 0
	.set _ZN7rocprim17ROCPRIM_400000_NS6detail17trampoline_kernelINS0_13select_configILj256ELj13ELNS0_17block_load_methodE3ELS4_3ELS4_3ELNS0_20block_scan_algorithmE0ELj4294967295EEENS1_25partition_config_selectorILNS1_17partition_subalgoE4EjNS0_10empty_typeEbEEZZNS1_14partition_implILS8_4ELb0ES6_15HIP_vector_typeIjLj2EENS0_17counting_iteratorIjlEEPS9_SG_NS0_5tupleIJPjSI_NS0_16reverse_iteratorISI_EEEEENSH_IJSG_SG_SG_EEES9_SI_JZNS1_25segmented_radix_sort_implINS0_14default_configELb0EPKbPbPKlPlN2at6native12_GLOBAL__N_18offset_tEEE10hipError_tPvRmT1_PNSt15iterator_traitsIS12_E10value_typeET2_T3_PNS13_IS18_E10value_typeET4_jRbjT5_S1E_jjP12ihipStream_tbEUljE_ZNSN_ISO_Lb0ESQ_SR_ST_SU_SY_EESZ_S10_S11_S12_S16_S17_S18_S1B_S1C_jS1D_jS1E_S1E_jjS1G_bEUljE0_EEESZ_S10_S11_S18_S1C_S1E_T6_T7_T9_mT8_S1G_bDpT10_ENKUlT_T0_E_clISt17integral_constantIbLb0EES1U_EEDaS1P_S1Q_EUlS1P_E_NS1_11comp_targetILNS1_3genE4ELNS1_11target_archE910ELNS1_3gpuE8ELNS1_3repE0EEENS1_30default_config_static_selectorELNS0_4arch9wavefront6targetE0EEEvS12_.num_named_barrier, 0
	.set _ZN7rocprim17ROCPRIM_400000_NS6detail17trampoline_kernelINS0_13select_configILj256ELj13ELNS0_17block_load_methodE3ELS4_3ELS4_3ELNS0_20block_scan_algorithmE0ELj4294967295EEENS1_25partition_config_selectorILNS1_17partition_subalgoE4EjNS0_10empty_typeEbEEZZNS1_14partition_implILS8_4ELb0ES6_15HIP_vector_typeIjLj2EENS0_17counting_iteratorIjlEEPS9_SG_NS0_5tupleIJPjSI_NS0_16reverse_iteratorISI_EEEEENSH_IJSG_SG_SG_EEES9_SI_JZNS1_25segmented_radix_sort_implINS0_14default_configELb0EPKbPbPKlPlN2at6native12_GLOBAL__N_18offset_tEEE10hipError_tPvRmT1_PNSt15iterator_traitsIS12_E10value_typeET2_T3_PNS13_IS18_E10value_typeET4_jRbjT5_S1E_jjP12ihipStream_tbEUljE_ZNSN_ISO_Lb0ESQ_SR_ST_SU_SY_EESZ_S10_S11_S12_S16_S17_S18_S1B_S1C_jS1D_jS1E_S1E_jjS1G_bEUljE0_EEESZ_S10_S11_S18_S1C_S1E_T6_T7_T9_mT8_S1G_bDpT10_ENKUlT_T0_E_clISt17integral_constantIbLb0EES1U_EEDaS1P_S1Q_EUlS1P_E_NS1_11comp_targetILNS1_3genE4ELNS1_11target_archE910ELNS1_3gpuE8ELNS1_3repE0EEENS1_30default_config_static_selectorELNS0_4arch9wavefront6targetE0EEEvS12_.private_seg_size, 0
	.set _ZN7rocprim17ROCPRIM_400000_NS6detail17trampoline_kernelINS0_13select_configILj256ELj13ELNS0_17block_load_methodE3ELS4_3ELS4_3ELNS0_20block_scan_algorithmE0ELj4294967295EEENS1_25partition_config_selectorILNS1_17partition_subalgoE4EjNS0_10empty_typeEbEEZZNS1_14partition_implILS8_4ELb0ES6_15HIP_vector_typeIjLj2EENS0_17counting_iteratorIjlEEPS9_SG_NS0_5tupleIJPjSI_NS0_16reverse_iteratorISI_EEEEENSH_IJSG_SG_SG_EEES9_SI_JZNS1_25segmented_radix_sort_implINS0_14default_configELb0EPKbPbPKlPlN2at6native12_GLOBAL__N_18offset_tEEE10hipError_tPvRmT1_PNSt15iterator_traitsIS12_E10value_typeET2_T3_PNS13_IS18_E10value_typeET4_jRbjT5_S1E_jjP12ihipStream_tbEUljE_ZNSN_ISO_Lb0ESQ_SR_ST_SU_SY_EESZ_S10_S11_S12_S16_S17_S18_S1B_S1C_jS1D_jS1E_S1E_jjS1G_bEUljE0_EEESZ_S10_S11_S18_S1C_S1E_T6_T7_T9_mT8_S1G_bDpT10_ENKUlT_T0_E_clISt17integral_constantIbLb0EES1U_EEDaS1P_S1Q_EUlS1P_E_NS1_11comp_targetILNS1_3genE4ELNS1_11target_archE910ELNS1_3gpuE8ELNS1_3repE0EEENS1_30default_config_static_selectorELNS0_4arch9wavefront6targetE0EEEvS12_.uses_vcc, 0
	.set _ZN7rocprim17ROCPRIM_400000_NS6detail17trampoline_kernelINS0_13select_configILj256ELj13ELNS0_17block_load_methodE3ELS4_3ELS4_3ELNS0_20block_scan_algorithmE0ELj4294967295EEENS1_25partition_config_selectorILNS1_17partition_subalgoE4EjNS0_10empty_typeEbEEZZNS1_14partition_implILS8_4ELb0ES6_15HIP_vector_typeIjLj2EENS0_17counting_iteratorIjlEEPS9_SG_NS0_5tupleIJPjSI_NS0_16reverse_iteratorISI_EEEEENSH_IJSG_SG_SG_EEES9_SI_JZNS1_25segmented_radix_sort_implINS0_14default_configELb0EPKbPbPKlPlN2at6native12_GLOBAL__N_18offset_tEEE10hipError_tPvRmT1_PNSt15iterator_traitsIS12_E10value_typeET2_T3_PNS13_IS18_E10value_typeET4_jRbjT5_S1E_jjP12ihipStream_tbEUljE_ZNSN_ISO_Lb0ESQ_SR_ST_SU_SY_EESZ_S10_S11_S12_S16_S17_S18_S1B_S1C_jS1D_jS1E_S1E_jjS1G_bEUljE0_EEESZ_S10_S11_S18_S1C_S1E_T6_T7_T9_mT8_S1G_bDpT10_ENKUlT_T0_E_clISt17integral_constantIbLb0EES1U_EEDaS1P_S1Q_EUlS1P_E_NS1_11comp_targetILNS1_3genE4ELNS1_11target_archE910ELNS1_3gpuE8ELNS1_3repE0EEENS1_30default_config_static_selectorELNS0_4arch9wavefront6targetE0EEEvS12_.uses_flat_scratch, 0
	.set _ZN7rocprim17ROCPRIM_400000_NS6detail17trampoline_kernelINS0_13select_configILj256ELj13ELNS0_17block_load_methodE3ELS4_3ELS4_3ELNS0_20block_scan_algorithmE0ELj4294967295EEENS1_25partition_config_selectorILNS1_17partition_subalgoE4EjNS0_10empty_typeEbEEZZNS1_14partition_implILS8_4ELb0ES6_15HIP_vector_typeIjLj2EENS0_17counting_iteratorIjlEEPS9_SG_NS0_5tupleIJPjSI_NS0_16reverse_iteratorISI_EEEEENSH_IJSG_SG_SG_EEES9_SI_JZNS1_25segmented_radix_sort_implINS0_14default_configELb0EPKbPbPKlPlN2at6native12_GLOBAL__N_18offset_tEEE10hipError_tPvRmT1_PNSt15iterator_traitsIS12_E10value_typeET2_T3_PNS13_IS18_E10value_typeET4_jRbjT5_S1E_jjP12ihipStream_tbEUljE_ZNSN_ISO_Lb0ESQ_SR_ST_SU_SY_EESZ_S10_S11_S12_S16_S17_S18_S1B_S1C_jS1D_jS1E_S1E_jjS1G_bEUljE0_EEESZ_S10_S11_S18_S1C_S1E_T6_T7_T9_mT8_S1G_bDpT10_ENKUlT_T0_E_clISt17integral_constantIbLb0EES1U_EEDaS1P_S1Q_EUlS1P_E_NS1_11comp_targetILNS1_3genE4ELNS1_11target_archE910ELNS1_3gpuE8ELNS1_3repE0EEENS1_30default_config_static_selectorELNS0_4arch9wavefront6targetE0EEEvS12_.has_dyn_sized_stack, 0
	.set _ZN7rocprim17ROCPRIM_400000_NS6detail17trampoline_kernelINS0_13select_configILj256ELj13ELNS0_17block_load_methodE3ELS4_3ELS4_3ELNS0_20block_scan_algorithmE0ELj4294967295EEENS1_25partition_config_selectorILNS1_17partition_subalgoE4EjNS0_10empty_typeEbEEZZNS1_14partition_implILS8_4ELb0ES6_15HIP_vector_typeIjLj2EENS0_17counting_iteratorIjlEEPS9_SG_NS0_5tupleIJPjSI_NS0_16reverse_iteratorISI_EEEEENSH_IJSG_SG_SG_EEES9_SI_JZNS1_25segmented_radix_sort_implINS0_14default_configELb0EPKbPbPKlPlN2at6native12_GLOBAL__N_18offset_tEEE10hipError_tPvRmT1_PNSt15iterator_traitsIS12_E10value_typeET2_T3_PNS13_IS18_E10value_typeET4_jRbjT5_S1E_jjP12ihipStream_tbEUljE_ZNSN_ISO_Lb0ESQ_SR_ST_SU_SY_EESZ_S10_S11_S12_S16_S17_S18_S1B_S1C_jS1D_jS1E_S1E_jjS1G_bEUljE0_EEESZ_S10_S11_S18_S1C_S1E_T6_T7_T9_mT8_S1G_bDpT10_ENKUlT_T0_E_clISt17integral_constantIbLb0EES1U_EEDaS1P_S1Q_EUlS1P_E_NS1_11comp_targetILNS1_3genE4ELNS1_11target_archE910ELNS1_3gpuE8ELNS1_3repE0EEENS1_30default_config_static_selectorELNS0_4arch9wavefront6targetE0EEEvS12_.has_recursion, 0
	.set _ZN7rocprim17ROCPRIM_400000_NS6detail17trampoline_kernelINS0_13select_configILj256ELj13ELNS0_17block_load_methodE3ELS4_3ELS4_3ELNS0_20block_scan_algorithmE0ELj4294967295EEENS1_25partition_config_selectorILNS1_17partition_subalgoE4EjNS0_10empty_typeEbEEZZNS1_14partition_implILS8_4ELb0ES6_15HIP_vector_typeIjLj2EENS0_17counting_iteratorIjlEEPS9_SG_NS0_5tupleIJPjSI_NS0_16reverse_iteratorISI_EEEEENSH_IJSG_SG_SG_EEES9_SI_JZNS1_25segmented_radix_sort_implINS0_14default_configELb0EPKbPbPKlPlN2at6native12_GLOBAL__N_18offset_tEEE10hipError_tPvRmT1_PNSt15iterator_traitsIS12_E10value_typeET2_T3_PNS13_IS18_E10value_typeET4_jRbjT5_S1E_jjP12ihipStream_tbEUljE_ZNSN_ISO_Lb0ESQ_SR_ST_SU_SY_EESZ_S10_S11_S12_S16_S17_S18_S1B_S1C_jS1D_jS1E_S1E_jjS1G_bEUljE0_EEESZ_S10_S11_S18_S1C_S1E_T6_T7_T9_mT8_S1G_bDpT10_ENKUlT_T0_E_clISt17integral_constantIbLb0EES1U_EEDaS1P_S1Q_EUlS1P_E_NS1_11comp_targetILNS1_3genE4ELNS1_11target_archE910ELNS1_3gpuE8ELNS1_3repE0EEENS1_30default_config_static_selectorELNS0_4arch9wavefront6targetE0EEEvS12_.has_indirect_call, 0
	.section	.AMDGPU.csdata,"",@progbits
; Kernel info:
; codeLenInByte = 0
; TotalNumSgprs: 0
; NumVgprs: 0
; ScratchSize: 0
; MemoryBound: 0
; FloatMode: 240
; IeeeMode: 1
; LDSByteSize: 0 bytes/workgroup (compile time only)
; SGPRBlocks: 0
; VGPRBlocks: 0
; NumSGPRsForWavesPerEU: 1
; NumVGPRsForWavesPerEU: 1
; Occupancy: 16
; WaveLimiterHint : 0
; COMPUTE_PGM_RSRC2:SCRATCH_EN: 0
; COMPUTE_PGM_RSRC2:USER_SGPR: 6
; COMPUTE_PGM_RSRC2:TRAP_HANDLER: 0
; COMPUTE_PGM_RSRC2:TGID_X_EN: 1
; COMPUTE_PGM_RSRC2:TGID_Y_EN: 0
; COMPUTE_PGM_RSRC2:TGID_Z_EN: 0
; COMPUTE_PGM_RSRC2:TIDIG_COMP_CNT: 0
	.section	.text._ZN7rocprim17ROCPRIM_400000_NS6detail17trampoline_kernelINS0_13select_configILj256ELj13ELNS0_17block_load_methodE3ELS4_3ELS4_3ELNS0_20block_scan_algorithmE0ELj4294967295EEENS1_25partition_config_selectorILNS1_17partition_subalgoE4EjNS0_10empty_typeEbEEZZNS1_14partition_implILS8_4ELb0ES6_15HIP_vector_typeIjLj2EENS0_17counting_iteratorIjlEEPS9_SG_NS0_5tupleIJPjSI_NS0_16reverse_iteratorISI_EEEEENSH_IJSG_SG_SG_EEES9_SI_JZNS1_25segmented_radix_sort_implINS0_14default_configELb0EPKbPbPKlPlN2at6native12_GLOBAL__N_18offset_tEEE10hipError_tPvRmT1_PNSt15iterator_traitsIS12_E10value_typeET2_T3_PNS13_IS18_E10value_typeET4_jRbjT5_S1E_jjP12ihipStream_tbEUljE_ZNSN_ISO_Lb0ESQ_SR_ST_SU_SY_EESZ_S10_S11_S12_S16_S17_S18_S1B_S1C_jS1D_jS1E_S1E_jjS1G_bEUljE0_EEESZ_S10_S11_S18_S1C_S1E_T6_T7_T9_mT8_S1G_bDpT10_ENKUlT_T0_E_clISt17integral_constantIbLb0EES1U_EEDaS1P_S1Q_EUlS1P_E_NS1_11comp_targetILNS1_3genE3ELNS1_11target_archE908ELNS1_3gpuE7ELNS1_3repE0EEENS1_30default_config_static_selectorELNS0_4arch9wavefront6targetE0EEEvS12_,"axG",@progbits,_ZN7rocprim17ROCPRIM_400000_NS6detail17trampoline_kernelINS0_13select_configILj256ELj13ELNS0_17block_load_methodE3ELS4_3ELS4_3ELNS0_20block_scan_algorithmE0ELj4294967295EEENS1_25partition_config_selectorILNS1_17partition_subalgoE4EjNS0_10empty_typeEbEEZZNS1_14partition_implILS8_4ELb0ES6_15HIP_vector_typeIjLj2EENS0_17counting_iteratorIjlEEPS9_SG_NS0_5tupleIJPjSI_NS0_16reverse_iteratorISI_EEEEENSH_IJSG_SG_SG_EEES9_SI_JZNS1_25segmented_radix_sort_implINS0_14default_configELb0EPKbPbPKlPlN2at6native12_GLOBAL__N_18offset_tEEE10hipError_tPvRmT1_PNSt15iterator_traitsIS12_E10value_typeET2_T3_PNS13_IS18_E10value_typeET4_jRbjT5_S1E_jjP12ihipStream_tbEUljE_ZNSN_ISO_Lb0ESQ_SR_ST_SU_SY_EESZ_S10_S11_S12_S16_S17_S18_S1B_S1C_jS1D_jS1E_S1E_jjS1G_bEUljE0_EEESZ_S10_S11_S18_S1C_S1E_T6_T7_T9_mT8_S1G_bDpT10_ENKUlT_T0_E_clISt17integral_constantIbLb0EES1U_EEDaS1P_S1Q_EUlS1P_E_NS1_11comp_targetILNS1_3genE3ELNS1_11target_archE908ELNS1_3gpuE7ELNS1_3repE0EEENS1_30default_config_static_selectorELNS0_4arch9wavefront6targetE0EEEvS12_,comdat
	.globl	_ZN7rocprim17ROCPRIM_400000_NS6detail17trampoline_kernelINS0_13select_configILj256ELj13ELNS0_17block_load_methodE3ELS4_3ELS4_3ELNS0_20block_scan_algorithmE0ELj4294967295EEENS1_25partition_config_selectorILNS1_17partition_subalgoE4EjNS0_10empty_typeEbEEZZNS1_14partition_implILS8_4ELb0ES6_15HIP_vector_typeIjLj2EENS0_17counting_iteratorIjlEEPS9_SG_NS0_5tupleIJPjSI_NS0_16reverse_iteratorISI_EEEEENSH_IJSG_SG_SG_EEES9_SI_JZNS1_25segmented_radix_sort_implINS0_14default_configELb0EPKbPbPKlPlN2at6native12_GLOBAL__N_18offset_tEEE10hipError_tPvRmT1_PNSt15iterator_traitsIS12_E10value_typeET2_T3_PNS13_IS18_E10value_typeET4_jRbjT5_S1E_jjP12ihipStream_tbEUljE_ZNSN_ISO_Lb0ESQ_SR_ST_SU_SY_EESZ_S10_S11_S12_S16_S17_S18_S1B_S1C_jS1D_jS1E_S1E_jjS1G_bEUljE0_EEESZ_S10_S11_S18_S1C_S1E_T6_T7_T9_mT8_S1G_bDpT10_ENKUlT_T0_E_clISt17integral_constantIbLb0EES1U_EEDaS1P_S1Q_EUlS1P_E_NS1_11comp_targetILNS1_3genE3ELNS1_11target_archE908ELNS1_3gpuE7ELNS1_3repE0EEENS1_30default_config_static_selectorELNS0_4arch9wavefront6targetE0EEEvS12_ ; -- Begin function _ZN7rocprim17ROCPRIM_400000_NS6detail17trampoline_kernelINS0_13select_configILj256ELj13ELNS0_17block_load_methodE3ELS4_3ELS4_3ELNS0_20block_scan_algorithmE0ELj4294967295EEENS1_25partition_config_selectorILNS1_17partition_subalgoE4EjNS0_10empty_typeEbEEZZNS1_14partition_implILS8_4ELb0ES6_15HIP_vector_typeIjLj2EENS0_17counting_iteratorIjlEEPS9_SG_NS0_5tupleIJPjSI_NS0_16reverse_iteratorISI_EEEEENSH_IJSG_SG_SG_EEES9_SI_JZNS1_25segmented_radix_sort_implINS0_14default_configELb0EPKbPbPKlPlN2at6native12_GLOBAL__N_18offset_tEEE10hipError_tPvRmT1_PNSt15iterator_traitsIS12_E10value_typeET2_T3_PNS13_IS18_E10value_typeET4_jRbjT5_S1E_jjP12ihipStream_tbEUljE_ZNSN_ISO_Lb0ESQ_SR_ST_SU_SY_EESZ_S10_S11_S12_S16_S17_S18_S1B_S1C_jS1D_jS1E_S1E_jjS1G_bEUljE0_EEESZ_S10_S11_S18_S1C_S1E_T6_T7_T9_mT8_S1G_bDpT10_ENKUlT_T0_E_clISt17integral_constantIbLb0EES1U_EEDaS1P_S1Q_EUlS1P_E_NS1_11comp_targetILNS1_3genE3ELNS1_11target_archE908ELNS1_3gpuE7ELNS1_3repE0EEENS1_30default_config_static_selectorELNS0_4arch9wavefront6targetE0EEEvS12_
	.p2align	8
	.type	_ZN7rocprim17ROCPRIM_400000_NS6detail17trampoline_kernelINS0_13select_configILj256ELj13ELNS0_17block_load_methodE3ELS4_3ELS4_3ELNS0_20block_scan_algorithmE0ELj4294967295EEENS1_25partition_config_selectorILNS1_17partition_subalgoE4EjNS0_10empty_typeEbEEZZNS1_14partition_implILS8_4ELb0ES6_15HIP_vector_typeIjLj2EENS0_17counting_iteratorIjlEEPS9_SG_NS0_5tupleIJPjSI_NS0_16reverse_iteratorISI_EEEEENSH_IJSG_SG_SG_EEES9_SI_JZNS1_25segmented_radix_sort_implINS0_14default_configELb0EPKbPbPKlPlN2at6native12_GLOBAL__N_18offset_tEEE10hipError_tPvRmT1_PNSt15iterator_traitsIS12_E10value_typeET2_T3_PNS13_IS18_E10value_typeET4_jRbjT5_S1E_jjP12ihipStream_tbEUljE_ZNSN_ISO_Lb0ESQ_SR_ST_SU_SY_EESZ_S10_S11_S12_S16_S17_S18_S1B_S1C_jS1D_jS1E_S1E_jjS1G_bEUljE0_EEESZ_S10_S11_S18_S1C_S1E_T6_T7_T9_mT8_S1G_bDpT10_ENKUlT_T0_E_clISt17integral_constantIbLb0EES1U_EEDaS1P_S1Q_EUlS1P_E_NS1_11comp_targetILNS1_3genE3ELNS1_11target_archE908ELNS1_3gpuE7ELNS1_3repE0EEENS1_30default_config_static_selectorELNS0_4arch9wavefront6targetE0EEEvS12_,@function
_ZN7rocprim17ROCPRIM_400000_NS6detail17trampoline_kernelINS0_13select_configILj256ELj13ELNS0_17block_load_methodE3ELS4_3ELS4_3ELNS0_20block_scan_algorithmE0ELj4294967295EEENS1_25partition_config_selectorILNS1_17partition_subalgoE4EjNS0_10empty_typeEbEEZZNS1_14partition_implILS8_4ELb0ES6_15HIP_vector_typeIjLj2EENS0_17counting_iteratorIjlEEPS9_SG_NS0_5tupleIJPjSI_NS0_16reverse_iteratorISI_EEEEENSH_IJSG_SG_SG_EEES9_SI_JZNS1_25segmented_radix_sort_implINS0_14default_configELb0EPKbPbPKlPlN2at6native12_GLOBAL__N_18offset_tEEE10hipError_tPvRmT1_PNSt15iterator_traitsIS12_E10value_typeET2_T3_PNS13_IS18_E10value_typeET4_jRbjT5_S1E_jjP12ihipStream_tbEUljE_ZNSN_ISO_Lb0ESQ_SR_ST_SU_SY_EESZ_S10_S11_S12_S16_S17_S18_S1B_S1C_jS1D_jS1E_S1E_jjS1G_bEUljE0_EEESZ_S10_S11_S18_S1C_S1E_T6_T7_T9_mT8_S1G_bDpT10_ENKUlT_T0_E_clISt17integral_constantIbLb0EES1U_EEDaS1P_S1Q_EUlS1P_E_NS1_11comp_targetILNS1_3genE3ELNS1_11target_archE908ELNS1_3gpuE7ELNS1_3repE0EEENS1_30default_config_static_selectorELNS0_4arch9wavefront6targetE0EEEvS12_: ; @_ZN7rocprim17ROCPRIM_400000_NS6detail17trampoline_kernelINS0_13select_configILj256ELj13ELNS0_17block_load_methodE3ELS4_3ELS4_3ELNS0_20block_scan_algorithmE0ELj4294967295EEENS1_25partition_config_selectorILNS1_17partition_subalgoE4EjNS0_10empty_typeEbEEZZNS1_14partition_implILS8_4ELb0ES6_15HIP_vector_typeIjLj2EENS0_17counting_iteratorIjlEEPS9_SG_NS0_5tupleIJPjSI_NS0_16reverse_iteratorISI_EEEEENSH_IJSG_SG_SG_EEES9_SI_JZNS1_25segmented_radix_sort_implINS0_14default_configELb0EPKbPbPKlPlN2at6native12_GLOBAL__N_18offset_tEEE10hipError_tPvRmT1_PNSt15iterator_traitsIS12_E10value_typeET2_T3_PNS13_IS18_E10value_typeET4_jRbjT5_S1E_jjP12ihipStream_tbEUljE_ZNSN_ISO_Lb0ESQ_SR_ST_SU_SY_EESZ_S10_S11_S12_S16_S17_S18_S1B_S1C_jS1D_jS1E_S1E_jjS1G_bEUljE0_EEESZ_S10_S11_S18_S1C_S1E_T6_T7_T9_mT8_S1G_bDpT10_ENKUlT_T0_E_clISt17integral_constantIbLb0EES1U_EEDaS1P_S1Q_EUlS1P_E_NS1_11comp_targetILNS1_3genE3ELNS1_11target_archE908ELNS1_3gpuE7ELNS1_3repE0EEENS1_30default_config_static_selectorELNS0_4arch9wavefront6targetE0EEEvS12_
; %bb.0:
	.section	.rodata,"a",@progbits
	.p2align	6, 0x0
	.amdhsa_kernel _ZN7rocprim17ROCPRIM_400000_NS6detail17trampoline_kernelINS0_13select_configILj256ELj13ELNS0_17block_load_methodE3ELS4_3ELS4_3ELNS0_20block_scan_algorithmE0ELj4294967295EEENS1_25partition_config_selectorILNS1_17partition_subalgoE4EjNS0_10empty_typeEbEEZZNS1_14partition_implILS8_4ELb0ES6_15HIP_vector_typeIjLj2EENS0_17counting_iteratorIjlEEPS9_SG_NS0_5tupleIJPjSI_NS0_16reverse_iteratorISI_EEEEENSH_IJSG_SG_SG_EEES9_SI_JZNS1_25segmented_radix_sort_implINS0_14default_configELb0EPKbPbPKlPlN2at6native12_GLOBAL__N_18offset_tEEE10hipError_tPvRmT1_PNSt15iterator_traitsIS12_E10value_typeET2_T3_PNS13_IS18_E10value_typeET4_jRbjT5_S1E_jjP12ihipStream_tbEUljE_ZNSN_ISO_Lb0ESQ_SR_ST_SU_SY_EESZ_S10_S11_S12_S16_S17_S18_S1B_S1C_jS1D_jS1E_S1E_jjS1G_bEUljE0_EEESZ_S10_S11_S18_S1C_S1E_T6_T7_T9_mT8_S1G_bDpT10_ENKUlT_T0_E_clISt17integral_constantIbLb0EES1U_EEDaS1P_S1Q_EUlS1P_E_NS1_11comp_targetILNS1_3genE3ELNS1_11target_archE908ELNS1_3gpuE7ELNS1_3repE0EEENS1_30default_config_static_selectorELNS0_4arch9wavefront6targetE0EEEvS12_
		.amdhsa_group_segment_fixed_size 0
		.amdhsa_private_segment_fixed_size 0
		.amdhsa_kernarg_size 176
		.amdhsa_user_sgpr_count 6
		.amdhsa_user_sgpr_private_segment_buffer 1
		.amdhsa_user_sgpr_dispatch_ptr 0
		.amdhsa_user_sgpr_queue_ptr 0
		.amdhsa_user_sgpr_kernarg_segment_ptr 1
		.amdhsa_user_sgpr_dispatch_id 0
		.amdhsa_user_sgpr_flat_scratch_init 0
		.amdhsa_user_sgpr_private_segment_size 0
		.amdhsa_wavefront_size32 1
		.amdhsa_uses_dynamic_stack 0
		.amdhsa_system_sgpr_private_segment_wavefront_offset 0
		.amdhsa_system_sgpr_workgroup_id_x 1
		.amdhsa_system_sgpr_workgroup_id_y 0
		.amdhsa_system_sgpr_workgroup_id_z 0
		.amdhsa_system_sgpr_workgroup_info 0
		.amdhsa_system_vgpr_workitem_id 0
		.amdhsa_next_free_vgpr 1
		.amdhsa_next_free_sgpr 1
		.amdhsa_reserve_vcc 0
		.amdhsa_reserve_flat_scratch 0
		.amdhsa_float_round_mode_32 0
		.amdhsa_float_round_mode_16_64 0
		.amdhsa_float_denorm_mode_32 3
		.amdhsa_float_denorm_mode_16_64 3
		.amdhsa_dx10_clamp 1
		.amdhsa_ieee_mode 1
		.amdhsa_fp16_overflow 0
		.amdhsa_workgroup_processor_mode 1
		.amdhsa_memory_ordered 1
		.amdhsa_forward_progress 1
		.amdhsa_shared_vgpr_count 0
		.amdhsa_exception_fp_ieee_invalid_op 0
		.amdhsa_exception_fp_denorm_src 0
		.amdhsa_exception_fp_ieee_div_zero 0
		.amdhsa_exception_fp_ieee_overflow 0
		.amdhsa_exception_fp_ieee_underflow 0
		.amdhsa_exception_fp_ieee_inexact 0
		.amdhsa_exception_int_div_zero 0
	.end_amdhsa_kernel
	.section	.text._ZN7rocprim17ROCPRIM_400000_NS6detail17trampoline_kernelINS0_13select_configILj256ELj13ELNS0_17block_load_methodE3ELS4_3ELS4_3ELNS0_20block_scan_algorithmE0ELj4294967295EEENS1_25partition_config_selectorILNS1_17partition_subalgoE4EjNS0_10empty_typeEbEEZZNS1_14partition_implILS8_4ELb0ES6_15HIP_vector_typeIjLj2EENS0_17counting_iteratorIjlEEPS9_SG_NS0_5tupleIJPjSI_NS0_16reverse_iteratorISI_EEEEENSH_IJSG_SG_SG_EEES9_SI_JZNS1_25segmented_radix_sort_implINS0_14default_configELb0EPKbPbPKlPlN2at6native12_GLOBAL__N_18offset_tEEE10hipError_tPvRmT1_PNSt15iterator_traitsIS12_E10value_typeET2_T3_PNS13_IS18_E10value_typeET4_jRbjT5_S1E_jjP12ihipStream_tbEUljE_ZNSN_ISO_Lb0ESQ_SR_ST_SU_SY_EESZ_S10_S11_S12_S16_S17_S18_S1B_S1C_jS1D_jS1E_S1E_jjS1G_bEUljE0_EEESZ_S10_S11_S18_S1C_S1E_T6_T7_T9_mT8_S1G_bDpT10_ENKUlT_T0_E_clISt17integral_constantIbLb0EES1U_EEDaS1P_S1Q_EUlS1P_E_NS1_11comp_targetILNS1_3genE3ELNS1_11target_archE908ELNS1_3gpuE7ELNS1_3repE0EEENS1_30default_config_static_selectorELNS0_4arch9wavefront6targetE0EEEvS12_,"axG",@progbits,_ZN7rocprim17ROCPRIM_400000_NS6detail17trampoline_kernelINS0_13select_configILj256ELj13ELNS0_17block_load_methodE3ELS4_3ELS4_3ELNS0_20block_scan_algorithmE0ELj4294967295EEENS1_25partition_config_selectorILNS1_17partition_subalgoE4EjNS0_10empty_typeEbEEZZNS1_14partition_implILS8_4ELb0ES6_15HIP_vector_typeIjLj2EENS0_17counting_iteratorIjlEEPS9_SG_NS0_5tupleIJPjSI_NS0_16reverse_iteratorISI_EEEEENSH_IJSG_SG_SG_EEES9_SI_JZNS1_25segmented_radix_sort_implINS0_14default_configELb0EPKbPbPKlPlN2at6native12_GLOBAL__N_18offset_tEEE10hipError_tPvRmT1_PNSt15iterator_traitsIS12_E10value_typeET2_T3_PNS13_IS18_E10value_typeET4_jRbjT5_S1E_jjP12ihipStream_tbEUljE_ZNSN_ISO_Lb0ESQ_SR_ST_SU_SY_EESZ_S10_S11_S12_S16_S17_S18_S1B_S1C_jS1D_jS1E_S1E_jjS1G_bEUljE0_EEESZ_S10_S11_S18_S1C_S1E_T6_T7_T9_mT8_S1G_bDpT10_ENKUlT_T0_E_clISt17integral_constantIbLb0EES1U_EEDaS1P_S1Q_EUlS1P_E_NS1_11comp_targetILNS1_3genE3ELNS1_11target_archE908ELNS1_3gpuE7ELNS1_3repE0EEENS1_30default_config_static_selectorELNS0_4arch9wavefront6targetE0EEEvS12_,comdat
.Lfunc_end1565:
	.size	_ZN7rocprim17ROCPRIM_400000_NS6detail17trampoline_kernelINS0_13select_configILj256ELj13ELNS0_17block_load_methodE3ELS4_3ELS4_3ELNS0_20block_scan_algorithmE0ELj4294967295EEENS1_25partition_config_selectorILNS1_17partition_subalgoE4EjNS0_10empty_typeEbEEZZNS1_14partition_implILS8_4ELb0ES6_15HIP_vector_typeIjLj2EENS0_17counting_iteratorIjlEEPS9_SG_NS0_5tupleIJPjSI_NS0_16reverse_iteratorISI_EEEEENSH_IJSG_SG_SG_EEES9_SI_JZNS1_25segmented_radix_sort_implINS0_14default_configELb0EPKbPbPKlPlN2at6native12_GLOBAL__N_18offset_tEEE10hipError_tPvRmT1_PNSt15iterator_traitsIS12_E10value_typeET2_T3_PNS13_IS18_E10value_typeET4_jRbjT5_S1E_jjP12ihipStream_tbEUljE_ZNSN_ISO_Lb0ESQ_SR_ST_SU_SY_EESZ_S10_S11_S12_S16_S17_S18_S1B_S1C_jS1D_jS1E_S1E_jjS1G_bEUljE0_EEESZ_S10_S11_S18_S1C_S1E_T6_T7_T9_mT8_S1G_bDpT10_ENKUlT_T0_E_clISt17integral_constantIbLb0EES1U_EEDaS1P_S1Q_EUlS1P_E_NS1_11comp_targetILNS1_3genE3ELNS1_11target_archE908ELNS1_3gpuE7ELNS1_3repE0EEENS1_30default_config_static_selectorELNS0_4arch9wavefront6targetE0EEEvS12_, .Lfunc_end1565-_ZN7rocprim17ROCPRIM_400000_NS6detail17trampoline_kernelINS0_13select_configILj256ELj13ELNS0_17block_load_methodE3ELS4_3ELS4_3ELNS0_20block_scan_algorithmE0ELj4294967295EEENS1_25partition_config_selectorILNS1_17partition_subalgoE4EjNS0_10empty_typeEbEEZZNS1_14partition_implILS8_4ELb0ES6_15HIP_vector_typeIjLj2EENS0_17counting_iteratorIjlEEPS9_SG_NS0_5tupleIJPjSI_NS0_16reverse_iteratorISI_EEEEENSH_IJSG_SG_SG_EEES9_SI_JZNS1_25segmented_radix_sort_implINS0_14default_configELb0EPKbPbPKlPlN2at6native12_GLOBAL__N_18offset_tEEE10hipError_tPvRmT1_PNSt15iterator_traitsIS12_E10value_typeET2_T3_PNS13_IS18_E10value_typeET4_jRbjT5_S1E_jjP12ihipStream_tbEUljE_ZNSN_ISO_Lb0ESQ_SR_ST_SU_SY_EESZ_S10_S11_S12_S16_S17_S18_S1B_S1C_jS1D_jS1E_S1E_jjS1G_bEUljE0_EEESZ_S10_S11_S18_S1C_S1E_T6_T7_T9_mT8_S1G_bDpT10_ENKUlT_T0_E_clISt17integral_constantIbLb0EES1U_EEDaS1P_S1Q_EUlS1P_E_NS1_11comp_targetILNS1_3genE3ELNS1_11target_archE908ELNS1_3gpuE7ELNS1_3repE0EEENS1_30default_config_static_selectorELNS0_4arch9wavefront6targetE0EEEvS12_
                                        ; -- End function
	.set _ZN7rocprim17ROCPRIM_400000_NS6detail17trampoline_kernelINS0_13select_configILj256ELj13ELNS0_17block_load_methodE3ELS4_3ELS4_3ELNS0_20block_scan_algorithmE0ELj4294967295EEENS1_25partition_config_selectorILNS1_17partition_subalgoE4EjNS0_10empty_typeEbEEZZNS1_14partition_implILS8_4ELb0ES6_15HIP_vector_typeIjLj2EENS0_17counting_iteratorIjlEEPS9_SG_NS0_5tupleIJPjSI_NS0_16reverse_iteratorISI_EEEEENSH_IJSG_SG_SG_EEES9_SI_JZNS1_25segmented_radix_sort_implINS0_14default_configELb0EPKbPbPKlPlN2at6native12_GLOBAL__N_18offset_tEEE10hipError_tPvRmT1_PNSt15iterator_traitsIS12_E10value_typeET2_T3_PNS13_IS18_E10value_typeET4_jRbjT5_S1E_jjP12ihipStream_tbEUljE_ZNSN_ISO_Lb0ESQ_SR_ST_SU_SY_EESZ_S10_S11_S12_S16_S17_S18_S1B_S1C_jS1D_jS1E_S1E_jjS1G_bEUljE0_EEESZ_S10_S11_S18_S1C_S1E_T6_T7_T9_mT8_S1G_bDpT10_ENKUlT_T0_E_clISt17integral_constantIbLb0EES1U_EEDaS1P_S1Q_EUlS1P_E_NS1_11comp_targetILNS1_3genE3ELNS1_11target_archE908ELNS1_3gpuE7ELNS1_3repE0EEENS1_30default_config_static_selectorELNS0_4arch9wavefront6targetE0EEEvS12_.num_vgpr, 0
	.set _ZN7rocprim17ROCPRIM_400000_NS6detail17trampoline_kernelINS0_13select_configILj256ELj13ELNS0_17block_load_methodE3ELS4_3ELS4_3ELNS0_20block_scan_algorithmE0ELj4294967295EEENS1_25partition_config_selectorILNS1_17partition_subalgoE4EjNS0_10empty_typeEbEEZZNS1_14partition_implILS8_4ELb0ES6_15HIP_vector_typeIjLj2EENS0_17counting_iteratorIjlEEPS9_SG_NS0_5tupleIJPjSI_NS0_16reverse_iteratorISI_EEEEENSH_IJSG_SG_SG_EEES9_SI_JZNS1_25segmented_radix_sort_implINS0_14default_configELb0EPKbPbPKlPlN2at6native12_GLOBAL__N_18offset_tEEE10hipError_tPvRmT1_PNSt15iterator_traitsIS12_E10value_typeET2_T3_PNS13_IS18_E10value_typeET4_jRbjT5_S1E_jjP12ihipStream_tbEUljE_ZNSN_ISO_Lb0ESQ_SR_ST_SU_SY_EESZ_S10_S11_S12_S16_S17_S18_S1B_S1C_jS1D_jS1E_S1E_jjS1G_bEUljE0_EEESZ_S10_S11_S18_S1C_S1E_T6_T7_T9_mT8_S1G_bDpT10_ENKUlT_T0_E_clISt17integral_constantIbLb0EES1U_EEDaS1P_S1Q_EUlS1P_E_NS1_11comp_targetILNS1_3genE3ELNS1_11target_archE908ELNS1_3gpuE7ELNS1_3repE0EEENS1_30default_config_static_selectorELNS0_4arch9wavefront6targetE0EEEvS12_.num_agpr, 0
	.set _ZN7rocprim17ROCPRIM_400000_NS6detail17trampoline_kernelINS0_13select_configILj256ELj13ELNS0_17block_load_methodE3ELS4_3ELS4_3ELNS0_20block_scan_algorithmE0ELj4294967295EEENS1_25partition_config_selectorILNS1_17partition_subalgoE4EjNS0_10empty_typeEbEEZZNS1_14partition_implILS8_4ELb0ES6_15HIP_vector_typeIjLj2EENS0_17counting_iteratorIjlEEPS9_SG_NS0_5tupleIJPjSI_NS0_16reverse_iteratorISI_EEEEENSH_IJSG_SG_SG_EEES9_SI_JZNS1_25segmented_radix_sort_implINS0_14default_configELb0EPKbPbPKlPlN2at6native12_GLOBAL__N_18offset_tEEE10hipError_tPvRmT1_PNSt15iterator_traitsIS12_E10value_typeET2_T3_PNS13_IS18_E10value_typeET4_jRbjT5_S1E_jjP12ihipStream_tbEUljE_ZNSN_ISO_Lb0ESQ_SR_ST_SU_SY_EESZ_S10_S11_S12_S16_S17_S18_S1B_S1C_jS1D_jS1E_S1E_jjS1G_bEUljE0_EEESZ_S10_S11_S18_S1C_S1E_T6_T7_T9_mT8_S1G_bDpT10_ENKUlT_T0_E_clISt17integral_constantIbLb0EES1U_EEDaS1P_S1Q_EUlS1P_E_NS1_11comp_targetILNS1_3genE3ELNS1_11target_archE908ELNS1_3gpuE7ELNS1_3repE0EEENS1_30default_config_static_selectorELNS0_4arch9wavefront6targetE0EEEvS12_.numbered_sgpr, 0
	.set _ZN7rocprim17ROCPRIM_400000_NS6detail17trampoline_kernelINS0_13select_configILj256ELj13ELNS0_17block_load_methodE3ELS4_3ELS4_3ELNS0_20block_scan_algorithmE0ELj4294967295EEENS1_25partition_config_selectorILNS1_17partition_subalgoE4EjNS0_10empty_typeEbEEZZNS1_14partition_implILS8_4ELb0ES6_15HIP_vector_typeIjLj2EENS0_17counting_iteratorIjlEEPS9_SG_NS0_5tupleIJPjSI_NS0_16reverse_iteratorISI_EEEEENSH_IJSG_SG_SG_EEES9_SI_JZNS1_25segmented_radix_sort_implINS0_14default_configELb0EPKbPbPKlPlN2at6native12_GLOBAL__N_18offset_tEEE10hipError_tPvRmT1_PNSt15iterator_traitsIS12_E10value_typeET2_T3_PNS13_IS18_E10value_typeET4_jRbjT5_S1E_jjP12ihipStream_tbEUljE_ZNSN_ISO_Lb0ESQ_SR_ST_SU_SY_EESZ_S10_S11_S12_S16_S17_S18_S1B_S1C_jS1D_jS1E_S1E_jjS1G_bEUljE0_EEESZ_S10_S11_S18_S1C_S1E_T6_T7_T9_mT8_S1G_bDpT10_ENKUlT_T0_E_clISt17integral_constantIbLb0EES1U_EEDaS1P_S1Q_EUlS1P_E_NS1_11comp_targetILNS1_3genE3ELNS1_11target_archE908ELNS1_3gpuE7ELNS1_3repE0EEENS1_30default_config_static_selectorELNS0_4arch9wavefront6targetE0EEEvS12_.num_named_barrier, 0
	.set _ZN7rocprim17ROCPRIM_400000_NS6detail17trampoline_kernelINS0_13select_configILj256ELj13ELNS0_17block_load_methodE3ELS4_3ELS4_3ELNS0_20block_scan_algorithmE0ELj4294967295EEENS1_25partition_config_selectorILNS1_17partition_subalgoE4EjNS0_10empty_typeEbEEZZNS1_14partition_implILS8_4ELb0ES6_15HIP_vector_typeIjLj2EENS0_17counting_iteratorIjlEEPS9_SG_NS0_5tupleIJPjSI_NS0_16reverse_iteratorISI_EEEEENSH_IJSG_SG_SG_EEES9_SI_JZNS1_25segmented_radix_sort_implINS0_14default_configELb0EPKbPbPKlPlN2at6native12_GLOBAL__N_18offset_tEEE10hipError_tPvRmT1_PNSt15iterator_traitsIS12_E10value_typeET2_T3_PNS13_IS18_E10value_typeET4_jRbjT5_S1E_jjP12ihipStream_tbEUljE_ZNSN_ISO_Lb0ESQ_SR_ST_SU_SY_EESZ_S10_S11_S12_S16_S17_S18_S1B_S1C_jS1D_jS1E_S1E_jjS1G_bEUljE0_EEESZ_S10_S11_S18_S1C_S1E_T6_T7_T9_mT8_S1G_bDpT10_ENKUlT_T0_E_clISt17integral_constantIbLb0EES1U_EEDaS1P_S1Q_EUlS1P_E_NS1_11comp_targetILNS1_3genE3ELNS1_11target_archE908ELNS1_3gpuE7ELNS1_3repE0EEENS1_30default_config_static_selectorELNS0_4arch9wavefront6targetE0EEEvS12_.private_seg_size, 0
	.set _ZN7rocprim17ROCPRIM_400000_NS6detail17trampoline_kernelINS0_13select_configILj256ELj13ELNS0_17block_load_methodE3ELS4_3ELS4_3ELNS0_20block_scan_algorithmE0ELj4294967295EEENS1_25partition_config_selectorILNS1_17partition_subalgoE4EjNS0_10empty_typeEbEEZZNS1_14partition_implILS8_4ELb0ES6_15HIP_vector_typeIjLj2EENS0_17counting_iteratorIjlEEPS9_SG_NS0_5tupleIJPjSI_NS0_16reverse_iteratorISI_EEEEENSH_IJSG_SG_SG_EEES9_SI_JZNS1_25segmented_radix_sort_implINS0_14default_configELb0EPKbPbPKlPlN2at6native12_GLOBAL__N_18offset_tEEE10hipError_tPvRmT1_PNSt15iterator_traitsIS12_E10value_typeET2_T3_PNS13_IS18_E10value_typeET4_jRbjT5_S1E_jjP12ihipStream_tbEUljE_ZNSN_ISO_Lb0ESQ_SR_ST_SU_SY_EESZ_S10_S11_S12_S16_S17_S18_S1B_S1C_jS1D_jS1E_S1E_jjS1G_bEUljE0_EEESZ_S10_S11_S18_S1C_S1E_T6_T7_T9_mT8_S1G_bDpT10_ENKUlT_T0_E_clISt17integral_constantIbLb0EES1U_EEDaS1P_S1Q_EUlS1P_E_NS1_11comp_targetILNS1_3genE3ELNS1_11target_archE908ELNS1_3gpuE7ELNS1_3repE0EEENS1_30default_config_static_selectorELNS0_4arch9wavefront6targetE0EEEvS12_.uses_vcc, 0
	.set _ZN7rocprim17ROCPRIM_400000_NS6detail17trampoline_kernelINS0_13select_configILj256ELj13ELNS0_17block_load_methodE3ELS4_3ELS4_3ELNS0_20block_scan_algorithmE0ELj4294967295EEENS1_25partition_config_selectorILNS1_17partition_subalgoE4EjNS0_10empty_typeEbEEZZNS1_14partition_implILS8_4ELb0ES6_15HIP_vector_typeIjLj2EENS0_17counting_iteratorIjlEEPS9_SG_NS0_5tupleIJPjSI_NS0_16reverse_iteratorISI_EEEEENSH_IJSG_SG_SG_EEES9_SI_JZNS1_25segmented_radix_sort_implINS0_14default_configELb0EPKbPbPKlPlN2at6native12_GLOBAL__N_18offset_tEEE10hipError_tPvRmT1_PNSt15iterator_traitsIS12_E10value_typeET2_T3_PNS13_IS18_E10value_typeET4_jRbjT5_S1E_jjP12ihipStream_tbEUljE_ZNSN_ISO_Lb0ESQ_SR_ST_SU_SY_EESZ_S10_S11_S12_S16_S17_S18_S1B_S1C_jS1D_jS1E_S1E_jjS1G_bEUljE0_EEESZ_S10_S11_S18_S1C_S1E_T6_T7_T9_mT8_S1G_bDpT10_ENKUlT_T0_E_clISt17integral_constantIbLb0EES1U_EEDaS1P_S1Q_EUlS1P_E_NS1_11comp_targetILNS1_3genE3ELNS1_11target_archE908ELNS1_3gpuE7ELNS1_3repE0EEENS1_30default_config_static_selectorELNS0_4arch9wavefront6targetE0EEEvS12_.uses_flat_scratch, 0
	.set _ZN7rocprim17ROCPRIM_400000_NS6detail17trampoline_kernelINS0_13select_configILj256ELj13ELNS0_17block_load_methodE3ELS4_3ELS4_3ELNS0_20block_scan_algorithmE0ELj4294967295EEENS1_25partition_config_selectorILNS1_17partition_subalgoE4EjNS0_10empty_typeEbEEZZNS1_14partition_implILS8_4ELb0ES6_15HIP_vector_typeIjLj2EENS0_17counting_iteratorIjlEEPS9_SG_NS0_5tupleIJPjSI_NS0_16reverse_iteratorISI_EEEEENSH_IJSG_SG_SG_EEES9_SI_JZNS1_25segmented_radix_sort_implINS0_14default_configELb0EPKbPbPKlPlN2at6native12_GLOBAL__N_18offset_tEEE10hipError_tPvRmT1_PNSt15iterator_traitsIS12_E10value_typeET2_T3_PNS13_IS18_E10value_typeET4_jRbjT5_S1E_jjP12ihipStream_tbEUljE_ZNSN_ISO_Lb0ESQ_SR_ST_SU_SY_EESZ_S10_S11_S12_S16_S17_S18_S1B_S1C_jS1D_jS1E_S1E_jjS1G_bEUljE0_EEESZ_S10_S11_S18_S1C_S1E_T6_T7_T9_mT8_S1G_bDpT10_ENKUlT_T0_E_clISt17integral_constantIbLb0EES1U_EEDaS1P_S1Q_EUlS1P_E_NS1_11comp_targetILNS1_3genE3ELNS1_11target_archE908ELNS1_3gpuE7ELNS1_3repE0EEENS1_30default_config_static_selectorELNS0_4arch9wavefront6targetE0EEEvS12_.has_dyn_sized_stack, 0
	.set _ZN7rocprim17ROCPRIM_400000_NS6detail17trampoline_kernelINS0_13select_configILj256ELj13ELNS0_17block_load_methodE3ELS4_3ELS4_3ELNS0_20block_scan_algorithmE0ELj4294967295EEENS1_25partition_config_selectorILNS1_17partition_subalgoE4EjNS0_10empty_typeEbEEZZNS1_14partition_implILS8_4ELb0ES6_15HIP_vector_typeIjLj2EENS0_17counting_iteratorIjlEEPS9_SG_NS0_5tupleIJPjSI_NS0_16reverse_iteratorISI_EEEEENSH_IJSG_SG_SG_EEES9_SI_JZNS1_25segmented_radix_sort_implINS0_14default_configELb0EPKbPbPKlPlN2at6native12_GLOBAL__N_18offset_tEEE10hipError_tPvRmT1_PNSt15iterator_traitsIS12_E10value_typeET2_T3_PNS13_IS18_E10value_typeET4_jRbjT5_S1E_jjP12ihipStream_tbEUljE_ZNSN_ISO_Lb0ESQ_SR_ST_SU_SY_EESZ_S10_S11_S12_S16_S17_S18_S1B_S1C_jS1D_jS1E_S1E_jjS1G_bEUljE0_EEESZ_S10_S11_S18_S1C_S1E_T6_T7_T9_mT8_S1G_bDpT10_ENKUlT_T0_E_clISt17integral_constantIbLb0EES1U_EEDaS1P_S1Q_EUlS1P_E_NS1_11comp_targetILNS1_3genE3ELNS1_11target_archE908ELNS1_3gpuE7ELNS1_3repE0EEENS1_30default_config_static_selectorELNS0_4arch9wavefront6targetE0EEEvS12_.has_recursion, 0
	.set _ZN7rocprim17ROCPRIM_400000_NS6detail17trampoline_kernelINS0_13select_configILj256ELj13ELNS0_17block_load_methodE3ELS4_3ELS4_3ELNS0_20block_scan_algorithmE0ELj4294967295EEENS1_25partition_config_selectorILNS1_17partition_subalgoE4EjNS0_10empty_typeEbEEZZNS1_14partition_implILS8_4ELb0ES6_15HIP_vector_typeIjLj2EENS0_17counting_iteratorIjlEEPS9_SG_NS0_5tupleIJPjSI_NS0_16reverse_iteratorISI_EEEEENSH_IJSG_SG_SG_EEES9_SI_JZNS1_25segmented_radix_sort_implINS0_14default_configELb0EPKbPbPKlPlN2at6native12_GLOBAL__N_18offset_tEEE10hipError_tPvRmT1_PNSt15iterator_traitsIS12_E10value_typeET2_T3_PNS13_IS18_E10value_typeET4_jRbjT5_S1E_jjP12ihipStream_tbEUljE_ZNSN_ISO_Lb0ESQ_SR_ST_SU_SY_EESZ_S10_S11_S12_S16_S17_S18_S1B_S1C_jS1D_jS1E_S1E_jjS1G_bEUljE0_EEESZ_S10_S11_S18_S1C_S1E_T6_T7_T9_mT8_S1G_bDpT10_ENKUlT_T0_E_clISt17integral_constantIbLb0EES1U_EEDaS1P_S1Q_EUlS1P_E_NS1_11comp_targetILNS1_3genE3ELNS1_11target_archE908ELNS1_3gpuE7ELNS1_3repE0EEENS1_30default_config_static_selectorELNS0_4arch9wavefront6targetE0EEEvS12_.has_indirect_call, 0
	.section	.AMDGPU.csdata,"",@progbits
; Kernel info:
; codeLenInByte = 0
; TotalNumSgprs: 0
; NumVgprs: 0
; ScratchSize: 0
; MemoryBound: 0
; FloatMode: 240
; IeeeMode: 1
; LDSByteSize: 0 bytes/workgroup (compile time only)
; SGPRBlocks: 0
; VGPRBlocks: 0
; NumSGPRsForWavesPerEU: 1
; NumVGPRsForWavesPerEU: 1
; Occupancy: 16
; WaveLimiterHint : 0
; COMPUTE_PGM_RSRC2:SCRATCH_EN: 0
; COMPUTE_PGM_RSRC2:USER_SGPR: 6
; COMPUTE_PGM_RSRC2:TRAP_HANDLER: 0
; COMPUTE_PGM_RSRC2:TGID_X_EN: 1
; COMPUTE_PGM_RSRC2:TGID_Y_EN: 0
; COMPUTE_PGM_RSRC2:TGID_Z_EN: 0
; COMPUTE_PGM_RSRC2:TIDIG_COMP_CNT: 0
	.section	.text._ZN7rocprim17ROCPRIM_400000_NS6detail17trampoline_kernelINS0_13select_configILj256ELj13ELNS0_17block_load_methodE3ELS4_3ELS4_3ELNS0_20block_scan_algorithmE0ELj4294967295EEENS1_25partition_config_selectorILNS1_17partition_subalgoE4EjNS0_10empty_typeEbEEZZNS1_14partition_implILS8_4ELb0ES6_15HIP_vector_typeIjLj2EENS0_17counting_iteratorIjlEEPS9_SG_NS0_5tupleIJPjSI_NS0_16reverse_iteratorISI_EEEEENSH_IJSG_SG_SG_EEES9_SI_JZNS1_25segmented_radix_sort_implINS0_14default_configELb0EPKbPbPKlPlN2at6native12_GLOBAL__N_18offset_tEEE10hipError_tPvRmT1_PNSt15iterator_traitsIS12_E10value_typeET2_T3_PNS13_IS18_E10value_typeET4_jRbjT5_S1E_jjP12ihipStream_tbEUljE_ZNSN_ISO_Lb0ESQ_SR_ST_SU_SY_EESZ_S10_S11_S12_S16_S17_S18_S1B_S1C_jS1D_jS1E_S1E_jjS1G_bEUljE0_EEESZ_S10_S11_S18_S1C_S1E_T6_T7_T9_mT8_S1G_bDpT10_ENKUlT_T0_E_clISt17integral_constantIbLb0EES1U_EEDaS1P_S1Q_EUlS1P_E_NS1_11comp_targetILNS1_3genE2ELNS1_11target_archE906ELNS1_3gpuE6ELNS1_3repE0EEENS1_30default_config_static_selectorELNS0_4arch9wavefront6targetE0EEEvS12_,"axG",@progbits,_ZN7rocprim17ROCPRIM_400000_NS6detail17trampoline_kernelINS0_13select_configILj256ELj13ELNS0_17block_load_methodE3ELS4_3ELS4_3ELNS0_20block_scan_algorithmE0ELj4294967295EEENS1_25partition_config_selectorILNS1_17partition_subalgoE4EjNS0_10empty_typeEbEEZZNS1_14partition_implILS8_4ELb0ES6_15HIP_vector_typeIjLj2EENS0_17counting_iteratorIjlEEPS9_SG_NS0_5tupleIJPjSI_NS0_16reverse_iteratorISI_EEEEENSH_IJSG_SG_SG_EEES9_SI_JZNS1_25segmented_radix_sort_implINS0_14default_configELb0EPKbPbPKlPlN2at6native12_GLOBAL__N_18offset_tEEE10hipError_tPvRmT1_PNSt15iterator_traitsIS12_E10value_typeET2_T3_PNS13_IS18_E10value_typeET4_jRbjT5_S1E_jjP12ihipStream_tbEUljE_ZNSN_ISO_Lb0ESQ_SR_ST_SU_SY_EESZ_S10_S11_S12_S16_S17_S18_S1B_S1C_jS1D_jS1E_S1E_jjS1G_bEUljE0_EEESZ_S10_S11_S18_S1C_S1E_T6_T7_T9_mT8_S1G_bDpT10_ENKUlT_T0_E_clISt17integral_constantIbLb0EES1U_EEDaS1P_S1Q_EUlS1P_E_NS1_11comp_targetILNS1_3genE2ELNS1_11target_archE906ELNS1_3gpuE6ELNS1_3repE0EEENS1_30default_config_static_selectorELNS0_4arch9wavefront6targetE0EEEvS12_,comdat
	.globl	_ZN7rocprim17ROCPRIM_400000_NS6detail17trampoline_kernelINS0_13select_configILj256ELj13ELNS0_17block_load_methodE3ELS4_3ELS4_3ELNS0_20block_scan_algorithmE0ELj4294967295EEENS1_25partition_config_selectorILNS1_17partition_subalgoE4EjNS0_10empty_typeEbEEZZNS1_14partition_implILS8_4ELb0ES6_15HIP_vector_typeIjLj2EENS0_17counting_iteratorIjlEEPS9_SG_NS0_5tupleIJPjSI_NS0_16reverse_iteratorISI_EEEEENSH_IJSG_SG_SG_EEES9_SI_JZNS1_25segmented_radix_sort_implINS0_14default_configELb0EPKbPbPKlPlN2at6native12_GLOBAL__N_18offset_tEEE10hipError_tPvRmT1_PNSt15iterator_traitsIS12_E10value_typeET2_T3_PNS13_IS18_E10value_typeET4_jRbjT5_S1E_jjP12ihipStream_tbEUljE_ZNSN_ISO_Lb0ESQ_SR_ST_SU_SY_EESZ_S10_S11_S12_S16_S17_S18_S1B_S1C_jS1D_jS1E_S1E_jjS1G_bEUljE0_EEESZ_S10_S11_S18_S1C_S1E_T6_T7_T9_mT8_S1G_bDpT10_ENKUlT_T0_E_clISt17integral_constantIbLb0EES1U_EEDaS1P_S1Q_EUlS1P_E_NS1_11comp_targetILNS1_3genE2ELNS1_11target_archE906ELNS1_3gpuE6ELNS1_3repE0EEENS1_30default_config_static_selectorELNS0_4arch9wavefront6targetE0EEEvS12_ ; -- Begin function _ZN7rocprim17ROCPRIM_400000_NS6detail17trampoline_kernelINS0_13select_configILj256ELj13ELNS0_17block_load_methodE3ELS4_3ELS4_3ELNS0_20block_scan_algorithmE0ELj4294967295EEENS1_25partition_config_selectorILNS1_17partition_subalgoE4EjNS0_10empty_typeEbEEZZNS1_14partition_implILS8_4ELb0ES6_15HIP_vector_typeIjLj2EENS0_17counting_iteratorIjlEEPS9_SG_NS0_5tupleIJPjSI_NS0_16reverse_iteratorISI_EEEEENSH_IJSG_SG_SG_EEES9_SI_JZNS1_25segmented_radix_sort_implINS0_14default_configELb0EPKbPbPKlPlN2at6native12_GLOBAL__N_18offset_tEEE10hipError_tPvRmT1_PNSt15iterator_traitsIS12_E10value_typeET2_T3_PNS13_IS18_E10value_typeET4_jRbjT5_S1E_jjP12ihipStream_tbEUljE_ZNSN_ISO_Lb0ESQ_SR_ST_SU_SY_EESZ_S10_S11_S12_S16_S17_S18_S1B_S1C_jS1D_jS1E_S1E_jjS1G_bEUljE0_EEESZ_S10_S11_S18_S1C_S1E_T6_T7_T9_mT8_S1G_bDpT10_ENKUlT_T0_E_clISt17integral_constantIbLb0EES1U_EEDaS1P_S1Q_EUlS1P_E_NS1_11comp_targetILNS1_3genE2ELNS1_11target_archE906ELNS1_3gpuE6ELNS1_3repE0EEENS1_30default_config_static_selectorELNS0_4arch9wavefront6targetE0EEEvS12_
	.p2align	8
	.type	_ZN7rocprim17ROCPRIM_400000_NS6detail17trampoline_kernelINS0_13select_configILj256ELj13ELNS0_17block_load_methodE3ELS4_3ELS4_3ELNS0_20block_scan_algorithmE0ELj4294967295EEENS1_25partition_config_selectorILNS1_17partition_subalgoE4EjNS0_10empty_typeEbEEZZNS1_14partition_implILS8_4ELb0ES6_15HIP_vector_typeIjLj2EENS0_17counting_iteratorIjlEEPS9_SG_NS0_5tupleIJPjSI_NS0_16reverse_iteratorISI_EEEEENSH_IJSG_SG_SG_EEES9_SI_JZNS1_25segmented_radix_sort_implINS0_14default_configELb0EPKbPbPKlPlN2at6native12_GLOBAL__N_18offset_tEEE10hipError_tPvRmT1_PNSt15iterator_traitsIS12_E10value_typeET2_T3_PNS13_IS18_E10value_typeET4_jRbjT5_S1E_jjP12ihipStream_tbEUljE_ZNSN_ISO_Lb0ESQ_SR_ST_SU_SY_EESZ_S10_S11_S12_S16_S17_S18_S1B_S1C_jS1D_jS1E_S1E_jjS1G_bEUljE0_EEESZ_S10_S11_S18_S1C_S1E_T6_T7_T9_mT8_S1G_bDpT10_ENKUlT_T0_E_clISt17integral_constantIbLb0EES1U_EEDaS1P_S1Q_EUlS1P_E_NS1_11comp_targetILNS1_3genE2ELNS1_11target_archE906ELNS1_3gpuE6ELNS1_3repE0EEENS1_30default_config_static_selectorELNS0_4arch9wavefront6targetE0EEEvS12_,@function
_ZN7rocprim17ROCPRIM_400000_NS6detail17trampoline_kernelINS0_13select_configILj256ELj13ELNS0_17block_load_methodE3ELS4_3ELS4_3ELNS0_20block_scan_algorithmE0ELj4294967295EEENS1_25partition_config_selectorILNS1_17partition_subalgoE4EjNS0_10empty_typeEbEEZZNS1_14partition_implILS8_4ELb0ES6_15HIP_vector_typeIjLj2EENS0_17counting_iteratorIjlEEPS9_SG_NS0_5tupleIJPjSI_NS0_16reverse_iteratorISI_EEEEENSH_IJSG_SG_SG_EEES9_SI_JZNS1_25segmented_radix_sort_implINS0_14default_configELb0EPKbPbPKlPlN2at6native12_GLOBAL__N_18offset_tEEE10hipError_tPvRmT1_PNSt15iterator_traitsIS12_E10value_typeET2_T3_PNS13_IS18_E10value_typeET4_jRbjT5_S1E_jjP12ihipStream_tbEUljE_ZNSN_ISO_Lb0ESQ_SR_ST_SU_SY_EESZ_S10_S11_S12_S16_S17_S18_S1B_S1C_jS1D_jS1E_S1E_jjS1G_bEUljE0_EEESZ_S10_S11_S18_S1C_S1E_T6_T7_T9_mT8_S1G_bDpT10_ENKUlT_T0_E_clISt17integral_constantIbLb0EES1U_EEDaS1P_S1Q_EUlS1P_E_NS1_11comp_targetILNS1_3genE2ELNS1_11target_archE906ELNS1_3gpuE6ELNS1_3repE0EEENS1_30default_config_static_selectorELNS0_4arch9wavefront6targetE0EEEvS12_: ; @_ZN7rocprim17ROCPRIM_400000_NS6detail17trampoline_kernelINS0_13select_configILj256ELj13ELNS0_17block_load_methodE3ELS4_3ELS4_3ELNS0_20block_scan_algorithmE0ELj4294967295EEENS1_25partition_config_selectorILNS1_17partition_subalgoE4EjNS0_10empty_typeEbEEZZNS1_14partition_implILS8_4ELb0ES6_15HIP_vector_typeIjLj2EENS0_17counting_iteratorIjlEEPS9_SG_NS0_5tupleIJPjSI_NS0_16reverse_iteratorISI_EEEEENSH_IJSG_SG_SG_EEES9_SI_JZNS1_25segmented_radix_sort_implINS0_14default_configELb0EPKbPbPKlPlN2at6native12_GLOBAL__N_18offset_tEEE10hipError_tPvRmT1_PNSt15iterator_traitsIS12_E10value_typeET2_T3_PNS13_IS18_E10value_typeET4_jRbjT5_S1E_jjP12ihipStream_tbEUljE_ZNSN_ISO_Lb0ESQ_SR_ST_SU_SY_EESZ_S10_S11_S12_S16_S17_S18_S1B_S1C_jS1D_jS1E_S1E_jjS1G_bEUljE0_EEESZ_S10_S11_S18_S1C_S1E_T6_T7_T9_mT8_S1G_bDpT10_ENKUlT_T0_E_clISt17integral_constantIbLb0EES1U_EEDaS1P_S1Q_EUlS1P_E_NS1_11comp_targetILNS1_3genE2ELNS1_11target_archE906ELNS1_3gpuE6ELNS1_3repE0EEENS1_30default_config_static_selectorELNS0_4arch9wavefront6targetE0EEEvS12_
; %bb.0:
	.section	.rodata,"a",@progbits
	.p2align	6, 0x0
	.amdhsa_kernel _ZN7rocprim17ROCPRIM_400000_NS6detail17trampoline_kernelINS0_13select_configILj256ELj13ELNS0_17block_load_methodE3ELS4_3ELS4_3ELNS0_20block_scan_algorithmE0ELj4294967295EEENS1_25partition_config_selectorILNS1_17partition_subalgoE4EjNS0_10empty_typeEbEEZZNS1_14partition_implILS8_4ELb0ES6_15HIP_vector_typeIjLj2EENS0_17counting_iteratorIjlEEPS9_SG_NS0_5tupleIJPjSI_NS0_16reverse_iteratorISI_EEEEENSH_IJSG_SG_SG_EEES9_SI_JZNS1_25segmented_radix_sort_implINS0_14default_configELb0EPKbPbPKlPlN2at6native12_GLOBAL__N_18offset_tEEE10hipError_tPvRmT1_PNSt15iterator_traitsIS12_E10value_typeET2_T3_PNS13_IS18_E10value_typeET4_jRbjT5_S1E_jjP12ihipStream_tbEUljE_ZNSN_ISO_Lb0ESQ_SR_ST_SU_SY_EESZ_S10_S11_S12_S16_S17_S18_S1B_S1C_jS1D_jS1E_S1E_jjS1G_bEUljE0_EEESZ_S10_S11_S18_S1C_S1E_T6_T7_T9_mT8_S1G_bDpT10_ENKUlT_T0_E_clISt17integral_constantIbLb0EES1U_EEDaS1P_S1Q_EUlS1P_E_NS1_11comp_targetILNS1_3genE2ELNS1_11target_archE906ELNS1_3gpuE6ELNS1_3repE0EEENS1_30default_config_static_selectorELNS0_4arch9wavefront6targetE0EEEvS12_
		.amdhsa_group_segment_fixed_size 0
		.amdhsa_private_segment_fixed_size 0
		.amdhsa_kernarg_size 176
		.amdhsa_user_sgpr_count 6
		.amdhsa_user_sgpr_private_segment_buffer 1
		.amdhsa_user_sgpr_dispatch_ptr 0
		.amdhsa_user_sgpr_queue_ptr 0
		.amdhsa_user_sgpr_kernarg_segment_ptr 1
		.amdhsa_user_sgpr_dispatch_id 0
		.amdhsa_user_sgpr_flat_scratch_init 0
		.amdhsa_user_sgpr_private_segment_size 0
		.amdhsa_wavefront_size32 1
		.amdhsa_uses_dynamic_stack 0
		.amdhsa_system_sgpr_private_segment_wavefront_offset 0
		.amdhsa_system_sgpr_workgroup_id_x 1
		.amdhsa_system_sgpr_workgroup_id_y 0
		.amdhsa_system_sgpr_workgroup_id_z 0
		.amdhsa_system_sgpr_workgroup_info 0
		.amdhsa_system_vgpr_workitem_id 0
		.amdhsa_next_free_vgpr 1
		.amdhsa_next_free_sgpr 1
		.amdhsa_reserve_vcc 0
		.amdhsa_reserve_flat_scratch 0
		.amdhsa_float_round_mode_32 0
		.amdhsa_float_round_mode_16_64 0
		.amdhsa_float_denorm_mode_32 3
		.amdhsa_float_denorm_mode_16_64 3
		.amdhsa_dx10_clamp 1
		.amdhsa_ieee_mode 1
		.amdhsa_fp16_overflow 0
		.amdhsa_workgroup_processor_mode 1
		.amdhsa_memory_ordered 1
		.amdhsa_forward_progress 1
		.amdhsa_shared_vgpr_count 0
		.amdhsa_exception_fp_ieee_invalid_op 0
		.amdhsa_exception_fp_denorm_src 0
		.amdhsa_exception_fp_ieee_div_zero 0
		.amdhsa_exception_fp_ieee_overflow 0
		.amdhsa_exception_fp_ieee_underflow 0
		.amdhsa_exception_fp_ieee_inexact 0
		.amdhsa_exception_int_div_zero 0
	.end_amdhsa_kernel
	.section	.text._ZN7rocprim17ROCPRIM_400000_NS6detail17trampoline_kernelINS0_13select_configILj256ELj13ELNS0_17block_load_methodE3ELS4_3ELS4_3ELNS0_20block_scan_algorithmE0ELj4294967295EEENS1_25partition_config_selectorILNS1_17partition_subalgoE4EjNS0_10empty_typeEbEEZZNS1_14partition_implILS8_4ELb0ES6_15HIP_vector_typeIjLj2EENS0_17counting_iteratorIjlEEPS9_SG_NS0_5tupleIJPjSI_NS0_16reverse_iteratorISI_EEEEENSH_IJSG_SG_SG_EEES9_SI_JZNS1_25segmented_radix_sort_implINS0_14default_configELb0EPKbPbPKlPlN2at6native12_GLOBAL__N_18offset_tEEE10hipError_tPvRmT1_PNSt15iterator_traitsIS12_E10value_typeET2_T3_PNS13_IS18_E10value_typeET4_jRbjT5_S1E_jjP12ihipStream_tbEUljE_ZNSN_ISO_Lb0ESQ_SR_ST_SU_SY_EESZ_S10_S11_S12_S16_S17_S18_S1B_S1C_jS1D_jS1E_S1E_jjS1G_bEUljE0_EEESZ_S10_S11_S18_S1C_S1E_T6_T7_T9_mT8_S1G_bDpT10_ENKUlT_T0_E_clISt17integral_constantIbLb0EES1U_EEDaS1P_S1Q_EUlS1P_E_NS1_11comp_targetILNS1_3genE2ELNS1_11target_archE906ELNS1_3gpuE6ELNS1_3repE0EEENS1_30default_config_static_selectorELNS0_4arch9wavefront6targetE0EEEvS12_,"axG",@progbits,_ZN7rocprim17ROCPRIM_400000_NS6detail17trampoline_kernelINS0_13select_configILj256ELj13ELNS0_17block_load_methodE3ELS4_3ELS4_3ELNS0_20block_scan_algorithmE0ELj4294967295EEENS1_25partition_config_selectorILNS1_17partition_subalgoE4EjNS0_10empty_typeEbEEZZNS1_14partition_implILS8_4ELb0ES6_15HIP_vector_typeIjLj2EENS0_17counting_iteratorIjlEEPS9_SG_NS0_5tupleIJPjSI_NS0_16reverse_iteratorISI_EEEEENSH_IJSG_SG_SG_EEES9_SI_JZNS1_25segmented_radix_sort_implINS0_14default_configELb0EPKbPbPKlPlN2at6native12_GLOBAL__N_18offset_tEEE10hipError_tPvRmT1_PNSt15iterator_traitsIS12_E10value_typeET2_T3_PNS13_IS18_E10value_typeET4_jRbjT5_S1E_jjP12ihipStream_tbEUljE_ZNSN_ISO_Lb0ESQ_SR_ST_SU_SY_EESZ_S10_S11_S12_S16_S17_S18_S1B_S1C_jS1D_jS1E_S1E_jjS1G_bEUljE0_EEESZ_S10_S11_S18_S1C_S1E_T6_T7_T9_mT8_S1G_bDpT10_ENKUlT_T0_E_clISt17integral_constantIbLb0EES1U_EEDaS1P_S1Q_EUlS1P_E_NS1_11comp_targetILNS1_3genE2ELNS1_11target_archE906ELNS1_3gpuE6ELNS1_3repE0EEENS1_30default_config_static_selectorELNS0_4arch9wavefront6targetE0EEEvS12_,comdat
.Lfunc_end1566:
	.size	_ZN7rocprim17ROCPRIM_400000_NS6detail17trampoline_kernelINS0_13select_configILj256ELj13ELNS0_17block_load_methodE3ELS4_3ELS4_3ELNS0_20block_scan_algorithmE0ELj4294967295EEENS1_25partition_config_selectorILNS1_17partition_subalgoE4EjNS0_10empty_typeEbEEZZNS1_14partition_implILS8_4ELb0ES6_15HIP_vector_typeIjLj2EENS0_17counting_iteratorIjlEEPS9_SG_NS0_5tupleIJPjSI_NS0_16reverse_iteratorISI_EEEEENSH_IJSG_SG_SG_EEES9_SI_JZNS1_25segmented_radix_sort_implINS0_14default_configELb0EPKbPbPKlPlN2at6native12_GLOBAL__N_18offset_tEEE10hipError_tPvRmT1_PNSt15iterator_traitsIS12_E10value_typeET2_T3_PNS13_IS18_E10value_typeET4_jRbjT5_S1E_jjP12ihipStream_tbEUljE_ZNSN_ISO_Lb0ESQ_SR_ST_SU_SY_EESZ_S10_S11_S12_S16_S17_S18_S1B_S1C_jS1D_jS1E_S1E_jjS1G_bEUljE0_EEESZ_S10_S11_S18_S1C_S1E_T6_T7_T9_mT8_S1G_bDpT10_ENKUlT_T0_E_clISt17integral_constantIbLb0EES1U_EEDaS1P_S1Q_EUlS1P_E_NS1_11comp_targetILNS1_3genE2ELNS1_11target_archE906ELNS1_3gpuE6ELNS1_3repE0EEENS1_30default_config_static_selectorELNS0_4arch9wavefront6targetE0EEEvS12_, .Lfunc_end1566-_ZN7rocprim17ROCPRIM_400000_NS6detail17trampoline_kernelINS0_13select_configILj256ELj13ELNS0_17block_load_methodE3ELS4_3ELS4_3ELNS0_20block_scan_algorithmE0ELj4294967295EEENS1_25partition_config_selectorILNS1_17partition_subalgoE4EjNS0_10empty_typeEbEEZZNS1_14partition_implILS8_4ELb0ES6_15HIP_vector_typeIjLj2EENS0_17counting_iteratorIjlEEPS9_SG_NS0_5tupleIJPjSI_NS0_16reverse_iteratorISI_EEEEENSH_IJSG_SG_SG_EEES9_SI_JZNS1_25segmented_radix_sort_implINS0_14default_configELb0EPKbPbPKlPlN2at6native12_GLOBAL__N_18offset_tEEE10hipError_tPvRmT1_PNSt15iterator_traitsIS12_E10value_typeET2_T3_PNS13_IS18_E10value_typeET4_jRbjT5_S1E_jjP12ihipStream_tbEUljE_ZNSN_ISO_Lb0ESQ_SR_ST_SU_SY_EESZ_S10_S11_S12_S16_S17_S18_S1B_S1C_jS1D_jS1E_S1E_jjS1G_bEUljE0_EEESZ_S10_S11_S18_S1C_S1E_T6_T7_T9_mT8_S1G_bDpT10_ENKUlT_T0_E_clISt17integral_constantIbLb0EES1U_EEDaS1P_S1Q_EUlS1P_E_NS1_11comp_targetILNS1_3genE2ELNS1_11target_archE906ELNS1_3gpuE6ELNS1_3repE0EEENS1_30default_config_static_selectorELNS0_4arch9wavefront6targetE0EEEvS12_
                                        ; -- End function
	.set _ZN7rocprim17ROCPRIM_400000_NS6detail17trampoline_kernelINS0_13select_configILj256ELj13ELNS0_17block_load_methodE3ELS4_3ELS4_3ELNS0_20block_scan_algorithmE0ELj4294967295EEENS1_25partition_config_selectorILNS1_17partition_subalgoE4EjNS0_10empty_typeEbEEZZNS1_14partition_implILS8_4ELb0ES6_15HIP_vector_typeIjLj2EENS0_17counting_iteratorIjlEEPS9_SG_NS0_5tupleIJPjSI_NS0_16reverse_iteratorISI_EEEEENSH_IJSG_SG_SG_EEES9_SI_JZNS1_25segmented_radix_sort_implINS0_14default_configELb0EPKbPbPKlPlN2at6native12_GLOBAL__N_18offset_tEEE10hipError_tPvRmT1_PNSt15iterator_traitsIS12_E10value_typeET2_T3_PNS13_IS18_E10value_typeET4_jRbjT5_S1E_jjP12ihipStream_tbEUljE_ZNSN_ISO_Lb0ESQ_SR_ST_SU_SY_EESZ_S10_S11_S12_S16_S17_S18_S1B_S1C_jS1D_jS1E_S1E_jjS1G_bEUljE0_EEESZ_S10_S11_S18_S1C_S1E_T6_T7_T9_mT8_S1G_bDpT10_ENKUlT_T0_E_clISt17integral_constantIbLb0EES1U_EEDaS1P_S1Q_EUlS1P_E_NS1_11comp_targetILNS1_3genE2ELNS1_11target_archE906ELNS1_3gpuE6ELNS1_3repE0EEENS1_30default_config_static_selectorELNS0_4arch9wavefront6targetE0EEEvS12_.num_vgpr, 0
	.set _ZN7rocprim17ROCPRIM_400000_NS6detail17trampoline_kernelINS0_13select_configILj256ELj13ELNS0_17block_load_methodE3ELS4_3ELS4_3ELNS0_20block_scan_algorithmE0ELj4294967295EEENS1_25partition_config_selectorILNS1_17partition_subalgoE4EjNS0_10empty_typeEbEEZZNS1_14partition_implILS8_4ELb0ES6_15HIP_vector_typeIjLj2EENS0_17counting_iteratorIjlEEPS9_SG_NS0_5tupleIJPjSI_NS0_16reverse_iteratorISI_EEEEENSH_IJSG_SG_SG_EEES9_SI_JZNS1_25segmented_radix_sort_implINS0_14default_configELb0EPKbPbPKlPlN2at6native12_GLOBAL__N_18offset_tEEE10hipError_tPvRmT1_PNSt15iterator_traitsIS12_E10value_typeET2_T3_PNS13_IS18_E10value_typeET4_jRbjT5_S1E_jjP12ihipStream_tbEUljE_ZNSN_ISO_Lb0ESQ_SR_ST_SU_SY_EESZ_S10_S11_S12_S16_S17_S18_S1B_S1C_jS1D_jS1E_S1E_jjS1G_bEUljE0_EEESZ_S10_S11_S18_S1C_S1E_T6_T7_T9_mT8_S1G_bDpT10_ENKUlT_T0_E_clISt17integral_constantIbLb0EES1U_EEDaS1P_S1Q_EUlS1P_E_NS1_11comp_targetILNS1_3genE2ELNS1_11target_archE906ELNS1_3gpuE6ELNS1_3repE0EEENS1_30default_config_static_selectorELNS0_4arch9wavefront6targetE0EEEvS12_.num_agpr, 0
	.set _ZN7rocprim17ROCPRIM_400000_NS6detail17trampoline_kernelINS0_13select_configILj256ELj13ELNS0_17block_load_methodE3ELS4_3ELS4_3ELNS0_20block_scan_algorithmE0ELj4294967295EEENS1_25partition_config_selectorILNS1_17partition_subalgoE4EjNS0_10empty_typeEbEEZZNS1_14partition_implILS8_4ELb0ES6_15HIP_vector_typeIjLj2EENS0_17counting_iteratorIjlEEPS9_SG_NS0_5tupleIJPjSI_NS0_16reverse_iteratorISI_EEEEENSH_IJSG_SG_SG_EEES9_SI_JZNS1_25segmented_radix_sort_implINS0_14default_configELb0EPKbPbPKlPlN2at6native12_GLOBAL__N_18offset_tEEE10hipError_tPvRmT1_PNSt15iterator_traitsIS12_E10value_typeET2_T3_PNS13_IS18_E10value_typeET4_jRbjT5_S1E_jjP12ihipStream_tbEUljE_ZNSN_ISO_Lb0ESQ_SR_ST_SU_SY_EESZ_S10_S11_S12_S16_S17_S18_S1B_S1C_jS1D_jS1E_S1E_jjS1G_bEUljE0_EEESZ_S10_S11_S18_S1C_S1E_T6_T7_T9_mT8_S1G_bDpT10_ENKUlT_T0_E_clISt17integral_constantIbLb0EES1U_EEDaS1P_S1Q_EUlS1P_E_NS1_11comp_targetILNS1_3genE2ELNS1_11target_archE906ELNS1_3gpuE6ELNS1_3repE0EEENS1_30default_config_static_selectorELNS0_4arch9wavefront6targetE0EEEvS12_.numbered_sgpr, 0
	.set _ZN7rocprim17ROCPRIM_400000_NS6detail17trampoline_kernelINS0_13select_configILj256ELj13ELNS0_17block_load_methodE3ELS4_3ELS4_3ELNS0_20block_scan_algorithmE0ELj4294967295EEENS1_25partition_config_selectorILNS1_17partition_subalgoE4EjNS0_10empty_typeEbEEZZNS1_14partition_implILS8_4ELb0ES6_15HIP_vector_typeIjLj2EENS0_17counting_iteratorIjlEEPS9_SG_NS0_5tupleIJPjSI_NS0_16reverse_iteratorISI_EEEEENSH_IJSG_SG_SG_EEES9_SI_JZNS1_25segmented_radix_sort_implINS0_14default_configELb0EPKbPbPKlPlN2at6native12_GLOBAL__N_18offset_tEEE10hipError_tPvRmT1_PNSt15iterator_traitsIS12_E10value_typeET2_T3_PNS13_IS18_E10value_typeET4_jRbjT5_S1E_jjP12ihipStream_tbEUljE_ZNSN_ISO_Lb0ESQ_SR_ST_SU_SY_EESZ_S10_S11_S12_S16_S17_S18_S1B_S1C_jS1D_jS1E_S1E_jjS1G_bEUljE0_EEESZ_S10_S11_S18_S1C_S1E_T6_T7_T9_mT8_S1G_bDpT10_ENKUlT_T0_E_clISt17integral_constantIbLb0EES1U_EEDaS1P_S1Q_EUlS1P_E_NS1_11comp_targetILNS1_3genE2ELNS1_11target_archE906ELNS1_3gpuE6ELNS1_3repE0EEENS1_30default_config_static_selectorELNS0_4arch9wavefront6targetE0EEEvS12_.num_named_barrier, 0
	.set _ZN7rocprim17ROCPRIM_400000_NS6detail17trampoline_kernelINS0_13select_configILj256ELj13ELNS0_17block_load_methodE3ELS4_3ELS4_3ELNS0_20block_scan_algorithmE0ELj4294967295EEENS1_25partition_config_selectorILNS1_17partition_subalgoE4EjNS0_10empty_typeEbEEZZNS1_14partition_implILS8_4ELb0ES6_15HIP_vector_typeIjLj2EENS0_17counting_iteratorIjlEEPS9_SG_NS0_5tupleIJPjSI_NS0_16reverse_iteratorISI_EEEEENSH_IJSG_SG_SG_EEES9_SI_JZNS1_25segmented_radix_sort_implINS0_14default_configELb0EPKbPbPKlPlN2at6native12_GLOBAL__N_18offset_tEEE10hipError_tPvRmT1_PNSt15iterator_traitsIS12_E10value_typeET2_T3_PNS13_IS18_E10value_typeET4_jRbjT5_S1E_jjP12ihipStream_tbEUljE_ZNSN_ISO_Lb0ESQ_SR_ST_SU_SY_EESZ_S10_S11_S12_S16_S17_S18_S1B_S1C_jS1D_jS1E_S1E_jjS1G_bEUljE0_EEESZ_S10_S11_S18_S1C_S1E_T6_T7_T9_mT8_S1G_bDpT10_ENKUlT_T0_E_clISt17integral_constantIbLb0EES1U_EEDaS1P_S1Q_EUlS1P_E_NS1_11comp_targetILNS1_3genE2ELNS1_11target_archE906ELNS1_3gpuE6ELNS1_3repE0EEENS1_30default_config_static_selectorELNS0_4arch9wavefront6targetE0EEEvS12_.private_seg_size, 0
	.set _ZN7rocprim17ROCPRIM_400000_NS6detail17trampoline_kernelINS0_13select_configILj256ELj13ELNS0_17block_load_methodE3ELS4_3ELS4_3ELNS0_20block_scan_algorithmE0ELj4294967295EEENS1_25partition_config_selectorILNS1_17partition_subalgoE4EjNS0_10empty_typeEbEEZZNS1_14partition_implILS8_4ELb0ES6_15HIP_vector_typeIjLj2EENS0_17counting_iteratorIjlEEPS9_SG_NS0_5tupleIJPjSI_NS0_16reverse_iteratorISI_EEEEENSH_IJSG_SG_SG_EEES9_SI_JZNS1_25segmented_radix_sort_implINS0_14default_configELb0EPKbPbPKlPlN2at6native12_GLOBAL__N_18offset_tEEE10hipError_tPvRmT1_PNSt15iterator_traitsIS12_E10value_typeET2_T3_PNS13_IS18_E10value_typeET4_jRbjT5_S1E_jjP12ihipStream_tbEUljE_ZNSN_ISO_Lb0ESQ_SR_ST_SU_SY_EESZ_S10_S11_S12_S16_S17_S18_S1B_S1C_jS1D_jS1E_S1E_jjS1G_bEUljE0_EEESZ_S10_S11_S18_S1C_S1E_T6_T7_T9_mT8_S1G_bDpT10_ENKUlT_T0_E_clISt17integral_constantIbLb0EES1U_EEDaS1P_S1Q_EUlS1P_E_NS1_11comp_targetILNS1_3genE2ELNS1_11target_archE906ELNS1_3gpuE6ELNS1_3repE0EEENS1_30default_config_static_selectorELNS0_4arch9wavefront6targetE0EEEvS12_.uses_vcc, 0
	.set _ZN7rocprim17ROCPRIM_400000_NS6detail17trampoline_kernelINS0_13select_configILj256ELj13ELNS0_17block_load_methodE3ELS4_3ELS4_3ELNS0_20block_scan_algorithmE0ELj4294967295EEENS1_25partition_config_selectorILNS1_17partition_subalgoE4EjNS0_10empty_typeEbEEZZNS1_14partition_implILS8_4ELb0ES6_15HIP_vector_typeIjLj2EENS0_17counting_iteratorIjlEEPS9_SG_NS0_5tupleIJPjSI_NS0_16reverse_iteratorISI_EEEEENSH_IJSG_SG_SG_EEES9_SI_JZNS1_25segmented_radix_sort_implINS0_14default_configELb0EPKbPbPKlPlN2at6native12_GLOBAL__N_18offset_tEEE10hipError_tPvRmT1_PNSt15iterator_traitsIS12_E10value_typeET2_T3_PNS13_IS18_E10value_typeET4_jRbjT5_S1E_jjP12ihipStream_tbEUljE_ZNSN_ISO_Lb0ESQ_SR_ST_SU_SY_EESZ_S10_S11_S12_S16_S17_S18_S1B_S1C_jS1D_jS1E_S1E_jjS1G_bEUljE0_EEESZ_S10_S11_S18_S1C_S1E_T6_T7_T9_mT8_S1G_bDpT10_ENKUlT_T0_E_clISt17integral_constantIbLb0EES1U_EEDaS1P_S1Q_EUlS1P_E_NS1_11comp_targetILNS1_3genE2ELNS1_11target_archE906ELNS1_3gpuE6ELNS1_3repE0EEENS1_30default_config_static_selectorELNS0_4arch9wavefront6targetE0EEEvS12_.uses_flat_scratch, 0
	.set _ZN7rocprim17ROCPRIM_400000_NS6detail17trampoline_kernelINS0_13select_configILj256ELj13ELNS0_17block_load_methodE3ELS4_3ELS4_3ELNS0_20block_scan_algorithmE0ELj4294967295EEENS1_25partition_config_selectorILNS1_17partition_subalgoE4EjNS0_10empty_typeEbEEZZNS1_14partition_implILS8_4ELb0ES6_15HIP_vector_typeIjLj2EENS0_17counting_iteratorIjlEEPS9_SG_NS0_5tupleIJPjSI_NS0_16reverse_iteratorISI_EEEEENSH_IJSG_SG_SG_EEES9_SI_JZNS1_25segmented_radix_sort_implINS0_14default_configELb0EPKbPbPKlPlN2at6native12_GLOBAL__N_18offset_tEEE10hipError_tPvRmT1_PNSt15iterator_traitsIS12_E10value_typeET2_T3_PNS13_IS18_E10value_typeET4_jRbjT5_S1E_jjP12ihipStream_tbEUljE_ZNSN_ISO_Lb0ESQ_SR_ST_SU_SY_EESZ_S10_S11_S12_S16_S17_S18_S1B_S1C_jS1D_jS1E_S1E_jjS1G_bEUljE0_EEESZ_S10_S11_S18_S1C_S1E_T6_T7_T9_mT8_S1G_bDpT10_ENKUlT_T0_E_clISt17integral_constantIbLb0EES1U_EEDaS1P_S1Q_EUlS1P_E_NS1_11comp_targetILNS1_3genE2ELNS1_11target_archE906ELNS1_3gpuE6ELNS1_3repE0EEENS1_30default_config_static_selectorELNS0_4arch9wavefront6targetE0EEEvS12_.has_dyn_sized_stack, 0
	.set _ZN7rocprim17ROCPRIM_400000_NS6detail17trampoline_kernelINS0_13select_configILj256ELj13ELNS0_17block_load_methodE3ELS4_3ELS4_3ELNS0_20block_scan_algorithmE0ELj4294967295EEENS1_25partition_config_selectorILNS1_17partition_subalgoE4EjNS0_10empty_typeEbEEZZNS1_14partition_implILS8_4ELb0ES6_15HIP_vector_typeIjLj2EENS0_17counting_iteratorIjlEEPS9_SG_NS0_5tupleIJPjSI_NS0_16reverse_iteratorISI_EEEEENSH_IJSG_SG_SG_EEES9_SI_JZNS1_25segmented_radix_sort_implINS0_14default_configELb0EPKbPbPKlPlN2at6native12_GLOBAL__N_18offset_tEEE10hipError_tPvRmT1_PNSt15iterator_traitsIS12_E10value_typeET2_T3_PNS13_IS18_E10value_typeET4_jRbjT5_S1E_jjP12ihipStream_tbEUljE_ZNSN_ISO_Lb0ESQ_SR_ST_SU_SY_EESZ_S10_S11_S12_S16_S17_S18_S1B_S1C_jS1D_jS1E_S1E_jjS1G_bEUljE0_EEESZ_S10_S11_S18_S1C_S1E_T6_T7_T9_mT8_S1G_bDpT10_ENKUlT_T0_E_clISt17integral_constantIbLb0EES1U_EEDaS1P_S1Q_EUlS1P_E_NS1_11comp_targetILNS1_3genE2ELNS1_11target_archE906ELNS1_3gpuE6ELNS1_3repE0EEENS1_30default_config_static_selectorELNS0_4arch9wavefront6targetE0EEEvS12_.has_recursion, 0
	.set _ZN7rocprim17ROCPRIM_400000_NS6detail17trampoline_kernelINS0_13select_configILj256ELj13ELNS0_17block_load_methodE3ELS4_3ELS4_3ELNS0_20block_scan_algorithmE0ELj4294967295EEENS1_25partition_config_selectorILNS1_17partition_subalgoE4EjNS0_10empty_typeEbEEZZNS1_14partition_implILS8_4ELb0ES6_15HIP_vector_typeIjLj2EENS0_17counting_iteratorIjlEEPS9_SG_NS0_5tupleIJPjSI_NS0_16reverse_iteratorISI_EEEEENSH_IJSG_SG_SG_EEES9_SI_JZNS1_25segmented_radix_sort_implINS0_14default_configELb0EPKbPbPKlPlN2at6native12_GLOBAL__N_18offset_tEEE10hipError_tPvRmT1_PNSt15iterator_traitsIS12_E10value_typeET2_T3_PNS13_IS18_E10value_typeET4_jRbjT5_S1E_jjP12ihipStream_tbEUljE_ZNSN_ISO_Lb0ESQ_SR_ST_SU_SY_EESZ_S10_S11_S12_S16_S17_S18_S1B_S1C_jS1D_jS1E_S1E_jjS1G_bEUljE0_EEESZ_S10_S11_S18_S1C_S1E_T6_T7_T9_mT8_S1G_bDpT10_ENKUlT_T0_E_clISt17integral_constantIbLb0EES1U_EEDaS1P_S1Q_EUlS1P_E_NS1_11comp_targetILNS1_3genE2ELNS1_11target_archE906ELNS1_3gpuE6ELNS1_3repE0EEENS1_30default_config_static_selectorELNS0_4arch9wavefront6targetE0EEEvS12_.has_indirect_call, 0
	.section	.AMDGPU.csdata,"",@progbits
; Kernel info:
; codeLenInByte = 0
; TotalNumSgprs: 0
; NumVgprs: 0
; ScratchSize: 0
; MemoryBound: 0
; FloatMode: 240
; IeeeMode: 1
; LDSByteSize: 0 bytes/workgroup (compile time only)
; SGPRBlocks: 0
; VGPRBlocks: 0
; NumSGPRsForWavesPerEU: 1
; NumVGPRsForWavesPerEU: 1
; Occupancy: 16
; WaveLimiterHint : 0
; COMPUTE_PGM_RSRC2:SCRATCH_EN: 0
; COMPUTE_PGM_RSRC2:USER_SGPR: 6
; COMPUTE_PGM_RSRC2:TRAP_HANDLER: 0
; COMPUTE_PGM_RSRC2:TGID_X_EN: 1
; COMPUTE_PGM_RSRC2:TGID_Y_EN: 0
; COMPUTE_PGM_RSRC2:TGID_Z_EN: 0
; COMPUTE_PGM_RSRC2:TIDIG_COMP_CNT: 0
	.section	.text._ZN7rocprim17ROCPRIM_400000_NS6detail17trampoline_kernelINS0_13select_configILj256ELj13ELNS0_17block_load_methodE3ELS4_3ELS4_3ELNS0_20block_scan_algorithmE0ELj4294967295EEENS1_25partition_config_selectorILNS1_17partition_subalgoE4EjNS0_10empty_typeEbEEZZNS1_14partition_implILS8_4ELb0ES6_15HIP_vector_typeIjLj2EENS0_17counting_iteratorIjlEEPS9_SG_NS0_5tupleIJPjSI_NS0_16reverse_iteratorISI_EEEEENSH_IJSG_SG_SG_EEES9_SI_JZNS1_25segmented_radix_sort_implINS0_14default_configELb0EPKbPbPKlPlN2at6native12_GLOBAL__N_18offset_tEEE10hipError_tPvRmT1_PNSt15iterator_traitsIS12_E10value_typeET2_T3_PNS13_IS18_E10value_typeET4_jRbjT5_S1E_jjP12ihipStream_tbEUljE_ZNSN_ISO_Lb0ESQ_SR_ST_SU_SY_EESZ_S10_S11_S12_S16_S17_S18_S1B_S1C_jS1D_jS1E_S1E_jjS1G_bEUljE0_EEESZ_S10_S11_S18_S1C_S1E_T6_T7_T9_mT8_S1G_bDpT10_ENKUlT_T0_E_clISt17integral_constantIbLb0EES1U_EEDaS1P_S1Q_EUlS1P_E_NS1_11comp_targetILNS1_3genE10ELNS1_11target_archE1200ELNS1_3gpuE4ELNS1_3repE0EEENS1_30default_config_static_selectorELNS0_4arch9wavefront6targetE0EEEvS12_,"axG",@progbits,_ZN7rocprim17ROCPRIM_400000_NS6detail17trampoline_kernelINS0_13select_configILj256ELj13ELNS0_17block_load_methodE3ELS4_3ELS4_3ELNS0_20block_scan_algorithmE0ELj4294967295EEENS1_25partition_config_selectorILNS1_17partition_subalgoE4EjNS0_10empty_typeEbEEZZNS1_14partition_implILS8_4ELb0ES6_15HIP_vector_typeIjLj2EENS0_17counting_iteratorIjlEEPS9_SG_NS0_5tupleIJPjSI_NS0_16reverse_iteratorISI_EEEEENSH_IJSG_SG_SG_EEES9_SI_JZNS1_25segmented_radix_sort_implINS0_14default_configELb0EPKbPbPKlPlN2at6native12_GLOBAL__N_18offset_tEEE10hipError_tPvRmT1_PNSt15iterator_traitsIS12_E10value_typeET2_T3_PNS13_IS18_E10value_typeET4_jRbjT5_S1E_jjP12ihipStream_tbEUljE_ZNSN_ISO_Lb0ESQ_SR_ST_SU_SY_EESZ_S10_S11_S12_S16_S17_S18_S1B_S1C_jS1D_jS1E_S1E_jjS1G_bEUljE0_EEESZ_S10_S11_S18_S1C_S1E_T6_T7_T9_mT8_S1G_bDpT10_ENKUlT_T0_E_clISt17integral_constantIbLb0EES1U_EEDaS1P_S1Q_EUlS1P_E_NS1_11comp_targetILNS1_3genE10ELNS1_11target_archE1200ELNS1_3gpuE4ELNS1_3repE0EEENS1_30default_config_static_selectorELNS0_4arch9wavefront6targetE0EEEvS12_,comdat
	.globl	_ZN7rocprim17ROCPRIM_400000_NS6detail17trampoline_kernelINS0_13select_configILj256ELj13ELNS0_17block_load_methodE3ELS4_3ELS4_3ELNS0_20block_scan_algorithmE0ELj4294967295EEENS1_25partition_config_selectorILNS1_17partition_subalgoE4EjNS0_10empty_typeEbEEZZNS1_14partition_implILS8_4ELb0ES6_15HIP_vector_typeIjLj2EENS0_17counting_iteratorIjlEEPS9_SG_NS0_5tupleIJPjSI_NS0_16reverse_iteratorISI_EEEEENSH_IJSG_SG_SG_EEES9_SI_JZNS1_25segmented_radix_sort_implINS0_14default_configELb0EPKbPbPKlPlN2at6native12_GLOBAL__N_18offset_tEEE10hipError_tPvRmT1_PNSt15iterator_traitsIS12_E10value_typeET2_T3_PNS13_IS18_E10value_typeET4_jRbjT5_S1E_jjP12ihipStream_tbEUljE_ZNSN_ISO_Lb0ESQ_SR_ST_SU_SY_EESZ_S10_S11_S12_S16_S17_S18_S1B_S1C_jS1D_jS1E_S1E_jjS1G_bEUljE0_EEESZ_S10_S11_S18_S1C_S1E_T6_T7_T9_mT8_S1G_bDpT10_ENKUlT_T0_E_clISt17integral_constantIbLb0EES1U_EEDaS1P_S1Q_EUlS1P_E_NS1_11comp_targetILNS1_3genE10ELNS1_11target_archE1200ELNS1_3gpuE4ELNS1_3repE0EEENS1_30default_config_static_selectorELNS0_4arch9wavefront6targetE0EEEvS12_ ; -- Begin function _ZN7rocprim17ROCPRIM_400000_NS6detail17trampoline_kernelINS0_13select_configILj256ELj13ELNS0_17block_load_methodE3ELS4_3ELS4_3ELNS0_20block_scan_algorithmE0ELj4294967295EEENS1_25partition_config_selectorILNS1_17partition_subalgoE4EjNS0_10empty_typeEbEEZZNS1_14partition_implILS8_4ELb0ES6_15HIP_vector_typeIjLj2EENS0_17counting_iteratorIjlEEPS9_SG_NS0_5tupleIJPjSI_NS0_16reverse_iteratorISI_EEEEENSH_IJSG_SG_SG_EEES9_SI_JZNS1_25segmented_radix_sort_implINS0_14default_configELb0EPKbPbPKlPlN2at6native12_GLOBAL__N_18offset_tEEE10hipError_tPvRmT1_PNSt15iterator_traitsIS12_E10value_typeET2_T3_PNS13_IS18_E10value_typeET4_jRbjT5_S1E_jjP12ihipStream_tbEUljE_ZNSN_ISO_Lb0ESQ_SR_ST_SU_SY_EESZ_S10_S11_S12_S16_S17_S18_S1B_S1C_jS1D_jS1E_S1E_jjS1G_bEUljE0_EEESZ_S10_S11_S18_S1C_S1E_T6_T7_T9_mT8_S1G_bDpT10_ENKUlT_T0_E_clISt17integral_constantIbLb0EES1U_EEDaS1P_S1Q_EUlS1P_E_NS1_11comp_targetILNS1_3genE10ELNS1_11target_archE1200ELNS1_3gpuE4ELNS1_3repE0EEENS1_30default_config_static_selectorELNS0_4arch9wavefront6targetE0EEEvS12_
	.p2align	8
	.type	_ZN7rocprim17ROCPRIM_400000_NS6detail17trampoline_kernelINS0_13select_configILj256ELj13ELNS0_17block_load_methodE3ELS4_3ELS4_3ELNS0_20block_scan_algorithmE0ELj4294967295EEENS1_25partition_config_selectorILNS1_17partition_subalgoE4EjNS0_10empty_typeEbEEZZNS1_14partition_implILS8_4ELb0ES6_15HIP_vector_typeIjLj2EENS0_17counting_iteratorIjlEEPS9_SG_NS0_5tupleIJPjSI_NS0_16reverse_iteratorISI_EEEEENSH_IJSG_SG_SG_EEES9_SI_JZNS1_25segmented_radix_sort_implINS0_14default_configELb0EPKbPbPKlPlN2at6native12_GLOBAL__N_18offset_tEEE10hipError_tPvRmT1_PNSt15iterator_traitsIS12_E10value_typeET2_T3_PNS13_IS18_E10value_typeET4_jRbjT5_S1E_jjP12ihipStream_tbEUljE_ZNSN_ISO_Lb0ESQ_SR_ST_SU_SY_EESZ_S10_S11_S12_S16_S17_S18_S1B_S1C_jS1D_jS1E_S1E_jjS1G_bEUljE0_EEESZ_S10_S11_S18_S1C_S1E_T6_T7_T9_mT8_S1G_bDpT10_ENKUlT_T0_E_clISt17integral_constantIbLb0EES1U_EEDaS1P_S1Q_EUlS1P_E_NS1_11comp_targetILNS1_3genE10ELNS1_11target_archE1200ELNS1_3gpuE4ELNS1_3repE0EEENS1_30default_config_static_selectorELNS0_4arch9wavefront6targetE0EEEvS12_,@function
_ZN7rocprim17ROCPRIM_400000_NS6detail17trampoline_kernelINS0_13select_configILj256ELj13ELNS0_17block_load_methodE3ELS4_3ELS4_3ELNS0_20block_scan_algorithmE0ELj4294967295EEENS1_25partition_config_selectorILNS1_17partition_subalgoE4EjNS0_10empty_typeEbEEZZNS1_14partition_implILS8_4ELb0ES6_15HIP_vector_typeIjLj2EENS0_17counting_iteratorIjlEEPS9_SG_NS0_5tupleIJPjSI_NS0_16reverse_iteratorISI_EEEEENSH_IJSG_SG_SG_EEES9_SI_JZNS1_25segmented_radix_sort_implINS0_14default_configELb0EPKbPbPKlPlN2at6native12_GLOBAL__N_18offset_tEEE10hipError_tPvRmT1_PNSt15iterator_traitsIS12_E10value_typeET2_T3_PNS13_IS18_E10value_typeET4_jRbjT5_S1E_jjP12ihipStream_tbEUljE_ZNSN_ISO_Lb0ESQ_SR_ST_SU_SY_EESZ_S10_S11_S12_S16_S17_S18_S1B_S1C_jS1D_jS1E_S1E_jjS1G_bEUljE0_EEESZ_S10_S11_S18_S1C_S1E_T6_T7_T9_mT8_S1G_bDpT10_ENKUlT_T0_E_clISt17integral_constantIbLb0EES1U_EEDaS1P_S1Q_EUlS1P_E_NS1_11comp_targetILNS1_3genE10ELNS1_11target_archE1200ELNS1_3gpuE4ELNS1_3repE0EEENS1_30default_config_static_selectorELNS0_4arch9wavefront6targetE0EEEvS12_: ; @_ZN7rocprim17ROCPRIM_400000_NS6detail17trampoline_kernelINS0_13select_configILj256ELj13ELNS0_17block_load_methodE3ELS4_3ELS4_3ELNS0_20block_scan_algorithmE0ELj4294967295EEENS1_25partition_config_selectorILNS1_17partition_subalgoE4EjNS0_10empty_typeEbEEZZNS1_14partition_implILS8_4ELb0ES6_15HIP_vector_typeIjLj2EENS0_17counting_iteratorIjlEEPS9_SG_NS0_5tupleIJPjSI_NS0_16reverse_iteratorISI_EEEEENSH_IJSG_SG_SG_EEES9_SI_JZNS1_25segmented_radix_sort_implINS0_14default_configELb0EPKbPbPKlPlN2at6native12_GLOBAL__N_18offset_tEEE10hipError_tPvRmT1_PNSt15iterator_traitsIS12_E10value_typeET2_T3_PNS13_IS18_E10value_typeET4_jRbjT5_S1E_jjP12ihipStream_tbEUljE_ZNSN_ISO_Lb0ESQ_SR_ST_SU_SY_EESZ_S10_S11_S12_S16_S17_S18_S1B_S1C_jS1D_jS1E_S1E_jjS1G_bEUljE0_EEESZ_S10_S11_S18_S1C_S1E_T6_T7_T9_mT8_S1G_bDpT10_ENKUlT_T0_E_clISt17integral_constantIbLb0EES1U_EEDaS1P_S1Q_EUlS1P_E_NS1_11comp_targetILNS1_3genE10ELNS1_11target_archE1200ELNS1_3gpuE4ELNS1_3repE0EEENS1_30default_config_static_selectorELNS0_4arch9wavefront6targetE0EEEvS12_
; %bb.0:
	.section	.rodata,"a",@progbits
	.p2align	6, 0x0
	.amdhsa_kernel _ZN7rocprim17ROCPRIM_400000_NS6detail17trampoline_kernelINS0_13select_configILj256ELj13ELNS0_17block_load_methodE3ELS4_3ELS4_3ELNS0_20block_scan_algorithmE0ELj4294967295EEENS1_25partition_config_selectorILNS1_17partition_subalgoE4EjNS0_10empty_typeEbEEZZNS1_14partition_implILS8_4ELb0ES6_15HIP_vector_typeIjLj2EENS0_17counting_iteratorIjlEEPS9_SG_NS0_5tupleIJPjSI_NS0_16reverse_iteratorISI_EEEEENSH_IJSG_SG_SG_EEES9_SI_JZNS1_25segmented_radix_sort_implINS0_14default_configELb0EPKbPbPKlPlN2at6native12_GLOBAL__N_18offset_tEEE10hipError_tPvRmT1_PNSt15iterator_traitsIS12_E10value_typeET2_T3_PNS13_IS18_E10value_typeET4_jRbjT5_S1E_jjP12ihipStream_tbEUljE_ZNSN_ISO_Lb0ESQ_SR_ST_SU_SY_EESZ_S10_S11_S12_S16_S17_S18_S1B_S1C_jS1D_jS1E_S1E_jjS1G_bEUljE0_EEESZ_S10_S11_S18_S1C_S1E_T6_T7_T9_mT8_S1G_bDpT10_ENKUlT_T0_E_clISt17integral_constantIbLb0EES1U_EEDaS1P_S1Q_EUlS1P_E_NS1_11comp_targetILNS1_3genE10ELNS1_11target_archE1200ELNS1_3gpuE4ELNS1_3repE0EEENS1_30default_config_static_selectorELNS0_4arch9wavefront6targetE0EEEvS12_
		.amdhsa_group_segment_fixed_size 0
		.amdhsa_private_segment_fixed_size 0
		.amdhsa_kernarg_size 176
		.amdhsa_user_sgpr_count 6
		.amdhsa_user_sgpr_private_segment_buffer 1
		.amdhsa_user_sgpr_dispatch_ptr 0
		.amdhsa_user_sgpr_queue_ptr 0
		.amdhsa_user_sgpr_kernarg_segment_ptr 1
		.amdhsa_user_sgpr_dispatch_id 0
		.amdhsa_user_sgpr_flat_scratch_init 0
		.amdhsa_user_sgpr_private_segment_size 0
		.amdhsa_wavefront_size32 1
		.amdhsa_uses_dynamic_stack 0
		.amdhsa_system_sgpr_private_segment_wavefront_offset 0
		.amdhsa_system_sgpr_workgroup_id_x 1
		.amdhsa_system_sgpr_workgroup_id_y 0
		.amdhsa_system_sgpr_workgroup_id_z 0
		.amdhsa_system_sgpr_workgroup_info 0
		.amdhsa_system_vgpr_workitem_id 0
		.amdhsa_next_free_vgpr 1
		.amdhsa_next_free_sgpr 1
		.amdhsa_reserve_vcc 0
		.amdhsa_reserve_flat_scratch 0
		.amdhsa_float_round_mode_32 0
		.amdhsa_float_round_mode_16_64 0
		.amdhsa_float_denorm_mode_32 3
		.amdhsa_float_denorm_mode_16_64 3
		.amdhsa_dx10_clamp 1
		.amdhsa_ieee_mode 1
		.amdhsa_fp16_overflow 0
		.amdhsa_workgroup_processor_mode 1
		.amdhsa_memory_ordered 1
		.amdhsa_forward_progress 1
		.amdhsa_shared_vgpr_count 0
		.amdhsa_exception_fp_ieee_invalid_op 0
		.amdhsa_exception_fp_denorm_src 0
		.amdhsa_exception_fp_ieee_div_zero 0
		.amdhsa_exception_fp_ieee_overflow 0
		.amdhsa_exception_fp_ieee_underflow 0
		.amdhsa_exception_fp_ieee_inexact 0
		.amdhsa_exception_int_div_zero 0
	.end_amdhsa_kernel
	.section	.text._ZN7rocprim17ROCPRIM_400000_NS6detail17trampoline_kernelINS0_13select_configILj256ELj13ELNS0_17block_load_methodE3ELS4_3ELS4_3ELNS0_20block_scan_algorithmE0ELj4294967295EEENS1_25partition_config_selectorILNS1_17partition_subalgoE4EjNS0_10empty_typeEbEEZZNS1_14partition_implILS8_4ELb0ES6_15HIP_vector_typeIjLj2EENS0_17counting_iteratorIjlEEPS9_SG_NS0_5tupleIJPjSI_NS0_16reverse_iteratorISI_EEEEENSH_IJSG_SG_SG_EEES9_SI_JZNS1_25segmented_radix_sort_implINS0_14default_configELb0EPKbPbPKlPlN2at6native12_GLOBAL__N_18offset_tEEE10hipError_tPvRmT1_PNSt15iterator_traitsIS12_E10value_typeET2_T3_PNS13_IS18_E10value_typeET4_jRbjT5_S1E_jjP12ihipStream_tbEUljE_ZNSN_ISO_Lb0ESQ_SR_ST_SU_SY_EESZ_S10_S11_S12_S16_S17_S18_S1B_S1C_jS1D_jS1E_S1E_jjS1G_bEUljE0_EEESZ_S10_S11_S18_S1C_S1E_T6_T7_T9_mT8_S1G_bDpT10_ENKUlT_T0_E_clISt17integral_constantIbLb0EES1U_EEDaS1P_S1Q_EUlS1P_E_NS1_11comp_targetILNS1_3genE10ELNS1_11target_archE1200ELNS1_3gpuE4ELNS1_3repE0EEENS1_30default_config_static_selectorELNS0_4arch9wavefront6targetE0EEEvS12_,"axG",@progbits,_ZN7rocprim17ROCPRIM_400000_NS6detail17trampoline_kernelINS0_13select_configILj256ELj13ELNS0_17block_load_methodE3ELS4_3ELS4_3ELNS0_20block_scan_algorithmE0ELj4294967295EEENS1_25partition_config_selectorILNS1_17partition_subalgoE4EjNS0_10empty_typeEbEEZZNS1_14partition_implILS8_4ELb0ES6_15HIP_vector_typeIjLj2EENS0_17counting_iteratorIjlEEPS9_SG_NS0_5tupleIJPjSI_NS0_16reverse_iteratorISI_EEEEENSH_IJSG_SG_SG_EEES9_SI_JZNS1_25segmented_radix_sort_implINS0_14default_configELb0EPKbPbPKlPlN2at6native12_GLOBAL__N_18offset_tEEE10hipError_tPvRmT1_PNSt15iterator_traitsIS12_E10value_typeET2_T3_PNS13_IS18_E10value_typeET4_jRbjT5_S1E_jjP12ihipStream_tbEUljE_ZNSN_ISO_Lb0ESQ_SR_ST_SU_SY_EESZ_S10_S11_S12_S16_S17_S18_S1B_S1C_jS1D_jS1E_S1E_jjS1G_bEUljE0_EEESZ_S10_S11_S18_S1C_S1E_T6_T7_T9_mT8_S1G_bDpT10_ENKUlT_T0_E_clISt17integral_constantIbLb0EES1U_EEDaS1P_S1Q_EUlS1P_E_NS1_11comp_targetILNS1_3genE10ELNS1_11target_archE1200ELNS1_3gpuE4ELNS1_3repE0EEENS1_30default_config_static_selectorELNS0_4arch9wavefront6targetE0EEEvS12_,comdat
.Lfunc_end1567:
	.size	_ZN7rocprim17ROCPRIM_400000_NS6detail17trampoline_kernelINS0_13select_configILj256ELj13ELNS0_17block_load_methodE3ELS4_3ELS4_3ELNS0_20block_scan_algorithmE0ELj4294967295EEENS1_25partition_config_selectorILNS1_17partition_subalgoE4EjNS0_10empty_typeEbEEZZNS1_14partition_implILS8_4ELb0ES6_15HIP_vector_typeIjLj2EENS0_17counting_iteratorIjlEEPS9_SG_NS0_5tupleIJPjSI_NS0_16reverse_iteratorISI_EEEEENSH_IJSG_SG_SG_EEES9_SI_JZNS1_25segmented_radix_sort_implINS0_14default_configELb0EPKbPbPKlPlN2at6native12_GLOBAL__N_18offset_tEEE10hipError_tPvRmT1_PNSt15iterator_traitsIS12_E10value_typeET2_T3_PNS13_IS18_E10value_typeET4_jRbjT5_S1E_jjP12ihipStream_tbEUljE_ZNSN_ISO_Lb0ESQ_SR_ST_SU_SY_EESZ_S10_S11_S12_S16_S17_S18_S1B_S1C_jS1D_jS1E_S1E_jjS1G_bEUljE0_EEESZ_S10_S11_S18_S1C_S1E_T6_T7_T9_mT8_S1G_bDpT10_ENKUlT_T0_E_clISt17integral_constantIbLb0EES1U_EEDaS1P_S1Q_EUlS1P_E_NS1_11comp_targetILNS1_3genE10ELNS1_11target_archE1200ELNS1_3gpuE4ELNS1_3repE0EEENS1_30default_config_static_selectorELNS0_4arch9wavefront6targetE0EEEvS12_, .Lfunc_end1567-_ZN7rocprim17ROCPRIM_400000_NS6detail17trampoline_kernelINS0_13select_configILj256ELj13ELNS0_17block_load_methodE3ELS4_3ELS4_3ELNS0_20block_scan_algorithmE0ELj4294967295EEENS1_25partition_config_selectorILNS1_17partition_subalgoE4EjNS0_10empty_typeEbEEZZNS1_14partition_implILS8_4ELb0ES6_15HIP_vector_typeIjLj2EENS0_17counting_iteratorIjlEEPS9_SG_NS0_5tupleIJPjSI_NS0_16reverse_iteratorISI_EEEEENSH_IJSG_SG_SG_EEES9_SI_JZNS1_25segmented_radix_sort_implINS0_14default_configELb0EPKbPbPKlPlN2at6native12_GLOBAL__N_18offset_tEEE10hipError_tPvRmT1_PNSt15iterator_traitsIS12_E10value_typeET2_T3_PNS13_IS18_E10value_typeET4_jRbjT5_S1E_jjP12ihipStream_tbEUljE_ZNSN_ISO_Lb0ESQ_SR_ST_SU_SY_EESZ_S10_S11_S12_S16_S17_S18_S1B_S1C_jS1D_jS1E_S1E_jjS1G_bEUljE0_EEESZ_S10_S11_S18_S1C_S1E_T6_T7_T9_mT8_S1G_bDpT10_ENKUlT_T0_E_clISt17integral_constantIbLb0EES1U_EEDaS1P_S1Q_EUlS1P_E_NS1_11comp_targetILNS1_3genE10ELNS1_11target_archE1200ELNS1_3gpuE4ELNS1_3repE0EEENS1_30default_config_static_selectorELNS0_4arch9wavefront6targetE0EEEvS12_
                                        ; -- End function
	.set _ZN7rocprim17ROCPRIM_400000_NS6detail17trampoline_kernelINS0_13select_configILj256ELj13ELNS0_17block_load_methodE3ELS4_3ELS4_3ELNS0_20block_scan_algorithmE0ELj4294967295EEENS1_25partition_config_selectorILNS1_17partition_subalgoE4EjNS0_10empty_typeEbEEZZNS1_14partition_implILS8_4ELb0ES6_15HIP_vector_typeIjLj2EENS0_17counting_iteratorIjlEEPS9_SG_NS0_5tupleIJPjSI_NS0_16reverse_iteratorISI_EEEEENSH_IJSG_SG_SG_EEES9_SI_JZNS1_25segmented_radix_sort_implINS0_14default_configELb0EPKbPbPKlPlN2at6native12_GLOBAL__N_18offset_tEEE10hipError_tPvRmT1_PNSt15iterator_traitsIS12_E10value_typeET2_T3_PNS13_IS18_E10value_typeET4_jRbjT5_S1E_jjP12ihipStream_tbEUljE_ZNSN_ISO_Lb0ESQ_SR_ST_SU_SY_EESZ_S10_S11_S12_S16_S17_S18_S1B_S1C_jS1D_jS1E_S1E_jjS1G_bEUljE0_EEESZ_S10_S11_S18_S1C_S1E_T6_T7_T9_mT8_S1G_bDpT10_ENKUlT_T0_E_clISt17integral_constantIbLb0EES1U_EEDaS1P_S1Q_EUlS1P_E_NS1_11comp_targetILNS1_3genE10ELNS1_11target_archE1200ELNS1_3gpuE4ELNS1_3repE0EEENS1_30default_config_static_selectorELNS0_4arch9wavefront6targetE0EEEvS12_.num_vgpr, 0
	.set _ZN7rocprim17ROCPRIM_400000_NS6detail17trampoline_kernelINS0_13select_configILj256ELj13ELNS0_17block_load_methodE3ELS4_3ELS4_3ELNS0_20block_scan_algorithmE0ELj4294967295EEENS1_25partition_config_selectorILNS1_17partition_subalgoE4EjNS0_10empty_typeEbEEZZNS1_14partition_implILS8_4ELb0ES6_15HIP_vector_typeIjLj2EENS0_17counting_iteratorIjlEEPS9_SG_NS0_5tupleIJPjSI_NS0_16reverse_iteratorISI_EEEEENSH_IJSG_SG_SG_EEES9_SI_JZNS1_25segmented_radix_sort_implINS0_14default_configELb0EPKbPbPKlPlN2at6native12_GLOBAL__N_18offset_tEEE10hipError_tPvRmT1_PNSt15iterator_traitsIS12_E10value_typeET2_T3_PNS13_IS18_E10value_typeET4_jRbjT5_S1E_jjP12ihipStream_tbEUljE_ZNSN_ISO_Lb0ESQ_SR_ST_SU_SY_EESZ_S10_S11_S12_S16_S17_S18_S1B_S1C_jS1D_jS1E_S1E_jjS1G_bEUljE0_EEESZ_S10_S11_S18_S1C_S1E_T6_T7_T9_mT8_S1G_bDpT10_ENKUlT_T0_E_clISt17integral_constantIbLb0EES1U_EEDaS1P_S1Q_EUlS1P_E_NS1_11comp_targetILNS1_3genE10ELNS1_11target_archE1200ELNS1_3gpuE4ELNS1_3repE0EEENS1_30default_config_static_selectorELNS0_4arch9wavefront6targetE0EEEvS12_.num_agpr, 0
	.set _ZN7rocprim17ROCPRIM_400000_NS6detail17trampoline_kernelINS0_13select_configILj256ELj13ELNS0_17block_load_methodE3ELS4_3ELS4_3ELNS0_20block_scan_algorithmE0ELj4294967295EEENS1_25partition_config_selectorILNS1_17partition_subalgoE4EjNS0_10empty_typeEbEEZZNS1_14partition_implILS8_4ELb0ES6_15HIP_vector_typeIjLj2EENS0_17counting_iteratorIjlEEPS9_SG_NS0_5tupleIJPjSI_NS0_16reverse_iteratorISI_EEEEENSH_IJSG_SG_SG_EEES9_SI_JZNS1_25segmented_radix_sort_implINS0_14default_configELb0EPKbPbPKlPlN2at6native12_GLOBAL__N_18offset_tEEE10hipError_tPvRmT1_PNSt15iterator_traitsIS12_E10value_typeET2_T3_PNS13_IS18_E10value_typeET4_jRbjT5_S1E_jjP12ihipStream_tbEUljE_ZNSN_ISO_Lb0ESQ_SR_ST_SU_SY_EESZ_S10_S11_S12_S16_S17_S18_S1B_S1C_jS1D_jS1E_S1E_jjS1G_bEUljE0_EEESZ_S10_S11_S18_S1C_S1E_T6_T7_T9_mT8_S1G_bDpT10_ENKUlT_T0_E_clISt17integral_constantIbLb0EES1U_EEDaS1P_S1Q_EUlS1P_E_NS1_11comp_targetILNS1_3genE10ELNS1_11target_archE1200ELNS1_3gpuE4ELNS1_3repE0EEENS1_30default_config_static_selectorELNS0_4arch9wavefront6targetE0EEEvS12_.numbered_sgpr, 0
	.set _ZN7rocprim17ROCPRIM_400000_NS6detail17trampoline_kernelINS0_13select_configILj256ELj13ELNS0_17block_load_methodE3ELS4_3ELS4_3ELNS0_20block_scan_algorithmE0ELj4294967295EEENS1_25partition_config_selectorILNS1_17partition_subalgoE4EjNS0_10empty_typeEbEEZZNS1_14partition_implILS8_4ELb0ES6_15HIP_vector_typeIjLj2EENS0_17counting_iteratorIjlEEPS9_SG_NS0_5tupleIJPjSI_NS0_16reverse_iteratorISI_EEEEENSH_IJSG_SG_SG_EEES9_SI_JZNS1_25segmented_radix_sort_implINS0_14default_configELb0EPKbPbPKlPlN2at6native12_GLOBAL__N_18offset_tEEE10hipError_tPvRmT1_PNSt15iterator_traitsIS12_E10value_typeET2_T3_PNS13_IS18_E10value_typeET4_jRbjT5_S1E_jjP12ihipStream_tbEUljE_ZNSN_ISO_Lb0ESQ_SR_ST_SU_SY_EESZ_S10_S11_S12_S16_S17_S18_S1B_S1C_jS1D_jS1E_S1E_jjS1G_bEUljE0_EEESZ_S10_S11_S18_S1C_S1E_T6_T7_T9_mT8_S1G_bDpT10_ENKUlT_T0_E_clISt17integral_constantIbLb0EES1U_EEDaS1P_S1Q_EUlS1P_E_NS1_11comp_targetILNS1_3genE10ELNS1_11target_archE1200ELNS1_3gpuE4ELNS1_3repE0EEENS1_30default_config_static_selectorELNS0_4arch9wavefront6targetE0EEEvS12_.num_named_barrier, 0
	.set _ZN7rocprim17ROCPRIM_400000_NS6detail17trampoline_kernelINS0_13select_configILj256ELj13ELNS0_17block_load_methodE3ELS4_3ELS4_3ELNS0_20block_scan_algorithmE0ELj4294967295EEENS1_25partition_config_selectorILNS1_17partition_subalgoE4EjNS0_10empty_typeEbEEZZNS1_14partition_implILS8_4ELb0ES6_15HIP_vector_typeIjLj2EENS0_17counting_iteratorIjlEEPS9_SG_NS0_5tupleIJPjSI_NS0_16reverse_iteratorISI_EEEEENSH_IJSG_SG_SG_EEES9_SI_JZNS1_25segmented_radix_sort_implINS0_14default_configELb0EPKbPbPKlPlN2at6native12_GLOBAL__N_18offset_tEEE10hipError_tPvRmT1_PNSt15iterator_traitsIS12_E10value_typeET2_T3_PNS13_IS18_E10value_typeET4_jRbjT5_S1E_jjP12ihipStream_tbEUljE_ZNSN_ISO_Lb0ESQ_SR_ST_SU_SY_EESZ_S10_S11_S12_S16_S17_S18_S1B_S1C_jS1D_jS1E_S1E_jjS1G_bEUljE0_EEESZ_S10_S11_S18_S1C_S1E_T6_T7_T9_mT8_S1G_bDpT10_ENKUlT_T0_E_clISt17integral_constantIbLb0EES1U_EEDaS1P_S1Q_EUlS1P_E_NS1_11comp_targetILNS1_3genE10ELNS1_11target_archE1200ELNS1_3gpuE4ELNS1_3repE0EEENS1_30default_config_static_selectorELNS0_4arch9wavefront6targetE0EEEvS12_.private_seg_size, 0
	.set _ZN7rocprim17ROCPRIM_400000_NS6detail17trampoline_kernelINS0_13select_configILj256ELj13ELNS0_17block_load_methodE3ELS4_3ELS4_3ELNS0_20block_scan_algorithmE0ELj4294967295EEENS1_25partition_config_selectorILNS1_17partition_subalgoE4EjNS0_10empty_typeEbEEZZNS1_14partition_implILS8_4ELb0ES6_15HIP_vector_typeIjLj2EENS0_17counting_iteratorIjlEEPS9_SG_NS0_5tupleIJPjSI_NS0_16reverse_iteratorISI_EEEEENSH_IJSG_SG_SG_EEES9_SI_JZNS1_25segmented_radix_sort_implINS0_14default_configELb0EPKbPbPKlPlN2at6native12_GLOBAL__N_18offset_tEEE10hipError_tPvRmT1_PNSt15iterator_traitsIS12_E10value_typeET2_T3_PNS13_IS18_E10value_typeET4_jRbjT5_S1E_jjP12ihipStream_tbEUljE_ZNSN_ISO_Lb0ESQ_SR_ST_SU_SY_EESZ_S10_S11_S12_S16_S17_S18_S1B_S1C_jS1D_jS1E_S1E_jjS1G_bEUljE0_EEESZ_S10_S11_S18_S1C_S1E_T6_T7_T9_mT8_S1G_bDpT10_ENKUlT_T0_E_clISt17integral_constantIbLb0EES1U_EEDaS1P_S1Q_EUlS1P_E_NS1_11comp_targetILNS1_3genE10ELNS1_11target_archE1200ELNS1_3gpuE4ELNS1_3repE0EEENS1_30default_config_static_selectorELNS0_4arch9wavefront6targetE0EEEvS12_.uses_vcc, 0
	.set _ZN7rocprim17ROCPRIM_400000_NS6detail17trampoline_kernelINS0_13select_configILj256ELj13ELNS0_17block_load_methodE3ELS4_3ELS4_3ELNS0_20block_scan_algorithmE0ELj4294967295EEENS1_25partition_config_selectorILNS1_17partition_subalgoE4EjNS0_10empty_typeEbEEZZNS1_14partition_implILS8_4ELb0ES6_15HIP_vector_typeIjLj2EENS0_17counting_iteratorIjlEEPS9_SG_NS0_5tupleIJPjSI_NS0_16reverse_iteratorISI_EEEEENSH_IJSG_SG_SG_EEES9_SI_JZNS1_25segmented_radix_sort_implINS0_14default_configELb0EPKbPbPKlPlN2at6native12_GLOBAL__N_18offset_tEEE10hipError_tPvRmT1_PNSt15iterator_traitsIS12_E10value_typeET2_T3_PNS13_IS18_E10value_typeET4_jRbjT5_S1E_jjP12ihipStream_tbEUljE_ZNSN_ISO_Lb0ESQ_SR_ST_SU_SY_EESZ_S10_S11_S12_S16_S17_S18_S1B_S1C_jS1D_jS1E_S1E_jjS1G_bEUljE0_EEESZ_S10_S11_S18_S1C_S1E_T6_T7_T9_mT8_S1G_bDpT10_ENKUlT_T0_E_clISt17integral_constantIbLb0EES1U_EEDaS1P_S1Q_EUlS1P_E_NS1_11comp_targetILNS1_3genE10ELNS1_11target_archE1200ELNS1_3gpuE4ELNS1_3repE0EEENS1_30default_config_static_selectorELNS0_4arch9wavefront6targetE0EEEvS12_.uses_flat_scratch, 0
	.set _ZN7rocprim17ROCPRIM_400000_NS6detail17trampoline_kernelINS0_13select_configILj256ELj13ELNS0_17block_load_methodE3ELS4_3ELS4_3ELNS0_20block_scan_algorithmE0ELj4294967295EEENS1_25partition_config_selectorILNS1_17partition_subalgoE4EjNS0_10empty_typeEbEEZZNS1_14partition_implILS8_4ELb0ES6_15HIP_vector_typeIjLj2EENS0_17counting_iteratorIjlEEPS9_SG_NS0_5tupleIJPjSI_NS0_16reverse_iteratorISI_EEEEENSH_IJSG_SG_SG_EEES9_SI_JZNS1_25segmented_radix_sort_implINS0_14default_configELb0EPKbPbPKlPlN2at6native12_GLOBAL__N_18offset_tEEE10hipError_tPvRmT1_PNSt15iterator_traitsIS12_E10value_typeET2_T3_PNS13_IS18_E10value_typeET4_jRbjT5_S1E_jjP12ihipStream_tbEUljE_ZNSN_ISO_Lb0ESQ_SR_ST_SU_SY_EESZ_S10_S11_S12_S16_S17_S18_S1B_S1C_jS1D_jS1E_S1E_jjS1G_bEUljE0_EEESZ_S10_S11_S18_S1C_S1E_T6_T7_T9_mT8_S1G_bDpT10_ENKUlT_T0_E_clISt17integral_constantIbLb0EES1U_EEDaS1P_S1Q_EUlS1P_E_NS1_11comp_targetILNS1_3genE10ELNS1_11target_archE1200ELNS1_3gpuE4ELNS1_3repE0EEENS1_30default_config_static_selectorELNS0_4arch9wavefront6targetE0EEEvS12_.has_dyn_sized_stack, 0
	.set _ZN7rocprim17ROCPRIM_400000_NS6detail17trampoline_kernelINS0_13select_configILj256ELj13ELNS0_17block_load_methodE3ELS4_3ELS4_3ELNS0_20block_scan_algorithmE0ELj4294967295EEENS1_25partition_config_selectorILNS1_17partition_subalgoE4EjNS0_10empty_typeEbEEZZNS1_14partition_implILS8_4ELb0ES6_15HIP_vector_typeIjLj2EENS0_17counting_iteratorIjlEEPS9_SG_NS0_5tupleIJPjSI_NS0_16reverse_iteratorISI_EEEEENSH_IJSG_SG_SG_EEES9_SI_JZNS1_25segmented_radix_sort_implINS0_14default_configELb0EPKbPbPKlPlN2at6native12_GLOBAL__N_18offset_tEEE10hipError_tPvRmT1_PNSt15iterator_traitsIS12_E10value_typeET2_T3_PNS13_IS18_E10value_typeET4_jRbjT5_S1E_jjP12ihipStream_tbEUljE_ZNSN_ISO_Lb0ESQ_SR_ST_SU_SY_EESZ_S10_S11_S12_S16_S17_S18_S1B_S1C_jS1D_jS1E_S1E_jjS1G_bEUljE0_EEESZ_S10_S11_S18_S1C_S1E_T6_T7_T9_mT8_S1G_bDpT10_ENKUlT_T0_E_clISt17integral_constantIbLb0EES1U_EEDaS1P_S1Q_EUlS1P_E_NS1_11comp_targetILNS1_3genE10ELNS1_11target_archE1200ELNS1_3gpuE4ELNS1_3repE0EEENS1_30default_config_static_selectorELNS0_4arch9wavefront6targetE0EEEvS12_.has_recursion, 0
	.set _ZN7rocprim17ROCPRIM_400000_NS6detail17trampoline_kernelINS0_13select_configILj256ELj13ELNS0_17block_load_methodE3ELS4_3ELS4_3ELNS0_20block_scan_algorithmE0ELj4294967295EEENS1_25partition_config_selectorILNS1_17partition_subalgoE4EjNS0_10empty_typeEbEEZZNS1_14partition_implILS8_4ELb0ES6_15HIP_vector_typeIjLj2EENS0_17counting_iteratorIjlEEPS9_SG_NS0_5tupleIJPjSI_NS0_16reverse_iteratorISI_EEEEENSH_IJSG_SG_SG_EEES9_SI_JZNS1_25segmented_radix_sort_implINS0_14default_configELb0EPKbPbPKlPlN2at6native12_GLOBAL__N_18offset_tEEE10hipError_tPvRmT1_PNSt15iterator_traitsIS12_E10value_typeET2_T3_PNS13_IS18_E10value_typeET4_jRbjT5_S1E_jjP12ihipStream_tbEUljE_ZNSN_ISO_Lb0ESQ_SR_ST_SU_SY_EESZ_S10_S11_S12_S16_S17_S18_S1B_S1C_jS1D_jS1E_S1E_jjS1G_bEUljE0_EEESZ_S10_S11_S18_S1C_S1E_T6_T7_T9_mT8_S1G_bDpT10_ENKUlT_T0_E_clISt17integral_constantIbLb0EES1U_EEDaS1P_S1Q_EUlS1P_E_NS1_11comp_targetILNS1_3genE10ELNS1_11target_archE1200ELNS1_3gpuE4ELNS1_3repE0EEENS1_30default_config_static_selectorELNS0_4arch9wavefront6targetE0EEEvS12_.has_indirect_call, 0
	.section	.AMDGPU.csdata,"",@progbits
; Kernel info:
; codeLenInByte = 0
; TotalNumSgprs: 0
; NumVgprs: 0
; ScratchSize: 0
; MemoryBound: 0
; FloatMode: 240
; IeeeMode: 1
; LDSByteSize: 0 bytes/workgroup (compile time only)
; SGPRBlocks: 0
; VGPRBlocks: 0
; NumSGPRsForWavesPerEU: 1
; NumVGPRsForWavesPerEU: 1
; Occupancy: 16
; WaveLimiterHint : 0
; COMPUTE_PGM_RSRC2:SCRATCH_EN: 0
; COMPUTE_PGM_RSRC2:USER_SGPR: 6
; COMPUTE_PGM_RSRC2:TRAP_HANDLER: 0
; COMPUTE_PGM_RSRC2:TGID_X_EN: 1
; COMPUTE_PGM_RSRC2:TGID_Y_EN: 0
; COMPUTE_PGM_RSRC2:TGID_Z_EN: 0
; COMPUTE_PGM_RSRC2:TIDIG_COMP_CNT: 0
	.section	.text._ZN7rocprim17ROCPRIM_400000_NS6detail17trampoline_kernelINS0_13select_configILj256ELj13ELNS0_17block_load_methodE3ELS4_3ELS4_3ELNS0_20block_scan_algorithmE0ELj4294967295EEENS1_25partition_config_selectorILNS1_17partition_subalgoE4EjNS0_10empty_typeEbEEZZNS1_14partition_implILS8_4ELb0ES6_15HIP_vector_typeIjLj2EENS0_17counting_iteratorIjlEEPS9_SG_NS0_5tupleIJPjSI_NS0_16reverse_iteratorISI_EEEEENSH_IJSG_SG_SG_EEES9_SI_JZNS1_25segmented_radix_sort_implINS0_14default_configELb0EPKbPbPKlPlN2at6native12_GLOBAL__N_18offset_tEEE10hipError_tPvRmT1_PNSt15iterator_traitsIS12_E10value_typeET2_T3_PNS13_IS18_E10value_typeET4_jRbjT5_S1E_jjP12ihipStream_tbEUljE_ZNSN_ISO_Lb0ESQ_SR_ST_SU_SY_EESZ_S10_S11_S12_S16_S17_S18_S1B_S1C_jS1D_jS1E_S1E_jjS1G_bEUljE0_EEESZ_S10_S11_S18_S1C_S1E_T6_T7_T9_mT8_S1G_bDpT10_ENKUlT_T0_E_clISt17integral_constantIbLb0EES1U_EEDaS1P_S1Q_EUlS1P_E_NS1_11comp_targetILNS1_3genE9ELNS1_11target_archE1100ELNS1_3gpuE3ELNS1_3repE0EEENS1_30default_config_static_selectorELNS0_4arch9wavefront6targetE0EEEvS12_,"axG",@progbits,_ZN7rocprim17ROCPRIM_400000_NS6detail17trampoline_kernelINS0_13select_configILj256ELj13ELNS0_17block_load_methodE3ELS4_3ELS4_3ELNS0_20block_scan_algorithmE0ELj4294967295EEENS1_25partition_config_selectorILNS1_17partition_subalgoE4EjNS0_10empty_typeEbEEZZNS1_14partition_implILS8_4ELb0ES6_15HIP_vector_typeIjLj2EENS0_17counting_iteratorIjlEEPS9_SG_NS0_5tupleIJPjSI_NS0_16reverse_iteratorISI_EEEEENSH_IJSG_SG_SG_EEES9_SI_JZNS1_25segmented_radix_sort_implINS0_14default_configELb0EPKbPbPKlPlN2at6native12_GLOBAL__N_18offset_tEEE10hipError_tPvRmT1_PNSt15iterator_traitsIS12_E10value_typeET2_T3_PNS13_IS18_E10value_typeET4_jRbjT5_S1E_jjP12ihipStream_tbEUljE_ZNSN_ISO_Lb0ESQ_SR_ST_SU_SY_EESZ_S10_S11_S12_S16_S17_S18_S1B_S1C_jS1D_jS1E_S1E_jjS1G_bEUljE0_EEESZ_S10_S11_S18_S1C_S1E_T6_T7_T9_mT8_S1G_bDpT10_ENKUlT_T0_E_clISt17integral_constantIbLb0EES1U_EEDaS1P_S1Q_EUlS1P_E_NS1_11comp_targetILNS1_3genE9ELNS1_11target_archE1100ELNS1_3gpuE3ELNS1_3repE0EEENS1_30default_config_static_selectorELNS0_4arch9wavefront6targetE0EEEvS12_,comdat
	.globl	_ZN7rocprim17ROCPRIM_400000_NS6detail17trampoline_kernelINS0_13select_configILj256ELj13ELNS0_17block_load_methodE3ELS4_3ELS4_3ELNS0_20block_scan_algorithmE0ELj4294967295EEENS1_25partition_config_selectorILNS1_17partition_subalgoE4EjNS0_10empty_typeEbEEZZNS1_14partition_implILS8_4ELb0ES6_15HIP_vector_typeIjLj2EENS0_17counting_iteratorIjlEEPS9_SG_NS0_5tupleIJPjSI_NS0_16reverse_iteratorISI_EEEEENSH_IJSG_SG_SG_EEES9_SI_JZNS1_25segmented_radix_sort_implINS0_14default_configELb0EPKbPbPKlPlN2at6native12_GLOBAL__N_18offset_tEEE10hipError_tPvRmT1_PNSt15iterator_traitsIS12_E10value_typeET2_T3_PNS13_IS18_E10value_typeET4_jRbjT5_S1E_jjP12ihipStream_tbEUljE_ZNSN_ISO_Lb0ESQ_SR_ST_SU_SY_EESZ_S10_S11_S12_S16_S17_S18_S1B_S1C_jS1D_jS1E_S1E_jjS1G_bEUljE0_EEESZ_S10_S11_S18_S1C_S1E_T6_T7_T9_mT8_S1G_bDpT10_ENKUlT_T0_E_clISt17integral_constantIbLb0EES1U_EEDaS1P_S1Q_EUlS1P_E_NS1_11comp_targetILNS1_3genE9ELNS1_11target_archE1100ELNS1_3gpuE3ELNS1_3repE0EEENS1_30default_config_static_selectorELNS0_4arch9wavefront6targetE0EEEvS12_ ; -- Begin function _ZN7rocprim17ROCPRIM_400000_NS6detail17trampoline_kernelINS0_13select_configILj256ELj13ELNS0_17block_load_methodE3ELS4_3ELS4_3ELNS0_20block_scan_algorithmE0ELj4294967295EEENS1_25partition_config_selectorILNS1_17partition_subalgoE4EjNS0_10empty_typeEbEEZZNS1_14partition_implILS8_4ELb0ES6_15HIP_vector_typeIjLj2EENS0_17counting_iteratorIjlEEPS9_SG_NS0_5tupleIJPjSI_NS0_16reverse_iteratorISI_EEEEENSH_IJSG_SG_SG_EEES9_SI_JZNS1_25segmented_radix_sort_implINS0_14default_configELb0EPKbPbPKlPlN2at6native12_GLOBAL__N_18offset_tEEE10hipError_tPvRmT1_PNSt15iterator_traitsIS12_E10value_typeET2_T3_PNS13_IS18_E10value_typeET4_jRbjT5_S1E_jjP12ihipStream_tbEUljE_ZNSN_ISO_Lb0ESQ_SR_ST_SU_SY_EESZ_S10_S11_S12_S16_S17_S18_S1B_S1C_jS1D_jS1E_S1E_jjS1G_bEUljE0_EEESZ_S10_S11_S18_S1C_S1E_T6_T7_T9_mT8_S1G_bDpT10_ENKUlT_T0_E_clISt17integral_constantIbLb0EES1U_EEDaS1P_S1Q_EUlS1P_E_NS1_11comp_targetILNS1_3genE9ELNS1_11target_archE1100ELNS1_3gpuE3ELNS1_3repE0EEENS1_30default_config_static_selectorELNS0_4arch9wavefront6targetE0EEEvS12_
	.p2align	8
	.type	_ZN7rocprim17ROCPRIM_400000_NS6detail17trampoline_kernelINS0_13select_configILj256ELj13ELNS0_17block_load_methodE3ELS4_3ELS4_3ELNS0_20block_scan_algorithmE0ELj4294967295EEENS1_25partition_config_selectorILNS1_17partition_subalgoE4EjNS0_10empty_typeEbEEZZNS1_14partition_implILS8_4ELb0ES6_15HIP_vector_typeIjLj2EENS0_17counting_iteratorIjlEEPS9_SG_NS0_5tupleIJPjSI_NS0_16reverse_iteratorISI_EEEEENSH_IJSG_SG_SG_EEES9_SI_JZNS1_25segmented_radix_sort_implINS0_14default_configELb0EPKbPbPKlPlN2at6native12_GLOBAL__N_18offset_tEEE10hipError_tPvRmT1_PNSt15iterator_traitsIS12_E10value_typeET2_T3_PNS13_IS18_E10value_typeET4_jRbjT5_S1E_jjP12ihipStream_tbEUljE_ZNSN_ISO_Lb0ESQ_SR_ST_SU_SY_EESZ_S10_S11_S12_S16_S17_S18_S1B_S1C_jS1D_jS1E_S1E_jjS1G_bEUljE0_EEESZ_S10_S11_S18_S1C_S1E_T6_T7_T9_mT8_S1G_bDpT10_ENKUlT_T0_E_clISt17integral_constantIbLb0EES1U_EEDaS1P_S1Q_EUlS1P_E_NS1_11comp_targetILNS1_3genE9ELNS1_11target_archE1100ELNS1_3gpuE3ELNS1_3repE0EEENS1_30default_config_static_selectorELNS0_4arch9wavefront6targetE0EEEvS12_,@function
_ZN7rocprim17ROCPRIM_400000_NS6detail17trampoline_kernelINS0_13select_configILj256ELj13ELNS0_17block_load_methodE3ELS4_3ELS4_3ELNS0_20block_scan_algorithmE0ELj4294967295EEENS1_25partition_config_selectorILNS1_17partition_subalgoE4EjNS0_10empty_typeEbEEZZNS1_14partition_implILS8_4ELb0ES6_15HIP_vector_typeIjLj2EENS0_17counting_iteratorIjlEEPS9_SG_NS0_5tupleIJPjSI_NS0_16reverse_iteratorISI_EEEEENSH_IJSG_SG_SG_EEES9_SI_JZNS1_25segmented_radix_sort_implINS0_14default_configELb0EPKbPbPKlPlN2at6native12_GLOBAL__N_18offset_tEEE10hipError_tPvRmT1_PNSt15iterator_traitsIS12_E10value_typeET2_T3_PNS13_IS18_E10value_typeET4_jRbjT5_S1E_jjP12ihipStream_tbEUljE_ZNSN_ISO_Lb0ESQ_SR_ST_SU_SY_EESZ_S10_S11_S12_S16_S17_S18_S1B_S1C_jS1D_jS1E_S1E_jjS1G_bEUljE0_EEESZ_S10_S11_S18_S1C_S1E_T6_T7_T9_mT8_S1G_bDpT10_ENKUlT_T0_E_clISt17integral_constantIbLb0EES1U_EEDaS1P_S1Q_EUlS1P_E_NS1_11comp_targetILNS1_3genE9ELNS1_11target_archE1100ELNS1_3gpuE3ELNS1_3repE0EEENS1_30default_config_static_selectorELNS0_4arch9wavefront6targetE0EEEvS12_: ; @_ZN7rocprim17ROCPRIM_400000_NS6detail17trampoline_kernelINS0_13select_configILj256ELj13ELNS0_17block_load_methodE3ELS4_3ELS4_3ELNS0_20block_scan_algorithmE0ELj4294967295EEENS1_25partition_config_selectorILNS1_17partition_subalgoE4EjNS0_10empty_typeEbEEZZNS1_14partition_implILS8_4ELb0ES6_15HIP_vector_typeIjLj2EENS0_17counting_iteratorIjlEEPS9_SG_NS0_5tupleIJPjSI_NS0_16reverse_iteratorISI_EEEEENSH_IJSG_SG_SG_EEES9_SI_JZNS1_25segmented_radix_sort_implINS0_14default_configELb0EPKbPbPKlPlN2at6native12_GLOBAL__N_18offset_tEEE10hipError_tPvRmT1_PNSt15iterator_traitsIS12_E10value_typeET2_T3_PNS13_IS18_E10value_typeET4_jRbjT5_S1E_jjP12ihipStream_tbEUljE_ZNSN_ISO_Lb0ESQ_SR_ST_SU_SY_EESZ_S10_S11_S12_S16_S17_S18_S1B_S1C_jS1D_jS1E_S1E_jjS1G_bEUljE0_EEESZ_S10_S11_S18_S1C_S1E_T6_T7_T9_mT8_S1G_bDpT10_ENKUlT_T0_E_clISt17integral_constantIbLb0EES1U_EEDaS1P_S1Q_EUlS1P_E_NS1_11comp_targetILNS1_3genE9ELNS1_11target_archE1100ELNS1_3gpuE3ELNS1_3repE0EEENS1_30default_config_static_selectorELNS0_4arch9wavefront6targetE0EEEvS12_
; %bb.0:
	.section	.rodata,"a",@progbits
	.p2align	6, 0x0
	.amdhsa_kernel _ZN7rocprim17ROCPRIM_400000_NS6detail17trampoline_kernelINS0_13select_configILj256ELj13ELNS0_17block_load_methodE3ELS4_3ELS4_3ELNS0_20block_scan_algorithmE0ELj4294967295EEENS1_25partition_config_selectorILNS1_17partition_subalgoE4EjNS0_10empty_typeEbEEZZNS1_14partition_implILS8_4ELb0ES6_15HIP_vector_typeIjLj2EENS0_17counting_iteratorIjlEEPS9_SG_NS0_5tupleIJPjSI_NS0_16reverse_iteratorISI_EEEEENSH_IJSG_SG_SG_EEES9_SI_JZNS1_25segmented_radix_sort_implINS0_14default_configELb0EPKbPbPKlPlN2at6native12_GLOBAL__N_18offset_tEEE10hipError_tPvRmT1_PNSt15iterator_traitsIS12_E10value_typeET2_T3_PNS13_IS18_E10value_typeET4_jRbjT5_S1E_jjP12ihipStream_tbEUljE_ZNSN_ISO_Lb0ESQ_SR_ST_SU_SY_EESZ_S10_S11_S12_S16_S17_S18_S1B_S1C_jS1D_jS1E_S1E_jjS1G_bEUljE0_EEESZ_S10_S11_S18_S1C_S1E_T6_T7_T9_mT8_S1G_bDpT10_ENKUlT_T0_E_clISt17integral_constantIbLb0EES1U_EEDaS1P_S1Q_EUlS1P_E_NS1_11comp_targetILNS1_3genE9ELNS1_11target_archE1100ELNS1_3gpuE3ELNS1_3repE0EEENS1_30default_config_static_selectorELNS0_4arch9wavefront6targetE0EEEvS12_
		.amdhsa_group_segment_fixed_size 0
		.amdhsa_private_segment_fixed_size 0
		.amdhsa_kernarg_size 176
		.amdhsa_user_sgpr_count 6
		.amdhsa_user_sgpr_private_segment_buffer 1
		.amdhsa_user_sgpr_dispatch_ptr 0
		.amdhsa_user_sgpr_queue_ptr 0
		.amdhsa_user_sgpr_kernarg_segment_ptr 1
		.amdhsa_user_sgpr_dispatch_id 0
		.amdhsa_user_sgpr_flat_scratch_init 0
		.amdhsa_user_sgpr_private_segment_size 0
		.amdhsa_wavefront_size32 1
		.amdhsa_uses_dynamic_stack 0
		.amdhsa_system_sgpr_private_segment_wavefront_offset 0
		.amdhsa_system_sgpr_workgroup_id_x 1
		.amdhsa_system_sgpr_workgroup_id_y 0
		.amdhsa_system_sgpr_workgroup_id_z 0
		.amdhsa_system_sgpr_workgroup_info 0
		.amdhsa_system_vgpr_workitem_id 0
		.amdhsa_next_free_vgpr 1
		.amdhsa_next_free_sgpr 1
		.amdhsa_reserve_vcc 0
		.amdhsa_reserve_flat_scratch 0
		.amdhsa_float_round_mode_32 0
		.amdhsa_float_round_mode_16_64 0
		.amdhsa_float_denorm_mode_32 3
		.amdhsa_float_denorm_mode_16_64 3
		.amdhsa_dx10_clamp 1
		.amdhsa_ieee_mode 1
		.amdhsa_fp16_overflow 0
		.amdhsa_workgroup_processor_mode 1
		.amdhsa_memory_ordered 1
		.amdhsa_forward_progress 1
		.amdhsa_shared_vgpr_count 0
		.amdhsa_exception_fp_ieee_invalid_op 0
		.amdhsa_exception_fp_denorm_src 0
		.amdhsa_exception_fp_ieee_div_zero 0
		.amdhsa_exception_fp_ieee_overflow 0
		.amdhsa_exception_fp_ieee_underflow 0
		.amdhsa_exception_fp_ieee_inexact 0
		.amdhsa_exception_int_div_zero 0
	.end_amdhsa_kernel
	.section	.text._ZN7rocprim17ROCPRIM_400000_NS6detail17trampoline_kernelINS0_13select_configILj256ELj13ELNS0_17block_load_methodE3ELS4_3ELS4_3ELNS0_20block_scan_algorithmE0ELj4294967295EEENS1_25partition_config_selectorILNS1_17partition_subalgoE4EjNS0_10empty_typeEbEEZZNS1_14partition_implILS8_4ELb0ES6_15HIP_vector_typeIjLj2EENS0_17counting_iteratorIjlEEPS9_SG_NS0_5tupleIJPjSI_NS0_16reverse_iteratorISI_EEEEENSH_IJSG_SG_SG_EEES9_SI_JZNS1_25segmented_radix_sort_implINS0_14default_configELb0EPKbPbPKlPlN2at6native12_GLOBAL__N_18offset_tEEE10hipError_tPvRmT1_PNSt15iterator_traitsIS12_E10value_typeET2_T3_PNS13_IS18_E10value_typeET4_jRbjT5_S1E_jjP12ihipStream_tbEUljE_ZNSN_ISO_Lb0ESQ_SR_ST_SU_SY_EESZ_S10_S11_S12_S16_S17_S18_S1B_S1C_jS1D_jS1E_S1E_jjS1G_bEUljE0_EEESZ_S10_S11_S18_S1C_S1E_T6_T7_T9_mT8_S1G_bDpT10_ENKUlT_T0_E_clISt17integral_constantIbLb0EES1U_EEDaS1P_S1Q_EUlS1P_E_NS1_11comp_targetILNS1_3genE9ELNS1_11target_archE1100ELNS1_3gpuE3ELNS1_3repE0EEENS1_30default_config_static_selectorELNS0_4arch9wavefront6targetE0EEEvS12_,"axG",@progbits,_ZN7rocprim17ROCPRIM_400000_NS6detail17trampoline_kernelINS0_13select_configILj256ELj13ELNS0_17block_load_methodE3ELS4_3ELS4_3ELNS0_20block_scan_algorithmE0ELj4294967295EEENS1_25partition_config_selectorILNS1_17partition_subalgoE4EjNS0_10empty_typeEbEEZZNS1_14partition_implILS8_4ELb0ES6_15HIP_vector_typeIjLj2EENS0_17counting_iteratorIjlEEPS9_SG_NS0_5tupleIJPjSI_NS0_16reverse_iteratorISI_EEEEENSH_IJSG_SG_SG_EEES9_SI_JZNS1_25segmented_radix_sort_implINS0_14default_configELb0EPKbPbPKlPlN2at6native12_GLOBAL__N_18offset_tEEE10hipError_tPvRmT1_PNSt15iterator_traitsIS12_E10value_typeET2_T3_PNS13_IS18_E10value_typeET4_jRbjT5_S1E_jjP12ihipStream_tbEUljE_ZNSN_ISO_Lb0ESQ_SR_ST_SU_SY_EESZ_S10_S11_S12_S16_S17_S18_S1B_S1C_jS1D_jS1E_S1E_jjS1G_bEUljE0_EEESZ_S10_S11_S18_S1C_S1E_T6_T7_T9_mT8_S1G_bDpT10_ENKUlT_T0_E_clISt17integral_constantIbLb0EES1U_EEDaS1P_S1Q_EUlS1P_E_NS1_11comp_targetILNS1_3genE9ELNS1_11target_archE1100ELNS1_3gpuE3ELNS1_3repE0EEENS1_30default_config_static_selectorELNS0_4arch9wavefront6targetE0EEEvS12_,comdat
.Lfunc_end1568:
	.size	_ZN7rocprim17ROCPRIM_400000_NS6detail17trampoline_kernelINS0_13select_configILj256ELj13ELNS0_17block_load_methodE3ELS4_3ELS4_3ELNS0_20block_scan_algorithmE0ELj4294967295EEENS1_25partition_config_selectorILNS1_17partition_subalgoE4EjNS0_10empty_typeEbEEZZNS1_14partition_implILS8_4ELb0ES6_15HIP_vector_typeIjLj2EENS0_17counting_iteratorIjlEEPS9_SG_NS0_5tupleIJPjSI_NS0_16reverse_iteratorISI_EEEEENSH_IJSG_SG_SG_EEES9_SI_JZNS1_25segmented_radix_sort_implINS0_14default_configELb0EPKbPbPKlPlN2at6native12_GLOBAL__N_18offset_tEEE10hipError_tPvRmT1_PNSt15iterator_traitsIS12_E10value_typeET2_T3_PNS13_IS18_E10value_typeET4_jRbjT5_S1E_jjP12ihipStream_tbEUljE_ZNSN_ISO_Lb0ESQ_SR_ST_SU_SY_EESZ_S10_S11_S12_S16_S17_S18_S1B_S1C_jS1D_jS1E_S1E_jjS1G_bEUljE0_EEESZ_S10_S11_S18_S1C_S1E_T6_T7_T9_mT8_S1G_bDpT10_ENKUlT_T0_E_clISt17integral_constantIbLb0EES1U_EEDaS1P_S1Q_EUlS1P_E_NS1_11comp_targetILNS1_3genE9ELNS1_11target_archE1100ELNS1_3gpuE3ELNS1_3repE0EEENS1_30default_config_static_selectorELNS0_4arch9wavefront6targetE0EEEvS12_, .Lfunc_end1568-_ZN7rocprim17ROCPRIM_400000_NS6detail17trampoline_kernelINS0_13select_configILj256ELj13ELNS0_17block_load_methodE3ELS4_3ELS4_3ELNS0_20block_scan_algorithmE0ELj4294967295EEENS1_25partition_config_selectorILNS1_17partition_subalgoE4EjNS0_10empty_typeEbEEZZNS1_14partition_implILS8_4ELb0ES6_15HIP_vector_typeIjLj2EENS0_17counting_iteratorIjlEEPS9_SG_NS0_5tupleIJPjSI_NS0_16reverse_iteratorISI_EEEEENSH_IJSG_SG_SG_EEES9_SI_JZNS1_25segmented_radix_sort_implINS0_14default_configELb0EPKbPbPKlPlN2at6native12_GLOBAL__N_18offset_tEEE10hipError_tPvRmT1_PNSt15iterator_traitsIS12_E10value_typeET2_T3_PNS13_IS18_E10value_typeET4_jRbjT5_S1E_jjP12ihipStream_tbEUljE_ZNSN_ISO_Lb0ESQ_SR_ST_SU_SY_EESZ_S10_S11_S12_S16_S17_S18_S1B_S1C_jS1D_jS1E_S1E_jjS1G_bEUljE0_EEESZ_S10_S11_S18_S1C_S1E_T6_T7_T9_mT8_S1G_bDpT10_ENKUlT_T0_E_clISt17integral_constantIbLb0EES1U_EEDaS1P_S1Q_EUlS1P_E_NS1_11comp_targetILNS1_3genE9ELNS1_11target_archE1100ELNS1_3gpuE3ELNS1_3repE0EEENS1_30default_config_static_selectorELNS0_4arch9wavefront6targetE0EEEvS12_
                                        ; -- End function
	.set _ZN7rocprim17ROCPRIM_400000_NS6detail17trampoline_kernelINS0_13select_configILj256ELj13ELNS0_17block_load_methodE3ELS4_3ELS4_3ELNS0_20block_scan_algorithmE0ELj4294967295EEENS1_25partition_config_selectorILNS1_17partition_subalgoE4EjNS0_10empty_typeEbEEZZNS1_14partition_implILS8_4ELb0ES6_15HIP_vector_typeIjLj2EENS0_17counting_iteratorIjlEEPS9_SG_NS0_5tupleIJPjSI_NS0_16reverse_iteratorISI_EEEEENSH_IJSG_SG_SG_EEES9_SI_JZNS1_25segmented_radix_sort_implINS0_14default_configELb0EPKbPbPKlPlN2at6native12_GLOBAL__N_18offset_tEEE10hipError_tPvRmT1_PNSt15iterator_traitsIS12_E10value_typeET2_T3_PNS13_IS18_E10value_typeET4_jRbjT5_S1E_jjP12ihipStream_tbEUljE_ZNSN_ISO_Lb0ESQ_SR_ST_SU_SY_EESZ_S10_S11_S12_S16_S17_S18_S1B_S1C_jS1D_jS1E_S1E_jjS1G_bEUljE0_EEESZ_S10_S11_S18_S1C_S1E_T6_T7_T9_mT8_S1G_bDpT10_ENKUlT_T0_E_clISt17integral_constantIbLb0EES1U_EEDaS1P_S1Q_EUlS1P_E_NS1_11comp_targetILNS1_3genE9ELNS1_11target_archE1100ELNS1_3gpuE3ELNS1_3repE0EEENS1_30default_config_static_selectorELNS0_4arch9wavefront6targetE0EEEvS12_.num_vgpr, 0
	.set _ZN7rocprim17ROCPRIM_400000_NS6detail17trampoline_kernelINS0_13select_configILj256ELj13ELNS0_17block_load_methodE3ELS4_3ELS4_3ELNS0_20block_scan_algorithmE0ELj4294967295EEENS1_25partition_config_selectorILNS1_17partition_subalgoE4EjNS0_10empty_typeEbEEZZNS1_14partition_implILS8_4ELb0ES6_15HIP_vector_typeIjLj2EENS0_17counting_iteratorIjlEEPS9_SG_NS0_5tupleIJPjSI_NS0_16reverse_iteratorISI_EEEEENSH_IJSG_SG_SG_EEES9_SI_JZNS1_25segmented_radix_sort_implINS0_14default_configELb0EPKbPbPKlPlN2at6native12_GLOBAL__N_18offset_tEEE10hipError_tPvRmT1_PNSt15iterator_traitsIS12_E10value_typeET2_T3_PNS13_IS18_E10value_typeET4_jRbjT5_S1E_jjP12ihipStream_tbEUljE_ZNSN_ISO_Lb0ESQ_SR_ST_SU_SY_EESZ_S10_S11_S12_S16_S17_S18_S1B_S1C_jS1D_jS1E_S1E_jjS1G_bEUljE0_EEESZ_S10_S11_S18_S1C_S1E_T6_T7_T9_mT8_S1G_bDpT10_ENKUlT_T0_E_clISt17integral_constantIbLb0EES1U_EEDaS1P_S1Q_EUlS1P_E_NS1_11comp_targetILNS1_3genE9ELNS1_11target_archE1100ELNS1_3gpuE3ELNS1_3repE0EEENS1_30default_config_static_selectorELNS0_4arch9wavefront6targetE0EEEvS12_.num_agpr, 0
	.set _ZN7rocprim17ROCPRIM_400000_NS6detail17trampoline_kernelINS0_13select_configILj256ELj13ELNS0_17block_load_methodE3ELS4_3ELS4_3ELNS0_20block_scan_algorithmE0ELj4294967295EEENS1_25partition_config_selectorILNS1_17partition_subalgoE4EjNS0_10empty_typeEbEEZZNS1_14partition_implILS8_4ELb0ES6_15HIP_vector_typeIjLj2EENS0_17counting_iteratorIjlEEPS9_SG_NS0_5tupleIJPjSI_NS0_16reverse_iteratorISI_EEEEENSH_IJSG_SG_SG_EEES9_SI_JZNS1_25segmented_radix_sort_implINS0_14default_configELb0EPKbPbPKlPlN2at6native12_GLOBAL__N_18offset_tEEE10hipError_tPvRmT1_PNSt15iterator_traitsIS12_E10value_typeET2_T3_PNS13_IS18_E10value_typeET4_jRbjT5_S1E_jjP12ihipStream_tbEUljE_ZNSN_ISO_Lb0ESQ_SR_ST_SU_SY_EESZ_S10_S11_S12_S16_S17_S18_S1B_S1C_jS1D_jS1E_S1E_jjS1G_bEUljE0_EEESZ_S10_S11_S18_S1C_S1E_T6_T7_T9_mT8_S1G_bDpT10_ENKUlT_T0_E_clISt17integral_constantIbLb0EES1U_EEDaS1P_S1Q_EUlS1P_E_NS1_11comp_targetILNS1_3genE9ELNS1_11target_archE1100ELNS1_3gpuE3ELNS1_3repE0EEENS1_30default_config_static_selectorELNS0_4arch9wavefront6targetE0EEEvS12_.numbered_sgpr, 0
	.set _ZN7rocprim17ROCPRIM_400000_NS6detail17trampoline_kernelINS0_13select_configILj256ELj13ELNS0_17block_load_methodE3ELS4_3ELS4_3ELNS0_20block_scan_algorithmE0ELj4294967295EEENS1_25partition_config_selectorILNS1_17partition_subalgoE4EjNS0_10empty_typeEbEEZZNS1_14partition_implILS8_4ELb0ES6_15HIP_vector_typeIjLj2EENS0_17counting_iteratorIjlEEPS9_SG_NS0_5tupleIJPjSI_NS0_16reverse_iteratorISI_EEEEENSH_IJSG_SG_SG_EEES9_SI_JZNS1_25segmented_radix_sort_implINS0_14default_configELb0EPKbPbPKlPlN2at6native12_GLOBAL__N_18offset_tEEE10hipError_tPvRmT1_PNSt15iterator_traitsIS12_E10value_typeET2_T3_PNS13_IS18_E10value_typeET4_jRbjT5_S1E_jjP12ihipStream_tbEUljE_ZNSN_ISO_Lb0ESQ_SR_ST_SU_SY_EESZ_S10_S11_S12_S16_S17_S18_S1B_S1C_jS1D_jS1E_S1E_jjS1G_bEUljE0_EEESZ_S10_S11_S18_S1C_S1E_T6_T7_T9_mT8_S1G_bDpT10_ENKUlT_T0_E_clISt17integral_constantIbLb0EES1U_EEDaS1P_S1Q_EUlS1P_E_NS1_11comp_targetILNS1_3genE9ELNS1_11target_archE1100ELNS1_3gpuE3ELNS1_3repE0EEENS1_30default_config_static_selectorELNS0_4arch9wavefront6targetE0EEEvS12_.num_named_barrier, 0
	.set _ZN7rocprim17ROCPRIM_400000_NS6detail17trampoline_kernelINS0_13select_configILj256ELj13ELNS0_17block_load_methodE3ELS4_3ELS4_3ELNS0_20block_scan_algorithmE0ELj4294967295EEENS1_25partition_config_selectorILNS1_17partition_subalgoE4EjNS0_10empty_typeEbEEZZNS1_14partition_implILS8_4ELb0ES6_15HIP_vector_typeIjLj2EENS0_17counting_iteratorIjlEEPS9_SG_NS0_5tupleIJPjSI_NS0_16reverse_iteratorISI_EEEEENSH_IJSG_SG_SG_EEES9_SI_JZNS1_25segmented_radix_sort_implINS0_14default_configELb0EPKbPbPKlPlN2at6native12_GLOBAL__N_18offset_tEEE10hipError_tPvRmT1_PNSt15iterator_traitsIS12_E10value_typeET2_T3_PNS13_IS18_E10value_typeET4_jRbjT5_S1E_jjP12ihipStream_tbEUljE_ZNSN_ISO_Lb0ESQ_SR_ST_SU_SY_EESZ_S10_S11_S12_S16_S17_S18_S1B_S1C_jS1D_jS1E_S1E_jjS1G_bEUljE0_EEESZ_S10_S11_S18_S1C_S1E_T6_T7_T9_mT8_S1G_bDpT10_ENKUlT_T0_E_clISt17integral_constantIbLb0EES1U_EEDaS1P_S1Q_EUlS1P_E_NS1_11comp_targetILNS1_3genE9ELNS1_11target_archE1100ELNS1_3gpuE3ELNS1_3repE0EEENS1_30default_config_static_selectorELNS0_4arch9wavefront6targetE0EEEvS12_.private_seg_size, 0
	.set _ZN7rocprim17ROCPRIM_400000_NS6detail17trampoline_kernelINS0_13select_configILj256ELj13ELNS0_17block_load_methodE3ELS4_3ELS4_3ELNS0_20block_scan_algorithmE0ELj4294967295EEENS1_25partition_config_selectorILNS1_17partition_subalgoE4EjNS0_10empty_typeEbEEZZNS1_14partition_implILS8_4ELb0ES6_15HIP_vector_typeIjLj2EENS0_17counting_iteratorIjlEEPS9_SG_NS0_5tupleIJPjSI_NS0_16reverse_iteratorISI_EEEEENSH_IJSG_SG_SG_EEES9_SI_JZNS1_25segmented_radix_sort_implINS0_14default_configELb0EPKbPbPKlPlN2at6native12_GLOBAL__N_18offset_tEEE10hipError_tPvRmT1_PNSt15iterator_traitsIS12_E10value_typeET2_T3_PNS13_IS18_E10value_typeET4_jRbjT5_S1E_jjP12ihipStream_tbEUljE_ZNSN_ISO_Lb0ESQ_SR_ST_SU_SY_EESZ_S10_S11_S12_S16_S17_S18_S1B_S1C_jS1D_jS1E_S1E_jjS1G_bEUljE0_EEESZ_S10_S11_S18_S1C_S1E_T6_T7_T9_mT8_S1G_bDpT10_ENKUlT_T0_E_clISt17integral_constantIbLb0EES1U_EEDaS1P_S1Q_EUlS1P_E_NS1_11comp_targetILNS1_3genE9ELNS1_11target_archE1100ELNS1_3gpuE3ELNS1_3repE0EEENS1_30default_config_static_selectorELNS0_4arch9wavefront6targetE0EEEvS12_.uses_vcc, 0
	.set _ZN7rocprim17ROCPRIM_400000_NS6detail17trampoline_kernelINS0_13select_configILj256ELj13ELNS0_17block_load_methodE3ELS4_3ELS4_3ELNS0_20block_scan_algorithmE0ELj4294967295EEENS1_25partition_config_selectorILNS1_17partition_subalgoE4EjNS0_10empty_typeEbEEZZNS1_14partition_implILS8_4ELb0ES6_15HIP_vector_typeIjLj2EENS0_17counting_iteratorIjlEEPS9_SG_NS0_5tupleIJPjSI_NS0_16reverse_iteratorISI_EEEEENSH_IJSG_SG_SG_EEES9_SI_JZNS1_25segmented_radix_sort_implINS0_14default_configELb0EPKbPbPKlPlN2at6native12_GLOBAL__N_18offset_tEEE10hipError_tPvRmT1_PNSt15iterator_traitsIS12_E10value_typeET2_T3_PNS13_IS18_E10value_typeET4_jRbjT5_S1E_jjP12ihipStream_tbEUljE_ZNSN_ISO_Lb0ESQ_SR_ST_SU_SY_EESZ_S10_S11_S12_S16_S17_S18_S1B_S1C_jS1D_jS1E_S1E_jjS1G_bEUljE0_EEESZ_S10_S11_S18_S1C_S1E_T6_T7_T9_mT8_S1G_bDpT10_ENKUlT_T0_E_clISt17integral_constantIbLb0EES1U_EEDaS1P_S1Q_EUlS1P_E_NS1_11comp_targetILNS1_3genE9ELNS1_11target_archE1100ELNS1_3gpuE3ELNS1_3repE0EEENS1_30default_config_static_selectorELNS0_4arch9wavefront6targetE0EEEvS12_.uses_flat_scratch, 0
	.set _ZN7rocprim17ROCPRIM_400000_NS6detail17trampoline_kernelINS0_13select_configILj256ELj13ELNS0_17block_load_methodE3ELS4_3ELS4_3ELNS0_20block_scan_algorithmE0ELj4294967295EEENS1_25partition_config_selectorILNS1_17partition_subalgoE4EjNS0_10empty_typeEbEEZZNS1_14partition_implILS8_4ELb0ES6_15HIP_vector_typeIjLj2EENS0_17counting_iteratorIjlEEPS9_SG_NS0_5tupleIJPjSI_NS0_16reverse_iteratorISI_EEEEENSH_IJSG_SG_SG_EEES9_SI_JZNS1_25segmented_radix_sort_implINS0_14default_configELb0EPKbPbPKlPlN2at6native12_GLOBAL__N_18offset_tEEE10hipError_tPvRmT1_PNSt15iterator_traitsIS12_E10value_typeET2_T3_PNS13_IS18_E10value_typeET4_jRbjT5_S1E_jjP12ihipStream_tbEUljE_ZNSN_ISO_Lb0ESQ_SR_ST_SU_SY_EESZ_S10_S11_S12_S16_S17_S18_S1B_S1C_jS1D_jS1E_S1E_jjS1G_bEUljE0_EEESZ_S10_S11_S18_S1C_S1E_T6_T7_T9_mT8_S1G_bDpT10_ENKUlT_T0_E_clISt17integral_constantIbLb0EES1U_EEDaS1P_S1Q_EUlS1P_E_NS1_11comp_targetILNS1_3genE9ELNS1_11target_archE1100ELNS1_3gpuE3ELNS1_3repE0EEENS1_30default_config_static_selectorELNS0_4arch9wavefront6targetE0EEEvS12_.has_dyn_sized_stack, 0
	.set _ZN7rocprim17ROCPRIM_400000_NS6detail17trampoline_kernelINS0_13select_configILj256ELj13ELNS0_17block_load_methodE3ELS4_3ELS4_3ELNS0_20block_scan_algorithmE0ELj4294967295EEENS1_25partition_config_selectorILNS1_17partition_subalgoE4EjNS0_10empty_typeEbEEZZNS1_14partition_implILS8_4ELb0ES6_15HIP_vector_typeIjLj2EENS0_17counting_iteratorIjlEEPS9_SG_NS0_5tupleIJPjSI_NS0_16reverse_iteratorISI_EEEEENSH_IJSG_SG_SG_EEES9_SI_JZNS1_25segmented_radix_sort_implINS0_14default_configELb0EPKbPbPKlPlN2at6native12_GLOBAL__N_18offset_tEEE10hipError_tPvRmT1_PNSt15iterator_traitsIS12_E10value_typeET2_T3_PNS13_IS18_E10value_typeET4_jRbjT5_S1E_jjP12ihipStream_tbEUljE_ZNSN_ISO_Lb0ESQ_SR_ST_SU_SY_EESZ_S10_S11_S12_S16_S17_S18_S1B_S1C_jS1D_jS1E_S1E_jjS1G_bEUljE0_EEESZ_S10_S11_S18_S1C_S1E_T6_T7_T9_mT8_S1G_bDpT10_ENKUlT_T0_E_clISt17integral_constantIbLb0EES1U_EEDaS1P_S1Q_EUlS1P_E_NS1_11comp_targetILNS1_3genE9ELNS1_11target_archE1100ELNS1_3gpuE3ELNS1_3repE0EEENS1_30default_config_static_selectorELNS0_4arch9wavefront6targetE0EEEvS12_.has_recursion, 0
	.set _ZN7rocprim17ROCPRIM_400000_NS6detail17trampoline_kernelINS0_13select_configILj256ELj13ELNS0_17block_load_methodE3ELS4_3ELS4_3ELNS0_20block_scan_algorithmE0ELj4294967295EEENS1_25partition_config_selectorILNS1_17partition_subalgoE4EjNS0_10empty_typeEbEEZZNS1_14partition_implILS8_4ELb0ES6_15HIP_vector_typeIjLj2EENS0_17counting_iteratorIjlEEPS9_SG_NS0_5tupleIJPjSI_NS0_16reverse_iteratorISI_EEEEENSH_IJSG_SG_SG_EEES9_SI_JZNS1_25segmented_radix_sort_implINS0_14default_configELb0EPKbPbPKlPlN2at6native12_GLOBAL__N_18offset_tEEE10hipError_tPvRmT1_PNSt15iterator_traitsIS12_E10value_typeET2_T3_PNS13_IS18_E10value_typeET4_jRbjT5_S1E_jjP12ihipStream_tbEUljE_ZNSN_ISO_Lb0ESQ_SR_ST_SU_SY_EESZ_S10_S11_S12_S16_S17_S18_S1B_S1C_jS1D_jS1E_S1E_jjS1G_bEUljE0_EEESZ_S10_S11_S18_S1C_S1E_T6_T7_T9_mT8_S1G_bDpT10_ENKUlT_T0_E_clISt17integral_constantIbLb0EES1U_EEDaS1P_S1Q_EUlS1P_E_NS1_11comp_targetILNS1_3genE9ELNS1_11target_archE1100ELNS1_3gpuE3ELNS1_3repE0EEENS1_30default_config_static_selectorELNS0_4arch9wavefront6targetE0EEEvS12_.has_indirect_call, 0
	.section	.AMDGPU.csdata,"",@progbits
; Kernel info:
; codeLenInByte = 0
; TotalNumSgprs: 0
; NumVgprs: 0
; ScratchSize: 0
; MemoryBound: 0
; FloatMode: 240
; IeeeMode: 1
; LDSByteSize: 0 bytes/workgroup (compile time only)
; SGPRBlocks: 0
; VGPRBlocks: 0
; NumSGPRsForWavesPerEU: 1
; NumVGPRsForWavesPerEU: 1
; Occupancy: 16
; WaveLimiterHint : 0
; COMPUTE_PGM_RSRC2:SCRATCH_EN: 0
; COMPUTE_PGM_RSRC2:USER_SGPR: 6
; COMPUTE_PGM_RSRC2:TRAP_HANDLER: 0
; COMPUTE_PGM_RSRC2:TGID_X_EN: 1
; COMPUTE_PGM_RSRC2:TGID_Y_EN: 0
; COMPUTE_PGM_RSRC2:TGID_Z_EN: 0
; COMPUTE_PGM_RSRC2:TIDIG_COMP_CNT: 0
	.section	.text._ZN7rocprim17ROCPRIM_400000_NS6detail17trampoline_kernelINS0_13select_configILj256ELj13ELNS0_17block_load_methodE3ELS4_3ELS4_3ELNS0_20block_scan_algorithmE0ELj4294967295EEENS1_25partition_config_selectorILNS1_17partition_subalgoE4EjNS0_10empty_typeEbEEZZNS1_14partition_implILS8_4ELb0ES6_15HIP_vector_typeIjLj2EENS0_17counting_iteratorIjlEEPS9_SG_NS0_5tupleIJPjSI_NS0_16reverse_iteratorISI_EEEEENSH_IJSG_SG_SG_EEES9_SI_JZNS1_25segmented_radix_sort_implINS0_14default_configELb0EPKbPbPKlPlN2at6native12_GLOBAL__N_18offset_tEEE10hipError_tPvRmT1_PNSt15iterator_traitsIS12_E10value_typeET2_T3_PNS13_IS18_E10value_typeET4_jRbjT5_S1E_jjP12ihipStream_tbEUljE_ZNSN_ISO_Lb0ESQ_SR_ST_SU_SY_EESZ_S10_S11_S12_S16_S17_S18_S1B_S1C_jS1D_jS1E_S1E_jjS1G_bEUljE0_EEESZ_S10_S11_S18_S1C_S1E_T6_T7_T9_mT8_S1G_bDpT10_ENKUlT_T0_E_clISt17integral_constantIbLb0EES1U_EEDaS1P_S1Q_EUlS1P_E_NS1_11comp_targetILNS1_3genE8ELNS1_11target_archE1030ELNS1_3gpuE2ELNS1_3repE0EEENS1_30default_config_static_selectorELNS0_4arch9wavefront6targetE0EEEvS12_,"axG",@progbits,_ZN7rocprim17ROCPRIM_400000_NS6detail17trampoline_kernelINS0_13select_configILj256ELj13ELNS0_17block_load_methodE3ELS4_3ELS4_3ELNS0_20block_scan_algorithmE0ELj4294967295EEENS1_25partition_config_selectorILNS1_17partition_subalgoE4EjNS0_10empty_typeEbEEZZNS1_14partition_implILS8_4ELb0ES6_15HIP_vector_typeIjLj2EENS0_17counting_iteratorIjlEEPS9_SG_NS0_5tupleIJPjSI_NS0_16reverse_iteratorISI_EEEEENSH_IJSG_SG_SG_EEES9_SI_JZNS1_25segmented_radix_sort_implINS0_14default_configELb0EPKbPbPKlPlN2at6native12_GLOBAL__N_18offset_tEEE10hipError_tPvRmT1_PNSt15iterator_traitsIS12_E10value_typeET2_T3_PNS13_IS18_E10value_typeET4_jRbjT5_S1E_jjP12ihipStream_tbEUljE_ZNSN_ISO_Lb0ESQ_SR_ST_SU_SY_EESZ_S10_S11_S12_S16_S17_S18_S1B_S1C_jS1D_jS1E_S1E_jjS1G_bEUljE0_EEESZ_S10_S11_S18_S1C_S1E_T6_T7_T9_mT8_S1G_bDpT10_ENKUlT_T0_E_clISt17integral_constantIbLb0EES1U_EEDaS1P_S1Q_EUlS1P_E_NS1_11comp_targetILNS1_3genE8ELNS1_11target_archE1030ELNS1_3gpuE2ELNS1_3repE0EEENS1_30default_config_static_selectorELNS0_4arch9wavefront6targetE0EEEvS12_,comdat
	.globl	_ZN7rocprim17ROCPRIM_400000_NS6detail17trampoline_kernelINS0_13select_configILj256ELj13ELNS0_17block_load_methodE3ELS4_3ELS4_3ELNS0_20block_scan_algorithmE0ELj4294967295EEENS1_25partition_config_selectorILNS1_17partition_subalgoE4EjNS0_10empty_typeEbEEZZNS1_14partition_implILS8_4ELb0ES6_15HIP_vector_typeIjLj2EENS0_17counting_iteratorIjlEEPS9_SG_NS0_5tupleIJPjSI_NS0_16reverse_iteratorISI_EEEEENSH_IJSG_SG_SG_EEES9_SI_JZNS1_25segmented_radix_sort_implINS0_14default_configELb0EPKbPbPKlPlN2at6native12_GLOBAL__N_18offset_tEEE10hipError_tPvRmT1_PNSt15iterator_traitsIS12_E10value_typeET2_T3_PNS13_IS18_E10value_typeET4_jRbjT5_S1E_jjP12ihipStream_tbEUljE_ZNSN_ISO_Lb0ESQ_SR_ST_SU_SY_EESZ_S10_S11_S12_S16_S17_S18_S1B_S1C_jS1D_jS1E_S1E_jjS1G_bEUljE0_EEESZ_S10_S11_S18_S1C_S1E_T6_T7_T9_mT8_S1G_bDpT10_ENKUlT_T0_E_clISt17integral_constantIbLb0EES1U_EEDaS1P_S1Q_EUlS1P_E_NS1_11comp_targetILNS1_3genE8ELNS1_11target_archE1030ELNS1_3gpuE2ELNS1_3repE0EEENS1_30default_config_static_selectorELNS0_4arch9wavefront6targetE0EEEvS12_ ; -- Begin function _ZN7rocprim17ROCPRIM_400000_NS6detail17trampoline_kernelINS0_13select_configILj256ELj13ELNS0_17block_load_methodE3ELS4_3ELS4_3ELNS0_20block_scan_algorithmE0ELj4294967295EEENS1_25partition_config_selectorILNS1_17partition_subalgoE4EjNS0_10empty_typeEbEEZZNS1_14partition_implILS8_4ELb0ES6_15HIP_vector_typeIjLj2EENS0_17counting_iteratorIjlEEPS9_SG_NS0_5tupleIJPjSI_NS0_16reverse_iteratorISI_EEEEENSH_IJSG_SG_SG_EEES9_SI_JZNS1_25segmented_radix_sort_implINS0_14default_configELb0EPKbPbPKlPlN2at6native12_GLOBAL__N_18offset_tEEE10hipError_tPvRmT1_PNSt15iterator_traitsIS12_E10value_typeET2_T3_PNS13_IS18_E10value_typeET4_jRbjT5_S1E_jjP12ihipStream_tbEUljE_ZNSN_ISO_Lb0ESQ_SR_ST_SU_SY_EESZ_S10_S11_S12_S16_S17_S18_S1B_S1C_jS1D_jS1E_S1E_jjS1G_bEUljE0_EEESZ_S10_S11_S18_S1C_S1E_T6_T7_T9_mT8_S1G_bDpT10_ENKUlT_T0_E_clISt17integral_constantIbLb0EES1U_EEDaS1P_S1Q_EUlS1P_E_NS1_11comp_targetILNS1_3genE8ELNS1_11target_archE1030ELNS1_3gpuE2ELNS1_3repE0EEENS1_30default_config_static_selectorELNS0_4arch9wavefront6targetE0EEEvS12_
	.p2align	8
	.type	_ZN7rocprim17ROCPRIM_400000_NS6detail17trampoline_kernelINS0_13select_configILj256ELj13ELNS0_17block_load_methodE3ELS4_3ELS4_3ELNS0_20block_scan_algorithmE0ELj4294967295EEENS1_25partition_config_selectorILNS1_17partition_subalgoE4EjNS0_10empty_typeEbEEZZNS1_14partition_implILS8_4ELb0ES6_15HIP_vector_typeIjLj2EENS0_17counting_iteratorIjlEEPS9_SG_NS0_5tupleIJPjSI_NS0_16reverse_iteratorISI_EEEEENSH_IJSG_SG_SG_EEES9_SI_JZNS1_25segmented_radix_sort_implINS0_14default_configELb0EPKbPbPKlPlN2at6native12_GLOBAL__N_18offset_tEEE10hipError_tPvRmT1_PNSt15iterator_traitsIS12_E10value_typeET2_T3_PNS13_IS18_E10value_typeET4_jRbjT5_S1E_jjP12ihipStream_tbEUljE_ZNSN_ISO_Lb0ESQ_SR_ST_SU_SY_EESZ_S10_S11_S12_S16_S17_S18_S1B_S1C_jS1D_jS1E_S1E_jjS1G_bEUljE0_EEESZ_S10_S11_S18_S1C_S1E_T6_T7_T9_mT8_S1G_bDpT10_ENKUlT_T0_E_clISt17integral_constantIbLb0EES1U_EEDaS1P_S1Q_EUlS1P_E_NS1_11comp_targetILNS1_3genE8ELNS1_11target_archE1030ELNS1_3gpuE2ELNS1_3repE0EEENS1_30default_config_static_selectorELNS0_4arch9wavefront6targetE0EEEvS12_,@function
_ZN7rocprim17ROCPRIM_400000_NS6detail17trampoline_kernelINS0_13select_configILj256ELj13ELNS0_17block_load_methodE3ELS4_3ELS4_3ELNS0_20block_scan_algorithmE0ELj4294967295EEENS1_25partition_config_selectorILNS1_17partition_subalgoE4EjNS0_10empty_typeEbEEZZNS1_14partition_implILS8_4ELb0ES6_15HIP_vector_typeIjLj2EENS0_17counting_iteratorIjlEEPS9_SG_NS0_5tupleIJPjSI_NS0_16reverse_iteratorISI_EEEEENSH_IJSG_SG_SG_EEES9_SI_JZNS1_25segmented_radix_sort_implINS0_14default_configELb0EPKbPbPKlPlN2at6native12_GLOBAL__N_18offset_tEEE10hipError_tPvRmT1_PNSt15iterator_traitsIS12_E10value_typeET2_T3_PNS13_IS18_E10value_typeET4_jRbjT5_S1E_jjP12ihipStream_tbEUljE_ZNSN_ISO_Lb0ESQ_SR_ST_SU_SY_EESZ_S10_S11_S12_S16_S17_S18_S1B_S1C_jS1D_jS1E_S1E_jjS1G_bEUljE0_EEESZ_S10_S11_S18_S1C_S1E_T6_T7_T9_mT8_S1G_bDpT10_ENKUlT_T0_E_clISt17integral_constantIbLb0EES1U_EEDaS1P_S1Q_EUlS1P_E_NS1_11comp_targetILNS1_3genE8ELNS1_11target_archE1030ELNS1_3gpuE2ELNS1_3repE0EEENS1_30default_config_static_selectorELNS0_4arch9wavefront6targetE0EEEvS12_: ; @_ZN7rocprim17ROCPRIM_400000_NS6detail17trampoline_kernelINS0_13select_configILj256ELj13ELNS0_17block_load_methodE3ELS4_3ELS4_3ELNS0_20block_scan_algorithmE0ELj4294967295EEENS1_25partition_config_selectorILNS1_17partition_subalgoE4EjNS0_10empty_typeEbEEZZNS1_14partition_implILS8_4ELb0ES6_15HIP_vector_typeIjLj2EENS0_17counting_iteratorIjlEEPS9_SG_NS0_5tupleIJPjSI_NS0_16reverse_iteratorISI_EEEEENSH_IJSG_SG_SG_EEES9_SI_JZNS1_25segmented_radix_sort_implINS0_14default_configELb0EPKbPbPKlPlN2at6native12_GLOBAL__N_18offset_tEEE10hipError_tPvRmT1_PNSt15iterator_traitsIS12_E10value_typeET2_T3_PNS13_IS18_E10value_typeET4_jRbjT5_S1E_jjP12ihipStream_tbEUljE_ZNSN_ISO_Lb0ESQ_SR_ST_SU_SY_EESZ_S10_S11_S12_S16_S17_S18_S1B_S1C_jS1D_jS1E_S1E_jjS1G_bEUljE0_EEESZ_S10_S11_S18_S1C_S1E_T6_T7_T9_mT8_S1G_bDpT10_ENKUlT_T0_E_clISt17integral_constantIbLb0EES1U_EEDaS1P_S1Q_EUlS1P_E_NS1_11comp_targetILNS1_3genE8ELNS1_11target_archE1030ELNS1_3gpuE2ELNS1_3repE0EEENS1_30default_config_static_selectorELNS0_4arch9wavefront6targetE0EEEvS12_
; %bb.0:
	s_clause 0x6
	s_load_dword s3, s[4:5], 0x80
	s_load_dwordx2 s[34:35], s[4:5], 0x10
	s_load_dwordx2 s[0:1], s[4:5], 0x68
	s_load_dword s7, s[4:5], 0x8
	s_load_dwordx4 s[24:27], s[4:5], 0x58
	s_load_dwordx2 s[40:41], s[4:5], 0xa8
	s_load_dwordx8 s[16:23], s[4:5], 0x88
	s_mul_i32 s42, s6, 0xd00
	s_waitcnt lgkmcnt(0)
	s_mul_i32 s2, s3, 0xd00
	s_add_i32 s3, s3, -1
	s_add_u32 s8, s34, s2
	s_addc_u32 s9, s35, 0
	s_load_dwordx4 s[28:31], s[26:27], 0x0
	s_cmp_eq_u32 s6, s3
	v_cmp_gt_u64_e64 s1, s[0:1], s[8:9]
	s_cselect_b32 s33, -1, 0
	s_cmp_lg_u32 s6, s3
	s_cselect_b32 s3, -1, 0
	s_add_i32 s7, s7, s42
	s_or_b32 s1, s3, s1
	s_add_i32 s7, s7, s34
	s_and_b32 vcc_lo, exec_lo, s1
	v_add_nc_u32_e32 v1, s7, v0
	s_mov_b32 s3, -1
	v_add_nc_u32_e32 v2, 0x100, v1
	v_add_nc_u32_e32 v3, 0x200, v1
	;; [unrolled: 1-line block ×12, first 2 shown]
	s_cbranch_vccz .LBB1569_2
; %bb.1:
	v_lshlrev_b32_e32 v14, 2, v0
	s_mov_b32 s3, 0
	ds_write2st64_b32 v14, v1, v2 offset1:4
	ds_write2st64_b32 v14, v3, v4 offset0:8 offset1:12
	ds_write2st64_b32 v14, v5, v6 offset0:16 offset1:20
	ds_write2st64_b32 v14, v7, v8 offset0:24 offset1:28
	ds_write2st64_b32 v14, v9, v10 offset0:32 offset1:36
	ds_write2st64_b32 v14, v11, v12 offset0:40 offset1:44
	ds_write_b32 v14, v13 offset:12288
	s_waitcnt lgkmcnt(0)
	s_barrier
.LBB1569_2:
	s_andn2_b32 vcc_lo, exec_lo, s3
	s_add_i32 s2, s2, s34
	s_cbranch_vccnz .LBB1569_4
; %bb.3:
	v_lshlrev_b32_e32 v14, 2, v0
	ds_write2st64_b32 v14, v1, v2 offset1:4
	ds_write2st64_b32 v14, v3, v4 offset0:8 offset1:12
	ds_write2st64_b32 v14, v5, v6 offset0:16 offset1:20
	;; [unrolled: 1-line block ×5, first 2 shown]
	ds_write_b32 v14, v13 offset:12288
	s_waitcnt lgkmcnt(0)
	s_barrier
.LBB1569_4:
	v_mul_u32_u24_e32 v29, 13, v0
	s_clause 0x1
	s_load_dwordx4 s[36:39], s[4:5], 0x28
	s_load_dwordx2 s[26:27], s[4:5], 0x38
	s_waitcnt lgkmcnt(0)
	buffer_gl0_inv
	v_cndmask_b32_e64 v27, 0, 1, s1
	s_sub_i32 s43, s0, s2
	v_lshlrev_b32_e32 v1, 2, v29
	s_andn2_b32 vcc_lo, exec_lo, s1
	ds_read_b32 v28, v1 offset:48
	ds_read2_b32 v[9:10], v1 offset0:10 offset1:11
	ds_read2_b32 v[11:12], v1 offset0:8 offset1:9
	;; [unrolled: 1-line block ×4, first 2 shown]
	ds_read2_b32 v[19:20], v1 offset1:1
	ds_read2_b32 v[17:18], v1 offset0:2 offset1:3
	s_waitcnt lgkmcnt(0)
	s_barrier
	buffer_gl0_inv
	s_cbranch_vccnz .LBB1569_32
; %bb.5:
	v_add_nc_u32_e32 v1, s17, v19
	v_add_nc_u32_e32 v2, s19, v19
	s_mov_b32 s45, 0
	s_mov_b32 s44, 0
	s_mov_b32 s1, exec_lo
	v_mul_lo_u32 v1, v1, s16
	v_mul_lo_u32 v2, v2, s18
	v_sub_nc_u32_e32 v1, v1, v2
	v_cmp_lt_u32_e32 vcc_lo, s20, v1
	v_cmpx_ge_u32_e64 s20, v1
	s_cbranch_execz .LBB1569_7
; %bb.6:
	v_add_nc_u32_e32 v1, s22, v19
	v_add_nc_u32_e32 v2, s40, v19
	v_mul_lo_u32 v1, v1, s21
	v_mul_lo_u32 v2, v2, s23
	v_sub_nc_u32_e32 v1, v1, v2
	v_cmp_lt_u32_e64 s0, s41, v1
	s_and_b32 s44, s0, exec_lo
.LBB1569_7:
	s_or_b32 exec_lo, exec_lo, s1
	v_add_nc_u32_e32 v1, s17, v20
	v_add_nc_u32_e32 v2, s19, v20
	s_mov_b32 s2, exec_lo
	v_mul_lo_u32 v1, v1, s16
	v_mul_lo_u32 v2, v2, s18
	v_sub_nc_u32_e32 v1, v1, v2
	v_cmp_lt_u32_e64 s0, s20, v1
	v_cmpx_ge_u32_e64 s20, v1
	s_cbranch_execz .LBB1569_9
; %bb.8:
	v_add_nc_u32_e32 v1, s22, v20
	v_add_nc_u32_e32 v2, s40, v20
	v_mul_lo_u32 v1, v1, s21
	v_mul_lo_u32 v2, v2, s23
	v_sub_nc_u32_e32 v1, v1, v2
	v_cmp_lt_u32_e64 s1, s41, v1
	s_and_b32 s45, s1, exec_lo
.LBB1569_9:
	s_or_b32 exec_lo, exec_lo, s2
	v_add_nc_u32_e32 v1, s17, v17
	v_add_nc_u32_e32 v2, s19, v17
	s_mov_b32 s47, 0
	s_mov_b32 s46, 0
	s_mov_b32 s3, exec_lo
	v_mul_lo_u32 v1, v1, s16
	v_mul_lo_u32 v2, v2, s18
	v_sub_nc_u32_e32 v1, v1, v2
	v_cmp_lt_u32_e64 s1, s20, v1
	v_cmpx_ge_u32_e64 s20, v1
	s_cbranch_execz .LBB1569_11
; %bb.10:
	v_add_nc_u32_e32 v1, s22, v17
	v_add_nc_u32_e32 v2, s40, v17
	v_mul_lo_u32 v1, v1, s21
	v_mul_lo_u32 v2, v2, s23
	v_sub_nc_u32_e32 v1, v1, v2
	v_cmp_lt_u32_e64 s2, s41, v1
	s_and_b32 s46, s2, exec_lo
.LBB1569_11:
	s_or_b32 exec_lo, exec_lo, s3
	v_add_nc_u32_e32 v1, s17, v18
	v_add_nc_u32_e32 v2, s19, v18
	s_mov_b32 s7, exec_lo
	v_mul_lo_u32 v1, v1, s16
	v_mul_lo_u32 v2, v2, s18
	v_sub_nc_u32_e32 v1, v1, v2
	v_cmp_lt_u32_e64 s2, s20, v1
	v_cmpx_ge_u32_e64 s20, v1
	s_cbranch_execz .LBB1569_13
; %bb.12:
	v_add_nc_u32_e32 v1, s22, v18
	v_add_nc_u32_e32 v2, s40, v18
	v_mul_lo_u32 v1, v1, s21
	v_mul_lo_u32 v2, v2, s23
	v_sub_nc_u32_e32 v1, v1, v2
	v_cmp_lt_u32_e64 s3, s41, v1
	s_and_b32 s47, s3, exec_lo
.LBB1569_13:
	s_or_b32 exec_lo, exec_lo, s7
	v_add_nc_u32_e32 v1, s17, v15
	v_add_nc_u32_e32 v2, s19, v15
	s_mov_b32 s49, 0
	s_mov_b32 s48, 0
	s_mov_b32 s8, exec_lo
	v_mul_lo_u32 v1, v1, s16
	v_mul_lo_u32 v2, v2, s18
	v_sub_nc_u32_e32 v1, v1, v2
	v_cmp_lt_u32_e64 s3, s20, v1
	;; [unrolled: 40-line block ×6, first 2 shown]
	v_cmpx_ge_u32_e64 s20, v1
	s_cbranch_execz .LBB1569_31
; %bb.30:
	v_add_nc_u32_e32 v1, s22, v28
	v_add_nc_u32_e32 v2, s40, v28
	v_mul_lo_u32 v1, v1, s21
	v_mul_lo_u32 v2, v2, s23
	v_sub_nc_u32_e32 v1, v1, v2
	v_cmp_lt_u32_e64 s15, s41, v1
	s_and_b32 s57, s15, exec_lo
.LBB1569_31:
	s_or_b32 exec_lo, exec_lo, s58
	v_cndmask_b32_e64 v2, 0, 1, s0
	v_cndmask_b32_e64 v4, 0, 1, s2
	v_cndmask_b32_e64 v1, 0, 1, vcc_lo
	v_cndmask_b32_e64 v3, 0, 1, s1
	v_cndmask_b32_e64 v6, 0, 1, s7
	v_lshlrev_b16 v2, 8, v2
	v_lshlrev_b16 v4, 8, v4
	v_cndmask_b32_e64 v8, 0, 1, s9
	v_cndmask_b32_e64 v22, 0, 1, s11
	;; [unrolled: 1-line block ×3, first 2 shown]
	v_or_b32_e32 v1, v1, v2
	v_or_b32_sdwa v2, v3, v4 dst_sel:WORD_1 dst_unused:UNUSED_PAD src0_sel:DWORD src1_sel:DWORD
	v_cndmask_b32_e64 v3, 0, 1, s44
	v_cndmask_b32_e64 v5, 0, 1, s3
	;; [unrolled: 1-line block ×11, first 2 shown]
	v_or_b32_sdwa v30, v1, v2 dst_sel:DWORD dst_unused:UNUSED_PAD src0_sel:WORD_0 src1_sel:DWORD
	v_lshlrev_b16 v1, 8, v6
	v_lshlrev_b16 v2, 8, v8
	;; [unrolled: 1-line block ×5, first 2 shown]
	v_cndmask_b32_e64 v26, 0, 1, s53
	v_cndmask_b32_e64 v32, 0, 1, s51
	v_cndmask_b32_e64 v35, 0, 1, s49
	v_cndmask_b32_e64 v38, 0, 1, s47
	v_cndmask_b32_e64 v40, 0, 1, s45
	v_or_b32_e32 v1, v5, v1
	v_or_b32_sdwa v2, v7, v2 dst_sel:WORD_1 dst_unused:UNUSED_PAD src0_sel:DWORD src1_sel:DWORD
	v_or_b32_e32 v5, v21, v6
	v_or_b32_sdwa v6, v23, v8 dst_sel:WORD_1 dst_unused:UNUSED_PAD src0_sel:DWORD src1_sel:DWORD
	v_or_b32_e32 v3, v4, v3
	v_lshlrev_b16 v4, 8, v39
	v_lshlrev_b16 v7, 8, v36
	;; [unrolled: 1-line block ×5, first 2 shown]
	v_or_b32_sdwa v4, v40, v4 dst_sel:WORD_1 dst_unused:UNUSED_PAD src0_sel:DWORD src1_sel:DWORD
	v_or_b32_e32 v7, v38, v7
	v_or_b32_sdwa v8, v35, v8 dst_sel:WORD_1 dst_unused:UNUSED_PAD src0_sel:DWORD src1_sel:DWORD
	v_or_b32_e32 v21, v32, v21
	v_or_b32_sdwa v22, v26, v22 dst_sel:WORD_1 dst_unused:UNUSED_PAD src0_sel:DWORD src1_sel:DWORD
	v_cndmask_b32_e64 v34, 0, 1, s55
	v_cndmask_b32_e64 v37, 0, 1, s57
	v_or_b32_sdwa v32, v1, v2 dst_sel:DWORD dst_unused:UNUSED_PAD src0_sel:WORD_0 src1_sel:DWORD
	v_or_b32_sdwa v35, v5, v6 dst_sel:DWORD dst_unused:UNUSED_PAD src0_sel:WORD_0 src1_sel:DWORD
	;; [unrolled: 1-line block ×5, first 2 shown]
	s_load_dwordx2 s[4:5], s[4:5], 0x78
	s_and_b32 vcc_lo, exec_lo, s54
	s_add_i32 s7, s43, 0xd00
	s_cbranch_vccnz .LBB1569_33
	s_branch .LBB1569_110
.LBB1569_32:
                                        ; implicit-def: $vgpr37
                                        ; implicit-def: $vgpr34
                                        ; implicit-def: $vgpr33
                                        ; implicit-def: $vgpr31
                                        ; implicit-def: $vgpr36
                                        ; implicit-def: $vgpr35
                                        ; implicit-def: $vgpr32
                                        ; implicit-def: $vgpr30
	s_load_dwordx2 s[4:5], s[4:5], 0x78
	s_add_i32 s7, s43, 0xd00
	s_cbranch_execz .LBB1569_110
.LBB1569_33:
	v_mov_b32_e32 v2, 0
	v_mov_b32_e32 v1, 0
	s_mov_b32 s1, exec_lo
	v_cmpx_gt_u32_e64 s7, v29
	s_cbranch_execz .LBB1569_37
; %bb.34:
	v_add_nc_u32_e32 v1, s17, v19
	v_add_nc_u32_e32 v2, s19, v19
	s_mov_b32 s3, 0
	s_mov_b32 s2, exec_lo
	v_mul_lo_u32 v1, v1, s16
	v_mul_lo_u32 v2, v2, s18
	v_sub_nc_u32_e32 v1, v1, v2
	v_cmp_lt_u32_e32 vcc_lo, s20, v1
	v_cmpx_ge_u32_e64 s20, v1
	s_cbranch_execz .LBB1569_36
; %bb.35:
	v_add_nc_u32_e32 v1, s22, v19
	v_add_nc_u32_e32 v2, s40, v19
	v_mul_lo_u32 v1, v1, s21
	v_mul_lo_u32 v2, v2, s23
	v_sub_nc_u32_e32 v1, v1, v2
	v_cmp_lt_u32_e64 s0, s41, v1
	s_and_b32 s3, s0, exec_lo
.LBB1569_36:
	s_or_b32 exec_lo, exec_lo, s2
	v_cndmask_b32_e64 v2, 0, 1, s3
	v_cndmask_b32_e64 v1, 0, 1, vcc_lo
.LBB1569_37:
	s_or_b32 exec_lo, exec_lo, s1
	v_add_nc_u32_e32 v3, 1, v29
	v_lshlrev_b16 v21, 8, v2
	v_and_b32_e32 v6, 0xff, v1
	v_lshlrev_b16 v7, 8, 0
                                        ; implicit-def: $vgpr5
                                        ; implicit-def: $vgpr8
                                        ; implicit-def: $vgpr2
                                        ; implicit-def: $vgpr4
	v_cmp_le_u32_e32 vcc_lo, s7, v3
                                        ; implicit-def: $vgpr3
	s_and_saveexec_b32 s0, vcc_lo
	s_xor_b32 s0, exec_lo, s0
	s_cbranch_execz .LBB1569_39
; %bb.38:
	v_mov_b32_e32 v1, 8
	v_mov_b32_e32 v2, 0xff
	;; [unrolled: 1-line block ×3, first 2 shown]
	v_and_b32_e32 v4, 0xffff, v7
	v_and_b32_e32 v3, 0xffff, v7
	v_lshrrev_b32_sdwa v1, v1, v21 dst_sel:BYTE_1 dst_unused:UNUSED_PAD src0_sel:DWORD src1_sel:WORD_0
	v_and_b32_sdwa v2, v21, v2 dst_sel:DWORD dst_unused:UNUSED_PAD src0_sel:WORD_0 src1_sel:DWORD
                                        ; implicit-def: $vgpr21
	v_or_b32_e32 v1, v2, v1
	v_and_b32_e32 v2, 0xffff, v7
                                        ; implicit-def: $vgpr7
	v_and_b32_e32 v8, 0xffff, v1
                                        ; implicit-def: $vgpr1
.LBB1569_39:
	s_andn2_saveexec_b32 s1, s0
	s_cbranch_execz .LBB1569_43
; %bb.40:
	v_add_nc_u32_e32 v2, s17, v20
	v_add_nc_u32_e32 v3, s19, v20
	s_mov_b32 s2, 0
	s_mov_b32 s3, exec_lo
	v_mul_lo_u32 v2, v2, s16
	v_mul_lo_u32 v3, v3, s18
	v_sub_nc_u32_e32 v2, v2, v3
	v_cmp_lt_u32_e32 vcc_lo, s20, v2
	v_cmpx_ge_u32_e64 s20, v2
	s_cbranch_execz .LBB1569_42
; %bb.41:
	v_add_nc_u32_e32 v2, s22, v20
	v_add_nc_u32_e32 v3, s40, v20
	v_mul_lo_u32 v2, v2, s21
	v_mul_lo_u32 v3, v3, s23
	v_sub_nc_u32_e32 v2, v2, v3
	v_cmp_lt_u32_e64 s0, s41, v2
	s_and_b32 s2, s0, exec_lo
.LBB1569_42:
	s_or_b32 exec_lo, exec_lo, s3
	v_mov_b32_e32 v2, 0xff
	v_mov_b32_e32 v3, 8
	v_cndmask_b32_e64 v4, 0, 1, vcc_lo
	v_mov_b32_e32 v5, 0
	v_and_b32_sdwa v2, v21, v2 dst_sel:DWORD dst_unused:UNUSED_PAD src0_sel:WORD_0 src1_sel:DWORD
	v_lshrrev_b32_sdwa v3, v3, v21 dst_sel:BYTE_1 dst_unused:UNUSED_PAD src0_sel:DWORD src1_sel:WORD_0
	v_lshlrev_b16 v4, 8, v4
	v_or_b32_e32 v2, v2, v3
	v_cndmask_b32_e64 v3, 0, 1, s2
	v_or_b32_sdwa v1, v1, v4 dst_sel:DWORD dst_unused:UNUSED_PAD src0_sel:BYTE_0 src1_sel:DWORD
	v_and_b32_e32 v4, 0xffff, v7
	v_and_b32_e32 v8, 0xffff, v2
	v_mov_b32_e32 v2, 0
	v_and_b32_e32 v6, 0xffff, v1
	v_lshl_or_b32 v8, v3, 16, v8
	v_and_b32_e32 v3, 0xffff, v7
.LBB1569_43:
	s_or_b32 exec_lo, exec_lo, s1
	v_add_nc_u32_e32 v1, 2, v29
                                        ; implicit-def: $vgpr7
	v_cmp_le_u32_e32 vcc_lo, s7, v1
                                        ; implicit-def: $vgpr1
	s_and_saveexec_b32 s0, vcc_lo
	s_xor_b32 s0, exec_lo, s0
	s_cbranch_execz .LBB1569_45
; %bb.44:
	v_lshrrev_b32_e32 v1, 24, v6
	v_mov_b32_e32 v7, 8
	v_and_b32_e32 v21, 0xff0000, v8
	v_perm_b32 v4, v4, v4, 0x3060504
	v_perm_b32 v1, v1, v6, 0x40c0100
	v_lshrrev_b32_sdwa v6, v7, v1 dst_sel:BYTE_1 dst_unused:UNUSED_PAD src0_sel:DWORD src1_sel:DWORD
	v_or_b32_sdwa v6, v1, v6 dst_sel:DWORD dst_unused:UNUSED_PAD src0_sel:BYTE_0 src1_sel:DWORD
	v_and_b32_e32 v6, 0xffff, v6
	v_and_or_b32 v7, 0xff000000, v1, v6
	v_perm_b32 v1, v8, v21, 0x3020504
                                        ; implicit-def: $vgpr6
                                        ; implicit-def: $vgpr8
.LBB1569_45:
	s_andn2_saveexec_b32 s1, s0
	s_cbranch_execz .LBB1569_49
; %bb.46:
	v_add_nc_u32_e32 v1, s17, v17
	v_add_nc_u32_e32 v7, s19, v17
	s_mov_b32 s2, 0
	s_mov_b32 s3, exec_lo
	v_mul_lo_u32 v1, v1, s16
	v_mul_lo_u32 v7, v7, s18
	v_sub_nc_u32_e32 v1, v1, v7
	v_cmp_lt_u32_e32 vcc_lo, s20, v1
	v_cmpx_ge_u32_e64 s20, v1
	s_cbranch_execz .LBB1569_48
; %bb.47:
	v_add_nc_u32_e32 v1, s22, v17
	v_add_nc_u32_e32 v7, s40, v17
	v_mul_lo_u32 v1, v1, s21
	v_mul_lo_u32 v7, v7, s23
	v_sub_nc_u32_e32 v1, v1, v7
	v_cmp_lt_u32_e64 s0, s41, v1
	s_and_b32 s2, s0, exec_lo
.LBB1569_48:
	s_or_b32 exec_lo, exec_lo, s3
	v_mov_b32_e32 v1, 8
	v_mov_b32_e32 v7, 24
	v_cndmask_b32_e64 v22, 0, 1, s2
	v_mov_b32_e32 v23, 0xff
	v_cndmask_b32_e64 v21, 0, 1, vcc_lo
	v_lshrrev_b32_sdwa v24, v1, v6 dst_sel:BYTE_1 dst_unused:UNUSED_PAD src0_sel:DWORD src1_sel:DWORD
	v_lshrrev_b32_sdwa v7, v7, v6 dst_sel:BYTE_1 dst_unused:UNUSED_PAD src0_sel:DWORD src1_sel:DWORD
	;; [unrolled: 1-line block ×3, first 2 shown]
	v_lshlrev_b16 v22, 8, v22
	v_and_b32_sdwa v23, v8, v23 dst_sel:DWORD dst_unused:UNUSED_PAD src0_sel:WORD_1 src1_sel:DWORD
	v_or_b32_sdwa v6, v6, v24 dst_sel:DWORD dst_unused:UNUSED_PAD src0_sel:BYTE_0 src1_sel:DWORD
	v_or_b32_sdwa v7, v21, v7 dst_sel:WORD_1 dst_unused:UNUSED_PAD src0_sel:DWORD src1_sel:DWORD
	v_or_b32_sdwa v1, v8, v1 dst_sel:DWORD dst_unused:UNUSED_PAD src0_sel:BYTE_0 src1_sel:DWORD
	v_or_b32_sdwa v8, v23, v22 dst_sel:WORD_1 dst_unused:UNUSED_PAD src0_sel:DWORD src1_sel:DWORD
	v_or_b32_sdwa v7, v6, v7 dst_sel:DWORD dst_unused:UNUSED_PAD src0_sel:WORD_0 src1_sel:DWORD
	v_or_b32_sdwa v1, v1, v8 dst_sel:DWORD dst_unused:UNUSED_PAD src0_sel:WORD_0 src1_sel:DWORD
.LBB1569_49:
	s_or_b32 exec_lo, exec_lo, s1
	v_add_nc_u32_e32 v6, 3, v29
                                        ; implicit-def: $vgpr30
	v_cmp_le_u32_e32 vcc_lo, s7, v6
                                        ; implicit-def: $vgpr6
	s_and_saveexec_b32 s0, vcc_lo
	s_xor_b32 s0, exec_lo, s0
	s_cbranch_execz .LBB1569_51
; %bb.50:
	v_mov_b32_e32 v6, 24
	v_mov_b32_e32 v8, 0xff
	;; [unrolled: 1-line block ×3, first 2 shown]
	v_and_b32_e32 v22, 0xff0000, v7
	v_perm_b32 v4, v4, v4, 0x3060504
	v_lshrrev_b32_sdwa v6, v6, v5 dst_sel:BYTE_1 dst_unused:UNUSED_PAD src0_sel:DWORD src1_sel:DWORD
	v_and_b32_sdwa v8, v5, v8 dst_sel:DWORD dst_unused:UNUSED_PAD src0_sel:WORD_1 src1_sel:DWORD
	v_lshrrev_b32_sdwa v5, v21, v5 dst_sel:BYTE_1 dst_unused:UNUSED_PAD src0_sel:DWORD src1_sel:DWORD
	v_perm_b32 v30, v7, v22, 0x3020504
	v_perm_b32 v3, v3, v3, 0x3060504
                                        ; implicit-def: $vgpr7
	v_or_b32_sdwa v6, v8, v6 dst_sel:WORD_1 dst_unused:UNUSED_PAD src0_sel:DWORD src1_sel:DWORD
	v_or_b32_sdwa v6, v5, v6 dst_sel:DWORD dst_unused:UNUSED_PAD src0_sel:WORD_0 src1_sel:DWORD
                                        ; implicit-def: $vgpr5
.LBB1569_51:
	s_andn2_saveexec_b32 s1, s0
	s_cbranch_execz .LBB1569_55
; %bb.52:
	v_add_nc_u32_e32 v6, s17, v18
	v_add_nc_u32_e32 v8, s19, v18
	s_mov_b32 s2, 0
	s_mov_b32 s3, exec_lo
	v_mul_lo_u32 v6, v6, s16
	v_mul_lo_u32 v8, v8, s18
	v_sub_nc_u32_e32 v6, v6, v8
	v_cmp_lt_u32_e32 vcc_lo, s20, v6
	v_cmpx_ge_u32_e64 s20, v6
	s_cbranch_execz .LBB1569_54
; %bb.53:
	v_add_nc_u32_e32 v6, s22, v18
	v_add_nc_u32_e32 v8, s40, v18
	v_mul_lo_u32 v6, v6, s21
	v_mul_lo_u32 v8, v8, s23
	v_sub_nc_u32_e32 v6, v6, v8
	v_cmp_lt_u32_e64 s0, s41, v6
	s_and_b32 s2, s0, exec_lo
.LBB1569_54:
	s_or_b32 exec_lo, exec_lo, s3
	v_mov_b32_e32 v6, 8
	v_cndmask_b32_e64 v8, 0, 1, vcc_lo
	v_mov_b32_e32 v21, 0xff
	v_mov_b32_e32 v22, 24
	v_cndmask_b32_e64 v23, 0, 1, s2
	v_lshrrev_b32_sdwa v24, v6, v7 dst_sel:BYTE_1 dst_unused:UNUSED_PAD src0_sel:DWORD src1_sel:DWORD
	v_lshlrev_b16 v8, 8, v8
	v_and_b32_sdwa v25, v7, v21 dst_sel:DWORD dst_unused:UNUSED_PAD src0_sel:WORD_1 src1_sel:DWORD
	v_lshrrev_b32_sdwa v22, v22, v5 dst_sel:BYTE_1 dst_unused:UNUSED_PAD src0_sel:DWORD src1_sel:DWORD
	v_and_b32_sdwa v21, v5, v21 dst_sel:DWORD dst_unused:UNUSED_PAD src0_sel:WORD_1 src1_sel:DWORD
	v_lshrrev_b32_sdwa v5, v6, v5 dst_sel:BYTE_1 dst_unused:UNUSED_PAD src0_sel:DWORD src1_sel:DWORD
	v_or_b32_sdwa v6, v7, v24 dst_sel:DWORD dst_unused:UNUSED_PAD src0_sel:BYTE_0 src1_sel:DWORD
	v_or_b32_sdwa v7, v25, v8 dst_sel:WORD_1 dst_unused:UNUSED_PAD src0_sel:DWORD src1_sel:DWORD
	v_or_b32_sdwa v8, v21, v22 dst_sel:WORD_1 dst_unused:UNUSED_PAD src0_sel:DWORD src1_sel:DWORD
	v_or_b32_e32 v5, v23, v5
	v_or_b32_sdwa v30, v6, v7 dst_sel:DWORD dst_unused:UNUSED_PAD src0_sel:WORD_0 src1_sel:DWORD
	v_or_b32_sdwa v6, v5, v8 dst_sel:DWORD dst_unused:UNUSED_PAD src0_sel:WORD_0 src1_sel:DWORD
.LBB1569_55:
	s_or_b32 exec_lo, exec_lo, s1
	v_add_nc_u32_e32 v5, 4, v29
                                        ; implicit-def: $vgpr7
	v_cmp_le_u32_e32 vcc_lo, s7, v5
                                        ; implicit-def: $vgpr5
	s_and_saveexec_b32 s0, vcc_lo
	s_xor_b32 s0, exec_lo, s0
	s_cbranch_execz .LBB1569_57
; %bb.56:
	v_mov_b32_e32 v5, 24
	v_mov_b32_e32 v7, 0xff
	;; [unrolled: 1-line block ×3, first 2 shown]
	v_perm_b32 v3, v3, v3, 0x3060504
	v_lshrrev_b32_sdwa v21, v5, v4 dst_sel:BYTE_1 dst_unused:UNUSED_PAD src0_sel:DWORD src1_sel:DWORD
	v_and_b32_sdwa v22, v4, v7 dst_sel:DWORD dst_unused:UNUSED_PAD src0_sel:WORD_1 src1_sel:DWORD
	v_lshrrev_b32_sdwa v5, v5, v6 dst_sel:BYTE_1 dst_unused:UNUSED_PAD src0_sel:DWORD src1_sel:DWORD
	v_and_b32_sdwa v7, v6, v7 dst_sel:DWORD dst_unused:UNUSED_PAD src0_sel:WORD_1 src1_sel:DWORD
	v_lshrrev_b32_sdwa v4, v8, v4 dst_sel:BYTE_1 dst_unused:UNUSED_PAD src0_sel:DWORD src1_sel:DWORD
	v_or_b32_sdwa v8, v22, v21 dst_sel:WORD_1 dst_unused:UNUSED_PAD src0_sel:DWORD src1_sel:DWORD
	v_or_b32_e32 v7, v7, v5
	v_or_b32_sdwa v5, v4, v8 dst_sel:DWORD dst_unused:UNUSED_PAD src0_sel:WORD_0 src1_sel:DWORD
                                        ; implicit-def: $vgpr4
	v_perm_b32 v7, v7, v6, 0x5040c00
                                        ; implicit-def: $vgpr6
.LBB1569_57:
	s_andn2_saveexec_b32 s1, s0
	s_cbranch_execz .LBB1569_61
; %bb.58:
	v_add_nc_u32_e32 v5, s17, v15
	v_add_nc_u32_e32 v7, s19, v15
	s_mov_b32 s2, 0
	s_mov_b32 s3, exec_lo
	v_mul_lo_u32 v5, v5, s16
	v_mul_lo_u32 v7, v7, s18
	v_sub_nc_u32_e32 v5, v5, v7
	v_cmp_lt_u32_e32 vcc_lo, s20, v5
	v_cmpx_ge_u32_e64 s20, v5
	s_cbranch_execz .LBB1569_60
; %bb.59:
	v_add_nc_u32_e32 v5, s22, v15
	v_add_nc_u32_e32 v7, s40, v15
	v_mul_lo_u32 v5, v5, s21
	v_mul_lo_u32 v7, v7, s23
	v_sub_nc_u32_e32 v5, v5, v7
	v_cmp_lt_u32_e64 s0, s41, v5
	s_and_b32 s2, s0, exec_lo
.LBB1569_60:
	s_or_b32 exec_lo, exec_lo, s3
	v_mov_b32_e32 v5, 24
	v_mov_b32_e32 v7, 0xff
	;; [unrolled: 1-line block ×3, first 2 shown]
	v_cndmask_b32_e64 v21, 0, 1, s2
	v_cndmask_b32_e64 v22, 0, 1, vcc_lo
	v_lshrrev_b32_sdwa v23, v5, v4 dst_sel:BYTE_1 dst_unused:UNUSED_PAD src0_sel:DWORD src1_sel:DWORD
	v_and_b32_sdwa v24, v4, v7 dst_sel:DWORD dst_unused:UNUSED_PAD src0_sel:WORD_1 src1_sel:DWORD
	v_lshrrev_b32_sdwa v4, v8, v4 dst_sel:BYTE_1 dst_unused:UNUSED_PAD src0_sel:DWORD src1_sel:DWORD
	v_lshlrev_b16 v8, 8, v21
	v_lshrrev_b32_sdwa v5, v5, v6 dst_sel:BYTE_1 dst_unused:UNUSED_PAD src0_sel:DWORD src1_sel:DWORD
	v_and_b32_sdwa v7, v6, v7 dst_sel:DWORD dst_unused:UNUSED_PAD src0_sel:WORD_1 src1_sel:DWORD
	v_or_b32_sdwa v21, v24, v23 dst_sel:WORD_1 dst_unused:UNUSED_PAD src0_sel:DWORD src1_sel:DWORD
	v_or_b32_e32 v4, v22, v4
	v_or_b32_sdwa v6, v6, v8 dst_sel:DWORD dst_unused:UNUSED_PAD src0_sel:BYTE_0 src1_sel:DWORD
	v_or_b32_sdwa v7, v7, v5 dst_sel:WORD_1 dst_unused:UNUSED_PAD src0_sel:DWORD src1_sel:DWORD
	v_or_b32_sdwa v5, v4, v21 dst_sel:DWORD dst_unused:UNUSED_PAD src0_sel:WORD_0 src1_sel:DWORD
	v_or_b32_sdwa v7, v6, v7 dst_sel:DWORD dst_unused:UNUSED_PAD src0_sel:WORD_0 src1_sel:DWORD
.LBB1569_61:
	s_or_b32 exec_lo, exec_lo, s1
	v_add_nc_u32_e32 v4, 5, v29
                                        ; implicit-def: $vgpr6
	v_cmp_le_u32_e32 vcc_lo, s7, v4
                                        ; implicit-def: $vgpr4
	s_and_saveexec_b32 s0, vcc_lo
	s_xor_b32 s0, exec_lo, s0
	s_cbranch_execz .LBB1569_63
; %bb.62:
	v_lshrrev_b32_e32 v4, 24, v7
	v_mov_b32_e32 v6, 8
	v_mov_b32_e32 v8, 0xff
	v_perm_b32 v3, v3, v3, 0x3060504
	v_perm_b32 v4, v4, v7, 0x40c0100
	v_mov_b32_e32 v7, 24
	v_and_b32_sdwa v8, v5, v8 dst_sel:DWORD dst_unused:UNUSED_PAD src0_sel:WORD_1 src1_sel:DWORD
	v_lshrrev_b32_sdwa v6, v6, v4 dst_sel:BYTE_1 dst_unused:UNUSED_PAD src0_sel:DWORD src1_sel:DWORD
	v_lshrrev_b32_sdwa v7, v7, v5 dst_sel:BYTE_1 dst_unused:UNUSED_PAD src0_sel:DWORD src1_sel:DWORD
	v_or_b32_sdwa v6, v4, v6 dst_sel:DWORD dst_unused:UNUSED_PAD src0_sel:BYTE_0 src1_sel:DWORD
	v_or_b32_e32 v7, v8, v7
	v_and_b32_e32 v8, 0xffff, v6
	v_perm_b32 v6, v7, v5, 0x5040c00
                                        ; implicit-def: $vgpr5
                                        ; implicit-def: $vgpr7
	v_and_or_b32 v4, 0xff000000, v4, v8
.LBB1569_63:
	s_andn2_saveexec_b32 s1, s0
	s_cbranch_execz .LBB1569_67
; %bb.64:
	v_add_nc_u32_e32 v4, s17, v16
	v_add_nc_u32_e32 v6, s19, v16
	s_mov_b32 s2, 0
	s_mov_b32 s3, exec_lo
	v_mul_lo_u32 v4, v4, s16
	v_mul_lo_u32 v6, v6, s18
	v_sub_nc_u32_e32 v4, v4, v6
	v_cmp_lt_u32_e32 vcc_lo, s20, v4
	v_cmpx_ge_u32_e64 s20, v4
	s_cbranch_execz .LBB1569_66
; %bb.65:
	v_add_nc_u32_e32 v4, s22, v16
	v_add_nc_u32_e32 v6, s40, v16
	v_mul_lo_u32 v4, v4, s21
	v_mul_lo_u32 v6, v6, s23
	v_sub_nc_u32_e32 v4, v4, v6
	v_cmp_lt_u32_e64 s0, s41, v4
	s_and_b32 s2, s0, exec_lo
.LBB1569_66:
	s_or_b32 exec_lo, exec_lo, s3
	v_cndmask_b32_e64 v4, 0, 1, vcc_lo
	v_mov_b32_e32 v6, 24
	v_mov_b32_e32 v8, 0xff
	;; [unrolled: 1-line block ×3, first 2 shown]
	v_cndmask_b32_e64 v22, 0, 1, s2
	v_lshlrev_b16 v4, 8, v4
	v_lshrrev_b32_sdwa v23, v6, v5 dst_sel:BYTE_1 dst_unused:UNUSED_PAD src0_sel:DWORD src1_sel:DWORD
	v_and_b32_sdwa v8, v5, v8 dst_sel:DWORD dst_unused:UNUSED_PAD src0_sel:WORD_1 src1_sel:DWORD
	v_lshrrev_b32_sdwa v21, v21, v7 dst_sel:BYTE_1 dst_unused:UNUSED_PAD src0_sel:DWORD src1_sel:DWORD
	v_lshrrev_b32_sdwa v6, v6, v7 dst_sel:BYTE_1 dst_unused:UNUSED_PAD src0_sel:DWORD src1_sel:DWORD
	v_or_b32_sdwa v4, v5, v4 dst_sel:DWORD dst_unused:UNUSED_PAD src0_sel:BYTE_0 src1_sel:DWORD
	v_or_b32_sdwa v5, v8, v23 dst_sel:WORD_1 dst_unused:UNUSED_PAD src0_sel:DWORD src1_sel:DWORD
	v_or_b32_sdwa v7, v7, v21 dst_sel:DWORD dst_unused:UNUSED_PAD src0_sel:BYTE_0 src1_sel:DWORD
	v_or_b32_sdwa v8, v22, v6 dst_sel:WORD_1 dst_unused:UNUSED_PAD src0_sel:DWORD src1_sel:DWORD
	v_or_b32_sdwa v6, v4, v5 dst_sel:DWORD dst_unused:UNUSED_PAD src0_sel:WORD_0 src1_sel:DWORD
	v_or_b32_sdwa v4, v7, v8 dst_sel:DWORD dst_unused:UNUSED_PAD src0_sel:WORD_0 src1_sel:DWORD
.LBB1569_67:
	s_or_b32 exec_lo, exec_lo, s1
	v_add_nc_u32_e32 v5, 6, v29
                                        ; implicit-def: $vgpr31
	v_cmp_le_u32_e32 vcc_lo, s7, v5
                                        ; implicit-def: $vgpr5
	s_and_saveexec_b32 s0, vcc_lo
	s_xor_b32 s0, exec_lo, s0
	s_cbranch_execz .LBB1569_69
; %bb.68:
	v_lshrrev_b32_e32 v5, 24, v6
	v_mov_b32_e32 v7, 8
	v_perm_b32 v3, v3, v3, 0x3060504
	v_perm_b32 v5, v5, v6, 0x40c0100
	v_lshrrev_b32_sdwa v6, v7, v5 dst_sel:BYTE_1 dst_unused:UNUSED_PAD src0_sel:DWORD src1_sel:DWORD
	v_and_b32_e32 v7, 0xff0000, v4
	v_or_b32_sdwa v6, v5, v6 dst_sel:DWORD dst_unused:UNUSED_PAD src0_sel:BYTE_0 src1_sel:DWORD
	v_perm_b32 v31, v4, v7, 0x3020504
                                        ; implicit-def: $vgpr4
	v_and_b32_e32 v6, 0xffff, v6
	v_and_or_b32 v5, 0xff000000, v5, v6
                                        ; implicit-def: $vgpr6
.LBB1569_69:
	s_andn2_saveexec_b32 s1, s0
	s_cbranch_execz .LBB1569_73
; %bb.70:
	v_add_nc_u32_e32 v5, s17, v13
	v_add_nc_u32_e32 v7, s19, v13
	s_mov_b32 s2, 0
	s_mov_b32 s3, exec_lo
	v_mul_lo_u32 v5, v5, s16
	v_mul_lo_u32 v7, v7, s18
	v_sub_nc_u32_e32 v5, v5, v7
	v_cmp_lt_u32_e32 vcc_lo, s20, v5
	v_cmpx_ge_u32_e64 s20, v5
	s_cbranch_execz .LBB1569_72
; %bb.71:
	v_add_nc_u32_e32 v5, s22, v13
	v_add_nc_u32_e32 v7, s40, v13
	v_mul_lo_u32 v5, v5, s21
	v_mul_lo_u32 v7, v7, s23
	v_sub_nc_u32_e32 v5, v5, v7
	v_cmp_lt_u32_e64 s0, s41, v5
	s_and_b32 s2, s0, exec_lo
.LBB1569_72:
	s_or_b32 exec_lo, exec_lo, s3
	v_mov_b32_e32 v5, 8
	v_mov_b32_e32 v7, 24
	v_cndmask_b32_e64 v21, 0, 1, s2
	v_mov_b32_e32 v22, 0xff
	v_cndmask_b32_e64 v8, 0, 1, vcc_lo
	v_lshrrev_b32_sdwa v23, v5, v6 dst_sel:BYTE_1 dst_unused:UNUSED_PAD src0_sel:DWORD src1_sel:DWORD
	v_lshrrev_b32_sdwa v7, v7, v6 dst_sel:BYTE_1 dst_unused:UNUSED_PAD src0_sel:DWORD src1_sel:DWORD
	;; [unrolled: 1-line block ×3, first 2 shown]
	v_lshlrev_b16 v21, 8, v21
	v_and_b32_sdwa v22, v4, v22 dst_sel:DWORD dst_unused:UNUSED_PAD src0_sel:WORD_1 src1_sel:DWORD
	v_or_b32_sdwa v6, v6, v23 dst_sel:DWORD dst_unused:UNUSED_PAD src0_sel:BYTE_0 src1_sel:DWORD
	v_or_b32_sdwa v7, v8, v7 dst_sel:WORD_1 dst_unused:UNUSED_PAD src0_sel:DWORD src1_sel:DWORD
	v_or_b32_sdwa v4, v4, v5 dst_sel:DWORD dst_unused:UNUSED_PAD src0_sel:BYTE_0 src1_sel:DWORD
	v_or_b32_sdwa v8, v22, v21 dst_sel:WORD_1 dst_unused:UNUSED_PAD src0_sel:DWORD src1_sel:DWORD
	v_or_b32_sdwa v5, v6, v7 dst_sel:DWORD dst_unused:UNUSED_PAD src0_sel:WORD_0 src1_sel:DWORD
	v_or_b32_sdwa v31, v4, v8 dst_sel:DWORD dst_unused:UNUSED_PAD src0_sel:WORD_0 src1_sel:DWORD
.LBB1569_73:
	s_or_b32 exec_lo, exec_lo, s1
	v_add_nc_u32_e32 v4, 7, v29
                                        ; implicit-def: $vgpr32
	v_cmp_le_u32_e32 vcc_lo, s7, v4
                                        ; implicit-def: $vgpr4
	s_and_saveexec_b32 s0, vcc_lo
	s_xor_b32 s0, exec_lo, s0
	s_cbranch_execz .LBB1569_75
; %bb.74:
	v_mov_b32_e32 v4, 24
	v_mov_b32_e32 v6, 0xff
	;; [unrolled: 1-line block ×3, first 2 shown]
	v_lshrrev_b32_sdwa v4, v4, v3 dst_sel:BYTE_1 dst_unused:UNUSED_PAD src0_sel:DWORD src1_sel:DWORD
	v_and_b32_sdwa v6, v3, v6 dst_sel:DWORD dst_unused:UNUSED_PAD src0_sel:WORD_1 src1_sel:DWORD
	v_lshrrev_b32_sdwa v3, v7, v3 dst_sel:BYTE_1 dst_unused:UNUSED_PAD src0_sel:DWORD src1_sel:DWORD
	v_and_b32_e32 v7, 0xff0000, v5
	v_or_b32_sdwa v4, v6, v4 dst_sel:WORD_1 dst_unused:UNUSED_PAD src0_sel:DWORD src1_sel:DWORD
	v_perm_b32 v32, v5, v7, 0x3020504
                                        ; implicit-def: $vgpr5
	v_or_b32_sdwa v4, v3, v4 dst_sel:DWORD dst_unused:UNUSED_PAD src0_sel:WORD_0 src1_sel:DWORD
                                        ; implicit-def: $vgpr3
.LBB1569_75:
	s_andn2_saveexec_b32 s1, s0
	s_cbranch_execz .LBB1569_79
; %bb.76:
	v_add_nc_u32_e32 v4, s17, v14
	v_add_nc_u32_e32 v6, s19, v14
	s_mov_b32 s2, 0
	s_mov_b32 s3, exec_lo
	v_mul_lo_u32 v4, v4, s16
	v_mul_lo_u32 v6, v6, s18
	v_sub_nc_u32_e32 v4, v4, v6
	v_cmp_lt_u32_e32 vcc_lo, s20, v4
	v_cmpx_ge_u32_e64 s20, v4
	s_cbranch_execz .LBB1569_78
; %bb.77:
	v_add_nc_u32_e32 v4, s22, v14
	v_add_nc_u32_e32 v6, s40, v14
	v_mul_lo_u32 v4, v4, s21
	v_mul_lo_u32 v6, v6, s23
	v_sub_nc_u32_e32 v4, v4, v6
	v_cmp_lt_u32_e64 s0, s41, v4
	s_and_b32 s2, s0, exec_lo
.LBB1569_78:
	s_or_b32 exec_lo, exec_lo, s3
	v_mov_b32_e32 v4, 8
	v_cndmask_b32_e64 v6, 0, 1, vcc_lo
	v_mov_b32_e32 v7, 0xff
	v_mov_b32_e32 v8, 24
	v_cndmask_b32_e64 v21, 0, 1, s2
	v_lshrrev_b32_sdwa v22, v4, v5 dst_sel:BYTE_1 dst_unused:UNUSED_PAD src0_sel:DWORD src1_sel:DWORD
	v_lshlrev_b16 v6, 8, v6
	v_and_b32_sdwa v23, v5, v7 dst_sel:DWORD dst_unused:UNUSED_PAD src0_sel:WORD_1 src1_sel:DWORD
	v_lshrrev_b32_sdwa v8, v8, v3 dst_sel:BYTE_1 dst_unused:UNUSED_PAD src0_sel:DWORD src1_sel:DWORD
	v_and_b32_sdwa v7, v3, v7 dst_sel:DWORD dst_unused:UNUSED_PAD src0_sel:WORD_1 src1_sel:DWORD
	v_lshrrev_b32_sdwa v3, v4, v3 dst_sel:BYTE_1 dst_unused:UNUSED_PAD src0_sel:DWORD src1_sel:DWORD
	v_or_b32_sdwa v4, v5, v22 dst_sel:DWORD dst_unused:UNUSED_PAD src0_sel:BYTE_0 src1_sel:DWORD
	v_or_b32_sdwa v5, v23, v6 dst_sel:WORD_1 dst_unused:UNUSED_PAD src0_sel:DWORD src1_sel:DWORD
	v_or_b32_sdwa v6, v7, v8 dst_sel:WORD_1 dst_unused:UNUSED_PAD src0_sel:DWORD src1_sel:DWORD
	v_or_b32_e32 v3, v21, v3
	v_or_b32_sdwa v32, v4, v5 dst_sel:DWORD dst_unused:UNUSED_PAD src0_sel:WORD_0 src1_sel:DWORD
	v_or_b32_sdwa v4, v3, v6 dst_sel:DWORD dst_unused:UNUSED_PAD src0_sel:WORD_0 src1_sel:DWORD
.LBB1569_79:
	s_or_b32 exec_lo, exec_lo, s1
	v_add_nc_u32_e32 v3, 8, v29
                                        ; implicit-def: $vgpr5
	v_cmp_le_u32_e32 vcc_lo, s7, v3
                                        ; implicit-def: $vgpr3
	s_and_saveexec_b32 s0, vcc_lo
	s_xor_b32 s0, exec_lo, s0
	s_cbranch_execz .LBB1569_81
; %bb.80:
	v_mov_b32_e32 v3, 24
	v_mov_b32_e32 v5, 0xff
	;; [unrolled: 1-line block ×3, first 2 shown]
	v_perm_b32 v1, v1, v1, 0x3060504
	v_lshrrev_b32_sdwa v7, v3, v4 dst_sel:BYTE_1 dst_unused:UNUSED_PAD src0_sel:DWORD src1_sel:DWORD
	v_lshrrev_b32_sdwa v3, v3, v2 dst_sel:BYTE_1 dst_unused:UNUSED_PAD src0_sel:DWORD src1_sel:DWORD
	v_and_b32_sdwa v8, v2, v5 dst_sel:DWORD dst_unused:UNUSED_PAD src0_sel:WORD_1 src1_sel:DWORD
	v_and_b32_sdwa v5, v4, v5 dst_sel:DWORD dst_unused:UNUSED_PAD src0_sel:WORD_1 src1_sel:DWORD
	v_lshrrev_b32_sdwa v2, v6, v2 dst_sel:BYTE_1 dst_unused:UNUSED_PAD src0_sel:DWORD src1_sel:DWORD
	v_or_b32_sdwa v3, v8, v3 dst_sel:WORD_1 dst_unused:UNUSED_PAD src0_sel:DWORD src1_sel:DWORD
	v_or_b32_e32 v5, v5, v7
	v_or_b32_sdwa v3, v2, v3 dst_sel:DWORD dst_unused:UNUSED_PAD src0_sel:WORD_0 src1_sel:DWORD
	v_perm_b32 v5, v5, v4, 0x5040c00
                                        ; implicit-def: $vgpr2
                                        ; implicit-def: $vgpr4
.LBB1569_81:
	s_andn2_saveexec_b32 s1, s0
	s_cbranch_execz .LBB1569_85
; %bb.82:
	v_add_nc_u32_e32 v3, s17, v11
	v_add_nc_u32_e32 v5, s19, v11
	s_mov_b32 s2, 0
	s_mov_b32 s3, exec_lo
	v_mul_lo_u32 v3, v3, s16
	v_mul_lo_u32 v5, v5, s18
	v_sub_nc_u32_e32 v3, v3, v5
	v_cmp_lt_u32_e32 vcc_lo, s20, v3
	v_cmpx_ge_u32_e64 s20, v3
	s_cbranch_execz .LBB1569_84
; %bb.83:
	v_add_nc_u32_e32 v3, s22, v11
	v_add_nc_u32_e32 v5, s40, v11
	v_mul_lo_u32 v3, v3, s21
	v_mul_lo_u32 v5, v5, s23
	v_sub_nc_u32_e32 v3, v3, v5
	v_cmp_lt_u32_e64 s0, s41, v3
	s_and_b32 s2, s0, exec_lo
.LBB1569_84:
	s_or_b32 exec_lo, exec_lo, s3
	v_mov_b32_e32 v3, 24
	v_mov_b32_e32 v5, 0xff
	v_mov_b32_e32 v6, 8
	v_cndmask_b32_e64 v7, 0, 1, s2
	v_cndmask_b32_e64 v8, 0, 1, vcc_lo
	v_lshrrev_b32_sdwa v21, v3, v2 dst_sel:BYTE_1 dst_unused:UNUSED_PAD src0_sel:DWORD src1_sel:DWORD
	v_and_b32_sdwa v22, v2, v5 dst_sel:DWORD dst_unused:UNUSED_PAD src0_sel:WORD_1 src1_sel:DWORD
	v_lshrrev_b32_sdwa v2, v6, v2 dst_sel:BYTE_1 dst_unused:UNUSED_PAD src0_sel:DWORD src1_sel:DWORD
	v_lshlrev_b16 v6, 8, v7
	v_lshrrev_b32_sdwa v3, v3, v4 dst_sel:BYTE_1 dst_unused:UNUSED_PAD src0_sel:DWORD src1_sel:DWORD
	v_and_b32_sdwa v5, v4, v5 dst_sel:DWORD dst_unused:UNUSED_PAD src0_sel:WORD_1 src1_sel:DWORD
	v_or_b32_sdwa v7, v22, v21 dst_sel:WORD_1 dst_unused:UNUSED_PAD src0_sel:DWORD src1_sel:DWORD
	v_or_b32_e32 v2, v8, v2
	v_or_b32_sdwa v4, v4, v6 dst_sel:DWORD dst_unused:UNUSED_PAD src0_sel:BYTE_0 src1_sel:DWORD
	v_or_b32_sdwa v5, v5, v3 dst_sel:WORD_1 dst_unused:UNUSED_PAD src0_sel:DWORD src1_sel:DWORD
	v_or_b32_sdwa v3, v2, v7 dst_sel:DWORD dst_unused:UNUSED_PAD src0_sel:WORD_0 src1_sel:DWORD
	v_or_b32_sdwa v5, v4, v5 dst_sel:DWORD dst_unused:UNUSED_PAD src0_sel:WORD_0 src1_sel:DWORD
.LBB1569_85:
	s_or_b32 exec_lo, exec_lo, s1
	v_add_nc_u32_e32 v2, 9, v29
                                        ; implicit-def: $vgpr4
	v_cmp_le_u32_e32 vcc_lo, s7, v2
                                        ; implicit-def: $vgpr2
	s_and_saveexec_b32 s0, vcc_lo
	s_xor_b32 s0, exec_lo, s0
	s_cbranch_execz .LBB1569_87
; %bb.86:
	v_lshrrev_b32_e32 v2, 24, v5
	v_mov_b32_e32 v4, 8
	v_mov_b32_e32 v6, 0xff
	v_perm_b32 v1, v1, v1, 0x3060504
	v_perm_b32 v2, v2, v5, 0x40c0100
	v_mov_b32_e32 v5, 24
	v_and_b32_sdwa v6, v3, v6 dst_sel:DWORD dst_unused:UNUSED_PAD src0_sel:WORD_1 src1_sel:DWORD
	v_lshrrev_b32_sdwa v4, v4, v2 dst_sel:BYTE_1 dst_unused:UNUSED_PAD src0_sel:DWORD src1_sel:DWORD
	v_lshrrev_b32_sdwa v5, v5, v3 dst_sel:BYTE_1 dst_unused:UNUSED_PAD src0_sel:DWORD src1_sel:DWORD
	v_or_b32_sdwa v4, v2, v4 dst_sel:DWORD dst_unused:UNUSED_PAD src0_sel:BYTE_0 src1_sel:DWORD
	v_or_b32_e32 v5, v6, v5
	v_and_b32_e32 v6, 0xffff, v4
	v_perm_b32 v4, v5, v3, 0x5040c00
                                        ; implicit-def: $vgpr3
                                        ; implicit-def: $vgpr5
	v_and_or_b32 v2, 0xff000000, v2, v6
.LBB1569_87:
	s_andn2_saveexec_b32 s1, s0
	s_cbranch_execz .LBB1569_91
; %bb.88:
	v_add_nc_u32_e32 v2, s17, v12
	v_add_nc_u32_e32 v4, s19, v12
	s_mov_b32 s2, 0
	s_mov_b32 s3, exec_lo
	v_mul_lo_u32 v2, v2, s16
	v_mul_lo_u32 v4, v4, s18
	v_sub_nc_u32_e32 v2, v2, v4
	v_cmp_lt_u32_e32 vcc_lo, s20, v2
	v_cmpx_ge_u32_e64 s20, v2
	s_cbranch_execz .LBB1569_90
; %bb.89:
	v_add_nc_u32_e32 v2, s22, v12
	v_add_nc_u32_e32 v4, s40, v12
	v_mul_lo_u32 v2, v2, s21
	v_mul_lo_u32 v4, v4, s23
	v_sub_nc_u32_e32 v2, v2, v4
	v_cmp_lt_u32_e64 s0, s41, v2
	s_and_b32 s2, s0, exec_lo
.LBB1569_90:
	s_or_b32 exec_lo, exec_lo, s3
	v_cndmask_b32_e64 v2, 0, 1, vcc_lo
	v_mov_b32_e32 v4, 24
	v_mov_b32_e32 v6, 0xff
	v_mov_b32_e32 v7, 8
	v_cndmask_b32_e64 v8, 0, 1, s2
	v_lshlrev_b16 v2, 8, v2
	v_lshrrev_b32_sdwa v21, v4, v3 dst_sel:BYTE_1 dst_unused:UNUSED_PAD src0_sel:DWORD src1_sel:DWORD
	v_and_b32_sdwa v6, v3, v6 dst_sel:DWORD dst_unused:UNUSED_PAD src0_sel:WORD_1 src1_sel:DWORD
	v_lshrrev_b32_sdwa v7, v7, v5 dst_sel:BYTE_1 dst_unused:UNUSED_PAD src0_sel:DWORD src1_sel:DWORD
	v_lshrrev_b32_sdwa v4, v4, v5 dst_sel:BYTE_1 dst_unused:UNUSED_PAD src0_sel:DWORD src1_sel:DWORD
	v_or_b32_sdwa v2, v3, v2 dst_sel:DWORD dst_unused:UNUSED_PAD src0_sel:BYTE_0 src1_sel:DWORD
	v_or_b32_sdwa v3, v6, v21 dst_sel:WORD_1 dst_unused:UNUSED_PAD src0_sel:DWORD src1_sel:DWORD
	v_or_b32_sdwa v5, v5, v7 dst_sel:DWORD dst_unused:UNUSED_PAD src0_sel:BYTE_0 src1_sel:DWORD
	v_or_b32_sdwa v6, v8, v4 dst_sel:WORD_1 dst_unused:UNUSED_PAD src0_sel:DWORD src1_sel:DWORD
	v_or_b32_sdwa v4, v2, v3 dst_sel:DWORD dst_unused:UNUSED_PAD src0_sel:WORD_0 src1_sel:DWORD
	v_or_b32_sdwa v2, v5, v6 dst_sel:DWORD dst_unused:UNUSED_PAD src0_sel:WORD_0 src1_sel:DWORD
.LBB1569_91:
	s_or_b32 exec_lo, exec_lo, s1
	v_add_nc_u32_e32 v3, 10, v29
                                        ; implicit-def: $vgpr33
	v_cmp_le_u32_e32 vcc_lo, s7, v3
                                        ; implicit-def: $vgpr3
	s_and_saveexec_b32 s0, vcc_lo
	s_xor_b32 s0, exec_lo, s0
	s_cbranch_execz .LBB1569_93
; %bb.92:
	v_lshrrev_b32_e32 v3, 24, v4
	v_mov_b32_e32 v5, 8
	v_perm_b32 v1, v1, v1, 0x3060504
	v_perm_b32 v3, v3, v4, 0x40c0100
	v_lshrrev_b32_sdwa v4, v5, v3 dst_sel:BYTE_1 dst_unused:UNUSED_PAD src0_sel:DWORD src1_sel:DWORD
	v_and_b32_e32 v5, 0xff0000, v2
	v_or_b32_sdwa v4, v3, v4 dst_sel:DWORD dst_unused:UNUSED_PAD src0_sel:BYTE_0 src1_sel:DWORD
	v_perm_b32 v33, v2, v5, 0x3020504
                                        ; implicit-def: $vgpr2
	v_and_b32_e32 v4, 0xffff, v4
	v_and_or_b32 v3, 0xff000000, v3, v4
                                        ; implicit-def: $vgpr4
.LBB1569_93:
	s_andn2_saveexec_b32 s1, s0
	s_cbranch_execz .LBB1569_97
; %bb.94:
	v_add_nc_u32_e32 v3, s17, v9
	v_add_nc_u32_e32 v5, s19, v9
	s_mov_b32 s2, 0
	s_mov_b32 s3, exec_lo
	v_mul_lo_u32 v3, v3, s16
	v_mul_lo_u32 v5, v5, s18
	v_sub_nc_u32_e32 v3, v3, v5
	v_cmp_lt_u32_e32 vcc_lo, s20, v3
	v_cmpx_ge_u32_e64 s20, v3
	s_cbranch_execz .LBB1569_96
; %bb.95:
	v_add_nc_u32_e32 v3, s22, v9
	v_add_nc_u32_e32 v5, s40, v9
	v_mul_lo_u32 v3, v3, s21
	v_mul_lo_u32 v5, v5, s23
	v_sub_nc_u32_e32 v3, v3, v5
	v_cmp_lt_u32_e64 s0, s41, v3
	s_and_b32 s2, s0, exec_lo
.LBB1569_96:
	s_or_b32 exec_lo, exec_lo, s3
	v_mov_b32_e32 v3, 8
	v_mov_b32_e32 v5, 24
	v_cndmask_b32_e64 v7, 0, 1, s2
	v_mov_b32_e32 v8, 0xff
	v_cndmask_b32_e64 v6, 0, 1, vcc_lo
	v_lshrrev_b32_sdwa v21, v3, v4 dst_sel:BYTE_1 dst_unused:UNUSED_PAD src0_sel:DWORD src1_sel:DWORD
	v_lshrrev_b32_sdwa v5, v5, v4 dst_sel:BYTE_1 dst_unused:UNUSED_PAD src0_sel:DWORD src1_sel:DWORD
	;; [unrolled: 1-line block ×3, first 2 shown]
	v_lshlrev_b16 v7, 8, v7
	v_and_b32_sdwa v8, v2, v8 dst_sel:DWORD dst_unused:UNUSED_PAD src0_sel:WORD_1 src1_sel:DWORD
	v_or_b32_sdwa v4, v4, v21 dst_sel:DWORD dst_unused:UNUSED_PAD src0_sel:BYTE_0 src1_sel:DWORD
	v_or_b32_sdwa v5, v6, v5 dst_sel:WORD_1 dst_unused:UNUSED_PAD src0_sel:DWORD src1_sel:DWORD
	v_or_b32_sdwa v2, v2, v3 dst_sel:DWORD dst_unused:UNUSED_PAD src0_sel:BYTE_0 src1_sel:DWORD
	v_or_b32_sdwa v6, v8, v7 dst_sel:WORD_1 dst_unused:UNUSED_PAD src0_sel:DWORD src1_sel:DWORD
	v_or_b32_sdwa v3, v4, v5 dst_sel:DWORD dst_unused:UNUSED_PAD src0_sel:WORD_0 src1_sel:DWORD
	v_or_b32_sdwa v33, v2, v6 dst_sel:DWORD dst_unused:UNUSED_PAD src0_sel:WORD_0 src1_sel:DWORD
.LBB1569_97:
	s_or_b32 exec_lo, exec_lo, s1
	v_add_nc_u32_e32 v2, 11, v29
	v_mov_b32_e32 v34, 0
	s_mov_b32 s0, exec_lo
                                        ; implicit-def: $vgpr35
	v_cmpx_le_u32_e64 s7, v2
	s_xor_b32 s0, exec_lo, s0
; %bb.98:
	v_and_b32_e32 v2, 0xff0000, v3
	v_perm_b32 v1, v1, v1, 0x3060504
	v_perm_b32 v35, v3, v2, 0x3020504
                                        ; implicit-def: $vgpr3
; %bb.99:
	s_andn2_saveexec_b32 s1, s0
	s_cbranch_execz .LBB1569_103
; %bb.100:
	v_add_nc_u32_e32 v2, s17, v10
	v_add_nc_u32_e32 v4, s19, v10
	s_mov_b32 s2, 0
	s_mov_b32 s3, exec_lo
	v_mul_lo_u32 v2, v2, s16
	v_mul_lo_u32 v4, v4, s18
	v_sub_nc_u32_e32 v2, v2, v4
	v_cmp_lt_u32_e32 vcc_lo, s20, v2
	v_cmpx_ge_u32_e64 s20, v2
	s_cbranch_execz .LBB1569_102
; %bb.101:
	v_add_nc_u32_e32 v2, s22, v10
	v_add_nc_u32_e32 v4, s40, v10
	v_mul_lo_u32 v2, v2, s21
	v_mul_lo_u32 v4, v4, s23
	v_sub_nc_u32_e32 v2, v2, v4
	v_cmp_lt_u32_e64 s0, s41, v2
	s_and_b32 s2, s0, exec_lo
.LBB1569_102:
	s_or_b32 exec_lo, exec_lo, s3
	v_mov_b32_e32 v2, 8
	v_cndmask_b32_e64 v4, 0, 1, vcc_lo
	v_mov_b32_e32 v5, 0xff
	v_cndmask_b32_e64 v34, 0, 1, s2
	v_lshrrev_b32_sdwa v2, v2, v3 dst_sel:BYTE_1 dst_unused:UNUSED_PAD src0_sel:DWORD src1_sel:DWORD
	v_lshlrev_b16 v4, 8, v4
	v_and_b32_sdwa v5, v3, v5 dst_sel:DWORD dst_unused:UNUSED_PAD src0_sel:WORD_1 src1_sel:DWORD
	v_or_b32_sdwa v2, v3, v2 dst_sel:DWORD dst_unused:UNUSED_PAD src0_sel:BYTE_0 src1_sel:DWORD
	v_or_b32_sdwa v3, v5, v4 dst_sel:WORD_1 dst_unused:UNUSED_PAD src0_sel:DWORD src1_sel:DWORD
	v_or_b32_sdwa v35, v2, v3 dst_sel:DWORD dst_unused:UNUSED_PAD src0_sel:WORD_0 src1_sel:DWORD
.LBB1569_103:
	s_or_b32 exec_lo, exec_lo, s1
	v_add_nc_u32_e32 v2, 12, v29
	s_mov_b32 s0, exec_lo
                                        ; implicit-def: $vgpr36
	v_cmpx_le_u32_e64 s7, v2
	s_xor_b32 s0, exec_lo, s0
	s_cbranch_execz .LBB1569_105
; %bb.104:
	v_mov_b32_e32 v2, 24
	v_mov_b32_e32 v3, 0xff
	;; [unrolled: 1-line block ×3, first 2 shown]
	v_lshrrev_b32_sdwa v2, v2, v1 dst_sel:BYTE_1 dst_unused:UNUSED_PAD src0_sel:DWORD src1_sel:DWORD
	v_and_b32_sdwa v3, v1, v3 dst_sel:DWORD dst_unused:UNUSED_PAD src0_sel:WORD_1 src1_sel:DWORD
	v_lshrrev_b32_sdwa v1, v4, v1 dst_sel:BYTE_1 dst_unused:UNUSED_PAD src0_sel:DWORD src1_sel:DWORD
	v_or_b32_sdwa v2, v3, v2 dst_sel:WORD_1 dst_unused:UNUSED_PAD src0_sel:DWORD src1_sel:DWORD
	v_or_b32_sdwa v36, v1, v2 dst_sel:DWORD dst_unused:UNUSED_PAD src0_sel:WORD_0 src1_sel:DWORD
                                        ; implicit-def: $vgpr1
.LBB1569_105:
	s_or_saveexec_b32 s1, s0
	v_mov_b32_e32 v37, 0
	s_xor_b32 exec_lo, exec_lo, s1
	s_cbranch_execz .LBB1569_109
; %bb.106:
	v_add_nc_u32_e32 v2, s17, v28
	v_add_nc_u32_e32 v3, s19, v28
	s_mov_b32 s2, 0
	s_mov_b32 s3, exec_lo
	v_mul_lo_u32 v2, v2, s16
	v_mul_lo_u32 v3, v3, s18
	v_sub_nc_u32_e32 v2, v2, v3
	v_cmp_lt_u32_e32 vcc_lo, s20, v2
	v_cmpx_ge_u32_e64 s20, v2
	s_cbranch_execz .LBB1569_108
; %bb.107:
	v_add_nc_u32_e32 v2, s22, v28
	v_add_nc_u32_e32 v3, s40, v28
	v_mul_lo_u32 v2, v2, s21
	v_mul_lo_u32 v3, v3, s23
	v_sub_nc_u32_e32 v2, v2, v3
	v_cmp_lt_u32_e64 s0, s41, v2
	s_and_b32 s2, s0, exec_lo
.LBB1569_108:
	s_or_b32 exec_lo, exec_lo, s3
	v_mov_b32_e32 v2, 24
	v_mov_b32_e32 v3, 0xff
	;; [unrolled: 1-line block ×3, first 2 shown]
	v_cndmask_b32_e64 v5, 0, 1, vcc_lo
	v_cndmask_b32_e64 v37, 0, 1, s2
	v_lshrrev_b32_sdwa v2, v2, v1 dst_sel:BYTE_1 dst_unused:UNUSED_PAD src0_sel:DWORD src1_sel:DWORD
	v_and_b32_sdwa v3, v1, v3 dst_sel:DWORD dst_unused:UNUSED_PAD src0_sel:WORD_1 src1_sel:DWORD
	v_lshrrev_b32_sdwa v1, v4, v1 dst_sel:BYTE_1 dst_unused:UNUSED_PAD src0_sel:DWORD src1_sel:DWORD
	v_or_b32_sdwa v2, v3, v2 dst_sel:WORD_1 dst_unused:UNUSED_PAD src0_sel:DWORD src1_sel:DWORD
	v_or_b32_e32 v1, v5, v1
	v_or_b32_sdwa v36, v1, v2 dst_sel:DWORD dst_unused:UNUSED_PAD src0_sel:WORD_0 src1_sel:DWORD
.LBB1569_109:
	s_or_b32 exec_lo, exec_lo, s1
.LBB1569_110:
	v_and_b32_e32 v60, 0xff, v30
	v_bfe_u32 v61, v36, 8, 8
	v_bfe_u32 v57, v30, 8, 8
	;; [unrolled: 1-line block ×4, first 2 shown]
	v_lshrrev_b32_e32 v43, 24, v36
	v_lshrrev_b32_e32 v42, 24, v30
	v_and_b32_e32 v56, 0xff, v31
	v_and_b32_e32 v54, 0xff, v32
	v_bfe_u32 v55, v31, 8, 8
	v_add3_u32 v1, v57, v60, v59
	v_add3_u32 v2, v58, v61, v43
	v_bfe_u32 v52, v32, 8, 8
	v_bfe_u32 v53, v31, 16, 8
	;; [unrolled: 1-line block ×3, first 2 shown]
	v_lshrrev_b32_e32 v41, 24, v31
	v_add3_u32 v1, v1, v42, v54
	v_add3_u32 v2, v2, v56, v55
	v_lshrrev_b32_e32 v40, 24, v32
	v_and_b32_e32 v51, 0xff, v33
	v_and_b32_e32 v49, 0xff, v35
	v_bfe_u32 v50, v33, 8, 8
	v_add3_u32 v1, v1, v52, v46
	v_add3_u32 v2, v2, v53, v41
	v_bfe_u32 v47, v35, 8, 8
	v_bfe_u32 v48, v33, 16, 8
	;; [unrolled: 1-line block ×3, first 2 shown]
	v_lshrrev_b32_e32 v39, 24, v33
	v_add3_u32 v1, v1, v40, v49
	v_add3_u32 v2, v2, v51, v50
	v_mbcnt_lo_u32_b32 v62, -1, 0
	v_lshrrev_b32_e32 v38, 24, v35
	v_and_b32_e32 v44, 0xff, v34
	v_and_b32_e32 v3, 0xff, v36
	;; [unrolled: 1-line block ×3, first 2 shown]
	v_add3_u32 v1, v1, v47, v45
	v_add3_u32 v2, v2, v48, v39
	v_and_b32_e32 v64, 15, v62
	v_and_b32_e32 v66, 16, v62
	v_lshrrev_b32_e32 v63, 5, v0
	v_add3_u32 v67, v1, v38, v3
	v_add3_u32 v68, v2, v44, v4
	v_cmp_eq_u32_e64 s1, 0, v64
	v_cmp_lt_u32_e64 s0, 1, v64
	v_cmp_lt_u32_e64 s2, 3, v64
	v_or_b32_e32 v65, 31, v0
	s_cmp_lg_u32 s6, 0
	s_mov_b32 s3, -1
	v_cmp_lt_u32_e32 vcc_lo, 7, v64
	s_cbranch_scc0 .LBB1569_132
; %bb.111:
	v_mov_b32_dpp v1, v68 row_shr:1 row_mask:0xf bank_mask:0xf
	v_mov_b32_dpp v2, v67 row_shr:1 row_mask:0xf bank_mask:0xf
	s_mov_b32 s3, exec_lo
	v_add_nc_u32_e32 v1, v1, v68
	v_add_nc_u32_e32 v2, v2, v67
	v_cndmask_b32_e64 v1, v1, v68, s1
	v_cndmask_b32_e64 v2, v2, v67, s1
	v_mov_b32_dpp v3, v1 row_shr:2 row_mask:0xf bank_mask:0xf
	v_mov_b32_dpp v4, v2 row_shr:2 row_mask:0xf bank_mask:0xf
	v_add_nc_u32_e32 v3, v1, v3
	v_add_nc_u32_e32 v4, v2, v4
	v_cndmask_b32_e64 v1, v1, v3, s0
	v_cndmask_b32_e64 v2, v2, v4, s0
	v_mov_b32_dpp v3, v1 row_shr:4 row_mask:0xf bank_mask:0xf
	v_mov_b32_dpp v4, v2 row_shr:4 row_mask:0xf bank_mask:0xf
	;; [unrolled: 6-line block ×3, first 2 shown]
	v_add_nc_u32_e32 v3, v1, v3
	v_add_nc_u32_e32 v4, v2, v4
	v_cndmask_b32_e32 v1, v1, v3, vcc_lo
	v_cndmask_b32_e32 v2, v2, v4, vcc_lo
	v_cmp_eq_u32_e32 vcc_lo, 0, v66
	ds_swizzle_b32 v3, v1 offset:swizzle(BROADCAST,32,15)
	ds_swizzle_b32 v4, v2 offset:swizzle(BROADCAST,32,15)
	s_waitcnt lgkmcnt(0)
	v_add_nc_u32_e32 v3, v1, v3
	v_add_nc_u32_e32 v4, v2, v4
	v_cmpx_eq_u32_e64 v0, v65
	s_cbranch_execz .LBB1569_113
; %bb.112:
	v_lshlrev_b32_e32 v7, 3, v63
	v_cndmask_b32_e32 v6, v3, v1, vcc_lo
	v_cndmask_b32_e32 v5, v4, v2, vcc_lo
	ds_write_b64 v7, v[5:6]
.LBB1569_113:
	s_or_b32 exec_lo, exec_lo, s3
	s_mov_b32 s3, exec_lo
	s_waitcnt lgkmcnt(0)
	s_barrier
	buffer_gl0_inv
	v_cmpx_gt_u32_e32 8, v0
	s_cbranch_execz .LBB1569_115
; %bb.114:
	v_lshlrev_b32_e32 v7, 3, v0
	v_and_b32_e32 v22, 7, v62
	ds_read_b64 v[5:6], v7
	v_cmp_eq_u32_e64 s2, 0, v22
	s_waitcnt lgkmcnt(0)
	v_mov_b32_dpp v8, v5 row_shr:1 row_mask:0xf bank_mask:0xf
	v_mov_b32_dpp v21, v6 row_shr:1 row_mask:0xf bank_mask:0xf
	v_add_nc_u32_e32 v8, v8, v5
	v_add_nc_u32_e32 v21, v21, v6
	v_cndmask_b32_e64 v5, v8, v5, s2
	v_cndmask_b32_e64 v6, v21, v6, s2
	v_cmp_lt_u32_e64 s2, 1, v22
	v_mov_b32_dpp v8, v5 row_shr:2 row_mask:0xf bank_mask:0xf
	v_mov_b32_dpp v21, v6 row_shr:2 row_mask:0xf bank_mask:0xf
	v_add_nc_u32_e32 v8, v5, v8
	v_add_nc_u32_e32 v21, v6, v21
	v_cndmask_b32_e64 v5, v5, v8, s2
	v_cndmask_b32_e64 v6, v6, v21, s2
	v_cmp_lt_u32_e64 s2, 3, v22
	v_mov_b32_dpp v8, v5 row_shr:4 row_mask:0xf bank_mask:0xf
	v_mov_b32_dpp v21, v6 row_shr:4 row_mask:0xf bank_mask:0xf
	v_cndmask_b32_e64 v8, 0, v8, s2
	v_cndmask_b32_e64 v21, 0, v21, s2
	v_add_nc_u32_e32 v5, v8, v5
	v_add_nc_u32_e32 v6, v21, v6
	ds_write_b64 v7, v[5:6]
.LBB1569_115:
	s_or_b32 exec_lo, exec_lo, s3
	v_cndmask_b32_e32 v1, v3, v1, vcc_lo
	v_cndmask_b32_e32 v2, v4, v2, vcc_lo
	s_mov_b32 s3, exec_lo
	v_cmp_gt_u32_e32 vcc_lo, 32, v0
	s_waitcnt lgkmcnt(0)
	s_barrier
	buffer_gl0_inv
                                        ; implicit-def: $vgpr21
	v_cmpx_lt_u32_e32 31, v0
	s_cbranch_execz .LBB1569_117
; %bb.116:
	v_lshl_add_u32 v3, v63, 3, -8
	ds_read_b64 v[21:22], v3
	s_waitcnt lgkmcnt(0)
	v_add_nc_u32_e32 v1, v22, v1
	v_add_nc_u32_e32 v2, v21, v2
.LBB1569_117:
	s_or_b32 exec_lo, exec_lo, s3
	v_sub_co_u32 v3, s2, v62, 1
	v_cmp_gt_i32_e64 s3, 0, v3
	v_cndmask_b32_e64 v3, v3, v62, s3
	v_lshlrev_b32_e32 v3, 2, v3
	ds_bpermute_b32 v69, v3, v2
	ds_bpermute_b32 v70, v3, v1
	s_and_saveexec_b32 s3, vcc_lo
	s_cbranch_execz .LBB1569_137
; %bb.118:
	v_mov_b32_e32 v4, 0
	ds_read_b64 v[1:2], v4 offset:56
	s_and_saveexec_b32 s8, s2
	s_cbranch_execz .LBB1569_120
; %bb.119:
	s_add_i32 s10, s6, 32
	s_mov_b32 s11, 0
	v_mov_b32_e32 v3, 1
	s_lshl_b64 s[10:11], s[10:11], 4
	s_add_u32 s10, s4, s10
	s_addc_u32 s11, s5, s11
	v_mov_b32_e32 v5, s10
	v_mov_b32_e32 v6, s11
	s_waitcnt lgkmcnt(0)
	;;#ASMSTART
	global_store_dwordx4 v[5:6], v[1:4] off	
s_waitcnt vmcnt(0)
	;;#ASMEND
.LBB1569_120:
	s_or_b32 exec_lo, exec_lo, s8
	v_xad_u32 v23, v62, -1, s6
	s_mov_b32 s9, 0
	v_add_nc_u32_e32 v3, 32, v23
	v_lshlrev_b64 v[5:6], 4, v[3:4]
	v_add_co_u32 v24, vcc_lo, s4, v5
	v_add_co_ci_u32_e64 v25, null, s5, v6, vcc_lo
	;;#ASMSTART
	global_load_dwordx4 v[5:8], v[24:25] off glc dlc	
s_waitcnt vmcnt(0)
	;;#ASMEND
	v_cmp_eq_u16_sdwa s10, v7, v4 src0_sel:BYTE_0 src1_sel:DWORD
	s_and_saveexec_b32 s8, s10
	s_cbranch_execz .LBB1569_124
; %bb.121:
	v_mov_b32_e32 v3, 0
.LBB1569_122:                           ; =>This Inner Loop Header: Depth=1
	;;#ASMSTART
	global_load_dwordx4 v[5:8], v[24:25] off glc dlc	
s_waitcnt vmcnt(0)
	;;#ASMEND
	v_cmp_ne_u16_sdwa s10, v7, v3 src0_sel:BYTE_0 src1_sel:DWORD
	s_or_b32 s9, s10, s9
	s_andn2_b32 exec_lo, exec_lo, s9
	s_cbranch_execnz .LBB1569_122
; %bb.123:
	s_or_b32 exec_lo, exec_lo, s9
.LBB1569_124:
	s_or_b32 exec_lo, exec_lo, s8
	v_cmp_ne_u32_e32 vcc_lo, 31, v62
	v_mov_b32_e32 v72, 2
	v_lshlrev_b32_e64 v73, v62, -1
	v_add_nc_u32_e32 v75, 2, v62
	v_add_nc_u32_e32 v77, 4, v62
	v_add_co_ci_u32_e64 v3, null, 0, v62, vcc_lo
	v_cmp_eq_u16_sdwa s8, v7, v72 src0_sel:BYTE_0 src1_sel:DWORD
	v_cmp_gt_u32_e32 vcc_lo, 30, v62
	v_add_nc_u32_e32 v79, 8, v62
	v_lshlrev_b32_e32 v71, 2, v3
	v_lshl_or_b32 v80, v62, 2, 64
	v_and_b32_e32 v8, s8, v73
	v_cndmask_b32_e64 v24, 0, 2, vcc_lo
	v_add_nc_u32_e32 v81, 16, v62
	ds_bpermute_b32 v3, v71, v6
	ds_bpermute_b32 v4, v71, v5
	v_or_b32_e32 v8, 0x80000000, v8
	v_add_lshl_u32 v74, v24, v62, 2
	v_ffbl_b32_e32 v8, v8
	v_cmp_lt_u32_e32 vcc_lo, v62, v8
	s_waitcnt lgkmcnt(1)
	v_add_nc_u32_e32 v3, v3, v6
	s_waitcnt lgkmcnt(0)
	v_add_nc_u32_e32 v4, v4, v5
	v_cndmask_b32_e32 v3, v6, v3, vcc_lo
	v_cndmask_b32_e32 v4, v5, v4, vcc_lo
	v_cmp_gt_u32_e32 vcc_lo, 28, v62
	ds_bpermute_b32 v5, v74, v3
	ds_bpermute_b32 v6, v74, v4
	v_cndmask_b32_e64 v24, 0, 4, vcc_lo
	v_cmp_gt_u32_e32 vcc_lo, v75, v8
	v_add_lshl_u32 v76, v24, v62, 2
	s_waitcnt lgkmcnt(1)
	v_add_nc_u32_e32 v5, v3, v5
	s_waitcnt lgkmcnt(0)
	v_add_nc_u32_e32 v6, v4, v6
	v_cndmask_b32_e32 v3, v5, v3, vcc_lo
	v_cndmask_b32_e32 v4, v6, v4, vcc_lo
	v_cmp_gt_u32_e32 vcc_lo, 24, v62
	ds_bpermute_b32 v5, v76, v3
	ds_bpermute_b32 v6, v76, v4
	v_cndmask_b32_e64 v24, 0, 8, vcc_lo
	v_cmp_gt_u32_e32 vcc_lo, v77, v8
	v_add_lshl_u32 v78, v24, v62, 2
	v_mov_b32_e32 v24, 0
	s_waitcnt lgkmcnt(1)
	v_add_nc_u32_e32 v5, v3, v5
	s_waitcnt lgkmcnt(0)
	v_add_nc_u32_e32 v6, v4, v6
	v_cndmask_b32_e32 v3, v5, v3, vcc_lo
	v_cndmask_b32_e32 v4, v6, v4, vcc_lo
	v_cmp_gt_u32_e32 vcc_lo, v79, v8
	ds_bpermute_b32 v5, v78, v3
	ds_bpermute_b32 v6, v78, v4
	s_waitcnt lgkmcnt(1)
	v_add_nc_u32_e32 v5, v3, v5
	s_waitcnt lgkmcnt(0)
	v_add_nc_u32_e32 v6, v4, v6
	v_cndmask_b32_e32 v3, v5, v3, vcc_lo
	v_cndmask_b32_e32 v4, v6, v4, vcc_lo
	v_cmp_le_u32_e32 vcc_lo, v81, v8
	ds_bpermute_b32 v6, v80, v3
	ds_bpermute_b32 v5, v80, v4
	s_waitcnt lgkmcnt(1)
	v_cndmask_b32_e32 v6, 0, v6, vcc_lo
	s_waitcnt lgkmcnt(0)
	v_cndmask_b32_e32 v5, 0, v5, vcc_lo
	v_add_nc_u32_e32 v6, v6, v3
	v_add_nc_u32_e32 v5, v5, v4
	s_branch .LBB1569_128
.LBB1569_125:                           ;   in Loop: Header=BB1569_128 Depth=1
	s_or_b32 exec_lo, exec_lo, s9
.LBB1569_126:                           ;   in Loop: Header=BB1569_128 Depth=1
	s_or_b32 exec_lo, exec_lo, s8
	ds_bpermute_b32 v8, v71, v5
	ds_bpermute_b32 v25, v71, v6
	v_cmp_eq_u16_sdwa s8, v7, v72 src0_sel:BYTE_0 src1_sel:DWORD
	v_subrev_nc_u32_e32 v23, 32, v23
	v_and_or_b32 v26, s8, v73, 0x80000000
	s_mov_b32 s8, 0
	v_ffbl_b32_e32 v26, v26
	v_cmp_lt_u32_e32 vcc_lo, v62, v26
	s_waitcnt lgkmcnt(1)
	v_add_nc_u32_e32 v8, v8, v5
	s_waitcnt lgkmcnt(0)
	v_add_nc_u32_e32 v25, v25, v6
	v_cndmask_b32_e32 v5, v5, v8, vcc_lo
	v_cndmask_b32_e32 v6, v6, v25, vcc_lo
	v_cmp_gt_u32_e32 vcc_lo, v75, v26
	ds_bpermute_b32 v8, v74, v5
	ds_bpermute_b32 v25, v74, v6
	s_waitcnt lgkmcnt(1)
	v_add_nc_u32_e32 v8, v5, v8
	s_waitcnt lgkmcnt(0)
	v_add_nc_u32_e32 v25, v6, v25
	v_cndmask_b32_e32 v5, v8, v5, vcc_lo
	v_cndmask_b32_e32 v6, v25, v6, vcc_lo
	v_cmp_gt_u32_e32 vcc_lo, v77, v26
	ds_bpermute_b32 v8, v76, v5
	ds_bpermute_b32 v25, v76, v6
	;; [unrolled: 9-line block ×3, first 2 shown]
	s_waitcnt lgkmcnt(1)
	v_add_nc_u32_e32 v8, v5, v8
	s_waitcnt lgkmcnt(0)
	v_add_nc_u32_e32 v25, v6, v25
	v_cndmask_b32_e32 v5, v8, v5, vcc_lo
	v_cndmask_b32_e32 v6, v25, v6, vcc_lo
	v_cmp_le_u32_e32 vcc_lo, v81, v26
	ds_bpermute_b32 v8, v80, v5
	ds_bpermute_b32 v25, v80, v6
	s_waitcnt lgkmcnt(1)
	v_cndmask_b32_e32 v8, 0, v8, vcc_lo
	s_waitcnt lgkmcnt(0)
	v_cndmask_b32_e32 v25, 0, v25, vcc_lo
	v_add3_u32 v5, v5, v3, v8
	v_add3_u32 v6, v6, v4, v25
.LBB1569_127:                           ;   in Loop: Header=BB1569_128 Depth=1
	s_and_b32 vcc_lo, exec_lo, s8
	s_cbranch_vccnz .LBB1569_133
.LBB1569_128:                           ; =>This Loop Header: Depth=1
                                        ;     Child Loop BB1569_131 Depth 2
	v_cmp_ne_u16_sdwa s8, v7, v72 src0_sel:BYTE_0 src1_sel:DWORD
	v_mov_b32_e32 v3, v5
	v_mov_b32_e32 v4, v6
                                        ; implicit-def: $vgpr7
                                        ; implicit-def: $vgpr5_vgpr6
	s_cmp_lg_u32 s8, exec_lo
	s_mov_b32 s8, -1
	s_cbranch_scc1 .LBB1569_127
; %bb.129:                              ;   in Loop: Header=BB1569_128 Depth=1
	v_lshlrev_b64 v[5:6], 4, v[23:24]
	v_add_co_u32 v25, vcc_lo, s4, v5
	v_add_co_ci_u32_e64 v26, null, s5, v6, vcc_lo
	;;#ASMSTART
	global_load_dwordx4 v[5:8], v[25:26] off glc dlc	
s_waitcnt vmcnt(0)
	;;#ASMEND
	v_cmp_eq_u16_sdwa s9, v7, v24 src0_sel:BYTE_0 src1_sel:DWORD
	s_and_saveexec_b32 s8, s9
	s_cbranch_execz .LBB1569_126
; %bb.130:                              ;   in Loop: Header=BB1569_128 Depth=1
	s_mov_b32 s9, 0
.LBB1569_131:                           ;   Parent Loop BB1569_128 Depth=1
                                        ; =>  This Inner Loop Header: Depth=2
	;;#ASMSTART
	global_load_dwordx4 v[5:8], v[25:26] off glc dlc	
s_waitcnt vmcnt(0)
	;;#ASMEND
	v_cmp_ne_u16_sdwa s10, v7, v24 src0_sel:BYTE_0 src1_sel:DWORD
	s_or_b32 s9, s10, s9
	s_andn2_b32 exec_lo, exec_lo, s9
	s_cbranch_execnz .LBB1569_131
	s_branch .LBB1569_125
.LBB1569_132:
                                        ; implicit-def: $vgpr23
                                        ; implicit-def: $vgpr3
                                        ; implicit-def: $vgpr24
	s_and_b32 vcc_lo, exec_lo, s3
	s_cbranch_vccnz .LBB1569_138
	s_branch .LBB1569_147
.LBB1569_133:
	s_and_saveexec_b32 s8, s2
	s_cbranch_execnz .LBB1569_375
; %bb.134:
	s_or_b32 exec_lo, exec_lo, s8
	s_and_saveexec_b32 s6, s2
	s_cbranch_execnz .LBB1569_376
.LBB1569_135:
	s_or_b32 exec_lo, exec_lo, s6
	v_cmp_eq_u32_e32 vcc_lo, 0, v0
	s_and_b32 exec_lo, exec_lo, vcc_lo
.LBB1569_136:
	v_mov_b32_e32 v1, 0
	ds_write_b64 v1, v[3:4] offset:56
.LBB1569_137:
	s_or_b32 exec_lo, exec_lo, s3
	v_mov_b32_e32 v1, 0
	s_waitcnt lgkmcnt(0)
	s_barrier
	buffer_gl0_inv
	v_cndmask_b32_e64 v7, v69, v21, s2
	ds_read_b64 v[5:6], v1 offset:56
	s_waitcnt lgkmcnt(0)
	s_barrier
	buffer_gl0_inv
	ds_read_b128 v[1:4], v1 offset:13312
	v_cndmask_b32_e64 v8, v70, v22, s2
	v_cmp_eq_u32_e32 vcc_lo, 0, v0
	v_add_nc_u32_e32 v7, v5, v7
	v_add_nc_u32_e32 v8, v6, v8
	v_cndmask_b32_e32 v24, v7, v5, vcc_lo
	v_cndmask_b32_e32 v23, v8, v6, vcc_lo
	s_branch .LBB1569_147
.LBB1569_138:
	s_waitcnt lgkmcnt(0)
	v_mov_b32_dpp v1, v67 row_shr:1 row_mask:0xf bank_mask:0xf
	v_mov_b32_dpp v2, v68 row_shr:1 row_mask:0xf bank_mask:0xf
	v_cmp_lt_u32_e32 vcc_lo, 3, v64
	v_add_nc_u32_e32 v1, v1, v67
	v_add_nc_u32_e32 v2, v2, v68
	v_cndmask_b32_e64 v1, v1, v67, s1
	v_cndmask_b32_e64 v2, v2, v68, s1
	s_mov_b32 s1, exec_lo
	v_mov_b32_dpp v3, v1 row_shr:2 row_mask:0xf bank_mask:0xf
	v_mov_b32_dpp v4, v2 row_shr:2 row_mask:0xf bank_mask:0xf
	v_add_nc_u32_e32 v3, v1, v3
	v_add_nc_u32_e32 v4, v2, v4
	v_cndmask_b32_e64 v1, v1, v3, s0
	v_cndmask_b32_e64 v2, v2, v4, s0
	v_mov_b32_dpp v3, v1 row_shr:4 row_mask:0xf bank_mask:0xf
	v_mov_b32_dpp v4, v2 row_shr:4 row_mask:0xf bank_mask:0xf
	v_add_nc_u32_e32 v3, v1, v3
	v_add_nc_u32_e32 v4, v2, v4
	v_cndmask_b32_e32 v3, v1, v3, vcc_lo
	v_cndmask_b32_e32 v2, v2, v4, vcc_lo
	v_cmp_lt_u32_e32 vcc_lo, 7, v64
	v_mov_b32_dpp v1, v3 row_shr:8 row_mask:0xf bank_mask:0xf
	v_mov_b32_dpp v4, v2 row_shr:8 row_mask:0xf bank_mask:0xf
	v_add_nc_u32_e32 v5, v3, v1
	v_add_nc_u32_e32 v1, v2, v4
	v_cndmask_b32_e32 v1, v2, v1, vcc_lo
	v_cndmask_b32_e32 v2, v3, v5, vcc_lo
	v_cmp_eq_u32_e32 vcc_lo, 0, v66
	ds_swizzle_b32 v3, v1 offset:swizzle(BROADCAST,32,15)
	ds_swizzle_b32 v4, v2 offset:swizzle(BROADCAST,32,15)
	s_waitcnt lgkmcnt(1)
	v_add_nc_u32_e32 v3, v1, v3
	s_waitcnt lgkmcnt(0)
	v_add_nc_u32_e32 v4, v2, v4
	v_cmpx_eq_u32_e64 v0, v65
	s_cbranch_execz .LBB1569_140
; %bb.139:
	v_cndmask_b32_e32 v5, v4, v2, vcc_lo
	v_cndmask_b32_e32 v6, v3, v1, vcc_lo
	v_lshlrev_b32_e32 v7, 3, v63
	ds_write_b64 v7, v[5:6]
.LBB1569_140:
	s_or_b32 exec_lo, exec_lo, s1
	s_mov_b32 s1, exec_lo
	s_waitcnt lgkmcnt(0)
	s_barrier
	buffer_gl0_inv
	v_cmpx_gt_u32_e32 8, v0
	s_cbranch_execz .LBB1569_142
; %bb.141:
	v_lshlrev_b32_e32 v7, 3, v0
	v_and_b32_e32 v22, 7, v62
	ds_read_b64 v[5:6], v7
	v_cmp_eq_u32_e64 s0, 0, v22
	s_waitcnt lgkmcnt(0)
	v_mov_b32_dpp v8, v5 row_shr:1 row_mask:0xf bank_mask:0xf
	v_mov_b32_dpp v21, v6 row_shr:1 row_mask:0xf bank_mask:0xf
	v_add_nc_u32_e32 v8, v8, v5
	v_add_nc_u32_e32 v21, v21, v6
	v_cndmask_b32_e64 v5, v8, v5, s0
	v_cndmask_b32_e64 v6, v21, v6, s0
	v_cmp_lt_u32_e64 s0, 1, v22
	v_mov_b32_dpp v8, v5 row_shr:2 row_mask:0xf bank_mask:0xf
	v_mov_b32_dpp v21, v6 row_shr:2 row_mask:0xf bank_mask:0xf
	v_add_nc_u32_e32 v8, v5, v8
	v_add_nc_u32_e32 v21, v6, v21
	v_cndmask_b32_e64 v5, v5, v8, s0
	v_cndmask_b32_e64 v6, v6, v21, s0
	v_cmp_lt_u32_e64 s0, 3, v22
	v_mov_b32_dpp v8, v5 row_shr:4 row_mask:0xf bank_mask:0xf
	v_mov_b32_dpp v21, v6 row_shr:4 row_mask:0xf bank_mask:0xf
	v_cndmask_b32_e64 v8, 0, v8, s0
	v_cndmask_b32_e64 v21, 0, v21, s0
	v_add_nc_u32_e32 v5, v8, v5
	v_add_nc_u32_e32 v6, v21, v6
	ds_write_b64 v7, v[5:6]
.LBB1569_142:
	s_or_b32 exec_lo, exec_lo, s1
	v_mov_b32_e32 v7, 0
	v_mov_b32_e32 v5, 0
	;; [unrolled: 1-line block ×3, first 2 shown]
	s_mov_b32 s1, exec_lo
	s_waitcnt lgkmcnt(0)
	s_barrier
	buffer_gl0_inv
	v_cmpx_lt_u32_e32 31, v0
; %bb.143:
	v_lshl_add_u32 v5, v63, 3, -8
	ds_read_b64 v[5:6], v5
; %bb.144:
	s_or_b32 exec_lo, exec_lo, s1
	v_sub_co_u32 v8, s0, v62, 1
	v_cndmask_b32_e32 v2, v4, v2, vcc_lo
	v_cndmask_b32_e32 v1, v3, v1, vcc_lo
	v_cmp_eq_u32_e32 vcc_lo, 0, v0
	v_cmp_gt_i32_e64 s1, 0, v8
	s_waitcnt lgkmcnt(0)
	v_add_nc_u32_e32 v2, v5, v2
	v_add_nc_u32_e32 v1, v6, v1
	v_cndmask_b32_e64 v4, v8, v62, s1
	v_lshlrev_b32_e32 v3, 2, v4
	ds_bpermute_b32 v8, v3, v2
	ds_bpermute_b32 v21, v3, v1
	ds_read_b64 v[1:2], v7 offset:56
	s_and_saveexec_b32 s1, vcc_lo
	s_cbranch_execz .LBB1569_146
; %bb.145:
	s_add_u32 s2, s4, 0x200
	s_addc_u32 s3, s5, 0
	v_mov_b32_e32 v3, 2
	v_mov_b32_e32 v23, s3
	;; [unrolled: 1-line block ×4, first 2 shown]
	s_waitcnt lgkmcnt(0)
	;;#ASMSTART
	global_store_dwordx4 v[22:23], v[1:4] off	
s_waitcnt vmcnt(0)
	;;#ASMEND
.LBB1569_146:
	s_or_b32 exec_lo, exec_lo, s1
	s_waitcnt lgkmcnt(1)
	v_cndmask_b32_e64 v3, v21, v6, s0
	v_cndmask_b32_e64 v5, v8, v5, s0
	v_mov_b32_e32 v4, 0
	s_waitcnt lgkmcnt(0)
	s_barrier
	v_cndmask_b32_e64 v23, v3, 0, vcc_lo
	v_cndmask_b32_e64 v24, v5, 0, vcc_lo
	v_mov_b32_e32 v3, 0
	buffer_gl0_inv
.LBB1569_147:
	v_add_nc_u32_e32 v61, v23, v61
	v_add_nc_u32_e32 v60, v24, v60
	s_waitcnt lgkmcnt(0)
	v_sub_nc_u32_e32 v23, v23, v4
	v_lshrrev_b32_e32 v26, 8, v36
	v_lshlrev_b32_e32 v66, 1, v1
	v_add_nc_u32_e32 v58, v61, v58
	v_sub_nc_u32_e32 v61, v61, v4
	v_add_nc_u32_e32 v57, v60, v57
	v_sub_nc_u32_e32 v24, v24, v3
	v_sub_nc_u32_e32 v60, v60, v3
	v_add_nc_u32_e32 v23, v23, v1
	v_add_nc_u32_e32 v61, v61, v1
	v_and_b32_e32 v26, 1, v26
	v_mov_b32_e32 v68, 1
	v_add3_u32 v29, v66, v2, v29
	v_add_nc_u32_e32 v73, v24, v23
	v_add_nc_u32_e32 v72, v61, v60
	v_cmp_eq_u32_e32 vcc_lo, 1, v26
	v_and_b32_sdwa v71, v68, v36 dst_sel:DWORD dst_unused:UNUSED_PAD src0_sel:DWORD src1_sel:WORD_1
	v_lshrrev_b32_e32 v25, 8, v30
	v_sub_nc_u32_e32 v73, v29, v73
	v_sub_nc_u32_e32 v72, v29, v72
	v_and_b32_e32 v67, 1, v30
	v_add_nc_u32_e32 v62, v58, v43
	v_and_b32_e32 v25, 1, v25
	v_cndmask_b32_e32 v23, v73, v23, vcc_lo
	v_add_nc_u32_e32 v72, 1, v72
	v_cmp_eq_u32_e32 vcc_lo, 1, v71
	v_sub_nc_u32_e32 v58, v58, v4
	v_add_nc_u32_e32 v59, v57, v59
	v_sub_nc_u32_e32 v57, v57, v3
	v_add_co_u32 v5, s0, s28, v3
	v_cndmask_b32_e32 v26, v72, v61, vcc_lo
	v_cmp_eq_u32_e32 vcc_lo, 1, v67
	v_add_nc_u32_e32 v58, v58, v1
	v_add_co_ci_u32_e64 v6, null, s29, 0, s0
	v_sub_co_u32 v64, s0, s30, v1
	v_cndmask_b32_e32 v67, v23, v24, vcc_lo
	v_cmp_eq_u32_e32 vcc_lo, 1, v25
	v_sub_co_ci_u32_e64 v65, null, s31, 0, s0
	v_and_b32_e32 v43, 1, v43
	v_add_nc_u32_e32 v56, v62, v56
	v_cndmask_b32_e32 v25, v26, v60, vcc_lo
	v_add_nc_u32_e32 v26, v58, v57
	v_add_co_u32 v23, vcc_lo, v64, v4
	v_add_co_ci_u32_e64 v24, null, 0, v65, vcc_lo
	v_sub_nc_u32_e32 v26, v29, v26
	v_sub_nc_u32_e32 v62, v62, v4
	v_and_b32_sdwa v30, v68, v30 dst_sel:DWORD dst_unused:UNUSED_PAD src0_sel:DWORD src1_sel:WORD_1
	v_cmp_eq_u32_e32 vcc_lo, 1, v43
	v_add_nc_u32_e32 v63, v59, v42
	v_add_nc_u32_e32 v26, 2, v26
	v_sub_nc_u32_e32 v59, v59, v3
	v_add_nc_u32_e32 v62, v62, v1
	v_add_nc_u32_e32 v55, v56, v55
	v_lshlrev_b32_e32 v60, 2, v67
	v_cndmask_b32_e32 v26, v26, v58, vcc_lo
	v_cmp_eq_u32_e32 vcc_lo, 1, v30
	v_lshlrev_b32_e32 v25, 2, v25
	v_sub_nc_u32_e32 v56, v56, v4
	v_add_nc_u32_e32 v43, v59, v62
	v_sub_nc_u32_e32 v58, v63, v3
	v_cndmask_b32_e32 v26, v26, v57, vcc_lo
	ds_write_b32 v60, v19
	v_add_nc_u32_e32 v56, v56, v1
	v_sub_nc_u32_e32 v19, v29, v43
	ds_write_b32 v25, v20
	v_lshlrev_b32_e32 v25, 2, v26
	v_and_b32_e32 v26, 1, v31
	v_lshrrev_b32_e32 v22, 8, v31
	v_add_nc_u32_e32 v54, v63, v54
	v_add_nc_u32_e32 v20, v58, v56
	;; [unrolled: 1-line block ×3, first 2 shown]
	v_and_b32_e32 v30, 1, v42
	v_sub_nc_u32_e32 v42, v55, v4
	v_cmp_eq_u32_e32 vcc_lo, 1, v26
	v_sub_nc_u32_e32 v20, v29, v20
	v_and_b32_e32 v22, 1, v22
	v_sub_nc_u32_e32 v26, v54, v3
	v_add_nc_u32_e32 v42, v42, v1
	v_cndmask_b32_e32 v19, v19, v62, vcc_lo
	v_cmp_eq_u32_e32 vcc_lo, 1, v30
	v_add_nc_u32_e32 v20, 4, v20
	v_and_b32_e32 v30, 1, v32
	v_add_nc_u32_e32 v43, v26, v42
	v_lshrrev_b32_e32 v21, 8, v32
	v_cndmask_b32_e32 v19, v19, v59, vcc_lo
	v_cmp_eq_u32_e32 vcc_lo, 1, v22
	v_add_nc_u32_e32 v53, v55, v53
	ds_write_b32 v25, v17
	v_and_b32_sdwa v25, v68, v31 dst_sel:DWORD dst_unused:UNUSED_PAD src0_sel:DWORD src1_sel:WORD_1
	v_lshlrev_b32_e32 v17, 2, v19
	v_cndmask_b32_e32 v20, v20, v56, vcc_lo
	v_sub_nc_u32_e32 v19, v29, v43
	v_cmp_eq_u32_e32 vcc_lo, 1, v30
	v_add_nc_u32_e32 v52, v54, v52
	v_add_nc_u32_e32 v69, v53, v41
	v_and_b32_e32 v21, 1, v21
	v_sub_nc_u32_e32 v22, v53, v4
	v_cndmask_b32_e32 v20, v20, v58, vcc_lo
	v_add_nc_u32_e32 v19, 5, v19
	v_cmp_eq_u32_e32 vcc_lo, 1, v25
	v_add_nc_u32_e32 v46, v52, v46
	v_sub_nc_u32_e32 v30, v52, v3
	v_sub_nc_u32_e32 v31, v69, v4
	v_add_nc_u32_e32 v22, v22, v1
	v_cndmask_b32_e32 v19, v19, v42, vcc_lo
	v_cmp_eq_u32_e32 vcc_lo, 1, v21
	v_sub_nc_u32_e32 v25, v46, v3
	v_add_nc_u32_e32 v31, v31, v1
	v_lshlrev_b32_e32 v20, 2, v20
	v_add_nc_u32_e32 v42, v30, v22
	v_cndmask_b32_e32 v19, v19, v26, vcc_lo
	ds_write_b32 v17, v18
	v_add_nc_u32_e32 v21, v25, v31
	ds_write_b32 v20, v15
	v_sub_nc_u32_e32 v17, v29, v42
	v_lshlrev_b32_e32 v15, 2, v19
	v_and_b32_e32 v19, 1, v41
	v_sub_nc_u32_e32 v18, v29, v21
	v_and_b32_e32 v21, 1, v33
	v_add_nc_u32_e32 v17, 6, v17
	v_add_nc_u32_e32 v51, v69, v51
	v_cmp_eq_u32_e32 vcc_lo, 1, v19
	v_and_b32_sdwa v20, v68, v32 dst_sel:DWORD dst_unused:UNUSED_PAD src0_sel:DWORD src1_sel:WORD_1
	v_add_nc_u32_e32 v18, 7, v18
	v_add_nc_u32_e32 v70, v46, v40
	v_sub_nc_u32_e32 v19, v51, v4
	v_cndmask_b32_e32 v17, v17, v22, vcc_lo
	v_cmp_eq_u32_e32 vcc_lo, 1, v21
	v_and_b32_e32 v22, 1, v40
	v_add_nc_u32_e32 v50, v51, v50
	v_sub_nc_u32_e32 v21, v70, v3
	v_add_nc_u32_e32 v19, v19, v1
	v_cndmask_b32_e32 v18, v18, v31, vcc_lo
	v_cmp_eq_u32_e32 vcc_lo, 1, v20
	v_lshrrev_b32_e32 v8, 8, v33
	v_add_nc_u32_e32 v49, v70, v49
	v_add_nc_u32_e32 v20, v21, v19
	ds_write_b32 v15, v16
	v_cndmask_b32_e32 v17, v17, v30, vcc_lo
	v_cmp_eq_u32_e32 vcc_lo, 1, v22
	v_sub_nc_u32_e32 v15, v50, v4
	v_add_nc_u32_e32 v48, v50, v48
	v_and_b32_e32 v8, 1, v8
	v_lshlrev_b32_e32 v16, 2, v17
	v_cndmask_b32_e32 v18, v18, v25, vcc_lo
	v_add_nc_u32_e32 v15, v15, v1
	v_add_nc_u32_e32 v47, v49, v47
	v_cmp_eq_u32_e32 vcc_lo, 1, v8
	v_lshrrev_b32_e32 v7, 8, v35
	v_lshlrev_b32_e32 v17, 2, v18
	v_sub_nc_u32_e32 v18, v29, v20
	v_sub_nc_u32_e32 v20, v49, v3
	ds_write_b32 v16, v13
	ds_write_b32 v17, v14
	v_and_b32_e32 v16, 1, v35
	v_add_nc_u32_e32 v13, 8, v18
	v_add_nc_u32_e32 v14, v20, v15
	v_sub_nc_u32_e32 v17, v48, v4
	v_add_nc_u32_e32 v74, v48, v39
	v_add_nc_u32_e32 v45, v47, v45
	v_cndmask_b32_e32 v8, v13, v19, vcc_lo
	v_sub_nc_u32_e32 v13, v29, v14
	v_sub_nc_u32_e32 v14, v47, v3
	v_add_nc_u32_e32 v17, v17, v1
	v_cmp_eq_u32_e32 vcc_lo, 1, v16
	v_and_b32_sdwa v16, v68, v33 dst_sel:DWORD dst_unused:UNUSED_PAD src0_sel:DWORD src1_sel:WORD_1
	v_add_nc_u32_e32 v44, v74, v44
	v_add_nc_u32_e32 v13, 9, v13
	v_and_b32_e32 v7, 1, v7
	v_cndmask_b32_e32 v8, v8, v21, vcc_lo
	v_add_nc_u32_e32 v18, v14, v17
	v_sub_nc_u32_e32 v19, v74, v4
	v_cmp_eq_u32_e32 vcc_lo, 1, v16
	v_add_nc_u32_e32 v61, v45, v38
	v_and_b32_e32 v25, 1, v37
	v_sub_nc_u32_e32 v16, v29, v18
	v_sub_nc_u32_e32 v18, v45, v3
	v_cndmask_b32_e32 v13, v13, v15, vcc_lo
	v_sub_nc_u32_e32 v15, v44, v4
	v_add_nc_u32_e32 v19, v19, v1
	v_cmp_eq_u32_e32 vcc_lo, 1, v7
	v_sub_nc_u32_e32 v3, v61, v3
	v_add_nc_u32_e32 v16, 10, v16
	v_add_nc_u32_e32 v15, v15, v1
	v_and_b32_sdwa v22, v68, v35 dst_sel:DWORD dst_unused:UNUSED_PAD src0_sel:DWORD src1_sel:WORD_1
	v_cndmask_b32_e32 v7, v13, v20, vcc_lo
	v_add_nc_u32_e32 v13, v18, v19
	v_and_b32_e32 v20, 1, v39
	v_add_nc_u32_e32 v21, v3, v15
	v_lshlrev_b32_e32 v8, 2, v8
	v_lshlrev_b32_e32 v7, 2, v7
	v_sub_nc_u32_e32 v13, v29, v13
	v_cmp_eq_u32_e32 vcc_lo, 1, v20
	v_and_b32_e32 v20, 1, v34
	v_add_nc_u32_e32 v13, 11, v13
	v_cndmask_b32_e32 v16, v16, v17, vcc_lo
	v_sub_nc_u32_e32 v17, v29, v21
	v_cmp_eq_u32_e32 vcc_lo, 1, v20
	v_and_b32_e32 v21, 1, v38
	v_add_nc_u32_e32 v17, 12, v17
	v_cndmask_b32_e32 v13, v13, v19, vcc_lo
	v_cmp_eq_u32_e32 vcc_lo, 1, v25
	v_and_b32_e32 v19, 1, v36
	v_cndmask_b32_e32 v15, v17, v15, vcc_lo
	v_cmp_eq_u32_e32 vcc_lo, 1, v22
	v_cndmask_b32_e32 v14, v16, v14, vcc_lo
	v_cmp_eq_u32_e32 vcc_lo, 1, v21
	v_lshlrev_b32_e32 v14, 2, v14
	v_cndmask_b32_e32 v13, v13, v18, vcc_lo
	v_cmp_eq_u32_e32 vcc_lo, 1, v19
	v_lshlrev_b32_e32 v13, 2, v13
	v_cndmask_b32_e32 v3, v15, v3, vcc_lo
	v_lshlrev_b32_e32 v3, 2, v3
	ds_write_b32 v8, v11
	ds_write_b32 v7, v12
	;; [unrolled: 1-line block ×5, first 2 shown]
	v_add_co_u32 v3, s0, v2, v66
	v_add_co_ci_u32_e64 v7, null, 0, 0, s0
	s_add_u32 s0, s34, s42
	v_add_co_u32 v3, vcc_lo, v3, v23
	v_add_co_ci_u32_e64 v7, null, v7, v24, vcc_lo
	s_addc_u32 s1, s35, 0
	v_add_co_u32 v3, vcc_lo, v3, v5
	v_add_co_ci_u32_e64 v9, null, v7, v6, vcc_lo
	v_lshlrev_b64 v[7:8], 2, v[23:24]
	v_sub_co_u32 v3, vcc_lo, s0, v3
	v_sub_co_ci_u32_e64 v11, null, s1, v9, vcc_lo
	v_lshlrev_b64 v[9:10], 2, v[5:6]
	v_add_co_u32 v7, vcc_lo, s38, v7
	v_add_co_ci_u32_e64 v8, null, s39, v8, vcc_lo
	v_cmp_ne_u32_e32 vcc_lo, 1, v27
	v_add_co_u32 v9, s0, s36, v9
	v_add_nc_u32_e32 v12, v1, v2
	v_add_co_ci_u32_e64 v10, null, s37, v10, s0
	s_and_b32 vcc_lo, exec_lo, vcc_lo
	s_mov_b32 s0, -1
	s_waitcnt lgkmcnt(0)
	s_barrier
	buffer_gl0_inv
	s_cbranch_vccz .LBB1569_151
; %bb.148:
	s_and_b32 vcc_lo, exec_lo, s0
	s_cbranch_vccnz .LBB1569_256
.LBB1569_149:
	v_cmp_eq_u32_e32 vcc_lo, 0, v0
	s_and_b32 s0, vcc_lo, s33
	s_and_saveexec_b32 s1, s0
	s_cbranch_execnz .LBB1569_374
.LBB1569_150:
	s_endpgm
.LBB1569_151:
	s_mov_b32 s0, exec_lo
	v_cmpx_ge_u32_e64 v0, v1
	s_xor_b32 s0, exec_lo, s0
	s_cbranch_execz .LBB1569_157
; %bb.152:
	s_mov_b32 s1, exec_lo
	v_cmpx_ge_u32_e64 v0, v12
	s_xor_b32 s1, exec_lo, s1
	s_cbranch_execz .LBB1569_154
; %bb.153:
	v_lshlrev_b32_e32 v13, 2, v0
	ds_read_b32 v15, v13
	v_add_co_u32 v13, vcc_lo, v3, v0
	v_add_co_ci_u32_e64 v14, null, 0, v11, vcc_lo
	v_lshlrev_b64 v[13:14], 2, v[13:14]
	v_sub_co_u32 v13, vcc_lo, s26, v13
	v_sub_co_ci_u32_e64 v14, null, s27, v14, vcc_lo
	s_waitcnt lgkmcnt(0)
	global_store_dword v[13:14], v15, off offset:-4
.LBB1569_154:
	s_andn2_saveexec_b32 s1, s1
	s_cbranch_execz .LBB1569_156
; %bb.155:
	v_lshlrev_b32_e32 v13, 2, v0
	v_readfirstlane_b32 s2, v7
	v_readfirstlane_b32 s3, v8
	ds_read_b32 v14, v13
	s_waitcnt lgkmcnt(0)
	global_store_dword v13, v14, s[2:3]
.LBB1569_156:
	s_or_b32 exec_lo, exec_lo, s1
.LBB1569_157:
	s_andn2_saveexec_b32 s0, s0
	s_cbranch_execz .LBB1569_159
; %bb.158:
	v_lshlrev_b32_e32 v13, 2, v0
	v_readfirstlane_b32 s2, v9
	v_readfirstlane_b32 s3, v10
	ds_read_b32 v14, v13
	s_waitcnt lgkmcnt(0)
	global_store_dword v13, v14, s[2:3]
.LBB1569_159:
	s_or_b32 exec_lo, exec_lo, s0
	v_or_b32_e32 v13, 0x100, v0
	s_mov_b32 s0, exec_lo
	v_cmpx_ge_u32_e64 v13, v1
	s_xor_b32 s0, exec_lo, s0
	s_cbranch_execz .LBB1569_165
; %bb.160:
	s_mov_b32 s1, exec_lo
	v_cmpx_ge_u32_e64 v13, v12
	s_xor_b32 s1, exec_lo, s1
	s_cbranch_execz .LBB1569_162
; %bb.161:
	v_lshlrev_b32_e32 v13, 2, v0
	ds_read_b32 v15, v13 offset:1024
	v_add_co_u32 v13, vcc_lo, v3, v0
	v_add_co_ci_u32_e64 v14, null, 0, v11, vcc_lo
	v_lshlrev_b64 v[13:14], 2, v[13:14]
	v_sub_co_u32 v13, vcc_lo, s26, v13
	v_sub_co_ci_u32_e64 v14, null, s27, v14, vcc_lo
	s_waitcnt lgkmcnt(0)
	global_store_dword v[13:14], v15, off offset:-1028
.LBB1569_162:
	s_andn2_saveexec_b32 s1, s1
	s_cbranch_execz .LBB1569_164
; %bb.163:
	v_lshlrev_b32_e32 v13, 2, v0
	v_readfirstlane_b32 s2, v7
	v_readfirstlane_b32 s3, v8
	ds_read_b32 v14, v13 offset:1024
	s_waitcnt lgkmcnt(0)
	global_store_dword v13, v14, s[2:3] offset:1024
.LBB1569_164:
	s_or_b32 exec_lo, exec_lo, s1
.LBB1569_165:
	s_andn2_saveexec_b32 s0, s0
	s_cbranch_execz .LBB1569_167
; %bb.166:
	v_lshlrev_b32_e32 v13, 2, v0
	v_readfirstlane_b32 s2, v9
	v_readfirstlane_b32 s3, v10
	ds_read_b32 v14, v13 offset:1024
	s_waitcnt lgkmcnt(0)
	global_store_dword v13, v14, s[2:3] offset:1024
.LBB1569_167:
	s_or_b32 exec_lo, exec_lo, s0
	v_or_b32_e32 v13, 0x200, v0
	s_mov_b32 s0, exec_lo
	v_cmpx_ge_u32_e64 v13, v1
	s_xor_b32 s0, exec_lo, s0
	s_cbranch_execz .LBB1569_173
; %bb.168:
	s_mov_b32 s1, exec_lo
	v_cmpx_ge_u32_e64 v13, v12
	s_xor_b32 s1, exec_lo, s1
	s_cbranch_execz .LBB1569_170
; %bb.169:
	v_lshlrev_b32_e32 v15, 2, v0
	v_add_co_u32 v13, vcc_lo, v3, v0
	v_add_co_ci_u32_e64 v14, null, 0, v11, vcc_lo
	ds_read_b32 v15, v15 offset:2048
	v_lshlrev_b64 v[13:14], 2, v[13:14]
	v_sub_co_u32 v13, vcc_lo, s26, v13
	v_sub_co_ci_u32_e64 v14, null, s27, v14, vcc_lo
	v_add_co_u32 v13, vcc_lo, 0xfffff800, v13
	v_add_co_ci_u32_e64 v14, null, -1, v14, vcc_lo
	s_waitcnt lgkmcnt(0)
	global_store_dword v[13:14], v15, off offset:-4
                                        ; implicit-def: $vgpr13
.LBB1569_170:
	s_andn2_saveexec_b32 s1, s1
	s_cbranch_execz .LBB1569_172
; %bb.171:
	v_lshlrev_b32_e32 v14, 2, v0
	v_lshlrev_b32_e32 v13, 2, v13
	v_readfirstlane_b32 s2, v7
	v_readfirstlane_b32 s3, v8
	ds_read_b32 v14, v14 offset:2048
	s_waitcnt lgkmcnt(0)
	global_store_dword v13, v14, s[2:3]
.LBB1569_172:
	s_or_b32 exec_lo, exec_lo, s1
                                        ; implicit-def: $vgpr13
.LBB1569_173:
	s_andn2_saveexec_b32 s0, s0
	s_cbranch_execz .LBB1569_175
; %bb.174:
	v_lshlrev_b32_e32 v14, 2, v0
	v_lshlrev_b32_e32 v13, 2, v13
	v_readfirstlane_b32 s2, v9
	v_readfirstlane_b32 s3, v10
	ds_read_b32 v14, v14 offset:2048
	s_waitcnt lgkmcnt(0)
	global_store_dword v13, v14, s[2:3]
.LBB1569_175:
	s_or_b32 exec_lo, exec_lo, s0
	v_or_b32_e32 v13, 0x300, v0
	s_mov_b32 s0, exec_lo
	v_cmpx_ge_u32_e64 v13, v1
	s_xor_b32 s0, exec_lo, s0
	s_cbranch_execz .LBB1569_181
; %bb.176:
	s_mov_b32 s1, exec_lo
	v_cmpx_ge_u32_e64 v13, v12
	s_xor_b32 s1, exec_lo, s1
	s_cbranch_execz .LBB1569_178
; %bb.177:
	v_lshlrev_b32_e32 v14, 2, v0
	v_add_co_u32 v13, vcc_lo, v3, v13
	ds_read_b32 v15, v14 offset:3072
	v_add_co_ci_u32_e64 v14, null, 0, v11, vcc_lo
	v_lshlrev_b64 v[13:14], 2, v[13:14]
	v_sub_co_u32 v13, vcc_lo, s26, v13
	v_sub_co_ci_u32_e64 v14, null, s27, v14, vcc_lo
	s_waitcnt lgkmcnt(0)
	global_store_dword v[13:14], v15, off offset:-4
                                        ; implicit-def: $vgpr13
.LBB1569_178:
	s_andn2_saveexec_b32 s1, s1
	s_cbranch_execz .LBB1569_180
; %bb.179:
	v_lshlrev_b32_e32 v14, 2, v0
	v_lshlrev_b32_e32 v13, 2, v13
	v_readfirstlane_b32 s2, v7
	v_readfirstlane_b32 s3, v8
	ds_read_b32 v14, v14 offset:3072
	s_waitcnt lgkmcnt(0)
	global_store_dword v13, v14, s[2:3]
.LBB1569_180:
	s_or_b32 exec_lo, exec_lo, s1
                                        ; implicit-def: $vgpr13
.LBB1569_181:
	s_andn2_saveexec_b32 s0, s0
	s_cbranch_execz .LBB1569_183
; %bb.182:
	v_lshlrev_b32_e32 v14, 2, v0
	v_lshlrev_b32_e32 v13, 2, v13
	v_readfirstlane_b32 s2, v9
	v_readfirstlane_b32 s3, v10
	ds_read_b32 v14, v14 offset:3072
	s_waitcnt lgkmcnt(0)
	global_store_dword v13, v14, s[2:3]
.LBB1569_183:
	s_or_b32 exec_lo, exec_lo, s0
	v_or_b32_e32 v13, 0x400, v0
	s_mov_b32 s0, exec_lo
	v_cmpx_ge_u32_e64 v13, v1
	s_xor_b32 s0, exec_lo, s0
	s_cbranch_execz .LBB1569_189
; %bb.184:
	s_mov_b32 s1, exec_lo
	v_cmpx_ge_u32_e64 v13, v12
	s_xor_b32 s1, exec_lo, s1
	s_cbranch_execz .LBB1569_186
; %bb.185:
	v_lshlrev_b32_e32 v14, 2, v0
	v_add_co_u32 v13, vcc_lo, v3, v13
	ds_read_b32 v15, v14 offset:4096
	v_add_co_ci_u32_e64 v14, null, 0, v11, vcc_lo
	v_lshlrev_b64 v[13:14], 2, v[13:14]
	v_sub_co_u32 v13, vcc_lo, s26, v13
	v_sub_co_ci_u32_e64 v14, null, s27, v14, vcc_lo
	s_waitcnt lgkmcnt(0)
	global_store_dword v[13:14], v15, off offset:-4
                                        ; implicit-def: $vgpr13
.LBB1569_186:
	s_andn2_saveexec_b32 s1, s1
	s_cbranch_execz .LBB1569_188
; %bb.187:
	v_lshlrev_b32_e32 v14, 2, v0
	v_lshlrev_b32_e32 v13, 2, v13
	v_readfirstlane_b32 s2, v7
	v_readfirstlane_b32 s3, v8
	ds_read_b32 v14, v14 offset:4096
	s_waitcnt lgkmcnt(0)
	global_store_dword v13, v14, s[2:3]
.LBB1569_188:
	s_or_b32 exec_lo, exec_lo, s1
                                        ; implicit-def: $vgpr13
.LBB1569_189:
	;; [unrolled: 48-line block ×10, first 2 shown]
	s_andn2_saveexec_b32 s0, s0
	s_cbranch_execz .LBB1569_255
; %bb.254:
	v_lshlrev_b32_e32 v14, 2, v0
	v_lshlrev_b32_e32 v13, 2, v13
	v_readfirstlane_b32 s2, v9
	v_readfirstlane_b32 s3, v10
	ds_read_b32 v14, v14 offset:12288
	s_waitcnt lgkmcnt(0)
	global_store_dword v13, v14, s[2:3]
.LBB1569_255:
	s_or_b32 exec_lo, exec_lo, s0
	s_branch .LBB1569_149
.LBB1569_256:
	s_mov_b32 s0, exec_lo
	v_cmpx_gt_u32_e64 s7, v0
	s_cbranch_execz .LBB1569_265
; %bb.257:
	s_mov_b32 s1, exec_lo
	v_cmpx_ge_u32_e64 v0, v1
	s_xor_b32 s1, exec_lo, s1
	s_cbranch_execz .LBB1569_263
; %bb.258:
	s_mov_b32 s2, exec_lo
	v_cmpx_ge_u32_e64 v0, v12
	s_xor_b32 s2, exec_lo, s2
	s_cbranch_execz .LBB1569_260
; %bb.259:
	v_lshlrev_b32_e32 v13, 2, v0
	ds_read_b32 v15, v13
	v_add_co_u32 v13, vcc_lo, v3, v0
	v_add_co_ci_u32_e64 v14, null, 0, v11, vcc_lo
	v_lshlrev_b64 v[13:14], 2, v[13:14]
	v_sub_co_u32 v13, vcc_lo, s26, v13
	v_sub_co_ci_u32_e64 v14, null, s27, v14, vcc_lo
	s_waitcnt lgkmcnt(0)
	global_store_dword v[13:14], v15, off offset:-4
.LBB1569_260:
	s_andn2_saveexec_b32 s2, s2
	s_cbranch_execz .LBB1569_262
; %bb.261:
	v_lshlrev_b32_e32 v13, 2, v0
	v_readfirstlane_b32 s4, v7
	v_readfirstlane_b32 s5, v8
	ds_read_b32 v14, v13
	s_waitcnt lgkmcnt(0)
	global_store_dword v13, v14, s[4:5]
.LBB1569_262:
	s_or_b32 exec_lo, exec_lo, s2
.LBB1569_263:
	s_andn2_saveexec_b32 s1, s1
	s_cbranch_execz .LBB1569_265
; %bb.264:
	v_lshlrev_b32_e32 v13, 2, v0
	v_readfirstlane_b32 s2, v9
	v_readfirstlane_b32 s3, v10
	ds_read_b32 v14, v13
	s_waitcnt lgkmcnt(0)
	global_store_dword v13, v14, s[2:3]
.LBB1569_265:
	s_or_b32 exec_lo, exec_lo, s0
	v_or_b32_e32 v13, 0x100, v0
	s_mov_b32 s0, exec_lo
	v_cmpx_gt_u32_e64 s7, v13
	s_cbranch_execz .LBB1569_274
; %bb.266:
	s_mov_b32 s1, exec_lo
	v_cmpx_ge_u32_e64 v13, v1
	s_xor_b32 s1, exec_lo, s1
	s_cbranch_execz .LBB1569_272
; %bb.267:
	s_mov_b32 s2, exec_lo
	v_cmpx_ge_u32_e64 v13, v12
	s_xor_b32 s2, exec_lo, s2
	s_cbranch_execz .LBB1569_269
; %bb.268:
	v_lshlrev_b32_e32 v13, 2, v0
	ds_read_b32 v15, v13 offset:1024
	v_add_co_u32 v13, vcc_lo, v3, v0
	v_add_co_ci_u32_e64 v14, null, 0, v11, vcc_lo
	v_lshlrev_b64 v[13:14], 2, v[13:14]
	v_sub_co_u32 v13, vcc_lo, s26, v13
	v_sub_co_ci_u32_e64 v14, null, s27, v14, vcc_lo
	s_waitcnt lgkmcnt(0)
	global_store_dword v[13:14], v15, off offset:-1028
.LBB1569_269:
	s_andn2_saveexec_b32 s2, s2
	s_cbranch_execz .LBB1569_271
; %bb.270:
	v_lshlrev_b32_e32 v13, 2, v0
	v_readfirstlane_b32 s4, v7
	v_readfirstlane_b32 s5, v8
	ds_read_b32 v14, v13 offset:1024
	s_waitcnt lgkmcnt(0)
	global_store_dword v13, v14, s[4:5] offset:1024
.LBB1569_271:
	s_or_b32 exec_lo, exec_lo, s2
.LBB1569_272:
	s_andn2_saveexec_b32 s1, s1
	s_cbranch_execz .LBB1569_274
; %bb.273:
	v_lshlrev_b32_e32 v13, 2, v0
	v_readfirstlane_b32 s2, v9
	v_readfirstlane_b32 s3, v10
	ds_read_b32 v14, v13 offset:1024
	s_waitcnt lgkmcnt(0)
	global_store_dword v13, v14, s[2:3] offset:1024
.LBB1569_274:
	s_or_b32 exec_lo, exec_lo, s0
	v_or_b32_e32 v13, 0x200, v0
	s_mov_b32 s0, exec_lo
	v_cmpx_gt_u32_e64 s7, v13
	s_cbranch_execz .LBB1569_283
; %bb.275:
	s_mov_b32 s1, exec_lo
	v_cmpx_ge_u32_e64 v13, v1
	s_xor_b32 s1, exec_lo, s1
	s_cbranch_execz .LBB1569_281
; %bb.276:
	s_mov_b32 s2, exec_lo
	v_cmpx_ge_u32_e64 v13, v12
	s_xor_b32 s2, exec_lo, s2
	s_cbranch_execz .LBB1569_278
; %bb.277:
	v_lshlrev_b32_e32 v15, 2, v0
	v_add_co_u32 v13, vcc_lo, v3, v0
	v_add_co_ci_u32_e64 v14, null, 0, v11, vcc_lo
	ds_read_b32 v15, v15 offset:2048
	v_lshlrev_b64 v[13:14], 2, v[13:14]
	v_sub_co_u32 v13, vcc_lo, s26, v13
	v_sub_co_ci_u32_e64 v14, null, s27, v14, vcc_lo
	v_add_co_u32 v13, vcc_lo, 0xfffff800, v13
	v_add_co_ci_u32_e64 v14, null, -1, v14, vcc_lo
	s_waitcnt lgkmcnt(0)
	global_store_dword v[13:14], v15, off offset:-4
                                        ; implicit-def: $vgpr13
.LBB1569_278:
	s_andn2_saveexec_b32 s2, s2
	s_cbranch_execz .LBB1569_280
; %bb.279:
	v_lshlrev_b32_e32 v14, 2, v0
	v_lshlrev_b32_e32 v13, 2, v13
	v_readfirstlane_b32 s4, v7
	v_readfirstlane_b32 s5, v8
	ds_read_b32 v14, v14 offset:2048
	s_waitcnt lgkmcnt(0)
	global_store_dword v13, v14, s[4:5]
.LBB1569_280:
	s_or_b32 exec_lo, exec_lo, s2
                                        ; implicit-def: $vgpr13
.LBB1569_281:
	s_andn2_saveexec_b32 s1, s1
	s_cbranch_execz .LBB1569_283
; %bb.282:
	v_lshlrev_b32_e32 v14, 2, v0
	v_lshlrev_b32_e32 v13, 2, v13
	v_readfirstlane_b32 s2, v9
	v_readfirstlane_b32 s3, v10
	ds_read_b32 v14, v14 offset:2048
	s_waitcnt lgkmcnt(0)
	global_store_dword v13, v14, s[2:3]
.LBB1569_283:
	s_or_b32 exec_lo, exec_lo, s0
	v_or_b32_e32 v13, 0x300, v0
	s_mov_b32 s0, exec_lo
	v_cmpx_gt_u32_e64 s7, v13
	s_cbranch_execz .LBB1569_292
; %bb.284:
	s_mov_b32 s1, exec_lo
	v_cmpx_ge_u32_e64 v13, v1
	s_xor_b32 s1, exec_lo, s1
	s_cbranch_execz .LBB1569_290
; %bb.285:
	s_mov_b32 s2, exec_lo
	v_cmpx_ge_u32_e64 v13, v12
	s_xor_b32 s2, exec_lo, s2
	s_cbranch_execz .LBB1569_287
; %bb.286:
	v_lshlrev_b32_e32 v14, 2, v0
	v_add_co_u32 v13, vcc_lo, v3, v13
	ds_read_b32 v15, v14 offset:3072
	v_add_co_ci_u32_e64 v14, null, 0, v11, vcc_lo
	v_lshlrev_b64 v[13:14], 2, v[13:14]
	v_sub_co_u32 v13, vcc_lo, s26, v13
	v_sub_co_ci_u32_e64 v14, null, s27, v14, vcc_lo
	s_waitcnt lgkmcnt(0)
	global_store_dword v[13:14], v15, off offset:-4
                                        ; implicit-def: $vgpr13
.LBB1569_287:
	s_andn2_saveexec_b32 s2, s2
	s_cbranch_execz .LBB1569_289
; %bb.288:
	v_lshlrev_b32_e32 v14, 2, v0
	v_lshlrev_b32_e32 v13, 2, v13
	v_readfirstlane_b32 s4, v7
	v_readfirstlane_b32 s5, v8
	ds_read_b32 v14, v14 offset:3072
	s_waitcnt lgkmcnt(0)
	global_store_dword v13, v14, s[4:5]
.LBB1569_289:
	s_or_b32 exec_lo, exec_lo, s2
                                        ; implicit-def: $vgpr13
.LBB1569_290:
	s_andn2_saveexec_b32 s1, s1
	s_cbranch_execz .LBB1569_292
; %bb.291:
	v_lshlrev_b32_e32 v14, 2, v0
	v_lshlrev_b32_e32 v13, 2, v13
	v_readfirstlane_b32 s2, v9
	v_readfirstlane_b32 s3, v10
	ds_read_b32 v14, v14 offset:3072
	s_waitcnt lgkmcnt(0)
	global_store_dword v13, v14, s[2:3]
.LBB1569_292:
	s_or_b32 exec_lo, exec_lo, s0
	v_or_b32_e32 v13, 0x400, v0
	s_mov_b32 s0, exec_lo
	v_cmpx_gt_u32_e64 s7, v13
	s_cbranch_execz .LBB1569_301
; %bb.293:
	s_mov_b32 s1, exec_lo
	v_cmpx_ge_u32_e64 v13, v1
	s_xor_b32 s1, exec_lo, s1
	s_cbranch_execz .LBB1569_299
; %bb.294:
	s_mov_b32 s2, exec_lo
	v_cmpx_ge_u32_e64 v13, v12
	s_xor_b32 s2, exec_lo, s2
	s_cbranch_execz .LBB1569_296
; %bb.295:
	v_lshlrev_b32_e32 v14, 2, v0
	v_add_co_u32 v13, vcc_lo, v3, v13
	ds_read_b32 v15, v14 offset:4096
	v_add_co_ci_u32_e64 v14, null, 0, v11, vcc_lo
	v_lshlrev_b64 v[13:14], 2, v[13:14]
	v_sub_co_u32 v13, vcc_lo, s26, v13
	v_sub_co_ci_u32_e64 v14, null, s27, v14, vcc_lo
	s_waitcnt lgkmcnt(0)
	global_store_dword v[13:14], v15, off offset:-4
                                        ; implicit-def: $vgpr13
.LBB1569_296:
	s_andn2_saveexec_b32 s2, s2
	s_cbranch_execz .LBB1569_298
; %bb.297:
	v_lshlrev_b32_e32 v14, 2, v0
	v_lshlrev_b32_e32 v13, 2, v13
	v_readfirstlane_b32 s4, v7
	v_readfirstlane_b32 s5, v8
	ds_read_b32 v14, v14 offset:4096
	s_waitcnt lgkmcnt(0)
	global_store_dword v13, v14, s[4:5]
.LBB1569_298:
	s_or_b32 exec_lo, exec_lo, s2
                                        ; implicit-def: $vgpr13
.LBB1569_299:
	s_andn2_saveexec_b32 s1, s1
	s_cbranch_execz .LBB1569_301
; %bb.300:
	v_lshlrev_b32_e32 v14, 2, v0
	v_lshlrev_b32_e32 v13, 2, v13
	v_readfirstlane_b32 s2, v9
	v_readfirstlane_b32 s3, v10
	ds_read_b32 v14, v14 offset:4096
	s_waitcnt lgkmcnt(0)
	global_store_dword v13, v14, s[2:3]
.LBB1569_301:
	;; [unrolled: 52-line block ×9, first 2 shown]
	s_or_b32 exec_lo, exec_lo, s0
	v_or_b32_e32 v13, 0xc00, v0
	s_mov_b32 s0, exec_lo
	v_cmpx_gt_u32_e64 s7, v13
	s_cbranch_execz .LBB1569_373
; %bb.365:
	s_mov_b32 s1, exec_lo
	v_cmpx_ge_u32_e64 v13, v1
	s_xor_b32 s1, exec_lo, s1
	s_cbranch_execz .LBB1569_371
; %bb.366:
	s_mov_b32 s2, exec_lo
	v_cmpx_ge_u32_e64 v13, v12
	s_xor_b32 s2, exec_lo, s2
	s_cbranch_execz .LBB1569_368
; %bb.367:
	v_lshlrev_b32_e32 v7, 2, v0
	ds_read_b32 v9, v7 offset:12288
	v_add_co_u32 v7, vcc_lo, v3, v13
	v_add_co_ci_u32_e64 v8, null, 0, v11, vcc_lo
                                        ; implicit-def: $vgpr13
	v_lshlrev_b64 v[7:8], 2, v[7:8]
	v_sub_co_u32 v7, vcc_lo, s26, v7
	v_sub_co_ci_u32_e64 v8, null, s27, v8, vcc_lo
	s_waitcnt lgkmcnt(0)
	global_store_dword v[7:8], v9, off offset:-4
                                        ; implicit-def: $vgpr7_vgpr8
.LBB1569_368:
	s_andn2_saveexec_b32 s2, s2
	s_cbranch_execz .LBB1569_370
; %bb.369:
	v_lshlrev_b32_e32 v3, 2, v0
	v_lshlrev_b32_e32 v9, 2, v13
	v_readfirstlane_b32 s4, v7
	v_readfirstlane_b32 s5, v8
	ds_read_b32 v3, v3 offset:12288
	s_waitcnt lgkmcnt(0)
	global_store_dword v9, v3, s[4:5]
.LBB1569_370:
	s_or_b32 exec_lo, exec_lo, s2
                                        ; implicit-def: $vgpr13
                                        ; implicit-def: $vgpr9_vgpr10
.LBB1569_371:
	s_andn2_saveexec_b32 s1, s1
	s_cbranch_execz .LBB1569_373
; %bb.372:
	v_lshlrev_b32_e32 v3, 2, v0
	v_lshlrev_b32_e32 v7, 2, v13
	v_readfirstlane_b32 s2, v9
	v_readfirstlane_b32 s3, v10
	ds_read_b32 v3, v3 offset:12288
	s_waitcnt lgkmcnt(0)
	global_store_dword v7, v3, s[2:3]
.LBB1569_373:
	s_or_b32 exec_lo, exec_lo, s0
	v_cmp_eq_u32_e32 vcc_lo, 0, v0
	s_and_b32 s0, vcc_lo, s33
	s_and_saveexec_b32 s1, s0
	s_cbranch_execz .LBB1569_150
.LBB1569_374:
	v_add_co_u32 v0, s0, s30, v2
	v_add_co_ci_u32_e64 v3, null, s31, 0, s0
	v_mov_b32_e32 v7, 0
	v_add_co_u32 v2, vcc_lo, v0, v4
	v_add_co_ci_u32_e64 v3, null, 0, v3, vcc_lo
	v_add_co_u32 v0, vcc_lo, v5, v1
	v_add_co_ci_u32_e64 v1, null, 0, v6, vcc_lo
	global_store_dwordx4 v7, v[0:3], s[24:25]
	s_endpgm
.LBB1569_375:
	s_add_i32 s10, s6, 32
	s_mov_b32 s11, 0
	v_add_nc_u32_e32 v6, v4, v2
	s_lshl_b64 s[10:11], s[10:11], 4
	v_add_nc_u32_e32 v5, v3, v1
	s_add_u32 s10, s4, s10
	s_addc_u32 s11, s5, s11
	v_mov_b32_e32 v7, 2
	v_mov_b32_e32 v24, s11
	;; [unrolled: 1-line block ×4, first 2 shown]
	;;#ASMSTART
	global_store_dwordx4 v[23:24], v[5:8] off	
s_waitcnt vmcnt(0)
	;;#ASMEND
	s_or_b32 exec_lo, exec_lo, s8
	s_and_saveexec_b32 s6, s2
	s_cbranch_execz .LBB1569_135
.LBB1569_376:
	v_mov_b32_e32 v5, 0
	ds_write_b128 v5, v[1:4] offset:13312
	s_or_b32 exec_lo, exec_lo, s6
	v_cmp_eq_u32_e32 vcc_lo, 0, v0
	s_and_b32 exec_lo, exec_lo, vcc_lo
	s_cbranch_execnz .LBB1569_136
	s_branch .LBB1569_137
	.section	.rodata,"a",@progbits
	.p2align	6, 0x0
	.amdhsa_kernel _ZN7rocprim17ROCPRIM_400000_NS6detail17trampoline_kernelINS0_13select_configILj256ELj13ELNS0_17block_load_methodE3ELS4_3ELS4_3ELNS0_20block_scan_algorithmE0ELj4294967295EEENS1_25partition_config_selectorILNS1_17partition_subalgoE4EjNS0_10empty_typeEbEEZZNS1_14partition_implILS8_4ELb0ES6_15HIP_vector_typeIjLj2EENS0_17counting_iteratorIjlEEPS9_SG_NS0_5tupleIJPjSI_NS0_16reverse_iteratorISI_EEEEENSH_IJSG_SG_SG_EEES9_SI_JZNS1_25segmented_radix_sort_implINS0_14default_configELb0EPKbPbPKlPlN2at6native12_GLOBAL__N_18offset_tEEE10hipError_tPvRmT1_PNSt15iterator_traitsIS12_E10value_typeET2_T3_PNS13_IS18_E10value_typeET4_jRbjT5_S1E_jjP12ihipStream_tbEUljE_ZNSN_ISO_Lb0ESQ_SR_ST_SU_SY_EESZ_S10_S11_S12_S16_S17_S18_S1B_S1C_jS1D_jS1E_S1E_jjS1G_bEUljE0_EEESZ_S10_S11_S18_S1C_S1E_T6_T7_T9_mT8_S1G_bDpT10_ENKUlT_T0_E_clISt17integral_constantIbLb0EES1U_EEDaS1P_S1Q_EUlS1P_E_NS1_11comp_targetILNS1_3genE8ELNS1_11target_archE1030ELNS1_3gpuE2ELNS1_3repE0EEENS1_30default_config_static_selectorELNS0_4arch9wavefront6targetE0EEEvS12_
		.amdhsa_group_segment_fixed_size 13328
		.amdhsa_private_segment_fixed_size 0
		.amdhsa_kernarg_size 176
		.amdhsa_user_sgpr_count 6
		.amdhsa_user_sgpr_private_segment_buffer 1
		.amdhsa_user_sgpr_dispatch_ptr 0
		.amdhsa_user_sgpr_queue_ptr 0
		.amdhsa_user_sgpr_kernarg_segment_ptr 1
		.amdhsa_user_sgpr_dispatch_id 0
		.amdhsa_user_sgpr_flat_scratch_init 0
		.amdhsa_user_sgpr_private_segment_size 0
		.amdhsa_wavefront_size32 1
		.amdhsa_uses_dynamic_stack 0
		.amdhsa_system_sgpr_private_segment_wavefront_offset 0
		.amdhsa_system_sgpr_workgroup_id_x 1
		.amdhsa_system_sgpr_workgroup_id_y 0
		.amdhsa_system_sgpr_workgroup_id_z 0
		.amdhsa_system_sgpr_workgroup_info 0
		.amdhsa_system_vgpr_workitem_id 0
		.amdhsa_next_free_vgpr 82
		.amdhsa_next_free_sgpr 59
		.amdhsa_reserve_vcc 1
		.amdhsa_reserve_flat_scratch 0
		.amdhsa_float_round_mode_32 0
		.amdhsa_float_round_mode_16_64 0
		.amdhsa_float_denorm_mode_32 3
		.amdhsa_float_denorm_mode_16_64 3
		.amdhsa_dx10_clamp 1
		.amdhsa_ieee_mode 1
		.amdhsa_fp16_overflow 0
		.amdhsa_workgroup_processor_mode 1
		.amdhsa_memory_ordered 1
		.amdhsa_forward_progress 1
		.amdhsa_shared_vgpr_count 0
		.amdhsa_exception_fp_ieee_invalid_op 0
		.amdhsa_exception_fp_denorm_src 0
		.amdhsa_exception_fp_ieee_div_zero 0
		.amdhsa_exception_fp_ieee_overflow 0
		.amdhsa_exception_fp_ieee_underflow 0
		.amdhsa_exception_fp_ieee_inexact 0
		.amdhsa_exception_int_div_zero 0
	.end_amdhsa_kernel
	.section	.text._ZN7rocprim17ROCPRIM_400000_NS6detail17trampoline_kernelINS0_13select_configILj256ELj13ELNS0_17block_load_methodE3ELS4_3ELS4_3ELNS0_20block_scan_algorithmE0ELj4294967295EEENS1_25partition_config_selectorILNS1_17partition_subalgoE4EjNS0_10empty_typeEbEEZZNS1_14partition_implILS8_4ELb0ES6_15HIP_vector_typeIjLj2EENS0_17counting_iteratorIjlEEPS9_SG_NS0_5tupleIJPjSI_NS0_16reverse_iteratorISI_EEEEENSH_IJSG_SG_SG_EEES9_SI_JZNS1_25segmented_radix_sort_implINS0_14default_configELb0EPKbPbPKlPlN2at6native12_GLOBAL__N_18offset_tEEE10hipError_tPvRmT1_PNSt15iterator_traitsIS12_E10value_typeET2_T3_PNS13_IS18_E10value_typeET4_jRbjT5_S1E_jjP12ihipStream_tbEUljE_ZNSN_ISO_Lb0ESQ_SR_ST_SU_SY_EESZ_S10_S11_S12_S16_S17_S18_S1B_S1C_jS1D_jS1E_S1E_jjS1G_bEUljE0_EEESZ_S10_S11_S18_S1C_S1E_T6_T7_T9_mT8_S1G_bDpT10_ENKUlT_T0_E_clISt17integral_constantIbLb0EES1U_EEDaS1P_S1Q_EUlS1P_E_NS1_11comp_targetILNS1_3genE8ELNS1_11target_archE1030ELNS1_3gpuE2ELNS1_3repE0EEENS1_30default_config_static_selectorELNS0_4arch9wavefront6targetE0EEEvS12_,"axG",@progbits,_ZN7rocprim17ROCPRIM_400000_NS6detail17trampoline_kernelINS0_13select_configILj256ELj13ELNS0_17block_load_methodE3ELS4_3ELS4_3ELNS0_20block_scan_algorithmE0ELj4294967295EEENS1_25partition_config_selectorILNS1_17partition_subalgoE4EjNS0_10empty_typeEbEEZZNS1_14partition_implILS8_4ELb0ES6_15HIP_vector_typeIjLj2EENS0_17counting_iteratorIjlEEPS9_SG_NS0_5tupleIJPjSI_NS0_16reverse_iteratorISI_EEEEENSH_IJSG_SG_SG_EEES9_SI_JZNS1_25segmented_radix_sort_implINS0_14default_configELb0EPKbPbPKlPlN2at6native12_GLOBAL__N_18offset_tEEE10hipError_tPvRmT1_PNSt15iterator_traitsIS12_E10value_typeET2_T3_PNS13_IS18_E10value_typeET4_jRbjT5_S1E_jjP12ihipStream_tbEUljE_ZNSN_ISO_Lb0ESQ_SR_ST_SU_SY_EESZ_S10_S11_S12_S16_S17_S18_S1B_S1C_jS1D_jS1E_S1E_jjS1G_bEUljE0_EEESZ_S10_S11_S18_S1C_S1E_T6_T7_T9_mT8_S1G_bDpT10_ENKUlT_T0_E_clISt17integral_constantIbLb0EES1U_EEDaS1P_S1Q_EUlS1P_E_NS1_11comp_targetILNS1_3genE8ELNS1_11target_archE1030ELNS1_3gpuE2ELNS1_3repE0EEENS1_30default_config_static_selectorELNS0_4arch9wavefront6targetE0EEEvS12_,comdat
.Lfunc_end1569:
	.size	_ZN7rocprim17ROCPRIM_400000_NS6detail17trampoline_kernelINS0_13select_configILj256ELj13ELNS0_17block_load_methodE3ELS4_3ELS4_3ELNS0_20block_scan_algorithmE0ELj4294967295EEENS1_25partition_config_selectorILNS1_17partition_subalgoE4EjNS0_10empty_typeEbEEZZNS1_14partition_implILS8_4ELb0ES6_15HIP_vector_typeIjLj2EENS0_17counting_iteratorIjlEEPS9_SG_NS0_5tupleIJPjSI_NS0_16reverse_iteratorISI_EEEEENSH_IJSG_SG_SG_EEES9_SI_JZNS1_25segmented_radix_sort_implINS0_14default_configELb0EPKbPbPKlPlN2at6native12_GLOBAL__N_18offset_tEEE10hipError_tPvRmT1_PNSt15iterator_traitsIS12_E10value_typeET2_T3_PNS13_IS18_E10value_typeET4_jRbjT5_S1E_jjP12ihipStream_tbEUljE_ZNSN_ISO_Lb0ESQ_SR_ST_SU_SY_EESZ_S10_S11_S12_S16_S17_S18_S1B_S1C_jS1D_jS1E_S1E_jjS1G_bEUljE0_EEESZ_S10_S11_S18_S1C_S1E_T6_T7_T9_mT8_S1G_bDpT10_ENKUlT_T0_E_clISt17integral_constantIbLb0EES1U_EEDaS1P_S1Q_EUlS1P_E_NS1_11comp_targetILNS1_3genE8ELNS1_11target_archE1030ELNS1_3gpuE2ELNS1_3repE0EEENS1_30default_config_static_selectorELNS0_4arch9wavefront6targetE0EEEvS12_, .Lfunc_end1569-_ZN7rocprim17ROCPRIM_400000_NS6detail17trampoline_kernelINS0_13select_configILj256ELj13ELNS0_17block_load_methodE3ELS4_3ELS4_3ELNS0_20block_scan_algorithmE0ELj4294967295EEENS1_25partition_config_selectorILNS1_17partition_subalgoE4EjNS0_10empty_typeEbEEZZNS1_14partition_implILS8_4ELb0ES6_15HIP_vector_typeIjLj2EENS0_17counting_iteratorIjlEEPS9_SG_NS0_5tupleIJPjSI_NS0_16reverse_iteratorISI_EEEEENSH_IJSG_SG_SG_EEES9_SI_JZNS1_25segmented_radix_sort_implINS0_14default_configELb0EPKbPbPKlPlN2at6native12_GLOBAL__N_18offset_tEEE10hipError_tPvRmT1_PNSt15iterator_traitsIS12_E10value_typeET2_T3_PNS13_IS18_E10value_typeET4_jRbjT5_S1E_jjP12ihipStream_tbEUljE_ZNSN_ISO_Lb0ESQ_SR_ST_SU_SY_EESZ_S10_S11_S12_S16_S17_S18_S1B_S1C_jS1D_jS1E_S1E_jjS1G_bEUljE0_EEESZ_S10_S11_S18_S1C_S1E_T6_T7_T9_mT8_S1G_bDpT10_ENKUlT_T0_E_clISt17integral_constantIbLb0EES1U_EEDaS1P_S1Q_EUlS1P_E_NS1_11comp_targetILNS1_3genE8ELNS1_11target_archE1030ELNS1_3gpuE2ELNS1_3repE0EEENS1_30default_config_static_selectorELNS0_4arch9wavefront6targetE0EEEvS12_
                                        ; -- End function
	.set _ZN7rocprim17ROCPRIM_400000_NS6detail17trampoline_kernelINS0_13select_configILj256ELj13ELNS0_17block_load_methodE3ELS4_3ELS4_3ELNS0_20block_scan_algorithmE0ELj4294967295EEENS1_25partition_config_selectorILNS1_17partition_subalgoE4EjNS0_10empty_typeEbEEZZNS1_14partition_implILS8_4ELb0ES6_15HIP_vector_typeIjLj2EENS0_17counting_iteratorIjlEEPS9_SG_NS0_5tupleIJPjSI_NS0_16reverse_iteratorISI_EEEEENSH_IJSG_SG_SG_EEES9_SI_JZNS1_25segmented_radix_sort_implINS0_14default_configELb0EPKbPbPKlPlN2at6native12_GLOBAL__N_18offset_tEEE10hipError_tPvRmT1_PNSt15iterator_traitsIS12_E10value_typeET2_T3_PNS13_IS18_E10value_typeET4_jRbjT5_S1E_jjP12ihipStream_tbEUljE_ZNSN_ISO_Lb0ESQ_SR_ST_SU_SY_EESZ_S10_S11_S12_S16_S17_S18_S1B_S1C_jS1D_jS1E_S1E_jjS1G_bEUljE0_EEESZ_S10_S11_S18_S1C_S1E_T6_T7_T9_mT8_S1G_bDpT10_ENKUlT_T0_E_clISt17integral_constantIbLb0EES1U_EEDaS1P_S1Q_EUlS1P_E_NS1_11comp_targetILNS1_3genE8ELNS1_11target_archE1030ELNS1_3gpuE2ELNS1_3repE0EEENS1_30default_config_static_selectorELNS0_4arch9wavefront6targetE0EEEvS12_.num_vgpr, 82
	.set _ZN7rocprim17ROCPRIM_400000_NS6detail17trampoline_kernelINS0_13select_configILj256ELj13ELNS0_17block_load_methodE3ELS4_3ELS4_3ELNS0_20block_scan_algorithmE0ELj4294967295EEENS1_25partition_config_selectorILNS1_17partition_subalgoE4EjNS0_10empty_typeEbEEZZNS1_14partition_implILS8_4ELb0ES6_15HIP_vector_typeIjLj2EENS0_17counting_iteratorIjlEEPS9_SG_NS0_5tupleIJPjSI_NS0_16reverse_iteratorISI_EEEEENSH_IJSG_SG_SG_EEES9_SI_JZNS1_25segmented_radix_sort_implINS0_14default_configELb0EPKbPbPKlPlN2at6native12_GLOBAL__N_18offset_tEEE10hipError_tPvRmT1_PNSt15iterator_traitsIS12_E10value_typeET2_T3_PNS13_IS18_E10value_typeET4_jRbjT5_S1E_jjP12ihipStream_tbEUljE_ZNSN_ISO_Lb0ESQ_SR_ST_SU_SY_EESZ_S10_S11_S12_S16_S17_S18_S1B_S1C_jS1D_jS1E_S1E_jjS1G_bEUljE0_EEESZ_S10_S11_S18_S1C_S1E_T6_T7_T9_mT8_S1G_bDpT10_ENKUlT_T0_E_clISt17integral_constantIbLb0EES1U_EEDaS1P_S1Q_EUlS1P_E_NS1_11comp_targetILNS1_3genE8ELNS1_11target_archE1030ELNS1_3gpuE2ELNS1_3repE0EEENS1_30default_config_static_selectorELNS0_4arch9wavefront6targetE0EEEvS12_.num_agpr, 0
	.set _ZN7rocprim17ROCPRIM_400000_NS6detail17trampoline_kernelINS0_13select_configILj256ELj13ELNS0_17block_load_methodE3ELS4_3ELS4_3ELNS0_20block_scan_algorithmE0ELj4294967295EEENS1_25partition_config_selectorILNS1_17partition_subalgoE4EjNS0_10empty_typeEbEEZZNS1_14partition_implILS8_4ELb0ES6_15HIP_vector_typeIjLj2EENS0_17counting_iteratorIjlEEPS9_SG_NS0_5tupleIJPjSI_NS0_16reverse_iteratorISI_EEEEENSH_IJSG_SG_SG_EEES9_SI_JZNS1_25segmented_radix_sort_implINS0_14default_configELb0EPKbPbPKlPlN2at6native12_GLOBAL__N_18offset_tEEE10hipError_tPvRmT1_PNSt15iterator_traitsIS12_E10value_typeET2_T3_PNS13_IS18_E10value_typeET4_jRbjT5_S1E_jjP12ihipStream_tbEUljE_ZNSN_ISO_Lb0ESQ_SR_ST_SU_SY_EESZ_S10_S11_S12_S16_S17_S18_S1B_S1C_jS1D_jS1E_S1E_jjS1G_bEUljE0_EEESZ_S10_S11_S18_S1C_S1E_T6_T7_T9_mT8_S1G_bDpT10_ENKUlT_T0_E_clISt17integral_constantIbLb0EES1U_EEDaS1P_S1Q_EUlS1P_E_NS1_11comp_targetILNS1_3genE8ELNS1_11target_archE1030ELNS1_3gpuE2ELNS1_3repE0EEENS1_30default_config_static_selectorELNS0_4arch9wavefront6targetE0EEEvS12_.numbered_sgpr, 59
	.set _ZN7rocprim17ROCPRIM_400000_NS6detail17trampoline_kernelINS0_13select_configILj256ELj13ELNS0_17block_load_methodE3ELS4_3ELS4_3ELNS0_20block_scan_algorithmE0ELj4294967295EEENS1_25partition_config_selectorILNS1_17partition_subalgoE4EjNS0_10empty_typeEbEEZZNS1_14partition_implILS8_4ELb0ES6_15HIP_vector_typeIjLj2EENS0_17counting_iteratorIjlEEPS9_SG_NS0_5tupleIJPjSI_NS0_16reverse_iteratorISI_EEEEENSH_IJSG_SG_SG_EEES9_SI_JZNS1_25segmented_radix_sort_implINS0_14default_configELb0EPKbPbPKlPlN2at6native12_GLOBAL__N_18offset_tEEE10hipError_tPvRmT1_PNSt15iterator_traitsIS12_E10value_typeET2_T3_PNS13_IS18_E10value_typeET4_jRbjT5_S1E_jjP12ihipStream_tbEUljE_ZNSN_ISO_Lb0ESQ_SR_ST_SU_SY_EESZ_S10_S11_S12_S16_S17_S18_S1B_S1C_jS1D_jS1E_S1E_jjS1G_bEUljE0_EEESZ_S10_S11_S18_S1C_S1E_T6_T7_T9_mT8_S1G_bDpT10_ENKUlT_T0_E_clISt17integral_constantIbLb0EES1U_EEDaS1P_S1Q_EUlS1P_E_NS1_11comp_targetILNS1_3genE8ELNS1_11target_archE1030ELNS1_3gpuE2ELNS1_3repE0EEENS1_30default_config_static_selectorELNS0_4arch9wavefront6targetE0EEEvS12_.num_named_barrier, 0
	.set _ZN7rocprim17ROCPRIM_400000_NS6detail17trampoline_kernelINS0_13select_configILj256ELj13ELNS0_17block_load_methodE3ELS4_3ELS4_3ELNS0_20block_scan_algorithmE0ELj4294967295EEENS1_25partition_config_selectorILNS1_17partition_subalgoE4EjNS0_10empty_typeEbEEZZNS1_14partition_implILS8_4ELb0ES6_15HIP_vector_typeIjLj2EENS0_17counting_iteratorIjlEEPS9_SG_NS0_5tupleIJPjSI_NS0_16reverse_iteratorISI_EEEEENSH_IJSG_SG_SG_EEES9_SI_JZNS1_25segmented_radix_sort_implINS0_14default_configELb0EPKbPbPKlPlN2at6native12_GLOBAL__N_18offset_tEEE10hipError_tPvRmT1_PNSt15iterator_traitsIS12_E10value_typeET2_T3_PNS13_IS18_E10value_typeET4_jRbjT5_S1E_jjP12ihipStream_tbEUljE_ZNSN_ISO_Lb0ESQ_SR_ST_SU_SY_EESZ_S10_S11_S12_S16_S17_S18_S1B_S1C_jS1D_jS1E_S1E_jjS1G_bEUljE0_EEESZ_S10_S11_S18_S1C_S1E_T6_T7_T9_mT8_S1G_bDpT10_ENKUlT_T0_E_clISt17integral_constantIbLb0EES1U_EEDaS1P_S1Q_EUlS1P_E_NS1_11comp_targetILNS1_3genE8ELNS1_11target_archE1030ELNS1_3gpuE2ELNS1_3repE0EEENS1_30default_config_static_selectorELNS0_4arch9wavefront6targetE0EEEvS12_.private_seg_size, 0
	.set _ZN7rocprim17ROCPRIM_400000_NS6detail17trampoline_kernelINS0_13select_configILj256ELj13ELNS0_17block_load_methodE3ELS4_3ELS4_3ELNS0_20block_scan_algorithmE0ELj4294967295EEENS1_25partition_config_selectorILNS1_17partition_subalgoE4EjNS0_10empty_typeEbEEZZNS1_14partition_implILS8_4ELb0ES6_15HIP_vector_typeIjLj2EENS0_17counting_iteratorIjlEEPS9_SG_NS0_5tupleIJPjSI_NS0_16reverse_iteratorISI_EEEEENSH_IJSG_SG_SG_EEES9_SI_JZNS1_25segmented_radix_sort_implINS0_14default_configELb0EPKbPbPKlPlN2at6native12_GLOBAL__N_18offset_tEEE10hipError_tPvRmT1_PNSt15iterator_traitsIS12_E10value_typeET2_T3_PNS13_IS18_E10value_typeET4_jRbjT5_S1E_jjP12ihipStream_tbEUljE_ZNSN_ISO_Lb0ESQ_SR_ST_SU_SY_EESZ_S10_S11_S12_S16_S17_S18_S1B_S1C_jS1D_jS1E_S1E_jjS1G_bEUljE0_EEESZ_S10_S11_S18_S1C_S1E_T6_T7_T9_mT8_S1G_bDpT10_ENKUlT_T0_E_clISt17integral_constantIbLb0EES1U_EEDaS1P_S1Q_EUlS1P_E_NS1_11comp_targetILNS1_3genE8ELNS1_11target_archE1030ELNS1_3gpuE2ELNS1_3repE0EEENS1_30default_config_static_selectorELNS0_4arch9wavefront6targetE0EEEvS12_.uses_vcc, 1
	.set _ZN7rocprim17ROCPRIM_400000_NS6detail17trampoline_kernelINS0_13select_configILj256ELj13ELNS0_17block_load_methodE3ELS4_3ELS4_3ELNS0_20block_scan_algorithmE0ELj4294967295EEENS1_25partition_config_selectorILNS1_17partition_subalgoE4EjNS0_10empty_typeEbEEZZNS1_14partition_implILS8_4ELb0ES6_15HIP_vector_typeIjLj2EENS0_17counting_iteratorIjlEEPS9_SG_NS0_5tupleIJPjSI_NS0_16reverse_iteratorISI_EEEEENSH_IJSG_SG_SG_EEES9_SI_JZNS1_25segmented_radix_sort_implINS0_14default_configELb0EPKbPbPKlPlN2at6native12_GLOBAL__N_18offset_tEEE10hipError_tPvRmT1_PNSt15iterator_traitsIS12_E10value_typeET2_T3_PNS13_IS18_E10value_typeET4_jRbjT5_S1E_jjP12ihipStream_tbEUljE_ZNSN_ISO_Lb0ESQ_SR_ST_SU_SY_EESZ_S10_S11_S12_S16_S17_S18_S1B_S1C_jS1D_jS1E_S1E_jjS1G_bEUljE0_EEESZ_S10_S11_S18_S1C_S1E_T6_T7_T9_mT8_S1G_bDpT10_ENKUlT_T0_E_clISt17integral_constantIbLb0EES1U_EEDaS1P_S1Q_EUlS1P_E_NS1_11comp_targetILNS1_3genE8ELNS1_11target_archE1030ELNS1_3gpuE2ELNS1_3repE0EEENS1_30default_config_static_selectorELNS0_4arch9wavefront6targetE0EEEvS12_.uses_flat_scratch, 0
	.set _ZN7rocprim17ROCPRIM_400000_NS6detail17trampoline_kernelINS0_13select_configILj256ELj13ELNS0_17block_load_methodE3ELS4_3ELS4_3ELNS0_20block_scan_algorithmE0ELj4294967295EEENS1_25partition_config_selectorILNS1_17partition_subalgoE4EjNS0_10empty_typeEbEEZZNS1_14partition_implILS8_4ELb0ES6_15HIP_vector_typeIjLj2EENS0_17counting_iteratorIjlEEPS9_SG_NS0_5tupleIJPjSI_NS0_16reverse_iteratorISI_EEEEENSH_IJSG_SG_SG_EEES9_SI_JZNS1_25segmented_radix_sort_implINS0_14default_configELb0EPKbPbPKlPlN2at6native12_GLOBAL__N_18offset_tEEE10hipError_tPvRmT1_PNSt15iterator_traitsIS12_E10value_typeET2_T3_PNS13_IS18_E10value_typeET4_jRbjT5_S1E_jjP12ihipStream_tbEUljE_ZNSN_ISO_Lb0ESQ_SR_ST_SU_SY_EESZ_S10_S11_S12_S16_S17_S18_S1B_S1C_jS1D_jS1E_S1E_jjS1G_bEUljE0_EEESZ_S10_S11_S18_S1C_S1E_T6_T7_T9_mT8_S1G_bDpT10_ENKUlT_T0_E_clISt17integral_constantIbLb0EES1U_EEDaS1P_S1Q_EUlS1P_E_NS1_11comp_targetILNS1_3genE8ELNS1_11target_archE1030ELNS1_3gpuE2ELNS1_3repE0EEENS1_30default_config_static_selectorELNS0_4arch9wavefront6targetE0EEEvS12_.has_dyn_sized_stack, 0
	.set _ZN7rocprim17ROCPRIM_400000_NS6detail17trampoline_kernelINS0_13select_configILj256ELj13ELNS0_17block_load_methodE3ELS4_3ELS4_3ELNS0_20block_scan_algorithmE0ELj4294967295EEENS1_25partition_config_selectorILNS1_17partition_subalgoE4EjNS0_10empty_typeEbEEZZNS1_14partition_implILS8_4ELb0ES6_15HIP_vector_typeIjLj2EENS0_17counting_iteratorIjlEEPS9_SG_NS0_5tupleIJPjSI_NS0_16reverse_iteratorISI_EEEEENSH_IJSG_SG_SG_EEES9_SI_JZNS1_25segmented_radix_sort_implINS0_14default_configELb0EPKbPbPKlPlN2at6native12_GLOBAL__N_18offset_tEEE10hipError_tPvRmT1_PNSt15iterator_traitsIS12_E10value_typeET2_T3_PNS13_IS18_E10value_typeET4_jRbjT5_S1E_jjP12ihipStream_tbEUljE_ZNSN_ISO_Lb0ESQ_SR_ST_SU_SY_EESZ_S10_S11_S12_S16_S17_S18_S1B_S1C_jS1D_jS1E_S1E_jjS1G_bEUljE0_EEESZ_S10_S11_S18_S1C_S1E_T6_T7_T9_mT8_S1G_bDpT10_ENKUlT_T0_E_clISt17integral_constantIbLb0EES1U_EEDaS1P_S1Q_EUlS1P_E_NS1_11comp_targetILNS1_3genE8ELNS1_11target_archE1030ELNS1_3gpuE2ELNS1_3repE0EEENS1_30default_config_static_selectorELNS0_4arch9wavefront6targetE0EEEvS12_.has_recursion, 0
	.set _ZN7rocprim17ROCPRIM_400000_NS6detail17trampoline_kernelINS0_13select_configILj256ELj13ELNS0_17block_load_methodE3ELS4_3ELS4_3ELNS0_20block_scan_algorithmE0ELj4294967295EEENS1_25partition_config_selectorILNS1_17partition_subalgoE4EjNS0_10empty_typeEbEEZZNS1_14partition_implILS8_4ELb0ES6_15HIP_vector_typeIjLj2EENS0_17counting_iteratorIjlEEPS9_SG_NS0_5tupleIJPjSI_NS0_16reverse_iteratorISI_EEEEENSH_IJSG_SG_SG_EEES9_SI_JZNS1_25segmented_radix_sort_implINS0_14default_configELb0EPKbPbPKlPlN2at6native12_GLOBAL__N_18offset_tEEE10hipError_tPvRmT1_PNSt15iterator_traitsIS12_E10value_typeET2_T3_PNS13_IS18_E10value_typeET4_jRbjT5_S1E_jjP12ihipStream_tbEUljE_ZNSN_ISO_Lb0ESQ_SR_ST_SU_SY_EESZ_S10_S11_S12_S16_S17_S18_S1B_S1C_jS1D_jS1E_S1E_jjS1G_bEUljE0_EEESZ_S10_S11_S18_S1C_S1E_T6_T7_T9_mT8_S1G_bDpT10_ENKUlT_T0_E_clISt17integral_constantIbLb0EES1U_EEDaS1P_S1Q_EUlS1P_E_NS1_11comp_targetILNS1_3genE8ELNS1_11target_archE1030ELNS1_3gpuE2ELNS1_3repE0EEENS1_30default_config_static_selectorELNS0_4arch9wavefront6targetE0EEEvS12_.has_indirect_call, 0
	.section	.AMDGPU.csdata,"",@progbits
; Kernel info:
; codeLenInByte = 16236
; TotalNumSgprs: 61
; NumVgprs: 82
; ScratchSize: 0
; MemoryBound: 0
; FloatMode: 240
; IeeeMode: 1
; LDSByteSize: 13328 bytes/workgroup (compile time only)
; SGPRBlocks: 0
; VGPRBlocks: 10
; NumSGPRsForWavesPerEU: 61
; NumVGPRsForWavesPerEU: 82
; Occupancy: 10
; WaveLimiterHint : 1
; COMPUTE_PGM_RSRC2:SCRATCH_EN: 0
; COMPUTE_PGM_RSRC2:USER_SGPR: 6
; COMPUTE_PGM_RSRC2:TRAP_HANDLER: 0
; COMPUTE_PGM_RSRC2:TGID_X_EN: 1
; COMPUTE_PGM_RSRC2:TGID_Y_EN: 0
; COMPUTE_PGM_RSRC2:TGID_Z_EN: 0
; COMPUTE_PGM_RSRC2:TIDIG_COMP_CNT: 0
	.section	.text._ZN7rocprim17ROCPRIM_400000_NS6detail17trampoline_kernelINS0_13select_configILj256ELj13ELNS0_17block_load_methodE3ELS4_3ELS4_3ELNS0_20block_scan_algorithmE0ELj4294967295EEENS1_25partition_config_selectorILNS1_17partition_subalgoE4EjNS0_10empty_typeEbEEZZNS1_14partition_implILS8_4ELb0ES6_15HIP_vector_typeIjLj2EENS0_17counting_iteratorIjlEEPS9_SG_NS0_5tupleIJPjSI_NS0_16reverse_iteratorISI_EEEEENSH_IJSG_SG_SG_EEES9_SI_JZNS1_25segmented_radix_sort_implINS0_14default_configELb0EPKbPbPKlPlN2at6native12_GLOBAL__N_18offset_tEEE10hipError_tPvRmT1_PNSt15iterator_traitsIS12_E10value_typeET2_T3_PNS13_IS18_E10value_typeET4_jRbjT5_S1E_jjP12ihipStream_tbEUljE_ZNSN_ISO_Lb0ESQ_SR_ST_SU_SY_EESZ_S10_S11_S12_S16_S17_S18_S1B_S1C_jS1D_jS1E_S1E_jjS1G_bEUljE0_EEESZ_S10_S11_S18_S1C_S1E_T6_T7_T9_mT8_S1G_bDpT10_ENKUlT_T0_E_clISt17integral_constantIbLb1EES1U_EEDaS1P_S1Q_EUlS1P_E_NS1_11comp_targetILNS1_3genE0ELNS1_11target_archE4294967295ELNS1_3gpuE0ELNS1_3repE0EEENS1_30default_config_static_selectorELNS0_4arch9wavefront6targetE0EEEvS12_,"axG",@progbits,_ZN7rocprim17ROCPRIM_400000_NS6detail17trampoline_kernelINS0_13select_configILj256ELj13ELNS0_17block_load_methodE3ELS4_3ELS4_3ELNS0_20block_scan_algorithmE0ELj4294967295EEENS1_25partition_config_selectorILNS1_17partition_subalgoE4EjNS0_10empty_typeEbEEZZNS1_14partition_implILS8_4ELb0ES6_15HIP_vector_typeIjLj2EENS0_17counting_iteratorIjlEEPS9_SG_NS0_5tupleIJPjSI_NS0_16reverse_iteratorISI_EEEEENSH_IJSG_SG_SG_EEES9_SI_JZNS1_25segmented_radix_sort_implINS0_14default_configELb0EPKbPbPKlPlN2at6native12_GLOBAL__N_18offset_tEEE10hipError_tPvRmT1_PNSt15iterator_traitsIS12_E10value_typeET2_T3_PNS13_IS18_E10value_typeET4_jRbjT5_S1E_jjP12ihipStream_tbEUljE_ZNSN_ISO_Lb0ESQ_SR_ST_SU_SY_EESZ_S10_S11_S12_S16_S17_S18_S1B_S1C_jS1D_jS1E_S1E_jjS1G_bEUljE0_EEESZ_S10_S11_S18_S1C_S1E_T6_T7_T9_mT8_S1G_bDpT10_ENKUlT_T0_E_clISt17integral_constantIbLb1EES1U_EEDaS1P_S1Q_EUlS1P_E_NS1_11comp_targetILNS1_3genE0ELNS1_11target_archE4294967295ELNS1_3gpuE0ELNS1_3repE0EEENS1_30default_config_static_selectorELNS0_4arch9wavefront6targetE0EEEvS12_,comdat
	.globl	_ZN7rocprim17ROCPRIM_400000_NS6detail17trampoline_kernelINS0_13select_configILj256ELj13ELNS0_17block_load_methodE3ELS4_3ELS4_3ELNS0_20block_scan_algorithmE0ELj4294967295EEENS1_25partition_config_selectorILNS1_17partition_subalgoE4EjNS0_10empty_typeEbEEZZNS1_14partition_implILS8_4ELb0ES6_15HIP_vector_typeIjLj2EENS0_17counting_iteratorIjlEEPS9_SG_NS0_5tupleIJPjSI_NS0_16reverse_iteratorISI_EEEEENSH_IJSG_SG_SG_EEES9_SI_JZNS1_25segmented_radix_sort_implINS0_14default_configELb0EPKbPbPKlPlN2at6native12_GLOBAL__N_18offset_tEEE10hipError_tPvRmT1_PNSt15iterator_traitsIS12_E10value_typeET2_T3_PNS13_IS18_E10value_typeET4_jRbjT5_S1E_jjP12ihipStream_tbEUljE_ZNSN_ISO_Lb0ESQ_SR_ST_SU_SY_EESZ_S10_S11_S12_S16_S17_S18_S1B_S1C_jS1D_jS1E_S1E_jjS1G_bEUljE0_EEESZ_S10_S11_S18_S1C_S1E_T6_T7_T9_mT8_S1G_bDpT10_ENKUlT_T0_E_clISt17integral_constantIbLb1EES1U_EEDaS1P_S1Q_EUlS1P_E_NS1_11comp_targetILNS1_3genE0ELNS1_11target_archE4294967295ELNS1_3gpuE0ELNS1_3repE0EEENS1_30default_config_static_selectorELNS0_4arch9wavefront6targetE0EEEvS12_ ; -- Begin function _ZN7rocprim17ROCPRIM_400000_NS6detail17trampoline_kernelINS0_13select_configILj256ELj13ELNS0_17block_load_methodE3ELS4_3ELS4_3ELNS0_20block_scan_algorithmE0ELj4294967295EEENS1_25partition_config_selectorILNS1_17partition_subalgoE4EjNS0_10empty_typeEbEEZZNS1_14partition_implILS8_4ELb0ES6_15HIP_vector_typeIjLj2EENS0_17counting_iteratorIjlEEPS9_SG_NS0_5tupleIJPjSI_NS0_16reverse_iteratorISI_EEEEENSH_IJSG_SG_SG_EEES9_SI_JZNS1_25segmented_radix_sort_implINS0_14default_configELb0EPKbPbPKlPlN2at6native12_GLOBAL__N_18offset_tEEE10hipError_tPvRmT1_PNSt15iterator_traitsIS12_E10value_typeET2_T3_PNS13_IS18_E10value_typeET4_jRbjT5_S1E_jjP12ihipStream_tbEUljE_ZNSN_ISO_Lb0ESQ_SR_ST_SU_SY_EESZ_S10_S11_S12_S16_S17_S18_S1B_S1C_jS1D_jS1E_S1E_jjS1G_bEUljE0_EEESZ_S10_S11_S18_S1C_S1E_T6_T7_T9_mT8_S1G_bDpT10_ENKUlT_T0_E_clISt17integral_constantIbLb1EES1U_EEDaS1P_S1Q_EUlS1P_E_NS1_11comp_targetILNS1_3genE0ELNS1_11target_archE4294967295ELNS1_3gpuE0ELNS1_3repE0EEENS1_30default_config_static_selectorELNS0_4arch9wavefront6targetE0EEEvS12_
	.p2align	8
	.type	_ZN7rocprim17ROCPRIM_400000_NS6detail17trampoline_kernelINS0_13select_configILj256ELj13ELNS0_17block_load_methodE3ELS4_3ELS4_3ELNS0_20block_scan_algorithmE0ELj4294967295EEENS1_25partition_config_selectorILNS1_17partition_subalgoE4EjNS0_10empty_typeEbEEZZNS1_14partition_implILS8_4ELb0ES6_15HIP_vector_typeIjLj2EENS0_17counting_iteratorIjlEEPS9_SG_NS0_5tupleIJPjSI_NS0_16reverse_iteratorISI_EEEEENSH_IJSG_SG_SG_EEES9_SI_JZNS1_25segmented_radix_sort_implINS0_14default_configELb0EPKbPbPKlPlN2at6native12_GLOBAL__N_18offset_tEEE10hipError_tPvRmT1_PNSt15iterator_traitsIS12_E10value_typeET2_T3_PNS13_IS18_E10value_typeET4_jRbjT5_S1E_jjP12ihipStream_tbEUljE_ZNSN_ISO_Lb0ESQ_SR_ST_SU_SY_EESZ_S10_S11_S12_S16_S17_S18_S1B_S1C_jS1D_jS1E_S1E_jjS1G_bEUljE0_EEESZ_S10_S11_S18_S1C_S1E_T6_T7_T9_mT8_S1G_bDpT10_ENKUlT_T0_E_clISt17integral_constantIbLb1EES1U_EEDaS1P_S1Q_EUlS1P_E_NS1_11comp_targetILNS1_3genE0ELNS1_11target_archE4294967295ELNS1_3gpuE0ELNS1_3repE0EEENS1_30default_config_static_selectorELNS0_4arch9wavefront6targetE0EEEvS12_,@function
_ZN7rocprim17ROCPRIM_400000_NS6detail17trampoline_kernelINS0_13select_configILj256ELj13ELNS0_17block_load_methodE3ELS4_3ELS4_3ELNS0_20block_scan_algorithmE0ELj4294967295EEENS1_25partition_config_selectorILNS1_17partition_subalgoE4EjNS0_10empty_typeEbEEZZNS1_14partition_implILS8_4ELb0ES6_15HIP_vector_typeIjLj2EENS0_17counting_iteratorIjlEEPS9_SG_NS0_5tupleIJPjSI_NS0_16reverse_iteratorISI_EEEEENSH_IJSG_SG_SG_EEES9_SI_JZNS1_25segmented_radix_sort_implINS0_14default_configELb0EPKbPbPKlPlN2at6native12_GLOBAL__N_18offset_tEEE10hipError_tPvRmT1_PNSt15iterator_traitsIS12_E10value_typeET2_T3_PNS13_IS18_E10value_typeET4_jRbjT5_S1E_jjP12ihipStream_tbEUljE_ZNSN_ISO_Lb0ESQ_SR_ST_SU_SY_EESZ_S10_S11_S12_S16_S17_S18_S1B_S1C_jS1D_jS1E_S1E_jjS1G_bEUljE0_EEESZ_S10_S11_S18_S1C_S1E_T6_T7_T9_mT8_S1G_bDpT10_ENKUlT_T0_E_clISt17integral_constantIbLb1EES1U_EEDaS1P_S1Q_EUlS1P_E_NS1_11comp_targetILNS1_3genE0ELNS1_11target_archE4294967295ELNS1_3gpuE0ELNS1_3repE0EEENS1_30default_config_static_selectorELNS0_4arch9wavefront6targetE0EEEvS12_: ; @_ZN7rocprim17ROCPRIM_400000_NS6detail17trampoline_kernelINS0_13select_configILj256ELj13ELNS0_17block_load_methodE3ELS4_3ELS4_3ELNS0_20block_scan_algorithmE0ELj4294967295EEENS1_25partition_config_selectorILNS1_17partition_subalgoE4EjNS0_10empty_typeEbEEZZNS1_14partition_implILS8_4ELb0ES6_15HIP_vector_typeIjLj2EENS0_17counting_iteratorIjlEEPS9_SG_NS0_5tupleIJPjSI_NS0_16reverse_iteratorISI_EEEEENSH_IJSG_SG_SG_EEES9_SI_JZNS1_25segmented_radix_sort_implINS0_14default_configELb0EPKbPbPKlPlN2at6native12_GLOBAL__N_18offset_tEEE10hipError_tPvRmT1_PNSt15iterator_traitsIS12_E10value_typeET2_T3_PNS13_IS18_E10value_typeET4_jRbjT5_S1E_jjP12ihipStream_tbEUljE_ZNSN_ISO_Lb0ESQ_SR_ST_SU_SY_EESZ_S10_S11_S12_S16_S17_S18_S1B_S1C_jS1D_jS1E_S1E_jjS1G_bEUljE0_EEESZ_S10_S11_S18_S1C_S1E_T6_T7_T9_mT8_S1G_bDpT10_ENKUlT_T0_E_clISt17integral_constantIbLb1EES1U_EEDaS1P_S1Q_EUlS1P_E_NS1_11comp_targetILNS1_3genE0ELNS1_11target_archE4294967295ELNS1_3gpuE0ELNS1_3repE0EEENS1_30default_config_static_selectorELNS0_4arch9wavefront6targetE0EEEvS12_
; %bb.0:
	.section	.rodata,"a",@progbits
	.p2align	6, 0x0
	.amdhsa_kernel _ZN7rocprim17ROCPRIM_400000_NS6detail17trampoline_kernelINS0_13select_configILj256ELj13ELNS0_17block_load_methodE3ELS4_3ELS4_3ELNS0_20block_scan_algorithmE0ELj4294967295EEENS1_25partition_config_selectorILNS1_17partition_subalgoE4EjNS0_10empty_typeEbEEZZNS1_14partition_implILS8_4ELb0ES6_15HIP_vector_typeIjLj2EENS0_17counting_iteratorIjlEEPS9_SG_NS0_5tupleIJPjSI_NS0_16reverse_iteratorISI_EEEEENSH_IJSG_SG_SG_EEES9_SI_JZNS1_25segmented_radix_sort_implINS0_14default_configELb0EPKbPbPKlPlN2at6native12_GLOBAL__N_18offset_tEEE10hipError_tPvRmT1_PNSt15iterator_traitsIS12_E10value_typeET2_T3_PNS13_IS18_E10value_typeET4_jRbjT5_S1E_jjP12ihipStream_tbEUljE_ZNSN_ISO_Lb0ESQ_SR_ST_SU_SY_EESZ_S10_S11_S12_S16_S17_S18_S1B_S1C_jS1D_jS1E_S1E_jjS1G_bEUljE0_EEESZ_S10_S11_S18_S1C_S1E_T6_T7_T9_mT8_S1G_bDpT10_ENKUlT_T0_E_clISt17integral_constantIbLb1EES1U_EEDaS1P_S1Q_EUlS1P_E_NS1_11comp_targetILNS1_3genE0ELNS1_11target_archE4294967295ELNS1_3gpuE0ELNS1_3repE0EEENS1_30default_config_static_selectorELNS0_4arch9wavefront6targetE0EEEvS12_
		.amdhsa_group_segment_fixed_size 0
		.amdhsa_private_segment_fixed_size 0
		.amdhsa_kernarg_size 184
		.amdhsa_user_sgpr_count 6
		.amdhsa_user_sgpr_private_segment_buffer 1
		.amdhsa_user_sgpr_dispatch_ptr 0
		.amdhsa_user_sgpr_queue_ptr 0
		.amdhsa_user_sgpr_kernarg_segment_ptr 1
		.amdhsa_user_sgpr_dispatch_id 0
		.amdhsa_user_sgpr_flat_scratch_init 0
		.amdhsa_user_sgpr_private_segment_size 0
		.amdhsa_wavefront_size32 1
		.amdhsa_uses_dynamic_stack 0
		.amdhsa_system_sgpr_private_segment_wavefront_offset 0
		.amdhsa_system_sgpr_workgroup_id_x 1
		.amdhsa_system_sgpr_workgroup_id_y 0
		.amdhsa_system_sgpr_workgroup_id_z 0
		.amdhsa_system_sgpr_workgroup_info 0
		.amdhsa_system_vgpr_workitem_id 0
		.amdhsa_next_free_vgpr 1
		.amdhsa_next_free_sgpr 1
		.amdhsa_reserve_vcc 0
		.amdhsa_reserve_flat_scratch 0
		.amdhsa_float_round_mode_32 0
		.amdhsa_float_round_mode_16_64 0
		.amdhsa_float_denorm_mode_32 3
		.amdhsa_float_denorm_mode_16_64 3
		.amdhsa_dx10_clamp 1
		.amdhsa_ieee_mode 1
		.amdhsa_fp16_overflow 0
		.amdhsa_workgroup_processor_mode 1
		.amdhsa_memory_ordered 1
		.amdhsa_forward_progress 1
		.amdhsa_shared_vgpr_count 0
		.amdhsa_exception_fp_ieee_invalid_op 0
		.amdhsa_exception_fp_denorm_src 0
		.amdhsa_exception_fp_ieee_div_zero 0
		.amdhsa_exception_fp_ieee_overflow 0
		.amdhsa_exception_fp_ieee_underflow 0
		.amdhsa_exception_fp_ieee_inexact 0
		.amdhsa_exception_int_div_zero 0
	.end_amdhsa_kernel
	.section	.text._ZN7rocprim17ROCPRIM_400000_NS6detail17trampoline_kernelINS0_13select_configILj256ELj13ELNS0_17block_load_methodE3ELS4_3ELS4_3ELNS0_20block_scan_algorithmE0ELj4294967295EEENS1_25partition_config_selectorILNS1_17partition_subalgoE4EjNS0_10empty_typeEbEEZZNS1_14partition_implILS8_4ELb0ES6_15HIP_vector_typeIjLj2EENS0_17counting_iteratorIjlEEPS9_SG_NS0_5tupleIJPjSI_NS0_16reverse_iteratorISI_EEEEENSH_IJSG_SG_SG_EEES9_SI_JZNS1_25segmented_radix_sort_implINS0_14default_configELb0EPKbPbPKlPlN2at6native12_GLOBAL__N_18offset_tEEE10hipError_tPvRmT1_PNSt15iterator_traitsIS12_E10value_typeET2_T3_PNS13_IS18_E10value_typeET4_jRbjT5_S1E_jjP12ihipStream_tbEUljE_ZNSN_ISO_Lb0ESQ_SR_ST_SU_SY_EESZ_S10_S11_S12_S16_S17_S18_S1B_S1C_jS1D_jS1E_S1E_jjS1G_bEUljE0_EEESZ_S10_S11_S18_S1C_S1E_T6_T7_T9_mT8_S1G_bDpT10_ENKUlT_T0_E_clISt17integral_constantIbLb1EES1U_EEDaS1P_S1Q_EUlS1P_E_NS1_11comp_targetILNS1_3genE0ELNS1_11target_archE4294967295ELNS1_3gpuE0ELNS1_3repE0EEENS1_30default_config_static_selectorELNS0_4arch9wavefront6targetE0EEEvS12_,"axG",@progbits,_ZN7rocprim17ROCPRIM_400000_NS6detail17trampoline_kernelINS0_13select_configILj256ELj13ELNS0_17block_load_methodE3ELS4_3ELS4_3ELNS0_20block_scan_algorithmE0ELj4294967295EEENS1_25partition_config_selectorILNS1_17partition_subalgoE4EjNS0_10empty_typeEbEEZZNS1_14partition_implILS8_4ELb0ES6_15HIP_vector_typeIjLj2EENS0_17counting_iteratorIjlEEPS9_SG_NS0_5tupleIJPjSI_NS0_16reverse_iteratorISI_EEEEENSH_IJSG_SG_SG_EEES9_SI_JZNS1_25segmented_radix_sort_implINS0_14default_configELb0EPKbPbPKlPlN2at6native12_GLOBAL__N_18offset_tEEE10hipError_tPvRmT1_PNSt15iterator_traitsIS12_E10value_typeET2_T3_PNS13_IS18_E10value_typeET4_jRbjT5_S1E_jjP12ihipStream_tbEUljE_ZNSN_ISO_Lb0ESQ_SR_ST_SU_SY_EESZ_S10_S11_S12_S16_S17_S18_S1B_S1C_jS1D_jS1E_S1E_jjS1G_bEUljE0_EEESZ_S10_S11_S18_S1C_S1E_T6_T7_T9_mT8_S1G_bDpT10_ENKUlT_T0_E_clISt17integral_constantIbLb1EES1U_EEDaS1P_S1Q_EUlS1P_E_NS1_11comp_targetILNS1_3genE0ELNS1_11target_archE4294967295ELNS1_3gpuE0ELNS1_3repE0EEENS1_30default_config_static_selectorELNS0_4arch9wavefront6targetE0EEEvS12_,comdat
.Lfunc_end1570:
	.size	_ZN7rocprim17ROCPRIM_400000_NS6detail17trampoline_kernelINS0_13select_configILj256ELj13ELNS0_17block_load_methodE3ELS4_3ELS4_3ELNS0_20block_scan_algorithmE0ELj4294967295EEENS1_25partition_config_selectorILNS1_17partition_subalgoE4EjNS0_10empty_typeEbEEZZNS1_14partition_implILS8_4ELb0ES6_15HIP_vector_typeIjLj2EENS0_17counting_iteratorIjlEEPS9_SG_NS0_5tupleIJPjSI_NS0_16reverse_iteratorISI_EEEEENSH_IJSG_SG_SG_EEES9_SI_JZNS1_25segmented_radix_sort_implINS0_14default_configELb0EPKbPbPKlPlN2at6native12_GLOBAL__N_18offset_tEEE10hipError_tPvRmT1_PNSt15iterator_traitsIS12_E10value_typeET2_T3_PNS13_IS18_E10value_typeET4_jRbjT5_S1E_jjP12ihipStream_tbEUljE_ZNSN_ISO_Lb0ESQ_SR_ST_SU_SY_EESZ_S10_S11_S12_S16_S17_S18_S1B_S1C_jS1D_jS1E_S1E_jjS1G_bEUljE0_EEESZ_S10_S11_S18_S1C_S1E_T6_T7_T9_mT8_S1G_bDpT10_ENKUlT_T0_E_clISt17integral_constantIbLb1EES1U_EEDaS1P_S1Q_EUlS1P_E_NS1_11comp_targetILNS1_3genE0ELNS1_11target_archE4294967295ELNS1_3gpuE0ELNS1_3repE0EEENS1_30default_config_static_selectorELNS0_4arch9wavefront6targetE0EEEvS12_, .Lfunc_end1570-_ZN7rocprim17ROCPRIM_400000_NS6detail17trampoline_kernelINS0_13select_configILj256ELj13ELNS0_17block_load_methodE3ELS4_3ELS4_3ELNS0_20block_scan_algorithmE0ELj4294967295EEENS1_25partition_config_selectorILNS1_17partition_subalgoE4EjNS0_10empty_typeEbEEZZNS1_14partition_implILS8_4ELb0ES6_15HIP_vector_typeIjLj2EENS0_17counting_iteratorIjlEEPS9_SG_NS0_5tupleIJPjSI_NS0_16reverse_iteratorISI_EEEEENSH_IJSG_SG_SG_EEES9_SI_JZNS1_25segmented_radix_sort_implINS0_14default_configELb0EPKbPbPKlPlN2at6native12_GLOBAL__N_18offset_tEEE10hipError_tPvRmT1_PNSt15iterator_traitsIS12_E10value_typeET2_T3_PNS13_IS18_E10value_typeET4_jRbjT5_S1E_jjP12ihipStream_tbEUljE_ZNSN_ISO_Lb0ESQ_SR_ST_SU_SY_EESZ_S10_S11_S12_S16_S17_S18_S1B_S1C_jS1D_jS1E_S1E_jjS1G_bEUljE0_EEESZ_S10_S11_S18_S1C_S1E_T6_T7_T9_mT8_S1G_bDpT10_ENKUlT_T0_E_clISt17integral_constantIbLb1EES1U_EEDaS1P_S1Q_EUlS1P_E_NS1_11comp_targetILNS1_3genE0ELNS1_11target_archE4294967295ELNS1_3gpuE0ELNS1_3repE0EEENS1_30default_config_static_selectorELNS0_4arch9wavefront6targetE0EEEvS12_
                                        ; -- End function
	.set _ZN7rocprim17ROCPRIM_400000_NS6detail17trampoline_kernelINS0_13select_configILj256ELj13ELNS0_17block_load_methodE3ELS4_3ELS4_3ELNS0_20block_scan_algorithmE0ELj4294967295EEENS1_25partition_config_selectorILNS1_17partition_subalgoE4EjNS0_10empty_typeEbEEZZNS1_14partition_implILS8_4ELb0ES6_15HIP_vector_typeIjLj2EENS0_17counting_iteratorIjlEEPS9_SG_NS0_5tupleIJPjSI_NS0_16reverse_iteratorISI_EEEEENSH_IJSG_SG_SG_EEES9_SI_JZNS1_25segmented_radix_sort_implINS0_14default_configELb0EPKbPbPKlPlN2at6native12_GLOBAL__N_18offset_tEEE10hipError_tPvRmT1_PNSt15iterator_traitsIS12_E10value_typeET2_T3_PNS13_IS18_E10value_typeET4_jRbjT5_S1E_jjP12ihipStream_tbEUljE_ZNSN_ISO_Lb0ESQ_SR_ST_SU_SY_EESZ_S10_S11_S12_S16_S17_S18_S1B_S1C_jS1D_jS1E_S1E_jjS1G_bEUljE0_EEESZ_S10_S11_S18_S1C_S1E_T6_T7_T9_mT8_S1G_bDpT10_ENKUlT_T0_E_clISt17integral_constantIbLb1EES1U_EEDaS1P_S1Q_EUlS1P_E_NS1_11comp_targetILNS1_3genE0ELNS1_11target_archE4294967295ELNS1_3gpuE0ELNS1_3repE0EEENS1_30default_config_static_selectorELNS0_4arch9wavefront6targetE0EEEvS12_.num_vgpr, 0
	.set _ZN7rocprim17ROCPRIM_400000_NS6detail17trampoline_kernelINS0_13select_configILj256ELj13ELNS0_17block_load_methodE3ELS4_3ELS4_3ELNS0_20block_scan_algorithmE0ELj4294967295EEENS1_25partition_config_selectorILNS1_17partition_subalgoE4EjNS0_10empty_typeEbEEZZNS1_14partition_implILS8_4ELb0ES6_15HIP_vector_typeIjLj2EENS0_17counting_iteratorIjlEEPS9_SG_NS0_5tupleIJPjSI_NS0_16reverse_iteratorISI_EEEEENSH_IJSG_SG_SG_EEES9_SI_JZNS1_25segmented_radix_sort_implINS0_14default_configELb0EPKbPbPKlPlN2at6native12_GLOBAL__N_18offset_tEEE10hipError_tPvRmT1_PNSt15iterator_traitsIS12_E10value_typeET2_T3_PNS13_IS18_E10value_typeET4_jRbjT5_S1E_jjP12ihipStream_tbEUljE_ZNSN_ISO_Lb0ESQ_SR_ST_SU_SY_EESZ_S10_S11_S12_S16_S17_S18_S1B_S1C_jS1D_jS1E_S1E_jjS1G_bEUljE0_EEESZ_S10_S11_S18_S1C_S1E_T6_T7_T9_mT8_S1G_bDpT10_ENKUlT_T0_E_clISt17integral_constantIbLb1EES1U_EEDaS1P_S1Q_EUlS1P_E_NS1_11comp_targetILNS1_3genE0ELNS1_11target_archE4294967295ELNS1_3gpuE0ELNS1_3repE0EEENS1_30default_config_static_selectorELNS0_4arch9wavefront6targetE0EEEvS12_.num_agpr, 0
	.set _ZN7rocprim17ROCPRIM_400000_NS6detail17trampoline_kernelINS0_13select_configILj256ELj13ELNS0_17block_load_methodE3ELS4_3ELS4_3ELNS0_20block_scan_algorithmE0ELj4294967295EEENS1_25partition_config_selectorILNS1_17partition_subalgoE4EjNS0_10empty_typeEbEEZZNS1_14partition_implILS8_4ELb0ES6_15HIP_vector_typeIjLj2EENS0_17counting_iteratorIjlEEPS9_SG_NS0_5tupleIJPjSI_NS0_16reverse_iteratorISI_EEEEENSH_IJSG_SG_SG_EEES9_SI_JZNS1_25segmented_radix_sort_implINS0_14default_configELb0EPKbPbPKlPlN2at6native12_GLOBAL__N_18offset_tEEE10hipError_tPvRmT1_PNSt15iterator_traitsIS12_E10value_typeET2_T3_PNS13_IS18_E10value_typeET4_jRbjT5_S1E_jjP12ihipStream_tbEUljE_ZNSN_ISO_Lb0ESQ_SR_ST_SU_SY_EESZ_S10_S11_S12_S16_S17_S18_S1B_S1C_jS1D_jS1E_S1E_jjS1G_bEUljE0_EEESZ_S10_S11_S18_S1C_S1E_T6_T7_T9_mT8_S1G_bDpT10_ENKUlT_T0_E_clISt17integral_constantIbLb1EES1U_EEDaS1P_S1Q_EUlS1P_E_NS1_11comp_targetILNS1_3genE0ELNS1_11target_archE4294967295ELNS1_3gpuE0ELNS1_3repE0EEENS1_30default_config_static_selectorELNS0_4arch9wavefront6targetE0EEEvS12_.numbered_sgpr, 0
	.set _ZN7rocprim17ROCPRIM_400000_NS6detail17trampoline_kernelINS0_13select_configILj256ELj13ELNS0_17block_load_methodE3ELS4_3ELS4_3ELNS0_20block_scan_algorithmE0ELj4294967295EEENS1_25partition_config_selectorILNS1_17partition_subalgoE4EjNS0_10empty_typeEbEEZZNS1_14partition_implILS8_4ELb0ES6_15HIP_vector_typeIjLj2EENS0_17counting_iteratorIjlEEPS9_SG_NS0_5tupleIJPjSI_NS0_16reverse_iteratorISI_EEEEENSH_IJSG_SG_SG_EEES9_SI_JZNS1_25segmented_radix_sort_implINS0_14default_configELb0EPKbPbPKlPlN2at6native12_GLOBAL__N_18offset_tEEE10hipError_tPvRmT1_PNSt15iterator_traitsIS12_E10value_typeET2_T3_PNS13_IS18_E10value_typeET4_jRbjT5_S1E_jjP12ihipStream_tbEUljE_ZNSN_ISO_Lb0ESQ_SR_ST_SU_SY_EESZ_S10_S11_S12_S16_S17_S18_S1B_S1C_jS1D_jS1E_S1E_jjS1G_bEUljE0_EEESZ_S10_S11_S18_S1C_S1E_T6_T7_T9_mT8_S1G_bDpT10_ENKUlT_T0_E_clISt17integral_constantIbLb1EES1U_EEDaS1P_S1Q_EUlS1P_E_NS1_11comp_targetILNS1_3genE0ELNS1_11target_archE4294967295ELNS1_3gpuE0ELNS1_3repE0EEENS1_30default_config_static_selectorELNS0_4arch9wavefront6targetE0EEEvS12_.num_named_barrier, 0
	.set _ZN7rocprim17ROCPRIM_400000_NS6detail17trampoline_kernelINS0_13select_configILj256ELj13ELNS0_17block_load_methodE3ELS4_3ELS4_3ELNS0_20block_scan_algorithmE0ELj4294967295EEENS1_25partition_config_selectorILNS1_17partition_subalgoE4EjNS0_10empty_typeEbEEZZNS1_14partition_implILS8_4ELb0ES6_15HIP_vector_typeIjLj2EENS0_17counting_iteratorIjlEEPS9_SG_NS0_5tupleIJPjSI_NS0_16reverse_iteratorISI_EEEEENSH_IJSG_SG_SG_EEES9_SI_JZNS1_25segmented_radix_sort_implINS0_14default_configELb0EPKbPbPKlPlN2at6native12_GLOBAL__N_18offset_tEEE10hipError_tPvRmT1_PNSt15iterator_traitsIS12_E10value_typeET2_T3_PNS13_IS18_E10value_typeET4_jRbjT5_S1E_jjP12ihipStream_tbEUljE_ZNSN_ISO_Lb0ESQ_SR_ST_SU_SY_EESZ_S10_S11_S12_S16_S17_S18_S1B_S1C_jS1D_jS1E_S1E_jjS1G_bEUljE0_EEESZ_S10_S11_S18_S1C_S1E_T6_T7_T9_mT8_S1G_bDpT10_ENKUlT_T0_E_clISt17integral_constantIbLb1EES1U_EEDaS1P_S1Q_EUlS1P_E_NS1_11comp_targetILNS1_3genE0ELNS1_11target_archE4294967295ELNS1_3gpuE0ELNS1_3repE0EEENS1_30default_config_static_selectorELNS0_4arch9wavefront6targetE0EEEvS12_.private_seg_size, 0
	.set _ZN7rocprim17ROCPRIM_400000_NS6detail17trampoline_kernelINS0_13select_configILj256ELj13ELNS0_17block_load_methodE3ELS4_3ELS4_3ELNS0_20block_scan_algorithmE0ELj4294967295EEENS1_25partition_config_selectorILNS1_17partition_subalgoE4EjNS0_10empty_typeEbEEZZNS1_14partition_implILS8_4ELb0ES6_15HIP_vector_typeIjLj2EENS0_17counting_iteratorIjlEEPS9_SG_NS0_5tupleIJPjSI_NS0_16reverse_iteratorISI_EEEEENSH_IJSG_SG_SG_EEES9_SI_JZNS1_25segmented_radix_sort_implINS0_14default_configELb0EPKbPbPKlPlN2at6native12_GLOBAL__N_18offset_tEEE10hipError_tPvRmT1_PNSt15iterator_traitsIS12_E10value_typeET2_T3_PNS13_IS18_E10value_typeET4_jRbjT5_S1E_jjP12ihipStream_tbEUljE_ZNSN_ISO_Lb0ESQ_SR_ST_SU_SY_EESZ_S10_S11_S12_S16_S17_S18_S1B_S1C_jS1D_jS1E_S1E_jjS1G_bEUljE0_EEESZ_S10_S11_S18_S1C_S1E_T6_T7_T9_mT8_S1G_bDpT10_ENKUlT_T0_E_clISt17integral_constantIbLb1EES1U_EEDaS1P_S1Q_EUlS1P_E_NS1_11comp_targetILNS1_3genE0ELNS1_11target_archE4294967295ELNS1_3gpuE0ELNS1_3repE0EEENS1_30default_config_static_selectorELNS0_4arch9wavefront6targetE0EEEvS12_.uses_vcc, 0
	.set _ZN7rocprim17ROCPRIM_400000_NS6detail17trampoline_kernelINS0_13select_configILj256ELj13ELNS0_17block_load_methodE3ELS4_3ELS4_3ELNS0_20block_scan_algorithmE0ELj4294967295EEENS1_25partition_config_selectorILNS1_17partition_subalgoE4EjNS0_10empty_typeEbEEZZNS1_14partition_implILS8_4ELb0ES6_15HIP_vector_typeIjLj2EENS0_17counting_iteratorIjlEEPS9_SG_NS0_5tupleIJPjSI_NS0_16reverse_iteratorISI_EEEEENSH_IJSG_SG_SG_EEES9_SI_JZNS1_25segmented_radix_sort_implINS0_14default_configELb0EPKbPbPKlPlN2at6native12_GLOBAL__N_18offset_tEEE10hipError_tPvRmT1_PNSt15iterator_traitsIS12_E10value_typeET2_T3_PNS13_IS18_E10value_typeET4_jRbjT5_S1E_jjP12ihipStream_tbEUljE_ZNSN_ISO_Lb0ESQ_SR_ST_SU_SY_EESZ_S10_S11_S12_S16_S17_S18_S1B_S1C_jS1D_jS1E_S1E_jjS1G_bEUljE0_EEESZ_S10_S11_S18_S1C_S1E_T6_T7_T9_mT8_S1G_bDpT10_ENKUlT_T0_E_clISt17integral_constantIbLb1EES1U_EEDaS1P_S1Q_EUlS1P_E_NS1_11comp_targetILNS1_3genE0ELNS1_11target_archE4294967295ELNS1_3gpuE0ELNS1_3repE0EEENS1_30default_config_static_selectorELNS0_4arch9wavefront6targetE0EEEvS12_.uses_flat_scratch, 0
	.set _ZN7rocprim17ROCPRIM_400000_NS6detail17trampoline_kernelINS0_13select_configILj256ELj13ELNS0_17block_load_methodE3ELS4_3ELS4_3ELNS0_20block_scan_algorithmE0ELj4294967295EEENS1_25partition_config_selectorILNS1_17partition_subalgoE4EjNS0_10empty_typeEbEEZZNS1_14partition_implILS8_4ELb0ES6_15HIP_vector_typeIjLj2EENS0_17counting_iteratorIjlEEPS9_SG_NS0_5tupleIJPjSI_NS0_16reverse_iteratorISI_EEEEENSH_IJSG_SG_SG_EEES9_SI_JZNS1_25segmented_radix_sort_implINS0_14default_configELb0EPKbPbPKlPlN2at6native12_GLOBAL__N_18offset_tEEE10hipError_tPvRmT1_PNSt15iterator_traitsIS12_E10value_typeET2_T3_PNS13_IS18_E10value_typeET4_jRbjT5_S1E_jjP12ihipStream_tbEUljE_ZNSN_ISO_Lb0ESQ_SR_ST_SU_SY_EESZ_S10_S11_S12_S16_S17_S18_S1B_S1C_jS1D_jS1E_S1E_jjS1G_bEUljE0_EEESZ_S10_S11_S18_S1C_S1E_T6_T7_T9_mT8_S1G_bDpT10_ENKUlT_T0_E_clISt17integral_constantIbLb1EES1U_EEDaS1P_S1Q_EUlS1P_E_NS1_11comp_targetILNS1_3genE0ELNS1_11target_archE4294967295ELNS1_3gpuE0ELNS1_3repE0EEENS1_30default_config_static_selectorELNS0_4arch9wavefront6targetE0EEEvS12_.has_dyn_sized_stack, 0
	.set _ZN7rocprim17ROCPRIM_400000_NS6detail17trampoline_kernelINS0_13select_configILj256ELj13ELNS0_17block_load_methodE3ELS4_3ELS4_3ELNS0_20block_scan_algorithmE0ELj4294967295EEENS1_25partition_config_selectorILNS1_17partition_subalgoE4EjNS0_10empty_typeEbEEZZNS1_14partition_implILS8_4ELb0ES6_15HIP_vector_typeIjLj2EENS0_17counting_iteratorIjlEEPS9_SG_NS0_5tupleIJPjSI_NS0_16reverse_iteratorISI_EEEEENSH_IJSG_SG_SG_EEES9_SI_JZNS1_25segmented_radix_sort_implINS0_14default_configELb0EPKbPbPKlPlN2at6native12_GLOBAL__N_18offset_tEEE10hipError_tPvRmT1_PNSt15iterator_traitsIS12_E10value_typeET2_T3_PNS13_IS18_E10value_typeET4_jRbjT5_S1E_jjP12ihipStream_tbEUljE_ZNSN_ISO_Lb0ESQ_SR_ST_SU_SY_EESZ_S10_S11_S12_S16_S17_S18_S1B_S1C_jS1D_jS1E_S1E_jjS1G_bEUljE0_EEESZ_S10_S11_S18_S1C_S1E_T6_T7_T9_mT8_S1G_bDpT10_ENKUlT_T0_E_clISt17integral_constantIbLb1EES1U_EEDaS1P_S1Q_EUlS1P_E_NS1_11comp_targetILNS1_3genE0ELNS1_11target_archE4294967295ELNS1_3gpuE0ELNS1_3repE0EEENS1_30default_config_static_selectorELNS0_4arch9wavefront6targetE0EEEvS12_.has_recursion, 0
	.set _ZN7rocprim17ROCPRIM_400000_NS6detail17trampoline_kernelINS0_13select_configILj256ELj13ELNS0_17block_load_methodE3ELS4_3ELS4_3ELNS0_20block_scan_algorithmE0ELj4294967295EEENS1_25partition_config_selectorILNS1_17partition_subalgoE4EjNS0_10empty_typeEbEEZZNS1_14partition_implILS8_4ELb0ES6_15HIP_vector_typeIjLj2EENS0_17counting_iteratorIjlEEPS9_SG_NS0_5tupleIJPjSI_NS0_16reverse_iteratorISI_EEEEENSH_IJSG_SG_SG_EEES9_SI_JZNS1_25segmented_radix_sort_implINS0_14default_configELb0EPKbPbPKlPlN2at6native12_GLOBAL__N_18offset_tEEE10hipError_tPvRmT1_PNSt15iterator_traitsIS12_E10value_typeET2_T3_PNS13_IS18_E10value_typeET4_jRbjT5_S1E_jjP12ihipStream_tbEUljE_ZNSN_ISO_Lb0ESQ_SR_ST_SU_SY_EESZ_S10_S11_S12_S16_S17_S18_S1B_S1C_jS1D_jS1E_S1E_jjS1G_bEUljE0_EEESZ_S10_S11_S18_S1C_S1E_T6_T7_T9_mT8_S1G_bDpT10_ENKUlT_T0_E_clISt17integral_constantIbLb1EES1U_EEDaS1P_S1Q_EUlS1P_E_NS1_11comp_targetILNS1_3genE0ELNS1_11target_archE4294967295ELNS1_3gpuE0ELNS1_3repE0EEENS1_30default_config_static_selectorELNS0_4arch9wavefront6targetE0EEEvS12_.has_indirect_call, 0
	.section	.AMDGPU.csdata,"",@progbits
; Kernel info:
; codeLenInByte = 0
; TotalNumSgprs: 0
; NumVgprs: 0
; ScratchSize: 0
; MemoryBound: 0
; FloatMode: 240
; IeeeMode: 1
; LDSByteSize: 0 bytes/workgroup (compile time only)
; SGPRBlocks: 0
; VGPRBlocks: 0
; NumSGPRsForWavesPerEU: 1
; NumVGPRsForWavesPerEU: 1
; Occupancy: 16
; WaveLimiterHint : 0
; COMPUTE_PGM_RSRC2:SCRATCH_EN: 0
; COMPUTE_PGM_RSRC2:USER_SGPR: 6
; COMPUTE_PGM_RSRC2:TRAP_HANDLER: 0
; COMPUTE_PGM_RSRC2:TGID_X_EN: 1
; COMPUTE_PGM_RSRC2:TGID_Y_EN: 0
; COMPUTE_PGM_RSRC2:TGID_Z_EN: 0
; COMPUTE_PGM_RSRC2:TIDIG_COMP_CNT: 0
	.section	.text._ZN7rocprim17ROCPRIM_400000_NS6detail17trampoline_kernelINS0_13select_configILj256ELj13ELNS0_17block_load_methodE3ELS4_3ELS4_3ELNS0_20block_scan_algorithmE0ELj4294967295EEENS1_25partition_config_selectorILNS1_17partition_subalgoE4EjNS0_10empty_typeEbEEZZNS1_14partition_implILS8_4ELb0ES6_15HIP_vector_typeIjLj2EENS0_17counting_iteratorIjlEEPS9_SG_NS0_5tupleIJPjSI_NS0_16reverse_iteratorISI_EEEEENSH_IJSG_SG_SG_EEES9_SI_JZNS1_25segmented_radix_sort_implINS0_14default_configELb0EPKbPbPKlPlN2at6native12_GLOBAL__N_18offset_tEEE10hipError_tPvRmT1_PNSt15iterator_traitsIS12_E10value_typeET2_T3_PNS13_IS18_E10value_typeET4_jRbjT5_S1E_jjP12ihipStream_tbEUljE_ZNSN_ISO_Lb0ESQ_SR_ST_SU_SY_EESZ_S10_S11_S12_S16_S17_S18_S1B_S1C_jS1D_jS1E_S1E_jjS1G_bEUljE0_EEESZ_S10_S11_S18_S1C_S1E_T6_T7_T9_mT8_S1G_bDpT10_ENKUlT_T0_E_clISt17integral_constantIbLb1EES1U_EEDaS1P_S1Q_EUlS1P_E_NS1_11comp_targetILNS1_3genE5ELNS1_11target_archE942ELNS1_3gpuE9ELNS1_3repE0EEENS1_30default_config_static_selectorELNS0_4arch9wavefront6targetE0EEEvS12_,"axG",@progbits,_ZN7rocprim17ROCPRIM_400000_NS6detail17trampoline_kernelINS0_13select_configILj256ELj13ELNS0_17block_load_methodE3ELS4_3ELS4_3ELNS0_20block_scan_algorithmE0ELj4294967295EEENS1_25partition_config_selectorILNS1_17partition_subalgoE4EjNS0_10empty_typeEbEEZZNS1_14partition_implILS8_4ELb0ES6_15HIP_vector_typeIjLj2EENS0_17counting_iteratorIjlEEPS9_SG_NS0_5tupleIJPjSI_NS0_16reverse_iteratorISI_EEEEENSH_IJSG_SG_SG_EEES9_SI_JZNS1_25segmented_radix_sort_implINS0_14default_configELb0EPKbPbPKlPlN2at6native12_GLOBAL__N_18offset_tEEE10hipError_tPvRmT1_PNSt15iterator_traitsIS12_E10value_typeET2_T3_PNS13_IS18_E10value_typeET4_jRbjT5_S1E_jjP12ihipStream_tbEUljE_ZNSN_ISO_Lb0ESQ_SR_ST_SU_SY_EESZ_S10_S11_S12_S16_S17_S18_S1B_S1C_jS1D_jS1E_S1E_jjS1G_bEUljE0_EEESZ_S10_S11_S18_S1C_S1E_T6_T7_T9_mT8_S1G_bDpT10_ENKUlT_T0_E_clISt17integral_constantIbLb1EES1U_EEDaS1P_S1Q_EUlS1P_E_NS1_11comp_targetILNS1_3genE5ELNS1_11target_archE942ELNS1_3gpuE9ELNS1_3repE0EEENS1_30default_config_static_selectorELNS0_4arch9wavefront6targetE0EEEvS12_,comdat
	.globl	_ZN7rocprim17ROCPRIM_400000_NS6detail17trampoline_kernelINS0_13select_configILj256ELj13ELNS0_17block_load_methodE3ELS4_3ELS4_3ELNS0_20block_scan_algorithmE0ELj4294967295EEENS1_25partition_config_selectorILNS1_17partition_subalgoE4EjNS0_10empty_typeEbEEZZNS1_14partition_implILS8_4ELb0ES6_15HIP_vector_typeIjLj2EENS0_17counting_iteratorIjlEEPS9_SG_NS0_5tupleIJPjSI_NS0_16reverse_iteratorISI_EEEEENSH_IJSG_SG_SG_EEES9_SI_JZNS1_25segmented_radix_sort_implINS0_14default_configELb0EPKbPbPKlPlN2at6native12_GLOBAL__N_18offset_tEEE10hipError_tPvRmT1_PNSt15iterator_traitsIS12_E10value_typeET2_T3_PNS13_IS18_E10value_typeET4_jRbjT5_S1E_jjP12ihipStream_tbEUljE_ZNSN_ISO_Lb0ESQ_SR_ST_SU_SY_EESZ_S10_S11_S12_S16_S17_S18_S1B_S1C_jS1D_jS1E_S1E_jjS1G_bEUljE0_EEESZ_S10_S11_S18_S1C_S1E_T6_T7_T9_mT8_S1G_bDpT10_ENKUlT_T0_E_clISt17integral_constantIbLb1EES1U_EEDaS1P_S1Q_EUlS1P_E_NS1_11comp_targetILNS1_3genE5ELNS1_11target_archE942ELNS1_3gpuE9ELNS1_3repE0EEENS1_30default_config_static_selectorELNS0_4arch9wavefront6targetE0EEEvS12_ ; -- Begin function _ZN7rocprim17ROCPRIM_400000_NS6detail17trampoline_kernelINS0_13select_configILj256ELj13ELNS0_17block_load_methodE3ELS4_3ELS4_3ELNS0_20block_scan_algorithmE0ELj4294967295EEENS1_25partition_config_selectorILNS1_17partition_subalgoE4EjNS0_10empty_typeEbEEZZNS1_14partition_implILS8_4ELb0ES6_15HIP_vector_typeIjLj2EENS0_17counting_iteratorIjlEEPS9_SG_NS0_5tupleIJPjSI_NS0_16reverse_iteratorISI_EEEEENSH_IJSG_SG_SG_EEES9_SI_JZNS1_25segmented_radix_sort_implINS0_14default_configELb0EPKbPbPKlPlN2at6native12_GLOBAL__N_18offset_tEEE10hipError_tPvRmT1_PNSt15iterator_traitsIS12_E10value_typeET2_T3_PNS13_IS18_E10value_typeET4_jRbjT5_S1E_jjP12ihipStream_tbEUljE_ZNSN_ISO_Lb0ESQ_SR_ST_SU_SY_EESZ_S10_S11_S12_S16_S17_S18_S1B_S1C_jS1D_jS1E_S1E_jjS1G_bEUljE0_EEESZ_S10_S11_S18_S1C_S1E_T6_T7_T9_mT8_S1G_bDpT10_ENKUlT_T0_E_clISt17integral_constantIbLb1EES1U_EEDaS1P_S1Q_EUlS1P_E_NS1_11comp_targetILNS1_3genE5ELNS1_11target_archE942ELNS1_3gpuE9ELNS1_3repE0EEENS1_30default_config_static_selectorELNS0_4arch9wavefront6targetE0EEEvS12_
	.p2align	8
	.type	_ZN7rocprim17ROCPRIM_400000_NS6detail17trampoline_kernelINS0_13select_configILj256ELj13ELNS0_17block_load_methodE3ELS4_3ELS4_3ELNS0_20block_scan_algorithmE0ELj4294967295EEENS1_25partition_config_selectorILNS1_17partition_subalgoE4EjNS0_10empty_typeEbEEZZNS1_14partition_implILS8_4ELb0ES6_15HIP_vector_typeIjLj2EENS0_17counting_iteratorIjlEEPS9_SG_NS0_5tupleIJPjSI_NS0_16reverse_iteratorISI_EEEEENSH_IJSG_SG_SG_EEES9_SI_JZNS1_25segmented_radix_sort_implINS0_14default_configELb0EPKbPbPKlPlN2at6native12_GLOBAL__N_18offset_tEEE10hipError_tPvRmT1_PNSt15iterator_traitsIS12_E10value_typeET2_T3_PNS13_IS18_E10value_typeET4_jRbjT5_S1E_jjP12ihipStream_tbEUljE_ZNSN_ISO_Lb0ESQ_SR_ST_SU_SY_EESZ_S10_S11_S12_S16_S17_S18_S1B_S1C_jS1D_jS1E_S1E_jjS1G_bEUljE0_EEESZ_S10_S11_S18_S1C_S1E_T6_T7_T9_mT8_S1G_bDpT10_ENKUlT_T0_E_clISt17integral_constantIbLb1EES1U_EEDaS1P_S1Q_EUlS1P_E_NS1_11comp_targetILNS1_3genE5ELNS1_11target_archE942ELNS1_3gpuE9ELNS1_3repE0EEENS1_30default_config_static_selectorELNS0_4arch9wavefront6targetE0EEEvS12_,@function
_ZN7rocprim17ROCPRIM_400000_NS6detail17trampoline_kernelINS0_13select_configILj256ELj13ELNS0_17block_load_methodE3ELS4_3ELS4_3ELNS0_20block_scan_algorithmE0ELj4294967295EEENS1_25partition_config_selectorILNS1_17partition_subalgoE4EjNS0_10empty_typeEbEEZZNS1_14partition_implILS8_4ELb0ES6_15HIP_vector_typeIjLj2EENS0_17counting_iteratorIjlEEPS9_SG_NS0_5tupleIJPjSI_NS0_16reverse_iteratorISI_EEEEENSH_IJSG_SG_SG_EEES9_SI_JZNS1_25segmented_radix_sort_implINS0_14default_configELb0EPKbPbPKlPlN2at6native12_GLOBAL__N_18offset_tEEE10hipError_tPvRmT1_PNSt15iterator_traitsIS12_E10value_typeET2_T3_PNS13_IS18_E10value_typeET4_jRbjT5_S1E_jjP12ihipStream_tbEUljE_ZNSN_ISO_Lb0ESQ_SR_ST_SU_SY_EESZ_S10_S11_S12_S16_S17_S18_S1B_S1C_jS1D_jS1E_S1E_jjS1G_bEUljE0_EEESZ_S10_S11_S18_S1C_S1E_T6_T7_T9_mT8_S1G_bDpT10_ENKUlT_T0_E_clISt17integral_constantIbLb1EES1U_EEDaS1P_S1Q_EUlS1P_E_NS1_11comp_targetILNS1_3genE5ELNS1_11target_archE942ELNS1_3gpuE9ELNS1_3repE0EEENS1_30default_config_static_selectorELNS0_4arch9wavefront6targetE0EEEvS12_: ; @_ZN7rocprim17ROCPRIM_400000_NS6detail17trampoline_kernelINS0_13select_configILj256ELj13ELNS0_17block_load_methodE3ELS4_3ELS4_3ELNS0_20block_scan_algorithmE0ELj4294967295EEENS1_25partition_config_selectorILNS1_17partition_subalgoE4EjNS0_10empty_typeEbEEZZNS1_14partition_implILS8_4ELb0ES6_15HIP_vector_typeIjLj2EENS0_17counting_iteratorIjlEEPS9_SG_NS0_5tupleIJPjSI_NS0_16reverse_iteratorISI_EEEEENSH_IJSG_SG_SG_EEES9_SI_JZNS1_25segmented_radix_sort_implINS0_14default_configELb0EPKbPbPKlPlN2at6native12_GLOBAL__N_18offset_tEEE10hipError_tPvRmT1_PNSt15iterator_traitsIS12_E10value_typeET2_T3_PNS13_IS18_E10value_typeET4_jRbjT5_S1E_jjP12ihipStream_tbEUljE_ZNSN_ISO_Lb0ESQ_SR_ST_SU_SY_EESZ_S10_S11_S12_S16_S17_S18_S1B_S1C_jS1D_jS1E_S1E_jjS1G_bEUljE0_EEESZ_S10_S11_S18_S1C_S1E_T6_T7_T9_mT8_S1G_bDpT10_ENKUlT_T0_E_clISt17integral_constantIbLb1EES1U_EEDaS1P_S1Q_EUlS1P_E_NS1_11comp_targetILNS1_3genE5ELNS1_11target_archE942ELNS1_3gpuE9ELNS1_3repE0EEENS1_30default_config_static_selectorELNS0_4arch9wavefront6targetE0EEEvS12_
; %bb.0:
	.section	.rodata,"a",@progbits
	.p2align	6, 0x0
	.amdhsa_kernel _ZN7rocprim17ROCPRIM_400000_NS6detail17trampoline_kernelINS0_13select_configILj256ELj13ELNS0_17block_load_methodE3ELS4_3ELS4_3ELNS0_20block_scan_algorithmE0ELj4294967295EEENS1_25partition_config_selectorILNS1_17partition_subalgoE4EjNS0_10empty_typeEbEEZZNS1_14partition_implILS8_4ELb0ES6_15HIP_vector_typeIjLj2EENS0_17counting_iteratorIjlEEPS9_SG_NS0_5tupleIJPjSI_NS0_16reverse_iteratorISI_EEEEENSH_IJSG_SG_SG_EEES9_SI_JZNS1_25segmented_radix_sort_implINS0_14default_configELb0EPKbPbPKlPlN2at6native12_GLOBAL__N_18offset_tEEE10hipError_tPvRmT1_PNSt15iterator_traitsIS12_E10value_typeET2_T3_PNS13_IS18_E10value_typeET4_jRbjT5_S1E_jjP12ihipStream_tbEUljE_ZNSN_ISO_Lb0ESQ_SR_ST_SU_SY_EESZ_S10_S11_S12_S16_S17_S18_S1B_S1C_jS1D_jS1E_S1E_jjS1G_bEUljE0_EEESZ_S10_S11_S18_S1C_S1E_T6_T7_T9_mT8_S1G_bDpT10_ENKUlT_T0_E_clISt17integral_constantIbLb1EES1U_EEDaS1P_S1Q_EUlS1P_E_NS1_11comp_targetILNS1_3genE5ELNS1_11target_archE942ELNS1_3gpuE9ELNS1_3repE0EEENS1_30default_config_static_selectorELNS0_4arch9wavefront6targetE0EEEvS12_
		.amdhsa_group_segment_fixed_size 0
		.amdhsa_private_segment_fixed_size 0
		.amdhsa_kernarg_size 184
		.amdhsa_user_sgpr_count 6
		.amdhsa_user_sgpr_private_segment_buffer 1
		.amdhsa_user_sgpr_dispatch_ptr 0
		.amdhsa_user_sgpr_queue_ptr 0
		.amdhsa_user_sgpr_kernarg_segment_ptr 1
		.amdhsa_user_sgpr_dispatch_id 0
		.amdhsa_user_sgpr_flat_scratch_init 0
		.amdhsa_user_sgpr_private_segment_size 0
		.amdhsa_wavefront_size32 1
		.amdhsa_uses_dynamic_stack 0
		.amdhsa_system_sgpr_private_segment_wavefront_offset 0
		.amdhsa_system_sgpr_workgroup_id_x 1
		.amdhsa_system_sgpr_workgroup_id_y 0
		.amdhsa_system_sgpr_workgroup_id_z 0
		.amdhsa_system_sgpr_workgroup_info 0
		.amdhsa_system_vgpr_workitem_id 0
		.amdhsa_next_free_vgpr 1
		.amdhsa_next_free_sgpr 1
		.amdhsa_reserve_vcc 0
		.amdhsa_reserve_flat_scratch 0
		.amdhsa_float_round_mode_32 0
		.amdhsa_float_round_mode_16_64 0
		.amdhsa_float_denorm_mode_32 3
		.amdhsa_float_denorm_mode_16_64 3
		.amdhsa_dx10_clamp 1
		.amdhsa_ieee_mode 1
		.amdhsa_fp16_overflow 0
		.amdhsa_workgroup_processor_mode 1
		.amdhsa_memory_ordered 1
		.amdhsa_forward_progress 1
		.amdhsa_shared_vgpr_count 0
		.amdhsa_exception_fp_ieee_invalid_op 0
		.amdhsa_exception_fp_denorm_src 0
		.amdhsa_exception_fp_ieee_div_zero 0
		.amdhsa_exception_fp_ieee_overflow 0
		.amdhsa_exception_fp_ieee_underflow 0
		.amdhsa_exception_fp_ieee_inexact 0
		.amdhsa_exception_int_div_zero 0
	.end_amdhsa_kernel
	.section	.text._ZN7rocprim17ROCPRIM_400000_NS6detail17trampoline_kernelINS0_13select_configILj256ELj13ELNS0_17block_load_methodE3ELS4_3ELS4_3ELNS0_20block_scan_algorithmE0ELj4294967295EEENS1_25partition_config_selectorILNS1_17partition_subalgoE4EjNS0_10empty_typeEbEEZZNS1_14partition_implILS8_4ELb0ES6_15HIP_vector_typeIjLj2EENS0_17counting_iteratorIjlEEPS9_SG_NS0_5tupleIJPjSI_NS0_16reverse_iteratorISI_EEEEENSH_IJSG_SG_SG_EEES9_SI_JZNS1_25segmented_radix_sort_implINS0_14default_configELb0EPKbPbPKlPlN2at6native12_GLOBAL__N_18offset_tEEE10hipError_tPvRmT1_PNSt15iterator_traitsIS12_E10value_typeET2_T3_PNS13_IS18_E10value_typeET4_jRbjT5_S1E_jjP12ihipStream_tbEUljE_ZNSN_ISO_Lb0ESQ_SR_ST_SU_SY_EESZ_S10_S11_S12_S16_S17_S18_S1B_S1C_jS1D_jS1E_S1E_jjS1G_bEUljE0_EEESZ_S10_S11_S18_S1C_S1E_T6_T7_T9_mT8_S1G_bDpT10_ENKUlT_T0_E_clISt17integral_constantIbLb1EES1U_EEDaS1P_S1Q_EUlS1P_E_NS1_11comp_targetILNS1_3genE5ELNS1_11target_archE942ELNS1_3gpuE9ELNS1_3repE0EEENS1_30default_config_static_selectorELNS0_4arch9wavefront6targetE0EEEvS12_,"axG",@progbits,_ZN7rocprim17ROCPRIM_400000_NS6detail17trampoline_kernelINS0_13select_configILj256ELj13ELNS0_17block_load_methodE3ELS4_3ELS4_3ELNS0_20block_scan_algorithmE0ELj4294967295EEENS1_25partition_config_selectorILNS1_17partition_subalgoE4EjNS0_10empty_typeEbEEZZNS1_14partition_implILS8_4ELb0ES6_15HIP_vector_typeIjLj2EENS0_17counting_iteratorIjlEEPS9_SG_NS0_5tupleIJPjSI_NS0_16reverse_iteratorISI_EEEEENSH_IJSG_SG_SG_EEES9_SI_JZNS1_25segmented_radix_sort_implINS0_14default_configELb0EPKbPbPKlPlN2at6native12_GLOBAL__N_18offset_tEEE10hipError_tPvRmT1_PNSt15iterator_traitsIS12_E10value_typeET2_T3_PNS13_IS18_E10value_typeET4_jRbjT5_S1E_jjP12ihipStream_tbEUljE_ZNSN_ISO_Lb0ESQ_SR_ST_SU_SY_EESZ_S10_S11_S12_S16_S17_S18_S1B_S1C_jS1D_jS1E_S1E_jjS1G_bEUljE0_EEESZ_S10_S11_S18_S1C_S1E_T6_T7_T9_mT8_S1G_bDpT10_ENKUlT_T0_E_clISt17integral_constantIbLb1EES1U_EEDaS1P_S1Q_EUlS1P_E_NS1_11comp_targetILNS1_3genE5ELNS1_11target_archE942ELNS1_3gpuE9ELNS1_3repE0EEENS1_30default_config_static_selectorELNS0_4arch9wavefront6targetE0EEEvS12_,comdat
.Lfunc_end1571:
	.size	_ZN7rocprim17ROCPRIM_400000_NS6detail17trampoline_kernelINS0_13select_configILj256ELj13ELNS0_17block_load_methodE3ELS4_3ELS4_3ELNS0_20block_scan_algorithmE0ELj4294967295EEENS1_25partition_config_selectorILNS1_17partition_subalgoE4EjNS0_10empty_typeEbEEZZNS1_14partition_implILS8_4ELb0ES6_15HIP_vector_typeIjLj2EENS0_17counting_iteratorIjlEEPS9_SG_NS0_5tupleIJPjSI_NS0_16reverse_iteratorISI_EEEEENSH_IJSG_SG_SG_EEES9_SI_JZNS1_25segmented_radix_sort_implINS0_14default_configELb0EPKbPbPKlPlN2at6native12_GLOBAL__N_18offset_tEEE10hipError_tPvRmT1_PNSt15iterator_traitsIS12_E10value_typeET2_T3_PNS13_IS18_E10value_typeET4_jRbjT5_S1E_jjP12ihipStream_tbEUljE_ZNSN_ISO_Lb0ESQ_SR_ST_SU_SY_EESZ_S10_S11_S12_S16_S17_S18_S1B_S1C_jS1D_jS1E_S1E_jjS1G_bEUljE0_EEESZ_S10_S11_S18_S1C_S1E_T6_T7_T9_mT8_S1G_bDpT10_ENKUlT_T0_E_clISt17integral_constantIbLb1EES1U_EEDaS1P_S1Q_EUlS1P_E_NS1_11comp_targetILNS1_3genE5ELNS1_11target_archE942ELNS1_3gpuE9ELNS1_3repE0EEENS1_30default_config_static_selectorELNS0_4arch9wavefront6targetE0EEEvS12_, .Lfunc_end1571-_ZN7rocprim17ROCPRIM_400000_NS6detail17trampoline_kernelINS0_13select_configILj256ELj13ELNS0_17block_load_methodE3ELS4_3ELS4_3ELNS0_20block_scan_algorithmE0ELj4294967295EEENS1_25partition_config_selectorILNS1_17partition_subalgoE4EjNS0_10empty_typeEbEEZZNS1_14partition_implILS8_4ELb0ES6_15HIP_vector_typeIjLj2EENS0_17counting_iteratorIjlEEPS9_SG_NS0_5tupleIJPjSI_NS0_16reverse_iteratorISI_EEEEENSH_IJSG_SG_SG_EEES9_SI_JZNS1_25segmented_radix_sort_implINS0_14default_configELb0EPKbPbPKlPlN2at6native12_GLOBAL__N_18offset_tEEE10hipError_tPvRmT1_PNSt15iterator_traitsIS12_E10value_typeET2_T3_PNS13_IS18_E10value_typeET4_jRbjT5_S1E_jjP12ihipStream_tbEUljE_ZNSN_ISO_Lb0ESQ_SR_ST_SU_SY_EESZ_S10_S11_S12_S16_S17_S18_S1B_S1C_jS1D_jS1E_S1E_jjS1G_bEUljE0_EEESZ_S10_S11_S18_S1C_S1E_T6_T7_T9_mT8_S1G_bDpT10_ENKUlT_T0_E_clISt17integral_constantIbLb1EES1U_EEDaS1P_S1Q_EUlS1P_E_NS1_11comp_targetILNS1_3genE5ELNS1_11target_archE942ELNS1_3gpuE9ELNS1_3repE0EEENS1_30default_config_static_selectorELNS0_4arch9wavefront6targetE0EEEvS12_
                                        ; -- End function
	.set _ZN7rocprim17ROCPRIM_400000_NS6detail17trampoline_kernelINS0_13select_configILj256ELj13ELNS0_17block_load_methodE3ELS4_3ELS4_3ELNS0_20block_scan_algorithmE0ELj4294967295EEENS1_25partition_config_selectorILNS1_17partition_subalgoE4EjNS0_10empty_typeEbEEZZNS1_14partition_implILS8_4ELb0ES6_15HIP_vector_typeIjLj2EENS0_17counting_iteratorIjlEEPS9_SG_NS0_5tupleIJPjSI_NS0_16reverse_iteratorISI_EEEEENSH_IJSG_SG_SG_EEES9_SI_JZNS1_25segmented_radix_sort_implINS0_14default_configELb0EPKbPbPKlPlN2at6native12_GLOBAL__N_18offset_tEEE10hipError_tPvRmT1_PNSt15iterator_traitsIS12_E10value_typeET2_T3_PNS13_IS18_E10value_typeET4_jRbjT5_S1E_jjP12ihipStream_tbEUljE_ZNSN_ISO_Lb0ESQ_SR_ST_SU_SY_EESZ_S10_S11_S12_S16_S17_S18_S1B_S1C_jS1D_jS1E_S1E_jjS1G_bEUljE0_EEESZ_S10_S11_S18_S1C_S1E_T6_T7_T9_mT8_S1G_bDpT10_ENKUlT_T0_E_clISt17integral_constantIbLb1EES1U_EEDaS1P_S1Q_EUlS1P_E_NS1_11comp_targetILNS1_3genE5ELNS1_11target_archE942ELNS1_3gpuE9ELNS1_3repE0EEENS1_30default_config_static_selectorELNS0_4arch9wavefront6targetE0EEEvS12_.num_vgpr, 0
	.set _ZN7rocprim17ROCPRIM_400000_NS6detail17trampoline_kernelINS0_13select_configILj256ELj13ELNS0_17block_load_methodE3ELS4_3ELS4_3ELNS0_20block_scan_algorithmE0ELj4294967295EEENS1_25partition_config_selectorILNS1_17partition_subalgoE4EjNS0_10empty_typeEbEEZZNS1_14partition_implILS8_4ELb0ES6_15HIP_vector_typeIjLj2EENS0_17counting_iteratorIjlEEPS9_SG_NS0_5tupleIJPjSI_NS0_16reverse_iteratorISI_EEEEENSH_IJSG_SG_SG_EEES9_SI_JZNS1_25segmented_radix_sort_implINS0_14default_configELb0EPKbPbPKlPlN2at6native12_GLOBAL__N_18offset_tEEE10hipError_tPvRmT1_PNSt15iterator_traitsIS12_E10value_typeET2_T3_PNS13_IS18_E10value_typeET4_jRbjT5_S1E_jjP12ihipStream_tbEUljE_ZNSN_ISO_Lb0ESQ_SR_ST_SU_SY_EESZ_S10_S11_S12_S16_S17_S18_S1B_S1C_jS1D_jS1E_S1E_jjS1G_bEUljE0_EEESZ_S10_S11_S18_S1C_S1E_T6_T7_T9_mT8_S1G_bDpT10_ENKUlT_T0_E_clISt17integral_constantIbLb1EES1U_EEDaS1P_S1Q_EUlS1P_E_NS1_11comp_targetILNS1_3genE5ELNS1_11target_archE942ELNS1_3gpuE9ELNS1_3repE0EEENS1_30default_config_static_selectorELNS0_4arch9wavefront6targetE0EEEvS12_.num_agpr, 0
	.set _ZN7rocprim17ROCPRIM_400000_NS6detail17trampoline_kernelINS0_13select_configILj256ELj13ELNS0_17block_load_methodE3ELS4_3ELS4_3ELNS0_20block_scan_algorithmE0ELj4294967295EEENS1_25partition_config_selectorILNS1_17partition_subalgoE4EjNS0_10empty_typeEbEEZZNS1_14partition_implILS8_4ELb0ES6_15HIP_vector_typeIjLj2EENS0_17counting_iteratorIjlEEPS9_SG_NS0_5tupleIJPjSI_NS0_16reverse_iteratorISI_EEEEENSH_IJSG_SG_SG_EEES9_SI_JZNS1_25segmented_radix_sort_implINS0_14default_configELb0EPKbPbPKlPlN2at6native12_GLOBAL__N_18offset_tEEE10hipError_tPvRmT1_PNSt15iterator_traitsIS12_E10value_typeET2_T3_PNS13_IS18_E10value_typeET4_jRbjT5_S1E_jjP12ihipStream_tbEUljE_ZNSN_ISO_Lb0ESQ_SR_ST_SU_SY_EESZ_S10_S11_S12_S16_S17_S18_S1B_S1C_jS1D_jS1E_S1E_jjS1G_bEUljE0_EEESZ_S10_S11_S18_S1C_S1E_T6_T7_T9_mT8_S1G_bDpT10_ENKUlT_T0_E_clISt17integral_constantIbLb1EES1U_EEDaS1P_S1Q_EUlS1P_E_NS1_11comp_targetILNS1_3genE5ELNS1_11target_archE942ELNS1_3gpuE9ELNS1_3repE0EEENS1_30default_config_static_selectorELNS0_4arch9wavefront6targetE0EEEvS12_.numbered_sgpr, 0
	.set _ZN7rocprim17ROCPRIM_400000_NS6detail17trampoline_kernelINS0_13select_configILj256ELj13ELNS0_17block_load_methodE3ELS4_3ELS4_3ELNS0_20block_scan_algorithmE0ELj4294967295EEENS1_25partition_config_selectorILNS1_17partition_subalgoE4EjNS0_10empty_typeEbEEZZNS1_14partition_implILS8_4ELb0ES6_15HIP_vector_typeIjLj2EENS0_17counting_iteratorIjlEEPS9_SG_NS0_5tupleIJPjSI_NS0_16reverse_iteratorISI_EEEEENSH_IJSG_SG_SG_EEES9_SI_JZNS1_25segmented_radix_sort_implINS0_14default_configELb0EPKbPbPKlPlN2at6native12_GLOBAL__N_18offset_tEEE10hipError_tPvRmT1_PNSt15iterator_traitsIS12_E10value_typeET2_T3_PNS13_IS18_E10value_typeET4_jRbjT5_S1E_jjP12ihipStream_tbEUljE_ZNSN_ISO_Lb0ESQ_SR_ST_SU_SY_EESZ_S10_S11_S12_S16_S17_S18_S1B_S1C_jS1D_jS1E_S1E_jjS1G_bEUljE0_EEESZ_S10_S11_S18_S1C_S1E_T6_T7_T9_mT8_S1G_bDpT10_ENKUlT_T0_E_clISt17integral_constantIbLb1EES1U_EEDaS1P_S1Q_EUlS1P_E_NS1_11comp_targetILNS1_3genE5ELNS1_11target_archE942ELNS1_3gpuE9ELNS1_3repE0EEENS1_30default_config_static_selectorELNS0_4arch9wavefront6targetE0EEEvS12_.num_named_barrier, 0
	.set _ZN7rocprim17ROCPRIM_400000_NS6detail17trampoline_kernelINS0_13select_configILj256ELj13ELNS0_17block_load_methodE3ELS4_3ELS4_3ELNS0_20block_scan_algorithmE0ELj4294967295EEENS1_25partition_config_selectorILNS1_17partition_subalgoE4EjNS0_10empty_typeEbEEZZNS1_14partition_implILS8_4ELb0ES6_15HIP_vector_typeIjLj2EENS0_17counting_iteratorIjlEEPS9_SG_NS0_5tupleIJPjSI_NS0_16reverse_iteratorISI_EEEEENSH_IJSG_SG_SG_EEES9_SI_JZNS1_25segmented_radix_sort_implINS0_14default_configELb0EPKbPbPKlPlN2at6native12_GLOBAL__N_18offset_tEEE10hipError_tPvRmT1_PNSt15iterator_traitsIS12_E10value_typeET2_T3_PNS13_IS18_E10value_typeET4_jRbjT5_S1E_jjP12ihipStream_tbEUljE_ZNSN_ISO_Lb0ESQ_SR_ST_SU_SY_EESZ_S10_S11_S12_S16_S17_S18_S1B_S1C_jS1D_jS1E_S1E_jjS1G_bEUljE0_EEESZ_S10_S11_S18_S1C_S1E_T6_T7_T9_mT8_S1G_bDpT10_ENKUlT_T0_E_clISt17integral_constantIbLb1EES1U_EEDaS1P_S1Q_EUlS1P_E_NS1_11comp_targetILNS1_3genE5ELNS1_11target_archE942ELNS1_3gpuE9ELNS1_3repE0EEENS1_30default_config_static_selectorELNS0_4arch9wavefront6targetE0EEEvS12_.private_seg_size, 0
	.set _ZN7rocprim17ROCPRIM_400000_NS6detail17trampoline_kernelINS0_13select_configILj256ELj13ELNS0_17block_load_methodE3ELS4_3ELS4_3ELNS0_20block_scan_algorithmE0ELj4294967295EEENS1_25partition_config_selectorILNS1_17partition_subalgoE4EjNS0_10empty_typeEbEEZZNS1_14partition_implILS8_4ELb0ES6_15HIP_vector_typeIjLj2EENS0_17counting_iteratorIjlEEPS9_SG_NS0_5tupleIJPjSI_NS0_16reverse_iteratorISI_EEEEENSH_IJSG_SG_SG_EEES9_SI_JZNS1_25segmented_radix_sort_implINS0_14default_configELb0EPKbPbPKlPlN2at6native12_GLOBAL__N_18offset_tEEE10hipError_tPvRmT1_PNSt15iterator_traitsIS12_E10value_typeET2_T3_PNS13_IS18_E10value_typeET4_jRbjT5_S1E_jjP12ihipStream_tbEUljE_ZNSN_ISO_Lb0ESQ_SR_ST_SU_SY_EESZ_S10_S11_S12_S16_S17_S18_S1B_S1C_jS1D_jS1E_S1E_jjS1G_bEUljE0_EEESZ_S10_S11_S18_S1C_S1E_T6_T7_T9_mT8_S1G_bDpT10_ENKUlT_T0_E_clISt17integral_constantIbLb1EES1U_EEDaS1P_S1Q_EUlS1P_E_NS1_11comp_targetILNS1_3genE5ELNS1_11target_archE942ELNS1_3gpuE9ELNS1_3repE0EEENS1_30default_config_static_selectorELNS0_4arch9wavefront6targetE0EEEvS12_.uses_vcc, 0
	.set _ZN7rocprim17ROCPRIM_400000_NS6detail17trampoline_kernelINS0_13select_configILj256ELj13ELNS0_17block_load_methodE3ELS4_3ELS4_3ELNS0_20block_scan_algorithmE0ELj4294967295EEENS1_25partition_config_selectorILNS1_17partition_subalgoE4EjNS0_10empty_typeEbEEZZNS1_14partition_implILS8_4ELb0ES6_15HIP_vector_typeIjLj2EENS0_17counting_iteratorIjlEEPS9_SG_NS0_5tupleIJPjSI_NS0_16reverse_iteratorISI_EEEEENSH_IJSG_SG_SG_EEES9_SI_JZNS1_25segmented_radix_sort_implINS0_14default_configELb0EPKbPbPKlPlN2at6native12_GLOBAL__N_18offset_tEEE10hipError_tPvRmT1_PNSt15iterator_traitsIS12_E10value_typeET2_T3_PNS13_IS18_E10value_typeET4_jRbjT5_S1E_jjP12ihipStream_tbEUljE_ZNSN_ISO_Lb0ESQ_SR_ST_SU_SY_EESZ_S10_S11_S12_S16_S17_S18_S1B_S1C_jS1D_jS1E_S1E_jjS1G_bEUljE0_EEESZ_S10_S11_S18_S1C_S1E_T6_T7_T9_mT8_S1G_bDpT10_ENKUlT_T0_E_clISt17integral_constantIbLb1EES1U_EEDaS1P_S1Q_EUlS1P_E_NS1_11comp_targetILNS1_3genE5ELNS1_11target_archE942ELNS1_3gpuE9ELNS1_3repE0EEENS1_30default_config_static_selectorELNS0_4arch9wavefront6targetE0EEEvS12_.uses_flat_scratch, 0
	.set _ZN7rocprim17ROCPRIM_400000_NS6detail17trampoline_kernelINS0_13select_configILj256ELj13ELNS0_17block_load_methodE3ELS4_3ELS4_3ELNS0_20block_scan_algorithmE0ELj4294967295EEENS1_25partition_config_selectorILNS1_17partition_subalgoE4EjNS0_10empty_typeEbEEZZNS1_14partition_implILS8_4ELb0ES6_15HIP_vector_typeIjLj2EENS0_17counting_iteratorIjlEEPS9_SG_NS0_5tupleIJPjSI_NS0_16reverse_iteratorISI_EEEEENSH_IJSG_SG_SG_EEES9_SI_JZNS1_25segmented_radix_sort_implINS0_14default_configELb0EPKbPbPKlPlN2at6native12_GLOBAL__N_18offset_tEEE10hipError_tPvRmT1_PNSt15iterator_traitsIS12_E10value_typeET2_T3_PNS13_IS18_E10value_typeET4_jRbjT5_S1E_jjP12ihipStream_tbEUljE_ZNSN_ISO_Lb0ESQ_SR_ST_SU_SY_EESZ_S10_S11_S12_S16_S17_S18_S1B_S1C_jS1D_jS1E_S1E_jjS1G_bEUljE0_EEESZ_S10_S11_S18_S1C_S1E_T6_T7_T9_mT8_S1G_bDpT10_ENKUlT_T0_E_clISt17integral_constantIbLb1EES1U_EEDaS1P_S1Q_EUlS1P_E_NS1_11comp_targetILNS1_3genE5ELNS1_11target_archE942ELNS1_3gpuE9ELNS1_3repE0EEENS1_30default_config_static_selectorELNS0_4arch9wavefront6targetE0EEEvS12_.has_dyn_sized_stack, 0
	.set _ZN7rocprim17ROCPRIM_400000_NS6detail17trampoline_kernelINS0_13select_configILj256ELj13ELNS0_17block_load_methodE3ELS4_3ELS4_3ELNS0_20block_scan_algorithmE0ELj4294967295EEENS1_25partition_config_selectorILNS1_17partition_subalgoE4EjNS0_10empty_typeEbEEZZNS1_14partition_implILS8_4ELb0ES6_15HIP_vector_typeIjLj2EENS0_17counting_iteratorIjlEEPS9_SG_NS0_5tupleIJPjSI_NS0_16reverse_iteratorISI_EEEEENSH_IJSG_SG_SG_EEES9_SI_JZNS1_25segmented_radix_sort_implINS0_14default_configELb0EPKbPbPKlPlN2at6native12_GLOBAL__N_18offset_tEEE10hipError_tPvRmT1_PNSt15iterator_traitsIS12_E10value_typeET2_T3_PNS13_IS18_E10value_typeET4_jRbjT5_S1E_jjP12ihipStream_tbEUljE_ZNSN_ISO_Lb0ESQ_SR_ST_SU_SY_EESZ_S10_S11_S12_S16_S17_S18_S1B_S1C_jS1D_jS1E_S1E_jjS1G_bEUljE0_EEESZ_S10_S11_S18_S1C_S1E_T6_T7_T9_mT8_S1G_bDpT10_ENKUlT_T0_E_clISt17integral_constantIbLb1EES1U_EEDaS1P_S1Q_EUlS1P_E_NS1_11comp_targetILNS1_3genE5ELNS1_11target_archE942ELNS1_3gpuE9ELNS1_3repE0EEENS1_30default_config_static_selectorELNS0_4arch9wavefront6targetE0EEEvS12_.has_recursion, 0
	.set _ZN7rocprim17ROCPRIM_400000_NS6detail17trampoline_kernelINS0_13select_configILj256ELj13ELNS0_17block_load_methodE3ELS4_3ELS4_3ELNS0_20block_scan_algorithmE0ELj4294967295EEENS1_25partition_config_selectorILNS1_17partition_subalgoE4EjNS0_10empty_typeEbEEZZNS1_14partition_implILS8_4ELb0ES6_15HIP_vector_typeIjLj2EENS0_17counting_iteratorIjlEEPS9_SG_NS0_5tupleIJPjSI_NS0_16reverse_iteratorISI_EEEEENSH_IJSG_SG_SG_EEES9_SI_JZNS1_25segmented_radix_sort_implINS0_14default_configELb0EPKbPbPKlPlN2at6native12_GLOBAL__N_18offset_tEEE10hipError_tPvRmT1_PNSt15iterator_traitsIS12_E10value_typeET2_T3_PNS13_IS18_E10value_typeET4_jRbjT5_S1E_jjP12ihipStream_tbEUljE_ZNSN_ISO_Lb0ESQ_SR_ST_SU_SY_EESZ_S10_S11_S12_S16_S17_S18_S1B_S1C_jS1D_jS1E_S1E_jjS1G_bEUljE0_EEESZ_S10_S11_S18_S1C_S1E_T6_T7_T9_mT8_S1G_bDpT10_ENKUlT_T0_E_clISt17integral_constantIbLb1EES1U_EEDaS1P_S1Q_EUlS1P_E_NS1_11comp_targetILNS1_3genE5ELNS1_11target_archE942ELNS1_3gpuE9ELNS1_3repE0EEENS1_30default_config_static_selectorELNS0_4arch9wavefront6targetE0EEEvS12_.has_indirect_call, 0
	.section	.AMDGPU.csdata,"",@progbits
; Kernel info:
; codeLenInByte = 0
; TotalNumSgprs: 0
; NumVgprs: 0
; ScratchSize: 0
; MemoryBound: 0
; FloatMode: 240
; IeeeMode: 1
; LDSByteSize: 0 bytes/workgroup (compile time only)
; SGPRBlocks: 0
; VGPRBlocks: 0
; NumSGPRsForWavesPerEU: 1
; NumVGPRsForWavesPerEU: 1
; Occupancy: 16
; WaveLimiterHint : 0
; COMPUTE_PGM_RSRC2:SCRATCH_EN: 0
; COMPUTE_PGM_RSRC2:USER_SGPR: 6
; COMPUTE_PGM_RSRC2:TRAP_HANDLER: 0
; COMPUTE_PGM_RSRC2:TGID_X_EN: 1
; COMPUTE_PGM_RSRC2:TGID_Y_EN: 0
; COMPUTE_PGM_RSRC2:TGID_Z_EN: 0
; COMPUTE_PGM_RSRC2:TIDIG_COMP_CNT: 0
	.section	.text._ZN7rocprim17ROCPRIM_400000_NS6detail17trampoline_kernelINS0_13select_configILj256ELj13ELNS0_17block_load_methodE3ELS4_3ELS4_3ELNS0_20block_scan_algorithmE0ELj4294967295EEENS1_25partition_config_selectorILNS1_17partition_subalgoE4EjNS0_10empty_typeEbEEZZNS1_14partition_implILS8_4ELb0ES6_15HIP_vector_typeIjLj2EENS0_17counting_iteratorIjlEEPS9_SG_NS0_5tupleIJPjSI_NS0_16reverse_iteratorISI_EEEEENSH_IJSG_SG_SG_EEES9_SI_JZNS1_25segmented_radix_sort_implINS0_14default_configELb0EPKbPbPKlPlN2at6native12_GLOBAL__N_18offset_tEEE10hipError_tPvRmT1_PNSt15iterator_traitsIS12_E10value_typeET2_T3_PNS13_IS18_E10value_typeET4_jRbjT5_S1E_jjP12ihipStream_tbEUljE_ZNSN_ISO_Lb0ESQ_SR_ST_SU_SY_EESZ_S10_S11_S12_S16_S17_S18_S1B_S1C_jS1D_jS1E_S1E_jjS1G_bEUljE0_EEESZ_S10_S11_S18_S1C_S1E_T6_T7_T9_mT8_S1G_bDpT10_ENKUlT_T0_E_clISt17integral_constantIbLb1EES1U_EEDaS1P_S1Q_EUlS1P_E_NS1_11comp_targetILNS1_3genE4ELNS1_11target_archE910ELNS1_3gpuE8ELNS1_3repE0EEENS1_30default_config_static_selectorELNS0_4arch9wavefront6targetE0EEEvS12_,"axG",@progbits,_ZN7rocprim17ROCPRIM_400000_NS6detail17trampoline_kernelINS0_13select_configILj256ELj13ELNS0_17block_load_methodE3ELS4_3ELS4_3ELNS0_20block_scan_algorithmE0ELj4294967295EEENS1_25partition_config_selectorILNS1_17partition_subalgoE4EjNS0_10empty_typeEbEEZZNS1_14partition_implILS8_4ELb0ES6_15HIP_vector_typeIjLj2EENS0_17counting_iteratorIjlEEPS9_SG_NS0_5tupleIJPjSI_NS0_16reverse_iteratorISI_EEEEENSH_IJSG_SG_SG_EEES9_SI_JZNS1_25segmented_radix_sort_implINS0_14default_configELb0EPKbPbPKlPlN2at6native12_GLOBAL__N_18offset_tEEE10hipError_tPvRmT1_PNSt15iterator_traitsIS12_E10value_typeET2_T3_PNS13_IS18_E10value_typeET4_jRbjT5_S1E_jjP12ihipStream_tbEUljE_ZNSN_ISO_Lb0ESQ_SR_ST_SU_SY_EESZ_S10_S11_S12_S16_S17_S18_S1B_S1C_jS1D_jS1E_S1E_jjS1G_bEUljE0_EEESZ_S10_S11_S18_S1C_S1E_T6_T7_T9_mT8_S1G_bDpT10_ENKUlT_T0_E_clISt17integral_constantIbLb1EES1U_EEDaS1P_S1Q_EUlS1P_E_NS1_11comp_targetILNS1_3genE4ELNS1_11target_archE910ELNS1_3gpuE8ELNS1_3repE0EEENS1_30default_config_static_selectorELNS0_4arch9wavefront6targetE0EEEvS12_,comdat
	.globl	_ZN7rocprim17ROCPRIM_400000_NS6detail17trampoline_kernelINS0_13select_configILj256ELj13ELNS0_17block_load_methodE3ELS4_3ELS4_3ELNS0_20block_scan_algorithmE0ELj4294967295EEENS1_25partition_config_selectorILNS1_17partition_subalgoE4EjNS0_10empty_typeEbEEZZNS1_14partition_implILS8_4ELb0ES6_15HIP_vector_typeIjLj2EENS0_17counting_iteratorIjlEEPS9_SG_NS0_5tupleIJPjSI_NS0_16reverse_iteratorISI_EEEEENSH_IJSG_SG_SG_EEES9_SI_JZNS1_25segmented_radix_sort_implINS0_14default_configELb0EPKbPbPKlPlN2at6native12_GLOBAL__N_18offset_tEEE10hipError_tPvRmT1_PNSt15iterator_traitsIS12_E10value_typeET2_T3_PNS13_IS18_E10value_typeET4_jRbjT5_S1E_jjP12ihipStream_tbEUljE_ZNSN_ISO_Lb0ESQ_SR_ST_SU_SY_EESZ_S10_S11_S12_S16_S17_S18_S1B_S1C_jS1D_jS1E_S1E_jjS1G_bEUljE0_EEESZ_S10_S11_S18_S1C_S1E_T6_T7_T9_mT8_S1G_bDpT10_ENKUlT_T0_E_clISt17integral_constantIbLb1EES1U_EEDaS1P_S1Q_EUlS1P_E_NS1_11comp_targetILNS1_3genE4ELNS1_11target_archE910ELNS1_3gpuE8ELNS1_3repE0EEENS1_30default_config_static_selectorELNS0_4arch9wavefront6targetE0EEEvS12_ ; -- Begin function _ZN7rocprim17ROCPRIM_400000_NS6detail17trampoline_kernelINS0_13select_configILj256ELj13ELNS0_17block_load_methodE3ELS4_3ELS4_3ELNS0_20block_scan_algorithmE0ELj4294967295EEENS1_25partition_config_selectorILNS1_17partition_subalgoE4EjNS0_10empty_typeEbEEZZNS1_14partition_implILS8_4ELb0ES6_15HIP_vector_typeIjLj2EENS0_17counting_iteratorIjlEEPS9_SG_NS0_5tupleIJPjSI_NS0_16reverse_iteratorISI_EEEEENSH_IJSG_SG_SG_EEES9_SI_JZNS1_25segmented_radix_sort_implINS0_14default_configELb0EPKbPbPKlPlN2at6native12_GLOBAL__N_18offset_tEEE10hipError_tPvRmT1_PNSt15iterator_traitsIS12_E10value_typeET2_T3_PNS13_IS18_E10value_typeET4_jRbjT5_S1E_jjP12ihipStream_tbEUljE_ZNSN_ISO_Lb0ESQ_SR_ST_SU_SY_EESZ_S10_S11_S12_S16_S17_S18_S1B_S1C_jS1D_jS1E_S1E_jjS1G_bEUljE0_EEESZ_S10_S11_S18_S1C_S1E_T6_T7_T9_mT8_S1G_bDpT10_ENKUlT_T0_E_clISt17integral_constantIbLb1EES1U_EEDaS1P_S1Q_EUlS1P_E_NS1_11comp_targetILNS1_3genE4ELNS1_11target_archE910ELNS1_3gpuE8ELNS1_3repE0EEENS1_30default_config_static_selectorELNS0_4arch9wavefront6targetE0EEEvS12_
	.p2align	8
	.type	_ZN7rocprim17ROCPRIM_400000_NS6detail17trampoline_kernelINS0_13select_configILj256ELj13ELNS0_17block_load_methodE3ELS4_3ELS4_3ELNS0_20block_scan_algorithmE0ELj4294967295EEENS1_25partition_config_selectorILNS1_17partition_subalgoE4EjNS0_10empty_typeEbEEZZNS1_14partition_implILS8_4ELb0ES6_15HIP_vector_typeIjLj2EENS0_17counting_iteratorIjlEEPS9_SG_NS0_5tupleIJPjSI_NS0_16reverse_iteratorISI_EEEEENSH_IJSG_SG_SG_EEES9_SI_JZNS1_25segmented_radix_sort_implINS0_14default_configELb0EPKbPbPKlPlN2at6native12_GLOBAL__N_18offset_tEEE10hipError_tPvRmT1_PNSt15iterator_traitsIS12_E10value_typeET2_T3_PNS13_IS18_E10value_typeET4_jRbjT5_S1E_jjP12ihipStream_tbEUljE_ZNSN_ISO_Lb0ESQ_SR_ST_SU_SY_EESZ_S10_S11_S12_S16_S17_S18_S1B_S1C_jS1D_jS1E_S1E_jjS1G_bEUljE0_EEESZ_S10_S11_S18_S1C_S1E_T6_T7_T9_mT8_S1G_bDpT10_ENKUlT_T0_E_clISt17integral_constantIbLb1EES1U_EEDaS1P_S1Q_EUlS1P_E_NS1_11comp_targetILNS1_3genE4ELNS1_11target_archE910ELNS1_3gpuE8ELNS1_3repE0EEENS1_30default_config_static_selectorELNS0_4arch9wavefront6targetE0EEEvS12_,@function
_ZN7rocprim17ROCPRIM_400000_NS6detail17trampoline_kernelINS0_13select_configILj256ELj13ELNS0_17block_load_methodE3ELS4_3ELS4_3ELNS0_20block_scan_algorithmE0ELj4294967295EEENS1_25partition_config_selectorILNS1_17partition_subalgoE4EjNS0_10empty_typeEbEEZZNS1_14partition_implILS8_4ELb0ES6_15HIP_vector_typeIjLj2EENS0_17counting_iteratorIjlEEPS9_SG_NS0_5tupleIJPjSI_NS0_16reverse_iteratorISI_EEEEENSH_IJSG_SG_SG_EEES9_SI_JZNS1_25segmented_radix_sort_implINS0_14default_configELb0EPKbPbPKlPlN2at6native12_GLOBAL__N_18offset_tEEE10hipError_tPvRmT1_PNSt15iterator_traitsIS12_E10value_typeET2_T3_PNS13_IS18_E10value_typeET4_jRbjT5_S1E_jjP12ihipStream_tbEUljE_ZNSN_ISO_Lb0ESQ_SR_ST_SU_SY_EESZ_S10_S11_S12_S16_S17_S18_S1B_S1C_jS1D_jS1E_S1E_jjS1G_bEUljE0_EEESZ_S10_S11_S18_S1C_S1E_T6_T7_T9_mT8_S1G_bDpT10_ENKUlT_T0_E_clISt17integral_constantIbLb1EES1U_EEDaS1P_S1Q_EUlS1P_E_NS1_11comp_targetILNS1_3genE4ELNS1_11target_archE910ELNS1_3gpuE8ELNS1_3repE0EEENS1_30default_config_static_selectorELNS0_4arch9wavefront6targetE0EEEvS12_: ; @_ZN7rocprim17ROCPRIM_400000_NS6detail17trampoline_kernelINS0_13select_configILj256ELj13ELNS0_17block_load_methodE3ELS4_3ELS4_3ELNS0_20block_scan_algorithmE0ELj4294967295EEENS1_25partition_config_selectorILNS1_17partition_subalgoE4EjNS0_10empty_typeEbEEZZNS1_14partition_implILS8_4ELb0ES6_15HIP_vector_typeIjLj2EENS0_17counting_iteratorIjlEEPS9_SG_NS0_5tupleIJPjSI_NS0_16reverse_iteratorISI_EEEEENSH_IJSG_SG_SG_EEES9_SI_JZNS1_25segmented_radix_sort_implINS0_14default_configELb0EPKbPbPKlPlN2at6native12_GLOBAL__N_18offset_tEEE10hipError_tPvRmT1_PNSt15iterator_traitsIS12_E10value_typeET2_T3_PNS13_IS18_E10value_typeET4_jRbjT5_S1E_jjP12ihipStream_tbEUljE_ZNSN_ISO_Lb0ESQ_SR_ST_SU_SY_EESZ_S10_S11_S12_S16_S17_S18_S1B_S1C_jS1D_jS1E_S1E_jjS1G_bEUljE0_EEESZ_S10_S11_S18_S1C_S1E_T6_T7_T9_mT8_S1G_bDpT10_ENKUlT_T0_E_clISt17integral_constantIbLb1EES1U_EEDaS1P_S1Q_EUlS1P_E_NS1_11comp_targetILNS1_3genE4ELNS1_11target_archE910ELNS1_3gpuE8ELNS1_3repE0EEENS1_30default_config_static_selectorELNS0_4arch9wavefront6targetE0EEEvS12_
; %bb.0:
	.section	.rodata,"a",@progbits
	.p2align	6, 0x0
	.amdhsa_kernel _ZN7rocprim17ROCPRIM_400000_NS6detail17trampoline_kernelINS0_13select_configILj256ELj13ELNS0_17block_load_methodE3ELS4_3ELS4_3ELNS0_20block_scan_algorithmE0ELj4294967295EEENS1_25partition_config_selectorILNS1_17partition_subalgoE4EjNS0_10empty_typeEbEEZZNS1_14partition_implILS8_4ELb0ES6_15HIP_vector_typeIjLj2EENS0_17counting_iteratorIjlEEPS9_SG_NS0_5tupleIJPjSI_NS0_16reverse_iteratorISI_EEEEENSH_IJSG_SG_SG_EEES9_SI_JZNS1_25segmented_radix_sort_implINS0_14default_configELb0EPKbPbPKlPlN2at6native12_GLOBAL__N_18offset_tEEE10hipError_tPvRmT1_PNSt15iterator_traitsIS12_E10value_typeET2_T3_PNS13_IS18_E10value_typeET4_jRbjT5_S1E_jjP12ihipStream_tbEUljE_ZNSN_ISO_Lb0ESQ_SR_ST_SU_SY_EESZ_S10_S11_S12_S16_S17_S18_S1B_S1C_jS1D_jS1E_S1E_jjS1G_bEUljE0_EEESZ_S10_S11_S18_S1C_S1E_T6_T7_T9_mT8_S1G_bDpT10_ENKUlT_T0_E_clISt17integral_constantIbLb1EES1U_EEDaS1P_S1Q_EUlS1P_E_NS1_11comp_targetILNS1_3genE4ELNS1_11target_archE910ELNS1_3gpuE8ELNS1_3repE0EEENS1_30default_config_static_selectorELNS0_4arch9wavefront6targetE0EEEvS12_
		.amdhsa_group_segment_fixed_size 0
		.amdhsa_private_segment_fixed_size 0
		.amdhsa_kernarg_size 184
		.amdhsa_user_sgpr_count 6
		.amdhsa_user_sgpr_private_segment_buffer 1
		.amdhsa_user_sgpr_dispatch_ptr 0
		.amdhsa_user_sgpr_queue_ptr 0
		.amdhsa_user_sgpr_kernarg_segment_ptr 1
		.amdhsa_user_sgpr_dispatch_id 0
		.amdhsa_user_sgpr_flat_scratch_init 0
		.amdhsa_user_sgpr_private_segment_size 0
		.amdhsa_wavefront_size32 1
		.amdhsa_uses_dynamic_stack 0
		.amdhsa_system_sgpr_private_segment_wavefront_offset 0
		.amdhsa_system_sgpr_workgroup_id_x 1
		.amdhsa_system_sgpr_workgroup_id_y 0
		.amdhsa_system_sgpr_workgroup_id_z 0
		.amdhsa_system_sgpr_workgroup_info 0
		.amdhsa_system_vgpr_workitem_id 0
		.amdhsa_next_free_vgpr 1
		.amdhsa_next_free_sgpr 1
		.amdhsa_reserve_vcc 0
		.amdhsa_reserve_flat_scratch 0
		.amdhsa_float_round_mode_32 0
		.amdhsa_float_round_mode_16_64 0
		.amdhsa_float_denorm_mode_32 3
		.amdhsa_float_denorm_mode_16_64 3
		.amdhsa_dx10_clamp 1
		.amdhsa_ieee_mode 1
		.amdhsa_fp16_overflow 0
		.amdhsa_workgroup_processor_mode 1
		.amdhsa_memory_ordered 1
		.amdhsa_forward_progress 1
		.amdhsa_shared_vgpr_count 0
		.amdhsa_exception_fp_ieee_invalid_op 0
		.amdhsa_exception_fp_denorm_src 0
		.amdhsa_exception_fp_ieee_div_zero 0
		.amdhsa_exception_fp_ieee_overflow 0
		.amdhsa_exception_fp_ieee_underflow 0
		.amdhsa_exception_fp_ieee_inexact 0
		.amdhsa_exception_int_div_zero 0
	.end_amdhsa_kernel
	.section	.text._ZN7rocprim17ROCPRIM_400000_NS6detail17trampoline_kernelINS0_13select_configILj256ELj13ELNS0_17block_load_methodE3ELS4_3ELS4_3ELNS0_20block_scan_algorithmE0ELj4294967295EEENS1_25partition_config_selectorILNS1_17partition_subalgoE4EjNS0_10empty_typeEbEEZZNS1_14partition_implILS8_4ELb0ES6_15HIP_vector_typeIjLj2EENS0_17counting_iteratorIjlEEPS9_SG_NS0_5tupleIJPjSI_NS0_16reverse_iteratorISI_EEEEENSH_IJSG_SG_SG_EEES9_SI_JZNS1_25segmented_radix_sort_implINS0_14default_configELb0EPKbPbPKlPlN2at6native12_GLOBAL__N_18offset_tEEE10hipError_tPvRmT1_PNSt15iterator_traitsIS12_E10value_typeET2_T3_PNS13_IS18_E10value_typeET4_jRbjT5_S1E_jjP12ihipStream_tbEUljE_ZNSN_ISO_Lb0ESQ_SR_ST_SU_SY_EESZ_S10_S11_S12_S16_S17_S18_S1B_S1C_jS1D_jS1E_S1E_jjS1G_bEUljE0_EEESZ_S10_S11_S18_S1C_S1E_T6_T7_T9_mT8_S1G_bDpT10_ENKUlT_T0_E_clISt17integral_constantIbLb1EES1U_EEDaS1P_S1Q_EUlS1P_E_NS1_11comp_targetILNS1_3genE4ELNS1_11target_archE910ELNS1_3gpuE8ELNS1_3repE0EEENS1_30default_config_static_selectorELNS0_4arch9wavefront6targetE0EEEvS12_,"axG",@progbits,_ZN7rocprim17ROCPRIM_400000_NS6detail17trampoline_kernelINS0_13select_configILj256ELj13ELNS0_17block_load_methodE3ELS4_3ELS4_3ELNS0_20block_scan_algorithmE0ELj4294967295EEENS1_25partition_config_selectorILNS1_17partition_subalgoE4EjNS0_10empty_typeEbEEZZNS1_14partition_implILS8_4ELb0ES6_15HIP_vector_typeIjLj2EENS0_17counting_iteratorIjlEEPS9_SG_NS0_5tupleIJPjSI_NS0_16reverse_iteratorISI_EEEEENSH_IJSG_SG_SG_EEES9_SI_JZNS1_25segmented_radix_sort_implINS0_14default_configELb0EPKbPbPKlPlN2at6native12_GLOBAL__N_18offset_tEEE10hipError_tPvRmT1_PNSt15iterator_traitsIS12_E10value_typeET2_T3_PNS13_IS18_E10value_typeET4_jRbjT5_S1E_jjP12ihipStream_tbEUljE_ZNSN_ISO_Lb0ESQ_SR_ST_SU_SY_EESZ_S10_S11_S12_S16_S17_S18_S1B_S1C_jS1D_jS1E_S1E_jjS1G_bEUljE0_EEESZ_S10_S11_S18_S1C_S1E_T6_T7_T9_mT8_S1G_bDpT10_ENKUlT_T0_E_clISt17integral_constantIbLb1EES1U_EEDaS1P_S1Q_EUlS1P_E_NS1_11comp_targetILNS1_3genE4ELNS1_11target_archE910ELNS1_3gpuE8ELNS1_3repE0EEENS1_30default_config_static_selectorELNS0_4arch9wavefront6targetE0EEEvS12_,comdat
.Lfunc_end1572:
	.size	_ZN7rocprim17ROCPRIM_400000_NS6detail17trampoline_kernelINS0_13select_configILj256ELj13ELNS0_17block_load_methodE3ELS4_3ELS4_3ELNS0_20block_scan_algorithmE0ELj4294967295EEENS1_25partition_config_selectorILNS1_17partition_subalgoE4EjNS0_10empty_typeEbEEZZNS1_14partition_implILS8_4ELb0ES6_15HIP_vector_typeIjLj2EENS0_17counting_iteratorIjlEEPS9_SG_NS0_5tupleIJPjSI_NS0_16reverse_iteratorISI_EEEEENSH_IJSG_SG_SG_EEES9_SI_JZNS1_25segmented_radix_sort_implINS0_14default_configELb0EPKbPbPKlPlN2at6native12_GLOBAL__N_18offset_tEEE10hipError_tPvRmT1_PNSt15iterator_traitsIS12_E10value_typeET2_T3_PNS13_IS18_E10value_typeET4_jRbjT5_S1E_jjP12ihipStream_tbEUljE_ZNSN_ISO_Lb0ESQ_SR_ST_SU_SY_EESZ_S10_S11_S12_S16_S17_S18_S1B_S1C_jS1D_jS1E_S1E_jjS1G_bEUljE0_EEESZ_S10_S11_S18_S1C_S1E_T6_T7_T9_mT8_S1G_bDpT10_ENKUlT_T0_E_clISt17integral_constantIbLb1EES1U_EEDaS1P_S1Q_EUlS1P_E_NS1_11comp_targetILNS1_3genE4ELNS1_11target_archE910ELNS1_3gpuE8ELNS1_3repE0EEENS1_30default_config_static_selectorELNS0_4arch9wavefront6targetE0EEEvS12_, .Lfunc_end1572-_ZN7rocprim17ROCPRIM_400000_NS6detail17trampoline_kernelINS0_13select_configILj256ELj13ELNS0_17block_load_methodE3ELS4_3ELS4_3ELNS0_20block_scan_algorithmE0ELj4294967295EEENS1_25partition_config_selectorILNS1_17partition_subalgoE4EjNS0_10empty_typeEbEEZZNS1_14partition_implILS8_4ELb0ES6_15HIP_vector_typeIjLj2EENS0_17counting_iteratorIjlEEPS9_SG_NS0_5tupleIJPjSI_NS0_16reverse_iteratorISI_EEEEENSH_IJSG_SG_SG_EEES9_SI_JZNS1_25segmented_radix_sort_implINS0_14default_configELb0EPKbPbPKlPlN2at6native12_GLOBAL__N_18offset_tEEE10hipError_tPvRmT1_PNSt15iterator_traitsIS12_E10value_typeET2_T3_PNS13_IS18_E10value_typeET4_jRbjT5_S1E_jjP12ihipStream_tbEUljE_ZNSN_ISO_Lb0ESQ_SR_ST_SU_SY_EESZ_S10_S11_S12_S16_S17_S18_S1B_S1C_jS1D_jS1E_S1E_jjS1G_bEUljE0_EEESZ_S10_S11_S18_S1C_S1E_T6_T7_T9_mT8_S1G_bDpT10_ENKUlT_T0_E_clISt17integral_constantIbLb1EES1U_EEDaS1P_S1Q_EUlS1P_E_NS1_11comp_targetILNS1_3genE4ELNS1_11target_archE910ELNS1_3gpuE8ELNS1_3repE0EEENS1_30default_config_static_selectorELNS0_4arch9wavefront6targetE0EEEvS12_
                                        ; -- End function
	.set _ZN7rocprim17ROCPRIM_400000_NS6detail17trampoline_kernelINS0_13select_configILj256ELj13ELNS0_17block_load_methodE3ELS4_3ELS4_3ELNS0_20block_scan_algorithmE0ELj4294967295EEENS1_25partition_config_selectorILNS1_17partition_subalgoE4EjNS0_10empty_typeEbEEZZNS1_14partition_implILS8_4ELb0ES6_15HIP_vector_typeIjLj2EENS0_17counting_iteratorIjlEEPS9_SG_NS0_5tupleIJPjSI_NS0_16reverse_iteratorISI_EEEEENSH_IJSG_SG_SG_EEES9_SI_JZNS1_25segmented_radix_sort_implINS0_14default_configELb0EPKbPbPKlPlN2at6native12_GLOBAL__N_18offset_tEEE10hipError_tPvRmT1_PNSt15iterator_traitsIS12_E10value_typeET2_T3_PNS13_IS18_E10value_typeET4_jRbjT5_S1E_jjP12ihipStream_tbEUljE_ZNSN_ISO_Lb0ESQ_SR_ST_SU_SY_EESZ_S10_S11_S12_S16_S17_S18_S1B_S1C_jS1D_jS1E_S1E_jjS1G_bEUljE0_EEESZ_S10_S11_S18_S1C_S1E_T6_T7_T9_mT8_S1G_bDpT10_ENKUlT_T0_E_clISt17integral_constantIbLb1EES1U_EEDaS1P_S1Q_EUlS1P_E_NS1_11comp_targetILNS1_3genE4ELNS1_11target_archE910ELNS1_3gpuE8ELNS1_3repE0EEENS1_30default_config_static_selectorELNS0_4arch9wavefront6targetE0EEEvS12_.num_vgpr, 0
	.set _ZN7rocprim17ROCPRIM_400000_NS6detail17trampoline_kernelINS0_13select_configILj256ELj13ELNS0_17block_load_methodE3ELS4_3ELS4_3ELNS0_20block_scan_algorithmE0ELj4294967295EEENS1_25partition_config_selectorILNS1_17partition_subalgoE4EjNS0_10empty_typeEbEEZZNS1_14partition_implILS8_4ELb0ES6_15HIP_vector_typeIjLj2EENS0_17counting_iteratorIjlEEPS9_SG_NS0_5tupleIJPjSI_NS0_16reverse_iteratorISI_EEEEENSH_IJSG_SG_SG_EEES9_SI_JZNS1_25segmented_radix_sort_implINS0_14default_configELb0EPKbPbPKlPlN2at6native12_GLOBAL__N_18offset_tEEE10hipError_tPvRmT1_PNSt15iterator_traitsIS12_E10value_typeET2_T3_PNS13_IS18_E10value_typeET4_jRbjT5_S1E_jjP12ihipStream_tbEUljE_ZNSN_ISO_Lb0ESQ_SR_ST_SU_SY_EESZ_S10_S11_S12_S16_S17_S18_S1B_S1C_jS1D_jS1E_S1E_jjS1G_bEUljE0_EEESZ_S10_S11_S18_S1C_S1E_T6_T7_T9_mT8_S1G_bDpT10_ENKUlT_T0_E_clISt17integral_constantIbLb1EES1U_EEDaS1P_S1Q_EUlS1P_E_NS1_11comp_targetILNS1_3genE4ELNS1_11target_archE910ELNS1_3gpuE8ELNS1_3repE0EEENS1_30default_config_static_selectorELNS0_4arch9wavefront6targetE0EEEvS12_.num_agpr, 0
	.set _ZN7rocprim17ROCPRIM_400000_NS6detail17trampoline_kernelINS0_13select_configILj256ELj13ELNS0_17block_load_methodE3ELS4_3ELS4_3ELNS0_20block_scan_algorithmE0ELj4294967295EEENS1_25partition_config_selectorILNS1_17partition_subalgoE4EjNS0_10empty_typeEbEEZZNS1_14partition_implILS8_4ELb0ES6_15HIP_vector_typeIjLj2EENS0_17counting_iteratorIjlEEPS9_SG_NS0_5tupleIJPjSI_NS0_16reverse_iteratorISI_EEEEENSH_IJSG_SG_SG_EEES9_SI_JZNS1_25segmented_radix_sort_implINS0_14default_configELb0EPKbPbPKlPlN2at6native12_GLOBAL__N_18offset_tEEE10hipError_tPvRmT1_PNSt15iterator_traitsIS12_E10value_typeET2_T3_PNS13_IS18_E10value_typeET4_jRbjT5_S1E_jjP12ihipStream_tbEUljE_ZNSN_ISO_Lb0ESQ_SR_ST_SU_SY_EESZ_S10_S11_S12_S16_S17_S18_S1B_S1C_jS1D_jS1E_S1E_jjS1G_bEUljE0_EEESZ_S10_S11_S18_S1C_S1E_T6_T7_T9_mT8_S1G_bDpT10_ENKUlT_T0_E_clISt17integral_constantIbLb1EES1U_EEDaS1P_S1Q_EUlS1P_E_NS1_11comp_targetILNS1_3genE4ELNS1_11target_archE910ELNS1_3gpuE8ELNS1_3repE0EEENS1_30default_config_static_selectorELNS0_4arch9wavefront6targetE0EEEvS12_.numbered_sgpr, 0
	.set _ZN7rocprim17ROCPRIM_400000_NS6detail17trampoline_kernelINS0_13select_configILj256ELj13ELNS0_17block_load_methodE3ELS4_3ELS4_3ELNS0_20block_scan_algorithmE0ELj4294967295EEENS1_25partition_config_selectorILNS1_17partition_subalgoE4EjNS0_10empty_typeEbEEZZNS1_14partition_implILS8_4ELb0ES6_15HIP_vector_typeIjLj2EENS0_17counting_iteratorIjlEEPS9_SG_NS0_5tupleIJPjSI_NS0_16reverse_iteratorISI_EEEEENSH_IJSG_SG_SG_EEES9_SI_JZNS1_25segmented_radix_sort_implINS0_14default_configELb0EPKbPbPKlPlN2at6native12_GLOBAL__N_18offset_tEEE10hipError_tPvRmT1_PNSt15iterator_traitsIS12_E10value_typeET2_T3_PNS13_IS18_E10value_typeET4_jRbjT5_S1E_jjP12ihipStream_tbEUljE_ZNSN_ISO_Lb0ESQ_SR_ST_SU_SY_EESZ_S10_S11_S12_S16_S17_S18_S1B_S1C_jS1D_jS1E_S1E_jjS1G_bEUljE0_EEESZ_S10_S11_S18_S1C_S1E_T6_T7_T9_mT8_S1G_bDpT10_ENKUlT_T0_E_clISt17integral_constantIbLb1EES1U_EEDaS1P_S1Q_EUlS1P_E_NS1_11comp_targetILNS1_3genE4ELNS1_11target_archE910ELNS1_3gpuE8ELNS1_3repE0EEENS1_30default_config_static_selectorELNS0_4arch9wavefront6targetE0EEEvS12_.num_named_barrier, 0
	.set _ZN7rocprim17ROCPRIM_400000_NS6detail17trampoline_kernelINS0_13select_configILj256ELj13ELNS0_17block_load_methodE3ELS4_3ELS4_3ELNS0_20block_scan_algorithmE0ELj4294967295EEENS1_25partition_config_selectorILNS1_17partition_subalgoE4EjNS0_10empty_typeEbEEZZNS1_14partition_implILS8_4ELb0ES6_15HIP_vector_typeIjLj2EENS0_17counting_iteratorIjlEEPS9_SG_NS0_5tupleIJPjSI_NS0_16reverse_iteratorISI_EEEEENSH_IJSG_SG_SG_EEES9_SI_JZNS1_25segmented_radix_sort_implINS0_14default_configELb0EPKbPbPKlPlN2at6native12_GLOBAL__N_18offset_tEEE10hipError_tPvRmT1_PNSt15iterator_traitsIS12_E10value_typeET2_T3_PNS13_IS18_E10value_typeET4_jRbjT5_S1E_jjP12ihipStream_tbEUljE_ZNSN_ISO_Lb0ESQ_SR_ST_SU_SY_EESZ_S10_S11_S12_S16_S17_S18_S1B_S1C_jS1D_jS1E_S1E_jjS1G_bEUljE0_EEESZ_S10_S11_S18_S1C_S1E_T6_T7_T9_mT8_S1G_bDpT10_ENKUlT_T0_E_clISt17integral_constantIbLb1EES1U_EEDaS1P_S1Q_EUlS1P_E_NS1_11comp_targetILNS1_3genE4ELNS1_11target_archE910ELNS1_3gpuE8ELNS1_3repE0EEENS1_30default_config_static_selectorELNS0_4arch9wavefront6targetE0EEEvS12_.private_seg_size, 0
	.set _ZN7rocprim17ROCPRIM_400000_NS6detail17trampoline_kernelINS0_13select_configILj256ELj13ELNS0_17block_load_methodE3ELS4_3ELS4_3ELNS0_20block_scan_algorithmE0ELj4294967295EEENS1_25partition_config_selectorILNS1_17partition_subalgoE4EjNS0_10empty_typeEbEEZZNS1_14partition_implILS8_4ELb0ES6_15HIP_vector_typeIjLj2EENS0_17counting_iteratorIjlEEPS9_SG_NS0_5tupleIJPjSI_NS0_16reverse_iteratorISI_EEEEENSH_IJSG_SG_SG_EEES9_SI_JZNS1_25segmented_radix_sort_implINS0_14default_configELb0EPKbPbPKlPlN2at6native12_GLOBAL__N_18offset_tEEE10hipError_tPvRmT1_PNSt15iterator_traitsIS12_E10value_typeET2_T3_PNS13_IS18_E10value_typeET4_jRbjT5_S1E_jjP12ihipStream_tbEUljE_ZNSN_ISO_Lb0ESQ_SR_ST_SU_SY_EESZ_S10_S11_S12_S16_S17_S18_S1B_S1C_jS1D_jS1E_S1E_jjS1G_bEUljE0_EEESZ_S10_S11_S18_S1C_S1E_T6_T7_T9_mT8_S1G_bDpT10_ENKUlT_T0_E_clISt17integral_constantIbLb1EES1U_EEDaS1P_S1Q_EUlS1P_E_NS1_11comp_targetILNS1_3genE4ELNS1_11target_archE910ELNS1_3gpuE8ELNS1_3repE0EEENS1_30default_config_static_selectorELNS0_4arch9wavefront6targetE0EEEvS12_.uses_vcc, 0
	.set _ZN7rocprim17ROCPRIM_400000_NS6detail17trampoline_kernelINS0_13select_configILj256ELj13ELNS0_17block_load_methodE3ELS4_3ELS4_3ELNS0_20block_scan_algorithmE0ELj4294967295EEENS1_25partition_config_selectorILNS1_17partition_subalgoE4EjNS0_10empty_typeEbEEZZNS1_14partition_implILS8_4ELb0ES6_15HIP_vector_typeIjLj2EENS0_17counting_iteratorIjlEEPS9_SG_NS0_5tupleIJPjSI_NS0_16reverse_iteratorISI_EEEEENSH_IJSG_SG_SG_EEES9_SI_JZNS1_25segmented_radix_sort_implINS0_14default_configELb0EPKbPbPKlPlN2at6native12_GLOBAL__N_18offset_tEEE10hipError_tPvRmT1_PNSt15iterator_traitsIS12_E10value_typeET2_T3_PNS13_IS18_E10value_typeET4_jRbjT5_S1E_jjP12ihipStream_tbEUljE_ZNSN_ISO_Lb0ESQ_SR_ST_SU_SY_EESZ_S10_S11_S12_S16_S17_S18_S1B_S1C_jS1D_jS1E_S1E_jjS1G_bEUljE0_EEESZ_S10_S11_S18_S1C_S1E_T6_T7_T9_mT8_S1G_bDpT10_ENKUlT_T0_E_clISt17integral_constantIbLb1EES1U_EEDaS1P_S1Q_EUlS1P_E_NS1_11comp_targetILNS1_3genE4ELNS1_11target_archE910ELNS1_3gpuE8ELNS1_3repE0EEENS1_30default_config_static_selectorELNS0_4arch9wavefront6targetE0EEEvS12_.uses_flat_scratch, 0
	.set _ZN7rocprim17ROCPRIM_400000_NS6detail17trampoline_kernelINS0_13select_configILj256ELj13ELNS0_17block_load_methodE3ELS4_3ELS4_3ELNS0_20block_scan_algorithmE0ELj4294967295EEENS1_25partition_config_selectorILNS1_17partition_subalgoE4EjNS0_10empty_typeEbEEZZNS1_14partition_implILS8_4ELb0ES6_15HIP_vector_typeIjLj2EENS0_17counting_iteratorIjlEEPS9_SG_NS0_5tupleIJPjSI_NS0_16reverse_iteratorISI_EEEEENSH_IJSG_SG_SG_EEES9_SI_JZNS1_25segmented_radix_sort_implINS0_14default_configELb0EPKbPbPKlPlN2at6native12_GLOBAL__N_18offset_tEEE10hipError_tPvRmT1_PNSt15iterator_traitsIS12_E10value_typeET2_T3_PNS13_IS18_E10value_typeET4_jRbjT5_S1E_jjP12ihipStream_tbEUljE_ZNSN_ISO_Lb0ESQ_SR_ST_SU_SY_EESZ_S10_S11_S12_S16_S17_S18_S1B_S1C_jS1D_jS1E_S1E_jjS1G_bEUljE0_EEESZ_S10_S11_S18_S1C_S1E_T6_T7_T9_mT8_S1G_bDpT10_ENKUlT_T0_E_clISt17integral_constantIbLb1EES1U_EEDaS1P_S1Q_EUlS1P_E_NS1_11comp_targetILNS1_3genE4ELNS1_11target_archE910ELNS1_3gpuE8ELNS1_3repE0EEENS1_30default_config_static_selectorELNS0_4arch9wavefront6targetE0EEEvS12_.has_dyn_sized_stack, 0
	.set _ZN7rocprim17ROCPRIM_400000_NS6detail17trampoline_kernelINS0_13select_configILj256ELj13ELNS0_17block_load_methodE3ELS4_3ELS4_3ELNS0_20block_scan_algorithmE0ELj4294967295EEENS1_25partition_config_selectorILNS1_17partition_subalgoE4EjNS0_10empty_typeEbEEZZNS1_14partition_implILS8_4ELb0ES6_15HIP_vector_typeIjLj2EENS0_17counting_iteratorIjlEEPS9_SG_NS0_5tupleIJPjSI_NS0_16reverse_iteratorISI_EEEEENSH_IJSG_SG_SG_EEES9_SI_JZNS1_25segmented_radix_sort_implINS0_14default_configELb0EPKbPbPKlPlN2at6native12_GLOBAL__N_18offset_tEEE10hipError_tPvRmT1_PNSt15iterator_traitsIS12_E10value_typeET2_T3_PNS13_IS18_E10value_typeET4_jRbjT5_S1E_jjP12ihipStream_tbEUljE_ZNSN_ISO_Lb0ESQ_SR_ST_SU_SY_EESZ_S10_S11_S12_S16_S17_S18_S1B_S1C_jS1D_jS1E_S1E_jjS1G_bEUljE0_EEESZ_S10_S11_S18_S1C_S1E_T6_T7_T9_mT8_S1G_bDpT10_ENKUlT_T0_E_clISt17integral_constantIbLb1EES1U_EEDaS1P_S1Q_EUlS1P_E_NS1_11comp_targetILNS1_3genE4ELNS1_11target_archE910ELNS1_3gpuE8ELNS1_3repE0EEENS1_30default_config_static_selectorELNS0_4arch9wavefront6targetE0EEEvS12_.has_recursion, 0
	.set _ZN7rocprim17ROCPRIM_400000_NS6detail17trampoline_kernelINS0_13select_configILj256ELj13ELNS0_17block_load_methodE3ELS4_3ELS4_3ELNS0_20block_scan_algorithmE0ELj4294967295EEENS1_25partition_config_selectorILNS1_17partition_subalgoE4EjNS0_10empty_typeEbEEZZNS1_14partition_implILS8_4ELb0ES6_15HIP_vector_typeIjLj2EENS0_17counting_iteratorIjlEEPS9_SG_NS0_5tupleIJPjSI_NS0_16reverse_iteratorISI_EEEEENSH_IJSG_SG_SG_EEES9_SI_JZNS1_25segmented_radix_sort_implINS0_14default_configELb0EPKbPbPKlPlN2at6native12_GLOBAL__N_18offset_tEEE10hipError_tPvRmT1_PNSt15iterator_traitsIS12_E10value_typeET2_T3_PNS13_IS18_E10value_typeET4_jRbjT5_S1E_jjP12ihipStream_tbEUljE_ZNSN_ISO_Lb0ESQ_SR_ST_SU_SY_EESZ_S10_S11_S12_S16_S17_S18_S1B_S1C_jS1D_jS1E_S1E_jjS1G_bEUljE0_EEESZ_S10_S11_S18_S1C_S1E_T6_T7_T9_mT8_S1G_bDpT10_ENKUlT_T0_E_clISt17integral_constantIbLb1EES1U_EEDaS1P_S1Q_EUlS1P_E_NS1_11comp_targetILNS1_3genE4ELNS1_11target_archE910ELNS1_3gpuE8ELNS1_3repE0EEENS1_30default_config_static_selectorELNS0_4arch9wavefront6targetE0EEEvS12_.has_indirect_call, 0
	.section	.AMDGPU.csdata,"",@progbits
; Kernel info:
; codeLenInByte = 0
; TotalNumSgprs: 0
; NumVgprs: 0
; ScratchSize: 0
; MemoryBound: 0
; FloatMode: 240
; IeeeMode: 1
; LDSByteSize: 0 bytes/workgroup (compile time only)
; SGPRBlocks: 0
; VGPRBlocks: 0
; NumSGPRsForWavesPerEU: 1
; NumVGPRsForWavesPerEU: 1
; Occupancy: 16
; WaveLimiterHint : 0
; COMPUTE_PGM_RSRC2:SCRATCH_EN: 0
; COMPUTE_PGM_RSRC2:USER_SGPR: 6
; COMPUTE_PGM_RSRC2:TRAP_HANDLER: 0
; COMPUTE_PGM_RSRC2:TGID_X_EN: 1
; COMPUTE_PGM_RSRC2:TGID_Y_EN: 0
; COMPUTE_PGM_RSRC2:TGID_Z_EN: 0
; COMPUTE_PGM_RSRC2:TIDIG_COMP_CNT: 0
	.section	.text._ZN7rocprim17ROCPRIM_400000_NS6detail17trampoline_kernelINS0_13select_configILj256ELj13ELNS0_17block_load_methodE3ELS4_3ELS4_3ELNS0_20block_scan_algorithmE0ELj4294967295EEENS1_25partition_config_selectorILNS1_17partition_subalgoE4EjNS0_10empty_typeEbEEZZNS1_14partition_implILS8_4ELb0ES6_15HIP_vector_typeIjLj2EENS0_17counting_iteratorIjlEEPS9_SG_NS0_5tupleIJPjSI_NS0_16reverse_iteratorISI_EEEEENSH_IJSG_SG_SG_EEES9_SI_JZNS1_25segmented_radix_sort_implINS0_14default_configELb0EPKbPbPKlPlN2at6native12_GLOBAL__N_18offset_tEEE10hipError_tPvRmT1_PNSt15iterator_traitsIS12_E10value_typeET2_T3_PNS13_IS18_E10value_typeET4_jRbjT5_S1E_jjP12ihipStream_tbEUljE_ZNSN_ISO_Lb0ESQ_SR_ST_SU_SY_EESZ_S10_S11_S12_S16_S17_S18_S1B_S1C_jS1D_jS1E_S1E_jjS1G_bEUljE0_EEESZ_S10_S11_S18_S1C_S1E_T6_T7_T9_mT8_S1G_bDpT10_ENKUlT_T0_E_clISt17integral_constantIbLb1EES1U_EEDaS1P_S1Q_EUlS1P_E_NS1_11comp_targetILNS1_3genE3ELNS1_11target_archE908ELNS1_3gpuE7ELNS1_3repE0EEENS1_30default_config_static_selectorELNS0_4arch9wavefront6targetE0EEEvS12_,"axG",@progbits,_ZN7rocprim17ROCPRIM_400000_NS6detail17trampoline_kernelINS0_13select_configILj256ELj13ELNS0_17block_load_methodE3ELS4_3ELS4_3ELNS0_20block_scan_algorithmE0ELj4294967295EEENS1_25partition_config_selectorILNS1_17partition_subalgoE4EjNS0_10empty_typeEbEEZZNS1_14partition_implILS8_4ELb0ES6_15HIP_vector_typeIjLj2EENS0_17counting_iteratorIjlEEPS9_SG_NS0_5tupleIJPjSI_NS0_16reverse_iteratorISI_EEEEENSH_IJSG_SG_SG_EEES9_SI_JZNS1_25segmented_radix_sort_implINS0_14default_configELb0EPKbPbPKlPlN2at6native12_GLOBAL__N_18offset_tEEE10hipError_tPvRmT1_PNSt15iterator_traitsIS12_E10value_typeET2_T3_PNS13_IS18_E10value_typeET4_jRbjT5_S1E_jjP12ihipStream_tbEUljE_ZNSN_ISO_Lb0ESQ_SR_ST_SU_SY_EESZ_S10_S11_S12_S16_S17_S18_S1B_S1C_jS1D_jS1E_S1E_jjS1G_bEUljE0_EEESZ_S10_S11_S18_S1C_S1E_T6_T7_T9_mT8_S1G_bDpT10_ENKUlT_T0_E_clISt17integral_constantIbLb1EES1U_EEDaS1P_S1Q_EUlS1P_E_NS1_11comp_targetILNS1_3genE3ELNS1_11target_archE908ELNS1_3gpuE7ELNS1_3repE0EEENS1_30default_config_static_selectorELNS0_4arch9wavefront6targetE0EEEvS12_,comdat
	.globl	_ZN7rocprim17ROCPRIM_400000_NS6detail17trampoline_kernelINS0_13select_configILj256ELj13ELNS0_17block_load_methodE3ELS4_3ELS4_3ELNS0_20block_scan_algorithmE0ELj4294967295EEENS1_25partition_config_selectorILNS1_17partition_subalgoE4EjNS0_10empty_typeEbEEZZNS1_14partition_implILS8_4ELb0ES6_15HIP_vector_typeIjLj2EENS0_17counting_iteratorIjlEEPS9_SG_NS0_5tupleIJPjSI_NS0_16reverse_iteratorISI_EEEEENSH_IJSG_SG_SG_EEES9_SI_JZNS1_25segmented_radix_sort_implINS0_14default_configELb0EPKbPbPKlPlN2at6native12_GLOBAL__N_18offset_tEEE10hipError_tPvRmT1_PNSt15iterator_traitsIS12_E10value_typeET2_T3_PNS13_IS18_E10value_typeET4_jRbjT5_S1E_jjP12ihipStream_tbEUljE_ZNSN_ISO_Lb0ESQ_SR_ST_SU_SY_EESZ_S10_S11_S12_S16_S17_S18_S1B_S1C_jS1D_jS1E_S1E_jjS1G_bEUljE0_EEESZ_S10_S11_S18_S1C_S1E_T6_T7_T9_mT8_S1G_bDpT10_ENKUlT_T0_E_clISt17integral_constantIbLb1EES1U_EEDaS1P_S1Q_EUlS1P_E_NS1_11comp_targetILNS1_3genE3ELNS1_11target_archE908ELNS1_3gpuE7ELNS1_3repE0EEENS1_30default_config_static_selectorELNS0_4arch9wavefront6targetE0EEEvS12_ ; -- Begin function _ZN7rocprim17ROCPRIM_400000_NS6detail17trampoline_kernelINS0_13select_configILj256ELj13ELNS0_17block_load_methodE3ELS4_3ELS4_3ELNS0_20block_scan_algorithmE0ELj4294967295EEENS1_25partition_config_selectorILNS1_17partition_subalgoE4EjNS0_10empty_typeEbEEZZNS1_14partition_implILS8_4ELb0ES6_15HIP_vector_typeIjLj2EENS0_17counting_iteratorIjlEEPS9_SG_NS0_5tupleIJPjSI_NS0_16reverse_iteratorISI_EEEEENSH_IJSG_SG_SG_EEES9_SI_JZNS1_25segmented_radix_sort_implINS0_14default_configELb0EPKbPbPKlPlN2at6native12_GLOBAL__N_18offset_tEEE10hipError_tPvRmT1_PNSt15iterator_traitsIS12_E10value_typeET2_T3_PNS13_IS18_E10value_typeET4_jRbjT5_S1E_jjP12ihipStream_tbEUljE_ZNSN_ISO_Lb0ESQ_SR_ST_SU_SY_EESZ_S10_S11_S12_S16_S17_S18_S1B_S1C_jS1D_jS1E_S1E_jjS1G_bEUljE0_EEESZ_S10_S11_S18_S1C_S1E_T6_T7_T9_mT8_S1G_bDpT10_ENKUlT_T0_E_clISt17integral_constantIbLb1EES1U_EEDaS1P_S1Q_EUlS1P_E_NS1_11comp_targetILNS1_3genE3ELNS1_11target_archE908ELNS1_3gpuE7ELNS1_3repE0EEENS1_30default_config_static_selectorELNS0_4arch9wavefront6targetE0EEEvS12_
	.p2align	8
	.type	_ZN7rocprim17ROCPRIM_400000_NS6detail17trampoline_kernelINS0_13select_configILj256ELj13ELNS0_17block_load_methodE3ELS4_3ELS4_3ELNS0_20block_scan_algorithmE0ELj4294967295EEENS1_25partition_config_selectorILNS1_17partition_subalgoE4EjNS0_10empty_typeEbEEZZNS1_14partition_implILS8_4ELb0ES6_15HIP_vector_typeIjLj2EENS0_17counting_iteratorIjlEEPS9_SG_NS0_5tupleIJPjSI_NS0_16reverse_iteratorISI_EEEEENSH_IJSG_SG_SG_EEES9_SI_JZNS1_25segmented_radix_sort_implINS0_14default_configELb0EPKbPbPKlPlN2at6native12_GLOBAL__N_18offset_tEEE10hipError_tPvRmT1_PNSt15iterator_traitsIS12_E10value_typeET2_T3_PNS13_IS18_E10value_typeET4_jRbjT5_S1E_jjP12ihipStream_tbEUljE_ZNSN_ISO_Lb0ESQ_SR_ST_SU_SY_EESZ_S10_S11_S12_S16_S17_S18_S1B_S1C_jS1D_jS1E_S1E_jjS1G_bEUljE0_EEESZ_S10_S11_S18_S1C_S1E_T6_T7_T9_mT8_S1G_bDpT10_ENKUlT_T0_E_clISt17integral_constantIbLb1EES1U_EEDaS1P_S1Q_EUlS1P_E_NS1_11comp_targetILNS1_3genE3ELNS1_11target_archE908ELNS1_3gpuE7ELNS1_3repE0EEENS1_30default_config_static_selectorELNS0_4arch9wavefront6targetE0EEEvS12_,@function
_ZN7rocprim17ROCPRIM_400000_NS6detail17trampoline_kernelINS0_13select_configILj256ELj13ELNS0_17block_load_methodE3ELS4_3ELS4_3ELNS0_20block_scan_algorithmE0ELj4294967295EEENS1_25partition_config_selectorILNS1_17partition_subalgoE4EjNS0_10empty_typeEbEEZZNS1_14partition_implILS8_4ELb0ES6_15HIP_vector_typeIjLj2EENS0_17counting_iteratorIjlEEPS9_SG_NS0_5tupleIJPjSI_NS0_16reverse_iteratorISI_EEEEENSH_IJSG_SG_SG_EEES9_SI_JZNS1_25segmented_radix_sort_implINS0_14default_configELb0EPKbPbPKlPlN2at6native12_GLOBAL__N_18offset_tEEE10hipError_tPvRmT1_PNSt15iterator_traitsIS12_E10value_typeET2_T3_PNS13_IS18_E10value_typeET4_jRbjT5_S1E_jjP12ihipStream_tbEUljE_ZNSN_ISO_Lb0ESQ_SR_ST_SU_SY_EESZ_S10_S11_S12_S16_S17_S18_S1B_S1C_jS1D_jS1E_S1E_jjS1G_bEUljE0_EEESZ_S10_S11_S18_S1C_S1E_T6_T7_T9_mT8_S1G_bDpT10_ENKUlT_T0_E_clISt17integral_constantIbLb1EES1U_EEDaS1P_S1Q_EUlS1P_E_NS1_11comp_targetILNS1_3genE3ELNS1_11target_archE908ELNS1_3gpuE7ELNS1_3repE0EEENS1_30default_config_static_selectorELNS0_4arch9wavefront6targetE0EEEvS12_: ; @_ZN7rocprim17ROCPRIM_400000_NS6detail17trampoline_kernelINS0_13select_configILj256ELj13ELNS0_17block_load_methodE3ELS4_3ELS4_3ELNS0_20block_scan_algorithmE0ELj4294967295EEENS1_25partition_config_selectorILNS1_17partition_subalgoE4EjNS0_10empty_typeEbEEZZNS1_14partition_implILS8_4ELb0ES6_15HIP_vector_typeIjLj2EENS0_17counting_iteratorIjlEEPS9_SG_NS0_5tupleIJPjSI_NS0_16reverse_iteratorISI_EEEEENSH_IJSG_SG_SG_EEES9_SI_JZNS1_25segmented_radix_sort_implINS0_14default_configELb0EPKbPbPKlPlN2at6native12_GLOBAL__N_18offset_tEEE10hipError_tPvRmT1_PNSt15iterator_traitsIS12_E10value_typeET2_T3_PNS13_IS18_E10value_typeET4_jRbjT5_S1E_jjP12ihipStream_tbEUljE_ZNSN_ISO_Lb0ESQ_SR_ST_SU_SY_EESZ_S10_S11_S12_S16_S17_S18_S1B_S1C_jS1D_jS1E_S1E_jjS1G_bEUljE0_EEESZ_S10_S11_S18_S1C_S1E_T6_T7_T9_mT8_S1G_bDpT10_ENKUlT_T0_E_clISt17integral_constantIbLb1EES1U_EEDaS1P_S1Q_EUlS1P_E_NS1_11comp_targetILNS1_3genE3ELNS1_11target_archE908ELNS1_3gpuE7ELNS1_3repE0EEENS1_30default_config_static_selectorELNS0_4arch9wavefront6targetE0EEEvS12_
; %bb.0:
	.section	.rodata,"a",@progbits
	.p2align	6, 0x0
	.amdhsa_kernel _ZN7rocprim17ROCPRIM_400000_NS6detail17trampoline_kernelINS0_13select_configILj256ELj13ELNS0_17block_load_methodE3ELS4_3ELS4_3ELNS0_20block_scan_algorithmE0ELj4294967295EEENS1_25partition_config_selectorILNS1_17partition_subalgoE4EjNS0_10empty_typeEbEEZZNS1_14partition_implILS8_4ELb0ES6_15HIP_vector_typeIjLj2EENS0_17counting_iteratorIjlEEPS9_SG_NS0_5tupleIJPjSI_NS0_16reverse_iteratorISI_EEEEENSH_IJSG_SG_SG_EEES9_SI_JZNS1_25segmented_radix_sort_implINS0_14default_configELb0EPKbPbPKlPlN2at6native12_GLOBAL__N_18offset_tEEE10hipError_tPvRmT1_PNSt15iterator_traitsIS12_E10value_typeET2_T3_PNS13_IS18_E10value_typeET4_jRbjT5_S1E_jjP12ihipStream_tbEUljE_ZNSN_ISO_Lb0ESQ_SR_ST_SU_SY_EESZ_S10_S11_S12_S16_S17_S18_S1B_S1C_jS1D_jS1E_S1E_jjS1G_bEUljE0_EEESZ_S10_S11_S18_S1C_S1E_T6_T7_T9_mT8_S1G_bDpT10_ENKUlT_T0_E_clISt17integral_constantIbLb1EES1U_EEDaS1P_S1Q_EUlS1P_E_NS1_11comp_targetILNS1_3genE3ELNS1_11target_archE908ELNS1_3gpuE7ELNS1_3repE0EEENS1_30default_config_static_selectorELNS0_4arch9wavefront6targetE0EEEvS12_
		.amdhsa_group_segment_fixed_size 0
		.amdhsa_private_segment_fixed_size 0
		.amdhsa_kernarg_size 184
		.amdhsa_user_sgpr_count 6
		.amdhsa_user_sgpr_private_segment_buffer 1
		.amdhsa_user_sgpr_dispatch_ptr 0
		.amdhsa_user_sgpr_queue_ptr 0
		.amdhsa_user_sgpr_kernarg_segment_ptr 1
		.amdhsa_user_sgpr_dispatch_id 0
		.amdhsa_user_sgpr_flat_scratch_init 0
		.amdhsa_user_sgpr_private_segment_size 0
		.amdhsa_wavefront_size32 1
		.amdhsa_uses_dynamic_stack 0
		.amdhsa_system_sgpr_private_segment_wavefront_offset 0
		.amdhsa_system_sgpr_workgroup_id_x 1
		.amdhsa_system_sgpr_workgroup_id_y 0
		.amdhsa_system_sgpr_workgroup_id_z 0
		.amdhsa_system_sgpr_workgroup_info 0
		.amdhsa_system_vgpr_workitem_id 0
		.amdhsa_next_free_vgpr 1
		.amdhsa_next_free_sgpr 1
		.amdhsa_reserve_vcc 0
		.amdhsa_reserve_flat_scratch 0
		.amdhsa_float_round_mode_32 0
		.amdhsa_float_round_mode_16_64 0
		.amdhsa_float_denorm_mode_32 3
		.amdhsa_float_denorm_mode_16_64 3
		.amdhsa_dx10_clamp 1
		.amdhsa_ieee_mode 1
		.amdhsa_fp16_overflow 0
		.amdhsa_workgroup_processor_mode 1
		.amdhsa_memory_ordered 1
		.amdhsa_forward_progress 1
		.amdhsa_shared_vgpr_count 0
		.amdhsa_exception_fp_ieee_invalid_op 0
		.amdhsa_exception_fp_denorm_src 0
		.amdhsa_exception_fp_ieee_div_zero 0
		.amdhsa_exception_fp_ieee_overflow 0
		.amdhsa_exception_fp_ieee_underflow 0
		.amdhsa_exception_fp_ieee_inexact 0
		.amdhsa_exception_int_div_zero 0
	.end_amdhsa_kernel
	.section	.text._ZN7rocprim17ROCPRIM_400000_NS6detail17trampoline_kernelINS0_13select_configILj256ELj13ELNS0_17block_load_methodE3ELS4_3ELS4_3ELNS0_20block_scan_algorithmE0ELj4294967295EEENS1_25partition_config_selectorILNS1_17partition_subalgoE4EjNS0_10empty_typeEbEEZZNS1_14partition_implILS8_4ELb0ES6_15HIP_vector_typeIjLj2EENS0_17counting_iteratorIjlEEPS9_SG_NS0_5tupleIJPjSI_NS0_16reverse_iteratorISI_EEEEENSH_IJSG_SG_SG_EEES9_SI_JZNS1_25segmented_radix_sort_implINS0_14default_configELb0EPKbPbPKlPlN2at6native12_GLOBAL__N_18offset_tEEE10hipError_tPvRmT1_PNSt15iterator_traitsIS12_E10value_typeET2_T3_PNS13_IS18_E10value_typeET4_jRbjT5_S1E_jjP12ihipStream_tbEUljE_ZNSN_ISO_Lb0ESQ_SR_ST_SU_SY_EESZ_S10_S11_S12_S16_S17_S18_S1B_S1C_jS1D_jS1E_S1E_jjS1G_bEUljE0_EEESZ_S10_S11_S18_S1C_S1E_T6_T7_T9_mT8_S1G_bDpT10_ENKUlT_T0_E_clISt17integral_constantIbLb1EES1U_EEDaS1P_S1Q_EUlS1P_E_NS1_11comp_targetILNS1_3genE3ELNS1_11target_archE908ELNS1_3gpuE7ELNS1_3repE0EEENS1_30default_config_static_selectorELNS0_4arch9wavefront6targetE0EEEvS12_,"axG",@progbits,_ZN7rocprim17ROCPRIM_400000_NS6detail17trampoline_kernelINS0_13select_configILj256ELj13ELNS0_17block_load_methodE3ELS4_3ELS4_3ELNS0_20block_scan_algorithmE0ELj4294967295EEENS1_25partition_config_selectorILNS1_17partition_subalgoE4EjNS0_10empty_typeEbEEZZNS1_14partition_implILS8_4ELb0ES6_15HIP_vector_typeIjLj2EENS0_17counting_iteratorIjlEEPS9_SG_NS0_5tupleIJPjSI_NS0_16reverse_iteratorISI_EEEEENSH_IJSG_SG_SG_EEES9_SI_JZNS1_25segmented_radix_sort_implINS0_14default_configELb0EPKbPbPKlPlN2at6native12_GLOBAL__N_18offset_tEEE10hipError_tPvRmT1_PNSt15iterator_traitsIS12_E10value_typeET2_T3_PNS13_IS18_E10value_typeET4_jRbjT5_S1E_jjP12ihipStream_tbEUljE_ZNSN_ISO_Lb0ESQ_SR_ST_SU_SY_EESZ_S10_S11_S12_S16_S17_S18_S1B_S1C_jS1D_jS1E_S1E_jjS1G_bEUljE0_EEESZ_S10_S11_S18_S1C_S1E_T6_T7_T9_mT8_S1G_bDpT10_ENKUlT_T0_E_clISt17integral_constantIbLb1EES1U_EEDaS1P_S1Q_EUlS1P_E_NS1_11comp_targetILNS1_3genE3ELNS1_11target_archE908ELNS1_3gpuE7ELNS1_3repE0EEENS1_30default_config_static_selectorELNS0_4arch9wavefront6targetE0EEEvS12_,comdat
.Lfunc_end1573:
	.size	_ZN7rocprim17ROCPRIM_400000_NS6detail17trampoline_kernelINS0_13select_configILj256ELj13ELNS0_17block_load_methodE3ELS4_3ELS4_3ELNS0_20block_scan_algorithmE0ELj4294967295EEENS1_25partition_config_selectorILNS1_17partition_subalgoE4EjNS0_10empty_typeEbEEZZNS1_14partition_implILS8_4ELb0ES6_15HIP_vector_typeIjLj2EENS0_17counting_iteratorIjlEEPS9_SG_NS0_5tupleIJPjSI_NS0_16reverse_iteratorISI_EEEEENSH_IJSG_SG_SG_EEES9_SI_JZNS1_25segmented_radix_sort_implINS0_14default_configELb0EPKbPbPKlPlN2at6native12_GLOBAL__N_18offset_tEEE10hipError_tPvRmT1_PNSt15iterator_traitsIS12_E10value_typeET2_T3_PNS13_IS18_E10value_typeET4_jRbjT5_S1E_jjP12ihipStream_tbEUljE_ZNSN_ISO_Lb0ESQ_SR_ST_SU_SY_EESZ_S10_S11_S12_S16_S17_S18_S1B_S1C_jS1D_jS1E_S1E_jjS1G_bEUljE0_EEESZ_S10_S11_S18_S1C_S1E_T6_T7_T9_mT8_S1G_bDpT10_ENKUlT_T0_E_clISt17integral_constantIbLb1EES1U_EEDaS1P_S1Q_EUlS1P_E_NS1_11comp_targetILNS1_3genE3ELNS1_11target_archE908ELNS1_3gpuE7ELNS1_3repE0EEENS1_30default_config_static_selectorELNS0_4arch9wavefront6targetE0EEEvS12_, .Lfunc_end1573-_ZN7rocprim17ROCPRIM_400000_NS6detail17trampoline_kernelINS0_13select_configILj256ELj13ELNS0_17block_load_methodE3ELS4_3ELS4_3ELNS0_20block_scan_algorithmE0ELj4294967295EEENS1_25partition_config_selectorILNS1_17partition_subalgoE4EjNS0_10empty_typeEbEEZZNS1_14partition_implILS8_4ELb0ES6_15HIP_vector_typeIjLj2EENS0_17counting_iteratorIjlEEPS9_SG_NS0_5tupleIJPjSI_NS0_16reverse_iteratorISI_EEEEENSH_IJSG_SG_SG_EEES9_SI_JZNS1_25segmented_radix_sort_implINS0_14default_configELb0EPKbPbPKlPlN2at6native12_GLOBAL__N_18offset_tEEE10hipError_tPvRmT1_PNSt15iterator_traitsIS12_E10value_typeET2_T3_PNS13_IS18_E10value_typeET4_jRbjT5_S1E_jjP12ihipStream_tbEUljE_ZNSN_ISO_Lb0ESQ_SR_ST_SU_SY_EESZ_S10_S11_S12_S16_S17_S18_S1B_S1C_jS1D_jS1E_S1E_jjS1G_bEUljE0_EEESZ_S10_S11_S18_S1C_S1E_T6_T7_T9_mT8_S1G_bDpT10_ENKUlT_T0_E_clISt17integral_constantIbLb1EES1U_EEDaS1P_S1Q_EUlS1P_E_NS1_11comp_targetILNS1_3genE3ELNS1_11target_archE908ELNS1_3gpuE7ELNS1_3repE0EEENS1_30default_config_static_selectorELNS0_4arch9wavefront6targetE0EEEvS12_
                                        ; -- End function
	.set _ZN7rocprim17ROCPRIM_400000_NS6detail17trampoline_kernelINS0_13select_configILj256ELj13ELNS0_17block_load_methodE3ELS4_3ELS4_3ELNS0_20block_scan_algorithmE0ELj4294967295EEENS1_25partition_config_selectorILNS1_17partition_subalgoE4EjNS0_10empty_typeEbEEZZNS1_14partition_implILS8_4ELb0ES6_15HIP_vector_typeIjLj2EENS0_17counting_iteratorIjlEEPS9_SG_NS0_5tupleIJPjSI_NS0_16reverse_iteratorISI_EEEEENSH_IJSG_SG_SG_EEES9_SI_JZNS1_25segmented_radix_sort_implINS0_14default_configELb0EPKbPbPKlPlN2at6native12_GLOBAL__N_18offset_tEEE10hipError_tPvRmT1_PNSt15iterator_traitsIS12_E10value_typeET2_T3_PNS13_IS18_E10value_typeET4_jRbjT5_S1E_jjP12ihipStream_tbEUljE_ZNSN_ISO_Lb0ESQ_SR_ST_SU_SY_EESZ_S10_S11_S12_S16_S17_S18_S1B_S1C_jS1D_jS1E_S1E_jjS1G_bEUljE0_EEESZ_S10_S11_S18_S1C_S1E_T6_T7_T9_mT8_S1G_bDpT10_ENKUlT_T0_E_clISt17integral_constantIbLb1EES1U_EEDaS1P_S1Q_EUlS1P_E_NS1_11comp_targetILNS1_3genE3ELNS1_11target_archE908ELNS1_3gpuE7ELNS1_3repE0EEENS1_30default_config_static_selectorELNS0_4arch9wavefront6targetE0EEEvS12_.num_vgpr, 0
	.set _ZN7rocprim17ROCPRIM_400000_NS6detail17trampoline_kernelINS0_13select_configILj256ELj13ELNS0_17block_load_methodE3ELS4_3ELS4_3ELNS0_20block_scan_algorithmE0ELj4294967295EEENS1_25partition_config_selectorILNS1_17partition_subalgoE4EjNS0_10empty_typeEbEEZZNS1_14partition_implILS8_4ELb0ES6_15HIP_vector_typeIjLj2EENS0_17counting_iteratorIjlEEPS9_SG_NS0_5tupleIJPjSI_NS0_16reverse_iteratorISI_EEEEENSH_IJSG_SG_SG_EEES9_SI_JZNS1_25segmented_radix_sort_implINS0_14default_configELb0EPKbPbPKlPlN2at6native12_GLOBAL__N_18offset_tEEE10hipError_tPvRmT1_PNSt15iterator_traitsIS12_E10value_typeET2_T3_PNS13_IS18_E10value_typeET4_jRbjT5_S1E_jjP12ihipStream_tbEUljE_ZNSN_ISO_Lb0ESQ_SR_ST_SU_SY_EESZ_S10_S11_S12_S16_S17_S18_S1B_S1C_jS1D_jS1E_S1E_jjS1G_bEUljE0_EEESZ_S10_S11_S18_S1C_S1E_T6_T7_T9_mT8_S1G_bDpT10_ENKUlT_T0_E_clISt17integral_constantIbLb1EES1U_EEDaS1P_S1Q_EUlS1P_E_NS1_11comp_targetILNS1_3genE3ELNS1_11target_archE908ELNS1_3gpuE7ELNS1_3repE0EEENS1_30default_config_static_selectorELNS0_4arch9wavefront6targetE0EEEvS12_.num_agpr, 0
	.set _ZN7rocprim17ROCPRIM_400000_NS6detail17trampoline_kernelINS0_13select_configILj256ELj13ELNS0_17block_load_methodE3ELS4_3ELS4_3ELNS0_20block_scan_algorithmE0ELj4294967295EEENS1_25partition_config_selectorILNS1_17partition_subalgoE4EjNS0_10empty_typeEbEEZZNS1_14partition_implILS8_4ELb0ES6_15HIP_vector_typeIjLj2EENS0_17counting_iteratorIjlEEPS9_SG_NS0_5tupleIJPjSI_NS0_16reverse_iteratorISI_EEEEENSH_IJSG_SG_SG_EEES9_SI_JZNS1_25segmented_radix_sort_implINS0_14default_configELb0EPKbPbPKlPlN2at6native12_GLOBAL__N_18offset_tEEE10hipError_tPvRmT1_PNSt15iterator_traitsIS12_E10value_typeET2_T3_PNS13_IS18_E10value_typeET4_jRbjT5_S1E_jjP12ihipStream_tbEUljE_ZNSN_ISO_Lb0ESQ_SR_ST_SU_SY_EESZ_S10_S11_S12_S16_S17_S18_S1B_S1C_jS1D_jS1E_S1E_jjS1G_bEUljE0_EEESZ_S10_S11_S18_S1C_S1E_T6_T7_T9_mT8_S1G_bDpT10_ENKUlT_T0_E_clISt17integral_constantIbLb1EES1U_EEDaS1P_S1Q_EUlS1P_E_NS1_11comp_targetILNS1_3genE3ELNS1_11target_archE908ELNS1_3gpuE7ELNS1_3repE0EEENS1_30default_config_static_selectorELNS0_4arch9wavefront6targetE0EEEvS12_.numbered_sgpr, 0
	.set _ZN7rocprim17ROCPRIM_400000_NS6detail17trampoline_kernelINS0_13select_configILj256ELj13ELNS0_17block_load_methodE3ELS4_3ELS4_3ELNS0_20block_scan_algorithmE0ELj4294967295EEENS1_25partition_config_selectorILNS1_17partition_subalgoE4EjNS0_10empty_typeEbEEZZNS1_14partition_implILS8_4ELb0ES6_15HIP_vector_typeIjLj2EENS0_17counting_iteratorIjlEEPS9_SG_NS0_5tupleIJPjSI_NS0_16reverse_iteratorISI_EEEEENSH_IJSG_SG_SG_EEES9_SI_JZNS1_25segmented_radix_sort_implINS0_14default_configELb0EPKbPbPKlPlN2at6native12_GLOBAL__N_18offset_tEEE10hipError_tPvRmT1_PNSt15iterator_traitsIS12_E10value_typeET2_T3_PNS13_IS18_E10value_typeET4_jRbjT5_S1E_jjP12ihipStream_tbEUljE_ZNSN_ISO_Lb0ESQ_SR_ST_SU_SY_EESZ_S10_S11_S12_S16_S17_S18_S1B_S1C_jS1D_jS1E_S1E_jjS1G_bEUljE0_EEESZ_S10_S11_S18_S1C_S1E_T6_T7_T9_mT8_S1G_bDpT10_ENKUlT_T0_E_clISt17integral_constantIbLb1EES1U_EEDaS1P_S1Q_EUlS1P_E_NS1_11comp_targetILNS1_3genE3ELNS1_11target_archE908ELNS1_3gpuE7ELNS1_3repE0EEENS1_30default_config_static_selectorELNS0_4arch9wavefront6targetE0EEEvS12_.num_named_barrier, 0
	.set _ZN7rocprim17ROCPRIM_400000_NS6detail17trampoline_kernelINS0_13select_configILj256ELj13ELNS0_17block_load_methodE3ELS4_3ELS4_3ELNS0_20block_scan_algorithmE0ELj4294967295EEENS1_25partition_config_selectorILNS1_17partition_subalgoE4EjNS0_10empty_typeEbEEZZNS1_14partition_implILS8_4ELb0ES6_15HIP_vector_typeIjLj2EENS0_17counting_iteratorIjlEEPS9_SG_NS0_5tupleIJPjSI_NS0_16reverse_iteratorISI_EEEEENSH_IJSG_SG_SG_EEES9_SI_JZNS1_25segmented_radix_sort_implINS0_14default_configELb0EPKbPbPKlPlN2at6native12_GLOBAL__N_18offset_tEEE10hipError_tPvRmT1_PNSt15iterator_traitsIS12_E10value_typeET2_T3_PNS13_IS18_E10value_typeET4_jRbjT5_S1E_jjP12ihipStream_tbEUljE_ZNSN_ISO_Lb0ESQ_SR_ST_SU_SY_EESZ_S10_S11_S12_S16_S17_S18_S1B_S1C_jS1D_jS1E_S1E_jjS1G_bEUljE0_EEESZ_S10_S11_S18_S1C_S1E_T6_T7_T9_mT8_S1G_bDpT10_ENKUlT_T0_E_clISt17integral_constantIbLb1EES1U_EEDaS1P_S1Q_EUlS1P_E_NS1_11comp_targetILNS1_3genE3ELNS1_11target_archE908ELNS1_3gpuE7ELNS1_3repE0EEENS1_30default_config_static_selectorELNS0_4arch9wavefront6targetE0EEEvS12_.private_seg_size, 0
	.set _ZN7rocprim17ROCPRIM_400000_NS6detail17trampoline_kernelINS0_13select_configILj256ELj13ELNS0_17block_load_methodE3ELS4_3ELS4_3ELNS0_20block_scan_algorithmE0ELj4294967295EEENS1_25partition_config_selectorILNS1_17partition_subalgoE4EjNS0_10empty_typeEbEEZZNS1_14partition_implILS8_4ELb0ES6_15HIP_vector_typeIjLj2EENS0_17counting_iteratorIjlEEPS9_SG_NS0_5tupleIJPjSI_NS0_16reverse_iteratorISI_EEEEENSH_IJSG_SG_SG_EEES9_SI_JZNS1_25segmented_radix_sort_implINS0_14default_configELb0EPKbPbPKlPlN2at6native12_GLOBAL__N_18offset_tEEE10hipError_tPvRmT1_PNSt15iterator_traitsIS12_E10value_typeET2_T3_PNS13_IS18_E10value_typeET4_jRbjT5_S1E_jjP12ihipStream_tbEUljE_ZNSN_ISO_Lb0ESQ_SR_ST_SU_SY_EESZ_S10_S11_S12_S16_S17_S18_S1B_S1C_jS1D_jS1E_S1E_jjS1G_bEUljE0_EEESZ_S10_S11_S18_S1C_S1E_T6_T7_T9_mT8_S1G_bDpT10_ENKUlT_T0_E_clISt17integral_constantIbLb1EES1U_EEDaS1P_S1Q_EUlS1P_E_NS1_11comp_targetILNS1_3genE3ELNS1_11target_archE908ELNS1_3gpuE7ELNS1_3repE0EEENS1_30default_config_static_selectorELNS0_4arch9wavefront6targetE0EEEvS12_.uses_vcc, 0
	.set _ZN7rocprim17ROCPRIM_400000_NS6detail17trampoline_kernelINS0_13select_configILj256ELj13ELNS0_17block_load_methodE3ELS4_3ELS4_3ELNS0_20block_scan_algorithmE0ELj4294967295EEENS1_25partition_config_selectorILNS1_17partition_subalgoE4EjNS0_10empty_typeEbEEZZNS1_14partition_implILS8_4ELb0ES6_15HIP_vector_typeIjLj2EENS0_17counting_iteratorIjlEEPS9_SG_NS0_5tupleIJPjSI_NS0_16reverse_iteratorISI_EEEEENSH_IJSG_SG_SG_EEES9_SI_JZNS1_25segmented_radix_sort_implINS0_14default_configELb0EPKbPbPKlPlN2at6native12_GLOBAL__N_18offset_tEEE10hipError_tPvRmT1_PNSt15iterator_traitsIS12_E10value_typeET2_T3_PNS13_IS18_E10value_typeET4_jRbjT5_S1E_jjP12ihipStream_tbEUljE_ZNSN_ISO_Lb0ESQ_SR_ST_SU_SY_EESZ_S10_S11_S12_S16_S17_S18_S1B_S1C_jS1D_jS1E_S1E_jjS1G_bEUljE0_EEESZ_S10_S11_S18_S1C_S1E_T6_T7_T9_mT8_S1G_bDpT10_ENKUlT_T0_E_clISt17integral_constantIbLb1EES1U_EEDaS1P_S1Q_EUlS1P_E_NS1_11comp_targetILNS1_3genE3ELNS1_11target_archE908ELNS1_3gpuE7ELNS1_3repE0EEENS1_30default_config_static_selectorELNS0_4arch9wavefront6targetE0EEEvS12_.uses_flat_scratch, 0
	.set _ZN7rocprim17ROCPRIM_400000_NS6detail17trampoline_kernelINS0_13select_configILj256ELj13ELNS0_17block_load_methodE3ELS4_3ELS4_3ELNS0_20block_scan_algorithmE0ELj4294967295EEENS1_25partition_config_selectorILNS1_17partition_subalgoE4EjNS0_10empty_typeEbEEZZNS1_14partition_implILS8_4ELb0ES6_15HIP_vector_typeIjLj2EENS0_17counting_iteratorIjlEEPS9_SG_NS0_5tupleIJPjSI_NS0_16reverse_iteratorISI_EEEEENSH_IJSG_SG_SG_EEES9_SI_JZNS1_25segmented_radix_sort_implINS0_14default_configELb0EPKbPbPKlPlN2at6native12_GLOBAL__N_18offset_tEEE10hipError_tPvRmT1_PNSt15iterator_traitsIS12_E10value_typeET2_T3_PNS13_IS18_E10value_typeET4_jRbjT5_S1E_jjP12ihipStream_tbEUljE_ZNSN_ISO_Lb0ESQ_SR_ST_SU_SY_EESZ_S10_S11_S12_S16_S17_S18_S1B_S1C_jS1D_jS1E_S1E_jjS1G_bEUljE0_EEESZ_S10_S11_S18_S1C_S1E_T6_T7_T9_mT8_S1G_bDpT10_ENKUlT_T0_E_clISt17integral_constantIbLb1EES1U_EEDaS1P_S1Q_EUlS1P_E_NS1_11comp_targetILNS1_3genE3ELNS1_11target_archE908ELNS1_3gpuE7ELNS1_3repE0EEENS1_30default_config_static_selectorELNS0_4arch9wavefront6targetE0EEEvS12_.has_dyn_sized_stack, 0
	.set _ZN7rocprim17ROCPRIM_400000_NS6detail17trampoline_kernelINS0_13select_configILj256ELj13ELNS0_17block_load_methodE3ELS4_3ELS4_3ELNS0_20block_scan_algorithmE0ELj4294967295EEENS1_25partition_config_selectorILNS1_17partition_subalgoE4EjNS0_10empty_typeEbEEZZNS1_14partition_implILS8_4ELb0ES6_15HIP_vector_typeIjLj2EENS0_17counting_iteratorIjlEEPS9_SG_NS0_5tupleIJPjSI_NS0_16reverse_iteratorISI_EEEEENSH_IJSG_SG_SG_EEES9_SI_JZNS1_25segmented_radix_sort_implINS0_14default_configELb0EPKbPbPKlPlN2at6native12_GLOBAL__N_18offset_tEEE10hipError_tPvRmT1_PNSt15iterator_traitsIS12_E10value_typeET2_T3_PNS13_IS18_E10value_typeET4_jRbjT5_S1E_jjP12ihipStream_tbEUljE_ZNSN_ISO_Lb0ESQ_SR_ST_SU_SY_EESZ_S10_S11_S12_S16_S17_S18_S1B_S1C_jS1D_jS1E_S1E_jjS1G_bEUljE0_EEESZ_S10_S11_S18_S1C_S1E_T6_T7_T9_mT8_S1G_bDpT10_ENKUlT_T0_E_clISt17integral_constantIbLb1EES1U_EEDaS1P_S1Q_EUlS1P_E_NS1_11comp_targetILNS1_3genE3ELNS1_11target_archE908ELNS1_3gpuE7ELNS1_3repE0EEENS1_30default_config_static_selectorELNS0_4arch9wavefront6targetE0EEEvS12_.has_recursion, 0
	.set _ZN7rocprim17ROCPRIM_400000_NS6detail17trampoline_kernelINS0_13select_configILj256ELj13ELNS0_17block_load_methodE3ELS4_3ELS4_3ELNS0_20block_scan_algorithmE0ELj4294967295EEENS1_25partition_config_selectorILNS1_17partition_subalgoE4EjNS0_10empty_typeEbEEZZNS1_14partition_implILS8_4ELb0ES6_15HIP_vector_typeIjLj2EENS0_17counting_iteratorIjlEEPS9_SG_NS0_5tupleIJPjSI_NS0_16reverse_iteratorISI_EEEEENSH_IJSG_SG_SG_EEES9_SI_JZNS1_25segmented_radix_sort_implINS0_14default_configELb0EPKbPbPKlPlN2at6native12_GLOBAL__N_18offset_tEEE10hipError_tPvRmT1_PNSt15iterator_traitsIS12_E10value_typeET2_T3_PNS13_IS18_E10value_typeET4_jRbjT5_S1E_jjP12ihipStream_tbEUljE_ZNSN_ISO_Lb0ESQ_SR_ST_SU_SY_EESZ_S10_S11_S12_S16_S17_S18_S1B_S1C_jS1D_jS1E_S1E_jjS1G_bEUljE0_EEESZ_S10_S11_S18_S1C_S1E_T6_T7_T9_mT8_S1G_bDpT10_ENKUlT_T0_E_clISt17integral_constantIbLb1EES1U_EEDaS1P_S1Q_EUlS1P_E_NS1_11comp_targetILNS1_3genE3ELNS1_11target_archE908ELNS1_3gpuE7ELNS1_3repE0EEENS1_30default_config_static_selectorELNS0_4arch9wavefront6targetE0EEEvS12_.has_indirect_call, 0
	.section	.AMDGPU.csdata,"",@progbits
; Kernel info:
; codeLenInByte = 0
; TotalNumSgprs: 0
; NumVgprs: 0
; ScratchSize: 0
; MemoryBound: 0
; FloatMode: 240
; IeeeMode: 1
; LDSByteSize: 0 bytes/workgroup (compile time only)
; SGPRBlocks: 0
; VGPRBlocks: 0
; NumSGPRsForWavesPerEU: 1
; NumVGPRsForWavesPerEU: 1
; Occupancy: 16
; WaveLimiterHint : 0
; COMPUTE_PGM_RSRC2:SCRATCH_EN: 0
; COMPUTE_PGM_RSRC2:USER_SGPR: 6
; COMPUTE_PGM_RSRC2:TRAP_HANDLER: 0
; COMPUTE_PGM_RSRC2:TGID_X_EN: 1
; COMPUTE_PGM_RSRC2:TGID_Y_EN: 0
; COMPUTE_PGM_RSRC2:TGID_Z_EN: 0
; COMPUTE_PGM_RSRC2:TIDIG_COMP_CNT: 0
	.section	.text._ZN7rocprim17ROCPRIM_400000_NS6detail17trampoline_kernelINS0_13select_configILj256ELj13ELNS0_17block_load_methodE3ELS4_3ELS4_3ELNS0_20block_scan_algorithmE0ELj4294967295EEENS1_25partition_config_selectorILNS1_17partition_subalgoE4EjNS0_10empty_typeEbEEZZNS1_14partition_implILS8_4ELb0ES6_15HIP_vector_typeIjLj2EENS0_17counting_iteratorIjlEEPS9_SG_NS0_5tupleIJPjSI_NS0_16reverse_iteratorISI_EEEEENSH_IJSG_SG_SG_EEES9_SI_JZNS1_25segmented_radix_sort_implINS0_14default_configELb0EPKbPbPKlPlN2at6native12_GLOBAL__N_18offset_tEEE10hipError_tPvRmT1_PNSt15iterator_traitsIS12_E10value_typeET2_T3_PNS13_IS18_E10value_typeET4_jRbjT5_S1E_jjP12ihipStream_tbEUljE_ZNSN_ISO_Lb0ESQ_SR_ST_SU_SY_EESZ_S10_S11_S12_S16_S17_S18_S1B_S1C_jS1D_jS1E_S1E_jjS1G_bEUljE0_EEESZ_S10_S11_S18_S1C_S1E_T6_T7_T9_mT8_S1G_bDpT10_ENKUlT_T0_E_clISt17integral_constantIbLb1EES1U_EEDaS1P_S1Q_EUlS1P_E_NS1_11comp_targetILNS1_3genE2ELNS1_11target_archE906ELNS1_3gpuE6ELNS1_3repE0EEENS1_30default_config_static_selectorELNS0_4arch9wavefront6targetE0EEEvS12_,"axG",@progbits,_ZN7rocprim17ROCPRIM_400000_NS6detail17trampoline_kernelINS0_13select_configILj256ELj13ELNS0_17block_load_methodE3ELS4_3ELS4_3ELNS0_20block_scan_algorithmE0ELj4294967295EEENS1_25partition_config_selectorILNS1_17partition_subalgoE4EjNS0_10empty_typeEbEEZZNS1_14partition_implILS8_4ELb0ES6_15HIP_vector_typeIjLj2EENS0_17counting_iteratorIjlEEPS9_SG_NS0_5tupleIJPjSI_NS0_16reverse_iteratorISI_EEEEENSH_IJSG_SG_SG_EEES9_SI_JZNS1_25segmented_radix_sort_implINS0_14default_configELb0EPKbPbPKlPlN2at6native12_GLOBAL__N_18offset_tEEE10hipError_tPvRmT1_PNSt15iterator_traitsIS12_E10value_typeET2_T3_PNS13_IS18_E10value_typeET4_jRbjT5_S1E_jjP12ihipStream_tbEUljE_ZNSN_ISO_Lb0ESQ_SR_ST_SU_SY_EESZ_S10_S11_S12_S16_S17_S18_S1B_S1C_jS1D_jS1E_S1E_jjS1G_bEUljE0_EEESZ_S10_S11_S18_S1C_S1E_T6_T7_T9_mT8_S1G_bDpT10_ENKUlT_T0_E_clISt17integral_constantIbLb1EES1U_EEDaS1P_S1Q_EUlS1P_E_NS1_11comp_targetILNS1_3genE2ELNS1_11target_archE906ELNS1_3gpuE6ELNS1_3repE0EEENS1_30default_config_static_selectorELNS0_4arch9wavefront6targetE0EEEvS12_,comdat
	.globl	_ZN7rocprim17ROCPRIM_400000_NS6detail17trampoline_kernelINS0_13select_configILj256ELj13ELNS0_17block_load_methodE3ELS4_3ELS4_3ELNS0_20block_scan_algorithmE0ELj4294967295EEENS1_25partition_config_selectorILNS1_17partition_subalgoE4EjNS0_10empty_typeEbEEZZNS1_14partition_implILS8_4ELb0ES6_15HIP_vector_typeIjLj2EENS0_17counting_iteratorIjlEEPS9_SG_NS0_5tupleIJPjSI_NS0_16reverse_iteratorISI_EEEEENSH_IJSG_SG_SG_EEES9_SI_JZNS1_25segmented_radix_sort_implINS0_14default_configELb0EPKbPbPKlPlN2at6native12_GLOBAL__N_18offset_tEEE10hipError_tPvRmT1_PNSt15iterator_traitsIS12_E10value_typeET2_T3_PNS13_IS18_E10value_typeET4_jRbjT5_S1E_jjP12ihipStream_tbEUljE_ZNSN_ISO_Lb0ESQ_SR_ST_SU_SY_EESZ_S10_S11_S12_S16_S17_S18_S1B_S1C_jS1D_jS1E_S1E_jjS1G_bEUljE0_EEESZ_S10_S11_S18_S1C_S1E_T6_T7_T9_mT8_S1G_bDpT10_ENKUlT_T0_E_clISt17integral_constantIbLb1EES1U_EEDaS1P_S1Q_EUlS1P_E_NS1_11comp_targetILNS1_3genE2ELNS1_11target_archE906ELNS1_3gpuE6ELNS1_3repE0EEENS1_30default_config_static_selectorELNS0_4arch9wavefront6targetE0EEEvS12_ ; -- Begin function _ZN7rocprim17ROCPRIM_400000_NS6detail17trampoline_kernelINS0_13select_configILj256ELj13ELNS0_17block_load_methodE3ELS4_3ELS4_3ELNS0_20block_scan_algorithmE0ELj4294967295EEENS1_25partition_config_selectorILNS1_17partition_subalgoE4EjNS0_10empty_typeEbEEZZNS1_14partition_implILS8_4ELb0ES6_15HIP_vector_typeIjLj2EENS0_17counting_iteratorIjlEEPS9_SG_NS0_5tupleIJPjSI_NS0_16reverse_iteratorISI_EEEEENSH_IJSG_SG_SG_EEES9_SI_JZNS1_25segmented_radix_sort_implINS0_14default_configELb0EPKbPbPKlPlN2at6native12_GLOBAL__N_18offset_tEEE10hipError_tPvRmT1_PNSt15iterator_traitsIS12_E10value_typeET2_T3_PNS13_IS18_E10value_typeET4_jRbjT5_S1E_jjP12ihipStream_tbEUljE_ZNSN_ISO_Lb0ESQ_SR_ST_SU_SY_EESZ_S10_S11_S12_S16_S17_S18_S1B_S1C_jS1D_jS1E_S1E_jjS1G_bEUljE0_EEESZ_S10_S11_S18_S1C_S1E_T6_T7_T9_mT8_S1G_bDpT10_ENKUlT_T0_E_clISt17integral_constantIbLb1EES1U_EEDaS1P_S1Q_EUlS1P_E_NS1_11comp_targetILNS1_3genE2ELNS1_11target_archE906ELNS1_3gpuE6ELNS1_3repE0EEENS1_30default_config_static_selectorELNS0_4arch9wavefront6targetE0EEEvS12_
	.p2align	8
	.type	_ZN7rocprim17ROCPRIM_400000_NS6detail17trampoline_kernelINS0_13select_configILj256ELj13ELNS0_17block_load_methodE3ELS4_3ELS4_3ELNS0_20block_scan_algorithmE0ELj4294967295EEENS1_25partition_config_selectorILNS1_17partition_subalgoE4EjNS0_10empty_typeEbEEZZNS1_14partition_implILS8_4ELb0ES6_15HIP_vector_typeIjLj2EENS0_17counting_iteratorIjlEEPS9_SG_NS0_5tupleIJPjSI_NS0_16reverse_iteratorISI_EEEEENSH_IJSG_SG_SG_EEES9_SI_JZNS1_25segmented_radix_sort_implINS0_14default_configELb0EPKbPbPKlPlN2at6native12_GLOBAL__N_18offset_tEEE10hipError_tPvRmT1_PNSt15iterator_traitsIS12_E10value_typeET2_T3_PNS13_IS18_E10value_typeET4_jRbjT5_S1E_jjP12ihipStream_tbEUljE_ZNSN_ISO_Lb0ESQ_SR_ST_SU_SY_EESZ_S10_S11_S12_S16_S17_S18_S1B_S1C_jS1D_jS1E_S1E_jjS1G_bEUljE0_EEESZ_S10_S11_S18_S1C_S1E_T6_T7_T9_mT8_S1G_bDpT10_ENKUlT_T0_E_clISt17integral_constantIbLb1EES1U_EEDaS1P_S1Q_EUlS1P_E_NS1_11comp_targetILNS1_3genE2ELNS1_11target_archE906ELNS1_3gpuE6ELNS1_3repE0EEENS1_30default_config_static_selectorELNS0_4arch9wavefront6targetE0EEEvS12_,@function
_ZN7rocprim17ROCPRIM_400000_NS6detail17trampoline_kernelINS0_13select_configILj256ELj13ELNS0_17block_load_methodE3ELS4_3ELS4_3ELNS0_20block_scan_algorithmE0ELj4294967295EEENS1_25partition_config_selectorILNS1_17partition_subalgoE4EjNS0_10empty_typeEbEEZZNS1_14partition_implILS8_4ELb0ES6_15HIP_vector_typeIjLj2EENS0_17counting_iteratorIjlEEPS9_SG_NS0_5tupleIJPjSI_NS0_16reverse_iteratorISI_EEEEENSH_IJSG_SG_SG_EEES9_SI_JZNS1_25segmented_radix_sort_implINS0_14default_configELb0EPKbPbPKlPlN2at6native12_GLOBAL__N_18offset_tEEE10hipError_tPvRmT1_PNSt15iterator_traitsIS12_E10value_typeET2_T3_PNS13_IS18_E10value_typeET4_jRbjT5_S1E_jjP12ihipStream_tbEUljE_ZNSN_ISO_Lb0ESQ_SR_ST_SU_SY_EESZ_S10_S11_S12_S16_S17_S18_S1B_S1C_jS1D_jS1E_S1E_jjS1G_bEUljE0_EEESZ_S10_S11_S18_S1C_S1E_T6_T7_T9_mT8_S1G_bDpT10_ENKUlT_T0_E_clISt17integral_constantIbLb1EES1U_EEDaS1P_S1Q_EUlS1P_E_NS1_11comp_targetILNS1_3genE2ELNS1_11target_archE906ELNS1_3gpuE6ELNS1_3repE0EEENS1_30default_config_static_selectorELNS0_4arch9wavefront6targetE0EEEvS12_: ; @_ZN7rocprim17ROCPRIM_400000_NS6detail17trampoline_kernelINS0_13select_configILj256ELj13ELNS0_17block_load_methodE3ELS4_3ELS4_3ELNS0_20block_scan_algorithmE0ELj4294967295EEENS1_25partition_config_selectorILNS1_17partition_subalgoE4EjNS0_10empty_typeEbEEZZNS1_14partition_implILS8_4ELb0ES6_15HIP_vector_typeIjLj2EENS0_17counting_iteratorIjlEEPS9_SG_NS0_5tupleIJPjSI_NS0_16reverse_iteratorISI_EEEEENSH_IJSG_SG_SG_EEES9_SI_JZNS1_25segmented_radix_sort_implINS0_14default_configELb0EPKbPbPKlPlN2at6native12_GLOBAL__N_18offset_tEEE10hipError_tPvRmT1_PNSt15iterator_traitsIS12_E10value_typeET2_T3_PNS13_IS18_E10value_typeET4_jRbjT5_S1E_jjP12ihipStream_tbEUljE_ZNSN_ISO_Lb0ESQ_SR_ST_SU_SY_EESZ_S10_S11_S12_S16_S17_S18_S1B_S1C_jS1D_jS1E_S1E_jjS1G_bEUljE0_EEESZ_S10_S11_S18_S1C_S1E_T6_T7_T9_mT8_S1G_bDpT10_ENKUlT_T0_E_clISt17integral_constantIbLb1EES1U_EEDaS1P_S1Q_EUlS1P_E_NS1_11comp_targetILNS1_3genE2ELNS1_11target_archE906ELNS1_3gpuE6ELNS1_3repE0EEENS1_30default_config_static_selectorELNS0_4arch9wavefront6targetE0EEEvS12_
; %bb.0:
	.section	.rodata,"a",@progbits
	.p2align	6, 0x0
	.amdhsa_kernel _ZN7rocprim17ROCPRIM_400000_NS6detail17trampoline_kernelINS0_13select_configILj256ELj13ELNS0_17block_load_methodE3ELS4_3ELS4_3ELNS0_20block_scan_algorithmE0ELj4294967295EEENS1_25partition_config_selectorILNS1_17partition_subalgoE4EjNS0_10empty_typeEbEEZZNS1_14partition_implILS8_4ELb0ES6_15HIP_vector_typeIjLj2EENS0_17counting_iteratorIjlEEPS9_SG_NS0_5tupleIJPjSI_NS0_16reverse_iteratorISI_EEEEENSH_IJSG_SG_SG_EEES9_SI_JZNS1_25segmented_radix_sort_implINS0_14default_configELb0EPKbPbPKlPlN2at6native12_GLOBAL__N_18offset_tEEE10hipError_tPvRmT1_PNSt15iterator_traitsIS12_E10value_typeET2_T3_PNS13_IS18_E10value_typeET4_jRbjT5_S1E_jjP12ihipStream_tbEUljE_ZNSN_ISO_Lb0ESQ_SR_ST_SU_SY_EESZ_S10_S11_S12_S16_S17_S18_S1B_S1C_jS1D_jS1E_S1E_jjS1G_bEUljE0_EEESZ_S10_S11_S18_S1C_S1E_T6_T7_T9_mT8_S1G_bDpT10_ENKUlT_T0_E_clISt17integral_constantIbLb1EES1U_EEDaS1P_S1Q_EUlS1P_E_NS1_11comp_targetILNS1_3genE2ELNS1_11target_archE906ELNS1_3gpuE6ELNS1_3repE0EEENS1_30default_config_static_selectorELNS0_4arch9wavefront6targetE0EEEvS12_
		.amdhsa_group_segment_fixed_size 0
		.amdhsa_private_segment_fixed_size 0
		.amdhsa_kernarg_size 184
		.amdhsa_user_sgpr_count 6
		.amdhsa_user_sgpr_private_segment_buffer 1
		.amdhsa_user_sgpr_dispatch_ptr 0
		.amdhsa_user_sgpr_queue_ptr 0
		.amdhsa_user_sgpr_kernarg_segment_ptr 1
		.amdhsa_user_sgpr_dispatch_id 0
		.amdhsa_user_sgpr_flat_scratch_init 0
		.amdhsa_user_sgpr_private_segment_size 0
		.amdhsa_wavefront_size32 1
		.amdhsa_uses_dynamic_stack 0
		.amdhsa_system_sgpr_private_segment_wavefront_offset 0
		.amdhsa_system_sgpr_workgroup_id_x 1
		.amdhsa_system_sgpr_workgroup_id_y 0
		.amdhsa_system_sgpr_workgroup_id_z 0
		.amdhsa_system_sgpr_workgroup_info 0
		.amdhsa_system_vgpr_workitem_id 0
		.amdhsa_next_free_vgpr 1
		.amdhsa_next_free_sgpr 1
		.amdhsa_reserve_vcc 0
		.amdhsa_reserve_flat_scratch 0
		.amdhsa_float_round_mode_32 0
		.amdhsa_float_round_mode_16_64 0
		.amdhsa_float_denorm_mode_32 3
		.amdhsa_float_denorm_mode_16_64 3
		.amdhsa_dx10_clamp 1
		.amdhsa_ieee_mode 1
		.amdhsa_fp16_overflow 0
		.amdhsa_workgroup_processor_mode 1
		.amdhsa_memory_ordered 1
		.amdhsa_forward_progress 1
		.amdhsa_shared_vgpr_count 0
		.amdhsa_exception_fp_ieee_invalid_op 0
		.amdhsa_exception_fp_denorm_src 0
		.amdhsa_exception_fp_ieee_div_zero 0
		.amdhsa_exception_fp_ieee_overflow 0
		.amdhsa_exception_fp_ieee_underflow 0
		.amdhsa_exception_fp_ieee_inexact 0
		.amdhsa_exception_int_div_zero 0
	.end_amdhsa_kernel
	.section	.text._ZN7rocprim17ROCPRIM_400000_NS6detail17trampoline_kernelINS0_13select_configILj256ELj13ELNS0_17block_load_methodE3ELS4_3ELS4_3ELNS0_20block_scan_algorithmE0ELj4294967295EEENS1_25partition_config_selectorILNS1_17partition_subalgoE4EjNS0_10empty_typeEbEEZZNS1_14partition_implILS8_4ELb0ES6_15HIP_vector_typeIjLj2EENS0_17counting_iteratorIjlEEPS9_SG_NS0_5tupleIJPjSI_NS0_16reverse_iteratorISI_EEEEENSH_IJSG_SG_SG_EEES9_SI_JZNS1_25segmented_radix_sort_implINS0_14default_configELb0EPKbPbPKlPlN2at6native12_GLOBAL__N_18offset_tEEE10hipError_tPvRmT1_PNSt15iterator_traitsIS12_E10value_typeET2_T3_PNS13_IS18_E10value_typeET4_jRbjT5_S1E_jjP12ihipStream_tbEUljE_ZNSN_ISO_Lb0ESQ_SR_ST_SU_SY_EESZ_S10_S11_S12_S16_S17_S18_S1B_S1C_jS1D_jS1E_S1E_jjS1G_bEUljE0_EEESZ_S10_S11_S18_S1C_S1E_T6_T7_T9_mT8_S1G_bDpT10_ENKUlT_T0_E_clISt17integral_constantIbLb1EES1U_EEDaS1P_S1Q_EUlS1P_E_NS1_11comp_targetILNS1_3genE2ELNS1_11target_archE906ELNS1_3gpuE6ELNS1_3repE0EEENS1_30default_config_static_selectorELNS0_4arch9wavefront6targetE0EEEvS12_,"axG",@progbits,_ZN7rocprim17ROCPRIM_400000_NS6detail17trampoline_kernelINS0_13select_configILj256ELj13ELNS0_17block_load_methodE3ELS4_3ELS4_3ELNS0_20block_scan_algorithmE0ELj4294967295EEENS1_25partition_config_selectorILNS1_17partition_subalgoE4EjNS0_10empty_typeEbEEZZNS1_14partition_implILS8_4ELb0ES6_15HIP_vector_typeIjLj2EENS0_17counting_iteratorIjlEEPS9_SG_NS0_5tupleIJPjSI_NS0_16reverse_iteratorISI_EEEEENSH_IJSG_SG_SG_EEES9_SI_JZNS1_25segmented_radix_sort_implINS0_14default_configELb0EPKbPbPKlPlN2at6native12_GLOBAL__N_18offset_tEEE10hipError_tPvRmT1_PNSt15iterator_traitsIS12_E10value_typeET2_T3_PNS13_IS18_E10value_typeET4_jRbjT5_S1E_jjP12ihipStream_tbEUljE_ZNSN_ISO_Lb0ESQ_SR_ST_SU_SY_EESZ_S10_S11_S12_S16_S17_S18_S1B_S1C_jS1D_jS1E_S1E_jjS1G_bEUljE0_EEESZ_S10_S11_S18_S1C_S1E_T6_T7_T9_mT8_S1G_bDpT10_ENKUlT_T0_E_clISt17integral_constantIbLb1EES1U_EEDaS1P_S1Q_EUlS1P_E_NS1_11comp_targetILNS1_3genE2ELNS1_11target_archE906ELNS1_3gpuE6ELNS1_3repE0EEENS1_30default_config_static_selectorELNS0_4arch9wavefront6targetE0EEEvS12_,comdat
.Lfunc_end1574:
	.size	_ZN7rocprim17ROCPRIM_400000_NS6detail17trampoline_kernelINS0_13select_configILj256ELj13ELNS0_17block_load_methodE3ELS4_3ELS4_3ELNS0_20block_scan_algorithmE0ELj4294967295EEENS1_25partition_config_selectorILNS1_17partition_subalgoE4EjNS0_10empty_typeEbEEZZNS1_14partition_implILS8_4ELb0ES6_15HIP_vector_typeIjLj2EENS0_17counting_iteratorIjlEEPS9_SG_NS0_5tupleIJPjSI_NS0_16reverse_iteratorISI_EEEEENSH_IJSG_SG_SG_EEES9_SI_JZNS1_25segmented_radix_sort_implINS0_14default_configELb0EPKbPbPKlPlN2at6native12_GLOBAL__N_18offset_tEEE10hipError_tPvRmT1_PNSt15iterator_traitsIS12_E10value_typeET2_T3_PNS13_IS18_E10value_typeET4_jRbjT5_S1E_jjP12ihipStream_tbEUljE_ZNSN_ISO_Lb0ESQ_SR_ST_SU_SY_EESZ_S10_S11_S12_S16_S17_S18_S1B_S1C_jS1D_jS1E_S1E_jjS1G_bEUljE0_EEESZ_S10_S11_S18_S1C_S1E_T6_T7_T9_mT8_S1G_bDpT10_ENKUlT_T0_E_clISt17integral_constantIbLb1EES1U_EEDaS1P_S1Q_EUlS1P_E_NS1_11comp_targetILNS1_3genE2ELNS1_11target_archE906ELNS1_3gpuE6ELNS1_3repE0EEENS1_30default_config_static_selectorELNS0_4arch9wavefront6targetE0EEEvS12_, .Lfunc_end1574-_ZN7rocprim17ROCPRIM_400000_NS6detail17trampoline_kernelINS0_13select_configILj256ELj13ELNS0_17block_load_methodE3ELS4_3ELS4_3ELNS0_20block_scan_algorithmE0ELj4294967295EEENS1_25partition_config_selectorILNS1_17partition_subalgoE4EjNS0_10empty_typeEbEEZZNS1_14partition_implILS8_4ELb0ES6_15HIP_vector_typeIjLj2EENS0_17counting_iteratorIjlEEPS9_SG_NS0_5tupleIJPjSI_NS0_16reverse_iteratorISI_EEEEENSH_IJSG_SG_SG_EEES9_SI_JZNS1_25segmented_radix_sort_implINS0_14default_configELb0EPKbPbPKlPlN2at6native12_GLOBAL__N_18offset_tEEE10hipError_tPvRmT1_PNSt15iterator_traitsIS12_E10value_typeET2_T3_PNS13_IS18_E10value_typeET4_jRbjT5_S1E_jjP12ihipStream_tbEUljE_ZNSN_ISO_Lb0ESQ_SR_ST_SU_SY_EESZ_S10_S11_S12_S16_S17_S18_S1B_S1C_jS1D_jS1E_S1E_jjS1G_bEUljE0_EEESZ_S10_S11_S18_S1C_S1E_T6_T7_T9_mT8_S1G_bDpT10_ENKUlT_T0_E_clISt17integral_constantIbLb1EES1U_EEDaS1P_S1Q_EUlS1P_E_NS1_11comp_targetILNS1_3genE2ELNS1_11target_archE906ELNS1_3gpuE6ELNS1_3repE0EEENS1_30default_config_static_selectorELNS0_4arch9wavefront6targetE0EEEvS12_
                                        ; -- End function
	.set _ZN7rocprim17ROCPRIM_400000_NS6detail17trampoline_kernelINS0_13select_configILj256ELj13ELNS0_17block_load_methodE3ELS4_3ELS4_3ELNS0_20block_scan_algorithmE0ELj4294967295EEENS1_25partition_config_selectorILNS1_17partition_subalgoE4EjNS0_10empty_typeEbEEZZNS1_14partition_implILS8_4ELb0ES6_15HIP_vector_typeIjLj2EENS0_17counting_iteratorIjlEEPS9_SG_NS0_5tupleIJPjSI_NS0_16reverse_iteratorISI_EEEEENSH_IJSG_SG_SG_EEES9_SI_JZNS1_25segmented_radix_sort_implINS0_14default_configELb0EPKbPbPKlPlN2at6native12_GLOBAL__N_18offset_tEEE10hipError_tPvRmT1_PNSt15iterator_traitsIS12_E10value_typeET2_T3_PNS13_IS18_E10value_typeET4_jRbjT5_S1E_jjP12ihipStream_tbEUljE_ZNSN_ISO_Lb0ESQ_SR_ST_SU_SY_EESZ_S10_S11_S12_S16_S17_S18_S1B_S1C_jS1D_jS1E_S1E_jjS1G_bEUljE0_EEESZ_S10_S11_S18_S1C_S1E_T6_T7_T9_mT8_S1G_bDpT10_ENKUlT_T0_E_clISt17integral_constantIbLb1EES1U_EEDaS1P_S1Q_EUlS1P_E_NS1_11comp_targetILNS1_3genE2ELNS1_11target_archE906ELNS1_3gpuE6ELNS1_3repE0EEENS1_30default_config_static_selectorELNS0_4arch9wavefront6targetE0EEEvS12_.num_vgpr, 0
	.set _ZN7rocprim17ROCPRIM_400000_NS6detail17trampoline_kernelINS0_13select_configILj256ELj13ELNS0_17block_load_methodE3ELS4_3ELS4_3ELNS0_20block_scan_algorithmE0ELj4294967295EEENS1_25partition_config_selectorILNS1_17partition_subalgoE4EjNS0_10empty_typeEbEEZZNS1_14partition_implILS8_4ELb0ES6_15HIP_vector_typeIjLj2EENS0_17counting_iteratorIjlEEPS9_SG_NS0_5tupleIJPjSI_NS0_16reverse_iteratorISI_EEEEENSH_IJSG_SG_SG_EEES9_SI_JZNS1_25segmented_radix_sort_implINS0_14default_configELb0EPKbPbPKlPlN2at6native12_GLOBAL__N_18offset_tEEE10hipError_tPvRmT1_PNSt15iterator_traitsIS12_E10value_typeET2_T3_PNS13_IS18_E10value_typeET4_jRbjT5_S1E_jjP12ihipStream_tbEUljE_ZNSN_ISO_Lb0ESQ_SR_ST_SU_SY_EESZ_S10_S11_S12_S16_S17_S18_S1B_S1C_jS1D_jS1E_S1E_jjS1G_bEUljE0_EEESZ_S10_S11_S18_S1C_S1E_T6_T7_T9_mT8_S1G_bDpT10_ENKUlT_T0_E_clISt17integral_constantIbLb1EES1U_EEDaS1P_S1Q_EUlS1P_E_NS1_11comp_targetILNS1_3genE2ELNS1_11target_archE906ELNS1_3gpuE6ELNS1_3repE0EEENS1_30default_config_static_selectorELNS0_4arch9wavefront6targetE0EEEvS12_.num_agpr, 0
	.set _ZN7rocprim17ROCPRIM_400000_NS6detail17trampoline_kernelINS0_13select_configILj256ELj13ELNS0_17block_load_methodE3ELS4_3ELS4_3ELNS0_20block_scan_algorithmE0ELj4294967295EEENS1_25partition_config_selectorILNS1_17partition_subalgoE4EjNS0_10empty_typeEbEEZZNS1_14partition_implILS8_4ELb0ES6_15HIP_vector_typeIjLj2EENS0_17counting_iteratorIjlEEPS9_SG_NS0_5tupleIJPjSI_NS0_16reverse_iteratorISI_EEEEENSH_IJSG_SG_SG_EEES9_SI_JZNS1_25segmented_radix_sort_implINS0_14default_configELb0EPKbPbPKlPlN2at6native12_GLOBAL__N_18offset_tEEE10hipError_tPvRmT1_PNSt15iterator_traitsIS12_E10value_typeET2_T3_PNS13_IS18_E10value_typeET4_jRbjT5_S1E_jjP12ihipStream_tbEUljE_ZNSN_ISO_Lb0ESQ_SR_ST_SU_SY_EESZ_S10_S11_S12_S16_S17_S18_S1B_S1C_jS1D_jS1E_S1E_jjS1G_bEUljE0_EEESZ_S10_S11_S18_S1C_S1E_T6_T7_T9_mT8_S1G_bDpT10_ENKUlT_T0_E_clISt17integral_constantIbLb1EES1U_EEDaS1P_S1Q_EUlS1P_E_NS1_11comp_targetILNS1_3genE2ELNS1_11target_archE906ELNS1_3gpuE6ELNS1_3repE0EEENS1_30default_config_static_selectorELNS0_4arch9wavefront6targetE0EEEvS12_.numbered_sgpr, 0
	.set _ZN7rocprim17ROCPRIM_400000_NS6detail17trampoline_kernelINS0_13select_configILj256ELj13ELNS0_17block_load_methodE3ELS4_3ELS4_3ELNS0_20block_scan_algorithmE0ELj4294967295EEENS1_25partition_config_selectorILNS1_17partition_subalgoE4EjNS0_10empty_typeEbEEZZNS1_14partition_implILS8_4ELb0ES6_15HIP_vector_typeIjLj2EENS0_17counting_iteratorIjlEEPS9_SG_NS0_5tupleIJPjSI_NS0_16reverse_iteratorISI_EEEEENSH_IJSG_SG_SG_EEES9_SI_JZNS1_25segmented_radix_sort_implINS0_14default_configELb0EPKbPbPKlPlN2at6native12_GLOBAL__N_18offset_tEEE10hipError_tPvRmT1_PNSt15iterator_traitsIS12_E10value_typeET2_T3_PNS13_IS18_E10value_typeET4_jRbjT5_S1E_jjP12ihipStream_tbEUljE_ZNSN_ISO_Lb0ESQ_SR_ST_SU_SY_EESZ_S10_S11_S12_S16_S17_S18_S1B_S1C_jS1D_jS1E_S1E_jjS1G_bEUljE0_EEESZ_S10_S11_S18_S1C_S1E_T6_T7_T9_mT8_S1G_bDpT10_ENKUlT_T0_E_clISt17integral_constantIbLb1EES1U_EEDaS1P_S1Q_EUlS1P_E_NS1_11comp_targetILNS1_3genE2ELNS1_11target_archE906ELNS1_3gpuE6ELNS1_3repE0EEENS1_30default_config_static_selectorELNS0_4arch9wavefront6targetE0EEEvS12_.num_named_barrier, 0
	.set _ZN7rocprim17ROCPRIM_400000_NS6detail17trampoline_kernelINS0_13select_configILj256ELj13ELNS0_17block_load_methodE3ELS4_3ELS4_3ELNS0_20block_scan_algorithmE0ELj4294967295EEENS1_25partition_config_selectorILNS1_17partition_subalgoE4EjNS0_10empty_typeEbEEZZNS1_14partition_implILS8_4ELb0ES6_15HIP_vector_typeIjLj2EENS0_17counting_iteratorIjlEEPS9_SG_NS0_5tupleIJPjSI_NS0_16reverse_iteratorISI_EEEEENSH_IJSG_SG_SG_EEES9_SI_JZNS1_25segmented_radix_sort_implINS0_14default_configELb0EPKbPbPKlPlN2at6native12_GLOBAL__N_18offset_tEEE10hipError_tPvRmT1_PNSt15iterator_traitsIS12_E10value_typeET2_T3_PNS13_IS18_E10value_typeET4_jRbjT5_S1E_jjP12ihipStream_tbEUljE_ZNSN_ISO_Lb0ESQ_SR_ST_SU_SY_EESZ_S10_S11_S12_S16_S17_S18_S1B_S1C_jS1D_jS1E_S1E_jjS1G_bEUljE0_EEESZ_S10_S11_S18_S1C_S1E_T6_T7_T9_mT8_S1G_bDpT10_ENKUlT_T0_E_clISt17integral_constantIbLb1EES1U_EEDaS1P_S1Q_EUlS1P_E_NS1_11comp_targetILNS1_3genE2ELNS1_11target_archE906ELNS1_3gpuE6ELNS1_3repE0EEENS1_30default_config_static_selectorELNS0_4arch9wavefront6targetE0EEEvS12_.private_seg_size, 0
	.set _ZN7rocprim17ROCPRIM_400000_NS6detail17trampoline_kernelINS0_13select_configILj256ELj13ELNS0_17block_load_methodE3ELS4_3ELS4_3ELNS0_20block_scan_algorithmE0ELj4294967295EEENS1_25partition_config_selectorILNS1_17partition_subalgoE4EjNS0_10empty_typeEbEEZZNS1_14partition_implILS8_4ELb0ES6_15HIP_vector_typeIjLj2EENS0_17counting_iteratorIjlEEPS9_SG_NS0_5tupleIJPjSI_NS0_16reverse_iteratorISI_EEEEENSH_IJSG_SG_SG_EEES9_SI_JZNS1_25segmented_radix_sort_implINS0_14default_configELb0EPKbPbPKlPlN2at6native12_GLOBAL__N_18offset_tEEE10hipError_tPvRmT1_PNSt15iterator_traitsIS12_E10value_typeET2_T3_PNS13_IS18_E10value_typeET4_jRbjT5_S1E_jjP12ihipStream_tbEUljE_ZNSN_ISO_Lb0ESQ_SR_ST_SU_SY_EESZ_S10_S11_S12_S16_S17_S18_S1B_S1C_jS1D_jS1E_S1E_jjS1G_bEUljE0_EEESZ_S10_S11_S18_S1C_S1E_T6_T7_T9_mT8_S1G_bDpT10_ENKUlT_T0_E_clISt17integral_constantIbLb1EES1U_EEDaS1P_S1Q_EUlS1P_E_NS1_11comp_targetILNS1_3genE2ELNS1_11target_archE906ELNS1_3gpuE6ELNS1_3repE0EEENS1_30default_config_static_selectorELNS0_4arch9wavefront6targetE0EEEvS12_.uses_vcc, 0
	.set _ZN7rocprim17ROCPRIM_400000_NS6detail17trampoline_kernelINS0_13select_configILj256ELj13ELNS0_17block_load_methodE3ELS4_3ELS4_3ELNS0_20block_scan_algorithmE0ELj4294967295EEENS1_25partition_config_selectorILNS1_17partition_subalgoE4EjNS0_10empty_typeEbEEZZNS1_14partition_implILS8_4ELb0ES6_15HIP_vector_typeIjLj2EENS0_17counting_iteratorIjlEEPS9_SG_NS0_5tupleIJPjSI_NS0_16reverse_iteratorISI_EEEEENSH_IJSG_SG_SG_EEES9_SI_JZNS1_25segmented_radix_sort_implINS0_14default_configELb0EPKbPbPKlPlN2at6native12_GLOBAL__N_18offset_tEEE10hipError_tPvRmT1_PNSt15iterator_traitsIS12_E10value_typeET2_T3_PNS13_IS18_E10value_typeET4_jRbjT5_S1E_jjP12ihipStream_tbEUljE_ZNSN_ISO_Lb0ESQ_SR_ST_SU_SY_EESZ_S10_S11_S12_S16_S17_S18_S1B_S1C_jS1D_jS1E_S1E_jjS1G_bEUljE0_EEESZ_S10_S11_S18_S1C_S1E_T6_T7_T9_mT8_S1G_bDpT10_ENKUlT_T0_E_clISt17integral_constantIbLb1EES1U_EEDaS1P_S1Q_EUlS1P_E_NS1_11comp_targetILNS1_3genE2ELNS1_11target_archE906ELNS1_3gpuE6ELNS1_3repE0EEENS1_30default_config_static_selectorELNS0_4arch9wavefront6targetE0EEEvS12_.uses_flat_scratch, 0
	.set _ZN7rocprim17ROCPRIM_400000_NS6detail17trampoline_kernelINS0_13select_configILj256ELj13ELNS0_17block_load_methodE3ELS4_3ELS4_3ELNS0_20block_scan_algorithmE0ELj4294967295EEENS1_25partition_config_selectorILNS1_17partition_subalgoE4EjNS0_10empty_typeEbEEZZNS1_14partition_implILS8_4ELb0ES6_15HIP_vector_typeIjLj2EENS0_17counting_iteratorIjlEEPS9_SG_NS0_5tupleIJPjSI_NS0_16reverse_iteratorISI_EEEEENSH_IJSG_SG_SG_EEES9_SI_JZNS1_25segmented_radix_sort_implINS0_14default_configELb0EPKbPbPKlPlN2at6native12_GLOBAL__N_18offset_tEEE10hipError_tPvRmT1_PNSt15iterator_traitsIS12_E10value_typeET2_T3_PNS13_IS18_E10value_typeET4_jRbjT5_S1E_jjP12ihipStream_tbEUljE_ZNSN_ISO_Lb0ESQ_SR_ST_SU_SY_EESZ_S10_S11_S12_S16_S17_S18_S1B_S1C_jS1D_jS1E_S1E_jjS1G_bEUljE0_EEESZ_S10_S11_S18_S1C_S1E_T6_T7_T9_mT8_S1G_bDpT10_ENKUlT_T0_E_clISt17integral_constantIbLb1EES1U_EEDaS1P_S1Q_EUlS1P_E_NS1_11comp_targetILNS1_3genE2ELNS1_11target_archE906ELNS1_3gpuE6ELNS1_3repE0EEENS1_30default_config_static_selectorELNS0_4arch9wavefront6targetE0EEEvS12_.has_dyn_sized_stack, 0
	.set _ZN7rocprim17ROCPRIM_400000_NS6detail17trampoline_kernelINS0_13select_configILj256ELj13ELNS0_17block_load_methodE3ELS4_3ELS4_3ELNS0_20block_scan_algorithmE0ELj4294967295EEENS1_25partition_config_selectorILNS1_17partition_subalgoE4EjNS0_10empty_typeEbEEZZNS1_14partition_implILS8_4ELb0ES6_15HIP_vector_typeIjLj2EENS0_17counting_iteratorIjlEEPS9_SG_NS0_5tupleIJPjSI_NS0_16reverse_iteratorISI_EEEEENSH_IJSG_SG_SG_EEES9_SI_JZNS1_25segmented_radix_sort_implINS0_14default_configELb0EPKbPbPKlPlN2at6native12_GLOBAL__N_18offset_tEEE10hipError_tPvRmT1_PNSt15iterator_traitsIS12_E10value_typeET2_T3_PNS13_IS18_E10value_typeET4_jRbjT5_S1E_jjP12ihipStream_tbEUljE_ZNSN_ISO_Lb0ESQ_SR_ST_SU_SY_EESZ_S10_S11_S12_S16_S17_S18_S1B_S1C_jS1D_jS1E_S1E_jjS1G_bEUljE0_EEESZ_S10_S11_S18_S1C_S1E_T6_T7_T9_mT8_S1G_bDpT10_ENKUlT_T0_E_clISt17integral_constantIbLb1EES1U_EEDaS1P_S1Q_EUlS1P_E_NS1_11comp_targetILNS1_3genE2ELNS1_11target_archE906ELNS1_3gpuE6ELNS1_3repE0EEENS1_30default_config_static_selectorELNS0_4arch9wavefront6targetE0EEEvS12_.has_recursion, 0
	.set _ZN7rocprim17ROCPRIM_400000_NS6detail17trampoline_kernelINS0_13select_configILj256ELj13ELNS0_17block_load_methodE3ELS4_3ELS4_3ELNS0_20block_scan_algorithmE0ELj4294967295EEENS1_25partition_config_selectorILNS1_17partition_subalgoE4EjNS0_10empty_typeEbEEZZNS1_14partition_implILS8_4ELb0ES6_15HIP_vector_typeIjLj2EENS0_17counting_iteratorIjlEEPS9_SG_NS0_5tupleIJPjSI_NS0_16reverse_iteratorISI_EEEEENSH_IJSG_SG_SG_EEES9_SI_JZNS1_25segmented_radix_sort_implINS0_14default_configELb0EPKbPbPKlPlN2at6native12_GLOBAL__N_18offset_tEEE10hipError_tPvRmT1_PNSt15iterator_traitsIS12_E10value_typeET2_T3_PNS13_IS18_E10value_typeET4_jRbjT5_S1E_jjP12ihipStream_tbEUljE_ZNSN_ISO_Lb0ESQ_SR_ST_SU_SY_EESZ_S10_S11_S12_S16_S17_S18_S1B_S1C_jS1D_jS1E_S1E_jjS1G_bEUljE0_EEESZ_S10_S11_S18_S1C_S1E_T6_T7_T9_mT8_S1G_bDpT10_ENKUlT_T0_E_clISt17integral_constantIbLb1EES1U_EEDaS1P_S1Q_EUlS1P_E_NS1_11comp_targetILNS1_3genE2ELNS1_11target_archE906ELNS1_3gpuE6ELNS1_3repE0EEENS1_30default_config_static_selectorELNS0_4arch9wavefront6targetE0EEEvS12_.has_indirect_call, 0
	.section	.AMDGPU.csdata,"",@progbits
; Kernel info:
; codeLenInByte = 0
; TotalNumSgprs: 0
; NumVgprs: 0
; ScratchSize: 0
; MemoryBound: 0
; FloatMode: 240
; IeeeMode: 1
; LDSByteSize: 0 bytes/workgroup (compile time only)
; SGPRBlocks: 0
; VGPRBlocks: 0
; NumSGPRsForWavesPerEU: 1
; NumVGPRsForWavesPerEU: 1
; Occupancy: 16
; WaveLimiterHint : 0
; COMPUTE_PGM_RSRC2:SCRATCH_EN: 0
; COMPUTE_PGM_RSRC2:USER_SGPR: 6
; COMPUTE_PGM_RSRC2:TRAP_HANDLER: 0
; COMPUTE_PGM_RSRC2:TGID_X_EN: 1
; COMPUTE_PGM_RSRC2:TGID_Y_EN: 0
; COMPUTE_PGM_RSRC2:TGID_Z_EN: 0
; COMPUTE_PGM_RSRC2:TIDIG_COMP_CNT: 0
	.section	.text._ZN7rocprim17ROCPRIM_400000_NS6detail17trampoline_kernelINS0_13select_configILj256ELj13ELNS0_17block_load_methodE3ELS4_3ELS4_3ELNS0_20block_scan_algorithmE0ELj4294967295EEENS1_25partition_config_selectorILNS1_17partition_subalgoE4EjNS0_10empty_typeEbEEZZNS1_14partition_implILS8_4ELb0ES6_15HIP_vector_typeIjLj2EENS0_17counting_iteratorIjlEEPS9_SG_NS0_5tupleIJPjSI_NS0_16reverse_iteratorISI_EEEEENSH_IJSG_SG_SG_EEES9_SI_JZNS1_25segmented_radix_sort_implINS0_14default_configELb0EPKbPbPKlPlN2at6native12_GLOBAL__N_18offset_tEEE10hipError_tPvRmT1_PNSt15iterator_traitsIS12_E10value_typeET2_T3_PNS13_IS18_E10value_typeET4_jRbjT5_S1E_jjP12ihipStream_tbEUljE_ZNSN_ISO_Lb0ESQ_SR_ST_SU_SY_EESZ_S10_S11_S12_S16_S17_S18_S1B_S1C_jS1D_jS1E_S1E_jjS1G_bEUljE0_EEESZ_S10_S11_S18_S1C_S1E_T6_T7_T9_mT8_S1G_bDpT10_ENKUlT_T0_E_clISt17integral_constantIbLb1EES1U_EEDaS1P_S1Q_EUlS1P_E_NS1_11comp_targetILNS1_3genE10ELNS1_11target_archE1200ELNS1_3gpuE4ELNS1_3repE0EEENS1_30default_config_static_selectorELNS0_4arch9wavefront6targetE0EEEvS12_,"axG",@progbits,_ZN7rocprim17ROCPRIM_400000_NS6detail17trampoline_kernelINS0_13select_configILj256ELj13ELNS0_17block_load_methodE3ELS4_3ELS4_3ELNS0_20block_scan_algorithmE0ELj4294967295EEENS1_25partition_config_selectorILNS1_17partition_subalgoE4EjNS0_10empty_typeEbEEZZNS1_14partition_implILS8_4ELb0ES6_15HIP_vector_typeIjLj2EENS0_17counting_iteratorIjlEEPS9_SG_NS0_5tupleIJPjSI_NS0_16reverse_iteratorISI_EEEEENSH_IJSG_SG_SG_EEES9_SI_JZNS1_25segmented_radix_sort_implINS0_14default_configELb0EPKbPbPKlPlN2at6native12_GLOBAL__N_18offset_tEEE10hipError_tPvRmT1_PNSt15iterator_traitsIS12_E10value_typeET2_T3_PNS13_IS18_E10value_typeET4_jRbjT5_S1E_jjP12ihipStream_tbEUljE_ZNSN_ISO_Lb0ESQ_SR_ST_SU_SY_EESZ_S10_S11_S12_S16_S17_S18_S1B_S1C_jS1D_jS1E_S1E_jjS1G_bEUljE0_EEESZ_S10_S11_S18_S1C_S1E_T6_T7_T9_mT8_S1G_bDpT10_ENKUlT_T0_E_clISt17integral_constantIbLb1EES1U_EEDaS1P_S1Q_EUlS1P_E_NS1_11comp_targetILNS1_3genE10ELNS1_11target_archE1200ELNS1_3gpuE4ELNS1_3repE0EEENS1_30default_config_static_selectorELNS0_4arch9wavefront6targetE0EEEvS12_,comdat
	.globl	_ZN7rocprim17ROCPRIM_400000_NS6detail17trampoline_kernelINS0_13select_configILj256ELj13ELNS0_17block_load_methodE3ELS4_3ELS4_3ELNS0_20block_scan_algorithmE0ELj4294967295EEENS1_25partition_config_selectorILNS1_17partition_subalgoE4EjNS0_10empty_typeEbEEZZNS1_14partition_implILS8_4ELb0ES6_15HIP_vector_typeIjLj2EENS0_17counting_iteratorIjlEEPS9_SG_NS0_5tupleIJPjSI_NS0_16reverse_iteratorISI_EEEEENSH_IJSG_SG_SG_EEES9_SI_JZNS1_25segmented_radix_sort_implINS0_14default_configELb0EPKbPbPKlPlN2at6native12_GLOBAL__N_18offset_tEEE10hipError_tPvRmT1_PNSt15iterator_traitsIS12_E10value_typeET2_T3_PNS13_IS18_E10value_typeET4_jRbjT5_S1E_jjP12ihipStream_tbEUljE_ZNSN_ISO_Lb0ESQ_SR_ST_SU_SY_EESZ_S10_S11_S12_S16_S17_S18_S1B_S1C_jS1D_jS1E_S1E_jjS1G_bEUljE0_EEESZ_S10_S11_S18_S1C_S1E_T6_T7_T9_mT8_S1G_bDpT10_ENKUlT_T0_E_clISt17integral_constantIbLb1EES1U_EEDaS1P_S1Q_EUlS1P_E_NS1_11comp_targetILNS1_3genE10ELNS1_11target_archE1200ELNS1_3gpuE4ELNS1_3repE0EEENS1_30default_config_static_selectorELNS0_4arch9wavefront6targetE0EEEvS12_ ; -- Begin function _ZN7rocprim17ROCPRIM_400000_NS6detail17trampoline_kernelINS0_13select_configILj256ELj13ELNS0_17block_load_methodE3ELS4_3ELS4_3ELNS0_20block_scan_algorithmE0ELj4294967295EEENS1_25partition_config_selectorILNS1_17partition_subalgoE4EjNS0_10empty_typeEbEEZZNS1_14partition_implILS8_4ELb0ES6_15HIP_vector_typeIjLj2EENS0_17counting_iteratorIjlEEPS9_SG_NS0_5tupleIJPjSI_NS0_16reverse_iteratorISI_EEEEENSH_IJSG_SG_SG_EEES9_SI_JZNS1_25segmented_radix_sort_implINS0_14default_configELb0EPKbPbPKlPlN2at6native12_GLOBAL__N_18offset_tEEE10hipError_tPvRmT1_PNSt15iterator_traitsIS12_E10value_typeET2_T3_PNS13_IS18_E10value_typeET4_jRbjT5_S1E_jjP12ihipStream_tbEUljE_ZNSN_ISO_Lb0ESQ_SR_ST_SU_SY_EESZ_S10_S11_S12_S16_S17_S18_S1B_S1C_jS1D_jS1E_S1E_jjS1G_bEUljE0_EEESZ_S10_S11_S18_S1C_S1E_T6_T7_T9_mT8_S1G_bDpT10_ENKUlT_T0_E_clISt17integral_constantIbLb1EES1U_EEDaS1P_S1Q_EUlS1P_E_NS1_11comp_targetILNS1_3genE10ELNS1_11target_archE1200ELNS1_3gpuE4ELNS1_3repE0EEENS1_30default_config_static_selectorELNS0_4arch9wavefront6targetE0EEEvS12_
	.p2align	8
	.type	_ZN7rocprim17ROCPRIM_400000_NS6detail17trampoline_kernelINS0_13select_configILj256ELj13ELNS0_17block_load_methodE3ELS4_3ELS4_3ELNS0_20block_scan_algorithmE0ELj4294967295EEENS1_25partition_config_selectorILNS1_17partition_subalgoE4EjNS0_10empty_typeEbEEZZNS1_14partition_implILS8_4ELb0ES6_15HIP_vector_typeIjLj2EENS0_17counting_iteratorIjlEEPS9_SG_NS0_5tupleIJPjSI_NS0_16reverse_iteratorISI_EEEEENSH_IJSG_SG_SG_EEES9_SI_JZNS1_25segmented_radix_sort_implINS0_14default_configELb0EPKbPbPKlPlN2at6native12_GLOBAL__N_18offset_tEEE10hipError_tPvRmT1_PNSt15iterator_traitsIS12_E10value_typeET2_T3_PNS13_IS18_E10value_typeET4_jRbjT5_S1E_jjP12ihipStream_tbEUljE_ZNSN_ISO_Lb0ESQ_SR_ST_SU_SY_EESZ_S10_S11_S12_S16_S17_S18_S1B_S1C_jS1D_jS1E_S1E_jjS1G_bEUljE0_EEESZ_S10_S11_S18_S1C_S1E_T6_T7_T9_mT8_S1G_bDpT10_ENKUlT_T0_E_clISt17integral_constantIbLb1EES1U_EEDaS1P_S1Q_EUlS1P_E_NS1_11comp_targetILNS1_3genE10ELNS1_11target_archE1200ELNS1_3gpuE4ELNS1_3repE0EEENS1_30default_config_static_selectorELNS0_4arch9wavefront6targetE0EEEvS12_,@function
_ZN7rocprim17ROCPRIM_400000_NS6detail17trampoline_kernelINS0_13select_configILj256ELj13ELNS0_17block_load_methodE3ELS4_3ELS4_3ELNS0_20block_scan_algorithmE0ELj4294967295EEENS1_25partition_config_selectorILNS1_17partition_subalgoE4EjNS0_10empty_typeEbEEZZNS1_14partition_implILS8_4ELb0ES6_15HIP_vector_typeIjLj2EENS0_17counting_iteratorIjlEEPS9_SG_NS0_5tupleIJPjSI_NS0_16reverse_iteratorISI_EEEEENSH_IJSG_SG_SG_EEES9_SI_JZNS1_25segmented_radix_sort_implINS0_14default_configELb0EPKbPbPKlPlN2at6native12_GLOBAL__N_18offset_tEEE10hipError_tPvRmT1_PNSt15iterator_traitsIS12_E10value_typeET2_T3_PNS13_IS18_E10value_typeET4_jRbjT5_S1E_jjP12ihipStream_tbEUljE_ZNSN_ISO_Lb0ESQ_SR_ST_SU_SY_EESZ_S10_S11_S12_S16_S17_S18_S1B_S1C_jS1D_jS1E_S1E_jjS1G_bEUljE0_EEESZ_S10_S11_S18_S1C_S1E_T6_T7_T9_mT8_S1G_bDpT10_ENKUlT_T0_E_clISt17integral_constantIbLb1EES1U_EEDaS1P_S1Q_EUlS1P_E_NS1_11comp_targetILNS1_3genE10ELNS1_11target_archE1200ELNS1_3gpuE4ELNS1_3repE0EEENS1_30default_config_static_selectorELNS0_4arch9wavefront6targetE0EEEvS12_: ; @_ZN7rocprim17ROCPRIM_400000_NS6detail17trampoline_kernelINS0_13select_configILj256ELj13ELNS0_17block_load_methodE3ELS4_3ELS4_3ELNS0_20block_scan_algorithmE0ELj4294967295EEENS1_25partition_config_selectorILNS1_17partition_subalgoE4EjNS0_10empty_typeEbEEZZNS1_14partition_implILS8_4ELb0ES6_15HIP_vector_typeIjLj2EENS0_17counting_iteratorIjlEEPS9_SG_NS0_5tupleIJPjSI_NS0_16reverse_iteratorISI_EEEEENSH_IJSG_SG_SG_EEES9_SI_JZNS1_25segmented_radix_sort_implINS0_14default_configELb0EPKbPbPKlPlN2at6native12_GLOBAL__N_18offset_tEEE10hipError_tPvRmT1_PNSt15iterator_traitsIS12_E10value_typeET2_T3_PNS13_IS18_E10value_typeET4_jRbjT5_S1E_jjP12ihipStream_tbEUljE_ZNSN_ISO_Lb0ESQ_SR_ST_SU_SY_EESZ_S10_S11_S12_S16_S17_S18_S1B_S1C_jS1D_jS1E_S1E_jjS1G_bEUljE0_EEESZ_S10_S11_S18_S1C_S1E_T6_T7_T9_mT8_S1G_bDpT10_ENKUlT_T0_E_clISt17integral_constantIbLb1EES1U_EEDaS1P_S1Q_EUlS1P_E_NS1_11comp_targetILNS1_3genE10ELNS1_11target_archE1200ELNS1_3gpuE4ELNS1_3repE0EEENS1_30default_config_static_selectorELNS0_4arch9wavefront6targetE0EEEvS12_
; %bb.0:
	.section	.rodata,"a",@progbits
	.p2align	6, 0x0
	.amdhsa_kernel _ZN7rocprim17ROCPRIM_400000_NS6detail17trampoline_kernelINS0_13select_configILj256ELj13ELNS0_17block_load_methodE3ELS4_3ELS4_3ELNS0_20block_scan_algorithmE0ELj4294967295EEENS1_25partition_config_selectorILNS1_17partition_subalgoE4EjNS0_10empty_typeEbEEZZNS1_14partition_implILS8_4ELb0ES6_15HIP_vector_typeIjLj2EENS0_17counting_iteratorIjlEEPS9_SG_NS0_5tupleIJPjSI_NS0_16reverse_iteratorISI_EEEEENSH_IJSG_SG_SG_EEES9_SI_JZNS1_25segmented_radix_sort_implINS0_14default_configELb0EPKbPbPKlPlN2at6native12_GLOBAL__N_18offset_tEEE10hipError_tPvRmT1_PNSt15iterator_traitsIS12_E10value_typeET2_T3_PNS13_IS18_E10value_typeET4_jRbjT5_S1E_jjP12ihipStream_tbEUljE_ZNSN_ISO_Lb0ESQ_SR_ST_SU_SY_EESZ_S10_S11_S12_S16_S17_S18_S1B_S1C_jS1D_jS1E_S1E_jjS1G_bEUljE0_EEESZ_S10_S11_S18_S1C_S1E_T6_T7_T9_mT8_S1G_bDpT10_ENKUlT_T0_E_clISt17integral_constantIbLb1EES1U_EEDaS1P_S1Q_EUlS1P_E_NS1_11comp_targetILNS1_3genE10ELNS1_11target_archE1200ELNS1_3gpuE4ELNS1_3repE0EEENS1_30default_config_static_selectorELNS0_4arch9wavefront6targetE0EEEvS12_
		.amdhsa_group_segment_fixed_size 0
		.amdhsa_private_segment_fixed_size 0
		.amdhsa_kernarg_size 184
		.amdhsa_user_sgpr_count 6
		.amdhsa_user_sgpr_private_segment_buffer 1
		.amdhsa_user_sgpr_dispatch_ptr 0
		.amdhsa_user_sgpr_queue_ptr 0
		.amdhsa_user_sgpr_kernarg_segment_ptr 1
		.amdhsa_user_sgpr_dispatch_id 0
		.amdhsa_user_sgpr_flat_scratch_init 0
		.amdhsa_user_sgpr_private_segment_size 0
		.amdhsa_wavefront_size32 1
		.amdhsa_uses_dynamic_stack 0
		.amdhsa_system_sgpr_private_segment_wavefront_offset 0
		.amdhsa_system_sgpr_workgroup_id_x 1
		.amdhsa_system_sgpr_workgroup_id_y 0
		.amdhsa_system_sgpr_workgroup_id_z 0
		.amdhsa_system_sgpr_workgroup_info 0
		.amdhsa_system_vgpr_workitem_id 0
		.amdhsa_next_free_vgpr 1
		.amdhsa_next_free_sgpr 1
		.amdhsa_reserve_vcc 0
		.amdhsa_reserve_flat_scratch 0
		.amdhsa_float_round_mode_32 0
		.amdhsa_float_round_mode_16_64 0
		.amdhsa_float_denorm_mode_32 3
		.amdhsa_float_denorm_mode_16_64 3
		.amdhsa_dx10_clamp 1
		.amdhsa_ieee_mode 1
		.amdhsa_fp16_overflow 0
		.amdhsa_workgroup_processor_mode 1
		.amdhsa_memory_ordered 1
		.amdhsa_forward_progress 1
		.amdhsa_shared_vgpr_count 0
		.amdhsa_exception_fp_ieee_invalid_op 0
		.amdhsa_exception_fp_denorm_src 0
		.amdhsa_exception_fp_ieee_div_zero 0
		.amdhsa_exception_fp_ieee_overflow 0
		.amdhsa_exception_fp_ieee_underflow 0
		.amdhsa_exception_fp_ieee_inexact 0
		.amdhsa_exception_int_div_zero 0
	.end_amdhsa_kernel
	.section	.text._ZN7rocprim17ROCPRIM_400000_NS6detail17trampoline_kernelINS0_13select_configILj256ELj13ELNS0_17block_load_methodE3ELS4_3ELS4_3ELNS0_20block_scan_algorithmE0ELj4294967295EEENS1_25partition_config_selectorILNS1_17partition_subalgoE4EjNS0_10empty_typeEbEEZZNS1_14partition_implILS8_4ELb0ES6_15HIP_vector_typeIjLj2EENS0_17counting_iteratorIjlEEPS9_SG_NS0_5tupleIJPjSI_NS0_16reverse_iteratorISI_EEEEENSH_IJSG_SG_SG_EEES9_SI_JZNS1_25segmented_radix_sort_implINS0_14default_configELb0EPKbPbPKlPlN2at6native12_GLOBAL__N_18offset_tEEE10hipError_tPvRmT1_PNSt15iterator_traitsIS12_E10value_typeET2_T3_PNS13_IS18_E10value_typeET4_jRbjT5_S1E_jjP12ihipStream_tbEUljE_ZNSN_ISO_Lb0ESQ_SR_ST_SU_SY_EESZ_S10_S11_S12_S16_S17_S18_S1B_S1C_jS1D_jS1E_S1E_jjS1G_bEUljE0_EEESZ_S10_S11_S18_S1C_S1E_T6_T7_T9_mT8_S1G_bDpT10_ENKUlT_T0_E_clISt17integral_constantIbLb1EES1U_EEDaS1P_S1Q_EUlS1P_E_NS1_11comp_targetILNS1_3genE10ELNS1_11target_archE1200ELNS1_3gpuE4ELNS1_3repE0EEENS1_30default_config_static_selectorELNS0_4arch9wavefront6targetE0EEEvS12_,"axG",@progbits,_ZN7rocprim17ROCPRIM_400000_NS6detail17trampoline_kernelINS0_13select_configILj256ELj13ELNS0_17block_load_methodE3ELS4_3ELS4_3ELNS0_20block_scan_algorithmE0ELj4294967295EEENS1_25partition_config_selectorILNS1_17partition_subalgoE4EjNS0_10empty_typeEbEEZZNS1_14partition_implILS8_4ELb0ES6_15HIP_vector_typeIjLj2EENS0_17counting_iteratorIjlEEPS9_SG_NS0_5tupleIJPjSI_NS0_16reverse_iteratorISI_EEEEENSH_IJSG_SG_SG_EEES9_SI_JZNS1_25segmented_radix_sort_implINS0_14default_configELb0EPKbPbPKlPlN2at6native12_GLOBAL__N_18offset_tEEE10hipError_tPvRmT1_PNSt15iterator_traitsIS12_E10value_typeET2_T3_PNS13_IS18_E10value_typeET4_jRbjT5_S1E_jjP12ihipStream_tbEUljE_ZNSN_ISO_Lb0ESQ_SR_ST_SU_SY_EESZ_S10_S11_S12_S16_S17_S18_S1B_S1C_jS1D_jS1E_S1E_jjS1G_bEUljE0_EEESZ_S10_S11_S18_S1C_S1E_T6_T7_T9_mT8_S1G_bDpT10_ENKUlT_T0_E_clISt17integral_constantIbLb1EES1U_EEDaS1P_S1Q_EUlS1P_E_NS1_11comp_targetILNS1_3genE10ELNS1_11target_archE1200ELNS1_3gpuE4ELNS1_3repE0EEENS1_30default_config_static_selectorELNS0_4arch9wavefront6targetE0EEEvS12_,comdat
.Lfunc_end1575:
	.size	_ZN7rocprim17ROCPRIM_400000_NS6detail17trampoline_kernelINS0_13select_configILj256ELj13ELNS0_17block_load_methodE3ELS4_3ELS4_3ELNS0_20block_scan_algorithmE0ELj4294967295EEENS1_25partition_config_selectorILNS1_17partition_subalgoE4EjNS0_10empty_typeEbEEZZNS1_14partition_implILS8_4ELb0ES6_15HIP_vector_typeIjLj2EENS0_17counting_iteratorIjlEEPS9_SG_NS0_5tupleIJPjSI_NS0_16reverse_iteratorISI_EEEEENSH_IJSG_SG_SG_EEES9_SI_JZNS1_25segmented_radix_sort_implINS0_14default_configELb0EPKbPbPKlPlN2at6native12_GLOBAL__N_18offset_tEEE10hipError_tPvRmT1_PNSt15iterator_traitsIS12_E10value_typeET2_T3_PNS13_IS18_E10value_typeET4_jRbjT5_S1E_jjP12ihipStream_tbEUljE_ZNSN_ISO_Lb0ESQ_SR_ST_SU_SY_EESZ_S10_S11_S12_S16_S17_S18_S1B_S1C_jS1D_jS1E_S1E_jjS1G_bEUljE0_EEESZ_S10_S11_S18_S1C_S1E_T6_T7_T9_mT8_S1G_bDpT10_ENKUlT_T0_E_clISt17integral_constantIbLb1EES1U_EEDaS1P_S1Q_EUlS1P_E_NS1_11comp_targetILNS1_3genE10ELNS1_11target_archE1200ELNS1_3gpuE4ELNS1_3repE0EEENS1_30default_config_static_selectorELNS0_4arch9wavefront6targetE0EEEvS12_, .Lfunc_end1575-_ZN7rocprim17ROCPRIM_400000_NS6detail17trampoline_kernelINS0_13select_configILj256ELj13ELNS0_17block_load_methodE3ELS4_3ELS4_3ELNS0_20block_scan_algorithmE0ELj4294967295EEENS1_25partition_config_selectorILNS1_17partition_subalgoE4EjNS0_10empty_typeEbEEZZNS1_14partition_implILS8_4ELb0ES6_15HIP_vector_typeIjLj2EENS0_17counting_iteratorIjlEEPS9_SG_NS0_5tupleIJPjSI_NS0_16reverse_iteratorISI_EEEEENSH_IJSG_SG_SG_EEES9_SI_JZNS1_25segmented_radix_sort_implINS0_14default_configELb0EPKbPbPKlPlN2at6native12_GLOBAL__N_18offset_tEEE10hipError_tPvRmT1_PNSt15iterator_traitsIS12_E10value_typeET2_T3_PNS13_IS18_E10value_typeET4_jRbjT5_S1E_jjP12ihipStream_tbEUljE_ZNSN_ISO_Lb0ESQ_SR_ST_SU_SY_EESZ_S10_S11_S12_S16_S17_S18_S1B_S1C_jS1D_jS1E_S1E_jjS1G_bEUljE0_EEESZ_S10_S11_S18_S1C_S1E_T6_T7_T9_mT8_S1G_bDpT10_ENKUlT_T0_E_clISt17integral_constantIbLb1EES1U_EEDaS1P_S1Q_EUlS1P_E_NS1_11comp_targetILNS1_3genE10ELNS1_11target_archE1200ELNS1_3gpuE4ELNS1_3repE0EEENS1_30default_config_static_selectorELNS0_4arch9wavefront6targetE0EEEvS12_
                                        ; -- End function
	.set _ZN7rocprim17ROCPRIM_400000_NS6detail17trampoline_kernelINS0_13select_configILj256ELj13ELNS0_17block_load_methodE3ELS4_3ELS4_3ELNS0_20block_scan_algorithmE0ELj4294967295EEENS1_25partition_config_selectorILNS1_17partition_subalgoE4EjNS0_10empty_typeEbEEZZNS1_14partition_implILS8_4ELb0ES6_15HIP_vector_typeIjLj2EENS0_17counting_iteratorIjlEEPS9_SG_NS0_5tupleIJPjSI_NS0_16reverse_iteratorISI_EEEEENSH_IJSG_SG_SG_EEES9_SI_JZNS1_25segmented_radix_sort_implINS0_14default_configELb0EPKbPbPKlPlN2at6native12_GLOBAL__N_18offset_tEEE10hipError_tPvRmT1_PNSt15iterator_traitsIS12_E10value_typeET2_T3_PNS13_IS18_E10value_typeET4_jRbjT5_S1E_jjP12ihipStream_tbEUljE_ZNSN_ISO_Lb0ESQ_SR_ST_SU_SY_EESZ_S10_S11_S12_S16_S17_S18_S1B_S1C_jS1D_jS1E_S1E_jjS1G_bEUljE0_EEESZ_S10_S11_S18_S1C_S1E_T6_T7_T9_mT8_S1G_bDpT10_ENKUlT_T0_E_clISt17integral_constantIbLb1EES1U_EEDaS1P_S1Q_EUlS1P_E_NS1_11comp_targetILNS1_3genE10ELNS1_11target_archE1200ELNS1_3gpuE4ELNS1_3repE0EEENS1_30default_config_static_selectorELNS0_4arch9wavefront6targetE0EEEvS12_.num_vgpr, 0
	.set _ZN7rocprim17ROCPRIM_400000_NS6detail17trampoline_kernelINS0_13select_configILj256ELj13ELNS0_17block_load_methodE3ELS4_3ELS4_3ELNS0_20block_scan_algorithmE0ELj4294967295EEENS1_25partition_config_selectorILNS1_17partition_subalgoE4EjNS0_10empty_typeEbEEZZNS1_14partition_implILS8_4ELb0ES6_15HIP_vector_typeIjLj2EENS0_17counting_iteratorIjlEEPS9_SG_NS0_5tupleIJPjSI_NS0_16reverse_iteratorISI_EEEEENSH_IJSG_SG_SG_EEES9_SI_JZNS1_25segmented_radix_sort_implINS0_14default_configELb0EPKbPbPKlPlN2at6native12_GLOBAL__N_18offset_tEEE10hipError_tPvRmT1_PNSt15iterator_traitsIS12_E10value_typeET2_T3_PNS13_IS18_E10value_typeET4_jRbjT5_S1E_jjP12ihipStream_tbEUljE_ZNSN_ISO_Lb0ESQ_SR_ST_SU_SY_EESZ_S10_S11_S12_S16_S17_S18_S1B_S1C_jS1D_jS1E_S1E_jjS1G_bEUljE0_EEESZ_S10_S11_S18_S1C_S1E_T6_T7_T9_mT8_S1G_bDpT10_ENKUlT_T0_E_clISt17integral_constantIbLb1EES1U_EEDaS1P_S1Q_EUlS1P_E_NS1_11comp_targetILNS1_3genE10ELNS1_11target_archE1200ELNS1_3gpuE4ELNS1_3repE0EEENS1_30default_config_static_selectorELNS0_4arch9wavefront6targetE0EEEvS12_.num_agpr, 0
	.set _ZN7rocprim17ROCPRIM_400000_NS6detail17trampoline_kernelINS0_13select_configILj256ELj13ELNS0_17block_load_methodE3ELS4_3ELS4_3ELNS0_20block_scan_algorithmE0ELj4294967295EEENS1_25partition_config_selectorILNS1_17partition_subalgoE4EjNS0_10empty_typeEbEEZZNS1_14partition_implILS8_4ELb0ES6_15HIP_vector_typeIjLj2EENS0_17counting_iteratorIjlEEPS9_SG_NS0_5tupleIJPjSI_NS0_16reverse_iteratorISI_EEEEENSH_IJSG_SG_SG_EEES9_SI_JZNS1_25segmented_radix_sort_implINS0_14default_configELb0EPKbPbPKlPlN2at6native12_GLOBAL__N_18offset_tEEE10hipError_tPvRmT1_PNSt15iterator_traitsIS12_E10value_typeET2_T3_PNS13_IS18_E10value_typeET4_jRbjT5_S1E_jjP12ihipStream_tbEUljE_ZNSN_ISO_Lb0ESQ_SR_ST_SU_SY_EESZ_S10_S11_S12_S16_S17_S18_S1B_S1C_jS1D_jS1E_S1E_jjS1G_bEUljE0_EEESZ_S10_S11_S18_S1C_S1E_T6_T7_T9_mT8_S1G_bDpT10_ENKUlT_T0_E_clISt17integral_constantIbLb1EES1U_EEDaS1P_S1Q_EUlS1P_E_NS1_11comp_targetILNS1_3genE10ELNS1_11target_archE1200ELNS1_3gpuE4ELNS1_3repE0EEENS1_30default_config_static_selectorELNS0_4arch9wavefront6targetE0EEEvS12_.numbered_sgpr, 0
	.set _ZN7rocprim17ROCPRIM_400000_NS6detail17trampoline_kernelINS0_13select_configILj256ELj13ELNS0_17block_load_methodE3ELS4_3ELS4_3ELNS0_20block_scan_algorithmE0ELj4294967295EEENS1_25partition_config_selectorILNS1_17partition_subalgoE4EjNS0_10empty_typeEbEEZZNS1_14partition_implILS8_4ELb0ES6_15HIP_vector_typeIjLj2EENS0_17counting_iteratorIjlEEPS9_SG_NS0_5tupleIJPjSI_NS0_16reverse_iteratorISI_EEEEENSH_IJSG_SG_SG_EEES9_SI_JZNS1_25segmented_radix_sort_implINS0_14default_configELb0EPKbPbPKlPlN2at6native12_GLOBAL__N_18offset_tEEE10hipError_tPvRmT1_PNSt15iterator_traitsIS12_E10value_typeET2_T3_PNS13_IS18_E10value_typeET4_jRbjT5_S1E_jjP12ihipStream_tbEUljE_ZNSN_ISO_Lb0ESQ_SR_ST_SU_SY_EESZ_S10_S11_S12_S16_S17_S18_S1B_S1C_jS1D_jS1E_S1E_jjS1G_bEUljE0_EEESZ_S10_S11_S18_S1C_S1E_T6_T7_T9_mT8_S1G_bDpT10_ENKUlT_T0_E_clISt17integral_constantIbLb1EES1U_EEDaS1P_S1Q_EUlS1P_E_NS1_11comp_targetILNS1_3genE10ELNS1_11target_archE1200ELNS1_3gpuE4ELNS1_3repE0EEENS1_30default_config_static_selectorELNS0_4arch9wavefront6targetE0EEEvS12_.num_named_barrier, 0
	.set _ZN7rocprim17ROCPRIM_400000_NS6detail17trampoline_kernelINS0_13select_configILj256ELj13ELNS0_17block_load_methodE3ELS4_3ELS4_3ELNS0_20block_scan_algorithmE0ELj4294967295EEENS1_25partition_config_selectorILNS1_17partition_subalgoE4EjNS0_10empty_typeEbEEZZNS1_14partition_implILS8_4ELb0ES6_15HIP_vector_typeIjLj2EENS0_17counting_iteratorIjlEEPS9_SG_NS0_5tupleIJPjSI_NS0_16reverse_iteratorISI_EEEEENSH_IJSG_SG_SG_EEES9_SI_JZNS1_25segmented_radix_sort_implINS0_14default_configELb0EPKbPbPKlPlN2at6native12_GLOBAL__N_18offset_tEEE10hipError_tPvRmT1_PNSt15iterator_traitsIS12_E10value_typeET2_T3_PNS13_IS18_E10value_typeET4_jRbjT5_S1E_jjP12ihipStream_tbEUljE_ZNSN_ISO_Lb0ESQ_SR_ST_SU_SY_EESZ_S10_S11_S12_S16_S17_S18_S1B_S1C_jS1D_jS1E_S1E_jjS1G_bEUljE0_EEESZ_S10_S11_S18_S1C_S1E_T6_T7_T9_mT8_S1G_bDpT10_ENKUlT_T0_E_clISt17integral_constantIbLb1EES1U_EEDaS1P_S1Q_EUlS1P_E_NS1_11comp_targetILNS1_3genE10ELNS1_11target_archE1200ELNS1_3gpuE4ELNS1_3repE0EEENS1_30default_config_static_selectorELNS0_4arch9wavefront6targetE0EEEvS12_.private_seg_size, 0
	.set _ZN7rocprim17ROCPRIM_400000_NS6detail17trampoline_kernelINS0_13select_configILj256ELj13ELNS0_17block_load_methodE3ELS4_3ELS4_3ELNS0_20block_scan_algorithmE0ELj4294967295EEENS1_25partition_config_selectorILNS1_17partition_subalgoE4EjNS0_10empty_typeEbEEZZNS1_14partition_implILS8_4ELb0ES6_15HIP_vector_typeIjLj2EENS0_17counting_iteratorIjlEEPS9_SG_NS0_5tupleIJPjSI_NS0_16reverse_iteratorISI_EEEEENSH_IJSG_SG_SG_EEES9_SI_JZNS1_25segmented_radix_sort_implINS0_14default_configELb0EPKbPbPKlPlN2at6native12_GLOBAL__N_18offset_tEEE10hipError_tPvRmT1_PNSt15iterator_traitsIS12_E10value_typeET2_T3_PNS13_IS18_E10value_typeET4_jRbjT5_S1E_jjP12ihipStream_tbEUljE_ZNSN_ISO_Lb0ESQ_SR_ST_SU_SY_EESZ_S10_S11_S12_S16_S17_S18_S1B_S1C_jS1D_jS1E_S1E_jjS1G_bEUljE0_EEESZ_S10_S11_S18_S1C_S1E_T6_T7_T9_mT8_S1G_bDpT10_ENKUlT_T0_E_clISt17integral_constantIbLb1EES1U_EEDaS1P_S1Q_EUlS1P_E_NS1_11comp_targetILNS1_3genE10ELNS1_11target_archE1200ELNS1_3gpuE4ELNS1_3repE0EEENS1_30default_config_static_selectorELNS0_4arch9wavefront6targetE0EEEvS12_.uses_vcc, 0
	.set _ZN7rocprim17ROCPRIM_400000_NS6detail17trampoline_kernelINS0_13select_configILj256ELj13ELNS0_17block_load_methodE3ELS4_3ELS4_3ELNS0_20block_scan_algorithmE0ELj4294967295EEENS1_25partition_config_selectorILNS1_17partition_subalgoE4EjNS0_10empty_typeEbEEZZNS1_14partition_implILS8_4ELb0ES6_15HIP_vector_typeIjLj2EENS0_17counting_iteratorIjlEEPS9_SG_NS0_5tupleIJPjSI_NS0_16reverse_iteratorISI_EEEEENSH_IJSG_SG_SG_EEES9_SI_JZNS1_25segmented_radix_sort_implINS0_14default_configELb0EPKbPbPKlPlN2at6native12_GLOBAL__N_18offset_tEEE10hipError_tPvRmT1_PNSt15iterator_traitsIS12_E10value_typeET2_T3_PNS13_IS18_E10value_typeET4_jRbjT5_S1E_jjP12ihipStream_tbEUljE_ZNSN_ISO_Lb0ESQ_SR_ST_SU_SY_EESZ_S10_S11_S12_S16_S17_S18_S1B_S1C_jS1D_jS1E_S1E_jjS1G_bEUljE0_EEESZ_S10_S11_S18_S1C_S1E_T6_T7_T9_mT8_S1G_bDpT10_ENKUlT_T0_E_clISt17integral_constantIbLb1EES1U_EEDaS1P_S1Q_EUlS1P_E_NS1_11comp_targetILNS1_3genE10ELNS1_11target_archE1200ELNS1_3gpuE4ELNS1_3repE0EEENS1_30default_config_static_selectorELNS0_4arch9wavefront6targetE0EEEvS12_.uses_flat_scratch, 0
	.set _ZN7rocprim17ROCPRIM_400000_NS6detail17trampoline_kernelINS0_13select_configILj256ELj13ELNS0_17block_load_methodE3ELS4_3ELS4_3ELNS0_20block_scan_algorithmE0ELj4294967295EEENS1_25partition_config_selectorILNS1_17partition_subalgoE4EjNS0_10empty_typeEbEEZZNS1_14partition_implILS8_4ELb0ES6_15HIP_vector_typeIjLj2EENS0_17counting_iteratorIjlEEPS9_SG_NS0_5tupleIJPjSI_NS0_16reverse_iteratorISI_EEEEENSH_IJSG_SG_SG_EEES9_SI_JZNS1_25segmented_radix_sort_implINS0_14default_configELb0EPKbPbPKlPlN2at6native12_GLOBAL__N_18offset_tEEE10hipError_tPvRmT1_PNSt15iterator_traitsIS12_E10value_typeET2_T3_PNS13_IS18_E10value_typeET4_jRbjT5_S1E_jjP12ihipStream_tbEUljE_ZNSN_ISO_Lb0ESQ_SR_ST_SU_SY_EESZ_S10_S11_S12_S16_S17_S18_S1B_S1C_jS1D_jS1E_S1E_jjS1G_bEUljE0_EEESZ_S10_S11_S18_S1C_S1E_T6_T7_T9_mT8_S1G_bDpT10_ENKUlT_T0_E_clISt17integral_constantIbLb1EES1U_EEDaS1P_S1Q_EUlS1P_E_NS1_11comp_targetILNS1_3genE10ELNS1_11target_archE1200ELNS1_3gpuE4ELNS1_3repE0EEENS1_30default_config_static_selectorELNS0_4arch9wavefront6targetE0EEEvS12_.has_dyn_sized_stack, 0
	.set _ZN7rocprim17ROCPRIM_400000_NS6detail17trampoline_kernelINS0_13select_configILj256ELj13ELNS0_17block_load_methodE3ELS4_3ELS4_3ELNS0_20block_scan_algorithmE0ELj4294967295EEENS1_25partition_config_selectorILNS1_17partition_subalgoE4EjNS0_10empty_typeEbEEZZNS1_14partition_implILS8_4ELb0ES6_15HIP_vector_typeIjLj2EENS0_17counting_iteratorIjlEEPS9_SG_NS0_5tupleIJPjSI_NS0_16reverse_iteratorISI_EEEEENSH_IJSG_SG_SG_EEES9_SI_JZNS1_25segmented_radix_sort_implINS0_14default_configELb0EPKbPbPKlPlN2at6native12_GLOBAL__N_18offset_tEEE10hipError_tPvRmT1_PNSt15iterator_traitsIS12_E10value_typeET2_T3_PNS13_IS18_E10value_typeET4_jRbjT5_S1E_jjP12ihipStream_tbEUljE_ZNSN_ISO_Lb0ESQ_SR_ST_SU_SY_EESZ_S10_S11_S12_S16_S17_S18_S1B_S1C_jS1D_jS1E_S1E_jjS1G_bEUljE0_EEESZ_S10_S11_S18_S1C_S1E_T6_T7_T9_mT8_S1G_bDpT10_ENKUlT_T0_E_clISt17integral_constantIbLb1EES1U_EEDaS1P_S1Q_EUlS1P_E_NS1_11comp_targetILNS1_3genE10ELNS1_11target_archE1200ELNS1_3gpuE4ELNS1_3repE0EEENS1_30default_config_static_selectorELNS0_4arch9wavefront6targetE0EEEvS12_.has_recursion, 0
	.set _ZN7rocprim17ROCPRIM_400000_NS6detail17trampoline_kernelINS0_13select_configILj256ELj13ELNS0_17block_load_methodE3ELS4_3ELS4_3ELNS0_20block_scan_algorithmE0ELj4294967295EEENS1_25partition_config_selectorILNS1_17partition_subalgoE4EjNS0_10empty_typeEbEEZZNS1_14partition_implILS8_4ELb0ES6_15HIP_vector_typeIjLj2EENS0_17counting_iteratorIjlEEPS9_SG_NS0_5tupleIJPjSI_NS0_16reverse_iteratorISI_EEEEENSH_IJSG_SG_SG_EEES9_SI_JZNS1_25segmented_radix_sort_implINS0_14default_configELb0EPKbPbPKlPlN2at6native12_GLOBAL__N_18offset_tEEE10hipError_tPvRmT1_PNSt15iterator_traitsIS12_E10value_typeET2_T3_PNS13_IS18_E10value_typeET4_jRbjT5_S1E_jjP12ihipStream_tbEUljE_ZNSN_ISO_Lb0ESQ_SR_ST_SU_SY_EESZ_S10_S11_S12_S16_S17_S18_S1B_S1C_jS1D_jS1E_S1E_jjS1G_bEUljE0_EEESZ_S10_S11_S18_S1C_S1E_T6_T7_T9_mT8_S1G_bDpT10_ENKUlT_T0_E_clISt17integral_constantIbLb1EES1U_EEDaS1P_S1Q_EUlS1P_E_NS1_11comp_targetILNS1_3genE10ELNS1_11target_archE1200ELNS1_3gpuE4ELNS1_3repE0EEENS1_30default_config_static_selectorELNS0_4arch9wavefront6targetE0EEEvS12_.has_indirect_call, 0
	.section	.AMDGPU.csdata,"",@progbits
; Kernel info:
; codeLenInByte = 0
; TotalNumSgprs: 0
; NumVgprs: 0
; ScratchSize: 0
; MemoryBound: 0
; FloatMode: 240
; IeeeMode: 1
; LDSByteSize: 0 bytes/workgroup (compile time only)
; SGPRBlocks: 0
; VGPRBlocks: 0
; NumSGPRsForWavesPerEU: 1
; NumVGPRsForWavesPerEU: 1
; Occupancy: 16
; WaveLimiterHint : 0
; COMPUTE_PGM_RSRC2:SCRATCH_EN: 0
; COMPUTE_PGM_RSRC2:USER_SGPR: 6
; COMPUTE_PGM_RSRC2:TRAP_HANDLER: 0
; COMPUTE_PGM_RSRC2:TGID_X_EN: 1
; COMPUTE_PGM_RSRC2:TGID_Y_EN: 0
; COMPUTE_PGM_RSRC2:TGID_Z_EN: 0
; COMPUTE_PGM_RSRC2:TIDIG_COMP_CNT: 0
	.section	.text._ZN7rocprim17ROCPRIM_400000_NS6detail17trampoline_kernelINS0_13select_configILj256ELj13ELNS0_17block_load_methodE3ELS4_3ELS4_3ELNS0_20block_scan_algorithmE0ELj4294967295EEENS1_25partition_config_selectorILNS1_17partition_subalgoE4EjNS0_10empty_typeEbEEZZNS1_14partition_implILS8_4ELb0ES6_15HIP_vector_typeIjLj2EENS0_17counting_iteratorIjlEEPS9_SG_NS0_5tupleIJPjSI_NS0_16reverse_iteratorISI_EEEEENSH_IJSG_SG_SG_EEES9_SI_JZNS1_25segmented_radix_sort_implINS0_14default_configELb0EPKbPbPKlPlN2at6native12_GLOBAL__N_18offset_tEEE10hipError_tPvRmT1_PNSt15iterator_traitsIS12_E10value_typeET2_T3_PNS13_IS18_E10value_typeET4_jRbjT5_S1E_jjP12ihipStream_tbEUljE_ZNSN_ISO_Lb0ESQ_SR_ST_SU_SY_EESZ_S10_S11_S12_S16_S17_S18_S1B_S1C_jS1D_jS1E_S1E_jjS1G_bEUljE0_EEESZ_S10_S11_S18_S1C_S1E_T6_T7_T9_mT8_S1G_bDpT10_ENKUlT_T0_E_clISt17integral_constantIbLb1EES1U_EEDaS1P_S1Q_EUlS1P_E_NS1_11comp_targetILNS1_3genE9ELNS1_11target_archE1100ELNS1_3gpuE3ELNS1_3repE0EEENS1_30default_config_static_selectorELNS0_4arch9wavefront6targetE0EEEvS12_,"axG",@progbits,_ZN7rocprim17ROCPRIM_400000_NS6detail17trampoline_kernelINS0_13select_configILj256ELj13ELNS0_17block_load_methodE3ELS4_3ELS4_3ELNS0_20block_scan_algorithmE0ELj4294967295EEENS1_25partition_config_selectorILNS1_17partition_subalgoE4EjNS0_10empty_typeEbEEZZNS1_14partition_implILS8_4ELb0ES6_15HIP_vector_typeIjLj2EENS0_17counting_iteratorIjlEEPS9_SG_NS0_5tupleIJPjSI_NS0_16reverse_iteratorISI_EEEEENSH_IJSG_SG_SG_EEES9_SI_JZNS1_25segmented_radix_sort_implINS0_14default_configELb0EPKbPbPKlPlN2at6native12_GLOBAL__N_18offset_tEEE10hipError_tPvRmT1_PNSt15iterator_traitsIS12_E10value_typeET2_T3_PNS13_IS18_E10value_typeET4_jRbjT5_S1E_jjP12ihipStream_tbEUljE_ZNSN_ISO_Lb0ESQ_SR_ST_SU_SY_EESZ_S10_S11_S12_S16_S17_S18_S1B_S1C_jS1D_jS1E_S1E_jjS1G_bEUljE0_EEESZ_S10_S11_S18_S1C_S1E_T6_T7_T9_mT8_S1G_bDpT10_ENKUlT_T0_E_clISt17integral_constantIbLb1EES1U_EEDaS1P_S1Q_EUlS1P_E_NS1_11comp_targetILNS1_3genE9ELNS1_11target_archE1100ELNS1_3gpuE3ELNS1_3repE0EEENS1_30default_config_static_selectorELNS0_4arch9wavefront6targetE0EEEvS12_,comdat
	.globl	_ZN7rocprim17ROCPRIM_400000_NS6detail17trampoline_kernelINS0_13select_configILj256ELj13ELNS0_17block_load_methodE3ELS4_3ELS4_3ELNS0_20block_scan_algorithmE0ELj4294967295EEENS1_25partition_config_selectorILNS1_17partition_subalgoE4EjNS0_10empty_typeEbEEZZNS1_14partition_implILS8_4ELb0ES6_15HIP_vector_typeIjLj2EENS0_17counting_iteratorIjlEEPS9_SG_NS0_5tupleIJPjSI_NS0_16reverse_iteratorISI_EEEEENSH_IJSG_SG_SG_EEES9_SI_JZNS1_25segmented_radix_sort_implINS0_14default_configELb0EPKbPbPKlPlN2at6native12_GLOBAL__N_18offset_tEEE10hipError_tPvRmT1_PNSt15iterator_traitsIS12_E10value_typeET2_T3_PNS13_IS18_E10value_typeET4_jRbjT5_S1E_jjP12ihipStream_tbEUljE_ZNSN_ISO_Lb0ESQ_SR_ST_SU_SY_EESZ_S10_S11_S12_S16_S17_S18_S1B_S1C_jS1D_jS1E_S1E_jjS1G_bEUljE0_EEESZ_S10_S11_S18_S1C_S1E_T6_T7_T9_mT8_S1G_bDpT10_ENKUlT_T0_E_clISt17integral_constantIbLb1EES1U_EEDaS1P_S1Q_EUlS1P_E_NS1_11comp_targetILNS1_3genE9ELNS1_11target_archE1100ELNS1_3gpuE3ELNS1_3repE0EEENS1_30default_config_static_selectorELNS0_4arch9wavefront6targetE0EEEvS12_ ; -- Begin function _ZN7rocprim17ROCPRIM_400000_NS6detail17trampoline_kernelINS0_13select_configILj256ELj13ELNS0_17block_load_methodE3ELS4_3ELS4_3ELNS0_20block_scan_algorithmE0ELj4294967295EEENS1_25partition_config_selectorILNS1_17partition_subalgoE4EjNS0_10empty_typeEbEEZZNS1_14partition_implILS8_4ELb0ES6_15HIP_vector_typeIjLj2EENS0_17counting_iteratorIjlEEPS9_SG_NS0_5tupleIJPjSI_NS0_16reverse_iteratorISI_EEEEENSH_IJSG_SG_SG_EEES9_SI_JZNS1_25segmented_radix_sort_implINS0_14default_configELb0EPKbPbPKlPlN2at6native12_GLOBAL__N_18offset_tEEE10hipError_tPvRmT1_PNSt15iterator_traitsIS12_E10value_typeET2_T3_PNS13_IS18_E10value_typeET4_jRbjT5_S1E_jjP12ihipStream_tbEUljE_ZNSN_ISO_Lb0ESQ_SR_ST_SU_SY_EESZ_S10_S11_S12_S16_S17_S18_S1B_S1C_jS1D_jS1E_S1E_jjS1G_bEUljE0_EEESZ_S10_S11_S18_S1C_S1E_T6_T7_T9_mT8_S1G_bDpT10_ENKUlT_T0_E_clISt17integral_constantIbLb1EES1U_EEDaS1P_S1Q_EUlS1P_E_NS1_11comp_targetILNS1_3genE9ELNS1_11target_archE1100ELNS1_3gpuE3ELNS1_3repE0EEENS1_30default_config_static_selectorELNS0_4arch9wavefront6targetE0EEEvS12_
	.p2align	8
	.type	_ZN7rocprim17ROCPRIM_400000_NS6detail17trampoline_kernelINS0_13select_configILj256ELj13ELNS0_17block_load_methodE3ELS4_3ELS4_3ELNS0_20block_scan_algorithmE0ELj4294967295EEENS1_25partition_config_selectorILNS1_17partition_subalgoE4EjNS0_10empty_typeEbEEZZNS1_14partition_implILS8_4ELb0ES6_15HIP_vector_typeIjLj2EENS0_17counting_iteratorIjlEEPS9_SG_NS0_5tupleIJPjSI_NS0_16reverse_iteratorISI_EEEEENSH_IJSG_SG_SG_EEES9_SI_JZNS1_25segmented_radix_sort_implINS0_14default_configELb0EPKbPbPKlPlN2at6native12_GLOBAL__N_18offset_tEEE10hipError_tPvRmT1_PNSt15iterator_traitsIS12_E10value_typeET2_T3_PNS13_IS18_E10value_typeET4_jRbjT5_S1E_jjP12ihipStream_tbEUljE_ZNSN_ISO_Lb0ESQ_SR_ST_SU_SY_EESZ_S10_S11_S12_S16_S17_S18_S1B_S1C_jS1D_jS1E_S1E_jjS1G_bEUljE0_EEESZ_S10_S11_S18_S1C_S1E_T6_T7_T9_mT8_S1G_bDpT10_ENKUlT_T0_E_clISt17integral_constantIbLb1EES1U_EEDaS1P_S1Q_EUlS1P_E_NS1_11comp_targetILNS1_3genE9ELNS1_11target_archE1100ELNS1_3gpuE3ELNS1_3repE0EEENS1_30default_config_static_selectorELNS0_4arch9wavefront6targetE0EEEvS12_,@function
_ZN7rocprim17ROCPRIM_400000_NS6detail17trampoline_kernelINS0_13select_configILj256ELj13ELNS0_17block_load_methodE3ELS4_3ELS4_3ELNS0_20block_scan_algorithmE0ELj4294967295EEENS1_25partition_config_selectorILNS1_17partition_subalgoE4EjNS0_10empty_typeEbEEZZNS1_14partition_implILS8_4ELb0ES6_15HIP_vector_typeIjLj2EENS0_17counting_iteratorIjlEEPS9_SG_NS0_5tupleIJPjSI_NS0_16reverse_iteratorISI_EEEEENSH_IJSG_SG_SG_EEES9_SI_JZNS1_25segmented_radix_sort_implINS0_14default_configELb0EPKbPbPKlPlN2at6native12_GLOBAL__N_18offset_tEEE10hipError_tPvRmT1_PNSt15iterator_traitsIS12_E10value_typeET2_T3_PNS13_IS18_E10value_typeET4_jRbjT5_S1E_jjP12ihipStream_tbEUljE_ZNSN_ISO_Lb0ESQ_SR_ST_SU_SY_EESZ_S10_S11_S12_S16_S17_S18_S1B_S1C_jS1D_jS1E_S1E_jjS1G_bEUljE0_EEESZ_S10_S11_S18_S1C_S1E_T6_T7_T9_mT8_S1G_bDpT10_ENKUlT_T0_E_clISt17integral_constantIbLb1EES1U_EEDaS1P_S1Q_EUlS1P_E_NS1_11comp_targetILNS1_3genE9ELNS1_11target_archE1100ELNS1_3gpuE3ELNS1_3repE0EEENS1_30default_config_static_selectorELNS0_4arch9wavefront6targetE0EEEvS12_: ; @_ZN7rocprim17ROCPRIM_400000_NS6detail17trampoline_kernelINS0_13select_configILj256ELj13ELNS0_17block_load_methodE3ELS4_3ELS4_3ELNS0_20block_scan_algorithmE0ELj4294967295EEENS1_25partition_config_selectorILNS1_17partition_subalgoE4EjNS0_10empty_typeEbEEZZNS1_14partition_implILS8_4ELb0ES6_15HIP_vector_typeIjLj2EENS0_17counting_iteratorIjlEEPS9_SG_NS0_5tupleIJPjSI_NS0_16reverse_iteratorISI_EEEEENSH_IJSG_SG_SG_EEES9_SI_JZNS1_25segmented_radix_sort_implINS0_14default_configELb0EPKbPbPKlPlN2at6native12_GLOBAL__N_18offset_tEEE10hipError_tPvRmT1_PNSt15iterator_traitsIS12_E10value_typeET2_T3_PNS13_IS18_E10value_typeET4_jRbjT5_S1E_jjP12ihipStream_tbEUljE_ZNSN_ISO_Lb0ESQ_SR_ST_SU_SY_EESZ_S10_S11_S12_S16_S17_S18_S1B_S1C_jS1D_jS1E_S1E_jjS1G_bEUljE0_EEESZ_S10_S11_S18_S1C_S1E_T6_T7_T9_mT8_S1G_bDpT10_ENKUlT_T0_E_clISt17integral_constantIbLb1EES1U_EEDaS1P_S1Q_EUlS1P_E_NS1_11comp_targetILNS1_3genE9ELNS1_11target_archE1100ELNS1_3gpuE3ELNS1_3repE0EEENS1_30default_config_static_selectorELNS0_4arch9wavefront6targetE0EEEvS12_
; %bb.0:
	.section	.rodata,"a",@progbits
	.p2align	6, 0x0
	.amdhsa_kernel _ZN7rocprim17ROCPRIM_400000_NS6detail17trampoline_kernelINS0_13select_configILj256ELj13ELNS0_17block_load_methodE3ELS4_3ELS4_3ELNS0_20block_scan_algorithmE0ELj4294967295EEENS1_25partition_config_selectorILNS1_17partition_subalgoE4EjNS0_10empty_typeEbEEZZNS1_14partition_implILS8_4ELb0ES6_15HIP_vector_typeIjLj2EENS0_17counting_iteratorIjlEEPS9_SG_NS0_5tupleIJPjSI_NS0_16reverse_iteratorISI_EEEEENSH_IJSG_SG_SG_EEES9_SI_JZNS1_25segmented_radix_sort_implINS0_14default_configELb0EPKbPbPKlPlN2at6native12_GLOBAL__N_18offset_tEEE10hipError_tPvRmT1_PNSt15iterator_traitsIS12_E10value_typeET2_T3_PNS13_IS18_E10value_typeET4_jRbjT5_S1E_jjP12ihipStream_tbEUljE_ZNSN_ISO_Lb0ESQ_SR_ST_SU_SY_EESZ_S10_S11_S12_S16_S17_S18_S1B_S1C_jS1D_jS1E_S1E_jjS1G_bEUljE0_EEESZ_S10_S11_S18_S1C_S1E_T6_T7_T9_mT8_S1G_bDpT10_ENKUlT_T0_E_clISt17integral_constantIbLb1EES1U_EEDaS1P_S1Q_EUlS1P_E_NS1_11comp_targetILNS1_3genE9ELNS1_11target_archE1100ELNS1_3gpuE3ELNS1_3repE0EEENS1_30default_config_static_selectorELNS0_4arch9wavefront6targetE0EEEvS12_
		.amdhsa_group_segment_fixed_size 0
		.amdhsa_private_segment_fixed_size 0
		.amdhsa_kernarg_size 184
		.amdhsa_user_sgpr_count 6
		.amdhsa_user_sgpr_private_segment_buffer 1
		.amdhsa_user_sgpr_dispatch_ptr 0
		.amdhsa_user_sgpr_queue_ptr 0
		.amdhsa_user_sgpr_kernarg_segment_ptr 1
		.amdhsa_user_sgpr_dispatch_id 0
		.amdhsa_user_sgpr_flat_scratch_init 0
		.amdhsa_user_sgpr_private_segment_size 0
		.amdhsa_wavefront_size32 1
		.amdhsa_uses_dynamic_stack 0
		.amdhsa_system_sgpr_private_segment_wavefront_offset 0
		.amdhsa_system_sgpr_workgroup_id_x 1
		.amdhsa_system_sgpr_workgroup_id_y 0
		.amdhsa_system_sgpr_workgroup_id_z 0
		.amdhsa_system_sgpr_workgroup_info 0
		.amdhsa_system_vgpr_workitem_id 0
		.amdhsa_next_free_vgpr 1
		.amdhsa_next_free_sgpr 1
		.amdhsa_reserve_vcc 0
		.amdhsa_reserve_flat_scratch 0
		.amdhsa_float_round_mode_32 0
		.amdhsa_float_round_mode_16_64 0
		.amdhsa_float_denorm_mode_32 3
		.amdhsa_float_denorm_mode_16_64 3
		.amdhsa_dx10_clamp 1
		.amdhsa_ieee_mode 1
		.amdhsa_fp16_overflow 0
		.amdhsa_workgroup_processor_mode 1
		.amdhsa_memory_ordered 1
		.amdhsa_forward_progress 1
		.amdhsa_shared_vgpr_count 0
		.amdhsa_exception_fp_ieee_invalid_op 0
		.amdhsa_exception_fp_denorm_src 0
		.amdhsa_exception_fp_ieee_div_zero 0
		.amdhsa_exception_fp_ieee_overflow 0
		.amdhsa_exception_fp_ieee_underflow 0
		.amdhsa_exception_fp_ieee_inexact 0
		.amdhsa_exception_int_div_zero 0
	.end_amdhsa_kernel
	.section	.text._ZN7rocprim17ROCPRIM_400000_NS6detail17trampoline_kernelINS0_13select_configILj256ELj13ELNS0_17block_load_methodE3ELS4_3ELS4_3ELNS0_20block_scan_algorithmE0ELj4294967295EEENS1_25partition_config_selectorILNS1_17partition_subalgoE4EjNS0_10empty_typeEbEEZZNS1_14partition_implILS8_4ELb0ES6_15HIP_vector_typeIjLj2EENS0_17counting_iteratorIjlEEPS9_SG_NS0_5tupleIJPjSI_NS0_16reverse_iteratorISI_EEEEENSH_IJSG_SG_SG_EEES9_SI_JZNS1_25segmented_radix_sort_implINS0_14default_configELb0EPKbPbPKlPlN2at6native12_GLOBAL__N_18offset_tEEE10hipError_tPvRmT1_PNSt15iterator_traitsIS12_E10value_typeET2_T3_PNS13_IS18_E10value_typeET4_jRbjT5_S1E_jjP12ihipStream_tbEUljE_ZNSN_ISO_Lb0ESQ_SR_ST_SU_SY_EESZ_S10_S11_S12_S16_S17_S18_S1B_S1C_jS1D_jS1E_S1E_jjS1G_bEUljE0_EEESZ_S10_S11_S18_S1C_S1E_T6_T7_T9_mT8_S1G_bDpT10_ENKUlT_T0_E_clISt17integral_constantIbLb1EES1U_EEDaS1P_S1Q_EUlS1P_E_NS1_11comp_targetILNS1_3genE9ELNS1_11target_archE1100ELNS1_3gpuE3ELNS1_3repE0EEENS1_30default_config_static_selectorELNS0_4arch9wavefront6targetE0EEEvS12_,"axG",@progbits,_ZN7rocprim17ROCPRIM_400000_NS6detail17trampoline_kernelINS0_13select_configILj256ELj13ELNS0_17block_load_methodE3ELS4_3ELS4_3ELNS0_20block_scan_algorithmE0ELj4294967295EEENS1_25partition_config_selectorILNS1_17partition_subalgoE4EjNS0_10empty_typeEbEEZZNS1_14partition_implILS8_4ELb0ES6_15HIP_vector_typeIjLj2EENS0_17counting_iteratorIjlEEPS9_SG_NS0_5tupleIJPjSI_NS0_16reverse_iteratorISI_EEEEENSH_IJSG_SG_SG_EEES9_SI_JZNS1_25segmented_radix_sort_implINS0_14default_configELb0EPKbPbPKlPlN2at6native12_GLOBAL__N_18offset_tEEE10hipError_tPvRmT1_PNSt15iterator_traitsIS12_E10value_typeET2_T3_PNS13_IS18_E10value_typeET4_jRbjT5_S1E_jjP12ihipStream_tbEUljE_ZNSN_ISO_Lb0ESQ_SR_ST_SU_SY_EESZ_S10_S11_S12_S16_S17_S18_S1B_S1C_jS1D_jS1E_S1E_jjS1G_bEUljE0_EEESZ_S10_S11_S18_S1C_S1E_T6_T7_T9_mT8_S1G_bDpT10_ENKUlT_T0_E_clISt17integral_constantIbLb1EES1U_EEDaS1P_S1Q_EUlS1P_E_NS1_11comp_targetILNS1_3genE9ELNS1_11target_archE1100ELNS1_3gpuE3ELNS1_3repE0EEENS1_30default_config_static_selectorELNS0_4arch9wavefront6targetE0EEEvS12_,comdat
.Lfunc_end1576:
	.size	_ZN7rocprim17ROCPRIM_400000_NS6detail17trampoline_kernelINS0_13select_configILj256ELj13ELNS0_17block_load_methodE3ELS4_3ELS4_3ELNS0_20block_scan_algorithmE0ELj4294967295EEENS1_25partition_config_selectorILNS1_17partition_subalgoE4EjNS0_10empty_typeEbEEZZNS1_14partition_implILS8_4ELb0ES6_15HIP_vector_typeIjLj2EENS0_17counting_iteratorIjlEEPS9_SG_NS0_5tupleIJPjSI_NS0_16reverse_iteratorISI_EEEEENSH_IJSG_SG_SG_EEES9_SI_JZNS1_25segmented_radix_sort_implINS0_14default_configELb0EPKbPbPKlPlN2at6native12_GLOBAL__N_18offset_tEEE10hipError_tPvRmT1_PNSt15iterator_traitsIS12_E10value_typeET2_T3_PNS13_IS18_E10value_typeET4_jRbjT5_S1E_jjP12ihipStream_tbEUljE_ZNSN_ISO_Lb0ESQ_SR_ST_SU_SY_EESZ_S10_S11_S12_S16_S17_S18_S1B_S1C_jS1D_jS1E_S1E_jjS1G_bEUljE0_EEESZ_S10_S11_S18_S1C_S1E_T6_T7_T9_mT8_S1G_bDpT10_ENKUlT_T0_E_clISt17integral_constantIbLb1EES1U_EEDaS1P_S1Q_EUlS1P_E_NS1_11comp_targetILNS1_3genE9ELNS1_11target_archE1100ELNS1_3gpuE3ELNS1_3repE0EEENS1_30default_config_static_selectorELNS0_4arch9wavefront6targetE0EEEvS12_, .Lfunc_end1576-_ZN7rocprim17ROCPRIM_400000_NS6detail17trampoline_kernelINS0_13select_configILj256ELj13ELNS0_17block_load_methodE3ELS4_3ELS4_3ELNS0_20block_scan_algorithmE0ELj4294967295EEENS1_25partition_config_selectorILNS1_17partition_subalgoE4EjNS0_10empty_typeEbEEZZNS1_14partition_implILS8_4ELb0ES6_15HIP_vector_typeIjLj2EENS0_17counting_iteratorIjlEEPS9_SG_NS0_5tupleIJPjSI_NS0_16reverse_iteratorISI_EEEEENSH_IJSG_SG_SG_EEES9_SI_JZNS1_25segmented_radix_sort_implINS0_14default_configELb0EPKbPbPKlPlN2at6native12_GLOBAL__N_18offset_tEEE10hipError_tPvRmT1_PNSt15iterator_traitsIS12_E10value_typeET2_T3_PNS13_IS18_E10value_typeET4_jRbjT5_S1E_jjP12ihipStream_tbEUljE_ZNSN_ISO_Lb0ESQ_SR_ST_SU_SY_EESZ_S10_S11_S12_S16_S17_S18_S1B_S1C_jS1D_jS1E_S1E_jjS1G_bEUljE0_EEESZ_S10_S11_S18_S1C_S1E_T6_T7_T9_mT8_S1G_bDpT10_ENKUlT_T0_E_clISt17integral_constantIbLb1EES1U_EEDaS1P_S1Q_EUlS1P_E_NS1_11comp_targetILNS1_3genE9ELNS1_11target_archE1100ELNS1_3gpuE3ELNS1_3repE0EEENS1_30default_config_static_selectorELNS0_4arch9wavefront6targetE0EEEvS12_
                                        ; -- End function
	.set _ZN7rocprim17ROCPRIM_400000_NS6detail17trampoline_kernelINS0_13select_configILj256ELj13ELNS0_17block_load_methodE3ELS4_3ELS4_3ELNS0_20block_scan_algorithmE0ELj4294967295EEENS1_25partition_config_selectorILNS1_17partition_subalgoE4EjNS0_10empty_typeEbEEZZNS1_14partition_implILS8_4ELb0ES6_15HIP_vector_typeIjLj2EENS0_17counting_iteratorIjlEEPS9_SG_NS0_5tupleIJPjSI_NS0_16reverse_iteratorISI_EEEEENSH_IJSG_SG_SG_EEES9_SI_JZNS1_25segmented_radix_sort_implINS0_14default_configELb0EPKbPbPKlPlN2at6native12_GLOBAL__N_18offset_tEEE10hipError_tPvRmT1_PNSt15iterator_traitsIS12_E10value_typeET2_T3_PNS13_IS18_E10value_typeET4_jRbjT5_S1E_jjP12ihipStream_tbEUljE_ZNSN_ISO_Lb0ESQ_SR_ST_SU_SY_EESZ_S10_S11_S12_S16_S17_S18_S1B_S1C_jS1D_jS1E_S1E_jjS1G_bEUljE0_EEESZ_S10_S11_S18_S1C_S1E_T6_T7_T9_mT8_S1G_bDpT10_ENKUlT_T0_E_clISt17integral_constantIbLb1EES1U_EEDaS1P_S1Q_EUlS1P_E_NS1_11comp_targetILNS1_3genE9ELNS1_11target_archE1100ELNS1_3gpuE3ELNS1_3repE0EEENS1_30default_config_static_selectorELNS0_4arch9wavefront6targetE0EEEvS12_.num_vgpr, 0
	.set _ZN7rocprim17ROCPRIM_400000_NS6detail17trampoline_kernelINS0_13select_configILj256ELj13ELNS0_17block_load_methodE3ELS4_3ELS4_3ELNS0_20block_scan_algorithmE0ELj4294967295EEENS1_25partition_config_selectorILNS1_17partition_subalgoE4EjNS0_10empty_typeEbEEZZNS1_14partition_implILS8_4ELb0ES6_15HIP_vector_typeIjLj2EENS0_17counting_iteratorIjlEEPS9_SG_NS0_5tupleIJPjSI_NS0_16reverse_iteratorISI_EEEEENSH_IJSG_SG_SG_EEES9_SI_JZNS1_25segmented_radix_sort_implINS0_14default_configELb0EPKbPbPKlPlN2at6native12_GLOBAL__N_18offset_tEEE10hipError_tPvRmT1_PNSt15iterator_traitsIS12_E10value_typeET2_T3_PNS13_IS18_E10value_typeET4_jRbjT5_S1E_jjP12ihipStream_tbEUljE_ZNSN_ISO_Lb0ESQ_SR_ST_SU_SY_EESZ_S10_S11_S12_S16_S17_S18_S1B_S1C_jS1D_jS1E_S1E_jjS1G_bEUljE0_EEESZ_S10_S11_S18_S1C_S1E_T6_T7_T9_mT8_S1G_bDpT10_ENKUlT_T0_E_clISt17integral_constantIbLb1EES1U_EEDaS1P_S1Q_EUlS1P_E_NS1_11comp_targetILNS1_3genE9ELNS1_11target_archE1100ELNS1_3gpuE3ELNS1_3repE0EEENS1_30default_config_static_selectorELNS0_4arch9wavefront6targetE0EEEvS12_.num_agpr, 0
	.set _ZN7rocprim17ROCPRIM_400000_NS6detail17trampoline_kernelINS0_13select_configILj256ELj13ELNS0_17block_load_methodE3ELS4_3ELS4_3ELNS0_20block_scan_algorithmE0ELj4294967295EEENS1_25partition_config_selectorILNS1_17partition_subalgoE4EjNS0_10empty_typeEbEEZZNS1_14partition_implILS8_4ELb0ES6_15HIP_vector_typeIjLj2EENS0_17counting_iteratorIjlEEPS9_SG_NS0_5tupleIJPjSI_NS0_16reverse_iteratorISI_EEEEENSH_IJSG_SG_SG_EEES9_SI_JZNS1_25segmented_radix_sort_implINS0_14default_configELb0EPKbPbPKlPlN2at6native12_GLOBAL__N_18offset_tEEE10hipError_tPvRmT1_PNSt15iterator_traitsIS12_E10value_typeET2_T3_PNS13_IS18_E10value_typeET4_jRbjT5_S1E_jjP12ihipStream_tbEUljE_ZNSN_ISO_Lb0ESQ_SR_ST_SU_SY_EESZ_S10_S11_S12_S16_S17_S18_S1B_S1C_jS1D_jS1E_S1E_jjS1G_bEUljE0_EEESZ_S10_S11_S18_S1C_S1E_T6_T7_T9_mT8_S1G_bDpT10_ENKUlT_T0_E_clISt17integral_constantIbLb1EES1U_EEDaS1P_S1Q_EUlS1P_E_NS1_11comp_targetILNS1_3genE9ELNS1_11target_archE1100ELNS1_3gpuE3ELNS1_3repE0EEENS1_30default_config_static_selectorELNS0_4arch9wavefront6targetE0EEEvS12_.numbered_sgpr, 0
	.set _ZN7rocprim17ROCPRIM_400000_NS6detail17trampoline_kernelINS0_13select_configILj256ELj13ELNS0_17block_load_methodE3ELS4_3ELS4_3ELNS0_20block_scan_algorithmE0ELj4294967295EEENS1_25partition_config_selectorILNS1_17partition_subalgoE4EjNS0_10empty_typeEbEEZZNS1_14partition_implILS8_4ELb0ES6_15HIP_vector_typeIjLj2EENS0_17counting_iteratorIjlEEPS9_SG_NS0_5tupleIJPjSI_NS0_16reverse_iteratorISI_EEEEENSH_IJSG_SG_SG_EEES9_SI_JZNS1_25segmented_radix_sort_implINS0_14default_configELb0EPKbPbPKlPlN2at6native12_GLOBAL__N_18offset_tEEE10hipError_tPvRmT1_PNSt15iterator_traitsIS12_E10value_typeET2_T3_PNS13_IS18_E10value_typeET4_jRbjT5_S1E_jjP12ihipStream_tbEUljE_ZNSN_ISO_Lb0ESQ_SR_ST_SU_SY_EESZ_S10_S11_S12_S16_S17_S18_S1B_S1C_jS1D_jS1E_S1E_jjS1G_bEUljE0_EEESZ_S10_S11_S18_S1C_S1E_T6_T7_T9_mT8_S1G_bDpT10_ENKUlT_T0_E_clISt17integral_constantIbLb1EES1U_EEDaS1P_S1Q_EUlS1P_E_NS1_11comp_targetILNS1_3genE9ELNS1_11target_archE1100ELNS1_3gpuE3ELNS1_3repE0EEENS1_30default_config_static_selectorELNS0_4arch9wavefront6targetE0EEEvS12_.num_named_barrier, 0
	.set _ZN7rocprim17ROCPRIM_400000_NS6detail17trampoline_kernelINS0_13select_configILj256ELj13ELNS0_17block_load_methodE3ELS4_3ELS4_3ELNS0_20block_scan_algorithmE0ELj4294967295EEENS1_25partition_config_selectorILNS1_17partition_subalgoE4EjNS0_10empty_typeEbEEZZNS1_14partition_implILS8_4ELb0ES6_15HIP_vector_typeIjLj2EENS0_17counting_iteratorIjlEEPS9_SG_NS0_5tupleIJPjSI_NS0_16reverse_iteratorISI_EEEEENSH_IJSG_SG_SG_EEES9_SI_JZNS1_25segmented_radix_sort_implINS0_14default_configELb0EPKbPbPKlPlN2at6native12_GLOBAL__N_18offset_tEEE10hipError_tPvRmT1_PNSt15iterator_traitsIS12_E10value_typeET2_T3_PNS13_IS18_E10value_typeET4_jRbjT5_S1E_jjP12ihipStream_tbEUljE_ZNSN_ISO_Lb0ESQ_SR_ST_SU_SY_EESZ_S10_S11_S12_S16_S17_S18_S1B_S1C_jS1D_jS1E_S1E_jjS1G_bEUljE0_EEESZ_S10_S11_S18_S1C_S1E_T6_T7_T9_mT8_S1G_bDpT10_ENKUlT_T0_E_clISt17integral_constantIbLb1EES1U_EEDaS1P_S1Q_EUlS1P_E_NS1_11comp_targetILNS1_3genE9ELNS1_11target_archE1100ELNS1_3gpuE3ELNS1_3repE0EEENS1_30default_config_static_selectorELNS0_4arch9wavefront6targetE0EEEvS12_.private_seg_size, 0
	.set _ZN7rocprim17ROCPRIM_400000_NS6detail17trampoline_kernelINS0_13select_configILj256ELj13ELNS0_17block_load_methodE3ELS4_3ELS4_3ELNS0_20block_scan_algorithmE0ELj4294967295EEENS1_25partition_config_selectorILNS1_17partition_subalgoE4EjNS0_10empty_typeEbEEZZNS1_14partition_implILS8_4ELb0ES6_15HIP_vector_typeIjLj2EENS0_17counting_iteratorIjlEEPS9_SG_NS0_5tupleIJPjSI_NS0_16reverse_iteratorISI_EEEEENSH_IJSG_SG_SG_EEES9_SI_JZNS1_25segmented_radix_sort_implINS0_14default_configELb0EPKbPbPKlPlN2at6native12_GLOBAL__N_18offset_tEEE10hipError_tPvRmT1_PNSt15iterator_traitsIS12_E10value_typeET2_T3_PNS13_IS18_E10value_typeET4_jRbjT5_S1E_jjP12ihipStream_tbEUljE_ZNSN_ISO_Lb0ESQ_SR_ST_SU_SY_EESZ_S10_S11_S12_S16_S17_S18_S1B_S1C_jS1D_jS1E_S1E_jjS1G_bEUljE0_EEESZ_S10_S11_S18_S1C_S1E_T6_T7_T9_mT8_S1G_bDpT10_ENKUlT_T0_E_clISt17integral_constantIbLb1EES1U_EEDaS1P_S1Q_EUlS1P_E_NS1_11comp_targetILNS1_3genE9ELNS1_11target_archE1100ELNS1_3gpuE3ELNS1_3repE0EEENS1_30default_config_static_selectorELNS0_4arch9wavefront6targetE0EEEvS12_.uses_vcc, 0
	.set _ZN7rocprim17ROCPRIM_400000_NS6detail17trampoline_kernelINS0_13select_configILj256ELj13ELNS0_17block_load_methodE3ELS4_3ELS4_3ELNS0_20block_scan_algorithmE0ELj4294967295EEENS1_25partition_config_selectorILNS1_17partition_subalgoE4EjNS0_10empty_typeEbEEZZNS1_14partition_implILS8_4ELb0ES6_15HIP_vector_typeIjLj2EENS0_17counting_iteratorIjlEEPS9_SG_NS0_5tupleIJPjSI_NS0_16reverse_iteratorISI_EEEEENSH_IJSG_SG_SG_EEES9_SI_JZNS1_25segmented_radix_sort_implINS0_14default_configELb0EPKbPbPKlPlN2at6native12_GLOBAL__N_18offset_tEEE10hipError_tPvRmT1_PNSt15iterator_traitsIS12_E10value_typeET2_T3_PNS13_IS18_E10value_typeET4_jRbjT5_S1E_jjP12ihipStream_tbEUljE_ZNSN_ISO_Lb0ESQ_SR_ST_SU_SY_EESZ_S10_S11_S12_S16_S17_S18_S1B_S1C_jS1D_jS1E_S1E_jjS1G_bEUljE0_EEESZ_S10_S11_S18_S1C_S1E_T6_T7_T9_mT8_S1G_bDpT10_ENKUlT_T0_E_clISt17integral_constantIbLb1EES1U_EEDaS1P_S1Q_EUlS1P_E_NS1_11comp_targetILNS1_3genE9ELNS1_11target_archE1100ELNS1_3gpuE3ELNS1_3repE0EEENS1_30default_config_static_selectorELNS0_4arch9wavefront6targetE0EEEvS12_.uses_flat_scratch, 0
	.set _ZN7rocprim17ROCPRIM_400000_NS6detail17trampoline_kernelINS0_13select_configILj256ELj13ELNS0_17block_load_methodE3ELS4_3ELS4_3ELNS0_20block_scan_algorithmE0ELj4294967295EEENS1_25partition_config_selectorILNS1_17partition_subalgoE4EjNS0_10empty_typeEbEEZZNS1_14partition_implILS8_4ELb0ES6_15HIP_vector_typeIjLj2EENS0_17counting_iteratorIjlEEPS9_SG_NS0_5tupleIJPjSI_NS0_16reverse_iteratorISI_EEEEENSH_IJSG_SG_SG_EEES9_SI_JZNS1_25segmented_radix_sort_implINS0_14default_configELb0EPKbPbPKlPlN2at6native12_GLOBAL__N_18offset_tEEE10hipError_tPvRmT1_PNSt15iterator_traitsIS12_E10value_typeET2_T3_PNS13_IS18_E10value_typeET4_jRbjT5_S1E_jjP12ihipStream_tbEUljE_ZNSN_ISO_Lb0ESQ_SR_ST_SU_SY_EESZ_S10_S11_S12_S16_S17_S18_S1B_S1C_jS1D_jS1E_S1E_jjS1G_bEUljE0_EEESZ_S10_S11_S18_S1C_S1E_T6_T7_T9_mT8_S1G_bDpT10_ENKUlT_T0_E_clISt17integral_constantIbLb1EES1U_EEDaS1P_S1Q_EUlS1P_E_NS1_11comp_targetILNS1_3genE9ELNS1_11target_archE1100ELNS1_3gpuE3ELNS1_3repE0EEENS1_30default_config_static_selectorELNS0_4arch9wavefront6targetE0EEEvS12_.has_dyn_sized_stack, 0
	.set _ZN7rocprim17ROCPRIM_400000_NS6detail17trampoline_kernelINS0_13select_configILj256ELj13ELNS0_17block_load_methodE3ELS4_3ELS4_3ELNS0_20block_scan_algorithmE0ELj4294967295EEENS1_25partition_config_selectorILNS1_17partition_subalgoE4EjNS0_10empty_typeEbEEZZNS1_14partition_implILS8_4ELb0ES6_15HIP_vector_typeIjLj2EENS0_17counting_iteratorIjlEEPS9_SG_NS0_5tupleIJPjSI_NS0_16reverse_iteratorISI_EEEEENSH_IJSG_SG_SG_EEES9_SI_JZNS1_25segmented_radix_sort_implINS0_14default_configELb0EPKbPbPKlPlN2at6native12_GLOBAL__N_18offset_tEEE10hipError_tPvRmT1_PNSt15iterator_traitsIS12_E10value_typeET2_T3_PNS13_IS18_E10value_typeET4_jRbjT5_S1E_jjP12ihipStream_tbEUljE_ZNSN_ISO_Lb0ESQ_SR_ST_SU_SY_EESZ_S10_S11_S12_S16_S17_S18_S1B_S1C_jS1D_jS1E_S1E_jjS1G_bEUljE0_EEESZ_S10_S11_S18_S1C_S1E_T6_T7_T9_mT8_S1G_bDpT10_ENKUlT_T0_E_clISt17integral_constantIbLb1EES1U_EEDaS1P_S1Q_EUlS1P_E_NS1_11comp_targetILNS1_3genE9ELNS1_11target_archE1100ELNS1_3gpuE3ELNS1_3repE0EEENS1_30default_config_static_selectorELNS0_4arch9wavefront6targetE0EEEvS12_.has_recursion, 0
	.set _ZN7rocprim17ROCPRIM_400000_NS6detail17trampoline_kernelINS0_13select_configILj256ELj13ELNS0_17block_load_methodE3ELS4_3ELS4_3ELNS0_20block_scan_algorithmE0ELj4294967295EEENS1_25partition_config_selectorILNS1_17partition_subalgoE4EjNS0_10empty_typeEbEEZZNS1_14partition_implILS8_4ELb0ES6_15HIP_vector_typeIjLj2EENS0_17counting_iteratorIjlEEPS9_SG_NS0_5tupleIJPjSI_NS0_16reverse_iteratorISI_EEEEENSH_IJSG_SG_SG_EEES9_SI_JZNS1_25segmented_radix_sort_implINS0_14default_configELb0EPKbPbPKlPlN2at6native12_GLOBAL__N_18offset_tEEE10hipError_tPvRmT1_PNSt15iterator_traitsIS12_E10value_typeET2_T3_PNS13_IS18_E10value_typeET4_jRbjT5_S1E_jjP12ihipStream_tbEUljE_ZNSN_ISO_Lb0ESQ_SR_ST_SU_SY_EESZ_S10_S11_S12_S16_S17_S18_S1B_S1C_jS1D_jS1E_S1E_jjS1G_bEUljE0_EEESZ_S10_S11_S18_S1C_S1E_T6_T7_T9_mT8_S1G_bDpT10_ENKUlT_T0_E_clISt17integral_constantIbLb1EES1U_EEDaS1P_S1Q_EUlS1P_E_NS1_11comp_targetILNS1_3genE9ELNS1_11target_archE1100ELNS1_3gpuE3ELNS1_3repE0EEENS1_30default_config_static_selectorELNS0_4arch9wavefront6targetE0EEEvS12_.has_indirect_call, 0
	.section	.AMDGPU.csdata,"",@progbits
; Kernel info:
; codeLenInByte = 0
; TotalNumSgprs: 0
; NumVgprs: 0
; ScratchSize: 0
; MemoryBound: 0
; FloatMode: 240
; IeeeMode: 1
; LDSByteSize: 0 bytes/workgroup (compile time only)
; SGPRBlocks: 0
; VGPRBlocks: 0
; NumSGPRsForWavesPerEU: 1
; NumVGPRsForWavesPerEU: 1
; Occupancy: 16
; WaveLimiterHint : 0
; COMPUTE_PGM_RSRC2:SCRATCH_EN: 0
; COMPUTE_PGM_RSRC2:USER_SGPR: 6
; COMPUTE_PGM_RSRC2:TRAP_HANDLER: 0
; COMPUTE_PGM_RSRC2:TGID_X_EN: 1
; COMPUTE_PGM_RSRC2:TGID_Y_EN: 0
; COMPUTE_PGM_RSRC2:TGID_Z_EN: 0
; COMPUTE_PGM_RSRC2:TIDIG_COMP_CNT: 0
	.section	.text._ZN7rocprim17ROCPRIM_400000_NS6detail17trampoline_kernelINS0_13select_configILj256ELj13ELNS0_17block_load_methodE3ELS4_3ELS4_3ELNS0_20block_scan_algorithmE0ELj4294967295EEENS1_25partition_config_selectorILNS1_17partition_subalgoE4EjNS0_10empty_typeEbEEZZNS1_14partition_implILS8_4ELb0ES6_15HIP_vector_typeIjLj2EENS0_17counting_iteratorIjlEEPS9_SG_NS0_5tupleIJPjSI_NS0_16reverse_iteratorISI_EEEEENSH_IJSG_SG_SG_EEES9_SI_JZNS1_25segmented_radix_sort_implINS0_14default_configELb0EPKbPbPKlPlN2at6native12_GLOBAL__N_18offset_tEEE10hipError_tPvRmT1_PNSt15iterator_traitsIS12_E10value_typeET2_T3_PNS13_IS18_E10value_typeET4_jRbjT5_S1E_jjP12ihipStream_tbEUljE_ZNSN_ISO_Lb0ESQ_SR_ST_SU_SY_EESZ_S10_S11_S12_S16_S17_S18_S1B_S1C_jS1D_jS1E_S1E_jjS1G_bEUljE0_EEESZ_S10_S11_S18_S1C_S1E_T6_T7_T9_mT8_S1G_bDpT10_ENKUlT_T0_E_clISt17integral_constantIbLb1EES1U_EEDaS1P_S1Q_EUlS1P_E_NS1_11comp_targetILNS1_3genE8ELNS1_11target_archE1030ELNS1_3gpuE2ELNS1_3repE0EEENS1_30default_config_static_selectorELNS0_4arch9wavefront6targetE0EEEvS12_,"axG",@progbits,_ZN7rocprim17ROCPRIM_400000_NS6detail17trampoline_kernelINS0_13select_configILj256ELj13ELNS0_17block_load_methodE3ELS4_3ELS4_3ELNS0_20block_scan_algorithmE0ELj4294967295EEENS1_25partition_config_selectorILNS1_17partition_subalgoE4EjNS0_10empty_typeEbEEZZNS1_14partition_implILS8_4ELb0ES6_15HIP_vector_typeIjLj2EENS0_17counting_iteratorIjlEEPS9_SG_NS0_5tupleIJPjSI_NS0_16reverse_iteratorISI_EEEEENSH_IJSG_SG_SG_EEES9_SI_JZNS1_25segmented_radix_sort_implINS0_14default_configELb0EPKbPbPKlPlN2at6native12_GLOBAL__N_18offset_tEEE10hipError_tPvRmT1_PNSt15iterator_traitsIS12_E10value_typeET2_T3_PNS13_IS18_E10value_typeET4_jRbjT5_S1E_jjP12ihipStream_tbEUljE_ZNSN_ISO_Lb0ESQ_SR_ST_SU_SY_EESZ_S10_S11_S12_S16_S17_S18_S1B_S1C_jS1D_jS1E_S1E_jjS1G_bEUljE0_EEESZ_S10_S11_S18_S1C_S1E_T6_T7_T9_mT8_S1G_bDpT10_ENKUlT_T0_E_clISt17integral_constantIbLb1EES1U_EEDaS1P_S1Q_EUlS1P_E_NS1_11comp_targetILNS1_3genE8ELNS1_11target_archE1030ELNS1_3gpuE2ELNS1_3repE0EEENS1_30default_config_static_selectorELNS0_4arch9wavefront6targetE0EEEvS12_,comdat
	.globl	_ZN7rocprim17ROCPRIM_400000_NS6detail17trampoline_kernelINS0_13select_configILj256ELj13ELNS0_17block_load_methodE3ELS4_3ELS4_3ELNS0_20block_scan_algorithmE0ELj4294967295EEENS1_25partition_config_selectorILNS1_17partition_subalgoE4EjNS0_10empty_typeEbEEZZNS1_14partition_implILS8_4ELb0ES6_15HIP_vector_typeIjLj2EENS0_17counting_iteratorIjlEEPS9_SG_NS0_5tupleIJPjSI_NS0_16reverse_iteratorISI_EEEEENSH_IJSG_SG_SG_EEES9_SI_JZNS1_25segmented_radix_sort_implINS0_14default_configELb0EPKbPbPKlPlN2at6native12_GLOBAL__N_18offset_tEEE10hipError_tPvRmT1_PNSt15iterator_traitsIS12_E10value_typeET2_T3_PNS13_IS18_E10value_typeET4_jRbjT5_S1E_jjP12ihipStream_tbEUljE_ZNSN_ISO_Lb0ESQ_SR_ST_SU_SY_EESZ_S10_S11_S12_S16_S17_S18_S1B_S1C_jS1D_jS1E_S1E_jjS1G_bEUljE0_EEESZ_S10_S11_S18_S1C_S1E_T6_T7_T9_mT8_S1G_bDpT10_ENKUlT_T0_E_clISt17integral_constantIbLb1EES1U_EEDaS1P_S1Q_EUlS1P_E_NS1_11comp_targetILNS1_3genE8ELNS1_11target_archE1030ELNS1_3gpuE2ELNS1_3repE0EEENS1_30default_config_static_selectorELNS0_4arch9wavefront6targetE0EEEvS12_ ; -- Begin function _ZN7rocprim17ROCPRIM_400000_NS6detail17trampoline_kernelINS0_13select_configILj256ELj13ELNS0_17block_load_methodE3ELS4_3ELS4_3ELNS0_20block_scan_algorithmE0ELj4294967295EEENS1_25partition_config_selectorILNS1_17partition_subalgoE4EjNS0_10empty_typeEbEEZZNS1_14partition_implILS8_4ELb0ES6_15HIP_vector_typeIjLj2EENS0_17counting_iteratorIjlEEPS9_SG_NS0_5tupleIJPjSI_NS0_16reverse_iteratorISI_EEEEENSH_IJSG_SG_SG_EEES9_SI_JZNS1_25segmented_radix_sort_implINS0_14default_configELb0EPKbPbPKlPlN2at6native12_GLOBAL__N_18offset_tEEE10hipError_tPvRmT1_PNSt15iterator_traitsIS12_E10value_typeET2_T3_PNS13_IS18_E10value_typeET4_jRbjT5_S1E_jjP12ihipStream_tbEUljE_ZNSN_ISO_Lb0ESQ_SR_ST_SU_SY_EESZ_S10_S11_S12_S16_S17_S18_S1B_S1C_jS1D_jS1E_S1E_jjS1G_bEUljE0_EEESZ_S10_S11_S18_S1C_S1E_T6_T7_T9_mT8_S1G_bDpT10_ENKUlT_T0_E_clISt17integral_constantIbLb1EES1U_EEDaS1P_S1Q_EUlS1P_E_NS1_11comp_targetILNS1_3genE8ELNS1_11target_archE1030ELNS1_3gpuE2ELNS1_3repE0EEENS1_30default_config_static_selectorELNS0_4arch9wavefront6targetE0EEEvS12_
	.p2align	8
	.type	_ZN7rocprim17ROCPRIM_400000_NS6detail17trampoline_kernelINS0_13select_configILj256ELj13ELNS0_17block_load_methodE3ELS4_3ELS4_3ELNS0_20block_scan_algorithmE0ELj4294967295EEENS1_25partition_config_selectorILNS1_17partition_subalgoE4EjNS0_10empty_typeEbEEZZNS1_14partition_implILS8_4ELb0ES6_15HIP_vector_typeIjLj2EENS0_17counting_iteratorIjlEEPS9_SG_NS0_5tupleIJPjSI_NS0_16reverse_iteratorISI_EEEEENSH_IJSG_SG_SG_EEES9_SI_JZNS1_25segmented_radix_sort_implINS0_14default_configELb0EPKbPbPKlPlN2at6native12_GLOBAL__N_18offset_tEEE10hipError_tPvRmT1_PNSt15iterator_traitsIS12_E10value_typeET2_T3_PNS13_IS18_E10value_typeET4_jRbjT5_S1E_jjP12ihipStream_tbEUljE_ZNSN_ISO_Lb0ESQ_SR_ST_SU_SY_EESZ_S10_S11_S12_S16_S17_S18_S1B_S1C_jS1D_jS1E_S1E_jjS1G_bEUljE0_EEESZ_S10_S11_S18_S1C_S1E_T6_T7_T9_mT8_S1G_bDpT10_ENKUlT_T0_E_clISt17integral_constantIbLb1EES1U_EEDaS1P_S1Q_EUlS1P_E_NS1_11comp_targetILNS1_3genE8ELNS1_11target_archE1030ELNS1_3gpuE2ELNS1_3repE0EEENS1_30default_config_static_selectorELNS0_4arch9wavefront6targetE0EEEvS12_,@function
_ZN7rocprim17ROCPRIM_400000_NS6detail17trampoline_kernelINS0_13select_configILj256ELj13ELNS0_17block_load_methodE3ELS4_3ELS4_3ELNS0_20block_scan_algorithmE0ELj4294967295EEENS1_25partition_config_selectorILNS1_17partition_subalgoE4EjNS0_10empty_typeEbEEZZNS1_14partition_implILS8_4ELb0ES6_15HIP_vector_typeIjLj2EENS0_17counting_iteratorIjlEEPS9_SG_NS0_5tupleIJPjSI_NS0_16reverse_iteratorISI_EEEEENSH_IJSG_SG_SG_EEES9_SI_JZNS1_25segmented_radix_sort_implINS0_14default_configELb0EPKbPbPKlPlN2at6native12_GLOBAL__N_18offset_tEEE10hipError_tPvRmT1_PNSt15iterator_traitsIS12_E10value_typeET2_T3_PNS13_IS18_E10value_typeET4_jRbjT5_S1E_jjP12ihipStream_tbEUljE_ZNSN_ISO_Lb0ESQ_SR_ST_SU_SY_EESZ_S10_S11_S12_S16_S17_S18_S1B_S1C_jS1D_jS1E_S1E_jjS1G_bEUljE0_EEESZ_S10_S11_S18_S1C_S1E_T6_T7_T9_mT8_S1G_bDpT10_ENKUlT_T0_E_clISt17integral_constantIbLb1EES1U_EEDaS1P_S1Q_EUlS1P_E_NS1_11comp_targetILNS1_3genE8ELNS1_11target_archE1030ELNS1_3gpuE2ELNS1_3repE0EEENS1_30default_config_static_selectorELNS0_4arch9wavefront6targetE0EEEvS12_: ; @_ZN7rocprim17ROCPRIM_400000_NS6detail17trampoline_kernelINS0_13select_configILj256ELj13ELNS0_17block_load_methodE3ELS4_3ELS4_3ELNS0_20block_scan_algorithmE0ELj4294967295EEENS1_25partition_config_selectorILNS1_17partition_subalgoE4EjNS0_10empty_typeEbEEZZNS1_14partition_implILS8_4ELb0ES6_15HIP_vector_typeIjLj2EENS0_17counting_iteratorIjlEEPS9_SG_NS0_5tupleIJPjSI_NS0_16reverse_iteratorISI_EEEEENSH_IJSG_SG_SG_EEES9_SI_JZNS1_25segmented_radix_sort_implINS0_14default_configELb0EPKbPbPKlPlN2at6native12_GLOBAL__N_18offset_tEEE10hipError_tPvRmT1_PNSt15iterator_traitsIS12_E10value_typeET2_T3_PNS13_IS18_E10value_typeET4_jRbjT5_S1E_jjP12ihipStream_tbEUljE_ZNSN_ISO_Lb0ESQ_SR_ST_SU_SY_EESZ_S10_S11_S12_S16_S17_S18_S1B_S1C_jS1D_jS1E_S1E_jjS1G_bEUljE0_EEESZ_S10_S11_S18_S1C_S1E_T6_T7_T9_mT8_S1G_bDpT10_ENKUlT_T0_E_clISt17integral_constantIbLb1EES1U_EEDaS1P_S1Q_EUlS1P_E_NS1_11comp_targetILNS1_3genE8ELNS1_11target_archE1030ELNS1_3gpuE2ELNS1_3repE0EEENS1_30default_config_static_selectorELNS0_4arch9wavefront6targetE0EEEvS12_
; %bb.0:
	s_endpgm
	.section	.rodata,"a",@progbits
	.p2align	6, 0x0
	.amdhsa_kernel _ZN7rocprim17ROCPRIM_400000_NS6detail17trampoline_kernelINS0_13select_configILj256ELj13ELNS0_17block_load_methodE3ELS4_3ELS4_3ELNS0_20block_scan_algorithmE0ELj4294967295EEENS1_25partition_config_selectorILNS1_17partition_subalgoE4EjNS0_10empty_typeEbEEZZNS1_14partition_implILS8_4ELb0ES6_15HIP_vector_typeIjLj2EENS0_17counting_iteratorIjlEEPS9_SG_NS0_5tupleIJPjSI_NS0_16reverse_iteratorISI_EEEEENSH_IJSG_SG_SG_EEES9_SI_JZNS1_25segmented_radix_sort_implINS0_14default_configELb0EPKbPbPKlPlN2at6native12_GLOBAL__N_18offset_tEEE10hipError_tPvRmT1_PNSt15iterator_traitsIS12_E10value_typeET2_T3_PNS13_IS18_E10value_typeET4_jRbjT5_S1E_jjP12ihipStream_tbEUljE_ZNSN_ISO_Lb0ESQ_SR_ST_SU_SY_EESZ_S10_S11_S12_S16_S17_S18_S1B_S1C_jS1D_jS1E_S1E_jjS1G_bEUljE0_EEESZ_S10_S11_S18_S1C_S1E_T6_T7_T9_mT8_S1G_bDpT10_ENKUlT_T0_E_clISt17integral_constantIbLb1EES1U_EEDaS1P_S1Q_EUlS1P_E_NS1_11comp_targetILNS1_3genE8ELNS1_11target_archE1030ELNS1_3gpuE2ELNS1_3repE0EEENS1_30default_config_static_selectorELNS0_4arch9wavefront6targetE0EEEvS12_
		.amdhsa_group_segment_fixed_size 0
		.amdhsa_private_segment_fixed_size 0
		.amdhsa_kernarg_size 184
		.amdhsa_user_sgpr_count 6
		.amdhsa_user_sgpr_private_segment_buffer 1
		.amdhsa_user_sgpr_dispatch_ptr 0
		.amdhsa_user_sgpr_queue_ptr 0
		.amdhsa_user_sgpr_kernarg_segment_ptr 1
		.amdhsa_user_sgpr_dispatch_id 0
		.amdhsa_user_sgpr_flat_scratch_init 0
		.amdhsa_user_sgpr_private_segment_size 0
		.amdhsa_wavefront_size32 1
		.amdhsa_uses_dynamic_stack 0
		.amdhsa_system_sgpr_private_segment_wavefront_offset 0
		.amdhsa_system_sgpr_workgroup_id_x 1
		.amdhsa_system_sgpr_workgroup_id_y 0
		.amdhsa_system_sgpr_workgroup_id_z 0
		.amdhsa_system_sgpr_workgroup_info 0
		.amdhsa_system_vgpr_workitem_id 0
		.amdhsa_next_free_vgpr 1
		.amdhsa_next_free_sgpr 1
		.amdhsa_reserve_vcc 0
		.amdhsa_reserve_flat_scratch 0
		.amdhsa_float_round_mode_32 0
		.amdhsa_float_round_mode_16_64 0
		.amdhsa_float_denorm_mode_32 3
		.amdhsa_float_denorm_mode_16_64 3
		.amdhsa_dx10_clamp 1
		.amdhsa_ieee_mode 1
		.amdhsa_fp16_overflow 0
		.amdhsa_workgroup_processor_mode 1
		.amdhsa_memory_ordered 1
		.amdhsa_forward_progress 1
		.amdhsa_shared_vgpr_count 0
		.amdhsa_exception_fp_ieee_invalid_op 0
		.amdhsa_exception_fp_denorm_src 0
		.amdhsa_exception_fp_ieee_div_zero 0
		.amdhsa_exception_fp_ieee_overflow 0
		.amdhsa_exception_fp_ieee_underflow 0
		.amdhsa_exception_fp_ieee_inexact 0
		.amdhsa_exception_int_div_zero 0
	.end_amdhsa_kernel
	.section	.text._ZN7rocprim17ROCPRIM_400000_NS6detail17trampoline_kernelINS0_13select_configILj256ELj13ELNS0_17block_load_methodE3ELS4_3ELS4_3ELNS0_20block_scan_algorithmE0ELj4294967295EEENS1_25partition_config_selectorILNS1_17partition_subalgoE4EjNS0_10empty_typeEbEEZZNS1_14partition_implILS8_4ELb0ES6_15HIP_vector_typeIjLj2EENS0_17counting_iteratorIjlEEPS9_SG_NS0_5tupleIJPjSI_NS0_16reverse_iteratorISI_EEEEENSH_IJSG_SG_SG_EEES9_SI_JZNS1_25segmented_radix_sort_implINS0_14default_configELb0EPKbPbPKlPlN2at6native12_GLOBAL__N_18offset_tEEE10hipError_tPvRmT1_PNSt15iterator_traitsIS12_E10value_typeET2_T3_PNS13_IS18_E10value_typeET4_jRbjT5_S1E_jjP12ihipStream_tbEUljE_ZNSN_ISO_Lb0ESQ_SR_ST_SU_SY_EESZ_S10_S11_S12_S16_S17_S18_S1B_S1C_jS1D_jS1E_S1E_jjS1G_bEUljE0_EEESZ_S10_S11_S18_S1C_S1E_T6_T7_T9_mT8_S1G_bDpT10_ENKUlT_T0_E_clISt17integral_constantIbLb1EES1U_EEDaS1P_S1Q_EUlS1P_E_NS1_11comp_targetILNS1_3genE8ELNS1_11target_archE1030ELNS1_3gpuE2ELNS1_3repE0EEENS1_30default_config_static_selectorELNS0_4arch9wavefront6targetE0EEEvS12_,"axG",@progbits,_ZN7rocprim17ROCPRIM_400000_NS6detail17trampoline_kernelINS0_13select_configILj256ELj13ELNS0_17block_load_methodE3ELS4_3ELS4_3ELNS0_20block_scan_algorithmE0ELj4294967295EEENS1_25partition_config_selectorILNS1_17partition_subalgoE4EjNS0_10empty_typeEbEEZZNS1_14partition_implILS8_4ELb0ES6_15HIP_vector_typeIjLj2EENS0_17counting_iteratorIjlEEPS9_SG_NS0_5tupleIJPjSI_NS0_16reverse_iteratorISI_EEEEENSH_IJSG_SG_SG_EEES9_SI_JZNS1_25segmented_radix_sort_implINS0_14default_configELb0EPKbPbPKlPlN2at6native12_GLOBAL__N_18offset_tEEE10hipError_tPvRmT1_PNSt15iterator_traitsIS12_E10value_typeET2_T3_PNS13_IS18_E10value_typeET4_jRbjT5_S1E_jjP12ihipStream_tbEUljE_ZNSN_ISO_Lb0ESQ_SR_ST_SU_SY_EESZ_S10_S11_S12_S16_S17_S18_S1B_S1C_jS1D_jS1E_S1E_jjS1G_bEUljE0_EEESZ_S10_S11_S18_S1C_S1E_T6_T7_T9_mT8_S1G_bDpT10_ENKUlT_T0_E_clISt17integral_constantIbLb1EES1U_EEDaS1P_S1Q_EUlS1P_E_NS1_11comp_targetILNS1_3genE8ELNS1_11target_archE1030ELNS1_3gpuE2ELNS1_3repE0EEENS1_30default_config_static_selectorELNS0_4arch9wavefront6targetE0EEEvS12_,comdat
.Lfunc_end1577:
	.size	_ZN7rocprim17ROCPRIM_400000_NS6detail17trampoline_kernelINS0_13select_configILj256ELj13ELNS0_17block_load_methodE3ELS4_3ELS4_3ELNS0_20block_scan_algorithmE0ELj4294967295EEENS1_25partition_config_selectorILNS1_17partition_subalgoE4EjNS0_10empty_typeEbEEZZNS1_14partition_implILS8_4ELb0ES6_15HIP_vector_typeIjLj2EENS0_17counting_iteratorIjlEEPS9_SG_NS0_5tupleIJPjSI_NS0_16reverse_iteratorISI_EEEEENSH_IJSG_SG_SG_EEES9_SI_JZNS1_25segmented_radix_sort_implINS0_14default_configELb0EPKbPbPKlPlN2at6native12_GLOBAL__N_18offset_tEEE10hipError_tPvRmT1_PNSt15iterator_traitsIS12_E10value_typeET2_T3_PNS13_IS18_E10value_typeET4_jRbjT5_S1E_jjP12ihipStream_tbEUljE_ZNSN_ISO_Lb0ESQ_SR_ST_SU_SY_EESZ_S10_S11_S12_S16_S17_S18_S1B_S1C_jS1D_jS1E_S1E_jjS1G_bEUljE0_EEESZ_S10_S11_S18_S1C_S1E_T6_T7_T9_mT8_S1G_bDpT10_ENKUlT_T0_E_clISt17integral_constantIbLb1EES1U_EEDaS1P_S1Q_EUlS1P_E_NS1_11comp_targetILNS1_3genE8ELNS1_11target_archE1030ELNS1_3gpuE2ELNS1_3repE0EEENS1_30default_config_static_selectorELNS0_4arch9wavefront6targetE0EEEvS12_, .Lfunc_end1577-_ZN7rocprim17ROCPRIM_400000_NS6detail17trampoline_kernelINS0_13select_configILj256ELj13ELNS0_17block_load_methodE3ELS4_3ELS4_3ELNS0_20block_scan_algorithmE0ELj4294967295EEENS1_25partition_config_selectorILNS1_17partition_subalgoE4EjNS0_10empty_typeEbEEZZNS1_14partition_implILS8_4ELb0ES6_15HIP_vector_typeIjLj2EENS0_17counting_iteratorIjlEEPS9_SG_NS0_5tupleIJPjSI_NS0_16reverse_iteratorISI_EEEEENSH_IJSG_SG_SG_EEES9_SI_JZNS1_25segmented_radix_sort_implINS0_14default_configELb0EPKbPbPKlPlN2at6native12_GLOBAL__N_18offset_tEEE10hipError_tPvRmT1_PNSt15iterator_traitsIS12_E10value_typeET2_T3_PNS13_IS18_E10value_typeET4_jRbjT5_S1E_jjP12ihipStream_tbEUljE_ZNSN_ISO_Lb0ESQ_SR_ST_SU_SY_EESZ_S10_S11_S12_S16_S17_S18_S1B_S1C_jS1D_jS1E_S1E_jjS1G_bEUljE0_EEESZ_S10_S11_S18_S1C_S1E_T6_T7_T9_mT8_S1G_bDpT10_ENKUlT_T0_E_clISt17integral_constantIbLb1EES1U_EEDaS1P_S1Q_EUlS1P_E_NS1_11comp_targetILNS1_3genE8ELNS1_11target_archE1030ELNS1_3gpuE2ELNS1_3repE0EEENS1_30default_config_static_selectorELNS0_4arch9wavefront6targetE0EEEvS12_
                                        ; -- End function
	.set _ZN7rocprim17ROCPRIM_400000_NS6detail17trampoline_kernelINS0_13select_configILj256ELj13ELNS0_17block_load_methodE3ELS4_3ELS4_3ELNS0_20block_scan_algorithmE0ELj4294967295EEENS1_25partition_config_selectorILNS1_17partition_subalgoE4EjNS0_10empty_typeEbEEZZNS1_14partition_implILS8_4ELb0ES6_15HIP_vector_typeIjLj2EENS0_17counting_iteratorIjlEEPS9_SG_NS0_5tupleIJPjSI_NS0_16reverse_iteratorISI_EEEEENSH_IJSG_SG_SG_EEES9_SI_JZNS1_25segmented_radix_sort_implINS0_14default_configELb0EPKbPbPKlPlN2at6native12_GLOBAL__N_18offset_tEEE10hipError_tPvRmT1_PNSt15iterator_traitsIS12_E10value_typeET2_T3_PNS13_IS18_E10value_typeET4_jRbjT5_S1E_jjP12ihipStream_tbEUljE_ZNSN_ISO_Lb0ESQ_SR_ST_SU_SY_EESZ_S10_S11_S12_S16_S17_S18_S1B_S1C_jS1D_jS1E_S1E_jjS1G_bEUljE0_EEESZ_S10_S11_S18_S1C_S1E_T6_T7_T9_mT8_S1G_bDpT10_ENKUlT_T0_E_clISt17integral_constantIbLb1EES1U_EEDaS1P_S1Q_EUlS1P_E_NS1_11comp_targetILNS1_3genE8ELNS1_11target_archE1030ELNS1_3gpuE2ELNS1_3repE0EEENS1_30default_config_static_selectorELNS0_4arch9wavefront6targetE0EEEvS12_.num_vgpr, 0
	.set _ZN7rocprim17ROCPRIM_400000_NS6detail17trampoline_kernelINS0_13select_configILj256ELj13ELNS0_17block_load_methodE3ELS4_3ELS4_3ELNS0_20block_scan_algorithmE0ELj4294967295EEENS1_25partition_config_selectorILNS1_17partition_subalgoE4EjNS0_10empty_typeEbEEZZNS1_14partition_implILS8_4ELb0ES6_15HIP_vector_typeIjLj2EENS0_17counting_iteratorIjlEEPS9_SG_NS0_5tupleIJPjSI_NS0_16reverse_iteratorISI_EEEEENSH_IJSG_SG_SG_EEES9_SI_JZNS1_25segmented_radix_sort_implINS0_14default_configELb0EPKbPbPKlPlN2at6native12_GLOBAL__N_18offset_tEEE10hipError_tPvRmT1_PNSt15iterator_traitsIS12_E10value_typeET2_T3_PNS13_IS18_E10value_typeET4_jRbjT5_S1E_jjP12ihipStream_tbEUljE_ZNSN_ISO_Lb0ESQ_SR_ST_SU_SY_EESZ_S10_S11_S12_S16_S17_S18_S1B_S1C_jS1D_jS1E_S1E_jjS1G_bEUljE0_EEESZ_S10_S11_S18_S1C_S1E_T6_T7_T9_mT8_S1G_bDpT10_ENKUlT_T0_E_clISt17integral_constantIbLb1EES1U_EEDaS1P_S1Q_EUlS1P_E_NS1_11comp_targetILNS1_3genE8ELNS1_11target_archE1030ELNS1_3gpuE2ELNS1_3repE0EEENS1_30default_config_static_selectorELNS0_4arch9wavefront6targetE0EEEvS12_.num_agpr, 0
	.set _ZN7rocprim17ROCPRIM_400000_NS6detail17trampoline_kernelINS0_13select_configILj256ELj13ELNS0_17block_load_methodE3ELS4_3ELS4_3ELNS0_20block_scan_algorithmE0ELj4294967295EEENS1_25partition_config_selectorILNS1_17partition_subalgoE4EjNS0_10empty_typeEbEEZZNS1_14partition_implILS8_4ELb0ES6_15HIP_vector_typeIjLj2EENS0_17counting_iteratorIjlEEPS9_SG_NS0_5tupleIJPjSI_NS0_16reverse_iteratorISI_EEEEENSH_IJSG_SG_SG_EEES9_SI_JZNS1_25segmented_radix_sort_implINS0_14default_configELb0EPKbPbPKlPlN2at6native12_GLOBAL__N_18offset_tEEE10hipError_tPvRmT1_PNSt15iterator_traitsIS12_E10value_typeET2_T3_PNS13_IS18_E10value_typeET4_jRbjT5_S1E_jjP12ihipStream_tbEUljE_ZNSN_ISO_Lb0ESQ_SR_ST_SU_SY_EESZ_S10_S11_S12_S16_S17_S18_S1B_S1C_jS1D_jS1E_S1E_jjS1G_bEUljE0_EEESZ_S10_S11_S18_S1C_S1E_T6_T7_T9_mT8_S1G_bDpT10_ENKUlT_T0_E_clISt17integral_constantIbLb1EES1U_EEDaS1P_S1Q_EUlS1P_E_NS1_11comp_targetILNS1_3genE8ELNS1_11target_archE1030ELNS1_3gpuE2ELNS1_3repE0EEENS1_30default_config_static_selectorELNS0_4arch9wavefront6targetE0EEEvS12_.numbered_sgpr, 0
	.set _ZN7rocprim17ROCPRIM_400000_NS6detail17trampoline_kernelINS0_13select_configILj256ELj13ELNS0_17block_load_methodE3ELS4_3ELS4_3ELNS0_20block_scan_algorithmE0ELj4294967295EEENS1_25partition_config_selectorILNS1_17partition_subalgoE4EjNS0_10empty_typeEbEEZZNS1_14partition_implILS8_4ELb0ES6_15HIP_vector_typeIjLj2EENS0_17counting_iteratorIjlEEPS9_SG_NS0_5tupleIJPjSI_NS0_16reverse_iteratorISI_EEEEENSH_IJSG_SG_SG_EEES9_SI_JZNS1_25segmented_radix_sort_implINS0_14default_configELb0EPKbPbPKlPlN2at6native12_GLOBAL__N_18offset_tEEE10hipError_tPvRmT1_PNSt15iterator_traitsIS12_E10value_typeET2_T3_PNS13_IS18_E10value_typeET4_jRbjT5_S1E_jjP12ihipStream_tbEUljE_ZNSN_ISO_Lb0ESQ_SR_ST_SU_SY_EESZ_S10_S11_S12_S16_S17_S18_S1B_S1C_jS1D_jS1E_S1E_jjS1G_bEUljE0_EEESZ_S10_S11_S18_S1C_S1E_T6_T7_T9_mT8_S1G_bDpT10_ENKUlT_T0_E_clISt17integral_constantIbLb1EES1U_EEDaS1P_S1Q_EUlS1P_E_NS1_11comp_targetILNS1_3genE8ELNS1_11target_archE1030ELNS1_3gpuE2ELNS1_3repE0EEENS1_30default_config_static_selectorELNS0_4arch9wavefront6targetE0EEEvS12_.num_named_barrier, 0
	.set _ZN7rocprim17ROCPRIM_400000_NS6detail17trampoline_kernelINS0_13select_configILj256ELj13ELNS0_17block_load_methodE3ELS4_3ELS4_3ELNS0_20block_scan_algorithmE0ELj4294967295EEENS1_25partition_config_selectorILNS1_17partition_subalgoE4EjNS0_10empty_typeEbEEZZNS1_14partition_implILS8_4ELb0ES6_15HIP_vector_typeIjLj2EENS0_17counting_iteratorIjlEEPS9_SG_NS0_5tupleIJPjSI_NS0_16reverse_iteratorISI_EEEEENSH_IJSG_SG_SG_EEES9_SI_JZNS1_25segmented_radix_sort_implINS0_14default_configELb0EPKbPbPKlPlN2at6native12_GLOBAL__N_18offset_tEEE10hipError_tPvRmT1_PNSt15iterator_traitsIS12_E10value_typeET2_T3_PNS13_IS18_E10value_typeET4_jRbjT5_S1E_jjP12ihipStream_tbEUljE_ZNSN_ISO_Lb0ESQ_SR_ST_SU_SY_EESZ_S10_S11_S12_S16_S17_S18_S1B_S1C_jS1D_jS1E_S1E_jjS1G_bEUljE0_EEESZ_S10_S11_S18_S1C_S1E_T6_T7_T9_mT8_S1G_bDpT10_ENKUlT_T0_E_clISt17integral_constantIbLb1EES1U_EEDaS1P_S1Q_EUlS1P_E_NS1_11comp_targetILNS1_3genE8ELNS1_11target_archE1030ELNS1_3gpuE2ELNS1_3repE0EEENS1_30default_config_static_selectorELNS0_4arch9wavefront6targetE0EEEvS12_.private_seg_size, 0
	.set _ZN7rocprim17ROCPRIM_400000_NS6detail17trampoline_kernelINS0_13select_configILj256ELj13ELNS0_17block_load_methodE3ELS4_3ELS4_3ELNS0_20block_scan_algorithmE0ELj4294967295EEENS1_25partition_config_selectorILNS1_17partition_subalgoE4EjNS0_10empty_typeEbEEZZNS1_14partition_implILS8_4ELb0ES6_15HIP_vector_typeIjLj2EENS0_17counting_iteratorIjlEEPS9_SG_NS0_5tupleIJPjSI_NS0_16reverse_iteratorISI_EEEEENSH_IJSG_SG_SG_EEES9_SI_JZNS1_25segmented_radix_sort_implINS0_14default_configELb0EPKbPbPKlPlN2at6native12_GLOBAL__N_18offset_tEEE10hipError_tPvRmT1_PNSt15iterator_traitsIS12_E10value_typeET2_T3_PNS13_IS18_E10value_typeET4_jRbjT5_S1E_jjP12ihipStream_tbEUljE_ZNSN_ISO_Lb0ESQ_SR_ST_SU_SY_EESZ_S10_S11_S12_S16_S17_S18_S1B_S1C_jS1D_jS1E_S1E_jjS1G_bEUljE0_EEESZ_S10_S11_S18_S1C_S1E_T6_T7_T9_mT8_S1G_bDpT10_ENKUlT_T0_E_clISt17integral_constantIbLb1EES1U_EEDaS1P_S1Q_EUlS1P_E_NS1_11comp_targetILNS1_3genE8ELNS1_11target_archE1030ELNS1_3gpuE2ELNS1_3repE0EEENS1_30default_config_static_selectorELNS0_4arch9wavefront6targetE0EEEvS12_.uses_vcc, 0
	.set _ZN7rocprim17ROCPRIM_400000_NS6detail17trampoline_kernelINS0_13select_configILj256ELj13ELNS0_17block_load_methodE3ELS4_3ELS4_3ELNS0_20block_scan_algorithmE0ELj4294967295EEENS1_25partition_config_selectorILNS1_17partition_subalgoE4EjNS0_10empty_typeEbEEZZNS1_14partition_implILS8_4ELb0ES6_15HIP_vector_typeIjLj2EENS0_17counting_iteratorIjlEEPS9_SG_NS0_5tupleIJPjSI_NS0_16reverse_iteratorISI_EEEEENSH_IJSG_SG_SG_EEES9_SI_JZNS1_25segmented_radix_sort_implINS0_14default_configELb0EPKbPbPKlPlN2at6native12_GLOBAL__N_18offset_tEEE10hipError_tPvRmT1_PNSt15iterator_traitsIS12_E10value_typeET2_T3_PNS13_IS18_E10value_typeET4_jRbjT5_S1E_jjP12ihipStream_tbEUljE_ZNSN_ISO_Lb0ESQ_SR_ST_SU_SY_EESZ_S10_S11_S12_S16_S17_S18_S1B_S1C_jS1D_jS1E_S1E_jjS1G_bEUljE0_EEESZ_S10_S11_S18_S1C_S1E_T6_T7_T9_mT8_S1G_bDpT10_ENKUlT_T0_E_clISt17integral_constantIbLb1EES1U_EEDaS1P_S1Q_EUlS1P_E_NS1_11comp_targetILNS1_3genE8ELNS1_11target_archE1030ELNS1_3gpuE2ELNS1_3repE0EEENS1_30default_config_static_selectorELNS0_4arch9wavefront6targetE0EEEvS12_.uses_flat_scratch, 0
	.set _ZN7rocprim17ROCPRIM_400000_NS6detail17trampoline_kernelINS0_13select_configILj256ELj13ELNS0_17block_load_methodE3ELS4_3ELS4_3ELNS0_20block_scan_algorithmE0ELj4294967295EEENS1_25partition_config_selectorILNS1_17partition_subalgoE4EjNS0_10empty_typeEbEEZZNS1_14partition_implILS8_4ELb0ES6_15HIP_vector_typeIjLj2EENS0_17counting_iteratorIjlEEPS9_SG_NS0_5tupleIJPjSI_NS0_16reverse_iteratorISI_EEEEENSH_IJSG_SG_SG_EEES9_SI_JZNS1_25segmented_radix_sort_implINS0_14default_configELb0EPKbPbPKlPlN2at6native12_GLOBAL__N_18offset_tEEE10hipError_tPvRmT1_PNSt15iterator_traitsIS12_E10value_typeET2_T3_PNS13_IS18_E10value_typeET4_jRbjT5_S1E_jjP12ihipStream_tbEUljE_ZNSN_ISO_Lb0ESQ_SR_ST_SU_SY_EESZ_S10_S11_S12_S16_S17_S18_S1B_S1C_jS1D_jS1E_S1E_jjS1G_bEUljE0_EEESZ_S10_S11_S18_S1C_S1E_T6_T7_T9_mT8_S1G_bDpT10_ENKUlT_T0_E_clISt17integral_constantIbLb1EES1U_EEDaS1P_S1Q_EUlS1P_E_NS1_11comp_targetILNS1_3genE8ELNS1_11target_archE1030ELNS1_3gpuE2ELNS1_3repE0EEENS1_30default_config_static_selectorELNS0_4arch9wavefront6targetE0EEEvS12_.has_dyn_sized_stack, 0
	.set _ZN7rocprim17ROCPRIM_400000_NS6detail17trampoline_kernelINS0_13select_configILj256ELj13ELNS0_17block_load_methodE3ELS4_3ELS4_3ELNS0_20block_scan_algorithmE0ELj4294967295EEENS1_25partition_config_selectorILNS1_17partition_subalgoE4EjNS0_10empty_typeEbEEZZNS1_14partition_implILS8_4ELb0ES6_15HIP_vector_typeIjLj2EENS0_17counting_iteratorIjlEEPS9_SG_NS0_5tupleIJPjSI_NS0_16reverse_iteratorISI_EEEEENSH_IJSG_SG_SG_EEES9_SI_JZNS1_25segmented_radix_sort_implINS0_14default_configELb0EPKbPbPKlPlN2at6native12_GLOBAL__N_18offset_tEEE10hipError_tPvRmT1_PNSt15iterator_traitsIS12_E10value_typeET2_T3_PNS13_IS18_E10value_typeET4_jRbjT5_S1E_jjP12ihipStream_tbEUljE_ZNSN_ISO_Lb0ESQ_SR_ST_SU_SY_EESZ_S10_S11_S12_S16_S17_S18_S1B_S1C_jS1D_jS1E_S1E_jjS1G_bEUljE0_EEESZ_S10_S11_S18_S1C_S1E_T6_T7_T9_mT8_S1G_bDpT10_ENKUlT_T0_E_clISt17integral_constantIbLb1EES1U_EEDaS1P_S1Q_EUlS1P_E_NS1_11comp_targetILNS1_3genE8ELNS1_11target_archE1030ELNS1_3gpuE2ELNS1_3repE0EEENS1_30default_config_static_selectorELNS0_4arch9wavefront6targetE0EEEvS12_.has_recursion, 0
	.set _ZN7rocprim17ROCPRIM_400000_NS6detail17trampoline_kernelINS0_13select_configILj256ELj13ELNS0_17block_load_methodE3ELS4_3ELS4_3ELNS0_20block_scan_algorithmE0ELj4294967295EEENS1_25partition_config_selectorILNS1_17partition_subalgoE4EjNS0_10empty_typeEbEEZZNS1_14partition_implILS8_4ELb0ES6_15HIP_vector_typeIjLj2EENS0_17counting_iteratorIjlEEPS9_SG_NS0_5tupleIJPjSI_NS0_16reverse_iteratorISI_EEEEENSH_IJSG_SG_SG_EEES9_SI_JZNS1_25segmented_radix_sort_implINS0_14default_configELb0EPKbPbPKlPlN2at6native12_GLOBAL__N_18offset_tEEE10hipError_tPvRmT1_PNSt15iterator_traitsIS12_E10value_typeET2_T3_PNS13_IS18_E10value_typeET4_jRbjT5_S1E_jjP12ihipStream_tbEUljE_ZNSN_ISO_Lb0ESQ_SR_ST_SU_SY_EESZ_S10_S11_S12_S16_S17_S18_S1B_S1C_jS1D_jS1E_S1E_jjS1G_bEUljE0_EEESZ_S10_S11_S18_S1C_S1E_T6_T7_T9_mT8_S1G_bDpT10_ENKUlT_T0_E_clISt17integral_constantIbLb1EES1U_EEDaS1P_S1Q_EUlS1P_E_NS1_11comp_targetILNS1_3genE8ELNS1_11target_archE1030ELNS1_3gpuE2ELNS1_3repE0EEENS1_30default_config_static_selectorELNS0_4arch9wavefront6targetE0EEEvS12_.has_indirect_call, 0
	.section	.AMDGPU.csdata,"",@progbits
; Kernel info:
; codeLenInByte = 4
; TotalNumSgprs: 0
; NumVgprs: 0
; ScratchSize: 0
; MemoryBound: 0
; FloatMode: 240
; IeeeMode: 1
; LDSByteSize: 0 bytes/workgroup (compile time only)
; SGPRBlocks: 0
; VGPRBlocks: 0
; NumSGPRsForWavesPerEU: 1
; NumVGPRsForWavesPerEU: 1
; Occupancy: 16
; WaveLimiterHint : 0
; COMPUTE_PGM_RSRC2:SCRATCH_EN: 0
; COMPUTE_PGM_RSRC2:USER_SGPR: 6
; COMPUTE_PGM_RSRC2:TRAP_HANDLER: 0
; COMPUTE_PGM_RSRC2:TGID_X_EN: 1
; COMPUTE_PGM_RSRC2:TGID_Y_EN: 0
; COMPUTE_PGM_RSRC2:TGID_Z_EN: 0
; COMPUTE_PGM_RSRC2:TIDIG_COMP_CNT: 0
	.section	.text._ZN7rocprim17ROCPRIM_400000_NS6detail17trampoline_kernelINS0_13select_configILj256ELj13ELNS0_17block_load_methodE3ELS4_3ELS4_3ELNS0_20block_scan_algorithmE0ELj4294967295EEENS1_25partition_config_selectorILNS1_17partition_subalgoE4EjNS0_10empty_typeEbEEZZNS1_14partition_implILS8_4ELb0ES6_15HIP_vector_typeIjLj2EENS0_17counting_iteratorIjlEEPS9_SG_NS0_5tupleIJPjSI_NS0_16reverse_iteratorISI_EEEEENSH_IJSG_SG_SG_EEES9_SI_JZNS1_25segmented_radix_sort_implINS0_14default_configELb0EPKbPbPKlPlN2at6native12_GLOBAL__N_18offset_tEEE10hipError_tPvRmT1_PNSt15iterator_traitsIS12_E10value_typeET2_T3_PNS13_IS18_E10value_typeET4_jRbjT5_S1E_jjP12ihipStream_tbEUljE_ZNSN_ISO_Lb0ESQ_SR_ST_SU_SY_EESZ_S10_S11_S12_S16_S17_S18_S1B_S1C_jS1D_jS1E_S1E_jjS1G_bEUljE0_EEESZ_S10_S11_S18_S1C_S1E_T6_T7_T9_mT8_S1G_bDpT10_ENKUlT_T0_E_clISt17integral_constantIbLb1EES1T_IbLb0EEEEDaS1P_S1Q_EUlS1P_E_NS1_11comp_targetILNS1_3genE0ELNS1_11target_archE4294967295ELNS1_3gpuE0ELNS1_3repE0EEENS1_30default_config_static_selectorELNS0_4arch9wavefront6targetE0EEEvS12_,"axG",@progbits,_ZN7rocprim17ROCPRIM_400000_NS6detail17trampoline_kernelINS0_13select_configILj256ELj13ELNS0_17block_load_methodE3ELS4_3ELS4_3ELNS0_20block_scan_algorithmE0ELj4294967295EEENS1_25partition_config_selectorILNS1_17partition_subalgoE4EjNS0_10empty_typeEbEEZZNS1_14partition_implILS8_4ELb0ES6_15HIP_vector_typeIjLj2EENS0_17counting_iteratorIjlEEPS9_SG_NS0_5tupleIJPjSI_NS0_16reverse_iteratorISI_EEEEENSH_IJSG_SG_SG_EEES9_SI_JZNS1_25segmented_radix_sort_implINS0_14default_configELb0EPKbPbPKlPlN2at6native12_GLOBAL__N_18offset_tEEE10hipError_tPvRmT1_PNSt15iterator_traitsIS12_E10value_typeET2_T3_PNS13_IS18_E10value_typeET4_jRbjT5_S1E_jjP12ihipStream_tbEUljE_ZNSN_ISO_Lb0ESQ_SR_ST_SU_SY_EESZ_S10_S11_S12_S16_S17_S18_S1B_S1C_jS1D_jS1E_S1E_jjS1G_bEUljE0_EEESZ_S10_S11_S18_S1C_S1E_T6_T7_T9_mT8_S1G_bDpT10_ENKUlT_T0_E_clISt17integral_constantIbLb1EES1T_IbLb0EEEEDaS1P_S1Q_EUlS1P_E_NS1_11comp_targetILNS1_3genE0ELNS1_11target_archE4294967295ELNS1_3gpuE0ELNS1_3repE0EEENS1_30default_config_static_selectorELNS0_4arch9wavefront6targetE0EEEvS12_,comdat
	.globl	_ZN7rocprim17ROCPRIM_400000_NS6detail17trampoline_kernelINS0_13select_configILj256ELj13ELNS0_17block_load_methodE3ELS4_3ELS4_3ELNS0_20block_scan_algorithmE0ELj4294967295EEENS1_25partition_config_selectorILNS1_17partition_subalgoE4EjNS0_10empty_typeEbEEZZNS1_14partition_implILS8_4ELb0ES6_15HIP_vector_typeIjLj2EENS0_17counting_iteratorIjlEEPS9_SG_NS0_5tupleIJPjSI_NS0_16reverse_iteratorISI_EEEEENSH_IJSG_SG_SG_EEES9_SI_JZNS1_25segmented_radix_sort_implINS0_14default_configELb0EPKbPbPKlPlN2at6native12_GLOBAL__N_18offset_tEEE10hipError_tPvRmT1_PNSt15iterator_traitsIS12_E10value_typeET2_T3_PNS13_IS18_E10value_typeET4_jRbjT5_S1E_jjP12ihipStream_tbEUljE_ZNSN_ISO_Lb0ESQ_SR_ST_SU_SY_EESZ_S10_S11_S12_S16_S17_S18_S1B_S1C_jS1D_jS1E_S1E_jjS1G_bEUljE0_EEESZ_S10_S11_S18_S1C_S1E_T6_T7_T9_mT8_S1G_bDpT10_ENKUlT_T0_E_clISt17integral_constantIbLb1EES1T_IbLb0EEEEDaS1P_S1Q_EUlS1P_E_NS1_11comp_targetILNS1_3genE0ELNS1_11target_archE4294967295ELNS1_3gpuE0ELNS1_3repE0EEENS1_30default_config_static_selectorELNS0_4arch9wavefront6targetE0EEEvS12_ ; -- Begin function _ZN7rocprim17ROCPRIM_400000_NS6detail17trampoline_kernelINS0_13select_configILj256ELj13ELNS0_17block_load_methodE3ELS4_3ELS4_3ELNS0_20block_scan_algorithmE0ELj4294967295EEENS1_25partition_config_selectorILNS1_17partition_subalgoE4EjNS0_10empty_typeEbEEZZNS1_14partition_implILS8_4ELb0ES6_15HIP_vector_typeIjLj2EENS0_17counting_iteratorIjlEEPS9_SG_NS0_5tupleIJPjSI_NS0_16reverse_iteratorISI_EEEEENSH_IJSG_SG_SG_EEES9_SI_JZNS1_25segmented_radix_sort_implINS0_14default_configELb0EPKbPbPKlPlN2at6native12_GLOBAL__N_18offset_tEEE10hipError_tPvRmT1_PNSt15iterator_traitsIS12_E10value_typeET2_T3_PNS13_IS18_E10value_typeET4_jRbjT5_S1E_jjP12ihipStream_tbEUljE_ZNSN_ISO_Lb0ESQ_SR_ST_SU_SY_EESZ_S10_S11_S12_S16_S17_S18_S1B_S1C_jS1D_jS1E_S1E_jjS1G_bEUljE0_EEESZ_S10_S11_S18_S1C_S1E_T6_T7_T9_mT8_S1G_bDpT10_ENKUlT_T0_E_clISt17integral_constantIbLb1EES1T_IbLb0EEEEDaS1P_S1Q_EUlS1P_E_NS1_11comp_targetILNS1_3genE0ELNS1_11target_archE4294967295ELNS1_3gpuE0ELNS1_3repE0EEENS1_30default_config_static_selectorELNS0_4arch9wavefront6targetE0EEEvS12_
	.p2align	8
	.type	_ZN7rocprim17ROCPRIM_400000_NS6detail17trampoline_kernelINS0_13select_configILj256ELj13ELNS0_17block_load_methodE3ELS4_3ELS4_3ELNS0_20block_scan_algorithmE0ELj4294967295EEENS1_25partition_config_selectorILNS1_17partition_subalgoE4EjNS0_10empty_typeEbEEZZNS1_14partition_implILS8_4ELb0ES6_15HIP_vector_typeIjLj2EENS0_17counting_iteratorIjlEEPS9_SG_NS0_5tupleIJPjSI_NS0_16reverse_iteratorISI_EEEEENSH_IJSG_SG_SG_EEES9_SI_JZNS1_25segmented_radix_sort_implINS0_14default_configELb0EPKbPbPKlPlN2at6native12_GLOBAL__N_18offset_tEEE10hipError_tPvRmT1_PNSt15iterator_traitsIS12_E10value_typeET2_T3_PNS13_IS18_E10value_typeET4_jRbjT5_S1E_jjP12ihipStream_tbEUljE_ZNSN_ISO_Lb0ESQ_SR_ST_SU_SY_EESZ_S10_S11_S12_S16_S17_S18_S1B_S1C_jS1D_jS1E_S1E_jjS1G_bEUljE0_EEESZ_S10_S11_S18_S1C_S1E_T6_T7_T9_mT8_S1G_bDpT10_ENKUlT_T0_E_clISt17integral_constantIbLb1EES1T_IbLb0EEEEDaS1P_S1Q_EUlS1P_E_NS1_11comp_targetILNS1_3genE0ELNS1_11target_archE4294967295ELNS1_3gpuE0ELNS1_3repE0EEENS1_30default_config_static_selectorELNS0_4arch9wavefront6targetE0EEEvS12_,@function
_ZN7rocprim17ROCPRIM_400000_NS6detail17trampoline_kernelINS0_13select_configILj256ELj13ELNS0_17block_load_methodE3ELS4_3ELS4_3ELNS0_20block_scan_algorithmE0ELj4294967295EEENS1_25partition_config_selectorILNS1_17partition_subalgoE4EjNS0_10empty_typeEbEEZZNS1_14partition_implILS8_4ELb0ES6_15HIP_vector_typeIjLj2EENS0_17counting_iteratorIjlEEPS9_SG_NS0_5tupleIJPjSI_NS0_16reverse_iteratorISI_EEEEENSH_IJSG_SG_SG_EEES9_SI_JZNS1_25segmented_radix_sort_implINS0_14default_configELb0EPKbPbPKlPlN2at6native12_GLOBAL__N_18offset_tEEE10hipError_tPvRmT1_PNSt15iterator_traitsIS12_E10value_typeET2_T3_PNS13_IS18_E10value_typeET4_jRbjT5_S1E_jjP12ihipStream_tbEUljE_ZNSN_ISO_Lb0ESQ_SR_ST_SU_SY_EESZ_S10_S11_S12_S16_S17_S18_S1B_S1C_jS1D_jS1E_S1E_jjS1G_bEUljE0_EEESZ_S10_S11_S18_S1C_S1E_T6_T7_T9_mT8_S1G_bDpT10_ENKUlT_T0_E_clISt17integral_constantIbLb1EES1T_IbLb0EEEEDaS1P_S1Q_EUlS1P_E_NS1_11comp_targetILNS1_3genE0ELNS1_11target_archE4294967295ELNS1_3gpuE0ELNS1_3repE0EEENS1_30default_config_static_selectorELNS0_4arch9wavefront6targetE0EEEvS12_: ; @_ZN7rocprim17ROCPRIM_400000_NS6detail17trampoline_kernelINS0_13select_configILj256ELj13ELNS0_17block_load_methodE3ELS4_3ELS4_3ELNS0_20block_scan_algorithmE0ELj4294967295EEENS1_25partition_config_selectorILNS1_17partition_subalgoE4EjNS0_10empty_typeEbEEZZNS1_14partition_implILS8_4ELb0ES6_15HIP_vector_typeIjLj2EENS0_17counting_iteratorIjlEEPS9_SG_NS0_5tupleIJPjSI_NS0_16reverse_iteratorISI_EEEEENSH_IJSG_SG_SG_EEES9_SI_JZNS1_25segmented_radix_sort_implINS0_14default_configELb0EPKbPbPKlPlN2at6native12_GLOBAL__N_18offset_tEEE10hipError_tPvRmT1_PNSt15iterator_traitsIS12_E10value_typeET2_T3_PNS13_IS18_E10value_typeET4_jRbjT5_S1E_jjP12ihipStream_tbEUljE_ZNSN_ISO_Lb0ESQ_SR_ST_SU_SY_EESZ_S10_S11_S12_S16_S17_S18_S1B_S1C_jS1D_jS1E_S1E_jjS1G_bEUljE0_EEESZ_S10_S11_S18_S1C_S1E_T6_T7_T9_mT8_S1G_bDpT10_ENKUlT_T0_E_clISt17integral_constantIbLb1EES1T_IbLb0EEEEDaS1P_S1Q_EUlS1P_E_NS1_11comp_targetILNS1_3genE0ELNS1_11target_archE4294967295ELNS1_3gpuE0ELNS1_3repE0EEENS1_30default_config_static_selectorELNS0_4arch9wavefront6targetE0EEEvS12_
; %bb.0:
	.section	.rodata,"a",@progbits
	.p2align	6, 0x0
	.amdhsa_kernel _ZN7rocprim17ROCPRIM_400000_NS6detail17trampoline_kernelINS0_13select_configILj256ELj13ELNS0_17block_load_methodE3ELS4_3ELS4_3ELNS0_20block_scan_algorithmE0ELj4294967295EEENS1_25partition_config_selectorILNS1_17partition_subalgoE4EjNS0_10empty_typeEbEEZZNS1_14partition_implILS8_4ELb0ES6_15HIP_vector_typeIjLj2EENS0_17counting_iteratorIjlEEPS9_SG_NS0_5tupleIJPjSI_NS0_16reverse_iteratorISI_EEEEENSH_IJSG_SG_SG_EEES9_SI_JZNS1_25segmented_radix_sort_implINS0_14default_configELb0EPKbPbPKlPlN2at6native12_GLOBAL__N_18offset_tEEE10hipError_tPvRmT1_PNSt15iterator_traitsIS12_E10value_typeET2_T3_PNS13_IS18_E10value_typeET4_jRbjT5_S1E_jjP12ihipStream_tbEUljE_ZNSN_ISO_Lb0ESQ_SR_ST_SU_SY_EESZ_S10_S11_S12_S16_S17_S18_S1B_S1C_jS1D_jS1E_S1E_jjS1G_bEUljE0_EEESZ_S10_S11_S18_S1C_S1E_T6_T7_T9_mT8_S1G_bDpT10_ENKUlT_T0_E_clISt17integral_constantIbLb1EES1T_IbLb0EEEEDaS1P_S1Q_EUlS1P_E_NS1_11comp_targetILNS1_3genE0ELNS1_11target_archE4294967295ELNS1_3gpuE0ELNS1_3repE0EEENS1_30default_config_static_selectorELNS0_4arch9wavefront6targetE0EEEvS12_
		.amdhsa_group_segment_fixed_size 0
		.amdhsa_private_segment_fixed_size 0
		.amdhsa_kernarg_size 176
		.amdhsa_user_sgpr_count 6
		.amdhsa_user_sgpr_private_segment_buffer 1
		.amdhsa_user_sgpr_dispatch_ptr 0
		.amdhsa_user_sgpr_queue_ptr 0
		.amdhsa_user_sgpr_kernarg_segment_ptr 1
		.amdhsa_user_sgpr_dispatch_id 0
		.amdhsa_user_sgpr_flat_scratch_init 0
		.amdhsa_user_sgpr_private_segment_size 0
		.amdhsa_wavefront_size32 1
		.amdhsa_uses_dynamic_stack 0
		.amdhsa_system_sgpr_private_segment_wavefront_offset 0
		.amdhsa_system_sgpr_workgroup_id_x 1
		.amdhsa_system_sgpr_workgroup_id_y 0
		.amdhsa_system_sgpr_workgroup_id_z 0
		.amdhsa_system_sgpr_workgroup_info 0
		.amdhsa_system_vgpr_workitem_id 0
		.amdhsa_next_free_vgpr 1
		.amdhsa_next_free_sgpr 1
		.amdhsa_reserve_vcc 0
		.amdhsa_reserve_flat_scratch 0
		.amdhsa_float_round_mode_32 0
		.amdhsa_float_round_mode_16_64 0
		.amdhsa_float_denorm_mode_32 3
		.amdhsa_float_denorm_mode_16_64 3
		.amdhsa_dx10_clamp 1
		.amdhsa_ieee_mode 1
		.amdhsa_fp16_overflow 0
		.amdhsa_workgroup_processor_mode 1
		.amdhsa_memory_ordered 1
		.amdhsa_forward_progress 1
		.amdhsa_shared_vgpr_count 0
		.amdhsa_exception_fp_ieee_invalid_op 0
		.amdhsa_exception_fp_denorm_src 0
		.amdhsa_exception_fp_ieee_div_zero 0
		.amdhsa_exception_fp_ieee_overflow 0
		.amdhsa_exception_fp_ieee_underflow 0
		.amdhsa_exception_fp_ieee_inexact 0
		.amdhsa_exception_int_div_zero 0
	.end_amdhsa_kernel
	.section	.text._ZN7rocprim17ROCPRIM_400000_NS6detail17trampoline_kernelINS0_13select_configILj256ELj13ELNS0_17block_load_methodE3ELS4_3ELS4_3ELNS0_20block_scan_algorithmE0ELj4294967295EEENS1_25partition_config_selectorILNS1_17partition_subalgoE4EjNS0_10empty_typeEbEEZZNS1_14partition_implILS8_4ELb0ES6_15HIP_vector_typeIjLj2EENS0_17counting_iteratorIjlEEPS9_SG_NS0_5tupleIJPjSI_NS0_16reverse_iteratorISI_EEEEENSH_IJSG_SG_SG_EEES9_SI_JZNS1_25segmented_radix_sort_implINS0_14default_configELb0EPKbPbPKlPlN2at6native12_GLOBAL__N_18offset_tEEE10hipError_tPvRmT1_PNSt15iterator_traitsIS12_E10value_typeET2_T3_PNS13_IS18_E10value_typeET4_jRbjT5_S1E_jjP12ihipStream_tbEUljE_ZNSN_ISO_Lb0ESQ_SR_ST_SU_SY_EESZ_S10_S11_S12_S16_S17_S18_S1B_S1C_jS1D_jS1E_S1E_jjS1G_bEUljE0_EEESZ_S10_S11_S18_S1C_S1E_T6_T7_T9_mT8_S1G_bDpT10_ENKUlT_T0_E_clISt17integral_constantIbLb1EES1T_IbLb0EEEEDaS1P_S1Q_EUlS1P_E_NS1_11comp_targetILNS1_3genE0ELNS1_11target_archE4294967295ELNS1_3gpuE0ELNS1_3repE0EEENS1_30default_config_static_selectorELNS0_4arch9wavefront6targetE0EEEvS12_,"axG",@progbits,_ZN7rocprim17ROCPRIM_400000_NS6detail17trampoline_kernelINS0_13select_configILj256ELj13ELNS0_17block_load_methodE3ELS4_3ELS4_3ELNS0_20block_scan_algorithmE0ELj4294967295EEENS1_25partition_config_selectorILNS1_17partition_subalgoE4EjNS0_10empty_typeEbEEZZNS1_14partition_implILS8_4ELb0ES6_15HIP_vector_typeIjLj2EENS0_17counting_iteratorIjlEEPS9_SG_NS0_5tupleIJPjSI_NS0_16reverse_iteratorISI_EEEEENSH_IJSG_SG_SG_EEES9_SI_JZNS1_25segmented_radix_sort_implINS0_14default_configELb0EPKbPbPKlPlN2at6native12_GLOBAL__N_18offset_tEEE10hipError_tPvRmT1_PNSt15iterator_traitsIS12_E10value_typeET2_T3_PNS13_IS18_E10value_typeET4_jRbjT5_S1E_jjP12ihipStream_tbEUljE_ZNSN_ISO_Lb0ESQ_SR_ST_SU_SY_EESZ_S10_S11_S12_S16_S17_S18_S1B_S1C_jS1D_jS1E_S1E_jjS1G_bEUljE0_EEESZ_S10_S11_S18_S1C_S1E_T6_T7_T9_mT8_S1G_bDpT10_ENKUlT_T0_E_clISt17integral_constantIbLb1EES1T_IbLb0EEEEDaS1P_S1Q_EUlS1P_E_NS1_11comp_targetILNS1_3genE0ELNS1_11target_archE4294967295ELNS1_3gpuE0ELNS1_3repE0EEENS1_30default_config_static_selectorELNS0_4arch9wavefront6targetE0EEEvS12_,comdat
.Lfunc_end1578:
	.size	_ZN7rocprim17ROCPRIM_400000_NS6detail17trampoline_kernelINS0_13select_configILj256ELj13ELNS0_17block_load_methodE3ELS4_3ELS4_3ELNS0_20block_scan_algorithmE0ELj4294967295EEENS1_25partition_config_selectorILNS1_17partition_subalgoE4EjNS0_10empty_typeEbEEZZNS1_14partition_implILS8_4ELb0ES6_15HIP_vector_typeIjLj2EENS0_17counting_iteratorIjlEEPS9_SG_NS0_5tupleIJPjSI_NS0_16reverse_iteratorISI_EEEEENSH_IJSG_SG_SG_EEES9_SI_JZNS1_25segmented_radix_sort_implINS0_14default_configELb0EPKbPbPKlPlN2at6native12_GLOBAL__N_18offset_tEEE10hipError_tPvRmT1_PNSt15iterator_traitsIS12_E10value_typeET2_T3_PNS13_IS18_E10value_typeET4_jRbjT5_S1E_jjP12ihipStream_tbEUljE_ZNSN_ISO_Lb0ESQ_SR_ST_SU_SY_EESZ_S10_S11_S12_S16_S17_S18_S1B_S1C_jS1D_jS1E_S1E_jjS1G_bEUljE0_EEESZ_S10_S11_S18_S1C_S1E_T6_T7_T9_mT8_S1G_bDpT10_ENKUlT_T0_E_clISt17integral_constantIbLb1EES1T_IbLb0EEEEDaS1P_S1Q_EUlS1P_E_NS1_11comp_targetILNS1_3genE0ELNS1_11target_archE4294967295ELNS1_3gpuE0ELNS1_3repE0EEENS1_30default_config_static_selectorELNS0_4arch9wavefront6targetE0EEEvS12_, .Lfunc_end1578-_ZN7rocprim17ROCPRIM_400000_NS6detail17trampoline_kernelINS0_13select_configILj256ELj13ELNS0_17block_load_methodE3ELS4_3ELS4_3ELNS0_20block_scan_algorithmE0ELj4294967295EEENS1_25partition_config_selectorILNS1_17partition_subalgoE4EjNS0_10empty_typeEbEEZZNS1_14partition_implILS8_4ELb0ES6_15HIP_vector_typeIjLj2EENS0_17counting_iteratorIjlEEPS9_SG_NS0_5tupleIJPjSI_NS0_16reverse_iteratorISI_EEEEENSH_IJSG_SG_SG_EEES9_SI_JZNS1_25segmented_radix_sort_implINS0_14default_configELb0EPKbPbPKlPlN2at6native12_GLOBAL__N_18offset_tEEE10hipError_tPvRmT1_PNSt15iterator_traitsIS12_E10value_typeET2_T3_PNS13_IS18_E10value_typeET4_jRbjT5_S1E_jjP12ihipStream_tbEUljE_ZNSN_ISO_Lb0ESQ_SR_ST_SU_SY_EESZ_S10_S11_S12_S16_S17_S18_S1B_S1C_jS1D_jS1E_S1E_jjS1G_bEUljE0_EEESZ_S10_S11_S18_S1C_S1E_T6_T7_T9_mT8_S1G_bDpT10_ENKUlT_T0_E_clISt17integral_constantIbLb1EES1T_IbLb0EEEEDaS1P_S1Q_EUlS1P_E_NS1_11comp_targetILNS1_3genE0ELNS1_11target_archE4294967295ELNS1_3gpuE0ELNS1_3repE0EEENS1_30default_config_static_selectorELNS0_4arch9wavefront6targetE0EEEvS12_
                                        ; -- End function
	.set _ZN7rocprim17ROCPRIM_400000_NS6detail17trampoline_kernelINS0_13select_configILj256ELj13ELNS0_17block_load_methodE3ELS4_3ELS4_3ELNS0_20block_scan_algorithmE0ELj4294967295EEENS1_25partition_config_selectorILNS1_17partition_subalgoE4EjNS0_10empty_typeEbEEZZNS1_14partition_implILS8_4ELb0ES6_15HIP_vector_typeIjLj2EENS0_17counting_iteratorIjlEEPS9_SG_NS0_5tupleIJPjSI_NS0_16reverse_iteratorISI_EEEEENSH_IJSG_SG_SG_EEES9_SI_JZNS1_25segmented_radix_sort_implINS0_14default_configELb0EPKbPbPKlPlN2at6native12_GLOBAL__N_18offset_tEEE10hipError_tPvRmT1_PNSt15iterator_traitsIS12_E10value_typeET2_T3_PNS13_IS18_E10value_typeET4_jRbjT5_S1E_jjP12ihipStream_tbEUljE_ZNSN_ISO_Lb0ESQ_SR_ST_SU_SY_EESZ_S10_S11_S12_S16_S17_S18_S1B_S1C_jS1D_jS1E_S1E_jjS1G_bEUljE0_EEESZ_S10_S11_S18_S1C_S1E_T6_T7_T9_mT8_S1G_bDpT10_ENKUlT_T0_E_clISt17integral_constantIbLb1EES1T_IbLb0EEEEDaS1P_S1Q_EUlS1P_E_NS1_11comp_targetILNS1_3genE0ELNS1_11target_archE4294967295ELNS1_3gpuE0ELNS1_3repE0EEENS1_30default_config_static_selectorELNS0_4arch9wavefront6targetE0EEEvS12_.num_vgpr, 0
	.set _ZN7rocprim17ROCPRIM_400000_NS6detail17trampoline_kernelINS0_13select_configILj256ELj13ELNS0_17block_load_methodE3ELS4_3ELS4_3ELNS0_20block_scan_algorithmE0ELj4294967295EEENS1_25partition_config_selectorILNS1_17partition_subalgoE4EjNS0_10empty_typeEbEEZZNS1_14partition_implILS8_4ELb0ES6_15HIP_vector_typeIjLj2EENS0_17counting_iteratorIjlEEPS9_SG_NS0_5tupleIJPjSI_NS0_16reverse_iteratorISI_EEEEENSH_IJSG_SG_SG_EEES9_SI_JZNS1_25segmented_radix_sort_implINS0_14default_configELb0EPKbPbPKlPlN2at6native12_GLOBAL__N_18offset_tEEE10hipError_tPvRmT1_PNSt15iterator_traitsIS12_E10value_typeET2_T3_PNS13_IS18_E10value_typeET4_jRbjT5_S1E_jjP12ihipStream_tbEUljE_ZNSN_ISO_Lb0ESQ_SR_ST_SU_SY_EESZ_S10_S11_S12_S16_S17_S18_S1B_S1C_jS1D_jS1E_S1E_jjS1G_bEUljE0_EEESZ_S10_S11_S18_S1C_S1E_T6_T7_T9_mT8_S1G_bDpT10_ENKUlT_T0_E_clISt17integral_constantIbLb1EES1T_IbLb0EEEEDaS1P_S1Q_EUlS1P_E_NS1_11comp_targetILNS1_3genE0ELNS1_11target_archE4294967295ELNS1_3gpuE0ELNS1_3repE0EEENS1_30default_config_static_selectorELNS0_4arch9wavefront6targetE0EEEvS12_.num_agpr, 0
	.set _ZN7rocprim17ROCPRIM_400000_NS6detail17trampoline_kernelINS0_13select_configILj256ELj13ELNS0_17block_load_methodE3ELS4_3ELS4_3ELNS0_20block_scan_algorithmE0ELj4294967295EEENS1_25partition_config_selectorILNS1_17partition_subalgoE4EjNS0_10empty_typeEbEEZZNS1_14partition_implILS8_4ELb0ES6_15HIP_vector_typeIjLj2EENS0_17counting_iteratorIjlEEPS9_SG_NS0_5tupleIJPjSI_NS0_16reverse_iteratorISI_EEEEENSH_IJSG_SG_SG_EEES9_SI_JZNS1_25segmented_radix_sort_implINS0_14default_configELb0EPKbPbPKlPlN2at6native12_GLOBAL__N_18offset_tEEE10hipError_tPvRmT1_PNSt15iterator_traitsIS12_E10value_typeET2_T3_PNS13_IS18_E10value_typeET4_jRbjT5_S1E_jjP12ihipStream_tbEUljE_ZNSN_ISO_Lb0ESQ_SR_ST_SU_SY_EESZ_S10_S11_S12_S16_S17_S18_S1B_S1C_jS1D_jS1E_S1E_jjS1G_bEUljE0_EEESZ_S10_S11_S18_S1C_S1E_T6_T7_T9_mT8_S1G_bDpT10_ENKUlT_T0_E_clISt17integral_constantIbLb1EES1T_IbLb0EEEEDaS1P_S1Q_EUlS1P_E_NS1_11comp_targetILNS1_3genE0ELNS1_11target_archE4294967295ELNS1_3gpuE0ELNS1_3repE0EEENS1_30default_config_static_selectorELNS0_4arch9wavefront6targetE0EEEvS12_.numbered_sgpr, 0
	.set _ZN7rocprim17ROCPRIM_400000_NS6detail17trampoline_kernelINS0_13select_configILj256ELj13ELNS0_17block_load_methodE3ELS4_3ELS4_3ELNS0_20block_scan_algorithmE0ELj4294967295EEENS1_25partition_config_selectorILNS1_17partition_subalgoE4EjNS0_10empty_typeEbEEZZNS1_14partition_implILS8_4ELb0ES6_15HIP_vector_typeIjLj2EENS0_17counting_iteratorIjlEEPS9_SG_NS0_5tupleIJPjSI_NS0_16reverse_iteratorISI_EEEEENSH_IJSG_SG_SG_EEES9_SI_JZNS1_25segmented_radix_sort_implINS0_14default_configELb0EPKbPbPKlPlN2at6native12_GLOBAL__N_18offset_tEEE10hipError_tPvRmT1_PNSt15iterator_traitsIS12_E10value_typeET2_T3_PNS13_IS18_E10value_typeET4_jRbjT5_S1E_jjP12ihipStream_tbEUljE_ZNSN_ISO_Lb0ESQ_SR_ST_SU_SY_EESZ_S10_S11_S12_S16_S17_S18_S1B_S1C_jS1D_jS1E_S1E_jjS1G_bEUljE0_EEESZ_S10_S11_S18_S1C_S1E_T6_T7_T9_mT8_S1G_bDpT10_ENKUlT_T0_E_clISt17integral_constantIbLb1EES1T_IbLb0EEEEDaS1P_S1Q_EUlS1P_E_NS1_11comp_targetILNS1_3genE0ELNS1_11target_archE4294967295ELNS1_3gpuE0ELNS1_3repE0EEENS1_30default_config_static_selectorELNS0_4arch9wavefront6targetE0EEEvS12_.num_named_barrier, 0
	.set _ZN7rocprim17ROCPRIM_400000_NS6detail17trampoline_kernelINS0_13select_configILj256ELj13ELNS0_17block_load_methodE3ELS4_3ELS4_3ELNS0_20block_scan_algorithmE0ELj4294967295EEENS1_25partition_config_selectorILNS1_17partition_subalgoE4EjNS0_10empty_typeEbEEZZNS1_14partition_implILS8_4ELb0ES6_15HIP_vector_typeIjLj2EENS0_17counting_iteratorIjlEEPS9_SG_NS0_5tupleIJPjSI_NS0_16reverse_iteratorISI_EEEEENSH_IJSG_SG_SG_EEES9_SI_JZNS1_25segmented_radix_sort_implINS0_14default_configELb0EPKbPbPKlPlN2at6native12_GLOBAL__N_18offset_tEEE10hipError_tPvRmT1_PNSt15iterator_traitsIS12_E10value_typeET2_T3_PNS13_IS18_E10value_typeET4_jRbjT5_S1E_jjP12ihipStream_tbEUljE_ZNSN_ISO_Lb0ESQ_SR_ST_SU_SY_EESZ_S10_S11_S12_S16_S17_S18_S1B_S1C_jS1D_jS1E_S1E_jjS1G_bEUljE0_EEESZ_S10_S11_S18_S1C_S1E_T6_T7_T9_mT8_S1G_bDpT10_ENKUlT_T0_E_clISt17integral_constantIbLb1EES1T_IbLb0EEEEDaS1P_S1Q_EUlS1P_E_NS1_11comp_targetILNS1_3genE0ELNS1_11target_archE4294967295ELNS1_3gpuE0ELNS1_3repE0EEENS1_30default_config_static_selectorELNS0_4arch9wavefront6targetE0EEEvS12_.private_seg_size, 0
	.set _ZN7rocprim17ROCPRIM_400000_NS6detail17trampoline_kernelINS0_13select_configILj256ELj13ELNS0_17block_load_methodE3ELS4_3ELS4_3ELNS0_20block_scan_algorithmE0ELj4294967295EEENS1_25partition_config_selectorILNS1_17partition_subalgoE4EjNS0_10empty_typeEbEEZZNS1_14partition_implILS8_4ELb0ES6_15HIP_vector_typeIjLj2EENS0_17counting_iteratorIjlEEPS9_SG_NS0_5tupleIJPjSI_NS0_16reverse_iteratorISI_EEEEENSH_IJSG_SG_SG_EEES9_SI_JZNS1_25segmented_radix_sort_implINS0_14default_configELb0EPKbPbPKlPlN2at6native12_GLOBAL__N_18offset_tEEE10hipError_tPvRmT1_PNSt15iterator_traitsIS12_E10value_typeET2_T3_PNS13_IS18_E10value_typeET4_jRbjT5_S1E_jjP12ihipStream_tbEUljE_ZNSN_ISO_Lb0ESQ_SR_ST_SU_SY_EESZ_S10_S11_S12_S16_S17_S18_S1B_S1C_jS1D_jS1E_S1E_jjS1G_bEUljE0_EEESZ_S10_S11_S18_S1C_S1E_T6_T7_T9_mT8_S1G_bDpT10_ENKUlT_T0_E_clISt17integral_constantIbLb1EES1T_IbLb0EEEEDaS1P_S1Q_EUlS1P_E_NS1_11comp_targetILNS1_3genE0ELNS1_11target_archE4294967295ELNS1_3gpuE0ELNS1_3repE0EEENS1_30default_config_static_selectorELNS0_4arch9wavefront6targetE0EEEvS12_.uses_vcc, 0
	.set _ZN7rocprim17ROCPRIM_400000_NS6detail17trampoline_kernelINS0_13select_configILj256ELj13ELNS0_17block_load_methodE3ELS4_3ELS4_3ELNS0_20block_scan_algorithmE0ELj4294967295EEENS1_25partition_config_selectorILNS1_17partition_subalgoE4EjNS0_10empty_typeEbEEZZNS1_14partition_implILS8_4ELb0ES6_15HIP_vector_typeIjLj2EENS0_17counting_iteratorIjlEEPS9_SG_NS0_5tupleIJPjSI_NS0_16reverse_iteratorISI_EEEEENSH_IJSG_SG_SG_EEES9_SI_JZNS1_25segmented_radix_sort_implINS0_14default_configELb0EPKbPbPKlPlN2at6native12_GLOBAL__N_18offset_tEEE10hipError_tPvRmT1_PNSt15iterator_traitsIS12_E10value_typeET2_T3_PNS13_IS18_E10value_typeET4_jRbjT5_S1E_jjP12ihipStream_tbEUljE_ZNSN_ISO_Lb0ESQ_SR_ST_SU_SY_EESZ_S10_S11_S12_S16_S17_S18_S1B_S1C_jS1D_jS1E_S1E_jjS1G_bEUljE0_EEESZ_S10_S11_S18_S1C_S1E_T6_T7_T9_mT8_S1G_bDpT10_ENKUlT_T0_E_clISt17integral_constantIbLb1EES1T_IbLb0EEEEDaS1P_S1Q_EUlS1P_E_NS1_11comp_targetILNS1_3genE0ELNS1_11target_archE4294967295ELNS1_3gpuE0ELNS1_3repE0EEENS1_30default_config_static_selectorELNS0_4arch9wavefront6targetE0EEEvS12_.uses_flat_scratch, 0
	.set _ZN7rocprim17ROCPRIM_400000_NS6detail17trampoline_kernelINS0_13select_configILj256ELj13ELNS0_17block_load_methodE3ELS4_3ELS4_3ELNS0_20block_scan_algorithmE0ELj4294967295EEENS1_25partition_config_selectorILNS1_17partition_subalgoE4EjNS0_10empty_typeEbEEZZNS1_14partition_implILS8_4ELb0ES6_15HIP_vector_typeIjLj2EENS0_17counting_iteratorIjlEEPS9_SG_NS0_5tupleIJPjSI_NS0_16reverse_iteratorISI_EEEEENSH_IJSG_SG_SG_EEES9_SI_JZNS1_25segmented_radix_sort_implINS0_14default_configELb0EPKbPbPKlPlN2at6native12_GLOBAL__N_18offset_tEEE10hipError_tPvRmT1_PNSt15iterator_traitsIS12_E10value_typeET2_T3_PNS13_IS18_E10value_typeET4_jRbjT5_S1E_jjP12ihipStream_tbEUljE_ZNSN_ISO_Lb0ESQ_SR_ST_SU_SY_EESZ_S10_S11_S12_S16_S17_S18_S1B_S1C_jS1D_jS1E_S1E_jjS1G_bEUljE0_EEESZ_S10_S11_S18_S1C_S1E_T6_T7_T9_mT8_S1G_bDpT10_ENKUlT_T0_E_clISt17integral_constantIbLb1EES1T_IbLb0EEEEDaS1P_S1Q_EUlS1P_E_NS1_11comp_targetILNS1_3genE0ELNS1_11target_archE4294967295ELNS1_3gpuE0ELNS1_3repE0EEENS1_30default_config_static_selectorELNS0_4arch9wavefront6targetE0EEEvS12_.has_dyn_sized_stack, 0
	.set _ZN7rocprim17ROCPRIM_400000_NS6detail17trampoline_kernelINS0_13select_configILj256ELj13ELNS0_17block_load_methodE3ELS4_3ELS4_3ELNS0_20block_scan_algorithmE0ELj4294967295EEENS1_25partition_config_selectorILNS1_17partition_subalgoE4EjNS0_10empty_typeEbEEZZNS1_14partition_implILS8_4ELb0ES6_15HIP_vector_typeIjLj2EENS0_17counting_iteratorIjlEEPS9_SG_NS0_5tupleIJPjSI_NS0_16reverse_iteratorISI_EEEEENSH_IJSG_SG_SG_EEES9_SI_JZNS1_25segmented_radix_sort_implINS0_14default_configELb0EPKbPbPKlPlN2at6native12_GLOBAL__N_18offset_tEEE10hipError_tPvRmT1_PNSt15iterator_traitsIS12_E10value_typeET2_T3_PNS13_IS18_E10value_typeET4_jRbjT5_S1E_jjP12ihipStream_tbEUljE_ZNSN_ISO_Lb0ESQ_SR_ST_SU_SY_EESZ_S10_S11_S12_S16_S17_S18_S1B_S1C_jS1D_jS1E_S1E_jjS1G_bEUljE0_EEESZ_S10_S11_S18_S1C_S1E_T6_T7_T9_mT8_S1G_bDpT10_ENKUlT_T0_E_clISt17integral_constantIbLb1EES1T_IbLb0EEEEDaS1P_S1Q_EUlS1P_E_NS1_11comp_targetILNS1_3genE0ELNS1_11target_archE4294967295ELNS1_3gpuE0ELNS1_3repE0EEENS1_30default_config_static_selectorELNS0_4arch9wavefront6targetE0EEEvS12_.has_recursion, 0
	.set _ZN7rocprim17ROCPRIM_400000_NS6detail17trampoline_kernelINS0_13select_configILj256ELj13ELNS0_17block_load_methodE3ELS4_3ELS4_3ELNS0_20block_scan_algorithmE0ELj4294967295EEENS1_25partition_config_selectorILNS1_17partition_subalgoE4EjNS0_10empty_typeEbEEZZNS1_14partition_implILS8_4ELb0ES6_15HIP_vector_typeIjLj2EENS0_17counting_iteratorIjlEEPS9_SG_NS0_5tupleIJPjSI_NS0_16reverse_iteratorISI_EEEEENSH_IJSG_SG_SG_EEES9_SI_JZNS1_25segmented_radix_sort_implINS0_14default_configELb0EPKbPbPKlPlN2at6native12_GLOBAL__N_18offset_tEEE10hipError_tPvRmT1_PNSt15iterator_traitsIS12_E10value_typeET2_T3_PNS13_IS18_E10value_typeET4_jRbjT5_S1E_jjP12ihipStream_tbEUljE_ZNSN_ISO_Lb0ESQ_SR_ST_SU_SY_EESZ_S10_S11_S12_S16_S17_S18_S1B_S1C_jS1D_jS1E_S1E_jjS1G_bEUljE0_EEESZ_S10_S11_S18_S1C_S1E_T6_T7_T9_mT8_S1G_bDpT10_ENKUlT_T0_E_clISt17integral_constantIbLb1EES1T_IbLb0EEEEDaS1P_S1Q_EUlS1P_E_NS1_11comp_targetILNS1_3genE0ELNS1_11target_archE4294967295ELNS1_3gpuE0ELNS1_3repE0EEENS1_30default_config_static_selectorELNS0_4arch9wavefront6targetE0EEEvS12_.has_indirect_call, 0
	.section	.AMDGPU.csdata,"",@progbits
; Kernel info:
; codeLenInByte = 0
; TotalNumSgprs: 0
; NumVgprs: 0
; ScratchSize: 0
; MemoryBound: 0
; FloatMode: 240
; IeeeMode: 1
; LDSByteSize: 0 bytes/workgroup (compile time only)
; SGPRBlocks: 0
; VGPRBlocks: 0
; NumSGPRsForWavesPerEU: 1
; NumVGPRsForWavesPerEU: 1
; Occupancy: 16
; WaveLimiterHint : 0
; COMPUTE_PGM_RSRC2:SCRATCH_EN: 0
; COMPUTE_PGM_RSRC2:USER_SGPR: 6
; COMPUTE_PGM_RSRC2:TRAP_HANDLER: 0
; COMPUTE_PGM_RSRC2:TGID_X_EN: 1
; COMPUTE_PGM_RSRC2:TGID_Y_EN: 0
; COMPUTE_PGM_RSRC2:TGID_Z_EN: 0
; COMPUTE_PGM_RSRC2:TIDIG_COMP_CNT: 0
	.section	.text._ZN7rocprim17ROCPRIM_400000_NS6detail17trampoline_kernelINS0_13select_configILj256ELj13ELNS0_17block_load_methodE3ELS4_3ELS4_3ELNS0_20block_scan_algorithmE0ELj4294967295EEENS1_25partition_config_selectorILNS1_17partition_subalgoE4EjNS0_10empty_typeEbEEZZNS1_14partition_implILS8_4ELb0ES6_15HIP_vector_typeIjLj2EENS0_17counting_iteratorIjlEEPS9_SG_NS0_5tupleIJPjSI_NS0_16reverse_iteratorISI_EEEEENSH_IJSG_SG_SG_EEES9_SI_JZNS1_25segmented_radix_sort_implINS0_14default_configELb0EPKbPbPKlPlN2at6native12_GLOBAL__N_18offset_tEEE10hipError_tPvRmT1_PNSt15iterator_traitsIS12_E10value_typeET2_T3_PNS13_IS18_E10value_typeET4_jRbjT5_S1E_jjP12ihipStream_tbEUljE_ZNSN_ISO_Lb0ESQ_SR_ST_SU_SY_EESZ_S10_S11_S12_S16_S17_S18_S1B_S1C_jS1D_jS1E_S1E_jjS1G_bEUljE0_EEESZ_S10_S11_S18_S1C_S1E_T6_T7_T9_mT8_S1G_bDpT10_ENKUlT_T0_E_clISt17integral_constantIbLb1EES1T_IbLb0EEEEDaS1P_S1Q_EUlS1P_E_NS1_11comp_targetILNS1_3genE5ELNS1_11target_archE942ELNS1_3gpuE9ELNS1_3repE0EEENS1_30default_config_static_selectorELNS0_4arch9wavefront6targetE0EEEvS12_,"axG",@progbits,_ZN7rocprim17ROCPRIM_400000_NS6detail17trampoline_kernelINS0_13select_configILj256ELj13ELNS0_17block_load_methodE3ELS4_3ELS4_3ELNS0_20block_scan_algorithmE0ELj4294967295EEENS1_25partition_config_selectorILNS1_17partition_subalgoE4EjNS0_10empty_typeEbEEZZNS1_14partition_implILS8_4ELb0ES6_15HIP_vector_typeIjLj2EENS0_17counting_iteratorIjlEEPS9_SG_NS0_5tupleIJPjSI_NS0_16reverse_iteratorISI_EEEEENSH_IJSG_SG_SG_EEES9_SI_JZNS1_25segmented_radix_sort_implINS0_14default_configELb0EPKbPbPKlPlN2at6native12_GLOBAL__N_18offset_tEEE10hipError_tPvRmT1_PNSt15iterator_traitsIS12_E10value_typeET2_T3_PNS13_IS18_E10value_typeET4_jRbjT5_S1E_jjP12ihipStream_tbEUljE_ZNSN_ISO_Lb0ESQ_SR_ST_SU_SY_EESZ_S10_S11_S12_S16_S17_S18_S1B_S1C_jS1D_jS1E_S1E_jjS1G_bEUljE0_EEESZ_S10_S11_S18_S1C_S1E_T6_T7_T9_mT8_S1G_bDpT10_ENKUlT_T0_E_clISt17integral_constantIbLb1EES1T_IbLb0EEEEDaS1P_S1Q_EUlS1P_E_NS1_11comp_targetILNS1_3genE5ELNS1_11target_archE942ELNS1_3gpuE9ELNS1_3repE0EEENS1_30default_config_static_selectorELNS0_4arch9wavefront6targetE0EEEvS12_,comdat
	.globl	_ZN7rocprim17ROCPRIM_400000_NS6detail17trampoline_kernelINS0_13select_configILj256ELj13ELNS0_17block_load_methodE3ELS4_3ELS4_3ELNS0_20block_scan_algorithmE0ELj4294967295EEENS1_25partition_config_selectorILNS1_17partition_subalgoE4EjNS0_10empty_typeEbEEZZNS1_14partition_implILS8_4ELb0ES6_15HIP_vector_typeIjLj2EENS0_17counting_iteratorIjlEEPS9_SG_NS0_5tupleIJPjSI_NS0_16reverse_iteratorISI_EEEEENSH_IJSG_SG_SG_EEES9_SI_JZNS1_25segmented_radix_sort_implINS0_14default_configELb0EPKbPbPKlPlN2at6native12_GLOBAL__N_18offset_tEEE10hipError_tPvRmT1_PNSt15iterator_traitsIS12_E10value_typeET2_T3_PNS13_IS18_E10value_typeET4_jRbjT5_S1E_jjP12ihipStream_tbEUljE_ZNSN_ISO_Lb0ESQ_SR_ST_SU_SY_EESZ_S10_S11_S12_S16_S17_S18_S1B_S1C_jS1D_jS1E_S1E_jjS1G_bEUljE0_EEESZ_S10_S11_S18_S1C_S1E_T6_T7_T9_mT8_S1G_bDpT10_ENKUlT_T0_E_clISt17integral_constantIbLb1EES1T_IbLb0EEEEDaS1P_S1Q_EUlS1P_E_NS1_11comp_targetILNS1_3genE5ELNS1_11target_archE942ELNS1_3gpuE9ELNS1_3repE0EEENS1_30default_config_static_selectorELNS0_4arch9wavefront6targetE0EEEvS12_ ; -- Begin function _ZN7rocprim17ROCPRIM_400000_NS6detail17trampoline_kernelINS0_13select_configILj256ELj13ELNS0_17block_load_methodE3ELS4_3ELS4_3ELNS0_20block_scan_algorithmE0ELj4294967295EEENS1_25partition_config_selectorILNS1_17partition_subalgoE4EjNS0_10empty_typeEbEEZZNS1_14partition_implILS8_4ELb0ES6_15HIP_vector_typeIjLj2EENS0_17counting_iteratorIjlEEPS9_SG_NS0_5tupleIJPjSI_NS0_16reverse_iteratorISI_EEEEENSH_IJSG_SG_SG_EEES9_SI_JZNS1_25segmented_radix_sort_implINS0_14default_configELb0EPKbPbPKlPlN2at6native12_GLOBAL__N_18offset_tEEE10hipError_tPvRmT1_PNSt15iterator_traitsIS12_E10value_typeET2_T3_PNS13_IS18_E10value_typeET4_jRbjT5_S1E_jjP12ihipStream_tbEUljE_ZNSN_ISO_Lb0ESQ_SR_ST_SU_SY_EESZ_S10_S11_S12_S16_S17_S18_S1B_S1C_jS1D_jS1E_S1E_jjS1G_bEUljE0_EEESZ_S10_S11_S18_S1C_S1E_T6_T7_T9_mT8_S1G_bDpT10_ENKUlT_T0_E_clISt17integral_constantIbLb1EES1T_IbLb0EEEEDaS1P_S1Q_EUlS1P_E_NS1_11comp_targetILNS1_3genE5ELNS1_11target_archE942ELNS1_3gpuE9ELNS1_3repE0EEENS1_30default_config_static_selectorELNS0_4arch9wavefront6targetE0EEEvS12_
	.p2align	8
	.type	_ZN7rocprim17ROCPRIM_400000_NS6detail17trampoline_kernelINS0_13select_configILj256ELj13ELNS0_17block_load_methodE3ELS4_3ELS4_3ELNS0_20block_scan_algorithmE0ELj4294967295EEENS1_25partition_config_selectorILNS1_17partition_subalgoE4EjNS0_10empty_typeEbEEZZNS1_14partition_implILS8_4ELb0ES6_15HIP_vector_typeIjLj2EENS0_17counting_iteratorIjlEEPS9_SG_NS0_5tupleIJPjSI_NS0_16reverse_iteratorISI_EEEEENSH_IJSG_SG_SG_EEES9_SI_JZNS1_25segmented_radix_sort_implINS0_14default_configELb0EPKbPbPKlPlN2at6native12_GLOBAL__N_18offset_tEEE10hipError_tPvRmT1_PNSt15iterator_traitsIS12_E10value_typeET2_T3_PNS13_IS18_E10value_typeET4_jRbjT5_S1E_jjP12ihipStream_tbEUljE_ZNSN_ISO_Lb0ESQ_SR_ST_SU_SY_EESZ_S10_S11_S12_S16_S17_S18_S1B_S1C_jS1D_jS1E_S1E_jjS1G_bEUljE0_EEESZ_S10_S11_S18_S1C_S1E_T6_T7_T9_mT8_S1G_bDpT10_ENKUlT_T0_E_clISt17integral_constantIbLb1EES1T_IbLb0EEEEDaS1P_S1Q_EUlS1P_E_NS1_11comp_targetILNS1_3genE5ELNS1_11target_archE942ELNS1_3gpuE9ELNS1_3repE0EEENS1_30default_config_static_selectorELNS0_4arch9wavefront6targetE0EEEvS12_,@function
_ZN7rocprim17ROCPRIM_400000_NS6detail17trampoline_kernelINS0_13select_configILj256ELj13ELNS0_17block_load_methodE3ELS4_3ELS4_3ELNS0_20block_scan_algorithmE0ELj4294967295EEENS1_25partition_config_selectorILNS1_17partition_subalgoE4EjNS0_10empty_typeEbEEZZNS1_14partition_implILS8_4ELb0ES6_15HIP_vector_typeIjLj2EENS0_17counting_iteratorIjlEEPS9_SG_NS0_5tupleIJPjSI_NS0_16reverse_iteratorISI_EEEEENSH_IJSG_SG_SG_EEES9_SI_JZNS1_25segmented_radix_sort_implINS0_14default_configELb0EPKbPbPKlPlN2at6native12_GLOBAL__N_18offset_tEEE10hipError_tPvRmT1_PNSt15iterator_traitsIS12_E10value_typeET2_T3_PNS13_IS18_E10value_typeET4_jRbjT5_S1E_jjP12ihipStream_tbEUljE_ZNSN_ISO_Lb0ESQ_SR_ST_SU_SY_EESZ_S10_S11_S12_S16_S17_S18_S1B_S1C_jS1D_jS1E_S1E_jjS1G_bEUljE0_EEESZ_S10_S11_S18_S1C_S1E_T6_T7_T9_mT8_S1G_bDpT10_ENKUlT_T0_E_clISt17integral_constantIbLb1EES1T_IbLb0EEEEDaS1P_S1Q_EUlS1P_E_NS1_11comp_targetILNS1_3genE5ELNS1_11target_archE942ELNS1_3gpuE9ELNS1_3repE0EEENS1_30default_config_static_selectorELNS0_4arch9wavefront6targetE0EEEvS12_: ; @_ZN7rocprim17ROCPRIM_400000_NS6detail17trampoline_kernelINS0_13select_configILj256ELj13ELNS0_17block_load_methodE3ELS4_3ELS4_3ELNS0_20block_scan_algorithmE0ELj4294967295EEENS1_25partition_config_selectorILNS1_17partition_subalgoE4EjNS0_10empty_typeEbEEZZNS1_14partition_implILS8_4ELb0ES6_15HIP_vector_typeIjLj2EENS0_17counting_iteratorIjlEEPS9_SG_NS0_5tupleIJPjSI_NS0_16reverse_iteratorISI_EEEEENSH_IJSG_SG_SG_EEES9_SI_JZNS1_25segmented_radix_sort_implINS0_14default_configELb0EPKbPbPKlPlN2at6native12_GLOBAL__N_18offset_tEEE10hipError_tPvRmT1_PNSt15iterator_traitsIS12_E10value_typeET2_T3_PNS13_IS18_E10value_typeET4_jRbjT5_S1E_jjP12ihipStream_tbEUljE_ZNSN_ISO_Lb0ESQ_SR_ST_SU_SY_EESZ_S10_S11_S12_S16_S17_S18_S1B_S1C_jS1D_jS1E_S1E_jjS1G_bEUljE0_EEESZ_S10_S11_S18_S1C_S1E_T6_T7_T9_mT8_S1G_bDpT10_ENKUlT_T0_E_clISt17integral_constantIbLb1EES1T_IbLb0EEEEDaS1P_S1Q_EUlS1P_E_NS1_11comp_targetILNS1_3genE5ELNS1_11target_archE942ELNS1_3gpuE9ELNS1_3repE0EEENS1_30default_config_static_selectorELNS0_4arch9wavefront6targetE0EEEvS12_
; %bb.0:
	.section	.rodata,"a",@progbits
	.p2align	6, 0x0
	.amdhsa_kernel _ZN7rocprim17ROCPRIM_400000_NS6detail17trampoline_kernelINS0_13select_configILj256ELj13ELNS0_17block_load_methodE3ELS4_3ELS4_3ELNS0_20block_scan_algorithmE0ELj4294967295EEENS1_25partition_config_selectorILNS1_17partition_subalgoE4EjNS0_10empty_typeEbEEZZNS1_14partition_implILS8_4ELb0ES6_15HIP_vector_typeIjLj2EENS0_17counting_iteratorIjlEEPS9_SG_NS0_5tupleIJPjSI_NS0_16reverse_iteratorISI_EEEEENSH_IJSG_SG_SG_EEES9_SI_JZNS1_25segmented_radix_sort_implINS0_14default_configELb0EPKbPbPKlPlN2at6native12_GLOBAL__N_18offset_tEEE10hipError_tPvRmT1_PNSt15iterator_traitsIS12_E10value_typeET2_T3_PNS13_IS18_E10value_typeET4_jRbjT5_S1E_jjP12ihipStream_tbEUljE_ZNSN_ISO_Lb0ESQ_SR_ST_SU_SY_EESZ_S10_S11_S12_S16_S17_S18_S1B_S1C_jS1D_jS1E_S1E_jjS1G_bEUljE0_EEESZ_S10_S11_S18_S1C_S1E_T6_T7_T9_mT8_S1G_bDpT10_ENKUlT_T0_E_clISt17integral_constantIbLb1EES1T_IbLb0EEEEDaS1P_S1Q_EUlS1P_E_NS1_11comp_targetILNS1_3genE5ELNS1_11target_archE942ELNS1_3gpuE9ELNS1_3repE0EEENS1_30default_config_static_selectorELNS0_4arch9wavefront6targetE0EEEvS12_
		.amdhsa_group_segment_fixed_size 0
		.amdhsa_private_segment_fixed_size 0
		.amdhsa_kernarg_size 176
		.amdhsa_user_sgpr_count 6
		.amdhsa_user_sgpr_private_segment_buffer 1
		.amdhsa_user_sgpr_dispatch_ptr 0
		.amdhsa_user_sgpr_queue_ptr 0
		.amdhsa_user_sgpr_kernarg_segment_ptr 1
		.amdhsa_user_sgpr_dispatch_id 0
		.amdhsa_user_sgpr_flat_scratch_init 0
		.amdhsa_user_sgpr_private_segment_size 0
		.amdhsa_wavefront_size32 1
		.amdhsa_uses_dynamic_stack 0
		.amdhsa_system_sgpr_private_segment_wavefront_offset 0
		.amdhsa_system_sgpr_workgroup_id_x 1
		.amdhsa_system_sgpr_workgroup_id_y 0
		.amdhsa_system_sgpr_workgroup_id_z 0
		.amdhsa_system_sgpr_workgroup_info 0
		.amdhsa_system_vgpr_workitem_id 0
		.amdhsa_next_free_vgpr 1
		.amdhsa_next_free_sgpr 1
		.amdhsa_reserve_vcc 0
		.amdhsa_reserve_flat_scratch 0
		.amdhsa_float_round_mode_32 0
		.amdhsa_float_round_mode_16_64 0
		.amdhsa_float_denorm_mode_32 3
		.amdhsa_float_denorm_mode_16_64 3
		.amdhsa_dx10_clamp 1
		.amdhsa_ieee_mode 1
		.amdhsa_fp16_overflow 0
		.amdhsa_workgroup_processor_mode 1
		.amdhsa_memory_ordered 1
		.amdhsa_forward_progress 1
		.amdhsa_shared_vgpr_count 0
		.amdhsa_exception_fp_ieee_invalid_op 0
		.amdhsa_exception_fp_denorm_src 0
		.amdhsa_exception_fp_ieee_div_zero 0
		.amdhsa_exception_fp_ieee_overflow 0
		.amdhsa_exception_fp_ieee_underflow 0
		.amdhsa_exception_fp_ieee_inexact 0
		.amdhsa_exception_int_div_zero 0
	.end_amdhsa_kernel
	.section	.text._ZN7rocprim17ROCPRIM_400000_NS6detail17trampoline_kernelINS0_13select_configILj256ELj13ELNS0_17block_load_methodE3ELS4_3ELS4_3ELNS0_20block_scan_algorithmE0ELj4294967295EEENS1_25partition_config_selectorILNS1_17partition_subalgoE4EjNS0_10empty_typeEbEEZZNS1_14partition_implILS8_4ELb0ES6_15HIP_vector_typeIjLj2EENS0_17counting_iteratorIjlEEPS9_SG_NS0_5tupleIJPjSI_NS0_16reverse_iteratorISI_EEEEENSH_IJSG_SG_SG_EEES9_SI_JZNS1_25segmented_radix_sort_implINS0_14default_configELb0EPKbPbPKlPlN2at6native12_GLOBAL__N_18offset_tEEE10hipError_tPvRmT1_PNSt15iterator_traitsIS12_E10value_typeET2_T3_PNS13_IS18_E10value_typeET4_jRbjT5_S1E_jjP12ihipStream_tbEUljE_ZNSN_ISO_Lb0ESQ_SR_ST_SU_SY_EESZ_S10_S11_S12_S16_S17_S18_S1B_S1C_jS1D_jS1E_S1E_jjS1G_bEUljE0_EEESZ_S10_S11_S18_S1C_S1E_T6_T7_T9_mT8_S1G_bDpT10_ENKUlT_T0_E_clISt17integral_constantIbLb1EES1T_IbLb0EEEEDaS1P_S1Q_EUlS1P_E_NS1_11comp_targetILNS1_3genE5ELNS1_11target_archE942ELNS1_3gpuE9ELNS1_3repE0EEENS1_30default_config_static_selectorELNS0_4arch9wavefront6targetE0EEEvS12_,"axG",@progbits,_ZN7rocprim17ROCPRIM_400000_NS6detail17trampoline_kernelINS0_13select_configILj256ELj13ELNS0_17block_load_methodE3ELS4_3ELS4_3ELNS0_20block_scan_algorithmE0ELj4294967295EEENS1_25partition_config_selectorILNS1_17partition_subalgoE4EjNS0_10empty_typeEbEEZZNS1_14partition_implILS8_4ELb0ES6_15HIP_vector_typeIjLj2EENS0_17counting_iteratorIjlEEPS9_SG_NS0_5tupleIJPjSI_NS0_16reverse_iteratorISI_EEEEENSH_IJSG_SG_SG_EEES9_SI_JZNS1_25segmented_radix_sort_implINS0_14default_configELb0EPKbPbPKlPlN2at6native12_GLOBAL__N_18offset_tEEE10hipError_tPvRmT1_PNSt15iterator_traitsIS12_E10value_typeET2_T3_PNS13_IS18_E10value_typeET4_jRbjT5_S1E_jjP12ihipStream_tbEUljE_ZNSN_ISO_Lb0ESQ_SR_ST_SU_SY_EESZ_S10_S11_S12_S16_S17_S18_S1B_S1C_jS1D_jS1E_S1E_jjS1G_bEUljE0_EEESZ_S10_S11_S18_S1C_S1E_T6_T7_T9_mT8_S1G_bDpT10_ENKUlT_T0_E_clISt17integral_constantIbLb1EES1T_IbLb0EEEEDaS1P_S1Q_EUlS1P_E_NS1_11comp_targetILNS1_3genE5ELNS1_11target_archE942ELNS1_3gpuE9ELNS1_3repE0EEENS1_30default_config_static_selectorELNS0_4arch9wavefront6targetE0EEEvS12_,comdat
.Lfunc_end1579:
	.size	_ZN7rocprim17ROCPRIM_400000_NS6detail17trampoline_kernelINS0_13select_configILj256ELj13ELNS0_17block_load_methodE3ELS4_3ELS4_3ELNS0_20block_scan_algorithmE0ELj4294967295EEENS1_25partition_config_selectorILNS1_17partition_subalgoE4EjNS0_10empty_typeEbEEZZNS1_14partition_implILS8_4ELb0ES6_15HIP_vector_typeIjLj2EENS0_17counting_iteratorIjlEEPS9_SG_NS0_5tupleIJPjSI_NS0_16reverse_iteratorISI_EEEEENSH_IJSG_SG_SG_EEES9_SI_JZNS1_25segmented_radix_sort_implINS0_14default_configELb0EPKbPbPKlPlN2at6native12_GLOBAL__N_18offset_tEEE10hipError_tPvRmT1_PNSt15iterator_traitsIS12_E10value_typeET2_T3_PNS13_IS18_E10value_typeET4_jRbjT5_S1E_jjP12ihipStream_tbEUljE_ZNSN_ISO_Lb0ESQ_SR_ST_SU_SY_EESZ_S10_S11_S12_S16_S17_S18_S1B_S1C_jS1D_jS1E_S1E_jjS1G_bEUljE0_EEESZ_S10_S11_S18_S1C_S1E_T6_T7_T9_mT8_S1G_bDpT10_ENKUlT_T0_E_clISt17integral_constantIbLb1EES1T_IbLb0EEEEDaS1P_S1Q_EUlS1P_E_NS1_11comp_targetILNS1_3genE5ELNS1_11target_archE942ELNS1_3gpuE9ELNS1_3repE0EEENS1_30default_config_static_selectorELNS0_4arch9wavefront6targetE0EEEvS12_, .Lfunc_end1579-_ZN7rocprim17ROCPRIM_400000_NS6detail17trampoline_kernelINS0_13select_configILj256ELj13ELNS0_17block_load_methodE3ELS4_3ELS4_3ELNS0_20block_scan_algorithmE0ELj4294967295EEENS1_25partition_config_selectorILNS1_17partition_subalgoE4EjNS0_10empty_typeEbEEZZNS1_14partition_implILS8_4ELb0ES6_15HIP_vector_typeIjLj2EENS0_17counting_iteratorIjlEEPS9_SG_NS0_5tupleIJPjSI_NS0_16reverse_iteratorISI_EEEEENSH_IJSG_SG_SG_EEES9_SI_JZNS1_25segmented_radix_sort_implINS0_14default_configELb0EPKbPbPKlPlN2at6native12_GLOBAL__N_18offset_tEEE10hipError_tPvRmT1_PNSt15iterator_traitsIS12_E10value_typeET2_T3_PNS13_IS18_E10value_typeET4_jRbjT5_S1E_jjP12ihipStream_tbEUljE_ZNSN_ISO_Lb0ESQ_SR_ST_SU_SY_EESZ_S10_S11_S12_S16_S17_S18_S1B_S1C_jS1D_jS1E_S1E_jjS1G_bEUljE0_EEESZ_S10_S11_S18_S1C_S1E_T6_T7_T9_mT8_S1G_bDpT10_ENKUlT_T0_E_clISt17integral_constantIbLb1EES1T_IbLb0EEEEDaS1P_S1Q_EUlS1P_E_NS1_11comp_targetILNS1_3genE5ELNS1_11target_archE942ELNS1_3gpuE9ELNS1_3repE0EEENS1_30default_config_static_selectorELNS0_4arch9wavefront6targetE0EEEvS12_
                                        ; -- End function
	.set _ZN7rocprim17ROCPRIM_400000_NS6detail17trampoline_kernelINS0_13select_configILj256ELj13ELNS0_17block_load_methodE3ELS4_3ELS4_3ELNS0_20block_scan_algorithmE0ELj4294967295EEENS1_25partition_config_selectorILNS1_17partition_subalgoE4EjNS0_10empty_typeEbEEZZNS1_14partition_implILS8_4ELb0ES6_15HIP_vector_typeIjLj2EENS0_17counting_iteratorIjlEEPS9_SG_NS0_5tupleIJPjSI_NS0_16reverse_iteratorISI_EEEEENSH_IJSG_SG_SG_EEES9_SI_JZNS1_25segmented_radix_sort_implINS0_14default_configELb0EPKbPbPKlPlN2at6native12_GLOBAL__N_18offset_tEEE10hipError_tPvRmT1_PNSt15iterator_traitsIS12_E10value_typeET2_T3_PNS13_IS18_E10value_typeET4_jRbjT5_S1E_jjP12ihipStream_tbEUljE_ZNSN_ISO_Lb0ESQ_SR_ST_SU_SY_EESZ_S10_S11_S12_S16_S17_S18_S1B_S1C_jS1D_jS1E_S1E_jjS1G_bEUljE0_EEESZ_S10_S11_S18_S1C_S1E_T6_T7_T9_mT8_S1G_bDpT10_ENKUlT_T0_E_clISt17integral_constantIbLb1EES1T_IbLb0EEEEDaS1P_S1Q_EUlS1P_E_NS1_11comp_targetILNS1_3genE5ELNS1_11target_archE942ELNS1_3gpuE9ELNS1_3repE0EEENS1_30default_config_static_selectorELNS0_4arch9wavefront6targetE0EEEvS12_.num_vgpr, 0
	.set _ZN7rocprim17ROCPRIM_400000_NS6detail17trampoline_kernelINS0_13select_configILj256ELj13ELNS0_17block_load_methodE3ELS4_3ELS4_3ELNS0_20block_scan_algorithmE0ELj4294967295EEENS1_25partition_config_selectorILNS1_17partition_subalgoE4EjNS0_10empty_typeEbEEZZNS1_14partition_implILS8_4ELb0ES6_15HIP_vector_typeIjLj2EENS0_17counting_iteratorIjlEEPS9_SG_NS0_5tupleIJPjSI_NS0_16reverse_iteratorISI_EEEEENSH_IJSG_SG_SG_EEES9_SI_JZNS1_25segmented_radix_sort_implINS0_14default_configELb0EPKbPbPKlPlN2at6native12_GLOBAL__N_18offset_tEEE10hipError_tPvRmT1_PNSt15iterator_traitsIS12_E10value_typeET2_T3_PNS13_IS18_E10value_typeET4_jRbjT5_S1E_jjP12ihipStream_tbEUljE_ZNSN_ISO_Lb0ESQ_SR_ST_SU_SY_EESZ_S10_S11_S12_S16_S17_S18_S1B_S1C_jS1D_jS1E_S1E_jjS1G_bEUljE0_EEESZ_S10_S11_S18_S1C_S1E_T6_T7_T9_mT8_S1G_bDpT10_ENKUlT_T0_E_clISt17integral_constantIbLb1EES1T_IbLb0EEEEDaS1P_S1Q_EUlS1P_E_NS1_11comp_targetILNS1_3genE5ELNS1_11target_archE942ELNS1_3gpuE9ELNS1_3repE0EEENS1_30default_config_static_selectorELNS0_4arch9wavefront6targetE0EEEvS12_.num_agpr, 0
	.set _ZN7rocprim17ROCPRIM_400000_NS6detail17trampoline_kernelINS0_13select_configILj256ELj13ELNS0_17block_load_methodE3ELS4_3ELS4_3ELNS0_20block_scan_algorithmE0ELj4294967295EEENS1_25partition_config_selectorILNS1_17partition_subalgoE4EjNS0_10empty_typeEbEEZZNS1_14partition_implILS8_4ELb0ES6_15HIP_vector_typeIjLj2EENS0_17counting_iteratorIjlEEPS9_SG_NS0_5tupleIJPjSI_NS0_16reverse_iteratorISI_EEEEENSH_IJSG_SG_SG_EEES9_SI_JZNS1_25segmented_radix_sort_implINS0_14default_configELb0EPKbPbPKlPlN2at6native12_GLOBAL__N_18offset_tEEE10hipError_tPvRmT1_PNSt15iterator_traitsIS12_E10value_typeET2_T3_PNS13_IS18_E10value_typeET4_jRbjT5_S1E_jjP12ihipStream_tbEUljE_ZNSN_ISO_Lb0ESQ_SR_ST_SU_SY_EESZ_S10_S11_S12_S16_S17_S18_S1B_S1C_jS1D_jS1E_S1E_jjS1G_bEUljE0_EEESZ_S10_S11_S18_S1C_S1E_T6_T7_T9_mT8_S1G_bDpT10_ENKUlT_T0_E_clISt17integral_constantIbLb1EES1T_IbLb0EEEEDaS1P_S1Q_EUlS1P_E_NS1_11comp_targetILNS1_3genE5ELNS1_11target_archE942ELNS1_3gpuE9ELNS1_3repE0EEENS1_30default_config_static_selectorELNS0_4arch9wavefront6targetE0EEEvS12_.numbered_sgpr, 0
	.set _ZN7rocprim17ROCPRIM_400000_NS6detail17trampoline_kernelINS0_13select_configILj256ELj13ELNS0_17block_load_methodE3ELS4_3ELS4_3ELNS0_20block_scan_algorithmE0ELj4294967295EEENS1_25partition_config_selectorILNS1_17partition_subalgoE4EjNS0_10empty_typeEbEEZZNS1_14partition_implILS8_4ELb0ES6_15HIP_vector_typeIjLj2EENS0_17counting_iteratorIjlEEPS9_SG_NS0_5tupleIJPjSI_NS0_16reverse_iteratorISI_EEEEENSH_IJSG_SG_SG_EEES9_SI_JZNS1_25segmented_radix_sort_implINS0_14default_configELb0EPKbPbPKlPlN2at6native12_GLOBAL__N_18offset_tEEE10hipError_tPvRmT1_PNSt15iterator_traitsIS12_E10value_typeET2_T3_PNS13_IS18_E10value_typeET4_jRbjT5_S1E_jjP12ihipStream_tbEUljE_ZNSN_ISO_Lb0ESQ_SR_ST_SU_SY_EESZ_S10_S11_S12_S16_S17_S18_S1B_S1C_jS1D_jS1E_S1E_jjS1G_bEUljE0_EEESZ_S10_S11_S18_S1C_S1E_T6_T7_T9_mT8_S1G_bDpT10_ENKUlT_T0_E_clISt17integral_constantIbLb1EES1T_IbLb0EEEEDaS1P_S1Q_EUlS1P_E_NS1_11comp_targetILNS1_3genE5ELNS1_11target_archE942ELNS1_3gpuE9ELNS1_3repE0EEENS1_30default_config_static_selectorELNS0_4arch9wavefront6targetE0EEEvS12_.num_named_barrier, 0
	.set _ZN7rocprim17ROCPRIM_400000_NS6detail17trampoline_kernelINS0_13select_configILj256ELj13ELNS0_17block_load_methodE3ELS4_3ELS4_3ELNS0_20block_scan_algorithmE0ELj4294967295EEENS1_25partition_config_selectorILNS1_17partition_subalgoE4EjNS0_10empty_typeEbEEZZNS1_14partition_implILS8_4ELb0ES6_15HIP_vector_typeIjLj2EENS0_17counting_iteratorIjlEEPS9_SG_NS0_5tupleIJPjSI_NS0_16reverse_iteratorISI_EEEEENSH_IJSG_SG_SG_EEES9_SI_JZNS1_25segmented_radix_sort_implINS0_14default_configELb0EPKbPbPKlPlN2at6native12_GLOBAL__N_18offset_tEEE10hipError_tPvRmT1_PNSt15iterator_traitsIS12_E10value_typeET2_T3_PNS13_IS18_E10value_typeET4_jRbjT5_S1E_jjP12ihipStream_tbEUljE_ZNSN_ISO_Lb0ESQ_SR_ST_SU_SY_EESZ_S10_S11_S12_S16_S17_S18_S1B_S1C_jS1D_jS1E_S1E_jjS1G_bEUljE0_EEESZ_S10_S11_S18_S1C_S1E_T6_T7_T9_mT8_S1G_bDpT10_ENKUlT_T0_E_clISt17integral_constantIbLb1EES1T_IbLb0EEEEDaS1P_S1Q_EUlS1P_E_NS1_11comp_targetILNS1_3genE5ELNS1_11target_archE942ELNS1_3gpuE9ELNS1_3repE0EEENS1_30default_config_static_selectorELNS0_4arch9wavefront6targetE0EEEvS12_.private_seg_size, 0
	.set _ZN7rocprim17ROCPRIM_400000_NS6detail17trampoline_kernelINS0_13select_configILj256ELj13ELNS0_17block_load_methodE3ELS4_3ELS4_3ELNS0_20block_scan_algorithmE0ELj4294967295EEENS1_25partition_config_selectorILNS1_17partition_subalgoE4EjNS0_10empty_typeEbEEZZNS1_14partition_implILS8_4ELb0ES6_15HIP_vector_typeIjLj2EENS0_17counting_iteratorIjlEEPS9_SG_NS0_5tupleIJPjSI_NS0_16reverse_iteratorISI_EEEEENSH_IJSG_SG_SG_EEES9_SI_JZNS1_25segmented_radix_sort_implINS0_14default_configELb0EPKbPbPKlPlN2at6native12_GLOBAL__N_18offset_tEEE10hipError_tPvRmT1_PNSt15iterator_traitsIS12_E10value_typeET2_T3_PNS13_IS18_E10value_typeET4_jRbjT5_S1E_jjP12ihipStream_tbEUljE_ZNSN_ISO_Lb0ESQ_SR_ST_SU_SY_EESZ_S10_S11_S12_S16_S17_S18_S1B_S1C_jS1D_jS1E_S1E_jjS1G_bEUljE0_EEESZ_S10_S11_S18_S1C_S1E_T6_T7_T9_mT8_S1G_bDpT10_ENKUlT_T0_E_clISt17integral_constantIbLb1EES1T_IbLb0EEEEDaS1P_S1Q_EUlS1P_E_NS1_11comp_targetILNS1_3genE5ELNS1_11target_archE942ELNS1_3gpuE9ELNS1_3repE0EEENS1_30default_config_static_selectorELNS0_4arch9wavefront6targetE0EEEvS12_.uses_vcc, 0
	.set _ZN7rocprim17ROCPRIM_400000_NS6detail17trampoline_kernelINS0_13select_configILj256ELj13ELNS0_17block_load_methodE3ELS4_3ELS4_3ELNS0_20block_scan_algorithmE0ELj4294967295EEENS1_25partition_config_selectorILNS1_17partition_subalgoE4EjNS0_10empty_typeEbEEZZNS1_14partition_implILS8_4ELb0ES6_15HIP_vector_typeIjLj2EENS0_17counting_iteratorIjlEEPS9_SG_NS0_5tupleIJPjSI_NS0_16reverse_iteratorISI_EEEEENSH_IJSG_SG_SG_EEES9_SI_JZNS1_25segmented_radix_sort_implINS0_14default_configELb0EPKbPbPKlPlN2at6native12_GLOBAL__N_18offset_tEEE10hipError_tPvRmT1_PNSt15iterator_traitsIS12_E10value_typeET2_T3_PNS13_IS18_E10value_typeET4_jRbjT5_S1E_jjP12ihipStream_tbEUljE_ZNSN_ISO_Lb0ESQ_SR_ST_SU_SY_EESZ_S10_S11_S12_S16_S17_S18_S1B_S1C_jS1D_jS1E_S1E_jjS1G_bEUljE0_EEESZ_S10_S11_S18_S1C_S1E_T6_T7_T9_mT8_S1G_bDpT10_ENKUlT_T0_E_clISt17integral_constantIbLb1EES1T_IbLb0EEEEDaS1P_S1Q_EUlS1P_E_NS1_11comp_targetILNS1_3genE5ELNS1_11target_archE942ELNS1_3gpuE9ELNS1_3repE0EEENS1_30default_config_static_selectorELNS0_4arch9wavefront6targetE0EEEvS12_.uses_flat_scratch, 0
	.set _ZN7rocprim17ROCPRIM_400000_NS6detail17trampoline_kernelINS0_13select_configILj256ELj13ELNS0_17block_load_methodE3ELS4_3ELS4_3ELNS0_20block_scan_algorithmE0ELj4294967295EEENS1_25partition_config_selectorILNS1_17partition_subalgoE4EjNS0_10empty_typeEbEEZZNS1_14partition_implILS8_4ELb0ES6_15HIP_vector_typeIjLj2EENS0_17counting_iteratorIjlEEPS9_SG_NS0_5tupleIJPjSI_NS0_16reverse_iteratorISI_EEEEENSH_IJSG_SG_SG_EEES9_SI_JZNS1_25segmented_radix_sort_implINS0_14default_configELb0EPKbPbPKlPlN2at6native12_GLOBAL__N_18offset_tEEE10hipError_tPvRmT1_PNSt15iterator_traitsIS12_E10value_typeET2_T3_PNS13_IS18_E10value_typeET4_jRbjT5_S1E_jjP12ihipStream_tbEUljE_ZNSN_ISO_Lb0ESQ_SR_ST_SU_SY_EESZ_S10_S11_S12_S16_S17_S18_S1B_S1C_jS1D_jS1E_S1E_jjS1G_bEUljE0_EEESZ_S10_S11_S18_S1C_S1E_T6_T7_T9_mT8_S1G_bDpT10_ENKUlT_T0_E_clISt17integral_constantIbLb1EES1T_IbLb0EEEEDaS1P_S1Q_EUlS1P_E_NS1_11comp_targetILNS1_3genE5ELNS1_11target_archE942ELNS1_3gpuE9ELNS1_3repE0EEENS1_30default_config_static_selectorELNS0_4arch9wavefront6targetE0EEEvS12_.has_dyn_sized_stack, 0
	.set _ZN7rocprim17ROCPRIM_400000_NS6detail17trampoline_kernelINS0_13select_configILj256ELj13ELNS0_17block_load_methodE3ELS4_3ELS4_3ELNS0_20block_scan_algorithmE0ELj4294967295EEENS1_25partition_config_selectorILNS1_17partition_subalgoE4EjNS0_10empty_typeEbEEZZNS1_14partition_implILS8_4ELb0ES6_15HIP_vector_typeIjLj2EENS0_17counting_iteratorIjlEEPS9_SG_NS0_5tupleIJPjSI_NS0_16reverse_iteratorISI_EEEEENSH_IJSG_SG_SG_EEES9_SI_JZNS1_25segmented_radix_sort_implINS0_14default_configELb0EPKbPbPKlPlN2at6native12_GLOBAL__N_18offset_tEEE10hipError_tPvRmT1_PNSt15iterator_traitsIS12_E10value_typeET2_T3_PNS13_IS18_E10value_typeET4_jRbjT5_S1E_jjP12ihipStream_tbEUljE_ZNSN_ISO_Lb0ESQ_SR_ST_SU_SY_EESZ_S10_S11_S12_S16_S17_S18_S1B_S1C_jS1D_jS1E_S1E_jjS1G_bEUljE0_EEESZ_S10_S11_S18_S1C_S1E_T6_T7_T9_mT8_S1G_bDpT10_ENKUlT_T0_E_clISt17integral_constantIbLb1EES1T_IbLb0EEEEDaS1P_S1Q_EUlS1P_E_NS1_11comp_targetILNS1_3genE5ELNS1_11target_archE942ELNS1_3gpuE9ELNS1_3repE0EEENS1_30default_config_static_selectorELNS0_4arch9wavefront6targetE0EEEvS12_.has_recursion, 0
	.set _ZN7rocprim17ROCPRIM_400000_NS6detail17trampoline_kernelINS0_13select_configILj256ELj13ELNS0_17block_load_methodE3ELS4_3ELS4_3ELNS0_20block_scan_algorithmE0ELj4294967295EEENS1_25partition_config_selectorILNS1_17partition_subalgoE4EjNS0_10empty_typeEbEEZZNS1_14partition_implILS8_4ELb0ES6_15HIP_vector_typeIjLj2EENS0_17counting_iteratorIjlEEPS9_SG_NS0_5tupleIJPjSI_NS0_16reverse_iteratorISI_EEEEENSH_IJSG_SG_SG_EEES9_SI_JZNS1_25segmented_radix_sort_implINS0_14default_configELb0EPKbPbPKlPlN2at6native12_GLOBAL__N_18offset_tEEE10hipError_tPvRmT1_PNSt15iterator_traitsIS12_E10value_typeET2_T3_PNS13_IS18_E10value_typeET4_jRbjT5_S1E_jjP12ihipStream_tbEUljE_ZNSN_ISO_Lb0ESQ_SR_ST_SU_SY_EESZ_S10_S11_S12_S16_S17_S18_S1B_S1C_jS1D_jS1E_S1E_jjS1G_bEUljE0_EEESZ_S10_S11_S18_S1C_S1E_T6_T7_T9_mT8_S1G_bDpT10_ENKUlT_T0_E_clISt17integral_constantIbLb1EES1T_IbLb0EEEEDaS1P_S1Q_EUlS1P_E_NS1_11comp_targetILNS1_3genE5ELNS1_11target_archE942ELNS1_3gpuE9ELNS1_3repE0EEENS1_30default_config_static_selectorELNS0_4arch9wavefront6targetE0EEEvS12_.has_indirect_call, 0
	.section	.AMDGPU.csdata,"",@progbits
; Kernel info:
; codeLenInByte = 0
; TotalNumSgprs: 0
; NumVgprs: 0
; ScratchSize: 0
; MemoryBound: 0
; FloatMode: 240
; IeeeMode: 1
; LDSByteSize: 0 bytes/workgroup (compile time only)
; SGPRBlocks: 0
; VGPRBlocks: 0
; NumSGPRsForWavesPerEU: 1
; NumVGPRsForWavesPerEU: 1
; Occupancy: 16
; WaveLimiterHint : 0
; COMPUTE_PGM_RSRC2:SCRATCH_EN: 0
; COMPUTE_PGM_RSRC2:USER_SGPR: 6
; COMPUTE_PGM_RSRC2:TRAP_HANDLER: 0
; COMPUTE_PGM_RSRC2:TGID_X_EN: 1
; COMPUTE_PGM_RSRC2:TGID_Y_EN: 0
; COMPUTE_PGM_RSRC2:TGID_Z_EN: 0
; COMPUTE_PGM_RSRC2:TIDIG_COMP_CNT: 0
	.section	.text._ZN7rocprim17ROCPRIM_400000_NS6detail17trampoline_kernelINS0_13select_configILj256ELj13ELNS0_17block_load_methodE3ELS4_3ELS4_3ELNS0_20block_scan_algorithmE0ELj4294967295EEENS1_25partition_config_selectorILNS1_17partition_subalgoE4EjNS0_10empty_typeEbEEZZNS1_14partition_implILS8_4ELb0ES6_15HIP_vector_typeIjLj2EENS0_17counting_iteratorIjlEEPS9_SG_NS0_5tupleIJPjSI_NS0_16reverse_iteratorISI_EEEEENSH_IJSG_SG_SG_EEES9_SI_JZNS1_25segmented_radix_sort_implINS0_14default_configELb0EPKbPbPKlPlN2at6native12_GLOBAL__N_18offset_tEEE10hipError_tPvRmT1_PNSt15iterator_traitsIS12_E10value_typeET2_T3_PNS13_IS18_E10value_typeET4_jRbjT5_S1E_jjP12ihipStream_tbEUljE_ZNSN_ISO_Lb0ESQ_SR_ST_SU_SY_EESZ_S10_S11_S12_S16_S17_S18_S1B_S1C_jS1D_jS1E_S1E_jjS1G_bEUljE0_EEESZ_S10_S11_S18_S1C_S1E_T6_T7_T9_mT8_S1G_bDpT10_ENKUlT_T0_E_clISt17integral_constantIbLb1EES1T_IbLb0EEEEDaS1P_S1Q_EUlS1P_E_NS1_11comp_targetILNS1_3genE4ELNS1_11target_archE910ELNS1_3gpuE8ELNS1_3repE0EEENS1_30default_config_static_selectorELNS0_4arch9wavefront6targetE0EEEvS12_,"axG",@progbits,_ZN7rocprim17ROCPRIM_400000_NS6detail17trampoline_kernelINS0_13select_configILj256ELj13ELNS0_17block_load_methodE3ELS4_3ELS4_3ELNS0_20block_scan_algorithmE0ELj4294967295EEENS1_25partition_config_selectorILNS1_17partition_subalgoE4EjNS0_10empty_typeEbEEZZNS1_14partition_implILS8_4ELb0ES6_15HIP_vector_typeIjLj2EENS0_17counting_iteratorIjlEEPS9_SG_NS0_5tupleIJPjSI_NS0_16reverse_iteratorISI_EEEEENSH_IJSG_SG_SG_EEES9_SI_JZNS1_25segmented_radix_sort_implINS0_14default_configELb0EPKbPbPKlPlN2at6native12_GLOBAL__N_18offset_tEEE10hipError_tPvRmT1_PNSt15iterator_traitsIS12_E10value_typeET2_T3_PNS13_IS18_E10value_typeET4_jRbjT5_S1E_jjP12ihipStream_tbEUljE_ZNSN_ISO_Lb0ESQ_SR_ST_SU_SY_EESZ_S10_S11_S12_S16_S17_S18_S1B_S1C_jS1D_jS1E_S1E_jjS1G_bEUljE0_EEESZ_S10_S11_S18_S1C_S1E_T6_T7_T9_mT8_S1G_bDpT10_ENKUlT_T0_E_clISt17integral_constantIbLb1EES1T_IbLb0EEEEDaS1P_S1Q_EUlS1P_E_NS1_11comp_targetILNS1_3genE4ELNS1_11target_archE910ELNS1_3gpuE8ELNS1_3repE0EEENS1_30default_config_static_selectorELNS0_4arch9wavefront6targetE0EEEvS12_,comdat
	.globl	_ZN7rocprim17ROCPRIM_400000_NS6detail17trampoline_kernelINS0_13select_configILj256ELj13ELNS0_17block_load_methodE3ELS4_3ELS4_3ELNS0_20block_scan_algorithmE0ELj4294967295EEENS1_25partition_config_selectorILNS1_17partition_subalgoE4EjNS0_10empty_typeEbEEZZNS1_14partition_implILS8_4ELb0ES6_15HIP_vector_typeIjLj2EENS0_17counting_iteratorIjlEEPS9_SG_NS0_5tupleIJPjSI_NS0_16reverse_iteratorISI_EEEEENSH_IJSG_SG_SG_EEES9_SI_JZNS1_25segmented_radix_sort_implINS0_14default_configELb0EPKbPbPKlPlN2at6native12_GLOBAL__N_18offset_tEEE10hipError_tPvRmT1_PNSt15iterator_traitsIS12_E10value_typeET2_T3_PNS13_IS18_E10value_typeET4_jRbjT5_S1E_jjP12ihipStream_tbEUljE_ZNSN_ISO_Lb0ESQ_SR_ST_SU_SY_EESZ_S10_S11_S12_S16_S17_S18_S1B_S1C_jS1D_jS1E_S1E_jjS1G_bEUljE0_EEESZ_S10_S11_S18_S1C_S1E_T6_T7_T9_mT8_S1G_bDpT10_ENKUlT_T0_E_clISt17integral_constantIbLb1EES1T_IbLb0EEEEDaS1P_S1Q_EUlS1P_E_NS1_11comp_targetILNS1_3genE4ELNS1_11target_archE910ELNS1_3gpuE8ELNS1_3repE0EEENS1_30default_config_static_selectorELNS0_4arch9wavefront6targetE0EEEvS12_ ; -- Begin function _ZN7rocprim17ROCPRIM_400000_NS6detail17trampoline_kernelINS0_13select_configILj256ELj13ELNS0_17block_load_methodE3ELS4_3ELS4_3ELNS0_20block_scan_algorithmE0ELj4294967295EEENS1_25partition_config_selectorILNS1_17partition_subalgoE4EjNS0_10empty_typeEbEEZZNS1_14partition_implILS8_4ELb0ES6_15HIP_vector_typeIjLj2EENS0_17counting_iteratorIjlEEPS9_SG_NS0_5tupleIJPjSI_NS0_16reverse_iteratorISI_EEEEENSH_IJSG_SG_SG_EEES9_SI_JZNS1_25segmented_radix_sort_implINS0_14default_configELb0EPKbPbPKlPlN2at6native12_GLOBAL__N_18offset_tEEE10hipError_tPvRmT1_PNSt15iterator_traitsIS12_E10value_typeET2_T3_PNS13_IS18_E10value_typeET4_jRbjT5_S1E_jjP12ihipStream_tbEUljE_ZNSN_ISO_Lb0ESQ_SR_ST_SU_SY_EESZ_S10_S11_S12_S16_S17_S18_S1B_S1C_jS1D_jS1E_S1E_jjS1G_bEUljE0_EEESZ_S10_S11_S18_S1C_S1E_T6_T7_T9_mT8_S1G_bDpT10_ENKUlT_T0_E_clISt17integral_constantIbLb1EES1T_IbLb0EEEEDaS1P_S1Q_EUlS1P_E_NS1_11comp_targetILNS1_3genE4ELNS1_11target_archE910ELNS1_3gpuE8ELNS1_3repE0EEENS1_30default_config_static_selectorELNS0_4arch9wavefront6targetE0EEEvS12_
	.p2align	8
	.type	_ZN7rocprim17ROCPRIM_400000_NS6detail17trampoline_kernelINS0_13select_configILj256ELj13ELNS0_17block_load_methodE3ELS4_3ELS4_3ELNS0_20block_scan_algorithmE0ELj4294967295EEENS1_25partition_config_selectorILNS1_17partition_subalgoE4EjNS0_10empty_typeEbEEZZNS1_14partition_implILS8_4ELb0ES6_15HIP_vector_typeIjLj2EENS0_17counting_iteratorIjlEEPS9_SG_NS0_5tupleIJPjSI_NS0_16reverse_iteratorISI_EEEEENSH_IJSG_SG_SG_EEES9_SI_JZNS1_25segmented_radix_sort_implINS0_14default_configELb0EPKbPbPKlPlN2at6native12_GLOBAL__N_18offset_tEEE10hipError_tPvRmT1_PNSt15iterator_traitsIS12_E10value_typeET2_T3_PNS13_IS18_E10value_typeET4_jRbjT5_S1E_jjP12ihipStream_tbEUljE_ZNSN_ISO_Lb0ESQ_SR_ST_SU_SY_EESZ_S10_S11_S12_S16_S17_S18_S1B_S1C_jS1D_jS1E_S1E_jjS1G_bEUljE0_EEESZ_S10_S11_S18_S1C_S1E_T6_T7_T9_mT8_S1G_bDpT10_ENKUlT_T0_E_clISt17integral_constantIbLb1EES1T_IbLb0EEEEDaS1P_S1Q_EUlS1P_E_NS1_11comp_targetILNS1_3genE4ELNS1_11target_archE910ELNS1_3gpuE8ELNS1_3repE0EEENS1_30default_config_static_selectorELNS0_4arch9wavefront6targetE0EEEvS12_,@function
_ZN7rocprim17ROCPRIM_400000_NS6detail17trampoline_kernelINS0_13select_configILj256ELj13ELNS0_17block_load_methodE3ELS4_3ELS4_3ELNS0_20block_scan_algorithmE0ELj4294967295EEENS1_25partition_config_selectorILNS1_17partition_subalgoE4EjNS0_10empty_typeEbEEZZNS1_14partition_implILS8_4ELb0ES6_15HIP_vector_typeIjLj2EENS0_17counting_iteratorIjlEEPS9_SG_NS0_5tupleIJPjSI_NS0_16reverse_iteratorISI_EEEEENSH_IJSG_SG_SG_EEES9_SI_JZNS1_25segmented_radix_sort_implINS0_14default_configELb0EPKbPbPKlPlN2at6native12_GLOBAL__N_18offset_tEEE10hipError_tPvRmT1_PNSt15iterator_traitsIS12_E10value_typeET2_T3_PNS13_IS18_E10value_typeET4_jRbjT5_S1E_jjP12ihipStream_tbEUljE_ZNSN_ISO_Lb0ESQ_SR_ST_SU_SY_EESZ_S10_S11_S12_S16_S17_S18_S1B_S1C_jS1D_jS1E_S1E_jjS1G_bEUljE0_EEESZ_S10_S11_S18_S1C_S1E_T6_T7_T9_mT8_S1G_bDpT10_ENKUlT_T0_E_clISt17integral_constantIbLb1EES1T_IbLb0EEEEDaS1P_S1Q_EUlS1P_E_NS1_11comp_targetILNS1_3genE4ELNS1_11target_archE910ELNS1_3gpuE8ELNS1_3repE0EEENS1_30default_config_static_selectorELNS0_4arch9wavefront6targetE0EEEvS12_: ; @_ZN7rocprim17ROCPRIM_400000_NS6detail17trampoline_kernelINS0_13select_configILj256ELj13ELNS0_17block_load_methodE3ELS4_3ELS4_3ELNS0_20block_scan_algorithmE0ELj4294967295EEENS1_25partition_config_selectorILNS1_17partition_subalgoE4EjNS0_10empty_typeEbEEZZNS1_14partition_implILS8_4ELb0ES6_15HIP_vector_typeIjLj2EENS0_17counting_iteratorIjlEEPS9_SG_NS0_5tupleIJPjSI_NS0_16reverse_iteratorISI_EEEEENSH_IJSG_SG_SG_EEES9_SI_JZNS1_25segmented_radix_sort_implINS0_14default_configELb0EPKbPbPKlPlN2at6native12_GLOBAL__N_18offset_tEEE10hipError_tPvRmT1_PNSt15iterator_traitsIS12_E10value_typeET2_T3_PNS13_IS18_E10value_typeET4_jRbjT5_S1E_jjP12ihipStream_tbEUljE_ZNSN_ISO_Lb0ESQ_SR_ST_SU_SY_EESZ_S10_S11_S12_S16_S17_S18_S1B_S1C_jS1D_jS1E_S1E_jjS1G_bEUljE0_EEESZ_S10_S11_S18_S1C_S1E_T6_T7_T9_mT8_S1G_bDpT10_ENKUlT_T0_E_clISt17integral_constantIbLb1EES1T_IbLb0EEEEDaS1P_S1Q_EUlS1P_E_NS1_11comp_targetILNS1_3genE4ELNS1_11target_archE910ELNS1_3gpuE8ELNS1_3repE0EEENS1_30default_config_static_selectorELNS0_4arch9wavefront6targetE0EEEvS12_
; %bb.0:
	.section	.rodata,"a",@progbits
	.p2align	6, 0x0
	.amdhsa_kernel _ZN7rocprim17ROCPRIM_400000_NS6detail17trampoline_kernelINS0_13select_configILj256ELj13ELNS0_17block_load_methodE3ELS4_3ELS4_3ELNS0_20block_scan_algorithmE0ELj4294967295EEENS1_25partition_config_selectorILNS1_17partition_subalgoE4EjNS0_10empty_typeEbEEZZNS1_14partition_implILS8_4ELb0ES6_15HIP_vector_typeIjLj2EENS0_17counting_iteratorIjlEEPS9_SG_NS0_5tupleIJPjSI_NS0_16reverse_iteratorISI_EEEEENSH_IJSG_SG_SG_EEES9_SI_JZNS1_25segmented_radix_sort_implINS0_14default_configELb0EPKbPbPKlPlN2at6native12_GLOBAL__N_18offset_tEEE10hipError_tPvRmT1_PNSt15iterator_traitsIS12_E10value_typeET2_T3_PNS13_IS18_E10value_typeET4_jRbjT5_S1E_jjP12ihipStream_tbEUljE_ZNSN_ISO_Lb0ESQ_SR_ST_SU_SY_EESZ_S10_S11_S12_S16_S17_S18_S1B_S1C_jS1D_jS1E_S1E_jjS1G_bEUljE0_EEESZ_S10_S11_S18_S1C_S1E_T6_T7_T9_mT8_S1G_bDpT10_ENKUlT_T0_E_clISt17integral_constantIbLb1EES1T_IbLb0EEEEDaS1P_S1Q_EUlS1P_E_NS1_11comp_targetILNS1_3genE4ELNS1_11target_archE910ELNS1_3gpuE8ELNS1_3repE0EEENS1_30default_config_static_selectorELNS0_4arch9wavefront6targetE0EEEvS12_
		.amdhsa_group_segment_fixed_size 0
		.amdhsa_private_segment_fixed_size 0
		.amdhsa_kernarg_size 176
		.amdhsa_user_sgpr_count 6
		.amdhsa_user_sgpr_private_segment_buffer 1
		.amdhsa_user_sgpr_dispatch_ptr 0
		.amdhsa_user_sgpr_queue_ptr 0
		.amdhsa_user_sgpr_kernarg_segment_ptr 1
		.amdhsa_user_sgpr_dispatch_id 0
		.amdhsa_user_sgpr_flat_scratch_init 0
		.amdhsa_user_sgpr_private_segment_size 0
		.amdhsa_wavefront_size32 1
		.amdhsa_uses_dynamic_stack 0
		.amdhsa_system_sgpr_private_segment_wavefront_offset 0
		.amdhsa_system_sgpr_workgroup_id_x 1
		.amdhsa_system_sgpr_workgroup_id_y 0
		.amdhsa_system_sgpr_workgroup_id_z 0
		.amdhsa_system_sgpr_workgroup_info 0
		.amdhsa_system_vgpr_workitem_id 0
		.amdhsa_next_free_vgpr 1
		.amdhsa_next_free_sgpr 1
		.amdhsa_reserve_vcc 0
		.amdhsa_reserve_flat_scratch 0
		.amdhsa_float_round_mode_32 0
		.amdhsa_float_round_mode_16_64 0
		.amdhsa_float_denorm_mode_32 3
		.amdhsa_float_denorm_mode_16_64 3
		.amdhsa_dx10_clamp 1
		.amdhsa_ieee_mode 1
		.amdhsa_fp16_overflow 0
		.amdhsa_workgroup_processor_mode 1
		.amdhsa_memory_ordered 1
		.amdhsa_forward_progress 1
		.amdhsa_shared_vgpr_count 0
		.amdhsa_exception_fp_ieee_invalid_op 0
		.amdhsa_exception_fp_denorm_src 0
		.amdhsa_exception_fp_ieee_div_zero 0
		.amdhsa_exception_fp_ieee_overflow 0
		.amdhsa_exception_fp_ieee_underflow 0
		.amdhsa_exception_fp_ieee_inexact 0
		.amdhsa_exception_int_div_zero 0
	.end_amdhsa_kernel
	.section	.text._ZN7rocprim17ROCPRIM_400000_NS6detail17trampoline_kernelINS0_13select_configILj256ELj13ELNS0_17block_load_methodE3ELS4_3ELS4_3ELNS0_20block_scan_algorithmE0ELj4294967295EEENS1_25partition_config_selectorILNS1_17partition_subalgoE4EjNS0_10empty_typeEbEEZZNS1_14partition_implILS8_4ELb0ES6_15HIP_vector_typeIjLj2EENS0_17counting_iteratorIjlEEPS9_SG_NS0_5tupleIJPjSI_NS0_16reverse_iteratorISI_EEEEENSH_IJSG_SG_SG_EEES9_SI_JZNS1_25segmented_radix_sort_implINS0_14default_configELb0EPKbPbPKlPlN2at6native12_GLOBAL__N_18offset_tEEE10hipError_tPvRmT1_PNSt15iterator_traitsIS12_E10value_typeET2_T3_PNS13_IS18_E10value_typeET4_jRbjT5_S1E_jjP12ihipStream_tbEUljE_ZNSN_ISO_Lb0ESQ_SR_ST_SU_SY_EESZ_S10_S11_S12_S16_S17_S18_S1B_S1C_jS1D_jS1E_S1E_jjS1G_bEUljE0_EEESZ_S10_S11_S18_S1C_S1E_T6_T7_T9_mT8_S1G_bDpT10_ENKUlT_T0_E_clISt17integral_constantIbLb1EES1T_IbLb0EEEEDaS1P_S1Q_EUlS1P_E_NS1_11comp_targetILNS1_3genE4ELNS1_11target_archE910ELNS1_3gpuE8ELNS1_3repE0EEENS1_30default_config_static_selectorELNS0_4arch9wavefront6targetE0EEEvS12_,"axG",@progbits,_ZN7rocprim17ROCPRIM_400000_NS6detail17trampoline_kernelINS0_13select_configILj256ELj13ELNS0_17block_load_methodE3ELS4_3ELS4_3ELNS0_20block_scan_algorithmE0ELj4294967295EEENS1_25partition_config_selectorILNS1_17partition_subalgoE4EjNS0_10empty_typeEbEEZZNS1_14partition_implILS8_4ELb0ES6_15HIP_vector_typeIjLj2EENS0_17counting_iteratorIjlEEPS9_SG_NS0_5tupleIJPjSI_NS0_16reverse_iteratorISI_EEEEENSH_IJSG_SG_SG_EEES9_SI_JZNS1_25segmented_radix_sort_implINS0_14default_configELb0EPKbPbPKlPlN2at6native12_GLOBAL__N_18offset_tEEE10hipError_tPvRmT1_PNSt15iterator_traitsIS12_E10value_typeET2_T3_PNS13_IS18_E10value_typeET4_jRbjT5_S1E_jjP12ihipStream_tbEUljE_ZNSN_ISO_Lb0ESQ_SR_ST_SU_SY_EESZ_S10_S11_S12_S16_S17_S18_S1B_S1C_jS1D_jS1E_S1E_jjS1G_bEUljE0_EEESZ_S10_S11_S18_S1C_S1E_T6_T7_T9_mT8_S1G_bDpT10_ENKUlT_T0_E_clISt17integral_constantIbLb1EES1T_IbLb0EEEEDaS1P_S1Q_EUlS1P_E_NS1_11comp_targetILNS1_3genE4ELNS1_11target_archE910ELNS1_3gpuE8ELNS1_3repE0EEENS1_30default_config_static_selectorELNS0_4arch9wavefront6targetE0EEEvS12_,comdat
.Lfunc_end1580:
	.size	_ZN7rocprim17ROCPRIM_400000_NS6detail17trampoline_kernelINS0_13select_configILj256ELj13ELNS0_17block_load_methodE3ELS4_3ELS4_3ELNS0_20block_scan_algorithmE0ELj4294967295EEENS1_25partition_config_selectorILNS1_17partition_subalgoE4EjNS0_10empty_typeEbEEZZNS1_14partition_implILS8_4ELb0ES6_15HIP_vector_typeIjLj2EENS0_17counting_iteratorIjlEEPS9_SG_NS0_5tupleIJPjSI_NS0_16reverse_iteratorISI_EEEEENSH_IJSG_SG_SG_EEES9_SI_JZNS1_25segmented_radix_sort_implINS0_14default_configELb0EPKbPbPKlPlN2at6native12_GLOBAL__N_18offset_tEEE10hipError_tPvRmT1_PNSt15iterator_traitsIS12_E10value_typeET2_T3_PNS13_IS18_E10value_typeET4_jRbjT5_S1E_jjP12ihipStream_tbEUljE_ZNSN_ISO_Lb0ESQ_SR_ST_SU_SY_EESZ_S10_S11_S12_S16_S17_S18_S1B_S1C_jS1D_jS1E_S1E_jjS1G_bEUljE0_EEESZ_S10_S11_S18_S1C_S1E_T6_T7_T9_mT8_S1G_bDpT10_ENKUlT_T0_E_clISt17integral_constantIbLb1EES1T_IbLb0EEEEDaS1P_S1Q_EUlS1P_E_NS1_11comp_targetILNS1_3genE4ELNS1_11target_archE910ELNS1_3gpuE8ELNS1_3repE0EEENS1_30default_config_static_selectorELNS0_4arch9wavefront6targetE0EEEvS12_, .Lfunc_end1580-_ZN7rocprim17ROCPRIM_400000_NS6detail17trampoline_kernelINS0_13select_configILj256ELj13ELNS0_17block_load_methodE3ELS4_3ELS4_3ELNS0_20block_scan_algorithmE0ELj4294967295EEENS1_25partition_config_selectorILNS1_17partition_subalgoE4EjNS0_10empty_typeEbEEZZNS1_14partition_implILS8_4ELb0ES6_15HIP_vector_typeIjLj2EENS0_17counting_iteratorIjlEEPS9_SG_NS0_5tupleIJPjSI_NS0_16reverse_iteratorISI_EEEEENSH_IJSG_SG_SG_EEES9_SI_JZNS1_25segmented_radix_sort_implINS0_14default_configELb0EPKbPbPKlPlN2at6native12_GLOBAL__N_18offset_tEEE10hipError_tPvRmT1_PNSt15iterator_traitsIS12_E10value_typeET2_T3_PNS13_IS18_E10value_typeET4_jRbjT5_S1E_jjP12ihipStream_tbEUljE_ZNSN_ISO_Lb0ESQ_SR_ST_SU_SY_EESZ_S10_S11_S12_S16_S17_S18_S1B_S1C_jS1D_jS1E_S1E_jjS1G_bEUljE0_EEESZ_S10_S11_S18_S1C_S1E_T6_T7_T9_mT8_S1G_bDpT10_ENKUlT_T0_E_clISt17integral_constantIbLb1EES1T_IbLb0EEEEDaS1P_S1Q_EUlS1P_E_NS1_11comp_targetILNS1_3genE4ELNS1_11target_archE910ELNS1_3gpuE8ELNS1_3repE0EEENS1_30default_config_static_selectorELNS0_4arch9wavefront6targetE0EEEvS12_
                                        ; -- End function
	.set _ZN7rocprim17ROCPRIM_400000_NS6detail17trampoline_kernelINS0_13select_configILj256ELj13ELNS0_17block_load_methodE3ELS4_3ELS4_3ELNS0_20block_scan_algorithmE0ELj4294967295EEENS1_25partition_config_selectorILNS1_17partition_subalgoE4EjNS0_10empty_typeEbEEZZNS1_14partition_implILS8_4ELb0ES6_15HIP_vector_typeIjLj2EENS0_17counting_iteratorIjlEEPS9_SG_NS0_5tupleIJPjSI_NS0_16reverse_iteratorISI_EEEEENSH_IJSG_SG_SG_EEES9_SI_JZNS1_25segmented_radix_sort_implINS0_14default_configELb0EPKbPbPKlPlN2at6native12_GLOBAL__N_18offset_tEEE10hipError_tPvRmT1_PNSt15iterator_traitsIS12_E10value_typeET2_T3_PNS13_IS18_E10value_typeET4_jRbjT5_S1E_jjP12ihipStream_tbEUljE_ZNSN_ISO_Lb0ESQ_SR_ST_SU_SY_EESZ_S10_S11_S12_S16_S17_S18_S1B_S1C_jS1D_jS1E_S1E_jjS1G_bEUljE0_EEESZ_S10_S11_S18_S1C_S1E_T6_T7_T9_mT8_S1G_bDpT10_ENKUlT_T0_E_clISt17integral_constantIbLb1EES1T_IbLb0EEEEDaS1P_S1Q_EUlS1P_E_NS1_11comp_targetILNS1_3genE4ELNS1_11target_archE910ELNS1_3gpuE8ELNS1_3repE0EEENS1_30default_config_static_selectorELNS0_4arch9wavefront6targetE0EEEvS12_.num_vgpr, 0
	.set _ZN7rocprim17ROCPRIM_400000_NS6detail17trampoline_kernelINS0_13select_configILj256ELj13ELNS0_17block_load_methodE3ELS4_3ELS4_3ELNS0_20block_scan_algorithmE0ELj4294967295EEENS1_25partition_config_selectorILNS1_17partition_subalgoE4EjNS0_10empty_typeEbEEZZNS1_14partition_implILS8_4ELb0ES6_15HIP_vector_typeIjLj2EENS0_17counting_iteratorIjlEEPS9_SG_NS0_5tupleIJPjSI_NS0_16reverse_iteratorISI_EEEEENSH_IJSG_SG_SG_EEES9_SI_JZNS1_25segmented_radix_sort_implINS0_14default_configELb0EPKbPbPKlPlN2at6native12_GLOBAL__N_18offset_tEEE10hipError_tPvRmT1_PNSt15iterator_traitsIS12_E10value_typeET2_T3_PNS13_IS18_E10value_typeET4_jRbjT5_S1E_jjP12ihipStream_tbEUljE_ZNSN_ISO_Lb0ESQ_SR_ST_SU_SY_EESZ_S10_S11_S12_S16_S17_S18_S1B_S1C_jS1D_jS1E_S1E_jjS1G_bEUljE0_EEESZ_S10_S11_S18_S1C_S1E_T6_T7_T9_mT8_S1G_bDpT10_ENKUlT_T0_E_clISt17integral_constantIbLb1EES1T_IbLb0EEEEDaS1P_S1Q_EUlS1P_E_NS1_11comp_targetILNS1_3genE4ELNS1_11target_archE910ELNS1_3gpuE8ELNS1_3repE0EEENS1_30default_config_static_selectorELNS0_4arch9wavefront6targetE0EEEvS12_.num_agpr, 0
	.set _ZN7rocprim17ROCPRIM_400000_NS6detail17trampoline_kernelINS0_13select_configILj256ELj13ELNS0_17block_load_methodE3ELS4_3ELS4_3ELNS0_20block_scan_algorithmE0ELj4294967295EEENS1_25partition_config_selectorILNS1_17partition_subalgoE4EjNS0_10empty_typeEbEEZZNS1_14partition_implILS8_4ELb0ES6_15HIP_vector_typeIjLj2EENS0_17counting_iteratorIjlEEPS9_SG_NS0_5tupleIJPjSI_NS0_16reverse_iteratorISI_EEEEENSH_IJSG_SG_SG_EEES9_SI_JZNS1_25segmented_radix_sort_implINS0_14default_configELb0EPKbPbPKlPlN2at6native12_GLOBAL__N_18offset_tEEE10hipError_tPvRmT1_PNSt15iterator_traitsIS12_E10value_typeET2_T3_PNS13_IS18_E10value_typeET4_jRbjT5_S1E_jjP12ihipStream_tbEUljE_ZNSN_ISO_Lb0ESQ_SR_ST_SU_SY_EESZ_S10_S11_S12_S16_S17_S18_S1B_S1C_jS1D_jS1E_S1E_jjS1G_bEUljE0_EEESZ_S10_S11_S18_S1C_S1E_T6_T7_T9_mT8_S1G_bDpT10_ENKUlT_T0_E_clISt17integral_constantIbLb1EES1T_IbLb0EEEEDaS1P_S1Q_EUlS1P_E_NS1_11comp_targetILNS1_3genE4ELNS1_11target_archE910ELNS1_3gpuE8ELNS1_3repE0EEENS1_30default_config_static_selectorELNS0_4arch9wavefront6targetE0EEEvS12_.numbered_sgpr, 0
	.set _ZN7rocprim17ROCPRIM_400000_NS6detail17trampoline_kernelINS0_13select_configILj256ELj13ELNS0_17block_load_methodE3ELS4_3ELS4_3ELNS0_20block_scan_algorithmE0ELj4294967295EEENS1_25partition_config_selectorILNS1_17partition_subalgoE4EjNS0_10empty_typeEbEEZZNS1_14partition_implILS8_4ELb0ES6_15HIP_vector_typeIjLj2EENS0_17counting_iteratorIjlEEPS9_SG_NS0_5tupleIJPjSI_NS0_16reverse_iteratorISI_EEEEENSH_IJSG_SG_SG_EEES9_SI_JZNS1_25segmented_radix_sort_implINS0_14default_configELb0EPKbPbPKlPlN2at6native12_GLOBAL__N_18offset_tEEE10hipError_tPvRmT1_PNSt15iterator_traitsIS12_E10value_typeET2_T3_PNS13_IS18_E10value_typeET4_jRbjT5_S1E_jjP12ihipStream_tbEUljE_ZNSN_ISO_Lb0ESQ_SR_ST_SU_SY_EESZ_S10_S11_S12_S16_S17_S18_S1B_S1C_jS1D_jS1E_S1E_jjS1G_bEUljE0_EEESZ_S10_S11_S18_S1C_S1E_T6_T7_T9_mT8_S1G_bDpT10_ENKUlT_T0_E_clISt17integral_constantIbLb1EES1T_IbLb0EEEEDaS1P_S1Q_EUlS1P_E_NS1_11comp_targetILNS1_3genE4ELNS1_11target_archE910ELNS1_3gpuE8ELNS1_3repE0EEENS1_30default_config_static_selectorELNS0_4arch9wavefront6targetE0EEEvS12_.num_named_barrier, 0
	.set _ZN7rocprim17ROCPRIM_400000_NS6detail17trampoline_kernelINS0_13select_configILj256ELj13ELNS0_17block_load_methodE3ELS4_3ELS4_3ELNS0_20block_scan_algorithmE0ELj4294967295EEENS1_25partition_config_selectorILNS1_17partition_subalgoE4EjNS0_10empty_typeEbEEZZNS1_14partition_implILS8_4ELb0ES6_15HIP_vector_typeIjLj2EENS0_17counting_iteratorIjlEEPS9_SG_NS0_5tupleIJPjSI_NS0_16reverse_iteratorISI_EEEEENSH_IJSG_SG_SG_EEES9_SI_JZNS1_25segmented_radix_sort_implINS0_14default_configELb0EPKbPbPKlPlN2at6native12_GLOBAL__N_18offset_tEEE10hipError_tPvRmT1_PNSt15iterator_traitsIS12_E10value_typeET2_T3_PNS13_IS18_E10value_typeET4_jRbjT5_S1E_jjP12ihipStream_tbEUljE_ZNSN_ISO_Lb0ESQ_SR_ST_SU_SY_EESZ_S10_S11_S12_S16_S17_S18_S1B_S1C_jS1D_jS1E_S1E_jjS1G_bEUljE0_EEESZ_S10_S11_S18_S1C_S1E_T6_T7_T9_mT8_S1G_bDpT10_ENKUlT_T0_E_clISt17integral_constantIbLb1EES1T_IbLb0EEEEDaS1P_S1Q_EUlS1P_E_NS1_11comp_targetILNS1_3genE4ELNS1_11target_archE910ELNS1_3gpuE8ELNS1_3repE0EEENS1_30default_config_static_selectorELNS0_4arch9wavefront6targetE0EEEvS12_.private_seg_size, 0
	.set _ZN7rocprim17ROCPRIM_400000_NS6detail17trampoline_kernelINS0_13select_configILj256ELj13ELNS0_17block_load_methodE3ELS4_3ELS4_3ELNS0_20block_scan_algorithmE0ELj4294967295EEENS1_25partition_config_selectorILNS1_17partition_subalgoE4EjNS0_10empty_typeEbEEZZNS1_14partition_implILS8_4ELb0ES6_15HIP_vector_typeIjLj2EENS0_17counting_iteratorIjlEEPS9_SG_NS0_5tupleIJPjSI_NS0_16reverse_iteratorISI_EEEEENSH_IJSG_SG_SG_EEES9_SI_JZNS1_25segmented_radix_sort_implINS0_14default_configELb0EPKbPbPKlPlN2at6native12_GLOBAL__N_18offset_tEEE10hipError_tPvRmT1_PNSt15iterator_traitsIS12_E10value_typeET2_T3_PNS13_IS18_E10value_typeET4_jRbjT5_S1E_jjP12ihipStream_tbEUljE_ZNSN_ISO_Lb0ESQ_SR_ST_SU_SY_EESZ_S10_S11_S12_S16_S17_S18_S1B_S1C_jS1D_jS1E_S1E_jjS1G_bEUljE0_EEESZ_S10_S11_S18_S1C_S1E_T6_T7_T9_mT8_S1G_bDpT10_ENKUlT_T0_E_clISt17integral_constantIbLb1EES1T_IbLb0EEEEDaS1P_S1Q_EUlS1P_E_NS1_11comp_targetILNS1_3genE4ELNS1_11target_archE910ELNS1_3gpuE8ELNS1_3repE0EEENS1_30default_config_static_selectorELNS0_4arch9wavefront6targetE0EEEvS12_.uses_vcc, 0
	.set _ZN7rocprim17ROCPRIM_400000_NS6detail17trampoline_kernelINS0_13select_configILj256ELj13ELNS0_17block_load_methodE3ELS4_3ELS4_3ELNS0_20block_scan_algorithmE0ELj4294967295EEENS1_25partition_config_selectorILNS1_17partition_subalgoE4EjNS0_10empty_typeEbEEZZNS1_14partition_implILS8_4ELb0ES6_15HIP_vector_typeIjLj2EENS0_17counting_iteratorIjlEEPS9_SG_NS0_5tupleIJPjSI_NS0_16reverse_iteratorISI_EEEEENSH_IJSG_SG_SG_EEES9_SI_JZNS1_25segmented_radix_sort_implINS0_14default_configELb0EPKbPbPKlPlN2at6native12_GLOBAL__N_18offset_tEEE10hipError_tPvRmT1_PNSt15iterator_traitsIS12_E10value_typeET2_T3_PNS13_IS18_E10value_typeET4_jRbjT5_S1E_jjP12ihipStream_tbEUljE_ZNSN_ISO_Lb0ESQ_SR_ST_SU_SY_EESZ_S10_S11_S12_S16_S17_S18_S1B_S1C_jS1D_jS1E_S1E_jjS1G_bEUljE0_EEESZ_S10_S11_S18_S1C_S1E_T6_T7_T9_mT8_S1G_bDpT10_ENKUlT_T0_E_clISt17integral_constantIbLb1EES1T_IbLb0EEEEDaS1P_S1Q_EUlS1P_E_NS1_11comp_targetILNS1_3genE4ELNS1_11target_archE910ELNS1_3gpuE8ELNS1_3repE0EEENS1_30default_config_static_selectorELNS0_4arch9wavefront6targetE0EEEvS12_.uses_flat_scratch, 0
	.set _ZN7rocprim17ROCPRIM_400000_NS6detail17trampoline_kernelINS0_13select_configILj256ELj13ELNS0_17block_load_methodE3ELS4_3ELS4_3ELNS0_20block_scan_algorithmE0ELj4294967295EEENS1_25partition_config_selectorILNS1_17partition_subalgoE4EjNS0_10empty_typeEbEEZZNS1_14partition_implILS8_4ELb0ES6_15HIP_vector_typeIjLj2EENS0_17counting_iteratorIjlEEPS9_SG_NS0_5tupleIJPjSI_NS0_16reverse_iteratorISI_EEEEENSH_IJSG_SG_SG_EEES9_SI_JZNS1_25segmented_radix_sort_implINS0_14default_configELb0EPKbPbPKlPlN2at6native12_GLOBAL__N_18offset_tEEE10hipError_tPvRmT1_PNSt15iterator_traitsIS12_E10value_typeET2_T3_PNS13_IS18_E10value_typeET4_jRbjT5_S1E_jjP12ihipStream_tbEUljE_ZNSN_ISO_Lb0ESQ_SR_ST_SU_SY_EESZ_S10_S11_S12_S16_S17_S18_S1B_S1C_jS1D_jS1E_S1E_jjS1G_bEUljE0_EEESZ_S10_S11_S18_S1C_S1E_T6_T7_T9_mT8_S1G_bDpT10_ENKUlT_T0_E_clISt17integral_constantIbLb1EES1T_IbLb0EEEEDaS1P_S1Q_EUlS1P_E_NS1_11comp_targetILNS1_3genE4ELNS1_11target_archE910ELNS1_3gpuE8ELNS1_3repE0EEENS1_30default_config_static_selectorELNS0_4arch9wavefront6targetE0EEEvS12_.has_dyn_sized_stack, 0
	.set _ZN7rocprim17ROCPRIM_400000_NS6detail17trampoline_kernelINS0_13select_configILj256ELj13ELNS0_17block_load_methodE3ELS4_3ELS4_3ELNS0_20block_scan_algorithmE0ELj4294967295EEENS1_25partition_config_selectorILNS1_17partition_subalgoE4EjNS0_10empty_typeEbEEZZNS1_14partition_implILS8_4ELb0ES6_15HIP_vector_typeIjLj2EENS0_17counting_iteratorIjlEEPS9_SG_NS0_5tupleIJPjSI_NS0_16reverse_iteratorISI_EEEEENSH_IJSG_SG_SG_EEES9_SI_JZNS1_25segmented_radix_sort_implINS0_14default_configELb0EPKbPbPKlPlN2at6native12_GLOBAL__N_18offset_tEEE10hipError_tPvRmT1_PNSt15iterator_traitsIS12_E10value_typeET2_T3_PNS13_IS18_E10value_typeET4_jRbjT5_S1E_jjP12ihipStream_tbEUljE_ZNSN_ISO_Lb0ESQ_SR_ST_SU_SY_EESZ_S10_S11_S12_S16_S17_S18_S1B_S1C_jS1D_jS1E_S1E_jjS1G_bEUljE0_EEESZ_S10_S11_S18_S1C_S1E_T6_T7_T9_mT8_S1G_bDpT10_ENKUlT_T0_E_clISt17integral_constantIbLb1EES1T_IbLb0EEEEDaS1P_S1Q_EUlS1P_E_NS1_11comp_targetILNS1_3genE4ELNS1_11target_archE910ELNS1_3gpuE8ELNS1_3repE0EEENS1_30default_config_static_selectorELNS0_4arch9wavefront6targetE0EEEvS12_.has_recursion, 0
	.set _ZN7rocprim17ROCPRIM_400000_NS6detail17trampoline_kernelINS0_13select_configILj256ELj13ELNS0_17block_load_methodE3ELS4_3ELS4_3ELNS0_20block_scan_algorithmE0ELj4294967295EEENS1_25partition_config_selectorILNS1_17partition_subalgoE4EjNS0_10empty_typeEbEEZZNS1_14partition_implILS8_4ELb0ES6_15HIP_vector_typeIjLj2EENS0_17counting_iteratorIjlEEPS9_SG_NS0_5tupleIJPjSI_NS0_16reverse_iteratorISI_EEEEENSH_IJSG_SG_SG_EEES9_SI_JZNS1_25segmented_radix_sort_implINS0_14default_configELb0EPKbPbPKlPlN2at6native12_GLOBAL__N_18offset_tEEE10hipError_tPvRmT1_PNSt15iterator_traitsIS12_E10value_typeET2_T3_PNS13_IS18_E10value_typeET4_jRbjT5_S1E_jjP12ihipStream_tbEUljE_ZNSN_ISO_Lb0ESQ_SR_ST_SU_SY_EESZ_S10_S11_S12_S16_S17_S18_S1B_S1C_jS1D_jS1E_S1E_jjS1G_bEUljE0_EEESZ_S10_S11_S18_S1C_S1E_T6_T7_T9_mT8_S1G_bDpT10_ENKUlT_T0_E_clISt17integral_constantIbLb1EES1T_IbLb0EEEEDaS1P_S1Q_EUlS1P_E_NS1_11comp_targetILNS1_3genE4ELNS1_11target_archE910ELNS1_3gpuE8ELNS1_3repE0EEENS1_30default_config_static_selectorELNS0_4arch9wavefront6targetE0EEEvS12_.has_indirect_call, 0
	.section	.AMDGPU.csdata,"",@progbits
; Kernel info:
; codeLenInByte = 0
; TotalNumSgprs: 0
; NumVgprs: 0
; ScratchSize: 0
; MemoryBound: 0
; FloatMode: 240
; IeeeMode: 1
; LDSByteSize: 0 bytes/workgroup (compile time only)
; SGPRBlocks: 0
; VGPRBlocks: 0
; NumSGPRsForWavesPerEU: 1
; NumVGPRsForWavesPerEU: 1
; Occupancy: 16
; WaveLimiterHint : 0
; COMPUTE_PGM_RSRC2:SCRATCH_EN: 0
; COMPUTE_PGM_RSRC2:USER_SGPR: 6
; COMPUTE_PGM_RSRC2:TRAP_HANDLER: 0
; COMPUTE_PGM_RSRC2:TGID_X_EN: 1
; COMPUTE_PGM_RSRC2:TGID_Y_EN: 0
; COMPUTE_PGM_RSRC2:TGID_Z_EN: 0
; COMPUTE_PGM_RSRC2:TIDIG_COMP_CNT: 0
	.section	.text._ZN7rocprim17ROCPRIM_400000_NS6detail17trampoline_kernelINS0_13select_configILj256ELj13ELNS0_17block_load_methodE3ELS4_3ELS4_3ELNS0_20block_scan_algorithmE0ELj4294967295EEENS1_25partition_config_selectorILNS1_17partition_subalgoE4EjNS0_10empty_typeEbEEZZNS1_14partition_implILS8_4ELb0ES6_15HIP_vector_typeIjLj2EENS0_17counting_iteratorIjlEEPS9_SG_NS0_5tupleIJPjSI_NS0_16reverse_iteratorISI_EEEEENSH_IJSG_SG_SG_EEES9_SI_JZNS1_25segmented_radix_sort_implINS0_14default_configELb0EPKbPbPKlPlN2at6native12_GLOBAL__N_18offset_tEEE10hipError_tPvRmT1_PNSt15iterator_traitsIS12_E10value_typeET2_T3_PNS13_IS18_E10value_typeET4_jRbjT5_S1E_jjP12ihipStream_tbEUljE_ZNSN_ISO_Lb0ESQ_SR_ST_SU_SY_EESZ_S10_S11_S12_S16_S17_S18_S1B_S1C_jS1D_jS1E_S1E_jjS1G_bEUljE0_EEESZ_S10_S11_S18_S1C_S1E_T6_T7_T9_mT8_S1G_bDpT10_ENKUlT_T0_E_clISt17integral_constantIbLb1EES1T_IbLb0EEEEDaS1P_S1Q_EUlS1P_E_NS1_11comp_targetILNS1_3genE3ELNS1_11target_archE908ELNS1_3gpuE7ELNS1_3repE0EEENS1_30default_config_static_selectorELNS0_4arch9wavefront6targetE0EEEvS12_,"axG",@progbits,_ZN7rocprim17ROCPRIM_400000_NS6detail17trampoline_kernelINS0_13select_configILj256ELj13ELNS0_17block_load_methodE3ELS4_3ELS4_3ELNS0_20block_scan_algorithmE0ELj4294967295EEENS1_25partition_config_selectorILNS1_17partition_subalgoE4EjNS0_10empty_typeEbEEZZNS1_14partition_implILS8_4ELb0ES6_15HIP_vector_typeIjLj2EENS0_17counting_iteratorIjlEEPS9_SG_NS0_5tupleIJPjSI_NS0_16reverse_iteratorISI_EEEEENSH_IJSG_SG_SG_EEES9_SI_JZNS1_25segmented_radix_sort_implINS0_14default_configELb0EPKbPbPKlPlN2at6native12_GLOBAL__N_18offset_tEEE10hipError_tPvRmT1_PNSt15iterator_traitsIS12_E10value_typeET2_T3_PNS13_IS18_E10value_typeET4_jRbjT5_S1E_jjP12ihipStream_tbEUljE_ZNSN_ISO_Lb0ESQ_SR_ST_SU_SY_EESZ_S10_S11_S12_S16_S17_S18_S1B_S1C_jS1D_jS1E_S1E_jjS1G_bEUljE0_EEESZ_S10_S11_S18_S1C_S1E_T6_T7_T9_mT8_S1G_bDpT10_ENKUlT_T0_E_clISt17integral_constantIbLb1EES1T_IbLb0EEEEDaS1P_S1Q_EUlS1P_E_NS1_11comp_targetILNS1_3genE3ELNS1_11target_archE908ELNS1_3gpuE7ELNS1_3repE0EEENS1_30default_config_static_selectorELNS0_4arch9wavefront6targetE0EEEvS12_,comdat
	.globl	_ZN7rocprim17ROCPRIM_400000_NS6detail17trampoline_kernelINS0_13select_configILj256ELj13ELNS0_17block_load_methodE3ELS4_3ELS4_3ELNS0_20block_scan_algorithmE0ELj4294967295EEENS1_25partition_config_selectorILNS1_17partition_subalgoE4EjNS0_10empty_typeEbEEZZNS1_14partition_implILS8_4ELb0ES6_15HIP_vector_typeIjLj2EENS0_17counting_iteratorIjlEEPS9_SG_NS0_5tupleIJPjSI_NS0_16reverse_iteratorISI_EEEEENSH_IJSG_SG_SG_EEES9_SI_JZNS1_25segmented_radix_sort_implINS0_14default_configELb0EPKbPbPKlPlN2at6native12_GLOBAL__N_18offset_tEEE10hipError_tPvRmT1_PNSt15iterator_traitsIS12_E10value_typeET2_T3_PNS13_IS18_E10value_typeET4_jRbjT5_S1E_jjP12ihipStream_tbEUljE_ZNSN_ISO_Lb0ESQ_SR_ST_SU_SY_EESZ_S10_S11_S12_S16_S17_S18_S1B_S1C_jS1D_jS1E_S1E_jjS1G_bEUljE0_EEESZ_S10_S11_S18_S1C_S1E_T6_T7_T9_mT8_S1G_bDpT10_ENKUlT_T0_E_clISt17integral_constantIbLb1EES1T_IbLb0EEEEDaS1P_S1Q_EUlS1P_E_NS1_11comp_targetILNS1_3genE3ELNS1_11target_archE908ELNS1_3gpuE7ELNS1_3repE0EEENS1_30default_config_static_selectorELNS0_4arch9wavefront6targetE0EEEvS12_ ; -- Begin function _ZN7rocprim17ROCPRIM_400000_NS6detail17trampoline_kernelINS0_13select_configILj256ELj13ELNS0_17block_load_methodE3ELS4_3ELS4_3ELNS0_20block_scan_algorithmE0ELj4294967295EEENS1_25partition_config_selectorILNS1_17partition_subalgoE4EjNS0_10empty_typeEbEEZZNS1_14partition_implILS8_4ELb0ES6_15HIP_vector_typeIjLj2EENS0_17counting_iteratorIjlEEPS9_SG_NS0_5tupleIJPjSI_NS0_16reverse_iteratorISI_EEEEENSH_IJSG_SG_SG_EEES9_SI_JZNS1_25segmented_radix_sort_implINS0_14default_configELb0EPKbPbPKlPlN2at6native12_GLOBAL__N_18offset_tEEE10hipError_tPvRmT1_PNSt15iterator_traitsIS12_E10value_typeET2_T3_PNS13_IS18_E10value_typeET4_jRbjT5_S1E_jjP12ihipStream_tbEUljE_ZNSN_ISO_Lb0ESQ_SR_ST_SU_SY_EESZ_S10_S11_S12_S16_S17_S18_S1B_S1C_jS1D_jS1E_S1E_jjS1G_bEUljE0_EEESZ_S10_S11_S18_S1C_S1E_T6_T7_T9_mT8_S1G_bDpT10_ENKUlT_T0_E_clISt17integral_constantIbLb1EES1T_IbLb0EEEEDaS1P_S1Q_EUlS1P_E_NS1_11comp_targetILNS1_3genE3ELNS1_11target_archE908ELNS1_3gpuE7ELNS1_3repE0EEENS1_30default_config_static_selectorELNS0_4arch9wavefront6targetE0EEEvS12_
	.p2align	8
	.type	_ZN7rocprim17ROCPRIM_400000_NS6detail17trampoline_kernelINS0_13select_configILj256ELj13ELNS0_17block_load_methodE3ELS4_3ELS4_3ELNS0_20block_scan_algorithmE0ELj4294967295EEENS1_25partition_config_selectorILNS1_17partition_subalgoE4EjNS0_10empty_typeEbEEZZNS1_14partition_implILS8_4ELb0ES6_15HIP_vector_typeIjLj2EENS0_17counting_iteratorIjlEEPS9_SG_NS0_5tupleIJPjSI_NS0_16reverse_iteratorISI_EEEEENSH_IJSG_SG_SG_EEES9_SI_JZNS1_25segmented_radix_sort_implINS0_14default_configELb0EPKbPbPKlPlN2at6native12_GLOBAL__N_18offset_tEEE10hipError_tPvRmT1_PNSt15iterator_traitsIS12_E10value_typeET2_T3_PNS13_IS18_E10value_typeET4_jRbjT5_S1E_jjP12ihipStream_tbEUljE_ZNSN_ISO_Lb0ESQ_SR_ST_SU_SY_EESZ_S10_S11_S12_S16_S17_S18_S1B_S1C_jS1D_jS1E_S1E_jjS1G_bEUljE0_EEESZ_S10_S11_S18_S1C_S1E_T6_T7_T9_mT8_S1G_bDpT10_ENKUlT_T0_E_clISt17integral_constantIbLb1EES1T_IbLb0EEEEDaS1P_S1Q_EUlS1P_E_NS1_11comp_targetILNS1_3genE3ELNS1_11target_archE908ELNS1_3gpuE7ELNS1_3repE0EEENS1_30default_config_static_selectorELNS0_4arch9wavefront6targetE0EEEvS12_,@function
_ZN7rocprim17ROCPRIM_400000_NS6detail17trampoline_kernelINS0_13select_configILj256ELj13ELNS0_17block_load_methodE3ELS4_3ELS4_3ELNS0_20block_scan_algorithmE0ELj4294967295EEENS1_25partition_config_selectorILNS1_17partition_subalgoE4EjNS0_10empty_typeEbEEZZNS1_14partition_implILS8_4ELb0ES6_15HIP_vector_typeIjLj2EENS0_17counting_iteratorIjlEEPS9_SG_NS0_5tupleIJPjSI_NS0_16reverse_iteratorISI_EEEEENSH_IJSG_SG_SG_EEES9_SI_JZNS1_25segmented_radix_sort_implINS0_14default_configELb0EPKbPbPKlPlN2at6native12_GLOBAL__N_18offset_tEEE10hipError_tPvRmT1_PNSt15iterator_traitsIS12_E10value_typeET2_T3_PNS13_IS18_E10value_typeET4_jRbjT5_S1E_jjP12ihipStream_tbEUljE_ZNSN_ISO_Lb0ESQ_SR_ST_SU_SY_EESZ_S10_S11_S12_S16_S17_S18_S1B_S1C_jS1D_jS1E_S1E_jjS1G_bEUljE0_EEESZ_S10_S11_S18_S1C_S1E_T6_T7_T9_mT8_S1G_bDpT10_ENKUlT_T0_E_clISt17integral_constantIbLb1EES1T_IbLb0EEEEDaS1P_S1Q_EUlS1P_E_NS1_11comp_targetILNS1_3genE3ELNS1_11target_archE908ELNS1_3gpuE7ELNS1_3repE0EEENS1_30default_config_static_selectorELNS0_4arch9wavefront6targetE0EEEvS12_: ; @_ZN7rocprim17ROCPRIM_400000_NS6detail17trampoline_kernelINS0_13select_configILj256ELj13ELNS0_17block_load_methodE3ELS4_3ELS4_3ELNS0_20block_scan_algorithmE0ELj4294967295EEENS1_25partition_config_selectorILNS1_17partition_subalgoE4EjNS0_10empty_typeEbEEZZNS1_14partition_implILS8_4ELb0ES6_15HIP_vector_typeIjLj2EENS0_17counting_iteratorIjlEEPS9_SG_NS0_5tupleIJPjSI_NS0_16reverse_iteratorISI_EEEEENSH_IJSG_SG_SG_EEES9_SI_JZNS1_25segmented_radix_sort_implINS0_14default_configELb0EPKbPbPKlPlN2at6native12_GLOBAL__N_18offset_tEEE10hipError_tPvRmT1_PNSt15iterator_traitsIS12_E10value_typeET2_T3_PNS13_IS18_E10value_typeET4_jRbjT5_S1E_jjP12ihipStream_tbEUljE_ZNSN_ISO_Lb0ESQ_SR_ST_SU_SY_EESZ_S10_S11_S12_S16_S17_S18_S1B_S1C_jS1D_jS1E_S1E_jjS1G_bEUljE0_EEESZ_S10_S11_S18_S1C_S1E_T6_T7_T9_mT8_S1G_bDpT10_ENKUlT_T0_E_clISt17integral_constantIbLb1EES1T_IbLb0EEEEDaS1P_S1Q_EUlS1P_E_NS1_11comp_targetILNS1_3genE3ELNS1_11target_archE908ELNS1_3gpuE7ELNS1_3repE0EEENS1_30default_config_static_selectorELNS0_4arch9wavefront6targetE0EEEvS12_
; %bb.0:
	.section	.rodata,"a",@progbits
	.p2align	6, 0x0
	.amdhsa_kernel _ZN7rocprim17ROCPRIM_400000_NS6detail17trampoline_kernelINS0_13select_configILj256ELj13ELNS0_17block_load_methodE3ELS4_3ELS4_3ELNS0_20block_scan_algorithmE0ELj4294967295EEENS1_25partition_config_selectorILNS1_17partition_subalgoE4EjNS0_10empty_typeEbEEZZNS1_14partition_implILS8_4ELb0ES6_15HIP_vector_typeIjLj2EENS0_17counting_iteratorIjlEEPS9_SG_NS0_5tupleIJPjSI_NS0_16reverse_iteratorISI_EEEEENSH_IJSG_SG_SG_EEES9_SI_JZNS1_25segmented_radix_sort_implINS0_14default_configELb0EPKbPbPKlPlN2at6native12_GLOBAL__N_18offset_tEEE10hipError_tPvRmT1_PNSt15iterator_traitsIS12_E10value_typeET2_T3_PNS13_IS18_E10value_typeET4_jRbjT5_S1E_jjP12ihipStream_tbEUljE_ZNSN_ISO_Lb0ESQ_SR_ST_SU_SY_EESZ_S10_S11_S12_S16_S17_S18_S1B_S1C_jS1D_jS1E_S1E_jjS1G_bEUljE0_EEESZ_S10_S11_S18_S1C_S1E_T6_T7_T9_mT8_S1G_bDpT10_ENKUlT_T0_E_clISt17integral_constantIbLb1EES1T_IbLb0EEEEDaS1P_S1Q_EUlS1P_E_NS1_11comp_targetILNS1_3genE3ELNS1_11target_archE908ELNS1_3gpuE7ELNS1_3repE0EEENS1_30default_config_static_selectorELNS0_4arch9wavefront6targetE0EEEvS12_
		.amdhsa_group_segment_fixed_size 0
		.amdhsa_private_segment_fixed_size 0
		.amdhsa_kernarg_size 176
		.amdhsa_user_sgpr_count 6
		.amdhsa_user_sgpr_private_segment_buffer 1
		.amdhsa_user_sgpr_dispatch_ptr 0
		.amdhsa_user_sgpr_queue_ptr 0
		.amdhsa_user_sgpr_kernarg_segment_ptr 1
		.amdhsa_user_sgpr_dispatch_id 0
		.amdhsa_user_sgpr_flat_scratch_init 0
		.amdhsa_user_sgpr_private_segment_size 0
		.amdhsa_wavefront_size32 1
		.amdhsa_uses_dynamic_stack 0
		.amdhsa_system_sgpr_private_segment_wavefront_offset 0
		.amdhsa_system_sgpr_workgroup_id_x 1
		.amdhsa_system_sgpr_workgroup_id_y 0
		.amdhsa_system_sgpr_workgroup_id_z 0
		.amdhsa_system_sgpr_workgroup_info 0
		.amdhsa_system_vgpr_workitem_id 0
		.amdhsa_next_free_vgpr 1
		.amdhsa_next_free_sgpr 1
		.amdhsa_reserve_vcc 0
		.amdhsa_reserve_flat_scratch 0
		.amdhsa_float_round_mode_32 0
		.amdhsa_float_round_mode_16_64 0
		.amdhsa_float_denorm_mode_32 3
		.amdhsa_float_denorm_mode_16_64 3
		.amdhsa_dx10_clamp 1
		.amdhsa_ieee_mode 1
		.amdhsa_fp16_overflow 0
		.amdhsa_workgroup_processor_mode 1
		.amdhsa_memory_ordered 1
		.amdhsa_forward_progress 1
		.amdhsa_shared_vgpr_count 0
		.amdhsa_exception_fp_ieee_invalid_op 0
		.amdhsa_exception_fp_denorm_src 0
		.amdhsa_exception_fp_ieee_div_zero 0
		.amdhsa_exception_fp_ieee_overflow 0
		.amdhsa_exception_fp_ieee_underflow 0
		.amdhsa_exception_fp_ieee_inexact 0
		.amdhsa_exception_int_div_zero 0
	.end_amdhsa_kernel
	.section	.text._ZN7rocprim17ROCPRIM_400000_NS6detail17trampoline_kernelINS0_13select_configILj256ELj13ELNS0_17block_load_methodE3ELS4_3ELS4_3ELNS0_20block_scan_algorithmE0ELj4294967295EEENS1_25partition_config_selectorILNS1_17partition_subalgoE4EjNS0_10empty_typeEbEEZZNS1_14partition_implILS8_4ELb0ES6_15HIP_vector_typeIjLj2EENS0_17counting_iteratorIjlEEPS9_SG_NS0_5tupleIJPjSI_NS0_16reverse_iteratorISI_EEEEENSH_IJSG_SG_SG_EEES9_SI_JZNS1_25segmented_radix_sort_implINS0_14default_configELb0EPKbPbPKlPlN2at6native12_GLOBAL__N_18offset_tEEE10hipError_tPvRmT1_PNSt15iterator_traitsIS12_E10value_typeET2_T3_PNS13_IS18_E10value_typeET4_jRbjT5_S1E_jjP12ihipStream_tbEUljE_ZNSN_ISO_Lb0ESQ_SR_ST_SU_SY_EESZ_S10_S11_S12_S16_S17_S18_S1B_S1C_jS1D_jS1E_S1E_jjS1G_bEUljE0_EEESZ_S10_S11_S18_S1C_S1E_T6_T7_T9_mT8_S1G_bDpT10_ENKUlT_T0_E_clISt17integral_constantIbLb1EES1T_IbLb0EEEEDaS1P_S1Q_EUlS1P_E_NS1_11comp_targetILNS1_3genE3ELNS1_11target_archE908ELNS1_3gpuE7ELNS1_3repE0EEENS1_30default_config_static_selectorELNS0_4arch9wavefront6targetE0EEEvS12_,"axG",@progbits,_ZN7rocprim17ROCPRIM_400000_NS6detail17trampoline_kernelINS0_13select_configILj256ELj13ELNS0_17block_load_methodE3ELS4_3ELS4_3ELNS0_20block_scan_algorithmE0ELj4294967295EEENS1_25partition_config_selectorILNS1_17partition_subalgoE4EjNS0_10empty_typeEbEEZZNS1_14partition_implILS8_4ELb0ES6_15HIP_vector_typeIjLj2EENS0_17counting_iteratorIjlEEPS9_SG_NS0_5tupleIJPjSI_NS0_16reverse_iteratorISI_EEEEENSH_IJSG_SG_SG_EEES9_SI_JZNS1_25segmented_radix_sort_implINS0_14default_configELb0EPKbPbPKlPlN2at6native12_GLOBAL__N_18offset_tEEE10hipError_tPvRmT1_PNSt15iterator_traitsIS12_E10value_typeET2_T3_PNS13_IS18_E10value_typeET4_jRbjT5_S1E_jjP12ihipStream_tbEUljE_ZNSN_ISO_Lb0ESQ_SR_ST_SU_SY_EESZ_S10_S11_S12_S16_S17_S18_S1B_S1C_jS1D_jS1E_S1E_jjS1G_bEUljE0_EEESZ_S10_S11_S18_S1C_S1E_T6_T7_T9_mT8_S1G_bDpT10_ENKUlT_T0_E_clISt17integral_constantIbLb1EES1T_IbLb0EEEEDaS1P_S1Q_EUlS1P_E_NS1_11comp_targetILNS1_3genE3ELNS1_11target_archE908ELNS1_3gpuE7ELNS1_3repE0EEENS1_30default_config_static_selectorELNS0_4arch9wavefront6targetE0EEEvS12_,comdat
.Lfunc_end1581:
	.size	_ZN7rocprim17ROCPRIM_400000_NS6detail17trampoline_kernelINS0_13select_configILj256ELj13ELNS0_17block_load_methodE3ELS4_3ELS4_3ELNS0_20block_scan_algorithmE0ELj4294967295EEENS1_25partition_config_selectorILNS1_17partition_subalgoE4EjNS0_10empty_typeEbEEZZNS1_14partition_implILS8_4ELb0ES6_15HIP_vector_typeIjLj2EENS0_17counting_iteratorIjlEEPS9_SG_NS0_5tupleIJPjSI_NS0_16reverse_iteratorISI_EEEEENSH_IJSG_SG_SG_EEES9_SI_JZNS1_25segmented_radix_sort_implINS0_14default_configELb0EPKbPbPKlPlN2at6native12_GLOBAL__N_18offset_tEEE10hipError_tPvRmT1_PNSt15iterator_traitsIS12_E10value_typeET2_T3_PNS13_IS18_E10value_typeET4_jRbjT5_S1E_jjP12ihipStream_tbEUljE_ZNSN_ISO_Lb0ESQ_SR_ST_SU_SY_EESZ_S10_S11_S12_S16_S17_S18_S1B_S1C_jS1D_jS1E_S1E_jjS1G_bEUljE0_EEESZ_S10_S11_S18_S1C_S1E_T6_T7_T9_mT8_S1G_bDpT10_ENKUlT_T0_E_clISt17integral_constantIbLb1EES1T_IbLb0EEEEDaS1P_S1Q_EUlS1P_E_NS1_11comp_targetILNS1_3genE3ELNS1_11target_archE908ELNS1_3gpuE7ELNS1_3repE0EEENS1_30default_config_static_selectorELNS0_4arch9wavefront6targetE0EEEvS12_, .Lfunc_end1581-_ZN7rocprim17ROCPRIM_400000_NS6detail17trampoline_kernelINS0_13select_configILj256ELj13ELNS0_17block_load_methodE3ELS4_3ELS4_3ELNS0_20block_scan_algorithmE0ELj4294967295EEENS1_25partition_config_selectorILNS1_17partition_subalgoE4EjNS0_10empty_typeEbEEZZNS1_14partition_implILS8_4ELb0ES6_15HIP_vector_typeIjLj2EENS0_17counting_iteratorIjlEEPS9_SG_NS0_5tupleIJPjSI_NS0_16reverse_iteratorISI_EEEEENSH_IJSG_SG_SG_EEES9_SI_JZNS1_25segmented_radix_sort_implINS0_14default_configELb0EPKbPbPKlPlN2at6native12_GLOBAL__N_18offset_tEEE10hipError_tPvRmT1_PNSt15iterator_traitsIS12_E10value_typeET2_T3_PNS13_IS18_E10value_typeET4_jRbjT5_S1E_jjP12ihipStream_tbEUljE_ZNSN_ISO_Lb0ESQ_SR_ST_SU_SY_EESZ_S10_S11_S12_S16_S17_S18_S1B_S1C_jS1D_jS1E_S1E_jjS1G_bEUljE0_EEESZ_S10_S11_S18_S1C_S1E_T6_T7_T9_mT8_S1G_bDpT10_ENKUlT_T0_E_clISt17integral_constantIbLb1EES1T_IbLb0EEEEDaS1P_S1Q_EUlS1P_E_NS1_11comp_targetILNS1_3genE3ELNS1_11target_archE908ELNS1_3gpuE7ELNS1_3repE0EEENS1_30default_config_static_selectorELNS0_4arch9wavefront6targetE0EEEvS12_
                                        ; -- End function
	.set _ZN7rocprim17ROCPRIM_400000_NS6detail17trampoline_kernelINS0_13select_configILj256ELj13ELNS0_17block_load_methodE3ELS4_3ELS4_3ELNS0_20block_scan_algorithmE0ELj4294967295EEENS1_25partition_config_selectorILNS1_17partition_subalgoE4EjNS0_10empty_typeEbEEZZNS1_14partition_implILS8_4ELb0ES6_15HIP_vector_typeIjLj2EENS0_17counting_iteratorIjlEEPS9_SG_NS0_5tupleIJPjSI_NS0_16reverse_iteratorISI_EEEEENSH_IJSG_SG_SG_EEES9_SI_JZNS1_25segmented_radix_sort_implINS0_14default_configELb0EPKbPbPKlPlN2at6native12_GLOBAL__N_18offset_tEEE10hipError_tPvRmT1_PNSt15iterator_traitsIS12_E10value_typeET2_T3_PNS13_IS18_E10value_typeET4_jRbjT5_S1E_jjP12ihipStream_tbEUljE_ZNSN_ISO_Lb0ESQ_SR_ST_SU_SY_EESZ_S10_S11_S12_S16_S17_S18_S1B_S1C_jS1D_jS1E_S1E_jjS1G_bEUljE0_EEESZ_S10_S11_S18_S1C_S1E_T6_T7_T9_mT8_S1G_bDpT10_ENKUlT_T0_E_clISt17integral_constantIbLb1EES1T_IbLb0EEEEDaS1P_S1Q_EUlS1P_E_NS1_11comp_targetILNS1_3genE3ELNS1_11target_archE908ELNS1_3gpuE7ELNS1_3repE0EEENS1_30default_config_static_selectorELNS0_4arch9wavefront6targetE0EEEvS12_.num_vgpr, 0
	.set _ZN7rocprim17ROCPRIM_400000_NS6detail17trampoline_kernelINS0_13select_configILj256ELj13ELNS0_17block_load_methodE3ELS4_3ELS4_3ELNS0_20block_scan_algorithmE0ELj4294967295EEENS1_25partition_config_selectorILNS1_17partition_subalgoE4EjNS0_10empty_typeEbEEZZNS1_14partition_implILS8_4ELb0ES6_15HIP_vector_typeIjLj2EENS0_17counting_iteratorIjlEEPS9_SG_NS0_5tupleIJPjSI_NS0_16reverse_iteratorISI_EEEEENSH_IJSG_SG_SG_EEES9_SI_JZNS1_25segmented_radix_sort_implINS0_14default_configELb0EPKbPbPKlPlN2at6native12_GLOBAL__N_18offset_tEEE10hipError_tPvRmT1_PNSt15iterator_traitsIS12_E10value_typeET2_T3_PNS13_IS18_E10value_typeET4_jRbjT5_S1E_jjP12ihipStream_tbEUljE_ZNSN_ISO_Lb0ESQ_SR_ST_SU_SY_EESZ_S10_S11_S12_S16_S17_S18_S1B_S1C_jS1D_jS1E_S1E_jjS1G_bEUljE0_EEESZ_S10_S11_S18_S1C_S1E_T6_T7_T9_mT8_S1G_bDpT10_ENKUlT_T0_E_clISt17integral_constantIbLb1EES1T_IbLb0EEEEDaS1P_S1Q_EUlS1P_E_NS1_11comp_targetILNS1_3genE3ELNS1_11target_archE908ELNS1_3gpuE7ELNS1_3repE0EEENS1_30default_config_static_selectorELNS0_4arch9wavefront6targetE0EEEvS12_.num_agpr, 0
	.set _ZN7rocprim17ROCPRIM_400000_NS6detail17trampoline_kernelINS0_13select_configILj256ELj13ELNS0_17block_load_methodE3ELS4_3ELS4_3ELNS0_20block_scan_algorithmE0ELj4294967295EEENS1_25partition_config_selectorILNS1_17partition_subalgoE4EjNS0_10empty_typeEbEEZZNS1_14partition_implILS8_4ELb0ES6_15HIP_vector_typeIjLj2EENS0_17counting_iteratorIjlEEPS9_SG_NS0_5tupleIJPjSI_NS0_16reverse_iteratorISI_EEEEENSH_IJSG_SG_SG_EEES9_SI_JZNS1_25segmented_radix_sort_implINS0_14default_configELb0EPKbPbPKlPlN2at6native12_GLOBAL__N_18offset_tEEE10hipError_tPvRmT1_PNSt15iterator_traitsIS12_E10value_typeET2_T3_PNS13_IS18_E10value_typeET4_jRbjT5_S1E_jjP12ihipStream_tbEUljE_ZNSN_ISO_Lb0ESQ_SR_ST_SU_SY_EESZ_S10_S11_S12_S16_S17_S18_S1B_S1C_jS1D_jS1E_S1E_jjS1G_bEUljE0_EEESZ_S10_S11_S18_S1C_S1E_T6_T7_T9_mT8_S1G_bDpT10_ENKUlT_T0_E_clISt17integral_constantIbLb1EES1T_IbLb0EEEEDaS1P_S1Q_EUlS1P_E_NS1_11comp_targetILNS1_3genE3ELNS1_11target_archE908ELNS1_3gpuE7ELNS1_3repE0EEENS1_30default_config_static_selectorELNS0_4arch9wavefront6targetE0EEEvS12_.numbered_sgpr, 0
	.set _ZN7rocprim17ROCPRIM_400000_NS6detail17trampoline_kernelINS0_13select_configILj256ELj13ELNS0_17block_load_methodE3ELS4_3ELS4_3ELNS0_20block_scan_algorithmE0ELj4294967295EEENS1_25partition_config_selectorILNS1_17partition_subalgoE4EjNS0_10empty_typeEbEEZZNS1_14partition_implILS8_4ELb0ES6_15HIP_vector_typeIjLj2EENS0_17counting_iteratorIjlEEPS9_SG_NS0_5tupleIJPjSI_NS0_16reverse_iteratorISI_EEEEENSH_IJSG_SG_SG_EEES9_SI_JZNS1_25segmented_radix_sort_implINS0_14default_configELb0EPKbPbPKlPlN2at6native12_GLOBAL__N_18offset_tEEE10hipError_tPvRmT1_PNSt15iterator_traitsIS12_E10value_typeET2_T3_PNS13_IS18_E10value_typeET4_jRbjT5_S1E_jjP12ihipStream_tbEUljE_ZNSN_ISO_Lb0ESQ_SR_ST_SU_SY_EESZ_S10_S11_S12_S16_S17_S18_S1B_S1C_jS1D_jS1E_S1E_jjS1G_bEUljE0_EEESZ_S10_S11_S18_S1C_S1E_T6_T7_T9_mT8_S1G_bDpT10_ENKUlT_T0_E_clISt17integral_constantIbLb1EES1T_IbLb0EEEEDaS1P_S1Q_EUlS1P_E_NS1_11comp_targetILNS1_3genE3ELNS1_11target_archE908ELNS1_3gpuE7ELNS1_3repE0EEENS1_30default_config_static_selectorELNS0_4arch9wavefront6targetE0EEEvS12_.num_named_barrier, 0
	.set _ZN7rocprim17ROCPRIM_400000_NS6detail17trampoline_kernelINS0_13select_configILj256ELj13ELNS0_17block_load_methodE3ELS4_3ELS4_3ELNS0_20block_scan_algorithmE0ELj4294967295EEENS1_25partition_config_selectorILNS1_17partition_subalgoE4EjNS0_10empty_typeEbEEZZNS1_14partition_implILS8_4ELb0ES6_15HIP_vector_typeIjLj2EENS0_17counting_iteratorIjlEEPS9_SG_NS0_5tupleIJPjSI_NS0_16reverse_iteratorISI_EEEEENSH_IJSG_SG_SG_EEES9_SI_JZNS1_25segmented_radix_sort_implINS0_14default_configELb0EPKbPbPKlPlN2at6native12_GLOBAL__N_18offset_tEEE10hipError_tPvRmT1_PNSt15iterator_traitsIS12_E10value_typeET2_T3_PNS13_IS18_E10value_typeET4_jRbjT5_S1E_jjP12ihipStream_tbEUljE_ZNSN_ISO_Lb0ESQ_SR_ST_SU_SY_EESZ_S10_S11_S12_S16_S17_S18_S1B_S1C_jS1D_jS1E_S1E_jjS1G_bEUljE0_EEESZ_S10_S11_S18_S1C_S1E_T6_T7_T9_mT8_S1G_bDpT10_ENKUlT_T0_E_clISt17integral_constantIbLb1EES1T_IbLb0EEEEDaS1P_S1Q_EUlS1P_E_NS1_11comp_targetILNS1_3genE3ELNS1_11target_archE908ELNS1_3gpuE7ELNS1_3repE0EEENS1_30default_config_static_selectorELNS0_4arch9wavefront6targetE0EEEvS12_.private_seg_size, 0
	.set _ZN7rocprim17ROCPRIM_400000_NS6detail17trampoline_kernelINS0_13select_configILj256ELj13ELNS0_17block_load_methodE3ELS4_3ELS4_3ELNS0_20block_scan_algorithmE0ELj4294967295EEENS1_25partition_config_selectorILNS1_17partition_subalgoE4EjNS0_10empty_typeEbEEZZNS1_14partition_implILS8_4ELb0ES6_15HIP_vector_typeIjLj2EENS0_17counting_iteratorIjlEEPS9_SG_NS0_5tupleIJPjSI_NS0_16reverse_iteratorISI_EEEEENSH_IJSG_SG_SG_EEES9_SI_JZNS1_25segmented_radix_sort_implINS0_14default_configELb0EPKbPbPKlPlN2at6native12_GLOBAL__N_18offset_tEEE10hipError_tPvRmT1_PNSt15iterator_traitsIS12_E10value_typeET2_T3_PNS13_IS18_E10value_typeET4_jRbjT5_S1E_jjP12ihipStream_tbEUljE_ZNSN_ISO_Lb0ESQ_SR_ST_SU_SY_EESZ_S10_S11_S12_S16_S17_S18_S1B_S1C_jS1D_jS1E_S1E_jjS1G_bEUljE0_EEESZ_S10_S11_S18_S1C_S1E_T6_T7_T9_mT8_S1G_bDpT10_ENKUlT_T0_E_clISt17integral_constantIbLb1EES1T_IbLb0EEEEDaS1P_S1Q_EUlS1P_E_NS1_11comp_targetILNS1_3genE3ELNS1_11target_archE908ELNS1_3gpuE7ELNS1_3repE0EEENS1_30default_config_static_selectorELNS0_4arch9wavefront6targetE0EEEvS12_.uses_vcc, 0
	.set _ZN7rocprim17ROCPRIM_400000_NS6detail17trampoline_kernelINS0_13select_configILj256ELj13ELNS0_17block_load_methodE3ELS4_3ELS4_3ELNS0_20block_scan_algorithmE0ELj4294967295EEENS1_25partition_config_selectorILNS1_17partition_subalgoE4EjNS0_10empty_typeEbEEZZNS1_14partition_implILS8_4ELb0ES6_15HIP_vector_typeIjLj2EENS0_17counting_iteratorIjlEEPS9_SG_NS0_5tupleIJPjSI_NS0_16reverse_iteratorISI_EEEEENSH_IJSG_SG_SG_EEES9_SI_JZNS1_25segmented_radix_sort_implINS0_14default_configELb0EPKbPbPKlPlN2at6native12_GLOBAL__N_18offset_tEEE10hipError_tPvRmT1_PNSt15iterator_traitsIS12_E10value_typeET2_T3_PNS13_IS18_E10value_typeET4_jRbjT5_S1E_jjP12ihipStream_tbEUljE_ZNSN_ISO_Lb0ESQ_SR_ST_SU_SY_EESZ_S10_S11_S12_S16_S17_S18_S1B_S1C_jS1D_jS1E_S1E_jjS1G_bEUljE0_EEESZ_S10_S11_S18_S1C_S1E_T6_T7_T9_mT8_S1G_bDpT10_ENKUlT_T0_E_clISt17integral_constantIbLb1EES1T_IbLb0EEEEDaS1P_S1Q_EUlS1P_E_NS1_11comp_targetILNS1_3genE3ELNS1_11target_archE908ELNS1_3gpuE7ELNS1_3repE0EEENS1_30default_config_static_selectorELNS0_4arch9wavefront6targetE0EEEvS12_.uses_flat_scratch, 0
	.set _ZN7rocprim17ROCPRIM_400000_NS6detail17trampoline_kernelINS0_13select_configILj256ELj13ELNS0_17block_load_methodE3ELS4_3ELS4_3ELNS0_20block_scan_algorithmE0ELj4294967295EEENS1_25partition_config_selectorILNS1_17partition_subalgoE4EjNS0_10empty_typeEbEEZZNS1_14partition_implILS8_4ELb0ES6_15HIP_vector_typeIjLj2EENS0_17counting_iteratorIjlEEPS9_SG_NS0_5tupleIJPjSI_NS0_16reverse_iteratorISI_EEEEENSH_IJSG_SG_SG_EEES9_SI_JZNS1_25segmented_radix_sort_implINS0_14default_configELb0EPKbPbPKlPlN2at6native12_GLOBAL__N_18offset_tEEE10hipError_tPvRmT1_PNSt15iterator_traitsIS12_E10value_typeET2_T3_PNS13_IS18_E10value_typeET4_jRbjT5_S1E_jjP12ihipStream_tbEUljE_ZNSN_ISO_Lb0ESQ_SR_ST_SU_SY_EESZ_S10_S11_S12_S16_S17_S18_S1B_S1C_jS1D_jS1E_S1E_jjS1G_bEUljE0_EEESZ_S10_S11_S18_S1C_S1E_T6_T7_T9_mT8_S1G_bDpT10_ENKUlT_T0_E_clISt17integral_constantIbLb1EES1T_IbLb0EEEEDaS1P_S1Q_EUlS1P_E_NS1_11comp_targetILNS1_3genE3ELNS1_11target_archE908ELNS1_3gpuE7ELNS1_3repE0EEENS1_30default_config_static_selectorELNS0_4arch9wavefront6targetE0EEEvS12_.has_dyn_sized_stack, 0
	.set _ZN7rocprim17ROCPRIM_400000_NS6detail17trampoline_kernelINS0_13select_configILj256ELj13ELNS0_17block_load_methodE3ELS4_3ELS4_3ELNS0_20block_scan_algorithmE0ELj4294967295EEENS1_25partition_config_selectorILNS1_17partition_subalgoE4EjNS0_10empty_typeEbEEZZNS1_14partition_implILS8_4ELb0ES6_15HIP_vector_typeIjLj2EENS0_17counting_iteratorIjlEEPS9_SG_NS0_5tupleIJPjSI_NS0_16reverse_iteratorISI_EEEEENSH_IJSG_SG_SG_EEES9_SI_JZNS1_25segmented_radix_sort_implINS0_14default_configELb0EPKbPbPKlPlN2at6native12_GLOBAL__N_18offset_tEEE10hipError_tPvRmT1_PNSt15iterator_traitsIS12_E10value_typeET2_T3_PNS13_IS18_E10value_typeET4_jRbjT5_S1E_jjP12ihipStream_tbEUljE_ZNSN_ISO_Lb0ESQ_SR_ST_SU_SY_EESZ_S10_S11_S12_S16_S17_S18_S1B_S1C_jS1D_jS1E_S1E_jjS1G_bEUljE0_EEESZ_S10_S11_S18_S1C_S1E_T6_T7_T9_mT8_S1G_bDpT10_ENKUlT_T0_E_clISt17integral_constantIbLb1EES1T_IbLb0EEEEDaS1P_S1Q_EUlS1P_E_NS1_11comp_targetILNS1_3genE3ELNS1_11target_archE908ELNS1_3gpuE7ELNS1_3repE0EEENS1_30default_config_static_selectorELNS0_4arch9wavefront6targetE0EEEvS12_.has_recursion, 0
	.set _ZN7rocprim17ROCPRIM_400000_NS6detail17trampoline_kernelINS0_13select_configILj256ELj13ELNS0_17block_load_methodE3ELS4_3ELS4_3ELNS0_20block_scan_algorithmE0ELj4294967295EEENS1_25partition_config_selectorILNS1_17partition_subalgoE4EjNS0_10empty_typeEbEEZZNS1_14partition_implILS8_4ELb0ES6_15HIP_vector_typeIjLj2EENS0_17counting_iteratorIjlEEPS9_SG_NS0_5tupleIJPjSI_NS0_16reverse_iteratorISI_EEEEENSH_IJSG_SG_SG_EEES9_SI_JZNS1_25segmented_radix_sort_implINS0_14default_configELb0EPKbPbPKlPlN2at6native12_GLOBAL__N_18offset_tEEE10hipError_tPvRmT1_PNSt15iterator_traitsIS12_E10value_typeET2_T3_PNS13_IS18_E10value_typeET4_jRbjT5_S1E_jjP12ihipStream_tbEUljE_ZNSN_ISO_Lb0ESQ_SR_ST_SU_SY_EESZ_S10_S11_S12_S16_S17_S18_S1B_S1C_jS1D_jS1E_S1E_jjS1G_bEUljE0_EEESZ_S10_S11_S18_S1C_S1E_T6_T7_T9_mT8_S1G_bDpT10_ENKUlT_T0_E_clISt17integral_constantIbLb1EES1T_IbLb0EEEEDaS1P_S1Q_EUlS1P_E_NS1_11comp_targetILNS1_3genE3ELNS1_11target_archE908ELNS1_3gpuE7ELNS1_3repE0EEENS1_30default_config_static_selectorELNS0_4arch9wavefront6targetE0EEEvS12_.has_indirect_call, 0
	.section	.AMDGPU.csdata,"",@progbits
; Kernel info:
; codeLenInByte = 0
; TotalNumSgprs: 0
; NumVgprs: 0
; ScratchSize: 0
; MemoryBound: 0
; FloatMode: 240
; IeeeMode: 1
; LDSByteSize: 0 bytes/workgroup (compile time only)
; SGPRBlocks: 0
; VGPRBlocks: 0
; NumSGPRsForWavesPerEU: 1
; NumVGPRsForWavesPerEU: 1
; Occupancy: 16
; WaveLimiterHint : 0
; COMPUTE_PGM_RSRC2:SCRATCH_EN: 0
; COMPUTE_PGM_RSRC2:USER_SGPR: 6
; COMPUTE_PGM_RSRC2:TRAP_HANDLER: 0
; COMPUTE_PGM_RSRC2:TGID_X_EN: 1
; COMPUTE_PGM_RSRC2:TGID_Y_EN: 0
; COMPUTE_PGM_RSRC2:TGID_Z_EN: 0
; COMPUTE_PGM_RSRC2:TIDIG_COMP_CNT: 0
	.section	.text._ZN7rocprim17ROCPRIM_400000_NS6detail17trampoline_kernelINS0_13select_configILj256ELj13ELNS0_17block_load_methodE3ELS4_3ELS4_3ELNS0_20block_scan_algorithmE0ELj4294967295EEENS1_25partition_config_selectorILNS1_17partition_subalgoE4EjNS0_10empty_typeEbEEZZNS1_14partition_implILS8_4ELb0ES6_15HIP_vector_typeIjLj2EENS0_17counting_iteratorIjlEEPS9_SG_NS0_5tupleIJPjSI_NS0_16reverse_iteratorISI_EEEEENSH_IJSG_SG_SG_EEES9_SI_JZNS1_25segmented_radix_sort_implINS0_14default_configELb0EPKbPbPKlPlN2at6native12_GLOBAL__N_18offset_tEEE10hipError_tPvRmT1_PNSt15iterator_traitsIS12_E10value_typeET2_T3_PNS13_IS18_E10value_typeET4_jRbjT5_S1E_jjP12ihipStream_tbEUljE_ZNSN_ISO_Lb0ESQ_SR_ST_SU_SY_EESZ_S10_S11_S12_S16_S17_S18_S1B_S1C_jS1D_jS1E_S1E_jjS1G_bEUljE0_EEESZ_S10_S11_S18_S1C_S1E_T6_T7_T9_mT8_S1G_bDpT10_ENKUlT_T0_E_clISt17integral_constantIbLb1EES1T_IbLb0EEEEDaS1P_S1Q_EUlS1P_E_NS1_11comp_targetILNS1_3genE2ELNS1_11target_archE906ELNS1_3gpuE6ELNS1_3repE0EEENS1_30default_config_static_selectorELNS0_4arch9wavefront6targetE0EEEvS12_,"axG",@progbits,_ZN7rocprim17ROCPRIM_400000_NS6detail17trampoline_kernelINS0_13select_configILj256ELj13ELNS0_17block_load_methodE3ELS4_3ELS4_3ELNS0_20block_scan_algorithmE0ELj4294967295EEENS1_25partition_config_selectorILNS1_17partition_subalgoE4EjNS0_10empty_typeEbEEZZNS1_14partition_implILS8_4ELb0ES6_15HIP_vector_typeIjLj2EENS0_17counting_iteratorIjlEEPS9_SG_NS0_5tupleIJPjSI_NS0_16reverse_iteratorISI_EEEEENSH_IJSG_SG_SG_EEES9_SI_JZNS1_25segmented_radix_sort_implINS0_14default_configELb0EPKbPbPKlPlN2at6native12_GLOBAL__N_18offset_tEEE10hipError_tPvRmT1_PNSt15iterator_traitsIS12_E10value_typeET2_T3_PNS13_IS18_E10value_typeET4_jRbjT5_S1E_jjP12ihipStream_tbEUljE_ZNSN_ISO_Lb0ESQ_SR_ST_SU_SY_EESZ_S10_S11_S12_S16_S17_S18_S1B_S1C_jS1D_jS1E_S1E_jjS1G_bEUljE0_EEESZ_S10_S11_S18_S1C_S1E_T6_T7_T9_mT8_S1G_bDpT10_ENKUlT_T0_E_clISt17integral_constantIbLb1EES1T_IbLb0EEEEDaS1P_S1Q_EUlS1P_E_NS1_11comp_targetILNS1_3genE2ELNS1_11target_archE906ELNS1_3gpuE6ELNS1_3repE0EEENS1_30default_config_static_selectorELNS0_4arch9wavefront6targetE0EEEvS12_,comdat
	.globl	_ZN7rocprim17ROCPRIM_400000_NS6detail17trampoline_kernelINS0_13select_configILj256ELj13ELNS0_17block_load_methodE3ELS4_3ELS4_3ELNS0_20block_scan_algorithmE0ELj4294967295EEENS1_25partition_config_selectorILNS1_17partition_subalgoE4EjNS0_10empty_typeEbEEZZNS1_14partition_implILS8_4ELb0ES6_15HIP_vector_typeIjLj2EENS0_17counting_iteratorIjlEEPS9_SG_NS0_5tupleIJPjSI_NS0_16reverse_iteratorISI_EEEEENSH_IJSG_SG_SG_EEES9_SI_JZNS1_25segmented_radix_sort_implINS0_14default_configELb0EPKbPbPKlPlN2at6native12_GLOBAL__N_18offset_tEEE10hipError_tPvRmT1_PNSt15iterator_traitsIS12_E10value_typeET2_T3_PNS13_IS18_E10value_typeET4_jRbjT5_S1E_jjP12ihipStream_tbEUljE_ZNSN_ISO_Lb0ESQ_SR_ST_SU_SY_EESZ_S10_S11_S12_S16_S17_S18_S1B_S1C_jS1D_jS1E_S1E_jjS1G_bEUljE0_EEESZ_S10_S11_S18_S1C_S1E_T6_T7_T9_mT8_S1G_bDpT10_ENKUlT_T0_E_clISt17integral_constantIbLb1EES1T_IbLb0EEEEDaS1P_S1Q_EUlS1P_E_NS1_11comp_targetILNS1_3genE2ELNS1_11target_archE906ELNS1_3gpuE6ELNS1_3repE0EEENS1_30default_config_static_selectorELNS0_4arch9wavefront6targetE0EEEvS12_ ; -- Begin function _ZN7rocprim17ROCPRIM_400000_NS6detail17trampoline_kernelINS0_13select_configILj256ELj13ELNS0_17block_load_methodE3ELS4_3ELS4_3ELNS0_20block_scan_algorithmE0ELj4294967295EEENS1_25partition_config_selectorILNS1_17partition_subalgoE4EjNS0_10empty_typeEbEEZZNS1_14partition_implILS8_4ELb0ES6_15HIP_vector_typeIjLj2EENS0_17counting_iteratorIjlEEPS9_SG_NS0_5tupleIJPjSI_NS0_16reverse_iteratorISI_EEEEENSH_IJSG_SG_SG_EEES9_SI_JZNS1_25segmented_radix_sort_implINS0_14default_configELb0EPKbPbPKlPlN2at6native12_GLOBAL__N_18offset_tEEE10hipError_tPvRmT1_PNSt15iterator_traitsIS12_E10value_typeET2_T3_PNS13_IS18_E10value_typeET4_jRbjT5_S1E_jjP12ihipStream_tbEUljE_ZNSN_ISO_Lb0ESQ_SR_ST_SU_SY_EESZ_S10_S11_S12_S16_S17_S18_S1B_S1C_jS1D_jS1E_S1E_jjS1G_bEUljE0_EEESZ_S10_S11_S18_S1C_S1E_T6_T7_T9_mT8_S1G_bDpT10_ENKUlT_T0_E_clISt17integral_constantIbLb1EES1T_IbLb0EEEEDaS1P_S1Q_EUlS1P_E_NS1_11comp_targetILNS1_3genE2ELNS1_11target_archE906ELNS1_3gpuE6ELNS1_3repE0EEENS1_30default_config_static_selectorELNS0_4arch9wavefront6targetE0EEEvS12_
	.p2align	8
	.type	_ZN7rocprim17ROCPRIM_400000_NS6detail17trampoline_kernelINS0_13select_configILj256ELj13ELNS0_17block_load_methodE3ELS4_3ELS4_3ELNS0_20block_scan_algorithmE0ELj4294967295EEENS1_25partition_config_selectorILNS1_17partition_subalgoE4EjNS0_10empty_typeEbEEZZNS1_14partition_implILS8_4ELb0ES6_15HIP_vector_typeIjLj2EENS0_17counting_iteratorIjlEEPS9_SG_NS0_5tupleIJPjSI_NS0_16reverse_iteratorISI_EEEEENSH_IJSG_SG_SG_EEES9_SI_JZNS1_25segmented_radix_sort_implINS0_14default_configELb0EPKbPbPKlPlN2at6native12_GLOBAL__N_18offset_tEEE10hipError_tPvRmT1_PNSt15iterator_traitsIS12_E10value_typeET2_T3_PNS13_IS18_E10value_typeET4_jRbjT5_S1E_jjP12ihipStream_tbEUljE_ZNSN_ISO_Lb0ESQ_SR_ST_SU_SY_EESZ_S10_S11_S12_S16_S17_S18_S1B_S1C_jS1D_jS1E_S1E_jjS1G_bEUljE0_EEESZ_S10_S11_S18_S1C_S1E_T6_T7_T9_mT8_S1G_bDpT10_ENKUlT_T0_E_clISt17integral_constantIbLb1EES1T_IbLb0EEEEDaS1P_S1Q_EUlS1P_E_NS1_11comp_targetILNS1_3genE2ELNS1_11target_archE906ELNS1_3gpuE6ELNS1_3repE0EEENS1_30default_config_static_selectorELNS0_4arch9wavefront6targetE0EEEvS12_,@function
_ZN7rocprim17ROCPRIM_400000_NS6detail17trampoline_kernelINS0_13select_configILj256ELj13ELNS0_17block_load_methodE3ELS4_3ELS4_3ELNS0_20block_scan_algorithmE0ELj4294967295EEENS1_25partition_config_selectorILNS1_17partition_subalgoE4EjNS0_10empty_typeEbEEZZNS1_14partition_implILS8_4ELb0ES6_15HIP_vector_typeIjLj2EENS0_17counting_iteratorIjlEEPS9_SG_NS0_5tupleIJPjSI_NS0_16reverse_iteratorISI_EEEEENSH_IJSG_SG_SG_EEES9_SI_JZNS1_25segmented_radix_sort_implINS0_14default_configELb0EPKbPbPKlPlN2at6native12_GLOBAL__N_18offset_tEEE10hipError_tPvRmT1_PNSt15iterator_traitsIS12_E10value_typeET2_T3_PNS13_IS18_E10value_typeET4_jRbjT5_S1E_jjP12ihipStream_tbEUljE_ZNSN_ISO_Lb0ESQ_SR_ST_SU_SY_EESZ_S10_S11_S12_S16_S17_S18_S1B_S1C_jS1D_jS1E_S1E_jjS1G_bEUljE0_EEESZ_S10_S11_S18_S1C_S1E_T6_T7_T9_mT8_S1G_bDpT10_ENKUlT_T0_E_clISt17integral_constantIbLb1EES1T_IbLb0EEEEDaS1P_S1Q_EUlS1P_E_NS1_11comp_targetILNS1_3genE2ELNS1_11target_archE906ELNS1_3gpuE6ELNS1_3repE0EEENS1_30default_config_static_selectorELNS0_4arch9wavefront6targetE0EEEvS12_: ; @_ZN7rocprim17ROCPRIM_400000_NS6detail17trampoline_kernelINS0_13select_configILj256ELj13ELNS0_17block_load_methodE3ELS4_3ELS4_3ELNS0_20block_scan_algorithmE0ELj4294967295EEENS1_25partition_config_selectorILNS1_17partition_subalgoE4EjNS0_10empty_typeEbEEZZNS1_14partition_implILS8_4ELb0ES6_15HIP_vector_typeIjLj2EENS0_17counting_iteratorIjlEEPS9_SG_NS0_5tupleIJPjSI_NS0_16reverse_iteratorISI_EEEEENSH_IJSG_SG_SG_EEES9_SI_JZNS1_25segmented_radix_sort_implINS0_14default_configELb0EPKbPbPKlPlN2at6native12_GLOBAL__N_18offset_tEEE10hipError_tPvRmT1_PNSt15iterator_traitsIS12_E10value_typeET2_T3_PNS13_IS18_E10value_typeET4_jRbjT5_S1E_jjP12ihipStream_tbEUljE_ZNSN_ISO_Lb0ESQ_SR_ST_SU_SY_EESZ_S10_S11_S12_S16_S17_S18_S1B_S1C_jS1D_jS1E_S1E_jjS1G_bEUljE0_EEESZ_S10_S11_S18_S1C_S1E_T6_T7_T9_mT8_S1G_bDpT10_ENKUlT_T0_E_clISt17integral_constantIbLb1EES1T_IbLb0EEEEDaS1P_S1Q_EUlS1P_E_NS1_11comp_targetILNS1_3genE2ELNS1_11target_archE906ELNS1_3gpuE6ELNS1_3repE0EEENS1_30default_config_static_selectorELNS0_4arch9wavefront6targetE0EEEvS12_
; %bb.0:
	.section	.rodata,"a",@progbits
	.p2align	6, 0x0
	.amdhsa_kernel _ZN7rocprim17ROCPRIM_400000_NS6detail17trampoline_kernelINS0_13select_configILj256ELj13ELNS0_17block_load_methodE3ELS4_3ELS4_3ELNS0_20block_scan_algorithmE0ELj4294967295EEENS1_25partition_config_selectorILNS1_17partition_subalgoE4EjNS0_10empty_typeEbEEZZNS1_14partition_implILS8_4ELb0ES6_15HIP_vector_typeIjLj2EENS0_17counting_iteratorIjlEEPS9_SG_NS0_5tupleIJPjSI_NS0_16reverse_iteratorISI_EEEEENSH_IJSG_SG_SG_EEES9_SI_JZNS1_25segmented_radix_sort_implINS0_14default_configELb0EPKbPbPKlPlN2at6native12_GLOBAL__N_18offset_tEEE10hipError_tPvRmT1_PNSt15iterator_traitsIS12_E10value_typeET2_T3_PNS13_IS18_E10value_typeET4_jRbjT5_S1E_jjP12ihipStream_tbEUljE_ZNSN_ISO_Lb0ESQ_SR_ST_SU_SY_EESZ_S10_S11_S12_S16_S17_S18_S1B_S1C_jS1D_jS1E_S1E_jjS1G_bEUljE0_EEESZ_S10_S11_S18_S1C_S1E_T6_T7_T9_mT8_S1G_bDpT10_ENKUlT_T0_E_clISt17integral_constantIbLb1EES1T_IbLb0EEEEDaS1P_S1Q_EUlS1P_E_NS1_11comp_targetILNS1_3genE2ELNS1_11target_archE906ELNS1_3gpuE6ELNS1_3repE0EEENS1_30default_config_static_selectorELNS0_4arch9wavefront6targetE0EEEvS12_
		.amdhsa_group_segment_fixed_size 0
		.amdhsa_private_segment_fixed_size 0
		.amdhsa_kernarg_size 176
		.amdhsa_user_sgpr_count 6
		.amdhsa_user_sgpr_private_segment_buffer 1
		.amdhsa_user_sgpr_dispatch_ptr 0
		.amdhsa_user_sgpr_queue_ptr 0
		.amdhsa_user_sgpr_kernarg_segment_ptr 1
		.amdhsa_user_sgpr_dispatch_id 0
		.amdhsa_user_sgpr_flat_scratch_init 0
		.amdhsa_user_sgpr_private_segment_size 0
		.amdhsa_wavefront_size32 1
		.amdhsa_uses_dynamic_stack 0
		.amdhsa_system_sgpr_private_segment_wavefront_offset 0
		.amdhsa_system_sgpr_workgroup_id_x 1
		.amdhsa_system_sgpr_workgroup_id_y 0
		.amdhsa_system_sgpr_workgroup_id_z 0
		.amdhsa_system_sgpr_workgroup_info 0
		.amdhsa_system_vgpr_workitem_id 0
		.amdhsa_next_free_vgpr 1
		.amdhsa_next_free_sgpr 1
		.amdhsa_reserve_vcc 0
		.amdhsa_reserve_flat_scratch 0
		.amdhsa_float_round_mode_32 0
		.amdhsa_float_round_mode_16_64 0
		.amdhsa_float_denorm_mode_32 3
		.amdhsa_float_denorm_mode_16_64 3
		.amdhsa_dx10_clamp 1
		.amdhsa_ieee_mode 1
		.amdhsa_fp16_overflow 0
		.amdhsa_workgroup_processor_mode 1
		.amdhsa_memory_ordered 1
		.amdhsa_forward_progress 1
		.amdhsa_shared_vgpr_count 0
		.amdhsa_exception_fp_ieee_invalid_op 0
		.amdhsa_exception_fp_denorm_src 0
		.amdhsa_exception_fp_ieee_div_zero 0
		.amdhsa_exception_fp_ieee_overflow 0
		.amdhsa_exception_fp_ieee_underflow 0
		.amdhsa_exception_fp_ieee_inexact 0
		.amdhsa_exception_int_div_zero 0
	.end_amdhsa_kernel
	.section	.text._ZN7rocprim17ROCPRIM_400000_NS6detail17trampoline_kernelINS0_13select_configILj256ELj13ELNS0_17block_load_methodE3ELS4_3ELS4_3ELNS0_20block_scan_algorithmE0ELj4294967295EEENS1_25partition_config_selectorILNS1_17partition_subalgoE4EjNS0_10empty_typeEbEEZZNS1_14partition_implILS8_4ELb0ES6_15HIP_vector_typeIjLj2EENS0_17counting_iteratorIjlEEPS9_SG_NS0_5tupleIJPjSI_NS0_16reverse_iteratorISI_EEEEENSH_IJSG_SG_SG_EEES9_SI_JZNS1_25segmented_radix_sort_implINS0_14default_configELb0EPKbPbPKlPlN2at6native12_GLOBAL__N_18offset_tEEE10hipError_tPvRmT1_PNSt15iterator_traitsIS12_E10value_typeET2_T3_PNS13_IS18_E10value_typeET4_jRbjT5_S1E_jjP12ihipStream_tbEUljE_ZNSN_ISO_Lb0ESQ_SR_ST_SU_SY_EESZ_S10_S11_S12_S16_S17_S18_S1B_S1C_jS1D_jS1E_S1E_jjS1G_bEUljE0_EEESZ_S10_S11_S18_S1C_S1E_T6_T7_T9_mT8_S1G_bDpT10_ENKUlT_T0_E_clISt17integral_constantIbLb1EES1T_IbLb0EEEEDaS1P_S1Q_EUlS1P_E_NS1_11comp_targetILNS1_3genE2ELNS1_11target_archE906ELNS1_3gpuE6ELNS1_3repE0EEENS1_30default_config_static_selectorELNS0_4arch9wavefront6targetE0EEEvS12_,"axG",@progbits,_ZN7rocprim17ROCPRIM_400000_NS6detail17trampoline_kernelINS0_13select_configILj256ELj13ELNS0_17block_load_methodE3ELS4_3ELS4_3ELNS0_20block_scan_algorithmE0ELj4294967295EEENS1_25partition_config_selectorILNS1_17partition_subalgoE4EjNS0_10empty_typeEbEEZZNS1_14partition_implILS8_4ELb0ES6_15HIP_vector_typeIjLj2EENS0_17counting_iteratorIjlEEPS9_SG_NS0_5tupleIJPjSI_NS0_16reverse_iteratorISI_EEEEENSH_IJSG_SG_SG_EEES9_SI_JZNS1_25segmented_radix_sort_implINS0_14default_configELb0EPKbPbPKlPlN2at6native12_GLOBAL__N_18offset_tEEE10hipError_tPvRmT1_PNSt15iterator_traitsIS12_E10value_typeET2_T3_PNS13_IS18_E10value_typeET4_jRbjT5_S1E_jjP12ihipStream_tbEUljE_ZNSN_ISO_Lb0ESQ_SR_ST_SU_SY_EESZ_S10_S11_S12_S16_S17_S18_S1B_S1C_jS1D_jS1E_S1E_jjS1G_bEUljE0_EEESZ_S10_S11_S18_S1C_S1E_T6_T7_T9_mT8_S1G_bDpT10_ENKUlT_T0_E_clISt17integral_constantIbLb1EES1T_IbLb0EEEEDaS1P_S1Q_EUlS1P_E_NS1_11comp_targetILNS1_3genE2ELNS1_11target_archE906ELNS1_3gpuE6ELNS1_3repE0EEENS1_30default_config_static_selectorELNS0_4arch9wavefront6targetE0EEEvS12_,comdat
.Lfunc_end1582:
	.size	_ZN7rocprim17ROCPRIM_400000_NS6detail17trampoline_kernelINS0_13select_configILj256ELj13ELNS0_17block_load_methodE3ELS4_3ELS4_3ELNS0_20block_scan_algorithmE0ELj4294967295EEENS1_25partition_config_selectorILNS1_17partition_subalgoE4EjNS0_10empty_typeEbEEZZNS1_14partition_implILS8_4ELb0ES6_15HIP_vector_typeIjLj2EENS0_17counting_iteratorIjlEEPS9_SG_NS0_5tupleIJPjSI_NS0_16reverse_iteratorISI_EEEEENSH_IJSG_SG_SG_EEES9_SI_JZNS1_25segmented_radix_sort_implINS0_14default_configELb0EPKbPbPKlPlN2at6native12_GLOBAL__N_18offset_tEEE10hipError_tPvRmT1_PNSt15iterator_traitsIS12_E10value_typeET2_T3_PNS13_IS18_E10value_typeET4_jRbjT5_S1E_jjP12ihipStream_tbEUljE_ZNSN_ISO_Lb0ESQ_SR_ST_SU_SY_EESZ_S10_S11_S12_S16_S17_S18_S1B_S1C_jS1D_jS1E_S1E_jjS1G_bEUljE0_EEESZ_S10_S11_S18_S1C_S1E_T6_T7_T9_mT8_S1G_bDpT10_ENKUlT_T0_E_clISt17integral_constantIbLb1EES1T_IbLb0EEEEDaS1P_S1Q_EUlS1P_E_NS1_11comp_targetILNS1_3genE2ELNS1_11target_archE906ELNS1_3gpuE6ELNS1_3repE0EEENS1_30default_config_static_selectorELNS0_4arch9wavefront6targetE0EEEvS12_, .Lfunc_end1582-_ZN7rocprim17ROCPRIM_400000_NS6detail17trampoline_kernelINS0_13select_configILj256ELj13ELNS0_17block_load_methodE3ELS4_3ELS4_3ELNS0_20block_scan_algorithmE0ELj4294967295EEENS1_25partition_config_selectorILNS1_17partition_subalgoE4EjNS0_10empty_typeEbEEZZNS1_14partition_implILS8_4ELb0ES6_15HIP_vector_typeIjLj2EENS0_17counting_iteratorIjlEEPS9_SG_NS0_5tupleIJPjSI_NS0_16reverse_iteratorISI_EEEEENSH_IJSG_SG_SG_EEES9_SI_JZNS1_25segmented_radix_sort_implINS0_14default_configELb0EPKbPbPKlPlN2at6native12_GLOBAL__N_18offset_tEEE10hipError_tPvRmT1_PNSt15iterator_traitsIS12_E10value_typeET2_T3_PNS13_IS18_E10value_typeET4_jRbjT5_S1E_jjP12ihipStream_tbEUljE_ZNSN_ISO_Lb0ESQ_SR_ST_SU_SY_EESZ_S10_S11_S12_S16_S17_S18_S1B_S1C_jS1D_jS1E_S1E_jjS1G_bEUljE0_EEESZ_S10_S11_S18_S1C_S1E_T6_T7_T9_mT8_S1G_bDpT10_ENKUlT_T0_E_clISt17integral_constantIbLb1EES1T_IbLb0EEEEDaS1P_S1Q_EUlS1P_E_NS1_11comp_targetILNS1_3genE2ELNS1_11target_archE906ELNS1_3gpuE6ELNS1_3repE0EEENS1_30default_config_static_selectorELNS0_4arch9wavefront6targetE0EEEvS12_
                                        ; -- End function
	.set _ZN7rocprim17ROCPRIM_400000_NS6detail17trampoline_kernelINS0_13select_configILj256ELj13ELNS0_17block_load_methodE3ELS4_3ELS4_3ELNS0_20block_scan_algorithmE0ELj4294967295EEENS1_25partition_config_selectorILNS1_17partition_subalgoE4EjNS0_10empty_typeEbEEZZNS1_14partition_implILS8_4ELb0ES6_15HIP_vector_typeIjLj2EENS0_17counting_iteratorIjlEEPS9_SG_NS0_5tupleIJPjSI_NS0_16reverse_iteratorISI_EEEEENSH_IJSG_SG_SG_EEES9_SI_JZNS1_25segmented_radix_sort_implINS0_14default_configELb0EPKbPbPKlPlN2at6native12_GLOBAL__N_18offset_tEEE10hipError_tPvRmT1_PNSt15iterator_traitsIS12_E10value_typeET2_T3_PNS13_IS18_E10value_typeET4_jRbjT5_S1E_jjP12ihipStream_tbEUljE_ZNSN_ISO_Lb0ESQ_SR_ST_SU_SY_EESZ_S10_S11_S12_S16_S17_S18_S1B_S1C_jS1D_jS1E_S1E_jjS1G_bEUljE0_EEESZ_S10_S11_S18_S1C_S1E_T6_T7_T9_mT8_S1G_bDpT10_ENKUlT_T0_E_clISt17integral_constantIbLb1EES1T_IbLb0EEEEDaS1P_S1Q_EUlS1P_E_NS1_11comp_targetILNS1_3genE2ELNS1_11target_archE906ELNS1_3gpuE6ELNS1_3repE0EEENS1_30default_config_static_selectorELNS0_4arch9wavefront6targetE0EEEvS12_.num_vgpr, 0
	.set _ZN7rocprim17ROCPRIM_400000_NS6detail17trampoline_kernelINS0_13select_configILj256ELj13ELNS0_17block_load_methodE3ELS4_3ELS4_3ELNS0_20block_scan_algorithmE0ELj4294967295EEENS1_25partition_config_selectorILNS1_17partition_subalgoE4EjNS0_10empty_typeEbEEZZNS1_14partition_implILS8_4ELb0ES6_15HIP_vector_typeIjLj2EENS0_17counting_iteratorIjlEEPS9_SG_NS0_5tupleIJPjSI_NS0_16reverse_iteratorISI_EEEEENSH_IJSG_SG_SG_EEES9_SI_JZNS1_25segmented_radix_sort_implINS0_14default_configELb0EPKbPbPKlPlN2at6native12_GLOBAL__N_18offset_tEEE10hipError_tPvRmT1_PNSt15iterator_traitsIS12_E10value_typeET2_T3_PNS13_IS18_E10value_typeET4_jRbjT5_S1E_jjP12ihipStream_tbEUljE_ZNSN_ISO_Lb0ESQ_SR_ST_SU_SY_EESZ_S10_S11_S12_S16_S17_S18_S1B_S1C_jS1D_jS1E_S1E_jjS1G_bEUljE0_EEESZ_S10_S11_S18_S1C_S1E_T6_T7_T9_mT8_S1G_bDpT10_ENKUlT_T0_E_clISt17integral_constantIbLb1EES1T_IbLb0EEEEDaS1P_S1Q_EUlS1P_E_NS1_11comp_targetILNS1_3genE2ELNS1_11target_archE906ELNS1_3gpuE6ELNS1_3repE0EEENS1_30default_config_static_selectorELNS0_4arch9wavefront6targetE0EEEvS12_.num_agpr, 0
	.set _ZN7rocprim17ROCPRIM_400000_NS6detail17trampoline_kernelINS0_13select_configILj256ELj13ELNS0_17block_load_methodE3ELS4_3ELS4_3ELNS0_20block_scan_algorithmE0ELj4294967295EEENS1_25partition_config_selectorILNS1_17partition_subalgoE4EjNS0_10empty_typeEbEEZZNS1_14partition_implILS8_4ELb0ES6_15HIP_vector_typeIjLj2EENS0_17counting_iteratorIjlEEPS9_SG_NS0_5tupleIJPjSI_NS0_16reverse_iteratorISI_EEEEENSH_IJSG_SG_SG_EEES9_SI_JZNS1_25segmented_radix_sort_implINS0_14default_configELb0EPKbPbPKlPlN2at6native12_GLOBAL__N_18offset_tEEE10hipError_tPvRmT1_PNSt15iterator_traitsIS12_E10value_typeET2_T3_PNS13_IS18_E10value_typeET4_jRbjT5_S1E_jjP12ihipStream_tbEUljE_ZNSN_ISO_Lb0ESQ_SR_ST_SU_SY_EESZ_S10_S11_S12_S16_S17_S18_S1B_S1C_jS1D_jS1E_S1E_jjS1G_bEUljE0_EEESZ_S10_S11_S18_S1C_S1E_T6_T7_T9_mT8_S1G_bDpT10_ENKUlT_T0_E_clISt17integral_constantIbLb1EES1T_IbLb0EEEEDaS1P_S1Q_EUlS1P_E_NS1_11comp_targetILNS1_3genE2ELNS1_11target_archE906ELNS1_3gpuE6ELNS1_3repE0EEENS1_30default_config_static_selectorELNS0_4arch9wavefront6targetE0EEEvS12_.numbered_sgpr, 0
	.set _ZN7rocprim17ROCPRIM_400000_NS6detail17trampoline_kernelINS0_13select_configILj256ELj13ELNS0_17block_load_methodE3ELS4_3ELS4_3ELNS0_20block_scan_algorithmE0ELj4294967295EEENS1_25partition_config_selectorILNS1_17partition_subalgoE4EjNS0_10empty_typeEbEEZZNS1_14partition_implILS8_4ELb0ES6_15HIP_vector_typeIjLj2EENS0_17counting_iteratorIjlEEPS9_SG_NS0_5tupleIJPjSI_NS0_16reverse_iteratorISI_EEEEENSH_IJSG_SG_SG_EEES9_SI_JZNS1_25segmented_radix_sort_implINS0_14default_configELb0EPKbPbPKlPlN2at6native12_GLOBAL__N_18offset_tEEE10hipError_tPvRmT1_PNSt15iterator_traitsIS12_E10value_typeET2_T3_PNS13_IS18_E10value_typeET4_jRbjT5_S1E_jjP12ihipStream_tbEUljE_ZNSN_ISO_Lb0ESQ_SR_ST_SU_SY_EESZ_S10_S11_S12_S16_S17_S18_S1B_S1C_jS1D_jS1E_S1E_jjS1G_bEUljE0_EEESZ_S10_S11_S18_S1C_S1E_T6_T7_T9_mT8_S1G_bDpT10_ENKUlT_T0_E_clISt17integral_constantIbLb1EES1T_IbLb0EEEEDaS1P_S1Q_EUlS1P_E_NS1_11comp_targetILNS1_3genE2ELNS1_11target_archE906ELNS1_3gpuE6ELNS1_3repE0EEENS1_30default_config_static_selectorELNS0_4arch9wavefront6targetE0EEEvS12_.num_named_barrier, 0
	.set _ZN7rocprim17ROCPRIM_400000_NS6detail17trampoline_kernelINS0_13select_configILj256ELj13ELNS0_17block_load_methodE3ELS4_3ELS4_3ELNS0_20block_scan_algorithmE0ELj4294967295EEENS1_25partition_config_selectorILNS1_17partition_subalgoE4EjNS0_10empty_typeEbEEZZNS1_14partition_implILS8_4ELb0ES6_15HIP_vector_typeIjLj2EENS0_17counting_iteratorIjlEEPS9_SG_NS0_5tupleIJPjSI_NS0_16reverse_iteratorISI_EEEEENSH_IJSG_SG_SG_EEES9_SI_JZNS1_25segmented_radix_sort_implINS0_14default_configELb0EPKbPbPKlPlN2at6native12_GLOBAL__N_18offset_tEEE10hipError_tPvRmT1_PNSt15iterator_traitsIS12_E10value_typeET2_T3_PNS13_IS18_E10value_typeET4_jRbjT5_S1E_jjP12ihipStream_tbEUljE_ZNSN_ISO_Lb0ESQ_SR_ST_SU_SY_EESZ_S10_S11_S12_S16_S17_S18_S1B_S1C_jS1D_jS1E_S1E_jjS1G_bEUljE0_EEESZ_S10_S11_S18_S1C_S1E_T6_T7_T9_mT8_S1G_bDpT10_ENKUlT_T0_E_clISt17integral_constantIbLb1EES1T_IbLb0EEEEDaS1P_S1Q_EUlS1P_E_NS1_11comp_targetILNS1_3genE2ELNS1_11target_archE906ELNS1_3gpuE6ELNS1_3repE0EEENS1_30default_config_static_selectorELNS0_4arch9wavefront6targetE0EEEvS12_.private_seg_size, 0
	.set _ZN7rocprim17ROCPRIM_400000_NS6detail17trampoline_kernelINS0_13select_configILj256ELj13ELNS0_17block_load_methodE3ELS4_3ELS4_3ELNS0_20block_scan_algorithmE0ELj4294967295EEENS1_25partition_config_selectorILNS1_17partition_subalgoE4EjNS0_10empty_typeEbEEZZNS1_14partition_implILS8_4ELb0ES6_15HIP_vector_typeIjLj2EENS0_17counting_iteratorIjlEEPS9_SG_NS0_5tupleIJPjSI_NS0_16reverse_iteratorISI_EEEEENSH_IJSG_SG_SG_EEES9_SI_JZNS1_25segmented_radix_sort_implINS0_14default_configELb0EPKbPbPKlPlN2at6native12_GLOBAL__N_18offset_tEEE10hipError_tPvRmT1_PNSt15iterator_traitsIS12_E10value_typeET2_T3_PNS13_IS18_E10value_typeET4_jRbjT5_S1E_jjP12ihipStream_tbEUljE_ZNSN_ISO_Lb0ESQ_SR_ST_SU_SY_EESZ_S10_S11_S12_S16_S17_S18_S1B_S1C_jS1D_jS1E_S1E_jjS1G_bEUljE0_EEESZ_S10_S11_S18_S1C_S1E_T6_T7_T9_mT8_S1G_bDpT10_ENKUlT_T0_E_clISt17integral_constantIbLb1EES1T_IbLb0EEEEDaS1P_S1Q_EUlS1P_E_NS1_11comp_targetILNS1_3genE2ELNS1_11target_archE906ELNS1_3gpuE6ELNS1_3repE0EEENS1_30default_config_static_selectorELNS0_4arch9wavefront6targetE0EEEvS12_.uses_vcc, 0
	.set _ZN7rocprim17ROCPRIM_400000_NS6detail17trampoline_kernelINS0_13select_configILj256ELj13ELNS0_17block_load_methodE3ELS4_3ELS4_3ELNS0_20block_scan_algorithmE0ELj4294967295EEENS1_25partition_config_selectorILNS1_17partition_subalgoE4EjNS0_10empty_typeEbEEZZNS1_14partition_implILS8_4ELb0ES6_15HIP_vector_typeIjLj2EENS0_17counting_iteratorIjlEEPS9_SG_NS0_5tupleIJPjSI_NS0_16reverse_iteratorISI_EEEEENSH_IJSG_SG_SG_EEES9_SI_JZNS1_25segmented_radix_sort_implINS0_14default_configELb0EPKbPbPKlPlN2at6native12_GLOBAL__N_18offset_tEEE10hipError_tPvRmT1_PNSt15iterator_traitsIS12_E10value_typeET2_T3_PNS13_IS18_E10value_typeET4_jRbjT5_S1E_jjP12ihipStream_tbEUljE_ZNSN_ISO_Lb0ESQ_SR_ST_SU_SY_EESZ_S10_S11_S12_S16_S17_S18_S1B_S1C_jS1D_jS1E_S1E_jjS1G_bEUljE0_EEESZ_S10_S11_S18_S1C_S1E_T6_T7_T9_mT8_S1G_bDpT10_ENKUlT_T0_E_clISt17integral_constantIbLb1EES1T_IbLb0EEEEDaS1P_S1Q_EUlS1P_E_NS1_11comp_targetILNS1_3genE2ELNS1_11target_archE906ELNS1_3gpuE6ELNS1_3repE0EEENS1_30default_config_static_selectorELNS0_4arch9wavefront6targetE0EEEvS12_.uses_flat_scratch, 0
	.set _ZN7rocprim17ROCPRIM_400000_NS6detail17trampoline_kernelINS0_13select_configILj256ELj13ELNS0_17block_load_methodE3ELS4_3ELS4_3ELNS0_20block_scan_algorithmE0ELj4294967295EEENS1_25partition_config_selectorILNS1_17partition_subalgoE4EjNS0_10empty_typeEbEEZZNS1_14partition_implILS8_4ELb0ES6_15HIP_vector_typeIjLj2EENS0_17counting_iteratorIjlEEPS9_SG_NS0_5tupleIJPjSI_NS0_16reverse_iteratorISI_EEEEENSH_IJSG_SG_SG_EEES9_SI_JZNS1_25segmented_radix_sort_implINS0_14default_configELb0EPKbPbPKlPlN2at6native12_GLOBAL__N_18offset_tEEE10hipError_tPvRmT1_PNSt15iterator_traitsIS12_E10value_typeET2_T3_PNS13_IS18_E10value_typeET4_jRbjT5_S1E_jjP12ihipStream_tbEUljE_ZNSN_ISO_Lb0ESQ_SR_ST_SU_SY_EESZ_S10_S11_S12_S16_S17_S18_S1B_S1C_jS1D_jS1E_S1E_jjS1G_bEUljE0_EEESZ_S10_S11_S18_S1C_S1E_T6_T7_T9_mT8_S1G_bDpT10_ENKUlT_T0_E_clISt17integral_constantIbLb1EES1T_IbLb0EEEEDaS1P_S1Q_EUlS1P_E_NS1_11comp_targetILNS1_3genE2ELNS1_11target_archE906ELNS1_3gpuE6ELNS1_3repE0EEENS1_30default_config_static_selectorELNS0_4arch9wavefront6targetE0EEEvS12_.has_dyn_sized_stack, 0
	.set _ZN7rocprim17ROCPRIM_400000_NS6detail17trampoline_kernelINS0_13select_configILj256ELj13ELNS0_17block_load_methodE3ELS4_3ELS4_3ELNS0_20block_scan_algorithmE0ELj4294967295EEENS1_25partition_config_selectorILNS1_17partition_subalgoE4EjNS0_10empty_typeEbEEZZNS1_14partition_implILS8_4ELb0ES6_15HIP_vector_typeIjLj2EENS0_17counting_iteratorIjlEEPS9_SG_NS0_5tupleIJPjSI_NS0_16reverse_iteratorISI_EEEEENSH_IJSG_SG_SG_EEES9_SI_JZNS1_25segmented_radix_sort_implINS0_14default_configELb0EPKbPbPKlPlN2at6native12_GLOBAL__N_18offset_tEEE10hipError_tPvRmT1_PNSt15iterator_traitsIS12_E10value_typeET2_T3_PNS13_IS18_E10value_typeET4_jRbjT5_S1E_jjP12ihipStream_tbEUljE_ZNSN_ISO_Lb0ESQ_SR_ST_SU_SY_EESZ_S10_S11_S12_S16_S17_S18_S1B_S1C_jS1D_jS1E_S1E_jjS1G_bEUljE0_EEESZ_S10_S11_S18_S1C_S1E_T6_T7_T9_mT8_S1G_bDpT10_ENKUlT_T0_E_clISt17integral_constantIbLb1EES1T_IbLb0EEEEDaS1P_S1Q_EUlS1P_E_NS1_11comp_targetILNS1_3genE2ELNS1_11target_archE906ELNS1_3gpuE6ELNS1_3repE0EEENS1_30default_config_static_selectorELNS0_4arch9wavefront6targetE0EEEvS12_.has_recursion, 0
	.set _ZN7rocprim17ROCPRIM_400000_NS6detail17trampoline_kernelINS0_13select_configILj256ELj13ELNS0_17block_load_methodE3ELS4_3ELS4_3ELNS0_20block_scan_algorithmE0ELj4294967295EEENS1_25partition_config_selectorILNS1_17partition_subalgoE4EjNS0_10empty_typeEbEEZZNS1_14partition_implILS8_4ELb0ES6_15HIP_vector_typeIjLj2EENS0_17counting_iteratorIjlEEPS9_SG_NS0_5tupleIJPjSI_NS0_16reverse_iteratorISI_EEEEENSH_IJSG_SG_SG_EEES9_SI_JZNS1_25segmented_radix_sort_implINS0_14default_configELb0EPKbPbPKlPlN2at6native12_GLOBAL__N_18offset_tEEE10hipError_tPvRmT1_PNSt15iterator_traitsIS12_E10value_typeET2_T3_PNS13_IS18_E10value_typeET4_jRbjT5_S1E_jjP12ihipStream_tbEUljE_ZNSN_ISO_Lb0ESQ_SR_ST_SU_SY_EESZ_S10_S11_S12_S16_S17_S18_S1B_S1C_jS1D_jS1E_S1E_jjS1G_bEUljE0_EEESZ_S10_S11_S18_S1C_S1E_T6_T7_T9_mT8_S1G_bDpT10_ENKUlT_T0_E_clISt17integral_constantIbLb1EES1T_IbLb0EEEEDaS1P_S1Q_EUlS1P_E_NS1_11comp_targetILNS1_3genE2ELNS1_11target_archE906ELNS1_3gpuE6ELNS1_3repE0EEENS1_30default_config_static_selectorELNS0_4arch9wavefront6targetE0EEEvS12_.has_indirect_call, 0
	.section	.AMDGPU.csdata,"",@progbits
; Kernel info:
; codeLenInByte = 0
; TotalNumSgprs: 0
; NumVgprs: 0
; ScratchSize: 0
; MemoryBound: 0
; FloatMode: 240
; IeeeMode: 1
; LDSByteSize: 0 bytes/workgroup (compile time only)
; SGPRBlocks: 0
; VGPRBlocks: 0
; NumSGPRsForWavesPerEU: 1
; NumVGPRsForWavesPerEU: 1
; Occupancy: 16
; WaveLimiterHint : 0
; COMPUTE_PGM_RSRC2:SCRATCH_EN: 0
; COMPUTE_PGM_RSRC2:USER_SGPR: 6
; COMPUTE_PGM_RSRC2:TRAP_HANDLER: 0
; COMPUTE_PGM_RSRC2:TGID_X_EN: 1
; COMPUTE_PGM_RSRC2:TGID_Y_EN: 0
; COMPUTE_PGM_RSRC2:TGID_Z_EN: 0
; COMPUTE_PGM_RSRC2:TIDIG_COMP_CNT: 0
	.section	.text._ZN7rocprim17ROCPRIM_400000_NS6detail17trampoline_kernelINS0_13select_configILj256ELj13ELNS0_17block_load_methodE3ELS4_3ELS4_3ELNS0_20block_scan_algorithmE0ELj4294967295EEENS1_25partition_config_selectorILNS1_17partition_subalgoE4EjNS0_10empty_typeEbEEZZNS1_14partition_implILS8_4ELb0ES6_15HIP_vector_typeIjLj2EENS0_17counting_iteratorIjlEEPS9_SG_NS0_5tupleIJPjSI_NS0_16reverse_iteratorISI_EEEEENSH_IJSG_SG_SG_EEES9_SI_JZNS1_25segmented_radix_sort_implINS0_14default_configELb0EPKbPbPKlPlN2at6native12_GLOBAL__N_18offset_tEEE10hipError_tPvRmT1_PNSt15iterator_traitsIS12_E10value_typeET2_T3_PNS13_IS18_E10value_typeET4_jRbjT5_S1E_jjP12ihipStream_tbEUljE_ZNSN_ISO_Lb0ESQ_SR_ST_SU_SY_EESZ_S10_S11_S12_S16_S17_S18_S1B_S1C_jS1D_jS1E_S1E_jjS1G_bEUljE0_EEESZ_S10_S11_S18_S1C_S1E_T6_T7_T9_mT8_S1G_bDpT10_ENKUlT_T0_E_clISt17integral_constantIbLb1EES1T_IbLb0EEEEDaS1P_S1Q_EUlS1P_E_NS1_11comp_targetILNS1_3genE10ELNS1_11target_archE1200ELNS1_3gpuE4ELNS1_3repE0EEENS1_30default_config_static_selectorELNS0_4arch9wavefront6targetE0EEEvS12_,"axG",@progbits,_ZN7rocprim17ROCPRIM_400000_NS6detail17trampoline_kernelINS0_13select_configILj256ELj13ELNS0_17block_load_methodE3ELS4_3ELS4_3ELNS0_20block_scan_algorithmE0ELj4294967295EEENS1_25partition_config_selectorILNS1_17partition_subalgoE4EjNS0_10empty_typeEbEEZZNS1_14partition_implILS8_4ELb0ES6_15HIP_vector_typeIjLj2EENS0_17counting_iteratorIjlEEPS9_SG_NS0_5tupleIJPjSI_NS0_16reverse_iteratorISI_EEEEENSH_IJSG_SG_SG_EEES9_SI_JZNS1_25segmented_radix_sort_implINS0_14default_configELb0EPKbPbPKlPlN2at6native12_GLOBAL__N_18offset_tEEE10hipError_tPvRmT1_PNSt15iterator_traitsIS12_E10value_typeET2_T3_PNS13_IS18_E10value_typeET4_jRbjT5_S1E_jjP12ihipStream_tbEUljE_ZNSN_ISO_Lb0ESQ_SR_ST_SU_SY_EESZ_S10_S11_S12_S16_S17_S18_S1B_S1C_jS1D_jS1E_S1E_jjS1G_bEUljE0_EEESZ_S10_S11_S18_S1C_S1E_T6_T7_T9_mT8_S1G_bDpT10_ENKUlT_T0_E_clISt17integral_constantIbLb1EES1T_IbLb0EEEEDaS1P_S1Q_EUlS1P_E_NS1_11comp_targetILNS1_3genE10ELNS1_11target_archE1200ELNS1_3gpuE4ELNS1_3repE0EEENS1_30default_config_static_selectorELNS0_4arch9wavefront6targetE0EEEvS12_,comdat
	.globl	_ZN7rocprim17ROCPRIM_400000_NS6detail17trampoline_kernelINS0_13select_configILj256ELj13ELNS0_17block_load_methodE3ELS4_3ELS4_3ELNS0_20block_scan_algorithmE0ELj4294967295EEENS1_25partition_config_selectorILNS1_17partition_subalgoE4EjNS0_10empty_typeEbEEZZNS1_14partition_implILS8_4ELb0ES6_15HIP_vector_typeIjLj2EENS0_17counting_iteratorIjlEEPS9_SG_NS0_5tupleIJPjSI_NS0_16reverse_iteratorISI_EEEEENSH_IJSG_SG_SG_EEES9_SI_JZNS1_25segmented_radix_sort_implINS0_14default_configELb0EPKbPbPKlPlN2at6native12_GLOBAL__N_18offset_tEEE10hipError_tPvRmT1_PNSt15iterator_traitsIS12_E10value_typeET2_T3_PNS13_IS18_E10value_typeET4_jRbjT5_S1E_jjP12ihipStream_tbEUljE_ZNSN_ISO_Lb0ESQ_SR_ST_SU_SY_EESZ_S10_S11_S12_S16_S17_S18_S1B_S1C_jS1D_jS1E_S1E_jjS1G_bEUljE0_EEESZ_S10_S11_S18_S1C_S1E_T6_T7_T9_mT8_S1G_bDpT10_ENKUlT_T0_E_clISt17integral_constantIbLb1EES1T_IbLb0EEEEDaS1P_S1Q_EUlS1P_E_NS1_11comp_targetILNS1_3genE10ELNS1_11target_archE1200ELNS1_3gpuE4ELNS1_3repE0EEENS1_30default_config_static_selectorELNS0_4arch9wavefront6targetE0EEEvS12_ ; -- Begin function _ZN7rocprim17ROCPRIM_400000_NS6detail17trampoline_kernelINS0_13select_configILj256ELj13ELNS0_17block_load_methodE3ELS4_3ELS4_3ELNS0_20block_scan_algorithmE0ELj4294967295EEENS1_25partition_config_selectorILNS1_17partition_subalgoE4EjNS0_10empty_typeEbEEZZNS1_14partition_implILS8_4ELb0ES6_15HIP_vector_typeIjLj2EENS0_17counting_iteratorIjlEEPS9_SG_NS0_5tupleIJPjSI_NS0_16reverse_iteratorISI_EEEEENSH_IJSG_SG_SG_EEES9_SI_JZNS1_25segmented_radix_sort_implINS0_14default_configELb0EPKbPbPKlPlN2at6native12_GLOBAL__N_18offset_tEEE10hipError_tPvRmT1_PNSt15iterator_traitsIS12_E10value_typeET2_T3_PNS13_IS18_E10value_typeET4_jRbjT5_S1E_jjP12ihipStream_tbEUljE_ZNSN_ISO_Lb0ESQ_SR_ST_SU_SY_EESZ_S10_S11_S12_S16_S17_S18_S1B_S1C_jS1D_jS1E_S1E_jjS1G_bEUljE0_EEESZ_S10_S11_S18_S1C_S1E_T6_T7_T9_mT8_S1G_bDpT10_ENKUlT_T0_E_clISt17integral_constantIbLb1EES1T_IbLb0EEEEDaS1P_S1Q_EUlS1P_E_NS1_11comp_targetILNS1_3genE10ELNS1_11target_archE1200ELNS1_3gpuE4ELNS1_3repE0EEENS1_30default_config_static_selectorELNS0_4arch9wavefront6targetE0EEEvS12_
	.p2align	8
	.type	_ZN7rocprim17ROCPRIM_400000_NS6detail17trampoline_kernelINS0_13select_configILj256ELj13ELNS0_17block_load_methodE3ELS4_3ELS4_3ELNS0_20block_scan_algorithmE0ELj4294967295EEENS1_25partition_config_selectorILNS1_17partition_subalgoE4EjNS0_10empty_typeEbEEZZNS1_14partition_implILS8_4ELb0ES6_15HIP_vector_typeIjLj2EENS0_17counting_iteratorIjlEEPS9_SG_NS0_5tupleIJPjSI_NS0_16reverse_iteratorISI_EEEEENSH_IJSG_SG_SG_EEES9_SI_JZNS1_25segmented_radix_sort_implINS0_14default_configELb0EPKbPbPKlPlN2at6native12_GLOBAL__N_18offset_tEEE10hipError_tPvRmT1_PNSt15iterator_traitsIS12_E10value_typeET2_T3_PNS13_IS18_E10value_typeET4_jRbjT5_S1E_jjP12ihipStream_tbEUljE_ZNSN_ISO_Lb0ESQ_SR_ST_SU_SY_EESZ_S10_S11_S12_S16_S17_S18_S1B_S1C_jS1D_jS1E_S1E_jjS1G_bEUljE0_EEESZ_S10_S11_S18_S1C_S1E_T6_T7_T9_mT8_S1G_bDpT10_ENKUlT_T0_E_clISt17integral_constantIbLb1EES1T_IbLb0EEEEDaS1P_S1Q_EUlS1P_E_NS1_11comp_targetILNS1_3genE10ELNS1_11target_archE1200ELNS1_3gpuE4ELNS1_3repE0EEENS1_30default_config_static_selectorELNS0_4arch9wavefront6targetE0EEEvS12_,@function
_ZN7rocprim17ROCPRIM_400000_NS6detail17trampoline_kernelINS0_13select_configILj256ELj13ELNS0_17block_load_methodE3ELS4_3ELS4_3ELNS0_20block_scan_algorithmE0ELj4294967295EEENS1_25partition_config_selectorILNS1_17partition_subalgoE4EjNS0_10empty_typeEbEEZZNS1_14partition_implILS8_4ELb0ES6_15HIP_vector_typeIjLj2EENS0_17counting_iteratorIjlEEPS9_SG_NS0_5tupleIJPjSI_NS0_16reverse_iteratorISI_EEEEENSH_IJSG_SG_SG_EEES9_SI_JZNS1_25segmented_radix_sort_implINS0_14default_configELb0EPKbPbPKlPlN2at6native12_GLOBAL__N_18offset_tEEE10hipError_tPvRmT1_PNSt15iterator_traitsIS12_E10value_typeET2_T3_PNS13_IS18_E10value_typeET4_jRbjT5_S1E_jjP12ihipStream_tbEUljE_ZNSN_ISO_Lb0ESQ_SR_ST_SU_SY_EESZ_S10_S11_S12_S16_S17_S18_S1B_S1C_jS1D_jS1E_S1E_jjS1G_bEUljE0_EEESZ_S10_S11_S18_S1C_S1E_T6_T7_T9_mT8_S1G_bDpT10_ENKUlT_T0_E_clISt17integral_constantIbLb1EES1T_IbLb0EEEEDaS1P_S1Q_EUlS1P_E_NS1_11comp_targetILNS1_3genE10ELNS1_11target_archE1200ELNS1_3gpuE4ELNS1_3repE0EEENS1_30default_config_static_selectorELNS0_4arch9wavefront6targetE0EEEvS12_: ; @_ZN7rocprim17ROCPRIM_400000_NS6detail17trampoline_kernelINS0_13select_configILj256ELj13ELNS0_17block_load_methodE3ELS4_3ELS4_3ELNS0_20block_scan_algorithmE0ELj4294967295EEENS1_25partition_config_selectorILNS1_17partition_subalgoE4EjNS0_10empty_typeEbEEZZNS1_14partition_implILS8_4ELb0ES6_15HIP_vector_typeIjLj2EENS0_17counting_iteratorIjlEEPS9_SG_NS0_5tupleIJPjSI_NS0_16reverse_iteratorISI_EEEEENSH_IJSG_SG_SG_EEES9_SI_JZNS1_25segmented_radix_sort_implINS0_14default_configELb0EPKbPbPKlPlN2at6native12_GLOBAL__N_18offset_tEEE10hipError_tPvRmT1_PNSt15iterator_traitsIS12_E10value_typeET2_T3_PNS13_IS18_E10value_typeET4_jRbjT5_S1E_jjP12ihipStream_tbEUljE_ZNSN_ISO_Lb0ESQ_SR_ST_SU_SY_EESZ_S10_S11_S12_S16_S17_S18_S1B_S1C_jS1D_jS1E_S1E_jjS1G_bEUljE0_EEESZ_S10_S11_S18_S1C_S1E_T6_T7_T9_mT8_S1G_bDpT10_ENKUlT_T0_E_clISt17integral_constantIbLb1EES1T_IbLb0EEEEDaS1P_S1Q_EUlS1P_E_NS1_11comp_targetILNS1_3genE10ELNS1_11target_archE1200ELNS1_3gpuE4ELNS1_3repE0EEENS1_30default_config_static_selectorELNS0_4arch9wavefront6targetE0EEEvS12_
; %bb.0:
	.section	.rodata,"a",@progbits
	.p2align	6, 0x0
	.amdhsa_kernel _ZN7rocprim17ROCPRIM_400000_NS6detail17trampoline_kernelINS0_13select_configILj256ELj13ELNS0_17block_load_methodE3ELS4_3ELS4_3ELNS0_20block_scan_algorithmE0ELj4294967295EEENS1_25partition_config_selectorILNS1_17partition_subalgoE4EjNS0_10empty_typeEbEEZZNS1_14partition_implILS8_4ELb0ES6_15HIP_vector_typeIjLj2EENS0_17counting_iteratorIjlEEPS9_SG_NS0_5tupleIJPjSI_NS0_16reverse_iteratorISI_EEEEENSH_IJSG_SG_SG_EEES9_SI_JZNS1_25segmented_radix_sort_implINS0_14default_configELb0EPKbPbPKlPlN2at6native12_GLOBAL__N_18offset_tEEE10hipError_tPvRmT1_PNSt15iterator_traitsIS12_E10value_typeET2_T3_PNS13_IS18_E10value_typeET4_jRbjT5_S1E_jjP12ihipStream_tbEUljE_ZNSN_ISO_Lb0ESQ_SR_ST_SU_SY_EESZ_S10_S11_S12_S16_S17_S18_S1B_S1C_jS1D_jS1E_S1E_jjS1G_bEUljE0_EEESZ_S10_S11_S18_S1C_S1E_T6_T7_T9_mT8_S1G_bDpT10_ENKUlT_T0_E_clISt17integral_constantIbLb1EES1T_IbLb0EEEEDaS1P_S1Q_EUlS1P_E_NS1_11comp_targetILNS1_3genE10ELNS1_11target_archE1200ELNS1_3gpuE4ELNS1_3repE0EEENS1_30default_config_static_selectorELNS0_4arch9wavefront6targetE0EEEvS12_
		.amdhsa_group_segment_fixed_size 0
		.amdhsa_private_segment_fixed_size 0
		.amdhsa_kernarg_size 176
		.amdhsa_user_sgpr_count 6
		.amdhsa_user_sgpr_private_segment_buffer 1
		.amdhsa_user_sgpr_dispatch_ptr 0
		.amdhsa_user_sgpr_queue_ptr 0
		.amdhsa_user_sgpr_kernarg_segment_ptr 1
		.amdhsa_user_sgpr_dispatch_id 0
		.amdhsa_user_sgpr_flat_scratch_init 0
		.amdhsa_user_sgpr_private_segment_size 0
		.amdhsa_wavefront_size32 1
		.amdhsa_uses_dynamic_stack 0
		.amdhsa_system_sgpr_private_segment_wavefront_offset 0
		.amdhsa_system_sgpr_workgroup_id_x 1
		.amdhsa_system_sgpr_workgroup_id_y 0
		.amdhsa_system_sgpr_workgroup_id_z 0
		.amdhsa_system_sgpr_workgroup_info 0
		.amdhsa_system_vgpr_workitem_id 0
		.amdhsa_next_free_vgpr 1
		.amdhsa_next_free_sgpr 1
		.amdhsa_reserve_vcc 0
		.amdhsa_reserve_flat_scratch 0
		.amdhsa_float_round_mode_32 0
		.amdhsa_float_round_mode_16_64 0
		.amdhsa_float_denorm_mode_32 3
		.amdhsa_float_denorm_mode_16_64 3
		.amdhsa_dx10_clamp 1
		.amdhsa_ieee_mode 1
		.amdhsa_fp16_overflow 0
		.amdhsa_workgroup_processor_mode 1
		.amdhsa_memory_ordered 1
		.amdhsa_forward_progress 1
		.amdhsa_shared_vgpr_count 0
		.amdhsa_exception_fp_ieee_invalid_op 0
		.amdhsa_exception_fp_denorm_src 0
		.amdhsa_exception_fp_ieee_div_zero 0
		.amdhsa_exception_fp_ieee_overflow 0
		.amdhsa_exception_fp_ieee_underflow 0
		.amdhsa_exception_fp_ieee_inexact 0
		.amdhsa_exception_int_div_zero 0
	.end_amdhsa_kernel
	.section	.text._ZN7rocprim17ROCPRIM_400000_NS6detail17trampoline_kernelINS0_13select_configILj256ELj13ELNS0_17block_load_methodE3ELS4_3ELS4_3ELNS0_20block_scan_algorithmE0ELj4294967295EEENS1_25partition_config_selectorILNS1_17partition_subalgoE4EjNS0_10empty_typeEbEEZZNS1_14partition_implILS8_4ELb0ES6_15HIP_vector_typeIjLj2EENS0_17counting_iteratorIjlEEPS9_SG_NS0_5tupleIJPjSI_NS0_16reverse_iteratorISI_EEEEENSH_IJSG_SG_SG_EEES9_SI_JZNS1_25segmented_radix_sort_implINS0_14default_configELb0EPKbPbPKlPlN2at6native12_GLOBAL__N_18offset_tEEE10hipError_tPvRmT1_PNSt15iterator_traitsIS12_E10value_typeET2_T3_PNS13_IS18_E10value_typeET4_jRbjT5_S1E_jjP12ihipStream_tbEUljE_ZNSN_ISO_Lb0ESQ_SR_ST_SU_SY_EESZ_S10_S11_S12_S16_S17_S18_S1B_S1C_jS1D_jS1E_S1E_jjS1G_bEUljE0_EEESZ_S10_S11_S18_S1C_S1E_T6_T7_T9_mT8_S1G_bDpT10_ENKUlT_T0_E_clISt17integral_constantIbLb1EES1T_IbLb0EEEEDaS1P_S1Q_EUlS1P_E_NS1_11comp_targetILNS1_3genE10ELNS1_11target_archE1200ELNS1_3gpuE4ELNS1_3repE0EEENS1_30default_config_static_selectorELNS0_4arch9wavefront6targetE0EEEvS12_,"axG",@progbits,_ZN7rocprim17ROCPRIM_400000_NS6detail17trampoline_kernelINS0_13select_configILj256ELj13ELNS0_17block_load_methodE3ELS4_3ELS4_3ELNS0_20block_scan_algorithmE0ELj4294967295EEENS1_25partition_config_selectorILNS1_17partition_subalgoE4EjNS0_10empty_typeEbEEZZNS1_14partition_implILS8_4ELb0ES6_15HIP_vector_typeIjLj2EENS0_17counting_iteratorIjlEEPS9_SG_NS0_5tupleIJPjSI_NS0_16reverse_iteratorISI_EEEEENSH_IJSG_SG_SG_EEES9_SI_JZNS1_25segmented_radix_sort_implINS0_14default_configELb0EPKbPbPKlPlN2at6native12_GLOBAL__N_18offset_tEEE10hipError_tPvRmT1_PNSt15iterator_traitsIS12_E10value_typeET2_T3_PNS13_IS18_E10value_typeET4_jRbjT5_S1E_jjP12ihipStream_tbEUljE_ZNSN_ISO_Lb0ESQ_SR_ST_SU_SY_EESZ_S10_S11_S12_S16_S17_S18_S1B_S1C_jS1D_jS1E_S1E_jjS1G_bEUljE0_EEESZ_S10_S11_S18_S1C_S1E_T6_T7_T9_mT8_S1G_bDpT10_ENKUlT_T0_E_clISt17integral_constantIbLb1EES1T_IbLb0EEEEDaS1P_S1Q_EUlS1P_E_NS1_11comp_targetILNS1_3genE10ELNS1_11target_archE1200ELNS1_3gpuE4ELNS1_3repE0EEENS1_30default_config_static_selectorELNS0_4arch9wavefront6targetE0EEEvS12_,comdat
.Lfunc_end1583:
	.size	_ZN7rocprim17ROCPRIM_400000_NS6detail17trampoline_kernelINS0_13select_configILj256ELj13ELNS0_17block_load_methodE3ELS4_3ELS4_3ELNS0_20block_scan_algorithmE0ELj4294967295EEENS1_25partition_config_selectorILNS1_17partition_subalgoE4EjNS0_10empty_typeEbEEZZNS1_14partition_implILS8_4ELb0ES6_15HIP_vector_typeIjLj2EENS0_17counting_iteratorIjlEEPS9_SG_NS0_5tupleIJPjSI_NS0_16reverse_iteratorISI_EEEEENSH_IJSG_SG_SG_EEES9_SI_JZNS1_25segmented_radix_sort_implINS0_14default_configELb0EPKbPbPKlPlN2at6native12_GLOBAL__N_18offset_tEEE10hipError_tPvRmT1_PNSt15iterator_traitsIS12_E10value_typeET2_T3_PNS13_IS18_E10value_typeET4_jRbjT5_S1E_jjP12ihipStream_tbEUljE_ZNSN_ISO_Lb0ESQ_SR_ST_SU_SY_EESZ_S10_S11_S12_S16_S17_S18_S1B_S1C_jS1D_jS1E_S1E_jjS1G_bEUljE0_EEESZ_S10_S11_S18_S1C_S1E_T6_T7_T9_mT8_S1G_bDpT10_ENKUlT_T0_E_clISt17integral_constantIbLb1EES1T_IbLb0EEEEDaS1P_S1Q_EUlS1P_E_NS1_11comp_targetILNS1_3genE10ELNS1_11target_archE1200ELNS1_3gpuE4ELNS1_3repE0EEENS1_30default_config_static_selectorELNS0_4arch9wavefront6targetE0EEEvS12_, .Lfunc_end1583-_ZN7rocprim17ROCPRIM_400000_NS6detail17trampoline_kernelINS0_13select_configILj256ELj13ELNS0_17block_load_methodE3ELS4_3ELS4_3ELNS0_20block_scan_algorithmE0ELj4294967295EEENS1_25partition_config_selectorILNS1_17partition_subalgoE4EjNS0_10empty_typeEbEEZZNS1_14partition_implILS8_4ELb0ES6_15HIP_vector_typeIjLj2EENS0_17counting_iteratorIjlEEPS9_SG_NS0_5tupleIJPjSI_NS0_16reverse_iteratorISI_EEEEENSH_IJSG_SG_SG_EEES9_SI_JZNS1_25segmented_radix_sort_implINS0_14default_configELb0EPKbPbPKlPlN2at6native12_GLOBAL__N_18offset_tEEE10hipError_tPvRmT1_PNSt15iterator_traitsIS12_E10value_typeET2_T3_PNS13_IS18_E10value_typeET4_jRbjT5_S1E_jjP12ihipStream_tbEUljE_ZNSN_ISO_Lb0ESQ_SR_ST_SU_SY_EESZ_S10_S11_S12_S16_S17_S18_S1B_S1C_jS1D_jS1E_S1E_jjS1G_bEUljE0_EEESZ_S10_S11_S18_S1C_S1E_T6_T7_T9_mT8_S1G_bDpT10_ENKUlT_T0_E_clISt17integral_constantIbLb1EES1T_IbLb0EEEEDaS1P_S1Q_EUlS1P_E_NS1_11comp_targetILNS1_3genE10ELNS1_11target_archE1200ELNS1_3gpuE4ELNS1_3repE0EEENS1_30default_config_static_selectorELNS0_4arch9wavefront6targetE0EEEvS12_
                                        ; -- End function
	.set _ZN7rocprim17ROCPRIM_400000_NS6detail17trampoline_kernelINS0_13select_configILj256ELj13ELNS0_17block_load_methodE3ELS4_3ELS4_3ELNS0_20block_scan_algorithmE0ELj4294967295EEENS1_25partition_config_selectorILNS1_17partition_subalgoE4EjNS0_10empty_typeEbEEZZNS1_14partition_implILS8_4ELb0ES6_15HIP_vector_typeIjLj2EENS0_17counting_iteratorIjlEEPS9_SG_NS0_5tupleIJPjSI_NS0_16reverse_iteratorISI_EEEEENSH_IJSG_SG_SG_EEES9_SI_JZNS1_25segmented_radix_sort_implINS0_14default_configELb0EPKbPbPKlPlN2at6native12_GLOBAL__N_18offset_tEEE10hipError_tPvRmT1_PNSt15iterator_traitsIS12_E10value_typeET2_T3_PNS13_IS18_E10value_typeET4_jRbjT5_S1E_jjP12ihipStream_tbEUljE_ZNSN_ISO_Lb0ESQ_SR_ST_SU_SY_EESZ_S10_S11_S12_S16_S17_S18_S1B_S1C_jS1D_jS1E_S1E_jjS1G_bEUljE0_EEESZ_S10_S11_S18_S1C_S1E_T6_T7_T9_mT8_S1G_bDpT10_ENKUlT_T0_E_clISt17integral_constantIbLb1EES1T_IbLb0EEEEDaS1P_S1Q_EUlS1P_E_NS1_11comp_targetILNS1_3genE10ELNS1_11target_archE1200ELNS1_3gpuE4ELNS1_3repE0EEENS1_30default_config_static_selectorELNS0_4arch9wavefront6targetE0EEEvS12_.num_vgpr, 0
	.set _ZN7rocprim17ROCPRIM_400000_NS6detail17trampoline_kernelINS0_13select_configILj256ELj13ELNS0_17block_load_methodE3ELS4_3ELS4_3ELNS0_20block_scan_algorithmE0ELj4294967295EEENS1_25partition_config_selectorILNS1_17partition_subalgoE4EjNS0_10empty_typeEbEEZZNS1_14partition_implILS8_4ELb0ES6_15HIP_vector_typeIjLj2EENS0_17counting_iteratorIjlEEPS9_SG_NS0_5tupleIJPjSI_NS0_16reverse_iteratorISI_EEEEENSH_IJSG_SG_SG_EEES9_SI_JZNS1_25segmented_radix_sort_implINS0_14default_configELb0EPKbPbPKlPlN2at6native12_GLOBAL__N_18offset_tEEE10hipError_tPvRmT1_PNSt15iterator_traitsIS12_E10value_typeET2_T3_PNS13_IS18_E10value_typeET4_jRbjT5_S1E_jjP12ihipStream_tbEUljE_ZNSN_ISO_Lb0ESQ_SR_ST_SU_SY_EESZ_S10_S11_S12_S16_S17_S18_S1B_S1C_jS1D_jS1E_S1E_jjS1G_bEUljE0_EEESZ_S10_S11_S18_S1C_S1E_T6_T7_T9_mT8_S1G_bDpT10_ENKUlT_T0_E_clISt17integral_constantIbLb1EES1T_IbLb0EEEEDaS1P_S1Q_EUlS1P_E_NS1_11comp_targetILNS1_3genE10ELNS1_11target_archE1200ELNS1_3gpuE4ELNS1_3repE0EEENS1_30default_config_static_selectorELNS0_4arch9wavefront6targetE0EEEvS12_.num_agpr, 0
	.set _ZN7rocprim17ROCPRIM_400000_NS6detail17trampoline_kernelINS0_13select_configILj256ELj13ELNS0_17block_load_methodE3ELS4_3ELS4_3ELNS0_20block_scan_algorithmE0ELj4294967295EEENS1_25partition_config_selectorILNS1_17partition_subalgoE4EjNS0_10empty_typeEbEEZZNS1_14partition_implILS8_4ELb0ES6_15HIP_vector_typeIjLj2EENS0_17counting_iteratorIjlEEPS9_SG_NS0_5tupleIJPjSI_NS0_16reverse_iteratorISI_EEEEENSH_IJSG_SG_SG_EEES9_SI_JZNS1_25segmented_radix_sort_implINS0_14default_configELb0EPKbPbPKlPlN2at6native12_GLOBAL__N_18offset_tEEE10hipError_tPvRmT1_PNSt15iterator_traitsIS12_E10value_typeET2_T3_PNS13_IS18_E10value_typeET4_jRbjT5_S1E_jjP12ihipStream_tbEUljE_ZNSN_ISO_Lb0ESQ_SR_ST_SU_SY_EESZ_S10_S11_S12_S16_S17_S18_S1B_S1C_jS1D_jS1E_S1E_jjS1G_bEUljE0_EEESZ_S10_S11_S18_S1C_S1E_T6_T7_T9_mT8_S1G_bDpT10_ENKUlT_T0_E_clISt17integral_constantIbLb1EES1T_IbLb0EEEEDaS1P_S1Q_EUlS1P_E_NS1_11comp_targetILNS1_3genE10ELNS1_11target_archE1200ELNS1_3gpuE4ELNS1_3repE0EEENS1_30default_config_static_selectorELNS0_4arch9wavefront6targetE0EEEvS12_.numbered_sgpr, 0
	.set _ZN7rocprim17ROCPRIM_400000_NS6detail17trampoline_kernelINS0_13select_configILj256ELj13ELNS0_17block_load_methodE3ELS4_3ELS4_3ELNS0_20block_scan_algorithmE0ELj4294967295EEENS1_25partition_config_selectorILNS1_17partition_subalgoE4EjNS0_10empty_typeEbEEZZNS1_14partition_implILS8_4ELb0ES6_15HIP_vector_typeIjLj2EENS0_17counting_iteratorIjlEEPS9_SG_NS0_5tupleIJPjSI_NS0_16reverse_iteratorISI_EEEEENSH_IJSG_SG_SG_EEES9_SI_JZNS1_25segmented_radix_sort_implINS0_14default_configELb0EPKbPbPKlPlN2at6native12_GLOBAL__N_18offset_tEEE10hipError_tPvRmT1_PNSt15iterator_traitsIS12_E10value_typeET2_T3_PNS13_IS18_E10value_typeET4_jRbjT5_S1E_jjP12ihipStream_tbEUljE_ZNSN_ISO_Lb0ESQ_SR_ST_SU_SY_EESZ_S10_S11_S12_S16_S17_S18_S1B_S1C_jS1D_jS1E_S1E_jjS1G_bEUljE0_EEESZ_S10_S11_S18_S1C_S1E_T6_T7_T9_mT8_S1G_bDpT10_ENKUlT_T0_E_clISt17integral_constantIbLb1EES1T_IbLb0EEEEDaS1P_S1Q_EUlS1P_E_NS1_11comp_targetILNS1_3genE10ELNS1_11target_archE1200ELNS1_3gpuE4ELNS1_3repE0EEENS1_30default_config_static_selectorELNS0_4arch9wavefront6targetE0EEEvS12_.num_named_barrier, 0
	.set _ZN7rocprim17ROCPRIM_400000_NS6detail17trampoline_kernelINS0_13select_configILj256ELj13ELNS0_17block_load_methodE3ELS4_3ELS4_3ELNS0_20block_scan_algorithmE0ELj4294967295EEENS1_25partition_config_selectorILNS1_17partition_subalgoE4EjNS0_10empty_typeEbEEZZNS1_14partition_implILS8_4ELb0ES6_15HIP_vector_typeIjLj2EENS0_17counting_iteratorIjlEEPS9_SG_NS0_5tupleIJPjSI_NS0_16reverse_iteratorISI_EEEEENSH_IJSG_SG_SG_EEES9_SI_JZNS1_25segmented_radix_sort_implINS0_14default_configELb0EPKbPbPKlPlN2at6native12_GLOBAL__N_18offset_tEEE10hipError_tPvRmT1_PNSt15iterator_traitsIS12_E10value_typeET2_T3_PNS13_IS18_E10value_typeET4_jRbjT5_S1E_jjP12ihipStream_tbEUljE_ZNSN_ISO_Lb0ESQ_SR_ST_SU_SY_EESZ_S10_S11_S12_S16_S17_S18_S1B_S1C_jS1D_jS1E_S1E_jjS1G_bEUljE0_EEESZ_S10_S11_S18_S1C_S1E_T6_T7_T9_mT8_S1G_bDpT10_ENKUlT_T0_E_clISt17integral_constantIbLb1EES1T_IbLb0EEEEDaS1P_S1Q_EUlS1P_E_NS1_11comp_targetILNS1_3genE10ELNS1_11target_archE1200ELNS1_3gpuE4ELNS1_3repE0EEENS1_30default_config_static_selectorELNS0_4arch9wavefront6targetE0EEEvS12_.private_seg_size, 0
	.set _ZN7rocprim17ROCPRIM_400000_NS6detail17trampoline_kernelINS0_13select_configILj256ELj13ELNS0_17block_load_methodE3ELS4_3ELS4_3ELNS0_20block_scan_algorithmE0ELj4294967295EEENS1_25partition_config_selectorILNS1_17partition_subalgoE4EjNS0_10empty_typeEbEEZZNS1_14partition_implILS8_4ELb0ES6_15HIP_vector_typeIjLj2EENS0_17counting_iteratorIjlEEPS9_SG_NS0_5tupleIJPjSI_NS0_16reverse_iteratorISI_EEEEENSH_IJSG_SG_SG_EEES9_SI_JZNS1_25segmented_radix_sort_implINS0_14default_configELb0EPKbPbPKlPlN2at6native12_GLOBAL__N_18offset_tEEE10hipError_tPvRmT1_PNSt15iterator_traitsIS12_E10value_typeET2_T3_PNS13_IS18_E10value_typeET4_jRbjT5_S1E_jjP12ihipStream_tbEUljE_ZNSN_ISO_Lb0ESQ_SR_ST_SU_SY_EESZ_S10_S11_S12_S16_S17_S18_S1B_S1C_jS1D_jS1E_S1E_jjS1G_bEUljE0_EEESZ_S10_S11_S18_S1C_S1E_T6_T7_T9_mT8_S1G_bDpT10_ENKUlT_T0_E_clISt17integral_constantIbLb1EES1T_IbLb0EEEEDaS1P_S1Q_EUlS1P_E_NS1_11comp_targetILNS1_3genE10ELNS1_11target_archE1200ELNS1_3gpuE4ELNS1_3repE0EEENS1_30default_config_static_selectorELNS0_4arch9wavefront6targetE0EEEvS12_.uses_vcc, 0
	.set _ZN7rocprim17ROCPRIM_400000_NS6detail17trampoline_kernelINS0_13select_configILj256ELj13ELNS0_17block_load_methodE3ELS4_3ELS4_3ELNS0_20block_scan_algorithmE0ELj4294967295EEENS1_25partition_config_selectorILNS1_17partition_subalgoE4EjNS0_10empty_typeEbEEZZNS1_14partition_implILS8_4ELb0ES6_15HIP_vector_typeIjLj2EENS0_17counting_iteratorIjlEEPS9_SG_NS0_5tupleIJPjSI_NS0_16reverse_iteratorISI_EEEEENSH_IJSG_SG_SG_EEES9_SI_JZNS1_25segmented_radix_sort_implINS0_14default_configELb0EPKbPbPKlPlN2at6native12_GLOBAL__N_18offset_tEEE10hipError_tPvRmT1_PNSt15iterator_traitsIS12_E10value_typeET2_T3_PNS13_IS18_E10value_typeET4_jRbjT5_S1E_jjP12ihipStream_tbEUljE_ZNSN_ISO_Lb0ESQ_SR_ST_SU_SY_EESZ_S10_S11_S12_S16_S17_S18_S1B_S1C_jS1D_jS1E_S1E_jjS1G_bEUljE0_EEESZ_S10_S11_S18_S1C_S1E_T6_T7_T9_mT8_S1G_bDpT10_ENKUlT_T0_E_clISt17integral_constantIbLb1EES1T_IbLb0EEEEDaS1P_S1Q_EUlS1P_E_NS1_11comp_targetILNS1_3genE10ELNS1_11target_archE1200ELNS1_3gpuE4ELNS1_3repE0EEENS1_30default_config_static_selectorELNS0_4arch9wavefront6targetE0EEEvS12_.uses_flat_scratch, 0
	.set _ZN7rocprim17ROCPRIM_400000_NS6detail17trampoline_kernelINS0_13select_configILj256ELj13ELNS0_17block_load_methodE3ELS4_3ELS4_3ELNS0_20block_scan_algorithmE0ELj4294967295EEENS1_25partition_config_selectorILNS1_17partition_subalgoE4EjNS0_10empty_typeEbEEZZNS1_14partition_implILS8_4ELb0ES6_15HIP_vector_typeIjLj2EENS0_17counting_iteratorIjlEEPS9_SG_NS0_5tupleIJPjSI_NS0_16reverse_iteratorISI_EEEEENSH_IJSG_SG_SG_EEES9_SI_JZNS1_25segmented_radix_sort_implINS0_14default_configELb0EPKbPbPKlPlN2at6native12_GLOBAL__N_18offset_tEEE10hipError_tPvRmT1_PNSt15iterator_traitsIS12_E10value_typeET2_T3_PNS13_IS18_E10value_typeET4_jRbjT5_S1E_jjP12ihipStream_tbEUljE_ZNSN_ISO_Lb0ESQ_SR_ST_SU_SY_EESZ_S10_S11_S12_S16_S17_S18_S1B_S1C_jS1D_jS1E_S1E_jjS1G_bEUljE0_EEESZ_S10_S11_S18_S1C_S1E_T6_T7_T9_mT8_S1G_bDpT10_ENKUlT_T0_E_clISt17integral_constantIbLb1EES1T_IbLb0EEEEDaS1P_S1Q_EUlS1P_E_NS1_11comp_targetILNS1_3genE10ELNS1_11target_archE1200ELNS1_3gpuE4ELNS1_3repE0EEENS1_30default_config_static_selectorELNS0_4arch9wavefront6targetE0EEEvS12_.has_dyn_sized_stack, 0
	.set _ZN7rocprim17ROCPRIM_400000_NS6detail17trampoline_kernelINS0_13select_configILj256ELj13ELNS0_17block_load_methodE3ELS4_3ELS4_3ELNS0_20block_scan_algorithmE0ELj4294967295EEENS1_25partition_config_selectorILNS1_17partition_subalgoE4EjNS0_10empty_typeEbEEZZNS1_14partition_implILS8_4ELb0ES6_15HIP_vector_typeIjLj2EENS0_17counting_iteratorIjlEEPS9_SG_NS0_5tupleIJPjSI_NS0_16reverse_iteratorISI_EEEEENSH_IJSG_SG_SG_EEES9_SI_JZNS1_25segmented_radix_sort_implINS0_14default_configELb0EPKbPbPKlPlN2at6native12_GLOBAL__N_18offset_tEEE10hipError_tPvRmT1_PNSt15iterator_traitsIS12_E10value_typeET2_T3_PNS13_IS18_E10value_typeET4_jRbjT5_S1E_jjP12ihipStream_tbEUljE_ZNSN_ISO_Lb0ESQ_SR_ST_SU_SY_EESZ_S10_S11_S12_S16_S17_S18_S1B_S1C_jS1D_jS1E_S1E_jjS1G_bEUljE0_EEESZ_S10_S11_S18_S1C_S1E_T6_T7_T9_mT8_S1G_bDpT10_ENKUlT_T0_E_clISt17integral_constantIbLb1EES1T_IbLb0EEEEDaS1P_S1Q_EUlS1P_E_NS1_11comp_targetILNS1_3genE10ELNS1_11target_archE1200ELNS1_3gpuE4ELNS1_3repE0EEENS1_30default_config_static_selectorELNS0_4arch9wavefront6targetE0EEEvS12_.has_recursion, 0
	.set _ZN7rocprim17ROCPRIM_400000_NS6detail17trampoline_kernelINS0_13select_configILj256ELj13ELNS0_17block_load_methodE3ELS4_3ELS4_3ELNS0_20block_scan_algorithmE0ELj4294967295EEENS1_25partition_config_selectorILNS1_17partition_subalgoE4EjNS0_10empty_typeEbEEZZNS1_14partition_implILS8_4ELb0ES6_15HIP_vector_typeIjLj2EENS0_17counting_iteratorIjlEEPS9_SG_NS0_5tupleIJPjSI_NS0_16reverse_iteratorISI_EEEEENSH_IJSG_SG_SG_EEES9_SI_JZNS1_25segmented_radix_sort_implINS0_14default_configELb0EPKbPbPKlPlN2at6native12_GLOBAL__N_18offset_tEEE10hipError_tPvRmT1_PNSt15iterator_traitsIS12_E10value_typeET2_T3_PNS13_IS18_E10value_typeET4_jRbjT5_S1E_jjP12ihipStream_tbEUljE_ZNSN_ISO_Lb0ESQ_SR_ST_SU_SY_EESZ_S10_S11_S12_S16_S17_S18_S1B_S1C_jS1D_jS1E_S1E_jjS1G_bEUljE0_EEESZ_S10_S11_S18_S1C_S1E_T6_T7_T9_mT8_S1G_bDpT10_ENKUlT_T0_E_clISt17integral_constantIbLb1EES1T_IbLb0EEEEDaS1P_S1Q_EUlS1P_E_NS1_11comp_targetILNS1_3genE10ELNS1_11target_archE1200ELNS1_3gpuE4ELNS1_3repE0EEENS1_30default_config_static_selectorELNS0_4arch9wavefront6targetE0EEEvS12_.has_indirect_call, 0
	.section	.AMDGPU.csdata,"",@progbits
; Kernel info:
; codeLenInByte = 0
; TotalNumSgprs: 0
; NumVgprs: 0
; ScratchSize: 0
; MemoryBound: 0
; FloatMode: 240
; IeeeMode: 1
; LDSByteSize: 0 bytes/workgroup (compile time only)
; SGPRBlocks: 0
; VGPRBlocks: 0
; NumSGPRsForWavesPerEU: 1
; NumVGPRsForWavesPerEU: 1
; Occupancy: 16
; WaveLimiterHint : 0
; COMPUTE_PGM_RSRC2:SCRATCH_EN: 0
; COMPUTE_PGM_RSRC2:USER_SGPR: 6
; COMPUTE_PGM_RSRC2:TRAP_HANDLER: 0
; COMPUTE_PGM_RSRC2:TGID_X_EN: 1
; COMPUTE_PGM_RSRC2:TGID_Y_EN: 0
; COMPUTE_PGM_RSRC2:TGID_Z_EN: 0
; COMPUTE_PGM_RSRC2:TIDIG_COMP_CNT: 0
	.section	.text._ZN7rocprim17ROCPRIM_400000_NS6detail17trampoline_kernelINS0_13select_configILj256ELj13ELNS0_17block_load_methodE3ELS4_3ELS4_3ELNS0_20block_scan_algorithmE0ELj4294967295EEENS1_25partition_config_selectorILNS1_17partition_subalgoE4EjNS0_10empty_typeEbEEZZNS1_14partition_implILS8_4ELb0ES6_15HIP_vector_typeIjLj2EENS0_17counting_iteratorIjlEEPS9_SG_NS0_5tupleIJPjSI_NS0_16reverse_iteratorISI_EEEEENSH_IJSG_SG_SG_EEES9_SI_JZNS1_25segmented_radix_sort_implINS0_14default_configELb0EPKbPbPKlPlN2at6native12_GLOBAL__N_18offset_tEEE10hipError_tPvRmT1_PNSt15iterator_traitsIS12_E10value_typeET2_T3_PNS13_IS18_E10value_typeET4_jRbjT5_S1E_jjP12ihipStream_tbEUljE_ZNSN_ISO_Lb0ESQ_SR_ST_SU_SY_EESZ_S10_S11_S12_S16_S17_S18_S1B_S1C_jS1D_jS1E_S1E_jjS1G_bEUljE0_EEESZ_S10_S11_S18_S1C_S1E_T6_T7_T9_mT8_S1G_bDpT10_ENKUlT_T0_E_clISt17integral_constantIbLb1EES1T_IbLb0EEEEDaS1P_S1Q_EUlS1P_E_NS1_11comp_targetILNS1_3genE9ELNS1_11target_archE1100ELNS1_3gpuE3ELNS1_3repE0EEENS1_30default_config_static_selectorELNS0_4arch9wavefront6targetE0EEEvS12_,"axG",@progbits,_ZN7rocprim17ROCPRIM_400000_NS6detail17trampoline_kernelINS0_13select_configILj256ELj13ELNS0_17block_load_methodE3ELS4_3ELS4_3ELNS0_20block_scan_algorithmE0ELj4294967295EEENS1_25partition_config_selectorILNS1_17partition_subalgoE4EjNS0_10empty_typeEbEEZZNS1_14partition_implILS8_4ELb0ES6_15HIP_vector_typeIjLj2EENS0_17counting_iteratorIjlEEPS9_SG_NS0_5tupleIJPjSI_NS0_16reverse_iteratorISI_EEEEENSH_IJSG_SG_SG_EEES9_SI_JZNS1_25segmented_radix_sort_implINS0_14default_configELb0EPKbPbPKlPlN2at6native12_GLOBAL__N_18offset_tEEE10hipError_tPvRmT1_PNSt15iterator_traitsIS12_E10value_typeET2_T3_PNS13_IS18_E10value_typeET4_jRbjT5_S1E_jjP12ihipStream_tbEUljE_ZNSN_ISO_Lb0ESQ_SR_ST_SU_SY_EESZ_S10_S11_S12_S16_S17_S18_S1B_S1C_jS1D_jS1E_S1E_jjS1G_bEUljE0_EEESZ_S10_S11_S18_S1C_S1E_T6_T7_T9_mT8_S1G_bDpT10_ENKUlT_T0_E_clISt17integral_constantIbLb1EES1T_IbLb0EEEEDaS1P_S1Q_EUlS1P_E_NS1_11comp_targetILNS1_3genE9ELNS1_11target_archE1100ELNS1_3gpuE3ELNS1_3repE0EEENS1_30default_config_static_selectorELNS0_4arch9wavefront6targetE0EEEvS12_,comdat
	.globl	_ZN7rocprim17ROCPRIM_400000_NS6detail17trampoline_kernelINS0_13select_configILj256ELj13ELNS0_17block_load_methodE3ELS4_3ELS4_3ELNS0_20block_scan_algorithmE0ELj4294967295EEENS1_25partition_config_selectorILNS1_17partition_subalgoE4EjNS0_10empty_typeEbEEZZNS1_14partition_implILS8_4ELb0ES6_15HIP_vector_typeIjLj2EENS0_17counting_iteratorIjlEEPS9_SG_NS0_5tupleIJPjSI_NS0_16reverse_iteratorISI_EEEEENSH_IJSG_SG_SG_EEES9_SI_JZNS1_25segmented_radix_sort_implINS0_14default_configELb0EPKbPbPKlPlN2at6native12_GLOBAL__N_18offset_tEEE10hipError_tPvRmT1_PNSt15iterator_traitsIS12_E10value_typeET2_T3_PNS13_IS18_E10value_typeET4_jRbjT5_S1E_jjP12ihipStream_tbEUljE_ZNSN_ISO_Lb0ESQ_SR_ST_SU_SY_EESZ_S10_S11_S12_S16_S17_S18_S1B_S1C_jS1D_jS1E_S1E_jjS1G_bEUljE0_EEESZ_S10_S11_S18_S1C_S1E_T6_T7_T9_mT8_S1G_bDpT10_ENKUlT_T0_E_clISt17integral_constantIbLb1EES1T_IbLb0EEEEDaS1P_S1Q_EUlS1P_E_NS1_11comp_targetILNS1_3genE9ELNS1_11target_archE1100ELNS1_3gpuE3ELNS1_3repE0EEENS1_30default_config_static_selectorELNS0_4arch9wavefront6targetE0EEEvS12_ ; -- Begin function _ZN7rocprim17ROCPRIM_400000_NS6detail17trampoline_kernelINS0_13select_configILj256ELj13ELNS0_17block_load_methodE3ELS4_3ELS4_3ELNS0_20block_scan_algorithmE0ELj4294967295EEENS1_25partition_config_selectorILNS1_17partition_subalgoE4EjNS0_10empty_typeEbEEZZNS1_14partition_implILS8_4ELb0ES6_15HIP_vector_typeIjLj2EENS0_17counting_iteratorIjlEEPS9_SG_NS0_5tupleIJPjSI_NS0_16reverse_iteratorISI_EEEEENSH_IJSG_SG_SG_EEES9_SI_JZNS1_25segmented_radix_sort_implINS0_14default_configELb0EPKbPbPKlPlN2at6native12_GLOBAL__N_18offset_tEEE10hipError_tPvRmT1_PNSt15iterator_traitsIS12_E10value_typeET2_T3_PNS13_IS18_E10value_typeET4_jRbjT5_S1E_jjP12ihipStream_tbEUljE_ZNSN_ISO_Lb0ESQ_SR_ST_SU_SY_EESZ_S10_S11_S12_S16_S17_S18_S1B_S1C_jS1D_jS1E_S1E_jjS1G_bEUljE0_EEESZ_S10_S11_S18_S1C_S1E_T6_T7_T9_mT8_S1G_bDpT10_ENKUlT_T0_E_clISt17integral_constantIbLb1EES1T_IbLb0EEEEDaS1P_S1Q_EUlS1P_E_NS1_11comp_targetILNS1_3genE9ELNS1_11target_archE1100ELNS1_3gpuE3ELNS1_3repE0EEENS1_30default_config_static_selectorELNS0_4arch9wavefront6targetE0EEEvS12_
	.p2align	8
	.type	_ZN7rocprim17ROCPRIM_400000_NS6detail17trampoline_kernelINS0_13select_configILj256ELj13ELNS0_17block_load_methodE3ELS4_3ELS4_3ELNS0_20block_scan_algorithmE0ELj4294967295EEENS1_25partition_config_selectorILNS1_17partition_subalgoE4EjNS0_10empty_typeEbEEZZNS1_14partition_implILS8_4ELb0ES6_15HIP_vector_typeIjLj2EENS0_17counting_iteratorIjlEEPS9_SG_NS0_5tupleIJPjSI_NS0_16reverse_iteratorISI_EEEEENSH_IJSG_SG_SG_EEES9_SI_JZNS1_25segmented_radix_sort_implINS0_14default_configELb0EPKbPbPKlPlN2at6native12_GLOBAL__N_18offset_tEEE10hipError_tPvRmT1_PNSt15iterator_traitsIS12_E10value_typeET2_T3_PNS13_IS18_E10value_typeET4_jRbjT5_S1E_jjP12ihipStream_tbEUljE_ZNSN_ISO_Lb0ESQ_SR_ST_SU_SY_EESZ_S10_S11_S12_S16_S17_S18_S1B_S1C_jS1D_jS1E_S1E_jjS1G_bEUljE0_EEESZ_S10_S11_S18_S1C_S1E_T6_T7_T9_mT8_S1G_bDpT10_ENKUlT_T0_E_clISt17integral_constantIbLb1EES1T_IbLb0EEEEDaS1P_S1Q_EUlS1P_E_NS1_11comp_targetILNS1_3genE9ELNS1_11target_archE1100ELNS1_3gpuE3ELNS1_3repE0EEENS1_30default_config_static_selectorELNS0_4arch9wavefront6targetE0EEEvS12_,@function
_ZN7rocprim17ROCPRIM_400000_NS6detail17trampoline_kernelINS0_13select_configILj256ELj13ELNS0_17block_load_methodE3ELS4_3ELS4_3ELNS0_20block_scan_algorithmE0ELj4294967295EEENS1_25partition_config_selectorILNS1_17partition_subalgoE4EjNS0_10empty_typeEbEEZZNS1_14partition_implILS8_4ELb0ES6_15HIP_vector_typeIjLj2EENS0_17counting_iteratorIjlEEPS9_SG_NS0_5tupleIJPjSI_NS0_16reverse_iteratorISI_EEEEENSH_IJSG_SG_SG_EEES9_SI_JZNS1_25segmented_radix_sort_implINS0_14default_configELb0EPKbPbPKlPlN2at6native12_GLOBAL__N_18offset_tEEE10hipError_tPvRmT1_PNSt15iterator_traitsIS12_E10value_typeET2_T3_PNS13_IS18_E10value_typeET4_jRbjT5_S1E_jjP12ihipStream_tbEUljE_ZNSN_ISO_Lb0ESQ_SR_ST_SU_SY_EESZ_S10_S11_S12_S16_S17_S18_S1B_S1C_jS1D_jS1E_S1E_jjS1G_bEUljE0_EEESZ_S10_S11_S18_S1C_S1E_T6_T7_T9_mT8_S1G_bDpT10_ENKUlT_T0_E_clISt17integral_constantIbLb1EES1T_IbLb0EEEEDaS1P_S1Q_EUlS1P_E_NS1_11comp_targetILNS1_3genE9ELNS1_11target_archE1100ELNS1_3gpuE3ELNS1_3repE0EEENS1_30default_config_static_selectorELNS0_4arch9wavefront6targetE0EEEvS12_: ; @_ZN7rocprim17ROCPRIM_400000_NS6detail17trampoline_kernelINS0_13select_configILj256ELj13ELNS0_17block_load_methodE3ELS4_3ELS4_3ELNS0_20block_scan_algorithmE0ELj4294967295EEENS1_25partition_config_selectorILNS1_17partition_subalgoE4EjNS0_10empty_typeEbEEZZNS1_14partition_implILS8_4ELb0ES6_15HIP_vector_typeIjLj2EENS0_17counting_iteratorIjlEEPS9_SG_NS0_5tupleIJPjSI_NS0_16reverse_iteratorISI_EEEEENSH_IJSG_SG_SG_EEES9_SI_JZNS1_25segmented_radix_sort_implINS0_14default_configELb0EPKbPbPKlPlN2at6native12_GLOBAL__N_18offset_tEEE10hipError_tPvRmT1_PNSt15iterator_traitsIS12_E10value_typeET2_T3_PNS13_IS18_E10value_typeET4_jRbjT5_S1E_jjP12ihipStream_tbEUljE_ZNSN_ISO_Lb0ESQ_SR_ST_SU_SY_EESZ_S10_S11_S12_S16_S17_S18_S1B_S1C_jS1D_jS1E_S1E_jjS1G_bEUljE0_EEESZ_S10_S11_S18_S1C_S1E_T6_T7_T9_mT8_S1G_bDpT10_ENKUlT_T0_E_clISt17integral_constantIbLb1EES1T_IbLb0EEEEDaS1P_S1Q_EUlS1P_E_NS1_11comp_targetILNS1_3genE9ELNS1_11target_archE1100ELNS1_3gpuE3ELNS1_3repE0EEENS1_30default_config_static_selectorELNS0_4arch9wavefront6targetE0EEEvS12_
; %bb.0:
	.section	.rodata,"a",@progbits
	.p2align	6, 0x0
	.amdhsa_kernel _ZN7rocprim17ROCPRIM_400000_NS6detail17trampoline_kernelINS0_13select_configILj256ELj13ELNS0_17block_load_methodE3ELS4_3ELS4_3ELNS0_20block_scan_algorithmE0ELj4294967295EEENS1_25partition_config_selectorILNS1_17partition_subalgoE4EjNS0_10empty_typeEbEEZZNS1_14partition_implILS8_4ELb0ES6_15HIP_vector_typeIjLj2EENS0_17counting_iteratorIjlEEPS9_SG_NS0_5tupleIJPjSI_NS0_16reverse_iteratorISI_EEEEENSH_IJSG_SG_SG_EEES9_SI_JZNS1_25segmented_radix_sort_implINS0_14default_configELb0EPKbPbPKlPlN2at6native12_GLOBAL__N_18offset_tEEE10hipError_tPvRmT1_PNSt15iterator_traitsIS12_E10value_typeET2_T3_PNS13_IS18_E10value_typeET4_jRbjT5_S1E_jjP12ihipStream_tbEUljE_ZNSN_ISO_Lb0ESQ_SR_ST_SU_SY_EESZ_S10_S11_S12_S16_S17_S18_S1B_S1C_jS1D_jS1E_S1E_jjS1G_bEUljE0_EEESZ_S10_S11_S18_S1C_S1E_T6_T7_T9_mT8_S1G_bDpT10_ENKUlT_T0_E_clISt17integral_constantIbLb1EES1T_IbLb0EEEEDaS1P_S1Q_EUlS1P_E_NS1_11comp_targetILNS1_3genE9ELNS1_11target_archE1100ELNS1_3gpuE3ELNS1_3repE0EEENS1_30default_config_static_selectorELNS0_4arch9wavefront6targetE0EEEvS12_
		.amdhsa_group_segment_fixed_size 0
		.amdhsa_private_segment_fixed_size 0
		.amdhsa_kernarg_size 176
		.amdhsa_user_sgpr_count 6
		.amdhsa_user_sgpr_private_segment_buffer 1
		.amdhsa_user_sgpr_dispatch_ptr 0
		.amdhsa_user_sgpr_queue_ptr 0
		.amdhsa_user_sgpr_kernarg_segment_ptr 1
		.amdhsa_user_sgpr_dispatch_id 0
		.amdhsa_user_sgpr_flat_scratch_init 0
		.amdhsa_user_sgpr_private_segment_size 0
		.amdhsa_wavefront_size32 1
		.amdhsa_uses_dynamic_stack 0
		.amdhsa_system_sgpr_private_segment_wavefront_offset 0
		.amdhsa_system_sgpr_workgroup_id_x 1
		.amdhsa_system_sgpr_workgroup_id_y 0
		.amdhsa_system_sgpr_workgroup_id_z 0
		.amdhsa_system_sgpr_workgroup_info 0
		.amdhsa_system_vgpr_workitem_id 0
		.amdhsa_next_free_vgpr 1
		.amdhsa_next_free_sgpr 1
		.amdhsa_reserve_vcc 0
		.amdhsa_reserve_flat_scratch 0
		.amdhsa_float_round_mode_32 0
		.amdhsa_float_round_mode_16_64 0
		.amdhsa_float_denorm_mode_32 3
		.amdhsa_float_denorm_mode_16_64 3
		.amdhsa_dx10_clamp 1
		.amdhsa_ieee_mode 1
		.amdhsa_fp16_overflow 0
		.amdhsa_workgroup_processor_mode 1
		.amdhsa_memory_ordered 1
		.amdhsa_forward_progress 1
		.amdhsa_shared_vgpr_count 0
		.amdhsa_exception_fp_ieee_invalid_op 0
		.amdhsa_exception_fp_denorm_src 0
		.amdhsa_exception_fp_ieee_div_zero 0
		.amdhsa_exception_fp_ieee_overflow 0
		.amdhsa_exception_fp_ieee_underflow 0
		.amdhsa_exception_fp_ieee_inexact 0
		.amdhsa_exception_int_div_zero 0
	.end_amdhsa_kernel
	.section	.text._ZN7rocprim17ROCPRIM_400000_NS6detail17trampoline_kernelINS0_13select_configILj256ELj13ELNS0_17block_load_methodE3ELS4_3ELS4_3ELNS0_20block_scan_algorithmE0ELj4294967295EEENS1_25partition_config_selectorILNS1_17partition_subalgoE4EjNS0_10empty_typeEbEEZZNS1_14partition_implILS8_4ELb0ES6_15HIP_vector_typeIjLj2EENS0_17counting_iteratorIjlEEPS9_SG_NS0_5tupleIJPjSI_NS0_16reverse_iteratorISI_EEEEENSH_IJSG_SG_SG_EEES9_SI_JZNS1_25segmented_radix_sort_implINS0_14default_configELb0EPKbPbPKlPlN2at6native12_GLOBAL__N_18offset_tEEE10hipError_tPvRmT1_PNSt15iterator_traitsIS12_E10value_typeET2_T3_PNS13_IS18_E10value_typeET4_jRbjT5_S1E_jjP12ihipStream_tbEUljE_ZNSN_ISO_Lb0ESQ_SR_ST_SU_SY_EESZ_S10_S11_S12_S16_S17_S18_S1B_S1C_jS1D_jS1E_S1E_jjS1G_bEUljE0_EEESZ_S10_S11_S18_S1C_S1E_T6_T7_T9_mT8_S1G_bDpT10_ENKUlT_T0_E_clISt17integral_constantIbLb1EES1T_IbLb0EEEEDaS1P_S1Q_EUlS1P_E_NS1_11comp_targetILNS1_3genE9ELNS1_11target_archE1100ELNS1_3gpuE3ELNS1_3repE0EEENS1_30default_config_static_selectorELNS0_4arch9wavefront6targetE0EEEvS12_,"axG",@progbits,_ZN7rocprim17ROCPRIM_400000_NS6detail17trampoline_kernelINS0_13select_configILj256ELj13ELNS0_17block_load_methodE3ELS4_3ELS4_3ELNS0_20block_scan_algorithmE0ELj4294967295EEENS1_25partition_config_selectorILNS1_17partition_subalgoE4EjNS0_10empty_typeEbEEZZNS1_14partition_implILS8_4ELb0ES6_15HIP_vector_typeIjLj2EENS0_17counting_iteratorIjlEEPS9_SG_NS0_5tupleIJPjSI_NS0_16reverse_iteratorISI_EEEEENSH_IJSG_SG_SG_EEES9_SI_JZNS1_25segmented_radix_sort_implINS0_14default_configELb0EPKbPbPKlPlN2at6native12_GLOBAL__N_18offset_tEEE10hipError_tPvRmT1_PNSt15iterator_traitsIS12_E10value_typeET2_T3_PNS13_IS18_E10value_typeET4_jRbjT5_S1E_jjP12ihipStream_tbEUljE_ZNSN_ISO_Lb0ESQ_SR_ST_SU_SY_EESZ_S10_S11_S12_S16_S17_S18_S1B_S1C_jS1D_jS1E_S1E_jjS1G_bEUljE0_EEESZ_S10_S11_S18_S1C_S1E_T6_T7_T9_mT8_S1G_bDpT10_ENKUlT_T0_E_clISt17integral_constantIbLb1EES1T_IbLb0EEEEDaS1P_S1Q_EUlS1P_E_NS1_11comp_targetILNS1_3genE9ELNS1_11target_archE1100ELNS1_3gpuE3ELNS1_3repE0EEENS1_30default_config_static_selectorELNS0_4arch9wavefront6targetE0EEEvS12_,comdat
.Lfunc_end1584:
	.size	_ZN7rocprim17ROCPRIM_400000_NS6detail17trampoline_kernelINS0_13select_configILj256ELj13ELNS0_17block_load_methodE3ELS4_3ELS4_3ELNS0_20block_scan_algorithmE0ELj4294967295EEENS1_25partition_config_selectorILNS1_17partition_subalgoE4EjNS0_10empty_typeEbEEZZNS1_14partition_implILS8_4ELb0ES6_15HIP_vector_typeIjLj2EENS0_17counting_iteratorIjlEEPS9_SG_NS0_5tupleIJPjSI_NS0_16reverse_iteratorISI_EEEEENSH_IJSG_SG_SG_EEES9_SI_JZNS1_25segmented_radix_sort_implINS0_14default_configELb0EPKbPbPKlPlN2at6native12_GLOBAL__N_18offset_tEEE10hipError_tPvRmT1_PNSt15iterator_traitsIS12_E10value_typeET2_T3_PNS13_IS18_E10value_typeET4_jRbjT5_S1E_jjP12ihipStream_tbEUljE_ZNSN_ISO_Lb0ESQ_SR_ST_SU_SY_EESZ_S10_S11_S12_S16_S17_S18_S1B_S1C_jS1D_jS1E_S1E_jjS1G_bEUljE0_EEESZ_S10_S11_S18_S1C_S1E_T6_T7_T9_mT8_S1G_bDpT10_ENKUlT_T0_E_clISt17integral_constantIbLb1EES1T_IbLb0EEEEDaS1P_S1Q_EUlS1P_E_NS1_11comp_targetILNS1_3genE9ELNS1_11target_archE1100ELNS1_3gpuE3ELNS1_3repE0EEENS1_30default_config_static_selectorELNS0_4arch9wavefront6targetE0EEEvS12_, .Lfunc_end1584-_ZN7rocprim17ROCPRIM_400000_NS6detail17trampoline_kernelINS0_13select_configILj256ELj13ELNS0_17block_load_methodE3ELS4_3ELS4_3ELNS0_20block_scan_algorithmE0ELj4294967295EEENS1_25partition_config_selectorILNS1_17partition_subalgoE4EjNS0_10empty_typeEbEEZZNS1_14partition_implILS8_4ELb0ES6_15HIP_vector_typeIjLj2EENS0_17counting_iteratorIjlEEPS9_SG_NS0_5tupleIJPjSI_NS0_16reverse_iteratorISI_EEEEENSH_IJSG_SG_SG_EEES9_SI_JZNS1_25segmented_radix_sort_implINS0_14default_configELb0EPKbPbPKlPlN2at6native12_GLOBAL__N_18offset_tEEE10hipError_tPvRmT1_PNSt15iterator_traitsIS12_E10value_typeET2_T3_PNS13_IS18_E10value_typeET4_jRbjT5_S1E_jjP12ihipStream_tbEUljE_ZNSN_ISO_Lb0ESQ_SR_ST_SU_SY_EESZ_S10_S11_S12_S16_S17_S18_S1B_S1C_jS1D_jS1E_S1E_jjS1G_bEUljE0_EEESZ_S10_S11_S18_S1C_S1E_T6_T7_T9_mT8_S1G_bDpT10_ENKUlT_T0_E_clISt17integral_constantIbLb1EES1T_IbLb0EEEEDaS1P_S1Q_EUlS1P_E_NS1_11comp_targetILNS1_3genE9ELNS1_11target_archE1100ELNS1_3gpuE3ELNS1_3repE0EEENS1_30default_config_static_selectorELNS0_4arch9wavefront6targetE0EEEvS12_
                                        ; -- End function
	.set _ZN7rocprim17ROCPRIM_400000_NS6detail17trampoline_kernelINS0_13select_configILj256ELj13ELNS0_17block_load_methodE3ELS4_3ELS4_3ELNS0_20block_scan_algorithmE0ELj4294967295EEENS1_25partition_config_selectorILNS1_17partition_subalgoE4EjNS0_10empty_typeEbEEZZNS1_14partition_implILS8_4ELb0ES6_15HIP_vector_typeIjLj2EENS0_17counting_iteratorIjlEEPS9_SG_NS0_5tupleIJPjSI_NS0_16reverse_iteratorISI_EEEEENSH_IJSG_SG_SG_EEES9_SI_JZNS1_25segmented_radix_sort_implINS0_14default_configELb0EPKbPbPKlPlN2at6native12_GLOBAL__N_18offset_tEEE10hipError_tPvRmT1_PNSt15iterator_traitsIS12_E10value_typeET2_T3_PNS13_IS18_E10value_typeET4_jRbjT5_S1E_jjP12ihipStream_tbEUljE_ZNSN_ISO_Lb0ESQ_SR_ST_SU_SY_EESZ_S10_S11_S12_S16_S17_S18_S1B_S1C_jS1D_jS1E_S1E_jjS1G_bEUljE0_EEESZ_S10_S11_S18_S1C_S1E_T6_T7_T9_mT8_S1G_bDpT10_ENKUlT_T0_E_clISt17integral_constantIbLb1EES1T_IbLb0EEEEDaS1P_S1Q_EUlS1P_E_NS1_11comp_targetILNS1_3genE9ELNS1_11target_archE1100ELNS1_3gpuE3ELNS1_3repE0EEENS1_30default_config_static_selectorELNS0_4arch9wavefront6targetE0EEEvS12_.num_vgpr, 0
	.set _ZN7rocprim17ROCPRIM_400000_NS6detail17trampoline_kernelINS0_13select_configILj256ELj13ELNS0_17block_load_methodE3ELS4_3ELS4_3ELNS0_20block_scan_algorithmE0ELj4294967295EEENS1_25partition_config_selectorILNS1_17partition_subalgoE4EjNS0_10empty_typeEbEEZZNS1_14partition_implILS8_4ELb0ES6_15HIP_vector_typeIjLj2EENS0_17counting_iteratorIjlEEPS9_SG_NS0_5tupleIJPjSI_NS0_16reverse_iteratorISI_EEEEENSH_IJSG_SG_SG_EEES9_SI_JZNS1_25segmented_radix_sort_implINS0_14default_configELb0EPKbPbPKlPlN2at6native12_GLOBAL__N_18offset_tEEE10hipError_tPvRmT1_PNSt15iterator_traitsIS12_E10value_typeET2_T3_PNS13_IS18_E10value_typeET4_jRbjT5_S1E_jjP12ihipStream_tbEUljE_ZNSN_ISO_Lb0ESQ_SR_ST_SU_SY_EESZ_S10_S11_S12_S16_S17_S18_S1B_S1C_jS1D_jS1E_S1E_jjS1G_bEUljE0_EEESZ_S10_S11_S18_S1C_S1E_T6_T7_T9_mT8_S1G_bDpT10_ENKUlT_T0_E_clISt17integral_constantIbLb1EES1T_IbLb0EEEEDaS1P_S1Q_EUlS1P_E_NS1_11comp_targetILNS1_3genE9ELNS1_11target_archE1100ELNS1_3gpuE3ELNS1_3repE0EEENS1_30default_config_static_selectorELNS0_4arch9wavefront6targetE0EEEvS12_.num_agpr, 0
	.set _ZN7rocprim17ROCPRIM_400000_NS6detail17trampoline_kernelINS0_13select_configILj256ELj13ELNS0_17block_load_methodE3ELS4_3ELS4_3ELNS0_20block_scan_algorithmE0ELj4294967295EEENS1_25partition_config_selectorILNS1_17partition_subalgoE4EjNS0_10empty_typeEbEEZZNS1_14partition_implILS8_4ELb0ES6_15HIP_vector_typeIjLj2EENS0_17counting_iteratorIjlEEPS9_SG_NS0_5tupleIJPjSI_NS0_16reverse_iteratorISI_EEEEENSH_IJSG_SG_SG_EEES9_SI_JZNS1_25segmented_radix_sort_implINS0_14default_configELb0EPKbPbPKlPlN2at6native12_GLOBAL__N_18offset_tEEE10hipError_tPvRmT1_PNSt15iterator_traitsIS12_E10value_typeET2_T3_PNS13_IS18_E10value_typeET4_jRbjT5_S1E_jjP12ihipStream_tbEUljE_ZNSN_ISO_Lb0ESQ_SR_ST_SU_SY_EESZ_S10_S11_S12_S16_S17_S18_S1B_S1C_jS1D_jS1E_S1E_jjS1G_bEUljE0_EEESZ_S10_S11_S18_S1C_S1E_T6_T7_T9_mT8_S1G_bDpT10_ENKUlT_T0_E_clISt17integral_constantIbLb1EES1T_IbLb0EEEEDaS1P_S1Q_EUlS1P_E_NS1_11comp_targetILNS1_3genE9ELNS1_11target_archE1100ELNS1_3gpuE3ELNS1_3repE0EEENS1_30default_config_static_selectorELNS0_4arch9wavefront6targetE0EEEvS12_.numbered_sgpr, 0
	.set _ZN7rocprim17ROCPRIM_400000_NS6detail17trampoline_kernelINS0_13select_configILj256ELj13ELNS0_17block_load_methodE3ELS4_3ELS4_3ELNS0_20block_scan_algorithmE0ELj4294967295EEENS1_25partition_config_selectorILNS1_17partition_subalgoE4EjNS0_10empty_typeEbEEZZNS1_14partition_implILS8_4ELb0ES6_15HIP_vector_typeIjLj2EENS0_17counting_iteratorIjlEEPS9_SG_NS0_5tupleIJPjSI_NS0_16reverse_iteratorISI_EEEEENSH_IJSG_SG_SG_EEES9_SI_JZNS1_25segmented_radix_sort_implINS0_14default_configELb0EPKbPbPKlPlN2at6native12_GLOBAL__N_18offset_tEEE10hipError_tPvRmT1_PNSt15iterator_traitsIS12_E10value_typeET2_T3_PNS13_IS18_E10value_typeET4_jRbjT5_S1E_jjP12ihipStream_tbEUljE_ZNSN_ISO_Lb0ESQ_SR_ST_SU_SY_EESZ_S10_S11_S12_S16_S17_S18_S1B_S1C_jS1D_jS1E_S1E_jjS1G_bEUljE0_EEESZ_S10_S11_S18_S1C_S1E_T6_T7_T9_mT8_S1G_bDpT10_ENKUlT_T0_E_clISt17integral_constantIbLb1EES1T_IbLb0EEEEDaS1P_S1Q_EUlS1P_E_NS1_11comp_targetILNS1_3genE9ELNS1_11target_archE1100ELNS1_3gpuE3ELNS1_3repE0EEENS1_30default_config_static_selectorELNS0_4arch9wavefront6targetE0EEEvS12_.num_named_barrier, 0
	.set _ZN7rocprim17ROCPRIM_400000_NS6detail17trampoline_kernelINS0_13select_configILj256ELj13ELNS0_17block_load_methodE3ELS4_3ELS4_3ELNS0_20block_scan_algorithmE0ELj4294967295EEENS1_25partition_config_selectorILNS1_17partition_subalgoE4EjNS0_10empty_typeEbEEZZNS1_14partition_implILS8_4ELb0ES6_15HIP_vector_typeIjLj2EENS0_17counting_iteratorIjlEEPS9_SG_NS0_5tupleIJPjSI_NS0_16reverse_iteratorISI_EEEEENSH_IJSG_SG_SG_EEES9_SI_JZNS1_25segmented_radix_sort_implINS0_14default_configELb0EPKbPbPKlPlN2at6native12_GLOBAL__N_18offset_tEEE10hipError_tPvRmT1_PNSt15iterator_traitsIS12_E10value_typeET2_T3_PNS13_IS18_E10value_typeET4_jRbjT5_S1E_jjP12ihipStream_tbEUljE_ZNSN_ISO_Lb0ESQ_SR_ST_SU_SY_EESZ_S10_S11_S12_S16_S17_S18_S1B_S1C_jS1D_jS1E_S1E_jjS1G_bEUljE0_EEESZ_S10_S11_S18_S1C_S1E_T6_T7_T9_mT8_S1G_bDpT10_ENKUlT_T0_E_clISt17integral_constantIbLb1EES1T_IbLb0EEEEDaS1P_S1Q_EUlS1P_E_NS1_11comp_targetILNS1_3genE9ELNS1_11target_archE1100ELNS1_3gpuE3ELNS1_3repE0EEENS1_30default_config_static_selectorELNS0_4arch9wavefront6targetE0EEEvS12_.private_seg_size, 0
	.set _ZN7rocprim17ROCPRIM_400000_NS6detail17trampoline_kernelINS0_13select_configILj256ELj13ELNS0_17block_load_methodE3ELS4_3ELS4_3ELNS0_20block_scan_algorithmE0ELj4294967295EEENS1_25partition_config_selectorILNS1_17partition_subalgoE4EjNS0_10empty_typeEbEEZZNS1_14partition_implILS8_4ELb0ES6_15HIP_vector_typeIjLj2EENS0_17counting_iteratorIjlEEPS9_SG_NS0_5tupleIJPjSI_NS0_16reverse_iteratorISI_EEEEENSH_IJSG_SG_SG_EEES9_SI_JZNS1_25segmented_radix_sort_implINS0_14default_configELb0EPKbPbPKlPlN2at6native12_GLOBAL__N_18offset_tEEE10hipError_tPvRmT1_PNSt15iterator_traitsIS12_E10value_typeET2_T3_PNS13_IS18_E10value_typeET4_jRbjT5_S1E_jjP12ihipStream_tbEUljE_ZNSN_ISO_Lb0ESQ_SR_ST_SU_SY_EESZ_S10_S11_S12_S16_S17_S18_S1B_S1C_jS1D_jS1E_S1E_jjS1G_bEUljE0_EEESZ_S10_S11_S18_S1C_S1E_T6_T7_T9_mT8_S1G_bDpT10_ENKUlT_T0_E_clISt17integral_constantIbLb1EES1T_IbLb0EEEEDaS1P_S1Q_EUlS1P_E_NS1_11comp_targetILNS1_3genE9ELNS1_11target_archE1100ELNS1_3gpuE3ELNS1_3repE0EEENS1_30default_config_static_selectorELNS0_4arch9wavefront6targetE0EEEvS12_.uses_vcc, 0
	.set _ZN7rocprim17ROCPRIM_400000_NS6detail17trampoline_kernelINS0_13select_configILj256ELj13ELNS0_17block_load_methodE3ELS4_3ELS4_3ELNS0_20block_scan_algorithmE0ELj4294967295EEENS1_25partition_config_selectorILNS1_17partition_subalgoE4EjNS0_10empty_typeEbEEZZNS1_14partition_implILS8_4ELb0ES6_15HIP_vector_typeIjLj2EENS0_17counting_iteratorIjlEEPS9_SG_NS0_5tupleIJPjSI_NS0_16reverse_iteratorISI_EEEEENSH_IJSG_SG_SG_EEES9_SI_JZNS1_25segmented_radix_sort_implINS0_14default_configELb0EPKbPbPKlPlN2at6native12_GLOBAL__N_18offset_tEEE10hipError_tPvRmT1_PNSt15iterator_traitsIS12_E10value_typeET2_T3_PNS13_IS18_E10value_typeET4_jRbjT5_S1E_jjP12ihipStream_tbEUljE_ZNSN_ISO_Lb0ESQ_SR_ST_SU_SY_EESZ_S10_S11_S12_S16_S17_S18_S1B_S1C_jS1D_jS1E_S1E_jjS1G_bEUljE0_EEESZ_S10_S11_S18_S1C_S1E_T6_T7_T9_mT8_S1G_bDpT10_ENKUlT_T0_E_clISt17integral_constantIbLb1EES1T_IbLb0EEEEDaS1P_S1Q_EUlS1P_E_NS1_11comp_targetILNS1_3genE9ELNS1_11target_archE1100ELNS1_3gpuE3ELNS1_3repE0EEENS1_30default_config_static_selectorELNS0_4arch9wavefront6targetE0EEEvS12_.uses_flat_scratch, 0
	.set _ZN7rocprim17ROCPRIM_400000_NS6detail17trampoline_kernelINS0_13select_configILj256ELj13ELNS0_17block_load_methodE3ELS4_3ELS4_3ELNS0_20block_scan_algorithmE0ELj4294967295EEENS1_25partition_config_selectorILNS1_17partition_subalgoE4EjNS0_10empty_typeEbEEZZNS1_14partition_implILS8_4ELb0ES6_15HIP_vector_typeIjLj2EENS0_17counting_iteratorIjlEEPS9_SG_NS0_5tupleIJPjSI_NS0_16reverse_iteratorISI_EEEEENSH_IJSG_SG_SG_EEES9_SI_JZNS1_25segmented_radix_sort_implINS0_14default_configELb0EPKbPbPKlPlN2at6native12_GLOBAL__N_18offset_tEEE10hipError_tPvRmT1_PNSt15iterator_traitsIS12_E10value_typeET2_T3_PNS13_IS18_E10value_typeET4_jRbjT5_S1E_jjP12ihipStream_tbEUljE_ZNSN_ISO_Lb0ESQ_SR_ST_SU_SY_EESZ_S10_S11_S12_S16_S17_S18_S1B_S1C_jS1D_jS1E_S1E_jjS1G_bEUljE0_EEESZ_S10_S11_S18_S1C_S1E_T6_T7_T9_mT8_S1G_bDpT10_ENKUlT_T0_E_clISt17integral_constantIbLb1EES1T_IbLb0EEEEDaS1P_S1Q_EUlS1P_E_NS1_11comp_targetILNS1_3genE9ELNS1_11target_archE1100ELNS1_3gpuE3ELNS1_3repE0EEENS1_30default_config_static_selectorELNS0_4arch9wavefront6targetE0EEEvS12_.has_dyn_sized_stack, 0
	.set _ZN7rocprim17ROCPRIM_400000_NS6detail17trampoline_kernelINS0_13select_configILj256ELj13ELNS0_17block_load_methodE3ELS4_3ELS4_3ELNS0_20block_scan_algorithmE0ELj4294967295EEENS1_25partition_config_selectorILNS1_17partition_subalgoE4EjNS0_10empty_typeEbEEZZNS1_14partition_implILS8_4ELb0ES6_15HIP_vector_typeIjLj2EENS0_17counting_iteratorIjlEEPS9_SG_NS0_5tupleIJPjSI_NS0_16reverse_iteratorISI_EEEEENSH_IJSG_SG_SG_EEES9_SI_JZNS1_25segmented_radix_sort_implINS0_14default_configELb0EPKbPbPKlPlN2at6native12_GLOBAL__N_18offset_tEEE10hipError_tPvRmT1_PNSt15iterator_traitsIS12_E10value_typeET2_T3_PNS13_IS18_E10value_typeET4_jRbjT5_S1E_jjP12ihipStream_tbEUljE_ZNSN_ISO_Lb0ESQ_SR_ST_SU_SY_EESZ_S10_S11_S12_S16_S17_S18_S1B_S1C_jS1D_jS1E_S1E_jjS1G_bEUljE0_EEESZ_S10_S11_S18_S1C_S1E_T6_T7_T9_mT8_S1G_bDpT10_ENKUlT_T0_E_clISt17integral_constantIbLb1EES1T_IbLb0EEEEDaS1P_S1Q_EUlS1P_E_NS1_11comp_targetILNS1_3genE9ELNS1_11target_archE1100ELNS1_3gpuE3ELNS1_3repE0EEENS1_30default_config_static_selectorELNS0_4arch9wavefront6targetE0EEEvS12_.has_recursion, 0
	.set _ZN7rocprim17ROCPRIM_400000_NS6detail17trampoline_kernelINS0_13select_configILj256ELj13ELNS0_17block_load_methodE3ELS4_3ELS4_3ELNS0_20block_scan_algorithmE0ELj4294967295EEENS1_25partition_config_selectorILNS1_17partition_subalgoE4EjNS0_10empty_typeEbEEZZNS1_14partition_implILS8_4ELb0ES6_15HIP_vector_typeIjLj2EENS0_17counting_iteratorIjlEEPS9_SG_NS0_5tupleIJPjSI_NS0_16reverse_iteratorISI_EEEEENSH_IJSG_SG_SG_EEES9_SI_JZNS1_25segmented_radix_sort_implINS0_14default_configELb0EPKbPbPKlPlN2at6native12_GLOBAL__N_18offset_tEEE10hipError_tPvRmT1_PNSt15iterator_traitsIS12_E10value_typeET2_T3_PNS13_IS18_E10value_typeET4_jRbjT5_S1E_jjP12ihipStream_tbEUljE_ZNSN_ISO_Lb0ESQ_SR_ST_SU_SY_EESZ_S10_S11_S12_S16_S17_S18_S1B_S1C_jS1D_jS1E_S1E_jjS1G_bEUljE0_EEESZ_S10_S11_S18_S1C_S1E_T6_T7_T9_mT8_S1G_bDpT10_ENKUlT_T0_E_clISt17integral_constantIbLb1EES1T_IbLb0EEEEDaS1P_S1Q_EUlS1P_E_NS1_11comp_targetILNS1_3genE9ELNS1_11target_archE1100ELNS1_3gpuE3ELNS1_3repE0EEENS1_30default_config_static_selectorELNS0_4arch9wavefront6targetE0EEEvS12_.has_indirect_call, 0
	.section	.AMDGPU.csdata,"",@progbits
; Kernel info:
; codeLenInByte = 0
; TotalNumSgprs: 0
; NumVgprs: 0
; ScratchSize: 0
; MemoryBound: 0
; FloatMode: 240
; IeeeMode: 1
; LDSByteSize: 0 bytes/workgroup (compile time only)
; SGPRBlocks: 0
; VGPRBlocks: 0
; NumSGPRsForWavesPerEU: 1
; NumVGPRsForWavesPerEU: 1
; Occupancy: 16
; WaveLimiterHint : 0
; COMPUTE_PGM_RSRC2:SCRATCH_EN: 0
; COMPUTE_PGM_RSRC2:USER_SGPR: 6
; COMPUTE_PGM_RSRC2:TRAP_HANDLER: 0
; COMPUTE_PGM_RSRC2:TGID_X_EN: 1
; COMPUTE_PGM_RSRC2:TGID_Y_EN: 0
; COMPUTE_PGM_RSRC2:TGID_Z_EN: 0
; COMPUTE_PGM_RSRC2:TIDIG_COMP_CNT: 0
	.section	.text._ZN7rocprim17ROCPRIM_400000_NS6detail17trampoline_kernelINS0_13select_configILj256ELj13ELNS0_17block_load_methodE3ELS4_3ELS4_3ELNS0_20block_scan_algorithmE0ELj4294967295EEENS1_25partition_config_selectorILNS1_17partition_subalgoE4EjNS0_10empty_typeEbEEZZNS1_14partition_implILS8_4ELb0ES6_15HIP_vector_typeIjLj2EENS0_17counting_iteratorIjlEEPS9_SG_NS0_5tupleIJPjSI_NS0_16reverse_iteratorISI_EEEEENSH_IJSG_SG_SG_EEES9_SI_JZNS1_25segmented_radix_sort_implINS0_14default_configELb0EPKbPbPKlPlN2at6native12_GLOBAL__N_18offset_tEEE10hipError_tPvRmT1_PNSt15iterator_traitsIS12_E10value_typeET2_T3_PNS13_IS18_E10value_typeET4_jRbjT5_S1E_jjP12ihipStream_tbEUljE_ZNSN_ISO_Lb0ESQ_SR_ST_SU_SY_EESZ_S10_S11_S12_S16_S17_S18_S1B_S1C_jS1D_jS1E_S1E_jjS1G_bEUljE0_EEESZ_S10_S11_S18_S1C_S1E_T6_T7_T9_mT8_S1G_bDpT10_ENKUlT_T0_E_clISt17integral_constantIbLb1EES1T_IbLb0EEEEDaS1P_S1Q_EUlS1P_E_NS1_11comp_targetILNS1_3genE8ELNS1_11target_archE1030ELNS1_3gpuE2ELNS1_3repE0EEENS1_30default_config_static_selectorELNS0_4arch9wavefront6targetE0EEEvS12_,"axG",@progbits,_ZN7rocprim17ROCPRIM_400000_NS6detail17trampoline_kernelINS0_13select_configILj256ELj13ELNS0_17block_load_methodE3ELS4_3ELS4_3ELNS0_20block_scan_algorithmE0ELj4294967295EEENS1_25partition_config_selectorILNS1_17partition_subalgoE4EjNS0_10empty_typeEbEEZZNS1_14partition_implILS8_4ELb0ES6_15HIP_vector_typeIjLj2EENS0_17counting_iteratorIjlEEPS9_SG_NS0_5tupleIJPjSI_NS0_16reverse_iteratorISI_EEEEENSH_IJSG_SG_SG_EEES9_SI_JZNS1_25segmented_radix_sort_implINS0_14default_configELb0EPKbPbPKlPlN2at6native12_GLOBAL__N_18offset_tEEE10hipError_tPvRmT1_PNSt15iterator_traitsIS12_E10value_typeET2_T3_PNS13_IS18_E10value_typeET4_jRbjT5_S1E_jjP12ihipStream_tbEUljE_ZNSN_ISO_Lb0ESQ_SR_ST_SU_SY_EESZ_S10_S11_S12_S16_S17_S18_S1B_S1C_jS1D_jS1E_S1E_jjS1G_bEUljE0_EEESZ_S10_S11_S18_S1C_S1E_T6_T7_T9_mT8_S1G_bDpT10_ENKUlT_T0_E_clISt17integral_constantIbLb1EES1T_IbLb0EEEEDaS1P_S1Q_EUlS1P_E_NS1_11comp_targetILNS1_3genE8ELNS1_11target_archE1030ELNS1_3gpuE2ELNS1_3repE0EEENS1_30default_config_static_selectorELNS0_4arch9wavefront6targetE0EEEvS12_,comdat
	.globl	_ZN7rocprim17ROCPRIM_400000_NS6detail17trampoline_kernelINS0_13select_configILj256ELj13ELNS0_17block_load_methodE3ELS4_3ELS4_3ELNS0_20block_scan_algorithmE0ELj4294967295EEENS1_25partition_config_selectorILNS1_17partition_subalgoE4EjNS0_10empty_typeEbEEZZNS1_14partition_implILS8_4ELb0ES6_15HIP_vector_typeIjLj2EENS0_17counting_iteratorIjlEEPS9_SG_NS0_5tupleIJPjSI_NS0_16reverse_iteratorISI_EEEEENSH_IJSG_SG_SG_EEES9_SI_JZNS1_25segmented_radix_sort_implINS0_14default_configELb0EPKbPbPKlPlN2at6native12_GLOBAL__N_18offset_tEEE10hipError_tPvRmT1_PNSt15iterator_traitsIS12_E10value_typeET2_T3_PNS13_IS18_E10value_typeET4_jRbjT5_S1E_jjP12ihipStream_tbEUljE_ZNSN_ISO_Lb0ESQ_SR_ST_SU_SY_EESZ_S10_S11_S12_S16_S17_S18_S1B_S1C_jS1D_jS1E_S1E_jjS1G_bEUljE0_EEESZ_S10_S11_S18_S1C_S1E_T6_T7_T9_mT8_S1G_bDpT10_ENKUlT_T0_E_clISt17integral_constantIbLb1EES1T_IbLb0EEEEDaS1P_S1Q_EUlS1P_E_NS1_11comp_targetILNS1_3genE8ELNS1_11target_archE1030ELNS1_3gpuE2ELNS1_3repE0EEENS1_30default_config_static_selectorELNS0_4arch9wavefront6targetE0EEEvS12_ ; -- Begin function _ZN7rocprim17ROCPRIM_400000_NS6detail17trampoline_kernelINS0_13select_configILj256ELj13ELNS0_17block_load_methodE3ELS4_3ELS4_3ELNS0_20block_scan_algorithmE0ELj4294967295EEENS1_25partition_config_selectorILNS1_17partition_subalgoE4EjNS0_10empty_typeEbEEZZNS1_14partition_implILS8_4ELb0ES6_15HIP_vector_typeIjLj2EENS0_17counting_iteratorIjlEEPS9_SG_NS0_5tupleIJPjSI_NS0_16reverse_iteratorISI_EEEEENSH_IJSG_SG_SG_EEES9_SI_JZNS1_25segmented_radix_sort_implINS0_14default_configELb0EPKbPbPKlPlN2at6native12_GLOBAL__N_18offset_tEEE10hipError_tPvRmT1_PNSt15iterator_traitsIS12_E10value_typeET2_T3_PNS13_IS18_E10value_typeET4_jRbjT5_S1E_jjP12ihipStream_tbEUljE_ZNSN_ISO_Lb0ESQ_SR_ST_SU_SY_EESZ_S10_S11_S12_S16_S17_S18_S1B_S1C_jS1D_jS1E_S1E_jjS1G_bEUljE0_EEESZ_S10_S11_S18_S1C_S1E_T6_T7_T9_mT8_S1G_bDpT10_ENKUlT_T0_E_clISt17integral_constantIbLb1EES1T_IbLb0EEEEDaS1P_S1Q_EUlS1P_E_NS1_11comp_targetILNS1_3genE8ELNS1_11target_archE1030ELNS1_3gpuE2ELNS1_3repE0EEENS1_30default_config_static_selectorELNS0_4arch9wavefront6targetE0EEEvS12_
	.p2align	8
	.type	_ZN7rocprim17ROCPRIM_400000_NS6detail17trampoline_kernelINS0_13select_configILj256ELj13ELNS0_17block_load_methodE3ELS4_3ELS4_3ELNS0_20block_scan_algorithmE0ELj4294967295EEENS1_25partition_config_selectorILNS1_17partition_subalgoE4EjNS0_10empty_typeEbEEZZNS1_14partition_implILS8_4ELb0ES6_15HIP_vector_typeIjLj2EENS0_17counting_iteratorIjlEEPS9_SG_NS0_5tupleIJPjSI_NS0_16reverse_iteratorISI_EEEEENSH_IJSG_SG_SG_EEES9_SI_JZNS1_25segmented_radix_sort_implINS0_14default_configELb0EPKbPbPKlPlN2at6native12_GLOBAL__N_18offset_tEEE10hipError_tPvRmT1_PNSt15iterator_traitsIS12_E10value_typeET2_T3_PNS13_IS18_E10value_typeET4_jRbjT5_S1E_jjP12ihipStream_tbEUljE_ZNSN_ISO_Lb0ESQ_SR_ST_SU_SY_EESZ_S10_S11_S12_S16_S17_S18_S1B_S1C_jS1D_jS1E_S1E_jjS1G_bEUljE0_EEESZ_S10_S11_S18_S1C_S1E_T6_T7_T9_mT8_S1G_bDpT10_ENKUlT_T0_E_clISt17integral_constantIbLb1EES1T_IbLb0EEEEDaS1P_S1Q_EUlS1P_E_NS1_11comp_targetILNS1_3genE8ELNS1_11target_archE1030ELNS1_3gpuE2ELNS1_3repE0EEENS1_30default_config_static_selectorELNS0_4arch9wavefront6targetE0EEEvS12_,@function
_ZN7rocprim17ROCPRIM_400000_NS6detail17trampoline_kernelINS0_13select_configILj256ELj13ELNS0_17block_load_methodE3ELS4_3ELS4_3ELNS0_20block_scan_algorithmE0ELj4294967295EEENS1_25partition_config_selectorILNS1_17partition_subalgoE4EjNS0_10empty_typeEbEEZZNS1_14partition_implILS8_4ELb0ES6_15HIP_vector_typeIjLj2EENS0_17counting_iteratorIjlEEPS9_SG_NS0_5tupleIJPjSI_NS0_16reverse_iteratorISI_EEEEENSH_IJSG_SG_SG_EEES9_SI_JZNS1_25segmented_radix_sort_implINS0_14default_configELb0EPKbPbPKlPlN2at6native12_GLOBAL__N_18offset_tEEE10hipError_tPvRmT1_PNSt15iterator_traitsIS12_E10value_typeET2_T3_PNS13_IS18_E10value_typeET4_jRbjT5_S1E_jjP12ihipStream_tbEUljE_ZNSN_ISO_Lb0ESQ_SR_ST_SU_SY_EESZ_S10_S11_S12_S16_S17_S18_S1B_S1C_jS1D_jS1E_S1E_jjS1G_bEUljE0_EEESZ_S10_S11_S18_S1C_S1E_T6_T7_T9_mT8_S1G_bDpT10_ENKUlT_T0_E_clISt17integral_constantIbLb1EES1T_IbLb0EEEEDaS1P_S1Q_EUlS1P_E_NS1_11comp_targetILNS1_3genE8ELNS1_11target_archE1030ELNS1_3gpuE2ELNS1_3repE0EEENS1_30default_config_static_selectorELNS0_4arch9wavefront6targetE0EEEvS12_: ; @_ZN7rocprim17ROCPRIM_400000_NS6detail17trampoline_kernelINS0_13select_configILj256ELj13ELNS0_17block_load_methodE3ELS4_3ELS4_3ELNS0_20block_scan_algorithmE0ELj4294967295EEENS1_25partition_config_selectorILNS1_17partition_subalgoE4EjNS0_10empty_typeEbEEZZNS1_14partition_implILS8_4ELb0ES6_15HIP_vector_typeIjLj2EENS0_17counting_iteratorIjlEEPS9_SG_NS0_5tupleIJPjSI_NS0_16reverse_iteratorISI_EEEEENSH_IJSG_SG_SG_EEES9_SI_JZNS1_25segmented_radix_sort_implINS0_14default_configELb0EPKbPbPKlPlN2at6native12_GLOBAL__N_18offset_tEEE10hipError_tPvRmT1_PNSt15iterator_traitsIS12_E10value_typeET2_T3_PNS13_IS18_E10value_typeET4_jRbjT5_S1E_jjP12ihipStream_tbEUljE_ZNSN_ISO_Lb0ESQ_SR_ST_SU_SY_EESZ_S10_S11_S12_S16_S17_S18_S1B_S1C_jS1D_jS1E_S1E_jjS1G_bEUljE0_EEESZ_S10_S11_S18_S1C_S1E_T6_T7_T9_mT8_S1G_bDpT10_ENKUlT_T0_E_clISt17integral_constantIbLb1EES1T_IbLb0EEEEDaS1P_S1Q_EUlS1P_E_NS1_11comp_targetILNS1_3genE8ELNS1_11target_archE1030ELNS1_3gpuE2ELNS1_3repE0EEENS1_30default_config_static_selectorELNS0_4arch9wavefront6targetE0EEEvS12_
; %bb.0:
	s_endpgm
	.section	.rodata,"a",@progbits
	.p2align	6, 0x0
	.amdhsa_kernel _ZN7rocprim17ROCPRIM_400000_NS6detail17trampoline_kernelINS0_13select_configILj256ELj13ELNS0_17block_load_methodE3ELS4_3ELS4_3ELNS0_20block_scan_algorithmE0ELj4294967295EEENS1_25partition_config_selectorILNS1_17partition_subalgoE4EjNS0_10empty_typeEbEEZZNS1_14partition_implILS8_4ELb0ES6_15HIP_vector_typeIjLj2EENS0_17counting_iteratorIjlEEPS9_SG_NS0_5tupleIJPjSI_NS0_16reverse_iteratorISI_EEEEENSH_IJSG_SG_SG_EEES9_SI_JZNS1_25segmented_radix_sort_implINS0_14default_configELb0EPKbPbPKlPlN2at6native12_GLOBAL__N_18offset_tEEE10hipError_tPvRmT1_PNSt15iterator_traitsIS12_E10value_typeET2_T3_PNS13_IS18_E10value_typeET4_jRbjT5_S1E_jjP12ihipStream_tbEUljE_ZNSN_ISO_Lb0ESQ_SR_ST_SU_SY_EESZ_S10_S11_S12_S16_S17_S18_S1B_S1C_jS1D_jS1E_S1E_jjS1G_bEUljE0_EEESZ_S10_S11_S18_S1C_S1E_T6_T7_T9_mT8_S1G_bDpT10_ENKUlT_T0_E_clISt17integral_constantIbLb1EES1T_IbLb0EEEEDaS1P_S1Q_EUlS1P_E_NS1_11comp_targetILNS1_3genE8ELNS1_11target_archE1030ELNS1_3gpuE2ELNS1_3repE0EEENS1_30default_config_static_selectorELNS0_4arch9wavefront6targetE0EEEvS12_
		.amdhsa_group_segment_fixed_size 0
		.amdhsa_private_segment_fixed_size 0
		.amdhsa_kernarg_size 176
		.amdhsa_user_sgpr_count 6
		.amdhsa_user_sgpr_private_segment_buffer 1
		.amdhsa_user_sgpr_dispatch_ptr 0
		.amdhsa_user_sgpr_queue_ptr 0
		.amdhsa_user_sgpr_kernarg_segment_ptr 1
		.amdhsa_user_sgpr_dispatch_id 0
		.amdhsa_user_sgpr_flat_scratch_init 0
		.amdhsa_user_sgpr_private_segment_size 0
		.amdhsa_wavefront_size32 1
		.amdhsa_uses_dynamic_stack 0
		.amdhsa_system_sgpr_private_segment_wavefront_offset 0
		.amdhsa_system_sgpr_workgroup_id_x 1
		.amdhsa_system_sgpr_workgroup_id_y 0
		.amdhsa_system_sgpr_workgroup_id_z 0
		.amdhsa_system_sgpr_workgroup_info 0
		.amdhsa_system_vgpr_workitem_id 0
		.amdhsa_next_free_vgpr 1
		.amdhsa_next_free_sgpr 1
		.amdhsa_reserve_vcc 0
		.amdhsa_reserve_flat_scratch 0
		.amdhsa_float_round_mode_32 0
		.amdhsa_float_round_mode_16_64 0
		.amdhsa_float_denorm_mode_32 3
		.amdhsa_float_denorm_mode_16_64 3
		.amdhsa_dx10_clamp 1
		.amdhsa_ieee_mode 1
		.amdhsa_fp16_overflow 0
		.amdhsa_workgroup_processor_mode 1
		.amdhsa_memory_ordered 1
		.amdhsa_forward_progress 1
		.amdhsa_shared_vgpr_count 0
		.amdhsa_exception_fp_ieee_invalid_op 0
		.amdhsa_exception_fp_denorm_src 0
		.amdhsa_exception_fp_ieee_div_zero 0
		.amdhsa_exception_fp_ieee_overflow 0
		.amdhsa_exception_fp_ieee_underflow 0
		.amdhsa_exception_fp_ieee_inexact 0
		.amdhsa_exception_int_div_zero 0
	.end_amdhsa_kernel
	.section	.text._ZN7rocprim17ROCPRIM_400000_NS6detail17trampoline_kernelINS0_13select_configILj256ELj13ELNS0_17block_load_methodE3ELS4_3ELS4_3ELNS0_20block_scan_algorithmE0ELj4294967295EEENS1_25partition_config_selectorILNS1_17partition_subalgoE4EjNS0_10empty_typeEbEEZZNS1_14partition_implILS8_4ELb0ES6_15HIP_vector_typeIjLj2EENS0_17counting_iteratorIjlEEPS9_SG_NS0_5tupleIJPjSI_NS0_16reverse_iteratorISI_EEEEENSH_IJSG_SG_SG_EEES9_SI_JZNS1_25segmented_radix_sort_implINS0_14default_configELb0EPKbPbPKlPlN2at6native12_GLOBAL__N_18offset_tEEE10hipError_tPvRmT1_PNSt15iterator_traitsIS12_E10value_typeET2_T3_PNS13_IS18_E10value_typeET4_jRbjT5_S1E_jjP12ihipStream_tbEUljE_ZNSN_ISO_Lb0ESQ_SR_ST_SU_SY_EESZ_S10_S11_S12_S16_S17_S18_S1B_S1C_jS1D_jS1E_S1E_jjS1G_bEUljE0_EEESZ_S10_S11_S18_S1C_S1E_T6_T7_T9_mT8_S1G_bDpT10_ENKUlT_T0_E_clISt17integral_constantIbLb1EES1T_IbLb0EEEEDaS1P_S1Q_EUlS1P_E_NS1_11comp_targetILNS1_3genE8ELNS1_11target_archE1030ELNS1_3gpuE2ELNS1_3repE0EEENS1_30default_config_static_selectorELNS0_4arch9wavefront6targetE0EEEvS12_,"axG",@progbits,_ZN7rocprim17ROCPRIM_400000_NS6detail17trampoline_kernelINS0_13select_configILj256ELj13ELNS0_17block_load_methodE3ELS4_3ELS4_3ELNS0_20block_scan_algorithmE0ELj4294967295EEENS1_25partition_config_selectorILNS1_17partition_subalgoE4EjNS0_10empty_typeEbEEZZNS1_14partition_implILS8_4ELb0ES6_15HIP_vector_typeIjLj2EENS0_17counting_iteratorIjlEEPS9_SG_NS0_5tupleIJPjSI_NS0_16reverse_iteratorISI_EEEEENSH_IJSG_SG_SG_EEES9_SI_JZNS1_25segmented_radix_sort_implINS0_14default_configELb0EPKbPbPKlPlN2at6native12_GLOBAL__N_18offset_tEEE10hipError_tPvRmT1_PNSt15iterator_traitsIS12_E10value_typeET2_T3_PNS13_IS18_E10value_typeET4_jRbjT5_S1E_jjP12ihipStream_tbEUljE_ZNSN_ISO_Lb0ESQ_SR_ST_SU_SY_EESZ_S10_S11_S12_S16_S17_S18_S1B_S1C_jS1D_jS1E_S1E_jjS1G_bEUljE0_EEESZ_S10_S11_S18_S1C_S1E_T6_T7_T9_mT8_S1G_bDpT10_ENKUlT_T0_E_clISt17integral_constantIbLb1EES1T_IbLb0EEEEDaS1P_S1Q_EUlS1P_E_NS1_11comp_targetILNS1_3genE8ELNS1_11target_archE1030ELNS1_3gpuE2ELNS1_3repE0EEENS1_30default_config_static_selectorELNS0_4arch9wavefront6targetE0EEEvS12_,comdat
.Lfunc_end1585:
	.size	_ZN7rocprim17ROCPRIM_400000_NS6detail17trampoline_kernelINS0_13select_configILj256ELj13ELNS0_17block_load_methodE3ELS4_3ELS4_3ELNS0_20block_scan_algorithmE0ELj4294967295EEENS1_25partition_config_selectorILNS1_17partition_subalgoE4EjNS0_10empty_typeEbEEZZNS1_14partition_implILS8_4ELb0ES6_15HIP_vector_typeIjLj2EENS0_17counting_iteratorIjlEEPS9_SG_NS0_5tupleIJPjSI_NS0_16reverse_iteratorISI_EEEEENSH_IJSG_SG_SG_EEES9_SI_JZNS1_25segmented_radix_sort_implINS0_14default_configELb0EPKbPbPKlPlN2at6native12_GLOBAL__N_18offset_tEEE10hipError_tPvRmT1_PNSt15iterator_traitsIS12_E10value_typeET2_T3_PNS13_IS18_E10value_typeET4_jRbjT5_S1E_jjP12ihipStream_tbEUljE_ZNSN_ISO_Lb0ESQ_SR_ST_SU_SY_EESZ_S10_S11_S12_S16_S17_S18_S1B_S1C_jS1D_jS1E_S1E_jjS1G_bEUljE0_EEESZ_S10_S11_S18_S1C_S1E_T6_T7_T9_mT8_S1G_bDpT10_ENKUlT_T0_E_clISt17integral_constantIbLb1EES1T_IbLb0EEEEDaS1P_S1Q_EUlS1P_E_NS1_11comp_targetILNS1_3genE8ELNS1_11target_archE1030ELNS1_3gpuE2ELNS1_3repE0EEENS1_30default_config_static_selectorELNS0_4arch9wavefront6targetE0EEEvS12_, .Lfunc_end1585-_ZN7rocprim17ROCPRIM_400000_NS6detail17trampoline_kernelINS0_13select_configILj256ELj13ELNS0_17block_load_methodE3ELS4_3ELS4_3ELNS0_20block_scan_algorithmE0ELj4294967295EEENS1_25partition_config_selectorILNS1_17partition_subalgoE4EjNS0_10empty_typeEbEEZZNS1_14partition_implILS8_4ELb0ES6_15HIP_vector_typeIjLj2EENS0_17counting_iteratorIjlEEPS9_SG_NS0_5tupleIJPjSI_NS0_16reverse_iteratorISI_EEEEENSH_IJSG_SG_SG_EEES9_SI_JZNS1_25segmented_radix_sort_implINS0_14default_configELb0EPKbPbPKlPlN2at6native12_GLOBAL__N_18offset_tEEE10hipError_tPvRmT1_PNSt15iterator_traitsIS12_E10value_typeET2_T3_PNS13_IS18_E10value_typeET4_jRbjT5_S1E_jjP12ihipStream_tbEUljE_ZNSN_ISO_Lb0ESQ_SR_ST_SU_SY_EESZ_S10_S11_S12_S16_S17_S18_S1B_S1C_jS1D_jS1E_S1E_jjS1G_bEUljE0_EEESZ_S10_S11_S18_S1C_S1E_T6_T7_T9_mT8_S1G_bDpT10_ENKUlT_T0_E_clISt17integral_constantIbLb1EES1T_IbLb0EEEEDaS1P_S1Q_EUlS1P_E_NS1_11comp_targetILNS1_3genE8ELNS1_11target_archE1030ELNS1_3gpuE2ELNS1_3repE0EEENS1_30default_config_static_selectorELNS0_4arch9wavefront6targetE0EEEvS12_
                                        ; -- End function
	.set _ZN7rocprim17ROCPRIM_400000_NS6detail17trampoline_kernelINS0_13select_configILj256ELj13ELNS0_17block_load_methodE3ELS4_3ELS4_3ELNS0_20block_scan_algorithmE0ELj4294967295EEENS1_25partition_config_selectorILNS1_17partition_subalgoE4EjNS0_10empty_typeEbEEZZNS1_14partition_implILS8_4ELb0ES6_15HIP_vector_typeIjLj2EENS0_17counting_iteratorIjlEEPS9_SG_NS0_5tupleIJPjSI_NS0_16reverse_iteratorISI_EEEEENSH_IJSG_SG_SG_EEES9_SI_JZNS1_25segmented_radix_sort_implINS0_14default_configELb0EPKbPbPKlPlN2at6native12_GLOBAL__N_18offset_tEEE10hipError_tPvRmT1_PNSt15iterator_traitsIS12_E10value_typeET2_T3_PNS13_IS18_E10value_typeET4_jRbjT5_S1E_jjP12ihipStream_tbEUljE_ZNSN_ISO_Lb0ESQ_SR_ST_SU_SY_EESZ_S10_S11_S12_S16_S17_S18_S1B_S1C_jS1D_jS1E_S1E_jjS1G_bEUljE0_EEESZ_S10_S11_S18_S1C_S1E_T6_T7_T9_mT8_S1G_bDpT10_ENKUlT_T0_E_clISt17integral_constantIbLb1EES1T_IbLb0EEEEDaS1P_S1Q_EUlS1P_E_NS1_11comp_targetILNS1_3genE8ELNS1_11target_archE1030ELNS1_3gpuE2ELNS1_3repE0EEENS1_30default_config_static_selectorELNS0_4arch9wavefront6targetE0EEEvS12_.num_vgpr, 0
	.set _ZN7rocprim17ROCPRIM_400000_NS6detail17trampoline_kernelINS0_13select_configILj256ELj13ELNS0_17block_load_methodE3ELS4_3ELS4_3ELNS0_20block_scan_algorithmE0ELj4294967295EEENS1_25partition_config_selectorILNS1_17partition_subalgoE4EjNS0_10empty_typeEbEEZZNS1_14partition_implILS8_4ELb0ES6_15HIP_vector_typeIjLj2EENS0_17counting_iteratorIjlEEPS9_SG_NS0_5tupleIJPjSI_NS0_16reverse_iteratorISI_EEEEENSH_IJSG_SG_SG_EEES9_SI_JZNS1_25segmented_radix_sort_implINS0_14default_configELb0EPKbPbPKlPlN2at6native12_GLOBAL__N_18offset_tEEE10hipError_tPvRmT1_PNSt15iterator_traitsIS12_E10value_typeET2_T3_PNS13_IS18_E10value_typeET4_jRbjT5_S1E_jjP12ihipStream_tbEUljE_ZNSN_ISO_Lb0ESQ_SR_ST_SU_SY_EESZ_S10_S11_S12_S16_S17_S18_S1B_S1C_jS1D_jS1E_S1E_jjS1G_bEUljE0_EEESZ_S10_S11_S18_S1C_S1E_T6_T7_T9_mT8_S1G_bDpT10_ENKUlT_T0_E_clISt17integral_constantIbLb1EES1T_IbLb0EEEEDaS1P_S1Q_EUlS1P_E_NS1_11comp_targetILNS1_3genE8ELNS1_11target_archE1030ELNS1_3gpuE2ELNS1_3repE0EEENS1_30default_config_static_selectorELNS0_4arch9wavefront6targetE0EEEvS12_.num_agpr, 0
	.set _ZN7rocprim17ROCPRIM_400000_NS6detail17trampoline_kernelINS0_13select_configILj256ELj13ELNS0_17block_load_methodE3ELS4_3ELS4_3ELNS0_20block_scan_algorithmE0ELj4294967295EEENS1_25partition_config_selectorILNS1_17partition_subalgoE4EjNS0_10empty_typeEbEEZZNS1_14partition_implILS8_4ELb0ES6_15HIP_vector_typeIjLj2EENS0_17counting_iteratorIjlEEPS9_SG_NS0_5tupleIJPjSI_NS0_16reverse_iteratorISI_EEEEENSH_IJSG_SG_SG_EEES9_SI_JZNS1_25segmented_radix_sort_implINS0_14default_configELb0EPKbPbPKlPlN2at6native12_GLOBAL__N_18offset_tEEE10hipError_tPvRmT1_PNSt15iterator_traitsIS12_E10value_typeET2_T3_PNS13_IS18_E10value_typeET4_jRbjT5_S1E_jjP12ihipStream_tbEUljE_ZNSN_ISO_Lb0ESQ_SR_ST_SU_SY_EESZ_S10_S11_S12_S16_S17_S18_S1B_S1C_jS1D_jS1E_S1E_jjS1G_bEUljE0_EEESZ_S10_S11_S18_S1C_S1E_T6_T7_T9_mT8_S1G_bDpT10_ENKUlT_T0_E_clISt17integral_constantIbLb1EES1T_IbLb0EEEEDaS1P_S1Q_EUlS1P_E_NS1_11comp_targetILNS1_3genE8ELNS1_11target_archE1030ELNS1_3gpuE2ELNS1_3repE0EEENS1_30default_config_static_selectorELNS0_4arch9wavefront6targetE0EEEvS12_.numbered_sgpr, 0
	.set _ZN7rocprim17ROCPRIM_400000_NS6detail17trampoline_kernelINS0_13select_configILj256ELj13ELNS0_17block_load_methodE3ELS4_3ELS4_3ELNS0_20block_scan_algorithmE0ELj4294967295EEENS1_25partition_config_selectorILNS1_17partition_subalgoE4EjNS0_10empty_typeEbEEZZNS1_14partition_implILS8_4ELb0ES6_15HIP_vector_typeIjLj2EENS0_17counting_iteratorIjlEEPS9_SG_NS0_5tupleIJPjSI_NS0_16reverse_iteratorISI_EEEEENSH_IJSG_SG_SG_EEES9_SI_JZNS1_25segmented_radix_sort_implINS0_14default_configELb0EPKbPbPKlPlN2at6native12_GLOBAL__N_18offset_tEEE10hipError_tPvRmT1_PNSt15iterator_traitsIS12_E10value_typeET2_T3_PNS13_IS18_E10value_typeET4_jRbjT5_S1E_jjP12ihipStream_tbEUljE_ZNSN_ISO_Lb0ESQ_SR_ST_SU_SY_EESZ_S10_S11_S12_S16_S17_S18_S1B_S1C_jS1D_jS1E_S1E_jjS1G_bEUljE0_EEESZ_S10_S11_S18_S1C_S1E_T6_T7_T9_mT8_S1G_bDpT10_ENKUlT_T0_E_clISt17integral_constantIbLb1EES1T_IbLb0EEEEDaS1P_S1Q_EUlS1P_E_NS1_11comp_targetILNS1_3genE8ELNS1_11target_archE1030ELNS1_3gpuE2ELNS1_3repE0EEENS1_30default_config_static_selectorELNS0_4arch9wavefront6targetE0EEEvS12_.num_named_barrier, 0
	.set _ZN7rocprim17ROCPRIM_400000_NS6detail17trampoline_kernelINS0_13select_configILj256ELj13ELNS0_17block_load_methodE3ELS4_3ELS4_3ELNS0_20block_scan_algorithmE0ELj4294967295EEENS1_25partition_config_selectorILNS1_17partition_subalgoE4EjNS0_10empty_typeEbEEZZNS1_14partition_implILS8_4ELb0ES6_15HIP_vector_typeIjLj2EENS0_17counting_iteratorIjlEEPS9_SG_NS0_5tupleIJPjSI_NS0_16reverse_iteratorISI_EEEEENSH_IJSG_SG_SG_EEES9_SI_JZNS1_25segmented_radix_sort_implINS0_14default_configELb0EPKbPbPKlPlN2at6native12_GLOBAL__N_18offset_tEEE10hipError_tPvRmT1_PNSt15iterator_traitsIS12_E10value_typeET2_T3_PNS13_IS18_E10value_typeET4_jRbjT5_S1E_jjP12ihipStream_tbEUljE_ZNSN_ISO_Lb0ESQ_SR_ST_SU_SY_EESZ_S10_S11_S12_S16_S17_S18_S1B_S1C_jS1D_jS1E_S1E_jjS1G_bEUljE0_EEESZ_S10_S11_S18_S1C_S1E_T6_T7_T9_mT8_S1G_bDpT10_ENKUlT_T0_E_clISt17integral_constantIbLb1EES1T_IbLb0EEEEDaS1P_S1Q_EUlS1P_E_NS1_11comp_targetILNS1_3genE8ELNS1_11target_archE1030ELNS1_3gpuE2ELNS1_3repE0EEENS1_30default_config_static_selectorELNS0_4arch9wavefront6targetE0EEEvS12_.private_seg_size, 0
	.set _ZN7rocprim17ROCPRIM_400000_NS6detail17trampoline_kernelINS0_13select_configILj256ELj13ELNS0_17block_load_methodE3ELS4_3ELS4_3ELNS0_20block_scan_algorithmE0ELj4294967295EEENS1_25partition_config_selectorILNS1_17partition_subalgoE4EjNS0_10empty_typeEbEEZZNS1_14partition_implILS8_4ELb0ES6_15HIP_vector_typeIjLj2EENS0_17counting_iteratorIjlEEPS9_SG_NS0_5tupleIJPjSI_NS0_16reverse_iteratorISI_EEEEENSH_IJSG_SG_SG_EEES9_SI_JZNS1_25segmented_radix_sort_implINS0_14default_configELb0EPKbPbPKlPlN2at6native12_GLOBAL__N_18offset_tEEE10hipError_tPvRmT1_PNSt15iterator_traitsIS12_E10value_typeET2_T3_PNS13_IS18_E10value_typeET4_jRbjT5_S1E_jjP12ihipStream_tbEUljE_ZNSN_ISO_Lb0ESQ_SR_ST_SU_SY_EESZ_S10_S11_S12_S16_S17_S18_S1B_S1C_jS1D_jS1E_S1E_jjS1G_bEUljE0_EEESZ_S10_S11_S18_S1C_S1E_T6_T7_T9_mT8_S1G_bDpT10_ENKUlT_T0_E_clISt17integral_constantIbLb1EES1T_IbLb0EEEEDaS1P_S1Q_EUlS1P_E_NS1_11comp_targetILNS1_3genE8ELNS1_11target_archE1030ELNS1_3gpuE2ELNS1_3repE0EEENS1_30default_config_static_selectorELNS0_4arch9wavefront6targetE0EEEvS12_.uses_vcc, 0
	.set _ZN7rocprim17ROCPRIM_400000_NS6detail17trampoline_kernelINS0_13select_configILj256ELj13ELNS0_17block_load_methodE3ELS4_3ELS4_3ELNS0_20block_scan_algorithmE0ELj4294967295EEENS1_25partition_config_selectorILNS1_17partition_subalgoE4EjNS0_10empty_typeEbEEZZNS1_14partition_implILS8_4ELb0ES6_15HIP_vector_typeIjLj2EENS0_17counting_iteratorIjlEEPS9_SG_NS0_5tupleIJPjSI_NS0_16reverse_iteratorISI_EEEEENSH_IJSG_SG_SG_EEES9_SI_JZNS1_25segmented_radix_sort_implINS0_14default_configELb0EPKbPbPKlPlN2at6native12_GLOBAL__N_18offset_tEEE10hipError_tPvRmT1_PNSt15iterator_traitsIS12_E10value_typeET2_T3_PNS13_IS18_E10value_typeET4_jRbjT5_S1E_jjP12ihipStream_tbEUljE_ZNSN_ISO_Lb0ESQ_SR_ST_SU_SY_EESZ_S10_S11_S12_S16_S17_S18_S1B_S1C_jS1D_jS1E_S1E_jjS1G_bEUljE0_EEESZ_S10_S11_S18_S1C_S1E_T6_T7_T9_mT8_S1G_bDpT10_ENKUlT_T0_E_clISt17integral_constantIbLb1EES1T_IbLb0EEEEDaS1P_S1Q_EUlS1P_E_NS1_11comp_targetILNS1_3genE8ELNS1_11target_archE1030ELNS1_3gpuE2ELNS1_3repE0EEENS1_30default_config_static_selectorELNS0_4arch9wavefront6targetE0EEEvS12_.uses_flat_scratch, 0
	.set _ZN7rocprim17ROCPRIM_400000_NS6detail17trampoline_kernelINS0_13select_configILj256ELj13ELNS0_17block_load_methodE3ELS4_3ELS4_3ELNS0_20block_scan_algorithmE0ELj4294967295EEENS1_25partition_config_selectorILNS1_17partition_subalgoE4EjNS0_10empty_typeEbEEZZNS1_14partition_implILS8_4ELb0ES6_15HIP_vector_typeIjLj2EENS0_17counting_iteratorIjlEEPS9_SG_NS0_5tupleIJPjSI_NS0_16reverse_iteratorISI_EEEEENSH_IJSG_SG_SG_EEES9_SI_JZNS1_25segmented_radix_sort_implINS0_14default_configELb0EPKbPbPKlPlN2at6native12_GLOBAL__N_18offset_tEEE10hipError_tPvRmT1_PNSt15iterator_traitsIS12_E10value_typeET2_T3_PNS13_IS18_E10value_typeET4_jRbjT5_S1E_jjP12ihipStream_tbEUljE_ZNSN_ISO_Lb0ESQ_SR_ST_SU_SY_EESZ_S10_S11_S12_S16_S17_S18_S1B_S1C_jS1D_jS1E_S1E_jjS1G_bEUljE0_EEESZ_S10_S11_S18_S1C_S1E_T6_T7_T9_mT8_S1G_bDpT10_ENKUlT_T0_E_clISt17integral_constantIbLb1EES1T_IbLb0EEEEDaS1P_S1Q_EUlS1P_E_NS1_11comp_targetILNS1_3genE8ELNS1_11target_archE1030ELNS1_3gpuE2ELNS1_3repE0EEENS1_30default_config_static_selectorELNS0_4arch9wavefront6targetE0EEEvS12_.has_dyn_sized_stack, 0
	.set _ZN7rocprim17ROCPRIM_400000_NS6detail17trampoline_kernelINS0_13select_configILj256ELj13ELNS0_17block_load_methodE3ELS4_3ELS4_3ELNS0_20block_scan_algorithmE0ELj4294967295EEENS1_25partition_config_selectorILNS1_17partition_subalgoE4EjNS0_10empty_typeEbEEZZNS1_14partition_implILS8_4ELb0ES6_15HIP_vector_typeIjLj2EENS0_17counting_iteratorIjlEEPS9_SG_NS0_5tupleIJPjSI_NS0_16reverse_iteratorISI_EEEEENSH_IJSG_SG_SG_EEES9_SI_JZNS1_25segmented_radix_sort_implINS0_14default_configELb0EPKbPbPKlPlN2at6native12_GLOBAL__N_18offset_tEEE10hipError_tPvRmT1_PNSt15iterator_traitsIS12_E10value_typeET2_T3_PNS13_IS18_E10value_typeET4_jRbjT5_S1E_jjP12ihipStream_tbEUljE_ZNSN_ISO_Lb0ESQ_SR_ST_SU_SY_EESZ_S10_S11_S12_S16_S17_S18_S1B_S1C_jS1D_jS1E_S1E_jjS1G_bEUljE0_EEESZ_S10_S11_S18_S1C_S1E_T6_T7_T9_mT8_S1G_bDpT10_ENKUlT_T0_E_clISt17integral_constantIbLb1EES1T_IbLb0EEEEDaS1P_S1Q_EUlS1P_E_NS1_11comp_targetILNS1_3genE8ELNS1_11target_archE1030ELNS1_3gpuE2ELNS1_3repE0EEENS1_30default_config_static_selectorELNS0_4arch9wavefront6targetE0EEEvS12_.has_recursion, 0
	.set _ZN7rocprim17ROCPRIM_400000_NS6detail17trampoline_kernelINS0_13select_configILj256ELj13ELNS0_17block_load_methodE3ELS4_3ELS4_3ELNS0_20block_scan_algorithmE0ELj4294967295EEENS1_25partition_config_selectorILNS1_17partition_subalgoE4EjNS0_10empty_typeEbEEZZNS1_14partition_implILS8_4ELb0ES6_15HIP_vector_typeIjLj2EENS0_17counting_iteratorIjlEEPS9_SG_NS0_5tupleIJPjSI_NS0_16reverse_iteratorISI_EEEEENSH_IJSG_SG_SG_EEES9_SI_JZNS1_25segmented_radix_sort_implINS0_14default_configELb0EPKbPbPKlPlN2at6native12_GLOBAL__N_18offset_tEEE10hipError_tPvRmT1_PNSt15iterator_traitsIS12_E10value_typeET2_T3_PNS13_IS18_E10value_typeET4_jRbjT5_S1E_jjP12ihipStream_tbEUljE_ZNSN_ISO_Lb0ESQ_SR_ST_SU_SY_EESZ_S10_S11_S12_S16_S17_S18_S1B_S1C_jS1D_jS1E_S1E_jjS1G_bEUljE0_EEESZ_S10_S11_S18_S1C_S1E_T6_T7_T9_mT8_S1G_bDpT10_ENKUlT_T0_E_clISt17integral_constantIbLb1EES1T_IbLb0EEEEDaS1P_S1Q_EUlS1P_E_NS1_11comp_targetILNS1_3genE8ELNS1_11target_archE1030ELNS1_3gpuE2ELNS1_3repE0EEENS1_30default_config_static_selectorELNS0_4arch9wavefront6targetE0EEEvS12_.has_indirect_call, 0
	.section	.AMDGPU.csdata,"",@progbits
; Kernel info:
; codeLenInByte = 4
; TotalNumSgprs: 0
; NumVgprs: 0
; ScratchSize: 0
; MemoryBound: 0
; FloatMode: 240
; IeeeMode: 1
; LDSByteSize: 0 bytes/workgroup (compile time only)
; SGPRBlocks: 0
; VGPRBlocks: 0
; NumSGPRsForWavesPerEU: 1
; NumVGPRsForWavesPerEU: 1
; Occupancy: 16
; WaveLimiterHint : 0
; COMPUTE_PGM_RSRC2:SCRATCH_EN: 0
; COMPUTE_PGM_RSRC2:USER_SGPR: 6
; COMPUTE_PGM_RSRC2:TRAP_HANDLER: 0
; COMPUTE_PGM_RSRC2:TGID_X_EN: 1
; COMPUTE_PGM_RSRC2:TGID_Y_EN: 0
; COMPUTE_PGM_RSRC2:TGID_Z_EN: 0
; COMPUTE_PGM_RSRC2:TIDIG_COMP_CNT: 0
	.section	.text._ZN7rocprim17ROCPRIM_400000_NS6detail17trampoline_kernelINS0_13select_configILj256ELj13ELNS0_17block_load_methodE3ELS4_3ELS4_3ELNS0_20block_scan_algorithmE0ELj4294967295EEENS1_25partition_config_selectorILNS1_17partition_subalgoE4EjNS0_10empty_typeEbEEZZNS1_14partition_implILS8_4ELb0ES6_15HIP_vector_typeIjLj2EENS0_17counting_iteratorIjlEEPS9_SG_NS0_5tupleIJPjSI_NS0_16reverse_iteratorISI_EEEEENSH_IJSG_SG_SG_EEES9_SI_JZNS1_25segmented_radix_sort_implINS0_14default_configELb0EPKbPbPKlPlN2at6native12_GLOBAL__N_18offset_tEEE10hipError_tPvRmT1_PNSt15iterator_traitsIS12_E10value_typeET2_T3_PNS13_IS18_E10value_typeET4_jRbjT5_S1E_jjP12ihipStream_tbEUljE_ZNSN_ISO_Lb0ESQ_SR_ST_SU_SY_EESZ_S10_S11_S12_S16_S17_S18_S1B_S1C_jS1D_jS1E_S1E_jjS1G_bEUljE0_EEESZ_S10_S11_S18_S1C_S1E_T6_T7_T9_mT8_S1G_bDpT10_ENKUlT_T0_E_clISt17integral_constantIbLb0EES1T_IbLb1EEEEDaS1P_S1Q_EUlS1P_E_NS1_11comp_targetILNS1_3genE0ELNS1_11target_archE4294967295ELNS1_3gpuE0ELNS1_3repE0EEENS1_30default_config_static_selectorELNS0_4arch9wavefront6targetE0EEEvS12_,"axG",@progbits,_ZN7rocprim17ROCPRIM_400000_NS6detail17trampoline_kernelINS0_13select_configILj256ELj13ELNS0_17block_load_methodE3ELS4_3ELS4_3ELNS0_20block_scan_algorithmE0ELj4294967295EEENS1_25partition_config_selectorILNS1_17partition_subalgoE4EjNS0_10empty_typeEbEEZZNS1_14partition_implILS8_4ELb0ES6_15HIP_vector_typeIjLj2EENS0_17counting_iteratorIjlEEPS9_SG_NS0_5tupleIJPjSI_NS0_16reverse_iteratorISI_EEEEENSH_IJSG_SG_SG_EEES9_SI_JZNS1_25segmented_radix_sort_implINS0_14default_configELb0EPKbPbPKlPlN2at6native12_GLOBAL__N_18offset_tEEE10hipError_tPvRmT1_PNSt15iterator_traitsIS12_E10value_typeET2_T3_PNS13_IS18_E10value_typeET4_jRbjT5_S1E_jjP12ihipStream_tbEUljE_ZNSN_ISO_Lb0ESQ_SR_ST_SU_SY_EESZ_S10_S11_S12_S16_S17_S18_S1B_S1C_jS1D_jS1E_S1E_jjS1G_bEUljE0_EEESZ_S10_S11_S18_S1C_S1E_T6_T7_T9_mT8_S1G_bDpT10_ENKUlT_T0_E_clISt17integral_constantIbLb0EES1T_IbLb1EEEEDaS1P_S1Q_EUlS1P_E_NS1_11comp_targetILNS1_3genE0ELNS1_11target_archE4294967295ELNS1_3gpuE0ELNS1_3repE0EEENS1_30default_config_static_selectorELNS0_4arch9wavefront6targetE0EEEvS12_,comdat
	.globl	_ZN7rocprim17ROCPRIM_400000_NS6detail17trampoline_kernelINS0_13select_configILj256ELj13ELNS0_17block_load_methodE3ELS4_3ELS4_3ELNS0_20block_scan_algorithmE0ELj4294967295EEENS1_25partition_config_selectorILNS1_17partition_subalgoE4EjNS0_10empty_typeEbEEZZNS1_14partition_implILS8_4ELb0ES6_15HIP_vector_typeIjLj2EENS0_17counting_iteratorIjlEEPS9_SG_NS0_5tupleIJPjSI_NS0_16reverse_iteratorISI_EEEEENSH_IJSG_SG_SG_EEES9_SI_JZNS1_25segmented_radix_sort_implINS0_14default_configELb0EPKbPbPKlPlN2at6native12_GLOBAL__N_18offset_tEEE10hipError_tPvRmT1_PNSt15iterator_traitsIS12_E10value_typeET2_T3_PNS13_IS18_E10value_typeET4_jRbjT5_S1E_jjP12ihipStream_tbEUljE_ZNSN_ISO_Lb0ESQ_SR_ST_SU_SY_EESZ_S10_S11_S12_S16_S17_S18_S1B_S1C_jS1D_jS1E_S1E_jjS1G_bEUljE0_EEESZ_S10_S11_S18_S1C_S1E_T6_T7_T9_mT8_S1G_bDpT10_ENKUlT_T0_E_clISt17integral_constantIbLb0EES1T_IbLb1EEEEDaS1P_S1Q_EUlS1P_E_NS1_11comp_targetILNS1_3genE0ELNS1_11target_archE4294967295ELNS1_3gpuE0ELNS1_3repE0EEENS1_30default_config_static_selectorELNS0_4arch9wavefront6targetE0EEEvS12_ ; -- Begin function _ZN7rocprim17ROCPRIM_400000_NS6detail17trampoline_kernelINS0_13select_configILj256ELj13ELNS0_17block_load_methodE3ELS4_3ELS4_3ELNS0_20block_scan_algorithmE0ELj4294967295EEENS1_25partition_config_selectorILNS1_17partition_subalgoE4EjNS0_10empty_typeEbEEZZNS1_14partition_implILS8_4ELb0ES6_15HIP_vector_typeIjLj2EENS0_17counting_iteratorIjlEEPS9_SG_NS0_5tupleIJPjSI_NS0_16reverse_iteratorISI_EEEEENSH_IJSG_SG_SG_EEES9_SI_JZNS1_25segmented_radix_sort_implINS0_14default_configELb0EPKbPbPKlPlN2at6native12_GLOBAL__N_18offset_tEEE10hipError_tPvRmT1_PNSt15iterator_traitsIS12_E10value_typeET2_T3_PNS13_IS18_E10value_typeET4_jRbjT5_S1E_jjP12ihipStream_tbEUljE_ZNSN_ISO_Lb0ESQ_SR_ST_SU_SY_EESZ_S10_S11_S12_S16_S17_S18_S1B_S1C_jS1D_jS1E_S1E_jjS1G_bEUljE0_EEESZ_S10_S11_S18_S1C_S1E_T6_T7_T9_mT8_S1G_bDpT10_ENKUlT_T0_E_clISt17integral_constantIbLb0EES1T_IbLb1EEEEDaS1P_S1Q_EUlS1P_E_NS1_11comp_targetILNS1_3genE0ELNS1_11target_archE4294967295ELNS1_3gpuE0ELNS1_3repE0EEENS1_30default_config_static_selectorELNS0_4arch9wavefront6targetE0EEEvS12_
	.p2align	8
	.type	_ZN7rocprim17ROCPRIM_400000_NS6detail17trampoline_kernelINS0_13select_configILj256ELj13ELNS0_17block_load_methodE3ELS4_3ELS4_3ELNS0_20block_scan_algorithmE0ELj4294967295EEENS1_25partition_config_selectorILNS1_17partition_subalgoE4EjNS0_10empty_typeEbEEZZNS1_14partition_implILS8_4ELb0ES6_15HIP_vector_typeIjLj2EENS0_17counting_iteratorIjlEEPS9_SG_NS0_5tupleIJPjSI_NS0_16reverse_iteratorISI_EEEEENSH_IJSG_SG_SG_EEES9_SI_JZNS1_25segmented_radix_sort_implINS0_14default_configELb0EPKbPbPKlPlN2at6native12_GLOBAL__N_18offset_tEEE10hipError_tPvRmT1_PNSt15iterator_traitsIS12_E10value_typeET2_T3_PNS13_IS18_E10value_typeET4_jRbjT5_S1E_jjP12ihipStream_tbEUljE_ZNSN_ISO_Lb0ESQ_SR_ST_SU_SY_EESZ_S10_S11_S12_S16_S17_S18_S1B_S1C_jS1D_jS1E_S1E_jjS1G_bEUljE0_EEESZ_S10_S11_S18_S1C_S1E_T6_T7_T9_mT8_S1G_bDpT10_ENKUlT_T0_E_clISt17integral_constantIbLb0EES1T_IbLb1EEEEDaS1P_S1Q_EUlS1P_E_NS1_11comp_targetILNS1_3genE0ELNS1_11target_archE4294967295ELNS1_3gpuE0ELNS1_3repE0EEENS1_30default_config_static_selectorELNS0_4arch9wavefront6targetE0EEEvS12_,@function
_ZN7rocprim17ROCPRIM_400000_NS6detail17trampoline_kernelINS0_13select_configILj256ELj13ELNS0_17block_load_methodE3ELS4_3ELS4_3ELNS0_20block_scan_algorithmE0ELj4294967295EEENS1_25partition_config_selectorILNS1_17partition_subalgoE4EjNS0_10empty_typeEbEEZZNS1_14partition_implILS8_4ELb0ES6_15HIP_vector_typeIjLj2EENS0_17counting_iteratorIjlEEPS9_SG_NS0_5tupleIJPjSI_NS0_16reverse_iteratorISI_EEEEENSH_IJSG_SG_SG_EEES9_SI_JZNS1_25segmented_radix_sort_implINS0_14default_configELb0EPKbPbPKlPlN2at6native12_GLOBAL__N_18offset_tEEE10hipError_tPvRmT1_PNSt15iterator_traitsIS12_E10value_typeET2_T3_PNS13_IS18_E10value_typeET4_jRbjT5_S1E_jjP12ihipStream_tbEUljE_ZNSN_ISO_Lb0ESQ_SR_ST_SU_SY_EESZ_S10_S11_S12_S16_S17_S18_S1B_S1C_jS1D_jS1E_S1E_jjS1G_bEUljE0_EEESZ_S10_S11_S18_S1C_S1E_T6_T7_T9_mT8_S1G_bDpT10_ENKUlT_T0_E_clISt17integral_constantIbLb0EES1T_IbLb1EEEEDaS1P_S1Q_EUlS1P_E_NS1_11comp_targetILNS1_3genE0ELNS1_11target_archE4294967295ELNS1_3gpuE0ELNS1_3repE0EEENS1_30default_config_static_selectorELNS0_4arch9wavefront6targetE0EEEvS12_: ; @_ZN7rocprim17ROCPRIM_400000_NS6detail17trampoline_kernelINS0_13select_configILj256ELj13ELNS0_17block_load_methodE3ELS4_3ELS4_3ELNS0_20block_scan_algorithmE0ELj4294967295EEENS1_25partition_config_selectorILNS1_17partition_subalgoE4EjNS0_10empty_typeEbEEZZNS1_14partition_implILS8_4ELb0ES6_15HIP_vector_typeIjLj2EENS0_17counting_iteratorIjlEEPS9_SG_NS0_5tupleIJPjSI_NS0_16reverse_iteratorISI_EEEEENSH_IJSG_SG_SG_EEES9_SI_JZNS1_25segmented_radix_sort_implINS0_14default_configELb0EPKbPbPKlPlN2at6native12_GLOBAL__N_18offset_tEEE10hipError_tPvRmT1_PNSt15iterator_traitsIS12_E10value_typeET2_T3_PNS13_IS18_E10value_typeET4_jRbjT5_S1E_jjP12ihipStream_tbEUljE_ZNSN_ISO_Lb0ESQ_SR_ST_SU_SY_EESZ_S10_S11_S12_S16_S17_S18_S1B_S1C_jS1D_jS1E_S1E_jjS1G_bEUljE0_EEESZ_S10_S11_S18_S1C_S1E_T6_T7_T9_mT8_S1G_bDpT10_ENKUlT_T0_E_clISt17integral_constantIbLb0EES1T_IbLb1EEEEDaS1P_S1Q_EUlS1P_E_NS1_11comp_targetILNS1_3genE0ELNS1_11target_archE4294967295ELNS1_3gpuE0ELNS1_3repE0EEENS1_30default_config_static_selectorELNS0_4arch9wavefront6targetE0EEEvS12_
; %bb.0:
	.section	.rodata,"a",@progbits
	.p2align	6, 0x0
	.amdhsa_kernel _ZN7rocprim17ROCPRIM_400000_NS6detail17trampoline_kernelINS0_13select_configILj256ELj13ELNS0_17block_load_methodE3ELS4_3ELS4_3ELNS0_20block_scan_algorithmE0ELj4294967295EEENS1_25partition_config_selectorILNS1_17partition_subalgoE4EjNS0_10empty_typeEbEEZZNS1_14partition_implILS8_4ELb0ES6_15HIP_vector_typeIjLj2EENS0_17counting_iteratorIjlEEPS9_SG_NS0_5tupleIJPjSI_NS0_16reverse_iteratorISI_EEEEENSH_IJSG_SG_SG_EEES9_SI_JZNS1_25segmented_radix_sort_implINS0_14default_configELb0EPKbPbPKlPlN2at6native12_GLOBAL__N_18offset_tEEE10hipError_tPvRmT1_PNSt15iterator_traitsIS12_E10value_typeET2_T3_PNS13_IS18_E10value_typeET4_jRbjT5_S1E_jjP12ihipStream_tbEUljE_ZNSN_ISO_Lb0ESQ_SR_ST_SU_SY_EESZ_S10_S11_S12_S16_S17_S18_S1B_S1C_jS1D_jS1E_S1E_jjS1G_bEUljE0_EEESZ_S10_S11_S18_S1C_S1E_T6_T7_T9_mT8_S1G_bDpT10_ENKUlT_T0_E_clISt17integral_constantIbLb0EES1T_IbLb1EEEEDaS1P_S1Q_EUlS1P_E_NS1_11comp_targetILNS1_3genE0ELNS1_11target_archE4294967295ELNS1_3gpuE0ELNS1_3repE0EEENS1_30default_config_static_selectorELNS0_4arch9wavefront6targetE0EEEvS12_
		.amdhsa_group_segment_fixed_size 0
		.amdhsa_private_segment_fixed_size 0
		.amdhsa_kernarg_size 184
		.amdhsa_user_sgpr_count 6
		.amdhsa_user_sgpr_private_segment_buffer 1
		.amdhsa_user_sgpr_dispatch_ptr 0
		.amdhsa_user_sgpr_queue_ptr 0
		.amdhsa_user_sgpr_kernarg_segment_ptr 1
		.amdhsa_user_sgpr_dispatch_id 0
		.amdhsa_user_sgpr_flat_scratch_init 0
		.amdhsa_user_sgpr_private_segment_size 0
		.amdhsa_wavefront_size32 1
		.amdhsa_uses_dynamic_stack 0
		.amdhsa_system_sgpr_private_segment_wavefront_offset 0
		.amdhsa_system_sgpr_workgroup_id_x 1
		.amdhsa_system_sgpr_workgroup_id_y 0
		.amdhsa_system_sgpr_workgroup_id_z 0
		.amdhsa_system_sgpr_workgroup_info 0
		.amdhsa_system_vgpr_workitem_id 0
		.amdhsa_next_free_vgpr 1
		.amdhsa_next_free_sgpr 1
		.amdhsa_reserve_vcc 0
		.amdhsa_reserve_flat_scratch 0
		.amdhsa_float_round_mode_32 0
		.amdhsa_float_round_mode_16_64 0
		.amdhsa_float_denorm_mode_32 3
		.amdhsa_float_denorm_mode_16_64 3
		.amdhsa_dx10_clamp 1
		.amdhsa_ieee_mode 1
		.amdhsa_fp16_overflow 0
		.amdhsa_workgroup_processor_mode 1
		.amdhsa_memory_ordered 1
		.amdhsa_forward_progress 1
		.amdhsa_shared_vgpr_count 0
		.amdhsa_exception_fp_ieee_invalid_op 0
		.amdhsa_exception_fp_denorm_src 0
		.amdhsa_exception_fp_ieee_div_zero 0
		.amdhsa_exception_fp_ieee_overflow 0
		.amdhsa_exception_fp_ieee_underflow 0
		.amdhsa_exception_fp_ieee_inexact 0
		.amdhsa_exception_int_div_zero 0
	.end_amdhsa_kernel
	.section	.text._ZN7rocprim17ROCPRIM_400000_NS6detail17trampoline_kernelINS0_13select_configILj256ELj13ELNS0_17block_load_methodE3ELS4_3ELS4_3ELNS0_20block_scan_algorithmE0ELj4294967295EEENS1_25partition_config_selectorILNS1_17partition_subalgoE4EjNS0_10empty_typeEbEEZZNS1_14partition_implILS8_4ELb0ES6_15HIP_vector_typeIjLj2EENS0_17counting_iteratorIjlEEPS9_SG_NS0_5tupleIJPjSI_NS0_16reverse_iteratorISI_EEEEENSH_IJSG_SG_SG_EEES9_SI_JZNS1_25segmented_radix_sort_implINS0_14default_configELb0EPKbPbPKlPlN2at6native12_GLOBAL__N_18offset_tEEE10hipError_tPvRmT1_PNSt15iterator_traitsIS12_E10value_typeET2_T3_PNS13_IS18_E10value_typeET4_jRbjT5_S1E_jjP12ihipStream_tbEUljE_ZNSN_ISO_Lb0ESQ_SR_ST_SU_SY_EESZ_S10_S11_S12_S16_S17_S18_S1B_S1C_jS1D_jS1E_S1E_jjS1G_bEUljE0_EEESZ_S10_S11_S18_S1C_S1E_T6_T7_T9_mT8_S1G_bDpT10_ENKUlT_T0_E_clISt17integral_constantIbLb0EES1T_IbLb1EEEEDaS1P_S1Q_EUlS1P_E_NS1_11comp_targetILNS1_3genE0ELNS1_11target_archE4294967295ELNS1_3gpuE0ELNS1_3repE0EEENS1_30default_config_static_selectorELNS0_4arch9wavefront6targetE0EEEvS12_,"axG",@progbits,_ZN7rocprim17ROCPRIM_400000_NS6detail17trampoline_kernelINS0_13select_configILj256ELj13ELNS0_17block_load_methodE3ELS4_3ELS4_3ELNS0_20block_scan_algorithmE0ELj4294967295EEENS1_25partition_config_selectorILNS1_17partition_subalgoE4EjNS0_10empty_typeEbEEZZNS1_14partition_implILS8_4ELb0ES6_15HIP_vector_typeIjLj2EENS0_17counting_iteratorIjlEEPS9_SG_NS0_5tupleIJPjSI_NS0_16reverse_iteratorISI_EEEEENSH_IJSG_SG_SG_EEES9_SI_JZNS1_25segmented_radix_sort_implINS0_14default_configELb0EPKbPbPKlPlN2at6native12_GLOBAL__N_18offset_tEEE10hipError_tPvRmT1_PNSt15iterator_traitsIS12_E10value_typeET2_T3_PNS13_IS18_E10value_typeET4_jRbjT5_S1E_jjP12ihipStream_tbEUljE_ZNSN_ISO_Lb0ESQ_SR_ST_SU_SY_EESZ_S10_S11_S12_S16_S17_S18_S1B_S1C_jS1D_jS1E_S1E_jjS1G_bEUljE0_EEESZ_S10_S11_S18_S1C_S1E_T6_T7_T9_mT8_S1G_bDpT10_ENKUlT_T0_E_clISt17integral_constantIbLb0EES1T_IbLb1EEEEDaS1P_S1Q_EUlS1P_E_NS1_11comp_targetILNS1_3genE0ELNS1_11target_archE4294967295ELNS1_3gpuE0ELNS1_3repE0EEENS1_30default_config_static_selectorELNS0_4arch9wavefront6targetE0EEEvS12_,comdat
.Lfunc_end1586:
	.size	_ZN7rocprim17ROCPRIM_400000_NS6detail17trampoline_kernelINS0_13select_configILj256ELj13ELNS0_17block_load_methodE3ELS4_3ELS4_3ELNS0_20block_scan_algorithmE0ELj4294967295EEENS1_25partition_config_selectorILNS1_17partition_subalgoE4EjNS0_10empty_typeEbEEZZNS1_14partition_implILS8_4ELb0ES6_15HIP_vector_typeIjLj2EENS0_17counting_iteratorIjlEEPS9_SG_NS0_5tupleIJPjSI_NS0_16reverse_iteratorISI_EEEEENSH_IJSG_SG_SG_EEES9_SI_JZNS1_25segmented_radix_sort_implINS0_14default_configELb0EPKbPbPKlPlN2at6native12_GLOBAL__N_18offset_tEEE10hipError_tPvRmT1_PNSt15iterator_traitsIS12_E10value_typeET2_T3_PNS13_IS18_E10value_typeET4_jRbjT5_S1E_jjP12ihipStream_tbEUljE_ZNSN_ISO_Lb0ESQ_SR_ST_SU_SY_EESZ_S10_S11_S12_S16_S17_S18_S1B_S1C_jS1D_jS1E_S1E_jjS1G_bEUljE0_EEESZ_S10_S11_S18_S1C_S1E_T6_T7_T9_mT8_S1G_bDpT10_ENKUlT_T0_E_clISt17integral_constantIbLb0EES1T_IbLb1EEEEDaS1P_S1Q_EUlS1P_E_NS1_11comp_targetILNS1_3genE0ELNS1_11target_archE4294967295ELNS1_3gpuE0ELNS1_3repE0EEENS1_30default_config_static_selectorELNS0_4arch9wavefront6targetE0EEEvS12_, .Lfunc_end1586-_ZN7rocprim17ROCPRIM_400000_NS6detail17trampoline_kernelINS0_13select_configILj256ELj13ELNS0_17block_load_methodE3ELS4_3ELS4_3ELNS0_20block_scan_algorithmE0ELj4294967295EEENS1_25partition_config_selectorILNS1_17partition_subalgoE4EjNS0_10empty_typeEbEEZZNS1_14partition_implILS8_4ELb0ES6_15HIP_vector_typeIjLj2EENS0_17counting_iteratorIjlEEPS9_SG_NS0_5tupleIJPjSI_NS0_16reverse_iteratorISI_EEEEENSH_IJSG_SG_SG_EEES9_SI_JZNS1_25segmented_radix_sort_implINS0_14default_configELb0EPKbPbPKlPlN2at6native12_GLOBAL__N_18offset_tEEE10hipError_tPvRmT1_PNSt15iterator_traitsIS12_E10value_typeET2_T3_PNS13_IS18_E10value_typeET4_jRbjT5_S1E_jjP12ihipStream_tbEUljE_ZNSN_ISO_Lb0ESQ_SR_ST_SU_SY_EESZ_S10_S11_S12_S16_S17_S18_S1B_S1C_jS1D_jS1E_S1E_jjS1G_bEUljE0_EEESZ_S10_S11_S18_S1C_S1E_T6_T7_T9_mT8_S1G_bDpT10_ENKUlT_T0_E_clISt17integral_constantIbLb0EES1T_IbLb1EEEEDaS1P_S1Q_EUlS1P_E_NS1_11comp_targetILNS1_3genE0ELNS1_11target_archE4294967295ELNS1_3gpuE0ELNS1_3repE0EEENS1_30default_config_static_selectorELNS0_4arch9wavefront6targetE0EEEvS12_
                                        ; -- End function
	.set _ZN7rocprim17ROCPRIM_400000_NS6detail17trampoline_kernelINS0_13select_configILj256ELj13ELNS0_17block_load_methodE3ELS4_3ELS4_3ELNS0_20block_scan_algorithmE0ELj4294967295EEENS1_25partition_config_selectorILNS1_17partition_subalgoE4EjNS0_10empty_typeEbEEZZNS1_14partition_implILS8_4ELb0ES6_15HIP_vector_typeIjLj2EENS0_17counting_iteratorIjlEEPS9_SG_NS0_5tupleIJPjSI_NS0_16reverse_iteratorISI_EEEEENSH_IJSG_SG_SG_EEES9_SI_JZNS1_25segmented_radix_sort_implINS0_14default_configELb0EPKbPbPKlPlN2at6native12_GLOBAL__N_18offset_tEEE10hipError_tPvRmT1_PNSt15iterator_traitsIS12_E10value_typeET2_T3_PNS13_IS18_E10value_typeET4_jRbjT5_S1E_jjP12ihipStream_tbEUljE_ZNSN_ISO_Lb0ESQ_SR_ST_SU_SY_EESZ_S10_S11_S12_S16_S17_S18_S1B_S1C_jS1D_jS1E_S1E_jjS1G_bEUljE0_EEESZ_S10_S11_S18_S1C_S1E_T6_T7_T9_mT8_S1G_bDpT10_ENKUlT_T0_E_clISt17integral_constantIbLb0EES1T_IbLb1EEEEDaS1P_S1Q_EUlS1P_E_NS1_11comp_targetILNS1_3genE0ELNS1_11target_archE4294967295ELNS1_3gpuE0ELNS1_3repE0EEENS1_30default_config_static_selectorELNS0_4arch9wavefront6targetE0EEEvS12_.num_vgpr, 0
	.set _ZN7rocprim17ROCPRIM_400000_NS6detail17trampoline_kernelINS0_13select_configILj256ELj13ELNS0_17block_load_methodE3ELS4_3ELS4_3ELNS0_20block_scan_algorithmE0ELj4294967295EEENS1_25partition_config_selectorILNS1_17partition_subalgoE4EjNS0_10empty_typeEbEEZZNS1_14partition_implILS8_4ELb0ES6_15HIP_vector_typeIjLj2EENS0_17counting_iteratorIjlEEPS9_SG_NS0_5tupleIJPjSI_NS0_16reverse_iteratorISI_EEEEENSH_IJSG_SG_SG_EEES9_SI_JZNS1_25segmented_radix_sort_implINS0_14default_configELb0EPKbPbPKlPlN2at6native12_GLOBAL__N_18offset_tEEE10hipError_tPvRmT1_PNSt15iterator_traitsIS12_E10value_typeET2_T3_PNS13_IS18_E10value_typeET4_jRbjT5_S1E_jjP12ihipStream_tbEUljE_ZNSN_ISO_Lb0ESQ_SR_ST_SU_SY_EESZ_S10_S11_S12_S16_S17_S18_S1B_S1C_jS1D_jS1E_S1E_jjS1G_bEUljE0_EEESZ_S10_S11_S18_S1C_S1E_T6_T7_T9_mT8_S1G_bDpT10_ENKUlT_T0_E_clISt17integral_constantIbLb0EES1T_IbLb1EEEEDaS1P_S1Q_EUlS1P_E_NS1_11comp_targetILNS1_3genE0ELNS1_11target_archE4294967295ELNS1_3gpuE0ELNS1_3repE0EEENS1_30default_config_static_selectorELNS0_4arch9wavefront6targetE0EEEvS12_.num_agpr, 0
	.set _ZN7rocprim17ROCPRIM_400000_NS6detail17trampoline_kernelINS0_13select_configILj256ELj13ELNS0_17block_load_methodE3ELS4_3ELS4_3ELNS0_20block_scan_algorithmE0ELj4294967295EEENS1_25partition_config_selectorILNS1_17partition_subalgoE4EjNS0_10empty_typeEbEEZZNS1_14partition_implILS8_4ELb0ES6_15HIP_vector_typeIjLj2EENS0_17counting_iteratorIjlEEPS9_SG_NS0_5tupleIJPjSI_NS0_16reverse_iteratorISI_EEEEENSH_IJSG_SG_SG_EEES9_SI_JZNS1_25segmented_radix_sort_implINS0_14default_configELb0EPKbPbPKlPlN2at6native12_GLOBAL__N_18offset_tEEE10hipError_tPvRmT1_PNSt15iterator_traitsIS12_E10value_typeET2_T3_PNS13_IS18_E10value_typeET4_jRbjT5_S1E_jjP12ihipStream_tbEUljE_ZNSN_ISO_Lb0ESQ_SR_ST_SU_SY_EESZ_S10_S11_S12_S16_S17_S18_S1B_S1C_jS1D_jS1E_S1E_jjS1G_bEUljE0_EEESZ_S10_S11_S18_S1C_S1E_T6_T7_T9_mT8_S1G_bDpT10_ENKUlT_T0_E_clISt17integral_constantIbLb0EES1T_IbLb1EEEEDaS1P_S1Q_EUlS1P_E_NS1_11comp_targetILNS1_3genE0ELNS1_11target_archE4294967295ELNS1_3gpuE0ELNS1_3repE0EEENS1_30default_config_static_selectorELNS0_4arch9wavefront6targetE0EEEvS12_.numbered_sgpr, 0
	.set _ZN7rocprim17ROCPRIM_400000_NS6detail17trampoline_kernelINS0_13select_configILj256ELj13ELNS0_17block_load_methodE3ELS4_3ELS4_3ELNS0_20block_scan_algorithmE0ELj4294967295EEENS1_25partition_config_selectorILNS1_17partition_subalgoE4EjNS0_10empty_typeEbEEZZNS1_14partition_implILS8_4ELb0ES6_15HIP_vector_typeIjLj2EENS0_17counting_iteratorIjlEEPS9_SG_NS0_5tupleIJPjSI_NS0_16reverse_iteratorISI_EEEEENSH_IJSG_SG_SG_EEES9_SI_JZNS1_25segmented_radix_sort_implINS0_14default_configELb0EPKbPbPKlPlN2at6native12_GLOBAL__N_18offset_tEEE10hipError_tPvRmT1_PNSt15iterator_traitsIS12_E10value_typeET2_T3_PNS13_IS18_E10value_typeET4_jRbjT5_S1E_jjP12ihipStream_tbEUljE_ZNSN_ISO_Lb0ESQ_SR_ST_SU_SY_EESZ_S10_S11_S12_S16_S17_S18_S1B_S1C_jS1D_jS1E_S1E_jjS1G_bEUljE0_EEESZ_S10_S11_S18_S1C_S1E_T6_T7_T9_mT8_S1G_bDpT10_ENKUlT_T0_E_clISt17integral_constantIbLb0EES1T_IbLb1EEEEDaS1P_S1Q_EUlS1P_E_NS1_11comp_targetILNS1_3genE0ELNS1_11target_archE4294967295ELNS1_3gpuE0ELNS1_3repE0EEENS1_30default_config_static_selectorELNS0_4arch9wavefront6targetE0EEEvS12_.num_named_barrier, 0
	.set _ZN7rocprim17ROCPRIM_400000_NS6detail17trampoline_kernelINS0_13select_configILj256ELj13ELNS0_17block_load_methodE3ELS4_3ELS4_3ELNS0_20block_scan_algorithmE0ELj4294967295EEENS1_25partition_config_selectorILNS1_17partition_subalgoE4EjNS0_10empty_typeEbEEZZNS1_14partition_implILS8_4ELb0ES6_15HIP_vector_typeIjLj2EENS0_17counting_iteratorIjlEEPS9_SG_NS0_5tupleIJPjSI_NS0_16reverse_iteratorISI_EEEEENSH_IJSG_SG_SG_EEES9_SI_JZNS1_25segmented_radix_sort_implINS0_14default_configELb0EPKbPbPKlPlN2at6native12_GLOBAL__N_18offset_tEEE10hipError_tPvRmT1_PNSt15iterator_traitsIS12_E10value_typeET2_T3_PNS13_IS18_E10value_typeET4_jRbjT5_S1E_jjP12ihipStream_tbEUljE_ZNSN_ISO_Lb0ESQ_SR_ST_SU_SY_EESZ_S10_S11_S12_S16_S17_S18_S1B_S1C_jS1D_jS1E_S1E_jjS1G_bEUljE0_EEESZ_S10_S11_S18_S1C_S1E_T6_T7_T9_mT8_S1G_bDpT10_ENKUlT_T0_E_clISt17integral_constantIbLb0EES1T_IbLb1EEEEDaS1P_S1Q_EUlS1P_E_NS1_11comp_targetILNS1_3genE0ELNS1_11target_archE4294967295ELNS1_3gpuE0ELNS1_3repE0EEENS1_30default_config_static_selectorELNS0_4arch9wavefront6targetE0EEEvS12_.private_seg_size, 0
	.set _ZN7rocprim17ROCPRIM_400000_NS6detail17trampoline_kernelINS0_13select_configILj256ELj13ELNS0_17block_load_methodE3ELS4_3ELS4_3ELNS0_20block_scan_algorithmE0ELj4294967295EEENS1_25partition_config_selectorILNS1_17partition_subalgoE4EjNS0_10empty_typeEbEEZZNS1_14partition_implILS8_4ELb0ES6_15HIP_vector_typeIjLj2EENS0_17counting_iteratorIjlEEPS9_SG_NS0_5tupleIJPjSI_NS0_16reverse_iteratorISI_EEEEENSH_IJSG_SG_SG_EEES9_SI_JZNS1_25segmented_radix_sort_implINS0_14default_configELb0EPKbPbPKlPlN2at6native12_GLOBAL__N_18offset_tEEE10hipError_tPvRmT1_PNSt15iterator_traitsIS12_E10value_typeET2_T3_PNS13_IS18_E10value_typeET4_jRbjT5_S1E_jjP12ihipStream_tbEUljE_ZNSN_ISO_Lb0ESQ_SR_ST_SU_SY_EESZ_S10_S11_S12_S16_S17_S18_S1B_S1C_jS1D_jS1E_S1E_jjS1G_bEUljE0_EEESZ_S10_S11_S18_S1C_S1E_T6_T7_T9_mT8_S1G_bDpT10_ENKUlT_T0_E_clISt17integral_constantIbLb0EES1T_IbLb1EEEEDaS1P_S1Q_EUlS1P_E_NS1_11comp_targetILNS1_3genE0ELNS1_11target_archE4294967295ELNS1_3gpuE0ELNS1_3repE0EEENS1_30default_config_static_selectorELNS0_4arch9wavefront6targetE0EEEvS12_.uses_vcc, 0
	.set _ZN7rocprim17ROCPRIM_400000_NS6detail17trampoline_kernelINS0_13select_configILj256ELj13ELNS0_17block_load_methodE3ELS4_3ELS4_3ELNS0_20block_scan_algorithmE0ELj4294967295EEENS1_25partition_config_selectorILNS1_17partition_subalgoE4EjNS0_10empty_typeEbEEZZNS1_14partition_implILS8_4ELb0ES6_15HIP_vector_typeIjLj2EENS0_17counting_iteratorIjlEEPS9_SG_NS0_5tupleIJPjSI_NS0_16reverse_iteratorISI_EEEEENSH_IJSG_SG_SG_EEES9_SI_JZNS1_25segmented_radix_sort_implINS0_14default_configELb0EPKbPbPKlPlN2at6native12_GLOBAL__N_18offset_tEEE10hipError_tPvRmT1_PNSt15iterator_traitsIS12_E10value_typeET2_T3_PNS13_IS18_E10value_typeET4_jRbjT5_S1E_jjP12ihipStream_tbEUljE_ZNSN_ISO_Lb0ESQ_SR_ST_SU_SY_EESZ_S10_S11_S12_S16_S17_S18_S1B_S1C_jS1D_jS1E_S1E_jjS1G_bEUljE0_EEESZ_S10_S11_S18_S1C_S1E_T6_T7_T9_mT8_S1G_bDpT10_ENKUlT_T0_E_clISt17integral_constantIbLb0EES1T_IbLb1EEEEDaS1P_S1Q_EUlS1P_E_NS1_11comp_targetILNS1_3genE0ELNS1_11target_archE4294967295ELNS1_3gpuE0ELNS1_3repE0EEENS1_30default_config_static_selectorELNS0_4arch9wavefront6targetE0EEEvS12_.uses_flat_scratch, 0
	.set _ZN7rocprim17ROCPRIM_400000_NS6detail17trampoline_kernelINS0_13select_configILj256ELj13ELNS0_17block_load_methodE3ELS4_3ELS4_3ELNS0_20block_scan_algorithmE0ELj4294967295EEENS1_25partition_config_selectorILNS1_17partition_subalgoE4EjNS0_10empty_typeEbEEZZNS1_14partition_implILS8_4ELb0ES6_15HIP_vector_typeIjLj2EENS0_17counting_iteratorIjlEEPS9_SG_NS0_5tupleIJPjSI_NS0_16reverse_iteratorISI_EEEEENSH_IJSG_SG_SG_EEES9_SI_JZNS1_25segmented_radix_sort_implINS0_14default_configELb0EPKbPbPKlPlN2at6native12_GLOBAL__N_18offset_tEEE10hipError_tPvRmT1_PNSt15iterator_traitsIS12_E10value_typeET2_T3_PNS13_IS18_E10value_typeET4_jRbjT5_S1E_jjP12ihipStream_tbEUljE_ZNSN_ISO_Lb0ESQ_SR_ST_SU_SY_EESZ_S10_S11_S12_S16_S17_S18_S1B_S1C_jS1D_jS1E_S1E_jjS1G_bEUljE0_EEESZ_S10_S11_S18_S1C_S1E_T6_T7_T9_mT8_S1G_bDpT10_ENKUlT_T0_E_clISt17integral_constantIbLb0EES1T_IbLb1EEEEDaS1P_S1Q_EUlS1P_E_NS1_11comp_targetILNS1_3genE0ELNS1_11target_archE4294967295ELNS1_3gpuE0ELNS1_3repE0EEENS1_30default_config_static_selectorELNS0_4arch9wavefront6targetE0EEEvS12_.has_dyn_sized_stack, 0
	.set _ZN7rocprim17ROCPRIM_400000_NS6detail17trampoline_kernelINS0_13select_configILj256ELj13ELNS0_17block_load_methodE3ELS4_3ELS4_3ELNS0_20block_scan_algorithmE0ELj4294967295EEENS1_25partition_config_selectorILNS1_17partition_subalgoE4EjNS0_10empty_typeEbEEZZNS1_14partition_implILS8_4ELb0ES6_15HIP_vector_typeIjLj2EENS0_17counting_iteratorIjlEEPS9_SG_NS0_5tupleIJPjSI_NS0_16reverse_iteratorISI_EEEEENSH_IJSG_SG_SG_EEES9_SI_JZNS1_25segmented_radix_sort_implINS0_14default_configELb0EPKbPbPKlPlN2at6native12_GLOBAL__N_18offset_tEEE10hipError_tPvRmT1_PNSt15iterator_traitsIS12_E10value_typeET2_T3_PNS13_IS18_E10value_typeET4_jRbjT5_S1E_jjP12ihipStream_tbEUljE_ZNSN_ISO_Lb0ESQ_SR_ST_SU_SY_EESZ_S10_S11_S12_S16_S17_S18_S1B_S1C_jS1D_jS1E_S1E_jjS1G_bEUljE0_EEESZ_S10_S11_S18_S1C_S1E_T6_T7_T9_mT8_S1G_bDpT10_ENKUlT_T0_E_clISt17integral_constantIbLb0EES1T_IbLb1EEEEDaS1P_S1Q_EUlS1P_E_NS1_11comp_targetILNS1_3genE0ELNS1_11target_archE4294967295ELNS1_3gpuE0ELNS1_3repE0EEENS1_30default_config_static_selectorELNS0_4arch9wavefront6targetE0EEEvS12_.has_recursion, 0
	.set _ZN7rocprim17ROCPRIM_400000_NS6detail17trampoline_kernelINS0_13select_configILj256ELj13ELNS0_17block_load_methodE3ELS4_3ELS4_3ELNS0_20block_scan_algorithmE0ELj4294967295EEENS1_25partition_config_selectorILNS1_17partition_subalgoE4EjNS0_10empty_typeEbEEZZNS1_14partition_implILS8_4ELb0ES6_15HIP_vector_typeIjLj2EENS0_17counting_iteratorIjlEEPS9_SG_NS0_5tupleIJPjSI_NS0_16reverse_iteratorISI_EEEEENSH_IJSG_SG_SG_EEES9_SI_JZNS1_25segmented_radix_sort_implINS0_14default_configELb0EPKbPbPKlPlN2at6native12_GLOBAL__N_18offset_tEEE10hipError_tPvRmT1_PNSt15iterator_traitsIS12_E10value_typeET2_T3_PNS13_IS18_E10value_typeET4_jRbjT5_S1E_jjP12ihipStream_tbEUljE_ZNSN_ISO_Lb0ESQ_SR_ST_SU_SY_EESZ_S10_S11_S12_S16_S17_S18_S1B_S1C_jS1D_jS1E_S1E_jjS1G_bEUljE0_EEESZ_S10_S11_S18_S1C_S1E_T6_T7_T9_mT8_S1G_bDpT10_ENKUlT_T0_E_clISt17integral_constantIbLb0EES1T_IbLb1EEEEDaS1P_S1Q_EUlS1P_E_NS1_11comp_targetILNS1_3genE0ELNS1_11target_archE4294967295ELNS1_3gpuE0ELNS1_3repE0EEENS1_30default_config_static_selectorELNS0_4arch9wavefront6targetE0EEEvS12_.has_indirect_call, 0
	.section	.AMDGPU.csdata,"",@progbits
; Kernel info:
; codeLenInByte = 0
; TotalNumSgprs: 0
; NumVgprs: 0
; ScratchSize: 0
; MemoryBound: 0
; FloatMode: 240
; IeeeMode: 1
; LDSByteSize: 0 bytes/workgroup (compile time only)
; SGPRBlocks: 0
; VGPRBlocks: 0
; NumSGPRsForWavesPerEU: 1
; NumVGPRsForWavesPerEU: 1
; Occupancy: 16
; WaveLimiterHint : 0
; COMPUTE_PGM_RSRC2:SCRATCH_EN: 0
; COMPUTE_PGM_RSRC2:USER_SGPR: 6
; COMPUTE_PGM_RSRC2:TRAP_HANDLER: 0
; COMPUTE_PGM_RSRC2:TGID_X_EN: 1
; COMPUTE_PGM_RSRC2:TGID_Y_EN: 0
; COMPUTE_PGM_RSRC2:TGID_Z_EN: 0
; COMPUTE_PGM_RSRC2:TIDIG_COMP_CNT: 0
	.section	.text._ZN7rocprim17ROCPRIM_400000_NS6detail17trampoline_kernelINS0_13select_configILj256ELj13ELNS0_17block_load_methodE3ELS4_3ELS4_3ELNS0_20block_scan_algorithmE0ELj4294967295EEENS1_25partition_config_selectorILNS1_17partition_subalgoE4EjNS0_10empty_typeEbEEZZNS1_14partition_implILS8_4ELb0ES6_15HIP_vector_typeIjLj2EENS0_17counting_iteratorIjlEEPS9_SG_NS0_5tupleIJPjSI_NS0_16reverse_iteratorISI_EEEEENSH_IJSG_SG_SG_EEES9_SI_JZNS1_25segmented_radix_sort_implINS0_14default_configELb0EPKbPbPKlPlN2at6native12_GLOBAL__N_18offset_tEEE10hipError_tPvRmT1_PNSt15iterator_traitsIS12_E10value_typeET2_T3_PNS13_IS18_E10value_typeET4_jRbjT5_S1E_jjP12ihipStream_tbEUljE_ZNSN_ISO_Lb0ESQ_SR_ST_SU_SY_EESZ_S10_S11_S12_S16_S17_S18_S1B_S1C_jS1D_jS1E_S1E_jjS1G_bEUljE0_EEESZ_S10_S11_S18_S1C_S1E_T6_T7_T9_mT8_S1G_bDpT10_ENKUlT_T0_E_clISt17integral_constantIbLb0EES1T_IbLb1EEEEDaS1P_S1Q_EUlS1P_E_NS1_11comp_targetILNS1_3genE5ELNS1_11target_archE942ELNS1_3gpuE9ELNS1_3repE0EEENS1_30default_config_static_selectorELNS0_4arch9wavefront6targetE0EEEvS12_,"axG",@progbits,_ZN7rocprim17ROCPRIM_400000_NS6detail17trampoline_kernelINS0_13select_configILj256ELj13ELNS0_17block_load_methodE3ELS4_3ELS4_3ELNS0_20block_scan_algorithmE0ELj4294967295EEENS1_25partition_config_selectorILNS1_17partition_subalgoE4EjNS0_10empty_typeEbEEZZNS1_14partition_implILS8_4ELb0ES6_15HIP_vector_typeIjLj2EENS0_17counting_iteratorIjlEEPS9_SG_NS0_5tupleIJPjSI_NS0_16reverse_iteratorISI_EEEEENSH_IJSG_SG_SG_EEES9_SI_JZNS1_25segmented_radix_sort_implINS0_14default_configELb0EPKbPbPKlPlN2at6native12_GLOBAL__N_18offset_tEEE10hipError_tPvRmT1_PNSt15iterator_traitsIS12_E10value_typeET2_T3_PNS13_IS18_E10value_typeET4_jRbjT5_S1E_jjP12ihipStream_tbEUljE_ZNSN_ISO_Lb0ESQ_SR_ST_SU_SY_EESZ_S10_S11_S12_S16_S17_S18_S1B_S1C_jS1D_jS1E_S1E_jjS1G_bEUljE0_EEESZ_S10_S11_S18_S1C_S1E_T6_T7_T9_mT8_S1G_bDpT10_ENKUlT_T0_E_clISt17integral_constantIbLb0EES1T_IbLb1EEEEDaS1P_S1Q_EUlS1P_E_NS1_11comp_targetILNS1_3genE5ELNS1_11target_archE942ELNS1_3gpuE9ELNS1_3repE0EEENS1_30default_config_static_selectorELNS0_4arch9wavefront6targetE0EEEvS12_,comdat
	.globl	_ZN7rocprim17ROCPRIM_400000_NS6detail17trampoline_kernelINS0_13select_configILj256ELj13ELNS0_17block_load_methodE3ELS4_3ELS4_3ELNS0_20block_scan_algorithmE0ELj4294967295EEENS1_25partition_config_selectorILNS1_17partition_subalgoE4EjNS0_10empty_typeEbEEZZNS1_14partition_implILS8_4ELb0ES6_15HIP_vector_typeIjLj2EENS0_17counting_iteratorIjlEEPS9_SG_NS0_5tupleIJPjSI_NS0_16reverse_iteratorISI_EEEEENSH_IJSG_SG_SG_EEES9_SI_JZNS1_25segmented_radix_sort_implINS0_14default_configELb0EPKbPbPKlPlN2at6native12_GLOBAL__N_18offset_tEEE10hipError_tPvRmT1_PNSt15iterator_traitsIS12_E10value_typeET2_T3_PNS13_IS18_E10value_typeET4_jRbjT5_S1E_jjP12ihipStream_tbEUljE_ZNSN_ISO_Lb0ESQ_SR_ST_SU_SY_EESZ_S10_S11_S12_S16_S17_S18_S1B_S1C_jS1D_jS1E_S1E_jjS1G_bEUljE0_EEESZ_S10_S11_S18_S1C_S1E_T6_T7_T9_mT8_S1G_bDpT10_ENKUlT_T0_E_clISt17integral_constantIbLb0EES1T_IbLb1EEEEDaS1P_S1Q_EUlS1P_E_NS1_11comp_targetILNS1_3genE5ELNS1_11target_archE942ELNS1_3gpuE9ELNS1_3repE0EEENS1_30default_config_static_selectorELNS0_4arch9wavefront6targetE0EEEvS12_ ; -- Begin function _ZN7rocprim17ROCPRIM_400000_NS6detail17trampoline_kernelINS0_13select_configILj256ELj13ELNS0_17block_load_methodE3ELS4_3ELS4_3ELNS0_20block_scan_algorithmE0ELj4294967295EEENS1_25partition_config_selectorILNS1_17partition_subalgoE4EjNS0_10empty_typeEbEEZZNS1_14partition_implILS8_4ELb0ES6_15HIP_vector_typeIjLj2EENS0_17counting_iteratorIjlEEPS9_SG_NS0_5tupleIJPjSI_NS0_16reverse_iteratorISI_EEEEENSH_IJSG_SG_SG_EEES9_SI_JZNS1_25segmented_radix_sort_implINS0_14default_configELb0EPKbPbPKlPlN2at6native12_GLOBAL__N_18offset_tEEE10hipError_tPvRmT1_PNSt15iterator_traitsIS12_E10value_typeET2_T3_PNS13_IS18_E10value_typeET4_jRbjT5_S1E_jjP12ihipStream_tbEUljE_ZNSN_ISO_Lb0ESQ_SR_ST_SU_SY_EESZ_S10_S11_S12_S16_S17_S18_S1B_S1C_jS1D_jS1E_S1E_jjS1G_bEUljE0_EEESZ_S10_S11_S18_S1C_S1E_T6_T7_T9_mT8_S1G_bDpT10_ENKUlT_T0_E_clISt17integral_constantIbLb0EES1T_IbLb1EEEEDaS1P_S1Q_EUlS1P_E_NS1_11comp_targetILNS1_3genE5ELNS1_11target_archE942ELNS1_3gpuE9ELNS1_3repE0EEENS1_30default_config_static_selectorELNS0_4arch9wavefront6targetE0EEEvS12_
	.p2align	8
	.type	_ZN7rocprim17ROCPRIM_400000_NS6detail17trampoline_kernelINS0_13select_configILj256ELj13ELNS0_17block_load_methodE3ELS4_3ELS4_3ELNS0_20block_scan_algorithmE0ELj4294967295EEENS1_25partition_config_selectorILNS1_17partition_subalgoE4EjNS0_10empty_typeEbEEZZNS1_14partition_implILS8_4ELb0ES6_15HIP_vector_typeIjLj2EENS0_17counting_iteratorIjlEEPS9_SG_NS0_5tupleIJPjSI_NS0_16reverse_iteratorISI_EEEEENSH_IJSG_SG_SG_EEES9_SI_JZNS1_25segmented_radix_sort_implINS0_14default_configELb0EPKbPbPKlPlN2at6native12_GLOBAL__N_18offset_tEEE10hipError_tPvRmT1_PNSt15iterator_traitsIS12_E10value_typeET2_T3_PNS13_IS18_E10value_typeET4_jRbjT5_S1E_jjP12ihipStream_tbEUljE_ZNSN_ISO_Lb0ESQ_SR_ST_SU_SY_EESZ_S10_S11_S12_S16_S17_S18_S1B_S1C_jS1D_jS1E_S1E_jjS1G_bEUljE0_EEESZ_S10_S11_S18_S1C_S1E_T6_T7_T9_mT8_S1G_bDpT10_ENKUlT_T0_E_clISt17integral_constantIbLb0EES1T_IbLb1EEEEDaS1P_S1Q_EUlS1P_E_NS1_11comp_targetILNS1_3genE5ELNS1_11target_archE942ELNS1_3gpuE9ELNS1_3repE0EEENS1_30default_config_static_selectorELNS0_4arch9wavefront6targetE0EEEvS12_,@function
_ZN7rocprim17ROCPRIM_400000_NS6detail17trampoline_kernelINS0_13select_configILj256ELj13ELNS0_17block_load_methodE3ELS4_3ELS4_3ELNS0_20block_scan_algorithmE0ELj4294967295EEENS1_25partition_config_selectorILNS1_17partition_subalgoE4EjNS0_10empty_typeEbEEZZNS1_14partition_implILS8_4ELb0ES6_15HIP_vector_typeIjLj2EENS0_17counting_iteratorIjlEEPS9_SG_NS0_5tupleIJPjSI_NS0_16reverse_iteratorISI_EEEEENSH_IJSG_SG_SG_EEES9_SI_JZNS1_25segmented_radix_sort_implINS0_14default_configELb0EPKbPbPKlPlN2at6native12_GLOBAL__N_18offset_tEEE10hipError_tPvRmT1_PNSt15iterator_traitsIS12_E10value_typeET2_T3_PNS13_IS18_E10value_typeET4_jRbjT5_S1E_jjP12ihipStream_tbEUljE_ZNSN_ISO_Lb0ESQ_SR_ST_SU_SY_EESZ_S10_S11_S12_S16_S17_S18_S1B_S1C_jS1D_jS1E_S1E_jjS1G_bEUljE0_EEESZ_S10_S11_S18_S1C_S1E_T6_T7_T9_mT8_S1G_bDpT10_ENKUlT_T0_E_clISt17integral_constantIbLb0EES1T_IbLb1EEEEDaS1P_S1Q_EUlS1P_E_NS1_11comp_targetILNS1_3genE5ELNS1_11target_archE942ELNS1_3gpuE9ELNS1_3repE0EEENS1_30default_config_static_selectorELNS0_4arch9wavefront6targetE0EEEvS12_: ; @_ZN7rocprim17ROCPRIM_400000_NS6detail17trampoline_kernelINS0_13select_configILj256ELj13ELNS0_17block_load_methodE3ELS4_3ELS4_3ELNS0_20block_scan_algorithmE0ELj4294967295EEENS1_25partition_config_selectorILNS1_17partition_subalgoE4EjNS0_10empty_typeEbEEZZNS1_14partition_implILS8_4ELb0ES6_15HIP_vector_typeIjLj2EENS0_17counting_iteratorIjlEEPS9_SG_NS0_5tupleIJPjSI_NS0_16reverse_iteratorISI_EEEEENSH_IJSG_SG_SG_EEES9_SI_JZNS1_25segmented_radix_sort_implINS0_14default_configELb0EPKbPbPKlPlN2at6native12_GLOBAL__N_18offset_tEEE10hipError_tPvRmT1_PNSt15iterator_traitsIS12_E10value_typeET2_T3_PNS13_IS18_E10value_typeET4_jRbjT5_S1E_jjP12ihipStream_tbEUljE_ZNSN_ISO_Lb0ESQ_SR_ST_SU_SY_EESZ_S10_S11_S12_S16_S17_S18_S1B_S1C_jS1D_jS1E_S1E_jjS1G_bEUljE0_EEESZ_S10_S11_S18_S1C_S1E_T6_T7_T9_mT8_S1G_bDpT10_ENKUlT_T0_E_clISt17integral_constantIbLb0EES1T_IbLb1EEEEDaS1P_S1Q_EUlS1P_E_NS1_11comp_targetILNS1_3genE5ELNS1_11target_archE942ELNS1_3gpuE9ELNS1_3repE0EEENS1_30default_config_static_selectorELNS0_4arch9wavefront6targetE0EEEvS12_
; %bb.0:
	.section	.rodata,"a",@progbits
	.p2align	6, 0x0
	.amdhsa_kernel _ZN7rocprim17ROCPRIM_400000_NS6detail17trampoline_kernelINS0_13select_configILj256ELj13ELNS0_17block_load_methodE3ELS4_3ELS4_3ELNS0_20block_scan_algorithmE0ELj4294967295EEENS1_25partition_config_selectorILNS1_17partition_subalgoE4EjNS0_10empty_typeEbEEZZNS1_14partition_implILS8_4ELb0ES6_15HIP_vector_typeIjLj2EENS0_17counting_iteratorIjlEEPS9_SG_NS0_5tupleIJPjSI_NS0_16reverse_iteratorISI_EEEEENSH_IJSG_SG_SG_EEES9_SI_JZNS1_25segmented_radix_sort_implINS0_14default_configELb0EPKbPbPKlPlN2at6native12_GLOBAL__N_18offset_tEEE10hipError_tPvRmT1_PNSt15iterator_traitsIS12_E10value_typeET2_T3_PNS13_IS18_E10value_typeET4_jRbjT5_S1E_jjP12ihipStream_tbEUljE_ZNSN_ISO_Lb0ESQ_SR_ST_SU_SY_EESZ_S10_S11_S12_S16_S17_S18_S1B_S1C_jS1D_jS1E_S1E_jjS1G_bEUljE0_EEESZ_S10_S11_S18_S1C_S1E_T6_T7_T9_mT8_S1G_bDpT10_ENKUlT_T0_E_clISt17integral_constantIbLb0EES1T_IbLb1EEEEDaS1P_S1Q_EUlS1P_E_NS1_11comp_targetILNS1_3genE5ELNS1_11target_archE942ELNS1_3gpuE9ELNS1_3repE0EEENS1_30default_config_static_selectorELNS0_4arch9wavefront6targetE0EEEvS12_
		.amdhsa_group_segment_fixed_size 0
		.amdhsa_private_segment_fixed_size 0
		.amdhsa_kernarg_size 184
		.amdhsa_user_sgpr_count 6
		.amdhsa_user_sgpr_private_segment_buffer 1
		.amdhsa_user_sgpr_dispatch_ptr 0
		.amdhsa_user_sgpr_queue_ptr 0
		.amdhsa_user_sgpr_kernarg_segment_ptr 1
		.amdhsa_user_sgpr_dispatch_id 0
		.amdhsa_user_sgpr_flat_scratch_init 0
		.amdhsa_user_sgpr_private_segment_size 0
		.amdhsa_wavefront_size32 1
		.amdhsa_uses_dynamic_stack 0
		.amdhsa_system_sgpr_private_segment_wavefront_offset 0
		.amdhsa_system_sgpr_workgroup_id_x 1
		.amdhsa_system_sgpr_workgroup_id_y 0
		.amdhsa_system_sgpr_workgroup_id_z 0
		.amdhsa_system_sgpr_workgroup_info 0
		.amdhsa_system_vgpr_workitem_id 0
		.amdhsa_next_free_vgpr 1
		.amdhsa_next_free_sgpr 1
		.amdhsa_reserve_vcc 0
		.amdhsa_reserve_flat_scratch 0
		.amdhsa_float_round_mode_32 0
		.amdhsa_float_round_mode_16_64 0
		.amdhsa_float_denorm_mode_32 3
		.amdhsa_float_denorm_mode_16_64 3
		.amdhsa_dx10_clamp 1
		.amdhsa_ieee_mode 1
		.amdhsa_fp16_overflow 0
		.amdhsa_workgroup_processor_mode 1
		.amdhsa_memory_ordered 1
		.amdhsa_forward_progress 1
		.amdhsa_shared_vgpr_count 0
		.amdhsa_exception_fp_ieee_invalid_op 0
		.amdhsa_exception_fp_denorm_src 0
		.amdhsa_exception_fp_ieee_div_zero 0
		.amdhsa_exception_fp_ieee_overflow 0
		.amdhsa_exception_fp_ieee_underflow 0
		.amdhsa_exception_fp_ieee_inexact 0
		.amdhsa_exception_int_div_zero 0
	.end_amdhsa_kernel
	.section	.text._ZN7rocprim17ROCPRIM_400000_NS6detail17trampoline_kernelINS0_13select_configILj256ELj13ELNS0_17block_load_methodE3ELS4_3ELS4_3ELNS0_20block_scan_algorithmE0ELj4294967295EEENS1_25partition_config_selectorILNS1_17partition_subalgoE4EjNS0_10empty_typeEbEEZZNS1_14partition_implILS8_4ELb0ES6_15HIP_vector_typeIjLj2EENS0_17counting_iteratorIjlEEPS9_SG_NS0_5tupleIJPjSI_NS0_16reverse_iteratorISI_EEEEENSH_IJSG_SG_SG_EEES9_SI_JZNS1_25segmented_radix_sort_implINS0_14default_configELb0EPKbPbPKlPlN2at6native12_GLOBAL__N_18offset_tEEE10hipError_tPvRmT1_PNSt15iterator_traitsIS12_E10value_typeET2_T3_PNS13_IS18_E10value_typeET4_jRbjT5_S1E_jjP12ihipStream_tbEUljE_ZNSN_ISO_Lb0ESQ_SR_ST_SU_SY_EESZ_S10_S11_S12_S16_S17_S18_S1B_S1C_jS1D_jS1E_S1E_jjS1G_bEUljE0_EEESZ_S10_S11_S18_S1C_S1E_T6_T7_T9_mT8_S1G_bDpT10_ENKUlT_T0_E_clISt17integral_constantIbLb0EES1T_IbLb1EEEEDaS1P_S1Q_EUlS1P_E_NS1_11comp_targetILNS1_3genE5ELNS1_11target_archE942ELNS1_3gpuE9ELNS1_3repE0EEENS1_30default_config_static_selectorELNS0_4arch9wavefront6targetE0EEEvS12_,"axG",@progbits,_ZN7rocprim17ROCPRIM_400000_NS6detail17trampoline_kernelINS0_13select_configILj256ELj13ELNS0_17block_load_methodE3ELS4_3ELS4_3ELNS0_20block_scan_algorithmE0ELj4294967295EEENS1_25partition_config_selectorILNS1_17partition_subalgoE4EjNS0_10empty_typeEbEEZZNS1_14partition_implILS8_4ELb0ES6_15HIP_vector_typeIjLj2EENS0_17counting_iteratorIjlEEPS9_SG_NS0_5tupleIJPjSI_NS0_16reverse_iteratorISI_EEEEENSH_IJSG_SG_SG_EEES9_SI_JZNS1_25segmented_radix_sort_implINS0_14default_configELb0EPKbPbPKlPlN2at6native12_GLOBAL__N_18offset_tEEE10hipError_tPvRmT1_PNSt15iterator_traitsIS12_E10value_typeET2_T3_PNS13_IS18_E10value_typeET4_jRbjT5_S1E_jjP12ihipStream_tbEUljE_ZNSN_ISO_Lb0ESQ_SR_ST_SU_SY_EESZ_S10_S11_S12_S16_S17_S18_S1B_S1C_jS1D_jS1E_S1E_jjS1G_bEUljE0_EEESZ_S10_S11_S18_S1C_S1E_T6_T7_T9_mT8_S1G_bDpT10_ENKUlT_T0_E_clISt17integral_constantIbLb0EES1T_IbLb1EEEEDaS1P_S1Q_EUlS1P_E_NS1_11comp_targetILNS1_3genE5ELNS1_11target_archE942ELNS1_3gpuE9ELNS1_3repE0EEENS1_30default_config_static_selectorELNS0_4arch9wavefront6targetE0EEEvS12_,comdat
.Lfunc_end1587:
	.size	_ZN7rocprim17ROCPRIM_400000_NS6detail17trampoline_kernelINS0_13select_configILj256ELj13ELNS0_17block_load_methodE3ELS4_3ELS4_3ELNS0_20block_scan_algorithmE0ELj4294967295EEENS1_25partition_config_selectorILNS1_17partition_subalgoE4EjNS0_10empty_typeEbEEZZNS1_14partition_implILS8_4ELb0ES6_15HIP_vector_typeIjLj2EENS0_17counting_iteratorIjlEEPS9_SG_NS0_5tupleIJPjSI_NS0_16reverse_iteratorISI_EEEEENSH_IJSG_SG_SG_EEES9_SI_JZNS1_25segmented_radix_sort_implINS0_14default_configELb0EPKbPbPKlPlN2at6native12_GLOBAL__N_18offset_tEEE10hipError_tPvRmT1_PNSt15iterator_traitsIS12_E10value_typeET2_T3_PNS13_IS18_E10value_typeET4_jRbjT5_S1E_jjP12ihipStream_tbEUljE_ZNSN_ISO_Lb0ESQ_SR_ST_SU_SY_EESZ_S10_S11_S12_S16_S17_S18_S1B_S1C_jS1D_jS1E_S1E_jjS1G_bEUljE0_EEESZ_S10_S11_S18_S1C_S1E_T6_T7_T9_mT8_S1G_bDpT10_ENKUlT_T0_E_clISt17integral_constantIbLb0EES1T_IbLb1EEEEDaS1P_S1Q_EUlS1P_E_NS1_11comp_targetILNS1_3genE5ELNS1_11target_archE942ELNS1_3gpuE9ELNS1_3repE0EEENS1_30default_config_static_selectorELNS0_4arch9wavefront6targetE0EEEvS12_, .Lfunc_end1587-_ZN7rocprim17ROCPRIM_400000_NS6detail17trampoline_kernelINS0_13select_configILj256ELj13ELNS0_17block_load_methodE3ELS4_3ELS4_3ELNS0_20block_scan_algorithmE0ELj4294967295EEENS1_25partition_config_selectorILNS1_17partition_subalgoE4EjNS0_10empty_typeEbEEZZNS1_14partition_implILS8_4ELb0ES6_15HIP_vector_typeIjLj2EENS0_17counting_iteratorIjlEEPS9_SG_NS0_5tupleIJPjSI_NS0_16reverse_iteratorISI_EEEEENSH_IJSG_SG_SG_EEES9_SI_JZNS1_25segmented_radix_sort_implINS0_14default_configELb0EPKbPbPKlPlN2at6native12_GLOBAL__N_18offset_tEEE10hipError_tPvRmT1_PNSt15iterator_traitsIS12_E10value_typeET2_T3_PNS13_IS18_E10value_typeET4_jRbjT5_S1E_jjP12ihipStream_tbEUljE_ZNSN_ISO_Lb0ESQ_SR_ST_SU_SY_EESZ_S10_S11_S12_S16_S17_S18_S1B_S1C_jS1D_jS1E_S1E_jjS1G_bEUljE0_EEESZ_S10_S11_S18_S1C_S1E_T6_T7_T9_mT8_S1G_bDpT10_ENKUlT_T0_E_clISt17integral_constantIbLb0EES1T_IbLb1EEEEDaS1P_S1Q_EUlS1P_E_NS1_11comp_targetILNS1_3genE5ELNS1_11target_archE942ELNS1_3gpuE9ELNS1_3repE0EEENS1_30default_config_static_selectorELNS0_4arch9wavefront6targetE0EEEvS12_
                                        ; -- End function
	.set _ZN7rocprim17ROCPRIM_400000_NS6detail17trampoline_kernelINS0_13select_configILj256ELj13ELNS0_17block_load_methodE3ELS4_3ELS4_3ELNS0_20block_scan_algorithmE0ELj4294967295EEENS1_25partition_config_selectorILNS1_17partition_subalgoE4EjNS0_10empty_typeEbEEZZNS1_14partition_implILS8_4ELb0ES6_15HIP_vector_typeIjLj2EENS0_17counting_iteratorIjlEEPS9_SG_NS0_5tupleIJPjSI_NS0_16reverse_iteratorISI_EEEEENSH_IJSG_SG_SG_EEES9_SI_JZNS1_25segmented_radix_sort_implINS0_14default_configELb0EPKbPbPKlPlN2at6native12_GLOBAL__N_18offset_tEEE10hipError_tPvRmT1_PNSt15iterator_traitsIS12_E10value_typeET2_T3_PNS13_IS18_E10value_typeET4_jRbjT5_S1E_jjP12ihipStream_tbEUljE_ZNSN_ISO_Lb0ESQ_SR_ST_SU_SY_EESZ_S10_S11_S12_S16_S17_S18_S1B_S1C_jS1D_jS1E_S1E_jjS1G_bEUljE0_EEESZ_S10_S11_S18_S1C_S1E_T6_T7_T9_mT8_S1G_bDpT10_ENKUlT_T0_E_clISt17integral_constantIbLb0EES1T_IbLb1EEEEDaS1P_S1Q_EUlS1P_E_NS1_11comp_targetILNS1_3genE5ELNS1_11target_archE942ELNS1_3gpuE9ELNS1_3repE0EEENS1_30default_config_static_selectorELNS0_4arch9wavefront6targetE0EEEvS12_.num_vgpr, 0
	.set _ZN7rocprim17ROCPRIM_400000_NS6detail17trampoline_kernelINS0_13select_configILj256ELj13ELNS0_17block_load_methodE3ELS4_3ELS4_3ELNS0_20block_scan_algorithmE0ELj4294967295EEENS1_25partition_config_selectorILNS1_17partition_subalgoE4EjNS0_10empty_typeEbEEZZNS1_14partition_implILS8_4ELb0ES6_15HIP_vector_typeIjLj2EENS0_17counting_iteratorIjlEEPS9_SG_NS0_5tupleIJPjSI_NS0_16reverse_iteratorISI_EEEEENSH_IJSG_SG_SG_EEES9_SI_JZNS1_25segmented_radix_sort_implINS0_14default_configELb0EPKbPbPKlPlN2at6native12_GLOBAL__N_18offset_tEEE10hipError_tPvRmT1_PNSt15iterator_traitsIS12_E10value_typeET2_T3_PNS13_IS18_E10value_typeET4_jRbjT5_S1E_jjP12ihipStream_tbEUljE_ZNSN_ISO_Lb0ESQ_SR_ST_SU_SY_EESZ_S10_S11_S12_S16_S17_S18_S1B_S1C_jS1D_jS1E_S1E_jjS1G_bEUljE0_EEESZ_S10_S11_S18_S1C_S1E_T6_T7_T9_mT8_S1G_bDpT10_ENKUlT_T0_E_clISt17integral_constantIbLb0EES1T_IbLb1EEEEDaS1P_S1Q_EUlS1P_E_NS1_11comp_targetILNS1_3genE5ELNS1_11target_archE942ELNS1_3gpuE9ELNS1_3repE0EEENS1_30default_config_static_selectorELNS0_4arch9wavefront6targetE0EEEvS12_.num_agpr, 0
	.set _ZN7rocprim17ROCPRIM_400000_NS6detail17trampoline_kernelINS0_13select_configILj256ELj13ELNS0_17block_load_methodE3ELS4_3ELS4_3ELNS0_20block_scan_algorithmE0ELj4294967295EEENS1_25partition_config_selectorILNS1_17partition_subalgoE4EjNS0_10empty_typeEbEEZZNS1_14partition_implILS8_4ELb0ES6_15HIP_vector_typeIjLj2EENS0_17counting_iteratorIjlEEPS9_SG_NS0_5tupleIJPjSI_NS0_16reverse_iteratorISI_EEEEENSH_IJSG_SG_SG_EEES9_SI_JZNS1_25segmented_radix_sort_implINS0_14default_configELb0EPKbPbPKlPlN2at6native12_GLOBAL__N_18offset_tEEE10hipError_tPvRmT1_PNSt15iterator_traitsIS12_E10value_typeET2_T3_PNS13_IS18_E10value_typeET4_jRbjT5_S1E_jjP12ihipStream_tbEUljE_ZNSN_ISO_Lb0ESQ_SR_ST_SU_SY_EESZ_S10_S11_S12_S16_S17_S18_S1B_S1C_jS1D_jS1E_S1E_jjS1G_bEUljE0_EEESZ_S10_S11_S18_S1C_S1E_T6_T7_T9_mT8_S1G_bDpT10_ENKUlT_T0_E_clISt17integral_constantIbLb0EES1T_IbLb1EEEEDaS1P_S1Q_EUlS1P_E_NS1_11comp_targetILNS1_3genE5ELNS1_11target_archE942ELNS1_3gpuE9ELNS1_3repE0EEENS1_30default_config_static_selectorELNS0_4arch9wavefront6targetE0EEEvS12_.numbered_sgpr, 0
	.set _ZN7rocprim17ROCPRIM_400000_NS6detail17trampoline_kernelINS0_13select_configILj256ELj13ELNS0_17block_load_methodE3ELS4_3ELS4_3ELNS0_20block_scan_algorithmE0ELj4294967295EEENS1_25partition_config_selectorILNS1_17partition_subalgoE4EjNS0_10empty_typeEbEEZZNS1_14partition_implILS8_4ELb0ES6_15HIP_vector_typeIjLj2EENS0_17counting_iteratorIjlEEPS9_SG_NS0_5tupleIJPjSI_NS0_16reverse_iteratorISI_EEEEENSH_IJSG_SG_SG_EEES9_SI_JZNS1_25segmented_radix_sort_implINS0_14default_configELb0EPKbPbPKlPlN2at6native12_GLOBAL__N_18offset_tEEE10hipError_tPvRmT1_PNSt15iterator_traitsIS12_E10value_typeET2_T3_PNS13_IS18_E10value_typeET4_jRbjT5_S1E_jjP12ihipStream_tbEUljE_ZNSN_ISO_Lb0ESQ_SR_ST_SU_SY_EESZ_S10_S11_S12_S16_S17_S18_S1B_S1C_jS1D_jS1E_S1E_jjS1G_bEUljE0_EEESZ_S10_S11_S18_S1C_S1E_T6_T7_T9_mT8_S1G_bDpT10_ENKUlT_T0_E_clISt17integral_constantIbLb0EES1T_IbLb1EEEEDaS1P_S1Q_EUlS1P_E_NS1_11comp_targetILNS1_3genE5ELNS1_11target_archE942ELNS1_3gpuE9ELNS1_3repE0EEENS1_30default_config_static_selectorELNS0_4arch9wavefront6targetE0EEEvS12_.num_named_barrier, 0
	.set _ZN7rocprim17ROCPRIM_400000_NS6detail17trampoline_kernelINS0_13select_configILj256ELj13ELNS0_17block_load_methodE3ELS4_3ELS4_3ELNS0_20block_scan_algorithmE0ELj4294967295EEENS1_25partition_config_selectorILNS1_17partition_subalgoE4EjNS0_10empty_typeEbEEZZNS1_14partition_implILS8_4ELb0ES6_15HIP_vector_typeIjLj2EENS0_17counting_iteratorIjlEEPS9_SG_NS0_5tupleIJPjSI_NS0_16reverse_iteratorISI_EEEEENSH_IJSG_SG_SG_EEES9_SI_JZNS1_25segmented_radix_sort_implINS0_14default_configELb0EPKbPbPKlPlN2at6native12_GLOBAL__N_18offset_tEEE10hipError_tPvRmT1_PNSt15iterator_traitsIS12_E10value_typeET2_T3_PNS13_IS18_E10value_typeET4_jRbjT5_S1E_jjP12ihipStream_tbEUljE_ZNSN_ISO_Lb0ESQ_SR_ST_SU_SY_EESZ_S10_S11_S12_S16_S17_S18_S1B_S1C_jS1D_jS1E_S1E_jjS1G_bEUljE0_EEESZ_S10_S11_S18_S1C_S1E_T6_T7_T9_mT8_S1G_bDpT10_ENKUlT_T0_E_clISt17integral_constantIbLb0EES1T_IbLb1EEEEDaS1P_S1Q_EUlS1P_E_NS1_11comp_targetILNS1_3genE5ELNS1_11target_archE942ELNS1_3gpuE9ELNS1_3repE0EEENS1_30default_config_static_selectorELNS0_4arch9wavefront6targetE0EEEvS12_.private_seg_size, 0
	.set _ZN7rocprim17ROCPRIM_400000_NS6detail17trampoline_kernelINS0_13select_configILj256ELj13ELNS0_17block_load_methodE3ELS4_3ELS4_3ELNS0_20block_scan_algorithmE0ELj4294967295EEENS1_25partition_config_selectorILNS1_17partition_subalgoE4EjNS0_10empty_typeEbEEZZNS1_14partition_implILS8_4ELb0ES6_15HIP_vector_typeIjLj2EENS0_17counting_iteratorIjlEEPS9_SG_NS0_5tupleIJPjSI_NS0_16reverse_iteratorISI_EEEEENSH_IJSG_SG_SG_EEES9_SI_JZNS1_25segmented_radix_sort_implINS0_14default_configELb0EPKbPbPKlPlN2at6native12_GLOBAL__N_18offset_tEEE10hipError_tPvRmT1_PNSt15iterator_traitsIS12_E10value_typeET2_T3_PNS13_IS18_E10value_typeET4_jRbjT5_S1E_jjP12ihipStream_tbEUljE_ZNSN_ISO_Lb0ESQ_SR_ST_SU_SY_EESZ_S10_S11_S12_S16_S17_S18_S1B_S1C_jS1D_jS1E_S1E_jjS1G_bEUljE0_EEESZ_S10_S11_S18_S1C_S1E_T6_T7_T9_mT8_S1G_bDpT10_ENKUlT_T0_E_clISt17integral_constantIbLb0EES1T_IbLb1EEEEDaS1P_S1Q_EUlS1P_E_NS1_11comp_targetILNS1_3genE5ELNS1_11target_archE942ELNS1_3gpuE9ELNS1_3repE0EEENS1_30default_config_static_selectorELNS0_4arch9wavefront6targetE0EEEvS12_.uses_vcc, 0
	.set _ZN7rocprim17ROCPRIM_400000_NS6detail17trampoline_kernelINS0_13select_configILj256ELj13ELNS0_17block_load_methodE3ELS4_3ELS4_3ELNS0_20block_scan_algorithmE0ELj4294967295EEENS1_25partition_config_selectorILNS1_17partition_subalgoE4EjNS0_10empty_typeEbEEZZNS1_14partition_implILS8_4ELb0ES6_15HIP_vector_typeIjLj2EENS0_17counting_iteratorIjlEEPS9_SG_NS0_5tupleIJPjSI_NS0_16reverse_iteratorISI_EEEEENSH_IJSG_SG_SG_EEES9_SI_JZNS1_25segmented_radix_sort_implINS0_14default_configELb0EPKbPbPKlPlN2at6native12_GLOBAL__N_18offset_tEEE10hipError_tPvRmT1_PNSt15iterator_traitsIS12_E10value_typeET2_T3_PNS13_IS18_E10value_typeET4_jRbjT5_S1E_jjP12ihipStream_tbEUljE_ZNSN_ISO_Lb0ESQ_SR_ST_SU_SY_EESZ_S10_S11_S12_S16_S17_S18_S1B_S1C_jS1D_jS1E_S1E_jjS1G_bEUljE0_EEESZ_S10_S11_S18_S1C_S1E_T6_T7_T9_mT8_S1G_bDpT10_ENKUlT_T0_E_clISt17integral_constantIbLb0EES1T_IbLb1EEEEDaS1P_S1Q_EUlS1P_E_NS1_11comp_targetILNS1_3genE5ELNS1_11target_archE942ELNS1_3gpuE9ELNS1_3repE0EEENS1_30default_config_static_selectorELNS0_4arch9wavefront6targetE0EEEvS12_.uses_flat_scratch, 0
	.set _ZN7rocprim17ROCPRIM_400000_NS6detail17trampoline_kernelINS0_13select_configILj256ELj13ELNS0_17block_load_methodE3ELS4_3ELS4_3ELNS0_20block_scan_algorithmE0ELj4294967295EEENS1_25partition_config_selectorILNS1_17partition_subalgoE4EjNS0_10empty_typeEbEEZZNS1_14partition_implILS8_4ELb0ES6_15HIP_vector_typeIjLj2EENS0_17counting_iteratorIjlEEPS9_SG_NS0_5tupleIJPjSI_NS0_16reverse_iteratorISI_EEEEENSH_IJSG_SG_SG_EEES9_SI_JZNS1_25segmented_radix_sort_implINS0_14default_configELb0EPKbPbPKlPlN2at6native12_GLOBAL__N_18offset_tEEE10hipError_tPvRmT1_PNSt15iterator_traitsIS12_E10value_typeET2_T3_PNS13_IS18_E10value_typeET4_jRbjT5_S1E_jjP12ihipStream_tbEUljE_ZNSN_ISO_Lb0ESQ_SR_ST_SU_SY_EESZ_S10_S11_S12_S16_S17_S18_S1B_S1C_jS1D_jS1E_S1E_jjS1G_bEUljE0_EEESZ_S10_S11_S18_S1C_S1E_T6_T7_T9_mT8_S1G_bDpT10_ENKUlT_T0_E_clISt17integral_constantIbLb0EES1T_IbLb1EEEEDaS1P_S1Q_EUlS1P_E_NS1_11comp_targetILNS1_3genE5ELNS1_11target_archE942ELNS1_3gpuE9ELNS1_3repE0EEENS1_30default_config_static_selectorELNS0_4arch9wavefront6targetE0EEEvS12_.has_dyn_sized_stack, 0
	.set _ZN7rocprim17ROCPRIM_400000_NS6detail17trampoline_kernelINS0_13select_configILj256ELj13ELNS0_17block_load_methodE3ELS4_3ELS4_3ELNS0_20block_scan_algorithmE0ELj4294967295EEENS1_25partition_config_selectorILNS1_17partition_subalgoE4EjNS0_10empty_typeEbEEZZNS1_14partition_implILS8_4ELb0ES6_15HIP_vector_typeIjLj2EENS0_17counting_iteratorIjlEEPS9_SG_NS0_5tupleIJPjSI_NS0_16reverse_iteratorISI_EEEEENSH_IJSG_SG_SG_EEES9_SI_JZNS1_25segmented_radix_sort_implINS0_14default_configELb0EPKbPbPKlPlN2at6native12_GLOBAL__N_18offset_tEEE10hipError_tPvRmT1_PNSt15iterator_traitsIS12_E10value_typeET2_T3_PNS13_IS18_E10value_typeET4_jRbjT5_S1E_jjP12ihipStream_tbEUljE_ZNSN_ISO_Lb0ESQ_SR_ST_SU_SY_EESZ_S10_S11_S12_S16_S17_S18_S1B_S1C_jS1D_jS1E_S1E_jjS1G_bEUljE0_EEESZ_S10_S11_S18_S1C_S1E_T6_T7_T9_mT8_S1G_bDpT10_ENKUlT_T0_E_clISt17integral_constantIbLb0EES1T_IbLb1EEEEDaS1P_S1Q_EUlS1P_E_NS1_11comp_targetILNS1_3genE5ELNS1_11target_archE942ELNS1_3gpuE9ELNS1_3repE0EEENS1_30default_config_static_selectorELNS0_4arch9wavefront6targetE0EEEvS12_.has_recursion, 0
	.set _ZN7rocprim17ROCPRIM_400000_NS6detail17trampoline_kernelINS0_13select_configILj256ELj13ELNS0_17block_load_methodE3ELS4_3ELS4_3ELNS0_20block_scan_algorithmE0ELj4294967295EEENS1_25partition_config_selectorILNS1_17partition_subalgoE4EjNS0_10empty_typeEbEEZZNS1_14partition_implILS8_4ELb0ES6_15HIP_vector_typeIjLj2EENS0_17counting_iteratorIjlEEPS9_SG_NS0_5tupleIJPjSI_NS0_16reverse_iteratorISI_EEEEENSH_IJSG_SG_SG_EEES9_SI_JZNS1_25segmented_radix_sort_implINS0_14default_configELb0EPKbPbPKlPlN2at6native12_GLOBAL__N_18offset_tEEE10hipError_tPvRmT1_PNSt15iterator_traitsIS12_E10value_typeET2_T3_PNS13_IS18_E10value_typeET4_jRbjT5_S1E_jjP12ihipStream_tbEUljE_ZNSN_ISO_Lb0ESQ_SR_ST_SU_SY_EESZ_S10_S11_S12_S16_S17_S18_S1B_S1C_jS1D_jS1E_S1E_jjS1G_bEUljE0_EEESZ_S10_S11_S18_S1C_S1E_T6_T7_T9_mT8_S1G_bDpT10_ENKUlT_T0_E_clISt17integral_constantIbLb0EES1T_IbLb1EEEEDaS1P_S1Q_EUlS1P_E_NS1_11comp_targetILNS1_3genE5ELNS1_11target_archE942ELNS1_3gpuE9ELNS1_3repE0EEENS1_30default_config_static_selectorELNS0_4arch9wavefront6targetE0EEEvS12_.has_indirect_call, 0
	.section	.AMDGPU.csdata,"",@progbits
; Kernel info:
; codeLenInByte = 0
; TotalNumSgprs: 0
; NumVgprs: 0
; ScratchSize: 0
; MemoryBound: 0
; FloatMode: 240
; IeeeMode: 1
; LDSByteSize: 0 bytes/workgroup (compile time only)
; SGPRBlocks: 0
; VGPRBlocks: 0
; NumSGPRsForWavesPerEU: 1
; NumVGPRsForWavesPerEU: 1
; Occupancy: 16
; WaveLimiterHint : 0
; COMPUTE_PGM_RSRC2:SCRATCH_EN: 0
; COMPUTE_PGM_RSRC2:USER_SGPR: 6
; COMPUTE_PGM_RSRC2:TRAP_HANDLER: 0
; COMPUTE_PGM_RSRC2:TGID_X_EN: 1
; COMPUTE_PGM_RSRC2:TGID_Y_EN: 0
; COMPUTE_PGM_RSRC2:TGID_Z_EN: 0
; COMPUTE_PGM_RSRC2:TIDIG_COMP_CNT: 0
	.section	.text._ZN7rocprim17ROCPRIM_400000_NS6detail17trampoline_kernelINS0_13select_configILj256ELj13ELNS0_17block_load_methodE3ELS4_3ELS4_3ELNS0_20block_scan_algorithmE0ELj4294967295EEENS1_25partition_config_selectorILNS1_17partition_subalgoE4EjNS0_10empty_typeEbEEZZNS1_14partition_implILS8_4ELb0ES6_15HIP_vector_typeIjLj2EENS0_17counting_iteratorIjlEEPS9_SG_NS0_5tupleIJPjSI_NS0_16reverse_iteratorISI_EEEEENSH_IJSG_SG_SG_EEES9_SI_JZNS1_25segmented_radix_sort_implINS0_14default_configELb0EPKbPbPKlPlN2at6native12_GLOBAL__N_18offset_tEEE10hipError_tPvRmT1_PNSt15iterator_traitsIS12_E10value_typeET2_T3_PNS13_IS18_E10value_typeET4_jRbjT5_S1E_jjP12ihipStream_tbEUljE_ZNSN_ISO_Lb0ESQ_SR_ST_SU_SY_EESZ_S10_S11_S12_S16_S17_S18_S1B_S1C_jS1D_jS1E_S1E_jjS1G_bEUljE0_EEESZ_S10_S11_S18_S1C_S1E_T6_T7_T9_mT8_S1G_bDpT10_ENKUlT_T0_E_clISt17integral_constantIbLb0EES1T_IbLb1EEEEDaS1P_S1Q_EUlS1P_E_NS1_11comp_targetILNS1_3genE4ELNS1_11target_archE910ELNS1_3gpuE8ELNS1_3repE0EEENS1_30default_config_static_selectorELNS0_4arch9wavefront6targetE0EEEvS12_,"axG",@progbits,_ZN7rocprim17ROCPRIM_400000_NS6detail17trampoline_kernelINS0_13select_configILj256ELj13ELNS0_17block_load_methodE3ELS4_3ELS4_3ELNS0_20block_scan_algorithmE0ELj4294967295EEENS1_25partition_config_selectorILNS1_17partition_subalgoE4EjNS0_10empty_typeEbEEZZNS1_14partition_implILS8_4ELb0ES6_15HIP_vector_typeIjLj2EENS0_17counting_iteratorIjlEEPS9_SG_NS0_5tupleIJPjSI_NS0_16reverse_iteratorISI_EEEEENSH_IJSG_SG_SG_EEES9_SI_JZNS1_25segmented_radix_sort_implINS0_14default_configELb0EPKbPbPKlPlN2at6native12_GLOBAL__N_18offset_tEEE10hipError_tPvRmT1_PNSt15iterator_traitsIS12_E10value_typeET2_T3_PNS13_IS18_E10value_typeET4_jRbjT5_S1E_jjP12ihipStream_tbEUljE_ZNSN_ISO_Lb0ESQ_SR_ST_SU_SY_EESZ_S10_S11_S12_S16_S17_S18_S1B_S1C_jS1D_jS1E_S1E_jjS1G_bEUljE0_EEESZ_S10_S11_S18_S1C_S1E_T6_T7_T9_mT8_S1G_bDpT10_ENKUlT_T0_E_clISt17integral_constantIbLb0EES1T_IbLb1EEEEDaS1P_S1Q_EUlS1P_E_NS1_11comp_targetILNS1_3genE4ELNS1_11target_archE910ELNS1_3gpuE8ELNS1_3repE0EEENS1_30default_config_static_selectorELNS0_4arch9wavefront6targetE0EEEvS12_,comdat
	.globl	_ZN7rocprim17ROCPRIM_400000_NS6detail17trampoline_kernelINS0_13select_configILj256ELj13ELNS0_17block_load_methodE3ELS4_3ELS4_3ELNS0_20block_scan_algorithmE0ELj4294967295EEENS1_25partition_config_selectorILNS1_17partition_subalgoE4EjNS0_10empty_typeEbEEZZNS1_14partition_implILS8_4ELb0ES6_15HIP_vector_typeIjLj2EENS0_17counting_iteratorIjlEEPS9_SG_NS0_5tupleIJPjSI_NS0_16reverse_iteratorISI_EEEEENSH_IJSG_SG_SG_EEES9_SI_JZNS1_25segmented_radix_sort_implINS0_14default_configELb0EPKbPbPKlPlN2at6native12_GLOBAL__N_18offset_tEEE10hipError_tPvRmT1_PNSt15iterator_traitsIS12_E10value_typeET2_T3_PNS13_IS18_E10value_typeET4_jRbjT5_S1E_jjP12ihipStream_tbEUljE_ZNSN_ISO_Lb0ESQ_SR_ST_SU_SY_EESZ_S10_S11_S12_S16_S17_S18_S1B_S1C_jS1D_jS1E_S1E_jjS1G_bEUljE0_EEESZ_S10_S11_S18_S1C_S1E_T6_T7_T9_mT8_S1G_bDpT10_ENKUlT_T0_E_clISt17integral_constantIbLb0EES1T_IbLb1EEEEDaS1P_S1Q_EUlS1P_E_NS1_11comp_targetILNS1_3genE4ELNS1_11target_archE910ELNS1_3gpuE8ELNS1_3repE0EEENS1_30default_config_static_selectorELNS0_4arch9wavefront6targetE0EEEvS12_ ; -- Begin function _ZN7rocprim17ROCPRIM_400000_NS6detail17trampoline_kernelINS0_13select_configILj256ELj13ELNS0_17block_load_methodE3ELS4_3ELS4_3ELNS0_20block_scan_algorithmE0ELj4294967295EEENS1_25partition_config_selectorILNS1_17partition_subalgoE4EjNS0_10empty_typeEbEEZZNS1_14partition_implILS8_4ELb0ES6_15HIP_vector_typeIjLj2EENS0_17counting_iteratorIjlEEPS9_SG_NS0_5tupleIJPjSI_NS0_16reverse_iteratorISI_EEEEENSH_IJSG_SG_SG_EEES9_SI_JZNS1_25segmented_radix_sort_implINS0_14default_configELb0EPKbPbPKlPlN2at6native12_GLOBAL__N_18offset_tEEE10hipError_tPvRmT1_PNSt15iterator_traitsIS12_E10value_typeET2_T3_PNS13_IS18_E10value_typeET4_jRbjT5_S1E_jjP12ihipStream_tbEUljE_ZNSN_ISO_Lb0ESQ_SR_ST_SU_SY_EESZ_S10_S11_S12_S16_S17_S18_S1B_S1C_jS1D_jS1E_S1E_jjS1G_bEUljE0_EEESZ_S10_S11_S18_S1C_S1E_T6_T7_T9_mT8_S1G_bDpT10_ENKUlT_T0_E_clISt17integral_constantIbLb0EES1T_IbLb1EEEEDaS1P_S1Q_EUlS1P_E_NS1_11comp_targetILNS1_3genE4ELNS1_11target_archE910ELNS1_3gpuE8ELNS1_3repE0EEENS1_30default_config_static_selectorELNS0_4arch9wavefront6targetE0EEEvS12_
	.p2align	8
	.type	_ZN7rocprim17ROCPRIM_400000_NS6detail17trampoline_kernelINS0_13select_configILj256ELj13ELNS0_17block_load_methodE3ELS4_3ELS4_3ELNS0_20block_scan_algorithmE0ELj4294967295EEENS1_25partition_config_selectorILNS1_17partition_subalgoE4EjNS0_10empty_typeEbEEZZNS1_14partition_implILS8_4ELb0ES6_15HIP_vector_typeIjLj2EENS0_17counting_iteratorIjlEEPS9_SG_NS0_5tupleIJPjSI_NS0_16reverse_iteratorISI_EEEEENSH_IJSG_SG_SG_EEES9_SI_JZNS1_25segmented_radix_sort_implINS0_14default_configELb0EPKbPbPKlPlN2at6native12_GLOBAL__N_18offset_tEEE10hipError_tPvRmT1_PNSt15iterator_traitsIS12_E10value_typeET2_T3_PNS13_IS18_E10value_typeET4_jRbjT5_S1E_jjP12ihipStream_tbEUljE_ZNSN_ISO_Lb0ESQ_SR_ST_SU_SY_EESZ_S10_S11_S12_S16_S17_S18_S1B_S1C_jS1D_jS1E_S1E_jjS1G_bEUljE0_EEESZ_S10_S11_S18_S1C_S1E_T6_T7_T9_mT8_S1G_bDpT10_ENKUlT_T0_E_clISt17integral_constantIbLb0EES1T_IbLb1EEEEDaS1P_S1Q_EUlS1P_E_NS1_11comp_targetILNS1_3genE4ELNS1_11target_archE910ELNS1_3gpuE8ELNS1_3repE0EEENS1_30default_config_static_selectorELNS0_4arch9wavefront6targetE0EEEvS12_,@function
_ZN7rocprim17ROCPRIM_400000_NS6detail17trampoline_kernelINS0_13select_configILj256ELj13ELNS0_17block_load_methodE3ELS4_3ELS4_3ELNS0_20block_scan_algorithmE0ELj4294967295EEENS1_25partition_config_selectorILNS1_17partition_subalgoE4EjNS0_10empty_typeEbEEZZNS1_14partition_implILS8_4ELb0ES6_15HIP_vector_typeIjLj2EENS0_17counting_iteratorIjlEEPS9_SG_NS0_5tupleIJPjSI_NS0_16reverse_iteratorISI_EEEEENSH_IJSG_SG_SG_EEES9_SI_JZNS1_25segmented_radix_sort_implINS0_14default_configELb0EPKbPbPKlPlN2at6native12_GLOBAL__N_18offset_tEEE10hipError_tPvRmT1_PNSt15iterator_traitsIS12_E10value_typeET2_T3_PNS13_IS18_E10value_typeET4_jRbjT5_S1E_jjP12ihipStream_tbEUljE_ZNSN_ISO_Lb0ESQ_SR_ST_SU_SY_EESZ_S10_S11_S12_S16_S17_S18_S1B_S1C_jS1D_jS1E_S1E_jjS1G_bEUljE0_EEESZ_S10_S11_S18_S1C_S1E_T6_T7_T9_mT8_S1G_bDpT10_ENKUlT_T0_E_clISt17integral_constantIbLb0EES1T_IbLb1EEEEDaS1P_S1Q_EUlS1P_E_NS1_11comp_targetILNS1_3genE4ELNS1_11target_archE910ELNS1_3gpuE8ELNS1_3repE0EEENS1_30default_config_static_selectorELNS0_4arch9wavefront6targetE0EEEvS12_: ; @_ZN7rocprim17ROCPRIM_400000_NS6detail17trampoline_kernelINS0_13select_configILj256ELj13ELNS0_17block_load_methodE3ELS4_3ELS4_3ELNS0_20block_scan_algorithmE0ELj4294967295EEENS1_25partition_config_selectorILNS1_17partition_subalgoE4EjNS0_10empty_typeEbEEZZNS1_14partition_implILS8_4ELb0ES6_15HIP_vector_typeIjLj2EENS0_17counting_iteratorIjlEEPS9_SG_NS0_5tupleIJPjSI_NS0_16reverse_iteratorISI_EEEEENSH_IJSG_SG_SG_EEES9_SI_JZNS1_25segmented_radix_sort_implINS0_14default_configELb0EPKbPbPKlPlN2at6native12_GLOBAL__N_18offset_tEEE10hipError_tPvRmT1_PNSt15iterator_traitsIS12_E10value_typeET2_T3_PNS13_IS18_E10value_typeET4_jRbjT5_S1E_jjP12ihipStream_tbEUljE_ZNSN_ISO_Lb0ESQ_SR_ST_SU_SY_EESZ_S10_S11_S12_S16_S17_S18_S1B_S1C_jS1D_jS1E_S1E_jjS1G_bEUljE0_EEESZ_S10_S11_S18_S1C_S1E_T6_T7_T9_mT8_S1G_bDpT10_ENKUlT_T0_E_clISt17integral_constantIbLb0EES1T_IbLb1EEEEDaS1P_S1Q_EUlS1P_E_NS1_11comp_targetILNS1_3genE4ELNS1_11target_archE910ELNS1_3gpuE8ELNS1_3repE0EEENS1_30default_config_static_selectorELNS0_4arch9wavefront6targetE0EEEvS12_
; %bb.0:
	.section	.rodata,"a",@progbits
	.p2align	6, 0x0
	.amdhsa_kernel _ZN7rocprim17ROCPRIM_400000_NS6detail17trampoline_kernelINS0_13select_configILj256ELj13ELNS0_17block_load_methodE3ELS4_3ELS4_3ELNS0_20block_scan_algorithmE0ELj4294967295EEENS1_25partition_config_selectorILNS1_17partition_subalgoE4EjNS0_10empty_typeEbEEZZNS1_14partition_implILS8_4ELb0ES6_15HIP_vector_typeIjLj2EENS0_17counting_iteratorIjlEEPS9_SG_NS0_5tupleIJPjSI_NS0_16reverse_iteratorISI_EEEEENSH_IJSG_SG_SG_EEES9_SI_JZNS1_25segmented_radix_sort_implINS0_14default_configELb0EPKbPbPKlPlN2at6native12_GLOBAL__N_18offset_tEEE10hipError_tPvRmT1_PNSt15iterator_traitsIS12_E10value_typeET2_T3_PNS13_IS18_E10value_typeET4_jRbjT5_S1E_jjP12ihipStream_tbEUljE_ZNSN_ISO_Lb0ESQ_SR_ST_SU_SY_EESZ_S10_S11_S12_S16_S17_S18_S1B_S1C_jS1D_jS1E_S1E_jjS1G_bEUljE0_EEESZ_S10_S11_S18_S1C_S1E_T6_T7_T9_mT8_S1G_bDpT10_ENKUlT_T0_E_clISt17integral_constantIbLb0EES1T_IbLb1EEEEDaS1P_S1Q_EUlS1P_E_NS1_11comp_targetILNS1_3genE4ELNS1_11target_archE910ELNS1_3gpuE8ELNS1_3repE0EEENS1_30default_config_static_selectorELNS0_4arch9wavefront6targetE0EEEvS12_
		.amdhsa_group_segment_fixed_size 0
		.amdhsa_private_segment_fixed_size 0
		.amdhsa_kernarg_size 184
		.amdhsa_user_sgpr_count 6
		.amdhsa_user_sgpr_private_segment_buffer 1
		.amdhsa_user_sgpr_dispatch_ptr 0
		.amdhsa_user_sgpr_queue_ptr 0
		.amdhsa_user_sgpr_kernarg_segment_ptr 1
		.amdhsa_user_sgpr_dispatch_id 0
		.amdhsa_user_sgpr_flat_scratch_init 0
		.amdhsa_user_sgpr_private_segment_size 0
		.amdhsa_wavefront_size32 1
		.amdhsa_uses_dynamic_stack 0
		.amdhsa_system_sgpr_private_segment_wavefront_offset 0
		.amdhsa_system_sgpr_workgroup_id_x 1
		.amdhsa_system_sgpr_workgroup_id_y 0
		.amdhsa_system_sgpr_workgroup_id_z 0
		.amdhsa_system_sgpr_workgroup_info 0
		.amdhsa_system_vgpr_workitem_id 0
		.amdhsa_next_free_vgpr 1
		.amdhsa_next_free_sgpr 1
		.amdhsa_reserve_vcc 0
		.amdhsa_reserve_flat_scratch 0
		.amdhsa_float_round_mode_32 0
		.amdhsa_float_round_mode_16_64 0
		.amdhsa_float_denorm_mode_32 3
		.amdhsa_float_denorm_mode_16_64 3
		.amdhsa_dx10_clamp 1
		.amdhsa_ieee_mode 1
		.amdhsa_fp16_overflow 0
		.amdhsa_workgroup_processor_mode 1
		.amdhsa_memory_ordered 1
		.amdhsa_forward_progress 1
		.amdhsa_shared_vgpr_count 0
		.amdhsa_exception_fp_ieee_invalid_op 0
		.amdhsa_exception_fp_denorm_src 0
		.amdhsa_exception_fp_ieee_div_zero 0
		.amdhsa_exception_fp_ieee_overflow 0
		.amdhsa_exception_fp_ieee_underflow 0
		.amdhsa_exception_fp_ieee_inexact 0
		.amdhsa_exception_int_div_zero 0
	.end_amdhsa_kernel
	.section	.text._ZN7rocprim17ROCPRIM_400000_NS6detail17trampoline_kernelINS0_13select_configILj256ELj13ELNS0_17block_load_methodE3ELS4_3ELS4_3ELNS0_20block_scan_algorithmE0ELj4294967295EEENS1_25partition_config_selectorILNS1_17partition_subalgoE4EjNS0_10empty_typeEbEEZZNS1_14partition_implILS8_4ELb0ES6_15HIP_vector_typeIjLj2EENS0_17counting_iteratorIjlEEPS9_SG_NS0_5tupleIJPjSI_NS0_16reverse_iteratorISI_EEEEENSH_IJSG_SG_SG_EEES9_SI_JZNS1_25segmented_radix_sort_implINS0_14default_configELb0EPKbPbPKlPlN2at6native12_GLOBAL__N_18offset_tEEE10hipError_tPvRmT1_PNSt15iterator_traitsIS12_E10value_typeET2_T3_PNS13_IS18_E10value_typeET4_jRbjT5_S1E_jjP12ihipStream_tbEUljE_ZNSN_ISO_Lb0ESQ_SR_ST_SU_SY_EESZ_S10_S11_S12_S16_S17_S18_S1B_S1C_jS1D_jS1E_S1E_jjS1G_bEUljE0_EEESZ_S10_S11_S18_S1C_S1E_T6_T7_T9_mT8_S1G_bDpT10_ENKUlT_T0_E_clISt17integral_constantIbLb0EES1T_IbLb1EEEEDaS1P_S1Q_EUlS1P_E_NS1_11comp_targetILNS1_3genE4ELNS1_11target_archE910ELNS1_3gpuE8ELNS1_3repE0EEENS1_30default_config_static_selectorELNS0_4arch9wavefront6targetE0EEEvS12_,"axG",@progbits,_ZN7rocprim17ROCPRIM_400000_NS6detail17trampoline_kernelINS0_13select_configILj256ELj13ELNS0_17block_load_methodE3ELS4_3ELS4_3ELNS0_20block_scan_algorithmE0ELj4294967295EEENS1_25partition_config_selectorILNS1_17partition_subalgoE4EjNS0_10empty_typeEbEEZZNS1_14partition_implILS8_4ELb0ES6_15HIP_vector_typeIjLj2EENS0_17counting_iteratorIjlEEPS9_SG_NS0_5tupleIJPjSI_NS0_16reverse_iteratorISI_EEEEENSH_IJSG_SG_SG_EEES9_SI_JZNS1_25segmented_radix_sort_implINS0_14default_configELb0EPKbPbPKlPlN2at6native12_GLOBAL__N_18offset_tEEE10hipError_tPvRmT1_PNSt15iterator_traitsIS12_E10value_typeET2_T3_PNS13_IS18_E10value_typeET4_jRbjT5_S1E_jjP12ihipStream_tbEUljE_ZNSN_ISO_Lb0ESQ_SR_ST_SU_SY_EESZ_S10_S11_S12_S16_S17_S18_S1B_S1C_jS1D_jS1E_S1E_jjS1G_bEUljE0_EEESZ_S10_S11_S18_S1C_S1E_T6_T7_T9_mT8_S1G_bDpT10_ENKUlT_T0_E_clISt17integral_constantIbLb0EES1T_IbLb1EEEEDaS1P_S1Q_EUlS1P_E_NS1_11comp_targetILNS1_3genE4ELNS1_11target_archE910ELNS1_3gpuE8ELNS1_3repE0EEENS1_30default_config_static_selectorELNS0_4arch9wavefront6targetE0EEEvS12_,comdat
.Lfunc_end1588:
	.size	_ZN7rocprim17ROCPRIM_400000_NS6detail17trampoline_kernelINS0_13select_configILj256ELj13ELNS0_17block_load_methodE3ELS4_3ELS4_3ELNS0_20block_scan_algorithmE0ELj4294967295EEENS1_25partition_config_selectorILNS1_17partition_subalgoE4EjNS0_10empty_typeEbEEZZNS1_14partition_implILS8_4ELb0ES6_15HIP_vector_typeIjLj2EENS0_17counting_iteratorIjlEEPS9_SG_NS0_5tupleIJPjSI_NS0_16reverse_iteratorISI_EEEEENSH_IJSG_SG_SG_EEES9_SI_JZNS1_25segmented_radix_sort_implINS0_14default_configELb0EPKbPbPKlPlN2at6native12_GLOBAL__N_18offset_tEEE10hipError_tPvRmT1_PNSt15iterator_traitsIS12_E10value_typeET2_T3_PNS13_IS18_E10value_typeET4_jRbjT5_S1E_jjP12ihipStream_tbEUljE_ZNSN_ISO_Lb0ESQ_SR_ST_SU_SY_EESZ_S10_S11_S12_S16_S17_S18_S1B_S1C_jS1D_jS1E_S1E_jjS1G_bEUljE0_EEESZ_S10_S11_S18_S1C_S1E_T6_T7_T9_mT8_S1G_bDpT10_ENKUlT_T0_E_clISt17integral_constantIbLb0EES1T_IbLb1EEEEDaS1P_S1Q_EUlS1P_E_NS1_11comp_targetILNS1_3genE4ELNS1_11target_archE910ELNS1_3gpuE8ELNS1_3repE0EEENS1_30default_config_static_selectorELNS0_4arch9wavefront6targetE0EEEvS12_, .Lfunc_end1588-_ZN7rocprim17ROCPRIM_400000_NS6detail17trampoline_kernelINS0_13select_configILj256ELj13ELNS0_17block_load_methodE3ELS4_3ELS4_3ELNS0_20block_scan_algorithmE0ELj4294967295EEENS1_25partition_config_selectorILNS1_17partition_subalgoE4EjNS0_10empty_typeEbEEZZNS1_14partition_implILS8_4ELb0ES6_15HIP_vector_typeIjLj2EENS0_17counting_iteratorIjlEEPS9_SG_NS0_5tupleIJPjSI_NS0_16reverse_iteratorISI_EEEEENSH_IJSG_SG_SG_EEES9_SI_JZNS1_25segmented_radix_sort_implINS0_14default_configELb0EPKbPbPKlPlN2at6native12_GLOBAL__N_18offset_tEEE10hipError_tPvRmT1_PNSt15iterator_traitsIS12_E10value_typeET2_T3_PNS13_IS18_E10value_typeET4_jRbjT5_S1E_jjP12ihipStream_tbEUljE_ZNSN_ISO_Lb0ESQ_SR_ST_SU_SY_EESZ_S10_S11_S12_S16_S17_S18_S1B_S1C_jS1D_jS1E_S1E_jjS1G_bEUljE0_EEESZ_S10_S11_S18_S1C_S1E_T6_T7_T9_mT8_S1G_bDpT10_ENKUlT_T0_E_clISt17integral_constantIbLb0EES1T_IbLb1EEEEDaS1P_S1Q_EUlS1P_E_NS1_11comp_targetILNS1_3genE4ELNS1_11target_archE910ELNS1_3gpuE8ELNS1_3repE0EEENS1_30default_config_static_selectorELNS0_4arch9wavefront6targetE0EEEvS12_
                                        ; -- End function
	.set _ZN7rocprim17ROCPRIM_400000_NS6detail17trampoline_kernelINS0_13select_configILj256ELj13ELNS0_17block_load_methodE3ELS4_3ELS4_3ELNS0_20block_scan_algorithmE0ELj4294967295EEENS1_25partition_config_selectorILNS1_17partition_subalgoE4EjNS0_10empty_typeEbEEZZNS1_14partition_implILS8_4ELb0ES6_15HIP_vector_typeIjLj2EENS0_17counting_iteratorIjlEEPS9_SG_NS0_5tupleIJPjSI_NS0_16reverse_iteratorISI_EEEEENSH_IJSG_SG_SG_EEES9_SI_JZNS1_25segmented_radix_sort_implINS0_14default_configELb0EPKbPbPKlPlN2at6native12_GLOBAL__N_18offset_tEEE10hipError_tPvRmT1_PNSt15iterator_traitsIS12_E10value_typeET2_T3_PNS13_IS18_E10value_typeET4_jRbjT5_S1E_jjP12ihipStream_tbEUljE_ZNSN_ISO_Lb0ESQ_SR_ST_SU_SY_EESZ_S10_S11_S12_S16_S17_S18_S1B_S1C_jS1D_jS1E_S1E_jjS1G_bEUljE0_EEESZ_S10_S11_S18_S1C_S1E_T6_T7_T9_mT8_S1G_bDpT10_ENKUlT_T0_E_clISt17integral_constantIbLb0EES1T_IbLb1EEEEDaS1P_S1Q_EUlS1P_E_NS1_11comp_targetILNS1_3genE4ELNS1_11target_archE910ELNS1_3gpuE8ELNS1_3repE0EEENS1_30default_config_static_selectorELNS0_4arch9wavefront6targetE0EEEvS12_.num_vgpr, 0
	.set _ZN7rocprim17ROCPRIM_400000_NS6detail17trampoline_kernelINS0_13select_configILj256ELj13ELNS0_17block_load_methodE3ELS4_3ELS4_3ELNS0_20block_scan_algorithmE0ELj4294967295EEENS1_25partition_config_selectorILNS1_17partition_subalgoE4EjNS0_10empty_typeEbEEZZNS1_14partition_implILS8_4ELb0ES6_15HIP_vector_typeIjLj2EENS0_17counting_iteratorIjlEEPS9_SG_NS0_5tupleIJPjSI_NS0_16reverse_iteratorISI_EEEEENSH_IJSG_SG_SG_EEES9_SI_JZNS1_25segmented_radix_sort_implINS0_14default_configELb0EPKbPbPKlPlN2at6native12_GLOBAL__N_18offset_tEEE10hipError_tPvRmT1_PNSt15iterator_traitsIS12_E10value_typeET2_T3_PNS13_IS18_E10value_typeET4_jRbjT5_S1E_jjP12ihipStream_tbEUljE_ZNSN_ISO_Lb0ESQ_SR_ST_SU_SY_EESZ_S10_S11_S12_S16_S17_S18_S1B_S1C_jS1D_jS1E_S1E_jjS1G_bEUljE0_EEESZ_S10_S11_S18_S1C_S1E_T6_T7_T9_mT8_S1G_bDpT10_ENKUlT_T0_E_clISt17integral_constantIbLb0EES1T_IbLb1EEEEDaS1P_S1Q_EUlS1P_E_NS1_11comp_targetILNS1_3genE4ELNS1_11target_archE910ELNS1_3gpuE8ELNS1_3repE0EEENS1_30default_config_static_selectorELNS0_4arch9wavefront6targetE0EEEvS12_.num_agpr, 0
	.set _ZN7rocprim17ROCPRIM_400000_NS6detail17trampoline_kernelINS0_13select_configILj256ELj13ELNS0_17block_load_methodE3ELS4_3ELS4_3ELNS0_20block_scan_algorithmE0ELj4294967295EEENS1_25partition_config_selectorILNS1_17partition_subalgoE4EjNS0_10empty_typeEbEEZZNS1_14partition_implILS8_4ELb0ES6_15HIP_vector_typeIjLj2EENS0_17counting_iteratorIjlEEPS9_SG_NS0_5tupleIJPjSI_NS0_16reverse_iteratorISI_EEEEENSH_IJSG_SG_SG_EEES9_SI_JZNS1_25segmented_radix_sort_implINS0_14default_configELb0EPKbPbPKlPlN2at6native12_GLOBAL__N_18offset_tEEE10hipError_tPvRmT1_PNSt15iterator_traitsIS12_E10value_typeET2_T3_PNS13_IS18_E10value_typeET4_jRbjT5_S1E_jjP12ihipStream_tbEUljE_ZNSN_ISO_Lb0ESQ_SR_ST_SU_SY_EESZ_S10_S11_S12_S16_S17_S18_S1B_S1C_jS1D_jS1E_S1E_jjS1G_bEUljE0_EEESZ_S10_S11_S18_S1C_S1E_T6_T7_T9_mT8_S1G_bDpT10_ENKUlT_T0_E_clISt17integral_constantIbLb0EES1T_IbLb1EEEEDaS1P_S1Q_EUlS1P_E_NS1_11comp_targetILNS1_3genE4ELNS1_11target_archE910ELNS1_3gpuE8ELNS1_3repE0EEENS1_30default_config_static_selectorELNS0_4arch9wavefront6targetE0EEEvS12_.numbered_sgpr, 0
	.set _ZN7rocprim17ROCPRIM_400000_NS6detail17trampoline_kernelINS0_13select_configILj256ELj13ELNS0_17block_load_methodE3ELS4_3ELS4_3ELNS0_20block_scan_algorithmE0ELj4294967295EEENS1_25partition_config_selectorILNS1_17partition_subalgoE4EjNS0_10empty_typeEbEEZZNS1_14partition_implILS8_4ELb0ES6_15HIP_vector_typeIjLj2EENS0_17counting_iteratorIjlEEPS9_SG_NS0_5tupleIJPjSI_NS0_16reverse_iteratorISI_EEEEENSH_IJSG_SG_SG_EEES9_SI_JZNS1_25segmented_radix_sort_implINS0_14default_configELb0EPKbPbPKlPlN2at6native12_GLOBAL__N_18offset_tEEE10hipError_tPvRmT1_PNSt15iterator_traitsIS12_E10value_typeET2_T3_PNS13_IS18_E10value_typeET4_jRbjT5_S1E_jjP12ihipStream_tbEUljE_ZNSN_ISO_Lb0ESQ_SR_ST_SU_SY_EESZ_S10_S11_S12_S16_S17_S18_S1B_S1C_jS1D_jS1E_S1E_jjS1G_bEUljE0_EEESZ_S10_S11_S18_S1C_S1E_T6_T7_T9_mT8_S1G_bDpT10_ENKUlT_T0_E_clISt17integral_constantIbLb0EES1T_IbLb1EEEEDaS1P_S1Q_EUlS1P_E_NS1_11comp_targetILNS1_3genE4ELNS1_11target_archE910ELNS1_3gpuE8ELNS1_3repE0EEENS1_30default_config_static_selectorELNS0_4arch9wavefront6targetE0EEEvS12_.num_named_barrier, 0
	.set _ZN7rocprim17ROCPRIM_400000_NS6detail17trampoline_kernelINS0_13select_configILj256ELj13ELNS0_17block_load_methodE3ELS4_3ELS4_3ELNS0_20block_scan_algorithmE0ELj4294967295EEENS1_25partition_config_selectorILNS1_17partition_subalgoE4EjNS0_10empty_typeEbEEZZNS1_14partition_implILS8_4ELb0ES6_15HIP_vector_typeIjLj2EENS0_17counting_iteratorIjlEEPS9_SG_NS0_5tupleIJPjSI_NS0_16reverse_iteratorISI_EEEEENSH_IJSG_SG_SG_EEES9_SI_JZNS1_25segmented_radix_sort_implINS0_14default_configELb0EPKbPbPKlPlN2at6native12_GLOBAL__N_18offset_tEEE10hipError_tPvRmT1_PNSt15iterator_traitsIS12_E10value_typeET2_T3_PNS13_IS18_E10value_typeET4_jRbjT5_S1E_jjP12ihipStream_tbEUljE_ZNSN_ISO_Lb0ESQ_SR_ST_SU_SY_EESZ_S10_S11_S12_S16_S17_S18_S1B_S1C_jS1D_jS1E_S1E_jjS1G_bEUljE0_EEESZ_S10_S11_S18_S1C_S1E_T6_T7_T9_mT8_S1G_bDpT10_ENKUlT_T0_E_clISt17integral_constantIbLb0EES1T_IbLb1EEEEDaS1P_S1Q_EUlS1P_E_NS1_11comp_targetILNS1_3genE4ELNS1_11target_archE910ELNS1_3gpuE8ELNS1_3repE0EEENS1_30default_config_static_selectorELNS0_4arch9wavefront6targetE0EEEvS12_.private_seg_size, 0
	.set _ZN7rocprim17ROCPRIM_400000_NS6detail17trampoline_kernelINS0_13select_configILj256ELj13ELNS0_17block_load_methodE3ELS4_3ELS4_3ELNS0_20block_scan_algorithmE0ELj4294967295EEENS1_25partition_config_selectorILNS1_17partition_subalgoE4EjNS0_10empty_typeEbEEZZNS1_14partition_implILS8_4ELb0ES6_15HIP_vector_typeIjLj2EENS0_17counting_iteratorIjlEEPS9_SG_NS0_5tupleIJPjSI_NS0_16reverse_iteratorISI_EEEEENSH_IJSG_SG_SG_EEES9_SI_JZNS1_25segmented_radix_sort_implINS0_14default_configELb0EPKbPbPKlPlN2at6native12_GLOBAL__N_18offset_tEEE10hipError_tPvRmT1_PNSt15iterator_traitsIS12_E10value_typeET2_T3_PNS13_IS18_E10value_typeET4_jRbjT5_S1E_jjP12ihipStream_tbEUljE_ZNSN_ISO_Lb0ESQ_SR_ST_SU_SY_EESZ_S10_S11_S12_S16_S17_S18_S1B_S1C_jS1D_jS1E_S1E_jjS1G_bEUljE0_EEESZ_S10_S11_S18_S1C_S1E_T6_T7_T9_mT8_S1G_bDpT10_ENKUlT_T0_E_clISt17integral_constantIbLb0EES1T_IbLb1EEEEDaS1P_S1Q_EUlS1P_E_NS1_11comp_targetILNS1_3genE4ELNS1_11target_archE910ELNS1_3gpuE8ELNS1_3repE0EEENS1_30default_config_static_selectorELNS0_4arch9wavefront6targetE0EEEvS12_.uses_vcc, 0
	.set _ZN7rocprim17ROCPRIM_400000_NS6detail17trampoline_kernelINS0_13select_configILj256ELj13ELNS0_17block_load_methodE3ELS4_3ELS4_3ELNS0_20block_scan_algorithmE0ELj4294967295EEENS1_25partition_config_selectorILNS1_17partition_subalgoE4EjNS0_10empty_typeEbEEZZNS1_14partition_implILS8_4ELb0ES6_15HIP_vector_typeIjLj2EENS0_17counting_iteratorIjlEEPS9_SG_NS0_5tupleIJPjSI_NS0_16reverse_iteratorISI_EEEEENSH_IJSG_SG_SG_EEES9_SI_JZNS1_25segmented_radix_sort_implINS0_14default_configELb0EPKbPbPKlPlN2at6native12_GLOBAL__N_18offset_tEEE10hipError_tPvRmT1_PNSt15iterator_traitsIS12_E10value_typeET2_T3_PNS13_IS18_E10value_typeET4_jRbjT5_S1E_jjP12ihipStream_tbEUljE_ZNSN_ISO_Lb0ESQ_SR_ST_SU_SY_EESZ_S10_S11_S12_S16_S17_S18_S1B_S1C_jS1D_jS1E_S1E_jjS1G_bEUljE0_EEESZ_S10_S11_S18_S1C_S1E_T6_T7_T9_mT8_S1G_bDpT10_ENKUlT_T0_E_clISt17integral_constantIbLb0EES1T_IbLb1EEEEDaS1P_S1Q_EUlS1P_E_NS1_11comp_targetILNS1_3genE4ELNS1_11target_archE910ELNS1_3gpuE8ELNS1_3repE0EEENS1_30default_config_static_selectorELNS0_4arch9wavefront6targetE0EEEvS12_.uses_flat_scratch, 0
	.set _ZN7rocprim17ROCPRIM_400000_NS6detail17trampoline_kernelINS0_13select_configILj256ELj13ELNS0_17block_load_methodE3ELS4_3ELS4_3ELNS0_20block_scan_algorithmE0ELj4294967295EEENS1_25partition_config_selectorILNS1_17partition_subalgoE4EjNS0_10empty_typeEbEEZZNS1_14partition_implILS8_4ELb0ES6_15HIP_vector_typeIjLj2EENS0_17counting_iteratorIjlEEPS9_SG_NS0_5tupleIJPjSI_NS0_16reverse_iteratorISI_EEEEENSH_IJSG_SG_SG_EEES9_SI_JZNS1_25segmented_radix_sort_implINS0_14default_configELb0EPKbPbPKlPlN2at6native12_GLOBAL__N_18offset_tEEE10hipError_tPvRmT1_PNSt15iterator_traitsIS12_E10value_typeET2_T3_PNS13_IS18_E10value_typeET4_jRbjT5_S1E_jjP12ihipStream_tbEUljE_ZNSN_ISO_Lb0ESQ_SR_ST_SU_SY_EESZ_S10_S11_S12_S16_S17_S18_S1B_S1C_jS1D_jS1E_S1E_jjS1G_bEUljE0_EEESZ_S10_S11_S18_S1C_S1E_T6_T7_T9_mT8_S1G_bDpT10_ENKUlT_T0_E_clISt17integral_constantIbLb0EES1T_IbLb1EEEEDaS1P_S1Q_EUlS1P_E_NS1_11comp_targetILNS1_3genE4ELNS1_11target_archE910ELNS1_3gpuE8ELNS1_3repE0EEENS1_30default_config_static_selectorELNS0_4arch9wavefront6targetE0EEEvS12_.has_dyn_sized_stack, 0
	.set _ZN7rocprim17ROCPRIM_400000_NS6detail17trampoline_kernelINS0_13select_configILj256ELj13ELNS0_17block_load_methodE3ELS4_3ELS4_3ELNS0_20block_scan_algorithmE0ELj4294967295EEENS1_25partition_config_selectorILNS1_17partition_subalgoE4EjNS0_10empty_typeEbEEZZNS1_14partition_implILS8_4ELb0ES6_15HIP_vector_typeIjLj2EENS0_17counting_iteratorIjlEEPS9_SG_NS0_5tupleIJPjSI_NS0_16reverse_iteratorISI_EEEEENSH_IJSG_SG_SG_EEES9_SI_JZNS1_25segmented_radix_sort_implINS0_14default_configELb0EPKbPbPKlPlN2at6native12_GLOBAL__N_18offset_tEEE10hipError_tPvRmT1_PNSt15iterator_traitsIS12_E10value_typeET2_T3_PNS13_IS18_E10value_typeET4_jRbjT5_S1E_jjP12ihipStream_tbEUljE_ZNSN_ISO_Lb0ESQ_SR_ST_SU_SY_EESZ_S10_S11_S12_S16_S17_S18_S1B_S1C_jS1D_jS1E_S1E_jjS1G_bEUljE0_EEESZ_S10_S11_S18_S1C_S1E_T6_T7_T9_mT8_S1G_bDpT10_ENKUlT_T0_E_clISt17integral_constantIbLb0EES1T_IbLb1EEEEDaS1P_S1Q_EUlS1P_E_NS1_11comp_targetILNS1_3genE4ELNS1_11target_archE910ELNS1_3gpuE8ELNS1_3repE0EEENS1_30default_config_static_selectorELNS0_4arch9wavefront6targetE0EEEvS12_.has_recursion, 0
	.set _ZN7rocprim17ROCPRIM_400000_NS6detail17trampoline_kernelINS0_13select_configILj256ELj13ELNS0_17block_load_methodE3ELS4_3ELS4_3ELNS0_20block_scan_algorithmE0ELj4294967295EEENS1_25partition_config_selectorILNS1_17partition_subalgoE4EjNS0_10empty_typeEbEEZZNS1_14partition_implILS8_4ELb0ES6_15HIP_vector_typeIjLj2EENS0_17counting_iteratorIjlEEPS9_SG_NS0_5tupleIJPjSI_NS0_16reverse_iteratorISI_EEEEENSH_IJSG_SG_SG_EEES9_SI_JZNS1_25segmented_radix_sort_implINS0_14default_configELb0EPKbPbPKlPlN2at6native12_GLOBAL__N_18offset_tEEE10hipError_tPvRmT1_PNSt15iterator_traitsIS12_E10value_typeET2_T3_PNS13_IS18_E10value_typeET4_jRbjT5_S1E_jjP12ihipStream_tbEUljE_ZNSN_ISO_Lb0ESQ_SR_ST_SU_SY_EESZ_S10_S11_S12_S16_S17_S18_S1B_S1C_jS1D_jS1E_S1E_jjS1G_bEUljE0_EEESZ_S10_S11_S18_S1C_S1E_T6_T7_T9_mT8_S1G_bDpT10_ENKUlT_T0_E_clISt17integral_constantIbLb0EES1T_IbLb1EEEEDaS1P_S1Q_EUlS1P_E_NS1_11comp_targetILNS1_3genE4ELNS1_11target_archE910ELNS1_3gpuE8ELNS1_3repE0EEENS1_30default_config_static_selectorELNS0_4arch9wavefront6targetE0EEEvS12_.has_indirect_call, 0
	.section	.AMDGPU.csdata,"",@progbits
; Kernel info:
; codeLenInByte = 0
; TotalNumSgprs: 0
; NumVgprs: 0
; ScratchSize: 0
; MemoryBound: 0
; FloatMode: 240
; IeeeMode: 1
; LDSByteSize: 0 bytes/workgroup (compile time only)
; SGPRBlocks: 0
; VGPRBlocks: 0
; NumSGPRsForWavesPerEU: 1
; NumVGPRsForWavesPerEU: 1
; Occupancy: 16
; WaveLimiterHint : 0
; COMPUTE_PGM_RSRC2:SCRATCH_EN: 0
; COMPUTE_PGM_RSRC2:USER_SGPR: 6
; COMPUTE_PGM_RSRC2:TRAP_HANDLER: 0
; COMPUTE_PGM_RSRC2:TGID_X_EN: 1
; COMPUTE_PGM_RSRC2:TGID_Y_EN: 0
; COMPUTE_PGM_RSRC2:TGID_Z_EN: 0
; COMPUTE_PGM_RSRC2:TIDIG_COMP_CNT: 0
	.section	.text._ZN7rocprim17ROCPRIM_400000_NS6detail17trampoline_kernelINS0_13select_configILj256ELj13ELNS0_17block_load_methodE3ELS4_3ELS4_3ELNS0_20block_scan_algorithmE0ELj4294967295EEENS1_25partition_config_selectorILNS1_17partition_subalgoE4EjNS0_10empty_typeEbEEZZNS1_14partition_implILS8_4ELb0ES6_15HIP_vector_typeIjLj2EENS0_17counting_iteratorIjlEEPS9_SG_NS0_5tupleIJPjSI_NS0_16reverse_iteratorISI_EEEEENSH_IJSG_SG_SG_EEES9_SI_JZNS1_25segmented_radix_sort_implINS0_14default_configELb0EPKbPbPKlPlN2at6native12_GLOBAL__N_18offset_tEEE10hipError_tPvRmT1_PNSt15iterator_traitsIS12_E10value_typeET2_T3_PNS13_IS18_E10value_typeET4_jRbjT5_S1E_jjP12ihipStream_tbEUljE_ZNSN_ISO_Lb0ESQ_SR_ST_SU_SY_EESZ_S10_S11_S12_S16_S17_S18_S1B_S1C_jS1D_jS1E_S1E_jjS1G_bEUljE0_EEESZ_S10_S11_S18_S1C_S1E_T6_T7_T9_mT8_S1G_bDpT10_ENKUlT_T0_E_clISt17integral_constantIbLb0EES1T_IbLb1EEEEDaS1P_S1Q_EUlS1P_E_NS1_11comp_targetILNS1_3genE3ELNS1_11target_archE908ELNS1_3gpuE7ELNS1_3repE0EEENS1_30default_config_static_selectorELNS0_4arch9wavefront6targetE0EEEvS12_,"axG",@progbits,_ZN7rocprim17ROCPRIM_400000_NS6detail17trampoline_kernelINS0_13select_configILj256ELj13ELNS0_17block_load_methodE3ELS4_3ELS4_3ELNS0_20block_scan_algorithmE0ELj4294967295EEENS1_25partition_config_selectorILNS1_17partition_subalgoE4EjNS0_10empty_typeEbEEZZNS1_14partition_implILS8_4ELb0ES6_15HIP_vector_typeIjLj2EENS0_17counting_iteratorIjlEEPS9_SG_NS0_5tupleIJPjSI_NS0_16reverse_iteratorISI_EEEEENSH_IJSG_SG_SG_EEES9_SI_JZNS1_25segmented_radix_sort_implINS0_14default_configELb0EPKbPbPKlPlN2at6native12_GLOBAL__N_18offset_tEEE10hipError_tPvRmT1_PNSt15iterator_traitsIS12_E10value_typeET2_T3_PNS13_IS18_E10value_typeET4_jRbjT5_S1E_jjP12ihipStream_tbEUljE_ZNSN_ISO_Lb0ESQ_SR_ST_SU_SY_EESZ_S10_S11_S12_S16_S17_S18_S1B_S1C_jS1D_jS1E_S1E_jjS1G_bEUljE0_EEESZ_S10_S11_S18_S1C_S1E_T6_T7_T9_mT8_S1G_bDpT10_ENKUlT_T0_E_clISt17integral_constantIbLb0EES1T_IbLb1EEEEDaS1P_S1Q_EUlS1P_E_NS1_11comp_targetILNS1_3genE3ELNS1_11target_archE908ELNS1_3gpuE7ELNS1_3repE0EEENS1_30default_config_static_selectorELNS0_4arch9wavefront6targetE0EEEvS12_,comdat
	.globl	_ZN7rocprim17ROCPRIM_400000_NS6detail17trampoline_kernelINS0_13select_configILj256ELj13ELNS0_17block_load_methodE3ELS4_3ELS4_3ELNS0_20block_scan_algorithmE0ELj4294967295EEENS1_25partition_config_selectorILNS1_17partition_subalgoE4EjNS0_10empty_typeEbEEZZNS1_14partition_implILS8_4ELb0ES6_15HIP_vector_typeIjLj2EENS0_17counting_iteratorIjlEEPS9_SG_NS0_5tupleIJPjSI_NS0_16reverse_iteratorISI_EEEEENSH_IJSG_SG_SG_EEES9_SI_JZNS1_25segmented_radix_sort_implINS0_14default_configELb0EPKbPbPKlPlN2at6native12_GLOBAL__N_18offset_tEEE10hipError_tPvRmT1_PNSt15iterator_traitsIS12_E10value_typeET2_T3_PNS13_IS18_E10value_typeET4_jRbjT5_S1E_jjP12ihipStream_tbEUljE_ZNSN_ISO_Lb0ESQ_SR_ST_SU_SY_EESZ_S10_S11_S12_S16_S17_S18_S1B_S1C_jS1D_jS1E_S1E_jjS1G_bEUljE0_EEESZ_S10_S11_S18_S1C_S1E_T6_T7_T9_mT8_S1G_bDpT10_ENKUlT_T0_E_clISt17integral_constantIbLb0EES1T_IbLb1EEEEDaS1P_S1Q_EUlS1P_E_NS1_11comp_targetILNS1_3genE3ELNS1_11target_archE908ELNS1_3gpuE7ELNS1_3repE0EEENS1_30default_config_static_selectorELNS0_4arch9wavefront6targetE0EEEvS12_ ; -- Begin function _ZN7rocprim17ROCPRIM_400000_NS6detail17trampoline_kernelINS0_13select_configILj256ELj13ELNS0_17block_load_methodE3ELS4_3ELS4_3ELNS0_20block_scan_algorithmE0ELj4294967295EEENS1_25partition_config_selectorILNS1_17partition_subalgoE4EjNS0_10empty_typeEbEEZZNS1_14partition_implILS8_4ELb0ES6_15HIP_vector_typeIjLj2EENS0_17counting_iteratorIjlEEPS9_SG_NS0_5tupleIJPjSI_NS0_16reverse_iteratorISI_EEEEENSH_IJSG_SG_SG_EEES9_SI_JZNS1_25segmented_radix_sort_implINS0_14default_configELb0EPKbPbPKlPlN2at6native12_GLOBAL__N_18offset_tEEE10hipError_tPvRmT1_PNSt15iterator_traitsIS12_E10value_typeET2_T3_PNS13_IS18_E10value_typeET4_jRbjT5_S1E_jjP12ihipStream_tbEUljE_ZNSN_ISO_Lb0ESQ_SR_ST_SU_SY_EESZ_S10_S11_S12_S16_S17_S18_S1B_S1C_jS1D_jS1E_S1E_jjS1G_bEUljE0_EEESZ_S10_S11_S18_S1C_S1E_T6_T7_T9_mT8_S1G_bDpT10_ENKUlT_T0_E_clISt17integral_constantIbLb0EES1T_IbLb1EEEEDaS1P_S1Q_EUlS1P_E_NS1_11comp_targetILNS1_3genE3ELNS1_11target_archE908ELNS1_3gpuE7ELNS1_3repE0EEENS1_30default_config_static_selectorELNS0_4arch9wavefront6targetE0EEEvS12_
	.p2align	8
	.type	_ZN7rocprim17ROCPRIM_400000_NS6detail17trampoline_kernelINS0_13select_configILj256ELj13ELNS0_17block_load_methodE3ELS4_3ELS4_3ELNS0_20block_scan_algorithmE0ELj4294967295EEENS1_25partition_config_selectorILNS1_17partition_subalgoE4EjNS0_10empty_typeEbEEZZNS1_14partition_implILS8_4ELb0ES6_15HIP_vector_typeIjLj2EENS0_17counting_iteratorIjlEEPS9_SG_NS0_5tupleIJPjSI_NS0_16reverse_iteratorISI_EEEEENSH_IJSG_SG_SG_EEES9_SI_JZNS1_25segmented_radix_sort_implINS0_14default_configELb0EPKbPbPKlPlN2at6native12_GLOBAL__N_18offset_tEEE10hipError_tPvRmT1_PNSt15iterator_traitsIS12_E10value_typeET2_T3_PNS13_IS18_E10value_typeET4_jRbjT5_S1E_jjP12ihipStream_tbEUljE_ZNSN_ISO_Lb0ESQ_SR_ST_SU_SY_EESZ_S10_S11_S12_S16_S17_S18_S1B_S1C_jS1D_jS1E_S1E_jjS1G_bEUljE0_EEESZ_S10_S11_S18_S1C_S1E_T6_T7_T9_mT8_S1G_bDpT10_ENKUlT_T0_E_clISt17integral_constantIbLb0EES1T_IbLb1EEEEDaS1P_S1Q_EUlS1P_E_NS1_11comp_targetILNS1_3genE3ELNS1_11target_archE908ELNS1_3gpuE7ELNS1_3repE0EEENS1_30default_config_static_selectorELNS0_4arch9wavefront6targetE0EEEvS12_,@function
_ZN7rocprim17ROCPRIM_400000_NS6detail17trampoline_kernelINS0_13select_configILj256ELj13ELNS0_17block_load_methodE3ELS4_3ELS4_3ELNS0_20block_scan_algorithmE0ELj4294967295EEENS1_25partition_config_selectorILNS1_17partition_subalgoE4EjNS0_10empty_typeEbEEZZNS1_14partition_implILS8_4ELb0ES6_15HIP_vector_typeIjLj2EENS0_17counting_iteratorIjlEEPS9_SG_NS0_5tupleIJPjSI_NS0_16reverse_iteratorISI_EEEEENSH_IJSG_SG_SG_EEES9_SI_JZNS1_25segmented_radix_sort_implINS0_14default_configELb0EPKbPbPKlPlN2at6native12_GLOBAL__N_18offset_tEEE10hipError_tPvRmT1_PNSt15iterator_traitsIS12_E10value_typeET2_T3_PNS13_IS18_E10value_typeET4_jRbjT5_S1E_jjP12ihipStream_tbEUljE_ZNSN_ISO_Lb0ESQ_SR_ST_SU_SY_EESZ_S10_S11_S12_S16_S17_S18_S1B_S1C_jS1D_jS1E_S1E_jjS1G_bEUljE0_EEESZ_S10_S11_S18_S1C_S1E_T6_T7_T9_mT8_S1G_bDpT10_ENKUlT_T0_E_clISt17integral_constantIbLb0EES1T_IbLb1EEEEDaS1P_S1Q_EUlS1P_E_NS1_11comp_targetILNS1_3genE3ELNS1_11target_archE908ELNS1_3gpuE7ELNS1_3repE0EEENS1_30default_config_static_selectorELNS0_4arch9wavefront6targetE0EEEvS12_: ; @_ZN7rocprim17ROCPRIM_400000_NS6detail17trampoline_kernelINS0_13select_configILj256ELj13ELNS0_17block_load_methodE3ELS4_3ELS4_3ELNS0_20block_scan_algorithmE0ELj4294967295EEENS1_25partition_config_selectorILNS1_17partition_subalgoE4EjNS0_10empty_typeEbEEZZNS1_14partition_implILS8_4ELb0ES6_15HIP_vector_typeIjLj2EENS0_17counting_iteratorIjlEEPS9_SG_NS0_5tupleIJPjSI_NS0_16reverse_iteratorISI_EEEEENSH_IJSG_SG_SG_EEES9_SI_JZNS1_25segmented_radix_sort_implINS0_14default_configELb0EPKbPbPKlPlN2at6native12_GLOBAL__N_18offset_tEEE10hipError_tPvRmT1_PNSt15iterator_traitsIS12_E10value_typeET2_T3_PNS13_IS18_E10value_typeET4_jRbjT5_S1E_jjP12ihipStream_tbEUljE_ZNSN_ISO_Lb0ESQ_SR_ST_SU_SY_EESZ_S10_S11_S12_S16_S17_S18_S1B_S1C_jS1D_jS1E_S1E_jjS1G_bEUljE0_EEESZ_S10_S11_S18_S1C_S1E_T6_T7_T9_mT8_S1G_bDpT10_ENKUlT_T0_E_clISt17integral_constantIbLb0EES1T_IbLb1EEEEDaS1P_S1Q_EUlS1P_E_NS1_11comp_targetILNS1_3genE3ELNS1_11target_archE908ELNS1_3gpuE7ELNS1_3repE0EEENS1_30default_config_static_selectorELNS0_4arch9wavefront6targetE0EEEvS12_
; %bb.0:
	.section	.rodata,"a",@progbits
	.p2align	6, 0x0
	.amdhsa_kernel _ZN7rocprim17ROCPRIM_400000_NS6detail17trampoline_kernelINS0_13select_configILj256ELj13ELNS0_17block_load_methodE3ELS4_3ELS4_3ELNS0_20block_scan_algorithmE0ELj4294967295EEENS1_25partition_config_selectorILNS1_17partition_subalgoE4EjNS0_10empty_typeEbEEZZNS1_14partition_implILS8_4ELb0ES6_15HIP_vector_typeIjLj2EENS0_17counting_iteratorIjlEEPS9_SG_NS0_5tupleIJPjSI_NS0_16reverse_iteratorISI_EEEEENSH_IJSG_SG_SG_EEES9_SI_JZNS1_25segmented_radix_sort_implINS0_14default_configELb0EPKbPbPKlPlN2at6native12_GLOBAL__N_18offset_tEEE10hipError_tPvRmT1_PNSt15iterator_traitsIS12_E10value_typeET2_T3_PNS13_IS18_E10value_typeET4_jRbjT5_S1E_jjP12ihipStream_tbEUljE_ZNSN_ISO_Lb0ESQ_SR_ST_SU_SY_EESZ_S10_S11_S12_S16_S17_S18_S1B_S1C_jS1D_jS1E_S1E_jjS1G_bEUljE0_EEESZ_S10_S11_S18_S1C_S1E_T6_T7_T9_mT8_S1G_bDpT10_ENKUlT_T0_E_clISt17integral_constantIbLb0EES1T_IbLb1EEEEDaS1P_S1Q_EUlS1P_E_NS1_11comp_targetILNS1_3genE3ELNS1_11target_archE908ELNS1_3gpuE7ELNS1_3repE0EEENS1_30default_config_static_selectorELNS0_4arch9wavefront6targetE0EEEvS12_
		.amdhsa_group_segment_fixed_size 0
		.amdhsa_private_segment_fixed_size 0
		.amdhsa_kernarg_size 184
		.amdhsa_user_sgpr_count 6
		.amdhsa_user_sgpr_private_segment_buffer 1
		.amdhsa_user_sgpr_dispatch_ptr 0
		.amdhsa_user_sgpr_queue_ptr 0
		.amdhsa_user_sgpr_kernarg_segment_ptr 1
		.amdhsa_user_sgpr_dispatch_id 0
		.amdhsa_user_sgpr_flat_scratch_init 0
		.amdhsa_user_sgpr_private_segment_size 0
		.amdhsa_wavefront_size32 1
		.amdhsa_uses_dynamic_stack 0
		.amdhsa_system_sgpr_private_segment_wavefront_offset 0
		.amdhsa_system_sgpr_workgroup_id_x 1
		.amdhsa_system_sgpr_workgroup_id_y 0
		.amdhsa_system_sgpr_workgroup_id_z 0
		.amdhsa_system_sgpr_workgroup_info 0
		.amdhsa_system_vgpr_workitem_id 0
		.amdhsa_next_free_vgpr 1
		.amdhsa_next_free_sgpr 1
		.amdhsa_reserve_vcc 0
		.amdhsa_reserve_flat_scratch 0
		.amdhsa_float_round_mode_32 0
		.amdhsa_float_round_mode_16_64 0
		.amdhsa_float_denorm_mode_32 3
		.amdhsa_float_denorm_mode_16_64 3
		.amdhsa_dx10_clamp 1
		.amdhsa_ieee_mode 1
		.amdhsa_fp16_overflow 0
		.amdhsa_workgroup_processor_mode 1
		.amdhsa_memory_ordered 1
		.amdhsa_forward_progress 1
		.amdhsa_shared_vgpr_count 0
		.amdhsa_exception_fp_ieee_invalid_op 0
		.amdhsa_exception_fp_denorm_src 0
		.amdhsa_exception_fp_ieee_div_zero 0
		.amdhsa_exception_fp_ieee_overflow 0
		.amdhsa_exception_fp_ieee_underflow 0
		.amdhsa_exception_fp_ieee_inexact 0
		.amdhsa_exception_int_div_zero 0
	.end_amdhsa_kernel
	.section	.text._ZN7rocprim17ROCPRIM_400000_NS6detail17trampoline_kernelINS0_13select_configILj256ELj13ELNS0_17block_load_methodE3ELS4_3ELS4_3ELNS0_20block_scan_algorithmE0ELj4294967295EEENS1_25partition_config_selectorILNS1_17partition_subalgoE4EjNS0_10empty_typeEbEEZZNS1_14partition_implILS8_4ELb0ES6_15HIP_vector_typeIjLj2EENS0_17counting_iteratorIjlEEPS9_SG_NS0_5tupleIJPjSI_NS0_16reverse_iteratorISI_EEEEENSH_IJSG_SG_SG_EEES9_SI_JZNS1_25segmented_radix_sort_implINS0_14default_configELb0EPKbPbPKlPlN2at6native12_GLOBAL__N_18offset_tEEE10hipError_tPvRmT1_PNSt15iterator_traitsIS12_E10value_typeET2_T3_PNS13_IS18_E10value_typeET4_jRbjT5_S1E_jjP12ihipStream_tbEUljE_ZNSN_ISO_Lb0ESQ_SR_ST_SU_SY_EESZ_S10_S11_S12_S16_S17_S18_S1B_S1C_jS1D_jS1E_S1E_jjS1G_bEUljE0_EEESZ_S10_S11_S18_S1C_S1E_T6_T7_T9_mT8_S1G_bDpT10_ENKUlT_T0_E_clISt17integral_constantIbLb0EES1T_IbLb1EEEEDaS1P_S1Q_EUlS1P_E_NS1_11comp_targetILNS1_3genE3ELNS1_11target_archE908ELNS1_3gpuE7ELNS1_3repE0EEENS1_30default_config_static_selectorELNS0_4arch9wavefront6targetE0EEEvS12_,"axG",@progbits,_ZN7rocprim17ROCPRIM_400000_NS6detail17trampoline_kernelINS0_13select_configILj256ELj13ELNS0_17block_load_methodE3ELS4_3ELS4_3ELNS0_20block_scan_algorithmE0ELj4294967295EEENS1_25partition_config_selectorILNS1_17partition_subalgoE4EjNS0_10empty_typeEbEEZZNS1_14partition_implILS8_4ELb0ES6_15HIP_vector_typeIjLj2EENS0_17counting_iteratorIjlEEPS9_SG_NS0_5tupleIJPjSI_NS0_16reverse_iteratorISI_EEEEENSH_IJSG_SG_SG_EEES9_SI_JZNS1_25segmented_radix_sort_implINS0_14default_configELb0EPKbPbPKlPlN2at6native12_GLOBAL__N_18offset_tEEE10hipError_tPvRmT1_PNSt15iterator_traitsIS12_E10value_typeET2_T3_PNS13_IS18_E10value_typeET4_jRbjT5_S1E_jjP12ihipStream_tbEUljE_ZNSN_ISO_Lb0ESQ_SR_ST_SU_SY_EESZ_S10_S11_S12_S16_S17_S18_S1B_S1C_jS1D_jS1E_S1E_jjS1G_bEUljE0_EEESZ_S10_S11_S18_S1C_S1E_T6_T7_T9_mT8_S1G_bDpT10_ENKUlT_T0_E_clISt17integral_constantIbLb0EES1T_IbLb1EEEEDaS1P_S1Q_EUlS1P_E_NS1_11comp_targetILNS1_3genE3ELNS1_11target_archE908ELNS1_3gpuE7ELNS1_3repE0EEENS1_30default_config_static_selectorELNS0_4arch9wavefront6targetE0EEEvS12_,comdat
.Lfunc_end1589:
	.size	_ZN7rocprim17ROCPRIM_400000_NS6detail17trampoline_kernelINS0_13select_configILj256ELj13ELNS0_17block_load_methodE3ELS4_3ELS4_3ELNS0_20block_scan_algorithmE0ELj4294967295EEENS1_25partition_config_selectorILNS1_17partition_subalgoE4EjNS0_10empty_typeEbEEZZNS1_14partition_implILS8_4ELb0ES6_15HIP_vector_typeIjLj2EENS0_17counting_iteratorIjlEEPS9_SG_NS0_5tupleIJPjSI_NS0_16reverse_iteratorISI_EEEEENSH_IJSG_SG_SG_EEES9_SI_JZNS1_25segmented_radix_sort_implINS0_14default_configELb0EPKbPbPKlPlN2at6native12_GLOBAL__N_18offset_tEEE10hipError_tPvRmT1_PNSt15iterator_traitsIS12_E10value_typeET2_T3_PNS13_IS18_E10value_typeET4_jRbjT5_S1E_jjP12ihipStream_tbEUljE_ZNSN_ISO_Lb0ESQ_SR_ST_SU_SY_EESZ_S10_S11_S12_S16_S17_S18_S1B_S1C_jS1D_jS1E_S1E_jjS1G_bEUljE0_EEESZ_S10_S11_S18_S1C_S1E_T6_T7_T9_mT8_S1G_bDpT10_ENKUlT_T0_E_clISt17integral_constantIbLb0EES1T_IbLb1EEEEDaS1P_S1Q_EUlS1P_E_NS1_11comp_targetILNS1_3genE3ELNS1_11target_archE908ELNS1_3gpuE7ELNS1_3repE0EEENS1_30default_config_static_selectorELNS0_4arch9wavefront6targetE0EEEvS12_, .Lfunc_end1589-_ZN7rocprim17ROCPRIM_400000_NS6detail17trampoline_kernelINS0_13select_configILj256ELj13ELNS0_17block_load_methodE3ELS4_3ELS4_3ELNS0_20block_scan_algorithmE0ELj4294967295EEENS1_25partition_config_selectorILNS1_17partition_subalgoE4EjNS0_10empty_typeEbEEZZNS1_14partition_implILS8_4ELb0ES6_15HIP_vector_typeIjLj2EENS0_17counting_iteratorIjlEEPS9_SG_NS0_5tupleIJPjSI_NS0_16reverse_iteratorISI_EEEEENSH_IJSG_SG_SG_EEES9_SI_JZNS1_25segmented_radix_sort_implINS0_14default_configELb0EPKbPbPKlPlN2at6native12_GLOBAL__N_18offset_tEEE10hipError_tPvRmT1_PNSt15iterator_traitsIS12_E10value_typeET2_T3_PNS13_IS18_E10value_typeET4_jRbjT5_S1E_jjP12ihipStream_tbEUljE_ZNSN_ISO_Lb0ESQ_SR_ST_SU_SY_EESZ_S10_S11_S12_S16_S17_S18_S1B_S1C_jS1D_jS1E_S1E_jjS1G_bEUljE0_EEESZ_S10_S11_S18_S1C_S1E_T6_T7_T9_mT8_S1G_bDpT10_ENKUlT_T0_E_clISt17integral_constantIbLb0EES1T_IbLb1EEEEDaS1P_S1Q_EUlS1P_E_NS1_11comp_targetILNS1_3genE3ELNS1_11target_archE908ELNS1_3gpuE7ELNS1_3repE0EEENS1_30default_config_static_selectorELNS0_4arch9wavefront6targetE0EEEvS12_
                                        ; -- End function
	.set _ZN7rocprim17ROCPRIM_400000_NS6detail17trampoline_kernelINS0_13select_configILj256ELj13ELNS0_17block_load_methodE3ELS4_3ELS4_3ELNS0_20block_scan_algorithmE0ELj4294967295EEENS1_25partition_config_selectorILNS1_17partition_subalgoE4EjNS0_10empty_typeEbEEZZNS1_14partition_implILS8_4ELb0ES6_15HIP_vector_typeIjLj2EENS0_17counting_iteratorIjlEEPS9_SG_NS0_5tupleIJPjSI_NS0_16reverse_iteratorISI_EEEEENSH_IJSG_SG_SG_EEES9_SI_JZNS1_25segmented_radix_sort_implINS0_14default_configELb0EPKbPbPKlPlN2at6native12_GLOBAL__N_18offset_tEEE10hipError_tPvRmT1_PNSt15iterator_traitsIS12_E10value_typeET2_T3_PNS13_IS18_E10value_typeET4_jRbjT5_S1E_jjP12ihipStream_tbEUljE_ZNSN_ISO_Lb0ESQ_SR_ST_SU_SY_EESZ_S10_S11_S12_S16_S17_S18_S1B_S1C_jS1D_jS1E_S1E_jjS1G_bEUljE0_EEESZ_S10_S11_S18_S1C_S1E_T6_T7_T9_mT8_S1G_bDpT10_ENKUlT_T0_E_clISt17integral_constantIbLb0EES1T_IbLb1EEEEDaS1P_S1Q_EUlS1P_E_NS1_11comp_targetILNS1_3genE3ELNS1_11target_archE908ELNS1_3gpuE7ELNS1_3repE0EEENS1_30default_config_static_selectorELNS0_4arch9wavefront6targetE0EEEvS12_.num_vgpr, 0
	.set _ZN7rocprim17ROCPRIM_400000_NS6detail17trampoline_kernelINS0_13select_configILj256ELj13ELNS0_17block_load_methodE3ELS4_3ELS4_3ELNS0_20block_scan_algorithmE0ELj4294967295EEENS1_25partition_config_selectorILNS1_17partition_subalgoE4EjNS0_10empty_typeEbEEZZNS1_14partition_implILS8_4ELb0ES6_15HIP_vector_typeIjLj2EENS0_17counting_iteratorIjlEEPS9_SG_NS0_5tupleIJPjSI_NS0_16reverse_iteratorISI_EEEEENSH_IJSG_SG_SG_EEES9_SI_JZNS1_25segmented_radix_sort_implINS0_14default_configELb0EPKbPbPKlPlN2at6native12_GLOBAL__N_18offset_tEEE10hipError_tPvRmT1_PNSt15iterator_traitsIS12_E10value_typeET2_T3_PNS13_IS18_E10value_typeET4_jRbjT5_S1E_jjP12ihipStream_tbEUljE_ZNSN_ISO_Lb0ESQ_SR_ST_SU_SY_EESZ_S10_S11_S12_S16_S17_S18_S1B_S1C_jS1D_jS1E_S1E_jjS1G_bEUljE0_EEESZ_S10_S11_S18_S1C_S1E_T6_T7_T9_mT8_S1G_bDpT10_ENKUlT_T0_E_clISt17integral_constantIbLb0EES1T_IbLb1EEEEDaS1P_S1Q_EUlS1P_E_NS1_11comp_targetILNS1_3genE3ELNS1_11target_archE908ELNS1_3gpuE7ELNS1_3repE0EEENS1_30default_config_static_selectorELNS0_4arch9wavefront6targetE0EEEvS12_.num_agpr, 0
	.set _ZN7rocprim17ROCPRIM_400000_NS6detail17trampoline_kernelINS0_13select_configILj256ELj13ELNS0_17block_load_methodE3ELS4_3ELS4_3ELNS0_20block_scan_algorithmE0ELj4294967295EEENS1_25partition_config_selectorILNS1_17partition_subalgoE4EjNS0_10empty_typeEbEEZZNS1_14partition_implILS8_4ELb0ES6_15HIP_vector_typeIjLj2EENS0_17counting_iteratorIjlEEPS9_SG_NS0_5tupleIJPjSI_NS0_16reverse_iteratorISI_EEEEENSH_IJSG_SG_SG_EEES9_SI_JZNS1_25segmented_radix_sort_implINS0_14default_configELb0EPKbPbPKlPlN2at6native12_GLOBAL__N_18offset_tEEE10hipError_tPvRmT1_PNSt15iterator_traitsIS12_E10value_typeET2_T3_PNS13_IS18_E10value_typeET4_jRbjT5_S1E_jjP12ihipStream_tbEUljE_ZNSN_ISO_Lb0ESQ_SR_ST_SU_SY_EESZ_S10_S11_S12_S16_S17_S18_S1B_S1C_jS1D_jS1E_S1E_jjS1G_bEUljE0_EEESZ_S10_S11_S18_S1C_S1E_T6_T7_T9_mT8_S1G_bDpT10_ENKUlT_T0_E_clISt17integral_constantIbLb0EES1T_IbLb1EEEEDaS1P_S1Q_EUlS1P_E_NS1_11comp_targetILNS1_3genE3ELNS1_11target_archE908ELNS1_3gpuE7ELNS1_3repE0EEENS1_30default_config_static_selectorELNS0_4arch9wavefront6targetE0EEEvS12_.numbered_sgpr, 0
	.set _ZN7rocprim17ROCPRIM_400000_NS6detail17trampoline_kernelINS0_13select_configILj256ELj13ELNS0_17block_load_methodE3ELS4_3ELS4_3ELNS0_20block_scan_algorithmE0ELj4294967295EEENS1_25partition_config_selectorILNS1_17partition_subalgoE4EjNS0_10empty_typeEbEEZZNS1_14partition_implILS8_4ELb0ES6_15HIP_vector_typeIjLj2EENS0_17counting_iteratorIjlEEPS9_SG_NS0_5tupleIJPjSI_NS0_16reverse_iteratorISI_EEEEENSH_IJSG_SG_SG_EEES9_SI_JZNS1_25segmented_radix_sort_implINS0_14default_configELb0EPKbPbPKlPlN2at6native12_GLOBAL__N_18offset_tEEE10hipError_tPvRmT1_PNSt15iterator_traitsIS12_E10value_typeET2_T3_PNS13_IS18_E10value_typeET4_jRbjT5_S1E_jjP12ihipStream_tbEUljE_ZNSN_ISO_Lb0ESQ_SR_ST_SU_SY_EESZ_S10_S11_S12_S16_S17_S18_S1B_S1C_jS1D_jS1E_S1E_jjS1G_bEUljE0_EEESZ_S10_S11_S18_S1C_S1E_T6_T7_T9_mT8_S1G_bDpT10_ENKUlT_T0_E_clISt17integral_constantIbLb0EES1T_IbLb1EEEEDaS1P_S1Q_EUlS1P_E_NS1_11comp_targetILNS1_3genE3ELNS1_11target_archE908ELNS1_3gpuE7ELNS1_3repE0EEENS1_30default_config_static_selectorELNS0_4arch9wavefront6targetE0EEEvS12_.num_named_barrier, 0
	.set _ZN7rocprim17ROCPRIM_400000_NS6detail17trampoline_kernelINS0_13select_configILj256ELj13ELNS0_17block_load_methodE3ELS4_3ELS4_3ELNS0_20block_scan_algorithmE0ELj4294967295EEENS1_25partition_config_selectorILNS1_17partition_subalgoE4EjNS0_10empty_typeEbEEZZNS1_14partition_implILS8_4ELb0ES6_15HIP_vector_typeIjLj2EENS0_17counting_iteratorIjlEEPS9_SG_NS0_5tupleIJPjSI_NS0_16reverse_iteratorISI_EEEEENSH_IJSG_SG_SG_EEES9_SI_JZNS1_25segmented_radix_sort_implINS0_14default_configELb0EPKbPbPKlPlN2at6native12_GLOBAL__N_18offset_tEEE10hipError_tPvRmT1_PNSt15iterator_traitsIS12_E10value_typeET2_T3_PNS13_IS18_E10value_typeET4_jRbjT5_S1E_jjP12ihipStream_tbEUljE_ZNSN_ISO_Lb0ESQ_SR_ST_SU_SY_EESZ_S10_S11_S12_S16_S17_S18_S1B_S1C_jS1D_jS1E_S1E_jjS1G_bEUljE0_EEESZ_S10_S11_S18_S1C_S1E_T6_T7_T9_mT8_S1G_bDpT10_ENKUlT_T0_E_clISt17integral_constantIbLb0EES1T_IbLb1EEEEDaS1P_S1Q_EUlS1P_E_NS1_11comp_targetILNS1_3genE3ELNS1_11target_archE908ELNS1_3gpuE7ELNS1_3repE0EEENS1_30default_config_static_selectorELNS0_4arch9wavefront6targetE0EEEvS12_.private_seg_size, 0
	.set _ZN7rocprim17ROCPRIM_400000_NS6detail17trampoline_kernelINS0_13select_configILj256ELj13ELNS0_17block_load_methodE3ELS4_3ELS4_3ELNS0_20block_scan_algorithmE0ELj4294967295EEENS1_25partition_config_selectorILNS1_17partition_subalgoE4EjNS0_10empty_typeEbEEZZNS1_14partition_implILS8_4ELb0ES6_15HIP_vector_typeIjLj2EENS0_17counting_iteratorIjlEEPS9_SG_NS0_5tupleIJPjSI_NS0_16reverse_iteratorISI_EEEEENSH_IJSG_SG_SG_EEES9_SI_JZNS1_25segmented_radix_sort_implINS0_14default_configELb0EPKbPbPKlPlN2at6native12_GLOBAL__N_18offset_tEEE10hipError_tPvRmT1_PNSt15iterator_traitsIS12_E10value_typeET2_T3_PNS13_IS18_E10value_typeET4_jRbjT5_S1E_jjP12ihipStream_tbEUljE_ZNSN_ISO_Lb0ESQ_SR_ST_SU_SY_EESZ_S10_S11_S12_S16_S17_S18_S1B_S1C_jS1D_jS1E_S1E_jjS1G_bEUljE0_EEESZ_S10_S11_S18_S1C_S1E_T6_T7_T9_mT8_S1G_bDpT10_ENKUlT_T0_E_clISt17integral_constantIbLb0EES1T_IbLb1EEEEDaS1P_S1Q_EUlS1P_E_NS1_11comp_targetILNS1_3genE3ELNS1_11target_archE908ELNS1_3gpuE7ELNS1_3repE0EEENS1_30default_config_static_selectorELNS0_4arch9wavefront6targetE0EEEvS12_.uses_vcc, 0
	.set _ZN7rocprim17ROCPRIM_400000_NS6detail17trampoline_kernelINS0_13select_configILj256ELj13ELNS0_17block_load_methodE3ELS4_3ELS4_3ELNS0_20block_scan_algorithmE0ELj4294967295EEENS1_25partition_config_selectorILNS1_17partition_subalgoE4EjNS0_10empty_typeEbEEZZNS1_14partition_implILS8_4ELb0ES6_15HIP_vector_typeIjLj2EENS0_17counting_iteratorIjlEEPS9_SG_NS0_5tupleIJPjSI_NS0_16reverse_iteratorISI_EEEEENSH_IJSG_SG_SG_EEES9_SI_JZNS1_25segmented_radix_sort_implINS0_14default_configELb0EPKbPbPKlPlN2at6native12_GLOBAL__N_18offset_tEEE10hipError_tPvRmT1_PNSt15iterator_traitsIS12_E10value_typeET2_T3_PNS13_IS18_E10value_typeET4_jRbjT5_S1E_jjP12ihipStream_tbEUljE_ZNSN_ISO_Lb0ESQ_SR_ST_SU_SY_EESZ_S10_S11_S12_S16_S17_S18_S1B_S1C_jS1D_jS1E_S1E_jjS1G_bEUljE0_EEESZ_S10_S11_S18_S1C_S1E_T6_T7_T9_mT8_S1G_bDpT10_ENKUlT_T0_E_clISt17integral_constantIbLb0EES1T_IbLb1EEEEDaS1P_S1Q_EUlS1P_E_NS1_11comp_targetILNS1_3genE3ELNS1_11target_archE908ELNS1_3gpuE7ELNS1_3repE0EEENS1_30default_config_static_selectorELNS0_4arch9wavefront6targetE0EEEvS12_.uses_flat_scratch, 0
	.set _ZN7rocprim17ROCPRIM_400000_NS6detail17trampoline_kernelINS0_13select_configILj256ELj13ELNS0_17block_load_methodE3ELS4_3ELS4_3ELNS0_20block_scan_algorithmE0ELj4294967295EEENS1_25partition_config_selectorILNS1_17partition_subalgoE4EjNS0_10empty_typeEbEEZZNS1_14partition_implILS8_4ELb0ES6_15HIP_vector_typeIjLj2EENS0_17counting_iteratorIjlEEPS9_SG_NS0_5tupleIJPjSI_NS0_16reverse_iteratorISI_EEEEENSH_IJSG_SG_SG_EEES9_SI_JZNS1_25segmented_radix_sort_implINS0_14default_configELb0EPKbPbPKlPlN2at6native12_GLOBAL__N_18offset_tEEE10hipError_tPvRmT1_PNSt15iterator_traitsIS12_E10value_typeET2_T3_PNS13_IS18_E10value_typeET4_jRbjT5_S1E_jjP12ihipStream_tbEUljE_ZNSN_ISO_Lb0ESQ_SR_ST_SU_SY_EESZ_S10_S11_S12_S16_S17_S18_S1B_S1C_jS1D_jS1E_S1E_jjS1G_bEUljE0_EEESZ_S10_S11_S18_S1C_S1E_T6_T7_T9_mT8_S1G_bDpT10_ENKUlT_T0_E_clISt17integral_constantIbLb0EES1T_IbLb1EEEEDaS1P_S1Q_EUlS1P_E_NS1_11comp_targetILNS1_3genE3ELNS1_11target_archE908ELNS1_3gpuE7ELNS1_3repE0EEENS1_30default_config_static_selectorELNS0_4arch9wavefront6targetE0EEEvS12_.has_dyn_sized_stack, 0
	.set _ZN7rocprim17ROCPRIM_400000_NS6detail17trampoline_kernelINS0_13select_configILj256ELj13ELNS0_17block_load_methodE3ELS4_3ELS4_3ELNS0_20block_scan_algorithmE0ELj4294967295EEENS1_25partition_config_selectorILNS1_17partition_subalgoE4EjNS0_10empty_typeEbEEZZNS1_14partition_implILS8_4ELb0ES6_15HIP_vector_typeIjLj2EENS0_17counting_iteratorIjlEEPS9_SG_NS0_5tupleIJPjSI_NS0_16reverse_iteratorISI_EEEEENSH_IJSG_SG_SG_EEES9_SI_JZNS1_25segmented_radix_sort_implINS0_14default_configELb0EPKbPbPKlPlN2at6native12_GLOBAL__N_18offset_tEEE10hipError_tPvRmT1_PNSt15iterator_traitsIS12_E10value_typeET2_T3_PNS13_IS18_E10value_typeET4_jRbjT5_S1E_jjP12ihipStream_tbEUljE_ZNSN_ISO_Lb0ESQ_SR_ST_SU_SY_EESZ_S10_S11_S12_S16_S17_S18_S1B_S1C_jS1D_jS1E_S1E_jjS1G_bEUljE0_EEESZ_S10_S11_S18_S1C_S1E_T6_T7_T9_mT8_S1G_bDpT10_ENKUlT_T0_E_clISt17integral_constantIbLb0EES1T_IbLb1EEEEDaS1P_S1Q_EUlS1P_E_NS1_11comp_targetILNS1_3genE3ELNS1_11target_archE908ELNS1_3gpuE7ELNS1_3repE0EEENS1_30default_config_static_selectorELNS0_4arch9wavefront6targetE0EEEvS12_.has_recursion, 0
	.set _ZN7rocprim17ROCPRIM_400000_NS6detail17trampoline_kernelINS0_13select_configILj256ELj13ELNS0_17block_load_methodE3ELS4_3ELS4_3ELNS0_20block_scan_algorithmE0ELj4294967295EEENS1_25partition_config_selectorILNS1_17partition_subalgoE4EjNS0_10empty_typeEbEEZZNS1_14partition_implILS8_4ELb0ES6_15HIP_vector_typeIjLj2EENS0_17counting_iteratorIjlEEPS9_SG_NS0_5tupleIJPjSI_NS0_16reverse_iteratorISI_EEEEENSH_IJSG_SG_SG_EEES9_SI_JZNS1_25segmented_radix_sort_implINS0_14default_configELb0EPKbPbPKlPlN2at6native12_GLOBAL__N_18offset_tEEE10hipError_tPvRmT1_PNSt15iterator_traitsIS12_E10value_typeET2_T3_PNS13_IS18_E10value_typeET4_jRbjT5_S1E_jjP12ihipStream_tbEUljE_ZNSN_ISO_Lb0ESQ_SR_ST_SU_SY_EESZ_S10_S11_S12_S16_S17_S18_S1B_S1C_jS1D_jS1E_S1E_jjS1G_bEUljE0_EEESZ_S10_S11_S18_S1C_S1E_T6_T7_T9_mT8_S1G_bDpT10_ENKUlT_T0_E_clISt17integral_constantIbLb0EES1T_IbLb1EEEEDaS1P_S1Q_EUlS1P_E_NS1_11comp_targetILNS1_3genE3ELNS1_11target_archE908ELNS1_3gpuE7ELNS1_3repE0EEENS1_30default_config_static_selectorELNS0_4arch9wavefront6targetE0EEEvS12_.has_indirect_call, 0
	.section	.AMDGPU.csdata,"",@progbits
; Kernel info:
; codeLenInByte = 0
; TotalNumSgprs: 0
; NumVgprs: 0
; ScratchSize: 0
; MemoryBound: 0
; FloatMode: 240
; IeeeMode: 1
; LDSByteSize: 0 bytes/workgroup (compile time only)
; SGPRBlocks: 0
; VGPRBlocks: 0
; NumSGPRsForWavesPerEU: 1
; NumVGPRsForWavesPerEU: 1
; Occupancy: 16
; WaveLimiterHint : 0
; COMPUTE_PGM_RSRC2:SCRATCH_EN: 0
; COMPUTE_PGM_RSRC2:USER_SGPR: 6
; COMPUTE_PGM_RSRC2:TRAP_HANDLER: 0
; COMPUTE_PGM_RSRC2:TGID_X_EN: 1
; COMPUTE_PGM_RSRC2:TGID_Y_EN: 0
; COMPUTE_PGM_RSRC2:TGID_Z_EN: 0
; COMPUTE_PGM_RSRC2:TIDIG_COMP_CNT: 0
	.section	.text._ZN7rocprim17ROCPRIM_400000_NS6detail17trampoline_kernelINS0_13select_configILj256ELj13ELNS0_17block_load_methodE3ELS4_3ELS4_3ELNS0_20block_scan_algorithmE0ELj4294967295EEENS1_25partition_config_selectorILNS1_17partition_subalgoE4EjNS0_10empty_typeEbEEZZNS1_14partition_implILS8_4ELb0ES6_15HIP_vector_typeIjLj2EENS0_17counting_iteratorIjlEEPS9_SG_NS0_5tupleIJPjSI_NS0_16reverse_iteratorISI_EEEEENSH_IJSG_SG_SG_EEES9_SI_JZNS1_25segmented_radix_sort_implINS0_14default_configELb0EPKbPbPKlPlN2at6native12_GLOBAL__N_18offset_tEEE10hipError_tPvRmT1_PNSt15iterator_traitsIS12_E10value_typeET2_T3_PNS13_IS18_E10value_typeET4_jRbjT5_S1E_jjP12ihipStream_tbEUljE_ZNSN_ISO_Lb0ESQ_SR_ST_SU_SY_EESZ_S10_S11_S12_S16_S17_S18_S1B_S1C_jS1D_jS1E_S1E_jjS1G_bEUljE0_EEESZ_S10_S11_S18_S1C_S1E_T6_T7_T9_mT8_S1G_bDpT10_ENKUlT_T0_E_clISt17integral_constantIbLb0EES1T_IbLb1EEEEDaS1P_S1Q_EUlS1P_E_NS1_11comp_targetILNS1_3genE2ELNS1_11target_archE906ELNS1_3gpuE6ELNS1_3repE0EEENS1_30default_config_static_selectorELNS0_4arch9wavefront6targetE0EEEvS12_,"axG",@progbits,_ZN7rocprim17ROCPRIM_400000_NS6detail17trampoline_kernelINS0_13select_configILj256ELj13ELNS0_17block_load_methodE3ELS4_3ELS4_3ELNS0_20block_scan_algorithmE0ELj4294967295EEENS1_25partition_config_selectorILNS1_17partition_subalgoE4EjNS0_10empty_typeEbEEZZNS1_14partition_implILS8_4ELb0ES6_15HIP_vector_typeIjLj2EENS0_17counting_iteratorIjlEEPS9_SG_NS0_5tupleIJPjSI_NS0_16reverse_iteratorISI_EEEEENSH_IJSG_SG_SG_EEES9_SI_JZNS1_25segmented_radix_sort_implINS0_14default_configELb0EPKbPbPKlPlN2at6native12_GLOBAL__N_18offset_tEEE10hipError_tPvRmT1_PNSt15iterator_traitsIS12_E10value_typeET2_T3_PNS13_IS18_E10value_typeET4_jRbjT5_S1E_jjP12ihipStream_tbEUljE_ZNSN_ISO_Lb0ESQ_SR_ST_SU_SY_EESZ_S10_S11_S12_S16_S17_S18_S1B_S1C_jS1D_jS1E_S1E_jjS1G_bEUljE0_EEESZ_S10_S11_S18_S1C_S1E_T6_T7_T9_mT8_S1G_bDpT10_ENKUlT_T0_E_clISt17integral_constantIbLb0EES1T_IbLb1EEEEDaS1P_S1Q_EUlS1P_E_NS1_11comp_targetILNS1_3genE2ELNS1_11target_archE906ELNS1_3gpuE6ELNS1_3repE0EEENS1_30default_config_static_selectorELNS0_4arch9wavefront6targetE0EEEvS12_,comdat
	.globl	_ZN7rocprim17ROCPRIM_400000_NS6detail17trampoline_kernelINS0_13select_configILj256ELj13ELNS0_17block_load_methodE3ELS4_3ELS4_3ELNS0_20block_scan_algorithmE0ELj4294967295EEENS1_25partition_config_selectorILNS1_17partition_subalgoE4EjNS0_10empty_typeEbEEZZNS1_14partition_implILS8_4ELb0ES6_15HIP_vector_typeIjLj2EENS0_17counting_iteratorIjlEEPS9_SG_NS0_5tupleIJPjSI_NS0_16reverse_iteratorISI_EEEEENSH_IJSG_SG_SG_EEES9_SI_JZNS1_25segmented_radix_sort_implINS0_14default_configELb0EPKbPbPKlPlN2at6native12_GLOBAL__N_18offset_tEEE10hipError_tPvRmT1_PNSt15iterator_traitsIS12_E10value_typeET2_T3_PNS13_IS18_E10value_typeET4_jRbjT5_S1E_jjP12ihipStream_tbEUljE_ZNSN_ISO_Lb0ESQ_SR_ST_SU_SY_EESZ_S10_S11_S12_S16_S17_S18_S1B_S1C_jS1D_jS1E_S1E_jjS1G_bEUljE0_EEESZ_S10_S11_S18_S1C_S1E_T6_T7_T9_mT8_S1G_bDpT10_ENKUlT_T0_E_clISt17integral_constantIbLb0EES1T_IbLb1EEEEDaS1P_S1Q_EUlS1P_E_NS1_11comp_targetILNS1_3genE2ELNS1_11target_archE906ELNS1_3gpuE6ELNS1_3repE0EEENS1_30default_config_static_selectorELNS0_4arch9wavefront6targetE0EEEvS12_ ; -- Begin function _ZN7rocprim17ROCPRIM_400000_NS6detail17trampoline_kernelINS0_13select_configILj256ELj13ELNS0_17block_load_methodE3ELS4_3ELS4_3ELNS0_20block_scan_algorithmE0ELj4294967295EEENS1_25partition_config_selectorILNS1_17partition_subalgoE4EjNS0_10empty_typeEbEEZZNS1_14partition_implILS8_4ELb0ES6_15HIP_vector_typeIjLj2EENS0_17counting_iteratorIjlEEPS9_SG_NS0_5tupleIJPjSI_NS0_16reverse_iteratorISI_EEEEENSH_IJSG_SG_SG_EEES9_SI_JZNS1_25segmented_radix_sort_implINS0_14default_configELb0EPKbPbPKlPlN2at6native12_GLOBAL__N_18offset_tEEE10hipError_tPvRmT1_PNSt15iterator_traitsIS12_E10value_typeET2_T3_PNS13_IS18_E10value_typeET4_jRbjT5_S1E_jjP12ihipStream_tbEUljE_ZNSN_ISO_Lb0ESQ_SR_ST_SU_SY_EESZ_S10_S11_S12_S16_S17_S18_S1B_S1C_jS1D_jS1E_S1E_jjS1G_bEUljE0_EEESZ_S10_S11_S18_S1C_S1E_T6_T7_T9_mT8_S1G_bDpT10_ENKUlT_T0_E_clISt17integral_constantIbLb0EES1T_IbLb1EEEEDaS1P_S1Q_EUlS1P_E_NS1_11comp_targetILNS1_3genE2ELNS1_11target_archE906ELNS1_3gpuE6ELNS1_3repE0EEENS1_30default_config_static_selectorELNS0_4arch9wavefront6targetE0EEEvS12_
	.p2align	8
	.type	_ZN7rocprim17ROCPRIM_400000_NS6detail17trampoline_kernelINS0_13select_configILj256ELj13ELNS0_17block_load_methodE3ELS4_3ELS4_3ELNS0_20block_scan_algorithmE0ELj4294967295EEENS1_25partition_config_selectorILNS1_17partition_subalgoE4EjNS0_10empty_typeEbEEZZNS1_14partition_implILS8_4ELb0ES6_15HIP_vector_typeIjLj2EENS0_17counting_iteratorIjlEEPS9_SG_NS0_5tupleIJPjSI_NS0_16reverse_iteratorISI_EEEEENSH_IJSG_SG_SG_EEES9_SI_JZNS1_25segmented_radix_sort_implINS0_14default_configELb0EPKbPbPKlPlN2at6native12_GLOBAL__N_18offset_tEEE10hipError_tPvRmT1_PNSt15iterator_traitsIS12_E10value_typeET2_T3_PNS13_IS18_E10value_typeET4_jRbjT5_S1E_jjP12ihipStream_tbEUljE_ZNSN_ISO_Lb0ESQ_SR_ST_SU_SY_EESZ_S10_S11_S12_S16_S17_S18_S1B_S1C_jS1D_jS1E_S1E_jjS1G_bEUljE0_EEESZ_S10_S11_S18_S1C_S1E_T6_T7_T9_mT8_S1G_bDpT10_ENKUlT_T0_E_clISt17integral_constantIbLb0EES1T_IbLb1EEEEDaS1P_S1Q_EUlS1P_E_NS1_11comp_targetILNS1_3genE2ELNS1_11target_archE906ELNS1_3gpuE6ELNS1_3repE0EEENS1_30default_config_static_selectorELNS0_4arch9wavefront6targetE0EEEvS12_,@function
_ZN7rocprim17ROCPRIM_400000_NS6detail17trampoline_kernelINS0_13select_configILj256ELj13ELNS0_17block_load_methodE3ELS4_3ELS4_3ELNS0_20block_scan_algorithmE0ELj4294967295EEENS1_25partition_config_selectorILNS1_17partition_subalgoE4EjNS0_10empty_typeEbEEZZNS1_14partition_implILS8_4ELb0ES6_15HIP_vector_typeIjLj2EENS0_17counting_iteratorIjlEEPS9_SG_NS0_5tupleIJPjSI_NS0_16reverse_iteratorISI_EEEEENSH_IJSG_SG_SG_EEES9_SI_JZNS1_25segmented_radix_sort_implINS0_14default_configELb0EPKbPbPKlPlN2at6native12_GLOBAL__N_18offset_tEEE10hipError_tPvRmT1_PNSt15iterator_traitsIS12_E10value_typeET2_T3_PNS13_IS18_E10value_typeET4_jRbjT5_S1E_jjP12ihipStream_tbEUljE_ZNSN_ISO_Lb0ESQ_SR_ST_SU_SY_EESZ_S10_S11_S12_S16_S17_S18_S1B_S1C_jS1D_jS1E_S1E_jjS1G_bEUljE0_EEESZ_S10_S11_S18_S1C_S1E_T6_T7_T9_mT8_S1G_bDpT10_ENKUlT_T0_E_clISt17integral_constantIbLb0EES1T_IbLb1EEEEDaS1P_S1Q_EUlS1P_E_NS1_11comp_targetILNS1_3genE2ELNS1_11target_archE906ELNS1_3gpuE6ELNS1_3repE0EEENS1_30default_config_static_selectorELNS0_4arch9wavefront6targetE0EEEvS12_: ; @_ZN7rocprim17ROCPRIM_400000_NS6detail17trampoline_kernelINS0_13select_configILj256ELj13ELNS0_17block_load_methodE3ELS4_3ELS4_3ELNS0_20block_scan_algorithmE0ELj4294967295EEENS1_25partition_config_selectorILNS1_17partition_subalgoE4EjNS0_10empty_typeEbEEZZNS1_14partition_implILS8_4ELb0ES6_15HIP_vector_typeIjLj2EENS0_17counting_iteratorIjlEEPS9_SG_NS0_5tupleIJPjSI_NS0_16reverse_iteratorISI_EEEEENSH_IJSG_SG_SG_EEES9_SI_JZNS1_25segmented_radix_sort_implINS0_14default_configELb0EPKbPbPKlPlN2at6native12_GLOBAL__N_18offset_tEEE10hipError_tPvRmT1_PNSt15iterator_traitsIS12_E10value_typeET2_T3_PNS13_IS18_E10value_typeET4_jRbjT5_S1E_jjP12ihipStream_tbEUljE_ZNSN_ISO_Lb0ESQ_SR_ST_SU_SY_EESZ_S10_S11_S12_S16_S17_S18_S1B_S1C_jS1D_jS1E_S1E_jjS1G_bEUljE0_EEESZ_S10_S11_S18_S1C_S1E_T6_T7_T9_mT8_S1G_bDpT10_ENKUlT_T0_E_clISt17integral_constantIbLb0EES1T_IbLb1EEEEDaS1P_S1Q_EUlS1P_E_NS1_11comp_targetILNS1_3genE2ELNS1_11target_archE906ELNS1_3gpuE6ELNS1_3repE0EEENS1_30default_config_static_selectorELNS0_4arch9wavefront6targetE0EEEvS12_
; %bb.0:
	.section	.rodata,"a",@progbits
	.p2align	6, 0x0
	.amdhsa_kernel _ZN7rocprim17ROCPRIM_400000_NS6detail17trampoline_kernelINS0_13select_configILj256ELj13ELNS0_17block_load_methodE3ELS4_3ELS4_3ELNS0_20block_scan_algorithmE0ELj4294967295EEENS1_25partition_config_selectorILNS1_17partition_subalgoE4EjNS0_10empty_typeEbEEZZNS1_14partition_implILS8_4ELb0ES6_15HIP_vector_typeIjLj2EENS0_17counting_iteratorIjlEEPS9_SG_NS0_5tupleIJPjSI_NS0_16reverse_iteratorISI_EEEEENSH_IJSG_SG_SG_EEES9_SI_JZNS1_25segmented_radix_sort_implINS0_14default_configELb0EPKbPbPKlPlN2at6native12_GLOBAL__N_18offset_tEEE10hipError_tPvRmT1_PNSt15iterator_traitsIS12_E10value_typeET2_T3_PNS13_IS18_E10value_typeET4_jRbjT5_S1E_jjP12ihipStream_tbEUljE_ZNSN_ISO_Lb0ESQ_SR_ST_SU_SY_EESZ_S10_S11_S12_S16_S17_S18_S1B_S1C_jS1D_jS1E_S1E_jjS1G_bEUljE0_EEESZ_S10_S11_S18_S1C_S1E_T6_T7_T9_mT8_S1G_bDpT10_ENKUlT_T0_E_clISt17integral_constantIbLb0EES1T_IbLb1EEEEDaS1P_S1Q_EUlS1P_E_NS1_11comp_targetILNS1_3genE2ELNS1_11target_archE906ELNS1_3gpuE6ELNS1_3repE0EEENS1_30default_config_static_selectorELNS0_4arch9wavefront6targetE0EEEvS12_
		.amdhsa_group_segment_fixed_size 0
		.amdhsa_private_segment_fixed_size 0
		.amdhsa_kernarg_size 184
		.amdhsa_user_sgpr_count 6
		.amdhsa_user_sgpr_private_segment_buffer 1
		.amdhsa_user_sgpr_dispatch_ptr 0
		.amdhsa_user_sgpr_queue_ptr 0
		.amdhsa_user_sgpr_kernarg_segment_ptr 1
		.amdhsa_user_sgpr_dispatch_id 0
		.amdhsa_user_sgpr_flat_scratch_init 0
		.amdhsa_user_sgpr_private_segment_size 0
		.amdhsa_wavefront_size32 1
		.amdhsa_uses_dynamic_stack 0
		.amdhsa_system_sgpr_private_segment_wavefront_offset 0
		.amdhsa_system_sgpr_workgroup_id_x 1
		.amdhsa_system_sgpr_workgroup_id_y 0
		.amdhsa_system_sgpr_workgroup_id_z 0
		.amdhsa_system_sgpr_workgroup_info 0
		.amdhsa_system_vgpr_workitem_id 0
		.amdhsa_next_free_vgpr 1
		.amdhsa_next_free_sgpr 1
		.amdhsa_reserve_vcc 0
		.amdhsa_reserve_flat_scratch 0
		.amdhsa_float_round_mode_32 0
		.amdhsa_float_round_mode_16_64 0
		.amdhsa_float_denorm_mode_32 3
		.amdhsa_float_denorm_mode_16_64 3
		.amdhsa_dx10_clamp 1
		.amdhsa_ieee_mode 1
		.amdhsa_fp16_overflow 0
		.amdhsa_workgroup_processor_mode 1
		.amdhsa_memory_ordered 1
		.amdhsa_forward_progress 1
		.amdhsa_shared_vgpr_count 0
		.amdhsa_exception_fp_ieee_invalid_op 0
		.amdhsa_exception_fp_denorm_src 0
		.amdhsa_exception_fp_ieee_div_zero 0
		.amdhsa_exception_fp_ieee_overflow 0
		.amdhsa_exception_fp_ieee_underflow 0
		.amdhsa_exception_fp_ieee_inexact 0
		.amdhsa_exception_int_div_zero 0
	.end_amdhsa_kernel
	.section	.text._ZN7rocprim17ROCPRIM_400000_NS6detail17trampoline_kernelINS0_13select_configILj256ELj13ELNS0_17block_load_methodE3ELS4_3ELS4_3ELNS0_20block_scan_algorithmE0ELj4294967295EEENS1_25partition_config_selectorILNS1_17partition_subalgoE4EjNS0_10empty_typeEbEEZZNS1_14partition_implILS8_4ELb0ES6_15HIP_vector_typeIjLj2EENS0_17counting_iteratorIjlEEPS9_SG_NS0_5tupleIJPjSI_NS0_16reverse_iteratorISI_EEEEENSH_IJSG_SG_SG_EEES9_SI_JZNS1_25segmented_radix_sort_implINS0_14default_configELb0EPKbPbPKlPlN2at6native12_GLOBAL__N_18offset_tEEE10hipError_tPvRmT1_PNSt15iterator_traitsIS12_E10value_typeET2_T3_PNS13_IS18_E10value_typeET4_jRbjT5_S1E_jjP12ihipStream_tbEUljE_ZNSN_ISO_Lb0ESQ_SR_ST_SU_SY_EESZ_S10_S11_S12_S16_S17_S18_S1B_S1C_jS1D_jS1E_S1E_jjS1G_bEUljE0_EEESZ_S10_S11_S18_S1C_S1E_T6_T7_T9_mT8_S1G_bDpT10_ENKUlT_T0_E_clISt17integral_constantIbLb0EES1T_IbLb1EEEEDaS1P_S1Q_EUlS1P_E_NS1_11comp_targetILNS1_3genE2ELNS1_11target_archE906ELNS1_3gpuE6ELNS1_3repE0EEENS1_30default_config_static_selectorELNS0_4arch9wavefront6targetE0EEEvS12_,"axG",@progbits,_ZN7rocprim17ROCPRIM_400000_NS6detail17trampoline_kernelINS0_13select_configILj256ELj13ELNS0_17block_load_methodE3ELS4_3ELS4_3ELNS0_20block_scan_algorithmE0ELj4294967295EEENS1_25partition_config_selectorILNS1_17partition_subalgoE4EjNS0_10empty_typeEbEEZZNS1_14partition_implILS8_4ELb0ES6_15HIP_vector_typeIjLj2EENS0_17counting_iteratorIjlEEPS9_SG_NS0_5tupleIJPjSI_NS0_16reverse_iteratorISI_EEEEENSH_IJSG_SG_SG_EEES9_SI_JZNS1_25segmented_radix_sort_implINS0_14default_configELb0EPKbPbPKlPlN2at6native12_GLOBAL__N_18offset_tEEE10hipError_tPvRmT1_PNSt15iterator_traitsIS12_E10value_typeET2_T3_PNS13_IS18_E10value_typeET4_jRbjT5_S1E_jjP12ihipStream_tbEUljE_ZNSN_ISO_Lb0ESQ_SR_ST_SU_SY_EESZ_S10_S11_S12_S16_S17_S18_S1B_S1C_jS1D_jS1E_S1E_jjS1G_bEUljE0_EEESZ_S10_S11_S18_S1C_S1E_T6_T7_T9_mT8_S1G_bDpT10_ENKUlT_T0_E_clISt17integral_constantIbLb0EES1T_IbLb1EEEEDaS1P_S1Q_EUlS1P_E_NS1_11comp_targetILNS1_3genE2ELNS1_11target_archE906ELNS1_3gpuE6ELNS1_3repE0EEENS1_30default_config_static_selectorELNS0_4arch9wavefront6targetE0EEEvS12_,comdat
.Lfunc_end1590:
	.size	_ZN7rocprim17ROCPRIM_400000_NS6detail17trampoline_kernelINS0_13select_configILj256ELj13ELNS0_17block_load_methodE3ELS4_3ELS4_3ELNS0_20block_scan_algorithmE0ELj4294967295EEENS1_25partition_config_selectorILNS1_17partition_subalgoE4EjNS0_10empty_typeEbEEZZNS1_14partition_implILS8_4ELb0ES6_15HIP_vector_typeIjLj2EENS0_17counting_iteratorIjlEEPS9_SG_NS0_5tupleIJPjSI_NS0_16reverse_iteratorISI_EEEEENSH_IJSG_SG_SG_EEES9_SI_JZNS1_25segmented_radix_sort_implINS0_14default_configELb0EPKbPbPKlPlN2at6native12_GLOBAL__N_18offset_tEEE10hipError_tPvRmT1_PNSt15iterator_traitsIS12_E10value_typeET2_T3_PNS13_IS18_E10value_typeET4_jRbjT5_S1E_jjP12ihipStream_tbEUljE_ZNSN_ISO_Lb0ESQ_SR_ST_SU_SY_EESZ_S10_S11_S12_S16_S17_S18_S1B_S1C_jS1D_jS1E_S1E_jjS1G_bEUljE0_EEESZ_S10_S11_S18_S1C_S1E_T6_T7_T9_mT8_S1G_bDpT10_ENKUlT_T0_E_clISt17integral_constantIbLb0EES1T_IbLb1EEEEDaS1P_S1Q_EUlS1P_E_NS1_11comp_targetILNS1_3genE2ELNS1_11target_archE906ELNS1_3gpuE6ELNS1_3repE0EEENS1_30default_config_static_selectorELNS0_4arch9wavefront6targetE0EEEvS12_, .Lfunc_end1590-_ZN7rocprim17ROCPRIM_400000_NS6detail17trampoline_kernelINS0_13select_configILj256ELj13ELNS0_17block_load_methodE3ELS4_3ELS4_3ELNS0_20block_scan_algorithmE0ELj4294967295EEENS1_25partition_config_selectorILNS1_17partition_subalgoE4EjNS0_10empty_typeEbEEZZNS1_14partition_implILS8_4ELb0ES6_15HIP_vector_typeIjLj2EENS0_17counting_iteratorIjlEEPS9_SG_NS0_5tupleIJPjSI_NS0_16reverse_iteratorISI_EEEEENSH_IJSG_SG_SG_EEES9_SI_JZNS1_25segmented_radix_sort_implINS0_14default_configELb0EPKbPbPKlPlN2at6native12_GLOBAL__N_18offset_tEEE10hipError_tPvRmT1_PNSt15iterator_traitsIS12_E10value_typeET2_T3_PNS13_IS18_E10value_typeET4_jRbjT5_S1E_jjP12ihipStream_tbEUljE_ZNSN_ISO_Lb0ESQ_SR_ST_SU_SY_EESZ_S10_S11_S12_S16_S17_S18_S1B_S1C_jS1D_jS1E_S1E_jjS1G_bEUljE0_EEESZ_S10_S11_S18_S1C_S1E_T6_T7_T9_mT8_S1G_bDpT10_ENKUlT_T0_E_clISt17integral_constantIbLb0EES1T_IbLb1EEEEDaS1P_S1Q_EUlS1P_E_NS1_11comp_targetILNS1_3genE2ELNS1_11target_archE906ELNS1_3gpuE6ELNS1_3repE0EEENS1_30default_config_static_selectorELNS0_4arch9wavefront6targetE0EEEvS12_
                                        ; -- End function
	.set _ZN7rocprim17ROCPRIM_400000_NS6detail17trampoline_kernelINS0_13select_configILj256ELj13ELNS0_17block_load_methodE3ELS4_3ELS4_3ELNS0_20block_scan_algorithmE0ELj4294967295EEENS1_25partition_config_selectorILNS1_17partition_subalgoE4EjNS0_10empty_typeEbEEZZNS1_14partition_implILS8_4ELb0ES6_15HIP_vector_typeIjLj2EENS0_17counting_iteratorIjlEEPS9_SG_NS0_5tupleIJPjSI_NS0_16reverse_iteratorISI_EEEEENSH_IJSG_SG_SG_EEES9_SI_JZNS1_25segmented_radix_sort_implINS0_14default_configELb0EPKbPbPKlPlN2at6native12_GLOBAL__N_18offset_tEEE10hipError_tPvRmT1_PNSt15iterator_traitsIS12_E10value_typeET2_T3_PNS13_IS18_E10value_typeET4_jRbjT5_S1E_jjP12ihipStream_tbEUljE_ZNSN_ISO_Lb0ESQ_SR_ST_SU_SY_EESZ_S10_S11_S12_S16_S17_S18_S1B_S1C_jS1D_jS1E_S1E_jjS1G_bEUljE0_EEESZ_S10_S11_S18_S1C_S1E_T6_T7_T9_mT8_S1G_bDpT10_ENKUlT_T0_E_clISt17integral_constantIbLb0EES1T_IbLb1EEEEDaS1P_S1Q_EUlS1P_E_NS1_11comp_targetILNS1_3genE2ELNS1_11target_archE906ELNS1_3gpuE6ELNS1_3repE0EEENS1_30default_config_static_selectorELNS0_4arch9wavefront6targetE0EEEvS12_.num_vgpr, 0
	.set _ZN7rocprim17ROCPRIM_400000_NS6detail17trampoline_kernelINS0_13select_configILj256ELj13ELNS0_17block_load_methodE3ELS4_3ELS4_3ELNS0_20block_scan_algorithmE0ELj4294967295EEENS1_25partition_config_selectorILNS1_17partition_subalgoE4EjNS0_10empty_typeEbEEZZNS1_14partition_implILS8_4ELb0ES6_15HIP_vector_typeIjLj2EENS0_17counting_iteratorIjlEEPS9_SG_NS0_5tupleIJPjSI_NS0_16reverse_iteratorISI_EEEEENSH_IJSG_SG_SG_EEES9_SI_JZNS1_25segmented_radix_sort_implINS0_14default_configELb0EPKbPbPKlPlN2at6native12_GLOBAL__N_18offset_tEEE10hipError_tPvRmT1_PNSt15iterator_traitsIS12_E10value_typeET2_T3_PNS13_IS18_E10value_typeET4_jRbjT5_S1E_jjP12ihipStream_tbEUljE_ZNSN_ISO_Lb0ESQ_SR_ST_SU_SY_EESZ_S10_S11_S12_S16_S17_S18_S1B_S1C_jS1D_jS1E_S1E_jjS1G_bEUljE0_EEESZ_S10_S11_S18_S1C_S1E_T6_T7_T9_mT8_S1G_bDpT10_ENKUlT_T0_E_clISt17integral_constantIbLb0EES1T_IbLb1EEEEDaS1P_S1Q_EUlS1P_E_NS1_11comp_targetILNS1_3genE2ELNS1_11target_archE906ELNS1_3gpuE6ELNS1_3repE0EEENS1_30default_config_static_selectorELNS0_4arch9wavefront6targetE0EEEvS12_.num_agpr, 0
	.set _ZN7rocprim17ROCPRIM_400000_NS6detail17trampoline_kernelINS0_13select_configILj256ELj13ELNS0_17block_load_methodE3ELS4_3ELS4_3ELNS0_20block_scan_algorithmE0ELj4294967295EEENS1_25partition_config_selectorILNS1_17partition_subalgoE4EjNS0_10empty_typeEbEEZZNS1_14partition_implILS8_4ELb0ES6_15HIP_vector_typeIjLj2EENS0_17counting_iteratorIjlEEPS9_SG_NS0_5tupleIJPjSI_NS0_16reverse_iteratorISI_EEEEENSH_IJSG_SG_SG_EEES9_SI_JZNS1_25segmented_radix_sort_implINS0_14default_configELb0EPKbPbPKlPlN2at6native12_GLOBAL__N_18offset_tEEE10hipError_tPvRmT1_PNSt15iterator_traitsIS12_E10value_typeET2_T3_PNS13_IS18_E10value_typeET4_jRbjT5_S1E_jjP12ihipStream_tbEUljE_ZNSN_ISO_Lb0ESQ_SR_ST_SU_SY_EESZ_S10_S11_S12_S16_S17_S18_S1B_S1C_jS1D_jS1E_S1E_jjS1G_bEUljE0_EEESZ_S10_S11_S18_S1C_S1E_T6_T7_T9_mT8_S1G_bDpT10_ENKUlT_T0_E_clISt17integral_constantIbLb0EES1T_IbLb1EEEEDaS1P_S1Q_EUlS1P_E_NS1_11comp_targetILNS1_3genE2ELNS1_11target_archE906ELNS1_3gpuE6ELNS1_3repE0EEENS1_30default_config_static_selectorELNS0_4arch9wavefront6targetE0EEEvS12_.numbered_sgpr, 0
	.set _ZN7rocprim17ROCPRIM_400000_NS6detail17trampoline_kernelINS0_13select_configILj256ELj13ELNS0_17block_load_methodE3ELS4_3ELS4_3ELNS0_20block_scan_algorithmE0ELj4294967295EEENS1_25partition_config_selectorILNS1_17partition_subalgoE4EjNS0_10empty_typeEbEEZZNS1_14partition_implILS8_4ELb0ES6_15HIP_vector_typeIjLj2EENS0_17counting_iteratorIjlEEPS9_SG_NS0_5tupleIJPjSI_NS0_16reverse_iteratorISI_EEEEENSH_IJSG_SG_SG_EEES9_SI_JZNS1_25segmented_radix_sort_implINS0_14default_configELb0EPKbPbPKlPlN2at6native12_GLOBAL__N_18offset_tEEE10hipError_tPvRmT1_PNSt15iterator_traitsIS12_E10value_typeET2_T3_PNS13_IS18_E10value_typeET4_jRbjT5_S1E_jjP12ihipStream_tbEUljE_ZNSN_ISO_Lb0ESQ_SR_ST_SU_SY_EESZ_S10_S11_S12_S16_S17_S18_S1B_S1C_jS1D_jS1E_S1E_jjS1G_bEUljE0_EEESZ_S10_S11_S18_S1C_S1E_T6_T7_T9_mT8_S1G_bDpT10_ENKUlT_T0_E_clISt17integral_constantIbLb0EES1T_IbLb1EEEEDaS1P_S1Q_EUlS1P_E_NS1_11comp_targetILNS1_3genE2ELNS1_11target_archE906ELNS1_3gpuE6ELNS1_3repE0EEENS1_30default_config_static_selectorELNS0_4arch9wavefront6targetE0EEEvS12_.num_named_barrier, 0
	.set _ZN7rocprim17ROCPRIM_400000_NS6detail17trampoline_kernelINS0_13select_configILj256ELj13ELNS0_17block_load_methodE3ELS4_3ELS4_3ELNS0_20block_scan_algorithmE0ELj4294967295EEENS1_25partition_config_selectorILNS1_17partition_subalgoE4EjNS0_10empty_typeEbEEZZNS1_14partition_implILS8_4ELb0ES6_15HIP_vector_typeIjLj2EENS0_17counting_iteratorIjlEEPS9_SG_NS0_5tupleIJPjSI_NS0_16reverse_iteratorISI_EEEEENSH_IJSG_SG_SG_EEES9_SI_JZNS1_25segmented_radix_sort_implINS0_14default_configELb0EPKbPbPKlPlN2at6native12_GLOBAL__N_18offset_tEEE10hipError_tPvRmT1_PNSt15iterator_traitsIS12_E10value_typeET2_T3_PNS13_IS18_E10value_typeET4_jRbjT5_S1E_jjP12ihipStream_tbEUljE_ZNSN_ISO_Lb0ESQ_SR_ST_SU_SY_EESZ_S10_S11_S12_S16_S17_S18_S1B_S1C_jS1D_jS1E_S1E_jjS1G_bEUljE0_EEESZ_S10_S11_S18_S1C_S1E_T6_T7_T9_mT8_S1G_bDpT10_ENKUlT_T0_E_clISt17integral_constantIbLb0EES1T_IbLb1EEEEDaS1P_S1Q_EUlS1P_E_NS1_11comp_targetILNS1_3genE2ELNS1_11target_archE906ELNS1_3gpuE6ELNS1_3repE0EEENS1_30default_config_static_selectorELNS0_4arch9wavefront6targetE0EEEvS12_.private_seg_size, 0
	.set _ZN7rocprim17ROCPRIM_400000_NS6detail17trampoline_kernelINS0_13select_configILj256ELj13ELNS0_17block_load_methodE3ELS4_3ELS4_3ELNS0_20block_scan_algorithmE0ELj4294967295EEENS1_25partition_config_selectorILNS1_17partition_subalgoE4EjNS0_10empty_typeEbEEZZNS1_14partition_implILS8_4ELb0ES6_15HIP_vector_typeIjLj2EENS0_17counting_iteratorIjlEEPS9_SG_NS0_5tupleIJPjSI_NS0_16reverse_iteratorISI_EEEEENSH_IJSG_SG_SG_EEES9_SI_JZNS1_25segmented_radix_sort_implINS0_14default_configELb0EPKbPbPKlPlN2at6native12_GLOBAL__N_18offset_tEEE10hipError_tPvRmT1_PNSt15iterator_traitsIS12_E10value_typeET2_T3_PNS13_IS18_E10value_typeET4_jRbjT5_S1E_jjP12ihipStream_tbEUljE_ZNSN_ISO_Lb0ESQ_SR_ST_SU_SY_EESZ_S10_S11_S12_S16_S17_S18_S1B_S1C_jS1D_jS1E_S1E_jjS1G_bEUljE0_EEESZ_S10_S11_S18_S1C_S1E_T6_T7_T9_mT8_S1G_bDpT10_ENKUlT_T0_E_clISt17integral_constantIbLb0EES1T_IbLb1EEEEDaS1P_S1Q_EUlS1P_E_NS1_11comp_targetILNS1_3genE2ELNS1_11target_archE906ELNS1_3gpuE6ELNS1_3repE0EEENS1_30default_config_static_selectorELNS0_4arch9wavefront6targetE0EEEvS12_.uses_vcc, 0
	.set _ZN7rocprim17ROCPRIM_400000_NS6detail17trampoline_kernelINS0_13select_configILj256ELj13ELNS0_17block_load_methodE3ELS4_3ELS4_3ELNS0_20block_scan_algorithmE0ELj4294967295EEENS1_25partition_config_selectorILNS1_17partition_subalgoE4EjNS0_10empty_typeEbEEZZNS1_14partition_implILS8_4ELb0ES6_15HIP_vector_typeIjLj2EENS0_17counting_iteratorIjlEEPS9_SG_NS0_5tupleIJPjSI_NS0_16reverse_iteratorISI_EEEEENSH_IJSG_SG_SG_EEES9_SI_JZNS1_25segmented_radix_sort_implINS0_14default_configELb0EPKbPbPKlPlN2at6native12_GLOBAL__N_18offset_tEEE10hipError_tPvRmT1_PNSt15iterator_traitsIS12_E10value_typeET2_T3_PNS13_IS18_E10value_typeET4_jRbjT5_S1E_jjP12ihipStream_tbEUljE_ZNSN_ISO_Lb0ESQ_SR_ST_SU_SY_EESZ_S10_S11_S12_S16_S17_S18_S1B_S1C_jS1D_jS1E_S1E_jjS1G_bEUljE0_EEESZ_S10_S11_S18_S1C_S1E_T6_T7_T9_mT8_S1G_bDpT10_ENKUlT_T0_E_clISt17integral_constantIbLb0EES1T_IbLb1EEEEDaS1P_S1Q_EUlS1P_E_NS1_11comp_targetILNS1_3genE2ELNS1_11target_archE906ELNS1_3gpuE6ELNS1_3repE0EEENS1_30default_config_static_selectorELNS0_4arch9wavefront6targetE0EEEvS12_.uses_flat_scratch, 0
	.set _ZN7rocprim17ROCPRIM_400000_NS6detail17trampoline_kernelINS0_13select_configILj256ELj13ELNS0_17block_load_methodE3ELS4_3ELS4_3ELNS0_20block_scan_algorithmE0ELj4294967295EEENS1_25partition_config_selectorILNS1_17partition_subalgoE4EjNS0_10empty_typeEbEEZZNS1_14partition_implILS8_4ELb0ES6_15HIP_vector_typeIjLj2EENS0_17counting_iteratorIjlEEPS9_SG_NS0_5tupleIJPjSI_NS0_16reverse_iteratorISI_EEEEENSH_IJSG_SG_SG_EEES9_SI_JZNS1_25segmented_radix_sort_implINS0_14default_configELb0EPKbPbPKlPlN2at6native12_GLOBAL__N_18offset_tEEE10hipError_tPvRmT1_PNSt15iterator_traitsIS12_E10value_typeET2_T3_PNS13_IS18_E10value_typeET4_jRbjT5_S1E_jjP12ihipStream_tbEUljE_ZNSN_ISO_Lb0ESQ_SR_ST_SU_SY_EESZ_S10_S11_S12_S16_S17_S18_S1B_S1C_jS1D_jS1E_S1E_jjS1G_bEUljE0_EEESZ_S10_S11_S18_S1C_S1E_T6_T7_T9_mT8_S1G_bDpT10_ENKUlT_T0_E_clISt17integral_constantIbLb0EES1T_IbLb1EEEEDaS1P_S1Q_EUlS1P_E_NS1_11comp_targetILNS1_3genE2ELNS1_11target_archE906ELNS1_3gpuE6ELNS1_3repE0EEENS1_30default_config_static_selectorELNS0_4arch9wavefront6targetE0EEEvS12_.has_dyn_sized_stack, 0
	.set _ZN7rocprim17ROCPRIM_400000_NS6detail17trampoline_kernelINS0_13select_configILj256ELj13ELNS0_17block_load_methodE3ELS4_3ELS4_3ELNS0_20block_scan_algorithmE0ELj4294967295EEENS1_25partition_config_selectorILNS1_17partition_subalgoE4EjNS0_10empty_typeEbEEZZNS1_14partition_implILS8_4ELb0ES6_15HIP_vector_typeIjLj2EENS0_17counting_iteratorIjlEEPS9_SG_NS0_5tupleIJPjSI_NS0_16reverse_iteratorISI_EEEEENSH_IJSG_SG_SG_EEES9_SI_JZNS1_25segmented_radix_sort_implINS0_14default_configELb0EPKbPbPKlPlN2at6native12_GLOBAL__N_18offset_tEEE10hipError_tPvRmT1_PNSt15iterator_traitsIS12_E10value_typeET2_T3_PNS13_IS18_E10value_typeET4_jRbjT5_S1E_jjP12ihipStream_tbEUljE_ZNSN_ISO_Lb0ESQ_SR_ST_SU_SY_EESZ_S10_S11_S12_S16_S17_S18_S1B_S1C_jS1D_jS1E_S1E_jjS1G_bEUljE0_EEESZ_S10_S11_S18_S1C_S1E_T6_T7_T9_mT8_S1G_bDpT10_ENKUlT_T0_E_clISt17integral_constantIbLb0EES1T_IbLb1EEEEDaS1P_S1Q_EUlS1P_E_NS1_11comp_targetILNS1_3genE2ELNS1_11target_archE906ELNS1_3gpuE6ELNS1_3repE0EEENS1_30default_config_static_selectorELNS0_4arch9wavefront6targetE0EEEvS12_.has_recursion, 0
	.set _ZN7rocprim17ROCPRIM_400000_NS6detail17trampoline_kernelINS0_13select_configILj256ELj13ELNS0_17block_load_methodE3ELS4_3ELS4_3ELNS0_20block_scan_algorithmE0ELj4294967295EEENS1_25partition_config_selectorILNS1_17partition_subalgoE4EjNS0_10empty_typeEbEEZZNS1_14partition_implILS8_4ELb0ES6_15HIP_vector_typeIjLj2EENS0_17counting_iteratorIjlEEPS9_SG_NS0_5tupleIJPjSI_NS0_16reverse_iteratorISI_EEEEENSH_IJSG_SG_SG_EEES9_SI_JZNS1_25segmented_radix_sort_implINS0_14default_configELb0EPKbPbPKlPlN2at6native12_GLOBAL__N_18offset_tEEE10hipError_tPvRmT1_PNSt15iterator_traitsIS12_E10value_typeET2_T3_PNS13_IS18_E10value_typeET4_jRbjT5_S1E_jjP12ihipStream_tbEUljE_ZNSN_ISO_Lb0ESQ_SR_ST_SU_SY_EESZ_S10_S11_S12_S16_S17_S18_S1B_S1C_jS1D_jS1E_S1E_jjS1G_bEUljE0_EEESZ_S10_S11_S18_S1C_S1E_T6_T7_T9_mT8_S1G_bDpT10_ENKUlT_T0_E_clISt17integral_constantIbLb0EES1T_IbLb1EEEEDaS1P_S1Q_EUlS1P_E_NS1_11comp_targetILNS1_3genE2ELNS1_11target_archE906ELNS1_3gpuE6ELNS1_3repE0EEENS1_30default_config_static_selectorELNS0_4arch9wavefront6targetE0EEEvS12_.has_indirect_call, 0
	.section	.AMDGPU.csdata,"",@progbits
; Kernel info:
; codeLenInByte = 0
; TotalNumSgprs: 0
; NumVgprs: 0
; ScratchSize: 0
; MemoryBound: 0
; FloatMode: 240
; IeeeMode: 1
; LDSByteSize: 0 bytes/workgroup (compile time only)
; SGPRBlocks: 0
; VGPRBlocks: 0
; NumSGPRsForWavesPerEU: 1
; NumVGPRsForWavesPerEU: 1
; Occupancy: 16
; WaveLimiterHint : 0
; COMPUTE_PGM_RSRC2:SCRATCH_EN: 0
; COMPUTE_PGM_RSRC2:USER_SGPR: 6
; COMPUTE_PGM_RSRC2:TRAP_HANDLER: 0
; COMPUTE_PGM_RSRC2:TGID_X_EN: 1
; COMPUTE_PGM_RSRC2:TGID_Y_EN: 0
; COMPUTE_PGM_RSRC2:TGID_Z_EN: 0
; COMPUTE_PGM_RSRC2:TIDIG_COMP_CNT: 0
	.section	.text._ZN7rocprim17ROCPRIM_400000_NS6detail17trampoline_kernelINS0_13select_configILj256ELj13ELNS0_17block_load_methodE3ELS4_3ELS4_3ELNS0_20block_scan_algorithmE0ELj4294967295EEENS1_25partition_config_selectorILNS1_17partition_subalgoE4EjNS0_10empty_typeEbEEZZNS1_14partition_implILS8_4ELb0ES6_15HIP_vector_typeIjLj2EENS0_17counting_iteratorIjlEEPS9_SG_NS0_5tupleIJPjSI_NS0_16reverse_iteratorISI_EEEEENSH_IJSG_SG_SG_EEES9_SI_JZNS1_25segmented_radix_sort_implINS0_14default_configELb0EPKbPbPKlPlN2at6native12_GLOBAL__N_18offset_tEEE10hipError_tPvRmT1_PNSt15iterator_traitsIS12_E10value_typeET2_T3_PNS13_IS18_E10value_typeET4_jRbjT5_S1E_jjP12ihipStream_tbEUljE_ZNSN_ISO_Lb0ESQ_SR_ST_SU_SY_EESZ_S10_S11_S12_S16_S17_S18_S1B_S1C_jS1D_jS1E_S1E_jjS1G_bEUljE0_EEESZ_S10_S11_S18_S1C_S1E_T6_T7_T9_mT8_S1G_bDpT10_ENKUlT_T0_E_clISt17integral_constantIbLb0EES1T_IbLb1EEEEDaS1P_S1Q_EUlS1P_E_NS1_11comp_targetILNS1_3genE10ELNS1_11target_archE1200ELNS1_3gpuE4ELNS1_3repE0EEENS1_30default_config_static_selectorELNS0_4arch9wavefront6targetE0EEEvS12_,"axG",@progbits,_ZN7rocprim17ROCPRIM_400000_NS6detail17trampoline_kernelINS0_13select_configILj256ELj13ELNS0_17block_load_methodE3ELS4_3ELS4_3ELNS0_20block_scan_algorithmE0ELj4294967295EEENS1_25partition_config_selectorILNS1_17partition_subalgoE4EjNS0_10empty_typeEbEEZZNS1_14partition_implILS8_4ELb0ES6_15HIP_vector_typeIjLj2EENS0_17counting_iteratorIjlEEPS9_SG_NS0_5tupleIJPjSI_NS0_16reverse_iteratorISI_EEEEENSH_IJSG_SG_SG_EEES9_SI_JZNS1_25segmented_radix_sort_implINS0_14default_configELb0EPKbPbPKlPlN2at6native12_GLOBAL__N_18offset_tEEE10hipError_tPvRmT1_PNSt15iterator_traitsIS12_E10value_typeET2_T3_PNS13_IS18_E10value_typeET4_jRbjT5_S1E_jjP12ihipStream_tbEUljE_ZNSN_ISO_Lb0ESQ_SR_ST_SU_SY_EESZ_S10_S11_S12_S16_S17_S18_S1B_S1C_jS1D_jS1E_S1E_jjS1G_bEUljE0_EEESZ_S10_S11_S18_S1C_S1E_T6_T7_T9_mT8_S1G_bDpT10_ENKUlT_T0_E_clISt17integral_constantIbLb0EES1T_IbLb1EEEEDaS1P_S1Q_EUlS1P_E_NS1_11comp_targetILNS1_3genE10ELNS1_11target_archE1200ELNS1_3gpuE4ELNS1_3repE0EEENS1_30default_config_static_selectorELNS0_4arch9wavefront6targetE0EEEvS12_,comdat
	.globl	_ZN7rocprim17ROCPRIM_400000_NS6detail17trampoline_kernelINS0_13select_configILj256ELj13ELNS0_17block_load_methodE3ELS4_3ELS4_3ELNS0_20block_scan_algorithmE0ELj4294967295EEENS1_25partition_config_selectorILNS1_17partition_subalgoE4EjNS0_10empty_typeEbEEZZNS1_14partition_implILS8_4ELb0ES6_15HIP_vector_typeIjLj2EENS0_17counting_iteratorIjlEEPS9_SG_NS0_5tupleIJPjSI_NS0_16reverse_iteratorISI_EEEEENSH_IJSG_SG_SG_EEES9_SI_JZNS1_25segmented_radix_sort_implINS0_14default_configELb0EPKbPbPKlPlN2at6native12_GLOBAL__N_18offset_tEEE10hipError_tPvRmT1_PNSt15iterator_traitsIS12_E10value_typeET2_T3_PNS13_IS18_E10value_typeET4_jRbjT5_S1E_jjP12ihipStream_tbEUljE_ZNSN_ISO_Lb0ESQ_SR_ST_SU_SY_EESZ_S10_S11_S12_S16_S17_S18_S1B_S1C_jS1D_jS1E_S1E_jjS1G_bEUljE0_EEESZ_S10_S11_S18_S1C_S1E_T6_T7_T9_mT8_S1G_bDpT10_ENKUlT_T0_E_clISt17integral_constantIbLb0EES1T_IbLb1EEEEDaS1P_S1Q_EUlS1P_E_NS1_11comp_targetILNS1_3genE10ELNS1_11target_archE1200ELNS1_3gpuE4ELNS1_3repE0EEENS1_30default_config_static_selectorELNS0_4arch9wavefront6targetE0EEEvS12_ ; -- Begin function _ZN7rocprim17ROCPRIM_400000_NS6detail17trampoline_kernelINS0_13select_configILj256ELj13ELNS0_17block_load_methodE3ELS4_3ELS4_3ELNS0_20block_scan_algorithmE0ELj4294967295EEENS1_25partition_config_selectorILNS1_17partition_subalgoE4EjNS0_10empty_typeEbEEZZNS1_14partition_implILS8_4ELb0ES6_15HIP_vector_typeIjLj2EENS0_17counting_iteratorIjlEEPS9_SG_NS0_5tupleIJPjSI_NS0_16reverse_iteratorISI_EEEEENSH_IJSG_SG_SG_EEES9_SI_JZNS1_25segmented_radix_sort_implINS0_14default_configELb0EPKbPbPKlPlN2at6native12_GLOBAL__N_18offset_tEEE10hipError_tPvRmT1_PNSt15iterator_traitsIS12_E10value_typeET2_T3_PNS13_IS18_E10value_typeET4_jRbjT5_S1E_jjP12ihipStream_tbEUljE_ZNSN_ISO_Lb0ESQ_SR_ST_SU_SY_EESZ_S10_S11_S12_S16_S17_S18_S1B_S1C_jS1D_jS1E_S1E_jjS1G_bEUljE0_EEESZ_S10_S11_S18_S1C_S1E_T6_T7_T9_mT8_S1G_bDpT10_ENKUlT_T0_E_clISt17integral_constantIbLb0EES1T_IbLb1EEEEDaS1P_S1Q_EUlS1P_E_NS1_11comp_targetILNS1_3genE10ELNS1_11target_archE1200ELNS1_3gpuE4ELNS1_3repE0EEENS1_30default_config_static_selectorELNS0_4arch9wavefront6targetE0EEEvS12_
	.p2align	8
	.type	_ZN7rocprim17ROCPRIM_400000_NS6detail17trampoline_kernelINS0_13select_configILj256ELj13ELNS0_17block_load_methodE3ELS4_3ELS4_3ELNS0_20block_scan_algorithmE0ELj4294967295EEENS1_25partition_config_selectorILNS1_17partition_subalgoE4EjNS0_10empty_typeEbEEZZNS1_14partition_implILS8_4ELb0ES6_15HIP_vector_typeIjLj2EENS0_17counting_iteratorIjlEEPS9_SG_NS0_5tupleIJPjSI_NS0_16reverse_iteratorISI_EEEEENSH_IJSG_SG_SG_EEES9_SI_JZNS1_25segmented_radix_sort_implINS0_14default_configELb0EPKbPbPKlPlN2at6native12_GLOBAL__N_18offset_tEEE10hipError_tPvRmT1_PNSt15iterator_traitsIS12_E10value_typeET2_T3_PNS13_IS18_E10value_typeET4_jRbjT5_S1E_jjP12ihipStream_tbEUljE_ZNSN_ISO_Lb0ESQ_SR_ST_SU_SY_EESZ_S10_S11_S12_S16_S17_S18_S1B_S1C_jS1D_jS1E_S1E_jjS1G_bEUljE0_EEESZ_S10_S11_S18_S1C_S1E_T6_T7_T9_mT8_S1G_bDpT10_ENKUlT_T0_E_clISt17integral_constantIbLb0EES1T_IbLb1EEEEDaS1P_S1Q_EUlS1P_E_NS1_11comp_targetILNS1_3genE10ELNS1_11target_archE1200ELNS1_3gpuE4ELNS1_3repE0EEENS1_30default_config_static_selectorELNS0_4arch9wavefront6targetE0EEEvS12_,@function
_ZN7rocprim17ROCPRIM_400000_NS6detail17trampoline_kernelINS0_13select_configILj256ELj13ELNS0_17block_load_methodE3ELS4_3ELS4_3ELNS0_20block_scan_algorithmE0ELj4294967295EEENS1_25partition_config_selectorILNS1_17partition_subalgoE4EjNS0_10empty_typeEbEEZZNS1_14partition_implILS8_4ELb0ES6_15HIP_vector_typeIjLj2EENS0_17counting_iteratorIjlEEPS9_SG_NS0_5tupleIJPjSI_NS0_16reverse_iteratorISI_EEEEENSH_IJSG_SG_SG_EEES9_SI_JZNS1_25segmented_radix_sort_implINS0_14default_configELb0EPKbPbPKlPlN2at6native12_GLOBAL__N_18offset_tEEE10hipError_tPvRmT1_PNSt15iterator_traitsIS12_E10value_typeET2_T3_PNS13_IS18_E10value_typeET4_jRbjT5_S1E_jjP12ihipStream_tbEUljE_ZNSN_ISO_Lb0ESQ_SR_ST_SU_SY_EESZ_S10_S11_S12_S16_S17_S18_S1B_S1C_jS1D_jS1E_S1E_jjS1G_bEUljE0_EEESZ_S10_S11_S18_S1C_S1E_T6_T7_T9_mT8_S1G_bDpT10_ENKUlT_T0_E_clISt17integral_constantIbLb0EES1T_IbLb1EEEEDaS1P_S1Q_EUlS1P_E_NS1_11comp_targetILNS1_3genE10ELNS1_11target_archE1200ELNS1_3gpuE4ELNS1_3repE0EEENS1_30default_config_static_selectorELNS0_4arch9wavefront6targetE0EEEvS12_: ; @_ZN7rocprim17ROCPRIM_400000_NS6detail17trampoline_kernelINS0_13select_configILj256ELj13ELNS0_17block_load_methodE3ELS4_3ELS4_3ELNS0_20block_scan_algorithmE0ELj4294967295EEENS1_25partition_config_selectorILNS1_17partition_subalgoE4EjNS0_10empty_typeEbEEZZNS1_14partition_implILS8_4ELb0ES6_15HIP_vector_typeIjLj2EENS0_17counting_iteratorIjlEEPS9_SG_NS0_5tupleIJPjSI_NS0_16reverse_iteratorISI_EEEEENSH_IJSG_SG_SG_EEES9_SI_JZNS1_25segmented_radix_sort_implINS0_14default_configELb0EPKbPbPKlPlN2at6native12_GLOBAL__N_18offset_tEEE10hipError_tPvRmT1_PNSt15iterator_traitsIS12_E10value_typeET2_T3_PNS13_IS18_E10value_typeET4_jRbjT5_S1E_jjP12ihipStream_tbEUljE_ZNSN_ISO_Lb0ESQ_SR_ST_SU_SY_EESZ_S10_S11_S12_S16_S17_S18_S1B_S1C_jS1D_jS1E_S1E_jjS1G_bEUljE0_EEESZ_S10_S11_S18_S1C_S1E_T6_T7_T9_mT8_S1G_bDpT10_ENKUlT_T0_E_clISt17integral_constantIbLb0EES1T_IbLb1EEEEDaS1P_S1Q_EUlS1P_E_NS1_11comp_targetILNS1_3genE10ELNS1_11target_archE1200ELNS1_3gpuE4ELNS1_3repE0EEENS1_30default_config_static_selectorELNS0_4arch9wavefront6targetE0EEEvS12_
; %bb.0:
	.section	.rodata,"a",@progbits
	.p2align	6, 0x0
	.amdhsa_kernel _ZN7rocprim17ROCPRIM_400000_NS6detail17trampoline_kernelINS0_13select_configILj256ELj13ELNS0_17block_load_methodE3ELS4_3ELS4_3ELNS0_20block_scan_algorithmE0ELj4294967295EEENS1_25partition_config_selectorILNS1_17partition_subalgoE4EjNS0_10empty_typeEbEEZZNS1_14partition_implILS8_4ELb0ES6_15HIP_vector_typeIjLj2EENS0_17counting_iteratorIjlEEPS9_SG_NS0_5tupleIJPjSI_NS0_16reverse_iteratorISI_EEEEENSH_IJSG_SG_SG_EEES9_SI_JZNS1_25segmented_radix_sort_implINS0_14default_configELb0EPKbPbPKlPlN2at6native12_GLOBAL__N_18offset_tEEE10hipError_tPvRmT1_PNSt15iterator_traitsIS12_E10value_typeET2_T3_PNS13_IS18_E10value_typeET4_jRbjT5_S1E_jjP12ihipStream_tbEUljE_ZNSN_ISO_Lb0ESQ_SR_ST_SU_SY_EESZ_S10_S11_S12_S16_S17_S18_S1B_S1C_jS1D_jS1E_S1E_jjS1G_bEUljE0_EEESZ_S10_S11_S18_S1C_S1E_T6_T7_T9_mT8_S1G_bDpT10_ENKUlT_T0_E_clISt17integral_constantIbLb0EES1T_IbLb1EEEEDaS1P_S1Q_EUlS1P_E_NS1_11comp_targetILNS1_3genE10ELNS1_11target_archE1200ELNS1_3gpuE4ELNS1_3repE0EEENS1_30default_config_static_selectorELNS0_4arch9wavefront6targetE0EEEvS12_
		.amdhsa_group_segment_fixed_size 0
		.amdhsa_private_segment_fixed_size 0
		.amdhsa_kernarg_size 184
		.amdhsa_user_sgpr_count 6
		.amdhsa_user_sgpr_private_segment_buffer 1
		.amdhsa_user_sgpr_dispatch_ptr 0
		.amdhsa_user_sgpr_queue_ptr 0
		.amdhsa_user_sgpr_kernarg_segment_ptr 1
		.amdhsa_user_sgpr_dispatch_id 0
		.amdhsa_user_sgpr_flat_scratch_init 0
		.amdhsa_user_sgpr_private_segment_size 0
		.amdhsa_wavefront_size32 1
		.amdhsa_uses_dynamic_stack 0
		.amdhsa_system_sgpr_private_segment_wavefront_offset 0
		.amdhsa_system_sgpr_workgroup_id_x 1
		.amdhsa_system_sgpr_workgroup_id_y 0
		.amdhsa_system_sgpr_workgroup_id_z 0
		.amdhsa_system_sgpr_workgroup_info 0
		.amdhsa_system_vgpr_workitem_id 0
		.amdhsa_next_free_vgpr 1
		.amdhsa_next_free_sgpr 1
		.amdhsa_reserve_vcc 0
		.amdhsa_reserve_flat_scratch 0
		.amdhsa_float_round_mode_32 0
		.amdhsa_float_round_mode_16_64 0
		.amdhsa_float_denorm_mode_32 3
		.amdhsa_float_denorm_mode_16_64 3
		.amdhsa_dx10_clamp 1
		.amdhsa_ieee_mode 1
		.amdhsa_fp16_overflow 0
		.amdhsa_workgroup_processor_mode 1
		.amdhsa_memory_ordered 1
		.amdhsa_forward_progress 1
		.amdhsa_shared_vgpr_count 0
		.amdhsa_exception_fp_ieee_invalid_op 0
		.amdhsa_exception_fp_denorm_src 0
		.amdhsa_exception_fp_ieee_div_zero 0
		.amdhsa_exception_fp_ieee_overflow 0
		.amdhsa_exception_fp_ieee_underflow 0
		.amdhsa_exception_fp_ieee_inexact 0
		.amdhsa_exception_int_div_zero 0
	.end_amdhsa_kernel
	.section	.text._ZN7rocprim17ROCPRIM_400000_NS6detail17trampoline_kernelINS0_13select_configILj256ELj13ELNS0_17block_load_methodE3ELS4_3ELS4_3ELNS0_20block_scan_algorithmE0ELj4294967295EEENS1_25partition_config_selectorILNS1_17partition_subalgoE4EjNS0_10empty_typeEbEEZZNS1_14partition_implILS8_4ELb0ES6_15HIP_vector_typeIjLj2EENS0_17counting_iteratorIjlEEPS9_SG_NS0_5tupleIJPjSI_NS0_16reverse_iteratorISI_EEEEENSH_IJSG_SG_SG_EEES9_SI_JZNS1_25segmented_radix_sort_implINS0_14default_configELb0EPKbPbPKlPlN2at6native12_GLOBAL__N_18offset_tEEE10hipError_tPvRmT1_PNSt15iterator_traitsIS12_E10value_typeET2_T3_PNS13_IS18_E10value_typeET4_jRbjT5_S1E_jjP12ihipStream_tbEUljE_ZNSN_ISO_Lb0ESQ_SR_ST_SU_SY_EESZ_S10_S11_S12_S16_S17_S18_S1B_S1C_jS1D_jS1E_S1E_jjS1G_bEUljE0_EEESZ_S10_S11_S18_S1C_S1E_T6_T7_T9_mT8_S1G_bDpT10_ENKUlT_T0_E_clISt17integral_constantIbLb0EES1T_IbLb1EEEEDaS1P_S1Q_EUlS1P_E_NS1_11comp_targetILNS1_3genE10ELNS1_11target_archE1200ELNS1_3gpuE4ELNS1_3repE0EEENS1_30default_config_static_selectorELNS0_4arch9wavefront6targetE0EEEvS12_,"axG",@progbits,_ZN7rocprim17ROCPRIM_400000_NS6detail17trampoline_kernelINS0_13select_configILj256ELj13ELNS0_17block_load_methodE3ELS4_3ELS4_3ELNS0_20block_scan_algorithmE0ELj4294967295EEENS1_25partition_config_selectorILNS1_17partition_subalgoE4EjNS0_10empty_typeEbEEZZNS1_14partition_implILS8_4ELb0ES6_15HIP_vector_typeIjLj2EENS0_17counting_iteratorIjlEEPS9_SG_NS0_5tupleIJPjSI_NS0_16reverse_iteratorISI_EEEEENSH_IJSG_SG_SG_EEES9_SI_JZNS1_25segmented_radix_sort_implINS0_14default_configELb0EPKbPbPKlPlN2at6native12_GLOBAL__N_18offset_tEEE10hipError_tPvRmT1_PNSt15iterator_traitsIS12_E10value_typeET2_T3_PNS13_IS18_E10value_typeET4_jRbjT5_S1E_jjP12ihipStream_tbEUljE_ZNSN_ISO_Lb0ESQ_SR_ST_SU_SY_EESZ_S10_S11_S12_S16_S17_S18_S1B_S1C_jS1D_jS1E_S1E_jjS1G_bEUljE0_EEESZ_S10_S11_S18_S1C_S1E_T6_T7_T9_mT8_S1G_bDpT10_ENKUlT_T0_E_clISt17integral_constantIbLb0EES1T_IbLb1EEEEDaS1P_S1Q_EUlS1P_E_NS1_11comp_targetILNS1_3genE10ELNS1_11target_archE1200ELNS1_3gpuE4ELNS1_3repE0EEENS1_30default_config_static_selectorELNS0_4arch9wavefront6targetE0EEEvS12_,comdat
.Lfunc_end1591:
	.size	_ZN7rocprim17ROCPRIM_400000_NS6detail17trampoline_kernelINS0_13select_configILj256ELj13ELNS0_17block_load_methodE3ELS4_3ELS4_3ELNS0_20block_scan_algorithmE0ELj4294967295EEENS1_25partition_config_selectorILNS1_17partition_subalgoE4EjNS0_10empty_typeEbEEZZNS1_14partition_implILS8_4ELb0ES6_15HIP_vector_typeIjLj2EENS0_17counting_iteratorIjlEEPS9_SG_NS0_5tupleIJPjSI_NS0_16reverse_iteratorISI_EEEEENSH_IJSG_SG_SG_EEES9_SI_JZNS1_25segmented_radix_sort_implINS0_14default_configELb0EPKbPbPKlPlN2at6native12_GLOBAL__N_18offset_tEEE10hipError_tPvRmT1_PNSt15iterator_traitsIS12_E10value_typeET2_T3_PNS13_IS18_E10value_typeET4_jRbjT5_S1E_jjP12ihipStream_tbEUljE_ZNSN_ISO_Lb0ESQ_SR_ST_SU_SY_EESZ_S10_S11_S12_S16_S17_S18_S1B_S1C_jS1D_jS1E_S1E_jjS1G_bEUljE0_EEESZ_S10_S11_S18_S1C_S1E_T6_T7_T9_mT8_S1G_bDpT10_ENKUlT_T0_E_clISt17integral_constantIbLb0EES1T_IbLb1EEEEDaS1P_S1Q_EUlS1P_E_NS1_11comp_targetILNS1_3genE10ELNS1_11target_archE1200ELNS1_3gpuE4ELNS1_3repE0EEENS1_30default_config_static_selectorELNS0_4arch9wavefront6targetE0EEEvS12_, .Lfunc_end1591-_ZN7rocprim17ROCPRIM_400000_NS6detail17trampoline_kernelINS0_13select_configILj256ELj13ELNS0_17block_load_methodE3ELS4_3ELS4_3ELNS0_20block_scan_algorithmE0ELj4294967295EEENS1_25partition_config_selectorILNS1_17partition_subalgoE4EjNS0_10empty_typeEbEEZZNS1_14partition_implILS8_4ELb0ES6_15HIP_vector_typeIjLj2EENS0_17counting_iteratorIjlEEPS9_SG_NS0_5tupleIJPjSI_NS0_16reverse_iteratorISI_EEEEENSH_IJSG_SG_SG_EEES9_SI_JZNS1_25segmented_radix_sort_implINS0_14default_configELb0EPKbPbPKlPlN2at6native12_GLOBAL__N_18offset_tEEE10hipError_tPvRmT1_PNSt15iterator_traitsIS12_E10value_typeET2_T3_PNS13_IS18_E10value_typeET4_jRbjT5_S1E_jjP12ihipStream_tbEUljE_ZNSN_ISO_Lb0ESQ_SR_ST_SU_SY_EESZ_S10_S11_S12_S16_S17_S18_S1B_S1C_jS1D_jS1E_S1E_jjS1G_bEUljE0_EEESZ_S10_S11_S18_S1C_S1E_T6_T7_T9_mT8_S1G_bDpT10_ENKUlT_T0_E_clISt17integral_constantIbLb0EES1T_IbLb1EEEEDaS1P_S1Q_EUlS1P_E_NS1_11comp_targetILNS1_3genE10ELNS1_11target_archE1200ELNS1_3gpuE4ELNS1_3repE0EEENS1_30default_config_static_selectorELNS0_4arch9wavefront6targetE0EEEvS12_
                                        ; -- End function
	.set _ZN7rocprim17ROCPRIM_400000_NS6detail17trampoline_kernelINS0_13select_configILj256ELj13ELNS0_17block_load_methodE3ELS4_3ELS4_3ELNS0_20block_scan_algorithmE0ELj4294967295EEENS1_25partition_config_selectorILNS1_17partition_subalgoE4EjNS0_10empty_typeEbEEZZNS1_14partition_implILS8_4ELb0ES6_15HIP_vector_typeIjLj2EENS0_17counting_iteratorIjlEEPS9_SG_NS0_5tupleIJPjSI_NS0_16reverse_iteratorISI_EEEEENSH_IJSG_SG_SG_EEES9_SI_JZNS1_25segmented_radix_sort_implINS0_14default_configELb0EPKbPbPKlPlN2at6native12_GLOBAL__N_18offset_tEEE10hipError_tPvRmT1_PNSt15iterator_traitsIS12_E10value_typeET2_T3_PNS13_IS18_E10value_typeET4_jRbjT5_S1E_jjP12ihipStream_tbEUljE_ZNSN_ISO_Lb0ESQ_SR_ST_SU_SY_EESZ_S10_S11_S12_S16_S17_S18_S1B_S1C_jS1D_jS1E_S1E_jjS1G_bEUljE0_EEESZ_S10_S11_S18_S1C_S1E_T6_T7_T9_mT8_S1G_bDpT10_ENKUlT_T0_E_clISt17integral_constantIbLb0EES1T_IbLb1EEEEDaS1P_S1Q_EUlS1P_E_NS1_11comp_targetILNS1_3genE10ELNS1_11target_archE1200ELNS1_3gpuE4ELNS1_3repE0EEENS1_30default_config_static_selectorELNS0_4arch9wavefront6targetE0EEEvS12_.num_vgpr, 0
	.set _ZN7rocprim17ROCPRIM_400000_NS6detail17trampoline_kernelINS0_13select_configILj256ELj13ELNS0_17block_load_methodE3ELS4_3ELS4_3ELNS0_20block_scan_algorithmE0ELj4294967295EEENS1_25partition_config_selectorILNS1_17partition_subalgoE4EjNS0_10empty_typeEbEEZZNS1_14partition_implILS8_4ELb0ES6_15HIP_vector_typeIjLj2EENS0_17counting_iteratorIjlEEPS9_SG_NS0_5tupleIJPjSI_NS0_16reverse_iteratorISI_EEEEENSH_IJSG_SG_SG_EEES9_SI_JZNS1_25segmented_radix_sort_implINS0_14default_configELb0EPKbPbPKlPlN2at6native12_GLOBAL__N_18offset_tEEE10hipError_tPvRmT1_PNSt15iterator_traitsIS12_E10value_typeET2_T3_PNS13_IS18_E10value_typeET4_jRbjT5_S1E_jjP12ihipStream_tbEUljE_ZNSN_ISO_Lb0ESQ_SR_ST_SU_SY_EESZ_S10_S11_S12_S16_S17_S18_S1B_S1C_jS1D_jS1E_S1E_jjS1G_bEUljE0_EEESZ_S10_S11_S18_S1C_S1E_T6_T7_T9_mT8_S1G_bDpT10_ENKUlT_T0_E_clISt17integral_constantIbLb0EES1T_IbLb1EEEEDaS1P_S1Q_EUlS1P_E_NS1_11comp_targetILNS1_3genE10ELNS1_11target_archE1200ELNS1_3gpuE4ELNS1_3repE0EEENS1_30default_config_static_selectorELNS0_4arch9wavefront6targetE0EEEvS12_.num_agpr, 0
	.set _ZN7rocprim17ROCPRIM_400000_NS6detail17trampoline_kernelINS0_13select_configILj256ELj13ELNS0_17block_load_methodE3ELS4_3ELS4_3ELNS0_20block_scan_algorithmE0ELj4294967295EEENS1_25partition_config_selectorILNS1_17partition_subalgoE4EjNS0_10empty_typeEbEEZZNS1_14partition_implILS8_4ELb0ES6_15HIP_vector_typeIjLj2EENS0_17counting_iteratorIjlEEPS9_SG_NS0_5tupleIJPjSI_NS0_16reverse_iteratorISI_EEEEENSH_IJSG_SG_SG_EEES9_SI_JZNS1_25segmented_radix_sort_implINS0_14default_configELb0EPKbPbPKlPlN2at6native12_GLOBAL__N_18offset_tEEE10hipError_tPvRmT1_PNSt15iterator_traitsIS12_E10value_typeET2_T3_PNS13_IS18_E10value_typeET4_jRbjT5_S1E_jjP12ihipStream_tbEUljE_ZNSN_ISO_Lb0ESQ_SR_ST_SU_SY_EESZ_S10_S11_S12_S16_S17_S18_S1B_S1C_jS1D_jS1E_S1E_jjS1G_bEUljE0_EEESZ_S10_S11_S18_S1C_S1E_T6_T7_T9_mT8_S1G_bDpT10_ENKUlT_T0_E_clISt17integral_constantIbLb0EES1T_IbLb1EEEEDaS1P_S1Q_EUlS1P_E_NS1_11comp_targetILNS1_3genE10ELNS1_11target_archE1200ELNS1_3gpuE4ELNS1_3repE0EEENS1_30default_config_static_selectorELNS0_4arch9wavefront6targetE0EEEvS12_.numbered_sgpr, 0
	.set _ZN7rocprim17ROCPRIM_400000_NS6detail17trampoline_kernelINS0_13select_configILj256ELj13ELNS0_17block_load_methodE3ELS4_3ELS4_3ELNS0_20block_scan_algorithmE0ELj4294967295EEENS1_25partition_config_selectorILNS1_17partition_subalgoE4EjNS0_10empty_typeEbEEZZNS1_14partition_implILS8_4ELb0ES6_15HIP_vector_typeIjLj2EENS0_17counting_iteratorIjlEEPS9_SG_NS0_5tupleIJPjSI_NS0_16reverse_iteratorISI_EEEEENSH_IJSG_SG_SG_EEES9_SI_JZNS1_25segmented_radix_sort_implINS0_14default_configELb0EPKbPbPKlPlN2at6native12_GLOBAL__N_18offset_tEEE10hipError_tPvRmT1_PNSt15iterator_traitsIS12_E10value_typeET2_T3_PNS13_IS18_E10value_typeET4_jRbjT5_S1E_jjP12ihipStream_tbEUljE_ZNSN_ISO_Lb0ESQ_SR_ST_SU_SY_EESZ_S10_S11_S12_S16_S17_S18_S1B_S1C_jS1D_jS1E_S1E_jjS1G_bEUljE0_EEESZ_S10_S11_S18_S1C_S1E_T6_T7_T9_mT8_S1G_bDpT10_ENKUlT_T0_E_clISt17integral_constantIbLb0EES1T_IbLb1EEEEDaS1P_S1Q_EUlS1P_E_NS1_11comp_targetILNS1_3genE10ELNS1_11target_archE1200ELNS1_3gpuE4ELNS1_3repE0EEENS1_30default_config_static_selectorELNS0_4arch9wavefront6targetE0EEEvS12_.num_named_barrier, 0
	.set _ZN7rocprim17ROCPRIM_400000_NS6detail17trampoline_kernelINS0_13select_configILj256ELj13ELNS0_17block_load_methodE3ELS4_3ELS4_3ELNS0_20block_scan_algorithmE0ELj4294967295EEENS1_25partition_config_selectorILNS1_17partition_subalgoE4EjNS0_10empty_typeEbEEZZNS1_14partition_implILS8_4ELb0ES6_15HIP_vector_typeIjLj2EENS0_17counting_iteratorIjlEEPS9_SG_NS0_5tupleIJPjSI_NS0_16reverse_iteratorISI_EEEEENSH_IJSG_SG_SG_EEES9_SI_JZNS1_25segmented_radix_sort_implINS0_14default_configELb0EPKbPbPKlPlN2at6native12_GLOBAL__N_18offset_tEEE10hipError_tPvRmT1_PNSt15iterator_traitsIS12_E10value_typeET2_T3_PNS13_IS18_E10value_typeET4_jRbjT5_S1E_jjP12ihipStream_tbEUljE_ZNSN_ISO_Lb0ESQ_SR_ST_SU_SY_EESZ_S10_S11_S12_S16_S17_S18_S1B_S1C_jS1D_jS1E_S1E_jjS1G_bEUljE0_EEESZ_S10_S11_S18_S1C_S1E_T6_T7_T9_mT8_S1G_bDpT10_ENKUlT_T0_E_clISt17integral_constantIbLb0EES1T_IbLb1EEEEDaS1P_S1Q_EUlS1P_E_NS1_11comp_targetILNS1_3genE10ELNS1_11target_archE1200ELNS1_3gpuE4ELNS1_3repE0EEENS1_30default_config_static_selectorELNS0_4arch9wavefront6targetE0EEEvS12_.private_seg_size, 0
	.set _ZN7rocprim17ROCPRIM_400000_NS6detail17trampoline_kernelINS0_13select_configILj256ELj13ELNS0_17block_load_methodE3ELS4_3ELS4_3ELNS0_20block_scan_algorithmE0ELj4294967295EEENS1_25partition_config_selectorILNS1_17partition_subalgoE4EjNS0_10empty_typeEbEEZZNS1_14partition_implILS8_4ELb0ES6_15HIP_vector_typeIjLj2EENS0_17counting_iteratorIjlEEPS9_SG_NS0_5tupleIJPjSI_NS0_16reverse_iteratorISI_EEEEENSH_IJSG_SG_SG_EEES9_SI_JZNS1_25segmented_radix_sort_implINS0_14default_configELb0EPKbPbPKlPlN2at6native12_GLOBAL__N_18offset_tEEE10hipError_tPvRmT1_PNSt15iterator_traitsIS12_E10value_typeET2_T3_PNS13_IS18_E10value_typeET4_jRbjT5_S1E_jjP12ihipStream_tbEUljE_ZNSN_ISO_Lb0ESQ_SR_ST_SU_SY_EESZ_S10_S11_S12_S16_S17_S18_S1B_S1C_jS1D_jS1E_S1E_jjS1G_bEUljE0_EEESZ_S10_S11_S18_S1C_S1E_T6_T7_T9_mT8_S1G_bDpT10_ENKUlT_T0_E_clISt17integral_constantIbLb0EES1T_IbLb1EEEEDaS1P_S1Q_EUlS1P_E_NS1_11comp_targetILNS1_3genE10ELNS1_11target_archE1200ELNS1_3gpuE4ELNS1_3repE0EEENS1_30default_config_static_selectorELNS0_4arch9wavefront6targetE0EEEvS12_.uses_vcc, 0
	.set _ZN7rocprim17ROCPRIM_400000_NS6detail17trampoline_kernelINS0_13select_configILj256ELj13ELNS0_17block_load_methodE3ELS4_3ELS4_3ELNS0_20block_scan_algorithmE0ELj4294967295EEENS1_25partition_config_selectorILNS1_17partition_subalgoE4EjNS0_10empty_typeEbEEZZNS1_14partition_implILS8_4ELb0ES6_15HIP_vector_typeIjLj2EENS0_17counting_iteratorIjlEEPS9_SG_NS0_5tupleIJPjSI_NS0_16reverse_iteratorISI_EEEEENSH_IJSG_SG_SG_EEES9_SI_JZNS1_25segmented_radix_sort_implINS0_14default_configELb0EPKbPbPKlPlN2at6native12_GLOBAL__N_18offset_tEEE10hipError_tPvRmT1_PNSt15iterator_traitsIS12_E10value_typeET2_T3_PNS13_IS18_E10value_typeET4_jRbjT5_S1E_jjP12ihipStream_tbEUljE_ZNSN_ISO_Lb0ESQ_SR_ST_SU_SY_EESZ_S10_S11_S12_S16_S17_S18_S1B_S1C_jS1D_jS1E_S1E_jjS1G_bEUljE0_EEESZ_S10_S11_S18_S1C_S1E_T6_T7_T9_mT8_S1G_bDpT10_ENKUlT_T0_E_clISt17integral_constantIbLb0EES1T_IbLb1EEEEDaS1P_S1Q_EUlS1P_E_NS1_11comp_targetILNS1_3genE10ELNS1_11target_archE1200ELNS1_3gpuE4ELNS1_3repE0EEENS1_30default_config_static_selectorELNS0_4arch9wavefront6targetE0EEEvS12_.uses_flat_scratch, 0
	.set _ZN7rocprim17ROCPRIM_400000_NS6detail17trampoline_kernelINS0_13select_configILj256ELj13ELNS0_17block_load_methodE3ELS4_3ELS4_3ELNS0_20block_scan_algorithmE0ELj4294967295EEENS1_25partition_config_selectorILNS1_17partition_subalgoE4EjNS0_10empty_typeEbEEZZNS1_14partition_implILS8_4ELb0ES6_15HIP_vector_typeIjLj2EENS0_17counting_iteratorIjlEEPS9_SG_NS0_5tupleIJPjSI_NS0_16reverse_iteratorISI_EEEEENSH_IJSG_SG_SG_EEES9_SI_JZNS1_25segmented_radix_sort_implINS0_14default_configELb0EPKbPbPKlPlN2at6native12_GLOBAL__N_18offset_tEEE10hipError_tPvRmT1_PNSt15iterator_traitsIS12_E10value_typeET2_T3_PNS13_IS18_E10value_typeET4_jRbjT5_S1E_jjP12ihipStream_tbEUljE_ZNSN_ISO_Lb0ESQ_SR_ST_SU_SY_EESZ_S10_S11_S12_S16_S17_S18_S1B_S1C_jS1D_jS1E_S1E_jjS1G_bEUljE0_EEESZ_S10_S11_S18_S1C_S1E_T6_T7_T9_mT8_S1G_bDpT10_ENKUlT_T0_E_clISt17integral_constantIbLb0EES1T_IbLb1EEEEDaS1P_S1Q_EUlS1P_E_NS1_11comp_targetILNS1_3genE10ELNS1_11target_archE1200ELNS1_3gpuE4ELNS1_3repE0EEENS1_30default_config_static_selectorELNS0_4arch9wavefront6targetE0EEEvS12_.has_dyn_sized_stack, 0
	.set _ZN7rocprim17ROCPRIM_400000_NS6detail17trampoline_kernelINS0_13select_configILj256ELj13ELNS0_17block_load_methodE3ELS4_3ELS4_3ELNS0_20block_scan_algorithmE0ELj4294967295EEENS1_25partition_config_selectorILNS1_17partition_subalgoE4EjNS0_10empty_typeEbEEZZNS1_14partition_implILS8_4ELb0ES6_15HIP_vector_typeIjLj2EENS0_17counting_iteratorIjlEEPS9_SG_NS0_5tupleIJPjSI_NS0_16reverse_iteratorISI_EEEEENSH_IJSG_SG_SG_EEES9_SI_JZNS1_25segmented_radix_sort_implINS0_14default_configELb0EPKbPbPKlPlN2at6native12_GLOBAL__N_18offset_tEEE10hipError_tPvRmT1_PNSt15iterator_traitsIS12_E10value_typeET2_T3_PNS13_IS18_E10value_typeET4_jRbjT5_S1E_jjP12ihipStream_tbEUljE_ZNSN_ISO_Lb0ESQ_SR_ST_SU_SY_EESZ_S10_S11_S12_S16_S17_S18_S1B_S1C_jS1D_jS1E_S1E_jjS1G_bEUljE0_EEESZ_S10_S11_S18_S1C_S1E_T6_T7_T9_mT8_S1G_bDpT10_ENKUlT_T0_E_clISt17integral_constantIbLb0EES1T_IbLb1EEEEDaS1P_S1Q_EUlS1P_E_NS1_11comp_targetILNS1_3genE10ELNS1_11target_archE1200ELNS1_3gpuE4ELNS1_3repE0EEENS1_30default_config_static_selectorELNS0_4arch9wavefront6targetE0EEEvS12_.has_recursion, 0
	.set _ZN7rocprim17ROCPRIM_400000_NS6detail17trampoline_kernelINS0_13select_configILj256ELj13ELNS0_17block_load_methodE3ELS4_3ELS4_3ELNS0_20block_scan_algorithmE0ELj4294967295EEENS1_25partition_config_selectorILNS1_17partition_subalgoE4EjNS0_10empty_typeEbEEZZNS1_14partition_implILS8_4ELb0ES6_15HIP_vector_typeIjLj2EENS0_17counting_iteratorIjlEEPS9_SG_NS0_5tupleIJPjSI_NS0_16reverse_iteratorISI_EEEEENSH_IJSG_SG_SG_EEES9_SI_JZNS1_25segmented_radix_sort_implINS0_14default_configELb0EPKbPbPKlPlN2at6native12_GLOBAL__N_18offset_tEEE10hipError_tPvRmT1_PNSt15iterator_traitsIS12_E10value_typeET2_T3_PNS13_IS18_E10value_typeET4_jRbjT5_S1E_jjP12ihipStream_tbEUljE_ZNSN_ISO_Lb0ESQ_SR_ST_SU_SY_EESZ_S10_S11_S12_S16_S17_S18_S1B_S1C_jS1D_jS1E_S1E_jjS1G_bEUljE0_EEESZ_S10_S11_S18_S1C_S1E_T6_T7_T9_mT8_S1G_bDpT10_ENKUlT_T0_E_clISt17integral_constantIbLb0EES1T_IbLb1EEEEDaS1P_S1Q_EUlS1P_E_NS1_11comp_targetILNS1_3genE10ELNS1_11target_archE1200ELNS1_3gpuE4ELNS1_3repE0EEENS1_30default_config_static_selectorELNS0_4arch9wavefront6targetE0EEEvS12_.has_indirect_call, 0
	.section	.AMDGPU.csdata,"",@progbits
; Kernel info:
; codeLenInByte = 0
; TotalNumSgprs: 0
; NumVgprs: 0
; ScratchSize: 0
; MemoryBound: 0
; FloatMode: 240
; IeeeMode: 1
; LDSByteSize: 0 bytes/workgroup (compile time only)
; SGPRBlocks: 0
; VGPRBlocks: 0
; NumSGPRsForWavesPerEU: 1
; NumVGPRsForWavesPerEU: 1
; Occupancy: 16
; WaveLimiterHint : 0
; COMPUTE_PGM_RSRC2:SCRATCH_EN: 0
; COMPUTE_PGM_RSRC2:USER_SGPR: 6
; COMPUTE_PGM_RSRC2:TRAP_HANDLER: 0
; COMPUTE_PGM_RSRC2:TGID_X_EN: 1
; COMPUTE_PGM_RSRC2:TGID_Y_EN: 0
; COMPUTE_PGM_RSRC2:TGID_Z_EN: 0
; COMPUTE_PGM_RSRC2:TIDIG_COMP_CNT: 0
	.section	.text._ZN7rocprim17ROCPRIM_400000_NS6detail17trampoline_kernelINS0_13select_configILj256ELj13ELNS0_17block_load_methodE3ELS4_3ELS4_3ELNS0_20block_scan_algorithmE0ELj4294967295EEENS1_25partition_config_selectorILNS1_17partition_subalgoE4EjNS0_10empty_typeEbEEZZNS1_14partition_implILS8_4ELb0ES6_15HIP_vector_typeIjLj2EENS0_17counting_iteratorIjlEEPS9_SG_NS0_5tupleIJPjSI_NS0_16reverse_iteratorISI_EEEEENSH_IJSG_SG_SG_EEES9_SI_JZNS1_25segmented_radix_sort_implINS0_14default_configELb0EPKbPbPKlPlN2at6native12_GLOBAL__N_18offset_tEEE10hipError_tPvRmT1_PNSt15iterator_traitsIS12_E10value_typeET2_T3_PNS13_IS18_E10value_typeET4_jRbjT5_S1E_jjP12ihipStream_tbEUljE_ZNSN_ISO_Lb0ESQ_SR_ST_SU_SY_EESZ_S10_S11_S12_S16_S17_S18_S1B_S1C_jS1D_jS1E_S1E_jjS1G_bEUljE0_EEESZ_S10_S11_S18_S1C_S1E_T6_T7_T9_mT8_S1G_bDpT10_ENKUlT_T0_E_clISt17integral_constantIbLb0EES1T_IbLb1EEEEDaS1P_S1Q_EUlS1P_E_NS1_11comp_targetILNS1_3genE9ELNS1_11target_archE1100ELNS1_3gpuE3ELNS1_3repE0EEENS1_30default_config_static_selectorELNS0_4arch9wavefront6targetE0EEEvS12_,"axG",@progbits,_ZN7rocprim17ROCPRIM_400000_NS6detail17trampoline_kernelINS0_13select_configILj256ELj13ELNS0_17block_load_methodE3ELS4_3ELS4_3ELNS0_20block_scan_algorithmE0ELj4294967295EEENS1_25partition_config_selectorILNS1_17partition_subalgoE4EjNS0_10empty_typeEbEEZZNS1_14partition_implILS8_4ELb0ES6_15HIP_vector_typeIjLj2EENS0_17counting_iteratorIjlEEPS9_SG_NS0_5tupleIJPjSI_NS0_16reverse_iteratorISI_EEEEENSH_IJSG_SG_SG_EEES9_SI_JZNS1_25segmented_radix_sort_implINS0_14default_configELb0EPKbPbPKlPlN2at6native12_GLOBAL__N_18offset_tEEE10hipError_tPvRmT1_PNSt15iterator_traitsIS12_E10value_typeET2_T3_PNS13_IS18_E10value_typeET4_jRbjT5_S1E_jjP12ihipStream_tbEUljE_ZNSN_ISO_Lb0ESQ_SR_ST_SU_SY_EESZ_S10_S11_S12_S16_S17_S18_S1B_S1C_jS1D_jS1E_S1E_jjS1G_bEUljE0_EEESZ_S10_S11_S18_S1C_S1E_T6_T7_T9_mT8_S1G_bDpT10_ENKUlT_T0_E_clISt17integral_constantIbLb0EES1T_IbLb1EEEEDaS1P_S1Q_EUlS1P_E_NS1_11comp_targetILNS1_3genE9ELNS1_11target_archE1100ELNS1_3gpuE3ELNS1_3repE0EEENS1_30default_config_static_selectorELNS0_4arch9wavefront6targetE0EEEvS12_,comdat
	.globl	_ZN7rocprim17ROCPRIM_400000_NS6detail17trampoline_kernelINS0_13select_configILj256ELj13ELNS0_17block_load_methodE3ELS4_3ELS4_3ELNS0_20block_scan_algorithmE0ELj4294967295EEENS1_25partition_config_selectorILNS1_17partition_subalgoE4EjNS0_10empty_typeEbEEZZNS1_14partition_implILS8_4ELb0ES6_15HIP_vector_typeIjLj2EENS0_17counting_iteratorIjlEEPS9_SG_NS0_5tupleIJPjSI_NS0_16reverse_iteratorISI_EEEEENSH_IJSG_SG_SG_EEES9_SI_JZNS1_25segmented_radix_sort_implINS0_14default_configELb0EPKbPbPKlPlN2at6native12_GLOBAL__N_18offset_tEEE10hipError_tPvRmT1_PNSt15iterator_traitsIS12_E10value_typeET2_T3_PNS13_IS18_E10value_typeET4_jRbjT5_S1E_jjP12ihipStream_tbEUljE_ZNSN_ISO_Lb0ESQ_SR_ST_SU_SY_EESZ_S10_S11_S12_S16_S17_S18_S1B_S1C_jS1D_jS1E_S1E_jjS1G_bEUljE0_EEESZ_S10_S11_S18_S1C_S1E_T6_T7_T9_mT8_S1G_bDpT10_ENKUlT_T0_E_clISt17integral_constantIbLb0EES1T_IbLb1EEEEDaS1P_S1Q_EUlS1P_E_NS1_11comp_targetILNS1_3genE9ELNS1_11target_archE1100ELNS1_3gpuE3ELNS1_3repE0EEENS1_30default_config_static_selectorELNS0_4arch9wavefront6targetE0EEEvS12_ ; -- Begin function _ZN7rocprim17ROCPRIM_400000_NS6detail17trampoline_kernelINS0_13select_configILj256ELj13ELNS0_17block_load_methodE3ELS4_3ELS4_3ELNS0_20block_scan_algorithmE0ELj4294967295EEENS1_25partition_config_selectorILNS1_17partition_subalgoE4EjNS0_10empty_typeEbEEZZNS1_14partition_implILS8_4ELb0ES6_15HIP_vector_typeIjLj2EENS0_17counting_iteratorIjlEEPS9_SG_NS0_5tupleIJPjSI_NS0_16reverse_iteratorISI_EEEEENSH_IJSG_SG_SG_EEES9_SI_JZNS1_25segmented_radix_sort_implINS0_14default_configELb0EPKbPbPKlPlN2at6native12_GLOBAL__N_18offset_tEEE10hipError_tPvRmT1_PNSt15iterator_traitsIS12_E10value_typeET2_T3_PNS13_IS18_E10value_typeET4_jRbjT5_S1E_jjP12ihipStream_tbEUljE_ZNSN_ISO_Lb0ESQ_SR_ST_SU_SY_EESZ_S10_S11_S12_S16_S17_S18_S1B_S1C_jS1D_jS1E_S1E_jjS1G_bEUljE0_EEESZ_S10_S11_S18_S1C_S1E_T6_T7_T9_mT8_S1G_bDpT10_ENKUlT_T0_E_clISt17integral_constantIbLb0EES1T_IbLb1EEEEDaS1P_S1Q_EUlS1P_E_NS1_11comp_targetILNS1_3genE9ELNS1_11target_archE1100ELNS1_3gpuE3ELNS1_3repE0EEENS1_30default_config_static_selectorELNS0_4arch9wavefront6targetE0EEEvS12_
	.p2align	8
	.type	_ZN7rocprim17ROCPRIM_400000_NS6detail17trampoline_kernelINS0_13select_configILj256ELj13ELNS0_17block_load_methodE3ELS4_3ELS4_3ELNS0_20block_scan_algorithmE0ELj4294967295EEENS1_25partition_config_selectorILNS1_17partition_subalgoE4EjNS0_10empty_typeEbEEZZNS1_14partition_implILS8_4ELb0ES6_15HIP_vector_typeIjLj2EENS0_17counting_iteratorIjlEEPS9_SG_NS0_5tupleIJPjSI_NS0_16reverse_iteratorISI_EEEEENSH_IJSG_SG_SG_EEES9_SI_JZNS1_25segmented_radix_sort_implINS0_14default_configELb0EPKbPbPKlPlN2at6native12_GLOBAL__N_18offset_tEEE10hipError_tPvRmT1_PNSt15iterator_traitsIS12_E10value_typeET2_T3_PNS13_IS18_E10value_typeET4_jRbjT5_S1E_jjP12ihipStream_tbEUljE_ZNSN_ISO_Lb0ESQ_SR_ST_SU_SY_EESZ_S10_S11_S12_S16_S17_S18_S1B_S1C_jS1D_jS1E_S1E_jjS1G_bEUljE0_EEESZ_S10_S11_S18_S1C_S1E_T6_T7_T9_mT8_S1G_bDpT10_ENKUlT_T0_E_clISt17integral_constantIbLb0EES1T_IbLb1EEEEDaS1P_S1Q_EUlS1P_E_NS1_11comp_targetILNS1_3genE9ELNS1_11target_archE1100ELNS1_3gpuE3ELNS1_3repE0EEENS1_30default_config_static_selectorELNS0_4arch9wavefront6targetE0EEEvS12_,@function
_ZN7rocprim17ROCPRIM_400000_NS6detail17trampoline_kernelINS0_13select_configILj256ELj13ELNS0_17block_load_methodE3ELS4_3ELS4_3ELNS0_20block_scan_algorithmE0ELj4294967295EEENS1_25partition_config_selectorILNS1_17partition_subalgoE4EjNS0_10empty_typeEbEEZZNS1_14partition_implILS8_4ELb0ES6_15HIP_vector_typeIjLj2EENS0_17counting_iteratorIjlEEPS9_SG_NS0_5tupleIJPjSI_NS0_16reverse_iteratorISI_EEEEENSH_IJSG_SG_SG_EEES9_SI_JZNS1_25segmented_radix_sort_implINS0_14default_configELb0EPKbPbPKlPlN2at6native12_GLOBAL__N_18offset_tEEE10hipError_tPvRmT1_PNSt15iterator_traitsIS12_E10value_typeET2_T3_PNS13_IS18_E10value_typeET4_jRbjT5_S1E_jjP12ihipStream_tbEUljE_ZNSN_ISO_Lb0ESQ_SR_ST_SU_SY_EESZ_S10_S11_S12_S16_S17_S18_S1B_S1C_jS1D_jS1E_S1E_jjS1G_bEUljE0_EEESZ_S10_S11_S18_S1C_S1E_T6_T7_T9_mT8_S1G_bDpT10_ENKUlT_T0_E_clISt17integral_constantIbLb0EES1T_IbLb1EEEEDaS1P_S1Q_EUlS1P_E_NS1_11comp_targetILNS1_3genE9ELNS1_11target_archE1100ELNS1_3gpuE3ELNS1_3repE0EEENS1_30default_config_static_selectorELNS0_4arch9wavefront6targetE0EEEvS12_: ; @_ZN7rocprim17ROCPRIM_400000_NS6detail17trampoline_kernelINS0_13select_configILj256ELj13ELNS0_17block_load_methodE3ELS4_3ELS4_3ELNS0_20block_scan_algorithmE0ELj4294967295EEENS1_25partition_config_selectorILNS1_17partition_subalgoE4EjNS0_10empty_typeEbEEZZNS1_14partition_implILS8_4ELb0ES6_15HIP_vector_typeIjLj2EENS0_17counting_iteratorIjlEEPS9_SG_NS0_5tupleIJPjSI_NS0_16reverse_iteratorISI_EEEEENSH_IJSG_SG_SG_EEES9_SI_JZNS1_25segmented_radix_sort_implINS0_14default_configELb0EPKbPbPKlPlN2at6native12_GLOBAL__N_18offset_tEEE10hipError_tPvRmT1_PNSt15iterator_traitsIS12_E10value_typeET2_T3_PNS13_IS18_E10value_typeET4_jRbjT5_S1E_jjP12ihipStream_tbEUljE_ZNSN_ISO_Lb0ESQ_SR_ST_SU_SY_EESZ_S10_S11_S12_S16_S17_S18_S1B_S1C_jS1D_jS1E_S1E_jjS1G_bEUljE0_EEESZ_S10_S11_S18_S1C_S1E_T6_T7_T9_mT8_S1G_bDpT10_ENKUlT_T0_E_clISt17integral_constantIbLb0EES1T_IbLb1EEEEDaS1P_S1Q_EUlS1P_E_NS1_11comp_targetILNS1_3genE9ELNS1_11target_archE1100ELNS1_3gpuE3ELNS1_3repE0EEENS1_30default_config_static_selectorELNS0_4arch9wavefront6targetE0EEEvS12_
; %bb.0:
	.section	.rodata,"a",@progbits
	.p2align	6, 0x0
	.amdhsa_kernel _ZN7rocprim17ROCPRIM_400000_NS6detail17trampoline_kernelINS0_13select_configILj256ELj13ELNS0_17block_load_methodE3ELS4_3ELS4_3ELNS0_20block_scan_algorithmE0ELj4294967295EEENS1_25partition_config_selectorILNS1_17partition_subalgoE4EjNS0_10empty_typeEbEEZZNS1_14partition_implILS8_4ELb0ES6_15HIP_vector_typeIjLj2EENS0_17counting_iteratorIjlEEPS9_SG_NS0_5tupleIJPjSI_NS0_16reverse_iteratorISI_EEEEENSH_IJSG_SG_SG_EEES9_SI_JZNS1_25segmented_radix_sort_implINS0_14default_configELb0EPKbPbPKlPlN2at6native12_GLOBAL__N_18offset_tEEE10hipError_tPvRmT1_PNSt15iterator_traitsIS12_E10value_typeET2_T3_PNS13_IS18_E10value_typeET4_jRbjT5_S1E_jjP12ihipStream_tbEUljE_ZNSN_ISO_Lb0ESQ_SR_ST_SU_SY_EESZ_S10_S11_S12_S16_S17_S18_S1B_S1C_jS1D_jS1E_S1E_jjS1G_bEUljE0_EEESZ_S10_S11_S18_S1C_S1E_T6_T7_T9_mT8_S1G_bDpT10_ENKUlT_T0_E_clISt17integral_constantIbLb0EES1T_IbLb1EEEEDaS1P_S1Q_EUlS1P_E_NS1_11comp_targetILNS1_3genE9ELNS1_11target_archE1100ELNS1_3gpuE3ELNS1_3repE0EEENS1_30default_config_static_selectorELNS0_4arch9wavefront6targetE0EEEvS12_
		.amdhsa_group_segment_fixed_size 0
		.amdhsa_private_segment_fixed_size 0
		.amdhsa_kernarg_size 184
		.amdhsa_user_sgpr_count 6
		.amdhsa_user_sgpr_private_segment_buffer 1
		.amdhsa_user_sgpr_dispatch_ptr 0
		.amdhsa_user_sgpr_queue_ptr 0
		.amdhsa_user_sgpr_kernarg_segment_ptr 1
		.amdhsa_user_sgpr_dispatch_id 0
		.amdhsa_user_sgpr_flat_scratch_init 0
		.amdhsa_user_sgpr_private_segment_size 0
		.amdhsa_wavefront_size32 1
		.amdhsa_uses_dynamic_stack 0
		.amdhsa_system_sgpr_private_segment_wavefront_offset 0
		.amdhsa_system_sgpr_workgroup_id_x 1
		.amdhsa_system_sgpr_workgroup_id_y 0
		.amdhsa_system_sgpr_workgroup_id_z 0
		.amdhsa_system_sgpr_workgroup_info 0
		.amdhsa_system_vgpr_workitem_id 0
		.amdhsa_next_free_vgpr 1
		.amdhsa_next_free_sgpr 1
		.amdhsa_reserve_vcc 0
		.amdhsa_reserve_flat_scratch 0
		.amdhsa_float_round_mode_32 0
		.amdhsa_float_round_mode_16_64 0
		.amdhsa_float_denorm_mode_32 3
		.amdhsa_float_denorm_mode_16_64 3
		.amdhsa_dx10_clamp 1
		.amdhsa_ieee_mode 1
		.amdhsa_fp16_overflow 0
		.amdhsa_workgroup_processor_mode 1
		.amdhsa_memory_ordered 1
		.amdhsa_forward_progress 1
		.amdhsa_shared_vgpr_count 0
		.amdhsa_exception_fp_ieee_invalid_op 0
		.amdhsa_exception_fp_denorm_src 0
		.amdhsa_exception_fp_ieee_div_zero 0
		.amdhsa_exception_fp_ieee_overflow 0
		.amdhsa_exception_fp_ieee_underflow 0
		.amdhsa_exception_fp_ieee_inexact 0
		.amdhsa_exception_int_div_zero 0
	.end_amdhsa_kernel
	.section	.text._ZN7rocprim17ROCPRIM_400000_NS6detail17trampoline_kernelINS0_13select_configILj256ELj13ELNS0_17block_load_methodE3ELS4_3ELS4_3ELNS0_20block_scan_algorithmE0ELj4294967295EEENS1_25partition_config_selectorILNS1_17partition_subalgoE4EjNS0_10empty_typeEbEEZZNS1_14partition_implILS8_4ELb0ES6_15HIP_vector_typeIjLj2EENS0_17counting_iteratorIjlEEPS9_SG_NS0_5tupleIJPjSI_NS0_16reverse_iteratorISI_EEEEENSH_IJSG_SG_SG_EEES9_SI_JZNS1_25segmented_radix_sort_implINS0_14default_configELb0EPKbPbPKlPlN2at6native12_GLOBAL__N_18offset_tEEE10hipError_tPvRmT1_PNSt15iterator_traitsIS12_E10value_typeET2_T3_PNS13_IS18_E10value_typeET4_jRbjT5_S1E_jjP12ihipStream_tbEUljE_ZNSN_ISO_Lb0ESQ_SR_ST_SU_SY_EESZ_S10_S11_S12_S16_S17_S18_S1B_S1C_jS1D_jS1E_S1E_jjS1G_bEUljE0_EEESZ_S10_S11_S18_S1C_S1E_T6_T7_T9_mT8_S1G_bDpT10_ENKUlT_T0_E_clISt17integral_constantIbLb0EES1T_IbLb1EEEEDaS1P_S1Q_EUlS1P_E_NS1_11comp_targetILNS1_3genE9ELNS1_11target_archE1100ELNS1_3gpuE3ELNS1_3repE0EEENS1_30default_config_static_selectorELNS0_4arch9wavefront6targetE0EEEvS12_,"axG",@progbits,_ZN7rocprim17ROCPRIM_400000_NS6detail17trampoline_kernelINS0_13select_configILj256ELj13ELNS0_17block_load_methodE3ELS4_3ELS4_3ELNS0_20block_scan_algorithmE0ELj4294967295EEENS1_25partition_config_selectorILNS1_17partition_subalgoE4EjNS0_10empty_typeEbEEZZNS1_14partition_implILS8_4ELb0ES6_15HIP_vector_typeIjLj2EENS0_17counting_iteratorIjlEEPS9_SG_NS0_5tupleIJPjSI_NS0_16reverse_iteratorISI_EEEEENSH_IJSG_SG_SG_EEES9_SI_JZNS1_25segmented_radix_sort_implINS0_14default_configELb0EPKbPbPKlPlN2at6native12_GLOBAL__N_18offset_tEEE10hipError_tPvRmT1_PNSt15iterator_traitsIS12_E10value_typeET2_T3_PNS13_IS18_E10value_typeET4_jRbjT5_S1E_jjP12ihipStream_tbEUljE_ZNSN_ISO_Lb0ESQ_SR_ST_SU_SY_EESZ_S10_S11_S12_S16_S17_S18_S1B_S1C_jS1D_jS1E_S1E_jjS1G_bEUljE0_EEESZ_S10_S11_S18_S1C_S1E_T6_T7_T9_mT8_S1G_bDpT10_ENKUlT_T0_E_clISt17integral_constantIbLb0EES1T_IbLb1EEEEDaS1P_S1Q_EUlS1P_E_NS1_11comp_targetILNS1_3genE9ELNS1_11target_archE1100ELNS1_3gpuE3ELNS1_3repE0EEENS1_30default_config_static_selectorELNS0_4arch9wavefront6targetE0EEEvS12_,comdat
.Lfunc_end1592:
	.size	_ZN7rocprim17ROCPRIM_400000_NS6detail17trampoline_kernelINS0_13select_configILj256ELj13ELNS0_17block_load_methodE3ELS4_3ELS4_3ELNS0_20block_scan_algorithmE0ELj4294967295EEENS1_25partition_config_selectorILNS1_17partition_subalgoE4EjNS0_10empty_typeEbEEZZNS1_14partition_implILS8_4ELb0ES6_15HIP_vector_typeIjLj2EENS0_17counting_iteratorIjlEEPS9_SG_NS0_5tupleIJPjSI_NS0_16reverse_iteratorISI_EEEEENSH_IJSG_SG_SG_EEES9_SI_JZNS1_25segmented_radix_sort_implINS0_14default_configELb0EPKbPbPKlPlN2at6native12_GLOBAL__N_18offset_tEEE10hipError_tPvRmT1_PNSt15iterator_traitsIS12_E10value_typeET2_T3_PNS13_IS18_E10value_typeET4_jRbjT5_S1E_jjP12ihipStream_tbEUljE_ZNSN_ISO_Lb0ESQ_SR_ST_SU_SY_EESZ_S10_S11_S12_S16_S17_S18_S1B_S1C_jS1D_jS1E_S1E_jjS1G_bEUljE0_EEESZ_S10_S11_S18_S1C_S1E_T6_T7_T9_mT8_S1G_bDpT10_ENKUlT_T0_E_clISt17integral_constantIbLb0EES1T_IbLb1EEEEDaS1P_S1Q_EUlS1P_E_NS1_11comp_targetILNS1_3genE9ELNS1_11target_archE1100ELNS1_3gpuE3ELNS1_3repE0EEENS1_30default_config_static_selectorELNS0_4arch9wavefront6targetE0EEEvS12_, .Lfunc_end1592-_ZN7rocprim17ROCPRIM_400000_NS6detail17trampoline_kernelINS0_13select_configILj256ELj13ELNS0_17block_load_methodE3ELS4_3ELS4_3ELNS0_20block_scan_algorithmE0ELj4294967295EEENS1_25partition_config_selectorILNS1_17partition_subalgoE4EjNS0_10empty_typeEbEEZZNS1_14partition_implILS8_4ELb0ES6_15HIP_vector_typeIjLj2EENS0_17counting_iteratorIjlEEPS9_SG_NS0_5tupleIJPjSI_NS0_16reverse_iteratorISI_EEEEENSH_IJSG_SG_SG_EEES9_SI_JZNS1_25segmented_radix_sort_implINS0_14default_configELb0EPKbPbPKlPlN2at6native12_GLOBAL__N_18offset_tEEE10hipError_tPvRmT1_PNSt15iterator_traitsIS12_E10value_typeET2_T3_PNS13_IS18_E10value_typeET4_jRbjT5_S1E_jjP12ihipStream_tbEUljE_ZNSN_ISO_Lb0ESQ_SR_ST_SU_SY_EESZ_S10_S11_S12_S16_S17_S18_S1B_S1C_jS1D_jS1E_S1E_jjS1G_bEUljE0_EEESZ_S10_S11_S18_S1C_S1E_T6_T7_T9_mT8_S1G_bDpT10_ENKUlT_T0_E_clISt17integral_constantIbLb0EES1T_IbLb1EEEEDaS1P_S1Q_EUlS1P_E_NS1_11comp_targetILNS1_3genE9ELNS1_11target_archE1100ELNS1_3gpuE3ELNS1_3repE0EEENS1_30default_config_static_selectorELNS0_4arch9wavefront6targetE0EEEvS12_
                                        ; -- End function
	.set _ZN7rocprim17ROCPRIM_400000_NS6detail17trampoline_kernelINS0_13select_configILj256ELj13ELNS0_17block_load_methodE3ELS4_3ELS4_3ELNS0_20block_scan_algorithmE0ELj4294967295EEENS1_25partition_config_selectorILNS1_17partition_subalgoE4EjNS0_10empty_typeEbEEZZNS1_14partition_implILS8_4ELb0ES6_15HIP_vector_typeIjLj2EENS0_17counting_iteratorIjlEEPS9_SG_NS0_5tupleIJPjSI_NS0_16reverse_iteratorISI_EEEEENSH_IJSG_SG_SG_EEES9_SI_JZNS1_25segmented_radix_sort_implINS0_14default_configELb0EPKbPbPKlPlN2at6native12_GLOBAL__N_18offset_tEEE10hipError_tPvRmT1_PNSt15iterator_traitsIS12_E10value_typeET2_T3_PNS13_IS18_E10value_typeET4_jRbjT5_S1E_jjP12ihipStream_tbEUljE_ZNSN_ISO_Lb0ESQ_SR_ST_SU_SY_EESZ_S10_S11_S12_S16_S17_S18_S1B_S1C_jS1D_jS1E_S1E_jjS1G_bEUljE0_EEESZ_S10_S11_S18_S1C_S1E_T6_T7_T9_mT8_S1G_bDpT10_ENKUlT_T0_E_clISt17integral_constantIbLb0EES1T_IbLb1EEEEDaS1P_S1Q_EUlS1P_E_NS1_11comp_targetILNS1_3genE9ELNS1_11target_archE1100ELNS1_3gpuE3ELNS1_3repE0EEENS1_30default_config_static_selectorELNS0_4arch9wavefront6targetE0EEEvS12_.num_vgpr, 0
	.set _ZN7rocprim17ROCPRIM_400000_NS6detail17trampoline_kernelINS0_13select_configILj256ELj13ELNS0_17block_load_methodE3ELS4_3ELS4_3ELNS0_20block_scan_algorithmE0ELj4294967295EEENS1_25partition_config_selectorILNS1_17partition_subalgoE4EjNS0_10empty_typeEbEEZZNS1_14partition_implILS8_4ELb0ES6_15HIP_vector_typeIjLj2EENS0_17counting_iteratorIjlEEPS9_SG_NS0_5tupleIJPjSI_NS0_16reverse_iteratorISI_EEEEENSH_IJSG_SG_SG_EEES9_SI_JZNS1_25segmented_radix_sort_implINS0_14default_configELb0EPKbPbPKlPlN2at6native12_GLOBAL__N_18offset_tEEE10hipError_tPvRmT1_PNSt15iterator_traitsIS12_E10value_typeET2_T3_PNS13_IS18_E10value_typeET4_jRbjT5_S1E_jjP12ihipStream_tbEUljE_ZNSN_ISO_Lb0ESQ_SR_ST_SU_SY_EESZ_S10_S11_S12_S16_S17_S18_S1B_S1C_jS1D_jS1E_S1E_jjS1G_bEUljE0_EEESZ_S10_S11_S18_S1C_S1E_T6_T7_T9_mT8_S1G_bDpT10_ENKUlT_T0_E_clISt17integral_constantIbLb0EES1T_IbLb1EEEEDaS1P_S1Q_EUlS1P_E_NS1_11comp_targetILNS1_3genE9ELNS1_11target_archE1100ELNS1_3gpuE3ELNS1_3repE0EEENS1_30default_config_static_selectorELNS0_4arch9wavefront6targetE0EEEvS12_.num_agpr, 0
	.set _ZN7rocprim17ROCPRIM_400000_NS6detail17trampoline_kernelINS0_13select_configILj256ELj13ELNS0_17block_load_methodE3ELS4_3ELS4_3ELNS0_20block_scan_algorithmE0ELj4294967295EEENS1_25partition_config_selectorILNS1_17partition_subalgoE4EjNS0_10empty_typeEbEEZZNS1_14partition_implILS8_4ELb0ES6_15HIP_vector_typeIjLj2EENS0_17counting_iteratorIjlEEPS9_SG_NS0_5tupleIJPjSI_NS0_16reverse_iteratorISI_EEEEENSH_IJSG_SG_SG_EEES9_SI_JZNS1_25segmented_radix_sort_implINS0_14default_configELb0EPKbPbPKlPlN2at6native12_GLOBAL__N_18offset_tEEE10hipError_tPvRmT1_PNSt15iterator_traitsIS12_E10value_typeET2_T3_PNS13_IS18_E10value_typeET4_jRbjT5_S1E_jjP12ihipStream_tbEUljE_ZNSN_ISO_Lb0ESQ_SR_ST_SU_SY_EESZ_S10_S11_S12_S16_S17_S18_S1B_S1C_jS1D_jS1E_S1E_jjS1G_bEUljE0_EEESZ_S10_S11_S18_S1C_S1E_T6_T7_T9_mT8_S1G_bDpT10_ENKUlT_T0_E_clISt17integral_constantIbLb0EES1T_IbLb1EEEEDaS1P_S1Q_EUlS1P_E_NS1_11comp_targetILNS1_3genE9ELNS1_11target_archE1100ELNS1_3gpuE3ELNS1_3repE0EEENS1_30default_config_static_selectorELNS0_4arch9wavefront6targetE0EEEvS12_.numbered_sgpr, 0
	.set _ZN7rocprim17ROCPRIM_400000_NS6detail17trampoline_kernelINS0_13select_configILj256ELj13ELNS0_17block_load_methodE3ELS4_3ELS4_3ELNS0_20block_scan_algorithmE0ELj4294967295EEENS1_25partition_config_selectorILNS1_17partition_subalgoE4EjNS0_10empty_typeEbEEZZNS1_14partition_implILS8_4ELb0ES6_15HIP_vector_typeIjLj2EENS0_17counting_iteratorIjlEEPS9_SG_NS0_5tupleIJPjSI_NS0_16reverse_iteratorISI_EEEEENSH_IJSG_SG_SG_EEES9_SI_JZNS1_25segmented_radix_sort_implINS0_14default_configELb0EPKbPbPKlPlN2at6native12_GLOBAL__N_18offset_tEEE10hipError_tPvRmT1_PNSt15iterator_traitsIS12_E10value_typeET2_T3_PNS13_IS18_E10value_typeET4_jRbjT5_S1E_jjP12ihipStream_tbEUljE_ZNSN_ISO_Lb0ESQ_SR_ST_SU_SY_EESZ_S10_S11_S12_S16_S17_S18_S1B_S1C_jS1D_jS1E_S1E_jjS1G_bEUljE0_EEESZ_S10_S11_S18_S1C_S1E_T6_T7_T9_mT8_S1G_bDpT10_ENKUlT_T0_E_clISt17integral_constantIbLb0EES1T_IbLb1EEEEDaS1P_S1Q_EUlS1P_E_NS1_11comp_targetILNS1_3genE9ELNS1_11target_archE1100ELNS1_3gpuE3ELNS1_3repE0EEENS1_30default_config_static_selectorELNS0_4arch9wavefront6targetE0EEEvS12_.num_named_barrier, 0
	.set _ZN7rocprim17ROCPRIM_400000_NS6detail17trampoline_kernelINS0_13select_configILj256ELj13ELNS0_17block_load_methodE3ELS4_3ELS4_3ELNS0_20block_scan_algorithmE0ELj4294967295EEENS1_25partition_config_selectorILNS1_17partition_subalgoE4EjNS0_10empty_typeEbEEZZNS1_14partition_implILS8_4ELb0ES6_15HIP_vector_typeIjLj2EENS0_17counting_iteratorIjlEEPS9_SG_NS0_5tupleIJPjSI_NS0_16reverse_iteratorISI_EEEEENSH_IJSG_SG_SG_EEES9_SI_JZNS1_25segmented_radix_sort_implINS0_14default_configELb0EPKbPbPKlPlN2at6native12_GLOBAL__N_18offset_tEEE10hipError_tPvRmT1_PNSt15iterator_traitsIS12_E10value_typeET2_T3_PNS13_IS18_E10value_typeET4_jRbjT5_S1E_jjP12ihipStream_tbEUljE_ZNSN_ISO_Lb0ESQ_SR_ST_SU_SY_EESZ_S10_S11_S12_S16_S17_S18_S1B_S1C_jS1D_jS1E_S1E_jjS1G_bEUljE0_EEESZ_S10_S11_S18_S1C_S1E_T6_T7_T9_mT8_S1G_bDpT10_ENKUlT_T0_E_clISt17integral_constantIbLb0EES1T_IbLb1EEEEDaS1P_S1Q_EUlS1P_E_NS1_11comp_targetILNS1_3genE9ELNS1_11target_archE1100ELNS1_3gpuE3ELNS1_3repE0EEENS1_30default_config_static_selectorELNS0_4arch9wavefront6targetE0EEEvS12_.private_seg_size, 0
	.set _ZN7rocprim17ROCPRIM_400000_NS6detail17trampoline_kernelINS0_13select_configILj256ELj13ELNS0_17block_load_methodE3ELS4_3ELS4_3ELNS0_20block_scan_algorithmE0ELj4294967295EEENS1_25partition_config_selectorILNS1_17partition_subalgoE4EjNS0_10empty_typeEbEEZZNS1_14partition_implILS8_4ELb0ES6_15HIP_vector_typeIjLj2EENS0_17counting_iteratorIjlEEPS9_SG_NS0_5tupleIJPjSI_NS0_16reverse_iteratorISI_EEEEENSH_IJSG_SG_SG_EEES9_SI_JZNS1_25segmented_radix_sort_implINS0_14default_configELb0EPKbPbPKlPlN2at6native12_GLOBAL__N_18offset_tEEE10hipError_tPvRmT1_PNSt15iterator_traitsIS12_E10value_typeET2_T3_PNS13_IS18_E10value_typeET4_jRbjT5_S1E_jjP12ihipStream_tbEUljE_ZNSN_ISO_Lb0ESQ_SR_ST_SU_SY_EESZ_S10_S11_S12_S16_S17_S18_S1B_S1C_jS1D_jS1E_S1E_jjS1G_bEUljE0_EEESZ_S10_S11_S18_S1C_S1E_T6_T7_T9_mT8_S1G_bDpT10_ENKUlT_T0_E_clISt17integral_constantIbLb0EES1T_IbLb1EEEEDaS1P_S1Q_EUlS1P_E_NS1_11comp_targetILNS1_3genE9ELNS1_11target_archE1100ELNS1_3gpuE3ELNS1_3repE0EEENS1_30default_config_static_selectorELNS0_4arch9wavefront6targetE0EEEvS12_.uses_vcc, 0
	.set _ZN7rocprim17ROCPRIM_400000_NS6detail17trampoline_kernelINS0_13select_configILj256ELj13ELNS0_17block_load_methodE3ELS4_3ELS4_3ELNS0_20block_scan_algorithmE0ELj4294967295EEENS1_25partition_config_selectorILNS1_17partition_subalgoE4EjNS0_10empty_typeEbEEZZNS1_14partition_implILS8_4ELb0ES6_15HIP_vector_typeIjLj2EENS0_17counting_iteratorIjlEEPS9_SG_NS0_5tupleIJPjSI_NS0_16reverse_iteratorISI_EEEEENSH_IJSG_SG_SG_EEES9_SI_JZNS1_25segmented_radix_sort_implINS0_14default_configELb0EPKbPbPKlPlN2at6native12_GLOBAL__N_18offset_tEEE10hipError_tPvRmT1_PNSt15iterator_traitsIS12_E10value_typeET2_T3_PNS13_IS18_E10value_typeET4_jRbjT5_S1E_jjP12ihipStream_tbEUljE_ZNSN_ISO_Lb0ESQ_SR_ST_SU_SY_EESZ_S10_S11_S12_S16_S17_S18_S1B_S1C_jS1D_jS1E_S1E_jjS1G_bEUljE0_EEESZ_S10_S11_S18_S1C_S1E_T6_T7_T9_mT8_S1G_bDpT10_ENKUlT_T0_E_clISt17integral_constantIbLb0EES1T_IbLb1EEEEDaS1P_S1Q_EUlS1P_E_NS1_11comp_targetILNS1_3genE9ELNS1_11target_archE1100ELNS1_3gpuE3ELNS1_3repE0EEENS1_30default_config_static_selectorELNS0_4arch9wavefront6targetE0EEEvS12_.uses_flat_scratch, 0
	.set _ZN7rocprim17ROCPRIM_400000_NS6detail17trampoline_kernelINS0_13select_configILj256ELj13ELNS0_17block_load_methodE3ELS4_3ELS4_3ELNS0_20block_scan_algorithmE0ELj4294967295EEENS1_25partition_config_selectorILNS1_17partition_subalgoE4EjNS0_10empty_typeEbEEZZNS1_14partition_implILS8_4ELb0ES6_15HIP_vector_typeIjLj2EENS0_17counting_iteratorIjlEEPS9_SG_NS0_5tupleIJPjSI_NS0_16reverse_iteratorISI_EEEEENSH_IJSG_SG_SG_EEES9_SI_JZNS1_25segmented_radix_sort_implINS0_14default_configELb0EPKbPbPKlPlN2at6native12_GLOBAL__N_18offset_tEEE10hipError_tPvRmT1_PNSt15iterator_traitsIS12_E10value_typeET2_T3_PNS13_IS18_E10value_typeET4_jRbjT5_S1E_jjP12ihipStream_tbEUljE_ZNSN_ISO_Lb0ESQ_SR_ST_SU_SY_EESZ_S10_S11_S12_S16_S17_S18_S1B_S1C_jS1D_jS1E_S1E_jjS1G_bEUljE0_EEESZ_S10_S11_S18_S1C_S1E_T6_T7_T9_mT8_S1G_bDpT10_ENKUlT_T0_E_clISt17integral_constantIbLb0EES1T_IbLb1EEEEDaS1P_S1Q_EUlS1P_E_NS1_11comp_targetILNS1_3genE9ELNS1_11target_archE1100ELNS1_3gpuE3ELNS1_3repE0EEENS1_30default_config_static_selectorELNS0_4arch9wavefront6targetE0EEEvS12_.has_dyn_sized_stack, 0
	.set _ZN7rocprim17ROCPRIM_400000_NS6detail17trampoline_kernelINS0_13select_configILj256ELj13ELNS0_17block_load_methodE3ELS4_3ELS4_3ELNS0_20block_scan_algorithmE0ELj4294967295EEENS1_25partition_config_selectorILNS1_17partition_subalgoE4EjNS0_10empty_typeEbEEZZNS1_14partition_implILS8_4ELb0ES6_15HIP_vector_typeIjLj2EENS0_17counting_iteratorIjlEEPS9_SG_NS0_5tupleIJPjSI_NS0_16reverse_iteratorISI_EEEEENSH_IJSG_SG_SG_EEES9_SI_JZNS1_25segmented_radix_sort_implINS0_14default_configELb0EPKbPbPKlPlN2at6native12_GLOBAL__N_18offset_tEEE10hipError_tPvRmT1_PNSt15iterator_traitsIS12_E10value_typeET2_T3_PNS13_IS18_E10value_typeET4_jRbjT5_S1E_jjP12ihipStream_tbEUljE_ZNSN_ISO_Lb0ESQ_SR_ST_SU_SY_EESZ_S10_S11_S12_S16_S17_S18_S1B_S1C_jS1D_jS1E_S1E_jjS1G_bEUljE0_EEESZ_S10_S11_S18_S1C_S1E_T6_T7_T9_mT8_S1G_bDpT10_ENKUlT_T0_E_clISt17integral_constantIbLb0EES1T_IbLb1EEEEDaS1P_S1Q_EUlS1P_E_NS1_11comp_targetILNS1_3genE9ELNS1_11target_archE1100ELNS1_3gpuE3ELNS1_3repE0EEENS1_30default_config_static_selectorELNS0_4arch9wavefront6targetE0EEEvS12_.has_recursion, 0
	.set _ZN7rocprim17ROCPRIM_400000_NS6detail17trampoline_kernelINS0_13select_configILj256ELj13ELNS0_17block_load_methodE3ELS4_3ELS4_3ELNS0_20block_scan_algorithmE0ELj4294967295EEENS1_25partition_config_selectorILNS1_17partition_subalgoE4EjNS0_10empty_typeEbEEZZNS1_14partition_implILS8_4ELb0ES6_15HIP_vector_typeIjLj2EENS0_17counting_iteratorIjlEEPS9_SG_NS0_5tupleIJPjSI_NS0_16reverse_iteratorISI_EEEEENSH_IJSG_SG_SG_EEES9_SI_JZNS1_25segmented_radix_sort_implINS0_14default_configELb0EPKbPbPKlPlN2at6native12_GLOBAL__N_18offset_tEEE10hipError_tPvRmT1_PNSt15iterator_traitsIS12_E10value_typeET2_T3_PNS13_IS18_E10value_typeET4_jRbjT5_S1E_jjP12ihipStream_tbEUljE_ZNSN_ISO_Lb0ESQ_SR_ST_SU_SY_EESZ_S10_S11_S12_S16_S17_S18_S1B_S1C_jS1D_jS1E_S1E_jjS1G_bEUljE0_EEESZ_S10_S11_S18_S1C_S1E_T6_T7_T9_mT8_S1G_bDpT10_ENKUlT_T0_E_clISt17integral_constantIbLb0EES1T_IbLb1EEEEDaS1P_S1Q_EUlS1P_E_NS1_11comp_targetILNS1_3genE9ELNS1_11target_archE1100ELNS1_3gpuE3ELNS1_3repE0EEENS1_30default_config_static_selectorELNS0_4arch9wavefront6targetE0EEEvS12_.has_indirect_call, 0
	.section	.AMDGPU.csdata,"",@progbits
; Kernel info:
; codeLenInByte = 0
; TotalNumSgprs: 0
; NumVgprs: 0
; ScratchSize: 0
; MemoryBound: 0
; FloatMode: 240
; IeeeMode: 1
; LDSByteSize: 0 bytes/workgroup (compile time only)
; SGPRBlocks: 0
; VGPRBlocks: 0
; NumSGPRsForWavesPerEU: 1
; NumVGPRsForWavesPerEU: 1
; Occupancy: 16
; WaveLimiterHint : 0
; COMPUTE_PGM_RSRC2:SCRATCH_EN: 0
; COMPUTE_PGM_RSRC2:USER_SGPR: 6
; COMPUTE_PGM_RSRC2:TRAP_HANDLER: 0
; COMPUTE_PGM_RSRC2:TGID_X_EN: 1
; COMPUTE_PGM_RSRC2:TGID_Y_EN: 0
; COMPUTE_PGM_RSRC2:TGID_Z_EN: 0
; COMPUTE_PGM_RSRC2:TIDIG_COMP_CNT: 0
	.section	.text._ZN7rocprim17ROCPRIM_400000_NS6detail17trampoline_kernelINS0_13select_configILj256ELj13ELNS0_17block_load_methodE3ELS4_3ELS4_3ELNS0_20block_scan_algorithmE0ELj4294967295EEENS1_25partition_config_selectorILNS1_17partition_subalgoE4EjNS0_10empty_typeEbEEZZNS1_14partition_implILS8_4ELb0ES6_15HIP_vector_typeIjLj2EENS0_17counting_iteratorIjlEEPS9_SG_NS0_5tupleIJPjSI_NS0_16reverse_iteratorISI_EEEEENSH_IJSG_SG_SG_EEES9_SI_JZNS1_25segmented_radix_sort_implINS0_14default_configELb0EPKbPbPKlPlN2at6native12_GLOBAL__N_18offset_tEEE10hipError_tPvRmT1_PNSt15iterator_traitsIS12_E10value_typeET2_T3_PNS13_IS18_E10value_typeET4_jRbjT5_S1E_jjP12ihipStream_tbEUljE_ZNSN_ISO_Lb0ESQ_SR_ST_SU_SY_EESZ_S10_S11_S12_S16_S17_S18_S1B_S1C_jS1D_jS1E_S1E_jjS1G_bEUljE0_EEESZ_S10_S11_S18_S1C_S1E_T6_T7_T9_mT8_S1G_bDpT10_ENKUlT_T0_E_clISt17integral_constantIbLb0EES1T_IbLb1EEEEDaS1P_S1Q_EUlS1P_E_NS1_11comp_targetILNS1_3genE8ELNS1_11target_archE1030ELNS1_3gpuE2ELNS1_3repE0EEENS1_30default_config_static_selectorELNS0_4arch9wavefront6targetE0EEEvS12_,"axG",@progbits,_ZN7rocprim17ROCPRIM_400000_NS6detail17trampoline_kernelINS0_13select_configILj256ELj13ELNS0_17block_load_methodE3ELS4_3ELS4_3ELNS0_20block_scan_algorithmE0ELj4294967295EEENS1_25partition_config_selectorILNS1_17partition_subalgoE4EjNS0_10empty_typeEbEEZZNS1_14partition_implILS8_4ELb0ES6_15HIP_vector_typeIjLj2EENS0_17counting_iteratorIjlEEPS9_SG_NS0_5tupleIJPjSI_NS0_16reverse_iteratorISI_EEEEENSH_IJSG_SG_SG_EEES9_SI_JZNS1_25segmented_radix_sort_implINS0_14default_configELb0EPKbPbPKlPlN2at6native12_GLOBAL__N_18offset_tEEE10hipError_tPvRmT1_PNSt15iterator_traitsIS12_E10value_typeET2_T3_PNS13_IS18_E10value_typeET4_jRbjT5_S1E_jjP12ihipStream_tbEUljE_ZNSN_ISO_Lb0ESQ_SR_ST_SU_SY_EESZ_S10_S11_S12_S16_S17_S18_S1B_S1C_jS1D_jS1E_S1E_jjS1G_bEUljE0_EEESZ_S10_S11_S18_S1C_S1E_T6_T7_T9_mT8_S1G_bDpT10_ENKUlT_T0_E_clISt17integral_constantIbLb0EES1T_IbLb1EEEEDaS1P_S1Q_EUlS1P_E_NS1_11comp_targetILNS1_3genE8ELNS1_11target_archE1030ELNS1_3gpuE2ELNS1_3repE0EEENS1_30default_config_static_selectorELNS0_4arch9wavefront6targetE0EEEvS12_,comdat
	.globl	_ZN7rocprim17ROCPRIM_400000_NS6detail17trampoline_kernelINS0_13select_configILj256ELj13ELNS0_17block_load_methodE3ELS4_3ELS4_3ELNS0_20block_scan_algorithmE0ELj4294967295EEENS1_25partition_config_selectorILNS1_17partition_subalgoE4EjNS0_10empty_typeEbEEZZNS1_14partition_implILS8_4ELb0ES6_15HIP_vector_typeIjLj2EENS0_17counting_iteratorIjlEEPS9_SG_NS0_5tupleIJPjSI_NS0_16reverse_iteratorISI_EEEEENSH_IJSG_SG_SG_EEES9_SI_JZNS1_25segmented_radix_sort_implINS0_14default_configELb0EPKbPbPKlPlN2at6native12_GLOBAL__N_18offset_tEEE10hipError_tPvRmT1_PNSt15iterator_traitsIS12_E10value_typeET2_T3_PNS13_IS18_E10value_typeET4_jRbjT5_S1E_jjP12ihipStream_tbEUljE_ZNSN_ISO_Lb0ESQ_SR_ST_SU_SY_EESZ_S10_S11_S12_S16_S17_S18_S1B_S1C_jS1D_jS1E_S1E_jjS1G_bEUljE0_EEESZ_S10_S11_S18_S1C_S1E_T6_T7_T9_mT8_S1G_bDpT10_ENKUlT_T0_E_clISt17integral_constantIbLb0EES1T_IbLb1EEEEDaS1P_S1Q_EUlS1P_E_NS1_11comp_targetILNS1_3genE8ELNS1_11target_archE1030ELNS1_3gpuE2ELNS1_3repE0EEENS1_30default_config_static_selectorELNS0_4arch9wavefront6targetE0EEEvS12_ ; -- Begin function _ZN7rocprim17ROCPRIM_400000_NS6detail17trampoline_kernelINS0_13select_configILj256ELj13ELNS0_17block_load_methodE3ELS4_3ELS4_3ELNS0_20block_scan_algorithmE0ELj4294967295EEENS1_25partition_config_selectorILNS1_17partition_subalgoE4EjNS0_10empty_typeEbEEZZNS1_14partition_implILS8_4ELb0ES6_15HIP_vector_typeIjLj2EENS0_17counting_iteratorIjlEEPS9_SG_NS0_5tupleIJPjSI_NS0_16reverse_iteratorISI_EEEEENSH_IJSG_SG_SG_EEES9_SI_JZNS1_25segmented_radix_sort_implINS0_14default_configELb0EPKbPbPKlPlN2at6native12_GLOBAL__N_18offset_tEEE10hipError_tPvRmT1_PNSt15iterator_traitsIS12_E10value_typeET2_T3_PNS13_IS18_E10value_typeET4_jRbjT5_S1E_jjP12ihipStream_tbEUljE_ZNSN_ISO_Lb0ESQ_SR_ST_SU_SY_EESZ_S10_S11_S12_S16_S17_S18_S1B_S1C_jS1D_jS1E_S1E_jjS1G_bEUljE0_EEESZ_S10_S11_S18_S1C_S1E_T6_T7_T9_mT8_S1G_bDpT10_ENKUlT_T0_E_clISt17integral_constantIbLb0EES1T_IbLb1EEEEDaS1P_S1Q_EUlS1P_E_NS1_11comp_targetILNS1_3genE8ELNS1_11target_archE1030ELNS1_3gpuE2ELNS1_3repE0EEENS1_30default_config_static_selectorELNS0_4arch9wavefront6targetE0EEEvS12_
	.p2align	8
	.type	_ZN7rocprim17ROCPRIM_400000_NS6detail17trampoline_kernelINS0_13select_configILj256ELj13ELNS0_17block_load_methodE3ELS4_3ELS4_3ELNS0_20block_scan_algorithmE0ELj4294967295EEENS1_25partition_config_selectorILNS1_17partition_subalgoE4EjNS0_10empty_typeEbEEZZNS1_14partition_implILS8_4ELb0ES6_15HIP_vector_typeIjLj2EENS0_17counting_iteratorIjlEEPS9_SG_NS0_5tupleIJPjSI_NS0_16reverse_iteratorISI_EEEEENSH_IJSG_SG_SG_EEES9_SI_JZNS1_25segmented_radix_sort_implINS0_14default_configELb0EPKbPbPKlPlN2at6native12_GLOBAL__N_18offset_tEEE10hipError_tPvRmT1_PNSt15iterator_traitsIS12_E10value_typeET2_T3_PNS13_IS18_E10value_typeET4_jRbjT5_S1E_jjP12ihipStream_tbEUljE_ZNSN_ISO_Lb0ESQ_SR_ST_SU_SY_EESZ_S10_S11_S12_S16_S17_S18_S1B_S1C_jS1D_jS1E_S1E_jjS1G_bEUljE0_EEESZ_S10_S11_S18_S1C_S1E_T6_T7_T9_mT8_S1G_bDpT10_ENKUlT_T0_E_clISt17integral_constantIbLb0EES1T_IbLb1EEEEDaS1P_S1Q_EUlS1P_E_NS1_11comp_targetILNS1_3genE8ELNS1_11target_archE1030ELNS1_3gpuE2ELNS1_3repE0EEENS1_30default_config_static_selectorELNS0_4arch9wavefront6targetE0EEEvS12_,@function
_ZN7rocprim17ROCPRIM_400000_NS6detail17trampoline_kernelINS0_13select_configILj256ELj13ELNS0_17block_load_methodE3ELS4_3ELS4_3ELNS0_20block_scan_algorithmE0ELj4294967295EEENS1_25partition_config_selectorILNS1_17partition_subalgoE4EjNS0_10empty_typeEbEEZZNS1_14partition_implILS8_4ELb0ES6_15HIP_vector_typeIjLj2EENS0_17counting_iteratorIjlEEPS9_SG_NS0_5tupleIJPjSI_NS0_16reverse_iteratorISI_EEEEENSH_IJSG_SG_SG_EEES9_SI_JZNS1_25segmented_radix_sort_implINS0_14default_configELb0EPKbPbPKlPlN2at6native12_GLOBAL__N_18offset_tEEE10hipError_tPvRmT1_PNSt15iterator_traitsIS12_E10value_typeET2_T3_PNS13_IS18_E10value_typeET4_jRbjT5_S1E_jjP12ihipStream_tbEUljE_ZNSN_ISO_Lb0ESQ_SR_ST_SU_SY_EESZ_S10_S11_S12_S16_S17_S18_S1B_S1C_jS1D_jS1E_S1E_jjS1G_bEUljE0_EEESZ_S10_S11_S18_S1C_S1E_T6_T7_T9_mT8_S1G_bDpT10_ENKUlT_T0_E_clISt17integral_constantIbLb0EES1T_IbLb1EEEEDaS1P_S1Q_EUlS1P_E_NS1_11comp_targetILNS1_3genE8ELNS1_11target_archE1030ELNS1_3gpuE2ELNS1_3repE0EEENS1_30default_config_static_selectorELNS0_4arch9wavefront6targetE0EEEvS12_: ; @_ZN7rocprim17ROCPRIM_400000_NS6detail17trampoline_kernelINS0_13select_configILj256ELj13ELNS0_17block_load_methodE3ELS4_3ELS4_3ELNS0_20block_scan_algorithmE0ELj4294967295EEENS1_25partition_config_selectorILNS1_17partition_subalgoE4EjNS0_10empty_typeEbEEZZNS1_14partition_implILS8_4ELb0ES6_15HIP_vector_typeIjLj2EENS0_17counting_iteratorIjlEEPS9_SG_NS0_5tupleIJPjSI_NS0_16reverse_iteratorISI_EEEEENSH_IJSG_SG_SG_EEES9_SI_JZNS1_25segmented_radix_sort_implINS0_14default_configELb0EPKbPbPKlPlN2at6native12_GLOBAL__N_18offset_tEEE10hipError_tPvRmT1_PNSt15iterator_traitsIS12_E10value_typeET2_T3_PNS13_IS18_E10value_typeET4_jRbjT5_S1E_jjP12ihipStream_tbEUljE_ZNSN_ISO_Lb0ESQ_SR_ST_SU_SY_EESZ_S10_S11_S12_S16_S17_S18_S1B_S1C_jS1D_jS1E_S1E_jjS1G_bEUljE0_EEESZ_S10_S11_S18_S1C_S1E_T6_T7_T9_mT8_S1G_bDpT10_ENKUlT_T0_E_clISt17integral_constantIbLb0EES1T_IbLb1EEEEDaS1P_S1Q_EUlS1P_E_NS1_11comp_targetILNS1_3genE8ELNS1_11target_archE1030ELNS1_3gpuE2ELNS1_3repE0EEENS1_30default_config_static_selectorELNS0_4arch9wavefront6targetE0EEEvS12_
; %bb.0:
	s_clause 0x7
	s_load_dwordx2 s[34:35], s[4:5], 0x10
	s_load_dwordx4 s[28:31], s[4:5], 0x28
	s_load_dwordx2 s[14:15], s[4:5], 0x38
	s_load_dwordx4 s[24:27], s[4:5], 0x58
	s_load_dwordx2 s[2:3], s[4:5], 0x68
	s_load_dwordx2 s[36:37], s[4:5], 0x78
	;; [unrolled: 1-line block ×3, first 2 shown]
	s_load_dwordx8 s[16:23], s[4:5], 0x90
	v_cmp_eq_u32_e64 s0, 0, v0
	s_and_saveexec_b32 s1, s0
	s_cbranch_execz .LBB1593_4
; %bb.1:
	s_mov_b32 s7, exec_lo
	s_mov_b32 s6, exec_lo
	v_mbcnt_lo_u32_b32 v1, s7, 0
                                        ; implicit-def: $vgpr2
	v_cmpx_eq_u32_e32 0, v1
	s_cbranch_execz .LBB1593_3
; %bb.2:
	s_load_dwordx2 s[8:9], s[4:5], 0x88
	s_bcnt1_i32_b32 s7, s7
	v_mov_b32_e32 v2, 0
	v_mov_b32_e32 v3, s7
	s_waitcnt lgkmcnt(0)
	global_atomic_add v2, v2, v3, s[8:9] glc
.LBB1593_3:
	s_or_b32 exec_lo, exec_lo, s6
	s_waitcnt vmcnt(0)
	v_readfirstlane_b32 s6, v2
	v_mov_b32_e32 v2, 0
	v_add_nc_u32_e32 v1, s6, v1
	ds_write_b32 v2, v1
.LBB1593_4:
	s_or_b32 exec_lo, exec_lo, s1
	v_mov_b32_e32 v1, 0
	s_clause 0x1
	s_load_dword s6, s[4:5], 0x8
	s_load_dword s1, s[4:5], 0x80
	s_waitcnt lgkmcnt(0)
	s_barrier
	buffer_gl0_inv
	ds_read_b32 v5, v1
	s_waitcnt lgkmcnt(0)
	s_barrier
	buffer_gl0_inv
	global_load_dwordx4 v[1:4], v1, s[26:27]
	s_add_i32 s5, s6, s34
	s_mul_i32 s4, s1, 0xd00
	s_add_i32 s1, s1, -1
	s_add_u32 s6, s34, s4
	s_addc_u32 s7, s35, 0
	v_mul_lo_u32 v31, 0xd00, v5
	v_readfirstlane_b32 s27, v5
	v_cmp_gt_u64_e64 s3, s[2:3], s[6:7]
	v_cmp_ne_u32_e32 vcc_lo, s1, v5
	s_cmp_eq_u32 s27, s1
	s_cselect_b32 s26, -1, 0
	v_add3_u32 v5, v31, s5, v0
	s_or_b32 s1, s3, vcc_lo
	s_mov_b32 s3, -1
	s_and_b32 vcc_lo, exec_lo, s1
	v_add_nc_u32_e32 v6, 0x100, v5
	v_add_nc_u32_e32 v7, 0x200, v5
	;; [unrolled: 1-line block ×12, first 2 shown]
	s_cbranch_vccz .LBB1593_6
; %bb.5:
	v_lshlrev_b32_e32 v18, 2, v0
	s_mov_b32 s3, 0
	ds_write2st64_b32 v18, v5, v6 offset1:4
	ds_write2st64_b32 v18, v7, v8 offset0:8 offset1:12
	ds_write2st64_b32 v18, v9, v10 offset0:16 offset1:20
	;; [unrolled: 1-line block ×5, first 2 shown]
	ds_write_b32 v18, v17 offset:12288
	s_waitcnt vmcnt(0) lgkmcnt(0)
	s_barrier
.LBB1593_6:
	s_andn2_b32 vcc_lo, exec_lo, s3
	s_add_i32 s4, s4, s34
	s_cbranch_vccnz .LBB1593_8
; %bb.7:
	v_lshlrev_b32_e32 v18, 2, v0
	ds_write2st64_b32 v18, v5, v6 offset1:4
	ds_write2st64_b32 v18, v7, v8 offset0:8 offset1:12
	ds_write2st64_b32 v18, v9, v10 offset0:16 offset1:20
	;; [unrolled: 1-line block ×5, first 2 shown]
	ds_write_b32 v18, v17 offset:12288
	s_waitcnt vmcnt(0) lgkmcnt(0)
	s_barrier
.LBB1593_8:
	v_mul_u32_u24_e32 v34, 13, v0
	s_waitcnt vmcnt(0)
	buffer_gl0_inv
	v_cndmask_b32_e64 v32, 0, 1, s1
	s_sub_i32 s33, s2, s4
	s_andn2_b32 vcc_lo, exec_lo, s1
	v_lshlrev_b32_e32 v5, 2, v34
	ds_read_b32 v33, v5 offset:48
	ds_read2_b32 v[13:14], v5 offset0:10 offset1:11
	ds_read2_b32 v[15:16], v5 offset0:8 offset1:9
	ds_read2_b32 v[17:18], v5 offset0:6 offset1:7
	ds_read2_b32 v[19:20], v5 offset0:4 offset1:5
	ds_read2_b32 v[23:24], v5 offset1:1
	ds_read2_b32 v[21:22], v5 offset0:2 offset1:3
	s_waitcnt lgkmcnt(0)
	s_barrier
	buffer_gl0_inv
	s_cbranch_vccnz .LBB1593_36
; %bb.9:
	v_add_nc_u32_e32 v5, s17, v23
	v_add_nc_u32_e32 v6, s19, v23
	s_mov_b32 s41, 0
	s_mov_b32 s40, 0
	s_mov_b32 s2, exec_lo
	v_mul_lo_u32 v5, v5, s16
	v_mul_lo_u32 v6, v6, s18
	v_sub_nc_u32_e32 v5, v5, v6
	v_cmp_lt_u32_e32 vcc_lo, s20, v5
	v_cmpx_ge_u32_e64 s20, v5
	s_cbranch_execz .LBB1593_11
; %bb.10:
	v_add_nc_u32_e32 v5, s22, v23
	v_add_nc_u32_e32 v6, s38, v23
	v_mul_lo_u32 v5, v5, s21
	v_mul_lo_u32 v6, v6, s23
	v_sub_nc_u32_e32 v5, v5, v6
	v_cmp_lt_u32_e64 s1, s39, v5
	s_and_b32 s40, s1, exec_lo
.LBB1593_11:
	s_or_b32 exec_lo, exec_lo, s2
	v_add_nc_u32_e32 v5, s17, v24
	v_add_nc_u32_e32 v6, s19, v24
	s_mov_b32 s3, exec_lo
	v_mul_lo_u32 v5, v5, s16
	v_mul_lo_u32 v6, v6, s18
	v_sub_nc_u32_e32 v5, v5, v6
	v_cmp_lt_u32_e64 s1, s20, v5
	v_cmpx_ge_u32_e64 s20, v5
	s_cbranch_execz .LBB1593_13
; %bb.12:
	v_add_nc_u32_e32 v5, s22, v24
	v_add_nc_u32_e32 v6, s38, v24
	v_mul_lo_u32 v5, v5, s21
	v_mul_lo_u32 v6, v6, s23
	v_sub_nc_u32_e32 v5, v5, v6
	v_cmp_lt_u32_e64 s2, s39, v5
	s_and_b32 s41, s2, exec_lo
.LBB1593_13:
	s_or_b32 exec_lo, exec_lo, s3
	v_add_nc_u32_e32 v5, s17, v21
	v_add_nc_u32_e32 v6, s19, v21
	s_mov_b32 s43, 0
	s_mov_b32 s42, 0
	s_mov_b32 s4, exec_lo
	v_mul_lo_u32 v5, v5, s16
	v_mul_lo_u32 v6, v6, s18
	v_sub_nc_u32_e32 v5, v5, v6
	v_cmp_lt_u32_e64 s2, s20, v5
	v_cmpx_ge_u32_e64 s20, v5
	s_cbranch_execz .LBB1593_15
; %bb.14:
	v_add_nc_u32_e32 v5, s22, v21
	v_add_nc_u32_e32 v6, s38, v21
	v_mul_lo_u32 v5, v5, s21
	v_mul_lo_u32 v6, v6, s23
	v_sub_nc_u32_e32 v5, v5, v6
	v_cmp_lt_u32_e64 s3, s39, v5
	s_and_b32 s42, s3, exec_lo
.LBB1593_15:
	s_or_b32 exec_lo, exec_lo, s4
	v_add_nc_u32_e32 v5, s17, v22
	v_add_nc_u32_e32 v6, s19, v22
	s_mov_b32 s5, exec_lo
	v_mul_lo_u32 v5, v5, s16
	v_mul_lo_u32 v6, v6, s18
	v_sub_nc_u32_e32 v5, v5, v6
	v_cmp_lt_u32_e64 s3, s20, v5
	v_cmpx_ge_u32_e64 s20, v5
	s_cbranch_execz .LBB1593_17
; %bb.16:
	v_add_nc_u32_e32 v5, s22, v22
	v_add_nc_u32_e32 v6, s38, v22
	v_mul_lo_u32 v5, v5, s21
	v_mul_lo_u32 v6, v6, s23
	v_sub_nc_u32_e32 v5, v5, v6
	v_cmp_lt_u32_e64 s4, s39, v5
	s_and_b32 s43, s4, exec_lo
.LBB1593_17:
	s_or_b32 exec_lo, exec_lo, s5
	v_add_nc_u32_e32 v5, s17, v19
	v_add_nc_u32_e32 v6, s19, v19
	s_mov_b32 s45, 0
	s_mov_b32 s44, 0
	s_mov_b32 s6, exec_lo
	v_mul_lo_u32 v5, v5, s16
	v_mul_lo_u32 v6, v6, s18
	v_sub_nc_u32_e32 v5, v5, v6
	v_cmp_lt_u32_e64 s4, s20, v5
	;; [unrolled: 40-line block ×6, first 2 shown]
	v_cmpx_ge_u32_e64 s20, v5
	s_cbranch_execz .LBB1593_35
; %bb.34:
	v_add_nc_u32_e32 v5, s22, v33
	v_add_nc_u32_e32 v6, s38, v33
	v_mul_lo_u32 v5, v5, s21
	v_mul_lo_u32 v6, v6, s23
	v_sub_nc_u32_e32 v5, v5, v6
	v_cmp_lt_u32_e64 s13, s39, v5
	s_and_b32 s53, s13, exec_lo
.LBB1593_35:
	s_or_b32 exec_lo, exec_lo, s54
	v_cndmask_b32_e64 v6, 0, 1, s1
	v_cndmask_b32_e64 v8, 0, 1, s3
	v_cndmask_b32_e64 v5, 0, 1, vcc_lo
	v_cndmask_b32_e64 v7, 0, 1, s2
	v_cndmask_b32_e64 v10, 0, 1, s5
	v_lshlrev_b16 v6, 8, v6
	v_lshlrev_b16 v8, 8, v8
	v_cndmask_b32_e64 v12, 0, 1, s7
	v_cndmask_b32_e64 v26, 0, 1, s9
	;; [unrolled: 1-line block ×3, first 2 shown]
	v_or_b32_e32 v5, v5, v6
	v_or_b32_sdwa v6, v7, v8 dst_sel:WORD_1 dst_unused:UNUSED_PAD src0_sel:DWORD src1_sel:DWORD
	v_cndmask_b32_e64 v7, 0, 1, s40
	v_cndmask_b32_e64 v9, 0, 1, s4
	;; [unrolled: 1-line block ×11, first 2 shown]
	v_or_b32_sdwa v35, v5, v6 dst_sel:DWORD dst_unused:UNUSED_PAD src0_sel:WORD_0 src1_sel:DWORD
	v_lshlrev_b16 v5, 8, v10
	v_lshlrev_b16 v6, 8, v12
	;; [unrolled: 1-line block ×5, first 2 shown]
	v_cndmask_b32_e64 v30, 0, 1, s49
	v_cndmask_b32_e64 v37, 0, 1, s47
	;; [unrolled: 1-line block ×5, first 2 shown]
	v_or_b32_e32 v5, v9, v5
	v_or_b32_sdwa v6, v11, v6 dst_sel:WORD_1 dst_unused:UNUSED_PAD src0_sel:DWORD src1_sel:DWORD
	v_or_b32_e32 v9, v25, v10
	v_or_b32_sdwa v10, v27, v12 dst_sel:WORD_1 dst_unused:UNUSED_PAD src0_sel:DWORD src1_sel:DWORD
	v_or_b32_e32 v7, v8, v7
	v_lshlrev_b16 v8, 8, v44
	v_lshlrev_b16 v11, 8, v41
	v_lshlrev_b16 v12, 8, v38
	v_lshlrev_b16 v25, 8, v36
	v_lshlrev_b16 v26, 8, v28
	v_or_b32_sdwa v8, v45, v8 dst_sel:WORD_1 dst_unused:UNUSED_PAD src0_sel:DWORD src1_sel:DWORD
	v_or_b32_e32 v11, v43, v11
	v_or_b32_sdwa v12, v40, v12 dst_sel:WORD_1 dst_unused:UNUSED_PAD src0_sel:DWORD src1_sel:DWORD
	v_or_b32_e32 v25, v37, v25
	v_or_b32_sdwa v26, v30, v26 dst_sel:WORD_1 dst_unused:UNUSED_PAD src0_sel:DWORD src1_sel:DWORD
	v_cndmask_b32_e64 v39, 0, 1, s51
	v_cndmask_b32_e64 v42, 0, 1, s53
	v_or_b32_sdwa v37, v5, v6 dst_sel:DWORD dst_unused:UNUSED_PAD src0_sel:WORD_0 src1_sel:DWORD
	v_or_b32_sdwa v40, v9, v10 dst_sel:DWORD dst_unused:UNUSED_PAD src0_sel:WORD_0 src1_sel:DWORD
	;; [unrolled: 1-line block ×5, first 2 shown]
	s_and_b32 vcc_lo, exec_lo, s50
	s_add_i32 s5, s33, 0xd00
	s_cbranch_vccnz .LBB1593_37
	s_branch .LBB1593_114
.LBB1593_36:
                                        ; implicit-def: $vgpr42
                                        ; implicit-def: $vgpr39
                                        ; implicit-def: $vgpr38
                                        ; implicit-def: $vgpr36
                                        ; implicit-def: $vgpr41
                                        ; implicit-def: $vgpr40
                                        ; implicit-def: $vgpr37
                                        ; implicit-def: $vgpr35
	s_add_i32 s5, s33, 0xd00
	s_cbranch_execz .LBB1593_114
.LBB1593_37:
	v_mov_b32_e32 v6, 0
	v_mov_b32_e32 v5, 0
	s_mov_b32 s2, exec_lo
	v_cmpx_gt_u32_e64 s5, v34
	s_cbranch_execz .LBB1593_41
; %bb.38:
	v_add_nc_u32_e32 v5, s17, v23
	v_add_nc_u32_e32 v6, s19, v23
	s_mov_b32 s4, 0
	s_mov_b32 s3, exec_lo
	v_mul_lo_u32 v5, v5, s16
	v_mul_lo_u32 v6, v6, s18
	v_sub_nc_u32_e32 v5, v5, v6
	v_cmp_lt_u32_e32 vcc_lo, s20, v5
	v_cmpx_ge_u32_e64 s20, v5
	s_cbranch_execz .LBB1593_40
; %bb.39:
	v_add_nc_u32_e32 v5, s22, v23
	v_add_nc_u32_e32 v6, s38, v23
	v_mul_lo_u32 v5, v5, s21
	v_mul_lo_u32 v6, v6, s23
	v_sub_nc_u32_e32 v5, v5, v6
	v_cmp_lt_u32_e64 s1, s39, v5
	s_and_b32 s4, s1, exec_lo
.LBB1593_40:
	s_or_b32 exec_lo, exec_lo, s3
	v_cndmask_b32_e64 v6, 0, 1, s4
	v_cndmask_b32_e64 v5, 0, 1, vcc_lo
.LBB1593_41:
	s_or_b32 exec_lo, exec_lo, s2
	v_add_nc_u32_e32 v7, 1, v34
	v_lshlrev_b16 v25, 8, v6
	v_and_b32_e32 v10, 0xff, v5
	v_lshlrev_b16 v11, 8, 0
                                        ; implicit-def: $vgpr9
                                        ; implicit-def: $vgpr12
                                        ; implicit-def: $vgpr6
                                        ; implicit-def: $vgpr8
	v_cmp_le_u32_e32 vcc_lo, s5, v7
                                        ; implicit-def: $vgpr7
	s_and_saveexec_b32 s1, vcc_lo
	s_xor_b32 s1, exec_lo, s1
	s_cbranch_execz .LBB1593_43
; %bb.42:
	v_mov_b32_e32 v5, 8
	v_mov_b32_e32 v6, 0xff
	;; [unrolled: 1-line block ×3, first 2 shown]
	v_and_b32_e32 v8, 0xffff, v11
	v_and_b32_e32 v7, 0xffff, v11
	v_lshrrev_b32_sdwa v5, v5, v25 dst_sel:BYTE_1 dst_unused:UNUSED_PAD src0_sel:DWORD src1_sel:WORD_0
	v_and_b32_sdwa v6, v25, v6 dst_sel:DWORD dst_unused:UNUSED_PAD src0_sel:WORD_0 src1_sel:DWORD
                                        ; implicit-def: $vgpr25
	v_or_b32_e32 v5, v6, v5
	v_and_b32_e32 v6, 0xffff, v11
                                        ; implicit-def: $vgpr11
	v_and_b32_e32 v12, 0xffff, v5
                                        ; implicit-def: $vgpr5
.LBB1593_43:
	s_andn2_saveexec_b32 s2, s1
	s_cbranch_execz .LBB1593_47
; %bb.44:
	v_add_nc_u32_e32 v6, s17, v24
	v_add_nc_u32_e32 v7, s19, v24
	s_mov_b32 s3, 0
	s_mov_b32 s4, exec_lo
	v_mul_lo_u32 v6, v6, s16
	v_mul_lo_u32 v7, v7, s18
	v_sub_nc_u32_e32 v6, v6, v7
	v_cmp_lt_u32_e32 vcc_lo, s20, v6
	v_cmpx_ge_u32_e64 s20, v6
	s_cbranch_execz .LBB1593_46
; %bb.45:
	v_add_nc_u32_e32 v6, s22, v24
	v_add_nc_u32_e32 v7, s38, v24
	v_mul_lo_u32 v6, v6, s21
	v_mul_lo_u32 v7, v7, s23
	v_sub_nc_u32_e32 v6, v6, v7
	v_cmp_lt_u32_e64 s1, s39, v6
	s_and_b32 s3, s1, exec_lo
.LBB1593_46:
	s_or_b32 exec_lo, exec_lo, s4
	v_mov_b32_e32 v6, 0xff
	v_mov_b32_e32 v7, 8
	v_cndmask_b32_e64 v8, 0, 1, vcc_lo
	v_mov_b32_e32 v9, 0
	v_and_b32_sdwa v6, v25, v6 dst_sel:DWORD dst_unused:UNUSED_PAD src0_sel:WORD_0 src1_sel:DWORD
	v_lshrrev_b32_sdwa v7, v7, v25 dst_sel:BYTE_1 dst_unused:UNUSED_PAD src0_sel:DWORD src1_sel:WORD_0
	v_lshlrev_b16 v8, 8, v8
	v_or_b32_e32 v6, v6, v7
	v_cndmask_b32_e64 v7, 0, 1, s3
	v_or_b32_sdwa v5, v5, v8 dst_sel:DWORD dst_unused:UNUSED_PAD src0_sel:BYTE_0 src1_sel:DWORD
	v_and_b32_e32 v8, 0xffff, v11
	v_and_b32_e32 v12, 0xffff, v6
	v_mov_b32_e32 v6, 0
	v_and_b32_e32 v10, 0xffff, v5
	v_lshl_or_b32 v12, v7, 16, v12
	v_and_b32_e32 v7, 0xffff, v11
.LBB1593_47:
	s_or_b32 exec_lo, exec_lo, s2
	v_add_nc_u32_e32 v5, 2, v34
                                        ; implicit-def: $vgpr11
	v_cmp_le_u32_e32 vcc_lo, s5, v5
                                        ; implicit-def: $vgpr5
	s_and_saveexec_b32 s1, vcc_lo
	s_xor_b32 s1, exec_lo, s1
	s_cbranch_execz .LBB1593_49
; %bb.48:
	v_lshrrev_b32_e32 v5, 24, v10
	v_mov_b32_e32 v11, 8
	v_and_b32_e32 v25, 0xff0000, v12
	v_perm_b32 v8, v8, v8, 0x3060504
	v_perm_b32 v5, v5, v10, 0x40c0100
	v_lshrrev_b32_sdwa v10, v11, v5 dst_sel:BYTE_1 dst_unused:UNUSED_PAD src0_sel:DWORD src1_sel:DWORD
	v_or_b32_sdwa v10, v5, v10 dst_sel:DWORD dst_unused:UNUSED_PAD src0_sel:BYTE_0 src1_sel:DWORD
	v_and_b32_e32 v10, 0xffff, v10
	v_and_or_b32 v11, 0xff000000, v5, v10
	v_perm_b32 v5, v12, v25, 0x3020504
                                        ; implicit-def: $vgpr10
                                        ; implicit-def: $vgpr12
.LBB1593_49:
	s_andn2_saveexec_b32 s2, s1
	s_cbranch_execz .LBB1593_53
; %bb.50:
	v_add_nc_u32_e32 v5, s17, v21
	v_add_nc_u32_e32 v11, s19, v21
	s_mov_b32 s3, 0
	s_mov_b32 s4, exec_lo
	v_mul_lo_u32 v5, v5, s16
	v_mul_lo_u32 v11, v11, s18
	v_sub_nc_u32_e32 v5, v5, v11
	v_cmp_lt_u32_e32 vcc_lo, s20, v5
	v_cmpx_ge_u32_e64 s20, v5
	s_cbranch_execz .LBB1593_52
; %bb.51:
	v_add_nc_u32_e32 v5, s22, v21
	v_add_nc_u32_e32 v11, s38, v21
	v_mul_lo_u32 v5, v5, s21
	v_mul_lo_u32 v11, v11, s23
	v_sub_nc_u32_e32 v5, v5, v11
	v_cmp_lt_u32_e64 s1, s39, v5
	s_and_b32 s3, s1, exec_lo
.LBB1593_52:
	s_or_b32 exec_lo, exec_lo, s4
	v_mov_b32_e32 v5, 8
	v_mov_b32_e32 v11, 24
	v_cndmask_b32_e64 v26, 0, 1, s3
	v_mov_b32_e32 v27, 0xff
	v_cndmask_b32_e64 v25, 0, 1, vcc_lo
	v_lshrrev_b32_sdwa v28, v5, v10 dst_sel:BYTE_1 dst_unused:UNUSED_PAD src0_sel:DWORD src1_sel:DWORD
	v_lshrrev_b32_sdwa v11, v11, v10 dst_sel:BYTE_1 dst_unused:UNUSED_PAD src0_sel:DWORD src1_sel:DWORD
	;; [unrolled: 1-line block ×3, first 2 shown]
	v_lshlrev_b16 v26, 8, v26
	v_and_b32_sdwa v27, v12, v27 dst_sel:DWORD dst_unused:UNUSED_PAD src0_sel:WORD_1 src1_sel:DWORD
	v_or_b32_sdwa v10, v10, v28 dst_sel:DWORD dst_unused:UNUSED_PAD src0_sel:BYTE_0 src1_sel:DWORD
	v_or_b32_sdwa v11, v25, v11 dst_sel:WORD_1 dst_unused:UNUSED_PAD src0_sel:DWORD src1_sel:DWORD
	v_or_b32_sdwa v5, v12, v5 dst_sel:DWORD dst_unused:UNUSED_PAD src0_sel:BYTE_0 src1_sel:DWORD
	v_or_b32_sdwa v12, v27, v26 dst_sel:WORD_1 dst_unused:UNUSED_PAD src0_sel:DWORD src1_sel:DWORD
	v_or_b32_sdwa v11, v10, v11 dst_sel:DWORD dst_unused:UNUSED_PAD src0_sel:WORD_0 src1_sel:DWORD
	v_or_b32_sdwa v5, v5, v12 dst_sel:DWORD dst_unused:UNUSED_PAD src0_sel:WORD_0 src1_sel:DWORD
.LBB1593_53:
	s_or_b32 exec_lo, exec_lo, s2
	v_add_nc_u32_e32 v10, 3, v34
                                        ; implicit-def: $vgpr35
	v_cmp_le_u32_e32 vcc_lo, s5, v10
                                        ; implicit-def: $vgpr10
	s_and_saveexec_b32 s1, vcc_lo
	s_xor_b32 s1, exec_lo, s1
	s_cbranch_execz .LBB1593_55
; %bb.54:
	v_mov_b32_e32 v10, 24
	v_mov_b32_e32 v12, 0xff
	;; [unrolled: 1-line block ×3, first 2 shown]
	v_and_b32_e32 v26, 0xff0000, v11
	v_perm_b32 v8, v8, v8, 0x3060504
	v_lshrrev_b32_sdwa v10, v10, v9 dst_sel:BYTE_1 dst_unused:UNUSED_PAD src0_sel:DWORD src1_sel:DWORD
	v_and_b32_sdwa v12, v9, v12 dst_sel:DWORD dst_unused:UNUSED_PAD src0_sel:WORD_1 src1_sel:DWORD
	v_lshrrev_b32_sdwa v9, v25, v9 dst_sel:BYTE_1 dst_unused:UNUSED_PAD src0_sel:DWORD src1_sel:DWORD
	v_perm_b32 v35, v11, v26, 0x3020504
	v_perm_b32 v7, v7, v7, 0x3060504
                                        ; implicit-def: $vgpr11
	v_or_b32_sdwa v10, v12, v10 dst_sel:WORD_1 dst_unused:UNUSED_PAD src0_sel:DWORD src1_sel:DWORD
	v_or_b32_sdwa v10, v9, v10 dst_sel:DWORD dst_unused:UNUSED_PAD src0_sel:WORD_0 src1_sel:DWORD
                                        ; implicit-def: $vgpr9
.LBB1593_55:
	s_andn2_saveexec_b32 s2, s1
	s_cbranch_execz .LBB1593_59
; %bb.56:
	v_add_nc_u32_e32 v10, s17, v22
	v_add_nc_u32_e32 v12, s19, v22
	s_mov_b32 s3, 0
	s_mov_b32 s4, exec_lo
	v_mul_lo_u32 v10, v10, s16
	v_mul_lo_u32 v12, v12, s18
	v_sub_nc_u32_e32 v10, v10, v12
	v_cmp_lt_u32_e32 vcc_lo, s20, v10
	v_cmpx_ge_u32_e64 s20, v10
	s_cbranch_execz .LBB1593_58
; %bb.57:
	v_add_nc_u32_e32 v10, s22, v22
	v_add_nc_u32_e32 v12, s38, v22
	v_mul_lo_u32 v10, v10, s21
	v_mul_lo_u32 v12, v12, s23
	v_sub_nc_u32_e32 v10, v10, v12
	v_cmp_lt_u32_e64 s1, s39, v10
	s_and_b32 s3, s1, exec_lo
.LBB1593_58:
	s_or_b32 exec_lo, exec_lo, s4
	v_mov_b32_e32 v10, 8
	v_cndmask_b32_e64 v12, 0, 1, vcc_lo
	v_mov_b32_e32 v25, 0xff
	v_mov_b32_e32 v26, 24
	v_cndmask_b32_e64 v27, 0, 1, s3
	v_lshrrev_b32_sdwa v28, v10, v11 dst_sel:BYTE_1 dst_unused:UNUSED_PAD src0_sel:DWORD src1_sel:DWORD
	v_lshlrev_b16 v12, 8, v12
	v_and_b32_sdwa v29, v11, v25 dst_sel:DWORD dst_unused:UNUSED_PAD src0_sel:WORD_1 src1_sel:DWORD
	v_lshrrev_b32_sdwa v26, v26, v9 dst_sel:BYTE_1 dst_unused:UNUSED_PAD src0_sel:DWORD src1_sel:DWORD
	v_and_b32_sdwa v25, v9, v25 dst_sel:DWORD dst_unused:UNUSED_PAD src0_sel:WORD_1 src1_sel:DWORD
	v_lshrrev_b32_sdwa v9, v10, v9 dst_sel:BYTE_1 dst_unused:UNUSED_PAD src0_sel:DWORD src1_sel:DWORD
	v_or_b32_sdwa v10, v11, v28 dst_sel:DWORD dst_unused:UNUSED_PAD src0_sel:BYTE_0 src1_sel:DWORD
	v_or_b32_sdwa v11, v29, v12 dst_sel:WORD_1 dst_unused:UNUSED_PAD src0_sel:DWORD src1_sel:DWORD
	v_or_b32_sdwa v12, v25, v26 dst_sel:WORD_1 dst_unused:UNUSED_PAD src0_sel:DWORD src1_sel:DWORD
	v_or_b32_e32 v9, v27, v9
	v_or_b32_sdwa v35, v10, v11 dst_sel:DWORD dst_unused:UNUSED_PAD src0_sel:WORD_0 src1_sel:DWORD
	v_or_b32_sdwa v10, v9, v12 dst_sel:DWORD dst_unused:UNUSED_PAD src0_sel:WORD_0 src1_sel:DWORD
.LBB1593_59:
	s_or_b32 exec_lo, exec_lo, s2
	v_add_nc_u32_e32 v9, 4, v34
                                        ; implicit-def: $vgpr11
	v_cmp_le_u32_e32 vcc_lo, s5, v9
                                        ; implicit-def: $vgpr9
	s_and_saveexec_b32 s1, vcc_lo
	s_xor_b32 s1, exec_lo, s1
	s_cbranch_execz .LBB1593_61
; %bb.60:
	v_mov_b32_e32 v9, 24
	v_mov_b32_e32 v11, 0xff
	;; [unrolled: 1-line block ×3, first 2 shown]
	v_perm_b32 v7, v7, v7, 0x3060504
	v_lshrrev_b32_sdwa v25, v9, v8 dst_sel:BYTE_1 dst_unused:UNUSED_PAD src0_sel:DWORD src1_sel:DWORD
	v_and_b32_sdwa v26, v8, v11 dst_sel:DWORD dst_unused:UNUSED_PAD src0_sel:WORD_1 src1_sel:DWORD
	v_lshrrev_b32_sdwa v9, v9, v10 dst_sel:BYTE_1 dst_unused:UNUSED_PAD src0_sel:DWORD src1_sel:DWORD
	v_and_b32_sdwa v11, v10, v11 dst_sel:DWORD dst_unused:UNUSED_PAD src0_sel:WORD_1 src1_sel:DWORD
	v_lshrrev_b32_sdwa v8, v12, v8 dst_sel:BYTE_1 dst_unused:UNUSED_PAD src0_sel:DWORD src1_sel:DWORD
	v_or_b32_sdwa v12, v26, v25 dst_sel:WORD_1 dst_unused:UNUSED_PAD src0_sel:DWORD src1_sel:DWORD
	v_or_b32_e32 v11, v11, v9
	v_or_b32_sdwa v9, v8, v12 dst_sel:DWORD dst_unused:UNUSED_PAD src0_sel:WORD_0 src1_sel:DWORD
                                        ; implicit-def: $vgpr8
	v_perm_b32 v11, v11, v10, 0x5040c00
                                        ; implicit-def: $vgpr10
.LBB1593_61:
	s_andn2_saveexec_b32 s2, s1
	s_cbranch_execz .LBB1593_65
; %bb.62:
	v_add_nc_u32_e32 v9, s17, v19
	v_add_nc_u32_e32 v11, s19, v19
	s_mov_b32 s3, 0
	s_mov_b32 s4, exec_lo
	v_mul_lo_u32 v9, v9, s16
	v_mul_lo_u32 v11, v11, s18
	v_sub_nc_u32_e32 v9, v9, v11
	v_cmp_lt_u32_e32 vcc_lo, s20, v9
	v_cmpx_ge_u32_e64 s20, v9
	s_cbranch_execz .LBB1593_64
; %bb.63:
	v_add_nc_u32_e32 v9, s22, v19
	v_add_nc_u32_e32 v11, s38, v19
	v_mul_lo_u32 v9, v9, s21
	v_mul_lo_u32 v11, v11, s23
	v_sub_nc_u32_e32 v9, v9, v11
	v_cmp_lt_u32_e64 s1, s39, v9
	s_and_b32 s3, s1, exec_lo
.LBB1593_64:
	s_or_b32 exec_lo, exec_lo, s4
	v_mov_b32_e32 v9, 24
	v_mov_b32_e32 v11, 0xff
	;; [unrolled: 1-line block ×3, first 2 shown]
	v_cndmask_b32_e64 v25, 0, 1, s3
	v_cndmask_b32_e64 v26, 0, 1, vcc_lo
	v_lshrrev_b32_sdwa v27, v9, v8 dst_sel:BYTE_1 dst_unused:UNUSED_PAD src0_sel:DWORD src1_sel:DWORD
	v_and_b32_sdwa v28, v8, v11 dst_sel:DWORD dst_unused:UNUSED_PAD src0_sel:WORD_1 src1_sel:DWORD
	v_lshrrev_b32_sdwa v8, v12, v8 dst_sel:BYTE_1 dst_unused:UNUSED_PAD src0_sel:DWORD src1_sel:DWORD
	v_lshlrev_b16 v12, 8, v25
	v_lshrrev_b32_sdwa v9, v9, v10 dst_sel:BYTE_1 dst_unused:UNUSED_PAD src0_sel:DWORD src1_sel:DWORD
	v_and_b32_sdwa v11, v10, v11 dst_sel:DWORD dst_unused:UNUSED_PAD src0_sel:WORD_1 src1_sel:DWORD
	v_or_b32_sdwa v25, v28, v27 dst_sel:WORD_1 dst_unused:UNUSED_PAD src0_sel:DWORD src1_sel:DWORD
	v_or_b32_e32 v8, v26, v8
	v_or_b32_sdwa v10, v10, v12 dst_sel:DWORD dst_unused:UNUSED_PAD src0_sel:BYTE_0 src1_sel:DWORD
	v_or_b32_sdwa v11, v11, v9 dst_sel:WORD_1 dst_unused:UNUSED_PAD src0_sel:DWORD src1_sel:DWORD
	v_or_b32_sdwa v9, v8, v25 dst_sel:DWORD dst_unused:UNUSED_PAD src0_sel:WORD_0 src1_sel:DWORD
	v_or_b32_sdwa v11, v10, v11 dst_sel:DWORD dst_unused:UNUSED_PAD src0_sel:WORD_0 src1_sel:DWORD
.LBB1593_65:
	s_or_b32 exec_lo, exec_lo, s2
	v_add_nc_u32_e32 v8, 5, v34
                                        ; implicit-def: $vgpr10
	v_cmp_le_u32_e32 vcc_lo, s5, v8
                                        ; implicit-def: $vgpr8
	s_and_saveexec_b32 s1, vcc_lo
	s_xor_b32 s1, exec_lo, s1
	s_cbranch_execz .LBB1593_67
; %bb.66:
	v_lshrrev_b32_e32 v8, 24, v11
	v_mov_b32_e32 v10, 8
	v_mov_b32_e32 v12, 0xff
	v_perm_b32 v7, v7, v7, 0x3060504
	v_perm_b32 v8, v8, v11, 0x40c0100
	v_mov_b32_e32 v11, 24
	v_and_b32_sdwa v12, v9, v12 dst_sel:DWORD dst_unused:UNUSED_PAD src0_sel:WORD_1 src1_sel:DWORD
	v_lshrrev_b32_sdwa v10, v10, v8 dst_sel:BYTE_1 dst_unused:UNUSED_PAD src0_sel:DWORD src1_sel:DWORD
	v_lshrrev_b32_sdwa v11, v11, v9 dst_sel:BYTE_1 dst_unused:UNUSED_PAD src0_sel:DWORD src1_sel:DWORD
	v_or_b32_sdwa v10, v8, v10 dst_sel:DWORD dst_unused:UNUSED_PAD src0_sel:BYTE_0 src1_sel:DWORD
	v_or_b32_e32 v11, v12, v11
	v_and_b32_e32 v12, 0xffff, v10
	v_perm_b32 v10, v11, v9, 0x5040c00
                                        ; implicit-def: $vgpr9
                                        ; implicit-def: $vgpr11
	v_and_or_b32 v8, 0xff000000, v8, v12
.LBB1593_67:
	s_andn2_saveexec_b32 s2, s1
	s_cbranch_execz .LBB1593_71
; %bb.68:
	v_add_nc_u32_e32 v8, s17, v20
	v_add_nc_u32_e32 v10, s19, v20
	s_mov_b32 s3, 0
	s_mov_b32 s4, exec_lo
	v_mul_lo_u32 v8, v8, s16
	v_mul_lo_u32 v10, v10, s18
	v_sub_nc_u32_e32 v8, v8, v10
	v_cmp_lt_u32_e32 vcc_lo, s20, v8
	v_cmpx_ge_u32_e64 s20, v8
	s_cbranch_execz .LBB1593_70
; %bb.69:
	v_add_nc_u32_e32 v8, s22, v20
	v_add_nc_u32_e32 v10, s38, v20
	v_mul_lo_u32 v8, v8, s21
	v_mul_lo_u32 v10, v10, s23
	v_sub_nc_u32_e32 v8, v8, v10
	v_cmp_lt_u32_e64 s1, s39, v8
	s_and_b32 s3, s1, exec_lo
.LBB1593_70:
	s_or_b32 exec_lo, exec_lo, s4
	v_cndmask_b32_e64 v8, 0, 1, vcc_lo
	v_mov_b32_e32 v10, 24
	v_mov_b32_e32 v12, 0xff
	v_mov_b32_e32 v25, 8
	v_cndmask_b32_e64 v26, 0, 1, s3
	v_lshlrev_b16 v8, 8, v8
	v_lshrrev_b32_sdwa v27, v10, v9 dst_sel:BYTE_1 dst_unused:UNUSED_PAD src0_sel:DWORD src1_sel:DWORD
	v_and_b32_sdwa v12, v9, v12 dst_sel:DWORD dst_unused:UNUSED_PAD src0_sel:WORD_1 src1_sel:DWORD
	v_lshrrev_b32_sdwa v25, v25, v11 dst_sel:BYTE_1 dst_unused:UNUSED_PAD src0_sel:DWORD src1_sel:DWORD
	v_lshrrev_b32_sdwa v10, v10, v11 dst_sel:BYTE_1 dst_unused:UNUSED_PAD src0_sel:DWORD src1_sel:DWORD
	v_or_b32_sdwa v8, v9, v8 dst_sel:DWORD dst_unused:UNUSED_PAD src0_sel:BYTE_0 src1_sel:DWORD
	v_or_b32_sdwa v9, v12, v27 dst_sel:WORD_1 dst_unused:UNUSED_PAD src0_sel:DWORD src1_sel:DWORD
	v_or_b32_sdwa v11, v11, v25 dst_sel:DWORD dst_unused:UNUSED_PAD src0_sel:BYTE_0 src1_sel:DWORD
	v_or_b32_sdwa v12, v26, v10 dst_sel:WORD_1 dst_unused:UNUSED_PAD src0_sel:DWORD src1_sel:DWORD
	v_or_b32_sdwa v10, v8, v9 dst_sel:DWORD dst_unused:UNUSED_PAD src0_sel:WORD_0 src1_sel:DWORD
	v_or_b32_sdwa v8, v11, v12 dst_sel:DWORD dst_unused:UNUSED_PAD src0_sel:WORD_0 src1_sel:DWORD
.LBB1593_71:
	s_or_b32 exec_lo, exec_lo, s2
	v_add_nc_u32_e32 v9, 6, v34
                                        ; implicit-def: $vgpr36
	v_cmp_le_u32_e32 vcc_lo, s5, v9
                                        ; implicit-def: $vgpr9
	s_and_saveexec_b32 s1, vcc_lo
	s_xor_b32 s1, exec_lo, s1
	s_cbranch_execz .LBB1593_73
; %bb.72:
	v_lshrrev_b32_e32 v9, 24, v10
	v_mov_b32_e32 v11, 8
	v_perm_b32 v7, v7, v7, 0x3060504
	v_perm_b32 v9, v9, v10, 0x40c0100
	v_lshrrev_b32_sdwa v10, v11, v9 dst_sel:BYTE_1 dst_unused:UNUSED_PAD src0_sel:DWORD src1_sel:DWORD
	v_and_b32_e32 v11, 0xff0000, v8
	v_or_b32_sdwa v10, v9, v10 dst_sel:DWORD dst_unused:UNUSED_PAD src0_sel:BYTE_0 src1_sel:DWORD
	v_perm_b32 v36, v8, v11, 0x3020504
                                        ; implicit-def: $vgpr8
	v_and_b32_e32 v10, 0xffff, v10
	v_and_or_b32 v9, 0xff000000, v9, v10
                                        ; implicit-def: $vgpr10
.LBB1593_73:
	s_andn2_saveexec_b32 s2, s1
	s_cbranch_execz .LBB1593_77
; %bb.74:
	v_add_nc_u32_e32 v9, s17, v17
	v_add_nc_u32_e32 v11, s19, v17
	s_mov_b32 s3, 0
	s_mov_b32 s4, exec_lo
	v_mul_lo_u32 v9, v9, s16
	v_mul_lo_u32 v11, v11, s18
	v_sub_nc_u32_e32 v9, v9, v11
	v_cmp_lt_u32_e32 vcc_lo, s20, v9
	v_cmpx_ge_u32_e64 s20, v9
	s_cbranch_execz .LBB1593_76
; %bb.75:
	v_add_nc_u32_e32 v9, s22, v17
	v_add_nc_u32_e32 v11, s38, v17
	v_mul_lo_u32 v9, v9, s21
	v_mul_lo_u32 v11, v11, s23
	v_sub_nc_u32_e32 v9, v9, v11
	v_cmp_lt_u32_e64 s1, s39, v9
	s_and_b32 s3, s1, exec_lo
.LBB1593_76:
	s_or_b32 exec_lo, exec_lo, s4
	v_mov_b32_e32 v9, 8
	v_mov_b32_e32 v11, 24
	v_cndmask_b32_e64 v25, 0, 1, s3
	v_mov_b32_e32 v26, 0xff
	v_cndmask_b32_e64 v12, 0, 1, vcc_lo
	v_lshrrev_b32_sdwa v27, v9, v10 dst_sel:BYTE_1 dst_unused:UNUSED_PAD src0_sel:DWORD src1_sel:DWORD
	v_lshrrev_b32_sdwa v11, v11, v10 dst_sel:BYTE_1 dst_unused:UNUSED_PAD src0_sel:DWORD src1_sel:DWORD
	;; [unrolled: 1-line block ×3, first 2 shown]
	v_lshlrev_b16 v25, 8, v25
	v_and_b32_sdwa v26, v8, v26 dst_sel:DWORD dst_unused:UNUSED_PAD src0_sel:WORD_1 src1_sel:DWORD
	v_or_b32_sdwa v10, v10, v27 dst_sel:DWORD dst_unused:UNUSED_PAD src0_sel:BYTE_0 src1_sel:DWORD
	v_or_b32_sdwa v11, v12, v11 dst_sel:WORD_1 dst_unused:UNUSED_PAD src0_sel:DWORD src1_sel:DWORD
	v_or_b32_sdwa v8, v8, v9 dst_sel:DWORD dst_unused:UNUSED_PAD src0_sel:BYTE_0 src1_sel:DWORD
	v_or_b32_sdwa v12, v26, v25 dst_sel:WORD_1 dst_unused:UNUSED_PAD src0_sel:DWORD src1_sel:DWORD
	v_or_b32_sdwa v9, v10, v11 dst_sel:DWORD dst_unused:UNUSED_PAD src0_sel:WORD_0 src1_sel:DWORD
	v_or_b32_sdwa v36, v8, v12 dst_sel:DWORD dst_unused:UNUSED_PAD src0_sel:WORD_0 src1_sel:DWORD
.LBB1593_77:
	s_or_b32 exec_lo, exec_lo, s2
	v_add_nc_u32_e32 v8, 7, v34
                                        ; implicit-def: $vgpr37
	v_cmp_le_u32_e32 vcc_lo, s5, v8
                                        ; implicit-def: $vgpr8
	s_and_saveexec_b32 s1, vcc_lo
	s_xor_b32 s1, exec_lo, s1
	s_cbranch_execz .LBB1593_79
; %bb.78:
	v_mov_b32_e32 v8, 24
	v_mov_b32_e32 v10, 0xff
	;; [unrolled: 1-line block ×3, first 2 shown]
	v_lshrrev_b32_sdwa v8, v8, v7 dst_sel:BYTE_1 dst_unused:UNUSED_PAD src0_sel:DWORD src1_sel:DWORD
	v_and_b32_sdwa v10, v7, v10 dst_sel:DWORD dst_unused:UNUSED_PAD src0_sel:WORD_1 src1_sel:DWORD
	v_lshrrev_b32_sdwa v7, v11, v7 dst_sel:BYTE_1 dst_unused:UNUSED_PAD src0_sel:DWORD src1_sel:DWORD
	v_and_b32_e32 v11, 0xff0000, v9
	v_or_b32_sdwa v8, v10, v8 dst_sel:WORD_1 dst_unused:UNUSED_PAD src0_sel:DWORD src1_sel:DWORD
	v_perm_b32 v37, v9, v11, 0x3020504
                                        ; implicit-def: $vgpr9
	v_or_b32_sdwa v8, v7, v8 dst_sel:DWORD dst_unused:UNUSED_PAD src0_sel:WORD_0 src1_sel:DWORD
                                        ; implicit-def: $vgpr7
.LBB1593_79:
	s_andn2_saveexec_b32 s2, s1
	s_cbranch_execz .LBB1593_83
; %bb.80:
	v_add_nc_u32_e32 v8, s17, v18
	v_add_nc_u32_e32 v10, s19, v18
	s_mov_b32 s3, 0
	s_mov_b32 s4, exec_lo
	v_mul_lo_u32 v8, v8, s16
	v_mul_lo_u32 v10, v10, s18
	v_sub_nc_u32_e32 v8, v8, v10
	v_cmp_lt_u32_e32 vcc_lo, s20, v8
	v_cmpx_ge_u32_e64 s20, v8
	s_cbranch_execz .LBB1593_82
; %bb.81:
	v_add_nc_u32_e32 v8, s22, v18
	v_add_nc_u32_e32 v10, s38, v18
	v_mul_lo_u32 v8, v8, s21
	v_mul_lo_u32 v10, v10, s23
	v_sub_nc_u32_e32 v8, v8, v10
	v_cmp_lt_u32_e64 s1, s39, v8
	s_and_b32 s3, s1, exec_lo
.LBB1593_82:
	s_or_b32 exec_lo, exec_lo, s4
	v_mov_b32_e32 v8, 8
	v_cndmask_b32_e64 v10, 0, 1, vcc_lo
	v_mov_b32_e32 v11, 0xff
	v_mov_b32_e32 v12, 24
	v_cndmask_b32_e64 v25, 0, 1, s3
	v_lshrrev_b32_sdwa v26, v8, v9 dst_sel:BYTE_1 dst_unused:UNUSED_PAD src0_sel:DWORD src1_sel:DWORD
	v_lshlrev_b16 v10, 8, v10
	v_and_b32_sdwa v27, v9, v11 dst_sel:DWORD dst_unused:UNUSED_PAD src0_sel:WORD_1 src1_sel:DWORD
	v_lshrrev_b32_sdwa v12, v12, v7 dst_sel:BYTE_1 dst_unused:UNUSED_PAD src0_sel:DWORD src1_sel:DWORD
	v_and_b32_sdwa v11, v7, v11 dst_sel:DWORD dst_unused:UNUSED_PAD src0_sel:WORD_1 src1_sel:DWORD
	v_lshrrev_b32_sdwa v7, v8, v7 dst_sel:BYTE_1 dst_unused:UNUSED_PAD src0_sel:DWORD src1_sel:DWORD
	v_or_b32_sdwa v8, v9, v26 dst_sel:DWORD dst_unused:UNUSED_PAD src0_sel:BYTE_0 src1_sel:DWORD
	v_or_b32_sdwa v9, v27, v10 dst_sel:WORD_1 dst_unused:UNUSED_PAD src0_sel:DWORD src1_sel:DWORD
	v_or_b32_sdwa v10, v11, v12 dst_sel:WORD_1 dst_unused:UNUSED_PAD src0_sel:DWORD src1_sel:DWORD
	v_or_b32_e32 v7, v25, v7
	v_or_b32_sdwa v37, v8, v9 dst_sel:DWORD dst_unused:UNUSED_PAD src0_sel:WORD_0 src1_sel:DWORD
	v_or_b32_sdwa v8, v7, v10 dst_sel:DWORD dst_unused:UNUSED_PAD src0_sel:WORD_0 src1_sel:DWORD
.LBB1593_83:
	s_or_b32 exec_lo, exec_lo, s2
	v_add_nc_u32_e32 v7, 8, v34
                                        ; implicit-def: $vgpr9
	v_cmp_le_u32_e32 vcc_lo, s5, v7
                                        ; implicit-def: $vgpr7
	s_and_saveexec_b32 s1, vcc_lo
	s_xor_b32 s1, exec_lo, s1
	s_cbranch_execz .LBB1593_85
; %bb.84:
	v_mov_b32_e32 v7, 24
	v_mov_b32_e32 v9, 0xff
	;; [unrolled: 1-line block ×3, first 2 shown]
	v_perm_b32 v5, v5, v5, 0x3060504
	v_lshrrev_b32_sdwa v11, v7, v8 dst_sel:BYTE_1 dst_unused:UNUSED_PAD src0_sel:DWORD src1_sel:DWORD
	v_lshrrev_b32_sdwa v7, v7, v6 dst_sel:BYTE_1 dst_unused:UNUSED_PAD src0_sel:DWORD src1_sel:DWORD
	v_and_b32_sdwa v12, v6, v9 dst_sel:DWORD dst_unused:UNUSED_PAD src0_sel:WORD_1 src1_sel:DWORD
	v_and_b32_sdwa v9, v8, v9 dst_sel:DWORD dst_unused:UNUSED_PAD src0_sel:WORD_1 src1_sel:DWORD
	v_lshrrev_b32_sdwa v6, v10, v6 dst_sel:BYTE_1 dst_unused:UNUSED_PAD src0_sel:DWORD src1_sel:DWORD
	v_or_b32_sdwa v7, v12, v7 dst_sel:WORD_1 dst_unused:UNUSED_PAD src0_sel:DWORD src1_sel:DWORD
	v_or_b32_e32 v9, v9, v11
	v_or_b32_sdwa v7, v6, v7 dst_sel:DWORD dst_unused:UNUSED_PAD src0_sel:WORD_0 src1_sel:DWORD
	v_perm_b32 v9, v9, v8, 0x5040c00
                                        ; implicit-def: $vgpr6
                                        ; implicit-def: $vgpr8
.LBB1593_85:
	s_andn2_saveexec_b32 s2, s1
	s_cbranch_execz .LBB1593_89
; %bb.86:
	v_add_nc_u32_e32 v7, s17, v15
	v_add_nc_u32_e32 v9, s19, v15
	s_mov_b32 s3, 0
	s_mov_b32 s4, exec_lo
	v_mul_lo_u32 v7, v7, s16
	v_mul_lo_u32 v9, v9, s18
	v_sub_nc_u32_e32 v7, v7, v9
	v_cmp_lt_u32_e32 vcc_lo, s20, v7
	v_cmpx_ge_u32_e64 s20, v7
	s_cbranch_execz .LBB1593_88
; %bb.87:
	v_add_nc_u32_e32 v7, s22, v15
	v_add_nc_u32_e32 v9, s38, v15
	v_mul_lo_u32 v7, v7, s21
	v_mul_lo_u32 v9, v9, s23
	v_sub_nc_u32_e32 v7, v7, v9
	v_cmp_lt_u32_e64 s1, s39, v7
	s_and_b32 s3, s1, exec_lo
.LBB1593_88:
	s_or_b32 exec_lo, exec_lo, s4
	v_mov_b32_e32 v7, 24
	v_mov_b32_e32 v9, 0xff
	;; [unrolled: 1-line block ×3, first 2 shown]
	v_cndmask_b32_e64 v11, 0, 1, s3
	v_cndmask_b32_e64 v12, 0, 1, vcc_lo
	v_lshrrev_b32_sdwa v25, v7, v6 dst_sel:BYTE_1 dst_unused:UNUSED_PAD src0_sel:DWORD src1_sel:DWORD
	v_and_b32_sdwa v26, v6, v9 dst_sel:DWORD dst_unused:UNUSED_PAD src0_sel:WORD_1 src1_sel:DWORD
	v_lshrrev_b32_sdwa v6, v10, v6 dst_sel:BYTE_1 dst_unused:UNUSED_PAD src0_sel:DWORD src1_sel:DWORD
	v_lshlrev_b16 v10, 8, v11
	v_lshrrev_b32_sdwa v7, v7, v8 dst_sel:BYTE_1 dst_unused:UNUSED_PAD src0_sel:DWORD src1_sel:DWORD
	v_and_b32_sdwa v9, v8, v9 dst_sel:DWORD dst_unused:UNUSED_PAD src0_sel:WORD_1 src1_sel:DWORD
	v_or_b32_sdwa v11, v26, v25 dst_sel:WORD_1 dst_unused:UNUSED_PAD src0_sel:DWORD src1_sel:DWORD
	v_or_b32_e32 v6, v12, v6
	v_or_b32_sdwa v8, v8, v10 dst_sel:DWORD dst_unused:UNUSED_PAD src0_sel:BYTE_0 src1_sel:DWORD
	v_or_b32_sdwa v9, v9, v7 dst_sel:WORD_1 dst_unused:UNUSED_PAD src0_sel:DWORD src1_sel:DWORD
	v_or_b32_sdwa v7, v6, v11 dst_sel:DWORD dst_unused:UNUSED_PAD src0_sel:WORD_0 src1_sel:DWORD
	v_or_b32_sdwa v9, v8, v9 dst_sel:DWORD dst_unused:UNUSED_PAD src0_sel:WORD_0 src1_sel:DWORD
.LBB1593_89:
	s_or_b32 exec_lo, exec_lo, s2
	v_add_nc_u32_e32 v6, 9, v34
                                        ; implicit-def: $vgpr8
	v_cmp_le_u32_e32 vcc_lo, s5, v6
                                        ; implicit-def: $vgpr6
	s_and_saveexec_b32 s1, vcc_lo
	s_xor_b32 s1, exec_lo, s1
	s_cbranch_execz .LBB1593_91
; %bb.90:
	v_lshrrev_b32_e32 v6, 24, v9
	v_mov_b32_e32 v8, 8
	v_mov_b32_e32 v10, 0xff
	v_perm_b32 v5, v5, v5, 0x3060504
	v_perm_b32 v6, v6, v9, 0x40c0100
	v_mov_b32_e32 v9, 24
	v_and_b32_sdwa v10, v7, v10 dst_sel:DWORD dst_unused:UNUSED_PAD src0_sel:WORD_1 src1_sel:DWORD
	v_lshrrev_b32_sdwa v8, v8, v6 dst_sel:BYTE_1 dst_unused:UNUSED_PAD src0_sel:DWORD src1_sel:DWORD
	v_lshrrev_b32_sdwa v9, v9, v7 dst_sel:BYTE_1 dst_unused:UNUSED_PAD src0_sel:DWORD src1_sel:DWORD
	v_or_b32_sdwa v8, v6, v8 dst_sel:DWORD dst_unused:UNUSED_PAD src0_sel:BYTE_0 src1_sel:DWORD
	v_or_b32_e32 v9, v10, v9
	v_and_b32_e32 v10, 0xffff, v8
	v_perm_b32 v8, v9, v7, 0x5040c00
                                        ; implicit-def: $vgpr7
                                        ; implicit-def: $vgpr9
	v_and_or_b32 v6, 0xff000000, v6, v10
.LBB1593_91:
	s_andn2_saveexec_b32 s2, s1
	s_cbranch_execz .LBB1593_95
; %bb.92:
	v_add_nc_u32_e32 v6, s17, v16
	v_add_nc_u32_e32 v8, s19, v16
	s_mov_b32 s3, 0
	s_mov_b32 s4, exec_lo
	v_mul_lo_u32 v6, v6, s16
	v_mul_lo_u32 v8, v8, s18
	v_sub_nc_u32_e32 v6, v6, v8
	v_cmp_lt_u32_e32 vcc_lo, s20, v6
	v_cmpx_ge_u32_e64 s20, v6
	s_cbranch_execz .LBB1593_94
; %bb.93:
	v_add_nc_u32_e32 v6, s22, v16
	v_add_nc_u32_e32 v8, s38, v16
	v_mul_lo_u32 v6, v6, s21
	v_mul_lo_u32 v8, v8, s23
	v_sub_nc_u32_e32 v6, v6, v8
	v_cmp_lt_u32_e64 s1, s39, v6
	s_and_b32 s3, s1, exec_lo
.LBB1593_94:
	s_or_b32 exec_lo, exec_lo, s4
	v_cndmask_b32_e64 v6, 0, 1, vcc_lo
	v_mov_b32_e32 v8, 24
	v_mov_b32_e32 v10, 0xff
	;; [unrolled: 1-line block ×3, first 2 shown]
	v_cndmask_b32_e64 v12, 0, 1, s3
	v_lshlrev_b16 v6, 8, v6
	v_lshrrev_b32_sdwa v25, v8, v7 dst_sel:BYTE_1 dst_unused:UNUSED_PAD src0_sel:DWORD src1_sel:DWORD
	v_and_b32_sdwa v10, v7, v10 dst_sel:DWORD dst_unused:UNUSED_PAD src0_sel:WORD_1 src1_sel:DWORD
	v_lshrrev_b32_sdwa v11, v11, v9 dst_sel:BYTE_1 dst_unused:UNUSED_PAD src0_sel:DWORD src1_sel:DWORD
	v_lshrrev_b32_sdwa v8, v8, v9 dst_sel:BYTE_1 dst_unused:UNUSED_PAD src0_sel:DWORD src1_sel:DWORD
	v_or_b32_sdwa v6, v7, v6 dst_sel:DWORD dst_unused:UNUSED_PAD src0_sel:BYTE_0 src1_sel:DWORD
	v_or_b32_sdwa v7, v10, v25 dst_sel:WORD_1 dst_unused:UNUSED_PAD src0_sel:DWORD src1_sel:DWORD
	v_or_b32_sdwa v9, v9, v11 dst_sel:DWORD dst_unused:UNUSED_PAD src0_sel:BYTE_0 src1_sel:DWORD
	v_or_b32_sdwa v10, v12, v8 dst_sel:WORD_1 dst_unused:UNUSED_PAD src0_sel:DWORD src1_sel:DWORD
	v_or_b32_sdwa v8, v6, v7 dst_sel:DWORD dst_unused:UNUSED_PAD src0_sel:WORD_0 src1_sel:DWORD
	v_or_b32_sdwa v6, v9, v10 dst_sel:DWORD dst_unused:UNUSED_PAD src0_sel:WORD_0 src1_sel:DWORD
.LBB1593_95:
	s_or_b32 exec_lo, exec_lo, s2
	v_add_nc_u32_e32 v7, 10, v34
                                        ; implicit-def: $vgpr38
	v_cmp_le_u32_e32 vcc_lo, s5, v7
                                        ; implicit-def: $vgpr7
	s_and_saveexec_b32 s1, vcc_lo
	s_xor_b32 s1, exec_lo, s1
	s_cbranch_execz .LBB1593_97
; %bb.96:
	v_lshrrev_b32_e32 v7, 24, v8
	v_mov_b32_e32 v9, 8
	v_perm_b32 v5, v5, v5, 0x3060504
	v_perm_b32 v7, v7, v8, 0x40c0100
	v_lshrrev_b32_sdwa v8, v9, v7 dst_sel:BYTE_1 dst_unused:UNUSED_PAD src0_sel:DWORD src1_sel:DWORD
	v_and_b32_e32 v9, 0xff0000, v6
	v_or_b32_sdwa v8, v7, v8 dst_sel:DWORD dst_unused:UNUSED_PAD src0_sel:BYTE_0 src1_sel:DWORD
	v_perm_b32 v38, v6, v9, 0x3020504
                                        ; implicit-def: $vgpr6
	v_and_b32_e32 v8, 0xffff, v8
	v_and_or_b32 v7, 0xff000000, v7, v8
                                        ; implicit-def: $vgpr8
.LBB1593_97:
	s_andn2_saveexec_b32 s2, s1
	s_cbranch_execz .LBB1593_101
; %bb.98:
	v_add_nc_u32_e32 v7, s17, v13
	v_add_nc_u32_e32 v9, s19, v13
	s_mov_b32 s3, 0
	s_mov_b32 s4, exec_lo
	v_mul_lo_u32 v7, v7, s16
	v_mul_lo_u32 v9, v9, s18
	v_sub_nc_u32_e32 v7, v7, v9
	v_cmp_lt_u32_e32 vcc_lo, s20, v7
	v_cmpx_ge_u32_e64 s20, v7
	s_cbranch_execz .LBB1593_100
; %bb.99:
	v_add_nc_u32_e32 v7, s22, v13
	v_add_nc_u32_e32 v9, s38, v13
	v_mul_lo_u32 v7, v7, s21
	v_mul_lo_u32 v9, v9, s23
	v_sub_nc_u32_e32 v7, v7, v9
	v_cmp_lt_u32_e64 s1, s39, v7
	s_and_b32 s3, s1, exec_lo
.LBB1593_100:
	s_or_b32 exec_lo, exec_lo, s4
	v_mov_b32_e32 v7, 8
	v_mov_b32_e32 v9, 24
	v_cndmask_b32_e64 v11, 0, 1, s3
	v_mov_b32_e32 v12, 0xff
	v_cndmask_b32_e64 v10, 0, 1, vcc_lo
	v_lshrrev_b32_sdwa v25, v7, v8 dst_sel:BYTE_1 dst_unused:UNUSED_PAD src0_sel:DWORD src1_sel:DWORD
	v_lshrrev_b32_sdwa v9, v9, v8 dst_sel:BYTE_1 dst_unused:UNUSED_PAD src0_sel:DWORD src1_sel:DWORD
	;; [unrolled: 1-line block ×3, first 2 shown]
	v_lshlrev_b16 v11, 8, v11
	v_and_b32_sdwa v12, v6, v12 dst_sel:DWORD dst_unused:UNUSED_PAD src0_sel:WORD_1 src1_sel:DWORD
	v_or_b32_sdwa v8, v8, v25 dst_sel:DWORD dst_unused:UNUSED_PAD src0_sel:BYTE_0 src1_sel:DWORD
	v_or_b32_sdwa v9, v10, v9 dst_sel:WORD_1 dst_unused:UNUSED_PAD src0_sel:DWORD src1_sel:DWORD
	v_or_b32_sdwa v6, v6, v7 dst_sel:DWORD dst_unused:UNUSED_PAD src0_sel:BYTE_0 src1_sel:DWORD
	v_or_b32_sdwa v10, v12, v11 dst_sel:WORD_1 dst_unused:UNUSED_PAD src0_sel:DWORD src1_sel:DWORD
	v_or_b32_sdwa v7, v8, v9 dst_sel:DWORD dst_unused:UNUSED_PAD src0_sel:WORD_0 src1_sel:DWORD
	v_or_b32_sdwa v38, v6, v10 dst_sel:DWORD dst_unused:UNUSED_PAD src0_sel:WORD_0 src1_sel:DWORD
.LBB1593_101:
	s_or_b32 exec_lo, exec_lo, s2
	v_add_nc_u32_e32 v6, 11, v34
	v_mov_b32_e32 v39, 0
	s_mov_b32 s1, exec_lo
                                        ; implicit-def: $vgpr40
	v_cmpx_le_u32_e64 s5, v6
	s_xor_b32 s1, exec_lo, s1
; %bb.102:
	v_and_b32_e32 v6, 0xff0000, v7
	v_perm_b32 v5, v5, v5, 0x3060504
	v_perm_b32 v40, v7, v6, 0x3020504
                                        ; implicit-def: $vgpr7
; %bb.103:
	s_andn2_saveexec_b32 s2, s1
	s_cbranch_execz .LBB1593_107
; %bb.104:
	v_add_nc_u32_e32 v6, s17, v14
	v_add_nc_u32_e32 v8, s19, v14
	s_mov_b32 s3, 0
	s_mov_b32 s4, exec_lo
	v_mul_lo_u32 v6, v6, s16
	v_mul_lo_u32 v8, v8, s18
	v_sub_nc_u32_e32 v6, v6, v8
	v_cmp_lt_u32_e32 vcc_lo, s20, v6
	v_cmpx_ge_u32_e64 s20, v6
	s_cbranch_execz .LBB1593_106
; %bb.105:
	v_add_nc_u32_e32 v6, s22, v14
	v_add_nc_u32_e32 v8, s38, v14
	v_mul_lo_u32 v6, v6, s21
	v_mul_lo_u32 v8, v8, s23
	v_sub_nc_u32_e32 v6, v6, v8
	v_cmp_lt_u32_e64 s1, s39, v6
	s_and_b32 s3, s1, exec_lo
.LBB1593_106:
	s_or_b32 exec_lo, exec_lo, s4
	v_mov_b32_e32 v6, 8
	v_cndmask_b32_e64 v8, 0, 1, vcc_lo
	v_mov_b32_e32 v9, 0xff
	v_cndmask_b32_e64 v39, 0, 1, s3
	v_lshrrev_b32_sdwa v6, v6, v7 dst_sel:BYTE_1 dst_unused:UNUSED_PAD src0_sel:DWORD src1_sel:DWORD
	v_lshlrev_b16 v8, 8, v8
	v_and_b32_sdwa v9, v7, v9 dst_sel:DWORD dst_unused:UNUSED_PAD src0_sel:WORD_1 src1_sel:DWORD
	v_or_b32_sdwa v6, v7, v6 dst_sel:DWORD dst_unused:UNUSED_PAD src0_sel:BYTE_0 src1_sel:DWORD
	v_or_b32_sdwa v7, v9, v8 dst_sel:WORD_1 dst_unused:UNUSED_PAD src0_sel:DWORD src1_sel:DWORD
	v_or_b32_sdwa v40, v6, v7 dst_sel:DWORD dst_unused:UNUSED_PAD src0_sel:WORD_0 src1_sel:DWORD
.LBB1593_107:
	s_or_b32 exec_lo, exec_lo, s2
	v_add_nc_u32_e32 v6, 12, v34
	s_mov_b32 s1, exec_lo
                                        ; implicit-def: $vgpr41
	v_cmpx_le_u32_e64 s5, v6
	s_xor_b32 s1, exec_lo, s1
	s_cbranch_execz .LBB1593_109
; %bb.108:
	v_mov_b32_e32 v6, 24
	v_mov_b32_e32 v7, 0xff
	;; [unrolled: 1-line block ×3, first 2 shown]
	v_lshrrev_b32_sdwa v6, v6, v5 dst_sel:BYTE_1 dst_unused:UNUSED_PAD src0_sel:DWORD src1_sel:DWORD
	v_and_b32_sdwa v7, v5, v7 dst_sel:DWORD dst_unused:UNUSED_PAD src0_sel:WORD_1 src1_sel:DWORD
	v_lshrrev_b32_sdwa v5, v8, v5 dst_sel:BYTE_1 dst_unused:UNUSED_PAD src0_sel:DWORD src1_sel:DWORD
	v_or_b32_sdwa v6, v7, v6 dst_sel:WORD_1 dst_unused:UNUSED_PAD src0_sel:DWORD src1_sel:DWORD
	v_or_b32_sdwa v41, v5, v6 dst_sel:DWORD dst_unused:UNUSED_PAD src0_sel:WORD_0 src1_sel:DWORD
                                        ; implicit-def: $vgpr5
.LBB1593_109:
	s_or_saveexec_b32 s2, s1
	v_mov_b32_e32 v42, 0
	s_xor_b32 exec_lo, exec_lo, s2
	s_cbranch_execz .LBB1593_113
; %bb.110:
	v_add_nc_u32_e32 v6, s17, v33
	v_add_nc_u32_e32 v7, s19, v33
	s_mov_b32 s3, 0
	s_mov_b32 s4, exec_lo
	v_mul_lo_u32 v6, v6, s16
	v_mul_lo_u32 v7, v7, s18
	v_sub_nc_u32_e32 v6, v6, v7
	v_cmp_lt_u32_e32 vcc_lo, s20, v6
	v_cmpx_ge_u32_e64 s20, v6
	s_cbranch_execz .LBB1593_112
; %bb.111:
	v_add_nc_u32_e32 v6, s22, v33
	v_add_nc_u32_e32 v7, s38, v33
	v_mul_lo_u32 v6, v6, s21
	v_mul_lo_u32 v7, v7, s23
	v_sub_nc_u32_e32 v6, v6, v7
	v_cmp_lt_u32_e64 s1, s39, v6
	s_and_b32 s3, s1, exec_lo
.LBB1593_112:
	s_or_b32 exec_lo, exec_lo, s4
	v_mov_b32_e32 v6, 24
	v_mov_b32_e32 v7, 0xff
	v_mov_b32_e32 v8, 8
	v_cndmask_b32_e64 v9, 0, 1, vcc_lo
	v_cndmask_b32_e64 v42, 0, 1, s3
	v_lshrrev_b32_sdwa v6, v6, v5 dst_sel:BYTE_1 dst_unused:UNUSED_PAD src0_sel:DWORD src1_sel:DWORD
	v_and_b32_sdwa v7, v5, v7 dst_sel:DWORD dst_unused:UNUSED_PAD src0_sel:WORD_1 src1_sel:DWORD
	v_lshrrev_b32_sdwa v5, v8, v5 dst_sel:BYTE_1 dst_unused:UNUSED_PAD src0_sel:DWORD src1_sel:DWORD
	v_or_b32_sdwa v6, v7, v6 dst_sel:WORD_1 dst_unused:UNUSED_PAD src0_sel:DWORD src1_sel:DWORD
	v_or_b32_e32 v5, v9, v5
	v_or_b32_sdwa v41, v5, v6 dst_sel:DWORD dst_unused:UNUSED_PAD src0_sel:WORD_0 src1_sel:DWORD
.LBB1593_113:
	s_or_b32 exec_lo, exec_lo, s2
.LBB1593_114:
	v_and_b32_e32 v65, 0xff, v35
	v_bfe_u32 v66, v41, 8, 8
	v_bfe_u32 v62, v35, 8, 8
	;; [unrolled: 1-line block ×4, first 2 shown]
	v_lshrrev_b32_e32 v48, 24, v41
	v_lshrrev_b32_e32 v47, 24, v35
	v_and_b32_e32 v61, 0xff, v36
	v_and_b32_e32 v59, 0xff, v37
	v_bfe_u32 v60, v36, 8, 8
	v_add3_u32 v5, v62, v65, v64
	v_add3_u32 v6, v63, v66, v48
	v_bfe_u32 v57, v37, 8, 8
	v_bfe_u32 v58, v36, 16, 8
	;; [unrolled: 1-line block ×3, first 2 shown]
	v_lshrrev_b32_e32 v46, 24, v36
	v_add3_u32 v5, v5, v47, v59
	v_add3_u32 v6, v6, v61, v60
	v_lshrrev_b32_e32 v45, 24, v37
	v_and_b32_e32 v56, 0xff, v38
	v_and_b32_e32 v54, 0xff, v40
	v_bfe_u32 v55, v38, 8, 8
	v_add3_u32 v5, v5, v57, v52
	v_add3_u32 v6, v6, v58, v46
	v_bfe_u32 v51, v40, 8, 8
	v_bfe_u32 v53, v38, 16, 8
	;; [unrolled: 1-line block ×3, first 2 shown]
	v_lshrrev_b32_e32 v44, 24, v38
	v_add3_u32 v5, v5, v45, v54
	v_add3_u32 v6, v6, v56, v55
	v_mbcnt_lo_u32_b32 v67, -1, 0
	v_lshrrev_b32_e32 v43, 24, v40
	v_and_b32_e32 v50, 0xff, v39
	v_and_b32_e32 v7, 0xff, v41
	v_and_b32_e32 v8, 0xff, v42
	v_add3_u32 v5, v5, v51, v49
	v_add3_u32 v6, v6, v53, v44
	v_and_b32_e32 v69, 15, v67
	v_and_b32_e32 v71, 16, v67
	v_lshrrev_b32_e32 v68, 5, v0
	v_add3_u32 v72, v5, v43, v7
	v_add3_u32 v73, v6, v50, v8
	v_cmp_eq_u32_e64 s2, 0, v69
	v_cmp_lt_u32_e64 s1, 1, v69
	v_cmp_lt_u32_e64 s3, 3, v69
	v_or_b32_e32 v70, 31, v0
	s_cmp_lg_u32 s27, 0
	s_mov_b32 s4, -1
	v_cmp_lt_u32_e32 vcc_lo, 7, v69
	s_cbranch_scc0 .LBB1593_136
; %bb.115:
	v_mov_b32_dpp v5, v73 row_shr:1 row_mask:0xf bank_mask:0xf
	v_mov_b32_dpp v6, v72 row_shr:1 row_mask:0xf bank_mask:0xf
	s_mov_b32 s4, exec_lo
	v_add_nc_u32_e32 v5, v5, v73
	v_add_nc_u32_e32 v6, v6, v72
	v_cndmask_b32_e64 v5, v5, v73, s2
	v_cndmask_b32_e64 v6, v6, v72, s2
	v_mov_b32_dpp v7, v5 row_shr:2 row_mask:0xf bank_mask:0xf
	v_mov_b32_dpp v8, v6 row_shr:2 row_mask:0xf bank_mask:0xf
	v_add_nc_u32_e32 v7, v5, v7
	v_add_nc_u32_e32 v8, v6, v8
	v_cndmask_b32_e64 v5, v5, v7, s1
	v_cndmask_b32_e64 v6, v6, v8, s1
	v_mov_b32_dpp v7, v5 row_shr:4 row_mask:0xf bank_mask:0xf
	v_mov_b32_dpp v8, v6 row_shr:4 row_mask:0xf bank_mask:0xf
	;; [unrolled: 6-line block ×3, first 2 shown]
	v_add_nc_u32_e32 v7, v5, v7
	v_add_nc_u32_e32 v8, v6, v8
	v_cndmask_b32_e32 v5, v5, v7, vcc_lo
	v_cndmask_b32_e32 v6, v6, v8, vcc_lo
	v_cmp_eq_u32_e32 vcc_lo, 0, v71
	ds_swizzle_b32 v7, v5 offset:swizzle(BROADCAST,32,15)
	ds_swizzle_b32 v8, v6 offset:swizzle(BROADCAST,32,15)
	s_waitcnt lgkmcnt(1)
	v_add_nc_u32_e32 v7, v5, v7
	s_waitcnt lgkmcnt(0)
	v_add_nc_u32_e32 v8, v6, v8
	v_cmpx_eq_u32_e64 v0, v70
	s_cbranch_execz .LBB1593_117
; %bb.116:
	v_lshlrev_b32_e32 v11, 3, v68
	v_cndmask_b32_e32 v10, v7, v5, vcc_lo
	v_cndmask_b32_e32 v9, v8, v6, vcc_lo
	ds_write_b64 v11, v[9:10]
.LBB1593_117:
	s_or_b32 exec_lo, exec_lo, s4
	s_mov_b32 s4, exec_lo
	s_waitcnt lgkmcnt(0)
	s_barrier
	buffer_gl0_inv
	v_cmpx_gt_u32_e32 8, v0
	s_cbranch_execz .LBB1593_119
; %bb.118:
	v_lshlrev_b32_e32 v11, 3, v0
	v_and_b32_e32 v26, 7, v67
	ds_read_b64 v[9:10], v11
	v_cmp_eq_u32_e64 s3, 0, v26
	s_waitcnt lgkmcnt(0)
	v_mov_b32_dpp v12, v9 row_shr:1 row_mask:0xf bank_mask:0xf
	v_mov_b32_dpp v25, v10 row_shr:1 row_mask:0xf bank_mask:0xf
	v_add_nc_u32_e32 v12, v12, v9
	v_add_nc_u32_e32 v25, v25, v10
	v_cndmask_b32_e64 v9, v12, v9, s3
	v_cndmask_b32_e64 v10, v25, v10, s3
	v_cmp_lt_u32_e64 s3, 1, v26
	v_mov_b32_dpp v12, v9 row_shr:2 row_mask:0xf bank_mask:0xf
	v_mov_b32_dpp v25, v10 row_shr:2 row_mask:0xf bank_mask:0xf
	v_add_nc_u32_e32 v12, v9, v12
	v_add_nc_u32_e32 v25, v10, v25
	v_cndmask_b32_e64 v9, v9, v12, s3
	v_cndmask_b32_e64 v10, v10, v25, s3
	v_cmp_lt_u32_e64 s3, 3, v26
	v_mov_b32_dpp v12, v9 row_shr:4 row_mask:0xf bank_mask:0xf
	v_mov_b32_dpp v25, v10 row_shr:4 row_mask:0xf bank_mask:0xf
	v_cndmask_b32_e64 v12, 0, v12, s3
	v_cndmask_b32_e64 v25, 0, v25, s3
	v_add_nc_u32_e32 v9, v12, v9
	v_add_nc_u32_e32 v10, v25, v10
	ds_write_b64 v11, v[9:10]
.LBB1593_119:
	s_or_b32 exec_lo, exec_lo, s4
	v_cndmask_b32_e32 v5, v7, v5, vcc_lo
	v_cndmask_b32_e32 v6, v8, v6, vcc_lo
	s_mov_b32 s4, exec_lo
	v_cmp_gt_u32_e32 vcc_lo, 32, v0
	s_waitcnt lgkmcnt(0)
	s_barrier
	buffer_gl0_inv
                                        ; implicit-def: $vgpr25
	v_cmpx_lt_u32_e32 31, v0
	s_cbranch_execz .LBB1593_121
; %bb.120:
	v_lshl_add_u32 v7, v68, 3, -8
	ds_read_b64 v[25:26], v7
	s_waitcnt lgkmcnt(0)
	v_add_nc_u32_e32 v5, v26, v5
	v_add_nc_u32_e32 v6, v25, v6
.LBB1593_121:
	s_or_b32 exec_lo, exec_lo, s4
	v_sub_co_u32 v7, s3, v67, 1
	v_cmp_gt_i32_e64 s4, 0, v7
	v_cndmask_b32_e64 v7, v7, v67, s4
	v_lshlrev_b32_e32 v7, 2, v7
	ds_bpermute_b32 v74, v7, v6
	ds_bpermute_b32 v75, v7, v5
	s_and_saveexec_b32 s4, vcc_lo
	s_cbranch_execz .LBB1593_141
; %bb.122:
	v_mov_b32_e32 v8, 0
	ds_read_b64 v[5:6], v8 offset:56
	s_and_saveexec_b32 s6, s3
	s_cbranch_execz .LBB1593_124
; %bb.123:
	s_add_i32 s8, s27, 32
	s_mov_b32 s9, 0
	v_mov_b32_e32 v7, 1
	s_lshl_b64 s[8:9], s[8:9], 4
	s_add_u32 s8, s36, s8
	s_addc_u32 s9, s37, s9
	v_mov_b32_e32 v10, s9
	v_mov_b32_e32 v9, s8
	s_waitcnt lgkmcnt(0)
	;;#ASMSTART
	global_store_dwordx4 v[9:10], v[5:8] off	
s_waitcnt vmcnt(0)
	;;#ASMEND
.LBB1593_124:
	s_or_b32 exec_lo, exec_lo, s6
	v_xad_u32 v27, v67, -1, s27
	s_mov_b32 s7, 0
	v_add_nc_u32_e32 v7, 32, v27
	v_lshlrev_b64 v[9:10], 4, v[7:8]
	v_add_co_u32 v28, vcc_lo, s36, v9
	v_add_co_ci_u32_e64 v29, null, s37, v10, vcc_lo
	;;#ASMSTART
	global_load_dwordx4 v[9:12], v[28:29] off glc dlc	
s_waitcnt vmcnt(0)
	;;#ASMEND
	v_cmp_eq_u16_sdwa s8, v11, v8 src0_sel:BYTE_0 src1_sel:DWORD
	s_and_saveexec_b32 s6, s8
	s_cbranch_execz .LBB1593_128
; %bb.125:
	v_mov_b32_e32 v7, 0
.LBB1593_126:                           ; =>This Inner Loop Header: Depth=1
	;;#ASMSTART
	global_load_dwordx4 v[9:12], v[28:29] off glc dlc	
s_waitcnt vmcnt(0)
	;;#ASMEND
	v_cmp_ne_u16_sdwa s8, v11, v7 src0_sel:BYTE_0 src1_sel:DWORD
	s_or_b32 s7, s8, s7
	s_andn2_b32 exec_lo, exec_lo, s7
	s_cbranch_execnz .LBB1593_126
; %bb.127:
	s_or_b32 exec_lo, exec_lo, s7
.LBB1593_128:
	s_or_b32 exec_lo, exec_lo, s6
	v_cmp_ne_u32_e32 vcc_lo, 31, v67
	v_mov_b32_e32 v77, 2
	v_lshlrev_b32_e64 v78, v67, -1
	v_add_nc_u32_e32 v80, 2, v67
	v_add_nc_u32_e32 v82, 4, v67
	v_add_co_ci_u32_e64 v7, null, 0, v67, vcc_lo
	v_cmp_eq_u16_sdwa s6, v11, v77 src0_sel:BYTE_0 src1_sel:DWORD
	v_cmp_gt_u32_e32 vcc_lo, 30, v67
	v_add_nc_u32_e32 v84, 8, v67
	v_lshlrev_b32_e32 v76, 2, v7
	v_lshl_or_b32 v85, v67, 2, 64
	v_and_b32_e32 v12, s6, v78
	v_cndmask_b32_e64 v28, 0, 2, vcc_lo
	v_add_nc_u32_e32 v86, 16, v67
	ds_bpermute_b32 v7, v76, v10
	ds_bpermute_b32 v8, v76, v9
	v_or_b32_e32 v12, 0x80000000, v12
	v_add_lshl_u32 v79, v28, v67, 2
	v_ffbl_b32_e32 v12, v12
	v_cmp_lt_u32_e32 vcc_lo, v67, v12
	s_waitcnt lgkmcnt(1)
	v_add_nc_u32_e32 v7, v7, v10
	s_waitcnt lgkmcnt(0)
	v_add_nc_u32_e32 v8, v8, v9
	v_cndmask_b32_e32 v7, v10, v7, vcc_lo
	v_cndmask_b32_e32 v8, v9, v8, vcc_lo
	v_cmp_gt_u32_e32 vcc_lo, 28, v67
	ds_bpermute_b32 v9, v79, v7
	ds_bpermute_b32 v10, v79, v8
	v_cndmask_b32_e64 v28, 0, 4, vcc_lo
	v_cmp_gt_u32_e32 vcc_lo, v80, v12
	v_add_lshl_u32 v81, v28, v67, 2
	s_waitcnt lgkmcnt(1)
	v_add_nc_u32_e32 v9, v7, v9
	s_waitcnt lgkmcnt(0)
	v_add_nc_u32_e32 v10, v8, v10
	v_cndmask_b32_e32 v7, v9, v7, vcc_lo
	v_cndmask_b32_e32 v8, v10, v8, vcc_lo
	v_cmp_gt_u32_e32 vcc_lo, 24, v67
	ds_bpermute_b32 v9, v81, v7
	ds_bpermute_b32 v10, v81, v8
	v_cndmask_b32_e64 v28, 0, 8, vcc_lo
	v_cmp_gt_u32_e32 vcc_lo, v82, v12
	v_add_lshl_u32 v83, v28, v67, 2
	v_mov_b32_e32 v28, 0
	s_waitcnt lgkmcnt(1)
	v_add_nc_u32_e32 v9, v7, v9
	s_waitcnt lgkmcnt(0)
	v_add_nc_u32_e32 v10, v8, v10
	v_cndmask_b32_e32 v7, v9, v7, vcc_lo
	v_cndmask_b32_e32 v8, v10, v8, vcc_lo
	v_cmp_gt_u32_e32 vcc_lo, v84, v12
	ds_bpermute_b32 v9, v83, v7
	ds_bpermute_b32 v10, v83, v8
	s_waitcnt lgkmcnt(1)
	v_add_nc_u32_e32 v9, v7, v9
	s_waitcnt lgkmcnt(0)
	v_add_nc_u32_e32 v10, v8, v10
	v_cndmask_b32_e32 v7, v9, v7, vcc_lo
	v_cndmask_b32_e32 v8, v10, v8, vcc_lo
	v_cmp_le_u32_e32 vcc_lo, v86, v12
	ds_bpermute_b32 v10, v85, v7
	ds_bpermute_b32 v9, v85, v8
	s_waitcnt lgkmcnt(1)
	v_cndmask_b32_e32 v10, 0, v10, vcc_lo
	s_waitcnt lgkmcnt(0)
	v_cndmask_b32_e32 v9, 0, v9, vcc_lo
	v_add_nc_u32_e32 v10, v10, v7
	v_add_nc_u32_e32 v9, v9, v8
	s_branch .LBB1593_132
.LBB1593_129:                           ;   in Loop: Header=BB1593_132 Depth=1
	s_or_b32 exec_lo, exec_lo, s7
.LBB1593_130:                           ;   in Loop: Header=BB1593_132 Depth=1
	s_or_b32 exec_lo, exec_lo, s6
	ds_bpermute_b32 v12, v76, v9
	ds_bpermute_b32 v29, v76, v10
	v_cmp_eq_u16_sdwa s6, v11, v77 src0_sel:BYTE_0 src1_sel:DWORD
	v_subrev_nc_u32_e32 v27, 32, v27
	v_and_or_b32 v30, s6, v78, 0x80000000
	s_mov_b32 s6, 0
	v_ffbl_b32_e32 v30, v30
	v_cmp_lt_u32_e32 vcc_lo, v67, v30
	s_waitcnt lgkmcnt(1)
	v_add_nc_u32_e32 v12, v12, v9
	s_waitcnt lgkmcnt(0)
	v_add_nc_u32_e32 v29, v29, v10
	v_cndmask_b32_e32 v9, v9, v12, vcc_lo
	v_cndmask_b32_e32 v10, v10, v29, vcc_lo
	v_cmp_gt_u32_e32 vcc_lo, v80, v30
	ds_bpermute_b32 v12, v79, v9
	ds_bpermute_b32 v29, v79, v10
	s_waitcnt lgkmcnt(1)
	v_add_nc_u32_e32 v12, v9, v12
	s_waitcnt lgkmcnt(0)
	v_add_nc_u32_e32 v29, v10, v29
	v_cndmask_b32_e32 v9, v12, v9, vcc_lo
	v_cndmask_b32_e32 v10, v29, v10, vcc_lo
	v_cmp_gt_u32_e32 vcc_lo, v82, v30
	ds_bpermute_b32 v12, v81, v9
	ds_bpermute_b32 v29, v81, v10
	;; [unrolled: 9-line block ×3, first 2 shown]
	s_waitcnt lgkmcnt(1)
	v_add_nc_u32_e32 v12, v9, v12
	s_waitcnt lgkmcnt(0)
	v_add_nc_u32_e32 v29, v10, v29
	v_cndmask_b32_e32 v9, v12, v9, vcc_lo
	v_cndmask_b32_e32 v10, v29, v10, vcc_lo
	v_cmp_le_u32_e32 vcc_lo, v86, v30
	ds_bpermute_b32 v12, v85, v9
	ds_bpermute_b32 v29, v85, v10
	s_waitcnt lgkmcnt(1)
	v_cndmask_b32_e32 v12, 0, v12, vcc_lo
	s_waitcnt lgkmcnt(0)
	v_cndmask_b32_e32 v29, 0, v29, vcc_lo
	v_add3_u32 v9, v9, v7, v12
	v_add3_u32 v10, v10, v8, v29
.LBB1593_131:                           ;   in Loop: Header=BB1593_132 Depth=1
	s_and_b32 vcc_lo, exec_lo, s6
	s_cbranch_vccnz .LBB1593_137
.LBB1593_132:                           ; =>This Loop Header: Depth=1
                                        ;     Child Loop BB1593_135 Depth 2
	v_cmp_ne_u16_sdwa s6, v11, v77 src0_sel:BYTE_0 src1_sel:DWORD
	v_mov_b32_e32 v7, v9
	v_mov_b32_e32 v8, v10
                                        ; implicit-def: $vgpr11
                                        ; implicit-def: $vgpr9_vgpr10
	s_cmp_lg_u32 s6, exec_lo
	s_mov_b32 s6, -1
	s_cbranch_scc1 .LBB1593_131
; %bb.133:                              ;   in Loop: Header=BB1593_132 Depth=1
	v_lshlrev_b64 v[9:10], 4, v[27:28]
	v_add_co_u32 v29, vcc_lo, s36, v9
	v_add_co_ci_u32_e64 v30, null, s37, v10, vcc_lo
	;;#ASMSTART
	global_load_dwordx4 v[9:12], v[29:30] off glc dlc	
s_waitcnt vmcnt(0)
	;;#ASMEND
	v_cmp_eq_u16_sdwa s7, v11, v28 src0_sel:BYTE_0 src1_sel:DWORD
	s_and_saveexec_b32 s6, s7
	s_cbranch_execz .LBB1593_130
; %bb.134:                              ;   in Loop: Header=BB1593_132 Depth=1
	s_mov_b32 s7, 0
.LBB1593_135:                           ;   Parent Loop BB1593_132 Depth=1
                                        ; =>  This Inner Loop Header: Depth=2
	;;#ASMSTART
	global_load_dwordx4 v[9:12], v[29:30] off glc dlc	
s_waitcnt vmcnt(0)
	;;#ASMEND
	v_cmp_ne_u16_sdwa s8, v11, v28 src0_sel:BYTE_0 src1_sel:DWORD
	s_or_b32 s7, s8, s7
	s_andn2_b32 exec_lo, exec_lo, s7
	s_cbranch_execnz .LBB1593_135
	s_branch .LBB1593_129
.LBB1593_136:
                                        ; implicit-def: $vgpr25
                                        ; implicit-def: $vgpr7
                                        ; implicit-def: $vgpr26
	s_and_b32 vcc_lo, exec_lo, s4
	s_cbranch_vccnz .LBB1593_142
	s_branch .LBB1593_151
.LBB1593_137:
	s_and_saveexec_b32 s6, s3
	s_cbranch_execnz .LBB1593_379
; %bb.138:
	s_or_b32 exec_lo, exec_lo, s6
	s_and_saveexec_b32 s6, s3
	s_cbranch_execnz .LBB1593_380
.LBB1593_139:
	s_or_b32 exec_lo, exec_lo, s6
	s_and_b32 exec_lo, exec_lo, s0
.LBB1593_140:
	v_mov_b32_e32 v5, 0
	ds_write_b64 v5, v[7:8] offset:56
.LBB1593_141:
	s_or_b32 exec_lo, exec_lo, s4
	v_mov_b32_e32 v5, 0
	s_waitcnt lgkmcnt(0)
	s_barrier
	buffer_gl0_inv
	v_cndmask_b32_e64 v11, v75, v26, s3
	ds_read_b64 v[9:10], v5 offset:56
	s_waitcnt lgkmcnt(0)
	s_barrier
	buffer_gl0_inv
	ds_read_b128 v[5:8], v5 offset:13312
	v_cndmask_b32_e64 v12, v74, v25, s3
	v_add_nc_u32_e32 v11, v10, v11
	v_add_nc_u32_e32 v12, v9, v12
	v_cndmask_b32_e64 v25, v11, v10, s0
	v_cndmask_b32_e64 v26, v12, v9, s0
	s_branch .LBB1593_151
.LBB1593_142:
	s_waitcnt lgkmcnt(0)
	v_mov_b32_dpp v5, v72 row_shr:1 row_mask:0xf bank_mask:0xf
	v_mov_b32_dpp v6, v73 row_shr:1 row_mask:0xf bank_mask:0xf
	v_cmp_lt_u32_e32 vcc_lo, 3, v69
	v_add_nc_u32_e32 v5, v5, v72
	v_add_nc_u32_e32 v6, v6, v73
	v_cndmask_b32_e64 v5, v5, v72, s2
	v_cndmask_b32_e64 v6, v6, v73, s2
	s_mov_b32 s2, exec_lo
	v_mov_b32_dpp v7, v5 row_shr:2 row_mask:0xf bank_mask:0xf
	v_mov_b32_dpp v8, v6 row_shr:2 row_mask:0xf bank_mask:0xf
	v_add_nc_u32_e32 v7, v5, v7
	v_add_nc_u32_e32 v8, v6, v8
	v_cndmask_b32_e64 v5, v5, v7, s1
	v_cndmask_b32_e64 v6, v6, v8, s1
	v_mov_b32_dpp v7, v5 row_shr:4 row_mask:0xf bank_mask:0xf
	v_mov_b32_dpp v8, v6 row_shr:4 row_mask:0xf bank_mask:0xf
	v_add_nc_u32_e32 v7, v5, v7
	v_add_nc_u32_e32 v8, v6, v8
	v_cndmask_b32_e32 v7, v5, v7, vcc_lo
	v_cndmask_b32_e32 v6, v6, v8, vcc_lo
	v_cmp_lt_u32_e32 vcc_lo, 7, v69
	v_mov_b32_dpp v5, v7 row_shr:8 row_mask:0xf bank_mask:0xf
	v_mov_b32_dpp v8, v6 row_shr:8 row_mask:0xf bank_mask:0xf
	v_add_nc_u32_e32 v9, v7, v5
	v_add_nc_u32_e32 v5, v6, v8
	v_cndmask_b32_e32 v5, v6, v5, vcc_lo
	v_cndmask_b32_e32 v6, v7, v9, vcc_lo
	v_cmp_eq_u32_e32 vcc_lo, 0, v71
	ds_swizzle_b32 v7, v5 offset:swizzle(BROADCAST,32,15)
	ds_swizzle_b32 v8, v6 offset:swizzle(BROADCAST,32,15)
	s_waitcnt lgkmcnt(1)
	v_add_nc_u32_e32 v7, v5, v7
	s_waitcnt lgkmcnt(0)
	v_add_nc_u32_e32 v8, v6, v8
	v_cmpx_eq_u32_e64 v0, v70
	s_cbranch_execz .LBB1593_144
; %bb.143:
	v_cndmask_b32_e32 v9, v8, v6, vcc_lo
	v_cndmask_b32_e32 v10, v7, v5, vcc_lo
	v_lshlrev_b32_e32 v11, 3, v68
	ds_write_b64 v11, v[9:10]
.LBB1593_144:
	s_or_b32 exec_lo, exec_lo, s2
	s_mov_b32 s2, exec_lo
	s_waitcnt lgkmcnt(0)
	s_barrier
	buffer_gl0_inv
	v_cmpx_gt_u32_e32 8, v0
	s_cbranch_execz .LBB1593_146
; %bb.145:
	v_lshlrev_b32_e32 v11, 3, v0
	v_and_b32_e32 v26, 7, v67
	ds_read_b64 v[9:10], v11
	v_cmp_eq_u32_e64 s1, 0, v26
	s_waitcnt lgkmcnt(0)
	v_mov_b32_dpp v12, v9 row_shr:1 row_mask:0xf bank_mask:0xf
	v_mov_b32_dpp v25, v10 row_shr:1 row_mask:0xf bank_mask:0xf
	v_add_nc_u32_e32 v12, v12, v9
	v_add_nc_u32_e32 v25, v25, v10
	v_cndmask_b32_e64 v9, v12, v9, s1
	v_cndmask_b32_e64 v10, v25, v10, s1
	v_cmp_lt_u32_e64 s1, 1, v26
	v_mov_b32_dpp v12, v9 row_shr:2 row_mask:0xf bank_mask:0xf
	v_mov_b32_dpp v25, v10 row_shr:2 row_mask:0xf bank_mask:0xf
	v_add_nc_u32_e32 v12, v9, v12
	v_add_nc_u32_e32 v25, v10, v25
	v_cndmask_b32_e64 v9, v9, v12, s1
	v_cndmask_b32_e64 v10, v10, v25, s1
	v_cmp_lt_u32_e64 s1, 3, v26
	v_mov_b32_dpp v12, v9 row_shr:4 row_mask:0xf bank_mask:0xf
	v_mov_b32_dpp v25, v10 row_shr:4 row_mask:0xf bank_mask:0xf
	v_cndmask_b32_e64 v12, 0, v12, s1
	v_cndmask_b32_e64 v25, 0, v25, s1
	v_add_nc_u32_e32 v9, v12, v9
	v_add_nc_u32_e32 v10, v25, v10
	ds_write_b64 v11, v[9:10]
.LBB1593_146:
	s_or_b32 exec_lo, exec_lo, s2
	v_mov_b32_e32 v11, 0
	v_mov_b32_e32 v9, 0
	;; [unrolled: 1-line block ×3, first 2 shown]
	s_mov_b32 s2, exec_lo
	s_waitcnt lgkmcnt(0)
	s_barrier
	buffer_gl0_inv
	v_cmpx_lt_u32_e32 31, v0
; %bb.147:
	v_lshl_add_u32 v9, v68, 3, -8
	ds_read_b64 v[9:10], v9
; %bb.148:
	s_or_b32 exec_lo, exec_lo, s2
	v_sub_co_u32 v12, s1, v67, 1
	v_cndmask_b32_e32 v6, v8, v6, vcc_lo
	v_cndmask_b32_e32 v5, v7, v5, vcc_lo
	v_cmp_gt_i32_e64 s2, 0, v12
	s_waitcnt lgkmcnt(0)
	v_add_nc_u32_e32 v6, v9, v6
	v_add_nc_u32_e32 v5, v10, v5
	v_cndmask_b32_e64 v8, v12, v67, s2
	v_lshlrev_b32_e32 v7, 2, v8
	ds_bpermute_b32 v12, v7, v6
	ds_bpermute_b32 v25, v7, v5
	ds_read_b64 v[5:6], v11 offset:56
	s_and_saveexec_b32 s2, s0
	s_cbranch_execz .LBB1593_150
; %bb.149:
	s_add_u32 s6, s36, 0x200
	s_addc_u32 s7, s37, 0
	v_mov_b32_e32 v7, 2
	v_mov_b32_e32 v27, s7
	;; [unrolled: 1-line block ×4, first 2 shown]
	s_waitcnt lgkmcnt(0)
	;;#ASMSTART
	global_store_dwordx4 v[26:27], v[5:8] off	
s_waitcnt vmcnt(0)
	;;#ASMEND
.LBB1593_150:
	s_or_b32 exec_lo, exec_lo, s2
	s_waitcnt lgkmcnt(1)
	v_cndmask_b32_e64 v7, v25, v10, s1
	v_cndmask_b32_e64 v9, v12, v9, s1
	v_mov_b32_e32 v8, 0
	s_waitcnt lgkmcnt(0)
	s_barrier
	v_cndmask_b32_e64 v25, v7, 0, s0
	v_cndmask_b32_e64 v26, v9, 0, s0
	v_mov_b32_e32 v7, 0
	buffer_gl0_inv
.LBB1593_151:
	v_add_nc_u32_e32 v30, v25, v66
	v_add_nc_u32_e32 v29, v26, v65
	s_waitcnt lgkmcnt(0)
	v_sub_nc_u32_e32 v25, v25, v8
	v_lshrrev_b32_e32 v28, 8, v41
	v_lshlrev_b32_e32 v69, 1, v5
	v_add_nc_u32_e32 v63, v30, v63
	v_sub_nc_u32_e32 v30, v30, v8
	v_add_nc_u32_e32 v62, v29, v62
	v_sub_nc_u32_e32 v26, v26, v7
	;; [unrolled: 2-line block ×3, first 2 shown]
	v_add_nc_u32_e32 v30, v30, v5
	v_and_b32_e32 v28, 1, v28
	v_mov_b32_e32 v71, 1
	v_add3_u32 v34, v69, v6, v34
	v_add_nc_u32_e32 v75, v26, v25
	v_add_nc_u32_e32 v76, v30, v29
	v_add_co_u32 v1, vcc_lo, v1, v7
	v_add_co_ci_u32_e64 v2, null, 0, v2, vcc_lo
	v_sub_co_u32 v67, vcc_lo, v3, v5
	v_subrev_co_ci_u32_e64 v68, null, 0, v4, vcc_lo
	v_and_b32_sdwa v74, v71, v41 dst_sel:DWORD dst_unused:UNUSED_PAD src0_sel:DWORD src1_sel:WORD_1
	v_sub_nc_u32_e32 v76, v34, v76
	v_sub_nc_u32_e32 v75, v34, v75
	v_cmp_eq_u32_e32 vcc_lo, 1, v28
	v_lshrrev_b32_e32 v27, 8, v35
	v_add_nc_u32_e32 v65, v63, v48
	v_and_b32_e32 v70, 1, v35
	v_sub_nc_u32_e32 v63, v63, v8
	v_add_nc_u32_e32 v76, 1, v76
	v_cndmask_b32_e32 v25, v75, v25, vcc_lo
	v_cmp_eq_u32_e32 vcc_lo, 1, v74
	v_add_nc_u32_e32 v64, v62, v64
	v_and_b32_e32 v27, 1, v27
	v_sub_nc_u32_e32 v62, v62, v7
	v_add_nc_u32_e32 v63, v63, v5
	v_cndmask_b32_e32 v30, v76, v30, vcc_lo
	v_cmp_eq_u32_e32 vcc_lo, 1, v70
	v_and_b32_e32 v48, 1, v48
	v_add_nc_u32_e32 v61, v65, v61
	v_add_nc_u32_e32 v74, v63, v62
	v_and_b32_sdwa v35, v71, v35 dst_sel:DWORD dst_unused:UNUSED_PAD src0_sel:DWORD src1_sel:WORD_1
	v_cndmask_b32_e32 v70, v25, v26, vcc_lo
	v_cmp_eq_u32_e32 vcc_lo, 1, v27
	v_sub_nc_u32_e32 v65, v65, v8
	v_add_nc_u32_e32 v66, v64, v47
	v_add_nc_u32_e32 v60, v61, v60
	v_sub_nc_u32_e32 v61, v61, v8
	v_cndmask_b32_e32 v27, v30, v29, vcc_lo
	v_sub_nc_u32_e32 v29, v34, v74
	v_add_co_u32 v25, vcc_lo, v67, v8
	v_add_co_ci_u32_e64 v26, null, 0, v68, vcc_lo
	v_add_nc_u32_e32 v29, 2, v29
	v_cmp_eq_u32_e32 vcc_lo, 1, v48
	v_sub_nc_u32_e32 v48, v64, v7
	v_lshlrev_b32_e32 v30, 2, v70
	v_add_nc_u32_e32 v61, v61, v5
	v_lshlrev_b32_e32 v27, 2, v27
	v_cndmask_b32_e32 v29, v29, v63, vcc_lo
	v_add_nc_u32_e32 v63, v65, v5
	v_cmp_eq_u32_e32 vcc_lo, 1, v35
	v_sub_nc_u32_e32 v35, v66, v7
	v_lshrrev_b32_e32 v12, 8, v36
	ds_write_b32 v30, v23
	ds_write_b32 v27, v24
	v_and_b32_e32 v30, 1, v36
	v_cndmask_b32_e32 v29, v29, v62, vcc_lo
	v_add_nc_u32_e32 v62, v48, v63
	v_add_nc_u32_e32 v24, v35, v61
	;; [unrolled: 1-line block ×3, first 2 shown]
	v_and_b32_e32 v12, 1, v12
	v_lshlrev_b32_e32 v23, 2, v29
	v_sub_nc_u32_e32 v27, v34, v62
	v_and_b32_e32 v29, 1, v47
	v_sub_nc_u32_e32 v47, v60, v8
	v_sub_nc_u32_e32 v24, v34, v24
	v_cmp_eq_u32_e32 vcc_lo, 1, v30
	v_add_nc_u32_e32 v27, 3, v27
	v_add_nc_u32_e32 v57, v59, v57
	v_sub_nc_u32_e32 v59, v59, v7
	v_add_nc_u32_e32 v47, v47, v5
	v_add_nc_u32_e32 v24, 4, v24
	v_cndmask_b32_e32 v27, v27, v63, vcc_lo
	v_cmp_eq_u32_e32 vcc_lo, 1, v12
	v_add_nc_u32_e32 v58, v60, v58
	v_and_b32_e32 v30, 1, v37
	v_add_nc_u32_e32 v60, v59, v47
	v_lshrrev_b32_e32 v11, 8, v37
	v_cndmask_b32_e32 v12, v24, v61, vcc_lo
	v_cmp_eq_u32_e32 vcc_lo, 1, v29
	ds_write_b32 v23, v21
	v_and_b32_sdwa v23, v71, v36 dst_sel:DWORD dst_unused:UNUSED_PAD src0_sel:DWORD src1_sel:WORD_1
	v_add_nc_u32_e32 v72, v58, v46
	v_and_b32_e32 v11, 1, v11
	v_cndmask_b32_e32 v24, v27, v48, vcc_lo
	v_sub_nc_u32_e32 v27, v34, v60
	v_cmp_eq_u32_e32 vcc_lo, 1, v30
	v_add_nc_u32_e32 v52, v57, v52
	v_sub_nc_u32_e32 v29, v72, v8
	v_lshlrev_b32_e32 v21, 2, v24
	v_add_nc_u32_e32 v24, 5, v27
	v_cndmask_b32_e32 v12, v12, v35, vcc_lo
	v_sub_nc_u32_e32 v27, v58, v8
	v_cmp_eq_u32_e32 vcc_lo, 1, v23
	v_add_nc_u32_e32 v29, v29, v5
	v_add_nc_u32_e32 v56, v72, v56
	v_lshlrev_b32_e32 v12, 2, v12
	v_add_nc_u32_e32 v27, v27, v5
	v_cndmask_b32_e32 v23, v24, v47, vcc_lo
	v_sub_nc_u32_e32 v24, v57, v7
	v_cmp_eq_u32_e32 vcc_lo, 1, v11
	ds_write_b32 v21, v22
	ds_write_b32 v12, v19
	v_and_b32_e32 v22, 1, v46
	v_and_b32_e32 v35, 1, v38
	v_add_nc_u32_e32 v30, v24, v27
	v_cndmask_b32_e32 v11, v23, v59, vcc_lo
	v_sub_nc_u32_e32 v23, v52, v7
	v_cmp_eq_u32_e32 vcc_lo, 1, v22
	v_add_nc_u32_e32 v73, v52, v45
	v_sub_nc_u32_e32 v19, v34, v30
	v_sub_nc_u32_e32 v30, v56, v8
	v_add_nc_u32_e32 v12, v23, v29
	v_and_b32_sdwa v21, v71, v37 dst_sel:DWORD dst_unused:UNUSED_PAD src0_sel:DWORD src1_sel:WORD_1
	v_sub_nc_u32_e32 v36, v73, v7
	v_add_nc_u32_e32 v19, 6, v19
	v_add_nc_u32_e32 v30, v30, v5
	v_sub_nc_u32_e32 v12, v34, v12
	v_and_b32_e32 v22, 1, v45
	v_lshrrev_b32_e32 v10, 8, v38
	v_cndmask_b32_e32 v19, v19, v27, vcc_lo
	v_cmp_eq_u32_e32 vcc_lo, 1, v35
	v_add_nc_u32_e32 v12, 7, v12
	v_add_nc_u32_e32 v55, v56, v55
	;; [unrolled: 1-line block ×4, first 2 shown]
	v_and_b32_e32 v10, 1, v10
	v_cndmask_b32_e32 v12, v12, v29, vcc_lo
	v_cmp_eq_u32_e32 vcc_lo, 1, v21
	v_sub_nc_u32_e32 v21, v34, v27
	v_add_nc_u32_e32 v53, v55, v53
	v_lshlrev_b32_e32 v11, 2, v11
	v_add_nc_u32_e32 v51, v54, v51
	v_cndmask_b32_e32 v19, v19, v24, vcc_lo
	v_cmp_eq_u32_e32 vcc_lo, 1, v22
	v_sub_nc_u32_e32 v22, v55, v8
	v_add_nc_u32_e32 v21, 8, v21
	v_sub_nc_u32_e32 v24, v54, v7
	v_lshlrev_b32_e32 v19, 2, v19
	v_cndmask_b32_e32 v12, v12, v23, vcc_lo
	v_add_nc_u32_e32 v22, v22, v5
	v_cmp_eq_u32_e32 vcc_lo, 1, v10
	v_add_nc_u32_e32 v77, v53, v44
	v_and_b32_e32 v23, 1, v40
	v_lshlrev_b32_e32 v12, 2, v12
	ds_write_b32 v11, v20
	ds_write_b32 v19, v17
	;; [unrolled: 1-line block ×3, first 2 shown]
	v_cndmask_b32_e32 v10, v21, v30, vcc_lo
	v_add_nc_u32_e32 v21, v24, v22
	v_sub_nc_u32_e32 v12, v53, v8
	v_lshrrev_b32_e32 v9, 8, v40
	v_add_nc_u32_e32 v49, v51, v49
	v_cmp_eq_u32_e32 vcc_lo, 1, v23
	v_sub_nc_u32_e32 v11, v34, v21
	v_and_b32_sdwa v17, v71, v38 dst_sel:DWORD dst_unused:UNUSED_PAD src0_sel:DWORD src1_sel:WORD_1
	v_sub_nc_u32_e32 v18, v51, v7
	v_sub_nc_u32_e32 v19, v77, v8
	v_add_nc_u32_e32 v12, v12, v5
	v_cndmask_b32_e32 v10, v10, v36, vcc_lo
	v_and_b32_e32 v9, 1, v9
	v_add_nc_u32_e32 v11, 9, v11
	v_cmp_eq_u32_e32 vcc_lo, 1, v17
	v_sub_nc_u32_e32 v17, v49, v7
	v_add_nc_u32_e32 v19, v19, v5
	v_add_nc_u32_e32 v20, v18, v12
	;; [unrolled: 1-line block ×3, first 2 shown]
	v_cndmask_b32_e32 v11, v11, v22, vcc_lo
	v_cmp_eq_u32_e32 vcc_lo, 1, v9
	v_add_nc_u32_e32 v21, v17, v19
	v_sub_nc_u32_e32 v20, v34, v20
	v_and_b32_e32 v23, 1, v44
	v_add_nc_u32_e32 v50, v49, v43
	v_cndmask_b32_e32 v9, v11, v24, vcc_lo
	v_sub_nc_u32_e32 v11, v28, v8
	v_sub_nc_u32_e32 v21, v34, v21
	v_add_nc_u32_e32 v20, 10, v20
	v_and_b32_e32 v24, 1, v39
	v_cmp_eq_u32_e32 vcc_lo, 1, v23
	v_and_b32_sdwa v22, v71, v40 dst_sel:DWORD dst_unused:UNUSED_PAD src0_sel:DWORD src1_sel:WORD_1
	v_sub_nc_u32_e32 v7, v50, v7
	v_add_nc_u32_e32 v11, v11, v5
	v_add_nc_u32_e32 v21, 11, v21
	v_cndmask_b32_e32 v12, v20, v12, vcc_lo
	v_cmp_eq_u32_e32 vcc_lo, 1, v24
	v_and_b32_e32 v20, 1, v43
	v_add_nc_u32_e32 v27, v7, v11
	v_lshlrev_b32_e32 v10, 2, v10
	v_lshlrev_b32_e32 v9, 2, v9
	v_cndmask_b32_e32 v19, v21, v19, vcc_lo
	v_cmp_eq_u32_e32 vcc_lo, 1, v22
	v_sub_nc_u32_e32 v23, v34, v27
	v_cndmask_b32_e32 v12, v12, v18, vcc_lo
	v_and_b32_e32 v18, 1, v42
	v_cmp_eq_u32_e32 vcc_lo, 1, v20
	v_add_nc_u32_e32 v21, 12, v23
	v_lshlrev_b32_e32 v12, 2, v12
	v_cndmask_b32_e32 v17, v19, v17, vcc_lo
	v_and_b32_e32 v19, 1, v41
	v_cmp_eq_u32_e32 vcc_lo, 1, v18
	v_lshlrev_b32_e32 v17, 2, v17
	ds_write_b32 v10, v15
	ds_write_b32 v9, v16
	;; [unrolled: 1-line block ×4, first 2 shown]
	v_cndmask_b32_e32 v11, v21, v11, vcc_lo
	v_cmp_eq_u32_e32 vcc_lo, 1, v19
	v_add_co_u32 v9, s1, v6, v69
	v_add_co_ci_u32_e64 v10, null, 0, 0, s1
	v_cndmask_b32_e32 v7, v11, v7, vcc_lo
	v_add_co_u32 v11, s1, s34, v31
	v_add_co_ci_u32_e64 v12, null, s35, 0, s1
	v_lshlrev_b32_e32 v7, 2, v7
	v_add_nc_u32_e32 v14, v5, v6
	ds_write_b32 v7, v33
	v_add_co_u32 v7, vcc_lo, v9, v25
	v_add_co_ci_u32_e64 v9, null, v10, v26, vcc_lo
	s_waitcnt lgkmcnt(0)
	v_add_co_u32 v7, vcc_lo, v7, v1
	v_add_co_ci_u32_e64 v13, null, v9, v2, vcc_lo
	v_lshlrev_b64 v[9:10], 2, v[25:26]
	v_sub_co_u32 v7, vcc_lo, v11, v7
	v_sub_co_ci_u32_e64 v13, null, v12, v13, vcc_lo
	v_lshlrev_b64 v[11:12], 2, v[1:2]
	v_add_co_u32 v9, vcc_lo, s30, v9
	v_add_co_ci_u32_e64 v10, null, s31, v10, vcc_lo
	v_cmp_ne_u32_e32 vcc_lo, 1, v32
	v_add_co_u32 v11, s1, s28, v11
	v_add_co_ci_u32_e64 v12, null, s29, v12, s1
	s_mov_b32 s1, -1
	s_barrier
	buffer_gl0_inv
	s_cbranch_vccz .LBB1593_155
; %bb.152:
	s_and_b32 vcc_lo, exec_lo, s1
	s_cbranch_vccnz .LBB1593_260
.LBB1593_153:
	s_and_b32 s0, s0, s26
	s_and_saveexec_b32 s1, s0
	s_cbranch_execnz .LBB1593_378
.LBB1593_154:
	s_endpgm
.LBB1593_155:
	s_mov_b32 s1, exec_lo
	v_cmpx_ge_u32_e64 v0, v5
	s_xor_b32 s1, exec_lo, s1
	s_cbranch_execz .LBB1593_161
; %bb.156:
	s_mov_b32 s2, exec_lo
	v_cmpx_ge_u32_e64 v0, v14
	s_xor_b32 s2, exec_lo, s2
	s_cbranch_execz .LBB1593_158
; %bb.157:
	v_lshlrev_b32_e32 v15, 2, v0
	ds_read_b32 v17, v15
	v_add_co_u32 v15, vcc_lo, v7, v0
	v_add_co_ci_u32_e64 v16, null, 0, v13, vcc_lo
	v_lshlrev_b64 v[15:16], 2, v[15:16]
	v_sub_co_u32 v15, vcc_lo, s14, v15
	v_sub_co_ci_u32_e64 v16, null, s15, v16, vcc_lo
	s_waitcnt lgkmcnt(0)
	global_store_dword v[15:16], v17, off offset:-4
.LBB1593_158:
	s_andn2_saveexec_b32 s2, s2
	s_cbranch_execz .LBB1593_160
; %bb.159:
	v_lshlrev_b32_e32 v15, 2, v0
	v_readfirstlane_b32 s6, v9
	v_readfirstlane_b32 s7, v10
	ds_read_b32 v16, v15
	s_waitcnt lgkmcnt(0)
	global_store_dword v15, v16, s[6:7]
.LBB1593_160:
	s_or_b32 exec_lo, exec_lo, s2
.LBB1593_161:
	s_andn2_saveexec_b32 s1, s1
	s_cbranch_execz .LBB1593_163
; %bb.162:
	v_lshlrev_b32_e32 v15, 2, v0
	v_readfirstlane_b32 s2, v11
	v_readfirstlane_b32 s3, v12
	ds_read_b32 v16, v15
	s_waitcnt lgkmcnt(0)
	global_store_dword v15, v16, s[2:3]
.LBB1593_163:
	s_or_b32 exec_lo, exec_lo, s1
	v_or_b32_e32 v15, 0x100, v0
	s_mov_b32 s1, exec_lo
	v_cmpx_ge_u32_e64 v15, v5
	s_xor_b32 s1, exec_lo, s1
	s_cbranch_execz .LBB1593_169
; %bb.164:
	s_mov_b32 s2, exec_lo
	v_cmpx_ge_u32_e64 v15, v14
	s_xor_b32 s2, exec_lo, s2
	s_cbranch_execz .LBB1593_166
; %bb.165:
	v_lshlrev_b32_e32 v15, 2, v0
	ds_read_b32 v17, v15 offset:1024
	v_add_co_u32 v15, vcc_lo, v7, v0
	v_add_co_ci_u32_e64 v16, null, 0, v13, vcc_lo
	v_lshlrev_b64 v[15:16], 2, v[15:16]
	v_sub_co_u32 v15, vcc_lo, s14, v15
	v_sub_co_ci_u32_e64 v16, null, s15, v16, vcc_lo
	s_waitcnt lgkmcnt(0)
	global_store_dword v[15:16], v17, off offset:-1028
.LBB1593_166:
	s_andn2_saveexec_b32 s2, s2
	s_cbranch_execz .LBB1593_168
; %bb.167:
	v_lshlrev_b32_e32 v15, 2, v0
	v_readfirstlane_b32 s6, v9
	v_readfirstlane_b32 s7, v10
	ds_read_b32 v16, v15 offset:1024
	s_waitcnt lgkmcnt(0)
	global_store_dword v15, v16, s[6:7] offset:1024
.LBB1593_168:
	s_or_b32 exec_lo, exec_lo, s2
.LBB1593_169:
	s_andn2_saveexec_b32 s1, s1
	s_cbranch_execz .LBB1593_171
; %bb.170:
	v_lshlrev_b32_e32 v15, 2, v0
	v_readfirstlane_b32 s2, v11
	v_readfirstlane_b32 s3, v12
	ds_read_b32 v16, v15 offset:1024
	s_waitcnt lgkmcnt(0)
	global_store_dword v15, v16, s[2:3] offset:1024
.LBB1593_171:
	s_or_b32 exec_lo, exec_lo, s1
	v_or_b32_e32 v15, 0x200, v0
	s_mov_b32 s1, exec_lo
	v_cmpx_ge_u32_e64 v15, v5
	s_xor_b32 s1, exec_lo, s1
	s_cbranch_execz .LBB1593_177
; %bb.172:
	s_mov_b32 s2, exec_lo
	v_cmpx_ge_u32_e64 v15, v14
	s_xor_b32 s2, exec_lo, s2
	s_cbranch_execz .LBB1593_174
; %bb.173:
	v_lshlrev_b32_e32 v17, 2, v0
	v_add_co_u32 v15, vcc_lo, v7, v0
	v_add_co_ci_u32_e64 v16, null, 0, v13, vcc_lo
	ds_read_b32 v17, v17 offset:2048
	v_lshlrev_b64 v[15:16], 2, v[15:16]
	v_sub_co_u32 v15, vcc_lo, s14, v15
	v_sub_co_ci_u32_e64 v16, null, s15, v16, vcc_lo
	v_add_co_u32 v15, vcc_lo, 0xfffff800, v15
	v_add_co_ci_u32_e64 v16, null, -1, v16, vcc_lo
	s_waitcnt lgkmcnt(0)
	global_store_dword v[15:16], v17, off offset:-4
                                        ; implicit-def: $vgpr15
.LBB1593_174:
	s_andn2_saveexec_b32 s2, s2
	s_cbranch_execz .LBB1593_176
; %bb.175:
	v_lshlrev_b32_e32 v16, 2, v0
	v_lshlrev_b32_e32 v15, 2, v15
	v_readfirstlane_b32 s6, v9
	v_readfirstlane_b32 s7, v10
	ds_read_b32 v16, v16 offset:2048
	s_waitcnt lgkmcnt(0)
	global_store_dword v15, v16, s[6:7]
.LBB1593_176:
	s_or_b32 exec_lo, exec_lo, s2
                                        ; implicit-def: $vgpr15
.LBB1593_177:
	s_andn2_saveexec_b32 s1, s1
	s_cbranch_execz .LBB1593_179
; %bb.178:
	v_lshlrev_b32_e32 v16, 2, v0
	v_lshlrev_b32_e32 v15, 2, v15
	v_readfirstlane_b32 s2, v11
	v_readfirstlane_b32 s3, v12
	ds_read_b32 v16, v16 offset:2048
	s_waitcnt lgkmcnt(0)
	global_store_dword v15, v16, s[2:3]
.LBB1593_179:
	s_or_b32 exec_lo, exec_lo, s1
	v_or_b32_e32 v15, 0x300, v0
	s_mov_b32 s1, exec_lo
	v_cmpx_ge_u32_e64 v15, v5
	s_xor_b32 s1, exec_lo, s1
	s_cbranch_execz .LBB1593_185
; %bb.180:
	s_mov_b32 s2, exec_lo
	v_cmpx_ge_u32_e64 v15, v14
	s_xor_b32 s2, exec_lo, s2
	s_cbranch_execz .LBB1593_182
; %bb.181:
	v_lshlrev_b32_e32 v16, 2, v0
	v_add_co_u32 v15, vcc_lo, v7, v15
	ds_read_b32 v17, v16 offset:3072
	v_add_co_ci_u32_e64 v16, null, 0, v13, vcc_lo
	v_lshlrev_b64 v[15:16], 2, v[15:16]
	v_sub_co_u32 v15, vcc_lo, s14, v15
	v_sub_co_ci_u32_e64 v16, null, s15, v16, vcc_lo
	s_waitcnt lgkmcnt(0)
	global_store_dword v[15:16], v17, off offset:-4
                                        ; implicit-def: $vgpr15
.LBB1593_182:
	s_andn2_saveexec_b32 s2, s2
	s_cbranch_execz .LBB1593_184
; %bb.183:
	v_lshlrev_b32_e32 v16, 2, v0
	v_lshlrev_b32_e32 v15, 2, v15
	v_readfirstlane_b32 s6, v9
	v_readfirstlane_b32 s7, v10
	ds_read_b32 v16, v16 offset:3072
	s_waitcnt lgkmcnt(0)
	global_store_dword v15, v16, s[6:7]
.LBB1593_184:
	s_or_b32 exec_lo, exec_lo, s2
                                        ; implicit-def: $vgpr15
.LBB1593_185:
	s_andn2_saveexec_b32 s1, s1
	s_cbranch_execz .LBB1593_187
; %bb.186:
	v_lshlrev_b32_e32 v16, 2, v0
	v_lshlrev_b32_e32 v15, 2, v15
	v_readfirstlane_b32 s2, v11
	v_readfirstlane_b32 s3, v12
	ds_read_b32 v16, v16 offset:3072
	s_waitcnt lgkmcnt(0)
	global_store_dword v15, v16, s[2:3]
.LBB1593_187:
	s_or_b32 exec_lo, exec_lo, s1
	v_or_b32_e32 v15, 0x400, v0
	s_mov_b32 s1, exec_lo
	v_cmpx_ge_u32_e64 v15, v5
	s_xor_b32 s1, exec_lo, s1
	s_cbranch_execz .LBB1593_193
; %bb.188:
	s_mov_b32 s2, exec_lo
	v_cmpx_ge_u32_e64 v15, v14
	s_xor_b32 s2, exec_lo, s2
	s_cbranch_execz .LBB1593_190
; %bb.189:
	v_lshlrev_b32_e32 v16, 2, v0
	v_add_co_u32 v15, vcc_lo, v7, v15
	ds_read_b32 v17, v16 offset:4096
	v_add_co_ci_u32_e64 v16, null, 0, v13, vcc_lo
	v_lshlrev_b64 v[15:16], 2, v[15:16]
	v_sub_co_u32 v15, vcc_lo, s14, v15
	v_sub_co_ci_u32_e64 v16, null, s15, v16, vcc_lo
	s_waitcnt lgkmcnt(0)
	global_store_dword v[15:16], v17, off offset:-4
                                        ; implicit-def: $vgpr15
.LBB1593_190:
	s_andn2_saveexec_b32 s2, s2
	s_cbranch_execz .LBB1593_192
; %bb.191:
	v_lshlrev_b32_e32 v16, 2, v0
	v_lshlrev_b32_e32 v15, 2, v15
	v_readfirstlane_b32 s6, v9
	v_readfirstlane_b32 s7, v10
	ds_read_b32 v16, v16 offset:4096
	s_waitcnt lgkmcnt(0)
	global_store_dword v15, v16, s[6:7]
.LBB1593_192:
	s_or_b32 exec_lo, exec_lo, s2
                                        ; implicit-def: $vgpr15
.LBB1593_193:
	s_andn2_saveexec_b32 s1, s1
	s_cbranch_execz .LBB1593_195
; %bb.194:
	v_lshlrev_b32_e32 v16, 2, v0
	v_lshlrev_b32_e32 v15, 2, v15
	v_readfirstlane_b32 s2, v11
	v_readfirstlane_b32 s3, v12
	ds_read_b32 v16, v16 offset:4096
	s_waitcnt lgkmcnt(0)
	global_store_dword v15, v16, s[2:3]
.LBB1593_195:
	s_or_b32 exec_lo, exec_lo, s1
	v_or_b32_e32 v15, 0x500, v0
	s_mov_b32 s1, exec_lo
	v_cmpx_ge_u32_e64 v15, v5
	s_xor_b32 s1, exec_lo, s1
	s_cbranch_execz .LBB1593_201
; %bb.196:
	s_mov_b32 s2, exec_lo
	v_cmpx_ge_u32_e64 v15, v14
	s_xor_b32 s2, exec_lo, s2
	s_cbranch_execz .LBB1593_198
; %bb.197:
	v_lshlrev_b32_e32 v16, 2, v0
	v_add_co_u32 v15, vcc_lo, v7, v15
	ds_read_b32 v17, v16 offset:5120
	v_add_co_ci_u32_e64 v16, null, 0, v13, vcc_lo
	v_lshlrev_b64 v[15:16], 2, v[15:16]
	v_sub_co_u32 v15, vcc_lo, s14, v15
	v_sub_co_ci_u32_e64 v16, null, s15, v16, vcc_lo
	s_waitcnt lgkmcnt(0)
	global_store_dword v[15:16], v17, off offset:-4
                                        ; implicit-def: $vgpr15
.LBB1593_198:
	s_andn2_saveexec_b32 s2, s2
	s_cbranch_execz .LBB1593_200
; %bb.199:
	v_lshlrev_b32_e32 v16, 2, v0
	v_lshlrev_b32_e32 v15, 2, v15
	v_readfirstlane_b32 s6, v9
	v_readfirstlane_b32 s7, v10
	ds_read_b32 v16, v16 offset:5120
	s_waitcnt lgkmcnt(0)
	global_store_dword v15, v16, s[6:7]
.LBB1593_200:
	s_or_b32 exec_lo, exec_lo, s2
                                        ; implicit-def: $vgpr15
.LBB1593_201:
	s_andn2_saveexec_b32 s1, s1
	s_cbranch_execz .LBB1593_203
; %bb.202:
	v_lshlrev_b32_e32 v16, 2, v0
	v_lshlrev_b32_e32 v15, 2, v15
	v_readfirstlane_b32 s2, v11
	v_readfirstlane_b32 s3, v12
	ds_read_b32 v16, v16 offset:5120
	s_waitcnt lgkmcnt(0)
	global_store_dword v15, v16, s[2:3]
.LBB1593_203:
	s_or_b32 exec_lo, exec_lo, s1
	v_or_b32_e32 v15, 0x600, v0
	s_mov_b32 s1, exec_lo
	v_cmpx_ge_u32_e64 v15, v5
	s_xor_b32 s1, exec_lo, s1
	s_cbranch_execz .LBB1593_209
; %bb.204:
	s_mov_b32 s2, exec_lo
	v_cmpx_ge_u32_e64 v15, v14
	s_xor_b32 s2, exec_lo, s2
	s_cbranch_execz .LBB1593_206
; %bb.205:
	v_lshlrev_b32_e32 v16, 2, v0
	v_add_co_u32 v15, vcc_lo, v7, v15
	ds_read_b32 v17, v16 offset:6144
	v_add_co_ci_u32_e64 v16, null, 0, v13, vcc_lo
	v_lshlrev_b64 v[15:16], 2, v[15:16]
	v_sub_co_u32 v15, vcc_lo, s14, v15
	v_sub_co_ci_u32_e64 v16, null, s15, v16, vcc_lo
	s_waitcnt lgkmcnt(0)
	global_store_dword v[15:16], v17, off offset:-4
                                        ; implicit-def: $vgpr15
.LBB1593_206:
	s_andn2_saveexec_b32 s2, s2
	s_cbranch_execz .LBB1593_208
; %bb.207:
	v_lshlrev_b32_e32 v16, 2, v0
	v_lshlrev_b32_e32 v15, 2, v15
	v_readfirstlane_b32 s6, v9
	v_readfirstlane_b32 s7, v10
	ds_read_b32 v16, v16 offset:6144
	s_waitcnt lgkmcnt(0)
	global_store_dword v15, v16, s[6:7]
.LBB1593_208:
	s_or_b32 exec_lo, exec_lo, s2
                                        ; implicit-def: $vgpr15
.LBB1593_209:
	s_andn2_saveexec_b32 s1, s1
	s_cbranch_execz .LBB1593_211
; %bb.210:
	v_lshlrev_b32_e32 v16, 2, v0
	v_lshlrev_b32_e32 v15, 2, v15
	v_readfirstlane_b32 s2, v11
	v_readfirstlane_b32 s3, v12
	ds_read_b32 v16, v16 offset:6144
	s_waitcnt lgkmcnt(0)
	global_store_dword v15, v16, s[2:3]
.LBB1593_211:
	s_or_b32 exec_lo, exec_lo, s1
	v_or_b32_e32 v15, 0x700, v0
	s_mov_b32 s1, exec_lo
	v_cmpx_ge_u32_e64 v15, v5
	s_xor_b32 s1, exec_lo, s1
	s_cbranch_execz .LBB1593_217
; %bb.212:
	s_mov_b32 s2, exec_lo
	v_cmpx_ge_u32_e64 v15, v14
	s_xor_b32 s2, exec_lo, s2
	s_cbranch_execz .LBB1593_214
; %bb.213:
	v_lshlrev_b32_e32 v16, 2, v0
	v_add_co_u32 v15, vcc_lo, v7, v15
	ds_read_b32 v17, v16 offset:7168
	v_add_co_ci_u32_e64 v16, null, 0, v13, vcc_lo
	v_lshlrev_b64 v[15:16], 2, v[15:16]
	v_sub_co_u32 v15, vcc_lo, s14, v15
	v_sub_co_ci_u32_e64 v16, null, s15, v16, vcc_lo
	s_waitcnt lgkmcnt(0)
	global_store_dword v[15:16], v17, off offset:-4
                                        ; implicit-def: $vgpr15
.LBB1593_214:
	s_andn2_saveexec_b32 s2, s2
	s_cbranch_execz .LBB1593_216
; %bb.215:
	v_lshlrev_b32_e32 v16, 2, v0
	v_lshlrev_b32_e32 v15, 2, v15
	v_readfirstlane_b32 s6, v9
	v_readfirstlane_b32 s7, v10
	ds_read_b32 v16, v16 offset:7168
	s_waitcnt lgkmcnt(0)
	global_store_dword v15, v16, s[6:7]
.LBB1593_216:
	s_or_b32 exec_lo, exec_lo, s2
                                        ; implicit-def: $vgpr15
.LBB1593_217:
	s_andn2_saveexec_b32 s1, s1
	s_cbranch_execz .LBB1593_219
; %bb.218:
	v_lshlrev_b32_e32 v16, 2, v0
	v_lshlrev_b32_e32 v15, 2, v15
	v_readfirstlane_b32 s2, v11
	v_readfirstlane_b32 s3, v12
	ds_read_b32 v16, v16 offset:7168
	s_waitcnt lgkmcnt(0)
	global_store_dword v15, v16, s[2:3]
.LBB1593_219:
	s_or_b32 exec_lo, exec_lo, s1
	v_or_b32_e32 v15, 0x800, v0
	s_mov_b32 s1, exec_lo
	v_cmpx_ge_u32_e64 v15, v5
	s_xor_b32 s1, exec_lo, s1
	s_cbranch_execz .LBB1593_225
; %bb.220:
	s_mov_b32 s2, exec_lo
	v_cmpx_ge_u32_e64 v15, v14
	s_xor_b32 s2, exec_lo, s2
	s_cbranch_execz .LBB1593_222
; %bb.221:
	v_lshlrev_b32_e32 v16, 2, v0
	v_add_co_u32 v15, vcc_lo, v7, v15
	ds_read_b32 v17, v16 offset:8192
	v_add_co_ci_u32_e64 v16, null, 0, v13, vcc_lo
	v_lshlrev_b64 v[15:16], 2, v[15:16]
	v_sub_co_u32 v15, vcc_lo, s14, v15
	v_sub_co_ci_u32_e64 v16, null, s15, v16, vcc_lo
	s_waitcnt lgkmcnt(0)
	global_store_dword v[15:16], v17, off offset:-4
                                        ; implicit-def: $vgpr15
.LBB1593_222:
	s_andn2_saveexec_b32 s2, s2
	s_cbranch_execz .LBB1593_224
; %bb.223:
	v_lshlrev_b32_e32 v16, 2, v0
	v_lshlrev_b32_e32 v15, 2, v15
	v_readfirstlane_b32 s6, v9
	v_readfirstlane_b32 s7, v10
	ds_read_b32 v16, v16 offset:8192
	s_waitcnt lgkmcnt(0)
	global_store_dword v15, v16, s[6:7]
.LBB1593_224:
	s_or_b32 exec_lo, exec_lo, s2
                                        ; implicit-def: $vgpr15
.LBB1593_225:
	s_andn2_saveexec_b32 s1, s1
	s_cbranch_execz .LBB1593_227
; %bb.226:
	v_lshlrev_b32_e32 v16, 2, v0
	v_lshlrev_b32_e32 v15, 2, v15
	v_readfirstlane_b32 s2, v11
	v_readfirstlane_b32 s3, v12
	ds_read_b32 v16, v16 offset:8192
	s_waitcnt lgkmcnt(0)
	global_store_dword v15, v16, s[2:3]
.LBB1593_227:
	s_or_b32 exec_lo, exec_lo, s1
	v_or_b32_e32 v15, 0x900, v0
	s_mov_b32 s1, exec_lo
	v_cmpx_ge_u32_e64 v15, v5
	s_xor_b32 s1, exec_lo, s1
	s_cbranch_execz .LBB1593_233
; %bb.228:
	s_mov_b32 s2, exec_lo
	v_cmpx_ge_u32_e64 v15, v14
	s_xor_b32 s2, exec_lo, s2
	s_cbranch_execz .LBB1593_230
; %bb.229:
	v_lshlrev_b32_e32 v16, 2, v0
	v_add_co_u32 v15, vcc_lo, v7, v15
	ds_read_b32 v17, v16 offset:9216
	v_add_co_ci_u32_e64 v16, null, 0, v13, vcc_lo
	v_lshlrev_b64 v[15:16], 2, v[15:16]
	v_sub_co_u32 v15, vcc_lo, s14, v15
	v_sub_co_ci_u32_e64 v16, null, s15, v16, vcc_lo
	s_waitcnt lgkmcnt(0)
	global_store_dword v[15:16], v17, off offset:-4
                                        ; implicit-def: $vgpr15
.LBB1593_230:
	s_andn2_saveexec_b32 s2, s2
	s_cbranch_execz .LBB1593_232
; %bb.231:
	v_lshlrev_b32_e32 v16, 2, v0
	v_lshlrev_b32_e32 v15, 2, v15
	v_readfirstlane_b32 s6, v9
	v_readfirstlane_b32 s7, v10
	ds_read_b32 v16, v16 offset:9216
	s_waitcnt lgkmcnt(0)
	global_store_dword v15, v16, s[6:7]
.LBB1593_232:
	s_or_b32 exec_lo, exec_lo, s2
                                        ; implicit-def: $vgpr15
.LBB1593_233:
	s_andn2_saveexec_b32 s1, s1
	s_cbranch_execz .LBB1593_235
; %bb.234:
	v_lshlrev_b32_e32 v16, 2, v0
	v_lshlrev_b32_e32 v15, 2, v15
	v_readfirstlane_b32 s2, v11
	v_readfirstlane_b32 s3, v12
	ds_read_b32 v16, v16 offset:9216
	s_waitcnt lgkmcnt(0)
	global_store_dword v15, v16, s[2:3]
.LBB1593_235:
	s_or_b32 exec_lo, exec_lo, s1
	v_or_b32_e32 v15, 0xa00, v0
	s_mov_b32 s1, exec_lo
	v_cmpx_ge_u32_e64 v15, v5
	s_xor_b32 s1, exec_lo, s1
	s_cbranch_execz .LBB1593_241
; %bb.236:
	s_mov_b32 s2, exec_lo
	v_cmpx_ge_u32_e64 v15, v14
	s_xor_b32 s2, exec_lo, s2
	s_cbranch_execz .LBB1593_238
; %bb.237:
	v_lshlrev_b32_e32 v16, 2, v0
	v_add_co_u32 v15, vcc_lo, v7, v15
	ds_read_b32 v17, v16 offset:10240
	v_add_co_ci_u32_e64 v16, null, 0, v13, vcc_lo
	v_lshlrev_b64 v[15:16], 2, v[15:16]
	v_sub_co_u32 v15, vcc_lo, s14, v15
	v_sub_co_ci_u32_e64 v16, null, s15, v16, vcc_lo
	s_waitcnt lgkmcnt(0)
	global_store_dword v[15:16], v17, off offset:-4
                                        ; implicit-def: $vgpr15
.LBB1593_238:
	s_andn2_saveexec_b32 s2, s2
	s_cbranch_execz .LBB1593_240
; %bb.239:
	v_lshlrev_b32_e32 v16, 2, v0
	v_lshlrev_b32_e32 v15, 2, v15
	v_readfirstlane_b32 s6, v9
	v_readfirstlane_b32 s7, v10
	ds_read_b32 v16, v16 offset:10240
	s_waitcnt lgkmcnt(0)
	global_store_dword v15, v16, s[6:7]
.LBB1593_240:
	s_or_b32 exec_lo, exec_lo, s2
                                        ; implicit-def: $vgpr15
.LBB1593_241:
	s_andn2_saveexec_b32 s1, s1
	s_cbranch_execz .LBB1593_243
; %bb.242:
	v_lshlrev_b32_e32 v16, 2, v0
	v_lshlrev_b32_e32 v15, 2, v15
	v_readfirstlane_b32 s2, v11
	v_readfirstlane_b32 s3, v12
	ds_read_b32 v16, v16 offset:10240
	s_waitcnt lgkmcnt(0)
	global_store_dword v15, v16, s[2:3]
.LBB1593_243:
	s_or_b32 exec_lo, exec_lo, s1
	v_or_b32_e32 v15, 0xb00, v0
	s_mov_b32 s1, exec_lo
	v_cmpx_ge_u32_e64 v15, v5
	s_xor_b32 s1, exec_lo, s1
	s_cbranch_execz .LBB1593_249
; %bb.244:
	s_mov_b32 s2, exec_lo
	v_cmpx_ge_u32_e64 v15, v14
	s_xor_b32 s2, exec_lo, s2
	s_cbranch_execz .LBB1593_246
; %bb.245:
	v_lshlrev_b32_e32 v16, 2, v0
	v_add_co_u32 v15, vcc_lo, v7, v15
	ds_read_b32 v17, v16 offset:11264
	v_add_co_ci_u32_e64 v16, null, 0, v13, vcc_lo
	v_lshlrev_b64 v[15:16], 2, v[15:16]
	v_sub_co_u32 v15, vcc_lo, s14, v15
	v_sub_co_ci_u32_e64 v16, null, s15, v16, vcc_lo
	s_waitcnt lgkmcnt(0)
	global_store_dword v[15:16], v17, off offset:-4
                                        ; implicit-def: $vgpr15
.LBB1593_246:
	s_andn2_saveexec_b32 s2, s2
	s_cbranch_execz .LBB1593_248
; %bb.247:
	v_lshlrev_b32_e32 v16, 2, v0
	v_lshlrev_b32_e32 v15, 2, v15
	v_readfirstlane_b32 s6, v9
	v_readfirstlane_b32 s7, v10
	ds_read_b32 v16, v16 offset:11264
	s_waitcnt lgkmcnt(0)
	global_store_dword v15, v16, s[6:7]
.LBB1593_248:
	s_or_b32 exec_lo, exec_lo, s2
                                        ; implicit-def: $vgpr15
.LBB1593_249:
	s_andn2_saveexec_b32 s1, s1
	s_cbranch_execz .LBB1593_251
; %bb.250:
	v_lshlrev_b32_e32 v16, 2, v0
	v_lshlrev_b32_e32 v15, 2, v15
	v_readfirstlane_b32 s2, v11
	v_readfirstlane_b32 s3, v12
	ds_read_b32 v16, v16 offset:11264
	s_waitcnt lgkmcnt(0)
	global_store_dword v15, v16, s[2:3]
.LBB1593_251:
	s_or_b32 exec_lo, exec_lo, s1
	v_or_b32_e32 v15, 0xc00, v0
	s_mov_b32 s1, exec_lo
	v_cmpx_ge_u32_e64 v15, v5
	s_xor_b32 s1, exec_lo, s1
	s_cbranch_execz .LBB1593_257
; %bb.252:
	s_mov_b32 s2, exec_lo
	v_cmpx_ge_u32_e64 v15, v14
	s_xor_b32 s2, exec_lo, s2
	s_cbranch_execz .LBB1593_254
; %bb.253:
	v_lshlrev_b32_e32 v16, 2, v0
	v_add_co_u32 v15, vcc_lo, v7, v15
	ds_read_b32 v17, v16 offset:12288
	v_add_co_ci_u32_e64 v16, null, 0, v13, vcc_lo
	v_lshlrev_b64 v[15:16], 2, v[15:16]
	v_sub_co_u32 v15, vcc_lo, s14, v15
	v_sub_co_ci_u32_e64 v16, null, s15, v16, vcc_lo
	s_waitcnt lgkmcnt(0)
	global_store_dword v[15:16], v17, off offset:-4
                                        ; implicit-def: $vgpr15
.LBB1593_254:
	s_andn2_saveexec_b32 s2, s2
	s_cbranch_execz .LBB1593_256
; %bb.255:
	v_lshlrev_b32_e32 v16, 2, v0
	v_lshlrev_b32_e32 v15, 2, v15
	v_readfirstlane_b32 s6, v9
	v_readfirstlane_b32 s7, v10
	ds_read_b32 v16, v16 offset:12288
	s_waitcnt lgkmcnt(0)
	global_store_dword v15, v16, s[6:7]
.LBB1593_256:
	s_or_b32 exec_lo, exec_lo, s2
                                        ; implicit-def: $vgpr15
.LBB1593_257:
	s_andn2_saveexec_b32 s1, s1
	s_cbranch_execz .LBB1593_259
; %bb.258:
	v_lshlrev_b32_e32 v16, 2, v0
	v_lshlrev_b32_e32 v15, 2, v15
	v_readfirstlane_b32 s2, v11
	v_readfirstlane_b32 s3, v12
	ds_read_b32 v16, v16 offset:12288
	s_waitcnt lgkmcnt(0)
	global_store_dword v15, v16, s[2:3]
.LBB1593_259:
	s_or_b32 exec_lo, exec_lo, s1
	s_branch .LBB1593_153
.LBB1593_260:
	s_mov_b32 s1, exec_lo
	v_cmpx_gt_u32_e64 s5, v0
	s_cbranch_execz .LBB1593_269
; %bb.261:
	s_mov_b32 s2, exec_lo
	v_cmpx_ge_u32_e64 v0, v5
	s_xor_b32 s2, exec_lo, s2
	s_cbranch_execz .LBB1593_267
; %bb.262:
	s_mov_b32 s3, exec_lo
	v_cmpx_ge_u32_e64 v0, v14
	s_xor_b32 s3, exec_lo, s3
	s_cbranch_execz .LBB1593_264
; %bb.263:
	v_lshlrev_b32_e32 v15, 2, v0
	ds_read_b32 v17, v15
	v_add_co_u32 v15, vcc_lo, v7, v0
	v_add_co_ci_u32_e64 v16, null, 0, v13, vcc_lo
	v_lshlrev_b64 v[15:16], 2, v[15:16]
	v_sub_co_u32 v15, vcc_lo, s14, v15
	v_sub_co_ci_u32_e64 v16, null, s15, v16, vcc_lo
	s_waitcnt lgkmcnt(0)
	global_store_dword v[15:16], v17, off offset:-4
.LBB1593_264:
	s_andn2_saveexec_b32 s3, s3
	s_cbranch_execz .LBB1593_266
; %bb.265:
	v_lshlrev_b32_e32 v15, 2, v0
	v_readfirstlane_b32 s6, v9
	v_readfirstlane_b32 s7, v10
	ds_read_b32 v16, v15
	s_waitcnt lgkmcnt(0)
	global_store_dword v15, v16, s[6:7]
.LBB1593_266:
	s_or_b32 exec_lo, exec_lo, s3
.LBB1593_267:
	s_andn2_saveexec_b32 s2, s2
	s_cbranch_execz .LBB1593_269
; %bb.268:
	v_lshlrev_b32_e32 v15, 2, v0
	v_readfirstlane_b32 s2, v11
	v_readfirstlane_b32 s3, v12
	ds_read_b32 v16, v15
	s_waitcnt lgkmcnt(0)
	global_store_dword v15, v16, s[2:3]
.LBB1593_269:
	s_or_b32 exec_lo, exec_lo, s1
	v_or_b32_e32 v15, 0x100, v0
	s_mov_b32 s1, exec_lo
	v_cmpx_gt_u32_e64 s5, v15
	s_cbranch_execz .LBB1593_278
; %bb.270:
	s_mov_b32 s2, exec_lo
	v_cmpx_ge_u32_e64 v15, v5
	s_xor_b32 s2, exec_lo, s2
	s_cbranch_execz .LBB1593_276
; %bb.271:
	s_mov_b32 s3, exec_lo
	v_cmpx_ge_u32_e64 v15, v14
	s_xor_b32 s3, exec_lo, s3
	s_cbranch_execz .LBB1593_273
; %bb.272:
	v_lshlrev_b32_e32 v15, 2, v0
	ds_read_b32 v17, v15 offset:1024
	v_add_co_u32 v15, vcc_lo, v7, v0
	v_add_co_ci_u32_e64 v16, null, 0, v13, vcc_lo
	v_lshlrev_b64 v[15:16], 2, v[15:16]
	v_sub_co_u32 v15, vcc_lo, s14, v15
	v_sub_co_ci_u32_e64 v16, null, s15, v16, vcc_lo
	s_waitcnt lgkmcnt(0)
	global_store_dword v[15:16], v17, off offset:-1028
.LBB1593_273:
	s_andn2_saveexec_b32 s3, s3
	s_cbranch_execz .LBB1593_275
; %bb.274:
	v_lshlrev_b32_e32 v15, 2, v0
	v_readfirstlane_b32 s6, v9
	v_readfirstlane_b32 s7, v10
	ds_read_b32 v16, v15 offset:1024
	s_waitcnt lgkmcnt(0)
	global_store_dword v15, v16, s[6:7] offset:1024
.LBB1593_275:
	s_or_b32 exec_lo, exec_lo, s3
.LBB1593_276:
	s_andn2_saveexec_b32 s2, s2
	s_cbranch_execz .LBB1593_278
; %bb.277:
	v_lshlrev_b32_e32 v15, 2, v0
	v_readfirstlane_b32 s2, v11
	v_readfirstlane_b32 s3, v12
	ds_read_b32 v16, v15 offset:1024
	s_waitcnt lgkmcnt(0)
	global_store_dword v15, v16, s[2:3] offset:1024
.LBB1593_278:
	s_or_b32 exec_lo, exec_lo, s1
	v_or_b32_e32 v15, 0x200, v0
	s_mov_b32 s1, exec_lo
	v_cmpx_gt_u32_e64 s5, v15
	s_cbranch_execz .LBB1593_287
; %bb.279:
	s_mov_b32 s2, exec_lo
	v_cmpx_ge_u32_e64 v15, v5
	s_xor_b32 s2, exec_lo, s2
	s_cbranch_execz .LBB1593_285
; %bb.280:
	s_mov_b32 s3, exec_lo
	v_cmpx_ge_u32_e64 v15, v14
	s_xor_b32 s3, exec_lo, s3
	s_cbranch_execz .LBB1593_282
; %bb.281:
	v_lshlrev_b32_e32 v17, 2, v0
	v_add_co_u32 v15, vcc_lo, v7, v0
	v_add_co_ci_u32_e64 v16, null, 0, v13, vcc_lo
	ds_read_b32 v17, v17 offset:2048
	v_lshlrev_b64 v[15:16], 2, v[15:16]
	v_sub_co_u32 v15, vcc_lo, s14, v15
	v_sub_co_ci_u32_e64 v16, null, s15, v16, vcc_lo
	v_add_co_u32 v15, vcc_lo, 0xfffff800, v15
	v_add_co_ci_u32_e64 v16, null, -1, v16, vcc_lo
	s_waitcnt lgkmcnt(0)
	global_store_dword v[15:16], v17, off offset:-4
                                        ; implicit-def: $vgpr15
.LBB1593_282:
	s_andn2_saveexec_b32 s3, s3
	s_cbranch_execz .LBB1593_284
; %bb.283:
	v_lshlrev_b32_e32 v16, 2, v0
	v_lshlrev_b32_e32 v15, 2, v15
	v_readfirstlane_b32 s6, v9
	v_readfirstlane_b32 s7, v10
	ds_read_b32 v16, v16 offset:2048
	s_waitcnt lgkmcnt(0)
	global_store_dword v15, v16, s[6:7]
.LBB1593_284:
	s_or_b32 exec_lo, exec_lo, s3
                                        ; implicit-def: $vgpr15
.LBB1593_285:
	s_andn2_saveexec_b32 s2, s2
	s_cbranch_execz .LBB1593_287
; %bb.286:
	v_lshlrev_b32_e32 v16, 2, v0
	v_lshlrev_b32_e32 v15, 2, v15
	v_readfirstlane_b32 s2, v11
	v_readfirstlane_b32 s3, v12
	ds_read_b32 v16, v16 offset:2048
	s_waitcnt lgkmcnt(0)
	global_store_dword v15, v16, s[2:3]
.LBB1593_287:
	s_or_b32 exec_lo, exec_lo, s1
	v_or_b32_e32 v15, 0x300, v0
	s_mov_b32 s1, exec_lo
	v_cmpx_gt_u32_e64 s5, v15
	s_cbranch_execz .LBB1593_296
; %bb.288:
	s_mov_b32 s2, exec_lo
	v_cmpx_ge_u32_e64 v15, v5
	s_xor_b32 s2, exec_lo, s2
	s_cbranch_execz .LBB1593_294
; %bb.289:
	s_mov_b32 s3, exec_lo
	v_cmpx_ge_u32_e64 v15, v14
	s_xor_b32 s3, exec_lo, s3
	s_cbranch_execz .LBB1593_291
; %bb.290:
	v_lshlrev_b32_e32 v16, 2, v0
	v_add_co_u32 v15, vcc_lo, v7, v15
	ds_read_b32 v17, v16 offset:3072
	v_add_co_ci_u32_e64 v16, null, 0, v13, vcc_lo
	v_lshlrev_b64 v[15:16], 2, v[15:16]
	v_sub_co_u32 v15, vcc_lo, s14, v15
	v_sub_co_ci_u32_e64 v16, null, s15, v16, vcc_lo
	s_waitcnt lgkmcnt(0)
	global_store_dword v[15:16], v17, off offset:-4
                                        ; implicit-def: $vgpr15
.LBB1593_291:
	s_andn2_saveexec_b32 s3, s3
	s_cbranch_execz .LBB1593_293
; %bb.292:
	v_lshlrev_b32_e32 v16, 2, v0
	v_lshlrev_b32_e32 v15, 2, v15
	v_readfirstlane_b32 s6, v9
	v_readfirstlane_b32 s7, v10
	ds_read_b32 v16, v16 offset:3072
	s_waitcnt lgkmcnt(0)
	global_store_dword v15, v16, s[6:7]
.LBB1593_293:
	s_or_b32 exec_lo, exec_lo, s3
                                        ; implicit-def: $vgpr15
.LBB1593_294:
	s_andn2_saveexec_b32 s2, s2
	s_cbranch_execz .LBB1593_296
; %bb.295:
	v_lshlrev_b32_e32 v16, 2, v0
	v_lshlrev_b32_e32 v15, 2, v15
	v_readfirstlane_b32 s2, v11
	v_readfirstlane_b32 s3, v12
	ds_read_b32 v16, v16 offset:3072
	s_waitcnt lgkmcnt(0)
	global_store_dword v15, v16, s[2:3]
.LBB1593_296:
	s_or_b32 exec_lo, exec_lo, s1
	v_or_b32_e32 v15, 0x400, v0
	s_mov_b32 s1, exec_lo
	v_cmpx_gt_u32_e64 s5, v15
	s_cbranch_execz .LBB1593_305
; %bb.297:
	s_mov_b32 s2, exec_lo
	v_cmpx_ge_u32_e64 v15, v5
	s_xor_b32 s2, exec_lo, s2
	s_cbranch_execz .LBB1593_303
; %bb.298:
	s_mov_b32 s3, exec_lo
	v_cmpx_ge_u32_e64 v15, v14
	s_xor_b32 s3, exec_lo, s3
	s_cbranch_execz .LBB1593_300
; %bb.299:
	v_lshlrev_b32_e32 v16, 2, v0
	v_add_co_u32 v15, vcc_lo, v7, v15
	ds_read_b32 v17, v16 offset:4096
	v_add_co_ci_u32_e64 v16, null, 0, v13, vcc_lo
	v_lshlrev_b64 v[15:16], 2, v[15:16]
	v_sub_co_u32 v15, vcc_lo, s14, v15
	v_sub_co_ci_u32_e64 v16, null, s15, v16, vcc_lo
	s_waitcnt lgkmcnt(0)
	global_store_dword v[15:16], v17, off offset:-4
                                        ; implicit-def: $vgpr15
.LBB1593_300:
	s_andn2_saveexec_b32 s3, s3
	s_cbranch_execz .LBB1593_302
; %bb.301:
	v_lshlrev_b32_e32 v16, 2, v0
	v_lshlrev_b32_e32 v15, 2, v15
	v_readfirstlane_b32 s6, v9
	v_readfirstlane_b32 s7, v10
	ds_read_b32 v16, v16 offset:4096
	s_waitcnt lgkmcnt(0)
	global_store_dword v15, v16, s[6:7]
.LBB1593_302:
	s_or_b32 exec_lo, exec_lo, s3
                                        ; implicit-def: $vgpr15
.LBB1593_303:
	s_andn2_saveexec_b32 s2, s2
	s_cbranch_execz .LBB1593_305
; %bb.304:
	v_lshlrev_b32_e32 v16, 2, v0
	v_lshlrev_b32_e32 v15, 2, v15
	v_readfirstlane_b32 s2, v11
	v_readfirstlane_b32 s3, v12
	ds_read_b32 v16, v16 offset:4096
	s_waitcnt lgkmcnt(0)
	global_store_dword v15, v16, s[2:3]
.LBB1593_305:
	;; [unrolled: 52-line block ×9, first 2 shown]
	s_or_b32 exec_lo, exec_lo, s1
	v_or_b32_e32 v15, 0xc00, v0
	s_mov_b32 s1, exec_lo
	v_cmpx_gt_u32_e64 s5, v15
	s_cbranch_execz .LBB1593_377
; %bb.369:
	s_mov_b32 s2, exec_lo
	v_cmpx_ge_u32_e64 v15, v5
	s_xor_b32 s2, exec_lo, s2
	s_cbranch_execz .LBB1593_375
; %bb.370:
	s_mov_b32 s3, exec_lo
	v_cmpx_ge_u32_e64 v15, v14
	s_xor_b32 s3, exec_lo, s3
	s_cbranch_execz .LBB1593_372
; %bb.371:
	v_lshlrev_b32_e32 v0, 2, v0
	v_add_co_u32 v9, vcc_lo, v7, v15
	v_add_co_ci_u32_e64 v10, null, 0, v13, vcc_lo
	ds_read_b32 v0, v0 offset:12288
                                        ; implicit-def: $vgpr15
	v_lshlrev_b64 v[9:10], 2, v[9:10]
	v_sub_co_u32 v9, vcc_lo, s14, v9
	v_sub_co_ci_u32_e64 v10, null, s15, v10, vcc_lo
	s_waitcnt lgkmcnt(0)
	global_store_dword v[9:10], v0, off offset:-4
                                        ; implicit-def: $vgpr0
                                        ; implicit-def: $vgpr9_vgpr10
.LBB1593_372:
	s_andn2_saveexec_b32 s3, s3
	s_cbranch_execz .LBB1593_374
; %bb.373:
	v_lshlrev_b32_e32 v0, 2, v0
	v_lshlrev_b32_e32 v7, 2, v15
	v_readfirstlane_b32 s4, v9
	v_readfirstlane_b32 s5, v10
	ds_read_b32 v0, v0 offset:12288
	s_waitcnt lgkmcnt(0)
	global_store_dword v7, v0, s[4:5]
.LBB1593_374:
	s_or_b32 exec_lo, exec_lo, s3
                                        ; implicit-def: $vgpr0
                                        ; implicit-def: $vgpr15
                                        ; implicit-def: $vgpr11_vgpr12
.LBB1593_375:
	s_andn2_saveexec_b32 s2, s2
	s_cbranch_execz .LBB1593_377
; %bb.376:
	v_lshlrev_b32_e32 v0, 2, v0
	v_lshlrev_b32_e32 v7, 2, v15
	v_readfirstlane_b32 s2, v11
	v_readfirstlane_b32 s3, v12
	ds_read_b32 v0, v0 offset:12288
	s_waitcnt lgkmcnt(0)
	global_store_dword v7, v0, s[2:3]
.LBB1593_377:
	s_or_b32 exec_lo, exec_lo, s1
	s_and_b32 s0, s0, s26
	s_and_saveexec_b32 s1, s0
	s_cbranch_execz .LBB1593_154
.LBB1593_378:
	v_add_co_u32 v0, vcc_lo, v3, v6
	v_add_co_ci_u32_e64 v4, null, 0, v4, vcc_lo
	v_mov_b32_e32 v6, 0
	v_add_co_u32 v3, vcc_lo, v0, v8
	v_add_co_ci_u32_e64 v4, null, 0, v4, vcc_lo
	v_add_co_u32 v1, vcc_lo, v1, v5
	v_add_co_ci_u32_e64 v2, null, 0, v2, vcc_lo
	global_store_dwordx4 v6, v[1:4], s[24:25]
	s_endpgm
.LBB1593_379:
	s_add_i32 s8, s27, 32
	s_mov_b32 s9, 0
	v_add_nc_u32_e32 v10, v8, v6
	s_lshl_b64 s[8:9], s[8:9], 4
	v_add_nc_u32_e32 v9, v7, v5
	s_add_u32 s8, s36, s8
	s_addc_u32 s9, s37, s9
	v_mov_b32_e32 v11, 2
	v_mov_b32_e32 v28, s9
	;; [unrolled: 1-line block ×4, first 2 shown]
	;;#ASMSTART
	global_store_dwordx4 v[27:28], v[9:12] off	
s_waitcnt vmcnt(0)
	;;#ASMEND
	s_or_b32 exec_lo, exec_lo, s6
	s_and_saveexec_b32 s6, s3
	s_cbranch_execz .LBB1593_139
.LBB1593_380:
	v_mov_b32_e32 v9, 0
	ds_write_b128 v9, v[5:8] offset:13312
	s_or_b32 exec_lo, exec_lo, s6
	s_and_b32 exec_lo, exec_lo, s0
	s_cbranch_execnz .LBB1593_140
	s_branch .LBB1593_141
	.section	.rodata,"a",@progbits
	.p2align	6, 0x0
	.amdhsa_kernel _ZN7rocprim17ROCPRIM_400000_NS6detail17trampoline_kernelINS0_13select_configILj256ELj13ELNS0_17block_load_methodE3ELS4_3ELS4_3ELNS0_20block_scan_algorithmE0ELj4294967295EEENS1_25partition_config_selectorILNS1_17partition_subalgoE4EjNS0_10empty_typeEbEEZZNS1_14partition_implILS8_4ELb0ES6_15HIP_vector_typeIjLj2EENS0_17counting_iteratorIjlEEPS9_SG_NS0_5tupleIJPjSI_NS0_16reverse_iteratorISI_EEEEENSH_IJSG_SG_SG_EEES9_SI_JZNS1_25segmented_radix_sort_implINS0_14default_configELb0EPKbPbPKlPlN2at6native12_GLOBAL__N_18offset_tEEE10hipError_tPvRmT1_PNSt15iterator_traitsIS12_E10value_typeET2_T3_PNS13_IS18_E10value_typeET4_jRbjT5_S1E_jjP12ihipStream_tbEUljE_ZNSN_ISO_Lb0ESQ_SR_ST_SU_SY_EESZ_S10_S11_S12_S16_S17_S18_S1B_S1C_jS1D_jS1E_S1E_jjS1G_bEUljE0_EEESZ_S10_S11_S18_S1C_S1E_T6_T7_T9_mT8_S1G_bDpT10_ENKUlT_T0_E_clISt17integral_constantIbLb0EES1T_IbLb1EEEEDaS1P_S1Q_EUlS1P_E_NS1_11comp_targetILNS1_3genE8ELNS1_11target_archE1030ELNS1_3gpuE2ELNS1_3repE0EEENS1_30default_config_static_selectorELNS0_4arch9wavefront6targetE0EEEvS12_
		.amdhsa_group_segment_fixed_size 13328
		.amdhsa_private_segment_fixed_size 0
		.amdhsa_kernarg_size 184
		.amdhsa_user_sgpr_count 6
		.amdhsa_user_sgpr_private_segment_buffer 1
		.amdhsa_user_sgpr_dispatch_ptr 0
		.amdhsa_user_sgpr_queue_ptr 0
		.amdhsa_user_sgpr_kernarg_segment_ptr 1
		.amdhsa_user_sgpr_dispatch_id 0
		.amdhsa_user_sgpr_flat_scratch_init 0
		.amdhsa_user_sgpr_private_segment_size 0
		.amdhsa_wavefront_size32 1
		.amdhsa_uses_dynamic_stack 0
		.amdhsa_system_sgpr_private_segment_wavefront_offset 0
		.amdhsa_system_sgpr_workgroup_id_x 1
		.amdhsa_system_sgpr_workgroup_id_y 0
		.amdhsa_system_sgpr_workgroup_id_z 0
		.amdhsa_system_sgpr_workgroup_info 0
		.amdhsa_system_vgpr_workitem_id 0
		.amdhsa_next_free_vgpr 87
		.amdhsa_next_free_sgpr 55
		.amdhsa_reserve_vcc 1
		.amdhsa_reserve_flat_scratch 0
		.amdhsa_float_round_mode_32 0
		.amdhsa_float_round_mode_16_64 0
		.amdhsa_float_denorm_mode_32 3
		.amdhsa_float_denorm_mode_16_64 3
		.amdhsa_dx10_clamp 1
		.amdhsa_ieee_mode 1
		.amdhsa_fp16_overflow 0
		.amdhsa_workgroup_processor_mode 1
		.amdhsa_memory_ordered 1
		.amdhsa_forward_progress 1
		.amdhsa_shared_vgpr_count 0
		.amdhsa_exception_fp_ieee_invalid_op 0
		.amdhsa_exception_fp_denorm_src 0
		.amdhsa_exception_fp_ieee_div_zero 0
		.amdhsa_exception_fp_ieee_overflow 0
		.amdhsa_exception_fp_ieee_underflow 0
		.amdhsa_exception_fp_ieee_inexact 0
		.amdhsa_exception_int_div_zero 0
	.end_amdhsa_kernel
	.section	.text._ZN7rocprim17ROCPRIM_400000_NS6detail17trampoline_kernelINS0_13select_configILj256ELj13ELNS0_17block_load_methodE3ELS4_3ELS4_3ELNS0_20block_scan_algorithmE0ELj4294967295EEENS1_25partition_config_selectorILNS1_17partition_subalgoE4EjNS0_10empty_typeEbEEZZNS1_14partition_implILS8_4ELb0ES6_15HIP_vector_typeIjLj2EENS0_17counting_iteratorIjlEEPS9_SG_NS0_5tupleIJPjSI_NS0_16reverse_iteratorISI_EEEEENSH_IJSG_SG_SG_EEES9_SI_JZNS1_25segmented_radix_sort_implINS0_14default_configELb0EPKbPbPKlPlN2at6native12_GLOBAL__N_18offset_tEEE10hipError_tPvRmT1_PNSt15iterator_traitsIS12_E10value_typeET2_T3_PNS13_IS18_E10value_typeET4_jRbjT5_S1E_jjP12ihipStream_tbEUljE_ZNSN_ISO_Lb0ESQ_SR_ST_SU_SY_EESZ_S10_S11_S12_S16_S17_S18_S1B_S1C_jS1D_jS1E_S1E_jjS1G_bEUljE0_EEESZ_S10_S11_S18_S1C_S1E_T6_T7_T9_mT8_S1G_bDpT10_ENKUlT_T0_E_clISt17integral_constantIbLb0EES1T_IbLb1EEEEDaS1P_S1Q_EUlS1P_E_NS1_11comp_targetILNS1_3genE8ELNS1_11target_archE1030ELNS1_3gpuE2ELNS1_3repE0EEENS1_30default_config_static_selectorELNS0_4arch9wavefront6targetE0EEEvS12_,"axG",@progbits,_ZN7rocprim17ROCPRIM_400000_NS6detail17trampoline_kernelINS0_13select_configILj256ELj13ELNS0_17block_load_methodE3ELS4_3ELS4_3ELNS0_20block_scan_algorithmE0ELj4294967295EEENS1_25partition_config_selectorILNS1_17partition_subalgoE4EjNS0_10empty_typeEbEEZZNS1_14partition_implILS8_4ELb0ES6_15HIP_vector_typeIjLj2EENS0_17counting_iteratorIjlEEPS9_SG_NS0_5tupleIJPjSI_NS0_16reverse_iteratorISI_EEEEENSH_IJSG_SG_SG_EEES9_SI_JZNS1_25segmented_radix_sort_implINS0_14default_configELb0EPKbPbPKlPlN2at6native12_GLOBAL__N_18offset_tEEE10hipError_tPvRmT1_PNSt15iterator_traitsIS12_E10value_typeET2_T3_PNS13_IS18_E10value_typeET4_jRbjT5_S1E_jjP12ihipStream_tbEUljE_ZNSN_ISO_Lb0ESQ_SR_ST_SU_SY_EESZ_S10_S11_S12_S16_S17_S18_S1B_S1C_jS1D_jS1E_S1E_jjS1G_bEUljE0_EEESZ_S10_S11_S18_S1C_S1E_T6_T7_T9_mT8_S1G_bDpT10_ENKUlT_T0_E_clISt17integral_constantIbLb0EES1T_IbLb1EEEEDaS1P_S1Q_EUlS1P_E_NS1_11comp_targetILNS1_3genE8ELNS1_11target_archE1030ELNS1_3gpuE2ELNS1_3repE0EEENS1_30default_config_static_selectorELNS0_4arch9wavefront6targetE0EEEvS12_,comdat
.Lfunc_end1593:
	.size	_ZN7rocprim17ROCPRIM_400000_NS6detail17trampoline_kernelINS0_13select_configILj256ELj13ELNS0_17block_load_methodE3ELS4_3ELS4_3ELNS0_20block_scan_algorithmE0ELj4294967295EEENS1_25partition_config_selectorILNS1_17partition_subalgoE4EjNS0_10empty_typeEbEEZZNS1_14partition_implILS8_4ELb0ES6_15HIP_vector_typeIjLj2EENS0_17counting_iteratorIjlEEPS9_SG_NS0_5tupleIJPjSI_NS0_16reverse_iteratorISI_EEEEENSH_IJSG_SG_SG_EEES9_SI_JZNS1_25segmented_radix_sort_implINS0_14default_configELb0EPKbPbPKlPlN2at6native12_GLOBAL__N_18offset_tEEE10hipError_tPvRmT1_PNSt15iterator_traitsIS12_E10value_typeET2_T3_PNS13_IS18_E10value_typeET4_jRbjT5_S1E_jjP12ihipStream_tbEUljE_ZNSN_ISO_Lb0ESQ_SR_ST_SU_SY_EESZ_S10_S11_S12_S16_S17_S18_S1B_S1C_jS1D_jS1E_S1E_jjS1G_bEUljE0_EEESZ_S10_S11_S18_S1C_S1E_T6_T7_T9_mT8_S1G_bDpT10_ENKUlT_T0_E_clISt17integral_constantIbLb0EES1T_IbLb1EEEEDaS1P_S1Q_EUlS1P_E_NS1_11comp_targetILNS1_3genE8ELNS1_11target_archE1030ELNS1_3gpuE2ELNS1_3repE0EEENS1_30default_config_static_selectorELNS0_4arch9wavefront6targetE0EEEvS12_, .Lfunc_end1593-_ZN7rocprim17ROCPRIM_400000_NS6detail17trampoline_kernelINS0_13select_configILj256ELj13ELNS0_17block_load_methodE3ELS4_3ELS4_3ELNS0_20block_scan_algorithmE0ELj4294967295EEENS1_25partition_config_selectorILNS1_17partition_subalgoE4EjNS0_10empty_typeEbEEZZNS1_14partition_implILS8_4ELb0ES6_15HIP_vector_typeIjLj2EENS0_17counting_iteratorIjlEEPS9_SG_NS0_5tupleIJPjSI_NS0_16reverse_iteratorISI_EEEEENSH_IJSG_SG_SG_EEES9_SI_JZNS1_25segmented_radix_sort_implINS0_14default_configELb0EPKbPbPKlPlN2at6native12_GLOBAL__N_18offset_tEEE10hipError_tPvRmT1_PNSt15iterator_traitsIS12_E10value_typeET2_T3_PNS13_IS18_E10value_typeET4_jRbjT5_S1E_jjP12ihipStream_tbEUljE_ZNSN_ISO_Lb0ESQ_SR_ST_SU_SY_EESZ_S10_S11_S12_S16_S17_S18_S1B_S1C_jS1D_jS1E_S1E_jjS1G_bEUljE0_EEESZ_S10_S11_S18_S1C_S1E_T6_T7_T9_mT8_S1G_bDpT10_ENKUlT_T0_E_clISt17integral_constantIbLb0EES1T_IbLb1EEEEDaS1P_S1Q_EUlS1P_E_NS1_11comp_targetILNS1_3genE8ELNS1_11target_archE1030ELNS1_3gpuE2ELNS1_3repE0EEENS1_30default_config_static_selectorELNS0_4arch9wavefront6targetE0EEEvS12_
                                        ; -- End function
	.set _ZN7rocprim17ROCPRIM_400000_NS6detail17trampoline_kernelINS0_13select_configILj256ELj13ELNS0_17block_load_methodE3ELS4_3ELS4_3ELNS0_20block_scan_algorithmE0ELj4294967295EEENS1_25partition_config_selectorILNS1_17partition_subalgoE4EjNS0_10empty_typeEbEEZZNS1_14partition_implILS8_4ELb0ES6_15HIP_vector_typeIjLj2EENS0_17counting_iteratorIjlEEPS9_SG_NS0_5tupleIJPjSI_NS0_16reverse_iteratorISI_EEEEENSH_IJSG_SG_SG_EEES9_SI_JZNS1_25segmented_radix_sort_implINS0_14default_configELb0EPKbPbPKlPlN2at6native12_GLOBAL__N_18offset_tEEE10hipError_tPvRmT1_PNSt15iterator_traitsIS12_E10value_typeET2_T3_PNS13_IS18_E10value_typeET4_jRbjT5_S1E_jjP12ihipStream_tbEUljE_ZNSN_ISO_Lb0ESQ_SR_ST_SU_SY_EESZ_S10_S11_S12_S16_S17_S18_S1B_S1C_jS1D_jS1E_S1E_jjS1G_bEUljE0_EEESZ_S10_S11_S18_S1C_S1E_T6_T7_T9_mT8_S1G_bDpT10_ENKUlT_T0_E_clISt17integral_constantIbLb0EES1T_IbLb1EEEEDaS1P_S1Q_EUlS1P_E_NS1_11comp_targetILNS1_3genE8ELNS1_11target_archE1030ELNS1_3gpuE2ELNS1_3repE0EEENS1_30default_config_static_selectorELNS0_4arch9wavefront6targetE0EEEvS12_.num_vgpr, 87
	.set _ZN7rocprim17ROCPRIM_400000_NS6detail17trampoline_kernelINS0_13select_configILj256ELj13ELNS0_17block_load_methodE3ELS4_3ELS4_3ELNS0_20block_scan_algorithmE0ELj4294967295EEENS1_25partition_config_selectorILNS1_17partition_subalgoE4EjNS0_10empty_typeEbEEZZNS1_14partition_implILS8_4ELb0ES6_15HIP_vector_typeIjLj2EENS0_17counting_iteratorIjlEEPS9_SG_NS0_5tupleIJPjSI_NS0_16reverse_iteratorISI_EEEEENSH_IJSG_SG_SG_EEES9_SI_JZNS1_25segmented_radix_sort_implINS0_14default_configELb0EPKbPbPKlPlN2at6native12_GLOBAL__N_18offset_tEEE10hipError_tPvRmT1_PNSt15iterator_traitsIS12_E10value_typeET2_T3_PNS13_IS18_E10value_typeET4_jRbjT5_S1E_jjP12ihipStream_tbEUljE_ZNSN_ISO_Lb0ESQ_SR_ST_SU_SY_EESZ_S10_S11_S12_S16_S17_S18_S1B_S1C_jS1D_jS1E_S1E_jjS1G_bEUljE0_EEESZ_S10_S11_S18_S1C_S1E_T6_T7_T9_mT8_S1G_bDpT10_ENKUlT_T0_E_clISt17integral_constantIbLb0EES1T_IbLb1EEEEDaS1P_S1Q_EUlS1P_E_NS1_11comp_targetILNS1_3genE8ELNS1_11target_archE1030ELNS1_3gpuE2ELNS1_3repE0EEENS1_30default_config_static_selectorELNS0_4arch9wavefront6targetE0EEEvS12_.num_agpr, 0
	.set _ZN7rocprim17ROCPRIM_400000_NS6detail17trampoline_kernelINS0_13select_configILj256ELj13ELNS0_17block_load_methodE3ELS4_3ELS4_3ELNS0_20block_scan_algorithmE0ELj4294967295EEENS1_25partition_config_selectorILNS1_17partition_subalgoE4EjNS0_10empty_typeEbEEZZNS1_14partition_implILS8_4ELb0ES6_15HIP_vector_typeIjLj2EENS0_17counting_iteratorIjlEEPS9_SG_NS0_5tupleIJPjSI_NS0_16reverse_iteratorISI_EEEEENSH_IJSG_SG_SG_EEES9_SI_JZNS1_25segmented_radix_sort_implINS0_14default_configELb0EPKbPbPKlPlN2at6native12_GLOBAL__N_18offset_tEEE10hipError_tPvRmT1_PNSt15iterator_traitsIS12_E10value_typeET2_T3_PNS13_IS18_E10value_typeET4_jRbjT5_S1E_jjP12ihipStream_tbEUljE_ZNSN_ISO_Lb0ESQ_SR_ST_SU_SY_EESZ_S10_S11_S12_S16_S17_S18_S1B_S1C_jS1D_jS1E_S1E_jjS1G_bEUljE0_EEESZ_S10_S11_S18_S1C_S1E_T6_T7_T9_mT8_S1G_bDpT10_ENKUlT_T0_E_clISt17integral_constantIbLb0EES1T_IbLb1EEEEDaS1P_S1Q_EUlS1P_E_NS1_11comp_targetILNS1_3genE8ELNS1_11target_archE1030ELNS1_3gpuE2ELNS1_3repE0EEENS1_30default_config_static_selectorELNS0_4arch9wavefront6targetE0EEEvS12_.numbered_sgpr, 55
	.set _ZN7rocprim17ROCPRIM_400000_NS6detail17trampoline_kernelINS0_13select_configILj256ELj13ELNS0_17block_load_methodE3ELS4_3ELS4_3ELNS0_20block_scan_algorithmE0ELj4294967295EEENS1_25partition_config_selectorILNS1_17partition_subalgoE4EjNS0_10empty_typeEbEEZZNS1_14partition_implILS8_4ELb0ES6_15HIP_vector_typeIjLj2EENS0_17counting_iteratorIjlEEPS9_SG_NS0_5tupleIJPjSI_NS0_16reverse_iteratorISI_EEEEENSH_IJSG_SG_SG_EEES9_SI_JZNS1_25segmented_radix_sort_implINS0_14default_configELb0EPKbPbPKlPlN2at6native12_GLOBAL__N_18offset_tEEE10hipError_tPvRmT1_PNSt15iterator_traitsIS12_E10value_typeET2_T3_PNS13_IS18_E10value_typeET4_jRbjT5_S1E_jjP12ihipStream_tbEUljE_ZNSN_ISO_Lb0ESQ_SR_ST_SU_SY_EESZ_S10_S11_S12_S16_S17_S18_S1B_S1C_jS1D_jS1E_S1E_jjS1G_bEUljE0_EEESZ_S10_S11_S18_S1C_S1E_T6_T7_T9_mT8_S1G_bDpT10_ENKUlT_T0_E_clISt17integral_constantIbLb0EES1T_IbLb1EEEEDaS1P_S1Q_EUlS1P_E_NS1_11comp_targetILNS1_3genE8ELNS1_11target_archE1030ELNS1_3gpuE2ELNS1_3repE0EEENS1_30default_config_static_selectorELNS0_4arch9wavefront6targetE0EEEvS12_.num_named_barrier, 0
	.set _ZN7rocprim17ROCPRIM_400000_NS6detail17trampoline_kernelINS0_13select_configILj256ELj13ELNS0_17block_load_methodE3ELS4_3ELS4_3ELNS0_20block_scan_algorithmE0ELj4294967295EEENS1_25partition_config_selectorILNS1_17partition_subalgoE4EjNS0_10empty_typeEbEEZZNS1_14partition_implILS8_4ELb0ES6_15HIP_vector_typeIjLj2EENS0_17counting_iteratorIjlEEPS9_SG_NS0_5tupleIJPjSI_NS0_16reverse_iteratorISI_EEEEENSH_IJSG_SG_SG_EEES9_SI_JZNS1_25segmented_radix_sort_implINS0_14default_configELb0EPKbPbPKlPlN2at6native12_GLOBAL__N_18offset_tEEE10hipError_tPvRmT1_PNSt15iterator_traitsIS12_E10value_typeET2_T3_PNS13_IS18_E10value_typeET4_jRbjT5_S1E_jjP12ihipStream_tbEUljE_ZNSN_ISO_Lb0ESQ_SR_ST_SU_SY_EESZ_S10_S11_S12_S16_S17_S18_S1B_S1C_jS1D_jS1E_S1E_jjS1G_bEUljE0_EEESZ_S10_S11_S18_S1C_S1E_T6_T7_T9_mT8_S1G_bDpT10_ENKUlT_T0_E_clISt17integral_constantIbLb0EES1T_IbLb1EEEEDaS1P_S1Q_EUlS1P_E_NS1_11comp_targetILNS1_3genE8ELNS1_11target_archE1030ELNS1_3gpuE2ELNS1_3repE0EEENS1_30default_config_static_selectorELNS0_4arch9wavefront6targetE0EEEvS12_.private_seg_size, 0
	.set _ZN7rocprim17ROCPRIM_400000_NS6detail17trampoline_kernelINS0_13select_configILj256ELj13ELNS0_17block_load_methodE3ELS4_3ELS4_3ELNS0_20block_scan_algorithmE0ELj4294967295EEENS1_25partition_config_selectorILNS1_17partition_subalgoE4EjNS0_10empty_typeEbEEZZNS1_14partition_implILS8_4ELb0ES6_15HIP_vector_typeIjLj2EENS0_17counting_iteratorIjlEEPS9_SG_NS0_5tupleIJPjSI_NS0_16reverse_iteratorISI_EEEEENSH_IJSG_SG_SG_EEES9_SI_JZNS1_25segmented_radix_sort_implINS0_14default_configELb0EPKbPbPKlPlN2at6native12_GLOBAL__N_18offset_tEEE10hipError_tPvRmT1_PNSt15iterator_traitsIS12_E10value_typeET2_T3_PNS13_IS18_E10value_typeET4_jRbjT5_S1E_jjP12ihipStream_tbEUljE_ZNSN_ISO_Lb0ESQ_SR_ST_SU_SY_EESZ_S10_S11_S12_S16_S17_S18_S1B_S1C_jS1D_jS1E_S1E_jjS1G_bEUljE0_EEESZ_S10_S11_S18_S1C_S1E_T6_T7_T9_mT8_S1G_bDpT10_ENKUlT_T0_E_clISt17integral_constantIbLb0EES1T_IbLb1EEEEDaS1P_S1Q_EUlS1P_E_NS1_11comp_targetILNS1_3genE8ELNS1_11target_archE1030ELNS1_3gpuE2ELNS1_3repE0EEENS1_30default_config_static_selectorELNS0_4arch9wavefront6targetE0EEEvS12_.uses_vcc, 1
	.set _ZN7rocprim17ROCPRIM_400000_NS6detail17trampoline_kernelINS0_13select_configILj256ELj13ELNS0_17block_load_methodE3ELS4_3ELS4_3ELNS0_20block_scan_algorithmE0ELj4294967295EEENS1_25partition_config_selectorILNS1_17partition_subalgoE4EjNS0_10empty_typeEbEEZZNS1_14partition_implILS8_4ELb0ES6_15HIP_vector_typeIjLj2EENS0_17counting_iteratorIjlEEPS9_SG_NS0_5tupleIJPjSI_NS0_16reverse_iteratorISI_EEEEENSH_IJSG_SG_SG_EEES9_SI_JZNS1_25segmented_radix_sort_implINS0_14default_configELb0EPKbPbPKlPlN2at6native12_GLOBAL__N_18offset_tEEE10hipError_tPvRmT1_PNSt15iterator_traitsIS12_E10value_typeET2_T3_PNS13_IS18_E10value_typeET4_jRbjT5_S1E_jjP12ihipStream_tbEUljE_ZNSN_ISO_Lb0ESQ_SR_ST_SU_SY_EESZ_S10_S11_S12_S16_S17_S18_S1B_S1C_jS1D_jS1E_S1E_jjS1G_bEUljE0_EEESZ_S10_S11_S18_S1C_S1E_T6_T7_T9_mT8_S1G_bDpT10_ENKUlT_T0_E_clISt17integral_constantIbLb0EES1T_IbLb1EEEEDaS1P_S1Q_EUlS1P_E_NS1_11comp_targetILNS1_3genE8ELNS1_11target_archE1030ELNS1_3gpuE2ELNS1_3repE0EEENS1_30default_config_static_selectorELNS0_4arch9wavefront6targetE0EEEvS12_.uses_flat_scratch, 0
	.set _ZN7rocprim17ROCPRIM_400000_NS6detail17trampoline_kernelINS0_13select_configILj256ELj13ELNS0_17block_load_methodE3ELS4_3ELS4_3ELNS0_20block_scan_algorithmE0ELj4294967295EEENS1_25partition_config_selectorILNS1_17partition_subalgoE4EjNS0_10empty_typeEbEEZZNS1_14partition_implILS8_4ELb0ES6_15HIP_vector_typeIjLj2EENS0_17counting_iteratorIjlEEPS9_SG_NS0_5tupleIJPjSI_NS0_16reverse_iteratorISI_EEEEENSH_IJSG_SG_SG_EEES9_SI_JZNS1_25segmented_radix_sort_implINS0_14default_configELb0EPKbPbPKlPlN2at6native12_GLOBAL__N_18offset_tEEE10hipError_tPvRmT1_PNSt15iterator_traitsIS12_E10value_typeET2_T3_PNS13_IS18_E10value_typeET4_jRbjT5_S1E_jjP12ihipStream_tbEUljE_ZNSN_ISO_Lb0ESQ_SR_ST_SU_SY_EESZ_S10_S11_S12_S16_S17_S18_S1B_S1C_jS1D_jS1E_S1E_jjS1G_bEUljE0_EEESZ_S10_S11_S18_S1C_S1E_T6_T7_T9_mT8_S1G_bDpT10_ENKUlT_T0_E_clISt17integral_constantIbLb0EES1T_IbLb1EEEEDaS1P_S1Q_EUlS1P_E_NS1_11comp_targetILNS1_3genE8ELNS1_11target_archE1030ELNS1_3gpuE2ELNS1_3repE0EEENS1_30default_config_static_selectorELNS0_4arch9wavefront6targetE0EEEvS12_.has_dyn_sized_stack, 0
	.set _ZN7rocprim17ROCPRIM_400000_NS6detail17trampoline_kernelINS0_13select_configILj256ELj13ELNS0_17block_load_methodE3ELS4_3ELS4_3ELNS0_20block_scan_algorithmE0ELj4294967295EEENS1_25partition_config_selectorILNS1_17partition_subalgoE4EjNS0_10empty_typeEbEEZZNS1_14partition_implILS8_4ELb0ES6_15HIP_vector_typeIjLj2EENS0_17counting_iteratorIjlEEPS9_SG_NS0_5tupleIJPjSI_NS0_16reverse_iteratorISI_EEEEENSH_IJSG_SG_SG_EEES9_SI_JZNS1_25segmented_radix_sort_implINS0_14default_configELb0EPKbPbPKlPlN2at6native12_GLOBAL__N_18offset_tEEE10hipError_tPvRmT1_PNSt15iterator_traitsIS12_E10value_typeET2_T3_PNS13_IS18_E10value_typeET4_jRbjT5_S1E_jjP12ihipStream_tbEUljE_ZNSN_ISO_Lb0ESQ_SR_ST_SU_SY_EESZ_S10_S11_S12_S16_S17_S18_S1B_S1C_jS1D_jS1E_S1E_jjS1G_bEUljE0_EEESZ_S10_S11_S18_S1C_S1E_T6_T7_T9_mT8_S1G_bDpT10_ENKUlT_T0_E_clISt17integral_constantIbLb0EES1T_IbLb1EEEEDaS1P_S1Q_EUlS1P_E_NS1_11comp_targetILNS1_3genE8ELNS1_11target_archE1030ELNS1_3gpuE2ELNS1_3repE0EEENS1_30default_config_static_selectorELNS0_4arch9wavefront6targetE0EEEvS12_.has_recursion, 0
	.set _ZN7rocprim17ROCPRIM_400000_NS6detail17trampoline_kernelINS0_13select_configILj256ELj13ELNS0_17block_load_methodE3ELS4_3ELS4_3ELNS0_20block_scan_algorithmE0ELj4294967295EEENS1_25partition_config_selectorILNS1_17partition_subalgoE4EjNS0_10empty_typeEbEEZZNS1_14partition_implILS8_4ELb0ES6_15HIP_vector_typeIjLj2EENS0_17counting_iteratorIjlEEPS9_SG_NS0_5tupleIJPjSI_NS0_16reverse_iteratorISI_EEEEENSH_IJSG_SG_SG_EEES9_SI_JZNS1_25segmented_radix_sort_implINS0_14default_configELb0EPKbPbPKlPlN2at6native12_GLOBAL__N_18offset_tEEE10hipError_tPvRmT1_PNSt15iterator_traitsIS12_E10value_typeET2_T3_PNS13_IS18_E10value_typeET4_jRbjT5_S1E_jjP12ihipStream_tbEUljE_ZNSN_ISO_Lb0ESQ_SR_ST_SU_SY_EESZ_S10_S11_S12_S16_S17_S18_S1B_S1C_jS1D_jS1E_S1E_jjS1G_bEUljE0_EEESZ_S10_S11_S18_S1C_S1E_T6_T7_T9_mT8_S1G_bDpT10_ENKUlT_T0_E_clISt17integral_constantIbLb0EES1T_IbLb1EEEEDaS1P_S1Q_EUlS1P_E_NS1_11comp_targetILNS1_3genE8ELNS1_11target_archE1030ELNS1_3gpuE2ELNS1_3repE0EEENS1_30default_config_static_selectorELNS0_4arch9wavefront6targetE0EEEvS12_.has_indirect_call, 0
	.section	.AMDGPU.csdata,"",@progbits
; Kernel info:
; codeLenInByte = 16368
; TotalNumSgprs: 57
; NumVgprs: 87
; ScratchSize: 0
; MemoryBound: 0
; FloatMode: 240
; IeeeMode: 1
; LDSByteSize: 13328 bytes/workgroup (compile time only)
; SGPRBlocks: 0
; VGPRBlocks: 10
; NumSGPRsForWavesPerEU: 57
; NumVGPRsForWavesPerEU: 87
; Occupancy: 10
; WaveLimiterHint : 1
; COMPUTE_PGM_RSRC2:SCRATCH_EN: 0
; COMPUTE_PGM_RSRC2:USER_SGPR: 6
; COMPUTE_PGM_RSRC2:TRAP_HANDLER: 0
; COMPUTE_PGM_RSRC2:TGID_X_EN: 1
; COMPUTE_PGM_RSRC2:TGID_Y_EN: 0
; COMPUTE_PGM_RSRC2:TGID_Z_EN: 0
; COMPUTE_PGM_RSRC2:TIDIG_COMP_CNT: 0
	.section	.text._ZN7rocprim17ROCPRIM_400000_NS6detail17trampoline_kernelINS0_13select_configILj256ELj13ELNS0_17block_load_methodE3ELS4_3ELS4_3ELNS0_20block_scan_algorithmE0ELj4294967295EEENS1_25partition_config_selectorILNS1_17partition_subalgoE3EjNS0_10empty_typeEbEEZZNS1_14partition_implILS8_3ELb0ES6_jNS0_17counting_iteratorIjlEEPS9_SE_NS0_5tupleIJPjSE_EEENSF_IJSE_SE_EEES9_SG_JZNS1_25segmented_radix_sort_implINS0_14default_configELb0EPKbPbPKlPlN2at6native12_GLOBAL__N_18offset_tEEE10hipError_tPvRmT1_PNSt15iterator_traitsISY_E10value_typeET2_T3_PNSZ_IS14_E10value_typeET4_jRbjT5_S1A_jjP12ihipStream_tbEUljE_EEESV_SW_SX_S14_S18_S1A_T6_T7_T9_mT8_S1C_bDpT10_ENKUlT_T0_E_clISt17integral_constantIbLb0EES1P_EEDaS1K_S1L_EUlS1K_E_NS1_11comp_targetILNS1_3genE0ELNS1_11target_archE4294967295ELNS1_3gpuE0ELNS1_3repE0EEENS1_30default_config_static_selectorELNS0_4arch9wavefront6targetE0EEEvSY_,"axG",@progbits,_ZN7rocprim17ROCPRIM_400000_NS6detail17trampoline_kernelINS0_13select_configILj256ELj13ELNS0_17block_load_methodE3ELS4_3ELS4_3ELNS0_20block_scan_algorithmE0ELj4294967295EEENS1_25partition_config_selectorILNS1_17partition_subalgoE3EjNS0_10empty_typeEbEEZZNS1_14partition_implILS8_3ELb0ES6_jNS0_17counting_iteratorIjlEEPS9_SE_NS0_5tupleIJPjSE_EEENSF_IJSE_SE_EEES9_SG_JZNS1_25segmented_radix_sort_implINS0_14default_configELb0EPKbPbPKlPlN2at6native12_GLOBAL__N_18offset_tEEE10hipError_tPvRmT1_PNSt15iterator_traitsISY_E10value_typeET2_T3_PNSZ_IS14_E10value_typeET4_jRbjT5_S1A_jjP12ihipStream_tbEUljE_EEESV_SW_SX_S14_S18_S1A_T6_T7_T9_mT8_S1C_bDpT10_ENKUlT_T0_E_clISt17integral_constantIbLb0EES1P_EEDaS1K_S1L_EUlS1K_E_NS1_11comp_targetILNS1_3genE0ELNS1_11target_archE4294967295ELNS1_3gpuE0ELNS1_3repE0EEENS1_30default_config_static_selectorELNS0_4arch9wavefront6targetE0EEEvSY_,comdat
	.globl	_ZN7rocprim17ROCPRIM_400000_NS6detail17trampoline_kernelINS0_13select_configILj256ELj13ELNS0_17block_load_methodE3ELS4_3ELS4_3ELNS0_20block_scan_algorithmE0ELj4294967295EEENS1_25partition_config_selectorILNS1_17partition_subalgoE3EjNS0_10empty_typeEbEEZZNS1_14partition_implILS8_3ELb0ES6_jNS0_17counting_iteratorIjlEEPS9_SE_NS0_5tupleIJPjSE_EEENSF_IJSE_SE_EEES9_SG_JZNS1_25segmented_radix_sort_implINS0_14default_configELb0EPKbPbPKlPlN2at6native12_GLOBAL__N_18offset_tEEE10hipError_tPvRmT1_PNSt15iterator_traitsISY_E10value_typeET2_T3_PNSZ_IS14_E10value_typeET4_jRbjT5_S1A_jjP12ihipStream_tbEUljE_EEESV_SW_SX_S14_S18_S1A_T6_T7_T9_mT8_S1C_bDpT10_ENKUlT_T0_E_clISt17integral_constantIbLb0EES1P_EEDaS1K_S1L_EUlS1K_E_NS1_11comp_targetILNS1_3genE0ELNS1_11target_archE4294967295ELNS1_3gpuE0ELNS1_3repE0EEENS1_30default_config_static_selectorELNS0_4arch9wavefront6targetE0EEEvSY_ ; -- Begin function _ZN7rocprim17ROCPRIM_400000_NS6detail17trampoline_kernelINS0_13select_configILj256ELj13ELNS0_17block_load_methodE3ELS4_3ELS4_3ELNS0_20block_scan_algorithmE0ELj4294967295EEENS1_25partition_config_selectorILNS1_17partition_subalgoE3EjNS0_10empty_typeEbEEZZNS1_14partition_implILS8_3ELb0ES6_jNS0_17counting_iteratorIjlEEPS9_SE_NS0_5tupleIJPjSE_EEENSF_IJSE_SE_EEES9_SG_JZNS1_25segmented_radix_sort_implINS0_14default_configELb0EPKbPbPKlPlN2at6native12_GLOBAL__N_18offset_tEEE10hipError_tPvRmT1_PNSt15iterator_traitsISY_E10value_typeET2_T3_PNSZ_IS14_E10value_typeET4_jRbjT5_S1A_jjP12ihipStream_tbEUljE_EEESV_SW_SX_S14_S18_S1A_T6_T7_T9_mT8_S1C_bDpT10_ENKUlT_T0_E_clISt17integral_constantIbLb0EES1P_EEDaS1K_S1L_EUlS1K_E_NS1_11comp_targetILNS1_3genE0ELNS1_11target_archE4294967295ELNS1_3gpuE0ELNS1_3repE0EEENS1_30default_config_static_selectorELNS0_4arch9wavefront6targetE0EEEvSY_
	.p2align	8
	.type	_ZN7rocprim17ROCPRIM_400000_NS6detail17trampoline_kernelINS0_13select_configILj256ELj13ELNS0_17block_load_methodE3ELS4_3ELS4_3ELNS0_20block_scan_algorithmE0ELj4294967295EEENS1_25partition_config_selectorILNS1_17partition_subalgoE3EjNS0_10empty_typeEbEEZZNS1_14partition_implILS8_3ELb0ES6_jNS0_17counting_iteratorIjlEEPS9_SE_NS0_5tupleIJPjSE_EEENSF_IJSE_SE_EEES9_SG_JZNS1_25segmented_radix_sort_implINS0_14default_configELb0EPKbPbPKlPlN2at6native12_GLOBAL__N_18offset_tEEE10hipError_tPvRmT1_PNSt15iterator_traitsISY_E10value_typeET2_T3_PNSZ_IS14_E10value_typeET4_jRbjT5_S1A_jjP12ihipStream_tbEUljE_EEESV_SW_SX_S14_S18_S1A_T6_T7_T9_mT8_S1C_bDpT10_ENKUlT_T0_E_clISt17integral_constantIbLb0EES1P_EEDaS1K_S1L_EUlS1K_E_NS1_11comp_targetILNS1_3genE0ELNS1_11target_archE4294967295ELNS1_3gpuE0ELNS1_3repE0EEENS1_30default_config_static_selectorELNS0_4arch9wavefront6targetE0EEEvSY_,@function
_ZN7rocprim17ROCPRIM_400000_NS6detail17trampoline_kernelINS0_13select_configILj256ELj13ELNS0_17block_load_methodE3ELS4_3ELS4_3ELNS0_20block_scan_algorithmE0ELj4294967295EEENS1_25partition_config_selectorILNS1_17partition_subalgoE3EjNS0_10empty_typeEbEEZZNS1_14partition_implILS8_3ELb0ES6_jNS0_17counting_iteratorIjlEEPS9_SE_NS0_5tupleIJPjSE_EEENSF_IJSE_SE_EEES9_SG_JZNS1_25segmented_radix_sort_implINS0_14default_configELb0EPKbPbPKlPlN2at6native12_GLOBAL__N_18offset_tEEE10hipError_tPvRmT1_PNSt15iterator_traitsISY_E10value_typeET2_T3_PNSZ_IS14_E10value_typeET4_jRbjT5_S1A_jjP12ihipStream_tbEUljE_EEESV_SW_SX_S14_S18_S1A_T6_T7_T9_mT8_S1C_bDpT10_ENKUlT_T0_E_clISt17integral_constantIbLb0EES1P_EEDaS1K_S1L_EUlS1K_E_NS1_11comp_targetILNS1_3genE0ELNS1_11target_archE4294967295ELNS1_3gpuE0ELNS1_3repE0EEENS1_30default_config_static_selectorELNS0_4arch9wavefront6targetE0EEEvSY_: ; @_ZN7rocprim17ROCPRIM_400000_NS6detail17trampoline_kernelINS0_13select_configILj256ELj13ELNS0_17block_load_methodE3ELS4_3ELS4_3ELNS0_20block_scan_algorithmE0ELj4294967295EEENS1_25partition_config_selectorILNS1_17partition_subalgoE3EjNS0_10empty_typeEbEEZZNS1_14partition_implILS8_3ELb0ES6_jNS0_17counting_iteratorIjlEEPS9_SE_NS0_5tupleIJPjSE_EEENSF_IJSE_SE_EEES9_SG_JZNS1_25segmented_radix_sort_implINS0_14default_configELb0EPKbPbPKlPlN2at6native12_GLOBAL__N_18offset_tEEE10hipError_tPvRmT1_PNSt15iterator_traitsISY_E10value_typeET2_T3_PNSZ_IS14_E10value_typeET4_jRbjT5_S1A_jjP12ihipStream_tbEUljE_EEESV_SW_SX_S14_S18_S1A_T6_T7_T9_mT8_S1C_bDpT10_ENKUlT_T0_E_clISt17integral_constantIbLb0EES1P_EEDaS1K_S1L_EUlS1K_E_NS1_11comp_targetILNS1_3genE0ELNS1_11target_archE4294967295ELNS1_3gpuE0ELNS1_3repE0EEENS1_30default_config_static_selectorELNS0_4arch9wavefront6targetE0EEEvSY_
; %bb.0:
	.section	.rodata,"a",@progbits
	.p2align	6, 0x0
	.amdhsa_kernel _ZN7rocprim17ROCPRIM_400000_NS6detail17trampoline_kernelINS0_13select_configILj256ELj13ELNS0_17block_load_methodE3ELS4_3ELS4_3ELNS0_20block_scan_algorithmE0ELj4294967295EEENS1_25partition_config_selectorILNS1_17partition_subalgoE3EjNS0_10empty_typeEbEEZZNS1_14partition_implILS8_3ELb0ES6_jNS0_17counting_iteratorIjlEEPS9_SE_NS0_5tupleIJPjSE_EEENSF_IJSE_SE_EEES9_SG_JZNS1_25segmented_radix_sort_implINS0_14default_configELb0EPKbPbPKlPlN2at6native12_GLOBAL__N_18offset_tEEE10hipError_tPvRmT1_PNSt15iterator_traitsISY_E10value_typeET2_T3_PNSZ_IS14_E10value_typeET4_jRbjT5_S1A_jjP12ihipStream_tbEUljE_EEESV_SW_SX_S14_S18_S1A_T6_T7_T9_mT8_S1C_bDpT10_ENKUlT_T0_E_clISt17integral_constantIbLb0EES1P_EEDaS1K_S1L_EUlS1K_E_NS1_11comp_targetILNS1_3genE0ELNS1_11target_archE4294967295ELNS1_3gpuE0ELNS1_3repE0EEENS1_30default_config_static_selectorELNS0_4arch9wavefront6targetE0EEEvSY_
		.amdhsa_group_segment_fixed_size 0
		.amdhsa_private_segment_fixed_size 0
		.amdhsa_kernarg_size 144
		.amdhsa_user_sgpr_count 6
		.amdhsa_user_sgpr_private_segment_buffer 1
		.amdhsa_user_sgpr_dispatch_ptr 0
		.amdhsa_user_sgpr_queue_ptr 0
		.amdhsa_user_sgpr_kernarg_segment_ptr 1
		.amdhsa_user_sgpr_dispatch_id 0
		.amdhsa_user_sgpr_flat_scratch_init 0
		.amdhsa_user_sgpr_private_segment_size 0
		.amdhsa_wavefront_size32 1
		.amdhsa_uses_dynamic_stack 0
		.amdhsa_system_sgpr_private_segment_wavefront_offset 0
		.amdhsa_system_sgpr_workgroup_id_x 1
		.amdhsa_system_sgpr_workgroup_id_y 0
		.amdhsa_system_sgpr_workgroup_id_z 0
		.amdhsa_system_sgpr_workgroup_info 0
		.amdhsa_system_vgpr_workitem_id 0
		.amdhsa_next_free_vgpr 1
		.amdhsa_next_free_sgpr 1
		.amdhsa_reserve_vcc 0
		.amdhsa_reserve_flat_scratch 0
		.amdhsa_float_round_mode_32 0
		.amdhsa_float_round_mode_16_64 0
		.amdhsa_float_denorm_mode_32 3
		.amdhsa_float_denorm_mode_16_64 3
		.amdhsa_dx10_clamp 1
		.amdhsa_ieee_mode 1
		.amdhsa_fp16_overflow 0
		.amdhsa_workgroup_processor_mode 1
		.amdhsa_memory_ordered 1
		.amdhsa_forward_progress 1
		.amdhsa_shared_vgpr_count 0
		.amdhsa_exception_fp_ieee_invalid_op 0
		.amdhsa_exception_fp_denorm_src 0
		.amdhsa_exception_fp_ieee_div_zero 0
		.amdhsa_exception_fp_ieee_overflow 0
		.amdhsa_exception_fp_ieee_underflow 0
		.amdhsa_exception_fp_ieee_inexact 0
		.amdhsa_exception_int_div_zero 0
	.end_amdhsa_kernel
	.section	.text._ZN7rocprim17ROCPRIM_400000_NS6detail17trampoline_kernelINS0_13select_configILj256ELj13ELNS0_17block_load_methodE3ELS4_3ELS4_3ELNS0_20block_scan_algorithmE0ELj4294967295EEENS1_25partition_config_selectorILNS1_17partition_subalgoE3EjNS0_10empty_typeEbEEZZNS1_14partition_implILS8_3ELb0ES6_jNS0_17counting_iteratorIjlEEPS9_SE_NS0_5tupleIJPjSE_EEENSF_IJSE_SE_EEES9_SG_JZNS1_25segmented_radix_sort_implINS0_14default_configELb0EPKbPbPKlPlN2at6native12_GLOBAL__N_18offset_tEEE10hipError_tPvRmT1_PNSt15iterator_traitsISY_E10value_typeET2_T3_PNSZ_IS14_E10value_typeET4_jRbjT5_S1A_jjP12ihipStream_tbEUljE_EEESV_SW_SX_S14_S18_S1A_T6_T7_T9_mT8_S1C_bDpT10_ENKUlT_T0_E_clISt17integral_constantIbLb0EES1P_EEDaS1K_S1L_EUlS1K_E_NS1_11comp_targetILNS1_3genE0ELNS1_11target_archE4294967295ELNS1_3gpuE0ELNS1_3repE0EEENS1_30default_config_static_selectorELNS0_4arch9wavefront6targetE0EEEvSY_,"axG",@progbits,_ZN7rocprim17ROCPRIM_400000_NS6detail17trampoline_kernelINS0_13select_configILj256ELj13ELNS0_17block_load_methodE3ELS4_3ELS4_3ELNS0_20block_scan_algorithmE0ELj4294967295EEENS1_25partition_config_selectorILNS1_17partition_subalgoE3EjNS0_10empty_typeEbEEZZNS1_14partition_implILS8_3ELb0ES6_jNS0_17counting_iteratorIjlEEPS9_SE_NS0_5tupleIJPjSE_EEENSF_IJSE_SE_EEES9_SG_JZNS1_25segmented_radix_sort_implINS0_14default_configELb0EPKbPbPKlPlN2at6native12_GLOBAL__N_18offset_tEEE10hipError_tPvRmT1_PNSt15iterator_traitsISY_E10value_typeET2_T3_PNSZ_IS14_E10value_typeET4_jRbjT5_S1A_jjP12ihipStream_tbEUljE_EEESV_SW_SX_S14_S18_S1A_T6_T7_T9_mT8_S1C_bDpT10_ENKUlT_T0_E_clISt17integral_constantIbLb0EES1P_EEDaS1K_S1L_EUlS1K_E_NS1_11comp_targetILNS1_3genE0ELNS1_11target_archE4294967295ELNS1_3gpuE0ELNS1_3repE0EEENS1_30default_config_static_selectorELNS0_4arch9wavefront6targetE0EEEvSY_,comdat
.Lfunc_end1594:
	.size	_ZN7rocprim17ROCPRIM_400000_NS6detail17trampoline_kernelINS0_13select_configILj256ELj13ELNS0_17block_load_methodE3ELS4_3ELS4_3ELNS0_20block_scan_algorithmE0ELj4294967295EEENS1_25partition_config_selectorILNS1_17partition_subalgoE3EjNS0_10empty_typeEbEEZZNS1_14partition_implILS8_3ELb0ES6_jNS0_17counting_iteratorIjlEEPS9_SE_NS0_5tupleIJPjSE_EEENSF_IJSE_SE_EEES9_SG_JZNS1_25segmented_radix_sort_implINS0_14default_configELb0EPKbPbPKlPlN2at6native12_GLOBAL__N_18offset_tEEE10hipError_tPvRmT1_PNSt15iterator_traitsISY_E10value_typeET2_T3_PNSZ_IS14_E10value_typeET4_jRbjT5_S1A_jjP12ihipStream_tbEUljE_EEESV_SW_SX_S14_S18_S1A_T6_T7_T9_mT8_S1C_bDpT10_ENKUlT_T0_E_clISt17integral_constantIbLb0EES1P_EEDaS1K_S1L_EUlS1K_E_NS1_11comp_targetILNS1_3genE0ELNS1_11target_archE4294967295ELNS1_3gpuE0ELNS1_3repE0EEENS1_30default_config_static_selectorELNS0_4arch9wavefront6targetE0EEEvSY_, .Lfunc_end1594-_ZN7rocprim17ROCPRIM_400000_NS6detail17trampoline_kernelINS0_13select_configILj256ELj13ELNS0_17block_load_methodE3ELS4_3ELS4_3ELNS0_20block_scan_algorithmE0ELj4294967295EEENS1_25partition_config_selectorILNS1_17partition_subalgoE3EjNS0_10empty_typeEbEEZZNS1_14partition_implILS8_3ELb0ES6_jNS0_17counting_iteratorIjlEEPS9_SE_NS0_5tupleIJPjSE_EEENSF_IJSE_SE_EEES9_SG_JZNS1_25segmented_radix_sort_implINS0_14default_configELb0EPKbPbPKlPlN2at6native12_GLOBAL__N_18offset_tEEE10hipError_tPvRmT1_PNSt15iterator_traitsISY_E10value_typeET2_T3_PNSZ_IS14_E10value_typeET4_jRbjT5_S1A_jjP12ihipStream_tbEUljE_EEESV_SW_SX_S14_S18_S1A_T6_T7_T9_mT8_S1C_bDpT10_ENKUlT_T0_E_clISt17integral_constantIbLb0EES1P_EEDaS1K_S1L_EUlS1K_E_NS1_11comp_targetILNS1_3genE0ELNS1_11target_archE4294967295ELNS1_3gpuE0ELNS1_3repE0EEENS1_30default_config_static_selectorELNS0_4arch9wavefront6targetE0EEEvSY_
                                        ; -- End function
	.set _ZN7rocprim17ROCPRIM_400000_NS6detail17trampoline_kernelINS0_13select_configILj256ELj13ELNS0_17block_load_methodE3ELS4_3ELS4_3ELNS0_20block_scan_algorithmE0ELj4294967295EEENS1_25partition_config_selectorILNS1_17partition_subalgoE3EjNS0_10empty_typeEbEEZZNS1_14partition_implILS8_3ELb0ES6_jNS0_17counting_iteratorIjlEEPS9_SE_NS0_5tupleIJPjSE_EEENSF_IJSE_SE_EEES9_SG_JZNS1_25segmented_radix_sort_implINS0_14default_configELb0EPKbPbPKlPlN2at6native12_GLOBAL__N_18offset_tEEE10hipError_tPvRmT1_PNSt15iterator_traitsISY_E10value_typeET2_T3_PNSZ_IS14_E10value_typeET4_jRbjT5_S1A_jjP12ihipStream_tbEUljE_EEESV_SW_SX_S14_S18_S1A_T6_T7_T9_mT8_S1C_bDpT10_ENKUlT_T0_E_clISt17integral_constantIbLb0EES1P_EEDaS1K_S1L_EUlS1K_E_NS1_11comp_targetILNS1_3genE0ELNS1_11target_archE4294967295ELNS1_3gpuE0ELNS1_3repE0EEENS1_30default_config_static_selectorELNS0_4arch9wavefront6targetE0EEEvSY_.num_vgpr, 0
	.set _ZN7rocprim17ROCPRIM_400000_NS6detail17trampoline_kernelINS0_13select_configILj256ELj13ELNS0_17block_load_methodE3ELS4_3ELS4_3ELNS0_20block_scan_algorithmE0ELj4294967295EEENS1_25partition_config_selectorILNS1_17partition_subalgoE3EjNS0_10empty_typeEbEEZZNS1_14partition_implILS8_3ELb0ES6_jNS0_17counting_iteratorIjlEEPS9_SE_NS0_5tupleIJPjSE_EEENSF_IJSE_SE_EEES9_SG_JZNS1_25segmented_radix_sort_implINS0_14default_configELb0EPKbPbPKlPlN2at6native12_GLOBAL__N_18offset_tEEE10hipError_tPvRmT1_PNSt15iterator_traitsISY_E10value_typeET2_T3_PNSZ_IS14_E10value_typeET4_jRbjT5_S1A_jjP12ihipStream_tbEUljE_EEESV_SW_SX_S14_S18_S1A_T6_T7_T9_mT8_S1C_bDpT10_ENKUlT_T0_E_clISt17integral_constantIbLb0EES1P_EEDaS1K_S1L_EUlS1K_E_NS1_11comp_targetILNS1_3genE0ELNS1_11target_archE4294967295ELNS1_3gpuE0ELNS1_3repE0EEENS1_30default_config_static_selectorELNS0_4arch9wavefront6targetE0EEEvSY_.num_agpr, 0
	.set _ZN7rocprim17ROCPRIM_400000_NS6detail17trampoline_kernelINS0_13select_configILj256ELj13ELNS0_17block_load_methodE3ELS4_3ELS4_3ELNS0_20block_scan_algorithmE0ELj4294967295EEENS1_25partition_config_selectorILNS1_17partition_subalgoE3EjNS0_10empty_typeEbEEZZNS1_14partition_implILS8_3ELb0ES6_jNS0_17counting_iteratorIjlEEPS9_SE_NS0_5tupleIJPjSE_EEENSF_IJSE_SE_EEES9_SG_JZNS1_25segmented_radix_sort_implINS0_14default_configELb0EPKbPbPKlPlN2at6native12_GLOBAL__N_18offset_tEEE10hipError_tPvRmT1_PNSt15iterator_traitsISY_E10value_typeET2_T3_PNSZ_IS14_E10value_typeET4_jRbjT5_S1A_jjP12ihipStream_tbEUljE_EEESV_SW_SX_S14_S18_S1A_T6_T7_T9_mT8_S1C_bDpT10_ENKUlT_T0_E_clISt17integral_constantIbLb0EES1P_EEDaS1K_S1L_EUlS1K_E_NS1_11comp_targetILNS1_3genE0ELNS1_11target_archE4294967295ELNS1_3gpuE0ELNS1_3repE0EEENS1_30default_config_static_selectorELNS0_4arch9wavefront6targetE0EEEvSY_.numbered_sgpr, 0
	.set _ZN7rocprim17ROCPRIM_400000_NS6detail17trampoline_kernelINS0_13select_configILj256ELj13ELNS0_17block_load_methodE3ELS4_3ELS4_3ELNS0_20block_scan_algorithmE0ELj4294967295EEENS1_25partition_config_selectorILNS1_17partition_subalgoE3EjNS0_10empty_typeEbEEZZNS1_14partition_implILS8_3ELb0ES6_jNS0_17counting_iteratorIjlEEPS9_SE_NS0_5tupleIJPjSE_EEENSF_IJSE_SE_EEES9_SG_JZNS1_25segmented_radix_sort_implINS0_14default_configELb0EPKbPbPKlPlN2at6native12_GLOBAL__N_18offset_tEEE10hipError_tPvRmT1_PNSt15iterator_traitsISY_E10value_typeET2_T3_PNSZ_IS14_E10value_typeET4_jRbjT5_S1A_jjP12ihipStream_tbEUljE_EEESV_SW_SX_S14_S18_S1A_T6_T7_T9_mT8_S1C_bDpT10_ENKUlT_T0_E_clISt17integral_constantIbLb0EES1P_EEDaS1K_S1L_EUlS1K_E_NS1_11comp_targetILNS1_3genE0ELNS1_11target_archE4294967295ELNS1_3gpuE0ELNS1_3repE0EEENS1_30default_config_static_selectorELNS0_4arch9wavefront6targetE0EEEvSY_.num_named_barrier, 0
	.set _ZN7rocprim17ROCPRIM_400000_NS6detail17trampoline_kernelINS0_13select_configILj256ELj13ELNS0_17block_load_methodE3ELS4_3ELS4_3ELNS0_20block_scan_algorithmE0ELj4294967295EEENS1_25partition_config_selectorILNS1_17partition_subalgoE3EjNS0_10empty_typeEbEEZZNS1_14partition_implILS8_3ELb0ES6_jNS0_17counting_iteratorIjlEEPS9_SE_NS0_5tupleIJPjSE_EEENSF_IJSE_SE_EEES9_SG_JZNS1_25segmented_radix_sort_implINS0_14default_configELb0EPKbPbPKlPlN2at6native12_GLOBAL__N_18offset_tEEE10hipError_tPvRmT1_PNSt15iterator_traitsISY_E10value_typeET2_T3_PNSZ_IS14_E10value_typeET4_jRbjT5_S1A_jjP12ihipStream_tbEUljE_EEESV_SW_SX_S14_S18_S1A_T6_T7_T9_mT8_S1C_bDpT10_ENKUlT_T0_E_clISt17integral_constantIbLb0EES1P_EEDaS1K_S1L_EUlS1K_E_NS1_11comp_targetILNS1_3genE0ELNS1_11target_archE4294967295ELNS1_3gpuE0ELNS1_3repE0EEENS1_30default_config_static_selectorELNS0_4arch9wavefront6targetE0EEEvSY_.private_seg_size, 0
	.set _ZN7rocprim17ROCPRIM_400000_NS6detail17trampoline_kernelINS0_13select_configILj256ELj13ELNS0_17block_load_methodE3ELS4_3ELS4_3ELNS0_20block_scan_algorithmE0ELj4294967295EEENS1_25partition_config_selectorILNS1_17partition_subalgoE3EjNS0_10empty_typeEbEEZZNS1_14partition_implILS8_3ELb0ES6_jNS0_17counting_iteratorIjlEEPS9_SE_NS0_5tupleIJPjSE_EEENSF_IJSE_SE_EEES9_SG_JZNS1_25segmented_radix_sort_implINS0_14default_configELb0EPKbPbPKlPlN2at6native12_GLOBAL__N_18offset_tEEE10hipError_tPvRmT1_PNSt15iterator_traitsISY_E10value_typeET2_T3_PNSZ_IS14_E10value_typeET4_jRbjT5_S1A_jjP12ihipStream_tbEUljE_EEESV_SW_SX_S14_S18_S1A_T6_T7_T9_mT8_S1C_bDpT10_ENKUlT_T0_E_clISt17integral_constantIbLb0EES1P_EEDaS1K_S1L_EUlS1K_E_NS1_11comp_targetILNS1_3genE0ELNS1_11target_archE4294967295ELNS1_3gpuE0ELNS1_3repE0EEENS1_30default_config_static_selectorELNS0_4arch9wavefront6targetE0EEEvSY_.uses_vcc, 0
	.set _ZN7rocprim17ROCPRIM_400000_NS6detail17trampoline_kernelINS0_13select_configILj256ELj13ELNS0_17block_load_methodE3ELS4_3ELS4_3ELNS0_20block_scan_algorithmE0ELj4294967295EEENS1_25partition_config_selectorILNS1_17partition_subalgoE3EjNS0_10empty_typeEbEEZZNS1_14partition_implILS8_3ELb0ES6_jNS0_17counting_iteratorIjlEEPS9_SE_NS0_5tupleIJPjSE_EEENSF_IJSE_SE_EEES9_SG_JZNS1_25segmented_radix_sort_implINS0_14default_configELb0EPKbPbPKlPlN2at6native12_GLOBAL__N_18offset_tEEE10hipError_tPvRmT1_PNSt15iterator_traitsISY_E10value_typeET2_T3_PNSZ_IS14_E10value_typeET4_jRbjT5_S1A_jjP12ihipStream_tbEUljE_EEESV_SW_SX_S14_S18_S1A_T6_T7_T9_mT8_S1C_bDpT10_ENKUlT_T0_E_clISt17integral_constantIbLb0EES1P_EEDaS1K_S1L_EUlS1K_E_NS1_11comp_targetILNS1_3genE0ELNS1_11target_archE4294967295ELNS1_3gpuE0ELNS1_3repE0EEENS1_30default_config_static_selectorELNS0_4arch9wavefront6targetE0EEEvSY_.uses_flat_scratch, 0
	.set _ZN7rocprim17ROCPRIM_400000_NS6detail17trampoline_kernelINS0_13select_configILj256ELj13ELNS0_17block_load_methodE3ELS4_3ELS4_3ELNS0_20block_scan_algorithmE0ELj4294967295EEENS1_25partition_config_selectorILNS1_17partition_subalgoE3EjNS0_10empty_typeEbEEZZNS1_14partition_implILS8_3ELb0ES6_jNS0_17counting_iteratorIjlEEPS9_SE_NS0_5tupleIJPjSE_EEENSF_IJSE_SE_EEES9_SG_JZNS1_25segmented_radix_sort_implINS0_14default_configELb0EPKbPbPKlPlN2at6native12_GLOBAL__N_18offset_tEEE10hipError_tPvRmT1_PNSt15iterator_traitsISY_E10value_typeET2_T3_PNSZ_IS14_E10value_typeET4_jRbjT5_S1A_jjP12ihipStream_tbEUljE_EEESV_SW_SX_S14_S18_S1A_T6_T7_T9_mT8_S1C_bDpT10_ENKUlT_T0_E_clISt17integral_constantIbLb0EES1P_EEDaS1K_S1L_EUlS1K_E_NS1_11comp_targetILNS1_3genE0ELNS1_11target_archE4294967295ELNS1_3gpuE0ELNS1_3repE0EEENS1_30default_config_static_selectorELNS0_4arch9wavefront6targetE0EEEvSY_.has_dyn_sized_stack, 0
	.set _ZN7rocprim17ROCPRIM_400000_NS6detail17trampoline_kernelINS0_13select_configILj256ELj13ELNS0_17block_load_methodE3ELS4_3ELS4_3ELNS0_20block_scan_algorithmE0ELj4294967295EEENS1_25partition_config_selectorILNS1_17partition_subalgoE3EjNS0_10empty_typeEbEEZZNS1_14partition_implILS8_3ELb0ES6_jNS0_17counting_iteratorIjlEEPS9_SE_NS0_5tupleIJPjSE_EEENSF_IJSE_SE_EEES9_SG_JZNS1_25segmented_radix_sort_implINS0_14default_configELb0EPKbPbPKlPlN2at6native12_GLOBAL__N_18offset_tEEE10hipError_tPvRmT1_PNSt15iterator_traitsISY_E10value_typeET2_T3_PNSZ_IS14_E10value_typeET4_jRbjT5_S1A_jjP12ihipStream_tbEUljE_EEESV_SW_SX_S14_S18_S1A_T6_T7_T9_mT8_S1C_bDpT10_ENKUlT_T0_E_clISt17integral_constantIbLb0EES1P_EEDaS1K_S1L_EUlS1K_E_NS1_11comp_targetILNS1_3genE0ELNS1_11target_archE4294967295ELNS1_3gpuE0ELNS1_3repE0EEENS1_30default_config_static_selectorELNS0_4arch9wavefront6targetE0EEEvSY_.has_recursion, 0
	.set _ZN7rocprim17ROCPRIM_400000_NS6detail17trampoline_kernelINS0_13select_configILj256ELj13ELNS0_17block_load_methodE3ELS4_3ELS4_3ELNS0_20block_scan_algorithmE0ELj4294967295EEENS1_25partition_config_selectorILNS1_17partition_subalgoE3EjNS0_10empty_typeEbEEZZNS1_14partition_implILS8_3ELb0ES6_jNS0_17counting_iteratorIjlEEPS9_SE_NS0_5tupleIJPjSE_EEENSF_IJSE_SE_EEES9_SG_JZNS1_25segmented_radix_sort_implINS0_14default_configELb0EPKbPbPKlPlN2at6native12_GLOBAL__N_18offset_tEEE10hipError_tPvRmT1_PNSt15iterator_traitsISY_E10value_typeET2_T3_PNSZ_IS14_E10value_typeET4_jRbjT5_S1A_jjP12ihipStream_tbEUljE_EEESV_SW_SX_S14_S18_S1A_T6_T7_T9_mT8_S1C_bDpT10_ENKUlT_T0_E_clISt17integral_constantIbLb0EES1P_EEDaS1K_S1L_EUlS1K_E_NS1_11comp_targetILNS1_3genE0ELNS1_11target_archE4294967295ELNS1_3gpuE0ELNS1_3repE0EEENS1_30default_config_static_selectorELNS0_4arch9wavefront6targetE0EEEvSY_.has_indirect_call, 0
	.section	.AMDGPU.csdata,"",@progbits
; Kernel info:
; codeLenInByte = 0
; TotalNumSgprs: 0
; NumVgprs: 0
; ScratchSize: 0
; MemoryBound: 0
; FloatMode: 240
; IeeeMode: 1
; LDSByteSize: 0 bytes/workgroup (compile time only)
; SGPRBlocks: 0
; VGPRBlocks: 0
; NumSGPRsForWavesPerEU: 1
; NumVGPRsForWavesPerEU: 1
; Occupancy: 16
; WaveLimiterHint : 0
; COMPUTE_PGM_RSRC2:SCRATCH_EN: 0
; COMPUTE_PGM_RSRC2:USER_SGPR: 6
; COMPUTE_PGM_RSRC2:TRAP_HANDLER: 0
; COMPUTE_PGM_RSRC2:TGID_X_EN: 1
; COMPUTE_PGM_RSRC2:TGID_Y_EN: 0
; COMPUTE_PGM_RSRC2:TGID_Z_EN: 0
; COMPUTE_PGM_RSRC2:TIDIG_COMP_CNT: 0
	.section	.text._ZN7rocprim17ROCPRIM_400000_NS6detail17trampoline_kernelINS0_13select_configILj256ELj13ELNS0_17block_load_methodE3ELS4_3ELS4_3ELNS0_20block_scan_algorithmE0ELj4294967295EEENS1_25partition_config_selectorILNS1_17partition_subalgoE3EjNS0_10empty_typeEbEEZZNS1_14partition_implILS8_3ELb0ES6_jNS0_17counting_iteratorIjlEEPS9_SE_NS0_5tupleIJPjSE_EEENSF_IJSE_SE_EEES9_SG_JZNS1_25segmented_radix_sort_implINS0_14default_configELb0EPKbPbPKlPlN2at6native12_GLOBAL__N_18offset_tEEE10hipError_tPvRmT1_PNSt15iterator_traitsISY_E10value_typeET2_T3_PNSZ_IS14_E10value_typeET4_jRbjT5_S1A_jjP12ihipStream_tbEUljE_EEESV_SW_SX_S14_S18_S1A_T6_T7_T9_mT8_S1C_bDpT10_ENKUlT_T0_E_clISt17integral_constantIbLb0EES1P_EEDaS1K_S1L_EUlS1K_E_NS1_11comp_targetILNS1_3genE5ELNS1_11target_archE942ELNS1_3gpuE9ELNS1_3repE0EEENS1_30default_config_static_selectorELNS0_4arch9wavefront6targetE0EEEvSY_,"axG",@progbits,_ZN7rocprim17ROCPRIM_400000_NS6detail17trampoline_kernelINS0_13select_configILj256ELj13ELNS0_17block_load_methodE3ELS4_3ELS4_3ELNS0_20block_scan_algorithmE0ELj4294967295EEENS1_25partition_config_selectorILNS1_17partition_subalgoE3EjNS0_10empty_typeEbEEZZNS1_14partition_implILS8_3ELb0ES6_jNS0_17counting_iteratorIjlEEPS9_SE_NS0_5tupleIJPjSE_EEENSF_IJSE_SE_EEES9_SG_JZNS1_25segmented_radix_sort_implINS0_14default_configELb0EPKbPbPKlPlN2at6native12_GLOBAL__N_18offset_tEEE10hipError_tPvRmT1_PNSt15iterator_traitsISY_E10value_typeET2_T3_PNSZ_IS14_E10value_typeET4_jRbjT5_S1A_jjP12ihipStream_tbEUljE_EEESV_SW_SX_S14_S18_S1A_T6_T7_T9_mT8_S1C_bDpT10_ENKUlT_T0_E_clISt17integral_constantIbLb0EES1P_EEDaS1K_S1L_EUlS1K_E_NS1_11comp_targetILNS1_3genE5ELNS1_11target_archE942ELNS1_3gpuE9ELNS1_3repE0EEENS1_30default_config_static_selectorELNS0_4arch9wavefront6targetE0EEEvSY_,comdat
	.globl	_ZN7rocprim17ROCPRIM_400000_NS6detail17trampoline_kernelINS0_13select_configILj256ELj13ELNS0_17block_load_methodE3ELS4_3ELS4_3ELNS0_20block_scan_algorithmE0ELj4294967295EEENS1_25partition_config_selectorILNS1_17partition_subalgoE3EjNS0_10empty_typeEbEEZZNS1_14partition_implILS8_3ELb0ES6_jNS0_17counting_iteratorIjlEEPS9_SE_NS0_5tupleIJPjSE_EEENSF_IJSE_SE_EEES9_SG_JZNS1_25segmented_radix_sort_implINS0_14default_configELb0EPKbPbPKlPlN2at6native12_GLOBAL__N_18offset_tEEE10hipError_tPvRmT1_PNSt15iterator_traitsISY_E10value_typeET2_T3_PNSZ_IS14_E10value_typeET4_jRbjT5_S1A_jjP12ihipStream_tbEUljE_EEESV_SW_SX_S14_S18_S1A_T6_T7_T9_mT8_S1C_bDpT10_ENKUlT_T0_E_clISt17integral_constantIbLb0EES1P_EEDaS1K_S1L_EUlS1K_E_NS1_11comp_targetILNS1_3genE5ELNS1_11target_archE942ELNS1_3gpuE9ELNS1_3repE0EEENS1_30default_config_static_selectorELNS0_4arch9wavefront6targetE0EEEvSY_ ; -- Begin function _ZN7rocprim17ROCPRIM_400000_NS6detail17trampoline_kernelINS0_13select_configILj256ELj13ELNS0_17block_load_methodE3ELS4_3ELS4_3ELNS0_20block_scan_algorithmE0ELj4294967295EEENS1_25partition_config_selectorILNS1_17partition_subalgoE3EjNS0_10empty_typeEbEEZZNS1_14partition_implILS8_3ELb0ES6_jNS0_17counting_iteratorIjlEEPS9_SE_NS0_5tupleIJPjSE_EEENSF_IJSE_SE_EEES9_SG_JZNS1_25segmented_radix_sort_implINS0_14default_configELb0EPKbPbPKlPlN2at6native12_GLOBAL__N_18offset_tEEE10hipError_tPvRmT1_PNSt15iterator_traitsISY_E10value_typeET2_T3_PNSZ_IS14_E10value_typeET4_jRbjT5_S1A_jjP12ihipStream_tbEUljE_EEESV_SW_SX_S14_S18_S1A_T6_T7_T9_mT8_S1C_bDpT10_ENKUlT_T0_E_clISt17integral_constantIbLb0EES1P_EEDaS1K_S1L_EUlS1K_E_NS1_11comp_targetILNS1_3genE5ELNS1_11target_archE942ELNS1_3gpuE9ELNS1_3repE0EEENS1_30default_config_static_selectorELNS0_4arch9wavefront6targetE0EEEvSY_
	.p2align	8
	.type	_ZN7rocprim17ROCPRIM_400000_NS6detail17trampoline_kernelINS0_13select_configILj256ELj13ELNS0_17block_load_methodE3ELS4_3ELS4_3ELNS0_20block_scan_algorithmE0ELj4294967295EEENS1_25partition_config_selectorILNS1_17partition_subalgoE3EjNS0_10empty_typeEbEEZZNS1_14partition_implILS8_3ELb0ES6_jNS0_17counting_iteratorIjlEEPS9_SE_NS0_5tupleIJPjSE_EEENSF_IJSE_SE_EEES9_SG_JZNS1_25segmented_radix_sort_implINS0_14default_configELb0EPKbPbPKlPlN2at6native12_GLOBAL__N_18offset_tEEE10hipError_tPvRmT1_PNSt15iterator_traitsISY_E10value_typeET2_T3_PNSZ_IS14_E10value_typeET4_jRbjT5_S1A_jjP12ihipStream_tbEUljE_EEESV_SW_SX_S14_S18_S1A_T6_T7_T9_mT8_S1C_bDpT10_ENKUlT_T0_E_clISt17integral_constantIbLb0EES1P_EEDaS1K_S1L_EUlS1K_E_NS1_11comp_targetILNS1_3genE5ELNS1_11target_archE942ELNS1_3gpuE9ELNS1_3repE0EEENS1_30default_config_static_selectorELNS0_4arch9wavefront6targetE0EEEvSY_,@function
_ZN7rocprim17ROCPRIM_400000_NS6detail17trampoline_kernelINS0_13select_configILj256ELj13ELNS0_17block_load_methodE3ELS4_3ELS4_3ELNS0_20block_scan_algorithmE0ELj4294967295EEENS1_25partition_config_selectorILNS1_17partition_subalgoE3EjNS0_10empty_typeEbEEZZNS1_14partition_implILS8_3ELb0ES6_jNS0_17counting_iteratorIjlEEPS9_SE_NS0_5tupleIJPjSE_EEENSF_IJSE_SE_EEES9_SG_JZNS1_25segmented_radix_sort_implINS0_14default_configELb0EPKbPbPKlPlN2at6native12_GLOBAL__N_18offset_tEEE10hipError_tPvRmT1_PNSt15iterator_traitsISY_E10value_typeET2_T3_PNSZ_IS14_E10value_typeET4_jRbjT5_S1A_jjP12ihipStream_tbEUljE_EEESV_SW_SX_S14_S18_S1A_T6_T7_T9_mT8_S1C_bDpT10_ENKUlT_T0_E_clISt17integral_constantIbLb0EES1P_EEDaS1K_S1L_EUlS1K_E_NS1_11comp_targetILNS1_3genE5ELNS1_11target_archE942ELNS1_3gpuE9ELNS1_3repE0EEENS1_30default_config_static_selectorELNS0_4arch9wavefront6targetE0EEEvSY_: ; @_ZN7rocprim17ROCPRIM_400000_NS6detail17trampoline_kernelINS0_13select_configILj256ELj13ELNS0_17block_load_methodE3ELS4_3ELS4_3ELNS0_20block_scan_algorithmE0ELj4294967295EEENS1_25partition_config_selectorILNS1_17partition_subalgoE3EjNS0_10empty_typeEbEEZZNS1_14partition_implILS8_3ELb0ES6_jNS0_17counting_iteratorIjlEEPS9_SE_NS0_5tupleIJPjSE_EEENSF_IJSE_SE_EEES9_SG_JZNS1_25segmented_radix_sort_implINS0_14default_configELb0EPKbPbPKlPlN2at6native12_GLOBAL__N_18offset_tEEE10hipError_tPvRmT1_PNSt15iterator_traitsISY_E10value_typeET2_T3_PNSZ_IS14_E10value_typeET4_jRbjT5_S1A_jjP12ihipStream_tbEUljE_EEESV_SW_SX_S14_S18_S1A_T6_T7_T9_mT8_S1C_bDpT10_ENKUlT_T0_E_clISt17integral_constantIbLb0EES1P_EEDaS1K_S1L_EUlS1K_E_NS1_11comp_targetILNS1_3genE5ELNS1_11target_archE942ELNS1_3gpuE9ELNS1_3repE0EEENS1_30default_config_static_selectorELNS0_4arch9wavefront6targetE0EEEvSY_
; %bb.0:
	.section	.rodata,"a",@progbits
	.p2align	6, 0x0
	.amdhsa_kernel _ZN7rocprim17ROCPRIM_400000_NS6detail17trampoline_kernelINS0_13select_configILj256ELj13ELNS0_17block_load_methodE3ELS4_3ELS4_3ELNS0_20block_scan_algorithmE0ELj4294967295EEENS1_25partition_config_selectorILNS1_17partition_subalgoE3EjNS0_10empty_typeEbEEZZNS1_14partition_implILS8_3ELb0ES6_jNS0_17counting_iteratorIjlEEPS9_SE_NS0_5tupleIJPjSE_EEENSF_IJSE_SE_EEES9_SG_JZNS1_25segmented_radix_sort_implINS0_14default_configELb0EPKbPbPKlPlN2at6native12_GLOBAL__N_18offset_tEEE10hipError_tPvRmT1_PNSt15iterator_traitsISY_E10value_typeET2_T3_PNSZ_IS14_E10value_typeET4_jRbjT5_S1A_jjP12ihipStream_tbEUljE_EEESV_SW_SX_S14_S18_S1A_T6_T7_T9_mT8_S1C_bDpT10_ENKUlT_T0_E_clISt17integral_constantIbLb0EES1P_EEDaS1K_S1L_EUlS1K_E_NS1_11comp_targetILNS1_3genE5ELNS1_11target_archE942ELNS1_3gpuE9ELNS1_3repE0EEENS1_30default_config_static_selectorELNS0_4arch9wavefront6targetE0EEEvSY_
		.amdhsa_group_segment_fixed_size 0
		.amdhsa_private_segment_fixed_size 0
		.amdhsa_kernarg_size 144
		.amdhsa_user_sgpr_count 6
		.amdhsa_user_sgpr_private_segment_buffer 1
		.amdhsa_user_sgpr_dispatch_ptr 0
		.amdhsa_user_sgpr_queue_ptr 0
		.amdhsa_user_sgpr_kernarg_segment_ptr 1
		.amdhsa_user_sgpr_dispatch_id 0
		.amdhsa_user_sgpr_flat_scratch_init 0
		.amdhsa_user_sgpr_private_segment_size 0
		.amdhsa_wavefront_size32 1
		.amdhsa_uses_dynamic_stack 0
		.amdhsa_system_sgpr_private_segment_wavefront_offset 0
		.amdhsa_system_sgpr_workgroup_id_x 1
		.amdhsa_system_sgpr_workgroup_id_y 0
		.amdhsa_system_sgpr_workgroup_id_z 0
		.amdhsa_system_sgpr_workgroup_info 0
		.amdhsa_system_vgpr_workitem_id 0
		.amdhsa_next_free_vgpr 1
		.amdhsa_next_free_sgpr 1
		.amdhsa_reserve_vcc 0
		.amdhsa_reserve_flat_scratch 0
		.amdhsa_float_round_mode_32 0
		.amdhsa_float_round_mode_16_64 0
		.amdhsa_float_denorm_mode_32 3
		.amdhsa_float_denorm_mode_16_64 3
		.amdhsa_dx10_clamp 1
		.amdhsa_ieee_mode 1
		.amdhsa_fp16_overflow 0
		.amdhsa_workgroup_processor_mode 1
		.amdhsa_memory_ordered 1
		.amdhsa_forward_progress 1
		.amdhsa_shared_vgpr_count 0
		.amdhsa_exception_fp_ieee_invalid_op 0
		.amdhsa_exception_fp_denorm_src 0
		.amdhsa_exception_fp_ieee_div_zero 0
		.amdhsa_exception_fp_ieee_overflow 0
		.amdhsa_exception_fp_ieee_underflow 0
		.amdhsa_exception_fp_ieee_inexact 0
		.amdhsa_exception_int_div_zero 0
	.end_amdhsa_kernel
	.section	.text._ZN7rocprim17ROCPRIM_400000_NS6detail17trampoline_kernelINS0_13select_configILj256ELj13ELNS0_17block_load_methodE3ELS4_3ELS4_3ELNS0_20block_scan_algorithmE0ELj4294967295EEENS1_25partition_config_selectorILNS1_17partition_subalgoE3EjNS0_10empty_typeEbEEZZNS1_14partition_implILS8_3ELb0ES6_jNS0_17counting_iteratorIjlEEPS9_SE_NS0_5tupleIJPjSE_EEENSF_IJSE_SE_EEES9_SG_JZNS1_25segmented_radix_sort_implINS0_14default_configELb0EPKbPbPKlPlN2at6native12_GLOBAL__N_18offset_tEEE10hipError_tPvRmT1_PNSt15iterator_traitsISY_E10value_typeET2_T3_PNSZ_IS14_E10value_typeET4_jRbjT5_S1A_jjP12ihipStream_tbEUljE_EEESV_SW_SX_S14_S18_S1A_T6_T7_T9_mT8_S1C_bDpT10_ENKUlT_T0_E_clISt17integral_constantIbLb0EES1P_EEDaS1K_S1L_EUlS1K_E_NS1_11comp_targetILNS1_3genE5ELNS1_11target_archE942ELNS1_3gpuE9ELNS1_3repE0EEENS1_30default_config_static_selectorELNS0_4arch9wavefront6targetE0EEEvSY_,"axG",@progbits,_ZN7rocprim17ROCPRIM_400000_NS6detail17trampoline_kernelINS0_13select_configILj256ELj13ELNS0_17block_load_methodE3ELS4_3ELS4_3ELNS0_20block_scan_algorithmE0ELj4294967295EEENS1_25partition_config_selectorILNS1_17partition_subalgoE3EjNS0_10empty_typeEbEEZZNS1_14partition_implILS8_3ELb0ES6_jNS0_17counting_iteratorIjlEEPS9_SE_NS0_5tupleIJPjSE_EEENSF_IJSE_SE_EEES9_SG_JZNS1_25segmented_radix_sort_implINS0_14default_configELb0EPKbPbPKlPlN2at6native12_GLOBAL__N_18offset_tEEE10hipError_tPvRmT1_PNSt15iterator_traitsISY_E10value_typeET2_T3_PNSZ_IS14_E10value_typeET4_jRbjT5_S1A_jjP12ihipStream_tbEUljE_EEESV_SW_SX_S14_S18_S1A_T6_T7_T9_mT8_S1C_bDpT10_ENKUlT_T0_E_clISt17integral_constantIbLb0EES1P_EEDaS1K_S1L_EUlS1K_E_NS1_11comp_targetILNS1_3genE5ELNS1_11target_archE942ELNS1_3gpuE9ELNS1_3repE0EEENS1_30default_config_static_selectorELNS0_4arch9wavefront6targetE0EEEvSY_,comdat
.Lfunc_end1595:
	.size	_ZN7rocprim17ROCPRIM_400000_NS6detail17trampoline_kernelINS0_13select_configILj256ELj13ELNS0_17block_load_methodE3ELS4_3ELS4_3ELNS0_20block_scan_algorithmE0ELj4294967295EEENS1_25partition_config_selectorILNS1_17partition_subalgoE3EjNS0_10empty_typeEbEEZZNS1_14partition_implILS8_3ELb0ES6_jNS0_17counting_iteratorIjlEEPS9_SE_NS0_5tupleIJPjSE_EEENSF_IJSE_SE_EEES9_SG_JZNS1_25segmented_radix_sort_implINS0_14default_configELb0EPKbPbPKlPlN2at6native12_GLOBAL__N_18offset_tEEE10hipError_tPvRmT1_PNSt15iterator_traitsISY_E10value_typeET2_T3_PNSZ_IS14_E10value_typeET4_jRbjT5_S1A_jjP12ihipStream_tbEUljE_EEESV_SW_SX_S14_S18_S1A_T6_T7_T9_mT8_S1C_bDpT10_ENKUlT_T0_E_clISt17integral_constantIbLb0EES1P_EEDaS1K_S1L_EUlS1K_E_NS1_11comp_targetILNS1_3genE5ELNS1_11target_archE942ELNS1_3gpuE9ELNS1_3repE0EEENS1_30default_config_static_selectorELNS0_4arch9wavefront6targetE0EEEvSY_, .Lfunc_end1595-_ZN7rocprim17ROCPRIM_400000_NS6detail17trampoline_kernelINS0_13select_configILj256ELj13ELNS0_17block_load_methodE3ELS4_3ELS4_3ELNS0_20block_scan_algorithmE0ELj4294967295EEENS1_25partition_config_selectorILNS1_17partition_subalgoE3EjNS0_10empty_typeEbEEZZNS1_14partition_implILS8_3ELb0ES6_jNS0_17counting_iteratorIjlEEPS9_SE_NS0_5tupleIJPjSE_EEENSF_IJSE_SE_EEES9_SG_JZNS1_25segmented_radix_sort_implINS0_14default_configELb0EPKbPbPKlPlN2at6native12_GLOBAL__N_18offset_tEEE10hipError_tPvRmT1_PNSt15iterator_traitsISY_E10value_typeET2_T3_PNSZ_IS14_E10value_typeET4_jRbjT5_S1A_jjP12ihipStream_tbEUljE_EEESV_SW_SX_S14_S18_S1A_T6_T7_T9_mT8_S1C_bDpT10_ENKUlT_T0_E_clISt17integral_constantIbLb0EES1P_EEDaS1K_S1L_EUlS1K_E_NS1_11comp_targetILNS1_3genE5ELNS1_11target_archE942ELNS1_3gpuE9ELNS1_3repE0EEENS1_30default_config_static_selectorELNS0_4arch9wavefront6targetE0EEEvSY_
                                        ; -- End function
	.set _ZN7rocprim17ROCPRIM_400000_NS6detail17trampoline_kernelINS0_13select_configILj256ELj13ELNS0_17block_load_methodE3ELS4_3ELS4_3ELNS0_20block_scan_algorithmE0ELj4294967295EEENS1_25partition_config_selectorILNS1_17partition_subalgoE3EjNS0_10empty_typeEbEEZZNS1_14partition_implILS8_3ELb0ES6_jNS0_17counting_iteratorIjlEEPS9_SE_NS0_5tupleIJPjSE_EEENSF_IJSE_SE_EEES9_SG_JZNS1_25segmented_radix_sort_implINS0_14default_configELb0EPKbPbPKlPlN2at6native12_GLOBAL__N_18offset_tEEE10hipError_tPvRmT1_PNSt15iterator_traitsISY_E10value_typeET2_T3_PNSZ_IS14_E10value_typeET4_jRbjT5_S1A_jjP12ihipStream_tbEUljE_EEESV_SW_SX_S14_S18_S1A_T6_T7_T9_mT8_S1C_bDpT10_ENKUlT_T0_E_clISt17integral_constantIbLb0EES1P_EEDaS1K_S1L_EUlS1K_E_NS1_11comp_targetILNS1_3genE5ELNS1_11target_archE942ELNS1_3gpuE9ELNS1_3repE0EEENS1_30default_config_static_selectorELNS0_4arch9wavefront6targetE0EEEvSY_.num_vgpr, 0
	.set _ZN7rocprim17ROCPRIM_400000_NS6detail17trampoline_kernelINS0_13select_configILj256ELj13ELNS0_17block_load_methodE3ELS4_3ELS4_3ELNS0_20block_scan_algorithmE0ELj4294967295EEENS1_25partition_config_selectorILNS1_17partition_subalgoE3EjNS0_10empty_typeEbEEZZNS1_14partition_implILS8_3ELb0ES6_jNS0_17counting_iteratorIjlEEPS9_SE_NS0_5tupleIJPjSE_EEENSF_IJSE_SE_EEES9_SG_JZNS1_25segmented_radix_sort_implINS0_14default_configELb0EPKbPbPKlPlN2at6native12_GLOBAL__N_18offset_tEEE10hipError_tPvRmT1_PNSt15iterator_traitsISY_E10value_typeET2_T3_PNSZ_IS14_E10value_typeET4_jRbjT5_S1A_jjP12ihipStream_tbEUljE_EEESV_SW_SX_S14_S18_S1A_T6_T7_T9_mT8_S1C_bDpT10_ENKUlT_T0_E_clISt17integral_constantIbLb0EES1P_EEDaS1K_S1L_EUlS1K_E_NS1_11comp_targetILNS1_3genE5ELNS1_11target_archE942ELNS1_3gpuE9ELNS1_3repE0EEENS1_30default_config_static_selectorELNS0_4arch9wavefront6targetE0EEEvSY_.num_agpr, 0
	.set _ZN7rocprim17ROCPRIM_400000_NS6detail17trampoline_kernelINS0_13select_configILj256ELj13ELNS0_17block_load_methodE3ELS4_3ELS4_3ELNS0_20block_scan_algorithmE0ELj4294967295EEENS1_25partition_config_selectorILNS1_17partition_subalgoE3EjNS0_10empty_typeEbEEZZNS1_14partition_implILS8_3ELb0ES6_jNS0_17counting_iteratorIjlEEPS9_SE_NS0_5tupleIJPjSE_EEENSF_IJSE_SE_EEES9_SG_JZNS1_25segmented_radix_sort_implINS0_14default_configELb0EPKbPbPKlPlN2at6native12_GLOBAL__N_18offset_tEEE10hipError_tPvRmT1_PNSt15iterator_traitsISY_E10value_typeET2_T3_PNSZ_IS14_E10value_typeET4_jRbjT5_S1A_jjP12ihipStream_tbEUljE_EEESV_SW_SX_S14_S18_S1A_T6_T7_T9_mT8_S1C_bDpT10_ENKUlT_T0_E_clISt17integral_constantIbLb0EES1P_EEDaS1K_S1L_EUlS1K_E_NS1_11comp_targetILNS1_3genE5ELNS1_11target_archE942ELNS1_3gpuE9ELNS1_3repE0EEENS1_30default_config_static_selectorELNS0_4arch9wavefront6targetE0EEEvSY_.numbered_sgpr, 0
	.set _ZN7rocprim17ROCPRIM_400000_NS6detail17trampoline_kernelINS0_13select_configILj256ELj13ELNS0_17block_load_methodE3ELS4_3ELS4_3ELNS0_20block_scan_algorithmE0ELj4294967295EEENS1_25partition_config_selectorILNS1_17partition_subalgoE3EjNS0_10empty_typeEbEEZZNS1_14partition_implILS8_3ELb0ES6_jNS0_17counting_iteratorIjlEEPS9_SE_NS0_5tupleIJPjSE_EEENSF_IJSE_SE_EEES9_SG_JZNS1_25segmented_radix_sort_implINS0_14default_configELb0EPKbPbPKlPlN2at6native12_GLOBAL__N_18offset_tEEE10hipError_tPvRmT1_PNSt15iterator_traitsISY_E10value_typeET2_T3_PNSZ_IS14_E10value_typeET4_jRbjT5_S1A_jjP12ihipStream_tbEUljE_EEESV_SW_SX_S14_S18_S1A_T6_T7_T9_mT8_S1C_bDpT10_ENKUlT_T0_E_clISt17integral_constantIbLb0EES1P_EEDaS1K_S1L_EUlS1K_E_NS1_11comp_targetILNS1_3genE5ELNS1_11target_archE942ELNS1_3gpuE9ELNS1_3repE0EEENS1_30default_config_static_selectorELNS0_4arch9wavefront6targetE0EEEvSY_.num_named_barrier, 0
	.set _ZN7rocprim17ROCPRIM_400000_NS6detail17trampoline_kernelINS0_13select_configILj256ELj13ELNS0_17block_load_methodE3ELS4_3ELS4_3ELNS0_20block_scan_algorithmE0ELj4294967295EEENS1_25partition_config_selectorILNS1_17partition_subalgoE3EjNS0_10empty_typeEbEEZZNS1_14partition_implILS8_3ELb0ES6_jNS0_17counting_iteratorIjlEEPS9_SE_NS0_5tupleIJPjSE_EEENSF_IJSE_SE_EEES9_SG_JZNS1_25segmented_radix_sort_implINS0_14default_configELb0EPKbPbPKlPlN2at6native12_GLOBAL__N_18offset_tEEE10hipError_tPvRmT1_PNSt15iterator_traitsISY_E10value_typeET2_T3_PNSZ_IS14_E10value_typeET4_jRbjT5_S1A_jjP12ihipStream_tbEUljE_EEESV_SW_SX_S14_S18_S1A_T6_T7_T9_mT8_S1C_bDpT10_ENKUlT_T0_E_clISt17integral_constantIbLb0EES1P_EEDaS1K_S1L_EUlS1K_E_NS1_11comp_targetILNS1_3genE5ELNS1_11target_archE942ELNS1_3gpuE9ELNS1_3repE0EEENS1_30default_config_static_selectorELNS0_4arch9wavefront6targetE0EEEvSY_.private_seg_size, 0
	.set _ZN7rocprim17ROCPRIM_400000_NS6detail17trampoline_kernelINS0_13select_configILj256ELj13ELNS0_17block_load_methodE3ELS4_3ELS4_3ELNS0_20block_scan_algorithmE0ELj4294967295EEENS1_25partition_config_selectorILNS1_17partition_subalgoE3EjNS0_10empty_typeEbEEZZNS1_14partition_implILS8_3ELb0ES6_jNS0_17counting_iteratorIjlEEPS9_SE_NS0_5tupleIJPjSE_EEENSF_IJSE_SE_EEES9_SG_JZNS1_25segmented_radix_sort_implINS0_14default_configELb0EPKbPbPKlPlN2at6native12_GLOBAL__N_18offset_tEEE10hipError_tPvRmT1_PNSt15iterator_traitsISY_E10value_typeET2_T3_PNSZ_IS14_E10value_typeET4_jRbjT5_S1A_jjP12ihipStream_tbEUljE_EEESV_SW_SX_S14_S18_S1A_T6_T7_T9_mT8_S1C_bDpT10_ENKUlT_T0_E_clISt17integral_constantIbLb0EES1P_EEDaS1K_S1L_EUlS1K_E_NS1_11comp_targetILNS1_3genE5ELNS1_11target_archE942ELNS1_3gpuE9ELNS1_3repE0EEENS1_30default_config_static_selectorELNS0_4arch9wavefront6targetE0EEEvSY_.uses_vcc, 0
	.set _ZN7rocprim17ROCPRIM_400000_NS6detail17trampoline_kernelINS0_13select_configILj256ELj13ELNS0_17block_load_methodE3ELS4_3ELS4_3ELNS0_20block_scan_algorithmE0ELj4294967295EEENS1_25partition_config_selectorILNS1_17partition_subalgoE3EjNS0_10empty_typeEbEEZZNS1_14partition_implILS8_3ELb0ES6_jNS0_17counting_iteratorIjlEEPS9_SE_NS0_5tupleIJPjSE_EEENSF_IJSE_SE_EEES9_SG_JZNS1_25segmented_radix_sort_implINS0_14default_configELb0EPKbPbPKlPlN2at6native12_GLOBAL__N_18offset_tEEE10hipError_tPvRmT1_PNSt15iterator_traitsISY_E10value_typeET2_T3_PNSZ_IS14_E10value_typeET4_jRbjT5_S1A_jjP12ihipStream_tbEUljE_EEESV_SW_SX_S14_S18_S1A_T6_T7_T9_mT8_S1C_bDpT10_ENKUlT_T0_E_clISt17integral_constantIbLb0EES1P_EEDaS1K_S1L_EUlS1K_E_NS1_11comp_targetILNS1_3genE5ELNS1_11target_archE942ELNS1_3gpuE9ELNS1_3repE0EEENS1_30default_config_static_selectorELNS0_4arch9wavefront6targetE0EEEvSY_.uses_flat_scratch, 0
	.set _ZN7rocprim17ROCPRIM_400000_NS6detail17trampoline_kernelINS0_13select_configILj256ELj13ELNS0_17block_load_methodE3ELS4_3ELS4_3ELNS0_20block_scan_algorithmE0ELj4294967295EEENS1_25partition_config_selectorILNS1_17partition_subalgoE3EjNS0_10empty_typeEbEEZZNS1_14partition_implILS8_3ELb0ES6_jNS0_17counting_iteratorIjlEEPS9_SE_NS0_5tupleIJPjSE_EEENSF_IJSE_SE_EEES9_SG_JZNS1_25segmented_radix_sort_implINS0_14default_configELb0EPKbPbPKlPlN2at6native12_GLOBAL__N_18offset_tEEE10hipError_tPvRmT1_PNSt15iterator_traitsISY_E10value_typeET2_T3_PNSZ_IS14_E10value_typeET4_jRbjT5_S1A_jjP12ihipStream_tbEUljE_EEESV_SW_SX_S14_S18_S1A_T6_T7_T9_mT8_S1C_bDpT10_ENKUlT_T0_E_clISt17integral_constantIbLb0EES1P_EEDaS1K_S1L_EUlS1K_E_NS1_11comp_targetILNS1_3genE5ELNS1_11target_archE942ELNS1_3gpuE9ELNS1_3repE0EEENS1_30default_config_static_selectorELNS0_4arch9wavefront6targetE0EEEvSY_.has_dyn_sized_stack, 0
	.set _ZN7rocprim17ROCPRIM_400000_NS6detail17trampoline_kernelINS0_13select_configILj256ELj13ELNS0_17block_load_methodE3ELS4_3ELS4_3ELNS0_20block_scan_algorithmE0ELj4294967295EEENS1_25partition_config_selectorILNS1_17partition_subalgoE3EjNS0_10empty_typeEbEEZZNS1_14partition_implILS8_3ELb0ES6_jNS0_17counting_iteratorIjlEEPS9_SE_NS0_5tupleIJPjSE_EEENSF_IJSE_SE_EEES9_SG_JZNS1_25segmented_radix_sort_implINS0_14default_configELb0EPKbPbPKlPlN2at6native12_GLOBAL__N_18offset_tEEE10hipError_tPvRmT1_PNSt15iterator_traitsISY_E10value_typeET2_T3_PNSZ_IS14_E10value_typeET4_jRbjT5_S1A_jjP12ihipStream_tbEUljE_EEESV_SW_SX_S14_S18_S1A_T6_T7_T9_mT8_S1C_bDpT10_ENKUlT_T0_E_clISt17integral_constantIbLb0EES1P_EEDaS1K_S1L_EUlS1K_E_NS1_11comp_targetILNS1_3genE5ELNS1_11target_archE942ELNS1_3gpuE9ELNS1_3repE0EEENS1_30default_config_static_selectorELNS0_4arch9wavefront6targetE0EEEvSY_.has_recursion, 0
	.set _ZN7rocprim17ROCPRIM_400000_NS6detail17trampoline_kernelINS0_13select_configILj256ELj13ELNS0_17block_load_methodE3ELS4_3ELS4_3ELNS0_20block_scan_algorithmE0ELj4294967295EEENS1_25partition_config_selectorILNS1_17partition_subalgoE3EjNS0_10empty_typeEbEEZZNS1_14partition_implILS8_3ELb0ES6_jNS0_17counting_iteratorIjlEEPS9_SE_NS0_5tupleIJPjSE_EEENSF_IJSE_SE_EEES9_SG_JZNS1_25segmented_radix_sort_implINS0_14default_configELb0EPKbPbPKlPlN2at6native12_GLOBAL__N_18offset_tEEE10hipError_tPvRmT1_PNSt15iterator_traitsISY_E10value_typeET2_T3_PNSZ_IS14_E10value_typeET4_jRbjT5_S1A_jjP12ihipStream_tbEUljE_EEESV_SW_SX_S14_S18_S1A_T6_T7_T9_mT8_S1C_bDpT10_ENKUlT_T0_E_clISt17integral_constantIbLb0EES1P_EEDaS1K_S1L_EUlS1K_E_NS1_11comp_targetILNS1_3genE5ELNS1_11target_archE942ELNS1_3gpuE9ELNS1_3repE0EEENS1_30default_config_static_selectorELNS0_4arch9wavefront6targetE0EEEvSY_.has_indirect_call, 0
	.section	.AMDGPU.csdata,"",@progbits
; Kernel info:
; codeLenInByte = 0
; TotalNumSgprs: 0
; NumVgprs: 0
; ScratchSize: 0
; MemoryBound: 0
; FloatMode: 240
; IeeeMode: 1
; LDSByteSize: 0 bytes/workgroup (compile time only)
; SGPRBlocks: 0
; VGPRBlocks: 0
; NumSGPRsForWavesPerEU: 1
; NumVGPRsForWavesPerEU: 1
; Occupancy: 16
; WaveLimiterHint : 0
; COMPUTE_PGM_RSRC2:SCRATCH_EN: 0
; COMPUTE_PGM_RSRC2:USER_SGPR: 6
; COMPUTE_PGM_RSRC2:TRAP_HANDLER: 0
; COMPUTE_PGM_RSRC2:TGID_X_EN: 1
; COMPUTE_PGM_RSRC2:TGID_Y_EN: 0
; COMPUTE_PGM_RSRC2:TGID_Z_EN: 0
; COMPUTE_PGM_RSRC2:TIDIG_COMP_CNT: 0
	.section	.text._ZN7rocprim17ROCPRIM_400000_NS6detail17trampoline_kernelINS0_13select_configILj256ELj13ELNS0_17block_load_methodE3ELS4_3ELS4_3ELNS0_20block_scan_algorithmE0ELj4294967295EEENS1_25partition_config_selectorILNS1_17partition_subalgoE3EjNS0_10empty_typeEbEEZZNS1_14partition_implILS8_3ELb0ES6_jNS0_17counting_iteratorIjlEEPS9_SE_NS0_5tupleIJPjSE_EEENSF_IJSE_SE_EEES9_SG_JZNS1_25segmented_radix_sort_implINS0_14default_configELb0EPKbPbPKlPlN2at6native12_GLOBAL__N_18offset_tEEE10hipError_tPvRmT1_PNSt15iterator_traitsISY_E10value_typeET2_T3_PNSZ_IS14_E10value_typeET4_jRbjT5_S1A_jjP12ihipStream_tbEUljE_EEESV_SW_SX_S14_S18_S1A_T6_T7_T9_mT8_S1C_bDpT10_ENKUlT_T0_E_clISt17integral_constantIbLb0EES1P_EEDaS1K_S1L_EUlS1K_E_NS1_11comp_targetILNS1_3genE4ELNS1_11target_archE910ELNS1_3gpuE8ELNS1_3repE0EEENS1_30default_config_static_selectorELNS0_4arch9wavefront6targetE0EEEvSY_,"axG",@progbits,_ZN7rocprim17ROCPRIM_400000_NS6detail17trampoline_kernelINS0_13select_configILj256ELj13ELNS0_17block_load_methodE3ELS4_3ELS4_3ELNS0_20block_scan_algorithmE0ELj4294967295EEENS1_25partition_config_selectorILNS1_17partition_subalgoE3EjNS0_10empty_typeEbEEZZNS1_14partition_implILS8_3ELb0ES6_jNS0_17counting_iteratorIjlEEPS9_SE_NS0_5tupleIJPjSE_EEENSF_IJSE_SE_EEES9_SG_JZNS1_25segmented_radix_sort_implINS0_14default_configELb0EPKbPbPKlPlN2at6native12_GLOBAL__N_18offset_tEEE10hipError_tPvRmT1_PNSt15iterator_traitsISY_E10value_typeET2_T3_PNSZ_IS14_E10value_typeET4_jRbjT5_S1A_jjP12ihipStream_tbEUljE_EEESV_SW_SX_S14_S18_S1A_T6_T7_T9_mT8_S1C_bDpT10_ENKUlT_T0_E_clISt17integral_constantIbLb0EES1P_EEDaS1K_S1L_EUlS1K_E_NS1_11comp_targetILNS1_3genE4ELNS1_11target_archE910ELNS1_3gpuE8ELNS1_3repE0EEENS1_30default_config_static_selectorELNS0_4arch9wavefront6targetE0EEEvSY_,comdat
	.globl	_ZN7rocprim17ROCPRIM_400000_NS6detail17trampoline_kernelINS0_13select_configILj256ELj13ELNS0_17block_load_methodE3ELS4_3ELS4_3ELNS0_20block_scan_algorithmE0ELj4294967295EEENS1_25partition_config_selectorILNS1_17partition_subalgoE3EjNS0_10empty_typeEbEEZZNS1_14partition_implILS8_3ELb0ES6_jNS0_17counting_iteratorIjlEEPS9_SE_NS0_5tupleIJPjSE_EEENSF_IJSE_SE_EEES9_SG_JZNS1_25segmented_radix_sort_implINS0_14default_configELb0EPKbPbPKlPlN2at6native12_GLOBAL__N_18offset_tEEE10hipError_tPvRmT1_PNSt15iterator_traitsISY_E10value_typeET2_T3_PNSZ_IS14_E10value_typeET4_jRbjT5_S1A_jjP12ihipStream_tbEUljE_EEESV_SW_SX_S14_S18_S1A_T6_T7_T9_mT8_S1C_bDpT10_ENKUlT_T0_E_clISt17integral_constantIbLb0EES1P_EEDaS1K_S1L_EUlS1K_E_NS1_11comp_targetILNS1_3genE4ELNS1_11target_archE910ELNS1_3gpuE8ELNS1_3repE0EEENS1_30default_config_static_selectorELNS0_4arch9wavefront6targetE0EEEvSY_ ; -- Begin function _ZN7rocprim17ROCPRIM_400000_NS6detail17trampoline_kernelINS0_13select_configILj256ELj13ELNS0_17block_load_methodE3ELS4_3ELS4_3ELNS0_20block_scan_algorithmE0ELj4294967295EEENS1_25partition_config_selectorILNS1_17partition_subalgoE3EjNS0_10empty_typeEbEEZZNS1_14partition_implILS8_3ELb0ES6_jNS0_17counting_iteratorIjlEEPS9_SE_NS0_5tupleIJPjSE_EEENSF_IJSE_SE_EEES9_SG_JZNS1_25segmented_radix_sort_implINS0_14default_configELb0EPKbPbPKlPlN2at6native12_GLOBAL__N_18offset_tEEE10hipError_tPvRmT1_PNSt15iterator_traitsISY_E10value_typeET2_T3_PNSZ_IS14_E10value_typeET4_jRbjT5_S1A_jjP12ihipStream_tbEUljE_EEESV_SW_SX_S14_S18_S1A_T6_T7_T9_mT8_S1C_bDpT10_ENKUlT_T0_E_clISt17integral_constantIbLb0EES1P_EEDaS1K_S1L_EUlS1K_E_NS1_11comp_targetILNS1_3genE4ELNS1_11target_archE910ELNS1_3gpuE8ELNS1_3repE0EEENS1_30default_config_static_selectorELNS0_4arch9wavefront6targetE0EEEvSY_
	.p2align	8
	.type	_ZN7rocprim17ROCPRIM_400000_NS6detail17trampoline_kernelINS0_13select_configILj256ELj13ELNS0_17block_load_methodE3ELS4_3ELS4_3ELNS0_20block_scan_algorithmE0ELj4294967295EEENS1_25partition_config_selectorILNS1_17partition_subalgoE3EjNS0_10empty_typeEbEEZZNS1_14partition_implILS8_3ELb0ES6_jNS0_17counting_iteratorIjlEEPS9_SE_NS0_5tupleIJPjSE_EEENSF_IJSE_SE_EEES9_SG_JZNS1_25segmented_radix_sort_implINS0_14default_configELb0EPKbPbPKlPlN2at6native12_GLOBAL__N_18offset_tEEE10hipError_tPvRmT1_PNSt15iterator_traitsISY_E10value_typeET2_T3_PNSZ_IS14_E10value_typeET4_jRbjT5_S1A_jjP12ihipStream_tbEUljE_EEESV_SW_SX_S14_S18_S1A_T6_T7_T9_mT8_S1C_bDpT10_ENKUlT_T0_E_clISt17integral_constantIbLb0EES1P_EEDaS1K_S1L_EUlS1K_E_NS1_11comp_targetILNS1_3genE4ELNS1_11target_archE910ELNS1_3gpuE8ELNS1_3repE0EEENS1_30default_config_static_selectorELNS0_4arch9wavefront6targetE0EEEvSY_,@function
_ZN7rocprim17ROCPRIM_400000_NS6detail17trampoline_kernelINS0_13select_configILj256ELj13ELNS0_17block_load_methodE3ELS4_3ELS4_3ELNS0_20block_scan_algorithmE0ELj4294967295EEENS1_25partition_config_selectorILNS1_17partition_subalgoE3EjNS0_10empty_typeEbEEZZNS1_14partition_implILS8_3ELb0ES6_jNS0_17counting_iteratorIjlEEPS9_SE_NS0_5tupleIJPjSE_EEENSF_IJSE_SE_EEES9_SG_JZNS1_25segmented_radix_sort_implINS0_14default_configELb0EPKbPbPKlPlN2at6native12_GLOBAL__N_18offset_tEEE10hipError_tPvRmT1_PNSt15iterator_traitsISY_E10value_typeET2_T3_PNSZ_IS14_E10value_typeET4_jRbjT5_S1A_jjP12ihipStream_tbEUljE_EEESV_SW_SX_S14_S18_S1A_T6_T7_T9_mT8_S1C_bDpT10_ENKUlT_T0_E_clISt17integral_constantIbLb0EES1P_EEDaS1K_S1L_EUlS1K_E_NS1_11comp_targetILNS1_3genE4ELNS1_11target_archE910ELNS1_3gpuE8ELNS1_3repE0EEENS1_30default_config_static_selectorELNS0_4arch9wavefront6targetE0EEEvSY_: ; @_ZN7rocprim17ROCPRIM_400000_NS6detail17trampoline_kernelINS0_13select_configILj256ELj13ELNS0_17block_load_methodE3ELS4_3ELS4_3ELNS0_20block_scan_algorithmE0ELj4294967295EEENS1_25partition_config_selectorILNS1_17partition_subalgoE3EjNS0_10empty_typeEbEEZZNS1_14partition_implILS8_3ELb0ES6_jNS0_17counting_iteratorIjlEEPS9_SE_NS0_5tupleIJPjSE_EEENSF_IJSE_SE_EEES9_SG_JZNS1_25segmented_radix_sort_implINS0_14default_configELb0EPKbPbPKlPlN2at6native12_GLOBAL__N_18offset_tEEE10hipError_tPvRmT1_PNSt15iterator_traitsISY_E10value_typeET2_T3_PNSZ_IS14_E10value_typeET4_jRbjT5_S1A_jjP12ihipStream_tbEUljE_EEESV_SW_SX_S14_S18_S1A_T6_T7_T9_mT8_S1C_bDpT10_ENKUlT_T0_E_clISt17integral_constantIbLb0EES1P_EEDaS1K_S1L_EUlS1K_E_NS1_11comp_targetILNS1_3genE4ELNS1_11target_archE910ELNS1_3gpuE8ELNS1_3repE0EEENS1_30default_config_static_selectorELNS0_4arch9wavefront6targetE0EEEvSY_
; %bb.0:
	.section	.rodata,"a",@progbits
	.p2align	6, 0x0
	.amdhsa_kernel _ZN7rocprim17ROCPRIM_400000_NS6detail17trampoline_kernelINS0_13select_configILj256ELj13ELNS0_17block_load_methodE3ELS4_3ELS4_3ELNS0_20block_scan_algorithmE0ELj4294967295EEENS1_25partition_config_selectorILNS1_17partition_subalgoE3EjNS0_10empty_typeEbEEZZNS1_14partition_implILS8_3ELb0ES6_jNS0_17counting_iteratorIjlEEPS9_SE_NS0_5tupleIJPjSE_EEENSF_IJSE_SE_EEES9_SG_JZNS1_25segmented_radix_sort_implINS0_14default_configELb0EPKbPbPKlPlN2at6native12_GLOBAL__N_18offset_tEEE10hipError_tPvRmT1_PNSt15iterator_traitsISY_E10value_typeET2_T3_PNSZ_IS14_E10value_typeET4_jRbjT5_S1A_jjP12ihipStream_tbEUljE_EEESV_SW_SX_S14_S18_S1A_T6_T7_T9_mT8_S1C_bDpT10_ENKUlT_T0_E_clISt17integral_constantIbLb0EES1P_EEDaS1K_S1L_EUlS1K_E_NS1_11comp_targetILNS1_3genE4ELNS1_11target_archE910ELNS1_3gpuE8ELNS1_3repE0EEENS1_30default_config_static_selectorELNS0_4arch9wavefront6targetE0EEEvSY_
		.amdhsa_group_segment_fixed_size 0
		.amdhsa_private_segment_fixed_size 0
		.amdhsa_kernarg_size 144
		.amdhsa_user_sgpr_count 6
		.amdhsa_user_sgpr_private_segment_buffer 1
		.amdhsa_user_sgpr_dispatch_ptr 0
		.amdhsa_user_sgpr_queue_ptr 0
		.amdhsa_user_sgpr_kernarg_segment_ptr 1
		.amdhsa_user_sgpr_dispatch_id 0
		.amdhsa_user_sgpr_flat_scratch_init 0
		.amdhsa_user_sgpr_private_segment_size 0
		.amdhsa_wavefront_size32 1
		.amdhsa_uses_dynamic_stack 0
		.amdhsa_system_sgpr_private_segment_wavefront_offset 0
		.amdhsa_system_sgpr_workgroup_id_x 1
		.amdhsa_system_sgpr_workgroup_id_y 0
		.amdhsa_system_sgpr_workgroup_id_z 0
		.amdhsa_system_sgpr_workgroup_info 0
		.amdhsa_system_vgpr_workitem_id 0
		.amdhsa_next_free_vgpr 1
		.amdhsa_next_free_sgpr 1
		.amdhsa_reserve_vcc 0
		.amdhsa_reserve_flat_scratch 0
		.amdhsa_float_round_mode_32 0
		.amdhsa_float_round_mode_16_64 0
		.amdhsa_float_denorm_mode_32 3
		.amdhsa_float_denorm_mode_16_64 3
		.amdhsa_dx10_clamp 1
		.amdhsa_ieee_mode 1
		.amdhsa_fp16_overflow 0
		.amdhsa_workgroup_processor_mode 1
		.amdhsa_memory_ordered 1
		.amdhsa_forward_progress 1
		.amdhsa_shared_vgpr_count 0
		.amdhsa_exception_fp_ieee_invalid_op 0
		.amdhsa_exception_fp_denorm_src 0
		.amdhsa_exception_fp_ieee_div_zero 0
		.amdhsa_exception_fp_ieee_overflow 0
		.amdhsa_exception_fp_ieee_underflow 0
		.amdhsa_exception_fp_ieee_inexact 0
		.amdhsa_exception_int_div_zero 0
	.end_amdhsa_kernel
	.section	.text._ZN7rocprim17ROCPRIM_400000_NS6detail17trampoline_kernelINS0_13select_configILj256ELj13ELNS0_17block_load_methodE3ELS4_3ELS4_3ELNS0_20block_scan_algorithmE0ELj4294967295EEENS1_25partition_config_selectorILNS1_17partition_subalgoE3EjNS0_10empty_typeEbEEZZNS1_14partition_implILS8_3ELb0ES6_jNS0_17counting_iteratorIjlEEPS9_SE_NS0_5tupleIJPjSE_EEENSF_IJSE_SE_EEES9_SG_JZNS1_25segmented_radix_sort_implINS0_14default_configELb0EPKbPbPKlPlN2at6native12_GLOBAL__N_18offset_tEEE10hipError_tPvRmT1_PNSt15iterator_traitsISY_E10value_typeET2_T3_PNSZ_IS14_E10value_typeET4_jRbjT5_S1A_jjP12ihipStream_tbEUljE_EEESV_SW_SX_S14_S18_S1A_T6_T7_T9_mT8_S1C_bDpT10_ENKUlT_T0_E_clISt17integral_constantIbLb0EES1P_EEDaS1K_S1L_EUlS1K_E_NS1_11comp_targetILNS1_3genE4ELNS1_11target_archE910ELNS1_3gpuE8ELNS1_3repE0EEENS1_30default_config_static_selectorELNS0_4arch9wavefront6targetE0EEEvSY_,"axG",@progbits,_ZN7rocprim17ROCPRIM_400000_NS6detail17trampoline_kernelINS0_13select_configILj256ELj13ELNS0_17block_load_methodE3ELS4_3ELS4_3ELNS0_20block_scan_algorithmE0ELj4294967295EEENS1_25partition_config_selectorILNS1_17partition_subalgoE3EjNS0_10empty_typeEbEEZZNS1_14partition_implILS8_3ELb0ES6_jNS0_17counting_iteratorIjlEEPS9_SE_NS0_5tupleIJPjSE_EEENSF_IJSE_SE_EEES9_SG_JZNS1_25segmented_radix_sort_implINS0_14default_configELb0EPKbPbPKlPlN2at6native12_GLOBAL__N_18offset_tEEE10hipError_tPvRmT1_PNSt15iterator_traitsISY_E10value_typeET2_T3_PNSZ_IS14_E10value_typeET4_jRbjT5_S1A_jjP12ihipStream_tbEUljE_EEESV_SW_SX_S14_S18_S1A_T6_T7_T9_mT8_S1C_bDpT10_ENKUlT_T0_E_clISt17integral_constantIbLb0EES1P_EEDaS1K_S1L_EUlS1K_E_NS1_11comp_targetILNS1_3genE4ELNS1_11target_archE910ELNS1_3gpuE8ELNS1_3repE0EEENS1_30default_config_static_selectorELNS0_4arch9wavefront6targetE0EEEvSY_,comdat
.Lfunc_end1596:
	.size	_ZN7rocprim17ROCPRIM_400000_NS6detail17trampoline_kernelINS0_13select_configILj256ELj13ELNS0_17block_load_methodE3ELS4_3ELS4_3ELNS0_20block_scan_algorithmE0ELj4294967295EEENS1_25partition_config_selectorILNS1_17partition_subalgoE3EjNS0_10empty_typeEbEEZZNS1_14partition_implILS8_3ELb0ES6_jNS0_17counting_iteratorIjlEEPS9_SE_NS0_5tupleIJPjSE_EEENSF_IJSE_SE_EEES9_SG_JZNS1_25segmented_radix_sort_implINS0_14default_configELb0EPKbPbPKlPlN2at6native12_GLOBAL__N_18offset_tEEE10hipError_tPvRmT1_PNSt15iterator_traitsISY_E10value_typeET2_T3_PNSZ_IS14_E10value_typeET4_jRbjT5_S1A_jjP12ihipStream_tbEUljE_EEESV_SW_SX_S14_S18_S1A_T6_T7_T9_mT8_S1C_bDpT10_ENKUlT_T0_E_clISt17integral_constantIbLb0EES1P_EEDaS1K_S1L_EUlS1K_E_NS1_11comp_targetILNS1_3genE4ELNS1_11target_archE910ELNS1_3gpuE8ELNS1_3repE0EEENS1_30default_config_static_selectorELNS0_4arch9wavefront6targetE0EEEvSY_, .Lfunc_end1596-_ZN7rocprim17ROCPRIM_400000_NS6detail17trampoline_kernelINS0_13select_configILj256ELj13ELNS0_17block_load_methodE3ELS4_3ELS4_3ELNS0_20block_scan_algorithmE0ELj4294967295EEENS1_25partition_config_selectorILNS1_17partition_subalgoE3EjNS0_10empty_typeEbEEZZNS1_14partition_implILS8_3ELb0ES6_jNS0_17counting_iteratorIjlEEPS9_SE_NS0_5tupleIJPjSE_EEENSF_IJSE_SE_EEES9_SG_JZNS1_25segmented_radix_sort_implINS0_14default_configELb0EPKbPbPKlPlN2at6native12_GLOBAL__N_18offset_tEEE10hipError_tPvRmT1_PNSt15iterator_traitsISY_E10value_typeET2_T3_PNSZ_IS14_E10value_typeET4_jRbjT5_S1A_jjP12ihipStream_tbEUljE_EEESV_SW_SX_S14_S18_S1A_T6_T7_T9_mT8_S1C_bDpT10_ENKUlT_T0_E_clISt17integral_constantIbLb0EES1P_EEDaS1K_S1L_EUlS1K_E_NS1_11comp_targetILNS1_3genE4ELNS1_11target_archE910ELNS1_3gpuE8ELNS1_3repE0EEENS1_30default_config_static_selectorELNS0_4arch9wavefront6targetE0EEEvSY_
                                        ; -- End function
	.set _ZN7rocprim17ROCPRIM_400000_NS6detail17trampoline_kernelINS0_13select_configILj256ELj13ELNS0_17block_load_methodE3ELS4_3ELS4_3ELNS0_20block_scan_algorithmE0ELj4294967295EEENS1_25partition_config_selectorILNS1_17partition_subalgoE3EjNS0_10empty_typeEbEEZZNS1_14partition_implILS8_3ELb0ES6_jNS0_17counting_iteratorIjlEEPS9_SE_NS0_5tupleIJPjSE_EEENSF_IJSE_SE_EEES9_SG_JZNS1_25segmented_radix_sort_implINS0_14default_configELb0EPKbPbPKlPlN2at6native12_GLOBAL__N_18offset_tEEE10hipError_tPvRmT1_PNSt15iterator_traitsISY_E10value_typeET2_T3_PNSZ_IS14_E10value_typeET4_jRbjT5_S1A_jjP12ihipStream_tbEUljE_EEESV_SW_SX_S14_S18_S1A_T6_T7_T9_mT8_S1C_bDpT10_ENKUlT_T0_E_clISt17integral_constantIbLb0EES1P_EEDaS1K_S1L_EUlS1K_E_NS1_11comp_targetILNS1_3genE4ELNS1_11target_archE910ELNS1_3gpuE8ELNS1_3repE0EEENS1_30default_config_static_selectorELNS0_4arch9wavefront6targetE0EEEvSY_.num_vgpr, 0
	.set _ZN7rocprim17ROCPRIM_400000_NS6detail17trampoline_kernelINS0_13select_configILj256ELj13ELNS0_17block_load_methodE3ELS4_3ELS4_3ELNS0_20block_scan_algorithmE0ELj4294967295EEENS1_25partition_config_selectorILNS1_17partition_subalgoE3EjNS0_10empty_typeEbEEZZNS1_14partition_implILS8_3ELb0ES6_jNS0_17counting_iteratorIjlEEPS9_SE_NS0_5tupleIJPjSE_EEENSF_IJSE_SE_EEES9_SG_JZNS1_25segmented_radix_sort_implINS0_14default_configELb0EPKbPbPKlPlN2at6native12_GLOBAL__N_18offset_tEEE10hipError_tPvRmT1_PNSt15iterator_traitsISY_E10value_typeET2_T3_PNSZ_IS14_E10value_typeET4_jRbjT5_S1A_jjP12ihipStream_tbEUljE_EEESV_SW_SX_S14_S18_S1A_T6_T7_T9_mT8_S1C_bDpT10_ENKUlT_T0_E_clISt17integral_constantIbLb0EES1P_EEDaS1K_S1L_EUlS1K_E_NS1_11comp_targetILNS1_3genE4ELNS1_11target_archE910ELNS1_3gpuE8ELNS1_3repE0EEENS1_30default_config_static_selectorELNS0_4arch9wavefront6targetE0EEEvSY_.num_agpr, 0
	.set _ZN7rocprim17ROCPRIM_400000_NS6detail17trampoline_kernelINS0_13select_configILj256ELj13ELNS0_17block_load_methodE3ELS4_3ELS4_3ELNS0_20block_scan_algorithmE0ELj4294967295EEENS1_25partition_config_selectorILNS1_17partition_subalgoE3EjNS0_10empty_typeEbEEZZNS1_14partition_implILS8_3ELb0ES6_jNS0_17counting_iteratorIjlEEPS9_SE_NS0_5tupleIJPjSE_EEENSF_IJSE_SE_EEES9_SG_JZNS1_25segmented_radix_sort_implINS0_14default_configELb0EPKbPbPKlPlN2at6native12_GLOBAL__N_18offset_tEEE10hipError_tPvRmT1_PNSt15iterator_traitsISY_E10value_typeET2_T3_PNSZ_IS14_E10value_typeET4_jRbjT5_S1A_jjP12ihipStream_tbEUljE_EEESV_SW_SX_S14_S18_S1A_T6_T7_T9_mT8_S1C_bDpT10_ENKUlT_T0_E_clISt17integral_constantIbLb0EES1P_EEDaS1K_S1L_EUlS1K_E_NS1_11comp_targetILNS1_3genE4ELNS1_11target_archE910ELNS1_3gpuE8ELNS1_3repE0EEENS1_30default_config_static_selectorELNS0_4arch9wavefront6targetE0EEEvSY_.numbered_sgpr, 0
	.set _ZN7rocprim17ROCPRIM_400000_NS6detail17trampoline_kernelINS0_13select_configILj256ELj13ELNS0_17block_load_methodE3ELS4_3ELS4_3ELNS0_20block_scan_algorithmE0ELj4294967295EEENS1_25partition_config_selectorILNS1_17partition_subalgoE3EjNS0_10empty_typeEbEEZZNS1_14partition_implILS8_3ELb0ES6_jNS0_17counting_iteratorIjlEEPS9_SE_NS0_5tupleIJPjSE_EEENSF_IJSE_SE_EEES9_SG_JZNS1_25segmented_radix_sort_implINS0_14default_configELb0EPKbPbPKlPlN2at6native12_GLOBAL__N_18offset_tEEE10hipError_tPvRmT1_PNSt15iterator_traitsISY_E10value_typeET2_T3_PNSZ_IS14_E10value_typeET4_jRbjT5_S1A_jjP12ihipStream_tbEUljE_EEESV_SW_SX_S14_S18_S1A_T6_T7_T9_mT8_S1C_bDpT10_ENKUlT_T0_E_clISt17integral_constantIbLb0EES1P_EEDaS1K_S1L_EUlS1K_E_NS1_11comp_targetILNS1_3genE4ELNS1_11target_archE910ELNS1_3gpuE8ELNS1_3repE0EEENS1_30default_config_static_selectorELNS0_4arch9wavefront6targetE0EEEvSY_.num_named_barrier, 0
	.set _ZN7rocprim17ROCPRIM_400000_NS6detail17trampoline_kernelINS0_13select_configILj256ELj13ELNS0_17block_load_methodE3ELS4_3ELS4_3ELNS0_20block_scan_algorithmE0ELj4294967295EEENS1_25partition_config_selectorILNS1_17partition_subalgoE3EjNS0_10empty_typeEbEEZZNS1_14partition_implILS8_3ELb0ES6_jNS0_17counting_iteratorIjlEEPS9_SE_NS0_5tupleIJPjSE_EEENSF_IJSE_SE_EEES9_SG_JZNS1_25segmented_radix_sort_implINS0_14default_configELb0EPKbPbPKlPlN2at6native12_GLOBAL__N_18offset_tEEE10hipError_tPvRmT1_PNSt15iterator_traitsISY_E10value_typeET2_T3_PNSZ_IS14_E10value_typeET4_jRbjT5_S1A_jjP12ihipStream_tbEUljE_EEESV_SW_SX_S14_S18_S1A_T6_T7_T9_mT8_S1C_bDpT10_ENKUlT_T0_E_clISt17integral_constantIbLb0EES1P_EEDaS1K_S1L_EUlS1K_E_NS1_11comp_targetILNS1_3genE4ELNS1_11target_archE910ELNS1_3gpuE8ELNS1_3repE0EEENS1_30default_config_static_selectorELNS0_4arch9wavefront6targetE0EEEvSY_.private_seg_size, 0
	.set _ZN7rocprim17ROCPRIM_400000_NS6detail17trampoline_kernelINS0_13select_configILj256ELj13ELNS0_17block_load_methodE3ELS4_3ELS4_3ELNS0_20block_scan_algorithmE0ELj4294967295EEENS1_25partition_config_selectorILNS1_17partition_subalgoE3EjNS0_10empty_typeEbEEZZNS1_14partition_implILS8_3ELb0ES6_jNS0_17counting_iteratorIjlEEPS9_SE_NS0_5tupleIJPjSE_EEENSF_IJSE_SE_EEES9_SG_JZNS1_25segmented_radix_sort_implINS0_14default_configELb0EPKbPbPKlPlN2at6native12_GLOBAL__N_18offset_tEEE10hipError_tPvRmT1_PNSt15iterator_traitsISY_E10value_typeET2_T3_PNSZ_IS14_E10value_typeET4_jRbjT5_S1A_jjP12ihipStream_tbEUljE_EEESV_SW_SX_S14_S18_S1A_T6_T7_T9_mT8_S1C_bDpT10_ENKUlT_T0_E_clISt17integral_constantIbLb0EES1P_EEDaS1K_S1L_EUlS1K_E_NS1_11comp_targetILNS1_3genE4ELNS1_11target_archE910ELNS1_3gpuE8ELNS1_3repE0EEENS1_30default_config_static_selectorELNS0_4arch9wavefront6targetE0EEEvSY_.uses_vcc, 0
	.set _ZN7rocprim17ROCPRIM_400000_NS6detail17trampoline_kernelINS0_13select_configILj256ELj13ELNS0_17block_load_methodE3ELS4_3ELS4_3ELNS0_20block_scan_algorithmE0ELj4294967295EEENS1_25partition_config_selectorILNS1_17partition_subalgoE3EjNS0_10empty_typeEbEEZZNS1_14partition_implILS8_3ELb0ES6_jNS0_17counting_iteratorIjlEEPS9_SE_NS0_5tupleIJPjSE_EEENSF_IJSE_SE_EEES9_SG_JZNS1_25segmented_radix_sort_implINS0_14default_configELb0EPKbPbPKlPlN2at6native12_GLOBAL__N_18offset_tEEE10hipError_tPvRmT1_PNSt15iterator_traitsISY_E10value_typeET2_T3_PNSZ_IS14_E10value_typeET4_jRbjT5_S1A_jjP12ihipStream_tbEUljE_EEESV_SW_SX_S14_S18_S1A_T6_T7_T9_mT8_S1C_bDpT10_ENKUlT_T0_E_clISt17integral_constantIbLb0EES1P_EEDaS1K_S1L_EUlS1K_E_NS1_11comp_targetILNS1_3genE4ELNS1_11target_archE910ELNS1_3gpuE8ELNS1_3repE0EEENS1_30default_config_static_selectorELNS0_4arch9wavefront6targetE0EEEvSY_.uses_flat_scratch, 0
	.set _ZN7rocprim17ROCPRIM_400000_NS6detail17trampoline_kernelINS0_13select_configILj256ELj13ELNS0_17block_load_methodE3ELS4_3ELS4_3ELNS0_20block_scan_algorithmE0ELj4294967295EEENS1_25partition_config_selectorILNS1_17partition_subalgoE3EjNS0_10empty_typeEbEEZZNS1_14partition_implILS8_3ELb0ES6_jNS0_17counting_iteratorIjlEEPS9_SE_NS0_5tupleIJPjSE_EEENSF_IJSE_SE_EEES9_SG_JZNS1_25segmented_radix_sort_implINS0_14default_configELb0EPKbPbPKlPlN2at6native12_GLOBAL__N_18offset_tEEE10hipError_tPvRmT1_PNSt15iterator_traitsISY_E10value_typeET2_T3_PNSZ_IS14_E10value_typeET4_jRbjT5_S1A_jjP12ihipStream_tbEUljE_EEESV_SW_SX_S14_S18_S1A_T6_T7_T9_mT8_S1C_bDpT10_ENKUlT_T0_E_clISt17integral_constantIbLb0EES1P_EEDaS1K_S1L_EUlS1K_E_NS1_11comp_targetILNS1_3genE4ELNS1_11target_archE910ELNS1_3gpuE8ELNS1_3repE0EEENS1_30default_config_static_selectorELNS0_4arch9wavefront6targetE0EEEvSY_.has_dyn_sized_stack, 0
	.set _ZN7rocprim17ROCPRIM_400000_NS6detail17trampoline_kernelINS0_13select_configILj256ELj13ELNS0_17block_load_methodE3ELS4_3ELS4_3ELNS0_20block_scan_algorithmE0ELj4294967295EEENS1_25partition_config_selectorILNS1_17partition_subalgoE3EjNS0_10empty_typeEbEEZZNS1_14partition_implILS8_3ELb0ES6_jNS0_17counting_iteratorIjlEEPS9_SE_NS0_5tupleIJPjSE_EEENSF_IJSE_SE_EEES9_SG_JZNS1_25segmented_radix_sort_implINS0_14default_configELb0EPKbPbPKlPlN2at6native12_GLOBAL__N_18offset_tEEE10hipError_tPvRmT1_PNSt15iterator_traitsISY_E10value_typeET2_T3_PNSZ_IS14_E10value_typeET4_jRbjT5_S1A_jjP12ihipStream_tbEUljE_EEESV_SW_SX_S14_S18_S1A_T6_T7_T9_mT8_S1C_bDpT10_ENKUlT_T0_E_clISt17integral_constantIbLb0EES1P_EEDaS1K_S1L_EUlS1K_E_NS1_11comp_targetILNS1_3genE4ELNS1_11target_archE910ELNS1_3gpuE8ELNS1_3repE0EEENS1_30default_config_static_selectorELNS0_4arch9wavefront6targetE0EEEvSY_.has_recursion, 0
	.set _ZN7rocprim17ROCPRIM_400000_NS6detail17trampoline_kernelINS0_13select_configILj256ELj13ELNS0_17block_load_methodE3ELS4_3ELS4_3ELNS0_20block_scan_algorithmE0ELj4294967295EEENS1_25partition_config_selectorILNS1_17partition_subalgoE3EjNS0_10empty_typeEbEEZZNS1_14partition_implILS8_3ELb0ES6_jNS0_17counting_iteratorIjlEEPS9_SE_NS0_5tupleIJPjSE_EEENSF_IJSE_SE_EEES9_SG_JZNS1_25segmented_radix_sort_implINS0_14default_configELb0EPKbPbPKlPlN2at6native12_GLOBAL__N_18offset_tEEE10hipError_tPvRmT1_PNSt15iterator_traitsISY_E10value_typeET2_T3_PNSZ_IS14_E10value_typeET4_jRbjT5_S1A_jjP12ihipStream_tbEUljE_EEESV_SW_SX_S14_S18_S1A_T6_T7_T9_mT8_S1C_bDpT10_ENKUlT_T0_E_clISt17integral_constantIbLb0EES1P_EEDaS1K_S1L_EUlS1K_E_NS1_11comp_targetILNS1_3genE4ELNS1_11target_archE910ELNS1_3gpuE8ELNS1_3repE0EEENS1_30default_config_static_selectorELNS0_4arch9wavefront6targetE0EEEvSY_.has_indirect_call, 0
	.section	.AMDGPU.csdata,"",@progbits
; Kernel info:
; codeLenInByte = 0
; TotalNumSgprs: 0
; NumVgprs: 0
; ScratchSize: 0
; MemoryBound: 0
; FloatMode: 240
; IeeeMode: 1
; LDSByteSize: 0 bytes/workgroup (compile time only)
; SGPRBlocks: 0
; VGPRBlocks: 0
; NumSGPRsForWavesPerEU: 1
; NumVGPRsForWavesPerEU: 1
; Occupancy: 16
; WaveLimiterHint : 0
; COMPUTE_PGM_RSRC2:SCRATCH_EN: 0
; COMPUTE_PGM_RSRC2:USER_SGPR: 6
; COMPUTE_PGM_RSRC2:TRAP_HANDLER: 0
; COMPUTE_PGM_RSRC2:TGID_X_EN: 1
; COMPUTE_PGM_RSRC2:TGID_Y_EN: 0
; COMPUTE_PGM_RSRC2:TGID_Z_EN: 0
; COMPUTE_PGM_RSRC2:TIDIG_COMP_CNT: 0
	.section	.text._ZN7rocprim17ROCPRIM_400000_NS6detail17trampoline_kernelINS0_13select_configILj256ELj13ELNS0_17block_load_methodE3ELS4_3ELS4_3ELNS0_20block_scan_algorithmE0ELj4294967295EEENS1_25partition_config_selectorILNS1_17partition_subalgoE3EjNS0_10empty_typeEbEEZZNS1_14partition_implILS8_3ELb0ES6_jNS0_17counting_iteratorIjlEEPS9_SE_NS0_5tupleIJPjSE_EEENSF_IJSE_SE_EEES9_SG_JZNS1_25segmented_radix_sort_implINS0_14default_configELb0EPKbPbPKlPlN2at6native12_GLOBAL__N_18offset_tEEE10hipError_tPvRmT1_PNSt15iterator_traitsISY_E10value_typeET2_T3_PNSZ_IS14_E10value_typeET4_jRbjT5_S1A_jjP12ihipStream_tbEUljE_EEESV_SW_SX_S14_S18_S1A_T6_T7_T9_mT8_S1C_bDpT10_ENKUlT_T0_E_clISt17integral_constantIbLb0EES1P_EEDaS1K_S1L_EUlS1K_E_NS1_11comp_targetILNS1_3genE3ELNS1_11target_archE908ELNS1_3gpuE7ELNS1_3repE0EEENS1_30default_config_static_selectorELNS0_4arch9wavefront6targetE0EEEvSY_,"axG",@progbits,_ZN7rocprim17ROCPRIM_400000_NS6detail17trampoline_kernelINS0_13select_configILj256ELj13ELNS0_17block_load_methodE3ELS4_3ELS4_3ELNS0_20block_scan_algorithmE0ELj4294967295EEENS1_25partition_config_selectorILNS1_17partition_subalgoE3EjNS0_10empty_typeEbEEZZNS1_14partition_implILS8_3ELb0ES6_jNS0_17counting_iteratorIjlEEPS9_SE_NS0_5tupleIJPjSE_EEENSF_IJSE_SE_EEES9_SG_JZNS1_25segmented_radix_sort_implINS0_14default_configELb0EPKbPbPKlPlN2at6native12_GLOBAL__N_18offset_tEEE10hipError_tPvRmT1_PNSt15iterator_traitsISY_E10value_typeET2_T3_PNSZ_IS14_E10value_typeET4_jRbjT5_S1A_jjP12ihipStream_tbEUljE_EEESV_SW_SX_S14_S18_S1A_T6_T7_T9_mT8_S1C_bDpT10_ENKUlT_T0_E_clISt17integral_constantIbLb0EES1P_EEDaS1K_S1L_EUlS1K_E_NS1_11comp_targetILNS1_3genE3ELNS1_11target_archE908ELNS1_3gpuE7ELNS1_3repE0EEENS1_30default_config_static_selectorELNS0_4arch9wavefront6targetE0EEEvSY_,comdat
	.globl	_ZN7rocprim17ROCPRIM_400000_NS6detail17trampoline_kernelINS0_13select_configILj256ELj13ELNS0_17block_load_methodE3ELS4_3ELS4_3ELNS0_20block_scan_algorithmE0ELj4294967295EEENS1_25partition_config_selectorILNS1_17partition_subalgoE3EjNS0_10empty_typeEbEEZZNS1_14partition_implILS8_3ELb0ES6_jNS0_17counting_iteratorIjlEEPS9_SE_NS0_5tupleIJPjSE_EEENSF_IJSE_SE_EEES9_SG_JZNS1_25segmented_radix_sort_implINS0_14default_configELb0EPKbPbPKlPlN2at6native12_GLOBAL__N_18offset_tEEE10hipError_tPvRmT1_PNSt15iterator_traitsISY_E10value_typeET2_T3_PNSZ_IS14_E10value_typeET4_jRbjT5_S1A_jjP12ihipStream_tbEUljE_EEESV_SW_SX_S14_S18_S1A_T6_T7_T9_mT8_S1C_bDpT10_ENKUlT_T0_E_clISt17integral_constantIbLb0EES1P_EEDaS1K_S1L_EUlS1K_E_NS1_11comp_targetILNS1_3genE3ELNS1_11target_archE908ELNS1_3gpuE7ELNS1_3repE0EEENS1_30default_config_static_selectorELNS0_4arch9wavefront6targetE0EEEvSY_ ; -- Begin function _ZN7rocprim17ROCPRIM_400000_NS6detail17trampoline_kernelINS0_13select_configILj256ELj13ELNS0_17block_load_methodE3ELS4_3ELS4_3ELNS0_20block_scan_algorithmE0ELj4294967295EEENS1_25partition_config_selectorILNS1_17partition_subalgoE3EjNS0_10empty_typeEbEEZZNS1_14partition_implILS8_3ELb0ES6_jNS0_17counting_iteratorIjlEEPS9_SE_NS0_5tupleIJPjSE_EEENSF_IJSE_SE_EEES9_SG_JZNS1_25segmented_radix_sort_implINS0_14default_configELb0EPKbPbPKlPlN2at6native12_GLOBAL__N_18offset_tEEE10hipError_tPvRmT1_PNSt15iterator_traitsISY_E10value_typeET2_T3_PNSZ_IS14_E10value_typeET4_jRbjT5_S1A_jjP12ihipStream_tbEUljE_EEESV_SW_SX_S14_S18_S1A_T6_T7_T9_mT8_S1C_bDpT10_ENKUlT_T0_E_clISt17integral_constantIbLb0EES1P_EEDaS1K_S1L_EUlS1K_E_NS1_11comp_targetILNS1_3genE3ELNS1_11target_archE908ELNS1_3gpuE7ELNS1_3repE0EEENS1_30default_config_static_selectorELNS0_4arch9wavefront6targetE0EEEvSY_
	.p2align	8
	.type	_ZN7rocprim17ROCPRIM_400000_NS6detail17trampoline_kernelINS0_13select_configILj256ELj13ELNS0_17block_load_methodE3ELS4_3ELS4_3ELNS0_20block_scan_algorithmE0ELj4294967295EEENS1_25partition_config_selectorILNS1_17partition_subalgoE3EjNS0_10empty_typeEbEEZZNS1_14partition_implILS8_3ELb0ES6_jNS0_17counting_iteratorIjlEEPS9_SE_NS0_5tupleIJPjSE_EEENSF_IJSE_SE_EEES9_SG_JZNS1_25segmented_radix_sort_implINS0_14default_configELb0EPKbPbPKlPlN2at6native12_GLOBAL__N_18offset_tEEE10hipError_tPvRmT1_PNSt15iterator_traitsISY_E10value_typeET2_T3_PNSZ_IS14_E10value_typeET4_jRbjT5_S1A_jjP12ihipStream_tbEUljE_EEESV_SW_SX_S14_S18_S1A_T6_T7_T9_mT8_S1C_bDpT10_ENKUlT_T0_E_clISt17integral_constantIbLb0EES1P_EEDaS1K_S1L_EUlS1K_E_NS1_11comp_targetILNS1_3genE3ELNS1_11target_archE908ELNS1_3gpuE7ELNS1_3repE0EEENS1_30default_config_static_selectorELNS0_4arch9wavefront6targetE0EEEvSY_,@function
_ZN7rocprim17ROCPRIM_400000_NS6detail17trampoline_kernelINS0_13select_configILj256ELj13ELNS0_17block_load_methodE3ELS4_3ELS4_3ELNS0_20block_scan_algorithmE0ELj4294967295EEENS1_25partition_config_selectorILNS1_17partition_subalgoE3EjNS0_10empty_typeEbEEZZNS1_14partition_implILS8_3ELb0ES6_jNS0_17counting_iteratorIjlEEPS9_SE_NS0_5tupleIJPjSE_EEENSF_IJSE_SE_EEES9_SG_JZNS1_25segmented_radix_sort_implINS0_14default_configELb0EPKbPbPKlPlN2at6native12_GLOBAL__N_18offset_tEEE10hipError_tPvRmT1_PNSt15iterator_traitsISY_E10value_typeET2_T3_PNSZ_IS14_E10value_typeET4_jRbjT5_S1A_jjP12ihipStream_tbEUljE_EEESV_SW_SX_S14_S18_S1A_T6_T7_T9_mT8_S1C_bDpT10_ENKUlT_T0_E_clISt17integral_constantIbLb0EES1P_EEDaS1K_S1L_EUlS1K_E_NS1_11comp_targetILNS1_3genE3ELNS1_11target_archE908ELNS1_3gpuE7ELNS1_3repE0EEENS1_30default_config_static_selectorELNS0_4arch9wavefront6targetE0EEEvSY_: ; @_ZN7rocprim17ROCPRIM_400000_NS6detail17trampoline_kernelINS0_13select_configILj256ELj13ELNS0_17block_load_methodE3ELS4_3ELS4_3ELNS0_20block_scan_algorithmE0ELj4294967295EEENS1_25partition_config_selectorILNS1_17partition_subalgoE3EjNS0_10empty_typeEbEEZZNS1_14partition_implILS8_3ELb0ES6_jNS0_17counting_iteratorIjlEEPS9_SE_NS0_5tupleIJPjSE_EEENSF_IJSE_SE_EEES9_SG_JZNS1_25segmented_radix_sort_implINS0_14default_configELb0EPKbPbPKlPlN2at6native12_GLOBAL__N_18offset_tEEE10hipError_tPvRmT1_PNSt15iterator_traitsISY_E10value_typeET2_T3_PNSZ_IS14_E10value_typeET4_jRbjT5_S1A_jjP12ihipStream_tbEUljE_EEESV_SW_SX_S14_S18_S1A_T6_T7_T9_mT8_S1C_bDpT10_ENKUlT_T0_E_clISt17integral_constantIbLb0EES1P_EEDaS1K_S1L_EUlS1K_E_NS1_11comp_targetILNS1_3genE3ELNS1_11target_archE908ELNS1_3gpuE7ELNS1_3repE0EEENS1_30default_config_static_selectorELNS0_4arch9wavefront6targetE0EEEvSY_
; %bb.0:
	.section	.rodata,"a",@progbits
	.p2align	6, 0x0
	.amdhsa_kernel _ZN7rocprim17ROCPRIM_400000_NS6detail17trampoline_kernelINS0_13select_configILj256ELj13ELNS0_17block_load_methodE3ELS4_3ELS4_3ELNS0_20block_scan_algorithmE0ELj4294967295EEENS1_25partition_config_selectorILNS1_17partition_subalgoE3EjNS0_10empty_typeEbEEZZNS1_14partition_implILS8_3ELb0ES6_jNS0_17counting_iteratorIjlEEPS9_SE_NS0_5tupleIJPjSE_EEENSF_IJSE_SE_EEES9_SG_JZNS1_25segmented_radix_sort_implINS0_14default_configELb0EPKbPbPKlPlN2at6native12_GLOBAL__N_18offset_tEEE10hipError_tPvRmT1_PNSt15iterator_traitsISY_E10value_typeET2_T3_PNSZ_IS14_E10value_typeET4_jRbjT5_S1A_jjP12ihipStream_tbEUljE_EEESV_SW_SX_S14_S18_S1A_T6_T7_T9_mT8_S1C_bDpT10_ENKUlT_T0_E_clISt17integral_constantIbLb0EES1P_EEDaS1K_S1L_EUlS1K_E_NS1_11comp_targetILNS1_3genE3ELNS1_11target_archE908ELNS1_3gpuE7ELNS1_3repE0EEENS1_30default_config_static_selectorELNS0_4arch9wavefront6targetE0EEEvSY_
		.amdhsa_group_segment_fixed_size 0
		.amdhsa_private_segment_fixed_size 0
		.amdhsa_kernarg_size 144
		.amdhsa_user_sgpr_count 6
		.amdhsa_user_sgpr_private_segment_buffer 1
		.amdhsa_user_sgpr_dispatch_ptr 0
		.amdhsa_user_sgpr_queue_ptr 0
		.amdhsa_user_sgpr_kernarg_segment_ptr 1
		.amdhsa_user_sgpr_dispatch_id 0
		.amdhsa_user_sgpr_flat_scratch_init 0
		.amdhsa_user_sgpr_private_segment_size 0
		.amdhsa_wavefront_size32 1
		.amdhsa_uses_dynamic_stack 0
		.amdhsa_system_sgpr_private_segment_wavefront_offset 0
		.amdhsa_system_sgpr_workgroup_id_x 1
		.amdhsa_system_sgpr_workgroup_id_y 0
		.amdhsa_system_sgpr_workgroup_id_z 0
		.amdhsa_system_sgpr_workgroup_info 0
		.amdhsa_system_vgpr_workitem_id 0
		.amdhsa_next_free_vgpr 1
		.amdhsa_next_free_sgpr 1
		.amdhsa_reserve_vcc 0
		.amdhsa_reserve_flat_scratch 0
		.amdhsa_float_round_mode_32 0
		.amdhsa_float_round_mode_16_64 0
		.amdhsa_float_denorm_mode_32 3
		.amdhsa_float_denorm_mode_16_64 3
		.amdhsa_dx10_clamp 1
		.amdhsa_ieee_mode 1
		.amdhsa_fp16_overflow 0
		.amdhsa_workgroup_processor_mode 1
		.amdhsa_memory_ordered 1
		.amdhsa_forward_progress 1
		.amdhsa_shared_vgpr_count 0
		.amdhsa_exception_fp_ieee_invalid_op 0
		.amdhsa_exception_fp_denorm_src 0
		.amdhsa_exception_fp_ieee_div_zero 0
		.amdhsa_exception_fp_ieee_overflow 0
		.amdhsa_exception_fp_ieee_underflow 0
		.amdhsa_exception_fp_ieee_inexact 0
		.amdhsa_exception_int_div_zero 0
	.end_amdhsa_kernel
	.section	.text._ZN7rocprim17ROCPRIM_400000_NS6detail17trampoline_kernelINS0_13select_configILj256ELj13ELNS0_17block_load_methodE3ELS4_3ELS4_3ELNS0_20block_scan_algorithmE0ELj4294967295EEENS1_25partition_config_selectorILNS1_17partition_subalgoE3EjNS0_10empty_typeEbEEZZNS1_14partition_implILS8_3ELb0ES6_jNS0_17counting_iteratorIjlEEPS9_SE_NS0_5tupleIJPjSE_EEENSF_IJSE_SE_EEES9_SG_JZNS1_25segmented_radix_sort_implINS0_14default_configELb0EPKbPbPKlPlN2at6native12_GLOBAL__N_18offset_tEEE10hipError_tPvRmT1_PNSt15iterator_traitsISY_E10value_typeET2_T3_PNSZ_IS14_E10value_typeET4_jRbjT5_S1A_jjP12ihipStream_tbEUljE_EEESV_SW_SX_S14_S18_S1A_T6_T7_T9_mT8_S1C_bDpT10_ENKUlT_T0_E_clISt17integral_constantIbLb0EES1P_EEDaS1K_S1L_EUlS1K_E_NS1_11comp_targetILNS1_3genE3ELNS1_11target_archE908ELNS1_3gpuE7ELNS1_3repE0EEENS1_30default_config_static_selectorELNS0_4arch9wavefront6targetE0EEEvSY_,"axG",@progbits,_ZN7rocprim17ROCPRIM_400000_NS6detail17trampoline_kernelINS0_13select_configILj256ELj13ELNS0_17block_load_methodE3ELS4_3ELS4_3ELNS0_20block_scan_algorithmE0ELj4294967295EEENS1_25partition_config_selectorILNS1_17partition_subalgoE3EjNS0_10empty_typeEbEEZZNS1_14partition_implILS8_3ELb0ES6_jNS0_17counting_iteratorIjlEEPS9_SE_NS0_5tupleIJPjSE_EEENSF_IJSE_SE_EEES9_SG_JZNS1_25segmented_radix_sort_implINS0_14default_configELb0EPKbPbPKlPlN2at6native12_GLOBAL__N_18offset_tEEE10hipError_tPvRmT1_PNSt15iterator_traitsISY_E10value_typeET2_T3_PNSZ_IS14_E10value_typeET4_jRbjT5_S1A_jjP12ihipStream_tbEUljE_EEESV_SW_SX_S14_S18_S1A_T6_T7_T9_mT8_S1C_bDpT10_ENKUlT_T0_E_clISt17integral_constantIbLb0EES1P_EEDaS1K_S1L_EUlS1K_E_NS1_11comp_targetILNS1_3genE3ELNS1_11target_archE908ELNS1_3gpuE7ELNS1_3repE0EEENS1_30default_config_static_selectorELNS0_4arch9wavefront6targetE0EEEvSY_,comdat
.Lfunc_end1597:
	.size	_ZN7rocprim17ROCPRIM_400000_NS6detail17trampoline_kernelINS0_13select_configILj256ELj13ELNS0_17block_load_methodE3ELS4_3ELS4_3ELNS0_20block_scan_algorithmE0ELj4294967295EEENS1_25partition_config_selectorILNS1_17partition_subalgoE3EjNS0_10empty_typeEbEEZZNS1_14partition_implILS8_3ELb0ES6_jNS0_17counting_iteratorIjlEEPS9_SE_NS0_5tupleIJPjSE_EEENSF_IJSE_SE_EEES9_SG_JZNS1_25segmented_radix_sort_implINS0_14default_configELb0EPKbPbPKlPlN2at6native12_GLOBAL__N_18offset_tEEE10hipError_tPvRmT1_PNSt15iterator_traitsISY_E10value_typeET2_T3_PNSZ_IS14_E10value_typeET4_jRbjT5_S1A_jjP12ihipStream_tbEUljE_EEESV_SW_SX_S14_S18_S1A_T6_T7_T9_mT8_S1C_bDpT10_ENKUlT_T0_E_clISt17integral_constantIbLb0EES1P_EEDaS1K_S1L_EUlS1K_E_NS1_11comp_targetILNS1_3genE3ELNS1_11target_archE908ELNS1_3gpuE7ELNS1_3repE0EEENS1_30default_config_static_selectorELNS0_4arch9wavefront6targetE0EEEvSY_, .Lfunc_end1597-_ZN7rocprim17ROCPRIM_400000_NS6detail17trampoline_kernelINS0_13select_configILj256ELj13ELNS0_17block_load_methodE3ELS4_3ELS4_3ELNS0_20block_scan_algorithmE0ELj4294967295EEENS1_25partition_config_selectorILNS1_17partition_subalgoE3EjNS0_10empty_typeEbEEZZNS1_14partition_implILS8_3ELb0ES6_jNS0_17counting_iteratorIjlEEPS9_SE_NS0_5tupleIJPjSE_EEENSF_IJSE_SE_EEES9_SG_JZNS1_25segmented_radix_sort_implINS0_14default_configELb0EPKbPbPKlPlN2at6native12_GLOBAL__N_18offset_tEEE10hipError_tPvRmT1_PNSt15iterator_traitsISY_E10value_typeET2_T3_PNSZ_IS14_E10value_typeET4_jRbjT5_S1A_jjP12ihipStream_tbEUljE_EEESV_SW_SX_S14_S18_S1A_T6_T7_T9_mT8_S1C_bDpT10_ENKUlT_T0_E_clISt17integral_constantIbLb0EES1P_EEDaS1K_S1L_EUlS1K_E_NS1_11comp_targetILNS1_3genE3ELNS1_11target_archE908ELNS1_3gpuE7ELNS1_3repE0EEENS1_30default_config_static_selectorELNS0_4arch9wavefront6targetE0EEEvSY_
                                        ; -- End function
	.set _ZN7rocprim17ROCPRIM_400000_NS6detail17trampoline_kernelINS0_13select_configILj256ELj13ELNS0_17block_load_methodE3ELS4_3ELS4_3ELNS0_20block_scan_algorithmE0ELj4294967295EEENS1_25partition_config_selectorILNS1_17partition_subalgoE3EjNS0_10empty_typeEbEEZZNS1_14partition_implILS8_3ELb0ES6_jNS0_17counting_iteratorIjlEEPS9_SE_NS0_5tupleIJPjSE_EEENSF_IJSE_SE_EEES9_SG_JZNS1_25segmented_radix_sort_implINS0_14default_configELb0EPKbPbPKlPlN2at6native12_GLOBAL__N_18offset_tEEE10hipError_tPvRmT1_PNSt15iterator_traitsISY_E10value_typeET2_T3_PNSZ_IS14_E10value_typeET4_jRbjT5_S1A_jjP12ihipStream_tbEUljE_EEESV_SW_SX_S14_S18_S1A_T6_T7_T9_mT8_S1C_bDpT10_ENKUlT_T0_E_clISt17integral_constantIbLb0EES1P_EEDaS1K_S1L_EUlS1K_E_NS1_11comp_targetILNS1_3genE3ELNS1_11target_archE908ELNS1_3gpuE7ELNS1_3repE0EEENS1_30default_config_static_selectorELNS0_4arch9wavefront6targetE0EEEvSY_.num_vgpr, 0
	.set _ZN7rocprim17ROCPRIM_400000_NS6detail17trampoline_kernelINS0_13select_configILj256ELj13ELNS0_17block_load_methodE3ELS4_3ELS4_3ELNS0_20block_scan_algorithmE0ELj4294967295EEENS1_25partition_config_selectorILNS1_17partition_subalgoE3EjNS0_10empty_typeEbEEZZNS1_14partition_implILS8_3ELb0ES6_jNS0_17counting_iteratorIjlEEPS9_SE_NS0_5tupleIJPjSE_EEENSF_IJSE_SE_EEES9_SG_JZNS1_25segmented_radix_sort_implINS0_14default_configELb0EPKbPbPKlPlN2at6native12_GLOBAL__N_18offset_tEEE10hipError_tPvRmT1_PNSt15iterator_traitsISY_E10value_typeET2_T3_PNSZ_IS14_E10value_typeET4_jRbjT5_S1A_jjP12ihipStream_tbEUljE_EEESV_SW_SX_S14_S18_S1A_T6_T7_T9_mT8_S1C_bDpT10_ENKUlT_T0_E_clISt17integral_constantIbLb0EES1P_EEDaS1K_S1L_EUlS1K_E_NS1_11comp_targetILNS1_3genE3ELNS1_11target_archE908ELNS1_3gpuE7ELNS1_3repE0EEENS1_30default_config_static_selectorELNS0_4arch9wavefront6targetE0EEEvSY_.num_agpr, 0
	.set _ZN7rocprim17ROCPRIM_400000_NS6detail17trampoline_kernelINS0_13select_configILj256ELj13ELNS0_17block_load_methodE3ELS4_3ELS4_3ELNS0_20block_scan_algorithmE0ELj4294967295EEENS1_25partition_config_selectorILNS1_17partition_subalgoE3EjNS0_10empty_typeEbEEZZNS1_14partition_implILS8_3ELb0ES6_jNS0_17counting_iteratorIjlEEPS9_SE_NS0_5tupleIJPjSE_EEENSF_IJSE_SE_EEES9_SG_JZNS1_25segmented_radix_sort_implINS0_14default_configELb0EPKbPbPKlPlN2at6native12_GLOBAL__N_18offset_tEEE10hipError_tPvRmT1_PNSt15iterator_traitsISY_E10value_typeET2_T3_PNSZ_IS14_E10value_typeET4_jRbjT5_S1A_jjP12ihipStream_tbEUljE_EEESV_SW_SX_S14_S18_S1A_T6_T7_T9_mT8_S1C_bDpT10_ENKUlT_T0_E_clISt17integral_constantIbLb0EES1P_EEDaS1K_S1L_EUlS1K_E_NS1_11comp_targetILNS1_3genE3ELNS1_11target_archE908ELNS1_3gpuE7ELNS1_3repE0EEENS1_30default_config_static_selectorELNS0_4arch9wavefront6targetE0EEEvSY_.numbered_sgpr, 0
	.set _ZN7rocprim17ROCPRIM_400000_NS6detail17trampoline_kernelINS0_13select_configILj256ELj13ELNS0_17block_load_methodE3ELS4_3ELS4_3ELNS0_20block_scan_algorithmE0ELj4294967295EEENS1_25partition_config_selectorILNS1_17partition_subalgoE3EjNS0_10empty_typeEbEEZZNS1_14partition_implILS8_3ELb0ES6_jNS0_17counting_iteratorIjlEEPS9_SE_NS0_5tupleIJPjSE_EEENSF_IJSE_SE_EEES9_SG_JZNS1_25segmented_radix_sort_implINS0_14default_configELb0EPKbPbPKlPlN2at6native12_GLOBAL__N_18offset_tEEE10hipError_tPvRmT1_PNSt15iterator_traitsISY_E10value_typeET2_T3_PNSZ_IS14_E10value_typeET4_jRbjT5_S1A_jjP12ihipStream_tbEUljE_EEESV_SW_SX_S14_S18_S1A_T6_T7_T9_mT8_S1C_bDpT10_ENKUlT_T0_E_clISt17integral_constantIbLb0EES1P_EEDaS1K_S1L_EUlS1K_E_NS1_11comp_targetILNS1_3genE3ELNS1_11target_archE908ELNS1_3gpuE7ELNS1_3repE0EEENS1_30default_config_static_selectorELNS0_4arch9wavefront6targetE0EEEvSY_.num_named_barrier, 0
	.set _ZN7rocprim17ROCPRIM_400000_NS6detail17trampoline_kernelINS0_13select_configILj256ELj13ELNS0_17block_load_methodE3ELS4_3ELS4_3ELNS0_20block_scan_algorithmE0ELj4294967295EEENS1_25partition_config_selectorILNS1_17partition_subalgoE3EjNS0_10empty_typeEbEEZZNS1_14partition_implILS8_3ELb0ES6_jNS0_17counting_iteratorIjlEEPS9_SE_NS0_5tupleIJPjSE_EEENSF_IJSE_SE_EEES9_SG_JZNS1_25segmented_radix_sort_implINS0_14default_configELb0EPKbPbPKlPlN2at6native12_GLOBAL__N_18offset_tEEE10hipError_tPvRmT1_PNSt15iterator_traitsISY_E10value_typeET2_T3_PNSZ_IS14_E10value_typeET4_jRbjT5_S1A_jjP12ihipStream_tbEUljE_EEESV_SW_SX_S14_S18_S1A_T6_T7_T9_mT8_S1C_bDpT10_ENKUlT_T0_E_clISt17integral_constantIbLb0EES1P_EEDaS1K_S1L_EUlS1K_E_NS1_11comp_targetILNS1_3genE3ELNS1_11target_archE908ELNS1_3gpuE7ELNS1_3repE0EEENS1_30default_config_static_selectorELNS0_4arch9wavefront6targetE0EEEvSY_.private_seg_size, 0
	.set _ZN7rocprim17ROCPRIM_400000_NS6detail17trampoline_kernelINS0_13select_configILj256ELj13ELNS0_17block_load_methodE3ELS4_3ELS4_3ELNS0_20block_scan_algorithmE0ELj4294967295EEENS1_25partition_config_selectorILNS1_17partition_subalgoE3EjNS0_10empty_typeEbEEZZNS1_14partition_implILS8_3ELb0ES6_jNS0_17counting_iteratorIjlEEPS9_SE_NS0_5tupleIJPjSE_EEENSF_IJSE_SE_EEES9_SG_JZNS1_25segmented_radix_sort_implINS0_14default_configELb0EPKbPbPKlPlN2at6native12_GLOBAL__N_18offset_tEEE10hipError_tPvRmT1_PNSt15iterator_traitsISY_E10value_typeET2_T3_PNSZ_IS14_E10value_typeET4_jRbjT5_S1A_jjP12ihipStream_tbEUljE_EEESV_SW_SX_S14_S18_S1A_T6_T7_T9_mT8_S1C_bDpT10_ENKUlT_T0_E_clISt17integral_constantIbLb0EES1P_EEDaS1K_S1L_EUlS1K_E_NS1_11comp_targetILNS1_3genE3ELNS1_11target_archE908ELNS1_3gpuE7ELNS1_3repE0EEENS1_30default_config_static_selectorELNS0_4arch9wavefront6targetE0EEEvSY_.uses_vcc, 0
	.set _ZN7rocprim17ROCPRIM_400000_NS6detail17trampoline_kernelINS0_13select_configILj256ELj13ELNS0_17block_load_methodE3ELS4_3ELS4_3ELNS0_20block_scan_algorithmE0ELj4294967295EEENS1_25partition_config_selectorILNS1_17partition_subalgoE3EjNS0_10empty_typeEbEEZZNS1_14partition_implILS8_3ELb0ES6_jNS0_17counting_iteratorIjlEEPS9_SE_NS0_5tupleIJPjSE_EEENSF_IJSE_SE_EEES9_SG_JZNS1_25segmented_radix_sort_implINS0_14default_configELb0EPKbPbPKlPlN2at6native12_GLOBAL__N_18offset_tEEE10hipError_tPvRmT1_PNSt15iterator_traitsISY_E10value_typeET2_T3_PNSZ_IS14_E10value_typeET4_jRbjT5_S1A_jjP12ihipStream_tbEUljE_EEESV_SW_SX_S14_S18_S1A_T6_T7_T9_mT8_S1C_bDpT10_ENKUlT_T0_E_clISt17integral_constantIbLb0EES1P_EEDaS1K_S1L_EUlS1K_E_NS1_11comp_targetILNS1_3genE3ELNS1_11target_archE908ELNS1_3gpuE7ELNS1_3repE0EEENS1_30default_config_static_selectorELNS0_4arch9wavefront6targetE0EEEvSY_.uses_flat_scratch, 0
	.set _ZN7rocprim17ROCPRIM_400000_NS6detail17trampoline_kernelINS0_13select_configILj256ELj13ELNS0_17block_load_methodE3ELS4_3ELS4_3ELNS0_20block_scan_algorithmE0ELj4294967295EEENS1_25partition_config_selectorILNS1_17partition_subalgoE3EjNS0_10empty_typeEbEEZZNS1_14partition_implILS8_3ELb0ES6_jNS0_17counting_iteratorIjlEEPS9_SE_NS0_5tupleIJPjSE_EEENSF_IJSE_SE_EEES9_SG_JZNS1_25segmented_radix_sort_implINS0_14default_configELb0EPKbPbPKlPlN2at6native12_GLOBAL__N_18offset_tEEE10hipError_tPvRmT1_PNSt15iterator_traitsISY_E10value_typeET2_T3_PNSZ_IS14_E10value_typeET4_jRbjT5_S1A_jjP12ihipStream_tbEUljE_EEESV_SW_SX_S14_S18_S1A_T6_T7_T9_mT8_S1C_bDpT10_ENKUlT_T0_E_clISt17integral_constantIbLb0EES1P_EEDaS1K_S1L_EUlS1K_E_NS1_11comp_targetILNS1_3genE3ELNS1_11target_archE908ELNS1_3gpuE7ELNS1_3repE0EEENS1_30default_config_static_selectorELNS0_4arch9wavefront6targetE0EEEvSY_.has_dyn_sized_stack, 0
	.set _ZN7rocprim17ROCPRIM_400000_NS6detail17trampoline_kernelINS0_13select_configILj256ELj13ELNS0_17block_load_methodE3ELS4_3ELS4_3ELNS0_20block_scan_algorithmE0ELj4294967295EEENS1_25partition_config_selectorILNS1_17partition_subalgoE3EjNS0_10empty_typeEbEEZZNS1_14partition_implILS8_3ELb0ES6_jNS0_17counting_iteratorIjlEEPS9_SE_NS0_5tupleIJPjSE_EEENSF_IJSE_SE_EEES9_SG_JZNS1_25segmented_radix_sort_implINS0_14default_configELb0EPKbPbPKlPlN2at6native12_GLOBAL__N_18offset_tEEE10hipError_tPvRmT1_PNSt15iterator_traitsISY_E10value_typeET2_T3_PNSZ_IS14_E10value_typeET4_jRbjT5_S1A_jjP12ihipStream_tbEUljE_EEESV_SW_SX_S14_S18_S1A_T6_T7_T9_mT8_S1C_bDpT10_ENKUlT_T0_E_clISt17integral_constantIbLb0EES1P_EEDaS1K_S1L_EUlS1K_E_NS1_11comp_targetILNS1_3genE3ELNS1_11target_archE908ELNS1_3gpuE7ELNS1_3repE0EEENS1_30default_config_static_selectorELNS0_4arch9wavefront6targetE0EEEvSY_.has_recursion, 0
	.set _ZN7rocprim17ROCPRIM_400000_NS6detail17trampoline_kernelINS0_13select_configILj256ELj13ELNS0_17block_load_methodE3ELS4_3ELS4_3ELNS0_20block_scan_algorithmE0ELj4294967295EEENS1_25partition_config_selectorILNS1_17partition_subalgoE3EjNS0_10empty_typeEbEEZZNS1_14partition_implILS8_3ELb0ES6_jNS0_17counting_iteratorIjlEEPS9_SE_NS0_5tupleIJPjSE_EEENSF_IJSE_SE_EEES9_SG_JZNS1_25segmented_radix_sort_implINS0_14default_configELb0EPKbPbPKlPlN2at6native12_GLOBAL__N_18offset_tEEE10hipError_tPvRmT1_PNSt15iterator_traitsISY_E10value_typeET2_T3_PNSZ_IS14_E10value_typeET4_jRbjT5_S1A_jjP12ihipStream_tbEUljE_EEESV_SW_SX_S14_S18_S1A_T6_T7_T9_mT8_S1C_bDpT10_ENKUlT_T0_E_clISt17integral_constantIbLb0EES1P_EEDaS1K_S1L_EUlS1K_E_NS1_11comp_targetILNS1_3genE3ELNS1_11target_archE908ELNS1_3gpuE7ELNS1_3repE0EEENS1_30default_config_static_selectorELNS0_4arch9wavefront6targetE0EEEvSY_.has_indirect_call, 0
	.section	.AMDGPU.csdata,"",@progbits
; Kernel info:
; codeLenInByte = 0
; TotalNumSgprs: 0
; NumVgprs: 0
; ScratchSize: 0
; MemoryBound: 0
; FloatMode: 240
; IeeeMode: 1
; LDSByteSize: 0 bytes/workgroup (compile time only)
; SGPRBlocks: 0
; VGPRBlocks: 0
; NumSGPRsForWavesPerEU: 1
; NumVGPRsForWavesPerEU: 1
; Occupancy: 16
; WaveLimiterHint : 0
; COMPUTE_PGM_RSRC2:SCRATCH_EN: 0
; COMPUTE_PGM_RSRC2:USER_SGPR: 6
; COMPUTE_PGM_RSRC2:TRAP_HANDLER: 0
; COMPUTE_PGM_RSRC2:TGID_X_EN: 1
; COMPUTE_PGM_RSRC2:TGID_Y_EN: 0
; COMPUTE_PGM_RSRC2:TGID_Z_EN: 0
; COMPUTE_PGM_RSRC2:TIDIG_COMP_CNT: 0
	.section	.text._ZN7rocprim17ROCPRIM_400000_NS6detail17trampoline_kernelINS0_13select_configILj256ELj13ELNS0_17block_load_methodE3ELS4_3ELS4_3ELNS0_20block_scan_algorithmE0ELj4294967295EEENS1_25partition_config_selectorILNS1_17partition_subalgoE3EjNS0_10empty_typeEbEEZZNS1_14partition_implILS8_3ELb0ES6_jNS0_17counting_iteratorIjlEEPS9_SE_NS0_5tupleIJPjSE_EEENSF_IJSE_SE_EEES9_SG_JZNS1_25segmented_radix_sort_implINS0_14default_configELb0EPKbPbPKlPlN2at6native12_GLOBAL__N_18offset_tEEE10hipError_tPvRmT1_PNSt15iterator_traitsISY_E10value_typeET2_T3_PNSZ_IS14_E10value_typeET4_jRbjT5_S1A_jjP12ihipStream_tbEUljE_EEESV_SW_SX_S14_S18_S1A_T6_T7_T9_mT8_S1C_bDpT10_ENKUlT_T0_E_clISt17integral_constantIbLb0EES1P_EEDaS1K_S1L_EUlS1K_E_NS1_11comp_targetILNS1_3genE2ELNS1_11target_archE906ELNS1_3gpuE6ELNS1_3repE0EEENS1_30default_config_static_selectorELNS0_4arch9wavefront6targetE0EEEvSY_,"axG",@progbits,_ZN7rocprim17ROCPRIM_400000_NS6detail17trampoline_kernelINS0_13select_configILj256ELj13ELNS0_17block_load_methodE3ELS4_3ELS4_3ELNS0_20block_scan_algorithmE0ELj4294967295EEENS1_25partition_config_selectorILNS1_17partition_subalgoE3EjNS0_10empty_typeEbEEZZNS1_14partition_implILS8_3ELb0ES6_jNS0_17counting_iteratorIjlEEPS9_SE_NS0_5tupleIJPjSE_EEENSF_IJSE_SE_EEES9_SG_JZNS1_25segmented_radix_sort_implINS0_14default_configELb0EPKbPbPKlPlN2at6native12_GLOBAL__N_18offset_tEEE10hipError_tPvRmT1_PNSt15iterator_traitsISY_E10value_typeET2_T3_PNSZ_IS14_E10value_typeET4_jRbjT5_S1A_jjP12ihipStream_tbEUljE_EEESV_SW_SX_S14_S18_S1A_T6_T7_T9_mT8_S1C_bDpT10_ENKUlT_T0_E_clISt17integral_constantIbLb0EES1P_EEDaS1K_S1L_EUlS1K_E_NS1_11comp_targetILNS1_3genE2ELNS1_11target_archE906ELNS1_3gpuE6ELNS1_3repE0EEENS1_30default_config_static_selectorELNS0_4arch9wavefront6targetE0EEEvSY_,comdat
	.globl	_ZN7rocprim17ROCPRIM_400000_NS6detail17trampoline_kernelINS0_13select_configILj256ELj13ELNS0_17block_load_methodE3ELS4_3ELS4_3ELNS0_20block_scan_algorithmE0ELj4294967295EEENS1_25partition_config_selectorILNS1_17partition_subalgoE3EjNS0_10empty_typeEbEEZZNS1_14partition_implILS8_3ELb0ES6_jNS0_17counting_iteratorIjlEEPS9_SE_NS0_5tupleIJPjSE_EEENSF_IJSE_SE_EEES9_SG_JZNS1_25segmented_radix_sort_implINS0_14default_configELb0EPKbPbPKlPlN2at6native12_GLOBAL__N_18offset_tEEE10hipError_tPvRmT1_PNSt15iterator_traitsISY_E10value_typeET2_T3_PNSZ_IS14_E10value_typeET4_jRbjT5_S1A_jjP12ihipStream_tbEUljE_EEESV_SW_SX_S14_S18_S1A_T6_T7_T9_mT8_S1C_bDpT10_ENKUlT_T0_E_clISt17integral_constantIbLb0EES1P_EEDaS1K_S1L_EUlS1K_E_NS1_11comp_targetILNS1_3genE2ELNS1_11target_archE906ELNS1_3gpuE6ELNS1_3repE0EEENS1_30default_config_static_selectorELNS0_4arch9wavefront6targetE0EEEvSY_ ; -- Begin function _ZN7rocprim17ROCPRIM_400000_NS6detail17trampoline_kernelINS0_13select_configILj256ELj13ELNS0_17block_load_methodE3ELS4_3ELS4_3ELNS0_20block_scan_algorithmE0ELj4294967295EEENS1_25partition_config_selectorILNS1_17partition_subalgoE3EjNS0_10empty_typeEbEEZZNS1_14partition_implILS8_3ELb0ES6_jNS0_17counting_iteratorIjlEEPS9_SE_NS0_5tupleIJPjSE_EEENSF_IJSE_SE_EEES9_SG_JZNS1_25segmented_radix_sort_implINS0_14default_configELb0EPKbPbPKlPlN2at6native12_GLOBAL__N_18offset_tEEE10hipError_tPvRmT1_PNSt15iterator_traitsISY_E10value_typeET2_T3_PNSZ_IS14_E10value_typeET4_jRbjT5_S1A_jjP12ihipStream_tbEUljE_EEESV_SW_SX_S14_S18_S1A_T6_T7_T9_mT8_S1C_bDpT10_ENKUlT_T0_E_clISt17integral_constantIbLb0EES1P_EEDaS1K_S1L_EUlS1K_E_NS1_11comp_targetILNS1_3genE2ELNS1_11target_archE906ELNS1_3gpuE6ELNS1_3repE0EEENS1_30default_config_static_selectorELNS0_4arch9wavefront6targetE0EEEvSY_
	.p2align	8
	.type	_ZN7rocprim17ROCPRIM_400000_NS6detail17trampoline_kernelINS0_13select_configILj256ELj13ELNS0_17block_load_methodE3ELS4_3ELS4_3ELNS0_20block_scan_algorithmE0ELj4294967295EEENS1_25partition_config_selectorILNS1_17partition_subalgoE3EjNS0_10empty_typeEbEEZZNS1_14partition_implILS8_3ELb0ES6_jNS0_17counting_iteratorIjlEEPS9_SE_NS0_5tupleIJPjSE_EEENSF_IJSE_SE_EEES9_SG_JZNS1_25segmented_radix_sort_implINS0_14default_configELb0EPKbPbPKlPlN2at6native12_GLOBAL__N_18offset_tEEE10hipError_tPvRmT1_PNSt15iterator_traitsISY_E10value_typeET2_T3_PNSZ_IS14_E10value_typeET4_jRbjT5_S1A_jjP12ihipStream_tbEUljE_EEESV_SW_SX_S14_S18_S1A_T6_T7_T9_mT8_S1C_bDpT10_ENKUlT_T0_E_clISt17integral_constantIbLb0EES1P_EEDaS1K_S1L_EUlS1K_E_NS1_11comp_targetILNS1_3genE2ELNS1_11target_archE906ELNS1_3gpuE6ELNS1_3repE0EEENS1_30default_config_static_selectorELNS0_4arch9wavefront6targetE0EEEvSY_,@function
_ZN7rocprim17ROCPRIM_400000_NS6detail17trampoline_kernelINS0_13select_configILj256ELj13ELNS0_17block_load_methodE3ELS4_3ELS4_3ELNS0_20block_scan_algorithmE0ELj4294967295EEENS1_25partition_config_selectorILNS1_17partition_subalgoE3EjNS0_10empty_typeEbEEZZNS1_14partition_implILS8_3ELb0ES6_jNS0_17counting_iteratorIjlEEPS9_SE_NS0_5tupleIJPjSE_EEENSF_IJSE_SE_EEES9_SG_JZNS1_25segmented_radix_sort_implINS0_14default_configELb0EPKbPbPKlPlN2at6native12_GLOBAL__N_18offset_tEEE10hipError_tPvRmT1_PNSt15iterator_traitsISY_E10value_typeET2_T3_PNSZ_IS14_E10value_typeET4_jRbjT5_S1A_jjP12ihipStream_tbEUljE_EEESV_SW_SX_S14_S18_S1A_T6_T7_T9_mT8_S1C_bDpT10_ENKUlT_T0_E_clISt17integral_constantIbLb0EES1P_EEDaS1K_S1L_EUlS1K_E_NS1_11comp_targetILNS1_3genE2ELNS1_11target_archE906ELNS1_3gpuE6ELNS1_3repE0EEENS1_30default_config_static_selectorELNS0_4arch9wavefront6targetE0EEEvSY_: ; @_ZN7rocprim17ROCPRIM_400000_NS6detail17trampoline_kernelINS0_13select_configILj256ELj13ELNS0_17block_load_methodE3ELS4_3ELS4_3ELNS0_20block_scan_algorithmE0ELj4294967295EEENS1_25partition_config_selectorILNS1_17partition_subalgoE3EjNS0_10empty_typeEbEEZZNS1_14partition_implILS8_3ELb0ES6_jNS0_17counting_iteratorIjlEEPS9_SE_NS0_5tupleIJPjSE_EEENSF_IJSE_SE_EEES9_SG_JZNS1_25segmented_radix_sort_implINS0_14default_configELb0EPKbPbPKlPlN2at6native12_GLOBAL__N_18offset_tEEE10hipError_tPvRmT1_PNSt15iterator_traitsISY_E10value_typeET2_T3_PNSZ_IS14_E10value_typeET4_jRbjT5_S1A_jjP12ihipStream_tbEUljE_EEESV_SW_SX_S14_S18_S1A_T6_T7_T9_mT8_S1C_bDpT10_ENKUlT_T0_E_clISt17integral_constantIbLb0EES1P_EEDaS1K_S1L_EUlS1K_E_NS1_11comp_targetILNS1_3genE2ELNS1_11target_archE906ELNS1_3gpuE6ELNS1_3repE0EEENS1_30default_config_static_selectorELNS0_4arch9wavefront6targetE0EEEvSY_
; %bb.0:
	.section	.rodata,"a",@progbits
	.p2align	6, 0x0
	.amdhsa_kernel _ZN7rocprim17ROCPRIM_400000_NS6detail17trampoline_kernelINS0_13select_configILj256ELj13ELNS0_17block_load_methodE3ELS4_3ELS4_3ELNS0_20block_scan_algorithmE0ELj4294967295EEENS1_25partition_config_selectorILNS1_17partition_subalgoE3EjNS0_10empty_typeEbEEZZNS1_14partition_implILS8_3ELb0ES6_jNS0_17counting_iteratorIjlEEPS9_SE_NS0_5tupleIJPjSE_EEENSF_IJSE_SE_EEES9_SG_JZNS1_25segmented_radix_sort_implINS0_14default_configELb0EPKbPbPKlPlN2at6native12_GLOBAL__N_18offset_tEEE10hipError_tPvRmT1_PNSt15iterator_traitsISY_E10value_typeET2_T3_PNSZ_IS14_E10value_typeET4_jRbjT5_S1A_jjP12ihipStream_tbEUljE_EEESV_SW_SX_S14_S18_S1A_T6_T7_T9_mT8_S1C_bDpT10_ENKUlT_T0_E_clISt17integral_constantIbLb0EES1P_EEDaS1K_S1L_EUlS1K_E_NS1_11comp_targetILNS1_3genE2ELNS1_11target_archE906ELNS1_3gpuE6ELNS1_3repE0EEENS1_30default_config_static_selectorELNS0_4arch9wavefront6targetE0EEEvSY_
		.amdhsa_group_segment_fixed_size 0
		.amdhsa_private_segment_fixed_size 0
		.amdhsa_kernarg_size 144
		.amdhsa_user_sgpr_count 6
		.amdhsa_user_sgpr_private_segment_buffer 1
		.amdhsa_user_sgpr_dispatch_ptr 0
		.amdhsa_user_sgpr_queue_ptr 0
		.amdhsa_user_sgpr_kernarg_segment_ptr 1
		.amdhsa_user_sgpr_dispatch_id 0
		.amdhsa_user_sgpr_flat_scratch_init 0
		.amdhsa_user_sgpr_private_segment_size 0
		.amdhsa_wavefront_size32 1
		.amdhsa_uses_dynamic_stack 0
		.amdhsa_system_sgpr_private_segment_wavefront_offset 0
		.amdhsa_system_sgpr_workgroup_id_x 1
		.amdhsa_system_sgpr_workgroup_id_y 0
		.amdhsa_system_sgpr_workgroup_id_z 0
		.amdhsa_system_sgpr_workgroup_info 0
		.amdhsa_system_vgpr_workitem_id 0
		.amdhsa_next_free_vgpr 1
		.amdhsa_next_free_sgpr 1
		.amdhsa_reserve_vcc 0
		.amdhsa_reserve_flat_scratch 0
		.amdhsa_float_round_mode_32 0
		.amdhsa_float_round_mode_16_64 0
		.amdhsa_float_denorm_mode_32 3
		.amdhsa_float_denorm_mode_16_64 3
		.amdhsa_dx10_clamp 1
		.amdhsa_ieee_mode 1
		.amdhsa_fp16_overflow 0
		.amdhsa_workgroup_processor_mode 1
		.amdhsa_memory_ordered 1
		.amdhsa_forward_progress 1
		.amdhsa_shared_vgpr_count 0
		.amdhsa_exception_fp_ieee_invalid_op 0
		.amdhsa_exception_fp_denorm_src 0
		.amdhsa_exception_fp_ieee_div_zero 0
		.amdhsa_exception_fp_ieee_overflow 0
		.amdhsa_exception_fp_ieee_underflow 0
		.amdhsa_exception_fp_ieee_inexact 0
		.amdhsa_exception_int_div_zero 0
	.end_amdhsa_kernel
	.section	.text._ZN7rocprim17ROCPRIM_400000_NS6detail17trampoline_kernelINS0_13select_configILj256ELj13ELNS0_17block_load_methodE3ELS4_3ELS4_3ELNS0_20block_scan_algorithmE0ELj4294967295EEENS1_25partition_config_selectorILNS1_17partition_subalgoE3EjNS0_10empty_typeEbEEZZNS1_14partition_implILS8_3ELb0ES6_jNS0_17counting_iteratorIjlEEPS9_SE_NS0_5tupleIJPjSE_EEENSF_IJSE_SE_EEES9_SG_JZNS1_25segmented_radix_sort_implINS0_14default_configELb0EPKbPbPKlPlN2at6native12_GLOBAL__N_18offset_tEEE10hipError_tPvRmT1_PNSt15iterator_traitsISY_E10value_typeET2_T3_PNSZ_IS14_E10value_typeET4_jRbjT5_S1A_jjP12ihipStream_tbEUljE_EEESV_SW_SX_S14_S18_S1A_T6_T7_T9_mT8_S1C_bDpT10_ENKUlT_T0_E_clISt17integral_constantIbLb0EES1P_EEDaS1K_S1L_EUlS1K_E_NS1_11comp_targetILNS1_3genE2ELNS1_11target_archE906ELNS1_3gpuE6ELNS1_3repE0EEENS1_30default_config_static_selectorELNS0_4arch9wavefront6targetE0EEEvSY_,"axG",@progbits,_ZN7rocprim17ROCPRIM_400000_NS6detail17trampoline_kernelINS0_13select_configILj256ELj13ELNS0_17block_load_methodE3ELS4_3ELS4_3ELNS0_20block_scan_algorithmE0ELj4294967295EEENS1_25partition_config_selectorILNS1_17partition_subalgoE3EjNS0_10empty_typeEbEEZZNS1_14partition_implILS8_3ELb0ES6_jNS0_17counting_iteratorIjlEEPS9_SE_NS0_5tupleIJPjSE_EEENSF_IJSE_SE_EEES9_SG_JZNS1_25segmented_radix_sort_implINS0_14default_configELb0EPKbPbPKlPlN2at6native12_GLOBAL__N_18offset_tEEE10hipError_tPvRmT1_PNSt15iterator_traitsISY_E10value_typeET2_T3_PNSZ_IS14_E10value_typeET4_jRbjT5_S1A_jjP12ihipStream_tbEUljE_EEESV_SW_SX_S14_S18_S1A_T6_T7_T9_mT8_S1C_bDpT10_ENKUlT_T0_E_clISt17integral_constantIbLb0EES1P_EEDaS1K_S1L_EUlS1K_E_NS1_11comp_targetILNS1_3genE2ELNS1_11target_archE906ELNS1_3gpuE6ELNS1_3repE0EEENS1_30default_config_static_selectorELNS0_4arch9wavefront6targetE0EEEvSY_,comdat
.Lfunc_end1598:
	.size	_ZN7rocprim17ROCPRIM_400000_NS6detail17trampoline_kernelINS0_13select_configILj256ELj13ELNS0_17block_load_methodE3ELS4_3ELS4_3ELNS0_20block_scan_algorithmE0ELj4294967295EEENS1_25partition_config_selectorILNS1_17partition_subalgoE3EjNS0_10empty_typeEbEEZZNS1_14partition_implILS8_3ELb0ES6_jNS0_17counting_iteratorIjlEEPS9_SE_NS0_5tupleIJPjSE_EEENSF_IJSE_SE_EEES9_SG_JZNS1_25segmented_radix_sort_implINS0_14default_configELb0EPKbPbPKlPlN2at6native12_GLOBAL__N_18offset_tEEE10hipError_tPvRmT1_PNSt15iterator_traitsISY_E10value_typeET2_T3_PNSZ_IS14_E10value_typeET4_jRbjT5_S1A_jjP12ihipStream_tbEUljE_EEESV_SW_SX_S14_S18_S1A_T6_T7_T9_mT8_S1C_bDpT10_ENKUlT_T0_E_clISt17integral_constantIbLb0EES1P_EEDaS1K_S1L_EUlS1K_E_NS1_11comp_targetILNS1_3genE2ELNS1_11target_archE906ELNS1_3gpuE6ELNS1_3repE0EEENS1_30default_config_static_selectorELNS0_4arch9wavefront6targetE0EEEvSY_, .Lfunc_end1598-_ZN7rocprim17ROCPRIM_400000_NS6detail17trampoline_kernelINS0_13select_configILj256ELj13ELNS0_17block_load_methodE3ELS4_3ELS4_3ELNS0_20block_scan_algorithmE0ELj4294967295EEENS1_25partition_config_selectorILNS1_17partition_subalgoE3EjNS0_10empty_typeEbEEZZNS1_14partition_implILS8_3ELb0ES6_jNS0_17counting_iteratorIjlEEPS9_SE_NS0_5tupleIJPjSE_EEENSF_IJSE_SE_EEES9_SG_JZNS1_25segmented_radix_sort_implINS0_14default_configELb0EPKbPbPKlPlN2at6native12_GLOBAL__N_18offset_tEEE10hipError_tPvRmT1_PNSt15iterator_traitsISY_E10value_typeET2_T3_PNSZ_IS14_E10value_typeET4_jRbjT5_S1A_jjP12ihipStream_tbEUljE_EEESV_SW_SX_S14_S18_S1A_T6_T7_T9_mT8_S1C_bDpT10_ENKUlT_T0_E_clISt17integral_constantIbLb0EES1P_EEDaS1K_S1L_EUlS1K_E_NS1_11comp_targetILNS1_3genE2ELNS1_11target_archE906ELNS1_3gpuE6ELNS1_3repE0EEENS1_30default_config_static_selectorELNS0_4arch9wavefront6targetE0EEEvSY_
                                        ; -- End function
	.set _ZN7rocprim17ROCPRIM_400000_NS6detail17trampoline_kernelINS0_13select_configILj256ELj13ELNS0_17block_load_methodE3ELS4_3ELS4_3ELNS0_20block_scan_algorithmE0ELj4294967295EEENS1_25partition_config_selectorILNS1_17partition_subalgoE3EjNS0_10empty_typeEbEEZZNS1_14partition_implILS8_3ELb0ES6_jNS0_17counting_iteratorIjlEEPS9_SE_NS0_5tupleIJPjSE_EEENSF_IJSE_SE_EEES9_SG_JZNS1_25segmented_radix_sort_implINS0_14default_configELb0EPKbPbPKlPlN2at6native12_GLOBAL__N_18offset_tEEE10hipError_tPvRmT1_PNSt15iterator_traitsISY_E10value_typeET2_T3_PNSZ_IS14_E10value_typeET4_jRbjT5_S1A_jjP12ihipStream_tbEUljE_EEESV_SW_SX_S14_S18_S1A_T6_T7_T9_mT8_S1C_bDpT10_ENKUlT_T0_E_clISt17integral_constantIbLb0EES1P_EEDaS1K_S1L_EUlS1K_E_NS1_11comp_targetILNS1_3genE2ELNS1_11target_archE906ELNS1_3gpuE6ELNS1_3repE0EEENS1_30default_config_static_selectorELNS0_4arch9wavefront6targetE0EEEvSY_.num_vgpr, 0
	.set _ZN7rocprim17ROCPRIM_400000_NS6detail17trampoline_kernelINS0_13select_configILj256ELj13ELNS0_17block_load_methodE3ELS4_3ELS4_3ELNS0_20block_scan_algorithmE0ELj4294967295EEENS1_25partition_config_selectorILNS1_17partition_subalgoE3EjNS0_10empty_typeEbEEZZNS1_14partition_implILS8_3ELb0ES6_jNS0_17counting_iteratorIjlEEPS9_SE_NS0_5tupleIJPjSE_EEENSF_IJSE_SE_EEES9_SG_JZNS1_25segmented_radix_sort_implINS0_14default_configELb0EPKbPbPKlPlN2at6native12_GLOBAL__N_18offset_tEEE10hipError_tPvRmT1_PNSt15iterator_traitsISY_E10value_typeET2_T3_PNSZ_IS14_E10value_typeET4_jRbjT5_S1A_jjP12ihipStream_tbEUljE_EEESV_SW_SX_S14_S18_S1A_T6_T7_T9_mT8_S1C_bDpT10_ENKUlT_T0_E_clISt17integral_constantIbLb0EES1P_EEDaS1K_S1L_EUlS1K_E_NS1_11comp_targetILNS1_3genE2ELNS1_11target_archE906ELNS1_3gpuE6ELNS1_3repE0EEENS1_30default_config_static_selectorELNS0_4arch9wavefront6targetE0EEEvSY_.num_agpr, 0
	.set _ZN7rocprim17ROCPRIM_400000_NS6detail17trampoline_kernelINS0_13select_configILj256ELj13ELNS0_17block_load_methodE3ELS4_3ELS4_3ELNS0_20block_scan_algorithmE0ELj4294967295EEENS1_25partition_config_selectorILNS1_17partition_subalgoE3EjNS0_10empty_typeEbEEZZNS1_14partition_implILS8_3ELb0ES6_jNS0_17counting_iteratorIjlEEPS9_SE_NS0_5tupleIJPjSE_EEENSF_IJSE_SE_EEES9_SG_JZNS1_25segmented_radix_sort_implINS0_14default_configELb0EPKbPbPKlPlN2at6native12_GLOBAL__N_18offset_tEEE10hipError_tPvRmT1_PNSt15iterator_traitsISY_E10value_typeET2_T3_PNSZ_IS14_E10value_typeET4_jRbjT5_S1A_jjP12ihipStream_tbEUljE_EEESV_SW_SX_S14_S18_S1A_T6_T7_T9_mT8_S1C_bDpT10_ENKUlT_T0_E_clISt17integral_constantIbLb0EES1P_EEDaS1K_S1L_EUlS1K_E_NS1_11comp_targetILNS1_3genE2ELNS1_11target_archE906ELNS1_3gpuE6ELNS1_3repE0EEENS1_30default_config_static_selectorELNS0_4arch9wavefront6targetE0EEEvSY_.numbered_sgpr, 0
	.set _ZN7rocprim17ROCPRIM_400000_NS6detail17trampoline_kernelINS0_13select_configILj256ELj13ELNS0_17block_load_methodE3ELS4_3ELS4_3ELNS0_20block_scan_algorithmE0ELj4294967295EEENS1_25partition_config_selectorILNS1_17partition_subalgoE3EjNS0_10empty_typeEbEEZZNS1_14partition_implILS8_3ELb0ES6_jNS0_17counting_iteratorIjlEEPS9_SE_NS0_5tupleIJPjSE_EEENSF_IJSE_SE_EEES9_SG_JZNS1_25segmented_radix_sort_implINS0_14default_configELb0EPKbPbPKlPlN2at6native12_GLOBAL__N_18offset_tEEE10hipError_tPvRmT1_PNSt15iterator_traitsISY_E10value_typeET2_T3_PNSZ_IS14_E10value_typeET4_jRbjT5_S1A_jjP12ihipStream_tbEUljE_EEESV_SW_SX_S14_S18_S1A_T6_T7_T9_mT8_S1C_bDpT10_ENKUlT_T0_E_clISt17integral_constantIbLb0EES1P_EEDaS1K_S1L_EUlS1K_E_NS1_11comp_targetILNS1_3genE2ELNS1_11target_archE906ELNS1_3gpuE6ELNS1_3repE0EEENS1_30default_config_static_selectorELNS0_4arch9wavefront6targetE0EEEvSY_.num_named_barrier, 0
	.set _ZN7rocprim17ROCPRIM_400000_NS6detail17trampoline_kernelINS0_13select_configILj256ELj13ELNS0_17block_load_methodE3ELS4_3ELS4_3ELNS0_20block_scan_algorithmE0ELj4294967295EEENS1_25partition_config_selectorILNS1_17partition_subalgoE3EjNS0_10empty_typeEbEEZZNS1_14partition_implILS8_3ELb0ES6_jNS0_17counting_iteratorIjlEEPS9_SE_NS0_5tupleIJPjSE_EEENSF_IJSE_SE_EEES9_SG_JZNS1_25segmented_radix_sort_implINS0_14default_configELb0EPKbPbPKlPlN2at6native12_GLOBAL__N_18offset_tEEE10hipError_tPvRmT1_PNSt15iterator_traitsISY_E10value_typeET2_T3_PNSZ_IS14_E10value_typeET4_jRbjT5_S1A_jjP12ihipStream_tbEUljE_EEESV_SW_SX_S14_S18_S1A_T6_T7_T9_mT8_S1C_bDpT10_ENKUlT_T0_E_clISt17integral_constantIbLb0EES1P_EEDaS1K_S1L_EUlS1K_E_NS1_11comp_targetILNS1_3genE2ELNS1_11target_archE906ELNS1_3gpuE6ELNS1_3repE0EEENS1_30default_config_static_selectorELNS0_4arch9wavefront6targetE0EEEvSY_.private_seg_size, 0
	.set _ZN7rocprim17ROCPRIM_400000_NS6detail17trampoline_kernelINS0_13select_configILj256ELj13ELNS0_17block_load_methodE3ELS4_3ELS4_3ELNS0_20block_scan_algorithmE0ELj4294967295EEENS1_25partition_config_selectorILNS1_17partition_subalgoE3EjNS0_10empty_typeEbEEZZNS1_14partition_implILS8_3ELb0ES6_jNS0_17counting_iteratorIjlEEPS9_SE_NS0_5tupleIJPjSE_EEENSF_IJSE_SE_EEES9_SG_JZNS1_25segmented_radix_sort_implINS0_14default_configELb0EPKbPbPKlPlN2at6native12_GLOBAL__N_18offset_tEEE10hipError_tPvRmT1_PNSt15iterator_traitsISY_E10value_typeET2_T3_PNSZ_IS14_E10value_typeET4_jRbjT5_S1A_jjP12ihipStream_tbEUljE_EEESV_SW_SX_S14_S18_S1A_T6_T7_T9_mT8_S1C_bDpT10_ENKUlT_T0_E_clISt17integral_constantIbLb0EES1P_EEDaS1K_S1L_EUlS1K_E_NS1_11comp_targetILNS1_3genE2ELNS1_11target_archE906ELNS1_3gpuE6ELNS1_3repE0EEENS1_30default_config_static_selectorELNS0_4arch9wavefront6targetE0EEEvSY_.uses_vcc, 0
	.set _ZN7rocprim17ROCPRIM_400000_NS6detail17trampoline_kernelINS0_13select_configILj256ELj13ELNS0_17block_load_methodE3ELS4_3ELS4_3ELNS0_20block_scan_algorithmE0ELj4294967295EEENS1_25partition_config_selectorILNS1_17partition_subalgoE3EjNS0_10empty_typeEbEEZZNS1_14partition_implILS8_3ELb0ES6_jNS0_17counting_iteratorIjlEEPS9_SE_NS0_5tupleIJPjSE_EEENSF_IJSE_SE_EEES9_SG_JZNS1_25segmented_radix_sort_implINS0_14default_configELb0EPKbPbPKlPlN2at6native12_GLOBAL__N_18offset_tEEE10hipError_tPvRmT1_PNSt15iterator_traitsISY_E10value_typeET2_T3_PNSZ_IS14_E10value_typeET4_jRbjT5_S1A_jjP12ihipStream_tbEUljE_EEESV_SW_SX_S14_S18_S1A_T6_T7_T9_mT8_S1C_bDpT10_ENKUlT_T0_E_clISt17integral_constantIbLb0EES1P_EEDaS1K_S1L_EUlS1K_E_NS1_11comp_targetILNS1_3genE2ELNS1_11target_archE906ELNS1_3gpuE6ELNS1_3repE0EEENS1_30default_config_static_selectorELNS0_4arch9wavefront6targetE0EEEvSY_.uses_flat_scratch, 0
	.set _ZN7rocprim17ROCPRIM_400000_NS6detail17trampoline_kernelINS0_13select_configILj256ELj13ELNS0_17block_load_methodE3ELS4_3ELS4_3ELNS0_20block_scan_algorithmE0ELj4294967295EEENS1_25partition_config_selectorILNS1_17partition_subalgoE3EjNS0_10empty_typeEbEEZZNS1_14partition_implILS8_3ELb0ES6_jNS0_17counting_iteratorIjlEEPS9_SE_NS0_5tupleIJPjSE_EEENSF_IJSE_SE_EEES9_SG_JZNS1_25segmented_radix_sort_implINS0_14default_configELb0EPKbPbPKlPlN2at6native12_GLOBAL__N_18offset_tEEE10hipError_tPvRmT1_PNSt15iterator_traitsISY_E10value_typeET2_T3_PNSZ_IS14_E10value_typeET4_jRbjT5_S1A_jjP12ihipStream_tbEUljE_EEESV_SW_SX_S14_S18_S1A_T6_T7_T9_mT8_S1C_bDpT10_ENKUlT_T0_E_clISt17integral_constantIbLb0EES1P_EEDaS1K_S1L_EUlS1K_E_NS1_11comp_targetILNS1_3genE2ELNS1_11target_archE906ELNS1_3gpuE6ELNS1_3repE0EEENS1_30default_config_static_selectorELNS0_4arch9wavefront6targetE0EEEvSY_.has_dyn_sized_stack, 0
	.set _ZN7rocprim17ROCPRIM_400000_NS6detail17trampoline_kernelINS0_13select_configILj256ELj13ELNS0_17block_load_methodE3ELS4_3ELS4_3ELNS0_20block_scan_algorithmE0ELj4294967295EEENS1_25partition_config_selectorILNS1_17partition_subalgoE3EjNS0_10empty_typeEbEEZZNS1_14partition_implILS8_3ELb0ES6_jNS0_17counting_iteratorIjlEEPS9_SE_NS0_5tupleIJPjSE_EEENSF_IJSE_SE_EEES9_SG_JZNS1_25segmented_radix_sort_implINS0_14default_configELb0EPKbPbPKlPlN2at6native12_GLOBAL__N_18offset_tEEE10hipError_tPvRmT1_PNSt15iterator_traitsISY_E10value_typeET2_T3_PNSZ_IS14_E10value_typeET4_jRbjT5_S1A_jjP12ihipStream_tbEUljE_EEESV_SW_SX_S14_S18_S1A_T6_T7_T9_mT8_S1C_bDpT10_ENKUlT_T0_E_clISt17integral_constantIbLb0EES1P_EEDaS1K_S1L_EUlS1K_E_NS1_11comp_targetILNS1_3genE2ELNS1_11target_archE906ELNS1_3gpuE6ELNS1_3repE0EEENS1_30default_config_static_selectorELNS0_4arch9wavefront6targetE0EEEvSY_.has_recursion, 0
	.set _ZN7rocprim17ROCPRIM_400000_NS6detail17trampoline_kernelINS0_13select_configILj256ELj13ELNS0_17block_load_methodE3ELS4_3ELS4_3ELNS0_20block_scan_algorithmE0ELj4294967295EEENS1_25partition_config_selectorILNS1_17partition_subalgoE3EjNS0_10empty_typeEbEEZZNS1_14partition_implILS8_3ELb0ES6_jNS0_17counting_iteratorIjlEEPS9_SE_NS0_5tupleIJPjSE_EEENSF_IJSE_SE_EEES9_SG_JZNS1_25segmented_radix_sort_implINS0_14default_configELb0EPKbPbPKlPlN2at6native12_GLOBAL__N_18offset_tEEE10hipError_tPvRmT1_PNSt15iterator_traitsISY_E10value_typeET2_T3_PNSZ_IS14_E10value_typeET4_jRbjT5_S1A_jjP12ihipStream_tbEUljE_EEESV_SW_SX_S14_S18_S1A_T6_T7_T9_mT8_S1C_bDpT10_ENKUlT_T0_E_clISt17integral_constantIbLb0EES1P_EEDaS1K_S1L_EUlS1K_E_NS1_11comp_targetILNS1_3genE2ELNS1_11target_archE906ELNS1_3gpuE6ELNS1_3repE0EEENS1_30default_config_static_selectorELNS0_4arch9wavefront6targetE0EEEvSY_.has_indirect_call, 0
	.section	.AMDGPU.csdata,"",@progbits
; Kernel info:
; codeLenInByte = 0
; TotalNumSgprs: 0
; NumVgprs: 0
; ScratchSize: 0
; MemoryBound: 0
; FloatMode: 240
; IeeeMode: 1
; LDSByteSize: 0 bytes/workgroup (compile time only)
; SGPRBlocks: 0
; VGPRBlocks: 0
; NumSGPRsForWavesPerEU: 1
; NumVGPRsForWavesPerEU: 1
; Occupancy: 16
; WaveLimiterHint : 0
; COMPUTE_PGM_RSRC2:SCRATCH_EN: 0
; COMPUTE_PGM_RSRC2:USER_SGPR: 6
; COMPUTE_PGM_RSRC2:TRAP_HANDLER: 0
; COMPUTE_PGM_RSRC2:TGID_X_EN: 1
; COMPUTE_PGM_RSRC2:TGID_Y_EN: 0
; COMPUTE_PGM_RSRC2:TGID_Z_EN: 0
; COMPUTE_PGM_RSRC2:TIDIG_COMP_CNT: 0
	.section	.text._ZN7rocprim17ROCPRIM_400000_NS6detail17trampoline_kernelINS0_13select_configILj256ELj13ELNS0_17block_load_methodE3ELS4_3ELS4_3ELNS0_20block_scan_algorithmE0ELj4294967295EEENS1_25partition_config_selectorILNS1_17partition_subalgoE3EjNS0_10empty_typeEbEEZZNS1_14partition_implILS8_3ELb0ES6_jNS0_17counting_iteratorIjlEEPS9_SE_NS0_5tupleIJPjSE_EEENSF_IJSE_SE_EEES9_SG_JZNS1_25segmented_radix_sort_implINS0_14default_configELb0EPKbPbPKlPlN2at6native12_GLOBAL__N_18offset_tEEE10hipError_tPvRmT1_PNSt15iterator_traitsISY_E10value_typeET2_T3_PNSZ_IS14_E10value_typeET4_jRbjT5_S1A_jjP12ihipStream_tbEUljE_EEESV_SW_SX_S14_S18_S1A_T6_T7_T9_mT8_S1C_bDpT10_ENKUlT_T0_E_clISt17integral_constantIbLb0EES1P_EEDaS1K_S1L_EUlS1K_E_NS1_11comp_targetILNS1_3genE10ELNS1_11target_archE1200ELNS1_3gpuE4ELNS1_3repE0EEENS1_30default_config_static_selectorELNS0_4arch9wavefront6targetE0EEEvSY_,"axG",@progbits,_ZN7rocprim17ROCPRIM_400000_NS6detail17trampoline_kernelINS0_13select_configILj256ELj13ELNS0_17block_load_methodE3ELS4_3ELS4_3ELNS0_20block_scan_algorithmE0ELj4294967295EEENS1_25partition_config_selectorILNS1_17partition_subalgoE3EjNS0_10empty_typeEbEEZZNS1_14partition_implILS8_3ELb0ES6_jNS0_17counting_iteratorIjlEEPS9_SE_NS0_5tupleIJPjSE_EEENSF_IJSE_SE_EEES9_SG_JZNS1_25segmented_radix_sort_implINS0_14default_configELb0EPKbPbPKlPlN2at6native12_GLOBAL__N_18offset_tEEE10hipError_tPvRmT1_PNSt15iterator_traitsISY_E10value_typeET2_T3_PNSZ_IS14_E10value_typeET4_jRbjT5_S1A_jjP12ihipStream_tbEUljE_EEESV_SW_SX_S14_S18_S1A_T6_T7_T9_mT8_S1C_bDpT10_ENKUlT_T0_E_clISt17integral_constantIbLb0EES1P_EEDaS1K_S1L_EUlS1K_E_NS1_11comp_targetILNS1_3genE10ELNS1_11target_archE1200ELNS1_3gpuE4ELNS1_3repE0EEENS1_30default_config_static_selectorELNS0_4arch9wavefront6targetE0EEEvSY_,comdat
	.globl	_ZN7rocprim17ROCPRIM_400000_NS6detail17trampoline_kernelINS0_13select_configILj256ELj13ELNS0_17block_load_methodE3ELS4_3ELS4_3ELNS0_20block_scan_algorithmE0ELj4294967295EEENS1_25partition_config_selectorILNS1_17partition_subalgoE3EjNS0_10empty_typeEbEEZZNS1_14partition_implILS8_3ELb0ES6_jNS0_17counting_iteratorIjlEEPS9_SE_NS0_5tupleIJPjSE_EEENSF_IJSE_SE_EEES9_SG_JZNS1_25segmented_radix_sort_implINS0_14default_configELb0EPKbPbPKlPlN2at6native12_GLOBAL__N_18offset_tEEE10hipError_tPvRmT1_PNSt15iterator_traitsISY_E10value_typeET2_T3_PNSZ_IS14_E10value_typeET4_jRbjT5_S1A_jjP12ihipStream_tbEUljE_EEESV_SW_SX_S14_S18_S1A_T6_T7_T9_mT8_S1C_bDpT10_ENKUlT_T0_E_clISt17integral_constantIbLb0EES1P_EEDaS1K_S1L_EUlS1K_E_NS1_11comp_targetILNS1_3genE10ELNS1_11target_archE1200ELNS1_3gpuE4ELNS1_3repE0EEENS1_30default_config_static_selectorELNS0_4arch9wavefront6targetE0EEEvSY_ ; -- Begin function _ZN7rocprim17ROCPRIM_400000_NS6detail17trampoline_kernelINS0_13select_configILj256ELj13ELNS0_17block_load_methodE3ELS4_3ELS4_3ELNS0_20block_scan_algorithmE0ELj4294967295EEENS1_25partition_config_selectorILNS1_17partition_subalgoE3EjNS0_10empty_typeEbEEZZNS1_14partition_implILS8_3ELb0ES6_jNS0_17counting_iteratorIjlEEPS9_SE_NS0_5tupleIJPjSE_EEENSF_IJSE_SE_EEES9_SG_JZNS1_25segmented_radix_sort_implINS0_14default_configELb0EPKbPbPKlPlN2at6native12_GLOBAL__N_18offset_tEEE10hipError_tPvRmT1_PNSt15iterator_traitsISY_E10value_typeET2_T3_PNSZ_IS14_E10value_typeET4_jRbjT5_S1A_jjP12ihipStream_tbEUljE_EEESV_SW_SX_S14_S18_S1A_T6_T7_T9_mT8_S1C_bDpT10_ENKUlT_T0_E_clISt17integral_constantIbLb0EES1P_EEDaS1K_S1L_EUlS1K_E_NS1_11comp_targetILNS1_3genE10ELNS1_11target_archE1200ELNS1_3gpuE4ELNS1_3repE0EEENS1_30default_config_static_selectorELNS0_4arch9wavefront6targetE0EEEvSY_
	.p2align	8
	.type	_ZN7rocprim17ROCPRIM_400000_NS6detail17trampoline_kernelINS0_13select_configILj256ELj13ELNS0_17block_load_methodE3ELS4_3ELS4_3ELNS0_20block_scan_algorithmE0ELj4294967295EEENS1_25partition_config_selectorILNS1_17partition_subalgoE3EjNS0_10empty_typeEbEEZZNS1_14partition_implILS8_3ELb0ES6_jNS0_17counting_iteratorIjlEEPS9_SE_NS0_5tupleIJPjSE_EEENSF_IJSE_SE_EEES9_SG_JZNS1_25segmented_radix_sort_implINS0_14default_configELb0EPKbPbPKlPlN2at6native12_GLOBAL__N_18offset_tEEE10hipError_tPvRmT1_PNSt15iterator_traitsISY_E10value_typeET2_T3_PNSZ_IS14_E10value_typeET4_jRbjT5_S1A_jjP12ihipStream_tbEUljE_EEESV_SW_SX_S14_S18_S1A_T6_T7_T9_mT8_S1C_bDpT10_ENKUlT_T0_E_clISt17integral_constantIbLb0EES1P_EEDaS1K_S1L_EUlS1K_E_NS1_11comp_targetILNS1_3genE10ELNS1_11target_archE1200ELNS1_3gpuE4ELNS1_3repE0EEENS1_30default_config_static_selectorELNS0_4arch9wavefront6targetE0EEEvSY_,@function
_ZN7rocprim17ROCPRIM_400000_NS6detail17trampoline_kernelINS0_13select_configILj256ELj13ELNS0_17block_load_methodE3ELS4_3ELS4_3ELNS0_20block_scan_algorithmE0ELj4294967295EEENS1_25partition_config_selectorILNS1_17partition_subalgoE3EjNS0_10empty_typeEbEEZZNS1_14partition_implILS8_3ELb0ES6_jNS0_17counting_iteratorIjlEEPS9_SE_NS0_5tupleIJPjSE_EEENSF_IJSE_SE_EEES9_SG_JZNS1_25segmented_radix_sort_implINS0_14default_configELb0EPKbPbPKlPlN2at6native12_GLOBAL__N_18offset_tEEE10hipError_tPvRmT1_PNSt15iterator_traitsISY_E10value_typeET2_T3_PNSZ_IS14_E10value_typeET4_jRbjT5_S1A_jjP12ihipStream_tbEUljE_EEESV_SW_SX_S14_S18_S1A_T6_T7_T9_mT8_S1C_bDpT10_ENKUlT_T0_E_clISt17integral_constantIbLb0EES1P_EEDaS1K_S1L_EUlS1K_E_NS1_11comp_targetILNS1_3genE10ELNS1_11target_archE1200ELNS1_3gpuE4ELNS1_3repE0EEENS1_30default_config_static_selectorELNS0_4arch9wavefront6targetE0EEEvSY_: ; @_ZN7rocprim17ROCPRIM_400000_NS6detail17trampoline_kernelINS0_13select_configILj256ELj13ELNS0_17block_load_methodE3ELS4_3ELS4_3ELNS0_20block_scan_algorithmE0ELj4294967295EEENS1_25partition_config_selectorILNS1_17partition_subalgoE3EjNS0_10empty_typeEbEEZZNS1_14partition_implILS8_3ELb0ES6_jNS0_17counting_iteratorIjlEEPS9_SE_NS0_5tupleIJPjSE_EEENSF_IJSE_SE_EEES9_SG_JZNS1_25segmented_radix_sort_implINS0_14default_configELb0EPKbPbPKlPlN2at6native12_GLOBAL__N_18offset_tEEE10hipError_tPvRmT1_PNSt15iterator_traitsISY_E10value_typeET2_T3_PNSZ_IS14_E10value_typeET4_jRbjT5_S1A_jjP12ihipStream_tbEUljE_EEESV_SW_SX_S14_S18_S1A_T6_T7_T9_mT8_S1C_bDpT10_ENKUlT_T0_E_clISt17integral_constantIbLb0EES1P_EEDaS1K_S1L_EUlS1K_E_NS1_11comp_targetILNS1_3genE10ELNS1_11target_archE1200ELNS1_3gpuE4ELNS1_3repE0EEENS1_30default_config_static_selectorELNS0_4arch9wavefront6targetE0EEEvSY_
; %bb.0:
	.section	.rodata,"a",@progbits
	.p2align	6, 0x0
	.amdhsa_kernel _ZN7rocprim17ROCPRIM_400000_NS6detail17trampoline_kernelINS0_13select_configILj256ELj13ELNS0_17block_load_methodE3ELS4_3ELS4_3ELNS0_20block_scan_algorithmE0ELj4294967295EEENS1_25partition_config_selectorILNS1_17partition_subalgoE3EjNS0_10empty_typeEbEEZZNS1_14partition_implILS8_3ELb0ES6_jNS0_17counting_iteratorIjlEEPS9_SE_NS0_5tupleIJPjSE_EEENSF_IJSE_SE_EEES9_SG_JZNS1_25segmented_radix_sort_implINS0_14default_configELb0EPKbPbPKlPlN2at6native12_GLOBAL__N_18offset_tEEE10hipError_tPvRmT1_PNSt15iterator_traitsISY_E10value_typeET2_T3_PNSZ_IS14_E10value_typeET4_jRbjT5_S1A_jjP12ihipStream_tbEUljE_EEESV_SW_SX_S14_S18_S1A_T6_T7_T9_mT8_S1C_bDpT10_ENKUlT_T0_E_clISt17integral_constantIbLb0EES1P_EEDaS1K_S1L_EUlS1K_E_NS1_11comp_targetILNS1_3genE10ELNS1_11target_archE1200ELNS1_3gpuE4ELNS1_3repE0EEENS1_30default_config_static_selectorELNS0_4arch9wavefront6targetE0EEEvSY_
		.amdhsa_group_segment_fixed_size 0
		.amdhsa_private_segment_fixed_size 0
		.amdhsa_kernarg_size 144
		.amdhsa_user_sgpr_count 6
		.amdhsa_user_sgpr_private_segment_buffer 1
		.amdhsa_user_sgpr_dispatch_ptr 0
		.amdhsa_user_sgpr_queue_ptr 0
		.amdhsa_user_sgpr_kernarg_segment_ptr 1
		.amdhsa_user_sgpr_dispatch_id 0
		.amdhsa_user_sgpr_flat_scratch_init 0
		.amdhsa_user_sgpr_private_segment_size 0
		.amdhsa_wavefront_size32 1
		.amdhsa_uses_dynamic_stack 0
		.amdhsa_system_sgpr_private_segment_wavefront_offset 0
		.amdhsa_system_sgpr_workgroup_id_x 1
		.amdhsa_system_sgpr_workgroup_id_y 0
		.amdhsa_system_sgpr_workgroup_id_z 0
		.amdhsa_system_sgpr_workgroup_info 0
		.amdhsa_system_vgpr_workitem_id 0
		.amdhsa_next_free_vgpr 1
		.amdhsa_next_free_sgpr 1
		.amdhsa_reserve_vcc 0
		.amdhsa_reserve_flat_scratch 0
		.amdhsa_float_round_mode_32 0
		.amdhsa_float_round_mode_16_64 0
		.amdhsa_float_denorm_mode_32 3
		.amdhsa_float_denorm_mode_16_64 3
		.amdhsa_dx10_clamp 1
		.amdhsa_ieee_mode 1
		.amdhsa_fp16_overflow 0
		.amdhsa_workgroup_processor_mode 1
		.amdhsa_memory_ordered 1
		.amdhsa_forward_progress 1
		.amdhsa_shared_vgpr_count 0
		.amdhsa_exception_fp_ieee_invalid_op 0
		.amdhsa_exception_fp_denorm_src 0
		.amdhsa_exception_fp_ieee_div_zero 0
		.amdhsa_exception_fp_ieee_overflow 0
		.amdhsa_exception_fp_ieee_underflow 0
		.amdhsa_exception_fp_ieee_inexact 0
		.amdhsa_exception_int_div_zero 0
	.end_amdhsa_kernel
	.section	.text._ZN7rocprim17ROCPRIM_400000_NS6detail17trampoline_kernelINS0_13select_configILj256ELj13ELNS0_17block_load_methodE3ELS4_3ELS4_3ELNS0_20block_scan_algorithmE0ELj4294967295EEENS1_25partition_config_selectorILNS1_17partition_subalgoE3EjNS0_10empty_typeEbEEZZNS1_14partition_implILS8_3ELb0ES6_jNS0_17counting_iteratorIjlEEPS9_SE_NS0_5tupleIJPjSE_EEENSF_IJSE_SE_EEES9_SG_JZNS1_25segmented_radix_sort_implINS0_14default_configELb0EPKbPbPKlPlN2at6native12_GLOBAL__N_18offset_tEEE10hipError_tPvRmT1_PNSt15iterator_traitsISY_E10value_typeET2_T3_PNSZ_IS14_E10value_typeET4_jRbjT5_S1A_jjP12ihipStream_tbEUljE_EEESV_SW_SX_S14_S18_S1A_T6_T7_T9_mT8_S1C_bDpT10_ENKUlT_T0_E_clISt17integral_constantIbLb0EES1P_EEDaS1K_S1L_EUlS1K_E_NS1_11comp_targetILNS1_3genE10ELNS1_11target_archE1200ELNS1_3gpuE4ELNS1_3repE0EEENS1_30default_config_static_selectorELNS0_4arch9wavefront6targetE0EEEvSY_,"axG",@progbits,_ZN7rocprim17ROCPRIM_400000_NS6detail17trampoline_kernelINS0_13select_configILj256ELj13ELNS0_17block_load_methodE3ELS4_3ELS4_3ELNS0_20block_scan_algorithmE0ELj4294967295EEENS1_25partition_config_selectorILNS1_17partition_subalgoE3EjNS0_10empty_typeEbEEZZNS1_14partition_implILS8_3ELb0ES6_jNS0_17counting_iteratorIjlEEPS9_SE_NS0_5tupleIJPjSE_EEENSF_IJSE_SE_EEES9_SG_JZNS1_25segmented_radix_sort_implINS0_14default_configELb0EPKbPbPKlPlN2at6native12_GLOBAL__N_18offset_tEEE10hipError_tPvRmT1_PNSt15iterator_traitsISY_E10value_typeET2_T3_PNSZ_IS14_E10value_typeET4_jRbjT5_S1A_jjP12ihipStream_tbEUljE_EEESV_SW_SX_S14_S18_S1A_T6_T7_T9_mT8_S1C_bDpT10_ENKUlT_T0_E_clISt17integral_constantIbLb0EES1P_EEDaS1K_S1L_EUlS1K_E_NS1_11comp_targetILNS1_3genE10ELNS1_11target_archE1200ELNS1_3gpuE4ELNS1_3repE0EEENS1_30default_config_static_selectorELNS0_4arch9wavefront6targetE0EEEvSY_,comdat
.Lfunc_end1599:
	.size	_ZN7rocprim17ROCPRIM_400000_NS6detail17trampoline_kernelINS0_13select_configILj256ELj13ELNS0_17block_load_methodE3ELS4_3ELS4_3ELNS0_20block_scan_algorithmE0ELj4294967295EEENS1_25partition_config_selectorILNS1_17partition_subalgoE3EjNS0_10empty_typeEbEEZZNS1_14partition_implILS8_3ELb0ES6_jNS0_17counting_iteratorIjlEEPS9_SE_NS0_5tupleIJPjSE_EEENSF_IJSE_SE_EEES9_SG_JZNS1_25segmented_radix_sort_implINS0_14default_configELb0EPKbPbPKlPlN2at6native12_GLOBAL__N_18offset_tEEE10hipError_tPvRmT1_PNSt15iterator_traitsISY_E10value_typeET2_T3_PNSZ_IS14_E10value_typeET4_jRbjT5_S1A_jjP12ihipStream_tbEUljE_EEESV_SW_SX_S14_S18_S1A_T6_T7_T9_mT8_S1C_bDpT10_ENKUlT_T0_E_clISt17integral_constantIbLb0EES1P_EEDaS1K_S1L_EUlS1K_E_NS1_11comp_targetILNS1_3genE10ELNS1_11target_archE1200ELNS1_3gpuE4ELNS1_3repE0EEENS1_30default_config_static_selectorELNS0_4arch9wavefront6targetE0EEEvSY_, .Lfunc_end1599-_ZN7rocprim17ROCPRIM_400000_NS6detail17trampoline_kernelINS0_13select_configILj256ELj13ELNS0_17block_load_methodE3ELS4_3ELS4_3ELNS0_20block_scan_algorithmE0ELj4294967295EEENS1_25partition_config_selectorILNS1_17partition_subalgoE3EjNS0_10empty_typeEbEEZZNS1_14partition_implILS8_3ELb0ES6_jNS0_17counting_iteratorIjlEEPS9_SE_NS0_5tupleIJPjSE_EEENSF_IJSE_SE_EEES9_SG_JZNS1_25segmented_radix_sort_implINS0_14default_configELb0EPKbPbPKlPlN2at6native12_GLOBAL__N_18offset_tEEE10hipError_tPvRmT1_PNSt15iterator_traitsISY_E10value_typeET2_T3_PNSZ_IS14_E10value_typeET4_jRbjT5_S1A_jjP12ihipStream_tbEUljE_EEESV_SW_SX_S14_S18_S1A_T6_T7_T9_mT8_S1C_bDpT10_ENKUlT_T0_E_clISt17integral_constantIbLb0EES1P_EEDaS1K_S1L_EUlS1K_E_NS1_11comp_targetILNS1_3genE10ELNS1_11target_archE1200ELNS1_3gpuE4ELNS1_3repE0EEENS1_30default_config_static_selectorELNS0_4arch9wavefront6targetE0EEEvSY_
                                        ; -- End function
	.set _ZN7rocprim17ROCPRIM_400000_NS6detail17trampoline_kernelINS0_13select_configILj256ELj13ELNS0_17block_load_methodE3ELS4_3ELS4_3ELNS0_20block_scan_algorithmE0ELj4294967295EEENS1_25partition_config_selectorILNS1_17partition_subalgoE3EjNS0_10empty_typeEbEEZZNS1_14partition_implILS8_3ELb0ES6_jNS0_17counting_iteratorIjlEEPS9_SE_NS0_5tupleIJPjSE_EEENSF_IJSE_SE_EEES9_SG_JZNS1_25segmented_radix_sort_implINS0_14default_configELb0EPKbPbPKlPlN2at6native12_GLOBAL__N_18offset_tEEE10hipError_tPvRmT1_PNSt15iterator_traitsISY_E10value_typeET2_T3_PNSZ_IS14_E10value_typeET4_jRbjT5_S1A_jjP12ihipStream_tbEUljE_EEESV_SW_SX_S14_S18_S1A_T6_T7_T9_mT8_S1C_bDpT10_ENKUlT_T0_E_clISt17integral_constantIbLb0EES1P_EEDaS1K_S1L_EUlS1K_E_NS1_11comp_targetILNS1_3genE10ELNS1_11target_archE1200ELNS1_3gpuE4ELNS1_3repE0EEENS1_30default_config_static_selectorELNS0_4arch9wavefront6targetE0EEEvSY_.num_vgpr, 0
	.set _ZN7rocprim17ROCPRIM_400000_NS6detail17trampoline_kernelINS0_13select_configILj256ELj13ELNS0_17block_load_methodE3ELS4_3ELS4_3ELNS0_20block_scan_algorithmE0ELj4294967295EEENS1_25partition_config_selectorILNS1_17partition_subalgoE3EjNS0_10empty_typeEbEEZZNS1_14partition_implILS8_3ELb0ES6_jNS0_17counting_iteratorIjlEEPS9_SE_NS0_5tupleIJPjSE_EEENSF_IJSE_SE_EEES9_SG_JZNS1_25segmented_radix_sort_implINS0_14default_configELb0EPKbPbPKlPlN2at6native12_GLOBAL__N_18offset_tEEE10hipError_tPvRmT1_PNSt15iterator_traitsISY_E10value_typeET2_T3_PNSZ_IS14_E10value_typeET4_jRbjT5_S1A_jjP12ihipStream_tbEUljE_EEESV_SW_SX_S14_S18_S1A_T6_T7_T9_mT8_S1C_bDpT10_ENKUlT_T0_E_clISt17integral_constantIbLb0EES1P_EEDaS1K_S1L_EUlS1K_E_NS1_11comp_targetILNS1_3genE10ELNS1_11target_archE1200ELNS1_3gpuE4ELNS1_3repE0EEENS1_30default_config_static_selectorELNS0_4arch9wavefront6targetE0EEEvSY_.num_agpr, 0
	.set _ZN7rocprim17ROCPRIM_400000_NS6detail17trampoline_kernelINS0_13select_configILj256ELj13ELNS0_17block_load_methodE3ELS4_3ELS4_3ELNS0_20block_scan_algorithmE0ELj4294967295EEENS1_25partition_config_selectorILNS1_17partition_subalgoE3EjNS0_10empty_typeEbEEZZNS1_14partition_implILS8_3ELb0ES6_jNS0_17counting_iteratorIjlEEPS9_SE_NS0_5tupleIJPjSE_EEENSF_IJSE_SE_EEES9_SG_JZNS1_25segmented_radix_sort_implINS0_14default_configELb0EPKbPbPKlPlN2at6native12_GLOBAL__N_18offset_tEEE10hipError_tPvRmT1_PNSt15iterator_traitsISY_E10value_typeET2_T3_PNSZ_IS14_E10value_typeET4_jRbjT5_S1A_jjP12ihipStream_tbEUljE_EEESV_SW_SX_S14_S18_S1A_T6_T7_T9_mT8_S1C_bDpT10_ENKUlT_T0_E_clISt17integral_constantIbLb0EES1P_EEDaS1K_S1L_EUlS1K_E_NS1_11comp_targetILNS1_3genE10ELNS1_11target_archE1200ELNS1_3gpuE4ELNS1_3repE0EEENS1_30default_config_static_selectorELNS0_4arch9wavefront6targetE0EEEvSY_.numbered_sgpr, 0
	.set _ZN7rocprim17ROCPRIM_400000_NS6detail17trampoline_kernelINS0_13select_configILj256ELj13ELNS0_17block_load_methodE3ELS4_3ELS4_3ELNS0_20block_scan_algorithmE0ELj4294967295EEENS1_25partition_config_selectorILNS1_17partition_subalgoE3EjNS0_10empty_typeEbEEZZNS1_14partition_implILS8_3ELb0ES6_jNS0_17counting_iteratorIjlEEPS9_SE_NS0_5tupleIJPjSE_EEENSF_IJSE_SE_EEES9_SG_JZNS1_25segmented_radix_sort_implINS0_14default_configELb0EPKbPbPKlPlN2at6native12_GLOBAL__N_18offset_tEEE10hipError_tPvRmT1_PNSt15iterator_traitsISY_E10value_typeET2_T3_PNSZ_IS14_E10value_typeET4_jRbjT5_S1A_jjP12ihipStream_tbEUljE_EEESV_SW_SX_S14_S18_S1A_T6_T7_T9_mT8_S1C_bDpT10_ENKUlT_T0_E_clISt17integral_constantIbLb0EES1P_EEDaS1K_S1L_EUlS1K_E_NS1_11comp_targetILNS1_3genE10ELNS1_11target_archE1200ELNS1_3gpuE4ELNS1_3repE0EEENS1_30default_config_static_selectorELNS0_4arch9wavefront6targetE0EEEvSY_.num_named_barrier, 0
	.set _ZN7rocprim17ROCPRIM_400000_NS6detail17trampoline_kernelINS0_13select_configILj256ELj13ELNS0_17block_load_methodE3ELS4_3ELS4_3ELNS0_20block_scan_algorithmE0ELj4294967295EEENS1_25partition_config_selectorILNS1_17partition_subalgoE3EjNS0_10empty_typeEbEEZZNS1_14partition_implILS8_3ELb0ES6_jNS0_17counting_iteratorIjlEEPS9_SE_NS0_5tupleIJPjSE_EEENSF_IJSE_SE_EEES9_SG_JZNS1_25segmented_radix_sort_implINS0_14default_configELb0EPKbPbPKlPlN2at6native12_GLOBAL__N_18offset_tEEE10hipError_tPvRmT1_PNSt15iterator_traitsISY_E10value_typeET2_T3_PNSZ_IS14_E10value_typeET4_jRbjT5_S1A_jjP12ihipStream_tbEUljE_EEESV_SW_SX_S14_S18_S1A_T6_T7_T9_mT8_S1C_bDpT10_ENKUlT_T0_E_clISt17integral_constantIbLb0EES1P_EEDaS1K_S1L_EUlS1K_E_NS1_11comp_targetILNS1_3genE10ELNS1_11target_archE1200ELNS1_3gpuE4ELNS1_3repE0EEENS1_30default_config_static_selectorELNS0_4arch9wavefront6targetE0EEEvSY_.private_seg_size, 0
	.set _ZN7rocprim17ROCPRIM_400000_NS6detail17trampoline_kernelINS0_13select_configILj256ELj13ELNS0_17block_load_methodE3ELS4_3ELS4_3ELNS0_20block_scan_algorithmE0ELj4294967295EEENS1_25partition_config_selectorILNS1_17partition_subalgoE3EjNS0_10empty_typeEbEEZZNS1_14partition_implILS8_3ELb0ES6_jNS0_17counting_iteratorIjlEEPS9_SE_NS0_5tupleIJPjSE_EEENSF_IJSE_SE_EEES9_SG_JZNS1_25segmented_radix_sort_implINS0_14default_configELb0EPKbPbPKlPlN2at6native12_GLOBAL__N_18offset_tEEE10hipError_tPvRmT1_PNSt15iterator_traitsISY_E10value_typeET2_T3_PNSZ_IS14_E10value_typeET4_jRbjT5_S1A_jjP12ihipStream_tbEUljE_EEESV_SW_SX_S14_S18_S1A_T6_T7_T9_mT8_S1C_bDpT10_ENKUlT_T0_E_clISt17integral_constantIbLb0EES1P_EEDaS1K_S1L_EUlS1K_E_NS1_11comp_targetILNS1_3genE10ELNS1_11target_archE1200ELNS1_3gpuE4ELNS1_3repE0EEENS1_30default_config_static_selectorELNS0_4arch9wavefront6targetE0EEEvSY_.uses_vcc, 0
	.set _ZN7rocprim17ROCPRIM_400000_NS6detail17trampoline_kernelINS0_13select_configILj256ELj13ELNS0_17block_load_methodE3ELS4_3ELS4_3ELNS0_20block_scan_algorithmE0ELj4294967295EEENS1_25partition_config_selectorILNS1_17partition_subalgoE3EjNS0_10empty_typeEbEEZZNS1_14partition_implILS8_3ELb0ES6_jNS0_17counting_iteratorIjlEEPS9_SE_NS0_5tupleIJPjSE_EEENSF_IJSE_SE_EEES9_SG_JZNS1_25segmented_radix_sort_implINS0_14default_configELb0EPKbPbPKlPlN2at6native12_GLOBAL__N_18offset_tEEE10hipError_tPvRmT1_PNSt15iterator_traitsISY_E10value_typeET2_T3_PNSZ_IS14_E10value_typeET4_jRbjT5_S1A_jjP12ihipStream_tbEUljE_EEESV_SW_SX_S14_S18_S1A_T6_T7_T9_mT8_S1C_bDpT10_ENKUlT_T0_E_clISt17integral_constantIbLb0EES1P_EEDaS1K_S1L_EUlS1K_E_NS1_11comp_targetILNS1_3genE10ELNS1_11target_archE1200ELNS1_3gpuE4ELNS1_3repE0EEENS1_30default_config_static_selectorELNS0_4arch9wavefront6targetE0EEEvSY_.uses_flat_scratch, 0
	.set _ZN7rocprim17ROCPRIM_400000_NS6detail17trampoline_kernelINS0_13select_configILj256ELj13ELNS0_17block_load_methodE3ELS4_3ELS4_3ELNS0_20block_scan_algorithmE0ELj4294967295EEENS1_25partition_config_selectorILNS1_17partition_subalgoE3EjNS0_10empty_typeEbEEZZNS1_14partition_implILS8_3ELb0ES6_jNS0_17counting_iteratorIjlEEPS9_SE_NS0_5tupleIJPjSE_EEENSF_IJSE_SE_EEES9_SG_JZNS1_25segmented_radix_sort_implINS0_14default_configELb0EPKbPbPKlPlN2at6native12_GLOBAL__N_18offset_tEEE10hipError_tPvRmT1_PNSt15iterator_traitsISY_E10value_typeET2_T3_PNSZ_IS14_E10value_typeET4_jRbjT5_S1A_jjP12ihipStream_tbEUljE_EEESV_SW_SX_S14_S18_S1A_T6_T7_T9_mT8_S1C_bDpT10_ENKUlT_T0_E_clISt17integral_constantIbLb0EES1P_EEDaS1K_S1L_EUlS1K_E_NS1_11comp_targetILNS1_3genE10ELNS1_11target_archE1200ELNS1_3gpuE4ELNS1_3repE0EEENS1_30default_config_static_selectorELNS0_4arch9wavefront6targetE0EEEvSY_.has_dyn_sized_stack, 0
	.set _ZN7rocprim17ROCPRIM_400000_NS6detail17trampoline_kernelINS0_13select_configILj256ELj13ELNS0_17block_load_methodE3ELS4_3ELS4_3ELNS0_20block_scan_algorithmE0ELj4294967295EEENS1_25partition_config_selectorILNS1_17partition_subalgoE3EjNS0_10empty_typeEbEEZZNS1_14partition_implILS8_3ELb0ES6_jNS0_17counting_iteratorIjlEEPS9_SE_NS0_5tupleIJPjSE_EEENSF_IJSE_SE_EEES9_SG_JZNS1_25segmented_radix_sort_implINS0_14default_configELb0EPKbPbPKlPlN2at6native12_GLOBAL__N_18offset_tEEE10hipError_tPvRmT1_PNSt15iterator_traitsISY_E10value_typeET2_T3_PNSZ_IS14_E10value_typeET4_jRbjT5_S1A_jjP12ihipStream_tbEUljE_EEESV_SW_SX_S14_S18_S1A_T6_T7_T9_mT8_S1C_bDpT10_ENKUlT_T0_E_clISt17integral_constantIbLb0EES1P_EEDaS1K_S1L_EUlS1K_E_NS1_11comp_targetILNS1_3genE10ELNS1_11target_archE1200ELNS1_3gpuE4ELNS1_3repE0EEENS1_30default_config_static_selectorELNS0_4arch9wavefront6targetE0EEEvSY_.has_recursion, 0
	.set _ZN7rocprim17ROCPRIM_400000_NS6detail17trampoline_kernelINS0_13select_configILj256ELj13ELNS0_17block_load_methodE3ELS4_3ELS4_3ELNS0_20block_scan_algorithmE0ELj4294967295EEENS1_25partition_config_selectorILNS1_17partition_subalgoE3EjNS0_10empty_typeEbEEZZNS1_14partition_implILS8_3ELb0ES6_jNS0_17counting_iteratorIjlEEPS9_SE_NS0_5tupleIJPjSE_EEENSF_IJSE_SE_EEES9_SG_JZNS1_25segmented_radix_sort_implINS0_14default_configELb0EPKbPbPKlPlN2at6native12_GLOBAL__N_18offset_tEEE10hipError_tPvRmT1_PNSt15iterator_traitsISY_E10value_typeET2_T3_PNSZ_IS14_E10value_typeET4_jRbjT5_S1A_jjP12ihipStream_tbEUljE_EEESV_SW_SX_S14_S18_S1A_T6_T7_T9_mT8_S1C_bDpT10_ENKUlT_T0_E_clISt17integral_constantIbLb0EES1P_EEDaS1K_S1L_EUlS1K_E_NS1_11comp_targetILNS1_3genE10ELNS1_11target_archE1200ELNS1_3gpuE4ELNS1_3repE0EEENS1_30default_config_static_selectorELNS0_4arch9wavefront6targetE0EEEvSY_.has_indirect_call, 0
	.section	.AMDGPU.csdata,"",@progbits
; Kernel info:
; codeLenInByte = 0
; TotalNumSgprs: 0
; NumVgprs: 0
; ScratchSize: 0
; MemoryBound: 0
; FloatMode: 240
; IeeeMode: 1
; LDSByteSize: 0 bytes/workgroup (compile time only)
; SGPRBlocks: 0
; VGPRBlocks: 0
; NumSGPRsForWavesPerEU: 1
; NumVGPRsForWavesPerEU: 1
; Occupancy: 16
; WaveLimiterHint : 0
; COMPUTE_PGM_RSRC2:SCRATCH_EN: 0
; COMPUTE_PGM_RSRC2:USER_SGPR: 6
; COMPUTE_PGM_RSRC2:TRAP_HANDLER: 0
; COMPUTE_PGM_RSRC2:TGID_X_EN: 1
; COMPUTE_PGM_RSRC2:TGID_Y_EN: 0
; COMPUTE_PGM_RSRC2:TGID_Z_EN: 0
; COMPUTE_PGM_RSRC2:TIDIG_COMP_CNT: 0
	.section	.text._ZN7rocprim17ROCPRIM_400000_NS6detail17trampoline_kernelINS0_13select_configILj256ELj13ELNS0_17block_load_methodE3ELS4_3ELS4_3ELNS0_20block_scan_algorithmE0ELj4294967295EEENS1_25partition_config_selectorILNS1_17partition_subalgoE3EjNS0_10empty_typeEbEEZZNS1_14partition_implILS8_3ELb0ES6_jNS0_17counting_iteratorIjlEEPS9_SE_NS0_5tupleIJPjSE_EEENSF_IJSE_SE_EEES9_SG_JZNS1_25segmented_radix_sort_implINS0_14default_configELb0EPKbPbPKlPlN2at6native12_GLOBAL__N_18offset_tEEE10hipError_tPvRmT1_PNSt15iterator_traitsISY_E10value_typeET2_T3_PNSZ_IS14_E10value_typeET4_jRbjT5_S1A_jjP12ihipStream_tbEUljE_EEESV_SW_SX_S14_S18_S1A_T6_T7_T9_mT8_S1C_bDpT10_ENKUlT_T0_E_clISt17integral_constantIbLb0EES1P_EEDaS1K_S1L_EUlS1K_E_NS1_11comp_targetILNS1_3genE9ELNS1_11target_archE1100ELNS1_3gpuE3ELNS1_3repE0EEENS1_30default_config_static_selectorELNS0_4arch9wavefront6targetE0EEEvSY_,"axG",@progbits,_ZN7rocprim17ROCPRIM_400000_NS6detail17trampoline_kernelINS0_13select_configILj256ELj13ELNS0_17block_load_methodE3ELS4_3ELS4_3ELNS0_20block_scan_algorithmE0ELj4294967295EEENS1_25partition_config_selectorILNS1_17partition_subalgoE3EjNS0_10empty_typeEbEEZZNS1_14partition_implILS8_3ELb0ES6_jNS0_17counting_iteratorIjlEEPS9_SE_NS0_5tupleIJPjSE_EEENSF_IJSE_SE_EEES9_SG_JZNS1_25segmented_radix_sort_implINS0_14default_configELb0EPKbPbPKlPlN2at6native12_GLOBAL__N_18offset_tEEE10hipError_tPvRmT1_PNSt15iterator_traitsISY_E10value_typeET2_T3_PNSZ_IS14_E10value_typeET4_jRbjT5_S1A_jjP12ihipStream_tbEUljE_EEESV_SW_SX_S14_S18_S1A_T6_T7_T9_mT8_S1C_bDpT10_ENKUlT_T0_E_clISt17integral_constantIbLb0EES1P_EEDaS1K_S1L_EUlS1K_E_NS1_11comp_targetILNS1_3genE9ELNS1_11target_archE1100ELNS1_3gpuE3ELNS1_3repE0EEENS1_30default_config_static_selectorELNS0_4arch9wavefront6targetE0EEEvSY_,comdat
	.globl	_ZN7rocprim17ROCPRIM_400000_NS6detail17trampoline_kernelINS0_13select_configILj256ELj13ELNS0_17block_load_methodE3ELS4_3ELS4_3ELNS0_20block_scan_algorithmE0ELj4294967295EEENS1_25partition_config_selectorILNS1_17partition_subalgoE3EjNS0_10empty_typeEbEEZZNS1_14partition_implILS8_3ELb0ES6_jNS0_17counting_iteratorIjlEEPS9_SE_NS0_5tupleIJPjSE_EEENSF_IJSE_SE_EEES9_SG_JZNS1_25segmented_radix_sort_implINS0_14default_configELb0EPKbPbPKlPlN2at6native12_GLOBAL__N_18offset_tEEE10hipError_tPvRmT1_PNSt15iterator_traitsISY_E10value_typeET2_T3_PNSZ_IS14_E10value_typeET4_jRbjT5_S1A_jjP12ihipStream_tbEUljE_EEESV_SW_SX_S14_S18_S1A_T6_T7_T9_mT8_S1C_bDpT10_ENKUlT_T0_E_clISt17integral_constantIbLb0EES1P_EEDaS1K_S1L_EUlS1K_E_NS1_11comp_targetILNS1_3genE9ELNS1_11target_archE1100ELNS1_3gpuE3ELNS1_3repE0EEENS1_30default_config_static_selectorELNS0_4arch9wavefront6targetE0EEEvSY_ ; -- Begin function _ZN7rocprim17ROCPRIM_400000_NS6detail17trampoline_kernelINS0_13select_configILj256ELj13ELNS0_17block_load_methodE3ELS4_3ELS4_3ELNS0_20block_scan_algorithmE0ELj4294967295EEENS1_25partition_config_selectorILNS1_17partition_subalgoE3EjNS0_10empty_typeEbEEZZNS1_14partition_implILS8_3ELb0ES6_jNS0_17counting_iteratorIjlEEPS9_SE_NS0_5tupleIJPjSE_EEENSF_IJSE_SE_EEES9_SG_JZNS1_25segmented_radix_sort_implINS0_14default_configELb0EPKbPbPKlPlN2at6native12_GLOBAL__N_18offset_tEEE10hipError_tPvRmT1_PNSt15iterator_traitsISY_E10value_typeET2_T3_PNSZ_IS14_E10value_typeET4_jRbjT5_S1A_jjP12ihipStream_tbEUljE_EEESV_SW_SX_S14_S18_S1A_T6_T7_T9_mT8_S1C_bDpT10_ENKUlT_T0_E_clISt17integral_constantIbLb0EES1P_EEDaS1K_S1L_EUlS1K_E_NS1_11comp_targetILNS1_3genE9ELNS1_11target_archE1100ELNS1_3gpuE3ELNS1_3repE0EEENS1_30default_config_static_selectorELNS0_4arch9wavefront6targetE0EEEvSY_
	.p2align	8
	.type	_ZN7rocprim17ROCPRIM_400000_NS6detail17trampoline_kernelINS0_13select_configILj256ELj13ELNS0_17block_load_methodE3ELS4_3ELS4_3ELNS0_20block_scan_algorithmE0ELj4294967295EEENS1_25partition_config_selectorILNS1_17partition_subalgoE3EjNS0_10empty_typeEbEEZZNS1_14partition_implILS8_3ELb0ES6_jNS0_17counting_iteratorIjlEEPS9_SE_NS0_5tupleIJPjSE_EEENSF_IJSE_SE_EEES9_SG_JZNS1_25segmented_radix_sort_implINS0_14default_configELb0EPKbPbPKlPlN2at6native12_GLOBAL__N_18offset_tEEE10hipError_tPvRmT1_PNSt15iterator_traitsISY_E10value_typeET2_T3_PNSZ_IS14_E10value_typeET4_jRbjT5_S1A_jjP12ihipStream_tbEUljE_EEESV_SW_SX_S14_S18_S1A_T6_T7_T9_mT8_S1C_bDpT10_ENKUlT_T0_E_clISt17integral_constantIbLb0EES1P_EEDaS1K_S1L_EUlS1K_E_NS1_11comp_targetILNS1_3genE9ELNS1_11target_archE1100ELNS1_3gpuE3ELNS1_3repE0EEENS1_30default_config_static_selectorELNS0_4arch9wavefront6targetE0EEEvSY_,@function
_ZN7rocprim17ROCPRIM_400000_NS6detail17trampoline_kernelINS0_13select_configILj256ELj13ELNS0_17block_load_methodE3ELS4_3ELS4_3ELNS0_20block_scan_algorithmE0ELj4294967295EEENS1_25partition_config_selectorILNS1_17partition_subalgoE3EjNS0_10empty_typeEbEEZZNS1_14partition_implILS8_3ELb0ES6_jNS0_17counting_iteratorIjlEEPS9_SE_NS0_5tupleIJPjSE_EEENSF_IJSE_SE_EEES9_SG_JZNS1_25segmented_radix_sort_implINS0_14default_configELb0EPKbPbPKlPlN2at6native12_GLOBAL__N_18offset_tEEE10hipError_tPvRmT1_PNSt15iterator_traitsISY_E10value_typeET2_T3_PNSZ_IS14_E10value_typeET4_jRbjT5_S1A_jjP12ihipStream_tbEUljE_EEESV_SW_SX_S14_S18_S1A_T6_T7_T9_mT8_S1C_bDpT10_ENKUlT_T0_E_clISt17integral_constantIbLb0EES1P_EEDaS1K_S1L_EUlS1K_E_NS1_11comp_targetILNS1_3genE9ELNS1_11target_archE1100ELNS1_3gpuE3ELNS1_3repE0EEENS1_30default_config_static_selectorELNS0_4arch9wavefront6targetE0EEEvSY_: ; @_ZN7rocprim17ROCPRIM_400000_NS6detail17trampoline_kernelINS0_13select_configILj256ELj13ELNS0_17block_load_methodE3ELS4_3ELS4_3ELNS0_20block_scan_algorithmE0ELj4294967295EEENS1_25partition_config_selectorILNS1_17partition_subalgoE3EjNS0_10empty_typeEbEEZZNS1_14partition_implILS8_3ELb0ES6_jNS0_17counting_iteratorIjlEEPS9_SE_NS0_5tupleIJPjSE_EEENSF_IJSE_SE_EEES9_SG_JZNS1_25segmented_radix_sort_implINS0_14default_configELb0EPKbPbPKlPlN2at6native12_GLOBAL__N_18offset_tEEE10hipError_tPvRmT1_PNSt15iterator_traitsISY_E10value_typeET2_T3_PNSZ_IS14_E10value_typeET4_jRbjT5_S1A_jjP12ihipStream_tbEUljE_EEESV_SW_SX_S14_S18_S1A_T6_T7_T9_mT8_S1C_bDpT10_ENKUlT_T0_E_clISt17integral_constantIbLb0EES1P_EEDaS1K_S1L_EUlS1K_E_NS1_11comp_targetILNS1_3genE9ELNS1_11target_archE1100ELNS1_3gpuE3ELNS1_3repE0EEENS1_30default_config_static_selectorELNS0_4arch9wavefront6targetE0EEEvSY_
; %bb.0:
	.section	.rodata,"a",@progbits
	.p2align	6, 0x0
	.amdhsa_kernel _ZN7rocprim17ROCPRIM_400000_NS6detail17trampoline_kernelINS0_13select_configILj256ELj13ELNS0_17block_load_methodE3ELS4_3ELS4_3ELNS0_20block_scan_algorithmE0ELj4294967295EEENS1_25partition_config_selectorILNS1_17partition_subalgoE3EjNS0_10empty_typeEbEEZZNS1_14partition_implILS8_3ELb0ES6_jNS0_17counting_iteratorIjlEEPS9_SE_NS0_5tupleIJPjSE_EEENSF_IJSE_SE_EEES9_SG_JZNS1_25segmented_radix_sort_implINS0_14default_configELb0EPKbPbPKlPlN2at6native12_GLOBAL__N_18offset_tEEE10hipError_tPvRmT1_PNSt15iterator_traitsISY_E10value_typeET2_T3_PNSZ_IS14_E10value_typeET4_jRbjT5_S1A_jjP12ihipStream_tbEUljE_EEESV_SW_SX_S14_S18_S1A_T6_T7_T9_mT8_S1C_bDpT10_ENKUlT_T0_E_clISt17integral_constantIbLb0EES1P_EEDaS1K_S1L_EUlS1K_E_NS1_11comp_targetILNS1_3genE9ELNS1_11target_archE1100ELNS1_3gpuE3ELNS1_3repE0EEENS1_30default_config_static_selectorELNS0_4arch9wavefront6targetE0EEEvSY_
		.amdhsa_group_segment_fixed_size 0
		.amdhsa_private_segment_fixed_size 0
		.amdhsa_kernarg_size 144
		.amdhsa_user_sgpr_count 6
		.amdhsa_user_sgpr_private_segment_buffer 1
		.amdhsa_user_sgpr_dispatch_ptr 0
		.amdhsa_user_sgpr_queue_ptr 0
		.amdhsa_user_sgpr_kernarg_segment_ptr 1
		.amdhsa_user_sgpr_dispatch_id 0
		.amdhsa_user_sgpr_flat_scratch_init 0
		.amdhsa_user_sgpr_private_segment_size 0
		.amdhsa_wavefront_size32 1
		.amdhsa_uses_dynamic_stack 0
		.amdhsa_system_sgpr_private_segment_wavefront_offset 0
		.amdhsa_system_sgpr_workgroup_id_x 1
		.amdhsa_system_sgpr_workgroup_id_y 0
		.amdhsa_system_sgpr_workgroup_id_z 0
		.amdhsa_system_sgpr_workgroup_info 0
		.amdhsa_system_vgpr_workitem_id 0
		.amdhsa_next_free_vgpr 1
		.amdhsa_next_free_sgpr 1
		.amdhsa_reserve_vcc 0
		.amdhsa_reserve_flat_scratch 0
		.amdhsa_float_round_mode_32 0
		.amdhsa_float_round_mode_16_64 0
		.amdhsa_float_denorm_mode_32 3
		.amdhsa_float_denorm_mode_16_64 3
		.amdhsa_dx10_clamp 1
		.amdhsa_ieee_mode 1
		.amdhsa_fp16_overflow 0
		.amdhsa_workgroup_processor_mode 1
		.amdhsa_memory_ordered 1
		.amdhsa_forward_progress 1
		.amdhsa_shared_vgpr_count 0
		.amdhsa_exception_fp_ieee_invalid_op 0
		.amdhsa_exception_fp_denorm_src 0
		.amdhsa_exception_fp_ieee_div_zero 0
		.amdhsa_exception_fp_ieee_overflow 0
		.amdhsa_exception_fp_ieee_underflow 0
		.amdhsa_exception_fp_ieee_inexact 0
		.amdhsa_exception_int_div_zero 0
	.end_amdhsa_kernel
	.section	.text._ZN7rocprim17ROCPRIM_400000_NS6detail17trampoline_kernelINS0_13select_configILj256ELj13ELNS0_17block_load_methodE3ELS4_3ELS4_3ELNS0_20block_scan_algorithmE0ELj4294967295EEENS1_25partition_config_selectorILNS1_17partition_subalgoE3EjNS0_10empty_typeEbEEZZNS1_14partition_implILS8_3ELb0ES6_jNS0_17counting_iteratorIjlEEPS9_SE_NS0_5tupleIJPjSE_EEENSF_IJSE_SE_EEES9_SG_JZNS1_25segmented_radix_sort_implINS0_14default_configELb0EPKbPbPKlPlN2at6native12_GLOBAL__N_18offset_tEEE10hipError_tPvRmT1_PNSt15iterator_traitsISY_E10value_typeET2_T3_PNSZ_IS14_E10value_typeET4_jRbjT5_S1A_jjP12ihipStream_tbEUljE_EEESV_SW_SX_S14_S18_S1A_T6_T7_T9_mT8_S1C_bDpT10_ENKUlT_T0_E_clISt17integral_constantIbLb0EES1P_EEDaS1K_S1L_EUlS1K_E_NS1_11comp_targetILNS1_3genE9ELNS1_11target_archE1100ELNS1_3gpuE3ELNS1_3repE0EEENS1_30default_config_static_selectorELNS0_4arch9wavefront6targetE0EEEvSY_,"axG",@progbits,_ZN7rocprim17ROCPRIM_400000_NS6detail17trampoline_kernelINS0_13select_configILj256ELj13ELNS0_17block_load_methodE3ELS4_3ELS4_3ELNS0_20block_scan_algorithmE0ELj4294967295EEENS1_25partition_config_selectorILNS1_17partition_subalgoE3EjNS0_10empty_typeEbEEZZNS1_14partition_implILS8_3ELb0ES6_jNS0_17counting_iteratorIjlEEPS9_SE_NS0_5tupleIJPjSE_EEENSF_IJSE_SE_EEES9_SG_JZNS1_25segmented_radix_sort_implINS0_14default_configELb0EPKbPbPKlPlN2at6native12_GLOBAL__N_18offset_tEEE10hipError_tPvRmT1_PNSt15iterator_traitsISY_E10value_typeET2_T3_PNSZ_IS14_E10value_typeET4_jRbjT5_S1A_jjP12ihipStream_tbEUljE_EEESV_SW_SX_S14_S18_S1A_T6_T7_T9_mT8_S1C_bDpT10_ENKUlT_T0_E_clISt17integral_constantIbLb0EES1P_EEDaS1K_S1L_EUlS1K_E_NS1_11comp_targetILNS1_3genE9ELNS1_11target_archE1100ELNS1_3gpuE3ELNS1_3repE0EEENS1_30default_config_static_selectorELNS0_4arch9wavefront6targetE0EEEvSY_,comdat
.Lfunc_end1600:
	.size	_ZN7rocprim17ROCPRIM_400000_NS6detail17trampoline_kernelINS0_13select_configILj256ELj13ELNS0_17block_load_methodE3ELS4_3ELS4_3ELNS0_20block_scan_algorithmE0ELj4294967295EEENS1_25partition_config_selectorILNS1_17partition_subalgoE3EjNS0_10empty_typeEbEEZZNS1_14partition_implILS8_3ELb0ES6_jNS0_17counting_iteratorIjlEEPS9_SE_NS0_5tupleIJPjSE_EEENSF_IJSE_SE_EEES9_SG_JZNS1_25segmented_radix_sort_implINS0_14default_configELb0EPKbPbPKlPlN2at6native12_GLOBAL__N_18offset_tEEE10hipError_tPvRmT1_PNSt15iterator_traitsISY_E10value_typeET2_T3_PNSZ_IS14_E10value_typeET4_jRbjT5_S1A_jjP12ihipStream_tbEUljE_EEESV_SW_SX_S14_S18_S1A_T6_T7_T9_mT8_S1C_bDpT10_ENKUlT_T0_E_clISt17integral_constantIbLb0EES1P_EEDaS1K_S1L_EUlS1K_E_NS1_11comp_targetILNS1_3genE9ELNS1_11target_archE1100ELNS1_3gpuE3ELNS1_3repE0EEENS1_30default_config_static_selectorELNS0_4arch9wavefront6targetE0EEEvSY_, .Lfunc_end1600-_ZN7rocprim17ROCPRIM_400000_NS6detail17trampoline_kernelINS0_13select_configILj256ELj13ELNS0_17block_load_methodE3ELS4_3ELS4_3ELNS0_20block_scan_algorithmE0ELj4294967295EEENS1_25partition_config_selectorILNS1_17partition_subalgoE3EjNS0_10empty_typeEbEEZZNS1_14partition_implILS8_3ELb0ES6_jNS0_17counting_iteratorIjlEEPS9_SE_NS0_5tupleIJPjSE_EEENSF_IJSE_SE_EEES9_SG_JZNS1_25segmented_radix_sort_implINS0_14default_configELb0EPKbPbPKlPlN2at6native12_GLOBAL__N_18offset_tEEE10hipError_tPvRmT1_PNSt15iterator_traitsISY_E10value_typeET2_T3_PNSZ_IS14_E10value_typeET4_jRbjT5_S1A_jjP12ihipStream_tbEUljE_EEESV_SW_SX_S14_S18_S1A_T6_T7_T9_mT8_S1C_bDpT10_ENKUlT_T0_E_clISt17integral_constantIbLb0EES1P_EEDaS1K_S1L_EUlS1K_E_NS1_11comp_targetILNS1_3genE9ELNS1_11target_archE1100ELNS1_3gpuE3ELNS1_3repE0EEENS1_30default_config_static_selectorELNS0_4arch9wavefront6targetE0EEEvSY_
                                        ; -- End function
	.set _ZN7rocprim17ROCPRIM_400000_NS6detail17trampoline_kernelINS0_13select_configILj256ELj13ELNS0_17block_load_methodE3ELS4_3ELS4_3ELNS0_20block_scan_algorithmE0ELj4294967295EEENS1_25partition_config_selectorILNS1_17partition_subalgoE3EjNS0_10empty_typeEbEEZZNS1_14partition_implILS8_3ELb0ES6_jNS0_17counting_iteratorIjlEEPS9_SE_NS0_5tupleIJPjSE_EEENSF_IJSE_SE_EEES9_SG_JZNS1_25segmented_radix_sort_implINS0_14default_configELb0EPKbPbPKlPlN2at6native12_GLOBAL__N_18offset_tEEE10hipError_tPvRmT1_PNSt15iterator_traitsISY_E10value_typeET2_T3_PNSZ_IS14_E10value_typeET4_jRbjT5_S1A_jjP12ihipStream_tbEUljE_EEESV_SW_SX_S14_S18_S1A_T6_T7_T9_mT8_S1C_bDpT10_ENKUlT_T0_E_clISt17integral_constantIbLb0EES1P_EEDaS1K_S1L_EUlS1K_E_NS1_11comp_targetILNS1_3genE9ELNS1_11target_archE1100ELNS1_3gpuE3ELNS1_3repE0EEENS1_30default_config_static_selectorELNS0_4arch9wavefront6targetE0EEEvSY_.num_vgpr, 0
	.set _ZN7rocprim17ROCPRIM_400000_NS6detail17trampoline_kernelINS0_13select_configILj256ELj13ELNS0_17block_load_methodE3ELS4_3ELS4_3ELNS0_20block_scan_algorithmE0ELj4294967295EEENS1_25partition_config_selectorILNS1_17partition_subalgoE3EjNS0_10empty_typeEbEEZZNS1_14partition_implILS8_3ELb0ES6_jNS0_17counting_iteratorIjlEEPS9_SE_NS0_5tupleIJPjSE_EEENSF_IJSE_SE_EEES9_SG_JZNS1_25segmented_radix_sort_implINS0_14default_configELb0EPKbPbPKlPlN2at6native12_GLOBAL__N_18offset_tEEE10hipError_tPvRmT1_PNSt15iterator_traitsISY_E10value_typeET2_T3_PNSZ_IS14_E10value_typeET4_jRbjT5_S1A_jjP12ihipStream_tbEUljE_EEESV_SW_SX_S14_S18_S1A_T6_T7_T9_mT8_S1C_bDpT10_ENKUlT_T0_E_clISt17integral_constantIbLb0EES1P_EEDaS1K_S1L_EUlS1K_E_NS1_11comp_targetILNS1_3genE9ELNS1_11target_archE1100ELNS1_3gpuE3ELNS1_3repE0EEENS1_30default_config_static_selectorELNS0_4arch9wavefront6targetE0EEEvSY_.num_agpr, 0
	.set _ZN7rocprim17ROCPRIM_400000_NS6detail17trampoline_kernelINS0_13select_configILj256ELj13ELNS0_17block_load_methodE3ELS4_3ELS4_3ELNS0_20block_scan_algorithmE0ELj4294967295EEENS1_25partition_config_selectorILNS1_17partition_subalgoE3EjNS0_10empty_typeEbEEZZNS1_14partition_implILS8_3ELb0ES6_jNS0_17counting_iteratorIjlEEPS9_SE_NS0_5tupleIJPjSE_EEENSF_IJSE_SE_EEES9_SG_JZNS1_25segmented_radix_sort_implINS0_14default_configELb0EPKbPbPKlPlN2at6native12_GLOBAL__N_18offset_tEEE10hipError_tPvRmT1_PNSt15iterator_traitsISY_E10value_typeET2_T3_PNSZ_IS14_E10value_typeET4_jRbjT5_S1A_jjP12ihipStream_tbEUljE_EEESV_SW_SX_S14_S18_S1A_T6_T7_T9_mT8_S1C_bDpT10_ENKUlT_T0_E_clISt17integral_constantIbLb0EES1P_EEDaS1K_S1L_EUlS1K_E_NS1_11comp_targetILNS1_3genE9ELNS1_11target_archE1100ELNS1_3gpuE3ELNS1_3repE0EEENS1_30default_config_static_selectorELNS0_4arch9wavefront6targetE0EEEvSY_.numbered_sgpr, 0
	.set _ZN7rocprim17ROCPRIM_400000_NS6detail17trampoline_kernelINS0_13select_configILj256ELj13ELNS0_17block_load_methodE3ELS4_3ELS4_3ELNS0_20block_scan_algorithmE0ELj4294967295EEENS1_25partition_config_selectorILNS1_17partition_subalgoE3EjNS0_10empty_typeEbEEZZNS1_14partition_implILS8_3ELb0ES6_jNS0_17counting_iteratorIjlEEPS9_SE_NS0_5tupleIJPjSE_EEENSF_IJSE_SE_EEES9_SG_JZNS1_25segmented_radix_sort_implINS0_14default_configELb0EPKbPbPKlPlN2at6native12_GLOBAL__N_18offset_tEEE10hipError_tPvRmT1_PNSt15iterator_traitsISY_E10value_typeET2_T3_PNSZ_IS14_E10value_typeET4_jRbjT5_S1A_jjP12ihipStream_tbEUljE_EEESV_SW_SX_S14_S18_S1A_T6_T7_T9_mT8_S1C_bDpT10_ENKUlT_T0_E_clISt17integral_constantIbLb0EES1P_EEDaS1K_S1L_EUlS1K_E_NS1_11comp_targetILNS1_3genE9ELNS1_11target_archE1100ELNS1_3gpuE3ELNS1_3repE0EEENS1_30default_config_static_selectorELNS0_4arch9wavefront6targetE0EEEvSY_.num_named_barrier, 0
	.set _ZN7rocprim17ROCPRIM_400000_NS6detail17trampoline_kernelINS0_13select_configILj256ELj13ELNS0_17block_load_methodE3ELS4_3ELS4_3ELNS0_20block_scan_algorithmE0ELj4294967295EEENS1_25partition_config_selectorILNS1_17partition_subalgoE3EjNS0_10empty_typeEbEEZZNS1_14partition_implILS8_3ELb0ES6_jNS0_17counting_iteratorIjlEEPS9_SE_NS0_5tupleIJPjSE_EEENSF_IJSE_SE_EEES9_SG_JZNS1_25segmented_radix_sort_implINS0_14default_configELb0EPKbPbPKlPlN2at6native12_GLOBAL__N_18offset_tEEE10hipError_tPvRmT1_PNSt15iterator_traitsISY_E10value_typeET2_T3_PNSZ_IS14_E10value_typeET4_jRbjT5_S1A_jjP12ihipStream_tbEUljE_EEESV_SW_SX_S14_S18_S1A_T6_T7_T9_mT8_S1C_bDpT10_ENKUlT_T0_E_clISt17integral_constantIbLb0EES1P_EEDaS1K_S1L_EUlS1K_E_NS1_11comp_targetILNS1_3genE9ELNS1_11target_archE1100ELNS1_3gpuE3ELNS1_3repE0EEENS1_30default_config_static_selectorELNS0_4arch9wavefront6targetE0EEEvSY_.private_seg_size, 0
	.set _ZN7rocprim17ROCPRIM_400000_NS6detail17trampoline_kernelINS0_13select_configILj256ELj13ELNS0_17block_load_methodE3ELS4_3ELS4_3ELNS0_20block_scan_algorithmE0ELj4294967295EEENS1_25partition_config_selectorILNS1_17partition_subalgoE3EjNS0_10empty_typeEbEEZZNS1_14partition_implILS8_3ELb0ES6_jNS0_17counting_iteratorIjlEEPS9_SE_NS0_5tupleIJPjSE_EEENSF_IJSE_SE_EEES9_SG_JZNS1_25segmented_radix_sort_implINS0_14default_configELb0EPKbPbPKlPlN2at6native12_GLOBAL__N_18offset_tEEE10hipError_tPvRmT1_PNSt15iterator_traitsISY_E10value_typeET2_T3_PNSZ_IS14_E10value_typeET4_jRbjT5_S1A_jjP12ihipStream_tbEUljE_EEESV_SW_SX_S14_S18_S1A_T6_T7_T9_mT8_S1C_bDpT10_ENKUlT_T0_E_clISt17integral_constantIbLb0EES1P_EEDaS1K_S1L_EUlS1K_E_NS1_11comp_targetILNS1_3genE9ELNS1_11target_archE1100ELNS1_3gpuE3ELNS1_3repE0EEENS1_30default_config_static_selectorELNS0_4arch9wavefront6targetE0EEEvSY_.uses_vcc, 0
	.set _ZN7rocprim17ROCPRIM_400000_NS6detail17trampoline_kernelINS0_13select_configILj256ELj13ELNS0_17block_load_methodE3ELS4_3ELS4_3ELNS0_20block_scan_algorithmE0ELj4294967295EEENS1_25partition_config_selectorILNS1_17partition_subalgoE3EjNS0_10empty_typeEbEEZZNS1_14partition_implILS8_3ELb0ES6_jNS0_17counting_iteratorIjlEEPS9_SE_NS0_5tupleIJPjSE_EEENSF_IJSE_SE_EEES9_SG_JZNS1_25segmented_radix_sort_implINS0_14default_configELb0EPKbPbPKlPlN2at6native12_GLOBAL__N_18offset_tEEE10hipError_tPvRmT1_PNSt15iterator_traitsISY_E10value_typeET2_T3_PNSZ_IS14_E10value_typeET4_jRbjT5_S1A_jjP12ihipStream_tbEUljE_EEESV_SW_SX_S14_S18_S1A_T6_T7_T9_mT8_S1C_bDpT10_ENKUlT_T0_E_clISt17integral_constantIbLb0EES1P_EEDaS1K_S1L_EUlS1K_E_NS1_11comp_targetILNS1_3genE9ELNS1_11target_archE1100ELNS1_3gpuE3ELNS1_3repE0EEENS1_30default_config_static_selectorELNS0_4arch9wavefront6targetE0EEEvSY_.uses_flat_scratch, 0
	.set _ZN7rocprim17ROCPRIM_400000_NS6detail17trampoline_kernelINS0_13select_configILj256ELj13ELNS0_17block_load_methodE3ELS4_3ELS4_3ELNS0_20block_scan_algorithmE0ELj4294967295EEENS1_25partition_config_selectorILNS1_17partition_subalgoE3EjNS0_10empty_typeEbEEZZNS1_14partition_implILS8_3ELb0ES6_jNS0_17counting_iteratorIjlEEPS9_SE_NS0_5tupleIJPjSE_EEENSF_IJSE_SE_EEES9_SG_JZNS1_25segmented_radix_sort_implINS0_14default_configELb0EPKbPbPKlPlN2at6native12_GLOBAL__N_18offset_tEEE10hipError_tPvRmT1_PNSt15iterator_traitsISY_E10value_typeET2_T3_PNSZ_IS14_E10value_typeET4_jRbjT5_S1A_jjP12ihipStream_tbEUljE_EEESV_SW_SX_S14_S18_S1A_T6_T7_T9_mT8_S1C_bDpT10_ENKUlT_T0_E_clISt17integral_constantIbLb0EES1P_EEDaS1K_S1L_EUlS1K_E_NS1_11comp_targetILNS1_3genE9ELNS1_11target_archE1100ELNS1_3gpuE3ELNS1_3repE0EEENS1_30default_config_static_selectorELNS0_4arch9wavefront6targetE0EEEvSY_.has_dyn_sized_stack, 0
	.set _ZN7rocprim17ROCPRIM_400000_NS6detail17trampoline_kernelINS0_13select_configILj256ELj13ELNS0_17block_load_methodE3ELS4_3ELS4_3ELNS0_20block_scan_algorithmE0ELj4294967295EEENS1_25partition_config_selectorILNS1_17partition_subalgoE3EjNS0_10empty_typeEbEEZZNS1_14partition_implILS8_3ELb0ES6_jNS0_17counting_iteratorIjlEEPS9_SE_NS0_5tupleIJPjSE_EEENSF_IJSE_SE_EEES9_SG_JZNS1_25segmented_radix_sort_implINS0_14default_configELb0EPKbPbPKlPlN2at6native12_GLOBAL__N_18offset_tEEE10hipError_tPvRmT1_PNSt15iterator_traitsISY_E10value_typeET2_T3_PNSZ_IS14_E10value_typeET4_jRbjT5_S1A_jjP12ihipStream_tbEUljE_EEESV_SW_SX_S14_S18_S1A_T6_T7_T9_mT8_S1C_bDpT10_ENKUlT_T0_E_clISt17integral_constantIbLb0EES1P_EEDaS1K_S1L_EUlS1K_E_NS1_11comp_targetILNS1_3genE9ELNS1_11target_archE1100ELNS1_3gpuE3ELNS1_3repE0EEENS1_30default_config_static_selectorELNS0_4arch9wavefront6targetE0EEEvSY_.has_recursion, 0
	.set _ZN7rocprim17ROCPRIM_400000_NS6detail17trampoline_kernelINS0_13select_configILj256ELj13ELNS0_17block_load_methodE3ELS4_3ELS4_3ELNS0_20block_scan_algorithmE0ELj4294967295EEENS1_25partition_config_selectorILNS1_17partition_subalgoE3EjNS0_10empty_typeEbEEZZNS1_14partition_implILS8_3ELb0ES6_jNS0_17counting_iteratorIjlEEPS9_SE_NS0_5tupleIJPjSE_EEENSF_IJSE_SE_EEES9_SG_JZNS1_25segmented_radix_sort_implINS0_14default_configELb0EPKbPbPKlPlN2at6native12_GLOBAL__N_18offset_tEEE10hipError_tPvRmT1_PNSt15iterator_traitsISY_E10value_typeET2_T3_PNSZ_IS14_E10value_typeET4_jRbjT5_S1A_jjP12ihipStream_tbEUljE_EEESV_SW_SX_S14_S18_S1A_T6_T7_T9_mT8_S1C_bDpT10_ENKUlT_T0_E_clISt17integral_constantIbLb0EES1P_EEDaS1K_S1L_EUlS1K_E_NS1_11comp_targetILNS1_3genE9ELNS1_11target_archE1100ELNS1_3gpuE3ELNS1_3repE0EEENS1_30default_config_static_selectorELNS0_4arch9wavefront6targetE0EEEvSY_.has_indirect_call, 0
	.section	.AMDGPU.csdata,"",@progbits
; Kernel info:
; codeLenInByte = 0
; TotalNumSgprs: 0
; NumVgprs: 0
; ScratchSize: 0
; MemoryBound: 0
; FloatMode: 240
; IeeeMode: 1
; LDSByteSize: 0 bytes/workgroup (compile time only)
; SGPRBlocks: 0
; VGPRBlocks: 0
; NumSGPRsForWavesPerEU: 1
; NumVGPRsForWavesPerEU: 1
; Occupancy: 16
; WaveLimiterHint : 0
; COMPUTE_PGM_RSRC2:SCRATCH_EN: 0
; COMPUTE_PGM_RSRC2:USER_SGPR: 6
; COMPUTE_PGM_RSRC2:TRAP_HANDLER: 0
; COMPUTE_PGM_RSRC2:TGID_X_EN: 1
; COMPUTE_PGM_RSRC2:TGID_Y_EN: 0
; COMPUTE_PGM_RSRC2:TGID_Z_EN: 0
; COMPUTE_PGM_RSRC2:TIDIG_COMP_CNT: 0
	.section	.text._ZN7rocprim17ROCPRIM_400000_NS6detail17trampoline_kernelINS0_13select_configILj256ELj13ELNS0_17block_load_methodE3ELS4_3ELS4_3ELNS0_20block_scan_algorithmE0ELj4294967295EEENS1_25partition_config_selectorILNS1_17partition_subalgoE3EjNS0_10empty_typeEbEEZZNS1_14partition_implILS8_3ELb0ES6_jNS0_17counting_iteratorIjlEEPS9_SE_NS0_5tupleIJPjSE_EEENSF_IJSE_SE_EEES9_SG_JZNS1_25segmented_radix_sort_implINS0_14default_configELb0EPKbPbPKlPlN2at6native12_GLOBAL__N_18offset_tEEE10hipError_tPvRmT1_PNSt15iterator_traitsISY_E10value_typeET2_T3_PNSZ_IS14_E10value_typeET4_jRbjT5_S1A_jjP12ihipStream_tbEUljE_EEESV_SW_SX_S14_S18_S1A_T6_T7_T9_mT8_S1C_bDpT10_ENKUlT_T0_E_clISt17integral_constantIbLb0EES1P_EEDaS1K_S1L_EUlS1K_E_NS1_11comp_targetILNS1_3genE8ELNS1_11target_archE1030ELNS1_3gpuE2ELNS1_3repE0EEENS1_30default_config_static_selectorELNS0_4arch9wavefront6targetE0EEEvSY_,"axG",@progbits,_ZN7rocprim17ROCPRIM_400000_NS6detail17trampoline_kernelINS0_13select_configILj256ELj13ELNS0_17block_load_methodE3ELS4_3ELS4_3ELNS0_20block_scan_algorithmE0ELj4294967295EEENS1_25partition_config_selectorILNS1_17partition_subalgoE3EjNS0_10empty_typeEbEEZZNS1_14partition_implILS8_3ELb0ES6_jNS0_17counting_iteratorIjlEEPS9_SE_NS0_5tupleIJPjSE_EEENSF_IJSE_SE_EEES9_SG_JZNS1_25segmented_radix_sort_implINS0_14default_configELb0EPKbPbPKlPlN2at6native12_GLOBAL__N_18offset_tEEE10hipError_tPvRmT1_PNSt15iterator_traitsISY_E10value_typeET2_T3_PNSZ_IS14_E10value_typeET4_jRbjT5_S1A_jjP12ihipStream_tbEUljE_EEESV_SW_SX_S14_S18_S1A_T6_T7_T9_mT8_S1C_bDpT10_ENKUlT_T0_E_clISt17integral_constantIbLb0EES1P_EEDaS1K_S1L_EUlS1K_E_NS1_11comp_targetILNS1_3genE8ELNS1_11target_archE1030ELNS1_3gpuE2ELNS1_3repE0EEENS1_30default_config_static_selectorELNS0_4arch9wavefront6targetE0EEEvSY_,comdat
	.globl	_ZN7rocprim17ROCPRIM_400000_NS6detail17trampoline_kernelINS0_13select_configILj256ELj13ELNS0_17block_load_methodE3ELS4_3ELS4_3ELNS0_20block_scan_algorithmE0ELj4294967295EEENS1_25partition_config_selectorILNS1_17partition_subalgoE3EjNS0_10empty_typeEbEEZZNS1_14partition_implILS8_3ELb0ES6_jNS0_17counting_iteratorIjlEEPS9_SE_NS0_5tupleIJPjSE_EEENSF_IJSE_SE_EEES9_SG_JZNS1_25segmented_radix_sort_implINS0_14default_configELb0EPKbPbPKlPlN2at6native12_GLOBAL__N_18offset_tEEE10hipError_tPvRmT1_PNSt15iterator_traitsISY_E10value_typeET2_T3_PNSZ_IS14_E10value_typeET4_jRbjT5_S1A_jjP12ihipStream_tbEUljE_EEESV_SW_SX_S14_S18_S1A_T6_T7_T9_mT8_S1C_bDpT10_ENKUlT_T0_E_clISt17integral_constantIbLb0EES1P_EEDaS1K_S1L_EUlS1K_E_NS1_11comp_targetILNS1_3genE8ELNS1_11target_archE1030ELNS1_3gpuE2ELNS1_3repE0EEENS1_30default_config_static_selectorELNS0_4arch9wavefront6targetE0EEEvSY_ ; -- Begin function _ZN7rocprim17ROCPRIM_400000_NS6detail17trampoline_kernelINS0_13select_configILj256ELj13ELNS0_17block_load_methodE3ELS4_3ELS4_3ELNS0_20block_scan_algorithmE0ELj4294967295EEENS1_25partition_config_selectorILNS1_17partition_subalgoE3EjNS0_10empty_typeEbEEZZNS1_14partition_implILS8_3ELb0ES6_jNS0_17counting_iteratorIjlEEPS9_SE_NS0_5tupleIJPjSE_EEENSF_IJSE_SE_EEES9_SG_JZNS1_25segmented_radix_sort_implINS0_14default_configELb0EPKbPbPKlPlN2at6native12_GLOBAL__N_18offset_tEEE10hipError_tPvRmT1_PNSt15iterator_traitsISY_E10value_typeET2_T3_PNSZ_IS14_E10value_typeET4_jRbjT5_S1A_jjP12ihipStream_tbEUljE_EEESV_SW_SX_S14_S18_S1A_T6_T7_T9_mT8_S1C_bDpT10_ENKUlT_T0_E_clISt17integral_constantIbLb0EES1P_EEDaS1K_S1L_EUlS1K_E_NS1_11comp_targetILNS1_3genE8ELNS1_11target_archE1030ELNS1_3gpuE2ELNS1_3repE0EEENS1_30default_config_static_selectorELNS0_4arch9wavefront6targetE0EEEvSY_
	.p2align	8
	.type	_ZN7rocprim17ROCPRIM_400000_NS6detail17trampoline_kernelINS0_13select_configILj256ELj13ELNS0_17block_load_methodE3ELS4_3ELS4_3ELNS0_20block_scan_algorithmE0ELj4294967295EEENS1_25partition_config_selectorILNS1_17partition_subalgoE3EjNS0_10empty_typeEbEEZZNS1_14partition_implILS8_3ELb0ES6_jNS0_17counting_iteratorIjlEEPS9_SE_NS0_5tupleIJPjSE_EEENSF_IJSE_SE_EEES9_SG_JZNS1_25segmented_radix_sort_implINS0_14default_configELb0EPKbPbPKlPlN2at6native12_GLOBAL__N_18offset_tEEE10hipError_tPvRmT1_PNSt15iterator_traitsISY_E10value_typeET2_T3_PNSZ_IS14_E10value_typeET4_jRbjT5_S1A_jjP12ihipStream_tbEUljE_EEESV_SW_SX_S14_S18_S1A_T6_T7_T9_mT8_S1C_bDpT10_ENKUlT_T0_E_clISt17integral_constantIbLb0EES1P_EEDaS1K_S1L_EUlS1K_E_NS1_11comp_targetILNS1_3genE8ELNS1_11target_archE1030ELNS1_3gpuE2ELNS1_3repE0EEENS1_30default_config_static_selectorELNS0_4arch9wavefront6targetE0EEEvSY_,@function
_ZN7rocprim17ROCPRIM_400000_NS6detail17trampoline_kernelINS0_13select_configILj256ELj13ELNS0_17block_load_methodE3ELS4_3ELS4_3ELNS0_20block_scan_algorithmE0ELj4294967295EEENS1_25partition_config_selectorILNS1_17partition_subalgoE3EjNS0_10empty_typeEbEEZZNS1_14partition_implILS8_3ELb0ES6_jNS0_17counting_iteratorIjlEEPS9_SE_NS0_5tupleIJPjSE_EEENSF_IJSE_SE_EEES9_SG_JZNS1_25segmented_radix_sort_implINS0_14default_configELb0EPKbPbPKlPlN2at6native12_GLOBAL__N_18offset_tEEE10hipError_tPvRmT1_PNSt15iterator_traitsISY_E10value_typeET2_T3_PNSZ_IS14_E10value_typeET4_jRbjT5_S1A_jjP12ihipStream_tbEUljE_EEESV_SW_SX_S14_S18_S1A_T6_T7_T9_mT8_S1C_bDpT10_ENKUlT_T0_E_clISt17integral_constantIbLb0EES1P_EEDaS1K_S1L_EUlS1K_E_NS1_11comp_targetILNS1_3genE8ELNS1_11target_archE1030ELNS1_3gpuE2ELNS1_3repE0EEENS1_30default_config_static_selectorELNS0_4arch9wavefront6targetE0EEEvSY_: ; @_ZN7rocprim17ROCPRIM_400000_NS6detail17trampoline_kernelINS0_13select_configILj256ELj13ELNS0_17block_load_methodE3ELS4_3ELS4_3ELNS0_20block_scan_algorithmE0ELj4294967295EEENS1_25partition_config_selectorILNS1_17partition_subalgoE3EjNS0_10empty_typeEbEEZZNS1_14partition_implILS8_3ELb0ES6_jNS0_17counting_iteratorIjlEEPS9_SE_NS0_5tupleIJPjSE_EEENSF_IJSE_SE_EEES9_SG_JZNS1_25segmented_radix_sort_implINS0_14default_configELb0EPKbPbPKlPlN2at6native12_GLOBAL__N_18offset_tEEE10hipError_tPvRmT1_PNSt15iterator_traitsISY_E10value_typeET2_T3_PNSZ_IS14_E10value_typeET4_jRbjT5_S1A_jjP12ihipStream_tbEUljE_EEESV_SW_SX_S14_S18_S1A_T6_T7_T9_mT8_S1C_bDpT10_ENKUlT_T0_E_clISt17integral_constantIbLb0EES1P_EEDaS1K_S1L_EUlS1K_E_NS1_11comp_targetILNS1_3genE8ELNS1_11target_archE1030ELNS1_3gpuE2ELNS1_3repE0EEENS1_30default_config_static_selectorELNS0_4arch9wavefront6targetE0EEEvSY_
; %bb.0:
	s_clause 0x6
	s_load_dword s0, s[4:5], 0x70
	s_load_dwordx2 s[16:17], s[4:5], 0x10
	s_load_dwordx4 s[12:15], s[4:5], 0x48
	s_load_dwordx2 s[18:19], s[4:5], 0x58
	s_load_dword s7, s[4:5], 0x8
	s_load_dwordx4 s[8:11], s[4:5], 0x78
	s_load_dword s1, s[4:5], 0x88
	s_mul_i32 s26, s6, 0xd00
	v_lshlrev_b32_e32 v42, 2, v0
	s_waitcnt lgkmcnt(0)
	s_mul_i32 s2, s0, 0xd00
	s_add_i32 s0, s0, -1
	s_add_i32 s3, s2, s16
	s_load_dwordx2 s[20:21], s[14:15], 0x0
	s_sub_i32 s25, s18, s3
	s_addk_i32 s25, 0xd00
	s_add_u32 s2, s16, s2
	s_addc_u32 s3, s17, 0
	s_cmp_eq_u32 s6, s0
	v_cmp_gt_u64_e64 s2, s[18:19], s[2:3]
	s_cselect_b32 s24, -1, 0
	s_cmp_lg_u32 s6, s0
	s_cselect_b32 s0, -1, 0
	s_add_i32 s3, s7, s26
	s_or_b32 s2, s0, s2
	s_add_i32 s3, s3, s16
	s_and_b32 vcc_lo, exec_lo, s2
	v_add_nc_u32_e32 v1, s3, v0
	s_mov_b32 s7, -1
	s_cbranch_vccz .LBB1601_2
; %bb.1:
	v_add_nc_u32_e32 v2, 0x100, v1
	v_add_nc_u32_e32 v3, 0x200, v1
	v_add_nc_u32_e32 v4, 0x300, v1
	v_add_nc_u32_e32 v5, 0x400, v1
	v_add_nc_u32_e32 v6, 0x500, v1
	v_add_nc_u32_e32 v7, 0x600, v1
	v_add_nc_u32_e32 v8, 0x700, v1
	v_add_nc_u32_e32 v9, 0x800, v1
	v_add_nc_u32_e32 v10, 0x900, v1
	v_add_nc_u32_e32 v11, 0xa00, v1
	v_add_nc_u32_e32 v12, 0xb00, v1
	v_add_nc_u32_e32 v13, 0xc00, v1
	ds_write2st64_b32 v42, v1, v2 offset1:4
	ds_write2st64_b32 v42, v3, v4 offset0:8 offset1:12
	ds_write2st64_b32 v42, v5, v6 offset0:16 offset1:20
	;; [unrolled: 1-line block ×5, first 2 shown]
	ds_write_b32 v42, v13 offset:12288
	s_waitcnt lgkmcnt(0)
	s_mov_b32 s7, 0
	s_barrier
.LBB1601_2:
	v_cmp_gt_u32_e64 s0, s25, v0
	v_or_b32_e32 v41, 0x100, v0
	v_or_b32_e32 v40, 0x200, v0
	;; [unrolled: 1-line block ×12, first 2 shown]
	s_andn2_b32 vcc_lo, exec_lo, s7
	s_cbranch_vccnz .LBB1601_4
; %bb.3:
	v_add_nc_u32_e32 v2, s3, v41
	v_cmp_gt_u32_e32 vcc_lo, s25, v41
	v_add_nc_u32_e32 v3, s3, v40
	v_add_nc_u32_e32 v4, s3, v39
	;; [unrolled: 1-line block ×4, first 2 shown]
	v_cndmask_b32_e32 v2, 0, v2, vcc_lo
	v_cmp_gt_u32_e32 vcc_lo, s25, v40
	v_add_nc_u32_e32 v7, s3, v36
	v_add_nc_u32_e32 v8, s3, v35
	;; [unrolled: 1-line block ×4, first 2 shown]
	v_cndmask_b32_e32 v3, 0, v3, vcc_lo
	v_cmp_gt_u32_e32 vcc_lo, s25, v39
	v_add_nc_u32_e32 v11, s3, v32
	v_add_nc_u32_e32 v12, s3, v31
	v_cndmask_b32_e64 v1, 0, v1, s0
	v_add_nc_u32_e32 v13, s3, v30
	v_cndmask_b32_e32 v4, 0, v4, vcc_lo
	v_cmp_gt_u32_e32 vcc_lo, s25, v38
	v_cndmask_b32_e32 v5, 0, v5, vcc_lo
	v_cmp_gt_u32_e32 vcc_lo, s25, v37
	;; [unrolled: 2-line block ×9, first 2 shown]
	v_cndmask_b32_e32 v13, 0, v13, vcc_lo
	ds_write2st64_b32 v42, v1, v2 offset1:4
	ds_write2st64_b32 v42, v3, v4 offset0:8 offset1:12
	ds_write2st64_b32 v42, v5, v6 offset0:16 offset1:20
	;; [unrolled: 1-line block ×5, first 2 shown]
	ds_write_b32 v42, v13 offset:12288
	s_waitcnt lgkmcnt(0)
	s_barrier
.LBB1601_4:
	v_mul_u32_u24_e32 v45, 13, v0
	s_waitcnt lgkmcnt(0)
	buffer_gl0_inv
	v_cndmask_b32_e64 v43, 0, 1, s2
	s_andn2_b32 vcc_lo, exec_lo, s2
	v_lshlrev_b32_e32 v1, 2, v45
	ds_read2_b32 v[26:27], v1 offset0:2 offset1:3
	ds_read2_b32 v[22:23], v1 offset0:6 offset1:7
	;; [unrolled: 1-line block ×3, first 2 shown]
	ds_read2_b32 v[28:29], v1 offset1:1
	ds_read2_b32 v[18:19], v1 offset0:10 offset1:11
	ds_read_b32 v44, v1 offset:48
	ds_read2_b32 v[20:21], v1 offset0:8 offset1:9
	s_waitcnt lgkmcnt(0)
	s_barrier
	buffer_gl0_inv
	s_cbranch_vccnz .LBB1601_6
; %bb.5:
	v_add_nc_u32_e32 v1, s9, v27
	v_add_nc_u32_e32 v4, s9, v26
	;; [unrolled: 1-line block ×6, first 2 shown]
	v_mul_lo_u32 v4, v4, s8
	v_mul_lo_u32 v1, v1, s8
	v_mul_lo_u32 v5, v5, s10
	v_mul_lo_u32 v8, v8, s10
	v_add_nc_u32_e32 v3, s9, v28
	v_add_nc_u32_e32 v7, s11, v28
	v_mul_lo_u32 v2, v2, s8
	v_mul_lo_u32 v6, v6, s10
	v_add_nc_u32_e32 v10, s11, v25
	v_mul_lo_u32 v3, v3, s8
	v_mul_lo_u32 v7, v7, s10
	v_sub_nc_u32_e32 v1, v1, v5
	v_sub_nc_u32_e32 v4, v4, v8
	v_add_nc_u32_e32 v5, s9, v23
	v_add_nc_u32_e32 v8, s11, v23
	v_sub_nc_u32_e32 v2, v2, v6
	v_add_nc_u32_e32 v6, s9, v25
	v_add_nc_u32_e32 v9, s9, v22
	v_mul_lo_u32 v5, v5, s8
	v_mul_lo_u32 v8, v8, s10
	v_sub_nc_u32_e32 v3, v3, v7
	v_add_nc_u32_e32 v7, s9, v24
	v_add_nc_u32_e32 v11, s11, v22
	v_mul_lo_u32 v6, v6, s8
	v_mul_lo_u32 v10, v10, s10
	v_add_nc_u32_e32 v12, s11, v24
	v_mul_lo_u32 v9, v9, s8
	v_mul_lo_u32 v7, v7, s8
	;; [unrolled: 1-line block ×3, first 2 shown]
	v_sub_nc_u32_e32 v5, v5, v8
	v_mul_lo_u32 v8, v12, s10
	v_cmp_lt_u32_e32 vcc_lo, s1, v1
	v_sub_nc_u32_e32 v6, v6, v10
	v_add_nc_u32_e32 v10, s9, v19
	v_add_nc_u32_e32 v14, s11, v19
	;; [unrolled: 1-line block ×3, first 2 shown]
	v_cndmask_b32_e64 v1, 0, 1, vcc_lo
	v_cmp_lt_u32_e32 vcc_lo, s1, v2
	v_sub_nc_u32_e32 v7, v7, v8
	v_sub_nc_u32_e32 v8, v9, v11
	v_add_nc_u32_e32 v11, s9, v21
	v_mul_lo_u32 v10, v10, s8
	v_mul_lo_u32 v14, v14, s10
	v_cndmask_b32_e64 v2, 0, 1, vcc_lo
	v_cmp_lt_u32_e32 vcc_lo, s1, v5
	v_mul_lo_u32 v11, v11, s8
	v_mul_lo_u32 v15, v15, s10
	v_mov_b32_e32 v9, 8
	v_lshlrev_b16 v2, 8, v2
	v_cndmask_b32_e64 v5, 0, 1, vcc_lo
	v_cmp_lt_u32_e32 vcc_lo, s1, v6
	v_sub_nc_u32_e32 v10, v10, v14
	v_add_nc_u32_e32 v12, s9, v20
	v_add_nc_u32_e32 v16, s11, v20
	v_sub_nc_u32_e32 v11, v11, v15
	v_cndmask_b32_e64 v6, 0, 1, vcc_lo
	v_cmp_lt_u32_e32 vcc_lo, s1, v10
	v_lshrrev_b32_sdwa v2, v9, v2 dst_sel:BYTE_1 dst_unused:UNUSED_PAD src0_sel:DWORD src1_sel:DWORD
	v_add_nc_u32_e32 v13, s9, v18
	v_add_nc_u32_e32 v17, s11, v18
	v_mul_lo_u32 v12, v12, s8
	v_cndmask_b32_e64 v10, 0, 1, vcc_lo
	v_cmp_lt_u32_e32 vcc_lo, s1, v11
	v_mul_lo_u32 v16, v16, s10
	v_mul_lo_u32 v13, v13, s8
	;; [unrolled: 1-line block ×3, first 2 shown]
	v_add_nc_u32_e32 v14, s9, v44
	v_cndmask_b32_e64 v11, 0, 1, vcc_lo
	v_cmp_lt_u32_e32 vcc_lo, s1, v3
	v_add_nc_u32_e32 v15, s11, v44
	v_lshlrev_b16 v1, 8, v1
	v_sub_nc_u32_e32 v12, v12, v16
	v_lshlrev_b16 v11, 8, v11
	v_cndmask_b32_e64 v3, 0, 1, vcc_lo
	v_cmp_lt_u32_e32 vcc_lo, s1, v4
	v_sub_nc_u32_e32 v13, v13, v17
	v_mul_lo_u32 v14, v14, s8
	v_mul_lo_u32 v15, v15, s10
	v_or_b32_e32 v2, v3, v2
	v_cndmask_b32_e64 v3, 0, 1, vcc_lo
	v_cmp_lt_u32_e32 vcc_lo, s1, v7
	v_lshlrev_b16 v6, 8, v6
	v_lshlrev_b16 v10, 8, v10
	;; [unrolled: 1-line block ×3, first 2 shown]
	v_lshrrev_b32_sdwa v1, v9, v1 dst_sel:BYTE_1 dst_unused:UNUSED_PAD src0_sel:DWORD src1_sel:DWORD
	v_cndmask_b32_e64 v4, 0, 1, vcc_lo
	v_cmp_lt_u32_e32 vcc_lo, s1, v8
	v_lshrrev_b32_sdwa v8, v9, v11 dst_sel:BYTE_1 dst_unused:UNUSED_PAD src0_sel:DWORD src1_sel:DWORD
	v_lshrrev_b32_sdwa v6, v9, v6 dst_sel:BYTE_1 dst_unused:UNUSED_PAD src0_sel:DWORD src1_sel:DWORD
	v_sub_nc_u32_e32 v14, v14, v15
	v_lshrrev_b32_sdwa v9, v9, v10 dst_sel:BYTE_1 dst_unused:UNUSED_PAD src0_sel:DWORD src1_sel:DWORD
	v_cndmask_b32_e64 v7, 0, 1, vcc_lo
	v_cmp_lt_u32_e32 vcc_lo, s1, v12
	v_or_b32_sdwa v1, v3, v1 dst_sel:WORD_1 dst_unused:UNUSED_PAD src0_sel:DWORD src1_sel:DWORD
	v_or_b32_e32 v3, v4, v6
	v_or_b32_sdwa v4, v7, v5 dst_sel:WORD_1 dst_unused:UNUSED_PAD src0_sel:DWORD src1_sel:DWORD
	v_cndmask_b32_e64 v11, 0, 1, vcc_lo
	v_cmp_lt_u32_e32 vcc_lo, s1, v13
	v_or_b32_sdwa v50, v2, v1 dst_sel:DWORD dst_unused:UNUSED_PAD src0_sel:WORD_0 src1_sel:DWORD
	v_or_b32_sdwa v48, v3, v4 dst_sel:DWORD dst_unused:UNUSED_PAD src0_sel:WORD_0 src1_sel:DWORD
	v_or_b32_e32 v5, v11, v8
	v_cndmask_b32_e64 v10, 0, 1, vcc_lo
	v_cmp_lt_u32_e32 vcc_lo, s1, v14
	v_or_b32_sdwa v6, v10, v9 dst_sel:WORD_1 dst_unused:UNUSED_PAD src0_sel:DWORD src1_sel:DWORD
	v_cndmask_b32_e64 v46, 0, 1, vcc_lo
	v_or_b32_sdwa v47, v5, v6 dst_sel:DWORD dst_unused:UNUSED_PAD src0_sel:WORD_0 src1_sel:DWORD
	s_clause 0x1
	s_load_dwordx2 s[14:15], s[4:5], 0x28
	s_load_dwordx2 s[22:23], s[4:5], 0x68
	s_cbranch_execz .LBB1601_7
	s_branch .LBB1601_34
.LBB1601_6:
                                        ; implicit-def: $vgpr46
                                        ; implicit-def: $vgpr47
                                        ; implicit-def: $vgpr48
                                        ; implicit-def: $vgpr50
	s_clause 0x1
	s_load_dwordx2 s[14:15], s[4:5], 0x28
	s_load_dwordx2 s[22:23], s[4:5], 0x68
.LBB1601_7:
	v_mov_b32_e32 v2, 0
	v_mov_b32_e32 v1, 0
	s_mov_b32 s0, exec_lo
	v_cmpx_gt_u32_e64 s25, v45
	s_cbranch_execz .LBB1601_9
; %bb.8:
	v_add_nc_u32_e32 v1, s9, v28
	v_add_nc_u32_e32 v3, s11, v28
	v_mul_lo_u32 v1, v1, s8
	v_mul_lo_u32 v3, v3, s10
	v_sub_nc_u32_e32 v1, v1, v3
	v_cmp_lt_u32_e32 vcc_lo, s1, v1
	v_cndmask_b32_e64 v1, 0, 1, vcc_lo
.LBB1601_9:
	s_or_b32 exec_lo, exec_lo, s0
	v_add_nc_u32_e32 v3, 1, v45
	s_mov_b32 s0, exec_lo
	v_cmpx_gt_u32_e64 s25, v3
	s_cbranch_execz .LBB1601_11
; %bb.10:
	v_add_nc_u32_e32 v2, s9, v29
	v_add_nc_u32_e32 v3, s11, v29
	v_mul_lo_u32 v2, v2, s8
	v_mul_lo_u32 v3, v3, s10
	v_sub_nc_u32_e32 v2, v2, v3
	v_cmp_lt_u32_e32 vcc_lo, s1, v2
	v_cndmask_b32_e64 v2, 0, 1, vcc_lo
.LBB1601_11:
	s_or_b32 exec_lo, exec_lo, s0
	v_add_nc_u32_e32 v3, 2, v45
	v_mov_b32_e32 v4, 0
	v_cmp_gt_u32_e32 vcc_lo, s25, v3
	v_mov_b32_e32 v3, 0
	s_and_saveexec_b32 s0, vcc_lo
	s_cbranch_execz .LBB1601_13
; %bb.12:
	v_add_nc_u32_e32 v3, s9, v26
	v_add_nc_u32_e32 v5, s11, v26
	v_mul_lo_u32 v3, v3, s8
	v_mul_lo_u32 v5, v5, s10
	v_sub_nc_u32_e32 v3, v3, v5
	v_cmp_lt_u32_e32 vcc_lo, s1, v3
	v_cndmask_b32_e64 v3, 0, 1, vcc_lo
.LBB1601_13:
	s_or_b32 exec_lo, exec_lo, s0
	v_add_nc_u32_e32 v5, 3, v45
	s_mov_b32 s0, exec_lo
	v_cmpx_gt_u32_e64 s25, v5
	s_cbranch_execz .LBB1601_15
; %bb.14:
	v_add_nc_u32_e32 v4, s9, v27
	v_add_nc_u32_e32 v5, s11, v27
	v_mul_lo_u32 v4, v4, s8
	v_mul_lo_u32 v5, v5, s10
	v_sub_nc_u32_e32 v4, v4, v5
	v_cmp_lt_u32_e32 vcc_lo, s1, v4
	v_cndmask_b32_e64 v4, 0, 1, vcc_lo
.LBB1601_15:
	s_or_b32 exec_lo, exec_lo, s0
	v_add_nc_u32_e32 v5, 4, v45
	v_mov_b32_e32 v6, 0
	v_cmp_gt_u32_e32 vcc_lo, s25, v5
	v_mov_b32_e32 v5, 0
	s_and_saveexec_b32 s0, vcc_lo
	;; [unrolled: 30-line block ×5, first 2 shown]
	s_cbranch_execz .LBB1601_29
; %bb.28:
	v_add_nc_u32_e32 v11, s9, v18
	v_add_nc_u32_e32 v13, s11, v18
	v_mul_lo_u32 v11, v11, s8
	v_mul_lo_u32 v13, v13, s10
	v_sub_nc_u32_e32 v11, v11, v13
	v_cmp_lt_u32_e32 vcc_lo, s1, v11
	v_cndmask_b32_e64 v11, 0, 1, vcc_lo
.LBB1601_29:
	s_or_b32 exec_lo, exec_lo, s0
	v_add_nc_u32_e32 v13, 11, v45
	s_mov_b32 s0, exec_lo
	v_cmpx_gt_u32_e64 s25, v13
	s_cbranch_execz .LBB1601_31
; %bb.30:
	v_add_nc_u32_e32 v12, s9, v19
	v_add_nc_u32_e32 v13, s11, v19
	v_mul_lo_u32 v12, v12, s8
	v_mul_lo_u32 v13, v13, s10
	v_sub_nc_u32_e32 v12, v12, v13
	v_cmp_lt_u32_e32 vcc_lo, s1, v12
	v_cndmask_b32_e64 v12, 0, 1, vcc_lo
.LBB1601_31:
	s_or_b32 exec_lo, exec_lo, s0
	v_add_nc_u32_e32 v13, 12, v45
	v_mov_b32_e32 v46, 0
	s_mov_b32 s0, exec_lo
	v_cmpx_gt_u32_e64 s25, v13
	s_cbranch_execz .LBB1601_33
; %bb.32:
	v_add_nc_u32_e32 v13, s9, v44
	v_add_nc_u32_e32 v14, s11, v44
	v_mul_lo_u32 v13, v13, s8
	v_mul_lo_u32 v14, v14, s10
	v_sub_nc_u32_e32 v13, v13, v14
	v_cmp_lt_u32_e32 vcc_lo, s1, v13
	v_cndmask_b32_e64 v46, 0, 1, vcc_lo
.LBB1601_33:
	s_or_b32 exec_lo, exec_lo, s0
	v_lshlrev_b16 v2, 8, v2
	v_lshlrev_b16 v4, 8, v4
	;; [unrolled: 1-line block ×5, first 2 shown]
	v_or_b32_e32 v1, v1, v2
	v_lshlrev_b16 v2, 8, v12
	v_or_b32_sdwa v3, v3, v4 dst_sel:WORD_1 dst_unused:UNUSED_PAD src0_sel:DWORD src1_sel:DWORD
	v_or_b32_e32 v4, v5, v6
	v_or_b32_sdwa v5, v7, v8 dst_sel:WORD_1 dst_unused:UNUSED_PAD src0_sel:DWORD src1_sel:DWORD
	v_or_b32_e32 v6, v9, v10
	v_or_b32_sdwa v2, v11, v2 dst_sel:WORD_1 dst_unused:UNUSED_PAD src0_sel:DWORD src1_sel:DWORD
	v_or_b32_sdwa v50, v1, v3 dst_sel:DWORD dst_unused:UNUSED_PAD src0_sel:WORD_0 src1_sel:DWORD
	v_or_b32_sdwa v48, v4, v5 dst_sel:DWORD dst_unused:UNUSED_PAD src0_sel:WORD_0 src1_sel:DWORD
	;; [unrolled: 1-line block ×3, first 2 shown]
.LBB1601_34:
	v_and_b32_e32 v53, 0xff, v50
	v_bfe_u32 v54, v50, 8, 8
	v_bfe_u32 v55, v50, 16, 8
	v_lshrrev_b32_e32 v52, 24, v50
	v_and_b32_e32 v56, 0xff, v48
	v_bfe_u32 v57, v48, 8, 8
	v_bfe_u32 v58, v48, 16, 8
	v_add3_u32 v1, v54, v53, v55
	v_lshrrev_b32_e32 v51, 24, v48
	v_and_b32_e32 v59, 0xff, v47
	v_bfe_u32 v60, v47, 8, 8
	v_mbcnt_lo_u32_b32 v62, -1, 0
	v_add3_u32 v1, v1, v52, v56
	v_bfe_u32 v61, v47, 16, 8
	v_lshrrev_b32_e32 v49, 24, v47
	v_and_b32_e32 v2, 0xff, v46
	v_and_b32_e32 v3, 15, v62
	v_add3_u32 v1, v1, v57, v58
	v_or_b32_e32 v4, 31, v0
	v_and_b32_e32 v5, 16, v62
	v_lshrrev_b32_e32 v63, 5, v0
	v_cmp_eq_u32_e64 s5, 0, v3
	v_add3_u32 v1, v1, v51, v59
	v_cmp_lt_u32_e64 s4, 1, v3
	v_cmp_lt_u32_e64 s3, 3, v3
	;; [unrolled: 1-line block ×3, first 2 shown]
	v_cmp_eq_u32_e64 s1, 0, v5
	v_add3_u32 v1, v1, v60, v61
	v_cmp_eq_u32_e64 s0, v0, v4
	s_cmp_lg_u32 s6, 0
	s_mov_b32 s7, -1
	v_add3_u32 v64, v1, v49, v2
	s_cbranch_scc0 .LBB1601_56
; %bb.35:
	v_mov_b32_dpp v1, v64 row_shr:1 row_mask:0xf bank_mask:0xf
	v_cndmask_b32_e64 v1, v1, 0, s5
	v_add_nc_u32_e32 v1, v1, v64
	v_mov_b32_dpp v2, v1 row_shr:2 row_mask:0xf bank_mask:0xf
	v_cndmask_b32_e64 v2, 0, v2, s4
	v_add_nc_u32_e32 v1, v1, v2
	v_mov_b32_dpp v2, v1 row_shr:4 row_mask:0xf bank_mask:0xf
	v_cndmask_b32_e64 v2, 0, v2, s3
	v_add_nc_u32_e32 v1, v1, v2
	v_mov_b32_dpp v2, v1 row_shr:8 row_mask:0xf bank_mask:0xf
	v_cndmask_b32_e64 v2, 0, v2, s2
	v_add_nc_u32_e32 v1, v1, v2
	ds_swizzle_b32 v2, v1 offset:swizzle(BROADCAST,32,15)
	s_waitcnt lgkmcnt(0)
	v_cndmask_b32_e64 v2, v2, 0, s1
	v_add_nc_u32_e32 v1, v1, v2
	s_and_saveexec_b32 s7, s0
; %bb.36:
	v_lshlrev_b32_e32 v2, 2, v63
	ds_write_b32 v2, v1
; %bb.37:
	s_or_b32 exec_lo, exec_lo, s7
	s_mov_b32 s7, exec_lo
	s_waitcnt lgkmcnt(0)
	s_barrier
	buffer_gl0_inv
	v_cmpx_gt_u32_e32 8, v0
	s_cbranch_execz .LBB1601_39
; %bb.38:
	ds_read_b32 v2, v42
	v_and_b32_e32 v3, 7, v62
	v_cmp_ne_u32_e32 vcc_lo, 0, v3
	s_waitcnt lgkmcnt(0)
	v_mov_b32_dpp v4, v2 row_shr:1 row_mask:0xf bank_mask:0xf
	v_cndmask_b32_e32 v4, 0, v4, vcc_lo
	v_cmp_lt_u32_e32 vcc_lo, 1, v3
	v_add_nc_u32_e32 v2, v4, v2
	v_mov_b32_dpp v4, v2 row_shr:2 row_mask:0xf bank_mask:0xf
	v_cndmask_b32_e32 v4, 0, v4, vcc_lo
	v_cmp_lt_u32_e32 vcc_lo, 3, v3
	v_add_nc_u32_e32 v2, v2, v4
	v_mov_b32_dpp v4, v2 row_shr:4 row_mask:0xf bank_mask:0xf
	v_cndmask_b32_e32 v3, 0, v4, vcc_lo
	v_add_nc_u32_e32 v2, v2, v3
	ds_write_b32 v42, v2
.LBB1601_39:
	s_or_b32 exec_lo, exec_lo, s7
	s_mov_b32 s8, exec_lo
	v_cmp_gt_u32_e32 vcc_lo, 32, v0
	s_waitcnt lgkmcnt(0)
	s_barrier
	buffer_gl0_inv
                                        ; implicit-def: $vgpr10
	v_cmpx_lt_u32_e32 31, v0
	s_cbranch_execz .LBB1601_41
; %bb.40:
	v_lshl_add_u32 v2, v63, 2, -4
	ds_read_b32 v10, v2
	s_waitcnt lgkmcnt(0)
	v_add_nc_u32_e32 v1, v10, v1
.LBB1601_41:
	s_or_b32 exec_lo, exec_lo, s8
	v_sub_co_u32 v2, s7, v62, 1
	v_cmp_gt_i32_e64 s8, 0, v2
	v_cndmask_b32_e64 v2, v2, v62, s8
	v_lshlrev_b32_e32 v2, 2, v2
	ds_bpermute_b32 v11, v2, v1
	s_and_saveexec_b32 s8, vcc_lo
	s_cbranch_execz .LBB1601_61
; %bb.42:
	v_mov_b32_e32 v7, 0
	ds_read_b32 v1, v7 offset:28
	s_and_saveexec_b32 s9, s7
	s_cbranch_execz .LBB1601_44
; %bb.43:
	s_add_i32 s10, s6, 32
	s_mov_b32 s11, 0
	v_mov_b32_e32 v2, 1
	s_lshl_b64 s[10:11], s[10:11], 3
	s_add_u32 s10, s22, s10
	s_addc_u32 s11, s23, s11
	s_waitcnt lgkmcnt(0)
	global_store_dwordx2 v7, v[1:2], s[10:11]
.LBB1601_44:
	s_or_b32 exec_lo, exec_lo, s9
	v_xad_u32 v3, v62, -1, s6
	s_mov_b32 s10, 0
	v_add_nc_u32_e32 v6, 32, v3
	v_lshlrev_b64 v[4:5], 3, v[6:7]
	v_add_co_u32 v8, vcc_lo, s22, v4
	v_add_co_ci_u32_e64 v9, null, s23, v5, vcc_lo
	global_load_dwordx2 v[5:6], v[8:9], off glc dlc
	s_waitcnt vmcnt(0)
	v_cmp_eq_u16_sdwa s11, v6, v7 src0_sel:BYTE_0 src1_sel:DWORD
	s_and_saveexec_b32 s9, s11
	s_cbranch_execz .LBB1601_48
; %bb.45:
	v_mov_b32_e32 v2, 0
.LBB1601_46:                            ; =>This Inner Loop Header: Depth=1
	global_load_dwordx2 v[5:6], v[8:9], off glc dlc
	s_waitcnt vmcnt(0)
	v_cmp_ne_u16_sdwa s11, v6, v2 src0_sel:BYTE_0 src1_sel:DWORD
	s_or_b32 s10, s11, s10
	s_andn2_b32 exec_lo, exec_lo, s10
	s_cbranch_execnz .LBB1601_46
; %bb.47:
	s_or_b32 exec_lo, exec_lo, s10
.LBB1601_48:
	s_or_b32 exec_lo, exec_lo, s9
	v_cmp_ne_u32_e32 vcc_lo, 31, v62
	v_mov_b32_e32 v12, 2
	v_lshlrev_b32_e64 v13, v62, -1
	v_add_nc_u32_e32 v15, 2, v62
	v_add_nc_u32_e32 v17, 4, v62
	v_add_co_ci_u32_e64 v2, null, 0, v62, vcc_lo
	v_cmp_eq_u16_sdwa s9, v6, v12 src0_sel:BYTE_0 src1_sel:DWORD
	v_cmp_gt_u32_e32 vcc_lo, 30, v62
	v_add_nc_u32_e32 v66, 8, v62
	v_lshlrev_b32_e32 v9, 2, v2
	v_lshl_or_b32 v67, v62, 2, 64
	v_and_or_b32 v4, s9, v13, 0x80000000
	v_cndmask_b32_e64 v7, 0, 2, vcc_lo
	v_add_nc_u32_e32 v68, 16, v62
	ds_bpermute_b32 v2, v9, v5
	v_ffbl_b32_e32 v4, v4
	v_add_lshl_u32 v14, v7, v62, 2
	v_cmp_lt_u32_e32 vcc_lo, v62, v4
	s_waitcnt lgkmcnt(0)
	v_cndmask_b32_e32 v2, 0, v2, vcc_lo
	v_cmp_gt_u32_e32 vcc_lo, 28, v62
	v_add_nc_u32_e32 v2, v2, v5
	v_cndmask_b32_e64 v7, 0, 4, vcc_lo
	v_cmp_le_u32_e32 vcc_lo, v15, v4
	ds_bpermute_b32 v5, v14, v2
	v_add_lshl_u32 v16, v7, v62, 2
	s_waitcnt lgkmcnt(0)
	v_cndmask_b32_e32 v5, 0, v5, vcc_lo
	v_cmp_gt_u32_e32 vcc_lo, 24, v62
	v_add_nc_u32_e32 v2, v2, v5
	v_cndmask_b32_e64 v7, 0, 8, vcc_lo
	v_cmp_le_u32_e32 vcc_lo, v17, v4
	ds_bpermute_b32 v5, v16, v2
	v_add_lshl_u32 v65, v7, v62, 2
	s_waitcnt lgkmcnt(0)
	v_cndmask_b32_e32 v5, 0, v5, vcc_lo
	v_cmp_le_u32_e32 vcc_lo, v66, v4
	v_add_nc_u32_e32 v2, v2, v5
	ds_bpermute_b32 v5, v65, v2
	s_waitcnt lgkmcnt(0)
	v_cndmask_b32_e32 v5, 0, v5, vcc_lo
	v_cmp_le_u32_e32 vcc_lo, v68, v4
	v_add_nc_u32_e32 v2, v2, v5
	ds_bpermute_b32 v5, v67, v2
	s_waitcnt lgkmcnt(0)
	v_cndmask_b32_e32 v4, 0, v5, vcc_lo
	v_add_nc_u32_e32 v5, v2, v4
	v_mov_b32_e32 v4, 0
	s_branch .LBB1601_52
.LBB1601_49:                            ;   in Loop: Header=BB1601_52 Depth=1
	s_or_b32 exec_lo, exec_lo, s10
.LBB1601_50:                            ;   in Loop: Header=BB1601_52 Depth=1
	s_or_b32 exec_lo, exec_lo, s9
	ds_bpermute_b32 v7, v9, v5
	v_cmp_eq_u16_sdwa s9, v6, v12 src0_sel:BYTE_0 src1_sel:DWORD
	v_subrev_nc_u32_e32 v3, 32, v3
	v_and_or_b32 v8, s9, v13, 0x80000000
	s_mov_b32 s9, 0
	v_ffbl_b32_e32 v8, v8
	v_cmp_lt_u32_e32 vcc_lo, v62, v8
	s_waitcnt lgkmcnt(0)
	v_cndmask_b32_e32 v7, 0, v7, vcc_lo
	v_cmp_le_u32_e32 vcc_lo, v15, v8
	v_add_nc_u32_e32 v5, v7, v5
	ds_bpermute_b32 v7, v14, v5
	s_waitcnt lgkmcnt(0)
	v_cndmask_b32_e32 v7, 0, v7, vcc_lo
	v_cmp_le_u32_e32 vcc_lo, v17, v8
	v_add_nc_u32_e32 v5, v5, v7
	ds_bpermute_b32 v7, v16, v5
	;; [unrolled: 5-line block ×4, first 2 shown]
	s_waitcnt lgkmcnt(0)
	v_cndmask_b32_e32 v7, 0, v7, vcc_lo
	v_add3_u32 v5, v7, v2, v5
.LBB1601_51:                            ;   in Loop: Header=BB1601_52 Depth=1
	s_and_b32 vcc_lo, exec_lo, s9
	s_cbranch_vccnz .LBB1601_57
.LBB1601_52:                            ; =>This Loop Header: Depth=1
                                        ;     Child Loop BB1601_55 Depth 2
	v_cmp_ne_u16_sdwa s9, v6, v12 src0_sel:BYTE_0 src1_sel:DWORD
	v_mov_b32_e32 v2, v5
                                        ; implicit-def: $vgpr5
                                        ; implicit-def: $vgpr6
	s_cmp_lg_u32 s9, exec_lo
	s_mov_b32 s9, -1
	s_cbranch_scc1 .LBB1601_51
; %bb.53:                               ;   in Loop: Header=BB1601_52 Depth=1
	v_lshlrev_b64 v[5:6], 3, v[3:4]
	v_add_co_u32 v7, vcc_lo, s22, v5
	v_add_co_ci_u32_e64 v8, null, s23, v6, vcc_lo
	global_load_dwordx2 v[5:6], v[7:8], off glc dlc
	s_waitcnt vmcnt(0)
	v_cmp_eq_u16_sdwa s10, v6, v4 src0_sel:BYTE_0 src1_sel:DWORD
	s_and_saveexec_b32 s9, s10
	s_cbranch_execz .LBB1601_50
; %bb.54:                               ;   in Loop: Header=BB1601_52 Depth=1
	s_mov_b32 s10, 0
.LBB1601_55:                            ;   Parent Loop BB1601_52 Depth=1
                                        ; =>  This Inner Loop Header: Depth=2
	global_load_dwordx2 v[5:6], v[7:8], off glc dlc
	s_waitcnt vmcnt(0)
	v_cmp_ne_u16_sdwa s11, v6, v4 src0_sel:BYTE_0 src1_sel:DWORD
	s_or_b32 s10, s11, s10
	s_andn2_b32 exec_lo, exec_lo, s10
	s_cbranch_execnz .LBB1601_55
	s_branch .LBB1601_49
.LBB1601_56:
                                        ; implicit-def: $vgpr17
                                        ; implicit-def: $vgpr1_vgpr2_vgpr3_vgpr4_vgpr5_vgpr6_vgpr7_vgpr8_vgpr9_vgpr10_vgpr11_vgpr12_vgpr13_vgpr14_vgpr15_vgpr16
	s_and_b32 vcc_lo, exec_lo, s7
	s_cbranch_vccnz .LBB1601_62
	s_branch .LBB1601_71
.LBB1601_57:
	s_and_saveexec_b32 s9, s7
	s_cbranch_execz .LBB1601_59
; %bb.58:
	s_add_i32 s10, s6, 32
	s_mov_b32 s11, 0
	v_add_nc_u32_e32 v3, v2, v1
	v_mov_b32_e32 v4, 2
	s_lshl_b64 s[10:11], s[10:11], 3
	v_mov_b32_e32 v5, 0
	s_add_u32 s10, s22, s10
	s_addc_u32 s11, s23, s11
	global_store_dwordx2 v5, v[3:4], s[10:11]
	ds_write_b64 v5, v[1:2] offset:13312
.LBB1601_59:
	s_or_b32 exec_lo, exec_lo, s9
	v_cmp_eq_u32_e32 vcc_lo, 0, v0
	s_and_b32 exec_lo, exec_lo, vcc_lo
; %bb.60:
	v_mov_b32_e32 v1, 0
	ds_write_b32 v1, v2 offset:28
.LBB1601_61:
	s_or_b32 exec_lo, exec_lo, s8
	v_mov_b32_e32 v12, 0
	s_waitcnt lgkmcnt(0)
	s_waitcnt_vscnt null, 0x0
	s_barrier
	buffer_gl0_inv
	v_cndmask_b32_e64 v2, v11, v10, s7
	ds_read_b32 v1, v12 offset:28
	v_cmp_ne_u32_e32 vcc_lo, 0, v0
	s_waitcnt lgkmcnt(0)
	s_barrier
	buffer_gl0_inv
	ds_read_b64 v[16:17], v12 offset:13312
	v_cndmask_b32_e32 v2, 0, v2, vcc_lo
	v_add_nc_u32_e32 v1, v1, v2
	v_add_nc_u32_e32 v2, v1, v53
	;; [unrolled: 1-line block ×13, first 2 shown]
	s_branch .LBB1601_71
.LBB1601_62:
	v_mov_b32_dpp v1, v64 row_shr:1 row_mask:0xf bank_mask:0xf
	v_cndmask_b32_e64 v1, v1, 0, s5
	v_add_nc_u32_e32 v1, v1, v64
	v_mov_b32_dpp v2, v1 row_shr:2 row_mask:0xf bank_mask:0xf
	v_cndmask_b32_e64 v2, 0, v2, s4
	v_add_nc_u32_e32 v1, v1, v2
	;; [unrolled: 3-line block ×4, first 2 shown]
	ds_swizzle_b32 v2, v1 offset:swizzle(BROADCAST,32,15)
	s_waitcnt lgkmcnt(0)
	v_cndmask_b32_e64 v2, v2, 0, s1
	v_add_nc_u32_e32 v1, v1, v2
	s_and_saveexec_b32 s1, s0
; %bb.63:
	v_lshlrev_b32_e32 v2, 2, v63
	ds_write_b32 v2, v1
; %bb.64:
	s_or_b32 exec_lo, exec_lo, s1
	s_mov_b32 s0, exec_lo
	s_waitcnt lgkmcnt(0)
	s_barrier
	buffer_gl0_inv
	v_cmpx_gt_u32_e32 8, v0
	s_cbranch_execz .LBB1601_66
; %bb.65:
	ds_read_b32 v2, v42
	v_and_b32_e32 v3, 7, v62
	v_cmp_ne_u32_e32 vcc_lo, 0, v3
	s_waitcnt lgkmcnt(0)
	v_mov_b32_dpp v4, v2 row_shr:1 row_mask:0xf bank_mask:0xf
	v_cndmask_b32_e32 v4, 0, v4, vcc_lo
	v_cmp_lt_u32_e32 vcc_lo, 1, v3
	v_add_nc_u32_e32 v2, v4, v2
	v_mov_b32_dpp v4, v2 row_shr:2 row_mask:0xf bank_mask:0xf
	v_cndmask_b32_e32 v4, 0, v4, vcc_lo
	v_cmp_lt_u32_e32 vcc_lo, 3, v3
	v_add_nc_u32_e32 v2, v2, v4
	v_mov_b32_dpp v4, v2 row_shr:4 row_mask:0xf bank_mask:0xf
	v_cndmask_b32_e32 v3, 0, v4, vcc_lo
	v_add_nc_u32_e32 v2, v2, v3
	ds_write_b32 v42, v2
.LBB1601_66:
	s_or_b32 exec_lo, exec_lo, s0
	v_mov_b32_e32 v3, 0
	v_mov_b32_e32 v2, 0
	s_mov_b32 s0, exec_lo
	s_waitcnt lgkmcnt(0)
	s_barrier
	buffer_gl0_inv
	v_cmpx_lt_u32_e32 31, v0
; %bb.67:
	v_lshl_add_u32 v2, v63, 2, -4
	ds_read_b32 v2, v2
; %bb.68:
	s_or_b32 exec_lo, exec_lo, s0
	v_sub_co_u32 v4, vcc_lo, v62, 1
	s_waitcnt lgkmcnt(0)
	v_add_nc_u32_e32 v1, v2, v1
	ds_read_b32 v16, v3 offset:28
	v_cmp_gt_i32_e64 s0, 0, v4
	v_cndmask_b32_e64 v4, v4, v62, s0
	v_cmp_eq_u32_e64 s0, 0, v0
	v_lshlrev_b32_e32 v4, 2, v4
	ds_bpermute_b32 v1, v4, v1
	s_and_saveexec_b32 s1, s0
	s_cbranch_execz .LBB1601_70
; %bb.69:
	v_mov_b32_e32 v3, 0
	v_mov_b32_e32 v17, 2
	s_waitcnt lgkmcnt(1)
	global_store_dwordx2 v3, v[16:17], s[22:23] offset:256
.LBB1601_70:
	s_or_b32 exec_lo, exec_lo, s1
	s_waitcnt lgkmcnt(0)
	v_cndmask_b32_e32 v1, v1, v2, vcc_lo
	v_mov_b32_e32 v17, 0
	s_waitcnt_vscnt null, 0x0
	s_barrier
	buffer_gl0_inv
	v_cndmask_b32_e64 v1, v1, 0, s0
	v_add_nc_u32_e32 v2, v1, v53
	v_add_nc_u32_e32 v3, v2, v54
	;; [unrolled: 1-line block ×12, first 2 shown]
.LBB1601_71:
	s_waitcnt lgkmcnt(0)
	v_add_nc_u32_e32 v45, v16, v45
	v_sub_nc_u32_e32 v1, v1, v17
	v_and_b32_e32 v54, 1, v50
	v_lshrrev_b32_e32 v53, 8, v50
	v_sub_nc_u32_e32 v2, v2, v17
	v_sub_nc_u32_e32 v3, v3, v17
	;; [unrolled: 1-line block ×3, first 2 shown]
	v_cmp_eq_u32_e32 vcc_lo, 1, v54
	v_and_b32_e32 v53, 1, v53
	v_mov_b32_e32 v56, 1
	v_sub_nc_u32_e32 v54, v45, v2
	v_sub_nc_u32_e32 v4, v4, v17
	v_cndmask_b32_e32 v1, v55, v1, vcc_lo
	v_sub_nc_u32_e32 v55, v45, v3
	v_and_b32_sdwa v50, v56, v50 dst_sel:DWORD dst_unused:UNUSED_PAD src0_sel:DWORD src1_sel:WORD_1
	v_add_nc_u32_e32 v54, 1, v54
	v_cmp_eq_u32_e32 vcc_lo, 1, v53
	v_lshlrev_b32_e32 v1, 2, v1
	v_and_b32_e32 v52, 1, v52
	v_sub_nc_u32_e32 v57, v45, v4
	v_add_nc_u32_e32 v55, 2, v55
	v_lshrrev_b32_e32 v15, 8, v48
	ds_write_b32 v1, v28
	v_cndmask_b32_e32 v1, v54, v2, vcc_lo
	v_cmp_eq_u32_e32 vcc_lo, 1, v50
	v_add_nc_u32_e32 v57, 3, v57
	v_lshrrev_b32_e32 v14, 8, v47
	v_lshlrev_b32_e32 v1, 2, v1
	v_cndmask_b32_e32 v2, v55, v3, vcc_lo
	v_cmp_eq_u32_e32 vcc_lo, 1, v52
	ds_write_b32 v1, v29
	v_lshlrev_b32_e32 v2, 2, v2
	v_cndmask_b32_e32 v3, v57, v4, vcc_lo
	v_sub_nc_u32_e32 v4, v5, v17
	v_sub_nc_u32_e32 v5, v6, v17
	v_lshlrev_b32_e32 v3, 2, v3
	v_sub_nc_u32_e32 v1, v45, v4
	v_sub_nc_u32_e32 v6, v45, v5
	ds_write_b32 v2, v26
	ds_write_b32 v3, v27
	v_and_b32_e32 v2, 1, v48
	v_add_nc_u32_e32 v1, 4, v1
	v_add_nc_u32_e32 v3, 5, v6
	v_sub_nc_u32_e32 v6, v7, v17
	v_and_b32_e32 v7, 1, v15
	v_cmp_eq_u32_e32 vcc_lo, 1, v2
	v_sub_nc_u32_e32 v2, v8, v17
	v_and_b32_e32 v8, 1, v51
	v_add_co_u32 v15, s0, s20, v17
	v_cndmask_b32_e32 v1, v1, v4, vcc_lo
	v_sub_nc_u32_e32 v4, v45, v6
	v_cmp_eq_u32_e32 vcc_lo, 1, v7
	v_and_b32_sdwa v7, v56, v48 dst_sel:DWORD dst_unused:UNUSED_PAD src0_sel:DWORD src1_sel:WORD_1
	v_lshlrev_b32_e32 v1, 2, v1
	v_add_nc_u32_e32 v4, 6, v4
	v_cndmask_b32_e32 v3, v3, v5, vcc_lo
	v_sub_nc_u32_e32 v5, v45, v2
	v_cmp_eq_u32_e32 vcc_lo, 1, v7
	v_sub_nc_u32_e32 v7, v13, v17
	v_lshlrev_b32_e32 v3, 2, v3
	v_add_nc_u32_e32 v5, 7, v5
	v_cndmask_b32_e32 v4, v4, v6, vcc_lo
	v_cmp_eq_u32_e32 vcc_lo, 1, v8
	v_sub_nc_u32_e32 v6, v9, v17
	ds_write_b32 v1, v24
	ds_write_b32 v3, v25
	v_lshlrev_b32_e32 v3, 2, v4
	v_cndmask_b32_e32 v2, v5, v2, vcc_lo
	v_sub_nc_u32_e32 v1, v45, v6
	v_and_b32_e32 v5, 1, v47
	v_sub_nc_u32_e32 v4, v10, v17
	v_and_b32_e32 v10, 1, v49
	v_lshlrev_b32_e32 v2, 2, v2
	v_add_nc_u32_e32 v1, 8, v1
	ds_write_b32 v3, v22
	ds_write_b32 v2, v23
	v_cmp_eq_u32_e32 vcc_lo, 1, v5
	v_sub_nc_u32_e32 v3, v11, v17
	v_sub_nc_u32_e32 v2, v45, v4
	;; [unrolled: 1-line block ×3, first 2 shown]
	v_and_b32_e32 v11, 1, v46
	v_cndmask_b32_e32 v1, v1, v6, vcc_lo
	v_and_b32_e32 v6, 1, v14
	v_sub_nc_u32_e32 v8, v45, v3
	v_add_nc_u32_e32 v2, 9, v2
	v_sub_nc_u32_e32 v9, v45, v5
	v_lshlrev_b32_e32 v1, 2, v1
	v_cmp_eq_u32_e32 vcc_lo, 1, v6
	v_add_nc_u32_e32 v6, 10, v8
	v_and_b32_sdwa v8, v56, v47 dst_sel:DWORD dst_unused:UNUSED_PAD src0_sel:DWORD src1_sel:WORD_1
	v_add_nc_u32_e32 v9, 11, v9
	v_add_co_ci_u32_e64 v17, null, s21, 0, s0
	v_cndmask_b32_e32 v2, v2, v4, vcc_lo
	v_cmp_eq_u32_e32 vcc_lo, 1, v8
	v_sub_nc_u32_e32 v4, v45, v7
	v_lshlrev_b32_e32 v2, 2, v2
	v_cndmask_b32_e32 v3, v6, v3, vcc_lo
	v_cmp_eq_u32_e32 vcc_lo, 1, v10
	v_add_nc_u32_e32 v4, 12, v4
	v_lshlrev_b32_e32 v3, 2, v3
	v_cndmask_b32_e32 v5, v9, v5, vcc_lo
	v_cmp_eq_u32_e32 vcc_lo, 1, v11
	v_lshlrev_b32_e32 v5, 2, v5
	v_cndmask_b32_e32 v4, v4, v7, vcc_lo
	v_cmp_ne_u32_e32 vcc_lo, 1, v43
	v_lshlrev_b32_e32 v4, 2, v4
	ds_write_b32 v1, v20
	ds_write_b32 v2, v21
	;; [unrolled: 1-line block ×5, first 2 shown]
	s_waitcnt lgkmcnt(0)
	s_barrier
	buffer_gl0_inv
	ds_read2st64_b32 v[11:12], v42 offset1:4
	ds_read2st64_b32 v[9:10], v42 offset0:8 offset1:12
	ds_read2st64_b32 v[7:8], v42 offset0:16 offset1:20
	;; [unrolled: 1-line block ×5, first 2 shown]
	ds_read_b32 v18, v42 offset:12288
	s_cbranch_vccnz .LBB1601_125
; %bb.72:
	s_sub_u32 s0, s18, s26
	v_sub_co_u32 v13, vcc_lo, v15, s16
	s_subb_u32 s1, s19, 0
	v_add_co_u32 v19, s0, s0, v16
	v_subrev_co_ci_u32_e64 v14, null, s17, v17, vcc_lo
	v_add_co_ci_u32_e64 v20, null, s1, 0, s0
	v_add_co_u32 v19, vcc_lo, v19, v13
	s_mov_b32 s0, exec_lo
	v_add_co_ci_u32_e64 v20, null, v20, v14, vcc_lo
                                        ; implicit-def: $vgpr13_vgpr14
	v_cmpx_ge_u32_e64 v0, v16
	s_xor_b32 s0, exec_lo, s0
; %bb.73:
	v_not_b32_e32 v13, v0
	v_ashrrev_i32_e32 v14, 31, v13
	v_add_co_u32 v13, vcc_lo, v19, v13
	v_add_co_ci_u32_e64 v14, null, v20, v14, vcc_lo
; %bb.74:
	s_andn2_saveexec_b32 s0, s0
; %bb.75:
	v_add_co_u32 v13, vcc_lo, v15, v0
	v_add_co_ci_u32_e64 v14, null, 0, v17, vcc_lo
; %bb.76:
	s_or_b32 exec_lo, exec_lo, s0
	v_lshlrev_b64 v[13:14], 2, v[13:14]
	s_mov_b32 s0, exec_lo
	v_add_co_u32 v13, vcc_lo, s14, v13
	v_add_co_ci_u32_e64 v14, null, s15, v14, vcc_lo
	s_waitcnt lgkmcnt(6)
	global_store_dword v[13:14], v11, off
                                        ; implicit-def: $vgpr13_vgpr14
	v_cmpx_ge_u32_e64 v41, v16
	s_xor_b32 s0, exec_lo, s0
; %bb.77:
	v_xor_b32_e32 v13, 0xfffffeff, v0
	v_ashrrev_i32_e32 v14, 31, v13
	v_add_co_u32 v13, vcc_lo, v19, v13
	v_add_co_ci_u32_e64 v14, null, v20, v14, vcc_lo
; %bb.78:
	s_andn2_saveexec_b32 s0, s0
; %bb.79:
	v_add_co_u32 v13, vcc_lo, v15, v41
	v_add_co_ci_u32_e64 v14, null, 0, v17, vcc_lo
; %bb.80:
	s_or_b32 exec_lo, exec_lo, s0
	v_lshlrev_b64 v[13:14], 2, v[13:14]
	s_mov_b32 s0, exec_lo
	v_add_co_u32 v13, vcc_lo, s14, v13
	v_add_co_ci_u32_e64 v14, null, s15, v14, vcc_lo
	global_store_dword v[13:14], v12, off
                                        ; implicit-def: $vgpr13_vgpr14
	v_cmpx_ge_u32_e64 v40, v16
	s_xor_b32 s0, exec_lo, s0
; %bb.81:
	v_xor_b32_e32 v13, 0xfffffdff, v0
	v_ashrrev_i32_e32 v14, 31, v13
	v_add_co_u32 v13, vcc_lo, v19, v13
	v_add_co_ci_u32_e64 v14, null, v20, v14, vcc_lo
; %bb.82:
	s_andn2_saveexec_b32 s0, s0
; %bb.83:
	v_add_co_u32 v13, vcc_lo, v15, v40
	v_add_co_ci_u32_e64 v14, null, 0, v17, vcc_lo
; %bb.84:
	s_or_b32 exec_lo, exec_lo, s0
	v_lshlrev_b64 v[13:14], 2, v[13:14]
	s_mov_b32 s0, exec_lo
	v_add_co_u32 v13, vcc_lo, s14, v13
	v_add_co_ci_u32_e64 v14, null, s15, v14, vcc_lo
	s_waitcnt lgkmcnt(5)
	global_store_dword v[13:14], v9, off
                                        ; implicit-def: $vgpr13_vgpr14
	v_cmpx_ge_u32_e64 v39, v16
	s_xor_b32 s0, exec_lo, s0
; %bb.85:
	v_xor_b32_e32 v13, 0xfffffcff, v0
	v_ashrrev_i32_e32 v14, 31, v13
	v_add_co_u32 v13, vcc_lo, v19, v13
	v_add_co_ci_u32_e64 v14, null, v20, v14, vcc_lo
; %bb.86:
	s_andn2_saveexec_b32 s0, s0
; %bb.87:
	v_add_co_u32 v13, vcc_lo, v15, v39
	v_add_co_ci_u32_e64 v14, null, 0, v17, vcc_lo
; %bb.88:
	s_or_b32 exec_lo, exec_lo, s0
	v_lshlrev_b64 v[13:14], 2, v[13:14]
	s_mov_b32 s0, exec_lo
	v_add_co_u32 v13, vcc_lo, s14, v13
	v_add_co_ci_u32_e64 v14, null, s15, v14, vcc_lo
	global_store_dword v[13:14], v10, off
                                        ; implicit-def: $vgpr13_vgpr14
	v_cmpx_ge_u32_e64 v38, v16
	s_xor_b32 s0, exec_lo, s0
; %bb.89:
	v_xor_b32_e32 v13, 0xfffffbff, v0
	;; [unrolled: 41-line block ×6, first 2 shown]
	v_ashrrev_i32_e32 v14, 31, v13
	v_add_co_u32 v13, vcc_lo, v19, v13
	v_add_co_ci_u32_e64 v14, null, v20, v14, vcc_lo
; %bb.122:
	s_andn2_saveexec_b32 s0, s0
; %bb.123:
	v_add_co_u32 v13, vcc_lo, v15, v30
	v_add_co_ci_u32_e64 v14, null, 0, v17, vcc_lo
; %bb.124:
	s_or_b32 exec_lo, exec_lo, s0
	s_mov_b32 s0, -1
	s_branch .LBB1601_205
.LBB1601_125:
	s_mov_b32 s0, 0
                                        ; implicit-def: $vgpr13_vgpr14
	s_cbranch_execz .LBB1601_205
; %bb.126:
	s_add_u32 s1, s16, s26
	s_addc_u32 s2, s17, 0
	s_sub_u32 s1, s18, s1
	s_subb_u32 s2, s19, s2
	v_add_co_u32 v13, s1, s1, v16
	v_add_co_ci_u32_e64 v14, null, s2, 0, s1
	s_mov_b32 s1, exec_lo
	v_add_co_u32 v19, vcc_lo, v13, v15
	v_add_co_ci_u32_e64 v20, null, v14, v17, vcc_lo
	v_cmpx_gt_u32_e64 s25, v0
	s_cbranch_execz .LBB1601_162
; %bb.127:
	s_mov_b32 s2, exec_lo
                                        ; implicit-def: $vgpr13_vgpr14
	v_cmpx_ge_u32_e64 v0, v16
	s_xor_b32 s2, exec_lo, s2
; %bb.128:
	v_not_b32_e32 v13, v0
	v_ashrrev_i32_e32 v14, 31, v13
	v_add_co_u32 v13, vcc_lo, v19, v13
	v_add_co_ci_u32_e64 v14, null, v20, v14, vcc_lo
; %bb.129:
	s_andn2_saveexec_b32 s2, s2
; %bb.130:
	v_add_co_u32 v13, vcc_lo, v15, v0
	v_add_co_ci_u32_e64 v14, null, 0, v17, vcc_lo
; %bb.131:
	s_or_b32 exec_lo, exec_lo, s2
	v_lshlrev_b64 v[13:14], 2, v[13:14]
	v_add_co_u32 v13, vcc_lo, s14, v13
	v_add_co_ci_u32_e64 v14, null, s15, v14, vcc_lo
	s_waitcnt lgkmcnt(6)
	global_store_dword v[13:14], v11, off
	s_or_b32 exec_lo, exec_lo, s1
	s_mov_b32 s1, exec_lo
	v_cmpx_gt_u32_e64 s25, v41
	s_cbranch_execnz .LBB1601_163
.LBB1601_132:
	s_or_b32 exec_lo, exec_lo, s1
	s_mov_b32 s1, exec_lo
	v_cmpx_gt_u32_e64 s25, v40
	s_cbranch_execz .LBB1601_168
.LBB1601_133:
	s_mov_b32 s2, exec_lo
                                        ; implicit-def: $vgpr11_vgpr12
	v_cmpx_ge_u32_e64 v40, v16
	s_xor_b32 s2, exec_lo, s2
	s_cbranch_execz .LBB1601_135
; %bb.134:
	s_waitcnt lgkmcnt(6)
	v_xor_b32_e32 v11, 0xfffffdff, v0
                                        ; implicit-def: $vgpr40
	v_ashrrev_i32_e32 v12, 31, v11
	v_add_co_u32 v11, vcc_lo, v19, v11
	v_add_co_ci_u32_e64 v12, null, v20, v12, vcc_lo
.LBB1601_135:
	s_andn2_saveexec_b32 s2, s2
	s_cbranch_execz .LBB1601_137
; %bb.136:
	s_waitcnt lgkmcnt(6)
	v_add_co_u32 v11, vcc_lo, v15, v40
	v_add_co_ci_u32_e64 v12, null, 0, v17, vcc_lo
.LBB1601_137:
	s_or_b32 exec_lo, exec_lo, s2
	s_waitcnt lgkmcnt(6)
	v_lshlrev_b64 v[11:12], 2, v[11:12]
	v_add_co_u32 v11, vcc_lo, s14, v11
	v_add_co_ci_u32_e64 v12, null, s15, v12, vcc_lo
	s_waitcnt lgkmcnt(5)
	global_store_dword v[11:12], v9, off
	s_or_b32 exec_lo, exec_lo, s1
	s_mov_b32 s1, exec_lo
	v_cmpx_gt_u32_e64 s25, v39
	s_cbranch_execnz .LBB1601_169
.LBB1601_138:
	s_or_b32 exec_lo, exec_lo, s1
	s_mov_b32 s1, exec_lo
	v_cmpx_gt_u32_e64 s25, v38
	s_cbranch_execz .LBB1601_174
.LBB1601_139:
	s_mov_b32 s2, exec_lo
                                        ; implicit-def: $vgpr9_vgpr10
	v_cmpx_ge_u32_e64 v38, v16
	s_xor_b32 s2, exec_lo, s2
	s_cbranch_execz .LBB1601_141
; %bb.140:
	s_waitcnt lgkmcnt(5)
	v_xor_b32_e32 v9, 0xfffffbff, v0
                                        ; implicit-def: $vgpr38
	v_ashrrev_i32_e32 v10, 31, v9
	v_add_co_u32 v9, vcc_lo, v19, v9
	v_add_co_ci_u32_e64 v10, null, v20, v10, vcc_lo
.LBB1601_141:
	s_andn2_saveexec_b32 s2, s2
	s_cbranch_execz .LBB1601_143
; %bb.142:
	s_waitcnt lgkmcnt(5)
	v_add_co_u32 v9, vcc_lo, v15, v38
	v_add_co_ci_u32_e64 v10, null, 0, v17, vcc_lo
.LBB1601_143:
	s_or_b32 exec_lo, exec_lo, s2
	s_waitcnt lgkmcnt(5)
	v_lshlrev_b64 v[9:10], 2, v[9:10]
	v_add_co_u32 v9, vcc_lo, s14, v9
	v_add_co_ci_u32_e64 v10, null, s15, v10, vcc_lo
	s_waitcnt lgkmcnt(4)
	global_store_dword v[9:10], v7, off
	s_or_b32 exec_lo, exec_lo, s1
	s_mov_b32 s1, exec_lo
	v_cmpx_gt_u32_e64 s25, v37
	s_cbranch_execnz .LBB1601_175
.LBB1601_144:
	s_or_b32 exec_lo, exec_lo, s1
	s_mov_b32 s1, exec_lo
	v_cmpx_gt_u32_e64 s25, v36
	s_cbranch_execz .LBB1601_180
.LBB1601_145:
	s_mov_b32 s2, exec_lo
                                        ; implicit-def: $vgpr7_vgpr8
	v_cmpx_ge_u32_e64 v36, v16
	s_xor_b32 s2, exec_lo, s2
	s_cbranch_execz .LBB1601_147
; %bb.146:
	s_waitcnt lgkmcnt(4)
	v_xor_b32_e32 v7, 0xfffff9ff, v0
                                        ; implicit-def: $vgpr36
	v_ashrrev_i32_e32 v8, 31, v7
	v_add_co_u32 v7, vcc_lo, v19, v7
	v_add_co_ci_u32_e64 v8, null, v20, v8, vcc_lo
.LBB1601_147:
	s_andn2_saveexec_b32 s2, s2
	s_cbranch_execz .LBB1601_149
; %bb.148:
	s_waitcnt lgkmcnt(4)
	v_add_co_u32 v7, vcc_lo, v15, v36
	v_add_co_ci_u32_e64 v8, null, 0, v17, vcc_lo
.LBB1601_149:
	s_or_b32 exec_lo, exec_lo, s2
	s_waitcnt lgkmcnt(4)
	v_lshlrev_b64 v[7:8], 2, v[7:8]
	v_add_co_u32 v7, vcc_lo, s14, v7
	v_add_co_ci_u32_e64 v8, null, s15, v8, vcc_lo
	s_waitcnt lgkmcnt(3)
	global_store_dword v[7:8], v5, off
	s_or_b32 exec_lo, exec_lo, s1
	s_mov_b32 s1, exec_lo
	v_cmpx_gt_u32_e64 s25, v35
	s_cbranch_execnz .LBB1601_181
.LBB1601_150:
	s_or_b32 exec_lo, exec_lo, s1
	s_mov_b32 s1, exec_lo
	v_cmpx_gt_u32_e64 s25, v34
	s_cbranch_execz .LBB1601_186
.LBB1601_151:
	s_mov_b32 s2, exec_lo
                                        ; implicit-def: $vgpr5_vgpr6
	v_cmpx_ge_u32_e64 v34, v16
	s_xor_b32 s2, exec_lo, s2
	s_cbranch_execz .LBB1601_153
; %bb.152:
	s_waitcnt lgkmcnt(3)
	v_xor_b32_e32 v5, 0xfffff7ff, v0
                                        ; implicit-def: $vgpr34
	v_ashrrev_i32_e32 v6, 31, v5
	v_add_co_u32 v5, vcc_lo, v19, v5
	v_add_co_ci_u32_e64 v6, null, v20, v6, vcc_lo
.LBB1601_153:
	s_andn2_saveexec_b32 s2, s2
	s_cbranch_execz .LBB1601_155
; %bb.154:
	s_waitcnt lgkmcnt(3)
	v_add_co_u32 v5, vcc_lo, v15, v34
	v_add_co_ci_u32_e64 v6, null, 0, v17, vcc_lo
.LBB1601_155:
	s_or_b32 exec_lo, exec_lo, s2
	s_waitcnt lgkmcnt(3)
	v_lshlrev_b64 v[5:6], 2, v[5:6]
	v_add_co_u32 v5, vcc_lo, s14, v5
	v_add_co_ci_u32_e64 v6, null, s15, v6, vcc_lo
	s_waitcnt lgkmcnt(2)
	global_store_dword v[5:6], v3, off
	s_or_b32 exec_lo, exec_lo, s1
	s_mov_b32 s1, exec_lo
	v_cmpx_gt_u32_e64 s25, v33
	s_cbranch_execnz .LBB1601_187
.LBB1601_156:
	s_or_b32 exec_lo, exec_lo, s1
	s_mov_b32 s1, exec_lo
	v_cmpx_gt_u32_e64 s25, v32
	s_cbranch_execz .LBB1601_192
.LBB1601_157:
	s_mov_b32 s2, exec_lo
                                        ; implicit-def: $vgpr3_vgpr4
	v_cmpx_ge_u32_e64 v32, v16
	s_xor_b32 s2, exec_lo, s2
	s_cbranch_execz .LBB1601_159
; %bb.158:
	s_waitcnt lgkmcnt(2)
	v_xor_b32_e32 v3, 0xfffff5ff, v0
                                        ; implicit-def: $vgpr32
	v_ashrrev_i32_e32 v4, 31, v3
	v_add_co_u32 v3, vcc_lo, v19, v3
	v_add_co_ci_u32_e64 v4, null, v20, v4, vcc_lo
.LBB1601_159:
	s_andn2_saveexec_b32 s2, s2
	s_cbranch_execz .LBB1601_161
; %bb.160:
	s_waitcnt lgkmcnt(2)
	v_add_co_u32 v3, vcc_lo, v15, v32
	v_add_co_ci_u32_e64 v4, null, 0, v17, vcc_lo
.LBB1601_161:
	s_or_b32 exec_lo, exec_lo, s2
	s_waitcnt lgkmcnt(2)
	v_lshlrev_b64 v[3:4], 2, v[3:4]
	v_add_co_u32 v3, vcc_lo, s14, v3
	v_add_co_ci_u32_e64 v4, null, s15, v4, vcc_lo
	s_waitcnt lgkmcnt(1)
	global_store_dword v[3:4], v1, off
	s_or_b32 exec_lo, exec_lo, s1
	s_mov_b32 s1, exec_lo
	v_cmpx_gt_u32_e64 s25, v31
	s_cbranch_execz .LBB1601_198
	s_branch .LBB1601_193
.LBB1601_162:
	s_or_b32 exec_lo, exec_lo, s1
	s_mov_b32 s1, exec_lo
	v_cmpx_gt_u32_e64 s25, v41
	s_cbranch_execz .LBB1601_132
.LBB1601_163:
	s_mov_b32 s2, exec_lo
                                        ; implicit-def: $vgpr13_vgpr14
	v_cmpx_ge_u32_e64 v41, v16
	s_xor_b32 s2, exec_lo, s2
	s_cbranch_execz .LBB1601_165
; %bb.164:
	s_waitcnt lgkmcnt(6)
	v_xor_b32_e32 v11, 0xfffffeff, v0
                                        ; implicit-def: $vgpr41
	v_ashrrev_i32_e32 v14, 31, v11
	v_add_co_u32 v13, vcc_lo, v19, v11
	v_add_co_ci_u32_e64 v14, null, v20, v14, vcc_lo
.LBB1601_165:
	s_andn2_saveexec_b32 s2, s2
; %bb.166:
	v_add_co_u32 v13, vcc_lo, v15, v41
	v_add_co_ci_u32_e64 v14, null, 0, v17, vcc_lo
; %bb.167:
	s_or_b32 exec_lo, exec_lo, s2
	v_lshlrev_b64 v[13:14], 2, v[13:14]
	v_add_co_u32 v13, vcc_lo, s14, v13
	v_add_co_ci_u32_e64 v14, null, s15, v14, vcc_lo
	s_waitcnt lgkmcnt(6)
	global_store_dword v[13:14], v12, off
	s_or_b32 exec_lo, exec_lo, s1
	s_mov_b32 s1, exec_lo
	v_cmpx_gt_u32_e64 s25, v40
	s_cbranch_execnz .LBB1601_133
.LBB1601_168:
	s_or_b32 exec_lo, exec_lo, s1
	s_mov_b32 s1, exec_lo
	v_cmpx_gt_u32_e64 s25, v39
	s_cbranch_execz .LBB1601_138
.LBB1601_169:
	s_mov_b32 s2, exec_lo
                                        ; implicit-def: $vgpr11_vgpr12
	v_cmpx_ge_u32_e64 v39, v16
	s_xor_b32 s2, exec_lo, s2
	s_cbranch_execz .LBB1601_171
; %bb.170:
	s_waitcnt lgkmcnt(5)
	v_xor_b32_e32 v9, 0xfffffcff, v0
                                        ; implicit-def: $vgpr39
	v_ashrrev_i32_e32 v12, 31, v9
	v_add_co_u32 v11, vcc_lo, v19, v9
	v_add_co_ci_u32_e64 v12, null, v20, v12, vcc_lo
.LBB1601_171:
	s_andn2_saveexec_b32 s2, s2
	s_cbranch_execz .LBB1601_173
; %bb.172:
	s_waitcnt lgkmcnt(6)
	v_add_co_u32 v11, vcc_lo, v15, v39
	v_add_co_ci_u32_e64 v12, null, 0, v17, vcc_lo
.LBB1601_173:
	s_or_b32 exec_lo, exec_lo, s2
	s_waitcnt lgkmcnt(6)
	v_lshlrev_b64 v[11:12], 2, v[11:12]
	v_add_co_u32 v11, vcc_lo, s14, v11
	v_add_co_ci_u32_e64 v12, null, s15, v12, vcc_lo
	s_waitcnt lgkmcnt(5)
	global_store_dword v[11:12], v10, off
	s_or_b32 exec_lo, exec_lo, s1
	s_mov_b32 s1, exec_lo
	v_cmpx_gt_u32_e64 s25, v38
	s_cbranch_execnz .LBB1601_139
.LBB1601_174:
	s_or_b32 exec_lo, exec_lo, s1
	s_mov_b32 s1, exec_lo
	v_cmpx_gt_u32_e64 s25, v37
	s_cbranch_execz .LBB1601_144
.LBB1601_175:
	s_mov_b32 s2, exec_lo
                                        ; implicit-def: $vgpr9_vgpr10
	v_cmpx_ge_u32_e64 v37, v16
	s_xor_b32 s2, exec_lo, s2
	s_cbranch_execz .LBB1601_177
; %bb.176:
	s_waitcnt lgkmcnt(4)
	v_xor_b32_e32 v7, 0xfffffaff, v0
                                        ; implicit-def: $vgpr37
	v_ashrrev_i32_e32 v10, 31, v7
	v_add_co_u32 v9, vcc_lo, v19, v7
	v_add_co_ci_u32_e64 v10, null, v20, v10, vcc_lo
.LBB1601_177:
	s_andn2_saveexec_b32 s2, s2
	s_cbranch_execz .LBB1601_179
; %bb.178:
	s_waitcnt lgkmcnt(5)
	v_add_co_u32 v9, vcc_lo, v15, v37
	v_add_co_ci_u32_e64 v10, null, 0, v17, vcc_lo
.LBB1601_179:
	s_or_b32 exec_lo, exec_lo, s2
	s_waitcnt lgkmcnt(5)
	v_lshlrev_b64 v[9:10], 2, v[9:10]
	v_add_co_u32 v9, vcc_lo, s14, v9
	v_add_co_ci_u32_e64 v10, null, s15, v10, vcc_lo
	s_waitcnt lgkmcnt(4)
	global_store_dword v[9:10], v8, off
	s_or_b32 exec_lo, exec_lo, s1
	s_mov_b32 s1, exec_lo
	v_cmpx_gt_u32_e64 s25, v36
	s_cbranch_execnz .LBB1601_145
.LBB1601_180:
	s_or_b32 exec_lo, exec_lo, s1
	s_mov_b32 s1, exec_lo
	v_cmpx_gt_u32_e64 s25, v35
	s_cbranch_execz .LBB1601_150
.LBB1601_181:
	s_mov_b32 s2, exec_lo
                                        ; implicit-def: $vgpr7_vgpr8
	v_cmpx_ge_u32_e64 v35, v16
	s_xor_b32 s2, exec_lo, s2
	s_cbranch_execz .LBB1601_183
; %bb.182:
	s_waitcnt lgkmcnt(3)
	v_xor_b32_e32 v5, 0xfffff8ff, v0
                                        ; implicit-def: $vgpr35
	v_ashrrev_i32_e32 v8, 31, v5
	v_add_co_u32 v7, vcc_lo, v19, v5
	v_add_co_ci_u32_e64 v8, null, v20, v8, vcc_lo
.LBB1601_183:
	s_andn2_saveexec_b32 s2, s2
	s_cbranch_execz .LBB1601_185
; %bb.184:
	s_waitcnt lgkmcnt(4)
	v_add_co_u32 v7, vcc_lo, v15, v35
	v_add_co_ci_u32_e64 v8, null, 0, v17, vcc_lo
.LBB1601_185:
	s_or_b32 exec_lo, exec_lo, s2
	s_waitcnt lgkmcnt(4)
	v_lshlrev_b64 v[7:8], 2, v[7:8]
	v_add_co_u32 v7, vcc_lo, s14, v7
	v_add_co_ci_u32_e64 v8, null, s15, v8, vcc_lo
	s_waitcnt lgkmcnt(3)
	global_store_dword v[7:8], v6, off
	s_or_b32 exec_lo, exec_lo, s1
	s_mov_b32 s1, exec_lo
	v_cmpx_gt_u32_e64 s25, v34
	s_cbranch_execnz .LBB1601_151
.LBB1601_186:
	s_or_b32 exec_lo, exec_lo, s1
	s_mov_b32 s1, exec_lo
	v_cmpx_gt_u32_e64 s25, v33
	s_cbranch_execz .LBB1601_156
.LBB1601_187:
	s_mov_b32 s2, exec_lo
                                        ; implicit-def: $vgpr5_vgpr6
	v_cmpx_ge_u32_e64 v33, v16
	s_xor_b32 s2, exec_lo, s2
	s_cbranch_execz .LBB1601_189
; %bb.188:
	s_waitcnt lgkmcnt(2)
	v_xor_b32_e32 v3, 0xfffff6ff, v0
                                        ; implicit-def: $vgpr33
	v_ashrrev_i32_e32 v6, 31, v3
	v_add_co_u32 v5, vcc_lo, v19, v3
	v_add_co_ci_u32_e64 v6, null, v20, v6, vcc_lo
.LBB1601_189:
	s_andn2_saveexec_b32 s2, s2
	s_cbranch_execz .LBB1601_191
; %bb.190:
	s_waitcnt lgkmcnt(3)
	v_add_co_u32 v5, vcc_lo, v15, v33
	v_add_co_ci_u32_e64 v6, null, 0, v17, vcc_lo
.LBB1601_191:
	s_or_b32 exec_lo, exec_lo, s2
	s_waitcnt lgkmcnt(3)
	v_lshlrev_b64 v[5:6], 2, v[5:6]
	v_add_co_u32 v5, vcc_lo, s14, v5
	v_add_co_ci_u32_e64 v6, null, s15, v6, vcc_lo
	s_waitcnt lgkmcnt(2)
	global_store_dword v[5:6], v4, off
	s_or_b32 exec_lo, exec_lo, s1
	s_mov_b32 s1, exec_lo
	v_cmpx_gt_u32_e64 s25, v32
	s_cbranch_execnz .LBB1601_157
.LBB1601_192:
	s_or_b32 exec_lo, exec_lo, s1
	s_mov_b32 s1, exec_lo
	v_cmpx_gt_u32_e64 s25, v31
	s_cbranch_execz .LBB1601_198
.LBB1601_193:
	s_mov_b32 s2, exec_lo
                                        ; implicit-def: $vgpr3_vgpr4
	v_cmpx_ge_u32_e64 v31, v16
	s_xor_b32 s2, exec_lo, s2
	s_cbranch_execz .LBB1601_195
; %bb.194:
	s_waitcnt lgkmcnt(1)
	v_xor_b32_e32 v1, 0xfffff4ff, v0
                                        ; implicit-def: $vgpr31
	v_ashrrev_i32_e32 v4, 31, v1
	v_add_co_u32 v3, vcc_lo, v19, v1
	v_add_co_ci_u32_e64 v4, null, v20, v4, vcc_lo
.LBB1601_195:
	s_andn2_saveexec_b32 s2, s2
	s_cbranch_execz .LBB1601_197
; %bb.196:
	s_waitcnt lgkmcnt(2)
	v_add_co_u32 v3, vcc_lo, v15, v31
	v_add_co_ci_u32_e64 v4, null, 0, v17, vcc_lo
.LBB1601_197:
	s_or_b32 exec_lo, exec_lo, s2
	s_waitcnt lgkmcnt(2)
	v_lshlrev_b64 v[3:4], 2, v[3:4]
	v_add_co_u32 v3, vcc_lo, s14, v3
	v_add_co_ci_u32_e64 v4, null, s15, v4, vcc_lo
	s_waitcnt lgkmcnt(1)
	global_store_dword v[3:4], v2, off
.LBB1601_198:
	s_or_b32 exec_lo, exec_lo, s1
	s_mov_b32 s1, exec_lo
                                        ; implicit-def: $vgpr13_vgpr14
	v_cmpx_gt_u32_e64 s25, v30
	s_cbranch_execz .LBB1601_204
; %bb.199:
	s_mov_b32 s2, exec_lo
                                        ; implicit-def: $vgpr13_vgpr14
	v_cmpx_ge_u32_e64 v30, v16
	s_xor_b32 s2, exec_lo, s2
	s_cbranch_execz .LBB1601_201
; %bb.200:
	s_waitcnt lgkmcnt(1)
	v_xor_b32_e32 v1, 0xfffff3ff, v0
                                        ; implicit-def: $vgpr30
	v_ashrrev_i32_e32 v2, 31, v1
	v_add_co_u32 v13, vcc_lo, v19, v1
	v_add_co_ci_u32_e64 v14, null, v20, v2, vcc_lo
.LBB1601_201:
	s_andn2_saveexec_b32 s2, s2
; %bb.202:
	v_add_co_u32 v13, vcc_lo, v15, v30
	v_add_co_ci_u32_e64 v14, null, 0, v17, vcc_lo
; %bb.203:
	s_or_b32 exec_lo, exec_lo, s2
	s_or_b32 s0, s0, exec_lo
.LBB1601_204:
	s_or_b32 exec_lo, exec_lo, s1
.LBB1601_205:
	s_and_saveexec_b32 s1, s0
	s_cbranch_execz .LBB1601_207
; %bb.206:
	s_waitcnt lgkmcnt(1)
	v_lshlrev_b64 v[1:2], 2, v[13:14]
	v_add_co_u32 v1, vcc_lo, s14, v1
	v_add_co_ci_u32_e64 v2, null, s15, v2, vcc_lo
	s_waitcnt lgkmcnt(0)
	global_store_dword v[1:2], v18, off
.LBB1601_207:
	s_or_b32 exec_lo, exec_lo, s1
	v_cmp_eq_u32_e32 vcc_lo, 0, v0
	s_and_b32 s0, vcc_lo, s24
	s_and_saveexec_b32 s1, s0
	s_cbranch_execz .LBB1601_209
; %bb.208:
	v_add_co_u32 v0, vcc_lo, v15, v16
	s_waitcnt lgkmcnt(1)
	v_mov_b32_e32 v2, 0
	v_add_co_ci_u32_e64 v1, null, 0, v17, vcc_lo
	global_store_dwordx2 v2, v[0:1], s[12:13]
.LBB1601_209:
	s_endpgm
	.section	.rodata,"a",@progbits
	.p2align	6, 0x0
	.amdhsa_kernel _ZN7rocprim17ROCPRIM_400000_NS6detail17trampoline_kernelINS0_13select_configILj256ELj13ELNS0_17block_load_methodE3ELS4_3ELS4_3ELNS0_20block_scan_algorithmE0ELj4294967295EEENS1_25partition_config_selectorILNS1_17partition_subalgoE3EjNS0_10empty_typeEbEEZZNS1_14partition_implILS8_3ELb0ES6_jNS0_17counting_iteratorIjlEEPS9_SE_NS0_5tupleIJPjSE_EEENSF_IJSE_SE_EEES9_SG_JZNS1_25segmented_radix_sort_implINS0_14default_configELb0EPKbPbPKlPlN2at6native12_GLOBAL__N_18offset_tEEE10hipError_tPvRmT1_PNSt15iterator_traitsISY_E10value_typeET2_T3_PNSZ_IS14_E10value_typeET4_jRbjT5_S1A_jjP12ihipStream_tbEUljE_EEESV_SW_SX_S14_S18_S1A_T6_T7_T9_mT8_S1C_bDpT10_ENKUlT_T0_E_clISt17integral_constantIbLb0EES1P_EEDaS1K_S1L_EUlS1K_E_NS1_11comp_targetILNS1_3genE8ELNS1_11target_archE1030ELNS1_3gpuE2ELNS1_3repE0EEENS1_30default_config_static_selectorELNS0_4arch9wavefront6targetE0EEEvSY_
		.amdhsa_group_segment_fixed_size 13320
		.amdhsa_private_segment_fixed_size 0
		.amdhsa_kernarg_size 144
		.amdhsa_user_sgpr_count 6
		.amdhsa_user_sgpr_private_segment_buffer 1
		.amdhsa_user_sgpr_dispatch_ptr 0
		.amdhsa_user_sgpr_queue_ptr 0
		.amdhsa_user_sgpr_kernarg_segment_ptr 1
		.amdhsa_user_sgpr_dispatch_id 0
		.amdhsa_user_sgpr_flat_scratch_init 0
		.amdhsa_user_sgpr_private_segment_size 0
		.amdhsa_wavefront_size32 1
		.amdhsa_uses_dynamic_stack 0
		.amdhsa_system_sgpr_private_segment_wavefront_offset 0
		.amdhsa_system_sgpr_workgroup_id_x 1
		.amdhsa_system_sgpr_workgroup_id_y 0
		.amdhsa_system_sgpr_workgroup_id_z 0
		.amdhsa_system_sgpr_workgroup_info 0
		.amdhsa_system_vgpr_workitem_id 0
		.amdhsa_next_free_vgpr 69
		.amdhsa_next_free_sgpr 27
		.amdhsa_reserve_vcc 1
		.amdhsa_reserve_flat_scratch 0
		.amdhsa_float_round_mode_32 0
		.amdhsa_float_round_mode_16_64 0
		.amdhsa_float_denorm_mode_32 3
		.amdhsa_float_denorm_mode_16_64 3
		.amdhsa_dx10_clamp 1
		.amdhsa_ieee_mode 1
		.amdhsa_fp16_overflow 0
		.amdhsa_workgroup_processor_mode 1
		.amdhsa_memory_ordered 1
		.amdhsa_forward_progress 1
		.amdhsa_shared_vgpr_count 0
		.amdhsa_exception_fp_ieee_invalid_op 0
		.amdhsa_exception_fp_denorm_src 0
		.amdhsa_exception_fp_ieee_div_zero 0
		.amdhsa_exception_fp_ieee_overflow 0
		.amdhsa_exception_fp_ieee_underflow 0
		.amdhsa_exception_fp_ieee_inexact 0
		.amdhsa_exception_int_div_zero 0
	.end_amdhsa_kernel
	.section	.text._ZN7rocprim17ROCPRIM_400000_NS6detail17trampoline_kernelINS0_13select_configILj256ELj13ELNS0_17block_load_methodE3ELS4_3ELS4_3ELNS0_20block_scan_algorithmE0ELj4294967295EEENS1_25partition_config_selectorILNS1_17partition_subalgoE3EjNS0_10empty_typeEbEEZZNS1_14partition_implILS8_3ELb0ES6_jNS0_17counting_iteratorIjlEEPS9_SE_NS0_5tupleIJPjSE_EEENSF_IJSE_SE_EEES9_SG_JZNS1_25segmented_radix_sort_implINS0_14default_configELb0EPKbPbPKlPlN2at6native12_GLOBAL__N_18offset_tEEE10hipError_tPvRmT1_PNSt15iterator_traitsISY_E10value_typeET2_T3_PNSZ_IS14_E10value_typeET4_jRbjT5_S1A_jjP12ihipStream_tbEUljE_EEESV_SW_SX_S14_S18_S1A_T6_T7_T9_mT8_S1C_bDpT10_ENKUlT_T0_E_clISt17integral_constantIbLb0EES1P_EEDaS1K_S1L_EUlS1K_E_NS1_11comp_targetILNS1_3genE8ELNS1_11target_archE1030ELNS1_3gpuE2ELNS1_3repE0EEENS1_30default_config_static_selectorELNS0_4arch9wavefront6targetE0EEEvSY_,"axG",@progbits,_ZN7rocprim17ROCPRIM_400000_NS6detail17trampoline_kernelINS0_13select_configILj256ELj13ELNS0_17block_load_methodE3ELS4_3ELS4_3ELNS0_20block_scan_algorithmE0ELj4294967295EEENS1_25partition_config_selectorILNS1_17partition_subalgoE3EjNS0_10empty_typeEbEEZZNS1_14partition_implILS8_3ELb0ES6_jNS0_17counting_iteratorIjlEEPS9_SE_NS0_5tupleIJPjSE_EEENSF_IJSE_SE_EEES9_SG_JZNS1_25segmented_radix_sort_implINS0_14default_configELb0EPKbPbPKlPlN2at6native12_GLOBAL__N_18offset_tEEE10hipError_tPvRmT1_PNSt15iterator_traitsISY_E10value_typeET2_T3_PNSZ_IS14_E10value_typeET4_jRbjT5_S1A_jjP12ihipStream_tbEUljE_EEESV_SW_SX_S14_S18_S1A_T6_T7_T9_mT8_S1C_bDpT10_ENKUlT_T0_E_clISt17integral_constantIbLb0EES1P_EEDaS1K_S1L_EUlS1K_E_NS1_11comp_targetILNS1_3genE8ELNS1_11target_archE1030ELNS1_3gpuE2ELNS1_3repE0EEENS1_30default_config_static_selectorELNS0_4arch9wavefront6targetE0EEEvSY_,comdat
.Lfunc_end1601:
	.size	_ZN7rocprim17ROCPRIM_400000_NS6detail17trampoline_kernelINS0_13select_configILj256ELj13ELNS0_17block_load_methodE3ELS4_3ELS4_3ELNS0_20block_scan_algorithmE0ELj4294967295EEENS1_25partition_config_selectorILNS1_17partition_subalgoE3EjNS0_10empty_typeEbEEZZNS1_14partition_implILS8_3ELb0ES6_jNS0_17counting_iteratorIjlEEPS9_SE_NS0_5tupleIJPjSE_EEENSF_IJSE_SE_EEES9_SG_JZNS1_25segmented_radix_sort_implINS0_14default_configELb0EPKbPbPKlPlN2at6native12_GLOBAL__N_18offset_tEEE10hipError_tPvRmT1_PNSt15iterator_traitsISY_E10value_typeET2_T3_PNSZ_IS14_E10value_typeET4_jRbjT5_S1A_jjP12ihipStream_tbEUljE_EEESV_SW_SX_S14_S18_S1A_T6_T7_T9_mT8_S1C_bDpT10_ENKUlT_T0_E_clISt17integral_constantIbLb0EES1P_EEDaS1K_S1L_EUlS1K_E_NS1_11comp_targetILNS1_3genE8ELNS1_11target_archE1030ELNS1_3gpuE2ELNS1_3repE0EEENS1_30default_config_static_selectorELNS0_4arch9wavefront6targetE0EEEvSY_, .Lfunc_end1601-_ZN7rocprim17ROCPRIM_400000_NS6detail17trampoline_kernelINS0_13select_configILj256ELj13ELNS0_17block_load_methodE3ELS4_3ELS4_3ELNS0_20block_scan_algorithmE0ELj4294967295EEENS1_25partition_config_selectorILNS1_17partition_subalgoE3EjNS0_10empty_typeEbEEZZNS1_14partition_implILS8_3ELb0ES6_jNS0_17counting_iteratorIjlEEPS9_SE_NS0_5tupleIJPjSE_EEENSF_IJSE_SE_EEES9_SG_JZNS1_25segmented_radix_sort_implINS0_14default_configELb0EPKbPbPKlPlN2at6native12_GLOBAL__N_18offset_tEEE10hipError_tPvRmT1_PNSt15iterator_traitsISY_E10value_typeET2_T3_PNSZ_IS14_E10value_typeET4_jRbjT5_S1A_jjP12ihipStream_tbEUljE_EEESV_SW_SX_S14_S18_S1A_T6_T7_T9_mT8_S1C_bDpT10_ENKUlT_T0_E_clISt17integral_constantIbLb0EES1P_EEDaS1K_S1L_EUlS1K_E_NS1_11comp_targetILNS1_3genE8ELNS1_11target_archE1030ELNS1_3gpuE2ELNS1_3repE0EEENS1_30default_config_static_selectorELNS0_4arch9wavefront6targetE0EEEvSY_
                                        ; -- End function
	.set _ZN7rocprim17ROCPRIM_400000_NS6detail17trampoline_kernelINS0_13select_configILj256ELj13ELNS0_17block_load_methodE3ELS4_3ELS4_3ELNS0_20block_scan_algorithmE0ELj4294967295EEENS1_25partition_config_selectorILNS1_17partition_subalgoE3EjNS0_10empty_typeEbEEZZNS1_14partition_implILS8_3ELb0ES6_jNS0_17counting_iteratorIjlEEPS9_SE_NS0_5tupleIJPjSE_EEENSF_IJSE_SE_EEES9_SG_JZNS1_25segmented_radix_sort_implINS0_14default_configELb0EPKbPbPKlPlN2at6native12_GLOBAL__N_18offset_tEEE10hipError_tPvRmT1_PNSt15iterator_traitsISY_E10value_typeET2_T3_PNSZ_IS14_E10value_typeET4_jRbjT5_S1A_jjP12ihipStream_tbEUljE_EEESV_SW_SX_S14_S18_S1A_T6_T7_T9_mT8_S1C_bDpT10_ENKUlT_T0_E_clISt17integral_constantIbLb0EES1P_EEDaS1K_S1L_EUlS1K_E_NS1_11comp_targetILNS1_3genE8ELNS1_11target_archE1030ELNS1_3gpuE2ELNS1_3repE0EEENS1_30default_config_static_selectorELNS0_4arch9wavefront6targetE0EEEvSY_.num_vgpr, 69
	.set _ZN7rocprim17ROCPRIM_400000_NS6detail17trampoline_kernelINS0_13select_configILj256ELj13ELNS0_17block_load_methodE3ELS4_3ELS4_3ELNS0_20block_scan_algorithmE0ELj4294967295EEENS1_25partition_config_selectorILNS1_17partition_subalgoE3EjNS0_10empty_typeEbEEZZNS1_14partition_implILS8_3ELb0ES6_jNS0_17counting_iteratorIjlEEPS9_SE_NS0_5tupleIJPjSE_EEENSF_IJSE_SE_EEES9_SG_JZNS1_25segmented_radix_sort_implINS0_14default_configELb0EPKbPbPKlPlN2at6native12_GLOBAL__N_18offset_tEEE10hipError_tPvRmT1_PNSt15iterator_traitsISY_E10value_typeET2_T3_PNSZ_IS14_E10value_typeET4_jRbjT5_S1A_jjP12ihipStream_tbEUljE_EEESV_SW_SX_S14_S18_S1A_T6_T7_T9_mT8_S1C_bDpT10_ENKUlT_T0_E_clISt17integral_constantIbLb0EES1P_EEDaS1K_S1L_EUlS1K_E_NS1_11comp_targetILNS1_3genE8ELNS1_11target_archE1030ELNS1_3gpuE2ELNS1_3repE0EEENS1_30default_config_static_selectorELNS0_4arch9wavefront6targetE0EEEvSY_.num_agpr, 0
	.set _ZN7rocprim17ROCPRIM_400000_NS6detail17trampoline_kernelINS0_13select_configILj256ELj13ELNS0_17block_load_methodE3ELS4_3ELS4_3ELNS0_20block_scan_algorithmE0ELj4294967295EEENS1_25partition_config_selectorILNS1_17partition_subalgoE3EjNS0_10empty_typeEbEEZZNS1_14partition_implILS8_3ELb0ES6_jNS0_17counting_iteratorIjlEEPS9_SE_NS0_5tupleIJPjSE_EEENSF_IJSE_SE_EEES9_SG_JZNS1_25segmented_radix_sort_implINS0_14default_configELb0EPKbPbPKlPlN2at6native12_GLOBAL__N_18offset_tEEE10hipError_tPvRmT1_PNSt15iterator_traitsISY_E10value_typeET2_T3_PNSZ_IS14_E10value_typeET4_jRbjT5_S1A_jjP12ihipStream_tbEUljE_EEESV_SW_SX_S14_S18_S1A_T6_T7_T9_mT8_S1C_bDpT10_ENKUlT_T0_E_clISt17integral_constantIbLb0EES1P_EEDaS1K_S1L_EUlS1K_E_NS1_11comp_targetILNS1_3genE8ELNS1_11target_archE1030ELNS1_3gpuE2ELNS1_3repE0EEENS1_30default_config_static_selectorELNS0_4arch9wavefront6targetE0EEEvSY_.numbered_sgpr, 27
	.set _ZN7rocprim17ROCPRIM_400000_NS6detail17trampoline_kernelINS0_13select_configILj256ELj13ELNS0_17block_load_methodE3ELS4_3ELS4_3ELNS0_20block_scan_algorithmE0ELj4294967295EEENS1_25partition_config_selectorILNS1_17partition_subalgoE3EjNS0_10empty_typeEbEEZZNS1_14partition_implILS8_3ELb0ES6_jNS0_17counting_iteratorIjlEEPS9_SE_NS0_5tupleIJPjSE_EEENSF_IJSE_SE_EEES9_SG_JZNS1_25segmented_radix_sort_implINS0_14default_configELb0EPKbPbPKlPlN2at6native12_GLOBAL__N_18offset_tEEE10hipError_tPvRmT1_PNSt15iterator_traitsISY_E10value_typeET2_T3_PNSZ_IS14_E10value_typeET4_jRbjT5_S1A_jjP12ihipStream_tbEUljE_EEESV_SW_SX_S14_S18_S1A_T6_T7_T9_mT8_S1C_bDpT10_ENKUlT_T0_E_clISt17integral_constantIbLb0EES1P_EEDaS1K_S1L_EUlS1K_E_NS1_11comp_targetILNS1_3genE8ELNS1_11target_archE1030ELNS1_3gpuE2ELNS1_3repE0EEENS1_30default_config_static_selectorELNS0_4arch9wavefront6targetE0EEEvSY_.num_named_barrier, 0
	.set _ZN7rocprim17ROCPRIM_400000_NS6detail17trampoline_kernelINS0_13select_configILj256ELj13ELNS0_17block_load_methodE3ELS4_3ELS4_3ELNS0_20block_scan_algorithmE0ELj4294967295EEENS1_25partition_config_selectorILNS1_17partition_subalgoE3EjNS0_10empty_typeEbEEZZNS1_14partition_implILS8_3ELb0ES6_jNS0_17counting_iteratorIjlEEPS9_SE_NS0_5tupleIJPjSE_EEENSF_IJSE_SE_EEES9_SG_JZNS1_25segmented_radix_sort_implINS0_14default_configELb0EPKbPbPKlPlN2at6native12_GLOBAL__N_18offset_tEEE10hipError_tPvRmT1_PNSt15iterator_traitsISY_E10value_typeET2_T3_PNSZ_IS14_E10value_typeET4_jRbjT5_S1A_jjP12ihipStream_tbEUljE_EEESV_SW_SX_S14_S18_S1A_T6_T7_T9_mT8_S1C_bDpT10_ENKUlT_T0_E_clISt17integral_constantIbLb0EES1P_EEDaS1K_S1L_EUlS1K_E_NS1_11comp_targetILNS1_3genE8ELNS1_11target_archE1030ELNS1_3gpuE2ELNS1_3repE0EEENS1_30default_config_static_selectorELNS0_4arch9wavefront6targetE0EEEvSY_.private_seg_size, 0
	.set _ZN7rocprim17ROCPRIM_400000_NS6detail17trampoline_kernelINS0_13select_configILj256ELj13ELNS0_17block_load_methodE3ELS4_3ELS4_3ELNS0_20block_scan_algorithmE0ELj4294967295EEENS1_25partition_config_selectorILNS1_17partition_subalgoE3EjNS0_10empty_typeEbEEZZNS1_14partition_implILS8_3ELb0ES6_jNS0_17counting_iteratorIjlEEPS9_SE_NS0_5tupleIJPjSE_EEENSF_IJSE_SE_EEES9_SG_JZNS1_25segmented_radix_sort_implINS0_14default_configELb0EPKbPbPKlPlN2at6native12_GLOBAL__N_18offset_tEEE10hipError_tPvRmT1_PNSt15iterator_traitsISY_E10value_typeET2_T3_PNSZ_IS14_E10value_typeET4_jRbjT5_S1A_jjP12ihipStream_tbEUljE_EEESV_SW_SX_S14_S18_S1A_T6_T7_T9_mT8_S1C_bDpT10_ENKUlT_T0_E_clISt17integral_constantIbLb0EES1P_EEDaS1K_S1L_EUlS1K_E_NS1_11comp_targetILNS1_3genE8ELNS1_11target_archE1030ELNS1_3gpuE2ELNS1_3repE0EEENS1_30default_config_static_selectorELNS0_4arch9wavefront6targetE0EEEvSY_.uses_vcc, 1
	.set _ZN7rocprim17ROCPRIM_400000_NS6detail17trampoline_kernelINS0_13select_configILj256ELj13ELNS0_17block_load_methodE3ELS4_3ELS4_3ELNS0_20block_scan_algorithmE0ELj4294967295EEENS1_25partition_config_selectorILNS1_17partition_subalgoE3EjNS0_10empty_typeEbEEZZNS1_14partition_implILS8_3ELb0ES6_jNS0_17counting_iteratorIjlEEPS9_SE_NS0_5tupleIJPjSE_EEENSF_IJSE_SE_EEES9_SG_JZNS1_25segmented_radix_sort_implINS0_14default_configELb0EPKbPbPKlPlN2at6native12_GLOBAL__N_18offset_tEEE10hipError_tPvRmT1_PNSt15iterator_traitsISY_E10value_typeET2_T3_PNSZ_IS14_E10value_typeET4_jRbjT5_S1A_jjP12ihipStream_tbEUljE_EEESV_SW_SX_S14_S18_S1A_T6_T7_T9_mT8_S1C_bDpT10_ENKUlT_T0_E_clISt17integral_constantIbLb0EES1P_EEDaS1K_S1L_EUlS1K_E_NS1_11comp_targetILNS1_3genE8ELNS1_11target_archE1030ELNS1_3gpuE2ELNS1_3repE0EEENS1_30default_config_static_selectorELNS0_4arch9wavefront6targetE0EEEvSY_.uses_flat_scratch, 0
	.set _ZN7rocprim17ROCPRIM_400000_NS6detail17trampoline_kernelINS0_13select_configILj256ELj13ELNS0_17block_load_methodE3ELS4_3ELS4_3ELNS0_20block_scan_algorithmE0ELj4294967295EEENS1_25partition_config_selectorILNS1_17partition_subalgoE3EjNS0_10empty_typeEbEEZZNS1_14partition_implILS8_3ELb0ES6_jNS0_17counting_iteratorIjlEEPS9_SE_NS0_5tupleIJPjSE_EEENSF_IJSE_SE_EEES9_SG_JZNS1_25segmented_radix_sort_implINS0_14default_configELb0EPKbPbPKlPlN2at6native12_GLOBAL__N_18offset_tEEE10hipError_tPvRmT1_PNSt15iterator_traitsISY_E10value_typeET2_T3_PNSZ_IS14_E10value_typeET4_jRbjT5_S1A_jjP12ihipStream_tbEUljE_EEESV_SW_SX_S14_S18_S1A_T6_T7_T9_mT8_S1C_bDpT10_ENKUlT_T0_E_clISt17integral_constantIbLb0EES1P_EEDaS1K_S1L_EUlS1K_E_NS1_11comp_targetILNS1_3genE8ELNS1_11target_archE1030ELNS1_3gpuE2ELNS1_3repE0EEENS1_30default_config_static_selectorELNS0_4arch9wavefront6targetE0EEEvSY_.has_dyn_sized_stack, 0
	.set _ZN7rocprim17ROCPRIM_400000_NS6detail17trampoline_kernelINS0_13select_configILj256ELj13ELNS0_17block_load_methodE3ELS4_3ELS4_3ELNS0_20block_scan_algorithmE0ELj4294967295EEENS1_25partition_config_selectorILNS1_17partition_subalgoE3EjNS0_10empty_typeEbEEZZNS1_14partition_implILS8_3ELb0ES6_jNS0_17counting_iteratorIjlEEPS9_SE_NS0_5tupleIJPjSE_EEENSF_IJSE_SE_EEES9_SG_JZNS1_25segmented_radix_sort_implINS0_14default_configELb0EPKbPbPKlPlN2at6native12_GLOBAL__N_18offset_tEEE10hipError_tPvRmT1_PNSt15iterator_traitsISY_E10value_typeET2_T3_PNSZ_IS14_E10value_typeET4_jRbjT5_S1A_jjP12ihipStream_tbEUljE_EEESV_SW_SX_S14_S18_S1A_T6_T7_T9_mT8_S1C_bDpT10_ENKUlT_T0_E_clISt17integral_constantIbLb0EES1P_EEDaS1K_S1L_EUlS1K_E_NS1_11comp_targetILNS1_3genE8ELNS1_11target_archE1030ELNS1_3gpuE2ELNS1_3repE0EEENS1_30default_config_static_selectorELNS0_4arch9wavefront6targetE0EEEvSY_.has_recursion, 0
	.set _ZN7rocprim17ROCPRIM_400000_NS6detail17trampoline_kernelINS0_13select_configILj256ELj13ELNS0_17block_load_methodE3ELS4_3ELS4_3ELNS0_20block_scan_algorithmE0ELj4294967295EEENS1_25partition_config_selectorILNS1_17partition_subalgoE3EjNS0_10empty_typeEbEEZZNS1_14partition_implILS8_3ELb0ES6_jNS0_17counting_iteratorIjlEEPS9_SE_NS0_5tupleIJPjSE_EEENSF_IJSE_SE_EEES9_SG_JZNS1_25segmented_radix_sort_implINS0_14default_configELb0EPKbPbPKlPlN2at6native12_GLOBAL__N_18offset_tEEE10hipError_tPvRmT1_PNSt15iterator_traitsISY_E10value_typeET2_T3_PNSZ_IS14_E10value_typeET4_jRbjT5_S1A_jjP12ihipStream_tbEUljE_EEESV_SW_SX_S14_S18_S1A_T6_T7_T9_mT8_S1C_bDpT10_ENKUlT_T0_E_clISt17integral_constantIbLb0EES1P_EEDaS1K_S1L_EUlS1K_E_NS1_11comp_targetILNS1_3genE8ELNS1_11target_archE1030ELNS1_3gpuE2ELNS1_3repE0EEENS1_30default_config_static_selectorELNS0_4arch9wavefront6targetE0EEEvSY_.has_indirect_call, 0
	.section	.AMDGPU.csdata,"",@progbits
; Kernel info:
; codeLenInByte = 8564
; TotalNumSgprs: 29
; NumVgprs: 69
; ScratchSize: 0
; MemoryBound: 0
; FloatMode: 240
; IeeeMode: 1
; LDSByteSize: 13320 bytes/workgroup (compile time only)
; SGPRBlocks: 0
; VGPRBlocks: 8
; NumSGPRsForWavesPerEU: 29
; NumVGPRsForWavesPerEU: 69
; Occupancy: 12
; WaveLimiterHint : 0
; COMPUTE_PGM_RSRC2:SCRATCH_EN: 0
; COMPUTE_PGM_RSRC2:USER_SGPR: 6
; COMPUTE_PGM_RSRC2:TRAP_HANDLER: 0
; COMPUTE_PGM_RSRC2:TGID_X_EN: 1
; COMPUTE_PGM_RSRC2:TGID_Y_EN: 0
; COMPUTE_PGM_RSRC2:TGID_Z_EN: 0
; COMPUTE_PGM_RSRC2:TIDIG_COMP_CNT: 0
	.section	.text._ZN7rocprim17ROCPRIM_400000_NS6detail17trampoline_kernelINS0_13select_configILj256ELj13ELNS0_17block_load_methodE3ELS4_3ELS4_3ELNS0_20block_scan_algorithmE0ELj4294967295EEENS1_25partition_config_selectorILNS1_17partition_subalgoE3EjNS0_10empty_typeEbEEZZNS1_14partition_implILS8_3ELb0ES6_jNS0_17counting_iteratorIjlEEPS9_SE_NS0_5tupleIJPjSE_EEENSF_IJSE_SE_EEES9_SG_JZNS1_25segmented_radix_sort_implINS0_14default_configELb0EPKbPbPKlPlN2at6native12_GLOBAL__N_18offset_tEEE10hipError_tPvRmT1_PNSt15iterator_traitsISY_E10value_typeET2_T3_PNSZ_IS14_E10value_typeET4_jRbjT5_S1A_jjP12ihipStream_tbEUljE_EEESV_SW_SX_S14_S18_S1A_T6_T7_T9_mT8_S1C_bDpT10_ENKUlT_T0_E_clISt17integral_constantIbLb1EES1P_EEDaS1K_S1L_EUlS1K_E_NS1_11comp_targetILNS1_3genE0ELNS1_11target_archE4294967295ELNS1_3gpuE0ELNS1_3repE0EEENS1_30default_config_static_selectorELNS0_4arch9wavefront6targetE0EEEvSY_,"axG",@progbits,_ZN7rocprim17ROCPRIM_400000_NS6detail17trampoline_kernelINS0_13select_configILj256ELj13ELNS0_17block_load_methodE3ELS4_3ELS4_3ELNS0_20block_scan_algorithmE0ELj4294967295EEENS1_25partition_config_selectorILNS1_17partition_subalgoE3EjNS0_10empty_typeEbEEZZNS1_14partition_implILS8_3ELb0ES6_jNS0_17counting_iteratorIjlEEPS9_SE_NS0_5tupleIJPjSE_EEENSF_IJSE_SE_EEES9_SG_JZNS1_25segmented_radix_sort_implINS0_14default_configELb0EPKbPbPKlPlN2at6native12_GLOBAL__N_18offset_tEEE10hipError_tPvRmT1_PNSt15iterator_traitsISY_E10value_typeET2_T3_PNSZ_IS14_E10value_typeET4_jRbjT5_S1A_jjP12ihipStream_tbEUljE_EEESV_SW_SX_S14_S18_S1A_T6_T7_T9_mT8_S1C_bDpT10_ENKUlT_T0_E_clISt17integral_constantIbLb1EES1P_EEDaS1K_S1L_EUlS1K_E_NS1_11comp_targetILNS1_3genE0ELNS1_11target_archE4294967295ELNS1_3gpuE0ELNS1_3repE0EEENS1_30default_config_static_selectorELNS0_4arch9wavefront6targetE0EEEvSY_,comdat
	.globl	_ZN7rocprim17ROCPRIM_400000_NS6detail17trampoline_kernelINS0_13select_configILj256ELj13ELNS0_17block_load_methodE3ELS4_3ELS4_3ELNS0_20block_scan_algorithmE0ELj4294967295EEENS1_25partition_config_selectorILNS1_17partition_subalgoE3EjNS0_10empty_typeEbEEZZNS1_14partition_implILS8_3ELb0ES6_jNS0_17counting_iteratorIjlEEPS9_SE_NS0_5tupleIJPjSE_EEENSF_IJSE_SE_EEES9_SG_JZNS1_25segmented_radix_sort_implINS0_14default_configELb0EPKbPbPKlPlN2at6native12_GLOBAL__N_18offset_tEEE10hipError_tPvRmT1_PNSt15iterator_traitsISY_E10value_typeET2_T3_PNSZ_IS14_E10value_typeET4_jRbjT5_S1A_jjP12ihipStream_tbEUljE_EEESV_SW_SX_S14_S18_S1A_T6_T7_T9_mT8_S1C_bDpT10_ENKUlT_T0_E_clISt17integral_constantIbLb1EES1P_EEDaS1K_S1L_EUlS1K_E_NS1_11comp_targetILNS1_3genE0ELNS1_11target_archE4294967295ELNS1_3gpuE0ELNS1_3repE0EEENS1_30default_config_static_selectorELNS0_4arch9wavefront6targetE0EEEvSY_ ; -- Begin function _ZN7rocprim17ROCPRIM_400000_NS6detail17trampoline_kernelINS0_13select_configILj256ELj13ELNS0_17block_load_methodE3ELS4_3ELS4_3ELNS0_20block_scan_algorithmE0ELj4294967295EEENS1_25partition_config_selectorILNS1_17partition_subalgoE3EjNS0_10empty_typeEbEEZZNS1_14partition_implILS8_3ELb0ES6_jNS0_17counting_iteratorIjlEEPS9_SE_NS0_5tupleIJPjSE_EEENSF_IJSE_SE_EEES9_SG_JZNS1_25segmented_radix_sort_implINS0_14default_configELb0EPKbPbPKlPlN2at6native12_GLOBAL__N_18offset_tEEE10hipError_tPvRmT1_PNSt15iterator_traitsISY_E10value_typeET2_T3_PNSZ_IS14_E10value_typeET4_jRbjT5_S1A_jjP12ihipStream_tbEUljE_EEESV_SW_SX_S14_S18_S1A_T6_T7_T9_mT8_S1C_bDpT10_ENKUlT_T0_E_clISt17integral_constantIbLb1EES1P_EEDaS1K_S1L_EUlS1K_E_NS1_11comp_targetILNS1_3genE0ELNS1_11target_archE4294967295ELNS1_3gpuE0ELNS1_3repE0EEENS1_30default_config_static_selectorELNS0_4arch9wavefront6targetE0EEEvSY_
	.p2align	8
	.type	_ZN7rocprim17ROCPRIM_400000_NS6detail17trampoline_kernelINS0_13select_configILj256ELj13ELNS0_17block_load_methodE3ELS4_3ELS4_3ELNS0_20block_scan_algorithmE0ELj4294967295EEENS1_25partition_config_selectorILNS1_17partition_subalgoE3EjNS0_10empty_typeEbEEZZNS1_14partition_implILS8_3ELb0ES6_jNS0_17counting_iteratorIjlEEPS9_SE_NS0_5tupleIJPjSE_EEENSF_IJSE_SE_EEES9_SG_JZNS1_25segmented_radix_sort_implINS0_14default_configELb0EPKbPbPKlPlN2at6native12_GLOBAL__N_18offset_tEEE10hipError_tPvRmT1_PNSt15iterator_traitsISY_E10value_typeET2_T3_PNSZ_IS14_E10value_typeET4_jRbjT5_S1A_jjP12ihipStream_tbEUljE_EEESV_SW_SX_S14_S18_S1A_T6_T7_T9_mT8_S1C_bDpT10_ENKUlT_T0_E_clISt17integral_constantIbLb1EES1P_EEDaS1K_S1L_EUlS1K_E_NS1_11comp_targetILNS1_3genE0ELNS1_11target_archE4294967295ELNS1_3gpuE0ELNS1_3repE0EEENS1_30default_config_static_selectorELNS0_4arch9wavefront6targetE0EEEvSY_,@function
_ZN7rocprim17ROCPRIM_400000_NS6detail17trampoline_kernelINS0_13select_configILj256ELj13ELNS0_17block_load_methodE3ELS4_3ELS4_3ELNS0_20block_scan_algorithmE0ELj4294967295EEENS1_25partition_config_selectorILNS1_17partition_subalgoE3EjNS0_10empty_typeEbEEZZNS1_14partition_implILS8_3ELb0ES6_jNS0_17counting_iteratorIjlEEPS9_SE_NS0_5tupleIJPjSE_EEENSF_IJSE_SE_EEES9_SG_JZNS1_25segmented_radix_sort_implINS0_14default_configELb0EPKbPbPKlPlN2at6native12_GLOBAL__N_18offset_tEEE10hipError_tPvRmT1_PNSt15iterator_traitsISY_E10value_typeET2_T3_PNSZ_IS14_E10value_typeET4_jRbjT5_S1A_jjP12ihipStream_tbEUljE_EEESV_SW_SX_S14_S18_S1A_T6_T7_T9_mT8_S1C_bDpT10_ENKUlT_T0_E_clISt17integral_constantIbLb1EES1P_EEDaS1K_S1L_EUlS1K_E_NS1_11comp_targetILNS1_3genE0ELNS1_11target_archE4294967295ELNS1_3gpuE0ELNS1_3repE0EEENS1_30default_config_static_selectorELNS0_4arch9wavefront6targetE0EEEvSY_: ; @_ZN7rocprim17ROCPRIM_400000_NS6detail17trampoline_kernelINS0_13select_configILj256ELj13ELNS0_17block_load_methodE3ELS4_3ELS4_3ELNS0_20block_scan_algorithmE0ELj4294967295EEENS1_25partition_config_selectorILNS1_17partition_subalgoE3EjNS0_10empty_typeEbEEZZNS1_14partition_implILS8_3ELb0ES6_jNS0_17counting_iteratorIjlEEPS9_SE_NS0_5tupleIJPjSE_EEENSF_IJSE_SE_EEES9_SG_JZNS1_25segmented_radix_sort_implINS0_14default_configELb0EPKbPbPKlPlN2at6native12_GLOBAL__N_18offset_tEEE10hipError_tPvRmT1_PNSt15iterator_traitsISY_E10value_typeET2_T3_PNSZ_IS14_E10value_typeET4_jRbjT5_S1A_jjP12ihipStream_tbEUljE_EEESV_SW_SX_S14_S18_S1A_T6_T7_T9_mT8_S1C_bDpT10_ENKUlT_T0_E_clISt17integral_constantIbLb1EES1P_EEDaS1K_S1L_EUlS1K_E_NS1_11comp_targetILNS1_3genE0ELNS1_11target_archE4294967295ELNS1_3gpuE0ELNS1_3repE0EEENS1_30default_config_static_selectorELNS0_4arch9wavefront6targetE0EEEvSY_
; %bb.0:
	.section	.rodata,"a",@progbits
	.p2align	6, 0x0
	.amdhsa_kernel _ZN7rocprim17ROCPRIM_400000_NS6detail17trampoline_kernelINS0_13select_configILj256ELj13ELNS0_17block_load_methodE3ELS4_3ELS4_3ELNS0_20block_scan_algorithmE0ELj4294967295EEENS1_25partition_config_selectorILNS1_17partition_subalgoE3EjNS0_10empty_typeEbEEZZNS1_14partition_implILS8_3ELb0ES6_jNS0_17counting_iteratorIjlEEPS9_SE_NS0_5tupleIJPjSE_EEENSF_IJSE_SE_EEES9_SG_JZNS1_25segmented_radix_sort_implINS0_14default_configELb0EPKbPbPKlPlN2at6native12_GLOBAL__N_18offset_tEEE10hipError_tPvRmT1_PNSt15iterator_traitsISY_E10value_typeET2_T3_PNSZ_IS14_E10value_typeET4_jRbjT5_S1A_jjP12ihipStream_tbEUljE_EEESV_SW_SX_S14_S18_S1A_T6_T7_T9_mT8_S1C_bDpT10_ENKUlT_T0_E_clISt17integral_constantIbLb1EES1P_EEDaS1K_S1L_EUlS1K_E_NS1_11comp_targetILNS1_3genE0ELNS1_11target_archE4294967295ELNS1_3gpuE0ELNS1_3repE0EEENS1_30default_config_static_selectorELNS0_4arch9wavefront6targetE0EEEvSY_
		.amdhsa_group_segment_fixed_size 0
		.amdhsa_private_segment_fixed_size 0
		.amdhsa_kernarg_size 152
		.amdhsa_user_sgpr_count 6
		.amdhsa_user_sgpr_private_segment_buffer 1
		.amdhsa_user_sgpr_dispatch_ptr 0
		.amdhsa_user_sgpr_queue_ptr 0
		.amdhsa_user_sgpr_kernarg_segment_ptr 1
		.amdhsa_user_sgpr_dispatch_id 0
		.amdhsa_user_sgpr_flat_scratch_init 0
		.amdhsa_user_sgpr_private_segment_size 0
		.amdhsa_wavefront_size32 1
		.amdhsa_uses_dynamic_stack 0
		.amdhsa_system_sgpr_private_segment_wavefront_offset 0
		.amdhsa_system_sgpr_workgroup_id_x 1
		.amdhsa_system_sgpr_workgroup_id_y 0
		.amdhsa_system_sgpr_workgroup_id_z 0
		.amdhsa_system_sgpr_workgroup_info 0
		.amdhsa_system_vgpr_workitem_id 0
		.amdhsa_next_free_vgpr 1
		.amdhsa_next_free_sgpr 1
		.amdhsa_reserve_vcc 0
		.amdhsa_reserve_flat_scratch 0
		.amdhsa_float_round_mode_32 0
		.amdhsa_float_round_mode_16_64 0
		.amdhsa_float_denorm_mode_32 3
		.amdhsa_float_denorm_mode_16_64 3
		.amdhsa_dx10_clamp 1
		.amdhsa_ieee_mode 1
		.amdhsa_fp16_overflow 0
		.amdhsa_workgroup_processor_mode 1
		.amdhsa_memory_ordered 1
		.amdhsa_forward_progress 1
		.amdhsa_shared_vgpr_count 0
		.amdhsa_exception_fp_ieee_invalid_op 0
		.amdhsa_exception_fp_denorm_src 0
		.amdhsa_exception_fp_ieee_div_zero 0
		.amdhsa_exception_fp_ieee_overflow 0
		.amdhsa_exception_fp_ieee_underflow 0
		.amdhsa_exception_fp_ieee_inexact 0
		.amdhsa_exception_int_div_zero 0
	.end_amdhsa_kernel
	.section	.text._ZN7rocprim17ROCPRIM_400000_NS6detail17trampoline_kernelINS0_13select_configILj256ELj13ELNS0_17block_load_methodE3ELS4_3ELS4_3ELNS0_20block_scan_algorithmE0ELj4294967295EEENS1_25partition_config_selectorILNS1_17partition_subalgoE3EjNS0_10empty_typeEbEEZZNS1_14partition_implILS8_3ELb0ES6_jNS0_17counting_iteratorIjlEEPS9_SE_NS0_5tupleIJPjSE_EEENSF_IJSE_SE_EEES9_SG_JZNS1_25segmented_radix_sort_implINS0_14default_configELb0EPKbPbPKlPlN2at6native12_GLOBAL__N_18offset_tEEE10hipError_tPvRmT1_PNSt15iterator_traitsISY_E10value_typeET2_T3_PNSZ_IS14_E10value_typeET4_jRbjT5_S1A_jjP12ihipStream_tbEUljE_EEESV_SW_SX_S14_S18_S1A_T6_T7_T9_mT8_S1C_bDpT10_ENKUlT_T0_E_clISt17integral_constantIbLb1EES1P_EEDaS1K_S1L_EUlS1K_E_NS1_11comp_targetILNS1_3genE0ELNS1_11target_archE4294967295ELNS1_3gpuE0ELNS1_3repE0EEENS1_30default_config_static_selectorELNS0_4arch9wavefront6targetE0EEEvSY_,"axG",@progbits,_ZN7rocprim17ROCPRIM_400000_NS6detail17trampoline_kernelINS0_13select_configILj256ELj13ELNS0_17block_load_methodE3ELS4_3ELS4_3ELNS0_20block_scan_algorithmE0ELj4294967295EEENS1_25partition_config_selectorILNS1_17partition_subalgoE3EjNS0_10empty_typeEbEEZZNS1_14partition_implILS8_3ELb0ES6_jNS0_17counting_iteratorIjlEEPS9_SE_NS0_5tupleIJPjSE_EEENSF_IJSE_SE_EEES9_SG_JZNS1_25segmented_radix_sort_implINS0_14default_configELb0EPKbPbPKlPlN2at6native12_GLOBAL__N_18offset_tEEE10hipError_tPvRmT1_PNSt15iterator_traitsISY_E10value_typeET2_T3_PNSZ_IS14_E10value_typeET4_jRbjT5_S1A_jjP12ihipStream_tbEUljE_EEESV_SW_SX_S14_S18_S1A_T6_T7_T9_mT8_S1C_bDpT10_ENKUlT_T0_E_clISt17integral_constantIbLb1EES1P_EEDaS1K_S1L_EUlS1K_E_NS1_11comp_targetILNS1_3genE0ELNS1_11target_archE4294967295ELNS1_3gpuE0ELNS1_3repE0EEENS1_30default_config_static_selectorELNS0_4arch9wavefront6targetE0EEEvSY_,comdat
.Lfunc_end1602:
	.size	_ZN7rocprim17ROCPRIM_400000_NS6detail17trampoline_kernelINS0_13select_configILj256ELj13ELNS0_17block_load_methodE3ELS4_3ELS4_3ELNS0_20block_scan_algorithmE0ELj4294967295EEENS1_25partition_config_selectorILNS1_17partition_subalgoE3EjNS0_10empty_typeEbEEZZNS1_14partition_implILS8_3ELb0ES6_jNS0_17counting_iteratorIjlEEPS9_SE_NS0_5tupleIJPjSE_EEENSF_IJSE_SE_EEES9_SG_JZNS1_25segmented_radix_sort_implINS0_14default_configELb0EPKbPbPKlPlN2at6native12_GLOBAL__N_18offset_tEEE10hipError_tPvRmT1_PNSt15iterator_traitsISY_E10value_typeET2_T3_PNSZ_IS14_E10value_typeET4_jRbjT5_S1A_jjP12ihipStream_tbEUljE_EEESV_SW_SX_S14_S18_S1A_T6_T7_T9_mT8_S1C_bDpT10_ENKUlT_T0_E_clISt17integral_constantIbLb1EES1P_EEDaS1K_S1L_EUlS1K_E_NS1_11comp_targetILNS1_3genE0ELNS1_11target_archE4294967295ELNS1_3gpuE0ELNS1_3repE0EEENS1_30default_config_static_selectorELNS0_4arch9wavefront6targetE0EEEvSY_, .Lfunc_end1602-_ZN7rocprim17ROCPRIM_400000_NS6detail17trampoline_kernelINS0_13select_configILj256ELj13ELNS0_17block_load_methodE3ELS4_3ELS4_3ELNS0_20block_scan_algorithmE0ELj4294967295EEENS1_25partition_config_selectorILNS1_17partition_subalgoE3EjNS0_10empty_typeEbEEZZNS1_14partition_implILS8_3ELb0ES6_jNS0_17counting_iteratorIjlEEPS9_SE_NS0_5tupleIJPjSE_EEENSF_IJSE_SE_EEES9_SG_JZNS1_25segmented_radix_sort_implINS0_14default_configELb0EPKbPbPKlPlN2at6native12_GLOBAL__N_18offset_tEEE10hipError_tPvRmT1_PNSt15iterator_traitsISY_E10value_typeET2_T3_PNSZ_IS14_E10value_typeET4_jRbjT5_S1A_jjP12ihipStream_tbEUljE_EEESV_SW_SX_S14_S18_S1A_T6_T7_T9_mT8_S1C_bDpT10_ENKUlT_T0_E_clISt17integral_constantIbLb1EES1P_EEDaS1K_S1L_EUlS1K_E_NS1_11comp_targetILNS1_3genE0ELNS1_11target_archE4294967295ELNS1_3gpuE0ELNS1_3repE0EEENS1_30default_config_static_selectorELNS0_4arch9wavefront6targetE0EEEvSY_
                                        ; -- End function
	.set _ZN7rocprim17ROCPRIM_400000_NS6detail17trampoline_kernelINS0_13select_configILj256ELj13ELNS0_17block_load_methodE3ELS4_3ELS4_3ELNS0_20block_scan_algorithmE0ELj4294967295EEENS1_25partition_config_selectorILNS1_17partition_subalgoE3EjNS0_10empty_typeEbEEZZNS1_14partition_implILS8_3ELb0ES6_jNS0_17counting_iteratorIjlEEPS9_SE_NS0_5tupleIJPjSE_EEENSF_IJSE_SE_EEES9_SG_JZNS1_25segmented_radix_sort_implINS0_14default_configELb0EPKbPbPKlPlN2at6native12_GLOBAL__N_18offset_tEEE10hipError_tPvRmT1_PNSt15iterator_traitsISY_E10value_typeET2_T3_PNSZ_IS14_E10value_typeET4_jRbjT5_S1A_jjP12ihipStream_tbEUljE_EEESV_SW_SX_S14_S18_S1A_T6_T7_T9_mT8_S1C_bDpT10_ENKUlT_T0_E_clISt17integral_constantIbLb1EES1P_EEDaS1K_S1L_EUlS1K_E_NS1_11comp_targetILNS1_3genE0ELNS1_11target_archE4294967295ELNS1_3gpuE0ELNS1_3repE0EEENS1_30default_config_static_selectorELNS0_4arch9wavefront6targetE0EEEvSY_.num_vgpr, 0
	.set _ZN7rocprim17ROCPRIM_400000_NS6detail17trampoline_kernelINS0_13select_configILj256ELj13ELNS0_17block_load_methodE3ELS4_3ELS4_3ELNS0_20block_scan_algorithmE0ELj4294967295EEENS1_25partition_config_selectorILNS1_17partition_subalgoE3EjNS0_10empty_typeEbEEZZNS1_14partition_implILS8_3ELb0ES6_jNS0_17counting_iteratorIjlEEPS9_SE_NS0_5tupleIJPjSE_EEENSF_IJSE_SE_EEES9_SG_JZNS1_25segmented_radix_sort_implINS0_14default_configELb0EPKbPbPKlPlN2at6native12_GLOBAL__N_18offset_tEEE10hipError_tPvRmT1_PNSt15iterator_traitsISY_E10value_typeET2_T3_PNSZ_IS14_E10value_typeET4_jRbjT5_S1A_jjP12ihipStream_tbEUljE_EEESV_SW_SX_S14_S18_S1A_T6_T7_T9_mT8_S1C_bDpT10_ENKUlT_T0_E_clISt17integral_constantIbLb1EES1P_EEDaS1K_S1L_EUlS1K_E_NS1_11comp_targetILNS1_3genE0ELNS1_11target_archE4294967295ELNS1_3gpuE0ELNS1_3repE0EEENS1_30default_config_static_selectorELNS0_4arch9wavefront6targetE0EEEvSY_.num_agpr, 0
	.set _ZN7rocprim17ROCPRIM_400000_NS6detail17trampoline_kernelINS0_13select_configILj256ELj13ELNS0_17block_load_methodE3ELS4_3ELS4_3ELNS0_20block_scan_algorithmE0ELj4294967295EEENS1_25partition_config_selectorILNS1_17partition_subalgoE3EjNS0_10empty_typeEbEEZZNS1_14partition_implILS8_3ELb0ES6_jNS0_17counting_iteratorIjlEEPS9_SE_NS0_5tupleIJPjSE_EEENSF_IJSE_SE_EEES9_SG_JZNS1_25segmented_radix_sort_implINS0_14default_configELb0EPKbPbPKlPlN2at6native12_GLOBAL__N_18offset_tEEE10hipError_tPvRmT1_PNSt15iterator_traitsISY_E10value_typeET2_T3_PNSZ_IS14_E10value_typeET4_jRbjT5_S1A_jjP12ihipStream_tbEUljE_EEESV_SW_SX_S14_S18_S1A_T6_T7_T9_mT8_S1C_bDpT10_ENKUlT_T0_E_clISt17integral_constantIbLb1EES1P_EEDaS1K_S1L_EUlS1K_E_NS1_11comp_targetILNS1_3genE0ELNS1_11target_archE4294967295ELNS1_3gpuE0ELNS1_3repE0EEENS1_30default_config_static_selectorELNS0_4arch9wavefront6targetE0EEEvSY_.numbered_sgpr, 0
	.set _ZN7rocprim17ROCPRIM_400000_NS6detail17trampoline_kernelINS0_13select_configILj256ELj13ELNS0_17block_load_methodE3ELS4_3ELS4_3ELNS0_20block_scan_algorithmE0ELj4294967295EEENS1_25partition_config_selectorILNS1_17partition_subalgoE3EjNS0_10empty_typeEbEEZZNS1_14partition_implILS8_3ELb0ES6_jNS0_17counting_iteratorIjlEEPS9_SE_NS0_5tupleIJPjSE_EEENSF_IJSE_SE_EEES9_SG_JZNS1_25segmented_radix_sort_implINS0_14default_configELb0EPKbPbPKlPlN2at6native12_GLOBAL__N_18offset_tEEE10hipError_tPvRmT1_PNSt15iterator_traitsISY_E10value_typeET2_T3_PNSZ_IS14_E10value_typeET4_jRbjT5_S1A_jjP12ihipStream_tbEUljE_EEESV_SW_SX_S14_S18_S1A_T6_T7_T9_mT8_S1C_bDpT10_ENKUlT_T0_E_clISt17integral_constantIbLb1EES1P_EEDaS1K_S1L_EUlS1K_E_NS1_11comp_targetILNS1_3genE0ELNS1_11target_archE4294967295ELNS1_3gpuE0ELNS1_3repE0EEENS1_30default_config_static_selectorELNS0_4arch9wavefront6targetE0EEEvSY_.num_named_barrier, 0
	.set _ZN7rocprim17ROCPRIM_400000_NS6detail17trampoline_kernelINS0_13select_configILj256ELj13ELNS0_17block_load_methodE3ELS4_3ELS4_3ELNS0_20block_scan_algorithmE0ELj4294967295EEENS1_25partition_config_selectorILNS1_17partition_subalgoE3EjNS0_10empty_typeEbEEZZNS1_14partition_implILS8_3ELb0ES6_jNS0_17counting_iteratorIjlEEPS9_SE_NS0_5tupleIJPjSE_EEENSF_IJSE_SE_EEES9_SG_JZNS1_25segmented_radix_sort_implINS0_14default_configELb0EPKbPbPKlPlN2at6native12_GLOBAL__N_18offset_tEEE10hipError_tPvRmT1_PNSt15iterator_traitsISY_E10value_typeET2_T3_PNSZ_IS14_E10value_typeET4_jRbjT5_S1A_jjP12ihipStream_tbEUljE_EEESV_SW_SX_S14_S18_S1A_T6_T7_T9_mT8_S1C_bDpT10_ENKUlT_T0_E_clISt17integral_constantIbLb1EES1P_EEDaS1K_S1L_EUlS1K_E_NS1_11comp_targetILNS1_3genE0ELNS1_11target_archE4294967295ELNS1_3gpuE0ELNS1_3repE0EEENS1_30default_config_static_selectorELNS0_4arch9wavefront6targetE0EEEvSY_.private_seg_size, 0
	.set _ZN7rocprim17ROCPRIM_400000_NS6detail17trampoline_kernelINS0_13select_configILj256ELj13ELNS0_17block_load_methodE3ELS4_3ELS4_3ELNS0_20block_scan_algorithmE0ELj4294967295EEENS1_25partition_config_selectorILNS1_17partition_subalgoE3EjNS0_10empty_typeEbEEZZNS1_14partition_implILS8_3ELb0ES6_jNS0_17counting_iteratorIjlEEPS9_SE_NS0_5tupleIJPjSE_EEENSF_IJSE_SE_EEES9_SG_JZNS1_25segmented_radix_sort_implINS0_14default_configELb0EPKbPbPKlPlN2at6native12_GLOBAL__N_18offset_tEEE10hipError_tPvRmT1_PNSt15iterator_traitsISY_E10value_typeET2_T3_PNSZ_IS14_E10value_typeET4_jRbjT5_S1A_jjP12ihipStream_tbEUljE_EEESV_SW_SX_S14_S18_S1A_T6_T7_T9_mT8_S1C_bDpT10_ENKUlT_T0_E_clISt17integral_constantIbLb1EES1P_EEDaS1K_S1L_EUlS1K_E_NS1_11comp_targetILNS1_3genE0ELNS1_11target_archE4294967295ELNS1_3gpuE0ELNS1_3repE0EEENS1_30default_config_static_selectorELNS0_4arch9wavefront6targetE0EEEvSY_.uses_vcc, 0
	.set _ZN7rocprim17ROCPRIM_400000_NS6detail17trampoline_kernelINS0_13select_configILj256ELj13ELNS0_17block_load_methodE3ELS4_3ELS4_3ELNS0_20block_scan_algorithmE0ELj4294967295EEENS1_25partition_config_selectorILNS1_17partition_subalgoE3EjNS0_10empty_typeEbEEZZNS1_14partition_implILS8_3ELb0ES6_jNS0_17counting_iteratorIjlEEPS9_SE_NS0_5tupleIJPjSE_EEENSF_IJSE_SE_EEES9_SG_JZNS1_25segmented_radix_sort_implINS0_14default_configELb0EPKbPbPKlPlN2at6native12_GLOBAL__N_18offset_tEEE10hipError_tPvRmT1_PNSt15iterator_traitsISY_E10value_typeET2_T3_PNSZ_IS14_E10value_typeET4_jRbjT5_S1A_jjP12ihipStream_tbEUljE_EEESV_SW_SX_S14_S18_S1A_T6_T7_T9_mT8_S1C_bDpT10_ENKUlT_T0_E_clISt17integral_constantIbLb1EES1P_EEDaS1K_S1L_EUlS1K_E_NS1_11comp_targetILNS1_3genE0ELNS1_11target_archE4294967295ELNS1_3gpuE0ELNS1_3repE0EEENS1_30default_config_static_selectorELNS0_4arch9wavefront6targetE0EEEvSY_.uses_flat_scratch, 0
	.set _ZN7rocprim17ROCPRIM_400000_NS6detail17trampoline_kernelINS0_13select_configILj256ELj13ELNS0_17block_load_methodE3ELS4_3ELS4_3ELNS0_20block_scan_algorithmE0ELj4294967295EEENS1_25partition_config_selectorILNS1_17partition_subalgoE3EjNS0_10empty_typeEbEEZZNS1_14partition_implILS8_3ELb0ES6_jNS0_17counting_iteratorIjlEEPS9_SE_NS0_5tupleIJPjSE_EEENSF_IJSE_SE_EEES9_SG_JZNS1_25segmented_radix_sort_implINS0_14default_configELb0EPKbPbPKlPlN2at6native12_GLOBAL__N_18offset_tEEE10hipError_tPvRmT1_PNSt15iterator_traitsISY_E10value_typeET2_T3_PNSZ_IS14_E10value_typeET4_jRbjT5_S1A_jjP12ihipStream_tbEUljE_EEESV_SW_SX_S14_S18_S1A_T6_T7_T9_mT8_S1C_bDpT10_ENKUlT_T0_E_clISt17integral_constantIbLb1EES1P_EEDaS1K_S1L_EUlS1K_E_NS1_11comp_targetILNS1_3genE0ELNS1_11target_archE4294967295ELNS1_3gpuE0ELNS1_3repE0EEENS1_30default_config_static_selectorELNS0_4arch9wavefront6targetE0EEEvSY_.has_dyn_sized_stack, 0
	.set _ZN7rocprim17ROCPRIM_400000_NS6detail17trampoline_kernelINS0_13select_configILj256ELj13ELNS0_17block_load_methodE3ELS4_3ELS4_3ELNS0_20block_scan_algorithmE0ELj4294967295EEENS1_25partition_config_selectorILNS1_17partition_subalgoE3EjNS0_10empty_typeEbEEZZNS1_14partition_implILS8_3ELb0ES6_jNS0_17counting_iteratorIjlEEPS9_SE_NS0_5tupleIJPjSE_EEENSF_IJSE_SE_EEES9_SG_JZNS1_25segmented_radix_sort_implINS0_14default_configELb0EPKbPbPKlPlN2at6native12_GLOBAL__N_18offset_tEEE10hipError_tPvRmT1_PNSt15iterator_traitsISY_E10value_typeET2_T3_PNSZ_IS14_E10value_typeET4_jRbjT5_S1A_jjP12ihipStream_tbEUljE_EEESV_SW_SX_S14_S18_S1A_T6_T7_T9_mT8_S1C_bDpT10_ENKUlT_T0_E_clISt17integral_constantIbLb1EES1P_EEDaS1K_S1L_EUlS1K_E_NS1_11comp_targetILNS1_3genE0ELNS1_11target_archE4294967295ELNS1_3gpuE0ELNS1_3repE0EEENS1_30default_config_static_selectorELNS0_4arch9wavefront6targetE0EEEvSY_.has_recursion, 0
	.set _ZN7rocprim17ROCPRIM_400000_NS6detail17trampoline_kernelINS0_13select_configILj256ELj13ELNS0_17block_load_methodE3ELS4_3ELS4_3ELNS0_20block_scan_algorithmE0ELj4294967295EEENS1_25partition_config_selectorILNS1_17partition_subalgoE3EjNS0_10empty_typeEbEEZZNS1_14partition_implILS8_3ELb0ES6_jNS0_17counting_iteratorIjlEEPS9_SE_NS0_5tupleIJPjSE_EEENSF_IJSE_SE_EEES9_SG_JZNS1_25segmented_radix_sort_implINS0_14default_configELb0EPKbPbPKlPlN2at6native12_GLOBAL__N_18offset_tEEE10hipError_tPvRmT1_PNSt15iterator_traitsISY_E10value_typeET2_T3_PNSZ_IS14_E10value_typeET4_jRbjT5_S1A_jjP12ihipStream_tbEUljE_EEESV_SW_SX_S14_S18_S1A_T6_T7_T9_mT8_S1C_bDpT10_ENKUlT_T0_E_clISt17integral_constantIbLb1EES1P_EEDaS1K_S1L_EUlS1K_E_NS1_11comp_targetILNS1_3genE0ELNS1_11target_archE4294967295ELNS1_3gpuE0ELNS1_3repE0EEENS1_30default_config_static_selectorELNS0_4arch9wavefront6targetE0EEEvSY_.has_indirect_call, 0
	.section	.AMDGPU.csdata,"",@progbits
; Kernel info:
; codeLenInByte = 0
; TotalNumSgprs: 0
; NumVgprs: 0
; ScratchSize: 0
; MemoryBound: 0
; FloatMode: 240
; IeeeMode: 1
; LDSByteSize: 0 bytes/workgroup (compile time only)
; SGPRBlocks: 0
; VGPRBlocks: 0
; NumSGPRsForWavesPerEU: 1
; NumVGPRsForWavesPerEU: 1
; Occupancy: 16
; WaveLimiterHint : 0
; COMPUTE_PGM_RSRC2:SCRATCH_EN: 0
; COMPUTE_PGM_RSRC2:USER_SGPR: 6
; COMPUTE_PGM_RSRC2:TRAP_HANDLER: 0
; COMPUTE_PGM_RSRC2:TGID_X_EN: 1
; COMPUTE_PGM_RSRC2:TGID_Y_EN: 0
; COMPUTE_PGM_RSRC2:TGID_Z_EN: 0
; COMPUTE_PGM_RSRC2:TIDIG_COMP_CNT: 0
	.section	.text._ZN7rocprim17ROCPRIM_400000_NS6detail17trampoline_kernelINS0_13select_configILj256ELj13ELNS0_17block_load_methodE3ELS4_3ELS4_3ELNS0_20block_scan_algorithmE0ELj4294967295EEENS1_25partition_config_selectorILNS1_17partition_subalgoE3EjNS0_10empty_typeEbEEZZNS1_14partition_implILS8_3ELb0ES6_jNS0_17counting_iteratorIjlEEPS9_SE_NS0_5tupleIJPjSE_EEENSF_IJSE_SE_EEES9_SG_JZNS1_25segmented_radix_sort_implINS0_14default_configELb0EPKbPbPKlPlN2at6native12_GLOBAL__N_18offset_tEEE10hipError_tPvRmT1_PNSt15iterator_traitsISY_E10value_typeET2_T3_PNSZ_IS14_E10value_typeET4_jRbjT5_S1A_jjP12ihipStream_tbEUljE_EEESV_SW_SX_S14_S18_S1A_T6_T7_T9_mT8_S1C_bDpT10_ENKUlT_T0_E_clISt17integral_constantIbLb1EES1P_EEDaS1K_S1L_EUlS1K_E_NS1_11comp_targetILNS1_3genE5ELNS1_11target_archE942ELNS1_3gpuE9ELNS1_3repE0EEENS1_30default_config_static_selectorELNS0_4arch9wavefront6targetE0EEEvSY_,"axG",@progbits,_ZN7rocprim17ROCPRIM_400000_NS6detail17trampoline_kernelINS0_13select_configILj256ELj13ELNS0_17block_load_methodE3ELS4_3ELS4_3ELNS0_20block_scan_algorithmE0ELj4294967295EEENS1_25partition_config_selectorILNS1_17partition_subalgoE3EjNS0_10empty_typeEbEEZZNS1_14partition_implILS8_3ELb0ES6_jNS0_17counting_iteratorIjlEEPS9_SE_NS0_5tupleIJPjSE_EEENSF_IJSE_SE_EEES9_SG_JZNS1_25segmented_radix_sort_implINS0_14default_configELb0EPKbPbPKlPlN2at6native12_GLOBAL__N_18offset_tEEE10hipError_tPvRmT1_PNSt15iterator_traitsISY_E10value_typeET2_T3_PNSZ_IS14_E10value_typeET4_jRbjT5_S1A_jjP12ihipStream_tbEUljE_EEESV_SW_SX_S14_S18_S1A_T6_T7_T9_mT8_S1C_bDpT10_ENKUlT_T0_E_clISt17integral_constantIbLb1EES1P_EEDaS1K_S1L_EUlS1K_E_NS1_11comp_targetILNS1_3genE5ELNS1_11target_archE942ELNS1_3gpuE9ELNS1_3repE0EEENS1_30default_config_static_selectorELNS0_4arch9wavefront6targetE0EEEvSY_,comdat
	.globl	_ZN7rocprim17ROCPRIM_400000_NS6detail17trampoline_kernelINS0_13select_configILj256ELj13ELNS0_17block_load_methodE3ELS4_3ELS4_3ELNS0_20block_scan_algorithmE0ELj4294967295EEENS1_25partition_config_selectorILNS1_17partition_subalgoE3EjNS0_10empty_typeEbEEZZNS1_14partition_implILS8_3ELb0ES6_jNS0_17counting_iteratorIjlEEPS9_SE_NS0_5tupleIJPjSE_EEENSF_IJSE_SE_EEES9_SG_JZNS1_25segmented_radix_sort_implINS0_14default_configELb0EPKbPbPKlPlN2at6native12_GLOBAL__N_18offset_tEEE10hipError_tPvRmT1_PNSt15iterator_traitsISY_E10value_typeET2_T3_PNSZ_IS14_E10value_typeET4_jRbjT5_S1A_jjP12ihipStream_tbEUljE_EEESV_SW_SX_S14_S18_S1A_T6_T7_T9_mT8_S1C_bDpT10_ENKUlT_T0_E_clISt17integral_constantIbLb1EES1P_EEDaS1K_S1L_EUlS1K_E_NS1_11comp_targetILNS1_3genE5ELNS1_11target_archE942ELNS1_3gpuE9ELNS1_3repE0EEENS1_30default_config_static_selectorELNS0_4arch9wavefront6targetE0EEEvSY_ ; -- Begin function _ZN7rocprim17ROCPRIM_400000_NS6detail17trampoline_kernelINS0_13select_configILj256ELj13ELNS0_17block_load_methodE3ELS4_3ELS4_3ELNS0_20block_scan_algorithmE0ELj4294967295EEENS1_25partition_config_selectorILNS1_17partition_subalgoE3EjNS0_10empty_typeEbEEZZNS1_14partition_implILS8_3ELb0ES6_jNS0_17counting_iteratorIjlEEPS9_SE_NS0_5tupleIJPjSE_EEENSF_IJSE_SE_EEES9_SG_JZNS1_25segmented_radix_sort_implINS0_14default_configELb0EPKbPbPKlPlN2at6native12_GLOBAL__N_18offset_tEEE10hipError_tPvRmT1_PNSt15iterator_traitsISY_E10value_typeET2_T3_PNSZ_IS14_E10value_typeET4_jRbjT5_S1A_jjP12ihipStream_tbEUljE_EEESV_SW_SX_S14_S18_S1A_T6_T7_T9_mT8_S1C_bDpT10_ENKUlT_T0_E_clISt17integral_constantIbLb1EES1P_EEDaS1K_S1L_EUlS1K_E_NS1_11comp_targetILNS1_3genE5ELNS1_11target_archE942ELNS1_3gpuE9ELNS1_3repE0EEENS1_30default_config_static_selectorELNS0_4arch9wavefront6targetE0EEEvSY_
	.p2align	8
	.type	_ZN7rocprim17ROCPRIM_400000_NS6detail17trampoline_kernelINS0_13select_configILj256ELj13ELNS0_17block_load_methodE3ELS4_3ELS4_3ELNS0_20block_scan_algorithmE0ELj4294967295EEENS1_25partition_config_selectorILNS1_17partition_subalgoE3EjNS0_10empty_typeEbEEZZNS1_14partition_implILS8_3ELb0ES6_jNS0_17counting_iteratorIjlEEPS9_SE_NS0_5tupleIJPjSE_EEENSF_IJSE_SE_EEES9_SG_JZNS1_25segmented_radix_sort_implINS0_14default_configELb0EPKbPbPKlPlN2at6native12_GLOBAL__N_18offset_tEEE10hipError_tPvRmT1_PNSt15iterator_traitsISY_E10value_typeET2_T3_PNSZ_IS14_E10value_typeET4_jRbjT5_S1A_jjP12ihipStream_tbEUljE_EEESV_SW_SX_S14_S18_S1A_T6_T7_T9_mT8_S1C_bDpT10_ENKUlT_T0_E_clISt17integral_constantIbLb1EES1P_EEDaS1K_S1L_EUlS1K_E_NS1_11comp_targetILNS1_3genE5ELNS1_11target_archE942ELNS1_3gpuE9ELNS1_3repE0EEENS1_30default_config_static_selectorELNS0_4arch9wavefront6targetE0EEEvSY_,@function
_ZN7rocprim17ROCPRIM_400000_NS6detail17trampoline_kernelINS0_13select_configILj256ELj13ELNS0_17block_load_methodE3ELS4_3ELS4_3ELNS0_20block_scan_algorithmE0ELj4294967295EEENS1_25partition_config_selectorILNS1_17partition_subalgoE3EjNS0_10empty_typeEbEEZZNS1_14partition_implILS8_3ELb0ES6_jNS0_17counting_iteratorIjlEEPS9_SE_NS0_5tupleIJPjSE_EEENSF_IJSE_SE_EEES9_SG_JZNS1_25segmented_radix_sort_implINS0_14default_configELb0EPKbPbPKlPlN2at6native12_GLOBAL__N_18offset_tEEE10hipError_tPvRmT1_PNSt15iterator_traitsISY_E10value_typeET2_T3_PNSZ_IS14_E10value_typeET4_jRbjT5_S1A_jjP12ihipStream_tbEUljE_EEESV_SW_SX_S14_S18_S1A_T6_T7_T9_mT8_S1C_bDpT10_ENKUlT_T0_E_clISt17integral_constantIbLb1EES1P_EEDaS1K_S1L_EUlS1K_E_NS1_11comp_targetILNS1_3genE5ELNS1_11target_archE942ELNS1_3gpuE9ELNS1_3repE0EEENS1_30default_config_static_selectorELNS0_4arch9wavefront6targetE0EEEvSY_: ; @_ZN7rocprim17ROCPRIM_400000_NS6detail17trampoline_kernelINS0_13select_configILj256ELj13ELNS0_17block_load_methodE3ELS4_3ELS4_3ELNS0_20block_scan_algorithmE0ELj4294967295EEENS1_25partition_config_selectorILNS1_17partition_subalgoE3EjNS0_10empty_typeEbEEZZNS1_14partition_implILS8_3ELb0ES6_jNS0_17counting_iteratorIjlEEPS9_SE_NS0_5tupleIJPjSE_EEENSF_IJSE_SE_EEES9_SG_JZNS1_25segmented_radix_sort_implINS0_14default_configELb0EPKbPbPKlPlN2at6native12_GLOBAL__N_18offset_tEEE10hipError_tPvRmT1_PNSt15iterator_traitsISY_E10value_typeET2_T3_PNSZ_IS14_E10value_typeET4_jRbjT5_S1A_jjP12ihipStream_tbEUljE_EEESV_SW_SX_S14_S18_S1A_T6_T7_T9_mT8_S1C_bDpT10_ENKUlT_T0_E_clISt17integral_constantIbLb1EES1P_EEDaS1K_S1L_EUlS1K_E_NS1_11comp_targetILNS1_3genE5ELNS1_11target_archE942ELNS1_3gpuE9ELNS1_3repE0EEENS1_30default_config_static_selectorELNS0_4arch9wavefront6targetE0EEEvSY_
; %bb.0:
	.section	.rodata,"a",@progbits
	.p2align	6, 0x0
	.amdhsa_kernel _ZN7rocprim17ROCPRIM_400000_NS6detail17trampoline_kernelINS0_13select_configILj256ELj13ELNS0_17block_load_methodE3ELS4_3ELS4_3ELNS0_20block_scan_algorithmE0ELj4294967295EEENS1_25partition_config_selectorILNS1_17partition_subalgoE3EjNS0_10empty_typeEbEEZZNS1_14partition_implILS8_3ELb0ES6_jNS0_17counting_iteratorIjlEEPS9_SE_NS0_5tupleIJPjSE_EEENSF_IJSE_SE_EEES9_SG_JZNS1_25segmented_radix_sort_implINS0_14default_configELb0EPKbPbPKlPlN2at6native12_GLOBAL__N_18offset_tEEE10hipError_tPvRmT1_PNSt15iterator_traitsISY_E10value_typeET2_T3_PNSZ_IS14_E10value_typeET4_jRbjT5_S1A_jjP12ihipStream_tbEUljE_EEESV_SW_SX_S14_S18_S1A_T6_T7_T9_mT8_S1C_bDpT10_ENKUlT_T0_E_clISt17integral_constantIbLb1EES1P_EEDaS1K_S1L_EUlS1K_E_NS1_11comp_targetILNS1_3genE5ELNS1_11target_archE942ELNS1_3gpuE9ELNS1_3repE0EEENS1_30default_config_static_selectorELNS0_4arch9wavefront6targetE0EEEvSY_
		.amdhsa_group_segment_fixed_size 0
		.amdhsa_private_segment_fixed_size 0
		.amdhsa_kernarg_size 152
		.amdhsa_user_sgpr_count 6
		.amdhsa_user_sgpr_private_segment_buffer 1
		.amdhsa_user_sgpr_dispatch_ptr 0
		.amdhsa_user_sgpr_queue_ptr 0
		.amdhsa_user_sgpr_kernarg_segment_ptr 1
		.amdhsa_user_sgpr_dispatch_id 0
		.amdhsa_user_sgpr_flat_scratch_init 0
		.amdhsa_user_sgpr_private_segment_size 0
		.amdhsa_wavefront_size32 1
		.amdhsa_uses_dynamic_stack 0
		.amdhsa_system_sgpr_private_segment_wavefront_offset 0
		.amdhsa_system_sgpr_workgroup_id_x 1
		.amdhsa_system_sgpr_workgroup_id_y 0
		.amdhsa_system_sgpr_workgroup_id_z 0
		.amdhsa_system_sgpr_workgroup_info 0
		.amdhsa_system_vgpr_workitem_id 0
		.amdhsa_next_free_vgpr 1
		.amdhsa_next_free_sgpr 1
		.amdhsa_reserve_vcc 0
		.amdhsa_reserve_flat_scratch 0
		.amdhsa_float_round_mode_32 0
		.amdhsa_float_round_mode_16_64 0
		.amdhsa_float_denorm_mode_32 3
		.amdhsa_float_denorm_mode_16_64 3
		.amdhsa_dx10_clamp 1
		.amdhsa_ieee_mode 1
		.amdhsa_fp16_overflow 0
		.amdhsa_workgroup_processor_mode 1
		.amdhsa_memory_ordered 1
		.amdhsa_forward_progress 1
		.amdhsa_shared_vgpr_count 0
		.amdhsa_exception_fp_ieee_invalid_op 0
		.amdhsa_exception_fp_denorm_src 0
		.amdhsa_exception_fp_ieee_div_zero 0
		.amdhsa_exception_fp_ieee_overflow 0
		.amdhsa_exception_fp_ieee_underflow 0
		.amdhsa_exception_fp_ieee_inexact 0
		.amdhsa_exception_int_div_zero 0
	.end_amdhsa_kernel
	.section	.text._ZN7rocprim17ROCPRIM_400000_NS6detail17trampoline_kernelINS0_13select_configILj256ELj13ELNS0_17block_load_methodE3ELS4_3ELS4_3ELNS0_20block_scan_algorithmE0ELj4294967295EEENS1_25partition_config_selectorILNS1_17partition_subalgoE3EjNS0_10empty_typeEbEEZZNS1_14partition_implILS8_3ELb0ES6_jNS0_17counting_iteratorIjlEEPS9_SE_NS0_5tupleIJPjSE_EEENSF_IJSE_SE_EEES9_SG_JZNS1_25segmented_radix_sort_implINS0_14default_configELb0EPKbPbPKlPlN2at6native12_GLOBAL__N_18offset_tEEE10hipError_tPvRmT1_PNSt15iterator_traitsISY_E10value_typeET2_T3_PNSZ_IS14_E10value_typeET4_jRbjT5_S1A_jjP12ihipStream_tbEUljE_EEESV_SW_SX_S14_S18_S1A_T6_T7_T9_mT8_S1C_bDpT10_ENKUlT_T0_E_clISt17integral_constantIbLb1EES1P_EEDaS1K_S1L_EUlS1K_E_NS1_11comp_targetILNS1_3genE5ELNS1_11target_archE942ELNS1_3gpuE9ELNS1_3repE0EEENS1_30default_config_static_selectorELNS0_4arch9wavefront6targetE0EEEvSY_,"axG",@progbits,_ZN7rocprim17ROCPRIM_400000_NS6detail17trampoline_kernelINS0_13select_configILj256ELj13ELNS0_17block_load_methodE3ELS4_3ELS4_3ELNS0_20block_scan_algorithmE0ELj4294967295EEENS1_25partition_config_selectorILNS1_17partition_subalgoE3EjNS0_10empty_typeEbEEZZNS1_14partition_implILS8_3ELb0ES6_jNS0_17counting_iteratorIjlEEPS9_SE_NS0_5tupleIJPjSE_EEENSF_IJSE_SE_EEES9_SG_JZNS1_25segmented_radix_sort_implINS0_14default_configELb0EPKbPbPKlPlN2at6native12_GLOBAL__N_18offset_tEEE10hipError_tPvRmT1_PNSt15iterator_traitsISY_E10value_typeET2_T3_PNSZ_IS14_E10value_typeET4_jRbjT5_S1A_jjP12ihipStream_tbEUljE_EEESV_SW_SX_S14_S18_S1A_T6_T7_T9_mT8_S1C_bDpT10_ENKUlT_T0_E_clISt17integral_constantIbLb1EES1P_EEDaS1K_S1L_EUlS1K_E_NS1_11comp_targetILNS1_3genE5ELNS1_11target_archE942ELNS1_3gpuE9ELNS1_3repE0EEENS1_30default_config_static_selectorELNS0_4arch9wavefront6targetE0EEEvSY_,comdat
.Lfunc_end1603:
	.size	_ZN7rocprim17ROCPRIM_400000_NS6detail17trampoline_kernelINS0_13select_configILj256ELj13ELNS0_17block_load_methodE3ELS4_3ELS4_3ELNS0_20block_scan_algorithmE0ELj4294967295EEENS1_25partition_config_selectorILNS1_17partition_subalgoE3EjNS0_10empty_typeEbEEZZNS1_14partition_implILS8_3ELb0ES6_jNS0_17counting_iteratorIjlEEPS9_SE_NS0_5tupleIJPjSE_EEENSF_IJSE_SE_EEES9_SG_JZNS1_25segmented_radix_sort_implINS0_14default_configELb0EPKbPbPKlPlN2at6native12_GLOBAL__N_18offset_tEEE10hipError_tPvRmT1_PNSt15iterator_traitsISY_E10value_typeET2_T3_PNSZ_IS14_E10value_typeET4_jRbjT5_S1A_jjP12ihipStream_tbEUljE_EEESV_SW_SX_S14_S18_S1A_T6_T7_T9_mT8_S1C_bDpT10_ENKUlT_T0_E_clISt17integral_constantIbLb1EES1P_EEDaS1K_S1L_EUlS1K_E_NS1_11comp_targetILNS1_3genE5ELNS1_11target_archE942ELNS1_3gpuE9ELNS1_3repE0EEENS1_30default_config_static_selectorELNS0_4arch9wavefront6targetE0EEEvSY_, .Lfunc_end1603-_ZN7rocprim17ROCPRIM_400000_NS6detail17trampoline_kernelINS0_13select_configILj256ELj13ELNS0_17block_load_methodE3ELS4_3ELS4_3ELNS0_20block_scan_algorithmE0ELj4294967295EEENS1_25partition_config_selectorILNS1_17partition_subalgoE3EjNS0_10empty_typeEbEEZZNS1_14partition_implILS8_3ELb0ES6_jNS0_17counting_iteratorIjlEEPS9_SE_NS0_5tupleIJPjSE_EEENSF_IJSE_SE_EEES9_SG_JZNS1_25segmented_radix_sort_implINS0_14default_configELb0EPKbPbPKlPlN2at6native12_GLOBAL__N_18offset_tEEE10hipError_tPvRmT1_PNSt15iterator_traitsISY_E10value_typeET2_T3_PNSZ_IS14_E10value_typeET4_jRbjT5_S1A_jjP12ihipStream_tbEUljE_EEESV_SW_SX_S14_S18_S1A_T6_T7_T9_mT8_S1C_bDpT10_ENKUlT_T0_E_clISt17integral_constantIbLb1EES1P_EEDaS1K_S1L_EUlS1K_E_NS1_11comp_targetILNS1_3genE5ELNS1_11target_archE942ELNS1_3gpuE9ELNS1_3repE0EEENS1_30default_config_static_selectorELNS0_4arch9wavefront6targetE0EEEvSY_
                                        ; -- End function
	.set _ZN7rocprim17ROCPRIM_400000_NS6detail17trampoline_kernelINS0_13select_configILj256ELj13ELNS0_17block_load_methodE3ELS4_3ELS4_3ELNS0_20block_scan_algorithmE0ELj4294967295EEENS1_25partition_config_selectorILNS1_17partition_subalgoE3EjNS0_10empty_typeEbEEZZNS1_14partition_implILS8_3ELb0ES6_jNS0_17counting_iteratorIjlEEPS9_SE_NS0_5tupleIJPjSE_EEENSF_IJSE_SE_EEES9_SG_JZNS1_25segmented_radix_sort_implINS0_14default_configELb0EPKbPbPKlPlN2at6native12_GLOBAL__N_18offset_tEEE10hipError_tPvRmT1_PNSt15iterator_traitsISY_E10value_typeET2_T3_PNSZ_IS14_E10value_typeET4_jRbjT5_S1A_jjP12ihipStream_tbEUljE_EEESV_SW_SX_S14_S18_S1A_T6_T7_T9_mT8_S1C_bDpT10_ENKUlT_T0_E_clISt17integral_constantIbLb1EES1P_EEDaS1K_S1L_EUlS1K_E_NS1_11comp_targetILNS1_3genE5ELNS1_11target_archE942ELNS1_3gpuE9ELNS1_3repE0EEENS1_30default_config_static_selectorELNS0_4arch9wavefront6targetE0EEEvSY_.num_vgpr, 0
	.set _ZN7rocprim17ROCPRIM_400000_NS6detail17trampoline_kernelINS0_13select_configILj256ELj13ELNS0_17block_load_methodE3ELS4_3ELS4_3ELNS0_20block_scan_algorithmE0ELj4294967295EEENS1_25partition_config_selectorILNS1_17partition_subalgoE3EjNS0_10empty_typeEbEEZZNS1_14partition_implILS8_3ELb0ES6_jNS0_17counting_iteratorIjlEEPS9_SE_NS0_5tupleIJPjSE_EEENSF_IJSE_SE_EEES9_SG_JZNS1_25segmented_radix_sort_implINS0_14default_configELb0EPKbPbPKlPlN2at6native12_GLOBAL__N_18offset_tEEE10hipError_tPvRmT1_PNSt15iterator_traitsISY_E10value_typeET2_T3_PNSZ_IS14_E10value_typeET4_jRbjT5_S1A_jjP12ihipStream_tbEUljE_EEESV_SW_SX_S14_S18_S1A_T6_T7_T9_mT8_S1C_bDpT10_ENKUlT_T0_E_clISt17integral_constantIbLb1EES1P_EEDaS1K_S1L_EUlS1K_E_NS1_11comp_targetILNS1_3genE5ELNS1_11target_archE942ELNS1_3gpuE9ELNS1_3repE0EEENS1_30default_config_static_selectorELNS0_4arch9wavefront6targetE0EEEvSY_.num_agpr, 0
	.set _ZN7rocprim17ROCPRIM_400000_NS6detail17trampoline_kernelINS0_13select_configILj256ELj13ELNS0_17block_load_methodE3ELS4_3ELS4_3ELNS0_20block_scan_algorithmE0ELj4294967295EEENS1_25partition_config_selectorILNS1_17partition_subalgoE3EjNS0_10empty_typeEbEEZZNS1_14partition_implILS8_3ELb0ES6_jNS0_17counting_iteratorIjlEEPS9_SE_NS0_5tupleIJPjSE_EEENSF_IJSE_SE_EEES9_SG_JZNS1_25segmented_radix_sort_implINS0_14default_configELb0EPKbPbPKlPlN2at6native12_GLOBAL__N_18offset_tEEE10hipError_tPvRmT1_PNSt15iterator_traitsISY_E10value_typeET2_T3_PNSZ_IS14_E10value_typeET4_jRbjT5_S1A_jjP12ihipStream_tbEUljE_EEESV_SW_SX_S14_S18_S1A_T6_T7_T9_mT8_S1C_bDpT10_ENKUlT_T0_E_clISt17integral_constantIbLb1EES1P_EEDaS1K_S1L_EUlS1K_E_NS1_11comp_targetILNS1_3genE5ELNS1_11target_archE942ELNS1_3gpuE9ELNS1_3repE0EEENS1_30default_config_static_selectorELNS0_4arch9wavefront6targetE0EEEvSY_.numbered_sgpr, 0
	.set _ZN7rocprim17ROCPRIM_400000_NS6detail17trampoline_kernelINS0_13select_configILj256ELj13ELNS0_17block_load_methodE3ELS4_3ELS4_3ELNS0_20block_scan_algorithmE0ELj4294967295EEENS1_25partition_config_selectorILNS1_17partition_subalgoE3EjNS0_10empty_typeEbEEZZNS1_14partition_implILS8_3ELb0ES6_jNS0_17counting_iteratorIjlEEPS9_SE_NS0_5tupleIJPjSE_EEENSF_IJSE_SE_EEES9_SG_JZNS1_25segmented_radix_sort_implINS0_14default_configELb0EPKbPbPKlPlN2at6native12_GLOBAL__N_18offset_tEEE10hipError_tPvRmT1_PNSt15iterator_traitsISY_E10value_typeET2_T3_PNSZ_IS14_E10value_typeET4_jRbjT5_S1A_jjP12ihipStream_tbEUljE_EEESV_SW_SX_S14_S18_S1A_T6_T7_T9_mT8_S1C_bDpT10_ENKUlT_T0_E_clISt17integral_constantIbLb1EES1P_EEDaS1K_S1L_EUlS1K_E_NS1_11comp_targetILNS1_3genE5ELNS1_11target_archE942ELNS1_3gpuE9ELNS1_3repE0EEENS1_30default_config_static_selectorELNS0_4arch9wavefront6targetE0EEEvSY_.num_named_barrier, 0
	.set _ZN7rocprim17ROCPRIM_400000_NS6detail17trampoline_kernelINS0_13select_configILj256ELj13ELNS0_17block_load_methodE3ELS4_3ELS4_3ELNS0_20block_scan_algorithmE0ELj4294967295EEENS1_25partition_config_selectorILNS1_17partition_subalgoE3EjNS0_10empty_typeEbEEZZNS1_14partition_implILS8_3ELb0ES6_jNS0_17counting_iteratorIjlEEPS9_SE_NS0_5tupleIJPjSE_EEENSF_IJSE_SE_EEES9_SG_JZNS1_25segmented_radix_sort_implINS0_14default_configELb0EPKbPbPKlPlN2at6native12_GLOBAL__N_18offset_tEEE10hipError_tPvRmT1_PNSt15iterator_traitsISY_E10value_typeET2_T3_PNSZ_IS14_E10value_typeET4_jRbjT5_S1A_jjP12ihipStream_tbEUljE_EEESV_SW_SX_S14_S18_S1A_T6_T7_T9_mT8_S1C_bDpT10_ENKUlT_T0_E_clISt17integral_constantIbLb1EES1P_EEDaS1K_S1L_EUlS1K_E_NS1_11comp_targetILNS1_3genE5ELNS1_11target_archE942ELNS1_3gpuE9ELNS1_3repE0EEENS1_30default_config_static_selectorELNS0_4arch9wavefront6targetE0EEEvSY_.private_seg_size, 0
	.set _ZN7rocprim17ROCPRIM_400000_NS6detail17trampoline_kernelINS0_13select_configILj256ELj13ELNS0_17block_load_methodE3ELS4_3ELS4_3ELNS0_20block_scan_algorithmE0ELj4294967295EEENS1_25partition_config_selectorILNS1_17partition_subalgoE3EjNS0_10empty_typeEbEEZZNS1_14partition_implILS8_3ELb0ES6_jNS0_17counting_iteratorIjlEEPS9_SE_NS0_5tupleIJPjSE_EEENSF_IJSE_SE_EEES9_SG_JZNS1_25segmented_radix_sort_implINS0_14default_configELb0EPKbPbPKlPlN2at6native12_GLOBAL__N_18offset_tEEE10hipError_tPvRmT1_PNSt15iterator_traitsISY_E10value_typeET2_T3_PNSZ_IS14_E10value_typeET4_jRbjT5_S1A_jjP12ihipStream_tbEUljE_EEESV_SW_SX_S14_S18_S1A_T6_T7_T9_mT8_S1C_bDpT10_ENKUlT_T0_E_clISt17integral_constantIbLb1EES1P_EEDaS1K_S1L_EUlS1K_E_NS1_11comp_targetILNS1_3genE5ELNS1_11target_archE942ELNS1_3gpuE9ELNS1_3repE0EEENS1_30default_config_static_selectorELNS0_4arch9wavefront6targetE0EEEvSY_.uses_vcc, 0
	.set _ZN7rocprim17ROCPRIM_400000_NS6detail17trampoline_kernelINS0_13select_configILj256ELj13ELNS0_17block_load_methodE3ELS4_3ELS4_3ELNS0_20block_scan_algorithmE0ELj4294967295EEENS1_25partition_config_selectorILNS1_17partition_subalgoE3EjNS0_10empty_typeEbEEZZNS1_14partition_implILS8_3ELb0ES6_jNS0_17counting_iteratorIjlEEPS9_SE_NS0_5tupleIJPjSE_EEENSF_IJSE_SE_EEES9_SG_JZNS1_25segmented_radix_sort_implINS0_14default_configELb0EPKbPbPKlPlN2at6native12_GLOBAL__N_18offset_tEEE10hipError_tPvRmT1_PNSt15iterator_traitsISY_E10value_typeET2_T3_PNSZ_IS14_E10value_typeET4_jRbjT5_S1A_jjP12ihipStream_tbEUljE_EEESV_SW_SX_S14_S18_S1A_T6_T7_T9_mT8_S1C_bDpT10_ENKUlT_T0_E_clISt17integral_constantIbLb1EES1P_EEDaS1K_S1L_EUlS1K_E_NS1_11comp_targetILNS1_3genE5ELNS1_11target_archE942ELNS1_3gpuE9ELNS1_3repE0EEENS1_30default_config_static_selectorELNS0_4arch9wavefront6targetE0EEEvSY_.uses_flat_scratch, 0
	.set _ZN7rocprim17ROCPRIM_400000_NS6detail17trampoline_kernelINS0_13select_configILj256ELj13ELNS0_17block_load_methodE3ELS4_3ELS4_3ELNS0_20block_scan_algorithmE0ELj4294967295EEENS1_25partition_config_selectorILNS1_17partition_subalgoE3EjNS0_10empty_typeEbEEZZNS1_14partition_implILS8_3ELb0ES6_jNS0_17counting_iteratorIjlEEPS9_SE_NS0_5tupleIJPjSE_EEENSF_IJSE_SE_EEES9_SG_JZNS1_25segmented_radix_sort_implINS0_14default_configELb0EPKbPbPKlPlN2at6native12_GLOBAL__N_18offset_tEEE10hipError_tPvRmT1_PNSt15iterator_traitsISY_E10value_typeET2_T3_PNSZ_IS14_E10value_typeET4_jRbjT5_S1A_jjP12ihipStream_tbEUljE_EEESV_SW_SX_S14_S18_S1A_T6_T7_T9_mT8_S1C_bDpT10_ENKUlT_T0_E_clISt17integral_constantIbLb1EES1P_EEDaS1K_S1L_EUlS1K_E_NS1_11comp_targetILNS1_3genE5ELNS1_11target_archE942ELNS1_3gpuE9ELNS1_3repE0EEENS1_30default_config_static_selectorELNS0_4arch9wavefront6targetE0EEEvSY_.has_dyn_sized_stack, 0
	.set _ZN7rocprim17ROCPRIM_400000_NS6detail17trampoline_kernelINS0_13select_configILj256ELj13ELNS0_17block_load_methodE3ELS4_3ELS4_3ELNS0_20block_scan_algorithmE0ELj4294967295EEENS1_25partition_config_selectorILNS1_17partition_subalgoE3EjNS0_10empty_typeEbEEZZNS1_14partition_implILS8_3ELb0ES6_jNS0_17counting_iteratorIjlEEPS9_SE_NS0_5tupleIJPjSE_EEENSF_IJSE_SE_EEES9_SG_JZNS1_25segmented_radix_sort_implINS0_14default_configELb0EPKbPbPKlPlN2at6native12_GLOBAL__N_18offset_tEEE10hipError_tPvRmT1_PNSt15iterator_traitsISY_E10value_typeET2_T3_PNSZ_IS14_E10value_typeET4_jRbjT5_S1A_jjP12ihipStream_tbEUljE_EEESV_SW_SX_S14_S18_S1A_T6_T7_T9_mT8_S1C_bDpT10_ENKUlT_T0_E_clISt17integral_constantIbLb1EES1P_EEDaS1K_S1L_EUlS1K_E_NS1_11comp_targetILNS1_3genE5ELNS1_11target_archE942ELNS1_3gpuE9ELNS1_3repE0EEENS1_30default_config_static_selectorELNS0_4arch9wavefront6targetE0EEEvSY_.has_recursion, 0
	.set _ZN7rocprim17ROCPRIM_400000_NS6detail17trampoline_kernelINS0_13select_configILj256ELj13ELNS0_17block_load_methodE3ELS4_3ELS4_3ELNS0_20block_scan_algorithmE0ELj4294967295EEENS1_25partition_config_selectorILNS1_17partition_subalgoE3EjNS0_10empty_typeEbEEZZNS1_14partition_implILS8_3ELb0ES6_jNS0_17counting_iteratorIjlEEPS9_SE_NS0_5tupleIJPjSE_EEENSF_IJSE_SE_EEES9_SG_JZNS1_25segmented_radix_sort_implINS0_14default_configELb0EPKbPbPKlPlN2at6native12_GLOBAL__N_18offset_tEEE10hipError_tPvRmT1_PNSt15iterator_traitsISY_E10value_typeET2_T3_PNSZ_IS14_E10value_typeET4_jRbjT5_S1A_jjP12ihipStream_tbEUljE_EEESV_SW_SX_S14_S18_S1A_T6_T7_T9_mT8_S1C_bDpT10_ENKUlT_T0_E_clISt17integral_constantIbLb1EES1P_EEDaS1K_S1L_EUlS1K_E_NS1_11comp_targetILNS1_3genE5ELNS1_11target_archE942ELNS1_3gpuE9ELNS1_3repE0EEENS1_30default_config_static_selectorELNS0_4arch9wavefront6targetE0EEEvSY_.has_indirect_call, 0
	.section	.AMDGPU.csdata,"",@progbits
; Kernel info:
; codeLenInByte = 0
; TotalNumSgprs: 0
; NumVgprs: 0
; ScratchSize: 0
; MemoryBound: 0
; FloatMode: 240
; IeeeMode: 1
; LDSByteSize: 0 bytes/workgroup (compile time only)
; SGPRBlocks: 0
; VGPRBlocks: 0
; NumSGPRsForWavesPerEU: 1
; NumVGPRsForWavesPerEU: 1
; Occupancy: 16
; WaveLimiterHint : 0
; COMPUTE_PGM_RSRC2:SCRATCH_EN: 0
; COMPUTE_PGM_RSRC2:USER_SGPR: 6
; COMPUTE_PGM_RSRC2:TRAP_HANDLER: 0
; COMPUTE_PGM_RSRC2:TGID_X_EN: 1
; COMPUTE_PGM_RSRC2:TGID_Y_EN: 0
; COMPUTE_PGM_RSRC2:TGID_Z_EN: 0
; COMPUTE_PGM_RSRC2:TIDIG_COMP_CNT: 0
	.section	.text._ZN7rocprim17ROCPRIM_400000_NS6detail17trampoline_kernelINS0_13select_configILj256ELj13ELNS0_17block_load_methodE3ELS4_3ELS4_3ELNS0_20block_scan_algorithmE0ELj4294967295EEENS1_25partition_config_selectorILNS1_17partition_subalgoE3EjNS0_10empty_typeEbEEZZNS1_14partition_implILS8_3ELb0ES6_jNS0_17counting_iteratorIjlEEPS9_SE_NS0_5tupleIJPjSE_EEENSF_IJSE_SE_EEES9_SG_JZNS1_25segmented_radix_sort_implINS0_14default_configELb0EPKbPbPKlPlN2at6native12_GLOBAL__N_18offset_tEEE10hipError_tPvRmT1_PNSt15iterator_traitsISY_E10value_typeET2_T3_PNSZ_IS14_E10value_typeET4_jRbjT5_S1A_jjP12ihipStream_tbEUljE_EEESV_SW_SX_S14_S18_S1A_T6_T7_T9_mT8_S1C_bDpT10_ENKUlT_T0_E_clISt17integral_constantIbLb1EES1P_EEDaS1K_S1L_EUlS1K_E_NS1_11comp_targetILNS1_3genE4ELNS1_11target_archE910ELNS1_3gpuE8ELNS1_3repE0EEENS1_30default_config_static_selectorELNS0_4arch9wavefront6targetE0EEEvSY_,"axG",@progbits,_ZN7rocprim17ROCPRIM_400000_NS6detail17trampoline_kernelINS0_13select_configILj256ELj13ELNS0_17block_load_methodE3ELS4_3ELS4_3ELNS0_20block_scan_algorithmE0ELj4294967295EEENS1_25partition_config_selectorILNS1_17partition_subalgoE3EjNS0_10empty_typeEbEEZZNS1_14partition_implILS8_3ELb0ES6_jNS0_17counting_iteratorIjlEEPS9_SE_NS0_5tupleIJPjSE_EEENSF_IJSE_SE_EEES9_SG_JZNS1_25segmented_radix_sort_implINS0_14default_configELb0EPKbPbPKlPlN2at6native12_GLOBAL__N_18offset_tEEE10hipError_tPvRmT1_PNSt15iterator_traitsISY_E10value_typeET2_T3_PNSZ_IS14_E10value_typeET4_jRbjT5_S1A_jjP12ihipStream_tbEUljE_EEESV_SW_SX_S14_S18_S1A_T6_T7_T9_mT8_S1C_bDpT10_ENKUlT_T0_E_clISt17integral_constantIbLb1EES1P_EEDaS1K_S1L_EUlS1K_E_NS1_11comp_targetILNS1_3genE4ELNS1_11target_archE910ELNS1_3gpuE8ELNS1_3repE0EEENS1_30default_config_static_selectorELNS0_4arch9wavefront6targetE0EEEvSY_,comdat
	.globl	_ZN7rocprim17ROCPRIM_400000_NS6detail17trampoline_kernelINS0_13select_configILj256ELj13ELNS0_17block_load_methodE3ELS4_3ELS4_3ELNS0_20block_scan_algorithmE0ELj4294967295EEENS1_25partition_config_selectorILNS1_17partition_subalgoE3EjNS0_10empty_typeEbEEZZNS1_14partition_implILS8_3ELb0ES6_jNS0_17counting_iteratorIjlEEPS9_SE_NS0_5tupleIJPjSE_EEENSF_IJSE_SE_EEES9_SG_JZNS1_25segmented_radix_sort_implINS0_14default_configELb0EPKbPbPKlPlN2at6native12_GLOBAL__N_18offset_tEEE10hipError_tPvRmT1_PNSt15iterator_traitsISY_E10value_typeET2_T3_PNSZ_IS14_E10value_typeET4_jRbjT5_S1A_jjP12ihipStream_tbEUljE_EEESV_SW_SX_S14_S18_S1A_T6_T7_T9_mT8_S1C_bDpT10_ENKUlT_T0_E_clISt17integral_constantIbLb1EES1P_EEDaS1K_S1L_EUlS1K_E_NS1_11comp_targetILNS1_3genE4ELNS1_11target_archE910ELNS1_3gpuE8ELNS1_3repE0EEENS1_30default_config_static_selectorELNS0_4arch9wavefront6targetE0EEEvSY_ ; -- Begin function _ZN7rocprim17ROCPRIM_400000_NS6detail17trampoline_kernelINS0_13select_configILj256ELj13ELNS0_17block_load_methodE3ELS4_3ELS4_3ELNS0_20block_scan_algorithmE0ELj4294967295EEENS1_25partition_config_selectorILNS1_17partition_subalgoE3EjNS0_10empty_typeEbEEZZNS1_14partition_implILS8_3ELb0ES6_jNS0_17counting_iteratorIjlEEPS9_SE_NS0_5tupleIJPjSE_EEENSF_IJSE_SE_EEES9_SG_JZNS1_25segmented_radix_sort_implINS0_14default_configELb0EPKbPbPKlPlN2at6native12_GLOBAL__N_18offset_tEEE10hipError_tPvRmT1_PNSt15iterator_traitsISY_E10value_typeET2_T3_PNSZ_IS14_E10value_typeET4_jRbjT5_S1A_jjP12ihipStream_tbEUljE_EEESV_SW_SX_S14_S18_S1A_T6_T7_T9_mT8_S1C_bDpT10_ENKUlT_T0_E_clISt17integral_constantIbLb1EES1P_EEDaS1K_S1L_EUlS1K_E_NS1_11comp_targetILNS1_3genE4ELNS1_11target_archE910ELNS1_3gpuE8ELNS1_3repE0EEENS1_30default_config_static_selectorELNS0_4arch9wavefront6targetE0EEEvSY_
	.p2align	8
	.type	_ZN7rocprim17ROCPRIM_400000_NS6detail17trampoline_kernelINS0_13select_configILj256ELj13ELNS0_17block_load_methodE3ELS4_3ELS4_3ELNS0_20block_scan_algorithmE0ELj4294967295EEENS1_25partition_config_selectorILNS1_17partition_subalgoE3EjNS0_10empty_typeEbEEZZNS1_14partition_implILS8_3ELb0ES6_jNS0_17counting_iteratorIjlEEPS9_SE_NS0_5tupleIJPjSE_EEENSF_IJSE_SE_EEES9_SG_JZNS1_25segmented_radix_sort_implINS0_14default_configELb0EPKbPbPKlPlN2at6native12_GLOBAL__N_18offset_tEEE10hipError_tPvRmT1_PNSt15iterator_traitsISY_E10value_typeET2_T3_PNSZ_IS14_E10value_typeET4_jRbjT5_S1A_jjP12ihipStream_tbEUljE_EEESV_SW_SX_S14_S18_S1A_T6_T7_T9_mT8_S1C_bDpT10_ENKUlT_T0_E_clISt17integral_constantIbLb1EES1P_EEDaS1K_S1L_EUlS1K_E_NS1_11comp_targetILNS1_3genE4ELNS1_11target_archE910ELNS1_3gpuE8ELNS1_3repE0EEENS1_30default_config_static_selectorELNS0_4arch9wavefront6targetE0EEEvSY_,@function
_ZN7rocprim17ROCPRIM_400000_NS6detail17trampoline_kernelINS0_13select_configILj256ELj13ELNS0_17block_load_methodE3ELS4_3ELS4_3ELNS0_20block_scan_algorithmE0ELj4294967295EEENS1_25partition_config_selectorILNS1_17partition_subalgoE3EjNS0_10empty_typeEbEEZZNS1_14partition_implILS8_3ELb0ES6_jNS0_17counting_iteratorIjlEEPS9_SE_NS0_5tupleIJPjSE_EEENSF_IJSE_SE_EEES9_SG_JZNS1_25segmented_radix_sort_implINS0_14default_configELb0EPKbPbPKlPlN2at6native12_GLOBAL__N_18offset_tEEE10hipError_tPvRmT1_PNSt15iterator_traitsISY_E10value_typeET2_T3_PNSZ_IS14_E10value_typeET4_jRbjT5_S1A_jjP12ihipStream_tbEUljE_EEESV_SW_SX_S14_S18_S1A_T6_T7_T9_mT8_S1C_bDpT10_ENKUlT_T0_E_clISt17integral_constantIbLb1EES1P_EEDaS1K_S1L_EUlS1K_E_NS1_11comp_targetILNS1_3genE4ELNS1_11target_archE910ELNS1_3gpuE8ELNS1_3repE0EEENS1_30default_config_static_selectorELNS0_4arch9wavefront6targetE0EEEvSY_: ; @_ZN7rocprim17ROCPRIM_400000_NS6detail17trampoline_kernelINS0_13select_configILj256ELj13ELNS0_17block_load_methodE3ELS4_3ELS4_3ELNS0_20block_scan_algorithmE0ELj4294967295EEENS1_25partition_config_selectorILNS1_17partition_subalgoE3EjNS0_10empty_typeEbEEZZNS1_14partition_implILS8_3ELb0ES6_jNS0_17counting_iteratorIjlEEPS9_SE_NS0_5tupleIJPjSE_EEENSF_IJSE_SE_EEES9_SG_JZNS1_25segmented_radix_sort_implINS0_14default_configELb0EPKbPbPKlPlN2at6native12_GLOBAL__N_18offset_tEEE10hipError_tPvRmT1_PNSt15iterator_traitsISY_E10value_typeET2_T3_PNSZ_IS14_E10value_typeET4_jRbjT5_S1A_jjP12ihipStream_tbEUljE_EEESV_SW_SX_S14_S18_S1A_T6_T7_T9_mT8_S1C_bDpT10_ENKUlT_T0_E_clISt17integral_constantIbLb1EES1P_EEDaS1K_S1L_EUlS1K_E_NS1_11comp_targetILNS1_3genE4ELNS1_11target_archE910ELNS1_3gpuE8ELNS1_3repE0EEENS1_30default_config_static_selectorELNS0_4arch9wavefront6targetE0EEEvSY_
; %bb.0:
	.section	.rodata,"a",@progbits
	.p2align	6, 0x0
	.amdhsa_kernel _ZN7rocprim17ROCPRIM_400000_NS6detail17trampoline_kernelINS0_13select_configILj256ELj13ELNS0_17block_load_methodE3ELS4_3ELS4_3ELNS0_20block_scan_algorithmE0ELj4294967295EEENS1_25partition_config_selectorILNS1_17partition_subalgoE3EjNS0_10empty_typeEbEEZZNS1_14partition_implILS8_3ELb0ES6_jNS0_17counting_iteratorIjlEEPS9_SE_NS0_5tupleIJPjSE_EEENSF_IJSE_SE_EEES9_SG_JZNS1_25segmented_radix_sort_implINS0_14default_configELb0EPKbPbPKlPlN2at6native12_GLOBAL__N_18offset_tEEE10hipError_tPvRmT1_PNSt15iterator_traitsISY_E10value_typeET2_T3_PNSZ_IS14_E10value_typeET4_jRbjT5_S1A_jjP12ihipStream_tbEUljE_EEESV_SW_SX_S14_S18_S1A_T6_T7_T9_mT8_S1C_bDpT10_ENKUlT_T0_E_clISt17integral_constantIbLb1EES1P_EEDaS1K_S1L_EUlS1K_E_NS1_11comp_targetILNS1_3genE4ELNS1_11target_archE910ELNS1_3gpuE8ELNS1_3repE0EEENS1_30default_config_static_selectorELNS0_4arch9wavefront6targetE0EEEvSY_
		.amdhsa_group_segment_fixed_size 0
		.amdhsa_private_segment_fixed_size 0
		.amdhsa_kernarg_size 152
		.amdhsa_user_sgpr_count 6
		.amdhsa_user_sgpr_private_segment_buffer 1
		.amdhsa_user_sgpr_dispatch_ptr 0
		.amdhsa_user_sgpr_queue_ptr 0
		.amdhsa_user_sgpr_kernarg_segment_ptr 1
		.amdhsa_user_sgpr_dispatch_id 0
		.amdhsa_user_sgpr_flat_scratch_init 0
		.amdhsa_user_sgpr_private_segment_size 0
		.amdhsa_wavefront_size32 1
		.amdhsa_uses_dynamic_stack 0
		.amdhsa_system_sgpr_private_segment_wavefront_offset 0
		.amdhsa_system_sgpr_workgroup_id_x 1
		.amdhsa_system_sgpr_workgroup_id_y 0
		.amdhsa_system_sgpr_workgroup_id_z 0
		.amdhsa_system_sgpr_workgroup_info 0
		.amdhsa_system_vgpr_workitem_id 0
		.amdhsa_next_free_vgpr 1
		.amdhsa_next_free_sgpr 1
		.amdhsa_reserve_vcc 0
		.amdhsa_reserve_flat_scratch 0
		.amdhsa_float_round_mode_32 0
		.amdhsa_float_round_mode_16_64 0
		.amdhsa_float_denorm_mode_32 3
		.amdhsa_float_denorm_mode_16_64 3
		.amdhsa_dx10_clamp 1
		.amdhsa_ieee_mode 1
		.amdhsa_fp16_overflow 0
		.amdhsa_workgroup_processor_mode 1
		.amdhsa_memory_ordered 1
		.amdhsa_forward_progress 1
		.amdhsa_shared_vgpr_count 0
		.amdhsa_exception_fp_ieee_invalid_op 0
		.amdhsa_exception_fp_denorm_src 0
		.amdhsa_exception_fp_ieee_div_zero 0
		.amdhsa_exception_fp_ieee_overflow 0
		.amdhsa_exception_fp_ieee_underflow 0
		.amdhsa_exception_fp_ieee_inexact 0
		.amdhsa_exception_int_div_zero 0
	.end_amdhsa_kernel
	.section	.text._ZN7rocprim17ROCPRIM_400000_NS6detail17trampoline_kernelINS0_13select_configILj256ELj13ELNS0_17block_load_methodE3ELS4_3ELS4_3ELNS0_20block_scan_algorithmE0ELj4294967295EEENS1_25partition_config_selectorILNS1_17partition_subalgoE3EjNS0_10empty_typeEbEEZZNS1_14partition_implILS8_3ELb0ES6_jNS0_17counting_iteratorIjlEEPS9_SE_NS0_5tupleIJPjSE_EEENSF_IJSE_SE_EEES9_SG_JZNS1_25segmented_radix_sort_implINS0_14default_configELb0EPKbPbPKlPlN2at6native12_GLOBAL__N_18offset_tEEE10hipError_tPvRmT1_PNSt15iterator_traitsISY_E10value_typeET2_T3_PNSZ_IS14_E10value_typeET4_jRbjT5_S1A_jjP12ihipStream_tbEUljE_EEESV_SW_SX_S14_S18_S1A_T6_T7_T9_mT8_S1C_bDpT10_ENKUlT_T0_E_clISt17integral_constantIbLb1EES1P_EEDaS1K_S1L_EUlS1K_E_NS1_11comp_targetILNS1_3genE4ELNS1_11target_archE910ELNS1_3gpuE8ELNS1_3repE0EEENS1_30default_config_static_selectorELNS0_4arch9wavefront6targetE0EEEvSY_,"axG",@progbits,_ZN7rocprim17ROCPRIM_400000_NS6detail17trampoline_kernelINS0_13select_configILj256ELj13ELNS0_17block_load_methodE3ELS4_3ELS4_3ELNS0_20block_scan_algorithmE0ELj4294967295EEENS1_25partition_config_selectorILNS1_17partition_subalgoE3EjNS0_10empty_typeEbEEZZNS1_14partition_implILS8_3ELb0ES6_jNS0_17counting_iteratorIjlEEPS9_SE_NS0_5tupleIJPjSE_EEENSF_IJSE_SE_EEES9_SG_JZNS1_25segmented_radix_sort_implINS0_14default_configELb0EPKbPbPKlPlN2at6native12_GLOBAL__N_18offset_tEEE10hipError_tPvRmT1_PNSt15iterator_traitsISY_E10value_typeET2_T3_PNSZ_IS14_E10value_typeET4_jRbjT5_S1A_jjP12ihipStream_tbEUljE_EEESV_SW_SX_S14_S18_S1A_T6_T7_T9_mT8_S1C_bDpT10_ENKUlT_T0_E_clISt17integral_constantIbLb1EES1P_EEDaS1K_S1L_EUlS1K_E_NS1_11comp_targetILNS1_3genE4ELNS1_11target_archE910ELNS1_3gpuE8ELNS1_3repE0EEENS1_30default_config_static_selectorELNS0_4arch9wavefront6targetE0EEEvSY_,comdat
.Lfunc_end1604:
	.size	_ZN7rocprim17ROCPRIM_400000_NS6detail17trampoline_kernelINS0_13select_configILj256ELj13ELNS0_17block_load_methodE3ELS4_3ELS4_3ELNS0_20block_scan_algorithmE0ELj4294967295EEENS1_25partition_config_selectorILNS1_17partition_subalgoE3EjNS0_10empty_typeEbEEZZNS1_14partition_implILS8_3ELb0ES6_jNS0_17counting_iteratorIjlEEPS9_SE_NS0_5tupleIJPjSE_EEENSF_IJSE_SE_EEES9_SG_JZNS1_25segmented_radix_sort_implINS0_14default_configELb0EPKbPbPKlPlN2at6native12_GLOBAL__N_18offset_tEEE10hipError_tPvRmT1_PNSt15iterator_traitsISY_E10value_typeET2_T3_PNSZ_IS14_E10value_typeET4_jRbjT5_S1A_jjP12ihipStream_tbEUljE_EEESV_SW_SX_S14_S18_S1A_T6_T7_T9_mT8_S1C_bDpT10_ENKUlT_T0_E_clISt17integral_constantIbLb1EES1P_EEDaS1K_S1L_EUlS1K_E_NS1_11comp_targetILNS1_3genE4ELNS1_11target_archE910ELNS1_3gpuE8ELNS1_3repE0EEENS1_30default_config_static_selectorELNS0_4arch9wavefront6targetE0EEEvSY_, .Lfunc_end1604-_ZN7rocprim17ROCPRIM_400000_NS6detail17trampoline_kernelINS0_13select_configILj256ELj13ELNS0_17block_load_methodE3ELS4_3ELS4_3ELNS0_20block_scan_algorithmE0ELj4294967295EEENS1_25partition_config_selectorILNS1_17partition_subalgoE3EjNS0_10empty_typeEbEEZZNS1_14partition_implILS8_3ELb0ES6_jNS0_17counting_iteratorIjlEEPS9_SE_NS0_5tupleIJPjSE_EEENSF_IJSE_SE_EEES9_SG_JZNS1_25segmented_radix_sort_implINS0_14default_configELb0EPKbPbPKlPlN2at6native12_GLOBAL__N_18offset_tEEE10hipError_tPvRmT1_PNSt15iterator_traitsISY_E10value_typeET2_T3_PNSZ_IS14_E10value_typeET4_jRbjT5_S1A_jjP12ihipStream_tbEUljE_EEESV_SW_SX_S14_S18_S1A_T6_T7_T9_mT8_S1C_bDpT10_ENKUlT_T0_E_clISt17integral_constantIbLb1EES1P_EEDaS1K_S1L_EUlS1K_E_NS1_11comp_targetILNS1_3genE4ELNS1_11target_archE910ELNS1_3gpuE8ELNS1_3repE0EEENS1_30default_config_static_selectorELNS0_4arch9wavefront6targetE0EEEvSY_
                                        ; -- End function
	.set _ZN7rocprim17ROCPRIM_400000_NS6detail17trampoline_kernelINS0_13select_configILj256ELj13ELNS0_17block_load_methodE3ELS4_3ELS4_3ELNS0_20block_scan_algorithmE0ELj4294967295EEENS1_25partition_config_selectorILNS1_17partition_subalgoE3EjNS0_10empty_typeEbEEZZNS1_14partition_implILS8_3ELb0ES6_jNS0_17counting_iteratorIjlEEPS9_SE_NS0_5tupleIJPjSE_EEENSF_IJSE_SE_EEES9_SG_JZNS1_25segmented_radix_sort_implINS0_14default_configELb0EPKbPbPKlPlN2at6native12_GLOBAL__N_18offset_tEEE10hipError_tPvRmT1_PNSt15iterator_traitsISY_E10value_typeET2_T3_PNSZ_IS14_E10value_typeET4_jRbjT5_S1A_jjP12ihipStream_tbEUljE_EEESV_SW_SX_S14_S18_S1A_T6_T7_T9_mT8_S1C_bDpT10_ENKUlT_T0_E_clISt17integral_constantIbLb1EES1P_EEDaS1K_S1L_EUlS1K_E_NS1_11comp_targetILNS1_3genE4ELNS1_11target_archE910ELNS1_3gpuE8ELNS1_3repE0EEENS1_30default_config_static_selectorELNS0_4arch9wavefront6targetE0EEEvSY_.num_vgpr, 0
	.set _ZN7rocprim17ROCPRIM_400000_NS6detail17trampoline_kernelINS0_13select_configILj256ELj13ELNS0_17block_load_methodE3ELS4_3ELS4_3ELNS0_20block_scan_algorithmE0ELj4294967295EEENS1_25partition_config_selectorILNS1_17partition_subalgoE3EjNS0_10empty_typeEbEEZZNS1_14partition_implILS8_3ELb0ES6_jNS0_17counting_iteratorIjlEEPS9_SE_NS0_5tupleIJPjSE_EEENSF_IJSE_SE_EEES9_SG_JZNS1_25segmented_radix_sort_implINS0_14default_configELb0EPKbPbPKlPlN2at6native12_GLOBAL__N_18offset_tEEE10hipError_tPvRmT1_PNSt15iterator_traitsISY_E10value_typeET2_T3_PNSZ_IS14_E10value_typeET4_jRbjT5_S1A_jjP12ihipStream_tbEUljE_EEESV_SW_SX_S14_S18_S1A_T6_T7_T9_mT8_S1C_bDpT10_ENKUlT_T0_E_clISt17integral_constantIbLb1EES1P_EEDaS1K_S1L_EUlS1K_E_NS1_11comp_targetILNS1_3genE4ELNS1_11target_archE910ELNS1_3gpuE8ELNS1_3repE0EEENS1_30default_config_static_selectorELNS0_4arch9wavefront6targetE0EEEvSY_.num_agpr, 0
	.set _ZN7rocprim17ROCPRIM_400000_NS6detail17trampoline_kernelINS0_13select_configILj256ELj13ELNS0_17block_load_methodE3ELS4_3ELS4_3ELNS0_20block_scan_algorithmE0ELj4294967295EEENS1_25partition_config_selectorILNS1_17partition_subalgoE3EjNS0_10empty_typeEbEEZZNS1_14partition_implILS8_3ELb0ES6_jNS0_17counting_iteratorIjlEEPS9_SE_NS0_5tupleIJPjSE_EEENSF_IJSE_SE_EEES9_SG_JZNS1_25segmented_radix_sort_implINS0_14default_configELb0EPKbPbPKlPlN2at6native12_GLOBAL__N_18offset_tEEE10hipError_tPvRmT1_PNSt15iterator_traitsISY_E10value_typeET2_T3_PNSZ_IS14_E10value_typeET4_jRbjT5_S1A_jjP12ihipStream_tbEUljE_EEESV_SW_SX_S14_S18_S1A_T6_T7_T9_mT8_S1C_bDpT10_ENKUlT_T0_E_clISt17integral_constantIbLb1EES1P_EEDaS1K_S1L_EUlS1K_E_NS1_11comp_targetILNS1_3genE4ELNS1_11target_archE910ELNS1_3gpuE8ELNS1_3repE0EEENS1_30default_config_static_selectorELNS0_4arch9wavefront6targetE0EEEvSY_.numbered_sgpr, 0
	.set _ZN7rocprim17ROCPRIM_400000_NS6detail17trampoline_kernelINS0_13select_configILj256ELj13ELNS0_17block_load_methodE3ELS4_3ELS4_3ELNS0_20block_scan_algorithmE0ELj4294967295EEENS1_25partition_config_selectorILNS1_17partition_subalgoE3EjNS0_10empty_typeEbEEZZNS1_14partition_implILS8_3ELb0ES6_jNS0_17counting_iteratorIjlEEPS9_SE_NS0_5tupleIJPjSE_EEENSF_IJSE_SE_EEES9_SG_JZNS1_25segmented_radix_sort_implINS0_14default_configELb0EPKbPbPKlPlN2at6native12_GLOBAL__N_18offset_tEEE10hipError_tPvRmT1_PNSt15iterator_traitsISY_E10value_typeET2_T3_PNSZ_IS14_E10value_typeET4_jRbjT5_S1A_jjP12ihipStream_tbEUljE_EEESV_SW_SX_S14_S18_S1A_T6_T7_T9_mT8_S1C_bDpT10_ENKUlT_T0_E_clISt17integral_constantIbLb1EES1P_EEDaS1K_S1L_EUlS1K_E_NS1_11comp_targetILNS1_3genE4ELNS1_11target_archE910ELNS1_3gpuE8ELNS1_3repE0EEENS1_30default_config_static_selectorELNS0_4arch9wavefront6targetE0EEEvSY_.num_named_barrier, 0
	.set _ZN7rocprim17ROCPRIM_400000_NS6detail17trampoline_kernelINS0_13select_configILj256ELj13ELNS0_17block_load_methodE3ELS4_3ELS4_3ELNS0_20block_scan_algorithmE0ELj4294967295EEENS1_25partition_config_selectorILNS1_17partition_subalgoE3EjNS0_10empty_typeEbEEZZNS1_14partition_implILS8_3ELb0ES6_jNS0_17counting_iteratorIjlEEPS9_SE_NS0_5tupleIJPjSE_EEENSF_IJSE_SE_EEES9_SG_JZNS1_25segmented_radix_sort_implINS0_14default_configELb0EPKbPbPKlPlN2at6native12_GLOBAL__N_18offset_tEEE10hipError_tPvRmT1_PNSt15iterator_traitsISY_E10value_typeET2_T3_PNSZ_IS14_E10value_typeET4_jRbjT5_S1A_jjP12ihipStream_tbEUljE_EEESV_SW_SX_S14_S18_S1A_T6_T7_T9_mT8_S1C_bDpT10_ENKUlT_T0_E_clISt17integral_constantIbLb1EES1P_EEDaS1K_S1L_EUlS1K_E_NS1_11comp_targetILNS1_3genE4ELNS1_11target_archE910ELNS1_3gpuE8ELNS1_3repE0EEENS1_30default_config_static_selectorELNS0_4arch9wavefront6targetE0EEEvSY_.private_seg_size, 0
	.set _ZN7rocprim17ROCPRIM_400000_NS6detail17trampoline_kernelINS0_13select_configILj256ELj13ELNS0_17block_load_methodE3ELS4_3ELS4_3ELNS0_20block_scan_algorithmE0ELj4294967295EEENS1_25partition_config_selectorILNS1_17partition_subalgoE3EjNS0_10empty_typeEbEEZZNS1_14partition_implILS8_3ELb0ES6_jNS0_17counting_iteratorIjlEEPS9_SE_NS0_5tupleIJPjSE_EEENSF_IJSE_SE_EEES9_SG_JZNS1_25segmented_radix_sort_implINS0_14default_configELb0EPKbPbPKlPlN2at6native12_GLOBAL__N_18offset_tEEE10hipError_tPvRmT1_PNSt15iterator_traitsISY_E10value_typeET2_T3_PNSZ_IS14_E10value_typeET4_jRbjT5_S1A_jjP12ihipStream_tbEUljE_EEESV_SW_SX_S14_S18_S1A_T6_T7_T9_mT8_S1C_bDpT10_ENKUlT_T0_E_clISt17integral_constantIbLb1EES1P_EEDaS1K_S1L_EUlS1K_E_NS1_11comp_targetILNS1_3genE4ELNS1_11target_archE910ELNS1_3gpuE8ELNS1_3repE0EEENS1_30default_config_static_selectorELNS0_4arch9wavefront6targetE0EEEvSY_.uses_vcc, 0
	.set _ZN7rocprim17ROCPRIM_400000_NS6detail17trampoline_kernelINS0_13select_configILj256ELj13ELNS0_17block_load_methodE3ELS4_3ELS4_3ELNS0_20block_scan_algorithmE0ELj4294967295EEENS1_25partition_config_selectorILNS1_17partition_subalgoE3EjNS0_10empty_typeEbEEZZNS1_14partition_implILS8_3ELb0ES6_jNS0_17counting_iteratorIjlEEPS9_SE_NS0_5tupleIJPjSE_EEENSF_IJSE_SE_EEES9_SG_JZNS1_25segmented_radix_sort_implINS0_14default_configELb0EPKbPbPKlPlN2at6native12_GLOBAL__N_18offset_tEEE10hipError_tPvRmT1_PNSt15iterator_traitsISY_E10value_typeET2_T3_PNSZ_IS14_E10value_typeET4_jRbjT5_S1A_jjP12ihipStream_tbEUljE_EEESV_SW_SX_S14_S18_S1A_T6_T7_T9_mT8_S1C_bDpT10_ENKUlT_T0_E_clISt17integral_constantIbLb1EES1P_EEDaS1K_S1L_EUlS1K_E_NS1_11comp_targetILNS1_3genE4ELNS1_11target_archE910ELNS1_3gpuE8ELNS1_3repE0EEENS1_30default_config_static_selectorELNS0_4arch9wavefront6targetE0EEEvSY_.uses_flat_scratch, 0
	.set _ZN7rocprim17ROCPRIM_400000_NS6detail17trampoline_kernelINS0_13select_configILj256ELj13ELNS0_17block_load_methodE3ELS4_3ELS4_3ELNS0_20block_scan_algorithmE0ELj4294967295EEENS1_25partition_config_selectorILNS1_17partition_subalgoE3EjNS0_10empty_typeEbEEZZNS1_14partition_implILS8_3ELb0ES6_jNS0_17counting_iteratorIjlEEPS9_SE_NS0_5tupleIJPjSE_EEENSF_IJSE_SE_EEES9_SG_JZNS1_25segmented_radix_sort_implINS0_14default_configELb0EPKbPbPKlPlN2at6native12_GLOBAL__N_18offset_tEEE10hipError_tPvRmT1_PNSt15iterator_traitsISY_E10value_typeET2_T3_PNSZ_IS14_E10value_typeET4_jRbjT5_S1A_jjP12ihipStream_tbEUljE_EEESV_SW_SX_S14_S18_S1A_T6_T7_T9_mT8_S1C_bDpT10_ENKUlT_T0_E_clISt17integral_constantIbLb1EES1P_EEDaS1K_S1L_EUlS1K_E_NS1_11comp_targetILNS1_3genE4ELNS1_11target_archE910ELNS1_3gpuE8ELNS1_3repE0EEENS1_30default_config_static_selectorELNS0_4arch9wavefront6targetE0EEEvSY_.has_dyn_sized_stack, 0
	.set _ZN7rocprim17ROCPRIM_400000_NS6detail17trampoline_kernelINS0_13select_configILj256ELj13ELNS0_17block_load_methodE3ELS4_3ELS4_3ELNS0_20block_scan_algorithmE0ELj4294967295EEENS1_25partition_config_selectorILNS1_17partition_subalgoE3EjNS0_10empty_typeEbEEZZNS1_14partition_implILS8_3ELb0ES6_jNS0_17counting_iteratorIjlEEPS9_SE_NS0_5tupleIJPjSE_EEENSF_IJSE_SE_EEES9_SG_JZNS1_25segmented_radix_sort_implINS0_14default_configELb0EPKbPbPKlPlN2at6native12_GLOBAL__N_18offset_tEEE10hipError_tPvRmT1_PNSt15iterator_traitsISY_E10value_typeET2_T3_PNSZ_IS14_E10value_typeET4_jRbjT5_S1A_jjP12ihipStream_tbEUljE_EEESV_SW_SX_S14_S18_S1A_T6_T7_T9_mT8_S1C_bDpT10_ENKUlT_T0_E_clISt17integral_constantIbLb1EES1P_EEDaS1K_S1L_EUlS1K_E_NS1_11comp_targetILNS1_3genE4ELNS1_11target_archE910ELNS1_3gpuE8ELNS1_3repE0EEENS1_30default_config_static_selectorELNS0_4arch9wavefront6targetE0EEEvSY_.has_recursion, 0
	.set _ZN7rocprim17ROCPRIM_400000_NS6detail17trampoline_kernelINS0_13select_configILj256ELj13ELNS0_17block_load_methodE3ELS4_3ELS4_3ELNS0_20block_scan_algorithmE0ELj4294967295EEENS1_25partition_config_selectorILNS1_17partition_subalgoE3EjNS0_10empty_typeEbEEZZNS1_14partition_implILS8_3ELb0ES6_jNS0_17counting_iteratorIjlEEPS9_SE_NS0_5tupleIJPjSE_EEENSF_IJSE_SE_EEES9_SG_JZNS1_25segmented_radix_sort_implINS0_14default_configELb0EPKbPbPKlPlN2at6native12_GLOBAL__N_18offset_tEEE10hipError_tPvRmT1_PNSt15iterator_traitsISY_E10value_typeET2_T3_PNSZ_IS14_E10value_typeET4_jRbjT5_S1A_jjP12ihipStream_tbEUljE_EEESV_SW_SX_S14_S18_S1A_T6_T7_T9_mT8_S1C_bDpT10_ENKUlT_T0_E_clISt17integral_constantIbLb1EES1P_EEDaS1K_S1L_EUlS1K_E_NS1_11comp_targetILNS1_3genE4ELNS1_11target_archE910ELNS1_3gpuE8ELNS1_3repE0EEENS1_30default_config_static_selectorELNS0_4arch9wavefront6targetE0EEEvSY_.has_indirect_call, 0
	.section	.AMDGPU.csdata,"",@progbits
; Kernel info:
; codeLenInByte = 0
; TotalNumSgprs: 0
; NumVgprs: 0
; ScratchSize: 0
; MemoryBound: 0
; FloatMode: 240
; IeeeMode: 1
; LDSByteSize: 0 bytes/workgroup (compile time only)
; SGPRBlocks: 0
; VGPRBlocks: 0
; NumSGPRsForWavesPerEU: 1
; NumVGPRsForWavesPerEU: 1
; Occupancy: 16
; WaveLimiterHint : 0
; COMPUTE_PGM_RSRC2:SCRATCH_EN: 0
; COMPUTE_PGM_RSRC2:USER_SGPR: 6
; COMPUTE_PGM_RSRC2:TRAP_HANDLER: 0
; COMPUTE_PGM_RSRC2:TGID_X_EN: 1
; COMPUTE_PGM_RSRC2:TGID_Y_EN: 0
; COMPUTE_PGM_RSRC2:TGID_Z_EN: 0
; COMPUTE_PGM_RSRC2:TIDIG_COMP_CNT: 0
	.section	.text._ZN7rocprim17ROCPRIM_400000_NS6detail17trampoline_kernelINS0_13select_configILj256ELj13ELNS0_17block_load_methodE3ELS4_3ELS4_3ELNS0_20block_scan_algorithmE0ELj4294967295EEENS1_25partition_config_selectorILNS1_17partition_subalgoE3EjNS0_10empty_typeEbEEZZNS1_14partition_implILS8_3ELb0ES6_jNS0_17counting_iteratorIjlEEPS9_SE_NS0_5tupleIJPjSE_EEENSF_IJSE_SE_EEES9_SG_JZNS1_25segmented_radix_sort_implINS0_14default_configELb0EPKbPbPKlPlN2at6native12_GLOBAL__N_18offset_tEEE10hipError_tPvRmT1_PNSt15iterator_traitsISY_E10value_typeET2_T3_PNSZ_IS14_E10value_typeET4_jRbjT5_S1A_jjP12ihipStream_tbEUljE_EEESV_SW_SX_S14_S18_S1A_T6_T7_T9_mT8_S1C_bDpT10_ENKUlT_T0_E_clISt17integral_constantIbLb1EES1P_EEDaS1K_S1L_EUlS1K_E_NS1_11comp_targetILNS1_3genE3ELNS1_11target_archE908ELNS1_3gpuE7ELNS1_3repE0EEENS1_30default_config_static_selectorELNS0_4arch9wavefront6targetE0EEEvSY_,"axG",@progbits,_ZN7rocprim17ROCPRIM_400000_NS6detail17trampoline_kernelINS0_13select_configILj256ELj13ELNS0_17block_load_methodE3ELS4_3ELS4_3ELNS0_20block_scan_algorithmE0ELj4294967295EEENS1_25partition_config_selectorILNS1_17partition_subalgoE3EjNS0_10empty_typeEbEEZZNS1_14partition_implILS8_3ELb0ES6_jNS0_17counting_iteratorIjlEEPS9_SE_NS0_5tupleIJPjSE_EEENSF_IJSE_SE_EEES9_SG_JZNS1_25segmented_radix_sort_implINS0_14default_configELb0EPKbPbPKlPlN2at6native12_GLOBAL__N_18offset_tEEE10hipError_tPvRmT1_PNSt15iterator_traitsISY_E10value_typeET2_T3_PNSZ_IS14_E10value_typeET4_jRbjT5_S1A_jjP12ihipStream_tbEUljE_EEESV_SW_SX_S14_S18_S1A_T6_T7_T9_mT8_S1C_bDpT10_ENKUlT_T0_E_clISt17integral_constantIbLb1EES1P_EEDaS1K_S1L_EUlS1K_E_NS1_11comp_targetILNS1_3genE3ELNS1_11target_archE908ELNS1_3gpuE7ELNS1_3repE0EEENS1_30default_config_static_selectorELNS0_4arch9wavefront6targetE0EEEvSY_,comdat
	.globl	_ZN7rocprim17ROCPRIM_400000_NS6detail17trampoline_kernelINS0_13select_configILj256ELj13ELNS0_17block_load_methodE3ELS4_3ELS4_3ELNS0_20block_scan_algorithmE0ELj4294967295EEENS1_25partition_config_selectorILNS1_17partition_subalgoE3EjNS0_10empty_typeEbEEZZNS1_14partition_implILS8_3ELb0ES6_jNS0_17counting_iteratorIjlEEPS9_SE_NS0_5tupleIJPjSE_EEENSF_IJSE_SE_EEES9_SG_JZNS1_25segmented_radix_sort_implINS0_14default_configELb0EPKbPbPKlPlN2at6native12_GLOBAL__N_18offset_tEEE10hipError_tPvRmT1_PNSt15iterator_traitsISY_E10value_typeET2_T3_PNSZ_IS14_E10value_typeET4_jRbjT5_S1A_jjP12ihipStream_tbEUljE_EEESV_SW_SX_S14_S18_S1A_T6_T7_T9_mT8_S1C_bDpT10_ENKUlT_T0_E_clISt17integral_constantIbLb1EES1P_EEDaS1K_S1L_EUlS1K_E_NS1_11comp_targetILNS1_3genE3ELNS1_11target_archE908ELNS1_3gpuE7ELNS1_3repE0EEENS1_30default_config_static_selectorELNS0_4arch9wavefront6targetE0EEEvSY_ ; -- Begin function _ZN7rocprim17ROCPRIM_400000_NS6detail17trampoline_kernelINS0_13select_configILj256ELj13ELNS0_17block_load_methodE3ELS4_3ELS4_3ELNS0_20block_scan_algorithmE0ELj4294967295EEENS1_25partition_config_selectorILNS1_17partition_subalgoE3EjNS0_10empty_typeEbEEZZNS1_14partition_implILS8_3ELb0ES6_jNS0_17counting_iteratorIjlEEPS9_SE_NS0_5tupleIJPjSE_EEENSF_IJSE_SE_EEES9_SG_JZNS1_25segmented_radix_sort_implINS0_14default_configELb0EPKbPbPKlPlN2at6native12_GLOBAL__N_18offset_tEEE10hipError_tPvRmT1_PNSt15iterator_traitsISY_E10value_typeET2_T3_PNSZ_IS14_E10value_typeET4_jRbjT5_S1A_jjP12ihipStream_tbEUljE_EEESV_SW_SX_S14_S18_S1A_T6_T7_T9_mT8_S1C_bDpT10_ENKUlT_T0_E_clISt17integral_constantIbLb1EES1P_EEDaS1K_S1L_EUlS1K_E_NS1_11comp_targetILNS1_3genE3ELNS1_11target_archE908ELNS1_3gpuE7ELNS1_3repE0EEENS1_30default_config_static_selectorELNS0_4arch9wavefront6targetE0EEEvSY_
	.p2align	8
	.type	_ZN7rocprim17ROCPRIM_400000_NS6detail17trampoline_kernelINS0_13select_configILj256ELj13ELNS0_17block_load_methodE3ELS4_3ELS4_3ELNS0_20block_scan_algorithmE0ELj4294967295EEENS1_25partition_config_selectorILNS1_17partition_subalgoE3EjNS0_10empty_typeEbEEZZNS1_14partition_implILS8_3ELb0ES6_jNS0_17counting_iteratorIjlEEPS9_SE_NS0_5tupleIJPjSE_EEENSF_IJSE_SE_EEES9_SG_JZNS1_25segmented_radix_sort_implINS0_14default_configELb0EPKbPbPKlPlN2at6native12_GLOBAL__N_18offset_tEEE10hipError_tPvRmT1_PNSt15iterator_traitsISY_E10value_typeET2_T3_PNSZ_IS14_E10value_typeET4_jRbjT5_S1A_jjP12ihipStream_tbEUljE_EEESV_SW_SX_S14_S18_S1A_T6_T7_T9_mT8_S1C_bDpT10_ENKUlT_T0_E_clISt17integral_constantIbLb1EES1P_EEDaS1K_S1L_EUlS1K_E_NS1_11comp_targetILNS1_3genE3ELNS1_11target_archE908ELNS1_3gpuE7ELNS1_3repE0EEENS1_30default_config_static_selectorELNS0_4arch9wavefront6targetE0EEEvSY_,@function
_ZN7rocprim17ROCPRIM_400000_NS6detail17trampoline_kernelINS0_13select_configILj256ELj13ELNS0_17block_load_methodE3ELS4_3ELS4_3ELNS0_20block_scan_algorithmE0ELj4294967295EEENS1_25partition_config_selectorILNS1_17partition_subalgoE3EjNS0_10empty_typeEbEEZZNS1_14partition_implILS8_3ELb0ES6_jNS0_17counting_iteratorIjlEEPS9_SE_NS0_5tupleIJPjSE_EEENSF_IJSE_SE_EEES9_SG_JZNS1_25segmented_radix_sort_implINS0_14default_configELb0EPKbPbPKlPlN2at6native12_GLOBAL__N_18offset_tEEE10hipError_tPvRmT1_PNSt15iterator_traitsISY_E10value_typeET2_T3_PNSZ_IS14_E10value_typeET4_jRbjT5_S1A_jjP12ihipStream_tbEUljE_EEESV_SW_SX_S14_S18_S1A_T6_T7_T9_mT8_S1C_bDpT10_ENKUlT_T0_E_clISt17integral_constantIbLb1EES1P_EEDaS1K_S1L_EUlS1K_E_NS1_11comp_targetILNS1_3genE3ELNS1_11target_archE908ELNS1_3gpuE7ELNS1_3repE0EEENS1_30default_config_static_selectorELNS0_4arch9wavefront6targetE0EEEvSY_: ; @_ZN7rocprim17ROCPRIM_400000_NS6detail17trampoline_kernelINS0_13select_configILj256ELj13ELNS0_17block_load_methodE3ELS4_3ELS4_3ELNS0_20block_scan_algorithmE0ELj4294967295EEENS1_25partition_config_selectorILNS1_17partition_subalgoE3EjNS0_10empty_typeEbEEZZNS1_14partition_implILS8_3ELb0ES6_jNS0_17counting_iteratorIjlEEPS9_SE_NS0_5tupleIJPjSE_EEENSF_IJSE_SE_EEES9_SG_JZNS1_25segmented_radix_sort_implINS0_14default_configELb0EPKbPbPKlPlN2at6native12_GLOBAL__N_18offset_tEEE10hipError_tPvRmT1_PNSt15iterator_traitsISY_E10value_typeET2_T3_PNSZ_IS14_E10value_typeET4_jRbjT5_S1A_jjP12ihipStream_tbEUljE_EEESV_SW_SX_S14_S18_S1A_T6_T7_T9_mT8_S1C_bDpT10_ENKUlT_T0_E_clISt17integral_constantIbLb1EES1P_EEDaS1K_S1L_EUlS1K_E_NS1_11comp_targetILNS1_3genE3ELNS1_11target_archE908ELNS1_3gpuE7ELNS1_3repE0EEENS1_30default_config_static_selectorELNS0_4arch9wavefront6targetE0EEEvSY_
; %bb.0:
	.section	.rodata,"a",@progbits
	.p2align	6, 0x0
	.amdhsa_kernel _ZN7rocprim17ROCPRIM_400000_NS6detail17trampoline_kernelINS0_13select_configILj256ELj13ELNS0_17block_load_methodE3ELS4_3ELS4_3ELNS0_20block_scan_algorithmE0ELj4294967295EEENS1_25partition_config_selectorILNS1_17partition_subalgoE3EjNS0_10empty_typeEbEEZZNS1_14partition_implILS8_3ELb0ES6_jNS0_17counting_iteratorIjlEEPS9_SE_NS0_5tupleIJPjSE_EEENSF_IJSE_SE_EEES9_SG_JZNS1_25segmented_radix_sort_implINS0_14default_configELb0EPKbPbPKlPlN2at6native12_GLOBAL__N_18offset_tEEE10hipError_tPvRmT1_PNSt15iterator_traitsISY_E10value_typeET2_T3_PNSZ_IS14_E10value_typeET4_jRbjT5_S1A_jjP12ihipStream_tbEUljE_EEESV_SW_SX_S14_S18_S1A_T6_T7_T9_mT8_S1C_bDpT10_ENKUlT_T0_E_clISt17integral_constantIbLb1EES1P_EEDaS1K_S1L_EUlS1K_E_NS1_11comp_targetILNS1_3genE3ELNS1_11target_archE908ELNS1_3gpuE7ELNS1_3repE0EEENS1_30default_config_static_selectorELNS0_4arch9wavefront6targetE0EEEvSY_
		.amdhsa_group_segment_fixed_size 0
		.amdhsa_private_segment_fixed_size 0
		.amdhsa_kernarg_size 152
		.amdhsa_user_sgpr_count 6
		.amdhsa_user_sgpr_private_segment_buffer 1
		.amdhsa_user_sgpr_dispatch_ptr 0
		.amdhsa_user_sgpr_queue_ptr 0
		.amdhsa_user_sgpr_kernarg_segment_ptr 1
		.amdhsa_user_sgpr_dispatch_id 0
		.amdhsa_user_sgpr_flat_scratch_init 0
		.amdhsa_user_sgpr_private_segment_size 0
		.amdhsa_wavefront_size32 1
		.amdhsa_uses_dynamic_stack 0
		.amdhsa_system_sgpr_private_segment_wavefront_offset 0
		.amdhsa_system_sgpr_workgroup_id_x 1
		.amdhsa_system_sgpr_workgroup_id_y 0
		.amdhsa_system_sgpr_workgroup_id_z 0
		.amdhsa_system_sgpr_workgroup_info 0
		.amdhsa_system_vgpr_workitem_id 0
		.amdhsa_next_free_vgpr 1
		.amdhsa_next_free_sgpr 1
		.amdhsa_reserve_vcc 0
		.amdhsa_reserve_flat_scratch 0
		.amdhsa_float_round_mode_32 0
		.amdhsa_float_round_mode_16_64 0
		.amdhsa_float_denorm_mode_32 3
		.amdhsa_float_denorm_mode_16_64 3
		.amdhsa_dx10_clamp 1
		.amdhsa_ieee_mode 1
		.amdhsa_fp16_overflow 0
		.amdhsa_workgroup_processor_mode 1
		.amdhsa_memory_ordered 1
		.amdhsa_forward_progress 1
		.amdhsa_shared_vgpr_count 0
		.amdhsa_exception_fp_ieee_invalid_op 0
		.amdhsa_exception_fp_denorm_src 0
		.amdhsa_exception_fp_ieee_div_zero 0
		.amdhsa_exception_fp_ieee_overflow 0
		.amdhsa_exception_fp_ieee_underflow 0
		.amdhsa_exception_fp_ieee_inexact 0
		.amdhsa_exception_int_div_zero 0
	.end_amdhsa_kernel
	.section	.text._ZN7rocprim17ROCPRIM_400000_NS6detail17trampoline_kernelINS0_13select_configILj256ELj13ELNS0_17block_load_methodE3ELS4_3ELS4_3ELNS0_20block_scan_algorithmE0ELj4294967295EEENS1_25partition_config_selectorILNS1_17partition_subalgoE3EjNS0_10empty_typeEbEEZZNS1_14partition_implILS8_3ELb0ES6_jNS0_17counting_iteratorIjlEEPS9_SE_NS0_5tupleIJPjSE_EEENSF_IJSE_SE_EEES9_SG_JZNS1_25segmented_radix_sort_implINS0_14default_configELb0EPKbPbPKlPlN2at6native12_GLOBAL__N_18offset_tEEE10hipError_tPvRmT1_PNSt15iterator_traitsISY_E10value_typeET2_T3_PNSZ_IS14_E10value_typeET4_jRbjT5_S1A_jjP12ihipStream_tbEUljE_EEESV_SW_SX_S14_S18_S1A_T6_T7_T9_mT8_S1C_bDpT10_ENKUlT_T0_E_clISt17integral_constantIbLb1EES1P_EEDaS1K_S1L_EUlS1K_E_NS1_11comp_targetILNS1_3genE3ELNS1_11target_archE908ELNS1_3gpuE7ELNS1_3repE0EEENS1_30default_config_static_selectorELNS0_4arch9wavefront6targetE0EEEvSY_,"axG",@progbits,_ZN7rocprim17ROCPRIM_400000_NS6detail17trampoline_kernelINS0_13select_configILj256ELj13ELNS0_17block_load_methodE3ELS4_3ELS4_3ELNS0_20block_scan_algorithmE0ELj4294967295EEENS1_25partition_config_selectorILNS1_17partition_subalgoE3EjNS0_10empty_typeEbEEZZNS1_14partition_implILS8_3ELb0ES6_jNS0_17counting_iteratorIjlEEPS9_SE_NS0_5tupleIJPjSE_EEENSF_IJSE_SE_EEES9_SG_JZNS1_25segmented_radix_sort_implINS0_14default_configELb0EPKbPbPKlPlN2at6native12_GLOBAL__N_18offset_tEEE10hipError_tPvRmT1_PNSt15iterator_traitsISY_E10value_typeET2_T3_PNSZ_IS14_E10value_typeET4_jRbjT5_S1A_jjP12ihipStream_tbEUljE_EEESV_SW_SX_S14_S18_S1A_T6_T7_T9_mT8_S1C_bDpT10_ENKUlT_T0_E_clISt17integral_constantIbLb1EES1P_EEDaS1K_S1L_EUlS1K_E_NS1_11comp_targetILNS1_3genE3ELNS1_11target_archE908ELNS1_3gpuE7ELNS1_3repE0EEENS1_30default_config_static_selectorELNS0_4arch9wavefront6targetE0EEEvSY_,comdat
.Lfunc_end1605:
	.size	_ZN7rocprim17ROCPRIM_400000_NS6detail17trampoline_kernelINS0_13select_configILj256ELj13ELNS0_17block_load_methodE3ELS4_3ELS4_3ELNS0_20block_scan_algorithmE0ELj4294967295EEENS1_25partition_config_selectorILNS1_17partition_subalgoE3EjNS0_10empty_typeEbEEZZNS1_14partition_implILS8_3ELb0ES6_jNS0_17counting_iteratorIjlEEPS9_SE_NS0_5tupleIJPjSE_EEENSF_IJSE_SE_EEES9_SG_JZNS1_25segmented_radix_sort_implINS0_14default_configELb0EPKbPbPKlPlN2at6native12_GLOBAL__N_18offset_tEEE10hipError_tPvRmT1_PNSt15iterator_traitsISY_E10value_typeET2_T3_PNSZ_IS14_E10value_typeET4_jRbjT5_S1A_jjP12ihipStream_tbEUljE_EEESV_SW_SX_S14_S18_S1A_T6_T7_T9_mT8_S1C_bDpT10_ENKUlT_T0_E_clISt17integral_constantIbLb1EES1P_EEDaS1K_S1L_EUlS1K_E_NS1_11comp_targetILNS1_3genE3ELNS1_11target_archE908ELNS1_3gpuE7ELNS1_3repE0EEENS1_30default_config_static_selectorELNS0_4arch9wavefront6targetE0EEEvSY_, .Lfunc_end1605-_ZN7rocprim17ROCPRIM_400000_NS6detail17trampoline_kernelINS0_13select_configILj256ELj13ELNS0_17block_load_methodE3ELS4_3ELS4_3ELNS0_20block_scan_algorithmE0ELj4294967295EEENS1_25partition_config_selectorILNS1_17partition_subalgoE3EjNS0_10empty_typeEbEEZZNS1_14partition_implILS8_3ELb0ES6_jNS0_17counting_iteratorIjlEEPS9_SE_NS0_5tupleIJPjSE_EEENSF_IJSE_SE_EEES9_SG_JZNS1_25segmented_radix_sort_implINS0_14default_configELb0EPKbPbPKlPlN2at6native12_GLOBAL__N_18offset_tEEE10hipError_tPvRmT1_PNSt15iterator_traitsISY_E10value_typeET2_T3_PNSZ_IS14_E10value_typeET4_jRbjT5_S1A_jjP12ihipStream_tbEUljE_EEESV_SW_SX_S14_S18_S1A_T6_T7_T9_mT8_S1C_bDpT10_ENKUlT_T0_E_clISt17integral_constantIbLb1EES1P_EEDaS1K_S1L_EUlS1K_E_NS1_11comp_targetILNS1_3genE3ELNS1_11target_archE908ELNS1_3gpuE7ELNS1_3repE0EEENS1_30default_config_static_selectorELNS0_4arch9wavefront6targetE0EEEvSY_
                                        ; -- End function
	.set _ZN7rocprim17ROCPRIM_400000_NS6detail17trampoline_kernelINS0_13select_configILj256ELj13ELNS0_17block_load_methodE3ELS4_3ELS4_3ELNS0_20block_scan_algorithmE0ELj4294967295EEENS1_25partition_config_selectorILNS1_17partition_subalgoE3EjNS0_10empty_typeEbEEZZNS1_14partition_implILS8_3ELb0ES6_jNS0_17counting_iteratorIjlEEPS9_SE_NS0_5tupleIJPjSE_EEENSF_IJSE_SE_EEES9_SG_JZNS1_25segmented_radix_sort_implINS0_14default_configELb0EPKbPbPKlPlN2at6native12_GLOBAL__N_18offset_tEEE10hipError_tPvRmT1_PNSt15iterator_traitsISY_E10value_typeET2_T3_PNSZ_IS14_E10value_typeET4_jRbjT5_S1A_jjP12ihipStream_tbEUljE_EEESV_SW_SX_S14_S18_S1A_T6_T7_T9_mT8_S1C_bDpT10_ENKUlT_T0_E_clISt17integral_constantIbLb1EES1P_EEDaS1K_S1L_EUlS1K_E_NS1_11comp_targetILNS1_3genE3ELNS1_11target_archE908ELNS1_3gpuE7ELNS1_3repE0EEENS1_30default_config_static_selectorELNS0_4arch9wavefront6targetE0EEEvSY_.num_vgpr, 0
	.set _ZN7rocprim17ROCPRIM_400000_NS6detail17trampoline_kernelINS0_13select_configILj256ELj13ELNS0_17block_load_methodE3ELS4_3ELS4_3ELNS0_20block_scan_algorithmE0ELj4294967295EEENS1_25partition_config_selectorILNS1_17partition_subalgoE3EjNS0_10empty_typeEbEEZZNS1_14partition_implILS8_3ELb0ES6_jNS0_17counting_iteratorIjlEEPS9_SE_NS0_5tupleIJPjSE_EEENSF_IJSE_SE_EEES9_SG_JZNS1_25segmented_radix_sort_implINS0_14default_configELb0EPKbPbPKlPlN2at6native12_GLOBAL__N_18offset_tEEE10hipError_tPvRmT1_PNSt15iterator_traitsISY_E10value_typeET2_T3_PNSZ_IS14_E10value_typeET4_jRbjT5_S1A_jjP12ihipStream_tbEUljE_EEESV_SW_SX_S14_S18_S1A_T6_T7_T9_mT8_S1C_bDpT10_ENKUlT_T0_E_clISt17integral_constantIbLb1EES1P_EEDaS1K_S1L_EUlS1K_E_NS1_11comp_targetILNS1_3genE3ELNS1_11target_archE908ELNS1_3gpuE7ELNS1_3repE0EEENS1_30default_config_static_selectorELNS0_4arch9wavefront6targetE0EEEvSY_.num_agpr, 0
	.set _ZN7rocprim17ROCPRIM_400000_NS6detail17trampoline_kernelINS0_13select_configILj256ELj13ELNS0_17block_load_methodE3ELS4_3ELS4_3ELNS0_20block_scan_algorithmE0ELj4294967295EEENS1_25partition_config_selectorILNS1_17partition_subalgoE3EjNS0_10empty_typeEbEEZZNS1_14partition_implILS8_3ELb0ES6_jNS0_17counting_iteratorIjlEEPS9_SE_NS0_5tupleIJPjSE_EEENSF_IJSE_SE_EEES9_SG_JZNS1_25segmented_radix_sort_implINS0_14default_configELb0EPKbPbPKlPlN2at6native12_GLOBAL__N_18offset_tEEE10hipError_tPvRmT1_PNSt15iterator_traitsISY_E10value_typeET2_T3_PNSZ_IS14_E10value_typeET4_jRbjT5_S1A_jjP12ihipStream_tbEUljE_EEESV_SW_SX_S14_S18_S1A_T6_T7_T9_mT8_S1C_bDpT10_ENKUlT_T0_E_clISt17integral_constantIbLb1EES1P_EEDaS1K_S1L_EUlS1K_E_NS1_11comp_targetILNS1_3genE3ELNS1_11target_archE908ELNS1_3gpuE7ELNS1_3repE0EEENS1_30default_config_static_selectorELNS0_4arch9wavefront6targetE0EEEvSY_.numbered_sgpr, 0
	.set _ZN7rocprim17ROCPRIM_400000_NS6detail17trampoline_kernelINS0_13select_configILj256ELj13ELNS0_17block_load_methodE3ELS4_3ELS4_3ELNS0_20block_scan_algorithmE0ELj4294967295EEENS1_25partition_config_selectorILNS1_17partition_subalgoE3EjNS0_10empty_typeEbEEZZNS1_14partition_implILS8_3ELb0ES6_jNS0_17counting_iteratorIjlEEPS9_SE_NS0_5tupleIJPjSE_EEENSF_IJSE_SE_EEES9_SG_JZNS1_25segmented_radix_sort_implINS0_14default_configELb0EPKbPbPKlPlN2at6native12_GLOBAL__N_18offset_tEEE10hipError_tPvRmT1_PNSt15iterator_traitsISY_E10value_typeET2_T3_PNSZ_IS14_E10value_typeET4_jRbjT5_S1A_jjP12ihipStream_tbEUljE_EEESV_SW_SX_S14_S18_S1A_T6_T7_T9_mT8_S1C_bDpT10_ENKUlT_T0_E_clISt17integral_constantIbLb1EES1P_EEDaS1K_S1L_EUlS1K_E_NS1_11comp_targetILNS1_3genE3ELNS1_11target_archE908ELNS1_3gpuE7ELNS1_3repE0EEENS1_30default_config_static_selectorELNS0_4arch9wavefront6targetE0EEEvSY_.num_named_barrier, 0
	.set _ZN7rocprim17ROCPRIM_400000_NS6detail17trampoline_kernelINS0_13select_configILj256ELj13ELNS0_17block_load_methodE3ELS4_3ELS4_3ELNS0_20block_scan_algorithmE0ELj4294967295EEENS1_25partition_config_selectorILNS1_17partition_subalgoE3EjNS0_10empty_typeEbEEZZNS1_14partition_implILS8_3ELb0ES6_jNS0_17counting_iteratorIjlEEPS9_SE_NS0_5tupleIJPjSE_EEENSF_IJSE_SE_EEES9_SG_JZNS1_25segmented_radix_sort_implINS0_14default_configELb0EPKbPbPKlPlN2at6native12_GLOBAL__N_18offset_tEEE10hipError_tPvRmT1_PNSt15iterator_traitsISY_E10value_typeET2_T3_PNSZ_IS14_E10value_typeET4_jRbjT5_S1A_jjP12ihipStream_tbEUljE_EEESV_SW_SX_S14_S18_S1A_T6_T7_T9_mT8_S1C_bDpT10_ENKUlT_T0_E_clISt17integral_constantIbLb1EES1P_EEDaS1K_S1L_EUlS1K_E_NS1_11comp_targetILNS1_3genE3ELNS1_11target_archE908ELNS1_3gpuE7ELNS1_3repE0EEENS1_30default_config_static_selectorELNS0_4arch9wavefront6targetE0EEEvSY_.private_seg_size, 0
	.set _ZN7rocprim17ROCPRIM_400000_NS6detail17trampoline_kernelINS0_13select_configILj256ELj13ELNS0_17block_load_methodE3ELS4_3ELS4_3ELNS0_20block_scan_algorithmE0ELj4294967295EEENS1_25partition_config_selectorILNS1_17partition_subalgoE3EjNS0_10empty_typeEbEEZZNS1_14partition_implILS8_3ELb0ES6_jNS0_17counting_iteratorIjlEEPS9_SE_NS0_5tupleIJPjSE_EEENSF_IJSE_SE_EEES9_SG_JZNS1_25segmented_radix_sort_implINS0_14default_configELb0EPKbPbPKlPlN2at6native12_GLOBAL__N_18offset_tEEE10hipError_tPvRmT1_PNSt15iterator_traitsISY_E10value_typeET2_T3_PNSZ_IS14_E10value_typeET4_jRbjT5_S1A_jjP12ihipStream_tbEUljE_EEESV_SW_SX_S14_S18_S1A_T6_T7_T9_mT8_S1C_bDpT10_ENKUlT_T0_E_clISt17integral_constantIbLb1EES1P_EEDaS1K_S1L_EUlS1K_E_NS1_11comp_targetILNS1_3genE3ELNS1_11target_archE908ELNS1_3gpuE7ELNS1_3repE0EEENS1_30default_config_static_selectorELNS0_4arch9wavefront6targetE0EEEvSY_.uses_vcc, 0
	.set _ZN7rocprim17ROCPRIM_400000_NS6detail17trampoline_kernelINS0_13select_configILj256ELj13ELNS0_17block_load_methodE3ELS4_3ELS4_3ELNS0_20block_scan_algorithmE0ELj4294967295EEENS1_25partition_config_selectorILNS1_17partition_subalgoE3EjNS0_10empty_typeEbEEZZNS1_14partition_implILS8_3ELb0ES6_jNS0_17counting_iteratorIjlEEPS9_SE_NS0_5tupleIJPjSE_EEENSF_IJSE_SE_EEES9_SG_JZNS1_25segmented_radix_sort_implINS0_14default_configELb0EPKbPbPKlPlN2at6native12_GLOBAL__N_18offset_tEEE10hipError_tPvRmT1_PNSt15iterator_traitsISY_E10value_typeET2_T3_PNSZ_IS14_E10value_typeET4_jRbjT5_S1A_jjP12ihipStream_tbEUljE_EEESV_SW_SX_S14_S18_S1A_T6_T7_T9_mT8_S1C_bDpT10_ENKUlT_T0_E_clISt17integral_constantIbLb1EES1P_EEDaS1K_S1L_EUlS1K_E_NS1_11comp_targetILNS1_3genE3ELNS1_11target_archE908ELNS1_3gpuE7ELNS1_3repE0EEENS1_30default_config_static_selectorELNS0_4arch9wavefront6targetE0EEEvSY_.uses_flat_scratch, 0
	.set _ZN7rocprim17ROCPRIM_400000_NS6detail17trampoline_kernelINS0_13select_configILj256ELj13ELNS0_17block_load_methodE3ELS4_3ELS4_3ELNS0_20block_scan_algorithmE0ELj4294967295EEENS1_25partition_config_selectorILNS1_17partition_subalgoE3EjNS0_10empty_typeEbEEZZNS1_14partition_implILS8_3ELb0ES6_jNS0_17counting_iteratorIjlEEPS9_SE_NS0_5tupleIJPjSE_EEENSF_IJSE_SE_EEES9_SG_JZNS1_25segmented_radix_sort_implINS0_14default_configELb0EPKbPbPKlPlN2at6native12_GLOBAL__N_18offset_tEEE10hipError_tPvRmT1_PNSt15iterator_traitsISY_E10value_typeET2_T3_PNSZ_IS14_E10value_typeET4_jRbjT5_S1A_jjP12ihipStream_tbEUljE_EEESV_SW_SX_S14_S18_S1A_T6_T7_T9_mT8_S1C_bDpT10_ENKUlT_T0_E_clISt17integral_constantIbLb1EES1P_EEDaS1K_S1L_EUlS1K_E_NS1_11comp_targetILNS1_3genE3ELNS1_11target_archE908ELNS1_3gpuE7ELNS1_3repE0EEENS1_30default_config_static_selectorELNS0_4arch9wavefront6targetE0EEEvSY_.has_dyn_sized_stack, 0
	.set _ZN7rocprim17ROCPRIM_400000_NS6detail17trampoline_kernelINS0_13select_configILj256ELj13ELNS0_17block_load_methodE3ELS4_3ELS4_3ELNS0_20block_scan_algorithmE0ELj4294967295EEENS1_25partition_config_selectorILNS1_17partition_subalgoE3EjNS0_10empty_typeEbEEZZNS1_14partition_implILS8_3ELb0ES6_jNS0_17counting_iteratorIjlEEPS9_SE_NS0_5tupleIJPjSE_EEENSF_IJSE_SE_EEES9_SG_JZNS1_25segmented_radix_sort_implINS0_14default_configELb0EPKbPbPKlPlN2at6native12_GLOBAL__N_18offset_tEEE10hipError_tPvRmT1_PNSt15iterator_traitsISY_E10value_typeET2_T3_PNSZ_IS14_E10value_typeET4_jRbjT5_S1A_jjP12ihipStream_tbEUljE_EEESV_SW_SX_S14_S18_S1A_T6_T7_T9_mT8_S1C_bDpT10_ENKUlT_T0_E_clISt17integral_constantIbLb1EES1P_EEDaS1K_S1L_EUlS1K_E_NS1_11comp_targetILNS1_3genE3ELNS1_11target_archE908ELNS1_3gpuE7ELNS1_3repE0EEENS1_30default_config_static_selectorELNS0_4arch9wavefront6targetE0EEEvSY_.has_recursion, 0
	.set _ZN7rocprim17ROCPRIM_400000_NS6detail17trampoline_kernelINS0_13select_configILj256ELj13ELNS0_17block_load_methodE3ELS4_3ELS4_3ELNS0_20block_scan_algorithmE0ELj4294967295EEENS1_25partition_config_selectorILNS1_17partition_subalgoE3EjNS0_10empty_typeEbEEZZNS1_14partition_implILS8_3ELb0ES6_jNS0_17counting_iteratorIjlEEPS9_SE_NS0_5tupleIJPjSE_EEENSF_IJSE_SE_EEES9_SG_JZNS1_25segmented_radix_sort_implINS0_14default_configELb0EPKbPbPKlPlN2at6native12_GLOBAL__N_18offset_tEEE10hipError_tPvRmT1_PNSt15iterator_traitsISY_E10value_typeET2_T3_PNSZ_IS14_E10value_typeET4_jRbjT5_S1A_jjP12ihipStream_tbEUljE_EEESV_SW_SX_S14_S18_S1A_T6_T7_T9_mT8_S1C_bDpT10_ENKUlT_T0_E_clISt17integral_constantIbLb1EES1P_EEDaS1K_S1L_EUlS1K_E_NS1_11comp_targetILNS1_3genE3ELNS1_11target_archE908ELNS1_3gpuE7ELNS1_3repE0EEENS1_30default_config_static_selectorELNS0_4arch9wavefront6targetE0EEEvSY_.has_indirect_call, 0
	.section	.AMDGPU.csdata,"",@progbits
; Kernel info:
; codeLenInByte = 0
; TotalNumSgprs: 0
; NumVgprs: 0
; ScratchSize: 0
; MemoryBound: 0
; FloatMode: 240
; IeeeMode: 1
; LDSByteSize: 0 bytes/workgroup (compile time only)
; SGPRBlocks: 0
; VGPRBlocks: 0
; NumSGPRsForWavesPerEU: 1
; NumVGPRsForWavesPerEU: 1
; Occupancy: 16
; WaveLimiterHint : 0
; COMPUTE_PGM_RSRC2:SCRATCH_EN: 0
; COMPUTE_PGM_RSRC2:USER_SGPR: 6
; COMPUTE_PGM_RSRC2:TRAP_HANDLER: 0
; COMPUTE_PGM_RSRC2:TGID_X_EN: 1
; COMPUTE_PGM_RSRC2:TGID_Y_EN: 0
; COMPUTE_PGM_RSRC2:TGID_Z_EN: 0
; COMPUTE_PGM_RSRC2:TIDIG_COMP_CNT: 0
	.section	.text._ZN7rocprim17ROCPRIM_400000_NS6detail17trampoline_kernelINS0_13select_configILj256ELj13ELNS0_17block_load_methodE3ELS4_3ELS4_3ELNS0_20block_scan_algorithmE0ELj4294967295EEENS1_25partition_config_selectorILNS1_17partition_subalgoE3EjNS0_10empty_typeEbEEZZNS1_14partition_implILS8_3ELb0ES6_jNS0_17counting_iteratorIjlEEPS9_SE_NS0_5tupleIJPjSE_EEENSF_IJSE_SE_EEES9_SG_JZNS1_25segmented_radix_sort_implINS0_14default_configELb0EPKbPbPKlPlN2at6native12_GLOBAL__N_18offset_tEEE10hipError_tPvRmT1_PNSt15iterator_traitsISY_E10value_typeET2_T3_PNSZ_IS14_E10value_typeET4_jRbjT5_S1A_jjP12ihipStream_tbEUljE_EEESV_SW_SX_S14_S18_S1A_T6_T7_T9_mT8_S1C_bDpT10_ENKUlT_T0_E_clISt17integral_constantIbLb1EES1P_EEDaS1K_S1L_EUlS1K_E_NS1_11comp_targetILNS1_3genE2ELNS1_11target_archE906ELNS1_3gpuE6ELNS1_3repE0EEENS1_30default_config_static_selectorELNS0_4arch9wavefront6targetE0EEEvSY_,"axG",@progbits,_ZN7rocprim17ROCPRIM_400000_NS6detail17trampoline_kernelINS0_13select_configILj256ELj13ELNS0_17block_load_methodE3ELS4_3ELS4_3ELNS0_20block_scan_algorithmE0ELj4294967295EEENS1_25partition_config_selectorILNS1_17partition_subalgoE3EjNS0_10empty_typeEbEEZZNS1_14partition_implILS8_3ELb0ES6_jNS0_17counting_iteratorIjlEEPS9_SE_NS0_5tupleIJPjSE_EEENSF_IJSE_SE_EEES9_SG_JZNS1_25segmented_radix_sort_implINS0_14default_configELb0EPKbPbPKlPlN2at6native12_GLOBAL__N_18offset_tEEE10hipError_tPvRmT1_PNSt15iterator_traitsISY_E10value_typeET2_T3_PNSZ_IS14_E10value_typeET4_jRbjT5_S1A_jjP12ihipStream_tbEUljE_EEESV_SW_SX_S14_S18_S1A_T6_T7_T9_mT8_S1C_bDpT10_ENKUlT_T0_E_clISt17integral_constantIbLb1EES1P_EEDaS1K_S1L_EUlS1K_E_NS1_11comp_targetILNS1_3genE2ELNS1_11target_archE906ELNS1_3gpuE6ELNS1_3repE0EEENS1_30default_config_static_selectorELNS0_4arch9wavefront6targetE0EEEvSY_,comdat
	.globl	_ZN7rocprim17ROCPRIM_400000_NS6detail17trampoline_kernelINS0_13select_configILj256ELj13ELNS0_17block_load_methodE3ELS4_3ELS4_3ELNS0_20block_scan_algorithmE0ELj4294967295EEENS1_25partition_config_selectorILNS1_17partition_subalgoE3EjNS0_10empty_typeEbEEZZNS1_14partition_implILS8_3ELb0ES6_jNS0_17counting_iteratorIjlEEPS9_SE_NS0_5tupleIJPjSE_EEENSF_IJSE_SE_EEES9_SG_JZNS1_25segmented_radix_sort_implINS0_14default_configELb0EPKbPbPKlPlN2at6native12_GLOBAL__N_18offset_tEEE10hipError_tPvRmT1_PNSt15iterator_traitsISY_E10value_typeET2_T3_PNSZ_IS14_E10value_typeET4_jRbjT5_S1A_jjP12ihipStream_tbEUljE_EEESV_SW_SX_S14_S18_S1A_T6_T7_T9_mT8_S1C_bDpT10_ENKUlT_T0_E_clISt17integral_constantIbLb1EES1P_EEDaS1K_S1L_EUlS1K_E_NS1_11comp_targetILNS1_3genE2ELNS1_11target_archE906ELNS1_3gpuE6ELNS1_3repE0EEENS1_30default_config_static_selectorELNS0_4arch9wavefront6targetE0EEEvSY_ ; -- Begin function _ZN7rocprim17ROCPRIM_400000_NS6detail17trampoline_kernelINS0_13select_configILj256ELj13ELNS0_17block_load_methodE3ELS4_3ELS4_3ELNS0_20block_scan_algorithmE0ELj4294967295EEENS1_25partition_config_selectorILNS1_17partition_subalgoE3EjNS0_10empty_typeEbEEZZNS1_14partition_implILS8_3ELb0ES6_jNS0_17counting_iteratorIjlEEPS9_SE_NS0_5tupleIJPjSE_EEENSF_IJSE_SE_EEES9_SG_JZNS1_25segmented_radix_sort_implINS0_14default_configELb0EPKbPbPKlPlN2at6native12_GLOBAL__N_18offset_tEEE10hipError_tPvRmT1_PNSt15iterator_traitsISY_E10value_typeET2_T3_PNSZ_IS14_E10value_typeET4_jRbjT5_S1A_jjP12ihipStream_tbEUljE_EEESV_SW_SX_S14_S18_S1A_T6_T7_T9_mT8_S1C_bDpT10_ENKUlT_T0_E_clISt17integral_constantIbLb1EES1P_EEDaS1K_S1L_EUlS1K_E_NS1_11comp_targetILNS1_3genE2ELNS1_11target_archE906ELNS1_3gpuE6ELNS1_3repE0EEENS1_30default_config_static_selectorELNS0_4arch9wavefront6targetE0EEEvSY_
	.p2align	8
	.type	_ZN7rocprim17ROCPRIM_400000_NS6detail17trampoline_kernelINS0_13select_configILj256ELj13ELNS0_17block_load_methodE3ELS4_3ELS4_3ELNS0_20block_scan_algorithmE0ELj4294967295EEENS1_25partition_config_selectorILNS1_17partition_subalgoE3EjNS0_10empty_typeEbEEZZNS1_14partition_implILS8_3ELb0ES6_jNS0_17counting_iteratorIjlEEPS9_SE_NS0_5tupleIJPjSE_EEENSF_IJSE_SE_EEES9_SG_JZNS1_25segmented_radix_sort_implINS0_14default_configELb0EPKbPbPKlPlN2at6native12_GLOBAL__N_18offset_tEEE10hipError_tPvRmT1_PNSt15iterator_traitsISY_E10value_typeET2_T3_PNSZ_IS14_E10value_typeET4_jRbjT5_S1A_jjP12ihipStream_tbEUljE_EEESV_SW_SX_S14_S18_S1A_T6_T7_T9_mT8_S1C_bDpT10_ENKUlT_T0_E_clISt17integral_constantIbLb1EES1P_EEDaS1K_S1L_EUlS1K_E_NS1_11comp_targetILNS1_3genE2ELNS1_11target_archE906ELNS1_3gpuE6ELNS1_3repE0EEENS1_30default_config_static_selectorELNS0_4arch9wavefront6targetE0EEEvSY_,@function
_ZN7rocprim17ROCPRIM_400000_NS6detail17trampoline_kernelINS0_13select_configILj256ELj13ELNS0_17block_load_methodE3ELS4_3ELS4_3ELNS0_20block_scan_algorithmE0ELj4294967295EEENS1_25partition_config_selectorILNS1_17partition_subalgoE3EjNS0_10empty_typeEbEEZZNS1_14partition_implILS8_3ELb0ES6_jNS0_17counting_iteratorIjlEEPS9_SE_NS0_5tupleIJPjSE_EEENSF_IJSE_SE_EEES9_SG_JZNS1_25segmented_radix_sort_implINS0_14default_configELb0EPKbPbPKlPlN2at6native12_GLOBAL__N_18offset_tEEE10hipError_tPvRmT1_PNSt15iterator_traitsISY_E10value_typeET2_T3_PNSZ_IS14_E10value_typeET4_jRbjT5_S1A_jjP12ihipStream_tbEUljE_EEESV_SW_SX_S14_S18_S1A_T6_T7_T9_mT8_S1C_bDpT10_ENKUlT_T0_E_clISt17integral_constantIbLb1EES1P_EEDaS1K_S1L_EUlS1K_E_NS1_11comp_targetILNS1_3genE2ELNS1_11target_archE906ELNS1_3gpuE6ELNS1_3repE0EEENS1_30default_config_static_selectorELNS0_4arch9wavefront6targetE0EEEvSY_: ; @_ZN7rocprim17ROCPRIM_400000_NS6detail17trampoline_kernelINS0_13select_configILj256ELj13ELNS0_17block_load_methodE3ELS4_3ELS4_3ELNS0_20block_scan_algorithmE0ELj4294967295EEENS1_25partition_config_selectorILNS1_17partition_subalgoE3EjNS0_10empty_typeEbEEZZNS1_14partition_implILS8_3ELb0ES6_jNS0_17counting_iteratorIjlEEPS9_SE_NS0_5tupleIJPjSE_EEENSF_IJSE_SE_EEES9_SG_JZNS1_25segmented_radix_sort_implINS0_14default_configELb0EPKbPbPKlPlN2at6native12_GLOBAL__N_18offset_tEEE10hipError_tPvRmT1_PNSt15iterator_traitsISY_E10value_typeET2_T3_PNSZ_IS14_E10value_typeET4_jRbjT5_S1A_jjP12ihipStream_tbEUljE_EEESV_SW_SX_S14_S18_S1A_T6_T7_T9_mT8_S1C_bDpT10_ENKUlT_T0_E_clISt17integral_constantIbLb1EES1P_EEDaS1K_S1L_EUlS1K_E_NS1_11comp_targetILNS1_3genE2ELNS1_11target_archE906ELNS1_3gpuE6ELNS1_3repE0EEENS1_30default_config_static_selectorELNS0_4arch9wavefront6targetE0EEEvSY_
; %bb.0:
	.section	.rodata,"a",@progbits
	.p2align	6, 0x0
	.amdhsa_kernel _ZN7rocprim17ROCPRIM_400000_NS6detail17trampoline_kernelINS0_13select_configILj256ELj13ELNS0_17block_load_methodE3ELS4_3ELS4_3ELNS0_20block_scan_algorithmE0ELj4294967295EEENS1_25partition_config_selectorILNS1_17partition_subalgoE3EjNS0_10empty_typeEbEEZZNS1_14partition_implILS8_3ELb0ES6_jNS0_17counting_iteratorIjlEEPS9_SE_NS0_5tupleIJPjSE_EEENSF_IJSE_SE_EEES9_SG_JZNS1_25segmented_radix_sort_implINS0_14default_configELb0EPKbPbPKlPlN2at6native12_GLOBAL__N_18offset_tEEE10hipError_tPvRmT1_PNSt15iterator_traitsISY_E10value_typeET2_T3_PNSZ_IS14_E10value_typeET4_jRbjT5_S1A_jjP12ihipStream_tbEUljE_EEESV_SW_SX_S14_S18_S1A_T6_T7_T9_mT8_S1C_bDpT10_ENKUlT_T0_E_clISt17integral_constantIbLb1EES1P_EEDaS1K_S1L_EUlS1K_E_NS1_11comp_targetILNS1_3genE2ELNS1_11target_archE906ELNS1_3gpuE6ELNS1_3repE0EEENS1_30default_config_static_selectorELNS0_4arch9wavefront6targetE0EEEvSY_
		.amdhsa_group_segment_fixed_size 0
		.amdhsa_private_segment_fixed_size 0
		.amdhsa_kernarg_size 152
		.amdhsa_user_sgpr_count 6
		.amdhsa_user_sgpr_private_segment_buffer 1
		.amdhsa_user_sgpr_dispatch_ptr 0
		.amdhsa_user_sgpr_queue_ptr 0
		.amdhsa_user_sgpr_kernarg_segment_ptr 1
		.amdhsa_user_sgpr_dispatch_id 0
		.amdhsa_user_sgpr_flat_scratch_init 0
		.amdhsa_user_sgpr_private_segment_size 0
		.amdhsa_wavefront_size32 1
		.amdhsa_uses_dynamic_stack 0
		.amdhsa_system_sgpr_private_segment_wavefront_offset 0
		.amdhsa_system_sgpr_workgroup_id_x 1
		.amdhsa_system_sgpr_workgroup_id_y 0
		.amdhsa_system_sgpr_workgroup_id_z 0
		.amdhsa_system_sgpr_workgroup_info 0
		.amdhsa_system_vgpr_workitem_id 0
		.amdhsa_next_free_vgpr 1
		.amdhsa_next_free_sgpr 1
		.amdhsa_reserve_vcc 0
		.amdhsa_reserve_flat_scratch 0
		.amdhsa_float_round_mode_32 0
		.amdhsa_float_round_mode_16_64 0
		.amdhsa_float_denorm_mode_32 3
		.amdhsa_float_denorm_mode_16_64 3
		.amdhsa_dx10_clamp 1
		.amdhsa_ieee_mode 1
		.amdhsa_fp16_overflow 0
		.amdhsa_workgroup_processor_mode 1
		.amdhsa_memory_ordered 1
		.amdhsa_forward_progress 1
		.amdhsa_shared_vgpr_count 0
		.amdhsa_exception_fp_ieee_invalid_op 0
		.amdhsa_exception_fp_denorm_src 0
		.amdhsa_exception_fp_ieee_div_zero 0
		.amdhsa_exception_fp_ieee_overflow 0
		.amdhsa_exception_fp_ieee_underflow 0
		.amdhsa_exception_fp_ieee_inexact 0
		.amdhsa_exception_int_div_zero 0
	.end_amdhsa_kernel
	.section	.text._ZN7rocprim17ROCPRIM_400000_NS6detail17trampoline_kernelINS0_13select_configILj256ELj13ELNS0_17block_load_methodE3ELS4_3ELS4_3ELNS0_20block_scan_algorithmE0ELj4294967295EEENS1_25partition_config_selectorILNS1_17partition_subalgoE3EjNS0_10empty_typeEbEEZZNS1_14partition_implILS8_3ELb0ES6_jNS0_17counting_iteratorIjlEEPS9_SE_NS0_5tupleIJPjSE_EEENSF_IJSE_SE_EEES9_SG_JZNS1_25segmented_radix_sort_implINS0_14default_configELb0EPKbPbPKlPlN2at6native12_GLOBAL__N_18offset_tEEE10hipError_tPvRmT1_PNSt15iterator_traitsISY_E10value_typeET2_T3_PNSZ_IS14_E10value_typeET4_jRbjT5_S1A_jjP12ihipStream_tbEUljE_EEESV_SW_SX_S14_S18_S1A_T6_T7_T9_mT8_S1C_bDpT10_ENKUlT_T0_E_clISt17integral_constantIbLb1EES1P_EEDaS1K_S1L_EUlS1K_E_NS1_11comp_targetILNS1_3genE2ELNS1_11target_archE906ELNS1_3gpuE6ELNS1_3repE0EEENS1_30default_config_static_selectorELNS0_4arch9wavefront6targetE0EEEvSY_,"axG",@progbits,_ZN7rocprim17ROCPRIM_400000_NS6detail17trampoline_kernelINS0_13select_configILj256ELj13ELNS0_17block_load_methodE3ELS4_3ELS4_3ELNS0_20block_scan_algorithmE0ELj4294967295EEENS1_25partition_config_selectorILNS1_17partition_subalgoE3EjNS0_10empty_typeEbEEZZNS1_14partition_implILS8_3ELb0ES6_jNS0_17counting_iteratorIjlEEPS9_SE_NS0_5tupleIJPjSE_EEENSF_IJSE_SE_EEES9_SG_JZNS1_25segmented_radix_sort_implINS0_14default_configELb0EPKbPbPKlPlN2at6native12_GLOBAL__N_18offset_tEEE10hipError_tPvRmT1_PNSt15iterator_traitsISY_E10value_typeET2_T3_PNSZ_IS14_E10value_typeET4_jRbjT5_S1A_jjP12ihipStream_tbEUljE_EEESV_SW_SX_S14_S18_S1A_T6_T7_T9_mT8_S1C_bDpT10_ENKUlT_T0_E_clISt17integral_constantIbLb1EES1P_EEDaS1K_S1L_EUlS1K_E_NS1_11comp_targetILNS1_3genE2ELNS1_11target_archE906ELNS1_3gpuE6ELNS1_3repE0EEENS1_30default_config_static_selectorELNS0_4arch9wavefront6targetE0EEEvSY_,comdat
.Lfunc_end1606:
	.size	_ZN7rocprim17ROCPRIM_400000_NS6detail17trampoline_kernelINS0_13select_configILj256ELj13ELNS0_17block_load_methodE3ELS4_3ELS4_3ELNS0_20block_scan_algorithmE0ELj4294967295EEENS1_25partition_config_selectorILNS1_17partition_subalgoE3EjNS0_10empty_typeEbEEZZNS1_14partition_implILS8_3ELb0ES6_jNS0_17counting_iteratorIjlEEPS9_SE_NS0_5tupleIJPjSE_EEENSF_IJSE_SE_EEES9_SG_JZNS1_25segmented_radix_sort_implINS0_14default_configELb0EPKbPbPKlPlN2at6native12_GLOBAL__N_18offset_tEEE10hipError_tPvRmT1_PNSt15iterator_traitsISY_E10value_typeET2_T3_PNSZ_IS14_E10value_typeET4_jRbjT5_S1A_jjP12ihipStream_tbEUljE_EEESV_SW_SX_S14_S18_S1A_T6_T7_T9_mT8_S1C_bDpT10_ENKUlT_T0_E_clISt17integral_constantIbLb1EES1P_EEDaS1K_S1L_EUlS1K_E_NS1_11comp_targetILNS1_3genE2ELNS1_11target_archE906ELNS1_3gpuE6ELNS1_3repE0EEENS1_30default_config_static_selectorELNS0_4arch9wavefront6targetE0EEEvSY_, .Lfunc_end1606-_ZN7rocprim17ROCPRIM_400000_NS6detail17trampoline_kernelINS0_13select_configILj256ELj13ELNS0_17block_load_methodE3ELS4_3ELS4_3ELNS0_20block_scan_algorithmE0ELj4294967295EEENS1_25partition_config_selectorILNS1_17partition_subalgoE3EjNS0_10empty_typeEbEEZZNS1_14partition_implILS8_3ELb0ES6_jNS0_17counting_iteratorIjlEEPS9_SE_NS0_5tupleIJPjSE_EEENSF_IJSE_SE_EEES9_SG_JZNS1_25segmented_radix_sort_implINS0_14default_configELb0EPKbPbPKlPlN2at6native12_GLOBAL__N_18offset_tEEE10hipError_tPvRmT1_PNSt15iterator_traitsISY_E10value_typeET2_T3_PNSZ_IS14_E10value_typeET4_jRbjT5_S1A_jjP12ihipStream_tbEUljE_EEESV_SW_SX_S14_S18_S1A_T6_T7_T9_mT8_S1C_bDpT10_ENKUlT_T0_E_clISt17integral_constantIbLb1EES1P_EEDaS1K_S1L_EUlS1K_E_NS1_11comp_targetILNS1_3genE2ELNS1_11target_archE906ELNS1_3gpuE6ELNS1_3repE0EEENS1_30default_config_static_selectorELNS0_4arch9wavefront6targetE0EEEvSY_
                                        ; -- End function
	.set _ZN7rocprim17ROCPRIM_400000_NS6detail17trampoline_kernelINS0_13select_configILj256ELj13ELNS0_17block_load_methodE3ELS4_3ELS4_3ELNS0_20block_scan_algorithmE0ELj4294967295EEENS1_25partition_config_selectorILNS1_17partition_subalgoE3EjNS0_10empty_typeEbEEZZNS1_14partition_implILS8_3ELb0ES6_jNS0_17counting_iteratorIjlEEPS9_SE_NS0_5tupleIJPjSE_EEENSF_IJSE_SE_EEES9_SG_JZNS1_25segmented_radix_sort_implINS0_14default_configELb0EPKbPbPKlPlN2at6native12_GLOBAL__N_18offset_tEEE10hipError_tPvRmT1_PNSt15iterator_traitsISY_E10value_typeET2_T3_PNSZ_IS14_E10value_typeET4_jRbjT5_S1A_jjP12ihipStream_tbEUljE_EEESV_SW_SX_S14_S18_S1A_T6_T7_T9_mT8_S1C_bDpT10_ENKUlT_T0_E_clISt17integral_constantIbLb1EES1P_EEDaS1K_S1L_EUlS1K_E_NS1_11comp_targetILNS1_3genE2ELNS1_11target_archE906ELNS1_3gpuE6ELNS1_3repE0EEENS1_30default_config_static_selectorELNS0_4arch9wavefront6targetE0EEEvSY_.num_vgpr, 0
	.set _ZN7rocprim17ROCPRIM_400000_NS6detail17trampoline_kernelINS0_13select_configILj256ELj13ELNS0_17block_load_methodE3ELS4_3ELS4_3ELNS0_20block_scan_algorithmE0ELj4294967295EEENS1_25partition_config_selectorILNS1_17partition_subalgoE3EjNS0_10empty_typeEbEEZZNS1_14partition_implILS8_3ELb0ES6_jNS0_17counting_iteratorIjlEEPS9_SE_NS0_5tupleIJPjSE_EEENSF_IJSE_SE_EEES9_SG_JZNS1_25segmented_radix_sort_implINS0_14default_configELb0EPKbPbPKlPlN2at6native12_GLOBAL__N_18offset_tEEE10hipError_tPvRmT1_PNSt15iterator_traitsISY_E10value_typeET2_T3_PNSZ_IS14_E10value_typeET4_jRbjT5_S1A_jjP12ihipStream_tbEUljE_EEESV_SW_SX_S14_S18_S1A_T6_T7_T9_mT8_S1C_bDpT10_ENKUlT_T0_E_clISt17integral_constantIbLb1EES1P_EEDaS1K_S1L_EUlS1K_E_NS1_11comp_targetILNS1_3genE2ELNS1_11target_archE906ELNS1_3gpuE6ELNS1_3repE0EEENS1_30default_config_static_selectorELNS0_4arch9wavefront6targetE0EEEvSY_.num_agpr, 0
	.set _ZN7rocprim17ROCPRIM_400000_NS6detail17trampoline_kernelINS0_13select_configILj256ELj13ELNS0_17block_load_methodE3ELS4_3ELS4_3ELNS0_20block_scan_algorithmE0ELj4294967295EEENS1_25partition_config_selectorILNS1_17partition_subalgoE3EjNS0_10empty_typeEbEEZZNS1_14partition_implILS8_3ELb0ES6_jNS0_17counting_iteratorIjlEEPS9_SE_NS0_5tupleIJPjSE_EEENSF_IJSE_SE_EEES9_SG_JZNS1_25segmented_radix_sort_implINS0_14default_configELb0EPKbPbPKlPlN2at6native12_GLOBAL__N_18offset_tEEE10hipError_tPvRmT1_PNSt15iterator_traitsISY_E10value_typeET2_T3_PNSZ_IS14_E10value_typeET4_jRbjT5_S1A_jjP12ihipStream_tbEUljE_EEESV_SW_SX_S14_S18_S1A_T6_T7_T9_mT8_S1C_bDpT10_ENKUlT_T0_E_clISt17integral_constantIbLb1EES1P_EEDaS1K_S1L_EUlS1K_E_NS1_11comp_targetILNS1_3genE2ELNS1_11target_archE906ELNS1_3gpuE6ELNS1_3repE0EEENS1_30default_config_static_selectorELNS0_4arch9wavefront6targetE0EEEvSY_.numbered_sgpr, 0
	.set _ZN7rocprim17ROCPRIM_400000_NS6detail17trampoline_kernelINS0_13select_configILj256ELj13ELNS0_17block_load_methodE3ELS4_3ELS4_3ELNS0_20block_scan_algorithmE0ELj4294967295EEENS1_25partition_config_selectorILNS1_17partition_subalgoE3EjNS0_10empty_typeEbEEZZNS1_14partition_implILS8_3ELb0ES6_jNS0_17counting_iteratorIjlEEPS9_SE_NS0_5tupleIJPjSE_EEENSF_IJSE_SE_EEES9_SG_JZNS1_25segmented_radix_sort_implINS0_14default_configELb0EPKbPbPKlPlN2at6native12_GLOBAL__N_18offset_tEEE10hipError_tPvRmT1_PNSt15iterator_traitsISY_E10value_typeET2_T3_PNSZ_IS14_E10value_typeET4_jRbjT5_S1A_jjP12ihipStream_tbEUljE_EEESV_SW_SX_S14_S18_S1A_T6_T7_T9_mT8_S1C_bDpT10_ENKUlT_T0_E_clISt17integral_constantIbLb1EES1P_EEDaS1K_S1L_EUlS1K_E_NS1_11comp_targetILNS1_3genE2ELNS1_11target_archE906ELNS1_3gpuE6ELNS1_3repE0EEENS1_30default_config_static_selectorELNS0_4arch9wavefront6targetE0EEEvSY_.num_named_barrier, 0
	.set _ZN7rocprim17ROCPRIM_400000_NS6detail17trampoline_kernelINS0_13select_configILj256ELj13ELNS0_17block_load_methodE3ELS4_3ELS4_3ELNS0_20block_scan_algorithmE0ELj4294967295EEENS1_25partition_config_selectorILNS1_17partition_subalgoE3EjNS0_10empty_typeEbEEZZNS1_14partition_implILS8_3ELb0ES6_jNS0_17counting_iteratorIjlEEPS9_SE_NS0_5tupleIJPjSE_EEENSF_IJSE_SE_EEES9_SG_JZNS1_25segmented_radix_sort_implINS0_14default_configELb0EPKbPbPKlPlN2at6native12_GLOBAL__N_18offset_tEEE10hipError_tPvRmT1_PNSt15iterator_traitsISY_E10value_typeET2_T3_PNSZ_IS14_E10value_typeET4_jRbjT5_S1A_jjP12ihipStream_tbEUljE_EEESV_SW_SX_S14_S18_S1A_T6_T7_T9_mT8_S1C_bDpT10_ENKUlT_T0_E_clISt17integral_constantIbLb1EES1P_EEDaS1K_S1L_EUlS1K_E_NS1_11comp_targetILNS1_3genE2ELNS1_11target_archE906ELNS1_3gpuE6ELNS1_3repE0EEENS1_30default_config_static_selectorELNS0_4arch9wavefront6targetE0EEEvSY_.private_seg_size, 0
	.set _ZN7rocprim17ROCPRIM_400000_NS6detail17trampoline_kernelINS0_13select_configILj256ELj13ELNS0_17block_load_methodE3ELS4_3ELS4_3ELNS0_20block_scan_algorithmE0ELj4294967295EEENS1_25partition_config_selectorILNS1_17partition_subalgoE3EjNS0_10empty_typeEbEEZZNS1_14partition_implILS8_3ELb0ES6_jNS0_17counting_iteratorIjlEEPS9_SE_NS0_5tupleIJPjSE_EEENSF_IJSE_SE_EEES9_SG_JZNS1_25segmented_radix_sort_implINS0_14default_configELb0EPKbPbPKlPlN2at6native12_GLOBAL__N_18offset_tEEE10hipError_tPvRmT1_PNSt15iterator_traitsISY_E10value_typeET2_T3_PNSZ_IS14_E10value_typeET4_jRbjT5_S1A_jjP12ihipStream_tbEUljE_EEESV_SW_SX_S14_S18_S1A_T6_T7_T9_mT8_S1C_bDpT10_ENKUlT_T0_E_clISt17integral_constantIbLb1EES1P_EEDaS1K_S1L_EUlS1K_E_NS1_11comp_targetILNS1_3genE2ELNS1_11target_archE906ELNS1_3gpuE6ELNS1_3repE0EEENS1_30default_config_static_selectorELNS0_4arch9wavefront6targetE0EEEvSY_.uses_vcc, 0
	.set _ZN7rocprim17ROCPRIM_400000_NS6detail17trampoline_kernelINS0_13select_configILj256ELj13ELNS0_17block_load_methodE3ELS4_3ELS4_3ELNS0_20block_scan_algorithmE0ELj4294967295EEENS1_25partition_config_selectorILNS1_17partition_subalgoE3EjNS0_10empty_typeEbEEZZNS1_14partition_implILS8_3ELb0ES6_jNS0_17counting_iteratorIjlEEPS9_SE_NS0_5tupleIJPjSE_EEENSF_IJSE_SE_EEES9_SG_JZNS1_25segmented_radix_sort_implINS0_14default_configELb0EPKbPbPKlPlN2at6native12_GLOBAL__N_18offset_tEEE10hipError_tPvRmT1_PNSt15iterator_traitsISY_E10value_typeET2_T3_PNSZ_IS14_E10value_typeET4_jRbjT5_S1A_jjP12ihipStream_tbEUljE_EEESV_SW_SX_S14_S18_S1A_T6_T7_T9_mT8_S1C_bDpT10_ENKUlT_T0_E_clISt17integral_constantIbLb1EES1P_EEDaS1K_S1L_EUlS1K_E_NS1_11comp_targetILNS1_3genE2ELNS1_11target_archE906ELNS1_3gpuE6ELNS1_3repE0EEENS1_30default_config_static_selectorELNS0_4arch9wavefront6targetE0EEEvSY_.uses_flat_scratch, 0
	.set _ZN7rocprim17ROCPRIM_400000_NS6detail17trampoline_kernelINS0_13select_configILj256ELj13ELNS0_17block_load_methodE3ELS4_3ELS4_3ELNS0_20block_scan_algorithmE0ELj4294967295EEENS1_25partition_config_selectorILNS1_17partition_subalgoE3EjNS0_10empty_typeEbEEZZNS1_14partition_implILS8_3ELb0ES6_jNS0_17counting_iteratorIjlEEPS9_SE_NS0_5tupleIJPjSE_EEENSF_IJSE_SE_EEES9_SG_JZNS1_25segmented_radix_sort_implINS0_14default_configELb0EPKbPbPKlPlN2at6native12_GLOBAL__N_18offset_tEEE10hipError_tPvRmT1_PNSt15iterator_traitsISY_E10value_typeET2_T3_PNSZ_IS14_E10value_typeET4_jRbjT5_S1A_jjP12ihipStream_tbEUljE_EEESV_SW_SX_S14_S18_S1A_T6_T7_T9_mT8_S1C_bDpT10_ENKUlT_T0_E_clISt17integral_constantIbLb1EES1P_EEDaS1K_S1L_EUlS1K_E_NS1_11comp_targetILNS1_3genE2ELNS1_11target_archE906ELNS1_3gpuE6ELNS1_3repE0EEENS1_30default_config_static_selectorELNS0_4arch9wavefront6targetE0EEEvSY_.has_dyn_sized_stack, 0
	.set _ZN7rocprim17ROCPRIM_400000_NS6detail17trampoline_kernelINS0_13select_configILj256ELj13ELNS0_17block_load_methodE3ELS4_3ELS4_3ELNS0_20block_scan_algorithmE0ELj4294967295EEENS1_25partition_config_selectorILNS1_17partition_subalgoE3EjNS0_10empty_typeEbEEZZNS1_14partition_implILS8_3ELb0ES6_jNS0_17counting_iteratorIjlEEPS9_SE_NS0_5tupleIJPjSE_EEENSF_IJSE_SE_EEES9_SG_JZNS1_25segmented_radix_sort_implINS0_14default_configELb0EPKbPbPKlPlN2at6native12_GLOBAL__N_18offset_tEEE10hipError_tPvRmT1_PNSt15iterator_traitsISY_E10value_typeET2_T3_PNSZ_IS14_E10value_typeET4_jRbjT5_S1A_jjP12ihipStream_tbEUljE_EEESV_SW_SX_S14_S18_S1A_T6_T7_T9_mT8_S1C_bDpT10_ENKUlT_T0_E_clISt17integral_constantIbLb1EES1P_EEDaS1K_S1L_EUlS1K_E_NS1_11comp_targetILNS1_3genE2ELNS1_11target_archE906ELNS1_3gpuE6ELNS1_3repE0EEENS1_30default_config_static_selectorELNS0_4arch9wavefront6targetE0EEEvSY_.has_recursion, 0
	.set _ZN7rocprim17ROCPRIM_400000_NS6detail17trampoline_kernelINS0_13select_configILj256ELj13ELNS0_17block_load_methodE3ELS4_3ELS4_3ELNS0_20block_scan_algorithmE0ELj4294967295EEENS1_25partition_config_selectorILNS1_17partition_subalgoE3EjNS0_10empty_typeEbEEZZNS1_14partition_implILS8_3ELb0ES6_jNS0_17counting_iteratorIjlEEPS9_SE_NS0_5tupleIJPjSE_EEENSF_IJSE_SE_EEES9_SG_JZNS1_25segmented_radix_sort_implINS0_14default_configELb0EPKbPbPKlPlN2at6native12_GLOBAL__N_18offset_tEEE10hipError_tPvRmT1_PNSt15iterator_traitsISY_E10value_typeET2_T3_PNSZ_IS14_E10value_typeET4_jRbjT5_S1A_jjP12ihipStream_tbEUljE_EEESV_SW_SX_S14_S18_S1A_T6_T7_T9_mT8_S1C_bDpT10_ENKUlT_T0_E_clISt17integral_constantIbLb1EES1P_EEDaS1K_S1L_EUlS1K_E_NS1_11comp_targetILNS1_3genE2ELNS1_11target_archE906ELNS1_3gpuE6ELNS1_3repE0EEENS1_30default_config_static_selectorELNS0_4arch9wavefront6targetE0EEEvSY_.has_indirect_call, 0
	.section	.AMDGPU.csdata,"",@progbits
; Kernel info:
; codeLenInByte = 0
; TotalNumSgprs: 0
; NumVgprs: 0
; ScratchSize: 0
; MemoryBound: 0
; FloatMode: 240
; IeeeMode: 1
; LDSByteSize: 0 bytes/workgroup (compile time only)
; SGPRBlocks: 0
; VGPRBlocks: 0
; NumSGPRsForWavesPerEU: 1
; NumVGPRsForWavesPerEU: 1
; Occupancy: 16
; WaveLimiterHint : 0
; COMPUTE_PGM_RSRC2:SCRATCH_EN: 0
; COMPUTE_PGM_RSRC2:USER_SGPR: 6
; COMPUTE_PGM_RSRC2:TRAP_HANDLER: 0
; COMPUTE_PGM_RSRC2:TGID_X_EN: 1
; COMPUTE_PGM_RSRC2:TGID_Y_EN: 0
; COMPUTE_PGM_RSRC2:TGID_Z_EN: 0
; COMPUTE_PGM_RSRC2:TIDIG_COMP_CNT: 0
	.section	.text._ZN7rocprim17ROCPRIM_400000_NS6detail17trampoline_kernelINS0_13select_configILj256ELj13ELNS0_17block_load_methodE3ELS4_3ELS4_3ELNS0_20block_scan_algorithmE0ELj4294967295EEENS1_25partition_config_selectorILNS1_17partition_subalgoE3EjNS0_10empty_typeEbEEZZNS1_14partition_implILS8_3ELb0ES6_jNS0_17counting_iteratorIjlEEPS9_SE_NS0_5tupleIJPjSE_EEENSF_IJSE_SE_EEES9_SG_JZNS1_25segmented_radix_sort_implINS0_14default_configELb0EPKbPbPKlPlN2at6native12_GLOBAL__N_18offset_tEEE10hipError_tPvRmT1_PNSt15iterator_traitsISY_E10value_typeET2_T3_PNSZ_IS14_E10value_typeET4_jRbjT5_S1A_jjP12ihipStream_tbEUljE_EEESV_SW_SX_S14_S18_S1A_T6_T7_T9_mT8_S1C_bDpT10_ENKUlT_T0_E_clISt17integral_constantIbLb1EES1P_EEDaS1K_S1L_EUlS1K_E_NS1_11comp_targetILNS1_3genE10ELNS1_11target_archE1200ELNS1_3gpuE4ELNS1_3repE0EEENS1_30default_config_static_selectorELNS0_4arch9wavefront6targetE0EEEvSY_,"axG",@progbits,_ZN7rocprim17ROCPRIM_400000_NS6detail17trampoline_kernelINS0_13select_configILj256ELj13ELNS0_17block_load_methodE3ELS4_3ELS4_3ELNS0_20block_scan_algorithmE0ELj4294967295EEENS1_25partition_config_selectorILNS1_17partition_subalgoE3EjNS0_10empty_typeEbEEZZNS1_14partition_implILS8_3ELb0ES6_jNS0_17counting_iteratorIjlEEPS9_SE_NS0_5tupleIJPjSE_EEENSF_IJSE_SE_EEES9_SG_JZNS1_25segmented_radix_sort_implINS0_14default_configELb0EPKbPbPKlPlN2at6native12_GLOBAL__N_18offset_tEEE10hipError_tPvRmT1_PNSt15iterator_traitsISY_E10value_typeET2_T3_PNSZ_IS14_E10value_typeET4_jRbjT5_S1A_jjP12ihipStream_tbEUljE_EEESV_SW_SX_S14_S18_S1A_T6_T7_T9_mT8_S1C_bDpT10_ENKUlT_T0_E_clISt17integral_constantIbLb1EES1P_EEDaS1K_S1L_EUlS1K_E_NS1_11comp_targetILNS1_3genE10ELNS1_11target_archE1200ELNS1_3gpuE4ELNS1_3repE0EEENS1_30default_config_static_selectorELNS0_4arch9wavefront6targetE0EEEvSY_,comdat
	.globl	_ZN7rocprim17ROCPRIM_400000_NS6detail17trampoline_kernelINS0_13select_configILj256ELj13ELNS0_17block_load_methodE3ELS4_3ELS4_3ELNS0_20block_scan_algorithmE0ELj4294967295EEENS1_25partition_config_selectorILNS1_17partition_subalgoE3EjNS0_10empty_typeEbEEZZNS1_14partition_implILS8_3ELb0ES6_jNS0_17counting_iteratorIjlEEPS9_SE_NS0_5tupleIJPjSE_EEENSF_IJSE_SE_EEES9_SG_JZNS1_25segmented_radix_sort_implINS0_14default_configELb0EPKbPbPKlPlN2at6native12_GLOBAL__N_18offset_tEEE10hipError_tPvRmT1_PNSt15iterator_traitsISY_E10value_typeET2_T3_PNSZ_IS14_E10value_typeET4_jRbjT5_S1A_jjP12ihipStream_tbEUljE_EEESV_SW_SX_S14_S18_S1A_T6_T7_T9_mT8_S1C_bDpT10_ENKUlT_T0_E_clISt17integral_constantIbLb1EES1P_EEDaS1K_S1L_EUlS1K_E_NS1_11comp_targetILNS1_3genE10ELNS1_11target_archE1200ELNS1_3gpuE4ELNS1_3repE0EEENS1_30default_config_static_selectorELNS0_4arch9wavefront6targetE0EEEvSY_ ; -- Begin function _ZN7rocprim17ROCPRIM_400000_NS6detail17trampoline_kernelINS0_13select_configILj256ELj13ELNS0_17block_load_methodE3ELS4_3ELS4_3ELNS0_20block_scan_algorithmE0ELj4294967295EEENS1_25partition_config_selectorILNS1_17partition_subalgoE3EjNS0_10empty_typeEbEEZZNS1_14partition_implILS8_3ELb0ES6_jNS0_17counting_iteratorIjlEEPS9_SE_NS0_5tupleIJPjSE_EEENSF_IJSE_SE_EEES9_SG_JZNS1_25segmented_radix_sort_implINS0_14default_configELb0EPKbPbPKlPlN2at6native12_GLOBAL__N_18offset_tEEE10hipError_tPvRmT1_PNSt15iterator_traitsISY_E10value_typeET2_T3_PNSZ_IS14_E10value_typeET4_jRbjT5_S1A_jjP12ihipStream_tbEUljE_EEESV_SW_SX_S14_S18_S1A_T6_T7_T9_mT8_S1C_bDpT10_ENKUlT_T0_E_clISt17integral_constantIbLb1EES1P_EEDaS1K_S1L_EUlS1K_E_NS1_11comp_targetILNS1_3genE10ELNS1_11target_archE1200ELNS1_3gpuE4ELNS1_3repE0EEENS1_30default_config_static_selectorELNS0_4arch9wavefront6targetE0EEEvSY_
	.p2align	8
	.type	_ZN7rocprim17ROCPRIM_400000_NS6detail17trampoline_kernelINS0_13select_configILj256ELj13ELNS0_17block_load_methodE3ELS4_3ELS4_3ELNS0_20block_scan_algorithmE0ELj4294967295EEENS1_25partition_config_selectorILNS1_17partition_subalgoE3EjNS0_10empty_typeEbEEZZNS1_14partition_implILS8_3ELb0ES6_jNS0_17counting_iteratorIjlEEPS9_SE_NS0_5tupleIJPjSE_EEENSF_IJSE_SE_EEES9_SG_JZNS1_25segmented_radix_sort_implINS0_14default_configELb0EPKbPbPKlPlN2at6native12_GLOBAL__N_18offset_tEEE10hipError_tPvRmT1_PNSt15iterator_traitsISY_E10value_typeET2_T3_PNSZ_IS14_E10value_typeET4_jRbjT5_S1A_jjP12ihipStream_tbEUljE_EEESV_SW_SX_S14_S18_S1A_T6_T7_T9_mT8_S1C_bDpT10_ENKUlT_T0_E_clISt17integral_constantIbLb1EES1P_EEDaS1K_S1L_EUlS1K_E_NS1_11comp_targetILNS1_3genE10ELNS1_11target_archE1200ELNS1_3gpuE4ELNS1_3repE0EEENS1_30default_config_static_selectorELNS0_4arch9wavefront6targetE0EEEvSY_,@function
_ZN7rocprim17ROCPRIM_400000_NS6detail17trampoline_kernelINS0_13select_configILj256ELj13ELNS0_17block_load_methodE3ELS4_3ELS4_3ELNS0_20block_scan_algorithmE0ELj4294967295EEENS1_25partition_config_selectorILNS1_17partition_subalgoE3EjNS0_10empty_typeEbEEZZNS1_14partition_implILS8_3ELb0ES6_jNS0_17counting_iteratorIjlEEPS9_SE_NS0_5tupleIJPjSE_EEENSF_IJSE_SE_EEES9_SG_JZNS1_25segmented_radix_sort_implINS0_14default_configELb0EPKbPbPKlPlN2at6native12_GLOBAL__N_18offset_tEEE10hipError_tPvRmT1_PNSt15iterator_traitsISY_E10value_typeET2_T3_PNSZ_IS14_E10value_typeET4_jRbjT5_S1A_jjP12ihipStream_tbEUljE_EEESV_SW_SX_S14_S18_S1A_T6_T7_T9_mT8_S1C_bDpT10_ENKUlT_T0_E_clISt17integral_constantIbLb1EES1P_EEDaS1K_S1L_EUlS1K_E_NS1_11comp_targetILNS1_3genE10ELNS1_11target_archE1200ELNS1_3gpuE4ELNS1_3repE0EEENS1_30default_config_static_selectorELNS0_4arch9wavefront6targetE0EEEvSY_: ; @_ZN7rocprim17ROCPRIM_400000_NS6detail17trampoline_kernelINS0_13select_configILj256ELj13ELNS0_17block_load_methodE3ELS4_3ELS4_3ELNS0_20block_scan_algorithmE0ELj4294967295EEENS1_25partition_config_selectorILNS1_17partition_subalgoE3EjNS0_10empty_typeEbEEZZNS1_14partition_implILS8_3ELb0ES6_jNS0_17counting_iteratorIjlEEPS9_SE_NS0_5tupleIJPjSE_EEENSF_IJSE_SE_EEES9_SG_JZNS1_25segmented_radix_sort_implINS0_14default_configELb0EPKbPbPKlPlN2at6native12_GLOBAL__N_18offset_tEEE10hipError_tPvRmT1_PNSt15iterator_traitsISY_E10value_typeET2_T3_PNSZ_IS14_E10value_typeET4_jRbjT5_S1A_jjP12ihipStream_tbEUljE_EEESV_SW_SX_S14_S18_S1A_T6_T7_T9_mT8_S1C_bDpT10_ENKUlT_T0_E_clISt17integral_constantIbLb1EES1P_EEDaS1K_S1L_EUlS1K_E_NS1_11comp_targetILNS1_3genE10ELNS1_11target_archE1200ELNS1_3gpuE4ELNS1_3repE0EEENS1_30default_config_static_selectorELNS0_4arch9wavefront6targetE0EEEvSY_
; %bb.0:
	.section	.rodata,"a",@progbits
	.p2align	6, 0x0
	.amdhsa_kernel _ZN7rocprim17ROCPRIM_400000_NS6detail17trampoline_kernelINS0_13select_configILj256ELj13ELNS0_17block_load_methodE3ELS4_3ELS4_3ELNS0_20block_scan_algorithmE0ELj4294967295EEENS1_25partition_config_selectorILNS1_17partition_subalgoE3EjNS0_10empty_typeEbEEZZNS1_14partition_implILS8_3ELb0ES6_jNS0_17counting_iteratorIjlEEPS9_SE_NS0_5tupleIJPjSE_EEENSF_IJSE_SE_EEES9_SG_JZNS1_25segmented_radix_sort_implINS0_14default_configELb0EPKbPbPKlPlN2at6native12_GLOBAL__N_18offset_tEEE10hipError_tPvRmT1_PNSt15iterator_traitsISY_E10value_typeET2_T3_PNSZ_IS14_E10value_typeET4_jRbjT5_S1A_jjP12ihipStream_tbEUljE_EEESV_SW_SX_S14_S18_S1A_T6_T7_T9_mT8_S1C_bDpT10_ENKUlT_T0_E_clISt17integral_constantIbLb1EES1P_EEDaS1K_S1L_EUlS1K_E_NS1_11comp_targetILNS1_3genE10ELNS1_11target_archE1200ELNS1_3gpuE4ELNS1_3repE0EEENS1_30default_config_static_selectorELNS0_4arch9wavefront6targetE0EEEvSY_
		.amdhsa_group_segment_fixed_size 0
		.amdhsa_private_segment_fixed_size 0
		.amdhsa_kernarg_size 152
		.amdhsa_user_sgpr_count 6
		.amdhsa_user_sgpr_private_segment_buffer 1
		.amdhsa_user_sgpr_dispatch_ptr 0
		.amdhsa_user_sgpr_queue_ptr 0
		.amdhsa_user_sgpr_kernarg_segment_ptr 1
		.amdhsa_user_sgpr_dispatch_id 0
		.amdhsa_user_sgpr_flat_scratch_init 0
		.amdhsa_user_sgpr_private_segment_size 0
		.amdhsa_wavefront_size32 1
		.amdhsa_uses_dynamic_stack 0
		.amdhsa_system_sgpr_private_segment_wavefront_offset 0
		.amdhsa_system_sgpr_workgroup_id_x 1
		.amdhsa_system_sgpr_workgroup_id_y 0
		.amdhsa_system_sgpr_workgroup_id_z 0
		.amdhsa_system_sgpr_workgroup_info 0
		.amdhsa_system_vgpr_workitem_id 0
		.amdhsa_next_free_vgpr 1
		.amdhsa_next_free_sgpr 1
		.amdhsa_reserve_vcc 0
		.amdhsa_reserve_flat_scratch 0
		.amdhsa_float_round_mode_32 0
		.amdhsa_float_round_mode_16_64 0
		.amdhsa_float_denorm_mode_32 3
		.amdhsa_float_denorm_mode_16_64 3
		.amdhsa_dx10_clamp 1
		.amdhsa_ieee_mode 1
		.amdhsa_fp16_overflow 0
		.amdhsa_workgroup_processor_mode 1
		.amdhsa_memory_ordered 1
		.amdhsa_forward_progress 1
		.amdhsa_shared_vgpr_count 0
		.amdhsa_exception_fp_ieee_invalid_op 0
		.amdhsa_exception_fp_denorm_src 0
		.amdhsa_exception_fp_ieee_div_zero 0
		.amdhsa_exception_fp_ieee_overflow 0
		.amdhsa_exception_fp_ieee_underflow 0
		.amdhsa_exception_fp_ieee_inexact 0
		.amdhsa_exception_int_div_zero 0
	.end_amdhsa_kernel
	.section	.text._ZN7rocprim17ROCPRIM_400000_NS6detail17trampoline_kernelINS0_13select_configILj256ELj13ELNS0_17block_load_methodE3ELS4_3ELS4_3ELNS0_20block_scan_algorithmE0ELj4294967295EEENS1_25partition_config_selectorILNS1_17partition_subalgoE3EjNS0_10empty_typeEbEEZZNS1_14partition_implILS8_3ELb0ES6_jNS0_17counting_iteratorIjlEEPS9_SE_NS0_5tupleIJPjSE_EEENSF_IJSE_SE_EEES9_SG_JZNS1_25segmented_radix_sort_implINS0_14default_configELb0EPKbPbPKlPlN2at6native12_GLOBAL__N_18offset_tEEE10hipError_tPvRmT1_PNSt15iterator_traitsISY_E10value_typeET2_T3_PNSZ_IS14_E10value_typeET4_jRbjT5_S1A_jjP12ihipStream_tbEUljE_EEESV_SW_SX_S14_S18_S1A_T6_T7_T9_mT8_S1C_bDpT10_ENKUlT_T0_E_clISt17integral_constantIbLb1EES1P_EEDaS1K_S1L_EUlS1K_E_NS1_11comp_targetILNS1_3genE10ELNS1_11target_archE1200ELNS1_3gpuE4ELNS1_3repE0EEENS1_30default_config_static_selectorELNS0_4arch9wavefront6targetE0EEEvSY_,"axG",@progbits,_ZN7rocprim17ROCPRIM_400000_NS6detail17trampoline_kernelINS0_13select_configILj256ELj13ELNS0_17block_load_methodE3ELS4_3ELS4_3ELNS0_20block_scan_algorithmE0ELj4294967295EEENS1_25partition_config_selectorILNS1_17partition_subalgoE3EjNS0_10empty_typeEbEEZZNS1_14partition_implILS8_3ELb0ES6_jNS0_17counting_iteratorIjlEEPS9_SE_NS0_5tupleIJPjSE_EEENSF_IJSE_SE_EEES9_SG_JZNS1_25segmented_radix_sort_implINS0_14default_configELb0EPKbPbPKlPlN2at6native12_GLOBAL__N_18offset_tEEE10hipError_tPvRmT1_PNSt15iterator_traitsISY_E10value_typeET2_T3_PNSZ_IS14_E10value_typeET4_jRbjT5_S1A_jjP12ihipStream_tbEUljE_EEESV_SW_SX_S14_S18_S1A_T6_T7_T9_mT8_S1C_bDpT10_ENKUlT_T0_E_clISt17integral_constantIbLb1EES1P_EEDaS1K_S1L_EUlS1K_E_NS1_11comp_targetILNS1_3genE10ELNS1_11target_archE1200ELNS1_3gpuE4ELNS1_3repE0EEENS1_30default_config_static_selectorELNS0_4arch9wavefront6targetE0EEEvSY_,comdat
.Lfunc_end1607:
	.size	_ZN7rocprim17ROCPRIM_400000_NS6detail17trampoline_kernelINS0_13select_configILj256ELj13ELNS0_17block_load_methodE3ELS4_3ELS4_3ELNS0_20block_scan_algorithmE0ELj4294967295EEENS1_25partition_config_selectorILNS1_17partition_subalgoE3EjNS0_10empty_typeEbEEZZNS1_14partition_implILS8_3ELb0ES6_jNS0_17counting_iteratorIjlEEPS9_SE_NS0_5tupleIJPjSE_EEENSF_IJSE_SE_EEES9_SG_JZNS1_25segmented_radix_sort_implINS0_14default_configELb0EPKbPbPKlPlN2at6native12_GLOBAL__N_18offset_tEEE10hipError_tPvRmT1_PNSt15iterator_traitsISY_E10value_typeET2_T3_PNSZ_IS14_E10value_typeET4_jRbjT5_S1A_jjP12ihipStream_tbEUljE_EEESV_SW_SX_S14_S18_S1A_T6_T7_T9_mT8_S1C_bDpT10_ENKUlT_T0_E_clISt17integral_constantIbLb1EES1P_EEDaS1K_S1L_EUlS1K_E_NS1_11comp_targetILNS1_3genE10ELNS1_11target_archE1200ELNS1_3gpuE4ELNS1_3repE0EEENS1_30default_config_static_selectorELNS0_4arch9wavefront6targetE0EEEvSY_, .Lfunc_end1607-_ZN7rocprim17ROCPRIM_400000_NS6detail17trampoline_kernelINS0_13select_configILj256ELj13ELNS0_17block_load_methodE3ELS4_3ELS4_3ELNS0_20block_scan_algorithmE0ELj4294967295EEENS1_25partition_config_selectorILNS1_17partition_subalgoE3EjNS0_10empty_typeEbEEZZNS1_14partition_implILS8_3ELb0ES6_jNS0_17counting_iteratorIjlEEPS9_SE_NS0_5tupleIJPjSE_EEENSF_IJSE_SE_EEES9_SG_JZNS1_25segmented_radix_sort_implINS0_14default_configELb0EPKbPbPKlPlN2at6native12_GLOBAL__N_18offset_tEEE10hipError_tPvRmT1_PNSt15iterator_traitsISY_E10value_typeET2_T3_PNSZ_IS14_E10value_typeET4_jRbjT5_S1A_jjP12ihipStream_tbEUljE_EEESV_SW_SX_S14_S18_S1A_T6_T7_T9_mT8_S1C_bDpT10_ENKUlT_T0_E_clISt17integral_constantIbLb1EES1P_EEDaS1K_S1L_EUlS1K_E_NS1_11comp_targetILNS1_3genE10ELNS1_11target_archE1200ELNS1_3gpuE4ELNS1_3repE0EEENS1_30default_config_static_selectorELNS0_4arch9wavefront6targetE0EEEvSY_
                                        ; -- End function
	.set _ZN7rocprim17ROCPRIM_400000_NS6detail17trampoline_kernelINS0_13select_configILj256ELj13ELNS0_17block_load_methodE3ELS4_3ELS4_3ELNS0_20block_scan_algorithmE0ELj4294967295EEENS1_25partition_config_selectorILNS1_17partition_subalgoE3EjNS0_10empty_typeEbEEZZNS1_14partition_implILS8_3ELb0ES6_jNS0_17counting_iteratorIjlEEPS9_SE_NS0_5tupleIJPjSE_EEENSF_IJSE_SE_EEES9_SG_JZNS1_25segmented_radix_sort_implINS0_14default_configELb0EPKbPbPKlPlN2at6native12_GLOBAL__N_18offset_tEEE10hipError_tPvRmT1_PNSt15iterator_traitsISY_E10value_typeET2_T3_PNSZ_IS14_E10value_typeET4_jRbjT5_S1A_jjP12ihipStream_tbEUljE_EEESV_SW_SX_S14_S18_S1A_T6_T7_T9_mT8_S1C_bDpT10_ENKUlT_T0_E_clISt17integral_constantIbLb1EES1P_EEDaS1K_S1L_EUlS1K_E_NS1_11comp_targetILNS1_3genE10ELNS1_11target_archE1200ELNS1_3gpuE4ELNS1_3repE0EEENS1_30default_config_static_selectorELNS0_4arch9wavefront6targetE0EEEvSY_.num_vgpr, 0
	.set _ZN7rocprim17ROCPRIM_400000_NS6detail17trampoline_kernelINS0_13select_configILj256ELj13ELNS0_17block_load_methodE3ELS4_3ELS4_3ELNS0_20block_scan_algorithmE0ELj4294967295EEENS1_25partition_config_selectorILNS1_17partition_subalgoE3EjNS0_10empty_typeEbEEZZNS1_14partition_implILS8_3ELb0ES6_jNS0_17counting_iteratorIjlEEPS9_SE_NS0_5tupleIJPjSE_EEENSF_IJSE_SE_EEES9_SG_JZNS1_25segmented_radix_sort_implINS0_14default_configELb0EPKbPbPKlPlN2at6native12_GLOBAL__N_18offset_tEEE10hipError_tPvRmT1_PNSt15iterator_traitsISY_E10value_typeET2_T3_PNSZ_IS14_E10value_typeET4_jRbjT5_S1A_jjP12ihipStream_tbEUljE_EEESV_SW_SX_S14_S18_S1A_T6_T7_T9_mT8_S1C_bDpT10_ENKUlT_T0_E_clISt17integral_constantIbLb1EES1P_EEDaS1K_S1L_EUlS1K_E_NS1_11comp_targetILNS1_3genE10ELNS1_11target_archE1200ELNS1_3gpuE4ELNS1_3repE0EEENS1_30default_config_static_selectorELNS0_4arch9wavefront6targetE0EEEvSY_.num_agpr, 0
	.set _ZN7rocprim17ROCPRIM_400000_NS6detail17trampoline_kernelINS0_13select_configILj256ELj13ELNS0_17block_load_methodE3ELS4_3ELS4_3ELNS0_20block_scan_algorithmE0ELj4294967295EEENS1_25partition_config_selectorILNS1_17partition_subalgoE3EjNS0_10empty_typeEbEEZZNS1_14partition_implILS8_3ELb0ES6_jNS0_17counting_iteratorIjlEEPS9_SE_NS0_5tupleIJPjSE_EEENSF_IJSE_SE_EEES9_SG_JZNS1_25segmented_radix_sort_implINS0_14default_configELb0EPKbPbPKlPlN2at6native12_GLOBAL__N_18offset_tEEE10hipError_tPvRmT1_PNSt15iterator_traitsISY_E10value_typeET2_T3_PNSZ_IS14_E10value_typeET4_jRbjT5_S1A_jjP12ihipStream_tbEUljE_EEESV_SW_SX_S14_S18_S1A_T6_T7_T9_mT8_S1C_bDpT10_ENKUlT_T0_E_clISt17integral_constantIbLb1EES1P_EEDaS1K_S1L_EUlS1K_E_NS1_11comp_targetILNS1_3genE10ELNS1_11target_archE1200ELNS1_3gpuE4ELNS1_3repE0EEENS1_30default_config_static_selectorELNS0_4arch9wavefront6targetE0EEEvSY_.numbered_sgpr, 0
	.set _ZN7rocprim17ROCPRIM_400000_NS6detail17trampoline_kernelINS0_13select_configILj256ELj13ELNS0_17block_load_methodE3ELS4_3ELS4_3ELNS0_20block_scan_algorithmE0ELj4294967295EEENS1_25partition_config_selectorILNS1_17partition_subalgoE3EjNS0_10empty_typeEbEEZZNS1_14partition_implILS8_3ELb0ES6_jNS0_17counting_iteratorIjlEEPS9_SE_NS0_5tupleIJPjSE_EEENSF_IJSE_SE_EEES9_SG_JZNS1_25segmented_radix_sort_implINS0_14default_configELb0EPKbPbPKlPlN2at6native12_GLOBAL__N_18offset_tEEE10hipError_tPvRmT1_PNSt15iterator_traitsISY_E10value_typeET2_T3_PNSZ_IS14_E10value_typeET4_jRbjT5_S1A_jjP12ihipStream_tbEUljE_EEESV_SW_SX_S14_S18_S1A_T6_T7_T9_mT8_S1C_bDpT10_ENKUlT_T0_E_clISt17integral_constantIbLb1EES1P_EEDaS1K_S1L_EUlS1K_E_NS1_11comp_targetILNS1_3genE10ELNS1_11target_archE1200ELNS1_3gpuE4ELNS1_3repE0EEENS1_30default_config_static_selectorELNS0_4arch9wavefront6targetE0EEEvSY_.num_named_barrier, 0
	.set _ZN7rocprim17ROCPRIM_400000_NS6detail17trampoline_kernelINS0_13select_configILj256ELj13ELNS0_17block_load_methodE3ELS4_3ELS4_3ELNS0_20block_scan_algorithmE0ELj4294967295EEENS1_25partition_config_selectorILNS1_17partition_subalgoE3EjNS0_10empty_typeEbEEZZNS1_14partition_implILS8_3ELb0ES6_jNS0_17counting_iteratorIjlEEPS9_SE_NS0_5tupleIJPjSE_EEENSF_IJSE_SE_EEES9_SG_JZNS1_25segmented_radix_sort_implINS0_14default_configELb0EPKbPbPKlPlN2at6native12_GLOBAL__N_18offset_tEEE10hipError_tPvRmT1_PNSt15iterator_traitsISY_E10value_typeET2_T3_PNSZ_IS14_E10value_typeET4_jRbjT5_S1A_jjP12ihipStream_tbEUljE_EEESV_SW_SX_S14_S18_S1A_T6_T7_T9_mT8_S1C_bDpT10_ENKUlT_T0_E_clISt17integral_constantIbLb1EES1P_EEDaS1K_S1L_EUlS1K_E_NS1_11comp_targetILNS1_3genE10ELNS1_11target_archE1200ELNS1_3gpuE4ELNS1_3repE0EEENS1_30default_config_static_selectorELNS0_4arch9wavefront6targetE0EEEvSY_.private_seg_size, 0
	.set _ZN7rocprim17ROCPRIM_400000_NS6detail17trampoline_kernelINS0_13select_configILj256ELj13ELNS0_17block_load_methodE3ELS4_3ELS4_3ELNS0_20block_scan_algorithmE0ELj4294967295EEENS1_25partition_config_selectorILNS1_17partition_subalgoE3EjNS0_10empty_typeEbEEZZNS1_14partition_implILS8_3ELb0ES6_jNS0_17counting_iteratorIjlEEPS9_SE_NS0_5tupleIJPjSE_EEENSF_IJSE_SE_EEES9_SG_JZNS1_25segmented_radix_sort_implINS0_14default_configELb0EPKbPbPKlPlN2at6native12_GLOBAL__N_18offset_tEEE10hipError_tPvRmT1_PNSt15iterator_traitsISY_E10value_typeET2_T3_PNSZ_IS14_E10value_typeET4_jRbjT5_S1A_jjP12ihipStream_tbEUljE_EEESV_SW_SX_S14_S18_S1A_T6_T7_T9_mT8_S1C_bDpT10_ENKUlT_T0_E_clISt17integral_constantIbLb1EES1P_EEDaS1K_S1L_EUlS1K_E_NS1_11comp_targetILNS1_3genE10ELNS1_11target_archE1200ELNS1_3gpuE4ELNS1_3repE0EEENS1_30default_config_static_selectorELNS0_4arch9wavefront6targetE0EEEvSY_.uses_vcc, 0
	.set _ZN7rocprim17ROCPRIM_400000_NS6detail17trampoline_kernelINS0_13select_configILj256ELj13ELNS0_17block_load_methodE3ELS4_3ELS4_3ELNS0_20block_scan_algorithmE0ELj4294967295EEENS1_25partition_config_selectorILNS1_17partition_subalgoE3EjNS0_10empty_typeEbEEZZNS1_14partition_implILS8_3ELb0ES6_jNS0_17counting_iteratorIjlEEPS9_SE_NS0_5tupleIJPjSE_EEENSF_IJSE_SE_EEES9_SG_JZNS1_25segmented_radix_sort_implINS0_14default_configELb0EPKbPbPKlPlN2at6native12_GLOBAL__N_18offset_tEEE10hipError_tPvRmT1_PNSt15iterator_traitsISY_E10value_typeET2_T3_PNSZ_IS14_E10value_typeET4_jRbjT5_S1A_jjP12ihipStream_tbEUljE_EEESV_SW_SX_S14_S18_S1A_T6_T7_T9_mT8_S1C_bDpT10_ENKUlT_T0_E_clISt17integral_constantIbLb1EES1P_EEDaS1K_S1L_EUlS1K_E_NS1_11comp_targetILNS1_3genE10ELNS1_11target_archE1200ELNS1_3gpuE4ELNS1_3repE0EEENS1_30default_config_static_selectorELNS0_4arch9wavefront6targetE0EEEvSY_.uses_flat_scratch, 0
	.set _ZN7rocprim17ROCPRIM_400000_NS6detail17trampoline_kernelINS0_13select_configILj256ELj13ELNS0_17block_load_methodE3ELS4_3ELS4_3ELNS0_20block_scan_algorithmE0ELj4294967295EEENS1_25partition_config_selectorILNS1_17partition_subalgoE3EjNS0_10empty_typeEbEEZZNS1_14partition_implILS8_3ELb0ES6_jNS0_17counting_iteratorIjlEEPS9_SE_NS0_5tupleIJPjSE_EEENSF_IJSE_SE_EEES9_SG_JZNS1_25segmented_radix_sort_implINS0_14default_configELb0EPKbPbPKlPlN2at6native12_GLOBAL__N_18offset_tEEE10hipError_tPvRmT1_PNSt15iterator_traitsISY_E10value_typeET2_T3_PNSZ_IS14_E10value_typeET4_jRbjT5_S1A_jjP12ihipStream_tbEUljE_EEESV_SW_SX_S14_S18_S1A_T6_T7_T9_mT8_S1C_bDpT10_ENKUlT_T0_E_clISt17integral_constantIbLb1EES1P_EEDaS1K_S1L_EUlS1K_E_NS1_11comp_targetILNS1_3genE10ELNS1_11target_archE1200ELNS1_3gpuE4ELNS1_3repE0EEENS1_30default_config_static_selectorELNS0_4arch9wavefront6targetE0EEEvSY_.has_dyn_sized_stack, 0
	.set _ZN7rocprim17ROCPRIM_400000_NS6detail17trampoline_kernelINS0_13select_configILj256ELj13ELNS0_17block_load_methodE3ELS4_3ELS4_3ELNS0_20block_scan_algorithmE0ELj4294967295EEENS1_25partition_config_selectorILNS1_17partition_subalgoE3EjNS0_10empty_typeEbEEZZNS1_14partition_implILS8_3ELb0ES6_jNS0_17counting_iteratorIjlEEPS9_SE_NS0_5tupleIJPjSE_EEENSF_IJSE_SE_EEES9_SG_JZNS1_25segmented_radix_sort_implINS0_14default_configELb0EPKbPbPKlPlN2at6native12_GLOBAL__N_18offset_tEEE10hipError_tPvRmT1_PNSt15iterator_traitsISY_E10value_typeET2_T3_PNSZ_IS14_E10value_typeET4_jRbjT5_S1A_jjP12ihipStream_tbEUljE_EEESV_SW_SX_S14_S18_S1A_T6_T7_T9_mT8_S1C_bDpT10_ENKUlT_T0_E_clISt17integral_constantIbLb1EES1P_EEDaS1K_S1L_EUlS1K_E_NS1_11comp_targetILNS1_3genE10ELNS1_11target_archE1200ELNS1_3gpuE4ELNS1_3repE0EEENS1_30default_config_static_selectorELNS0_4arch9wavefront6targetE0EEEvSY_.has_recursion, 0
	.set _ZN7rocprim17ROCPRIM_400000_NS6detail17trampoline_kernelINS0_13select_configILj256ELj13ELNS0_17block_load_methodE3ELS4_3ELS4_3ELNS0_20block_scan_algorithmE0ELj4294967295EEENS1_25partition_config_selectorILNS1_17partition_subalgoE3EjNS0_10empty_typeEbEEZZNS1_14partition_implILS8_3ELb0ES6_jNS0_17counting_iteratorIjlEEPS9_SE_NS0_5tupleIJPjSE_EEENSF_IJSE_SE_EEES9_SG_JZNS1_25segmented_radix_sort_implINS0_14default_configELb0EPKbPbPKlPlN2at6native12_GLOBAL__N_18offset_tEEE10hipError_tPvRmT1_PNSt15iterator_traitsISY_E10value_typeET2_T3_PNSZ_IS14_E10value_typeET4_jRbjT5_S1A_jjP12ihipStream_tbEUljE_EEESV_SW_SX_S14_S18_S1A_T6_T7_T9_mT8_S1C_bDpT10_ENKUlT_T0_E_clISt17integral_constantIbLb1EES1P_EEDaS1K_S1L_EUlS1K_E_NS1_11comp_targetILNS1_3genE10ELNS1_11target_archE1200ELNS1_3gpuE4ELNS1_3repE0EEENS1_30default_config_static_selectorELNS0_4arch9wavefront6targetE0EEEvSY_.has_indirect_call, 0
	.section	.AMDGPU.csdata,"",@progbits
; Kernel info:
; codeLenInByte = 0
; TotalNumSgprs: 0
; NumVgprs: 0
; ScratchSize: 0
; MemoryBound: 0
; FloatMode: 240
; IeeeMode: 1
; LDSByteSize: 0 bytes/workgroup (compile time only)
; SGPRBlocks: 0
; VGPRBlocks: 0
; NumSGPRsForWavesPerEU: 1
; NumVGPRsForWavesPerEU: 1
; Occupancy: 16
; WaveLimiterHint : 0
; COMPUTE_PGM_RSRC2:SCRATCH_EN: 0
; COMPUTE_PGM_RSRC2:USER_SGPR: 6
; COMPUTE_PGM_RSRC2:TRAP_HANDLER: 0
; COMPUTE_PGM_RSRC2:TGID_X_EN: 1
; COMPUTE_PGM_RSRC2:TGID_Y_EN: 0
; COMPUTE_PGM_RSRC2:TGID_Z_EN: 0
; COMPUTE_PGM_RSRC2:TIDIG_COMP_CNT: 0
	.section	.text._ZN7rocprim17ROCPRIM_400000_NS6detail17trampoline_kernelINS0_13select_configILj256ELj13ELNS0_17block_load_methodE3ELS4_3ELS4_3ELNS0_20block_scan_algorithmE0ELj4294967295EEENS1_25partition_config_selectorILNS1_17partition_subalgoE3EjNS0_10empty_typeEbEEZZNS1_14partition_implILS8_3ELb0ES6_jNS0_17counting_iteratorIjlEEPS9_SE_NS0_5tupleIJPjSE_EEENSF_IJSE_SE_EEES9_SG_JZNS1_25segmented_radix_sort_implINS0_14default_configELb0EPKbPbPKlPlN2at6native12_GLOBAL__N_18offset_tEEE10hipError_tPvRmT1_PNSt15iterator_traitsISY_E10value_typeET2_T3_PNSZ_IS14_E10value_typeET4_jRbjT5_S1A_jjP12ihipStream_tbEUljE_EEESV_SW_SX_S14_S18_S1A_T6_T7_T9_mT8_S1C_bDpT10_ENKUlT_T0_E_clISt17integral_constantIbLb1EES1P_EEDaS1K_S1L_EUlS1K_E_NS1_11comp_targetILNS1_3genE9ELNS1_11target_archE1100ELNS1_3gpuE3ELNS1_3repE0EEENS1_30default_config_static_selectorELNS0_4arch9wavefront6targetE0EEEvSY_,"axG",@progbits,_ZN7rocprim17ROCPRIM_400000_NS6detail17trampoline_kernelINS0_13select_configILj256ELj13ELNS0_17block_load_methodE3ELS4_3ELS4_3ELNS0_20block_scan_algorithmE0ELj4294967295EEENS1_25partition_config_selectorILNS1_17partition_subalgoE3EjNS0_10empty_typeEbEEZZNS1_14partition_implILS8_3ELb0ES6_jNS0_17counting_iteratorIjlEEPS9_SE_NS0_5tupleIJPjSE_EEENSF_IJSE_SE_EEES9_SG_JZNS1_25segmented_radix_sort_implINS0_14default_configELb0EPKbPbPKlPlN2at6native12_GLOBAL__N_18offset_tEEE10hipError_tPvRmT1_PNSt15iterator_traitsISY_E10value_typeET2_T3_PNSZ_IS14_E10value_typeET4_jRbjT5_S1A_jjP12ihipStream_tbEUljE_EEESV_SW_SX_S14_S18_S1A_T6_T7_T9_mT8_S1C_bDpT10_ENKUlT_T0_E_clISt17integral_constantIbLb1EES1P_EEDaS1K_S1L_EUlS1K_E_NS1_11comp_targetILNS1_3genE9ELNS1_11target_archE1100ELNS1_3gpuE3ELNS1_3repE0EEENS1_30default_config_static_selectorELNS0_4arch9wavefront6targetE0EEEvSY_,comdat
	.globl	_ZN7rocprim17ROCPRIM_400000_NS6detail17trampoline_kernelINS0_13select_configILj256ELj13ELNS0_17block_load_methodE3ELS4_3ELS4_3ELNS0_20block_scan_algorithmE0ELj4294967295EEENS1_25partition_config_selectorILNS1_17partition_subalgoE3EjNS0_10empty_typeEbEEZZNS1_14partition_implILS8_3ELb0ES6_jNS0_17counting_iteratorIjlEEPS9_SE_NS0_5tupleIJPjSE_EEENSF_IJSE_SE_EEES9_SG_JZNS1_25segmented_radix_sort_implINS0_14default_configELb0EPKbPbPKlPlN2at6native12_GLOBAL__N_18offset_tEEE10hipError_tPvRmT1_PNSt15iterator_traitsISY_E10value_typeET2_T3_PNSZ_IS14_E10value_typeET4_jRbjT5_S1A_jjP12ihipStream_tbEUljE_EEESV_SW_SX_S14_S18_S1A_T6_T7_T9_mT8_S1C_bDpT10_ENKUlT_T0_E_clISt17integral_constantIbLb1EES1P_EEDaS1K_S1L_EUlS1K_E_NS1_11comp_targetILNS1_3genE9ELNS1_11target_archE1100ELNS1_3gpuE3ELNS1_3repE0EEENS1_30default_config_static_selectorELNS0_4arch9wavefront6targetE0EEEvSY_ ; -- Begin function _ZN7rocprim17ROCPRIM_400000_NS6detail17trampoline_kernelINS0_13select_configILj256ELj13ELNS0_17block_load_methodE3ELS4_3ELS4_3ELNS0_20block_scan_algorithmE0ELj4294967295EEENS1_25partition_config_selectorILNS1_17partition_subalgoE3EjNS0_10empty_typeEbEEZZNS1_14partition_implILS8_3ELb0ES6_jNS0_17counting_iteratorIjlEEPS9_SE_NS0_5tupleIJPjSE_EEENSF_IJSE_SE_EEES9_SG_JZNS1_25segmented_radix_sort_implINS0_14default_configELb0EPKbPbPKlPlN2at6native12_GLOBAL__N_18offset_tEEE10hipError_tPvRmT1_PNSt15iterator_traitsISY_E10value_typeET2_T3_PNSZ_IS14_E10value_typeET4_jRbjT5_S1A_jjP12ihipStream_tbEUljE_EEESV_SW_SX_S14_S18_S1A_T6_T7_T9_mT8_S1C_bDpT10_ENKUlT_T0_E_clISt17integral_constantIbLb1EES1P_EEDaS1K_S1L_EUlS1K_E_NS1_11comp_targetILNS1_3genE9ELNS1_11target_archE1100ELNS1_3gpuE3ELNS1_3repE0EEENS1_30default_config_static_selectorELNS0_4arch9wavefront6targetE0EEEvSY_
	.p2align	8
	.type	_ZN7rocprim17ROCPRIM_400000_NS6detail17trampoline_kernelINS0_13select_configILj256ELj13ELNS0_17block_load_methodE3ELS4_3ELS4_3ELNS0_20block_scan_algorithmE0ELj4294967295EEENS1_25partition_config_selectorILNS1_17partition_subalgoE3EjNS0_10empty_typeEbEEZZNS1_14partition_implILS8_3ELb0ES6_jNS0_17counting_iteratorIjlEEPS9_SE_NS0_5tupleIJPjSE_EEENSF_IJSE_SE_EEES9_SG_JZNS1_25segmented_radix_sort_implINS0_14default_configELb0EPKbPbPKlPlN2at6native12_GLOBAL__N_18offset_tEEE10hipError_tPvRmT1_PNSt15iterator_traitsISY_E10value_typeET2_T3_PNSZ_IS14_E10value_typeET4_jRbjT5_S1A_jjP12ihipStream_tbEUljE_EEESV_SW_SX_S14_S18_S1A_T6_T7_T9_mT8_S1C_bDpT10_ENKUlT_T0_E_clISt17integral_constantIbLb1EES1P_EEDaS1K_S1L_EUlS1K_E_NS1_11comp_targetILNS1_3genE9ELNS1_11target_archE1100ELNS1_3gpuE3ELNS1_3repE0EEENS1_30default_config_static_selectorELNS0_4arch9wavefront6targetE0EEEvSY_,@function
_ZN7rocprim17ROCPRIM_400000_NS6detail17trampoline_kernelINS0_13select_configILj256ELj13ELNS0_17block_load_methodE3ELS4_3ELS4_3ELNS0_20block_scan_algorithmE0ELj4294967295EEENS1_25partition_config_selectorILNS1_17partition_subalgoE3EjNS0_10empty_typeEbEEZZNS1_14partition_implILS8_3ELb0ES6_jNS0_17counting_iteratorIjlEEPS9_SE_NS0_5tupleIJPjSE_EEENSF_IJSE_SE_EEES9_SG_JZNS1_25segmented_radix_sort_implINS0_14default_configELb0EPKbPbPKlPlN2at6native12_GLOBAL__N_18offset_tEEE10hipError_tPvRmT1_PNSt15iterator_traitsISY_E10value_typeET2_T3_PNSZ_IS14_E10value_typeET4_jRbjT5_S1A_jjP12ihipStream_tbEUljE_EEESV_SW_SX_S14_S18_S1A_T6_T7_T9_mT8_S1C_bDpT10_ENKUlT_T0_E_clISt17integral_constantIbLb1EES1P_EEDaS1K_S1L_EUlS1K_E_NS1_11comp_targetILNS1_3genE9ELNS1_11target_archE1100ELNS1_3gpuE3ELNS1_3repE0EEENS1_30default_config_static_selectorELNS0_4arch9wavefront6targetE0EEEvSY_: ; @_ZN7rocprim17ROCPRIM_400000_NS6detail17trampoline_kernelINS0_13select_configILj256ELj13ELNS0_17block_load_methodE3ELS4_3ELS4_3ELNS0_20block_scan_algorithmE0ELj4294967295EEENS1_25partition_config_selectorILNS1_17partition_subalgoE3EjNS0_10empty_typeEbEEZZNS1_14partition_implILS8_3ELb0ES6_jNS0_17counting_iteratorIjlEEPS9_SE_NS0_5tupleIJPjSE_EEENSF_IJSE_SE_EEES9_SG_JZNS1_25segmented_radix_sort_implINS0_14default_configELb0EPKbPbPKlPlN2at6native12_GLOBAL__N_18offset_tEEE10hipError_tPvRmT1_PNSt15iterator_traitsISY_E10value_typeET2_T3_PNSZ_IS14_E10value_typeET4_jRbjT5_S1A_jjP12ihipStream_tbEUljE_EEESV_SW_SX_S14_S18_S1A_T6_T7_T9_mT8_S1C_bDpT10_ENKUlT_T0_E_clISt17integral_constantIbLb1EES1P_EEDaS1K_S1L_EUlS1K_E_NS1_11comp_targetILNS1_3genE9ELNS1_11target_archE1100ELNS1_3gpuE3ELNS1_3repE0EEENS1_30default_config_static_selectorELNS0_4arch9wavefront6targetE0EEEvSY_
; %bb.0:
	.section	.rodata,"a",@progbits
	.p2align	6, 0x0
	.amdhsa_kernel _ZN7rocprim17ROCPRIM_400000_NS6detail17trampoline_kernelINS0_13select_configILj256ELj13ELNS0_17block_load_methodE3ELS4_3ELS4_3ELNS0_20block_scan_algorithmE0ELj4294967295EEENS1_25partition_config_selectorILNS1_17partition_subalgoE3EjNS0_10empty_typeEbEEZZNS1_14partition_implILS8_3ELb0ES6_jNS0_17counting_iteratorIjlEEPS9_SE_NS0_5tupleIJPjSE_EEENSF_IJSE_SE_EEES9_SG_JZNS1_25segmented_radix_sort_implINS0_14default_configELb0EPKbPbPKlPlN2at6native12_GLOBAL__N_18offset_tEEE10hipError_tPvRmT1_PNSt15iterator_traitsISY_E10value_typeET2_T3_PNSZ_IS14_E10value_typeET4_jRbjT5_S1A_jjP12ihipStream_tbEUljE_EEESV_SW_SX_S14_S18_S1A_T6_T7_T9_mT8_S1C_bDpT10_ENKUlT_T0_E_clISt17integral_constantIbLb1EES1P_EEDaS1K_S1L_EUlS1K_E_NS1_11comp_targetILNS1_3genE9ELNS1_11target_archE1100ELNS1_3gpuE3ELNS1_3repE0EEENS1_30default_config_static_selectorELNS0_4arch9wavefront6targetE0EEEvSY_
		.amdhsa_group_segment_fixed_size 0
		.amdhsa_private_segment_fixed_size 0
		.amdhsa_kernarg_size 152
		.amdhsa_user_sgpr_count 6
		.amdhsa_user_sgpr_private_segment_buffer 1
		.amdhsa_user_sgpr_dispatch_ptr 0
		.amdhsa_user_sgpr_queue_ptr 0
		.amdhsa_user_sgpr_kernarg_segment_ptr 1
		.amdhsa_user_sgpr_dispatch_id 0
		.amdhsa_user_sgpr_flat_scratch_init 0
		.amdhsa_user_sgpr_private_segment_size 0
		.amdhsa_wavefront_size32 1
		.amdhsa_uses_dynamic_stack 0
		.amdhsa_system_sgpr_private_segment_wavefront_offset 0
		.amdhsa_system_sgpr_workgroup_id_x 1
		.amdhsa_system_sgpr_workgroup_id_y 0
		.amdhsa_system_sgpr_workgroup_id_z 0
		.amdhsa_system_sgpr_workgroup_info 0
		.amdhsa_system_vgpr_workitem_id 0
		.amdhsa_next_free_vgpr 1
		.amdhsa_next_free_sgpr 1
		.amdhsa_reserve_vcc 0
		.amdhsa_reserve_flat_scratch 0
		.amdhsa_float_round_mode_32 0
		.amdhsa_float_round_mode_16_64 0
		.amdhsa_float_denorm_mode_32 3
		.amdhsa_float_denorm_mode_16_64 3
		.amdhsa_dx10_clamp 1
		.amdhsa_ieee_mode 1
		.amdhsa_fp16_overflow 0
		.amdhsa_workgroup_processor_mode 1
		.amdhsa_memory_ordered 1
		.amdhsa_forward_progress 1
		.amdhsa_shared_vgpr_count 0
		.amdhsa_exception_fp_ieee_invalid_op 0
		.amdhsa_exception_fp_denorm_src 0
		.amdhsa_exception_fp_ieee_div_zero 0
		.amdhsa_exception_fp_ieee_overflow 0
		.amdhsa_exception_fp_ieee_underflow 0
		.amdhsa_exception_fp_ieee_inexact 0
		.amdhsa_exception_int_div_zero 0
	.end_amdhsa_kernel
	.section	.text._ZN7rocprim17ROCPRIM_400000_NS6detail17trampoline_kernelINS0_13select_configILj256ELj13ELNS0_17block_load_methodE3ELS4_3ELS4_3ELNS0_20block_scan_algorithmE0ELj4294967295EEENS1_25partition_config_selectorILNS1_17partition_subalgoE3EjNS0_10empty_typeEbEEZZNS1_14partition_implILS8_3ELb0ES6_jNS0_17counting_iteratorIjlEEPS9_SE_NS0_5tupleIJPjSE_EEENSF_IJSE_SE_EEES9_SG_JZNS1_25segmented_radix_sort_implINS0_14default_configELb0EPKbPbPKlPlN2at6native12_GLOBAL__N_18offset_tEEE10hipError_tPvRmT1_PNSt15iterator_traitsISY_E10value_typeET2_T3_PNSZ_IS14_E10value_typeET4_jRbjT5_S1A_jjP12ihipStream_tbEUljE_EEESV_SW_SX_S14_S18_S1A_T6_T7_T9_mT8_S1C_bDpT10_ENKUlT_T0_E_clISt17integral_constantIbLb1EES1P_EEDaS1K_S1L_EUlS1K_E_NS1_11comp_targetILNS1_3genE9ELNS1_11target_archE1100ELNS1_3gpuE3ELNS1_3repE0EEENS1_30default_config_static_selectorELNS0_4arch9wavefront6targetE0EEEvSY_,"axG",@progbits,_ZN7rocprim17ROCPRIM_400000_NS6detail17trampoline_kernelINS0_13select_configILj256ELj13ELNS0_17block_load_methodE3ELS4_3ELS4_3ELNS0_20block_scan_algorithmE0ELj4294967295EEENS1_25partition_config_selectorILNS1_17partition_subalgoE3EjNS0_10empty_typeEbEEZZNS1_14partition_implILS8_3ELb0ES6_jNS0_17counting_iteratorIjlEEPS9_SE_NS0_5tupleIJPjSE_EEENSF_IJSE_SE_EEES9_SG_JZNS1_25segmented_radix_sort_implINS0_14default_configELb0EPKbPbPKlPlN2at6native12_GLOBAL__N_18offset_tEEE10hipError_tPvRmT1_PNSt15iterator_traitsISY_E10value_typeET2_T3_PNSZ_IS14_E10value_typeET4_jRbjT5_S1A_jjP12ihipStream_tbEUljE_EEESV_SW_SX_S14_S18_S1A_T6_T7_T9_mT8_S1C_bDpT10_ENKUlT_T0_E_clISt17integral_constantIbLb1EES1P_EEDaS1K_S1L_EUlS1K_E_NS1_11comp_targetILNS1_3genE9ELNS1_11target_archE1100ELNS1_3gpuE3ELNS1_3repE0EEENS1_30default_config_static_selectorELNS0_4arch9wavefront6targetE0EEEvSY_,comdat
.Lfunc_end1608:
	.size	_ZN7rocprim17ROCPRIM_400000_NS6detail17trampoline_kernelINS0_13select_configILj256ELj13ELNS0_17block_load_methodE3ELS4_3ELS4_3ELNS0_20block_scan_algorithmE0ELj4294967295EEENS1_25partition_config_selectorILNS1_17partition_subalgoE3EjNS0_10empty_typeEbEEZZNS1_14partition_implILS8_3ELb0ES6_jNS0_17counting_iteratorIjlEEPS9_SE_NS0_5tupleIJPjSE_EEENSF_IJSE_SE_EEES9_SG_JZNS1_25segmented_radix_sort_implINS0_14default_configELb0EPKbPbPKlPlN2at6native12_GLOBAL__N_18offset_tEEE10hipError_tPvRmT1_PNSt15iterator_traitsISY_E10value_typeET2_T3_PNSZ_IS14_E10value_typeET4_jRbjT5_S1A_jjP12ihipStream_tbEUljE_EEESV_SW_SX_S14_S18_S1A_T6_T7_T9_mT8_S1C_bDpT10_ENKUlT_T0_E_clISt17integral_constantIbLb1EES1P_EEDaS1K_S1L_EUlS1K_E_NS1_11comp_targetILNS1_3genE9ELNS1_11target_archE1100ELNS1_3gpuE3ELNS1_3repE0EEENS1_30default_config_static_selectorELNS0_4arch9wavefront6targetE0EEEvSY_, .Lfunc_end1608-_ZN7rocprim17ROCPRIM_400000_NS6detail17trampoline_kernelINS0_13select_configILj256ELj13ELNS0_17block_load_methodE3ELS4_3ELS4_3ELNS0_20block_scan_algorithmE0ELj4294967295EEENS1_25partition_config_selectorILNS1_17partition_subalgoE3EjNS0_10empty_typeEbEEZZNS1_14partition_implILS8_3ELb0ES6_jNS0_17counting_iteratorIjlEEPS9_SE_NS0_5tupleIJPjSE_EEENSF_IJSE_SE_EEES9_SG_JZNS1_25segmented_radix_sort_implINS0_14default_configELb0EPKbPbPKlPlN2at6native12_GLOBAL__N_18offset_tEEE10hipError_tPvRmT1_PNSt15iterator_traitsISY_E10value_typeET2_T3_PNSZ_IS14_E10value_typeET4_jRbjT5_S1A_jjP12ihipStream_tbEUljE_EEESV_SW_SX_S14_S18_S1A_T6_T7_T9_mT8_S1C_bDpT10_ENKUlT_T0_E_clISt17integral_constantIbLb1EES1P_EEDaS1K_S1L_EUlS1K_E_NS1_11comp_targetILNS1_3genE9ELNS1_11target_archE1100ELNS1_3gpuE3ELNS1_3repE0EEENS1_30default_config_static_selectorELNS0_4arch9wavefront6targetE0EEEvSY_
                                        ; -- End function
	.set _ZN7rocprim17ROCPRIM_400000_NS6detail17trampoline_kernelINS0_13select_configILj256ELj13ELNS0_17block_load_methodE3ELS4_3ELS4_3ELNS0_20block_scan_algorithmE0ELj4294967295EEENS1_25partition_config_selectorILNS1_17partition_subalgoE3EjNS0_10empty_typeEbEEZZNS1_14partition_implILS8_3ELb0ES6_jNS0_17counting_iteratorIjlEEPS9_SE_NS0_5tupleIJPjSE_EEENSF_IJSE_SE_EEES9_SG_JZNS1_25segmented_radix_sort_implINS0_14default_configELb0EPKbPbPKlPlN2at6native12_GLOBAL__N_18offset_tEEE10hipError_tPvRmT1_PNSt15iterator_traitsISY_E10value_typeET2_T3_PNSZ_IS14_E10value_typeET4_jRbjT5_S1A_jjP12ihipStream_tbEUljE_EEESV_SW_SX_S14_S18_S1A_T6_T7_T9_mT8_S1C_bDpT10_ENKUlT_T0_E_clISt17integral_constantIbLb1EES1P_EEDaS1K_S1L_EUlS1K_E_NS1_11comp_targetILNS1_3genE9ELNS1_11target_archE1100ELNS1_3gpuE3ELNS1_3repE0EEENS1_30default_config_static_selectorELNS0_4arch9wavefront6targetE0EEEvSY_.num_vgpr, 0
	.set _ZN7rocprim17ROCPRIM_400000_NS6detail17trampoline_kernelINS0_13select_configILj256ELj13ELNS0_17block_load_methodE3ELS4_3ELS4_3ELNS0_20block_scan_algorithmE0ELj4294967295EEENS1_25partition_config_selectorILNS1_17partition_subalgoE3EjNS0_10empty_typeEbEEZZNS1_14partition_implILS8_3ELb0ES6_jNS0_17counting_iteratorIjlEEPS9_SE_NS0_5tupleIJPjSE_EEENSF_IJSE_SE_EEES9_SG_JZNS1_25segmented_radix_sort_implINS0_14default_configELb0EPKbPbPKlPlN2at6native12_GLOBAL__N_18offset_tEEE10hipError_tPvRmT1_PNSt15iterator_traitsISY_E10value_typeET2_T3_PNSZ_IS14_E10value_typeET4_jRbjT5_S1A_jjP12ihipStream_tbEUljE_EEESV_SW_SX_S14_S18_S1A_T6_T7_T9_mT8_S1C_bDpT10_ENKUlT_T0_E_clISt17integral_constantIbLb1EES1P_EEDaS1K_S1L_EUlS1K_E_NS1_11comp_targetILNS1_3genE9ELNS1_11target_archE1100ELNS1_3gpuE3ELNS1_3repE0EEENS1_30default_config_static_selectorELNS0_4arch9wavefront6targetE0EEEvSY_.num_agpr, 0
	.set _ZN7rocprim17ROCPRIM_400000_NS6detail17trampoline_kernelINS0_13select_configILj256ELj13ELNS0_17block_load_methodE3ELS4_3ELS4_3ELNS0_20block_scan_algorithmE0ELj4294967295EEENS1_25partition_config_selectorILNS1_17partition_subalgoE3EjNS0_10empty_typeEbEEZZNS1_14partition_implILS8_3ELb0ES6_jNS0_17counting_iteratorIjlEEPS9_SE_NS0_5tupleIJPjSE_EEENSF_IJSE_SE_EEES9_SG_JZNS1_25segmented_radix_sort_implINS0_14default_configELb0EPKbPbPKlPlN2at6native12_GLOBAL__N_18offset_tEEE10hipError_tPvRmT1_PNSt15iterator_traitsISY_E10value_typeET2_T3_PNSZ_IS14_E10value_typeET4_jRbjT5_S1A_jjP12ihipStream_tbEUljE_EEESV_SW_SX_S14_S18_S1A_T6_T7_T9_mT8_S1C_bDpT10_ENKUlT_T0_E_clISt17integral_constantIbLb1EES1P_EEDaS1K_S1L_EUlS1K_E_NS1_11comp_targetILNS1_3genE9ELNS1_11target_archE1100ELNS1_3gpuE3ELNS1_3repE0EEENS1_30default_config_static_selectorELNS0_4arch9wavefront6targetE0EEEvSY_.numbered_sgpr, 0
	.set _ZN7rocprim17ROCPRIM_400000_NS6detail17trampoline_kernelINS0_13select_configILj256ELj13ELNS0_17block_load_methodE3ELS4_3ELS4_3ELNS0_20block_scan_algorithmE0ELj4294967295EEENS1_25partition_config_selectorILNS1_17partition_subalgoE3EjNS0_10empty_typeEbEEZZNS1_14partition_implILS8_3ELb0ES6_jNS0_17counting_iteratorIjlEEPS9_SE_NS0_5tupleIJPjSE_EEENSF_IJSE_SE_EEES9_SG_JZNS1_25segmented_radix_sort_implINS0_14default_configELb0EPKbPbPKlPlN2at6native12_GLOBAL__N_18offset_tEEE10hipError_tPvRmT1_PNSt15iterator_traitsISY_E10value_typeET2_T3_PNSZ_IS14_E10value_typeET4_jRbjT5_S1A_jjP12ihipStream_tbEUljE_EEESV_SW_SX_S14_S18_S1A_T6_T7_T9_mT8_S1C_bDpT10_ENKUlT_T0_E_clISt17integral_constantIbLb1EES1P_EEDaS1K_S1L_EUlS1K_E_NS1_11comp_targetILNS1_3genE9ELNS1_11target_archE1100ELNS1_3gpuE3ELNS1_3repE0EEENS1_30default_config_static_selectorELNS0_4arch9wavefront6targetE0EEEvSY_.num_named_barrier, 0
	.set _ZN7rocprim17ROCPRIM_400000_NS6detail17trampoline_kernelINS0_13select_configILj256ELj13ELNS0_17block_load_methodE3ELS4_3ELS4_3ELNS0_20block_scan_algorithmE0ELj4294967295EEENS1_25partition_config_selectorILNS1_17partition_subalgoE3EjNS0_10empty_typeEbEEZZNS1_14partition_implILS8_3ELb0ES6_jNS0_17counting_iteratorIjlEEPS9_SE_NS0_5tupleIJPjSE_EEENSF_IJSE_SE_EEES9_SG_JZNS1_25segmented_radix_sort_implINS0_14default_configELb0EPKbPbPKlPlN2at6native12_GLOBAL__N_18offset_tEEE10hipError_tPvRmT1_PNSt15iterator_traitsISY_E10value_typeET2_T3_PNSZ_IS14_E10value_typeET4_jRbjT5_S1A_jjP12ihipStream_tbEUljE_EEESV_SW_SX_S14_S18_S1A_T6_T7_T9_mT8_S1C_bDpT10_ENKUlT_T0_E_clISt17integral_constantIbLb1EES1P_EEDaS1K_S1L_EUlS1K_E_NS1_11comp_targetILNS1_3genE9ELNS1_11target_archE1100ELNS1_3gpuE3ELNS1_3repE0EEENS1_30default_config_static_selectorELNS0_4arch9wavefront6targetE0EEEvSY_.private_seg_size, 0
	.set _ZN7rocprim17ROCPRIM_400000_NS6detail17trampoline_kernelINS0_13select_configILj256ELj13ELNS0_17block_load_methodE3ELS4_3ELS4_3ELNS0_20block_scan_algorithmE0ELj4294967295EEENS1_25partition_config_selectorILNS1_17partition_subalgoE3EjNS0_10empty_typeEbEEZZNS1_14partition_implILS8_3ELb0ES6_jNS0_17counting_iteratorIjlEEPS9_SE_NS0_5tupleIJPjSE_EEENSF_IJSE_SE_EEES9_SG_JZNS1_25segmented_radix_sort_implINS0_14default_configELb0EPKbPbPKlPlN2at6native12_GLOBAL__N_18offset_tEEE10hipError_tPvRmT1_PNSt15iterator_traitsISY_E10value_typeET2_T3_PNSZ_IS14_E10value_typeET4_jRbjT5_S1A_jjP12ihipStream_tbEUljE_EEESV_SW_SX_S14_S18_S1A_T6_T7_T9_mT8_S1C_bDpT10_ENKUlT_T0_E_clISt17integral_constantIbLb1EES1P_EEDaS1K_S1L_EUlS1K_E_NS1_11comp_targetILNS1_3genE9ELNS1_11target_archE1100ELNS1_3gpuE3ELNS1_3repE0EEENS1_30default_config_static_selectorELNS0_4arch9wavefront6targetE0EEEvSY_.uses_vcc, 0
	.set _ZN7rocprim17ROCPRIM_400000_NS6detail17trampoline_kernelINS0_13select_configILj256ELj13ELNS0_17block_load_methodE3ELS4_3ELS4_3ELNS0_20block_scan_algorithmE0ELj4294967295EEENS1_25partition_config_selectorILNS1_17partition_subalgoE3EjNS0_10empty_typeEbEEZZNS1_14partition_implILS8_3ELb0ES6_jNS0_17counting_iteratorIjlEEPS9_SE_NS0_5tupleIJPjSE_EEENSF_IJSE_SE_EEES9_SG_JZNS1_25segmented_radix_sort_implINS0_14default_configELb0EPKbPbPKlPlN2at6native12_GLOBAL__N_18offset_tEEE10hipError_tPvRmT1_PNSt15iterator_traitsISY_E10value_typeET2_T3_PNSZ_IS14_E10value_typeET4_jRbjT5_S1A_jjP12ihipStream_tbEUljE_EEESV_SW_SX_S14_S18_S1A_T6_T7_T9_mT8_S1C_bDpT10_ENKUlT_T0_E_clISt17integral_constantIbLb1EES1P_EEDaS1K_S1L_EUlS1K_E_NS1_11comp_targetILNS1_3genE9ELNS1_11target_archE1100ELNS1_3gpuE3ELNS1_3repE0EEENS1_30default_config_static_selectorELNS0_4arch9wavefront6targetE0EEEvSY_.uses_flat_scratch, 0
	.set _ZN7rocprim17ROCPRIM_400000_NS6detail17trampoline_kernelINS0_13select_configILj256ELj13ELNS0_17block_load_methodE3ELS4_3ELS4_3ELNS0_20block_scan_algorithmE0ELj4294967295EEENS1_25partition_config_selectorILNS1_17partition_subalgoE3EjNS0_10empty_typeEbEEZZNS1_14partition_implILS8_3ELb0ES6_jNS0_17counting_iteratorIjlEEPS9_SE_NS0_5tupleIJPjSE_EEENSF_IJSE_SE_EEES9_SG_JZNS1_25segmented_radix_sort_implINS0_14default_configELb0EPKbPbPKlPlN2at6native12_GLOBAL__N_18offset_tEEE10hipError_tPvRmT1_PNSt15iterator_traitsISY_E10value_typeET2_T3_PNSZ_IS14_E10value_typeET4_jRbjT5_S1A_jjP12ihipStream_tbEUljE_EEESV_SW_SX_S14_S18_S1A_T6_T7_T9_mT8_S1C_bDpT10_ENKUlT_T0_E_clISt17integral_constantIbLb1EES1P_EEDaS1K_S1L_EUlS1K_E_NS1_11comp_targetILNS1_3genE9ELNS1_11target_archE1100ELNS1_3gpuE3ELNS1_3repE0EEENS1_30default_config_static_selectorELNS0_4arch9wavefront6targetE0EEEvSY_.has_dyn_sized_stack, 0
	.set _ZN7rocprim17ROCPRIM_400000_NS6detail17trampoline_kernelINS0_13select_configILj256ELj13ELNS0_17block_load_methodE3ELS4_3ELS4_3ELNS0_20block_scan_algorithmE0ELj4294967295EEENS1_25partition_config_selectorILNS1_17partition_subalgoE3EjNS0_10empty_typeEbEEZZNS1_14partition_implILS8_3ELb0ES6_jNS0_17counting_iteratorIjlEEPS9_SE_NS0_5tupleIJPjSE_EEENSF_IJSE_SE_EEES9_SG_JZNS1_25segmented_radix_sort_implINS0_14default_configELb0EPKbPbPKlPlN2at6native12_GLOBAL__N_18offset_tEEE10hipError_tPvRmT1_PNSt15iterator_traitsISY_E10value_typeET2_T3_PNSZ_IS14_E10value_typeET4_jRbjT5_S1A_jjP12ihipStream_tbEUljE_EEESV_SW_SX_S14_S18_S1A_T6_T7_T9_mT8_S1C_bDpT10_ENKUlT_T0_E_clISt17integral_constantIbLb1EES1P_EEDaS1K_S1L_EUlS1K_E_NS1_11comp_targetILNS1_3genE9ELNS1_11target_archE1100ELNS1_3gpuE3ELNS1_3repE0EEENS1_30default_config_static_selectorELNS0_4arch9wavefront6targetE0EEEvSY_.has_recursion, 0
	.set _ZN7rocprim17ROCPRIM_400000_NS6detail17trampoline_kernelINS0_13select_configILj256ELj13ELNS0_17block_load_methodE3ELS4_3ELS4_3ELNS0_20block_scan_algorithmE0ELj4294967295EEENS1_25partition_config_selectorILNS1_17partition_subalgoE3EjNS0_10empty_typeEbEEZZNS1_14partition_implILS8_3ELb0ES6_jNS0_17counting_iteratorIjlEEPS9_SE_NS0_5tupleIJPjSE_EEENSF_IJSE_SE_EEES9_SG_JZNS1_25segmented_radix_sort_implINS0_14default_configELb0EPKbPbPKlPlN2at6native12_GLOBAL__N_18offset_tEEE10hipError_tPvRmT1_PNSt15iterator_traitsISY_E10value_typeET2_T3_PNSZ_IS14_E10value_typeET4_jRbjT5_S1A_jjP12ihipStream_tbEUljE_EEESV_SW_SX_S14_S18_S1A_T6_T7_T9_mT8_S1C_bDpT10_ENKUlT_T0_E_clISt17integral_constantIbLb1EES1P_EEDaS1K_S1L_EUlS1K_E_NS1_11comp_targetILNS1_3genE9ELNS1_11target_archE1100ELNS1_3gpuE3ELNS1_3repE0EEENS1_30default_config_static_selectorELNS0_4arch9wavefront6targetE0EEEvSY_.has_indirect_call, 0
	.section	.AMDGPU.csdata,"",@progbits
; Kernel info:
; codeLenInByte = 0
; TotalNumSgprs: 0
; NumVgprs: 0
; ScratchSize: 0
; MemoryBound: 0
; FloatMode: 240
; IeeeMode: 1
; LDSByteSize: 0 bytes/workgroup (compile time only)
; SGPRBlocks: 0
; VGPRBlocks: 0
; NumSGPRsForWavesPerEU: 1
; NumVGPRsForWavesPerEU: 1
; Occupancy: 16
; WaveLimiterHint : 0
; COMPUTE_PGM_RSRC2:SCRATCH_EN: 0
; COMPUTE_PGM_RSRC2:USER_SGPR: 6
; COMPUTE_PGM_RSRC2:TRAP_HANDLER: 0
; COMPUTE_PGM_RSRC2:TGID_X_EN: 1
; COMPUTE_PGM_RSRC2:TGID_Y_EN: 0
; COMPUTE_PGM_RSRC2:TGID_Z_EN: 0
; COMPUTE_PGM_RSRC2:TIDIG_COMP_CNT: 0
	.section	.text._ZN7rocprim17ROCPRIM_400000_NS6detail17trampoline_kernelINS0_13select_configILj256ELj13ELNS0_17block_load_methodE3ELS4_3ELS4_3ELNS0_20block_scan_algorithmE0ELj4294967295EEENS1_25partition_config_selectorILNS1_17partition_subalgoE3EjNS0_10empty_typeEbEEZZNS1_14partition_implILS8_3ELb0ES6_jNS0_17counting_iteratorIjlEEPS9_SE_NS0_5tupleIJPjSE_EEENSF_IJSE_SE_EEES9_SG_JZNS1_25segmented_radix_sort_implINS0_14default_configELb0EPKbPbPKlPlN2at6native12_GLOBAL__N_18offset_tEEE10hipError_tPvRmT1_PNSt15iterator_traitsISY_E10value_typeET2_T3_PNSZ_IS14_E10value_typeET4_jRbjT5_S1A_jjP12ihipStream_tbEUljE_EEESV_SW_SX_S14_S18_S1A_T6_T7_T9_mT8_S1C_bDpT10_ENKUlT_T0_E_clISt17integral_constantIbLb1EES1P_EEDaS1K_S1L_EUlS1K_E_NS1_11comp_targetILNS1_3genE8ELNS1_11target_archE1030ELNS1_3gpuE2ELNS1_3repE0EEENS1_30default_config_static_selectorELNS0_4arch9wavefront6targetE0EEEvSY_,"axG",@progbits,_ZN7rocprim17ROCPRIM_400000_NS6detail17trampoline_kernelINS0_13select_configILj256ELj13ELNS0_17block_load_methodE3ELS4_3ELS4_3ELNS0_20block_scan_algorithmE0ELj4294967295EEENS1_25partition_config_selectorILNS1_17partition_subalgoE3EjNS0_10empty_typeEbEEZZNS1_14partition_implILS8_3ELb0ES6_jNS0_17counting_iteratorIjlEEPS9_SE_NS0_5tupleIJPjSE_EEENSF_IJSE_SE_EEES9_SG_JZNS1_25segmented_radix_sort_implINS0_14default_configELb0EPKbPbPKlPlN2at6native12_GLOBAL__N_18offset_tEEE10hipError_tPvRmT1_PNSt15iterator_traitsISY_E10value_typeET2_T3_PNSZ_IS14_E10value_typeET4_jRbjT5_S1A_jjP12ihipStream_tbEUljE_EEESV_SW_SX_S14_S18_S1A_T6_T7_T9_mT8_S1C_bDpT10_ENKUlT_T0_E_clISt17integral_constantIbLb1EES1P_EEDaS1K_S1L_EUlS1K_E_NS1_11comp_targetILNS1_3genE8ELNS1_11target_archE1030ELNS1_3gpuE2ELNS1_3repE0EEENS1_30default_config_static_selectorELNS0_4arch9wavefront6targetE0EEEvSY_,comdat
	.globl	_ZN7rocprim17ROCPRIM_400000_NS6detail17trampoline_kernelINS0_13select_configILj256ELj13ELNS0_17block_load_methodE3ELS4_3ELS4_3ELNS0_20block_scan_algorithmE0ELj4294967295EEENS1_25partition_config_selectorILNS1_17partition_subalgoE3EjNS0_10empty_typeEbEEZZNS1_14partition_implILS8_3ELb0ES6_jNS0_17counting_iteratorIjlEEPS9_SE_NS0_5tupleIJPjSE_EEENSF_IJSE_SE_EEES9_SG_JZNS1_25segmented_radix_sort_implINS0_14default_configELb0EPKbPbPKlPlN2at6native12_GLOBAL__N_18offset_tEEE10hipError_tPvRmT1_PNSt15iterator_traitsISY_E10value_typeET2_T3_PNSZ_IS14_E10value_typeET4_jRbjT5_S1A_jjP12ihipStream_tbEUljE_EEESV_SW_SX_S14_S18_S1A_T6_T7_T9_mT8_S1C_bDpT10_ENKUlT_T0_E_clISt17integral_constantIbLb1EES1P_EEDaS1K_S1L_EUlS1K_E_NS1_11comp_targetILNS1_3genE8ELNS1_11target_archE1030ELNS1_3gpuE2ELNS1_3repE0EEENS1_30default_config_static_selectorELNS0_4arch9wavefront6targetE0EEEvSY_ ; -- Begin function _ZN7rocprim17ROCPRIM_400000_NS6detail17trampoline_kernelINS0_13select_configILj256ELj13ELNS0_17block_load_methodE3ELS4_3ELS4_3ELNS0_20block_scan_algorithmE0ELj4294967295EEENS1_25partition_config_selectorILNS1_17partition_subalgoE3EjNS0_10empty_typeEbEEZZNS1_14partition_implILS8_3ELb0ES6_jNS0_17counting_iteratorIjlEEPS9_SE_NS0_5tupleIJPjSE_EEENSF_IJSE_SE_EEES9_SG_JZNS1_25segmented_radix_sort_implINS0_14default_configELb0EPKbPbPKlPlN2at6native12_GLOBAL__N_18offset_tEEE10hipError_tPvRmT1_PNSt15iterator_traitsISY_E10value_typeET2_T3_PNSZ_IS14_E10value_typeET4_jRbjT5_S1A_jjP12ihipStream_tbEUljE_EEESV_SW_SX_S14_S18_S1A_T6_T7_T9_mT8_S1C_bDpT10_ENKUlT_T0_E_clISt17integral_constantIbLb1EES1P_EEDaS1K_S1L_EUlS1K_E_NS1_11comp_targetILNS1_3genE8ELNS1_11target_archE1030ELNS1_3gpuE2ELNS1_3repE0EEENS1_30default_config_static_selectorELNS0_4arch9wavefront6targetE0EEEvSY_
	.p2align	8
	.type	_ZN7rocprim17ROCPRIM_400000_NS6detail17trampoline_kernelINS0_13select_configILj256ELj13ELNS0_17block_load_methodE3ELS4_3ELS4_3ELNS0_20block_scan_algorithmE0ELj4294967295EEENS1_25partition_config_selectorILNS1_17partition_subalgoE3EjNS0_10empty_typeEbEEZZNS1_14partition_implILS8_3ELb0ES6_jNS0_17counting_iteratorIjlEEPS9_SE_NS0_5tupleIJPjSE_EEENSF_IJSE_SE_EEES9_SG_JZNS1_25segmented_radix_sort_implINS0_14default_configELb0EPKbPbPKlPlN2at6native12_GLOBAL__N_18offset_tEEE10hipError_tPvRmT1_PNSt15iterator_traitsISY_E10value_typeET2_T3_PNSZ_IS14_E10value_typeET4_jRbjT5_S1A_jjP12ihipStream_tbEUljE_EEESV_SW_SX_S14_S18_S1A_T6_T7_T9_mT8_S1C_bDpT10_ENKUlT_T0_E_clISt17integral_constantIbLb1EES1P_EEDaS1K_S1L_EUlS1K_E_NS1_11comp_targetILNS1_3genE8ELNS1_11target_archE1030ELNS1_3gpuE2ELNS1_3repE0EEENS1_30default_config_static_selectorELNS0_4arch9wavefront6targetE0EEEvSY_,@function
_ZN7rocprim17ROCPRIM_400000_NS6detail17trampoline_kernelINS0_13select_configILj256ELj13ELNS0_17block_load_methodE3ELS4_3ELS4_3ELNS0_20block_scan_algorithmE0ELj4294967295EEENS1_25partition_config_selectorILNS1_17partition_subalgoE3EjNS0_10empty_typeEbEEZZNS1_14partition_implILS8_3ELb0ES6_jNS0_17counting_iteratorIjlEEPS9_SE_NS0_5tupleIJPjSE_EEENSF_IJSE_SE_EEES9_SG_JZNS1_25segmented_radix_sort_implINS0_14default_configELb0EPKbPbPKlPlN2at6native12_GLOBAL__N_18offset_tEEE10hipError_tPvRmT1_PNSt15iterator_traitsISY_E10value_typeET2_T3_PNSZ_IS14_E10value_typeET4_jRbjT5_S1A_jjP12ihipStream_tbEUljE_EEESV_SW_SX_S14_S18_S1A_T6_T7_T9_mT8_S1C_bDpT10_ENKUlT_T0_E_clISt17integral_constantIbLb1EES1P_EEDaS1K_S1L_EUlS1K_E_NS1_11comp_targetILNS1_3genE8ELNS1_11target_archE1030ELNS1_3gpuE2ELNS1_3repE0EEENS1_30default_config_static_selectorELNS0_4arch9wavefront6targetE0EEEvSY_: ; @_ZN7rocprim17ROCPRIM_400000_NS6detail17trampoline_kernelINS0_13select_configILj256ELj13ELNS0_17block_load_methodE3ELS4_3ELS4_3ELNS0_20block_scan_algorithmE0ELj4294967295EEENS1_25partition_config_selectorILNS1_17partition_subalgoE3EjNS0_10empty_typeEbEEZZNS1_14partition_implILS8_3ELb0ES6_jNS0_17counting_iteratorIjlEEPS9_SE_NS0_5tupleIJPjSE_EEENSF_IJSE_SE_EEES9_SG_JZNS1_25segmented_radix_sort_implINS0_14default_configELb0EPKbPbPKlPlN2at6native12_GLOBAL__N_18offset_tEEE10hipError_tPvRmT1_PNSt15iterator_traitsISY_E10value_typeET2_T3_PNSZ_IS14_E10value_typeET4_jRbjT5_S1A_jjP12ihipStream_tbEUljE_EEESV_SW_SX_S14_S18_S1A_T6_T7_T9_mT8_S1C_bDpT10_ENKUlT_T0_E_clISt17integral_constantIbLb1EES1P_EEDaS1K_S1L_EUlS1K_E_NS1_11comp_targetILNS1_3genE8ELNS1_11target_archE1030ELNS1_3gpuE2ELNS1_3repE0EEENS1_30default_config_static_selectorELNS0_4arch9wavefront6targetE0EEEvSY_
; %bb.0:
	s_endpgm
	.section	.rodata,"a",@progbits
	.p2align	6, 0x0
	.amdhsa_kernel _ZN7rocprim17ROCPRIM_400000_NS6detail17trampoline_kernelINS0_13select_configILj256ELj13ELNS0_17block_load_methodE3ELS4_3ELS4_3ELNS0_20block_scan_algorithmE0ELj4294967295EEENS1_25partition_config_selectorILNS1_17partition_subalgoE3EjNS0_10empty_typeEbEEZZNS1_14partition_implILS8_3ELb0ES6_jNS0_17counting_iteratorIjlEEPS9_SE_NS0_5tupleIJPjSE_EEENSF_IJSE_SE_EEES9_SG_JZNS1_25segmented_radix_sort_implINS0_14default_configELb0EPKbPbPKlPlN2at6native12_GLOBAL__N_18offset_tEEE10hipError_tPvRmT1_PNSt15iterator_traitsISY_E10value_typeET2_T3_PNSZ_IS14_E10value_typeET4_jRbjT5_S1A_jjP12ihipStream_tbEUljE_EEESV_SW_SX_S14_S18_S1A_T6_T7_T9_mT8_S1C_bDpT10_ENKUlT_T0_E_clISt17integral_constantIbLb1EES1P_EEDaS1K_S1L_EUlS1K_E_NS1_11comp_targetILNS1_3genE8ELNS1_11target_archE1030ELNS1_3gpuE2ELNS1_3repE0EEENS1_30default_config_static_selectorELNS0_4arch9wavefront6targetE0EEEvSY_
		.amdhsa_group_segment_fixed_size 0
		.amdhsa_private_segment_fixed_size 0
		.amdhsa_kernarg_size 152
		.amdhsa_user_sgpr_count 6
		.amdhsa_user_sgpr_private_segment_buffer 1
		.amdhsa_user_sgpr_dispatch_ptr 0
		.amdhsa_user_sgpr_queue_ptr 0
		.amdhsa_user_sgpr_kernarg_segment_ptr 1
		.amdhsa_user_sgpr_dispatch_id 0
		.amdhsa_user_sgpr_flat_scratch_init 0
		.amdhsa_user_sgpr_private_segment_size 0
		.amdhsa_wavefront_size32 1
		.amdhsa_uses_dynamic_stack 0
		.amdhsa_system_sgpr_private_segment_wavefront_offset 0
		.amdhsa_system_sgpr_workgroup_id_x 1
		.amdhsa_system_sgpr_workgroup_id_y 0
		.amdhsa_system_sgpr_workgroup_id_z 0
		.amdhsa_system_sgpr_workgroup_info 0
		.amdhsa_system_vgpr_workitem_id 0
		.amdhsa_next_free_vgpr 1
		.amdhsa_next_free_sgpr 1
		.amdhsa_reserve_vcc 0
		.amdhsa_reserve_flat_scratch 0
		.amdhsa_float_round_mode_32 0
		.amdhsa_float_round_mode_16_64 0
		.amdhsa_float_denorm_mode_32 3
		.amdhsa_float_denorm_mode_16_64 3
		.amdhsa_dx10_clamp 1
		.amdhsa_ieee_mode 1
		.amdhsa_fp16_overflow 0
		.amdhsa_workgroup_processor_mode 1
		.amdhsa_memory_ordered 1
		.amdhsa_forward_progress 1
		.amdhsa_shared_vgpr_count 0
		.amdhsa_exception_fp_ieee_invalid_op 0
		.amdhsa_exception_fp_denorm_src 0
		.amdhsa_exception_fp_ieee_div_zero 0
		.amdhsa_exception_fp_ieee_overflow 0
		.amdhsa_exception_fp_ieee_underflow 0
		.amdhsa_exception_fp_ieee_inexact 0
		.amdhsa_exception_int_div_zero 0
	.end_amdhsa_kernel
	.section	.text._ZN7rocprim17ROCPRIM_400000_NS6detail17trampoline_kernelINS0_13select_configILj256ELj13ELNS0_17block_load_methodE3ELS4_3ELS4_3ELNS0_20block_scan_algorithmE0ELj4294967295EEENS1_25partition_config_selectorILNS1_17partition_subalgoE3EjNS0_10empty_typeEbEEZZNS1_14partition_implILS8_3ELb0ES6_jNS0_17counting_iteratorIjlEEPS9_SE_NS0_5tupleIJPjSE_EEENSF_IJSE_SE_EEES9_SG_JZNS1_25segmented_radix_sort_implINS0_14default_configELb0EPKbPbPKlPlN2at6native12_GLOBAL__N_18offset_tEEE10hipError_tPvRmT1_PNSt15iterator_traitsISY_E10value_typeET2_T3_PNSZ_IS14_E10value_typeET4_jRbjT5_S1A_jjP12ihipStream_tbEUljE_EEESV_SW_SX_S14_S18_S1A_T6_T7_T9_mT8_S1C_bDpT10_ENKUlT_T0_E_clISt17integral_constantIbLb1EES1P_EEDaS1K_S1L_EUlS1K_E_NS1_11comp_targetILNS1_3genE8ELNS1_11target_archE1030ELNS1_3gpuE2ELNS1_3repE0EEENS1_30default_config_static_selectorELNS0_4arch9wavefront6targetE0EEEvSY_,"axG",@progbits,_ZN7rocprim17ROCPRIM_400000_NS6detail17trampoline_kernelINS0_13select_configILj256ELj13ELNS0_17block_load_methodE3ELS4_3ELS4_3ELNS0_20block_scan_algorithmE0ELj4294967295EEENS1_25partition_config_selectorILNS1_17partition_subalgoE3EjNS0_10empty_typeEbEEZZNS1_14partition_implILS8_3ELb0ES6_jNS0_17counting_iteratorIjlEEPS9_SE_NS0_5tupleIJPjSE_EEENSF_IJSE_SE_EEES9_SG_JZNS1_25segmented_radix_sort_implINS0_14default_configELb0EPKbPbPKlPlN2at6native12_GLOBAL__N_18offset_tEEE10hipError_tPvRmT1_PNSt15iterator_traitsISY_E10value_typeET2_T3_PNSZ_IS14_E10value_typeET4_jRbjT5_S1A_jjP12ihipStream_tbEUljE_EEESV_SW_SX_S14_S18_S1A_T6_T7_T9_mT8_S1C_bDpT10_ENKUlT_T0_E_clISt17integral_constantIbLb1EES1P_EEDaS1K_S1L_EUlS1K_E_NS1_11comp_targetILNS1_3genE8ELNS1_11target_archE1030ELNS1_3gpuE2ELNS1_3repE0EEENS1_30default_config_static_selectorELNS0_4arch9wavefront6targetE0EEEvSY_,comdat
.Lfunc_end1609:
	.size	_ZN7rocprim17ROCPRIM_400000_NS6detail17trampoline_kernelINS0_13select_configILj256ELj13ELNS0_17block_load_methodE3ELS4_3ELS4_3ELNS0_20block_scan_algorithmE0ELj4294967295EEENS1_25partition_config_selectorILNS1_17partition_subalgoE3EjNS0_10empty_typeEbEEZZNS1_14partition_implILS8_3ELb0ES6_jNS0_17counting_iteratorIjlEEPS9_SE_NS0_5tupleIJPjSE_EEENSF_IJSE_SE_EEES9_SG_JZNS1_25segmented_radix_sort_implINS0_14default_configELb0EPKbPbPKlPlN2at6native12_GLOBAL__N_18offset_tEEE10hipError_tPvRmT1_PNSt15iterator_traitsISY_E10value_typeET2_T3_PNSZ_IS14_E10value_typeET4_jRbjT5_S1A_jjP12ihipStream_tbEUljE_EEESV_SW_SX_S14_S18_S1A_T6_T7_T9_mT8_S1C_bDpT10_ENKUlT_T0_E_clISt17integral_constantIbLb1EES1P_EEDaS1K_S1L_EUlS1K_E_NS1_11comp_targetILNS1_3genE8ELNS1_11target_archE1030ELNS1_3gpuE2ELNS1_3repE0EEENS1_30default_config_static_selectorELNS0_4arch9wavefront6targetE0EEEvSY_, .Lfunc_end1609-_ZN7rocprim17ROCPRIM_400000_NS6detail17trampoline_kernelINS0_13select_configILj256ELj13ELNS0_17block_load_methodE3ELS4_3ELS4_3ELNS0_20block_scan_algorithmE0ELj4294967295EEENS1_25partition_config_selectorILNS1_17partition_subalgoE3EjNS0_10empty_typeEbEEZZNS1_14partition_implILS8_3ELb0ES6_jNS0_17counting_iteratorIjlEEPS9_SE_NS0_5tupleIJPjSE_EEENSF_IJSE_SE_EEES9_SG_JZNS1_25segmented_radix_sort_implINS0_14default_configELb0EPKbPbPKlPlN2at6native12_GLOBAL__N_18offset_tEEE10hipError_tPvRmT1_PNSt15iterator_traitsISY_E10value_typeET2_T3_PNSZ_IS14_E10value_typeET4_jRbjT5_S1A_jjP12ihipStream_tbEUljE_EEESV_SW_SX_S14_S18_S1A_T6_T7_T9_mT8_S1C_bDpT10_ENKUlT_T0_E_clISt17integral_constantIbLb1EES1P_EEDaS1K_S1L_EUlS1K_E_NS1_11comp_targetILNS1_3genE8ELNS1_11target_archE1030ELNS1_3gpuE2ELNS1_3repE0EEENS1_30default_config_static_selectorELNS0_4arch9wavefront6targetE0EEEvSY_
                                        ; -- End function
	.set _ZN7rocprim17ROCPRIM_400000_NS6detail17trampoline_kernelINS0_13select_configILj256ELj13ELNS0_17block_load_methodE3ELS4_3ELS4_3ELNS0_20block_scan_algorithmE0ELj4294967295EEENS1_25partition_config_selectorILNS1_17partition_subalgoE3EjNS0_10empty_typeEbEEZZNS1_14partition_implILS8_3ELb0ES6_jNS0_17counting_iteratorIjlEEPS9_SE_NS0_5tupleIJPjSE_EEENSF_IJSE_SE_EEES9_SG_JZNS1_25segmented_radix_sort_implINS0_14default_configELb0EPKbPbPKlPlN2at6native12_GLOBAL__N_18offset_tEEE10hipError_tPvRmT1_PNSt15iterator_traitsISY_E10value_typeET2_T3_PNSZ_IS14_E10value_typeET4_jRbjT5_S1A_jjP12ihipStream_tbEUljE_EEESV_SW_SX_S14_S18_S1A_T6_T7_T9_mT8_S1C_bDpT10_ENKUlT_T0_E_clISt17integral_constantIbLb1EES1P_EEDaS1K_S1L_EUlS1K_E_NS1_11comp_targetILNS1_3genE8ELNS1_11target_archE1030ELNS1_3gpuE2ELNS1_3repE0EEENS1_30default_config_static_selectorELNS0_4arch9wavefront6targetE0EEEvSY_.num_vgpr, 0
	.set _ZN7rocprim17ROCPRIM_400000_NS6detail17trampoline_kernelINS0_13select_configILj256ELj13ELNS0_17block_load_methodE3ELS4_3ELS4_3ELNS0_20block_scan_algorithmE0ELj4294967295EEENS1_25partition_config_selectorILNS1_17partition_subalgoE3EjNS0_10empty_typeEbEEZZNS1_14partition_implILS8_3ELb0ES6_jNS0_17counting_iteratorIjlEEPS9_SE_NS0_5tupleIJPjSE_EEENSF_IJSE_SE_EEES9_SG_JZNS1_25segmented_radix_sort_implINS0_14default_configELb0EPKbPbPKlPlN2at6native12_GLOBAL__N_18offset_tEEE10hipError_tPvRmT1_PNSt15iterator_traitsISY_E10value_typeET2_T3_PNSZ_IS14_E10value_typeET4_jRbjT5_S1A_jjP12ihipStream_tbEUljE_EEESV_SW_SX_S14_S18_S1A_T6_T7_T9_mT8_S1C_bDpT10_ENKUlT_T0_E_clISt17integral_constantIbLb1EES1P_EEDaS1K_S1L_EUlS1K_E_NS1_11comp_targetILNS1_3genE8ELNS1_11target_archE1030ELNS1_3gpuE2ELNS1_3repE0EEENS1_30default_config_static_selectorELNS0_4arch9wavefront6targetE0EEEvSY_.num_agpr, 0
	.set _ZN7rocprim17ROCPRIM_400000_NS6detail17trampoline_kernelINS0_13select_configILj256ELj13ELNS0_17block_load_methodE3ELS4_3ELS4_3ELNS0_20block_scan_algorithmE0ELj4294967295EEENS1_25partition_config_selectorILNS1_17partition_subalgoE3EjNS0_10empty_typeEbEEZZNS1_14partition_implILS8_3ELb0ES6_jNS0_17counting_iteratorIjlEEPS9_SE_NS0_5tupleIJPjSE_EEENSF_IJSE_SE_EEES9_SG_JZNS1_25segmented_radix_sort_implINS0_14default_configELb0EPKbPbPKlPlN2at6native12_GLOBAL__N_18offset_tEEE10hipError_tPvRmT1_PNSt15iterator_traitsISY_E10value_typeET2_T3_PNSZ_IS14_E10value_typeET4_jRbjT5_S1A_jjP12ihipStream_tbEUljE_EEESV_SW_SX_S14_S18_S1A_T6_T7_T9_mT8_S1C_bDpT10_ENKUlT_T0_E_clISt17integral_constantIbLb1EES1P_EEDaS1K_S1L_EUlS1K_E_NS1_11comp_targetILNS1_3genE8ELNS1_11target_archE1030ELNS1_3gpuE2ELNS1_3repE0EEENS1_30default_config_static_selectorELNS0_4arch9wavefront6targetE0EEEvSY_.numbered_sgpr, 0
	.set _ZN7rocprim17ROCPRIM_400000_NS6detail17trampoline_kernelINS0_13select_configILj256ELj13ELNS0_17block_load_methodE3ELS4_3ELS4_3ELNS0_20block_scan_algorithmE0ELj4294967295EEENS1_25partition_config_selectorILNS1_17partition_subalgoE3EjNS0_10empty_typeEbEEZZNS1_14partition_implILS8_3ELb0ES6_jNS0_17counting_iteratorIjlEEPS9_SE_NS0_5tupleIJPjSE_EEENSF_IJSE_SE_EEES9_SG_JZNS1_25segmented_radix_sort_implINS0_14default_configELb0EPKbPbPKlPlN2at6native12_GLOBAL__N_18offset_tEEE10hipError_tPvRmT1_PNSt15iterator_traitsISY_E10value_typeET2_T3_PNSZ_IS14_E10value_typeET4_jRbjT5_S1A_jjP12ihipStream_tbEUljE_EEESV_SW_SX_S14_S18_S1A_T6_T7_T9_mT8_S1C_bDpT10_ENKUlT_T0_E_clISt17integral_constantIbLb1EES1P_EEDaS1K_S1L_EUlS1K_E_NS1_11comp_targetILNS1_3genE8ELNS1_11target_archE1030ELNS1_3gpuE2ELNS1_3repE0EEENS1_30default_config_static_selectorELNS0_4arch9wavefront6targetE0EEEvSY_.num_named_barrier, 0
	.set _ZN7rocprim17ROCPRIM_400000_NS6detail17trampoline_kernelINS0_13select_configILj256ELj13ELNS0_17block_load_methodE3ELS4_3ELS4_3ELNS0_20block_scan_algorithmE0ELj4294967295EEENS1_25partition_config_selectorILNS1_17partition_subalgoE3EjNS0_10empty_typeEbEEZZNS1_14partition_implILS8_3ELb0ES6_jNS0_17counting_iteratorIjlEEPS9_SE_NS0_5tupleIJPjSE_EEENSF_IJSE_SE_EEES9_SG_JZNS1_25segmented_radix_sort_implINS0_14default_configELb0EPKbPbPKlPlN2at6native12_GLOBAL__N_18offset_tEEE10hipError_tPvRmT1_PNSt15iterator_traitsISY_E10value_typeET2_T3_PNSZ_IS14_E10value_typeET4_jRbjT5_S1A_jjP12ihipStream_tbEUljE_EEESV_SW_SX_S14_S18_S1A_T6_T7_T9_mT8_S1C_bDpT10_ENKUlT_T0_E_clISt17integral_constantIbLb1EES1P_EEDaS1K_S1L_EUlS1K_E_NS1_11comp_targetILNS1_3genE8ELNS1_11target_archE1030ELNS1_3gpuE2ELNS1_3repE0EEENS1_30default_config_static_selectorELNS0_4arch9wavefront6targetE0EEEvSY_.private_seg_size, 0
	.set _ZN7rocprim17ROCPRIM_400000_NS6detail17trampoline_kernelINS0_13select_configILj256ELj13ELNS0_17block_load_methodE3ELS4_3ELS4_3ELNS0_20block_scan_algorithmE0ELj4294967295EEENS1_25partition_config_selectorILNS1_17partition_subalgoE3EjNS0_10empty_typeEbEEZZNS1_14partition_implILS8_3ELb0ES6_jNS0_17counting_iteratorIjlEEPS9_SE_NS0_5tupleIJPjSE_EEENSF_IJSE_SE_EEES9_SG_JZNS1_25segmented_radix_sort_implINS0_14default_configELb0EPKbPbPKlPlN2at6native12_GLOBAL__N_18offset_tEEE10hipError_tPvRmT1_PNSt15iterator_traitsISY_E10value_typeET2_T3_PNSZ_IS14_E10value_typeET4_jRbjT5_S1A_jjP12ihipStream_tbEUljE_EEESV_SW_SX_S14_S18_S1A_T6_T7_T9_mT8_S1C_bDpT10_ENKUlT_T0_E_clISt17integral_constantIbLb1EES1P_EEDaS1K_S1L_EUlS1K_E_NS1_11comp_targetILNS1_3genE8ELNS1_11target_archE1030ELNS1_3gpuE2ELNS1_3repE0EEENS1_30default_config_static_selectorELNS0_4arch9wavefront6targetE0EEEvSY_.uses_vcc, 0
	.set _ZN7rocprim17ROCPRIM_400000_NS6detail17trampoline_kernelINS0_13select_configILj256ELj13ELNS0_17block_load_methodE3ELS4_3ELS4_3ELNS0_20block_scan_algorithmE0ELj4294967295EEENS1_25partition_config_selectorILNS1_17partition_subalgoE3EjNS0_10empty_typeEbEEZZNS1_14partition_implILS8_3ELb0ES6_jNS0_17counting_iteratorIjlEEPS9_SE_NS0_5tupleIJPjSE_EEENSF_IJSE_SE_EEES9_SG_JZNS1_25segmented_radix_sort_implINS0_14default_configELb0EPKbPbPKlPlN2at6native12_GLOBAL__N_18offset_tEEE10hipError_tPvRmT1_PNSt15iterator_traitsISY_E10value_typeET2_T3_PNSZ_IS14_E10value_typeET4_jRbjT5_S1A_jjP12ihipStream_tbEUljE_EEESV_SW_SX_S14_S18_S1A_T6_T7_T9_mT8_S1C_bDpT10_ENKUlT_T0_E_clISt17integral_constantIbLb1EES1P_EEDaS1K_S1L_EUlS1K_E_NS1_11comp_targetILNS1_3genE8ELNS1_11target_archE1030ELNS1_3gpuE2ELNS1_3repE0EEENS1_30default_config_static_selectorELNS0_4arch9wavefront6targetE0EEEvSY_.uses_flat_scratch, 0
	.set _ZN7rocprim17ROCPRIM_400000_NS6detail17trampoline_kernelINS0_13select_configILj256ELj13ELNS0_17block_load_methodE3ELS4_3ELS4_3ELNS0_20block_scan_algorithmE0ELj4294967295EEENS1_25partition_config_selectorILNS1_17partition_subalgoE3EjNS0_10empty_typeEbEEZZNS1_14partition_implILS8_3ELb0ES6_jNS0_17counting_iteratorIjlEEPS9_SE_NS0_5tupleIJPjSE_EEENSF_IJSE_SE_EEES9_SG_JZNS1_25segmented_radix_sort_implINS0_14default_configELb0EPKbPbPKlPlN2at6native12_GLOBAL__N_18offset_tEEE10hipError_tPvRmT1_PNSt15iterator_traitsISY_E10value_typeET2_T3_PNSZ_IS14_E10value_typeET4_jRbjT5_S1A_jjP12ihipStream_tbEUljE_EEESV_SW_SX_S14_S18_S1A_T6_T7_T9_mT8_S1C_bDpT10_ENKUlT_T0_E_clISt17integral_constantIbLb1EES1P_EEDaS1K_S1L_EUlS1K_E_NS1_11comp_targetILNS1_3genE8ELNS1_11target_archE1030ELNS1_3gpuE2ELNS1_3repE0EEENS1_30default_config_static_selectorELNS0_4arch9wavefront6targetE0EEEvSY_.has_dyn_sized_stack, 0
	.set _ZN7rocprim17ROCPRIM_400000_NS6detail17trampoline_kernelINS0_13select_configILj256ELj13ELNS0_17block_load_methodE3ELS4_3ELS4_3ELNS0_20block_scan_algorithmE0ELj4294967295EEENS1_25partition_config_selectorILNS1_17partition_subalgoE3EjNS0_10empty_typeEbEEZZNS1_14partition_implILS8_3ELb0ES6_jNS0_17counting_iteratorIjlEEPS9_SE_NS0_5tupleIJPjSE_EEENSF_IJSE_SE_EEES9_SG_JZNS1_25segmented_radix_sort_implINS0_14default_configELb0EPKbPbPKlPlN2at6native12_GLOBAL__N_18offset_tEEE10hipError_tPvRmT1_PNSt15iterator_traitsISY_E10value_typeET2_T3_PNSZ_IS14_E10value_typeET4_jRbjT5_S1A_jjP12ihipStream_tbEUljE_EEESV_SW_SX_S14_S18_S1A_T6_T7_T9_mT8_S1C_bDpT10_ENKUlT_T0_E_clISt17integral_constantIbLb1EES1P_EEDaS1K_S1L_EUlS1K_E_NS1_11comp_targetILNS1_3genE8ELNS1_11target_archE1030ELNS1_3gpuE2ELNS1_3repE0EEENS1_30default_config_static_selectorELNS0_4arch9wavefront6targetE0EEEvSY_.has_recursion, 0
	.set _ZN7rocprim17ROCPRIM_400000_NS6detail17trampoline_kernelINS0_13select_configILj256ELj13ELNS0_17block_load_methodE3ELS4_3ELS4_3ELNS0_20block_scan_algorithmE0ELj4294967295EEENS1_25partition_config_selectorILNS1_17partition_subalgoE3EjNS0_10empty_typeEbEEZZNS1_14partition_implILS8_3ELb0ES6_jNS0_17counting_iteratorIjlEEPS9_SE_NS0_5tupleIJPjSE_EEENSF_IJSE_SE_EEES9_SG_JZNS1_25segmented_radix_sort_implINS0_14default_configELb0EPKbPbPKlPlN2at6native12_GLOBAL__N_18offset_tEEE10hipError_tPvRmT1_PNSt15iterator_traitsISY_E10value_typeET2_T3_PNSZ_IS14_E10value_typeET4_jRbjT5_S1A_jjP12ihipStream_tbEUljE_EEESV_SW_SX_S14_S18_S1A_T6_T7_T9_mT8_S1C_bDpT10_ENKUlT_T0_E_clISt17integral_constantIbLb1EES1P_EEDaS1K_S1L_EUlS1K_E_NS1_11comp_targetILNS1_3genE8ELNS1_11target_archE1030ELNS1_3gpuE2ELNS1_3repE0EEENS1_30default_config_static_selectorELNS0_4arch9wavefront6targetE0EEEvSY_.has_indirect_call, 0
	.section	.AMDGPU.csdata,"",@progbits
; Kernel info:
; codeLenInByte = 4
; TotalNumSgprs: 0
; NumVgprs: 0
; ScratchSize: 0
; MemoryBound: 0
; FloatMode: 240
; IeeeMode: 1
; LDSByteSize: 0 bytes/workgroup (compile time only)
; SGPRBlocks: 0
; VGPRBlocks: 0
; NumSGPRsForWavesPerEU: 1
; NumVGPRsForWavesPerEU: 1
; Occupancy: 16
; WaveLimiterHint : 0
; COMPUTE_PGM_RSRC2:SCRATCH_EN: 0
; COMPUTE_PGM_RSRC2:USER_SGPR: 6
; COMPUTE_PGM_RSRC2:TRAP_HANDLER: 0
; COMPUTE_PGM_RSRC2:TGID_X_EN: 1
; COMPUTE_PGM_RSRC2:TGID_Y_EN: 0
; COMPUTE_PGM_RSRC2:TGID_Z_EN: 0
; COMPUTE_PGM_RSRC2:TIDIG_COMP_CNT: 0
	.section	.text._ZN7rocprim17ROCPRIM_400000_NS6detail17trampoline_kernelINS0_13select_configILj256ELj13ELNS0_17block_load_methodE3ELS4_3ELS4_3ELNS0_20block_scan_algorithmE0ELj4294967295EEENS1_25partition_config_selectorILNS1_17partition_subalgoE3EjNS0_10empty_typeEbEEZZNS1_14partition_implILS8_3ELb0ES6_jNS0_17counting_iteratorIjlEEPS9_SE_NS0_5tupleIJPjSE_EEENSF_IJSE_SE_EEES9_SG_JZNS1_25segmented_radix_sort_implINS0_14default_configELb0EPKbPbPKlPlN2at6native12_GLOBAL__N_18offset_tEEE10hipError_tPvRmT1_PNSt15iterator_traitsISY_E10value_typeET2_T3_PNSZ_IS14_E10value_typeET4_jRbjT5_S1A_jjP12ihipStream_tbEUljE_EEESV_SW_SX_S14_S18_S1A_T6_T7_T9_mT8_S1C_bDpT10_ENKUlT_T0_E_clISt17integral_constantIbLb1EES1O_IbLb0EEEEDaS1K_S1L_EUlS1K_E_NS1_11comp_targetILNS1_3genE0ELNS1_11target_archE4294967295ELNS1_3gpuE0ELNS1_3repE0EEENS1_30default_config_static_selectorELNS0_4arch9wavefront6targetE0EEEvSY_,"axG",@progbits,_ZN7rocprim17ROCPRIM_400000_NS6detail17trampoline_kernelINS0_13select_configILj256ELj13ELNS0_17block_load_methodE3ELS4_3ELS4_3ELNS0_20block_scan_algorithmE0ELj4294967295EEENS1_25partition_config_selectorILNS1_17partition_subalgoE3EjNS0_10empty_typeEbEEZZNS1_14partition_implILS8_3ELb0ES6_jNS0_17counting_iteratorIjlEEPS9_SE_NS0_5tupleIJPjSE_EEENSF_IJSE_SE_EEES9_SG_JZNS1_25segmented_radix_sort_implINS0_14default_configELb0EPKbPbPKlPlN2at6native12_GLOBAL__N_18offset_tEEE10hipError_tPvRmT1_PNSt15iterator_traitsISY_E10value_typeET2_T3_PNSZ_IS14_E10value_typeET4_jRbjT5_S1A_jjP12ihipStream_tbEUljE_EEESV_SW_SX_S14_S18_S1A_T6_T7_T9_mT8_S1C_bDpT10_ENKUlT_T0_E_clISt17integral_constantIbLb1EES1O_IbLb0EEEEDaS1K_S1L_EUlS1K_E_NS1_11comp_targetILNS1_3genE0ELNS1_11target_archE4294967295ELNS1_3gpuE0ELNS1_3repE0EEENS1_30default_config_static_selectorELNS0_4arch9wavefront6targetE0EEEvSY_,comdat
	.globl	_ZN7rocprim17ROCPRIM_400000_NS6detail17trampoline_kernelINS0_13select_configILj256ELj13ELNS0_17block_load_methodE3ELS4_3ELS4_3ELNS0_20block_scan_algorithmE0ELj4294967295EEENS1_25partition_config_selectorILNS1_17partition_subalgoE3EjNS0_10empty_typeEbEEZZNS1_14partition_implILS8_3ELb0ES6_jNS0_17counting_iteratorIjlEEPS9_SE_NS0_5tupleIJPjSE_EEENSF_IJSE_SE_EEES9_SG_JZNS1_25segmented_radix_sort_implINS0_14default_configELb0EPKbPbPKlPlN2at6native12_GLOBAL__N_18offset_tEEE10hipError_tPvRmT1_PNSt15iterator_traitsISY_E10value_typeET2_T3_PNSZ_IS14_E10value_typeET4_jRbjT5_S1A_jjP12ihipStream_tbEUljE_EEESV_SW_SX_S14_S18_S1A_T6_T7_T9_mT8_S1C_bDpT10_ENKUlT_T0_E_clISt17integral_constantIbLb1EES1O_IbLb0EEEEDaS1K_S1L_EUlS1K_E_NS1_11comp_targetILNS1_3genE0ELNS1_11target_archE4294967295ELNS1_3gpuE0ELNS1_3repE0EEENS1_30default_config_static_selectorELNS0_4arch9wavefront6targetE0EEEvSY_ ; -- Begin function _ZN7rocprim17ROCPRIM_400000_NS6detail17trampoline_kernelINS0_13select_configILj256ELj13ELNS0_17block_load_methodE3ELS4_3ELS4_3ELNS0_20block_scan_algorithmE0ELj4294967295EEENS1_25partition_config_selectorILNS1_17partition_subalgoE3EjNS0_10empty_typeEbEEZZNS1_14partition_implILS8_3ELb0ES6_jNS0_17counting_iteratorIjlEEPS9_SE_NS0_5tupleIJPjSE_EEENSF_IJSE_SE_EEES9_SG_JZNS1_25segmented_radix_sort_implINS0_14default_configELb0EPKbPbPKlPlN2at6native12_GLOBAL__N_18offset_tEEE10hipError_tPvRmT1_PNSt15iterator_traitsISY_E10value_typeET2_T3_PNSZ_IS14_E10value_typeET4_jRbjT5_S1A_jjP12ihipStream_tbEUljE_EEESV_SW_SX_S14_S18_S1A_T6_T7_T9_mT8_S1C_bDpT10_ENKUlT_T0_E_clISt17integral_constantIbLb1EES1O_IbLb0EEEEDaS1K_S1L_EUlS1K_E_NS1_11comp_targetILNS1_3genE0ELNS1_11target_archE4294967295ELNS1_3gpuE0ELNS1_3repE0EEENS1_30default_config_static_selectorELNS0_4arch9wavefront6targetE0EEEvSY_
	.p2align	8
	.type	_ZN7rocprim17ROCPRIM_400000_NS6detail17trampoline_kernelINS0_13select_configILj256ELj13ELNS0_17block_load_methodE3ELS4_3ELS4_3ELNS0_20block_scan_algorithmE0ELj4294967295EEENS1_25partition_config_selectorILNS1_17partition_subalgoE3EjNS0_10empty_typeEbEEZZNS1_14partition_implILS8_3ELb0ES6_jNS0_17counting_iteratorIjlEEPS9_SE_NS0_5tupleIJPjSE_EEENSF_IJSE_SE_EEES9_SG_JZNS1_25segmented_radix_sort_implINS0_14default_configELb0EPKbPbPKlPlN2at6native12_GLOBAL__N_18offset_tEEE10hipError_tPvRmT1_PNSt15iterator_traitsISY_E10value_typeET2_T3_PNSZ_IS14_E10value_typeET4_jRbjT5_S1A_jjP12ihipStream_tbEUljE_EEESV_SW_SX_S14_S18_S1A_T6_T7_T9_mT8_S1C_bDpT10_ENKUlT_T0_E_clISt17integral_constantIbLb1EES1O_IbLb0EEEEDaS1K_S1L_EUlS1K_E_NS1_11comp_targetILNS1_3genE0ELNS1_11target_archE4294967295ELNS1_3gpuE0ELNS1_3repE0EEENS1_30default_config_static_selectorELNS0_4arch9wavefront6targetE0EEEvSY_,@function
_ZN7rocprim17ROCPRIM_400000_NS6detail17trampoline_kernelINS0_13select_configILj256ELj13ELNS0_17block_load_methodE3ELS4_3ELS4_3ELNS0_20block_scan_algorithmE0ELj4294967295EEENS1_25partition_config_selectorILNS1_17partition_subalgoE3EjNS0_10empty_typeEbEEZZNS1_14partition_implILS8_3ELb0ES6_jNS0_17counting_iteratorIjlEEPS9_SE_NS0_5tupleIJPjSE_EEENSF_IJSE_SE_EEES9_SG_JZNS1_25segmented_radix_sort_implINS0_14default_configELb0EPKbPbPKlPlN2at6native12_GLOBAL__N_18offset_tEEE10hipError_tPvRmT1_PNSt15iterator_traitsISY_E10value_typeET2_T3_PNSZ_IS14_E10value_typeET4_jRbjT5_S1A_jjP12ihipStream_tbEUljE_EEESV_SW_SX_S14_S18_S1A_T6_T7_T9_mT8_S1C_bDpT10_ENKUlT_T0_E_clISt17integral_constantIbLb1EES1O_IbLb0EEEEDaS1K_S1L_EUlS1K_E_NS1_11comp_targetILNS1_3genE0ELNS1_11target_archE4294967295ELNS1_3gpuE0ELNS1_3repE0EEENS1_30default_config_static_selectorELNS0_4arch9wavefront6targetE0EEEvSY_: ; @_ZN7rocprim17ROCPRIM_400000_NS6detail17trampoline_kernelINS0_13select_configILj256ELj13ELNS0_17block_load_methodE3ELS4_3ELS4_3ELNS0_20block_scan_algorithmE0ELj4294967295EEENS1_25partition_config_selectorILNS1_17partition_subalgoE3EjNS0_10empty_typeEbEEZZNS1_14partition_implILS8_3ELb0ES6_jNS0_17counting_iteratorIjlEEPS9_SE_NS0_5tupleIJPjSE_EEENSF_IJSE_SE_EEES9_SG_JZNS1_25segmented_radix_sort_implINS0_14default_configELb0EPKbPbPKlPlN2at6native12_GLOBAL__N_18offset_tEEE10hipError_tPvRmT1_PNSt15iterator_traitsISY_E10value_typeET2_T3_PNSZ_IS14_E10value_typeET4_jRbjT5_S1A_jjP12ihipStream_tbEUljE_EEESV_SW_SX_S14_S18_S1A_T6_T7_T9_mT8_S1C_bDpT10_ENKUlT_T0_E_clISt17integral_constantIbLb1EES1O_IbLb0EEEEDaS1K_S1L_EUlS1K_E_NS1_11comp_targetILNS1_3genE0ELNS1_11target_archE4294967295ELNS1_3gpuE0ELNS1_3repE0EEENS1_30default_config_static_selectorELNS0_4arch9wavefront6targetE0EEEvSY_
; %bb.0:
	.section	.rodata,"a",@progbits
	.p2align	6, 0x0
	.amdhsa_kernel _ZN7rocprim17ROCPRIM_400000_NS6detail17trampoline_kernelINS0_13select_configILj256ELj13ELNS0_17block_load_methodE3ELS4_3ELS4_3ELNS0_20block_scan_algorithmE0ELj4294967295EEENS1_25partition_config_selectorILNS1_17partition_subalgoE3EjNS0_10empty_typeEbEEZZNS1_14partition_implILS8_3ELb0ES6_jNS0_17counting_iteratorIjlEEPS9_SE_NS0_5tupleIJPjSE_EEENSF_IJSE_SE_EEES9_SG_JZNS1_25segmented_radix_sort_implINS0_14default_configELb0EPKbPbPKlPlN2at6native12_GLOBAL__N_18offset_tEEE10hipError_tPvRmT1_PNSt15iterator_traitsISY_E10value_typeET2_T3_PNSZ_IS14_E10value_typeET4_jRbjT5_S1A_jjP12ihipStream_tbEUljE_EEESV_SW_SX_S14_S18_S1A_T6_T7_T9_mT8_S1C_bDpT10_ENKUlT_T0_E_clISt17integral_constantIbLb1EES1O_IbLb0EEEEDaS1K_S1L_EUlS1K_E_NS1_11comp_targetILNS1_3genE0ELNS1_11target_archE4294967295ELNS1_3gpuE0ELNS1_3repE0EEENS1_30default_config_static_selectorELNS0_4arch9wavefront6targetE0EEEvSY_
		.amdhsa_group_segment_fixed_size 0
		.amdhsa_private_segment_fixed_size 0
		.amdhsa_kernarg_size 144
		.amdhsa_user_sgpr_count 6
		.amdhsa_user_sgpr_private_segment_buffer 1
		.amdhsa_user_sgpr_dispatch_ptr 0
		.amdhsa_user_sgpr_queue_ptr 0
		.amdhsa_user_sgpr_kernarg_segment_ptr 1
		.amdhsa_user_sgpr_dispatch_id 0
		.amdhsa_user_sgpr_flat_scratch_init 0
		.amdhsa_user_sgpr_private_segment_size 0
		.amdhsa_wavefront_size32 1
		.amdhsa_uses_dynamic_stack 0
		.amdhsa_system_sgpr_private_segment_wavefront_offset 0
		.amdhsa_system_sgpr_workgroup_id_x 1
		.amdhsa_system_sgpr_workgroup_id_y 0
		.amdhsa_system_sgpr_workgroup_id_z 0
		.amdhsa_system_sgpr_workgroup_info 0
		.amdhsa_system_vgpr_workitem_id 0
		.amdhsa_next_free_vgpr 1
		.amdhsa_next_free_sgpr 1
		.amdhsa_reserve_vcc 0
		.amdhsa_reserve_flat_scratch 0
		.amdhsa_float_round_mode_32 0
		.amdhsa_float_round_mode_16_64 0
		.amdhsa_float_denorm_mode_32 3
		.amdhsa_float_denorm_mode_16_64 3
		.amdhsa_dx10_clamp 1
		.amdhsa_ieee_mode 1
		.amdhsa_fp16_overflow 0
		.amdhsa_workgroup_processor_mode 1
		.amdhsa_memory_ordered 1
		.amdhsa_forward_progress 1
		.amdhsa_shared_vgpr_count 0
		.amdhsa_exception_fp_ieee_invalid_op 0
		.amdhsa_exception_fp_denorm_src 0
		.amdhsa_exception_fp_ieee_div_zero 0
		.amdhsa_exception_fp_ieee_overflow 0
		.amdhsa_exception_fp_ieee_underflow 0
		.amdhsa_exception_fp_ieee_inexact 0
		.amdhsa_exception_int_div_zero 0
	.end_amdhsa_kernel
	.section	.text._ZN7rocprim17ROCPRIM_400000_NS6detail17trampoline_kernelINS0_13select_configILj256ELj13ELNS0_17block_load_methodE3ELS4_3ELS4_3ELNS0_20block_scan_algorithmE0ELj4294967295EEENS1_25partition_config_selectorILNS1_17partition_subalgoE3EjNS0_10empty_typeEbEEZZNS1_14partition_implILS8_3ELb0ES6_jNS0_17counting_iteratorIjlEEPS9_SE_NS0_5tupleIJPjSE_EEENSF_IJSE_SE_EEES9_SG_JZNS1_25segmented_radix_sort_implINS0_14default_configELb0EPKbPbPKlPlN2at6native12_GLOBAL__N_18offset_tEEE10hipError_tPvRmT1_PNSt15iterator_traitsISY_E10value_typeET2_T3_PNSZ_IS14_E10value_typeET4_jRbjT5_S1A_jjP12ihipStream_tbEUljE_EEESV_SW_SX_S14_S18_S1A_T6_T7_T9_mT8_S1C_bDpT10_ENKUlT_T0_E_clISt17integral_constantIbLb1EES1O_IbLb0EEEEDaS1K_S1L_EUlS1K_E_NS1_11comp_targetILNS1_3genE0ELNS1_11target_archE4294967295ELNS1_3gpuE0ELNS1_3repE0EEENS1_30default_config_static_selectorELNS0_4arch9wavefront6targetE0EEEvSY_,"axG",@progbits,_ZN7rocprim17ROCPRIM_400000_NS6detail17trampoline_kernelINS0_13select_configILj256ELj13ELNS0_17block_load_methodE3ELS4_3ELS4_3ELNS0_20block_scan_algorithmE0ELj4294967295EEENS1_25partition_config_selectorILNS1_17partition_subalgoE3EjNS0_10empty_typeEbEEZZNS1_14partition_implILS8_3ELb0ES6_jNS0_17counting_iteratorIjlEEPS9_SE_NS0_5tupleIJPjSE_EEENSF_IJSE_SE_EEES9_SG_JZNS1_25segmented_radix_sort_implINS0_14default_configELb0EPKbPbPKlPlN2at6native12_GLOBAL__N_18offset_tEEE10hipError_tPvRmT1_PNSt15iterator_traitsISY_E10value_typeET2_T3_PNSZ_IS14_E10value_typeET4_jRbjT5_S1A_jjP12ihipStream_tbEUljE_EEESV_SW_SX_S14_S18_S1A_T6_T7_T9_mT8_S1C_bDpT10_ENKUlT_T0_E_clISt17integral_constantIbLb1EES1O_IbLb0EEEEDaS1K_S1L_EUlS1K_E_NS1_11comp_targetILNS1_3genE0ELNS1_11target_archE4294967295ELNS1_3gpuE0ELNS1_3repE0EEENS1_30default_config_static_selectorELNS0_4arch9wavefront6targetE0EEEvSY_,comdat
.Lfunc_end1610:
	.size	_ZN7rocprim17ROCPRIM_400000_NS6detail17trampoline_kernelINS0_13select_configILj256ELj13ELNS0_17block_load_methodE3ELS4_3ELS4_3ELNS0_20block_scan_algorithmE0ELj4294967295EEENS1_25partition_config_selectorILNS1_17partition_subalgoE3EjNS0_10empty_typeEbEEZZNS1_14partition_implILS8_3ELb0ES6_jNS0_17counting_iteratorIjlEEPS9_SE_NS0_5tupleIJPjSE_EEENSF_IJSE_SE_EEES9_SG_JZNS1_25segmented_radix_sort_implINS0_14default_configELb0EPKbPbPKlPlN2at6native12_GLOBAL__N_18offset_tEEE10hipError_tPvRmT1_PNSt15iterator_traitsISY_E10value_typeET2_T3_PNSZ_IS14_E10value_typeET4_jRbjT5_S1A_jjP12ihipStream_tbEUljE_EEESV_SW_SX_S14_S18_S1A_T6_T7_T9_mT8_S1C_bDpT10_ENKUlT_T0_E_clISt17integral_constantIbLb1EES1O_IbLb0EEEEDaS1K_S1L_EUlS1K_E_NS1_11comp_targetILNS1_3genE0ELNS1_11target_archE4294967295ELNS1_3gpuE0ELNS1_3repE0EEENS1_30default_config_static_selectorELNS0_4arch9wavefront6targetE0EEEvSY_, .Lfunc_end1610-_ZN7rocprim17ROCPRIM_400000_NS6detail17trampoline_kernelINS0_13select_configILj256ELj13ELNS0_17block_load_methodE3ELS4_3ELS4_3ELNS0_20block_scan_algorithmE0ELj4294967295EEENS1_25partition_config_selectorILNS1_17partition_subalgoE3EjNS0_10empty_typeEbEEZZNS1_14partition_implILS8_3ELb0ES6_jNS0_17counting_iteratorIjlEEPS9_SE_NS0_5tupleIJPjSE_EEENSF_IJSE_SE_EEES9_SG_JZNS1_25segmented_radix_sort_implINS0_14default_configELb0EPKbPbPKlPlN2at6native12_GLOBAL__N_18offset_tEEE10hipError_tPvRmT1_PNSt15iterator_traitsISY_E10value_typeET2_T3_PNSZ_IS14_E10value_typeET4_jRbjT5_S1A_jjP12ihipStream_tbEUljE_EEESV_SW_SX_S14_S18_S1A_T6_T7_T9_mT8_S1C_bDpT10_ENKUlT_T0_E_clISt17integral_constantIbLb1EES1O_IbLb0EEEEDaS1K_S1L_EUlS1K_E_NS1_11comp_targetILNS1_3genE0ELNS1_11target_archE4294967295ELNS1_3gpuE0ELNS1_3repE0EEENS1_30default_config_static_selectorELNS0_4arch9wavefront6targetE0EEEvSY_
                                        ; -- End function
	.set _ZN7rocprim17ROCPRIM_400000_NS6detail17trampoline_kernelINS0_13select_configILj256ELj13ELNS0_17block_load_methodE3ELS4_3ELS4_3ELNS0_20block_scan_algorithmE0ELj4294967295EEENS1_25partition_config_selectorILNS1_17partition_subalgoE3EjNS0_10empty_typeEbEEZZNS1_14partition_implILS8_3ELb0ES6_jNS0_17counting_iteratorIjlEEPS9_SE_NS0_5tupleIJPjSE_EEENSF_IJSE_SE_EEES9_SG_JZNS1_25segmented_radix_sort_implINS0_14default_configELb0EPKbPbPKlPlN2at6native12_GLOBAL__N_18offset_tEEE10hipError_tPvRmT1_PNSt15iterator_traitsISY_E10value_typeET2_T3_PNSZ_IS14_E10value_typeET4_jRbjT5_S1A_jjP12ihipStream_tbEUljE_EEESV_SW_SX_S14_S18_S1A_T6_T7_T9_mT8_S1C_bDpT10_ENKUlT_T0_E_clISt17integral_constantIbLb1EES1O_IbLb0EEEEDaS1K_S1L_EUlS1K_E_NS1_11comp_targetILNS1_3genE0ELNS1_11target_archE4294967295ELNS1_3gpuE0ELNS1_3repE0EEENS1_30default_config_static_selectorELNS0_4arch9wavefront6targetE0EEEvSY_.num_vgpr, 0
	.set _ZN7rocprim17ROCPRIM_400000_NS6detail17trampoline_kernelINS0_13select_configILj256ELj13ELNS0_17block_load_methodE3ELS4_3ELS4_3ELNS0_20block_scan_algorithmE0ELj4294967295EEENS1_25partition_config_selectorILNS1_17partition_subalgoE3EjNS0_10empty_typeEbEEZZNS1_14partition_implILS8_3ELb0ES6_jNS0_17counting_iteratorIjlEEPS9_SE_NS0_5tupleIJPjSE_EEENSF_IJSE_SE_EEES9_SG_JZNS1_25segmented_radix_sort_implINS0_14default_configELb0EPKbPbPKlPlN2at6native12_GLOBAL__N_18offset_tEEE10hipError_tPvRmT1_PNSt15iterator_traitsISY_E10value_typeET2_T3_PNSZ_IS14_E10value_typeET4_jRbjT5_S1A_jjP12ihipStream_tbEUljE_EEESV_SW_SX_S14_S18_S1A_T6_T7_T9_mT8_S1C_bDpT10_ENKUlT_T0_E_clISt17integral_constantIbLb1EES1O_IbLb0EEEEDaS1K_S1L_EUlS1K_E_NS1_11comp_targetILNS1_3genE0ELNS1_11target_archE4294967295ELNS1_3gpuE0ELNS1_3repE0EEENS1_30default_config_static_selectorELNS0_4arch9wavefront6targetE0EEEvSY_.num_agpr, 0
	.set _ZN7rocprim17ROCPRIM_400000_NS6detail17trampoline_kernelINS0_13select_configILj256ELj13ELNS0_17block_load_methodE3ELS4_3ELS4_3ELNS0_20block_scan_algorithmE0ELj4294967295EEENS1_25partition_config_selectorILNS1_17partition_subalgoE3EjNS0_10empty_typeEbEEZZNS1_14partition_implILS8_3ELb0ES6_jNS0_17counting_iteratorIjlEEPS9_SE_NS0_5tupleIJPjSE_EEENSF_IJSE_SE_EEES9_SG_JZNS1_25segmented_radix_sort_implINS0_14default_configELb0EPKbPbPKlPlN2at6native12_GLOBAL__N_18offset_tEEE10hipError_tPvRmT1_PNSt15iterator_traitsISY_E10value_typeET2_T3_PNSZ_IS14_E10value_typeET4_jRbjT5_S1A_jjP12ihipStream_tbEUljE_EEESV_SW_SX_S14_S18_S1A_T6_T7_T9_mT8_S1C_bDpT10_ENKUlT_T0_E_clISt17integral_constantIbLb1EES1O_IbLb0EEEEDaS1K_S1L_EUlS1K_E_NS1_11comp_targetILNS1_3genE0ELNS1_11target_archE4294967295ELNS1_3gpuE0ELNS1_3repE0EEENS1_30default_config_static_selectorELNS0_4arch9wavefront6targetE0EEEvSY_.numbered_sgpr, 0
	.set _ZN7rocprim17ROCPRIM_400000_NS6detail17trampoline_kernelINS0_13select_configILj256ELj13ELNS0_17block_load_methodE3ELS4_3ELS4_3ELNS0_20block_scan_algorithmE0ELj4294967295EEENS1_25partition_config_selectorILNS1_17partition_subalgoE3EjNS0_10empty_typeEbEEZZNS1_14partition_implILS8_3ELb0ES6_jNS0_17counting_iteratorIjlEEPS9_SE_NS0_5tupleIJPjSE_EEENSF_IJSE_SE_EEES9_SG_JZNS1_25segmented_radix_sort_implINS0_14default_configELb0EPKbPbPKlPlN2at6native12_GLOBAL__N_18offset_tEEE10hipError_tPvRmT1_PNSt15iterator_traitsISY_E10value_typeET2_T3_PNSZ_IS14_E10value_typeET4_jRbjT5_S1A_jjP12ihipStream_tbEUljE_EEESV_SW_SX_S14_S18_S1A_T6_T7_T9_mT8_S1C_bDpT10_ENKUlT_T0_E_clISt17integral_constantIbLb1EES1O_IbLb0EEEEDaS1K_S1L_EUlS1K_E_NS1_11comp_targetILNS1_3genE0ELNS1_11target_archE4294967295ELNS1_3gpuE0ELNS1_3repE0EEENS1_30default_config_static_selectorELNS0_4arch9wavefront6targetE0EEEvSY_.num_named_barrier, 0
	.set _ZN7rocprim17ROCPRIM_400000_NS6detail17trampoline_kernelINS0_13select_configILj256ELj13ELNS0_17block_load_methodE3ELS4_3ELS4_3ELNS0_20block_scan_algorithmE0ELj4294967295EEENS1_25partition_config_selectorILNS1_17partition_subalgoE3EjNS0_10empty_typeEbEEZZNS1_14partition_implILS8_3ELb0ES6_jNS0_17counting_iteratorIjlEEPS9_SE_NS0_5tupleIJPjSE_EEENSF_IJSE_SE_EEES9_SG_JZNS1_25segmented_radix_sort_implINS0_14default_configELb0EPKbPbPKlPlN2at6native12_GLOBAL__N_18offset_tEEE10hipError_tPvRmT1_PNSt15iterator_traitsISY_E10value_typeET2_T3_PNSZ_IS14_E10value_typeET4_jRbjT5_S1A_jjP12ihipStream_tbEUljE_EEESV_SW_SX_S14_S18_S1A_T6_T7_T9_mT8_S1C_bDpT10_ENKUlT_T0_E_clISt17integral_constantIbLb1EES1O_IbLb0EEEEDaS1K_S1L_EUlS1K_E_NS1_11comp_targetILNS1_3genE0ELNS1_11target_archE4294967295ELNS1_3gpuE0ELNS1_3repE0EEENS1_30default_config_static_selectorELNS0_4arch9wavefront6targetE0EEEvSY_.private_seg_size, 0
	.set _ZN7rocprim17ROCPRIM_400000_NS6detail17trampoline_kernelINS0_13select_configILj256ELj13ELNS0_17block_load_methodE3ELS4_3ELS4_3ELNS0_20block_scan_algorithmE0ELj4294967295EEENS1_25partition_config_selectorILNS1_17partition_subalgoE3EjNS0_10empty_typeEbEEZZNS1_14partition_implILS8_3ELb0ES6_jNS0_17counting_iteratorIjlEEPS9_SE_NS0_5tupleIJPjSE_EEENSF_IJSE_SE_EEES9_SG_JZNS1_25segmented_radix_sort_implINS0_14default_configELb0EPKbPbPKlPlN2at6native12_GLOBAL__N_18offset_tEEE10hipError_tPvRmT1_PNSt15iterator_traitsISY_E10value_typeET2_T3_PNSZ_IS14_E10value_typeET4_jRbjT5_S1A_jjP12ihipStream_tbEUljE_EEESV_SW_SX_S14_S18_S1A_T6_T7_T9_mT8_S1C_bDpT10_ENKUlT_T0_E_clISt17integral_constantIbLb1EES1O_IbLb0EEEEDaS1K_S1L_EUlS1K_E_NS1_11comp_targetILNS1_3genE0ELNS1_11target_archE4294967295ELNS1_3gpuE0ELNS1_3repE0EEENS1_30default_config_static_selectorELNS0_4arch9wavefront6targetE0EEEvSY_.uses_vcc, 0
	.set _ZN7rocprim17ROCPRIM_400000_NS6detail17trampoline_kernelINS0_13select_configILj256ELj13ELNS0_17block_load_methodE3ELS4_3ELS4_3ELNS0_20block_scan_algorithmE0ELj4294967295EEENS1_25partition_config_selectorILNS1_17partition_subalgoE3EjNS0_10empty_typeEbEEZZNS1_14partition_implILS8_3ELb0ES6_jNS0_17counting_iteratorIjlEEPS9_SE_NS0_5tupleIJPjSE_EEENSF_IJSE_SE_EEES9_SG_JZNS1_25segmented_radix_sort_implINS0_14default_configELb0EPKbPbPKlPlN2at6native12_GLOBAL__N_18offset_tEEE10hipError_tPvRmT1_PNSt15iterator_traitsISY_E10value_typeET2_T3_PNSZ_IS14_E10value_typeET4_jRbjT5_S1A_jjP12ihipStream_tbEUljE_EEESV_SW_SX_S14_S18_S1A_T6_T7_T9_mT8_S1C_bDpT10_ENKUlT_T0_E_clISt17integral_constantIbLb1EES1O_IbLb0EEEEDaS1K_S1L_EUlS1K_E_NS1_11comp_targetILNS1_3genE0ELNS1_11target_archE4294967295ELNS1_3gpuE0ELNS1_3repE0EEENS1_30default_config_static_selectorELNS0_4arch9wavefront6targetE0EEEvSY_.uses_flat_scratch, 0
	.set _ZN7rocprim17ROCPRIM_400000_NS6detail17trampoline_kernelINS0_13select_configILj256ELj13ELNS0_17block_load_methodE3ELS4_3ELS4_3ELNS0_20block_scan_algorithmE0ELj4294967295EEENS1_25partition_config_selectorILNS1_17partition_subalgoE3EjNS0_10empty_typeEbEEZZNS1_14partition_implILS8_3ELb0ES6_jNS0_17counting_iteratorIjlEEPS9_SE_NS0_5tupleIJPjSE_EEENSF_IJSE_SE_EEES9_SG_JZNS1_25segmented_radix_sort_implINS0_14default_configELb0EPKbPbPKlPlN2at6native12_GLOBAL__N_18offset_tEEE10hipError_tPvRmT1_PNSt15iterator_traitsISY_E10value_typeET2_T3_PNSZ_IS14_E10value_typeET4_jRbjT5_S1A_jjP12ihipStream_tbEUljE_EEESV_SW_SX_S14_S18_S1A_T6_T7_T9_mT8_S1C_bDpT10_ENKUlT_T0_E_clISt17integral_constantIbLb1EES1O_IbLb0EEEEDaS1K_S1L_EUlS1K_E_NS1_11comp_targetILNS1_3genE0ELNS1_11target_archE4294967295ELNS1_3gpuE0ELNS1_3repE0EEENS1_30default_config_static_selectorELNS0_4arch9wavefront6targetE0EEEvSY_.has_dyn_sized_stack, 0
	.set _ZN7rocprim17ROCPRIM_400000_NS6detail17trampoline_kernelINS0_13select_configILj256ELj13ELNS0_17block_load_methodE3ELS4_3ELS4_3ELNS0_20block_scan_algorithmE0ELj4294967295EEENS1_25partition_config_selectorILNS1_17partition_subalgoE3EjNS0_10empty_typeEbEEZZNS1_14partition_implILS8_3ELb0ES6_jNS0_17counting_iteratorIjlEEPS9_SE_NS0_5tupleIJPjSE_EEENSF_IJSE_SE_EEES9_SG_JZNS1_25segmented_radix_sort_implINS0_14default_configELb0EPKbPbPKlPlN2at6native12_GLOBAL__N_18offset_tEEE10hipError_tPvRmT1_PNSt15iterator_traitsISY_E10value_typeET2_T3_PNSZ_IS14_E10value_typeET4_jRbjT5_S1A_jjP12ihipStream_tbEUljE_EEESV_SW_SX_S14_S18_S1A_T6_T7_T9_mT8_S1C_bDpT10_ENKUlT_T0_E_clISt17integral_constantIbLb1EES1O_IbLb0EEEEDaS1K_S1L_EUlS1K_E_NS1_11comp_targetILNS1_3genE0ELNS1_11target_archE4294967295ELNS1_3gpuE0ELNS1_3repE0EEENS1_30default_config_static_selectorELNS0_4arch9wavefront6targetE0EEEvSY_.has_recursion, 0
	.set _ZN7rocprim17ROCPRIM_400000_NS6detail17trampoline_kernelINS0_13select_configILj256ELj13ELNS0_17block_load_methodE3ELS4_3ELS4_3ELNS0_20block_scan_algorithmE0ELj4294967295EEENS1_25partition_config_selectorILNS1_17partition_subalgoE3EjNS0_10empty_typeEbEEZZNS1_14partition_implILS8_3ELb0ES6_jNS0_17counting_iteratorIjlEEPS9_SE_NS0_5tupleIJPjSE_EEENSF_IJSE_SE_EEES9_SG_JZNS1_25segmented_radix_sort_implINS0_14default_configELb0EPKbPbPKlPlN2at6native12_GLOBAL__N_18offset_tEEE10hipError_tPvRmT1_PNSt15iterator_traitsISY_E10value_typeET2_T3_PNSZ_IS14_E10value_typeET4_jRbjT5_S1A_jjP12ihipStream_tbEUljE_EEESV_SW_SX_S14_S18_S1A_T6_T7_T9_mT8_S1C_bDpT10_ENKUlT_T0_E_clISt17integral_constantIbLb1EES1O_IbLb0EEEEDaS1K_S1L_EUlS1K_E_NS1_11comp_targetILNS1_3genE0ELNS1_11target_archE4294967295ELNS1_3gpuE0ELNS1_3repE0EEENS1_30default_config_static_selectorELNS0_4arch9wavefront6targetE0EEEvSY_.has_indirect_call, 0
	.section	.AMDGPU.csdata,"",@progbits
; Kernel info:
; codeLenInByte = 0
; TotalNumSgprs: 0
; NumVgprs: 0
; ScratchSize: 0
; MemoryBound: 0
; FloatMode: 240
; IeeeMode: 1
; LDSByteSize: 0 bytes/workgroup (compile time only)
; SGPRBlocks: 0
; VGPRBlocks: 0
; NumSGPRsForWavesPerEU: 1
; NumVGPRsForWavesPerEU: 1
; Occupancy: 16
; WaveLimiterHint : 0
; COMPUTE_PGM_RSRC2:SCRATCH_EN: 0
; COMPUTE_PGM_RSRC2:USER_SGPR: 6
; COMPUTE_PGM_RSRC2:TRAP_HANDLER: 0
; COMPUTE_PGM_RSRC2:TGID_X_EN: 1
; COMPUTE_PGM_RSRC2:TGID_Y_EN: 0
; COMPUTE_PGM_RSRC2:TGID_Z_EN: 0
; COMPUTE_PGM_RSRC2:TIDIG_COMP_CNT: 0
	.section	.text._ZN7rocprim17ROCPRIM_400000_NS6detail17trampoline_kernelINS0_13select_configILj256ELj13ELNS0_17block_load_methodE3ELS4_3ELS4_3ELNS0_20block_scan_algorithmE0ELj4294967295EEENS1_25partition_config_selectorILNS1_17partition_subalgoE3EjNS0_10empty_typeEbEEZZNS1_14partition_implILS8_3ELb0ES6_jNS0_17counting_iteratorIjlEEPS9_SE_NS0_5tupleIJPjSE_EEENSF_IJSE_SE_EEES9_SG_JZNS1_25segmented_radix_sort_implINS0_14default_configELb0EPKbPbPKlPlN2at6native12_GLOBAL__N_18offset_tEEE10hipError_tPvRmT1_PNSt15iterator_traitsISY_E10value_typeET2_T3_PNSZ_IS14_E10value_typeET4_jRbjT5_S1A_jjP12ihipStream_tbEUljE_EEESV_SW_SX_S14_S18_S1A_T6_T7_T9_mT8_S1C_bDpT10_ENKUlT_T0_E_clISt17integral_constantIbLb1EES1O_IbLb0EEEEDaS1K_S1L_EUlS1K_E_NS1_11comp_targetILNS1_3genE5ELNS1_11target_archE942ELNS1_3gpuE9ELNS1_3repE0EEENS1_30default_config_static_selectorELNS0_4arch9wavefront6targetE0EEEvSY_,"axG",@progbits,_ZN7rocprim17ROCPRIM_400000_NS6detail17trampoline_kernelINS0_13select_configILj256ELj13ELNS0_17block_load_methodE3ELS4_3ELS4_3ELNS0_20block_scan_algorithmE0ELj4294967295EEENS1_25partition_config_selectorILNS1_17partition_subalgoE3EjNS0_10empty_typeEbEEZZNS1_14partition_implILS8_3ELb0ES6_jNS0_17counting_iteratorIjlEEPS9_SE_NS0_5tupleIJPjSE_EEENSF_IJSE_SE_EEES9_SG_JZNS1_25segmented_radix_sort_implINS0_14default_configELb0EPKbPbPKlPlN2at6native12_GLOBAL__N_18offset_tEEE10hipError_tPvRmT1_PNSt15iterator_traitsISY_E10value_typeET2_T3_PNSZ_IS14_E10value_typeET4_jRbjT5_S1A_jjP12ihipStream_tbEUljE_EEESV_SW_SX_S14_S18_S1A_T6_T7_T9_mT8_S1C_bDpT10_ENKUlT_T0_E_clISt17integral_constantIbLb1EES1O_IbLb0EEEEDaS1K_S1L_EUlS1K_E_NS1_11comp_targetILNS1_3genE5ELNS1_11target_archE942ELNS1_3gpuE9ELNS1_3repE0EEENS1_30default_config_static_selectorELNS0_4arch9wavefront6targetE0EEEvSY_,comdat
	.globl	_ZN7rocprim17ROCPRIM_400000_NS6detail17trampoline_kernelINS0_13select_configILj256ELj13ELNS0_17block_load_methodE3ELS4_3ELS4_3ELNS0_20block_scan_algorithmE0ELj4294967295EEENS1_25partition_config_selectorILNS1_17partition_subalgoE3EjNS0_10empty_typeEbEEZZNS1_14partition_implILS8_3ELb0ES6_jNS0_17counting_iteratorIjlEEPS9_SE_NS0_5tupleIJPjSE_EEENSF_IJSE_SE_EEES9_SG_JZNS1_25segmented_radix_sort_implINS0_14default_configELb0EPKbPbPKlPlN2at6native12_GLOBAL__N_18offset_tEEE10hipError_tPvRmT1_PNSt15iterator_traitsISY_E10value_typeET2_T3_PNSZ_IS14_E10value_typeET4_jRbjT5_S1A_jjP12ihipStream_tbEUljE_EEESV_SW_SX_S14_S18_S1A_T6_T7_T9_mT8_S1C_bDpT10_ENKUlT_T0_E_clISt17integral_constantIbLb1EES1O_IbLb0EEEEDaS1K_S1L_EUlS1K_E_NS1_11comp_targetILNS1_3genE5ELNS1_11target_archE942ELNS1_3gpuE9ELNS1_3repE0EEENS1_30default_config_static_selectorELNS0_4arch9wavefront6targetE0EEEvSY_ ; -- Begin function _ZN7rocprim17ROCPRIM_400000_NS6detail17trampoline_kernelINS0_13select_configILj256ELj13ELNS0_17block_load_methodE3ELS4_3ELS4_3ELNS0_20block_scan_algorithmE0ELj4294967295EEENS1_25partition_config_selectorILNS1_17partition_subalgoE3EjNS0_10empty_typeEbEEZZNS1_14partition_implILS8_3ELb0ES6_jNS0_17counting_iteratorIjlEEPS9_SE_NS0_5tupleIJPjSE_EEENSF_IJSE_SE_EEES9_SG_JZNS1_25segmented_radix_sort_implINS0_14default_configELb0EPKbPbPKlPlN2at6native12_GLOBAL__N_18offset_tEEE10hipError_tPvRmT1_PNSt15iterator_traitsISY_E10value_typeET2_T3_PNSZ_IS14_E10value_typeET4_jRbjT5_S1A_jjP12ihipStream_tbEUljE_EEESV_SW_SX_S14_S18_S1A_T6_T7_T9_mT8_S1C_bDpT10_ENKUlT_T0_E_clISt17integral_constantIbLb1EES1O_IbLb0EEEEDaS1K_S1L_EUlS1K_E_NS1_11comp_targetILNS1_3genE5ELNS1_11target_archE942ELNS1_3gpuE9ELNS1_3repE0EEENS1_30default_config_static_selectorELNS0_4arch9wavefront6targetE0EEEvSY_
	.p2align	8
	.type	_ZN7rocprim17ROCPRIM_400000_NS6detail17trampoline_kernelINS0_13select_configILj256ELj13ELNS0_17block_load_methodE3ELS4_3ELS4_3ELNS0_20block_scan_algorithmE0ELj4294967295EEENS1_25partition_config_selectorILNS1_17partition_subalgoE3EjNS0_10empty_typeEbEEZZNS1_14partition_implILS8_3ELb0ES6_jNS0_17counting_iteratorIjlEEPS9_SE_NS0_5tupleIJPjSE_EEENSF_IJSE_SE_EEES9_SG_JZNS1_25segmented_radix_sort_implINS0_14default_configELb0EPKbPbPKlPlN2at6native12_GLOBAL__N_18offset_tEEE10hipError_tPvRmT1_PNSt15iterator_traitsISY_E10value_typeET2_T3_PNSZ_IS14_E10value_typeET4_jRbjT5_S1A_jjP12ihipStream_tbEUljE_EEESV_SW_SX_S14_S18_S1A_T6_T7_T9_mT8_S1C_bDpT10_ENKUlT_T0_E_clISt17integral_constantIbLb1EES1O_IbLb0EEEEDaS1K_S1L_EUlS1K_E_NS1_11comp_targetILNS1_3genE5ELNS1_11target_archE942ELNS1_3gpuE9ELNS1_3repE0EEENS1_30default_config_static_selectorELNS0_4arch9wavefront6targetE0EEEvSY_,@function
_ZN7rocprim17ROCPRIM_400000_NS6detail17trampoline_kernelINS0_13select_configILj256ELj13ELNS0_17block_load_methodE3ELS4_3ELS4_3ELNS0_20block_scan_algorithmE0ELj4294967295EEENS1_25partition_config_selectorILNS1_17partition_subalgoE3EjNS0_10empty_typeEbEEZZNS1_14partition_implILS8_3ELb0ES6_jNS0_17counting_iteratorIjlEEPS9_SE_NS0_5tupleIJPjSE_EEENSF_IJSE_SE_EEES9_SG_JZNS1_25segmented_radix_sort_implINS0_14default_configELb0EPKbPbPKlPlN2at6native12_GLOBAL__N_18offset_tEEE10hipError_tPvRmT1_PNSt15iterator_traitsISY_E10value_typeET2_T3_PNSZ_IS14_E10value_typeET4_jRbjT5_S1A_jjP12ihipStream_tbEUljE_EEESV_SW_SX_S14_S18_S1A_T6_T7_T9_mT8_S1C_bDpT10_ENKUlT_T0_E_clISt17integral_constantIbLb1EES1O_IbLb0EEEEDaS1K_S1L_EUlS1K_E_NS1_11comp_targetILNS1_3genE5ELNS1_11target_archE942ELNS1_3gpuE9ELNS1_3repE0EEENS1_30default_config_static_selectorELNS0_4arch9wavefront6targetE0EEEvSY_: ; @_ZN7rocprim17ROCPRIM_400000_NS6detail17trampoline_kernelINS0_13select_configILj256ELj13ELNS0_17block_load_methodE3ELS4_3ELS4_3ELNS0_20block_scan_algorithmE0ELj4294967295EEENS1_25partition_config_selectorILNS1_17partition_subalgoE3EjNS0_10empty_typeEbEEZZNS1_14partition_implILS8_3ELb0ES6_jNS0_17counting_iteratorIjlEEPS9_SE_NS0_5tupleIJPjSE_EEENSF_IJSE_SE_EEES9_SG_JZNS1_25segmented_radix_sort_implINS0_14default_configELb0EPKbPbPKlPlN2at6native12_GLOBAL__N_18offset_tEEE10hipError_tPvRmT1_PNSt15iterator_traitsISY_E10value_typeET2_T3_PNSZ_IS14_E10value_typeET4_jRbjT5_S1A_jjP12ihipStream_tbEUljE_EEESV_SW_SX_S14_S18_S1A_T6_T7_T9_mT8_S1C_bDpT10_ENKUlT_T0_E_clISt17integral_constantIbLb1EES1O_IbLb0EEEEDaS1K_S1L_EUlS1K_E_NS1_11comp_targetILNS1_3genE5ELNS1_11target_archE942ELNS1_3gpuE9ELNS1_3repE0EEENS1_30default_config_static_selectorELNS0_4arch9wavefront6targetE0EEEvSY_
; %bb.0:
	.section	.rodata,"a",@progbits
	.p2align	6, 0x0
	.amdhsa_kernel _ZN7rocprim17ROCPRIM_400000_NS6detail17trampoline_kernelINS0_13select_configILj256ELj13ELNS0_17block_load_methodE3ELS4_3ELS4_3ELNS0_20block_scan_algorithmE0ELj4294967295EEENS1_25partition_config_selectorILNS1_17partition_subalgoE3EjNS0_10empty_typeEbEEZZNS1_14partition_implILS8_3ELb0ES6_jNS0_17counting_iteratorIjlEEPS9_SE_NS0_5tupleIJPjSE_EEENSF_IJSE_SE_EEES9_SG_JZNS1_25segmented_radix_sort_implINS0_14default_configELb0EPKbPbPKlPlN2at6native12_GLOBAL__N_18offset_tEEE10hipError_tPvRmT1_PNSt15iterator_traitsISY_E10value_typeET2_T3_PNSZ_IS14_E10value_typeET4_jRbjT5_S1A_jjP12ihipStream_tbEUljE_EEESV_SW_SX_S14_S18_S1A_T6_T7_T9_mT8_S1C_bDpT10_ENKUlT_T0_E_clISt17integral_constantIbLb1EES1O_IbLb0EEEEDaS1K_S1L_EUlS1K_E_NS1_11comp_targetILNS1_3genE5ELNS1_11target_archE942ELNS1_3gpuE9ELNS1_3repE0EEENS1_30default_config_static_selectorELNS0_4arch9wavefront6targetE0EEEvSY_
		.amdhsa_group_segment_fixed_size 0
		.amdhsa_private_segment_fixed_size 0
		.amdhsa_kernarg_size 144
		.amdhsa_user_sgpr_count 6
		.amdhsa_user_sgpr_private_segment_buffer 1
		.amdhsa_user_sgpr_dispatch_ptr 0
		.amdhsa_user_sgpr_queue_ptr 0
		.amdhsa_user_sgpr_kernarg_segment_ptr 1
		.amdhsa_user_sgpr_dispatch_id 0
		.amdhsa_user_sgpr_flat_scratch_init 0
		.amdhsa_user_sgpr_private_segment_size 0
		.amdhsa_wavefront_size32 1
		.amdhsa_uses_dynamic_stack 0
		.amdhsa_system_sgpr_private_segment_wavefront_offset 0
		.amdhsa_system_sgpr_workgroup_id_x 1
		.amdhsa_system_sgpr_workgroup_id_y 0
		.amdhsa_system_sgpr_workgroup_id_z 0
		.amdhsa_system_sgpr_workgroup_info 0
		.amdhsa_system_vgpr_workitem_id 0
		.amdhsa_next_free_vgpr 1
		.amdhsa_next_free_sgpr 1
		.amdhsa_reserve_vcc 0
		.amdhsa_reserve_flat_scratch 0
		.amdhsa_float_round_mode_32 0
		.amdhsa_float_round_mode_16_64 0
		.amdhsa_float_denorm_mode_32 3
		.amdhsa_float_denorm_mode_16_64 3
		.amdhsa_dx10_clamp 1
		.amdhsa_ieee_mode 1
		.amdhsa_fp16_overflow 0
		.amdhsa_workgroup_processor_mode 1
		.amdhsa_memory_ordered 1
		.amdhsa_forward_progress 1
		.amdhsa_shared_vgpr_count 0
		.amdhsa_exception_fp_ieee_invalid_op 0
		.amdhsa_exception_fp_denorm_src 0
		.amdhsa_exception_fp_ieee_div_zero 0
		.amdhsa_exception_fp_ieee_overflow 0
		.amdhsa_exception_fp_ieee_underflow 0
		.amdhsa_exception_fp_ieee_inexact 0
		.amdhsa_exception_int_div_zero 0
	.end_amdhsa_kernel
	.section	.text._ZN7rocprim17ROCPRIM_400000_NS6detail17trampoline_kernelINS0_13select_configILj256ELj13ELNS0_17block_load_methodE3ELS4_3ELS4_3ELNS0_20block_scan_algorithmE0ELj4294967295EEENS1_25partition_config_selectorILNS1_17partition_subalgoE3EjNS0_10empty_typeEbEEZZNS1_14partition_implILS8_3ELb0ES6_jNS0_17counting_iteratorIjlEEPS9_SE_NS0_5tupleIJPjSE_EEENSF_IJSE_SE_EEES9_SG_JZNS1_25segmented_radix_sort_implINS0_14default_configELb0EPKbPbPKlPlN2at6native12_GLOBAL__N_18offset_tEEE10hipError_tPvRmT1_PNSt15iterator_traitsISY_E10value_typeET2_T3_PNSZ_IS14_E10value_typeET4_jRbjT5_S1A_jjP12ihipStream_tbEUljE_EEESV_SW_SX_S14_S18_S1A_T6_T7_T9_mT8_S1C_bDpT10_ENKUlT_T0_E_clISt17integral_constantIbLb1EES1O_IbLb0EEEEDaS1K_S1L_EUlS1K_E_NS1_11comp_targetILNS1_3genE5ELNS1_11target_archE942ELNS1_3gpuE9ELNS1_3repE0EEENS1_30default_config_static_selectorELNS0_4arch9wavefront6targetE0EEEvSY_,"axG",@progbits,_ZN7rocprim17ROCPRIM_400000_NS6detail17trampoline_kernelINS0_13select_configILj256ELj13ELNS0_17block_load_methodE3ELS4_3ELS4_3ELNS0_20block_scan_algorithmE0ELj4294967295EEENS1_25partition_config_selectorILNS1_17partition_subalgoE3EjNS0_10empty_typeEbEEZZNS1_14partition_implILS8_3ELb0ES6_jNS0_17counting_iteratorIjlEEPS9_SE_NS0_5tupleIJPjSE_EEENSF_IJSE_SE_EEES9_SG_JZNS1_25segmented_radix_sort_implINS0_14default_configELb0EPKbPbPKlPlN2at6native12_GLOBAL__N_18offset_tEEE10hipError_tPvRmT1_PNSt15iterator_traitsISY_E10value_typeET2_T3_PNSZ_IS14_E10value_typeET4_jRbjT5_S1A_jjP12ihipStream_tbEUljE_EEESV_SW_SX_S14_S18_S1A_T6_T7_T9_mT8_S1C_bDpT10_ENKUlT_T0_E_clISt17integral_constantIbLb1EES1O_IbLb0EEEEDaS1K_S1L_EUlS1K_E_NS1_11comp_targetILNS1_3genE5ELNS1_11target_archE942ELNS1_3gpuE9ELNS1_3repE0EEENS1_30default_config_static_selectorELNS0_4arch9wavefront6targetE0EEEvSY_,comdat
.Lfunc_end1611:
	.size	_ZN7rocprim17ROCPRIM_400000_NS6detail17trampoline_kernelINS0_13select_configILj256ELj13ELNS0_17block_load_methodE3ELS4_3ELS4_3ELNS0_20block_scan_algorithmE0ELj4294967295EEENS1_25partition_config_selectorILNS1_17partition_subalgoE3EjNS0_10empty_typeEbEEZZNS1_14partition_implILS8_3ELb0ES6_jNS0_17counting_iteratorIjlEEPS9_SE_NS0_5tupleIJPjSE_EEENSF_IJSE_SE_EEES9_SG_JZNS1_25segmented_radix_sort_implINS0_14default_configELb0EPKbPbPKlPlN2at6native12_GLOBAL__N_18offset_tEEE10hipError_tPvRmT1_PNSt15iterator_traitsISY_E10value_typeET2_T3_PNSZ_IS14_E10value_typeET4_jRbjT5_S1A_jjP12ihipStream_tbEUljE_EEESV_SW_SX_S14_S18_S1A_T6_T7_T9_mT8_S1C_bDpT10_ENKUlT_T0_E_clISt17integral_constantIbLb1EES1O_IbLb0EEEEDaS1K_S1L_EUlS1K_E_NS1_11comp_targetILNS1_3genE5ELNS1_11target_archE942ELNS1_3gpuE9ELNS1_3repE0EEENS1_30default_config_static_selectorELNS0_4arch9wavefront6targetE0EEEvSY_, .Lfunc_end1611-_ZN7rocprim17ROCPRIM_400000_NS6detail17trampoline_kernelINS0_13select_configILj256ELj13ELNS0_17block_load_methodE3ELS4_3ELS4_3ELNS0_20block_scan_algorithmE0ELj4294967295EEENS1_25partition_config_selectorILNS1_17partition_subalgoE3EjNS0_10empty_typeEbEEZZNS1_14partition_implILS8_3ELb0ES6_jNS0_17counting_iteratorIjlEEPS9_SE_NS0_5tupleIJPjSE_EEENSF_IJSE_SE_EEES9_SG_JZNS1_25segmented_radix_sort_implINS0_14default_configELb0EPKbPbPKlPlN2at6native12_GLOBAL__N_18offset_tEEE10hipError_tPvRmT1_PNSt15iterator_traitsISY_E10value_typeET2_T3_PNSZ_IS14_E10value_typeET4_jRbjT5_S1A_jjP12ihipStream_tbEUljE_EEESV_SW_SX_S14_S18_S1A_T6_T7_T9_mT8_S1C_bDpT10_ENKUlT_T0_E_clISt17integral_constantIbLb1EES1O_IbLb0EEEEDaS1K_S1L_EUlS1K_E_NS1_11comp_targetILNS1_3genE5ELNS1_11target_archE942ELNS1_3gpuE9ELNS1_3repE0EEENS1_30default_config_static_selectorELNS0_4arch9wavefront6targetE0EEEvSY_
                                        ; -- End function
	.set _ZN7rocprim17ROCPRIM_400000_NS6detail17trampoline_kernelINS0_13select_configILj256ELj13ELNS0_17block_load_methodE3ELS4_3ELS4_3ELNS0_20block_scan_algorithmE0ELj4294967295EEENS1_25partition_config_selectorILNS1_17partition_subalgoE3EjNS0_10empty_typeEbEEZZNS1_14partition_implILS8_3ELb0ES6_jNS0_17counting_iteratorIjlEEPS9_SE_NS0_5tupleIJPjSE_EEENSF_IJSE_SE_EEES9_SG_JZNS1_25segmented_radix_sort_implINS0_14default_configELb0EPKbPbPKlPlN2at6native12_GLOBAL__N_18offset_tEEE10hipError_tPvRmT1_PNSt15iterator_traitsISY_E10value_typeET2_T3_PNSZ_IS14_E10value_typeET4_jRbjT5_S1A_jjP12ihipStream_tbEUljE_EEESV_SW_SX_S14_S18_S1A_T6_T7_T9_mT8_S1C_bDpT10_ENKUlT_T0_E_clISt17integral_constantIbLb1EES1O_IbLb0EEEEDaS1K_S1L_EUlS1K_E_NS1_11comp_targetILNS1_3genE5ELNS1_11target_archE942ELNS1_3gpuE9ELNS1_3repE0EEENS1_30default_config_static_selectorELNS0_4arch9wavefront6targetE0EEEvSY_.num_vgpr, 0
	.set _ZN7rocprim17ROCPRIM_400000_NS6detail17trampoline_kernelINS0_13select_configILj256ELj13ELNS0_17block_load_methodE3ELS4_3ELS4_3ELNS0_20block_scan_algorithmE0ELj4294967295EEENS1_25partition_config_selectorILNS1_17partition_subalgoE3EjNS0_10empty_typeEbEEZZNS1_14partition_implILS8_3ELb0ES6_jNS0_17counting_iteratorIjlEEPS9_SE_NS0_5tupleIJPjSE_EEENSF_IJSE_SE_EEES9_SG_JZNS1_25segmented_radix_sort_implINS0_14default_configELb0EPKbPbPKlPlN2at6native12_GLOBAL__N_18offset_tEEE10hipError_tPvRmT1_PNSt15iterator_traitsISY_E10value_typeET2_T3_PNSZ_IS14_E10value_typeET4_jRbjT5_S1A_jjP12ihipStream_tbEUljE_EEESV_SW_SX_S14_S18_S1A_T6_T7_T9_mT8_S1C_bDpT10_ENKUlT_T0_E_clISt17integral_constantIbLb1EES1O_IbLb0EEEEDaS1K_S1L_EUlS1K_E_NS1_11comp_targetILNS1_3genE5ELNS1_11target_archE942ELNS1_3gpuE9ELNS1_3repE0EEENS1_30default_config_static_selectorELNS0_4arch9wavefront6targetE0EEEvSY_.num_agpr, 0
	.set _ZN7rocprim17ROCPRIM_400000_NS6detail17trampoline_kernelINS0_13select_configILj256ELj13ELNS0_17block_load_methodE3ELS4_3ELS4_3ELNS0_20block_scan_algorithmE0ELj4294967295EEENS1_25partition_config_selectorILNS1_17partition_subalgoE3EjNS0_10empty_typeEbEEZZNS1_14partition_implILS8_3ELb0ES6_jNS0_17counting_iteratorIjlEEPS9_SE_NS0_5tupleIJPjSE_EEENSF_IJSE_SE_EEES9_SG_JZNS1_25segmented_radix_sort_implINS0_14default_configELb0EPKbPbPKlPlN2at6native12_GLOBAL__N_18offset_tEEE10hipError_tPvRmT1_PNSt15iterator_traitsISY_E10value_typeET2_T3_PNSZ_IS14_E10value_typeET4_jRbjT5_S1A_jjP12ihipStream_tbEUljE_EEESV_SW_SX_S14_S18_S1A_T6_T7_T9_mT8_S1C_bDpT10_ENKUlT_T0_E_clISt17integral_constantIbLb1EES1O_IbLb0EEEEDaS1K_S1L_EUlS1K_E_NS1_11comp_targetILNS1_3genE5ELNS1_11target_archE942ELNS1_3gpuE9ELNS1_3repE0EEENS1_30default_config_static_selectorELNS0_4arch9wavefront6targetE0EEEvSY_.numbered_sgpr, 0
	.set _ZN7rocprim17ROCPRIM_400000_NS6detail17trampoline_kernelINS0_13select_configILj256ELj13ELNS0_17block_load_methodE3ELS4_3ELS4_3ELNS0_20block_scan_algorithmE0ELj4294967295EEENS1_25partition_config_selectorILNS1_17partition_subalgoE3EjNS0_10empty_typeEbEEZZNS1_14partition_implILS8_3ELb0ES6_jNS0_17counting_iteratorIjlEEPS9_SE_NS0_5tupleIJPjSE_EEENSF_IJSE_SE_EEES9_SG_JZNS1_25segmented_radix_sort_implINS0_14default_configELb0EPKbPbPKlPlN2at6native12_GLOBAL__N_18offset_tEEE10hipError_tPvRmT1_PNSt15iterator_traitsISY_E10value_typeET2_T3_PNSZ_IS14_E10value_typeET4_jRbjT5_S1A_jjP12ihipStream_tbEUljE_EEESV_SW_SX_S14_S18_S1A_T6_T7_T9_mT8_S1C_bDpT10_ENKUlT_T0_E_clISt17integral_constantIbLb1EES1O_IbLb0EEEEDaS1K_S1L_EUlS1K_E_NS1_11comp_targetILNS1_3genE5ELNS1_11target_archE942ELNS1_3gpuE9ELNS1_3repE0EEENS1_30default_config_static_selectorELNS0_4arch9wavefront6targetE0EEEvSY_.num_named_barrier, 0
	.set _ZN7rocprim17ROCPRIM_400000_NS6detail17trampoline_kernelINS0_13select_configILj256ELj13ELNS0_17block_load_methodE3ELS4_3ELS4_3ELNS0_20block_scan_algorithmE0ELj4294967295EEENS1_25partition_config_selectorILNS1_17partition_subalgoE3EjNS0_10empty_typeEbEEZZNS1_14partition_implILS8_3ELb0ES6_jNS0_17counting_iteratorIjlEEPS9_SE_NS0_5tupleIJPjSE_EEENSF_IJSE_SE_EEES9_SG_JZNS1_25segmented_radix_sort_implINS0_14default_configELb0EPKbPbPKlPlN2at6native12_GLOBAL__N_18offset_tEEE10hipError_tPvRmT1_PNSt15iterator_traitsISY_E10value_typeET2_T3_PNSZ_IS14_E10value_typeET4_jRbjT5_S1A_jjP12ihipStream_tbEUljE_EEESV_SW_SX_S14_S18_S1A_T6_T7_T9_mT8_S1C_bDpT10_ENKUlT_T0_E_clISt17integral_constantIbLb1EES1O_IbLb0EEEEDaS1K_S1L_EUlS1K_E_NS1_11comp_targetILNS1_3genE5ELNS1_11target_archE942ELNS1_3gpuE9ELNS1_3repE0EEENS1_30default_config_static_selectorELNS0_4arch9wavefront6targetE0EEEvSY_.private_seg_size, 0
	.set _ZN7rocprim17ROCPRIM_400000_NS6detail17trampoline_kernelINS0_13select_configILj256ELj13ELNS0_17block_load_methodE3ELS4_3ELS4_3ELNS0_20block_scan_algorithmE0ELj4294967295EEENS1_25partition_config_selectorILNS1_17partition_subalgoE3EjNS0_10empty_typeEbEEZZNS1_14partition_implILS8_3ELb0ES6_jNS0_17counting_iteratorIjlEEPS9_SE_NS0_5tupleIJPjSE_EEENSF_IJSE_SE_EEES9_SG_JZNS1_25segmented_radix_sort_implINS0_14default_configELb0EPKbPbPKlPlN2at6native12_GLOBAL__N_18offset_tEEE10hipError_tPvRmT1_PNSt15iterator_traitsISY_E10value_typeET2_T3_PNSZ_IS14_E10value_typeET4_jRbjT5_S1A_jjP12ihipStream_tbEUljE_EEESV_SW_SX_S14_S18_S1A_T6_T7_T9_mT8_S1C_bDpT10_ENKUlT_T0_E_clISt17integral_constantIbLb1EES1O_IbLb0EEEEDaS1K_S1L_EUlS1K_E_NS1_11comp_targetILNS1_3genE5ELNS1_11target_archE942ELNS1_3gpuE9ELNS1_3repE0EEENS1_30default_config_static_selectorELNS0_4arch9wavefront6targetE0EEEvSY_.uses_vcc, 0
	.set _ZN7rocprim17ROCPRIM_400000_NS6detail17trampoline_kernelINS0_13select_configILj256ELj13ELNS0_17block_load_methodE3ELS4_3ELS4_3ELNS0_20block_scan_algorithmE0ELj4294967295EEENS1_25partition_config_selectorILNS1_17partition_subalgoE3EjNS0_10empty_typeEbEEZZNS1_14partition_implILS8_3ELb0ES6_jNS0_17counting_iteratorIjlEEPS9_SE_NS0_5tupleIJPjSE_EEENSF_IJSE_SE_EEES9_SG_JZNS1_25segmented_radix_sort_implINS0_14default_configELb0EPKbPbPKlPlN2at6native12_GLOBAL__N_18offset_tEEE10hipError_tPvRmT1_PNSt15iterator_traitsISY_E10value_typeET2_T3_PNSZ_IS14_E10value_typeET4_jRbjT5_S1A_jjP12ihipStream_tbEUljE_EEESV_SW_SX_S14_S18_S1A_T6_T7_T9_mT8_S1C_bDpT10_ENKUlT_T0_E_clISt17integral_constantIbLb1EES1O_IbLb0EEEEDaS1K_S1L_EUlS1K_E_NS1_11comp_targetILNS1_3genE5ELNS1_11target_archE942ELNS1_3gpuE9ELNS1_3repE0EEENS1_30default_config_static_selectorELNS0_4arch9wavefront6targetE0EEEvSY_.uses_flat_scratch, 0
	.set _ZN7rocprim17ROCPRIM_400000_NS6detail17trampoline_kernelINS0_13select_configILj256ELj13ELNS0_17block_load_methodE3ELS4_3ELS4_3ELNS0_20block_scan_algorithmE0ELj4294967295EEENS1_25partition_config_selectorILNS1_17partition_subalgoE3EjNS0_10empty_typeEbEEZZNS1_14partition_implILS8_3ELb0ES6_jNS0_17counting_iteratorIjlEEPS9_SE_NS0_5tupleIJPjSE_EEENSF_IJSE_SE_EEES9_SG_JZNS1_25segmented_radix_sort_implINS0_14default_configELb0EPKbPbPKlPlN2at6native12_GLOBAL__N_18offset_tEEE10hipError_tPvRmT1_PNSt15iterator_traitsISY_E10value_typeET2_T3_PNSZ_IS14_E10value_typeET4_jRbjT5_S1A_jjP12ihipStream_tbEUljE_EEESV_SW_SX_S14_S18_S1A_T6_T7_T9_mT8_S1C_bDpT10_ENKUlT_T0_E_clISt17integral_constantIbLb1EES1O_IbLb0EEEEDaS1K_S1L_EUlS1K_E_NS1_11comp_targetILNS1_3genE5ELNS1_11target_archE942ELNS1_3gpuE9ELNS1_3repE0EEENS1_30default_config_static_selectorELNS0_4arch9wavefront6targetE0EEEvSY_.has_dyn_sized_stack, 0
	.set _ZN7rocprim17ROCPRIM_400000_NS6detail17trampoline_kernelINS0_13select_configILj256ELj13ELNS0_17block_load_methodE3ELS4_3ELS4_3ELNS0_20block_scan_algorithmE0ELj4294967295EEENS1_25partition_config_selectorILNS1_17partition_subalgoE3EjNS0_10empty_typeEbEEZZNS1_14partition_implILS8_3ELb0ES6_jNS0_17counting_iteratorIjlEEPS9_SE_NS0_5tupleIJPjSE_EEENSF_IJSE_SE_EEES9_SG_JZNS1_25segmented_radix_sort_implINS0_14default_configELb0EPKbPbPKlPlN2at6native12_GLOBAL__N_18offset_tEEE10hipError_tPvRmT1_PNSt15iterator_traitsISY_E10value_typeET2_T3_PNSZ_IS14_E10value_typeET4_jRbjT5_S1A_jjP12ihipStream_tbEUljE_EEESV_SW_SX_S14_S18_S1A_T6_T7_T9_mT8_S1C_bDpT10_ENKUlT_T0_E_clISt17integral_constantIbLb1EES1O_IbLb0EEEEDaS1K_S1L_EUlS1K_E_NS1_11comp_targetILNS1_3genE5ELNS1_11target_archE942ELNS1_3gpuE9ELNS1_3repE0EEENS1_30default_config_static_selectorELNS0_4arch9wavefront6targetE0EEEvSY_.has_recursion, 0
	.set _ZN7rocprim17ROCPRIM_400000_NS6detail17trampoline_kernelINS0_13select_configILj256ELj13ELNS0_17block_load_methodE3ELS4_3ELS4_3ELNS0_20block_scan_algorithmE0ELj4294967295EEENS1_25partition_config_selectorILNS1_17partition_subalgoE3EjNS0_10empty_typeEbEEZZNS1_14partition_implILS8_3ELb0ES6_jNS0_17counting_iteratorIjlEEPS9_SE_NS0_5tupleIJPjSE_EEENSF_IJSE_SE_EEES9_SG_JZNS1_25segmented_radix_sort_implINS0_14default_configELb0EPKbPbPKlPlN2at6native12_GLOBAL__N_18offset_tEEE10hipError_tPvRmT1_PNSt15iterator_traitsISY_E10value_typeET2_T3_PNSZ_IS14_E10value_typeET4_jRbjT5_S1A_jjP12ihipStream_tbEUljE_EEESV_SW_SX_S14_S18_S1A_T6_T7_T9_mT8_S1C_bDpT10_ENKUlT_T0_E_clISt17integral_constantIbLb1EES1O_IbLb0EEEEDaS1K_S1L_EUlS1K_E_NS1_11comp_targetILNS1_3genE5ELNS1_11target_archE942ELNS1_3gpuE9ELNS1_3repE0EEENS1_30default_config_static_selectorELNS0_4arch9wavefront6targetE0EEEvSY_.has_indirect_call, 0
	.section	.AMDGPU.csdata,"",@progbits
; Kernel info:
; codeLenInByte = 0
; TotalNumSgprs: 0
; NumVgprs: 0
; ScratchSize: 0
; MemoryBound: 0
; FloatMode: 240
; IeeeMode: 1
; LDSByteSize: 0 bytes/workgroup (compile time only)
; SGPRBlocks: 0
; VGPRBlocks: 0
; NumSGPRsForWavesPerEU: 1
; NumVGPRsForWavesPerEU: 1
; Occupancy: 16
; WaveLimiterHint : 0
; COMPUTE_PGM_RSRC2:SCRATCH_EN: 0
; COMPUTE_PGM_RSRC2:USER_SGPR: 6
; COMPUTE_PGM_RSRC2:TRAP_HANDLER: 0
; COMPUTE_PGM_RSRC2:TGID_X_EN: 1
; COMPUTE_PGM_RSRC2:TGID_Y_EN: 0
; COMPUTE_PGM_RSRC2:TGID_Z_EN: 0
; COMPUTE_PGM_RSRC2:TIDIG_COMP_CNT: 0
	.section	.text._ZN7rocprim17ROCPRIM_400000_NS6detail17trampoline_kernelINS0_13select_configILj256ELj13ELNS0_17block_load_methodE3ELS4_3ELS4_3ELNS0_20block_scan_algorithmE0ELj4294967295EEENS1_25partition_config_selectorILNS1_17partition_subalgoE3EjNS0_10empty_typeEbEEZZNS1_14partition_implILS8_3ELb0ES6_jNS0_17counting_iteratorIjlEEPS9_SE_NS0_5tupleIJPjSE_EEENSF_IJSE_SE_EEES9_SG_JZNS1_25segmented_radix_sort_implINS0_14default_configELb0EPKbPbPKlPlN2at6native12_GLOBAL__N_18offset_tEEE10hipError_tPvRmT1_PNSt15iterator_traitsISY_E10value_typeET2_T3_PNSZ_IS14_E10value_typeET4_jRbjT5_S1A_jjP12ihipStream_tbEUljE_EEESV_SW_SX_S14_S18_S1A_T6_T7_T9_mT8_S1C_bDpT10_ENKUlT_T0_E_clISt17integral_constantIbLb1EES1O_IbLb0EEEEDaS1K_S1L_EUlS1K_E_NS1_11comp_targetILNS1_3genE4ELNS1_11target_archE910ELNS1_3gpuE8ELNS1_3repE0EEENS1_30default_config_static_selectorELNS0_4arch9wavefront6targetE0EEEvSY_,"axG",@progbits,_ZN7rocprim17ROCPRIM_400000_NS6detail17trampoline_kernelINS0_13select_configILj256ELj13ELNS0_17block_load_methodE3ELS4_3ELS4_3ELNS0_20block_scan_algorithmE0ELj4294967295EEENS1_25partition_config_selectorILNS1_17partition_subalgoE3EjNS0_10empty_typeEbEEZZNS1_14partition_implILS8_3ELb0ES6_jNS0_17counting_iteratorIjlEEPS9_SE_NS0_5tupleIJPjSE_EEENSF_IJSE_SE_EEES9_SG_JZNS1_25segmented_radix_sort_implINS0_14default_configELb0EPKbPbPKlPlN2at6native12_GLOBAL__N_18offset_tEEE10hipError_tPvRmT1_PNSt15iterator_traitsISY_E10value_typeET2_T3_PNSZ_IS14_E10value_typeET4_jRbjT5_S1A_jjP12ihipStream_tbEUljE_EEESV_SW_SX_S14_S18_S1A_T6_T7_T9_mT8_S1C_bDpT10_ENKUlT_T0_E_clISt17integral_constantIbLb1EES1O_IbLb0EEEEDaS1K_S1L_EUlS1K_E_NS1_11comp_targetILNS1_3genE4ELNS1_11target_archE910ELNS1_3gpuE8ELNS1_3repE0EEENS1_30default_config_static_selectorELNS0_4arch9wavefront6targetE0EEEvSY_,comdat
	.globl	_ZN7rocprim17ROCPRIM_400000_NS6detail17trampoline_kernelINS0_13select_configILj256ELj13ELNS0_17block_load_methodE3ELS4_3ELS4_3ELNS0_20block_scan_algorithmE0ELj4294967295EEENS1_25partition_config_selectorILNS1_17partition_subalgoE3EjNS0_10empty_typeEbEEZZNS1_14partition_implILS8_3ELb0ES6_jNS0_17counting_iteratorIjlEEPS9_SE_NS0_5tupleIJPjSE_EEENSF_IJSE_SE_EEES9_SG_JZNS1_25segmented_radix_sort_implINS0_14default_configELb0EPKbPbPKlPlN2at6native12_GLOBAL__N_18offset_tEEE10hipError_tPvRmT1_PNSt15iterator_traitsISY_E10value_typeET2_T3_PNSZ_IS14_E10value_typeET4_jRbjT5_S1A_jjP12ihipStream_tbEUljE_EEESV_SW_SX_S14_S18_S1A_T6_T7_T9_mT8_S1C_bDpT10_ENKUlT_T0_E_clISt17integral_constantIbLb1EES1O_IbLb0EEEEDaS1K_S1L_EUlS1K_E_NS1_11comp_targetILNS1_3genE4ELNS1_11target_archE910ELNS1_3gpuE8ELNS1_3repE0EEENS1_30default_config_static_selectorELNS0_4arch9wavefront6targetE0EEEvSY_ ; -- Begin function _ZN7rocprim17ROCPRIM_400000_NS6detail17trampoline_kernelINS0_13select_configILj256ELj13ELNS0_17block_load_methodE3ELS4_3ELS4_3ELNS0_20block_scan_algorithmE0ELj4294967295EEENS1_25partition_config_selectorILNS1_17partition_subalgoE3EjNS0_10empty_typeEbEEZZNS1_14partition_implILS8_3ELb0ES6_jNS0_17counting_iteratorIjlEEPS9_SE_NS0_5tupleIJPjSE_EEENSF_IJSE_SE_EEES9_SG_JZNS1_25segmented_radix_sort_implINS0_14default_configELb0EPKbPbPKlPlN2at6native12_GLOBAL__N_18offset_tEEE10hipError_tPvRmT1_PNSt15iterator_traitsISY_E10value_typeET2_T3_PNSZ_IS14_E10value_typeET4_jRbjT5_S1A_jjP12ihipStream_tbEUljE_EEESV_SW_SX_S14_S18_S1A_T6_T7_T9_mT8_S1C_bDpT10_ENKUlT_T0_E_clISt17integral_constantIbLb1EES1O_IbLb0EEEEDaS1K_S1L_EUlS1K_E_NS1_11comp_targetILNS1_3genE4ELNS1_11target_archE910ELNS1_3gpuE8ELNS1_3repE0EEENS1_30default_config_static_selectorELNS0_4arch9wavefront6targetE0EEEvSY_
	.p2align	8
	.type	_ZN7rocprim17ROCPRIM_400000_NS6detail17trampoline_kernelINS0_13select_configILj256ELj13ELNS0_17block_load_methodE3ELS4_3ELS4_3ELNS0_20block_scan_algorithmE0ELj4294967295EEENS1_25partition_config_selectorILNS1_17partition_subalgoE3EjNS0_10empty_typeEbEEZZNS1_14partition_implILS8_3ELb0ES6_jNS0_17counting_iteratorIjlEEPS9_SE_NS0_5tupleIJPjSE_EEENSF_IJSE_SE_EEES9_SG_JZNS1_25segmented_radix_sort_implINS0_14default_configELb0EPKbPbPKlPlN2at6native12_GLOBAL__N_18offset_tEEE10hipError_tPvRmT1_PNSt15iterator_traitsISY_E10value_typeET2_T3_PNSZ_IS14_E10value_typeET4_jRbjT5_S1A_jjP12ihipStream_tbEUljE_EEESV_SW_SX_S14_S18_S1A_T6_T7_T9_mT8_S1C_bDpT10_ENKUlT_T0_E_clISt17integral_constantIbLb1EES1O_IbLb0EEEEDaS1K_S1L_EUlS1K_E_NS1_11comp_targetILNS1_3genE4ELNS1_11target_archE910ELNS1_3gpuE8ELNS1_3repE0EEENS1_30default_config_static_selectorELNS0_4arch9wavefront6targetE0EEEvSY_,@function
_ZN7rocprim17ROCPRIM_400000_NS6detail17trampoline_kernelINS0_13select_configILj256ELj13ELNS0_17block_load_methodE3ELS4_3ELS4_3ELNS0_20block_scan_algorithmE0ELj4294967295EEENS1_25partition_config_selectorILNS1_17partition_subalgoE3EjNS0_10empty_typeEbEEZZNS1_14partition_implILS8_3ELb0ES6_jNS0_17counting_iteratorIjlEEPS9_SE_NS0_5tupleIJPjSE_EEENSF_IJSE_SE_EEES9_SG_JZNS1_25segmented_radix_sort_implINS0_14default_configELb0EPKbPbPKlPlN2at6native12_GLOBAL__N_18offset_tEEE10hipError_tPvRmT1_PNSt15iterator_traitsISY_E10value_typeET2_T3_PNSZ_IS14_E10value_typeET4_jRbjT5_S1A_jjP12ihipStream_tbEUljE_EEESV_SW_SX_S14_S18_S1A_T6_T7_T9_mT8_S1C_bDpT10_ENKUlT_T0_E_clISt17integral_constantIbLb1EES1O_IbLb0EEEEDaS1K_S1L_EUlS1K_E_NS1_11comp_targetILNS1_3genE4ELNS1_11target_archE910ELNS1_3gpuE8ELNS1_3repE0EEENS1_30default_config_static_selectorELNS0_4arch9wavefront6targetE0EEEvSY_: ; @_ZN7rocprim17ROCPRIM_400000_NS6detail17trampoline_kernelINS0_13select_configILj256ELj13ELNS0_17block_load_methodE3ELS4_3ELS4_3ELNS0_20block_scan_algorithmE0ELj4294967295EEENS1_25partition_config_selectorILNS1_17partition_subalgoE3EjNS0_10empty_typeEbEEZZNS1_14partition_implILS8_3ELb0ES6_jNS0_17counting_iteratorIjlEEPS9_SE_NS0_5tupleIJPjSE_EEENSF_IJSE_SE_EEES9_SG_JZNS1_25segmented_radix_sort_implINS0_14default_configELb0EPKbPbPKlPlN2at6native12_GLOBAL__N_18offset_tEEE10hipError_tPvRmT1_PNSt15iterator_traitsISY_E10value_typeET2_T3_PNSZ_IS14_E10value_typeET4_jRbjT5_S1A_jjP12ihipStream_tbEUljE_EEESV_SW_SX_S14_S18_S1A_T6_T7_T9_mT8_S1C_bDpT10_ENKUlT_T0_E_clISt17integral_constantIbLb1EES1O_IbLb0EEEEDaS1K_S1L_EUlS1K_E_NS1_11comp_targetILNS1_3genE4ELNS1_11target_archE910ELNS1_3gpuE8ELNS1_3repE0EEENS1_30default_config_static_selectorELNS0_4arch9wavefront6targetE0EEEvSY_
; %bb.0:
	.section	.rodata,"a",@progbits
	.p2align	6, 0x0
	.amdhsa_kernel _ZN7rocprim17ROCPRIM_400000_NS6detail17trampoline_kernelINS0_13select_configILj256ELj13ELNS0_17block_load_methodE3ELS4_3ELS4_3ELNS0_20block_scan_algorithmE0ELj4294967295EEENS1_25partition_config_selectorILNS1_17partition_subalgoE3EjNS0_10empty_typeEbEEZZNS1_14partition_implILS8_3ELb0ES6_jNS0_17counting_iteratorIjlEEPS9_SE_NS0_5tupleIJPjSE_EEENSF_IJSE_SE_EEES9_SG_JZNS1_25segmented_radix_sort_implINS0_14default_configELb0EPKbPbPKlPlN2at6native12_GLOBAL__N_18offset_tEEE10hipError_tPvRmT1_PNSt15iterator_traitsISY_E10value_typeET2_T3_PNSZ_IS14_E10value_typeET4_jRbjT5_S1A_jjP12ihipStream_tbEUljE_EEESV_SW_SX_S14_S18_S1A_T6_T7_T9_mT8_S1C_bDpT10_ENKUlT_T0_E_clISt17integral_constantIbLb1EES1O_IbLb0EEEEDaS1K_S1L_EUlS1K_E_NS1_11comp_targetILNS1_3genE4ELNS1_11target_archE910ELNS1_3gpuE8ELNS1_3repE0EEENS1_30default_config_static_selectorELNS0_4arch9wavefront6targetE0EEEvSY_
		.amdhsa_group_segment_fixed_size 0
		.amdhsa_private_segment_fixed_size 0
		.amdhsa_kernarg_size 144
		.amdhsa_user_sgpr_count 6
		.amdhsa_user_sgpr_private_segment_buffer 1
		.amdhsa_user_sgpr_dispatch_ptr 0
		.amdhsa_user_sgpr_queue_ptr 0
		.amdhsa_user_sgpr_kernarg_segment_ptr 1
		.amdhsa_user_sgpr_dispatch_id 0
		.amdhsa_user_sgpr_flat_scratch_init 0
		.amdhsa_user_sgpr_private_segment_size 0
		.amdhsa_wavefront_size32 1
		.amdhsa_uses_dynamic_stack 0
		.amdhsa_system_sgpr_private_segment_wavefront_offset 0
		.amdhsa_system_sgpr_workgroup_id_x 1
		.amdhsa_system_sgpr_workgroup_id_y 0
		.amdhsa_system_sgpr_workgroup_id_z 0
		.amdhsa_system_sgpr_workgroup_info 0
		.amdhsa_system_vgpr_workitem_id 0
		.amdhsa_next_free_vgpr 1
		.amdhsa_next_free_sgpr 1
		.amdhsa_reserve_vcc 0
		.amdhsa_reserve_flat_scratch 0
		.amdhsa_float_round_mode_32 0
		.amdhsa_float_round_mode_16_64 0
		.amdhsa_float_denorm_mode_32 3
		.amdhsa_float_denorm_mode_16_64 3
		.amdhsa_dx10_clamp 1
		.amdhsa_ieee_mode 1
		.amdhsa_fp16_overflow 0
		.amdhsa_workgroup_processor_mode 1
		.amdhsa_memory_ordered 1
		.amdhsa_forward_progress 1
		.amdhsa_shared_vgpr_count 0
		.amdhsa_exception_fp_ieee_invalid_op 0
		.amdhsa_exception_fp_denorm_src 0
		.amdhsa_exception_fp_ieee_div_zero 0
		.amdhsa_exception_fp_ieee_overflow 0
		.amdhsa_exception_fp_ieee_underflow 0
		.amdhsa_exception_fp_ieee_inexact 0
		.amdhsa_exception_int_div_zero 0
	.end_amdhsa_kernel
	.section	.text._ZN7rocprim17ROCPRIM_400000_NS6detail17trampoline_kernelINS0_13select_configILj256ELj13ELNS0_17block_load_methodE3ELS4_3ELS4_3ELNS0_20block_scan_algorithmE0ELj4294967295EEENS1_25partition_config_selectorILNS1_17partition_subalgoE3EjNS0_10empty_typeEbEEZZNS1_14partition_implILS8_3ELb0ES6_jNS0_17counting_iteratorIjlEEPS9_SE_NS0_5tupleIJPjSE_EEENSF_IJSE_SE_EEES9_SG_JZNS1_25segmented_radix_sort_implINS0_14default_configELb0EPKbPbPKlPlN2at6native12_GLOBAL__N_18offset_tEEE10hipError_tPvRmT1_PNSt15iterator_traitsISY_E10value_typeET2_T3_PNSZ_IS14_E10value_typeET4_jRbjT5_S1A_jjP12ihipStream_tbEUljE_EEESV_SW_SX_S14_S18_S1A_T6_T7_T9_mT8_S1C_bDpT10_ENKUlT_T0_E_clISt17integral_constantIbLb1EES1O_IbLb0EEEEDaS1K_S1L_EUlS1K_E_NS1_11comp_targetILNS1_3genE4ELNS1_11target_archE910ELNS1_3gpuE8ELNS1_3repE0EEENS1_30default_config_static_selectorELNS0_4arch9wavefront6targetE0EEEvSY_,"axG",@progbits,_ZN7rocprim17ROCPRIM_400000_NS6detail17trampoline_kernelINS0_13select_configILj256ELj13ELNS0_17block_load_methodE3ELS4_3ELS4_3ELNS0_20block_scan_algorithmE0ELj4294967295EEENS1_25partition_config_selectorILNS1_17partition_subalgoE3EjNS0_10empty_typeEbEEZZNS1_14partition_implILS8_3ELb0ES6_jNS0_17counting_iteratorIjlEEPS9_SE_NS0_5tupleIJPjSE_EEENSF_IJSE_SE_EEES9_SG_JZNS1_25segmented_radix_sort_implINS0_14default_configELb0EPKbPbPKlPlN2at6native12_GLOBAL__N_18offset_tEEE10hipError_tPvRmT1_PNSt15iterator_traitsISY_E10value_typeET2_T3_PNSZ_IS14_E10value_typeET4_jRbjT5_S1A_jjP12ihipStream_tbEUljE_EEESV_SW_SX_S14_S18_S1A_T6_T7_T9_mT8_S1C_bDpT10_ENKUlT_T0_E_clISt17integral_constantIbLb1EES1O_IbLb0EEEEDaS1K_S1L_EUlS1K_E_NS1_11comp_targetILNS1_3genE4ELNS1_11target_archE910ELNS1_3gpuE8ELNS1_3repE0EEENS1_30default_config_static_selectorELNS0_4arch9wavefront6targetE0EEEvSY_,comdat
.Lfunc_end1612:
	.size	_ZN7rocprim17ROCPRIM_400000_NS6detail17trampoline_kernelINS0_13select_configILj256ELj13ELNS0_17block_load_methodE3ELS4_3ELS4_3ELNS0_20block_scan_algorithmE0ELj4294967295EEENS1_25partition_config_selectorILNS1_17partition_subalgoE3EjNS0_10empty_typeEbEEZZNS1_14partition_implILS8_3ELb0ES6_jNS0_17counting_iteratorIjlEEPS9_SE_NS0_5tupleIJPjSE_EEENSF_IJSE_SE_EEES9_SG_JZNS1_25segmented_radix_sort_implINS0_14default_configELb0EPKbPbPKlPlN2at6native12_GLOBAL__N_18offset_tEEE10hipError_tPvRmT1_PNSt15iterator_traitsISY_E10value_typeET2_T3_PNSZ_IS14_E10value_typeET4_jRbjT5_S1A_jjP12ihipStream_tbEUljE_EEESV_SW_SX_S14_S18_S1A_T6_T7_T9_mT8_S1C_bDpT10_ENKUlT_T0_E_clISt17integral_constantIbLb1EES1O_IbLb0EEEEDaS1K_S1L_EUlS1K_E_NS1_11comp_targetILNS1_3genE4ELNS1_11target_archE910ELNS1_3gpuE8ELNS1_3repE0EEENS1_30default_config_static_selectorELNS0_4arch9wavefront6targetE0EEEvSY_, .Lfunc_end1612-_ZN7rocprim17ROCPRIM_400000_NS6detail17trampoline_kernelINS0_13select_configILj256ELj13ELNS0_17block_load_methodE3ELS4_3ELS4_3ELNS0_20block_scan_algorithmE0ELj4294967295EEENS1_25partition_config_selectorILNS1_17partition_subalgoE3EjNS0_10empty_typeEbEEZZNS1_14partition_implILS8_3ELb0ES6_jNS0_17counting_iteratorIjlEEPS9_SE_NS0_5tupleIJPjSE_EEENSF_IJSE_SE_EEES9_SG_JZNS1_25segmented_radix_sort_implINS0_14default_configELb0EPKbPbPKlPlN2at6native12_GLOBAL__N_18offset_tEEE10hipError_tPvRmT1_PNSt15iterator_traitsISY_E10value_typeET2_T3_PNSZ_IS14_E10value_typeET4_jRbjT5_S1A_jjP12ihipStream_tbEUljE_EEESV_SW_SX_S14_S18_S1A_T6_T7_T9_mT8_S1C_bDpT10_ENKUlT_T0_E_clISt17integral_constantIbLb1EES1O_IbLb0EEEEDaS1K_S1L_EUlS1K_E_NS1_11comp_targetILNS1_3genE4ELNS1_11target_archE910ELNS1_3gpuE8ELNS1_3repE0EEENS1_30default_config_static_selectorELNS0_4arch9wavefront6targetE0EEEvSY_
                                        ; -- End function
	.set _ZN7rocprim17ROCPRIM_400000_NS6detail17trampoline_kernelINS0_13select_configILj256ELj13ELNS0_17block_load_methodE3ELS4_3ELS4_3ELNS0_20block_scan_algorithmE0ELj4294967295EEENS1_25partition_config_selectorILNS1_17partition_subalgoE3EjNS0_10empty_typeEbEEZZNS1_14partition_implILS8_3ELb0ES6_jNS0_17counting_iteratorIjlEEPS9_SE_NS0_5tupleIJPjSE_EEENSF_IJSE_SE_EEES9_SG_JZNS1_25segmented_radix_sort_implINS0_14default_configELb0EPKbPbPKlPlN2at6native12_GLOBAL__N_18offset_tEEE10hipError_tPvRmT1_PNSt15iterator_traitsISY_E10value_typeET2_T3_PNSZ_IS14_E10value_typeET4_jRbjT5_S1A_jjP12ihipStream_tbEUljE_EEESV_SW_SX_S14_S18_S1A_T6_T7_T9_mT8_S1C_bDpT10_ENKUlT_T0_E_clISt17integral_constantIbLb1EES1O_IbLb0EEEEDaS1K_S1L_EUlS1K_E_NS1_11comp_targetILNS1_3genE4ELNS1_11target_archE910ELNS1_3gpuE8ELNS1_3repE0EEENS1_30default_config_static_selectorELNS0_4arch9wavefront6targetE0EEEvSY_.num_vgpr, 0
	.set _ZN7rocprim17ROCPRIM_400000_NS6detail17trampoline_kernelINS0_13select_configILj256ELj13ELNS0_17block_load_methodE3ELS4_3ELS4_3ELNS0_20block_scan_algorithmE0ELj4294967295EEENS1_25partition_config_selectorILNS1_17partition_subalgoE3EjNS0_10empty_typeEbEEZZNS1_14partition_implILS8_3ELb0ES6_jNS0_17counting_iteratorIjlEEPS9_SE_NS0_5tupleIJPjSE_EEENSF_IJSE_SE_EEES9_SG_JZNS1_25segmented_radix_sort_implINS0_14default_configELb0EPKbPbPKlPlN2at6native12_GLOBAL__N_18offset_tEEE10hipError_tPvRmT1_PNSt15iterator_traitsISY_E10value_typeET2_T3_PNSZ_IS14_E10value_typeET4_jRbjT5_S1A_jjP12ihipStream_tbEUljE_EEESV_SW_SX_S14_S18_S1A_T6_T7_T9_mT8_S1C_bDpT10_ENKUlT_T0_E_clISt17integral_constantIbLb1EES1O_IbLb0EEEEDaS1K_S1L_EUlS1K_E_NS1_11comp_targetILNS1_3genE4ELNS1_11target_archE910ELNS1_3gpuE8ELNS1_3repE0EEENS1_30default_config_static_selectorELNS0_4arch9wavefront6targetE0EEEvSY_.num_agpr, 0
	.set _ZN7rocprim17ROCPRIM_400000_NS6detail17trampoline_kernelINS0_13select_configILj256ELj13ELNS0_17block_load_methodE3ELS4_3ELS4_3ELNS0_20block_scan_algorithmE0ELj4294967295EEENS1_25partition_config_selectorILNS1_17partition_subalgoE3EjNS0_10empty_typeEbEEZZNS1_14partition_implILS8_3ELb0ES6_jNS0_17counting_iteratorIjlEEPS9_SE_NS0_5tupleIJPjSE_EEENSF_IJSE_SE_EEES9_SG_JZNS1_25segmented_radix_sort_implINS0_14default_configELb0EPKbPbPKlPlN2at6native12_GLOBAL__N_18offset_tEEE10hipError_tPvRmT1_PNSt15iterator_traitsISY_E10value_typeET2_T3_PNSZ_IS14_E10value_typeET4_jRbjT5_S1A_jjP12ihipStream_tbEUljE_EEESV_SW_SX_S14_S18_S1A_T6_T7_T9_mT8_S1C_bDpT10_ENKUlT_T0_E_clISt17integral_constantIbLb1EES1O_IbLb0EEEEDaS1K_S1L_EUlS1K_E_NS1_11comp_targetILNS1_3genE4ELNS1_11target_archE910ELNS1_3gpuE8ELNS1_3repE0EEENS1_30default_config_static_selectorELNS0_4arch9wavefront6targetE0EEEvSY_.numbered_sgpr, 0
	.set _ZN7rocprim17ROCPRIM_400000_NS6detail17trampoline_kernelINS0_13select_configILj256ELj13ELNS0_17block_load_methodE3ELS4_3ELS4_3ELNS0_20block_scan_algorithmE0ELj4294967295EEENS1_25partition_config_selectorILNS1_17partition_subalgoE3EjNS0_10empty_typeEbEEZZNS1_14partition_implILS8_3ELb0ES6_jNS0_17counting_iteratorIjlEEPS9_SE_NS0_5tupleIJPjSE_EEENSF_IJSE_SE_EEES9_SG_JZNS1_25segmented_radix_sort_implINS0_14default_configELb0EPKbPbPKlPlN2at6native12_GLOBAL__N_18offset_tEEE10hipError_tPvRmT1_PNSt15iterator_traitsISY_E10value_typeET2_T3_PNSZ_IS14_E10value_typeET4_jRbjT5_S1A_jjP12ihipStream_tbEUljE_EEESV_SW_SX_S14_S18_S1A_T6_T7_T9_mT8_S1C_bDpT10_ENKUlT_T0_E_clISt17integral_constantIbLb1EES1O_IbLb0EEEEDaS1K_S1L_EUlS1K_E_NS1_11comp_targetILNS1_3genE4ELNS1_11target_archE910ELNS1_3gpuE8ELNS1_3repE0EEENS1_30default_config_static_selectorELNS0_4arch9wavefront6targetE0EEEvSY_.num_named_barrier, 0
	.set _ZN7rocprim17ROCPRIM_400000_NS6detail17trampoline_kernelINS0_13select_configILj256ELj13ELNS0_17block_load_methodE3ELS4_3ELS4_3ELNS0_20block_scan_algorithmE0ELj4294967295EEENS1_25partition_config_selectorILNS1_17partition_subalgoE3EjNS0_10empty_typeEbEEZZNS1_14partition_implILS8_3ELb0ES6_jNS0_17counting_iteratorIjlEEPS9_SE_NS0_5tupleIJPjSE_EEENSF_IJSE_SE_EEES9_SG_JZNS1_25segmented_radix_sort_implINS0_14default_configELb0EPKbPbPKlPlN2at6native12_GLOBAL__N_18offset_tEEE10hipError_tPvRmT1_PNSt15iterator_traitsISY_E10value_typeET2_T3_PNSZ_IS14_E10value_typeET4_jRbjT5_S1A_jjP12ihipStream_tbEUljE_EEESV_SW_SX_S14_S18_S1A_T6_T7_T9_mT8_S1C_bDpT10_ENKUlT_T0_E_clISt17integral_constantIbLb1EES1O_IbLb0EEEEDaS1K_S1L_EUlS1K_E_NS1_11comp_targetILNS1_3genE4ELNS1_11target_archE910ELNS1_3gpuE8ELNS1_3repE0EEENS1_30default_config_static_selectorELNS0_4arch9wavefront6targetE0EEEvSY_.private_seg_size, 0
	.set _ZN7rocprim17ROCPRIM_400000_NS6detail17trampoline_kernelINS0_13select_configILj256ELj13ELNS0_17block_load_methodE3ELS4_3ELS4_3ELNS0_20block_scan_algorithmE0ELj4294967295EEENS1_25partition_config_selectorILNS1_17partition_subalgoE3EjNS0_10empty_typeEbEEZZNS1_14partition_implILS8_3ELb0ES6_jNS0_17counting_iteratorIjlEEPS9_SE_NS0_5tupleIJPjSE_EEENSF_IJSE_SE_EEES9_SG_JZNS1_25segmented_radix_sort_implINS0_14default_configELb0EPKbPbPKlPlN2at6native12_GLOBAL__N_18offset_tEEE10hipError_tPvRmT1_PNSt15iterator_traitsISY_E10value_typeET2_T3_PNSZ_IS14_E10value_typeET4_jRbjT5_S1A_jjP12ihipStream_tbEUljE_EEESV_SW_SX_S14_S18_S1A_T6_T7_T9_mT8_S1C_bDpT10_ENKUlT_T0_E_clISt17integral_constantIbLb1EES1O_IbLb0EEEEDaS1K_S1L_EUlS1K_E_NS1_11comp_targetILNS1_3genE4ELNS1_11target_archE910ELNS1_3gpuE8ELNS1_3repE0EEENS1_30default_config_static_selectorELNS0_4arch9wavefront6targetE0EEEvSY_.uses_vcc, 0
	.set _ZN7rocprim17ROCPRIM_400000_NS6detail17trampoline_kernelINS0_13select_configILj256ELj13ELNS0_17block_load_methodE3ELS4_3ELS4_3ELNS0_20block_scan_algorithmE0ELj4294967295EEENS1_25partition_config_selectorILNS1_17partition_subalgoE3EjNS0_10empty_typeEbEEZZNS1_14partition_implILS8_3ELb0ES6_jNS0_17counting_iteratorIjlEEPS9_SE_NS0_5tupleIJPjSE_EEENSF_IJSE_SE_EEES9_SG_JZNS1_25segmented_radix_sort_implINS0_14default_configELb0EPKbPbPKlPlN2at6native12_GLOBAL__N_18offset_tEEE10hipError_tPvRmT1_PNSt15iterator_traitsISY_E10value_typeET2_T3_PNSZ_IS14_E10value_typeET4_jRbjT5_S1A_jjP12ihipStream_tbEUljE_EEESV_SW_SX_S14_S18_S1A_T6_T7_T9_mT8_S1C_bDpT10_ENKUlT_T0_E_clISt17integral_constantIbLb1EES1O_IbLb0EEEEDaS1K_S1L_EUlS1K_E_NS1_11comp_targetILNS1_3genE4ELNS1_11target_archE910ELNS1_3gpuE8ELNS1_3repE0EEENS1_30default_config_static_selectorELNS0_4arch9wavefront6targetE0EEEvSY_.uses_flat_scratch, 0
	.set _ZN7rocprim17ROCPRIM_400000_NS6detail17trampoline_kernelINS0_13select_configILj256ELj13ELNS0_17block_load_methodE3ELS4_3ELS4_3ELNS0_20block_scan_algorithmE0ELj4294967295EEENS1_25partition_config_selectorILNS1_17partition_subalgoE3EjNS0_10empty_typeEbEEZZNS1_14partition_implILS8_3ELb0ES6_jNS0_17counting_iteratorIjlEEPS9_SE_NS0_5tupleIJPjSE_EEENSF_IJSE_SE_EEES9_SG_JZNS1_25segmented_radix_sort_implINS0_14default_configELb0EPKbPbPKlPlN2at6native12_GLOBAL__N_18offset_tEEE10hipError_tPvRmT1_PNSt15iterator_traitsISY_E10value_typeET2_T3_PNSZ_IS14_E10value_typeET4_jRbjT5_S1A_jjP12ihipStream_tbEUljE_EEESV_SW_SX_S14_S18_S1A_T6_T7_T9_mT8_S1C_bDpT10_ENKUlT_T0_E_clISt17integral_constantIbLb1EES1O_IbLb0EEEEDaS1K_S1L_EUlS1K_E_NS1_11comp_targetILNS1_3genE4ELNS1_11target_archE910ELNS1_3gpuE8ELNS1_3repE0EEENS1_30default_config_static_selectorELNS0_4arch9wavefront6targetE0EEEvSY_.has_dyn_sized_stack, 0
	.set _ZN7rocprim17ROCPRIM_400000_NS6detail17trampoline_kernelINS0_13select_configILj256ELj13ELNS0_17block_load_methodE3ELS4_3ELS4_3ELNS0_20block_scan_algorithmE0ELj4294967295EEENS1_25partition_config_selectorILNS1_17partition_subalgoE3EjNS0_10empty_typeEbEEZZNS1_14partition_implILS8_3ELb0ES6_jNS0_17counting_iteratorIjlEEPS9_SE_NS0_5tupleIJPjSE_EEENSF_IJSE_SE_EEES9_SG_JZNS1_25segmented_radix_sort_implINS0_14default_configELb0EPKbPbPKlPlN2at6native12_GLOBAL__N_18offset_tEEE10hipError_tPvRmT1_PNSt15iterator_traitsISY_E10value_typeET2_T3_PNSZ_IS14_E10value_typeET4_jRbjT5_S1A_jjP12ihipStream_tbEUljE_EEESV_SW_SX_S14_S18_S1A_T6_T7_T9_mT8_S1C_bDpT10_ENKUlT_T0_E_clISt17integral_constantIbLb1EES1O_IbLb0EEEEDaS1K_S1L_EUlS1K_E_NS1_11comp_targetILNS1_3genE4ELNS1_11target_archE910ELNS1_3gpuE8ELNS1_3repE0EEENS1_30default_config_static_selectorELNS0_4arch9wavefront6targetE0EEEvSY_.has_recursion, 0
	.set _ZN7rocprim17ROCPRIM_400000_NS6detail17trampoline_kernelINS0_13select_configILj256ELj13ELNS0_17block_load_methodE3ELS4_3ELS4_3ELNS0_20block_scan_algorithmE0ELj4294967295EEENS1_25partition_config_selectorILNS1_17partition_subalgoE3EjNS0_10empty_typeEbEEZZNS1_14partition_implILS8_3ELb0ES6_jNS0_17counting_iteratorIjlEEPS9_SE_NS0_5tupleIJPjSE_EEENSF_IJSE_SE_EEES9_SG_JZNS1_25segmented_radix_sort_implINS0_14default_configELb0EPKbPbPKlPlN2at6native12_GLOBAL__N_18offset_tEEE10hipError_tPvRmT1_PNSt15iterator_traitsISY_E10value_typeET2_T3_PNSZ_IS14_E10value_typeET4_jRbjT5_S1A_jjP12ihipStream_tbEUljE_EEESV_SW_SX_S14_S18_S1A_T6_T7_T9_mT8_S1C_bDpT10_ENKUlT_T0_E_clISt17integral_constantIbLb1EES1O_IbLb0EEEEDaS1K_S1L_EUlS1K_E_NS1_11comp_targetILNS1_3genE4ELNS1_11target_archE910ELNS1_3gpuE8ELNS1_3repE0EEENS1_30default_config_static_selectorELNS0_4arch9wavefront6targetE0EEEvSY_.has_indirect_call, 0
	.section	.AMDGPU.csdata,"",@progbits
; Kernel info:
; codeLenInByte = 0
; TotalNumSgprs: 0
; NumVgprs: 0
; ScratchSize: 0
; MemoryBound: 0
; FloatMode: 240
; IeeeMode: 1
; LDSByteSize: 0 bytes/workgroup (compile time only)
; SGPRBlocks: 0
; VGPRBlocks: 0
; NumSGPRsForWavesPerEU: 1
; NumVGPRsForWavesPerEU: 1
; Occupancy: 16
; WaveLimiterHint : 0
; COMPUTE_PGM_RSRC2:SCRATCH_EN: 0
; COMPUTE_PGM_RSRC2:USER_SGPR: 6
; COMPUTE_PGM_RSRC2:TRAP_HANDLER: 0
; COMPUTE_PGM_RSRC2:TGID_X_EN: 1
; COMPUTE_PGM_RSRC2:TGID_Y_EN: 0
; COMPUTE_PGM_RSRC2:TGID_Z_EN: 0
; COMPUTE_PGM_RSRC2:TIDIG_COMP_CNT: 0
	.section	.text._ZN7rocprim17ROCPRIM_400000_NS6detail17trampoline_kernelINS0_13select_configILj256ELj13ELNS0_17block_load_methodE3ELS4_3ELS4_3ELNS0_20block_scan_algorithmE0ELj4294967295EEENS1_25partition_config_selectorILNS1_17partition_subalgoE3EjNS0_10empty_typeEbEEZZNS1_14partition_implILS8_3ELb0ES6_jNS0_17counting_iteratorIjlEEPS9_SE_NS0_5tupleIJPjSE_EEENSF_IJSE_SE_EEES9_SG_JZNS1_25segmented_radix_sort_implINS0_14default_configELb0EPKbPbPKlPlN2at6native12_GLOBAL__N_18offset_tEEE10hipError_tPvRmT1_PNSt15iterator_traitsISY_E10value_typeET2_T3_PNSZ_IS14_E10value_typeET4_jRbjT5_S1A_jjP12ihipStream_tbEUljE_EEESV_SW_SX_S14_S18_S1A_T6_T7_T9_mT8_S1C_bDpT10_ENKUlT_T0_E_clISt17integral_constantIbLb1EES1O_IbLb0EEEEDaS1K_S1L_EUlS1K_E_NS1_11comp_targetILNS1_3genE3ELNS1_11target_archE908ELNS1_3gpuE7ELNS1_3repE0EEENS1_30default_config_static_selectorELNS0_4arch9wavefront6targetE0EEEvSY_,"axG",@progbits,_ZN7rocprim17ROCPRIM_400000_NS6detail17trampoline_kernelINS0_13select_configILj256ELj13ELNS0_17block_load_methodE3ELS4_3ELS4_3ELNS0_20block_scan_algorithmE0ELj4294967295EEENS1_25partition_config_selectorILNS1_17partition_subalgoE3EjNS0_10empty_typeEbEEZZNS1_14partition_implILS8_3ELb0ES6_jNS0_17counting_iteratorIjlEEPS9_SE_NS0_5tupleIJPjSE_EEENSF_IJSE_SE_EEES9_SG_JZNS1_25segmented_radix_sort_implINS0_14default_configELb0EPKbPbPKlPlN2at6native12_GLOBAL__N_18offset_tEEE10hipError_tPvRmT1_PNSt15iterator_traitsISY_E10value_typeET2_T3_PNSZ_IS14_E10value_typeET4_jRbjT5_S1A_jjP12ihipStream_tbEUljE_EEESV_SW_SX_S14_S18_S1A_T6_T7_T9_mT8_S1C_bDpT10_ENKUlT_T0_E_clISt17integral_constantIbLb1EES1O_IbLb0EEEEDaS1K_S1L_EUlS1K_E_NS1_11comp_targetILNS1_3genE3ELNS1_11target_archE908ELNS1_3gpuE7ELNS1_3repE0EEENS1_30default_config_static_selectorELNS0_4arch9wavefront6targetE0EEEvSY_,comdat
	.globl	_ZN7rocprim17ROCPRIM_400000_NS6detail17trampoline_kernelINS0_13select_configILj256ELj13ELNS0_17block_load_methodE3ELS4_3ELS4_3ELNS0_20block_scan_algorithmE0ELj4294967295EEENS1_25partition_config_selectorILNS1_17partition_subalgoE3EjNS0_10empty_typeEbEEZZNS1_14partition_implILS8_3ELb0ES6_jNS0_17counting_iteratorIjlEEPS9_SE_NS0_5tupleIJPjSE_EEENSF_IJSE_SE_EEES9_SG_JZNS1_25segmented_radix_sort_implINS0_14default_configELb0EPKbPbPKlPlN2at6native12_GLOBAL__N_18offset_tEEE10hipError_tPvRmT1_PNSt15iterator_traitsISY_E10value_typeET2_T3_PNSZ_IS14_E10value_typeET4_jRbjT5_S1A_jjP12ihipStream_tbEUljE_EEESV_SW_SX_S14_S18_S1A_T6_T7_T9_mT8_S1C_bDpT10_ENKUlT_T0_E_clISt17integral_constantIbLb1EES1O_IbLb0EEEEDaS1K_S1L_EUlS1K_E_NS1_11comp_targetILNS1_3genE3ELNS1_11target_archE908ELNS1_3gpuE7ELNS1_3repE0EEENS1_30default_config_static_selectorELNS0_4arch9wavefront6targetE0EEEvSY_ ; -- Begin function _ZN7rocprim17ROCPRIM_400000_NS6detail17trampoline_kernelINS0_13select_configILj256ELj13ELNS0_17block_load_methodE3ELS4_3ELS4_3ELNS0_20block_scan_algorithmE0ELj4294967295EEENS1_25partition_config_selectorILNS1_17partition_subalgoE3EjNS0_10empty_typeEbEEZZNS1_14partition_implILS8_3ELb0ES6_jNS0_17counting_iteratorIjlEEPS9_SE_NS0_5tupleIJPjSE_EEENSF_IJSE_SE_EEES9_SG_JZNS1_25segmented_radix_sort_implINS0_14default_configELb0EPKbPbPKlPlN2at6native12_GLOBAL__N_18offset_tEEE10hipError_tPvRmT1_PNSt15iterator_traitsISY_E10value_typeET2_T3_PNSZ_IS14_E10value_typeET4_jRbjT5_S1A_jjP12ihipStream_tbEUljE_EEESV_SW_SX_S14_S18_S1A_T6_T7_T9_mT8_S1C_bDpT10_ENKUlT_T0_E_clISt17integral_constantIbLb1EES1O_IbLb0EEEEDaS1K_S1L_EUlS1K_E_NS1_11comp_targetILNS1_3genE3ELNS1_11target_archE908ELNS1_3gpuE7ELNS1_3repE0EEENS1_30default_config_static_selectorELNS0_4arch9wavefront6targetE0EEEvSY_
	.p2align	8
	.type	_ZN7rocprim17ROCPRIM_400000_NS6detail17trampoline_kernelINS0_13select_configILj256ELj13ELNS0_17block_load_methodE3ELS4_3ELS4_3ELNS0_20block_scan_algorithmE0ELj4294967295EEENS1_25partition_config_selectorILNS1_17partition_subalgoE3EjNS0_10empty_typeEbEEZZNS1_14partition_implILS8_3ELb0ES6_jNS0_17counting_iteratorIjlEEPS9_SE_NS0_5tupleIJPjSE_EEENSF_IJSE_SE_EEES9_SG_JZNS1_25segmented_radix_sort_implINS0_14default_configELb0EPKbPbPKlPlN2at6native12_GLOBAL__N_18offset_tEEE10hipError_tPvRmT1_PNSt15iterator_traitsISY_E10value_typeET2_T3_PNSZ_IS14_E10value_typeET4_jRbjT5_S1A_jjP12ihipStream_tbEUljE_EEESV_SW_SX_S14_S18_S1A_T6_T7_T9_mT8_S1C_bDpT10_ENKUlT_T0_E_clISt17integral_constantIbLb1EES1O_IbLb0EEEEDaS1K_S1L_EUlS1K_E_NS1_11comp_targetILNS1_3genE3ELNS1_11target_archE908ELNS1_3gpuE7ELNS1_3repE0EEENS1_30default_config_static_selectorELNS0_4arch9wavefront6targetE0EEEvSY_,@function
_ZN7rocprim17ROCPRIM_400000_NS6detail17trampoline_kernelINS0_13select_configILj256ELj13ELNS0_17block_load_methodE3ELS4_3ELS4_3ELNS0_20block_scan_algorithmE0ELj4294967295EEENS1_25partition_config_selectorILNS1_17partition_subalgoE3EjNS0_10empty_typeEbEEZZNS1_14partition_implILS8_3ELb0ES6_jNS0_17counting_iteratorIjlEEPS9_SE_NS0_5tupleIJPjSE_EEENSF_IJSE_SE_EEES9_SG_JZNS1_25segmented_radix_sort_implINS0_14default_configELb0EPKbPbPKlPlN2at6native12_GLOBAL__N_18offset_tEEE10hipError_tPvRmT1_PNSt15iterator_traitsISY_E10value_typeET2_T3_PNSZ_IS14_E10value_typeET4_jRbjT5_S1A_jjP12ihipStream_tbEUljE_EEESV_SW_SX_S14_S18_S1A_T6_T7_T9_mT8_S1C_bDpT10_ENKUlT_T0_E_clISt17integral_constantIbLb1EES1O_IbLb0EEEEDaS1K_S1L_EUlS1K_E_NS1_11comp_targetILNS1_3genE3ELNS1_11target_archE908ELNS1_3gpuE7ELNS1_3repE0EEENS1_30default_config_static_selectorELNS0_4arch9wavefront6targetE0EEEvSY_: ; @_ZN7rocprim17ROCPRIM_400000_NS6detail17trampoline_kernelINS0_13select_configILj256ELj13ELNS0_17block_load_methodE3ELS4_3ELS4_3ELNS0_20block_scan_algorithmE0ELj4294967295EEENS1_25partition_config_selectorILNS1_17partition_subalgoE3EjNS0_10empty_typeEbEEZZNS1_14partition_implILS8_3ELb0ES6_jNS0_17counting_iteratorIjlEEPS9_SE_NS0_5tupleIJPjSE_EEENSF_IJSE_SE_EEES9_SG_JZNS1_25segmented_radix_sort_implINS0_14default_configELb0EPKbPbPKlPlN2at6native12_GLOBAL__N_18offset_tEEE10hipError_tPvRmT1_PNSt15iterator_traitsISY_E10value_typeET2_T3_PNSZ_IS14_E10value_typeET4_jRbjT5_S1A_jjP12ihipStream_tbEUljE_EEESV_SW_SX_S14_S18_S1A_T6_T7_T9_mT8_S1C_bDpT10_ENKUlT_T0_E_clISt17integral_constantIbLb1EES1O_IbLb0EEEEDaS1K_S1L_EUlS1K_E_NS1_11comp_targetILNS1_3genE3ELNS1_11target_archE908ELNS1_3gpuE7ELNS1_3repE0EEENS1_30default_config_static_selectorELNS0_4arch9wavefront6targetE0EEEvSY_
; %bb.0:
	.section	.rodata,"a",@progbits
	.p2align	6, 0x0
	.amdhsa_kernel _ZN7rocprim17ROCPRIM_400000_NS6detail17trampoline_kernelINS0_13select_configILj256ELj13ELNS0_17block_load_methodE3ELS4_3ELS4_3ELNS0_20block_scan_algorithmE0ELj4294967295EEENS1_25partition_config_selectorILNS1_17partition_subalgoE3EjNS0_10empty_typeEbEEZZNS1_14partition_implILS8_3ELb0ES6_jNS0_17counting_iteratorIjlEEPS9_SE_NS0_5tupleIJPjSE_EEENSF_IJSE_SE_EEES9_SG_JZNS1_25segmented_radix_sort_implINS0_14default_configELb0EPKbPbPKlPlN2at6native12_GLOBAL__N_18offset_tEEE10hipError_tPvRmT1_PNSt15iterator_traitsISY_E10value_typeET2_T3_PNSZ_IS14_E10value_typeET4_jRbjT5_S1A_jjP12ihipStream_tbEUljE_EEESV_SW_SX_S14_S18_S1A_T6_T7_T9_mT8_S1C_bDpT10_ENKUlT_T0_E_clISt17integral_constantIbLb1EES1O_IbLb0EEEEDaS1K_S1L_EUlS1K_E_NS1_11comp_targetILNS1_3genE3ELNS1_11target_archE908ELNS1_3gpuE7ELNS1_3repE0EEENS1_30default_config_static_selectorELNS0_4arch9wavefront6targetE0EEEvSY_
		.amdhsa_group_segment_fixed_size 0
		.amdhsa_private_segment_fixed_size 0
		.amdhsa_kernarg_size 144
		.amdhsa_user_sgpr_count 6
		.amdhsa_user_sgpr_private_segment_buffer 1
		.amdhsa_user_sgpr_dispatch_ptr 0
		.amdhsa_user_sgpr_queue_ptr 0
		.amdhsa_user_sgpr_kernarg_segment_ptr 1
		.amdhsa_user_sgpr_dispatch_id 0
		.amdhsa_user_sgpr_flat_scratch_init 0
		.amdhsa_user_sgpr_private_segment_size 0
		.amdhsa_wavefront_size32 1
		.amdhsa_uses_dynamic_stack 0
		.amdhsa_system_sgpr_private_segment_wavefront_offset 0
		.amdhsa_system_sgpr_workgroup_id_x 1
		.amdhsa_system_sgpr_workgroup_id_y 0
		.amdhsa_system_sgpr_workgroup_id_z 0
		.amdhsa_system_sgpr_workgroup_info 0
		.amdhsa_system_vgpr_workitem_id 0
		.amdhsa_next_free_vgpr 1
		.amdhsa_next_free_sgpr 1
		.amdhsa_reserve_vcc 0
		.amdhsa_reserve_flat_scratch 0
		.amdhsa_float_round_mode_32 0
		.amdhsa_float_round_mode_16_64 0
		.amdhsa_float_denorm_mode_32 3
		.amdhsa_float_denorm_mode_16_64 3
		.amdhsa_dx10_clamp 1
		.amdhsa_ieee_mode 1
		.amdhsa_fp16_overflow 0
		.amdhsa_workgroup_processor_mode 1
		.amdhsa_memory_ordered 1
		.amdhsa_forward_progress 1
		.amdhsa_shared_vgpr_count 0
		.amdhsa_exception_fp_ieee_invalid_op 0
		.amdhsa_exception_fp_denorm_src 0
		.amdhsa_exception_fp_ieee_div_zero 0
		.amdhsa_exception_fp_ieee_overflow 0
		.amdhsa_exception_fp_ieee_underflow 0
		.amdhsa_exception_fp_ieee_inexact 0
		.amdhsa_exception_int_div_zero 0
	.end_amdhsa_kernel
	.section	.text._ZN7rocprim17ROCPRIM_400000_NS6detail17trampoline_kernelINS0_13select_configILj256ELj13ELNS0_17block_load_methodE3ELS4_3ELS4_3ELNS0_20block_scan_algorithmE0ELj4294967295EEENS1_25partition_config_selectorILNS1_17partition_subalgoE3EjNS0_10empty_typeEbEEZZNS1_14partition_implILS8_3ELb0ES6_jNS0_17counting_iteratorIjlEEPS9_SE_NS0_5tupleIJPjSE_EEENSF_IJSE_SE_EEES9_SG_JZNS1_25segmented_radix_sort_implINS0_14default_configELb0EPKbPbPKlPlN2at6native12_GLOBAL__N_18offset_tEEE10hipError_tPvRmT1_PNSt15iterator_traitsISY_E10value_typeET2_T3_PNSZ_IS14_E10value_typeET4_jRbjT5_S1A_jjP12ihipStream_tbEUljE_EEESV_SW_SX_S14_S18_S1A_T6_T7_T9_mT8_S1C_bDpT10_ENKUlT_T0_E_clISt17integral_constantIbLb1EES1O_IbLb0EEEEDaS1K_S1L_EUlS1K_E_NS1_11comp_targetILNS1_3genE3ELNS1_11target_archE908ELNS1_3gpuE7ELNS1_3repE0EEENS1_30default_config_static_selectorELNS0_4arch9wavefront6targetE0EEEvSY_,"axG",@progbits,_ZN7rocprim17ROCPRIM_400000_NS6detail17trampoline_kernelINS0_13select_configILj256ELj13ELNS0_17block_load_methodE3ELS4_3ELS4_3ELNS0_20block_scan_algorithmE0ELj4294967295EEENS1_25partition_config_selectorILNS1_17partition_subalgoE3EjNS0_10empty_typeEbEEZZNS1_14partition_implILS8_3ELb0ES6_jNS0_17counting_iteratorIjlEEPS9_SE_NS0_5tupleIJPjSE_EEENSF_IJSE_SE_EEES9_SG_JZNS1_25segmented_radix_sort_implINS0_14default_configELb0EPKbPbPKlPlN2at6native12_GLOBAL__N_18offset_tEEE10hipError_tPvRmT1_PNSt15iterator_traitsISY_E10value_typeET2_T3_PNSZ_IS14_E10value_typeET4_jRbjT5_S1A_jjP12ihipStream_tbEUljE_EEESV_SW_SX_S14_S18_S1A_T6_T7_T9_mT8_S1C_bDpT10_ENKUlT_T0_E_clISt17integral_constantIbLb1EES1O_IbLb0EEEEDaS1K_S1L_EUlS1K_E_NS1_11comp_targetILNS1_3genE3ELNS1_11target_archE908ELNS1_3gpuE7ELNS1_3repE0EEENS1_30default_config_static_selectorELNS0_4arch9wavefront6targetE0EEEvSY_,comdat
.Lfunc_end1613:
	.size	_ZN7rocprim17ROCPRIM_400000_NS6detail17trampoline_kernelINS0_13select_configILj256ELj13ELNS0_17block_load_methodE3ELS4_3ELS4_3ELNS0_20block_scan_algorithmE0ELj4294967295EEENS1_25partition_config_selectorILNS1_17partition_subalgoE3EjNS0_10empty_typeEbEEZZNS1_14partition_implILS8_3ELb0ES6_jNS0_17counting_iteratorIjlEEPS9_SE_NS0_5tupleIJPjSE_EEENSF_IJSE_SE_EEES9_SG_JZNS1_25segmented_radix_sort_implINS0_14default_configELb0EPKbPbPKlPlN2at6native12_GLOBAL__N_18offset_tEEE10hipError_tPvRmT1_PNSt15iterator_traitsISY_E10value_typeET2_T3_PNSZ_IS14_E10value_typeET4_jRbjT5_S1A_jjP12ihipStream_tbEUljE_EEESV_SW_SX_S14_S18_S1A_T6_T7_T9_mT8_S1C_bDpT10_ENKUlT_T0_E_clISt17integral_constantIbLb1EES1O_IbLb0EEEEDaS1K_S1L_EUlS1K_E_NS1_11comp_targetILNS1_3genE3ELNS1_11target_archE908ELNS1_3gpuE7ELNS1_3repE0EEENS1_30default_config_static_selectorELNS0_4arch9wavefront6targetE0EEEvSY_, .Lfunc_end1613-_ZN7rocprim17ROCPRIM_400000_NS6detail17trampoline_kernelINS0_13select_configILj256ELj13ELNS0_17block_load_methodE3ELS4_3ELS4_3ELNS0_20block_scan_algorithmE0ELj4294967295EEENS1_25partition_config_selectorILNS1_17partition_subalgoE3EjNS0_10empty_typeEbEEZZNS1_14partition_implILS8_3ELb0ES6_jNS0_17counting_iteratorIjlEEPS9_SE_NS0_5tupleIJPjSE_EEENSF_IJSE_SE_EEES9_SG_JZNS1_25segmented_radix_sort_implINS0_14default_configELb0EPKbPbPKlPlN2at6native12_GLOBAL__N_18offset_tEEE10hipError_tPvRmT1_PNSt15iterator_traitsISY_E10value_typeET2_T3_PNSZ_IS14_E10value_typeET4_jRbjT5_S1A_jjP12ihipStream_tbEUljE_EEESV_SW_SX_S14_S18_S1A_T6_T7_T9_mT8_S1C_bDpT10_ENKUlT_T0_E_clISt17integral_constantIbLb1EES1O_IbLb0EEEEDaS1K_S1L_EUlS1K_E_NS1_11comp_targetILNS1_3genE3ELNS1_11target_archE908ELNS1_3gpuE7ELNS1_3repE0EEENS1_30default_config_static_selectorELNS0_4arch9wavefront6targetE0EEEvSY_
                                        ; -- End function
	.set _ZN7rocprim17ROCPRIM_400000_NS6detail17trampoline_kernelINS0_13select_configILj256ELj13ELNS0_17block_load_methodE3ELS4_3ELS4_3ELNS0_20block_scan_algorithmE0ELj4294967295EEENS1_25partition_config_selectorILNS1_17partition_subalgoE3EjNS0_10empty_typeEbEEZZNS1_14partition_implILS8_3ELb0ES6_jNS0_17counting_iteratorIjlEEPS9_SE_NS0_5tupleIJPjSE_EEENSF_IJSE_SE_EEES9_SG_JZNS1_25segmented_radix_sort_implINS0_14default_configELb0EPKbPbPKlPlN2at6native12_GLOBAL__N_18offset_tEEE10hipError_tPvRmT1_PNSt15iterator_traitsISY_E10value_typeET2_T3_PNSZ_IS14_E10value_typeET4_jRbjT5_S1A_jjP12ihipStream_tbEUljE_EEESV_SW_SX_S14_S18_S1A_T6_T7_T9_mT8_S1C_bDpT10_ENKUlT_T0_E_clISt17integral_constantIbLb1EES1O_IbLb0EEEEDaS1K_S1L_EUlS1K_E_NS1_11comp_targetILNS1_3genE3ELNS1_11target_archE908ELNS1_3gpuE7ELNS1_3repE0EEENS1_30default_config_static_selectorELNS0_4arch9wavefront6targetE0EEEvSY_.num_vgpr, 0
	.set _ZN7rocprim17ROCPRIM_400000_NS6detail17trampoline_kernelINS0_13select_configILj256ELj13ELNS0_17block_load_methodE3ELS4_3ELS4_3ELNS0_20block_scan_algorithmE0ELj4294967295EEENS1_25partition_config_selectorILNS1_17partition_subalgoE3EjNS0_10empty_typeEbEEZZNS1_14partition_implILS8_3ELb0ES6_jNS0_17counting_iteratorIjlEEPS9_SE_NS0_5tupleIJPjSE_EEENSF_IJSE_SE_EEES9_SG_JZNS1_25segmented_radix_sort_implINS0_14default_configELb0EPKbPbPKlPlN2at6native12_GLOBAL__N_18offset_tEEE10hipError_tPvRmT1_PNSt15iterator_traitsISY_E10value_typeET2_T3_PNSZ_IS14_E10value_typeET4_jRbjT5_S1A_jjP12ihipStream_tbEUljE_EEESV_SW_SX_S14_S18_S1A_T6_T7_T9_mT8_S1C_bDpT10_ENKUlT_T0_E_clISt17integral_constantIbLb1EES1O_IbLb0EEEEDaS1K_S1L_EUlS1K_E_NS1_11comp_targetILNS1_3genE3ELNS1_11target_archE908ELNS1_3gpuE7ELNS1_3repE0EEENS1_30default_config_static_selectorELNS0_4arch9wavefront6targetE0EEEvSY_.num_agpr, 0
	.set _ZN7rocprim17ROCPRIM_400000_NS6detail17trampoline_kernelINS0_13select_configILj256ELj13ELNS0_17block_load_methodE3ELS4_3ELS4_3ELNS0_20block_scan_algorithmE0ELj4294967295EEENS1_25partition_config_selectorILNS1_17partition_subalgoE3EjNS0_10empty_typeEbEEZZNS1_14partition_implILS8_3ELb0ES6_jNS0_17counting_iteratorIjlEEPS9_SE_NS0_5tupleIJPjSE_EEENSF_IJSE_SE_EEES9_SG_JZNS1_25segmented_radix_sort_implINS0_14default_configELb0EPKbPbPKlPlN2at6native12_GLOBAL__N_18offset_tEEE10hipError_tPvRmT1_PNSt15iterator_traitsISY_E10value_typeET2_T3_PNSZ_IS14_E10value_typeET4_jRbjT5_S1A_jjP12ihipStream_tbEUljE_EEESV_SW_SX_S14_S18_S1A_T6_T7_T9_mT8_S1C_bDpT10_ENKUlT_T0_E_clISt17integral_constantIbLb1EES1O_IbLb0EEEEDaS1K_S1L_EUlS1K_E_NS1_11comp_targetILNS1_3genE3ELNS1_11target_archE908ELNS1_3gpuE7ELNS1_3repE0EEENS1_30default_config_static_selectorELNS0_4arch9wavefront6targetE0EEEvSY_.numbered_sgpr, 0
	.set _ZN7rocprim17ROCPRIM_400000_NS6detail17trampoline_kernelINS0_13select_configILj256ELj13ELNS0_17block_load_methodE3ELS4_3ELS4_3ELNS0_20block_scan_algorithmE0ELj4294967295EEENS1_25partition_config_selectorILNS1_17partition_subalgoE3EjNS0_10empty_typeEbEEZZNS1_14partition_implILS8_3ELb0ES6_jNS0_17counting_iteratorIjlEEPS9_SE_NS0_5tupleIJPjSE_EEENSF_IJSE_SE_EEES9_SG_JZNS1_25segmented_radix_sort_implINS0_14default_configELb0EPKbPbPKlPlN2at6native12_GLOBAL__N_18offset_tEEE10hipError_tPvRmT1_PNSt15iterator_traitsISY_E10value_typeET2_T3_PNSZ_IS14_E10value_typeET4_jRbjT5_S1A_jjP12ihipStream_tbEUljE_EEESV_SW_SX_S14_S18_S1A_T6_T7_T9_mT8_S1C_bDpT10_ENKUlT_T0_E_clISt17integral_constantIbLb1EES1O_IbLb0EEEEDaS1K_S1L_EUlS1K_E_NS1_11comp_targetILNS1_3genE3ELNS1_11target_archE908ELNS1_3gpuE7ELNS1_3repE0EEENS1_30default_config_static_selectorELNS0_4arch9wavefront6targetE0EEEvSY_.num_named_barrier, 0
	.set _ZN7rocprim17ROCPRIM_400000_NS6detail17trampoline_kernelINS0_13select_configILj256ELj13ELNS0_17block_load_methodE3ELS4_3ELS4_3ELNS0_20block_scan_algorithmE0ELj4294967295EEENS1_25partition_config_selectorILNS1_17partition_subalgoE3EjNS0_10empty_typeEbEEZZNS1_14partition_implILS8_3ELb0ES6_jNS0_17counting_iteratorIjlEEPS9_SE_NS0_5tupleIJPjSE_EEENSF_IJSE_SE_EEES9_SG_JZNS1_25segmented_radix_sort_implINS0_14default_configELb0EPKbPbPKlPlN2at6native12_GLOBAL__N_18offset_tEEE10hipError_tPvRmT1_PNSt15iterator_traitsISY_E10value_typeET2_T3_PNSZ_IS14_E10value_typeET4_jRbjT5_S1A_jjP12ihipStream_tbEUljE_EEESV_SW_SX_S14_S18_S1A_T6_T7_T9_mT8_S1C_bDpT10_ENKUlT_T0_E_clISt17integral_constantIbLb1EES1O_IbLb0EEEEDaS1K_S1L_EUlS1K_E_NS1_11comp_targetILNS1_3genE3ELNS1_11target_archE908ELNS1_3gpuE7ELNS1_3repE0EEENS1_30default_config_static_selectorELNS0_4arch9wavefront6targetE0EEEvSY_.private_seg_size, 0
	.set _ZN7rocprim17ROCPRIM_400000_NS6detail17trampoline_kernelINS0_13select_configILj256ELj13ELNS0_17block_load_methodE3ELS4_3ELS4_3ELNS0_20block_scan_algorithmE0ELj4294967295EEENS1_25partition_config_selectorILNS1_17partition_subalgoE3EjNS0_10empty_typeEbEEZZNS1_14partition_implILS8_3ELb0ES6_jNS0_17counting_iteratorIjlEEPS9_SE_NS0_5tupleIJPjSE_EEENSF_IJSE_SE_EEES9_SG_JZNS1_25segmented_radix_sort_implINS0_14default_configELb0EPKbPbPKlPlN2at6native12_GLOBAL__N_18offset_tEEE10hipError_tPvRmT1_PNSt15iterator_traitsISY_E10value_typeET2_T3_PNSZ_IS14_E10value_typeET4_jRbjT5_S1A_jjP12ihipStream_tbEUljE_EEESV_SW_SX_S14_S18_S1A_T6_T7_T9_mT8_S1C_bDpT10_ENKUlT_T0_E_clISt17integral_constantIbLb1EES1O_IbLb0EEEEDaS1K_S1L_EUlS1K_E_NS1_11comp_targetILNS1_3genE3ELNS1_11target_archE908ELNS1_3gpuE7ELNS1_3repE0EEENS1_30default_config_static_selectorELNS0_4arch9wavefront6targetE0EEEvSY_.uses_vcc, 0
	.set _ZN7rocprim17ROCPRIM_400000_NS6detail17trampoline_kernelINS0_13select_configILj256ELj13ELNS0_17block_load_methodE3ELS4_3ELS4_3ELNS0_20block_scan_algorithmE0ELj4294967295EEENS1_25partition_config_selectorILNS1_17partition_subalgoE3EjNS0_10empty_typeEbEEZZNS1_14partition_implILS8_3ELb0ES6_jNS0_17counting_iteratorIjlEEPS9_SE_NS0_5tupleIJPjSE_EEENSF_IJSE_SE_EEES9_SG_JZNS1_25segmented_radix_sort_implINS0_14default_configELb0EPKbPbPKlPlN2at6native12_GLOBAL__N_18offset_tEEE10hipError_tPvRmT1_PNSt15iterator_traitsISY_E10value_typeET2_T3_PNSZ_IS14_E10value_typeET4_jRbjT5_S1A_jjP12ihipStream_tbEUljE_EEESV_SW_SX_S14_S18_S1A_T6_T7_T9_mT8_S1C_bDpT10_ENKUlT_T0_E_clISt17integral_constantIbLb1EES1O_IbLb0EEEEDaS1K_S1L_EUlS1K_E_NS1_11comp_targetILNS1_3genE3ELNS1_11target_archE908ELNS1_3gpuE7ELNS1_3repE0EEENS1_30default_config_static_selectorELNS0_4arch9wavefront6targetE0EEEvSY_.uses_flat_scratch, 0
	.set _ZN7rocprim17ROCPRIM_400000_NS6detail17trampoline_kernelINS0_13select_configILj256ELj13ELNS0_17block_load_methodE3ELS4_3ELS4_3ELNS0_20block_scan_algorithmE0ELj4294967295EEENS1_25partition_config_selectorILNS1_17partition_subalgoE3EjNS0_10empty_typeEbEEZZNS1_14partition_implILS8_3ELb0ES6_jNS0_17counting_iteratorIjlEEPS9_SE_NS0_5tupleIJPjSE_EEENSF_IJSE_SE_EEES9_SG_JZNS1_25segmented_radix_sort_implINS0_14default_configELb0EPKbPbPKlPlN2at6native12_GLOBAL__N_18offset_tEEE10hipError_tPvRmT1_PNSt15iterator_traitsISY_E10value_typeET2_T3_PNSZ_IS14_E10value_typeET4_jRbjT5_S1A_jjP12ihipStream_tbEUljE_EEESV_SW_SX_S14_S18_S1A_T6_T7_T9_mT8_S1C_bDpT10_ENKUlT_T0_E_clISt17integral_constantIbLb1EES1O_IbLb0EEEEDaS1K_S1L_EUlS1K_E_NS1_11comp_targetILNS1_3genE3ELNS1_11target_archE908ELNS1_3gpuE7ELNS1_3repE0EEENS1_30default_config_static_selectorELNS0_4arch9wavefront6targetE0EEEvSY_.has_dyn_sized_stack, 0
	.set _ZN7rocprim17ROCPRIM_400000_NS6detail17trampoline_kernelINS0_13select_configILj256ELj13ELNS0_17block_load_methodE3ELS4_3ELS4_3ELNS0_20block_scan_algorithmE0ELj4294967295EEENS1_25partition_config_selectorILNS1_17partition_subalgoE3EjNS0_10empty_typeEbEEZZNS1_14partition_implILS8_3ELb0ES6_jNS0_17counting_iteratorIjlEEPS9_SE_NS0_5tupleIJPjSE_EEENSF_IJSE_SE_EEES9_SG_JZNS1_25segmented_radix_sort_implINS0_14default_configELb0EPKbPbPKlPlN2at6native12_GLOBAL__N_18offset_tEEE10hipError_tPvRmT1_PNSt15iterator_traitsISY_E10value_typeET2_T3_PNSZ_IS14_E10value_typeET4_jRbjT5_S1A_jjP12ihipStream_tbEUljE_EEESV_SW_SX_S14_S18_S1A_T6_T7_T9_mT8_S1C_bDpT10_ENKUlT_T0_E_clISt17integral_constantIbLb1EES1O_IbLb0EEEEDaS1K_S1L_EUlS1K_E_NS1_11comp_targetILNS1_3genE3ELNS1_11target_archE908ELNS1_3gpuE7ELNS1_3repE0EEENS1_30default_config_static_selectorELNS0_4arch9wavefront6targetE0EEEvSY_.has_recursion, 0
	.set _ZN7rocprim17ROCPRIM_400000_NS6detail17trampoline_kernelINS0_13select_configILj256ELj13ELNS0_17block_load_methodE3ELS4_3ELS4_3ELNS0_20block_scan_algorithmE0ELj4294967295EEENS1_25partition_config_selectorILNS1_17partition_subalgoE3EjNS0_10empty_typeEbEEZZNS1_14partition_implILS8_3ELb0ES6_jNS0_17counting_iteratorIjlEEPS9_SE_NS0_5tupleIJPjSE_EEENSF_IJSE_SE_EEES9_SG_JZNS1_25segmented_radix_sort_implINS0_14default_configELb0EPKbPbPKlPlN2at6native12_GLOBAL__N_18offset_tEEE10hipError_tPvRmT1_PNSt15iterator_traitsISY_E10value_typeET2_T3_PNSZ_IS14_E10value_typeET4_jRbjT5_S1A_jjP12ihipStream_tbEUljE_EEESV_SW_SX_S14_S18_S1A_T6_T7_T9_mT8_S1C_bDpT10_ENKUlT_T0_E_clISt17integral_constantIbLb1EES1O_IbLb0EEEEDaS1K_S1L_EUlS1K_E_NS1_11comp_targetILNS1_3genE3ELNS1_11target_archE908ELNS1_3gpuE7ELNS1_3repE0EEENS1_30default_config_static_selectorELNS0_4arch9wavefront6targetE0EEEvSY_.has_indirect_call, 0
	.section	.AMDGPU.csdata,"",@progbits
; Kernel info:
; codeLenInByte = 0
; TotalNumSgprs: 0
; NumVgprs: 0
; ScratchSize: 0
; MemoryBound: 0
; FloatMode: 240
; IeeeMode: 1
; LDSByteSize: 0 bytes/workgroup (compile time only)
; SGPRBlocks: 0
; VGPRBlocks: 0
; NumSGPRsForWavesPerEU: 1
; NumVGPRsForWavesPerEU: 1
; Occupancy: 16
; WaveLimiterHint : 0
; COMPUTE_PGM_RSRC2:SCRATCH_EN: 0
; COMPUTE_PGM_RSRC2:USER_SGPR: 6
; COMPUTE_PGM_RSRC2:TRAP_HANDLER: 0
; COMPUTE_PGM_RSRC2:TGID_X_EN: 1
; COMPUTE_PGM_RSRC2:TGID_Y_EN: 0
; COMPUTE_PGM_RSRC2:TGID_Z_EN: 0
; COMPUTE_PGM_RSRC2:TIDIG_COMP_CNT: 0
	.section	.text._ZN7rocprim17ROCPRIM_400000_NS6detail17trampoline_kernelINS0_13select_configILj256ELj13ELNS0_17block_load_methodE3ELS4_3ELS4_3ELNS0_20block_scan_algorithmE0ELj4294967295EEENS1_25partition_config_selectorILNS1_17partition_subalgoE3EjNS0_10empty_typeEbEEZZNS1_14partition_implILS8_3ELb0ES6_jNS0_17counting_iteratorIjlEEPS9_SE_NS0_5tupleIJPjSE_EEENSF_IJSE_SE_EEES9_SG_JZNS1_25segmented_radix_sort_implINS0_14default_configELb0EPKbPbPKlPlN2at6native12_GLOBAL__N_18offset_tEEE10hipError_tPvRmT1_PNSt15iterator_traitsISY_E10value_typeET2_T3_PNSZ_IS14_E10value_typeET4_jRbjT5_S1A_jjP12ihipStream_tbEUljE_EEESV_SW_SX_S14_S18_S1A_T6_T7_T9_mT8_S1C_bDpT10_ENKUlT_T0_E_clISt17integral_constantIbLb1EES1O_IbLb0EEEEDaS1K_S1L_EUlS1K_E_NS1_11comp_targetILNS1_3genE2ELNS1_11target_archE906ELNS1_3gpuE6ELNS1_3repE0EEENS1_30default_config_static_selectorELNS0_4arch9wavefront6targetE0EEEvSY_,"axG",@progbits,_ZN7rocprim17ROCPRIM_400000_NS6detail17trampoline_kernelINS0_13select_configILj256ELj13ELNS0_17block_load_methodE3ELS4_3ELS4_3ELNS0_20block_scan_algorithmE0ELj4294967295EEENS1_25partition_config_selectorILNS1_17partition_subalgoE3EjNS0_10empty_typeEbEEZZNS1_14partition_implILS8_3ELb0ES6_jNS0_17counting_iteratorIjlEEPS9_SE_NS0_5tupleIJPjSE_EEENSF_IJSE_SE_EEES9_SG_JZNS1_25segmented_radix_sort_implINS0_14default_configELb0EPKbPbPKlPlN2at6native12_GLOBAL__N_18offset_tEEE10hipError_tPvRmT1_PNSt15iterator_traitsISY_E10value_typeET2_T3_PNSZ_IS14_E10value_typeET4_jRbjT5_S1A_jjP12ihipStream_tbEUljE_EEESV_SW_SX_S14_S18_S1A_T6_T7_T9_mT8_S1C_bDpT10_ENKUlT_T0_E_clISt17integral_constantIbLb1EES1O_IbLb0EEEEDaS1K_S1L_EUlS1K_E_NS1_11comp_targetILNS1_3genE2ELNS1_11target_archE906ELNS1_3gpuE6ELNS1_3repE0EEENS1_30default_config_static_selectorELNS0_4arch9wavefront6targetE0EEEvSY_,comdat
	.globl	_ZN7rocprim17ROCPRIM_400000_NS6detail17trampoline_kernelINS0_13select_configILj256ELj13ELNS0_17block_load_methodE3ELS4_3ELS4_3ELNS0_20block_scan_algorithmE0ELj4294967295EEENS1_25partition_config_selectorILNS1_17partition_subalgoE3EjNS0_10empty_typeEbEEZZNS1_14partition_implILS8_3ELb0ES6_jNS0_17counting_iteratorIjlEEPS9_SE_NS0_5tupleIJPjSE_EEENSF_IJSE_SE_EEES9_SG_JZNS1_25segmented_radix_sort_implINS0_14default_configELb0EPKbPbPKlPlN2at6native12_GLOBAL__N_18offset_tEEE10hipError_tPvRmT1_PNSt15iterator_traitsISY_E10value_typeET2_T3_PNSZ_IS14_E10value_typeET4_jRbjT5_S1A_jjP12ihipStream_tbEUljE_EEESV_SW_SX_S14_S18_S1A_T6_T7_T9_mT8_S1C_bDpT10_ENKUlT_T0_E_clISt17integral_constantIbLb1EES1O_IbLb0EEEEDaS1K_S1L_EUlS1K_E_NS1_11comp_targetILNS1_3genE2ELNS1_11target_archE906ELNS1_3gpuE6ELNS1_3repE0EEENS1_30default_config_static_selectorELNS0_4arch9wavefront6targetE0EEEvSY_ ; -- Begin function _ZN7rocprim17ROCPRIM_400000_NS6detail17trampoline_kernelINS0_13select_configILj256ELj13ELNS0_17block_load_methodE3ELS4_3ELS4_3ELNS0_20block_scan_algorithmE0ELj4294967295EEENS1_25partition_config_selectorILNS1_17partition_subalgoE3EjNS0_10empty_typeEbEEZZNS1_14partition_implILS8_3ELb0ES6_jNS0_17counting_iteratorIjlEEPS9_SE_NS0_5tupleIJPjSE_EEENSF_IJSE_SE_EEES9_SG_JZNS1_25segmented_radix_sort_implINS0_14default_configELb0EPKbPbPKlPlN2at6native12_GLOBAL__N_18offset_tEEE10hipError_tPvRmT1_PNSt15iterator_traitsISY_E10value_typeET2_T3_PNSZ_IS14_E10value_typeET4_jRbjT5_S1A_jjP12ihipStream_tbEUljE_EEESV_SW_SX_S14_S18_S1A_T6_T7_T9_mT8_S1C_bDpT10_ENKUlT_T0_E_clISt17integral_constantIbLb1EES1O_IbLb0EEEEDaS1K_S1L_EUlS1K_E_NS1_11comp_targetILNS1_3genE2ELNS1_11target_archE906ELNS1_3gpuE6ELNS1_3repE0EEENS1_30default_config_static_selectorELNS0_4arch9wavefront6targetE0EEEvSY_
	.p2align	8
	.type	_ZN7rocprim17ROCPRIM_400000_NS6detail17trampoline_kernelINS0_13select_configILj256ELj13ELNS0_17block_load_methodE3ELS4_3ELS4_3ELNS0_20block_scan_algorithmE0ELj4294967295EEENS1_25partition_config_selectorILNS1_17partition_subalgoE3EjNS0_10empty_typeEbEEZZNS1_14partition_implILS8_3ELb0ES6_jNS0_17counting_iteratorIjlEEPS9_SE_NS0_5tupleIJPjSE_EEENSF_IJSE_SE_EEES9_SG_JZNS1_25segmented_radix_sort_implINS0_14default_configELb0EPKbPbPKlPlN2at6native12_GLOBAL__N_18offset_tEEE10hipError_tPvRmT1_PNSt15iterator_traitsISY_E10value_typeET2_T3_PNSZ_IS14_E10value_typeET4_jRbjT5_S1A_jjP12ihipStream_tbEUljE_EEESV_SW_SX_S14_S18_S1A_T6_T7_T9_mT8_S1C_bDpT10_ENKUlT_T0_E_clISt17integral_constantIbLb1EES1O_IbLb0EEEEDaS1K_S1L_EUlS1K_E_NS1_11comp_targetILNS1_3genE2ELNS1_11target_archE906ELNS1_3gpuE6ELNS1_3repE0EEENS1_30default_config_static_selectorELNS0_4arch9wavefront6targetE0EEEvSY_,@function
_ZN7rocprim17ROCPRIM_400000_NS6detail17trampoline_kernelINS0_13select_configILj256ELj13ELNS0_17block_load_methodE3ELS4_3ELS4_3ELNS0_20block_scan_algorithmE0ELj4294967295EEENS1_25partition_config_selectorILNS1_17partition_subalgoE3EjNS0_10empty_typeEbEEZZNS1_14partition_implILS8_3ELb0ES6_jNS0_17counting_iteratorIjlEEPS9_SE_NS0_5tupleIJPjSE_EEENSF_IJSE_SE_EEES9_SG_JZNS1_25segmented_radix_sort_implINS0_14default_configELb0EPKbPbPKlPlN2at6native12_GLOBAL__N_18offset_tEEE10hipError_tPvRmT1_PNSt15iterator_traitsISY_E10value_typeET2_T3_PNSZ_IS14_E10value_typeET4_jRbjT5_S1A_jjP12ihipStream_tbEUljE_EEESV_SW_SX_S14_S18_S1A_T6_T7_T9_mT8_S1C_bDpT10_ENKUlT_T0_E_clISt17integral_constantIbLb1EES1O_IbLb0EEEEDaS1K_S1L_EUlS1K_E_NS1_11comp_targetILNS1_3genE2ELNS1_11target_archE906ELNS1_3gpuE6ELNS1_3repE0EEENS1_30default_config_static_selectorELNS0_4arch9wavefront6targetE0EEEvSY_: ; @_ZN7rocprim17ROCPRIM_400000_NS6detail17trampoline_kernelINS0_13select_configILj256ELj13ELNS0_17block_load_methodE3ELS4_3ELS4_3ELNS0_20block_scan_algorithmE0ELj4294967295EEENS1_25partition_config_selectorILNS1_17partition_subalgoE3EjNS0_10empty_typeEbEEZZNS1_14partition_implILS8_3ELb0ES6_jNS0_17counting_iteratorIjlEEPS9_SE_NS0_5tupleIJPjSE_EEENSF_IJSE_SE_EEES9_SG_JZNS1_25segmented_radix_sort_implINS0_14default_configELb0EPKbPbPKlPlN2at6native12_GLOBAL__N_18offset_tEEE10hipError_tPvRmT1_PNSt15iterator_traitsISY_E10value_typeET2_T3_PNSZ_IS14_E10value_typeET4_jRbjT5_S1A_jjP12ihipStream_tbEUljE_EEESV_SW_SX_S14_S18_S1A_T6_T7_T9_mT8_S1C_bDpT10_ENKUlT_T0_E_clISt17integral_constantIbLb1EES1O_IbLb0EEEEDaS1K_S1L_EUlS1K_E_NS1_11comp_targetILNS1_3genE2ELNS1_11target_archE906ELNS1_3gpuE6ELNS1_3repE0EEENS1_30default_config_static_selectorELNS0_4arch9wavefront6targetE0EEEvSY_
; %bb.0:
	.section	.rodata,"a",@progbits
	.p2align	6, 0x0
	.amdhsa_kernel _ZN7rocprim17ROCPRIM_400000_NS6detail17trampoline_kernelINS0_13select_configILj256ELj13ELNS0_17block_load_methodE3ELS4_3ELS4_3ELNS0_20block_scan_algorithmE0ELj4294967295EEENS1_25partition_config_selectorILNS1_17partition_subalgoE3EjNS0_10empty_typeEbEEZZNS1_14partition_implILS8_3ELb0ES6_jNS0_17counting_iteratorIjlEEPS9_SE_NS0_5tupleIJPjSE_EEENSF_IJSE_SE_EEES9_SG_JZNS1_25segmented_radix_sort_implINS0_14default_configELb0EPKbPbPKlPlN2at6native12_GLOBAL__N_18offset_tEEE10hipError_tPvRmT1_PNSt15iterator_traitsISY_E10value_typeET2_T3_PNSZ_IS14_E10value_typeET4_jRbjT5_S1A_jjP12ihipStream_tbEUljE_EEESV_SW_SX_S14_S18_S1A_T6_T7_T9_mT8_S1C_bDpT10_ENKUlT_T0_E_clISt17integral_constantIbLb1EES1O_IbLb0EEEEDaS1K_S1L_EUlS1K_E_NS1_11comp_targetILNS1_3genE2ELNS1_11target_archE906ELNS1_3gpuE6ELNS1_3repE0EEENS1_30default_config_static_selectorELNS0_4arch9wavefront6targetE0EEEvSY_
		.amdhsa_group_segment_fixed_size 0
		.amdhsa_private_segment_fixed_size 0
		.amdhsa_kernarg_size 144
		.amdhsa_user_sgpr_count 6
		.amdhsa_user_sgpr_private_segment_buffer 1
		.amdhsa_user_sgpr_dispatch_ptr 0
		.amdhsa_user_sgpr_queue_ptr 0
		.amdhsa_user_sgpr_kernarg_segment_ptr 1
		.amdhsa_user_sgpr_dispatch_id 0
		.amdhsa_user_sgpr_flat_scratch_init 0
		.amdhsa_user_sgpr_private_segment_size 0
		.amdhsa_wavefront_size32 1
		.amdhsa_uses_dynamic_stack 0
		.amdhsa_system_sgpr_private_segment_wavefront_offset 0
		.amdhsa_system_sgpr_workgroup_id_x 1
		.amdhsa_system_sgpr_workgroup_id_y 0
		.amdhsa_system_sgpr_workgroup_id_z 0
		.amdhsa_system_sgpr_workgroup_info 0
		.amdhsa_system_vgpr_workitem_id 0
		.amdhsa_next_free_vgpr 1
		.amdhsa_next_free_sgpr 1
		.amdhsa_reserve_vcc 0
		.amdhsa_reserve_flat_scratch 0
		.amdhsa_float_round_mode_32 0
		.amdhsa_float_round_mode_16_64 0
		.amdhsa_float_denorm_mode_32 3
		.amdhsa_float_denorm_mode_16_64 3
		.amdhsa_dx10_clamp 1
		.amdhsa_ieee_mode 1
		.amdhsa_fp16_overflow 0
		.amdhsa_workgroup_processor_mode 1
		.amdhsa_memory_ordered 1
		.amdhsa_forward_progress 1
		.amdhsa_shared_vgpr_count 0
		.amdhsa_exception_fp_ieee_invalid_op 0
		.amdhsa_exception_fp_denorm_src 0
		.amdhsa_exception_fp_ieee_div_zero 0
		.amdhsa_exception_fp_ieee_overflow 0
		.amdhsa_exception_fp_ieee_underflow 0
		.amdhsa_exception_fp_ieee_inexact 0
		.amdhsa_exception_int_div_zero 0
	.end_amdhsa_kernel
	.section	.text._ZN7rocprim17ROCPRIM_400000_NS6detail17trampoline_kernelINS0_13select_configILj256ELj13ELNS0_17block_load_methodE3ELS4_3ELS4_3ELNS0_20block_scan_algorithmE0ELj4294967295EEENS1_25partition_config_selectorILNS1_17partition_subalgoE3EjNS0_10empty_typeEbEEZZNS1_14partition_implILS8_3ELb0ES6_jNS0_17counting_iteratorIjlEEPS9_SE_NS0_5tupleIJPjSE_EEENSF_IJSE_SE_EEES9_SG_JZNS1_25segmented_radix_sort_implINS0_14default_configELb0EPKbPbPKlPlN2at6native12_GLOBAL__N_18offset_tEEE10hipError_tPvRmT1_PNSt15iterator_traitsISY_E10value_typeET2_T3_PNSZ_IS14_E10value_typeET4_jRbjT5_S1A_jjP12ihipStream_tbEUljE_EEESV_SW_SX_S14_S18_S1A_T6_T7_T9_mT8_S1C_bDpT10_ENKUlT_T0_E_clISt17integral_constantIbLb1EES1O_IbLb0EEEEDaS1K_S1L_EUlS1K_E_NS1_11comp_targetILNS1_3genE2ELNS1_11target_archE906ELNS1_3gpuE6ELNS1_3repE0EEENS1_30default_config_static_selectorELNS0_4arch9wavefront6targetE0EEEvSY_,"axG",@progbits,_ZN7rocprim17ROCPRIM_400000_NS6detail17trampoline_kernelINS0_13select_configILj256ELj13ELNS0_17block_load_methodE3ELS4_3ELS4_3ELNS0_20block_scan_algorithmE0ELj4294967295EEENS1_25partition_config_selectorILNS1_17partition_subalgoE3EjNS0_10empty_typeEbEEZZNS1_14partition_implILS8_3ELb0ES6_jNS0_17counting_iteratorIjlEEPS9_SE_NS0_5tupleIJPjSE_EEENSF_IJSE_SE_EEES9_SG_JZNS1_25segmented_radix_sort_implINS0_14default_configELb0EPKbPbPKlPlN2at6native12_GLOBAL__N_18offset_tEEE10hipError_tPvRmT1_PNSt15iterator_traitsISY_E10value_typeET2_T3_PNSZ_IS14_E10value_typeET4_jRbjT5_S1A_jjP12ihipStream_tbEUljE_EEESV_SW_SX_S14_S18_S1A_T6_T7_T9_mT8_S1C_bDpT10_ENKUlT_T0_E_clISt17integral_constantIbLb1EES1O_IbLb0EEEEDaS1K_S1L_EUlS1K_E_NS1_11comp_targetILNS1_3genE2ELNS1_11target_archE906ELNS1_3gpuE6ELNS1_3repE0EEENS1_30default_config_static_selectorELNS0_4arch9wavefront6targetE0EEEvSY_,comdat
.Lfunc_end1614:
	.size	_ZN7rocprim17ROCPRIM_400000_NS6detail17trampoline_kernelINS0_13select_configILj256ELj13ELNS0_17block_load_methodE3ELS4_3ELS4_3ELNS0_20block_scan_algorithmE0ELj4294967295EEENS1_25partition_config_selectorILNS1_17partition_subalgoE3EjNS0_10empty_typeEbEEZZNS1_14partition_implILS8_3ELb0ES6_jNS0_17counting_iteratorIjlEEPS9_SE_NS0_5tupleIJPjSE_EEENSF_IJSE_SE_EEES9_SG_JZNS1_25segmented_radix_sort_implINS0_14default_configELb0EPKbPbPKlPlN2at6native12_GLOBAL__N_18offset_tEEE10hipError_tPvRmT1_PNSt15iterator_traitsISY_E10value_typeET2_T3_PNSZ_IS14_E10value_typeET4_jRbjT5_S1A_jjP12ihipStream_tbEUljE_EEESV_SW_SX_S14_S18_S1A_T6_T7_T9_mT8_S1C_bDpT10_ENKUlT_T0_E_clISt17integral_constantIbLb1EES1O_IbLb0EEEEDaS1K_S1L_EUlS1K_E_NS1_11comp_targetILNS1_3genE2ELNS1_11target_archE906ELNS1_3gpuE6ELNS1_3repE0EEENS1_30default_config_static_selectorELNS0_4arch9wavefront6targetE0EEEvSY_, .Lfunc_end1614-_ZN7rocprim17ROCPRIM_400000_NS6detail17trampoline_kernelINS0_13select_configILj256ELj13ELNS0_17block_load_methodE3ELS4_3ELS4_3ELNS0_20block_scan_algorithmE0ELj4294967295EEENS1_25partition_config_selectorILNS1_17partition_subalgoE3EjNS0_10empty_typeEbEEZZNS1_14partition_implILS8_3ELb0ES6_jNS0_17counting_iteratorIjlEEPS9_SE_NS0_5tupleIJPjSE_EEENSF_IJSE_SE_EEES9_SG_JZNS1_25segmented_radix_sort_implINS0_14default_configELb0EPKbPbPKlPlN2at6native12_GLOBAL__N_18offset_tEEE10hipError_tPvRmT1_PNSt15iterator_traitsISY_E10value_typeET2_T3_PNSZ_IS14_E10value_typeET4_jRbjT5_S1A_jjP12ihipStream_tbEUljE_EEESV_SW_SX_S14_S18_S1A_T6_T7_T9_mT8_S1C_bDpT10_ENKUlT_T0_E_clISt17integral_constantIbLb1EES1O_IbLb0EEEEDaS1K_S1L_EUlS1K_E_NS1_11comp_targetILNS1_3genE2ELNS1_11target_archE906ELNS1_3gpuE6ELNS1_3repE0EEENS1_30default_config_static_selectorELNS0_4arch9wavefront6targetE0EEEvSY_
                                        ; -- End function
	.set _ZN7rocprim17ROCPRIM_400000_NS6detail17trampoline_kernelINS0_13select_configILj256ELj13ELNS0_17block_load_methodE3ELS4_3ELS4_3ELNS0_20block_scan_algorithmE0ELj4294967295EEENS1_25partition_config_selectorILNS1_17partition_subalgoE3EjNS0_10empty_typeEbEEZZNS1_14partition_implILS8_3ELb0ES6_jNS0_17counting_iteratorIjlEEPS9_SE_NS0_5tupleIJPjSE_EEENSF_IJSE_SE_EEES9_SG_JZNS1_25segmented_radix_sort_implINS0_14default_configELb0EPKbPbPKlPlN2at6native12_GLOBAL__N_18offset_tEEE10hipError_tPvRmT1_PNSt15iterator_traitsISY_E10value_typeET2_T3_PNSZ_IS14_E10value_typeET4_jRbjT5_S1A_jjP12ihipStream_tbEUljE_EEESV_SW_SX_S14_S18_S1A_T6_T7_T9_mT8_S1C_bDpT10_ENKUlT_T0_E_clISt17integral_constantIbLb1EES1O_IbLb0EEEEDaS1K_S1L_EUlS1K_E_NS1_11comp_targetILNS1_3genE2ELNS1_11target_archE906ELNS1_3gpuE6ELNS1_3repE0EEENS1_30default_config_static_selectorELNS0_4arch9wavefront6targetE0EEEvSY_.num_vgpr, 0
	.set _ZN7rocprim17ROCPRIM_400000_NS6detail17trampoline_kernelINS0_13select_configILj256ELj13ELNS0_17block_load_methodE3ELS4_3ELS4_3ELNS0_20block_scan_algorithmE0ELj4294967295EEENS1_25partition_config_selectorILNS1_17partition_subalgoE3EjNS0_10empty_typeEbEEZZNS1_14partition_implILS8_3ELb0ES6_jNS0_17counting_iteratorIjlEEPS9_SE_NS0_5tupleIJPjSE_EEENSF_IJSE_SE_EEES9_SG_JZNS1_25segmented_radix_sort_implINS0_14default_configELb0EPKbPbPKlPlN2at6native12_GLOBAL__N_18offset_tEEE10hipError_tPvRmT1_PNSt15iterator_traitsISY_E10value_typeET2_T3_PNSZ_IS14_E10value_typeET4_jRbjT5_S1A_jjP12ihipStream_tbEUljE_EEESV_SW_SX_S14_S18_S1A_T6_T7_T9_mT8_S1C_bDpT10_ENKUlT_T0_E_clISt17integral_constantIbLb1EES1O_IbLb0EEEEDaS1K_S1L_EUlS1K_E_NS1_11comp_targetILNS1_3genE2ELNS1_11target_archE906ELNS1_3gpuE6ELNS1_3repE0EEENS1_30default_config_static_selectorELNS0_4arch9wavefront6targetE0EEEvSY_.num_agpr, 0
	.set _ZN7rocprim17ROCPRIM_400000_NS6detail17trampoline_kernelINS0_13select_configILj256ELj13ELNS0_17block_load_methodE3ELS4_3ELS4_3ELNS0_20block_scan_algorithmE0ELj4294967295EEENS1_25partition_config_selectorILNS1_17partition_subalgoE3EjNS0_10empty_typeEbEEZZNS1_14partition_implILS8_3ELb0ES6_jNS0_17counting_iteratorIjlEEPS9_SE_NS0_5tupleIJPjSE_EEENSF_IJSE_SE_EEES9_SG_JZNS1_25segmented_radix_sort_implINS0_14default_configELb0EPKbPbPKlPlN2at6native12_GLOBAL__N_18offset_tEEE10hipError_tPvRmT1_PNSt15iterator_traitsISY_E10value_typeET2_T3_PNSZ_IS14_E10value_typeET4_jRbjT5_S1A_jjP12ihipStream_tbEUljE_EEESV_SW_SX_S14_S18_S1A_T6_T7_T9_mT8_S1C_bDpT10_ENKUlT_T0_E_clISt17integral_constantIbLb1EES1O_IbLb0EEEEDaS1K_S1L_EUlS1K_E_NS1_11comp_targetILNS1_3genE2ELNS1_11target_archE906ELNS1_3gpuE6ELNS1_3repE0EEENS1_30default_config_static_selectorELNS0_4arch9wavefront6targetE0EEEvSY_.numbered_sgpr, 0
	.set _ZN7rocprim17ROCPRIM_400000_NS6detail17trampoline_kernelINS0_13select_configILj256ELj13ELNS0_17block_load_methodE3ELS4_3ELS4_3ELNS0_20block_scan_algorithmE0ELj4294967295EEENS1_25partition_config_selectorILNS1_17partition_subalgoE3EjNS0_10empty_typeEbEEZZNS1_14partition_implILS8_3ELb0ES6_jNS0_17counting_iteratorIjlEEPS9_SE_NS0_5tupleIJPjSE_EEENSF_IJSE_SE_EEES9_SG_JZNS1_25segmented_radix_sort_implINS0_14default_configELb0EPKbPbPKlPlN2at6native12_GLOBAL__N_18offset_tEEE10hipError_tPvRmT1_PNSt15iterator_traitsISY_E10value_typeET2_T3_PNSZ_IS14_E10value_typeET4_jRbjT5_S1A_jjP12ihipStream_tbEUljE_EEESV_SW_SX_S14_S18_S1A_T6_T7_T9_mT8_S1C_bDpT10_ENKUlT_T0_E_clISt17integral_constantIbLb1EES1O_IbLb0EEEEDaS1K_S1L_EUlS1K_E_NS1_11comp_targetILNS1_3genE2ELNS1_11target_archE906ELNS1_3gpuE6ELNS1_3repE0EEENS1_30default_config_static_selectorELNS0_4arch9wavefront6targetE0EEEvSY_.num_named_barrier, 0
	.set _ZN7rocprim17ROCPRIM_400000_NS6detail17trampoline_kernelINS0_13select_configILj256ELj13ELNS0_17block_load_methodE3ELS4_3ELS4_3ELNS0_20block_scan_algorithmE0ELj4294967295EEENS1_25partition_config_selectorILNS1_17partition_subalgoE3EjNS0_10empty_typeEbEEZZNS1_14partition_implILS8_3ELb0ES6_jNS0_17counting_iteratorIjlEEPS9_SE_NS0_5tupleIJPjSE_EEENSF_IJSE_SE_EEES9_SG_JZNS1_25segmented_radix_sort_implINS0_14default_configELb0EPKbPbPKlPlN2at6native12_GLOBAL__N_18offset_tEEE10hipError_tPvRmT1_PNSt15iterator_traitsISY_E10value_typeET2_T3_PNSZ_IS14_E10value_typeET4_jRbjT5_S1A_jjP12ihipStream_tbEUljE_EEESV_SW_SX_S14_S18_S1A_T6_T7_T9_mT8_S1C_bDpT10_ENKUlT_T0_E_clISt17integral_constantIbLb1EES1O_IbLb0EEEEDaS1K_S1L_EUlS1K_E_NS1_11comp_targetILNS1_3genE2ELNS1_11target_archE906ELNS1_3gpuE6ELNS1_3repE0EEENS1_30default_config_static_selectorELNS0_4arch9wavefront6targetE0EEEvSY_.private_seg_size, 0
	.set _ZN7rocprim17ROCPRIM_400000_NS6detail17trampoline_kernelINS0_13select_configILj256ELj13ELNS0_17block_load_methodE3ELS4_3ELS4_3ELNS0_20block_scan_algorithmE0ELj4294967295EEENS1_25partition_config_selectorILNS1_17partition_subalgoE3EjNS0_10empty_typeEbEEZZNS1_14partition_implILS8_3ELb0ES6_jNS0_17counting_iteratorIjlEEPS9_SE_NS0_5tupleIJPjSE_EEENSF_IJSE_SE_EEES9_SG_JZNS1_25segmented_radix_sort_implINS0_14default_configELb0EPKbPbPKlPlN2at6native12_GLOBAL__N_18offset_tEEE10hipError_tPvRmT1_PNSt15iterator_traitsISY_E10value_typeET2_T3_PNSZ_IS14_E10value_typeET4_jRbjT5_S1A_jjP12ihipStream_tbEUljE_EEESV_SW_SX_S14_S18_S1A_T6_T7_T9_mT8_S1C_bDpT10_ENKUlT_T0_E_clISt17integral_constantIbLb1EES1O_IbLb0EEEEDaS1K_S1L_EUlS1K_E_NS1_11comp_targetILNS1_3genE2ELNS1_11target_archE906ELNS1_3gpuE6ELNS1_3repE0EEENS1_30default_config_static_selectorELNS0_4arch9wavefront6targetE0EEEvSY_.uses_vcc, 0
	.set _ZN7rocprim17ROCPRIM_400000_NS6detail17trampoline_kernelINS0_13select_configILj256ELj13ELNS0_17block_load_methodE3ELS4_3ELS4_3ELNS0_20block_scan_algorithmE0ELj4294967295EEENS1_25partition_config_selectorILNS1_17partition_subalgoE3EjNS0_10empty_typeEbEEZZNS1_14partition_implILS8_3ELb0ES6_jNS0_17counting_iteratorIjlEEPS9_SE_NS0_5tupleIJPjSE_EEENSF_IJSE_SE_EEES9_SG_JZNS1_25segmented_radix_sort_implINS0_14default_configELb0EPKbPbPKlPlN2at6native12_GLOBAL__N_18offset_tEEE10hipError_tPvRmT1_PNSt15iterator_traitsISY_E10value_typeET2_T3_PNSZ_IS14_E10value_typeET4_jRbjT5_S1A_jjP12ihipStream_tbEUljE_EEESV_SW_SX_S14_S18_S1A_T6_T7_T9_mT8_S1C_bDpT10_ENKUlT_T0_E_clISt17integral_constantIbLb1EES1O_IbLb0EEEEDaS1K_S1L_EUlS1K_E_NS1_11comp_targetILNS1_3genE2ELNS1_11target_archE906ELNS1_3gpuE6ELNS1_3repE0EEENS1_30default_config_static_selectorELNS0_4arch9wavefront6targetE0EEEvSY_.uses_flat_scratch, 0
	.set _ZN7rocprim17ROCPRIM_400000_NS6detail17trampoline_kernelINS0_13select_configILj256ELj13ELNS0_17block_load_methodE3ELS4_3ELS4_3ELNS0_20block_scan_algorithmE0ELj4294967295EEENS1_25partition_config_selectorILNS1_17partition_subalgoE3EjNS0_10empty_typeEbEEZZNS1_14partition_implILS8_3ELb0ES6_jNS0_17counting_iteratorIjlEEPS9_SE_NS0_5tupleIJPjSE_EEENSF_IJSE_SE_EEES9_SG_JZNS1_25segmented_radix_sort_implINS0_14default_configELb0EPKbPbPKlPlN2at6native12_GLOBAL__N_18offset_tEEE10hipError_tPvRmT1_PNSt15iterator_traitsISY_E10value_typeET2_T3_PNSZ_IS14_E10value_typeET4_jRbjT5_S1A_jjP12ihipStream_tbEUljE_EEESV_SW_SX_S14_S18_S1A_T6_T7_T9_mT8_S1C_bDpT10_ENKUlT_T0_E_clISt17integral_constantIbLb1EES1O_IbLb0EEEEDaS1K_S1L_EUlS1K_E_NS1_11comp_targetILNS1_3genE2ELNS1_11target_archE906ELNS1_3gpuE6ELNS1_3repE0EEENS1_30default_config_static_selectorELNS0_4arch9wavefront6targetE0EEEvSY_.has_dyn_sized_stack, 0
	.set _ZN7rocprim17ROCPRIM_400000_NS6detail17trampoline_kernelINS0_13select_configILj256ELj13ELNS0_17block_load_methodE3ELS4_3ELS4_3ELNS0_20block_scan_algorithmE0ELj4294967295EEENS1_25partition_config_selectorILNS1_17partition_subalgoE3EjNS0_10empty_typeEbEEZZNS1_14partition_implILS8_3ELb0ES6_jNS0_17counting_iteratorIjlEEPS9_SE_NS0_5tupleIJPjSE_EEENSF_IJSE_SE_EEES9_SG_JZNS1_25segmented_radix_sort_implINS0_14default_configELb0EPKbPbPKlPlN2at6native12_GLOBAL__N_18offset_tEEE10hipError_tPvRmT1_PNSt15iterator_traitsISY_E10value_typeET2_T3_PNSZ_IS14_E10value_typeET4_jRbjT5_S1A_jjP12ihipStream_tbEUljE_EEESV_SW_SX_S14_S18_S1A_T6_T7_T9_mT8_S1C_bDpT10_ENKUlT_T0_E_clISt17integral_constantIbLb1EES1O_IbLb0EEEEDaS1K_S1L_EUlS1K_E_NS1_11comp_targetILNS1_3genE2ELNS1_11target_archE906ELNS1_3gpuE6ELNS1_3repE0EEENS1_30default_config_static_selectorELNS0_4arch9wavefront6targetE0EEEvSY_.has_recursion, 0
	.set _ZN7rocprim17ROCPRIM_400000_NS6detail17trampoline_kernelINS0_13select_configILj256ELj13ELNS0_17block_load_methodE3ELS4_3ELS4_3ELNS0_20block_scan_algorithmE0ELj4294967295EEENS1_25partition_config_selectorILNS1_17partition_subalgoE3EjNS0_10empty_typeEbEEZZNS1_14partition_implILS8_3ELb0ES6_jNS0_17counting_iteratorIjlEEPS9_SE_NS0_5tupleIJPjSE_EEENSF_IJSE_SE_EEES9_SG_JZNS1_25segmented_radix_sort_implINS0_14default_configELb0EPKbPbPKlPlN2at6native12_GLOBAL__N_18offset_tEEE10hipError_tPvRmT1_PNSt15iterator_traitsISY_E10value_typeET2_T3_PNSZ_IS14_E10value_typeET4_jRbjT5_S1A_jjP12ihipStream_tbEUljE_EEESV_SW_SX_S14_S18_S1A_T6_T7_T9_mT8_S1C_bDpT10_ENKUlT_T0_E_clISt17integral_constantIbLb1EES1O_IbLb0EEEEDaS1K_S1L_EUlS1K_E_NS1_11comp_targetILNS1_3genE2ELNS1_11target_archE906ELNS1_3gpuE6ELNS1_3repE0EEENS1_30default_config_static_selectorELNS0_4arch9wavefront6targetE0EEEvSY_.has_indirect_call, 0
	.section	.AMDGPU.csdata,"",@progbits
; Kernel info:
; codeLenInByte = 0
; TotalNumSgprs: 0
; NumVgprs: 0
; ScratchSize: 0
; MemoryBound: 0
; FloatMode: 240
; IeeeMode: 1
; LDSByteSize: 0 bytes/workgroup (compile time only)
; SGPRBlocks: 0
; VGPRBlocks: 0
; NumSGPRsForWavesPerEU: 1
; NumVGPRsForWavesPerEU: 1
; Occupancy: 16
; WaveLimiterHint : 0
; COMPUTE_PGM_RSRC2:SCRATCH_EN: 0
; COMPUTE_PGM_RSRC2:USER_SGPR: 6
; COMPUTE_PGM_RSRC2:TRAP_HANDLER: 0
; COMPUTE_PGM_RSRC2:TGID_X_EN: 1
; COMPUTE_PGM_RSRC2:TGID_Y_EN: 0
; COMPUTE_PGM_RSRC2:TGID_Z_EN: 0
; COMPUTE_PGM_RSRC2:TIDIG_COMP_CNT: 0
	.section	.text._ZN7rocprim17ROCPRIM_400000_NS6detail17trampoline_kernelINS0_13select_configILj256ELj13ELNS0_17block_load_methodE3ELS4_3ELS4_3ELNS0_20block_scan_algorithmE0ELj4294967295EEENS1_25partition_config_selectorILNS1_17partition_subalgoE3EjNS0_10empty_typeEbEEZZNS1_14partition_implILS8_3ELb0ES6_jNS0_17counting_iteratorIjlEEPS9_SE_NS0_5tupleIJPjSE_EEENSF_IJSE_SE_EEES9_SG_JZNS1_25segmented_radix_sort_implINS0_14default_configELb0EPKbPbPKlPlN2at6native12_GLOBAL__N_18offset_tEEE10hipError_tPvRmT1_PNSt15iterator_traitsISY_E10value_typeET2_T3_PNSZ_IS14_E10value_typeET4_jRbjT5_S1A_jjP12ihipStream_tbEUljE_EEESV_SW_SX_S14_S18_S1A_T6_T7_T9_mT8_S1C_bDpT10_ENKUlT_T0_E_clISt17integral_constantIbLb1EES1O_IbLb0EEEEDaS1K_S1L_EUlS1K_E_NS1_11comp_targetILNS1_3genE10ELNS1_11target_archE1200ELNS1_3gpuE4ELNS1_3repE0EEENS1_30default_config_static_selectorELNS0_4arch9wavefront6targetE0EEEvSY_,"axG",@progbits,_ZN7rocprim17ROCPRIM_400000_NS6detail17trampoline_kernelINS0_13select_configILj256ELj13ELNS0_17block_load_methodE3ELS4_3ELS4_3ELNS0_20block_scan_algorithmE0ELj4294967295EEENS1_25partition_config_selectorILNS1_17partition_subalgoE3EjNS0_10empty_typeEbEEZZNS1_14partition_implILS8_3ELb0ES6_jNS0_17counting_iteratorIjlEEPS9_SE_NS0_5tupleIJPjSE_EEENSF_IJSE_SE_EEES9_SG_JZNS1_25segmented_radix_sort_implINS0_14default_configELb0EPKbPbPKlPlN2at6native12_GLOBAL__N_18offset_tEEE10hipError_tPvRmT1_PNSt15iterator_traitsISY_E10value_typeET2_T3_PNSZ_IS14_E10value_typeET4_jRbjT5_S1A_jjP12ihipStream_tbEUljE_EEESV_SW_SX_S14_S18_S1A_T6_T7_T9_mT8_S1C_bDpT10_ENKUlT_T0_E_clISt17integral_constantIbLb1EES1O_IbLb0EEEEDaS1K_S1L_EUlS1K_E_NS1_11comp_targetILNS1_3genE10ELNS1_11target_archE1200ELNS1_3gpuE4ELNS1_3repE0EEENS1_30default_config_static_selectorELNS0_4arch9wavefront6targetE0EEEvSY_,comdat
	.globl	_ZN7rocprim17ROCPRIM_400000_NS6detail17trampoline_kernelINS0_13select_configILj256ELj13ELNS0_17block_load_methodE3ELS4_3ELS4_3ELNS0_20block_scan_algorithmE0ELj4294967295EEENS1_25partition_config_selectorILNS1_17partition_subalgoE3EjNS0_10empty_typeEbEEZZNS1_14partition_implILS8_3ELb0ES6_jNS0_17counting_iteratorIjlEEPS9_SE_NS0_5tupleIJPjSE_EEENSF_IJSE_SE_EEES9_SG_JZNS1_25segmented_radix_sort_implINS0_14default_configELb0EPKbPbPKlPlN2at6native12_GLOBAL__N_18offset_tEEE10hipError_tPvRmT1_PNSt15iterator_traitsISY_E10value_typeET2_T3_PNSZ_IS14_E10value_typeET4_jRbjT5_S1A_jjP12ihipStream_tbEUljE_EEESV_SW_SX_S14_S18_S1A_T6_T7_T9_mT8_S1C_bDpT10_ENKUlT_T0_E_clISt17integral_constantIbLb1EES1O_IbLb0EEEEDaS1K_S1L_EUlS1K_E_NS1_11comp_targetILNS1_3genE10ELNS1_11target_archE1200ELNS1_3gpuE4ELNS1_3repE0EEENS1_30default_config_static_selectorELNS0_4arch9wavefront6targetE0EEEvSY_ ; -- Begin function _ZN7rocprim17ROCPRIM_400000_NS6detail17trampoline_kernelINS0_13select_configILj256ELj13ELNS0_17block_load_methodE3ELS4_3ELS4_3ELNS0_20block_scan_algorithmE0ELj4294967295EEENS1_25partition_config_selectorILNS1_17partition_subalgoE3EjNS0_10empty_typeEbEEZZNS1_14partition_implILS8_3ELb0ES6_jNS0_17counting_iteratorIjlEEPS9_SE_NS0_5tupleIJPjSE_EEENSF_IJSE_SE_EEES9_SG_JZNS1_25segmented_radix_sort_implINS0_14default_configELb0EPKbPbPKlPlN2at6native12_GLOBAL__N_18offset_tEEE10hipError_tPvRmT1_PNSt15iterator_traitsISY_E10value_typeET2_T3_PNSZ_IS14_E10value_typeET4_jRbjT5_S1A_jjP12ihipStream_tbEUljE_EEESV_SW_SX_S14_S18_S1A_T6_T7_T9_mT8_S1C_bDpT10_ENKUlT_T0_E_clISt17integral_constantIbLb1EES1O_IbLb0EEEEDaS1K_S1L_EUlS1K_E_NS1_11comp_targetILNS1_3genE10ELNS1_11target_archE1200ELNS1_3gpuE4ELNS1_3repE0EEENS1_30default_config_static_selectorELNS0_4arch9wavefront6targetE0EEEvSY_
	.p2align	8
	.type	_ZN7rocprim17ROCPRIM_400000_NS6detail17trampoline_kernelINS0_13select_configILj256ELj13ELNS0_17block_load_methodE3ELS4_3ELS4_3ELNS0_20block_scan_algorithmE0ELj4294967295EEENS1_25partition_config_selectorILNS1_17partition_subalgoE3EjNS0_10empty_typeEbEEZZNS1_14partition_implILS8_3ELb0ES6_jNS0_17counting_iteratorIjlEEPS9_SE_NS0_5tupleIJPjSE_EEENSF_IJSE_SE_EEES9_SG_JZNS1_25segmented_radix_sort_implINS0_14default_configELb0EPKbPbPKlPlN2at6native12_GLOBAL__N_18offset_tEEE10hipError_tPvRmT1_PNSt15iterator_traitsISY_E10value_typeET2_T3_PNSZ_IS14_E10value_typeET4_jRbjT5_S1A_jjP12ihipStream_tbEUljE_EEESV_SW_SX_S14_S18_S1A_T6_T7_T9_mT8_S1C_bDpT10_ENKUlT_T0_E_clISt17integral_constantIbLb1EES1O_IbLb0EEEEDaS1K_S1L_EUlS1K_E_NS1_11comp_targetILNS1_3genE10ELNS1_11target_archE1200ELNS1_3gpuE4ELNS1_3repE0EEENS1_30default_config_static_selectorELNS0_4arch9wavefront6targetE0EEEvSY_,@function
_ZN7rocprim17ROCPRIM_400000_NS6detail17trampoline_kernelINS0_13select_configILj256ELj13ELNS0_17block_load_methodE3ELS4_3ELS4_3ELNS0_20block_scan_algorithmE0ELj4294967295EEENS1_25partition_config_selectorILNS1_17partition_subalgoE3EjNS0_10empty_typeEbEEZZNS1_14partition_implILS8_3ELb0ES6_jNS0_17counting_iteratorIjlEEPS9_SE_NS0_5tupleIJPjSE_EEENSF_IJSE_SE_EEES9_SG_JZNS1_25segmented_radix_sort_implINS0_14default_configELb0EPKbPbPKlPlN2at6native12_GLOBAL__N_18offset_tEEE10hipError_tPvRmT1_PNSt15iterator_traitsISY_E10value_typeET2_T3_PNSZ_IS14_E10value_typeET4_jRbjT5_S1A_jjP12ihipStream_tbEUljE_EEESV_SW_SX_S14_S18_S1A_T6_T7_T9_mT8_S1C_bDpT10_ENKUlT_T0_E_clISt17integral_constantIbLb1EES1O_IbLb0EEEEDaS1K_S1L_EUlS1K_E_NS1_11comp_targetILNS1_3genE10ELNS1_11target_archE1200ELNS1_3gpuE4ELNS1_3repE0EEENS1_30default_config_static_selectorELNS0_4arch9wavefront6targetE0EEEvSY_: ; @_ZN7rocprim17ROCPRIM_400000_NS6detail17trampoline_kernelINS0_13select_configILj256ELj13ELNS0_17block_load_methodE3ELS4_3ELS4_3ELNS0_20block_scan_algorithmE0ELj4294967295EEENS1_25partition_config_selectorILNS1_17partition_subalgoE3EjNS0_10empty_typeEbEEZZNS1_14partition_implILS8_3ELb0ES6_jNS0_17counting_iteratorIjlEEPS9_SE_NS0_5tupleIJPjSE_EEENSF_IJSE_SE_EEES9_SG_JZNS1_25segmented_radix_sort_implINS0_14default_configELb0EPKbPbPKlPlN2at6native12_GLOBAL__N_18offset_tEEE10hipError_tPvRmT1_PNSt15iterator_traitsISY_E10value_typeET2_T3_PNSZ_IS14_E10value_typeET4_jRbjT5_S1A_jjP12ihipStream_tbEUljE_EEESV_SW_SX_S14_S18_S1A_T6_T7_T9_mT8_S1C_bDpT10_ENKUlT_T0_E_clISt17integral_constantIbLb1EES1O_IbLb0EEEEDaS1K_S1L_EUlS1K_E_NS1_11comp_targetILNS1_3genE10ELNS1_11target_archE1200ELNS1_3gpuE4ELNS1_3repE0EEENS1_30default_config_static_selectorELNS0_4arch9wavefront6targetE0EEEvSY_
; %bb.0:
	.section	.rodata,"a",@progbits
	.p2align	6, 0x0
	.amdhsa_kernel _ZN7rocprim17ROCPRIM_400000_NS6detail17trampoline_kernelINS0_13select_configILj256ELj13ELNS0_17block_load_methodE3ELS4_3ELS4_3ELNS0_20block_scan_algorithmE0ELj4294967295EEENS1_25partition_config_selectorILNS1_17partition_subalgoE3EjNS0_10empty_typeEbEEZZNS1_14partition_implILS8_3ELb0ES6_jNS0_17counting_iteratorIjlEEPS9_SE_NS0_5tupleIJPjSE_EEENSF_IJSE_SE_EEES9_SG_JZNS1_25segmented_radix_sort_implINS0_14default_configELb0EPKbPbPKlPlN2at6native12_GLOBAL__N_18offset_tEEE10hipError_tPvRmT1_PNSt15iterator_traitsISY_E10value_typeET2_T3_PNSZ_IS14_E10value_typeET4_jRbjT5_S1A_jjP12ihipStream_tbEUljE_EEESV_SW_SX_S14_S18_S1A_T6_T7_T9_mT8_S1C_bDpT10_ENKUlT_T0_E_clISt17integral_constantIbLb1EES1O_IbLb0EEEEDaS1K_S1L_EUlS1K_E_NS1_11comp_targetILNS1_3genE10ELNS1_11target_archE1200ELNS1_3gpuE4ELNS1_3repE0EEENS1_30default_config_static_selectorELNS0_4arch9wavefront6targetE0EEEvSY_
		.amdhsa_group_segment_fixed_size 0
		.amdhsa_private_segment_fixed_size 0
		.amdhsa_kernarg_size 144
		.amdhsa_user_sgpr_count 6
		.amdhsa_user_sgpr_private_segment_buffer 1
		.amdhsa_user_sgpr_dispatch_ptr 0
		.amdhsa_user_sgpr_queue_ptr 0
		.amdhsa_user_sgpr_kernarg_segment_ptr 1
		.amdhsa_user_sgpr_dispatch_id 0
		.amdhsa_user_sgpr_flat_scratch_init 0
		.amdhsa_user_sgpr_private_segment_size 0
		.amdhsa_wavefront_size32 1
		.amdhsa_uses_dynamic_stack 0
		.amdhsa_system_sgpr_private_segment_wavefront_offset 0
		.amdhsa_system_sgpr_workgroup_id_x 1
		.amdhsa_system_sgpr_workgroup_id_y 0
		.amdhsa_system_sgpr_workgroup_id_z 0
		.amdhsa_system_sgpr_workgroup_info 0
		.amdhsa_system_vgpr_workitem_id 0
		.amdhsa_next_free_vgpr 1
		.amdhsa_next_free_sgpr 1
		.amdhsa_reserve_vcc 0
		.amdhsa_reserve_flat_scratch 0
		.amdhsa_float_round_mode_32 0
		.amdhsa_float_round_mode_16_64 0
		.amdhsa_float_denorm_mode_32 3
		.amdhsa_float_denorm_mode_16_64 3
		.amdhsa_dx10_clamp 1
		.amdhsa_ieee_mode 1
		.amdhsa_fp16_overflow 0
		.amdhsa_workgroup_processor_mode 1
		.amdhsa_memory_ordered 1
		.amdhsa_forward_progress 1
		.amdhsa_shared_vgpr_count 0
		.amdhsa_exception_fp_ieee_invalid_op 0
		.amdhsa_exception_fp_denorm_src 0
		.amdhsa_exception_fp_ieee_div_zero 0
		.amdhsa_exception_fp_ieee_overflow 0
		.amdhsa_exception_fp_ieee_underflow 0
		.amdhsa_exception_fp_ieee_inexact 0
		.amdhsa_exception_int_div_zero 0
	.end_amdhsa_kernel
	.section	.text._ZN7rocprim17ROCPRIM_400000_NS6detail17trampoline_kernelINS0_13select_configILj256ELj13ELNS0_17block_load_methodE3ELS4_3ELS4_3ELNS0_20block_scan_algorithmE0ELj4294967295EEENS1_25partition_config_selectorILNS1_17partition_subalgoE3EjNS0_10empty_typeEbEEZZNS1_14partition_implILS8_3ELb0ES6_jNS0_17counting_iteratorIjlEEPS9_SE_NS0_5tupleIJPjSE_EEENSF_IJSE_SE_EEES9_SG_JZNS1_25segmented_radix_sort_implINS0_14default_configELb0EPKbPbPKlPlN2at6native12_GLOBAL__N_18offset_tEEE10hipError_tPvRmT1_PNSt15iterator_traitsISY_E10value_typeET2_T3_PNSZ_IS14_E10value_typeET4_jRbjT5_S1A_jjP12ihipStream_tbEUljE_EEESV_SW_SX_S14_S18_S1A_T6_T7_T9_mT8_S1C_bDpT10_ENKUlT_T0_E_clISt17integral_constantIbLb1EES1O_IbLb0EEEEDaS1K_S1L_EUlS1K_E_NS1_11comp_targetILNS1_3genE10ELNS1_11target_archE1200ELNS1_3gpuE4ELNS1_3repE0EEENS1_30default_config_static_selectorELNS0_4arch9wavefront6targetE0EEEvSY_,"axG",@progbits,_ZN7rocprim17ROCPRIM_400000_NS6detail17trampoline_kernelINS0_13select_configILj256ELj13ELNS0_17block_load_methodE3ELS4_3ELS4_3ELNS0_20block_scan_algorithmE0ELj4294967295EEENS1_25partition_config_selectorILNS1_17partition_subalgoE3EjNS0_10empty_typeEbEEZZNS1_14partition_implILS8_3ELb0ES6_jNS0_17counting_iteratorIjlEEPS9_SE_NS0_5tupleIJPjSE_EEENSF_IJSE_SE_EEES9_SG_JZNS1_25segmented_radix_sort_implINS0_14default_configELb0EPKbPbPKlPlN2at6native12_GLOBAL__N_18offset_tEEE10hipError_tPvRmT1_PNSt15iterator_traitsISY_E10value_typeET2_T3_PNSZ_IS14_E10value_typeET4_jRbjT5_S1A_jjP12ihipStream_tbEUljE_EEESV_SW_SX_S14_S18_S1A_T6_T7_T9_mT8_S1C_bDpT10_ENKUlT_T0_E_clISt17integral_constantIbLb1EES1O_IbLb0EEEEDaS1K_S1L_EUlS1K_E_NS1_11comp_targetILNS1_3genE10ELNS1_11target_archE1200ELNS1_3gpuE4ELNS1_3repE0EEENS1_30default_config_static_selectorELNS0_4arch9wavefront6targetE0EEEvSY_,comdat
.Lfunc_end1615:
	.size	_ZN7rocprim17ROCPRIM_400000_NS6detail17trampoline_kernelINS0_13select_configILj256ELj13ELNS0_17block_load_methodE3ELS4_3ELS4_3ELNS0_20block_scan_algorithmE0ELj4294967295EEENS1_25partition_config_selectorILNS1_17partition_subalgoE3EjNS0_10empty_typeEbEEZZNS1_14partition_implILS8_3ELb0ES6_jNS0_17counting_iteratorIjlEEPS9_SE_NS0_5tupleIJPjSE_EEENSF_IJSE_SE_EEES9_SG_JZNS1_25segmented_radix_sort_implINS0_14default_configELb0EPKbPbPKlPlN2at6native12_GLOBAL__N_18offset_tEEE10hipError_tPvRmT1_PNSt15iterator_traitsISY_E10value_typeET2_T3_PNSZ_IS14_E10value_typeET4_jRbjT5_S1A_jjP12ihipStream_tbEUljE_EEESV_SW_SX_S14_S18_S1A_T6_T7_T9_mT8_S1C_bDpT10_ENKUlT_T0_E_clISt17integral_constantIbLb1EES1O_IbLb0EEEEDaS1K_S1L_EUlS1K_E_NS1_11comp_targetILNS1_3genE10ELNS1_11target_archE1200ELNS1_3gpuE4ELNS1_3repE0EEENS1_30default_config_static_selectorELNS0_4arch9wavefront6targetE0EEEvSY_, .Lfunc_end1615-_ZN7rocprim17ROCPRIM_400000_NS6detail17trampoline_kernelINS0_13select_configILj256ELj13ELNS0_17block_load_methodE3ELS4_3ELS4_3ELNS0_20block_scan_algorithmE0ELj4294967295EEENS1_25partition_config_selectorILNS1_17partition_subalgoE3EjNS0_10empty_typeEbEEZZNS1_14partition_implILS8_3ELb0ES6_jNS0_17counting_iteratorIjlEEPS9_SE_NS0_5tupleIJPjSE_EEENSF_IJSE_SE_EEES9_SG_JZNS1_25segmented_radix_sort_implINS0_14default_configELb0EPKbPbPKlPlN2at6native12_GLOBAL__N_18offset_tEEE10hipError_tPvRmT1_PNSt15iterator_traitsISY_E10value_typeET2_T3_PNSZ_IS14_E10value_typeET4_jRbjT5_S1A_jjP12ihipStream_tbEUljE_EEESV_SW_SX_S14_S18_S1A_T6_T7_T9_mT8_S1C_bDpT10_ENKUlT_T0_E_clISt17integral_constantIbLb1EES1O_IbLb0EEEEDaS1K_S1L_EUlS1K_E_NS1_11comp_targetILNS1_3genE10ELNS1_11target_archE1200ELNS1_3gpuE4ELNS1_3repE0EEENS1_30default_config_static_selectorELNS0_4arch9wavefront6targetE0EEEvSY_
                                        ; -- End function
	.set _ZN7rocprim17ROCPRIM_400000_NS6detail17trampoline_kernelINS0_13select_configILj256ELj13ELNS0_17block_load_methodE3ELS4_3ELS4_3ELNS0_20block_scan_algorithmE0ELj4294967295EEENS1_25partition_config_selectorILNS1_17partition_subalgoE3EjNS0_10empty_typeEbEEZZNS1_14partition_implILS8_3ELb0ES6_jNS0_17counting_iteratorIjlEEPS9_SE_NS0_5tupleIJPjSE_EEENSF_IJSE_SE_EEES9_SG_JZNS1_25segmented_radix_sort_implINS0_14default_configELb0EPKbPbPKlPlN2at6native12_GLOBAL__N_18offset_tEEE10hipError_tPvRmT1_PNSt15iterator_traitsISY_E10value_typeET2_T3_PNSZ_IS14_E10value_typeET4_jRbjT5_S1A_jjP12ihipStream_tbEUljE_EEESV_SW_SX_S14_S18_S1A_T6_T7_T9_mT8_S1C_bDpT10_ENKUlT_T0_E_clISt17integral_constantIbLb1EES1O_IbLb0EEEEDaS1K_S1L_EUlS1K_E_NS1_11comp_targetILNS1_3genE10ELNS1_11target_archE1200ELNS1_3gpuE4ELNS1_3repE0EEENS1_30default_config_static_selectorELNS0_4arch9wavefront6targetE0EEEvSY_.num_vgpr, 0
	.set _ZN7rocprim17ROCPRIM_400000_NS6detail17trampoline_kernelINS0_13select_configILj256ELj13ELNS0_17block_load_methodE3ELS4_3ELS4_3ELNS0_20block_scan_algorithmE0ELj4294967295EEENS1_25partition_config_selectorILNS1_17partition_subalgoE3EjNS0_10empty_typeEbEEZZNS1_14partition_implILS8_3ELb0ES6_jNS0_17counting_iteratorIjlEEPS9_SE_NS0_5tupleIJPjSE_EEENSF_IJSE_SE_EEES9_SG_JZNS1_25segmented_radix_sort_implINS0_14default_configELb0EPKbPbPKlPlN2at6native12_GLOBAL__N_18offset_tEEE10hipError_tPvRmT1_PNSt15iterator_traitsISY_E10value_typeET2_T3_PNSZ_IS14_E10value_typeET4_jRbjT5_S1A_jjP12ihipStream_tbEUljE_EEESV_SW_SX_S14_S18_S1A_T6_T7_T9_mT8_S1C_bDpT10_ENKUlT_T0_E_clISt17integral_constantIbLb1EES1O_IbLb0EEEEDaS1K_S1L_EUlS1K_E_NS1_11comp_targetILNS1_3genE10ELNS1_11target_archE1200ELNS1_3gpuE4ELNS1_3repE0EEENS1_30default_config_static_selectorELNS0_4arch9wavefront6targetE0EEEvSY_.num_agpr, 0
	.set _ZN7rocprim17ROCPRIM_400000_NS6detail17trampoline_kernelINS0_13select_configILj256ELj13ELNS0_17block_load_methodE3ELS4_3ELS4_3ELNS0_20block_scan_algorithmE0ELj4294967295EEENS1_25partition_config_selectorILNS1_17partition_subalgoE3EjNS0_10empty_typeEbEEZZNS1_14partition_implILS8_3ELb0ES6_jNS0_17counting_iteratorIjlEEPS9_SE_NS0_5tupleIJPjSE_EEENSF_IJSE_SE_EEES9_SG_JZNS1_25segmented_radix_sort_implINS0_14default_configELb0EPKbPbPKlPlN2at6native12_GLOBAL__N_18offset_tEEE10hipError_tPvRmT1_PNSt15iterator_traitsISY_E10value_typeET2_T3_PNSZ_IS14_E10value_typeET4_jRbjT5_S1A_jjP12ihipStream_tbEUljE_EEESV_SW_SX_S14_S18_S1A_T6_T7_T9_mT8_S1C_bDpT10_ENKUlT_T0_E_clISt17integral_constantIbLb1EES1O_IbLb0EEEEDaS1K_S1L_EUlS1K_E_NS1_11comp_targetILNS1_3genE10ELNS1_11target_archE1200ELNS1_3gpuE4ELNS1_3repE0EEENS1_30default_config_static_selectorELNS0_4arch9wavefront6targetE0EEEvSY_.numbered_sgpr, 0
	.set _ZN7rocprim17ROCPRIM_400000_NS6detail17trampoline_kernelINS0_13select_configILj256ELj13ELNS0_17block_load_methodE3ELS4_3ELS4_3ELNS0_20block_scan_algorithmE0ELj4294967295EEENS1_25partition_config_selectorILNS1_17partition_subalgoE3EjNS0_10empty_typeEbEEZZNS1_14partition_implILS8_3ELb0ES6_jNS0_17counting_iteratorIjlEEPS9_SE_NS0_5tupleIJPjSE_EEENSF_IJSE_SE_EEES9_SG_JZNS1_25segmented_radix_sort_implINS0_14default_configELb0EPKbPbPKlPlN2at6native12_GLOBAL__N_18offset_tEEE10hipError_tPvRmT1_PNSt15iterator_traitsISY_E10value_typeET2_T3_PNSZ_IS14_E10value_typeET4_jRbjT5_S1A_jjP12ihipStream_tbEUljE_EEESV_SW_SX_S14_S18_S1A_T6_T7_T9_mT8_S1C_bDpT10_ENKUlT_T0_E_clISt17integral_constantIbLb1EES1O_IbLb0EEEEDaS1K_S1L_EUlS1K_E_NS1_11comp_targetILNS1_3genE10ELNS1_11target_archE1200ELNS1_3gpuE4ELNS1_3repE0EEENS1_30default_config_static_selectorELNS0_4arch9wavefront6targetE0EEEvSY_.num_named_barrier, 0
	.set _ZN7rocprim17ROCPRIM_400000_NS6detail17trampoline_kernelINS0_13select_configILj256ELj13ELNS0_17block_load_methodE3ELS4_3ELS4_3ELNS0_20block_scan_algorithmE0ELj4294967295EEENS1_25partition_config_selectorILNS1_17partition_subalgoE3EjNS0_10empty_typeEbEEZZNS1_14partition_implILS8_3ELb0ES6_jNS0_17counting_iteratorIjlEEPS9_SE_NS0_5tupleIJPjSE_EEENSF_IJSE_SE_EEES9_SG_JZNS1_25segmented_radix_sort_implINS0_14default_configELb0EPKbPbPKlPlN2at6native12_GLOBAL__N_18offset_tEEE10hipError_tPvRmT1_PNSt15iterator_traitsISY_E10value_typeET2_T3_PNSZ_IS14_E10value_typeET4_jRbjT5_S1A_jjP12ihipStream_tbEUljE_EEESV_SW_SX_S14_S18_S1A_T6_T7_T9_mT8_S1C_bDpT10_ENKUlT_T0_E_clISt17integral_constantIbLb1EES1O_IbLb0EEEEDaS1K_S1L_EUlS1K_E_NS1_11comp_targetILNS1_3genE10ELNS1_11target_archE1200ELNS1_3gpuE4ELNS1_3repE0EEENS1_30default_config_static_selectorELNS0_4arch9wavefront6targetE0EEEvSY_.private_seg_size, 0
	.set _ZN7rocprim17ROCPRIM_400000_NS6detail17trampoline_kernelINS0_13select_configILj256ELj13ELNS0_17block_load_methodE3ELS4_3ELS4_3ELNS0_20block_scan_algorithmE0ELj4294967295EEENS1_25partition_config_selectorILNS1_17partition_subalgoE3EjNS0_10empty_typeEbEEZZNS1_14partition_implILS8_3ELb0ES6_jNS0_17counting_iteratorIjlEEPS9_SE_NS0_5tupleIJPjSE_EEENSF_IJSE_SE_EEES9_SG_JZNS1_25segmented_radix_sort_implINS0_14default_configELb0EPKbPbPKlPlN2at6native12_GLOBAL__N_18offset_tEEE10hipError_tPvRmT1_PNSt15iterator_traitsISY_E10value_typeET2_T3_PNSZ_IS14_E10value_typeET4_jRbjT5_S1A_jjP12ihipStream_tbEUljE_EEESV_SW_SX_S14_S18_S1A_T6_T7_T9_mT8_S1C_bDpT10_ENKUlT_T0_E_clISt17integral_constantIbLb1EES1O_IbLb0EEEEDaS1K_S1L_EUlS1K_E_NS1_11comp_targetILNS1_3genE10ELNS1_11target_archE1200ELNS1_3gpuE4ELNS1_3repE0EEENS1_30default_config_static_selectorELNS0_4arch9wavefront6targetE0EEEvSY_.uses_vcc, 0
	.set _ZN7rocprim17ROCPRIM_400000_NS6detail17trampoline_kernelINS0_13select_configILj256ELj13ELNS0_17block_load_methodE3ELS4_3ELS4_3ELNS0_20block_scan_algorithmE0ELj4294967295EEENS1_25partition_config_selectorILNS1_17partition_subalgoE3EjNS0_10empty_typeEbEEZZNS1_14partition_implILS8_3ELb0ES6_jNS0_17counting_iteratorIjlEEPS9_SE_NS0_5tupleIJPjSE_EEENSF_IJSE_SE_EEES9_SG_JZNS1_25segmented_radix_sort_implINS0_14default_configELb0EPKbPbPKlPlN2at6native12_GLOBAL__N_18offset_tEEE10hipError_tPvRmT1_PNSt15iterator_traitsISY_E10value_typeET2_T3_PNSZ_IS14_E10value_typeET4_jRbjT5_S1A_jjP12ihipStream_tbEUljE_EEESV_SW_SX_S14_S18_S1A_T6_T7_T9_mT8_S1C_bDpT10_ENKUlT_T0_E_clISt17integral_constantIbLb1EES1O_IbLb0EEEEDaS1K_S1L_EUlS1K_E_NS1_11comp_targetILNS1_3genE10ELNS1_11target_archE1200ELNS1_3gpuE4ELNS1_3repE0EEENS1_30default_config_static_selectorELNS0_4arch9wavefront6targetE0EEEvSY_.uses_flat_scratch, 0
	.set _ZN7rocprim17ROCPRIM_400000_NS6detail17trampoline_kernelINS0_13select_configILj256ELj13ELNS0_17block_load_methodE3ELS4_3ELS4_3ELNS0_20block_scan_algorithmE0ELj4294967295EEENS1_25partition_config_selectorILNS1_17partition_subalgoE3EjNS0_10empty_typeEbEEZZNS1_14partition_implILS8_3ELb0ES6_jNS0_17counting_iteratorIjlEEPS9_SE_NS0_5tupleIJPjSE_EEENSF_IJSE_SE_EEES9_SG_JZNS1_25segmented_radix_sort_implINS0_14default_configELb0EPKbPbPKlPlN2at6native12_GLOBAL__N_18offset_tEEE10hipError_tPvRmT1_PNSt15iterator_traitsISY_E10value_typeET2_T3_PNSZ_IS14_E10value_typeET4_jRbjT5_S1A_jjP12ihipStream_tbEUljE_EEESV_SW_SX_S14_S18_S1A_T6_T7_T9_mT8_S1C_bDpT10_ENKUlT_T0_E_clISt17integral_constantIbLb1EES1O_IbLb0EEEEDaS1K_S1L_EUlS1K_E_NS1_11comp_targetILNS1_3genE10ELNS1_11target_archE1200ELNS1_3gpuE4ELNS1_3repE0EEENS1_30default_config_static_selectorELNS0_4arch9wavefront6targetE0EEEvSY_.has_dyn_sized_stack, 0
	.set _ZN7rocprim17ROCPRIM_400000_NS6detail17trampoline_kernelINS0_13select_configILj256ELj13ELNS0_17block_load_methodE3ELS4_3ELS4_3ELNS0_20block_scan_algorithmE0ELj4294967295EEENS1_25partition_config_selectorILNS1_17partition_subalgoE3EjNS0_10empty_typeEbEEZZNS1_14partition_implILS8_3ELb0ES6_jNS0_17counting_iteratorIjlEEPS9_SE_NS0_5tupleIJPjSE_EEENSF_IJSE_SE_EEES9_SG_JZNS1_25segmented_radix_sort_implINS0_14default_configELb0EPKbPbPKlPlN2at6native12_GLOBAL__N_18offset_tEEE10hipError_tPvRmT1_PNSt15iterator_traitsISY_E10value_typeET2_T3_PNSZ_IS14_E10value_typeET4_jRbjT5_S1A_jjP12ihipStream_tbEUljE_EEESV_SW_SX_S14_S18_S1A_T6_T7_T9_mT8_S1C_bDpT10_ENKUlT_T0_E_clISt17integral_constantIbLb1EES1O_IbLb0EEEEDaS1K_S1L_EUlS1K_E_NS1_11comp_targetILNS1_3genE10ELNS1_11target_archE1200ELNS1_3gpuE4ELNS1_3repE0EEENS1_30default_config_static_selectorELNS0_4arch9wavefront6targetE0EEEvSY_.has_recursion, 0
	.set _ZN7rocprim17ROCPRIM_400000_NS6detail17trampoline_kernelINS0_13select_configILj256ELj13ELNS0_17block_load_methodE3ELS4_3ELS4_3ELNS0_20block_scan_algorithmE0ELj4294967295EEENS1_25partition_config_selectorILNS1_17partition_subalgoE3EjNS0_10empty_typeEbEEZZNS1_14partition_implILS8_3ELb0ES6_jNS0_17counting_iteratorIjlEEPS9_SE_NS0_5tupleIJPjSE_EEENSF_IJSE_SE_EEES9_SG_JZNS1_25segmented_radix_sort_implINS0_14default_configELb0EPKbPbPKlPlN2at6native12_GLOBAL__N_18offset_tEEE10hipError_tPvRmT1_PNSt15iterator_traitsISY_E10value_typeET2_T3_PNSZ_IS14_E10value_typeET4_jRbjT5_S1A_jjP12ihipStream_tbEUljE_EEESV_SW_SX_S14_S18_S1A_T6_T7_T9_mT8_S1C_bDpT10_ENKUlT_T0_E_clISt17integral_constantIbLb1EES1O_IbLb0EEEEDaS1K_S1L_EUlS1K_E_NS1_11comp_targetILNS1_3genE10ELNS1_11target_archE1200ELNS1_3gpuE4ELNS1_3repE0EEENS1_30default_config_static_selectorELNS0_4arch9wavefront6targetE0EEEvSY_.has_indirect_call, 0
	.section	.AMDGPU.csdata,"",@progbits
; Kernel info:
; codeLenInByte = 0
; TotalNumSgprs: 0
; NumVgprs: 0
; ScratchSize: 0
; MemoryBound: 0
; FloatMode: 240
; IeeeMode: 1
; LDSByteSize: 0 bytes/workgroup (compile time only)
; SGPRBlocks: 0
; VGPRBlocks: 0
; NumSGPRsForWavesPerEU: 1
; NumVGPRsForWavesPerEU: 1
; Occupancy: 16
; WaveLimiterHint : 0
; COMPUTE_PGM_RSRC2:SCRATCH_EN: 0
; COMPUTE_PGM_RSRC2:USER_SGPR: 6
; COMPUTE_PGM_RSRC2:TRAP_HANDLER: 0
; COMPUTE_PGM_RSRC2:TGID_X_EN: 1
; COMPUTE_PGM_RSRC2:TGID_Y_EN: 0
; COMPUTE_PGM_RSRC2:TGID_Z_EN: 0
; COMPUTE_PGM_RSRC2:TIDIG_COMP_CNT: 0
	.section	.text._ZN7rocprim17ROCPRIM_400000_NS6detail17trampoline_kernelINS0_13select_configILj256ELj13ELNS0_17block_load_methodE3ELS4_3ELS4_3ELNS0_20block_scan_algorithmE0ELj4294967295EEENS1_25partition_config_selectorILNS1_17partition_subalgoE3EjNS0_10empty_typeEbEEZZNS1_14partition_implILS8_3ELb0ES6_jNS0_17counting_iteratorIjlEEPS9_SE_NS0_5tupleIJPjSE_EEENSF_IJSE_SE_EEES9_SG_JZNS1_25segmented_radix_sort_implINS0_14default_configELb0EPKbPbPKlPlN2at6native12_GLOBAL__N_18offset_tEEE10hipError_tPvRmT1_PNSt15iterator_traitsISY_E10value_typeET2_T3_PNSZ_IS14_E10value_typeET4_jRbjT5_S1A_jjP12ihipStream_tbEUljE_EEESV_SW_SX_S14_S18_S1A_T6_T7_T9_mT8_S1C_bDpT10_ENKUlT_T0_E_clISt17integral_constantIbLb1EES1O_IbLb0EEEEDaS1K_S1L_EUlS1K_E_NS1_11comp_targetILNS1_3genE9ELNS1_11target_archE1100ELNS1_3gpuE3ELNS1_3repE0EEENS1_30default_config_static_selectorELNS0_4arch9wavefront6targetE0EEEvSY_,"axG",@progbits,_ZN7rocprim17ROCPRIM_400000_NS6detail17trampoline_kernelINS0_13select_configILj256ELj13ELNS0_17block_load_methodE3ELS4_3ELS4_3ELNS0_20block_scan_algorithmE0ELj4294967295EEENS1_25partition_config_selectorILNS1_17partition_subalgoE3EjNS0_10empty_typeEbEEZZNS1_14partition_implILS8_3ELb0ES6_jNS0_17counting_iteratorIjlEEPS9_SE_NS0_5tupleIJPjSE_EEENSF_IJSE_SE_EEES9_SG_JZNS1_25segmented_radix_sort_implINS0_14default_configELb0EPKbPbPKlPlN2at6native12_GLOBAL__N_18offset_tEEE10hipError_tPvRmT1_PNSt15iterator_traitsISY_E10value_typeET2_T3_PNSZ_IS14_E10value_typeET4_jRbjT5_S1A_jjP12ihipStream_tbEUljE_EEESV_SW_SX_S14_S18_S1A_T6_T7_T9_mT8_S1C_bDpT10_ENKUlT_T0_E_clISt17integral_constantIbLb1EES1O_IbLb0EEEEDaS1K_S1L_EUlS1K_E_NS1_11comp_targetILNS1_3genE9ELNS1_11target_archE1100ELNS1_3gpuE3ELNS1_3repE0EEENS1_30default_config_static_selectorELNS0_4arch9wavefront6targetE0EEEvSY_,comdat
	.globl	_ZN7rocprim17ROCPRIM_400000_NS6detail17trampoline_kernelINS0_13select_configILj256ELj13ELNS0_17block_load_methodE3ELS4_3ELS4_3ELNS0_20block_scan_algorithmE0ELj4294967295EEENS1_25partition_config_selectorILNS1_17partition_subalgoE3EjNS0_10empty_typeEbEEZZNS1_14partition_implILS8_3ELb0ES6_jNS0_17counting_iteratorIjlEEPS9_SE_NS0_5tupleIJPjSE_EEENSF_IJSE_SE_EEES9_SG_JZNS1_25segmented_radix_sort_implINS0_14default_configELb0EPKbPbPKlPlN2at6native12_GLOBAL__N_18offset_tEEE10hipError_tPvRmT1_PNSt15iterator_traitsISY_E10value_typeET2_T3_PNSZ_IS14_E10value_typeET4_jRbjT5_S1A_jjP12ihipStream_tbEUljE_EEESV_SW_SX_S14_S18_S1A_T6_T7_T9_mT8_S1C_bDpT10_ENKUlT_T0_E_clISt17integral_constantIbLb1EES1O_IbLb0EEEEDaS1K_S1L_EUlS1K_E_NS1_11comp_targetILNS1_3genE9ELNS1_11target_archE1100ELNS1_3gpuE3ELNS1_3repE0EEENS1_30default_config_static_selectorELNS0_4arch9wavefront6targetE0EEEvSY_ ; -- Begin function _ZN7rocprim17ROCPRIM_400000_NS6detail17trampoline_kernelINS0_13select_configILj256ELj13ELNS0_17block_load_methodE3ELS4_3ELS4_3ELNS0_20block_scan_algorithmE0ELj4294967295EEENS1_25partition_config_selectorILNS1_17partition_subalgoE3EjNS0_10empty_typeEbEEZZNS1_14partition_implILS8_3ELb0ES6_jNS0_17counting_iteratorIjlEEPS9_SE_NS0_5tupleIJPjSE_EEENSF_IJSE_SE_EEES9_SG_JZNS1_25segmented_radix_sort_implINS0_14default_configELb0EPKbPbPKlPlN2at6native12_GLOBAL__N_18offset_tEEE10hipError_tPvRmT1_PNSt15iterator_traitsISY_E10value_typeET2_T3_PNSZ_IS14_E10value_typeET4_jRbjT5_S1A_jjP12ihipStream_tbEUljE_EEESV_SW_SX_S14_S18_S1A_T6_T7_T9_mT8_S1C_bDpT10_ENKUlT_T0_E_clISt17integral_constantIbLb1EES1O_IbLb0EEEEDaS1K_S1L_EUlS1K_E_NS1_11comp_targetILNS1_3genE9ELNS1_11target_archE1100ELNS1_3gpuE3ELNS1_3repE0EEENS1_30default_config_static_selectorELNS0_4arch9wavefront6targetE0EEEvSY_
	.p2align	8
	.type	_ZN7rocprim17ROCPRIM_400000_NS6detail17trampoline_kernelINS0_13select_configILj256ELj13ELNS0_17block_load_methodE3ELS4_3ELS4_3ELNS0_20block_scan_algorithmE0ELj4294967295EEENS1_25partition_config_selectorILNS1_17partition_subalgoE3EjNS0_10empty_typeEbEEZZNS1_14partition_implILS8_3ELb0ES6_jNS0_17counting_iteratorIjlEEPS9_SE_NS0_5tupleIJPjSE_EEENSF_IJSE_SE_EEES9_SG_JZNS1_25segmented_radix_sort_implINS0_14default_configELb0EPKbPbPKlPlN2at6native12_GLOBAL__N_18offset_tEEE10hipError_tPvRmT1_PNSt15iterator_traitsISY_E10value_typeET2_T3_PNSZ_IS14_E10value_typeET4_jRbjT5_S1A_jjP12ihipStream_tbEUljE_EEESV_SW_SX_S14_S18_S1A_T6_T7_T9_mT8_S1C_bDpT10_ENKUlT_T0_E_clISt17integral_constantIbLb1EES1O_IbLb0EEEEDaS1K_S1L_EUlS1K_E_NS1_11comp_targetILNS1_3genE9ELNS1_11target_archE1100ELNS1_3gpuE3ELNS1_3repE0EEENS1_30default_config_static_selectorELNS0_4arch9wavefront6targetE0EEEvSY_,@function
_ZN7rocprim17ROCPRIM_400000_NS6detail17trampoline_kernelINS0_13select_configILj256ELj13ELNS0_17block_load_methodE3ELS4_3ELS4_3ELNS0_20block_scan_algorithmE0ELj4294967295EEENS1_25partition_config_selectorILNS1_17partition_subalgoE3EjNS0_10empty_typeEbEEZZNS1_14partition_implILS8_3ELb0ES6_jNS0_17counting_iteratorIjlEEPS9_SE_NS0_5tupleIJPjSE_EEENSF_IJSE_SE_EEES9_SG_JZNS1_25segmented_radix_sort_implINS0_14default_configELb0EPKbPbPKlPlN2at6native12_GLOBAL__N_18offset_tEEE10hipError_tPvRmT1_PNSt15iterator_traitsISY_E10value_typeET2_T3_PNSZ_IS14_E10value_typeET4_jRbjT5_S1A_jjP12ihipStream_tbEUljE_EEESV_SW_SX_S14_S18_S1A_T6_T7_T9_mT8_S1C_bDpT10_ENKUlT_T0_E_clISt17integral_constantIbLb1EES1O_IbLb0EEEEDaS1K_S1L_EUlS1K_E_NS1_11comp_targetILNS1_3genE9ELNS1_11target_archE1100ELNS1_3gpuE3ELNS1_3repE0EEENS1_30default_config_static_selectorELNS0_4arch9wavefront6targetE0EEEvSY_: ; @_ZN7rocprim17ROCPRIM_400000_NS6detail17trampoline_kernelINS0_13select_configILj256ELj13ELNS0_17block_load_methodE3ELS4_3ELS4_3ELNS0_20block_scan_algorithmE0ELj4294967295EEENS1_25partition_config_selectorILNS1_17partition_subalgoE3EjNS0_10empty_typeEbEEZZNS1_14partition_implILS8_3ELb0ES6_jNS0_17counting_iteratorIjlEEPS9_SE_NS0_5tupleIJPjSE_EEENSF_IJSE_SE_EEES9_SG_JZNS1_25segmented_radix_sort_implINS0_14default_configELb0EPKbPbPKlPlN2at6native12_GLOBAL__N_18offset_tEEE10hipError_tPvRmT1_PNSt15iterator_traitsISY_E10value_typeET2_T3_PNSZ_IS14_E10value_typeET4_jRbjT5_S1A_jjP12ihipStream_tbEUljE_EEESV_SW_SX_S14_S18_S1A_T6_T7_T9_mT8_S1C_bDpT10_ENKUlT_T0_E_clISt17integral_constantIbLb1EES1O_IbLb0EEEEDaS1K_S1L_EUlS1K_E_NS1_11comp_targetILNS1_3genE9ELNS1_11target_archE1100ELNS1_3gpuE3ELNS1_3repE0EEENS1_30default_config_static_selectorELNS0_4arch9wavefront6targetE0EEEvSY_
; %bb.0:
	.section	.rodata,"a",@progbits
	.p2align	6, 0x0
	.amdhsa_kernel _ZN7rocprim17ROCPRIM_400000_NS6detail17trampoline_kernelINS0_13select_configILj256ELj13ELNS0_17block_load_methodE3ELS4_3ELS4_3ELNS0_20block_scan_algorithmE0ELj4294967295EEENS1_25partition_config_selectorILNS1_17partition_subalgoE3EjNS0_10empty_typeEbEEZZNS1_14partition_implILS8_3ELb0ES6_jNS0_17counting_iteratorIjlEEPS9_SE_NS0_5tupleIJPjSE_EEENSF_IJSE_SE_EEES9_SG_JZNS1_25segmented_radix_sort_implINS0_14default_configELb0EPKbPbPKlPlN2at6native12_GLOBAL__N_18offset_tEEE10hipError_tPvRmT1_PNSt15iterator_traitsISY_E10value_typeET2_T3_PNSZ_IS14_E10value_typeET4_jRbjT5_S1A_jjP12ihipStream_tbEUljE_EEESV_SW_SX_S14_S18_S1A_T6_T7_T9_mT8_S1C_bDpT10_ENKUlT_T0_E_clISt17integral_constantIbLb1EES1O_IbLb0EEEEDaS1K_S1L_EUlS1K_E_NS1_11comp_targetILNS1_3genE9ELNS1_11target_archE1100ELNS1_3gpuE3ELNS1_3repE0EEENS1_30default_config_static_selectorELNS0_4arch9wavefront6targetE0EEEvSY_
		.amdhsa_group_segment_fixed_size 0
		.amdhsa_private_segment_fixed_size 0
		.amdhsa_kernarg_size 144
		.amdhsa_user_sgpr_count 6
		.amdhsa_user_sgpr_private_segment_buffer 1
		.amdhsa_user_sgpr_dispatch_ptr 0
		.amdhsa_user_sgpr_queue_ptr 0
		.amdhsa_user_sgpr_kernarg_segment_ptr 1
		.amdhsa_user_sgpr_dispatch_id 0
		.amdhsa_user_sgpr_flat_scratch_init 0
		.amdhsa_user_sgpr_private_segment_size 0
		.amdhsa_wavefront_size32 1
		.amdhsa_uses_dynamic_stack 0
		.amdhsa_system_sgpr_private_segment_wavefront_offset 0
		.amdhsa_system_sgpr_workgroup_id_x 1
		.amdhsa_system_sgpr_workgroup_id_y 0
		.amdhsa_system_sgpr_workgroup_id_z 0
		.amdhsa_system_sgpr_workgroup_info 0
		.amdhsa_system_vgpr_workitem_id 0
		.amdhsa_next_free_vgpr 1
		.amdhsa_next_free_sgpr 1
		.amdhsa_reserve_vcc 0
		.amdhsa_reserve_flat_scratch 0
		.amdhsa_float_round_mode_32 0
		.amdhsa_float_round_mode_16_64 0
		.amdhsa_float_denorm_mode_32 3
		.amdhsa_float_denorm_mode_16_64 3
		.amdhsa_dx10_clamp 1
		.amdhsa_ieee_mode 1
		.amdhsa_fp16_overflow 0
		.amdhsa_workgroup_processor_mode 1
		.amdhsa_memory_ordered 1
		.amdhsa_forward_progress 1
		.amdhsa_shared_vgpr_count 0
		.amdhsa_exception_fp_ieee_invalid_op 0
		.amdhsa_exception_fp_denorm_src 0
		.amdhsa_exception_fp_ieee_div_zero 0
		.amdhsa_exception_fp_ieee_overflow 0
		.amdhsa_exception_fp_ieee_underflow 0
		.amdhsa_exception_fp_ieee_inexact 0
		.amdhsa_exception_int_div_zero 0
	.end_amdhsa_kernel
	.section	.text._ZN7rocprim17ROCPRIM_400000_NS6detail17trampoline_kernelINS0_13select_configILj256ELj13ELNS0_17block_load_methodE3ELS4_3ELS4_3ELNS0_20block_scan_algorithmE0ELj4294967295EEENS1_25partition_config_selectorILNS1_17partition_subalgoE3EjNS0_10empty_typeEbEEZZNS1_14partition_implILS8_3ELb0ES6_jNS0_17counting_iteratorIjlEEPS9_SE_NS0_5tupleIJPjSE_EEENSF_IJSE_SE_EEES9_SG_JZNS1_25segmented_radix_sort_implINS0_14default_configELb0EPKbPbPKlPlN2at6native12_GLOBAL__N_18offset_tEEE10hipError_tPvRmT1_PNSt15iterator_traitsISY_E10value_typeET2_T3_PNSZ_IS14_E10value_typeET4_jRbjT5_S1A_jjP12ihipStream_tbEUljE_EEESV_SW_SX_S14_S18_S1A_T6_T7_T9_mT8_S1C_bDpT10_ENKUlT_T0_E_clISt17integral_constantIbLb1EES1O_IbLb0EEEEDaS1K_S1L_EUlS1K_E_NS1_11comp_targetILNS1_3genE9ELNS1_11target_archE1100ELNS1_3gpuE3ELNS1_3repE0EEENS1_30default_config_static_selectorELNS0_4arch9wavefront6targetE0EEEvSY_,"axG",@progbits,_ZN7rocprim17ROCPRIM_400000_NS6detail17trampoline_kernelINS0_13select_configILj256ELj13ELNS0_17block_load_methodE3ELS4_3ELS4_3ELNS0_20block_scan_algorithmE0ELj4294967295EEENS1_25partition_config_selectorILNS1_17partition_subalgoE3EjNS0_10empty_typeEbEEZZNS1_14partition_implILS8_3ELb0ES6_jNS0_17counting_iteratorIjlEEPS9_SE_NS0_5tupleIJPjSE_EEENSF_IJSE_SE_EEES9_SG_JZNS1_25segmented_radix_sort_implINS0_14default_configELb0EPKbPbPKlPlN2at6native12_GLOBAL__N_18offset_tEEE10hipError_tPvRmT1_PNSt15iterator_traitsISY_E10value_typeET2_T3_PNSZ_IS14_E10value_typeET4_jRbjT5_S1A_jjP12ihipStream_tbEUljE_EEESV_SW_SX_S14_S18_S1A_T6_T7_T9_mT8_S1C_bDpT10_ENKUlT_T0_E_clISt17integral_constantIbLb1EES1O_IbLb0EEEEDaS1K_S1L_EUlS1K_E_NS1_11comp_targetILNS1_3genE9ELNS1_11target_archE1100ELNS1_3gpuE3ELNS1_3repE0EEENS1_30default_config_static_selectorELNS0_4arch9wavefront6targetE0EEEvSY_,comdat
.Lfunc_end1616:
	.size	_ZN7rocprim17ROCPRIM_400000_NS6detail17trampoline_kernelINS0_13select_configILj256ELj13ELNS0_17block_load_methodE3ELS4_3ELS4_3ELNS0_20block_scan_algorithmE0ELj4294967295EEENS1_25partition_config_selectorILNS1_17partition_subalgoE3EjNS0_10empty_typeEbEEZZNS1_14partition_implILS8_3ELb0ES6_jNS0_17counting_iteratorIjlEEPS9_SE_NS0_5tupleIJPjSE_EEENSF_IJSE_SE_EEES9_SG_JZNS1_25segmented_radix_sort_implINS0_14default_configELb0EPKbPbPKlPlN2at6native12_GLOBAL__N_18offset_tEEE10hipError_tPvRmT1_PNSt15iterator_traitsISY_E10value_typeET2_T3_PNSZ_IS14_E10value_typeET4_jRbjT5_S1A_jjP12ihipStream_tbEUljE_EEESV_SW_SX_S14_S18_S1A_T6_T7_T9_mT8_S1C_bDpT10_ENKUlT_T0_E_clISt17integral_constantIbLb1EES1O_IbLb0EEEEDaS1K_S1L_EUlS1K_E_NS1_11comp_targetILNS1_3genE9ELNS1_11target_archE1100ELNS1_3gpuE3ELNS1_3repE0EEENS1_30default_config_static_selectorELNS0_4arch9wavefront6targetE0EEEvSY_, .Lfunc_end1616-_ZN7rocprim17ROCPRIM_400000_NS6detail17trampoline_kernelINS0_13select_configILj256ELj13ELNS0_17block_load_methodE3ELS4_3ELS4_3ELNS0_20block_scan_algorithmE0ELj4294967295EEENS1_25partition_config_selectorILNS1_17partition_subalgoE3EjNS0_10empty_typeEbEEZZNS1_14partition_implILS8_3ELb0ES6_jNS0_17counting_iteratorIjlEEPS9_SE_NS0_5tupleIJPjSE_EEENSF_IJSE_SE_EEES9_SG_JZNS1_25segmented_radix_sort_implINS0_14default_configELb0EPKbPbPKlPlN2at6native12_GLOBAL__N_18offset_tEEE10hipError_tPvRmT1_PNSt15iterator_traitsISY_E10value_typeET2_T3_PNSZ_IS14_E10value_typeET4_jRbjT5_S1A_jjP12ihipStream_tbEUljE_EEESV_SW_SX_S14_S18_S1A_T6_T7_T9_mT8_S1C_bDpT10_ENKUlT_T0_E_clISt17integral_constantIbLb1EES1O_IbLb0EEEEDaS1K_S1L_EUlS1K_E_NS1_11comp_targetILNS1_3genE9ELNS1_11target_archE1100ELNS1_3gpuE3ELNS1_3repE0EEENS1_30default_config_static_selectorELNS0_4arch9wavefront6targetE0EEEvSY_
                                        ; -- End function
	.set _ZN7rocprim17ROCPRIM_400000_NS6detail17trampoline_kernelINS0_13select_configILj256ELj13ELNS0_17block_load_methodE3ELS4_3ELS4_3ELNS0_20block_scan_algorithmE0ELj4294967295EEENS1_25partition_config_selectorILNS1_17partition_subalgoE3EjNS0_10empty_typeEbEEZZNS1_14partition_implILS8_3ELb0ES6_jNS0_17counting_iteratorIjlEEPS9_SE_NS0_5tupleIJPjSE_EEENSF_IJSE_SE_EEES9_SG_JZNS1_25segmented_radix_sort_implINS0_14default_configELb0EPKbPbPKlPlN2at6native12_GLOBAL__N_18offset_tEEE10hipError_tPvRmT1_PNSt15iterator_traitsISY_E10value_typeET2_T3_PNSZ_IS14_E10value_typeET4_jRbjT5_S1A_jjP12ihipStream_tbEUljE_EEESV_SW_SX_S14_S18_S1A_T6_T7_T9_mT8_S1C_bDpT10_ENKUlT_T0_E_clISt17integral_constantIbLb1EES1O_IbLb0EEEEDaS1K_S1L_EUlS1K_E_NS1_11comp_targetILNS1_3genE9ELNS1_11target_archE1100ELNS1_3gpuE3ELNS1_3repE0EEENS1_30default_config_static_selectorELNS0_4arch9wavefront6targetE0EEEvSY_.num_vgpr, 0
	.set _ZN7rocprim17ROCPRIM_400000_NS6detail17trampoline_kernelINS0_13select_configILj256ELj13ELNS0_17block_load_methodE3ELS4_3ELS4_3ELNS0_20block_scan_algorithmE0ELj4294967295EEENS1_25partition_config_selectorILNS1_17partition_subalgoE3EjNS0_10empty_typeEbEEZZNS1_14partition_implILS8_3ELb0ES6_jNS0_17counting_iteratorIjlEEPS9_SE_NS0_5tupleIJPjSE_EEENSF_IJSE_SE_EEES9_SG_JZNS1_25segmented_radix_sort_implINS0_14default_configELb0EPKbPbPKlPlN2at6native12_GLOBAL__N_18offset_tEEE10hipError_tPvRmT1_PNSt15iterator_traitsISY_E10value_typeET2_T3_PNSZ_IS14_E10value_typeET4_jRbjT5_S1A_jjP12ihipStream_tbEUljE_EEESV_SW_SX_S14_S18_S1A_T6_T7_T9_mT8_S1C_bDpT10_ENKUlT_T0_E_clISt17integral_constantIbLb1EES1O_IbLb0EEEEDaS1K_S1L_EUlS1K_E_NS1_11comp_targetILNS1_3genE9ELNS1_11target_archE1100ELNS1_3gpuE3ELNS1_3repE0EEENS1_30default_config_static_selectorELNS0_4arch9wavefront6targetE0EEEvSY_.num_agpr, 0
	.set _ZN7rocprim17ROCPRIM_400000_NS6detail17trampoline_kernelINS0_13select_configILj256ELj13ELNS0_17block_load_methodE3ELS4_3ELS4_3ELNS0_20block_scan_algorithmE0ELj4294967295EEENS1_25partition_config_selectorILNS1_17partition_subalgoE3EjNS0_10empty_typeEbEEZZNS1_14partition_implILS8_3ELb0ES6_jNS0_17counting_iteratorIjlEEPS9_SE_NS0_5tupleIJPjSE_EEENSF_IJSE_SE_EEES9_SG_JZNS1_25segmented_radix_sort_implINS0_14default_configELb0EPKbPbPKlPlN2at6native12_GLOBAL__N_18offset_tEEE10hipError_tPvRmT1_PNSt15iterator_traitsISY_E10value_typeET2_T3_PNSZ_IS14_E10value_typeET4_jRbjT5_S1A_jjP12ihipStream_tbEUljE_EEESV_SW_SX_S14_S18_S1A_T6_T7_T9_mT8_S1C_bDpT10_ENKUlT_T0_E_clISt17integral_constantIbLb1EES1O_IbLb0EEEEDaS1K_S1L_EUlS1K_E_NS1_11comp_targetILNS1_3genE9ELNS1_11target_archE1100ELNS1_3gpuE3ELNS1_3repE0EEENS1_30default_config_static_selectorELNS0_4arch9wavefront6targetE0EEEvSY_.numbered_sgpr, 0
	.set _ZN7rocprim17ROCPRIM_400000_NS6detail17trampoline_kernelINS0_13select_configILj256ELj13ELNS0_17block_load_methodE3ELS4_3ELS4_3ELNS0_20block_scan_algorithmE0ELj4294967295EEENS1_25partition_config_selectorILNS1_17partition_subalgoE3EjNS0_10empty_typeEbEEZZNS1_14partition_implILS8_3ELb0ES6_jNS0_17counting_iteratorIjlEEPS9_SE_NS0_5tupleIJPjSE_EEENSF_IJSE_SE_EEES9_SG_JZNS1_25segmented_radix_sort_implINS0_14default_configELb0EPKbPbPKlPlN2at6native12_GLOBAL__N_18offset_tEEE10hipError_tPvRmT1_PNSt15iterator_traitsISY_E10value_typeET2_T3_PNSZ_IS14_E10value_typeET4_jRbjT5_S1A_jjP12ihipStream_tbEUljE_EEESV_SW_SX_S14_S18_S1A_T6_T7_T9_mT8_S1C_bDpT10_ENKUlT_T0_E_clISt17integral_constantIbLb1EES1O_IbLb0EEEEDaS1K_S1L_EUlS1K_E_NS1_11comp_targetILNS1_3genE9ELNS1_11target_archE1100ELNS1_3gpuE3ELNS1_3repE0EEENS1_30default_config_static_selectorELNS0_4arch9wavefront6targetE0EEEvSY_.num_named_barrier, 0
	.set _ZN7rocprim17ROCPRIM_400000_NS6detail17trampoline_kernelINS0_13select_configILj256ELj13ELNS0_17block_load_methodE3ELS4_3ELS4_3ELNS0_20block_scan_algorithmE0ELj4294967295EEENS1_25partition_config_selectorILNS1_17partition_subalgoE3EjNS0_10empty_typeEbEEZZNS1_14partition_implILS8_3ELb0ES6_jNS0_17counting_iteratorIjlEEPS9_SE_NS0_5tupleIJPjSE_EEENSF_IJSE_SE_EEES9_SG_JZNS1_25segmented_radix_sort_implINS0_14default_configELb0EPKbPbPKlPlN2at6native12_GLOBAL__N_18offset_tEEE10hipError_tPvRmT1_PNSt15iterator_traitsISY_E10value_typeET2_T3_PNSZ_IS14_E10value_typeET4_jRbjT5_S1A_jjP12ihipStream_tbEUljE_EEESV_SW_SX_S14_S18_S1A_T6_T7_T9_mT8_S1C_bDpT10_ENKUlT_T0_E_clISt17integral_constantIbLb1EES1O_IbLb0EEEEDaS1K_S1L_EUlS1K_E_NS1_11comp_targetILNS1_3genE9ELNS1_11target_archE1100ELNS1_3gpuE3ELNS1_3repE0EEENS1_30default_config_static_selectorELNS0_4arch9wavefront6targetE0EEEvSY_.private_seg_size, 0
	.set _ZN7rocprim17ROCPRIM_400000_NS6detail17trampoline_kernelINS0_13select_configILj256ELj13ELNS0_17block_load_methodE3ELS4_3ELS4_3ELNS0_20block_scan_algorithmE0ELj4294967295EEENS1_25partition_config_selectorILNS1_17partition_subalgoE3EjNS0_10empty_typeEbEEZZNS1_14partition_implILS8_3ELb0ES6_jNS0_17counting_iteratorIjlEEPS9_SE_NS0_5tupleIJPjSE_EEENSF_IJSE_SE_EEES9_SG_JZNS1_25segmented_radix_sort_implINS0_14default_configELb0EPKbPbPKlPlN2at6native12_GLOBAL__N_18offset_tEEE10hipError_tPvRmT1_PNSt15iterator_traitsISY_E10value_typeET2_T3_PNSZ_IS14_E10value_typeET4_jRbjT5_S1A_jjP12ihipStream_tbEUljE_EEESV_SW_SX_S14_S18_S1A_T6_T7_T9_mT8_S1C_bDpT10_ENKUlT_T0_E_clISt17integral_constantIbLb1EES1O_IbLb0EEEEDaS1K_S1L_EUlS1K_E_NS1_11comp_targetILNS1_3genE9ELNS1_11target_archE1100ELNS1_3gpuE3ELNS1_3repE0EEENS1_30default_config_static_selectorELNS0_4arch9wavefront6targetE0EEEvSY_.uses_vcc, 0
	.set _ZN7rocprim17ROCPRIM_400000_NS6detail17trampoline_kernelINS0_13select_configILj256ELj13ELNS0_17block_load_methodE3ELS4_3ELS4_3ELNS0_20block_scan_algorithmE0ELj4294967295EEENS1_25partition_config_selectorILNS1_17partition_subalgoE3EjNS0_10empty_typeEbEEZZNS1_14partition_implILS8_3ELb0ES6_jNS0_17counting_iteratorIjlEEPS9_SE_NS0_5tupleIJPjSE_EEENSF_IJSE_SE_EEES9_SG_JZNS1_25segmented_radix_sort_implINS0_14default_configELb0EPKbPbPKlPlN2at6native12_GLOBAL__N_18offset_tEEE10hipError_tPvRmT1_PNSt15iterator_traitsISY_E10value_typeET2_T3_PNSZ_IS14_E10value_typeET4_jRbjT5_S1A_jjP12ihipStream_tbEUljE_EEESV_SW_SX_S14_S18_S1A_T6_T7_T9_mT8_S1C_bDpT10_ENKUlT_T0_E_clISt17integral_constantIbLb1EES1O_IbLb0EEEEDaS1K_S1L_EUlS1K_E_NS1_11comp_targetILNS1_3genE9ELNS1_11target_archE1100ELNS1_3gpuE3ELNS1_3repE0EEENS1_30default_config_static_selectorELNS0_4arch9wavefront6targetE0EEEvSY_.uses_flat_scratch, 0
	.set _ZN7rocprim17ROCPRIM_400000_NS6detail17trampoline_kernelINS0_13select_configILj256ELj13ELNS0_17block_load_methodE3ELS4_3ELS4_3ELNS0_20block_scan_algorithmE0ELj4294967295EEENS1_25partition_config_selectorILNS1_17partition_subalgoE3EjNS0_10empty_typeEbEEZZNS1_14partition_implILS8_3ELb0ES6_jNS0_17counting_iteratorIjlEEPS9_SE_NS0_5tupleIJPjSE_EEENSF_IJSE_SE_EEES9_SG_JZNS1_25segmented_radix_sort_implINS0_14default_configELb0EPKbPbPKlPlN2at6native12_GLOBAL__N_18offset_tEEE10hipError_tPvRmT1_PNSt15iterator_traitsISY_E10value_typeET2_T3_PNSZ_IS14_E10value_typeET4_jRbjT5_S1A_jjP12ihipStream_tbEUljE_EEESV_SW_SX_S14_S18_S1A_T6_T7_T9_mT8_S1C_bDpT10_ENKUlT_T0_E_clISt17integral_constantIbLb1EES1O_IbLb0EEEEDaS1K_S1L_EUlS1K_E_NS1_11comp_targetILNS1_3genE9ELNS1_11target_archE1100ELNS1_3gpuE3ELNS1_3repE0EEENS1_30default_config_static_selectorELNS0_4arch9wavefront6targetE0EEEvSY_.has_dyn_sized_stack, 0
	.set _ZN7rocprim17ROCPRIM_400000_NS6detail17trampoline_kernelINS0_13select_configILj256ELj13ELNS0_17block_load_methodE3ELS4_3ELS4_3ELNS0_20block_scan_algorithmE0ELj4294967295EEENS1_25partition_config_selectorILNS1_17partition_subalgoE3EjNS0_10empty_typeEbEEZZNS1_14partition_implILS8_3ELb0ES6_jNS0_17counting_iteratorIjlEEPS9_SE_NS0_5tupleIJPjSE_EEENSF_IJSE_SE_EEES9_SG_JZNS1_25segmented_radix_sort_implINS0_14default_configELb0EPKbPbPKlPlN2at6native12_GLOBAL__N_18offset_tEEE10hipError_tPvRmT1_PNSt15iterator_traitsISY_E10value_typeET2_T3_PNSZ_IS14_E10value_typeET4_jRbjT5_S1A_jjP12ihipStream_tbEUljE_EEESV_SW_SX_S14_S18_S1A_T6_T7_T9_mT8_S1C_bDpT10_ENKUlT_T0_E_clISt17integral_constantIbLb1EES1O_IbLb0EEEEDaS1K_S1L_EUlS1K_E_NS1_11comp_targetILNS1_3genE9ELNS1_11target_archE1100ELNS1_3gpuE3ELNS1_3repE0EEENS1_30default_config_static_selectorELNS0_4arch9wavefront6targetE0EEEvSY_.has_recursion, 0
	.set _ZN7rocprim17ROCPRIM_400000_NS6detail17trampoline_kernelINS0_13select_configILj256ELj13ELNS0_17block_load_methodE3ELS4_3ELS4_3ELNS0_20block_scan_algorithmE0ELj4294967295EEENS1_25partition_config_selectorILNS1_17partition_subalgoE3EjNS0_10empty_typeEbEEZZNS1_14partition_implILS8_3ELb0ES6_jNS0_17counting_iteratorIjlEEPS9_SE_NS0_5tupleIJPjSE_EEENSF_IJSE_SE_EEES9_SG_JZNS1_25segmented_radix_sort_implINS0_14default_configELb0EPKbPbPKlPlN2at6native12_GLOBAL__N_18offset_tEEE10hipError_tPvRmT1_PNSt15iterator_traitsISY_E10value_typeET2_T3_PNSZ_IS14_E10value_typeET4_jRbjT5_S1A_jjP12ihipStream_tbEUljE_EEESV_SW_SX_S14_S18_S1A_T6_T7_T9_mT8_S1C_bDpT10_ENKUlT_T0_E_clISt17integral_constantIbLb1EES1O_IbLb0EEEEDaS1K_S1L_EUlS1K_E_NS1_11comp_targetILNS1_3genE9ELNS1_11target_archE1100ELNS1_3gpuE3ELNS1_3repE0EEENS1_30default_config_static_selectorELNS0_4arch9wavefront6targetE0EEEvSY_.has_indirect_call, 0
	.section	.AMDGPU.csdata,"",@progbits
; Kernel info:
; codeLenInByte = 0
; TotalNumSgprs: 0
; NumVgprs: 0
; ScratchSize: 0
; MemoryBound: 0
; FloatMode: 240
; IeeeMode: 1
; LDSByteSize: 0 bytes/workgroup (compile time only)
; SGPRBlocks: 0
; VGPRBlocks: 0
; NumSGPRsForWavesPerEU: 1
; NumVGPRsForWavesPerEU: 1
; Occupancy: 16
; WaveLimiterHint : 0
; COMPUTE_PGM_RSRC2:SCRATCH_EN: 0
; COMPUTE_PGM_RSRC2:USER_SGPR: 6
; COMPUTE_PGM_RSRC2:TRAP_HANDLER: 0
; COMPUTE_PGM_RSRC2:TGID_X_EN: 1
; COMPUTE_PGM_RSRC2:TGID_Y_EN: 0
; COMPUTE_PGM_RSRC2:TGID_Z_EN: 0
; COMPUTE_PGM_RSRC2:TIDIG_COMP_CNT: 0
	.section	.text._ZN7rocprim17ROCPRIM_400000_NS6detail17trampoline_kernelINS0_13select_configILj256ELj13ELNS0_17block_load_methodE3ELS4_3ELS4_3ELNS0_20block_scan_algorithmE0ELj4294967295EEENS1_25partition_config_selectorILNS1_17partition_subalgoE3EjNS0_10empty_typeEbEEZZNS1_14partition_implILS8_3ELb0ES6_jNS0_17counting_iteratorIjlEEPS9_SE_NS0_5tupleIJPjSE_EEENSF_IJSE_SE_EEES9_SG_JZNS1_25segmented_radix_sort_implINS0_14default_configELb0EPKbPbPKlPlN2at6native12_GLOBAL__N_18offset_tEEE10hipError_tPvRmT1_PNSt15iterator_traitsISY_E10value_typeET2_T3_PNSZ_IS14_E10value_typeET4_jRbjT5_S1A_jjP12ihipStream_tbEUljE_EEESV_SW_SX_S14_S18_S1A_T6_T7_T9_mT8_S1C_bDpT10_ENKUlT_T0_E_clISt17integral_constantIbLb1EES1O_IbLb0EEEEDaS1K_S1L_EUlS1K_E_NS1_11comp_targetILNS1_3genE8ELNS1_11target_archE1030ELNS1_3gpuE2ELNS1_3repE0EEENS1_30default_config_static_selectorELNS0_4arch9wavefront6targetE0EEEvSY_,"axG",@progbits,_ZN7rocprim17ROCPRIM_400000_NS6detail17trampoline_kernelINS0_13select_configILj256ELj13ELNS0_17block_load_methodE3ELS4_3ELS4_3ELNS0_20block_scan_algorithmE0ELj4294967295EEENS1_25partition_config_selectorILNS1_17partition_subalgoE3EjNS0_10empty_typeEbEEZZNS1_14partition_implILS8_3ELb0ES6_jNS0_17counting_iteratorIjlEEPS9_SE_NS0_5tupleIJPjSE_EEENSF_IJSE_SE_EEES9_SG_JZNS1_25segmented_radix_sort_implINS0_14default_configELb0EPKbPbPKlPlN2at6native12_GLOBAL__N_18offset_tEEE10hipError_tPvRmT1_PNSt15iterator_traitsISY_E10value_typeET2_T3_PNSZ_IS14_E10value_typeET4_jRbjT5_S1A_jjP12ihipStream_tbEUljE_EEESV_SW_SX_S14_S18_S1A_T6_T7_T9_mT8_S1C_bDpT10_ENKUlT_T0_E_clISt17integral_constantIbLb1EES1O_IbLb0EEEEDaS1K_S1L_EUlS1K_E_NS1_11comp_targetILNS1_3genE8ELNS1_11target_archE1030ELNS1_3gpuE2ELNS1_3repE0EEENS1_30default_config_static_selectorELNS0_4arch9wavefront6targetE0EEEvSY_,comdat
	.globl	_ZN7rocprim17ROCPRIM_400000_NS6detail17trampoline_kernelINS0_13select_configILj256ELj13ELNS0_17block_load_methodE3ELS4_3ELS4_3ELNS0_20block_scan_algorithmE0ELj4294967295EEENS1_25partition_config_selectorILNS1_17partition_subalgoE3EjNS0_10empty_typeEbEEZZNS1_14partition_implILS8_3ELb0ES6_jNS0_17counting_iteratorIjlEEPS9_SE_NS0_5tupleIJPjSE_EEENSF_IJSE_SE_EEES9_SG_JZNS1_25segmented_radix_sort_implINS0_14default_configELb0EPKbPbPKlPlN2at6native12_GLOBAL__N_18offset_tEEE10hipError_tPvRmT1_PNSt15iterator_traitsISY_E10value_typeET2_T3_PNSZ_IS14_E10value_typeET4_jRbjT5_S1A_jjP12ihipStream_tbEUljE_EEESV_SW_SX_S14_S18_S1A_T6_T7_T9_mT8_S1C_bDpT10_ENKUlT_T0_E_clISt17integral_constantIbLb1EES1O_IbLb0EEEEDaS1K_S1L_EUlS1K_E_NS1_11comp_targetILNS1_3genE8ELNS1_11target_archE1030ELNS1_3gpuE2ELNS1_3repE0EEENS1_30default_config_static_selectorELNS0_4arch9wavefront6targetE0EEEvSY_ ; -- Begin function _ZN7rocprim17ROCPRIM_400000_NS6detail17trampoline_kernelINS0_13select_configILj256ELj13ELNS0_17block_load_methodE3ELS4_3ELS4_3ELNS0_20block_scan_algorithmE0ELj4294967295EEENS1_25partition_config_selectorILNS1_17partition_subalgoE3EjNS0_10empty_typeEbEEZZNS1_14partition_implILS8_3ELb0ES6_jNS0_17counting_iteratorIjlEEPS9_SE_NS0_5tupleIJPjSE_EEENSF_IJSE_SE_EEES9_SG_JZNS1_25segmented_radix_sort_implINS0_14default_configELb0EPKbPbPKlPlN2at6native12_GLOBAL__N_18offset_tEEE10hipError_tPvRmT1_PNSt15iterator_traitsISY_E10value_typeET2_T3_PNSZ_IS14_E10value_typeET4_jRbjT5_S1A_jjP12ihipStream_tbEUljE_EEESV_SW_SX_S14_S18_S1A_T6_T7_T9_mT8_S1C_bDpT10_ENKUlT_T0_E_clISt17integral_constantIbLb1EES1O_IbLb0EEEEDaS1K_S1L_EUlS1K_E_NS1_11comp_targetILNS1_3genE8ELNS1_11target_archE1030ELNS1_3gpuE2ELNS1_3repE0EEENS1_30default_config_static_selectorELNS0_4arch9wavefront6targetE0EEEvSY_
	.p2align	8
	.type	_ZN7rocprim17ROCPRIM_400000_NS6detail17trampoline_kernelINS0_13select_configILj256ELj13ELNS0_17block_load_methodE3ELS4_3ELS4_3ELNS0_20block_scan_algorithmE0ELj4294967295EEENS1_25partition_config_selectorILNS1_17partition_subalgoE3EjNS0_10empty_typeEbEEZZNS1_14partition_implILS8_3ELb0ES6_jNS0_17counting_iteratorIjlEEPS9_SE_NS0_5tupleIJPjSE_EEENSF_IJSE_SE_EEES9_SG_JZNS1_25segmented_radix_sort_implINS0_14default_configELb0EPKbPbPKlPlN2at6native12_GLOBAL__N_18offset_tEEE10hipError_tPvRmT1_PNSt15iterator_traitsISY_E10value_typeET2_T3_PNSZ_IS14_E10value_typeET4_jRbjT5_S1A_jjP12ihipStream_tbEUljE_EEESV_SW_SX_S14_S18_S1A_T6_T7_T9_mT8_S1C_bDpT10_ENKUlT_T0_E_clISt17integral_constantIbLb1EES1O_IbLb0EEEEDaS1K_S1L_EUlS1K_E_NS1_11comp_targetILNS1_3genE8ELNS1_11target_archE1030ELNS1_3gpuE2ELNS1_3repE0EEENS1_30default_config_static_selectorELNS0_4arch9wavefront6targetE0EEEvSY_,@function
_ZN7rocprim17ROCPRIM_400000_NS6detail17trampoline_kernelINS0_13select_configILj256ELj13ELNS0_17block_load_methodE3ELS4_3ELS4_3ELNS0_20block_scan_algorithmE0ELj4294967295EEENS1_25partition_config_selectorILNS1_17partition_subalgoE3EjNS0_10empty_typeEbEEZZNS1_14partition_implILS8_3ELb0ES6_jNS0_17counting_iteratorIjlEEPS9_SE_NS0_5tupleIJPjSE_EEENSF_IJSE_SE_EEES9_SG_JZNS1_25segmented_radix_sort_implINS0_14default_configELb0EPKbPbPKlPlN2at6native12_GLOBAL__N_18offset_tEEE10hipError_tPvRmT1_PNSt15iterator_traitsISY_E10value_typeET2_T3_PNSZ_IS14_E10value_typeET4_jRbjT5_S1A_jjP12ihipStream_tbEUljE_EEESV_SW_SX_S14_S18_S1A_T6_T7_T9_mT8_S1C_bDpT10_ENKUlT_T0_E_clISt17integral_constantIbLb1EES1O_IbLb0EEEEDaS1K_S1L_EUlS1K_E_NS1_11comp_targetILNS1_3genE8ELNS1_11target_archE1030ELNS1_3gpuE2ELNS1_3repE0EEENS1_30default_config_static_selectorELNS0_4arch9wavefront6targetE0EEEvSY_: ; @_ZN7rocprim17ROCPRIM_400000_NS6detail17trampoline_kernelINS0_13select_configILj256ELj13ELNS0_17block_load_methodE3ELS4_3ELS4_3ELNS0_20block_scan_algorithmE0ELj4294967295EEENS1_25partition_config_selectorILNS1_17partition_subalgoE3EjNS0_10empty_typeEbEEZZNS1_14partition_implILS8_3ELb0ES6_jNS0_17counting_iteratorIjlEEPS9_SE_NS0_5tupleIJPjSE_EEENSF_IJSE_SE_EEES9_SG_JZNS1_25segmented_radix_sort_implINS0_14default_configELb0EPKbPbPKlPlN2at6native12_GLOBAL__N_18offset_tEEE10hipError_tPvRmT1_PNSt15iterator_traitsISY_E10value_typeET2_T3_PNSZ_IS14_E10value_typeET4_jRbjT5_S1A_jjP12ihipStream_tbEUljE_EEESV_SW_SX_S14_S18_S1A_T6_T7_T9_mT8_S1C_bDpT10_ENKUlT_T0_E_clISt17integral_constantIbLb1EES1O_IbLb0EEEEDaS1K_S1L_EUlS1K_E_NS1_11comp_targetILNS1_3genE8ELNS1_11target_archE1030ELNS1_3gpuE2ELNS1_3repE0EEENS1_30default_config_static_selectorELNS0_4arch9wavefront6targetE0EEEvSY_
; %bb.0:
	s_endpgm
	.section	.rodata,"a",@progbits
	.p2align	6, 0x0
	.amdhsa_kernel _ZN7rocprim17ROCPRIM_400000_NS6detail17trampoline_kernelINS0_13select_configILj256ELj13ELNS0_17block_load_methodE3ELS4_3ELS4_3ELNS0_20block_scan_algorithmE0ELj4294967295EEENS1_25partition_config_selectorILNS1_17partition_subalgoE3EjNS0_10empty_typeEbEEZZNS1_14partition_implILS8_3ELb0ES6_jNS0_17counting_iteratorIjlEEPS9_SE_NS0_5tupleIJPjSE_EEENSF_IJSE_SE_EEES9_SG_JZNS1_25segmented_radix_sort_implINS0_14default_configELb0EPKbPbPKlPlN2at6native12_GLOBAL__N_18offset_tEEE10hipError_tPvRmT1_PNSt15iterator_traitsISY_E10value_typeET2_T3_PNSZ_IS14_E10value_typeET4_jRbjT5_S1A_jjP12ihipStream_tbEUljE_EEESV_SW_SX_S14_S18_S1A_T6_T7_T9_mT8_S1C_bDpT10_ENKUlT_T0_E_clISt17integral_constantIbLb1EES1O_IbLb0EEEEDaS1K_S1L_EUlS1K_E_NS1_11comp_targetILNS1_3genE8ELNS1_11target_archE1030ELNS1_3gpuE2ELNS1_3repE0EEENS1_30default_config_static_selectorELNS0_4arch9wavefront6targetE0EEEvSY_
		.amdhsa_group_segment_fixed_size 0
		.amdhsa_private_segment_fixed_size 0
		.amdhsa_kernarg_size 144
		.amdhsa_user_sgpr_count 6
		.amdhsa_user_sgpr_private_segment_buffer 1
		.amdhsa_user_sgpr_dispatch_ptr 0
		.amdhsa_user_sgpr_queue_ptr 0
		.amdhsa_user_sgpr_kernarg_segment_ptr 1
		.amdhsa_user_sgpr_dispatch_id 0
		.amdhsa_user_sgpr_flat_scratch_init 0
		.amdhsa_user_sgpr_private_segment_size 0
		.amdhsa_wavefront_size32 1
		.amdhsa_uses_dynamic_stack 0
		.amdhsa_system_sgpr_private_segment_wavefront_offset 0
		.amdhsa_system_sgpr_workgroup_id_x 1
		.amdhsa_system_sgpr_workgroup_id_y 0
		.amdhsa_system_sgpr_workgroup_id_z 0
		.amdhsa_system_sgpr_workgroup_info 0
		.amdhsa_system_vgpr_workitem_id 0
		.amdhsa_next_free_vgpr 1
		.amdhsa_next_free_sgpr 1
		.amdhsa_reserve_vcc 0
		.amdhsa_reserve_flat_scratch 0
		.amdhsa_float_round_mode_32 0
		.amdhsa_float_round_mode_16_64 0
		.amdhsa_float_denorm_mode_32 3
		.amdhsa_float_denorm_mode_16_64 3
		.amdhsa_dx10_clamp 1
		.amdhsa_ieee_mode 1
		.amdhsa_fp16_overflow 0
		.amdhsa_workgroup_processor_mode 1
		.amdhsa_memory_ordered 1
		.amdhsa_forward_progress 1
		.amdhsa_shared_vgpr_count 0
		.amdhsa_exception_fp_ieee_invalid_op 0
		.amdhsa_exception_fp_denorm_src 0
		.amdhsa_exception_fp_ieee_div_zero 0
		.amdhsa_exception_fp_ieee_overflow 0
		.amdhsa_exception_fp_ieee_underflow 0
		.amdhsa_exception_fp_ieee_inexact 0
		.amdhsa_exception_int_div_zero 0
	.end_amdhsa_kernel
	.section	.text._ZN7rocprim17ROCPRIM_400000_NS6detail17trampoline_kernelINS0_13select_configILj256ELj13ELNS0_17block_load_methodE3ELS4_3ELS4_3ELNS0_20block_scan_algorithmE0ELj4294967295EEENS1_25partition_config_selectorILNS1_17partition_subalgoE3EjNS0_10empty_typeEbEEZZNS1_14partition_implILS8_3ELb0ES6_jNS0_17counting_iteratorIjlEEPS9_SE_NS0_5tupleIJPjSE_EEENSF_IJSE_SE_EEES9_SG_JZNS1_25segmented_radix_sort_implINS0_14default_configELb0EPKbPbPKlPlN2at6native12_GLOBAL__N_18offset_tEEE10hipError_tPvRmT1_PNSt15iterator_traitsISY_E10value_typeET2_T3_PNSZ_IS14_E10value_typeET4_jRbjT5_S1A_jjP12ihipStream_tbEUljE_EEESV_SW_SX_S14_S18_S1A_T6_T7_T9_mT8_S1C_bDpT10_ENKUlT_T0_E_clISt17integral_constantIbLb1EES1O_IbLb0EEEEDaS1K_S1L_EUlS1K_E_NS1_11comp_targetILNS1_3genE8ELNS1_11target_archE1030ELNS1_3gpuE2ELNS1_3repE0EEENS1_30default_config_static_selectorELNS0_4arch9wavefront6targetE0EEEvSY_,"axG",@progbits,_ZN7rocprim17ROCPRIM_400000_NS6detail17trampoline_kernelINS0_13select_configILj256ELj13ELNS0_17block_load_methodE3ELS4_3ELS4_3ELNS0_20block_scan_algorithmE0ELj4294967295EEENS1_25partition_config_selectorILNS1_17partition_subalgoE3EjNS0_10empty_typeEbEEZZNS1_14partition_implILS8_3ELb0ES6_jNS0_17counting_iteratorIjlEEPS9_SE_NS0_5tupleIJPjSE_EEENSF_IJSE_SE_EEES9_SG_JZNS1_25segmented_radix_sort_implINS0_14default_configELb0EPKbPbPKlPlN2at6native12_GLOBAL__N_18offset_tEEE10hipError_tPvRmT1_PNSt15iterator_traitsISY_E10value_typeET2_T3_PNSZ_IS14_E10value_typeET4_jRbjT5_S1A_jjP12ihipStream_tbEUljE_EEESV_SW_SX_S14_S18_S1A_T6_T7_T9_mT8_S1C_bDpT10_ENKUlT_T0_E_clISt17integral_constantIbLb1EES1O_IbLb0EEEEDaS1K_S1L_EUlS1K_E_NS1_11comp_targetILNS1_3genE8ELNS1_11target_archE1030ELNS1_3gpuE2ELNS1_3repE0EEENS1_30default_config_static_selectorELNS0_4arch9wavefront6targetE0EEEvSY_,comdat
.Lfunc_end1617:
	.size	_ZN7rocprim17ROCPRIM_400000_NS6detail17trampoline_kernelINS0_13select_configILj256ELj13ELNS0_17block_load_methodE3ELS4_3ELS4_3ELNS0_20block_scan_algorithmE0ELj4294967295EEENS1_25partition_config_selectorILNS1_17partition_subalgoE3EjNS0_10empty_typeEbEEZZNS1_14partition_implILS8_3ELb0ES6_jNS0_17counting_iteratorIjlEEPS9_SE_NS0_5tupleIJPjSE_EEENSF_IJSE_SE_EEES9_SG_JZNS1_25segmented_radix_sort_implINS0_14default_configELb0EPKbPbPKlPlN2at6native12_GLOBAL__N_18offset_tEEE10hipError_tPvRmT1_PNSt15iterator_traitsISY_E10value_typeET2_T3_PNSZ_IS14_E10value_typeET4_jRbjT5_S1A_jjP12ihipStream_tbEUljE_EEESV_SW_SX_S14_S18_S1A_T6_T7_T9_mT8_S1C_bDpT10_ENKUlT_T0_E_clISt17integral_constantIbLb1EES1O_IbLb0EEEEDaS1K_S1L_EUlS1K_E_NS1_11comp_targetILNS1_3genE8ELNS1_11target_archE1030ELNS1_3gpuE2ELNS1_3repE0EEENS1_30default_config_static_selectorELNS0_4arch9wavefront6targetE0EEEvSY_, .Lfunc_end1617-_ZN7rocprim17ROCPRIM_400000_NS6detail17trampoline_kernelINS0_13select_configILj256ELj13ELNS0_17block_load_methodE3ELS4_3ELS4_3ELNS0_20block_scan_algorithmE0ELj4294967295EEENS1_25partition_config_selectorILNS1_17partition_subalgoE3EjNS0_10empty_typeEbEEZZNS1_14partition_implILS8_3ELb0ES6_jNS0_17counting_iteratorIjlEEPS9_SE_NS0_5tupleIJPjSE_EEENSF_IJSE_SE_EEES9_SG_JZNS1_25segmented_radix_sort_implINS0_14default_configELb0EPKbPbPKlPlN2at6native12_GLOBAL__N_18offset_tEEE10hipError_tPvRmT1_PNSt15iterator_traitsISY_E10value_typeET2_T3_PNSZ_IS14_E10value_typeET4_jRbjT5_S1A_jjP12ihipStream_tbEUljE_EEESV_SW_SX_S14_S18_S1A_T6_T7_T9_mT8_S1C_bDpT10_ENKUlT_T0_E_clISt17integral_constantIbLb1EES1O_IbLb0EEEEDaS1K_S1L_EUlS1K_E_NS1_11comp_targetILNS1_3genE8ELNS1_11target_archE1030ELNS1_3gpuE2ELNS1_3repE0EEENS1_30default_config_static_selectorELNS0_4arch9wavefront6targetE0EEEvSY_
                                        ; -- End function
	.set _ZN7rocprim17ROCPRIM_400000_NS6detail17trampoline_kernelINS0_13select_configILj256ELj13ELNS0_17block_load_methodE3ELS4_3ELS4_3ELNS0_20block_scan_algorithmE0ELj4294967295EEENS1_25partition_config_selectorILNS1_17partition_subalgoE3EjNS0_10empty_typeEbEEZZNS1_14partition_implILS8_3ELb0ES6_jNS0_17counting_iteratorIjlEEPS9_SE_NS0_5tupleIJPjSE_EEENSF_IJSE_SE_EEES9_SG_JZNS1_25segmented_radix_sort_implINS0_14default_configELb0EPKbPbPKlPlN2at6native12_GLOBAL__N_18offset_tEEE10hipError_tPvRmT1_PNSt15iterator_traitsISY_E10value_typeET2_T3_PNSZ_IS14_E10value_typeET4_jRbjT5_S1A_jjP12ihipStream_tbEUljE_EEESV_SW_SX_S14_S18_S1A_T6_T7_T9_mT8_S1C_bDpT10_ENKUlT_T0_E_clISt17integral_constantIbLb1EES1O_IbLb0EEEEDaS1K_S1L_EUlS1K_E_NS1_11comp_targetILNS1_3genE8ELNS1_11target_archE1030ELNS1_3gpuE2ELNS1_3repE0EEENS1_30default_config_static_selectorELNS0_4arch9wavefront6targetE0EEEvSY_.num_vgpr, 0
	.set _ZN7rocprim17ROCPRIM_400000_NS6detail17trampoline_kernelINS0_13select_configILj256ELj13ELNS0_17block_load_methodE3ELS4_3ELS4_3ELNS0_20block_scan_algorithmE0ELj4294967295EEENS1_25partition_config_selectorILNS1_17partition_subalgoE3EjNS0_10empty_typeEbEEZZNS1_14partition_implILS8_3ELb0ES6_jNS0_17counting_iteratorIjlEEPS9_SE_NS0_5tupleIJPjSE_EEENSF_IJSE_SE_EEES9_SG_JZNS1_25segmented_radix_sort_implINS0_14default_configELb0EPKbPbPKlPlN2at6native12_GLOBAL__N_18offset_tEEE10hipError_tPvRmT1_PNSt15iterator_traitsISY_E10value_typeET2_T3_PNSZ_IS14_E10value_typeET4_jRbjT5_S1A_jjP12ihipStream_tbEUljE_EEESV_SW_SX_S14_S18_S1A_T6_T7_T9_mT8_S1C_bDpT10_ENKUlT_T0_E_clISt17integral_constantIbLb1EES1O_IbLb0EEEEDaS1K_S1L_EUlS1K_E_NS1_11comp_targetILNS1_3genE8ELNS1_11target_archE1030ELNS1_3gpuE2ELNS1_3repE0EEENS1_30default_config_static_selectorELNS0_4arch9wavefront6targetE0EEEvSY_.num_agpr, 0
	.set _ZN7rocprim17ROCPRIM_400000_NS6detail17trampoline_kernelINS0_13select_configILj256ELj13ELNS0_17block_load_methodE3ELS4_3ELS4_3ELNS0_20block_scan_algorithmE0ELj4294967295EEENS1_25partition_config_selectorILNS1_17partition_subalgoE3EjNS0_10empty_typeEbEEZZNS1_14partition_implILS8_3ELb0ES6_jNS0_17counting_iteratorIjlEEPS9_SE_NS0_5tupleIJPjSE_EEENSF_IJSE_SE_EEES9_SG_JZNS1_25segmented_radix_sort_implINS0_14default_configELb0EPKbPbPKlPlN2at6native12_GLOBAL__N_18offset_tEEE10hipError_tPvRmT1_PNSt15iterator_traitsISY_E10value_typeET2_T3_PNSZ_IS14_E10value_typeET4_jRbjT5_S1A_jjP12ihipStream_tbEUljE_EEESV_SW_SX_S14_S18_S1A_T6_T7_T9_mT8_S1C_bDpT10_ENKUlT_T0_E_clISt17integral_constantIbLb1EES1O_IbLb0EEEEDaS1K_S1L_EUlS1K_E_NS1_11comp_targetILNS1_3genE8ELNS1_11target_archE1030ELNS1_3gpuE2ELNS1_3repE0EEENS1_30default_config_static_selectorELNS0_4arch9wavefront6targetE0EEEvSY_.numbered_sgpr, 0
	.set _ZN7rocprim17ROCPRIM_400000_NS6detail17trampoline_kernelINS0_13select_configILj256ELj13ELNS0_17block_load_methodE3ELS4_3ELS4_3ELNS0_20block_scan_algorithmE0ELj4294967295EEENS1_25partition_config_selectorILNS1_17partition_subalgoE3EjNS0_10empty_typeEbEEZZNS1_14partition_implILS8_3ELb0ES6_jNS0_17counting_iteratorIjlEEPS9_SE_NS0_5tupleIJPjSE_EEENSF_IJSE_SE_EEES9_SG_JZNS1_25segmented_radix_sort_implINS0_14default_configELb0EPKbPbPKlPlN2at6native12_GLOBAL__N_18offset_tEEE10hipError_tPvRmT1_PNSt15iterator_traitsISY_E10value_typeET2_T3_PNSZ_IS14_E10value_typeET4_jRbjT5_S1A_jjP12ihipStream_tbEUljE_EEESV_SW_SX_S14_S18_S1A_T6_T7_T9_mT8_S1C_bDpT10_ENKUlT_T0_E_clISt17integral_constantIbLb1EES1O_IbLb0EEEEDaS1K_S1L_EUlS1K_E_NS1_11comp_targetILNS1_3genE8ELNS1_11target_archE1030ELNS1_3gpuE2ELNS1_3repE0EEENS1_30default_config_static_selectorELNS0_4arch9wavefront6targetE0EEEvSY_.num_named_barrier, 0
	.set _ZN7rocprim17ROCPRIM_400000_NS6detail17trampoline_kernelINS0_13select_configILj256ELj13ELNS0_17block_load_methodE3ELS4_3ELS4_3ELNS0_20block_scan_algorithmE0ELj4294967295EEENS1_25partition_config_selectorILNS1_17partition_subalgoE3EjNS0_10empty_typeEbEEZZNS1_14partition_implILS8_3ELb0ES6_jNS0_17counting_iteratorIjlEEPS9_SE_NS0_5tupleIJPjSE_EEENSF_IJSE_SE_EEES9_SG_JZNS1_25segmented_radix_sort_implINS0_14default_configELb0EPKbPbPKlPlN2at6native12_GLOBAL__N_18offset_tEEE10hipError_tPvRmT1_PNSt15iterator_traitsISY_E10value_typeET2_T3_PNSZ_IS14_E10value_typeET4_jRbjT5_S1A_jjP12ihipStream_tbEUljE_EEESV_SW_SX_S14_S18_S1A_T6_T7_T9_mT8_S1C_bDpT10_ENKUlT_T0_E_clISt17integral_constantIbLb1EES1O_IbLb0EEEEDaS1K_S1L_EUlS1K_E_NS1_11comp_targetILNS1_3genE8ELNS1_11target_archE1030ELNS1_3gpuE2ELNS1_3repE0EEENS1_30default_config_static_selectorELNS0_4arch9wavefront6targetE0EEEvSY_.private_seg_size, 0
	.set _ZN7rocprim17ROCPRIM_400000_NS6detail17trampoline_kernelINS0_13select_configILj256ELj13ELNS0_17block_load_methodE3ELS4_3ELS4_3ELNS0_20block_scan_algorithmE0ELj4294967295EEENS1_25partition_config_selectorILNS1_17partition_subalgoE3EjNS0_10empty_typeEbEEZZNS1_14partition_implILS8_3ELb0ES6_jNS0_17counting_iteratorIjlEEPS9_SE_NS0_5tupleIJPjSE_EEENSF_IJSE_SE_EEES9_SG_JZNS1_25segmented_radix_sort_implINS0_14default_configELb0EPKbPbPKlPlN2at6native12_GLOBAL__N_18offset_tEEE10hipError_tPvRmT1_PNSt15iterator_traitsISY_E10value_typeET2_T3_PNSZ_IS14_E10value_typeET4_jRbjT5_S1A_jjP12ihipStream_tbEUljE_EEESV_SW_SX_S14_S18_S1A_T6_T7_T9_mT8_S1C_bDpT10_ENKUlT_T0_E_clISt17integral_constantIbLb1EES1O_IbLb0EEEEDaS1K_S1L_EUlS1K_E_NS1_11comp_targetILNS1_3genE8ELNS1_11target_archE1030ELNS1_3gpuE2ELNS1_3repE0EEENS1_30default_config_static_selectorELNS0_4arch9wavefront6targetE0EEEvSY_.uses_vcc, 0
	.set _ZN7rocprim17ROCPRIM_400000_NS6detail17trampoline_kernelINS0_13select_configILj256ELj13ELNS0_17block_load_methodE3ELS4_3ELS4_3ELNS0_20block_scan_algorithmE0ELj4294967295EEENS1_25partition_config_selectorILNS1_17partition_subalgoE3EjNS0_10empty_typeEbEEZZNS1_14partition_implILS8_3ELb0ES6_jNS0_17counting_iteratorIjlEEPS9_SE_NS0_5tupleIJPjSE_EEENSF_IJSE_SE_EEES9_SG_JZNS1_25segmented_radix_sort_implINS0_14default_configELb0EPKbPbPKlPlN2at6native12_GLOBAL__N_18offset_tEEE10hipError_tPvRmT1_PNSt15iterator_traitsISY_E10value_typeET2_T3_PNSZ_IS14_E10value_typeET4_jRbjT5_S1A_jjP12ihipStream_tbEUljE_EEESV_SW_SX_S14_S18_S1A_T6_T7_T9_mT8_S1C_bDpT10_ENKUlT_T0_E_clISt17integral_constantIbLb1EES1O_IbLb0EEEEDaS1K_S1L_EUlS1K_E_NS1_11comp_targetILNS1_3genE8ELNS1_11target_archE1030ELNS1_3gpuE2ELNS1_3repE0EEENS1_30default_config_static_selectorELNS0_4arch9wavefront6targetE0EEEvSY_.uses_flat_scratch, 0
	.set _ZN7rocprim17ROCPRIM_400000_NS6detail17trampoline_kernelINS0_13select_configILj256ELj13ELNS0_17block_load_methodE3ELS4_3ELS4_3ELNS0_20block_scan_algorithmE0ELj4294967295EEENS1_25partition_config_selectorILNS1_17partition_subalgoE3EjNS0_10empty_typeEbEEZZNS1_14partition_implILS8_3ELb0ES6_jNS0_17counting_iteratorIjlEEPS9_SE_NS0_5tupleIJPjSE_EEENSF_IJSE_SE_EEES9_SG_JZNS1_25segmented_radix_sort_implINS0_14default_configELb0EPKbPbPKlPlN2at6native12_GLOBAL__N_18offset_tEEE10hipError_tPvRmT1_PNSt15iterator_traitsISY_E10value_typeET2_T3_PNSZ_IS14_E10value_typeET4_jRbjT5_S1A_jjP12ihipStream_tbEUljE_EEESV_SW_SX_S14_S18_S1A_T6_T7_T9_mT8_S1C_bDpT10_ENKUlT_T0_E_clISt17integral_constantIbLb1EES1O_IbLb0EEEEDaS1K_S1L_EUlS1K_E_NS1_11comp_targetILNS1_3genE8ELNS1_11target_archE1030ELNS1_3gpuE2ELNS1_3repE0EEENS1_30default_config_static_selectorELNS0_4arch9wavefront6targetE0EEEvSY_.has_dyn_sized_stack, 0
	.set _ZN7rocprim17ROCPRIM_400000_NS6detail17trampoline_kernelINS0_13select_configILj256ELj13ELNS0_17block_load_methodE3ELS4_3ELS4_3ELNS0_20block_scan_algorithmE0ELj4294967295EEENS1_25partition_config_selectorILNS1_17partition_subalgoE3EjNS0_10empty_typeEbEEZZNS1_14partition_implILS8_3ELb0ES6_jNS0_17counting_iteratorIjlEEPS9_SE_NS0_5tupleIJPjSE_EEENSF_IJSE_SE_EEES9_SG_JZNS1_25segmented_radix_sort_implINS0_14default_configELb0EPKbPbPKlPlN2at6native12_GLOBAL__N_18offset_tEEE10hipError_tPvRmT1_PNSt15iterator_traitsISY_E10value_typeET2_T3_PNSZ_IS14_E10value_typeET4_jRbjT5_S1A_jjP12ihipStream_tbEUljE_EEESV_SW_SX_S14_S18_S1A_T6_T7_T9_mT8_S1C_bDpT10_ENKUlT_T0_E_clISt17integral_constantIbLb1EES1O_IbLb0EEEEDaS1K_S1L_EUlS1K_E_NS1_11comp_targetILNS1_3genE8ELNS1_11target_archE1030ELNS1_3gpuE2ELNS1_3repE0EEENS1_30default_config_static_selectorELNS0_4arch9wavefront6targetE0EEEvSY_.has_recursion, 0
	.set _ZN7rocprim17ROCPRIM_400000_NS6detail17trampoline_kernelINS0_13select_configILj256ELj13ELNS0_17block_load_methodE3ELS4_3ELS4_3ELNS0_20block_scan_algorithmE0ELj4294967295EEENS1_25partition_config_selectorILNS1_17partition_subalgoE3EjNS0_10empty_typeEbEEZZNS1_14partition_implILS8_3ELb0ES6_jNS0_17counting_iteratorIjlEEPS9_SE_NS0_5tupleIJPjSE_EEENSF_IJSE_SE_EEES9_SG_JZNS1_25segmented_radix_sort_implINS0_14default_configELb0EPKbPbPKlPlN2at6native12_GLOBAL__N_18offset_tEEE10hipError_tPvRmT1_PNSt15iterator_traitsISY_E10value_typeET2_T3_PNSZ_IS14_E10value_typeET4_jRbjT5_S1A_jjP12ihipStream_tbEUljE_EEESV_SW_SX_S14_S18_S1A_T6_T7_T9_mT8_S1C_bDpT10_ENKUlT_T0_E_clISt17integral_constantIbLb1EES1O_IbLb0EEEEDaS1K_S1L_EUlS1K_E_NS1_11comp_targetILNS1_3genE8ELNS1_11target_archE1030ELNS1_3gpuE2ELNS1_3repE0EEENS1_30default_config_static_selectorELNS0_4arch9wavefront6targetE0EEEvSY_.has_indirect_call, 0
	.section	.AMDGPU.csdata,"",@progbits
; Kernel info:
; codeLenInByte = 4
; TotalNumSgprs: 0
; NumVgprs: 0
; ScratchSize: 0
; MemoryBound: 0
; FloatMode: 240
; IeeeMode: 1
; LDSByteSize: 0 bytes/workgroup (compile time only)
; SGPRBlocks: 0
; VGPRBlocks: 0
; NumSGPRsForWavesPerEU: 1
; NumVGPRsForWavesPerEU: 1
; Occupancy: 16
; WaveLimiterHint : 0
; COMPUTE_PGM_RSRC2:SCRATCH_EN: 0
; COMPUTE_PGM_RSRC2:USER_SGPR: 6
; COMPUTE_PGM_RSRC2:TRAP_HANDLER: 0
; COMPUTE_PGM_RSRC2:TGID_X_EN: 1
; COMPUTE_PGM_RSRC2:TGID_Y_EN: 0
; COMPUTE_PGM_RSRC2:TGID_Z_EN: 0
; COMPUTE_PGM_RSRC2:TIDIG_COMP_CNT: 0
	.section	.text._ZN7rocprim17ROCPRIM_400000_NS6detail17trampoline_kernelINS0_13select_configILj256ELj13ELNS0_17block_load_methodE3ELS4_3ELS4_3ELNS0_20block_scan_algorithmE0ELj4294967295EEENS1_25partition_config_selectorILNS1_17partition_subalgoE3EjNS0_10empty_typeEbEEZZNS1_14partition_implILS8_3ELb0ES6_jNS0_17counting_iteratorIjlEEPS9_SE_NS0_5tupleIJPjSE_EEENSF_IJSE_SE_EEES9_SG_JZNS1_25segmented_radix_sort_implINS0_14default_configELb0EPKbPbPKlPlN2at6native12_GLOBAL__N_18offset_tEEE10hipError_tPvRmT1_PNSt15iterator_traitsISY_E10value_typeET2_T3_PNSZ_IS14_E10value_typeET4_jRbjT5_S1A_jjP12ihipStream_tbEUljE_EEESV_SW_SX_S14_S18_S1A_T6_T7_T9_mT8_S1C_bDpT10_ENKUlT_T0_E_clISt17integral_constantIbLb0EES1O_IbLb1EEEEDaS1K_S1L_EUlS1K_E_NS1_11comp_targetILNS1_3genE0ELNS1_11target_archE4294967295ELNS1_3gpuE0ELNS1_3repE0EEENS1_30default_config_static_selectorELNS0_4arch9wavefront6targetE0EEEvSY_,"axG",@progbits,_ZN7rocprim17ROCPRIM_400000_NS6detail17trampoline_kernelINS0_13select_configILj256ELj13ELNS0_17block_load_methodE3ELS4_3ELS4_3ELNS0_20block_scan_algorithmE0ELj4294967295EEENS1_25partition_config_selectorILNS1_17partition_subalgoE3EjNS0_10empty_typeEbEEZZNS1_14partition_implILS8_3ELb0ES6_jNS0_17counting_iteratorIjlEEPS9_SE_NS0_5tupleIJPjSE_EEENSF_IJSE_SE_EEES9_SG_JZNS1_25segmented_radix_sort_implINS0_14default_configELb0EPKbPbPKlPlN2at6native12_GLOBAL__N_18offset_tEEE10hipError_tPvRmT1_PNSt15iterator_traitsISY_E10value_typeET2_T3_PNSZ_IS14_E10value_typeET4_jRbjT5_S1A_jjP12ihipStream_tbEUljE_EEESV_SW_SX_S14_S18_S1A_T6_T7_T9_mT8_S1C_bDpT10_ENKUlT_T0_E_clISt17integral_constantIbLb0EES1O_IbLb1EEEEDaS1K_S1L_EUlS1K_E_NS1_11comp_targetILNS1_3genE0ELNS1_11target_archE4294967295ELNS1_3gpuE0ELNS1_3repE0EEENS1_30default_config_static_selectorELNS0_4arch9wavefront6targetE0EEEvSY_,comdat
	.globl	_ZN7rocprim17ROCPRIM_400000_NS6detail17trampoline_kernelINS0_13select_configILj256ELj13ELNS0_17block_load_methodE3ELS4_3ELS4_3ELNS0_20block_scan_algorithmE0ELj4294967295EEENS1_25partition_config_selectorILNS1_17partition_subalgoE3EjNS0_10empty_typeEbEEZZNS1_14partition_implILS8_3ELb0ES6_jNS0_17counting_iteratorIjlEEPS9_SE_NS0_5tupleIJPjSE_EEENSF_IJSE_SE_EEES9_SG_JZNS1_25segmented_radix_sort_implINS0_14default_configELb0EPKbPbPKlPlN2at6native12_GLOBAL__N_18offset_tEEE10hipError_tPvRmT1_PNSt15iterator_traitsISY_E10value_typeET2_T3_PNSZ_IS14_E10value_typeET4_jRbjT5_S1A_jjP12ihipStream_tbEUljE_EEESV_SW_SX_S14_S18_S1A_T6_T7_T9_mT8_S1C_bDpT10_ENKUlT_T0_E_clISt17integral_constantIbLb0EES1O_IbLb1EEEEDaS1K_S1L_EUlS1K_E_NS1_11comp_targetILNS1_3genE0ELNS1_11target_archE4294967295ELNS1_3gpuE0ELNS1_3repE0EEENS1_30default_config_static_selectorELNS0_4arch9wavefront6targetE0EEEvSY_ ; -- Begin function _ZN7rocprim17ROCPRIM_400000_NS6detail17trampoline_kernelINS0_13select_configILj256ELj13ELNS0_17block_load_methodE3ELS4_3ELS4_3ELNS0_20block_scan_algorithmE0ELj4294967295EEENS1_25partition_config_selectorILNS1_17partition_subalgoE3EjNS0_10empty_typeEbEEZZNS1_14partition_implILS8_3ELb0ES6_jNS0_17counting_iteratorIjlEEPS9_SE_NS0_5tupleIJPjSE_EEENSF_IJSE_SE_EEES9_SG_JZNS1_25segmented_radix_sort_implINS0_14default_configELb0EPKbPbPKlPlN2at6native12_GLOBAL__N_18offset_tEEE10hipError_tPvRmT1_PNSt15iterator_traitsISY_E10value_typeET2_T3_PNSZ_IS14_E10value_typeET4_jRbjT5_S1A_jjP12ihipStream_tbEUljE_EEESV_SW_SX_S14_S18_S1A_T6_T7_T9_mT8_S1C_bDpT10_ENKUlT_T0_E_clISt17integral_constantIbLb0EES1O_IbLb1EEEEDaS1K_S1L_EUlS1K_E_NS1_11comp_targetILNS1_3genE0ELNS1_11target_archE4294967295ELNS1_3gpuE0ELNS1_3repE0EEENS1_30default_config_static_selectorELNS0_4arch9wavefront6targetE0EEEvSY_
	.p2align	8
	.type	_ZN7rocprim17ROCPRIM_400000_NS6detail17trampoline_kernelINS0_13select_configILj256ELj13ELNS0_17block_load_methodE3ELS4_3ELS4_3ELNS0_20block_scan_algorithmE0ELj4294967295EEENS1_25partition_config_selectorILNS1_17partition_subalgoE3EjNS0_10empty_typeEbEEZZNS1_14partition_implILS8_3ELb0ES6_jNS0_17counting_iteratorIjlEEPS9_SE_NS0_5tupleIJPjSE_EEENSF_IJSE_SE_EEES9_SG_JZNS1_25segmented_radix_sort_implINS0_14default_configELb0EPKbPbPKlPlN2at6native12_GLOBAL__N_18offset_tEEE10hipError_tPvRmT1_PNSt15iterator_traitsISY_E10value_typeET2_T3_PNSZ_IS14_E10value_typeET4_jRbjT5_S1A_jjP12ihipStream_tbEUljE_EEESV_SW_SX_S14_S18_S1A_T6_T7_T9_mT8_S1C_bDpT10_ENKUlT_T0_E_clISt17integral_constantIbLb0EES1O_IbLb1EEEEDaS1K_S1L_EUlS1K_E_NS1_11comp_targetILNS1_3genE0ELNS1_11target_archE4294967295ELNS1_3gpuE0ELNS1_3repE0EEENS1_30default_config_static_selectorELNS0_4arch9wavefront6targetE0EEEvSY_,@function
_ZN7rocprim17ROCPRIM_400000_NS6detail17trampoline_kernelINS0_13select_configILj256ELj13ELNS0_17block_load_methodE3ELS4_3ELS4_3ELNS0_20block_scan_algorithmE0ELj4294967295EEENS1_25partition_config_selectorILNS1_17partition_subalgoE3EjNS0_10empty_typeEbEEZZNS1_14partition_implILS8_3ELb0ES6_jNS0_17counting_iteratorIjlEEPS9_SE_NS0_5tupleIJPjSE_EEENSF_IJSE_SE_EEES9_SG_JZNS1_25segmented_radix_sort_implINS0_14default_configELb0EPKbPbPKlPlN2at6native12_GLOBAL__N_18offset_tEEE10hipError_tPvRmT1_PNSt15iterator_traitsISY_E10value_typeET2_T3_PNSZ_IS14_E10value_typeET4_jRbjT5_S1A_jjP12ihipStream_tbEUljE_EEESV_SW_SX_S14_S18_S1A_T6_T7_T9_mT8_S1C_bDpT10_ENKUlT_T0_E_clISt17integral_constantIbLb0EES1O_IbLb1EEEEDaS1K_S1L_EUlS1K_E_NS1_11comp_targetILNS1_3genE0ELNS1_11target_archE4294967295ELNS1_3gpuE0ELNS1_3repE0EEENS1_30default_config_static_selectorELNS0_4arch9wavefront6targetE0EEEvSY_: ; @_ZN7rocprim17ROCPRIM_400000_NS6detail17trampoline_kernelINS0_13select_configILj256ELj13ELNS0_17block_load_methodE3ELS4_3ELS4_3ELNS0_20block_scan_algorithmE0ELj4294967295EEENS1_25partition_config_selectorILNS1_17partition_subalgoE3EjNS0_10empty_typeEbEEZZNS1_14partition_implILS8_3ELb0ES6_jNS0_17counting_iteratorIjlEEPS9_SE_NS0_5tupleIJPjSE_EEENSF_IJSE_SE_EEES9_SG_JZNS1_25segmented_radix_sort_implINS0_14default_configELb0EPKbPbPKlPlN2at6native12_GLOBAL__N_18offset_tEEE10hipError_tPvRmT1_PNSt15iterator_traitsISY_E10value_typeET2_T3_PNSZ_IS14_E10value_typeET4_jRbjT5_S1A_jjP12ihipStream_tbEUljE_EEESV_SW_SX_S14_S18_S1A_T6_T7_T9_mT8_S1C_bDpT10_ENKUlT_T0_E_clISt17integral_constantIbLb0EES1O_IbLb1EEEEDaS1K_S1L_EUlS1K_E_NS1_11comp_targetILNS1_3genE0ELNS1_11target_archE4294967295ELNS1_3gpuE0ELNS1_3repE0EEENS1_30default_config_static_selectorELNS0_4arch9wavefront6targetE0EEEvSY_
; %bb.0:
	.section	.rodata,"a",@progbits
	.p2align	6, 0x0
	.amdhsa_kernel _ZN7rocprim17ROCPRIM_400000_NS6detail17trampoline_kernelINS0_13select_configILj256ELj13ELNS0_17block_load_methodE3ELS4_3ELS4_3ELNS0_20block_scan_algorithmE0ELj4294967295EEENS1_25partition_config_selectorILNS1_17partition_subalgoE3EjNS0_10empty_typeEbEEZZNS1_14partition_implILS8_3ELb0ES6_jNS0_17counting_iteratorIjlEEPS9_SE_NS0_5tupleIJPjSE_EEENSF_IJSE_SE_EEES9_SG_JZNS1_25segmented_radix_sort_implINS0_14default_configELb0EPKbPbPKlPlN2at6native12_GLOBAL__N_18offset_tEEE10hipError_tPvRmT1_PNSt15iterator_traitsISY_E10value_typeET2_T3_PNSZ_IS14_E10value_typeET4_jRbjT5_S1A_jjP12ihipStream_tbEUljE_EEESV_SW_SX_S14_S18_S1A_T6_T7_T9_mT8_S1C_bDpT10_ENKUlT_T0_E_clISt17integral_constantIbLb0EES1O_IbLb1EEEEDaS1K_S1L_EUlS1K_E_NS1_11comp_targetILNS1_3genE0ELNS1_11target_archE4294967295ELNS1_3gpuE0ELNS1_3repE0EEENS1_30default_config_static_selectorELNS0_4arch9wavefront6targetE0EEEvSY_
		.amdhsa_group_segment_fixed_size 0
		.amdhsa_private_segment_fixed_size 0
		.amdhsa_kernarg_size 152
		.amdhsa_user_sgpr_count 6
		.amdhsa_user_sgpr_private_segment_buffer 1
		.amdhsa_user_sgpr_dispatch_ptr 0
		.amdhsa_user_sgpr_queue_ptr 0
		.amdhsa_user_sgpr_kernarg_segment_ptr 1
		.amdhsa_user_sgpr_dispatch_id 0
		.amdhsa_user_sgpr_flat_scratch_init 0
		.amdhsa_user_sgpr_private_segment_size 0
		.amdhsa_wavefront_size32 1
		.amdhsa_uses_dynamic_stack 0
		.amdhsa_system_sgpr_private_segment_wavefront_offset 0
		.amdhsa_system_sgpr_workgroup_id_x 1
		.amdhsa_system_sgpr_workgroup_id_y 0
		.amdhsa_system_sgpr_workgroup_id_z 0
		.amdhsa_system_sgpr_workgroup_info 0
		.amdhsa_system_vgpr_workitem_id 0
		.amdhsa_next_free_vgpr 1
		.amdhsa_next_free_sgpr 1
		.amdhsa_reserve_vcc 0
		.amdhsa_reserve_flat_scratch 0
		.amdhsa_float_round_mode_32 0
		.amdhsa_float_round_mode_16_64 0
		.amdhsa_float_denorm_mode_32 3
		.amdhsa_float_denorm_mode_16_64 3
		.amdhsa_dx10_clamp 1
		.amdhsa_ieee_mode 1
		.amdhsa_fp16_overflow 0
		.amdhsa_workgroup_processor_mode 1
		.amdhsa_memory_ordered 1
		.amdhsa_forward_progress 1
		.amdhsa_shared_vgpr_count 0
		.amdhsa_exception_fp_ieee_invalid_op 0
		.amdhsa_exception_fp_denorm_src 0
		.amdhsa_exception_fp_ieee_div_zero 0
		.amdhsa_exception_fp_ieee_overflow 0
		.amdhsa_exception_fp_ieee_underflow 0
		.amdhsa_exception_fp_ieee_inexact 0
		.amdhsa_exception_int_div_zero 0
	.end_amdhsa_kernel
	.section	.text._ZN7rocprim17ROCPRIM_400000_NS6detail17trampoline_kernelINS0_13select_configILj256ELj13ELNS0_17block_load_methodE3ELS4_3ELS4_3ELNS0_20block_scan_algorithmE0ELj4294967295EEENS1_25partition_config_selectorILNS1_17partition_subalgoE3EjNS0_10empty_typeEbEEZZNS1_14partition_implILS8_3ELb0ES6_jNS0_17counting_iteratorIjlEEPS9_SE_NS0_5tupleIJPjSE_EEENSF_IJSE_SE_EEES9_SG_JZNS1_25segmented_radix_sort_implINS0_14default_configELb0EPKbPbPKlPlN2at6native12_GLOBAL__N_18offset_tEEE10hipError_tPvRmT1_PNSt15iterator_traitsISY_E10value_typeET2_T3_PNSZ_IS14_E10value_typeET4_jRbjT5_S1A_jjP12ihipStream_tbEUljE_EEESV_SW_SX_S14_S18_S1A_T6_T7_T9_mT8_S1C_bDpT10_ENKUlT_T0_E_clISt17integral_constantIbLb0EES1O_IbLb1EEEEDaS1K_S1L_EUlS1K_E_NS1_11comp_targetILNS1_3genE0ELNS1_11target_archE4294967295ELNS1_3gpuE0ELNS1_3repE0EEENS1_30default_config_static_selectorELNS0_4arch9wavefront6targetE0EEEvSY_,"axG",@progbits,_ZN7rocprim17ROCPRIM_400000_NS6detail17trampoline_kernelINS0_13select_configILj256ELj13ELNS0_17block_load_methodE3ELS4_3ELS4_3ELNS0_20block_scan_algorithmE0ELj4294967295EEENS1_25partition_config_selectorILNS1_17partition_subalgoE3EjNS0_10empty_typeEbEEZZNS1_14partition_implILS8_3ELb0ES6_jNS0_17counting_iteratorIjlEEPS9_SE_NS0_5tupleIJPjSE_EEENSF_IJSE_SE_EEES9_SG_JZNS1_25segmented_radix_sort_implINS0_14default_configELb0EPKbPbPKlPlN2at6native12_GLOBAL__N_18offset_tEEE10hipError_tPvRmT1_PNSt15iterator_traitsISY_E10value_typeET2_T3_PNSZ_IS14_E10value_typeET4_jRbjT5_S1A_jjP12ihipStream_tbEUljE_EEESV_SW_SX_S14_S18_S1A_T6_T7_T9_mT8_S1C_bDpT10_ENKUlT_T0_E_clISt17integral_constantIbLb0EES1O_IbLb1EEEEDaS1K_S1L_EUlS1K_E_NS1_11comp_targetILNS1_3genE0ELNS1_11target_archE4294967295ELNS1_3gpuE0ELNS1_3repE0EEENS1_30default_config_static_selectorELNS0_4arch9wavefront6targetE0EEEvSY_,comdat
.Lfunc_end1618:
	.size	_ZN7rocprim17ROCPRIM_400000_NS6detail17trampoline_kernelINS0_13select_configILj256ELj13ELNS0_17block_load_methodE3ELS4_3ELS4_3ELNS0_20block_scan_algorithmE0ELj4294967295EEENS1_25partition_config_selectorILNS1_17partition_subalgoE3EjNS0_10empty_typeEbEEZZNS1_14partition_implILS8_3ELb0ES6_jNS0_17counting_iteratorIjlEEPS9_SE_NS0_5tupleIJPjSE_EEENSF_IJSE_SE_EEES9_SG_JZNS1_25segmented_radix_sort_implINS0_14default_configELb0EPKbPbPKlPlN2at6native12_GLOBAL__N_18offset_tEEE10hipError_tPvRmT1_PNSt15iterator_traitsISY_E10value_typeET2_T3_PNSZ_IS14_E10value_typeET4_jRbjT5_S1A_jjP12ihipStream_tbEUljE_EEESV_SW_SX_S14_S18_S1A_T6_T7_T9_mT8_S1C_bDpT10_ENKUlT_T0_E_clISt17integral_constantIbLb0EES1O_IbLb1EEEEDaS1K_S1L_EUlS1K_E_NS1_11comp_targetILNS1_3genE0ELNS1_11target_archE4294967295ELNS1_3gpuE0ELNS1_3repE0EEENS1_30default_config_static_selectorELNS0_4arch9wavefront6targetE0EEEvSY_, .Lfunc_end1618-_ZN7rocprim17ROCPRIM_400000_NS6detail17trampoline_kernelINS0_13select_configILj256ELj13ELNS0_17block_load_methodE3ELS4_3ELS4_3ELNS0_20block_scan_algorithmE0ELj4294967295EEENS1_25partition_config_selectorILNS1_17partition_subalgoE3EjNS0_10empty_typeEbEEZZNS1_14partition_implILS8_3ELb0ES6_jNS0_17counting_iteratorIjlEEPS9_SE_NS0_5tupleIJPjSE_EEENSF_IJSE_SE_EEES9_SG_JZNS1_25segmented_radix_sort_implINS0_14default_configELb0EPKbPbPKlPlN2at6native12_GLOBAL__N_18offset_tEEE10hipError_tPvRmT1_PNSt15iterator_traitsISY_E10value_typeET2_T3_PNSZ_IS14_E10value_typeET4_jRbjT5_S1A_jjP12ihipStream_tbEUljE_EEESV_SW_SX_S14_S18_S1A_T6_T7_T9_mT8_S1C_bDpT10_ENKUlT_T0_E_clISt17integral_constantIbLb0EES1O_IbLb1EEEEDaS1K_S1L_EUlS1K_E_NS1_11comp_targetILNS1_3genE0ELNS1_11target_archE4294967295ELNS1_3gpuE0ELNS1_3repE0EEENS1_30default_config_static_selectorELNS0_4arch9wavefront6targetE0EEEvSY_
                                        ; -- End function
	.set _ZN7rocprim17ROCPRIM_400000_NS6detail17trampoline_kernelINS0_13select_configILj256ELj13ELNS0_17block_load_methodE3ELS4_3ELS4_3ELNS0_20block_scan_algorithmE0ELj4294967295EEENS1_25partition_config_selectorILNS1_17partition_subalgoE3EjNS0_10empty_typeEbEEZZNS1_14partition_implILS8_3ELb0ES6_jNS0_17counting_iteratorIjlEEPS9_SE_NS0_5tupleIJPjSE_EEENSF_IJSE_SE_EEES9_SG_JZNS1_25segmented_radix_sort_implINS0_14default_configELb0EPKbPbPKlPlN2at6native12_GLOBAL__N_18offset_tEEE10hipError_tPvRmT1_PNSt15iterator_traitsISY_E10value_typeET2_T3_PNSZ_IS14_E10value_typeET4_jRbjT5_S1A_jjP12ihipStream_tbEUljE_EEESV_SW_SX_S14_S18_S1A_T6_T7_T9_mT8_S1C_bDpT10_ENKUlT_T0_E_clISt17integral_constantIbLb0EES1O_IbLb1EEEEDaS1K_S1L_EUlS1K_E_NS1_11comp_targetILNS1_3genE0ELNS1_11target_archE4294967295ELNS1_3gpuE0ELNS1_3repE0EEENS1_30default_config_static_selectorELNS0_4arch9wavefront6targetE0EEEvSY_.num_vgpr, 0
	.set _ZN7rocprim17ROCPRIM_400000_NS6detail17trampoline_kernelINS0_13select_configILj256ELj13ELNS0_17block_load_methodE3ELS4_3ELS4_3ELNS0_20block_scan_algorithmE0ELj4294967295EEENS1_25partition_config_selectorILNS1_17partition_subalgoE3EjNS0_10empty_typeEbEEZZNS1_14partition_implILS8_3ELb0ES6_jNS0_17counting_iteratorIjlEEPS9_SE_NS0_5tupleIJPjSE_EEENSF_IJSE_SE_EEES9_SG_JZNS1_25segmented_radix_sort_implINS0_14default_configELb0EPKbPbPKlPlN2at6native12_GLOBAL__N_18offset_tEEE10hipError_tPvRmT1_PNSt15iterator_traitsISY_E10value_typeET2_T3_PNSZ_IS14_E10value_typeET4_jRbjT5_S1A_jjP12ihipStream_tbEUljE_EEESV_SW_SX_S14_S18_S1A_T6_T7_T9_mT8_S1C_bDpT10_ENKUlT_T0_E_clISt17integral_constantIbLb0EES1O_IbLb1EEEEDaS1K_S1L_EUlS1K_E_NS1_11comp_targetILNS1_3genE0ELNS1_11target_archE4294967295ELNS1_3gpuE0ELNS1_3repE0EEENS1_30default_config_static_selectorELNS0_4arch9wavefront6targetE0EEEvSY_.num_agpr, 0
	.set _ZN7rocprim17ROCPRIM_400000_NS6detail17trampoline_kernelINS0_13select_configILj256ELj13ELNS0_17block_load_methodE3ELS4_3ELS4_3ELNS0_20block_scan_algorithmE0ELj4294967295EEENS1_25partition_config_selectorILNS1_17partition_subalgoE3EjNS0_10empty_typeEbEEZZNS1_14partition_implILS8_3ELb0ES6_jNS0_17counting_iteratorIjlEEPS9_SE_NS0_5tupleIJPjSE_EEENSF_IJSE_SE_EEES9_SG_JZNS1_25segmented_radix_sort_implINS0_14default_configELb0EPKbPbPKlPlN2at6native12_GLOBAL__N_18offset_tEEE10hipError_tPvRmT1_PNSt15iterator_traitsISY_E10value_typeET2_T3_PNSZ_IS14_E10value_typeET4_jRbjT5_S1A_jjP12ihipStream_tbEUljE_EEESV_SW_SX_S14_S18_S1A_T6_T7_T9_mT8_S1C_bDpT10_ENKUlT_T0_E_clISt17integral_constantIbLb0EES1O_IbLb1EEEEDaS1K_S1L_EUlS1K_E_NS1_11comp_targetILNS1_3genE0ELNS1_11target_archE4294967295ELNS1_3gpuE0ELNS1_3repE0EEENS1_30default_config_static_selectorELNS0_4arch9wavefront6targetE0EEEvSY_.numbered_sgpr, 0
	.set _ZN7rocprim17ROCPRIM_400000_NS6detail17trampoline_kernelINS0_13select_configILj256ELj13ELNS0_17block_load_methodE3ELS4_3ELS4_3ELNS0_20block_scan_algorithmE0ELj4294967295EEENS1_25partition_config_selectorILNS1_17partition_subalgoE3EjNS0_10empty_typeEbEEZZNS1_14partition_implILS8_3ELb0ES6_jNS0_17counting_iteratorIjlEEPS9_SE_NS0_5tupleIJPjSE_EEENSF_IJSE_SE_EEES9_SG_JZNS1_25segmented_radix_sort_implINS0_14default_configELb0EPKbPbPKlPlN2at6native12_GLOBAL__N_18offset_tEEE10hipError_tPvRmT1_PNSt15iterator_traitsISY_E10value_typeET2_T3_PNSZ_IS14_E10value_typeET4_jRbjT5_S1A_jjP12ihipStream_tbEUljE_EEESV_SW_SX_S14_S18_S1A_T6_T7_T9_mT8_S1C_bDpT10_ENKUlT_T0_E_clISt17integral_constantIbLb0EES1O_IbLb1EEEEDaS1K_S1L_EUlS1K_E_NS1_11comp_targetILNS1_3genE0ELNS1_11target_archE4294967295ELNS1_3gpuE0ELNS1_3repE0EEENS1_30default_config_static_selectorELNS0_4arch9wavefront6targetE0EEEvSY_.num_named_barrier, 0
	.set _ZN7rocprim17ROCPRIM_400000_NS6detail17trampoline_kernelINS0_13select_configILj256ELj13ELNS0_17block_load_methodE3ELS4_3ELS4_3ELNS0_20block_scan_algorithmE0ELj4294967295EEENS1_25partition_config_selectorILNS1_17partition_subalgoE3EjNS0_10empty_typeEbEEZZNS1_14partition_implILS8_3ELb0ES6_jNS0_17counting_iteratorIjlEEPS9_SE_NS0_5tupleIJPjSE_EEENSF_IJSE_SE_EEES9_SG_JZNS1_25segmented_radix_sort_implINS0_14default_configELb0EPKbPbPKlPlN2at6native12_GLOBAL__N_18offset_tEEE10hipError_tPvRmT1_PNSt15iterator_traitsISY_E10value_typeET2_T3_PNSZ_IS14_E10value_typeET4_jRbjT5_S1A_jjP12ihipStream_tbEUljE_EEESV_SW_SX_S14_S18_S1A_T6_T7_T9_mT8_S1C_bDpT10_ENKUlT_T0_E_clISt17integral_constantIbLb0EES1O_IbLb1EEEEDaS1K_S1L_EUlS1K_E_NS1_11comp_targetILNS1_3genE0ELNS1_11target_archE4294967295ELNS1_3gpuE0ELNS1_3repE0EEENS1_30default_config_static_selectorELNS0_4arch9wavefront6targetE0EEEvSY_.private_seg_size, 0
	.set _ZN7rocprim17ROCPRIM_400000_NS6detail17trampoline_kernelINS0_13select_configILj256ELj13ELNS0_17block_load_methodE3ELS4_3ELS4_3ELNS0_20block_scan_algorithmE0ELj4294967295EEENS1_25partition_config_selectorILNS1_17partition_subalgoE3EjNS0_10empty_typeEbEEZZNS1_14partition_implILS8_3ELb0ES6_jNS0_17counting_iteratorIjlEEPS9_SE_NS0_5tupleIJPjSE_EEENSF_IJSE_SE_EEES9_SG_JZNS1_25segmented_radix_sort_implINS0_14default_configELb0EPKbPbPKlPlN2at6native12_GLOBAL__N_18offset_tEEE10hipError_tPvRmT1_PNSt15iterator_traitsISY_E10value_typeET2_T3_PNSZ_IS14_E10value_typeET4_jRbjT5_S1A_jjP12ihipStream_tbEUljE_EEESV_SW_SX_S14_S18_S1A_T6_T7_T9_mT8_S1C_bDpT10_ENKUlT_T0_E_clISt17integral_constantIbLb0EES1O_IbLb1EEEEDaS1K_S1L_EUlS1K_E_NS1_11comp_targetILNS1_3genE0ELNS1_11target_archE4294967295ELNS1_3gpuE0ELNS1_3repE0EEENS1_30default_config_static_selectorELNS0_4arch9wavefront6targetE0EEEvSY_.uses_vcc, 0
	.set _ZN7rocprim17ROCPRIM_400000_NS6detail17trampoline_kernelINS0_13select_configILj256ELj13ELNS0_17block_load_methodE3ELS4_3ELS4_3ELNS0_20block_scan_algorithmE0ELj4294967295EEENS1_25partition_config_selectorILNS1_17partition_subalgoE3EjNS0_10empty_typeEbEEZZNS1_14partition_implILS8_3ELb0ES6_jNS0_17counting_iteratorIjlEEPS9_SE_NS0_5tupleIJPjSE_EEENSF_IJSE_SE_EEES9_SG_JZNS1_25segmented_radix_sort_implINS0_14default_configELb0EPKbPbPKlPlN2at6native12_GLOBAL__N_18offset_tEEE10hipError_tPvRmT1_PNSt15iterator_traitsISY_E10value_typeET2_T3_PNSZ_IS14_E10value_typeET4_jRbjT5_S1A_jjP12ihipStream_tbEUljE_EEESV_SW_SX_S14_S18_S1A_T6_T7_T9_mT8_S1C_bDpT10_ENKUlT_T0_E_clISt17integral_constantIbLb0EES1O_IbLb1EEEEDaS1K_S1L_EUlS1K_E_NS1_11comp_targetILNS1_3genE0ELNS1_11target_archE4294967295ELNS1_3gpuE0ELNS1_3repE0EEENS1_30default_config_static_selectorELNS0_4arch9wavefront6targetE0EEEvSY_.uses_flat_scratch, 0
	.set _ZN7rocprim17ROCPRIM_400000_NS6detail17trampoline_kernelINS0_13select_configILj256ELj13ELNS0_17block_load_methodE3ELS4_3ELS4_3ELNS0_20block_scan_algorithmE0ELj4294967295EEENS1_25partition_config_selectorILNS1_17partition_subalgoE3EjNS0_10empty_typeEbEEZZNS1_14partition_implILS8_3ELb0ES6_jNS0_17counting_iteratorIjlEEPS9_SE_NS0_5tupleIJPjSE_EEENSF_IJSE_SE_EEES9_SG_JZNS1_25segmented_radix_sort_implINS0_14default_configELb0EPKbPbPKlPlN2at6native12_GLOBAL__N_18offset_tEEE10hipError_tPvRmT1_PNSt15iterator_traitsISY_E10value_typeET2_T3_PNSZ_IS14_E10value_typeET4_jRbjT5_S1A_jjP12ihipStream_tbEUljE_EEESV_SW_SX_S14_S18_S1A_T6_T7_T9_mT8_S1C_bDpT10_ENKUlT_T0_E_clISt17integral_constantIbLb0EES1O_IbLb1EEEEDaS1K_S1L_EUlS1K_E_NS1_11comp_targetILNS1_3genE0ELNS1_11target_archE4294967295ELNS1_3gpuE0ELNS1_3repE0EEENS1_30default_config_static_selectorELNS0_4arch9wavefront6targetE0EEEvSY_.has_dyn_sized_stack, 0
	.set _ZN7rocprim17ROCPRIM_400000_NS6detail17trampoline_kernelINS0_13select_configILj256ELj13ELNS0_17block_load_methodE3ELS4_3ELS4_3ELNS0_20block_scan_algorithmE0ELj4294967295EEENS1_25partition_config_selectorILNS1_17partition_subalgoE3EjNS0_10empty_typeEbEEZZNS1_14partition_implILS8_3ELb0ES6_jNS0_17counting_iteratorIjlEEPS9_SE_NS0_5tupleIJPjSE_EEENSF_IJSE_SE_EEES9_SG_JZNS1_25segmented_radix_sort_implINS0_14default_configELb0EPKbPbPKlPlN2at6native12_GLOBAL__N_18offset_tEEE10hipError_tPvRmT1_PNSt15iterator_traitsISY_E10value_typeET2_T3_PNSZ_IS14_E10value_typeET4_jRbjT5_S1A_jjP12ihipStream_tbEUljE_EEESV_SW_SX_S14_S18_S1A_T6_T7_T9_mT8_S1C_bDpT10_ENKUlT_T0_E_clISt17integral_constantIbLb0EES1O_IbLb1EEEEDaS1K_S1L_EUlS1K_E_NS1_11comp_targetILNS1_3genE0ELNS1_11target_archE4294967295ELNS1_3gpuE0ELNS1_3repE0EEENS1_30default_config_static_selectorELNS0_4arch9wavefront6targetE0EEEvSY_.has_recursion, 0
	.set _ZN7rocprim17ROCPRIM_400000_NS6detail17trampoline_kernelINS0_13select_configILj256ELj13ELNS0_17block_load_methodE3ELS4_3ELS4_3ELNS0_20block_scan_algorithmE0ELj4294967295EEENS1_25partition_config_selectorILNS1_17partition_subalgoE3EjNS0_10empty_typeEbEEZZNS1_14partition_implILS8_3ELb0ES6_jNS0_17counting_iteratorIjlEEPS9_SE_NS0_5tupleIJPjSE_EEENSF_IJSE_SE_EEES9_SG_JZNS1_25segmented_radix_sort_implINS0_14default_configELb0EPKbPbPKlPlN2at6native12_GLOBAL__N_18offset_tEEE10hipError_tPvRmT1_PNSt15iterator_traitsISY_E10value_typeET2_T3_PNSZ_IS14_E10value_typeET4_jRbjT5_S1A_jjP12ihipStream_tbEUljE_EEESV_SW_SX_S14_S18_S1A_T6_T7_T9_mT8_S1C_bDpT10_ENKUlT_T0_E_clISt17integral_constantIbLb0EES1O_IbLb1EEEEDaS1K_S1L_EUlS1K_E_NS1_11comp_targetILNS1_3genE0ELNS1_11target_archE4294967295ELNS1_3gpuE0ELNS1_3repE0EEENS1_30default_config_static_selectorELNS0_4arch9wavefront6targetE0EEEvSY_.has_indirect_call, 0
	.section	.AMDGPU.csdata,"",@progbits
; Kernel info:
; codeLenInByte = 0
; TotalNumSgprs: 0
; NumVgprs: 0
; ScratchSize: 0
; MemoryBound: 0
; FloatMode: 240
; IeeeMode: 1
; LDSByteSize: 0 bytes/workgroup (compile time only)
; SGPRBlocks: 0
; VGPRBlocks: 0
; NumSGPRsForWavesPerEU: 1
; NumVGPRsForWavesPerEU: 1
; Occupancy: 16
; WaveLimiterHint : 0
; COMPUTE_PGM_RSRC2:SCRATCH_EN: 0
; COMPUTE_PGM_RSRC2:USER_SGPR: 6
; COMPUTE_PGM_RSRC2:TRAP_HANDLER: 0
; COMPUTE_PGM_RSRC2:TGID_X_EN: 1
; COMPUTE_PGM_RSRC2:TGID_Y_EN: 0
; COMPUTE_PGM_RSRC2:TGID_Z_EN: 0
; COMPUTE_PGM_RSRC2:TIDIG_COMP_CNT: 0
	.section	.text._ZN7rocprim17ROCPRIM_400000_NS6detail17trampoline_kernelINS0_13select_configILj256ELj13ELNS0_17block_load_methodE3ELS4_3ELS4_3ELNS0_20block_scan_algorithmE0ELj4294967295EEENS1_25partition_config_selectorILNS1_17partition_subalgoE3EjNS0_10empty_typeEbEEZZNS1_14partition_implILS8_3ELb0ES6_jNS0_17counting_iteratorIjlEEPS9_SE_NS0_5tupleIJPjSE_EEENSF_IJSE_SE_EEES9_SG_JZNS1_25segmented_radix_sort_implINS0_14default_configELb0EPKbPbPKlPlN2at6native12_GLOBAL__N_18offset_tEEE10hipError_tPvRmT1_PNSt15iterator_traitsISY_E10value_typeET2_T3_PNSZ_IS14_E10value_typeET4_jRbjT5_S1A_jjP12ihipStream_tbEUljE_EEESV_SW_SX_S14_S18_S1A_T6_T7_T9_mT8_S1C_bDpT10_ENKUlT_T0_E_clISt17integral_constantIbLb0EES1O_IbLb1EEEEDaS1K_S1L_EUlS1K_E_NS1_11comp_targetILNS1_3genE5ELNS1_11target_archE942ELNS1_3gpuE9ELNS1_3repE0EEENS1_30default_config_static_selectorELNS0_4arch9wavefront6targetE0EEEvSY_,"axG",@progbits,_ZN7rocprim17ROCPRIM_400000_NS6detail17trampoline_kernelINS0_13select_configILj256ELj13ELNS0_17block_load_methodE3ELS4_3ELS4_3ELNS0_20block_scan_algorithmE0ELj4294967295EEENS1_25partition_config_selectorILNS1_17partition_subalgoE3EjNS0_10empty_typeEbEEZZNS1_14partition_implILS8_3ELb0ES6_jNS0_17counting_iteratorIjlEEPS9_SE_NS0_5tupleIJPjSE_EEENSF_IJSE_SE_EEES9_SG_JZNS1_25segmented_radix_sort_implINS0_14default_configELb0EPKbPbPKlPlN2at6native12_GLOBAL__N_18offset_tEEE10hipError_tPvRmT1_PNSt15iterator_traitsISY_E10value_typeET2_T3_PNSZ_IS14_E10value_typeET4_jRbjT5_S1A_jjP12ihipStream_tbEUljE_EEESV_SW_SX_S14_S18_S1A_T6_T7_T9_mT8_S1C_bDpT10_ENKUlT_T0_E_clISt17integral_constantIbLb0EES1O_IbLb1EEEEDaS1K_S1L_EUlS1K_E_NS1_11comp_targetILNS1_3genE5ELNS1_11target_archE942ELNS1_3gpuE9ELNS1_3repE0EEENS1_30default_config_static_selectorELNS0_4arch9wavefront6targetE0EEEvSY_,comdat
	.globl	_ZN7rocprim17ROCPRIM_400000_NS6detail17trampoline_kernelINS0_13select_configILj256ELj13ELNS0_17block_load_methodE3ELS4_3ELS4_3ELNS0_20block_scan_algorithmE0ELj4294967295EEENS1_25partition_config_selectorILNS1_17partition_subalgoE3EjNS0_10empty_typeEbEEZZNS1_14partition_implILS8_3ELb0ES6_jNS0_17counting_iteratorIjlEEPS9_SE_NS0_5tupleIJPjSE_EEENSF_IJSE_SE_EEES9_SG_JZNS1_25segmented_radix_sort_implINS0_14default_configELb0EPKbPbPKlPlN2at6native12_GLOBAL__N_18offset_tEEE10hipError_tPvRmT1_PNSt15iterator_traitsISY_E10value_typeET2_T3_PNSZ_IS14_E10value_typeET4_jRbjT5_S1A_jjP12ihipStream_tbEUljE_EEESV_SW_SX_S14_S18_S1A_T6_T7_T9_mT8_S1C_bDpT10_ENKUlT_T0_E_clISt17integral_constantIbLb0EES1O_IbLb1EEEEDaS1K_S1L_EUlS1K_E_NS1_11comp_targetILNS1_3genE5ELNS1_11target_archE942ELNS1_3gpuE9ELNS1_3repE0EEENS1_30default_config_static_selectorELNS0_4arch9wavefront6targetE0EEEvSY_ ; -- Begin function _ZN7rocprim17ROCPRIM_400000_NS6detail17trampoline_kernelINS0_13select_configILj256ELj13ELNS0_17block_load_methodE3ELS4_3ELS4_3ELNS0_20block_scan_algorithmE0ELj4294967295EEENS1_25partition_config_selectorILNS1_17partition_subalgoE3EjNS0_10empty_typeEbEEZZNS1_14partition_implILS8_3ELb0ES6_jNS0_17counting_iteratorIjlEEPS9_SE_NS0_5tupleIJPjSE_EEENSF_IJSE_SE_EEES9_SG_JZNS1_25segmented_radix_sort_implINS0_14default_configELb0EPKbPbPKlPlN2at6native12_GLOBAL__N_18offset_tEEE10hipError_tPvRmT1_PNSt15iterator_traitsISY_E10value_typeET2_T3_PNSZ_IS14_E10value_typeET4_jRbjT5_S1A_jjP12ihipStream_tbEUljE_EEESV_SW_SX_S14_S18_S1A_T6_T7_T9_mT8_S1C_bDpT10_ENKUlT_T0_E_clISt17integral_constantIbLb0EES1O_IbLb1EEEEDaS1K_S1L_EUlS1K_E_NS1_11comp_targetILNS1_3genE5ELNS1_11target_archE942ELNS1_3gpuE9ELNS1_3repE0EEENS1_30default_config_static_selectorELNS0_4arch9wavefront6targetE0EEEvSY_
	.p2align	8
	.type	_ZN7rocprim17ROCPRIM_400000_NS6detail17trampoline_kernelINS0_13select_configILj256ELj13ELNS0_17block_load_methodE3ELS4_3ELS4_3ELNS0_20block_scan_algorithmE0ELj4294967295EEENS1_25partition_config_selectorILNS1_17partition_subalgoE3EjNS0_10empty_typeEbEEZZNS1_14partition_implILS8_3ELb0ES6_jNS0_17counting_iteratorIjlEEPS9_SE_NS0_5tupleIJPjSE_EEENSF_IJSE_SE_EEES9_SG_JZNS1_25segmented_radix_sort_implINS0_14default_configELb0EPKbPbPKlPlN2at6native12_GLOBAL__N_18offset_tEEE10hipError_tPvRmT1_PNSt15iterator_traitsISY_E10value_typeET2_T3_PNSZ_IS14_E10value_typeET4_jRbjT5_S1A_jjP12ihipStream_tbEUljE_EEESV_SW_SX_S14_S18_S1A_T6_T7_T9_mT8_S1C_bDpT10_ENKUlT_T0_E_clISt17integral_constantIbLb0EES1O_IbLb1EEEEDaS1K_S1L_EUlS1K_E_NS1_11comp_targetILNS1_3genE5ELNS1_11target_archE942ELNS1_3gpuE9ELNS1_3repE0EEENS1_30default_config_static_selectorELNS0_4arch9wavefront6targetE0EEEvSY_,@function
_ZN7rocprim17ROCPRIM_400000_NS6detail17trampoline_kernelINS0_13select_configILj256ELj13ELNS0_17block_load_methodE3ELS4_3ELS4_3ELNS0_20block_scan_algorithmE0ELj4294967295EEENS1_25partition_config_selectorILNS1_17partition_subalgoE3EjNS0_10empty_typeEbEEZZNS1_14partition_implILS8_3ELb0ES6_jNS0_17counting_iteratorIjlEEPS9_SE_NS0_5tupleIJPjSE_EEENSF_IJSE_SE_EEES9_SG_JZNS1_25segmented_radix_sort_implINS0_14default_configELb0EPKbPbPKlPlN2at6native12_GLOBAL__N_18offset_tEEE10hipError_tPvRmT1_PNSt15iterator_traitsISY_E10value_typeET2_T3_PNSZ_IS14_E10value_typeET4_jRbjT5_S1A_jjP12ihipStream_tbEUljE_EEESV_SW_SX_S14_S18_S1A_T6_T7_T9_mT8_S1C_bDpT10_ENKUlT_T0_E_clISt17integral_constantIbLb0EES1O_IbLb1EEEEDaS1K_S1L_EUlS1K_E_NS1_11comp_targetILNS1_3genE5ELNS1_11target_archE942ELNS1_3gpuE9ELNS1_3repE0EEENS1_30default_config_static_selectorELNS0_4arch9wavefront6targetE0EEEvSY_: ; @_ZN7rocprim17ROCPRIM_400000_NS6detail17trampoline_kernelINS0_13select_configILj256ELj13ELNS0_17block_load_methodE3ELS4_3ELS4_3ELNS0_20block_scan_algorithmE0ELj4294967295EEENS1_25partition_config_selectorILNS1_17partition_subalgoE3EjNS0_10empty_typeEbEEZZNS1_14partition_implILS8_3ELb0ES6_jNS0_17counting_iteratorIjlEEPS9_SE_NS0_5tupleIJPjSE_EEENSF_IJSE_SE_EEES9_SG_JZNS1_25segmented_radix_sort_implINS0_14default_configELb0EPKbPbPKlPlN2at6native12_GLOBAL__N_18offset_tEEE10hipError_tPvRmT1_PNSt15iterator_traitsISY_E10value_typeET2_T3_PNSZ_IS14_E10value_typeET4_jRbjT5_S1A_jjP12ihipStream_tbEUljE_EEESV_SW_SX_S14_S18_S1A_T6_T7_T9_mT8_S1C_bDpT10_ENKUlT_T0_E_clISt17integral_constantIbLb0EES1O_IbLb1EEEEDaS1K_S1L_EUlS1K_E_NS1_11comp_targetILNS1_3genE5ELNS1_11target_archE942ELNS1_3gpuE9ELNS1_3repE0EEENS1_30default_config_static_selectorELNS0_4arch9wavefront6targetE0EEEvSY_
; %bb.0:
	.section	.rodata,"a",@progbits
	.p2align	6, 0x0
	.amdhsa_kernel _ZN7rocprim17ROCPRIM_400000_NS6detail17trampoline_kernelINS0_13select_configILj256ELj13ELNS0_17block_load_methodE3ELS4_3ELS4_3ELNS0_20block_scan_algorithmE0ELj4294967295EEENS1_25partition_config_selectorILNS1_17partition_subalgoE3EjNS0_10empty_typeEbEEZZNS1_14partition_implILS8_3ELb0ES6_jNS0_17counting_iteratorIjlEEPS9_SE_NS0_5tupleIJPjSE_EEENSF_IJSE_SE_EEES9_SG_JZNS1_25segmented_radix_sort_implINS0_14default_configELb0EPKbPbPKlPlN2at6native12_GLOBAL__N_18offset_tEEE10hipError_tPvRmT1_PNSt15iterator_traitsISY_E10value_typeET2_T3_PNSZ_IS14_E10value_typeET4_jRbjT5_S1A_jjP12ihipStream_tbEUljE_EEESV_SW_SX_S14_S18_S1A_T6_T7_T9_mT8_S1C_bDpT10_ENKUlT_T0_E_clISt17integral_constantIbLb0EES1O_IbLb1EEEEDaS1K_S1L_EUlS1K_E_NS1_11comp_targetILNS1_3genE5ELNS1_11target_archE942ELNS1_3gpuE9ELNS1_3repE0EEENS1_30default_config_static_selectorELNS0_4arch9wavefront6targetE0EEEvSY_
		.amdhsa_group_segment_fixed_size 0
		.amdhsa_private_segment_fixed_size 0
		.amdhsa_kernarg_size 152
		.amdhsa_user_sgpr_count 6
		.amdhsa_user_sgpr_private_segment_buffer 1
		.amdhsa_user_sgpr_dispatch_ptr 0
		.amdhsa_user_sgpr_queue_ptr 0
		.amdhsa_user_sgpr_kernarg_segment_ptr 1
		.amdhsa_user_sgpr_dispatch_id 0
		.amdhsa_user_sgpr_flat_scratch_init 0
		.amdhsa_user_sgpr_private_segment_size 0
		.amdhsa_wavefront_size32 1
		.amdhsa_uses_dynamic_stack 0
		.amdhsa_system_sgpr_private_segment_wavefront_offset 0
		.amdhsa_system_sgpr_workgroup_id_x 1
		.amdhsa_system_sgpr_workgroup_id_y 0
		.amdhsa_system_sgpr_workgroup_id_z 0
		.amdhsa_system_sgpr_workgroup_info 0
		.amdhsa_system_vgpr_workitem_id 0
		.amdhsa_next_free_vgpr 1
		.amdhsa_next_free_sgpr 1
		.amdhsa_reserve_vcc 0
		.amdhsa_reserve_flat_scratch 0
		.amdhsa_float_round_mode_32 0
		.amdhsa_float_round_mode_16_64 0
		.amdhsa_float_denorm_mode_32 3
		.amdhsa_float_denorm_mode_16_64 3
		.amdhsa_dx10_clamp 1
		.amdhsa_ieee_mode 1
		.amdhsa_fp16_overflow 0
		.amdhsa_workgroup_processor_mode 1
		.amdhsa_memory_ordered 1
		.amdhsa_forward_progress 1
		.amdhsa_shared_vgpr_count 0
		.amdhsa_exception_fp_ieee_invalid_op 0
		.amdhsa_exception_fp_denorm_src 0
		.amdhsa_exception_fp_ieee_div_zero 0
		.amdhsa_exception_fp_ieee_overflow 0
		.amdhsa_exception_fp_ieee_underflow 0
		.amdhsa_exception_fp_ieee_inexact 0
		.amdhsa_exception_int_div_zero 0
	.end_amdhsa_kernel
	.section	.text._ZN7rocprim17ROCPRIM_400000_NS6detail17trampoline_kernelINS0_13select_configILj256ELj13ELNS0_17block_load_methodE3ELS4_3ELS4_3ELNS0_20block_scan_algorithmE0ELj4294967295EEENS1_25partition_config_selectorILNS1_17partition_subalgoE3EjNS0_10empty_typeEbEEZZNS1_14partition_implILS8_3ELb0ES6_jNS0_17counting_iteratorIjlEEPS9_SE_NS0_5tupleIJPjSE_EEENSF_IJSE_SE_EEES9_SG_JZNS1_25segmented_radix_sort_implINS0_14default_configELb0EPKbPbPKlPlN2at6native12_GLOBAL__N_18offset_tEEE10hipError_tPvRmT1_PNSt15iterator_traitsISY_E10value_typeET2_T3_PNSZ_IS14_E10value_typeET4_jRbjT5_S1A_jjP12ihipStream_tbEUljE_EEESV_SW_SX_S14_S18_S1A_T6_T7_T9_mT8_S1C_bDpT10_ENKUlT_T0_E_clISt17integral_constantIbLb0EES1O_IbLb1EEEEDaS1K_S1L_EUlS1K_E_NS1_11comp_targetILNS1_3genE5ELNS1_11target_archE942ELNS1_3gpuE9ELNS1_3repE0EEENS1_30default_config_static_selectorELNS0_4arch9wavefront6targetE0EEEvSY_,"axG",@progbits,_ZN7rocprim17ROCPRIM_400000_NS6detail17trampoline_kernelINS0_13select_configILj256ELj13ELNS0_17block_load_methodE3ELS4_3ELS4_3ELNS0_20block_scan_algorithmE0ELj4294967295EEENS1_25partition_config_selectorILNS1_17partition_subalgoE3EjNS0_10empty_typeEbEEZZNS1_14partition_implILS8_3ELb0ES6_jNS0_17counting_iteratorIjlEEPS9_SE_NS0_5tupleIJPjSE_EEENSF_IJSE_SE_EEES9_SG_JZNS1_25segmented_radix_sort_implINS0_14default_configELb0EPKbPbPKlPlN2at6native12_GLOBAL__N_18offset_tEEE10hipError_tPvRmT1_PNSt15iterator_traitsISY_E10value_typeET2_T3_PNSZ_IS14_E10value_typeET4_jRbjT5_S1A_jjP12ihipStream_tbEUljE_EEESV_SW_SX_S14_S18_S1A_T6_T7_T9_mT8_S1C_bDpT10_ENKUlT_T0_E_clISt17integral_constantIbLb0EES1O_IbLb1EEEEDaS1K_S1L_EUlS1K_E_NS1_11comp_targetILNS1_3genE5ELNS1_11target_archE942ELNS1_3gpuE9ELNS1_3repE0EEENS1_30default_config_static_selectorELNS0_4arch9wavefront6targetE0EEEvSY_,comdat
.Lfunc_end1619:
	.size	_ZN7rocprim17ROCPRIM_400000_NS6detail17trampoline_kernelINS0_13select_configILj256ELj13ELNS0_17block_load_methodE3ELS4_3ELS4_3ELNS0_20block_scan_algorithmE0ELj4294967295EEENS1_25partition_config_selectorILNS1_17partition_subalgoE3EjNS0_10empty_typeEbEEZZNS1_14partition_implILS8_3ELb0ES6_jNS0_17counting_iteratorIjlEEPS9_SE_NS0_5tupleIJPjSE_EEENSF_IJSE_SE_EEES9_SG_JZNS1_25segmented_radix_sort_implINS0_14default_configELb0EPKbPbPKlPlN2at6native12_GLOBAL__N_18offset_tEEE10hipError_tPvRmT1_PNSt15iterator_traitsISY_E10value_typeET2_T3_PNSZ_IS14_E10value_typeET4_jRbjT5_S1A_jjP12ihipStream_tbEUljE_EEESV_SW_SX_S14_S18_S1A_T6_T7_T9_mT8_S1C_bDpT10_ENKUlT_T0_E_clISt17integral_constantIbLb0EES1O_IbLb1EEEEDaS1K_S1L_EUlS1K_E_NS1_11comp_targetILNS1_3genE5ELNS1_11target_archE942ELNS1_3gpuE9ELNS1_3repE0EEENS1_30default_config_static_selectorELNS0_4arch9wavefront6targetE0EEEvSY_, .Lfunc_end1619-_ZN7rocprim17ROCPRIM_400000_NS6detail17trampoline_kernelINS0_13select_configILj256ELj13ELNS0_17block_load_methodE3ELS4_3ELS4_3ELNS0_20block_scan_algorithmE0ELj4294967295EEENS1_25partition_config_selectorILNS1_17partition_subalgoE3EjNS0_10empty_typeEbEEZZNS1_14partition_implILS8_3ELb0ES6_jNS0_17counting_iteratorIjlEEPS9_SE_NS0_5tupleIJPjSE_EEENSF_IJSE_SE_EEES9_SG_JZNS1_25segmented_radix_sort_implINS0_14default_configELb0EPKbPbPKlPlN2at6native12_GLOBAL__N_18offset_tEEE10hipError_tPvRmT1_PNSt15iterator_traitsISY_E10value_typeET2_T3_PNSZ_IS14_E10value_typeET4_jRbjT5_S1A_jjP12ihipStream_tbEUljE_EEESV_SW_SX_S14_S18_S1A_T6_T7_T9_mT8_S1C_bDpT10_ENKUlT_T0_E_clISt17integral_constantIbLb0EES1O_IbLb1EEEEDaS1K_S1L_EUlS1K_E_NS1_11comp_targetILNS1_3genE5ELNS1_11target_archE942ELNS1_3gpuE9ELNS1_3repE0EEENS1_30default_config_static_selectorELNS0_4arch9wavefront6targetE0EEEvSY_
                                        ; -- End function
	.set _ZN7rocprim17ROCPRIM_400000_NS6detail17trampoline_kernelINS0_13select_configILj256ELj13ELNS0_17block_load_methodE3ELS4_3ELS4_3ELNS0_20block_scan_algorithmE0ELj4294967295EEENS1_25partition_config_selectorILNS1_17partition_subalgoE3EjNS0_10empty_typeEbEEZZNS1_14partition_implILS8_3ELb0ES6_jNS0_17counting_iteratorIjlEEPS9_SE_NS0_5tupleIJPjSE_EEENSF_IJSE_SE_EEES9_SG_JZNS1_25segmented_radix_sort_implINS0_14default_configELb0EPKbPbPKlPlN2at6native12_GLOBAL__N_18offset_tEEE10hipError_tPvRmT1_PNSt15iterator_traitsISY_E10value_typeET2_T3_PNSZ_IS14_E10value_typeET4_jRbjT5_S1A_jjP12ihipStream_tbEUljE_EEESV_SW_SX_S14_S18_S1A_T6_T7_T9_mT8_S1C_bDpT10_ENKUlT_T0_E_clISt17integral_constantIbLb0EES1O_IbLb1EEEEDaS1K_S1L_EUlS1K_E_NS1_11comp_targetILNS1_3genE5ELNS1_11target_archE942ELNS1_3gpuE9ELNS1_3repE0EEENS1_30default_config_static_selectorELNS0_4arch9wavefront6targetE0EEEvSY_.num_vgpr, 0
	.set _ZN7rocprim17ROCPRIM_400000_NS6detail17trampoline_kernelINS0_13select_configILj256ELj13ELNS0_17block_load_methodE3ELS4_3ELS4_3ELNS0_20block_scan_algorithmE0ELj4294967295EEENS1_25partition_config_selectorILNS1_17partition_subalgoE3EjNS0_10empty_typeEbEEZZNS1_14partition_implILS8_3ELb0ES6_jNS0_17counting_iteratorIjlEEPS9_SE_NS0_5tupleIJPjSE_EEENSF_IJSE_SE_EEES9_SG_JZNS1_25segmented_radix_sort_implINS0_14default_configELb0EPKbPbPKlPlN2at6native12_GLOBAL__N_18offset_tEEE10hipError_tPvRmT1_PNSt15iterator_traitsISY_E10value_typeET2_T3_PNSZ_IS14_E10value_typeET4_jRbjT5_S1A_jjP12ihipStream_tbEUljE_EEESV_SW_SX_S14_S18_S1A_T6_T7_T9_mT8_S1C_bDpT10_ENKUlT_T0_E_clISt17integral_constantIbLb0EES1O_IbLb1EEEEDaS1K_S1L_EUlS1K_E_NS1_11comp_targetILNS1_3genE5ELNS1_11target_archE942ELNS1_3gpuE9ELNS1_3repE0EEENS1_30default_config_static_selectorELNS0_4arch9wavefront6targetE0EEEvSY_.num_agpr, 0
	.set _ZN7rocprim17ROCPRIM_400000_NS6detail17trampoline_kernelINS0_13select_configILj256ELj13ELNS0_17block_load_methodE3ELS4_3ELS4_3ELNS0_20block_scan_algorithmE0ELj4294967295EEENS1_25partition_config_selectorILNS1_17partition_subalgoE3EjNS0_10empty_typeEbEEZZNS1_14partition_implILS8_3ELb0ES6_jNS0_17counting_iteratorIjlEEPS9_SE_NS0_5tupleIJPjSE_EEENSF_IJSE_SE_EEES9_SG_JZNS1_25segmented_radix_sort_implINS0_14default_configELb0EPKbPbPKlPlN2at6native12_GLOBAL__N_18offset_tEEE10hipError_tPvRmT1_PNSt15iterator_traitsISY_E10value_typeET2_T3_PNSZ_IS14_E10value_typeET4_jRbjT5_S1A_jjP12ihipStream_tbEUljE_EEESV_SW_SX_S14_S18_S1A_T6_T7_T9_mT8_S1C_bDpT10_ENKUlT_T0_E_clISt17integral_constantIbLb0EES1O_IbLb1EEEEDaS1K_S1L_EUlS1K_E_NS1_11comp_targetILNS1_3genE5ELNS1_11target_archE942ELNS1_3gpuE9ELNS1_3repE0EEENS1_30default_config_static_selectorELNS0_4arch9wavefront6targetE0EEEvSY_.numbered_sgpr, 0
	.set _ZN7rocprim17ROCPRIM_400000_NS6detail17trampoline_kernelINS0_13select_configILj256ELj13ELNS0_17block_load_methodE3ELS4_3ELS4_3ELNS0_20block_scan_algorithmE0ELj4294967295EEENS1_25partition_config_selectorILNS1_17partition_subalgoE3EjNS0_10empty_typeEbEEZZNS1_14partition_implILS8_3ELb0ES6_jNS0_17counting_iteratorIjlEEPS9_SE_NS0_5tupleIJPjSE_EEENSF_IJSE_SE_EEES9_SG_JZNS1_25segmented_radix_sort_implINS0_14default_configELb0EPKbPbPKlPlN2at6native12_GLOBAL__N_18offset_tEEE10hipError_tPvRmT1_PNSt15iterator_traitsISY_E10value_typeET2_T3_PNSZ_IS14_E10value_typeET4_jRbjT5_S1A_jjP12ihipStream_tbEUljE_EEESV_SW_SX_S14_S18_S1A_T6_T7_T9_mT8_S1C_bDpT10_ENKUlT_T0_E_clISt17integral_constantIbLb0EES1O_IbLb1EEEEDaS1K_S1L_EUlS1K_E_NS1_11comp_targetILNS1_3genE5ELNS1_11target_archE942ELNS1_3gpuE9ELNS1_3repE0EEENS1_30default_config_static_selectorELNS0_4arch9wavefront6targetE0EEEvSY_.num_named_barrier, 0
	.set _ZN7rocprim17ROCPRIM_400000_NS6detail17trampoline_kernelINS0_13select_configILj256ELj13ELNS0_17block_load_methodE3ELS4_3ELS4_3ELNS0_20block_scan_algorithmE0ELj4294967295EEENS1_25partition_config_selectorILNS1_17partition_subalgoE3EjNS0_10empty_typeEbEEZZNS1_14partition_implILS8_3ELb0ES6_jNS0_17counting_iteratorIjlEEPS9_SE_NS0_5tupleIJPjSE_EEENSF_IJSE_SE_EEES9_SG_JZNS1_25segmented_radix_sort_implINS0_14default_configELb0EPKbPbPKlPlN2at6native12_GLOBAL__N_18offset_tEEE10hipError_tPvRmT1_PNSt15iterator_traitsISY_E10value_typeET2_T3_PNSZ_IS14_E10value_typeET4_jRbjT5_S1A_jjP12ihipStream_tbEUljE_EEESV_SW_SX_S14_S18_S1A_T6_T7_T9_mT8_S1C_bDpT10_ENKUlT_T0_E_clISt17integral_constantIbLb0EES1O_IbLb1EEEEDaS1K_S1L_EUlS1K_E_NS1_11comp_targetILNS1_3genE5ELNS1_11target_archE942ELNS1_3gpuE9ELNS1_3repE0EEENS1_30default_config_static_selectorELNS0_4arch9wavefront6targetE0EEEvSY_.private_seg_size, 0
	.set _ZN7rocprim17ROCPRIM_400000_NS6detail17trampoline_kernelINS0_13select_configILj256ELj13ELNS0_17block_load_methodE3ELS4_3ELS4_3ELNS0_20block_scan_algorithmE0ELj4294967295EEENS1_25partition_config_selectorILNS1_17partition_subalgoE3EjNS0_10empty_typeEbEEZZNS1_14partition_implILS8_3ELb0ES6_jNS0_17counting_iteratorIjlEEPS9_SE_NS0_5tupleIJPjSE_EEENSF_IJSE_SE_EEES9_SG_JZNS1_25segmented_radix_sort_implINS0_14default_configELb0EPKbPbPKlPlN2at6native12_GLOBAL__N_18offset_tEEE10hipError_tPvRmT1_PNSt15iterator_traitsISY_E10value_typeET2_T3_PNSZ_IS14_E10value_typeET4_jRbjT5_S1A_jjP12ihipStream_tbEUljE_EEESV_SW_SX_S14_S18_S1A_T6_T7_T9_mT8_S1C_bDpT10_ENKUlT_T0_E_clISt17integral_constantIbLb0EES1O_IbLb1EEEEDaS1K_S1L_EUlS1K_E_NS1_11comp_targetILNS1_3genE5ELNS1_11target_archE942ELNS1_3gpuE9ELNS1_3repE0EEENS1_30default_config_static_selectorELNS0_4arch9wavefront6targetE0EEEvSY_.uses_vcc, 0
	.set _ZN7rocprim17ROCPRIM_400000_NS6detail17trampoline_kernelINS0_13select_configILj256ELj13ELNS0_17block_load_methodE3ELS4_3ELS4_3ELNS0_20block_scan_algorithmE0ELj4294967295EEENS1_25partition_config_selectorILNS1_17partition_subalgoE3EjNS0_10empty_typeEbEEZZNS1_14partition_implILS8_3ELb0ES6_jNS0_17counting_iteratorIjlEEPS9_SE_NS0_5tupleIJPjSE_EEENSF_IJSE_SE_EEES9_SG_JZNS1_25segmented_radix_sort_implINS0_14default_configELb0EPKbPbPKlPlN2at6native12_GLOBAL__N_18offset_tEEE10hipError_tPvRmT1_PNSt15iterator_traitsISY_E10value_typeET2_T3_PNSZ_IS14_E10value_typeET4_jRbjT5_S1A_jjP12ihipStream_tbEUljE_EEESV_SW_SX_S14_S18_S1A_T6_T7_T9_mT8_S1C_bDpT10_ENKUlT_T0_E_clISt17integral_constantIbLb0EES1O_IbLb1EEEEDaS1K_S1L_EUlS1K_E_NS1_11comp_targetILNS1_3genE5ELNS1_11target_archE942ELNS1_3gpuE9ELNS1_3repE0EEENS1_30default_config_static_selectorELNS0_4arch9wavefront6targetE0EEEvSY_.uses_flat_scratch, 0
	.set _ZN7rocprim17ROCPRIM_400000_NS6detail17trampoline_kernelINS0_13select_configILj256ELj13ELNS0_17block_load_methodE3ELS4_3ELS4_3ELNS0_20block_scan_algorithmE0ELj4294967295EEENS1_25partition_config_selectorILNS1_17partition_subalgoE3EjNS0_10empty_typeEbEEZZNS1_14partition_implILS8_3ELb0ES6_jNS0_17counting_iteratorIjlEEPS9_SE_NS0_5tupleIJPjSE_EEENSF_IJSE_SE_EEES9_SG_JZNS1_25segmented_radix_sort_implINS0_14default_configELb0EPKbPbPKlPlN2at6native12_GLOBAL__N_18offset_tEEE10hipError_tPvRmT1_PNSt15iterator_traitsISY_E10value_typeET2_T3_PNSZ_IS14_E10value_typeET4_jRbjT5_S1A_jjP12ihipStream_tbEUljE_EEESV_SW_SX_S14_S18_S1A_T6_T7_T9_mT8_S1C_bDpT10_ENKUlT_T0_E_clISt17integral_constantIbLb0EES1O_IbLb1EEEEDaS1K_S1L_EUlS1K_E_NS1_11comp_targetILNS1_3genE5ELNS1_11target_archE942ELNS1_3gpuE9ELNS1_3repE0EEENS1_30default_config_static_selectorELNS0_4arch9wavefront6targetE0EEEvSY_.has_dyn_sized_stack, 0
	.set _ZN7rocprim17ROCPRIM_400000_NS6detail17trampoline_kernelINS0_13select_configILj256ELj13ELNS0_17block_load_methodE3ELS4_3ELS4_3ELNS0_20block_scan_algorithmE0ELj4294967295EEENS1_25partition_config_selectorILNS1_17partition_subalgoE3EjNS0_10empty_typeEbEEZZNS1_14partition_implILS8_3ELb0ES6_jNS0_17counting_iteratorIjlEEPS9_SE_NS0_5tupleIJPjSE_EEENSF_IJSE_SE_EEES9_SG_JZNS1_25segmented_radix_sort_implINS0_14default_configELb0EPKbPbPKlPlN2at6native12_GLOBAL__N_18offset_tEEE10hipError_tPvRmT1_PNSt15iterator_traitsISY_E10value_typeET2_T3_PNSZ_IS14_E10value_typeET4_jRbjT5_S1A_jjP12ihipStream_tbEUljE_EEESV_SW_SX_S14_S18_S1A_T6_T7_T9_mT8_S1C_bDpT10_ENKUlT_T0_E_clISt17integral_constantIbLb0EES1O_IbLb1EEEEDaS1K_S1L_EUlS1K_E_NS1_11comp_targetILNS1_3genE5ELNS1_11target_archE942ELNS1_3gpuE9ELNS1_3repE0EEENS1_30default_config_static_selectorELNS0_4arch9wavefront6targetE0EEEvSY_.has_recursion, 0
	.set _ZN7rocprim17ROCPRIM_400000_NS6detail17trampoline_kernelINS0_13select_configILj256ELj13ELNS0_17block_load_methodE3ELS4_3ELS4_3ELNS0_20block_scan_algorithmE0ELj4294967295EEENS1_25partition_config_selectorILNS1_17partition_subalgoE3EjNS0_10empty_typeEbEEZZNS1_14partition_implILS8_3ELb0ES6_jNS0_17counting_iteratorIjlEEPS9_SE_NS0_5tupleIJPjSE_EEENSF_IJSE_SE_EEES9_SG_JZNS1_25segmented_radix_sort_implINS0_14default_configELb0EPKbPbPKlPlN2at6native12_GLOBAL__N_18offset_tEEE10hipError_tPvRmT1_PNSt15iterator_traitsISY_E10value_typeET2_T3_PNSZ_IS14_E10value_typeET4_jRbjT5_S1A_jjP12ihipStream_tbEUljE_EEESV_SW_SX_S14_S18_S1A_T6_T7_T9_mT8_S1C_bDpT10_ENKUlT_T0_E_clISt17integral_constantIbLb0EES1O_IbLb1EEEEDaS1K_S1L_EUlS1K_E_NS1_11comp_targetILNS1_3genE5ELNS1_11target_archE942ELNS1_3gpuE9ELNS1_3repE0EEENS1_30default_config_static_selectorELNS0_4arch9wavefront6targetE0EEEvSY_.has_indirect_call, 0
	.section	.AMDGPU.csdata,"",@progbits
; Kernel info:
; codeLenInByte = 0
; TotalNumSgprs: 0
; NumVgprs: 0
; ScratchSize: 0
; MemoryBound: 0
; FloatMode: 240
; IeeeMode: 1
; LDSByteSize: 0 bytes/workgroup (compile time only)
; SGPRBlocks: 0
; VGPRBlocks: 0
; NumSGPRsForWavesPerEU: 1
; NumVGPRsForWavesPerEU: 1
; Occupancy: 16
; WaveLimiterHint : 0
; COMPUTE_PGM_RSRC2:SCRATCH_EN: 0
; COMPUTE_PGM_RSRC2:USER_SGPR: 6
; COMPUTE_PGM_RSRC2:TRAP_HANDLER: 0
; COMPUTE_PGM_RSRC2:TGID_X_EN: 1
; COMPUTE_PGM_RSRC2:TGID_Y_EN: 0
; COMPUTE_PGM_RSRC2:TGID_Z_EN: 0
; COMPUTE_PGM_RSRC2:TIDIG_COMP_CNT: 0
	.section	.text._ZN7rocprim17ROCPRIM_400000_NS6detail17trampoline_kernelINS0_13select_configILj256ELj13ELNS0_17block_load_methodE3ELS4_3ELS4_3ELNS0_20block_scan_algorithmE0ELj4294967295EEENS1_25partition_config_selectorILNS1_17partition_subalgoE3EjNS0_10empty_typeEbEEZZNS1_14partition_implILS8_3ELb0ES6_jNS0_17counting_iteratorIjlEEPS9_SE_NS0_5tupleIJPjSE_EEENSF_IJSE_SE_EEES9_SG_JZNS1_25segmented_radix_sort_implINS0_14default_configELb0EPKbPbPKlPlN2at6native12_GLOBAL__N_18offset_tEEE10hipError_tPvRmT1_PNSt15iterator_traitsISY_E10value_typeET2_T3_PNSZ_IS14_E10value_typeET4_jRbjT5_S1A_jjP12ihipStream_tbEUljE_EEESV_SW_SX_S14_S18_S1A_T6_T7_T9_mT8_S1C_bDpT10_ENKUlT_T0_E_clISt17integral_constantIbLb0EES1O_IbLb1EEEEDaS1K_S1L_EUlS1K_E_NS1_11comp_targetILNS1_3genE4ELNS1_11target_archE910ELNS1_3gpuE8ELNS1_3repE0EEENS1_30default_config_static_selectorELNS0_4arch9wavefront6targetE0EEEvSY_,"axG",@progbits,_ZN7rocprim17ROCPRIM_400000_NS6detail17trampoline_kernelINS0_13select_configILj256ELj13ELNS0_17block_load_methodE3ELS4_3ELS4_3ELNS0_20block_scan_algorithmE0ELj4294967295EEENS1_25partition_config_selectorILNS1_17partition_subalgoE3EjNS0_10empty_typeEbEEZZNS1_14partition_implILS8_3ELb0ES6_jNS0_17counting_iteratorIjlEEPS9_SE_NS0_5tupleIJPjSE_EEENSF_IJSE_SE_EEES9_SG_JZNS1_25segmented_radix_sort_implINS0_14default_configELb0EPKbPbPKlPlN2at6native12_GLOBAL__N_18offset_tEEE10hipError_tPvRmT1_PNSt15iterator_traitsISY_E10value_typeET2_T3_PNSZ_IS14_E10value_typeET4_jRbjT5_S1A_jjP12ihipStream_tbEUljE_EEESV_SW_SX_S14_S18_S1A_T6_T7_T9_mT8_S1C_bDpT10_ENKUlT_T0_E_clISt17integral_constantIbLb0EES1O_IbLb1EEEEDaS1K_S1L_EUlS1K_E_NS1_11comp_targetILNS1_3genE4ELNS1_11target_archE910ELNS1_3gpuE8ELNS1_3repE0EEENS1_30default_config_static_selectorELNS0_4arch9wavefront6targetE0EEEvSY_,comdat
	.globl	_ZN7rocprim17ROCPRIM_400000_NS6detail17trampoline_kernelINS0_13select_configILj256ELj13ELNS0_17block_load_methodE3ELS4_3ELS4_3ELNS0_20block_scan_algorithmE0ELj4294967295EEENS1_25partition_config_selectorILNS1_17partition_subalgoE3EjNS0_10empty_typeEbEEZZNS1_14partition_implILS8_3ELb0ES6_jNS0_17counting_iteratorIjlEEPS9_SE_NS0_5tupleIJPjSE_EEENSF_IJSE_SE_EEES9_SG_JZNS1_25segmented_radix_sort_implINS0_14default_configELb0EPKbPbPKlPlN2at6native12_GLOBAL__N_18offset_tEEE10hipError_tPvRmT1_PNSt15iterator_traitsISY_E10value_typeET2_T3_PNSZ_IS14_E10value_typeET4_jRbjT5_S1A_jjP12ihipStream_tbEUljE_EEESV_SW_SX_S14_S18_S1A_T6_T7_T9_mT8_S1C_bDpT10_ENKUlT_T0_E_clISt17integral_constantIbLb0EES1O_IbLb1EEEEDaS1K_S1L_EUlS1K_E_NS1_11comp_targetILNS1_3genE4ELNS1_11target_archE910ELNS1_3gpuE8ELNS1_3repE0EEENS1_30default_config_static_selectorELNS0_4arch9wavefront6targetE0EEEvSY_ ; -- Begin function _ZN7rocprim17ROCPRIM_400000_NS6detail17trampoline_kernelINS0_13select_configILj256ELj13ELNS0_17block_load_methodE3ELS4_3ELS4_3ELNS0_20block_scan_algorithmE0ELj4294967295EEENS1_25partition_config_selectorILNS1_17partition_subalgoE3EjNS0_10empty_typeEbEEZZNS1_14partition_implILS8_3ELb0ES6_jNS0_17counting_iteratorIjlEEPS9_SE_NS0_5tupleIJPjSE_EEENSF_IJSE_SE_EEES9_SG_JZNS1_25segmented_radix_sort_implINS0_14default_configELb0EPKbPbPKlPlN2at6native12_GLOBAL__N_18offset_tEEE10hipError_tPvRmT1_PNSt15iterator_traitsISY_E10value_typeET2_T3_PNSZ_IS14_E10value_typeET4_jRbjT5_S1A_jjP12ihipStream_tbEUljE_EEESV_SW_SX_S14_S18_S1A_T6_T7_T9_mT8_S1C_bDpT10_ENKUlT_T0_E_clISt17integral_constantIbLb0EES1O_IbLb1EEEEDaS1K_S1L_EUlS1K_E_NS1_11comp_targetILNS1_3genE4ELNS1_11target_archE910ELNS1_3gpuE8ELNS1_3repE0EEENS1_30default_config_static_selectorELNS0_4arch9wavefront6targetE0EEEvSY_
	.p2align	8
	.type	_ZN7rocprim17ROCPRIM_400000_NS6detail17trampoline_kernelINS0_13select_configILj256ELj13ELNS0_17block_load_methodE3ELS4_3ELS4_3ELNS0_20block_scan_algorithmE0ELj4294967295EEENS1_25partition_config_selectorILNS1_17partition_subalgoE3EjNS0_10empty_typeEbEEZZNS1_14partition_implILS8_3ELb0ES6_jNS0_17counting_iteratorIjlEEPS9_SE_NS0_5tupleIJPjSE_EEENSF_IJSE_SE_EEES9_SG_JZNS1_25segmented_radix_sort_implINS0_14default_configELb0EPKbPbPKlPlN2at6native12_GLOBAL__N_18offset_tEEE10hipError_tPvRmT1_PNSt15iterator_traitsISY_E10value_typeET2_T3_PNSZ_IS14_E10value_typeET4_jRbjT5_S1A_jjP12ihipStream_tbEUljE_EEESV_SW_SX_S14_S18_S1A_T6_T7_T9_mT8_S1C_bDpT10_ENKUlT_T0_E_clISt17integral_constantIbLb0EES1O_IbLb1EEEEDaS1K_S1L_EUlS1K_E_NS1_11comp_targetILNS1_3genE4ELNS1_11target_archE910ELNS1_3gpuE8ELNS1_3repE0EEENS1_30default_config_static_selectorELNS0_4arch9wavefront6targetE0EEEvSY_,@function
_ZN7rocprim17ROCPRIM_400000_NS6detail17trampoline_kernelINS0_13select_configILj256ELj13ELNS0_17block_load_methodE3ELS4_3ELS4_3ELNS0_20block_scan_algorithmE0ELj4294967295EEENS1_25partition_config_selectorILNS1_17partition_subalgoE3EjNS0_10empty_typeEbEEZZNS1_14partition_implILS8_3ELb0ES6_jNS0_17counting_iteratorIjlEEPS9_SE_NS0_5tupleIJPjSE_EEENSF_IJSE_SE_EEES9_SG_JZNS1_25segmented_radix_sort_implINS0_14default_configELb0EPKbPbPKlPlN2at6native12_GLOBAL__N_18offset_tEEE10hipError_tPvRmT1_PNSt15iterator_traitsISY_E10value_typeET2_T3_PNSZ_IS14_E10value_typeET4_jRbjT5_S1A_jjP12ihipStream_tbEUljE_EEESV_SW_SX_S14_S18_S1A_T6_T7_T9_mT8_S1C_bDpT10_ENKUlT_T0_E_clISt17integral_constantIbLb0EES1O_IbLb1EEEEDaS1K_S1L_EUlS1K_E_NS1_11comp_targetILNS1_3genE4ELNS1_11target_archE910ELNS1_3gpuE8ELNS1_3repE0EEENS1_30default_config_static_selectorELNS0_4arch9wavefront6targetE0EEEvSY_: ; @_ZN7rocprim17ROCPRIM_400000_NS6detail17trampoline_kernelINS0_13select_configILj256ELj13ELNS0_17block_load_methodE3ELS4_3ELS4_3ELNS0_20block_scan_algorithmE0ELj4294967295EEENS1_25partition_config_selectorILNS1_17partition_subalgoE3EjNS0_10empty_typeEbEEZZNS1_14partition_implILS8_3ELb0ES6_jNS0_17counting_iteratorIjlEEPS9_SE_NS0_5tupleIJPjSE_EEENSF_IJSE_SE_EEES9_SG_JZNS1_25segmented_radix_sort_implINS0_14default_configELb0EPKbPbPKlPlN2at6native12_GLOBAL__N_18offset_tEEE10hipError_tPvRmT1_PNSt15iterator_traitsISY_E10value_typeET2_T3_PNSZ_IS14_E10value_typeET4_jRbjT5_S1A_jjP12ihipStream_tbEUljE_EEESV_SW_SX_S14_S18_S1A_T6_T7_T9_mT8_S1C_bDpT10_ENKUlT_T0_E_clISt17integral_constantIbLb0EES1O_IbLb1EEEEDaS1K_S1L_EUlS1K_E_NS1_11comp_targetILNS1_3genE4ELNS1_11target_archE910ELNS1_3gpuE8ELNS1_3repE0EEENS1_30default_config_static_selectorELNS0_4arch9wavefront6targetE0EEEvSY_
; %bb.0:
	.section	.rodata,"a",@progbits
	.p2align	6, 0x0
	.amdhsa_kernel _ZN7rocprim17ROCPRIM_400000_NS6detail17trampoline_kernelINS0_13select_configILj256ELj13ELNS0_17block_load_methodE3ELS4_3ELS4_3ELNS0_20block_scan_algorithmE0ELj4294967295EEENS1_25partition_config_selectorILNS1_17partition_subalgoE3EjNS0_10empty_typeEbEEZZNS1_14partition_implILS8_3ELb0ES6_jNS0_17counting_iteratorIjlEEPS9_SE_NS0_5tupleIJPjSE_EEENSF_IJSE_SE_EEES9_SG_JZNS1_25segmented_radix_sort_implINS0_14default_configELb0EPKbPbPKlPlN2at6native12_GLOBAL__N_18offset_tEEE10hipError_tPvRmT1_PNSt15iterator_traitsISY_E10value_typeET2_T3_PNSZ_IS14_E10value_typeET4_jRbjT5_S1A_jjP12ihipStream_tbEUljE_EEESV_SW_SX_S14_S18_S1A_T6_T7_T9_mT8_S1C_bDpT10_ENKUlT_T0_E_clISt17integral_constantIbLb0EES1O_IbLb1EEEEDaS1K_S1L_EUlS1K_E_NS1_11comp_targetILNS1_3genE4ELNS1_11target_archE910ELNS1_3gpuE8ELNS1_3repE0EEENS1_30default_config_static_selectorELNS0_4arch9wavefront6targetE0EEEvSY_
		.amdhsa_group_segment_fixed_size 0
		.amdhsa_private_segment_fixed_size 0
		.amdhsa_kernarg_size 152
		.amdhsa_user_sgpr_count 6
		.amdhsa_user_sgpr_private_segment_buffer 1
		.amdhsa_user_sgpr_dispatch_ptr 0
		.amdhsa_user_sgpr_queue_ptr 0
		.amdhsa_user_sgpr_kernarg_segment_ptr 1
		.amdhsa_user_sgpr_dispatch_id 0
		.amdhsa_user_sgpr_flat_scratch_init 0
		.amdhsa_user_sgpr_private_segment_size 0
		.amdhsa_wavefront_size32 1
		.amdhsa_uses_dynamic_stack 0
		.amdhsa_system_sgpr_private_segment_wavefront_offset 0
		.amdhsa_system_sgpr_workgroup_id_x 1
		.amdhsa_system_sgpr_workgroup_id_y 0
		.amdhsa_system_sgpr_workgroup_id_z 0
		.amdhsa_system_sgpr_workgroup_info 0
		.amdhsa_system_vgpr_workitem_id 0
		.amdhsa_next_free_vgpr 1
		.amdhsa_next_free_sgpr 1
		.amdhsa_reserve_vcc 0
		.amdhsa_reserve_flat_scratch 0
		.amdhsa_float_round_mode_32 0
		.amdhsa_float_round_mode_16_64 0
		.amdhsa_float_denorm_mode_32 3
		.amdhsa_float_denorm_mode_16_64 3
		.amdhsa_dx10_clamp 1
		.amdhsa_ieee_mode 1
		.amdhsa_fp16_overflow 0
		.amdhsa_workgroup_processor_mode 1
		.amdhsa_memory_ordered 1
		.amdhsa_forward_progress 1
		.amdhsa_shared_vgpr_count 0
		.amdhsa_exception_fp_ieee_invalid_op 0
		.amdhsa_exception_fp_denorm_src 0
		.amdhsa_exception_fp_ieee_div_zero 0
		.amdhsa_exception_fp_ieee_overflow 0
		.amdhsa_exception_fp_ieee_underflow 0
		.amdhsa_exception_fp_ieee_inexact 0
		.amdhsa_exception_int_div_zero 0
	.end_amdhsa_kernel
	.section	.text._ZN7rocprim17ROCPRIM_400000_NS6detail17trampoline_kernelINS0_13select_configILj256ELj13ELNS0_17block_load_methodE3ELS4_3ELS4_3ELNS0_20block_scan_algorithmE0ELj4294967295EEENS1_25partition_config_selectorILNS1_17partition_subalgoE3EjNS0_10empty_typeEbEEZZNS1_14partition_implILS8_3ELb0ES6_jNS0_17counting_iteratorIjlEEPS9_SE_NS0_5tupleIJPjSE_EEENSF_IJSE_SE_EEES9_SG_JZNS1_25segmented_radix_sort_implINS0_14default_configELb0EPKbPbPKlPlN2at6native12_GLOBAL__N_18offset_tEEE10hipError_tPvRmT1_PNSt15iterator_traitsISY_E10value_typeET2_T3_PNSZ_IS14_E10value_typeET4_jRbjT5_S1A_jjP12ihipStream_tbEUljE_EEESV_SW_SX_S14_S18_S1A_T6_T7_T9_mT8_S1C_bDpT10_ENKUlT_T0_E_clISt17integral_constantIbLb0EES1O_IbLb1EEEEDaS1K_S1L_EUlS1K_E_NS1_11comp_targetILNS1_3genE4ELNS1_11target_archE910ELNS1_3gpuE8ELNS1_3repE0EEENS1_30default_config_static_selectorELNS0_4arch9wavefront6targetE0EEEvSY_,"axG",@progbits,_ZN7rocprim17ROCPRIM_400000_NS6detail17trampoline_kernelINS0_13select_configILj256ELj13ELNS0_17block_load_methodE3ELS4_3ELS4_3ELNS0_20block_scan_algorithmE0ELj4294967295EEENS1_25partition_config_selectorILNS1_17partition_subalgoE3EjNS0_10empty_typeEbEEZZNS1_14partition_implILS8_3ELb0ES6_jNS0_17counting_iteratorIjlEEPS9_SE_NS0_5tupleIJPjSE_EEENSF_IJSE_SE_EEES9_SG_JZNS1_25segmented_radix_sort_implINS0_14default_configELb0EPKbPbPKlPlN2at6native12_GLOBAL__N_18offset_tEEE10hipError_tPvRmT1_PNSt15iterator_traitsISY_E10value_typeET2_T3_PNSZ_IS14_E10value_typeET4_jRbjT5_S1A_jjP12ihipStream_tbEUljE_EEESV_SW_SX_S14_S18_S1A_T6_T7_T9_mT8_S1C_bDpT10_ENKUlT_T0_E_clISt17integral_constantIbLb0EES1O_IbLb1EEEEDaS1K_S1L_EUlS1K_E_NS1_11comp_targetILNS1_3genE4ELNS1_11target_archE910ELNS1_3gpuE8ELNS1_3repE0EEENS1_30default_config_static_selectorELNS0_4arch9wavefront6targetE0EEEvSY_,comdat
.Lfunc_end1620:
	.size	_ZN7rocprim17ROCPRIM_400000_NS6detail17trampoline_kernelINS0_13select_configILj256ELj13ELNS0_17block_load_methodE3ELS4_3ELS4_3ELNS0_20block_scan_algorithmE0ELj4294967295EEENS1_25partition_config_selectorILNS1_17partition_subalgoE3EjNS0_10empty_typeEbEEZZNS1_14partition_implILS8_3ELb0ES6_jNS0_17counting_iteratorIjlEEPS9_SE_NS0_5tupleIJPjSE_EEENSF_IJSE_SE_EEES9_SG_JZNS1_25segmented_radix_sort_implINS0_14default_configELb0EPKbPbPKlPlN2at6native12_GLOBAL__N_18offset_tEEE10hipError_tPvRmT1_PNSt15iterator_traitsISY_E10value_typeET2_T3_PNSZ_IS14_E10value_typeET4_jRbjT5_S1A_jjP12ihipStream_tbEUljE_EEESV_SW_SX_S14_S18_S1A_T6_T7_T9_mT8_S1C_bDpT10_ENKUlT_T0_E_clISt17integral_constantIbLb0EES1O_IbLb1EEEEDaS1K_S1L_EUlS1K_E_NS1_11comp_targetILNS1_3genE4ELNS1_11target_archE910ELNS1_3gpuE8ELNS1_3repE0EEENS1_30default_config_static_selectorELNS0_4arch9wavefront6targetE0EEEvSY_, .Lfunc_end1620-_ZN7rocprim17ROCPRIM_400000_NS6detail17trampoline_kernelINS0_13select_configILj256ELj13ELNS0_17block_load_methodE3ELS4_3ELS4_3ELNS0_20block_scan_algorithmE0ELj4294967295EEENS1_25partition_config_selectorILNS1_17partition_subalgoE3EjNS0_10empty_typeEbEEZZNS1_14partition_implILS8_3ELb0ES6_jNS0_17counting_iteratorIjlEEPS9_SE_NS0_5tupleIJPjSE_EEENSF_IJSE_SE_EEES9_SG_JZNS1_25segmented_radix_sort_implINS0_14default_configELb0EPKbPbPKlPlN2at6native12_GLOBAL__N_18offset_tEEE10hipError_tPvRmT1_PNSt15iterator_traitsISY_E10value_typeET2_T3_PNSZ_IS14_E10value_typeET4_jRbjT5_S1A_jjP12ihipStream_tbEUljE_EEESV_SW_SX_S14_S18_S1A_T6_T7_T9_mT8_S1C_bDpT10_ENKUlT_T0_E_clISt17integral_constantIbLb0EES1O_IbLb1EEEEDaS1K_S1L_EUlS1K_E_NS1_11comp_targetILNS1_3genE4ELNS1_11target_archE910ELNS1_3gpuE8ELNS1_3repE0EEENS1_30default_config_static_selectorELNS0_4arch9wavefront6targetE0EEEvSY_
                                        ; -- End function
	.set _ZN7rocprim17ROCPRIM_400000_NS6detail17trampoline_kernelINS0_13select_configILj256ELj13ELNS0_17block_load_methodE3ELS4_3ELS4_3ELNS0_20block_scan_algorithmE0ELj4294967295EEENS1_25partition_config_selectorILNS1_17partition_subalgoE3EjNS0_10empty_typeEbEEZZNS1_14partition_implILS8_3ELb0ES6_jNS0_17counting_iteratorIjlEEPS9_SE_NS0_5tupleIJPjSE_EEENSF_IJSE_SE_EEES9_SG_JZNS1_25segmented_radix_sort_implINS0_14default_configELb0EPKbPbPKlPlN2at6native12_GLOBAL__N_18offset_tEEE10hipError_tPvRmT1_PNSt15iterator_traitsISY_E10value_typeET2_T3_PNSZ_IS14_E10value_typeET4_jRbjT5_S1A_jjP12ihipStream_tbEUljE_EEESV_SW_SX_S14_S18_S1A_T6_T7_T9_mT8_S1C_bDpT10_ENKUlT_T0_E_clISt17integral_constantIbLb0EES1O_IbLb1EEEEDaS1K_S1L_EUlS1K_E_NS1_11comp_targetILNS1_3genE4ELNS1_11target_archE910ELNS1_3gpuE8ELNS1_3repE0EEENS1_30default_config_static_selectorELNS0_4arch9wavefront6targetE0EEEvSY_.num_vgpr, 0
	.set _ZN7rocprim17ROCPRIM_400000_NS6detail17trampoline_kernelINS0_13select_configILj256ELj13ELNS0_17block_load_methodE3ELS4_3ELS4_3ELNS0_20block_scan_algorithmE0ELj4294967295EEENS1_25partition_config_selectorILNS1_17partition_subalgoE3EjNS0_10empty_typeEbEEZZNS1_14partition_implILS8_3ELb0ES6_jNS0_17counting_iteratorIjlEEPS9_SE_NS0_5tupleIJPjSE_EEENSF_IJSE_SE_EEES9_SG_JZNS1_25segmented_radix_sort_implINS0_14default_configELb0EPKbPbPKlPlN2at6native12_GLOBAL__N_18offset_tEEE10hipError_tPvRmT1_PNSt15iterator_traitsISY_E10value_typeET2_T3_PNSZ_IS14_E10value_typeET4_jRbjT5_S1A_jjP12ihipStream_tbEUljE_EEESV_SW_SX_S14_S18_S1A_T6_T7_T9_mT8_S1C_bDpT10_ENKUlT_T0_E_clISt17integral_constantIbLb0EES1O_IbLb1EEEEDaS1K_S1L_EUlS1K_E_NS1_11comp_targetILNS1_3genE4ELNS1_11target_archE910ELNS1_3gpuE8ELNS1_3repE0EEENS1_30default_config_static_selectorELNS0_4arch9wavefront6targetE0EEEvSY_.num_agpr, 0
	.set _ZN7rocprim17ROCPRIM_400000_NS6detail17trampoline_kernelINS0_13select_configILj256ELj13ELNS0_17block_load_methodE3ELS4_3ELS4_3ELNS0_20block_scan_algorithmE0ELj4294967295EEENS1_25partition_config_selectorILNS1_17partition_subalgoE3EjNS0_10empty_typeEbEEZZNS1_14partition_implILS8_3ELb0ES6_jNS0_17counting_iteratorIjlEEPS9_SE_NS0_5tupleIJPjSE_EEENSF_IJSE_SE_EEES9_SG_JZNS1_25segmented_radix_sort_implINS0_14default_configELb0EPKbPbPKlPlN2at6native12_GLOBAL__N_18offset_tEEE10hipError_tPvRmT1_PNSt15iterator_traitsISY_E10value_typeET2_T3_PNSZ_IS14_E10value_typeET4_jRbjT5_S1A_jjP12ihipStream_tbEUljE_EEESV_SW_SX_S14_S18_S1A_T6_T7_T9_mT8_S1C_bDpT10_ENKUlT_T0_E_clISt17integral_constantIbLb0EES1O_IbLb1EEEEDaS1K_S1L_EUlS1K_E_NS1_11comp_targetILNS1_3genE4ELNS1_11target_archE910ELNS1_3gpuE8ELNS1_3repE0EEENS1_30default_config_static_selectorELNS0_4arch9wavefront6targetE0EEEvSY_.numbered_sgpr, 0
	.set _ZN7rocprim17ROCPRIM_400000_NS6detail17trampoline_kernelINS0_13select_configILj256ELj13ELNS0_17block_load_methodE3ELS4_3ELS4_3ELNS0_20block_scan_algorithmE0ELj4294967295EEENS1_25partition_config_selectorILNS1_17partition_subalgoE3EjNS0_10empty_typeEbEEZZNS1_14partition_implILS8_3ELb0ES6_jNS0_17counting_iteratorIjlEEPS9_SE_NS0_5tupleIJPjSE_EEENSF_IJSE_SE_EEES9_SG_JZNS1_25segmented_radix_sort_implINS0_14default_configELb0EPKbPbPKlPlN2at6native12_GLOBAL__N_18offset_tEEE10hipError_tPvRmT1_PNSt15iterator_traitsISY_E10value_typeET2_T3_PNSZ_IS14_E10value_typeET4_jRbjT5_S1A_jjP12ihipStream_tbEUljE_EEESV_SW_SX_S14_S18_S1A_T6_T7_T9_mT8_S1C_bDpT10_ENKUlT_T0_E_clISt17integral_constantIbLb0EES1O_IbLb1EEEEDaS1K_S1L_EUlS1K_E_NS1_11comp_targetILNS1_3genE4ELNS1_11target_archE910ELNS1_3gpuE8ELNS1_3repE0EEENS1_30default_config_static_selectorELNS0_4arch9wavefront6targetE0EEEvSY_.num_named_barrier, 0
	.set _ZN7rocprim17ROCPRIM_400000_NS6detail17trampoline_kernelINS0_13select_configILj256ELj13ELNS0_17block_load_methodE3ELS4_3ELS4_3ELNS0_20block_scan_algorithmE0ELj4294967295EEENS1_25partition_config_selectorILNS1_17partition_subalgoE3EjNS0_10empty_typeEbEEZZNS1_14partition_implILS8_3ELb0ES6_jNS0_17counting_iteratorIjlEEPS9_SE_NS0_5tupleIJPjSE_EEENSF_IJSE_SE_EEES9_SG_JZNS1_25segmented_radix_sort_implINS0_14default_configELb0EPKbPbPKlPlN2at6native12_GLOBAL__N_18offset_tEEE10hipError_tPvRmT1_PNSt15iterator_traitsISY_E10value_typeET2_T3_PNSZ_IS14_E10value_typeET4_jRbjT5_S1A_jjP12ihipStream_tbEUljE_EEESV_SW_SX_S14_S18_S1A_T6_T7_T9_mT8_S1C_bDpT10_ENKUlT_T0_E_clISt17integral_constantIbLb0EES1O_IbLb1EEEEDaS1K_S1L_EUlS1K_E_NS1_11comp_targetILNS1_3genE4ELNS1_11target_archE910ELNS1_3gpuE8ELNS1_3repE0EEENS1_30default_config_static_selectorELNS0_4arch9wavefront6targetE0EEEvSY_.private_seg_size, 0
	.set _ZN7rocprim17ROCPRIM_400000_NS6detail17trampoline_kernelINS0_13select_configILj256ELj13ELNS0_17block_load_methodE3ELS4_3ELS4_3ELNS0_20block_scan_algorithmE0ELj4294967295EEENS1_25partition_config_selectorILNS1_17partition_subalgoE3EjNS0_10empty_typeEbEEZZNS1_14partition_implILS8_3ELb0ES6_jNS0_17counting_iteratorIjlEEPS9_SE_NS0_5tupleIJPjSE_EEENSF_IJSE_SE_EEES9_SG_JZNS1_25segmented_radix_sort_implINS0_14default_configELb0EPKbPbPKlPlN2at6native12_GLOBAL__N_18offset_tEEE10hipError_tPvRmT1_PNSt15iterator_traitsISY_E10value_typeET2_T3_PNSZ_IS14_E10value_typeET4_jRbjT5_S1A_jjP12ihipStream_tbEUljE_EEESV_SW_SX_S14_S18_S1A_T6_T7_T9_mT8_S1C_bDpT10_ENKUlT_T0_E_clISt17integral_constantIbLb0EES1O_IbLb1EEEEDaS1K_S1L_EUlS1K_E_NS1_11comp_targetILNS1_3genE4ELNS1_11target_archE910ELNS1_3gpuE8ELNS1_3repE0EEENS1_30default_config_static_selectorELNS0_4arch9wavefront6targetE0EEEvSY_.uses_vcc, 0
	.set _ZN7rocprim17ROCPRIM_400000_NS6detail17trampoline_kernelINS0_13select_configILj256ELj13ELNS0_17block_load_methodE3ELS4_3ELS4_3ELNS0_20block_scan_algorithmE0ELj4294967295EEENS1_25partition_config_selectorILNS1_17partition_subalgoE3EjNS0_10empty_typeEbEEZZNS1_14partition_implILS8_3ELb0ES6_jNS0_17counting_iteratorIjlEEPS9_SE_NS0_5tupleIJPjSE_EEENSF_IJSE_SE_EEES9_SG_JZNS1_25segmented_radix_sort_implINS0_14default_configELb0EPKbPbPKlPlN2at6native12_GLOBAL__N_18offset_tEEE10hipError_tPvRmT1_PNSt15iterator_traitsISY_E10value_typeET2_T3_PNSZ_IS14_E10value_typeET4_jRbjT5_S1A_jjP12ihipStream_tbEUljE_EEESV_SW_SX_S14_S18_S1A_T6_T7_T9_mT8_S1C_bDpT10_ENKUlT_T0_E_clISt17integral_constantIbLb0EES1O_IbLb1EEEEDaS1K_S1L_EUlS1K_E_NS1_11comp_targetILNS1_3genE4ELNS1_11target_archE910ELNS1_3gpuE8ELNS1_3repE0EEENS1_30default_config_static_selectorELNS0_4arch9wavefront6targetE0EEEvSY_.uses_flat_scratch, 0
	.set _ZN7rocprim17ROCPRIM_400000_NS6detail17trampoline_kernelINS0_13select_configILj256ELj13ELNS0_17block_load_methodE3ELS4_3ELS4_3ELNS0_20block_scan_algorithmE0ELj4294967295EEENS1_25partition_config_selectorILNS1_17partition_subalgoE3EjNS0_10empty_typeEbEEZZNS1_14partition_implILS8_3ELb0ES6_jNS0_17counting_iteratorIjlEEPS9_SE_NS0_5tupleIJPjSE_EEENSF_IJSE_SE_EEES9_SG_JZNS1_25segmented_radix_sort_implINS0_14default_configELb0EPKbPbPKlPlN2at6native12_GLOBAL__N_18offset_tEEE10hipError_tPvRmT1_PNSt15iterator_traitsISY_E10value_typeET2_T3_PNSZ_IS14_E10value_typeET4_jRbjT5_S1A_jjP12ihipStream_tbEUljE_EEESV_SW_SX_S14_S18_S1A_T6_T7_T9_mT8_S1C_bDpT10_ENKUlT_T0_E_clISt17integral_constantIbLb0EES1O_IbLb1EEEEDaS1K_S1L_EUlS1K_E_NS1_11comp_targetILNS1_3genE4ELNS1_11target_archE910ELNS1_3gpuE8ELNS1_3repE0EEENS1_30default_config_static_selectorELNS0_4arch9wavefront6targetE0EEEvSY_.has_dyn_sized_stack, 0
	.set _ZN7rocprim17ROCPRIM_400000_NS6detail17trampoline_kernelINS0_13select_configILj256ELj13ELNS0_17block_load_methodE3ELS4_3ELS4_3ELNS0_20block_scan_algorithmE0ELj4294967295EEENS1_25partition_config_selectorILNS1_17partition_subalgoE3EjNS0_10empty_typeEbEEZZNS1_14partition_implILS8_3ELb0ES6_jNS0_17counting_iteratorIjlEEPS9_SE_NS0_5tupleIJPjSE_EEENSF_IJSE_SE_EEES9_SG_JZNS1_25segmented_radix_sort_implINS0_14default_configELb0EPKbPbPKlPlN2at6native12_GLOBAL__N_18offset_tEEE10hipError_tPvRmT1_PNSt15iterator_traitsISY_E10value_typeET2_T3_PNSZ_IS14_E10value_typeET4_jRbjT5_S1A_jjP12ihipStream_tbEUljE_EEESV_SW_SX_S14_S18_S1A_T6_T7_T9_mT8_S1C_bDpT10_ENKUlT_T0_E_clISt17integral_constantIbLb0EES1O_IbLb1EEEEDaS1K_S1L_EUlS1K_E_NS1_11comp_targetILNS1_3genE4ELNS1_11target_archE910ELNS1_3gpuE8ELNS1_3repE0EEENS1_30default_config_static_selectorELNS0_4arch9wavefront6targetE0EEEvSY_.has_recursion, 0
	.set _ZN7rocprim17ROCPRIM_400000_NS6detail17trampoline_kernelINS0_13select_configILj256ELj13ELNS0_17block_load_methodE3ELS4_3ELS4_3ELNS0_20block_scan_algorithmE0ELj4294967295EEENS1_25partition_config_selectorILNS1_17partition_subalgoE3EjNS0_10empty_typeEbEEZZNS1_14partition_implILS8_3ELb0ES6_jNS0_17counting_iteratorIjlEEPS9_SE_NS0_5tupleIJPjSE_EEENSF_IJSE_SE_EEES9_SG_JZNS1_25segmented_radix_sort_implINS0_14default_configELb0EPKbPbPKlPlN2at6native12_GLOBAL__N_18offset_tEEE10hipError_tPvRmT1_PNSt15iterator_traitsISY_E10value_typeET2_T3_PNSZ_IS14_E10value_typeET4_jRbjT5_S1A_jjP12ihipStream_tbEUljE_EEESV_SW_SX_S14_S18_S1A_T6_T7_T9_mT8_S1C_bDpT10_ENKUlT_T0_E_clISt17integral_constantIbLb0EES1O_IbLb1EEEEDaS1K_S1L_EUlS1K_E_NS1_11comp_targetILNS1_3genE4ELNS1_11target_archE910ELNS1_3gpuE8ELNS1_3repE0EEENS1_30default_config_static_selectorELNS0_4arch9wavefront6targetE0EEEvSY_.has_indirect_call, 0
	.section	.AMDGPU.csdata,"",@progbits
; Kernel info:
; codeLenInByte = 0
; TotalNumSgprs: 0
; NumVgprs: 0
; ScratchSize: 0
; MemoryBound: 0
; FloatMode: 240
; IeeeMode: 1
; LDSByteSize: 0 bytes/workgroup (compile time only)
; SGPRBlocks: 0
; VGPRBlocks: 0
; NumSGPRsForWavesPerEU: 1
; NumVGPRsForWavesPerEU: 1
; Occupancy: 16
; WaveLimiterHint : 0
; COMPUTE_PGM_RSRC2:SCRATCH_EN: 0
; COMPUTE_PGM_RSRC2:USER_SGPR: 6
; COMPUTE_PGM_RSRC2:TRAP_HANDLER: 0
; COMPUTE_PGM_RSRC2:TGID_X_EN: 1
; COMPUTE_PGM_RSRC2:TGID_Y_EN: 0
; COMPUTE_PGM_RSRC2:TGID_Z_EN: 0
; COMPUTE_PGM_RSRC2:TIDIG_COMP_CNT: 0
	.section	.text._ZN7rocprim17ROCPRIM_400000_NS6detail17trampoline_kernelINS0_13select_configILj256ELj13ELNS0_17block_load_methodE3ELS4_3ELS4_3ELNS0_20block_scan_algorithmE0ELj4294967295EEENS1_25partition_config_selectorILNS1_17partition_subalgoE3EjNS0_10empty_typeEbEEZZNS1_14partition_implILS8_3ELb0ES6_jNS0_17counting_iteratorIjlEEPS9_SE_NS0_5tupleIJPjSE_EEENSF_IJSE_SE_EEES9_SG_JZNS1_25segmented_radix_sort_implINS0_14default_configELb0EPKbPbPKlPlN2at6native12_GLOBAL__N_18offset_tEEE10hipError_tPvRmT1_PNSt15iterator_traitsISY_E10value_typeET2_T3_PNSZ_IS14_E10value_typeET4_jRbjT5_S1A_jjP12ihipStream_tbEUljE_EEESV_SW_SX_S14_S18_S1A_T6_T7_T9_mT8_S1C_bDpT10_ENKUlT_T0_E_clISt17integral_constantIbLb0EES1O_IbLb1EEEEDaS1K_S1L_EUlS1K_E_NS1_11comp_targetILNS1_3genE3ELNS1_11target_archE908ELNS1_3gpuE7ELNS1_3repE0EEENS1_30default_config_static_selectorELNS0_4arch9wavefront6targetE0EEEvSY_,"axG",@progbits,_ZN7rocprim17ROCPRIM_400000_NS6detail17trampoline_kernelINS0_13select_configILj256ELj13ELNS0_17block_load_methodE3ELS4_3ELS4_3ELNS0_20block_scan_algorithmE0ELj4294967295EEENS1_25partition_config_selectorILNS1_17partition_subalgoE3EjNS0_10empty_typeEbEEZZNS1_14partition_implILS8_3ELb0ES6_jNS0_17counting_iteratorIjlEEPS9_SE_NS0_5tupleIJPjSE_EEENSF_IJSE_SE_EEES9_SG_JZNS1_25segmented_radix_sort_implINS0_14default_configELb0EPKbPbPKlPlN2at6native12_GLOBAL__N_18offset_tEEE10hipError_tPvRmT1_PNSt15iterator_traitsISY_E10value_typeET2_T3_PNSZ_IS14_E10value_typeET4_jRbjT5_S1A_jjP12ihipStream_tbEUljE_EEESV_SW_SX_S14_S18_S1A_T6_T7_T9_mT8_S1C_bDpT10_ENKUlT_T0_E_clISt17integral_constantIbLb0EES1O_IbLb1EEEEDaS1K_S1L_EUlS1K_E_NS1_11comp_targetILNS1_3genE3ELNS1_11target_archE908ELNS1_3gpuE7ELNS1_3repE0EEENS1_30default_config_static_selectorELNS0_4arch9wavefront6targetE0EEEvSY_,comdat
	.globl	_ZN7rocprim17ROCPRIM_400000_NS6detail17trampoline_kernelINS0_13select_configILj256ELj13ELNS0_17block_load_methodE3ELS4_3ELS4_3ELNS0_20block_scan_algorithmE0ELj4294967295EEENS1_25partition_config_selectorILNS1_17partition_subalgoE3EjNS0_10empty_typeEbEEZZNS1_14partition_implILS8_3ELb0ES6_jNS0_17counting_iteratorIjlEEPS9_SE_NS0_5tupleIJPjSE_EEENSF_IJSE_SE_EEES9_SG_JZNS1_25segmented_radix_sort_implINS0_14default_configELb0EPKbPbPKlPlN2at6native12_GLOBAL__N_18offset_tEEE10hipError_tPvRmT1_PNSt15iterator_traitsISY_E10value_typeET2_T3_PNSZ_IS14_E10value_typeET4_jRbjT5_S1A_jjP12ihipStream_tbEUljE_EEESV_SW_SX_S14_S18_S1A_T6_T7_T9_mT8_S1C_bDpT10_ENKUlT_T0_E_clISt17integral_constantIbLb0EES1O_IbLb1EEEEDaS1K_S1L_EUlS1K_E_NS1_11comp_targetILNS1_3genE3ELNS1_11target_archE908ELNS1_3gpuE7ELNS1_3repE0EEENS1_30default_config_static_selectorELNS0_4arch9wavefront6targetE0EEEvSY_ ; -- Begin function _ZN7rocprim17ROCPRIM_400000_NS6detail17trampoline_kernelINS0_13select_configILj256ELj13ELNS0_17block_load_methodE3ELS4_3ELS4_3ELNS0_20block_scan_algorithmE0ELj4294967295EEENS1_25partition_config_selectorILNS1_17partition_subalgoE3EjNS0_10empty_typeEbEEZZNS1_14partition_implILS8_3ELb0ES6_jNS0_17counting_iteratorIjlEEPS9_SE_NS0_5tupleIJPjSE_EEENSF_IJSE_SE_EEES9_SG_JZNS1_25segmented_radix_sort_implINS0_14default_configELb0EPKbPbPKlPlN2at6native12_GLOBAL__N_18offset_tEEE10hipError_tPvRmT1_PNSt15iterator_traitsISY_E10value_typeET2_T3_PNSZ_IS14_E10value_typeET4_jRbjT5_S1A_jjP12ihipStream_tbEUljE_EEESV_SW_SX_S14_S18_S1A_T6_T7_T9_mT8_S1C_bDpT10_ENKUlT_T0_E_clISt17integral_constantIbLb0EES1O_IbLb1EEEEDaS1K_S1L_EUlS1K_E_NS1_11comp_targetILNS1_3genE3ELNS1_11target_archE908ELNS1_3gpuE7ELNS1_3repE0EEENS1_30default_config_static_selectorELNS0_4arch9wavefront6targetE0EEEvSY_
	.p2align	8
	.type	_ZN7rocprim17ROCPRIM_400000_NS6detail17trampoline_kernelINS0_13select_configILj256ELj13ELNS0_17block_load_methodE3ELS4_3ELS4_3ELNS0_20block_scan_algorithmE0ELj4294967295EEENS1_25partition_config_selectorILNS1_17partition_subalgoE3EjNS0_10empty_typeEbEEZZNS1_14partition_implILS8_3ELb0ES6_jNS0_17counting_iteratorIjlEEPS9_SE_NS0_5tupleIJPjSE_EEENSF_IJSE_SE_EEES9_SG_JZNS1_25segmented_radix_sort_implINS0_14default_configELb0EPKbPbPKlPlN2at6native12_GLOBAL__N_18offset_tEEE10hipError_tPvRmT1_PNSt15iterator_traitsISY_E10value_typeET2_T3_PNSZ_IS14_E10value_typeET4_jRbjT5_S1A_jjP12ihipStream_tbEUljE_EEESV_SW_SX_S14_S18_S1A_T6_T7_T9_mT8_S1C_bDpT10_ENKUlT_T0_E_clISt17integral_constantIbLb0EES1O_IbLb1EEEEDaS1K_S1L_EUlS1K_E_NS1_11comp_targetILNS1_3genE3ELNS1_11target_archE908ELNS1_3gpuE7ELNS1_3repE0EEENS1_30default_config_static_selectorELNS0_4arch9wavefront6targetE0EEEvSY_,@function
_ZN7rocprim17ROCPRIM_400000_NS6detail17trampoline_kernelINS0_13select_configILj256ELj13ELNS0_17block_load_methodE3ELS4_3ELS4_3ELNS0_20block_scan_algorithmE0ELj4294967295EEENS1_25partition_config_selectorILNS1_17partition_subalgoE3EjNS0_10empty_typeEbEEZZNS1_14partition_implILS8_3ELb0ES6_jNS0_17counting_iteratorIjlEEPS9_SE_NS0_5tupleIJPjSE_EEENSF_IJSE_SE_EEES9_SG_JZNS1_25segmented_radix_sort_implINS0_14default_configELb0EPKbPbPKlPlN2at6native12_GLOBAL__N_18offset_tEEE10hipError_tPvRmT1_PNSt15iterator_traitsISY_E10value_typeET2_T3_PNSZ_IS14_E10value_typeET4_jRbjT5_S1A_jjP12ihipStream_tbEUljE_EEESV_SW_SX_S14_S18_S1A_T6_T7_T9_mT8_S1C_bDpT10_ENKUlT_T0_E_clISt17integral_constantIbLb0EES1O_IbLb1EEEEDaS1K_S1L_EUlS1K_E_NS1_11comp_targetILNS1_3genE3ELNS1_11target_archE908ELNS1_3gpuE7ELNS1_3repE0EEENS1_30default_config_static_selectorELNS0_4arch9wavefront6targetE0EEEvSY_: ; @_ZN7rocprim17ROCPRIM_400000_NS6detail17trampoline_kernelINS0_13select_configILj256ELj13ELNS0_17block_load_methodE3ELS4_3ELS4_3ELNS0_20block_scan_algorithmE0ELj4294967295EEENS1_25partition_config_selectorILNS1_17partition_subalgoE3EjNS0_10empty_typeEbEEZZNS1_14partition_implILS8_3ELb0ES6_jNS0_17counting_iteratorIjlEEPS9_SE_NS0_5tupleIJPjSE_EEENSF_IJSE_SE_EEES9_SG_JZNS1_25segmented_radix_sort_implINS0_14default_configELb0EPKbPbPKlPlN2at6native12_GLOBAL__N_18offset_tEEE10hipError_tPvRmT1_PNSt15iterator_traitsISY_E10value_typeET2_T3_PNSZ_IS14_E10value_typeET4_jRbjT5_S1A_jjP12ihipStream_tbEUljE_EEESV_SW_SX_S14_S18_S1A_T6_T7_T9_mT8_S1C_bDpT10_ENKUlT_T0_E_clISt17integral_constantIbLb0EES1O_IbLb1EEEEDaS1K_S1L_EUlS1K_E_NS1_11comp_targetILNS1_3genE3ELNS1_11target_archE908ELNS1_3gpuE7ELNS1_3repE0EEENS1_30default_config_static_selectorELNS0_4arch9wavefront6targetE0EEEvSY_
; %bb.0:
	.section	.rodata,"a",@progbits
	.p2align	6, 0x0
	.amdhsa_kernel _ZN7rocprim17ROCPRIM_400000_NS6detail17trampoline_kernelINS0_13select_configILj256ELj13ELNS0_17block_load_methodE3ELS4_3ELS4_3ELNS0_20block_scan_algorithmE0ELj4294967295EEENS1_25partition_config_selectorILNS1_17partition_subalgoE3EjNS0_10empty_typeEbEEZZNS1_14partition_implILS8_3ELb0ES6_jNS0_17counting_iteratorIjlEEPS9_SE_NS0_5tupleIJPjSE_EEENSF_IJSE_SE_EEES9_SG_JZNS1_25segmented_radix_sort_implINS0_14default_configELb0EPKbPbPKlPlN2at6native12_GLOBAL__N_18offset_tEEE10hipError_tPvRmT1_PNSt15iterator_traitsISY_E10value_typeET2_T3_PNSZ_IS14_E10value_typeET4_jRbjT5_S1A_jjP12ihipStream_tbEUljE_EEESV_SW_SX_S14_S18_S1A_T6_T7_T9_mT8_S1C_bDpT10_ENKUlT_T0_E_clISt17integral_constantIbLb0EES1O_IbLb1EEEEDaS1K_S1L_EUlS1K_E_NS1_11comp_targetILNS1_3genE3ELNS1_11target_archE908ELNS1_3gpuE7ELNS1_3repE0EEENS1_30default_config_static_selectorELNS0_4arch9wavefront6targetE0EEEvSY_
		.amdhsa_group_segment_fixed_size 0
		.amdhsa_private_segment_fixed_size 0
		.amdhsa_kernarg_size 152
		.amdhsa_user_sgpr_count 6
		.amdhsa_user_sgpr_private_segment_buffer 1
		.amdhsa_user_sgpr_dispatch_ptr 0
		.amdhsa_user_sgpr_queue_ptr 0
		.amdhsa_user_sgpr_kernarg_segment_ptr 1
		.amdhsa_user_sgpr_dispatch_id 0
		.amdhsa_user_sgpr_flat_scratch_init 0
		.amdhsa_user_sgpr_private_segment_size 0
		.amdhsa_wavefront_size32 1
		.amdhsa_uses_dynamic_stack 0
		.amdhsa_system_sgpr_private_segment_wavefront_offset 0
		.amdhsa_system_sgpr_workgroup_id_x 1
		.amdhsa_system_sgpr_workgroup_id_y 0
		.amdhsa_system_sgpr_workgroup_id_z 0
		.amdhsa_system_sgpr_workgroup_info 0
		.amdhsa_system_vgpr_workitem_id 0
		.amdhsa_next_free_vgpr 1
		.amdhsa_next_free_sgpr 1
		.amdhsa_reserve_vcc 0
		.amdhsa_reserve_flat_scratch 0
		.amdhsa_float_round_mode_32 0
		.amdhsa_float_round_mode_16_64 0
		.amdhsa_float_denorm_mode_32 3
		.amdhsa_float_denorm_mode_16_64 3
		.amdhsa_dx10_clamp 1
		.amdhsa_ieee_mode 1
		.amdhsa_fp16_overflow 0
		.amdhsa_workgroup_processor_mode 1
		.amdhsa_memory_ordered 1
		.amdhsa_forward_progress 1
		.amdhsa_shared_vgpr_count 0
		.amdhsa_exception_fp_ieee_invalid_op 0
		.amdhsa_exception_fp_denorm_src 0
		.amdhsa_exception_fp_ieee_div_zero 0
		.amdhsa_exception_fp_ieee_overflow 0
		.amdhsa_exception_fp_ieee_underflow 0
		.amdhsa_exception_fp_ieee_inexact 0
		.amdhsa_exception_int_div_zero 0
	.end_amdhsa_kernel
	.section	.text._ZN7rocprim17ROCPRIM_400000_NS6detail17trampoline_kernelINS0_13select_configILj256ELj13ELNS0_17block_load_methodE3ELS4_3ELS4_3ELNS0_20block_scan_algorithmE0ELj4294967295EEENS1_25partition_config_selectorILNS1_17partition_subalgoE3EjNS0_10empty_typeEbEEZZNS1_14partition_implILS8_3ELb0ES6_jNS0_17counting_iteratorIjlEEPS9_SE_NS0_5tupleIJPjSE_EEENSF_IJSE_SE_EEES9_SG_JZNS1_25segmented_radix_sort_implINS0_14default_configELb0EPKbPbPKlPlN2at6native12_GLOBAL__N_18offset_tEEE10hipError_tPvRmT1_PNSt15iterator_traitsISY_E10value_typeET2_T3_PNSZ_IS14_E10value_typeET4_jRbjT5_S1A_jjP12ihipStream_tbEUljE_EEESV_SW_SX_S14_S18_S1A_T6_T7_T9_mT8_S1C_bDpT10_ENKUlT_T0_E_clISt17integral_constantIbLb0EES1O_IbLb1EEEEDaS1K_S1L_EUlS1K_E_NS1_11comp_targetILNS1_3genE3ELNS1_11target_archE908ELNS1_3gpuE7ELNS1_3repE0EEENS1_30default_config_static_selectorELNS0_4arch9wavefront6targetE0EEEvSY_,"axG",@progbits,_ZN7rocprim17ROCPRIM_400000_NS6detail17trampoline_kernelINS0_13select_configILj256ELj13ELNS0_17block_load_methodE3ELS4_3ELS4_3ELNS0_20block_scan_algorithmE0ELj4294967295EEENS1_25partition_config_selectorILNS1_17partition_subalgoE3EjNS0_10empty_typeEbEEZZNS1_14partition_implILS8_3ELb0ES6_jNS0_17counting_iteratorIjlEEPS9_SE_NS0_5tupleIJPjSE_EEENSF_IJSE_SE_EEES9_SG_JZNS1_25segmented_radix_sort_implINS0_14default_configELb0EPKbPbPKlPlN2at6native12_GLOBAL__N_18offset_tEEE10hipError_tPvRmT1_PNSt15iterator_traitsISY_E10value_typeET2_T3_PNSZ_IS14_E10value_typeET4_jRbjT5_S1A_jjP12ihipStream_tbEUljE_EEESV_SW_SX_S14_S18_S1A_T6_T7_T9_mT8_S1C_bDpT10_ENKUlT_T0_E_clISt17integral_constantIbLb0EES1O_IbLb1EEEEDaS1K_S1L_EUlS1K_E_NS1_11comp_targetILNS1_3genE3ELNS1_11target_archE908ELNS1_3gpuE7ELNS1_3repE0EEENS1_30default_config_static_selectorELNS0_4arch9wavefront6targetE0EEEvSY_,comdat
.Lfunc_end1621:
	.size	_ZN7rocprim17ROCPRIM_400000_NS6detail17trampoline_kernelINS0_13select_configILj256ELj13ELNS0_17block_load_methodE3ELS4_3ELS4_3ELNS0_20block_scan_algorithmE0ELj4294967295EEENS1_25partition_config_selectorILNS1_17partition_subalgoE3EjNS0_10empty_typeEbEEZZNS1_14partition_implILS8_3ELb0ES6_jNS0_17counting_iteratorIjlEEPS9_SE_NS0_5tupleIJPjSE_EEENSF_IJSE_SE_EEES9_SG_JZNS1_25segmented_radix_sort_implINS0_14default_configELb0EPKbPbPKlPlN2at6native12_GLOBAL__N_18offset_tEEE10hipError_tPvRmT1_PNSt15iterator_traitsISY_E10value_typeET2_T3_PNSZ_IS14_E10value_typeET4_jRbjT5_S1A_jjP12ihipStream_tbEUljE_EEESV_SW_SX_S14_S18_S1A_T6_T7_T9_mT8_S1C_bDpT10_ENKUlT_T0_E_clISt17integral_constantIbLb0EES1O_IbLb1EEEEDaS1K_S1L_EUlS1K_E_NS1_11comp_targetILNS1_3genE3ELNS1_11target_archE908ELNS1_3gpuE7ELNS1_3repE0EEENS1_30default_config_static_selectorELNS0_4arch9wavefront6targetE0EEEvSY_, .Lfunc_end1621-_ZN7rocprim17ROCPRIM_400000_NS6detail17trampoline_kernelINS0_13select_configILj256ELj13ELNS0_17block_load_methodE3ELS4_3ELS4_3ELNS0_20block_scan_algorithmE0ELj4294967295EEENS1_25partition_config_selectorILNS1_17partition_subalgoE3EjNS0_10empty_typeEbEEZZNS1_14partition_implILS8_3ELb0ES6_jNS0_17counting_iteratorIjlEEPS9_SE_NS0_5tupleIJPjSE_EEENSF_IJSE_SE_EEES9_SG_JZNS1_25segmented_radix_sort_implINS0_14default_configELb0EPKbPbPKlPlN2at6native12_GLOBAL__N_18offset_tEEE10hipError_tPvRmT1_PNSt15iterator_traitsISY_E10value_typeET2_T3_PNSZ_IS14_E10value_typeET4_jRbjT5_S1A_jjP12ihipStream_tbEUljE_EEESV_SW_SX_S14_S18_S1A_T6_T7_T9_mT8_S1C_bDpT10_ENKUlT_T0_E_clISt17integral_constantIbLb0EES1O_IbLb1EEEEDaS1K_S1L_EUlS1K_E_NS1_11comp_targetILNS1_3genE3ELNS1_11target_archE908ELNS1_3gpuE7ELNS1_3repE0EEENS1_30default_config_static_selectorELNS0_4arch9wavefront6targetE0EEEvSY_
                                        ; -- End function
	.set _ZN7rocprim17ROCPRIM_400000_NS6detail17trampoline_kernelINS0_13select_configILj256ELj13ELNS0_17block_load_methodE3ELS4_3ELS4_3ELNS0_20block_scan_algorithmE0ELj4294967295EEENS1_25partition_config_selectorILNS1_17partition_subalgoE3EjNS0_10empty_typeEbEEZZNS1_14partition_implILS8_3ELb0ES6_jNS0_17counting_iteratorIjlEEPS9_SE_NS0_5tupleIJPjSE_EEENSF_IJSE_SE_EEES9_SG_JZNS1_25segmented_radix_sort_implINS0_14default_configELb0EPKbPbPKlPlN2at6native12_GLOBAL__N_18offset_tEEE10hipError_tPvRmT1_PNSt15iterator_traitsISY_E10value_typeET2_T3_PNSZ_IS14_E10value_typeET4_jRbjT5_S1A_jjP12ihipStream_tbEUljE_EEESV_SW_SX_S14_S18_S1A_T6_T7_T9_mT8_S1C_bDpT10_ENKUlT_T0_E_clISt17integral_constantIbLb0EES1O_IbLb1EEEEDaS1K_S1L_EUlS1K_E_NS1_11comp_targetILNS1_3genE3ELNS1_11target_archE908ELNS1_3gpuE7ELNS1_3repE0EEENS1_30default_config_static_selectorELNS0_4arch9wavefront6targetE0EEEvSY_.num_vgpr, 0
	.set _ZN7rocprim17ROCPRIM_400000_NS6detail17trampoline_kernelINS0_13select_configILj256ELj13ELNS0_17block_load_methodE3ELS4_3ELS4_3ELNS0_20block_scan_algorithmE0ELj4294967295EEENS1_25partition_config_selectorILNS1_17partition_subalgoE3EjNS0_10empty_typeEbEEZZNS1_14partition_implILS8_3ELb0ES6_jNS0_17counting_iteratorIjlEEPS9_SE_NS0_5tupleIJPjSE_EEENSF_IJSE_SE_EEES9_SG_JZNS1_25segmented_radix_sort_implINS0_14default_configELb0EPKbPbPKlPlN2at6native12_GLOBAL__N_18offset_tEEE10hipError_tPvRmT1_PNSt15iterator_traitsISY_E10value_typeET2_T3_PNSZ_IS14_E10value_typeET4_jRbjT5_S1A_jjP12ihipStream_tbEUljE_EEESV_SW_SX_S14_S18_S1A_T6_T7_T9_mT8_S1C_bDpT10_ENKUlT_T0_E_clISt17integral_constantIbLb0EES1O_IbLb1EEEEDaS1K_S1L_EUlS1K_E_NS1_11comp_targetILNS1_3genE3ELNS1_11target_archE908ELNS1_3gpuE7ELNS1_3repE0EEENS1_30default_config_static_selectorELNS0_4arch9wavefront6targetE0EEEvSY_.num_agpr, 0
	.set _ZN7rocprim17ROCPRIM_400000_NS6detail17trampoline_kernelINS0_13select_configILj256ELj13ELNS0_17block_load_methodE3ELS4_3ELS4_3ELNS0_20block_scan_algorithmE0ELj4294967295EEENS1_25partition_config_selectorILNS1_17partition_subalgoE3EjNS0_10empty_typeEbEEZZNS1_14partition_implILS8_3ELb0ES6_jNS0_17counting_iteratorIjlEEPS9_SE_NS0_5tupleIJPjSE_EEENSF_IJSE_SE_EEES9_SG_JZNS1_25segmented_radix_sort_implINS0_14default_configELb0EPKbPbPKlPlN2at6native12_GLOBAL__N_18offset_tEEE10hipError_tPvRmT1_PNSt15iterator_traitsISY_E10value_typeET2_T3_PNSZ_IS14_E10value_typeET4_jRbjT5_S1A_jjP12ihipStream_tbEUljE_EEESV_SW_SX_S14_S18_S1A_T6_T7_T9_mT8_S1C_bDpT10_ENKUlT_T0_E_clISt17integral_constantIbLb0EES1O_IbLb1EEEEDaS1K_S1L_EUlS1K_E_NS1_11comp_targetILNS1_3genE3ELNS1_11target_archE908ELNS1_3gpuE7ELNS1_3repE0EEENS1_30default_config_static_selectorELNS0_4arch9wavefront6targetE0EEEvSY_.numbered_sgpr, 0
	.set _ZN7rocprim17ROCPRIM_400000_NS6detail17trampoline_kernelINS0_13select_configILj256ELj13ELNS0_17block_load_methodE3ELS4_3ELS4_3ELNS0_20block_scan_algorithmE0ELj4294967295EEENS1_25partition_config_selectorILNS1_17partition_subalgoE3EjNS0_10empty_typeEbEEZZNS1_14partition_implILS8_3ELb0ES6_jNS0_17counting_iteratorIjlEEPS9_SE_NS0_5tupleIJPjSE_EEENSF_IJSE_SE_EEES9_SG_JZNS1_25segmented_radix_sort_implINS0_14default_configELb0EPKbPbPKlPlN2at6native12_GLOBAL__N_18offset_tEEE10hipError_tPvRmT1_PNSt15iterator_traitsISY_E10value_typeET2_T3_PNSZ_IS14_E10value_typeET4_jRbjT5_S1A_jjP12ihipStream_tbEUljE_EEESV_SW_SX_S14_S18_S1A_T6_T7_T9_mT8_S1C_bDpT10_ENKUlT_T0_E_clISt17integral_constantIbLb0EES1O_IbLb1EEEEDaS1K_S1L_EUlS1K_E_NS1_11comp_targetILNS1_3genE3ELNS1_11target_archE908ELNS1_3gpuE7ELNS1_3repE0EEENS1_30default_config_static_selectorELNS0_4arch9wavefront6targetE0EEEvSY_.num_named_barrier, 0
	.set _ZN7rocprim17ROCPRIM_400000_NS6detail17trampoline_kernelINS0_13select_configILj256ELj13ELNS0_17block_load_methodE3ELS4_3ELS4_3ELNS0_20block_scan_algorithmE0ELj4294967295EEENS1_25partition_config_selectorILNS1_17partition_subalgoE3EjNS0_10empty_typeEbEEZZNS1_14partition_implILS8_3ELb0ES6_jNS0_17counting_iteratorIjlEEPS9_SE_NS0_5tupleIJPjSE_EEENSF_IJSE_SE_EEES9_SG_JZNS1_25segmented_radix_sort_implINS0_14default_configELb0EPKbPbPKlPlN2at6native12_GLOBAL__N_18offset_tEEE10hipError_tPvRmT1_PNSt15iterator_traitsISY_E10value_typeET2_T3_PNSZ_IS14_E10value_typeET4_jRbjT5_S1A_jjP12ihipStream_tbEUljE_EEESV_SW_SX_S14_S18_S1A_T6_T7_T9_mT8_S1C_bDpT10_ENKUlT_T0_E_clISt17integral_constantIbLb0EES1O_IbLb1EEEEDaS1K_S1L_EUlS1K_E_NS1_11comp_targetILNS1_3genE3ELNS1_11target_archE908ELNS1_3gpuE7ELNS1_3repE0EEENS1_30default_config_static_selectorELNS0_4arch9wavefront6targetE0EEEvSY_.private_seg_size, 0
	.set _ZN7rocprim17ROCPRIM_400000_NS6detail17trampoline_kernelINS0_13select_configILj256ELj13ELNS0_17block_load_methodE3ELS4_3ELS4_3ELNS0_20block_scan_algorithmE0ELj4294967295EEENS1_25partition_config_selectorILNS1_17partition_subalgoE3EjNS0_10empty_typeEbEEZZNS1_14partition_implILS8_3ELb0ES6_jNS0_17counting_iteratorIjlEEPS9_SE_NS0_5tupleIJPjSE_EEENSF_IJSE_SE_EEES9_SG_JZNS1_25segmented_radix_sort_implINS0_14default_configELb0EPKbPbPKlPlN2at6native12_GLOBAL__N_18offset_tEEE10hipError_tPvRmT1_PNSt15iterator_traitsISY_E10value_typeET2_T3_PNSZ_IS14_E10value_typeET4_jRbjT5_S1A_jjP12ihipStream_tbEUljE_EEESV_SW_SX_S14_S18_S1A_T6_T7_T9_mT8_S1C_bDpT10_ENKUlT_T0_E_clISt17integral_constantIbLb0EES1O_IbLb1EEEEDaS1K_S1L_EUlS1K_E_NS1_11comp_targetILNS1_3genE3ELNS1_11target_archE908ELNS1_3gpuE7ELNS1_3repE0EEENS1_30default_config_static_selectorELNS0_4arch9wavefront6targetE0EEEvSY_.uses_vcc, 0
	.set _ZN7rocprim17ROCPRIM_400000_NS6detail17trampoline_kernelINS0_13select_configILj256ELj13ELNS0_17block_load_methodE3ELS4_3ELS4_3ELNS0_20block_scan_algorithmE0ELj4294967295EEENS1_25partition_config_selectorILNS1_17partition_subalgoE3EjNS0_10empty_typeEbEEZZNS1_14partition_implILS8_3ELb0ES6_jNS0_17counting_iteratorIjlEEPS9_SE_NS0_5tupleIJPjSE_EEENSF_IJSE_SE_EEES9_SG_JZNS1_25segmented_radix_sort_implINS0_14default_configELb0EPKbPbPKlPlN2at6native12_GLOBAL__N_18offset_tEEE10hipError_tPvRmT1_PNSt15iterator_traitsISY_E10value_typeET2_T3_PNSZ_IS14_E10value_typeET4_jRbjT5_S1A_jjP12ihipStream_tbEUljE_EEESV_SW_SX_S14_S18_S1A_T6_T7_T9_mT8_S1C_bDpT10_ENKUlT_T0_E_clISt17integral_constantIbLb0EES1O_IbLb1EEEEDaS1K_S1L_EUlS1K_E_NS1_11comp_targetILNS1_3genE3ELNS1_11target_archE908ELNS1_3gpuE7ELNS1_3repE0EEENS1_30default_config_static_selectorELNS0_4arch9wavefront6targetE0EEEvSY_.uses_flat_scratch, 0
	.set _ZN7rocprim17ROCPRIM_400000_NS6detail17trampoline_kernelINS0_13select_configILj256ELj13ELNS0_17block_load_methodE3ELS4_3ELS4_3ELNS0_20block_scan_algorithmE0ELj4294967295EEENS1_25partition_config_selectorILNS1_17partition_subalgoE3EjNS0_10empty_typeEbEEZZNS1_14partition_implILS8_3ELb0ES6_jNS0_17counting_iteratorIjlEEPS9_SE_NS0_5tupleIJPjSE_EEENSF_IJSE_SE_EEES9_SG_JZNS1_25segmented_radix_sort_implINS0_14default_configELb0EPKbPbPKlPlN2at6native12_GLOBAL__N_18offset_tEEE10hipError_tPvRmT1_PNSt15iterator_traitsISY_E10value_typeET2_T3_PNSZ_IS14_E10value_typeET4_jRbjT5_S1A_jjP12ihipStream_tbEUljE_EEESV_SW_SX_S14_S18_S1A_T6_T7_T9_mT8_S1C_bDpT10_ENKUlT_T0_E_clISt17integral_constantIbLb0EES1O_IbLb1EEEEDaS1K_S1L_EUlS1K_E_NS1_11comp_targetILNS1_3genE3ELNS1_11target_archE908ELNS1_3gpuE7ELNS1_3repE0EEENS1_30default_config_static_selectorELNS0_4arch9wavefront6targetE0EEEvSY_.has_dyn_sized_stack, 0
	.set _ZN7rocprim17ROCPRIM_400000_NS6detail17trampoline_kernelINS0_13select_configILj256ELj13ELNS0_17block_load_methodE3ELS4_3ELS4_3ELNS0_20block_scan_algorithmE0ELj4294967295EEENS1_25partition_config_selectorILNS1_17partition_subalgoE3EjNS0_10empty_typeEbEEZZNS1_14partition_implILS8_3ELb0ES6_jNS0_17counting_iteratorIjlEEPS9_SE_NS0_5tupleIJPjSE_EEENSF_IJSE_SE_EEES9_SG_JZNS1_25segmented_radix_sort_implINS0_14default_configELb0EPKbPbPKlPlN2at6native12_GLOBAL__N_18offset_tEEE10hipError_tPvRmT1_PNSt15iterator_traitsISY_E10value_typeET2_T3_PNSZ_IS14_E10value_typeET4_jRbjT5_S1A_jjP12ihipStream_tbEUljE_EEESV_SW_SX_S14_S18_S1A_T6_T7_T9_mT8_S1C_bDpT10_ENKUlT_T0_E_clISt17integral_constantIbLb0EES1O_IbLb1EEEEDaS1K_S1L_EUlS1K_E_NS1_11comp_targetILNS1_3genE3ELNS1_11target_archE908ELNS1_3gpuE7ELNS1_3repE0EEENS1_30default_config_static_selectorELNS0_4arch9wavefront6targetE0EEEvSY_.has_recursion, 0
	.set _ZN7rocprim17ROCPRIM_400000_NS6detail17trampoline_kernelINS0_13select_configILj256ELj13ELNS0_17block_load_methodE3ELS4_3ELS4_3ELNS0_20block_scan_algorithmE0ELj4294967295EEENS1_25partition_config_selectorILNS1_17partition_subalgoE3EjNS0_10empty_typeEbEEZZNS1_14partition_implILS8_3ELb0ES6_jNS0_17counting_iteratorIjlEEPS9_SE_NS0_5tupleIJPjSE_EEENSF_IJSE_SE_EEES9_SG_JZNS1_25segmented_radix_sort_implINS0_14default_configELb0EPKbPbPKlPlN2at6native12_GLOBAL__N_18offset_tEEE10hipError_tPvRmT1_PNSt15iterator_traitsISY_E10value_typeET2_T3_PNSZ_IS14_E10value_typeET4_jRbjT5_S1A_jjP12ihipStream_tbEUljE_EEESV_SW_SX_S14_S18_S1A_T6_T7_T9_mT8_S1C_bDpT10_ENKUlT_T0_E_clISt17integral_constantIbLb0EES1O_IbLb1EEEEDaS1K_S1L_EUlS1K_E_NS1_11comp_targetILNS1_3genE3ELNS1_11target_archE908ELNS1_3gpuE7ELNS1_3repE0EEENS1_30default_config_static_selectorELNS0_4arch9wavefront6targetE0EEEvSY_.has_indirect_call, 0
	.section	.AMDGPU.csdata,"",@progbits
; Kernel info:
; codeLenInByte = 0
; TotalNumSgprs: 0
; NumVgprs: 0
; ScratchSize: 0
; MemoryBound: 0
; FloatMode: 240
; IeeeMode: 1
; LDSByteSize: 0 bytes/workgroup (compile time only)
; SGPRBlocks: 0
; VGPRBlocks: 0
; NumSGPRsForWavesPerEU: 1
; NumVGPRsForWavesPerEU: 1
; Occupancy: 16
; WaveLimiterHint : 0
; COMPUTE_PGM_RSRC2:SCRATCH_EN: 0
; COMPUTE_PGM_RSRC2:USER_SGPR: 6
; COMPUTE_PGM_RSRC2:TRAP_HANDLER: 0
; COMPUTE_PGM_RSRC2:TGID_X_EN: 1
; COMPUTE_PGM_RSRC2:TGID_Y_EN: 0
; COMPUTE_PGM_RSRC2:TGID_Z_EN: 0
; COMPUTE_PGM_RSRC2:TIDIG_COMP_CNT: 0
	.section	.text._ZN7rocprim17ROCPRIM_400000_NS6detail17trampoline_kernelINS0_13select_configILj256ELj13ELNS0_17block_load_methodE3ELS4_3ELS4_3ELNS0_20block_scan_algorithmE0ELj4294967295EEENS1_25partition_config_selectorILNS1_17partition_subalgoE3EjNS0_10empty_typeEbEEZZNS1_14partition_implILS8_3ELb0ES6_jNS0_17counting_iteratorIjlEEPS9_SE_NS0_5tupleIJPjSE_EEENSF_IJSE_SE_EEES9_SG_JZNS1_25segmented_radix_sort_implINS0_14default_configELb0EPKbPbPKlPlN2at6native12_GLOBAL__N_18offset_tEEE10hipError_tPvRmT1_PNSt15iterator_traitsISY_E10value_typeET2_T3_PNSZ_IS14_E10value_typeET4_jRbjT5_S1A_jjP12ihipStream_tbEUljE_EEESV_SW_SX_S14_S18_S1A_T6_T7_T9_mT8_S1C_bDpT10_ENKUlT_T0_E_clISt17integral_constantIbLb0EES1O_IbLb1EEEEDaS1K_S1L_EUlS1K_E_NS1_11comp_targetILNS1_3genE2ELNS1_11target_archE906ELNS1_3gpuE6ELNS1_3repE0EEENS1_30default_config_static_selectorELNS0_4arch9wavefront6targetE0EEEvSY_,"axG",@progbits,_ZN7rocprim17ROCPRIM_400000_NS6detail17trampoline_kernelINS0_13select_configILj256ELj13ELNS0_17block_load_methodE3ELS4_3ELS4_3ELNS0_20block_scan_algorithmE0ELj4294967295EEENS1_25partition_config_selectorILNS1_17partition_subalgoE3EjNS0_10empty_typeEbEEZZNS1_14partition_implILS8_3ELb0ES6_jNS0_17counting_iteratorIjlEEPS9_SE_NS0_5tupleIJPjSE_EEENSF_IJSE_SE_EEES9_SG_JZNS1_25segmented_radix_sort_implINS0_14default_configELb0EPKbPbPKlPlN2at6native12_GLOBAL__N_18offset_tEEE10hipError_tPvRmT1_PNSt15iterator_traitsISY_E10value_typeET2_T3_PNSZ_IS14_E10value_typeET4_jRbjT5_S1A_jjP12ihipStream_tbEUljE_EEESV_SW_SX_S14_S18_S1A_T6_T7_T9_mT8_S1C_bDpT10_ENKUlT_T0_E_clISt17integral_constantIbLb0EES1O_IbLb1EEEEDaS1K_S1L_EUlS1K_E_NS1_11comp_targetILNS1_3genE2ELNS1_11target_archE906ELNS1_3gpuE6ELNS1_3repE0EEENS1_30default_config_static_selectorELNS0_4arch9wavefront6targetE0EEEvSY_,comdat
	.globl	_ZN7rocprim17ROCPRIM_400000_NS6detail17trampoline_kernelINS0_13select_configILj256ELj13ELNS0_17block_load_methodE3ELS4_3ELS4_3ELNS0_20block_scan_algorithmE0ELj4294967295EEENS1_25partition_config_selectorILNS1_17partition_subalgoE3EjNS0_10empty_typeEbEEZZNS1_14partition_implILS8_3ELb0ES6_jNS0_17counting_iteratorIjlEEPS9_SE_NS0_5tupleIJPjSE_EEENSF_IJSE_SE_EEES9_SG_JZNS1_25segmented_radix_sort_implINS0_14default_configELb0EPKbPbPKlPlN2at6native12_GLOBAL__N_18offset_tEEE10hipError_tPvRmT1_PNSt15iterator_traitsISY_E10value_typeET2_T3_PNSZ_IS14_E10value_typeET4_jRbjT5_S1A_jjP12ihipStream_tbEUljE_EEESV_SW_SX_S14_S18_S1A_T6_T7_T9_mT8_S1C_bDpT10_ENKUlT_T0_E_clISt17integral_constantIbLb0EES1O_IbLb1EEEEDaS1K_S1L_EUlS1K_E_NS1_11comp_targetILNS1_3genE2ELNS1_11target_archE906ELNS1_3gpuE6ELNS1_3repE0EEENS1_30default_config_static_selectorELNS0_4arch9wavefront6targetE0EEEvSY_ ; -- Begin function _ZN7rocprim17ROCPRIM_400000_NS6detail17trampoline_kernelINS0_13select_configILj256ELj13ELNS0_17block_load_methodE3ELS4_3ELS4_3ELNS0_20block_scan_algorithmE0ELj4294967295EEENS1_25partition_config_selectorILNS1_17partition_subalgoE3EjNS0_10empty_typeEbEEZZNS1_14partition_implILS8_3ELb0ES6_jNS0_17counting_iteratorIjlEEPS9_SE_NS0_5tupleIJPjSE_EEENSF_IJSE_SE_EEES9_SG_JZNS1_25segmented_radix_sort_implINS0_14default_configELb0EPKbPbPKlPlN2at6native12_GLOBAL__N_18offset_tEEE10hipError_tPvRmT1_PNSt15iterator_traitsISY_E10value_typeET2_T3_PNSZ_IS14_E10value_typeET4_jRbjT5_S1A_jjP12ihipStream_tbEUljE_EEESV_SW_SX_S14_S18_S1A_T6_T7_T9_mT8_S1C_bDpT10_ENKUlT_T0_E_clISt17integral_constantIbLb0EES1O_IbLb1EEEEDaS1K_S1L_EUlS1K_E_NS1_11comp_targetILNS1_3genE2ELNS1_11target_archE906ELNS1_3gpuE6ELNS1_3repE0EEENS1_30default_config_static_selectorELNS0_4arch9wavefront6targetE0EEEvSY_
	.p2align	8
	.type	_ZN7rocprim17ROCPRIM_400000_NS6detail17trampoline_kernelINS0_13select_configILj256ELj13ELNS0_17block_load_methodE3ELS4_3ELS4_3ELNS0_20block_scan_algorithmE0ELj4294967295EEENS1_25partition_config_selectorILNS1_17partition_subalgoE3EjNS0_10empty_typeEbEEZZNS1_14partition_implILS8_3ELb0ES6_jNS0_17counting_iteratorIjlEEPS9_SE_NS0_5tupleIJPjSE_EEENSF_IJSE_SE_EEES9_SG_JZNS1_25segmented_radix_sort_implINS0_14default_configELb0EPKbPbPKlPlN2at6native12_GLOBAL__N_18offset_tEEE10hipError_tPvRmT1_PNSt15iterator_traitsISY_E10value_typeET2_T3_PNSZ_IS14_E10value_typeET4_jRbjT5_S1A_jjP12ihipStream_tbEUljE_EEESV_SW_SX_S14_S18_S1A_T6_T7_T9_mT8_S1C_bDpT10_ENKUlT_T0_E_clISt17integral_constantIbLb0EES1O_IbLb1EEEEDaS1K_S1L_EUlS1K_E_NS1_11comp_targetILNS1_3genE2ELNS1_11target_archE906ELNS1_3gpuE6ELNS1_3repE0EEENS1_30default_config_static_selectorELNS0_4arch9wavefront6targetE0EEEvSY_,@function
_ZN7rocprim17ROCPRIM_400000_NS6detail17trampoline_kernelINS0_13select_configILj256ELj13ELNS0_17block_load_methodE3ELS4_3ELS4_3ELNS0_20block_scan_algorithmE0ELj4294967295EEENS1_25partition_config_selectorILNS1_17partition_subalgoE3EjNS0_10empty_typeEbEEZZNS1_14partition_implILS8_3ELb0ES6_jNS0_17counting_iteratorIjlEEPS9_SE_NS0_5tupleIJPjSE_EEENSF_IJSE_SE_EEES9_SG_JZNS1_25segmented_radix_sort_implINS0_14default_configELb0EPKbPbPKlPlN2at6native12_GLOBAL__N_18offset_tEEE10hipError_tPvRmT1_PNSt15iterator_traitsISY_E10value_typeET2_T3_PNSZ_IS14_E10value_typeET4_jRbjT5_S1A_jjP12ihipStream_tbEUljE_EEESV_SW_SX_S14_S18_S1A_T6_T7_T9_mT8_S1C_bDpT10_ENKUlT_T0_E_clISt17integral_constantIbLb0EES1O_IbLb1EEEEDaS1K_S1L_EUlS1K_E_NS1_11comp_targetILNS1_3genE2ELNS1_11target_archE906ELNS1_3gpuE6ELNS1_3repE0EEENS1_30default_config_static_selectorELNS0_4arch9wavefront6targetE0EEEvSY_: ; @_ZN7rocprim17ROCPRIM_400000_NS6detail17trampoline_kernelINS0_13select_configILj256ELj13ELNS0_17block_load_methodE3ELS4_3ELS4_3ELNS0_20block_scan_algorithmE0ELj4294967295EEENS1_25partition_config_selectorILNS1_17partition_subalgoE3EjNS0_10empty_typeEbEEZZNS1_14partition_implILS8_3ELb0ES6_jNS0_17counting_iteratorIjlEEPS9_SE_NS0_5tupleIJPjSE_EEENSF_IJSE_SE_EEES9_SG_JZNS1_25segmented_radix_sort_implINS0_14default_configELb0EPKbPbPKlPlN2at6native12_GLOBAL__N_18offset_tEEE10hipError_tPvRmT1_PNSt15iterator_traitsISY_E10value_typeET2_T3_PNSZ_IS14_E10value_typeET4_jRbjT5_S1A_jjP12ihipStream_tbEUljE_EEESV_SW_SX_S14_S18_S1A_T6_T7_T9_mT8_S1C_bDpT10_ENKUlT_T0_E_clISt17integral_constantIbLb0EES1O_IbLb1EEEEDaS1K_S1L_EUlS1K_E_NS1_11comp_targetILNS1_3genE2ELNS1_11target_archE906ELNS1_3gpuE6ELNS1_3repE0EEENS1_30default_config_static_selectorELNS0_4arch9wavefront6targetE0EEEvSY_
; %bb.0:
	.section	.rodata,"a",@progbits
	.p2align	6, 0x0
	.amdhsa_kernel _ZN7rocprim17ROCPRIM_400000_NS6detail17trampoline_kernelINS0_13select_configILj256ELj13ELNS0_17block_load_methodE3ELS4_3ELS4_3ELNS0_20block_scan_algorithmE0ELj4294967295EEENS1_25partition_config_selectorILNS1_17partition_subalgoE3EjNS0_10empty_typeEbEEZZNS1_14partition_implILS8_3ELb0ES6_jNS0_17counting_iteratorIjlEEPS9_SE_NS0_5tupleIJPjSE_EEENSF_IJSE_SE_EEES9_SG_JZNS1_25segmented_radix_sort_implINS0_14default_configELb0EPKbPbPKlPlN2at6native12_GLOBAL__N_18offset_tEEE10hipError_tPvRmT1_PNSt15iterator_traitsISY_E10value_typeET2_T3_PNSZ_IS14_E10value_typeET4_jRbjT5_S1A_jjP12ihipStream_tbEUljE_EEESV_SW_SX_S14_S18_S1A_T6_T7_T9_mT8_S1C_bDpT10_ENKUlT_T0_E_clISt17integral_constantIbLb0EES1O_IbLb1EEEEDaS1K_S1L_EUlS1K_E_NS1_11comp_targetILNS1_3genE2ELNS1_11target_archE906ELNS1_3gpuE6ELNS1_3repE0EEENS1_30default_config_static_selectorELNS0_4arch9wavefront6targetE0EEEvSY_
		.amdhsa_group_segment_fixed_size 0
		.amdhsa_private_segment_fixed_size 0
		.amdhsa_kernarg_size 152
		.amdhsa_user_sgpr_count 6
		.amdhsa_user_sgpr_private_segment_buffer 1
		.amdhsa_user_sgpr_dispatch_ptr 0
		.amdhsa_user_sgpr_queue_ptr 0
		.amdhsa_user_sgpr_kernarg_segment_ptr 1
		.amdhsa_user_sgpr_dispatch_id 0
		.amdhsa_user_sgpr_flat_scratch_init 0
		.amdhsa_user_sgpr_private_segment_size 0
		.amdhsa_wavefront_size32 1
		.amdhsa_uses_dynamic_stack 0
		.amdhsa_system_sgpr_private_segment_wavefront_offset 0
		.amdhsa_system_sgpr_workgroup_id_x 1
		.amdhsa_system_sgpr_workgroup_id_y 0
		.amdhsa_system_sgpr_workgroup_id_z 0
		.amdhsa_system_sgpr_workgroup_info 0
		.amdhsa_system_vgpr_workitem_id 0
		.amdhsa_next_free_vgpr 1
		.amdhsa_next_free_sgpr 1
		.amdhsa_reserve_vcc 0
		.amdhsa_reserve_flat_scratch 0
		.amdhsa_float_round_mode_32 0
		.amdhsa_float_round_mode_16_64 0
		.amdhsa_float_denorm_mode_32 3
		.amdhsa_float_denorm_mode_16_64 3
		.amdhsa_dx10_clamp 1
		.amdhsa_ieee_mode 1
		.amdhsa_fp16_overflow 0
		.amdhsa_workgroup_processor_mode 1
		.amdhsa_memory_ordered 1
		.amdhsa_forward_progress 1
		.amdhsa_shared_vgpr_count 0
		.amdhsa_exception_fp_ieee_invalid_op 0
		.amdhsa_exception_fp_denorm_src 0
		.amdhsa_exception_fp_ieee_div_zero 0
		.amdhsa_exception_fp_ieee_overflow 0
		.amdhsa_exception_fp_ieee_underflow 0
		.amdhsa_exception_fp_ieee_inexact 0
		.amdhsa_exception_int_div_zero 0
	.end_amdhsa_kernel
	.section	.text._ZN7rocprim17ROCPRIM_400000_NS6detail17trampoline_kernelINS0_13select_configILj256ELj13ELNS0_17block_load_methodE3ELS4_3ELS4_3ELNS0_20block_scan_algorithmE0ELj4294967295EEENS1_25partition_config_selectorILNS1_17partition_subalgoE3EjNS0_10empty_typeEbEEZZNS1_14partition_implILS8_3ELb0ES6_jNS0_17counting_iteratorIjlEEPS9_SE_NS0_5tupleIJPjSE_EEENSF_IJSE_SE_EEES9_SG_JZNS1_25segmented_radix_sort_implINS0_14default_configELb0EPKbPbPKlPlN2at6native12_GLOBAL__N_18offset_tEEE10hipError_tPvRmT1_PNSt15iterator_traitsISY_E10value_typeET2_T3_PNSZ_IS14_E10value_typeET4_jRbjT5_S1A_jjP12ihipStream_tbEUljE_EEESV_SW_SX_S14_S18_S1A_T6_T7_T9_mT8_S1C_bDpT10_ENKUlT_T0_E_clISt17integral_constantIbLb0EES1O_IbLb1EEEEDaS1K_S1L_EUlS1K_E_NS1_11comp_targetILNS1_3genE2ELNS1_11target_archE906ELNS1_3gpuE6ELNS1_3repE0EEENS1_30default_config_static_selectorELNS0_4arch9wavefront6targetE0EEEvSY_,"axG",@progbits,_ZN7rocprim17ROCPRIM_400000_NS6detail17trampoline_kernelINS0_13select_configILj256ELj13ELNS0_17block_load_methodE3ELS4_3ELS4_3ELNS0_20block_scan_algorithmE0ELj4294967295EEENS1_25partition_config_selectorILNS1_17partition_subalgoE3EjNS0_10empty_typeEbEEZZNS1_14partition_implILS8_3ELb0ES6_jNS0_17counting_iteratorIjlEEPS9_SE_NS0_5tupleIJPjSE_EEENSF_IJSE_SE_EEES9_SG_JZNS1_25segmented_radix_sort_implINS0_14default_configELb0EPKbPbPKlPlN2at6native12_GLOBAL__N_18offset_tEEE10hipError_tPvRmT1_PNSt15iterator_traitsISY_E10value_typeET2_T3_PNSZ_IS14_E10value_typeET4_jRbjT5_S1A_jjP12ihipStream_tbEUljE_EEESV_SW_SX_S14_S18_S1A_T6_T7_T9_mT8_S1C_bDpT10_ENKUlT_T0_E_clISt17integral_constantIbLb0EES1O_IbLb1EEEEDaS1K_S1L_EUlS1K_E_NS1_11comp_targetILNS1_3genE2ELNS1_11target_archE906ELNS1_3gpuE6ELNS1_3repE0EEENS1_30default_config_static_selectorELNS0_4arch9wavefront6targetE0EEEvSY_,comdat
.Lfunc_end1622:
	.size	_ZN7rocprim17ROCPRIM_400000_NS6detail17trampoline_kernelINS0_13select_configILj256ELj13ELNS0_17block_load_methodE3ELS4_3ELS4_3ELNS0_20block_scan_algorithmE0ELj4294967295EEENS1_25partition_config_selectorILNS1_17partition_subalgoE3EjNS0_10empty_typeEbEEZZNS1_14partition_implILS8_3ELb0ES6_jNS0_17counting_iteratorIjlEEPS9_SE_NS0_5tupleIJPjSE_EEENSF_IJSE_SE_EEES9_SG_JZNS1_25segmented_radix_sort_implINS0_14default_configELb0EPKbPbPKlPlN2at6native12_GLOBAL__N_18offset_tEEE10hipError_tPvRmT1_PNSt15iterator_traitsISY_E10value_typeET2_T3_PNSZ_IS14_E10value_typeET4_jRbjT5_S1A_jjP12ihipStream_tbEUljE_EEESV_SW_SX_S14_S18_S1A_T6_T7_T9_mT8_S1C_bDpT10_ENKUlT_T0_E_clISt17integral_constantIbLb0EES1O_IbLb1EEEEDaS1K_S1L_EUlS1K_E_NS1_11comp_targetILNS1_3genE2ELNS1_11target_archE906ELNS1_3gpuE6ELNS1_3repE0EEENS1_30default_config_static_selectorELNS0_4arch9wavefront6targetE0EEEvSY_, .Lfunc_end1622-_ZN7rocprim17ROCPRIM_400000_NS6detail17trampoline_kernelINS0_13select_configILj256ELj13ELNS0_17block_load_methodE3ELS4_3ELS4_3ELNS0_20block_scan_algorithmE0ELj4294967295EEENS1_25partition_config_selectorILNS1_17partition_subalgoE3EjNS0_10empty_typeEbEEZZNS1_14partition_implILS8_3ELb0ES6_jNS0_17counting_iteratorIjlEEPS9_SE_NS0_5tupleIJPjSE_EEENSF_IJSE_SE_EEES9_SG_JZNS1_25segmented_radix_sort_implINS0_14default_configELb0EPKbPbPKlPlN2at6native12_GLOBAL__N_18offset_tEEE10hipError_tPvRmT1_PNSt15iterator_traitsISY_E10value_typeET2_T3_PNSZ_IS14_E10value_typeET4_jRbjT5_S1A_jjP12ihipStream_tbEUljE_EEESV_SW_SX_S14_S18_S1A_T6_T7_T9_mT8_S1C_bDpT10_ENKUlT_T0_E_clISt17integral_constantIbLb0EES1O_IbLb1EEEEDaS1K_S1L_EUlS1K_E_NS1_11comp_targetILNS1_3genE2ELNS1_11target_archE906ELNS1_3gpuE6ELNS1_3repE0EEENS1_30default_config_static_selectorELNS0_4arch9wavefront6targetE0EEEvSY_
                                        ; -- End function
	.set _ZN7rocprim17ROCPRIM_400000_NS6detail17trampoline_kernelINS0_13select_configILj256ELj13ELNS0_17block_load_methodE3ELS4_3ELS4_3ELNS0_20block_scan_algorithmE0ELj4294967295EEENS1_25partition_config_selectorILNS1_17partition_subalgoE3EjNS0_10empty_typeEbEEZZNS1_14partition_implILS8_3ELb0ES6_jNS0_17counting_iteratorIjlEEPS9_SE_NS0_5tupleIJPjSE_EEENSF_IJSE_SE_EEES9_SG_JZNS1_25segmented_radix_sort_implINS0_14default_configELb0EPKbPbPKlPlN2at6native12_GLOBAL__N_18offset_tEEE10hipError_tPvRmT1_PNSt15iterator_traitsISY_E10value_typeET2_T3_PNSZ_IS14_E10value_typeET4_jRbjT5_S1A_jjP12ihipStream_tbEUljE_EEESV_SW_SX_S14_S18_S1A_T6_T7_T9_mT8_S1C_bDpT10_ENKUlT_T0_E_clISt17integral_constantIbLb0EES1O_IbLb1EEEEDaS1K_S1L_EUlS1K_E_NS1_11comp_targetILNS1_3genE2ELNS1_11target_archE906ELNS1_3gpuE6ELNS1_3repE0EEENS1_30default_config_static_selectorELNS0_4arch9wavefront6targetE0EEEvSY_.num_vgpr, 0
	.set _ZN7rocprim17ROCPRIM_400000_NS6detail17trampoline_kernelINS0_13select_configILj256ELj13ELNS0_17block_load_methodE3ELS4_3ELS4_3ELNS0_20block_scan_algorithmE0ELj4294967295EEENS1_25partition_config_selectorILNS1_17partition_subalgoE3EjNS0_10empty_typeEbEEZZNS1_14partition_implILS8_3ELb0ES6_jNS0_17counting_iteratorIjlEEPS9_SE_NS0_5tupleIJPjSE_EEENSF_IJSE_SE_EEES9_SG_JZNS1_25segmented_radix_sort_implINS0_14default_configELb0EPKbPbPKlPlN2at6native12_GLOBAL__N_18offset_tEEE10hipError_tPvRmT1_PNSt15iterator_traitsISY_E10value_typeET2_T3_PNSZ_IS14_E10value_typeET4_jRbjT5_S1A_jjP12ihipStream_tbEUljE_EEESV_SW_SX_S14_S18_S1A_T6_T7_T9_mT8_S1C_bDpT10_ENKUlT_T0_E_clISt17integral_constantIbLb0EES1O_IbLb1EEEEDaS1K_S1L_EUlS1K_E_NS1_11comp_targetILNS1_3genE2ELNS1_11target_archE906ELNS1_3gpuE6ELNS1_3repE0EEENS1_30default_config_static_selectorELNS0_4arch9wavefront6targetE0EEEvSY_.num_agpr, 0
	.set _ZN7rocprim17ROCPRIM_400000_NS6detail17trampoline_kernelINS0_13select_configILj256ELj13ELNS0_17block_load_methodE3ELS4_3ELS4_3ELNS0_20block_scan_algorithmE0ELj4294967295EEENS1_25partition_config_selectorILNS1_17partition_subalgoE3EjNS0_10empty_typeEbEEZZNS1_14partition_implILS8_3ELb0ES6_jNS0_17counting_iteratorIjlEEPS9_SE_NS0_5tupleIJPjSE_EEENSF_IJSE_SE_EEES9_SG_JZNS1_25segmented_radix_sort_implINS0_14default_configELb0EPKbPbPKlPlN2at6native12_GLOBAL__N_18offset_tEEE10hipError_tPvRmT1_PNSt15iterator_traitsISY_E10value_typeET2_T3_PNSZ_IS14_E10value_typeET4_jRbjT5_S1A_jjP12ihipStream_tbEUljE_EEESV_SW_SX_S14_S18_S1A_T6_T7_T9_mT8_S1C_bDpT10_ENKUlT_T0_E_clISt17integral_constantIbLb0EES1O_IbLb1EEEEDaS1K_S1L_EUlS1K_E_NS1_11comp_targetILNS1_3genE2ELNS1_11target_archE906ELNS1_3gpuE6ELNS1_3repE0EEENS1_30default_config_static_selectorELNS0_4arch9wavefront6targetE0EEEvSY_.numbered_sgpr, 0
	.set _ZN7rocprim17ROCPRIM_400000_NS6detail17trampoline_kernelINS0_13select_configILj256ELj13ELNS0_17block_load_methodE3ELS4_3ELS4_3ELNS0_20block_scan_algorithmE0ELj4294967295EEENS1_25partition_config_selectorILNS1_17partition_subalgoE3EjNS0_10empty_typeEbEEZZNS1_14partition_implILS8_3ELb0ES6_jNS0_17counting_iteratorIjlEEPS9_SE_NS0_5tupleIJPjSE_EEENSF_IJSE_SE_EEES9_SG_JZNS1_25segmented_radix_sort_implINS0_14default_configELb0EPKbPbPKlPlN2at6native12_GLOBAL__N_18offset_tEEE10hipError_tPvRmT1_PNSt15iterator_traitsISY_E10value_typeET2_T3_PNSZ_IS14_E10value_typeET4_jRbjT5_S1A_jjP12ihipStream_tbEUljE_EEESV_SW_SX_S14_S18_S1A_T6_T7_T9_mT8_S1C_bDpT10_ENKUlT_T0_E_clISt17integral_constantIbLb0EES1O_IbLb1EEEEDaS1K_S1L_EUlS1K_E_NS1_11comp_targetILNS1_3genE2ELNS1_11target_archE906ELNS1_3gpuE6ELNS1_3repE0EEENS1_30default_config_static_selectorELNS0_4arch9wavefront6targetE0EEEvSY_.num_named_barrier, 0
	.set _ZN7rocprim17ROCPRIM_400000_NS6detail17trampoline_kernelINS0_13select_configILj256ELj13ELNS0_17block_load_methodE3ELS4_3ELS4_3ELNS0_20block_scan_algorithmE0ELj4294967295EEENS1_25partition_config_selectorILNS1_17partition_subalgoE3EjNS0_10empty_typeEbEEZZNS1_14partition_implILS8_3ELb0ES6_jNS0_17counting_iteratorIjlEEPS9_SE_NS0_5tupleIJPjSE_EEENSF_IJSE_SE_EEES9_SG_JZNS1_25segmented_radix_sort_implINS0_14default_configELb0EPKbPbPKlPlN2at6native12_GLOBAL__N_18offset_tEEE10hipError_tPvRmT1_PNSt15iterator_traitsISY_E10value_typeET2_T3_PNSZ_IS14_E10value_typeET4_jRbjT5_S1A_jjP12ihipStream_tbEUljE_EEESV_SW_SX_S14_S18_S1A_T6_T7_T9_mT8_S1C_bDpT10_ENKUlT_T0_E_clISt17integral_constantIbLb0EES1O_IbLb1EEEEDaS1K_S1L_EUlS1K_E_NS1_11comp_targetILNS1_3genE2ELNS1_11target_archE906ELNS1_3gpuE6ELNS1_3repE0EEENS1_30default_config_static_selectorELNS0_4arch9wavefront6targetE0EEEvSY_.private_seg_size, 0
	.set _ZN7rocprim17ROCPRIM_400000_NS6detail17trampoline_kernelINS0_13select_configILj256ELj13ELNS0_17block_load_methodE3ELS4_3ELS4_3ELNS0_20block_scan_algorithmE0ELj4294967295EEENS1_25partition_config_selectorILNS1_17partition_subalgoE3EjNS0_10empty_typeEbEEZZNS1_14partition_implILS8_3ELb0ES6_jNS0_17counting_iteratorIjlEEPS9_SE_NS0_5tupleIJPjSE_EEENSF_IJSE_SE_EEES9_SG_JZNS1_25segmented_radix_sort_implINS0_14default_configELb0EPKbPbPKlPlN2at6native12_GLOBAL__N_18offset_tEEE10hipError_tPvRmT1_PNSt15iterator_traitsISY_E10value_typeET2_T3_PNSZ_IS14_E10value_typeET4_jRbjT5_S1A_jjP12ihipStream_tbEUljE_EEESV_SW_SX_S14_S18_S1A_T6_T7_T9_mT8_S1C_bDpT10_ENKUlT_T0_E_clISt17integral_constantIbLb0EES1O_IbLb1EEEEDaS1K_S1L_EUlS1K_E_NS1_11comp_targetILNS1_3genE2ELNS1_11target_archE906ELNS1_3gpuE6ELNS1_3repE0EEENS1_30default_config_static_selectorELNS0_4arch9wavefront6targetE0EEEvSY_.uses_vcc, 0
	.set _ZN7rocprim17ROCPRIM_400000_NS6detail17trampoline_kernelINS0_13select_configILj256ELj13ELNS0_17block_load_methodE3ELS4_3ELS4_3ELNS0_20block_scan_algorithmE0ELj4294967295EEENS1_25partition_config_selectorILNS1_17partition_subalgoE3EjNS0_10empty_typeEbEEZZNS1_14partition_implILS8_3ELb0ES6_jNS0_17counting_iteratorIjlEEPS9_SE_NS0_5tupleIJPjSE_EEENSF_IJSE_SE_EEES9_SG_JZNS1_25segmented_radix_sort_implINS0_14default_configELb0EPKbPbPKlPlN2at6native12_GLOBAL__N_18offset_tEEE10hipError_tPvRmT1_PNSt15iterator_traitsISY_E10value_typeET2_T3_PNSZ_IS14_E10value_typeET4_jRbjT5_S1A_jjP12ihipStream_tbEUljE_EEESV_SW_SX_S14_S18_S1A_T6_T7_T9_mT8_S1C_bDpT10_ENKUlT_T0_E_clISt17integral_constantIbLb0EES1O_IbLb1EEEEDaS1K_S1L_EUlS1K_E_NS1_11comp_targetILNS1_3genE2ELNS1_11target_archE906ELNS1_3gpuE6ELNS1_3repE0EEENS1_30default_config_static_selectorELNS0_4arch9wavefront6targetE0EEEvSY_.uses_flat_scratch, 0
	.set _ZN7rocprim17ROCPRIM_400000_NS6detail17trampoline_kernelINS0_13select_configILj256ELj13ELNS0_17block_load_methodE3ELS4_3ELS4_3ELNS0_20block_scan_algorithmE0ELj4294967295EEENS1_25partition_config_selectorILNS1_17partition_subalgoE3EjNS0_10empty_typeEbEEZZNS1_14partition_implILS8_3ELb0ES6_jNS0_17counting_iteratorIjlEEPS9_SE_NS0_5tupleIJPjSE_EEENSF_IJSE_SE_EEES9_SG_JZNS1_25segmented_radix_sort_implINS0_14default_configELb0EPKbPbPKlPlN2at6native12_GLOBAL__N_18offset_tEEE10hipError_tPvRmT1_PNSt15iterator_traitsISY_E10value_typeET2_T3_PNSZ_IS14_E10value_typeET4_jRbjT5_S1A_jjP12ihipStream_tbEUljE_EEESV_SW_SX_S14_S18_S1A_T6_T7_T9_mT8_S1C_bDpT10_ENKUlT_T0_E_clISt17integral_constantIbLb0EES1O_IbLb1EEEEDaS1K_S1L_EUlS1K_E_NS1_11comp_targetILNS1_3genE2ELNS1_11target_archE906ELNS1_3gpuE6ELNS1_3repE0EEENS1_30default_config_static_selectorELNS0_4arch9wavefront6targetE0EEEvSY_.has_dyn_sized_stack, 0
	.set _ZN7rocprim17ROCPRIM_400000_NS6detail17trampoline_kernelINS0_13select_configILj256ELj13ELNS0_17block_load_methodE3ELS4_3ELS4_3ELNS0_20block_scan_algorithmE0ELj4294967295EEENS1_25partition_config_selectorILNS1_17partition_subalgoE3EjNS0_10empty_typeEbEEZZNS1_14partition_implILS8_3ELb0ES6_jNS0_17counting_iteratorIjlEEPS9_SE_NS0_5tupleIJPjSE_EEENSF_IJSE_SE_EEES9_SG_JZNS1_25segmented_radix_sort_implINS0_14default_configELb0EPKbPbPKlPlN2at6native12_GLOBAL__N_18offset_tEEE10hipError_tPvRmT1_PNSt15iterator_traitsISY_E10value_typeET2_T3_PNSZ_IS14_E10value_typeET4_jRbjT5_S1A_jjP12ihipStream_tbEUljE_EEESV_SW_SX_S14_S18_S1A_T6_T7_T9_mT8_S1C_bDpT10_ENKUlT_T0_E_clISt17integral_constantIbLb0EES1O_IbLb1EEEEDaS1K_S1L_EUlS1K_E_NS1_11comp_targetILNS1_3genE2ELNS1_11target_archE906ELNS1_3gpuE6ELNS1_3repE0EEENS1_30default_config_static_selectorELNS0_4arch9wavefront6targetE0EEEvSY_.has_recursion, 0
	.set _ZN7rocprim17ROCPRIM_400000_NS6detail17trampoline_kernelINS0_13select_configILj256ELj13ELNS0_17block_load_methodE3ELS4_3ELS4_3ELNS0_20block_scan_algorithmE0ELj4294967295EEENS1_25partition_config_selectorILNS1_17partition_subalgoE3EjNS0_10empty_typeEbEEZZNS1_14partition_implILS8_3ELb0ES6_jNS0_17counting_iteratorIjlEEPS9_SE_NS0_5tupleIJPjSE_EEENSF_IJSE_SE_EEES9_SG_JZNS1_25segmented_radix_sort_implINS0_14default_configELb0EPKbPbPKlPlN2at6native12_GLOBAL__N_18offset_tEEE10hipError_tPvRmT1_PNSt15iterator_traitsISY_E10value_typeET2_T3_PNSZ_IS14_E10value_typeET4_jRbjT5_S1A_jjP12ihipStream_tbEUljE_EEESV_SW_SX_S14_S18_S1A_T6_T7_T9_mT8_S1C_bDpT10_ENKUlT_T0_E_clISt17integral_constantIbLb0EES1O_IbLb1EEEEDaS1K_S1L_EUlS1K_E_NS1_11comp_targetILNS1_3genE2ELNS1_11target_archE906ELNS1_3gpuE6ELNS1_3repE0EEENS1_30default_config_static_selectorELNS0_4arch9wavefront6targetE0EEEvSY_.has_indirect_call, 0
	.section	.AMDGPU.csdata,"",@progbits
; Kernel info:
; codeLenInByte = 0
; TotalNumSgprs: 0
; NumVgprs: 0
; ScratchSize: 0
; MemoryBound: 0
; FloatMode: 240
; IeeeMode: 1
; LDSByteSize: 0 bytes/workgroup (compile time only)
; SGPRBlocks: 0
; VGPRBlocks: 0
; NumSGPRsForWavesPerEU: 1
; NumVGPRsForWavesPerEU: 1
; Occupancy: 16
; WaveLimiterHint : 0
; COMPUTE_PGM_RSRC2:SCRATCH_EN: 0
; COMPUTE_PGM_RSRC2:USER_SGPR: 6
; COMPUTE_PGM_RSRC2:TRAP_HANDLER: 0
; COMPUTE_PGM_RSRC2:TGID_X_EN: 1
; COMPUTE_PGM_RSRC2:TGID_Y_EN: 0
; COMPUTE_PGM_RSRC2:TGID_Z_EN: 0
; COMPUTE_PGM_RSRC2:TIDIG_COMP_CNT: 0
	.section	.text._ZN7rocprim17ROCPRIM_400000_NS6detail17trampoline_kernelINS0_13select_configILj256ELj13ELNS0_17block_load_methodE3ELS4_3ELS4_3ELNS0_20block_scan_algorithmE0ELj4294967295EEENS1_25partition_config_selectorILNS1_17partition_subalgoE3EjNS0_10empty_typeEbEEZZNS1_14partition_implILS8_3ELb0ES6_jNS0_17counting_iteratorIjlEEPS9_SE_NS0_5tupleIJPjSE_EEENSF_IJSE_SE_EEES9_SG_JZNS1_25segmented_radix_sort_implINS0_14default_configELb0EPKbPbPKlPlN2at6native12_GLOBAL__N_18offset_tEEE10hipError_tPvRmT1_PNSt15iterator_traitsISY_E10value_typeET2_T3_PNSZ_IS14_E10value_typeET4_jRbjT5_S1A_jjP12ihipStream_tbEUljE_EEESV_SW_SX_S14_S18_S1A_T6_T7_T9_mT8_S1C_bDpT10_ENKUlT_T0_E_clISt17integral_constantIbLb0EES1O_IbLb1EEEEDaS1K_S1L_EUlS1K_E_NS1_11comp_targetILNS1_3genE10ELNS1_11target_archE1200ELNS1_3gpuE4ELNS1_3repE0EEENS1_30default_config_static_selectorELNS0_4arch9wavefront6targetE0EEEvSY_,"axG",@progbits,_ZN7rocprim17ROCPRIM_400000_NS6detail17trampoline_kernelINS0_13select_configILj256ELj13ELNS0_17block_load_methodE3ELS4_3ELS4_3ELNS0_20block_scan_algorithmE0ELj4294967295EEENS1_25partition_config_selectorILNS1_17partition_subalgoE3EjNS0_10empty_typeEbEEZZNS1_14partition_implILS8_3ELb0ES6_jNS0_17counting_iteratorIjlEEPS9_SE_NS0_5tupleIJPjSE_EEENSF_IJSE_SE_EEES9_SG_JZNS1_25segmented_radix_sort_implINS0_14default_configELb0EPKbPbPKlPlN2at6native12_GLOBAL__N_18offset_tEEE10hipError_tPvRmT1_PNSt15iterator_traitsISY_E10value_typeET2_T3_PNSZ_IS14_E10value_typeET4_jRbjT5_S1A_jjP12ihipStream_tbEUljE_EEESV_SW_SX_S14_S18_S1A_T6_T7_T9_mT8_S1C_bDpT10_ENKUlT_T0_E_clISt17integral_constantIbLb0EES1O_IbLb1EEEEDaS1K_S1L_EUlS1K_E_NS1_11comp_targetILNS1_3genE10ELNS1_11target_archE1200ELNS1_3gpuE4ELNS1_3repE0EEENS1_30default_config_static_selectorELNS0_4arch9wavefront6targetE0EEEvSY_,comdat
	.globl	_ZN7rocprim17ROCPRIM_400000_NS6detail17trampoline_kernelINS0_13select_configILj256ELj13ELNS0_17block_load_methodE3ELS4_3ELS4_3ELNS0_20block_scan_algorithmE0ELj4294967295EEENS1_25partition_config_selectorILNS1_17partition_subalgoE3EjNS0_10empty_typeEbEEZZNS1_14partition_implILS8_3ELb0ES6_jNS0_17counting_iteratorIjlEEPS9_SE_NS0_5tupleIJPjSE_EEENSF_IJSE_SE_EEES9_SG_JZNS1_25segmented_radix_sort_implINS0_14default_configELb0EPKbPbPKlPlN2at6native12_GLOBAL__N_18offset_tEEE10hipError_tPvRmT1_PNSt15iterator_traitsISY_E10value_typeET2_T3_PNSZ_IS14_E10value_typeET4_jRbjT5_S1A_jjP12ihipStream_tbEUljE_EEESV_SW_SX_S14_S18_S1A_T6_T7_T9_mT8_S1C_bDpT10_ENKUlT_T0_E_clISt17integral_constantIbLb0EES1O_IbLb1EEEEDaS1K_S1L_EUlS1K_E_NS1_11comp_targetILNS1_3genE10ELNS1_11target_archE1200ELNS1_3gpuE4ELNS1_3repE0EEENS1_30default_config_static_selectorELNS0_4arch9wavefront6targetE0EEEvSY_ ; -- Begin function _ZN7rocprim17ROCPRIM_400000_NS6detail17trampoline_kernelINS0_13select_configILj256ELj13ELNS0_17block_load_methodE3ELS4_3ELS4_3ELNS0_20block_scan_algorithmE0ELj4294967295EEENS1_25partition_config_selectorILNS1_17partition_subalgoE3EjNS0_10empty_typeEbEEZZNS1_14partition_implILS8_3ELb0ES6_jNS0_17counting_iteratorIjlEEPS9_SE_NS0_5tupleIJPjSE_EEENSF_IJSE_SE_EEES9_SG_JZNS1_25segmented_radix_sort_implINS0_14default_configELb0EPKbPbPKlPlN2at6native12_GLOBAL__N_18offset_tEEE10hipError_tPvRmT1_PNSt15iterator_traitsISY_E10value_typeET2_T3_PNSZ_IS14_E10value_typeET4_jRbjT5_S1A_jjP12ihipStream_tbEUljE_EEESV_SW_SX_S14_S18_S1A_T6_T7_T9_mT8_S1C_bDpT10_ENKUlT_T0_E_clISt17integral_constantIbLb0EES1O_IbLb1EEEEDaS1K_S1L_EUlS1K_E_NS1_11comp_targetILNS1_3genE10ELNS1_11target_archE1200ELNS1_3gpuE4ELNS1_3repE0EEENS1_30default_config_static_selectorELNS0_4arch9wavefront6targetE0EEEvSY_
	.p2align	8
	.type	_ZN7rocprim17ROCPRIM_400000_NS6detail17trampoline_kernelINS0_13select_configILj256ELj13ELNS0_17block_load_methodE3ELS4_3ELS4_3ELNS0_20block_scan_algorithmE0ELj4294967295EEENS1_25partition_config_selectorILNS1_17partition_subalgoE3EjNS0_10empty_typeEbEEZZNS1_14partition_implILS8_3ELb0ES6_jNS0_17counting_iteratorIjlEEPS9_SE_NS0_5tupleIJPjSE_EEENSF_IJSE_SE_EEES9_SG_JZNS1_25segmented_radix_sort_implINS0_14default_configELb0EPKbPbPKlPlN2at6native12_GLOBAL__N_18offset_tEEE10hipError_tPvRmT1_PNSt15iterator_traitsISY_E10value_typeET2_T3_PNSZ_IS14_E10value_typeET4_jRbjT5_S1A_jjP12ihipStream_tbEUljE_EEESV_SW_SX_S14_S18_S1A_T6_T7_T9_mT8_S1C_bDpT10_ENKUlT_T0_E_clISt17integral_constantIbLb0EES1O_IbLb1EEEEDaS1K_S1L_EUlS1K_E_NS1_11comp_targetILNS1_3genE10ELNS1_11target_archE1200ELNS1_3gpuE4ELNS1_3repE0EEENS1_30default_config_static_selectorELNS0_4arch9wavefront6targetE0EEEvSY_,@function
_ZN7rocprim17ROCPRIM_400000_NS6detail17trampoline_kernelINS0_13select_configILj256ELj13ELNS0_17block_load_methodE3ELS4_3ELS4_3ELNS0_20block_scan_algorithmE0ELj4294967295EEENS1_25partition_config_selectorILNS1_17partition_subalgoE3EjNS0_10empty_typeEbEEZZNS1_14partition_implILS8_3ELb0ES6_jNS0_17counting_iteratorIjlEEPS9_SE_NS0_5tupleIJPjSE_EEENSF_IJSE_SE_EEES9_SG_JZNS1_25segmented_radix_sort_implINS0_14default_configELb0EPKbPbPKlPlN2at6native12_GLOBAL__N_18offset_tEEE10hipError_tPvRmT1_PNSt15iterator_traitsISY_E10value_typeET2_T3_PNSZ_IS14_E10value_typeET4_jRbjT5_S1A_jjP12ihipStream_tbEUljE_EEESV_SW_SX_S14_S18_S1A_T6_T7_T9_mT8_S1C_bDpT10_ENKUlT_T0_E_clISt17integral_constantIbLb0EES1O_IbLb1EEEEDaS1K_S1L_EUlS1K_E_NS1_11comp_targetILNS1_3genE10ELNS1_11target_archE1200ELNS1_3gpuE4ELNS1_3repE0EEENS1_30default_config_static_selectorELNS0_4arch9wavefront6targetE0EEEvSY_: ; @_ZN7rocprim17ROCPRIM_400000_NS6detail17trampoline_kernelINS0_13select_configILj256ELj13ELNS0_17block_load_methodE3ELS4_3ELS4_3ELNS0_20block_scan_algorithmE0ELj4294967295EEENS1_25partition_config_selectorILNS1_17partition_subalgoE3EjNS0_10empty_typeEbEEZZNS1_14partition_implILS8_3ELb0ES6_jNS0_17counting_iteratorIjlEEPS9_SE_NS0_5tupleIJPjSE_EEENSF_IJSE_SE_EEES9_SG_JZNS1_25segmented_radix_sort_implINS0_14default_configELb0EPKbPbPKlPlN2at6native12_GLOBAL__N_18offset_tEEE10hipError_tPvRmT1_PNSt15iterator_traitsISY_E10value_typeET2_T3_PNSZ_IS14_E10value_typeET4_jRbjT5_S1A_jjP12ihipStream_tbEUljE_EEESV_SW_SX_S14_S18_S1A_T6_T7_T9_mT8_S1C_bDpT10_ENKUlT_T0_E_clISt17integral_constantIbLb0EES1O_IbLb1EEEEDaS1K_S1L_EUlS1K_E_NS1_11comp_targetILNS1_3genE10ELNS1_11target_archE1200ELNS1_3gpuE4ELNS1_3repE0EEENS1_30default_config_static_selectorELNS0_4arch9wavefront6targetE0EEEvSY_
; %bb.0:
	.section	.rodata,"a",@progbits
	.p2align	6, 0x0
	.amdhsa_kernel _ZN7rocprim17ROCPRIM_400000_NS6detail17trampoline_kernelINS0_13select_configILj256ELj13ELNS0_17block_load_methodE3ELS4_3ELS4_3ELNS0_20block_scan_algorithmE0ELj4294967295EEENS1_25partition_config_selectorILNS1_17partition_subalgoE3EjNS0_10empty_typeEbEEZZNS1_14partition_implILS8_3ELb0ES6_jNS0_17counting_iteratorIjlEEPS9_SE_NS0_5tupleIJPjSE_EEENSF_IJSE_SE_EEES9_SG_JZNS1_25segmented_radix_sort_implINS0_14default_configELb0EPKbPbPKlPlN2at6native12_GLOBAL__N_18offset_tEEE10hipError_tPvRmT1_PNSt15iterator_traitsISY_E10value_typeET2_T3_PNSZ_IS14_E10value_typeET4_jRbjT5_S1A_jjP12ihipStream_tbEUljE_EEESV_SW_SX_S14_S18_S1A_T6_T7_T9_mT8_S1C_bDpT10_ENKUlT_T0_E_clISt17integral_constantIbLb0EES1O_IbLb1EEEEDaS1K_S1L_EUlS1K_E_NS1_11comp_targetILNS1_3genE10ELNS1_11target_archE1200ELNS1_3gpuE4ELNS1_3repE0EEENS1_30default_config_static_selectorELNS0_4arch9wavefront6targetE0EEEvSY_
		.amdhsa_group_segment_fixed_size 0
		.amdhsa_private_segment_fixed_size 0
		.amdhsa_kernarg_size 152
		.amdhsa_user_sgpr_count 6
		.amdhsa_user_sgpr_private_segment_buffer 1
		.amdhsa_user_sgpr_dispatch_ptr 0
		.amdhsa_user_sgpr_queue_ptr 0
		.amdhsa_user_sgpr_kernarg_segment_ptr 1
		.amdhsa_user_sgpr_dispatch_id 0
		.amdhsa_user_sgpr_flat_scratch_init 0
		.amdhsa_user_sgpr_private_segment_size 0
		.amdhsa_wavefront_size32 1
		.amdhsa_uses_dynamic_stack 0
		.amdhsa_system_sgpr_private_segment_wavefront_offset 0
		.amdhsa_system_sgpr_workgroup_id_x 1
		.amdhsa_system_sgpr_workgroup_id_y 0
		.amdhsa_system_sgpr_workgroup_id_z 0
		.amdhsa_system_sgpr_workgroup_info 0
		.amdhsa_system_vgpr_workitem_id 0
		.amdhsa_next_free_vgpr 1
		.amdhsa_next_free_sgpr 1
		.amdhsa_reserve_vcc 0
		.amdhsa_reserve_flat_scratch 0
		.amdhsa_float_round_mode_32 0
		.amdhsa_float_round_mode_16_64 0
		.amdhsa_float_denorm_mode_32 3
		.amdhsa_float_denorm_mode_16_64 3
		.amdhsa_dx10_clamp 1
		.amdhsa_ieee_mode 1
		.amdhsa_fp16_overflow 0
		.amdhsa_workgroup_processor_mode 1
		.amdhsa_memory_ordered 1
		.amdhsa_forward_progress 1
		.amdhsa_shared_vgpr_count 0
		.amdhsa_exception_fp_ieee_invalid_op 0
		.amdhsa_exception_fp_denorm_src 0
		.amdhsa_exception_fp_ieee_div_zero 0
		.amdhsa_exception_fp_ieee_overflow 0
		.amdhsa_exception_fp_ieee_underflow 0
		.amdhsa_exception_fp_ieee_inexact 0
		.amdhsa_exception_int_div_zero 0
	.end_amdhsa_kernel
	.section	.text._ZN7rocprim17ROCPRIM_400000_NS6detail17trampoline_kernelINS0_13select_configILj256ELj13ELNS0_17block_load_methodE3ELS4_3ELS4_3ELNS0_20block_scan_algorithmE0ELj4294967295EEENS1_25partition_config_selectorILNS1_17partition_subalgoE3EjNS0_10empty_typeEbEEZZNS1_14partition_implILS8_3ELb0ES6_jNS0_17counting_iteratorIjlEEPS9_SE_NS0_5tupleIJPjSE_EEENSF_IJSE_SE_EEES9_SG_JZNS1_25segmented_radix_sort_implINS0_14default_configELb0EPKbPbPKlPlN2at6native12_GLOBAL__N_18offset_tEEE10hipError_tPvRmT1_PNSt15iterator_traitsISY_E10value_typeET2_T3_PNSZ_IS14_E10value_typeET4_jRbjT5_S1A_jjP12ihipStream_tbEUljE_EEESV_SW_SX_S14_S18_S1A_T6_T7_T9_mT8_S1C_bDpT10_ENKUlT_T0_E_clISt17integral_constantIbLb0EES1O_IbLb1EEEEDaS1K_S1L_EUlS1K_E_NS1_11comp_targetILNS1_3genE10ELNS1_11target_archE1200ELNS1_3gpuE4ELNS1_3repE0EEENS1_30default_config_static_selectorELNS0_4arch9wavefront6targetE0EEEvSY_,"axG",@progbits,_ZN7rocprim17ROCPRIM_400000_NS6detail17trampoline_kernelINS0_13select_configILj256ELj13ELNS0_17block_load_methodE3ELS4_3ELS4_3ELNS0_20block_scan_algorithmE0ELj4294967295EEENS1_25partition_config_selectorILNS1_17partition_subalgoE3EjNS0_10empty_typeEbEEZZNS1_14partition_implILS8_3ELb0ES6_jNS0_17counting_iteratorIjlEEPS9_SE_NS0_5tupleIJPjSE_EEENSF_IJSE_SE_EEES9_SG_JZNS1_25segmented_radix_sort_implINS0_14default_configELb0EPKbPbPKlPlN2at6native12_GLOBAL__N_18offset_tEEE10hipError_tPvRmT1_PNSt15iterator_traitsISY_E10value_typeET2_T3_PNSZ_IS14_E10value_typeET4_jRbjT5_S1A_jjP12ihipStream_tbEUljE_EEESV_SW_SX_S14_S18_S1A_T6_T7_T9_mT8_S1C_bDpT10_ENKUlT_T0_E_clISt17integral_constantIbLb0EES1O_IbLb1EEEEDaS1K_S1L_EUlS1K_E_NS1_11comp_targetILNS1_3genE10ELNS1_11target_archE1200ELNS1_3gpuE4ELNS1_3repE0EEENS1_30default_config_static_selectorELNS0_4arch9wavefront6targetE0EEEvSY_,comdat
.Lfunc_end1623:
	.size	_ZN7rocprim17ROCPRIM_400000_NS6detail17trampoline_kernelINS0_13select_configILj256ELj13ELNS0_17block_load_methodE3ELS4_3ELS4_3ELNS0_20block_scan_algorithmE0ELj4294967295EEENS1_25partition_config_selectorILNS1_17partition_subalgoE3EjNS0_10empty_typeEbEEZZNS1_14partition_implILS8_3ELb0ES6_jNS0_17counting_iteratorIjlEEPS9_SE_NS0_5tupleIJPjSE_EEENSF_IJSE_SE_EEES9_SG_JZNS1_25segmented_radix_sort_implINS0_14default_configELb0EPKbPbPKlPlN2at6native12_GLOBAL__N_18offset_tEEE10hipError_tPvRmT1_PNSt15iterator_traitsISY_E10value_typeET2_T3_PNSZ_IS14_E10value_typeET4_jRbjT5_S1A_jjP12ihipStream_tbEUljE_EEESV_SW_SX_S14_S18_S1A_T6_T7_T9_mT8_S1C_bDpT10_ENKUlT_T0_E_clISt17integral_constantIbLb0EES1O_IbLb1EEEEDaS1K_S1L_EUlS1K_E_NS1_11comp_targetILNS1_3genE10ELNS1_11target_archE1200ELNS1_3gpuE4ELNS1_3repE0EEENS1_30default_config_static_selectorELNS0_4arch9wavefront6targetE0EEEvSY_, .Lfunc_end1623-_ZN7rocprim17ROCPRIM_400000_NS6detail17trampoline_kernelINS0_13select_configILj256ELj13ELNS0_17block_load_methodE3ELS4_3ELS4_3ELNS0_20block_scan_algorithmE0ELj4294967295EEENS1_25partition_config_selectorILNS1_17partition_subalgoE3EjNS0_10empty_typeEbEEZZNS1_14partition_implILS8_3ELb0ES6_jNS0_17counting_iteratorIjlEEPS9_SE_NS0_5tupleIJPjSE_EEENSF_IJSE_SE_EEES9_SG_JZNS1_25segmented_radix_sort_implINS0_14default_configELb0EPKbPbPKlPlN2at6native12_GLOBAL__N_18offset_tEEE10hipError_tPvRmT1_PNSt15iterator_traitsISY_E10value_typeET2_T3_PNSZ_IS14_E10value_typeET4_jRbjT5_S1A_jjP12ihipStream_tbEUljE_EEESV_SW_SX_S14_S18_S1A_T6_T7_T9_mT8_S1C_bDpT10_ENKUlT_T0_E_clISt17integral_constantIbLb0EES1O_IbLb1EEEEDaS1K_S1L_EUlS1K_E_NS1_11comp_targetILNS1_3genE10ELNS1_11target_archE1200ELNS1_3gpuE4ELNS1_3repE0EEENS1_30default_config_static_selectorELNS0_4arch9wavefront6targetE0EEEvSY_
                                        ; -- End function
	.set _ZN7rocprim17ROCPRIM_400000_NS6detail17trampoline_kernelINS0_13select_configILj256ELj13ELNS0_17block_load_methodE3ELS4_3ELS4_3ELNS0_20block_scan_algorithmE0ELj4294967295EEENS1_25partition_config_selectorILNS1_17partition_subalgoE3EjNS0_10empty_typeEbEEZZNS1_14partition_implILS8_3ELb0ES6_jNS0_17counting_iteratorIjlEEPS9_SE_NS0_5tupleIJPjSE_EEENSF_IJSE_SE_EEES9_SG_JZNS1_25segmented_radix_sort_implINS0_14default_configELb0EPKbPbPKlPlN2at6native12_GLOBAL__N_18offset_tEEE10hipError_tPvRmT1_PNSt15iterator_traitsISY_E10value_typeET2_T3_PNSZ_IS14_E10value_typeET4_jRbjT5_S1A_jjP12ihipStream_tbEUljE_EEESV_SW_SX_S14_S18_S1A_T6_T7_T9_mT8_S1C_bDpT10_ENKUlT_T0_E_clISt17integral_constantIbLb0EES1O_IbLb1EEEEDaS1K_S1L_EUlS1K_E_NS1_11comp_targetILNS1_3genE10ELNS1_11target_archE1200ELNS1_3gpuE4ELNS1_3repE0EEENS1_30default_config_static_selectorELNS0_4arch9wavefront6targetE0EEEvSY_.num_vgpr, 0
	.set _ZN7rocprim17ROCPRIM_400000_NS6detail17trampoline_kernelINS0_13select_configILj256ELj13ELNS0_17block_load_methodE3ELS4_3ELS4_3ELNS0_20block_scan_algorithmE0ELj4294967295EEENS1_25partition_config_selectorILNS1_17partition_subalgoE3EjNS0_10empty_typeEbEEZZNS1_14partition_implILS8_3ELb0ES6_jNS0_17counting_iteratorIjlEEPS9_SE_NS0_5tupleIJPjSE_EEENSF_IJSE_SE_EEES9_SG_JZNS1_25segmented_radix_sort_implINS0_14default_configELb0EPKbPbPKlPlN2at6native12_GLOBAL__N_18offset_tEEE10hipError_tPvRmT1_PNSt15iterator_traitsISY_E10value_typeET2_T3_PNSZ_IS14_E10value_typeET4_jRbjT5_S1A_jjP12ihipStream_tbEUljE_EEESV_SW_SX_S14_S18_S1A_T6_T7_T9_mT8_S1C_bDpT10_ENKUlT_T0_E_clISt17integral_constantIbLb0EES1O_IbLb1EEEEDaS1K_S1L_EUlS1K_E_NS1_11comp_targetILNS1_3genE10ELNS1_11target_archE1200ELNS1_3gpuE4ELNS1_3repE0EEENS1_30default_config_static_selectorELNS0_4arch9wavefront6targetE0EEEvSY_.num_agpr, 0
	.set _ZN7rocprim17ROCPRIM_400000_NS6detail17trampoline_kernelINS0_13select_configILj256ELj13ELNS0_17block_load_methodE3ELS4_3ELS4_3ELNS0_20block_scan_algorithmE0ELj4294967295EEENS1_25partition_config_selectorILNS1_17partition_subalgoE3EjNS0_10empty_typeEbEEZZNS1_14partition_implILS8_3ELb0ES6_jNS0_17counting_iteratorIjlEEPS9_SE_NS0_5tupleIJPjSE_EEENSF_IJSE_SE_EEES9_SG_JZNS1_25segmented_radix_sort_implINS0_14default_configELb0EPKbPbPKlPlN2at6native12_GLOBAL__N_18offset_tEEE10hipError_tPvRmT1_PNSt15iterator_traitsISY_E10value_typeET2_T3_PNSZ_IS14_E10value_typeET4_jRbjT5_S1A_jjP12ihipStream_tbEUljE_EEESV_SW_SX_S14_S18_S1A_T6_T7_T9_mT8_S1C_bDpT10_ENKUlT_T0_E_clISt17integral_constantIbLb0EES1O_IbLb1EEEEDaS1K_S1L_EUlS1K_E_NS1_11comp_targetILNS1_3genE10ELNS1_11target_archE1200ELNS1_3gpuE4ELNS1_3repE0EEENS1_30default_config_static_selectorELNS0_4arch9wavefront6targetE0EEEvSY_.numbered_sgpr, 0
	.set _ZN7rocprim17ROCPRIM_400000_NS6detail17trampoline_kernelINS0_13select_configILj256ELj13ELNS0_17block_load_methodE3ELS4_3ELS4_3ELNS0_20block_scan_algorithmE0ELj4294967295EEENS1_25partition_config_selectorILNS1_17partition_subalgoE3EjNS0_10empty_typeEbEEZZNS1_14partition_implILS8_3ELb0ES6_jNS0_17counting_iteratorIjlEEPS9_SE_NS0_5tupleIJPjSE_EEENSF_IJSE_SE_EEES9_SG_JZNS1_25segmented_radix_sort_implINS0_14default_configELb0EPKbPbPKlPlN2at6native12_GLOBAL__N_18offset_tEEE10hipError_tPvRmT1_PNSt15iterator_traitsISY_E10value_typeET2_T3_PNSZ_IS14_E10value_typeET4_jRbjT5_S1A_jjP12ihipStream_tbEUljE_EEESV_SW_SX_S14_S18_S1A_T6_T7_T9_mT8_S1C_bDpT10_ENKUlT_T0_E_clISt17integral_constantIbLb0EES1O_IbLb1EEEEDaS1K_S1L_EUlS1K_E_NS1_11comp_targetILNS1_3genE10ELNS1_11target_archE1200ELNS1_3gpuE4ELNS1_3repE0EEENS1_30default_config_static_selectorELNS0_4arch9wavefront6targetE0EEEvSY_.num_named_barrier, 0
	.set _ZN7rocprim17ROCPRIM_400000_NS6detail17trampoline_kernelINS0_13select_configILj256ELj13ELNS0_17block_load_methodE3ELS4_3ELS4_3ELNS0_20block_scan_algorithmE0ELj4294967295EEENS1_25partition_config_selectorILNS1_17partition_subalgoE3EjNS0_10empty_typeEbEEZZNS1_14partition_implILS8_3ELb0ES6_jNS0_17counting_iteratorIjlEEPS9_SE_NS0_5tupleIJPjSE_EEENSF_IJSE_SE_EEES9_SG_JZNS1_25segmented_radix_sort_implINS0_14default_configELb0EPKbPbPKlPlN2at6native12_GLOBAL__N_18offset_tEEE10hipError_tPvRmT1_PNSt15iterator_traitsISY_E10value_typeET2_T3_PNSZ_IS14_E10value_typeET4_jRbjT5_S1A_jjP12ihipStream_tbEUljE_EEESV_SW_SX_S14_S18_S1A_T6_T7_T9_mT8_S1C_bDpT10_ENKUlT_T0_E_clISt17integral_constantIbLb0EES1O_IbLb1EEEEDaS1K_S1L_EUlS1K_E_NS1_11comp_targetILNS1_3genE10ELNS1_11target_archE1200ELNS1_3gpuE4ELNS1_3repE0EEENS1_30default_config_static_selectorELNS0_4arch9wavefront6targetE0EEEvSY_.private_seg_size, 0
	.set _ZN7rocprim17ROCPRIM_400000_NS6detail17trampoline_kernelINS0_13select_configILj256ELj13ELNS0_17block_load_methodE3ELS4_3ELS4_3ELNS0_20block_scan_algorithmE0ELj4294967295EEENS1_25partition_config_selectorILNS1_17partition_subalgoE3EjNS0_10empty_typeEbEEZZNS1_14partition_implILS8_3ELb0ES6_jNS0_17counting_iteratorIjlEEPS9_SE_NS0_5tupleIJPjSE_EEENSF_IJSE_SE_EEES9_SG_JZNS1_25segmented_radix_sort_implINS0_14default_configELb0EPKbPbPKlPlN2at6native12_GLOBAL__N_18offset_tEEE10hipError_tPvRmT1_PNSt15iterator_traitsISY_E10value_typeET2_T3_PNSZ_IS14_E10value_typeET4_jRbjT5_S1A_jjP12ihipStream_tbEUljE_EEESV_SW_SX_S14_S18_S1A_T6_T7_T9_mT8_S1C_bDpT10_ENKUlT_T0_E_clISt17integral_constantIbLb0EES1O_IbLb1EEEEDaS1K_S1L_EUlS1K_E_NS1_11comp_targetILNS1_3genE10ELNS1_11target_archE1200ELNS1_3gpuE4ELNS1_3repE0EEENS1_30default_config_static_selectorELNS0_4arch9wavefront6targetE0EEEvSY_.uses_vcc, 0
	.set _ZN7rocprim17ROCPRIM_400000_NS6detail17trampoline_kernelINS0_13select_configILj256ELj13ELNS0_17block_load_methodE3ELS4_3ELS4_3ELNS0_20block_scan_algorithmE0ELj4294967295EEENS1_25partition_config_selectorILNS1_17partition_subalgoE3EjNS0_10empty_typeEbEEZZNS1_14partition_implILS8_3ELb0ES6_jNS0_17counting_iteratorIjlEEPS9_SE_NS0_5tupleIJPjSE_EEENSF_IJSE_SE_EEES9_SG_JZNS1_25segmented_radix_sort_implINS0_14default_configELb0EPKbPbPKlPlN2at6native12_GLOBAL__N_18offset_tEEE10hipError_tPvRmT1_PNSt15iterator_traitsISY_E10value_typeET2_T3_PNSZ_IS14_E10value_typeET4_jRbjT5_S1A_jjP12ihipStream_tbEUljE_EEESV_SW_SX_S14_S18_S1A_T6_T7_T9_mT8_S1C_bDpT10_ENKUlT_T0_E_clISt17integral_constantIbLb0EES1O_IbLb1EEEEDaS1K_S1L_EUlS1K_E_NS1_11comp_targetILNS1_3genE10ELNS1_11target_archE1200ELNS1_3gpuE4ELNS1_3repE0EEENS1_30default_config_static_selectorELNS0_4arch9wavefront6targetE0EEEvSY_.uses_flat_scratch, 0
	.set _ZN7rocprim17ROCPRIM_400000_NS6detail17trampoline_kernelINS0_13select_configILj256ELj13ELNS0_17block_load_methodE3ELS4_3ELS4_3ELNS0_20block_scan_algorithmE0ELj4294967295EEENS1_25partition_config_selectorILNS1_17partition_subalgoE3EjNS0_10empty_typeEbEEZZNS1_14partition_implILS8_3ELb0ES6_jNS0_17counting_iteratorIjlEEPS9_SE_NS0_5tupleIJPjSE_EEENSF_IJSE_SE_EEES9_SG_JZNS1_25segmented_radix_sort_implINS0_14default_configELb0EPKbPbPKlPlN2at6native12_GLOBAL__N_18offset_tEEE10hipError_tPvRmT1_PNSt15iterator_traitsISY_E10value_typeET2_T3_PNSZ_IS14_E10value_typeET4_jRbjT5_S1A_jjP12ihipStream_tbEUljE_EEESV_SW_SX_S14_S18_S1A_T6_T7_T9_mT8_S1C_bDpT10_ENKUlT_T0_E_clISt17integral_constantIbLb0EES1O_IbLb1EEEEDaS1K_S1L_EUlS1K_E_NS1_11comp_targetILNS1_3genE10ELNS1_11target_archE1200ELNS1_3gpuE4ELNS1_3repE0EEENS1_30default_config_static_selectorELNS0_4arch9wavefront6targetE0EEEvSY_.has_dyn_sized_stack, 0
	.set _ZN7rocprim17ROCPRIM_400000_NS6detail17trampoline_kernelINS0_13select_configILj256ELj13ELNS0_17block_load_methodE3ELS4_3ELS4_3ELNS0_20block_scan_algorithmE0ELj4294967295EEENS1_25partition_config_selectorILNS1_17partition_subalgoE3EjNS0_10empty_typeEbEEZZNS1_14partition_implILS8_3ELb0ES6_jNS0_17counting_iteratorIjlEEPS9_SE_NS0_5tupleIJPjSE_EEENSF_IJSE_SE_EEES9_SG_JZNS1_25segmented_radix_sort_implINS0_14default_configELb0EPKbPbPKlPlN2at6native12_GLOBAL__N_18offset_tEEE10hipError_tPvRmT1_PNSt15iterator_traitsISY_E10value_typeET2_T3_PNSZ_IS14_E10value_typeET4_jRbjT5_S1A_jjP12ihipStream_tbEUljE_EEESV_SW_SX_S14_S18_S1A_T6_T7_T9_mT8_S1C_bDpT10_ENKUlT_T0_E_clISt17integral_constantIbLb0EES1O_IbLb1EEEEDaS1K_S1L_EUlS1K_E_NS1_11comp_targetILNS1_3genE10ELNS1_11target_archE1200ELNS1_3gpuE4ELNS1_3repE0EEENS1_30default_config_static_selectorELNS0_4arch9wavefront6targetE0EEEvSY_.has_recursion, 0
	.set _ZN7rocprim17ROCPRIM_400000_NS6detail17trampoline_kernelINS0_13select_configILj256ELj13ELNS0_17block_load_methodE3ELS4_3ELS4_3ELNS0_20block_scan_algorithmE0ELj4294967295EEENS1_25partition_config_selectorILNS1_17partition_subalgoE3EjNS0_10empty_typeEbEEZZNS1_14partition_implILS8_3ELb0ES6_jNS0_17counting_iteratorIjlEEPS9_SE_NS0_5tupleIJPjSE_EEENSF_IJSE_SE_EEES9_SG_JZNS1_25segmented_radix_sort_implINS0_14default_configELb0EPKbPbPKlPlN2at6native12_GLOBAL__N_18offset_tEEE10hipError_tPvRmT1_PNSt15iterator_traitsISY_E10value_typeET2_T3_PNSZ_IS14_E10value_typeET4_jRbjT5_S1A_jjP12ihipStream_tbEUljE_EEESV_SW_SX_S14_S18_S1A_T6_T7_T9_mT8_S1C_bDpT10_ENKUlT_T0_E_clISt17integral_constantIbLb0EES1O_IbLb1EEEEDaS1K_S1L_EUlS1K_E_NS1_11comp_targetILNS1_3genE10ELNS1_11target_archE1200ELNS1_3gpuE4ELNS1_3repE0EEENS1_30default_config_static_selectorELNS0_4arch9wavefront6targetE0EEEvSY_.has_indirect_call, 0
	.section	.AMDGPU.csdata,"",@progbits
; Kernel info:
; codeLenInByte = 0
; TotalNumSgprs: 0
; NumVgprs: 0
; ScratchSize: 0
; MemoryBound: 0
; FloatMode: 240
; IeeeMode: 1
; LDSByteSize: 0 bytes/workgroup (compile time only)
; SGPRBlocks: 0
; VGPRBlocks: 0
; NumSGPRsForWavesPerEU: 1
; NumVGPRsForWavesPerEU: 1
; Occupancy: 16
; WaveLimiterHint : 0
; COMPUTE_PGM_RSRC2:SCRATCH_EN: 0
; COMPUTE_PGM_RSRC2:USER_SGPR: 6
; COMPUTE_PGM_RSRC2:TRAP_HANDLER: 0
; COMPUTE_PGM_RSRC2:TGID_X_EN: 1
; COMPUTE_PGM_RSRC2:TGID_Y_EN: 0
; COMPUTE_PGM_RSRC2:TGID_Z_EN: 0
; COMPUTE_PGM_RSRC2:TIDIG_COMP_CNT: 0
	.section	.text._ZN7rocprim17ROCPRIM_400000_NS6detail17trampoline_kernelINS0_13select_configILj256ELj13ELNS0_17block_load_methodE3ELS4_3ELS4_3ELNS0_20block_scan_algorithmE0ELj4294967295EEENS1_25partition_config_selectorILNS1_17partition_subalgoE3EjNS0_10empty_typeEbEEZZNS1_14partition_implILS8_3ELb0ES6_jNS0_17counting_iteratorIjlEEPS9_SE_NS0_5tupleIJPjSE_EEENSF_IJSE_SE_EEES9_SG_JZNS1_25segmented_radix_sort_implINS0_14default_configELb0EPKbPbPKlPlN2at6native12_GLOBAL__N_18offset_tEEE10hipError_tPvRmT1_PNSt15iterator_traitsISY_E10value_typeET2_T3_PNSZ_IS14_E10value_typeET4_jRbjT5_S1A_jjP12ihipStream_tbEUljE_EEESV_SW_SX_S14_S18_S1A_T6_T7_T9_mT8_S1C_bDpT10_ENKUlT_T0_E_clISt17integral_constantIbLb0EES1O_IbLb1EEEEDaS1K_S1L_EUlS1K_E_NS1_11comp_targetILNS1_3genE9ELNS1_11target_archE1100ELNS1_3gpuE3ELNS1_3repE0EEENS1_30default_config_static_selectorELNS0_4arch9wavefront6targetE0EEEvSY_,"axG",@progbits,_ZN7rocprim17ROCPRIM_400000_NS6detail17trampoline_kernelINS0_13select_configILj256ELj13ELNS0_17block_load_methodE3ELS4_3ELS4_3ELNS0_20block_scan_algorithmE0ELj4294967295EEENS1_25partition_config_selectorILNS1_17partition_subalgoE3EjNS0_10empty_typeEbEEZZNS1_14partition_implILS8_3ELb0ES6_jNS0_17counting_iteratorIjlEEPS9_SE_NS0_5tupleIJPjSE_EEENSF_IJSE_SE_EEES9_SG_JZNS1_25segmented_radix_sort_implINS0_14default_configELb0EPKbPbPKlPlN2at6native12_GLOBAL__N_18offset_tEEE10hipError_tPvRmT1_PNSt15iterator_traitsISY_E10value_typeET2_T3_PNSZ_IS14_E10value_typeET4_jRbjT5_S1A_jjP12ihipStream_tbEUljE_EEESV_SW_SX_S14_S18_S1A_T6_T7_T9_mT8_S1C_bDpT10_ENKUlT_T0_E_clISt17integral_constantIbLb0EES1O_IbLb1EEEEDaS1K_S1L_EUlS1K_E_NS1_11comp_targetILNS1_3genE9ELNS1_11target_archE1100ELNS1_3gpuE3ELNS1_3repE0EEENS1_30default_config_static_selectorELNS0_4arch9wavefront6targetE0EEEvSY_,comdat
	.globl	_ZN7rocprim17ROCPRIM_400000_NS6detail17trampoline_kernelINS0_13select_configILj256ELj13ELNS0_17block_load_methodE3ELS4_3ELS4_3ELNS0_20block_scan_algorithmE0ELj4294967295EEENS1_25partition_config_selectorILNS1_17partition_subalgoE3EjNS0_10empty_typeEbEEZZNS1_14partition_implILS8_3ELb0ES6_jNS0_17counting_iteratorIjlEEPS9_SE_NS0_5tupleIJPjSE_EEENSF_IJSE_SE_EEES9_SG_JZNS1_25segmented_radix_sort_implINS0_14default_configELb0EPKbPbPKlPlN2at6native12_GLOBAL__N_18offset_tEEE10hipError_tPvRmT1_PNSt15iterator_traitsISY_E10value_typeET2_T3_PNSZ_IS14_E10value_typeET4_jRbjT5_S1A_jjP12ihipStream_tbEUljE_EEESV_SW_SX_S14_S18_S1A_T6_T7_T9_mT8_S1C_bDpT10_ENKUlT_T0_E_clISt17integral_constantIbLb0EES1O_IbLb1EEEEDaS1K_S1L_EUlS1K_E_NS1_11comp_targetILNS1_3genE9ELNS1_11target_archE1100ELNS1_3gpuE3ELNS1_3repE0EEENS1_30default_config_static_selectorELNS0_4arch9wavefront6targetE0EEEvSY_ ; -- Begin function _ZN7rocprim17ROCPRIM_400000_NS6detail17trampoline_kernelINS0_13select_configILj256ELj13ELNS0_17block_load_methodE3ELS4_3ELS4_3ELNS0_20block_scan_algorithmE0ELj4294967295EEENS1_25partition_config_selectorILNS1_17partition_subalgoE3EjNS0_10empty_typeEbEEZZNS1_14partition_implILS8_3ELb0ES6_jNS0_17counting_iteratorIjlEEPS9_SE_NS0_5tupleIJPjSE_EEENSF_IJSE_SE_EEES9_SG_JZNS1_25segmented_radix_sort_implINS0_14default_configELb0EPKbPbPKlPlN2at6native12_GLOBAL__N_18offset_tEEE10hipError_tPvRmT1_PNSt15iterator_traitsISY_E10value_typeET2_T3_PNSZ_IS14_E10value_typeET4_jRbjT5_S1A_jjP12ihipStream_tbEUljE_EEESV_SW_SX_S14_S18_S1A_T6_T7_T9_mT8_S1C_bDpT10_ENKUlT_T0_E_clISt17integral_constantIbLb0EES1O_IbLb1EEEEDaS1K_S1L_EUlS1K_E_NS1_11comp_targetILNS1_3genE9ELNS1_11target_archE1100ELNS1_3gpuE3ELNS1_3repE0EEENS1_30default_config_static_selectorELNS0_4arch9wavefront6targetE0EEEvSY_
	.p2align	8
	.type	_ZN7rocprim17ROCPRIM_400000_NS6detail17trampoline_kernelINS0_13select_configILj256ELj13ELNS0_17block_load_methodE3ELS4_3ELS4_3ELNS0_20block_scan_algorithmE0ELj4294967295EEENS1_25partition_config_selectorILNS1_17partition_subalgoE3EjNS0_10empty_typeEbEEZZNS1_14partition_implILS8_3ELb0ES6_jNS0_17counting_iteratorIjlEEPS9_SE_NS0_5tupleIJPjSE_EEENSF_IJSE_SE_EEES9_SG_JZNS1_25segmented_radix_sort_implINS0_14default_configELb0EPKbPbPKlPlN2at6native12_GLOBAL__N_18offset_tEEE10hipError_tPvRmT1_PNSt15iterator_traitsISY_E10value_typeET2_T3_PNSZ_IS14_E10value_typeET4_jRbjT5_S1A_jjP12ihipStream_tbEUljE_EEESV_SW_SX_S14_S18_S1A_T6_T7_T9_mT8_S1C_bDpT10_ENKUlT_T0_E_clISt17integral_constantIbLb0EES1O_IbLb1EEEEDaS1K_S1L_EUlS1K_E_NS1_11comp_targetILNS1_3genE9ELNS1_11target_archE1100ELNS1_3gpuE3ELNS1_3repE0EEENS1_30default_config_static_selectorELNS0_4arch9wavefront6targetE0EEEvSY_,@function
_ZN7rocprim17ROCPRIM_400000_NS6detail17trampoline_kernelINS0_13select_configILj256ELj13ELNS0_17block_load_methodE3ELS4_3ELS4_3ELNS0_20block_scan_algorithmE0ELj4294967295EEENS1_25partition_config_selectorILNS1_17partition_subalgoE3EjNS0_10empty_typeEbEEZZNS1_14partition_implILS8_3ELb0ES6_jNS0_17counting_iteratorIjlEEPS9_SE_NS0_5tupleIJPjSE_EEENSF_IJSE_SE_EEES9_SG_JZNS1_25segmented_radix_sort_implINS0_14default_configELb0EPKbPbPKlPlN2at6native12_GLOBAL__N_18offset_tEEE10hipError_tPvRmT1_PNSt15iterator_traitsISY_E10value_typeET2_T3_PNSZ_IS14_E10value_typeET4_jRbjT5_S1A_jjP12ihipStream_tbEUljE_EEESV_SW_SX_S14_S18_S1A_T6_T7_T9_mT8_S1C_bDpT10_ENKUlT_T0_E_clISt17integral_constantIbLb0EES1O_IbLb1EEEEDaS1K_S1L_EUlS1K_E_NS1_11comp_targetILNS1_3genE9ELNS1_11target_archE1100ELNS1_3gpuE3ELNS1_3repE0EEENS1_30default_config_static_selectorELNS0_4arch9wavefront6targetE0EEEvSY_: ; @_ZN7rocprim17ROCPRIM_400000_NS6detail17trampoline_kernelINS0_13select_configILj256ELj13ELNS0_17block_load_methodE3ELS4_3ELS4_3ELNS0_20block_scan_algorithmE0ELj4294967295EEENS1_25partition_config_selectorILNS1_17partition_subalgoE3EjNS0_10empty_typeEbEEZZNS1_14partition_implILS8_3ELb0ES6_jNS0_17counting_iteratorIjlEEPS9_SE_NS0_5tupleIJPjSE_EEENSF_IJSE_SE_EEES9_SG_JZNS1_25segmented_radix_sort_implINS0_14default_configELb0EPKbPbPKlPlN2at6native12_GLOBAL__N_18offset_tEEE10hipError_tPvRmT1_PNSt15iterator_traitsISY_E10value_typeET2_T3_PNSZ_IS14_E10value_typeET4_jRbjT5_S1A_jjP12ihipStream_tbEUljE_EEESV_SW_SX_S14_S18_S1A_T6_T7_T9_mT8_S1C_bDpT10_ENKUlT_T0_E_clISt17integral_constantIbLb0EES1O_IbLb1EEEEDaS1K_S1L_EUlS1K_E_NS1_11comp_targetILNS1_3genE9ELNS1_11target_archE1100ELNS1_3gpuE3ELNS1_3repE0EEENS1_30default_config_static_selectorELNS0_4arch9wavefront6targetE0EEEvSY_
; %bb.0:
	.section	.rodata,"a",@progbits
	.p2align	6, 0x0
	.amdhsa_kernel _ZN7rocprim17ROCPRIM_400000_NS6detail17trampoline_kernelINS0_13select_configILj256ELj13ELNS0_17block_load_methodE3ELS4_3ELS4_3ELNS0_20block_scan_algorithmE0ELj4294967295EEENS1_25partition_config_selectorILNS1_17partition_subalgoE3EjNS0_10empty_typeEbEEZZNS1_14partition_implILS8_3ELb0ES6_jNS0_17counting_iteratorIjlEEPS9_SE_NS0_5tupleIJPjSE_EEENSF_IJSE_SE_EEES9_SG_JZNS1_25segmented_radix_sort_implINS0_14default_configELb0EPKbPbPKlPlN2at6native12_GLOBAL__N_18offset_tEEE10hipError_tPvRmT1_PNSt15iterator_traitsISY_E10value_typeET2_T3_PNSZ_IS14_E10value_typeET4_jRbjT5_S1A_jjP12ihipStream_tbEUljE_EEESV_SW_SX_S14_S18_S1A_T6_T7_T9_mT8_S1C_bDpT10_ENKUlT_T0_E_clISt17integral_constantIbLb0EES1O_IbLb1EEEEDaS1K_S1L_EUlS1K_E_NS1_11comp_targetILNS1_3genE9ELNS1_11target_archE1100ELNS1_3gpuE3ELNS1_3repE0EEENS1_30default_config_static_selectorELNS0_4arch9wavefront6targetE0EEEvSY_
		.amdhsa_group_segment_fixed_size 0
		.amdhsa_private_segment_fixed_size 0
		.amdhsa_kernarg_size 152
		.amdhsa_user_sgpr_count 6
		.amdhsa_user_sgpr_private_segment_buffer 1
		.amdhsa_user_sgpr_dispatch_ptr 0
		.amdhsa_user_sgpr_queue_ptr 0
		.amdhsa_user_sgpr_kernarg_segment_ptr 1
		.amdhsa_user_sgpr_dispatch_id 0
		.amdhsa_user_sgpr_flat_scratch_init 0
		.amdhsa_user_sgpr_private_segment_size 0
		.amdhsa_wavefront_size32 1
		.amdhsa_uses_dynamic_stack 0
		.amdhsa_system_sgpr_private_segment_wavefront_offset 0
		.amdhsa_system_sgpr_workgroup_id_x 1
		.amdhsa_system_sgpr_workgroup_id_y 0
		.amdhsa_system_sgpr_workgroup_id_z 0
		.amdhsa_system_sgpr_workgroup_info 0
		.amdhsa_system_vgpr_workitem_id 0
		.amdhsa_next_free_vgpr 1
		.amdhsa_next_free_sgpr 1
		.amdhsa_reserve_vcc 0
		.amdhsa_reserve_flat_scratch 0
		.amdhsa_float_round_mode_32 0
		.amdhsa_float_round_mode_16_64 0
		.amdhsa_float_denorm_mode_32 3
		.amdhsa_float_denorm_mode_16_64 3
		.amdhsa_dx10_clamp 1
		.amdhsa_ieee_mode 1
		.amdhsa_fp16_overflow 0
		.amdhsa_workgroup_processor_mode 1
		.amdhsa_memory_ordered 1
		.amdhsa_forward_progress 1
		.amdhsa_shared_vgpr_count 0
		.amdhsa_exception_fp_ieee_invalid_op 0
		.amdhsa_exception_fp_denorm_src 0
		.amdhsa_exception_fp_ieee_div_zero 0
		.amdhsa_exception_fp_ieee_overflow 0
		.amdhsa_exception_fp_ieee_underflow 0
		.amdhsa_exception_fp_ieee_inexact 0
		.amdhsa_exception_int_div_zero 0
	.end_amdhsa_kernel
	.section	.text._ZN7rocprim17ROCPRIM_400000_NS6detail17trampoline_kernelINS0_13select_configILj256ELj13ELNS0_17block_load_methodE3ELS4_3ELS4_3ELNS0_20block_scan_algorithmE0ELj4294967295EEENS1_25partition_config_selectorILNS1_17partition_subalgoE3EjNS0_10empty_typeEbEEZZNS1_14partition_implILS8_3ELb0ES6_jNS0_17counting_iteratorIjlEEPS9_SE_NS0_5tupleIJPjSE_EEENSF_IJSE_SE_EEES9_SG_JZNS1_25segmented_radix_sort_implINS0_14default_configELb0EPKbPbPKlPlN2at6native12_GLOBAL__N_18offset_tEEE10hipError_tPvRmT1_PNSt15iterator_traitsISY_E10value_typeET2_T3_PNSZ_IS14_E10value_typeET4_jRbjT5_S1A_jjP12ihipStream_tbEUljE_EEESV_SW_SX_S14_S18_S1A_T6_T7_T9_mT8_S1C_bDpT10_ENKUlT_T0_E_clISt17integral_constantIbLb0EES1O_IbLb1EEEEDaS1K_S1L_EUlS1K_E_NS1_11comp_targetILNS1_3genE9ELNS1_11target_archE1100ELNS1_3gpuE3ELNS1_3repE0EEENS1_30default_config_static_selectorELNS0_4arch9wavefront6targetE0EEEvSY_,"axG",@progbits,_ZN7rocprim17ROCPRIM_400000_NS6detail17trampoline_kernelINS0_13select_configILj256ELj13ELNS0_17block_load_methodE3ELS4_3ELS4_3ELNS0_20block_scan_algorithmE0ELj4294967295EEENS1_25partition_config_selectorILNS1_17partition_subalgoE3EjNS0_10empty_typeEbEEZZNS1_14partition_implILS8_3ELb0ES6_jNS0_17counting_iteratorIjlEEPS9_SE_NS0_5tupleIJPjSE_EEENSF_IJSE_SE_EEES9_SG_JZNS1_25segmented_radix_sort_implINS0_14default_configELb0EPKbPbPKlPlN2at6native12_GLOBAL__N_18offset_tEEE10hipError_tPvRmT1_PNSt15iterator_traitsISY_E10value_typeET2_T3_PNSZ_IS14_E10value_typeET4_jRbjT5_S1A_jjP12ihipStream_tbEUljE_EEESV_SW_SX_S14_S18_S1A_T6_T7_T9_mT8_S1C_bDpT10_ENKUlT_T0_E_clISt17integral_constantIbLb0EES1O_IbLb1EEEEDaS1K_S1L_EUlS1K_E_NS1_11comp_targetILNS1_3genE9ELNS1_11target_archE1100ELNS1_3gpuE3ELNS1_3repE0EEENS1_30default_config_static_selectorELNS0_4arch9wavefront6targetE0EEEvSY_,comdat
.Lfunc_end1624:
	.size	_ZN7rocprim17ROCPRIM_400000_NS6detail17trampoline_kernelINS0_13select_configILj256ELj13ELNS0_17block_load_methodE3ELS4_3ELS4_3ELNS0_20block_scan_algorithmE0ELj4294967295EEENS1_25partition_config_selectorILNS1_17partition_subalgoE3EjNS0_10empty_typeEbEEZZNS1_14partition_implILS8_3ELb0ES6_jNS0_17counting_iteratorIjlEEPS9_SE_NS0_5tupleIJPjSE_EEENSF_IJSE_SE_EEES9_SG_JZNS1_25segmented_radix_sort_implINS0_14default_configELb0EPKbPbPKlPlN2at6native12_GLOBAL__N_18offset_tEEE10hipError_tPvRmT1_PNSt15iterator_traitsISY_E10value_typeET2_T3_PNSZ_IS14_E10value_typeET4_jRbjT5_S1A_jjP12ihipStream_tbEUljE_EEESV_SW_SX_S14_S18_S1A_T6_T7_T9_mT8_S1C_bDpT10_ENKUlT_T0_E_clISt17integral_constantIbLb0EES1O_IbLb1EEEEDaS1K_S1L_EUlS1K_E_NS1_11comp_targetILNS1_3genE9ELNS1_11target_archE1100ELNS1_3gpuE3ELNS1_3repE0EEENS1_30default_config_static_selectorELNS0_4arch9wavefront6targetE0EEEvSY_, .Lfunc_end1624-_ZN7rocprim17ROCPRIM_400000_NS6detail17trampoline_kernelINS0_13select_configILj256ELj13ELNS0_17block_load_methodE3ELS4_3ELS4_3ELNS0_20block_scan_algorithmE0ELj4294967295EEENS1_25partition_config_selectorILNS1_17partition_subalgoE3EjNS0_10empty_typeEbEEZZNS1_14partition_implILS8_3ELb0ES6_jNS0_17counting_iteratorIjlEEPS9_SE_NS0_5tupleIJPjSE_EEENSF_IJSE_SE_EEES9_SG_JZNS1_25segmented_radix_sort_implINS0_14default_configELb0EPKbPbPKlPlN2at6native12_GLOBAL__N_18offset_tEEE10hipError_tPvRmT1_PNSt15iterator_traitsISY_E10value_typeET2_T3_PNSZ_IS14_E10value_typeET4_jRbjT5_S1A_jjP12ihipStream_tbEUljE_EEESV_SW_SX_S14_S18_S1A_T6_T7_T9_mT8_S1C_bDpT10_ENKUlT_T0_E_clISt17integral_constantIbLb0EES1O_IbLb1EEEEDaS1K_S1L_EUlS1K_E_NS1_11comp_targetILNS1_3genE9ELNS1_11target_archE1100ELNS1_3gpuE3ELNS1_3repE0EEENS1_30default_config_static_selectorELNS0_4arch9wavefront6targetE0EEEvSY_
                                        ; -- End function
	.set _ZN7rocprim17ROCPRIM_400000_NS6detail17trampoline_kernelINS0_13select_configILj256ELj13ELNS0_17block_load_methodE3ELS4_3ELS4_3ELNS0_20block_scan_algorithmE0ELj4294967295EEENS1_25partition_config_selectorILNS1_17partition_subalgoE3EjNS0_10empty_typeEbEEZZNS1_14partition_implILS8_3ELb0ES6_jNS0_17counting_iteratorIjlEEPS9_SE_NS0_5tupleIJPjSE_EEENSF_IJSE_SE_EEES9_SG_JZNS1_25segmented_radix_sort_implINS0_14default_configELb0EPKbPbPKlPlN2at6native12_GLOBAL__N_18offset_tEEE10hipError_tPvRmT1_PNSt15iterator_traitsISY_E10value_typeET2_T3_PNSZ_IS14_E10value_typeET4_jRbjT5_S1A_jjP12ihipStream_tbEUljE_EEESV_SW_SX_S14_S18_S1A_T6_T7_T9_mT8_S1C_bDpT10_ENKUlT_T0_E_clISt17integral_constantIbLb0EES1O_IbLb1EEEEDaS1K_S1L_EUlS1K_E_NS1_11comp_targetILNS1_3genE9ELNS1_11target_archE1100ELNS1_3gpuE3ELNS1_3repE0EEENS1_30default_config_static_selectorELNS0_4arch9wavefront6targetE0EEEvSY_.num_vgpr, 0
	.set _ZN7rocprim17ROCPRIM_400000_NS6detail17trampoline_kernelINS0_13select_configILj256ELj13ELNS0_17block_load_methodE3ELS4_3ELS4_3ELNS0_20block_scan_algorithmE0ELj4294967295EEENS1_25partition_config_selectorILNS1_17partition_subalgoE3EjNS0_10empty_typeEbEEZZNS1_14partition_implILS8_3ELb0ES6_jNS0_17counting_iteratorIjlEEPS9_SE_NS0_5tupleIJPjSE_EEENSF_IJSE_SE_EEES9_SG_JZNS1_25segmented_radix_sort_implINS0_14default_configELb0EPKbPbPKlPlN2at6native12_GLOBAL__N_18offset_tEEE10hipError_tPvRmT1_PNSt15iterator_traitsISY_E10value_typeET2_T3_PNSZ_IS14_E10value_typeET4_jRbjT5_S1A_jjP12ihipStream_tbEUljE_EEESV_SW_SX_S14_S18_S1A_T6_T7_T9_mT8_S1C_bDpT10_ENKUlT_T0_E_clISt17integral_constantIbLb0EES1O_IbLb1EEEEDaS1K_S1L_EUlS1K_E_NS1_11comp_targetILNS1_3genE9ELNS1_11target_archE1100ELNS1_3gpuE3ELNS1_3repE0EEENS1_30default_config_static_selectorELNS0_4arch9wavefront6targetE0EEEvSY_.num_agpr, 0
	.set _ZN7rocprim17ROCPRIM_400000_NS6detail17trampoline_kernelINS0_13select_configILj256ELj13ELNS0_17block_load_methodE3ELS4_3ELS4_3ELNS0_20block_scan_algorithmE0ELj4294967295EEENS1_25partition_config_selectorILNS1_17partition_subalgoE3EjNS0_10empty_typeEbEEZZNS1_14partition_implILS8_3ELb0ES6_jNS0_17counting_iteratorIjlEEPS9_SE_NS0_5tupleIJPjSE_EEENSF_IJSE_SE_EEES9_SG_JZNS1_25segmented_radix_sort_implINS0_14default_configELb0EPKbPbPKlPlN2at6native12_GLOBAL__N_18offset_tEEE10hipError_tPvRmT1_PNSt15iterator_traitsISY_E10value_typeET2_T3_PNSZ_IS14_E10value_typeET4_jRbjT5_S1A_jjP12ihipStream_tbEUljE_EEESV_SW_SX_S14_S18_S1A_T6_T7_T9_mT8_S1C_bDpT10_ENKUlT_T0_E_clISt17integral_constantIbLb0EES1O_IbLb1EEEEDaS1K_S1L_EUlS1K_E_NS1_11comp_targetILNS1_3genE9ELNS1_11target_archE1100ELNS1_3gpuE3ELNS1_3repE0EEENS1_30default_config_static_selectorELNS0_4arch9wavefront6targetE0EEEvSY_.numbered_sgpr, 0
	.set _ZN7rocprim17ROCPRIM_400000_NS6detail17trampoline_kernelINS0_13select_configILj256ELj13ELNS0_17block_load_methodE3ELS4_3ELS4_3ELNS0_20block_scan_algorithmE0ELj4294967295EEENS1_25partition_config_selectorILNS1_17partition_subalgoE3EjNS0_10empty_typeEbEEZZNS1_14partition_implILS8_3ELb0ES6_jNS0_17counting_iteratorIjlEEPS9_SE_NS0_5tupleIJPjSE_EEENSF_IJSE_SE_EEES9_SG_JZNS1_25segmented_radix_sort_implINS0_14default_configELb0EPKbPbPKlPlN2at6native12_GLOBAL__N_18offset_tEEE10hipError_tPvRmT1_PNSt15iterator_traitsISY_E10value_typeET2_T3_PNSZ_IS14_E10value_typeET4_jRbjT5_S1A_jjP12ihipStream_tbEUljE_EEESV_SW_SX_S14_S18_S1A_T6_T7_T9_mT8_S1C_bDpT10_ENKUlT_T0_E_clISt17integral_constantIbLb0EES1O_IbLb1EEEEDaS1K_S1L_EUlS1K_E_NS1_11comp_targetILNS1_3genE9ELNS1_11target_archE1100ELNS1_3gpuE3ELNS1_3repE0EEENS1_30default_config_static_selectorELNS0_4arch9wavefront6targetE0EEEvSY_.num_named_barrier, 0
	.set _ZN7rocprim17ROCPRIM_400000_NS6detail17trampoline_kernelINS0_13select_configILj256ELj13ELNS0_17block_load_methodE3ELS4_3ELS4_3ELNS0_20block_scan_algorithmE0ELj4294967295EEENS1_25partition_config_selectorILNS1_17partition_subalgoE3EjNS0_10empty_typeEbEEZZNS1_14partition_implILS8_3ELb0ES6_jNS0_17counting_iteratorIjlEEPS9_SE_NS0_5tupleIJPjSE_EEENSF_IJSE_SE_EEES9_SG_JZNS1_25segmented_radix_sort_implINS0_14default_configELb0EPKbPbPKlPlN2at6native12_GLOBAL__N_18offset_tEEE10hipError_tPvRmT1_PNSt15iterator_traitsISY_E10value_typeET2_T3_PNSZ_IS14_E10value_typeET4_jRbjT5_S1A_jjP12ihipStream_tbEUljE_EEESV_SW_SX_S14_S18_S1A_T6_T7_T9_mT8_S1C_bDpT10_ENKUlT_T0_E_clISt17integral_constantIbLb0EES1O_IbLb1EEEEDaS1K_S1L_EUlS1K_E_NS1_11comp_targetILNS1_3genE9ELNS1_11target_archE1100ELNS1_3gpuE3ELNS1_3repE0EEENS1_30default_config_static_selectorELNS0_4arch9wavefront6targetE0EEEvSY_.private_seg_size, 0
	.set _ZN7rocprim17ROCPRIM_400000_NS6detail17trampoline_kernelINS0_13select_configILj256ELj13ELNS0_17block_load_methodE3ELS4_3ELS4_3ELNS0_20block_scan_algorithmE0ELj4294967295EEENS1_25partition_config_selectorILNS1_17partition_subalgoE3EjNS0_10empty_typeEbEEZZNS1_14partition_implILS8_3ELb0ES6_jNS0_17counting_iteratorIjlEEPS9_SE_NS0_5tupleIJPjSE_EEENSF_IJSE_SE_EEES9_SG_JZNS1_25segmented_radix_sort_implINS0_14default_configELb0EPKbPbPKlPlN2at6native12_GLOBAL__N_18offset_tEEE10hipError_tPvRmT1_PNSt15iterator_traitsISY_E10value_typeET2_T3_PNSZ_IS14_E10value_typeET4_jRbjT5_S1A_jjP12ihipStream_tbEUljE_EEESV_SW_SX_S14_S18_S1A_T6_T7_T9_mT8_S1C_bDpT10_ENKUlT_T0_E_clISt17integral_constantIbLb0EES1O_IbLb1EEEEDaS1K_S1L_EUlS1K_E_NS1_11comp_targetILNS1_3genE9ELNS1_11target_archE1100ELNS1_3gpuE3ELNS1_3repE0EEENS1_30default_config_static_selectorELNS0_4arch9wavefront6targetE0EEEvSY_.uses_vcc, 0
	.set _ZN7rocprim17ROCPRIM_400000_NS6detail17trampoline_kernelINS0_13select_configILj256ELj13ELNS0_17block_load_methodE3ELS4_3ELS4_3ELNS0_20block_scan_algorithmE0ELj4294967295EEENS1_25partition_config_selectorILNS1_17partition_subalgoE3EjNS0_10empty_typeEbEEZZNS1_14partition_implILS8_3ELb0ES6_jNS0_17counting_iteratorIjlEEPS9_SE_NS0_5tupleIJPjSE_EEENSF_IJSE_SE_EEES9_SG_JZNS1_25segmented_radix_sort_implINS0_14default_configELb0EPKbPbPKlPlN2at6native12_GLOBAL__N_18offset_tEEE10hipError_tPvRmT1_PNSt15iterator_traitsISY_E10value_typeET2_T3_PNSZ_IS14_E10value_typeET4_jRbjT5_S1A_jjP12ihipStream_tbEUljE_EEESV_SW_SX_S14_S18_S1A_T6_T7_T9_mT8_S1C_bDpT10_ENKUlT_T0_E_clISt17integral_constantIbLb0EES1O_IbLb1EEEEDaS1K_S1L_EUlS1K_E_NS1_11comp_targetILNS1_3genE9ELNS1_11target_archE1100ELNS1_3gpuE3ELNS1_3repE0EEENS1_30default_config_static_selectorELNS0_4arch9wavefront6targetE0EEEvSY_.uses_flat_scratch, 0
	.set _ZN7rocprim17ROCPRIM_400000_NS6detail17trampoline_kernelINS0_13select_configILj256ELj13ELNS0_17block_load_methodE3ELS4_3ELS4_3ELNS0_20block_scan_algorithmE0ELj4294967295EEENS1_25partition_config_selectorILNS1_17partition_subalgoE3EjNS0_10empty_typeEbEEZZNS1_14partition_implILS8_3ELb0ES6_jNS0_17counting_iteratorIjlEEPS9_SE_NS0_5tupleIJPjSE_EEENSF_IJSE_SE_EEES9_SG_JZNS1_25segmented_radix_sort_implINS0_14default_configELb0EPKbPbPKlPlN2at6native12_GLOBAL__N_18offset_tEEE10hipError_tPvRmT1_PNSt15iterator_traitsISY_E10value_typeET2_T3_PNSZ_IS14_E10value_typeET4_jRbjT5_S1A_jjP12ihipStream_tbEUljE_EEESV_SW_SX_S14_S18_S1A_T6_T7_T9_mT8_S1C_bDpT10_ENKUlT_T0_E_clISt17integral_constantIbLb0EES1O_IbLb1EEEEDaS1K_S1L_EUlS1K_E_NS1_11comp_targetILNS1_3genE9ELNS1_11target_archE1100ELNS1_3gpuE3ELNS1_3repE0EEENS1_30default_config_static_selectorELNS0_4arch9wavefront6targetE0EEEvSY_.has_dyn_sized_stack, 0
	.set _ZN7rocprim17ROCPRIM_400000_NS6detail17trampoline_kernelINS0_13select_configILj256ELj13ELNS0_17block_load_methodE3ELS4_3ELS4_3ELNS0_20block_scan_algorithmE0ELj4294967295EEENS1_25partition_config_selectorILNS1_17partition_subalgoE3EjNS0_10empty_typeEbEEZZNS1_14partition_implILS8_3ELb0ES6_jNS0_17counting_iteratorIjlEEPS9_SE_NS0_5tupleIJPjSE_EEENSF_IJSE_SE_EEES9_SG_JZNS1_25segmented_radix_sort_implINS0_14default_configELb0EPKbPbPKlPlN2at6native12_GLOBAL__N_18offset_tEEE10hipError_tPvRmT1_PNSt15iterator_traitsISY_E10value_typeET2_T3_PNSZ_IS14_E10value_typeET4_jRbjT5_S1A_jjP12ihipStream_tbEUljE_EEESV_SW_SX_S14_S18_S1A_T6_T7_T9_mT8_S1C_bDpT10_ENKUlT_T0_E_clISt17integral_constantIbLb0EES1O_IbLb1EEEEDaS1K_S1L_EUlS1K_E_NS1_11comp_targetILNS1_3genE9ELNS1_11target_archE1100ELNS1_3gpuE3ELNS1_3repE0EEENS1_30default_config_static_selectorELNS0_4arch9wavefront6targetE0EEEvSY_.has_recursion, 0
	.set _ZN7rocprim17ROCPRIM_400000_NS6detail17trampoline_kernelINS0_13select_configILj256ELj13ELNS0_17block_load_methodE3ELS4_3ELS4_3ELNS0_20block_scan_algorithmE0ELj4294967295EEENS1_25partition_config_selectorILNS1_17partition_subalgoE3EjNS0_10empty_typeEbEEZZNS1_14partition_implILS8_3ELb0ES6_jNS0_17counting_iteratorIjlEEPS9_SE_NS0_5tupleIJPjSE_EEENSF_IJSE_SE_EEES9_SG_JZNS1_25segmented_radix_sort_implINS0_14default_configELb0EPKbPbPKlPlN2at6native12_GLOBAL__N_18offset_tEEE10hipError_tPvRmT1_PNSt15iterator_traitsISY_E10value_typeET2_T3_PNSZ_IS14_E10value_typeET4_jRbjT5_S1A_jjP12ihipStream_tbEUljE_EEESV_SW_SX_S14_S18_S1A_T6_T7_T9_mT8_S1C_bDpT10_ENKUlT_T0_E_clISt17integral_constantIbLb0EES1O_IbLb1EEEEDaS1K_S1L_EUlS1K_E_NS1_11comp_targetILNS1_3genE9ELNS1_11target_archE1100ELNS1_3gpuE3ELNS1_3repE0EEENS1_30default_config_static_selectorELNS0_4arch9wavefront6targetE0EEEvSY_.has_indirect_call, 0
	.section	.AMDGPU.csdata,"",@progbits
; Kernel info:
; codeLenInByte = 0
; TotalNumSgprs: 0
; NumVgprs: 0
; ScratchSize: 0
; MemoryBound: 0
; FloatMode: 240
; IeeeMode: 1
; LDSByteSize: 0 bytes/workgroup (compile time only)
; SGPRBlocks: 0
; VGPRBlocks: 0
; NumSGPRsForWavesPerEU: 1
; NumVGPRsForWavesPerEU: 1
; Occupancy: 16
; WaveLimiterHint : 0
; COMPUTE_PGM_RSRC2:SCRATCH_EN: 0
; COMPUTE_PGM_RSRC2:USER_SGPR: 6
; COMPUTE_PGM_RSRC2:TRAP_HANDLER: 0
; COMPUTE_PGM_RSRC2:TGID_X_EN: 1
; COMPUTE_PGM_RSRC2:TGID_Y_EN: 0
; COMPUTE_PGM_RSRC2:TGID_Z_EN: 0
; COMPUTE_PGM_RSRC2:TIDIG_COMP_CNT: 0
	.section	.text._ZN7rocprim17ROCPRIM_400000_NS6detail17trampoline_kernelINS0_13select_configILj256ELj13ELNS0_17block_load_methodE3ELS4_3ELS4_3ELNS0_20block_scan_algorithmE0ELj4294967295EEENS1_25partition_config_selectorILNS1_17partition_subalgoE3EjNS0_10empty_typeEbEEZZNS1_14partition_implILS8_3ELb0ES6_jNS0_17counting_iteratorIjlEEPS9_SE_NS0_5tupleIJPjSE_EEENSF_IJSE_SE_EEES9_SG_JZNS1_25segmented_radix_sort_implINS0_14default_configELb0EPKbPbPKlPlN2at6native12_GLOBAL__N_18offset_tEEE10hipError_tPvRmT1_PNSt15iterator_traitsISY_E10value_typeET2_T3_PNSZ_IS14_E10value_typeET4_jRbjT5_S1A_jjP12ihipStream_tbEUljE_EEESV_SW_SX_S14_S18_S1A_T6_T7_T9_mT8_S1C_bDpT10_ENKUlT_T0_E_clISt17integral_constantIbLb0EES1O_IbLb1EEEEDaS1K_S1L_EUlS1K_E_NS1_11comp_targetILNS1_3genE8ELNS1_11target_archE1030ELNS1_3gpuE2ELNS1_3repE0EEENS1_30default_config_static_selectorELNS0_4arch9wavefront6targetE0EEEvSY_,"axG",@progbits,_ZN7rocprim17ROCPRIM_400000_NS6detail17trampoline_kernelINS0_13select_configILj256ELj13ELNS0_17block_load_methodE3ELS4_3ELS4_3ELNS0_20block_scan_algorithmE0ELj4294967295EEENS1_25partition_config_selectorILNS1_17partition_subalgoE3EjNS0_10empty_typeEbEEZZNS1_14partition_implILS8_3ELb0ES6_jNS0_17counting_iteratorIjlEEPS9_SE_NS0_5tupleIJPjSE_EEENSF_IJSE_SE_EEES9_SG_JZNS1_25segmented_radix_sort_implINS0_14default_configELb0EPKbPbPKlPlN2at6native12_GLOBAL__N_18offset_tEEE10hipError_tPvRmT1_PNSt15iterator_traitsISY_E10value_typeET2_T3_PNSZ_IS14_E10value_typeET4_jRbjT5_S1A_jjP12ihipStream_tbEUljE_EEESV_SW_SX_S14_S18_S1A_T6_T7_T9_mT8_S1C_bDpT10_ENKUlT_T0_E_clISt17integral_constantIbLb0EES1O_IbLb1EEEEDaS1K_S1L_EUlS1K_E_NS1_11comp_targetILNS1_3genE8ELNS1_11target_archE1030ELNS1_3gpuE2ELNS1_3repE0EEENS1_30default_config_static_selectorELNS0_4arch9wavefront6targetE0EEEvSY_,comdat
	.globl	_ZN7rocprim17ROCPRIM_400000_NS6detail17trampoline_kernelINS0_13select_configILj256ELj13ELNS0_17block_load_methodE3ELS4_3ELS4_3ELNS0_20block_scan_algorithmE0ELj4294967295EEENS1_25partition_config_selectorILNS1_17partition_subalgoE3EjNS0_10empty_typeEbEEZZNS1_14partition_implILS8_3ELb0ES6_jNS0_17counting_iteratorIjlEEPS9_SE_NS0_5tupleIJPjSE_EEENSF_IJSE_SE_EEES9_SG_JZNS1_25segmented_radix_sort_implINS0_14default_configELb0EPKbPbPKlPlN2at6native12_GLOBAL__N_18offset_tEEE10hipError_tPvRmT1_PNSt15iterator_traitsISY_E10value_typeET2_T3_PNSZ_IS14_E10value_typeET4_jRbjT5_S1A_jjP12ihipStream_tbEUljE_EEESV_SW_SX_S14_S18_S1A_T6_T7_T9_mT8_S1C_bDpT10_ENKUlT_T0_E_clISt17integral_constantIbLb0EES1O_IbLb1EEEEDaS1K_S1L_EUlS1K_E_NS1_11comp_targetILNS1_3genE8ELNS1_11target_archE1030ELNS1_3gpuE2ELNS1_3repE0EEENS1_30default_config_static_selectorELNS0_4arch9wavefront6targetE0EEEvSY_ ; -- Begin function _ZN7rocprim17ROCPRIM_400000_NS6detail17trampoline_kernelINS0_13select_configILj256ELj13ELNS0_17block_load_methodE3ELS4_3ELS4_3ELNS0_20block_scan_algorithmE0ELj4294967295EEENS1_25partition_config_selectorILNS1_17partition_subalgoE3EjNS0_10empty_typeEbEEZZNS1_14partition_implILS8_3ELb0ES6_jNS0_17counting_iteratorIjlEEPS9_SE_NS0_5tupleIJPjSE_EEENSF_IJSE_SE_EEES9_SG_JZNS1_25segmented_radix_sort_implINS0_14default_configELb0EPKbPbPKlPlN2at6native12_GLOBAL__N_18offset_tEEE10hipError_tPvRmT1_PNSt15iterator_traitsISY_E10value_typeET2_T3_PNSZ_IS14_E10value_typeET4_jRbjT5_S1A_jjP12ihipStream_tbEUljE_EEESV_SW_SX_S14_S18_S1A_T6_T7_T9_mT8_S1C_bDpT10_ENKUlT_T0_E_clISt17integral_constantIbLb0EES1O_IbLb1EEEEDaS1K_S1L_EUlS1K_E_NS1_11comp_targetILNS1_3genE8ELNS1_11target_archE1030ELNS1_3gpuE2ELNS1_3repE0EEENS1_30default_config_static_selectorELNS0_4arch9wavefront6targetE0EEEvSY_
	.p2align	8
	.type	_ZN7rocprim17ROCPRIM_400000_NS6detail17trampoline_kernelINS0_13select_configILj256ELj13ELNS0_17block_load_methodE3ELS4_3ELS4_3ELNS0_20block_scan_algorithmE0ELj4294967295EEENS1_25partition_config_selectorILNS1_17partition_subalgoE3EjNS0_10empty_typeEbEEZZNS1_14partition_implILS8_3ELb0ES6_jNS0_17counting_iteratorIjlEEPS9_SE_NS0_5tupleIJPjSE_EEENSF_IJSE_SE_EEES9_SG_JZNS1_25segmented_radix_sort_implINS0_14default_configELb0EPKbPbPKlPlN2at6native12_GLOBAL__N_18offset_tEEE10hipError_tPvRmT1_PNSt15iterator_traitsISY_E10value_typeET2_T3_PNSZ_IS14_E10value_typeET4_jRbjT5_S1A_jjP12ihipStream_tbEUljE_EEESV_SW_SX_S14_S18_S1A_T6_T7_T9_mT8_S1C_bDpT10_ENKUlT_T0_E_clISt17integral_constantIbLb0EES1O_IbLb1EEEEDaS1K_S1L_EUlS1K_E_NS1_11comp_targetILNS1_3genE8ELNS1_11target_archE1030ELNS1_3gpuE2ELNS1_3repE0EEENS1_30default_config_static_selectorELNS0_4arch9wavefront6targetE0EEEvSY_,@function
_ZN7rocprim17ROCPRIM_400000_NS6detail17trampoline_kernelINS0_13select_configILj256ELj13ELNS0_17block_load_methodE3ELS4_3ELS4_3ELNS0_20block_scan_algorithmE0ELj4294967295EEENS1_25partition_config_selectorILNS1_17partition_subalgoE3EjNS0_10empty_typeEbEEZZNS1_14partition_implILS8_3ELb0ES6_jNS0_17counting_iteratorIjlEEPS9_SE_NS0_5tupleIJPjSE_EEENSF_IJSE_SE_EEES9_SG_JZNS1_25segmented_radix_sort_implINS0_14default_configELb0EPKbPbPKlPlN2at6native12_GLOBAL__N_18offset_tEEE10hipError_tPvRmT1_PNSt15iterator_traitsISY_E10value_typeET2_T3_PNSZ_IS14_E10value_typeET4_jRbjT5_S1A_jjP12ihipStream_tbEUljE_EEESV_SW_SX_S14_S18_S1A_T6_T7_T9_mT8_S1C_bDpT10_ENKUlT_T0_E_clISt17integral_constantIbLb0EES1O_IbLb1EEEEDaS1K_S1L_EUlS1K_E_NS1_11comp_targetILNS1_3genE8ELNS1_11target_archE1030ELNS1_3gpuE2ELNS1_3repE0EEENS1_30default_config_static_selectorELNS0_4arch9wavefront6targetE0EEEvSY_: ; @_ZN7rocprim17ROCPRIM_400000_NS6detail17trampoline_kernelINS0_13select_configILj256ELj13ELNS0_17block_load_methodE3ELS4_3ELS4_3ELNS0_20block_scan_algorithmE0ELj4294967295EEENS1_25partition_config_selectorILNS1_17partition_subalgoE3EjNS0_10empty_typeEbEEZZNS1_14partition_implILS8_3ELb0ES6_jNS0_17counting_iteratorIjlEEPS9_SE_NS0_5tupleIJPjSE_EEENSF_IJSE_SE_EEES9_SG_JZNS1_25segmented_radix_sort_implINS0_14default_configELb0EPKbPbPKlPlN2at6native12_GLOBAL__N_18offset_tEEE10hipError_tPvRmT1_PNSt15iterator_traitsISY_E10value_typeET2_T3_PNSZ_IS14_E10value_typeET4_jRbjT5_S1A_jjP12ihipStream_tbEUljE_EEESV_SW_SX_S14_S18_S1A_T6_T7_T9_mT8_S1C_bDpT10_ENKUlT_T0_E_clISt17integral_constantIbLb0EES1O_IbLb1EEEEDaS1K_S1L_EUlS1K_E_NS1_11comp_targetILNS1_3genE8ELNS1_11target_archE1030ELNS1_3gpuE2ELNS1_3repE0EEENS1_30default_config_static_selectorELNS0_4arch9wavefront6targetE0EEEvSY_
; %bb.0:
	s_clause 0x6
	s_load_dwordx2 s[18:19], s[4:5], 0x10
	s_load_dwordx2 s[16:17], s[4:5], 0x28
	;; [unrolled: 1-line block ×3, first 2 shown]
	s_load_dwordx4 s[12:15], s[4:5], 0x48
	s_load_dword s2, s[4:5], 0x90
	s_load_dwordx2 s[22:23], s[4:5], 0x68
	s_load_dwordx4 s[8:11], s[4:5], 0x80
	v_cmp_eq_u32_e64 s0, 0, v0
	s_and_saveexec_b32 s1, s0
	s_cbranch_execz .LBB1625_4
; %bb.1:
	s_mov_b32 s6, exec_lo
	s_mov_b32 s3, exec_lo
	v_mbcnt_lo_u32_b32 v1, s6, 0
                                        ; implicit-def: $vgpr2
	v_cmpx_eq_u32_e32 0, v1
	s_cbranch_execz .LBB1625_3
; %bb.2:
	s_load_dwordx2 s[24:25], s[4:5], 0x78
	s_bcnt1_i32_b32 s6, s6
	v_mov_b32_e32 v2, 0
	v_mov_b32_e32 v3, s6
	s_waitcnt lgkmcnt(0)
	global_atomic_add v2, v2, v3, s[24:25] glc
.LBB1625_3:
	s_or_b32 exec_lo, exec_lo, s3
	s_waitcnt vmcnt(0)
	v_readfirstlane_b32 s3, v2
	v_mov_b32_e32 v2, 0
	v_add_nc_u32_e32 v1, s3, v1
	ds_write_b32 v2, v1
.LBB1625_4:
	s_or_b32 exec_lo, exec_lo, s1
	v_mov_b32_e32 v1, 0
	s_clause 0x1
	s_load_dword s3, s[4:5], 0x8
	s_load_dword s1, s[4:5], 0x70
	s_waitcnt lgkmcnt(0)
	s_barrier
	buffer_gl0_inv
	ds_read_b32 v2, v1
	s_waitcnt lgkmcnt(0)
	s_barrier
	buffer_gl0_inv
	global_load_dwordx2 v[18:19], v1, s[14:15]
	v_lshlrev_b32_e32 v44, 2, v0
	s_add_i32 s4, s3, s18
	s_mul_i32 s5, s1, 0xd00
	s_add_i32 s1, s1, -1
	s_add_i32 s3, s5, s18
	s_sub_i32 s15, s20, s3
	v_readfirstlane_b32 s25, v2
	s_addk_i32 s15, 0xd00
	s_add_u32 s6, s18, s5
	s_addc_u32 s7, s19, 0
	v_cmp_ne_u32_e32 vcc_lo, s1, v2
	v_cmp_gt_u64_e64 s3, s[20:21], s[6:7]
	s_cmp_eq_u32 s25, s1
	s_mul_i32 s24, s25, 0xd00
	s_cselect_b32 s14, -1, 0
	s_mov_b32 s5, -1
	s_or_b32 s3, s3, vcc_lo
	s_and_b32 vcc_lo, exec_lo, s3
	s_cbranch_vccz .LBB1625_6
; %bb.5:
	v_add3_u32 v1, s24, s4, v0
	s_mov_b32 s5, 0
	v_add_nc_u32_e32 v2, 0x100, v1
	v_add_nc_u32_e32 v3, 0x200, v1
	;; [unrolled: 1-line block ×12, first 2 shown]
	ds_write2st64_b32 v44, v1, v2 offset1:4
	ds_write2st64_b32 v44, v3, v4 offset0:8 offset1:12
	ds_write2st64_b32 v44, v5, v6 offset0:16 offset1:20
	;; [unrolled: 1-line block ×5, first 2 shown]
	ds_write_b32 v44, v13 offset:12288
	s_waitcnt vmcnt(0) lgkmcnt(0)
	s_barrier
.LBB1625_6:
	v_cmp_gt_u32_e64 s1, s15, v0
	v_or_b32_e32 v43, 0x100, v0
	v_or_b32_e32 v42, 0x200, v0
	;; [unrolled: 1-line block ×12, first 2 shown]
	s_andn2_b32 vcc_lo, exec_lo, s5
	s_cbranch_vccnz .LBB1625_8
; %bb.7:
	s_add_i32 s4, s24, s4
	v_cmp_gt_u32_e32 vcc_lo, s15, v43
	v_add_nc_u32_e32 v2, s4, v43
	v_add_nc_u32_e32 v3, s4, v42
	;; [unrolled: 1-line block ×5, first 2 shown]
	v_cndmask_b32_e32 v2, 0, v2, vcc_lo
	v_cmp_gt_u32_e32 vcc_lo, s15, v42
	v_add_nc_u32_e32 v7, s4, v38
	v_add_nc_u32_e32 v8, s4, v37
	;; [unrolled: 1-line block ×4, first 2 shown]
	v_cndmask_b32_e32 v3, 0, v3, vcc_lo
	v_cmp_gt_u32_e32 vcc_lo, s15, v41
	v_add_nc_u32_e32 v11, s4, v34
	v_add_nc_u32_e32 v1, s4, v0
	;; [unrolled: 1-line block ×4, first 2 shown]
	v_cndmask_b32_e32 v4, 0, v4, vcc_lo
	v_cmp_gt_u32_e32 vcc_lo, s15, v40
	v_cndmask_b32_e64 v1, 0, v1, s1
	v_cndmask_b32_e32 v5, 0, v5, vcc_lo
	v_cmp_gt_u32_e32 vcc_lo, s15, v39
	v_cndmask_b32_e32 v6, 0, v6, vcc_lo
	v_cmp_gt_u32_e32 vcc_lo, s15, v38
	;; [unrolled: 2-line block ×8, first 2 shown]
	v_cndmask_b32_e32 v13, 0, v13, vcc_lo
	ds_write2st64_b32 v44, v1, v2 offset1:4
	ds_write2st64_b32 v44, v3, v4 offset0:8 offset1:12
	ds_write2st64_b32 v44, v5, v6 offset0:16 offset1:20
	;; [unrolled: 1-line block ×5, first 2 shown]
	ds_write_b32 v44, v13 offset:12288
	s_waitcnt vmcnt(0) lgkmcnt(0)
	s_barrier
.LBB1625_8:
	v_mul_u32_u24_e32 v47, 13, v0
	s_waitcnt vmcnt(0)
	buffer_gl0_inv
	v_cndmask_b32_e64 v45, 0, 1, s3
	s_andn2_b32 vcc_lo, exec_lo, s3
	v_lshlrev_b32_e32 v1, 2, v47
	ds_read2_b32 v[28:29], v1 offset0:2 offset1:3
	ds_read2_b32 v[24:25], v1 offset0:6 offset1:7
	;; [unrolled: 1-line block ×3, first 2 shown]
	ds_read2_b32 v[30:31], v1 offset1:1
	ds_read2_b32 v[20:21], v1 offset0:10 offset1:11
	ds_read_b32 v46, v1 offset:48
	ds_read2_b32 v[22:23], v1 offset0:8 offset1:9
	s_waitcnt lgkmcnt(0)
	s_barrier
	buffer_gl0_inv
	s_cbranch_vccnz .LBB1625_10
; %bb.9:
	v_add_nc_u32_e32 v1, s9, v29
	v_add_nc_u32_e32 v4, s9, v28
	;; [unrolled: 1-line block ×6, first 2 shown]
	v_mul_lo_u32 v4, v4, s8
	v_mul_lo_u32 v1, v1, s8
	;; [unrolled: 1-line block ×4, first 2 shown]
	v_add_nc_u32_e32 v3, s9, v30
	v_add_nc_u32_e32 v7, s11, v30
	v_mul_lo_u32 v2, v2, s8
	v_mul_lo_u32 v6, v6, s10
	v_add_nc_u32_e32 v10, s11, v27
	v_mul_lo_u32 v3, v3, s8
	v_mul_lo_u32 v7, v7, s10
	v_sub_nc_u32_e32 v1, v1, v5
	v_sub_nc_u32_e32 v4, v4, v8
	v_add_nc_u32_e32 v5, s9, v25
	v_add_nc_u32_e32 v8, s11, v25
	v_sub_nc_u32_e32 v2, v2, v6
	v_add_nc_u32_e32 v6, s9, v27
	v_add_nc_u32_e32 v9, s9, v24
	v_mul_lo_u32 v5, v5, s8
	v_mul_lo_u32 v8, v8, s10
	v_sub_nc_u32_e32 v3, v3, v7
	v_add_nc_u32_e32 v7, s9, v26
	v_add_nc_u32_e32 v11, s11, v24
	v_mul_lo_u32 v6, v6, s8
	v_mul_lo_u32 v10, v10, s10
	v_add_nc_u32_e32 v12, s11, v26
	v_mul_lo_u32 v9, v9, s8
	v_mul_lo_u32 v7, v7, s8
	;; [unrolled: 1-line block ×3, first 2 shown]
	v_sub_nc_u32_e32 v5, v5, v8
	v_mul_lo_u32 v8, v12, s10
	v_cmp_lt_u32_e32 vcc_lo, s2, v1
	v_sub_nc_u32_e32 v6, v6, v10
	v_add_nc_u32_e32 v10, s9, v21
	v_add_nc_u32_e32 v14, s11, v21
	;; [unrolled: 1-line block ×3, first 2 shown]
	v_cndmask_b32_e64 v1, 0, 1, vcc_lo
	v_cmp_lt_u32_e32 vcc_lo, s2, v2
	v_sub_nc_u32_e32 v7, v7, v8
	v_sub_nc_u32_e32 v8, v9, v11
	v_add_nc_u32_e32 v11, s9, v23
	v_mul_lo_u32 v10, v10, s8
	v_mul_lo_u32 v14, v14, s10
	v_cndmask_b32_e64 v2, 0, 1, vcc_lo
	v_cmp_lt_u32_e32 vcc_lo, s2, v5
	v_mul_lo_u32 v11, v11, s8
	v_mul_lo_u32 v15, v15, s10
	v_mov_b32_e32 v9, 8
	v_lshlrev_b16 v2, 8, v2
	v_cndmask_b32_e64 v5, 0, 1, vcc_lo
	v_cmp_lt_u32_e32 vcc_lo, s2, v6
	v_sub_nc_u32_e32 v10, v10, v14
	v_add_nc_u32_e32 v12, s9, v22
	v_add_nc_u32_e32 v16, s11, v22
	v_sub_nc_u32_e32 v11, v11, v15
	v_cndmask_b32_e64 v6, 0, 1, vcc_lo
	v_cmp_lt_u32_e32 vcc_lo, s2, v10
	v_lshrrev_b32_sdwa v2, v9, v2 dst_sel:BYTE_1 dst_unused:UNUSED_PAD src0_sel:DWORD src1_sel:DWORD
	v_add_nc_u32_e32 v13, s9, v20
	v_add_nc_u32_e32 v17, s11, v20
	v_mul_lo_u32 v12, v12, s8
	v_cndmask_b32_e64 v10, 0, 1, vcc_lo
	v_cmp_lt_u32_e32 vcc_lo, s2, v11
	v_mul_lo_u32 v16, v16, s10
	v_mul_lo_u32 v13, v13, s8
	;; [unrolled: 1-line block ×3, first 2 shown]
	v_add_nc_u32_e32 v14, s9, v46
	v_cndmask_b32_e64 v11, 0, 1, vcc_lo
	v_cmp_lt_u32_e32 vcc_lo, s2, v3
	v_add_nc_u32_e32 v15, s11, v46
	v_lshlrev_b16 v1, 8, v1
	v_sub_nc_u32_e32 v12, v12, v16
	v_lshlrev_b16 v11, 8, v11
	v_cndmask_b32_e64 v3, 0, 1, vcc_lo
	v_cmp_lt_u32_e32 vcc_lo, s2, v4
	v_sub_nc_u32_e32 v13, v13, v17
	v_mul_lo_u32 v14, v14, s8
	v_mul_lo_u32 v15, v15, s10
	v_or_b32_e32 v2, v3, v2
	v_cndmask_b32_e64 v3, 0, 1, vcc_lo
	v_cmp_lt_u32_e32 vcc_lo, s2, v7
	v_lshlrev_b16 v6, 8, v6
	v_lshlrev_b16 v10, 8, v10
	;; [unrolled: 1-line block ×3, first 2 shown]
	v_lshrrev_b32_sdwa v1, v9, v1 dst_sel:BYTE_1 dst_unused:UNUSED_PAD src0_sel:DWORD src1_sel:DWORD
	v_cndmask_b32_e64 v4, 0, 1, vcc_lo
	v_cmp_lt_u32_e32 vcc_lo, s2, v8
	v_lshrrev_b32_sdwa v8, v9, v11 dst_sel:BYTE_1 dst_unused:UNUSED_PAD src0_sel:DWORD src1_sel:DWORD
	v_lshrrev_b32_sdwa v6, v9, v6 dst_sel:BYTE_1 dst_unused:UNUSED_PAD src0_sel:DWORD src1_sel:DWORD
	v_sub_nc_u32_e32 v14, v14, v15
	v_lshrrev_b32_sdwa v9, v9, v10 dst_sel:BYTE_1 dst_unused:UNUSED_PAD src0_sel:DWORD src1_sel:DWORD
	v_cndmask_b32_e64 v7, 0, 1, vcc_lo
	v_cmp_lt_u32_e32 vcc_lo, s2, v12
	v_or_b32_sdwa v1, v3, v1 dst_sel:WORD_1 dst_unused:UNUSED_PAD src0_sel:DWORD src1_sel:DWORD
	v_or_b32_e32 v3, v4, v6
	v_or_b32_sdwa v4, v7, v5 dst_sel:WORD_1 dst_unused:UNUSED_PAD src0_sel:DWORD src1_sel:DWORD
	v_cndmask_b32_e64 v11, 0, 1, vcc_lo
	v_cmp_lt_u32_e32 vcc_lo, s2, v13
	v_or_b32_sdwa v52, v2, v1 dst_sel:DWORD dst_unused:UNUSED_PAD src0_sel:WORD_0 src1_sel:DWORD
	v_or_b32_sdwa v50, v3, v4 dst_sel:DWORD dst_unused:UNUSED_PAD src0_sel:WORD_0 src1_sel:DWORD
	v_or_b32_e32 v5, v11, v8
	v_cndmask_b32_e64 v10, 0, 1, vcc_lo
	v_cmp_lt_u32_e32 vcc_lo, s2, v14
	v_or_b32_sdwa v6, v10, v9 dst_sel:WORD_1 dst_unused:UNUSED_PAD src0_sel:DWORD src1_sel:DWORD
	v_cndmask_b32_e64 v48, 0, 1, vcc_lo
	v_or_b32_sdwa v49, v5, v6 dst_sel:DWORD dst_unused:UNUSED_PAD src0_sel:WORD_0 src1_sel:DWORD
	s_cbranch_execz .LBB1625_11
	s_branch .LBB1625_38
.LBB1625_10:
                                        ; implicit-def: $vgpr48
                                        ; implicit-def: $vgpr49
                                        ; implicit-def: $vgpr50
                                        ; implicit-def: $vgpr52
.LBB1625_11:
	v_mov_b32_e32 v2, 0
	v_mov_b32_e32 v1, 0
	s_mov_b32 s1, exec_lo
	v_cmpx_gt_u32_e64 s15, v47
	s_cbranch_execz .LBB1625_13
; %bb.12:
	v_add_nc_u32_e32 v1, s9, v30
	v_add_nc_u32_e32 v3, s11, v30
	v_mul_lo_u32 v1, v1, s8
	v_mul_lo_u32 v3, v3, s10
	v_sub_nc_u32_e32 v1, v1, v3
	v_cmp_lt_u32_e32 vcc_lo, s2, v1
	v_cndmask_b32_e64 v1, 0, 1, vcc_lo
.LBB1625_13:
	s_or_b32 exec_lo, exec_lo, s1
	v_add_nc_u32_e32 v3, 1, v47
	s_mov_b32 s1, exec_lo
	v_cmpx_gt_u32_e64 s15, v3
	s_cbranch_execz .LBB1625_15
; %bb.14:
	v_add_nc_u32_e32 v2, s9, v31
	v_add_nc_u32_e32 v3, s11, v31
	v_mul_lo_u32 v2, v2, s8
	v_mul_lo_u32 v3, v3, s10
	v_sub_nc_u32_e32 v2, v2, v3
	v_cmp_lt_u32_e32 vcc_lo, s2, v2
	v_cndmask_b32_e64 v2, 0, 1, vcc_lo
.LBB1625_15:
	s_or_b32 exec_lo, exec_lo, s1
	v_add_nc_u32_e32 v3, 2, v47
	v_mov_b32_e32 v4, 0
	v_cmp_gt_u32_e32 vcc_lo, s15, v3
	v_mov_b32_e32 v3, 0
	s_and_saveexec_b32 s1, vcc_lo
	s_cbranch_execz .LBB1625_17
; %bb.16:
	v_add_nc_u32_e32 v3, s9, v28
	v_add_nc_u32_e32 v5, s11, v28
	v_mul_lo_u32 v3, v3, s8
	v_mul_lo_u32 v5, v5, s10
	v_sub_nc_u32_e32 v3, v3, v5
	v_cmp_lt_u32_e32 vcc_lo, s2, v3
	v_cndmask_b32_e64 v3, 0, 1, vcc_lo
.LBB1625_17:
	s_or_b32 exec_lo, exec_lo, s1
	v_add_nc_u32_e32 v5, 3, v47
	s_mov_b32 s1, exec_lo
	v_cmpx_gt_u32_e64 s15, v5
	s_cbranch_execz .LBB1625_19
; %bb.18:
	v_add_nc_u32_e32 v4, s9, v29
	v_add_nc_u32_e32 v5, s11, v29
	v_mul_lo_u32 v4, v4, s8
	v_mul_lo_u32 v5, v5, s10
	v_sub_nc_u32_e32 v4, v4, v5
	v_cmp_lt_u32_e32 vcc_lo, s2, v4
	v_cndmask_b32_e64 v4, 0, 1, vcc_lo
.LBB1625_19:
	s_or_b32 exec_lo, exec_lo, s1
	v_add_nc_u32_e32 v5, 4, v47
	v_mov_b32_e32 v6, 0
	v_cmp_gt_u32_e32 vcc_lo, s15, v5
	v_mov_b32_e32 v5, 0
	s_and_saveexec_b32 s1, vcc_lo
	;; [unrolled: 30-line block ×5, first 2 shown]
	s_cbranch_execz .LBB1625_33
; %bb.32:
	v_add_nc_u32_e32 v11, s9, v20
	v_add_nc_u32_e32 v13, s11, v20
	v_mul_lo_u32 v11, v11, s8
	v_mul_lo_u32 v13, v13, s10
	v_sub_nc_u32_e32 v11, v11, v13
	v_cmp_lt_u32_e32 vcc_lo, s2, v11
	v_cndmask_b32_e64 v11, 0, 1, vcc_lo
.LBB1625_33:
	s_or_b32 exec_lo, exec_lo, s1
	v_add_nc_u32_e32 v13, 11, v47
	s_mov_b32 s1, exec_lo
	v_cmpx_gt_u32_e64 s15, v13
	s_cbranch_execz .LBB1625_35
; %bb.34:
	v_add_nc_u32_e32 v12, s9, v21
	v_add_nc_u32_e32 v13, s11, v21
	v_mul_lo_u32 v12, v12, s8
	v_mul_lo_u32 v13, v13, s10
	v_sub_nc_u32_e32 v12, v12, v13
	v_cmp_lt_u32_e32 vcc_lo, s2, v12
	v_cndmask_b32_e64 v12, 0, 1, vcc_lo
.LBB1625_35:
	s_or_b32 exec_lo, exec_lo, s1
	v_add_nc_u32_e32 v13, 12, v47
	v_mov_b32_e32 v48, 0
	s_mov_b32 s1, exec_lo
	v_cmpx_gt_u32_e64 s15, v13
	s_cbranch_execz .LBB1625_37
; %bb.36:
	v_add_nc_u32_e32 v13, s9, v46
	v_add_nc_u32_e32 v14, s11, v46
	v_mul_lo_u32 v13, v13, s8
	v_mul_lo_u32 v14, v14, s10
	v_sub_nc_u32_e32 v13, v13, v14
	v_cmp_lt_u32_e32 vcc_lo, s2, v13
	v_cndmask_b32_e64 v48, 0, 1, vcc_lo
.LBB1625_37:
	s_or_b32 exec_lo, exec_lo, s1
	v_lshlrev_b16 v2, 8, v2
	v_lshlrev_b16 v4, 8, v4
	;; [unrolled: 1-line block ×5, first 2 shown]
	v_or_b32_e32 v1, v1, v2
	v_lshlrev_b16 v2, 8, v12
	v_or_b32_sdwa v3, v3, v4 dst_sel:WORD_1 dst_unused:UNUSED_PAD src0_sel:DWORD src1_sel:DWORD
	v_or_b32_e32 v4, v5, v6
	v_or_b32_sdwa v5, v7, v8 dst_sel:WORD_1 dst_unused:UNUSED_PAD src0_sel:DWORD src1_sel:DWORD
	v_or_b32_e32 v6, v9, v10
	v_or_b32_sdwa v2, v11, v2 dst_sel:WORD_1 dst_unused:UNUSED_PAD src0_sel:DWORD src1_sel:DWORD
	v_or_b32_sdwa v52, v1, v3 dst_sel:DWORD dst_unused:UNUSED_PAD src0_sel:WORD_0 src1_sel:DWORD
	v_or_b32_sdwa v50, v4, v5 dst_sel:DWORD dst_unused:UNUSED_PAD src0_sel:WORD_0 src1_sel:DWORD
	;; [unrolled: 1-line block ×3, first 2 shown]
.LBB1625_38:
	v_and_b32_e32 v55, 0xff, v52
	v_bfe_u32 v56, v52, 8, 8
	v_bfe_u32 v57, v52, 16, 8
	v_lshrrev_b32_e32 v54, 24, v52
	v_and_b32_e32 v58, 0xff, v50
	v_bfe_u32 v59, v50, 8, 8
	v_bfe_u32 v60, v50, 16, 8
	v_add3_u32 v1, v56, v55, v57
	v_lshrrev_b32_e32 v53, 24, v50
	v_and_b32_e32 v61, 0xff, v49
	v_bfe_u32 v62, v49, 8, 8
	v_mbcnt_lo_u32_b32 v64, -1, 0
	v_add3_u32 v1, v1, v54, v58
	v_bfe_u32 v63, v49, 16, 8
	v_lshrrev_b32_e32 v51, 24, v49
	v_and_b32_e32 v2, 0xff, v48
	v_and_b32_e32 v3, 15, v64
	v_add3_u32 v1, v1, v59, v60
	v_or_b32_e32 v4, 31, v0
	v_and_b32_e32 v5, 16, v64
	v_lshrrev_b32_e32 v65, 5, v0
	v_cmp_eq_u32_e64 s6, 0, v3
	v_add3_u32 v1, v1, v53, v61
	v_cmp_lt_u32_e64 s5, 1, v3
	v_cmp_lt_u32_e64 s4, 3, v3
	;; [unrolled: 1-line block ×3, first 2 shown]
	v_cmp_eq_u32_e64 s2, 0, v5
	v_add3_u32 v1, v1, v62, v63
	v_cmp_eq_u32_e64 s1, v0, v4
	s_cmp_lg_u32 s25, 0
	s_mov_b32 s7, -1
	v_add3_u32 v66, v1, v51, v2
	s_cbranch_scc0 .LBB1625_60
; %bb.39:
	v_mov_b32_dpp v1, v66 row_shr:1 row_mask:0xf bank_mask:0xf
	v_cndmask_b32_e64 v1, v1, 0, s6
	v_add_nc_u32_e32 v1, v1, v66
	v_mov_b32_dpp v2, v1 row_shr:2 row_mask:0xf bank_mask:0xf
	v_cndmask_b32_e64 v2, 0, v2, s5
	v_add_nc_u32_e32 v1, v1, v2
	;; [unrolled: 3-line block ×4, first 2 shown]
	ds_swizzle_b32 v2, v1 offset:swizzle(BROADCAST,32,15)
	s_waitcnt lgkmcnt(0)
	v_cndmask_b32_e64 v2, v2, 0, s2
	v_add_nc_u32_e32 v1, v1, v2
	s_and_saveexec_b32 s7, s1
; %bb.40:
	v_lshlrev_b32_e32 v2, 2, v65
	ds_write_b32 v2, v1
; %bb.41:
	s_or_b32 exec_lo, exec_lo, s7
	s_mov_b32 s7, exec_lo
	s_waitcnt lgkmcnt(0)
	s_barrier
	buffer_gl0_inv
	v_cmpx_gt_u32_e32 8, v0
	s_cbranch_execz .LBB1625_43
; %bb.42:
	ds_read_b32 v2, v44
	v_and_b32_e32 v3, 7, v64
	v_cmp_ne_u32_e32 vcc_lo, 0, v3
	s_waitcnt lgkmcnt(0)
	v_mov_b32_dpp v4, v2 row_shr:1 row_mask:0xf bank_mask:0xf
	v_cndmask_b32_e32 v4, 0, v4, vcc_lo
	v_cmp_lt_u32_e32 vcc_lo, 1, v3
	v_add_nc_u32_e32 v2, v4, v2
	v_mov_b32_dpp v4, v2 row_shr:2 row_mask:0xf bank_mask:0xf
	v_cndmask_b32_e32 v4, 0, v4, vcc_lo
	v_cmp_lt_u32_e32 vcc_lo, 3, v3
	v_add_nc_u32_e32 v2, v2, v4
	v_mov_b32_dpp v4, v2 row_shr:4 row_mask:0xf bank_mask:0xf
	v_cndmask_b32_e32 v3, 0, v4, vcc_lo
	v_add_nc_u32_e32 v2, v2, v3
	ds_write_b32 v44, v2
.LBB1625_43:
	s_or_b32 exec_lo, exec_lo, s7
	s_mov_b32 s8, exec_lo
	v_cmp_gt_u32_e32 vcc_lo, 32, v0
	s_waitcnt lgkmcnt(0)
	s_barrier
	buffer_gl0_inv
                                        ; implicit-def: $vgpr10
	v_cmpx_lt_u32_e32 31, v0
	s_cbranch_execz .LBB1625_45
; %bb.44:
	v_lshl_add_u32 v2, v65, 2, -4
	ds_read_b32 v10, v2
	s_waitcnt lgkmcnt(0)
	v_add_nc_u32_e32 v1, v10, v1
.LBB1625_45:
	s_or_b32 exec_lo, exec_lo, s8
	v_sub_co_u32 v2, s7, v64, 1
	v_cmp_gt_i32_e64 s8, 0, v2
	v_cndmask_b32_e64 v2, v2, v64, s8
	v_lshlrev_b32_e32 v2, 2, v2
	ds_bpermute_b32 v11, v2, v1
	s_and_saveexec_b32 s8, vcc_lo
	s_cbranch_execz .LBB1625_65
; %bb.46:
	v_mov_b32_e32 v7, 0
	ds_read_b32 v1, v7 offset:28
	s_and_saveexec_b32 s9, s7
	s_cbranch_execz .LBB1625_48
; %bb.47:
	s_add_i32 s10, s25, 32
	s_mov_b32 s11, 0
	v_mov_b32_e32 v2, 1
	s_lshl_b64 s[10:11], s[10:11], 3
	s_add_u32 s10, s22, s10
	s_addc_u32 s11, s23, s11
	s_waitcnt lgkmcnt(0)
	global_store_dwordx2 v7, v[1:2], s[10:11]
.LBB1625_48:
	s_or_b32 exec_lo, exec_lo, s9
	v_xad_u32 v3, v64, -1, s25
	s_mov_b32 s10, 0
	v_add_nc_u32_e32 v6, 32, v3
	v_lshlrev_b64 v[4:5], 3, v[6:7]
	v_add_co_u32 v8, vcc_lo, s22, v4
	v_add_co_ci_u32_e64 v9, null, s23, v5, vcc_lo
	global_load_dwordx2 v[5:6], v[8:9], off glc dlc
	s_waitcnt vmcnt(0)
	v_cmp_eq_u16_sdwa s11, v6, v7 src0_sel:BYTE_0 src1_sel:DWORD
	s_and_saveexec_b32 s9, s11
	s_cbranch_execz .LBB1625_52
; %bb.49:
	v_mov_b32_e32 v2, 0
.LBB1625_50:                            ; =>This Inner Loop Header: Depth=1
	global_load_dwordx2 v[5:6], v[8:9], off glc dlc
	s_waitcnt vmcnt(0)
	v_cmp_ne_u16_sdwa s11, v6, v2 src0_sel:BYTE_0 src1_sel:DWORD
	s_or_b32 s10, s11, s10
	s_andn2_b32 exec_lo, exec_lo, s10
	s_cbranch_execnz .LBB1625_50
; %bb.51:
	s_or_b32 exec_lo, exec_lo, s10
.LBB1625_52:
	s_or_b32 exec_lo, exec_lo, s9
	v_cmp_ne_u32_e32 vcc_lo, 31, v64
	v_mov_b32_e32 v12, 2
	v_lshlrev_b32_e64 v13, v64, -1
	v_add_nc_u32_e32 v15, 2, v64
	v_add_nc_u32_e32 v17, 4, v64
	v_add_co_ci_u32_e64 v2, null, 0, v64, vcc_lo
	v_cmp_eq_u16_sdwa s9, v6, v12 src0_sel:BYTE_0 src1_sel:DWORD
	v_cmp_gt_u32_e32 vcc_lo, 30, v64
	v_add_nc_u32_e32 v68, 8, v64
	v_lshlrev_b32_e32 v9, 2, v2
	v_lshl_or_b32 v69, v64, 2, 64
	v_and_or_b32 v4, s9, v13, 0x80000000
	v_cndmask_b32_e64 v7, 0, 2, vcc_lo
	v_add_nc_u32_e32 v70, 16, v64
	ds_bpermute_b32 v2, v9, v5
	v_ffbl_b32_e32 v4, v4
	v_add_lshl_u32 v14, v7, v64, 2
	v_cmp_lt_u32_e32 vcc_lo, v64, v4
	s_waitcnt lgkmcnt(0)
	v_cndmask_b32_e32 v2, 0, v2, vcc_lo
	v_cmp_gt_u32_e32 vcc_lo, 28, v64
	v_add_nc_u32_e32 v2, v2, v5
	v_cndmask_b32_e64 v7, 0, 4, vcc_lo
	v_cmp_le_u32_e32 vcc_lo, v15, v4
	ds_bpermute_b32 v5, v14, v2
	v_add_lshl_u32 v16, v7, v64, 2
	s_waitcnt lgkmcnt(0)
	v_cndmask_b32_e32 v5, 0, v5, vcc_lo
	v_cmp_gt_u32_e32 vcc_lo, 24, v64
	v_add_nc_u32_e32 v2, v2, v5
	v_cndmask_b32_e64 v7, 0, 8, vcc_lo
	v_cmp_le_u32_e32 vcc_lo, v17, v4
	ds_bpermute_b32 v5, v16, v2
	v_add_lshl_u32 v67, v7, v64, 2
	s_waitcnt lgkmcnt(0)
	v_cndmask_b32_e32 v5, 0, v5, vcc_lo
	v_cmp_le_u32_e32 vcc_lo, v68, v4
	v_add_nc_u32_e32 v2, v2, v5
	ds_bpermute_b32 v5, v67, v2
	s_waitcnt lgkmcnt(0)
	v_cndmask_b32_e32 v5, 0, v5, vcc_lo
	v_cmp_le_u32_e32 vcc_lo, v70, v4
	v_add_nc_u32_e32 v2, v2, v5
	ds_bpermute_b32 v5, v69, v2
	s_waitcnt lgkmcnt(0)
	v_cndmask_b32_e32 v4, 0, v5, vcc_lo
	v_add_nc_u32_e32 v5, v2, v4
	v_mov_b32_e32 v4, 0
	s_branch .LBB1625_56
.LBB1625_53:                            ;   in Loop: Header=BB1625_56 Depth=1
	s_or_b32 exec_lo, exec_lo, s10
.LBB1625_54:                            ;   in Loop: Header=BB1625_56 Depth=1
	s_or_b32 exec_lo, exec_lo, s9
	ds_bpermute_b32 v7, v9, v5
	v_cmp_eq_u16_sdwa s9, v6, v12 src0_sel:BYTE_0 src1_sel:DWORD
	v_subrev_nc_u32_e32 v3, 32, v3
	v_and_or_b32 v8, s9, v13, 0x80000000
	s_mov_b32 s9, 0
	v_ffbl_b32_e32 v8, v8
	v_cmp_lt_u32_e32 vcc_lo, v64, v8
	s_waitcnt lgkmcnt(0)
	v_cndmask_b32_e32 v7, 0, v7, vcc_lo
	v_cmp_le_u32_e32 vcc_lo, v15, v8
	v_add_nc_u32_e32 v5, v7, v5
	ds_bpermute_b32 v7, v14, v5
	s_waitcnt lgkmcnt(0)
	v_cndmask_b32_e32 v7, 0, v7, vcc_lo
	v_cmp_le_u32_e32 vcc_lo, v17, v8
	v_add_nc_u32_e32 v5, v5, v7
	ds_bpermute_b32 v7, v16, v5
	;; [unrolled: 5-line block ×4, first 2 shown]
	s_waitcnt lgkmcnt(0)
	v_cndmask_b32_e32 v7, 0, v7, vcc_lo
	v_add3_u32 v5, v7, v2, v5
.LBB1625_55:                            ;   in Loop: Header=BB1625_56 Depth=1
	s_and_b32 vcc_lo, exec_lo, s9
	s_cbranch_vccnz .LBB1625_61
.LBB1625_56:                            ; =>This Loop Header: Depth=1
                                        ;     Child Loop BB1625_59 Depth 2
	v_cmp_ne_u16_sdwa s9, v6, v12 src0_sel:BYTE_0 src1_sel:DWORD
	v_mov_b32_e32 v2, v5
                                        ; implicit-def: $vgpr5
                                        ; implicit-def: $vgpr6
	s_cmp_lg_u32 s9, exec_lo
	s_mov_b32 s9, -1
	s_cbranch_scc1 .LBB1625_55
; %bb.57:                               ;   in Loop: Header=BB1625_56 Depth=1
	v_lshlrev_b64 v[5:6], 3, v[3:4]
	v_add_co_u32 v7, vcc_lo, s22, v5
	v_add_co_ci_u32_e64 v8, null, s23, v6, vcc_lo
	global_load_dwordx2 v[5:6], v[7:8], off glc dlc
	s_waitcnt vmcnt(0)
	v_cmp_eq_u16_sdwa s10, v6, v4 src0_sel:BYTE_0 src1_sel:DWORD
	s_and_saveexec_b32 s9, s10
	s_cbranch_execz .LBB1625_54
; %bb.58:                               ;   in Loop: Header=BB1625_56 Depth=1
	s_mov_b32 s10, 0
.LBB1625_59:                            ;   Parent Loop BB1625_56 Depth=1
                                        ; =>  This Inner Loop Header: Depth=2
	global_load_dwordx2 v[5:6], v[7:8], off glc dlc
	s_waitcnt vmcnt(0)
	v_cmp_ne_u16_sdwa s11, v6, v4 src0_sel:BYTE_0 src1_sel:DWORD
	s_or_b32 s10, s11, s10
	s_andn2_b32 exec_lo, exec_lo, s10
	s_cbranch_execnz .LBB1625_59
	s_branch .LBB1625_53
.LBB1625_60:
                                        ; implicit-def: $vgpr17
                                        ; implicit-def: $vgpr1_vgpr2_vgpr3_vgpr4_vgpr5_vgpr6_vgpr7_vgpr8_vgpr9_vgpr10_vgpr11_vgpr12_vgpr13_vgpr14_vgpr15_vgpr16
	s_and_b32 vcc_lo, exec_lo, s7
	s_cbranch_vccnz .LBB1625_66
	s_branch .LBB1625_75
.LBB1625_61:
	s_and_saveexec_b32 s9, s7
	s_cbranch_execz .LBB1625_63
; %bb.62:
	s_add_i32 s10, s25, 32
	s_mov_b32 s11, 0
	v_add_nc_u32_e32 v3, v2, v1
	v_mov_b32_e32 v4, 2
	s_lshl_b64 s[10:11], s[10:11], 3
	v_mov_b32_e32 v5, 0
	s_add_u32 s10, s22, s10
	s_addc_u32 s11, s23, s11
	global_store_dwordx2 v5, v[3:4], s[10:11]
	ds_write_b64 v5, v[1:2] offset:13312
.LBB1625_63:
	s_or_b32 exec_lo, exec_lo, s9
	s_and_b32 exec_lo, exec_lo, s0
; %bb.64:
	v_mov_b32_e32 v1, 0
	ds_write_b32 v1, v2 offset:28
.LBB1625_65:
	s_or_b32 exec_lo, exec_lo, s8
	v_mov_b32_e32 v12, 0
	s_waitcnt lgkmcnt(0)
	s_waitcnt_vscnt null, 0x0
	s_barrier
	buffer_gl0_inv
	v_cndmask_b32_e64 v2, v11, v10, s7
	ds_read_b32 v1, v12 offset:28
	s_waitcnt lgkmcnt(0)
	s_barrier
	buffer_gl0_inv
	v_cndmask_b32_e64 v2, v2, 0, s0
	ds_read_b64 v[16:17], v12 offset:13312
	v_add_nc_u32_e32 v1, v1, v2
	v_add_nc_u32_e32 v2, v1, v55
	;; [unrolled: 1-line block ×13, first 2 shown]
	s_branch .LBB1625_75
.LBB1625_66:
	v_mov_b32_dpp v1, v66 row_shr:1 row_mask:0xf bank_mask:0xf
	v_cndmask_b32_e64 v1, v1, 0, s6
	v_add_nc_u32_e32 v1, v1, v66
	v_mov_b32_dpp v2, v1 row_shr:2 row_mask:0xf bank_mask:0xf
	v_cndmask_b32_e64 v2, 0, v2, s5
	v_add_nc_u32_e32 v1, v1, v2
	v_mov_b32_dpp v2, v1 row_shr:4 row_mask:0xf bank_mask:0xf
	v_cndmask_b32_e64 v2, 0, v2, s4
	v_add_nc_u32_e32 v1, v1, v2
	v_mov_b32_dpp v2, v1 row_shr:8 row_mask:0xf bank_mask:0xf
	v_cndmask_b32_e64 v2, 0, v2, s3
	v_add_nc_u32_e32 v1, v1, v2
	ds_swizzle_b32 v2, v1 offset:swizzle(BROADCAST,32,15)
	s_waitcnt lgkmcnt(0)
	v_cndmask_b32_e64 v2, v2, 0, s2
	v_add_nc_u32_e32 v1, v1, v2
	s_and_saveexec_b32 s2, s1
; %bb.67:
	v_lshlrev_b32_e32 v2, 2, v65
	ds_write_b32 v2, v1
; %bb.68:
	s_or_b32 exec_lo, exec_lo, s2
	s_mov_b32 s1, exec_lo
	s_waitcnt lgkmcnt(0)
	s_barrier
	buffer_gl0_inv
	v_cmpx_gt_u32_e32 8, v0
	s_cbranch_execz .LBB1625_70
; %bb.69:
	ds_read_b32 v2, v44
	v_and_b32_e32 v3, 7, v64
	v_cmp_ne_u32_e32 vcc_lo, 0, v3
	s_waitcnt lgkmcnt(0)
	v_mov_b32_dpp v4, v2 row_shr:1 row_mask:0xf bank_mask:0xf
	v_cndmask_b32_e32 v4, 0, v4, vcc_lo
	v_cmp_lt_u32_e32 vcc_lo, 1, v3
	v_add_nc_u32_e32 v2, v4, v2
	v_mov_b32_dpp v4, v2 row_shr:2 row_mask:0xf bank_mask:0xf
	v_cndmask_b32_e32 v4, 0, v4, vcc_lo
	v_cmp_lt_u32_e32 vcc_lo, 3, v3
	v_add_nc_u32_e32 v2, v2, v4
	v_mov_b32_dpp v4, v2 row_shr:4 row_mask:0xf bank_mask:0xf
	v_cndmask_b32_e32 v3, 0, v4, vcc_lo
	v_add_nc_u32_e32 v2, v2, v3
	ds_write_b32 v44, v2
.LBB1625_70:
	s_or_b32 exec_lo, exec_lo, s1
	v_mov_b32_e32 v3, 0
	v_mov_b32_e32 v2, 0
	s_mov_b32 s1, exec_lo
	s_waitcnt lgkmcnt(0)
	s_barrier
	buffer_gl0_inv
	v_cmpx_lt_u32_e32 31, v0
; %bb.71:
	v_lshl_add_u32 v2, v65, 2, -4
	ds_read_b32 v2, v2
; %bb.72:
	s_or_b32 exec_lo, exec_lo, s1
	v_sub_co_u32 v4, vcc_lo, v64, 1
	s_waitcnt lgkmcnt(0)
	v_add_nc_u32_e32 v1, v2, v1
	ds_read_b32 v16, v3 offset:28
	v_cmp_gt_i32_e64 s1, 0, v4
	v_cndmask_b32_e64 v4, v4, v64, s1
	v_lshlrev_b32_e32 v4, 2, v4
	ds_bpermute_b32 v1, v4, v1
	s_and_saveexec_b32 s1, s0
	s_cbranch_execz .LBB1625_74
; %bb.73:
	v_mov_b32_e32 v3, 0
	v_mov_b32_e32 v17, 2
	s_waitcnt lgkmcnt(1)
	global_store_dwordx2 v3, v[16:17], s[22:23] offset:256
.LBB1625_74:
	s_or_b32 exec_lo, exec_lo, s1
	s_waitcnt lgkmcnt(0)
	v_cndmask_b32_e32 v1, v1, v2, vcc_lo
	v_mov_b32_e32 v17, 0
	s_waitcnt_vscnt null, 0x0
	s_barrier
	buffer_gl0_inv
	v_cndmask_b32_e64 v1, v1, 0, s0
	v_add_nc_u32_e32 v2, v1, v55
	v_add_nc_u32_e32 v3, v2, v56
	;; [unrolled: 1-line block ×12, first 2 shown]
.LBB1625_75:
	s_waitcnt lgkmcnt(0)
	v_add_nc_u32_e32 v47, v16, v47
	v_sub_nc_u32_e32 v1, v1, v17
	v_and_b32_e32 v56, 1, v52
	v_lshrrev_b32_e32 v55, 8, v52
	v_sub_nc_u32_e32 v2, v2, v17
	v_sub_nc_u32_e32 v3, v3, v17
	;; [unrolled: 1-line block ×3, first 2 shown]
	v_cmp_eq_u32_e32 vcc_lo, 1, v56
	v_and_b32_e32 v55, 1, v55
	v_mov_b32_e32 v58, 1
	v_sub_nc_u32_e32 v56, v47, v2
	v_sub_nc_u32_e32 v4, v4, v17
	v_cndmask_b32_e32 v1, v57, v1, vcc_lo
	v_sub_nc_u32_e32 v57, v47, v3
	v_and_b32_sdwa v52, v58, v52 dst_sel:DWORD dst_unused:UNUSED_PAD src0_sel:DWORD src1_sel:WORD_1
	v_add_nc_u32_e32 v56, 1, v56
	v_cmp_eq_u32_e32 vcc_lo, 1, v55
	v_lshlrev_b32_e32 v1, 2, v1
	v_and_b32_e32 v54, 1, v54
	v_sub_nc_u32_e32 v59, v47, v4
	v_add_nc_u32_e32 v57, 2, v57
	v_lshrrev_b32_e32 v15, 8, v50
	ds_write_b32 v1, v30
	v_cndmask_b32_e32 v1, v56, v2, vcc_lo
	v_cmp_eq_u32_e32 vcc_lo, 1, v52
	v_add_nc_u32_e32 v59, 3, v59
	v_lshrrev_b32_e32 v14, 8, v49
	v_lshlrev_b32_e32 v1, 2, v1
	v_cndmask_b32_e32 v2, v57, v3, vcc_lo
	v_cmp_eq_u32_e32 vcc_lo, 1, v54
	ds_write_b32 v1, v31
	v_lshlrev_b32_e32 v2, 2, v2
	v_cndmask_b32_e32 v3, v59, v4, vcc_lo
	v_sub_nc_u32_e32 v4, v5, v17
	v_sub_nc_u32_e32 v5, v6, v17
	v_lshlrev_b32_e32 v3, 2, v3
	v_sub_nc_u32_e32 v1, v47, v4
	v_sub_nc_u32_e32 v6, v47, v5
	ds_write_b32 v2, v28
	ds_write_b32 v3, v29
	v_and_b32_e32 v2, 1, v50
	v_add_nc_u32_e32 v1, 4, v1
	v_add_nc_u32_e32 v3, 5, v6
	v_sub_nc_u32_e32 v6, v7, v17
	v_and_b32_e32 v7, 1, v15
	v_cmp_eq_u32_e32 vcc_lo, 1, v2
	v_sub_nc_u32_e32 v2, v8, v17
	v_and_b32_e32 v8, 1, v53
	v_add_co_u32 v15, s1, v18, v17
	v_cndmask_b32_e32 v1, v1, v4, vcc_lo
	v_sub_nc_u32_e32 v4, v47, v6
	v_cmp_eq_u32_e32 vcc_lo, 1, v7
	v_and_b32_sdwa v7, v58, v50 dst_sel:DWORD dst_unused:UNUSED_PAD src0_sel:DWORD src1_sel:WORD_1
	v_lshlrev_b32_e32 v1, 2, v1
	v_add_nc_u32_e32 v4, 6, v4
	v_cndmask_b32_e32 v3, v3, v5, vcc_lo
	v_sub_nc_u32_e32 v5, v47, v2
	v_cmp_eq_u32_e32 vcc_lo, 1, v7
	v_sub_nc_u32_e32 v7, v13, v17
	v_lshlrev_b32_e32 v3, 2, v3
	v_add_nc_u32_e32 v5, 7, v5
	v_cndmask_b32_e32 v4, v4, v6, vcc_lo
	v_cmp_eq_u32_e32 vcc_lo, 1, v8
	v_sub_nc_u32_e32 v6, v9, v17
	ds_write_b32 v1, v26
	ds_write_b32 v3, v27
	v_lshlrev_b32_e32 v3, 2, v4
	v_cndmask_b32_e32 v2, v5, v2, vcc_lo
	v_sub_nc_u32_e32 v1, v47, v6
	v_and_b32_e32 v5, 1, v49
	v_sub_nc_u32_e32 v4, v10, v17
	v_and_b32_e32 v10, 1, v51
	v_lshlrev_b32_e32 v2, 2, v2
	v_add_nc_u32_e32 v1, 8, v1
	ds_write_b32 v3, v24
	ds_write_b32 v2, v25
	v_cmp_eq_u32_e32 vcc_lo, 1, v5
	v_sub_nc_u32_e32 v3, v11, v17
	v_sub_nc_u32_e32 v2, v47, v4
	;; [unrolled: 1-line block ×3, first 2 shown]
	v_and_b32_e32 v11, 1, v48
	v_cndmask_b32_e32 v1, v1, v6, vcc_lo
	v_and_b32_e32 v6, 1, v14
	v_sub_nc_u32_e32 v8, v47, v3
	v_add_nc_u32_e32 v2, 9, v2
	v_sub_nc_u32_e32 v9, v47, v5
	v_lshlrev_b32_e32 v1, 2, v1
	v_cmp_eq_u32_e32 vcc_lo, 1, v6
	v_add_nc_u32_e32 v6, 10, v8
	v_and_b32_sdwa v8, v58, v49 dst_sel:DWORD dst_unused:UNUSED_PAD src0_sel:DWORD src1_sel:WORD_1
	v_add_nc_u32_e32 v9, 11, v9
	v_add_co_ci_u32_e64 v17, null, 0, v19, s1
	v_cndmask_b32_e32 v2, v2, v4, vcc_lo
	v_cmp_eq_u32_e32 vcc_lo, 1, v8
	v_sub_nc_u32_e32 v4, v47, v7
	v_lshlrev_b32_e32 v2, 2, v2
	v_cndmask_b32_e32 v3, v6, v3, vcc_lo
	v_cmp_eq_u32_e32 vcc_lo, 1, v10
	v_add_nc_u32_e32 v4, 12, v4
	v_lshlrev_b32_e32 v3, 2, v3
	v_cndmask_b32_e32 v5, v9, v5, vcc_lo
	v_cmp_eq_u32_e32 vcc_lo, 1, v11
	v_lshlrev_b32_e32 v5, 2, v5
	v_cndmask_b32_e32 v4, v4, v7, vcc_lo
	v_cmp_ne_u32_e32 vcc_lo, 1, v45
	v_lshlrev_b32_e32 v4, 2, v4
	ds_write_b32 v1, v22
	ds_write_b32 v2, v23
	;; [unrolled: 1-line block ×5, first 2 shown]
	s_waitcnt lgkmcnt(0)
	s_barrier
	buffer_gl0_inv
	ds_read2st64_b32 v[11:12], v44 offset1:4
	ds_read2st64_b32 v[9:10], v44 offset0:8 offset1:12
	ds_read2st64_b32 v[7:8], v44 offset0:16 offset1:20
	;; [unrolled: 1-line block ×5, first 2 shown]
	ds_read_b32 v20, v44 offset:12288
	s_cbranch_vccnz .LBB1625_132
; %bb.76:
	s_sub_u32 s1, s20, s24
	v_sub_co_u32 v13, vcc_lo, v15, s18
	s_subb_u32 s2, s21, 0
	v_add_co_u32 v18, s1, s1, v16
	v_subrev_co_ci_u32_e64 v14, null, s19, v17, vcc_lo
	v_add_co_ci_u32_e64 v19, null, s2, 0, s1
	v_add_co_u32 v18, vcc_lo, v18, v13
	s_mov_b32 s1, exec_lo
	v_add_co_ci_u32_e64 v19, null, v19, v14, vcc_lo
                                        ; implicit-def: $vgpr13_vgpr14
	v_cmpx_ge_u32_e64 v0, v16
	s_xor_b32 s1, exec_lo, s1
; %bb.77:
	v_not_b32_e32 v13, v0
	v_ashrrev_i32_e32 v14, 31, v13
	v_add_co_u32 v13, vcc_lo, v18, v13
	v_add_co_ci_u32_e64 v14, null, v19, v14, vcc_lo
; %bb.78:
	s_andn2_saveexec_b32 s1, s1
; %bb.79:
	v_add_co_u32 v13, vcc_lo, v15, v0
	v_add_co_ci_u32_e64 v14, null, 0, v17, vcc_lo
; %bb.80:
	s_or_b32 exec_lo, exec_lo, s1
	v_lshlrev_b64 v[13:14], 2, v[13:14]
	s_mov_b32 s1, exec_lo
	v_add_co_u32 v13, vcc_lo, s16, v13
	v_add_co_ci_u32_e64 v14, null, s17, v14, vcc_lo
	s_waitcnt lgkmcnt(6)
	global_store_dword v[13:14], v11, off
                                        ; implicit-def: $vgpr13_vgpr14
	v_cmpx_ge_u32_e64 v43, v16
	s_xor_b32 s1, exec_lo, s1
; %bb.81:
	v_xor_b32_e32 v13, 0xfffffeff, v0
	v_ashrrev_i32_e32 v14, 31, v13
	v_add_co_u32 v13, vcc_lo, v18, v13
	v_add_co_ci_u32_e64 v14, null, v19, v14, vcc_lo
; %bb.82:
	s_andn2_saveexec_b32 s1, s1
; %bb.83:
	v_add_co_u32 v13, vcc_lo, v15, v43
	v_add_co_ci_u32_e64 v14, null, 0, v17, vcc_lo
; %bb.84:
	s_or_b32 exec_lo, exec_lo, s1
	v_lshlrev_b64 v[13:14], 2, v[13:14]
	s_mov_b32 s1, exec_lo
	v_add_co_u32 v13, vcc_lo, s16, v13
	v_add_co_ci_u32_e64 v14, null, s17, v14, vcc_lo
	global_store_dword v[13:14], v12, off
                                        ; implicit-def: $vgpr13_vgpr14
	v_cmpx_ge_u32_e64 v42, v16
	s_xor_b32 s1, exec_lo, s1
; %bb.85:
	v_xor_b32_e32 v13, 0xfffffdff, v0
	v_ashrrev_i32_e32 v14, 31, v13
	v_add_co_u32 v13, vcc_lo, v18, v13
	v_add_co_ci_u32_e64 v14, null, v19, v14, vcc_lo
; %bb.86:
	s_andn2_saveexec_b32 s1, s1
; %bb.87:
	v_add_co_u32 v13, vcc_lo, v15, v42
	v_add_co_ci_u32_e64 v14, null, 0, v17, vcc_lo
; %bb.88:
	s_or_b32 exec_lo, exec_lo, s1
	v_lshlrev_b64 v[13:14], 2, v[13:14]
	s_mov_b32 s1, exec_lo
	v_add_co_u32 v13, vcc_lo, s16, v13
	v_add_co_ci_u32_e64 v14, null, s17, v14, vcc_lo
	s_waitcnt lgkmcnt(5)
	global_store_dword v[13:14], v9, off
                                        ; implicit-def: $vgpr13_vgpr14
	v_cmpx_ge_u32_e64 v41, v16
	s_xor_b32 s1, exec_lo, s1
; %bb.89:
	v_xor_b32_e32 v13, 0xfffffcff, v0
	v_ashrrev_i32_e32 v14, 31, v13
	v_add_co_u32 v13, vcc_lo, v18, v13
	v_add_co_ci_u32_e64 v14, null, v19, v14, vcc_lo
; %bb.90:
	s_andn2_saveexec_b32 s1, s1
; %bb.91:
	v_add_co_u32 v13, vcc_lo, v15, v41
	v_add_co_ci_u32_e64 v14, null, 0, v17, vcc_lo
; %bb.92:
	s_or_b32 exec_lo, exec_lo, s1
	v_lshlrev_b64 v[13:14], 2, v[13:14]
	s_mov_b32 s1, exec_lo
	v_add_co_u32 v13, vcc_lo, s16, v13
	v_add_co_ci_u32_e64 v14, null, s17, v14, vcc_lo
	global_store_dword v[13:14], v10, off
                                        ; implicit-def: $vgpr13_vgpr14
	v_cmpx_ge_u32_e64 v40, v16
	s_xor_b32 s1, exec_lo, s1
; %bb.93:
	v_xor_b32_e32 v13, 0xfffffbff, v0
	;; [unrolled: 41-line block ×6, first 2 shown]
	v_ashrrev_i32_e32 v14, 31, v13
	v_add_co_u32 v13, vcc_lo, v18, v13
	v_add_co_ci_u32_e64 v14, null, v19, v14, vcc_lo
; %bb.126:
	s_andn2_saveexec_b32 s1, s1
; %bb.127:
	v_add_co_u32 v13, vcc_lo, v15, v32
	v_add_co_ci_u32_e64 v14, null, 0, v17, vcc_lo
; %bb.128:
	s_or_b32 exec_lo, exec_lo, s1
	s_mov_b32 s1, -1
.LBB1625_129:
	s_and_saveexec_b32 s2, s1
	s_cbranch_execz .LBB1625_212
.LBB1625_130:
	s_waitcnt lgkmcnt(1)
	v_lshlrev_b64 v[0:1], 2, v[13:14]
	v_add_co_u32 v0, vcc_lo, s16, v0
	v_add_co_ci_u32_e64 v1, null, s17, v1, vcc_lo
	s_waitcnt lgkmcnt(0)
	global_store_dword v[0:1], v20, off
	s_or_b32 exec_lo, exec_lo, s2
	s_and_b32 s0, s0, s14
	s_and_saveexec_b32 s1, s0
	s_cbranch_execnz .LBB1625_213
.LBB1625_131:
	s_endpgm
.LBB1625_132:
	s_mov_b32 s1, 0
                                        ; implicit-def: $vgpr13_vgpr14
	s_cbranch_execz .LBB1625_129
; %bb.133:
	s_add_u32 s2, s18, s24
	s_addc_u32 s3, s19, 0
	s_sub_u32 s2, s20, s2
	s_subb_u32 s3, s21, s3
	v_add_co_u32 v13, s2, s2, v16
	v_add_co_ci_u32_e64 v14, null, s3, 0, s2
	s_mov_b32 s2, exec_lo
	v_add_co_u32 v18, vcc_lo, v13, v15
	v_add_co_ci_u32_e64 v19, null, v14, v17, vcc_lo
	v_cmpx_gt_u32_e64 s15, v0
	s_cbranch_execz .LBB1625_169
; %bb.134:
	s_mov_b32 s3, exec_lo
                                        ; implicit-def: $vgpr13_vgpr14
	v_cmpx_ge_u32_e64 v0, v16
	s_xor_b32 s3, exec_lo, s3
; %bb.135:
	v_not_b32_e32 v13, v0
	v_ashrrev_i32_e32 v14, 31, v13
	v_add_co_u32 v13, vcc_lo, v18, v13
	v_add_co_ci_u32_e64 v14, null, v19, v14, vcc_lo
; %bb.136:
	s_andn2_saveexec_b32 s3, s3
; %bb.137:
	v_add_co_u32 v13, vcc_lo, v15, v0
	v_add_co_ci_u32_e64 v14, null, 0, v17, vcc_lo
; %bb.138:
	s_or_b32 exec_lo, exec_lo, s3
	v_lshlrev_b64 v[13:14], 2, v[13:14]
	v_add_co_u32 v13, vcc_lo, s16, v13
	v_add_co_ci_u32_e64 v14, null, s17, v14, vcc_lo
	s_waitcnt lgkmcnt(6)
	global_store_dword v[13:14], v11, off
	s_or_b32 exec_lo, exec_lo, s2
	s_mov_b32 s2, exec_lo
	v_cmpx_gt_u32_e64 s15, v43
	s_cbranch_execnz .LBB1625_170
.LBB1625_139:
	s_or_b32 exec_lo, exec_lo, s2
	s_mov_b32 s2, exec_lo
	v_cmpx_gt_u32_e64 s15, v42
	s_cbranch_execz .LBB1625_175
.LBB1625_140:
	s_mov_b32 s3, exec_lo
                                        ; implicit-def: $vgpr11_vgpr12
	v_cmpx_ge_u32_e64 v42, v16
	s_xor_b32 s3, exec_lo, s3
	s_cbranch_execz .LBB1625_142
; %bb.141:
	s_waitcnt lgkmcnt(6)
	v_xor_b32_e32 v11, 0xfffffdff, v0
                                        ; implicit-def: $vgpr42
	v_ashrrev_i32_e32 v12, 31, v11
	v_add_co_u32 v11, vcc_lo, v18, v11
	v_add_co_ci_u32_e64 v12, null, v19, v12, vcc_lo
.LBB1625_142:
	s_andn2_saveexec_b32 s3, s3
	s_cbranch_execz .LBB1625_144
; %bb.143:
	s_waitcnt lgkmcnt(6)
	v_add_co_u32 v11, vcc_lo, v15, v42
	v_add_co_ci_u32_e64 v12, null, 0, v17, vcc_lo
.LBB1625_144:
	s_or_b32 exec_lo, exec_lo, s3
	s_waitcnt lgkmcnt(6)
	v_lshlrev_b64 v[11:12], 2, v[11:12]
	v_add_co_u32 v11, vcc_lo, s16, v11
	v_add_co_ci_u32_e64 v12, null, s17, v12, vcc_lo
	s_waitcnt lgkmcnt(5)
	global_store_dword v[11:12], v9, off
	s_or_b32 exec_lo, exec_lo, s2
	s_mov_b32 s2, exec_lo
	v_cmpx_gt_u32_e64 s15, v41
	s_cbranch_execnz .LBB1625_176
.LBB1625_145:
	s_or_b32 exec_lo, exec_lo, s2
	s_mov_b32 s2, exec_lo
	v_cmpx_gt_u32_e64 s15, v40
	s_cbranch_execz .LBB1625_181
.LBB1625_146:
	s_mov_b32 s3, exec_lo
                                        ; implicit-def: $vgpr9_vgpr10
	v_cmpx_ge_u32_e64 v40, v16
	s_xor_b32 s3, exec_lo, s3
	s_cbranch_execz .LBB1625_148
; %bb.147:
	s_waitcnt lgkmcnt(5)
	v_xor_b32_e32 v9, 0xfffffbff, v0
                                        ; implicit-def: $vgpr40
	v_ashrrev_i32_e32 v10, 31, v9
	v_add_co_u32 v9, vcc_lo, v18, v9
	v_add_co_ci_u32_e64 v10, null, v19, v10, vcc_lo
.LBB1625_148:
	s_andn2_saveexec_b32 s3, s3
	s_cbranch_execz .LBB1625_150
; %bb.149:
	s_waitcnt lgkmcnt(5)
	v_add_co_u32 v9, vcc_lo, v15, v40
	v_add_co_ci_u32_e64 v10, null, 0, v17, vcc_lo
.LBB1625_150:
	s_or_b32 exec_lo, exec_lo, s3
	s_waitcnt lgkmcnt(5)
	v_lshlrev_b64 v[9:10], 2, v[9:10]
	v_add_co_u32 v9, vcc_lo, s16, v9
	v_add_co_ci_u32_e64 v10, null, s17, v10, vcc_lo
	s_waitcnt lgkmcnt(4)
	global_store_dword v[9:10], v7, off
	s_or_b32 exec_lo, exec_lo, s2
	s_mov_b32 s2, exec_lo
	v_cmpx_gt_u32_e64 s15, v39
	s_cbranch_execnz .LBB1625_182
.LBB1625_151:
	s_or_b32 exec_lo, exec_lo, s2
	s_mov_b32 s2, exec_lo
	v_cmpx_gt_u32_e64 s15, v38
	s_cbranch_execz .LBB1625_187
.LBB1625_152:
	s_mov_b32 s3, exec_lo
                                        ; implicit-def: $vgpr7_vgpr8
	v_cmpx_ge_u32_e64 v38, v16
	s_xor_b32 s3, exec_lo, s3
	s_cbranch_execz .LBB1625_154
; %bb.153:
	s_waitcnt lgkmcnt(4)
	v_xor_b32_e32 v7, 0xfffff9ff, v0
                                        ; implicit-def: $vgpr38
	v_ashrrev_i32_e32 v8, 31, v7
	v_add_co_u32 v7, vcc_lo, v18, v7
	v_add_co_ci_u32_e64 v8, null, v19, v8, vcc_lo
.LBB1625_154:
	s_andn2_saveexec_b32 s3, s3
	s_cbranch_execz .LBB1625_156
; %bb.155:
	s_waitcnt lgkmcnt(4)
	v_add_co_u32 v7, vcc_lo, v15, v38
	v_add_co_ci_u32_e64 v8, null, 0, v17, vcc_lo
.LBB1625_156:
	s_or_b32 exec_lo, exec_lo, s3
	s_waitcnt lgkmcnt(4)
	v_lshlrev_b64 v[7:8], 2, v[7:8]
	v_add_co_u32 v7, vcc_lo, s16, v7
	v_add_co_ci_u32_e64 v8, null, s17, v8, vcc_lo
	s_waitcnt lgkmcnt(3)
	global_store_dword v[7:8], v5, off
	s_or_b32 exec_lo, exec_lo, s2
	s_mov_b32 s2, exec_lo
	v_cmpx_gt_u32_e64 s15, v37
	s_cbranch_execnz .LBB1625_188
.LBB1625_157:
	s_or_b32 exec_lo, exec_lo, s2
	s_mov_b32 s2, exec_lo
	v_cmpx_gt_u32_e64 s15, v36
	s_cbranch_execz .LBB1625_193
.LBB1625_158:
	s_mov_b32 s3, exec_lo
                                        ; implicit-def: $vgpr5_vgpr6
	v_cmpx_ge_u32_e64 v36, v16
	s_xor_b32 s3, exec_lo, s3
	s_cbranch_execz .LBB1625_160
; %bb.159:
	s_waitcnt lgkmcnt(3)
	v_xor_b32_e32 v5, 0xfffff7ff, v0
                                        ; implicit-def: $vgpr36
	v_ashrrev_i32_e32 v6, 31, v5
	v_add_co_u32 v5, vcc_lo, v18, v5
	v_add_co_ci_u32_e64 v6, null, v19, v6, vcc_lo
.LBB1625_160:
	s_andn2_saveexec_b32 s3, s3
	s_cbranch_execz .LBB1625_162
; %bb.161:
	s_waitcnt lgkmcnt(3)
	v_add_co_u32 v5, vcc_lo, v15, v36
	v_add_co_ci_u32_e64 v6, null, 0, v17, vcc_lo
.LBB1625_162:
	s_or_b32 exec_lo, exec_lo, s3
	s_waitcnt lgkmcnt(3)
	v_lshlrev_b64 v[5:6], 2, v[5:6]
	v_add_co_u32 v5, vcc_lo, s16, v5
	v_add_co_ci_u32_e64 v6, null, s17, v6, vcc_lo
	s_waitcnt lgkmcnt(2)
	global_store_dword v[5:6], v3, off
	s_or_b32 exec_lo, exec_lo, s2
	s_mov_b32 s2, exec_lo
	v_cmpx_gt_u32_e64 s15, v35
	s_cbranch_execnz .LBB1625_194
.LBB1625_163:
	s_or_b32 exec_lo, exec_lo, s2
	s_mov_b32 s2, exec_lo
	v_cmpx_gt_u32_e64 s15, v34
	s_cbranch_execz .LBB1625_199
.LBB1625_164:
	s_mov_b32 s3, exec_lo
                                        ; implicit-def: $vgpr3_vgpr4
	v_cmpx_ge_u32_e64 v34, v16
	s_xor_b32 s3, exec_lo, s3
	s_cbranch_execz .LBB1625_166
; %bb.165:
	s_waitcnt lgkmcnt(2)
	v_xor_b32_e32 v3, 0xfffff5ff, v0
                                        ; implicit-def: $vgpr34
	v_ashrrev_i32_e32 v4, 31, v3
	v_add_co_u32 v3, vcc_lo, v18, v3
	v_add_co_ci_u32_e64 v4, null, v19, v4, vcc_lo
.LBB1625_166:
	s_andn2_saveexec_b32 s3, s3
	s_cbranch_execz .LBB1625_168
; %bb.167:
	s_waitcnt lgkmcnt(2)
	v_add_co_u32 v3, vcc_lo, v15, v34
	v_add_co_ci_u32_e64 v4, null, 0, v17, vcc_lo
.LBB1625_168:
	s_or_b32 exec_lo, exec_lo, s3
	s_waitcnt lgkmcnt(2)
	v_lshlrev_b64 v[3:4], 2, v[3:4]
	v_add_co_u32 v3, vcc_lo, s16, v3
	v_add_co_ci_u32_e64 v4, null, s17, v4, vcc_lo
	s_waitcnt lgkmcnt(1)
	global_store_dword v[3:4], v1, off
	s_or_b32 exec_lo, exec_lo, s2
	s_mov_b32 s2, exec_lo
	v_cmpx_gt_u32_e64 s15, v33
	s_cbranch_execz .LBB1625_205
	s_branch .LBB1625_200
.LBB1625_169:
	s_or_b32 exec_lo, exec_lo, s2
	s_mov_b32 s2, exec_lo
	v_cmpx_gt_u32_e64 s15, v43
	s_cbranch_execz .LBB1625_139
.LBB1625_170:
	s_mov_b32 s3, exec_lo
                                        ; implicit-def: $vgpr13_vgpr14
	v_cmpx_ge_u32_e64 v43, v16
	s_xor_b32 s3, exec_lo, s3
	s_cbranch_execz .LBB1625_172
; %bb.171:
	s_waitcnt lgkmcnt(6)
	v_xor_b32_e32 v11, 0xfffffeff, v0
                                        ; implicit-def: $vgpr43
	v_ashrrev_i32_e32 v14, 31, v11
	v_add_co_u32 v13, vcc_lo, v18, v11
	v_add_co_ci_u32_e64 v14, null, v19, v14, vcc_lo
.LBB1625_172:
	s_andn2_saveexec_b32 s3, s3
; %bb.173:
	v_add_co_u32 v13, vcc_lo, v15, v43
	v_add_co_ci_u32_e64 v14, null, 0, v17, vcc_lo
; %bb.174:
	s_or_b32 exec_lo, exec_lo, s3
	v_lshlrev_b64 v[13:14], 2, v[13:14]
	v_add_co_u32 v13, vcc_lo, s16, v13
	v_add_co_ci_u32_e64 v14, null, s17, v14, vcc_lo
	s_waitcnt lgkmcnt(6)
	global_store_dword v[13:14], v12, off
	s_or_b32 exec_lo, exec_lo, s2
	s_mov_b32 s2, exec_lo
	v_cmpx_gt_u32_e64 s15, v42
	s_cbranch_execnz .LBB1625_140
.LBB1625_175:
	s_or_b32 exec_lo, exec_lo, s2
	s_mov_b32 s2, exec_lo
	v_cmpx_gt_u32_e64 s15, v41
	s_cbranch_execz .LBB1625_145
.LBB1625_176:
	s_mov_b32 s3, exec_lo
                                        ; implicit-def: $vgpr11_vgpr12
	v_cmpx_ge_u32_e64 v41, v16
	s_xor_b32 s3, exec_lo, s3
	s_cbranch_execz .LBB1625_178
; %bb.177:
	s_waitcnt lgkmcnt(5)
	v_xor_b32_e32 v9, 0xfffffcff, v0
                                        ; implicit-def: $vgpr41
	v_ashrrev_i32_e32 v12, 31, v9
	v_add_co_u32 v11, vcc_lo, v18, v9
	v_add_co_ci_u32_e64 v12, null, v19, v12, vcc_lo
.LBB1625_178:
	s_andn2_saveexec_b32 s3, s3
	s_cbranch_execz .LBB1625_180
; %bb.179:
	s_waitcnt lgkmcnt(6)
	v_add_co_u32 v11, vcc_lo, v15, v41
	v_add_co_ci_u32_e64 v12, null, 0, v17, vcc_lo
.LBB1625_180:
	s_or_b32 exec_lo, exec_lo, s3
	s_waitcnt lgkmcnt(6)
	v_lshlrev_b64 v[11:12], 2, v[11:12]
	v_add_co_u32 v11, vcc_lo, s16, v11
	v_add_co_ci_u32_e64 v12, null, s17, v12, vcc_lo
	s_waitcnt lgkmcnt(5)
	global_store_dword v[11:12], v10, off
	s_or_b32 exec_lo, exec_lo, s2
	s_mov_b32 s2, exec_lo
	v_cmpx_gt_u32_e64 s15, v40
	s_cbranch_execnz .LBB1625_146
.LBB1625_181:
	s_or_b32 exec_lo, exec_lo, s2
	s_mov_b32 s2, exec_lo
	v_cmpx_gt_u32_e64 s15, v39
	s_cbranch_execz .LBB1625_151
.LBB1625_182:
	s_mov_b32 s3, exec_lo
                                        ; implicit-def: $vgpr9_vgpr10
	v_cmpx_ge_u32_e64 v39, v16
	s_xor_b32 s3, exec_lo, s3
	s_cbranch_execz .LBB1625_184
; %bb.183:
	s_waitcnt lgkmcnt(4)
	v_xor_b32_e32 v7, 0xfffffaff, v0
                                        ; implicit-def: $vgpr39
	v_ashrrev_i32_e32 v10, 31, v7
	v_add_co_u32 v9, vcc_lo, v18, v7
	v_add_co_ci_u32_e64 v10, null, v19, v10, vcc_lo
.LBB1625_184:
	s_andn2_saveexec_b32 s3, s3
	s_cbranch_execz .LBB1625_186
; %bb.185:
	s_waitcnt lgkmcnt(5)
	v_add_co_u32 v9, vcc_lo, v15, v39
	v_add_co_ci_u32_e64 v10, null, 0, v17, vcc_lo
.LBB1625_186:
	s_or_b32 exec_lo, exec_lo, s3
	s_waitcnt lgkmcnt(5)
	v_lshlrev_b64 v[9:10], 2, v[9:10]
	v_add_co_u32 v9, vcc_lo, s16, v9
	v_add_co_ci_u32_e64 v10, null, s17, v10, vcc_lo
	s_waitcnt lgkmcnt(4)
	global_store_dword v[9:10], v8, off
	s_or_b32 exec_lo, exec_lo, s2
	s_mov_b32 s2, exec_lo
	v_cmpx_gt_u32_e64 s15, v38
	s_cbranch_execnz .LBB1625_152
.LBB1625_187:
	s_or_b32 exec_lo, exec_lo, s2
	s_mov_b32 s2, exec_lo
	v_cmpx_gt_u32_e64 s15, v37
	s_cbranch_execz .LBB1625_157
.LBB1625_188:
	s_mov_b32 s3, exec_lo
                                        ; implicit-def: $vgpr7_vgpr8
	v_cmpx_ge_u32_e64 v37, v16
	s_xor_b32 s3, exec_lo, s3
	s_cbranch_execz .LBB1625_190
; %bb.189:
	s_waitcnt lgkmcnt(3)
	v_xor_b32_e32 v5, 0xfffff8ff, v0
                                        ; implicit-def: $vgpr37
	v_ashrrev_i32_e32 v8, 31, v5
	v_add_co_u32 v7, vcc_lo, v18, v5
	v_add_co_ci_u32_e64 v8, null, v19, v8, vcc_lo
.LBB1625_190:
	s_andn2_saveexec_b32 s3, s3
	s_cbranch_execz .LBB1625_192
; %bb.191:
	s_waitcnt lgkmcnt(4)
	v_add_co_u32 v7, vcc_lo, v15, v37
	v_add_co_ci_u32_e64 v8, null, 0, v17, vcc_lo
.LBB1625_192:
	s_or_b32 exec_lo, exec_lo, s3
	s_waitcnt lgkmcnt(4)
	v_lshlrev_b64 v[7:8], 2, v[7:8]
	v_add_co_u32 v7, vcc_lo, s16, v7
	v_add_co_ci_u32_e64 v8, null, s17, v8, vcc_lo
	s_waitcnt lgkmcnt(3)
	global_store_dword v[7:8], v6, off
	s_or_b32 exec_lo, exec_lo, s2
	s_mov_b32 s2, exec_lo
	v_cmpx_gt_u32_e64 s15, v36
	s_cbranch_execnz .LBB1625_158
.LBB1625_193:
	s_or_b32 exec_lo, exec_lo, s2
	s_mov_b32 s2, exec_lo
	v_cmpx_gt_u32_e64 s15, v35
	s_cbranch_execz .LBB1625_163
.LBB1625_194:
	s_mov_b32 s3, exec_lo
                                        ; implicit-def: $vgpr5_vgpr6
	v_cmpx_ge_u32_e64 v35, v16
	s_xor_b32 s3, exec_lo, s3
	s_cbranch_execz .LBB1625_196
; %bb.195:
	s_waitcnt lgkmcnt(2)
	v_xor_b32_e32 v3, 0xfffff6ff, v0
                                        ; implicit-def: $vgpr35
	v_ashrrev_i32_e32 v6, 31, v3
	v_add_co_u32 v5, vcc_lo, v18, v3
	v_add_co_ci_u32_e64 v6, null, v19, v6, vcc_lo
.LBB1625_196:
	s_andn2_saveexec_b32 s3, s3
	s_cbranch_execz .LBB1625_198
; %bb.197:
	s_waitcnt lgkmcnt(3)
	v_add_co_u32 v5, vcc_lo, v15, v35
	v_add_co_ci_u32_e64 v6, null, 0, v17, vcc_lo
.LBB1625_198:
	s_or_b32 exec_lo, exec_lo, s3
	s_waitcnt lgkmcnt(3)
	v_lshlrev_b64 v[5:6], 2, v[5:6]
	v_add_co_u32 v5, vcc_lo, s16, v5
	v_add_co_ci_u32_e64 v6, null, s17, v6, vcc_lo
	s_waitcnt lgkmcnt(2)
	global_store_dword v[5:6], v4, off
	s_or_b32 exec_lo, exec_lo, s2
	s_mov_b32 s2, exec_lo
	v_cmpx_gt_u32_e64 s15, v34
	s_cbranch_execnz .LBB1625_164
.LBB1625_199:
	s_or_b32 exec_lo, exec_lo, s2
	s_mov_b32 s2, exec_lo
	v_cmpx_gt_u32_e64 s15, v33
	s_cbranch_execz .LBB1625_205
.LBB1625_200:
	s_mov_b32 s3, exec_lo
                                        ; implicit-def: $vgpr3_vgpr4
	v_cmpx_ge_u32_e64 v33, v16
	s_xor_b32 s3, exec_lo, s3
	s_cbranch_execz .LBB1625_202
; %bb.201:
	s_waitcnt lgkmcnt(1)
	v_xor_b32_e32 v1, 0xfffff4ff, v0
                                        ; implicit-def: $vgpr33
	v_ashrrev_i32_e32 v4, 31, v1
	v_add_co_u32 v3, vcc_lo, v18, v1
	v_add_co_ci_u32_e64 v4, null, v19, v4, vcc_lo
.LBB1625_202:
	s_andn2_saveexec_b32 s3, s3
	s_cbranch_execz .LBB1625_204
; %bb.203:
	s_waitcnt lgkmcnt(2)
	v_add_co_u32 v3, vcc_lo, v15, v33
	v_add_co_ci_u32_e64 v4, null, 0, v17, vcc_lo
.LBB1625_204:
	s_or_b32 exec_lo, exec_lo, s3
	s_waitcnt lgkmcnt(2)
	v_lshlrev_b64 v[3:4], 2, v[3:4]
	v_add_co_u32 v3, vcc_lo, s16, v3
	v_add_co_ci_u32_e64 v4, null, s17, v4, vcc_lo
	s_waitcnt lgkmcnt(1)
	global_store_dword v[3:4], v2, off
.LBB1625_205:
	s_or_b32 exec_lo, exec_lo, s2
	s_mov_b32 s2, exec_lo
                                        ; implicit-def: $vgpr13_vgpr14
	v_cmpx_gt_u32_e64 s15, v32
	s_cbranch_execz .LBB1625_211
; %bb.206:
	s_mov_b32 s3, exec_lo
                                        ; implicit-def: $vgpr13_vgpr14
	v_cmpx_ge_u32_e64 v32, v16
	s_xor_b32 s3, exec_lo, s3
	s_cbranch_execz .LBB1625_208
; %bb.207:
	v_xor_b32_e32 v0, 0xfffff3ff, v0
                                        ; implicit-def: $vgpr32
	s_waitcnt lgkmcnt(1)
	v_ashrrev_i32_e32 v1, 31, v0
	v_add_co_u32 v13, vcc_lo, v18, v0
	v_add_co_ci_u32_e64 v14, null, v19, v1, vcc_lo
.LBB1625_208:
	s_andn2_saveexec_b32 s3, s3
; %bb.209:
	v_add_co_u32 v13, vcc_lo, v15, v32
	v_add_co_ci_u32_e64 v14, null, 0, v17, vcc_lo
; %bb.210:
	s_or_b32 exec_lo, exec_lo, s3
	s_or_b32 s1, s1, exec_lo
.LBB1625_211:
	s_or_b32 exec_lo, exec_lo, s2
	s_and_saveexec_b32 s2, s1
	s_cbranch_execnz .LBB1625_130
.LBB1625_212:
	s_or_b32 exec_lo, exec_lo, s2
	s_and_b32 s0, s0, s14
	s_and_saveexec_b32 s1, s0
	s_cbranch_execz .LBB1625_131
.LBB1625_213:
	v_add_co_u32 v0, vcc_lo, v15, v16
	s_waitcnt lgkmcnt(1)
	v_mov_b32_e32 v2, 0
	v_add_co_ci_u32_e64 v1, null, 0, v17, vcc_lo
	global_store_dwordx2 v2, v[0:1], s[12:13]
	s_endpgm
	.section	.rodata,"a",@progbits
	.p2align	6, 0x0
	.amdhsa_kernel _ZN7rocprim17ROCPRIM_400000_NS6detail17trampoline_kernelINS0_13select_configILj256ELj13ELNS0_17block_load_methodE3ELS4_3ELS4_3ELNS0_20block_scan_algorithmE0ELj4294967295EEENS1_25partition_config_selectorILNS1_17partition_subalgoE3EjNS0_10empty_typeEbEEZZNS1_14partition_implILS8_3ELb0ES6_jNS0_17counting_iteratorIjlEEPS9_SE_NS0_5tupleIJPjSE_EEENSF_IJSE_SE_EEES9_SG_JZNS1_25segmented_radix_sort_implINS0_14default_configELb0EPKbPbPKlPlN2at6native12_GLOBAL__N_18offset_tEEE10hipError_tPvRmT1_PNSt15iterator_traitsISY_E10value_typeET2_T3_PNSZ_IS14_E10value_typeET4_jRbjT5_S1A_jjP12ihipStream_tbEUljE_EEESV_SW_SX_S14_S18_S1A_T6_T7_T9_mT8_S1C_bDpT10_ENKUlT_T0_E_clISt17integral_constantIbLb0EES1O_IbLb1EEEEDaS1K_S1L_EUlS1K_E_NS1_11comp_targetILNS1_3genE8ELNS1_11target_archE1030ELNS1_3gpuE2ELNS1_3repE0EEENS1_30default_config_static_selectorELNS0_4arch9wavefront6targetE0EEEvSY_
		.amdhsa_group_segment_fixed_size 13320
		.amdhsa_private_segment_fixed_size 0
		.amdhsa_kernarg_size 152
		.amdhsa_user_sgpr_count 6
		.amdhsa_user_sgpr_private_segment_buffer 1
		.amdhsa_user_sgpr_dispatch_ptr 0
		.amdhsa_user_sgpr_queue_ptr 0
		.amdhsa_user_sgpr_kernarg_segment_ptr 1
		.amdhsa_user_sgpr_dispatch_id 0
		.amdhsa_user_sgpr_flat_scratch_init 0
		.amdhsa_user_sgpr_private_segment_size 0
		.amdhsa_wavefront_size32 1
		.amdhsa_uses_dynamic_stack 0
		.amdhsa_system_sgpr_private_segment_wavefront_offset 0
		.amdhsa_system_sgpr_workgroup_id_x 1
		.amdhsa_system_sgpr_workgroup_id_y 0
		.amdhsa_system_sgpr_workgroup_id_z 0
		.amdhsa_system_sgpr_workgroup_info 0
		.amdhsa_system_vgpr_workitem_id 0
		.amdhsa_next_free_vgpr 71
		.amdhsa_next_free_sgpr 26
		.amdhsa_reserve_vcc 1
		.amdhsa_reserve_flat_scratch 0
		.amdhsa_float_round_mode_32 0
		.amdhsa_float_round_mode_16_64 0
		.amdhsa_float_denorm_mode_32 3
		.amdhsa_float_denorm_mode_16_64 3
		.amdhsa_dx10_clamp 1
		.amdhsa_ieee_mode 1
		.amdhsa_fp16_overflow 0
		.amdhsa_workgroup_processor_mode 1
		.amdhsa_memory_ordered 1
		.amdhsa_forward_progress 1
		.amdhsa_shared_vgpr_count 0
		.amdhsa_exception_fp_ieee_invalid_op 0
		.amdhsa_exception_fp_denorm_src 0
		.amdhsa_exception_fp_ieee_div_zero 0
		.amdhsa_exception_fp_ieee_overflow 0
		.amdhsa_exception_fp_ieee_underflow 0
		.amdhsa_exception_fp_ieee_inexact 0
		.amdhsa_exception_int_div_zero 0
	.end_amdhsa_kernel
	.section	.text._ZN7rocprim17ROCPRIM_400000_NS6detail17trampoline_kernelINS0_13select_configILj256ELj13ELNS0_17block_load_methodE3ELS4_3ELS4_3ELNS0_20block_scan_algorithmE0ELj4294967295EEENS1_25partition_config_selectorILNS1_17partition_subalgoE3EjNS0_10empty_typeEbEEZZNS1_14partition_implILS8_3ELb0ES6_jNS0_17counting_iteratorIjlEEPS9_SE_NS0_5tupleIJPjSE_EEENSF_IJSE_SE_EEES9_SG_JZNS1_25segmented_radix_sort_implINS0_14default_configELb0EPKbPbPKlPlN2at6native12_GLOBAL__N_18offset_tEEE10hipError_tPvRmT1_PNSt15iterator_traitsISY_E10value_typeET2_T3_PNSZ_IS14_E10value_typeET4_jRbjT5_S1A_jjP12ihipStream_tbEUljE_EEESV_SW_SX_S14_S18_S1A_T6_T7_T9_mT8_S1C_bDpT10_ENKUlT_T0_E_clISt17integral_constantIbLb0EES1O_IbLb1EEEEDaS1K_S1L_EUlS1K_E_NS1_11comp_targetILNS1_3genE8ELNS1_11target_archE1030ELNS1_3gpuE2ELNS1_3repE0EEENS1_30default_config_static_selectorELNS0_4arch9wavefront6targetE0EEEvSY_,"axG",@progbits,_ZN7rocprim17ROCPRIM_400000_NS6detail17trampoline_kernelINS0_13select_configILj256ELj13ELNS0_17block_load_methodE3ELS4_3ELS4_3ELNS0_20block_scan_algorithmE0ELj4294967295EEENS1_25partition_config_selectorILNS1_17partition_subalgoE3EjNS0_10empty_typeEbEEZZNS1_14partition_implILS8_3ELb0ES6_jNS0_17counting_iteratorIjlEEPS9_SE_NS0_5tupleIJPjSE_EEENSF_IJSE_SE_EEES9_SG_JZNS1_25segmented_radix_sort_implINS0_14default_configELb0EPKbPbPKlPlN2at6native12_GLOBAL__N_18offset_tEEE10hipError_tPvRmT1_PNSt15iterator_traitsISY_E10value_typeET2_T3_PNSZ_IS14_E10value_typeET4_jRbjT5_S1A_jjP12ihipStream_tbEUljE_EEESV_SW_SX_S14_S18_S1A_T6_T7_T9_mT8_S1C_bDpT10_ENKUlT_T0_E_clISt17integral_constantIbLb0EES1O_IbLb1EEEEDaS1K_S1L_EUlS1K_E_NS1_11comp_targetILNS1_3genE8ELNS1_11target_archE1030ELNS1_3gpuE2ELNS1_3repE0EEENS1_30default_config_static_selectorELNS0_4arch9wavefront6targetE0EEEvSY_,comdat
.Lfunc_end1625:
	.size	_ZN7rocprim17ROCPRIM_400000_NS6detail17trampoline_kernelINS0_13select_configILj256ELj13ELNS0_17block_load_methodE3ELS4_3ELS4_3ELNS0_20block_scan_algorithmE0ELj4294967295EEENS1_25partition_config_selectorILNS1_17partition_subalgoE3EjNS0_10empty_typeEbEEZZNS1_14partition_implILS8_3ELb0ES6_jNS0_17counting_iteratorIjlEEPS9_SE_NS0_5tupleIJPjSE_EEENSF_IJSE_SE_EEES9_SG_JZNS1_25segmented_radix_sort_implINS0_14default_configELb0EPKbPbPKlPlN2at6native12_GLOBAL__N_18offset_tEEE10hipError_tPvRmT1_PNSt15iterator_traitsISY_E10value_typeET2_T3_PNSZ_IS14_E10value_typeET4_jRbjT5_S1A_jjP12ihipStream_tbEUljE_EEESV_SW_SX_S14_S18_S1A_T6_T7_T9_mT8_S1C_bDpT10_ENKUlT_T0_E_clISt17integral_constantIbLb0EES1O_IbLb1EEEEDaS1K_S1L_EUlS1K_E_NS1_11comp_targetILNS1_3genE8ELNS1_11target_archE1030ELNS1_3gpuE2ELNS1_3repE0EEENS1_30default_config_static_selectorELNS0_4arch9wavefront6targetE0EEEvSY_, .Lfunc_end1625-_ZN7rocprim17ROCPRIM_400000_NS6detail17trampoline_kernelINS0_13select_configILj256ELj13ELNS0_17block_load_methodE3ELS4_3ELS4_3ELNS0_20block_scan_algorithmE0ELj4294967295EEENS1_25partition_config_selectorILNS1_17partition_subalgoE3EjNS0_10empty_typeEbEEZZNS1_14partition_implILS8_3ELb0ES6_jNS0_17counting_iteratorIjlEEPS9_SE_NS0_5tupleIJPjSE_EEENSF_IJSE_SE_EEES9_SG_JZNS1_25segmented_radix_sort_implINS0_14default_configELb0EPKbPbPKlPlN2at6native12_GLOBAL__N_18offset_tEEE10hipError_tPvRmT1_PNSt15iterator_traitsISY_E10value_typeET2_T3_PNSZ_IS14_E10value_typeET4_jRbjT5_S1A_jjP12ihipStream_tbEUljE_EEESV_SW_SX_S14_S18_S1A_T6_T7_T9_mT8_S1C_bDpT10_ENKUlT_T0_E_clISt17integral_constantIbLb0EES1O_IbLb1EEEEDaS1K_S1L_EUlS1K_E_NS1_11comp_targetILNS1_3genE8ELNS1_11target_archE1030ELNS1_3gpuE2ELNS1_3repE0EEENS1_30default_config_static_selectorELNS0_4arch9wavefront6targetE0EEEvSY_
                                        ; -- End function
	.set _ZN7rocprim17ROCPRIM_400000_NS6detail17trampoline_kernelINS0_13select_configILj256ELj13ELNS0_17block_load_methodE3ELS4_3ELS4_3ELNS0_20block_scan_algorithmE0ELj4294967295EEENS1_25partition_config_selectorILNS1_17partition_subalgoE3EjNS0_10empty_typeEbEEZZNS1_14partition_implILS8_3ELb0ES6_jNS0_17counting_iteratorIjlEEPS9_SE_NS0_5tupleIJPjSE_EEENSF_IJSE_SE_EEES9_SG_JZNS1_25segmented_radix_sort_implINS0_14default_configELb0EPKbPbPKlPlN2at6native12_GLOBAL__N_18offset_tEEE10hipError_tPvRmT1_PNSt15iterator_traitsISY_E10value_typeET2_T3_PNSZ_IS14_E10value_typeET4_jRbjT5_S1A_jjP12ihipStream_tbEUljE_EEESV_SW_SX_S14_S18_S1A_T6_T7_T9_mT8_S1C_bDpT10_ENKUlT_T0_E_clISt17integral_constantIbLb0EES1O_IbLb1EEEEDaS1K_S1L_EUlS1K_E_NS1_11comp_targetILNS1_3genE8ELNS1_11target_archE1030ELNS1_3gpuE2ELNS1_3repE0EEENS1_30default_config_static_selectorELNS0_4arch9wavefront6targetE0EEEvSY_.num_vgpr, 71
	.set _ZN7rocprim17ROCPRIM_400000_NS6detail17trampoline_kernelINS0_13select_configILj256ELj13ELNS0_17block_load_methodE3ELS4_3ELS4_3ELNS0_20block_scan_algorithmE0ELj4294967295EEENS1_25partition_config_selectorILNS1_17partition_subalgoE3EjNS0_10empty_typeEbEEZZNS1_14partition_implILS8_3ELb0ES6_jNS0_17counting_iteratorIjlEEPS9_SE_NS0_5tupleIJPjSE_EEENSF_IJSE_SE_EEES9_SG_JZNS1_25segmented_radix_sort_implINS0_14default_configELb0EPKbPbPKlPlN2at6native12_GLOBAL__N_18offset_tEEE10hipError_tPvRmT1_PNSt15iterator_traitsISY_E10value_typeET2_T3_PNSZ_IS14_E10value_typeET4_jRbjT5_S1A_jjP12ihipStream_tbEUljE_EEESV_SW_SX_S14_S18_S1A_T6_T7_T9_mT8_S1C_bDpT10_ENKUlT_T0_E_clISt17integral_constantIbLb0EES1O_IbLb1EEEEDaS1K_S1L_EUlS1K_E_NS1_11comp_targetILNS1_3genE8ELNS1_11target_archE1030ELNS1_3gpuE2ELNS1_3repE0EEENS1_30default_config_static_selectorELNS0_4arch9wavefront6targetE0EEEvSY_.num_agpr, 0
	.set _ZN7rocprim17ROCPRIM_400000_NS6detail17trampoline_kernelINS0_13select_configILj256ELj13ELNS0_17block_load_methodE3ELS4_3ELS4_3ELNS0_20block_scan_algorithmE0ELj4294967295EEENS1_25partition_config_selectorILNS1_17partition_subalgoE3EjNS0_10empty_typeEbEEZZNS1_14partition_implILS8_3ELb0ES6_jNS0_17counting_iteratorIjlEEPS9_SE_NS0_5tupleIJPjSE_EEENSF_IJSE_SE_EEES9_SG_JZNS1_25segmented_radix_sort_implINS0_14default_configELb0EPKbPbPKlPlN2at6native12_GLOBAL__N_18offset_tEEE10hipError_tPvRmT1_PNSt15iterator_traitsISY_E10value_typeET2_T3_PNSZ_IS14_E10value_typeET4_jRbjT5_S1A_jjP12ihipStream_tbEUljE_EEESV_SW_SX_S14_S18_S1A_T6_T7_T9_mT8_S1C_bDpT10_ENKUlT_T0_E_clISt17integral_constantIbLb0EES1O_IbLb1EEEEDaS1K_S1L_EUlS1K_E_NS1_11comp_targetILNS1_3genE8ELNS1_11target_archE1030ELNS1_3gpuE2ELNS1_3repE0EEENS1_30default_config_static_selectorELNS0_4arch9wavefront6targetE0EEEvSY_.numbered_sgpr, 26
	.set _ZN7rocprim17ROCPRIM_400000_NS6detail17trampoline_kernelINS0_13select_configILj256ELj13ELNS0_17block_load_methodE3ELS4_3ELS4_3ELNS0_20block_scan_algorithmE0ELj4294967295EEENS1_25partition_config_selectorILNS1_17partition_subalgoE3EjNS0_10empty_typeEbEEZZNS1_14partition_implILS8_3ELb0ES6_jNS0_17counting_iteratorIjlEEPS9_SE_NS0_5tupleIJPjSE_EEENSF_IJSE_SE_EEES9_SG_JZNS1_25segmented_radix_sort_implINS0_14default_configELb0EPKbPbPKlPlN2at6native12_GLOBAL__N_18offset_tEEE10hipError_tPvRmT1_PNSt15iterator_traitsISY_E10value_typeET2_T3_PNSZ_IS14_E10value_typeET4_jRbjT5_S1A_jjP12ihipStream_tbEUljE_EEESV_SW_SX_S14_S18_S1A_T6_T7_T9_mT8_S1C_bDpT10_ENKUlT_T0_E_clISt17integral_constantIbLb0EES1O_IbLb1EEEEDaS1K_S1L_EUlS1K_E_NS1_11comp_targetILNS1_3genE8ELNS1_11target_archE1030ELNS1_3gpuE2ELNS1_3repE0EEENS1_30default_config_static_selectorELNS0_4arch9wavefront6targetE0EEEvSY_.num_named_barrier, 0
	.set _ZN7rocprim17ROCPRIM_400000_NS6detail17trampoline_kernelINS0_13select_configILj256ELj13ELNS0_17block_load_methodE3ELS4_3ELS4_3ELNS0_20block_scan_algorithmE0ELj4294967295EEENS1_25partition_config_selectorILNS1_17partition_subalgoE3EjNS0_10empty_typeEbEEZZNS1_14partition_implILS8_3ELb0ES6_jNS0_17counting_iteratorIjlEEPS9_SE_NS0_5tupleIJPjSE_EEENSF_IJSE_SE_EEES9_SG_JZNS1_25segmented_radix_sort_implINS0_14default_configELb0EPKbPbPKlPlN2at6native12_GLOBAL__N_18offset_tEEE10hipError_tPvRmT1_PNSt15iterator_traitsISY_E10value_typeET2_T3_PNSZ_IS14_E10value_typeET4_jRbjT5_S1A_jjP12ihipStream_tbEUljE_EEESV_SW_SX_S14_S18_S1A_T6_T7_T9_mT8_S1C_bDpT10_ENKUlT_T0_E_clISt17integral_constantIbLb0EES1O_IbLb1EEEEDaS1K_S1L_EUlS1K_E_NS1_11comp_targetILNS1_3genE8ELNS1_11target_archE1030ELNS1_3gpuE2ELNS1_3repE0EEENS1_30default_config_static_selectorELNS0_4arch9wavefront6targetE0EEEvSY_.private_seg_size, 0
	.set _ZN7rocprim17ROCPRIM_400000_NS6detail17trampoline_kernelINS0_13select_configILj256ELj13ELNS0_17block_load_methodE3ELS4_3ELS4_3ELNS0_20block_scan_algorithmE0ELj4294967295EEENS1_25partition_config_selectorILNS1_17partition_subalgoE3EjNS0_10empty_typeEbEEZZNS1_14partition_implILS8_3ELb0ES6_jNS0_17counting_iteratorIjlEEPS9_SE_NS0_5tupleIJPjSE_EEENSF_IJSE_SE_EEES9_SG_JZNS1_25segmented_radix_sort_implINS0_14default_configELb0EPKbPbPKlPlN2at6native12_GLOBAL__N_18offset_tEEE10hipError_tPvRmT1_PNSt15iterator_traitsISY_E10value_typeET2_T3_PNSZ_IS14_E10value_typeET4_jRbjT5_S1A_jjP12ihipStream_tbEUljE_EEESV_SW_SX_S14_S18_S1A_T6_T7_T9_mT8_S1C_bDpT10_ENKUlT_T0_E_clISt17integral_constantIbLb0EES1O_IbLb1EEEEDaS1K_S1L_EUlS1K_E_NS1_11comp_targetILNS1_3genE8ELNS1_11target_archE1030ELNS1_3gpuE2ELNS1_3repE0EEENS1_30default_config_static_selectorELNS0_4arch9wavefront6targetE0EEEvSY_.uses_vcc, 1
	.set _ZN7rocprim17ROCPRIM_400000_NS6detail17trampoline_kernelINS0_13select_configILj256ELj13ELNS0_17block_load_methodE3ELS4_3ELS4_3ELNS0_20block_scan_algorithmE0ELj4294967295EEENS1_25partition_config_selectorILNS1_17partition_subalgoE3EjNS0_10empty_typeEbEEZZNS1_14partition_implILS8_3ELb0ES6_jNS0_17counting_iteratorIjlEEPS9_SE_NS0_5tupleIJPjSE_EEENSF_IJSE_SE_EEES9_SG_JZNS1_25segmented_radix_sort_implINS0_14default_configELb0EPKbPbPKlPlN2at6native12_GLOBAL__N_18offset_tEEE10hipError_tPvRmT1_PNSt15iterator_traitsISY_E10value_typeET2_T3_PNSZ_IS14_E10value_typeET4_jRbjT5_S1A_jjP12ihipStream_tbEUljE_EEESV_SW_SX_S14_S18_S1A_T6_T7_T9_mT8_S1C_bDpT10_ENKUlT_T0_E_clISt17integral_constantIbLb0EES1O_IbLb1EEEEDaS1K_S1L_EUlS1K_E_NS1_11comp_targetILNS1_3genE8ELNS1_11target_archE1030ELNS1_3gpuE2ELNS1_3repE0EEENS1_30default_config_static_selectorELNS0_4arch9wavefront6targetE0EEEvSY_.uses_flat_scratch, 0
	.set _ZN7rocprim17ROCPRIM_400000_NS6detail17trampoline_kernelINS0_13select_configILj256ELj13ELNS0_17block_load_methodE3ELS4_3ELS4_3ELNS0_20block_scan_algorithmE0ELj4294967295EEENS1_25partition_config_selectorILNS1_17partition_subalgoE3EjNS0_10empty_typeEbEEZZNS1_14partition_implILS8_3ELb0ES6_jNS0_17counting_iteratorIjlEEPS9_SE_NS0_5tupleIJPjSE_EEENSF_IJSE_SE_EEES9_SG_JZNS1_25segmented_radix_sort_implINS0_14default_configELb0EPKbPbPKlPlN2at6native12_GLOBAL__N_18offset_tEEE10hipError_tPvRmT1_PNSt15iterator_traitsISY_E10value_typeET2_T3_PNSZ_IS14_E10value_typeET4_jRbjT5_S1A_jjP12ihipStream_tbEUljE_EEESV_SW_SX_S14_S18_S1A_T6_T7_T9_mT8_S1C_bDpT10_ENKUlT_T0_E_clISt17integral_constantIbLb0EES1O_IbLb1EEEEDaS1K_S1L_EUlS1K_E_NS1_11comp_targetILNS1_3genE8ELNS1_11target_archE1030ELNS1_3gpuE2ELNS1_3repE0EEENS1_30default_config_static_selectorELNS0_4arch9wavefront6targetE0EEEvSY_.has_dyn_sized_stack, 0
	.set _ZN7rocprim17ROCPRIM_400000_NS6detail17trampoline_kernelINS0_13select_configILj256ELj13ELNS0_17block_load_methodE3ELS4_3ELS4_3ELNS0_20block_scan_algorithmE0ELj4294967295EEENS1_25partition_config_selectorILNS1_17partition_subalgoE3EjNS0_10empty_typeEbEEZZNS1_14partition_implILS8_3ELb0ES6_jNS0_17counting_iteratorIjlEEPS9_SE_NS0_5tupleIJPjSE_EEENSF_IJSE_SE_EEES9_SG_JZNS1_25segmented_radix_sort_implINS0_14default_configELb0EPKbPbPKlPlN2at6native12_GLOBAL__N_18offset_tEEE10hipError_tPvRmT1_PNSt15iterator_traitsISY_E10value_typeET2_T3_PNSZ_IS14_E10value_typeET4_jRbjT5_S1A_jjP12ihipStream_tbEUljE_EEESV_SW_SX_S14_S18_S1A_T6_T7_T9_mT8_S1C_bDpT10_ENKUlT_T0_E_clISt17integral_constantIbLb0EES1O_IbLb1EEEEDaS1K_S1L_EUlS1K_E_NS1_11comp_targetILNS1_3genE8ELNS1_11target_archE1030ELNS1_3gpuE2ELNS1_3repE0EEENS1_30default_config_static_selectorELNS0_4arch9wavefront6targetE0EEEvSY_.has_recursion, 0
	.set _ZN7rocprim17ROCPRIM_400000_NS6detail17trampoline_kernelINS0_13select_configILj256ELj13ELNS0_17block_load_methodE3ELS4_3ELS4_3ELNS0_20block_scan_algorithmE0ELj4294967295EEENS1_25partition_config_selectorILNS1_17partition_subalgoE3EjNS0_10empty_typeEbEEZZNS1_14partition_implILS8_3ELb0ES6_jNS0_17counting_iteratorIjlEEPS9_SE_NS0_5tupleIJPjSE_EEENSF_IJSE_SE_EEES9_SG_JZNS1_25segmented_radix_sort_implINS0_14default_configELb0EPKbPbPKlPlN2at6native12_GLOBAL__N_18offset_tEEE10hipError_tPvRmT1_PNSt15iterator_traitsISY_E10value_typeET2_T3_PNSZ_IS14_E10value_typeET4_jRbjT5_S1A_jjP12ihipStream_tbEUljE_EEESV_SW_SX_S14_S18_S1A_T6_T7_T9_mT8_S1C_bDpT10_ENKUlT_T0_E_clISt17integral_constantIbLb0EES1O_IbLb1EEEEDaS1K_S1L_EUlS1K_E_NS1_11comp_targetILNS1_3genE8ELNS1_11target_archE1030ELNS1_3gpuE2ELNS1_3repE0EEENS1_30default_config_static_selectorELNS0_4arch9wavefront6targetE0EEEvSY_.has_indirect_call, 0
	.section	.AMDGPU.csdata,"",@progbits
; Kernel info:
; codeLenInByte = 8704
; TotalNumSgprs: 28
; NumVgprs: 71
; ScratchSize: 0
; MemoryBound: 0
; FloatMode: 240
; IeeeMode: 1
; LDSByteSize: 13320 bytes/workgroup (compile time only)
; SGPRBlocks: 0
; VGPRBlocks: 8
; NumSGPRsForWavesPerEU: 28
; NumVGPRsForWavesPerEU: 71
; Occupancy: 12
; WaveLimiterHint : 0
; COMPUTE_PGM_RSRC2:SCRATCH_EN: 0
; COMPUTE_PGM_RSRC2:USER_SGPR: 6
; COMPUTE_PGM_RSRC2:TRAP_HANDLER: 0
; COMPUTE_PGM_RSRC2:TGID_X_EN: 1
; COMPUTE_PGM_RSRC2:TGID_Y_EN: 0
; COMPUTE_PGM_RSRC2:TGID_Z_EN: 0
; COMPUTE_PGM_RSRC2:TIDIG_COMP_CNT: 0
	.section	.text._ZN7rocprim17ROCPRIM_400000_NS6detail17trampoline_kernelINS0_14default_configENS1_36segmented_radix_sort_config_selectorIblEEZNS1_25segmented_radix_sort_implIS3_Lb0EPKbPbPKlPlN2at6native12_GLOBAL__N_18offset_tEEE10hipError_tPvRmT1_PNSt15iterator_traitsISK_E10value_typeET2_T3_PNSL_ISQ_E10value_typeET4_jRbjT5_SW_jjP12ihipStream_tbEUlT_E_NS1_11comp_targetILNS1_3genE0ELNS1_11target_archE4294967295ELNS1_3gpuE0ELNS1_3repE0EEENS1_30default_config_static_selectorELNS0_4arch9wavefront6targetE0EEEvSK_,"axG",@progbits,_ZN7rocprim17ROCPRIM_400000_NS6detail17trampoline_kernelINS0_14default_configENS1_36segmented_radix_sort_config_selectorIblEEZNS1_25segmented_radix_sort_implIS3_Lb0EPKbPbPKlPlN2at6native12_GLOBAL__N_18offset_tEEE10hipError_tPvRmT1_PNSt15iterator_traitsISK_E10value_typeET2_T3_PNSL_ISQ_E10value_typeET4_jRbjT5_SW_jjP12ihipStream_tbEUlT_E_NS1_11comp_targetILNS1_3genE0ELNS1_11target_archE4294967295ELNS1_3gpuE0ELNS1_3repE0EEENS1_30default_config_static_selectorELNS0_4arch9wavefront6targetE0EEEvSK_,comdat
	.globl	_ZN7rocprim17ROCPRIM_400000_NS6detail17trampoline_kernelINS0_14default_configENS1_36segmented_radix_sort_config_selectorIblEEZNS1_25segmented_radix_sort_implIS3_Lb0EPKbPbPKlPlN2at6native12_GLOBAL__N_18offset_tEEE10hipError_tPvRmT1_PNSt15iterator_traitsISK_E10value_typeET2_T3_PNSL_ISQ_E10value_typeET4_jRbjT5_SW_jjP12ihipStream_tbEUlT_E_NS1_11comp_targetILNS1_3genE0ELNS1_11target_archE4294967295ELNS1_3gpuE0ELNS1_3repE0EEENS1_30default_config_static_selectorELNS0_4arch9wavefront6targetE0EEEvSK_ ; -- Begin function _ZN7rocprim17ROCPRIM_400000_NS6detail17trampoline_kernelINS0_14default_configENS1_36segmented_radix_sort_config_selectorIblEEZNS1_25segmented_radix_sort_implIS3_Lb0EPKbPbPKlPlN2at6native12_GLOBAL__N_18offset_tEEE10hipError_tPvRmT1_PNSt15iterator_traitsISK_E10value_typeET2_T3_PNSL_ISQ_E10value_typeET4_jRbjT5_SW_jjP12ihipStream_tbEUlT_E_NS1_11comp_targetILNS1_3genE0ELNS1_11target_archE4294967295ELNS1_3gpuE0ELNS1_3repE0EEENS1_30default_config_static_selectorELNS0_4arch9wavefront6targetE0EEEvSK_
	.p2align	8
	.type	_ZN7rocprim17ROCPRIM_400000_NS6detail17trampoline_kernelINS0_14default_configENS1_36segmented_radix_sort_config_selectorIblEEZNS1_25segmented_radix_sort_implIS3_Lb0EPKbPbPKlPlN2at6native12_GLOBAL__N_18offset_tEEE10hipError_tPvRmT1_PNSt15iterator_traitsISK_E10value_typeET2_T3_PNSL_ISQ_E10value_typeET4_jRbjT5_SW_jjP12ihipStream_tbEUlT_E_NS1_11comp_targetILNS1_3genE0ELNS1_11target_archE4294967295ELNS1_3gpuE0ELNS1_3repE0EEENS1_30default_config_static_selectorELNS0_4arch9wavefront6targetE0EEEvSK_,@function
_ZN7rocprim17ROCPRIM_400000_NS6detail17trampoline_kernelINS0_14default_configENS1_36segmented_radix_sort_config_selectorIblEEZNS1_25segmented_radix_sort_implIS3_Lb0EPKbPbPKlPlN2at6native12_GLOBAL__N_18offset_tEEE10hipError_tPvRmT1_PNSt15iterator_traitsISK_E10value_typeET2_T3_PNSL_ISQ_E10value_typeET4_jRbjT5_SW_jjP12ihipStream_tbEUlT_E_NS1_11comp_targetILNS1_3genE0ELNS1_11target_archE4294967295ELNS1_3gpuE0ELNS1_3repE0EEENS1_30default_config_static_selectorELNS0_4arch9wavefront6targetE0EEEvSK_: ; @_ZN7rocprim17ROCPRIM_400000_NS6detail17trampoline_kernelINS0_14default_configENS1_36segmented_radix_sort_config_selectorIblEEZNS1_25segmented_radix_sort_implIS3_Lb0EPKbPbPKlPlN2at6native12_GLOBAL__N_18offset_tEEE10hipError_tPvRmT1_PNSt15iterator_traitsISK_E10value_typeET2_T3_PNSL_ISQ_E10value_typeET4_jRbjT5_SW_jjP12ihipStream_tbEUlT_E_NS1_11comp_targetILNS1_3genE0ELNS1_11target_archE4294967295ELNS1_3gpuE0ELNS1_3repE0EEENS1_30default_config_static_selectorELNS0_4arch9wavefront6targetE0EEEvSK_
; %bb.0:
	.section	.rodata,"a",@progbits
	.p2align	6, 0x0
	.amdhsa_kernel _ZN7rocprim17ROCPRIM_400000_NS6detail17trampoline_kernelINS0_14default_configENS1_36segmented_radix_sort_config_selectorIblEEZNS1_25segmented_radix_sort_implIS3_Lb0EPKbPbPKlPlN2at6native12_GLOBAL__N_18offset_tEEE10hipError_tPvRmT1_PNSt15iterator_traitsISK_E10value_typeET2_T3_PNSL_ISQ_E10value_typeET4_jRbjT5_SW_jjP12ihipStream_tbEUlT_E_NS1_11comp_targetILNS1_3genE0ELNS1_11target_archE4294967295ELNS1_3gpuE0ELNS1_3repE0EEENS1_30default_config_static_selectorELNS0_4arch9wavefront6targetE0EEEvSK_
		.amdhsa_group_segment_fixed_size 0
		.amdhsa_private_segment_fixed_size 0
		.amdhsa_kernarg_size 96
		.amdhsa_user_sgpr_count 6
		.amdhsa_user_sgpr_private_segment_buffer 1
		.amdhsa_user_sgpr_dispatch_ptr 0
		.amdhsa_user_sgpr_queue_ptr 0
		.amdhsa_user_sgpr_kernarg_segment_ptr 1
		.amdhsa_user_sgpr_dispatch_id 0
		.amdhsa_user_sgpr_flat_scratch_init 0
		.amdhsa_user_sgpr_private_segment_size 0
		.amdhsa_wavefront_size32 1
		.amdhsa_uses_dynamic_stack 0
		.amdhsa_system_sgpr_private_segment_wavefront_offset 0
		.amdhsa_system_sgpr_workgroup_id_x 1
		.amdhsa_system_sgpr_workgroup_id_y 0
		.amdhsa_system_sgpr_workgroup_id_z 0
		.amdhsa_system_sgpr_workgroup_info 0
		.amdhsa_system_vgpr_workitem_id 0
		.amdhsa_next_free_vgpr 1
		.amdhsa_next_free_sgpr 1
		.amdhsa_reserve_vcc 0
		.amdhsa_reserve_flat_scratch 0
		.amdhsa_float_round_mode_32 0
		.amdhsa_float_round_mode_16_64 0
		.amdhsa_float_denorm_mode_32 3
		.amdhsa_float_denorm_mode_16_64 3
		.amdhsa_dx10_clamp 1
		.amdhsa_ieee_mode 1
		.amdhsa_fp16_overflow 0
		.amdhsa_workgroup_processor_mode 1
		.amdhsa_memory_ordered 1
		.amdhsa_forward_progress 1
		.amdhsa_shared_vgpr_count 0
		.amdhsa_exception_fp_ieee_invalid_op 0
		.amdhsa_exception_fp_denorm_src 0
		.amdhsa_exception_fp_ieee_div_zero 0
		.amdhsa_exception_fp_ieee_overflow 0
		.amdhsa_exception_fp_ieee_underflow 0
		.amdhsa_exception_fp_ieee_inexact 0
		.amdhsa_exception_int_div_zero 0
	.end_amdhsa_kernel
	.section	.text._ZN7rocprim17ROCPRIM_400000_NS6detail17trampoline_kernelINS0_14default_configENS1_36segmented_radix_sort_config_selectorIblEEZNS1_25segmented_radix_sort_implIS3_Lb0EPKbPbPKlPlN2at6native12_GLOBAL__N_18offset_tEEE10hipError_tPvRmT1_PNSt15iterator_traitsISK_E10value_typeET2_T3_PNSL_ISQ_E10value_typeET4_jRbjT5_SW_jjP12ihipStream_tbEUlT_E_NS1_11comp_targetILNS1_3genE0ELNS1_11target_archE4294967295ELNS1_3gpuE0ELNS1_3repE0EEENS1_30default_config_static_selectorELNS0_4arch9wavefront6targetE0EEEvSK_,"axG",@progbits,_ZN7rocprim17ROCPRIM_400000_NS6detail17trampoline_kernelINS0_14default_configENS1_36segmented_radix_sort_config_selectorIblEEZNS1_25segmented_radix_sort_implIS3_Lb0EPKbPbPKlPlN2at6native12_GLOBAL__N_18offset_tEEE10hipError_tPvRmT1_PNSt15iterator_traitsISK_E10value_typeET2_T3_PNSL_ISQ_E10value_typeET4_jRbjT5_SW_jjP12ihipStream_tbEUlT_E_NS1_11comp_targetILNS1_3genE0ELNS1_11target_archE4294967295ELNS1_3gpuE0ELNS1_3repE0EEENS1_30default_config_static_selectorELNS0_4arch9wavefront6targetE0EEEvSK_,comdat
.Lfunc_end1626:
	.size	_ZN7rocprim17ROCPRIM_400000_NS6detail17trampoline_kernelINS0_14default_configENS1_36segmented_radix_sort_config_selectorIblEEZNS1_25segmented_radix_sort_implIS3_Lb0EPKbPbPKlPlN2at6native12_GLOBAL__N_18offset_tEEE10hipError_tPvRmT1_PNSt15iterator_traitsISK_E10value_typeET2_T3_PNSL_ISQ_E10value_typeET4_jRbjT5_SW_jjP12ihipStream_tbEUlT_E_NS1_11comp_targetILNS1_3genE0ELNS1_11target_archE4294967295ELNS1_3gpuE0ELNS1_3repE0EEENS1_30default_config_static_selectorELNS0_4arch9wavefront6targetE0EEEvSK_, .Lfunc_end1626-_ZN7rocprim17ROCPRIM_400000_NS6detail17trampoline_kernelINS0_14default_configENS1_36segmented_radix_sort_config_selectorIblEEZNS1_25segmented_radix_sort_implIS3_Lb0EPKbPbPKlPlN2at6native12_GLOBAL__N_18offset_tEEE10hipError_tPvRmT1_PNSt15iterator_traitsISK_E10value_typeET2_T3_PNSL_ISQ_E10value_typeET4_jRbjT5_SW_jjP12ihipStream_tbEUlT_E_NS1_11comp_targetILNS1_3genE0ELNS1_11target_archE4294967295ELNS1_3gpuE0ELNS1_3repE0EEENS1_30default_config_static_selectorELNS0_4arch9wavefront6targetE0EEEvSK_
                                        ; -- End function
	.set _ZN7rocprim17ROCPRIM_400000_NS6detail17trampoline_kernelINS0_14default_configENS1_36segmented_radix_sort_config_selectorIblEEZNS1_25segmented_radix_sort_implIS3_Lb0EPKbPbPKlPlN2at6native12_GLOBAL__N_18offset_tEEE10hipError_tPvRmT1_PNSt15iterator_traitsISK_E10value_typeET2_T3_PNSL_ISQ_E10value_typeET4_jRbjT5_SW_jjP12ihipStream_tbEUlT_E_NS1_11comp_targetILNS1_3genE0ELNS1_11target_archE4294967295ELNS1_3gpuE0ELNS1_3repE0EEENS1_30default_config_static_selectorELNS0_4arch9wavefront6targetE0EEEvSK_.num_vgpr, 0
	.set _ZN7rocprim17ROCPRIM_400000_NS6detail17trampoline_kernelINS0_14default_configENS1_36segmented_radix_sort_config_selectorIblEEZNS1_25segmented_radix_sort_implIS3_Lb0EPKbPbPKlPlN2at6native12_GLOBAL__N_18offset_tEEE10hipError_tPvRmT1_PNSt15iterator_traitsISK_E10value_typeET2_T3_PNSL_ISQ_E10value_typeET4_jRbjT5_SW_jjP12ihipStream_tbEUlT_E_NS1_11comp_targetILNS1_3genE0ELNS1_11target_archE4294967295ELNS1_3gpuE0ELNS1_3repE0EEENS1_30default_config_static_selectorELNS0_4arch9wavefront6targetE0EEEvSK_.num_agpr, 0
	.set _ZN7rocprim17ROCPRIM_400000_NS6detail17trampoline_kernelINS0_14default_configENS1_36segmented_radix_sort_config_selectorIblEEZNS1_25segmented_radix_sort_implIS3_Lb0EPKbPbPKlPlN2at6native12_GLOBAL__N_18offset_tEEE10hipError_tPvRmT1_PNSt15iterator_traitsISK_E10value_typeET2_T3_PNSL_ISQ_E10value_typeET4_jRbjT5_SW_jjP12ihipStream_tbEUlT_E_NS1_11comp_targetILNS1_3genE0ELNS1_11target_archE4294967295ELNS1_3gpuE0ELNS1_3repE0EEENS1_30default_config_static_selectorELNS0_4arch9wavefront6targetE0EEEvSK_.numbered_sgpr, 0
	.set _ZN7rocprim17ROCPRIM_400000_NS6detail17trampoline_kernelINS0_14default_configENS1_36segmented_radix_sort_config_selectorIblEEZNS1_25segmented_radix_sort_implIS3_Lb0EPKbPbPKlPlN2at6native12_GLOBAL__N_18offset_tEEE10hipError_tPvRmT1_PNSt15iterator_traitsISK_E10value_typeET2_T3_PNSL_ISQ_E10value_typeET4_jRbjT5_SW_jjP12ihipStream_tbEUlT_E_NS1_11comp_targetILNS1_3genE0ELNS1_11target_archE4294967295ELNS1_3gpuE0ELNS1_3repE0EEENS1_30default_config_static_selectorELNS0_4arch9wavefront6targetE0EEEvSK_.num_named_barrier, 0
	.set _ZN7rocprim17ROCPRIM_400000_NS6detail17trampoline_kernelINS0_14default_configENS1_36segmented_radix_sort_config_selectorIblEEZNS1_25segmented_radix_sort_implIS3_Lb0EPKbPbPKlPlN2at6native12_GLOBAL__N_18offset_tEEE10hipError_tPvRmT1_PNSt15iterator_traitsISK_E10value_typeET2_T3_PNSL_ISQ_E10value_typeET4_jRbjT5_SW_jjP12ihipStream_tbEUlT_E_NS1_11comp_targetILNS1_3genE0ELNS1_11target_archE4294967295ELNS1_3gpuE0ELNS1_3repE0EEENS1_30default_config_static_selectorELNS0_4arch9wavefront6targetE0EEEvSK_.private_seg_size, 0
	.set _ZN7rocprim17ROCPRIM_400000_NS6detail17trampoline_kernelINS0_14default_configENS1_36segmented_radix_sort_config_selectorIblEEZNS1_25segmented_radix_sort_implIS3_Lb0EPKbPbPKlPlN2at6native12_GLOBAL__N_18offset_tEEE10hipError_tPvRmT1_PNSt15iterator_traitsISK_E10value_typeET2_T3_PNSL_ISQ_E10value_typeET4_jRbjT5_SW_jjP12ihipStream_tbEUlT_E_NS1_11comp_targetILNS1_3genE0ELNS1_11target_archE4294967295ELNS1_3gpuE0ELNS1_3repE0EEENS1_30default_config_static_selectorELNS0_4arch9wavefront6targetE0EEEvSK_.uses_vcc, 0
	.set _ZN7rocprim17ROCPRIM_400000_NS6detail17trampoline_kernelINS0_14default_configENS1_36segmented_radix_sort_config_selectorIblEEZNS1_25segmented_radix_sort_implIS3_Lb0EPKbPbPKlPlN2at6native12_GLOBAL__N_18offset_tEEE10hipError_tPvRmT1_PNSt15iterator_traitsISK_E10value_typeET2_T3_PNSL_ISQ_E10value_typeET4_jRbjT5_SW_jjP12ihipStream_tbEUlT_E_NS1_11comp_targetILNS1_3genE0ELNS1_11target_archE4294967295ELNS1_3gpuE0ELNS1_3repE0EEENS1_30default_config_static_selectorELNS0_4arch9wavefront6targetE0EEEvSK_.uses_flat_scratch, 0
	.set _ZN7rocprim17ROCPRIM_400000_NS6detail17trampoline_kernelINS0_14default_configENS1_36segmented_radix_sort_config_selectorIblEEZNS1_25segmented_radix_sort_implIS3_Lb0EPKbPbPKlPlN2at6native12_GLOBAL__N_18offset_tEEE10hipError_tPvRmT1_PNSt15iterator_traitsISK_E10value_typeET2_T3_PNSL_ISQ_E10value_typeET4_jRbjT5_SW_jjP12ihipStream_tbEUlT_E_NS1_11comp_targetILNS1_3genE0ELNS1_11target_archE4294967295ELNS1_3gpuE0ELNS1_3repE0EEENS1_30default_config_static_selectorELNS0_4arch9wavefront6targetE0EEEvSK_.has_dyn_sized_stack, 0
	.set _ZN7rocprim17ROCPRIM_400000_NS6detail17trampoline_kernelINS0_14default_configENS1_36segmented_radix_sort_config_selectorIblEEZNS1_25segmented_radix_sort_implIS3_Lb0EPKbPbPKlPlN2at6native12_GLOBAL__N_18offset_tEEE10hipError_tPvRmT1_PNSt15iterator_traitsISK_E10value_typeET2_T3_PNSL_ISQ_E10value_typeET4_jRbjT5_SW_jjP12ihipStream_tbEUlT_E_NS1_11comp_targetILNS1_3genE0ELNS1_11target_archE4294967295ELNS1_3gpuE0ELNS1_3repE0EEENS1_30default_config_static_selectorELNS0_4arch9wavefront6targetE0EEEvSK_.has_recursion, 0
	.set _ZN7rocprim17ROCPRIM_400000_NS6detail17trampoline_kernelINS0_14default_configENS1_36segmented_radix_sort_config_selectorIblEEZNS1_25segmented_radix_sort_implIS3_Lb0EPKbPbPKlPlN2at6native12_GLOBAL__N_18offset_tEEE10hipError_tPvRmT1_PNSt15iterator_traitsISK_E10value_typeET2_T3_PNSL_ISQ_E10value_typeET4_jRbjT5_SW_jjP12ihipStream_tbEUlT_E_NS1_11comp_targetILNS1_3genE0ELNS1_11target_archE4294967295ELNS1_3gpuE0ELNS1_3repE0EEENS1_30default_config_static_selectorELNS0_4arch9wavefront6targetE0EEEvSK_.has_indirect_call, 0
	.section	.AMDGPU.csdata,"",@progbits
; Kernel info:
; codeLenInByte = 0
; TotalNumSgprs: 0
; NumVgprs: 0
; ScratchSize: 0
; MemoryBound: 0
; FloatMode: 240
; IeeeMode: 1
; LDSByteSize: 0 bytes/workgroup (compile time only)
; SGPRBlocks: 0
; VGPRBlocks: 0
; NumSGPRsForWavesPerEU: 1
; NumVGPRsForWavesPerEU: 1
; Occupancy: 16
; WaveLimiterHint : 0
; COMPUTE_PGM_RSRC2:SCRATCH_EN: 0
; COMPUTE_PGM_RSRC2:USER_SGPR: 6
; COMPUTE_PGM_RSRC2:TRAP_HANDLER: 0
; COMPUTE_PGM_RSRC2:TGID_X_EN: 1
; COMPUTE_PGM_RSRC2:TGID_Y_EN: 0
; COMPUTE_PGM_RSRC2:TGID_Z_EN: 0
; COMPUTE_PGM_RSRC2:TIDIG_COMP_CNT: 0
	.section	.text._ZN7rocprim17ROCPRIM_400000_NS6detail17trampoline_kernelINS0_14default_configENS1_36segmented_radix_sort_config_selectorIblEEZNS1_25segmented_radix_sort_implIS3_Lb0EPKbPbPKlPlN2at6native12_GLOBAL__N_18offset_tEEE10hipError_tPvRmT1_PNSt15iterator_traitsISK_E10value_typeET2_T3_PNSL_ISQ_E10value_typeET4_jRbjT5_SW_jjP12ihipStream_tbEUlT_E_NS1_11comp_targetILNS1_3genE5ELNS1_11target_archE942ELNS1_3gpuE9ELNS1_3repE0EEENS1_30default_config_static_selectorELNS0_4arch9wavefront6targetE0EEEvSK_,"axG",@progbits,_ZN7rocprim17ROCPRIM_400000_NS6detail17trampoline_kernelINS0_14default_configENS1_36segmented_radix_sort_config_selectorIblEEZNS1_25segmented_radix_sort_implIS3_Lb0EPKbPbPKlPlN2at6native12_GLOBAL__N_18offset_tEEE10hipError_tPvRmT1_PNSt15iterator_traitsISK_E10value_typeET2_T3_PNSL_ISQ_E10value_typeET4_jRbjT5_SW_jjP12ihipStream_tbEUlT_E_NS1_11comp_targetILNS1_3genE5ELNS1_11target_archE942ELNS1_3gpuE9ELNS1_3repE0EEENS1_30default_config_static_selectorELNS0_4arch9wavefront6targetE0EEEvSK_,comdat
	.globl	_ZN7rocprim17ROCPRIM_400000_NS6detail17trampoline_kernelINS0_14default_configENS1_36segmented_radix_sort_config_selectorIblEEZNS1_25segmented_radix_sort_implIS3_Lb0EPKbPbPKlPlN2at6native12_GLOBAL__N_18offset_tEEE10hipError_tPvRmT1_PNSt15iterator_traitsISK_E10value_typeET2_T3_PNSL_ISQ_E10value_typeET4_jRbjT5_SW_jjP12ihipStream_tbEUlT_E_NS1_11comp_targetILNS1_3genE5ELNS1_11target_archE942ELNS1_3gpuE9ELNS1_3repE0EEENS1_30default_config_static_selectorELNS0_4arch9wavefront6targetE0EEEvSK_ ; -- Begin function _ZN7rocprim17ROCPRIM_400000_NS6detail17trampoline_kernelINS0_14default_configENS1_36segmented_radix_sort_config_selectorIblEEZNS1_25segmented_radix_sort_implIS3_Lb0EPKbPbPKlPlN2at6native12_GLOBAL__N_18offset_tEEE10hipError_tPvRmT1_PNSt15iterator_traitsISK_E10value_typeET2_T3_PNSL_ISQ_E10value_typeET4_jRbjT5_SW_jjP12ihipStream_tbEUlT_E_NS1_11comp_targetILNS1_3genE5ELNS1_11target_archE942ELNS1_3gpuE9ELNS1_3repE0EEENS1_30default_config_static_selectorELNS0_4arch9wavefront6targetE0EEEvSK_
	.p2align	8
	.type	_ZN7rocprim17ROCPRIM_400000_NS6detail17trampoline_kernelINS0_14default_configENS1_36segmented_radix_sort_config_selectorIblEEZNS1_25segmented_radix_sort_implIS3_Lb0EPKbPbPKlPlN2at6native12_GLOBAL__N_18offset_tEEE10hipError_tPvRmT1_PNSt15iterator_traitsISK_E10value_typeET2_T3_PNSL_ISQ_E10value_typeET4_jRbjT5_SW_jjP12ihipStream_tbEUlT_E_NS1_11comp_targetILNS1_3genE5ELNS1_11target_archE942ELNS1_3gpuE9ELNS1_3repE0EEENS1_30default_config_static_selectorELNS0_4arch9wavefront6targetE0EEEvSK_,@function
_ZN7rocprim17ROCPRIM_400000_NS6detail17trampoline_kernelINS0_14default_configENS1_36segmented_radix_sort_config_selectorIblEEZNS1_25segmented_radix_sort_implIS3_Lb0EPKbPbPKlPlN2at6native12_GLOBAL__N_18offset_tEEE10hipError_tPvRmT1_PNSt15iterator_traitsISK_E10value_typeET2_T3_PNSL_ISQ_E10value_typeET4_jRbjT5_SW_jjP12ihipStream_tbEUlT_E_NS1_11comp_targetILNS1_3genE5ELNS1_11target_archE942ELNS1_3gpuE9ELNS1_3repE0EEENS1_30default_config_static_selectorELNS0_4arch9wavefront6targetE0EEEvSK_: ; @_ZN7rocprim17ROCPRIM_400000_NS6detail17trampoline_kernelINS0_14default_configENS1_36segmented_radix_sort_config_selectorIblEEZNS1_25segmented_radix_sort_implIS3_Lb0EPKbPbPKlPlN2at6native12_GLOBAL__N_18offset_tEEE10hipError_tPvRmT1_PNSt15iterator_traitsISK_E10value_typeET2_T3_PNSL_ISQ_E10value_typeET4_jRbjT5_SW_jjP12ihipStream_tbEUlT_E_NS1_11comp_targetILNS1_3genE5ELNS1_11target_archE942ELNS1_3gpuE9ELNS1_3repE0EEENS1_30default_config_static_selectorELNS0_4arch9wavefront6targetE0EEEvSK_
; %bb.0:
	.section	.rodata,"a",@progbits
	.p2align	6, 0x0
	.amdhsa_kernel _ZN7rocprim17ROCPRIM_400000_NS6detail17trampoline_kernelINS0_14default_configENS1_36segmented_radix_sort_config_selectorIblEEZNS1_25segmented_radix_sort_implIS3_Lb0EPKbPbPKlPlN2at6native12_GLOBAL__N_18offset_tEEE10hipError_tPvRmT1_PNSt15iterator_traitsISK_E10value_typeET2_T3_PNSL_ISQ_E10value_typeET4_jRbjT5_SW_jjP12ihipStream_tbEUlT_E_NS1_11comp_targetILNS1_3genE5ELNS1_11target_archE942ELNS1_3gpuE9ELNS1_3repE0EEENS1_30default_config_static_selectorELNS0_4arch9wavefront6targetE0EEEvSK_
		.amdhsa_group_segment_fixed_size 0
		.amdhsa_private_segment_fixed_size 0
		.amdhsa_kernarg_size 96
		.amdhsa_user_sgpr_count 6
		.amdhsa_user_sgpr_private_segment_buffer 1
		.amdhsa_user_sgpr_dispatch_ptr 0
		.amdhsa_user_sgpr_queue_ptr 0
		.amdhsa_user_sgpr_kernarg_segment_ptr 1
		.amdhsa_user_sgpr_dispatch_id 0
		.amdhsa_user_sgpr_flat_scratch_init 0
		.amdhsa_user_sgpr_private_segment_size 0
		.amdhsa_wavefront_size32 1
		.amdhsa_uses_dynamic_stack 0
		.amdhsa_system_sgpr_private_segment_wavefront_offset 0
		.amdhsa_system_sgpr_workgroup_id_x 1
		.amdhsa_system_sgpr_workgroup_id_y 0
		.amdhsa_system_sgpr_workgroup_id_z 0
		.amdhsa_system_sgpr_workgroup_info 0
		.amdhsa_system_vgpr_workitem_id 0
		.amdhsa_next_free_vgpr 1
		.amdhsa_next_free_sgpr 1
		.amdhsa_reserve_vcc 0
		.amdhsa_reserve_flat_scratch 0
		.amdhsa_float_round_mode_32 0
		.amdhsa_float_round_mode_16_64 0
		.amdhsa_float_denorm_mode_32 3
		.amdhsa_float_denorm_mode_16_64 3
		.amdhsa_dx10_clamp 1
		.amdhsa_ieee_mode 1
		.amdhsa_fp16_overflow 0
		.amdhsa_workgroup_processor_mode 1
		.amdhsa_memory_ordered 1
		.amdhsa_forward_progress 1
		.amdhsa_shared_vgpr_count 0
		.amdhsa_exception_fp_ieee_invalid_op 0
		.amdhsa_exception_fp_denorm_src 0
		.amdhsa_exception_fp_ieee_div_zero 0
		.amdhsa_exception_fp_ieee_overflow 0
		.amdhsa_exception_fp_ieee_underflow 0
		.amdhsa_exception_fp_ieee_inexact 0
		.amdhsa_exception_int_div_zero 0
	.end_amdhsa_kernel
	.section	.text._ZN7rocprim17ROCPRIM_400000_NS6detail17trampoline_kernelINS0_14default_configENS1_36segmented_radix_sort_config_selectorIblEEZNS1_25segmented_radix_sort_implIS3_Lb0EPKbPbPKlPlN2at6native12_GLOBAL__N_18offset_tEEE10hipError_tPvRmT1_PNSt15iterator_traitsISK_E10value_typeET2_T3_PNSL_ISQ_E10value_typeET4_jRbjT5_SW_jjP12ihipStream_tbEUlT_E_NS1_11comp_targetILNS1_3genE5ELNS1_11target_archE942ELNS1_3gpuE9ELNS1_3repE0EEENS1_30default_config_static_selectorELNS0_4arch9wavefront6targetE0EEEvSK_,"axG",@progbits,_ZN7rocprim17ROCPRIM_400000_NS6detail17trampoline_kernelINS0_14default_configENS1_36segmented_radix_sort_config_selectorIblEEZNS1_25segmented_radix_sort_implIS3_Lb0EPKbPbPKlPlN2at6native12_GLOBAL__N_18offset_tEEE10hipError_tPvRmT1_PNSt15iterator_traitsISK_E10value_typeET2_T3_PNSL_ISQ_E10value_typeET4_jRbjT5_SW_jjP12ihipStream_tbEUlT_E_NS1_11comp_targetILNS1_3genE5ELNS1_11target_archE942ELNS1_3gpuE9ELNS1_3repE0EEENS1_30default_config_static_selectorELNS0_4arch9wavefront6targetE0EEEvSK_,comdat
.Lfunc_end1627:
	.size	_ZN7rocprim17ROCPRIM_400000_NS6detail17trampoline_kernelINS0_14default_configENS1_36segmented_radix_sort_config_selectorIblEEZNS1_25segmented_radix_sort_implIS3_Lb0EPKbPbPKlPlN2at6native12_GLOBAL__N_18offset_tEEE10hipError_tPvRmT1_PNSt15iterator_traitsISK_E10value_typeET2_T3_PNSL_ISQ_E10value_typeET4_jRbjT5_SW_jjP12ihipStream_tbEUlT_E_NS1_11comp_targetILNS1_3genE5ELNS1_11target_archE942ELNS1_3gpuE9ELNS1_3repE0EEENS1_30default_config_static_selectorELNS0_4arch9wavefront6targetE0EEEvSK_, .Lfunc_end1627-_ZN7rocprim17ROCPRIM_400000_NS6detail17trampoline_kernelINS0_14default_configENS1_36segmented_radix_sort_config_selectorIblEEZNS1_25segmented_radix_sort_implIS3_Lb0EPKbPbPKlPlN2at6native12_GLOBAL__N_18offset_tEEE10hipError_tPvRmT1_PNSt15iterator_traitsISK_E10value_typeET2_T3_PNSL_ISQ_E10value_typeET4_jRbjT5_SW_jjP12ihipStream_tbEUlT_E_NS1_11comp_targetILNS1_3genE5ELNS1_11target_archE942ELNS1_3gpuE9ELNS1_3repE0EEENS1_30default_config_static_selectorELNS0_4arch9wavefront6targetE0EEEvSK_
                                        ; -- End function
	.set _ZN7rocprim17ROCPRIM_400000_NS6detail17trampoline_kernelINS0_14default_configENS1_36segmented_radix_sort_config_selectorIblEEZNS1_25segmented_radix_sort_implIS3_Lb0EPKbPbPKlPlN2at6native12_GLOBAL__N_18offset_tEEE10hipError_tPvRmT1_PNSt15iterator_traitsISK_E10value_typeET2_T3_PNSL_ISQ_E10value_typeET4_jRbjT5_SW_jjP12ihipStream_tbEUlT_E_NS1_11comp_targetILNS1_3genE5ELNS1_11target_archE942ELNS1_3gpuE9ELNS1_3repE0EEENS1_30default_config_static_selectorELNS0_4arch9wavefront6targetE0EEEvSK_.num_vgpr, 0
	.set _ZN7rocprim17ROCPRIM_400000_NS6detail17trampoline_kernelINS0_14default_configENS1_36segmented_radix_sort_config_selectorIblEEZNS1_25segmented_radix_sort_implIS3_Lb0EPKbPbPKlPlN2at6native12_GLOBAL__N_18offset_tEEE10hipError_tPvRmT1_PNSt15iterator_traitsISK_E10value_typeET2_T3_PNSL_ISQ_E10value_typeET4_jRbjT5_SW_jjP12ihipStream_tbEUlT_E_NS1_11comp_targetILNS1_3genE5ELNS1_11target_archE942ELNS1_3gpuE9ELNS1_3repE0EEENS1_30default_config_static_selectorELNS0_4arch9wavefront6targetE0EEEvSK_.num_agpr, 0
	.set _ZN7rocprim17ROCPRIM_400000_NS6detail17trampoline_kernelINS0_14default_configENS1_36segmented_radix_sort_config_selectorIblEEZNS1_25segmented_radix_sort_implIS3_Lb0EPKbPbPKlPlN2at6native12_GLOBAL__N_18offset_tEEE10hipError_tPvRmT1_PNSt15iterator_traitsISK_E10value_typeET2_T3_PNSL_ISQ_E10value_typeET4_jRbjT5_SW_jjP12ihipStream_tbEUlT_E_NS1_11comp_targetILNS1_3genE5ELNS1_11target_archE942ELNS1_3gpuE9ELNS1_3repE0EEENS1_30default_config_static_selectorELNS0_4arch9wavefront6targetE0EEEvSK_.numbered_sgpr, 0
	.set _ZN7rocprim17ROCPRIM_400000_NS6detail17trampoline_kernelINS0_14default_configENS1_36segmented_radix_sort_config_selectorIblEEZNS1_25segmented_radix_sort_implIS3_Lb0EPKbPbPKlPlN2at6native12_GLOBAL__N_18offset_tEEE10hipError_tPvRmT1_PNSt15iterator_traitsISK_E10value_typeET2_T3_PNSL_ISQ_E10value_typeET4_jRbjT5_SW_jjP12ihipStream_tbEUlT_E_NS1_11comp_targetILNS1_3genE5ELNS1_11target_archE942ELNS1_3gpuE9ELNS1_3repE0EEENS1_30default_config_static_selectorELNS0_4arch9wavefront6targetE0EEEvSK_.num_named_barrier, 0
	.set _ZN7rocprim17ROCPRIM_400000_NS6detail17trampoline_kernelINS0_14default_configENS1_36segmented_radix_sort_config_selectorIblEEZNS1_25segmented_radix_sort_implIS3_Lb0EPKbPbPKlPlN2at6native12_GLOBAL__N_18offset_tEEE10hipError_tPvRmT1_PNSt15iterator_traitsISK_E10value_typeET2_T3_PNSL_ISQ_E10value_typeET4_jRbjT5_SW_jjP12ihipStream_tbEUlT_E_NS1_11comp_targetILNS1_3genE5ELNS1_11target_archE942ELNS1_3gpuE9ELNS1_3repE0EEENS1_30default_config_static_selectorELNS0_4arch9wavefront6targetE0EEEvSK_.private_seg_size, 0
	.set _ZN7rocprim17ROCPRIM_400000_NS6detail17trampoline_kernelINS0_14default_configENS1_36segmented_radix_sort_config_selectorIblEEZNS1_25segmented_radix_sort_implIS3_Lb0EPKbPbPKlPlN2at6native12_GLOBAL__N_18offset_tEEE10hipError_tPvRmT1_PNSt15iterator_traitsISK_E10value_typeET2_T3_PNSL_ISQ_E10value_typeET4_jRbjT5_SW_jjP12ihipStream_tbEUlT_E_NS1_11comp_targetILNS1_3genE5ELNS1_11target_archE942ELNS1_3gpuE9ELNS1_3repE0EEENS1_30default_config_static_selectorELNS0_4arch9wavefront6targetE0EEEvSK_.uses_vcc, 0
	.set _ZN7rocprim17ROCPRIM_400000_NS6detail17trampoline_kernelINS0_14default_configENS1_36segmented_radix_sort_config_selectorIblEEZNS1_25segmented_radix_sort_implIS3_Lb0EPKbPbPKlPlN2at6native12_GLOBAL__N_18offset_tEEE10hipError_tPvRmT1_PNSt15iterator_traitsISK_E10value_typeET2_T3_PNSL_ISQ_E10value_typeET4_jRbjT5_SW_jjP12ihipStream_tbEUlT_E_NS1_11comp_targetILNS1_3genE5ELNS1_11target_archE942ELNS1_3gpuE9ELNS1_3repE0EEENS1_30default_config_static_selectorELNS0_4arch9wavefront6targetE0EEEvSK_.uses_flat_scratch, 0
	.set _ZN7rocprim17ROCPRIM_400000_NS6detail17trampoline_kernelINS0_14default_configENS1_36segmented_radix_sort_config_selectorIblEEZNS1_25segmented_radix_sort_implIS3_Lb0EPKbPbPKlPlN2at6native12_GLOBAL__N_18offset_tEEE10hipError_tPvRmT1_PNSt15iterator_traitsISK_E10value_typeET2_T3_PNSL_ISQ_E10value_typeET4_jRbjT5_SW_jjP12ihipStream_tbEUlT_E_NS1_11comp_targetILNS1_3genE5ELNS1_11target_archE942ELNS1_3gpuE9ELNS1_3repE0EEENS1_30default_config_static_selectorELNS0_4arch9wavefront6targetE0EEEvSK_.has_dyn_sized_stack, 0
	.set _ZN7rocprim17ROCPRIM_400000_NS6detail17trampoline_kernelINS0_14default_configENS1_36segmented_radix_sort_config_selectorIblEEZNS1_25segmented_radix_sort_implIS3_Lb0EPKbPbPKlPlN2at6native12_GLOBAL__N_18offset_tEEE10hipError_tPvRmT1_PNSt15iterator_traitsISK_E10value_typeET2_T3_PNSL_ISQ_E10value_typeET4_jRbjT5_SW_jjP12ihipStream_tbEUlT_E_NS1_11comp_targetILNS1_3genE5ELNS1_11target_archE942ELNS1_3gpuE9ELNS1_3repE0EEENS1_30default_config_static_selectorELNS0_4arch9wavefront6targetE0EEEvSK_.has_recursion, 0
	.set _ZN7rocprim17ROCPRIM_400000_NS6detail17trampoline_kernelINS0_14default_configENS1_36segmented_radix_sort_config_selectorIblEEZNS1_25segmented_radix_sort_implIS3_Lb0EPKbPbPKlPlN2at6native12_GLOBAL__N_18offset_tEEE10hipError_tPvRmT1_PNSt15iterator_traitsISK_E10value_typeET2_T3_PNSL_ISQ_E10value_typeET4_jRbjT5_SW_jjP12ihipStream_tbEUlT_E_NS1_11comp_targetILNS1_3genE5ELNS1_11target_archE942ELNS1_3gpuE9ELNS1_3repE0EEENS1_30default_config_static_selectorELNS0_4arch9wavefront6targetE0EEEvSK_.has_indirect_call, 0
	.section	.AMDGPU.csdata,"",@progbits
; Kernel info:
; codeLenInByte = 0
; TotalNumSgprs: 0
; NumVgprs: 0
; ScratchSize: 0
; MemoryBound: 0
; FloatMode: 240
; IeeeMode: 1
; LDSByteSize: 0 bytes/workgroup (compile time only)
; SGPRBlocks: 0
; VGPRBlocks: 0
; NumSGPRsForWavesPerEU: 1
; NumVGPRsForWavesPerEU: 1
; Occupancy: 16
; WaveLimiterHint : 0
; COMPUTE_PGM_RSRC2:SCRATCH_EN: 0
; COMPUTE_PGM_RSRC2:USER_SGPR: 6
; COMPUTE_PGM_RSRC2:TRAP_HANDLER: 0
; COMPUTE_PGM_RSRC2:TGID_X_EN: 1
; COMPUTE_PGM_RSRC2:TGID_Y_EN: 0
; COMPUTE_PGM_RSRC2:TGID_Z_EN: 0
; COMPUTE_PGM_RSRC2:TIDIG_COMP_CNT: 0
	.section	.text._ZN7rocprim17ROCPRIM_400000_NS6detail17trampoline_kernelINS0_14default_configENS1_36segmented_radix_sort_config_selectorIblEEZNS1_25segmented_radix_sort_implIS3_Lb0EPKbPbPKlPlN2at6native12_GLOBAL__N_18offset_tEEE10hipError_tPvRmT1_PNSt15iterator_traitsISK_E10value_typeET2_T3_PNSL_ISQ_E10value_typeET4_jRbjT5_SW_jjP12ihipStream_tbEUlT_E_NS1_11comp_targetILNS1_3genE4ELNS1_11target_archE910ELNS1_3gpuE8ELNS1_3repE0EEENS1_30default_config_static_selectorELNS0_4arch9wavefront6targetE0EEEvSK_,"axG",@progbits,_ZN7rocprim17ROCPRIM_400000_NS6detail17trampoline_kernelINS0_14default_configENS1_36segmented_radix_sort_config_selectorIblEEZNS1_25segmented_radix_sort_implIS3_Lb0EPKbPbPKlPlN2at6native12_GLOBAL__N_18offset_tEEE10hipError_tPvRmT1_PNSt15iterator_traitsISK_E10value_typeET2_T3_PNSL_ISQ_E10value_typeET4_jRbjT5_SW_jjP12ihipStream_tbEUlT_E_NS1_11comp_targetILNS1_3genE4ELNS1_11target_archE910ELNS1_3gpuE8ELNS1_3repE0EEENS1_30default_config_static_selectorELNS0_4arch9wavefront6targetE0EEEvSK_,comdat
	.globl	_ZN7rocprim17ROCPRIM_400000_NS6detail17trampoline_kernelINS0_14default_configENS1_36segmented_radix_sort_config_selectorIblEEZNS1_25segmented_radix_sort_implIS3_Lb0EPKbPbPKlPlN2at6native12_GLOBAL__N_18offset_tEEE10hipError_tPvRmT1_PNSt15iterator_traitsISK_E10value_typeET2_T3_PNSL_ISQ_E10value_typeET4_jRbjT5_SW_jjP12ihipStream_tbEUlT_E_NS1_11comp_targetILNS1_3genE4ELNS1_11target_archE910ELNS1_3gpuE8ELNS1_3repE0EEENS1_30default_config_static_selectorELNS0_4arch9wavefront6targetE0EEEvSK_ ; -- Begin function _ZN7rocprim17ROCPRIM_400000_NS6detail17trampoline_kernelINS0_14default_configENS1_36segmented_radix_sort_config_selectorIblEEZNS1_25segmented_radix_sort_implIS3_Lb0EPKbPbPKlPlN2at6native12_GLOBAL__N_18offset_tEEE10hipError_tPvRmT1_PNSt15iterator_traitsISK_E10value_typeET2_T3_PNSL_ISQ_E10value_typeET4_jRbjT5_SW_jjP12ihipStream_tbEUlT_E_NS1_11comp_targetILNS1_3genE4ELNS1_11target_archE910ELNS1_3gpuE8ELNS1_3repE0EEENS1_30default_config_static_selectorELNS0_4arch9wavefront6targetE0EEEvSK_
	.p2align	8
	.type	_ZN7rocprim17ROCPRIM_400000_NS6detail17trampoline_kernelINS0_14default_configENS1_36segmented_radix_sort_config_selectorIblEEZNS1_25segmented_radix_sort_implIS3_Lb0EPKbPbPKlPlN2at6native12_GLOBAL__N_18offset_tEEE10hipError_tPvRmT1_PNSt15iterator_traitsISK_E10value_typeET2_T3_PNSL_ISQ_E10value_typeET4_jRbjT5_SW_jjP12ihipStream_tbEUlT_E_NS1_11comp_targetILNS1_3genE4ELNS1_11target_archE910ELNS1_3gpuE8ELNS1_3repE0EEENS1_30default_config_static_selectorELNS0_4arch9wavefront6targetE0EEEvSK_,@function
_ZN7rocprim17ROCPRIM_400000_NS6detail17trampoline_kernelINS0_14default_configENS1_36segmented_radix_sort_config_selectorIblEEZNS1_25segmented_radix_sort_implIS3_Lb0EPKbPbPKlPlN2at6native12_GLOBAL__N_18offset_tEEE10hipError_tPvRmT1_PNSt15iterator_traitsISK_E10value_typeET2_T3_PNSL_ISQ_E10value_typeET4_jRbjT5_SW_jjP12ihipStream_tbEUlT_E_NS1_11comp_targetILNS1_3genE4ELNS1_11target_archE910ELNS1_3gpuE8ELNS1_3repE0EEENS1_30default_config_static_selectorELNS0_4arch9wavefront6targetE0EEEvSK_: ; @_ZN7rocprim17ROCPRIM_400000_NS6detail17trampoline_kernelINS0_14default_configENS1_36segmented_radix_sort_config_selectorIblEEZNS1_25segmented_radix_sort_implIS3_Lb0EPKbPbPKlPlN2at6native12_GLOBAL__N_18offset_tEEE10hipError_tPvRmT1_PNSt15iterator_traitsISK_E10value_typeET2_T3_PNSL_ISQ_E10value_typeET4_jRbjT5_SW_jjP12ihipStream_tbEUlT_E_NS1_11comp_targetILNS1_3genE4ELNS1_11target_archE910ELNS1_3gpuE8ELNS1_3repE0EEENS1_30default_config_static_selectorELNS0_4arch9wavefront6targetE0EEEvSK_
; %bb.0:
	.section	.rodata,"a",@progbits
	.p2align	6, 0x0
	.amdhsa_kernel _ZN7rocprim17ROCPRIM_400000_NS6detail17trampoline_kernelINS0_14default_configENS1_36segmented_radix_sort_config_selectorIblEEZNS1_25segmented_radix_sort_implIS3_Lb0EPKbPbPKlPlN2at6native12_GLOBAL__N_18offset_tEEE10hipError_tPvRmT1_PNSt15iterator_traitsISK_E10value_typeET2_T3_PNSL_ISQ_E10value_typeET4_jRbjT5_SW_jjP12ihipStream_tbEUlT_E_NS1_11comp_targetILNS1_3genE4ELNS1_11target_archE910ELNS1_3gpuE8ELNS1_3repE0EEENS1_30default_config_static_selectorELNS0_4arch9wavefront6targetE0EEEvSK_
		.amdhsa_group_segment_fixed_size 0
		.amdhsa_private_segment_fixed_size 0
		.amdhsa_kernarg_size 96
		.amdhsa_user_sgpr_count 6
		.amdhsa_user_sgpr_private_segment_buffer 1
		.amdhsa_user_sgpr_dispatch_ptr 0
		.amdhsa_user_sgpr_queue_ptr 0
		.amdhsa_user_sgpr_kernarg_segment_ptr 1
		.amdhsa_user_sgpr_dispatch_id 0
		.amdhsa_user_sgpr_flat_scratch_init 0
		.amdhsa_user_sgpr_private_segment_size 0
		.amdhsa_wavefront_size32 1
		.amdhsa_uses_dynamic_stack 0
		.amdhsa_system_sgpr_private_segment_wavefront_offset 0
		.amdhsa_system_sgpr_workgroup_id_x 1
		.amdhsa_system_sgpr_workgroup_id_y 0
		.amdhsa_system_sgpr_workgroup_id_z 0
		.amdhsa_system_sgpr_workgroup_info 0
		.amdhsa_system_vgpr_workitem_id 0
		.amdhsa_next_free_vgpr 1
		.amdhsa_next_free_sgpr 1
		.amdhsa_reserve_vcc 0
		.amdhsa_reserve_flat_scratch 0
		.amdhsa_float_round_mode_32 0
		.amdhsa_float_round_mode_16_64 0
		.amdhsa_float_denorm_mode_32 3
		.amdhsa_float_denorm_mode_16_64 3
		.amdhsa_dx10_clamp 1
		.amdhsa_ieee_mode 1
		.amdhsa_fp16_overflow 0
		.amdhsa_workgroup_processor_mode 1
		.amdhsa_memory_ordered 1
		.amdhsa_forward_progress 1
		.amdhsa_shared_vgpr_count 0
		.amdhsa_exception_fp_ieee_invalid_op 0
		.amdhsa_exception_fp_denorm_src 0
		.amdhsa_exception_fp_ieee_div_zero 0
		.amdhsa_exception_fp_ieee_overflow 0
		.amdhsa_exception_fp_ieee_underflow 0
		.amdhsa_exception_fp_ieee_inexact 0
		.amdhsa_exception_int_div_zero 0
	.end_amdhsa_kernel
	.section	.text._ZN7rocprim17ROCPRIM_400000_NS6detail17trampoline_kernelINS0_14default_configENS1_36segmented_radix_sort_config_selectorIblEEZNS1_25segmented_radix_sort_implIS3_Lb0EPKbPbPKlPlN2at6native12_GLOBAL__N_18offset_tEEE10hipError_tPvRmT1_PNSt15iterator_traitsISK_E10value_typeET2_T3_PNSL_ISQ_E10value_typeET4_jRbjT5_SW_jjP12ihipStream_tbEUlT_E_NS1_11comp_targetILNS1_3genE4ELNS1_11target_archE910ELNS1_3gpuE8ELNS1_3repE0EEENS1_30default_config_static_selectorELNS0_4arch9wavefront6targetE0EEEvSK_,"axG",@progbits,_ZN7rocprim17ROCPRIM_400000_NS6detail17trampoline_kernelINS0_14default_configENS1_36segmented_radix_sort_config_selectorIblEEZNS1_25segmented_radix_sort_implIS3_Lb0EPKbPbPKlPlN2at6native12_GLOBAL__N_18offset_tEEE10hipError_tPvRmT1_PNSt15iterator_traitsISK_E10value_typeET2_T3_PNSL_ISQ_E10value_typeET4_jRbjT5_SW_jjP12ihipStream_tbEUlT_E_NS1_11comp_targetILNS1_3genE4ELNS1_11target_archE910ELNS1_3gpuE8ELNS1_3repE0EEENS1_30default_config_static_selectorELNS0_4arch9wavefront6targetE0EEEvSK_,comdat
.Lfunc_end1628:
	.size	_ZN7rocprim17ROCPRIM_400000_NS6detail17trampoline_kernelINS0_14default_configENS1_36segmented_radix_sort_config_selectorIblEEZNS1_25segmented_radix_sort_implIS3_Lb0EPKbPbPKlPlN2at6native12_GLOBAL__N_18offset_tEEE10hipError_tPvRmT1_PNSt15iterator_traitsISK_E10value_typeET2_T3_PNSL_ISQ_E10value_typeET4_jRbjT5_SW_jjP12ihipStream_tbEUlT_E_NS1_11comp_targetILNS1_3genE4ELNS1_11target_archE910ELNS1_3gpuE8ELNS1_3repE0EEENS1_30default_config_static_selectorELNS0_4arch9wavefront6targetE0EEEvSK_, .Lfunc_end1628-_ZN7rocprim17ROCPRIM_400000_NS6detail17trampoline_kernelINS0_14default_configENS1_36segmented_radix_sort_config_selectorIblEEZNS1_25segmented_radix_sort_implIS3_Lb0EPKbPbPKlPlN2at6native12_GLOBAL__N_18offset_tEEE10hipError_tPvRmT1_PNSt15iterator_traitsISK_E10value_typeET2_T3_PNSL_ISQ_E10value_typeET4_jRbjT5_SW_jjP12ihipStream_tbEUlT_E_NS1_11comp_targetILNS1_3genE4ELNS1_11target_archE910ELNS1_3gpuE8ELNS1_3repE0EEENS1_30default_config_static_selectorELNS0_4arch9wavefront6targetE0EEEvSK_
                                        ; -- End function
	.set _ZN7rocprim17ROCPRIM_400000_NS6detail17trampoline_kernelINS0_14default_configENS1_36segmented_radix_sort_config_selectorIblEEZNS1_25segmented_radix_sort_implIS3_Lb0EPKbPbPKlPlN2at6native12_GLOBAL__N_18offset_tEEE10hipError_tPvRmT1_PNSt15iterator_traitsISK_E10value_typeET2_T3_PNSL_ISQ_E10value_typeET4_jRbjT5_SW_jjP12ihipStream_tbEUlT_E_NS1_11comp_targetILNS1_3genE4ELNS1_11target_archE910ELNS1_3gpuE8ELNS1_3repE0EEENS1_30default_config_static_selectorELNS0_4arch9wavefront6targetE0EEEvSK_.num_vgpr, 0
	.set _ZN7rocprim17ROCPRIM_400000_NS6detail17trampoline_kernelINS0_14default_configENS1_36segmented_radix_sort_config_selectorIblEEZNS1_25segmented_radix_sort_implIS3_Lb0EPKbPbPKlPlN2at6native12_GLOBAL__N_18offset_tEEE10hipError_tPvRmT1_PNSt15iterator_traitsISK_E10value_typeET2_T3_PNSL_ISQ_E10value_typeET4_jRbjT5_SW_jjP12ihipStream_tbEUlT_E_NS1_11comp_targetILNS1_3genE4ELNS1_11target_archE910ELNS1_3gpuE8ELNS1_3repE0EEENS1_30default_config_static_selectorELNS0_4arch9wavefront6targetE0EEEvSK_.num_agpr, 0
	.set _ZN7rocprim17ROCPRIM_400000_NS6detail17trampoline_kernelINS0_14default_configENS1_36segmented_radix_sort_config_selectorIblEEZNS1_25segmented_radix_sort_implIS3_Lb0EPKbPbPKlPlN2at6native12_GLOBAL__N_18offset_tEEE10hipError_tPvRmT1_PNSt15iterator_traitsISK_E10value_typeET2_T3_PNSL_ISQ_E10value_typeET4_jRbjT5_SW_jjP12ihipStream_tbEUlT_E_NS1_11comp_targetILNS1_3genE4ELNS1_11target_archE910ELNS1_3gpuE8ELNS1_3repE0EEENS1_30default_config_static_selectorELNS0_4arch9wavefront6targetE0EEEvSK_.numbered_sgpr, 0
	.set _ZN7rocprim17ROCPRIM_400000_NS6detail17trampoline_kernelINS0_14default_configENS1_36segmented_radix_sort_config_selectorIblEEZNS1_25segmented_radix_sort_implIS3_Lb0EPKbPbPKlPlN2at6native12_GLOBAL__N_18offset_tEEE10hipError_tPvRmT1_PNSt15iterator_traitsISK_E10value_typeET2_T3_PNSL_ISQ_E10value_typeET4_jRbjT5_SW_jjP12ihipStream_tbEUlT_E_NS1_11comp_targetILNS1_3genE4ELNS1_11target_archE910ELNS1_3gpuE8ELNS1_3repE0EEENS1_30default_config_static_selectorELNS0_4arch9wavefront6targetE0EEEvSK_.num_named_barrier, 0
	.set _ZN7rocprim17ROCPRIM_400000_NS6detail17trampoline_kernelINS0_14default_configENS1_36segmented_radix_sort_config_selectorIblEEZNS1_25segmented_radix_sort_implIS3_Lb0EPKbPbPKlPlN2at6native12_GLOBAL__N_18offset_tEEE10hipError_tPvRmT1_PNSt15iterator_traitsISK_E10value_typeET2_T3_PNSL_ISQ_E10value_typeET4_jRbjT5_SW_jjP12ihipStream_tbEUlT_E_NS1_11comp_targetILNS1_3genE4ELNS1_11target_archE910ELNS1_3gpuE8ELNS1_3repE0EEENS1_30default_config_static_selectorELNS0_4arch9wavefront6targetE0EEEvSK_.private_seg_size, 0
	.set _ZN7rocprim17ROCPRIM_400000_NS6detail17trampoline_kernelINS0_14default_configENS1_36segmented_radix_sort_config_selectorIblEEZNS1_25segmented_radix_sort_implIS3_Lb0EPKbPbPKlPlN2at6native12_GLOBAL__N_18offset_tEEE10hipError_tPvRmT1_PNSt15iterator_traitsISK_E10value_typeET2_T3_PNSL_ISQ_E10value_typeET4_jRbjT5_SW_jjP12ihipStream_tbEUlT_E_NS1_11comp_targetILNS1_3genE4ELNS1_11target_archE910ELNS1_3gpuE8ELNS1_3repE0EEENS1_30default_config_static_selectorELNS0_4arch9wavefront6targetE0EEEvSK_.uses_vcc, 0
	.set _ZN7rocprim17ROCPRIM_400000_NS6detail17trampoline_kernelINS0_14default_configENS1_36segmented_radix_sort_config_selectorIblEEZNS1_25segmented_radix_sort_implIS3_Lb0EPKbPbPKlPlN2at6native12_GLOBAL__N_18offset_tEEE10hipError_tPvRmT1_PNSt15iterator_traitsISK_E10value_typeET2_T3_PNSL_ISQ_E10value_typeET4_jRbjT5_SW_jjP12ihipStream_tbEUlT_E_NS1_11comp_targetILNS1_3genE4ELNS1_11target_archE910ELNS1_3gpuE8ELNS1_3repE0EEENS1_30default_config_static_selectorELNS0_4arch9wavefront6targetE0EEEvSK_.uses_flat_scratch, 0
	.set _ZN7rocprim17ROCPRIM_400000_NS6detail17trampoline_kernelINS0_14default_configENS1_36segmented_radix_sort_config_selectorIblEEZNS1_25segmented_radix_sort_implIS3_Lb0EPKbPbPKlPlN2at6native12_GLOBAL__N_18offset_tEEE10hipError_tPvRmT1_PNSt15iterator_traitsISK_E10value_typeET2_T3_PNSL_ISQ_E10value_typeET4_jRbjT5_SW_jjP12ihipStream_tbEUlT_E_NS1_11comp_targetILNS1_3genE4ELNS1_11target_archE910ELNS1_3gpuE8ELNS1_3repE0EEENS1_30default_config_static_selectorELNS0_4arch9wavefront6targetE0EEEvSK_.has_dyn_sized_stack, 0
	.set _ZN7rocprim17ROCPRIM_400000_NS6detail17trampoline_kernelINS0_14default_configENS1_36segmented_radix_sort_config_selectorIblEEZNS1_25segmented_radix_sort_implIS3_Lb0EPKbPbPKlPlN2at6native12_GLOBAL__N_18offset_tEEE10hipError_tPvRmT1_PNSt15iterator_traitsISK_E10value_typeET2_T3_PNSL_ISQ_E10value_typeET4_jRbjT5_SW_jjP12ihipStream_tbEUlT_E_NS1_11comp_targetILNS1_3genE4ELNS1_11target_archE910ELNS1_3gpuE8ELNS1_3repE0EEENS1_30default_config_static_selectorELNS0_4arch9wavefront6targetE0EEEvSK_.has_recursion, 0
	.set _ZN7rocprim17ROCPRIM_400000_NS6detail17trampoline_kernelINS0_14default_configENS1_36segmented_radix_sort_config_selectorIblEEZNS1_25segmented_radix_sort_implIS3_Lb0EPKbPbPKlPlN2at6native12_GLOBAL__N_18offset_tEEE10hipError_tPvRmT1_PNSt15iterator_traitsISK_E10value_typeET2_T3_PNSL_ISQ_E10value_typeET4_jRbjT5_SW_jjP12ihipStream_tbEUlT_E_NS1_11comp_targetILNS1_3genE4ELNS1_11target_archE910ELNS1_3gpuE8ELNS1_3repE0EEENS1_30default_config_static_selectorELNS0_4arch9wavefront6targetE0EEEvSK_.has_indirect_call, 0
	.section	.AMDGPU.csdata,"",@progbits
; Kernel info:
; codeLenInByte = 0
; TotalNumSgprs: 0
; NumVgprs: 0
; ScratchSize: 0
; MemoryBound: 0
; FloatMode: 240
; IeeeMode: 1
; LDSByteSize: 0 bytes/workgroup (compile time only)
; SGPRBlocks: 0
; VGPRBlocks: 0
; NumSGPRsForWavesPerEU: 1
; NumVGPRsForWavesPerEU: 1
; Occupancy: 16
; WaveLimiterHint : 0
; COMPUTE_PGM_RSRC2:SCRATCH_EN: 0
; COMPUTE_PGM_RSRC2:USER_SGPR: 6
; COMPUTE_PGM_RSRC2:TRAP_HANDLER: 0
; COMPUTE_PGM_RSRC2:TGID_X_EN: 1
; COMPUTE_PGM_RSRC2:TGID_Y_EN: 0
; COMPUTE_PGM_RSRC2:TGID_Z_EN: 0
; COMPUTE_PGM_RSRC2:TIDIG_COMP_CNT: 0
	.section	.text._ZN7rocprim17ROCPRIM_400000_NS6detail17trampoline_kernelINS0_14default_configENS1_36segmented_radix_sort_config_selectorIblEEZNS1_25segmented_radix_sort_implIS3_Lb0EPKbPbPKlPlN2at6native12_GLOBAL__N_18offset_tEEE10hipError_tPvRmT1_PNSt15iterator_traitsISK_E10value_typeET2_T3_PNSL_ISQ_E10value_typeET4_jRbjT5_SW_jjP12ihipStream_tbEUlT_E_NS1_11comp_targetILNS1_3genE3ELNS1_11target_archE908ELNS1_3gpuE7ELNS1_3repE0EEENS1_30default_config_static_selectorELNS0_4arch9wavefront6targetE0EEEvSK_,"axG",@progbits,_ZN7rocprim17ROCPRIM_400000_NS6detail17trampoline_kernelINS0_14default_configENS1_36segmented_radix_sort_config_selectorIblEEZNS1_25segmented_radix_sort_implIS3_Lb0EPKbPbPKlPlN2at6native12_GLOBAL__N_18offset_tEEE10hipError_tPvRmT1_PNSt15iterator_traitsISK_E10value_typeET2_T3_PNSL_ISQ_E10value_typeET4_jRbjT5_SW_jjP12ihipStream_tbEUlT_E_NS1_11comp_targetILNS1_3genE3ELNS1_11target_archE908ELNS1_3gpuE7ELNS1_3repE0EEENS1_30default_config_static_selectorELNS0_4arch9wavefront6targetE0EEEvSK_,comdat
	.globl	_ZN7rocprim17ROCPRIM_400000_NS6detail17trampoline_kernelINS0_14default_configENS1_36segmented_radix_sort_config_selectorIblEEZNS1_25segmented_radix_sort_implIS3_Lb0EPKbPbPKlPlN2at6native12_GLOBAL__N_18offset_tEEE10hipError_tPvRmT1_PNSt15iterator_traitsISK_E10value_typeET2_T3_PNSL_ISQ_E10value_typeET4_jRbjT5_SW_jjP12ihipStream_tbEUlT_E_NS1_11comp_targetILNS1_3genE3ELNS1_11target_archE908ELNS1_3gpuE7ELNS1_3repE0EEENS1_30default_config_static_selectorELNS0_4arch9wavefront6targetE0EEEvSK_ ; -- Begin function _ZN7rocprim17ROCPRIM_400000_NS6detail17trampoline_kernelINS0_14default_configENS1_36segmented_radix_sort_config_selectorIblEEZNS1_25segmented_radix_sort_implIS3_Lb0EPKbPbPKlPlN2at6native12_GLOBAL__N_18offset_tEEE10hipError_tPvRmT1_PNSt15iterator_traitsISK_E10value_typeET2_T3_PNSL_ISQ_E10value_typeET4_jRbjT5_SW_jjP12ihipStream_tbEUlT_E_NS1_11comp_targetILNS1_3genE3ELNS1_11target_archE908ELNS1_3gpuE7ELNS1_3repE0EEENS1_30default_config_static_selectorELNS0_4arch9wavefront6targetE0EEEvSK_
	.p2align	8
	.type	_ZN7rocprim17ROCPRIM_400000_NS6detail17trampoline_kernelINS0_14default_configENS1_36segmented_radix_sort_config_selectorIblEEZNS1_25segmented_radix_sort_implIS3_Lb0EPKbPbPKlPlN2at6native12_GLOBAL__N_18offset_tEEE10hipError_tPvRmT1_PNSt15iterator_traitsISK_E10value_typeET2_T3_PNSL_ISQ_E10value_typeET4_jRbjT5_SW_jjP12ihipStream_tbEUlT_E_NS1_11comp_targetILNS1_3genE3ELNS1_11target_archE908ELNS1_3gpuE7ELNS1_3repE0EEENS1_30default_config_static_selectorELNS0_4arch9wavefront6targetE0EEEvSK_,@function
_ZN7rocprim17ROCPRIM_400000_NS6detail17trampoline_kernelINS0_14default_configENS1_36segmented_radix_sort_config_selectorIblEEZNS1_25segmented_radix_sort_implIS3_Lb0EPKbPbPKlPlN2at6native12_GLOBAL__N_18offset_tEEE10hipError_tPvRmT1_PNSt15iterator_traitsISK_E10value_typeET2_T3_PNSL_ISQ_E10value_typeET4_jRbjT5_SW_jjP12ihipStream_tbEUlT_E_NS1_11comp_targetILNS1_3genE3ELNS1_11target_archE908ELNS1_3gpuE7ELNS1_3repE0EEENS1_30default_config_static_selectorELNS0_4arch9wavefront6targetE0EEEvSK_: ; @_ZN7rocprim17ROCPRIM_400000_NS6detail17trampoline_kernelINS0_14default_configENS1_36segmented_radix_sort_config_selectorIblEEZNS1_25segmented_radix_sort_implIS3_Lb0EPKbPbPKlPlN2at6native12_GLOBAL__N_18offset_tEEE10hipError_tPvRmT1_PNSt15iterator_traitsISK_E10value_typeET2_T3_PNSL_ISQ_E10value_typeET4_jRbjT5_SW_jjP12ihipStream_tbEUlT_E_NS1_11comp_targetILNS1_3genE3ELNS1_11target_archE908ELNS1_3gpuE7ELNS1_3repE0EEENS1_30default_config_static_selectorELNS0_4arch9wavefront6targetE0EEEvSK_
; %bb.0:
	.section	.rodata,"a",@progbits
	.p2align	6, 0x0
	.amdhsa_kernel _ZN7rocprim17ROCPRIM_400000_NS6detail17trampoline_kernelINS0_14default_configENS1_36segmented_radix_sort_config_selectorIblEEZNS1_25segmented_radix_sort_implIS3_Lb0EPKbPbPKlPlN2at6native12_GLOBAL__N_18offset_tEEE10hipError_tPvRmT1_PNSt15iterator_traitsISK_E10value_typeET2_T3_PNSL_ISQ_E10value_typeET4_jRbjT5_SW_jjP12ihipStream_tbEUlT_E_NS1_11comp_targetILNS1_3genE3ELNS1_11target_archE908ELNS1_3gpuE7ELNS1_3repE0EEENS1_30default_config_static_selectorELNS0_4arch9wavefront6targetE0EEEvSK_
		.amdhsa_group_segment_fixed_size 0
		.amdhsa_private_segment_fixed_size 0
		.amdhsa_kernarg_size 96
		.amdhsa_user_sgpr_count 6
		.amdhsa_user_sgpr_private_segment_buffer 1
		.amdhsa_user_sgpr_dispatch_ptr 0
		.amdhsa_user_sgpr_queue_ptr 0
		.amdhsa_user_sgpr_kernarg_segment_ptr 1
		.amdhsa_user_sgpr_dispatch_id 0
		.amdhsa_user_sgpr_flat_scratch_init 0
		.amdhsa_user_sgpr_private_segment_size 0
		.amdhsa_wavefront_size32 1
		.amdhsa_uses_dynamic_stack 0
		.amdhsa_system_sgpr_private_segment_wavefront_offset 0
		.amdhsa_system_sgpr_workgroup_id_x 1
		.amdhsa_system_sgpr_workgroup_id_y 0
		.amdhsa_system_sgpr_workgroup_id_z 0
		.amdhsa_system_sgpr_workgroup_info 0
		.amdhsa_system_vgpr_workitem_id 0
		.amdhsa_next_free_vgpr 1
		.amdhsa_next_free_sgpr 1
		.amdhsa_reserve_vcc 0
		.amdhsa_reserve_flat_scratch 0
		.amdhsa_float_round_mode_32 0
		.amdhsa_float_round_mode_16_64 0
		.amdhsa_float_denorm_mode_32 3
		.amdhsa_float_denorm_mode_16_64 3
		.amdhsa_dx10_clamp 1
		.amdhsa_ieee_mode 1
		.amdhsa_fp16_overflow 0
		.amdhsa_workgroup_processor_mode 1
		.amdhsa_memory_ordered 1
		.amdhsa_forward_progress 1
		.amdhsa_shared_vgpr_count 0
		.amdhsa_exception_fp_ieee_invalid_op 0
		.amdhsa_exception_fp_denorm_src 0
		.amdhsa_exception_fp_ieee_div_zero 0
		.amdhsa_exception_fp_ieee_overflow 0
		.amdhsa_exception_fp_ieee_underflow 0
		.amdhsa_exception_fp_ieee_inexact 0
		.amdhsa_exception_int_div_zero 0
	.end_amdhsa_kernel
	.section	.text._ZN7rocprim17ROCPRIM_400000_NS6detail17trampoline_kernelINS0_14default_configENS1_36segmented_radix_sort_config_selectorIblEEZNS1_25segmented_radix_sort_implIS3_Lb0EPKbPbPKlPlN2at6native12_GLOBAL__N_18offset_tEEE10hipError_tPvRmT1_PNSt15iterator_traitsISK_E10value_typeET2_T3_PNSL_ISQ_E10value_typeET4_jRbjT5_SW_jjP12ihipStream_tbEUlT_E_NS1_11comp_targetILNS1_3genE3ELNS1_11target_archE908ELNS1_3gpuE7ELNS1_3repE0EEENS1_30default_config_static_selectorELNS0_4arch9wavefront6targetE0EEEvSK_,"axG",@progbits,_ZN7rocprim17ROCPRIM_400000_NS6detail17trampoline_kernelINS0_14default_configENS1_36segmented_radix_sort_config_selectorIblEEZNS1_25segmented_radix_sort_implIS3_Lb0EPKbPbPKlPlN2at6native12_GLOBAL__N_18offset_tEEE10hipError_tPvRmT1_PNSt15iterator_traitsISK_E10value_typeET2_T3_PNSL_ISQ_E10value_typeET4_jRbjT5_SW_jjP12ihipStream_tbEUlT_E_NS1_11comp_targetILNS1_3genE3ELNS1_11target_archE908ELNS1_3gpuE7ELNS1_3repE0EEENS1_30default_config_static_selectorELNS0_4arch9wavefront6targetE0EEEvSK_,comdat
.Lfunc_end1629:
	.size	_ZN7rocprim17ROCPRIM_400000_NS6detail17trampoline_kernelINS0_14default_configENS1_36segmented_radix_sort_config_selectorIblEEZNS1_25segmented_radix_sort_implIS3_Lb0EPKbPbPKlPlN2at6native12_GLOBAL__N_18offset_tEEE10hipError_tPvRmT1_PNSt15iterator_traitsISK_E10value_typeET2_T3_PNSL_ISQ_E10value_typeET4_jRbjT5_SW_jjP12ihipStream_tbEUlT_E_NS1_11comp_targetILNS1_3genE3ELNS1_11target_archE908ELNS1_3gpuE7ELNS1_3repE0EEENS1_30default_config_static_selectorELNS0_4arch9wavefront6targetE0EEEvSK_, .Lfunc_end1629-_ZN7rocprim17ROCPRIM_400000_NS6detail17trampoline_kernelINS0_14default_configENS1_36segmented_radix_sort_config_selectorIblEEZNS1_25segmented_radix_sort_implIS3_Lb0EPKbPbPKlPlN2at6native12_GLOBAL__N_18offset_tEEE10hipError_tPvRmT1_PNSt15iterator_traitsISK_E10value_typeET2_T3_PNSL_ISQ_E10value_typeET4_jRbjT5_SW_jjP12ihipStream_tbEUlT_E_NS1_11comp_targetILNS1_3genE3ELNS1_11target_archE908ELNS1_3gpuE7ELNS1_3repE0EEENS1_30default_config_static_selectorELNS0_4arch9wavefront6targetE0EEEvSK_
                                        ; -- End function
	.set _ZN7rocprim17ROCPRIM_400000_NS6detail17trampoline_kernelINS0_14default_configENS1_36segmented_radix_sort_config_selectorIblEEZNS1_25segmented_radix_sort_implIS3_Lb0EPKbPbPKlPlN2at6native12_GLOBAL__N_18offset_tEEE10hipError_tPvRmT1_PNSt15iterator_traitsISK_E10value_typeET2_T3_PNSL_ISQ_E10value_typeET4_jRbjT5_SW_jjP12ihipStream_tbEUlT_E_NS1_11comp_targetILNS1_3genE3ELNS1_11target_archE908ELNS1_3gpuE7ELNS1_3repE0EEENS1_30default_config_static_selectorELNS0_4arch9wavefront6targetE0EEEvSK_.num_vgpr, 0
	.set _ZN7rocprim17ROCPRIM_400000_NS6detail17trampoline_kernelINS0_14default_configENS1_36segmented_radix_sort_config_selectorIblEEZNS1_25segmented_radix_sort_implIS3_Lb0EPKbPbPKlPlN2at6native12_GLOBAL__N_18offset_tEEE10hipError_tPvRmT1_PNSt15iterator_traitsISK_E10value_typeET2_T3_PNSL_ISQ_E10value_typeET4_jRbjT5_SW_jjP12ihipStream_tbEUlT_E_NS1_11comp_targetILNS1_3genE3ELNS1_11target_archE908ELNS1_3gpuE7ELNS1_3repE0EEENS1_30default_config_static_selectorELNS0_4arch9wavefront6targetE0EEEvSK_.num_agpr, 0
	.set _ZN7rocprim17ROCPRIM_400000_NS6detail17trampoline_kernelINS0_14default_configENS1_36segmented_radix_sort_config_selectorIblEEZNS1_25segmented_radix_sort_implIS3_Lb0EPKbPbPKlPlN2at6native12_GLOBAL__N_18offset_tEEE10hipError_tPvRmT1_PNSt15iterator_traitsISK_E10value_typeET2_T3_PNSL_ISQ_E10value_typeET4_jRbjT5_SW_jjP12ihipStream_tbEUlT_E_NS1_11comp_targetILNS1_3genE3ELNS1_11target_archE908ELNS1_3gpuE7ELNS1_3repE0EEENS1_30default_config_static_selectorELNS0_4arch9wavefront6targetE0EEEvSK_.numbered_sgpr, 0
	.set _ZN7rocprim17ROCPRIM_400000_NS6detail17trampoline_kernelINS0_14default_configENS1_36segmented_radix_sort_config_selectorIblEEZNS1_25segmented_radix_sort_implIS3_Lb0EPKbPbPKlPlN2at6native12_GLOBAL__N_18offset_tEEE10hipError_tPvRmT1_PNSt15iterator_traitsISK_E10value_typeET2_T3_PNSL_ISQ_E10value_typeET4_jRbjT5_SW_jjP12ihipStream_tbEUlT_E_NS1_11comp_targetILNS1_3genE3ELNS1_11target_archE908ELNS1_3gpuE7ELNS1_3repE0EEENS1_30default_config_static_selectorELNS0_4arch9wavefront6targetE0EEEvSK_.num_named_barrier, 0
	.set _ZN7rocprim17ROCPRIM_400000_NS6detail17trampoline_kernelINS0_14default_configENS1_36segmented_radix_sort_config_selectorIblEEZNS1_25segmented_radix_sort_implIS3_Lb0EPKbPbPKlPlN2at6native12_GLOBAL__N_18offset_tEEE10hipError_tPvRmT1_PNSt15iterator_traitsISK_E10value_typeET2_T3_PNSL_ISQ_E10value_typeET4_jRbjT5_SW_jjP12ihipStream_tbEUlT_E_NS1_11comp_targetILNS1_3genE3ELNS1_11target_archE908ELNS1_3gpuE7ELNS1_3repE0EEENS1_30default_config_static_selectorELNS0_4arch9wavefront6targetE0EEEvSK_.private_seg_size, 0
	.set _ZN7rocprim17ROCPRIM_400000_NS6detail17trampoline_kernelINS0_14default_configENS1_36segmented_radix_sort_config_selectorIblEEZNS1_25segmented_radix_sort_implIS3_Lb0EPKbPbPKlPlN2at6native12_GLOBAL__N_18offset_tEEE10hipError_tPvRmT1_PNSt15iterator_traitsISK_E10value_typeET2_T3_PNSL_ISQ_E10value_typeET4_jRbjT5_SW_jjP12ihipStream_tbEUlT_E_NS1_11comp_targetILNS1_3genE3ELNS1_11target_archE908ELNS1_3gpuE7ELNS1_3repE0EEENS1_30default_config_static_selectorELNS0_4arch9wavefront6targetE0EEEvSK_.uses_vcc, 0
	.set _ZN7rocprim17ROCPRIM_400000_NS6detail17trampoline_kernelINS0_14default_configENS1_36segmented_radix_sort_config_selectorIblEEZNS1_25segmented_radix_sort_implIS3_Lb0EPKbPbPKlPlN2at6native12_GLOBAL__N_18offset_tEEE10hipError_tPvRmT1_PNSt15iterator_traitsISK_E10value_typeET2_T3_PNSL_ISQ_E10value_typeET4_jRbjT5_SW_jjP12ihipStream_tbEUlT_E_NS1_11comp_targetILNS1_3genE3ELNS1_11target_archE908ELNS1_3gpuE7ELNS1_3repE0EEENS1_30default_config_static_selectorELNS0_4arch9wavefront6targetE0EEEvSK_.uses_flat_scratch, 0
	.set _ZN7rocprim17ROCPRIM_400000_NS6detail17trampoline_kernelINS0_14default_configENS1_36segmented_radix_sort_config_selectorIblEEZNS1_25segmented_radix_sort_implIS3_Lb0EPKbPbPKlPlN2at6native12_GLOBAL__N_18offset_tEEE10hipError_tPvRmT1_PNSt15iterator_traitsISK_E10value_typeET2_T3_PNSL_ISQ_E10value_typeET4_jRbjT5_SW_jjP12ihipStream_tbEUlT_E_NS1_11comp_targetILNS1_3genE3ELNS1_11target_archE908ELNS1_3gpuE7ELNS1_3repE0EEENS1_30default_config_static_selectorELNS0_4arch9wavefront6targetE0EEEvSK_.has_dyn_sized_stack, 0
	.set _ZN7rocprim17ROCPRIM_400000_NS6detail17trampoline_kernelINS0_14default_configENS1_36segmented_radix_sort_config_selectorIblEEZNS1_25segmented_radix_sort_implIS3_Lb0EPKbPbPKlPlN2at6native12_GLOBAL__N_18offset_tEEE10hipError_tPvRmT1_PNSt15iterator_traitsISK_E10value_typeET2_T3_PNSL_ISQ_E10value_typeET4_jRbjT5_SW_jjP12ihipStream_tbEUlT_E_NS1_11comp_targetILNS1_3genE3ELNS1_11target_archE908ELNS1_3gpuE7ELNS1_3repE0EEENS1_30default_config_static_selectorELNS0_4arch9wavefront6targetE0EEEvSK_.has_recursion, 0
	.set _ZN7rocprim17ROCPRIM_400000_NS6detail17trampoline_kernelINS0_14default_configENS1_36segmented_radix_sort_config_selectorIblEEZNS1_25segmented_radix_sort_implIS3_Lb0EPKbPbPKlPlN2at6native12_GLOBAL__N_18offset_tEEE10hipError_tPvRmT1_PNSt15iterator_traitsISK_E10value_typeET2_T3_PNSL_ISQ_E10value_typeET4_jRbjT5_SW_jjP12ihipStream_tbEUlT_E_NS1_11comp_targetILNS1_3genE3ELNS1_11target_archE908ELNS1_3gpuE7ELNS1_3repE0EEENS1_30default_config_static_selectorELNS0_4arch9wavefront6targetE0EEEvSK_.has_indirect_call, 0
	.section	.AMDGPU.csdata,"",@progbits
; Kernel info:
; codeLenInByte = 0
; TotalNumSgprs: 0
; NumVgprs: 0
; ScratchSize: 0
; MemoryBound: 0
; FloatMode: 240
; IeeeMode: 1
; LDSByteSize: 0 bytes/workgroup (compile time only)
; SGPRBlocks: 0
; VGPRBlocks: 0
; NumSGPRsForWavesPerEU: 1
; NumVGPRsForWavesPerEU: 1
; Occupancy: 16
; WaveLimiterHint : 0
; COMPUTE_PGM_RSRC2:SCRATCH_EN: 0
; COMPUTE_PGM_RSRC2:USER_SGPR: 6
; COMPUTE_PGM_RSRC2:TRAP_HANDLER: 0
; COMPUTE_PGM_RSRC2:TGID_X_EN: 1
; COMPUTE_PGM_RSRC2:TGID_Y_EN: 0
; COMPUTE_PGM_RSRC2:TGID_Z_EN: 0
; COMPUTE_PGM_RSRC2:TIDIG_COMP_CNT: 0
	.section	.text._ZN7rocprim17ROCPRIM_400000_NS6detail17trampoline_kernelINS0_14default_configENS1_36segmented_radix_sort_config_selectorIblEEZNS1_25segmented_radix_sort_implIS3_Lb0EPKbPbPKlPlN2at6native12_GLOBAL__N_18offset_tEEE10hipError_tPvRmT1_PNSt15iterator_traitsISK_E10value_typeET2_T3_PNSL_ISQ_E10value_typeET4_jRbjT5_SW_jjP12ihipStream_tbEUlT_E_NS1_11comp_targetILNS1_3genE2ELNS1_11target_archE906ELNS1_3gpuE6ELNS1_3repE0EEENS1_30default_config_static_selectorELNS0_4arch9wavefront6targetE0EEEvSK_,"axG",@progbits,_ZN7rocprim17ROCPRIM_400000_NS6detail17trampoline_kernelINS0_14default_configENS1_36segmented_radix_sort_config_selectorIblEEZNS1_25segmented_radix_sort_implIS3_Lb0EPKbPbPKlPlN2at6native12_GLOBAL__N_18offset_tEEE10hipError_tPvRmT1_PNSt15iterator_traitsISK_E10value_typeET2_T3_PNSL_ISQ_E10value_typeET4_jRbjT5_SW_jjP12ihipStream_tbEUlT_E_NS1_11comp_targetILNS1_3genE2ELNS1_11target_archE906ELNS1_3gpuE6ELNS1_3repE0EEENS1_30default_config_static_selectorELNS0_4arch9wavefront6targetE0EEEvSK_,comdat
	.globl	_ZN7rocprim17ROCPRIM_400000_NS6detail17trampoline_kernelINS0_14default_configENS1_36segmented_radix_sort_config_selectorIblEEZNS1_25segmented_radix_sort_implIS3_Lb0EPKbPbPKlPlN2at6native12_GLOBAL__N_18offset_tEEE10hipError_tPvRmT1_PNSt15iterator_traitsISK_E10value_typeET2_T3_PNSL_ISQ_E10value_typeET4_jRbjT5_SW_jjP12ihipStream_tbEUlT_E_NS1_11comp_targetILNS1_3genE2ELNS1_11target_archE906ELNS1_3gpuE6ELNS1_3repE0EEENS1_30default_config_static_selectorELNS0_4arch9wavefront6targetE0EEEvSK_ ; -- Begin function _ZN7rocprim17ROCPRIM_400000_NS6detail17trampoline_kernelINS0_14default_configENS1_36segmented_radix_sort_config_selectorIblEEZNS1_25segmented_radix_sort_implIS3_Lb0EPKbPbPKlPlN2at6native12_GLOBAL__N_18offset_tEEE10hipError_tPvRmT1_PNSt15iterator_traitsISK_E10value_typeET2_T3_PNSL_ISQ_E10value_typeET4_jRbjT5_SW_jjP12ihipStream_tbEUlT_E_NS1_11comp_targetILNS1_3genE2ELNS1_11target_archE906ELNS1_3gpuE6ELNS1_3repE0EEENS1_30default_config_static_selectorELNS0_4arch9wavefront6targetE0EEEvSK_
	.p2align	8
	.type	_ZN7rocprim17ROCPRIM_400000_NS6detail17trampoline_kernelINS0_14default_configENS1_36segmented_radix_sort_config_selectorIblEEZNS1_25segmented_radix_sort_implIS3_Lb0EPKbPbPKlPlN2at6native12_GLOBAL__N_18offset_tEEE10hipError_tPvRmT1_PNSt15iterator_traitsISK_E10value_typeET2_T3_PNSL_ISQ_E10value_typeET4_jRbjT5_SW_jjP12ihipStream_tbEUlT_E_NS1_11comp_targetILNS1_3genE2ELNS1_11target_archE906ELNS1_3gpuE6ELNS1_3repE0EEENS1_30default_config_static_selectorELNS0_4arch9wavefront6targetE0EEEvSK_,@function
_ZN7rocprim17ROCPRIM_400000_NS6detail17trampoline_kernelINS0_14default_configENS1_36segmented_radix_sort_config_selectorIblEEZNS1_25segmented_radix_sort_implIS3_Lb0EPKbPbPKlPlN2at6native12_GLOBAL__N_18offset_tEEE10hipError_tPvRmT1_PNSt15iterator_traitsISK_E10value_typeET2_T3_PNSL_ISQ_E10value_typeET4_jRbjT5_SW_jjP12ihipStream_tbEUlT_E_NS1_11comp_targetILNS1_3genE2ELNS1_11target_archE906ELNS1_3gpuE6ELNS1_3repE0EEENS1_30default_config_static_selectorELNS0_4arch9wavefront6targetE0EEEvSK_: ; @_ZN7rocprim17ROCPRIM_400000_NS6detail17trampoline_kernelINS0_14default_configENS1_36segmented_radix_sort_config_selectorIblEEZNS1_25segmented_radix_sort_implIS3_Lb0EPKbPbPKlPlN2at6native12_GLOBAL__N_18offset_tEEE10hipError_tPvRmT1_PNSt15iterator_traitsISK_E10value_typeET2_T3_PNSL_ISQ_E10value_typeET4_jRbjT5_SW_jjP12ihipStream_tbEUlT_E_NS1_11comp_targetILNS1_3genE2ELNS1_11target_archE906ELNS1_3gpuE6ELNS1_3repE0EEENS1_30default_config_static_selectorELNS0_4arch9wavefront6targetE0EEEvSK_
; %bb.0:
	.section	.rodata,"a",@progbits
	.p2align	6, 0x0
	.amdhsa_kernel _ZN7rocprim17ROCPRIM_400000_NS6detail17trampoline_kernelINS0_14default_configENS1_36segmented_radix_sort_config_selectorIblEEZNS1_25segmented_radix_sort_implIS3_Lb0EPKbPbPKlPlN2at6native12_GLOBAL__N_18offset_tEEE10hipError_tPvRmT1_PNSt15iterator_traitsISK_E10value_typeET2_T3_PNSL_ISQ_E10value_typeET4_jRbjT5_SW_jjP12ihipStream_tbEUlT_E_NS1_11comp_targetILNS1_3genE2ELNS1_11target_archE906ELNS1_3gpuE6ELNS1_3repE0EEENS1_30default_config_static_selectorELNS0_4arch9wavefront6targetE0EEEvSK_
		.amdhsa_group_segment_fixed_size 0
		.amdhsa_private_segment_fixed_size 0
		.amdhsa_kernarg_size 96
		.amdhsa_user_sgpr_count 6
		.amdhsa_user_sgpr_private_segment_buffer 1
		.amdhsa_user_sgpr_dispatch_ptr 0
		.amdhsa_user_sgpr_queue_ptr 0
		.amdhsa_user_sgpr_kernarg_segment_ptr 1
		.amdhsa_user_sgpr_dispatch_id 0
		.amdhsa_user_sgpr_flat_scratch_init 0
		.amdhsa_user_sgpr_private_segment_size 0
		.amdhsa_wavefront_size32 1
		.amdhsa_uses_dynamic_stack 0
		.amdhsa_system_sgpr_private_segment_wavefront_offset 0
		.amdhsa_system_sgpr_workgroup_id_x 1
		.amdhsa_system_sgpr_workgroup_id_y 0
		.amdhsa_system_sgpr_workgroup_id_z 0
		.amdhsa_system_sgpr_workgroup_info 0
		.amdhsa_system_vgpr_workitem_id 0
		.amdhsa_next_free_vgpr 1
		.amdhsa_next_free_sgpr 1
		.amdhsa_reserve_vcc 0
		.amdhsa_reserve_flat_scratch 0
		.amdhsa_float_round_mode_32 0
		.amdhsa_float_round_mode_16_64 0
		.amdhsa_float_denorm_mode_32 3
		.amdhsa_float_denorm_mode_16_64 3
		.amdhsa_dx10_clamp 1
		.amdhsa_ieee_mode 1
		.amdhsa_fp16_overflow 0
		.amdhsa_workgroup_processor_mode 1
		.amdhsa_memory_ordered 1
		.amdhsa_forward_progress 1
		.amdhsa_shared_vgpr_count 0
		.amdhsa_exception_fp_ieee_invalid_op 0
		.amdhsa_exception_fp_denorm_src 0
		.amdhsa_exception_fp_ieee_div_zero 0
		.amdhsa_exception_fp_ieee_overflow 0
		.amdhsa_exception_fp_ieee_underflow 0
		.amdhsa_exception_fp_ieee_inexact 0
		.amdhsa_exception_int_div_zero 0
	.end_amdhsa_kernel
	.section	.text._ZN7rocprim17ROCPRIM_400000_NS6detail17trampoline_kernelINS0_14default_configENS1_36segmented_radix_sort_config_selectorIblEEZNS1_25segmented_radix_sort_implIS3_Lb0EPKbPbPKlPlN2at6native12_GLOBAL__N_18offset_tEEE10hipError_tPvRmT1_PNSt15iterator_traitsISK_E10value_typeET2_T3_PNSL_ISQ_E10value_typeET4_jRbjT5_SW_jjP12ihipStream_tbEUlT_E_NS1_11comp_targetILNS1_3genE2ELNS1_11target_archE906ELNS1_3gpuE6ELNS1_3repE0EEENS1_30default_config_static_selectorELNS0_4arch9wavefront6targetE0EEEvSK_,"axG",@progbits,_ZN7rocprim17ROCPRIM_400000_NS6detail17trampoline_kernelINS0_14default_configENS1_36segmented_radix_sort_config_selectorIblEEZNS1_25segmented_radix_sort_implIS3_Lb0EPKbPbPKlPlN2at6native12_GLOBAL__N_18offset_tEEE10hipError_tPvRmT1_PNSt15iterator_traitsISK_E10value_typeET2_T3_PNSL_ISQ_E10value_typeET4_jRbjT5_SW_jjP12ihipStream_tbEUlT_E_NS1_11comp_targetILNS1_3genE2ELNS1_11target_archE906ELNS1_3gpuE6ELNS1_3repE0EEENS1_30default_config_static_selectorELNS0_4arch9wavefront6targetE0EEEvSK_,comdat
.Lfunc_end1630:
	.size	_ZN7rocprim17ROCPRIM_400000_NS6detail17trampoline_kernelINS0_14default_configENS1_36segmented_radix_sort_config_selectorIblEEZNS1_25segmented_radix_sort_implIS3_Lb0EPKbPbPKlPlN2at6native12_GLOBAL__N_18offset_tEEE10hipError_tPvRmT1_PNSt15iterator_traitsISK_E10value_typeET2_T3_PNSL_ISQ_E10value_typeET4_jRbjT5_SW_jjP12ihipStream_tbEUlT_E_NS1_11comp_targetILNS1_3genE2ELNS1_11target_archE906ELNS1_3gpuE6ELNS1_3repE0EEENS1_30default_config_static_selectorELNS0_4arch9wavefront6targetE0EEEvSK_, .Lfunc_end1630-_ZN7rocprim17ROCPRIM_400000_NS6detail17trampoline_kernelINS0_14default_configENS1_36segmented_radix_sort_config_selectorIblEEZNS1_25segmented_radix_sort_implIS3_Lb0EPKbPbPKlPlN2at6native12_GLOBAL__N_18offset_tEEE10hipError_tPvRmT1_PNSt15iterator_traitsISK_E10value_typeET2_T3_PNSL_ISQ_E10value_typeET4_jRbjT5_SW_jjP12ihipStream_tbEUlT_E_NS1_11comp_targetILNS1_3genE2ELNS1_11target_archE906ELNS1_3gpuE6ELNS1_3repE0EEENS1_30default_config_static_selectorELNS0_4arch9wavefront6targetE0EEEvSK_
                                        ; -- End function
	.set _ZN7rocprim17ROCPRIM_400000_NS6detail17trampoline_kernelINS0_14default_configENS1_36segmented_radix_sort_config_selectorIblEEZNS1_25segmented_radix_sort_implIS3_Lb0EPKbPbPKlPlN2at6native12_GLOBAL__N_18offset_tEEE10hipError_tPvRmT1_PNSt15iterator_traitsISK_E10value_typeET2_T3_PNSL_ISQ_E10value_typeET4_jRbjT5_SW_jjP12ihipStream_tbEUlT_E_NS1_11comp_targetILNS1_3genE2ELNS1_11target_archE906ELNS1_3gpuE6ELNS1_3repE0EEENS1_30default_config_static_selectorELNS0_4arch9wavefront6targetE0EEEvSK_.num_vgpr, 0
	.set _ZN7rocprim17ROCPRIM_400000_NS6detail17trampoline_kernelINS0_14default_configENS1_36segmented_radix_sort_config_selectorIblEEZNS1_25segmented_radix_sort_implIS3_Lb0EPKbPbPKlPlN2at6native12_GLOBAL__N_18offset_tEEE10hipError_tPvRmT1_PNSt15iterator_traitsISK_E10value_typeET2_T3_PNSL_ISQ_E10value_typeET4_jRbjT5_SW_jjP12ihipStream_tbEUlT_E_NS1_11comp_targetILNS1_3genE2ELNS1_11target_archE906ELNS1_3gpuE6ELNS1_3repE0EEENS1_30default_config_static_selectorELNS0_4arch9wavefront6targetE0EEEvSK_.num_agpr, 0
	.set _ZN7rocprim17ROCPRIM_400000_NS6detail17trampoline_kernelINS0_14default_configENS1_36segmented_radix_sort_config_selectorIblEEZNS1_25segmented_radix_sort_implIS3_Lb0EPKbPbPKlPlN2at6native12_GLOBAL__N_18offset_tEEE10hipError_tPvRmT1_PNSt15iterator_traitsISK_E10value_typeET2_T3_PNSL_ISQ_E10value_typeET4_jRbjT5_SW_jjP12ihipStream_tbEUlT_E_NS1_11comp_targetILNS1_3genE2ELNS1_11target_archE906ELNS1_3gpuE6ELNS1_3repE0EEENS1_30default_config_static_selectorELNS0_4arch9wavefront6targetE0EEEvSK_.numbered_sgpr, 0
	.set _ZN7rocprim17ROCPRIM_400000_NS6detail17trampoline_kernelINS0_14default_configENS1_36segmented_radix_sort_config_selectorIblEEZNS1_25segmented_radix_sort_implIS3_Lb0EPKbPbPKlPlN2at6native12_GLOBAL__N_18offset_tEEE10hipError_tPvRmT1_PNSt15iterator_traitsISK_E10value_typeET2_T3_PNSL_ISQ_E10value_typeET4_jRbjT5_SW_jjP12ihipStream_tbEUlT_E_NS1_11comp_targetILNS1_3genE2ELNS1_11target_archE906ELNS1_3gpuE6ELNS1_3repE0EEENS1_30default_config_static_selectorELNS0_4arch9wavefront6targetE0EEEvSK_.num_named_barrier, 0
	.set _ZN7rocprim17ROCPRIM_400000_NS6detail17trampoline_kernelINS0_14default_configENS1_36segmented_radix_sort_config_selectorIblEEZNS1_25segmented_radix_sort_implIS3_Lb0EPKbPbPKlPlN2at6native12_GLOBAL__N_18offset_tEEE10hipError_tPvRmT1_PNSt15iterator_traitsISK_E10value_typeET2_T3_PNSL_ISQ_E10value_typeET4_jRbjT5_SW_jjP12ihipStream_tbEUlT_E_NS1_11comp_targetILNS1_3genE2ELNS1_11target_archE906ELNS1_3gpuE6ELNS1_3repE0EEENS1_30default_config_static_selectorELNS0_4arch9wavefront6targetE0EEEvSK_.private_seg_size, 0
	.set _ZN7rocprim17ROCPRIM_400000_NS6detail17trampoline_kernelINS0_14default_configENS1_36segmented_radix_sort_config_selectorIblEEZNS1_25segmented_radix_sort_implIS3_Lb0EPKbPbPKlPlN2at6native12_GLOBAL__N_18offset_tEEE10hipError_tPvRmT1_PNSt15iterator_traitsISK_E10value_typeET2_T3_PNSL_ISQ_E10value_typeET4_jRbjT5_SW_jjP12ihipStream_tbEUlT_E_NS1_11comp_targetILNS1_3genE2ELNS1_11target_archE906ELNS1_3gpuE6ELNS1_3repE0EEENS1_30default_config_static_selectorELNS0_4arch9wavefront6targetE0EEEvSK_.uses_vcc, 0
	.set _ZN7rocprim17ROCPRIM_400000_NS6detail17trampoline_kernelINS0_14default_configENS1_36segmented_radix_sort_config_selectorIblEEZNS1_25segmented_radix_sort_implIS3_Lb0EPKbPbPKlPlN2at6native12_GLOBAL__N_18offset_tEEE10hipError_tPvRmT1_PNSt15iterator_traitsISK_E10value_typeET2_T3_PNSL_ISQ_E10value_typeET4_jRbjT5_SW_jjP12ihipStream_tbEUlT_E_NS1_11comp_targetILNS1_3genE2ELNS1_11target_archE906ELNS1_3gpuE6ELNS1_3repE0EEENS1_30default_config_static_selectorELNS0_4arch9wavefront6targetE0EEEvSK_.uses_flat_scratch, 0
	.set _ZN7rocprim17ROCPRIM_400000_NS6detail17trampoline_kernelINS0_14default_configENS1_36segmented_radix_sort_config_selectorIblEEZNS1_25segmented_radix_sort_implIS3_Lb0EPKbPbPKlPlN2at6native12_GLOBAL__N_18offset_tEEE10hipError_tPvRmT1_PNSt15iterator_traitsISK_E10value_typeET2_T3_PNSL_ISQ_E10value_typeET4_jRbjT5_SW_jjP12ihipStream_tbEUlT_E_NS1_11comp_targetILNS1_3genE2ELNS1_11target_archE906ELNS1_3gpuE6ELNS1_3repE0EEENS1_30default_config_static_selectorELNS0_4arch9wavefront6targetE0EEEvSK_.has_dyn_sized_stack, 0
	.set _ZN7rocprim17ROCPRIM_400000_NS6detail17trampoline_kernelINS0_14default_configENS1_36segmented_radix_sort_config_selectorIblEEZNS1_25segmented_radix_sort_implIS3_Lb0EPKbPbPKlPlN2at6native12_GLOBAL__N_18offset_tEEE10hipError_tPvRmT1_PNSt15iterator_traitsISK_E10value_typeET2_T3_PNSL_ISQ_E10value_typeET4_jRbjT5_SW_jjP12ihipStream_tbEUlT_E_NS1_11comp_targetILNS1_3genE2ELNS1_11target_archE906ELNS1_3gpuE6ELNS1_3repE0EEENS1_30default_config_static_selectorELNS0_4arch9wavefront6targetE0EEEvSK_.has_recursion, 0
	.set _ZN7rocprim17ROCPRIM_400000_NS6detail17trampoline_kernelINS0_14default_configENS1_36segmented_radix_sort_config_selectorIblEEZNS1_25segmented_radix_sort_implIS3_Lb0EPKbPbPKlPlN2at6native12_GLOBAL__N_18offset_tEEE10hipError_tPvRmT1_PNSt15iterator_traitsISK_E10value_typeET2_T3_PNSL_ISQ_E10value_typeET4_jRbjT5_SW_jjP12ihipStream_tbEUlT_E_NS1_11comp_targetILNS1_3genE2ELNS1_11target_archE906ELNS1_3gpuE6ELNS1_3repE0EEENS1_30default_config_static_selectorELNS0_4arch9wavefront6targetE0EEEvSK_.has_indirect_call, 0
	.section	.AMDGPU.csdata,"",@progbits
; Kernel info:
; codeLenInByte = 0
; TotalNumSgprs: 0
; NumVgprs: 0
; ScratchSize: 0
; MemoryBound: 0
; FloatMode: 240
; IeeeMode: 1
; LDSByteSize: 0 bytes/workgroup (compile time only)
; SGPRBlocks: 0
; VGPRBlocks: 0
; NumSGPRsForWavesPerEU: 1
; NumVGPRsForWavesPerEU: 1
; Occupancy: 16
; WaveLimiterHint : 0
; COMPUTE_PGM_RSRC2:SCRATCH_EN: 0
; COMPUTE_PGM_RSRC2:USER_SGPR: 6
; COMPUTE_PGM_RSRC2:TRAP_HANDLER: 0
; COMPUTE_PGM_RSRC2:TGID_X_EN: 1
; COMPUTE_PGM_RSRC2:TGID_Y_EN: 0
; COMPUTE_PGM_RSRC2:TGID_Z_EN: 0
; COMPUTE_PGM_RSRC2:TIDIG_COMP_CNT: 0
	.section	.text._ZN7rocprim17ROCPRIM_400000_NS6detail17trampoline_kernelINS0_14default_configENS1_36segmented_radix_sort_config_selectorIblEEZNS1_25segmented_radix_sort_implIS3_Lb0EPKbPbPKlPlN2at6native12_GLOBAL__N_18offset_tEEE10hipError_tPvRmT1_PNSt15iterator_traitsISK_E10value_typeET2_T3_PNSL_ISQ_E10value_typeET4_jRbjT5_SW_jjP12ihipStream_tbEUlT_E_NS1_11comp_targetILNS1_3genE10ELNS1_11target_archE1201ELNS1_3gpuE5ELNS1_3repE0EEENS1_30default_config_static_selectorELNS0_4arch9wavefront6targetE0EEEvSK_,"axG",@progbits,_ZN7rocprim17ROCPRIM_400000_NS6detail17trampoline_kernelINS0_14default_configENS1_36segmented_radix_sort_config_selectorIblEEZNS1_25segmented_radix_sort_implIS3_Lb0EPKbPbPKlPlN2at6native12_GLOBAL__N_18offset_tEEE10hipError_tPvRmT1_PNSt15iterator_traitsISK_E10value_typeET2_T3_PNSL_ISQ_E10value_typeET4_jRbjT5_SW_jjP12ihipStream_tbEUlT_E_NS1_11comp_targetILNS1_3genE10ELNS1_11target_archE1201ELNS1_3gpuE5ELNS1_3repE0EEENS1_30default_config_static_selectorELNS0_4arch9wavefront6targetE0EEEvSK_,comdat
	.globl	_ZN7rocprim17ROCPRIM_400000_NS6detail17trampoline_kernelINS0_14default_configENS1_36segmented_radix_sort_config_selectorIblEEZNS1_25segmented_radix_sort_implIS3_Lb0EPKbPbPKlPlN2at6native12_GLOBAL__N_18offset_tEEE10hipError_tPvRmT1_PNSt15iterator_traitsISK_E10value_typeET2_T3_PNSL_ISQ_E10value_typeET4_jRbjT5_SW_jjP12ihipStream_tbEUlT_E_NS1_11comp_targetILNS1_3genE10ELNS1_11target_archE1201ELNS1_3gpuE5ELNS1_3repE0EEENS1_30default_config_static_selectorELNS0_4arch9wavefront6targetE0EEEvSK_ ; -- Begin function _ZN7rocprim17ROCPRIM_400000_NS6detail17trampoline_kernelINS0_14default_configENS1_36segmented_radix_sort_config_selectorIblEEZNS1_25segmented_radix_sort_implIS3_Lb0EPKbPbPKlPlN2at6native12_GLOBAL__N_18offset_tEEE10hipError_tPvRmT1_PNSt15iterator_traitsISK_E10value_typeET2_T3_PNSL_ISQ_E10value_typeET4_jRbjT5_SW_jjP12ihipStream_tbEUlT_E_NS1_11comp_targetILNS1_3genE10ELNS1_11target_archE1201ELNS1_3gpuE5ELNS1_3repE0EEENS1_30default_config_static_selectorELNS0_4arch9wavefront6targetE0EEEvSK_
	.p2align	8
	.type	_ZN7rocprim17ROCPRIM_400000_NS6detail17trampoline_kernelINS0_14default_configENS1_36segmented_radix_sort_config_selectorIblEEZNS1_25segmented_radix_sort_implIS3_Lb0EPKbPbPKlPlN2at6native12_GLOBAL__N_18offset_tEEE10hipError_tPvRmT1_PNSt15iterator_traitsISK_E10value_typeET2_T3_PNSL_ISQ_E10value_typeET4_jRbjT5_SW_jjP12ihipStream_tbEUlT_E_NS1_11comp_targetILNS1_3genE10ELNS1_11target_archE1201ELNS1_3gpuE5ELNS1_3repE0EEENS1_30default_config_static_selectorELNS0_4arch9wavefront6targetE0EEEvSK_,@function
_ZN7rocprim17ROCPRIM_400000_NS6detail17trampoline_kernelINS0_14default_configENS1_36segmented_radix_sort_config_selectorIblEEZNS1_25segmented_radix_sort_implIS3_Lb0EPKbPbPKlPlN2at6native12_GLOBAL__N_18offset_tEEE10hipError_tPvRmT1_PNSt15iterator_traitsISK_E10value_typeET2_T3_PNSL_ISQ_E10value_typeET4_jRbjT5_SW_jjP12ihipStream_tbEUlT_E_NS1_11comp_targetILNS1_3genE10ELNS1_11target_archE1201ELNS1_3gpuE5ELNS1_3repE0EEENS1_30default_config_static_selectorELNS0_4arch9wavefront6targetE0EEEvSK_: ; @_ZN7rocprim17ROCPRIM_400000_NS6detail17trampoline_kernelINS0_14default_configENS1_36segmented_radix_sort_config_selectorIblEEZNS1_25segmented_radix_sort_implIS3_Lb0EPKbPbPKlPlN2at6native12_GLOBAL__N_18offset_tEEE10hipError_tPvRmT1_PNSt15iterator_traitsISK_E10value_typeET2_T3_PNSL_ISQ_E10value_typeET4_jRbjT5_SW_jjP12ihipStream_tbEUlT_E_NS1_11comp_targetILNS1_3genE10ELNS1_11target_archE1201ELNS1_3gpuE5ELNS1_3repE0EEENS1_30default_config_static_selectorELNS0_4arch9wavefront6targetE0EEEvSK_
; %bb.0:
	.section	.rodata,"a",@progbits
	.p2align	6, 0x0
	.amdhsa_kernel _ZN7rocprim17ROCPRIM_400000_NS6detail17trampoline_kernelINS0_14default_configENS1_36segmented_radix_sort_config_selectorIblEEZNS1_25segmented_radix_sort_implIS3_Lb0EPKbPbPKlPlN2at6native12_GLOBAL__N_18offset_tEEE10hipError_tPvRmT1_PNSt15iterator_traitsISK_E10value_typeET2_T3_PNSL_ISQ_E10value_typeET4_jRbjT5_SW_jjP12ihipStream_tbEUlT_E_NS1_11comp_targetILNS1_3genE10ELNS1_11target_archE1201ELNS1_3gpuE5ELNS1_3repE0EEENS1_30default_config_static_selectorELNS0_4arch9wavefront6targetE0EEEvSK_
		.amdhsa_group_segment_fixed_size 0
		.amdhsa_private_segment_fixed_size 0
		.amdhsa_kernarg_size 96
		.amdhsa_user_sgpr_count 6
		.amdhsa_user_sgpr_private_segment_buffer 1
		.amdhsa_user_sgpr_dispatch_ptr 0
		.amdhsa_user_sgpr_queue_ptr 0
		.amdhsa_user_sgpr_kernarg_segment_ptr 1
		.amdhsa_user_sgpr_dispatch_id 0
		.amdhsa_user_sgpr_flat_scratch_init 0
		.amdhsa_user_sgpr_private_segment_size 0
		.amdhsa_wavefront_size32 1
		.amdhsa_uses_dynamic_stack 0
		.amdhsa_system_sgpr_private_segment_wavefront_offset 0
		.amdhsa_system_sgpr_workgroup_id_x 1
		.amdhsa_system_sgpr_workgroup_id_y 0
		.amdhsa_system_sgpr_workgroup_id_z 0
		.amdhsa_system_sgpr_workgroup_info 0
		.amdhsa_system_vgpr_workitem_id 0
		.amdhsa_next_free_vgpr 1
		.amdhsa_next_free_sgpr 1
		.amdhsa_reserve_vcc 0
		.amdhsa_reserve_flat_scratch 0
		.amdhsa_float_round_mode_32 0
		.amdhsa_float_round_mode_16_64 0
		.amdhsa_float_denorm_mode_32 3
		.amdhsa_float_denorm_mode_16_64 3
		.amdhsa_dx10_clamp 1
		.amdhsa_ieee_mode 1
		.amdhsa_fp16_overflow 0
		.amdhsa_workgroup_processor_mode 1
		.amdhsa_memory_ordered 1
		.amdhsa_forward_progress 1
		.amdhsa_shared_vgpr_count 0
		.amdhsa_exception_fp_ieee_invalid_op 0
		.amdhsa_exception_fp_denorm_src 0
		.amdhsa_exception_fp_ieee_div_zero 0
		.amdhsa_exception_fp_ieee_overflow 0
		.amdhsa_exception_fp_ieee_underflow 0
		.amdhsa_exception_fp_ieee_inexact 0
		.amdhsa_exception_int_div_zero 0
	.end_amdhsa_kernel
	.section	.text._ZN7rocprim17ROCPRIM_400000_NS6detail17trampoline_kernelINS0_14default_configENS1_36segmented_radix_sort_config_selectorIblEEZNS1_25segmented_radix_sort_implIS3_Lb0EPKbPbPKlPlN2at6native12_GLOBAL__N_18offset_tEEE10hipError_tPvRmT1_PNSt15iterator_traitsISK_E10value_typeET2_T3_PNSL_ISQ_E10value_typeET4_jRbjT5_SW_jjP12ihipStream_tbEUlT_E_NS1_11comp_targetILNS1_3genE10ELNS1_11target_archE1201ELNS1_3gpuE5ELNS1_3repE0EEENS1_30default_config_static_selectorELNS0_4arch9wavefront6targetE0EEEvSK_,"axG",@progbits,_ZN7rocprim17ROCPRIM_400000_NS6detail17trampoline_kernelINS0_14default_configENS1_36segmented_radix_sort_config_selectorIblEEZNS1_25segmented_radix_sort_implIS3_Lb0EPKbPbPKlPlN2at6native12_GLOBAL__N_18offset_tEEE10hipError_tPvRmT1_PNSt15iterator_traitsISK_E10value_typeET2_T3_PNSL_ISQ_E10value_typeET4_jRbjT5_SW_jjP12ihipStream_tbEUlT_E_NS1_11comp_targetILNS1_3genE10ELNS1_11target_archE1201ELNS1_3gpuE5ELNS1_3repE0EEENS1_30default_config_static_selectorELNS0_4arch9wavefront6targetE0EEEvSK_,comdat
.Lfunc_end1631:
	.size	_ZN7rocprim17ROCPRIM_400000_NS6detail17trampoline_kernelINS0_14default_configENS1_36segmented_radix_sort_config_selectorIblEEZNS1_25segmented_radix_sort_implIS3_Lb0EPKbPbPKlPlN2at6native12_GLOBAL__N_18offset_tEEE10hipError_tPvRmT1_PNSt15iterator_traitsISK_E10value_typeET2_T3_PNSL_ISQ_E10value_typeET4_jRbjT5_SW_jjP12ihipStream_tbEUlT_E_NS1_11comp_targetILNS1_3genE10ELNS1_11target_archE1201ELNS1_3gpuE5ELNS1_3repE0EEENS1_30default_config_static_selectorELNS0_4arch9wavefront6targetE0EEEvSK_, .Lfunc_end1631-_ZN7rocprim17ROCPRIM_400000_NS6detail17trampoline_kernelINS0_14default_configENS1_36segmented_radix_sort_config_selectorIblEEZNS1_25segmented_radix_sort_implIS3_Lb0EPKbPbPKlPlN2at6native12_GLOBAL__N_18offset_tEEE10hipError_tPvRmT1_PNSt15iterator_traitsISK_E10value_typeET2_T3_PNSL_ISQ_E10value_typeET4_jRbjT5_SW_jjP12ihipStream_tbEUlT_E_NS1_11comp_targetILNS1_3genE10ELNS1_11target_archE1201ELNS1_3gpuE5ELNS1_3repE0EEENS1_30default_config_static_selectorELNS0_4arch9wavefront6targetE0EEEvSK_
                                        ; -- End function
	.set _ZN7rocprim17ROCPRIM_400000_NS6detail17trampoline_kernelINS0_14default_configENS1_36segmented_radix_sort_config_selectorIblEEZNS1_25segmented_radix_sort_implIS3_Lb0EPKbPbPKlPlN2at6native12_GLOBAL__N_18offset_tEEE10hipError_tPvRmT1_PNSt15iterator_traitsISK_E10value_typeET2_T3_PNSL_ISQ_E10value_typeET4_jRbjT5_SW_jjP12ihipStream_tbEUlT_E_NS1_11comp_targetILNS1_3genE10ELNS1_11target_archE1201ELNS1_3gpuE5ELNS1_3repE0EEENS1_30default_config_static_selectorELNS0_4arch9wavefront6targetE0EEEvSK_.num_vgpr, 0
	.set _ZN7rocprim17ROCPRIM_400000_NS6detail17trampoline_kernelINS0_14default_configENS1_36segmented_radix_sort_config_selectorIblEEZNS1_25segmented_radix_sort_implIS3_Lb0EPKbPbPKlPlN2at6native12_GLOBAL__N_18offset_tEEE10hipError_tPvRmT1_PNSt15iterator_traitsISK_E10value_typeET2_T3_PNSL_ISQ_E10value_typeET4_jRbjT5_SW_jjP12ihipStream_tbEUlT_E_NS1_11comp_targetILNS1_3genE10ELNS1_11target_archE1201ELNS1_3gpuE5ELNS1_3repE0EEENS1_30default_config_static_selectorELNS0_4arch9wavefront6targetE0EEEvSK_.num_agpr, 0
	.set _ZN7rocprim17ROCPRIM_400000_NS6detail17trampoline_kernelINS0_14default_configENS1_36segmented_radix_sort_config_selectorIblEEZNS1_25segmented_radix_sort_implIS3_Lb0EPKbPbPKlPlN2at6native12_GLOBAL__N_18offset_tEEE10hipError_tPvRmT1_PNSt15iterator_traitsISK_E10value_typeET2_T3_PNSL_ISQ_E10value_typeET4_jRbjT5_SW_jjP12ihipStream_tbEUlT_E_NS1_11comp_targetILNS1_3genE10ELNS1_11target_archE1201ELNS1_3gpuE5ELNS1_3repE0EEENS1_30default_config_static_selectorELNS0_4arch9wavefront6targetE0EEEvSK_.numbered_sgpr, 0
	.set _ZN7rocprim17ROCPRIM_400000_NS6detail17trampoline_kernelINS0_14default_configENS1_36segmented_radix_sort_config_selectorIblEEZNS1_25segmented_radix_sort_implIS3_Lb0EPKbPbPKlPlN2at6native12_GLOBAL__N_18offset_tEEE10hipError_tPvRmT1_PNSt15iterator_traitsISK_E10value_typeET2_T3_PNSL_ISQ_E10value_typeET4_jRbjT5_SW_jjP12ihipStream_tbEUlT_E_NS1_11comp_targetILNS1_3genE10ELNS1_11target_archE1201ELNS1_3gpuE5ELNS1_3repE0EEENS1_30default_config_static_selectorELNS0_4arch9wavefront6targetE0EEEvSK_.num_named_barrier, 0
	.set _ZN7rocprim17ROCPRIM_400000_NS6detail17trampoline_kernelINS0_14default_configENS1_36segmented_radix_sort_config_selectorIblEEZNS1_25segmented_radix_sort_implIS3_Lb0EPKbPbPKlPlN2at6native12_GLOBAL__N_18offset_tEEE10hipError_tPvRmT1_PNSt15iterator_traitsISK_E10value_typeET2_T3_PNSL_ISQ_E10value_typeET4_jRbjT5_SW_jjP12ihipStream_tbEUlT_E_NS1_11comp_targetILNS1_3genE10ELNS1_11target_archE1201ELNS1_3gpuE5ELNS1_3repE0EEENS1_30default_config_static_selectorELNS0_4arch9wavefront6targetE0EEEvSK_.private_seg_size, 0
	.set _ZN7rocprim17ROCPRIM_400000_NS6detail17trampoline_kernelINS0_14default_configENS1_36segmented_radix_sort_config_selectorIblEEZNS1_25segmented_radix_sort_implIS3_Lb0EPKbPbPKlPlN2at6native12_GLOBAL__N_18offset_tEEE10hipError_tPvRmT1_PNSt15iterator_traitsISK_E10value_typeET2_T3_PNSL_ISQ_E10value_typeET4_jRbjT5_SW_jjP12ihipStream_tbEUlT_E_NS1_11comp_targetILNS1_3genE10ELNS1_11target_archE1201ELNS1_3gpuE5ELNS1_3repE0EEENS1_30default_config_static_selectorELNS0_4arch9wavefront6targetE0EEEvSK_.uses_vcc, 0
	.set _ZN7rocprim17ROCPRIM_400000_NS6detail17trampoline_kernelINS0_14default_configENS1_36segmented_radix_sort_config_selectorIblEEZNS1_25segmented_radix_sort_implIS3_Lb0EPKbPbPKlPlN2at6native12_GLOBAL__N_18offset_tEEE10hipError_tPvRmT1_PNSt15iterator_traitsISK_E10value_typeET2_T3_PNSL_ISQ_E10value_typeET4_jRbjT5_SW_jjP12ihipStream_tbEUlT_E_NS1_11comp_targetILNS1_3genE10ELNS1_11target_archE1201ELNS1_3gpuE5ELNS1_3repE0EEENS1_30default_config_static_selectorELNS0_4arch9wavefront6targetE0EEEvSK_.uses_flat_scratch, 0
	.set _ZN7rocprim17ROCPRIM_400000_NS6detail17trampoline_kernelINS0_14default_configENS1_36segmented_radix_sort_config_selectorIblEEZNS1_25segmented_radix_sort_implIS3_Lb0EPKbPbPKlPlN2at6native12_GLOBAL__N_18offset_tEEE10hipError_tPvRmT1_PNSt15iterator_traitsISK_E10value_typeET2_T3_PNSL_ISQ_E10value_typeET4_jRbjT5_SW_jjP12ihipStream_tbEUlT_E_NS1_11comp_targetILNS1_3genE10ELNS1_11target_archE1201ELNS1_3gpuE5ELNS1_3repE0EEENS1_30default_config_static_selectorELNS0_4arch9wavefront6targetE0EEEvSK_.has_dyn_sized_stack, 0
	.set _ZN7rocprim17ROCPRIM_400000_NS6detail17trampoline_kernelINS0_14default_configENS1_36segmented_radix_sort_config_selectorIblEEZNS1_25segmented_radix_sort_implIS3_Lb0EPKbPbPKlPlN2at6native12_GLOBAL__N_18offset_tEEE10hipError_tPvRmT1_PNSt15iterator_traitsISK_E10value_typeET2_T3_PNSL_ISQ_E10value_typeET4_jRbjT5_SW_jjP12ihipStream_tbEUlT_E_NS1_11comp_targetILNS1_3genE10ELNS1_11target_archE1201ELNS1_3gpuE5ELNS1_3repE0EEENS1_30default_config_static_selectorELNS0_4arch9wavefront6targetE0EEEvSK_.has_recursion, 0
	.set _ZN7rocprim17ROCPRIM_400000_NS6detail17trampoline_kernelINS0_14default_configENS1_36segmented_radix_sort_config_selectorIblEEZNS1_25segmented_radix_sort_implIS3_Lb0EPKbPbPKlPlN2at6native12_GLOBAL__N_18offset_tEEE10hipError_tPvRmT1_PNSt15iterator_traitsISK_E10value_typeET2_T3_PNSL_ISQ_E10value_typeET4_jRbjT5_SW_jjP12ihipStream_tbEUlT_E_NS1_11comp_targetILNS1_3genE10ELNS1_11target_archE1201ELNS1_3gpuE5ELNS1_3repE0EEENS1_30default_config_static_selectorELNS0_4arch9wavefront6targetE0EEEvSK_.has_indirect_call, 0
	.section	.AMDGPU.csdata,"",@progbits
; Kernel info:
; codeLenInByte = 0
; TotalNumSgprs: 0
; NumVgprs: 0
; ScratchSize: 0
; MemoryBound: 0
; FloatMode: 240
; IeeeMode: 1
; LDSByteSize: 0 bytes/workgroup (compile time only)
; SGPRBlocks: 0
; VGPRBlocks: 0
; NumSGPRsForWavesPerEU: 1
; NumVGPRsForWavesPerEU: 1
; Occupancy: 16
; WaveLimiterHint : 0
; COMPUTE_PGM_RSRC2:SCRATCH_EN: 0
; COMPUTE_PGM_RSRC2:USER_SGPR: 6
; COMPUTE_PGM_RSRC2:TRAP_HANDLER: 0
; COMPUTE_PGM_RSRC2:TGID_X_EN: 1
; COMPUTE_PGM_RSRC2:TGID_Y_EN: 0
; COMPUTE_PGM_RSRC2:TGID_Z_EN: 0
; COMPUTE_PGM_RSRC2:TIDIG_COMP_CNT: 0
	.section	.text._ZN7rocprim17ROCPRIM_400000_NS6detail17trampoline_kernelINS0_14default_configENS1_36segmented_radix_sort_config_selectorIblEEZNS1_25segmented_radix_sort_implIS3_Lb0EPKbPbPKlPlN2at6native12_GLOBAL__N_18offset_tEEE10hipError_tPvRmT1_PNSt15iterator_traitsISK_E10value_typeET2_T3_PNSL_ISQ_E10value_typeET4_jRbjT5_SW_jjP12ihipStream_tbEUlT_E_NS1_11comp_targetILNS1_3genE10ELNS1_11target_archE1200ELNS1_3gpuE4ELNS1_3repE0EEENS1_30default_config_static_selectorELNS0_4arch9wavefront6targetE0EEEvSK_,"axG",@progbits,_ZN7rocprim17ROCPRIM_400000_NS6detail17trampoline_kernelINS0_14default_configENS1_36segmented_radix_sort_config_selectorIblEEZNS1_25segmented_radix_sort_implIS3_Lb0EPKbPbPKlPlN2at6native12_GLOBAL__N_18offset_tEEE10hipError_tPvRmT1_PNSt15iterator_traitsISK_E10value_typeET2_T3_PNSL_ISQ_E10value_typeET4_jRbjT5_SW_jjP12ihipStream_tbEUlT_E_NS1_11comp_targetILNS1_3genE10ELNS1_11target_archE1200ELNS1_3gpuE4ELNS1_3repE0EEENS1_30default_config_static_selectorELNS0_4arch9wavefront6targetE0EEEvSK_,comdat
	.globl	_ZN7rocprim17ROCPRIM_400000_NS6detail17trampoline_kernelINS0_14default_configENS1_36segmented_radix_sort_config_selectorIblEEZNS1_25segmented_radix_sort_implIS3_Lb0EPKbPbPKlPlN2at6native12_GLOBAL__N_18offset_tEEE10hipError_tPvRmT1_PNSt15iterator_traitsISK_E10value_typeET2_T3_PNSL_ISQ_E10value_typeET4_jRbjT5_SW_jjP12ihipStream_tbEUlT_E_NS1_11comp_targetILNS1_3genE10ELNS1_11target_archE1200ELNS1_3gpuE4ELNS1_3repE0EEENS1_30default_config_static_selectorELNS0_4arch9wavefront6targetE0EEEvSK_ ; -- Begin function _ZN7rocprim17ROCPRIM_400000_NS6detail17trampoline_kernelINS0_14default_configENS1_36segmented_radix_sort_config_selectorIblEEZNS1_25segmented_radix_sort_implIS3_Lb0EPKbPbPKlPlN2at6native12_GLOBAL__N_18offset_tEEE10hipError_tPvRmT1_PNSt15iterator_traitsISK_E10value_typeET2_T3_PNSL_ISQ_E10value_typeET4_jRbjT5_SW_jjP12ihipStream_tbEUlT_E_NS1_11comp_targetILNS1_3genE10ELNS1_11target_archE1200ELNS1_3gpuE4ELNS1_3repE0EEENS1_30default_config_static_selectorELNS0_4arch9wavefront6targetE0EEEvSK_
	.p2align	8
	.type	_ZN7rocprim17ROCPRIM_400000_NS6detail17trampoline_kernelINS0_14default_configENS1_36segmented_radix_sort_config_selectorIblEEZNS1_25segmented_radix_sort_implIS3_Lb0EPKbPbPKlPlN2at6native12_GLOBAL__N_18offset_tEEE10hipError_tPvRmT1_PNSt15iterator_traitsISK_E10value_typeET2_T3_PNSL_ISQ_E10value_typeET4_jRbjT5_SW_jjP12ihipStream_tbEUlT_E_NS1_11comp_targetILNS1_3genE10ELNS1_11target_archE1200ELNS1_3gpuE4ELNS1_3repE0EEENS1_30default_config_static_selectorELNS0_4arch9wavefront6targetE0EEEvSK_,@function
_ZN7rocprim17ROCPRIM_400000_NS6detail17trampoline_kernelINS0_14default_configENS1_36segmented_radix_sort_config_selectorIblEEZNS1_25segmented_radix_sort_implIS3_Lb0EPKbPbPKlPlN2at6native12_GLOBAL__N_18offset_tEEE10hipError_tPvRmT1_PNSt15iterator_traitsISK_E10value_typeET2_T3_PNSL_ISQ_E10value_typeET4_jRbjT5_SW_jjP12ihipStream_tbEUlT_E_NS1_11comp_targetILNS1_3genE10ELNS1_11target_archE1200ELNS1_3gpuE4ELNS1_3repE0EEENS1_30default_config_static_selectorELNS0_4arch9wavefront6targetE0EEEvSK_: ; @_ZN7rocprim17ROCPRIM_400000_NS6detail17trampoline_kernelINS0_14default_configENS1_36segmented_radix_sort_config_selectorIblEEZNS1_25segmented_radix_sort_implIS3_Lb0EPKbPbPKlPlN2at6native12_GLOBAL__N_18offset_tEEE10hipError_tPvRmT1_PNSt15iterator_traitsISK_E10value_typeET2_T3_PNSL_ISQ_E10value_typeET4_jRbjT5_SW_jjP12ihipStream_tbEUlT_E_NS1_11comp_targetILNS1_3genE10ELNS1_11target_archE1200ELNS1_3gpuE4ELNS1_3repE0EEENS1_30default_config_static_selectorELNS0_4arch9wavefront6targetE0EEEvSK_
; %bb.0:
	.section	.rodata,"a",@progbits
	.p2align	6, 0x0
	.amdhsa_kernel _ZN7rocprim17ROCPRIM_400000_NS6detail17trampoline_kernelINS0_14default_configENS1_36segmented_radix_sort_config_selectorIblEEZNS1_25segmented_radix_sort_implIS3_Lb0EPKbPbPKlPlN2at6native12_GLOBAL__N_18offset_tEEE10hipError_tPvRmT1_PNSt15iterator_traitsISK_E10value_typeET2_T3_PNSL_ISQ_E10value_typeET4_jRbjT5_SW_jjP12ihipStream_tbEUlT_E_NS1_11comp_targetILNS1_3genE10ELNS1_11target_archE1200ELNS1_3gpuE4ELNS1_3repE0EEENS1_30default_config_static_selectorELNS0_4arch9wavefront6targetE0EEEvSK_
		.amdhsa_group_segment_fixed_size 0
		.amdhsa_private_segment_fixed_size 0
		.amdhsa_kernarg_size 96
		.amdhsa_user_sgpr_count 6
		.amdhsa_user_sgpr_private_segment_buffer 1
		.amdhsa_user_sgpr_dispatch_ptr 0
		.amdhsa_user_sgpr_queue_ptr 0
		.amdhsa_user_sgpr_kernarg_segment_ptr 1
		.amdhsa_user_sgpr_dispatch_id 0
		.amdhsa_user_sgpr_flat_scratch_init 0
		.amdhsa_user_sgpr_private_segment_size 0
		.amdhsa_wavefront_size32 1
		.amdhsa_uses_dynamic_stack 0
		.amdhsa_system_sgpr_private_segment_wavefront_offset 0
		.amdhsa_system_sgpr_workgroup_id_x 1
		.amdhsa_system_sgpr_workgroup_id_y 0
		.amdhsa_system_sgpr_workgroup_id_z 0
		.amdhsa_system_sgpr_workgroup_info 0
		.amdhsa_system_vgpr_workitem_id 0
		.amdhsa_next_free_vgpr 1
		.amdhsa_next_free_sgpr 1
		.amdhsa_reserve_vcc 0
		.amdhsa_reserve_flat_scratch 0
		.amdhsa_float_round_mode_32 0
		.amdhsa_float_round_mode_16_64 0
		.amdhsa_float_denorm_mode_32 3
		.amdhsa_float_denorm_mode_16_64 3
		.amdhsa_dx10_clamp 1
		.amdhsa_ieee_mode 1
		.amdhsa_fp16_overflow 0
		.amdhsa_workgroup_processor_mode 1
		.amdhsa_memory_ordered 1
		.amdhsa_forward_progress 1
		.amdhsa_shared_vgpr_count 0
		.amdhsa_exception_fp_ieee_invalid_op 0
		.amdhsa_exception_fp_denorm_src 0
		.amdhsa_exception_fp_ieee_div_zero 0
		.amdhsa_exception_fp_ieee_overflow 0
		.amdhsa_exception_fp_ieee_underflow 0
		.amdhsa_exception_fp_ieee_inexact 0
		.amdhsa_exception_int_div_zero 0
	.end_amdhsa_kernel
	.section	.text._ZN7rocprim17ROCPRIM_400000_NS6detail17trampoline_kernelINS0_14default_configENS1_36segmented_radix_sort_config_selectorIblEEZNS1_25segmented_radix_sort_implIS3_Lb0EPKbPbPKlPlN2at6native12_GLOBAL__N_18offset_tEEE10hipError_tPvRmT1_PNSt15iterator_traitsISK_E10value_typeET2_T3_PNSL_ISQ_E10value_typeET4_jRbjT5_SW_jjP12ihipStream_tbEUlT_E_NS1_11comp_targetILNS1_3genE10ELNS1_11target_archE1200ELNS1_3gpuE4ELNS1_3repE0EEENS1_30default_config_static_selectorELNS0_4arch9wavefront6targetE0EEEvSK_,"axG",@progbits,_ZN7rocprim17ROCPRIM_400000_NS6detail17trampoline_kernelINS0_14default_configENS1_36segmented_radix_sort_config_selectorIblEEZNS1_25segmented_radix_sort_implIS3_Lb0EPKbPbPKlPlN2at6native12_GLOBAL__N_18offset_tEEE10hipError_tPvRmT1_PNSt15iterator_traitsISK_E10value_typeET2_T3_PNSL_ISQ_E10value_typeET4_jRbjT5_SW_jjP12ihipStream_tbEUlT_E_NS1_11comp_targetILNS1_3genE10ELNS1_11target_archE1200ELNS1_3gpuE4ELNS1_3repE0EEENS1_30default_config_static_selectorELNS0_4arch9wavefront6targetE0EEEvSK_,comdat
.Lfunc_end1632:
	.size	_ZN7rocprim17ROCPRIM_400000_NS6detail17trampoline_kernelINS0_14default_configENS1_36segmented_radix_sort_config_selectorIblEEZNS1_25segmented_radix_sort_implIS3_Lb0EPKbPbPKlPlN2at6native12_GLOBAL__N_18offset_tEEE10hipError_tPvRmT1_PNSt15iterator_traitsISK_E10value_typeET2_T3_PNSL_ISQ_E10value_typeET4_jRbjT5_SW_jjP12ihipStream_tbEUlT_E_NS1_11comp_targetILNS1_3genE10ELNS1_11target_archE1200ELNS1_3gpuE4ELNS1_3repE0EEENS1_30default_config_static_selectorELNS0_4arch9wavefront6targetE0EEEvSK_, .Lfunc_end1632-_ZN7rocprim17ROCPRIM_400000_NS6detail17trampoline_kernelINS0_14default_configENS1_36segmented_radix_sort_config_selectorIblEEZNS1_25segmented_radix_sort_implIS3_Lb0EPKbPbPKlPlN2at6native12_GLOBAL__N_18offset_tEEE10hipError_tPvRmT1_PNSt15iterator_traitsISK_E10value_typeET2_T3_PNSL_ISQ_E10value_typeET4_jRbjT5_SW_jjP12ihipStream_tbEUlT_E_NS1_11comp_targetILNS1_3genE10ELNS1_11target_archE1200ELNS1_3gpuE4ELNS1_3repE0EEENS1_30default_config_static_selectorELNS0_4arch9wavefront6targetE0EEEvSK_
                                        ; -- End function
	.set _ZN7rocprim17ROCPRIM_400000_NS6detail17trampoline_kernelINS0_14default_configENS1_36segmented_radix_sort_config_selectorIblEEZNS1_25segmented_radix_sort_implIS3_Lb0EPKbPbPKlPlN2at6native12_GLOBAL__N_18offset_tEEE10hipError_tPvRmT1_PNSt15iterator_traitsISK_E10value_typeET2_T3_PNSL_ISQ_E10value_typeET4_jRbjT5_SW_jjP12ihipStream_tbEUlT_E_NS1_11comp_targetILNS1_3genE10ELNS1_11target_archE1200ELNS1_3gpuE4ELNS1_3repE0EEENS1_30default_config_static_selectorELNS0_4arch9wavefront6targetE0EEEvSK_.num_vgpr, 0
	.set _ZN7rocprim17ROCPRIM_400000_NS6detail17trampoline_kernelINS0_14default_configENS1_36segmented_radix_sort_config_selectorIblEEZNS1_25segmented_radix_sort_implIS3_Lb0EPKbPbPKlPlN2at6native12_GLOBAL__N_18offset_tEEE10hipError_tPvRmT1_PNSt15iterator_traitsISK_E10value_typeET2_T3_PNSL_ISQ_E10value_typeET4_jRbjT5_SW_jjP12ihipStream_tbEUlT_E_NS1_11comp_targetILNS1_3genE10ELNS1_11target_archE1200ELNS1_3gpuE4ELNS1_3repE0EEENS1_30default_config_static_selectorELNS0_4arch9wavefront6targetE0EEEvSK_.num_agpr, 0
	.set _ZN7rocprim17ROCPRIM_400000_NS6detail17trampoline_kernelINS0_14default_configENS1_36segmented_radix_sort_config_selectorIblEEZNS1_25segmented_radix_sort_implIS3_Lb0EPKbPbPKlPlN2at6native12_GLOBAL__N_18offset_tEEE10hipError_tPvRmT1_PNSt15iterator_traitsISK_E10value_typeET2_T3_PNSL_ISQ_E10value_typeET4_jRbjT5_SW_jjP12ihipStream_tbEUlT_E_NS1_11comp_targetILNS1_3genE10ELNS1_11target_archE1200ELNS1_3gpuE4ELNS1_3repE0EEENS1_30default_config_static_selectorELNS0_4arch9wavefront6targetE0EEEvSK_.numbered_sgpr, 0
	.set _ZN7rocprim17ROCPRIM_400000_NS6detail17trampoline_kernelINS0_14default_configENS1_36segmented_radix_sort_config_selectorIblEEZNS1_25segmented_radix_sort_implIS3_Lb0EPKbPbPKlPlN2at6native12_GLOBAL__N_18offset_tEEE10hipError_tPvRmT1_PNSt15iterator_traitsISK_E10value_typeET2_T3_PNSL_ISQ_E10value_typeET4_jRbjT5_SW_jjP12ihipStream_tbEUlT_E_NS1_11comp_targetILNS1_3genE10ELNS1_11target_archE1200ELNS1_3gpuE4ELNS1_3repE0EEENS1_30default_config_static_selectorELNS0_4arch9wavefront6targetE0EEEvSK_.num_named_barrier, 0
	.set _ZN7rocprim17ROCPRIM_400000_NS6detail17trampoline_kernelINS0_14default_configENS1_36segmented_radix_sort_config_selectorIblEEZNS1_25segmented_radix_sort_implIS3_Lb0EPKbPbPKlPlN2at6native12_GLOBAL__N_18offset_tEEE10hipError_tPvRmT1_PNSt15iterator_traitsISK_E10value_typeET2_T3_PNSL_ISQ_E10value_typeET4_jRbjT5_SW_jjP12ihipStream_tbEUlT_E_NS1_11comp_targetILNS1_3genE10ELNS1_11target_archE1200ELNS1_3gpuE4ELNS1_3repE0EEENS1_30default_config_static_selectorELNS0_4arch9wavefront6targetE0EEEvSK_.private_seg_size, 0
	.set _ZN7rocprim17ROCPRIM_400000_NS6detail17trampoline_kernelINS0_14default_configENS1_36segmented_radix_sort_config_selectorIblEEZNS1_25segmented_radix_sort_implIS3_Lb0EPKbPbPKlPlN2at6native12_GLOBAL__N_18offset_tEEE10hipError_tPvRmT1_PNSt15iterator_traitsISK_E10value_typeET2_T3_PNSL_ISQ_E10value_typeET4_jRbjT5_SW_jjP12ihipStream_tbEUlT_E_NS1_11comp_targetILNS1_3genE10ELNS1_11target_archE1200ELNS1_3gpuE4ELNS1_3repE0EEENS1_30default_config_static_selectorELNS0_4arch9wavefront6targetE0EEEvSK_.uses_vcc, 0
	.set _ZN7rocprim17ROCPRIM_400000_NS6detail17trampoline_kernelINS0_14default_configENS1_36segmented_radix_sort_config_selectorIblEEZNS1_25segmented_radix_sort_implIS3_Lb0EPKbPbPKlPlN2at6native12_GLOBAL__N_18offset_tEEE10hipError_tPvRmT1_PNSt15iterator_traitsISK_E10value_typeET2_T3_PNSL_ISQ_E10value_typeET4_jRbjT5_SW_jjP12ihipStream_tbEUlT_E_NS1_11comp_targetILNS1_3genE10ELNS1_11target_archE1200ELNS1_3gpuE4ELNS1_3repE0EEENS1_30default_config_static_selectorELNS0_4arch9wavefront6targetE0EEEvSK_.uses_flat_scratch, 0
	.set _ZN7rocprim17ROCPRIM_400000_NS6detail17trampoline_kernelINS0_14default_configENS1_36segmented_radix_sort_config_selectorIblEEZNS1_25segmented_radix_sort_implIS3_Lb0EPKbPbPKlPlN2at6native12_GLOBAL__N_18offset_tEEE10hipError_tPvRmT1_PNSt15iterator_traitsISK_E10value_typeET2_T3_PNSL_ISQ_E10value_typeET4_jRbjT5_SW_jjP12ihipStream_tbEUlT_E_NS1_11comp_targetILNS1_3genE10ELNS1_11target_archE1200ELNS1_3gpuE4ELNS1_3repE0EEENS1_30default_config_static_selectorELNS0_4arch9wavefront6targetE0EEEvSK_.has_dyn_sized_stack, 0
	.set _ZN7rocprim17ROCPRIM_400000_NS6detail17trampoline_kernelINS0_14default_configENS1_36segmented_radix_sort_config_selectorIblEEZNS1_25segmented_radix_sort_implIS3_Lb0EPKbPbPKlPlN2at6native12_GLOBAL__N_18offset_tEEE10hipError_tPvRmT1_PNSt15iterator_traitsISK_E10value_typeET2_T3_PNSL_ISQ_E10value_typeET4_jRbjT5_SW_jjP12ihipStream_tbEUlT_E_NS1_11comp_targetILNS1_3genE10ELNS1_11target_archE1200ELNS1_3gpuE4ELNS1_3repE0EEENS1_30default_config_static_selectorELNS0_4arch9wavefront6targetE0EEEvSK_.has_recursion, 0
	.set _ZN7rocprim17ROCPRIM_400000_NS6detail17trampoline_kernelINS0_14default_configENS1_36segmented_radix_sort_config_selectorIblEEZNS1_25segmented_radix_sort_implIS3_Lb0EPKbPbPKlPlN2at6native12_GLOBAL__N_18offset_tEEE10hipError_tPvRmT1_PNSt15iterator_traitsISK_E10value_typeET2_T3_PNSL_ISQ_E10value_typeET4_jRbjT5_SW_jjP12ihipStream_tbEUlT_E_NS1_11comp_targetILNS1_3genE10ELNS1_11target_archE1200ELNS1_3gpuE4ELNS1_3repE0EEENS1_30default_config_static_selectorELNS0_4arch9wavefront6targetE0EEEvSK_.has_indirect_call, 0
	.section	.AMDGPU.csdata,"",@progbits
; Kernel info:
; codeLenInByte = 0
; TotalNumSgprs: 0
; NumVgprs: 0
; ScratchSize: 0
; MemoryBound: 0
; FloatMode: 240
; IeeeMode: 1
; LDSByteSize: 0 bytes/workgroup (compile time only)
; SGPRBlocks: 0
; VGPRBlocks: 0
; NumSGPRsForWavesPerEU: 1
; NumVGPRsForWavesPerEU: 1
; Occupancy: 16
; WaveLimiterHint : 0
; COMPUTE_PGM_RSRC2:SCRATCH_EN: 0
; COMPUTE_PGM_RSRC2:USER_SGPR: 6
; COMPUTE_PGM_RSRC2:TRAP_HANDLER: 0
; COMPUTE_PGM_RSRC2:TGID_X_EN: 1
; COMPUTE_PGM_RSRC2:TGID_Y_EN: 0
; COMPUTE_PGM_RSRC2:TGID_Z_EN: 0
; COMPUTE_PGM_RSRC2:TIDIG_COMP_CNT: 0
	.section	.text._ZN7rocprim17ROCPRIM_400000_NS6detail17trampoline_kernelINS0_14default_configENS1_36segmented_radix_sort_config_selectorIblEEZNS1_25segmented_radix_sort_implIS3_Lb0EPKbPbPKlPlN2at6native12_GLOBAL__N_18offset_tEEE10hipError_tPvRmT1_PNSt15iterator_traitsISK_E10value_typeET2_T3_PNSL_ISQ_E10value_typeET4_jRbjT5_SW_jjP12ihipStream_tbEUlT_E_NS1_11comp_targetILNS1_3genE9ELNS1_11target_archE1100ELNS1_3gpuE3ELNS1_3repE0EEENS1_30default_config_static_selectorELNS0_4arch9wavefront6targetE0EEEvSK_,"axG",@progbits,_ZN7rocprim17ROCPRIM_400000_NS6detail17trampoline_kernelINS0_14default_configENS1_36segmented_radix_sort_config_selectorIblEEZNS1_25segmented_radix_sort_implIS3_Lb0EPKbPbPKlPlN2at6native12_GLOBAL__N_18offset_tEEE10hipError_tPvRmT1_PNSt15iterator_traitsISK_E10value_typeET2_T3_PNSL_ISQ_E10value_typeET4_jRbjT5_SW_jjP12ihipStream_tbEUlT_E_NS1_11comp_targetILNS1_3genE9ELNS1_11target_archE1100ELNS1_3gpuE3ELNS1_3repE0EEENS1_30default_config_static_selectorELNS0_4arch9wavefront6targetE0EEEvSK_,comdat
	.globl	_ZN7rocprim17ROCPRIM_400000_NS6detail17trampoline_kernelINS0_14default_configENS1_36segmented_radix_sort_config_selectorIblEEZNS1_25segmented_radix_sort_implIS3_Lb0EPKbPbPKlPlN2at6native12_GLOBAL__N_18offset_tEEE10hipError_tPvRmT1_PNSt15iterator_traitsISK_E10value_typeET2_T3_PNSL_ISQ_E10value_typeET4_jRbjT5_SW_jjP12ihipStream_tbEUlT_E_NS1_11comp_targetILNS1_3genE9ELNS1_11target_archE1100ELNS1_3gpuE3ELNS1_3repE0EEENS1_30default_config_static_selectorELNS0_4arch9wavefront6targetE0EEEvSK_ ; -- Begin function _ZN7rocprim17ROCPRIM_400000_NS6detail17trampoline_kernelINS0_14default_configENS1_36segmented_radix_sort_config_selectorIblEEZNS1_25segmented_radix_sort_implIS3_Lb0EPKbPbPKlPlN2at6native12_GLOBAL__N_18offset_tEEE10hipError_tPvRmT1_PNSt15iterator_traitsISK_E10value_typeET2_T3_PNSL_ISQ_E10value_typeET4_jRbjT5_SW_jjP12ihipStream_tbEUlT_E_NS1_11comp_targetILNS1_3genE9ELNS1_11target_archE1100ELNS1_3gpuE3ELNS1_3repE0EEENS1_30default_config_static_selectorELNS0_4arch9wavefront6targetE0EEEvSK_
	.p2align	8
	.type	_ZN7rocprim17ROCPRIM_400000_NS6detail17trampoline_kernelINS0_14default_configENS1_36segmented_radix_sort_config_selectorIblEEZNS1_25segmented_radix_sort_implIS3_Lb0EPKbPbPKlPlN2at6native12_GLOBAL__N_18offset_tEEE10hipError_tPvRmT1_PNSt15iterator_traitsISK_E10value_typeET2_T3_PNSL_ISQ_E10value_typeET4_jRbjT5_SW_jjP12ihipStream_tbEUlT_E_NS1_11comp_targetILNS1_3genE9ELNS1_11target_archE1100ELNS1_3gpuE3ELNS1_3repE0EEENS1_30default_config_static_selectorELNS0_4arch9wavefront6targetE0EEEvSK_,@function
_ZN7rocprim17ROCPRIM_400000_NS6detail17trampoline_kernelINS0_14default_configENS1_36segmented_radix_sort_config_selectorIblEEZNS1_25segmented_radix_sort_implIS3_Lb0EPKbPbPKlPlN2at6native12_GLOBAL__N_18offset_tEEE10hipError_tPvRmT1_PNSt15iterator_traitsISK_E10value_typeET2_T3_PNSL_ISQ_E10value_typeET4_jRbjT5_SW_jjP12ihipStream_tbEUlT_E_NS1_11comp_targetILNS1_3genE9ELNS1_11target_archE1100ELNS1_3gpuE3ELNS1_3repE0EEENS1_30default_config_static_selectorELNS0_4arch9wavefront6targetE0EEEvSK_: ; @_ZN7rocprim17ROCPRIM_400000_NS6detail17trampoline_kernelINS0_14default_configENS1_36segmented_radix_sort_config_selectorIblEEZNS1_25segmented_radix_sort_implIS3_Lb0EPKbPbPKlPlN2at6native12_GLOBAL__N_18offset_tEEE10hipError_tPvRmT1_PNSt15iterator_traitsISK_E10value_typeET2_T3_PNSL_ISQ_E10value_typeET4_jRbjT5_SW_jjP12ihipStream_tbEUlT_E_NS1_11comp_targetILNS1_3genE9ELNS1_11target_archE1100ELNS1_3gpuE3ELNS1_3repE0EEENS1_30default_config_static_selectorELNS0_4arch9wavefront6targetE0EEEvSK_
; %bb.0:
	.section	.rodata,"a",@progbits
	.p2align	6, 0x0
	.amdhsa_kernel _ZN7rocprim17ROCPRIM_400000_NS6detail17trampoline_kernelINS0_14default_configENS1_36segmented_radix_sort_config_selectorIblEEZNS1_25segmented_radix_sort_implIS3_Lb0EPKbPbPKlPlN2at6native12_GLOBAL__N_18offset_tEEE10hipError_tPvRmT1_PNSt15iterator_traitsISK_E10value_typeET2_T3_PNSL_ISQ_E10value_typeET4_jRbjT5_SW_jjP12ihipStream_tbEUlT_E_NS1_11comp_targetILNS1_3genE9ELNS1_11target_archE1100ELNS1_3gpuE3ELNS1_3repE0EEENS1_30default_config_static_selectorELNS0_4arch9wavefront6targetE0EEEvSK_
		.amdhsa_group_segment_fixed_size 0
		.amdhsa_private_segment_fixed_size 0
		.amdhsa_kernarg_size 96
		.amdhsa_user_sgpr_count 6
		.amdhsa_user_sgpr_private_segment_buffer 1
		.amdhsa_user_sgpr_dispatch_ptr 0
		.amdhsa_user_sgpr_queue_ptr 0
		.amdhsa_user_sgpr_kernarg_segment_ptr 1
		.amdhsa_user_sgpr_dispatch_id 0
		.amdhsa_user_sgpr_flat_scratch_init 0
		.amdhsa_user_sgpr_private_segment_size 0
		.amdhsa_wavefront_size32 1
		.amdhsa_uses_dynamic_stack 0
		.amdhsa_system_sgpr_private_segment_wavefront_offset 0
		.amdhsa_system_sgpr_workgroup_id_x 1
		.amdhsa_system_sgpr_workgroup_id_y 0
		.amdhsa_system_sgpr_workgroup_id_z 0
		.amdhsa_system_sgpr_workgroup_info 0
		.amdhsa_system_vgpr_workitem_id 0
		.amdhsa_next_free_vgpr 1
		.amdhsa_next_free_sgpr 1
		.amdhsa_reserve_vcc 0
		.amdhsa_reserve_flat_scratch 0
		.amdhsa_float_round_mode_32 0
		.amdhsa_float_round_mode_16_64 0
		.amdhsa_float_denorm_mode_32 3
		.amdhsa_float_denorm_mode_16_64 3
		.amdhsa_dx10_clamp 1
		.amdhsa_ieee_mode 1
		.amdhsa_fp16_overflow 0
		.amdhsa_workgroup_processor_mode 1
		.amdhsa_memory_ordered 1
		.amdhsa_forward_progress 1
		.amdhsa_shared_vgpr_count 0
		.amdhsa_exception_fp_ieee_invalid_op 0
		.amdhsa_exception_fp_denorm_src 0
		.amdhsa_exception_fp_ieee_div_zero 0
		.amdhsa_exception_fp_ieee_overflow 0
		.amdhsa_exception_fp_ieee_underflow 0
		.amdhsa_exception_fp_ieee_inexact 0
		.amdhsa_exception_int_div_zero 0
	.end_amdhsa_kernel
	.section	.text._ZN7rocprim17ROCPRIM_400000_NS6detail17trampoline_kernelINS0_14default_configENS1_36segmented_radix_sort_config_selectorIblEEZNS1_25segmented_radix_sort_implIS3_Lb0EPKbPbPKlPlN2at6native12_GLOBAL__N_18offset_tEEE10hipError_tPvRmT1_PNSt15iterator_traitsISK_E10value_typeET2_T3_PNSL_ISQ_E10value_typeET4_jRbjT5_SW_jjP12ihipStream_tbEUlT_E_NS1_11comp_targetILNS1_3genE9ELNS1_11target_archE1100ELNS1_3gpuE3ELNS1_3repE0EEENS1_30default_config_static_selectorELNS0_4arch9wavefront6targetE0EEEvSK_,"axG",@progbits,_ZN7rocprim17ROCPRIM_400000_NS6detail17trampoline_kernelINS0_14default_configENS1_36segmented_radix_sort_config_selectorIblEEZNS1_25segmented_radix_sort_implIS3_Lb0EPKbPbPKlPlN2at6native12_GLOBAL__N_18offset_tEEE10hipError_tPvRmT1_PNSt15iterator_traitsISK_E10value_typeET2_T3_PNSL_ISQ_E10value_typeET4_jRbjT5_SW_jjP12ihipStream_tbEUlT_E_NS1_11comp_targetILNS1_3genE9ELNS1_11target_archE1100ELNS1_3gpuE3ELNS1_3repE0EEENS1_30default_config_static_selectorELNS0_4arch9wavefront6targetE0EEEvSK_,comdat
.Lfunc_end1633:
	.size	_ZN7rocprim17ROCPRIM_400000_NS6detail17trampoline_kernelINS0_14default_configENS1_36segmented_radix_sort_config_selectorIblEEZNS1_25segmented_radix_sort_implIS3_Lb0EPKbPbPKlPlN2at6native12_GLOBAL__N_18offset_tEEE10hipError_tPvRmT1_PNSt15iterator_traitsISK_E10value_typeET2_T3_PNSL_ISQ_E10value_typeET4_jRbjT5_SW_jjP12ihipStream_tbEUlT_E_NS1_11comp_targetILNS1_3genE9ELNS1_11target_archE1100ELNS1_3gpuE3ELNS1_3repE0EEENS1_30default_config_static_selectorELNS0_4arch9wavefront6targetE0EEEvSK_, .Lfunc_end1633-_ZN7rocprim17ROCPRIM_400000_NS6detail17trampoline_kernelINS0_14default_configENS1_36segmented_radix_sort_config_selectorIblEEZNS1_25segmented_radix_sort_implIS3_Lb0EPKbPbPKlPlN2at6native12_GLOBAL__N_18offset_tEEE10hipError_tPvRmT1_PNSt15iterator_traitsISK_E10value_typeET2_T3_PNSL_ISQ_E10value_typeET4_jRbjT5_SW_jjP12ihipStream_tbEUlT_E_NS1_11comp_targetILNS1_3genE9ELNS1_11target_archE1100ELNS1_3gpuE3ELNS1_3repE0EEENS1_30default_config_static_selectorELNS0_4arch9wavefront6targetE0EEEvSK_
                                        ; -- End function
	.set _ZN7rocprim17ROCPRIM_400000_NS6detail17trampoline_kernelINS0_14default_configENS1_36segmented_radix_sort_config_selectorIblEEZNS1_25segmented_radix_sort_implIS3_Lb0EPKbPbPKlPlN2at6native12_GLOBAL__N_18offset_tEEE10hipError_tPvRmT1_PNSt15iterator_traitsISK_E10value_typeET2_T3_PNSL_ISQ_E10value_typeET4_jRbjT5_SW_jjP12ihipStream_tbEUlT_E_NS1_11comp_targetILNS1_3genE9ELNS1_11target_archE1100ELNS1_3gpuE3ELNS1_3repE0EEENS1_30default_config_static_selectorELNS0_4arch9wavefront6targetE0EEEvSK_.num_vgpr, 0
	.set _ZN7rocprim17ROCPRIM_400000_NS6detail17trampoline_kernelINS0_14default_configENS1_36segmented_radix_sort_config_selectorIblEEZNS1_25segmented_radix_sort_implIS3_Lb0EPKbPbPKlPlN2at6native12_GLOBAL__N_18offset_tEEE10hipError_tPvRmT1_PNSt15iterator_traitsISK_E10value_typeET2_T3_PNSL_ISQ_E10value_typeET4_jRbjT5_SW_jjP12ihipStream_tbEUlT_E_NS1_11comp_targetILNS1_3genE9ELNS1_11target_archE1100ELNS1_3gpuE3ELNS1_3repE0EEENS1_30default_config_static_selectorELNS0_4arch9wavefront6targetE0EEEvSK_.num_agpr, 0
	.set _ZN7rocprim17ROCPRIM_400000_NS6detail17trampoline_kernelINS0_14default_configENS1_36segmented_radix_sort_config_selectorIblEEZNS1_25segmented_radix_sort_implIS3_Lb0EPKbPbPKlPlN2at6native12_GLOBAL__N_18offset_tEEE10hipError_tPvRmT1_PNSt15iterator_traitsISK_E10value_typeET2_T3_PNSL_ISQ_E10value_typeET4_jRbjT5_SW_jjP12ihipStream_tbEUlT_E_NS1_11comp_targetILNS1_3genE9ELNS1_11target_archE1100ELNS1_3gpuE3ELNS1_3repE0EEENS1_30default_config_static_selectorELNS0_4arch9wavefront6targetE0EEEvSK_.numbered_sgpr, 0
	.set _ZN7rocprim17ROCPRIM_400000_NS6detail17trampoline_kernelINS0_14default_configENS1_36segmented_radix_sort_config_selectorIblEEZNS1_25segmented_radix_sort_implIS3_Lb0EPKbPbPKlPlN2at6native12_GLOBAL__N_18offset_tEEE10hipError_tPvRmT1_PNSt15iterator_traitsISK_E10value_typeET2_T3_PNSL_ISQ_E10value_typeET4_jRbjT5_SW_jjP12ihipStream_tbEUlT_E_NS1_11comp_targetILNS1_3genE9ELNS1_11target_archE1100ELNS1_3gpuE3ELNS1_3repE0EEENS1_30default_config_static_selectorELNS0_4arch9wavefront6targetE0EEEvSK_.num_named_barrier, 0
	.set _ZN7rocprim17ROCPRIM_400000_NS6detail17trampoline_kernelINS0_14default_configENS1_36segmented_radix_sort_config_selectorIblEEZNS1_25segmented_radix_sort_implIS3_Lb0EPKbPbPKlPlN2at6native12_GLOBAL__N_18offset_tEEE10hipError_tPvRmT1_PNSt15iterator_traitsISK_E10value_typeET2_T3_PNSL_ISQ_E10value_typeET4_jRbjT5_SW_jjP12ihipStream_tbEUlT_E_NS1_11comp_targetILNS1_3genE9ELNS1_11target_archE1100ELNS1_3gpuE3ELNS1_3repE0EEENS1_30default_config_static_selectorELNS0_4arch9wavefront6targetE0EEEvSK_.private_seg_size, 0
	.set _ZN7rocprim17ROCPRIM_400000_NS6detail17trampoline_kernelINS0_14default_configENS1_36segmented_radix_sort_config_selectorIblEEZNS1_25segmented_radix_sort_implIS3_Lb0EPKbPbPKlPlN2at6native12_GLOBAL__N_18offset_tEEE10hipError_tPvRmT1_PNSt15iterator_traitsISK_E10value_typeET2_T3_PNSL_ISQ_E10value_typeET4_jRbjT5_SW_jjP12ihipStream_tbEUlT_E_NS1_11comp_targetILNS1_3genE9ELNS1_11target_archE1100ELNS1_3gpuE3ELNS1_3repE0EEENS1_30default_config_static_selectorELNS0_4arch9wavefront6targetE0EEEvSK_.uses_vcc, 0
	.set _ZN7rocprim17ROCPRIM_400000_NS6detail17trampoline_kernelINS0_14default_configENS1_36segmented_radix_sort_config_selectorIblEEZNS1_25segmented_radix_sort_implIS3_Lb0EPKbPbPKlPlN2at6native12_GLOBAL__N_18offset_tEEE10hipError_tPvRmT1_PNSt15iterator_traitsISK_E10value_typeET2_T3_PNSL_ISQ_E10value_typeET4_jRbjT5_SW_jjP12ihipStream_tbEUlT_E_NS1_11comp_targetILNS1_3genE9ELNS1_11target_archE1100ELNS1_3gpuE3ELNS1_3repE0EEENS1_30default_config_static_selectorELNS0_4arch9wavefront6targetE0EEEvSK_.uses_flat_scratch, 0
	.set _ZN7rocprim17ROCPRIM_400000_NS6detail17trampoline_kernelINS0_14default_configENS1_36segmented_radix_sort_config_selectorIblEEZNS1_25segmented_radix_sort_implIS3_Lb0EPKbPbPKlPlN2at6native12_GLOBAL__N_18offset_tEEE10hipError_tPvRmT1_PNSt15iterator_traitsISK_E10value_typeET2_T3_PNSL_ISQ_E10value_typeET4_jRbjT5_SW_jjP12ihipStream_tbEUlT_E_NS1_11comp_targetILNS1_3genE9ELNS1_11target_archE1100ELNS1_3gpuE3ELNS1_3repE0EEENS1_30default_config_static_selectorELNS0_4arch9wavefront6targetE0EEEvSK_.has_dyn_sized_stack, 0
	.set _ZN7rocprim17ROCPRIM_400000_NS6detail17trampoline_kernelINS0_14default_configENS1_36segmented_radix_sort_config_selectorIblEEZNS1_25segmented_radix_sort_implIS3_Lb0EPKbPbPKlPlN2at6native12_GLOBAL__N_18offset_tEEE10hipError_tPvRmT1_PNSt15iterator_traitsISK_E10value_typeET2_T3_PNSL_ISQ_E10value_typeET4_jRbjT5_SW_jjP12ihipStream_tbEUlT_E_NS1_11comp_targetILNS1_3genE9ELNS1_11target_archE1100ELNS1_3gpuE3ELNS1_3repE0EEENS1_30default_config_static_selectorELNS0_4arch9wavefront6targetE0EEEvSK_.has_recursion, 0
	.set _ZN7rocprim17ROCPRIM_400000_NS6detail17trampoline_kernelINS0_14default_configENS1_36segmented_radix_sort_config_selectorIblEEZNS1_25segmented_radix_sort_implIS3_Lb0EPKbPbPKlPlN2at6native12_GLOBAL__N_18offset_tEEE10hipError_tPvRmT1_PNSt15iterator_traitsISK_E10value_typeET2_T3_PNSL_ISQ_E10value_typeET4_jRbjT5_SW_jjP12ihipStream_tbEUlT_E_NS1_11comp_targetILNS1_3genE9ELNS1_11target_archE1100ELNS1_3gpuE3ELNS1_3repE0EEENS1_30default_config_static_selectorELNS0_4arch9wavefront6targetE0EEEvSK_.has_indirect_call, 0
	.section	.AMDGPU.csdata,"",@progbits
; Kernel info:
; codeLenInByte = 0
; TotalNumSgprs: 0
; NumVgprs: 0
; ScratchSize: 0
; MemoryBound: 0
; FloatMode: 240
; IeeeMode: 1
; LDSByteSize: 0 bytes/workgroup (compile time only)
; SGPRBlocks: 0
; VGPRBlocks: 0
; NumSGPRsForWavesPerEU: 1
; NumVGPRsForWavesPerEU: 1
; Occupancy: 16
; WaveLimiterHint : 0
; COMPUTE_PGM_RSRC2:SCRATCH_EN: 0
; COMPUTE_PGM_RSRC2:USER_SGPR: 6
; COMPUTE_PGM_RSRC2:TRAP_HANDLER: 0
; COMPUTE_PGM_RSRC2:TGID_X_EN: 1
; COMPUTE_PGM_RSRC2:TGID_Y_EN: 0
; COMPUTE_PGM_RSRC2:TGID_Z_EN: 0
; COMPUTE_PGM_RSRC2:TIDIG_COMP_CNT: 0
	.text
	.p2align	2                               ; -- Begin function _ZN7rocprim17ROCPRIM_400000_NS6detail40segmented_radix_sort_single_block_helperIblLj256ELj17ELb0EE4sortIPKbPbPKlPlEEbT_T0_T1_T2_jjjjRNS3_12storage_typeE
	.type	_ZN7rocprim17ROCPRIM_400000_NS6detail40segmented_radix_sort_single_block_helperIblLj256ELj17ELb0EE4sortIPKbPbPKlPlEEbT_T0_T1_T2_jjjjRNS3_12storage_typeE,@function
_ZN7rocprim17ROCPRIM_400000_NS6detail40segmented_radix_sort_single_block_helperIblLj256ELj17ELb0EE4sortIPKbPbPKlPlEEbT_T0_T1_T2_jjjjRNS3_12storage_typeE: ; @_ZN7rocprim17ROCPRIM_400000_NS6detail40segmented_radix_sort_single_block_helperIblLj256ELj17ELb0EE4sortIPKbPbPKlPlEEbT_T0_T1_T2_jjjjRNS3_12storage_typeE
; %bb.0:
	s_waitcnt vmcnt(0) expcnt(0) lgkmcnt(0)
	buffer_store_dword v40, off, s[0:3], s32 offset:188 ; 4-byte Folded Spill
	buffer_store_dword v41, off, s[0:3], s32 offset:184 ; 4-byte Folded Spill
	;; [unrolled: 1-line block ×47, first 2 shown]
	buffer_store_dword v127, off, s[0:3], s32 ; 4-byte Folded Spill
	v_sub_nc_u32_e32 v210, v9, v8
	s_mov_b32 s25, exec_lo
	v_cmpx_gt_u32_e32 0x1101, v210
	s_cbranch_execz .LBB1634_382
; %bb.1:
	v_bfe_u32 v15, v31, 10, 10
	v_bfe_u32 v16, v31, 20, 10
	v_and_b32_e32 v14, 0x3ff, v31
	v_mbcnt_lo_u32_b32 v54, -1, 0
	s_mov_b32 s4, exec_lo
	v_cmpx_lt_u32_e32 0x800, v210
	s_xor_b32 s26, exec_lo, s4
	s_cbranch_execz .LBB1634_151
; %bb.2:
	s_load_dwordx2 s[4:5], s[8:9], 0x0
	v_mov_b32_e32 v9, 0
	v_add_co_u32 v19, vcc_lo, v0, v8
	v_add_co_ci_u32_e64 v20, null, 0, v1, vcc_lo
	v_mov_b32_e32 v229, 1
	v_mov_b32_e32 v230, 1
	;; [unrolled: 1-line block ×14, first 2 shown]
	s_waitcnt lgkmcnt(0)
	s_cmp_lt_u32 s13, s5
	v_mov_b32_e32 v212, 1
	s_cselect_b32 s5, 14, 20
	s_add_u32 s6, s8, s5
	s_addc_u32 s7, s9, 0
	s_cmp_lt_u32 s12, s4
	global_load_ushort v17, v9, s[6:7]
	s_cselect_b32 s4, 12, 18
	s_add_u32 s4, s8, s4
	s_addc_u32 s5, s9, 0
	global_load_ushort v18, v9, s[4:5]
	s_waitcnt vmcnt(1)
	v_mad_u32_u24 v0, v16, v17, v15
	v_add_co_u32 v17, vcc_lo, v19, v54
	v_mov_b32_e32 v16, v9
	s_waitcnt vmcnt(0)
	v_mad_u64_u32 v[0:1], null, v0, v18, v[14:15]
	v_add_co_ci_u32_e64 v18, null, 0, v20, vcc_lo
	v_mov_b32_e32 v1, 1
	v_and_b32_e32 v15, 0xffffffe0, v0
	v_lshl_add_u32 v15, v15, 4, v15
	v_or_b32_e32 v19, v15, v54
	v_add_co_u32 v17, vcc_lo, v17, v15
	v_add_co_ci_u32_e64 v18, null, 0, v18, vcc_lo
	v_cmp_lt_u32_e32 vcc_lo, v19, v210
	s_and_saveexec_b32 s4, vcc_lo
	s_cbranch_execz .LBB1634_4
; %bb.3:
	flat_load_ubyte v230, v[17:18]
	v_mov_b32_e32 v231, 1
	v_mov_b32_e32 v224, 1
	;; [unrolled: 1-line block ×14, first 2 shown]
.LBB1634_4:
	s_or_b32 exec_lo, exec_lo, s4
	v_add_nc_u32_e32 v20, 32, v19
	v_mov_b32_e32 v240, v229
	v_cmp_lt_u32_e64 s4, v20, v210
	s_and_saveexec_b32 s5, s4
	s_cbranch_execz .LBB1634_6
; %bb.5:
	flat_load_ubyte v240, v[17:18] offset:32
.LBB1634_6:
	s_or_b32 exec_lo, exec_lo, s5
	v_add_nc_u32_e32 v20, 64, v19
	v_cmp_lt_u32_e64 s5, v20, v210
	s_and_saveexec_b32 s6, s5
	s_cbranch_execz .LBB1634_8
; %bb.7:
	flat_load_ubyte v229, v[17:18] offset:64
.LBB1634_8:
	s_or_b32 exec_lo, exec_lo, s6
	v_add_nc_u32_e32 v20, 0x60, v19
	;; [unrolled: 8-line block ×15, first 2 shown]
	v_cmp_lt_u32_e64 s23, v19, v210
	s_and_saveexec_b32 s24, s23
	s_cbranch_execz .LBB1634_36
; %bb.35:
	flat_load_ubyte v212, v[17:18] offset:512
.LBB1634_36:
	s_or_b32 exec_lo, exec_lo, s24
	v_lshlrev_b64 v[37:38], 3, v[8:9]
	v_lshlrev_b32_e32 v9, 3, v54
                                        ; implicit-def: $vgpr70_vgpr71
	v_add_co_u32 v17, s24, v4, v37
	v_add_co_ci_u32_e64 v18, null, v5, v38, s24
	v_lshlrev_b64 v[4:5], 3, v[15:16]
	v_add_co_u32 v9, s24, v17, v9
	v_add_co_ci_u32_e64 v15, null, 0, v18, s24
	v_add_co_u32 v4, s24, v9, v4
	v_add_co_ci_u32_e64 v5, null, v15, v5, s24
	s_and_saveexec_b32 s24, vcc_lo
	s_cbranch_execnz .LBB1634_204
; %bb.37:
	s_or_b32 exec_lo, exec_lo, s24
                                        ; implicit-def: $vgpr80_vgpr81
	s_and_saveexec_b32 s24, s4
	s_cbranch_execnz .LBB1634_205
.LBB1634_38:
	s_or_b32 exec_lo, exec_lo, s24
                                        ; implicit-def: $vgpr82_vgpr83
	s_and_saveexec_b32 s4, s5
	s_cbranch_execnz .LBB1634_206
.LBB1634_39:
	s_or_b32 exec_lo, exec_lo, s4
                                        ; implicit-def: $vgpr84_vgpr85
	s_and_saveexec_b32 s4, s6
	s_cbranch_execnz .LBB1634_207
.LBB1634_40:
	s_or_b32 exec_lo, exec_lo, s4
                                        ; implicit-def: $vgpr86_vgpr87
	s_and_saveexec_b32 s4, s7
	s_cbranch_execnz .LBB1634_208
.LBB1634_41:
	s_or_b32 exec_lo, exec_lo, s4
                                        ; implicit-def: $vgpr96_vgpr97
	s_and_saveexec_b32 s4, s10
	s_cbranch_execnz .LBB1634_209
.LBB1634_42:
	s_or_b32 exec_lo, exec_lo, s4
                                        ; implicit-def: $vgpr98_vgpr99
	s_and_saveexec_b32 s4, s11
	s_cbranch_execnz .LBB1634_210
.LBB1634_43:
	s_or_b32 exec_lo, exec_lo, s4
                                        ; implicit-def: $vgpr100_vgpr101
	s_and_saveexec_b32 s4, s14
	s_cbranch_execnz .LBB1634_211
.LBB1634_44:
	s_or_b32 exec_lo, exec_lo, s4
                                        ; implicit-def: $vgpr102_vgpr103
	s_and_saveexec_b32 s4, s15
	s_cbranch_execnz .LBB1634_212
.LBB1634_45:
	s_or_b32 exec_lo, exec_lo, s4
                                        ; implicit-def: $vgpr112_vgpr113
	s_and_saveexec_b32 s4, s16
	s_cbranch_execnz .LBB1634_213
.LBB1634_46:
	s_or_b32 exec_lo, exec_lo, s4
                                        ; implicit-def: $vgpr114_vgpr115
	s_and_saveexec_b32 s4, s17
	s_cbranch_execnz .LBB1634_214
.LBB1634_47:
	s_or_b32 exec_lo, exec_lo, s4
                                        ; implicit-def: $vgpr116_vgpr117
	s_and_saveexec_b32 s4, s18
	s_cbranch_execnz .LBB1634_215
.LBB1634_48:
	s_or_b32 exec_lo, exec_lo, s4
                                        ; implicit-def: $vgpr118_vgpr119
	s_and_saveexec_b32 s4, s19
	s_cbranch_execnz .LBB1634_216
.LBB1634_49:
	s_or_b32 exec_lo, exec_lo, s4
                                        ; implicit-def: $vgpr128_vgpr129
	s_and_saveexec_b32 s4, s20
	s_cbranch_execnz .LBB1634_217
.LBB1634_50:
	s_or_b32 exec_lo, exec_lo, s4
                                        ; implicit-def: $vgpr130_vgpr131
	s_and_saveexec_b32 s4, s21
	s_cbranch_execnz .LBB1634_218
.LBB1634_51:
	s_or_b32 exec_lo, exec_lo, s4
                                        ; implicit-def: $vgpr144_vgpr145
	s_and_saveexec_b32 s4, s22
	s_cbranch_execnz .LBB1634_219
.LBB1634_52:
	s_or_b32 exec_lo, exec_lo, s4
                                        ; implicit-def: $vgpr162_vgpr163
	s_and_saveexec_b32 s4, s23
	s_cbranch_execz .LBB1634_54
.LBB1634_53:
	v_add_co_u32 v4, vcc_lo, 0x1000, v4
	v_add_co_ci_u32_e64 v5, null, 0, v5, vcc_lo
	flat_load_dwordx2 v[162:163], v[4:5]
.LBB1634_54:
	s_or_b32 exec_lo, exec_lo, s4
	v_lshl_add_u32 v4, v14, 5, v12
	v_sub_co_u32 v17, s6, v54, 1
	v_and_b32_e32 v16, 16, v54
	v_and_b32_e32 v5, 15, v54
	v_add_nc_u32_e32 v9, 32, v4
	v_add_nc_u32_e32 v241, 36, v4
	v_add_nc_u32_e32 v242, 40, v4
	v_add_nc_u32_e32 v243, 44, v4
	v_add_nc_u32_e32 v244, 48, v4
	v_add_nc_u32_e32 v245, 52, v4
	v_add_nc_u32_e32 v246, 56, v4
	v_add_nc_u32_e32 v247, 60, v4
	v_and_b32_e32 v4, 0x3e0, v14
	v_cmp_gt_i32_e64 s11, 0, v17
	s_getpc_b64 s[4:5]
	s_add_u32 s4, s4, _ZN7rocprim17ROCPRIM_400000_NS16block_radix_sortIbLj256ELj17ElLj1ELj1ELj8ELNS0_26block_radix_rank_algorithmE2ELNS0_18block_padding_hintE2ELNS0_4arch9wavefront6targetE0EE19radix_bits_per_passE@rel32@lo+4
	s_addc_u32 s5, s5, _ZN7rocprim17ROCPRIM_400000_NS16block_radix_sortIbLj256ELj17ElLj1ELj1ELj8ELNS0_26block_radix_rank_algorithmE2ELNS0_18block_padding_hintE2ELNS0_4arch9wavefront6targetE0EE19radix_bits_per_passE@rel32@hi+12
	v_cmp_eq_u32_e64 s10, 0, v16
	s_load_dword s22, s[4:5], 0x0
	v_min_u32_e32 v15, 0xe0, v4
	v_mul_u32_u24_e32 v4, 17, v4
	v_cndmask_b32_e64 v16, v17, v54, s11
	v_cmp_eq_u32_e32 vcc_lo, 0, v5
	v_cmp_lt_u32_e64 s4, 1, v5
	v_cmp_lt_u32_e64 s5, 3, v5
	v_or_b32_e32 v17, v54, v4
	v_cmp_lt_u32_e64 s7, 7, v5
	v_or_b32_e32 v5, 31, v15
	v_lshrrev_b32_e32 v15, 3, v14
	v_lshlrev_b32_e32 v41, 2, v16
	v_add_co_u32 v4, s16, v12, v17
	v_cmp_eq_u32_e64 s11, v14, v5
	v_add_co_ci_u32_e64 v5, null, 0, v13, s16
	v_and_b32_e32 v18, 0x7c, v15
	v_and_b32_e32 v19, 7, v54
	v_lshrrev_b32_e32 v40, 5, v0
	v_mad_u64_u32 v[15:16], null, v17, 7, v[4:5]
	v_cmp_gt_u32_e64 s14, 8, v14
	v_cmp_lt_u32_e64 s15, 31, v14
	v_cmp_eq_u32_e64 s16, 0, v14
	v_add_nc_u32_e32 v5, v12, v18
	v_mov_b32_e32 v42, 0
	v_lshl_add_u32 v43, v14, 2, v12
	v_cmp_eq_u32_e64 s17, 0, v19
	v_cmp_lt_u32_e64 s18, 1, v19
	v_cmp_lt_u32_e64 s19, 3, v19
	v_add_nc_u32_e32 v44, 0x800, v15
	v_add_nc_u32_e32 v45, 0x900, v15
	;; [unrolled: 1-line block ×9, first 2 shown]
	v_sub_nc_u32_e32 v61, v11, v10
	s_mov_b32 s23, 0
	s_waitcnt vmcnt(0) lgkmcnt(0)
	s_waitcnt_vscnt null, 0x0
	s_barrier
	buffer_gl0_inv
	s_branch .LBB1634_56
.LBB1634_55:                            ;   in Loop: Header=BB1634_56 Depth=1
	s_or_b32 exec_lo, exec_lo, s21
	s_and_b32 s20, exec_lo, s24
	s_or_b32 s23, s20, s23
	s_andn2_b32 exec_lo, exec_lo, s23
	s_cbranch_execz .LBB1634_98
.LBB1634_56:                            ; =>This Inner Loop Header: Depth=1
	v_min_u32_e32 v16, s22, v61
	v_lshrrev_b32_sdwa v17, v10, v230 dst_sel:DWORD dst_unused:UNUSED_PAD src0_sel:DWORD src1_sel:BYTE_0
	v_mov_b32_e32 v30, v70
	v_mov_b32_e32 v31, v71
	;; [unrolled: 1-line block ×3, first 2 shown]
	v_lshlrev_b32_e64 v16, v16, -1
	v_mov_b32_e32 v69, v81
	v_mov_b32_e32 v66, v82
	;; [unrolled: 1-line block ×4, first 2 shown]
	v_not_b32_e32 v132, v16
	v_mov_b32_e32 v54, v96
	v_mov_b32_e32 v52, v98
	;; [unrolled: 1-line block ×4, first 2 shown]
	v_and_b32_e32 v70, v17, v132
	v_mov_b32_e32 v26, v112
	v_mov_b32_e32 v24, v114
	v_mov_b32_e32 v48, v116
	v_mov_b32_e32 v34, v118
	v_add_co_u32 v71, s20, v70, -1
	v_cndmask_b32_e64 v16, 0, 1, s20
	v_lshlrev_b32_e32 v70, 3, v70
	v_mov_b32_e32 v20, v128
	v_mov_b32_e32 v18, v130
	v_mov_b32_e32 v22, v144
	v_cmp_ne_u32_e64 s20, 0, v16
	v_mov_b32_e32 v16, v162
	v_mov_b32_e32 v67, v83
	;; [unrolled: 1-line block ×4, first 2 shown]
	v_xor_b32_e32 v71, s20, v71
	v_mov_b32_e32 v55, v97
	v_mov_b32_e32 v53, v99
	;; [unrolled: 1-line block ×4, first 2 shown]
	v_and_b32_e32 v80, exec_lo, v71
	v_add_lshl_u32 v71, v70, v40, 2
	v_mov_b32_e32 v27, v113
	v_mov_b32_e32 v25, v115
	;; [unrolled: 1-line block ×3, first 2 shown]
	v_mbcnt_lo_u32_b32 v70, v80, 0
	v_add_co_u32 v71, null, v12, v71
	v_cmp_ne_u32_e64 s21, 0, v80
	v_mov_b32_e32 v35, v119
	v_cmp_eq_u32_e64 s20, 0, v70
	v_mov_b32_e32 v21, v129
	v_mov_b32_e32 v19, v131
	;; [unrolled: 1-line block ×4, first 2 shown]
	v_add_co_u32 v71, null, v71, 32
	s_and_b32 s21, s21, s20
	ds_write_b32 v9, v42
	ds_write_b32 v241, v42
	;; [unrolled: 1-line block ×8, first 2 shown]
	s_waitcnt lgkmcnt(0)
	s_barrier
	buffer_gl0_inv
	; wave barrier
	s_and_saveexec_b32 s20, s21
; %bb.57:                               ;   in Loop: Header=BB1634_56 Depth=1
	v_bcnt_u32_b32 v80, v80, 0
	ds_write_b32 v71, v80
; %bb.58:                               ;   in Loop: Header=BB1634_56 Depth=1
	s_or_b32 exec_lo, exec_lo, s20
	v_lshrrev_b32_sdwa v80, v10, v240 dst_sel:DWORD dst_unused:UNUSED_PAD src0_sel:DWORD src1_sel:BYTE_0
	; wave barrier
	v_and_b32_e32 v80, v80, v132
	v_add_co_u32 v81, s20, v80, -1
	v_cndmask_b32_e64 v82, 0, 1, s20
	v_lshl_add_u32 v80, v80, 3, v40
	v_cmp_ne_u32_e64 s20, 0, v82
	v_lshl_add_u32 v82, v80, 2, v12
	v_xor_b32_e32 v81, s20, v81
	ds_read_b32 v80, v82 offset:32
	v_add_nc_u32_e32 v82, 32, v82
	; wave barrier
	v_and_b32_e32 v83, exec_lo, v81
	v_mbcnt_lo_u32_b32 v81, v83, 0
	v_cmp_ne_u32_e64 s21, 0, v83
	v_cmp_eq_u32_e64 s20, 0, v81
	s_and_b32 s21, s21, s20
	s_and_saveexec_b32 s20, s21
	s_cbranch_execz .LBB1634_60
; %bb.59:                               ;   in Loop: Header=BB1634_56 Depth=1
	s_waitcnt lgkmcnt(0)
	v_bcnt_u32_b32 v83, v83, v80
	ds_write_b32 v82, v83
.LBB1634_60:                            ;   in Loop: Header=BB1634_56 Depth=1
	s_or_b32 exec_lo, exec_lo, s20
	v_lshrrev_b32_sdwa v83, v10, v229 dst_sel:DWORD dst_unused:UNUSED_PAD src0_sel:DWORD src1_sel:BYTE_0
	; wave barrier
	v_and_b32_e32 v83, v83, v132
	v_add_co_u32 v84, s20, v83, -1
	v_cndmask_b32_e64 v85, 0, 1, s20
	v_lshl_add_u32 v83, v83, 3, v40
	v_cmp_ne_u32_e64 s20, 0, v85
	v_lshl_add_u32 v85, v83, 2, v12
	v_xor_b32_e32 v84, s20, v84
	ds_read_b32 v83, v85 offset:32
	v_add_nc_u32_e32 v85, 32, v85
	; wave barrier
	v_and_b32_e32 v86, exec_lo, v84
	v_mbcnt_lo_u32_b32 v84, v86, 0
	v_cmp_ne_u32_e64 s21, 0, v86
	v_cmp_eq_u32_e64 s20, 0, v84
	s_and_b32 s21, s21, s20
	s_and_saveexec_b32 s20, s21
	s_cbranch_execz .LBB1634_62
; %bb.61:                               ;   in Loop: Header=BB1634_56 Depth=1
	s_waitcnt lgkmcnt(0)
	v_bcnt_u32_b32 v86, v86, v83
	ds_write_b32 v85, v86
.LBB1634_62:                            ;   in Loop: Header=BB1634_56 Depth=1
	;; [unrolled: 25-line block ×16, first 2 shown]
	s_or_b32 exec_lo, exec_lo, s20
	; wave barrier
	s_waitcnt lgkmcnt(0)
	s_barrier
	buffer_gl0_inv
	ds_read_b32 v181, v9
	ds_read_b32 v182, v241
	;; [unrolled: 1-line block ×8, first 2 shown]
	s_waitcnt lgkmcnt(6)
	v_add_nc_u32_e32 v192, v182, v181
	s_waitcnt lgkmcnt(4)
	v_add3_u32 v192, v192, v180, v179
	s_waitcnt lgkmcnt(2)
	v_add3_u32 v192, v192, v178, v177
	;; [unrolled: 2-line block ×3, first 2 shown]
	v_mov_b32_dpp v192, v183 row_shr:1 row_mask:0xf bank_mask:0xf
	v_cndmask_b32_e64 v192, v192, 0, vcc_lo
	v_add_nc_u32_e32 v183, v192, v183
	v_mov_b32_dpp v192, v183 row_shr:2 row_mask:0xf bank_mask:0xf
	v_cndmask_b32_e64 v192, 0, v192, s4
	v_add_nc_u32_e32 v183, v183, v192
	v_mov_b32_dpp v192, v183 row_shr:4 row_mask:0xf bank_mask:0xf
	v_cndmask_b32_e64 v192, 0, v192, s5
	;; [unrolled: 3-line block ×3, first 2 shown]
	v_add_nc_u32_e32 v183, v183, v192
	ds_swizzle_b32 v192, v183 offset:swizzle(BROADCAST,32,15)
	s_waitcnt lgkmcnt(0)
	v_cndmask_b32_e64 v192, v192, 0, s10
	v_add_nc_u32_e32 v183, v183, v192
	s_and_saveexec_b32 s20, s11
; %bb.91:                               ;   in Loop: Header=BB1634_56 Depth=1
	ds_write_b32 v5, v183
; %bb.92:                               ;   in Loop: Header=BB1634_56 Depth=1
	s_or_b32 exec_lo, exec_lo, s20
	s_waitcnt lgkmcnt(0)
	s_barrier
	buffer_gl0_inv
	s_and_saveexec_b32 s20, s14
	s_cbranch_execz .LBB1634_94
; %bb.93:                               ;   in Loop: Header=BB1634_56 Depth=1
	ds_read_b32 v192, v43
	s_waitcnt lgkmcnt(0)
	v_mov_b32_dpp v193, v192 row_shr:1 row_mask:0xf bank_mask:0xf
	v_cndmask_b32_e64 v193, v193, 0, s17
	v_add_nc_u32_e32 v192, v193, v192
	v_mov_b32_dpp v193, v192 row_shr:2 row_mask:0xf bank_mask:0xf
	v_cndmask_b32_e64 v193, 0, v193, s18
	v_add_nc_u32_e32 v192, v192, v193
	;; [unrolled: 3-line block ×3, first 2 shown]
	ds_write_b32 v43, v192
.LBB1634_94:                            ;   in Loop: Header=BB1634_56 Depth=1
	s_or_b32 exec_lo, exec_lo, s20
	v_mov_b32_e32 v192, 0
	s_waitcnt lgkmcnt(0)
	s_barrier
	buffer_gl0_inv
	s_and_saveexec_b32 s20, s15
; %bb.95:                               ;   in Loop: Header=BB1634_56 Depth=1
	v_add_nc_u32_e32 v192, -4, v5
	ds_read_b32 v192, v192
; %bb.96:                               ;   in Loop: Header=BB1634_56 Depth=1
	s_or_b32 exec_lo, exec_lo, s20
	s_waitcnt lgkmcnt(0)
	v_add_nc_u32_e32 v183, v192, v183
	v_add_nc_u32_e32 v10, 8, v10
	v_mov_b32_e32 v62, v230
	v_mov_b32_e32 v63, v240
	;; [unrolled: 1-line block ×3, first 2 shown]
	ds_bpermute_b32 v183, v41, v183
	v_mov_b32_e32 v73, v231
	v_mov_b32_e32 v74, v224
	;; [unrolled: 1-line block ×14, first 2 shown]
	v_cmp_lt_u32_e64 s20, v10, v11
	s_mov_b32 s24, -1
	s_waitcnt lgkmcnt(0)
	v_cndmask_b32_e64 v183, v183, v192, s6
	v_cndmask_b32_e64 v183, v183, 0, s16
	v_add_nc_u32_e32 v181, v183, v181
	v_add_nc_u32_e32 v182, v181, v182
	ds_write_b32 v9, v183
	ds_write_b32 v241, v181
	;; [unrolled: 1-line block ×3, first 2 shown]
	v_add_nc_u32_e32 v180, v182, v180
	v_add_nc_u32_e32 v179, v180, v179
	;; [unrolled: 1-line block ×5, first 2 shown]
	ds_write_b32 v243, v180
	ds_write_b32 v244, v179
	;; [unrolled: 1-line block ×5, first 2 shown]
	s_waitcnt lgkmcnt(0)
	s_barrier
	buffer_gl0_inv
	ds_read_b32 v71, v71
	ds_read_b32 v82, v82
	;; [unrolled: 1-line block ×17, first 2 shown]
	s_waitcnt lgkmcnt(0)
	v_add_nc_u32_e32 v125, v71, v70
	v_add3_u32 v124, v81, v80, v82
	v_add3_u32 v123, v84, v83, v85
	;; [unrolled: 1-line block ×16, first 2 shown]
	v_add_co_u32 v132, s21, v12, v125
	v_add_co_ci_u32_e64 v133, null, 0, v13, s21
	v_add_co_u32 v134, s21, v12, v124
	v_add_co_ci_u32_e64 v135, null, 0, v13, s21
	;; [unrolled: 2-line block ×17, first 2 shown]
                                        ; implicit-def: $vgpr70_vgpr71
                                        ; implicit-def: $vgpr80_vgpr81
                                        ; implicit-def: $vgpr82_vgpr83
                                        ; implicit-def: $vgpr84_vgpr85
                                        ; implicit-def: $vgpr86_vgpr87
                                        ; implicit-def: $vgpr96_vgpr97
                                        ; implicit-def: $vgpr98_vgpr99
                                        ; implicit-def: $vgpr100_vgpr101
                                        ; implicit-def: $vgpr102_vgpr103
                                        ; implicit-def: $vgpr112_vgpr113
                                        ; implicit-def: $vgpr114_vgpr115
                                        ; implicit-def: $vgpr116_vgpr117
                                        ; implicit-def: $vgpr118_vgpr119
                                        ; implicit-def: $vgpr128_vgpr129
                                        ; implicit-def: $vgpr130_vgpr131
                                        ; implicit-def: $vgpr144_vgpr145
                                        ; implicit-def: $vgpr162_vgpr163
	s_and_saveexec_b32 s21, s20
	s_cbranch_execz .LBB1634_55
; %bb.97:                               ;   in Loop: Header=BB1634_56 Depth=1
	s_barrier
	buffer_gl0_inv
	ds_write_b8 v132, v230
	ds_write_b8 v134, v240
	;; [unrolled: 1-line block ×17, first 2 shown]
	v_add_nc_u32_e32 v1, 0x200, v4
	v_add_nc_u32_e32 v36, 0x1e0, v4
	;; [unrolled: 1-line block ×3, first 2 shown]
	s_waitcnt lgkmcnt(0)
	s_barrier
	buffer_gl0_inv
	ds_read_u8 v212, v1
	ds_read_u8 v36, v36
	;; [unrolled: 1-line block ×3, first 2 shown]
	v_add_nc_u32_e32 v39, 0x1a0, v4
	v_add_nc_u32_e32 v70, 0x180, v4
	;; [unrolled: 1-line block ×5, first 2 shown]
	ds_read_u8 v215, v39
	ds_read_u8 v214, v70
	;; [unrolled: 1-line block ×5, first 2 shown]
	v_add_nc_u32_e32 v70, 0x100, v4
	v_add_nc_u32_e32 v71, 0xe0, v4
	;; [unrolled: 1-line block ×5, first 2 shown]
	ds_read_u8 v228, v70
	ds_read_u8 v227, v71
	;; [unrolled: 1-line block ×5, first 2 shown]
	v_mad_u64_u32 v[70:71], null, v125, 7, v[132:133]
	v_add_nc_u32_e32 v80, 0x60, v4
	v_add_nc_u32_e32 v81, 64, v4
	;; [unrolled: 1-line block ×3, first 2 shown]
	ds_read_u8 v231, v80
	ds_read_u8 v229, v81
	ds_read_u8 v240, v82
	ds_read_u8 v230, v4
	s_waitcnt lgkmcnt(0)
	s_barrier
	buffer_gl0_inv
	ds_write_b64 v70, v[30:31]
	v_mad_u64_u32 v[70:71], null, v124, 7, v[134:135]
	v_mad_u64_u32 v[80:81], null, v123, 7, v[146:147]
	;; [unrolled: 1-line block ×8, first 2 shown]
	ds_write_b64 v70, v[68:69]
	ds_write_b64 v80, v[66:67]
	;; [unrolled: 1-line block ×8, first 2 shown]
	v_mad_u64_u32 v[70:71], null, v108, 7, v[178:179]
	v_mad_u64_u32 v[80:81], null, v107, 7, v[180:181]
	;; [unrolled: 1-line block ×8, first 2 shown]
	ds_write_b64 v70, v[26:27]
	ds_write_b64 v80, v[24:25]
	;; [unrolled: 1-line block ×8, first 2 shown]
	v_add_nc_u32_e32 v84, 0x300, v15
	v_add_nc_u32_e32 v80, 0x100, v15
	;; [unrolled: 1-line block ×7, first 2 shown]
	s_waitcnt lgkmcnt(0)
	s_barrier
	buffer_gl0_inv
	ds_read_b64 v[70:71], v15
	ds_read_b64 v[80:81], v80
	;; [unrolled: 1-line block ×17, first 2 shown]
	v_add_nc_u32_e32 v61, -8, v61
	s_xor_b32 s24, exec_lo, -1
	s_waitcnt lgkmcnt(0)
	s_barrier
	buffer_gl0_inv
	s_branch .LBB1634_55
.LBB1634_98:
	s_or_b32 exec_lo, exec_lo, s23
	v_add_nc_u32_e32 v1, v12, v14
	v_lshl_add_u32 v4, v125, 3, v12
	v_lshl_add_u32 v5, v124, 3, v12
	;; [unrolled: 1-line block ×3, first 2 shown]
	s_barrier
	buffer_gl0_inv
	ds_write_b8 v132, v62
	ds_write_b8 v134, v63
	;; [unrolled: 1-line block ×17, first 2 shown]
	s_waitcnt lgkmcnt(0)
	s_barrier
	buffer_gl0_inv
	ds_read_u8 v101, v1
	ds_read_u8 v100, v1 offset:256
	ds_read_u8 v99, v1 offset:512
	;; [unrolled: 1-line block ×16, first 2 shown]
	s_waitcnt lgkmcnt(0)
	s_barrier
	buffer_gl0_inv
	ds_write_b64 v4, v[30:31]
	ds_write_b64 v5, v[68:69]
	ds_write_b64 v9, v[66:67]
	v_lshl_add_u32 v4, v122, 3, v12
	v_lshl_add_u32 v5, v121, 3, v12
	v_lshl_add_u32 v9, v120, 3, v12
	v_lshl_add_u32 v10, v111, 3, v12
	v_lshl_add_u32 v11, v110, 3, v12
	ds_write_b64 v4, v[32:33]
	ds_write_b64 v5, v[64:65]
	;; [unrolled: 1-line block ×5, first 2 shown]
	v_lshl_add_u32 v4, v109, 3, v12
	v_lshl_add_u32 v5, v108, 3, v12
	;; [unrolled: 1-line block ×5, first 2 shown]
	ds_write_b64 v4, v[28:29]
	ds_write_b64 v5, v[26:27]
	ds_write_b64 v9, v[24:25]
	ds_write_b64 v10, v[48:49]
	ds_write_b64 v11, v[34:35]
	v_mul_u32_u24_e32 v10, 7, v14
	v_lshl_add_u32 v4, v104, 3, v12
	v_lshl_add_u32 v11, v93, 3, v12
	;; [unrolled: 1-line block ×4, first 2 shown]
	v_add_nc_u32_e32 v1, v1, v10
	ds_write_b64 v4, v[20:21]
	ds_write_b64 v5, v[18:19]
	;; [unrolled: 1-line block ×4, first 2 shown]
	s_waitcnt lgkmcnt(0)
	s_barrier
	buffer_gl0_inv
	ds_read2st64_b64 v[48:51], v1 offset1:4
	ds_read2st64_b64 v[33:36], v1 offset0:8 offset1:12
	ds_read2st64_b64 v[29:32], v1 offset0:16 offset1:20
	;; [unrolled: 1-line block ×7, first 2 shown]
	ds_read_b64 v[4:5], v1 offset:32768
	v_add_co_u32 v2, vcc_lo, v2, v8
	v_add_co_ci_u32_e64 v3, null, 0, v3, vcc_lo
	v_mov_b32_e32 v1, 0
	v_add_co_u32 v2, vcc_lo, v2, v0
	v_add_co_ci_u32_e64 v3, null, 0, v3, vcc_lo
	v_cmp_lt_u32_e64 s16, v0, v210
	s_waitcnt lgkmcnt(0)
	s_barrier
	buffer_gl0_inv
	s_and_saveexec_b32 s4, s16
	s_cbranch_execz .LBB1634_100
; %bb.99:
	flat_store_byte v[2:3], v101
.LBB1634_100:
	s_or_b32 exec_lo, exec_lo, s4
	v_add_nc_u32_e32 v8, 0x100, v0
	v_cmp_lt_u32_e64 s21, v8, v210
	s_and_saveexec_b32 s4, s21
	s_cbranch_execz .LBB1634_102
; %bb.101:
	flat_store_byte v[2:3], v100 offset:256
.LBB1634_102:
	s_or_b32 exec_lo, exec_lo, s4
	v_add_nc_u32_e32 v8, 0x200, v0
	v_cmp_lt_u32_e64 s19, v8, v210
	s_and_saveexec_b32 s4, s19
	s_cbranch_execz .LBB1634_104
; %bb.103:
	flat_store_byte v[2:3], v99 offset:512
.LBB1634_104:
	;; [unrolled: 8-line block ×7, first 2 shown]
	s_or_b32 exec_lo, exec_lo, s5
	v_add_nc_u32_e32 v8, 0x800, v0
	v_cmp_lt_u32_e32 vcc_lo, v8, v210
	s_and_saveexec_b32 s7, vcc_lo
	s_cbranch_execz .LBB1634_116
; %bb.115:
	v_add_co_u32 v52, s5, 0x800, v2
	v_add_co_ci_u32_e64 v53, null, 0, v3, s5
	flat_store_byte v[52:53], v85
.LBB1634_116:
	s_or_b32 exec_lo, exec_lo, s7
	v_add_nc_u32_e32 v8, 0x900, v0
	v_cmp_lt_u32_e64 s5, v8, v210
	s_and_saveexec_b32 s11, s5
	s_cbranch_execz .LBB1634_118
; %bb.117:
	v_add_co_u32 v52, s7, 0x800, v2
	v_add_co_ci_u32_e64 v53, null, 0, v3, s7
	flat_store_byte v[52:53], v84 offset:256
.LBB1634_118:
	s_or_b32 exec_lo, exec_lo, s11
	v_add_nc_u32_e32 v8, 0xa00, v0
	v_cmp_lt_u32_e64 s7, v8, v210
	s_and_saveexec_b32 s15, s7
	s_cbranch_execz .LBB1634_120
; %bb.119:
	v_add_co_u32 v52, s11, 0x800, v2
	v_add_co_ci_u32_e64 v53, null, 0, v3, s11
	flat_store_byte v[52:53], v83 offset:512
.LBB1634_120:
	s_or_b32 exec_lo, exec_lo, s15
	v_add_nc_u32_e32 v8, 0xb00, v0
	v_cmp_lt_u32_e64 s11, v8, v210
	s_and_saveexec_b32 s18, s11
	s_cbranch_execz .LBB1634_122
; %bb.121:
	v_add_co_u32 v52, s15, 0x800, v2
	v_add_co_ci_u32_e64 v53, null, 0, v3, s15
	flat_store_byte v[52:53], v82 offset:768
.LBB1634_122:
	s_or_b32 exec_lo, exec_lo, s18
	v_add_nc_u32_e32 v8, 0xc00, v0
	v_cmp_lt_u32_e64 s15, v8, v210
	s_and_saveexec_b32 s20, s15
	s_cbranch_execz .LBB1634_124
; %bb.123:
	v_add_co_u32 v52, s18, 0x800, v2
	v_add_co_ci_u32_e64 v53, null, 0, v3, s18
	flat_store_byte v[52:53], v81 offset:1024
.LBB1634_124:
	s_or_b32 exec_lo, exec_lo, s20
	v_add_nc_u32_e32 v8, 0xd00, v0
	v_cmp_lt_u32_e64 s18, v8, v210
	s_and_saveexec_b32 s22, s18
	s_cbranch_execz .LBB1634_126
; %bb.125:
	v_add_co_u32 v52, s20, 0x800, v2
	v_add_co_ci_u32_e64 v53, null, 0, v3, s20
	flat_store_byte v[52:53], v80 offset:1280
.LBB1634_126:
	s_or_b32 exec_lo, exec_lo, s22
	v_add_nc_u32_e32 v8, 0xe00, v0
	v_cmp_lt_u32_e64 s20, v8, v210
	s_and_saveexec_b32 s23, s20
	s_cbranch_execz .LBB1634_128
; %bb.127:
	v_add_co_u32 v52, s22, 0x800, v2
	v_add_co_ci_u32_e64 v53, null, 0, v3, s22
	flat_store_byte v[52:53], v71 offset:1536
.LBB1634_128:
	s_or_b32 exec_lo, exec_lo, s23
	v_add_nc_u32_e32 v8, 0xf00, v0
	v_cmp_lt_u32_e64 s22, v8, v210
	s_and_saveexec_b32 s24, s22
	s_cbranch_execz .LBB1634_130
; %bb.129:
	v_add_co_u32 v52, s23, 0x800, v2
	v_add_co_ci_u32_e64 v53, null, 0, v3, s23
	flat_store_byte v[52:53], v70 offset:1792
.LBB1634_130:
	s_or_b32 exec_lo, exec_lo, s24
	v_add_nc_u32_e32 v8, 0x1000, v0
	v_cmp_lt_u32_e64 s23, v8, v210
	s_and_saveexec_b32 s27, s23
	s_cbranch_execz .LBB1634_132
; %bb.131:
	v_add_co_u32 v2, s24, 0x1000, v2
	v_add_co_ci_u32_e64 v3, null, 0, v3, s24
	flat_store_byte v[2:3], v39
.LBB1634_132:
	s_or_b32 exec_lo, exec_lo, s27
	v_lshlrev_b64 v[0:1], 3, v[0:1]
	v_add_co_u32 v2, s24, v6, v37
	v_add_co_ci_u32_e64 v3, null, v7, v38, s24
	v_add_co_u32 v0, s24, v2, v0
	v_add_co_ci_u32_e64 v1, null, v3, v1, s24
	s_and_saveexec_b32 s24, s16
	s_cbranch_execnz .LBB1634_220
; %bb.133:
	s_or_b32 exec_lo, exec_lo, s24
	s_and_saveexec_b32 s24, s21
	s_cbranch_execnz .LBB1634_221
.LBB1634_134:
	s_or_b32 exec_lo, exec_lo, s24
	s_and_saveexec_b32 s21, s19
	s_cbranch_execnz .LBB1634_222
.LBB1634_135:
	s_or_b32 exec_lo, exec_lo, s21
	s_and_saveexec_b32 s19, s17
	s_cbranch_execnz .LBB1634_223
.LBB1634_136:
	s_or_b32 exec_lo, exec_lo, s19
	s_and_saveexec_b32 s16, s14
	s_cbranch_execnz .LBB1634_224
.LBB1634_137:
	s_or_b32 exec_lo, exec_lo, s16
	s_and_saveexec_b32 s14, s10
	s_cbranch_execnz .LBB1634_225
.LBB1634_138:
	s_or_b32 exec_lo, exec_lo, s14
	s_and_saveexec_b32 s10, s6
	s_cbranch_execnz .LBB1634_226
.LBB1634_139:
	s_or_b32 exec_lo, exec_lo, s10
	s_and_saveexec_b32 s6, s4
	s_cbranch_execnz .LBB1634_227
.LBB1634_140:
	s_or_b32 exec_lo, exec_lo, s6
	s_and_saveexec_b32 s4, vcc_lo
	s_cbranch_execnz .LBB1634_228
.LBB1634_141:
	s_or_b32 exec_lo, exec_lo, s4
	s_and_saveexec_b32 s4, s5
	s_cbranch_execnz .LBB1634_229
.LBB1634_142:
	s_or_b32 exec_lo, exec_lo, s4
	s_and_saveexec_b32 s4, s7
	s_cbranch_execnz .LBB1634_230
.LBB1634_143:
	s_or_b32 exec_lo, exec_lo, s4
	s_and_saveexec_b32 s4, s11
	s_cbranch_execnz .LBB1634_231
.LBB1634_144:
	s_or_b32 exec_lo, exec_lo, s4
	s_and_saveexec_b32 s4, s15
	s_cbranch_execnz .LBB1634_232
.LBB1634_145:
	s_or_b32 exec_lo, exec_lo, s4
	s_and_saveexec_b32 s4, s18
	s_cbranch_execnz .LBB1634_233
.LBB1634_146:
	s_or_b32 exec_lo, exec_lo, s4
	s_and_saveexec_b32 s4, s20
	s_cbranch_execnz .LBB1634_234
.LBB1634_147:
	s_or_b32 exec_lo, exec_lo, s4
	s_and_saveexec_b32 s4, s22
	s_cbranch_execnz .LBB1634_235
.LBB1634_148:
	s_or_b32 exec_lo, exec_lo, s4
	s_and_saveexec_b32 s4, s23
	s_cbranch_execz .LBB1634_150
.LBB1634_149:
	v_add_co_u32 v0, vcc_lo, 0x8000, v0
	v_add_co_ci_u32_e64 v1, null, 0, v1, vcc_lo
	flat_store_dwordx2 v[0:1], v[4:5]
.LBB1634_150:
	s_or_b32 exec_lo, exec_lo, s4
                                        ; implicit-def: $vgpr210
                                        ; implicit-def: $vgpr0
                                        ; implicit-def: $vgpr1
                                        ; implicit-def: $vgpr2
                                        ; implicit-def: $vgpr3
                                        ; implicit-def: $vgpr4
                                        ; implicit-def: $vgpr5
                                        ; implicit-def: $vgpr6
                                        ; implicit-def: $vgpr7
                                        ; implicit-def: $vgpr8
                                        ; implicit-def: $vgpr10
                                        ; implicit-def: $vgpr11
                                        ; implicit-def: $vgpr12
                                        ; implicit-def: $vgpr13
                                        ; implicit-def: $vgpr15
                                        ; implicit-def: $vgpr16
                                        ; implicit-def: $vgpr14
                                        ; implicit-def: $vgpr54
.LBB1634_151:
	s_andn2_saveexec_b32 s4, s26
	s_cbranch_execz .LBB1634_382
; %bb.152:
	s_mov_b32 s4, exec_lo
	v_cmpx_lt_u32_e32 0x400, v210
	s_xor_b32 s22, exec_lo, s4
	s_cbranch_execz .LBB1634_262
; %bb.153:
	s_load_dwordx2 s[4:5], s[8:9], 0x0
	v_mov_b32_e32 v9, 0
	v_add_co_u32 v0, vcc_lo, v0, v8
	v_add_co_ci_u32_e64 v1, null, 0, v1, vcc_lo
	v_mov_b32_e32 v86, 1
	v_add_co_u32 v0, vcc_lo, v0, v54
	v_add_co_ci_u32_e64 v1, null, 0, v1, vcc_lo
	v_mov_b32_e32 v87, 1
	v_mov_b32_e32 v98, 1
	v_mov_b32_e32 v99, 1
	v_mov_b32_e32 v96, 1
	v_mov_b32_e32 v97, 1
	v_mov_b32_e32 v100, 1
	s_waitcnt lgkmcnt(0)
	s_cmp_lt_u32 s13, s5
	s_cselect_b32 s5, 14, 20
	s_add_u32 s6, s8, s5
	s_addc_u32 s7, s9, 0
	s_cmp_lt_u32 s12, s4
	global_load_ushort v17, v9, s[6:7]
	s_cselect_b32 s4, 12, 18
	s_add_u32 s4, s8, s4
	s_addc_u32 s5, s9, 0
	global_load_ushort v18, v9, s[4:5]
	s_waitcnt vmcnt(1)
	v_mad_u32_u24 v15, v16, v17, v15
	v_mov_b32_e32 v16, v9
	s_waitcnt vmcnt(0)
	v_mad_u64_u32 v[25:26], null, v15, v18, v[14:15]
	v_lshlrev_b32_e32 v15, 3, v25
	v_and_b32_e32 v15, 0xffffff00, v15
	v_or_b32_e32 v17, v15, v54
	v_add_co_u32 v0, vcc_lo, v0, v15
	v_add_co_ci_u32_e64 v1, null, 0, v1, vcc_lo
	v_cmp_lt_u32_e32 vcc_lo, v17, v210
	s_and_saveexec_b32 s4, vcc_lo
	s_cbranch_execz .LBB1634_155
; %bb.154:
	flat_load_ubyte v87, v[0:1]
	v_mov_b32_e32 v98, 1
	v_mov_b32_e32 v99, 1
	;; [unrolled: 1-line block ×5, first 2 shown]
.LBB1634_155:
	s_or_b32 exec_lo, exec_lo, s4
	v_or_b32_e32 v18, 32, v17
	v_mov_b32_e32 v101, v86
	v_cmp_lt_u32_e64 s4, v18, v210
	s_and_saveexec_b32 s5, s4
	s_cbranch_execz .LBB1634_157
; %bb.156:
	flat_load_ubyte v101, v[0:1] offset:32
.LBB1634_157:
	s_or_b32 exec_lo, exec_lo, s5
	v_or_b32_e32 v18, 64, v17
	v_cmp_lt_u32_e64 s5, v18, v210
	s_and_saveexec_b32 s6, s5
	s_cbranch_execz .LBB1634_159
; %bb.158:
	flat_load_ubyte v86, v[0:1] offset:64
.LBB1634_159:
	s_or_b32 exec_lo, exec_lo, s6
	v_or_b32_e32 v18, 0x60, v17
	;; [unrolled: 8-line block ×6, first 2 shown]
	v_cmp_lt_u32_e64 s14, v17, v210
	s_and_saveexec_b32 s15, s14
	s_cbranch_execz .LBB1634_169
; %bb.168:
	flat_load_ubyte v100, v[0:1] offset:224
.LBB1634_169:
	s_or_b32 exec_lo, exec_lo, s15
	v_lshlrev_b64 v[0:1], 3, v[8:9]
	v_lshlrev_b32_e32 v9, 3, v54
                                        ; implicit-def: $vgpr30_vgpr31
	v_add_co_u32 v17, s15, v4, v0
	v_add_co_ci_u32_e64 v18, null, v5, v1, s15
	v_lshlrev_b64 v[4:5], 3, v[15:16]
	v_add_co_u32 v9, s15, v17, v9
	v_add_co_ci_u32_e64 v15, null, 0, v18, s15
	v_add_co_u32 v4, s15, v9, v4
	v_add_co_ci_u32_e64 v5, null, v15, v5, s15
	s_and_saveexec_b32 s15, vcc_lo
	s_cbranch_execnz .LBB1634_295
; %bb.170:
	s_or_b32 exec_lo, exec_lo, s15
                                        ; implicit-def: $vgpr32_vgpr33
	s_and_saveexec_b32 s15, s4
	s_cbranch_execnz .LBB1634_296
.LBB1634_171:
	s_or_b32 exec_lo, exec_lo, s15
                                        ; implicit-def: $vgpr34_vgpr35
	s_and_saveexec_b32 s4, s5
	s_cbranch_execnz .LBB1634_297
.LBB1634_172:
	s_or_b32 exec_lo, exec_lo, s4
                                        ; implicit-def: $vgpr36_vgpr37
	s_and_saveexec_b32 s4, s6
	s_cbranch_execnz .LBB1634_298
.LBB1634_173:
	s_or_b32 exec_lo, exec_lo, s4
                                        ; implicit-def: $vgpr38_vgpr39
	s_and_saveexec_b32 s4, s7
	s_cbranch_execnz .LBB1634_299
.LBB1634_174:
	s_or_b32 exec_lo, exec_lo, s4
                                        ; implicit-def: $vgpr48_vgpr49
	s_and_saveexec_b32 s4, s10
	s_cbranch_execnz .LBB1634_300
.LBB1634_175:
	s_or_b32 exec_lo, exec_lo, s4
                                        ; implicit-def: $vgpr50_vgpr51
	s_and_saveexec_b32 s4, s11
	s_cbranch_execnz .LBB1634_301
.LBB1634_176:
	s_or_b32 exec_lo, exec_lo, s4
                                        ; implicit-def: $vgpr52_vgpr53
	s_and_saveexec_b32 s4, s14
	s_cbranch_execz .LBB1634_178
.LBB1634_177:
	flat_load_dwordx2 v[52:53], v[4:5] offset:1792
.LBB1634_178:
	s_or_b32 exec_lo, exec_lo, s4
	v_lshl_add_u32 v4, v14, 5, v12
	v_and_b32_e32 v15, 15, v54
	v_sub_co_u32 v17, s6, v54, 1
	s_getpc_b64 s[4:5]
	s_add_u32 s4, s4, _ZN7rocprim17ROCPRIM_400000_NS16block_radix_sortIbLj256ELj8ElLj1ELj1ELj8ELNS0_26block_radix_rank_algorithmE2ELNS0_18block_padding_hintE2ELNS0_4arch9wavefront6targetE0EE19radix_bits_per_passE@rel32@lo+4
	s_addc_u32 s5, s5, _ZN7rocprim17ROCPRIM_400000_NS16block_radix_sortIbLj256ELj8ElLj1ELj1ELj8ELNS0_26block_radix_rank_algorithmE2ELNS0_18block_padding_hintE2ELNS0_4arch9wavefront6targetE0EE19radix_bits_per_passE@rel32@hi+12
	v_add_nc_u32_e32 v9, 32, v4
	v_add_nc_u32_e32 v102, 36, v4
	;; [unrolled: 1-line block ×8, first 2 shown]
	v_and_b32_e32 v4, 0x3e0, v14
	v_lshlrev_b32_e32 v5, 3, v14
	s_load_dword s23, s[4:5], 0x0
	v_cmp_eq_u32_e32 vcc_lo, 0, v15
	v_cmp_lt_u32_e64 s4, 1, v15
	v_min_u32_e32 v4, 0xe0, v4
	v_cmp_lt_u32_e64 s5, 3, v15
	v_and_b32_e32 v16, 16, v54
	v_cmp_lt_u32_e64 s7, 7, v15
	v_lshrrev_b32_e32 v15, 3, v14
	v_or_b32_e32 v4, 31, v4
	v_cmp_gt_i32_e64 s11, 0, v17
	v_cmp_eq_u32_e64 s10, 0, v16
	v_and_or_b32 v5, 0x1f00, v5, v54
	v_lshrrev_b32_e32 v117, 5, v25
	v_cmp_gt_u32_e64 s14, 8, v14
	v_cndmask_b32_e64 v16, v17, v54, s11
	v_cmp_eq_u32_e64 s11, v14, v4
	v_and_b32_e32 v4, 0x7c, v15
	v_add_nc_u32_e32 v130, v12, v5
	v_and_b32_e32 v15, 7, v54
	v_cmp_lt_u32_e64 s15, 31, v14
	v_lshlrev_b32_e32 v118, 2, v16
	v_add_nc_u32_e32 v119, v12, v4
	v_mul_u32_u24_e32 v4, 7, v5
	v_cmp_eq_u32_e64 s16, 0, v14
	v_mov_b32_e32 v128, 0
	v_lshl_add_u32 v129, v14, 2, v12
	v_cmp_eq_u32_e64 s17, 0, v15
	v_add_nc_u32_e32 v135, v130, v4
	v_cmp_lt_u32_e64 s18, 1, v15
	v_cmp_lt_u32_e64 s19, 3, v15
	v_add_nc_u32_e32 v131, -4, v119
	v_add_nc_u32_e32 v132, 32, v130
	v_add_nc_u32_e32 v133, 64, v130
	;; [unrolled: 1-line block ×14, first 2 shown]
	v_sub_nc_u32_e32 v163, v11, v10
	s_mov_b32 s24, 0
	s_waitcnt vmcnt(0) lgkmcnt(0)
	s_waitcnt_vscnt null, 0x0
	s_barrier
	buffer_gl0_inv
	s_branch .LBB1634_180
.LBB1634_179:                           ;   in Loop: Header=BB1634_180 Depth=1
	s_or_b32 exec_lo, exec_lo, s21
	s_and_b32 s20, exec_lo, s26
	s_or_b32 s24, s20, s24
	s_andn2_b32 exec_lo, exec_lo, s24
	s_cbranch_execz .LBB1634_236
.LBB1634_180:                           ; =>This Inner Loop Header: Depth=1
	v_min_u32_e32 v4, s23, v163
	v_lshrrev_b32_sdwa v5, v10, v87 dst_sel:DWORD dst_unused:UNUSED_PAD src0_sel:DWORD src1_sel:BYTE_0
	v_mov_b32_e32 v28, v30
	v_mov_b32_e32 v29, v31
	;; [unrolled: 1-line block ×3, first 2 shown]
	v_lshlrev_b32_e64 v4, v4, -1
	v_mov_b32_e32 v27, v33
	v_mov_b32_e32 v23, v34
	;; [unrolled: 1-line block ×4, first 2 shown]
	v_not_b32_e32 v54, v4
	v_mov_b32_e32 v15, v48
	v_mov_b32_e32 v21, v50
	;; [unrolled: 1-line block ×4, first 2 shown]
	v_and_b32_e32 v55, v5, v54
	v_mov_b32_e32 v18, v39
	v_mov_b32_e32 v16, v49
	;; [unrolled: 1-line block ×3, first 2 shown]
	ds_write_b32 v9, v128
	ds_write_b32 v102, v128
	v_add_co_u32 v30, s20, v55, -1
	v_cndmask_b32_e64 v4, 0, 1, s20
	v_lshlrev_b32_e32 v31, 3, v55
	ds_write_b32 v103, v128
	ds_write_b32 v112, v128
	;; [unrolled: 1-line block ×5, first 2 shown]
	v_cmp_ne_u32_e64 s20, 0, v4
	v_add_lshl_u32 v31, v31, v117, 2
	v_mov_b32_e32 v4, v52
	v_mov_b32_e32 v5, v53
	ds_write_b32 v116, v128
	v_xor_b32_e32 v30, s20, v30
	v_add_co_u32 v31, null, v12, v31
	s_waitcnt lgkmcnt(0)
	s_barrier
	v_and_b32_e32 v32, exec_lo, v30
	v_add_co_u32 v31, null, v31, 32
	buffer_gl0_inv
	v_mbcnt_lo_u32_b32 v30, v32, 0
	v_cmp_ne_u32_e64 s21, 0, v32
	; wave barrier
	v_cmp_eq_u32_e64 s20, 0, v30
	s_and_b32 s21, s21, s20
	s_and_saveexec_b32 s20, s21
; %bb.181:                              ;   in Loop: Header=BB1634_180 Depth=1
	v_bcnt_u32_b32 v32, v32, 0
	ds_write_b32 v31, v32
; %bb.182:                              ;   in Loop: Header=BB1634_180 Depth=1
	s_or_b32 exec_lo, exec_lo, s20
	v_lshrrev_b32_sdwa v32, v10, v101 dst_sel:DWORD dst_unused:UNUSED_PAD src0_sel:DWORD src1_sel:BYTE_0
	; wave barrier
	v_and_b32_e32 v32, v32, v54
	v_add_co_u32 v33, s20, v32, -1
	v_cndmask_b32_e64 v34, 0, 1, s20
	v_lshl_add_u32 v32, v32, 3, v117
	v_cmp_ne_u32_e64 s20, 0, v34
	v_lshl_add_u32 v34, v32, 2, v12
	v_xor_b32_e32 v33, s20, v33
	ds_read_b32 v32, v34 offset:32
	v_add_nc_u32_e32 v34, 32, v34
	; wave barrier
	v_and_b32_e32 v35, exec_lo, v33
	v_mbcnt_lo_u32_b32 v33, v35, 0
	v_cmp_ne_u32_e64 s21, 0, v35
	v_cmp_eq_u32_e64 s20, 0, v33
	s_and_b32 s21, s21, s20
	s_and_saveexec_b32 s20, s21
	s_cbranch_execz .LBB1634_184
; %bb.183:                              ;   in Loop: Header=BB1634_180 Depth=1
	s_waitcnt lgkmcnt(0)
	v_bcnt_u32_b32 v35, v35, v32
	ds_write_b32 v34, v35
.LBB1634_184:                           ;   in Loop: Header=BB1634_180 Depth=1
	s_or_b32 exec_lo, exec_lo, s20
	v_lshrrev_b32_sdwa v35, v10, v86 dst_sel:DWORD dst_unused:UNUSED_PAD src0_sel:DWORD src1_sel:BYTE_0
	; wave barrier
	v_and_b32_e32 v35, v35, v54
	v_add_co_u32 v36, s20, v35, -1
	v_cndmask_b32_e64 v37, 0, 1, s20
	v_lshl_add_u32 v35, v35, 3, v117
	v_cmp_ne_u32_e64 s20, 0, v37
	v_lshl_add_u32 v37, v35, 2, v12
	v_xor_b32_e32 v36, s20, v36
	ds_read_b32 v35, v37 offset:32
	v_add_nc_u32_e32 v37, 32, v37
	; wave barrier
	v_and_b32_e32 v38, exec_lo, v36
	v_mbcnt_lo_u32_b32 v36, v38, 0
	v_cmp_ne_u32_e64 s21, 0, v38
	v_cmp_eq_u32_e64 s20, 0, v36
	s_and_b32 s21, s21, s20
	s_and_saveexec_b32 s20, s21
	s_cbranch_execz .LBB1634_186
; %bb.185:                              ;   in Loop: Header=BB1634_180 Depth=1
	s_waitcnt lgkmcnt(0)
	v_bcnt_u32_b32 v38, v38, v35
	ds_write_b32 v37, v38
.LBB1634_186:                           ;   in Loop: Header=BB1634_180 Depth=1
	;; [unrolled: 25-line block ×7, first 2 shown]
	s_or_b32 exec_lo, exec_lo, s20
	; wave barrier
	s_waitcnt lgkmcnt(0)
	s_barrier
	buffer_gl0_inv
	ds_read_b32 v70, v9
	ds_read_b32 v71, v102
	;; [unrolled: 1-line block ×8, first 2 shown]
	s_waitcnt lgkmcnt(6)
	v_add_nc_u32_e32 v85, v71, v70
	s_waitcnt lgkmcnt(4)
	v_add3_u32 v85, v85, v80, v81
	s_waitcnt lgkmcnt(2)
	v_add3_u32 v85, v85, v82, v83
	;; [unrolled: 2-line block ×3, first 2 shown]
	v_mov_b32_dpp v85, v84 row_shr:1 row_mask:0xf bank_mask:0xf
	v_cndmask_b32_e64 v85, v85, 0, vcc_lo
	v_add_nc_u32_e32 v84, v85, v84
	v_mov_b32_dpp v85, v84 row_shr:2 row_mask:0xf bank_mask:0xf
	v_cndmask_b32_e64 v85, 0, v85, s4
	v_add_nc_u32_e32 v84, v84, v85
	v_mov_b32_dpp v85, v84 row_shr:4 row_mask:0xf bank_mask:0xf
	v_cndmask_b32_e64 v85, 0, v85, s5
	;; [unrolled: 3-line block ×3, first 2 shown]
	v_add_nc_u32_e32 v84, v84, v85
	ds_swizzle_b32 v85, v84 offset:swizzle(BROADCAST,32,15)
	s_waitcnt lgkmcnt(0)
	v_cndmask_b32_e64 v85, v85, 0, s10
	v_add_nc_u32_e32 v84, v84, v85
	s_and_saveexec_b32 s20, s11
; %bb.197:                              ;   in Loop: Header=BB1634_180 Depth=1
	ds_write_b32 v119, v84
; %bb.198:                              ;   in Loop: Header=BB1634_180 Depth=1
	s_or_b32 exec_lo, exec_lo, s20
	s_waitcnt lgkmcnt(0)
	s_barrier
	buffer_gl0_inv
	s_and_saveexec_b32 s20, s14
	s_cbranch_execz .LBB1634_200
; %bb.199:                              ;   in Loop: Header=BB1634_180 Depth=1
	ds_read_b32 v85, v129
	s_waitcnt lgkmcnt(0)
	v_mov_b32_dpp v164, v85 row_shr:1 row_mask:0xf bank_mask:0xf
	v_cndmask_b32_e64 v164, v164, 0, s17
	v_add_nc_u32_e32 v85, v164, v85
	v_mov_b32_dpp v164, v85 row_shr:2 row_mask:0xf bank_mask:0xf
	v_cndmask_b32_e64 v164, 0, v164, s18
	v_add_nc_u32_e32 v85, v85, v164
	;; [unrolled: 3-line block ×3, first 2 shown]
	ds_write_b32 v129, v85
.LBB1634_200:                           ;   in Loop: Header=BB1634_180 Depth=1
	s_or_b32 exec_lo, exec_lo, s20
	v_mov_b32_e32 v85, 0
	s_waitcnt lgkmcnt(0)
	s_barrier
	buffer_gl0_inv
	s_and_saveexec_b32 s20, s15
; %bb.201:                              ;   in Loop: Header=BB1634_180 Depth=1
	ds_read_b32 v85, v131
; %bb.202:                              ;   in Loop: Header=BB1634_180 Depth=1
	s_or_b32 exec_lo, exec_lo, s20
	s_waitcnt lgkmcnt(0)
	v_add_nc_u32_e32 v84, v85, v84
	v_add_nc_u32_e32 v10, 8, v10
	v_mov_b32_e32 v180, v87
	v_mov_b32_e32 v181, v101
	;; [unrolled: 1-line block ×3, first 2 shown]
	ds_bpermute_b32 v84, v118, v84
	v_mov_b32_e32 v183, v98
	v_mov_b32_e32 v192, v99
	;; [unrolled: 1-line block ×5, first 2 shown]
	v_cmp_lt_u32_e64 s20, v10, v11
	s_mov_b32 s26, -1
	s_waitcnt lgkmcnt(0)
	v_cndmask_b32_e64 v84, v84, v85, s6
	v_cndmask_b32_e64 v84, v84, 0, s16
	v_add_nc_u32_e32 v70, v84, v70
	v_add_nc_u32_e32 v71, v70, v71
	ds_write_b32 v9, v84
	ds_write_b32 v102, v70
	;; [unrolled: 1-line block ×3, first 2 shown]
	v_add_nc_u32_e32 v80, v71, v80
	v_add_nc_u32_e32 v81, v80, v81
	;; [unrolled: 1-line block ×5, first 2 shown]
	ds_write_b32 v112, v80
	ds_write_b32 v113, v81
	;; [unrolled: 1-line block ×5, first 2 shown]
	s_waitcnt lgkmcnt(0)
	s_barrier
	buffer_gl0_inv
	ds_read_b32 v31, v31
	ds_read_b32 v34, v34
	;; [unrolled: 1-line block ×8, first 2 shown]
	s_waitcnt lgkmcnt(0)
	v_add_nc_u32_e32 v179, v31, v30
	v_add3_u32 v178, v33, v32, v34
	v_add3_u32 v177, v36, v35, v37
	;; [unrolled: 1-line block ×6, first 2 shown]
	v_add_co_u32 v66, s21, v12, v179
	v_add3_u32 v164, v67, v54, v68
	v_add_co_ci_u32_e64 v67, null, 0, v13, s21
	v_add_co_u32 v70, s21, v12, v178
	v_add_co_ci_u32_e64 v71, null, 0, v13, s21
	v_add_co_u32 v54, s21, v12, v177
	v_add_co_ci_u32_e64 v55, null, 0, v13, s21
	v_add_co_u32 v64, s21, v12, v176
	v_add_co_ci_u32_e64 v65, null, 0, v13, s21
	v_add_co_u32 v68, s21, v12, v167
	v_add_co_ci_u32_e64 v69, null, 0, v13, s21
	v_add_co_u32 v80, s21, v12, v166
	v_add_co_ci_u32_e64 v81, null, 0, v13, s21
	v_add_co_u32 v82, s21, v12, v165
	v_add_co_ci_u32_e64 v83, null, 0, v13, s21
	v_add_co_u32 v84, s21, v12, v164
	v_add_co_ci_u32_e64 v85, null, 0, v13, s21
                                        ; implicit-def: $vgpr30_vgpr31
                                        ; implicit-def: $vgpr32_vgpr33
                                        ; implicit-def: $vgpr34_vgpr35
                                        ; implicit-def: $vgpr36_vgpr37
                                        ; implicit-def: $vgpr38_vgpr39
                                        ; implicit-def: $vgpr48_vgpr49
                                        ; implicit-def: $vgpr50_vgpr51
                                        ; implicit-def: $vgpr52_vgpr53
	s_and_saveexec_b32 s21, s20
	s_cbranch_execz .LBB1634_179
; %bb.203:                              ;   in Loop: Header=BB1634_180 Depth=1
	v_mad_u64_u32 v[30:31], null, v179, 7, v[66:67]
	v_mad_u64_u32 v[31:32], null, v178, 7, v[70:71]
	;; [unrolled: 1-line block ×8, first 2 shown]
	s_barrier
	buffer_gl0_inv
	ds_write_b8 v66, v87
	ds_write_b8 v70, v101
	;; [unrolled: 1-line block ×8, first 2 shown]
	s_waitcnt lgkmcnt(0)
	s_barrier
	buffer_gl0_inv
	ds_read_u8 v100, v147
	ds_read_u8 v97, v146
	;; [unrolled: 1-line block ×8, first 2 shown]
	s_waitcnt lgkmcnt(0)
	s_barrier
	buffer_gl0_inv
	ds_write_b64 v30, v[28:29]
	ds_write_b64 v31, v[26:27]
	ds_write_b64 v32, v[23:24]
	ds_write_b64 v33, v[19:20]
	ds_write_b64 v34, v[17:18]
	ds_write_b64 v35, v[15:16]
	ds_write_b64 v36, v[21:22]
	ds_write_b64 v37, v[4:5]
	s_waitcnt lgkmcnt(0)
	s_barrier
	buffer_gl0_inv
	ds_read_b64 v[30:31], v135
	ds_read_b64 v[32:33], v148
	;; [unrolled: 1-line block ×8, first 2 shown]
	v_add_nc_u32_e32 v163, -8, v163
	s_xor_b32 s26, exec_lo, -1
	s_waitcnt lgkmcnt(0)
	s_barrier
	buffer_gl0_inv
	s_branch .LBB1634_179
.LBB1634_204:
	flat_load_dwordx2 v[70:71], v[4:5]
	s_or_b32 exec_lo, exec_lo, s24
                                        ; implicit-def: $vgpr80_vgpr81
	s_and_saveexec_b32 s24, s4
	s_cbranch_execz .LBB1634_38
.LBB1634_205:
	flat_load_dwordx2 v[80:81], v[4:5] offset:256
	s_or_b32 exec_lo, exec_lo, s24
                                        ; implicit-def: $vgpr82_vgpr83
	s_and_saveexec_b32 s4, s5
	s_cbranch_execz .LBB1634_39
.LBB1634_206:
	flat_load_dwordx2 v[82:83], v[4:5] offset:512
	s_or_b32 exec_lo, exec_lo, s4
                                        ; implicit-def: $vgpr84_vgpr85
	s_and_saveexec_b32 s4, s6
	s_cbranch_execz .LBB1634_40
.LBB1634_207:
	flat_load_dwordx2 v[84:85], v[4:5] offset:768
	s_or_b32 exec_lo, exec_lo, s4
                                        ; implicit-def: $vgpr86_vgpr87
	s_and_saveexec_b32 s4, s7
	s_cbranch_execz .LBB1634_41
.LBB1634_208:
	flat_load_dwordx2 v[86:87], v[4:5] offset:1024
	s_or_b32 exec_lo, exec_lo, s4
                                        ; implicit-def: $vgpr96_vgpr97
	s_and_saveexec_b32 s4, s10
	s_cbranch_execz .LBB1634_42
.LBB1634_209:
	flat_load_dwordx2 v[96:97], v[4:5] offset:1280
	s_or_b32 exec_lo, exec_lo, s4
                                        ; implicit-def: $vgpr98_vgpr99
	s_and_saveexec_b32 s4, s11
	s_cbranch_execz .LBB1634_43
.LBB1634_210:
	flat_load_dwordx2 v[98:99], v[4:5] offset:1536
	s_or_b32 exec_lo, exec_lo, s4
                                        ; implicit-def: $vgpr100_vgpr101
	s_and_saveexec_b32 s4, s14
	s_cbranch_execz .LBB1634_44
.LBB1634_211:
	flat_load_dwordx2 v[100:101], v[4:5] offset:1792
	s_or_b32 exec_lo, exec_lo, s4
                                        ; implicit-def: $vgpr102_vgpr103
	s_and_saveexec_b32 s4, s15
	s_cbranch_execz .LBB1634_45
.LBB1634_212:
	v_add_co_u32 v15, vcc_lo, 0x800, v4
	v_add_co_ci_u32_e64 v16, null, 0, v5, vcc_lo
	flat_load_dwordx2 v[102:103], v[15:16]
	s_or_b32 exec_lo, exec_lo, s4
                                        ; implicit-def: $vgpr112_vgpr113
	s_and_saveexec_b32 s4, s16
	s_cbranch_execz .LBB1634_46
.LBB1634_213:
	v_add_co_u32 v15, vcc_lo, 0x800, v4
	v_add_co_ci_u32_e64 v16, null, 0, v5, vcc_lo
	flat_load_dwordx2 v[112:113], v[15:16] offset:256
	s_or_b32 exec_lo, exec_lo, s4
                                        ; implicit-def: $vgpr114_vgpr115
	s_and_saveexec_b32 s4, s17
	s_cbranch_execz .LBB1634_47
.LBB1634_214:
	v_add_co_u32 v15, vcc_lo, 0x800, v4
	v_add_co_ci_u32_e64 v16, null, 0, v5, vcc_lo
	flat_load_dwordx2 v[114:115], v[15:16] offset:512
	s_or_b32 exec_lo, exec_lo, s4
                                        ; implicit-def: $vgpr116_vgpr117
	s_and_saveexec_b32 s4, s18
	s_cbranch_execz .LBB1634_48
.LBB1634_215:
	v_add_co_u32 v15, vcc_lo, 0x800, v4
	v_add_co_ci_u32_e64 v16, null, 0, v5, vcc_lo
	flat_load_dwordx2 v[116:117], v[15:16] offset:768
	s_or_b32 exec_lo, exec_lo, s4
                                        ; implicit-def: $vgpr118_vgpr119
	s_and_saveexec_b32 s4, s19
	s_cbranch_execz .LBB1634_49
.LBB1634_216:
	v_add_co_u32 v15, vcc_lo, 0x800, v4
	v_add_co_ci_u32_e64 v16, null, 0, v5, vcc_lo
	flat_load_dwordx2 v[118:119], v[15:16] offset:1024
	s_or_b32 exec_lo, exec_lo, s4
                                        ; implicit-def: $vgpr128_vgpr129
	s_and_saveexec_b32 s4, s20
	s_cbranch_execz .LBB1634_50
.LBB1634_217:
	v_add_co_u32 v15, vcc_lo, 0x800, v4
	v_add_co_ci_u32_e64 v16, null, 0, v5, vcc_lo
	flat_load_dwordx2 v[128:129], v[15:16] offset:1280
	s_or_b32 exec_lo, exec_lo, s4
                                        ; implicit-def: $vgpr130_vgpr131
	s_and_saveexec_b32 s4, s21
	s_cbranch_execz .LBB1634_51
.LBB1634_218:
	v_add_co_u32 v15, vcc_lo, 0x800, v4
	v_add_co_ci_u32_e64 v16, null, 0, v5, vcc_lo
	flat_load_dwordx2 v[130:131], v[15:16] offset:1536
	s_or_b32 exec_lo, exec_lo, s4
                                        ; implicit-def: $vgpr144_vgpr145
	s_and_saveexec_b32 s4, s22
	s_cbranch_execz .LBB1634_52
.LBB1634_219:
	v_add_co_u32 v15, vcc_lo, 0x800, v4
	v_add_co_ci_u32_e64 v16, null, 0, v5, vcc_lo
	flat_load_dwordx2 v[144:145], v[15:16] offset:1792
	s_or_b32 exec_lo, exec_lo, s4
                                        ; implicit-def: $vgpr162_vgpr163
	s_and_saveexec_b32 s4, s23
	s_cbranch_execnz .LBB1634_53
	s_branch .LBB1634_54
.LBB1634_220:
	flat_store_dwordx2 v[0:1], v[48:49]
	s_or_b32 exec_lo, exec_lo, s24
	s_and_saveexec_b32 s24, s21
	s_cbranch_execz .LBB1634_134
.LBB1634_221:
	v_add_co_u32 v2, s16, 0x800, v0
	v_add_co_ci_u32_e64 v3, null, 0, v1, s16
	flat_store_dwordx2 v[2:3], v[50:51]
	s_or_b32 exec_lo, exec_lo, s24
	s_and_saveexec_b32 s21, s19
	s_cbranch_execz .LBB1634_135
.LBB1634_222:
	v_add_co_u32 v2, s16, 0x1000, v0
	v_add_co_ci_u32_e64 v3, null, 0, v1, s16
	flat_store_dwordx2 v[2:3], v[33:34]
	s_or_b32 exec_lo, exec_lo, s21
	s_and_saveexec_b32 s19, s17
	s_cbranch_execz .LBB1634_136
.LBB1634_223:
	v_add_co_u32 v2, s16, 0x1800, v0
	v_add_co_ci_u32_e64 v3, null, 0, v1, s16
	flat_store_dwordx2 v[2:3], v[35:36]
	s_or_b32 exec_lo, exec_lo, s19
	s_and_saveexec_b32 s16, s14
	s_cbranch_execz .LBB1634_137
.LBB1634_224:
	v_add_co_u32 v2, s14, 0x2000, v0
	v_add_co_ci_u32_e64 v3, null, 0, v1, s14
	flat_store_dwordx2 v[2:3], v[29:30]
	s_or_b32 exec_lo, exec_lo, s16
	s_and_saveexec_b32 s14, s10
	s_cbranch_execz .LBB1634_138
.LBB1634_225:
	v_add_co_u32 v2, s10, 0x2800, v0
	v_add_co_ci_u32_e64 v3, null, 0, v1, s10
	flat_store_dwordx2 v[2:3], v[31:32]
	s_or_b32 exec_lo, exec_lo, s14
	s_and_saveexec_b32 s10, s6
	s_cbranch_execz .LBB1634_139
.LBB1634_226:
	v_add_co_u32 v2, s6, 0x3000, v0
	v_add_co_ci_u32_e64 v3, null, 0, v1, s6
	flat_store_dwordx2 v[2:3], v[25:26]
	s_or_b32 exec_lo, exec_lo, s10
	s_and_saveexec_b32 s6, s4
	s_cbranch_execz .LBB1634_140
.LBB1634_227:
	v_add_co_u32 v2, s4, 0x3800, v0
	v_add_co_ci_u32_e64 v3, null, 0, v1, s4
	flat_store_dwordx2 v[2:3], v[27:28]
	s_or_b32 exec_lo, exec_lo, s6
	s_and_saveexec_b32 s4, vcc_lo
	s_cbranch_execz .LBB1634_141
.LBB1634_228:
	v_add_co_u32 v2, vcc_lo, 0x4000, v0
	v_add_co_ci_u32_e64 v3, null, 0, v1, vcc_lo
	flat_store_dwordx2 v[2:3], v[21:22]
	s_or_b32 exec_lo, exec_lo, s4
	s_and_saveexec_b32 s4, s5
	s_cbranch_execz .LBB1634_142
.LBB1634_229:
	v_add_co_u32 v2, vcc_lo, 0x4800, v0
	v_add_co_ci_u32_e64 v3, null, 0, v1, vcc_lo
	flat_store_dwordx2 v[2:3], v[23:24]
	s_or_b32 exec_lo, exec_lo, s4
	s_and_saveexec_b32 s4, s7
	s_cbranch_execz .LBB1634_143
.LBB1634_230:
	v_add_co_u32 v2, vcc_lo, 0x5000, v0
	v_add_co_ci_u32_e64 v3, null, 0, v1, vcc_lo
	flat_store_dwordx2 v[2:3], v[17:18]
	s_or_b32 exec_lo, exec_lo, s4
	s_and_saveexec_b32 s4, s11
	s_cbranch_execz .LBB1634_144
.LBB1634_231:
	v_add_co_u32 v2, vcc_lo, 0x5800, v0
	v_add_co_ci_u32_e64 v3, null, 0, v1, vcc_lo
	flat_store_dwordx2 v[2:3], v[19:20]
	s_or_b32 exec_lo, exec_lo, s4
	s_and_saveexec_b32 s4, s15
	s_cbranch_execz .LBB1634_145
.LBB1634_232:
	v_add_co_u32 v2, vcc_lo, 0x6000, v0
	v_add_co_ci_u32_e64 v3, null, 0, v1, vcc_lo
	flat_store_dwordx2 v[2:3], v[13:14]
	s_or_b32 exec_lo, exec_lo, s4
	s_and_saveexec_b32 s4, s18
	s_cbranch_execz .LBB1634_146
.LBB1634_233:
	v_add_co_u32 v2, vcc_lo, 0x6800, v0
	v_add_co_ci_u32_e64 v3, null, 0, v1, vcc_lo
	flat_store_dwordx2 v[2:3], v[15:16]
	s_or_b32 exec_lo, exec_lo, s4
	s_and_saveexec_b32 s4, s20
	s_cbranch_execz .LBB1634_147
.LBB1634_234:
	v_add_co_u32 v2, vcc_lo, 0x7000, v0
	v_add_co_ci_u32_e64 v3, null, 0, v1, vcc_lo
	flat_store_dwordx2 v[2:3], v[9:10]
	s_or_b32 exec_lo, exec_lo, s4
	s_and_saveexec_b32 s4, s22
	s_cbranch_execz .LBB1634_148
.LBB1634_235:
	v_add_co_u32 v2, vcc_lo, 0x7800, v0
	v_add_co_ci_u32_e64 v3, null, 0, v1, vcc_lo
	flat_store_dwordx2 v[2:3], v[11:12]
	s_or_b32 exec_lo, exec_lo, s4
	s_and_saveexec_b32 s4, s23
	s_cbranch_execnz .LBB1634_149
	s_branch .LBB1634_150
.LBB1634_236:
	s_or_b32 exec_lo, exec_lo, s24
	v_mad_u64_u32 v[9:10], null, v179, 7, v[66:67]
	v_mad_u64_u32 v[10:11], null, v178, 7, v[70:71]
	v_add_nc_u32_e32 v38, v12, v14
	s_barrier
	buffer_gl0_inv
	ds_write_b8 v66, v180
	ds_write_b8 v70, v181
	;; [unrolled: 1-line block ×8, first 2 shown]
	s_waitcnt lgkmcnt(0)
	s_barrier
	buffer_gl0_inv
	ds_read_u8 v37, v38
	ds_read_u8 v36, v38 offset:256
	ds_read_u8 v35, v38 offset:512
	;; [unrolled: 1-line block ×7, first 2 shown]
	s_waitcnt lgkmcnt(0)
	s_barrier
	buffer_gl0_inv
	ds_write_b64 v9, v[28:29]
	ds_write_b64 v10, v[26:27]
	v_mad_u64_u32 v[9:10], null, v177, 7, v[54:55]
	v_mad_u64_u32 v[26:27], null, v165, 7, v[82:83]
	;; [unrolled: 1-line block ×4, first 2 shown]
	ds_write_b64 v9, v[23:24]
	v_mul_u32_u24_e32 v9, 7, v14
	v_mad_u64_u32 v[11:12], null, v167, 7, v[68:69]
	v_mad_u64_u32 v[12:13], null, v166, 7, v[80:81]
	v_add_nc_u32_e32 v9, v38, v9
	ds_write_b64 v10, v[19:20]
	ds_write_b64 v11, v[17:18]
	ds_write_b64 v12, v[15:16]
	ds_write_b64 v26, v[21:22]
	ds_write_b64 v27, v[4:5]
	s_waitcnt lgkmcnt(0)
	s_barrier
	buffer_gl0_inv
	ds_read2st64_b64 v[21:24], v9 offset1:4
	ds_read2st64_b64 v[17:20], v9 offset0:8 offset1:12
	ds_read2st64_b64 v[13:16], v9 offset0:16 offset1:20
	;; [unrolled: 1-line block ×3, first 2 shown]
	v_add_co_u32 v2, vcc_lo, v2, v8
	v_add_co_ci_u32_e64 v3, null, 0, v3, vcc_lo
	v_mov_b32_e32 v26, 0
	v_add_co_u32 v2, vcc_lo, v2, v25
	v_add_co_ci_u32_e64 v3, null, 0, v3, vcc_lo
	v_cmp_lt_u32_e64 s7, v25, v210
	s_waitcnt lgkmcnt(0)
	s_barrier
	buffer_gl0_inv
	s_and_saveexec_b32 s4, s7
	s_cbranch_execz .LBB1634_238
; %bb.237:
	flat_store_byte v[2:3], v37
.LBB1634_238:
	s_or_b32 exec_lo, exec_lo, s4
	v_add_nc_u32_e32 v4, 0x100, v25
	v_cmp_lt_u32_e64 s14, v4, v210
	s_and_saveexec_b32 s4, s14
	s_cbranch_execz .LBB1634_240
; %bb.239:
	flat_store_byte v[2:3], v36 offset:256
.LBB1634_240:
	s_or_b32 exec_lo, exec_lo, s4
	v_add_nc_u32_e32 v4, 0x200, v25
	v_cmp_lt_u32_e64 s11, v4, v210
	s_and_saveexec_b32 s4, s11
	s_cbranch_execz .LBB1634_242
; %bb.241:
	flat_store_byte v[2:3], v35 offset:512
.LBB1634_242:
	;; [unrolled: 8-line block ×6, first 2 shown]
	s_or_b32 exec_lo, exec_lo, s15
	v_add_nc_u32_e32 v4, 0x700, v25
	v_cmp_lt_u32_e32 vcc_lo, v4, v210
	s_and_saveexec_b32 s15, vcc_lo
	s_cbranch_execz .LBB1634_252
; %bb.251:
	flat_store_byte v[2:3], v30 offset:1792
.LBB1634_252:
	s_or_b32 exec_lo, exec_lo, s15
	v_lshlrev_b64 v[2:3], 3, v[25:26]
	v_add_co_u32 v0, s15, v6, v0
	v_add_co_ci_u32_e64 v1, null, v7, v1, s15
	v_add_co_u32 v0, s15, v0, v2
	v_add_co_ci_u32_e64 v1, null, v1, v3, s15
	s_and_saveexec_b32 s15, s7
	s_cbranch_execnz .LBB1634_302
; %bb.253:
	s_or_b32 exec_lo, exec_lo, s15
	s_and_saveexec_b32 s15, s14
	s_cbranch_execnz .LBB1634_303
.LBB1634_254:
	s_or_b32 exec_lo, exec_lo, s15
	s_and_saveexec_b32 s14, s11
	s_cbranch_execnz .LBB1634_304
.LBB1634_255:
	s_or_b32 exec_lo, exec_lo, s14
	s_and_saveexec_b32 s11, s10
	s_cbranch_execnz .LBB1634_305
.LBB1634_256:
	s_or_b32 exec_lo, exec_lo, s11
	s_and_saveexec_b32 s7, s6
	s_cbranch_execnz .LBB1634_306
.LBB1634_257:
	s_or_b32 exec_lo, exec_lo, s7
	s_and_saveexec_b32 s6, s5
	s_cbranch_execnz .LBB1634_307
.LBB1634_258:
	s_or_b32 exec_lo, exec_lo, s6
	s_and_saveexec_b32 s5, s4
	s_cbranch_execnz .LBB1634_308
.LBB1634_259:
	s_or_b32 exec_lo, exec_lo, s5
	s_and_saveexec_b32 s4, vcc_lo
	s_cbranch_execz .LBB1634_261
.LBB1634_260:
	v_add_co_u32 v0, vcc_lo, 0x3800, v0
	v_add_co_ci_u32_e64 v1, null, 0, v1, vcc_lo
	flat_store_dwordx2 v[0:1], v[11:12]
.LBB1634_261:
	s_or_b32 exec_lo, exec_lo, s4
                                        ; implicit-def: $vgpr210
                                        ; implicit-def: $vgpr0
                                        ; implicit-def: $vgpr1
                                        ; implicit-def: $vgpr2
                                        ; implicit-def: $vgpr3
                                        ; implicit-def: $vgpr4
                                        ; implicit-def: $vgpr5
                                        ; implicit-def: $vgpr6
                                        ; implicit-def: $vgpr7
                                        ; implicit-def: $vgpr8
                                        ; implicit-def: $vgpr10
                                        ; implicit-def: $vgpr11
                                        ; implicit-def: $vgpr12
                                        ; implicit-def: $vgpr13
                                        ; implicit-def: $vgpr15
                                        ; implicit-def: $vgpr16
                                        ; implicit-def: $vgpr14
                                        ; implicit-def: $vgpr54
.LBB1634_262:
	s_andn2_saveexec_b32 s4, s22
	s_cbranch_execz .LBB1634_382
; %bb.263:
	s_mov_b32 s4, exec_lo
	v_cmpx_lt_u32_e32 0x200, v210
	s_xor_b32 s22, exec_lo, s4
	s_cbranch_execz .LBB1634_323
; %bb.264:
	s_load_dwordx2 s[4:5], s[8:9], 0x0
	v_mov_b32_e32 v9, 0
	v_add_co_u32 v0, vcc_lo, v0, v8
	v_add_co_ci_u32_e64 v1, null, 0, v1, vcc_lo
	v_mov_b32_e32 v48, 1
	v_add_co_u32 v0, vcc_lo, v0, v54
	v_add_co_ci_u32_e64 v1, null, 0, v1, vcc_lo
	v_mov_b32_e32 v49, 1
	v_mov_b32_e32 v50, 1
	s_waitcnt lgkmcnt(0)
	s_cmp_lt_u32 s13, s5
	s_cselect_b32 s5, 14, 20
	s_add_u32 s6, s8, s5
	s_addc_u32 s7, s9, 0
	s_cmp_lt_u32 s12, s4
	global_load_ushort v17, v9, s[6:7]
	s_cselect_b32 s4, 12, 18
	s_add_u32 s4, s8, s4
	s_addc_u32 s5, s9, 0
	global_load_ushort v18, v9, s[4:5]
	s_waitcnt vmcnt(1)
	v_mad_u32_u24 v15, v16, v17, v15
	v_mov_b32_e32 v16, v9
	s_waitcnt vmcnt(0)
	v_mad_u64_u32 v[17:18], null, v15, v18, v[14:15]
	v_lshlrev_b32_e32 v15, 2, v17
	v_and_b32_e32 v15, 0xffffff80, v15
	v_or_b32_e32 v18, v15, v54
	v_add_co_u32 v0, vcc_lo, v0, v15
	v_add_co_ci_u32_e64 v1, null, 0, v1, vcc_lo
	v_cmp_lt_u32_e32 vcc_lo, v18, v210
	s_and_saveexec_b32 s4, vcc_lo
	s_cbranch_execz .LBB1634_266
; %bb.265:
	flat_load_ubyte v49, v[0:1]
	v_mov_b32_e32 v50, 1
.LBB1634_266:
	s_or_b32 exec_lo, exec_lo, s4
	v_or_b32_e32 v19, 32, v18
	v_mov_b32_e32 v51, v48
	v_cmp_lt_u32_e64 s4, v19, v210
	s_and_saveexec_b32 s5, s4
	s_cbranch_execz .LBB1634_268
; %bb.267:
	flat_load_ubyte v51, v[0:1] offset:32
.LBB1634_268:
	s_or_b32 exec_lo, exec_lo, s5
	v_or_b32_e32 v19, 64, v18
	v_cmp_lt_u32_e64 s5, v19, v210
	s_and_saveexec_b32 s6, s5
	s_cbranch_execz .LBB1634_270
; %bb.269:
	flat_load_ubyte v48, v[0:1] offset:64
.LBB1634_270:
	s_or_b32 exec_lo, exec_lo, s6
	v_or_b32_e32 v18, 0x60, v18
	v_cmp_lt_u32_e64 s6, v18, v210
	s_and_saveexec_b32 s7, s6
	s_cbranch_execz .LBB1634_272
; %bb.271:
	flat_load_ubyte v50, v[0:1] offset:96
.LBB1634_272:
	s_or_b32 exec_lo, exec_lo, s7
	v_lshlrev_b64 v[0:1], 3, v[8:9]
	v_lshlrev_b32_e32 v9, 3, v54
                                        ; implicit-def: $vgpr22_vgpr23
	v_add_co_u32 v18, s7, v4, v0
	v_add_co_ci_u32_e64 v19, null, v5, v1, s7
	v_lshlrev_b64 v[4:5], 3, v[15:16]
	v_add_co_u32 v9, s7, v18, v9
	v_add_co_ci_u32_e64 v15, null, 0, v19, s7
	v_add_co_u32 v4, s7, v9, v4
	v_add_co_ci_u32_e64 v5, null, v15, v5, s7
	s_and_saveexec_b32 s7, vcc_lo
	s_cbranch_execnz .LBB1634_347
; %bb.273:
	s_or_b32 exec_lo, exec_lo, s7
                                        ; implicit-def: $vgpr24_vgpr25
	s_and_saveexec_b32 s7, s4
	s_cbranch_execnz .LBB1634_348
.LBB1634_274:
	s_or_b32 exec_lo, exec_lo, s7
                                        ; implicit-def: $vgpr26_vgpr27
	s_and_saveexec_b32 s4, s5
	s_cbranch_execnz .LBB1634_349
.LBB1634_275:
	s_or_b32 exec_lo, exec_lo, s4
                                        ; implicit-def: $vgpr28_vgpr29
	s_and_saveexec_b32 s4, s6
	s_cbranch_execz .LBB1634_277
.LBB1634_276:
	flat_load_dwordx2 v[28:29], v[4:5] offset:768
.LBB1634_277:
	s_or_b32 exec_lo, exec_lo, s4
	v_lshl_add_u32 v4, v14, 5, v12
	v_and_b32_e32 v5, 0x3e0, v14
	v_sub_co_u32 v16, s6, v54, 1
	v_and_b32_e32 v15, 15, v54
	v_add_nc_u32_e32 v9, 32, v4
	v_add_nc_u32_e32 v52, 36, v4
	;; [unrolled: 1-line block ×8, first 2 shown]
	v_min_u32_e32 v4, 0xe0, v5
	v_and_b32_e32 v5, 16, v54
	v_cmp_gt_i32_e64 s14, 0, v16
	s_getpc_b64 s[4:5]
	s_add_u32 s4, s4, _ZN7rocprim17ROCPRIM_400000_NS16block_radix_sortIbLj256ELj4ElLj1ELj1ELj8ELNS0_26block_radix_rank_algorithmE2ELNS0_18block_padding_hintE2ELNS0_4arch9wavefront6targetE0EE19radix_bits_per_passE@rel32@lo+4
	s_addc_u32 s5, s5, _ZN7rocprim17ROCPRIM_400000_NS16block_radix_sortIbLj256ELj4ElLj1ELj1ELj8ELNS0_26block_radix_rank_algorithmE2ELNS0_18block_padding_hintE2ELNS0_4arch9wavefront6targetE0EE19radix_bits_per_passE@rel32@hi+12
	v_cmp_eq_u32_e32 vcc_lo, 0, v15
	s_load_dword s23, s[4:5], 0x0
	v_cmp_lt_u32_e64 s4, 1, v15
	v_cmp_lt_u32_e64 s5, 3, v15
	v_or_b32_e32 v4, 31, v4
	v_cmp_lt_u32_e64 s7, 7, v15
	v_cmp_eq_u32_e64 s10, 0, v5
	v_cndmask_b32_e64 v5, v16, v54, s14
	v_lshlrev_b32_e32 v15, 2, v14
	v_cmp_eq_u32_e64 s11, v14, v4
	v_lshrrev_b32_e32 v4, 3, v14
	v_lshrrev_b32_e32 v68, 5, v17
	v_lshlrev_b32_e32 v69, 2, v5
	v_and_or_b32 v5, 0xf80, v15, v54
	v_cmp_gt_u32_e64 s14, 8, v14
	v_and_b32_e32 v4, 0x7c, v4
	v_cmp_lt_u32_e64 s15, 31, v14
	v_cmp_eq_u32_e64 s16, 0, v14
	v_add_nc_u32_e32 v71, v12, v5
	v_mul_u32_u24_e32 v5, 7, v5
	v_add_nc_u32_e32 v70, v12, v4
	v_and_b32_e32 v4, 7, v54
	v_mov_b32_e32 v54, 0
	v_add_nc_u32_e32 v80, v12, v15
	v_add_nc_u32_e32 v81, v71, v5
	v_add_nc_u32_e32 v82, -4, v70
	v_cmp_eq_u32_e64 s17, 0, v4
	v_cmp_lt_u32_e64 s18, 1, v4
	v_cmp_lt_u32_e64 s19, 3, v4
	v_add_nc_u32_e32 v83, 32, v71
	v_add_nc_u32_e32 v84, 64, v71
	;; [unrolled: 1-line block ×6, first 2 shown]
	v_sub_nc_u32_e32 v97, v11, v10
	s_mov_b32 s24, 0
	s_waitcnt vmcnt(0) lgkmcnt(0)
	s_waitcnt_vscnt null, 0x0
	s_barrier
	buffer_gl0_inv
	s_branch .LBB1634_279
.LBB1634_278:                           ;   in Loop: Header=BB1634_279 Depth=1
	s_or_b32 exec_lo, exec_lo, s21
	s_and_b32 s20, exec_lo, s26
	s_or_b32 s24, s20, s24
	s_andn2_b32 exec_lo, exec_lo, s24
	s_cbranch_execz .LBB1634_309
.LBB1634_279:                           ; =>This Inner Loop Header: Depth=1
	v_min_u32_e32 v4, s23, v97
	v_lshrrev_b32_sdwa v5, v10, v49 dst_sel:DWORD dst_unused:UNUSED_PAD src0_sel:DWORD src1_sel:BYTE_0
	v_mov_b32_e32 v18, v22
	v_mov_b32_e32 v19, v23
	;; [unrolled: 1-line block ×3, first 2 shown]
	v_lshlrev_b32_e64 v4, v4, -1
	v_mov_b32_e32 v16, v25
	v_mov_b32_e32 v20, v26
	;; [unrolled: 1-line block ×3, first 2 shown]
	ds_write_b32 v9, v54
	ds_write_b32 v52, v54
	v_not_b32_e32 v30, v4
	ds_write_b32 v53, v54
	ds_write_b32 v55, v54
	;; [unrolled: 1-line block ×6, first 2 shown]
	v_and_b32_e32 v31, v5, v30
	s_waitcnt lgkmcnt(0)
	s_barrier
	buffer_gl0_inv
	v_add_co_u32 v32, s20, v31, -1
	v_cndmask_b32_e64 v4, 0, 1, s20
	v_lshlrev_b32_e32 v23, 3, v31
	; wave barrier
	v_cmp_ne_u32_e64 s20, 0, v4
	v_add_lshl_u32 v23, v23, v68, 2
	v_mov_b32_e32 v4, v28
	v_mov_b32_e32 v5, v29
	v_xor_b32_e32 v22, s20, v32
	v_add_co_u32 v23, null, v12, v23
	v_and_b32_e32 v24, exec_lo, v22
	v_add_co_u32 v23, null, v23, 32
	v_mbcnt_lo_u32_b32 v22, v24, 0
	v_cmp_ne_u32_e64 s21, 0, v24
	v_cmp_eq_u32_e64 s20, 0, v22
	s_and_b32 s21, s21, s20
	s_and_saveexec_b32 s20, s21
; %bb.280:                              ;   in Loop: Header=BB1634_279 Depth=1
	v_bcnt_u32_b32 v24, v24, 0
	ds_write_b32 v23, v24
; %bb.281:                              ;   in Loop: Header=BB1634_279 Depth=1
	s_or_b32 exec_lo, exec_lo, s20
	v_lshrrev_b32_sdwa v24, v10, v51 dst_sel:DWORD dst_unused:UNUSED_PAD src0_sel:DWORD src1_sel:BYTE_0
	; wave barrier
	v_and_b32_e32 v24, v24, v30
	v_add_co_u32 v25, s20, v24, -1
	v_cndmask_b32_e64 v26, 0, 1, s20
	v_lshl_add_u32 v24, v24, 3, v68
	v_cmp_ne_u32_e64 s20, 0, v26
	v_lshl_add_u32 v26, v24, 2, v12
	v_xor_b32_e32 v25, s20, v25
	ds_read_b32 v24, v26 offset:32
	v_add_nc_u32_e32 v26, 32, v26
	; wave barrier
	v_and_b32_e32 v27, exec_lo, v25
	v_mbcnt_lo_u32_b32 v25, v27, 0
	v_cmp_ne_u32_e64 s21, 0, v27
	v_cmp_eq_u32_e64 s20, 0, v25
	s_and_b32 s21, s21, s20
	s_and_saveexec_b32 s20, s21
	s_cbranch_execz .LBB1634_283
; %bb.282:                              ;   in Loop: Header=BB1634_279 Depth=1
	s_waitcnt lgkmcnt(0)
	v_bcnt_u32_b32 v27, v27, v24
	ds_write_b32 v26, v27
.LBB1634_283:                           ;   in Loop: Header=BB1634_279 Depth=1
	s_or_b32 exec_lo, exec_lo, s20
	v_lshrrev_b32_sdwa v27, v10, v48 dst_sel:DWORD dst_unused:UNUSED_PAD src0_sel:DWORD src1_sel:BYTE_0
	; wave barrier
	v_and_b32_e32 v27, v27, v30
	v_add_co_u32 v28, s20, v27, -1
	v_cndmask_b32_e64 v29, 0, 1, s20
	v_lshl_add_u32 v27, v27, 3, v68
	v_cmp_ne_u32_e64 s20, 0, v29
	v_lshl_add_u32 v29, v27, 2, v12
	v_xor_b32_e32 v28, s20, v28
	ds_read_b32 v27, v29 offset:32
	v_add_nc_u32_e32 v29, 32, v29
	; wave barrier
	v_and_b32_e32 v31, exec_lo, v28
	v_mbcnt_lo_u32_b32 v28, v31, 0
	v_cmp_ne_u32_e64 s21, 0, v31
	v_cmp_eq_u32_e64 s20, 0, v28
	s_and_b32 s21, s21, s20
	s_and_saveexec_b32 s20, s21
	s_cbranch_execz .LBB1634_285
; %bb.284:                              ;   in Loop: Header=BB1634_279 Depth=1
	s_waitcnt lgkmcnt(0)
	v_bcnt_u32_b32 v31, v31, v27
	ds_write_b32 v29, v31
.LBB1634_285:                           ;   in Loop: Header=BB1634_279 Depth=1
	;; [unrolled: 25-line block ×3, first 2 shown]
	s_or_b32 exec_lo, exec_lo, s20
	; wave barrier
	s_waitcnt lgkmcnt(0)
	s_barrier
	buffer_gl0_inv
	ds_read_b32 v34, v9
	ds_read_b32 v35, v52
	;; [unrolled: 1-line block ×8, first 2 shown]
	s_waitcnt lgkmcnt(6)
	v_add_nc_u32_e32 v99, v35, v34
	s_waitcnt lgkmcnt(4)
	v_add3_u32 v99, v99, v36, v37
	s_waitcnt lgkmcnt(2)
	v_add3_u32 v99, v99, v38, v39
	;; [unrolled: 2-line block ×3, first 2 shown]
	v_mov_b32_dpp v99, v98 row_shr:1 row_mask:0xf bank_mask:0xf
	v_cndmask_b32_e64 v99, v99, 0, vcc_lo
	v_add_nc_u32_e32 v98, v99, v98
	v_mov_b32_dpp v99, v98 row_shr:2 row_mask:0xf bank_mask:0xf
	v_cndmask_b32_e64 v99, 0, v99, s4
	v_add_nc_u32_e32 v98, v98, v99
	v_mov_b32_dpp v99, v98 row_shr:4 row_mask:0xf bank_mask:0xf
	v_cndmask_b32_e64 v99, 0, v99, s5
	;; [unrolled: 3-line block ×3, first 2 shown]
	v_add_nc_u32_e32 v98, v98, v99
	ds_swizzle_b32 v99, v98 offset:swizzle(BROADCAST,32,15)
	s_waitcnt lgkmcnt(0)
	v_cndmask_b32_e64 v99, v99, 0, s10
	v_add_nc_u32_e32 v98, v98, v99
	s_and_saveexec_b32 s20, s11
; %bb.288:                              ;   in Loop: Header=BB1634_279 Depth=1
	ds_write_b32 v70, v98
; %bb.289:                              ;   in Loop: Header=BB1634_279 Depth=1
	s_or_b32 exec_lo, exec_lo, s20
	s_waitcnt lgkmcnt(0)
	s_barrier
	buffer_gl0_inv
	s_and_saveexec_b32 s20, s14
	s_cbranch_execz .LBB1634_291
; %bb.290:                              ;   in Loop: Header=BB1634_279 Depth=1
	ds_read_b32 v99, v80
	s_waitcnt lgkmcnt(0)
	v_mov_b32_dpp v100, v99 row_shr:1 row_mask:0xf bank_mask:0xf
	v_cndmask_b32_e64 v100, v100, 0, s17
	v_add_nc_u32_e32 v99, v100, v99
	v_mov_b32_dpp v100, v99 row_shr:2 row_mask:0xf bank_mask:0xf
	v_cndmask_b32_e64 v100, 0, v100, s18
	v_add_nc_u32_e32 v99, v99, v100
	;; [unrolled: 3-line block ×3, first 2 shown]
	ds_write_b32 v80, v99
.LBB1634_291:                           ;   in Loop: Header=BB1634_279 Depth=1
	s_or_b32 exec_lo, exec_lo, s20
	v_mov_b32_e32 v99, 0
	s_waitcnt lgkmcnt(0)
	s_barrier
	buffer_gl0_inv
	s_and_saveexec_b32 s20, s15
; %bb.292:                              ;   in Loop: Header=BB1634_279 Depth=1
	ds_read_b32 v99, v82
; %bb.293:                              ;   in Loop: Header=BB1634_279 Depth=1
	s_or_b32 exec_lo, exec_lo, s20
	s_waitcnt lgkmcnt(0)
	v_add_nc_u32_e32 v98, v99, v98
	v_add_nc_u32_e32 v10, 8, v10
	v_mov_b32_e32 v102, v49
	v_mov_b32_e32 v103, v51
	;; [unrolled: 1-line block ×3, first 2 shown]
	ds_bpermute_b32 v98, v69, v98
	v_mov_b32_e32 v101, v50
	s_mov_b32 s26, -1
	s_waitcnt lgkmcnt(0)
	v_cndmask_b32_e64 v98, v98, v99, s6
	v_cndmask_b32_e64 v98, v98, 0, s16
	v_add_nc_u32_e32 v34, v98, v34
	v_add_nc_u32_e32 v35, v34, v35
	ds_write_b32 v9, v98
	ds_write_b32 v52, v34
	;; [unrolled: 1-line block ×3, first 2 shown]
	v_add_nc_u32_e32 v36, v35, v36
	v_add_nc_u32_e32 v37, v36, v37
	;; [unrolled: 1-line block ×5, first 2 shown]
	ds_write_b32 v55, v36
	ds_write_b32 v64, v37
	;; [unrolled: 1-line block ×5, first 2 shown]
	s_waitcnt lgkmcnt(0)
	s_barrier
	buffer_gl0_inv
	ds_read_b32 v23, v23
	ds_read_b32 v26, v26
	;; [unrolled: 1-line block ×4, first 2 shown]
	s_waitcnt lgkmcnt(0)
	v_add_nc_u32_e32 v22, v23, v22
	v_add3_u32 v100, v25, v24, v26
	v_add3_u32 v99, v28, v27, v29
	;; [unrolled: 1-line block ×3, first 2 shown]
                                        ; implicit-def: $vgpr24_vgpr25
                                        ; implicit-def: $vgpr26_vgpr27
                                        ; implicit-def: $vgpr28_vgpr29
	v_add_co_u32 v38, s21, v12, v22
	v_add_co_ci_u32_e64 v39, null, 0, v13, s21
	v_add_co_u32 v30, s21, v12, v100
	v_add_co_ci_u32_e64 v31, null, 0, v13, s21
	v_add_co_u32 v34, s21, v12, v99
	v_mad_u64_u32 v[32:33], null, v22, 7, v[38:39]
	v_add_co_ci_u32_e64 v35, null, 0, v13, s21
	v_add_co_u32 v36, s21, v12, v98
	v_add_co_ci_u32_e64 v37, null, 0, v13, s21
	s_mov_b32 s21, exec_lo
                                        ; implicit-def: $vgpr22_vgpr23
	v_cmpx_lt_u32_e64 v10, v11
	s_cbranch_execz .LBB1634_278
; %bb.294:                              ;   in Loop: Header=BB1634_279 Depth=1
	v_mad_u64_u32 v[22:23], null, v100, 7, v[30:31]
	v_mad_u64_u32 v[23:24], null, v99, 7, v[34:35]
	;; [unrolled: 1-line block ×3, first 2 shown]
	s_barrier
	buffer_gl0_inv
	ds_write_b8 v38, v49
	ds_write_b8 v30, v51
	;; [unrolled: 1-line block ×4, first 2 shown]
	s_waitcnt lgkmcnt(0)
	s_barrier
	buffer_gl0_inv
	ds_read_u8 v50, v85
	ds_read_u8 v48, v84
	ds_read_u8 v51, v83
	ds_read_u8 v49, v71
	s_waitcnt lgkmcnt(0)
	s_barrier
	buffer_gl0_inv
	ds_write_b64 v32, v[18:19]
	ds_write_b64 v22, v[15:16]
	ds_write_b64 v23, v[20:21]
	ds_write_b64 v24, v[4:5]
	s_waitcnt lgkmcnt(0)
	s_barrier
	buffer_gl0_inv
	ds_read_b64 v[22:23], v81
	ds_read_b64 v[24:25], v86
	;; [unrolled: 1-line block ×4, first 2 shown]
	v_add_nc_u32_e32 v97, -8, v97
	s_xor_b32 s26, exec_lo, -1
	s_waitcnt lgkmcnt(0)
	s_barrier
	buffer_gl0_inv
	s_branch .LBB1634_278
.LBB1634_295:
	flat_load_dwordx2 v[30:31], v[4:5]
	s_or_b32 exec_lo, exec_lo, s15
                                        ; implicit-def: $vgpr32_vgpr33
	s_and_saveexec_b32 s15, s4
	s_cbranch_execz .LBB1634_171
.LBB1634_296:
	flat_load_dwordx2 v[32:33], v[4:5] offset:256
	s_or_b32 exec_lo, exec_lo, s15
                                        ; implicit-def: $vgpr34_vgpr35
	s_and_saveexec_b32 s4, s5
	s_cbranch_execz .LBB1634_172
.LBB1634_297:
	flat_load_dwordx2 v[34:35], v[4:5] offset:512
	s_or_b32 exec_lo, exec_lo, s4
                                        ; implicit-def: $vgpr36_vgpr37
	s_and_saveexec_b32 s4, s6
	s_cbranch_execz .LBB1634_173
.LBB1634_298:
	flat_load_dwordx2 v[36:37], v[4:5] offset:768
	s_or_b32 exec_lo, exec_lo, s4
                                        ; implicit-def: $vgpr38_vgpr39
	s_and_saveexec_b32 s4, s7
	s_cbranch_execz .LBB1634_174
.LBB1634_299:
	flat_load_dwordx2 v[38:39], v[4:5] offset:1024
	s_or_b32 exec_lo, exec_lo, s4
                                        ; implicit-def: $vgpr48_vgpr49
	s_and_saveexec_b32 s4, s10
	s_cbranch_execz .LBB1634_175
.LBB1634_300:
	flat_load_dwordx2 v[48:49], v[4:5] offset:1280
	s_or_b32 exec_lo, exec_lo, s4
                                        ; implicit-def: $vgpr50_vgpr51
	s_and_saveexec_b32 s4, s11
	s_cbranch_execz .LBB1634_176
.LBB1634_301:
	flat_load_dwordx2 v[50:51], v[4:5] offset:1536
	s_or_b32 exec_lo, exec_lo, s4
                                        ; implicit-def: $vgpr52_vgpr53
	s_and_saveexec_b32 s4, s14
	s_cbranch_execnz .LBB1634_177
	s_branch .LBB1634_178
.LBB1634_302:
	flat_store_dwordx2 v[0:1], v[21:22]
	s_or_b32 exec_lo, exec_lo, s15
	s_and_saveexec_b32 s15, s14
	s_cbranch_execz .LBB1634_254
.LBB1634_303:
	v_add_co_u32 v2, s7, 0x800, v0
	v_add_co_ci_u32_e64 v3, null, 0, v1, s7
	flat_store_dwordx2 v[2:3], v[23:24]
	s_or_b32 exec_lo, exec_lo, s15
	s_and_saveexec_b32 s14, s11
	s_cbranch_execz .LBB1634_255
.LBB1634_304:
	v_add_co_u32 v2, s7, 0x1000, v0
	v_add_co_ci_u32_e64 v3, null, 0, v1, s7
	flat_store_dwordx2 v[2:3], v[17:18]
	s_or_b32 exec_lo, exec_lo, s14
	s_and_saveexec_b32 s11, s10
	s_cbranch_execz .LBB1634_256
.LBB1634_305:
	v_add_co_u32 v2, s7, 0x1800, v0
	v_add_co_ci_u32_e64 v3, null, 0, v1, s7
	flat_store_dwordx2 v[2:3], v[19:20]
	s_or_b32 exec_lo, exec_lo, s11
	s_and_saveexec_b32 s7, s6
	s_cbranch_execz .LBB1634_257
.LBB1634_306:
	v_add_co_u32 v2, s6, 0x2000, v0
	v_add_co_ci_u32_e64 v3, null, 0, v1, s6
	flat_store_dwordx2 v[2:3], v[13:14]
	s_or_b32 exec_lo, exec_lo, s7
	s_and_saveexec_b32 s6, s5
	s_cbranch_execz .LBB1634_258
.LBB1634_307:
	v_add_co_u32 v2, s5, 0x2800, v0
	v_add_co_ci_u32_e64 v3, null, 0, v1, s5
	flat_store_dwordx2 v[2:3], v[15:16]
	s_or_b32 exec_lo, exec_lo, s6
	s_and_saveexec_b32 s5, s4
	s_cbranch_execz .LBB1634_259
.LBB1634_308:
	v_add_co_u32 v2, s4, 0x3000, v0
	v_add_co_ci_u32_e64 v3, null, 0, v1, s4
	flat_store_dwordx2 v[2:3], v[9:10]
	s_or_b32 exec_lo, exec_lo, s5
	s_and_saveexec_b32 s4, vcc_lo
	s_cbranch_execnz .LBB1634_260
	s_branch .LBB1634_261
.LBB1634_309:
	s_or_b32 exec_lo, exec_lo, s24
	v_mad_u64_u32 v[9:10], null, v100, 7, v[30:31]
	v_mad_u64_u32 v[10:11], null, v99, 7, v[34:35]
	v_add_nc_u32_e32 v13, v12, v14
	v_mad_u64_u32 v[11:12], null, v98, 7, v[36:37]
	v_mul_u32_u24_e32 v12, 7, v14
	s_barrier
	buffer_gl0_inv
	ds_write_b8 v38, v102
	ds_write_b8 v30, v103
	;; [unrolled: 1-line block ×4, first 2 shown]
	s_waitcnt lgkmcnt(0)
	s_barrier
	buffer_gl0_inv
	ds_read_u8 v25, v13
	ds_read_u8 v24, v13 offset:256
	ds_read_u8 v23, v13 offset:512
	;; [unrolled: 1-line block ×3, first 2 shown]
	s_waitcnt lgkmcnt(0)
	s_barrier
	buffer_gl0_inv
	ds_write_b64 v32, v[18:19]
	ds_write_b64 v9, v[15:16]
	;; [unrolled: 1-line block ×3, first 2 shown]
	v_add_nc_u32_e32 v9, v13, v12
	ds_write_b64 v11, v[4:5]
	s_waitcnt lgkmcnt(0)
	s_barrier
	buffer_gl0_inv
	ds_read2st64_b64 v[13:16], v9 offset1:4
	ds_read2st64_b64 v[9:12], v9 offset0:8 offset1:12
	v_add_co_u32 v2, vcc_lo, v2, v8
	v_add_co_ci_u32_e64 v3, null, 0, v3, vcc_lo
	v_mov_b32_e32 v18, 0
	v_add_co_u32 v2, vcc_lo, v2, v17
	v_add_co_ci_u32_e64 v3, null, 0, v3, vcc_lo
	v_cmp_lt_u32_e32 vcc_lo, v17, v210
	s_waitcnt lgkmcnt(0)
	s_barrier
	buffer_gl0_inv
	s_and_saveexec_b32 s4, vcc_lo
	s_cbranch_execz .LBB1634_311
; %bb.310:
	flat_store_byte v[2:3], v25
.LBB1634_311:
	s_or_b32 exec_lo, exec_lo, s4
	v_add_nc_u32_e32 v4, 0x100, v17
	v_cmp_lt_u32_e64 s6, v4, v210
	s_and_saveexec_b32 s4, s6
	s_cbranch_execz .LBB1634_313
; %bb.312:
	flat_store_byte v[2:3], v24 offset:256
.LBB1634_313:
	s_or_b32 exec_lo, exec_lo, s4
	v_add_nc_u32_e32 v4, 0x200, v17
	v_cmp_lt_u32_e64 s5, v4, v210
	s_and_saveexec_b32 s4, s5
	s_cbranch_execz .LBB1634_315
; %bb.314:
	flat_store_byte v[2:3], v23 offset:512
.LBB1634_315:
	;; [unrolled: 8-line block ×3, first 2 shown]
	s_or_b32 exec_lo, exec_lo, s7
	v_lshlrev_b64 v[2:3], 3, v[17:18]
	v_add_co_u32 v0, s7, v6, v0
	v_add_co_ci_u32_e64 v1, null, v7, v1, s7
	v_add_co_u32 v0, s7, v0, v2
	v_add_co_ci_u32_e64 v1, null, v1, v3, s7
	s_and_saveexec_b32 s7, vcc_lo
	s_cbranch_execnz .LBB1634_350
; %bb.318:
	s_or_b32 exec_lo, exec_lo, s7
	s_and_saveexec_b32 s7, s6
	s_cbranch_execnz .LBB1634_351
.LBB1634_319:
	s_or_b32 exec_lo, exec_lo, s7
	s_and_saveexec_b32 s6, s5
	s_cbranch_execnz .LBB1634_352
.LBB1634_320:
	s_or_b32 exec_lo, exec_lo, s6
	s_and_saveexec_b32 s5, s4
	s_cbranch_execz .LBB1634_322
.LBB1634_321:
	v_add_co_u32 v0, vcc_lo, 0x1800, v0
	v_add_co_ci_u32_e64 v1, null, 0, v1, vcc_lo
	flat_store_dwordx2 v[0:1], v[11:12]
.LBB1634_322:
	s_or_b32 exec_lo, exec_lo, s5
                                        ; implicit-def: $vgpr210
                                        ; implicit-def: $vgpr0
                                        ; implicit-def: $vgpr1
                                        ; implicit-def: $vgpr2
                                        ; implicit-def: $vgpr3
                                        ; implicit-def: $vgpr4
                                        ; implicit-def: $vgpr5
                                        ; implicit-def: $vgpr6
                                        ; implicit-def: $vgpr7
                                        ; implicit-def: $vgpr8
                                        ; implicit-def: $vgpr10
                                        ; implicit-def: $vgpr11
                                        ; implicit-def: $vgpr12
                                        ; implicit-def: $vgpr13
                                        ; implicit-def: $vgpr15
                                        ; implicit-def: $vgpr16
                                        ; implicit-def: $vgpr14
                                        ; implicit-def: $vgpr54
.LBB1634_323:
	s_andn2_saveexec_b32 s4, s22
	s_cbranch_execz .LBB1634_382
; %bb.324:
	s_load_dwordx2 s[4:5], s[8:9], 0x0
	v_mov_b32_e32 v9, 0
	s_waitcnt lgkmcnt(0)
	s_cmp_lt_u32 s13, s5
	s_cselect_b32 s5, 14, 20
	s_add_u32 s6, s8, s5
	s_addc_u32 s7, s9, 0
	s_cmp_lt_u32 s12, s4
	global_load_ushort v17, v9, s[6:7]
	s_cselect_b32 s4, 12, 18
	s_add_u32 s4, s8, s4
	s_addc_u32 s5, s9, 0
	global_load_ushort v18, v9, s[4:5]
	s_mov_b32 s4, exec_lo
	s_waitcnt vmcnt(1)
	v_mad_u32_u24 v15, v16, v17, v15
	s_waitcnt vmcnt(0)
	v_mad_u64_u32 v[15:16], null, v15, v18, v[14:15]
	v_cmpx_lt_u32_e32 0x100, v210
	s_xor_b32 s18, exec_lo, s4
	s_cbranch_execz .LBB1634_362
; %bb.325:
	v_lshlrev_b32_e32 v16, 1, v15
	v_add_co_u32 v0, vcc_lo, v0, v8
	v_add_co_ci_u32_e64 v1, null, 0, v1, vcc_lo
	v_and_b32_e32 v16, 0xffffffc0, v16
	v_add_co_u32 v0, vcc_lo, v0, v54
	v_add_co_ci_u32_e64 v1, null, 0, v1, vcc_lo
	v_or_b32_e32 v18, v54, v16
	v_add_co_u32 v0, vcc_lo, v0, v16
	v_mov_b32_e32 v17, v9
	v_add_co_ci_u32_e64 v1, null, 0, v1, vcc_lo
	v_cmp_lt_u32_e32 vcc_lo, v18, v210
	v_mov_b32_e32 v30, 1
	v_mov_b32_e32 v31, 1
	s_and_saveexec_b32 s4, vcc_lo
	s_cbranch_execz .LBB1634_327
; %bb.326:
	flat_load_ubyte v31, v[0:1]
.LBB1634_327:
	s_or_b32 exec_lo, exec_lo, s4
	v_or_b32_e32 v18, 32, v18
	v_cmp_lt_u32_e64 s4, v18, v210
	s_and_saveexec_b32 s5, s4
	s_cbranch_execz .LBB1634_329
; %bb.328:
	flat_load_ubyte v30, v[0:1] offset:32
.LBB1634_329:
	s_or_b32 exec_lo, exec_lo, s5
	v_lshlrev_b64 v[0:1], 3, v[8:9]
	v_lshlrev_b32_e32 v9, 3, v54
	v_lshlrev_b64 v[16:17], 3, v[16:17]
	v_mov_b32_e32 v18, 0
	v_mov_b32_e32 v20, 0
	;; [unrolled: 1-line block ×3, first 2 shown]
	v_add_co_u32 v4, s5, v4, v0
	v_add_co_ci_u32_e64 v5, null, v5, v1, s5
	v_mov_b32_e32 v21, 0
	v_add_co_u32 v4, s5, v4, v9
	v_add_co_ci_u32_e64 v5, null, 0, v5, s5
	v_add_co_u32 v4, s5, v4, v16
	v_add_co_ci_u32_e64 v5, null, v5, v17, s5
	s_and_saveexec_b32 s5, vcc_lo
	s_cbranch_execz .LBB1634_331
; %bb.330:
	flat_load_dwordx2 v[20:21], v[4:5]
.LBB1634_331:
	s_or_b32 exec_lo, exec_lo, s5
	s_and_saveexec_b32 s5, s4
	s_cbranch_execz .LBB1634_333
; %bb.332:
	flat_load_dwordx2 v[18:19], v[4:5] offset:256
.LBB1634_333:
	s_or_b32 exec_lo, exec_lo, s5
	v_lshl_add_u32 v4, v14, 5, v12
	v_and_b32_e32 v5, 0x3e0, v14
	v_sub_co_u32 v17, s6, v54, 1
	v_and_b32_e32 v16, 15, v54
	v_add_nc_u32_e32 v9, 32, v4
	v_add_nc_u32_e32 v32, 36, v4
	;; [unrolled: 1-line block ×8, first 2 shown]
	v_min_u32_e32 v4, 0xe0, v5
	v_and_b32_e32 v5, 16, v54
	v_cmp_gt_i32_e64 s10, 0, v17
	s_getpc_b64 s[4:5]
	s_add_u32 s4, s4, _ZN7rocprim17ROCPRIM_400000_NS16block_radix_sortIbLj256ELj2ElLj1ELj1ELj8ELNS0_26block_radix_rank_algorithmE2ELNS0_18block_padding_hintE2ELNS0_4arch9wavefront6targetE0EE19radix_bits_per_passE@rel32@lo+4
	s_addc_u32 s5, s5, _ZN7rocprim17ROCPRIM_400000_NS16block_radix_sortIbLj256ELj2ElLj1ELj1ELj8ELNS0_26block_radix_rank_algorithmE2ELNS0_18block_padding_hintE2ELNS0_4arch9wavefront6targetE0EE19radix_bits_per_passE@rel32@hi+12
	v_cmp_eq_u32_e32 vcc_lo, 0, v16
	v_or_b32_e32 v4, 31, v4
	s_load_dword s19, s[4:5], 0x0
	v_cmp_lt_u32_e64 s4, 1, v16
	v_cmp_lt_u32_e64 s5, 3, v16
	;; [unrolled: 1-line block ×3, first 2 shown]
	v_cmp_eq_u32_e64 s9, v14, v4
	v_lshlrev_b32_e32 v4, 1, v14
	v_cmp_eq_u32_e64 s8, 0, v5
	v_cndmask_b32_e64 v5, v17, v54, s10
	v_lshrrev_b32_e32 v16, 3, v14
	v_lshrrev_b32_e32 v39, 5, v15
	v_and_or_b32 v4, 0x7c0, v4, v54
	v_cmp_gt_u32_e64 s10, 8, v14
	v_lshlrev_b32_e32 v48, 2, v5
	v_and_b32_e32 v5, 0x7c, v16
	v_and_b32_e32 v16, 7, v54
	v_add_nc_u32_e32 v49, v12, v4
	v_mul_u32_u24_e32 v4, 7, v4
	v_cmp_lt_u32_e64 s11, 31, v14
	v_add_nc_u32_e32 v50, v12, v5
	v_cmp_eq_u32_e64 s12, 0, v14
	v_mov_b32_e32 v51, 0
	v_add_nc_u32_e32 v53, v49, v4
	v_lshl_add_u32 v52, v14, 2, v12
	v_cmp_eq_u32_e64 s13, 0, v16
	v_cmp_lt_u32_e64 s14, 1, v16
	v_cmp_lt_u32_e64 s15, 3, v16
	v_add_nc_u32_e32 v54, -4, v50
	v_add_nc_u32_e32 v55, 32, v49
	v_add_nc_u32_e32 v64, 0x100, v53
	v_sub_nc_u32_e32 v65, v11, v10
	s_mov_b32 s20, 0
	s_waitcnt vmcnt(0) lgkmcnt(0)
	s_waitcnt_vscnt null, 0x0
	s_barrier
	buffer_gl0_inv
	s_branch .LBB1634_335
.LBB1634_334:                           ;   in Loop: Header=BB1634_335 Depth=1
	s_or_b32 exec_lo, exec_lo, s17
	s_and_b32 s16, exec_lo, s21
	s_or_b32 s20, s16, s20
	s_andn2_b32 exec_lo, exec_lo, s20
	s_cbranch_execz .LBB1634_353
.LBB1634_335:                           ; =>This Inner Loop Header: Depth=1
	v_min_u32_e32 v4, s19, v65
	v_lshrrev_b32_sdwa v5, v10, v31 dst_sel:DWORD dst_unused:UNUSED_PAD src0_sel:DWORD src1_sel:BYTE_0
	v_mov_b32_e32 v16, v20
	v_mov_b32_e32 v17, v21
	ds_write_b32 v9, v51
	ds_write_b32 v32, v51
	v_lshlrev_b32_e64 v4, v4, -1
	ds_write_b32 v33, v51
	ds_write_b32 v34, v51
	;; [unrolled: 1-line block ×6, first 2 shown]
	v_not_b32_e32 v22, v4
	s_waitcnt lgkmcnt(0)
	s_barrier
	buffer_gl0_inv
	v_and_b32_e32 v23, v5, v22
	; wave barrier
	v_add_co_u32 v24, s16, v23, -1
	v_cndmask_b32_e64 v4, 0, 1, s16
	v_cmp_ne_u32_e64 s16, 0, v4
	v_mov_b32_e32 v4, v18
	v_mov_b32_e32 v5, v19
	v_lshlrev_b32_e32 v19, 3, v23
	v_xor_b32_e32 v18, s16, v24
	v_add_lshl_u32 v19, v19, v39, 2
	v_and_b32_e32 v20, exec_lo, v18
	v_add_co_u32 v19, null, v12, v19
	v_mbcnt_lo_u32_b32 v18, v20, 0
	v_cmp_ne_u32_e64 s17, 0, v20
	v_add_co_u32 v19, null, v19, 32
	v_cmp_eq_u32_e64 s16, 0, v18
	s_and_b32 s17, s17, s16
	s_and_saveexec_b32 s16, s17
; %bb.336:                              ;   in Loop: Header=BB1634_335 Depth=1
	v_bcnt_u32_b32 v20, v20, 0
	ds_write_b32 v19, v20
; %bb.337:                              ;   in Loop: Header=BB1634_335 Depth=1
	s_or_b32 exec_lo, exec_lo, s16
	v_lshrrev_b32_sdwa v20, v10, v30 dst_sel:DWORD dst_unused:UNUSED_PAD src0_sel:DWORD src1_sel:BYTE_0
	; wave barrier
	v_and_b32_e32 v20, v20, v22
	v_add_co_u32 v21, s16, v20, -1
	v_cndmask_b32_e64 v22, 0, 1, s16
	v_lshl_add_u32 v20, v20, 3, v39
	v_cmp_ne_u32_e64 s16, 0, v22
	v_lshl_add_u32 v22, v20, 2, v12
	v_xor_b32_e32 v21, s16, v21
	ds_read_b32 v20, v22 offset:32
	v_add_nc_u32_e32 v22, 32, v22
	; wave barrier
	v_and_b32_e32 v23, exec_lo, v21
	v_mbcnt_lo_u32_b32 v21, v23, 0
	v_cmp_ne_u32_e64 s17, 0, v23
	v_cmp_eq_u32_e64 s16, 0, v21
	s_and_b32 s17, s17, s16
	s_and_saveexec_b32 s16, s17
	s_cbranch_execz .LBB1634_339
; %bb.338:                              ;   in Loop: Header=BB1634_335 Depth=1
	s_waitcnt lgkmcnt(0)
	v_bcnt_u32_b32 v23, v23, v20
	ds_write_b32 v22, v23
.LBB1634_339:                           ;   in Loop: Header=BB1634_335 Depth=1
	s_or_b32 exec_lo, exec_lo, s16
	; wave barrier
	s_waitcnt lgkmcnt(0)
	s_barrier
	buffer_gl0_inv
	ds_read_b32 v24, v9
	ds_read_b32 v25, v32
	ds_read_b32 v26, v33
	ds_read_b32 v27, v34
	ds_read_b32 v28, v35
	ds_read_b32 v29, v36
	ds_read_b32 v23, v37
	ds_read_b32 v66, v38
	s_waitcnt lgkmcnt(6)
	v_add_nc_u32_e32 v67, v25, v24
	s_waitcnt lgkmcnt(4)
	v_add3_u32 v67, v67, v26, v27
	s_waitcnt lgkmcnt(2)
	v_add3_u32 v67, v67, v28, v29
	;; [unrolled: 2-line block ×3, first 2 shown]
	v_mov_b32_dpp v67, v66 row_shr:1 row_mask:0xf bank_mask:0xf
	v_cndmask_b32_e64 v67, v67, 0, vcc_lo
	v_add_nc_u32_e32 v66, v67, v66
	v_mov_b32_dpp v67, v66 row_shr:2 row_mask:0xf bank_mask:0xf
	v_cndmask_b32_e64 v67, 0, v67, s4
	v_add_nc_u32_e32 v66, v66, v67
	v_mov_b32_dpp v67, v66 row_shr:4 row_mask:0xf bank_mask:0xf
	v_cndmask_b32_e64 v67, 0, v67, s5
	;; [unrolled: 3-line block ×3, first 2 shown]
	v_add_nc_u32_e32 v66, v66, v67
	ds_swizzle_b32 v67, v66 offset:swizzle(BROADCAST,32,15)
	s_waitcnt lgkmcnt(0)
	v_cndmask_b32_e64 v67, v67, 0, s8
	v_add_nc_u32_e32 v66, v66, v67
	s_and_saveexec_b32 s16, s9
; %bb.340:                              ;   in Loop: Header=BB1634_335 Depth=1
	ds_write_b32 v50, v66
; %bb.341:                              ;   in Loop: Header=BB1634_335 Depth=1
	s_or_b32 exec_lo, exec_lo, s16
	s_waitcnt lgkmcnt(0)
	s_barrier
	buffer_gl0_inv
	s_and_saveexec_b32 s16, s10
	s_cbranch_execz .LBB1634_343
; %bb.342:                              ;   in Loop: Header=BB1634_335 Depth=1
	ds_read_b32 v67, v52
	s_waitcnt lgkmcnt(0)
	v_mov_b32_dpp v68, v67 row_shr:1 row_mask:0xf bank_mask:0xf
	v_cndmask_b32_e64 v68, v68, 0, s13
	v_add_nc_u32_e32 v67, v68, v67
	v_mov_b32_dpp v68, v67 row_shr:2 row_mask:0xf bank_mask:0xf
	v_cndmask_b32_e64 v68, 0, v68, s14
	v_add_nc_u32_e32 v67, v67, v68
	;; [unrolled: 3-line block ×3, first 2 shown]
	ds_write_b32 v52, v67
.LBB1634_343:                           ;   in Loop: Header=BB1634_335 Depth=1
	s_or_b32 exec_lo, exec_lo, s16
	v_mov_b32_e32 v67, 0
	s_waitcnt lgkmcnt(0)
	s_barrier
	buffer_gl0_inv
	s_and_saveexec_b32 s16, s11
; %bb.344:                              ;   in Loop: Header=BB1634_335 Depth=1
	ds_read_b32 v67, v54
; %bb.345:                              ;   in Loop: Header=BB1634_335 Depth=1
	s_or_b32 exec_lo, exec_lo, s16
	s_waitcnt lgkmcnt(0)
	v_add_nc_u32_e32 v66, v67, v66
	v_add_nc_u32_e32 v10, 8, v10
	s_mov_b32 s21, -1
	s_mov_b32 s17, exec_lo
	ds_bpermute_b32 v66, v48, v66
	s_waitcnt lgkmcnt(0)
	v_cndmask_b32_e64 v66, v66, v67, s6
	v_cndmask_b32_e64 v66, v66, 0, s12
	v_add_nc_u32_e32 v24, v66, v24
	v_add_nc_u32_e32 v25, v24, v25
	ds_write_b32 v9, v66
	ds_write_b32 v32, v24
	;; [unrolled: 1-line block ×3, first 2 shown]
	v_add_nc_u32_e32 v26, v25, v26
	v_add_nc_u32_e32 v27, v26, v27
	;; [unrolled: 1-line block ×5, first 2 shown]
	ds_write_b32 v34, v26
	ds_write_b32 v35, v27
	;; [unrolled: 1-line block ×5, first 2 shown]
	s_waitcnt lgkmcnt(0)
	s_barrier
	buffer_gl0_inv
	ds_read_b32 v19, v19
	ds_read_b32 v22, v22
	s_waitcnt lgkmcnt(0)
	v_add_nc_u32_e32 v18, v19, v18
	v_add3_u32 v19, v21, v20, v22
                                        ; implicit-def: $vgpr20_vgpr21
	v_add_co_u32 v28, s16, v12, v18
	v_add_co_ci_u32_e64 v29, null, 0, v13, s16
	v_add_co_u32 v26, s16, v12, v19
	v_add_co_ci_u32_e64 v27, null, 0, v13, s16
	v_mad_u64_u32 v[24:25], null, v18, 7, v[28:29]
	v_mov_b32_e32 v25, v31
	v_mad_u64_u32 v[22:23], null, v19, 7, v[26:27]
	v_mov_b32_e32 v23, v30
                                        ; implicit-def: $vgpr18_vgpr19
	v_cmpx_lt_u32_e64 v10, v11
	s_cbranch_execz .LBB1634_334
; %bb.346:                              ;   in Loop: Header=BB1634_335 Depth=1
	s_barrier
	buffer_gl0_inv
	ds_write_b8 v28, v31
	ds_write_b8 v26, v30
	s_waitcnt lgkmcnt(0)
	s_barrier
	buffer_gl0_inv
	ds_read_u8 v30, v55
	ds_read_u8 v31, v49
	s_waitcnt lgkmcnt(0)
	s_barrier
	buffer_gl0_inv
	ds_write_b64 v24, v[16:17]
	ds_write_b64 v22, v[4:5]
	s_waitcnt lgkmcnt(0)
	s_barrier
	buffer_gl0_inv
	ds_read_b64 v[20:21], v53
	ds_read_b64 v[18:19], v64
	v_add_nc_u32_e32 v65, -8, v65
	s_xor_b32 s21, exec_lo, -1
	s_waitcnt lgkmcnt(0)
	s_barrier
	buffer_gl0_inv
	s_branch .LBB1634_334
.LBB1634_347:
	flat_load_dwordx2 v[22:23], v[4:5]
	s_or_b32 exec_lo, exec_lo, s7
                                        ; implicit-def: $vgpr24_vgpr25
	s_and_saveexec_b32 s7, s4
	s_cbranch_execz .LBB1634_274
.LBB1634_348:
	flat_load_dwordx2 v[24:25], v[4:5] offset:256
	s_or_b32 exec_lo, exec_lo, s7
                                        ; implicit-def: $vgpr26_vgpr27
	s_and_saveexec_b32 s4, s5
	s_cbranch_execz .LBB1634_275
.LBB1634_349:
	flat_load_dwordx2 v[26:27], v[4:5] offset:512
	s_or_b32 exec_lo, exec_lo, s4
                                        ; implicit-def: $vgpr28_vgpr29
	s_and_saveexec_b32 s4, s6
	s_cbranch_execnz .LBB1634_276
	s_branch .LBB1634_277
.LBB1634_350:
	flat_store_dwordx2 v[0:1], v[13:14]
	s_or_b32 exec_lo, exec_lo, s7
	s_and_saveexec_b32 s7, s6
	s_cbranch_execz .LBB1634_319
.LBB1634_351:
	v_add_co_u32 v2, vcc_lo, 0x800, v0
	v_add_co_ci_u32_e64 v3, null, 0, v1, vcc_lo
	flat_store_dwordx2 v[2:3], v[15:16]
	s_or_b32 exec_lo, exec_lo, s7
	s_and_saveexec_b32 s6, s5
	s_cbranch_execz .LBB1634_320
.LBB1634_352:
	v_add_co_u32 v2, vcc_lo, 0x1000, v0
	v_add_co_ci_u32_e64 v3, null, 0, v1, vcc_lo
	flat_store_dwordx2 v[2:3], v[9:10]
	s_or_b32 exec_lo, exec_lo, s6
	s_and_saveexec_b32 s5, s4
	s_cbranch_execnz .LBB1634_321
	s_branch .LBB1634_322
.LBB1634_353:
	s_or_b32 exec_lo, exec_lo, s20
	v_add_nc_u32_e32 v9, v12, v14
	v_mul_u32_u24_e32 v10, 7, v14
	s_barrier
	buffer_gl0_inv
	ds_write_b8 v28, v25
	ds_write_b8 v26, v23
	s_waitcnt lgkmcnt(0)
	s_barrier
	buffer_gl0_inv
	ds_read_u8 v18, v9
	ds_read_u8 v13, v9 offset:256
	v_add_nc_u32_e32 v9, v9, v10
	s_waitcnt lgkmcnt(0)
	s_barrier
	buffer_gl0_inv
	ds_write_b64 v24, v[16:17]
	ds_write_b64 v22, v[4:5]
	s_waitcnt lgkmcnt(0)
	s_barrier
	buffer_gl0_inv
	ds_read2st64_b64 v[9:12], v9 offset1:4
	v_add_co_u32 v2, vcc_lo, v2, v8
	v_add_co_ci_u32_e64 v3, null, 0, v3, vcc_lo
	v_mov_b32_e32 v16, 0
	v_add_co_u32 v2, vcc_lo, v2, v15
	v_add_co_ci_u32_e64 v3, null, 0, v3, vcc_lo
	v_cmp_lt_u32_e32 vcc_lo, v15, v210
	s_waitcnt lgkmcnt(0)
	s_barrier
	buffer_gl0_inv
	s_and_saveexec_b32 s4, vcc_lo
	s_cbranch_execz .LBB1634_355
; %bb.354:
	flat_store_byte v[2:3], v18
.LBB1634_355:
	s_or_b32 exec_lo, exec_lo, s4
	v_add_nc_u32_e32 v4, 0x100, v15
	v_cmp_lt_u32_e64 s4, v4, v210
	s_and_saveexec_b32 s5, s4
	s_cbranch_execz .LBB1634_357
; %bb.356:
	flat_store_byte v[2:3], v13 offset:256
.LBB1634_357:
	s_or_b32 exec_lo, exec_lo, s5
	v_lshlrev_b64 v[2:3], 3, v[15:16]
	v_add_co_u32 v0, s5, v6, v0
	v_add_co_ci_u32_e64 v1, null, v7, v1, s5
	v_add_co_u32 v0, s5, v0, v2
	v_add_co_ci_u32_e64 v1, null, v1, v3, s5
	s_and_saveexec_b32 s5, vcc_lo
	s_cbranch_execz .LBB1634_359
; %bb.358:
	flat_store_dwordx2 v[0:1], v[9:10]
.LBB1634_359:
	s_or_b32 exec_lo, exec_lo, s5
	s_and_saveexec_b32 s5, s4
	s_cbranch_execz .LBB1634_361
; %bb.360:
	v_add_co_u32 v0, vcc_lo, 0x800, v0
	v_add_co_ci_u32_e64 v1, null, 0, v1, vcc_lo
	flat_store_dwordx2 v[0:1], v[11:12]
.LBB1634_361:
	s_or_b32 exec_lo, exec_lo, s5
                                        ; implicit-def: $vgpr15_vgpr16
                                        ; implicit-def: $vgpr8_vgpr9
                                        ; implicit-def: $vgpr210
                                        ; implicit-def: $vgpr0
                                        ; implicit-def: $vgpr1
                                        ; implicit-def: $vgpr2
                                        ; implicit-def: $vgpr3
                                        ; implicit-def: $vgpr4
                                        ; implicit-def: $vgpr5
                                        ; implicit-def: $vgpr6
                                        ; implicit-def: $vgpr7
                                        ; implicit-def: $vgpr10
                                        ; implicit-def: $vgpr11
                                        ; implicit-def: $vgpr12
                                        ; implicit-def: $vgpr13
                                        ; implicit-def: $vgpr14
                                        ; implicit-def: $vgpr54
.LBB1634_362:
	s_andn2_saveexec_b32 s4, s18
	s_cbranch_execz .LBB1634_382
; %bb.363:
	v_and_b32_e32 v18, 0xffffffe0, v15
	v_mov_b32_e32 v37, 1
	v_or_b32_e32 v16, v54, v18
	v_cmp_lt_u32_e32 vcc_lo, v16, v210
	s_and_saveexec_b32 s5, vcc_lo
	s_cbranch_execz .LBB1634_365
; %bb.364:
	v_add_co_u32 v0, s4, v0, v8
	v_add_co_ci_u32_e64 v1, null, 0, v1, s4
	v_add_co_u32 v0, s4, v0, v54
	v_add_co_ci_u32_e64 v1, null, 0, v1, s4
	v_add_co_u32 v0, s4, v0, v18
	v_add_co_ci_u32_e64 v1, null, 0, v1, s4
	flat_load_ubyte v37, v[0:1]
.LBB1634_365:
	s_or_b32 exec_lo, exec_lo, s5
	v_lshlrev_b64 v[0:1], 3, v[8:9]
                                        ; implicit-def: $vgpr16_vgpr17
	s_and_saveexec_b32 s4, vcc_lo
	s_cbranch_execz .LBB1634_367
; %bb.366:
	v_mov_b32_e32 v19, 0
	v_lshlrev_b32_e32 v9, 3, v54
	v_add_co_u32 v16, vcc_lo, v4, v0
	v_add_co_ci_u32_e64 v17, null, v5, v1, vcc_lo
	v_lshlrev_b64 v[4:5], 3, v[18:19]
	v_add_co_u32 v9, vcc_lo, v16, v9
	v_add_co_ci_u32_e64 v16, null, 0, v17, vcc_lo
	v_add_co_u32 v4, vcc_lo, v9, v4
	v_add_co_ci_u32_e64 v5, null, v16, v5, vcc_lo
	flat_load_dwordx2 v[16:17], v[4:5]
.LBB1634_367:
	s_or_b32 exec_lo, exec_lo, s4
	v_lshl_add_u32 v4, v14, 5, v12
	v_and_b32_e32 v5, 15, v54
	v_sub_co_u32 v28, s6, v54, 1
	s_getpc_b64 s[4:5]
	s_add_u32 s4, s4, _ZN7rocprim17ROCPRIM_400000_NS16block_radix_sortIbLj256ELj1ElLj1ELj1ELj8ELNS0_26block_radix_rank_algorithmE2ELNS0_18block_padding_hintE2ELNS0_4arch9wavefront6targetE0EE19radix_bits_per_passE@rel32@lo+4
	s_addc_u32 s5, s5, _ZN7rocprim17ROCPRIM_400000_NS16block_radix_sortIbLj256ELj1ElLj1ELj1ELj8ELNS0_26block_radix_rank_algorithmE2ELNS0_18block_padding_hintE2ELNS0_4arch9wavefront6targetE0EE19radix_bits_per_passE@rel32@hi+12
	v_add_nc_u32_e32 v9, 32, v4
	v_add_nc_u32_e32 v20, 36, v4
	;; [unrolled: 1-line block ×8, first 2 shown]
	v_and_b32_e32 v4, 0x3e0, v14
	s_load_dword s18, s[4:5], 0x0
	v_cmp_eq_u32_e32 vcc_lo, 0, v5
	v_cmp_lt_u32_e64 s4, 1, v5
	v_cmp_lt_u32_e64 s5, 3, v5
	v_min_u32_e32 v18, 0xe0, v4
	v_and_b32_e32 v19, 16, v54
	v_cmp_lt_u32_e64 s7, 7, v5
	v_cmp_gt_i32_e64 s9, 0, v28
	v_or_b32_e32 v4, v54, v4
	v_or_b32_e32 v5, 31, v18
	v_lshrrev_b32_e32 v18, 3, v14
	v_cmp_eq_u32_e64 s8, 0, v19
	v_cndmask_b32_e64 v19, v28, v54, s9
	v_add_nc_u32_e32 v32, v12, v4
	v_cmp_eq_u32_e64 s9, v14, v5
	v_and_b32_e32 v5, 0x7c, v18
	v_mul_u32_u24_e32 v4, 7, v4
	v_lshrrev_b32_e32 v27, 5, v15
	v_cmp_gt_u32_e64 s10, 8, v14
	v_cmp_lt_u32_e64 s11, 31, v14
	v_add_nc_u32_e32 v29, v12, v5
	v_and_b32_e32 v5, 7, v54
	v_lshlrev_b32_e32 v28, 2, v19
	v_cmp_eq_u32_e64 s12, 0, v14
	v_mov_b32_e32 v30, 0
	v_lshl_add_u32 v31, v14, 2, v12
	v_cmp_eq_u32_e64 s13, 0, v5
	v_cmp_lt_u32_e64 s14, 1, v5
	v_cmp_lt_u32_e64 s15, 3, v5
	v_add_nc_u32_e32 v33, -4, v29
	v_add_nc_u32_e32 v34, v32, v4
	v_sub_nc_u32_e32 v35, v11, v10
	s_mov_b32 s19, 0
	s_waitcnt vmcnt(0) lgkmcnt(0)
	s_waitcnt_vscnt null, 0x0
	s_barrier
	buffer_gl0_inv
	s_branch .LBB1634_369
.LBB1634_368:                           ;   in Loop: Header=BB1634_369 Depth=1
	s_or_b32 exec_lo, exec_lo, s17
	s_and_b32 s16, exec_lo, s20
	s_or_b32 s19, s16, s19
	s_andn2_b32 exec_lo, exec_lo, s19
	s_cbranch_execz .LBB1634_379
.LBB1634_369:                           ; =>This Inner Loop Header: Depth=1
	v_mov_b32_e32 v36, v37
	v_min_u32_e32 v4, s18, v35
	ds_write_b32 v9, v30
	ds_write_b32 v20, v30
	;; [unrolled: 1-line block ×5, first 2 shown]
	v_lshrrev_b32_sdwa v5, v10, v36 dst_sel:DWORD dst_unused:UNUSED_PAD src0_sel:DWORD src1_sel:BYTE_0
	ds_write_b32 v24, v30
	ds_write_b32 v25, v30
	ds_write_b32 v26, v30
	s_waitcnt lgkmcnt(0)
	s_barrier
	v_bfe_u32 v18, v5, 0, v4
	buffer_gl0_inv
	; wave barrier
	v_add_co_u32 v19, s16, v18, -1
	v_cndmask_b32_e64 v4, 0, 1, s16
	v_cmp_ne_u32_e64 s16, 0, v4
	v_mov_b32_e32 v4, v16
	v_mov_b32_e32 v5, v17
	v_lshlrev_b32_e32 v17, 3, v18
	v_xor_b32_e32 v16, s16, v19
	v_add_lshl_u32 v17, v17, v27, 2
	v_and_b32_e32 v18, exec_lo, v16
	v_add_co_u32 v17, null, v12, v17
	v_mbcnt_lo_u32_b32 v16, v18, 0
	v_cmp_ne_u32_e64 s17, 0, v18
	v_add_co_u32 v17, null, v17, 32
	v_cmp_eq_u32_e64 s16, 0, v16
	s_and_b32 s17, s17, s16
	s_and_saveexec_b32 s16, s17
; %bb.370:                              ;   in Loop: Header=BB1634_369 Depth=1
	v_bcnt_u32_b32 v18, v18, 0
	ds_write_b32 v17, v18
; %bb.371:                              ;   in Loop: Header=BB1634_369 Depth=1
	s_or_b32 exec_lo, exec_lo, s16
	; wave barrier
	s_waitcnt lgkmcnt(0)
	s_barrier
	buffer_gl0_inv
	ds_read_b32 v19, v9
	ds_read_b32 v37, v20
	;; [unrolled: 1-line block ×8, first 2 shown]
	s_waitcnt lgkmcnt(6)
	v_add_nc_u32_e32 v51, v37, v19
	s_waitcnt lgkmcnt(4)
	v_add3_u32 v51, v51, v38, v39
	s_waitcnt lgkmcnt(2)
	v_add3_u32 v51, v51, v48, v49
	;; [unrolled: 2-line block ×3, first 2 shown]
	v_mov_b32_dpp v51, v50 row_shr:1 row_mask:0xf bank_mask:0xf
	v_cndmask_b32_e64 v51, v51, 0, vcc_lo
	v_add_nc_u32_e32 v50, v51, v50
	v_mov_b32_dpp v51, v50 row_shr:2 row_mask:0xf bank_mask:0xf
	v_cndmask_b32_e64 v51, 0, v51, s4
	v_add_nc_u32_e32 v50, v50, v51
	v_mov_b32_dpp v51, v50 row_shr:4 row_mask:0xf bank_mask:0xf
	v_cndmask_b32_e64 v51, 0, v51, s5
	v_add_nc_u32_e32 v50, v50, v51
	v_mov_b32_dpp v51, v50 row_shr:8 row_mask:0xf bank_mask:0xf
	v_cndmask_b32_e64 v51, 0, v51, s7
	v_add_nc_u32_e32 v50, v50, v51
	ds_swizzle_b32 v51, v50 offset:swizzle(BROADCAST,32,15)
	s_waitcnt lgkmcnt(0)
	v_cndmask_b32_e64 v51, v51, 0, s8
	v_add_nc_u32_e32 v50, v50, v51
	s_and_saveexec_b32 s16, s9
; %bb.372:                              ;   in Loop: Header=BB1634_369 Depth=1
	ds_write_b32 v29, v50
; %bb.373:                              ;   in Loop: Header=BB1634_369 Depth=1
	s_or_b32 exec_lo, exec_lo, s16
	s_waitcnt lgkmcnt(0)
	s_barrier
	buffer_gl0_inv
	s_and_saveexec_b32 s16, s10
	s_cbranch_execz .LBB1634_375
; %bb.374:                              ;   in Loop: Header=BB1634_369 Depth=1
	ds_read_b32 v51, v31
	s_waitcnt lgkmcnt(0)
	v_mov_b32_dpp v52, v51 row_shr:1 row_mask:0xf bank_mask:0xf
	v_cndmask_b32_e64 v52, v52, 0, s13
	v_add_nc_u32_e32 v51, v52, v51
	v_mov_b32_dpp v52, v51 row_shr:2 row_mask:0xf bank_mask:0xf
	v_cndmask_b32_e64 v52, 0, v52, s14
	v_add_nc_u32_e32 v51, v51, v52
	;; [unrolled: 3-line block ×3, first 2 shown]
	ds_write_b32 v31, v51
.LBB1634_375:                           ;   in Loop: Header=BB1634_369 Depth=1
	s_or_b32 exec_lo, exec_lo, s16
	v_mov_b32_e32 v51, 0
	s_waitcnt lgkmcnt(0)
	s_barrier
	buffer_gl0_inv
	s_and_saveexec_b32 s16, s11
; %bb.376:                              ;   in Loop: Header=BB1634_369 Depth=1
	ds_read_b32 v51, v33
; %bb.377:                              ;   in Loop: Header=BB1634_369 Depth=1
	s_or_b32 exec_lo, exec_lo, s16
	s_waitcnt lgkmcnt(0)
	v_add_nc_u32_e32 v50, v51, v50
	v_add_nc_u32_e32 v10, 8, v10
	s_mov_b32 s20, -1
	ds_bpermute_b32 v50, v28, v50
	s_waitcnt lgkmcnt(0)
	v_cndmask_b32_e64 v50, v50, v51, s6
	v_cndmask_b32_e64 v50, v50, 0, s12
	v_add_nc_u32_e32 v19, v50, v19
	v_add_nc_u32_e32 v37, v19, v37
	ds_write_b32 v9, v50
	ds_write_b32 v20, v19
	;; [unrolled: 1-line block ×3, first 2 shown]
	v_add_nc_u32_e32 v38, v37, v38
                                        ; implicit-def: $vgpr37
	v_add_nc_u32_e32 v39, v38, v39
	v_add_nc_u32_e32 v48, v39, v48
	;; [unrolled: 1-line block ×4, first 2 shown]
	ds_write_b32 v22, v38
	ds_write_b32 v23, v39
	ds_write_b32 v24, v48
	ds_write_b32 v25, v49
	ds_write_b32 v26, v18
	s_waitcnt lgkmcnt(0)
	s_barrier
	buffer_gl0_inv
	ds_read_b32 v17, v17
	s_waitcnt lgkmcnt(0)
	v_add_nc_u32_e32 v38, v17, v16
                                        ; implicit-def: $vgpr16_vgpr17
	v_add_co_u32 v18, s17, v12, v38
	v_add_co_ci_u32_e64 v19, null, 0, v13, s17
	s_mov_b32 s17, exec_lo
	v_cmpx_lt_u32_e64 v10, v11
	s_cbranch_execz .LBB1634_368
; %bb.378:                              ;   in Loop: Header=BB1634_369 Depth=1
	v_mad_u64_u32 v[16:17], null, v38, 7, v[18:19]
	s_barrier
	buffer_gl0_inv
	ds_write_b8 v18, v36
	s_waitcnt lgkmcnt(0)
	s_barrier
	buffer_gl0_inv
	ds_read_u8 v37, v32
	s_waitcnt lgkmcnt(0)
	s_barrier
	buffer_gl0_inv
	ds_write_b64 v16, v[4:5]
	s_waitcnt lgkmcnt(0)
	s_barrier
	buffer_gl0_inv
	ds_read_b64 v[16:17], v34
	v_add_nc_u32_e32 v35, -8, v35
	s_xor_b32 s20, exec_lo, -1
	s_waitcnt lgkmcnt(0)
	s_barrier
	buffer_gl0_inv
	s_branch .LBB1634_368
.LBB1634_379:
	s_or_b32 exec_lo, exec_lo, s19
	v_mad_u64_u32 v[10:11], null, v38, 7, v[18:19]
	v_add_nc_u32_e32 v12, v12, v14
	v_mul_u32_u24_e32 v11, 7, v14
	s_barrier
	buffer_gl0_inv
	ds_write_b8 v18, v36
	s_waitcnt lgkmcnt(0)
	v_add_nc_u32_e32 v11, v12, v11
	s_barrier
	buffer_gl0_inv
	ds_read_u8 v9, v12
	s_waitcnt lgkmcnt(0)
	s_barrier
	buffer_gl0_inv
	ds_write_b64 v10, v[4:5]
	s_waitcnt lgkmcnt(0)
	s_barrier
	buffer_gl0_inv
	ds_read_b64 v[4:5], v11
	s_mov_b32 s4, exec_lo
	s_waitcnt lgkmcnt(0)
	s_barrier
	buffer_gl0_inv
	v_cmpx_lt_u32_e64 v15, v210
	s_cbranch_execz .LBB1634_381
; %bb.380:
	v_mov_b32_e32 v16, 0
	v_add_co_u32 v2, vcc_lo, v2, v8
	v_add_co_ci_u32_e64 v3, null, 0, v3, vcc_lo
	v_add_co_u32 v6, vcc_lo, v6, v0
	v_add_co_ci_u32_e64 v7, null, v7, v1, vcc_lo
	v_lshlrev_b64 v[0:1], 3, v[15:16]
	v_add_co_u32 v2, vcc_lo, v2, v15
	v_add_co_ci_u32_e64 v3, null, 0, v3, vcc_lo
	v_add_co_u32 v0, vcc_lo, v6, v0
	v_add_co_ci_u32_e64 v1, null, v7, v1, vcc_lo
	flat_store_byte v[2:3], v9
	flat_store_dwordx2 v[0:1], v[4:5]
.LBB1634_381:
	s_or_b32 exec_lo, exec_lo, s4
.LBB1634_382:
	s_or_b32 exec_lo, exec_lo, s25
	s_clause 0x2f
	buffer_load_dword v127, off, s[0:3], s32
	buffer_load_dword v126, off, s[0:3], s32 offset:4
	buffer_load_dword v125, off, s[0:3], s32 offset:8
	;; [unrolled: 1-line block ×47, first 2 shown]
	s_waitcnt vmcnt(0) lgkmcnt(0)
	s_setpc_b64 s[30:31]
.Lfunc_end1634:
	.size	_ZN7rocprim17ROCPRIM_400000_NS6detail40segmented_radix_sort_single_block_helperIblLj256ELj17ELb0EE4sortIPKbPbPKlPlEEbT_T0_T1_T2_jjjjRNS3_12storage_typeE, .Lfunc_end1634-_ZN7rocprim17ROCPRIM_400000_NS6detail40segmented_radix_sort_single_block_helperIblLj256ELj17ELb0EE4sortIPKbPbPKlPlEEbT_T0_T1_T2_jjjjRNS3_12storage_typeE
                                        ; -- End function
	.set .L_ZN7rocprim17ROCPRIM_400000_NS6detail40segmented_radix_sort_single_block_helperIblLj256ELj17ELb0EE4sortIPKbPbPKlPlEEbT_T0_T1_T2_jjjjRNS3_12storage_typeE.num_vgpr, 248
	.set .L_ZN7rocprim17ROCPRIM_400000_NS6detail40segmented_radix_sort_single_block_helperIblLj256ELj17ELb0EE4sortIPKbPbPKlPlEEbT_T0_T1_T2_jjjjRNS3_12storage_typeE.num_agpr, 0
	.set .L_ZN7rocprim17ROCPRIM_400000_NS6detail40segmented_radix_sort_single_block_helperIblLj256ELj17ELb0EE4sortIPKbPbPKlPlEEbT_T0_T1_T2_jjjjRNS3_12storage_typeE.numbered_sgpr, 33
	.set .L_ZN7rocprim17ROCPRIM_400000_NS6detail40segmented_radix_sort_single_block_helperIblLj256ELj17ELb0EE4sortIPKbPbPKlPlEEbT_T0_T1_T2_jjjjRNS3_12storage_typeE.num_named_barrier, 0
	.set .L_ZN7rocprim17ROCPRIM_400000_NS6detail40segmented_radix_sort_single_block_helperIblLj256ELj17ELb0EE4sortIPKbPbPKlPlEEbT_T0_T1_T2_jjjjRNS3_12storage_typeE.private_seg_size, 196
	.set .L_ZN7rocprim17ROCPRIM_400000_NS6detail40segmented_radix_sort_single_block_helperIblLj256ELj17ELb0EE4sortIPKbPbPKlPlEEbT_T0_T1_T2_jjjjRNS3_12storage_typeE.uses_vcc, 1
	.set .L_ZN7rocprim17ROCPRIM_400000_NS6detail40segmented_radix_sort_single_block_helperIblLj256ELj17ELb0EE4sortIPKbPbPKlPlEEbT_T0_T1_T2_jjjjRNS3_12storage_typeE.uses_flat_scratch, 0
	.set .L_ZN7rocprim17ROCPRIM_400000_NS6detail40segmented_radix_sort_single_block_helperIblLj256ELj17ELb0EE4sortIPKbPbPKlPlEEbT_T0_T1_T2_jjjjRNS3_12storage_typeE.has_dyn_sized_stack, 0
	.set .L_ZN7rocprim17ROCPRIM_400000_NS6detail40segmented_radix_sort_single_block_helperIblLj256ELj17ELb0EE4sortIPKbPbPKlPlEEbT_T0_T1_T2_jjjjRNS3_12storage_typeE.has_recursion, 0
	.set .L_ZN7rocprim17ROCPRIM_400000_NS6detail40segmented_radix_sort_single_block_helperIblLj256ELj17ELb0EE4sortIPKbPbPKlPlEEbT_T0_T1_T2_jjjjRNS3_12storage_typeE.has_indirect_call, 0
	.section	.AMDGPU.csdata,"",@progbits
; Function info:
; codeLenInByte = 21796
; TotalNumSgprs: 35
; NumVgprs: 248
; ScratchSize: 196
; MemoryBound: 1
	.section	.text._ZN7rocprim17ROCPRIM_400000_NS6detail17trampoline_kernelINS0_14default_configENS1_36segmented_radix_sort_config_selectorIblEEZNS1_25segmented_radix_sort_implIS3_Lb0EPKbPbPKlPlN2at6native12_GLOBAL__N_18offset_tEEE10hipError_tPvRmT1_PNSt15iterator_traitsISK_E10value_typeET2_T3_PNSL_ISQ_E10value_typeET4_jRbjT5_SW_jjP12ihipStream_tbEUlT_E_NS1_11comp_targetILNS1_3genE8ELNS1_11target_archE1030ELNS1_3gpuE2ELNS1_3repE0EEENS1_30default_config_static_selectorELNS0_4arch9wavefront6targetE0EEEvSK_,"axG",@progbits,_ZN7rocprim17ROCPRIM_400000_NS6detail17trampoline_kernelINS0_14default_configENS1_36segmented_radix_sort_config_selectorIblEEZNS1_25segmented_radix_sort_implIS3_Lb0EPKbPbPKlPlN2at6native12_GLOBAL__N_18offset_tEEE10hipError_tPvRmT1_PNSt15iterator_traitsISK_E10value_typeET2_T3_PNSL_ISQ_E10value_typeET4_jRbjT5_SW_jjP12ihipStream_tbEUlT_E_NS1_11comp_targetILNS1_3genE8ELNS1_11target_archE1030ELNS1_3gpuE2ELNS1_3repE0EEENS1_30default_config_static_selectorELNS0_4arch9wavefront6targetE0EEEvSK_,comdat
	.globl	_ZN7rocprim17ROCPRIM_400000_NS6detail17trampoline_kernelINS0_14default_configENS1_36segmented_radix_sort_config_selectorIblEEZNS1_25segmented_radix_sort_implIS3_Lb0EPKbPbPKlPlN2at6native12_GLOBAL__N_18offset_tEEE10hipError_tPvRmT1_PNSt15iterator_traitsISK_E10value_typeET2_T3_PNSL_ISQ_E10value_typeET4_jRbjT5_SW_jjP12ihipStream_tbEUlT_E_NS1_11comp_targetILNS1_3genE8ELNS1_11target_archE1030ELNS1_3gpuE2ELNS1_3repE0EEENS1_30default_config_static_selectorELNS0_4arch9wavefront6targetE0EEEvSK_ ; -- Begin function _ZN7rocprim17ROCPRIM_400000_NS6detail17trampoline_kernelINS0_14default_configENS1_36segmented_radix_sort_config_selectorIblEEZNS1_25segmented_radix_sort_implIS3_Lb0EPKbPbPKlPlN2at6native12_GLOBAL__N_18offset_tEEE10hipError_tPvRmT1_PNSt15iterator_traitsISK_E10value_typeET2_T3_PNSL_ISQ_E10value_typeET4_jRbjT5_SW_jjP12ihipStream_tbEUlT_E_NS1_11comp_targetILNS1_3genE8ELNS1_11target_archE1030ELNS1_3gpuE2ELNS1_3repE0EEENS1_30default_config_static_selectorELNS0_4arch9wavefront6targetE0EEEvSK_
	.p2align	8
	.type	_ZN7rocprim17ROCPRIM_400000_NS6detail17trampoline_kernelINS0_14default_configENS1_36segmented_radix_sort_config_selectorIblEEZNS1_25segmented_radix_sort_implIS3_Lb0EPKbPbPKlPlN2at6native12_GLOBAL__N_18offset_tEEE10hipError_tPvRmT1_PNSt15iterator_traitsISK_E10value_typeET2_T3_PNSL_ISQ_E10value_typeET4_jRbjT5_SW_jjP12ihipStream_tbEUlT_E_NS1_11comp_targetILNS1_3genE8ELNS1_11target_archE1030ELNS1_3gpuE2ELNS1_3repE0EEENS1_30default_config_static_selectorELNS0_4arch9wavefront6targetE0EEEvSK_,@function
_ZN7rocprim17ROCPRIM_400000_NS6detail17trampoline_kernelINS0_14default_configENS1_36segmented_radix_sort_config_selectorIblEEZNS1_25segmented_radix_sort_implIS3_Lb0EPKbPbPKlPlN2at6native12_GLOBAL__N_18offset_tEEE10hipError_tPvRmT1_PNSt15iterator_traitsISK_E10value_typeET2_T3_PNSL_ISQ_E10value_typeET4_jRbjT5_SW_jjP12ihipStream_tbEUlT_E_NS1_11comp_targetILNS1_3genE8ELNS1_11target_archE1030ELNS1_3gpuE2ELNS1_3repE0EEENS1_30default_config_static_selectorELNS0_4arch9wavefront6targetE0EEEvSK_: ; @_ZN7rocprim17ROCPRIM_400000_NS6detail17trampoline_kernelINS0_14default_configENS1_36segmented_radix_sort_config_selectorIblEEZNS1_25segmented_radix_sort_implIS3_Lb0EPKbPbPKlPlN2at6native12_GLOBAL__N_18offset_tEEE10hipError_tPvRmT1_PNSt15iterator_traitsISK_E10value_typeET2_T3_PNSL_ISQ_E10value_typeET4_jRbjT5_SW_jjP12ihipStream_tbEUlT_E_NS1_11comp_targetILNS1_3genE8ELNS1_11target_archE1030ELNS1_3gpuE2ELNS1_3repE0EEENS1_30default_config_static_selectorELNS0_4arch9wavefront6targetE0EEEvSK_
; %bb.0:
	s_load_dwordx2 s[12:13], s[4:5], 0x38
	s_mov_b32 s28, s7
	s_mov_b32 s7, 0
	s_add_u32 s0, s0, s8
	s_addc_u32 s1, s1, 0
	s_lshl_b64 s[14:15], s[6:7], 2
	s_load_dwordx4 s[8:11], s[4:5], 0x40
	s_mov_b32 s32, 0
	s_waitcnt lgkmcnt(0)
	s_add_u32 s12, s12, s14
	s_addc_u32 s13, s13, s15
	s_load_dword s7, s[12:13], 0x0
	s_waitcnt lgkmcnt(0)
	s_add_i32 s58, s7, s9
	s_add_i32 s59, s7, s11
	s_mul_i32 s58, s58, s8
	s_mul_i32 s59, s59, s10
	s_cmp_le_u32 s59, s58
	s_cbranch_scc1 .LBB1635_1254
; %bb.1:
	s_clause 0x3
	s_load_dword s7, s[4:5], 0x30
	s_load_dwordx4 s[52:55], s[4:5], 0x20
	s_load_dwordx4 s[40:43], s[4:5], 0x50
	s_load_dwordx8 s[44:51], s[4:5], 0x0
	s_waitcnt lgkmcnt(0)
	s_bitcmp1_b32 s7, 0
	s_mov_b32 s7, -1
	s_cselect_b32 s43, -1, 0
	s_sub_i32 s60, s59, s58
	s_cmpk_lt_u32 s60, 0x1101
	s_cbranch_scc0 .LBB1635_7
; %bb.2:
	v_cndmask_b32_e64 v3, 0, 1, s43
	s_and_b32 s7, s40, 1
	v_lshlrev_b32_e32 v41, 20, v2
	v_lshlrev_b32_e32 v42, 10, v1
	v_cmp_ne_u32_e32 vcc_lo, s7, v3
	s_mov_b32 s7, -1
	s_cbranch_vccnz .LBB1635_4
; %bb.3:
	s_mov_b64 s[10:11], src_shared_base
	v_or3_b32 v31, v0, v42, v41
	v_mov_b32_e32 v40, v0
	v_mov_b32_e32 v0, s44
	;; [unrolled: 1-line block ×17, first 2 shown]
	s_add_u32 s8, s4, 0x60
	s_addc_u32 s9, s5, 0
	s_getpc_b64 s[14:15]
	s_add_u32 s14, s14, _ZN7rocprim17ROCPRIM_400000_NS6detail40segmented_radix_sort_single_block_helperIblLj256ELj17ELb0EE4sortIPKbPbPKlPlEEbT_T0_T1_T2_jjjjRNS3_12storage_typeE@rel32@lo+4
	s_addc_u32 s15, s15, _ZN7rocprim17ROCPRIM_400000_NS6detail40segmented_radix_sort_single_block_helperIblLj256ELj17ELb0EE4sortIPKbPbPKlPlEEbT_T0_T1_T2_jjjjRNS3_12storage_typeE@rel32@hi+12
	s_mov_b32 s12, s6
	s_mov_b32 s13, s28
	;; [unrolled: 1-line block ×3, first 2 shown]
	s_mov_b64 s[36:37], s[4:5]
	s_swappc_b64 s[30:31], s[14:15]
	v_mov_b32_e32 v1, v43
	v_mov_b32_e32 v2, v44
	;; [unrolled: 1-line block ×3, first 2 shown]
	s_mov_b64 s[4:5], s[36:37]
	s_mov_b32 s6, s34
	s_mov_b32 s7, 0
.LBB1635_4:
	s_andn2_b32 vcc_lo, exec_lo, s7
	s_cbranch_vccnz .LBB1635_6
; %bb.5:
	s_mov_b64 s[10:11], src_shared_base
	v_or3_b32 v31, v0, v42, v41
	v_mov_b32_e32 v40, v0
	v_mov_b32_e32 v0, s44
	;; [unrolled: 1-line block ×17, first 2 shown]
	s_add_u32 s8, s4, 0x60
	s_addc_u32 s9, s5, 0
	s_getpc_b64 s[14:15]
	s_add_u32 s14, s14, _ZN7rocprim17ROCPRIM_400000_NS6detail40segmented_radix_sort_single_block_helperIblLj256ELj17ELb0EE4sortIPKbPbPKlPlEEbT_T0_T1_T2_jjjjRNS3_12storage_typeE@rel32@lo+4
	s_addc_u32 s15, s15, _ZN7rocprim17ROCPRIM_400000_NS6detail40segmented_radix_sort_single_block_helperIblLj256ELj17ELb0EE4sortIPKbPbPKlPlEEbT_T0_T1_T2_jjjjRNS3_12storage_typeE@rel32@hi+12
	s_mov_b32 s12, s6
	s_mov_b32 s13, s28
	;; [unrolled: 1-line block ×3, first 2 shown]
	s_mov_b64 s[36:37], s[4:5]
	s_swappc_b64 s[30:31], s[14:15]
	v_mov_b32_e32 v1, v41
	v_mov_b32_e32 v2, v42
	;; [unrolled: 1-line block ×3, first 2 shown]
	s_mov_b64 s[4:5], s[36:37]
	s_mov_b32 s6, s34
.LBB1635_6:
	s_mov_b32 s7, 0
.LBB1635_7:
	s_andn2_b32 vcc_lo, exec_lo, s7
	s_cbranch_vccnz .LBB1635_1254
; %bb.8:
	s_cmp_ge_u32 s41, s42
	s_cbranch_scc1 .LBB1635_1254
; %bb.9:
	v_lshlrev_b32_e32 v43, 2, v0
	v_and_b32_e32 v3, 3, v0
	v_and_b32_e32 v5, 0xe0, v0
	s_add_u32 s56, s4, 0x60
	v_lshrrev_b32_e32 v7, 3, v0
	v_mad_u32_u24 v64, v0, 12, v43
	v_lshlrev_b32_e32 v63, 2, v3
	v_min_u32_e32 v6, 0x60, v5
	v_or_b32_e32 v3, 31, v5
	v_mul_u32_u24_e32 v68, 17, v5
	v_add_nc_u32_e32 v69, v64, v43
	v_lshlrev_b32_e32 v5, 4, v0
	v_or_b32_e32 v6, 31, v6
	v_cmp_eq_u32_e64 s4, v0, v3
	v_add_nc_u32_e32 v3, 1, v0
	v_mbcnt_lo_u32_b32 v86, -1, 0
	v_sub_nc_u32_e32 v70, v69, v5
	v_lshlrev_b32_e32 v5, 3, v68
	v_cmp_eq_u32_e64 s8, v0, v6
	v_mul_u32_u24_e32 v71, 36, v3
	v_cmp_ne_u32_e64 s13, 0x80, v3
	v_and_b32_e32 v62, 28, v7
	v_add_co_u32 v73, s14, s54, v5
	v_add_co_ci_u32_e64 v74, null, s55, 0, s14
	v_add_co_u32 v3, s14, s48, v68
	v_add_co_ci_u32_e64 v6, null, s49, 0, s14
	;; [unrolled: 2-line block ×6, first 2 shown]
	v_add_co_u32 v84, s14, s50, v5
	v_add_co_u32 v45, s7, s48, v0
	v_add_co_ci_u32_e64 v85, null, s51, 0, s14
	v_add_co_u32 v87, s14, s44, v68
	v_add_co_u32 v90, vcc_lo, v3, v86
	v_mov_b32_e32 v4, 0
	v_or_b32_e32 v44, 0x100, v0
	v_add_co_ci_u32_e64 v46, null, s49, 0, s7
	v_or_b32_e32 v47, 0x200, v0
	v_or_b32_e32 v48, 0x300, v0
	;; [unrolled: 1-line block ×15, first 2 shown]
	v_cmp_gt_u32_e64 s7, 0x80, v0
	v_or_b32_e32 v65, 0x8a00, v62
	v_cmp_gt_u32_e64 s9, 4, v0
	v_add_nc_u32_e32 v66, 0x8a00, v43
	v_cmp_lt_u32_e64 s10, 31, v0
	v_add_nc_u32_e32 v67, 0x89fc, v62
	v_cmp_gt_u32_e64 s11, 8, v0
	v_cmp_eq_u32_e64 s12, 0, v0
	v_lshlrev_b32_e32 v72, 5, v0
	v_mul_u32_u24_e32 v75, 7, v0
	v_add_co_ci_u32_e64 v88, null, s45, 0, s14
	v_mov_b32_e32 v89, 1
	v_add_co_ci_u32_e64 v91, null, 0, v6, vcc_lo
	s_addc_u32 s57, s5, 0
	s_mov_b32 s51, 0
	s_mov_b32 s61, s41
	s_branch .LBB1635_12
.LBB1635_10:                            ;   in Loop: Header=BB1635_12 Depth=1
	s_waitcnt lgkmcnt(0)
	s_barrier
.LBB1635_11:                            ;   in Loop: Header=BB1635_12 Depth=1
	s_add_i32 s61, s61, 7
	buffer_gl0_inv
	s_cmp_ge_u32 s61, s42
	s_cbranch_scc1 .LBB1635_1254
.LBB1635_12:                            ; =>This Loop Header: Depth=1
                                        ;     Child Loop BB1635_16 Depth 2
                                        ;     Child Loop BB1635_100 Depth 2
	;; [unrolled: 1-line block ×8, first 2 shown]
	s_sub_i32 s5, s42, s61
	s_xor_b32 s43, s43, -1
	s_min_u32 s5, s5, 7
	ds_write2st64_b32 v43, v4, v4 offset1:4
	s_lshl_b32 s5, -1, s5
	s_waitcnt lgkmcnt(0)
	s_waitcnt_vscnt null, 0x0
	s_not_b32 s62, s5
	s_cmp_lg_u32 s61, s41
	s_mov_b32 s5, -1
	s_cbranch_scc0 .LBB1635_634
; %bb.13:                               ;   in Loop: Header=BB1635_12 Depth=1
	s_and_b32 vcc_lo, exec_lo, s43
	s_cbranch_vccz .LBB1635_323
; %bb.14:                               ;   in Loop: Header=BB1635_12 Depth=1
	v_mov_b32_e32 v17, 0
	v_mov_b32_e32 v20, 0
	v_mov_b32_e32 v19, 0
	v_mov_b32_e32 v18, 0
	v_mov_b32_e32 v16, 0
	v_mov_b32_e32 v15, 0
	v_mov_b32_e32 v14, 0
	v_mov_b32_e32 v13, 0
	v_mov_b32_e32 v12, 0
	v_mov_b32_e32 v11, 0
	v_mov_b32_e32 v10, 0
	v_mov_b32_e32 v9, 0
	v_mov_b32_e32 v8, 0
	v_mov_b32_e32 v7, 0
	v_mov_b32_e32 v6, 0
	v_mov_b32_e32 v5, 0
	v_mov_b32_e32 v3, 0
	s_mov_b32 s5, s60
	s_mov_b32 s16, s58
	s_barrier
	buffer_gl0_inv
	s_branch .LBB1635_16
.LBB1635_15:                            ;   in Loop: Header=BB1635_16 Depth=2
	s_or_b32 exec_lo, exec_lo, s15
	s_addk_i32 s5, 0xef00
	s_cmp_ge_u32 s14, s59
	s_mov_b32 s16, s14
	s_cbranch_scc1 .LBB1635_88
.LBB1635_16:                            ;   Parent Loop BB1635_12 Depth=1
                                        ; =>  This Inner Loop Header: Depth=2
	s_add_i32 s14, s16, 0x1100
	s_mov_b32 s15, -1
	s_cmp_gt_u32 s14, s59
                                        ; implicit-def: $vgpr21
                                        ; implicit-def: $vgpr22
                                        ; implicit-def: $vgpr23
                                        ; implicit-def: $vgpr24
                                        ; implicit-def: $vgpr25
                                        ; implicit-def: $vgpr26
                                        ; implicit-def: $vgpr27
                                        ; implicit-def: $vgpr28
                                        ; implicit-def: $vgpr29
                                        ; implicit-def: $vgpr30
                                        ; implicit-def: $vgpr31
                                        ; implicit-def: $vgpr32
                                        ; implicit-def: $vgpr33
                                        ; implicit-def: $vgpr34
                                        ; implicit-def: $vgpr35
                                        ; implicit-def: $vgpr36
                                        ; implicit-def: $vgpr37
	s_cbranch_scc1 .LBB1635_18
; %bb.17:                               ;   in Loop: Header=BB1635_16 Depth=2
	v_add_co_u32 v38, vcc_lo, v45, s16
	v_add_co_ci_u32_e64 v39, null, 0, v46, vcc_lo
	s_mov_b32 s15, 0
	v_add_co_u32 v21, vcc_lo, 0x800, v38
	v_add_co_ci_u32_e64 v22, null, 0, v39, vcc_lo
	v_add_co_u32 v23, vcc_lo, 0x1000, v38
	v_add_co_ci_u32_e64 v24, null, 0, v39, vcc_lo
	s_clause 0x10
	global_load_ubyte v36, v[21:22], off offset:1792
	global_load_ubyte v37, v[23:24], off
	global_load_ubyte v35, v[21:22], off offset:1536
	global_load_ubyte v34, v[21:22], off offset:1280
	;; [unrolled: 1-line block ×6, first 2 shown]
	global_load_ubyte v29, v[21:22], off
	global_load_ubyte v28, v[38:39], off offset:1792
	global_load_ubyte v27, v[38:39], off offset:1536
	;; [unrolled: 1-line block ×7, first 2 shown]
	global_load_ubyte v21, v[38:39], off
.LBB1635_18:                            ;   in Loop: Header=BB1635_16 Depth=2
	s_andn2_b32 vcc_lo, exec_lo, s15
	s_movk_i32 s15, 0x1100
	s_cbranch_vccnz .LBB1635_38
; %bb.19:                               ;   in Loop: Header=BB1635_16 Depth=2
	s_add_u32 s15, s48, s16
	s_addc_u32 s16, s49, 0
	s_mov_b32 s17, exec_lo
	v_cmpx_gt_u32_e64 s5, v0
	s_cbranch_execnz .LBB1635_72
; %bb.20:                               ;   in Loop: Header=BB1635_16 Depth=2
	s_or_b32 exec_lo, exec_lo, s17
	s_mov_b32 s17, exec_lo
	v_cmpx_gt_u32_e64 s5, v44
	s_cbranch_execnz .LBB1635_73
.LBB1635_21:                            ;   in Loop: Header=BB1635_16 Depth=2
	s_or_b32 exec_lo, exec_lo, s17
	s_mov_b32 s17, exec_lo
	v_cmpx_gt_u32_e64 s5, v47
	s_cbranch_execnz .LBB1635_74
.LBB1635_22:                            ;   in Loop: Header=BB1635_16 Depth=2
	s_or_b32 exec_lo, exec_lo, s17
	s_mov_b32 s17, exec_lo
	v_cmpx_gt_u32_e64 s5, v48
	s_cbranch_execnz .LBB1635_75
.LBB1635_23:                            ;   in Loop: Header=BB1635_16 Depth=2
	s_or_b32 exec_lo, exec_lo, s17
	s_mov_b32 s17, exec_lo
	v_cmpx_gt_u32_e64 s5, v49
	s_cbranch_execnz .LBB1635_76
.LBB1635_24:                            ;   in Loop: Header=BB1635_16 Depth=2
	s_or_b32 exec_lo, exec_lo, s17
	s_mov_b32 s17, exec_lo
	v_cmpx_gt_u32_e64 s5, v50
	s_cbranch_execnz .LBB1635_77
.LBB1635_25:                            ;   in Loop: Header=BB1635_16 Depth=2
	s_or_b32 exec_lo, exec_lo, s17
	s_mov_b32 s17, exec_lo
	v_cmpx_gt_u32_e64 s5, v51
	s_cbranch_execnz .LBB1635_78
.LBB1635_26:                            ;   in Loop: Header=BB1635_16 Depth=2
	s_or_b32 exec_lo, exec_lo, s17
	s_mov_b32 s17, exec_lo
	v_cmpx_gt_u32_e64 s5, v52
	s_cbranch_execnz .LBB1635_79
.LBB1635_27:                            ;   in Loop: Header=BB1635_16 Depth=2
	s_or_b32 exec_lo, exec_lo, s17
	s_mov_b32 s17, exec_lo
	v_cmpx_gt_u32_e64 s5, v53
	s_cbranch_execnz .LBB1635_80
.LBB1635_28:                            ;   in Loop: Header=BB1635_16 Depth=2
	s_or_b32 exec_lo, exec_lo, s17
	s_mov_b32 s17, exec_lo
	v_cmpx_gt_u32_e64 s5, v54
	s_cbranch_execnz .LBB1635_81
.LBB1635_29:                            ;   in Loop: Header=BB1635_16 Depth=2
	s_or_b32 exec_lo, exec_lo, s17
	s_mov_b32 s17, exec_lo
	v_cmpx_gt_u32_e64 s5, v55
	s_cbranch_execnz .LBB1635_82
.LBB1635_30:                            ;   in Loop: Header=BB1635_16 Depth=2
	s_or_b32 exec_lo, exec_lo, s17
	s_mov_b32 s17, exec_lo
	v_cmpx_gt_u32_e64 s5, v56
	s_cbranch_execnz .LBB1635_83
.LBB1635_31:                            ;   in Loop: Header=BB1635_16 Depth=2
	s_or_b32 exec_lo, exec_lo, s17
	s_mov_b32 s17, exec_lo
	v_cmpx_gt_u32_e64 s5, v57
	s_cbranch_execnz .LBB1635_84
.LBB1635_32:                            ;   in Loop: Header=BB1635_16 Depth=2
	s_or_b32 exec_lo, exec_lo, s17
	s_mov_b32 s17, exec_lo
	v_cmpx_gt_u32_e64 s5, v58
	s_cbranch_execnz .LBB1635_85
.LBB1635_33:                            ;   in Loop: Header=BB1635_16 Depth=2
	s_or_b32 exec_lo, exec_lo, s17
	s_mov_b32 s17, exec_lo
	v_cmpx_gt_u32_e64 s5, v59
	s_cbranch_execnz .LBB1635_86
.LBB1635_34:                            ;   in Loop: Header=BB1635_16 Depth=2
	s_or_b32 exec_lo, exec_lo, s17
	s_mov_b32 s17, exec_lo
	v_cmpx_gt_u32_e64 s5, v60
	s_cbranch_execnz .LBB1635_87
.LBB1635_35:                            ;   in Loop: Header=BB1635_16 Depth=2
	s_or_b32 exec_lo, exec_lo, s17
	s_mov_b32 s17, exec_lo
	v_cmpx_gt_u32_e64 s5, v61
	s_cbranch_execz .LBB1635_37
.LBB1635_36:                            ;   in Loop: Header=BB1635_16 Depth=2
	s_waitcnt vmcnt(0)
	v_add_co_u32 v21, s15, s15, v61
	v_add_co_ci_u32_e64 v22, null, s16, 0, s15
	global_load_ubyte v3, v[21:22], off
.LBB1635_37:                            ;   in Loop: Header=BB1635_16 Depth=2
	s_or_b32 exec_lo, exec_lo, s17
	s_waitcnt vmcnt(0)
	v_mov_b32_e32 v21, v17
	v_mov_b32_e32 v22, v20
	;; [unrolled: 1-line block ×17, first 2 shown]
	s_mov_b32 s15, s5
.LBB1635_38:                            ;   in Loop: Header=BB1635_16 Depth=2
	s_waitcnt vmcnt(15)
	v_mov_b32_e32 v3, v37
	v_mov_b32_e32 v5, v36
	s_waitcnt vmcnt(14)
	v_mov_b32_e32 v6, v35
	s_waitcnt vmcnt(13)
	;; [unrolled: 2-line block ×15, first 2 shown]
	v_mov_b32_e32 v17, v21
	s_mov_b32 s16, exec_lo
	v_cmpx_gt_u32_e64 s15, v0
	s_cbranch_execnz .LBB1635_55
; %bb.39:                               ;   in Loop: Header=BB1635_16 Depth=2
	s_or_b32 exec_lo, exec_lo, s16
	s_mov_b32 s16, exec_lo
	v_cmpx_gt_u32_e64 s15, v44
	s_cbranch_execnz .LBB1635_56
.LBB1635_40:                            ;   in Loop: Header=BB1635_16 Depth=2
	s_or_b32 exec_lo, exec_lo, s16
	s_mov_b32 s16, exec_lo
	v_cmpx_gt_u32_e64 s15, v47
	s_cbranch_execnz .LBB1635_57
.LBB1635_41:                            ;   in Loop: Header=BB1635_16 Depth=2
	s_or_b32 exec_lo, exec_lo, s16
	s_mov_b32 s16, exec_lo
	v_cmpx_gt_u32_e64 s15, v48
	s_cbranch_execnz .LBB1635_58
.LBB1635_42:                            ;   in Loop: Header=BB1635_16 Depth=2
	s_or_b32 exec_lo, exec_lo, s16
	s_mov_b32 s16, exec_lo
	v_cmpx_gt_u32_e64 s15, v49
	s_cbranch_execnz .LBB1635_59
.LBB1635_43:                            ;   in Loop: Header=BB1635_16 Depth=2
	s_or_b32 exec_lo, exec_lo, s16
	s_mov_b32 s16, exec_lo
	v_cmpx_gt_u32_e64 s15, v50
	s_cbranch_execnz .LBB1635_60
.LBB1635_44:                            ;   in Loop: Header=BB1635_16 Depth=2
	s_or_b32 exec_lo, exec_lo, s16
	s_mov_b32 s16, exec_lo
	v_cmpx_gt_u32_e64 s15, v51
	s_cbranch_execnz .LBB1635_61
.LBB1635_45:                            ;   in Loop: Header=BB1635_16 Depth=2
	s_or_b32 exec_lo, exec_lo, s16
	s_mov_b32 s16, exec_lo
	v_cmpx_gt_u32_e64 s15, v52
	s_cbranch_execnz .LBB1635_62
.LBB1635_46:                            ;   in Loop: Header=BB1635_16 Depth=2
	s_or_b32 exec_lo, exec_lo, s16
	s_mov_b32 s16, exec_lo
	v_cmpx_gt_u32_e64 s15, v53
	s_cbranch_execnz .LBB1635_63
.LBB1635_47:                            ;   in Loop: Header=BB1635_16 Depth=2
	s_or_b32 exec_lo, exec_lo, s16
	s_mov_b32 s16, exec_lo
	v_cmpx_gt_u32_e64 s15, v54
	s_cbranch_execnz .LBB1635_64
.LBB1635_48:                            ;   in Loop: Header=BB1635_16 Depth=2
	s_or_b32 exec_lo, exec_lo, s16
	s_mov_b32 s16, exec_lo
	v_cmpx_gt_u32_e64 s15, v55
	s_cbranch_execnz .LBB1635_65
.LBB1635_49:                            ;   in Loop: Header=BB1635_16 Depth=2
	s_or_b32 exec_lo, exec_lo, s16
	s_mov_b32 s16, exec_lo
	v_cmpx_gt_u32_e64 s15, v56
	s_cbranch_execnz .LBB1635_66
.LBB1635_50:                            ;   in Loop: Header=BB1635_16 Depth=2
	s_or_b32 exec_lo, exec_lo, s16
	s_mov_b32 s16, exec_lo
	v_cmpx_gt_u32_e64 s15, v57
	s_cbranch_execnz .LBB1635_67
.LBB1635_51:                            ;   in Loop: Header=BB1635_16 Depth=2
	s_or_b32 exec_lo, exec_lo, s16
	s_mov_b32 s16, exec_lo
	v_cmpx_gt_u32_e64 s15, v58
	s_cbranch_execnz .LBB1635_68
.LBB1635_52:                            ;   in Loop: Header=BB1635_16 Depth=2
	s_or_b32 exec_lo, exec_lo, s16
	s_mov_b32 s16, exec_lo
	v_cmpx_gt_u32_e64 s15, v59
	s_cbranch_execnz .LBB1635_69
.LBB1635_53:                            ;   in Loop: Header=BB1635_16 Depth=2
	s_or_b32 exec_lo, exec_lo, s16
	s_mov_b32 s16, exec_lo
	v_cmpx_gt_u32_e64 s15, v60
	s_cbranch_execnz .LBB1635_70
.LBB1635_54:                            ;   in Loop: Header=BB1635_16 Depth=2
	s_or_b32 exec_lo, exec_lo, s16
	v_cmp_gt_u32_e32 vcc_lo, s15, v61
	s_and_saveexec_b32 s15, vcc_lo
	s_cbranch_execz .LBB1635_15
	s_branch .LBB1635_71
.LBB1635_55:                            ;   in Loop: Header=BB1635_16 Depth=2
	v_and_b32_e32 v21, 1, v17
	v_lshrrev_b32_e32 v21, s61, v21
	v_and_b32_e32 v21, s62, v21
	v_lshl_or_b32 v21, v21, 4, v63
	ds_add_u32 v21, v89
	s_or_b32 exec_lo, exec_lo, s16
	s_mov_b32 s16, exec_lo
	v_cmpx_gt_u32_e64 s15, v44
	s_cbranch_execz .LBB1635_40
.LBB1635_56:                            ;   in Loop: Header=BB1635_16 Depth=2
	v_and_b32_e32 v21, 1, v20
	v_lshrrev_b32_e32 v21, s61, v21
	v_and_b32_e32 v21, s62, v21
	v_lshl_or_b32 v21, v21, 4, v63
	ds_add_u32 v21, v89
	s_or_b32 exec_lo, exec_lo, s16
	s_mov_b32 s16, exec_lo
	v_cmpx_gt_u32_e64 s15, v47
	s_cbranch_execz .LBB1635_41
.LBB1635_57:                            ;   in Loop: Header=BB1635_16 Depth=2
	v_and_b32_e32 v21, 1, v19
	v_lshrrev_b32_e32 v21, s61, v21
	v_and_b32_e32 v21, s62, v21
	v_lshl_or_b32 v21, v21, 4, v63
	ds_add_u32 v21, v89
	s_or_b32 exec_lo, exec_lo, s16
	s_mov_b32 s16, exec_lo
	v_cmpx_gt_u32_e64 s15, v48
	s_cbranch_execz .LBB1635_42
.LBB1635_58:                            ;   in Loop: Header=BB1635_16 Depth=2
	v_and_b32_e32 v21, 1, v18
	v_lshrrev_b32_e32 v21, s61, v21
	v_and_b32_e32 v21, s62, v21
	v_lshl_or_b32 v21, v21, 4, v63
	ds_add_u32 v21, v89
	s_or_b32 exec_lo, exec_lo, s16
	s_mov_b32 s16, exec_lo
	v_cmpx_gt_u32_e64 s15, v49
	s_cbranch_execz .LBB1635_43
.LBB1635_59:                            ;   in Loop: Header=BB1635_16 Depth=2
	v_and_b32_e32 v21, 1, v16
	v_lshrrev_b32_e32 v21, s61, v21
	v_and_b32_e32 v21, s62, v21
	v_lshl_or_b32 v21, v21, 4, v63
	ds_add_u32 v21, v89
	s_or_b32 exec_lo, exec_lo, s16
	s_mov_b32 s16, exec_lo
	v_cmpx_gt_u32_e64 s15, v50
	s_cbranch_execz .LBB1635_44
.LBB1635_60:                            ;   in Loop: Header=BB1635_16 Depth=2
	v_and_b32_e32 v21, 1, v15
	v_lshrrev_b32_e32 v21, s61, v21
	v_and_b32_e32 v21, s62, v21
	v_lshl_or_b32 v21, v21, 4, v63
	ds_add_u32 v21, v89
	s_or_b32 exec_lo, exec_lo, s16
	s_mov_b32 s16, exec_lo
	v_cmpx_gt_u32_e64 s15, v51
	s_cbranch_execz .LBB1635_45
.LBB1635_61:                            ;   in Loop: Header=BB1635_16 Depth=2
	v_and_b32_e32 v21, 1, v14
	v_lshrrev_b32_e32 v21, s61, v21
	v_and_b32_e32 v21, s62, v21
	v_lshl_or_b32 v21, v21, 4, v63
	ds_add_u32 v21, v89
	s_or_b32 exec_lo, exec_lo, s16
	s_mov_b32 s16, exec_lo
	v_cmpx_gt_u32_e64 s15, v52
	s_cbranch_execz .LBB1635_46
.LBB1635_62:                            ;   in Loop: Header=BB1635_16 Depth=2
	v_and_b32_e32 v21, 1, v13
	v_lshrrev_b32_e32 v21, s61, v21
	v_and_b32_e32 v21, s62, v21
	v_lshl_or_b32 v21, v21, 4, v63
	ds_add_u32 v21, v89
	s_or_b32 exec_lo, exec_lo, s16
	s_mov_b32 s16, exec_lo
	v_cmpx_gt_u32_e64 s15, v53
	s_cbranch_execz .LBB1635_47
.LBB1635_63:                            ;   in Loop: Header=BB1635_16 Depth=2
	v_and_b32_e32 v21, 1, v12
	v_lshrrev_b32_e32 v21, s61, v21
	v_and_b32_e32 v21, s62, v21
	v_lshl_or_b32 v21, v21, 4, v63
	ds_add_u32 v21, v89
	s_or_b32 exec_lo, exec_lo, s16
	s_mov_b32 s16, exec_lo
	v_cmpx_gt_u32_e64 s15, v54
	s_cbranch_execz .LBB1635_48
.LBB1635_64:                            ;   in Loop: Header=BB1635_16 Depth=2
	v_and_b32_e32 v21, 1, v11
	v_lshrrev_b32_e32 v21, s61, v21
	v_and_b32_e32 v21, s62, v21
	v_lshl_or_b32 v21, v21, 4, v63
	ds_add_u32 v21, v89
	s_or_b32 exec_lo, exec_lo, s16
	s_mov_b32 s16, exec_lo
	v_cmpx_gt_u32_e64 s15, v55
	s_cbranch_execz .LBB1635_49
.LBB1635_65:                            ;   in Loop: Header=BB1635_16 Depth=2
	v_and_b32_e32 v21, 1, v10
	v_lshrrev_b32_e32 v21, s61, v21
	v_and_b32_e32 v21, s62, v21
	v_lshl_or_b32 v21, v21, 4, v63
	ds_add_u32 v21, v89
	s_or_b32 exec_lo, exec_lo, s16
	s_mov_b32 s16, exec_lo
	v_cmpx_gt_u32_e64 s15, v56
	s_cbranch_execz .LBB1635_50
.LBB1635_66:                            ;   in Loop: Header=BB1635_16 Depth=2
	v_and_b32_e32 v21, 1, v9
	v_lshrrev_b32_e32 v21, s61, v21
	v_and_b32_e32 v21, s62, v21
	v_lshl_or_b32 v21, v21, 4, v63
	ds_add_u32 v21, v89
	s_or_b32 exec_lo, exec_lo, s16
	s_mov_b32 s16, exec_lo
	v_cmpx_gt_u32_e64 s15, v57
	s_cbranch_execz .LBB1635_51
.LBB1635_67:                            ;   in Loop: Header=BB1635_16 Depth=2
	v_and_b32_e32 v21, 1, v8
	v_lshrrev_b32_e32 v21, s61, v21
	v_and_b32_e32 v21, s62, v21
	v_lshl_or_b32 v21, v21, 4, v63
	ds_add_u32 v21, v89
	s_or_b32 exec_lo, exec_lo, s16
	s_mov_b32 s16, exec_lo
	v_cmpx_gt_u32_e64 s15, v58
	s_cbranch_execz .LBB1635_52
.LBB1635_68:                            ;   in Loop: Header=BB1635_16 Depth=2
	v_and_b32_e32 v21, 1, v7
	v_lshrrev_b32_e32 v21, s61, v21
	v_and_b32_e32 v21, s62, v21
	v_lshl_or_b32 v21, v21, 4, v63
	ds_add_u32 v21, v89
	s_or_b32 exec_lo, exec_lo, s16
	s_mov_b32 s16, exec_lo
	v_cmpx_gt_u32_e64 s15, v59
	s_cbranch_execz .LBB1635_53
.LBB1635_69:                            ;   in Loop: Header=BB1635_16 Depth=2
	v_and_b32_e32 v21, 1, v6
	v_lshrrev_b32_e32 v21, s61, v21
	v_and_b32_e32 v21, s62, v21
	v_lshl_or_b32 v21, v21, 4, v63
	ds_add_u32 v21, v89
	s_or_b32 exec_lo, exec_lo, s16
	s_mov_b32 s16, exec_lo
	v_cmpx_gt_u32_e64 s15, v60
	s_cbranch_execz .LBB1635_54
.LBB1635_70:                            ;   in Loop: Header=BB1635_16 Depth=2
	v_and_b32_e32 v21, 1, v5
	v_lshrrev_b32_e32 v21, s61, v21
	v_and_b32_e32 v21, s62, v21
	v_lshl_or_b32 v21, v21, 4, v63
	ds_add_u32 v21, v89
	s_or_b32 exec_lo, exec_lo, s16
	v_cmp_gt_u32_e32 vcc_lo, s15, v61
	s_and_saveexec_b32 s15, vcc_lo
	s_cbranch_execz .LBB1635_15
.LBB1635_71:                            ;   in Loop: Header=BB1635_16 Depth=2
	v_and_b32_e32 v21, 1, v3
	v_lshrrev_b32_e32 v21, s61, v21
	v_and_b32_e32 v21, s62, v21
	v_lshl_or_b32 v21, v21, 4, v63
	ds_add_u32 v21, v89
	s_branch .LBB1635_15
.LBB1635_72:                            ;   in Loop: Header=BB1635_16 Depth=2
	s_waitcnt vmcnt(0)
	v_add_co_u32 v21, s18, s15, v0
	v_add_co_ci_u32_e64 v22, null, s16, 0, s18
	global_load_ubyte v17, v[21:22], off
	s_or_b32 exec_lo, exec_lo, s17
	s_mov_b32 s17, exec_lo
	v_cmpx_gt_u32_e64 s5, v44
	s_cbranch_execz .LBB1635_21
.LBB1635_73:                            ;   in Loop: Header=BB1635_16 Depth=2
	v_add_co_u32 v20, s18, s15, v0
	s_waitcnt vmcnt(0)
	v_add_co_ci_u32_e64 v21, null, s16, 0, s18
	global_load_ubyte v20, v[20:21], off offset:256
	s_or_b32 exec_lo, exec_lo, s17
	s_mov_b32 s17, exec_lo
	v_cmpx_gt_u32_e64 s5, v47
	s_cbranch_execz .LBB1635_22
.LBB1635_74:                            ;   in Loop: Header=BB1635_16 Depth=2
	s_waitcnt vmcnt(0)
	v_add_co_u32 v21, s18, s15, v0
	v_add_co_ci_u32_e64 v22, null, s16, 0, s18
	global_load_ubyte v19, v[21:22], off offset:512
	s_or_b32 exec_lo, exec_lo, s17
	s_mov_b32 s17, exec_lo
	v_cmpx_gt_u32_e64 s5, v48
	s_cbranch_execz .LBB1635_23
.LBB1635_75:                            ;   in Loop: Header=BB1635_16 Depth=2
	s_waitcnt vmcnt(0)
	v_add_co_u32 v21, s18, s15, v0
	v_add_co_ci_u32_e64 v22, null, s16, 0, s18
	global_load_ubyte v18, v[21:22], off offset:768
	s_or_b32 exec_lo, exec_lo, s17
	s_mov_b32 s17, exec_lo
	v_cmpx_gt_u32_e64 s5, v49
	s_cbranch_execz .LBB1635_24
.LBB1635_76:                            ;   in Loop: Header=BB1635_16 Depth=2
	s_waitcnt vmcnt(0)
	v_add_co_u32 v21, s18, s15, v0
	v_add_co_ci_u32_e64 v22, null, s16, 0, s18
	global_load_ubyte v16, v[21:22], off offset:1024
	s_or_b32 exec_lo, exec_lo, s17
	s_mov_b32 s17, exec_lo
	v_cmpx_gt_u32_e64 s5, v50
	s_cbranch_execz .LBB1635_25
.LBB1635_77:                            ;   in Loop: Header=BB1635_16 Depth=2
	s_waitcnt vmcnt(0)
	v_add_co_u32 v21, s18, s15, v0
	v_add_co_ci_u32_e64 v22, null, s16, 0, s18
	global_load_ubyte v15, v[21:22], off offset:1280
	s_or_b32 exec_lo, exec_lo, s17
	s_mov_b32 s17, exec_lo
	v_cmpx_gt_u32_e64 s5, v51
	s_cbranch_execz .LBB1635_26
.LBB1635_78:                            ;   in Loop: Header=BB1635_16 Depth=2
	s_waitcnt vmcnt(0)
	v_add_co_u32 v21, s18, s15, v0
	v_add_co_ci_u32_e64 v22, null, s16, 0, s18
	global_load_ubyte v14, v[21:22], off offset:1536
	s_or_b32 exec_lo, exec_lo, s17
	s_mov_b32 s17, exec_lo
	v_cmpx_gt_u32_e64 s5, v52
	s_cbranch_execz .LBB1635_27
.LBB1635_79:                            ;   in Loop: Header=BB1635_16 Depth=2
	s_waitcnt vmcnt(0)
	v_add_co_u32 v21, s18, s15, v0
	v_add_co_ci_u32_e64 v22, null, s16, 0, s18
	global_load_ubyte v13, v[21:22], off offset:1792
	s_or_b32 exec_lo, exec_lo, s17
	s_mov_b32 s17, exec_lo
	v_cmpx_gt_u32_e64 s5, v53
	s_cbranch_execz .LBB1635_28
.LBB1635_80:                            ;   in Loop: Header=BB1635_16 Depth=2
	s_waitcnt vmcnt(0)
	v_add_co_u32 v21, s18, s15, v53
	v_add_co_ci_u32_e64 v22, null, s16, 0, s18
	global_load_ubyte v12, v[21:22], off
	s_or_b32 exec_lo, exec_lo, s17
	s_mov_b32 s17, exec_lo
	v_cmpx_gt_u32_e64 s5, v54
	s_cbranch_execz .LBB1635_29
.LBB1635_81:                            ;   in Loop: Header=BB1635_16 Depth=2
	s_waitcnt vmcnt(0)
	v_add_co_u32 v21, s18, s15, v54
	v_add_co_ci_u32_e64 v22, null, s16, 0, s18
	global_load_ubyte v11, v[21:22], off
	s_or_b32 exec_lo, exec_lo, s17
	s_mov_b32 s17, exec_lo
	v_cmpx_gt_u32_e64 s5, v55
	s_cbranch_execz .LBB1635_30
.LBB1635_82:                            ;   in Loop: Header=BB1635_16 Depth=2
	s_waitcnt vmcnt(0)
	v_add_co_u32 v21, s18, s15, v55
	v_add_co_ci_u32_e64 v22, null, s16, 0, s18
	global_load_ubyte v10, v[21:22], off
	s_or_b32 exec_lo, exec_lo, s17
	s_mov_b32 s17, exec_lo
	v_cmpx_gt_u32_e64 s5, v56
	s_cbranch_execz .LBB1635_31
.LBB1635_83:                            ;   in Loop: Header=BB1635_16 Depth=2
	s_waitcnt vmcnt(0)
	v_add_co_u32 v21, s18, s15, v56
	v_add_co_ci_u32_e64 v22, null, s16, 0, s18
	global_load_ubyte v9, v[21:22], off
	s_or_b32 exec_lo, exec_lo, s17
	s_mov_b32 s17, exec_lo
	v_cmpx_gt_u32_e64 s5, v57
	s_cbranch_execz .LBB1635_32
.LBB1635_84:                            ;   in Loop: Header=BB1635_16 Depth=2
	s_waitcnt vmcnt(0)
	v_add_co_u32 v21, s18, s15, v57
	v_add_co_ci_u32_e64 v22, null, s16, 0, s18
	global_load_ubyte v8, v[21:22], off
	s_or_b32 exec_lo, exec_lo, s17
	s_mov_b32 s17, exec_lo
	v_cmpx_gt_u32_e64 s5, v58
	s_cbranch_execz .LBB1635_33
.LBB1635_85:                            ;   in Loop: Header=BB1635_16 Depth=2
	s_waitcnt vmcnt(0)
	v_add_co_u32 v21, s18, s15, v58
	v_add_co_ci_u32_e64 v22, null, s16, 0, s18
	global_load_ubyte v7, v[21:22], off
	s_or_b32 exec_lo, exec_lo, s17
	s_mov_b32 s17, exec_lo
	v_cmpx_gt_u32_e64 s5, v59
	s_cbranch_execz .LBB1635_34
.LBB1635_86:                            ;   in Loop: Header=BB1635_16 Depth=2
	s_waitcnt vmcnt(0)
	v_add_co_u32 v21, s18, s15, v59
	v_add_co_ci_u32_e64 v22, null, s16, 0, s18
	global_load_ubyte v6, v[21:22], off
	s_or_b32 exec_lo, exec_lo, s17
	s_mov_b32 s17, exec_lo
	v_cmpx_gt_u32_e64 s5, v60
	s_cbranch_execz .LBB1635_35
.LBB1635_87:                            ;   in Loop: Header=BB1635_16 Depth=2
	s_waitcnt vmcnt(0)
	v_add_co_u32 v21, s18, s15, v60
	v_add_co_ci_u32_e64 v22, null, s16, 0, s18
	global_load_ubyte v5, v[21:22], off
	s_or_b32 exec_lo, exec_lo, s17
	s_mov_b32 s17, exec_lo
	v_cmpx_gt_u32_e64 s5, v61
	s_cbranch_execnz .LBB1635_36
	s_branch .LBB1635_37
.LBB1635_88:                            ;   in Loop: Header=BB1635_12 Depth=1
	v_mov_b32_e32 v3, 0
	s_waitcnt lgkmcnt(0)
	s_barrier
	buffer_gl0_inv
	s_and_saveexec_b32 s5, s7
	s_cbranch_execz .LBB1635_90
; %bb.89:                               ;   in Loop: Header=BB1635_12 Depth=1
	ds_read2_b64 v[5:8], v64 offset1:1
	s_waitcnt lgkmcnt(0)
	v_add_nc_u32_e32 v3, v6, v5
	v_add3_u32 v3, v3, v7, v8
.LBB1635_90:                            ;   in Loop: Header=BB1635_12 Depth=1
	s_or_b32 exec_lo, exec_lo, s5
	v_and_b32_e32 v5, 15, v86
	v_mov_b32_dpp v6, v3 row_shr:1 row_mask:0xf bank_mask:0xf
	v_and_b32_e32 v7, 16, v86
	v_cmp_eq_u32_e64 s5, 0, v5
	v_cmp_lt_u32_e64 s14, 1, v5
	v_cmp_lt_u32_e64 s15, 3, v5
	;; [unrolled: 1-line block ×3, first 2 shown]
	v_cmp_eq_u32_e64 s17, 0, v7
	v_cndmask_b32_e64 v6, v6, 0, s5
	v_add_nc_u32_e32 v3, v6, v3
	v_mov_b32_dpp v6, v3 row_shr:2 row_mask:0xf bank_mask:0xf
	v_cndmask_b32_e64 v6, 0, v6, s14
	v_add_nc_u32_e32 v3, v3, v6
	v_mov_b32_dpp v6, v3 row_shr:4 row_mask:0xf bank_mask:0xf
	;; [unrolled: 3-line block ×3, first 2 shown]
	v_cndmask_b32_e64 v5, 0, v6, s16
	v_bfe_i32 v6, v86, 4, 1
	v_add_nc_u32_e32 v3, v3, v5
	ds_swizzle_b32 v5, v3 offset:swizzle(BROADCAST,32,15)
	s_waitcnt lgkmcnt(0)
	v_and_b32_e32 v5, v6, v5
	v_add_nc_u32_e32 v3, v3, v5
	s_and_saveexec_b32 s18, s8
; %bb.91:                               ;   in Loop: Header=BB1635_12 Depth=1
	ds_write_b32 v65, v3
; %bb.92:                               ;   in Loop: Header=BB1635_12 Depth=1
	s_or_b32 exec_lo, exec_lo, s18
	s_waitcnt lgkmcnt(0)
	s_barrier
	buffer_gl0_inv
	s_and_saveexec_b32 s18, s9
	s_cbranch_execz .LBB1635_94
; %bb.93:                               ;   in Loop: Header=BB1635_12 Depth=1
	ds_read_b32 v5, v66
	v_and_b32_e32 v6, 3, v86
	v_cmp_ne_u32_e32 vcc_lo, 0, v6
	s_waitcnt lgkmcnt(0)
	v_mov_b32_dpp v7, v5 row_shr:1 row_mask:0xf bank_mask:0xf
	v_cndmask_b32_e32 v7, 0, v7, vcc_lo
	v_cmp_lt_u32_e32 vcc_lo, 1, v6
	v_add_nc_u32_e32 v5, v7, v5
	v_mov_b32_dpp v7, v5 row_shr:2 row_mask:0xf bank_mask:0xf
	v_cndmask_b32_e32 v6, 0, v7, vcc_lo
	v_add_nc_u32_e32 v5, v5, v6
	ds_write_b32 v66, v5
.LBB1635_94:                            ;   in Loop: Header=BB1635_12 Depth=1
	s_or_b32 exec_lo, exec_lo, s18
	v_mov_b32_e32 v5, 0
	s_waitcnt lgkmcnt(0)
	s_barrier
	buffer_gl0_inv
	s_and_saveexec_b32 s18, s10
; %bb.95:                               ;   in Loop: Header=BB1635_12 Depth=1
	ds_read_b32 v5, v67
; %bb.96:                               ;   in Loop: Header=BB1635_12 Depth=1
	s_or_b32 exec_lo, exec_lo, s18
	v_sub_co_u32 v6, s18, v86, 1
	s_waitcnt lgkmcnt(0)
	v_add_nc_u32_e32 v3, v5, v3
	s_barrier
	v_cmp_gt_i32_e32 vcc_lo, 0, v6
	buffer_gl0_inv
	v_cndmask_b32_e32 v6, v6, v86, vcc_lo
	v_lshlrev_b32_e32 v92, 2, v6
	ds_bpermute_b32 v3, v92, v3
	s_and_saveexec_b32 s19, s7
	s_cbranch_execz .LBB1635_98
; %bb.97:                               ;   in Loop: Header=BB1635_12 Depth=1
	s_waitcnt lgkmcnt(0)
	v_cndmask_b32_e64 v3, v3, v5, s18
	v_add_nc_u32_e32 v3, s58, v3
	ds_write_b32 v43, v3
.LBB1635_98:                            ;   in Loop: Header=BB1635_12 Depth=1
	s_or_b32 exec_lo, exec_lo, s19
	s_clause 0x1
	s_load_dword s19, s[56:57], 0x4
	s_load_dword s22, s[56:57], 0xc
	v_and_b32_e32 v5, 7, v86
	v_lshlrev_b32_e32 v6, 3, v86
	v_or_b32_e32 v93, v86, v68
	s_mov_b32 s63, s60
	s_mov_b32 s50, s58
                                        ; implicit-def: $vgpr7_vgpr8
                                        ; implicit-def: $vgpr9_vgpr10
                                        ; implicit-def: $vgpr11_vgpr12
                                        ; implicit-def: $vgpr13_vgpr14
                                        ; implicit-def: $vgpr15_vgpr16
                                        ; implicit-def: $vgpr19_vgpr20
                                        ; implicit-def: $vgpr23_vgpr24
                                        ; implicit-def: $vgpr27_vgpr28
                                        ; implicit-def: $vgpr17_vgpr18
                                        ; implicit-def: $vgpr21_vgpr22
                                        ; implicit-def: $vgpr25_vgpr26
                                        ; implicit-def: $vgpr29_vgpr30
                                        ; implicit-def: $vgpr31_vgpr32
                                        ; implicit-def: $vgpr33_vgpr34
                                        ; implicit-def: $vgpr35_vgpr36
                                        ; implicit-def: $vgpr37_vgpr38
                                        ; implicit-def: $vgpr113
                                        ; implicit-def: $vgpr114
                                        ; implicit-def: $vgpr115
                                        ; implicit-def: $vgpr116
                                        ; implicit-def: $vgpr117
                                        ; implicit-def: $vgpr118
                                        ; implicit-def: $vgpr119
                                        ; implicit-def: $vgpr120
                                        ; implicit-def: $vgpr121
                                        ; implicit-def: $vgpr122
                                        ; implicit-def: $vgpr123
                                        ; implicit-def: $vgpr124
                                        ; implicit-def: $vgpr125
                                        ; implicit-def: $vgpr126
                                        ; implicit-def: $vgpr127
                                        ; implicit-def: $vgpr128
                                        ; implicit-def: $vgpr129
                                        ; implicit-def: $vgpr130
                                        ; implicit-def: $vgpr131
	v_add_co_u32 v94, vcc_lo, v73, v6
	v_add_co_ci_u32_e64 v95, null, 0, v74, vcc_lo
	v_add_nc_u32_e32 v96, 32, v93
	v_add_nc_u32_e32 v97, 64, v93
	;; [unrolled: 1-line block ×8, first 2 shown]
	s_waitcnt lgkmcnt(0)
	s_cmp_lt_u32 s28, s19
	v_add_nc_u32_e32 v104, 0x120, v93
	s_cselect_b32 s19, 14, 20
	v_add_nc_u32_e32 v105, 0x140, v93
	s_add_u32 s20, s56, s19
	s_addc_u32 s21, s57, 0
	s_and_b32 s22, s22, 0xffff
	global_load_ushort v3, v4, s[20:21]
	v_cmp_eq_u32_e64 s19, 0, v5
	v_cmp_lt_u32_e64 s20, 1, v5
	v_cmp_lt_u32_e64 s21, 3, v5
	v_add_nc_u32_e32 v106, 0x160, v93
	v_add_nc_u32_e32 v107, 0x180, v93
	v_add_nc_u32_e32 v108, 0x1a0, v93
	v_add_nc_u32_e32 v109, 0x1c0, v93
	v_add_nc_u32_e32 v110, 0x1e0, v93
	v_add_nc_u32_e32 v111, 0x200, v93
	s_waitcnt vmcnt(0)
	v_mad_u32_u24 v3, v2, v3, v1
	v_mad_u64_u32 v[5:6], null, v3, s22, v[0:1]
	v_lshrrev_b32_e32 v3, 3, v5
                                        ; implicit-def: $vgpr5_vgpr6
	v_and_b32_e32 v112, 0x1ffffffc, v3
	s_branch .LBB1635_100
.LBB1635_99:                            ;   in Loop: Header=BB1635_100 Depth=2
	s_or_b32 exec_lo, exec_lo, s22
	s_addk_i32 s63, 0xef00
	s_cmp_lt_u32 s64, s59
	s_mov_b32 s50, s64
	s_cbranch_scc0 .LBB1635_322
.LBB1635_100:                           ;   Parent Loop BB1635_12 Depth=1
                                        ; =>  This Inner Loop Header: Depth=2
	s_add_i32 s64, s50, 0x1100
	s_cmp_gt_u32 s64, s59
	s_cbranch_scc1 .LBB1635_102
; %bb.101:                              ;   in Loop: Header=BB1635_100 Depth=2
	v_add_co_u32 v39, vcc_lo, v90, s50
	v_add_co_ci_u32_e64 v40, null, 0, v91, vcc_lo
	s_mov_b32 s22, -1
	s_clause 0xf
	global_load_ubyte v132, v[39:40], off
	global_load_ubyte v133, v[39:40], off offset:32
	global_load_ubyte v134, v[39:40], off offset:64
	;; [unrolled: 1-line block ×15, first 2 shown]
	s_movk_i32 s23, 0x1100
	s_cbranch_execz .LBB1635_103
	s_branch .LBB1635_136
.LBB1635_102:                           ;   in Loop: Header=BB1635_100 Depth=2
	s_mov_b32 s22, 0
                                        ; implicit-def: $vgpr132
                                        ; implicit-def: $vgpr133
                                        ; implicit-def: $vgpr134
                                        ; implicit-def: $vgpr135
                                        ; implicit-def: $vgpr136
                                        ; implicit-def: $vgpr137
                                        ; implicit-def: $vgpr138
                                        ; implicit-def: $vgpr139
                                        ; implicit-def: $vgpr140
                                        ; implicit-def: $vgpr141
                                        ; implicit-def: $vgpr142
                                        ; implicit-def: $vgpr143
                                        ; implicit-def: $vgpr144
                                        ; implicit-def: $vgpr145
                                        ; implicit-def: $vgpr146
                                        ; implicit-def: $vgpr147
	s_movk_i32 s23, 0x1100
.LBB1635_103:                           ;   in Loop: Header=BB1635_100 Depth=2
	v_add_co_u32 v39, vcc_lo, v90, s50
	v_add_co_ci_u32_e64 v40, null, 0, v91, vcc_lo
	s_waitcnt vmcnt(14)
	v_mov_b32_e32 v133, 1
	v_mov_b32_e32 v132, 1
	s_mov_b32 s22, exec_lo
	v_cmpx_gt_u32_e64 s63, v93
	s_cbranch_execz .LBB1635_105
; %bb.104:                              ;   in Loop: Header=BB1635_100 Depth=2
	global_load_ubyte v132, v[39:40], off
.LBB1635_105:                           ;   in Loop: Header=BB1635_100 Depth=2
	s_or_b32 exec_lo, exec_lo, s22
	s_mov_b32 s22, exec_lo
	v_cmpx_gt_u32_e64 s63, v96
	s_cbranch_execz .LBB1635_107
; %bb.106:                              ;   in Loop: Header=BB1635_100 Depth=2
	global_load_ubyte v133, v[39:40], off offset:32
.LBB1635_107:                           ;   in Loop: Header=BB1635_100 Depth=2
	s_or_b32 exec_lo, exec_lo, s22
	s_waitcnt vmcnt(12)
	v_mov_b32_e32 v135, 1
	v_mov_b32_e32 v134, 1
	s_mov_b32 s22, exec_lo
	v_cmpx_gt_u32_e64 s63, v97
	s_cbranch_execz .LBB1635_109
; %bb.108:                              ;   in Loop: Header=BB1635_100 Depth=2
	global_load_ubyte v134, v[39:40], off offset:64
.LBB1635_109:                           ;   in Loop: Header=BB1635_100 Depth=2
	s_or_b32 exec_lo, exec_lo, s22
	s_mov_b32 s22, exec_lo
	v_cmpx_gt_u32_e64 s63, v98
	s_cbranch_execz .LBB1635_111
; %bb.110:                              ;   in Loop: Header=BB1635_100 Depth=2
	global_load_ubyte v135, v[39:40], off offset:96
.LBB1635_111:                           ;   in Loop: Header=BB1635_100 Depth=2
	s_or_b32 exec_lo, exec_lo, s22
	s_waitcnt vmcnt(10)
	v_mov_b32_e32 v137, 1
	v_mov_b32_e32 v136, 1
	s_mov_b32 s22, exec_lo
	v_cmpx_gt_u32_e64 s63, v99
	s_cbranch_execz .LBB1635_113
; %bb.112:                              ;   in Loop: Header=BB1635_100 Depth=2
	global_load_ubyte v136, v[39:40], off offset:128
.LBB1635_113:                           ;   in Loop: Header=BB1635_100 Depth=2
	;; [unrolled: 17-line block ×7, first 2 shown]
	s_or_b32 exec_lo, exec_lo, s22
	s_mov_b32 s22, exec_lo
	v_cmpx_gt_u32_e64 s63, v110
	s_cbranch_execz .LBB1635_135
; %bb.134:                              ;   in Loop: Header=BB1635_100 Depth=2
	global_load_ubyte v147, v[39:40], off offset:480
.LBB1635_135:                           ;   in Loop: Header=BB1635_100 Depth=2
	s_or_b32 exec_lo, exec_lo, s22
	v_cmp_gt_u32_e64 s22, s63, v111
	s_sub_i32 s23, s59, s50
.LBB1635_136:                           ;   in Loop: Header=BB1635_100 Depth=2
	v_mov_b32_e32 v148, 1
	v_mov_b32_e32 v3, s63
	s_and_saveexec_b32 s24, s22
	s_cbranch_execz .LBB1635_138
; %bb.137:                              ;   in Loop: Header=BB1635_100 Depth=2
	v_add_co_u32 v39, vcc_lo, v90, s50
	v_add_co_ci_u32_e64 v40, null, s51, v91, vcc_lo
	v_mov_b32_e32 v3, s23
	global_load_ubyte v148, v[39:40], off offset:512
.LBB1635_138:                           ;   in Loop: Header=BB1635_100 Depth=2
	s_or_b32 exec_lo, exec_lo, s24
	s_waitcnt vmcnt(15)
	v_lshrrev_b32_sdwa v39, s61, v132 dst_sel:DWORD dst_unused:UNUSED_PAD src0_sel:DWORD src1_sel:BYTE_0
	ds_write2_b32 v69, v4, v4 offset0:136 offset1:137
	ds_write2_b32 v69, v4, v4 offset0:138 offset1:139
	ds_write_b32 v69, v4 offset:560
	s_waitcnt vmcnt(0) lgkmcnt(0)
	s_barrier
	v_and_b32_e32 v40, s62, v39
	buffer_gl0_inv
	; wave barrier
	v_add_co_u32 v39, s22, v40, -1
	v_cndmask_b32_e64 v41, 0, 1, s22
	v_mul_u32_u24_e32 v40, 36, v40
	v_cmp_ne_u32_e32 vcc_lo, 0, v41
	v_add_nc_u32_e32 v152, v112, v40
	v_xor_b32_e32 v39, vcc_lo, v39
	v_and_b32_e32 v39, exec_lo, v39
	v_mbcnt_lo_u32_b32 v149, v39, 0
	v_cmp_ne_u32_e64 s22, 0, v39
	v_cmp_eq_u32_e32 vcc_lo, 0, v149
	s_and_b32 s23, s22, vcc_lo
	s_and_saveexec_b32 s22, s23
; %bb.139:                              ;   in Loop: Header=BB1635_100 Depth=2
	v_bcnt_u32_b32 v39, v39, 0
	ds_write_b32 v152, v39 offset:544
; %bb.140:                              ;   in Loop: Header=BB1635_100 Depth=2
	s_or_b32 exec_lo, exec_lo, s22
	v_lshrrev_b32_sdwa v39, s61, v133 dst_sel:DWORD dst_unused:UNUSED_PAD src0_sel:DWORD src1_sel:BYTE_0
	; wave barrier
	v_and_b32_e32 v40, s62, v39
	v_add_co_u32 v39, s22, v40, -1
	v_cndmask_b32_e64 v41, 0, 1, s22
	v_cmp_ne_u32_e32 vcc_lo, 0, v41
	v_mad_u32_u24 v41, v40, 36, v112
	v_mul_u32_u24_e32 v40, 36, v40
	v_xor_b32_e32 v39, vcc_lo, v39
	ds_read_b32 v150, v41 offset:544
	v_add_nc_u32_e32 v155, v112, v40
	; wave barrier
	v_and_b32_e32 v39, exec_lo, v39
	v_mbcnt_lo_u32_b32 v151, v39, 0
	v_cmp_ne_u32_e64 s22, 0, v39
	v_cmp_eq_u32_e32 vcc_lo, 0, v151
	s_and_b32 s23, s22, vcc_lo
	s_and_saveexec_b32 s22, s23
	s_cbranch_execz .LBB1635_142
; %bb.141:                              ;   in Loop: Header=BB1635_100 Depth=2
	s_waitcnt lgkmcnt(0)
	v_bcnt_u32_b32 v39, v39, v150
	ds_write_b32 v155, v39 offset:544
.LBB1635_142:                           ;   in Loop: Header=BB1635_100 Depth=2
	s_or_b32 exec_lo, exec_lo, s22
	v_lshrrev_b32_sdwa v39, s61, v134 dst_sel:DWORD dst_unused:UNUSED_PAD src0_sel:DWORD src1_sel:BYTE_0
	; wave barrier
	v_and_b32_e32 v40, s62, v39
	v_add_co_u32 v39, s22, v40, -1
	v_cndmask_b32_e64 v41, 0, 1, s22
	v_cmp_ne_u32_e32 vcc_lo, 0, v41
	v_mad_u32_u24 v41, v40, 36, v112
	v_mul_u32_u24_e32 v40, 36, v40
	v_xor_b32_e32 v39, vcc_lo, v39
	ds_read_b32 v153, v41 offset:544
	v_add_nc_u32_e32 v158, v112, v40
	; wave barrier
	v_and_b32_e32 v39, exec_lo, v39
	v_mbcnt_lo_u32_b32 v154, v39, 0
	v_cmp_ne_u32_e64 s22, 0, v39
	v_cmp_eq_u32_e32 vcc_lo, 0, v154
	s_and_b32 s23, s22, vcc_lo
	s_and_saveexec_b32 s22, s23
	s_cbranch_execz .LBB1635_144
; %bb.143:                              ;   in Loop: Header=BB1635_100 Depth=2
	s_waitcnt lgkmcnt(0)
	v_bcnt_u32_b32 v39, v39, v153
	ds_write_b32 v158, v39 offset:544
.LBB1635_144:                           ;   in Loop: Header=BB1635_100 Depth=2
	;; [unrolled: 25-line block ×16, first 2 shown]
	s_or_b32 exec_lo, exec_lo, s22
	; wave barrier
	s_waitcnt lgkmcnt(0)
	s_barrier
	buffer_gl0_inv
	ds_read2_b32 v[41:42], v69 offset0:136 offset1:137
	ds_read2_b32 v[39:40], v69 offset0:138 offset1:139
	ds_read_b32 v199, v69 offset:560
	s_waitcnt lgkmcnt(1)
	v_add3_u32 v200, v42, v41, v39
	s_waitcnt lgkmcnt(0)
	v_add3_u32 v199, v200, v40, v199
	v_mov_b32_dpp v200, v199 row_shr:1 row_mask:0xf bank_mask:0xf
	v_cndmask_b32_e64 v200, v200, 0, s5
	v_add_nc_u32_e32 v199, v200, v199
	v_mov_b32_dpp v200, v199 row_shr:2 row_mask:0xf bank_mask:0xf
	v_cndmask_b32_e64 v200, 0, v200, s14
	v_add_nc_u32_e32 v199, v199, v200
	;; [unrolled: 3-line block ×4, first 2 shown]
	ds_swizzle_b32 v200, v199 offset:swizzle(BROADCAST,32,15)
	s_waitcnt lgkmcnt(0)
	v_cndmask_b32_e64 v200, v200, 0, s17
	v_add_nc_u32_e32 v199, v199, v200
	s_and_saveexec_b32 s22, s4
; %bb.173:                              ;   in Loop: Header=BB1635_100 Depth=2
	ds_write_b32 v62, v199 offset:512
; %bb.174:                              ;   in Loop: Header=BB1635_100 Depth=2
	s_or_b32 exec_lo, exec_lo, s22
	s_waitcnt lgkmcnt(0)
	s_barrier
	buffer_gl0_inv
	s_and_saveexec_b32 s22, s11
	s_cbranch_execz .LBB1635_176
; %bb.175:                              ;   in Loop: Header=BB1635_100 Depth=2
	ds_read_b32 v200, v70 offset:512
	s_waitcnt lgkmcnt(0)
	v_mov_b32_dpp v201, v200 row_shr:1 row_mask:0xf bank_mask:0xf
	v_cndmask_b32_e64 v201, v201, 0, s19
	v_add_nc_u32_e32 v200, v201, v200
	v_mov_b32_dpp v201, v200 row_shr:2 row_mask:0xf bank_mask:0xf
	v_cndmask_b32_e64 v201, 0, v201, s20
	v_add_nc_u32_e32 v200, v200, v201
	;; [unrolled: 3-line block ×3, first 2 shown]
	ds_write_b32 v70, v200 offset:512
.LBB1635_176:                           ;   in Loop: Header=BB1635_100 Depth=2
	s_or_b32 exec_lo, exec_lo, s22
	v_mov_b32_e32 v200, 0
	s_waitcnt lgkmcnt(0)
	s_barrier
	buffer_gl0_inv
	s_and_saveexec_b32 s22, s10
; %bb.177:                              ;   in Loop: Header=BB1635_100 Depth=2
	ds_read_b32 v200, v62 offset:508
; %bb.178:                              ;   in Loop: Header=BB1635_100 Depth=2
	s_or_b32 exec_lo, exec_lo, s22
	s_waitcnt lgkmcnt(0)
	v_add_nc_u32_e32 v199, v200, v199
	ds_bpermute_b32 v199, v92, v199
	s_waitcnt lgkmcnt(0)
	v_cndmask_b32_e64 v199, v199, v200, s18
	v_cndmask_b32_e64 v199, v199, 0, s12
	v_add_nc_u32_e32 v41, v199, v41
	v_add_nc_u32_e32 v42, v41, v42
	;; [unrolled: 1-line block ×4, first 2 shown]
	ds_write2_b32 v69, v199, v41 offset0:136 offset1:137
	ds_write2_b32 v69, v42, v39 offset0:138 offset1:139
	ds_write_b32 v69, v40 offset:560
	s_waitcnt lgkmcnt(0)
	s_barrier
	buffer_gl0_inv
	ds_read_b32 v39, v152 offset:544
	ds_read_b32 v40, v155 offset:544
	;; [unrolled: 1-line block ×17, first 2 shown]
	s_and_saveexec_b32 s22, s7
	s_cbranch_execz .LBB1635_182
; %bb.179:                              ;   in Loop: Header=BB1635_100 Depth=2
	v_add_nc_u32_e32 v130, v70, v72
	v_mov_b32_e32 v131, 0x1100
	ds_read_b32 v130, v130 offset:544
	s_and_saveexec_b32 s23, s13
; %bb.180:                              ;   in Loop: Header=BB1635_100 Depth=2
	ds_read_b32 v131, v71 offset:544
; %bb.181:                              ;   in Loop: Header=BB1635_100 Depth=2
	s_or_b32 exec_lo, exec_lo, s23
	s_waitcnt lgkmcnt(0)
	v_sub_nc_u32_e32 v131, v131, v130
.LBB1635_182:                           ;   in Loop: Header=BB1635_100 Depth=2
	s_or_b32 exec_lo, exec_lo, s22
	s_waitcnt lgkmcnt(0)
	s_barrier
	buffer_gl0_inv
	s_and_saveexec_b32 s22, s7
	s_cbranch_execz .LBB1635_184
; %bb.183:                              ;   in Loop: Header=BB1635_100 Depth=2
	ds_read_b32 v158, v43
	s_waitcnt lgkmcnt(0)
	v_sub_nc_u32_e32 v158, v158, v130
	ds_write_b32 v43, v158
.LBB1635_184:                           ;   in Loop: Header=BB1635_100 Depth=2
	s_or_b32 exec_lo, exec_lo, s22
	v_add_nc_u32_e32 v163, v39, v149
	v_add3_u32 v162, v151, v150, v40
	v_add3_u32 v161, v154, v153, v41
	;; [unrolled: 1-line block ×16, first 2 shown]
	v_cmp_lt_u32_e64 s39, v0, v3
	ds_write_b8 v163, v132 offset:512
	ds_write_b8 v162, v133 offset:512
	;; [unrolled: 1-line block ×17, first 2 shown]
	s_waitcnt lgkmcnt(0)
	s_barrier
	buffer_gl0_inv
	s_and_saveexec_b32 s22, s39
	s_cbranch_execnz .LBB1635_257
; %bb.185:                              ;   in Loop: Header=BB1635_100 Depth=2
	s_or_b32 exec_lo, exec_lo, s22
	v_cmp_lt_u32_e64 s38, v44, v3
	s_and_saveexec_b32 s22, s38
	s_cbranch_execnz .LBB1635_258
.LBB1635_186:                           ;   in Loop: Header=BB1635_100 Depth=2
	s_or_b32 exec_lo, exec_lo, s22
	v_cmp_lt_u32_e64 s37, v47, v3
	s_and_saveexec_b32 s22, s37
	s_cbranch_execnz .LBB1635_259
.LBB1635_187:                           ;   in Loop: Header=BB1635_100 Depth=2
	s_or_b32 exec_lo, exec_lo, s22
	v_cmp_lt_u32_e64 s36, v48, v3
	s_and_saveexec_b32 s22, s36
	s_cbranch_execnz .LBB1635_260
.LBB1635_188:                           ;   in Loop: Header=BB1635_100 Depth=2
	s_or_b32 exec_lo, exec_lo, s22
	v_cmp_lt_u32_e64 s35, v49, v3
	s_and_saveexec_b32 s22, s35
	s_cbranch_execnz .LBB1635_261
.LBB1635_189:                           ;   in Loop: Header=BB1635_100 Depth=2
	s_or_b32 exec_lo, exec_lo, s22
	v_cmp_lt_u32_e64 s34, v50, v3
	s_and_saveexec_b32 s22, s34
	s_cbranch_execnz .LBB1635_262
.LBB1635_190:                           ;   in Loop: Header=BB1635_100 Depth=2
	s_or_b32 exec_lo, exec_lo, s22
	v_cmp_lt_u32_e64 s33, v51, v3
	s_and_saveexec_b32 s22, s33
	s_cbranch_execnz .LBB1635_263
.LBB1635_191:                           ;   in Loop: Header=BB1635_100 Depth=2
	s_or_b32 exec_lo, exec_lo, s22
	v_cmp_lt_u32_e64 s31, v52, v3
	s_and_saveexec_b32 s22, s31
	s_cbranch_execnz .LBB1635_264
.LBB1635_192:                           ;   in Loop: Header=BB1635_100 Depth=2
	s_or_b32 exec_lo, exec_lo, s22
	v_cmp_lt_u32_e64 s30, v53, v3
	s_and_saveexec_b32 s22, s30
	s_cbranch_execnz .LBB1635_265
.LBB1635_193:                           ;   in Loop: Header=BB1635_100 Depth=2
	s_or_b32 exec_lo, exec_lo, s22
	v_cmp_lt_u32_e64 s29, v54, v3
	s_and_saveexec_b32 s22, s29
	s_cbranch_execnz .LBB1635_266
.LBB1635_194:                           ;   in Loop: Header=BB1635_100 Depth=2
	s_or_b32 exec_lo, exec_lo, s22
	v_cmp_lt_u32_e64 s27, v55, v3
	s_and_saveexec_b32 s22, s27
	s_cbranch_execnz .LBB1635_267
.LBB1635_195:                           ;   in Loop: Header=BB1635_100 Depth=2
	s_or_b32 exec_lo, exec_lo, s22
	v_cmp_lt_u32_e64 s26, v56, v3
	s_and_saveexec_b32 s22, s26
	s_cbranch_execnz .LBB1635_268
.LBB1635_196:                           ;   in Loop: Header=BB1635_100 Depth=2
	s_or_b32 exec_lo, exec_lo, s22
	v_cmp_lt_u32_e64 s25, v57, v3
	s_and_saveexec_b32 s22, s25
	s_cbranch_execnz .LBB1635_269
.LBB1635_197:                           ;   in Loop: Header=BB1635_100 Depth=2
	s_or_b32 exec_lo, exec_lo, s22
	v_cmp_lt_u32_e64 s24, v58, v3
	s_and_saveexec_b32 s22, s24
	s_cbranch_execnz .LBB1635_270
.LBB1635_198:                           ;   in Loop: Header=BB1635_100 Depth=2
	s_or_b32 exec_lo, exec_lo, s22
	v_cmp_lt_u32_e64 s23, v59, v3
	s_and_saveexec_b32 s22, s23
	s_cbranch_execnz .LBB1635_271
.LBB1635_199:                           ;   in Loop: Header=BB1635_100 Depth=2
	s_or_b32 exec_lo, exec_lo, s22
	v_cmp_lt_u32_e64 s22, v60, v3
	s_and_saveexec_b32 s40, s22
	s_cbranch_execnz .LBB1635_272
.LBB1635_200:                           ;   in Loop: Header=BB1635_100 Depth=2
	s_or_b32 exec_lo, exec_lo, s40
	v_cmp_lt_u32_e32 vcc_lo, v61, v3
	s_and_saveexec_b32 s40, vcc_lo
	s_cbranch_execz .LBB1635_202
.LBB1635_201:                           ;   in Loop: Header=BB1635_100 Depth=2
	ds_read_u8 v39, v0 offset:4608
	s_waitcnt lgkmcnt(0)
	v_and_b32_e32 v40, 1, v39
	v_lshrrev_b32_e32 v40, s61, v40
	v_and_b32_e32 v40, s62, v40
	v_lshlrev_b32_e32 v40, 2, v40
	ds_read_b32 v40, v40
	s_waitcnt lgkmcnt(0)
	v_add_nc_u32_e32 v40, v40, v61
	global_store_byte v40, v39, s[46:47]
.LBB1635_202:                           ;   in Loop: Header=BB1635_100 Depth=2
	s_or_b32 exec_lo, exec_lo, s40
	s_lshl_b64 s[66:67], s[50:51], 3
	v_add_co_u32 v39, s40, v94, s66
	v_add_co_ci_u32_e64 v40, null, s67, v95, s40
	v_cmp_lt_u32_e64 s40, v93, v3
	s_and_saveexec_b32 s50, s40
	s_xor_b32 s40, exec_lo, s50
	s_cbranch_execnz .LBB1635_273
; %bb.203:                              ;   in Loop: Header=BB1635_100 Depth=2
	s_or_b32 exec_lo, exec_lo, s40
	s_mov_b32 s50, exec_lo
	v_cmpx_lt_u32_e64 v96, v3
	s_cbranch_execnz .LBB1635_274
.LBB1635_204:                           ;   in Loop: Header=BB1635_100 Depth=2
	s_or_b32 exec_lo, exec_lo, s50
	s_mov_b32 s50, exec_lo
	v_cmpx_lt_u32_e64 v97, v3
	s_cbranch_execnz .LBB1635_275
.LBB1635_205:                           ;   in Loop: Header=BB1635_100 Depth=2
	s_or_b32 exec_lo, exec_lo, s50
	s_mov_b32 s50, exec_lo
	v_cmpx_lt_u32_e64 v98, v3
	s_cbranch_execnz .LBB1635_276
.LBB1635_206:                           ;   in Loop: Header=BB1635_100 Depth=2
	s_or_b32 exec_lo, exec_lo, s50
	s_mov_b32 s50, exec_lo
	v_cmpx_lt_u32_e64 v99, v3
	s_cbranch_execnz .LBB1635_277
.LBB1635_207:                           ;   in Loop: Header=BB1635_100 Depth=2
	s_or_b32 exec_lo, exec_lo, s50
	s_mov_b32 s50, exec_lo
	v_cmpx_lt_u32_e64 v100, v3
	s_cbranch_execnz .LBB1635_278
.LBB1635_208:                           ;   in Loop: Header=BB1635_100 Depth=2
	s_or_b32 exec_lo, exec_lo, s50
	s_mov_b32 s50, exec_lo
	v_cmpx_lt_u32_e64 v101, v3
	s_cbranch_execnz .LBB1635_279
.LBB1635_209:                           ;   in Loop: Header=BB1635_100 Depth=2
	s_or_b32 exec_lo, exec_lo, s50
	s_mov_b32 s50, exec_lo
	v_cmpx_lt_u32_e64 v102, v3
	s_cbranch_execnz .LBB1635_280
.LBB1635_210:                           ;   in Loop: Header=BB1635_100 Depth=2
	s_or_b32 exec_lo, exec_lo, s50
	s_mov_b32 s50, exec_lo
	v_cmpx_lt_u32_e64 v103, v3
	s_cbranch_execnz .LBB1635_281
.LBB1635_211:                           ;   in Loop: Header=BB1635_100 Depth=2
	s_or_b32 exec_lo, exec_lo, s50
	s_mov_b32 s50, exec_lo
	v_cmpx_lt_u32_e64 v104, v3
	s_cbranch_execnz .LBB1635_282
.LBB1635_212:                           ;   in Loop: Header=BB1635_100 Depth=2
	s_or_b32 exec_lo, exec_lo, s50
	s_mov_b32 s50, exec_lo
	v_cmpx_lt_u32_e64 v105, v3
	s_cbranch_execnz .LBB1635_283
.LBB1635_213:                           ;   in Loop: Header=BB1635_100 Depth=2
	s_or_b32 exec_lo, exec_lo, s50
	s_mov_b32 s50, exec_lo
	v_cmpx_lt_u32_e64 v106, v3
	s_cbranch_execnz .LBB1635_284
.LBB1635_214:                           ;   in Loop: Header=BB1635_100 Depth=2
	s_or_b32 exec_lo, exec_lo, s50
	s_mov_b32 s50, exec_lo
	v_cmpx_lt_u32_e64 v107, v3
	s_cbranch_execnz .LBB1635_285
.LBB1635_215:                           ;   in Loop: Header=BB1635_100 Depth=2
	s_or_b32 exec_lo, exec_lo, s50
	s_mov_b32 s50, exec_lo
	v_cmpx_lt_u32_e64 v108, v3
	s_cbranch_execnz .LBB1635_286
.LBB1635_216:                           ;   in Loop: Header=BB1635_100 Depth=2
	s_or_b32 exec_lo, exec_lo, s50
	s_mov_b32 s50, exec_lo
	v_cmpx_lt_u32_e64 v109, v3
	s_cbranch_execnz .LBB1635_287
.LBB1635_217:                           ;   in Loop: Header=BB1635_100 Depth=2
	s_or_b32 exec_lo, exec_lo, s50
	s_mov_b32 s50, exec_lo
	v_cmpx_lt_u32_e64 v110, v3
	s_cbranch_execnz .LBB1635_288
.LBB1635_218:                           ;   in Loop: Header=BB1635_100 Depth=2
	s_or_b32 exec_lo, exec_lo, s50
	s_mov_b32 s50, exec_lo
	v_cmpx_lt_u32_e64 v111, v3
	s_cbranch_execnz .LBB1635_289
.LBB1635_219:                           ;   in Loop: Header=BB1635_100 Depth=2
	s_or_b32 exec_lo, exec_lo, s50
	s_and_saveexec_b32 s40, s39
	s_cbranch_execnz .LBB1635_290
.LBB1635_220:                           ;   in Loop: Header=BB1635_100 Depth=2
	s_or_b32 exec_lo, exec_lo, s40
	s_and_saveexec_b32 s40, s38
	s_cbranch_execnz .LBB1635_291
.LBB1635_221:                           ;   in Loop: Header=BB1635_100 Depth=2
	s_or_b32 exec_lo, exec_lo, s40
	s_and_saveexec_b32 s40, s37
	s_cbranch_execnz .LBB1635_292
.LBB1635_222:                           ;   in Loop: Header=BB1635_100 Depth=2
	s_or_b32 exec_lo, exec_lo, s40
	s_and_saveexec_b32 s40, s36
	s_cbranch_execnz .LBB1635_293
.LBB1635_223:                           ;   in Loop: Header=BB1635_100 Depth=2
	s_or_b32 exec_lo, exec_lo, s40
	s_and_saveexec_b32 s40, s35
	s_cbranch_execnz .LBB1635_294
.LBB1635_224:                           ;   in Loop: Header=BB1635_100 Depth=2
	s_or_b32 exec_lo, exec_lo, s40
	s_and_saveexec_b32 s40, s34
	s_cbranch_execnz .LBB1635_295
.LBB1635_225:                           ;   in Loop: Header=BB1635_100 Depth=2
	s_or_b32 exec_lo, exec_lo, s40
	s_and_saveexec_b32 s40, s33
	s_cbranch_execnz .LBB1635_296
.LBB1635_226:                           ;   in Loop: Header=BB1635_100 Depth=2
	s_or_b32 exec_lo, exec_lo, s40
	s_and_saveexec_b32 s40, s31
	s_cbranch_execnz .LBB1635_297
.LBB1635_227:                           ;   in Loop: Header=BB1635_100 Depth=2
	s_or_b32 exec_lo, exec_lo, s40
	s_and_saveexec_b32 s40, s30
	s_cbranch_execnz .LBB1635_298
.LBB1635_228:                           ;   in Loop: Header=BB1635_100 Depth=2
	s_or_b32 exec_lo, exec_lo, s40
	s_and_saveexec_b32 s40, s29
	s_cbranch_execnz .LBB1635_299
.LBB1635_229:                           ;   in Loop: Header=BB1635_100 Depth=2
	s_or_b32 exec_lo, exec_lo, s40
	s_and_saveexec_b32 s40, s27
	s_cbranch_execnz .LBB1635_300
.LBB1635_230:                           ;   in Loop: Header=BB1635_100 Depth=2
	s_or_b32 exec_lo, exec_lo, s40
	s_and_saveexec_b32 s40, s26
	s_cbranch_execnz .LBB1635_301
.LBB1635_231:                           ;   in Loop: Header=BB1635_100 Depth=2
	s_or_b32 exec_lo, exec_lo, s40
	s_and_saveexec_b32 s40, s25
	s_cbranch_execnz .LBB1635_302
.LBB1635_232:                           ;   in Loop: Header=BB1635_100 Depth=2
	s_or_b32 exec_lo, exec_lo, s40
	s_and_saveexec_b32 s40, s24
	s_cbranch_execnz .LBB1635_303
.LBB1635_233:                           ;   in Loop: Header=BB1635_100 Depth=2
	s_or_b32 exec_lo, exec_lo, s40
	s_and_saveexec_b32 s40, s23
	s_cbranch_execnz .LBB1635_304
.LBB1635_234:                           ;   in Loop: Header=BB1635_100 Depth=2
	s_or_b32 exec_lo, exec_lo, s40
	s_and_saveexec_b32 s40, s22
	s_cbranch_execnz .LBB1635_305
.LBB1635_235:                           ;   in Loop: Header=BB1635_100 Depth=2
	s_or_b32 exec_lo, exec_lo, s40
	s_and_saveexec_b32 s40, vcc_lo
	s_cbranch_execz .LBB1635_237
.LBB1635_236:                           ;   in Loop: Header=BB1635_100 Depth=2
	ds_read_u8 v3, v0 offset:4608
	s_waitcnt lgkmcnt(0)
	v_lshrrev_b32_e32 v3, s61, v3
	v_and_b32_e32 v113, s62, v3
.LBB1635_237:                           ;   in Loop: Header=BB1635_100 Depth=2
	s_or_b32 exec_lo, exec_lo, s40
	v_lshlrev_b32_e32 v3, 3, v163
	v_lshlrev_b32_e32 v39, 3, v162
	s_waitcnt vmcnt(0)
	s_waitcnt_vscnt null, 0x0
	s_barrier
	buffer_gl0_inv
	ds_write_b64 v3, v[37:38] offset:512
	ds_write_b64 v39, v[35:36] offset:512
	v_lshlrev_b32_e32 v3, 3, v161
	v_lshlrev_b32_e32 v39, 3, v160
	v_lshlrev_b32_e32 v40, 3, v159
	v_lshlrev_b32_e32 v132, 3, v158
	v_lshlrev_b32_e32 v133, 3, v157
	ds_write_b64 v3, v[33:34] offset:512
	ds_write_b64 v39, v[31:32] offset:512
	ds_write_b64 v40, v[29:30] offset:512
	ds_write_b64 v132, v[25:26] offset:512
	ds_write_b64 v133, v[21:22] offset:512
	v_lshlrev_b32_e32 v3, 3, v156
	v_lshlrev_b32_e32 v39, 3, v155
	v_lshlrev_b32_e32 v40, 3, v154
	v_lshlrev_b32_e32 v132, 3, v153
	v_lshlrev_b32_e32 v133, 3, v152
	ds_write_b64 v3, v[17:18] offset:512
	ds_write_b64 v39, v[27:28] offset:512
	ds_write_b64 v40, v[23:24] offset:512
	;; [unrolled: 10-line block ×3, first 2 shown]
	ds_write_b64 v42, v[7:8] offset:512
	ds_write_b64 v41, v[5:6] offset:512
	s_waitcnt lgkmcnt(0)
	s_barrier
	buffer_gl0_inv
	s_and_saveexec_b32 s40, s39
	s_cbranch_execnz .LBB1635_306
; %bb.238:                              ;   in Loop: Header=BB1635_100 Depth=2
	s_or_b32 exec_lo, exec_lo, s40
	s_and_saveexec_b32 s39, s38
	s_cbranch_execnz .LBB1635_307
.LBB1635_239:                           ;   in Loop: Header=BB1635_100 Depth=2
	s_or_b32 exec_lo, exec_lo, s39
	s_and_saveexec_b32 s38, s37
	s_cbranch_execnz .LBB1635_308
.LBB1635_240:                           ;   in Loop: Header=BB1635_100 Depth=2
	s_or_b32 exec_lo, exec_lo, s38
	s_and_saveexec_b32 s37, s36
	s_cbranch_execnz .LBB1635_309
.LBB1635_241:                           ;   in Loop: Header=BB1635_100 Depth=2
	s_or_b32 exec_lo, exec_lo, s37
	s_and_saveexec_b32 s36, s35
	s_cbranch_execnz .LBB1635_310
.LBB1635_242:                           ;   in Loop: Header=BB1635_100 Depth=2
	s_or_b32 exec_lo, exec_lo, s36
	s_and_saveexec_b32 s35, s34
	s_cbranch_execnz .LBB1635_311
.LBB1635_243:                           ;   in Loop: Header=BB1635_100 Depth=2
	s_or_b32 exec_lo, exec_lo, s35
	s_and_saveexec_b32 s34, s33
	s_cbranch_execnz .LBB1635_312
.LBB1635_244:                           ;   in Loop: Header=BB1635_100 Depth=2
	s_or_b32 exec_lo, exec_lo, s34
	s_and_saveexec_b32 s33, s31
	s_cbranch_execnz .LBB1635_313
.LBB1635_245:                           ;   in Loop: Header=BB1635_100 Depth=2
	s_or_b32 exec_lo, exec_lo, s33
	s_and_saveexec_b32 s31, s30
	s_cbranch_execnz .LBB1635_314
.LBB1635_246:                           ;   in Loop: Header=BB1635_100 Depth=2
	s_or_b32 exec_lo, exec_lo, s31
	s_and_saveexec_b32 s30, s29
	s_cbranch_execnz .LBB1635_315
.LBB1635_247:                           ;   in Loop: Header=BB1635_100 Depth=2
	s_or_b32 exec_lo, exec_lo, s30
	s_and_saveexec_b32 s29, s27
	s_cbranch_execnz .LBB1635_316
.LBB1635_248:                           ;   in Loop: Header=BB1635_100 Depth=2
	s_or_b32 exec_lo, exec_lo, s29
	s_and_saveexec_b32 s27, s26
	s_cbranch_execnz .LBB1635_317
.LBB1635_249:                           ;   in Loop: Header=BB1635_100 Depth=2
	s_or_b32 exec_lo, exec_lo, s27
	s_and_saveexec_b32 s26, s25
	s_cbranch_execnz .LBB1635_318
.LBB1635_250:                           ;   in Loop: Header=BB1635_100 Depth=2
	s_or_b32 exec_lo, exec_lo, s26
	s_and_saveexec_b32 s25, s24
	s_cbranch_execnz .LBB1635_319
.LBB1635_251:                           ;   in Loop: Header=BB1635_100 Depth=2
	s_or_b32 exec_lo, exec_lo, s25
	s_and_saveexec_b32 s24, s23
	s_cbranch_execnz .LBB1635_320
.LBB1635_252:                           ;   in Loop: Header=BB1635_100 Depth=2
	s_or_b32 exec_lo, exec_lo, s24
	s_and_saveexec_b32 s23, s22
	s_cbranch_execnz .LBB1635_321
.LBB1635_253:                           ;   in Loop: Header=BB1635_100 Depth=2
	s_or_b32 exec_lo, exec_lo, s23
	s_and_saveexec_b32 s22, vcc_lo
	s_cbranch_execz .LBB1635_255
.LBB1635_254:                           ;   in Loop: Header=BB1635_100 Depth=2
	v_lshlrev_b32_e32 v3, 2, v113
	v_add_nc_u32_e32 v39, v0, v75
	ds_read_b32 v3, v3
	ds_read_b64 v[39:40], v39 offset:33280
	s_waitcnt lgkmcnt(1)
	v_add_nc_u32_e32 v3, v3, v61
	v_lshlrev_b64 v[41:42], 3, v[3:4]
	v_add_co_u32 v41, vcc_lo, s52, v41
	v_add_co_ci_u32_e64 v42, null, s53, v42, vcc_lo
	s_waitcnt lgkmcnt(0)
	global_store_dwordx2 v[41:42], v[39:40], off
.LBB1635_255:                           ;   in Loop: Header=BB1635_100 Depth=2
	s_or_b32 exec_lo, exec_lo, s22
	s_waitcnt_vscnt null, 0x0
	s_barrier
	buffer_gl0_inv
	s_and_saveexec_b32 s22, s7
	s_cbranch_execz .LBB1635_99
; %bb.256:                              ;   in Loop: Header=BB1635_100 Depth=2
	ds_read_b32 v3, v43
	s_waitcnt lgkmcnt(0)
	v_add3_u32 v3, v130, v131, v3
	ds_write_b32 v43, v3
	s_branch .LBB1635_99
.LBB1635_257:                           ;   in Loop: Header=BB1635_100 Depth=2
	ds_read_u8 v39, v0 offset:512
	s_waitcnt lgkmcnt(0)
	v_and_b32_e32 v40, 1, v39
	v_lshrrev_b32_e32 v40, s61, v40
	v_and_b32_e32 v40, s62, v40
	v_lshlrev_b32_e32 v40, 2, v40
	ds_read_b32 v40, v40
	s_waitcnt lgkmcnt(0)
	v_add_nc_u32_e32 v40, v40, v0
	global_store_byte v40, v39, s[46:47]
	s_or_b32 exec_lo, exec_lo, s22
	v_cmp_lt_u32_e64 s38, v44, v3
	s_and_saveexec_b32 s22, s38
	s_cbranch_execz .LBB1635_186
.LBB1635_258:                           ;   in Loop: Header=BB1635_100 Depth=2
	ds_read_u8 v39, v0 offset:768
	s_waitcnt lgkmcnt(0)
	v_and_b32_e32 v40, 1, v39
	v_lshrrev_b32_e32 v40, s61, v40
	v_and_b32_e32 v40, s62, v40
	v_lshlrev_b32_e32 v40, 2, v40
	ds_read_b32 v40, v40
	s_waitcnt lgkmcnt(0)
	v_add_nc_u32_e32 v40, v40, v44
	global_store_byte v40, v39, s[46:47]
	s_or_b32 exec_lo, exec_lo, s22
	v_cmp_lt_u32_e64 s37, v47, v3
	s_and_saveexec_b32 s22, s37
	s_cbranch_execz .LBB1635_187
.LBB1635_259:                           ;   in Loop: Header=BB1635_100 Depth=2
	ds_read_u8 v39, v0 offset:1024
	s_waitcnt lgkmcnt(0)
	v_and_b32_e32 v40, 1, v39
	v_lshrrev_b32_e32 v40, s61, v40
	v_and_b32_e32 v40, s62, v40
	v_lshlrev_b32_e32 v40, 2, v40
	ds_read_b32 v40, v40
	s_waitcnt lgkmcnt(0)
	v_add_nc_u32_e32 v40, v40, v47
	global_store_byte v40, v39, s[46:47]
	s_or_b32 exec_lo, exec_lo, s22
	v_cmp_lt_u32_e64 s36, v48, v3
	s_and_saveexec_b32 s22, s36
	s_cbranch_execz .LBB1635_188
.LBB1635_260:                           ;   in Loop: Header=BB1635_100 Depth=2
	ds_read_u8 v39, v0 offset:1280
	s_waitcnt lgkmcnt(0)
	v_and_b32_e32 v40, 1, v39
	v_lshrrev_b32_e32 v40, s61, v40
	v_and_b32_e32 v40, s62, v40
	v_lshlrev_b32_e32 v40, 2, v40
	ds_read_b32 v40, v40
	s_waitcnt lgkmcnt(0)
	v_add_nc_u32_e32 v40, v40, v48
	global_store_byte v40, v39, s[46:47]
	s_or_b32 exec_lo, exec_lo, s22
	v_cmp_lt_u32_e64 s35, v49, v3
	s_and_saveexec_b32 s22, s35
	s_cbranch_execz .LBB1635_189
.LBB1635_261:                           ;   in Loop: Header=BB1635_100 Depth=2
	ds_read_u8 v39, v0 offset:1536
	s_waitcnt lgkmcnt(0)
	v_and_b32_e32 v40, 1, v39
	v_lshrrev_b32_e32 v40, s61, v40
	v_and_b32_e32 v40, s62, v40
	v_lshlrev_b32_e32 v40, 2, v40
	ds_read_b32 v40, v40
	s_waitcnt lgkmcnt(0)
	v_add_nc_u32_e32 v40, v40, v49
	global_store_byte v40, v39, s[46:47]
	s_or_b32 exec_lo, exec_lo, s22
	v_cmp_lt_u32_e64 s34, v50, v3
	s_and_saveexec_b32 s22, s34
	s_cbranch_execz .LBB1635_190
.LBB1635_262:                           ;   in Loop: Header=BB1635_100 Depth=2
	ds_read_u8 v39, v0 offset:1792
	s_waitcnt lgkmcnt(0)
	v_and_b32_e32 v40, 1, v39
	v_lshrrev_b32_e32 v40, s61, v40
	v_and_b32_e32 v40, s62, v40
	v_lshlrev_b32_e32 v40, 2, v40
	ds_read_b32 v40, v40
	s_waitcnt lgkmcnt(0)
	v_add_nc_u32_e32 v40, v40, v50
	global_store_byte v40, v39, s[46:47]
	s_or_b32 exec_lo, exec_lo, s22
	v_cmp_lt_u32_e64 s33, v51, v3
	s_and_saveexec_b32 s22, s33
	s_cbranch_execz .LBB1635_191
.LBB1635_263:                           ;   in Loop: Header=BB1635_100 Depth=2
	ds_read_u8 v39, v0 offset:2048
	s_waitcnt lgkmcnt(0)
	v_and_b32_e32 v40, 1, v39
	v_lshrrev_b32_e32 v40, s61, v40
	v_and_b32_e32 v40, s62, v40
	v_lshlrev_b32_e32 v40, 2, v40
	ds_read_b32 v40, v40
	s_waitcnt lgkmcnt(0)
	v_add_nc_u32_e32 v40, v40, v51
	global_store_byte v40, v39, s[46:47]
	s_or_b32 exec_lo, exec_lo, s22
	v_cmp_lt_u32_e64 s31, v52, v3
	s_and_saveexec_b32 s22, s31
	s_cbranch_execz .LBB1635_192
.LBB1635_264:                           ;   in Loop: Header=BB1635_100 Depth=2
	ds_read_u8 v39, v0 offset:2304
	s_waitcnt lgkmcnt(0)
	v_and_b32_e32 v40, 1, v39
	v_lshrrev_b32_e32 v40, s61, v40
	v_and_b32_e32 v40, s62, v40
	v_lshlrev_b32_e32 v40, 2, v40
	ds_read_b32 v40, v40
	s_waitcnt lgkmcnt(0)
	v_add_nc_u32_e32 v40, v40, v52
	global_store_byte v40, v39, s[46:47]
	s_or_b32 exec_lo, exec_lo, s22
	v_cmp_lt_u32_e64 s30, v53, v3
	s_and_saveexec_b32 s22, s30
	s_cbranch_execz .LBB1635_193
.LBB1635_265:                           ;   in Loop: Header=BB1635_100 Depth=2
	ds_read_u8 v39, v0 offset:2560
	s_waitcnt lgkmcnt(0)
	v_and_b32_e32 v40, 1, v39
	v_lshrrev_b32_e32 v40, s61, v40
	v_and_b32_e32 v40, s62, v40
	v_lshlrev_b32_e32 v40, 2, v40
	ds_read_b32 v40, v40
	s_waitcnt lgkmcnt(0)
	v_add_nc_u32_e32 v40, v40, v53
	global_store_byte v40, v39, s[46:47]
	s_or_b32 exec_lo, exec_lo, s22
	v_cmp_lt_u32_e64 s29, v54, v3
	s_and_saveexec_b32 s22, s29
	s_cbranch_execz .LBB1635_194
.LBB1635_266:                           ;   in Loop: Header=BB1635_100 Depth=2
	ds_read_u8 v39, v0 offset:2816
	s_waitcnt lgkmcnt(0)
	v_and_b32_e32 v40, 1, v39
	v_lshrrev_b32_e32 v40, s61, v40
	v_and_b32_e32 v40, s62, v40
	v_lshlrev_b32_e32 v40, 2, v40
	ds_read_b32 v40, v40
	s_waitcnt lgkmcnt(0)
	v_add_nc_u32_e32 v40, v40, v54
	global_store_byte v40, v39, s[46:47]
	s_or_b32 exec_lo, exec_lo, s22
	v_cmp_lt_u32_e64 s27, v55, v3
	s_and_saveexec_b32 s22, s27
	s_cbranch_execz .LBB1635_195
.LBB1635_267:                           ;   in Loop: Header=BB1635_100 Depth=2
	ds_read_u8 v39, v0 offset:3072
	s_waitcnt lgkmcnt(0)
	v_and_b32_e32 v40, 1, v39
	v_lshrrev_b32_e32 v40, s61, v40
	v_and_b32_e32 v40, s62, v40
	v_lshlrev_b32_e32 v40, 2, v40
	ds_read_b32 v40, v40
	s_waitcnt lgkmcnt(0)
	v_add_nc_u32_e32 v40, v40, v55
	global_store_byte v40, v39, s[46:47]
	s_or_b32 exec_lo, exec_lo, s22
	v_cmp_lt_u32_e64 s26, v56, v3
	s_and_saveexec_b32 s22, s26
	s_cbranch_execz .LBB1635_196
.LBB1635_268:                           ;   in Loop: Header=BB1635_100 Depth=2
	ds_read_u8 v39, v0 offset:3328
	s_waitcnt lgkmcnt(0)
	v_and_b32_e32 v40, 1, v39
	v_lshrrev_b32_e32 v40, s61, v40
	v_and_b32_e32 v40, s62, v40
	v_lshlrev_b32_e32 v40, 2, v40
	ds_read_b32 v40, v40
	s_waitcnt lgkmcnt(0)
	v_add_nc_u32_e32 v40, v40, v56
	global_store_byte v40, v39, s[46:47]
	s_or_b32 exec_lo, exec_lo, s22
	v_cmp_lt_u32_e64 s25, v57, v3
	s_and_saveexec_b32 s22, s25
	s_cbranch_execz .LBB1635_197
.LBB1635_269:                           ;   in Loop: Header=BB1635_100 Depth=2
	ds_read_u8 v39, v0 offset:3584
	s_waitcnt lgkmcnt(0)
	v_and_b32_e32 v40, 1, v39
	v_lshrrev_b32_e32 v40, s61, v40
	v_and_b32_e32 v40, s62, v40
	v_lshlrev_b32_e32 v40, 2, v40
	ds_read_b32 v40, v40
	s_waitcnt lgkmcnt(0)
	v_add_nc_u32_e32 v40, v40, v57
	global_store_byte v40, v39, s[46:47]
	s_or_b32 exec_lo, exec_lo, s22
	v_cmp_lt_u32_e64 s24, v58, v3
	s_and_saveexec_b32 s22, s24
	s_cbranch_execz .LBB1635_198
.LBB1635_270:                           ;   in Loop: Header=BB1635_100 Depth=2
	ds_read_u8 v39, v0 offset:3840
	s_waitcnt lgkmcnt(0)
	v_and_b32_e32 v40, 1, v39
	v_lshrrev_b32_e32 v40, s61, v40
	v_and_b32_e32 v40, s62, v40
	v_lshlrev_b32_e32 v40, 2, v40
	ds_read_b32 v40, v40
	s_waitcnt lgkmcnt(0)
	v_add_nc_u32_e32 v40, v40, v58
	global_store_byte v40, v39, s[46:47]
	s_or_b32 exec_lo, exec_lo, s22
	v_cmp_lt_u32_e64 s23, v59, v3
	s_and_saveexec_b32 s22, s23
	s_cbranch_execz .LBB1635_199
.LBB1635_271:                           ;   in Loop: Header=BB1635_100 Depth=2
	ds_read_u8 v39, v0 offset:4096
	s_waitcnt lgkmcnt(0)
	v_and_b32_e32 v40, 1, v39
	v_lshrrev_b32_e32 v40, s61, v40
	v_and_b32_e32 v40, s62, v40
	v_lshlrev_b32_e32 v40, 2, v40
	ds_read_b32 v40, v40
	s_waitcnt lgkmcnt(0)
	v_add_nc_u32_e32 v40, v40, v59
	global_store_byte v40, v39, s[46:47]
	s_or_b32 exec_lo, exec_lo, s22
	v_cmp_lt_u32_e64 s22, v60, v3
	s_and_saveexec_b32 s40, s22
	s_cbranch_execz .LBB1635_200
.LBB1635_272:                           ;   in Loop: Header=BB1635_100 Depth=2
	ds_read_u8 v39, v0 offset:4352
	s_waitcnt lgkmcnt(0)
	v_and_b32_e32 v40, 1, v39
	v_lshrrev_b32_e32 v40, s61, v40
	v_and_b32_e32 v40, s62, v40
	v_lshlrev_b32_e32 v40, 2, v40
	ds_read_b32 v40, v40
	s_waitcnt lgkmcnt(0)
	v_add_nc_u32_e32 v40, v40, v60
	global_store_byte v40, v39, s[46:47]
	s_or_b32 exec_lo, exec_lo, s40
	v_cmp_lt_u32_e32 vcc_lo, v61, v3
	s_and_saveexec_b32 s40, vcc_lo
	s_cbranch_execnz .LBB1635_201
	s_branch .LBB1635_202
.LBB1635_273:                           ;   in Loop: Header=BB1635_100 Depth=2
	global_load_dwordx2 v[37:38], v[39:40], off
	s_or_b32 exec_lo, exec_lo, s40
	s_mov_b32 s50, exec_lo
	v_cmpx_lt_u32_e64 v96, v3
	s_cbranch_execz .LBB1635_204
.LBB1635_274:                           ;   in Loop: Header=BB1635_100 Depth=2
	global_load_dwordx2 v[35:36], v[39:40], off offset:256
	s_or_b32 exec_lo, exec_lo, s50
	s_mov_b32 s50, exec_lo
	v_cmpx_lt_u32_e64 v97, v3
	s_cbranch_execz .LBB1635_205
.LBB1635_275:                           ;   in Loop: Header=BB1635_100 Depth=2
	global_load_dwordx2 v[33:34], v[39:40], off offset:512
	s_or_b32 exec_lo, exec_lo, s50
	s_mov_b32 s50, exec_lo
	v_cmpx_lt_u32_e64 v98, v3
	s_cbranch_execz .LBB1635_206
.LBB1635_276:                           ;   in Loop: Header=BB1635_100 Depth=2
	global_load_dwordx2 v[31:32], v[39:40], off offset:768
	s_or_b32 exec_lo, exec_lo, s50
	s_mov_b32 s50, exec_lo
	v_cmpx_lt_u32_e64 v99, v3
	s_cbranch_execz .LBB1635_207
.LBB1635_277:                           ;   in Loop: Header=BB1635_100 Depth=2
	global_load_dwordx2 v[29:30], v[39:40], off offset:1024
	s_or_b32 exec_lo, exec_lo, s50
	s_mov_b32 s50, exec_lo
	v_cmpx_lt_u32_e64 v100, v3
	s_cbranch_execz .LBB1635_208
.LBB1635_278:                           ;   in Loop: Header=BB1635_100 Depth=2
	global_load_dwordx2 v[25:26], v[39:40], off offset:1280
	s_or_b32 exec_lo, exec_lo, s50
	s_mov_b32 s50, exec_lo
	v_cmpx_lt_u32_e64 v101, v3
	s_cbranch_execz .LBB1635_209
.LBB1635_279:                           ;   in Loop: Header=BB1635_100 Depth=2
	global_load_dwordx2 v[21:22], v[39:40], off offset:1536
	s_or_b32 exec_lo, exec_lo, s50
	s_mov_b32 s50, exec_lo
	v_cmpx_lt_u32_e64 v102, v3
	s_cbranch_execz .LBB1635_210
.LBB1635_280:                           ;   in Loop: Header=BB1635_100 Depth=2
	global_load_dwordx2 v[17:18], v[39:40], off offset:1792
	s_or_b32 exec_lo, exec_lo, s50
	s_mov_b32 s50, exec_lo
	v_cmpx_lt_u32_e64 v103, v3
	s_cbranch_execz .LBB1635_211
.LBB1635_281:                           ;   in Loop: Header=BB1635_100 Depth=2
	v_add_co_u32 v27, s40, 0x800, v39
	v_add_co_ci_u32_e64 v28, null, 0, v40, s40
	global_load_dwordx2 v[27:28], v[27:28], off
	s_or_b32 exec_lo, exec_lo, s50
	s_mov_b32 s50, exec_lo
	v_cmpx_lt_u32_e64 v104, v3
	s_cbranch_execz .LBB1635_212
.LBB1635_282:                           ;   in Loop: Header=BB1635_100 Depth=2
	v_add_co_u32 v23, s40, 0x800, v39
	v_add_co_ci_u32_e64 v24, null, 0, v40, s40
	global_load_dwordx2 v[23:24], v[23:24], off offset:256
	s_or_b32 exec_lo, exec_lo, s50
	s_mov_b32 s50, exec_lo
	v_cmpx_lt_u32_e64 v105, v3
	s_cbranch_execz .LBB1635_213
.LBB1635_283:                           ;   in Loop: Header=BB1635_100 Depth=2
	v_add_co_u32 v19, s40, 0x800, v39
	v_add_co_ci_u32_e64 v20, null, 0, v40, s40
	global_load_dwordx2 v[19:20], v[19:20], off offset:512
	s_or_b32 exec_lo, exec_lo, s50
	s_mov_b32 s50, exec_lo
	v_cmpx_lt_u32_e64 v106, v3
	s_cbranch_execz .LBB1635_214
.LBB1635_284:                           ;   in Loop: Header=BB1635_100 Depth=2
	v_add_co_u32 v15, s40, 0x800, v39
	v_add_co_ci_u32_e64 v16, null, 0, v40, s40
	global_load_dwordx2 v[15:16], v[15:16], off offset:768
	s_or_b32 exec_lo, exec_lo, s50
	s_mov_b32 s50, exec_lo
	v_cmpx_lt_u32_e64 v107, v3
	s_cbranch_execz .LBB1635_215
.LBB1635_285:                           ;   in Loop: Header=BB1635_100 Depth=2
	v_add_co_u32 v13, s40, 0x800, v39
	v_add_co_ci_u32_e64 v14, null, 0, v40, s40
	global_load_dwordx2 v[13:14], v[13:14], off offset:1024
	s_or_b32 exec_lo, exec_lo, s50
	s_mov_b32 s50, exec_lo
	v_cmpx_lt_u32_e64 v108, v3
	s_cbranch_execz .LBB1635_216
.LBB1635_286:                           ;   in Loop: Header=BB1635_100 Depth=2
	v_add_co_u32 v11, s40, 0x800, v39
	v_add_co_ci_u32_e64 v12, null, 0, v40, s40
	global_load_dwordx2 v[11:12], v[11:12], off offset:1280
	s_or_b32 exec_lo, exec_lo, s50
	s_mov_b32 s50, exec_lo
	v_cmpx_lt_u32_e64 v109, v3
	s_cbranch_execz .LBB1635_217
.LBB1635_287:                           ;   in Loop: Header=BB1635_100 Depth=2
	v_add_co_u32 v9, s40, 0x800, v39
	v_add_co_ci_u32_e64 v10, null, 0, v40, s40
	global_load_dwordx2 v[9:10], v[9:10], off offset:1536
	s_or_b32 exec_lo, exec_lo, s50
	s_mov_b32 s50, exec_lo
	v_cmpx_lt_u32_e64 v110, v3
	s_cbranch_execz .LBB1635_218
.LBB1635_288:                           ;   in Loop: Header=BB1635_100 Depth=2
	v_add_co_u32 v7, s40, 0x800, v39
	v_add_co_ci_u32_e64 v8, null, 0, v40, s40
	global_load_dwordx2 v[7:8], v[7:8], off offset:1792
	s_or_b32 exec_lo, exec_lo, s50
	s_mov_b32 s50, exec_lo
	v_cmpx_lt_u32_e64 v111, v3
	s_cbranch_execz .LBB1635_219
.LBB1635_289:                           ;   in Loop: Header=BB1635_100 Depth=2
	v_add_co_u32 v5, s40, 0x1000, v39
	v_add_co_ci_u32_e64 v6, null, 0, v40, s40
	global_load_dwordx2 v[5:6], v[5:6], off
	s_or_b32 exec_lo, exec_lo, s50
	s_and_saveexec_b32 s40, s39
	s_cbranch_execz .LBB1635_220
.LBB1635_290:                           ;   in Loop: Header=BB1635_100 Depth=2
	ds_read_u8 v3, v0 offset:512
	s_waitcnt lgkmcnt(0)
	v_lshrrev_b32_e32 v3, s61, v3
	v_and_b32_e32 v129, s62, v3
	s_or_b32 exec_lo, exec_lo, s40
	s_and_saveexec_b32 s40, s38
	s_cbranch_execz .LBB1635_221
.LBB1635_291:                           ;   in Loop: Header=BB1635_100 Depth=2
	ds_read_u8 v3, v0 offset:768
	s_waitcnt lgkmcnt(0)
	v_lshrrev_b32_e32 v3, s61, v3
	v_and_b32_e32 v128, s62, v3
	s_or_b32 exec_lo, exec_lo, s40
	s_and_saveexec_b32 s40, s37
	s_cbranch_execz .LBB1635_222
.LBB1635_292:                           ;   in Loop: Header=BB1635_100 Depth=2
	ds_read_u8 v3, v0 offset:1024
	s_waitcnt lgkmcnt(0)
	v_lshrrev_b32_e32 v3, s61, v3
	v_and_b32_e32 v127, s62, v3
	s_or_b32 exec_lo, exec_lo, s40
	s_and_saveexec_b32 s40, s36
	s_cbranch_execz .LBB1635_223
.LBB1635_293:                           ;   in Loop: Header=BB1635_100 Depth=2
	ds_read_u8 v3, v0 offset:1280
	s_waitcnt lgkmcnt(0)
	v_lshrrev_b32_e32 v3, s61, v3
	v_and_b32_e32 v126, s62, v3
	s_or_b32 exec_lo, exec_lo, s40
	s_and_saveexec_b32 s40, s35
	s_cbranch_execz .LBB1635_224
.LBB1635_294:                           ;   in Loop: Header=BB1635_100 Depth=2
	ds_read_u8 v3, v0 offset:1536
	s_waitcnt lgkmcnt(0)
	v_lshrrev_b32_e32 v3, s61, v3
	v_and_b32_e32 v125, s62, v3
	s_or_b32 exec_lo, exec_lo, s40
	s_and_saveexec_b32 s40, s34
	s_cbranch_execz .LBB1635_225
.LBB1635_295:                           ;   in Loop: Header=BB1635_100 Depth=2
	ds_read_u8 v3, v0 offset:1792
	s_waitcnt lgkmcnt(0)
	v_lshrrev_b32_e32 v3, s61, v3
	v_and_b32_e32 v124, s62, v3
	s_or_b32 exec_lo, exec_lo, s40
	s_and_saveexec_b32 s40, s33
	s_cbranch_execz .LBB1635_226
.LBB1635_296:                           ;   in Loop: Header=BB1635_100 Depth=2
	ds_read_u8 v3, v0 offset:2048
	s_waitcnt lgkmcnt(0)
	v_lshrrev_b32_e32 v3, s61, v3
	v_and_b32_e32 v123, s62, v3
	s_or_b32 exec_lo, exec_lo, s40
	s_and_saveexec_b32 s40, s31
	s_cbranch_execz .LBB1635_227
.LBB1635_297:                           ;   in Loop: Header=BB1635_100 Depth=2
	ds_read_u8 v3, v0 offset:2304
	s_waitcnt lgkmcnt(0)
	v_lshrrev_b32_e32 v3, s61, v3
	v_and_b32_e32 v122, s62, v3
	s_or_b32 exec_lo, exec_lo, s40
	s_and_saveexec_b32 s40, s30
	s_cbranch_execz .LBB1635_228
.LBB1635_298:                           ;   in Loop: Header=BB1635_100 Depth=2
	ds_read_u8 v3, v0 offset:2560
	s_waitcnt lgkmcnt(0)
	v_lshrrev_b32_e32 v3, s61, v3
	v_and_b32_e32 v121, s62, v3
	s_or_b32 exec_lo, exec_lo, s40
	s_and_saveexec_b32 s40, s29
	s_cbranch_execz .LBB1635_229
.LBB1635_299:                           ;   in Loop: Header=BB1635_100 Depth=2
	ds_read_u8 v3, v0 offset:2816
	s_waitcnt lgkmcnt(0)
	v_lshrrev_b32_e32 v3, s61, v3
	v_and_b32_e32 v120, s62, v3
	s_or_b32 exec_lo, exec_lo, s40
	s_and_saveexec_b32 s40, s27
	s_cbranch_execz .LBB1635_230
.LBB1635_300:                           ;   in Loop: Header=BB1635_100 Depth=2
	ds_read_u8 v3, v0 offset:3072
	s_waitcnt lgkmcnt(0)
	v_lshrrev_b32_e32 v3, s61, v3
	v_and_b32_e32 v119, s62, v3
	s_or_b32 exec_lo, exec_lo, s40
	s_and_saveexec_b32 s40, s26
	s_cbranch_execz .LBB1635_231
.LBB1635_301:                           ;   in Loop: Header=BB1635_100 Depth=2
	ds_read_u8 v3, v0 offset:3328
	s_waitcnt lgkmcnt(0)
	v_lshrrev_b32_e32 v3, s61, v3
	v_and_b32_e32 v118, s62, v3
	s_or_b32 exec_lo, exec_lo, s40
	s_and_saveexec_b32 s40, s25
	s_cbranch_execz .LBB1635_232
.LBB1635_302:                           ;   in Loop: Header=BB1635_100 Depth=2
	ds_read_u8 v3, v0 offset:3584
	s_waitcnt lgkmcnt(0)
	v_lshrrev_b32_e32 v3, s61, v3
	v_and_b32_e32 v117, s62, v3
	s_or_b32 exec_lo, exec_lo, s40
	s_and_saveexec_b32 s40, s24
	s_cbranch_execz .LBB1635_233
.LBB1635_303:                           ;   in Loop: Header=BB1635_100 Depth=2
	ds_read_u8 v3, v0 offset:3840
	s_waitcnt lgkmcnt(0)
	v_lshrrev_b32_e32 v3, s61, v3
	v_and_b32_e32 v116, s62, v3
	s_or_b32 exec_lo, exec_lo, s40
	s_and_saveexec_b32 s40, s23
	s_cbranch_execz .LBB1635_234
.LBB1635_304:                           ;   in Loop: Header=BB1635_100 Depth=2
	ds_read_u8 v3, v0 offset:4096
	s_waitcnt lgkmcnt(0)
	v_lshrrev_b32_e32 v3, s61, v3
	v_and_b32_e32 v115, s62, v3
	s_or_b32 exec_lo, exec_lo, s40
	s_and_saveexec_b32 s40, s22
	s_cbranch_execz .LBB1635_235
.LBB1635_305:                           ;   in Loop: Header=BB1635_100 Depth=2
	ds_read_u8 v3, v0 offset:4352
	s_waitcnt lgkmcnt(0)
	v_lshrrev_b32_e32 v3, s61, v3
	v_and_b32_e32 v114, s62, v3
	s_or_b32 exec_lo, exec_lo, s40
	s_and_saveexec_b32 s40, vcc_lo
	s_cbranch_execnz .LBB1635_236
	s_branch .LBB1635_237
.LBB1635_306:                           ;   in Loop: Header=BB1635_100 Depth=2
	v_lshlrev_b32_e32 v3, 2, v129
	v_add_nc_u32_e32 v39, v0, v75
	ds_read_b32 v3, v3
	ds_read_b64 v[39:40], v39 offset:512
	s_waitcnt lgkmcnt(1)
	v_add_nc_u32_e32 v3, v3, v0
	v_lshlrev_b64 v[41:42], 3, v[3:4]
	v_add_co_u32 v41, s39, s52, v41
	v_add_co_ci_u32_e64 v42, null, s53, v42, s39
	s_waitcnt lgkmcnt(0)
	global_store_dwordx2 v[41:42], v[39:40], off
	s_or_b32 exec_lo, exec_lo, s40
	s_and_saveexec_b32 s39, s38
	s_cbranch_execz .LBB1635_239
.LBB1635_307:                           ;   in Loop: Header=BB1635_100 Depth=2
	v_lshlrev_b32_e32 v3, 2, v128
	v_add_nc_u32_e32 v39, v0, v75
	ds_read_b32 v3, v3
	ds_read_b64 v[39:40], v39 offset:2560
	s_waitcnt lgkmcnt(1)
	v_add_nc_u32_e32 v3, v3, v44
	v_lshlrev_b64 v[41:42], 3, v[3:4]
	v_add_co_u32 v41, s38, s52, v41
	v_add_co_ci_u32_e64 v42, null, s53, v42, s38
	s_waitcnt lgkmcnt(0)
	global_store_dwordx2 v[41:42], v[39:40], off
	s_or_b32 exec_lo, exec_lo, s39
	s_and_saveexec_b32 s38, s37
	s_cbranch_execz .LBB1635_240
.LBB1635_308:                           ;   in Loop: Header=BB1635_100 Depth=2
	v_lshlrev_b32_e32 v3, 2, v127
	v_add_nc_u32_e32 v39, v0, v75
	ds_read_b32 v3, v3
	ds_read_b64 v[39:40], v39 offset:4608
	s_waitcnt lgkmcnt(1)
	v_add_nc_u32_e32 v3, v3, v47
	v_lshlrev_b64 v[41:42], 3, v[3:4]
	v_add_co_u32 v41, s37, s52, v41
	v_add_co_ci_u32_e64 v42, null, s53, v42, s37
	s_waitcnt lgkmcnt(0)
	global_store_dwordx2 v[41:42], v[39:40], off
	s_or_b32 exec_lo, exec_lo, s38
	s_and_saveexec_b32 s37, s36
	s_cbranch_execz .LBB1635_241
.LBB1635_309:                           ;   in Loop: Header=BB1635_100 Depth=2
	v_lshlrev_b32_e32 v3, 2, v126
	v_add_nc_u32_e32 v39, v0, v75
	ds_read_b32 v3, v3
	ds_read_b64 v[39:40], v39 offset:6656
	s_waitcnt lgkmcnt(1)
	v_add_nc_u32_e32 v3, v3, v48
	v_lshlrev_b64 v[41:42], 3, v[3:4]
	v_add_co_u32 v41, s36, s52, v41
	v_add_co_ci_u32_e64 v42, null, s53, v42, s36
	s_waitcnt lgkmcnt(0)
	global_store_dwordx2 v[41:42], v[39:40], off
	s_or_b32 exec_lo, exec_lo, s37
	s_and_saveexec_b32 s36, s35
	s_cbranch_execz .LBB1635_242
.LBB1635_310:                           ;   in Loop: Header=BB1635_100 Depth=2
	v_lshlrev_b32_e32 v3, 2, v125
	v_add_nc_u32_e32 v39, v0, v75
	ds_read_b32 v3, v3
	ds_read_b64 v[39:40], v39 offset:8704
	s_waitcnt lgkmcnt(1)
	v_add_nc_u32_e32 v3, v3, v49
	v_lshlrev_b64 v[41:42], 3, v[3:4]
	v_add_co_u32 v41, s35, s52, v41
	v_add_co_ci_u32_e64 v42, null, s53, v42, s35
	s_waitcnt lgkmcnt(0)
	global_store_dwordx2 v[41:42], v[39:40], off
	s_or_b32 exec_lo, exec_lo, s36
	s_and_saveexec_b32 s35, s34
	s_cbranch_execz .LBB1635_243
.LBB1635_311:                           ;   in Loop: Header=BB1635_100 Depth=2
	v_lshlrev_b32_e32 v3, 2, v124
	v_add_nc_u32_e32 v39, v0, v75
	ds_read_b32 v3, v3
	ds_read_b64 v[39:40], v39 offset:10752
	s_waitcnt lgkmcnt(1)
	v_add_nc_u32_e32 v3, v3, v50
	v_lshlrev_b64 v[41:42], 3, v[3:4]
	v_add_co_u32 v41, s34, s52, v41
	v_add_co_ci_u32_e64 v42, null, s53, v42, s34
	s_waitcnt lgkmcnt(0)
	global_store_dwordx2 v[41:42], v[39:40], off
	s_or_b32 exec_lo, exec_lo, s35
	s_and_saveexec_b32 s34, s33
	s_cbranch_execz .LBB1635_244
.LBB1635_312:                           ;   in Loop: Header=BB1635_100 Depth=2
	v_lshlrev_b32_e32 v3, 2, v123
	v_add_nc_u32_e32 v39, v0, v75
	ds_read_b32 v3, v3
	ds_read_b64 v[39:40], v39 offset:12800
	s_waitcnt lgkmcnt(1)
	v_add_nc_u32_e32 v3, v3, v51
	v_lshlrev_b64 v[41:42], 3, v[3:4]
	v_add_co_u32 v41, s33, s52, v41
	v_add_co_ci_u32_e64 v42, null, s53, v42, s33
	s_waitcnt lgkmcnt(0)
	global_store_dwordx2 v[41:42], v[39:40], off
	s_or_b32 exec_lo, exec_lo, s34
	s_and_saveexec_b32 s33, s31
	s_cbranch_execz .LBB1635_245
.LBB1635_313:                           ;   in Loop: Header=BB1635_100 Depth=2
	v_lshlrev_b32_e32 v3, 2, v122
	v_add_nc_u32_e32 v39, v0, v75
	ds_read_b32 v3, v3
	ds_read_b64 v[39:40], v39 offset:14848
	s_waitcnt lgkmcnt(1)
	v_add_nc_u32_e32 v3, v3, v52
	v_lshlrev_b64 v[41:42], 3, v[3:4]
	v_add_co_u32 v41, s31, s52, v41
	v_add_co_ci_u32_e64 v42, null, s53, v42, s31
	s_waitcnt lgkmcnt(0)
	global_store_dwordx2 v[41:42], v[39:40], off
	s_or_b32 exec_lo, exec_lo, s33
	s_and_saveexec_b32 s31, s30
	s_cbranch_execz .LBB1635_246
.LBB1635_314:                           ;   in Loop: Header=BB1635_100 Depth=2
	v_lshlrev_b32_e32 v3, 2, v121
	v_add_nc_u32_e32 v39, v0, v75
	ds_read_b32 v3, v3
	ds_read_b64 v[39:40], v39 offset:16896
	s_waitcnt lgkmcnt(1)
	v_add_nc_u32_e32 v3, v3, v53
	v_lshlrev_b64 v[41:42], 3, v[3:4]
	v_add_co_u32 v41, s30, s52, v41
	v_add_co_ci_u32_e64 v42, null, s53, v42, s30
	s_waitcnt lgkmcnt(0)
	global_store_dwordx2 v[41:42], v[39:40], off
	s_or_b32 exec_lo, exec_lo, s31
	s_and_saveexec_b32 s30, s29
	s_cbranch_execz .LBB1635_247
.LBB1635_315:                           ;   in Loop: Header=BB1635_100 Depth=2
	v_lshlrev_b32_e32 v3, 2, v120
	v_add_nc_u32_e32 v39, v0, v75
	ds_read_b32 v3, v3
	ds_read_b64 v[39:40], v39 offset:18944
	s_waitcnt lgkmcnt(1)
	v_add_nc_u32_e32 v3, v3, v54
	v_lshlrev_b64 v[41:42], 3, v[3:4]
	v_add_co_u32 v41, s29, s52, v41
	v_add_co_ci_u32_e64 v42, null, s53, v42, s29
	s_waitcnt lgkmcnt(0)
	global_store_dwordx2 v[41:42], v[39:40], off
	s_or_b32 exec_lo, exec_lo, s30
	s_and_saveexec_b32 s29, s27
	s_cbranch_execz .LBB1635_248
.LBB1635_316:                           ;   in Loop: Header=BB1635_100 Depth=2
	v_lshlrev_b32_e32 v3, 2, v119
	v_add_nc_u32_e32 v39, v0, v75
	ds_read_b32 v3, v3
	ds_read_b64 v[39:40], v39 offset:20992
	s_waitcnt lgkmcnt(1)
	v_add_nc_u32_e32 v3, v3, v55
	v_lshlrev_b64 v[41:42], 3, v[3:4]
	v_add_co_u32 v41, s27, s52, v41
	v_add_co_ci_u32_e64 v42, null, s53, v42, s27
	s_waitcnt lgkmcnt(0)
	global_store_dwordx2 v[41:42], v[39:40], off
	s_or_b32 exec_lo, exec_lo, s29
	s_and_saveexec_b32 s27, s26
	s_cbranch_execz .LBB1635_249
.LBB1635_317:                           ;   in Loop: Header=BB1635_100 Depth=2
	v_lshlrev_b32_e32 v3, 2, v118
	v_add_nc_u32_e32 v39, v0, v75
	ds_read_b32 v3, v3
	ds_read_b64 v[39:40], v39 offset:23040
	s_waitcnt lgkmcnt(1)
	v_add_nc_u32_e32 v3, v3, v56
	v_lshlrev_b64 v[41:42], 3, v[3:4]
	v_add_co_u32 v41, s26, s52, v41
	v_add_co_ci_u32_e64 v42, null, s53, v42, s26
	s_waitcnt lgkmcnt(0)
	global_store_dwordx2 v[41:42], v[39:40], off
	s_or_b32 exec_lo, exec_lo, s27
	s_and_saveexec_b32 s26, s25
	s_cbranch_execz .LBB1635_250
.LBB1635_318:                           ;   in Loop: Header=BB1635_100 Depth=2
	v_lshlrev_b32_e32 v3, 2, v117
	v_add_nc_u32_e32 v39, v0, v75
	ds_read_b32 v3, v3
	ds_read_b64 v[39:40], v39 offset:25088
	s_waitcnt lgkmcnt(1)
	v_add_nc_u32_e32 v3, v3, v57
	v_lshlrev_b64 v[41:42], 3, v[3:4]
	v_add_co_u32 v41, s25, s52, v41
	v_add_co_ci_u32_e64 v42, null, s53, v42, s25
	s_waitcnt lgkmcnt(0)
	global_store_dwordx2 v[41:42], v[39:40], off
	s_or_b32 exec_lo, exec_lo, s26
	s_and_saveexec_b32 s25, s24
	s_cbranch_execz .LBB1635_251
.LBB1635_319:                           ;   in Loop: Header=BB1635_100 Depth=2
	v_lshlrev_b32_e32 v3, 2, v116
	v_add_nc_u32_e32 v39, v0, v75
	ds_read_b32 v3, v3
	ds_read_b64 v[39:40], v39 offset:27136
	s_waitcnt lgkmcnt(1)
	v_add_nc_u32_e32 v3, v3, v58
	v_lshlrev_b64 v[41:42], 3, v[3:4]
	v_add_co_u32 v41, s24, s52, v41
	v_add_co_ci_u32_e64 v42, null, s53, v42, s24
	s_waitcnt lgkmcnt(0)
	global_store_dwordx2 v[41:42], v[39:40], off
	s_or_b32 exec_lo, exec_lo, s25
	s_and_saveexec_b32 s24, s23
	s_cbranch_execz .LBB1635_252
.LBB1635_320:                           ;   in Loop: Header=BB1635_100 Depth=2
	v_lshlrev_b32_e32 v3, 2, v115
	v_add_nc_u32_e32 v39, v0, v75
	ds_read_b32 v3, v3
	ds_read_b64 v[39:40], v39 offset:29184
	s_waitcnt lgkmcnt(1)
	v_add_nc_u32_e32 v3, v3, v59
	v_lshlrev_b64 v[41:42], 3, v[3:4]
	v_add_co_u32 v41, s23, s52, v41
	v_add_co_ci_u32_e64 v42, null, s53, v42, s23
	s_waitcnt lgkmcnt(0)
	global_store_dwordx2 v[41:42], v[39:40], off
	s_or_b32 exec_lo, exec_lo, s24
	s_and_saveexec_b32 s23, s22
	s_cbranch_execz .LBB1635_253
.LBB1635_321:                           ;   in Loop: Header=BB1635_100 Depth=2
	v_lshlrev_b32_e32 v3, 2, v114
	v_add_nc_u32_e32 v39, v0, v75
	ds_read_b32 v3, v3
	ds_read_b64 v[39:40], v39 offset:31232
	s_waitcnt lgkmcnt(1)
	v_add_nc_u32_e32 v3, v3, v60
	v_lshlrev_b64 v[41:42], 3, v[3:4]
	v_add_co_u32 v41, s22, s52, v41
	v_add_co_ci_u32_e64 v42, null, s53, v42, s22
	s_waitcnt lgkmcnt(0)
	global_store_dwordx2 v[41:42], v[39:40], off
	s_or_b32 exec_lo, exec_lo, s23
	s_and_saveexec_b32 s22, vcc_lo
	s_cbranch_execnz .LBB1635_254
	s_branch .LBB1635_255
.LBB1635_322:                           ;   in Loop: Header=BB1635_12 Depth=1
	s_waitcnt lgkmcnt(0)
	s_mov_b32 s5, 0
	s_barrier
.LBB1635_323:                           ;   in Loop: Header=BB1635_12 Depth=1
	s_and_b32 vcc_lo, exec_lo, s5
	s_cbranch_vccz .LBB1635_633
; %bb.324:                              ;   in Loop: Header=BB1635_12 Depth=1
	v_mov_b32_e32 v17, 0
	v_mov_b32_e32 v20, 0
	;; [unrolled: 1-line block ×17, first 2 shown]
	s_mov_b32 s5, s60
	s_mov_b32 s16, s58
	s_barrier
	buffer_gl0_inv
	s_branch .LBB1635_326
.LBB1635_325:                           ;   in Loop: Header=BB1635_326 Depth=2
	s_or_b32 exec_lo, exec_lo, s15
	s_addk_i32 s5, 0xef00
	s_cmp_ge_u32 s14, s59
	s_mov_b32 s16, s14
	s_cbranch_scc1 .LBB1635_398
.LBB1635_326:                           ;   Parent Loop BB1635_12 Depth=1
                                        ; =>  This Inner Loop Header: Depth=2
	s_add_i32 s14, s16, 0x1100
	s_mov_b32 s15, -1
	s_cmp_gt_u32 s14, s59
                                        ; implicit-def: $vgpr21
                                        ; implicit-def: $vgpr22
                                        ; implicit-def: $vgpr23
                                        ; implicit-def: $vgpr24
                                        ; implicit-def: $vgpr25
                                        ; implicit-def: $vgpr26
                                        ; implicit-def: $vgpr27
                                        ; implicit-def: $vgpr28
                                        ; implicit-def: $vgpr29
                                        ; implicit-def: $vgpr30
                                        ; implicit-def: $vgpr31
                                        ; implicit-def: $vgpr32
                                        ; implicit-def: $vgpr33
                                        ; implicit-def: $vgpr34
                                        ; implicit-def: $vgpr35
                                        ; implicit-def: $vgpr36
                                        ; implicit-def: $vgpr37
	s_cbranch_scc1 .LBB1635_328
; %bb.327:                              ;   in Loop: Header=BB1635_326 Depth=2
	v_add_co_u32 v38, vcc_lo, v76, s16
	v_add_co_ci_u32_e64 v39, null, 0, v77, vcc_lo
	s_mov_b32 s15, 0
	v_add_co_u32 v21, vcc_lo, 0x800, v38
	v_add_co_ci_u32_e64 v22, null, 0, v39, vcc_lo
	v_add_co_u32 v23, vcc_lo, 0x1000, v38
	v_add_co_ci_u32_e64 v24, null, 0, v39, vcc_lo
	s_clause 0x10
	global_load_ubyte v36, v[21:22], off offset:1792
	global_load_ubyte v37, v[23:24], off
	global_load_ubyte v35, v[21:22], off offset:1536
	global_load_ubyte v34, v[21:22], off offset:1280
	;; [unrolled: 1-line block ×6, first 2 shown]
	global_load_ubyte v29, v[21:22], off
	global_load_ubyte v28, v[38:39], off offset:1792
	global_load_ubyte v27, v[38:39], off offset:1536
	;; [unrolled: 1-line block ×7, first 2 shown]
	global_load_ubyte v21, v[38:39], off
.LBB1635_328:                           ;   in Loop: Header=BB1635_326 Depth=2
	s_andn2_b32 vcc_lo, exec_lo, s15
	s_movk_i32 s15, 0x1100
	s_cbranch_vccnz .LBB1635_348
; %bb.329:                              ;   in Loop: Header=BB1635_326 Depth=2
	s_add_u32 s15, s46, s16
	s_addc_u32 s16, s47, 0
	s_mov_b32 s17, exec_lo
	v_cmpx_gt_u32_e64 s5, v0
	s_cbranch_execnz .LBB1635_382
; %bb.330:                              ;   in Loop: Header=BB1635_326 Depth=2
	s_or_b32 exec_lo, exec_lo, s17
	s_mov_b32 s17, exec_lo
	v_cmpx_gt_u32_e64 s5, v44
	s_cbranch_execnz .LBB1635_383
.LBB1635_331:                           ;   in Loop: Header=BB1635_326 Depth=2
	s_or_b32 exec_lo, exec_lo, s17
	s_mov_b32 s17, exec_lo
	v_cmpx_gt_u32_e64 s5, v47
	s_cbranch_execnz .LBB1635_384
.LBB1635_332:                           ;   in Loop: Header=BB1635_326 Depth=2
	s_or_b32 exec_lo, exec_lo, s17
	s_mov_b32 s17, exec_lo
	v_cmpx_gt_u32_e64 s5, v48
	s_cbranch_execnz .LBB1635_385
.LBB1635_333:                           ;   in Loop: Header=BB1635_326 Depth=2
	s_or_b32 exec_lo, exec_lo, s17
	s_mov_b32 s17, exec_lo
	v_cmpx_gt_u32_e64 s5, v49
	s_cbranch_execnz .LBB1635_386
.LBB1635_334:                           ;   in Loop: Header=BB1635_326 Depth=2
	s_or_b32 exec_lo, exec_lo, s17
	s_mov_b32 s17, exec_lo
	v_cmpx_gt_u32_e64 s5, v50
	s_cbranch_execnz .LBB1635_387
.LBB1635_335:                           ;   in Loop: Header=BB1635_326 Depth=2
	s_or_b32 exec_lo, exec_lo, s17
	s_mov_b32 s17, exec_lo
	v_cmpx_gt_u32_e64 s5, v51
	s_cbranch_execnz .LBB1635_388
.LBB1635_336:                           ;   in Loop: Header=BB1635_326 Depth=2
	s_or_b32 exec_lo, exec_lo, s17
	s_mov_b32 s17, exec_lo
	v_cmpx_gt_u32_e64 s5, v52
	s_cbranch_execnz .LBB1635_389
.LBB1635_337:                           ;   in Loop: Header=BB1635_326 Depth=2
	s_or_b32 exec_lo, exec_lo, s17
	s_mov_b32 s17, exec_lo
	v_cmpx_gt_u32_e64 s5, v53
	s_cbranch_execnz .LBB1635_390
.LBB1635_338:                           ;   in Loop: Header=BB1635_326 Depth=2
	s_or_b32 exec_lo, exec_lo, s17
	s_mov_b32 s17, exec_lo
	v_cmpx_gt_u32_e64 s5, v54
	s_cbranch_execnz .LBB1635_391
.LBB1635_339:                           ;   in Loop: Header=BB1635_326 Depth=2
	s_or_b32 exec_lo, exec_lo, s17
	s_mov_b32 s17, exec_lo
	v_cmpx_gt_u32_e64 s5, v55
	s_cbranch_execnz .LBB1635_392
.LBB1635_340:                           ;   in Loop: Header=BB1635_326 Depth=2
	s_or_b32 exec_lo, exec_lo, s17
	s_mov_b32 s17, exec_lo
	v_cmpx_gt_u32_e64 s5, v56
	s_cbranch_execnz .LBB1635_393
.LBB1635_341:                           ;   in Loop: Header=BB1635_326 Depth=2
	s_or_b32 exec_lo, exec_lo, s17
	s_mov_b32 s17, exec_lo
	v_cmpx_gt_u32_e64 s5, v57
	s_cbranch_execnz .LBB1635_394
.LBB1635_342:                           ;   in Loop: Header=BB1635_326 Depth=2
	s_or_b32 exec_lo, exec_lo, s17
	s_mov_b32 s17, exec_lo
	v_cmpx_gt_u32_e64 s5, v58
	s_cbranch_execnz .LBB1635_395
.LBB1635_343:                           ;   in Loop: Header=BB1635_326 Depth=2
	s_or_b32 exec_lo, exec_lo, s17
	s_mov_b32 s17, exec_lo
	v_cmpx_gt_u32_e64 s5, v59
	s_cbranch_execnz .LBB1635_396
.LBB1635_344:                           ;   in Loop: Header=BB1635_326 Depth=2
	s_or_b32 exec_lo, exec_lo, s17
	s_mov_b32 s17, exec_lo
	v_cmpx_gt_u32_e64 s5, v60
	s_cbranch_execnz .LBB1635_397
.LBB1635_345:                           ;   in Loop: Header=BB1635_326 Depth=2
	s_or_b32 exec_lo, exec_lo, s17
	s_mov_b32 s17, exec_lo
	v_cmpx_gt_u32_e64 s5, v61
	s_cbranch_execz .LBB1635_347
.LBB1635_346:                           ;   in Loop: Header=BB1635_326 Depth=2
	s_waitcnt vmcnt(0)
	v_add_co_u32 v21, s15, s15, v61
	v_add_co_ci_u32_e64 v22, null, s16, 0, s15
	global_load_ubyte v3, v[21:22], off
.LBB1635_347:                           ;   in Loop: Header=BB1635_326 Depth=2
	s_or_b32 exec_lo, exec_lo, s17
	s_waitcnt vmcnt(0)
	v_mov_b32_e32 v21, v17
	v_mov_b32_e32 v22, v20
	;; [unrolled: 1-line block ×17, first 2 shown]
	s_mov_b32 s15, s5
.LBB1635_348:                           ;   in Loop: Header=BB1635_326 Depth=2
	s_waitcnt vmcnt(15)
	v_mov_b32_e32 v3, v37
	v_mov_b32_e32 v5, v36
	s_waitcnt vmcnt(14)
	v_mov_b32_e32 v6, v35
	s_waitcnt vmcnt(13)
	;; [unrolled: 2-line block ×15, first 2 shown]
	v_mov_b32_e32 v17, v21
	s_mov_b32 s16, exec_lo
	v_cmpx_gt_u32_e64 s15, v0
	s_cbranch_execnz .LBB1635_365
; %bb.349:                              ;   in Loop: Header=BB1635_326 Depth=2
	s_or_b32 exec_lo, exec_lo, s16
	s_mov_b32 s16, exec_lo
	v_cmpx_gt_u32_e64 s15, v44
	s_cbranch_execnz .LBB1635_366
.LBB1635_350:                           ;   in Loop: Header=BB1635_326 Depth=2
	s_or_b32 exec_lo, exec_lo, s16
	s_mov_b32 s16, exec_lo
	v_cmpx_gt_u32_e64 s15, v47
	s_cbranch_execnz .LBB1635_367
.LBB1635_351:                           ;   in Loop: Header=BB1635_326 Depth=2
	s_or_b32 exec_lo, exec_lo, s16
	s_mov_b32 s16, exec_lo
	v_cmpx_gt_u32_e64 s15, v48
	s_cbranch_execnz .LBB1635_368
.LBB1635_352:                           ;   in Loop: Header=BB1635_326 Depth=2
	s_or_b32 exec_lo, exec_lo, s16
	s_mov_b32 s16, exec_lo
	v_cmpx_gt_u32_e64 s15, v49
	s_cbranch_execnz .LBB1635_369
.LBB1635_353:                           ;   in Loop: Header=BB1635_326 Depth=2
	s_or_b32 exec_lo, exec_lo, s16
	s_mov_b32 s16, exec_lo
	v_cmpx_gt_u32_e64 s15, v50
	s_cbranch_execnz .LBB1635_370
.LBB1635_354:                           ;   in Loop: Header=BB1635_326 Depth=2
	s_or_b32 exec_lo, exec_lo, s16
	s_mov_b32 s16, exec_lo
	v_cmpx_gt_u32_e64 s15, v51
	s_cbranch_execnz .LBB1635_371
.LBB1635_355:                           ;   in Loop: Header=BB1635_326 Depth=2
	s_or_b32 exec_lo, exec_lo, s16
	s_mov_b32 s16, exec_lo
	v_cmpx_gt_u32_e64 s15, v52
	s_cbranch_execnz .LBB1635_372
.LBB1635_356:                           ;   in Loop: Header=BB1635_326 Depth=2
	s_or_b32 exec_lo, exec_lo, s16
	s_mov_b32 s16, exec_lo
	v_cmpx_gt_u32_e64 s15, v53
	s_cbranch_execnz .LBB1635_373
.LBB1635_357:                           ;   in Loop: Header=BB1635_326 Depth=2
	s_or_b32 exec_lo, exec_lo, s16
	s_mov_b32 s16, exec_lo
	v_cmpx_gt_u32_e64 s15, v54
	s_cbranch_execnz .LBB1635_374
.LBB1635_358:                           ;   in Loop: Header=BB1635_326 Depth=2
	s_or_b32 exec_lo, exec_lo, s16
	s_mov_b32 s16, exec_lo
	v_cmpx_gt_u32_e64 s15, v55
	s_cbranch_execnz .LBB1635_375
.LBB1635_359:                           ;   in Loop: Header=BB1635_326 Depth=2
	s_or_b32 exec_lo, exec_lo, s16
	s_mov_b32 s16, exec_lo
	v_cmpx_gt_u32_e64 s15, v56
	s_cbranch_execnz .LBB1635_376
.LBB1635_360:                           ;   in Loop: Header=BB1635_326 Depth=2
	s_or_b32 exec_lo, exec_lo, s16
	s_mov_b32 s16, exec_lo
	v_cmpx_gt_u32_e64 s15, v57
	s_cbranch_execnz .LBB1635_377
.LBB1635_361:                           ;   in Loop: Header=BB1635_326 Depth=2
	s_or_b32 exec_lo, exec_lo, s16
	s_mov_b32 s16, exec_lo
	v_cmpx_gt_u32_e64 s15, v58
	s_cbranch_execnz .LBB1635_378
.LBB1635_362:                           ;   in Loop: Header=BB1635_326 Depth=2
	s_or_b32 exec_lo, exec_lo, s16
	s_mov_b32 s16, exec_lo
	v_cmpx_gt_u32_e64 s15, v59
	s_cbranch_execnz .LBB1635_379
.LBB1635_363:                           ;   in Loop: Header=BB1635_326 Depth=2
	s_or_b32 exec_lo, exec_lo, s16
	s_mov_b32 s16, exec_lo
	v_cmpx_gt_u32_e64 s15, v60
	s_cbranch_execnz .LBB1635_380
.LBB1635_364:                           ;   in Loop: Header=BB1635_326 Depth=2
	s_or_b32 exec_lo, exec_lo, s16
	v_cmp_gt_u32_e32 vcc_lo, s15, v61
	s_and_saveexec_b32 s15, vcc_lo
	s_cbranch_execz .LBB1635_325
	s_branch .LBB1635_381
.LBB1635_365:                           ;   in Loop: Header=BB1635_326 Depth=2
	v_and_b32_e32 v21, 1, v17
	v_lshrrev_b32_e32 v21, s61, v21
	v_and_b32_e32 v21, s62, v21
	v_lshl_or_b32 v21, v21, 4, v63
	ds_add_u32 v21, v89
	s_or_b32 exec_lo, exec_lo, s16
	s_mov_b32 s16, exec_lo
	v_cmpx_gt_u32_e64 s15, v44
	s_cbranch_execz .LBB1635_350
.LBB1635_366:                           ;   in Loop: Header=BB1635_326 Depth=2
	v_and_b32_e32 v21, 1, v20
	v_lshrrev_b32_e32 v21, s61, v21
	v_and_b32_e32 v21, s62, v21
	v_lshl_or_b32 v21, v21, 4, v63
	ds_add_u32 v21, v89
	s_or_b32 exec_lo, exec_lo, s16
	s_mov_b32 s16, exec_lo
	v_cmpx_gt_u32_e64 s15, v47
	s_cbranch_execz .LBB1635_351
.LBB1635_367:                           ;   in Loop: Header=BB1635_326 Depth=2
	v_and_b32_e32 v21, 1, v19
	v_lshrrev_b32_e32 v21, s61, v21
	v_and_b32_e32 v21, s62, v21
	v_lshl_or_b32 v21, v21, 4, v63
	ds_add_u32 v21, v89
	s_or_b32 exec_lo, exec_lo, s16
	s_mov_b32 s16, exec_lo
	v_cmpx_gt_u32_e64 s15, v48
	s_cbranch_execz .LBB1635_352
.LBB1635_368:                           ;   in Loop: Header=BB1635_326 Depth=2
	v_and_b32_e32 v21, 1, v18
	v_lshrrev_b32_e32 v21, s61, v21
	v_and_b32_e32 v21, s62, v21
	v_lshl_or_b32 v21, v21, 4, v63
	ds_add_u32 v21, v89
	s_or_b32 exec_lo, exec_lo, s16
	s_mov_b32 s16, exec_lo
	v_cmpx_gt_u32_e64 s15, v49
	s_cbranch_execz .LBB1635_353
.LBB1635_369:                           ;   in Loop: Header=BB1635_326 Depth=2
	v_and_b32_e32 v21, 1, v16
	v_lshrrev_b32_e32 v21, s61, v21
	v_and_b32_e32 v21, s62, v21
	v_lshl_or_b32 v21, v21, 4, v63
	ds_add_u32 v21, v89
	s_or_b32 exec_lo, exec_lo, s16
	s_mov_b32 s16, exec_lo
	v_cmpx_gt_u32_e64 s15, v50
	s_cbranch_execz .LBB1635_354
.LBB1635_370:                           ;   in Loop: Header=BB1635_326 Depth=2
	v_and_b32_e32 v21, 1, v15
	v_lshrrev_b32_e32 v21, s61, v21
	v_and_b32_e32 v21, s62, v21
	v_lshl_or_b32 v21, v21, 4, v63
	ds_add_u32 v21, v89
	s_or_b32 exec_lo, exec_lo, s16
	s_mov_b32 s16, exec_lo
	v_cmpx_gt_u32_e64 s15, v51
	s_cbranch_execz .LBB1635_355
.LBB1635_371:                           ;   in Loop: Header=BB1635_326 Depth=2
	v_and_b32_e32 v21, 1, v14
	v_lshrrev_b32_e32 v21, s61, v21
	v_and_b32_e32 v21, s62, v21
	v_lshl_or_b32 v21, v21, 4, v63
	ds_add_u32 v21, v89
	s_or_b32 exec_lo, exec_lo, s16
	s_mov_b32 s16, exec_lo
	v_cmpx_gt_u32_e64 s15, v52
	s_cbranch_execz .LBB1635_356
.LBB1635_372:                           ;   in Loop: Header=BB1635_326 Depth=2
	v_and_b32_e32 v21, 1, v13
	v_lshrrev_b32_e32 v21, s61, v21
	v_and_b32_e32 v21, s62, v21
	v_lshl_or_b32 v21, v21, 4, v63
	ds_add_u32 v21, v89
	s_or_b32 exec_lo, exec_lo, s16
	s_mov_b32 s16, exec_lo
	v_cmpx_gt_u32_e64 s15, v53
	s_cbranch_execz .LBB1635_357
.LBB1635_373:                           ;   in Loop: Header=BB1635_326 Depth=2
	v_and_b32_e32 v21, 1, v12
	v_lshrrev_b32_e32 v21, s61, v21
	v_and_b32_e32 v21, s62, v21
	v_lshl_or_b32 v21, v21, 4, v63
	ds_add_u32 v21, v89
	s_or_b32 exec_lo, exec_lo, s16
	s_mov_b32 s16, exec_lo
	v_cmpx_gt_u32_e64 s15, v54
	s_cbranch_execz .LBB1635_358
.LBB1635_374:                           ;   in Loop: Header=BB1635_326 Depth=2
	v_and_b32_e32 v21, 1, v11
	v_lshrrev_b32_e32 v21, s61, v21
	v_and_b32_e32 v21, s62, v21
	v_lshl_or_b32 v21, v21, 4, v63
	ds_add_u32 v21, v89
	s_or_b32 exec_lo, exec_lo, s16
	s_mov_b32 s16, exec_lo
	v_cmpx_gt_u32_e64 s15, v55
	s_cbranch_execz .LBB1635_359
.LBB1635_375:                           ;   in Loop: Header=BB1635_326 Depth=2
	v_and_b32_e32 v21, 1, v10
	v_lshrrev_b32_e32 v21, s61, v21
	v_and_b32_e32 v21, s62, v21
	v_lshl_or_b32 v21, v21, 4, v63
	ds_add_u32 v21, v89
	s_or_b32 exec_lo, exec_lo, s16
	s_mov_b32 s16, exec_lo
	v_cmpx_gt_u32_e64 s15, v56
	s_cbranch_execz .LBB1635_360
.LBB1635_376:                           ;   in Loop: Header=BB1635_326 Depth=2
	v_and_b32_e32 v21, 1, v9
	v_lshrrev_b32_e32 v21, s61, v21
	v_and_b32_e32 v21, s62, v21
	v_lshl_or_b32 v21, v21, 4, v63
	ds_add_u32 v21, v89
	s_or_b32 exec_lo, exec_lo, s16
	s_mov_b32 s16, exec_lo
	v_cmpx_gt_u32_e64 s15, v57
	s_cbranch_execz .LBB1635_361
.LBB1635_377:                           ;   in Loop: Header=BB1635_326 Depth=2
	v_and_b32_e32 v21, 1, v8
	v_lshrrev_b32_e32 v21, s61, v21
	v_and_b32_e32 v21, s62, v21
	v_lshl_or_b32 v21, v21, 4, v63
	ds_add_u32 v21, v89
	s_or_b32 exec_lo, exec_lo, s16
	s_mov_b32 s16, exec_lo
	v_cmpx_gt_u32_e64 s15, v58
	s_cbranch_execz .LBB1635_362
.LBB1635_378:                           ;   in Loop: Header=BB1635_326 Depth=2
	v_and_b32_e32 v21, 1, v7
	v_lshrrev_b32_e32 v21, s61, v21
	v_and_b32_e32 v21, s62, v21
	v_lshl_or_b32 v21, v21, 4, v63
	ds_add_u32 v21, v89
	s_or_b32 exec_lo, exec_lo, s16
	s_mov_b32 s16, exec_lo
	v_cmpx_gt_u32_e64 s15, v59
	s_cbranch_execz .LBB1635_363
.LBB1635_379:                           ;   in Loop: Header=BB1635_326 Depth=2
	v_and_b32_e32 v21, 1, v6
	v_lshrrev_b32_e32 v21, s61, v21
	v_and_b32_e32 v21, s62, v21
	v_lshl_or_b32 v21, v21, 4, v63
	ds_add_u32 v21, v89
	s_or_b32 exec_lo, exec_lo, s16
	s_mov_b32 s16, exec_lo
	v_cmpx_gt_u32_e64 s15, v60
	s_cbranch_execz .LBB1635_364
.LBB1635_380:                           ;   in Loop: Header=BB1635_326 Depth=2
	v_and_b32_e32 v21, 1, v5
	v_lshrrev_b32_e32 v21, s61, v21
	v_and_b32_e32 v21, s62, v21
	v_lshl_or_b32 v21, v21, 4, v63
	ds_add_u32 v21, v89
	s_or_b32 exec_lo, exec_lo, s16
	v_cmp_gt_u32_e32 vcc_lo, s15, v61
	s_and_saveexec_b32 s15, vcc_lo
	s_cbranch_execz .LBB1635_325
.LBB1635_381:                           ;   in Loop: Header=BB1635_326 Depth=2
	v_and_b32_e32 v21, 1, v3
	v_lshrrev_b32_e32 v21, s61, v21
	v_and_b32_e32 v21, s62, v21
	v_lshl_or_b32 v21, v21, 4, v63
	ds_add_u32 v21, v89
	s_branch .LBB1635_325
.LBB1635_382:                           ;   in Loop: Header=BB1635_326 Depth=2
	s_waitcnt vmcnt(0)
	v_add_co_u32 v21, s18, s15, v0
	v_add_co_ci_u32_e64 v22, null, s16, 0, s18
	global_load_ubyte v17, v[21:22], off
	s_or_b32 exec_lo, exec_lo, s17
	s_mov_b32 s17, exec_lo
	v_cmpx_gt_u32_e64 s5, v44
	s_cbranch_execz .LBB1635_331
.LBB1635_383:                           ;   in Loop: Header=BB1635_326 Depth=2
	v_add_co_u32 v20, s18, s15, v0
	s_waitcnt vmcnt(0)
	v_add_co_ci_u32_e64 v21, null, s16, 0, s18
	global_load_ubyte v20, v[20:21], off offset:256
	s_or_b32 exec_lo, exec_lo, s17
	s_mov_b32 s17, exec_lo
	v_cmpx_gt_u32_e64 s5, v47
	s_cbranch_execz .LBB1635_332
.LBB1635_384:                           ;   in Loop: Header=BB1635_326 Depth=2
	s_waitcnt vmcnt(0)
	v_add_co_u32 v21, s18, s15, v0
	v_add_co_ci_u32_e64 v22, null, s16, 0, s18
	global_load_ubyte v19, v[21:22], off offset:512
	s_or_b32 exec_lo, exec_lo, s17
	s_mov_b32 s17, exec_lo
	v_cmpx_gt_u32_e64 s5, v48
	s_cbranch_execz .LBB1635_333
.LBB1635_385:                           ;   in Loop: Header=BB1635_326 Depth=2
	s_waitcnt vmcnt(0)
	v_add_co_u32 v21, s18, s15, v0
	v_add_co_ci_u32_e64 v22, null, s16, 0, s18
	global_load_ubyte v18, v[21:22], off offset:768
	s_or_b32 exec_lo, exec_lo, s17
	s_mov_b32 s17, exec_lo
	v_cmpx_gt_u32_e64 s5, v49
	s_cbranch_execz .LBB1635_334
.LBB1635_386:                           ;   in Loop: Header=BB1635_326 Depth=2
	s_waitcnt vmcnt(0)
	v_add_co_u32 v21, s18, s15, v0
	v_add_co_ci_u32_e64 v22, null, s16, 0, s18
	global_load_ubyte v16, v[21:22], off offset:1024
	s_or_b32 exec_lo, exec_lo, s17
	s_mov_b32 s17, exec_lo
	v_cmpx_gt_u32_e64 s5, v50
	s_cbranch_execz .LBB1635_335
.LBB1635_387:                           ;   in Loop: Header=BB1635_326 Depth=2
	s_waitcnt vmcnt(0)
	v_add_co_u32 v21, s18, s15, v0
	v_add_co_ci_u32_e64 v22, null, s16, 0, s18
	global_load_ubyte v15, v[21:22], off offset:1280
	s_or_b32 exec_lo, exec_lo, s17
	s_mov_b32 s17, exec_lo
	v_cmpx_gt_u32_e64 s5, v51
	s_cbranch_execz .LBB1635_336
.LBB1635_388:                           ;   in Loop: Header=BB1635_326 Depth=2
	s_waitcnt vmcnt(0)
	v_add_co_u32 v21, s18, s15, v0
	v_add_co_ci_u32_e64 v22, null, s16, 0, s18
	global_load_ubyte v14, v[21:22], off offset:1536
	s_or_b32 exec_lo, exec_lo, s17
	s_mov_b32 s17, exec_lo
	v_cmpx_gt_u32_e64 s5, v52
	s_cbranch_execz .LBB1635_337
.LBB1635_389:                           ;   in Loop: Header=BB1635_326 Depth=2
	s_waitcnt vmcnt(0)
	v_add_co_u32 v21, s18, s15, v0
	v_add_co_ci_u32_e64 v22, null, s16, 0, s18
	global_load_ubyte v13, v[21:22], off offset:1792
	s_or_b32 exec_lo, exec_lo, s17
	s_mov_b32 s17, exec_lo
	v_cmpx_gt_u32_e64 s5, v53
	s_cbranch_execz .LBB1635_338
.LBB1635_390:                           ;   in Loop: Header=BB1635_326 Depth=2
	s_waitcnt vmcnt(0)
	v_add_co_u32 v21, s18, s15, v53
	v_add_co_ci_u32_e64 v22, null, s16, 0, s18
	global_load_ubyte v12, v[21:22], off
	s_or_b32 exec_lo, exec_lo, s17
	s_mov_b32 s17, exec_lo
	v_cmpx_gt_u32_e64 s5, v54
	s_cbranch_execz .LBB1635_339
.LBB1635_391:                           ;   in Loop: Header=BB1635_326 Depth=2
	s_waitcnt vmcnt(0)
	v_add_co_u32 v21, s18, s15, v54
	v_add_co_ci_u32_e64 v22, null, s16, 0, s18
	global_load_ubyte v11, v[21:22], off
	s_or_b32 exec_lo, exec_lo, s17
	s_mov_b32 s17, exec_lo
	v_cmpx_gt_u32_e64 s5, v55
	s_cbranch_execz .LBB1635_340
.LBB1635_392:                           ;   in Loop: Header=BB1635_326 Depth=2
	s_waitcnt vmcnt(0)
	v_add_co_u32 v21, s18, s15, v55
	v_add_co_ci_u32_e64 v22, null, s16, 0, s18
	global_load_ubyte v10, v[21:22], off
	s_or_b32 exec_lo, exec_lo, s17
	s_mov_b32 s17, exec_lo
	v_cmpx_gt_u32_e64 s5, v56
	s_cbranch_execz .LBB1635_341
.LBB1635_393:                           ;   in Loop: Header=BB1635_326 Depth=2
	s_waitcnt vmcnt(0)
	v_add_co_u32 v21, s18, s15, v56
	v_add_co_ci_u32_e64 v22, null, s16, 0, s18
	global_load_ubyte v9, v[21:22], off
	s_or_b32 exec_lo, exec_lo, s17
	s_mov_b32 s17, exec_lo
	v_cmpx_gt_u32_e64 s5, v57
	s_cbranch_execz .LBB1635_342
.LBB1635_394:                           ;   in Loop: Header=BB1635_326 Depth=2
	s_waitcnt vmcnt(0)
	v_add_co_u32 v21, s18, s15, v57
	v_add_co_ci_u32_e64 v22, null, s16, 0, s18
	global_load_ubyte v8, v[21:22], off
	s_or_b32 exec_lo, exec_lo, s17
	s_mov_b32 s17, exec_lo
	v_cmpx_gt_u32_e64 s5, v58
	s_cbranch_execz .LBB1635_343
.LBB1635_395:                           ;   in Loop: Header=BB1635_326 Depth=2
	s_waitcnt vmcnt(0)
	v_add_co_u32 v21, s18, s15, v58
	v_add_co_ci_u32_e64 v22, null, s16, 0, s18
	global_load_ubyte v7, v[21:22], off
	s_or_b32 exec_lo, exec_lo, s17
	s_mov_b32 s17, exec_lo
	v_cmpx_gt_u32_e64 s5, v59
	s_cbranch_execz .LBB1635_344
.LBB1635_396:                           ;   in Loop: Header=BB1635_326 Depth=2
	s_waitcnt vmcnt(0)
	v_add_co_u32 v21, s18, s15, v59
	v_add_co_ci_u32_e64 v22, null, s16, 0, s18
	global_load_ubyte v6, v[21:22], off
	s_or_b32 exec_lo, exec_lo, s17
	s_mov_b32 s17, exec_lo
	v_cmpx_gt_u32_e64 s5, v60
	s_cbranch_execz .LBB1635_345
.LBB1635_397:                           ;   in Loop: Header=BB1635_326 Depth=2
	s_waitcnt vmcnt(0)
	v_add_co_u32 v21, s18, s15, v60
	v_add_co_ci_u32_e64 v22, null, s16, 0, s18
	global_load_ubyte v5, v[21:22], off
	s_or_b32 exec_lo, exec_lo, s17
	s_mov_b32 s17, exec_lo
	v_cmpx_gt_u32_e64 s5, v61
	s_cbranch_execnz .LBB1635_346
	s_branch .LBB1635_347
.LBB1635_398:                           ;   in Loop: Header=BB1635_12 Depth=1
	v_mov_b32_e32 v3, 0
	s_waitcnt lgkmcnt(0)
	s_barrier
	buffer_gl0_inv
	s_and_saveexec_b32 s5, s7
	s_cbranch_execz .LBB1635_400
; %bb.399:                              ;   in Loop: Header=BB1635_12 Depth=1
	ds_read2_b64 v[5:8], v64 offset1:1
	s_waitcnt lgkmcnt(0)
	v_add_nc_u32_e32 v3, v6, v5
	v_add3_u32 v3, v3, v7, v8
.LBB1635_400:                           ;   in Loop: Header=BB1635_12 Depth=1
	s_or_b32 exec_lo, exec_lo, s5
	v_and_b32_e32 v5, 15, v86
	v_mov_b32_dpp v6, v3 row_shr:1 row_mask:0xf bank_mask:0xf
	v_and_b32_e32 v7, 16, v86
	v_cmp_eq_u32_e64 s5, 0, v5
	v_cmp_lt_u32_e64 s14, 1, v5
	v_cmp_lt_u32_e64 s15, 3, v5
	v_cmp_lt_u32_e64 s16, 7, v5
	v_cmp_eq_u32_e64 s17, 0, v7
	v_cndmask_b32_e64 v6, v6, 0, s5
	v_add_nc_u32_e32 v3, v6, v3
	v_mov_b32_dpp v6, v3 row_shr:2 row_mask:0xf bank_mask:0xf
	v_cndmask_b32_e64 v6, 0, v6, s14
	v_add_nc_u32_e32 v3, v3, v6
	v_mov_b32_dpp v6, v3 row_shr:4 row_mask:0xf bank_mask:0xf
	;; [unrolled: 3-line block ×3, first 2 shown]
	v_cndmask_b32_e64 v5, 0, v6, s16
	v_bfe_i32 v6, v86, 4, 1
	v_add_nc_u32_e32 v3, v3, v5
	ds_swizzle_b32 v5, v3 offset:swizzle(BROADCAST,32,15)
	s_waitcnt lgkmcnt(0)
	v_and_b32_e32 v5, v6, v5
	v_add_nc_u32_e32 v3, v3, v5
	s_and_saveexec_b32 s18, s8
; %bb.401:                              ;   in Loop: Header=BB1635_12 Depth=1
	ds_write_b32 v65, v3
; %bb.402:                              ;   in Loop: Header=BB1635_12 Depth=1
	s_or_b32 exec_lo, exec_lo, s18
	s_waitcnt lgkmcnt(0)
	s_barrier
	buffer_gl0_inv
	s_and_saveexec_b32 s18, s9
	s_cbranch_execz .LBB1635_404
; %bb.403:                              ;   in Loop: Header=BB1635_12 Depth=1
	ds_read_b32 v5, v66
	v_and_b32_e32 v6, 3, v86
	v_cmp_ne_u32_e32 vcc_lo, 0, v6
	s_waitcnt lgkmcnt(0)
	v_mov_b32_dpp v7, v5 row_shr:1 row_mask:0xf bank_mask:0xf
	v_cndmask_b32_e32 v7, 0, v7, vcc_lo
	v_cmp_lt_u32_e32 vcc_lo, 1, v6
	v_add_nc_u32_e32 v5, v7, v5
	v_mov_b32_dpp v7, v5 row_shr:2 row_mask:0xf bank_mask:0xf
	v_cndmask_b32_e32 v6, 0, v7, vcc_lo
	v_add_nc_u32_e32 v5, v5, v6
	ds_write_b32 v66, v5
.LBB1635_404:                           ;   in Loop: Header=BB1635_12 Depth=1
	s_or_b32 exec_lo, exec_lo, s18
	v_mov_b32_e32 v5, 0
	s_waitcnt lgkmcnt(0)
	s_barrier
	buffer_gl0_inv
	s_and_saveexec_b32 s18, s10
; %bb.405:                              ;   in Loop: Header=BB1635_12 Depth=1
	ds_read_b32 v5, v67
; %bb.406:                              ;   in Loop: Header=BB1635_12 Depth=1
	s_or_b32 exec_lo, exec_lo, s18
	v_sub_co_u32 v6, s18, v86, 1
	s_waitcnt lgkmcnt(0)
	v_add_nc_u32_e32 v3, v5, v3
	s_barrier
	v_cmp_gt_i32_e32 vcc_lo, 0, v6
	buffer_gl0_inv
	v_cndmask_b32_e32 v6, v6, v86, vcc_lo
	v_lshlrev_b32_e32 v92, 2, v6
	ds_bpermute_b32 v3, v92, v3
	s_and_saveexec_b32 s19, s7
	s_cbranch_execz .LBB1635_408
; %bb.407:                              ;   in Loop: Header=BB1635_12 Depth=1
	s_waitcnt lgkmcnt(0)
	v_cndmask_b32_e64 v3, v3, v5, s18
	v_add_nc_u32_e32 v3, s58, v3
	ds_write_b32 v43, v3
.LBB1635_408:                           ;   in Loop: Header=BB1635_12 Depth=1
	s_or_b32 exec_lo, exec_lo, s19
	s_load_dwordx2 s[20:21], s[56:57], 0x0
	v_and_b32_e32 v6, 7, v86
	v_lshlrev_b32_e32 v7, 3, v86
	v_or_b32_e32 v93, v86, v68
	s_mov_b32 s63, s60
	s_mov_b32 s50, s58
                                        ; implicit-def: $vgpr9_vgpr10
                                        ; implicit-def: $vgpr11_vgpr12
                                        ; implicit-def: $vgpr13_vgpr14
                                        ; implicit-def: $vgpr15_vgpr16
                                        ; implicit-def: $vgpr19_vgpr20
                                        ; implicit-def: $vgpr23_vgpr24
                                        ; implicit-def: $vgpr27_vgpr28
                                        ; implicit-def: $vgpr17_vgpr18
                                        ; implicit-def: $vgpr21_vgpr22
                                        ; implicit-def: $vgpr25_vgpr26
                                        ; implicit-def: $vgpr29_vgpr30
                                        ; implicit-def: $vgpr31_vgpr32
                                        ; implicit-def: $vgpr33_vgpr34
                                        ; implicit-def: $vgpr35_vgpr36
                                        ; implicit-def: $vgpr37_vgpr38
                                        ; implicit-def: $vgpr115
                                        ; implicit-def: $vgpr116
                                        ; implicit-def: $vgpr117
                                        ; implicit-def: $vgpr118
                                        ; implicit-def: $vgpr119
                                        ; implicit-def: $vgpr120
                                        ; implicit-def: $vgpr121
                                        ; implicit-def: $vgpr122
                                        ; implicit-def: $vgpr123
                                        ; implicit-def: $vgpr124
                                        ; implicit-def: $vgpr125
                                        ; implicit-def: $vgpr126
                                        ; implicit-def: $vgpr127
                                        ; implicit-def: $vgpr128
                                        ; implicit-def: $vgpr129
                                        ; implicit-def: $vgpr130
                                        ; implicit-def: $vgpr131
                                        ; implicit-def: $vgpr132
                                        ; implicit-def: $vgpr133
	v_add_co_u32 v94, vcc_lo, v78, v7
	v_add_co_ci_u32_e64 v95, null, 0, v79, vcc_lo
	v_add_co_u32 v112, vcc_lo, v80, v86
	v_add_nc_u32_e32 v96, 32, v93
	v_add_nc_u32_e32 v97, 64, v93
	;; [unrolled: 1-line block ×7, first 2 shown]
	s_waitcnt lgkmcnt(0)
	s_cmp_lt_u32 s28, s21
	v_add_nc_u32_e32 v103, 0x100, v93
	s_cselect_b32 s19, 14, 20
	v_add_nc_u32_e32 v104, 0x120, v93
	s_add_u32 s22, s56, s19
	s_addc_u32 s23, s57, 0
	s_cmp_lt_u32 s6, s20
	global_load_ushort v3, v4, s[22:23]
	s_cselect_b32 s19, 12, 18
	v_add_nc_u32_e32 v105, 0x140, v93
	s_add_u32 s20, s56, s19
	s_addc_u32 s21, s57, 0
	v_cmp_eq_u32_e64 s19, 0, v6
	global_load_ushort v5, v4, s[20:21]
	v_cmp_lt_u32_e64 s20, 1, v6
	v_cmp_lt_u32_e64 s21, 3, v6
	v_add_nc_u32_e32 v106, 0x160, v93
	v_add_nc_u32_e32 v107, 0x180, v93
	;; [unrolled: 1-line block ×6, first 2 shown]
	v_add_co_ci_u32_e64 v113, null, 0, v81, vcc_lo
                                        ; implicit-def: $vgpr7_vgpr8
	s_waitcnt vmcnt(1)
	v_mad_u32_u24 v3, v2, v3, v1
	s_waitcnt vmcnt(0)
	v_mad_u64_u32 v[5:6], null, v3, v5, v[0:1]
	v_lshrrev_b32_e32 v3, 3, v5
                                        ; implicit-def: $vgpr5_vgpr6
	v_and_b32_e32 v114, 0x1ffffffc, v3
	s_branch .LBB1635_410
.LBB1635_409:                           ;   in Loop: Header=BB1635_410 Depth=2
	s_or_b32 exec_lo, exec_lo, s22
	s_addk_i32 s63, 0xef00
	s_cmp_lt_u32 s64, s59
	s_mov_b32 s50, s64
	s_cbranch_scc0 .LBB1635_632
.LBB1635_410:                           ;   Parent Loop BB1635_12 Depth=1
                                        ; =>  This Inner Loop Header: Depth=2
	s_add_i32 s64, s50, 0x1100
	s_cmp_gt_u32 s64, s59
	s_cbranch_scc1 .LBB1635_412
; %bb.411:                              ;   in Loop: Header=BB1635_410 Depth=2
	v_add_co_u32 v39, vcc_lo, v112, s50
	v_add_co_ci_u32_e64 v40, null, 0, v113, vcc_lo
	s_mov_b32 s22, -1
	s_clause 0xf
	global_load_ubyte v134, v[39:40], off
	global_load_ubyte v135, v[39:40], off offset:32
	global_load_ubyte v136, v[39:40], off offset:64
	;; [unrolled: 1-line block ×15, first 2 shown]
	s_movk_i32 s23, 0x1100
	s_cbranch_execz .LBB1635_413
	s_branch .LBB1635_446
.LBB1635_412:                           ;   in Loop: Header=BB1635_410 Depth=2
	s_mov_b32 s22, 0
                                        ; implicit-def: $vgpr134
                                        ; implicit-def: $vgpr135
                                        ; implicit-def: $vgpr136
                                        ; implicit-def: $vgpr137
                                        ; implicit-def: $vgpr138
                                        ; implicit-def: $vgpr139
                                        ; implicit-def: $vgpr140
                                        ; implicit-def: $vgpr141
                                        ; implicit-def: $vgpr142
                                        ; implicit-def: $vgpr143
                                        ; implicit-def: $vgpr144
                                        ; implicit-def: $vgpr145
                                        ; implicit-def: $vgpr146
                                        ; implicit-def: $vgpr147
                                        ; implicit-def: $vgpr148
                                        ; implicit-def: $vgpr149
	s_movk_i32 s23, 0x1100
.LBB1635_413:                           ;   in Loop: Header=BB1635_410 Depth=2
	v_add_co_u32 v39, vcc_lo, v112, s50
	v_add_co_ci_u32_e64 v40, null, 0, v113, vcc_lo
	s_waitcnt vmcnt(14)
	v_mov_b32_e32 v135, 1
	v_mov_b32_e32 v134, 1
	s_mov_b32 s22, exec_lo
	v_cmpx_gt_u32_e64 s63, v93
	s_cbranch_execz .LBB1635_415
; %bb.414:                              ;   in Loop: Header=BB1635_410 Depth=2
	global_load_ubyte v134, v[39:40], off
.LBB1635_415:                           ;   in Loop: Header=BB1635_410 Depth=2
	s_or_b32 exec_lo, exec_lo, s22
	s_mov_b32 s22, exec_lo
	v_cmpx_gt_u32_e64 s63, v96
	s_cbranch_execz .LBB1635_417
; %bb.416:                              ;   in Loop: Header=BB1635_410 Depth=2
	global_load_ubyte v135, v[39:40], off offset:32
.LBB1635_417:                           ;   in Loop: Header=BB1635_410 Depth=2
	s_or_b32 exec_lo, exec_lo, s22
	s_waitcnt vmcnt(12)
	v_mov_b32_e32 v137, 1
	v_mov_b32_e32 v136, 1
	s_mov_b32 s22, exec_lo
	v_cmpx_gt_u32_e64 s63, v97
	s_cbranch_execz .LBB1635_419
; %bb.418:                              ;   in Loop: Header=BB1635_410 Depth=2
	global_load_ubyte v136, v[39:40], off offset:64
.LBB1635_419:                           ;   in Loop: Header=BB1635_410 Depth=2
	s_or_b32 exec_lo, exec_lo, s22
	s_mov_b32 s22, exec_lo
	v_cmpx_gt_u32_e64 s63, v98
	s_cbranch_execz .LBB1635_421
; %bb.420:                              ;   in Loop: Header=BB1635_410 Depth=2
	global_load_ubyte v137, v[39:40], off offset:96
.LBB1635_421:                           ;   in Loop: Header=BB1635_410 Depth=2
	s_or_b32 exec_lo, exec_lo, s22
	s_waitcnt vmcnt(10)
	v_mov_b32_e32 v139, 1
	v_mov_b32_e32 v138, 1
	s_mov_b32 s22, exec_lo
	v_cmpx_gt_u32_e64 s63, v99
	s_cbranch_execz .LBB1635_423
; %bb.422:                              ;   in Loop: Header=BB1635_410 Depth=2
	global_load_ubyte v138, v[39:40], off offset:128
.LBB1635_423:                           ;   in Loop: Header=BB1635_410 Depth=2
	;; [unrolled: 17-line block ×7, first 2 shown]
	s_or_b32 exec_lo, exec_lo, s22
	s_mov_b32 s22, exec_lo
	v_cmpx_gt_u32_e64 s63, v110
	s_cbranch_execz .LBB1635_445
; %bb.444:                              ;   in Loop: Header=BB1635_410 Depth=2
	global_load_ubyte v149, v[39:40], off offset:480
.LBB1635_445:                           ;   in Loop: Header=BB1635_410 Depth=2
	s_or_b32 exec_lo, exec_lo, s22
	v_cmp_gt_u32_e64 s22, s63, v111
	s_sub_i32 s23, s59, s50
.LBB1635_446:                           ;   in Loop: Header=BB1635_410 Depth=2
	v_mov_b32_e32 v150, 1
	v_mov_b32_e32 v3, s63
	s_and_saveexec_b32 s24, s22
	s_cbranch_execz .LBB1635_448
; %bb.447:                              ;   in Loop: Header=BB1635_410 Depth=2
	v_add_co_u32 v39, vcc_lo, v112, s50
	v_add_co_ci_u32_e64 v40, null, s51, v113, vcc_lo
	v_mov_b32_e32 v3, s23
	global_load_ubyte v150, v[39:40], off offset:512
.LBB1635_448:                           ;   in Loop: Header=BB1635_410 Depth=2
	s_or_b32 exec_lo, exec_lo, s24
	s_waitcnt vmcnt(15)
	v_lshrrev_b32_sdwa v39, s61, v134 dst_sel:DWORD dst_unused:UNUSED_PAD src0_sel:DWORD src1_sel:BYTE_0
	ds_write2_b32 v69, v4, v4 offset0:136 offset1:137
	ds_write2_b32 v69, v4, v4 offset0:138 offset1:139
	ds_write_b32 v69, v4 offset:560
	s_waitcnt vmcnt(0) lgkmcnt(0)
	s_barrier
	v_and_b32_e32 v40, s62, v39
	buffer_gl0_inv
	; wave barrier
	v_add_co_u32 v39, s22, v40, -1
	v_cndmask_b32_e64 v41, 0, 1, s22
	v_mul_u32_u24_e32 v40, 36, v40
	v_cmp_ne_u32_e32 vcc_lo, 0, v41
	v_add_nc_u32_e32 v154, v114, v40
	v_xor_b32_e32 v39, vcc_lo, v39
	v_and_b32_e32 v39, exec_lo, v39
	v_mbcnt_lo_u32_b32 v151, v39, 0
	v_cmp_ne_u32_e64 s22, 0, v39
	v_cmp_eq_u32_e32 vcc_lo, 0, v151
	s_and_b32 s23, s22, vcc_lo
	s_and_saveexec_b32 s22, s23
; %bb.449:                              ;   in Loop: Header=BB1635_410 Depth=2
	v_bcnt_u32_b32 v39, v39, 0
	ds_write_b32 v154, v39 offset:544
; %bb.450:                              ;   in Loop: Header=BB1635_410 Depth=2
	s_or_b32 exec_lo, exec_lo, s22
	v_lshrrev_b32_sdwa v39, s61, v135 dst_sel:DWORD dst_unused:UNUSED_PAD src0_sel:DWORD src1_sel:BYTE_0
	; wave barrier
	v_and_b32_e32 v40, s62, v39
	v_add_co_u32 v39, s22, v40, -1
	v_cndmask_b32_e64 v41, 0, 1, s22
	v_cmp_ne_u32_e32 vcc_lo, 0, v41
	v_mad_u32_u24 v41, v40, 36, v114
	v_mul_u32_u24_e32 v40, 36, v40
	v_xor_b32_e32 v39, vcc_lo, v39
	ds_read_b32 v152, v41 offset:544
	v_add_nc_u32_e32 v157, v114, v40
	; wave barrier
	v_and_b32_e32 v39, exec_lo, v39
	v_mbcnt_lo_u32_b32 v153, v39, 0
	v_cmp_ne_u32_e64 s22, 0, v39
	v_cmp_eq_u32_e32 vcc_lo, 0, v153
	s_and_b32 s23, s22, vcc_lo
	s_and_saveexec_b32 s22, s23
	s_cbranch_execz .LBB1635_452
; %bb.451:                              ;   in Loop: Header=BB1635_410 Depth=2
	s_waitcnt lgkmcnt(0)
	v_bcnt_u32_b32 v39, v39, v152
	ds_write_b32 v157, v39 offset:544
.LBB1635_452:                           ;   in Loop: Header=BB1635_410 Depth=2
	s_or_b32 exec_lo, exec_lo, s22
	v_lshrrev_b32_sdwa v39, s61, v136 dst_sel:DWORD dst_unused:UNUSED_PAD src0_sel:DWORD src1_sel:BYTE_0
	; wave barrier
	v_and_b32_e32 v40, s62, v39
	v_add_co_u32 v39, s22, v40, -1
	v_cndmask_b32_e64 v41, 0, 1, s22
	v_cmp_ne_u32_e32 vcc_lo, 0, v41
	v_mad_u32_u24 v41, v40, 36, v114
	v_mul_u32_u24_e32 v40, 36, v40
	v_xor_b32_e32 v39, vcc_lo, v39
	ds_read_b32 v155, v41 offset:544
	v_add_nc_u32_e32 v160, v114, v40
	; wave barrier
	v_and_b32_e32 v39, exec_lo, v39
	v_mbcnt_lo_u32_b32 v156, v39, 0
	v_cmp_ne_u32_e64 s22, 0, v39
	v_cmp_eq_u32_e32 vcc_lo, 0, v156
	s_and_b32 s23, s22, vcc_lo
	s_and_saveexec_b32 s22, s23
	s_cbranch_execz .LBB1635_454
; %bb.453:                              ;   in Loop: Header=BB1635_410 Depth=2
	s_waitcnt lgkmcnt(0)
	v_bcnt_u32_b32 v39, v39, v155
	ds_write_b32 v160, v39 offset:544
.LBB1635_454:                           ;   in Loop: Header=BB1635_410 Depth=2
	;; [unrolled: 25-line block ×16, first 2 shown]
	s_or_b32 exec_lo, exec_lo, s22
	; wave barrier
	s_waitcnt lgkmcnt(0)
	s_barrier
	buffer_gl0_inv
	ds_read2_b32 v[41:42], v69 offset0:136 offset1:137
	ds_read2_b32 v[39:40], v69 offset0:138 offset1:139
	ds_read_b32 v201, v69 offset:560
	s_waitcnt lgkmcnt(1)
	v_add3_u32 v202, v42, v41, v39
	s_waitcnt lgkmcnt(0)
	v_add3_u32 v201, v202, v40, v201
	v_mov_b32_dpp v202, v201 row_shr:1 row_mask:0xf bank_mask:0xf
	v_cndmask_b32_e64 v202, v202, 0, s5
	v_add_nc_u32_e32 v201, v202, v201
	v_mov_b32_dpp v202, v201 row_shr:2 row_mask:0xf bank_mask:0xf
	v_cndmask_b32_e64 v202, 0, v202, s14
	v_add_nc_u32_e32 v201, v201, v202
	;; [unrolled: 3-line block ×4, first 2 shown]
	ds_swizzle_b32 v202, v201 offset:swizzle(BROADCAST,32,15)
	s_waitcnt lgkmcnt(0)
	v_cndmask_b32_e64 v202, v202, 0, s17
	v_add_nc_u32_e32 v201, v201, v202
	s_and_saveexec_b32 s22, s4
; %bb.483:                              ;   in Loop: Header=BB1635_410 Depth=2
	ds_write_b32 v62, v201 offset:512
; %bb.484:                              ;   in Loop: Header=BB1635_410 Depth=2
	s_or_b32 exec_lo, exec_lo, s22
	s_waitcnt lgkmcnt(0)
	s_barrier
	buffer_gl0_inv
	s_and_saveexec_b32 s22, s11
	s_cbranch_execz .LBB1635_486
; %bb.485:                              ;   in Loop: Header=BB1635_410 Depth=2
	ds_read_b32 v202, v70 offset:512
	s_waitcnt lgkmcnt(0)
	v_mov_b32_dpp v203, v202 row_shr:1 row_mask:0xf bank_mask:0xf
	v_cndmask_b32_e64 v203, v203, 0, s19
	v_add_nc_u32_e32 v202, v203, v202
	v_mov_b32_dpp v203, v202 row_shr:2 row_mask:0xf bank_mask:0xf
	v_cndmask_b32_e64 v203, 0, v203, s20
	v_add_nc_u32_e32 v202, v202, v203
	;; [unrolled: 3-line block ×3, first 2 shown]
	ds_write_b32 v70, v202 offset:512
.LBB1635_486:                           ;   in Loop: Header=BB1635_410 Depth=2
	s_or_b32 exec_lo, exec_lo, s22
	v_mov_b32_e32 v202, 0
	s_waitcnt lgkmcnt(0)
	s_barrier
	buffer_gl0_inv
	s_and_saveexec_b32 s22, s10
; %bb.487:                              ;   in Loop: Header=BB1635_410 Depth=2
	ds_read_b32 v202, v62 offset:508
; %bb.488:                              ;   in Loop: Header=BB1635_410 Depth=2
	s_or_b32 exec_lo, exec_lo, s22
	s_waitcnt lgkmcnt(0)
	v_add_nc_u32_e32 v201, v202, v201
	ds_bpermute_b32 v201, v92, v201
	s_waitcnt lgkmcnt(0)
	v_cndmask_b32_e64 v201, v201, v202, s18
	v_cndmask_b32_e64 v201, v201, 0, s12
	v_add_nc_u32_e32 v41, v201, v41
	v_add_nc_u32_e32 v42, v41, v42
	;; [unrolled: 1-line block ×4, first 2 shown]
	ds_write2_b32 v69, v201, v41 offset0:136 offset1:137
	ds_write2_b32 v69, v42, v39 offset0:138 offset1:139
	ds_write_b32 v69, v40 offset:560
	s_waitcnt lgkmcnt(0)
	s_barrier
	buffer_gl0_inv
	ds_read_b32 v39, v154 offset:544
	ds_read_b32 v40, v157 offset:544
	;; [unrolled: 1-line block ×17, first 2 shown]
	s_and_saveexec_b32 s22, s7
	s_cbranch_execz .LBB1635_492
; %bb.489:                              ;   in Loop: Header=BB1635_410 Depth=2
	v_add_nc_u32_e32 v132, v70, v72
	v_mov_b32_e32 v133, 0x1100
	ds_read_b32 v132, v132 offset:544
	s_and_saveexec_b32 s23, s13
; %bb.490:                              ;   in Loop: Header=BB1635_410 Depth=2
	ds_read_b32 v133, v71 offset:544
; %bb.491:                              ;   in Loop: Header=BB1635_410 Depth=2
	s_or_b32 exec_lo, exec_lo, s23
	s_waitcnt lgkmcnt(0)
	v_sub_nc_u32_e32 v133, v133, v132
.LBB1635_492:                           ;   in Loop: Header=BB1635_410 Depth=2
	s_or_b32 exec_lo, exec_lo, s22
	s_waitcnt lgkmcnt(0)
	s_barrier
	buffer_gl0_inv
	s_and_saveexec_b32 s22, s7
	s_cbranch_execz .LBB1635_494
; %bb.493:                              ;   in Loop: Header=BB1635_410 Depth=2
	ds_read_b32 v160, v43
	s_waitcnt lgkmcnt(0)
	v_sub_nc_u32_e32 v160, v160, v132
	ds_write_b32 v43, v160
.LBB1635_494:                           ;   in Loop: Header=BB1635_410 Depth=2
	s_or_b32 exec_lo, exec_lo, s22
	v_add_nc_u32_e32 v165, v39, v151
	v_add3_u32 v164, v153, v152, v40
	v_add3_u32 v163, v156, v155, v41
	;; [unrolled: 1-line block ×16, first 2 shown]
	v_cmp_lt_u32_e64 s39, v0, v3
	ds_write_b8 v165, v134 offset:512
	ds_write_b8 v164, v135 offset:512
	ds_write_b8 v163, v136 offset:512
	ds_write_b8 v162, v137 offset:512
	ds_write_b8 v161, v138 offset:512
	ds_write_b8 v160, v139 offset:512
	ds_write_b8 v159, v140 offset:512
	ds_write_b8 v158, v141 offset:512
	ds_write_b8 v157, v142 offset:512
	ds_write_b8 v156, v143 offset:512
	ds_write_b8 v155, v144 offset:512
	ds_write_b8 v154, v145 offset:512
	ds_write_b8 v153, v146 offset:512
	ds_write_b8 v152, v147 offset:512
	ds_write_b8 v151, v148 offset:512
	ds_write_b8 v42, v149 offset:512
	ds_write_b8 v41, v150 offset:512
	s_waitcnt lgkmcnt(0)
	s_barrier
	buffer_gl0_inv
	s_and_saveexec_b32 s22, s39
	s_cbranch_execnz .LBB1635_567
; %bb.495:                              ;   in Loop: Header=BB1635_410 Depth=2
	s_or_b32 exec_lo, exec_lo, s22
	v_cmp_lt_u32_e64 s38, v44, v3
	s_and_saveexec_b32 s22, s38
	s_cbranch_execnz .LBB1635_568
.LBB1635_496:                           ;   in Loop: Header=BB1635_410 Depth=2
	s_or_b32 exec_lo, exec_lo, s22
	v_cmp_lt_u32_e64 s37, v47, v3
	s_and_saveexec_b32 s22, s37
	s_cbranch_execnz .LBB1635_569
.LBB1635_497:                           ;   in Loop: Header=BB1635_410 Depth=2
	s_or_b32 exec_lo, exec_lo, s22
	v_cmp_lt_u32_e64 s36, v48, v3
	s_and_saveexec_b32 s22, s36
	s_cbranch_execnz .LBB1635_570
.LBB1635_498:                           ;   in Loop: Header=BB1635_410 Depth=2
	s_or_b32 exec_lo, exec_lo, s22
	v_cmp_lt_u32_e64 s35, v49, v3
	s_and_saveexec_b32 s22, s35
	s_cbranch_execnz .LBB1635_571
.LBB1635_499:                           ;   in Loop: Header=BB1635_410 Depth=2
	s_or_b32 exec_lo, exec_lo, s22
	v_cmp_lt_u32_e64 s34, v50, v3
	s_and_saveexec_b32 s22, s34
	s_cbranch_execnz .LBB1635_572
.LBB1635_500:                           ;   in Loop: Header=BB1635_410 Depth=2
	s_or_b32 exec_lo, exec_lo, s22
	v_cmp_lt_u32_e64 s33, v51, v3
	s_and_saveexec_b32 s22, s33
	s_cbranch_execnz .LBB1635_573
.LBB1635_501:                           ;   in Loop: Header=BB1635_410 Depth=2
	s_or_b32 exec_lo, exec_lo, s22
	v_cmp_lt_u32_e64 s31, v52, v3
	s_and_saveexec_b32 s22, s31
	s_cbranch_execnz .LBB1635_574
.LBB1635_502:                           ;   in Loop: Header=BB1635_410 Depth=2
	s_or_b32 exec_lo, exec_lo, s22
	v_cmp_lt_u32_e64 s30, v53, v3
	s_and_saveexec_b32 s22, s30
	s_cbranch_execnz .LBB1635_575
.LBB1635_503:                           ;   in Loop: Header=BB1635_410 Depth=2
	s_or_b32 exec_lo, exec_lo, s22
	v_cmp_lt_u32_e64 s29, v54, v3
	s_and_saveexec_b32 s22, s29
	s_cbranch_execnz .LBB1635_576
.LBB1635_504:                           ;   in Loop: Header=BB1635_410 Depth=2
	s_or_b32 exec_lo, exec_lo, s22
	v_cmp_lt_u32_e64 s27, v55, v3
	s_and_saveexec_b32 s22, s27
	s_cbranch_execnz .LBB1635_577
.LBB1635_505:                           ;   in Loop: Header=BB1635_410 Depth=2
	s_or_b32 exec_lo, exec_lo, s22
	v_cmp_lt_u32_e64 s26, v56, v3
	s_and_saveexec_b32 s22, s26
	s_cbranch_execnz .LBB1635_578
.LBB1635_506:                           ;   in Loop: Header=BB1635_410 Depth=2
	s_or_b32 exec_lo, exec_lo, s22
	v_cmp_lt_u32_e64 s25, v57, v3
	s_and_saveexec_b32 s22, s25
	s_cbranch_execnz .LBB1635_579
.LBB1635_507:                           ;   in Loop: Header=BB1635_410 Depth=2
	s_or_b32 exec_lo, exec_lo, s22
	v_cmp_lt_u32_e64 s24, v58, v3
	s_and_saveexec_b32 s22, s24
	s_cbranch_execnz .LBB1635_580
.LBB1635_508:                           ;   in Loop: Header=BB1635_410 Depth=2
	s_or_b32 exec_lo, exec_lo, s22
	v_cmp_lt_u32_e64 s23, v59, v3
	s_and_saveexec_b32 s22, s23
	s_cbranch_execnz .LBB1635_581
.LBB1635_509:                           ;   in Loop: Header=BB1635_410 Depth=2
	s_or_b32 exec_lo, exec_lo, s22
	v_cmp_lt_u32_e64 s22, v60, v3
	s_and_saveexec_b32 s40, s22
	s_cbranch_execnz .LBB1635_582
.LBB1635_510:                           ;   in Loop: Header=BB1635_410 Depth=2
	s_or_b32 exec_lo, exec_lo, s40
	v_cmp_lt_u32_e32 vcc_lo, v61, v3
	s_and_saveexec_b32 s40, vcc_lo
	s_cbranch_execz .LBB1635_512
.LBB1635_511:                           ;   in Loop: Header=BB1635_410 Depth=2
	ds_read_u8 v39, v0 offset:4608
	s_waitcnt lgkmcnt(0)
	v_and_b32_e32 v40, 1, v39
	v_lshrrev_b32_e32 v40, s61, v40
	v_and_b32_e32 v40, s62, v40
	v_lshlrev_b32_e32 v40, 2, v40
	ds_read_b32 v40, v40
	s_waitcnt lgkmcnt(0)
	v_add_nc_u32_e32 v40, v40, v61
	global_store_byte v40, v39, s[48:49]
.LBB1635_512:                           ;   in Loop: Header=BB1635_410 Depth=2
	s_or_b32 exec_lo, exec_lo, s40
	s_lshl_b64 s[66:67], s[50:51], 3
	v_add_co_u32 v39, s40, v94, s66
	v_add_co_ci_u32_e64 v40, null, s67, v95, s40
	v_cmp_lt_u32_e64 s40, v93, v3
	s_and_saveexec_b32 s50, s40
	s_xor_b32 s40, exec_lo, s50
	s_cbranch_execnz .LBB1635_583
; %bb.513:                              ;   in Loop: Header=BB1635_410 Depth=2
	s_or_b32 exec_lo, exec_lo, s40
	s_mov_b32 s50, exec_lo
	v_cmpx_lt_u32_e64 v96, v3
	s_cbranch_execnz .LBB1635_584
.LBB1635_514:                           ;   in Loop: Header=BB1635_410 Depth=2
	s_or_b32 exec_lo, exec_lo, s50
	s_mov_b32 s50, exec_lo
	v_cmpx_lt_u32_e64 v97, v3
	s_cbranch_execnz .LBB1635_585
.LBB1635_515:                           ;   in Loop: Header=BB1635_410 Depth=2
	s_or_b32 exec_lo, exec_lo, s50
	s_mov_b32 s50, exec_lo
	v_cmpx_lt_u32_e64 v98, v3
	s_cbranch_execnz .LBB1635_586
.LBB1635_516:                           ;   in Loop: Header=BB1635_410 Depth=2
	s_or_b32 exec_lo, exec_lo, s50
	s_mov_b32 s50, exec_lo
	v_cmpx_lt_u32_e64 v99, v3
	s_cbranch_execnz .LBB1635_587
.LBB1635_517:                           ;   in Loop: Header=BB1635_410 Depth=2
	s_or_b32 exec_lo, exec_lo, s50
	s_mov_b32 s50, exec_lo
	v_cmpx_lt_u32_e64 v100, v3
	s_cbranch_execnz .LBB1635_588
.LBB1635_518:                           ;   in Loop: Header=BB1635_410 Depth=2
	s_or_b32 exec_lo, exec_lo, s50
	s_mov_b32 s50, exec_lo
	v_cmpx_lt_u32_e64 v101, v3
	s_cbranch_execnz .LBB1635_589
.LBB1635_519:                           ;   in Loop: Header=BB1635_410 Depth=2
	s_or_b32 exec_lo, exec_lo, s50
	s_mov_b32 s50, exec_lo
	v_cmpx_lt_u32_e64 v102, v3
	s_cbranch_execnz .LBB1635_590
.LBB1635_520:                           ;   in Loop: Header=BB1635_410 Depth=2
	s_or_b32 exec_lo, exec_lo, s50
	s_mov_b32 s50, exec_lo
	v_cmpx_lt_u32_e64 v103, v3
	s_cbranch_execnz .LBB1635_591
.LBB1635_521:                           ;   in Loop: Header=BB1635_410 Depth=2
	s_or_b32 exec_lo, exec_lo, s50
	s_mov_b32 s50, exec_lo
	v_cmpx_lt_u32_e64 v104, v3
	s_cbranch_execnz .LBB1635_592
.LBB1635_522:                           ;   in Loop: Header=BB1635_410 Depth=2
	s_or_b32 exec_lo, exec_lo, s50
	s_mov_b32 s50, exec_lo
	v_cmpx_lt_u32_e64 v105, v3
	s_cbranch_execnz .LBB1635_593
.LBB1635_523:                           ;   in Loop: Header=BB1635_410 Depth=2
	s_or_b32 exec_lo, exec_lo, s50
	s_mov_b32 s50, exec_lo
	v_cmpx_lt_u32_e64 v106, v3
	s_cbranch_execnz .LBB1635_594
.LBB1635_524:                           ;   in Loop: Header=BB1635_410 Depth=2
	s_or_b32 exec_lo, exec_lo, s50
	s_mov_b32 s50, exec_lo
	v_cmpx_lt_u32_e64 v107, v3
	s_cbranch_execnz .LBB1635_595
.LBB1635_525:                           ;   in Loop: Header=BB1635_410 Depth=2
	s_or_b32 exec_lo, exec_lo, s50
	s_mov_b32 s50, exec_lo
	v_cmpx_lt_u32_e64 v108, v3
	s_cbranch_execnz .LBB1635_596
.LBB1635_526:                           ;   in Loop: Header=BB1635_410 Depth=2
	s_or_b32 exec_lo, exec_lo, s50
	s_mov_b32 s50, exec_lo
	v_cmpx_lt_u32_e64 v109, v3
	s_cbranch_execnz .LBB1635_597
.LBB1635_527:                           ;   in Loop: Header=BB1635_410 Depth=2
	s_or_b32 exec_lo, exec_lo, s50
	s_mov_b32 s50, exec_lo
	v_cmpx_lt_u32_e64 v110, v3
	s_cbranch_execnz .LBB1635_598
.LBB1635_528:                           ;   in Loop: Header=BB1635_410 Depth=2
	s_or_b32 exec_lo, exec_lo, s50
	s_mov_b32 s50, exec_lo
	v_cmpx_lt_u32_e64 v111, v3
	s_cbranch_execnz .LBB1635_599
.LBB1635_529:                           ;   in Loop: Header=BB1635_410 Depth=2
	s_or_b32 exec_lo, exec_lo, s50
	s_and_saveexec_b32 s40, s39
	s_cbranch_execnz .LBB1635_600
.LBB1635_530:                           ;   in Loop: Header=BB1635_410 Depth=2
	s_or_b32 exec_lo, exec_lo, s40
	s_and_saveexec_b32 s40, s38
	s_cbranch_execnz .LBB1635_601
.LBB1635_531:                           ;   in Loop: Header=BB1635_410 Depth=2
	s_or_b32 exec_lo, exec_lo, s40
	s_and_saveexec_b32 s40, s37
	s_cbranch_execnz .LBB1635_602
.LBB1635_532:                           ;   in Loop: Header=BB1635_410 Depth=2
	s_or_b32 exec_lo, exec_lo, s40
	s_and_saveexec_b32 s40, s36
	s_cbranch_execnz .LBB1635_603
.LBB1635_533:                           ;   in Loop: Header=BB1635_410 Depth=2
	s_or_b32 exec_lo, exec_lo, s40
	s_and_saveexec_b32 s40, s35
	s_cbranch_execnz .LBB1635_604
.LBB1635_534:                           ;   in Loop: Header=BB1635_410 Depth=2
	s_or_b32 exec_lo, exec_lo, s40
	s_and_saveexec_b32 s40, s34
	s_cbranch_execnz .LBB1635_605
.LBB1635_535:                           ;   in Loop: Header=BB1635_410 Depth=2
	s_or_b32 exec_lo, exec_lo, s40
	s_and_saveexec_b32 s40, s33
	s_cbranch_execnz .LBB1635_606
.LBB1635_536:                           ;   in Loop: Header=BB1635_410 Depth=2
	s_or_b32 exec_lo, exec_lo, s40
	s_and_saveexec_b32 s40, s31
	s_cbranch_execnz .LBB1635_607
.LBB1635_537:                           ;   in Loop: Header=BB1635_410 Depth=2
	s_or_b32 exec_lo, exec_lo, s40
	s_and_saveexec_b32 s40, s30
	s_cbranch_execnz .LBB1635_608
.LBB1635_538:                           ;   in Loop: Header=BB1635_410 Depth=2
	s_or_b32 exec_lo, exec_lo, s40
	s_and_saveexec_b32 s40, s29
	s_cbranch_execnz .LBB1635_609
.LBB1635_539:                           ;   in Loop: Header=BB1635_410 Depth=2
	s_or_b32 exec_lo, exec_lo, s40
	s_and_saveexec_b32 s40, s27
	s_cbranch_execnz .LBB1635_610
.LBB1635_540:                           ;   in Loop: Header=BB1635_410 Depth=2
	s_or_b32 exec_lo, exec_lo, s40
	s_and_saveexec_b32 s40, s26
	s_cbranch_execnz .LBB1635_611
.LBB1635_541:                           ;   in Loop: Header=BB1635_410 Depth=2
	s_or_b32 exec_lo, exec_lo, s40
	s_and_saveexec_b32 s40, s25
	s_cbranch_execnz .LBB1635_612
.LBB1635_542:                           ;   in Loop: Header=BB1635_410 Depth=2
	s_or_b32 exec_lo, exec_lo, s40
	s_and_saveexec_b32 s40, s24
	s_cbranch_execnz .LBB1635_613
.LBB1635_543:                           ;   in Loop: Header=BB1635_410 Depth=2
	s_or_b32 exec_lo, exec_lo, s40
	s_and_saveexec_b32 s40, s23
	s_cbranch_execnz .LBB1635_614
.LBB1635_544:                           ;   in Loop: Header=BB1635_410 Depth=2
	s_or_b32 exec_lo, exec_lo, s40
	s_and_saveexec_b32 s40, s22
	s_cbranch_execnz .LBB1635_615
.LBB1635_545:                           ;   in Loop: Header=BB1635_410 Depth=2
	s_or_b32 exec_lo, exec_lo, s40
	s_and_saveexec_b32 s40, vcc_lo
	s_cbranch_execz .LBB1635_547
.LBB1635_546:                           ;   in Loop: Header=BB1635_410 Depth=2
	ds_read_u8 v3, v0 offset:4608
	s_waitcnt lgkmcnt(0)
	v_lshrrev_b32_e32 v3, s61, v3
	v_and_b32_e32 v115, s62, v3
.LBB1635_547:                           ;   in Loop: Header=BB1635_410 Depth=2
	s_or_b32 exec_lo, exec_lo, s40
	v_lshlrev_b32_e32 v3, 3, v165
	v_lshlrev_b32_e32 v39, 3, v164
	s_waitcnt vmcnt(0)
	s_waitcnt_vscnt null, 0x0
	s_barrier
	buffer_gl0_inv
	ds_write_b64 v3, v[37:38] offset:512
	ds_write_b64 v39, v[35:36] offset:512
	v_lshlrev_b32_e32 v3, 3, v163
	v_lshlrev_b32_e32 v39, 3, v162
	v_lshlrev_b32_e32 v40, 3, v161
	v_lshlrev_b32_e32 v134, 3, v160
	v_lshlrev_b32_e32 v135, 3, v159
	ds_write_b64 v3, v[33:34] offset:512
	ds_write_b64 v39, v[31:32] offset:512
	ds_write_b64 v40, v[29:30] offset:512
	ds_write_b64 v134, v[25:26] offset:512
	ds_write_b64 v135, v[21:22] offset:512
	v_lshlrev_b32_e32 v3, 3, v158
	v_lshlrev_b32_e32 v39, 3, v157
	v_lshlrev_b32_e32 v40, 3, v156
	v_lshlrev_b32_e32 v134, 3, v155
	v_lshlrev_b32_e32 v135, 3, v154
	ds_write_b64 v3, v[17:18] offset:512
	ds_write_b64 v39, v[27:28] offset:512
	ds_write_b64 v40, v[23:24] offset:512
	;; [unrolled: 10-line block ×3, first 2 shown]
	ds_write_b64 v42, v[7:8] offset:512
	ds_write_b64 v41, v[5:6] offset:512
	s_waitcnt lgkmcnt(0)
	s_barrier
	buffer_gl0_inv
	s_and_saveexec_b32 s40, s39
	s_cbranch_execnz .LBB1635_616
; %bb.548:                              ;   in Loop: Header=BB1635_410 Depth=2
	s_or_b32 exec_lo, exec_lo, s40
	s_and_saveexec_b32 s39, s38
	s_cbranch_execnz .LBB1635_617
.LBB1635_549:                           ;   in Loop: Header=BB1635_410 Depth=2
	s_or_b32 exec_lo, exec_lo, s39
	s_and_saveexec_b32 s38, s37
	s_cbranch_execnz .LBB1635_618
.LBB1635_550:                           ;   in Loop: Header=BB1635_410 Depth=2
	s_or_b32 exec_lo, exec_lo, s38
	s_and_saveexec_b32 s37, s36
	s_cbranch_execnz .LBB1635_619
.LBB1635_551:                           ;   in Loop: Header=BB1635_410 Depth=2
	s_or_b32 exec_lo, exec_lo, s37
	s_and_saveexec_b32 s36, s35
	s_cbranch_execnz .LBB1635_620
.LBB1635_552:                           ;   in Loop: Header=BB1635_410 Depth=2
	s_or_b32 exec_lo, exec_lo, s36
	s_and_saveexec_b32 s35, s34
	s_cbranch_execnz .LBB1635_621
.LBB1635_553:                           ;   in Loop: Header=BB1635_410 Depth=2
	s_or_b32 exec_lo, exec_lo, s35
	s_and_saveexec_b32 s34, s33
	s_cbranch_execnz .LBB1635_622
.LBB1635_554:                           ;   in Loop: Header=BB1635_410 Depth=2
	s_or_b32 exec_lo, exec_lo, s34
	s_and_saveexec_b32 s33, s31
	s_cbranch_execnz .LBB1635_623
.LBB1635_555:                           ;   in Loop: Header=BB1635_410 Depth=2
	s_or_b32 exec_lo, exec_lo, s33
	s_and_saveexec_b32 s31, s30
	s_cbranch_execnz .LBB1635_624
.LBB1635_556:                           ;   in Loop: Header=BB1635_410 Depth=2
	s_or_b32 exec_lo, exec_lo, s31
	s_and_saveexec_b32 s30, s29
	s_cbranch_execnz .LBB1635_625
.LBB1635_557:                           ;   in Loop: Header=BB1635_410 Depth=2
	s_or_b32 exec_lo, exec_lo, s30
	s_and_saveexec_b32 s29, s27
	s_cbranch_execnz .LBB1635_626
.LBB1635_558:                           ;   in Loop: Header=BB1635_410 Depth=2
	s_or_b32 exec_lo, exec_lo, s29
	s_and_saveexec_b32 s27, s26
	s_cbranch_execnz .LBB1635_627
.LBB1635_559:                           ;   in Loop: Header=BB1635_410 Depth=2
	s_or_b32 exec_lo, exec_lo, s27
	s_and_saveexec_b32 s26, s25
	s_cbranch_execnz .LBB1635_628
.LBB1635_560:                           ;   in Loop: Header=BB1635_410 Depth=2
	s_or_b32 exec_lo, exec_lo, s26
	s_and_saveexec_b32 s25, s24
	s_cbranch_execnz .LBB1635_629
.LBB1635_561:                           ;   in Loop: Header=BB1635_410 Depth=2
	s_or_b32 exec_lo, exec_lo, s25
	s_and_saveexec_b32 s24, s23
	s_cbranch_execnz .LBB1635_630
.LBB1635_562:                           ;   in Loop: Header=BB1635_410 Depth=2
	s_or_b32 exec_lo, exec_lo, s24
	s_and_saveexec_b32 s23, s22
	s_cbranch_execnz .LBB1635_631
.LBB1635_563:                           ;   in Loop: Header=BB1635_410 Depth=2
	s_or_b32 exec_lo, exec_lo, s23
	s_and_saveexec_b32 s22, vcc_lo
	s_cbranch_execz .LBB1635_565
.LBB1635_564:                           ;   in Loop: Header=BB1635_410 Depth=2
	v_lshlrev_b32_e32 v3, 2, v115
	v_add_nc_u32_e32 v39, v0, v75
	ds_read_b32 v3, v3
	ds_read_b64 v[39:40], v39 offset:33280
	s_waitcnt lgkmcnt(1)
	v_add_nc_u32_e32 v3, v3, v61
	v_lshlrev_b64 v[41:42], 3, v[3:4]
	v_add_co_u32 v41, vcc_lo, s54, v41
	v_add_co_ci_u32_e64 v42, null, s55, v42, vcc_lo
	s_waitcnt lgkmcnt(0)
	global_store_dwordx2 v[41:42], v[39:40], off
.LBB1635_565:                           ;   in Loop: Header=BB1635_410 Depth=2
	s_or_b32 exec_lo, exec_lo, s22
	s_waitcnt_vscnt null, 0x0
	s_barrier
	buffer_gl0_inv
	s_and_saveexec_b32 s22, s7
	s_cbranch_execz .LBB1635_409
; %bb.566:                              ;   in Loop: Header=BB1635_410 Depth=2
	ds_read_b32 v3, v43
	s_waitcnt lgkmcnt(0)
	v_add3_u32 v3, v132, v133, v3
	ds_write_b32 v43, v3
	s_branch .LBB1635_409
.LBB1635_567:                           ;   in Loop: Header=BB1635_410 Depth=2
	ds_read_u8 v39, v0 offset:512
	s_waitcnt lgkmcnt(0)
	v_and_b32_e32 v40, 1, v39
	v_lshrrev_b32_e32 v40, s61, v40
	v_and_b32_e32 v40, s62, v40
	v_lshlrev_b32_e32 v40, 2, v40
	ds_read_b32 v40, v40
	s_waitcnt lgkmcnt(0)
	v_add_nc_u32_e32 v40, v40, v0
	global_store_byte v40, v39, s[48:49]
	s_or_b32 exec_lo, exec_lo, s22
	v_cmp_lt_u32_e64 s38, v44, v3
	s_and_saveexec_b32 s22, s38
	s_cbranch_execz .LBB1635_496
.LBB1635_568:                           ;   in Loop: Header=BB1635_410 Depth=2
	ds_read_u8 v39, v0 offset:768
	s_waitcnt lgkmcnt(0)
	v_and_b32_e32 v40, 1, v39
	v_lshrrev_b32_e32 v40, s61, v40
	v_and_b32_e32 v40, s62, v40
	v_lshlrev_b32_e32 v40, 2, v40
	ds_read_b32 v40, v40
	s_waitcnt lgkmcnt(0)
	v_add_nc_u32_e32 v40, v40, v44
	global_store_byte v40, v39, s[48:49]
	s_or_b32 exec_lo, exec_lo, s22
	v_cmp_lt_u32_e64 s37, v47, v3
	s_and_saveexec_b32 s22, s37
	s_cbranch_execz .LBB1635_497
.LBB1635_569:                           ;   in Loop: Header=BB1635_410 Depth=2
	ds_read_u8 v39, v0 offset:1024
	s_waitcnt lgkmcnt(0)
	v_and_b32_e32 v40, 1, v39
	v_lshrrev_b32_e32 v40, s61, v40
	v_and_b32_e32 v40, s62, v40
	v_lshlrev_b32_e32 v40, 2, v40
	ds_read_b32 v40, v40
	s_waitcnt lgkmcnt(0)
	v_add_nc_u32_e32 v40, v40, v47
	global_store_byte v40, v39, s[48:49]
	s_or_b32 exec_lo, exec_lo, s22
	v_cmp_lt_u32_e64 s36, v48, v3
	s_and_saveexec_b32 s22, s36
	s_cbranch_execz .LBB1635_498
.LBB1635_570:                           ;   in Loop: Header=BB1635_410 Depth=2
	ds_read_u8 v39, v0 offset:1280
	s_waitcnt lgkmcnt(0)
	v_and_b32_e32 v40, 1, v39
	v_lshrrev_b32_e32 v40, s61, v40
	v_and_b32_e32 v40, s62, v40
	v_lshlrev_b32_e32 v40, 2, v40
	ds_read_b32 v40, v40
	s_waitcnt lgkmcnt(0)
	v_add_nc_u32_e32 v40, v40, v48
	global_store_byte v40, v39, s[48:49]
	s_or_b32 exec_lo, exec_lo, s22
	v_cmp_lt_u32_e64 s35, v49, v3
	s_and_saveexec_b32 s22, s35
	s_cbranch_execz .LBB1635_499
.LBB1635_571:                           ;   in Loop: Header=BB1635_410 Depth=2
	ds_read_u8 v39, v0 offset:1536
	s_waitcnt lgkmcnt(0)
	v_and_b32_e32 v40, 1, v39
	v_lshrrev_b32_e32 v40, s61, v40
	v_and_b32_e32 v40, s62, v40
	v_lshlrev_b32_e32 v40, 2, v40
	ds_read_b32 v40, v40
	s_waitcnt lgkmcnt(0)
	v_add_nc_u32_e32 v40, v40, v49
	global_store_byte v40, v39, s[48:49]
	s_or_b32 exec_lo, exec_lo, s22
	v_cmp_lt_u32_e64 s34, v50, v3
	s_and_saveexec_b32 s22, s34
	s_cbranch_execz .LBB1635_500
.LBB1635_572:                           ;   in Loop: Header=BB1635_410 Depth=2
	ds_read_u8 v39, v0 offset:1792
	s_waitcnt lgkmcnt(0)
	v_and_b32_e32 v40, 1, v39
	v_lshrrev_b32_e32 v40, s61, v40
	v_and_b32_e32 v40, s62, v40
	v_lshlrev_b32_e32 v40, 2, v40
	ds_read_b32 v40, v40
	s_waitcnt lgkmcnt(0)
	v_add_nc_u32_e32 v40, v40, v50
	global_store_byte v40, v39, s[48:49]
	s_or_b32 exec_lo, exec_lo, s22
	v_cmp_lt_u32_e64 s33, v51, v3
	s_and_saveexec_b32 s22, s33
	s_cbranch_execz .LBB1635_501
.LBB1635_573:                           ;   in Loop: Header=BB1635_410 Depth=2
	ds_read_u8 v39, v0 offset:2048
	s_waitcnt lgkmcnt(0)
	v_and_b32_e32 v40, 1, v39
	v_lshrrev_b32_e32 v40, s61, v40
	v_and_b32_e32 v40, s62, v40
	v_lshlrev_b32_e32 v40, 2, v40
	ds_read_b32 v40, v40
	s_waitcnt lgkmcnt(0)
	v_add_nc_u32_e32 v40, v40, v51
	global_store_byte v40, v39, s[48:49]
	s_or_b32 exec_lo, exec_lo, s22
	v_cmp_lt_u32_e64 s31, v52, v3
	s_and_saveexec_b32 s22, s31
	s_cbranch_execz .LBB1635_502
.LBB1635_574:                           ;   in Loop: Header=BB1635_410 Depth=2
	ds_read_u8 v39, v0 offset:2304
	s_waitcnt lgkmcnt(0)
	v_and_b32_e32 v40, 1, v39
	v_lshrrev_b32_e32 v40, s61, v40
	v_and_b32_e32 v40, s62, v40
	v_lshlrev_b32_e32 v40, 2, v40
	ds_read_b32 v40, v40
	s_waitcnt lgkmcnt(0)
	v_add_nc_u32_e32 v40, v40, v52
	global_store_byte v40, v39, s[48:49]
	s_or_b32 exec_lo, exec_lo, s22
	v_cmp_lt_u32_e64 s30, v53, v3
	s_and_saveexec_b32 s22, s30
	s_cbranch_execz .LBB1635_503
.LBB1635_575:                           ;   in Loop: Header=BB1635_410 Depth=2
	ds_read_u8 v39, v0 offset:2560
	s_waitcnt lgkmcnt(0)
	v_and_b32_e32 v40, 1, v39
	v_lshrrev_b32_e32 v40, s61, v40
	v_and_b32_e32 v40, s62, v40
	v_lshlrev_b32_e32 v40, 2, v40
	ds_read_b32 v40, v40
	s_waitcnt lgkmcnt(0)
	v_add_nc_u32_e32 v40, v40, v53
	global_store_byte v40, v39, s[48:49]
	s_or_b32 exec_lo, exec_lo, s22
	v_cmp_lt_u32_e64 s29, v54, v3
	s_and_saveexec_b32 s22, s29
	s_cbranch_execz .LBB1635_504
.LBB1635_576:                           ;   in Loop: Header=BB1635_410 Depth=2
	ds_read_u8 v39, v0 offset:2816
	s_waitcnt lgkmcnt(0)
	v_and_b32_e32 v40, 1, v39
	v_lshrrev_b32_e32 v40, s61, v40
	v_and_b32_e32 v40, s62, v40
	v_lshlrev_b32_e32 v40, 2, v40
	ds_read_b32 v40, v40
	s_waitcnt lgkmcnt(0)
	v_add_nc_u32_e32 v40, v40, v54
	global_store_byte v40, v39, s[48:49]
	s_or_b32 exec_lo, exec_lo, s22
	v_cmp_lt_u32_e64 s27, v55, v3
	s_and_saveexec_b32 s22, s27
	s_cbranch_execz .LBB1635_505
.LBB1635_577:                           ;   in Loop: Header=BB1635_410 Depth=2
	ds_read_u8 v39, v0 offset:3072
	s_waitcnt lgkmcnt(0)
	v_and_b32_e32 v40, 1, v39
	v_lshrrev_b32_e32 v40, s61, v40
	v_and_b32_e32 v40, s62, v40
	v_lshlrev_b32_e32 v40, 2, v40
	ds_read_b32 v40, v40
	s_waitcnt lgkmcnt(0)
	v_add_nc_u32_e32 v40, v40, v55
	global_store_byte v40, v39, s[48:49]
	s_or_b32 exec_lo, exec_lo, s22
	v_cmp_lt_u32_e64 s26, v56, v3
	s_and_saveexec_b32 s22, s26
	s_cbranch_execz .LBB1635_506
.LBB1635_578:                           ;   in Loop: Header=BB1635_410 Depth=2
	ds_read_u8 v39, v0 offset:3328
	s_waitcnt lgkmcnt(0)
	v_and_b32_e32 v40, 1, v39
	v_lshrrev_b32_e32 v40, s61, v40
	v_and_b32_e32 v40, s62, v40
	v_lshlrev_b32_e32 v40, 2, v40
	ds_read_b32 v40, v40
	s_waitcnt lgkmcnt(0)
	v_add_nc_u32_e32 v40, v40, v56
	global_store_byte v40, v39, s[48:49]
	s_or_b32 exec_lo, exec_lo, s22
	v_cmp_lt_u32_e64 s25, v57, v3
	s_and_saveexec_b32 s22, s25
	s_cbranch_execz .LBB1635_507
.LBB1635_579:                           ;   in Loop: Header=BB1635_410 Depth=2
	ds_read_u8 v39, v0 offset:3584
	s_waitcnt lgkmcnt(0)
	v_and_b32_e32 v40, 1, v39
	v_lshrrev_b32_e32 v40, s61, v40
	v_and_b32_e32 v40, s62, v40
	v_lshlrev_b32_e32 v40, 2, v40
	ds_read_b32 v40, v40
	s_waitcnt lgkmcnt(0)
	v_add_nc_u32_e32 v40, v40, v57
	global_store_byte v40, v39, s[48:49]
	s_or_b32 exec_lo, exec_lo, s22
	v_cmp_lt_u32_e64 s24, v58, v3
	s_and_saveexec_b32 s22, s24
	s_cbranch_execz .LBB1635_508
.LBB1635_580:                           ;   in Loop: Header=BB1635_410 Depth=2
	ds_read_u8 v39, v0 offset:3840
	s_waitcnt lgkmcnt(0)
	v_and_b32_e32 v40, 1, v39
	v_lshrrev_b32_e32 v40, s61, v40
	v_and_b32_e32 v40, s62, v40
	v_lshlrev_b32_e32 v40, 2, v40
	ds_read_b32 v40, v40
	s_waitcnt lgkmcnt(0)
	v_add_nc_u32_e32 v40, v40, v58
	global_store_byte v40, v39, s[48:49]
	s_or_b32 exec_lo, exec_lo, s22
	v_cmp_lt_u32_e64 s23, v59, v3
	s_and_saveexec_b32 s22, s23
	s_cbranch_execz .LBB1635_509
.LBB1635_581:                           ;   in Loop: Header=BB1635_410 Depth=2
	ds_read_u8 v39, v0 offset:4096
	s_waitcnt lgkmcnt(0)
	v_and_b32_e32 v40, 1, v39
	v_lshrrev_b32_e32 v40, s61, v40
	v_and_b32_e32 v40, s62, v40
	v_lshlrev_b32_e32 v40, 2, v40
	ds_read_b32 v40, v40
	s_waitcnt lgkmcnt(0)
	v_add_nc_u32_e32 v40, v40, v59
	global_store_byte v40, v39, s[48:49]
	s_or_b32 exec_lo, exec_lo, s22
	v_cmp_lt_u32_e64 s22, v60, v3
	s_and_saveexec_b32 s40, s22
	s_cbranch_execz .LBB1635_510
.LBB1635_582:                           ;   in Loop: Header=BB1635_410 Depth=2
	ds_read_u8 v39, v0 offset:4352
	s_waitcnt lgkmcnt(0)
	v_and_b32_e32 v40, 1, v39
	v_lshrrev_b32_e32 v40, s61, v40
	v_and_b32_e32 v40, s62, v40
	v_lshlrev_b32_e32 v40, 2, v40
	ds_read_b32 v40, v40
	s_waitcnt lgkmcnt(0)
	v_add_nc_u32_e32 v40, v40, v60
	global_store_byte v40, v39, s[48:49]
	s_or_b32 exec_lo, exec_lo, s40
	v_cmp_lt_u32_e32 vcc_lo, v61, v3
	s_and_saveexec_b32 s40, vcc_lo
	s_cbranch_execnz .LBB1635_511
	s_branch .LBB1635_512
.LBB1635_583:                           ;   in Loop: Header=BB1635_410 Depth=2
	global_load_dwordx2 v[37:38], v[39:40], off
	s_or_b32 exec_lo, exec_lo, s40
	s_mov_b32 s50, exec_lo
	v_cmpx_lt_u32_e64 v96, v3
	s_cbranch_execz .LBB1635_514
.LBB1635_584:                           ;   in Loop: Header=BB1635_410 Depth=2
	global_load_dwordx2 v[35:36], v[39:40], off offset:256
	s_or_b32 exec_lo, exec_lo, s50
	s_mov_b32 s50, exec_lo
	v_cmpx_lt_u32_e64 v97, v3
	s_cbranch_execz .LBB1635_515
.LBB1635_585:                           ;   in Loop: Header=BB1635_410 Depth=2
	global_load_dwordx2 v[33:34], v[39:40], off offset:512
	s_or_b32 exec_lo, exec_lo, s50
	s_mov_b32 s50, exec_lo
	v_cmpx_lt_u32_e64 v98, v3
	s_cbranch_execz .LBB1635_516
.LBB1635_586:                           ;   in Loop: Header=BB1635_410 Depth=2
	global_load_dwordx2 v[31:32], v[39:40], off offset:768
	s_or_b32 exec_lo, exec_lo, s50
	s_mov_b32 s50, exec_lo
	v_cmpx_lt_u32_e64 v99, v3
	s_cbranch_execz .LBB1635_517
.LBB1635_587:                           ;   in Loop: Header=BB1635_410 Depth=2
	global_load_dwordx2 v[29:30], v[39:40], off offset:1024
	s_or_b32 exec_lo, exec_lo, s50
	s_mov_b32 s50, exec_lo
	v_cmpx_lt_u32_e64 v100, v3
	s_cbranch_execz .LBB1635_518
.LBB1635_588:                           ;   in Loop: Header=BB1635_410 Depth=2
	global_load_dwordx2 v[25:26], v[39:40], off offset:1280
	s_or_b32 exec_lo, exec_lo, s50
	s_mov_b32 s50, exec_lo
	v_cmpx_lt_u32_e64 v101, v3
	s_cbranch_execz .LBB1635_519
.LBB1635_589:                           ;   in Loop: Header=BB1635_410 Depth=2
	global_load_dwordx2 v[21:22], v[39:40], off offset:1536
	s_or_b32 exec_lo, exec_lo, s50
	s_mov_b32 s50, exec_lo
	v_cmpx_lt_u32_e64 v102, v3
	s_cbranch_execz .LBB1635_520
.LBB1635_590:                           ;   in Loop: Header=BB1635_410 Depth=2
	global_load_dwordx2 v[17:18], v[39:40], off offset:1792
	s_or_b32 exec_lo, exec_lo, s50
	s_mov_b32 s50, exec_lo
	v_cmpx_lt_u32_e64 v103, v3
	s_cbranch_execz .LBB1635_521
.LBB1635_591:                           ;   in Loop: Header=BB1635_410 Depth=2
	v_add_co_u32 v27, s40, 0x800, v39
	v_add_co_ci_u32_e64 v28, null, 0, v40, s40
	global_load_dwordx2 v[27:28], v[27:28], off
	s_or_b32 exec_lo, exec_lo, s50
	s_mov_b32 s50, exec_lo
	v_cmpx_lt_u32_e64 v104, v3
	s_cbranch_execz .LBB1635_522
.LBB1635_592:                           ;   in Loop: Header=BB1635_410 Depth=2
	v_add_co_u32 v23, s40, 0x800, v39
	v_add_co_ci_u32_e64 v24, null, 0, v40, s40
	global_load_dwordx2 v[23:24], v[23:24], off offset:256
	s_or_b32 exec_lo, exec_lo, s50
	s_mov_b32 s50, exec_lo
	v_cmpx_lt_u32_e64 v105, v3
	s_cbranch_execz .LBB1635_523
.LBB1635_593:                           ;   in Loop: Header=BB1635_410 Depth=2
	v_add_co_u32 v19, s40, 0x800, v39
	v_add_co_ci_u32_e64 v20, null, 0, v40, s40
	global_load_dwordx2 v[19:20], v[19:20], off offset:512
	s_or_b32 exec_lo, exec_lo, s50
	s_mov_b32 s50, exec_lo
	v_cmpx_lt_u32_e64 v106, v3
	s_cbranch_execz .LBB1635_524
.LBB1635_594:                           ;   in Loop: Header=BB1635_410 Depth=2
	v_add_co_u32 v15, s40, 0x800, v39
	v_add_co_ci_u32_e64 v16, null, 0, v40, s40
	global_load_dwordx2 v[15:16], v[15:16], off offset:768
	s_or_b32 exec_lo, exec_lo, s50
	s_mov_b32 s50, exec_lo
	v_cmpx_lt_u32_e64 v107, v3
	s_cbranch_execz .LBB1635_525
.LBB1635_595:                           ;   in Loop: Header=BB1635_410 Depth=2
	v_add_co_u32 v13, s40, 0x800, v39
	v_add_co_ci_u32_e64 v14, null, 0, v40, s40
	global_load_dwordx2 v[13:14], v[13:14], off offset:1024
	s_or_b32 exec_lo, exec_lo, s50
	s_mov_b32 s50, exec_lo
	v_cmpx_lt_u32_e64 v108, v3
	s_cbranch_execz .LBB1635_526
.LBB1635_596:                           ;   in Loop: Header=BB1635_410 Depth=2
	v_add_co_u32 v11, s40, 0x800, v39
	v_add_co_ci_u32_e64 v12, null, 0, v40, s40
	global_load_dwordx2 v[11:12], v[11:12], off offset:1280
	s_or_b32 exec_lo, exec_lo, s50
	s_mov_b32 s50, exec_lo
	v_cmpx_lt_u32_e64 v109, v3
	s_cbranch_execz .LBB1635_527
.LBB1635_597:                           ;   in Loop: Header=BB1635_410 Depth=2
	v_add_co_u32 v9, s40, 0x800, v39
	v_add_co_ci_u32_e64 v10, null, 0, v40, s40
	global_load_dwordx2 v[9:10], v[9:10], off offset:1536
	s_or_b32 exec_lo, exec_lo, s50
	s_mov_b32 s50, exec_lo
	v_cmpx_lt_u32_e64 v110, v3
	s_cbranch_execz .LBB1635_528
.LBB1635_598:                           ;   in Loop: Header=BB1635_410 Depth=2
	v_add_co_u32 v7, s40, 0x800, v39
	v_add_co_ci_u32_e64 v8, null, 0, v40, s40
	global_load_dwordx2 v[7:8], v[7:8], off offset:1792
	s_or_b32 exec_lo, exec_lo, s50
	s_mov_b32 s50, exec_lo
	v_cmpx_lt_u32_e64 v111, v3
	s_cbranch_execz .LBB1635_529
.LBB1635_599:                           ;   in Loop: Header=BB1635_410 Depth=2
	v_add_co_u32 v5, s40, 0x1000, v39
	v_add_co_ci_u32_e64 v6, null, 0, v40, s40
	global_load_dwordx2 v[5:6], v[5:6], off
	s_or_b32 exec_lo, exec_lo, s50
	s_and_saveexec_b32 s40, s39
	s_cbranch_execz .LBB1635_530
.LBB1635_600:                           ;   in Loop: Header=BB1635_410 Depth=2
	ds_read_u8 v3, v0 offset:512
	s_waitcnt lgkmcnt(0)
	v_lshrrev_b32_e32 v3, s61, v3
	v_and_b32_e32 v131, s62, v3
	s_or_b32 exec_lo, exec_lo, s40
	s_and_saveexec_b32 s40, s38
	s_cbranch_execz .LBB1635_531
.LBB1635_601:                           ;   in Loop: Header=BB1635_410 Depth=2
	ds_read_u8 v3, v0 offset:768
	s_waitcnt lgkmcnt(0)
	v_lshrrev_b32_e32 v3, s61, v3
	v_and_b32_e32 v130, s62, v3
	s_or_b32 exec_lo, exec_lo, s40
	s_and_saveexec_b32 s40, s37
	s_cbranch_execz .LBB1635_532
.LBB1635_602:                           ;   in Loop: Header=BB1635_410 Depth=2
	ds_read_u8 v3, v0 offset:1024
	s_waitcnt lgkmcnt(0)
	v_lshrrev_b32_e32 v3, s61, v3
	v_and_b32_e32 v129, s62, v3
	s_or_b32 exec_lo, exec_lo, s40
	s_and_saveexec_b32 s40, s36
	s_cbranch_execz .LBB1635_533
.LBB1635_603:                           ;   in Loop: Header=BB1635_410 Depth=2
	ds_read_u8 v3, v0 offset:1280
	s_waitcnt lgkmcnt(0)
	v_lshrrev_b32_e32 v3, s61, v3
	v_and_b32_e32 v128, s62, v3
	s_or_b32 exec_lo, exec_lo, s40
	s_and_saveexec_b32 s40, s35
	s_cbranch_execz .LBB1635_534
.LBB1635_604:                           ;   in Loop: Header=BB1635_410 Depth=2
	ds_read_u8 v3, v0 offset:1536
	s_waitcnt lgkmcnt(0)
	v_lshrrev_b32_e32 v3, s61, v3
	v_and_b32_e32 v127, s62, v3
	s_or_b32 exec_lo, exec_lo, s40
	s_and_saveexec_b32 s40, s34
	s_cbranch_execz .LBB1635_535
.LBB1635_605:                           ;   in Loop: Header=BB1635_410 Depth=2
	ds_read_u8 v3, v0 offset:1792
	s_waitcnt lgkmcnt(0)
	v_lshrrev_b32_e32 v3, s61, v3
	v_and_b32_e32 v126, s62, v3
	s_or_b32 exec_lo, exec_lo, s40
	s_and_saveexec_b32 s40, s33
	s_cbranch_execz .LBB1635_536
.LBB1635_606:                           ;   in Loop: Header=BB1635_410 Depth=2
	ds_read_u8 v3, v0 offset:2048
	s_waitcnt lgkmcnt(0)
	v_lshrrev_b32_e32 v3, s61, v3
	v_and_b32_e32 v125, s62, v3
	s_or_b32 exec_lo, exec_lo, s40
	s_and_saveexec_b32 s40, s31
	s_cbranch_execz .LBB1635_537
.LBB1635_607:                           ;   in Loop: Header=BB1635_410 Depth=2
	ds_read_u8 v3, v0 offset:2304
	s_waitcnt lgkmcnt(0)
	v_lshrrev_b32_e32 v3, s61, v3
	v_and_b32_e32 v124, s62, v3
	s_or_b32 exec_lo, exec_lo, s40
	s_and_saveexec_b32 s40, s30
	s_cbranch_execz .LBB1635_538
.LBB1635_608:                           ;   in Loop: Header=BB1635_410 Depth=2
	ds_read_u8 v3, v0 offset:2560
	s_waitcnt lgkmcnt(0)
	v_lshrrev_b32_e32 v3, s61, v3
	v_and_b32_e32 v123, s62, v3
	s_or_b32 exec_lo, exec_lo, s40
	s_and_saveexec_b32 s40, s29
	s_cbranch_execz .LBB1635_539
.LBB1635_609:                           ;   in Loop: Header=BB1635_410 Depth=2
	ds_read_u8 v3, v0 offset:2816
	s_waitcnt lgkmcnt(0)
	v_lshrrev_b32_e32 v3, s61, v3
	v_and_b32_e32 v122, s62, v3
	s_or_b32 exec_lo, exec_lo, s40
	s_and_saveexec_b32 s40, s27
	s_cbranch_execz .LBB1635_540
.LBB1635_610:                           ;   in Loop: Header=BB1635_410 Depth=2
	ds_read_u8 v3, v0 offset:3072
	s_waitcnt lgkmcnt(0)
	v_lshrrev_b32_e32 v3, s61, v3
	v_and_b32_e32 v121, s62, v3
	s_or_b32 exec_lo, exec_lo, s40
	s_and_saveexec_b32 s40, s26
	s_cbranch_execz .LBB1635_541
.LBB1635_611:                           ;   in Loop: Header=BB1635_410 Depth=2
	ds_read_u8 v3, v0 offset:3328
	s_waitcnt lgkmcnt(0)
	v_lshrrev_b32_e32 v3, s61, v3
	v_and_b32_e32 v120, s62, v3
	s_or_b32 exec_lo, exec_lo, s40
	s_and_saveexec_b32 s40, s25
	s_cbranch_execz .LBB1635_542
.LBB1635_612:                           ;   in Loop: Header=BB1635_410 Depth=2
	ds_read_u8 v3, v0 offset:3584
	s_waitcnt lgkmcnt(0)
	v_lshrrev_b32_e32 v3, s61, v3
	v_and_b32_e32 v119, s62, v3
	s_or_b32 exec_lo, exec_lo, s40
	s_and_saveexec_b32 s40, s24
	s_cbranch_execz .LBB1635_543
.LBB1635_613:                           ;   in Loop: Header=BB1635_410 Depth=2
	ds_read_u8 v3, v0 offset:3840
	s_waitcnt lgkmcnt(0)
	v_lshrrev_b32_e32 v3, s61, v3
	v_and_b32_e32 v118, s62, v3
	s_or_b32 exec_lo, exec_lo, s40
	s_and_saveexec_b32 s40, s23
	s_cbranch_execz .LBB1635_544
.LBB1635_614:                           ;   in Loop: Header=BB1635_410 Depth=2
	ds_read_u8 v3, v0 offset:4096
	s_waitcnt lgkmcnt(0)
	v_lshrrev_b32_e32 v3, s61, v3
	v_and_b32_e32 v117, s62, v3
	s_or_b32 exec_lo, exec_lo, s40
	s_and_saveexec_b32 s40, s22
	s_cbranch_execz .LBB1635_545
.LBB1635_615:                           ;   in Loop: Header=BB1635_410 Depth=2
	ds_read_u8 v3, v0 offset:4352
	s_waitcnt lgkmcnt(0)
	v_lshrrev_b32_e32 v3, s61, v3
	v_and_b32_e32 v116, s62, v3
	s_or_b32 exec_lo, exec_lo, s40
	s_and_saveexec_b32 s40, vcc_lo
	s_cbranch_execnz .LBB1635_546
	s_branch .LBB1635_547
.LBB1635_616:                           ;   in Loop: Header=BB1635_410 Depth=2
	v_lshlrev_b32_e32 v3, 2, v131
	v_add_nc_u32_e32 v39, v0, v75
	ds_read_b32 v3, v3
	ds_read_b64 v[39:40], v39 offset:512
	s_waitcnt lgkmcnt(1)
	v_add_nc_u32_e32 v3, v3, v0
	v_lshlrev_b64 v[41:42], 3, v[3:4]
	v_add_co_u32 v41, s39, s54, v41
	v_add_co_ci_u32_e64 v42, null, s55, v42, s39
	s_waitcnt lgkmcnt(0)
	global_store_dwordx2 v[41:42], v[39:40], off
	s_or_b32 exec_lo, exec_lo, s40
	s_and_saveexec_b32 s39, s38
	s_cbranch_execz .LBB1635_549
.LBB1635_617:                           ;   in Loop: Header=BB1635_410 Depth=2
	v_lshlrev_b32_e32 v3, 2, v130
	v_add_nc_u32_e32 v39, v0, v75
	ds_read_b32 v3, v3
	ds_read_b64 v[39:40], v39 offset:2560
	s_waitcnt lgkmcnt(1)
	v_add_nc_u32_e32 v3, v3, v44
	v_lshlrev_b64 v[41:42], 3, v[3:4]
	v_add_co_u32 v41, s38, s54, v41
	v_add_co_ci_u32_e64 v42, null, s55, v42, s38
	s_waitcnt lgkmcnt(0)
	global_store_dwordx2 v[41:42], v[39:40], off
	s_or_b32 exec_lo, exec_lo, s39
	s_and_saveexec_b32 s38, s37
	s_cbranch_execz .LBB1635_550
.LBB1635_618:                           ;   in Loop: Header=BB1635_410 Depth=2
	v_lshlrev_b32_e32 v3, 2, v129
	v_add_nc_u32_e32 v39, v0, v75
	ds_read_b32 v3, v3
	ds_read_b64 v[39:40], v39 offset:4608
	s_waitcnt lgkmcnt(1)
	v_add_nc_u32_e32 v3, v3, v47
	v_lshlrev_b64 v[41:42], 3, v[3:4]
	v_add_co_u32 v41, s37, s54, v41
	v_add_co_ci_u32_e64 v42, null, s55, v42, s37
	s_waitcnt lgkmcnt(0)
	global_store_dwordx2 v[41:42], v[39:40], off
	s_or_b32 exec_lo, exec_lo, s38
	s_and_saveexec_b32 s37, s36
	s_cbranch_execz .LBB1635_551
.LBB1635_619:                           ;   in Loop: Header=BB1635_410 Depth=2
	v_lshlrev_b32_e32 v3, 2, v128
	v_add_nc_u32_e32 v39, v0, v75
	ds_read_b32 v3, v3
	ds_read_b64 v[39:40], v39 offset:6656
	s_waitcnt lgkmcnt(1)
	v_add_nc_u32_e32 v3, v3, v48
	v_lshlrev_b64 v[41:42], 3, v[3:4]
	v_add_co_u32 v41, s36, s54, v41
	v_add_co_ci_u32_e64 v42, null, s55, v42, s36
	s_waitcnt lgkmcnt(0)
	global_store_dwordx2 v[41:42], v[39:40], off
	s_or_b32 exec_lo, exec_lo, s37
	s_and_saveexec_b32 s36, s35
	s_cbranch_execz .LBB1635_552
.LBB1635_620:                           ;   in Loop: Header=BB1635_410 Depth=2
	v_lshlrev_b32_e32 v3, 2, v127
	v_add_nc_u32_e32 v39, v0, v75
	ds_read_b32 v3, v3
	ds_read_b64 v[39:40], v39 offset:8704
	s_waitcnt lgkmcnt(1)
	v_add_nc_u32_e32 v3, v3, v49
	v_lshlrev_b64 v[41:42], 3, v[3:4]
	v_add_co_u32 v41, s35, s54, v41
	v_add_co_ci_u32_e64 v42, null, s55, v42, s35
	s_waitcnt lgkmcnt(0)
	global_store_dwordx2 v[41:42], v[39:40], off
	s_or_b32 exec_lo, exec_lo, s36
	s_and_saveexec_b32 s35, s34
	s_cbranch_execz .LBB1635_553
.LBB1635_621:                           ;   in Loop: Header=BB1635_410 Depth=2
	v_lshlrev_b32_e32 v3, 2, v126
	v_add_nc_u32_e32 v39, v0, v75
	ds_read_b32 v3, v3
	ds_read_b64 v[39:40], v39 offset:10752
	s_waitcnt lgkmcnt(1)
	v_add_nc_u32_e32 v3, v3, v50
	v_lshlrev_b64 v[41:42], 3, v[3:4]
	v_add_co_u32 v41, s34, s54, v41
	v_add_co_ci_u32_e64 v42, null, s55, v42, s34
	s_waitcnt lgkmcnt(0)
	global_store_dwordx2 v[41:42], v[39:40], off
	s_or_b32 exec_lo, exec_lo, s35
	s_and_saveexec_b32 s34, s33
	s_cbranch_execz .LBB1635_554
.LBB1635_622:                           ;   in Loop: Header=BB1635_410 Depth=2
	v_lshlrev_b32_e32 v3, 2, v125
	v_add_nc_u32_e32 v39, v0, v75
	ds_read_b32 v3, v3
	ds_read_b64 v[39:40], v39 offset:12800
	s_waitcnt lgkmcnt(1)
	v_add_nc_u32_e32 v3, v3, v51
	v_lshlrev_b64 v[41:42], 3, v[3:4]
	v_add_co_u32 v41, s33, s54, v41
	v_add_co_ci_u32_e64 v42, null, s55, v42, s33
	s_waitcnt lgkmcnt(0)
	global_store_dwordx2 v[41:42], v[39:40], off
	s_or_b32 exec_lo, exec_lo, s34
	s_and_saveexec_b32 s33, s31
	s_cbranch_execz .LBB1635_555
.LBB1635_623:                           ;   in Loop: Header=BB1635_410 Depth=2
	v_lshlrev_b32_e32 v3, 2, v124
	v_add_nc_u32_e32 v39, v0, v75
	ds_read_b32 v3, v3
	ds_read_b64 v[39:40], v39 offset:14848
	s_waitcnt lgkmcnt(1)
	v_add_nc_u32_e32 v3, v3, v52
	v_lshlrev_b64 v[41:42], 3, v[3:4]
	v_add_co_u32 v41, s31, s54, v41
	v_add_co_ci_u32_e64 v42, null, s55, v42, s31
	s_waitcnt lgkmcnt(0)
	global_store_dwordx2 v[41:42], v[39:40], off
	s_or_b32 exec_lo, exec_lo, s33
	s_and_saveexec_b32 s31, s30
	s_cbranch_execz .LBB1635_556
.LBB1635_624:                           ;   in Loop: Header=BB1635_410 Depth=2
	v_lshlrev_b32_e32 v3, 2, v123
	v_add_nc_u32_e32 v39, v0, v75
	ds_read_b32 v3, v3
	ds_read_b64 v[39:40], v39 offset:16896
	s_waitcnt lgkmcnt(1)
	v_add_nc_u32_e32 v3, v3, v53
	v_lshlrev_b64 v[41:42], 3, v[3:4]
	v_add_co_u32 v41, s30, s54, v41
	v_add_co_ci_u32_e64 v42, null, s55, v42, s30
	s_waitcnt lgkmcnt(0)
	global_store_dwordx2 v[41:42], v[39:40], off
	s_or_b32 exec_lo, exec_lo, s31
	s_and_saveexec_b32 s30, s29
	s_cbranch_execz .LBB1635_557
.LBB1635_625:                           ;   in Loop: Header=BB1635_410 Depth=2
	v_lshlrev_b32_e32 v3, 2, v122
	v_add_nc_u32_e32 v39, v0, v75
	ds_read_b32 v3, v3
	ds_read_b64 v[39:40], v39 offset:18944
	s_waitcnt lgkmcnt(1)
	v_add_nc_u32_e32 v3, v3, v54
	v_lshlrev_b64 v[41:42], 3, v[3:4]
	v_add_co_u32 v41, s29, s54, v41
	v_add_co_ci_u32_e64 v42, null, s55, v42, s29
	s_waitcnt lgkmcnt(0)
	global_store_dwordx2 v[41:42], v[39:40], off
	s_or_b32 exec_lo, exec_lo, s30
	s_and_saveexec_b32 s29, s27
	s_cbranch_execz .LBB1635_558
.LBB1635_626:                           ;   in Loop: Header=BB1635_410 Depth=2
	v_lshlrev_b32_e32 v3, 2, v121
	v_add_nc_u32_e32 v39, v0, v75
	ds_read_b32 v3, v3
	ds_read_b64 v[39:40], v39 offset:20992
	s_waitcnt lgkmcnt(1)
	v_add_nc_u32_e32 v3, v3, v55
	v_lshlrev_b64 v[41:42], 3, v[3:4]
	v_add_co_u32 v41, s27, s54, v41
	v_add_co_ci_u32_e64 v42, null, s55, v42, s27
	s_waitcnt lgkmcnt(0)
	global_store_dwordx2 v[41:42], v[39:40], off
	s_or_b32 exec_lo, exec_lo, s29
	s_and_saveexec_b32 s27, s26
	s_cbranch_execz .LBB1635_559
.LBB1635_627:                           ;   in Loop: Header=BB1635_410 Depth=2
	v_lshlrev_b32_e32 v3, 2, v120
	v_add_nc_u32_e32 v39, v0, v75
	ds_read_b32 v3, v3
	ds_read_b64 v[39:40], v39 offset:23040
	s_waitcnt lgkmcnt(1)
	v_add_nc_u32_e32 v3, v3, v56
	v_lshlrev_b64 v[41:42], 3, v[3:4]
	v_add_co_u32 v41, s26, s54, v41
	v_add_co_ci_u32_e64 v42, null, s55, v42, s26
	s_waitcnt lgkmcnt(0)
	global_store_dwordx2 v[41:42], v[39:40], off
	s_or_b32 exec_lo, exec_lo, s27
	s_and_saveexec_b32 s26, s25
	s_cbranch_execz .LBB1635_560
.LBB1635_628:                           ;   in Loop: Header=BB1635_410 Depth=2
	v_lshlrev_b32_e32 v3, 2, v119
	v_add_nc_u32_e32 v39, v0, v75
	ds_read_b32 v3, v3
	ds_read_b64 v[39:40], v39 offset:25088
	s_waitcnt lgkmcnt(1)
	v_add_nc_u32_e32 v3, v3, v57
	v_lshlrev_b64 v[41:42], 3, v[3:4]
	v_add_co_u32 v41, s25, s54, v41
	v_add_co_ci_u32_e64 v42, null, s55, v42, s25
	s_waitcnt lgkmcnt(0)
	global_store_dwordx2 v[41:42], v[39:40], off
	s_or_b32 exec_lo, exec_lo, s26
	s_and_saveexec_b32 s25, s24
	s_cbranch_execz .LBB1635_561
.LBB1635_629:                           ;   in Loop: Header=BB1635_410 Depth=2
	v_lshlrev_b32_e32 v3, 2, v118
	v_add_nc_u32_e32 v39, v0, v75
	ds_read_b32 v3, v3
	ds_read_b64 v[39:40], v39 offset:27136
	s_waitcnt lgkmcnt(1)
	v_add_nc_u32_e32 v3, v3, v58
	v_lshlrev_b64 v[41:42], 3, v[3:4]
	v_add_co_u32 v41, s24, s54, v41
	v_add_co_ci_u32_e64 v42, null, s55, v42, s24
	s_waitcnt lgkmcnt(0)
	global_store_dwordx2 v[41:42], v[39:40], off
	s_or_b32 exec_lo, exec_lo, s25
	s_and_saveexec_b32 s24, s23
	s_cbranch_execz .LBB1635_562
.LBB1635_630:                           ;   in Loop: Header=BB1635_410 Depth=2
	v_lshlrev_b32_e32 v3, 2, v117
	v_add_nc_u32_e32 v39, v0, v75
	ds_read_b32 v3, v3
	ds_read_b64 v[39:40], v39 offset:29184
	s_waitcnt lgkmcnt(1)
	v_add_nc_u32_e32 v3, v3, v59
	v_lshlrev_b64 v[41:42], 3, v[3:4]
	v_add_co_u32 v41, s23, s54, v41
	v_add_co_ci_u32_e64 v42, null, s55, v42, s23
	s_waitcnt lgkmcnt(0)
	global_store_dwordx2 v[41:42], v[39:40], off
	s_or_b32 exec_lo, exec_lo, s24
	s_and_saveexec_b32 s23, s22
	s_cbranch_execz .LBB1635_563
.LBB1635_631:                           ;   in Loop: Header=BB1635_410 Depth=2
	v_lshlrev_b32_e32 v3, 2, v116
	v_add_nc_u32_e32 v39, v0, v75
	ds_read_b32 v3, v3
	ds_read_b64 v[39:40], v39 offset:31232
	s_waitcnt lgkmcnt(1)
	v_add_nc_u32_e32 v3, v3, v60
	v_lshlrev_b64 v[41:42], 3, v[3:4]
	v_add_co_u32 v41, s22, s54, v41
	v_add_co_ci_u32_e64 v42, null, s55, v42, s22
	s_waitcnt lgkmcnt(0)
	global_store_dwordx2 v[41:42], v[39:40], off
	s_or_b32 exec_lo, exec_lo, s23
	s_and_saveexec_b32 s22, vcc_lo
	s_cbranch_execnz .LBB1635_564
	s_branch .LBB1635_565
.LBB1635_632:                           ;   in Loop: Header=BB1635_12 Depth=1
	s_waitcnt lgkmcnt(0)
	s_barrier
.LBB1635_633:                           ;   in Loop: Header=BB1635_12 Depth=1
	s_mov_b32 s5, 0
.LBB1635_634:                           ;   in Loop: Header=BB1635_12 Depth=1
	s_andn2_b32 vcc_lo, exec_lo, s5
	s_cbranch_vccnz .LBB1635_11
; %bb.635:                              ;   in Loop: Header=BB1635_12 Depth=1
	s_and_b32 vcc_lo, exec_lo, s43
	s_mov_b32 s5, -1
	s_cbranch_vccz .LBB1635_945
; %bb.636:                              ;   in Loop: Header=BB1635_12 Depth=1
	v_mov_b32_e32 v17, 0
	v_mov_b32_e32 v20, 0
	;; [unrolled: 1-line block ×17, first 2 shown]
	s_mov_b32 s5, s60
	s_mov_b32 s16, s58
	s_barrier
	buffer_gl0_inv
	s_branch .LBB1635_638
.LBB1635_637:                           ;   in Loop: Header=BB1635_638 Depth=2
	s_or_b32 exec_lo, exec_lo, s15
	s_addk_i32 s5, 0xef00
	s_cmp_ge_u32 s14, s59
	s_mov_b32 s16, s14
	s_cbranch_scc1 .LBB1635_710
.LBB1635_638:                           ;   Parent Loop BB1635_12 Depth=1
                                        ; =>  This Inner Loop Header: Depth=2
	s_add_i32 s14, s16, 0x1100
	s_mov_b32 s15, -1
	s_cmp_gt_u32 s14, s59
                                        ; implicit-def: $vgpr21
                                        ; implicit-def: $vgpr22
                                        ; implicit-def: $vgpr23
                                        ; implicit-def: $vgpr24
                                        ; implicit-def: $vgpr25
                                        ; implicit-def: $vgpr26
                                        ; implicit-def: $vgpr27
                                        ; implicit-def: $vgpr28
                                        ; implicit-def: $vgpr29
                                        ; implicit-def: $vgpr30
                                        ; implicit-def: $vgpr31
                                        ; implicit-def: $vgpr32
                                        ; implicit-def: $vgpr33
                                        ; implicit-def: $vgpr34
                                        ; implicit-def: $vgpr35
                                        ; implicit-def: $vgpr36
                                        ; implicit-def: $vgpr37
	s_cbranch_scc1 .LBB1635_640
; %bb.639:                              ;   in Loop: Header=BB1635_638 Depth=2
	v_add_co_u32 v38, vcc_lo, v82, s16
	v_add_co_ci_u32_e64 v39, null, 0, v83, vcc_lo
	s_mov_b32 s15, 0
	v_add_co_u32 v21, vcc_lo, 0x800, v38
	v_add_co_ci_u32_e64 v22, null, 0, v39, vcc_lo
	v_add_co_u32 v23, vcc_lo, 0x1000, v38
	v_add_co_ci_u32_e64 v24, null, 0, v39, vcc_lo
	s_clause 0x10
	global_load_ubyte v36, v[21:22], off offset:1792
	global_load_ubyte v37, v[23:24], off
	global_load_ubyte v35, v[21:22], off offset:1536
	global_load_ubyte v34, v[21:22], off offset:1280
	;; [unrolled: 1-line block ×6, first 2 shown]
	global_load_ubyte v29, v[21:22], off
	global_load_ubyte v28, v[38:39], off offset:1792
	global_load_ubyte v27, v[38:39], off offset:1536
	;; [unrolled: 1-line block ×7, first 2 shown]
	global_load_ubyte v21, v[38:39], off
.LBB1635_640:                           ;   in Loop: Header=BB1635_638 Depth=2
	s_andn2_b32 vcc_lo, exec_lo, s15
	s_movk_i32 s15, 0x1100
	s_cbranch_vccnz .LBB1635_660
; %bb.641:                              ;   in Loop: Header=BB1635_638 Depth=2
	s_add_u32 s15, s44, s16
	s_addc_u32 s16, s45, 0
	s_mov_b32 s17, exec_lo
	v_cmpx_gt_u32_e64 s5, v0
	s_cbranch_execnz .LBB1635_694
; %bb.642:                              ;   in Loop: Header=BB1635_638 Depth=2
	s_or_b32 exec_lo, exec_lo, s17
	s_mov_b32 s17, exec_lo
	v_cmpx_gt_u32_e64 s5, v44
	s_cbranch_execnz .LBB1635_695
.LBB1635_643:                           ;   in Loop: Header=BB1635_638 Depth=2
	s_or_b32 exec_lo, exec_lo, s17
	s_mov_b32 s17, exec_lo
	v_cmpx_gt_u32_e64 s5, v47
	s_cbranch_execnz .LBB1635_696
.LBB1635_644:                           ;   in Loop: Header=BB1635_638 Depth=2
	s_or_b32 exec_lo, exec_lo, s17
	s_mov_b32 s17, exec_lo
	v_cmpx_gt_u32_e64 s5, v48
	s_cbranch_execnz .LBB1635_697
.LBB1635_645:                           ;   in Loop: Header=BB1635_638 Depth=2
	s_or_b32 exec_lo, exec_lo, s17
	s_mov_b32 s17, exec_lo
	v_cmpx_gt_u32_e64 s5, v49
	s_cbranch_execnz .LBB1635_698
.LBB1635_646:                           ;   in Loop: Header=BB1635_638 Depth=2
	s_or_b32 exec_lo, exec_lo, s17
	s_mov_b32 s17, exec_lo
	v_cmpx_gt_u32_e64 s5, v50
	s_cbranch_execnz .LBB1635_699
.LBB1635_647:                           ;   in Loop: Header=BB1635_638 Depth=2
	s_or_b32 exec_lo, exec_lo, s17
	s_mov_b32 s17, exec_lo
	v_cmpx_gt_u32_e64 s5, v51
	s_cbranch_execnz .LBB1635_700
.LBB1635_648:                           ;   in Loop: Header=BB1635_638 Depth=2
	s_or_b32 exec_lo, exec_lo, s17
	s_mov_b32 s17, exec_lo
	v_cmpx_gt_u32_e64 s5, v52
	s_cbranch_execnz .LBB1635_701
.LBB1635_649:                           ;   in Loop: Header=BB1635_638 Depth=2
	s_or_b32 exec_lo, exec_lo, s17
	s_mov_b32 s17, exec_lo
	v_cmpx_gt_u32_e64 s5, v53
	s_cbranch_execnz .LBB1635_702
.LBB1635_650:                           ;   in Loop: Header=BB1635_638 Depth=2
	s_or_b32 exec_lo, exec_lo, s17
	s_mov_b32 s17, exec_lo
	v_cmpx_gt_u32_e64 s5, v54
	s_cbranch_execnz .LBB1635_703
.LBB1635_651:                           ;   in Loop: Header=BB1635_638 Depth=2
	s_or_b32 exec_lo, exec_lo, s17
	s_mov_b32 s17, exec_lo
	v_cmpx_gt_u32_e64 s5, v55
	s_cbranch_execnz .LBB1635_704
.LBB1635_652:                           ;   in Loop: Header=BB1635_638 Depth=2
	s_or_b32 exec_lo, exec_lo, s17
	s_mov_b32 s17, exec_lo
	v_cmpx_gt_u32_e64 s5, v56
	s_cbranch_execnz .LBB1635_705
.LBB1635_653:                           ;   in Loop: Header=BB1635_638 Depth=2
	s_or_b32 exec_lo, exec_lo, s17
	s_mov_b32 s17, exec_lo
	v_cmpx_gt_u32_e64 s5, v57
	s_cbranch_execnz .LBB1635_706
.LBB1635_654:                           ;   in Loop: Header=BB1635_638 Depth=2
	s_or_b32 exec_lo, exec_lo, s17
	s_mov_b32 s17, exec_lo
	v_cmpx_gt_u32_e64 s5, v58
	s_cbranch_execnz .LBB1635_707
.LBB1635_655:                           ;   in Loop: Header=BB1635_638 Depth=2
	s_or_b32 exec_lo, exec_lo, s17
	s_mov_b32 s17, exec_lo
	v_cmpx_gt_u32_e64 s5, v59
	s_cbranch_execnz .LBB1635_708
.LBB1635_656:                           ;   in Loop: Header=BB1635_638 Depth=2
	s_or_b32 exec_lo, exec_lo, s17
	s_mov_b32 s17, exec_lo
	v_cmpx_gt_u32_e64 s5, v60
	s_cbranch_execnz .LBB1635_709
.LBB1635_657:                           ;   in Loop: Header=BB1635_638 Depth=2
	s_or_b32 exec_lo, exec_lo, s17
	s_mov_b32 s17, exec_lo
	v_cmpx_gt_u32_e64 s5, v61
	s_cbranch_execz .LBB1635_659
.LBB1635_658:                           ;   in Loop: Header=BB1635_638 Depth=2
	s_waitcnt vmcnt(0)
	v_add_co_u32 v21, s15, s15, v61
	v_add_co_ci_u32_e64 v22, null, s16, 0, s15
	global_load_ubyte v3, v[21:22], off
.LBB1635_659:                           ;   in Loop: Header=BB1635_638 Depth=2
	s_or_b32 exec_lo, exec_lo, s17
	s_waitcnt vmcnt(0)
	v_mov_b32_e32 v21, v17
	v_mov_b32_e32 v22, v20
	;; [unrolled: 1-line block ×17, first 2 shown]
	s_mov_b32 s15, s5
.LBB1635_660:                           ;   in Loop: Header=BB1635_638 Depth=2
	s_waitcnt vmcnt(15)
	v_mov_b32_e32 v3, v37
	v_mov_b32_e32 v5, v36
	s_waitcnt vmcnt(14)
	v_mov_b32_e32 v6, v35
	s_waitcnt vmcnt(13)
	;; [unrolled: 2-line block ×15, first 2 shown]
	v_mov_b32_e32 v17, v21
	s_mov_b32 s16, exec_lo
	v_cmpx_gt_u32_e64 s15, v0
	s_cbranch_execnz .LBB1635_677
; %bb.661:                              ;   in Loop: Header=BB1635_638 Depth=2
	s_or_b32 exec_lo, exec_lo, s16
	s_mov_b32 s16, exec_lo
	v_cmpx_gt_u32_e64 s15, v44
	s_cbranch_execnz .LBB1635_678
.LBB1635_662:                           ;   in Loop: Header=BB1635_638 Depth=2
	s_or_b32 exec_lo, exec_lo, s16
	s_mov_b32 s16, exec_lo
	v_cmpx_gt_u32_e64 s15, v47
	s_cbranch_execnz .LBB1635_679
.LBB1635_663:                           ;   in Loop: Header=BB1635_638 Depth=2
	s_or_b32 exec_lo, exec_lo, s16
	s_mov_b32 s16, exec_lo
	v_cmpx_gt_u32_e64 s15, v48
	s_cbranch_execnz .LBB1635_680
.LBB1635_664:                           ;   in Loop: Header=BB1635_638 Depth=2
	s_or_b32 exec_lo, exec_lo, s16
	s_mov_b32 s16, exec_lo
	v_cmpx_gt_u32_e64 s15, v49
	s_cbranch_execnz .LBB1635_681
.LBB1635_665:                           ;   in Loop: Header=BB1635_638 Depth=2
	s_or_b32 exec_lo, exec_lo, s16
	s_mov_b32 s16, exec_lo
	v_cmpx_gt_u32_e64 s15, v50
	s_cbranch_execnz .LBB1635_682
.LBB1635_666:                           ;   in Loop: Header=BB1635_638 Depth=2
	s_or_b32 exec_lo, exec_lo, s16
	s_mov_b32 s16, exec_lo
	v_cmpx_gt_u32_e64 s15, v51
	s_cbranch_execnz .LBB1635_683
.LBB1635_667:                           ;   in Loop: Header=BB1635_638 Depth=2
	s_or_b32 exec_lo, exec_lo, s16
	s_mov_b32 s16, exec_lo
	v_cmpx_gt_u32_e64 s15, v52
	s_cbranch_execnz .LBB1635_684
.LBB1635_668:                           ;   in Loop: Header=BB1635_638 Depth=2
	s_or_b32 exec_lo, exec_lo, s16
	s_mov_b32 s16, exec_lo
	v_cmpx_gt_u32_e64 s15, v53
	s_cbranch_execnz .LBB1635_685
.LBB1635_669:                           ;   in Loop: Header=BB1635_638 Depth=2
	s_or_b32 exec_lo, exec_lo, s16
	s_mov_b32 s16, exec_lo
	v_cmpx_gt_u32_e64 s15, v54
	s_cbranch_execnz .LBB1635_686
.LBB1635_670:                           ;   in Loop: Header=BB1635_638 Depth=2
	s_or_b32 exec_lo, exec_lo, s16
	s_mov_b32 s16, exec_lo
	v_cmpx_gt_u32_e64 s15, v55
	s_cbranch_execnz .LBB1635_687
.LBB1635_671:                           ;   in Loop: Header=BB1635_638 Depth=2
	s_or_b32 exec_lo, exec_lo, s16
	s_mov_b32 s16, exec_lo
	v_cmpx_gt_u32_e64 s15, v56
	s_cbranch_execnz .LBB1635_688
.LBB1635_672:                           ;   in Loop: Header=BB1635_638 Depth=2
	s_or_b32 exec_lo, exec_lo, s16
	s_mov_b32 s16, exec_lo
	v_cmpx_gt_u32_e64 s15, v57
	s_cbranch_execnz .LBB1635_689
.LBB1635_673:                           ;   in Loop: Header=BB1635_638 Depth=2
	s_or_b32 exec_lo, exec_lo, s16
	s_mov_b32 s16, exec_lo
	v_cmpx_gt_u32_e64 s15, v58
	s_cbranch_execnz .LBB1635_690
.LBB1635_674:                           ;   in Loop: Header=BB1635_638 Depth=2
	s_or_b32 exec_lo, exec_lo, s16
	s_mov_b32 s16, exec_lo
	v_cmpx_gt_u32_e64 s15, v59
	s_cbranch_execnz .LBB1635_691
.LBB1635_675:                           ;   in Loop: Header=BB1635_638 Depth=2
	s_or_b32 exec_lo, exec_lo, s16
	s_mov_b32 s16, exec_lo
	v_cmpx_gt_u32_e64 s15, v60
	s_cbranch_execnz .LBB1635_692
.LBB1635_676:                           ;   in Loop: Header=BB1635_638 Depth=2
	s_or_b32 exec_lo, exec_lo, s16
	v_cmp_gt_u32_e32 vcc_lo, s15, v61
	s_and_saveexec_b32 s15, vcc_lo
	s_cbranch_execz .LBB1635_637
	s_branch .LBB1635_693
.LBB1635_677:                           ;   in Loop: Header=BB1635_638 Depth=2
	v_and_b32_e32 v21, 1, v17
	v_lshrrev_b32_e32 v21, s41, v21
	v_and_b32_e32 v21, s62, v21
	v_lshl_or_b32 v21, v21, 4, v63
	ds_add_u32 v21, v89
	s_or_b32 exec_lo, exec_lo, s16
	s_mov_b32 s16, exec_lo
	v_cmpx_gt_u32_e64 s15, v44
	s_cbranch_execz .LBB1635_662
.LBB1635_678:                           ;   in Loop: Header=BB1635_638 Depth=2
	v_and_b32_e32 v21, 1, v20
	v_lshrrev_b32_e32 v21, s41, v21
	v_and_b32_e32 v21, s62, v21
	v_lshl_or_b32 v21, v21, 4, v63
	ds_add_u32 v21, v89
	s_or_b32 exec_lo, exec_lo, s16
	s_mov_b32 s16, exec_lo
	v_cmpx_gt_u32_e64 s15, v47
	s_cbranch_execz .LBB1635_663
.LBB1635_679:                           ;   in Loop: Header=BB1635_638 Depth=2
	v_and_b32_e32 v21, 1, v19
	v_lshrrev_b32_e32 v21, s41, v21
	v_and_b32_e32 v21, s62, v21
	v_lshl_or_b32 v21, v21, 4, v63
	ds_add_u32 v21, v89
	s_or_b32 exec_lo, exec_lo, s16
	s_mov_b32 s16, exec_lo
	v_cmpx_gt_u32_e64 s15, v48
	s_cbranch_execz .LBB1635_664
.LBB1635_680:                           ;   in Loop: Header=BB1635_638 Depth=2
	v_and_b32_e32 v21, 1, v18
	v_lshrrev_b32_e32 v21, s41, v21
	v_and_b32_e32 v21, s62, v21
	v_lshl_or_b32 v21, v21, 4, v63
	ds_add_u32 v21, v89
	s_or_b32 exec_lo, exec_lo, s16
	s_mov_b32 s16, exec_lo
	v_cmpx_gt_u32_e64 s15, v49
	s_cbranch_execz .LBB1635_665
.LBB1635_681:                           ;   in Loop: Header=BB1635_638 Depth=2
	v_and_b32_e32 v21, 1, v16
	v_lshrrev_b32_e32 v21, s41, v21
	v_and_b32_e32 v21, s62, v21
	v_lshl_or_b32 v21, v21, 4, v63
	ds_add_u32 v21, v89
	s_or_b32 exec_lo, exec_lo, s16
	s_mov_b32 s16, exec_lo
	v_cmpx_gt_u32_e64 s15, v50
	s_cbranch_execz .LBB1635_666
.LBB1635_682:                           ;   in Loop: Header=BB1635_638 Depth=2
	v_and_b32_e32 v21, 1, v15
	v_lshrrev_b32_e32 v21, s41, v21
	v_and_b32_e32 v21, s62, v21
	v_lshl_or_b32 v21, v21, 4, v63
	ds_add_u32 v21, v89
	s_or_b32 exec_lo, exec_lo, s16
	s_mov_b32 s16, exec_lo
	v_cmpx_gt_u32_e64 s15, v51
	s_cbranch_execz .LBB1635_667
.LBB1635_683:                           ;   in Loop: Header=BB1635_638 Depth=2
	v_and_b32_e32 v21, 1, v14
	v_lshrrev_b32_e32 v21, s41, v21
	v_and_b32_e32 v21, s62, v21
	v_lshl_or_b32 v21, v21, 4, v63
	ds_add_u32 v21, v89
	s_or_b32 exec_lo, exec_lo, s16
	s_mov_b32 s16, exec_lo
	v_cmpx_gt_u32_e64 s15, v52
	s_cbranch_execz .LBB1635_668
.LBB1635_684:                           ;   in Loop: Header=BB1635_638 Depth=2
	v_and_b32_e32 v21, 1, v13
	v_lshrrev_b32_e32 v21, s41, v21
	v_and_b32_e32 v21, s62, v21
	v_lshl_or_b32 v21, v21, 4, v63
	ds_add_u32 v21, v89
	s_or_b32 exec_lo, exec_lo, s16
	s_mov_b32 s16, exec_lo
	v_cmpx_gt_u32_e64 s15, v53
	s_cbranch_execz .LBB1635_669
.LBB1635_685:                           ;   in Loop: Header=BB1635_638 Depth=2
	v_and_b32_e32 v21, 1, v12
	v_lshrrev_b32_e32 v21, s41, v21
	v_and_b32_e32 v21, s62, v21
	v_lshl_or_b32 v21, v21, 4, v63
	ds_add_u32 v21, v89
	s_or_b32 exec_lo, exec_lo, s16
	s_mov_b32 s16, exec_lo
	v_cmpx_gt_u32_e64 s15, v54
	s_cbranch_execz .LBB1635_670
.LBB1635_686:                           ;   in Loop: Header=BB1635_638 Depth=2
	v_and_b32_e32 v21, 1, v11
	v_lshrrev_b32_e32 v21, s41, v21
	v_and_b32_e32 v21, s62, v21
	v_lshl_or_b32 v21, v21, 4, v63
	ds_add_u32 v21, v89
	s_or_b32 exec_lo, exec_lo, s16
	s_mov_b32 s16, exec_lo
	v_cmpx_gt_u32_e64 s15, v55
	s_cbranch_execz .LBB1635_671
.LBB1635_687:                           ;   in Loop: Header=BB1635_638 Depth=2
	v_and_b32_e32 v21, 1, v10
	v_lshrrev_b32_e32 v21, s41, v21
	v_and_b32_e32 v21, s62, v21
	v_lshl_or_b32 v21, v21, 4, v63
	ds_add_u32 v21, v89
	s_or_b32 exec_lo, exec_lo, s16
	s_mov_b32 s16, exec_lo
	v_cmpx_gt_u32_e64 s15, v56
	s_cbranch_execz .LBB1635_672
.LBB1635_688:                           ;   in Loop: Header=BB1635_638 Depth=2
	v_and_b32_e32 v21, 1, v9
	v_lshrrev_b32_e32 v21, s41, v21
	v_and_b32_e32 v21, s62, v21
	v_lshl_or_b32 v21, v21, 4, v63
	ds_add_u32 v21, v89
	s_or_b32 exec_lo, exec_lo, s16
	s_mov_b32 s16, exec_lo
	v_cmpx_gt_u32_e64 s15, v57
	s_cbranch_execz .LBB1635_673
.LBB1635_689:                           ;   in Loop: Header=BB1635_638 Depth=2
	v_and_b32_e32 v21, 1, v8
	v_lshrrev_b32_e32 v21, s41, v21
	v_and_b32_e32 v21, s62, v21
	v_lshl_or_b32 v21, v21, 4, v63
	ds_add_u32 v21, v89
	s_or_b32 exec_lo, exec_lo, s16
	s_mov_b32 s16, exec_lo
	v_cmpx_gt_u32_e64 s15, v58
	s_cbranch_execz .LBB1635_674
.LBB1635_690:                           ;   in Loop: Header=BB1635_638 Depth=2
	v_and_b32_e32 v21, 1, v7
	v_lshrrev_b32_e32 v21, s41, v21
	v_and_b32_e32 v21, s62, v21
	v_lshl_or_b32 v21, v21, 4, v63
	ds_add_u32 v21, v89
	s_or_b32 exec_lo, exec_lo, s16
	s_mov_b32 s16, exec_lo
	v_cmpx_gt_u32_e64 s15, v59
	s_cbranch_execz .LBB1635_675
.LBB1635_691:                           ;   in Loop: Header=BB1635_638 Depth=2
	v_and_b32_e32 v21, 1, v6
	v_lshrrev_b32_e32 v21, s41, v21
	v_and_b32_e32 v21, s62, v21
	v_lshl_or_b32 v21, v21, 4, v63
	ds_add_u32 v21, v89
	s_or_b32 exec_lo, exec_lo, s16
	s_mov_b32 s16, exec_lo
	v_cmpx_gt_u32_e64 s15, v60
	s_cbranch_execz .LBB1635_676
.LBB1635_692:                           ;   in Loop: Header=BB1635_638 Depth=2
	v_and_b32_e32 v21, 1, v5
	v_lshrrev_b32_e32 v21, s41, v21
	v_and_b32_e32 v21, s62, v21
	v_lshl_or_b32 v21, v21, 4, v63
	ds_add_u32 v21, v89
	s_or_b32 exec_lo, exec_lo, s16
	v_cmp_gt_u32_e32 vcc_lo, s15, v61
	s_and_saveexec_b32 s15, vcc_lo
	s_cbranch_execz .LBB1635_637
.LBB1635_693:                           ;   in Loop: Header=BB1635_638 Depth=2
	v_and_b32_e32 v21, 1, v3
	v_lshrrev_b32_e32 v21, s41, v21
	v_and_b32_e32 v21, s62, v21
	v_lshl_or_b32 v21, v21, 4, v63
	ds_add_u32 v21, v89
	s_branch .LBB1635_637
.LBB1635_694:                           ;   in Loop: Header=BB1635_638 Depth=2
	s_waitcnt vmcnt(0)
	v_add_co_u32 v21, s18, s15, v0
	v_add_co_ci_u32_e64 v22, null, s16, 0, s18
	global_load_ubyte v17, v[21:22], off
	s_or_b32 exec_lo, exec_lo, s17
	s_mov_b32 s17, exec_lo
	v_cmpx_gt_u32_e64 s5, v44
	s_cbranch_execz .LBB1635_643
.LBB1635_695:                           ;   in Loop: Header=BB1635_638 Depth=2
	v_add_co_u32 v20, s18, s15, v0
	s_waitcnt vmcnt(0)
	v_add_co_ci_u32_e64 v21, null, s16, 0, s18
	global_load_ubyte v20, v[20:21], off offset:256
	s_or_b32 exec_lo, exec_lo, s17
	s_mov_b32 s17, exec_lo
	v_cmpx_gt_u32_e64 s5, v47
	s_cbranch_execz .LBB1635_644
.LBB1635_696:                           ;   in Loop: Header=BB1635_638 Depth=2
	s_waitcnt vmcnt(0)
	v_add_co_u32 v21, s18, s15, v0
	v_add_co_ci_u32_e64 v22, null, s16, 0, s18
	global_load_ubyte v19, v[21:22], off offset:512
	s_or_b32 exec_lo, exec_lo, s17
	s_mov_b32 s17, exec_lo
	v_cmpx_gt_u32_e64 s5, v48
	s_cbranch_execz .LBB1635_645
.LBB1635_697:                           ;   in Loop: Header=BB1635_638 Depth=2
	s_waitcnt vmcnt(0)
	v_add_co_u32 v21, s18, s15, v0
	v_add_co_ci_u32_e64 v22, null, s16, 0, s18
	global_load_ubyte v18, v[21:22], off offset:768
	s_or_b32 exec_lo, exec_lo, s17
	s_mov_b32 s17, exec_lo
	v_cmpx_gt_u32_e64 s5, v49
	s_cbranch_execz .LBB1635_646
.LBB1635_698:                           ;   in Loop: Header=BB1635_638 Depth=2
	s_waitcnt vmcnt(0)
	v_add_co_u32 v21, s18, s15, v0
	v_add_co_ci_u32_e64 v22, null, s16, 0, s18
	global_load_ubyte v16, v[21:22], off offset:1024
	s_or_b32 exec_lo, exec_lo, s17
	s_mov_b32 s17, exec_lo
	v_cmpx_gt_u32_e64 s5, v50
	s_cbranch_execz .LBB1635_647
.LBB1635_699:                           ;   in Loop: Header=BB1635_638 Depth=2
	s_waitcnt vmcnt(0)
	v_add_co_u32 v21, s18, s15, v0
	v_add_co_ci_u32_e64 v22, null, s16, 0, s18
	global_load_ubyte v15, v[21:22], off offset:1280
	s_or_b32 exec_lo, exec_lo, s17
	s_mov_b32 s17, exec_lo
	v_cmpx_gt_u32_e64 s5, v51
	s_cbranch_execz .LBB1635_648
.LBB1635_700:                           ;   in Loop: Header=BB1635_638 Depth=2
	s_waitcnt vmcnt(0)
	v_add_co_u32 v21, s18, s15, v0
	v_add_co_ci_u32_e64 v22, null, s16, 0, s18
	global_load_ubyte v14, v[21:22], off offset:1536
	s_or_b32 exec_lo, exec_lo, s17
	s_mov_b32 s17, exec_lo
	v_cmpx_gt_u32_e64 s5, v52
	s_cbranch_execz .LBB1635_649
.LBB1635_701:                           ;   in Loop: Header=BB1635_638 Depth=2
	s_waitcnt vmcnt(0)
	v_add_co_u32 v21, s18, s15, v0
	v_add_co_ci_u32_e64 v22, null, s16, 0, s18
	global_load_ubyte v13, v[21:22], off offset:1792
	s_or_b32 exec_lo, exec_lo, s17
	s_mov_b32 s17, exec_lo
	v_cmpx_gt_u32_e64 s5, v53
	s_cbranch_execz .LBB1635_650
.LBB1635_702:                           ;   in Loop: Header=BB1635_638 Depth=2
	s_waitcnt vmcnt(0)
	v_add_co_u32 v21, s18, s15, v53
	v_add_co_ci_u32_e64 v22, null, s16, 0, s18
	global_load_ubyte v12, v[21:22], off
	s_or_b32 exec_lo, exec_lo, s17
	s_mov_b32 s17, exec_lo
	v_cmpx_gt_u32_e64 s5, v54
	s_cbranch_execz .LBB1635_651
.LBB1635_703:                           ;   in Loop: Header=BB1635_638 Depth=2
	s_waitcnt vmcnt(0)
	v_add_co_u32 v21, s18, s15, v54
	v_add_co_ci_u32_e64 v22, null, s16, 0, s18
	global_load_ubyte v11, v[21:22], off
	s_or_b32 exec_lo, exec_lo, s17
	s_mov_b32 s17, exec_lo
	v_cmpx_gt_u32_e64 s5, v55
	s_cbranch_execz .LBB1635_652
.LBB1635_704:                           ;   in Loop: Header=BB1635_638 Depth=2
	s_waitcnt vmcnt(0)
	v_add_co_u32 v21, s18, s15, v55
	v_add_co_ci_u32_e64 v22, null, s16, 0, s18
	global_load_ubyte v10, v[21:22], off
	s_or_b32 exec_lo, exec_lo, s17
	s_mov_b32 s17, exec_lo
	v_cmpx_gt_u32_e64 s5, v56
	s_cbranch_execz .LBB1635_653
.LBB1635_705:                           ;   in Loop: Header=BB1635_638 Depth=2
	s_waitcnt vmcnt(0)
	v_add_co_u32 v21, s18, s15, v56
	v_add_co_ci_u32_e64 v22, null, s16, 0, s18
	global_load_ubyte v9, v[21:22], off
	s_or_b32 exec_lo, exec_lo, s17
	s_mov_b32 s17, exec_lo
	v_cmpx_gt_u32_e64 s5, v57
	s_cbranch_execz .LBB1635_654
.LBB1635_706:                           ;   in Loop: Header=BB1635_638 Depth=2
	s_waitcnt vmcnt(0)
	v_add_co_u32 v21, s18, s15, v57
	v_add_co_ci_u32_e64 v22, null, s16, 0, s18
	global_load_ubyte v8, v[21:22], off
	s_or_b32 exec_lo, exec_lo, s17
	s_mov_b32 s17, exec_lo
	v_cmpx_gt_u32_e64 s5, v58
	s_cbranch_execz .LBB1635_655
.LBB1635_707:                           ;   in Loop: Header=BB1635_638 Depth=2
	s_waitcnt vmcnt(0)
	v_add_co_u32 v21, s18, s15, v58
	v_add_co_ci_u32_e64 v22, null, s16, 0, s18
	global_load_ubyte v7, v[21:22], off
	s_or_b32 exec_lo, exec_lo, s17
	s_mov_b32 s17, exec_lo
	v_cmpx_gt_u32_e64 s5, v59
	s_cbranch_execz .LBB1635_656
.LBB1635_708:                           ;   in Loop: Header=BB1635_638 Depth=2
	s_waitcnt vmcnt(0)
	v_add_co_u32 v21, s18, s15, v59
	v_add_co_ci_u32_e64 v22, null, s16, 0, s18
	global_load_ubyte v6, v[21:22], off
	s_or_b32 exec_lo, exec_lo, s17
	s_mov_b32 s17, exec_lo
	v_cmpx_gt_u32_e64 s5, v60
	s_cbranch_execz .LBB1635_657
.LBB1635_709:                           ;   in Loop: Header=BB1635_638 Depth=2
	s_waitcnt vmcnt(0)
	v_add_co_u32 v21, s18, s15, v60
	v_add_co_ci_u32_e64 v22, null, s16, 0, s18
	global_load_ubyte v5, v[21:22], off
	s_or_b32 exec_lo, exec_lo, s17
	s_mov_b32 s17, exec_lo
	v_cmpx_gt_u32_e64 s5, v61
	s_cbranch_execnz .LBB1635_658
	s_branch .LBB1635_659
.LBB1635_710:                           ;   in Loop: Header=BB1635_12 Depth=1
	v_mov_b32_e32 v3, 0
	s_waitcnt lgkmcnt(0)
	s_barrier
	buffer_gl0_inv
	s_and_saveexec_b32 s5, s7
	s_cbranch_execz .LBB1635_712
; %bb.711:                              ;   in Loop: Header=BB1635_12 Depth=1
	ds_read2_b64 v[5:8], v64 offset1:1
	s_waitcnt lgkmcnt(0)
	v_add_nc_u32_e32 v3, v6, v5
	v_add3_u32 v3, v3, v7, v8
.LBB1635_712:                           ;   in Loop: Header=BB1635_12 Depth=1
	s_or_b32 exec_lo, exec_lo, s5
	v_and_b32_e32 v5, 15, v86
	v_mov_b32_dpp v6, v3 row_shr:1 row_mask:0xf bank_mask:0xf
	v_and_b32_e32 v7, 16, v86
	v_cmp_eq_u32_e64 s5, 0, v5
	v_cmp_lt_u32_e64 s14, 1, v5
	v_cmp_lt_u32_e64 s15, 3, v5
	;; [unrolled: 1-line block ×3, first 2 shown]
	v_cmp_eq_u32_e64 s17, 0, v7
	v_cndmask_b32_e64 v6, v6, 0, s5
	v_add_nc_u32_e32 v3, v6, v3
	v_mov_b32_dpp v6, v3 row_shr:2 row_mask:0xf bank_mask:0xf
	v_cndmask_b32_e64 v6, 0, v6, s14
	v_add_nc_u32_e32 v3, v3, v6
	v_mov_b32_dpp v6, v3 row_shr:4 row_mask:0xf bank_mask:0xf
	;; [unrolled: 3-line block ×3, first 2 shown]
	v_cndmask_b32_e64 v5, 0, v6, s16
	v_bfe_i32 v6, v86, 4, 1
	v_add_nc_u32_e32 v3, v3, v5
	ds_swizzle_b32 v5, v3 offset:swizzle(BROADCAST,32,15)
	s_waitcnt lgkmcnt(0)
	v_and_b32_e32 v5, v6, v5
	v_add_nc_u32_e32 v3, v3, v5
	s_and_saveexec_b32 s18, s8
; %bb.713:                              ;   in Loop: Header=BB1635_12 Depth=1
	ds_write_b32 v65, v3
; %bb.714:                              ;   in Loop: Header=BB1635_12 Depth=1
	s_or_b32 exec_lo, exec_lo, s18
	s_waitcnt lgkmcnt(0)
	s_barrier
	buffer_gl0_inv
	s_and_saveexec_b32 s18, s9
	s_cbranch_execz .LBB1635_716
; %bb.715:                              ;   in Loop: Header=BB1635_12 Depth=1
	ds_read_b32 v5, v66
	v_and_b32_e32 v6, 3, v86
	v_cmp_ne_u32_e32 vcc_lo, 0, v6
	s_waitcnt lgkmcnt(0)
	v_mov_b32_dpp v7, v5 row_shr:1 row_mask:0xf bank_mask:0xf
	v_cndmask_b32_e32 v7, 0, v7, vcc_lo
	v_cmp_lt_u32_e32 vcc_lo, 1, v6
	v_add_nc_u32_e32 v5, v7, v5
	v_mov_b32_dpp v7, v5 row_shr:2 row_mask:0xf bank_mask:0xf
	v_cndmask_b32_e32 v6, 0, v7, vcc_lo
	v_add_nc_u32_e32 v5, v5, v6
	ds_write_b32 v66, v5
.LBB1635_716:                           ;   in Loop: Header=BB1635_12 Depth=1
	s_or_b32 exec_lo, exec_lo, s18
	v_mov_b32_e32 v5, 0
	s_waitcnt lgkmcnt(0)
	s_barrier
	buffer_gl0_inv
	s_and_saveexec_b32 s18, s10
; %bb.717:                              ;   in Loop: Header=BB1635_12 Depth=1
	ds_read_b32 v5, v67
; %bb.718:                              ;   in Loop: Header=BB1635_12 Depth=1
	s_or_b32 exec_lo, exec_lo, s18
	v_sub_co_u32 v6, s18, v86, 1
	s_waitcnt lgkmcnt(0)
	v_add_nc_u32_e32 v3, v5, v3
	s_barrier
	v_cmp_gt_i32_e32 vcc_lo, 0, v6
	buffer_gl0_inv
	v_cndmask_b32_e32 v6, v6, v86, vcc_lo
	v_lshlrev_b32_e32 v92, 2, v6
	ds_bpermute_b32 v3, v92, v3
	s_and_saveexec_b32 s19, s7
	s_cbranch_execz .LBB1635_720
; %bb.719:                              ;   in Loop: Header=BB1635_12 Depth=1
	s_waitcnt lgkmcnt(0)
	v_cndmask_b32_e64 v3, v3, v5, s18
	v_add_nc_u32_e32 v3, s58, v3
	ds_write_b32 v43, v3
.LBB1635_720:                           ;   in Loop: Header=BB1635_12 Depth=1
	s_or_b32 exec_lo, exec_lo, s19
	s_load_dwordx2 s[20:21], s[56:57], 0x0
	v_and_b32_e32 v6, 7, v86
	v_lshlrev_b32_e32 v7, 3, v86
	v_or_b32_e32 v93, v86, v68
	s_mov_b32 s63, s60
	s_mov_b32 s50, s58
                                        ; implicit-def: $vgpr9_vgpr10
                                        ; implicit-def: $vgpr11_vgpr12
                                        ; implicit-def: $vgpr13_vgpr14
                                        ; implicit-def: $vgpr15_vgpr16
                                        ; implicit-def: $vgpr19_vgpr20
                                        ; implicit-def: $vgpr23_vgpr24
                                        ; implicit-def: $vgpr27_vgpr28
                                        ; implicit-def: $vgpr17_vgpr18
                                        ; implicit-def: $vgpr21_vgpr22
                                        ; implicit-def: $vgpr25_vgpr26
                                        ; implicit-def: $vgpr29_vgpr30
                                        ; implicit-def: $vgpr31_vgpr32
                                        ; implicit-def: $vgpr33_vgpr34
                                        ; implicit-def: $vgpr35_vgpr36
                                        ; implicit-def: $vgpr37_vgpr38
                                        ; implicit-def: $vgpr115
                                        ; implicit-def: $vgpr116
                                        ; implicit-def: $vgpr117
                                        ; implicit-def: $vgpr118
                                        ; implicit-def: $vgpr119
                                        ; implicit-def: $vgpr120
                                        ; implicit-def: $vgpr121
                                        ; implicit-def: $vgpr122
                                        ; implicit-def: $vgpr123
                                        ; implicit-def: $vgpr124
                                        ; implicit-def: $vgpr125
                                        ; implicit-def: $vgpr126
                                        ; implicit-def: $vgpr127
                                        ; implicit-def: $vgpr128
                                        ; implicit-def: $vgpr129
                                        ; implicit-def: $vgpr130
                                        ; implicit-def: $vgpr131
                                        ; implicit-def: $vgpr132
                                        ; implicit-def: $vgpr133
	v_add_co_u32 v94, vcc_lo, v84, v7
	v_add_co_ci_u32_e64 v95, null, 0, v85, vcc_lo
	v_add_co_u32 v112, vcc_lo, v87, v86
	v_add_nc_u32_e32 v96, 32, v93
	v_add_nc_u32_e32 v97, 64, v93
	;; [unrolled: 1-line block ×7, first 2 shown]
	s_waitcnt lgkmcnt(0)
	s_cmp_lt_u32 s28, s21
	v_add_nc_u32_e32 v103, 0x100, v93
	s_cselect_b32 s19, 14, 20
	v_add_nc_u32_e32 v104, 0x120, v93
	s_add_u32 s22, s56, s19
	s_addc_u32 s23, s57, 0
	s_cmp_lt_u32 s6, s20
	global_load_ushort v3, v4, s[22:23]
	s_cselect_b32 s19, 12, 18
	v_add_nc_u32_e32 v105, 0x140, v93
	s_add_u32 s20, s56, s19
	s_addc_u32 s21, s57, 0
	v_cmp_eq_u32_e64 s19, 0, v6
	global_load_ushort v5, v4, s[20:21]
	v_cmp_lt_u32_e64 s20, 1, v6
	v_cmp_lt_u32_e64 s21, 3, v6
	v_add_nc_u32_e32 v106, 0x160, v93
	v_add_nc_u32_e32 v107, 0x180, v93
	v_add_nc_u32_e32 v108, 0x1a0, v93
	v_add_nc_u32_e32 v109, 0x1c0, v93
	v_add_nc_u32_e32 v110, 0x1e0, v93
	v_add_nc_u32_e32 v111, 0x200, v93
	v_add_co_ci_u32_e64 v113, null, 0, v88, vcc_lo
                                        ; implicit-def: $vgpr7_vgpr8
	s_waitcnt vmcnt(1)
	v_mad_u32_u24 v3, v2, v3, v1
	s_waitcnt vmcnt(0)
	v_mad_u64_u32 v[5:6], null, v3, v5, v[0:1]
	v_lshrrev_b32_e32 v3, 3, v5
                                        ; implicit-def: $vgpr5_vgpr6
	v_and_b32_e32 v114, 0x1ffffffc, v3
	s_branch .LBB1635_722
.LBB1635_721:                           ;   in Loop: Header=BB1635_722 Depth=2
	s_or_b32 exec_lo, exec_lo, s22
	s_addk_i32 s63, 0xef00
	s_cmp_lt_u32 s64, s59
	s_mov_b32 s50, s64
	s_cbranch_scc0 .LBB1635_944
.LBB1635_722:                           ;   Parent Loop BB1635_12 Depth=1
                                        ; =>  This Inner Loop Header: Depth=2
	s_add_i32 s64, s50, 0x1100
	s_cmp_gt_u32 s64, s59
	s_cbranch_scc1 .LBB1635_724
; %bb.723:                              ;   in Loop: Header=BB1635_722 Depth=2
	v_add_co_u32 v39, vcc_lo, v112, s50
	v_add_co_ci_u32_e64 v40, null, 0, v113, vcc_lo
	s_mov_b32 s22, -1
	s_clause 0xf
	global_load_ubyte v134, v[39:40], off
	global_load_ubyte v135, v[39:40], off offset:32
	global_load_ubyte v136, v[39:40], off offset:64
	;; [unrolled: 1-line block ×15, first 2 shown]
	s_movk_i32 s23, 0x1100
	s_cbranch_execz .LBB1635_725
	s_branch .LBB1635_758
.LBB1635_724:                           ;   in Loop: Header=BB1635_722 Depth=2
	s_mov_b32 s22, 0
                                        ; implicit-def: $vgpr134
                                        ; implicit-def: $vgpr135
                                        ; implicit-def: $vgpr136
                                        ; implicit-def: $vgpr137
                                        ; implicit-def: $vgpr138
                                        ; implicit-def: $vgpr139
                                        ; implicit-def: $vgpr140
                                        ; implicit-def: $vgpr141
                                        ; implicit-def: $vgpr142
                                        ; implicit-def: $vgpr143
                                        ; implicit-def: $vgpr144
                                        ; implicit-def: $vgpr145
                                        ; implicit-def: $vgpr146
                                        ; implicit-def: $vgpr147
                                        ; implicit-def: $vgpr148
                                        ; implicit-def: $vgpr149
	s_movk_i32 s23, 0x1100
.LBB1635_725:                           ;   in Loop: Header=BB1635_722 Depth=2
	v_add_co_u32 v39, vcc_lo, v112, s50
	v_add_co_ci_u32_e64 v40, null, 0, v113, vcc_lo
	s_waitcnt vmcnt(14)
	v_mov_b32_e32 v135, 1
	v_mov_b32_e32 v134, 1
	s_mov_b32 s22, exec_lo
	v_cmpx_gt_u32_e64 s63, v93
	s_cbranch_execz .LBB1635_727
; %bb.726:                              ;   in Loop: Header=BB1635_722 Depth=2
	global_load_ubyte v134, v[39:40], off
.LBB1635_727:                           ;   in Loop: Header=BB1635_722 Depth=2
	s_or_b32 exec_lo, exec_lo, s22
	s_mov_b32 s22, exec_lo
	v_cmpx_gt_u32_e64 s63, v96
	s_cbranch_execz .LBB1635_729
; %bb.728:                              ;   in Loop: Header=BB1635_722 Depth=2
	global_load_ubyte v135, v[39:40], off offset:32
.LBB1635_729:                           ;   in Loop: Header=BB1635_722 Depth=2
	s_or_b32 exec_lo, exec_lo, s22
	s_waitcnt vmcnt(12)
	v_mov_b32_e32 v137, 1
	v_mov_b32_e32 v136, 1
	s_mov_b32 s22, exec_lo
	v_cmpx_gt_u32_e64 s63, v97
	s_cbranch_execz .LBB1635_731
; %bb.730:                              ;   in Loop: Header=BB1635_722 Depth=2
	global_load_ubyte v136, v[39:40], off offset:64
.LBB1635_731:                           ;   in Loop: Header=BB1635_722 Depth=2
	s_or_b32 exec_lo, exec_lo, s22
	s_mov_b32 s22, exec_lo
	v_cmpx_gt_u32_e64 s63, v98
	s_cbranch_execz .LBB1635_733
; %bb.732:                              ;   in Loop: Header=BB1635_722 Depth=2
	global_load_ubyte v137, v[39:40], off offset:96
.LBB1635_733:                           ;   in Loop: Header=BB1635_722 Depth=2
	s_or_b32 exec_lo, exec_lo, s22
	s_waitcnt vmcnt(10)
	v_mov_b32_e32 v139, 1
	v_mov_b32_e32 v138, 1
	s_mov_b32 s22, exec_lo
	v_cmpx_gt_u32_e64 s63, v99
	s_cbranch_execz .LBB1635_735
; %bb.734:                              ;   in Loop: Header=BB1635_722 Depth=2
	global_load_ubyte v138, v[39:40], off offset:128
.LBB1635_735:                           ;   in Loop: Header=BB1635_722 Depth=2
	;; [unrolled: 17-line block ×7, first 2 shown]
	s_or_b32 exec_lo, exec_lo, s22
	s_mov_b32 s22, exec_lo
	v_cmpx_gt_u32_e64 s63, v110
	s_cbranch_execz .LBB1635_757
; %bb.756:                              ;   in Loop: Header=BB1635_722 Depth=2
	global_load_ubyte v149, v[39:40], off offset:480
.LBB1635_757:                           ;   in Loop: Header=BB1635_722 Depth=2
	s_or_b32 exec_lo, exec_lo, s22
	v_cmp_gt_u32_e64 s22, s63, v111
	s_sub_i32 s23, s59, s50
.LBB1635_758:                           ;   in Loop: Header=BB1635_722 Depth=2
	v_mov_b32_e32 v150, 1
	v_mov_b32_e32 v3, s63
	s_and_saveexec_b32 s24, s22
	s_cbranch_execz .LBB1635_760
; %bb.759:                              ;   in Loop: Header=BB1635_722 Depth=2
	v_add_co_u32 v39, vcc_lo, v112, s50
	v_add_co_ci_u32_e64 v40, null, s51, v113, vcc_lo
	v_mov_b32_e32 v3, s23
	global_load_ubyte v150, v[39:40], off offset:512
.LBB1635_760:                           ;   in Loop: Header=BB1635_722 Depth=2
	s_or_b32 exec_lo, exec_lo, s24
	s_waitcnt vmcnt(15)
	v_lshrrev_b32_sdwa v39, s41, v134 dst_sel:DWORD dst_unused:UNUSED_PAD src0_sel:DWORD src1_sel:BYTE_0
	ds_write2_b32 v69, v4, v4 offset0:136 offset1:137
	ds_write2_b32 v69, v4, v4 offset0:138 offset1:139
	ds_write_b32 v69, v4 offset:560
	s_waitcnt vmcnt(0) lgkmcnt(0)
	s_barrier
	v_and_b32_e32 v40, s62, v39
	buffer_gl0_inv
	; wave barrier
	v_add_co_u32 v39, s22, v40, -1
	v_cndmask_b32_e64 v41, 0, 1, s22
	v_mul_u32_u24_e32 v40, 36, v40
	v_cmp_ne_u32_e32 vcc_lo, 0, v41
	v_add_nc_u32_e32 v154, v114, v40
	v_xor_b32_e32 v39, vcc_lo, v39
	v_and_b32_e32 v39, exec_lo, v39
	v_mbcnt_lo_u32_b32 v151, v39, 0
	v_cmp_ne_u32_e64 s22, 0, v39
	v_cmp_eq_u32_e32 vcc_lo, 0, v151
	s_and_b32 s23, s22, vcc_lo
	s_and_saveexec_b32 s22, s23
; %bb.761:                              ;   in Loop: Header=BB1635_722 Depth=2
	v_bcnt_u32_b32 v39, v39, 0
	ds_write_b32 v154, v39 offset:544
; %bb.762:                              ;   in Loop: Header=BB1635_722 Depth=2
	s_or_b32 exec_lo, exec_lo, s22
	v_lshrrev_b32_sdwa v39, s41, v135 dst_sel:DWORD dst_unused:UNUSED_PAD src0_sel:DWORD src1_sel:BYTE_0
	; wave barrier
	v_and_b32_e32 v40, s62, v39
	v_add_co_u32 v39, s22, v40, -1
	v_cndmask_b32_e64 v41, 0, 1, s22
	v_cmp_ne_u32_e32 vcc_lo, 0, v41
	v_mad_u32_u24 v41, v40, 36, v114
	v_mul_u32_u24_e32 v40, 36, v40
	v_xor_b32_e32 v39, vcc_lo, v39
	ds_read_b32 v152, v41 offset:544
	v_add_nc_u32_e32 v157, v114, v40
	; wave barrier
	v_and_b32_e32 v39, exec_lo, v39
	v_mbcnt_lo_u32_b32 v153, v39, 0
	v_cmp_ne_u32_e64 s22, 0, v39
	v_cmp_eq_u32_e32 vcc_lo, 0, v153
	s_and_b32 s23, s22, vcc_lo
	s_and_saveexec_b32 s22, s23
	s_cbranch_execz .LBB1635_764
; %bb.763:                              ;   in Loop: Header=BB1635_722 Depth=2
	s_waitcnt lgkmcnt(0)
	v_bcnt_u32_b32 v39, v39, v152
	ds_write_b32 v157, v39 offset:544
.LBB1635_764:                           ;   in Loop: Header=BB1635_722 Depth=2
	s_or_b32 exec_lo, exec_lo, s22
	v_lshrrev_b32_sdwa v39, s41, v136 dst_sel:DWORD dst_unused:UNUSED_PAD src0_sel:DWORD src1_sel:BYTE_0
	; wave barrier
	v_and_b32_e32 v40, s62, v39
	v_add_co_u32 v39, s22, v40, -1
	v_cndmask_b32_e64 v41, 0, 1, s22
	v_cmp_ne_u32_e32 vcc_lo, 0, v41
	v_mad_u32_u24 v41, v40, 36, v114
	v_mul_u32_u24_e32 v40, 36, v40
	v_xor_b32_e32 v39, vcc_lo, v39
	ds_read_b32 v155, v41 offset:544
	v_add_nc_u32_e32 v160, v114, v40
	; wave barrier
	v_and_b32_e32 v39, exec_lo, v39
	v_mbcnt_lo_u32_b32 v156, v39, 0
	v_cmp_ne_u32_e64 s22, 0, v39
	v_cmp_eq_u32_e32 vcc_lo, 0, v156
	s_and_b32 s23, s22, vcc_lo
	s_and_saveexec_b32 s22, s23
	s_cbranch_execz .LBB1635_766
; %bb.765:                              ;   in Loop: Header=BB1635_722 Depth=2
	s_waitcnt lgkmcnt(0)
	v_bcnt_u32_b32 v39, v39, v155
	ds_write_b32 v160, v39 offset:544
.LBB1635_766:                           ;   in Loop: Header=BB1635_722 Depth=2
	;; [unrolled: 25-line block ×16, first 2 shown]
	s_or_b32 exec_lo, exec_lo, s22
	; wave barrier
	s_waitcnt lgkmcnt(0)
	s_barrier
	buffer_gl0_inv
	ds_read2_b32 v[41:42], v69 offset0:136 offset1:137
	ds_read2_b32 v[39:40], v69 offset0:138 offset1:139
	ds_read_b32 v201, v69 offset:560
	s_waitcnt lgkmcnt(1)
	v_add3_u32 v202, v42, v41, v39
	s_waitcnt lgkmcnt(0)
	v_add3_u32 v201, v202, v40, v201
	v_mov_b32_dpp v202, v201 row_shr:1 row_mask:0xf bank_mask:0xf
	v_cndmask_b32_e64 v202, v202, 0, s5
	v_add_nc_u32_e32 v201, v202, v201
	v_mov_b32_dpp v202, v201 row_shr:2 row_mask:0xf bank_mask:0xf
	v_cndmask_b32_e64 v202, 0, v202, s14
	v_add_nc_u32_e32 v201, v201, v202
	;; [unrolled: 3-line block ×4, first 2 shown]
	ds_swizzle_b32 v202, v201 offset:swizzle(BROADCAST,32,15)
	s_waitcnt lgkmcnt(0)
	v_cndmask_b32_e64 v202, v202, 0, s17
	v_add_nc_u32_e32 v201, v201, v202
	s_and_saveexec_b32 s22, s4
; %bb.795:                              ;   in Loop: Header=BB1635_722 Depth=2
	ds_write_b32 v62, v201 offset:512
; %bb.796:                              ;   in Loop: Header=BB1635_722 Depth=2
	s_or_b32 exec_lo, exec_lo, s22
	s_waitcnt lgkmcnt(0)
	s_barrier
	buffer_gl0_inv
	s_and_saveexec_b32 s22, s11
	s_cbranch_execz .LBB1635_798
; %bb.797:                              ;   in Loop: Header=BB1635_722 Depth=2
	ds_read_b32 v202, v70 offset:512
	s_waitcnt lgkmcnt(0)
	v_mov_b32_dpp v203, v202 row_shr:1 row_mask:0xf bank_mask:0xf
	v_cndmask_b32_e64 v203, v203, 0, s19
	v_add_nc_u32_e32 v202, v203, v202
	v_mov_b32_dpp v203, v202 row_shr:2 row_mask:0xf bank_mask:0xf
	v_cndmask_b32_e64 v203, 0, v203, s20
	v_add_nc_u32_e32 v202, v202, v203
	;; [unrolled: 3-line block ×3, first 2 shown]
	ds_write_b32 v70, v202 offset:512
.LBB1635_798:                           ;   in Loop: Header=BB1635_722 Depth=2
	s_or_b32 exec_lo, exec_lo, s22
	v_mov_b32_e32 v202, 0
	s_waitcnt lgkmcnt(0)
	s_barrier
	buffer_gl0_inv
	s_and_saveexec_b32 s22, s10
; %bb.799:                              ;   in Loop: Header=BB1635_722 Depth=2
	ds_read_b32 v202, v62 offset:508
; %bb.800:                              ;   in Loop: Header=BB1635_722 Depth=2
	s_or_b32 exec_lo, exec_lo, s22
	s_waitcnt lgkmcnt(0)
	v_add_nc_u32_e32 v201, v202, v201
	ds_bpermute_b32 v201, v92, v201
	s_waitcnt lgkmcnt(0)
	v_cndmask_b32_e64 v201, v201, v202, s18
	v_cndmask_b32_e64 v201, v201, 0, s12
	v_add_nc_u32_e32 v41, v201, v41
	v_add_nc_u32_e32 v42, v41, v42
	;; [unrolled: 1-line block ×4, first 2 shown]
	ds_write2_b32 v69, v201, v41 offset0:136 offset1:137
	ds_write2_b32 v69, v42, v39 offset0:138 offset1:139
	ds_write_b32 v69, v40 offset:560
	s_waitcnt lgkmcnt(0)
	s_barrier
	buffer_gl0_inv
	ds_read_b32 v39, v154 offset:544
	ds_read_b32 v40, v157 offset:544
	;; [unrolled: 1-line block ×17, first 2 shown]
	s_and_saveexec_b32 s22, s7
	s_cbranch_execz .LBB1635_804
; %bb.801:                              ;   in Loop: Header=BB1635_722 Depth=2
	v_add_nc_u32_e32 v132, v70, v72
	v_mov_b32_e32 v133, 0x1100
	ds_read_b32 v132, v132 offset:544
	s_and_saveexec_b32 s23, s13
; %bb.802:                              ;   in Loop: Header=BB1635_722 Depth=2
	ds_read_b32 v133, v71 offset:544
; %bb.803:                              ;   in Loop: Header=BB1635_722 Depth=2
	s_or_b32 exec_lo, exec_lo, s23
	s_waitcnt lgkmcnt(0)
	v_sub_nc_u32_e32 v133, v133, v132
.LBB1635_804:                           ;   in Loop: Header=BB1635_722 Depth=2
	s_or_b32 exec_lo, exec_lo, s22
	s_waitcnt lgkmcnt(0)
	s_barrier
	buffer_gl0_inv
	s_and_saveexec_b32 s22, s7
	s_cbranch_execz .LBB1635_806
; %bb.805:                              ;   in Loop: Header=BB1635_722 Depth=2
	ds_read_b32 v160, v43
	s_waitcnt lgkmcnt(0)
	v_sub_nc_u32_e32 v160, v160, v132
	ds_write_b32 v43, v160
.LBB1635_806:                           ;   in Loop: Header=BB1635_722 Depth=2
	s_or_b32 exec_lo, exec_lo, s22
	v_add_nc_u32_e32 v165, v39, v151
	v_add3_u32 v164, v153, v152, v40
	v_add3_u32 v163, v156, v155, v41
	;; [unrolled: 1-line block ×16, first 2 shown]
	v_cmp_lt_u32_e64 s39, v0, v3
	ds_write_b8 v165, v134 offset:512
	ds_write_b8 v164, v135 offset:512
	;; [unrolled: 1-line block ×17, first 2 shown]
	s_waitcnt lgkmcnt(0)
	s_barrier
	buffer_gl0_inv
	s_and_saveexec_b32 s22, s39
	s_cbranch_execnz .LBB1635_879
; %bb.807:                              ;   in Loop: Header=BB1635_722 Depth=2
	s_or_b32 exec_lo, exec_lo, s22
	v_cmp_lt_u32_e64 s38, v44, v3
	s_and_saveexec_b32 s22, s38
	s_cbranch_execnz .LBB1635_880
.LBB1635_808:                           ;   in Loop: Header=BB1635_722 Depth=2
	s_or_b32 exec_lo, exec_lo, s22
	v_cmp_lt_u32_e64 s37, v47, v3
	s_and_saveexec_b32 s22, s37
	s_cbranch_execnz .LBB1635_881
.LBB1635_809:                           ;   in Loop: Header=BB1635_722 Depth=2
	s_or_b32 exec_lo, exec_lo, s22
	v_cmp_lt_u32_e64 s36, v48, v3
	s_and_saveexec_b32 s22, s36
	s_cbranch_execnz .LBB1635_882
.LBB1635_810:                           ;   in Loop: Header=BB1635_722 Depth=2
	s_or_b32 exec_lo, exec_lo, s22
	v_cmp_lt_u32_e64 s35, v49, v3
	s_and_saveexec_b32 s22, s35
	s_cbranch_execnz .LBB1635_883
.LBB1635_811:                           ;   in Loop: Header=BB1635_722 Depth=2
	s_or_b32 exec_lo, exec_lo, s22
	v_cmp_lt_u32_e64 s34, v50, v3
	s_and_saveexec_b32 s22, s34
	s_cbranch_execnz .LBB1635_884
.LBB1635_812:                           ;   in Loop: Header=BB1635_722 Depth=2
	s_or_b32 exec_lo, exec_lo, s22
	v_cmp_lt_u32_e64 s33, v51, v3
	s_and_saveexec_b32 s22, s33
	s_cbranch_execnz .LBB1635_885
.LBB1635_813:                           ;   in Loop: Header=BB1635_722 Depth=2
	s_or_b32 exec_lo, exec_lo, s22
	v_cmp_lt_u32_e64 s31, v52, v3
	s_and_saveexec_b32 s22, s31
	s_cbranch_execnz .LBB1635_886
.LBB1635_814:                           ;   in Loop: Header=BB1635_722 Depth=2
	s_or_b32 exec_lo, exec_lo, s22
	v_cmp_lt_u32_e64 s30, v53, v3
	s_and_saveexec_b32 s22, s30
	s_cbranch_execnz .LBB1635_887
.LBB1635_815:                           ;   in Loop: Header=BB1635_722 Depth=2
	s_or_b32 exec_lo, exec_lo, s22
	v_cmp_lt_u32_e64 s29, v54, v3
	s_and_saveexec_b32 s22, s29
	s_cbranch_execnz .LBB1635_888
.LBB1635_816:                           ;   in Loop: Header=BB1635_722 Depth=2
	s_or_b32 exec_lo, exec_lo, s22
	v_cmp_lt_u32_e64 s27, v55, v3
	s_and_saveexec_b32 s22, s27
	s_cbranch_execnz .LBB1635_889
.LBB1635_817:                           ;   in Loop: Header=BB1635_722 Depth=2
	s_or_b32 exec_lo, exec_lo, s22
	v_cmp_lt_u32_e64 s26, v56, v3
	s_and_saveexec_b32 s22, s26
	s_cbranch_execnz .LBB1635_890
.LBB1635_818:                           ;   in Loop: Header=BB1635_722 Depth=2
	s_or_b32 exec_lo, exec_lo, s22
	v_cmp_lt_u32_e64 s25, v57, v3
	s_and_saveexec_b32 s22, s25
	s_cbranch_execnz .LBB1635_891
.LBB1635_819:                           ;   in Loop: Header=BB1635_722 Depth=2
	s_or_b32 exec_lo, exec_lo, s22
	v_cmp_lt_u32_e64 s24, v58, v3
	s_and_saveexec_b32 s22, s24
	s_cbranch_execnz .LBB1635_892
.LBB1635_820:                           ;   in Loop: Header=BB1635_722 Depth=2
	s_or_b32 exec_lo, exec_lo, s22
	v_cmp_lt_u32_e64 s23, v59, v3
	s_and_saveexec_b32 s22, s23
	s_cbranch_execnz .LBB1635_893
.LBB1635_821:                           ;   in Loop: Header=BB1635_722 Depth=2
	s_or_b32 exec_lo, exec_lo, s22
	v_cmp_lt_u32_e64 s22, v60, v3
	s_and_saveexec_b32 s40, s22
	s_cbranch_execnz .LBB1635_894
.LBB1635_822:                           ;   in Loop: Header=BB1635_722 Depth=2
	s_or_b32 exec_lo, exec_lo, s40
	v_cmp_lt_u32_e32 vcc_lo, v61, v3
	s_and_saveexec_b32 s40, vcc_lo
	s_cbranch_execz .LBB1635_824
.LBB1635_823:                           ;   in Loop: Header=BB1635_722 Depth=2
	ds_read_u8 v39, v0 offset:4608
	s_waitcnt lgkmcnt(0)
	v_and_b32_e32 v40, 1, v39
	v_lshrrev_b32_e32 v40, s41, v40
	v_and_b32_e32 v40, s62, v40
	v_lshlrev_b32_e32 v40, 2, v40
	ds_read_b32 v40, v40
	s_waitcnt lgkmcnt(0)
	v_add_nc_u32_e32 v40, v40, v61
	global_store_byte v40, v39, s[46:47]
.LBB1635_824:                           ;   in Loop: Header=BB1635_722 Depth=2
	s_or_b32 exec_lo, exec_lo, s40
	s_lshl_b64 s[66:67], s[50:51], 3
	v_add_co_u32 v39, s40, v94, s66
	v_add_co_ci_u32_e64 v40, null, s67, v95, s40
	v_cmp_lt_u32_e64 s40, v93, v3
	s_and_saveexec_b32 s50, s40
	s_xor_b32 s40, exec_lo, s50
	s_cbranch_execnz .LBB1635_895
; %bb.825:                              ;   in Loop: Header=BB1635_722 Depth=2
	s_or_b32 exec_lo, exec_lo, s40
	s_mov_b32 s50, exec_lo
	v_cmpx_lt_u32_e64 v96, v3
	s_cbranch_execnz .LBB1635_896
.LBB1635_826:                           ;   in Loop: Header=BB1635_722 Depth=2
	s_or_b32 exec_lo, exec_lo, s50
	s_mov_b32 s50, exec_lo
	v_cmpx_lt_u32_e64 v97, v3
	s_cbranch_execnz .LBB1635_897
.LBB1635_827:                           ;   in Loop: Header=BB1635_722 Depth=2
	s_or_b32 exec_lo, exec_lo, s50
	s_mov_b32 s50, exec_lo
	v_cmpx_lt_u32_e64 v98, v3
	s_cbranch_execnz .LBB1635_898
.LBB1635_828:                           ;   in Loop: Header=BB1635_722 Depth=2
	s_or_b32 exec_lo, exec_lo, s50
	s_mov_b32 s50, exec_lo
	v_cmpx_lt_u32_e64 v99, v3
	s_cbranch_execnz .LBB1635_899
.LBB1635_829:                           ;   in Loop: Header=BB1635_722 Depth=2
	s_or_b32 exec_lo, exec_lo, s50
	s_mov_b32 s50, exec_lo
	v_cmpx_lt_u32_e64 v100, v3
	s_cbranch_execnz .LBB1635_900
.LBB1635_830:                           ;   in Loop: Header=BB1635_722 Depth=2
	s_or_b32 exec_lo, exec_lo, s50
	s_mov_b32 s50, exec_lo
	v_cmpx_lt_u32_e64 v101, v3
	s_cbranch_execnz .LBB1635_901
.LBB1635_831:                           ;   in Loop: Header=BB1635_722 Depth=2
	s_or_b32 exec_lo, exec_lo, s50
	s_mov_b32 s50, exec_lo
	v_cmpx_lt_u32_e64 v102, v3
	s_cbranch_execnz .LBB1635_902
.LBB1635_832:                           ;   in Loop: Header=BB1635_722 Depth=2
	s_or_b32 exec_lo, exec_lo, s50
	s_mov_b32 s50, exec_lo
	v_cmpx_lt_u32_e64 v103, v3
	s_cbranch_execnz .LBB1635_903
.LBB1635_833:                           ;   in Loop: Header=BB1635_722 Depth=2
	s_or_b32 exec_lo, exec_lo, s50
	s_mov_b32 s50, exec_lo
	v_cmpx_lt_u32_e64 v104, v3
	s_cbranch_execnz .LBB1635_904
.LBB1635_834:                           ;   in Loop: Header=BB1635_722 Depth=2
	s_or_b32 exec_lo, exec_lo, s50
	s_mov_b32 s50, exec_lo
	v_cmpx_lt_u32_e64 v105, v3
	s_cbranch_execnz .LBB1635_905
.LBB1635_835:                           ;   in Loop: Header=BB1635_722 Depth=2
	s_or_b32 exec_lo, exec_lo, s50
	s_mov_b32 s50, exec_lo
	v_cmpx_lt_u32_e64 v106, v3
	s_cbranch_execnz .LBB1635_906
.LBB1635_836:                           ;   in Loop: Header=BB1635_722 Depth=2
	s_or_b32 exec_lo, exec_lo, s50
	s_mov_b32 s50, exec_lo
	v_cmpx_lt_u32_e64 v107, v3
	s_cbranch_execnz .LBB1635_907
.LBB1635_837:                           ;   in Loop: Header=BB1635_722 Depth=2
	s_or_b32 exec_lo, exec_lo, s50
	s_mov_b32 s50, exec_lo
	v_cmpx_lt_u32_e64 v108, v3
	s_cbranch_execnz .LBB1635_908
.LBB1635_838:                           ;   in Loop: Header=BB1635_722 Depth=2
	s_or_b32 exec_lo, exec_lo, s50
	s_mov_b32 s50, exec_lo
	v_cmpx_lt_u32_e64 v109, v3
	s_cbranch_execnz .LBB1635_909
.LBB1635_839:                           ;   in Loop: Header=BB1635_722 Depth=2
	s_or_b32 exec_lo, exec_lo, s50
	s_mov_b32 s50, exec_lo
	v_cmpx_lt_u32_e64 v110, v3
	s_cbranch_execnz .LBB1635_910
.LBB1635_840:                           ;   in Loop: Header=BB1635_722 Depth=2
	s_or_b32 exec_lo, exec_lo, s50
	s_mov_b32 s50, exec_lo
	v_cmpx_lt_u32_e64 v111, v3
	s_cbranch_execnz .LBB1635_911
.LBB1635_841:                           ;   in Loop: Header=BB1635_722 Depth=2
	s_or_b32 exec_lo, exec_lo, s50
	s_and_saveexec_b32 s40, s39
	s_cbranch_execnz .LBB1635_912
.LBB1635_842:                           ;   in Loop: Header=BB1635_722 Depth=2
	s_or_b32 exec_lo, exec_lo, s40
	s_and_saveexec_b32 s40, s38
	s_cbranch_execnz .LBB1635_913
.LBB1635_843:                           ;   in Loop: Header=BB1635_722 Depth=2
	s_or_b32 exec_lo, exec_lo, s40
	s_and_saveexec_b32 s40, s37
	s_cbranch_execnz .LBB1635_914
.LBB1635_844:                           ;   in Loop: Header=BB1635_722 Depth=2
	s_or_b32 exec_lo, exec_lo, s40
	s_and_saveexec_b32 s40, s36
	s_cbranch_execnz .LBB1635_915
.LBB1635_845:                           ;   in Loop: Header=BB1635_722 Depth=2
	s_or_b32 exec_lo, exec_lo, s40
	s_and_saveexec_b32 s40, s35
	s_cbranch_execnz .LBB1635_916
.LBB1635_846:                           ;   in Loop: Header=BB1635_722 Depth=2
	s_or_b32 exec_lo, exec_lo, s40
	s_and_saveexec_b32 s40, s34
	s_cbranch_execnz .LBB1635_917
.LBB1635_847:                           ;   in Loop: Header=BB1635_722 Depth=2
	s_or_b32 exec_lo, exec_lo, s40
	s_and_saveexec_b32 s40, s33
	s_cbranch_execnz .LBB1635_918
.LBB1635_848:                           ;   in Loop: Header=BB1635_722 Depth=2
	s_or_b32 exec_lo, exec_lo, s40
	s_and_saveexec_b32 s40, s31
	s_cbranch_execnz .LBB1635_919
.LBB1635_849:                           ;   in Loop: Header=BB1635_722 Depth=2
	s_or_b32 exec_lo, exec_lo, s40
	s_and_saveexec_b32 s40, s30
	s_cbranch_execnz .LBB1635_920
.LBB1635_850:                           ;   in Loop: Header=BB1635_722 Depth=2
	s_or_b32 exec_lo, exec_lo, s40
	s_and_saveexec_b32 s40, s29
	s_cbranch_execnz .LBB1635_921
.LBB1635_851:                           ;   in Loop: Header=BB1635_722 Depth=2
	s_or_b32 exec_lo, exec_lo, s40
	s_and_saveexec_b32 s40, s27
	s_cbranch_execnz .LBB1635_922
.LBB1635_852:                           ;   in Loop: Header=BB1635_722 Depth=2
	s_or_b32 exec_lo, exec_lo, s40
	s_and_saveexec_b32 s40, s26
	s_cbranch_execnz .LBB1635_923
.LBB1635_853:                           ;   in Loop: Header=BB1635_722 Depth=2
	s_or_b32 exec_lo, exec_lo, s40
	s_and_saveexec_b32 s40, s25
	s_cbranch_execnz .LBB1635_924
.LBB1635_854:                           ;   in Loop: Header=BB1635_722 Depth=2
	s_or_b32 exec_lo, exec_lo, s40
	s_and_saveexec_b32 s40, s24
	s_cbranch_execnz .LBB1635_925
.LBB1635_855:                           ;   in Loop: Header=BB1635_722 Depth=2
	s_or_b32 exec_lo, exec_lo, s40
	s_and_saveexec_b32 s40, s23
	s_cbranch_execnz .LBB1635_926
.LBB1635_856:                           ;   in Loop: Header=BB1635_722 Depth=2
	s_or_b32 exec_lo, exec_lo, s40
	s_and_saveexec_b32 s40, s22
	s_cbranch_execnz .LBB1635_927
.LBB1635_857:                           ;   in Loop: Header=BB1635_722 Depth=2
	s_or_b32 exec_lo, exec_lo, s40
	s_and_saveexec_b32 s40, vcc_lo
	s_cbranch_execz .LBB1635_859
.LBB1635_858:                           ;   in Loop: Header=BB1635_722 Depth=2
	ds_read_u8 v3, v0 offset:4608
	s_waitcnt lgkmcnt(0)
	v_lshrrev_b32_e32 v3, s41, v3
	v_and_b32_e32 v115, s62, v3
.LBB1635_859:                           ;   in Loop: Header=BB1635_722 Depth=2
	s_or_b32 exec_lo, exec_lo, s40
	v_lshlrev_b32_e32 v3, 3, v165
	v_lshlrev_b32_e32 v39, 3, v164
	s_waitcnt vmcnt(0)
	s_waitcnt_vscnt null, 0x0
	s_barrier
	buffer_gl0_inv
	ds_write_b64 v3, v[37:38] offset:512
	ds_write_b64 v39, v[35:36] offset:512
	v_lshlrev_b32_e32 v3, 3, v163
	v_lshlrev_b32_e32 v39, 3, v162
	v_lshlrev_b32_e32 v40, 3, v161
	v_lshlrev_b32_e32 v134, 3, v160
	v_lshlrev_b32_e32 v135, 3, v159
	ds_write_b64 v3, v[33:34] offset:512
	ds_write_b64 v39, v[31:32] offset:512
	ds_write_b64 v40, v[29:30] offset:512
	ds_write_b64 v134, v[25:26] offset:512
	ds_write_b64 v135, v[21:22] offset:512
	v_lshlrev_b32_e32 v3, 3, v158
	v_lshlrev_b32_e32 v39, 3, v157
	v_lshlrev_b32_e32 v40, 3, v156
	v_lshlrev_b32_e32 v134, 3, v155
	v_lshlrev_b32_e32 v135, 3, v154
	ds_write_b64 v3, v[17:18] offset:512
	ds_write_b64 v39, v[27:28] offset:512
	ds_write_b64 v40, v[23:24] offset:512
	;; [unrolled: 10-line block ×3, first 2 shown]
	ds_write_b64 v42, v[7:8] offset:512
	ds_write_b64 v41, v[5:6] offset:512
	s_waitcnt lgkmcnt(0)
	s_barrier
	buffer_gl0_inv
	s_and_saveexec_b32 s40, s39
	s_cbranch_execnz .LBB1635_928
; %bb.860:                              ;   in Loop: Header=BB1635_722 Depth=2
	s_or_b32 exec_lo, exec_lo, s40
	s_and_saveexec_b32 s39, s38
	s_cbranch_execnz .LBB1635_929
.LBB1635_861:                           ;   in Loop: Header=BB1635_722 Depth=2
	s_or_b32 exec_lo, exec_lo, s39
	s_and_saveexec_b32 s38, s37
	s_cbranch_execnz .LBB1635_930
.LBB1635_862:                           ;   in Loop: Header=BB1635_722 Depth=2
	s_or_b32 exec_lo, exec_lo, s38
	s_and_saveexec_b32 s37, s36
	s_cbranch_execnz .LBB1635_931
.LBB1635_863:                           ;   in Loop: Header=BB1635_722 Depth=2
	s_or_b32 exec_lo, exec_lo, s37
	s_and_saveexec_b32 s36, s35
	s_cbranch_execnz .LBB1635_932
.LBB1635_864:                           ;   in Loop: Header=BB1635_722 Depth=2
	s_or_b32 exec_lo, exec_lo, s36
	s_and_saveexec_b32 s35, s34
	s_cbranch_execnz .LBB1635_933
.LBB1635_865:                           ;   in Loop: Header=BB1635_722 Depth=2
	s_or_b32 exec_lo, exec_lo, s35
	s_and_saveexec_b32 s34, s33
	s_cbranch_execnz .LBB1635_934
.LBB1635_866:                           ;   in Loop: Header=BB1635_722 Depth=2
	s_or_b32 exec_lo, exec_lo, s34
	s_and_saveexec_b32 s33, s31
	s_cbranch_execnz .LBB1635_935
.LBB1635_867:                           ;   in Loop: Header=BB1635_722 Depth=2
	s_or_b32 exec_lo, exec_lo, s33
	s_and_saveexec_b32 s31, s30
	s_cbranch_execnz .LBB1635_936
.LBB1635_868:                           ;   in Loop: Header=BB1635_722 Depth=2
	s_or_b32 exec_lo, exec_lo, s31
	s_and_saveexec_b32 s30, s29
	s_cbranch_execnz .LBB1635_937
.LBB1635_869:                           ;   in Loop: Header=BB1635_722 Depth=2
	s_or_b32 exec_lo, exec_lo, s30
	s_and_saveexec_b32 s29, s27
	s_cbranch_execnz .LBB1635_938
.LBB1635_870:                           ;   in Loop: Header=BB1635_722 Depth=2
	s_or_b32 exec_lo, exec_lo, s29
	s_and_saveexec_b32 s27, s26
	s_cbranch_execnz .LBB1635_939
.LBB1635_871:                           ;   in Loop: Header=BB1635_722 Depth=2
	s_or_b32 exec_lo, exec_lo, s27
	s_and_saveexec_b32 s26, s25
	s_cbranch_execnz .LBB1635_940
.LBB1635_872:                           ;   in Loop: Header=BB1635_722 Depth=2
	s_or_b32 exec_lo, exec_lo, s26
	s_and_saveexec_b32 s25, s24
	s_cbranch_execnz .LBB1635_941
.LBB1635_873:                           ;   in Loop: Header=BB1635_722 Depth=2
	s_or_b32 exec_lo, exec_lo, s25
	s_and_saveexec_b32 s24, s23
	s_cbranch_execnz .LBB1635_942
.LBB1635_874:                           ;   in Loop: Header=BB1635_722 Depth=2
	s_or_b32 exec_lo, exec_lo, s24
	s_and_saveexec_b32 s23, s22
	s_cbranch_execnz .LBB1635_943
.LBB1635_875:                           ;   in Loop: Header=BB1635_722 Depth=2
	s_or_b32 exec_lo, exec_lo, s23
	s_and_saveexec_b32 s22, vcc_lo
	s_cbranch_execz .LBB1635_877
.LBB1635_876:                           ;   in Loop: Header=BB1635_722 Depth=2
	v_lshlrev_b32_e32 v3, 2, v115
	v_add_nc_u32_e32 v39, v0, v75
	ds_read_b32 v3, v3
	ds_read_b64 v[39:40], v39 offset:33280
	s_waitcnt lgkmcnt(1)
	v_add_nc_u32_e32 v3, v3, v61
	v_lshlrev_b64 v[41:42], 3, v[3:4]
	v_add_co_u32 v41, vcc_lo, s52, v41
	v_add_co_ci_u32_e64 v42, null, s53, v42, vcc_lo
	s_waitcnt lgkmcnt(0)
	global_store_dwordx2 v[41:42], v[39:40], off
.LBB1635_877:                           ;   in Loop: Header=BB1635_722 Depth=2
	s_or_b32 exec_lo, exec_lo, s22
	s_waitcnt_vscnt null, 0x0
	s_barrier
	buffer_gl0_inv
	s_and_saveexec_b32 s22, s7
	s_cbranch_execz .LBB1635_721
; %bb.878:                              ;   in Loop: Header=BB1635_722 Depth=2
	ds_read_b32 v3, v43
	s_waitcnt lgkmcnt(0)
	v_add3_u32 v3, v132, v133, v3
	ds_write_b32 v43, v3
	s_branch .LBB1635_721
.LBB1635_879:                           ;   in Loop: Header=BB1635_722 Depth=2
	ds_read_u8 v39, v0 offset:512
	s_waitcnt lgkmcnt(0)
	v_and_b32_e32 v40, 1, v39
	v_lshrrev_b32_e32 v40, s41, v40
	v_and_b32_e32 v40, s62, v40
	v_lshlrev_b32_e32 v40, 2, v40
	ds_read_b32 v40, v40
	s_waitcnt lgkmcnt(0)
	v_add_nc_u32_e32 v40, v40, v0
	global_store_byte v40, v39, s[46:47]
	s_or_b32 exec_lo, exec_lo, s22
	v_cmp_lt_u32_e64 s38, v44, v3
	s_and_saveexec_b32 s22, s38
	s_cbranch_execz .LBB1635_808
.LBB1635_880:                           ;   in Loop: Header=BB1635_722 Depth=2
	ds_read_u8 v39, v0 offset:768
	s_waitcnt lgkmcnt(0)
	v_and_b32_e32 v40, 1, v39
	v_lshrrev_b32_e32 v40, s41, v40
	v_and_b32_e32 v40, s62, v40
	v_lshlrev_b32_e32 v40, 2, v40
	ds_read_b32 v40, v40
	s_waitcnt lgkmcnt(0)
	v_add_nc_u32_e32 v40, v40, v44
	global_store_byte v40, v39, s[46:47]
	s_or_b32 exec_lo, exec_lo, s22
	v_cmp_lt_u32_e64 s37, v47, v3
	s_and_saveexec_b32 s22, s37
	s_cbranch_execz .LBB1635_809
.LBB1635_881:                           ;   in Loop: Header=BB1635_722 Depth=2
	ds_read_u8 v39, v0 offset:1024
	s_waitcnt lgkmcnt(0)
	v_and_b32_e32 v40, 1, v39
	v_lshrrev_b32_e32 v40, s41, v40
	v_and_b32_e32 v40, s62, v40
	v_lshlrev_b32_e32 v40, 2, v40
	ds_read_b32 v40, v40
	s_waitcnt lgkmcnt(0)
	v_add_nc_u32_e32 v40, v40, v47
	global_store_byte v40, v39, s[46:47]
	s_or_b32 exec_lo, exec_lo, s22
	v_cmp_lt_u32_e64 s36, v48, v3
	s_and_saveexec_b32 s22, s36
	s_cbranch_execz .LBB1635_810
.LBB1635_882:                           ;   in Loop: Header=BB1635_722 Depth=2
	ds_read_u8 v39, v0 offset:1280
	s_waitcnt lgkmcnt(0)
	v_and_b32_e32 v40, 1, v39
	v_lshrrev_b32_e32 v40, s41, v40
	v_and_b32_e32 v40, s62, v40
	v_lshlrev_b32_e32 v40, 2, v40
	ds_read_b32 v40, v40
	s_waitcnt lgkmcnt(0)
	v_add_nc_u32_e32 v40, v40, v48
	global_store_byte v40, v39, s[46:47]
	s_or_b32 exec_lo, exec_lo, s22
	v_cmp_lt_u32_e64 s35, v49, v3
	s_and_saveexec_b32 s22, s35
	s_cbranch_execz .LBB1635_811
.LBB1635_883:                           ;   in Loop: Header=BB1635_722 Depth=2
	ds_read_u8 v39, v0 offset:1536
	s_waitcnt lgkmcnt(0)
	v_and_b32_e32 v40, 1, v39
	v_lshrrev_b32_e32 v40, s41, v40
	v_and_b32_e32 v40, s62, v40
	v_lshlrev_b32_e32 v40, 2, v40
	ds_read_b32 v40, v40
	s_waitcnt lgkmcnt(0)
	v_add_nc_u32_e32 v40, v40, v49
	global_store_byte v40, v39, s[46:47]
	s_or_b32 exec_lo, exec_lo, s22
	v_cmp_lt_u32_e64 s34, v50, v3
	s_and_saveexec_b32 s22, s34
	s_cbranch_execz .LBB1635_812
.LBB1635_884:                           ;   in Loop: Header=BB1635_722 Depth=2
	ds_read_u8 v39, v0 offset:1792
	s_waitcnt lgkmcnt(0)
	v_and_b32_e32 v40, 1, v39
	v_lshrrev_b32_e32 v40, s41, v40
	v_and_b32_e32 v40, s62, v40
	v_lshlrev_b32_e32 v40, 2, v40
	ds_read_b32 v40, v40
	s_waitcnt lgkmcnt(0)
	v_add_nc_u32_e32 v40, v40, v50
	global_store_byte v40, v39, s[46:47]
	s_or_b32 exec_lo, exec_lo, s22
	v_cmp_lt_u32_e64 s33, v51, v3
	s_and_saveexec_b32 s22, s33
	s_cbranch_execz .LBB1635_813
.LBB1635_885:                           ;   in Loop: Header=BB1635_722 Depth=2
	ds_read_u8 v39, v0 offset:2048
	s_waitcnt lgkmcnt(0)
	v_and_b32_e32 v40, 1, v39
	v_lshrrev_b32_e32 v40, s41, v40
	v_and_b32_e32 v40, s62, v40
	v_lshlrev_b32_e32 v40, 2, v40
	ds_read_b32 v40, v40
	s_waitcnt lgkmcnt(0)
	v_add_nc_u32_e32 v40, v40, v51
	global_store_byte v40, v39, s[46:47]
	s_or_b32 exec_lo, exec_lo, s22
	v_cmp_lt_u32_e64 s31, v52, v3
	s_and_saveexec_b32 s22, s31
	s_cbranch_execz .LBB1635_814
.LBB1635_886:                           ;   in Loop: Header=BB1635_722 Depth=2
	ds_read_u8 v39, v0 offset:2304
	s_waitcnt lgkmcnt(0)
	v_and_b32_e32 v40, 1, v39
	v_lshrrev_b32_e32 v40, s41, v40
	v_and_b32_e32 v40, s62, v40
	v_lshlrev_b32_e32 v40, 2, v40
	ds_read_b32 v40, v40
	s_waitcnt lgkmcnt(0)
	v_add_nc_u32_e32 v40, v40, v52
	global_store_byte v40, v39, s[46:47]
	s_or_b32 exec_lo, exec_lo, s22
	v_cmp_lt_u32_e64 s30, v53, v3
	s_and_saveexec_b32 s22, s30
	s_cbranch_execz .LBB1635_815
.LBB1635_887:                           ;   in Loop: Header=BB1635_722 Depth=2
	ds_read_u8 v39, v0 offset:2560
	s_waitcnt lgkmcnt(0)
	v_and_b32_e32 v40, 1, v39
	v_lshrrev_b32_e32 v40, s41, v40
	v_and_b32_e32 v40, s62, v40
	v_lshlrev_b32_e32 v40, 2, v40
	ds_read_b32 v40, v40
	s_waitcnt lgkmcnt(0)
	v_add_nc_u32_e32 v40, v40, v53
	global_store_byte v40, v39, s[46:47]
	s_or_b32 exec_lo, exec_lo, s22
	v_cmp_lt_u32_e64 s29, v54, v3
	s_and_saveexec_b32 s22, s29
	s_cbranch_execz .LBB1635_816
.LBB1635_888:                           ;   in Loop: Header=BB1635_722 Depth=2
	ds_read_u8 v39, v0 offset:2816
	s_waitcnt lgkmcnt(0)
	v_and_b32_e32 v40, 1, v39
	v_lshrrev_b32_e32 v40, s41, v40
	v_and_b32_e32 v40, s62, v40
	v_lshlrev_b32_e32 v40, 2, v40
	ds_read_b32 v40, v40
	s_waitcnt lgkmcnt(0)
	v_add_nc_u32_e32 v40, v40, v54
	global_store_byte v40, v39, s[46:47]
	s_or_b32 exec_lo, exec_lo, s22
	v_cmp_lt_u32_e64 s27, v55, v3
	s_and_saveexec_b32 s22, s27
	s_cbranch_execz .LBB1635_817
.LBB1635_889:                           ;   in Loop: Header=BB1635_722 Depth=2
	ds_read_u8 v39, v0 offset:3072
	s_waitcnt lgkmcnt(0)
	v_and_b32_e32 v40, 1, v39
	v_lshrrev_b32_e32 v40, s41, v40
	v_and_b32_e32 v40, s62, v40
	v_lshlrev_b32_e32 v40, 2, v40
	ds_read_b32 v40, v40
	s_waitcnt lgkmcnt(0)
	v_add_nc_u32_e32 v40, v40, v55
	global_store_byte v40, v39, s[46:47]
	s_or_b32 exec_lo, exec_lo, s22
	v_cmp_lt_u32_e64 s26, v56, v3
	s_and_saveexec_b32 s22, s26
	s_cbranch_execz .LBB1635_818
.LBB1635_890:                           ;   in Loop: Header=BB1635_722 Depth=2
	ds_read_u8 v39, v0 offset:3328
	s_waitcnt lgkmcnt(0)
	v_and_b32_e32 v40, 1, v39
	v_lshrrev_b32_e32 v40, s41, v40
	v_and_b32_e32 v40, s62, v40
	v_lshlrev_b32_e32 v40, 2, v40
	ds_read_b32 v40, v40
	s_waitcnt lgkmcnt(0)
	v_add_nc_u32_e32 v40, v40, v56
	global_store_byte v40, v39, s[46:47]
	s_or_b32 exec_lo, exec_lo, s22
	v_cmp_lt_u32_e64 s25, v57, v3
	s_and_saveexec_b32 s22, s25
	s_cbranch_execz .LBB1635_819
.LBB1635_891:                           ;   in Loop: Header=BB1635_722 Depth=2
	ds_read_u8 v39, v0 offset:3584
	s_waitcnt lgkmcnt(0)
	v_and_b32_e32 v40, 1, v39
	v_lshrrev_b32_e32 v40, s41, v40
	v_and_b32_e32 v40, s62, v40
	v_lshlrev_b32_e32 v40, 2, v40
	ds_read_b32 v40, v40
	s_waitcnt lgkmcnt(0)
	v_add_nc_u32_e32 v40, v40, v57
	global_store_byte v40, v39, s[46:47]
	s_or_b32 exec_lo, exec_lo, s22
	v_cmp_lt_u32_e64 s24, v58, v3
	s_and_saveexec_b32 s22, s24
	s_cbranch_execz .LBB1635_820
.LBB1635_892:                           ;   in Loop: Header=BB1635_722 Depth=2
	ds_read_u8 v39, v0 offset:3840
	s_waitcnt lgkmcnt(0)
	v_and_b32_e32 v40, 1, v39
	v_lshrrev_b32_e32 v40, s41, v40
	v_and_b32_e32 v40, s62, v40
	v_lshlrev_b32_e32 v40, 2, v40
	ds_read_b32 v40, v40
	s_waitcnt lgkmcnt(0)
	v_add_nc_u32_e32 v40, v40, v58
	global_store_byte v40, v39, s[46:47]
	s_or_b32 exec_lo, exec_lo, s22
	v_cmp_lt_u32_e64 s23, v59, v3
	s_and_saveexec_b32 s22, s23
	s_cbranch_execz .LBB1635_821
.LBB1635_893:                           ;   in Loop: Header=BB1635_722 Depth=2
	ds_read_u8 v39, v0 offset:4096
	s_waitcnt lgkmcnt(0)
	v_and_b32_e32 v40, 1, v39
	v_lshrrev_b32_e32 v40, s41, v40
	v_and_b32_e32 v40, s62, v40
	v_lshlrev_b32_e32 v40, 2, v40
	ds_read_b32 v40, v40
	s_waitcnt lgkmcnt(0)
	v_add_nc_u32_e32 v40, v40, v59
	global_store_byte v40, v39, s[46:47]
	s_or_b32 exec_lo, exec_lo, s22
	v_cmp_lt_u32_e64 s22, v60, v3
	s_and_saveexec_b32 s40, s22
	s_cbranch_execz .LBB1635_822
.LBB1635_894:                           ;   in Loop: Header=BB1635_722 Depth=2
	ds_read_u8 v39, v0 offset:4352
	s_waitcnt lgkmcnt(0)
	v_and_b32_e32 v40, 1, v39
	v_lshrrev_b32_e32 v40, s41, v40
	v_and_b32_e32 v40, s62, v40
	v_lshlrev_b32_e32 v40, 2, v40
	ds_read_b32 v40, v40
	s_waitcnt lgkmcnt(0)
	v_add_nc_u32_e32 v40, v40, v60
	global_store_byte v40, v39, s[46:47]
	s_or_b32 exec_lo, exec_lo, s40
	v_cmp_lt_u32_e32 vcc_lo, v61, v3
	s_and_saveexec_b32 s40, vcc_lo
	s_cbranch_execnz .LBB1635_823
	s_branch .LBB1635_824
.LBB1635_895:                           ;   in Loop: Header=BB1635_722 Depth=2
	global_load_dwordx2 v[37:38], v[39:40], off
	s_or_b32 exec_lo, exec_lo, s40
	s_mov_b32 s50, exec_lo
	v_cmpx_lt_u32_e64 v96, v3
	s_cbranch_execz .LBB1635_826
.LBB1635_896:                           ;   in Loop: Header=BB1635_722 Depth=2
	global_load_dwordx2 v[35:36], v[39:40], off offset:256
	s_or_b32 exec_lo, exec_lo, s50
	s_mov_b32 s50, exec_lo
	v_cmpx_lt_u32_e64 v97, v3
	s_cbranch_execz .LBB1635_827
.LBB1635_897:                           ;   in Loop: Header=BB1635_722 Depth=2
	global_load_dwordx2 v[33:34], v[39:40], off offset:512
	s_or_b32 exec_lo, exec_lo, s50
	s_mov_b32 s50, exec_lo
	v_cmpx_lt_u32_e64 v98, v3
	s_cbranch_execz .LBB1635_828
.LBB1635_898:                           ;   in Loop: Header=BB1635_722 Depth=2
	global_load_dwordx2 v[31:32], v[39:40], off offset:768
	s_or_b32 exec_lo, exec_lo, s50
	s_mov_b32 s50, exec_lo
	v_cmpx_lt_u32_e64 v99, v3
	s_cbranch_execz .LBB1635_829
.LBB1635_899:                           ;   in Loop: Header=BB1635_722 Depth=2
	global_load_dwordx2 v[29:30], v[39:40], off offset:1024
	s_or_b32 exec_lo, exec_lo, s50
	s_mov_b32 s50, exec_lo
	v_cmpx_lt_u32_e64 v100, v3
	s_cbranch_execz .LBB1635_830
.LBB1635_900:                           ;   in Loop: Header=BB1635_722 Depth=2
	global_load_dwordx2 v[25:26], v[39:40], off offset:1280
	s_or_b32 exec_lo, exec_lo, s50
	s_mov_b32 s50, exec_lo
	v_cmpx_lt_u32_e64 v101, v3
	s_cbranch_execz .LBB1635_831
.LBB1635_901:                           ;   in Loop: Header=BB1635_722 Depth=2
	global_load_dwordx2 v[21:22], v[39:40], off offset:1536
	s_or_b32 exec_lo, exec_lo, s50
	s_mov_b32 s50, exec_lo
	v_cmpx_lt_u32_e64 v102, v3
	s_cbranch_execz .LBB1635_832
.LBB1635_902:                           ;   in Loop: Header=BB1635_722 Depth=2
	global_load_dwordx2 v[17:18], v[39:40], off offset:1792
	s_or_b32 exec_lo, exec_lo, s50
	s_mov_b32 s50, exec_lo
	v_cmpx_lt_u32_e64 v103, v3
	s_cbranch_execz .LBB1635_833
.LBB1635_903:                           ;   in Loop: Header=BB1635_722 Depth=2
	v_add_co_u32 v27, s40, 0x800, v39
	v_add_co_ci_u32_e64 v28, null, 0, v40, s40
	global_load_dwordx2 v[27:28], v[27:28], off
	s_or_b32 exec_lo, exec_lo, s50
	s_mov_b32 s50, exec_lo
	v_cmpx_lt_u32_e64 v104, v3
	s_cbranch_execz .LBB1635_834
.LBB1635_904:                           ;   in Loop: Header=BB1635_722 Depth=2
	v_add_co_u32 v23, s40, 0x800, v39
	v_add_co_ci_u32_e64 v24, null, 0, v40, s40
	global_load_dwordx2 v[23:24], v[23:24], off offset:256
	s_or_b32 exec_lo, exec_lo, s50
	s_mov_b32 s50, exec_lo
	v_cmpx_lt_u32_e64 v105, v3
	s_cbranch_execz .LBB1635_835
.LBB1635_905:                           ;   in Loop: Header=BB1635_722 Depth=2
	v_add_co_u32 v19, s40, 0x800, v39
	v_add_co_ci_u32_e64 v20, null, 0, v40, s40
	global_load_dwordx2 v[19:20], v[19:20], off offset:512
	s_or_b32 exec_lo, exec_lo, s50
	s_mov_b32 s50, exec_lo
	v_cmpx_lt_u32_e64 v106, v3
	s_cbranch_execz .LBB1635_836
.LBB1635_906:                           ;   in Loop: Header=BB1635_722 Depth=2
	v_add_co_u32 v15, s40, 0x800, v39
	v_add_co_ci_u32_e64 v16, null, 0, v40, s40
	global_load_dwordx2 v[15:16], v[15:16], off offset:768
	s_or_b32 exec_lo, exec_lo, s50
	s_mov_b32 s50, exec_lo
	v_cmpx_lt_u32_e64 v107, v3
	s_cbranch_execz .LBB1635_837
.LBB1635_907:                           ;   in Loop: Header=BB1635_722 Depth=2
	v_add_co_u32 v13, s40, 0x800, v39
	v_add_co_ci_u32_e64 v14, null, 0, v40, s40
	global_load_dwordx2 v[13:14], v[13:14], off offset:1024
	s_or_b32 exec_lo, exec_lo, s50
	s_mov_b32 s50, exec_lo
	v_cmpx_lt_u32_e64 v108, v3
	s_cbranch_execz .LBB1635_838
.LBB1635_908:                           ;   in Loop: Header=BB1635_722 Depth=2
	v_add_co_u32 v11, s40, 0x800, v39
	v_add_co_ci_u32_e64 v12, null, 0, v40, s40
	global_load_dwordx2 v[11:12], v[11:12], off offset:1280
	s_or_b32 exec_lo, exec_lo, s50
	s_mov_b32 s50, exec_lo
	v_cmpx_lt_u32_e64 v109, v3
	s_cbranch_execz .LBB1635_839
.LBB1635_909:                           ;   in Loop: Header=BB1635_722 Depth=2
	v_add_co_u32 v9, s40, 0x800, v39
	v_add_co_ci_u32_e64 v10, null, 0, v40, s40
	global_load_dwordx2 v[9:10], v[9:10], off offset:1536
	s_or_b32 exec_lo, exec_lo, s50
	s_mov_b32 s50, exec_lo
	v_cmpx_lt_u32_e64 v110, v3
	s_cbranch_execz .LBB1635_840
.LBB1635_910:                           ;   in Loop: Header=BB1635_722 Depth=2
	v_add_co_u32 v7, s40, 0x800, v39
	v_add_co_ci_u32_e64 v8, null, 0, v40, s40
	global_load_dwordx2 v[7:8], v[7:8], off offset:1792
	s_or_b32 exec_lo, exec_lo, s50
	s_mov_b32 s50, exec_lo
	v_cmpx_lt_u32_e64 v111, v3
	s_cbranch_execz .LBB1635_841
.LBB1635_911:                           ;   in Loop: Header=BB1635_722 Depth=2
	v_add_co_u32 v5, s40, 0x1000, v39
	v_add_co_ci_u32_e64 v6, null, 0, v40, s40
	global_load_dwordx2 v[5:6], v[5:6], off
	s_or_b32 exec_lo, exec_lo, s50
	s_and_saveexec_b32 s40, s39
	s_cbranch_execz .LBB1635_842
.LBB1635_912:                           ;   in Loop: Header=BB1635_722 Depth=2
	ds_read_u8 v3, v0 offset:512
	s_waitcnt lgkmcnt(0)
	v_lshrrev_b32_e32 v3, s41, v3
	v_and_b32_e32 v131, s62, v3
	s_or_b32 exec_lo, exec_lo, s40
	s_and_saveexec_b32 s40, s38
	s_cbranch_execz .LBB1635_843
.LBB1635_913:                           ;   in Loop: Header=BB1635_722 Depth=2
	ds_read_u8 v3, v0 offset:768
	s_waitcnt lgkmcnt(0)
	v_lshrrev_b32_e32 v3, s41, v3
	v_and_b32_e32 v130, s62, v3
	s_or_b32 exec_lo, exec_lo, s40
	s_and_saveexec_b32 s40, s37
	s_cbranch_execz .LBB1635_844
.LBB1635_914:                           ;   in Loop: Header=BB1635_722 Depth=2
	ds_read_u8 v3, v0 offset:1024
	s_waitcnt lgkmcnt(0)
	v_lshrrev_b32_e32 v3, s41, v3
	v_and_b32_e32 v129, s62, v3
	s_or_b32 exec_lo, exec_lo, s40
	s_and_saveexec_b32 s40, s36
	s_cbranch_execz .LBB1635_845
.LBB1635_915:                           ;   in Loop: Header=BB1635_722 Depth=2
	ds_read_u8 v3, v0 offset:1280
	s_waitcnt lgkmcnt(0)
	v_lshrrev_b32_e32 v3, s41, v3
	v_and_b32_e32 v128, s62, v3
	s_or_b32 exec_lo, exec_lo, s40
	s_and_saveexec_b32 s40, s35
	s_cbranch_execz .LBB1635_846
.LBB1635_916:                           ;   in Loop: Header=BB1635_722 Depth=2
	ds_read_u8 v3, v0 offset:1536
	s_waitcnt lgkmcnt(0)
	v_lshrrev_b32_e32 v3, s41, v3
	v_and_b32_e32 v127, s62, v3
	s_or_b32 exec_lo, exec_lo, s40
	s_and_saveexec_b32 s40, s34
	s_cbranch_execz .LBB1635_847
.LBB1635_917:                           ;   in Loop: Header=BB1635_722 Depth=2
	ds_read_u8 v3, v0 offset:1792
	s_waitcnt lgkmcnt(0)
	v_lshrrev_b32_e32 v3, s41, v3
	v_and_b32_e32 v126, s62, v3
	s_or_b32 exec_lo, exec_lo, s40
	s_and_saveexec_b32 s40, s33
	s_cbranch_execz .LBB1635_848
.LBB1635_918:                           ;   in Loop: Header=BB1635_722 Depth=2
	ds_read_u8 v3, v0 offset:2048
	s_waitcnt lgkmcnt(0)
	v_lshrrev_b32_e32 v3, s41, v3
	v_and_b32_e32 v125, s62, v3
	s_or_b32 exec_lo, exec_lo, s40
	s_and_saveexec_b32 s40, s31
	s_cbranch_execz .LBB1635_849
.LBB1635_919:                           ;   in Loop: Header=BB1635_722 Depth=2
	ds_read_u8 v3, v0 offset:2304
	s_waitcnt lgkmcnt(0)
	v_lshrrev_b32_e32 v3, s41, v3
	v_and_b32_e32 v124, s62, v3
	s_or_b32 exec_lo, exec_lo, s40
	s_and_saveexec_b32 s40, s30
	s_cbranch_execz .LBB1635_850
.LBB1635_920:                           ;   in Loop: Header=BB1635_722 Depth=2
	ds_read_u8 v3, v0 offset:2560
	s_waitcnt lgkmcnt(0)
	v_lshrrev_b32_e32 v3, s41, v3
	v_and_b32_e32 v123, s62, v3
	s_or_b32 exec_lo, exec_lo, s40
	s_and_saveexec_b32 s40, s29
	s_cbranch_execz .LBB1635_851
.LBB1635_921:                           ;   in Loop: Header=BB1635_722 Depth=2
	ds_read_u8 v3, v0 offset:2816
	s_waitcnt lgkmcnt(0)
	v_lshrrev_b32_e32 v3, s41, v3
	v_and_b32_e32 v122, s62, v3
	s_or_b32 exec_lo, exec_lo, s40
	s_and_saveexec_b32 s40, s27
	s_cbranch_execz .LBB1635_852
.LBB1635_922:                           ;   in Loop: Header=BB1635_722 Depth=2
	ds_read_u8 v3, v0 offset:3072
	s_waitcnt lgkmcnt(0)
	v_lshrrev_b32_e32 v3, s41, v3
	v_and_b32_e32 v121, s62, v3
	s_or_b32 exec_lo, exec_lo, s40
	s_and_saveexec_b32 s40, s26
	s_cbranch_execz .LBB1635_853
.LBB1635_923:                           ;   in Loop: Header=BB1635_722 Depth=2
	ds_read_u8 v3, v0 offset:3328
	s_waitcnt lgkmcnt(0)
	v_lshrrev_b32_e32 v3, s41, v3
	v_and_b32_e32 v120, s62, v3
	s_or_b32 exec_lo, exec_lo, s40
	s_and_saveexec_b32 s40, s25
	s_cbranch_execz .LBB1635_854
.LBB1635_924:                           ;   in Loop: Header=BB1635_722 Depth=2
	ds_read_u8 v3, v0 offset:3584
	s_waitcnt lgkmcnt(0)
	v_lshrrev_b32_e32 v3, s41, v3
	v_and_b32_e32 v119, s62, v3
	s_or_b32 exec_lo, exec_lo, s40
	s_and_saveexec_b32 s40, s24
	s_cbranch_execz .LBB1635_855
.LBB1635_925:                           ;   in Loop: Header=BB1635_722 Depth=2
	ds_read_u8 v3, v0 offset:3840
	s_waitcnt lgkmcnt(0)
	v_lshrrev_b32_e32 v3, s41, v3
	v_and_b32_e32 v118, s62, v3
	s_or_b32 exec_lo, exec_lo, s40
	s_and_saveexec_b32 s40, s23
	s_cbranch_execz .LBB1635_856
.LBB1635_926:                           ;   in Loop: Header=BB1635_722 Depth=2
	ds_read_u8 v3, v0 offset:4096
	s_waitcnt lgkmcnt(0)
	v_lshrrev_b32_e32 v3, s41, v3
	v_and_b32_e32 v117, s62, v3
	s_or_b32 exec_lo, exec_lo, s40
	s_and_saveexec_b32 s40, s22
	s_cbranch_execz .LBB1635_857
.LBB1635_927:                           ;   in Loop: Header=BB1635_722 Depth=2
	ds_read_u8 v3, v0 offset:4352
	s_waitcnt lgkmcnt(0)
	v_lshrrev_b32_e32 v3, s41, v3
	v_and_b32_e32 v116, s62, v3
	s_or_b32 exec_lo, exec_lo, s40
	s_and_saveexec_b32 s40, vcc_lo
	s_cbranch_execnz .LBB1635_858
	s_branch .LBB1635_859
.LBB1635_928:                           ;   in Loop: Header=BB1635_722 Depth=2
	v_lshlrev_b32_e32 v3, 2, v131
	v_add_nc_u32_e32 v39, v0, v75
	ds_read_b32 v3, v3
	ds_read_b64 v[39:40], v39 offset:512
	s_waitcnt lgkmcnt(1)
	v_add_nc_u32_e32 v3, v3, v0
	v_lshlrev_b64 v[41:42], 3, v[3:4]
	v_add_co_u32 v41, s39, s52, v41
	v_add_co_ci_u32_e64 v42, null, s53, v42, s39
	s_waitcnt lgkmcnt(0)
	global_store_dwordx2 v[41:42], v[39:40], off
	s_or_b32 exec_lo, exec_lo, s40
	s_and_saveexec_b32 s39, s38
	s_cbranch_execz .LBB1635_861
.LBB1635_929:                           ;   in Loop: Header=BB1635_722 Depth=2
	v_lshlrev_b32_e32 v3, 2, v130
	v_add_nc_u32_e32 v39, v0, v75
	ds_read_b32 v3, v3
	ds_read_b64 v[39:40], v39 offset:2560
	s_waitcnt lgkmcnt(1)
	v_add_nc_u32_e32 v3, v3, v44
	v_lshlrev_b64 v[41:42], 3, v[3:4]
	v_add_co_u32 v41, s38, s52, v41
	v_add_co_ci_u32_e64 v42, null, s53, v42, s38
	s_waitcnt lgkmcnt(0)
	global_store_dwordx2 v[41:42], v[39:40], off
	s_or_b32 exec_lo, exec_lo, s39
	s_and_saveexec_b32 s38, s37
	s_cbranch_execz .LBB1635_862
.LBB1635_930:                           ;   in Loop: Header=BB1635_722 Depth=2
	v_lshlrev_b32_e32 v3, 2, v129
	v_add_nc_u32_e32 v39, v0, v75
	ds_read_b32 v3, v3
	ds_read_b64 v[39:40], v39 offset:4608
	s_waitcnt lgkmcnt(1)
	v_add_nc_u32_e32 v3, v3, v47
	v_lshlrev_b64 v[41:42], 3, v[3:4]
	v_add_co_u32 v41, s37, s52, v41
	v_add_co_ci_u32_e64 v42, null, s53, v42, s37
	s_waitcnt lgkmcnt(0)
	global_store_dwordx2 v[41:42], v[39:40], off
	s_or_b32 exec_lo, exec_lo, s38
	s_and_saveexec_b32 s37, s36
	s_cbranch_execz .LBB1635_863
.LBB1635_931:                           ;   in Loop: Header=BB1635_722 Depth=2
	v_lshlrev_b32_e32 v3, 2, v128
	v_add_nc_u32_e32 v39, v0, v75
	ds_read_b32 v3, v3
	ds_read_b64 v[39:40], v39 offset:6656
	s_waitcnt lgkmcnt(1)
	v_add_nc_u32_e32 v3, v3, v48
	v_lshlrev_b64 v[41:42], 3, v[3:4]
	v_add_co_u32 v41, s36, s52, v41
	v_add_co_ci_u32_e64 v42, null, s53, v42, s36
	s_waitcnt lgkmcnt(0)
	global_store_dwordx2 v[41:42], v[39:40], off
	s_or_b32 exec_lo, exec_lo, s37
	s_and_saveexec_b32 s36, s35
	s_cbranch_execz .LBB1635_864
.LBB1635_932:                           ;   in Loop: Header=BB1635_722 Depth=2
	v_lshlrev_b32_e32 v3, 2, v127
	v_add_nc_u32_e32 v39, v0, v75
	ds_read_b32 v3, v3
	ds_read_b64 v[39:40], v39 offset:8704
	s_waitcnt lgkmcnt(1)
	v_add_nc_u32_e32 v3, v3, v49
	v_lshlrev_b64 v[41:42], 3, v[3:4]
	v_add_co_u32 v41, s35, s52, v41
	v_add_co_ci_u32_e64 v42, null, s53, v42, s35
	s_waitcnt lgkmcnt(0)
	global_store_dwordx2 v[41:42], v[39:40], off
	s_or_b32 exec_lo, exec_lo, s36
	s_and_saveexec_b32 s35, s34
	s_cbranch_execz .LBB1635_865
.LBB1635_933:                           ;   in Loop: Header=BB1635_722 Depth=2
	v_lshlrev_b32_e32 v3, 2, v126
	v_add_nc_u32_e32 v39, v0, v75
	ds_read_b32 v3, v3
	ds_read_b64 v[39:40], v39 offset:10752
	s_waitcnt lgkmcnt(1)
	v_add_nc_u32_e32 v3, v3, v50
	v_lshlrev_b64 v[41:42], 3, v[3:4]
	v_add_co_u32 v41, s34, s52, v41
	v_add_co_ci_u32_e64 v42, null, s53, v42, s34
	s_waitcnt lgkmcnt(0)
	global_store_dwordx2 v[41:42], v[39:40], off
	s_or_b32 exec_lo, exec_lo, s35
	s_and_saveexec_b32 s34, s33
	s_cbranch_execz .LBB1635_866
.LBB1635_934:                           ;   in Loop: Header=BB1635_722 Depth=2
	v_lshlrev_b32_e32 v3, 2, v125
	v_add_nc_u32_e32 v39, v0, v75
	ds_read_b32 v3, v3
	ds_read_b64 v[39:40], v39 offset:12800
	s_waitcnt lgkmcnt(1)
	v_add_nc_u32_e32 v3, v3, v51
	v_lshlrev_b64 v[41:42], 3, v[3:4]
	v_add_co_u32 v41, s33, s52, v41
	v_add_co_ci_u32_e64 v42, null, s53, v42, s33
	s_waitcnt lgkmcnt(0)
	global_store_dwordx2 v[41:42], v[39:40], off
	s_or_b32 exec_lo, exec_lo, s34
	s_and_saveexec_b32 s33, s31
	s_cbranch_execz .LBB1635_867
.LBB1635_935:                           ;   in Loop: Header=BB1635_722 Depth=2
	v_lshlrev_b32_e32 v3, 2, v124
	v_add_nc_u32_e32 v39, v0, v75
	ds_read_b32 v3, v3
	ds_read_b64 v[39:40], v39 offset:14848
	s_waitcnt lgkmcnt(1)
	v_add_nc_u32_e32 v3, v3, v52
	v_lshlrev_b64 v[41:42], 3, v[3:4]
	v_add_co_u32 v41, s31, s52, v41
	v_add_co_ci_u32_e64 v42, null, s53, v42, s31
	s_waitcnt lgkmcnt(0)
	global_store_dwordx2 v[41:42], v[39:40], off
	s_or_b32 exec_lo, exec_lo, s33
	s_and_saveexec_b32 s31, s30
	s_cbranch_execz .LBB1635_868
.LBB1635_936:                           ;   in Loop: Header=BB1635_722 Depth=2
	v_lshlrev_b32_e32 v3, 2, v123
	v_add_nc_u32_e32 v39, v0, v75
	ds_read_b32 v3, v3
	ds_read_b64 v[39:40], v39 offset:16896
	s_waitcnt lgkmcnt(1)
	v_add_nc_u32_e32 v3, v3, v53
	v_lshlrev_b64 v[41:42], 3, v[3:4]
	v_add_co_u32 v41, s30, s52, v41
	v_add_co_ci_u32_e64 v42, null, s53, v42, s30
	s_waitcnt lgkmcnt(0)
	global_store_dwordx2 v[41:42], v[39:40], off
	s_or_b32 exec_lo, exec_lo, s31
	s_and_saveexec_b32 s30, s29
	s_cbranch_execz .LBB1635_869
.LBB1635_937:                           ;   in Loop: Header=BB1635_722 Depth=2
	v_lshlrev_b32_e32 v3, 2, v122
	v_add_nc_u32_e32 v39, v0, v75
	ds_read_b32 v3, v3
	ds_read_b64 v[39:40], v39 offset:18944
	s_waitcnt lgkmcnt(1)
	v_add_nc_u32_e32 v3, v3, v54
	v_lshlrev_b64 v[41:42], 3, v[3:4]
	v_add_co_u32 v41, s29, s52, v41
	v_add_co_ci_u32_e64 v42, null, s53, v42, s29
	s_waitcnt lgkmcnt(0)
	global_store_dwordx2 v[41:42], v[39:40], off
	s_or_b32 exec_lo, exec_lo, s30
	s_and_saveexec_b32 s29, s27
	s_cbranch_execz .LBB1635_870
.LBB1635_938:                           ;   in Loop: Header=BB1635_722 Depth=2
	v_lshlrev_b32_e32 v3, 2, v121
	v_add_nc_u32_e32 v39, v0, v75
	ds_read_b32 v3, v3
	ds_read_b64 v[39:40], v39 offset:20992
	s_waitcnt lgkmcnt(1)
	v_add_nc_u32_e32 v3, v3, v55
	v_lshlrev_b64 v[41:42], 3, v[3:4]
	v_add_co_u32 v41, s27, s52, v41
	v_add_co_ci_u32_e64 v42, null, s53, v42, s27
	s_waitcnt lgkmcnt(0)
	global_store_dwordx2 v[41:42], v[39:40], off
	s_or_b32 exec_lo, exec_lo, s29
	s_and_saveexec_b32 s27, s26
	s_cbranch_execz .LBB1635_871
.LBB1635_939:                           ;   in Loop: Header=BB1635_722 Depth=2
	v_lshlrev_b32_e32 v3, 2, v120
	v_add_nc_u32_e32 v39, v0, v75
	ds_read_b32 v3, v3
	ds_read_b64 v[39:40], v39 offset:23040
	s_waitcnt lgkmcnt(1)
	v_add_nc_u32_e32 v3, v3, v56
	v_lshlrev_b64 v[41:42], 3, v[3:4]
	v_add_co_u32 v41, s26, s52, v41
	v_add_co_ci_u32_e64 v42, null, s53, v42, s26
	s_waitcnt lgkmcnt(0)
	global_store_dwordx2 v[41:42], v[39:40], off
	s_or_b32 exec_lo, exec_lo, s27
	s_and_saveexec_b32 s26, s25
	s_cbranch_execz .LBB1635_872
.LBB1635_940:                           ;   in Loop: Header=BB1635_722 Depth=2
	v_lshlrev_b32_e32 v3, 2, v119
	v_add_nc_u32_e32 v39, v0, v75
	ds_read_b32 v3, v3
	ds_read_b64 v[39:40], v39 offset:25088
	s_waitcnt lgkmcnt(1)
	v_add_nc_u32_e32 v3, v3, v57
	v_lshlrev_b64 v[41:42], 3, v[3:4]
	v_add_co_u32 v41, s25, s52, v41
	v_add_co_ci_u32_e64 v42, null, s53, v42, s25
	s_waitcnt lgkmcnt(0)
	global_store_dwordx2 v[41:42], v[39:40], off
	s_or_b32 exec_lo, exec_lo, s26
	s_and_saveexec_b32 s25, s24
	s_cbranch_execz .LBB1635_873
.LBB1635_941:                           ;   in Loop: Header=BB1635_722 Depth=2
	v_lshlrev_b32_e32 v3, 2, v118
	v_add_nc_u32_e32 v39, v0, v75
	ds_read_b32 v3, v3
	ds_read_b64 v[39:40], v39 offset:27136
	s_waitcnt lgkmcnt(1)
	v_add_nc_u32_e32 v3, v3, v58
	v_lshlrev_b64 v[41:42], 3, v[3:4]
	v_add_co_u32 v41, s24, s52, v41
	v_add_co_ci_u32_e64 v42, null, s53, v42, s24
	s_waitcnt lgkmcnt(0)
	global_store_dwordx2 v[41:42], v[39:40], off
	s_or_b32 exec_lo, exec_lo, s25
	s_and_saveexec_b32 s24, s23
	s_cbranch_execz .LBB1635_874
.LBB1635_942:                           ;   in Loop: Header=BB1635_722 Depth=2
	v_lshlrev_b32_e32 v3, 2, v117
	v_add_nc_u32_e32 v39, v0, v75
	ds_read_b32 v3, v3
	ds_read_b64 v[39:40], v39 offset:29184
	s_waitcnt lgkmcnt(1)
	v_add_nc_u32_e32 v3, v3, v59
	v_lshlrev_b64 v[41:42], 3, v[3:4]
	v_add_co_u32 v41, s23, s52, v41
	v_add_co_ci_u32_e64 v42, null, s53, v42, s23
	s_waitcnt lgkmcnt(0)
	global_store_dwordx2 v[41:42], v[39:40], off
	s_or_b32 exec_lo, exec_lo, s24
	s_and_saveexec_b32 s23, s22
	s_cbranch_execz .LBB1635_875
.LBB1635_943:                           ;   in Loop: Header=BB1635_722 Depth=2
	v_lshlrev_b32_e32 v3, 2, v116
	v_add_nc_u32_e32 v39, v0, v75
	ds_read_b32 v3, v3
	ds_read_b64 v[39:40], v39 offset:31232
	s_waitcnt lgkmcnt(1)
	v_add_nc_u32_e32 v3, v3, v60
	v_lshlrev_b64 v[41:42], 3, v[3:4]
	v_add_co_u32 v41, s22, s52, v41
	v_add_co_ci_u32_e64 v42, null, s53, v42, s22
	s_waitcnt lgkmcnt(0)
	global_store_dwordx2 v[41:42], v[39:40], off
	s_or_b32 exec_lo, exec_lo, s23
	s_and_saveexec_b32 s22, vcc_lo
	s_cbranch_execnz .LBB1635_876
	s_branch .LBB1635_877
.LBB1635_944:                           ;   in Loop: Header=BB1635_12 Depth=1
	s_waitcnt lgkmcnt(0)
	s_mov_b32 s5, 0
	s_barrier
.LBB1635_945:                           ;   in Loop: Header=BB1635_12 Depth=1
	s_and_b32 vcc_lo, exec_lo, s5
	s_cbranch_vccz .LBB1635_11
; %bb.946:                              ;   in Loop: Header=BB1635_12 Depth=1
	v_mov_b32_e32 v17, 0
	v_mov_b32_e32 v20, 0
	;; [unrolled: 1-line block ×17, first 2 shown]
	s_mov_b32 s5, s60
	s_mov_b32 s16, s58
	s_barrier
	buffer_gl0_inv
	s_branch .LBB1635_948
.LBB1635_947:                           ;   in Loop: Header=BB1635_948 Depth=2
	s_or_b32 exec_lo, exec_lo, s15
	s_addk_i32 s5, 0xef00
	s_cmp_ge_u32 s14, s59
	s_mov_b32 s16, s14
	s_cbranch_scc1 .LBB1635_1020
.LBB1635_948:                           ;   Parent Loop BB1635_12 Depth=1
                                        ; =>  This Inner Loop Header: Depth=2
	s_add_i32 s14, s16, 0x1100
	s_mov_b32 s15, -1
	s_cmp_gt_u32 s14, s59
                                        ; implicit-def: $vgpr21
                                        ; implicit-def: $vgpr22
                                        ; implicit-def: $vgpr23
                                        ; implicit-def: $vgpr24
                                        ; implicit-def: $vgpr25
                                        ; implicit-def: $vgpr26
                                        ; implicit-def: $vgpr27
                                        ; implicit-def: $vgpr28
                                        ; implicit-def: $vgpr29
                                        ; implicit-def: $vgpr30
                                        ; implicit-def: $vgpr31
                                        ; implicit-def: $vgpr32
                                        ; implicit-def: $vgpr33
                                        ; implicit-def: $vgpr34
                                        ; implicit-def: $vgpr35
                                        ; implicit-def: $vgpr36
                                        ; implicit-def: $vgpr37
	s_cbranch_scc1 .LBB1635_950
; %bb.949:                              ;   in Loop: Header=BB1635_948 Depth=2
	v_add_co_u32 v38, vcc_lo, v82, s16
	v_add_co_ci_u32_e64 v39, null, 0, v83, vcc_lo
	s_mov_b32 s15, 0
	v_add_co_u32 v21, vcc_lo, 0x800, v38
	v_add_co_ci_u32_e64 v22, null, 0, v39, vcc_lo
	v_add_co_u32 v23, vcc_lo, 0x1000, v38
	v_add_co_ci_u32_e64 v24, null, 0, v39, vcc_lo
	s_clause 0x10
	global_load_ubyte v36, v[21:22], off offset:1792
	global_load_ubyte v37, v[23:24], off
	global_load_ubyte v35, v[21:22], off offset:1536
	global_load_ubyte v34, v[21:22], off offset:1280
	;; [unrolled: 1-line block ×6, first 2 shown]
	global_load_ubyte v29, v[21:22], off
	global_load_ubyte v28, v[38:39], off offset:1792
	global_load_ubyte v27, v[38:39], off offset:1536
	;; [unrolled: 1-line block ×7, first 2 shown]
	global_load_ubyte v21, v[38:39], off
.LBB1635_950:                           ;   in Loop: Header=BB1635_948 Depth=2
	s_andn2_b32 vcc_lo, exec_lo, s15
	s_movk_i32 s15, 0x1100
	s_cbranch_vccnz .LBB1635_970
; %bb.951:                              ;   in Loop: Header=BB1635_948 Depth=2
	s_add_u32 s15, s44, s16
	s_addc_u32 s16, s45, 0
	s_mov_b32 s17, exec_lo
	v_cmpx_gt_u32_e64 s5, v0
	s_cbranch_execnz .LBB1635_1004
; %bb.952:                              ;   in Loop: Header=BB1635_948 Depth=2
	s_or_b32 exec_lo, exec_lo, s17
	s_mov_b32 s17, exec_lo
	v_cmpx_gt_u32_e64 s5, v44
	s_cbranch_execnz .LBB1635_1005
.LBB1635_953:                           ;   in Loop: Header=BB1635_948 Depth=2
	s_or_b32 exec_lo, exec_lo, s17
	s_mov_b32 s17, exec_lo
	v_cmpx_gt_u32_e64 s5, v47
	s_cbranch_execnz .LBB1635_1006
.LBB1635_954:                           ;   in Loop: Header=BB1635_948 Depth=2
	s_or_b32 exec_lo, exec_lo, s17
	s_mov_b32 s17, exec_lo
	v_cmpx_gt_u32_e64 s5, v48
	s_cbranch_execnz .LBB1635_1007
.LBB1635_955:                           ;   in Loop: Header=BB1635_948 Depth=2
	s_or_b32 exec_lo, exec_lo, s17
	s_mov_b32 s17, exec_lo
	v_cmpx_gt_u32_e64 s5, v49
	s_cbranch_execnz .LBB1635_1008
.LBB1635_956:                           ;   in Loop: Header=BB1635_948 Depth=2
	s_or_b32 exec_lo, exec_lo, s17
	s_mov_b32 s17, exec_lo
	v_cmpx_gt_u32_e64 s5, v50
	s_cbranch_execnz .LBB1635_1009
.LBB1635_957:                           ;   in Loop: Header=BB1635_948 Depth=2
	s_or_b32 exec_lo, exec_lo, s17
	s_mov_b32 s17, exec_lo
	v_cmpx_gt_u32_e64 s5, v51
	s_cbranch_execnz .LBB1635_1010
.LBB1635_958:                           ;   in Loop: Header=BB1635_948 Depth=2
	s_or_b32 exec_lo, exec_lo, s17
	s_mov_b32 s17, exec_lo
	v_cmpx_gt_u32_e64 s5, v52
	s_cbranch_execnz .LBB1635_1011
.LBB1635_959:                           ;   in Loop: Header=BB1635_948 Depth=2
	s_or_b32 exec_lo, exec_lo, s17
	s_mov_b32 s17, exec_lo
	v_cmpx_gt_u32_e64 s5, v53
	s_cbranch_execnz .LBB1635_1012
.LBB1635_960:                           ;   in Loop: Header=BB1635_948 Depth=2
	s_or_b32 exec_lo, exec_lo, s17
	s_mov_b32 s17, exec_lo
	v_cmpx_gt_u32_e64 s5, v54
	s_cbranch_execnz .LBB1635_1013
.LBB1635_961:                           ;   in Loop: Header=BB1635_948 Depth=2
	s_or_b32 exec_lo, exec_lo, s17
	s_mov_b32 s17, exec_lo
	v_cmpx_gt_u32_e64 s5, v55
	s_cbranch_execnz .LBB1635_1014
.LBB1635_962:                           ;   in Loop: Header=BB1635_948 Depth=2
	s_or_b32 exec_lo, exec_lo, s17
	s_mov_b32 s17, exec_lo
	v_cmpx_gt_u32_e64 s5, v56
	s_cbranch_execnz .LBB1635_1015
.LBB1635_963:                           ;   in Loop: Header=BB1635_948 Depth=2
	s_or_b32 exec_lo, exec_lo, s17
	s_mov_b32 s17, exec_lo
	v_cmpx_gt_u32_e64 s5, v57
	s_cbranch_execnz .LBB1635_1016
.LBB1635_964:                           ;   in Loop: Header=BB1635_948 Depth=2
	s_or_b32 exec_lo, exec_lo, s17
	s_mov_b32 s17, exec_lo
	v_cmpx_gt_u32_e64 s5, v58
	s_cbranch_execnz .LBB1635_1017
.LBB1635_965:                           ;   in Loop: Header=BB1635_948 Depth=2
	s_or_b32 exec_lo, exec_lo, s17
	s_mov_b32 s17, exec_lo
	v_cmpx_gt_u32_e64 s5, v59
	s_cbranch_execnz .LBB1635_1018
.LBB1635_966:                           ;   in Loop: Header=BB1635_948 Depth=2
	s_or_b32 exec_lo, exec_lo, s17
	s_mov_b32 s17, exec_lo
	v_cmpx_gt_u32_e64 s5, v60
	s_cbranch_execnz .LBB1635_1019
.LBB1635_967:                           ;   in Loop: Header=BB1635_948 Depth=2
	s_or_b32 exec_lo, exec_lo, s17
	s_mov_b32 s17, exec_lo
	v_cmpx_gt_u32_e64 s5, v61
	s_cbranch_execz .LBB1635_969
.LBB1635_968:                           ;   in Loop: Header=BB1635_948 Depth=2
	s_waitcnt vmcnt(0)
	v_add_co_u32 v21, s15, s15, v61
	v_add_co_ci_u32_e64 v22, null, s16, 0, s15
	global_load_ubyte v3, v[21:22], off
.LBB1635_969:                           ;   in Loop: Header=BB1635_948 Depth=2
	s_or_b32 exec_lo, exec_lo, s17
	s_waitcnt vmcnt(0)
	v_mov_b32_e32 v21, v17
	v_mov_b32_e32 v22, v20
	;; [unrolled: 1-line block ×17, first 2 shown]
	s_mov_b32 s15, s5
.LBB1635_970:                           ;   in Loop: Header=BB1635_948 Depth=2
	s_waitcnt vmcnt(15)
	v_mov_b32_e32 v3, v37
	v_mov_b32_e32 v5, v36
	s_waitcnt vmcnt(14)
	v_mov_b32_e32 v6, v35
	s_waitcnt vmcnt(13)
	v_mov_b32_e32 v7, v34
	s_waitcnt vmcnt(12)
	v_mov_b32_e32 v8, v33
	s_waitcnt vmcnt(11)
	v_mov_b32_e32 v9, v32
	s_waitcnt vmcnt(10)
	v_mov_b32_e32 v10, v31
	s_waitcnt vmcnt(9)
	v_mov_b32_e32 v11, v30
	s_waitcnt vmcnt(8)
	v_mov_b32_e32 v12, v29
	s_waitcnt vmcnt(7)
	v_mov_b32_e32 v13, v28
	s_waitcnt vmcnt(6)
	v_mov_b32_e32 v14, v27
	s_waitcnt vmcnt(5)
	v_mov_b32_e32 v15, v26
	s_waitcnt vmcnt(4)
	v_mov_b32_e32 v16, v25
	s_waitcnt vmcnt(3)
	v_mov_b32_e32 v18, v24
	s_waitcnt vmcnt(2)
	v_mov_b32_e32 v19, v23
	s_waitcnt vmcnt(1)
	v_mov_b32_e32 v20, v22
	s_waitcnt vmcnt(0)
	v_mov_b32_e32 v17, v21
	s_mov_b32 s16, exec_lo
	v_cmpx_gt_u32_e64 s15, v0
	s_cbranch_execnz .LBB1635_987
; %bb.971:                              ;   in Loop: Header=BB1635_948 Depth=2
	s_or_b32 exec_lo, exec_lo, s16
	s_mov_b32 s16, exec_lo
	v_cmpx_gt_u32_e64 s15, v44
	s_cbranch_execnz .LBB1635_988
.LBB1635_972:                           ;   in Loop: Header=BB1635_948 Depth=2
	s_or_b32 exec_lo, exec_lo, s16
	s_mov_b32 s16, exec_lo
	v_cmpx_gt_u32_e64 s15, v47
	s_cbranch_execnz .LBB1635_989
.LBB1635_973:                           ;   in Loop: Header=BB1635_948 Depth=2
	s_or_b32 exec_lo, exec_lo, s16
	s_mov_b32 s16, exec_lo
	v_cmpx_gt_u32_e64 s15, v48
	s_cbranch_execnz .LBB1635_990
.LBB1635_974:                           ;   in Loop: Header=BB1635_948 Depth=2
	s_or_b32 exec_lo, exec_lo, s16
	s_mov_b32 s16, exec_lo
	v_cmpx_gt_u32_e64 s15, v49
	s_cbranch_execnz .LBB1635_991
.LBB1635_975:                           ;   in Loop: Header=BB1635_948 Depth=2
	s_or_b32 exec_lo, exec_lo, s16
	s_mov_b32 s16, exec_lo
	v_cmpx_gt_u32_e64 s15, v50
	s_cbranch_execnz .LBB1635_992
.LBB1635_976:                           ;   in Loop: Header=BB1635_948 Depth=2
	s_or_b32 exec_lo, exec_lo, s16
	s_mov_b32 s16, exec_lo
	v_cmpx_gt_u32_e64 s15, v51
	s_cbranch_execnz .LBB1635_993
.LBB1635_977:                           ;   in Loop: Header=BB1635_948 Depth=2
	s_or_b32 exec_lo, exec_lo, s16
	s_mov_b32 s16, exec_lo
	v_cmpx_gt_u32_e64 s15, v52
	s_cbranch_execnz .LBB1635_994
.LBB1635_978:                           ;   in Loop: Header=BB1635_948 Depth=2
	s_or_b32 exec_lo, exec_lo, s16
	s_mov_b32 s16, exec_lo
	v_cmpx_gt_u32_e64 s15, v53
	s_cbranch_execnz .LBB1635_995
.LBB1635_979:                           ;   in Loop: Header=BB1635_948 Depth=2
	s_or_b32 exec_lo, exec_lo, s16
	s_mov_b32 s16, exec_lo
	v_cmpx_gt_u32_e64 s15, v54
	s_cbranch_execnz .LBB1635_996
.LBB1635_980:                           ;   in Loop: Header=BB1635_948 Depth=2
	s_or_b32 exec_lo, exec_lo, s16
	s_mov_b32 s16, exec_lo
	v_cmpx_gt_u32_e64 s15, v55
	s_cbranch_execnz .LBB1635_997
.LBB1635_981:                           ;   in Loop: Header=BB1635_948 Depth=2
	s_or_b32 exec_lo, exec_lo, s16
	s_mov_b32 s16, exec_lo
	v_cmpx_gt_u32_e64 s15, v56
	s_cbranch_execnz .LBB1635_998
.LBB1635_982:                           ;   in Loop: Header=BB1635_948 Depth=2
	s_or_b32 exec_lo, exec_lo, s16
	s_mov_b32 s16, exec_lo
	v_cmpx_gt_u32_e64 s15, v57
	s_cbranch_execnz .LBB1635_999
.LBB1635_983:                           ;   in Loop: Header=BB1635_948 Depth=2
	s_or_b32 exec_lo, exec_lo, s16
	s_mov_b32 s16, exec_lo
	v_cmpx_gt_u32_e64 s15, v58
	s_cbranch_execnz .LBB1635_1000
.LBB1635_984:                           ;   in Loop: Header=BB1635_948 Depth=2
	s_or_b32 exec_lo, exec_lo, s16
	s_mov_b32 s16, exec_lo
	v_cmpx_gt_u32_e64 s15, v59
	s_cbranch_execnz .LBB1635_1001
.LBB1635_985:                           ;   in Loop: Header=BB1635_948 Depth=2
	s_or_b32 exec_lo, exec_lo, s16
	s_mov_b32 s16, exec_lo
	v_cmpx_gt_u32_e64 s15, v60
	s_cbranch_execnz .LBB1635_1002
.LBB1635_986:                           ;   in Loop: Header=BB1635_948 Depth=2
	s_or_b32 exec_lo, exec_lo, s16
	v_cmp_gt_u32_e32 vcc_lo, s15, v61
	s_and_saveexec_b32 s15, vcc_lo
	s_cbranch_execz .LBB1635_947
	s_branch .LBB1635_1003
.LBB1635_987:                           ;   in Loop: Header=BB1635_948 Depth=2
	v_and_b32_e32 v21, 1, v17
	v_lshrrev_b32_e32 v21, s41, v21
	v_and_b32_e32 v21, s62, v21
	v_lshl_or_b32 v21, v21, 4, v63
	ds_add_u32 v21, v89
	s_or_b32 exec_lo, exec_lo, s16
	s_mov_b32 s16, exec_lo
	v_cmpx_gt_u32_e64 s15, v44
	s_cbranch_execz .LBB1635_972
.LBB1635_988:                           ;   in Loop: Header=BB1635_948 Depth=2
	v_and_b32_e32 v21, 1, v20
	v_lshrrev_b32_e32 v21, s41, v21
	v_and_b32_e32 v21, s62, v21
	v_lshl_or_b32 v21, v21, 4, v63
	ds_add_u32 v21, v89
	s_or_b32 exec_lo, exec_lo, s16
	s_mov_b32 s16, exec_lo
	v_cmpx_gt_u32_e64 s15, v47
	s_cbranch_execz .LBB1635_973
.LBB1635_989:                           ;   in Loop: Header=BB1635_948 Depth=2
	v_and_b32_e32 v21, 1, v19
	v_lshrrev_b32_e32 v21, s41, v21
	v_and_b32_e32 v21, s62, v21
	v_lshl_or_b32 v21, v21, 4, v63
	ds_add_u32 v21, v89
	s_or_b32 exec_lo, exec_lo, s16
	s_mov_b32 s16, exec_lo
	v_cmpx_gt_u32_e64 s15, v48
	s_cbranch_execz .LBB1635_974
.LBB1635_990:                           ;   in Loop: Header=BB1635_948 Depth=2
	v_and_b32_e32 v21, 1, v18
	v_lshrrev_b32_e32 v21, s41, v21
	v_and_b32_e32 v21, s62, v21
	v_lshl_or_b32 v21, v21, 4, v63
	ds_add_u32 v21, v89
	s_or_b32 exec_lo, exec_lo, s16
	s_mov_b32 s16, exec_lo
	v_cmpx_gt_u32_e64 s15, v49
	s_cbranch_execz .LBB1635_975
.LBB1635_991:                           ;   in Loop: Header=BB1635_948 Depth=2
	v_and_b32_e32 v21, 1, v16
	v_lshrrev_b32_e32 v21, s41, v21
	v_and_b32_e32 v21, s62, v21
	v_lshl_or_b32 v21, v21, 4, v63
	ds_add_u32 v21, v89
	s_or_b32 exec_lo, exec_lo, s16
	s_mov_b32 s16, exec_lo
	v_cmpx_gt_u32_e64 s15, v50
	s_cbranch_execz .LBB1635_976
.LBB1635_992:                           ;   in Loop: Header=BB1635_948 Depth=2
	v_and_b32_e32 v21, 1, v15
	v_lshrrev_b32_e32 v21, s41, v21
	v_and_b32_e32 v21, s62, v21
	v_lshl_or_b32 v21, v21, 4, v63
	ds_add_u32 v21, v89
	s_or_b32 exec_lo, exec_lo, s16
	s_mov_b32 s16, exec_lo
	v_cmpx_gt_u32_e64 s15, v51
	s_cbranch_execz .LBB1635_977
.LBB1635_993:                           ;   in Loop: Header=BB1635_948 Depth=2
	v_and_b32_e32 v21, 1, v14
	v_lshrrev_b32_e32 v21, s41, v21
	v_and_b32_e32 v21, s62, v21
	v_lshl_or_b32 v21, v21, 4, v63
	ds_add_u32 v21, v89
	s_or_b32 exec_lo, exec_lo, s16
	s_mov_b32 s16, exec_lo
	v_cmpx_gt_u32_e64 s15, v52
	s_cbranch_execz .LBB1635_978
.LBB1635_994:                           ;   in Loop: Header=BB1635_948 Depth=2
	v_and_b32_e32 v21, 1, v13
	v_lshrrev_b32_e32 v21, s41, v21
	v_and_b32_e32 v21, s62, v21
	v_lshl_or_b32 v21, v21, 4, v63
	ds_add_u32 v21, v89
	s_or_b32 exec_lo, exec_lo, s16
	s_mov_b32 s16, exec_lo
	v_cmpx_gt_u32_e64 s15, v53
	s_cbranch_execz .LBB1635_979
.LBB1635_995:                           ;   in Loop: Header=BB1635_948 Depth=2
	v_and_b32_e32 v21, 1, v12
	v_lshrrev_b32_e32 v21, s41, v21
	v_and_b32_e32 v21, s62, v21
	v_lshl_or_b32 v21, v21, 4, v63
	ds_add_u32 v21, v89
	s_or_b32 exec_lo, exec_lo, s16
	s_mov_b32 s16, exec_lo
	v_cmpx_gt_u32_e64 s15, v54
	s_cbranch_execz .LBB1635_980
.LBB1635_996:                           ;   in Loop: Header=BB1635_948 Depth=2
	v_and_b32_e32 v21, 1, v11
	v_lshrrev_b32_e32 v21, s41, v21
	v_and_b32_e32 v21, s62, v21
	v_lshl_or_b32 v21, v21, 4, v63
	ds_add_u32 v21, v89
	s_or_b32 exec_lo, exec_lo, s16
	s_mov_b32 s16, exec_lo
	v_cmpx_gt_u32_e64 s15, v55
	s_cbranch_execz .LBB1635_981
.LBB1635_997:                           ;   in Loop: Header=BB1635_948 Depth=2
	v_and_b32_e32 v21, 1, v10
	v_lshrrev_b32_e32 v21, s41, v21
	v_and_b32_e32 v21, s62, v21
	v_lshl_or_b32 v21, v21, 4, v63
	ds_add_u32 v21, v89
	s_or_b32 exec_lo, exec_lo, s16
	s_mov_b32 s16, exec_lo
	v_cmpx_gt_u32_e64 s15, v56
	s_cbranch_execz .LBB1635_982
.LBB1635_998:                           ;   in Loop: Header=BB1635_948 Depth=2
	v_and_b32_e32 v21, 1, v9
	v_lshrrev_b32_e32 v21, s41, v21
	v_and_b32_e32 v21, s62, v21
	v_lshl_or_b32 v21, v21, 4, v63
	ds_add_u32 v21, v89
	s_or_b32 exec_lo, exec_lo, s16
	s_mov_b32 s16, exec_lo
	v_cmpx_gt_u32_e64 s15, v57
	s_cbranch_execz .LBB1635_983
.LBB1635_999:                           ;   in Loop: Header=BB1635_948 Depth=2
	v_and_b32_e32 v21, 1, v8
	v_lshrrev_b32_e32 v21, s41, v21
	v_and_b32_e32 v21, s62, v21
	v_lshl_or_b32 v21, v21, 4, v63
	ds_add_u32 v21, v89
	s_or_b32 exec_lo, exec_lo, s16
	s_mov_b32 s16, exec_lo
	v_cmpx_gt_u32_e64 s15, v58
	s_cbranch_execz .LBB1635_984
.LBB1635_1000:                          ;   in Loop: Header=BB1635_948 Depth=2
	v_and_b32_e32 v21, 1, v7
	v_lshrrev_b32_e32 v21, s41, v21
	v_and_b32_e32 v21, s62, v21
	v_lshl_or_b32 v21, v21, 4, v63
	ds_add_u32 v21, v89
	s_or_b32 exec_lo, exec_lo, s16
	s_mov_b32 s16, exec_lo
	v_cmpx_gt_u32_e64 s15, v59
	s_cbranch_execz .LBB1635_985
.LBB1635_1001:                          ;   in Loop: Header=BB1635_948 Depth=2
	v_and_b32_e32 v21, 1, v6
	v_lshrrev_b32_e32 v21, s41, v21
	v_and_b32_e32 v21, s62, v21
	v_lshl_or_b32 v21, v21, 4, v63
	ds_add_u32 v21, v89
	s_or_b32 exec_lo, exec_lo, s16
	s_mov_b32 s16, exec_lo
	v_cmpx_gt_u32_e64 s15, v60
	s_cbranch_execz .LBB1635_986
.LBB1635_1002:                          ;   in Loop: Header=BB1635_948 Depth=2
	v_and_b32_e32 v21, 1, v5
	v_lshrrev_b32_e32 v21, s41, v21
	v_and_b32_e32 v21, s62, v21
	v_lshl_or_b32 v21, v21, 4, v63
	ds_add_u32 v21, v89
	s_or_b32 exec_lo, exec_lo, s16
	v_cmp_gt_u32_e32 vcc_lo, s15, v61
	s_and_saveexec_b32 s15, vcc_lo
	s_cbranch_execz .LBB1635_947
.LBB1635_1003:                          ;   in Loop: Header=BB1635_948 Depth=2
	v_and_b32_e32 v21, 1, v3
	v_lshrrev_b32_e32 v21, s41, v21
	v_and_b32_e32 v21, s62, v21
	v_lshl_or_b32 v21, v21, 4, v63
	ds_add_u32 v21, v89
	s_branch .LBB1635_947
.LBB1635_1004:                          ;   in Loop: Header=BB1635_948 Depth=2
	s_waitcnt vmcnt(0)
	v_add_co_u32 v21, s18, s15, v0
	v_add_co_ci_u32_e64 v22, null, s16, 0, s18
	global_load_ubyte v17, v[21:22], off
	s_or_b32 exec_lo, exec_lo, s17
	s_mov_b32 s17, exec_lo
	v_cmpx_gt_u32_e64 s5, v44
	s_cbranch_execz .LBB1635_953
.LBB1635_1005:                          ;   in Loop: Header=BB1635_948 Depth=2
	v_add_co_u32 v20, s18, s15, v0
	s_waitcnt vmcnt(0)
	v_add_co_ci_u32_e64 v21, null, s16, 0, s18
	global_load_ubyte v20, v[20:21], off offset:256
	s_or_b32 exec_lo, exec_lo, s17
	s_mov_b32 s17, exec_lo
	v_cmpx_gt_u32_e64 s5, v47
	s_cbranch_execz .LBB1635_954
.LBB1635_1006:                          ;   in Loop: Header=BB1635_948 Depth=2
	s_waitcnt vmcnt(0)
	v_add_co_u32 v21, s18, s15, v0
	v_add_co_ci_u32_e64 v22, null, s16, 0, s18
	global_load_ubyte v19, v[21:22], off offset:512
	s_or_b32 exec_lo, exec_lo, s17
	s_mov_b32 s17, exec_lo
	v_cmpx_gt_u32_e64 s5, v48
	s_cbranch_execz .LBB1635_955
.LBB1635_1007:                          ;   in Loop: Header=BB1635_948 Depth=2
	s_waitcnt vmcnt(0)
	v_add_co_u32 v21, s18, s15, v0
	v_add_co_ci_u32_e64 v22, null, s16, 0, s18
	global_load_ubyte v18, v[21:22], off offset:768
	s_or_b32 exec_lo, exec_lo, s17
	s_mov_b32 s17, exec_lo
	v_cmpx_gt_u32_e64 s5, v49
	s_cbranch_execz .LBB1635_956
.LBB1635_1008:                          ;   in Loop: Header=BB1635_948 Depth=2
	s_waitcnt vmcnt(0)
	v_add_co_u32 v21, s18, s15, v0
	v_add_co_ci_u32_e64 v22, null, s16, 0, s18
	global_load_ubyte v16, v[21:22], off offset:1024
	s_or_b32 exec_lo, exec_lo, s17
	s_mov_b32 s17, exec_lo
	v_cmpx_gt_u32_e64 s5, v50
	s_cbranch_execz .LBB1635_957
.LBB1635_1009:                          ;   in Loop: Header=BB1635_948 Depth=2
	s_waitcnt vmcnt(0)
	v_add_co_u32 v21, s18, s15, v0
	v_add_co_ci_u32_e64 v22, null, s16, 0, s18
	global_load_ubyte v15, v[21:22], off offset:1280
	s_or_b32 exec_lo, exec_lo, s17
	s_mov_b32 s17, exec_lo
	v_cmpx_gt_u32_e64 s5, v51
	s_cbranch_execz .LBB1635_958
.LBB1635_1010:                          ;   in Loop: Header=BB1635_948 Depth=2
	s_waitcnt vmcnt(0)
	v_add_co_u32 v21, s18, s15, v0
	v_add_co_ci_u32_e64 v22, null, s16, 0, s18
	global_load_ubyte v14, v[21:22], off offset:1536
	s_or_b32 exec_lo, exec_lo, s17
	s_mov_b32 s17, exec_lo
	v_cmpx_gt_u32_e64 s5, v52
	s_cbranch_execz .LBB1635_959
.LBB1635_1011:                          ;   in Loop: Header=BB1635_948 Depth=2
	s_waitcnt vmcnt(0)
	v_add_co_u32 v21, s18, s15, v0
	v_add_co_ci_u32_e64 v22, null, s16, 0, s18
	global_load_ubyte v13, v[21:22], off offset:1792
	s_or_b32 exec_lo, exec_lo, s17
	s_mov_b32 s17, exec_lo
	v_cmpx_gt_u32_e64 s5, v53
	s_cbranch_execz .LBB1635_960
.LBB1635_1012:                          ;   in Loop: Header=BB1635_948 Depth=2
	s_waitcnt vmcnt(0)
	v_add_co_u32 v21, s18, s15, v53
	v_add_co_ci_u32_e64 v22, null, s16, 0, s18
	global_load_ubyte v12, v[21:22], off
	s_or_b32 exec_lo, exec_lo, s17
	s_mov_b32 s17, exec_lo
	v_cmpx_gt_u32_e64 s5, v54
	s_cbranch_execz .LBB1635_961
.LBB1635_1013:                          ;   in Loop: Header=BB1635_948 Depth=2
	s_waitcnt vmcnt(0)
	v_add_co_u32 v21, s18, s15, v54
	v_add_co_ci_u32_e64 v22, null, s16, 0, s18
	global_load_ubyte v11, v[21:22], off
	s_or_b32 exec_lo, exec_lo, s17
	s_mov_b32 s17, exec_lo
	v_cmpx_gt_u32_e64 s5, v55
	s_cbranch_execz .LBB1635_962
.LBB1635_1014:                          ;   in Loop: Header=BB1635_948 Depth=2
	s_waitcnt vmcnt(0)
	v_add_co_u32 v21, s18, s15, v55
	v_add_co_ci_u32_e64 v22, null, s16, 0, s18
	global_load_ubyte v10, v[21:22], off
	s_or_b32 exec_lo, exec_lo, s17
	s_mov_b32 s17, exec_lo
	v_cmpx_gt_u32_e64 s5, v56
	s_cbranch_execz .LBB1635_963
.LBB1635_1015:                          ;   in Loop: Header=BB1635_948 Depth=2
	s_waitcnt vmcnt(0)
	v_add_co_u32 v21, s18, s15, v56
	v_add_co_ci_u32_e64 v22, null, s16, 0, s18
	global_load_ubyte v9, v[21:22], off
	s_or_b32 exec_lo, exec_lo, s17
	s_mov_b32 s17, exec_lo
	v_cmpx_gt_u32_e64 s5, v57
	s_cbranch_execz .LBB1635_964
.LBB1635_1016:                          ;   in Loop: Header=BB1635_948 Depth=2
	s_waitcnt vmcnt(0)
	v_add_co_u32 v21, s18, s15, v57
	v_add_co_ci_u32_e64 v22, null, s16, 0, s18
	global_load_ubyte v8, v[21:22], off
	s_or_b32 exec_lo, exec_lo, s17
	s_mov_b32 s17, exec_lo
	v_cmpx_gt_u32_e64 s5, v58
	s_cbranch_execz .LBB1635_965
.LBB1635_1017:                          ;   in Loop: Header=BB1635_948 Depth=2
	s_waitcnt vmcnt(0)
	v_add_co_u32 v21, s18, s15, v58
	v_add_co_ci_u32_e64 v22, null, s16, 0, s18
	global_load_ubyte v7, v[21:22], off
	s_or_b32 exec_lo, exec_lo, s17
	s_mov_b32 s17, exec_lo
	v_cmpx_gt_u32_e64 s5, v59
	s_cbranch_execz .LBB1635_966
.LBB1635_1018:                          ;   in Loop: Header=BB1635_948 Depth=2
	s_waitcnt vmcnt(0)
	v_add_co_u32 v21, s18, s15, v59
	v_add_co_ci_u32_e64 v22, null, s16, 0, s18
	global_load_ubyte v6, v[21:22], off
	s_or_b32 exec_lo, exec_lo, s17
	s_mov_b32 s17, exec_lo
	v_cmpx_gt_u32_e64 s5, v60
	s_cbranch_execz .LBB1635_967
.LBB1635_1019:                          ;   in Loop: Header=BB1635_948 Depth=2
	s_waitcnt vmcnt(0)
	v_add_co_u32 v21, s18, s15, v60
	v_add_co_ci_u32_e64 v22, null, s16, 0, s18
	global_load_ubyte v5, v[21:22], off
	s_or_b32 exec_lo, exec_lo, s17
	s_mov_b32 s17, exec_lo
	v_cmpx_gt_u32_e64 s5, v61
	s_cbranch_execnz .LBB1635_968
	s_branch .LBB1635_969
.LBB1635_1020:                          ;   in Loop: Header=BB1635_12 Depth=1
	v_mov_b32_e32 v3, 0
	s_waitcnt lgkmcnt(0)
	s_barrier
	buffer_gl0_inv
	s_and_saveexec_b32 s5, s7
	s_cbranch_execz .LBB1635_1022
; %bb.1021:                             ;   in Loop: Header=BB1635_12 Depth=1
	ds_read2_b64 v[5:8], v64 offset1:1
	s_waitcnt lgkmcnt(0)
	v_add_nc_u32_e32 v3, v6, v5
	v_add3_u32 v3, v3, v7, v8
.LBB1635_1022:                          ;   in Loop: Header=BB1635_12 Depth=1
	s_or_b32 exec_lo, exec_lo, s5
	v_and_b32_e32 v5, 15, v86
	v_mov_b32_dpp v6, v3 row_shr:1 row_mask:0xf bank_mask:0xf
	v_and_b32_e32 v7, 16, v86
	v_cmp_eq_u32_e64 s5, 0, v5
	v_cmp_lt_u32_e64 s14, 1, v5
	v_cmp_lt_u32_e64 s15, 3, v5
	;; [unrolled: 1-line block ×3, first 2 shown]
	v_cmp_eq_u32_e64 s17, 0, v7
	v_cndmask_b32_e64 v6, v6, 0, s5
	v_add_nc_u32_e32 v3, v6, v3
	v_mov_b32_dpp v6, v3 row_shr:2 row_mask:0xf bank_mask:0xf
	v_cndmask_b32_e64 v6, 0, v6, s14
	v_add_nc_u32_e32 v3, v3, v6
	v_mov_b32_dpp v6, v3 row_shr:4 row_mask:0xf bank_mask:0xf
	;; [unrolled: 3-line block ×3, first 2 shown]
	v_cndmask_b32_e64 v5, 0, v6, s16
	v_bfe_i32 v6, v86, 4, 1
	v_add_nc_u32_e32 v3, v3, v5
	ds_swizzle_b32 v5, v3 offset:swizzle(BROADCAST,32,15)
	s_waitcnt lgkmcnt(0)
	v_and_b32_e32 v5, v6, v5
	v_add_nc_u32_e32 v3, v3, v5
	s_and_saveexec_b32 s18, s8
; %bb.1023:                             ;   in Loop: Header=BB1635_12 Depth=1
	ds_write_b32 v65, v3
; %bb.1024:                             ;   in Loop: Header=BB1635_12 Depth=1
	s_or_b32 exec_lo, exec_lo, s18
	s_waitcnt lgkmcnt(0)
	s_barrier
	buffer_gl0_inv
	s_and_saveexec_b32 s18, s9
	s_cbranch_execz .LBB1635_1026
; %bb.1025:                             ;   in Loop: Header=BB1635_12 Depth=1
	ds_read_b32 v5, v66
	v_and_b32_e32 v6, 3, v86
	v_cmp_ne_u32_e32 vcc_lo, 0, v6
	s_waitcnt lgkmcnt(0)
	v_mov_b32_dpp v7, v5 row_shr:1 row_mask:0xf bank_mask:0xf
	v_cndmask_b32_e32 v7, 0, v7, vcc_lo
	v_cmp_lt_u32_e32 vcc_lo, 1, v6
	v_add_nc_u32_e32 v5, v7, v5
	v_mov_b32_dpp v7, v5 row_shr:2 row_mask:0xf bank_mask:0xf
	v_cndmask_b32_e32 v6, 0, v7, vcc_lo
	v_add_nc_u32_e32 v5, v5, v6
	ds_write_b32 v66, v5
.LBB1635_1026:                          ;   in Loop: Header=BB1635_12 Depth=1
	s_or_b32 exec_lo, exec_lo, s18
	v_mov_b32_e32 v5, 0
	s_waitcnt lgkmcnt(0)
	s_barrier
	buffer_gl0_inv
	s_and_saveexec_b32 s18, s10
; %bb.1027:                             ;   in Loop: Header=BB1635_12 Depth=1
	ds_read_b32 v5, v67
; %bb.1028:                             ;   in Loop: Header=BB1635_12 Depth=1
	s_or_b32 exec_lo, exec_lo, s18
	v_sub_co_u32 v6, s18, v86, 1
	s_waitcnt lgkmcnt(0)
	v_add_nc_u32_e32 v3, v5, v3
	s_barrier
	v_cmp_gt_i32_e32 vcc_lo, 0, v6
	buffer_gl0_inv
	v_cndmask_b32_e32 v6, v6, v86, vcc_lo
	v_lshlrev_b32_e32 v92, 2, v6
	ds_bpermute_b32 v3, v92, v3
	s_and_saveexec_b32 s19, s7
	s_cbranch_execz .LBB1635_1030
; %bb.1029:                             ;   in Loop: Header=BB1635_12 Depth=1
	s_waitcnt lgkmcnt(0)
	v_cndmask_b32_e64 v3, v3, v5, s18
	v_add_nc_u32_e32 v3, s58, v3
	ds_write_b32 v43, v3
.LBB1635_1030:                          ;   in Loop: Header=BB1635_12 Depth=1
	s_or_b32 exec_lo, exec_lo, s19
	s_load_dwordx2 s[20:21], s[56:57], 0x0
	v_and_b32_e32 v6, 7, v86
	v_lshlrev_b32_e32 v7, 3, v86
	v_or_b32_e32 v93, v86, v68
	s_mov_b32 s63, s60
	s_mov_b32 s50, s58
                                        ; implicit-def: $vgpr9_vgpr10
                                        ; implicit-def: $vgpr11_vgpr12
                                        ; implicit-def: $vgpr13_vgpr14
                                        ; implicit-def: $vgpr15_vgpr16
                                        ; implicit-def: $vgpr19_vgpr20
                                        ; implicit-def: $vgpr23_vgpr24
                                        ; implicit-def: $vgpr27_vgpr28
                                        ; implicit-def: $vgpr17_vgpr18
                                        ; implicit-def: $vgpr21_vgpr22
                                        ; implicit-def: $vgpr25_vgpr26
                                        ; implicit-def: $vgpr29_vgpr30
                                        ; implicit-def: $vgpr31_vgpr32
                                        ; implicit-def: $vgpr33_vgpr34
                                        ; implicit-def: $vgpr35_vgpr36
                                        ; implicit-def: $vgpr37_vgpr38
                                        ; implicit-def: $vgpr115
                                        ; implicit-def: $vgpr116
                                        ; implicit-def: $vgpr117
                                        ; implicit-def: $vgpr118
                                        ; implicit-def: $vgpr119
                                        ; implicit-def: $vgpr120
                                        ; implicit-def: $vgpr121
                                        ; implicit-def: $vgpr122
                                        ; implicit-def: $vgpr123
                                        ; implicit-def: $vgpr124
                                        ; implicit-def: $vgpr125
                                        ; implicit-def: $vgpr126
                                        ; implicit-def: $vgpr127
                                        ; implicit-def: $vgpr128
                                        ; implicit-def: $vgpr129
                                        ; implicit-def: $vgpr130
                                        ; implicit-def: $vgpr131
                                        ; implicit-def: $vgpr132
                                        ; implicit-def: $vgpr133
	v_add_co_u32 v94, vcc_lo, v84, v7
	v_add_co_ci_u32_e64 v95, null, 0, v85, vcc_lo
	v_add_co_u32 v112, vcc_lo, v87, v86
	v_add_nc_u32_e32 v96, 32, v93
	v_add_nc_u32_e32 v97, 64, v93
	;; [unrolled: 1-line block ×7, first 2 shown]
	s_waitcnt lgkmcnt(0)
	s_cmp_lt_u32 s28, s21
	v_add_nc_u32_e32 v103, 0x100, v93
	s_cselect_b32 s19, 14, 20
	v_add_nc_u32_e32 v104, 0x120, v93
	s_add_u32 s22, s56, s19
	s_addc_u32 s23, s57, 0
	s_cmp_lt_u32 s6, s20
	global_load_ushort v3, v4, s[22:23]
	s_cselect_b32 s19, 12, 18
	v_add_nc_u32_e32 v105, 0x140, v93
	s_add_u32 s20, s56, s19
	s_addc_u32 s21, s57, 0
	v_cmp_eq_u32_e64 s19, 0, v6
	global_load_ushort v5, v4, s[20:21]
	v_cmp_lt_u32_e64 s20, 1, v6
	v_cmp_lt_u32_e64 s21, 3, v6
	v_add_nc_u32_e32 v106, 0x160, v93
	v_add_nc_u32_e32 v107, 0x180, v93
	v_add_nc_u32_e32 v108, 0x1a0, v93
	v_add_nc_u32_e32 v109, 0x1c0, v93
	v_add_nc_u32_e32 v110, 0x1e0, v93
	v_add_nc_u32_e32 v111, 0x200, v93
	v_add_co_ci_u32_e64 v113, null, 0, v88, vcc_lo
                                        ; implicit-def: $vgpr7_vgpr8
	s_waitcnt vmcnt(1)
	v_mad_u32_u24 v3, v2, v3, v1
	s_waitcnt vmcnt(0)
	v_mad_u64_u32 v[5:6], null, v3, v5, v[0:1]
	v_lshrrev_b32_e32 v3, 3, v5
                                        ; implicit-def: $vgpr5_vgpr6
	v_and_b32_e32 v114, 0x1ffffffc, v3
	s_branch .LBB1635_1032
.LBB1635_1031:                          ;   in Loop: Header=BB1635_1032 Depth=2
	s_or_b32 exec_lo, exec_lo, s22
	s_addk_i32 s63, 0xef00
	s_cmp_lt_u32 s64, s59
	s_mov_b32 s50, s64
	s_cbranch_scc0 .LBB1635_10
.LBB1635_1032:                          ;   Parent Loop BB1635_12 Depth=1
                                        ; =>  This Inner Loop Header: Depth=2
	s_add_i32 s64, s50, 0x1100
	s_cmp_gt_u32 s64, s59
	s_cbranch_scc1 .LBB1635_1034
; %bb.1033:                             ;   in Loop: Header=BB1635_1032 Depth=2
	v_add_co_u32 v39, vcc_lo, v112, s50
	v_add_co_ci_u32_e64 v40, null, 0, v113, vcc_lo
	s_mov_b32 s22, -1
	s_clause 0xf
	global_load_ubyte v134, v[39:40], off
	global_load_ubyte v135, v[39:40], off offset:32
	global_load_ubyte v136, v[39:40], off offset:64
	;; [unrolled: 1-line block ×15, first 2 shown]
	s_movk_i32 s23, 0x1100
	s_cbranch_execz .LBB1635_1035
	s_branch .LBB1635_1068
.LBB1635_1034:                          ;   in Loop: Header=BB1635_1032 Depth=2
	s_mov_b32 s22, 0
                                        ; implicit-def: $vgpr134
                                        ; implicit-def: $vgpr135
                                        ; implicit-def: $vgpr136
                                        ; implicit-def: $vgpr137
                                        ; implicit-def: $vgpr138
                                        ; implicit-def: $vgpr139
                                        ; implicit-def: $vgpr140
                                        ; implicit-def: $vgpr141
                                        ; implicit-def: $vgpr142
                                        ; implicit-def: $vgpr143
                                        ; implicit-def: $vgpr144
                                        ; implicit-def: $vgpr145
                                        ; implicit-def: $vgpr146
                                        ; implicit-def: $vgpr147
                                        ; implicit-def: $vgpr148
                                        ; implicit-def: $vgpr149
	s_movk_i32 s23, 0x1100
.LBB1635_1035:                          ;   in Loop: Header=BB1635_1032 Depth=2
	v_add_co_u32 v39, vcc_lo, v112, s50
	v_add_co_ci_u32_e64 v40, null, 0, v113, vcc_lo
	s_waitcnt vmcnt(14)
	v_mov_b32_e32 v135, 1
	v_mov_b32_e32 v134, 1
	s_mov_b32 s22, exec_lo
	v_cmpx_gt_u32_e64 s63, v93
	s_cbranch_execz .LBB1635_1037
; %bb.1036:                             ;   in Loop: Header=BB1635_1032 Depth=2
	global_load_ubyte v134, v[39:40], off
.LBB1635_1037:                          ;   in Loop: Header=BB1635_1032 Depth=2
	s_or_b32 exec_lo, exec_lo, s22
	s_mov_b32 s22, exec_lo
	v_cmpx_gt_u32_e64 s63, v96
	s_cbranch_execz .LBB1635_1039
; %bb.1038:                             ;   in Loop: Header=BB1635_1032 Depth=2
	global_load_ubyte v135, v[39:40], off offset:32
.LBB1635_1039:                          ;   in Loop: Header=BB1635_1032 Depth=2
	s_or_b32 exec_lo, exec_lo, s22
	s_waitcnt vmcnt(12)
	v_mov_b32_e32 v137, 1
	v_mov_b32_e32 v136, 1
	s_mov_b32 s22, exec_lo
	v_cmpx_gt_u32_e64 s63, v97
	s_cbranch_execz .LBB1635_1041
; %bb.1040:                             ;   in Loop: Header=BB1635_1032 Depth=2
	global_load_ubyte v136, v[39:40], off offset:64
.LBB1635_1041:                          ;   in Loop: Header=BB1635_1032 Depth=2
	s_or_b32 exec_lo, exec_lo, s22
	s_mov_b32 s22, exec_lo
	v_cmpx_gt_u32_e64 s63, v98
	s_cbranch_execz .LBB1635_1043
; %bb.1042:                             ;   in Loop: Header=BB1635_1032 Depth=2
	global_load_ubyte v137, v[39:40], off offset:96
.LBB1635_1043:                          ;   in Loop: Header=BB1635_1032 Depth=2
	s_or_b32 exec_lo, exec_lo, s22
	s_waitcnt vmcnt(10)
	v_mov_b32_e32 v139, 1
	v_mov_b32_e32 v138, 1
	s_mov_b32 s22, exec_lo
	v_cmpx_gt_u32_e64 s63, v99
	s_cbranch_execz .LBB1635_1045
; %bb.1044:                             ;   in Loop: Header=BB1635_1032 Depth=2
	global_load_ubyte v138, v[39:40], off offset:128
.LBB1635_1045:                          ;   in Loop: Header=BB1635_1032 Depth=2
	;; [unrolled: 17-line block ×7, first 2 shown]
	s_or_b32 exec_lo, exec_lo, s22
	s_mov_b32 s22, exec_lo
	v_cmpx_gt_u32_e64 s63, v110
	s_cbranch_execz .LBB1635_1067
; %bb.1066:                             ;   in Loop: Header=BB1635_1032 Depth=2
	global_load_ubyte v149, v[39:40], off offset:480
.LBB1635_1067:                          ;   in Loop: Header=BB1635_1032 Depth=2
	s_or_b32 exec_lo, exec_lo, s22
	v_cmp_gt_u32_e64 s22, s63, v111
	s_sub_i32 s23, s59, s50
.LBB1635_1068:                          ;   in Loop: Header=BB1635_1032 Depth=2
	v_mov_b32_e32 v150, 1
	v_mov_b32_e32 v3, s63
	s_and_saveexec_b32 s24, s22
	s_cbranch_execz .LBB1635_1070
; %bb.1069:                             ;   in Loop: Header=BB1635_1032 Depth=2
	v_add_co_u32 v39, vcc_lo, v112, s50
	v_add_co_ci_u32_e64 v40, null, s51, v113, vcc_lo
	v_mov_b32_e32 v3, s23
	global_load_ubyte v150, v[39:40], off offset:512
.LBB1635_1070:                          ;   in Loop: Header=BB1635_1032 Depth=2
	s_or_b32 exec_lo, exec_lo, s24
	s_waitcnt vmcnt(15)
	v_lshrrev_b32_sdwa v39, s41, v134 dst_sel:DWORD dst_unused:UNUSED_PAD src0_sel:DWORD src1_sel:BYTE_0
	ds_write2_b32 v69, v4, v4 offset0:136 offset1:137
	ds_write2_b32 v69, v4, v4 offset0:138 offset1:139
	ds_write_b32 v69, v4 offset:560
	s_waitcnt vmcnt(0) lgkmcnt(0)
	s_barrier
	v_and_b32_e32 v40, s62, v39
	buffer_gl0_inv
	; wave barrier
	v_add_co_u32 v39, s22, v40, -1
	v_cndmask_b32_e64 v41, 0, 1, s22
	v_mul_u32_u24_e32 v40, 36, v40
	v_cmp_ne_u32_e32 vcc_lo, 0, v41
	v_add_nc_u32_e32 v154, v114, v40
	v_xor_b32_e32 v39, vcc_lo, v39
	v_and_b32_e32 v39, exec_lo, v39
	v_mbcnt_lo_u32_b32 v151, v39, 0
	v_cmp_ne_u32_e64 s22, 0, v39
	v_cmp_eq_u32_e32 vcc_lo, 0, v151
	s_and_b32 s23, s22, vcc_lo
	s_and_saveexec_b32 s22, s23
; %bb.1071:                             ;   in Loop: Header=BB1635_1032 Depth=2
	v_bcnt_u32_b32 v39, v39, 0
	ds_write_b32 v154, v39 offset:544
; %bb.1072:                             ;   in Loop: Header=BB1635_1032 Depth=2
	s_or_b32 exec_lo, exec_lo, s22
	v_lshrrev_b32_sdwa v39, s41, v135 dst_sel:DWORD dst_unused:UNUSED_PAD src0_sel:DWORD src1_sel:BYTE_0
	; wave barrier
	v_and_b32_e32 v40, s62, v39
	v_add_co_u32 v39, s22, v40, -1
	v_cndmask_b32_e64 v41, 0, 1, s22
	v_cmp_ne_u32_e32 vcc_lo, 0, v41
	v_mad_u32_u24 v41, v40, 36, v114
	v_mul_u32_u24_e32 v40, 36, v40
	v_xor_b32_e32 v39, vcc_lo, v39
	ds_read_b32 v152, v41 offset:544
	v_add_nc_u32_e32 v157, v114, v40
	; wave barrier
	v_and_b32_e32 v39, exec_lo, v39
	v_mbcnt_lo_u32_b32 v153, v39, 0
	v_cmp_ne_u32_e64 s22, 0, v39
	v_cmp_eq_u32_e32 vcc_lo, 0, v153
	s_and_b32 s23, s22, vcc_lo
	s_and_saveexec_b32 s22, s23
	s_cbranch_execz .LBB1635_1074
; %bb.1073:                             ;   in Loop: Header=BB1635_1032 Depth=2
	s_waitcnt lgkmcnt(0)
	v_bcnt_u32_b32 v39, v39, v152
	ds_write_b32 v157, v39 offset:544
.LBB1635_1074:                          ;   in Loop: Header=BB1635_1032 Depth=2
	s_or_b32 exec_lo, exec_lo, s22
	v_lshrrev_b32_sdwa v39, s41, v136 dst_sel:DWORD dst_unused:UNUSED_PAD src0_sel:DWORD src1_sel:BYTE_0
	; wave barrier
	v_and_b32_e32 v40, s62, v39
	v_add_co_u32 v39, s22, v40, -1
	v_cndmask_b32_e64 v41, 0, 1, s22
	v_cmp_ne_u32_e32 vcc_lo, 0, v41
	v_mad_u32_u24 v41, v40, 36, v114
	v_mul_u32_u24_e32 v40, 36, v40
	v_xor_b32_e32 v39, vcc_lo, v39
	ds_read_b32 v155, v41 offset:544
	v_add_nc_u32_e32 v160, v114, v40
	; wave barrier
	v_and_b32_e32 v39, exec_lo, v39
	v_mbcnt_lo_u32_b32 v156, v39, 0
	v_cmp_ne_u32_e64 s22, 0, v39
	v_cmp_eq_u32_e32 vcc_lo, 0, v156
	s_and_b32 s23, s22, vcc_lo
	s_and_saveexec_b32 s22, s23
	s_cbranch_execz .LBB1635_1076
; %bb.1075:                             ;   in Loop: Header=BB1635_1032 Depth=2
	s_waitcnt lgkmcnt(0)
	v_bcnt_u32_b32 v39, v39, v155
	ds_write_b32 v160, v39 offset:544
.LBB1635_1076:                          ;   in Loop: Header=BB1635_1032 Depth=2
	;; [unrolled: 25-line block ×16, first 2 shown]
	s_or_b32 exec_lo, exec_lo, s22
	; wave barrier
	s_waitcnt lgkmcnt(0)
	s_barrier
	buffer_gl0_inv
	ds_read2_b32 v[41:42], v69 offset0:136 offset1:137
	ds_read2_b32 v[39:40], v69 offset0:138 offset1:139
	ds_read_b32 v201, v69 offset:560
	s_waitcnt lgkmcnt(1)
	v_add3_u32 v202, v42, v41, v39
	s_waitcnt lgkmcnt(0)
	v_add3_u32 v201, v202, v40, v201
	v_mov_b32_dpp v202, v201 row_shr:1 row_mask:0xf bank_mask:0xf
	v_cndmask_b32_e64 v202, v202, 0, s5
	v_add_nc_u32_e32 v201, v202, v201
	v_mov_b32_dpp v202, v201 row_shr:2 row_mask:0xf bank_mask:0xf
	v_cndmask_b32_e64 v202, 0, v202, s14
	v_add_nc_u32_e32 v201, v201, v202
	;; [unrolled: 3-line block ×4, first 2 shown]
	ds_swizzle_b32 v202, v201 offset:swizzle(BROADCAST,32,15)
	s_waitcnt lgkmcnt(0)
	v_cndmask_b32_e64 v202, v202, 0, s17
	v_add_nc_u32_e32 v201, v201, v202
	s_and_saveexec_b32 s22, s4
; %bb.1105:                             ;   in Loop: Header=BB1635_1032 Depth=2
	ds_write_b32 v62, v201 offset:512
; %bb.1106:                             ;   in Loop: Header=BB1635_1032 Depth=2
	s_or_b32 exec_lo, exec_lo, s22
	s_waitcnt lgkmcnt(0)
	s_barrier
	buffer_gl0_inv
	s_and_saveexec_b32 s22, s11
	s_cbranch_execz .LBB1635_1108
; %bb.1107:                             ;   in Loop: Header=BB1635_1032 Depth=2
	ds_read_b32 v202, v70 offset:512
	s_waitcnt lgkmcnt(0)
	v_mov_b32_dpp v203, v202 row_shr:1 row_mask:0xf bank_mask:0xf
	v_cndmask_b32_e64 v203, v203, 0, s19
	v_add_nc_u32_e32 v202, v203, v202
	v_mov_b32_dpp v203, v202 row_shr:2 row_mask:0xf bank_mask:0xf
	v_cndmask_b32_e64 v203, 0, v203, s20
	v_add_nc_u32_e32 v202, v202, v203
	;; [unrolled: 3-line block ×3, first 2 shown]
	ds_write_b32 v70, v202 offset:512
.LBB1635_1108:                          ;   in Loop: Header=BB1635_1032 Depth=2
	s_or_b32 exec_lo, exec_lo, s22
	v_mov_b32_e32 v202, 0
	s_waitcnt lgkmcnt(0)
	s_barrier
	buffer_gl0_inv
	s_and_saveexec_b32 s22, s10
; %bb.1109:                             ;   in Loop: Header=BB1635_1032 Depth=2
	ds_read_b32 v202, v62 offset:508
; %bb.1110:                             ;   in Loop: Header=BB1635_1032 Depth=2
	s_or_b32 exec_lo, exec_lo, s22
	s_waitcnt lgkmcnt(0)
	v_add_nc_u32_e32 v201, v202, v201
	ds_bpermute_b32 v201, v92, v201
	s_waitcnt lgkmcnt(0)
	v_cndmask_b32_e64 v201, v201, v202, s18
	v_cndmask_b32_e64 v201, v201, 0, s12
	v_add_nc_u32_e32 v41, v201, v41
	v_add_nc_u32_e32 v42, v41, v42
	v_add_nc_u32_e32 v39, v42, v39
	v_add_nc_u32_e32 v40, v39, v40
	ds_write2_b32 v69, v201, v41 offset0:136 offset1:137
	ds_write2_b32 v69, v42, v39 offset0:138 offset1:139
	ds_write_b32 v69, v40 offset:560
	s_waitcnt lgkmcnt(0)
	s_barrier
	buffer_gl0_inv
	ds_read_b32 v39, v154 offset:544
	ds_read_b32 v40, v157 offset:544
	;; [unrolled: 1-line block ×17, first 2 shown]
	s_and_saveexec_b32 s22, s7
	s_cbranch_execz .LBB1635_1114
; %bb.1111:                             ;   in Loop: Header=BB1635_1032 Depth=2
	v_add_nc_u32_e32 v132, v70, v72
	v_mov_b32_e32 v133, 0x1100
	ds_read_b32 v132, v132 offset:544
	s_and_saveexec_b32 s23, s13
; %bb.1112:                             ;   in Loop: Header=BB1635_1032 Depth=2
	ds_read_b32 v133, v71 offset:544
; %bb.1113:                             ;   in Loop: Header=BB1635_1032 Depth=2
	s_or_b32 exec_lo, exec_lo, s23
	s_waitcnt lgkmcnt(0)
	v_sub_nc_u32_e32 v133, v133, v132
.LBB1635_1114:                          ;   in Loop: Header=BB1635_1032 Depth=2
	s_or_b32 exec_lo, exec_lo, s22
	s_waitcnt lgkmcnt(0)
	s_barrier
	buffer_gl0_inv
	s_and_saveexec_b32 s22, s7
	s_cbranch_execz .LBB1635_1116
; %bb.1115:                             ;   in Loop: Header=BB1635_1032 Depth=2
	ds_read_b32 v160, v43
	s_waitcnt lgkmcnt(0)
	v_sub_nc_u32_e32 v160, v160, v132
	ds_write_b32 v43, v160
.LBB1635_1116:                          ;   in Loop: Header=BB1635_1032 Depth=2
	s_or_b32 exec_lo, exec_lo, s22
	v_add_nc_u32_e32 v165, v39, v151
	v_add3_u32 v164, v153, v152, v40
	v_add3_u32 v163, v156, v155, v41
	v_add3_u32 v162, v159, v158, v42
	v_add3_u32 v161, v166, v161, v154
	v_add3_u32 v160, v168, v167, v157
	v_add3_u32 v159, v170, v169, v201
	v_add3_u32 v158, v172, v171, v175
	v_add3_u32 v157, v174, v173, v178
	v_add3_u32 v156, v177, v176, v181
	v_add3_u32 v155, v180, v179, v184
	v_add3_u32 v154, v183, v182, v187
	v_add3_u32 v153, v186, v185, v190
	v_add3_u32 v152, v189, v188, v193
	v_add3_u32 v151, v192, v191, v196
	v_add3_u32 v42, v195, v194, v199
	v_add3_u32 v41, v198, v197, v200
	v_cmp_lt_u32_e64 s38, v0, v3
	ds_write_b8 v165, v134 offset:512
	ds_write_b8 v164, v135 offset:512
	;; [unrolled: 1-line block ×17, first 2 shown]
	s_waitcnt lgkmcnt(0)
	s_barrier
	buffer_gl0_inv
	s_and_saveexec_b32 s22, s38
	s_cbranch_execnz .LBB1635_1189
; %bb.1117:                             ;   in Loop: Header=BB1635_1032 Depth=2
	s_or_b32 exec_lo, exec_lo, s22
	v_cmp_lt_u32_e64 s39, v44, v3
	s_and_saveexec_b32 s22, s39
	s_cbranch_execnz .LBB1635_1190
.LBB1635_1118:                          ;   in Loop: Header=BB1635_1032 Depth=2
	s_or_b32 exec_lo, exec_lo, s22
	v_cmp_lt_u32_e64 s37, v47, v3
	s_and_saveexec_b32 s22, s37
	s_cbranch_execnz .LBB1635_1191
.LBB1635_1119:                          ;   in Loop: Header=BB1635_1032 Depth=2
	s_or_b32 exec_lo, exec_lo, s22
	v_cmp_lt_u32_e64 s36, v48, v3
	s_and_saveexec_b32 s22, s36
	s_cbranch_execnz .LBB1635_1192
.LBB1635_1120:                          ;   in Loop: Header=BB1635_1032 Depth=2
	s_or_b32 exec_lo, exec_lo, s22
	v_cmp_lt_u32_e64 s35, v49, v3
	s_and_saveexec_b32 s22, s35
	s_cbranch_execnz .LBB1635_1193
.LBB1635_1121:                          ;   in Loop: Header=BB1635_1032 Depth=2
	s_or_b32 exec_lo, exec_lo, s22
	v_cmp_lt_u32_e64 s34, v50, v3
	s_and_saveexec_b32 s22, s34
	s_cbranch_execnz .LBB1635_1194
.LBB1635_1122:                          ;   in Loop: Header=BB1635_1032 Depth=2
	s_or_b32 exec_lo, exec_lo, s22
	v_cmp_lt_u32_e64 s33, v51, v3
	s_and_saveexec_b32 s22, s33
	s_cbranch_execnz .LBB1635_1195
.LBB1635_1123:                          ;   in Loop: Header=BB1635_1032 Depth=2
	s_or_b32 exec_lo, exec_lo, s22
	v_cmp_lt_u32_e64 s31, v52, v3
	s_and_saveexec_b32 s22, s31
	s_cbranch_execnz .LBB1635_1196
.LBB1635_1124:                          ;   in Loop: Header=BB1635_1032 Depth=2
	s_or_b32 exec_lo, exec_lo, s22
	v_cmp_lt_u32_e64 s30, v53, v3
	s_and_saveexec_b32 s22, s30
	s_cbranch_execnz .LBB1635_1197
.LBB1635_1125:                          ;   in Loop: Header=BB1635_1032 Depth=2
	s_or_b32 exec_lo, exec_lo, s22
	v_cmp_lt_u32_e64 s29, v54, v3
	s_and_saveexec_b32 s22, s29
	s_cbranch_execnz .LBB1635_1198
.LBB1635_1126:                          ;   in Loop: Header=BB1635_1032 Depth=2
	s_or_b32 exec_lo, exec_lo, s22
	v_cmp_lt_u32_e64 s27, v55, v3
	s_and_saveexec_b32 s22, s27
	s_cbranch_execnz .LBB1635_1199
.LBB1635_1127:                          ;   in Loop: Header=BB1635_1032 Depth=2
	s_or_b32 exec_lo, exec_lo, s22
	v_cmp_lt_u32_e64 s26, v56, v3
	s_and_saveexec_b32 s22, s26
	s_cbranch_execnz .LBB1635_1200
.LBB1635_1128:                          ;   in Loop: Header=BB1635_1032 Depth=2
	s_or_b32 exec_lo, exec_lo, s22
	v_cmp_lt_u32_e64 s25, v57, v3
	s_and_saveexec_b32 s22, s25
	s_cbranch_execnz .LBB1635_1201
.LBB1635_1129:                          ;   in Loop: Header=BB1635_1032 Depth=2
	s_or_b32 exec_lo, exec_lo, s22
	v_cmp_lt_u32_e64 s24, v58, v3
	s_and_saveexec_b32 s22, s24
	s_cbranch_execnz .LBB1635_1202
.LBB1635_1130:                          ;   in Loop: Header=BB1635_1032 Depth=2
	s_or_b32 exec_lo, exec_lo, s22
	v_cmp_lt_u32_e64 s23, v59, v3
	s_and_saveexec_b32 s22, s23
	s_cbranch_execnz .LBB1635_1203
.LBB1635_1131:                          ;   in Loop: Header=BB1635_1032 Depth=2
	s_or_b32 exec_lo, exec_lo, s22
	v_cmp_lt_u32_e64 s22, v60, v3
	s_and_saveexec_b32 s40, s22
	s_cbranch_execnz .LBB1635_1204
.LBB1635_1132:                          ;   in Loop: Header=BB1635_1032 Depth=2
	s_or_b32 exec_lo, exec_lo, s40
	v_cmp_lt_u32_e32 vcc_lo, v61, v3
	s_and_saveexec_b32 s40, vcc_lo
	s_cbranch_execz .LBB1635_1134
.LBB1635_1133:                          ;   in Loop: Header=BB1635_1032 Depth=2
	ds_read_u8 v39, v0 offset:4608
	s_waitcnt lgkmcnt(0)
	v_and_b32_e32 v40, 1, v39
	v_lshrrev_b32_e32 v40, s41, v40
	v_and_b32_e32 v40, s62, v40
	v_lshlrev_b32_e32 v40, 2, v40
	ds_read_b32 v40, v40
	s_waitcnt lgkmcnt(0)
	v_add_nc_u32_e32 v40, v40, v61
	global_store_byte v40, v39, s[48:49]
.LBB1635_1134:                          ;   in Loop: Header=BB1635_1032 Depth=2
	s_or_b32 exec_lo, exec_lo, s40
	s_lshl_b64 s[66:67], s[50:51], 3
	v_add_co_u32 v39, s40, v94, s66
	v_add_co_ci_u32_e64 v40, null, s67, v95, s40
	v_cmp_lt_u32_e64 s40, v93, v3
	s_and_saveexec_b32 s50, s40
	s_xor_b32 s40, exec_lo, s50
	s_cbranch_execnz .LBB1635_1205
; %bb.1135:                             ;   in Loop: Header=BB1635_1032 Depth=2
	s_or_b32 exec_lo, exec_lo, s40
	s_mov_b32 s50, exec_lo
	v_cmpx_lt_u32_e64 v96, v3
	s_cbranch_execnz .LBB1635_1206
.LBB1635_1136:                          ;   in Loop: Header=BB1635_1032 Depth=2
	s_or_b32 exec_lo, exec_lo, s50
	s_mov_b32 s50, exec_lo
	v_cmpx_lt_u32_e64 v97, v3
	s_cbranch_execnz .LBB1635_1207
.LBB1635_1137:                          ;   in Loop: Header=BB1635_1032 Depth=2
	s_or_b32 exec_lo, exec_lo, s50
	s_mov_b32 s50, exec_lo
	v_cmpx_lt_u32_e64 v98, v3
	s_cbranch_execnz .LBB1635_1208
.LBB1635_1138:                          ;   in Loop: Header=BB1635_1032 Depth=2
	s_or_b32 exec_lo, exec_lo, s50
	s_mov_b32 s50, exec_lo
	v_cmpx_lt_u32_e64 v99, v3
	s_cbranch_execnz .LBB1635_1209
.LBB1635_1139:                          ;   in Loop: Header=BB1635_1032 Depth=2
	s_or_b32 exec_lo, exec_lo, s50
	s_mov_b32 s50, exec_lo
	v_cmpx_lt_u32_e64 v100, v3
	s_cbranch_execnz .LBB1635_1210
.LBB1635_1140:                          ;   in Loop: Header=BB1635_1032 Depth=2
	s_or_b32 exec_lo, exec_lo, s50
	s_mov_b32 s50, exec_lo
	v_cmpx_lt_u32_e64 v101, v3
	s_cbranch_execnz .LBB1635_1211
.LBB1635_1141:                          ;   in Loop: Header=BB1635_1032 Depth=2
	s_or_b32 exec_lo, exec_lo, s50
	s_mov_b32 s50, exec_lo
	v_cmpx_lt_u32_e64 v102, v3
	s_cbranch_execnz .LBB1635_1212
.LBB1635_1142:                          ;   in Loop: Header=BB1635_1032 Depth=2
	s_or_b32 exec_lo, exec_lo, s50
	s_mov_b32 s50, exec_lo
	v_cmpx_lt_u32_e64 v103, v3
	s_cbranch_execnz .LBB1635_1213
.LBB1635_1143:                          ;   in Loop: Header=BB1635_1032 Depth=2
	s_or_b32 exec_lo, exec_lo, s50
	s_mov_b32 s50, exec_lo
	v_cmpx_lt_u32_e64 v104, v3
	s_cbranch_execnz .LBB1635_1214
.LBB1635_1144:                          ;   in Loop: Header=BB1635_1032 Depth=2
	s_or_b32 exec_lo, exec_lo, s50
	s_mov_b32 s50, exec_lo
	v_cmpx_lt_u32_e64 v105, v3
	s_cbranch_execnz .LBB1635_1215
.LBB1635_1145:                          ;   in Loop: Header=BB1635_1032 Depth=2
	s_or_b32 exec_lo, exec_lo, s50
	s_mov_b32 s50, exec_lo
	v_cmpx_lt_u32_e64 v106, v3
	s_cbranch_execnz .LBB1635_1216
.LBB1635_1146:                          ;   in Loop: Header=BB1635_1032 Depth=2
	s_or_b32 exec_lo, exec_lo, s50
	s_mov_b32 s50, exec_lo
	v_cmpx_lt_u32_e64 v107, v3
	s_cbranch_execnz .LBB1635_1217
.LBB1635_1147:                          ;   in Loop: Header=BB1635_1032 Depth=2
	s_or_b32 exec_lo, exec_lo, s50
	s_mov_b32 s50, exec_lo
	v_cmpx_lt_u32_e64 v108, v3
	s_cbranch_execnz .LBB1635_1218
.LBB1635_1148:                          ;   in Loop: Header=BB1635_1032 Depth=2
	s_or_b32 exec_lo, exec_lo, s50
	s_mov_b32 s50, exec_lo
	v_cmpx_lt_u32_e64 v109, v3
	s_cbranch_execnz .LBB1635_1219
.LBB1635_1149:                          ;   in Loop: Header=BB1635_1032 Depth=2
	s_or_b32 exec_lo, exec_lo, s50
	s_mov_b32 s50, exec_lo
	v_cmpx_lt_u32_e64 v110, v3
	s_cbranch_execnz .LBB1635_1220
.LBB1635_1150:                          ;   in Loop: Header=BB1635_1032 Depth=2
	s_or_b32 exec_lo, exec_lo, s50
	s_mov_b32 s50, exec_lo
	v_cmpx_lt_u32_e64 v111, v3
	s_cbranch_execnz .LBB1635_1221
.LBB1635_1151:                          ;   in Loop: Header=BB1635_1032 Depth=2
	s_or_b32 exec_lo, exec_lo, s50
	s_and_saveexec_b32 s40, s38
	s_cbranch_execnz .LBB1635_1222
.LBB1635_1152:                          ;   in Loop: Header=BB1635_1032 Depth=2
	s_or_b32 exec_lo, exec_lo, s40
	s_and_saveexec_b32 s40, s39
	s_cbranch_execnz .LBB1635_1223
.LBB1635_1153:                          ;   in Loop: Header=BB1635_1032 Depth=2
	s_or_b32 exec_lo, exec_lo, s40
	s_and_saveexec_b32 s40, s37
	s_cbranch_execnz .LBB1635_1224
.LBB1635_1154:                          ;   in Loop: Header=BB1635_1032 Depth=2
	s_or_b32 exec_lo, exec_lo, s40
	s_and_saveexec_b32 s40, s36
	s_cbranch_execnz .LBB1635_1225
.LBB1635_1155:                          ;   in Loop: Header=BB1635_1032 Depth=2
	s_or_b32 exec_lo, exec_lo, s40
	s_and_saveexec_b32 s40, s35
	s_cbranch_execnz .LBB1635_1226
.LBB1635_1156:                          ;   in Loop: Header=BB1635_1032 Depth=2
	s_or_b32 exec_lo, exec_lo, s40
	s_and_saveexec_b32 s40, s34
	s_cbranch_execnz .LBB1635_1227
.LBB1635_1157:                          ;   in Loop: Header=BB1635_1032 Depth=2
	s_or_b32 exec_lo, exec_lo, s40
	s_and_saveexec_b32 s40, s33
	s_cbranch_execnz .LBB1635_1228
.LBB1635_1158:                          ;   in Loop: Header=BB1635_1032 Depth=2
	s_or_b32 exec_lo, exec_lo, s40
	s_and_saveexec_b32 s40, s31
	s_cbranch_execnz .LBB1635_1229
.LBB1635_1159:                          ;   in Loop: Header=BB1635_1032 Depth=2
	s_or_b32 exec_lo, exec_lo, s40
	s_and_saveexec_b32 s40, s30
	s_cbranch_execnz .LBB1635_1230
.LBB1635_1160:                          ;   in Loop: Header=BB1635_1032 Depth=2
	s_or_b32 exec_lo, exec_lo, s40
	s_and_saveexec_b32 s40, s29
	s_cbranch_execnz .LBB1635_1231
.LBB1635_1161:                          ;   in Loop: Header=BB1635_1032 Depth=2
	s_or_b32 exec_lo, exec_lo, s40
	s_and_saveexec_b32 s40, s27
	s_cbranch_execnz .LBB1635_1232
.LBB1635_1162:                          ;   in Loop: Header=BB1635_1032 Depth=2
	s_or_b32 exec_lo, exec_lo, s40
	s_and_saveexec_b32 s40, s26
	s_cbranch_execnz .LBB1635_1233
.LBB1635_1163:                          ;   in Loop: Header=BB1635_1032 Depth=2
	s_or_b32 exec_lo, exec_lo, s40
	s_and_saveexec_b32 s40, s25
	s_cbranch_execnz .LBB1635_1234
.LBB1635_1164:                          ;   in Loop: Header=BB1635_1032 Depth=2
	s_or_b32 exec_lo, exec_lo, s40
	s_and_saveexec_b32 s40, s24
	s_cbranch_execnz .LBB1635_1235
.LBB1635_1165:                          ;   in Loop: Header=BB1635_1032 Depth=2
	s_or_b32 exec_lo, exec_lo, s40
	s_and_saveexec_b32 s40, s23
	s_cbranch_execnz .LBB1635_1236
.LBB1635_1166:                          ;   in Loop: Header=BB1635_1032 Depth=2
	s_or_b32 exec_lo, exec_lo, s40
	s_and_saveexec_b32 s40, s22
	s_cbranch_execnz .LBB1635_1237
.LBB1635_1167:                          ;   in Loop: Header=BB1635_1032 Depth=2
	s_or_b32 exec_lo, exec_lo, s40
	s_and_saveexec_b32 s40, vcc_lo
	s_cbranch_execz .LBB1635_1169
.LBB1635_1168:                          ;   in Loop: Header=BB1635_1032 Depth=2
	ds_read_u8 v3, v0 offset:4608
	s_waitcnt lgkmcnt(0)
	v_lshrrev_b32_e32 v3, s41, v3
	v_and_b32_e32 v115, s62, v3
.LBB1635_1169:                          ;   in Loop: Header=BB1635_1032 Depth=2
	s_or_b32 exec_lo, exec_lo, s40
	v_lshlrev_b32_e32 v3, 3, v165
	v_lshlrev_b32_e32 v39, 3, v164
	s_waitcnt vmcnt(0)
	s_waitcnt_vscnt null, 0x0
	s_barrier
	buffer_gl0_inv
	ds_write_b64 v3, v[37:38] offset:512
	v_lshlrev_b32_e32 v3, 3, v163
	ds_write_b64 v39, v[35:36] offset:512
	v_lshlrev_b32_e32 v39, 3, v162
	v_lshlrev_b32_e32 v40, 3, v161
	;; [unrolled: 1-line block ×3, first 2 shown]
	ds_write_b64 v3, v[33:34] offset:512
	v_lshlrev_b32_e32 v3, 3, v159
	ds_write_b64 v39, v[31:32] offset:512
	ds_write_b64 v40, v[29:30] offset:512
	;; [unrolled: 1-line block ×3, first 2 shown]
	v_lshlrev_b32_e32 v39, 3, v158
	v_lshlrev_b32_e32 v40, 3, v156
	;; [unrolled: 1-line block ×3, first 2 shown]
	ds_write_b64 v3, v[21:22] offset:512
	v_lshlrev_b32_e32 v3, 3, v157
	ds_write_b64 v39, v[17:18] offset:512
	v_lshlrev_b32_e32 v39, 3, v154
	ds_write_b64 v3, v[27:28] offset:512
	ds_write_b64 v40, v[23:24] offset:512
	;; [unrolled: 1-line block ×3, first 2 shown]
	v_lshlrev_b32_e32 v3, 3, v153
	ds_write_b64 v39, v[15:16] offset:512
	v_lshlrev_b32_e32 v39, 3, v152
	v_lshlrev_b32_e32 v40, 3, v151
	;; [unrolled: 1-line block ×3, first 2 shown]
	ds_write_b64 v3, v[13:14] offset:512
	v_lshlrev_b32_e32 v3, 3, v41
	ds_write_b64 v39, v[11:12] offset:512
	ds_write_b64 v40, v[9:10] offset:512
	;; [unrolled: 1-line block ×3, first 2 shown]
	v_add_nc_u32_e32 v39, v0, v75
	ds_write_b64 v3, v[5:6] offset:512
	s_waitcnt lgkmcnt(0)
	s_barrier
	buffer_gl0_inv
	s_and_saveexec_b32 s40, s38
	s_cbranch_execnz .LBB1635_1238
; %bb.1170:                             ;   in Loop: Header=BB1635_1032 Depth=2
	s_or_b32 exec_lo, exec_lo, s40
	s_and_saveexec_b32 s40, s39
	s_cbranch_execnz .LBB1635_1239
.LBB1635_1171:                          ;   in Loop: Header=BB1635_1032 Depth=2
	s_or_b32 exec_lo, exec_lo, s40
	s_and_saveexec_b32 s38, s37
	s_cbranch_execnz .LBB1635_1240
.LBB1635_1172:                          ;   in Loop: Header=BB1635_1032 Depth=2
	s_or_b32 exec_lo, exec_lo, s38
	s_and_saveexec_b32 s37, s36
	s_cbranch_execnz .LBB1635_1241
.LBB1635_1173:                          ;   in Loop: Header=BB1635_1032 Depth=2
	s_or_b32 exec_lo, exec_lo, s37
	s_and_saveexec_b32 s36, s35
	s_cbranch_execnz .LBB1635_1242
.LBB1635_1174:                          ;   in Loop: Header=BB1635_1032 Depth=2
	s_or_b32 exec_lo, exec_lo, s36
	s_and_saveexec_b32 s35, s34
	s_cbranch_execnz .LBB1635_1243
.LBB1635_1175:                          ;   in Loop: Header=BB1635_1032 Depth=2
	s_or_b32 exec_lo, exec_lo, s35
	s_and_saveexec_b32 s34, s33
	s_cbranch_execnz .LBB1635_1244
.LBB1635_1176:                          ;   in Loop: Header=BB1635_1032 Depth=2
	s_or_b32 exec_lo, exec_lo, s34
	s_and_saveexec_b32 s33, s31
	s_cbranch_execnz .LBB1635_1245
.LBB1635_1177:                          ;   in Loop: Header=BB1635_1032 Depth=2
	s_or_b32 exec_lo, exec_lo, s33
	s_and_saveexec_b32 s31, s30
	s_cbranch_execnz .LBB1635_1246
.LBB1635_1178:                          ;   in Loop: Header=BB1635_1032 Depth=2
	s_or_b32 exec_lo, exec_lo, s31
	s_and_saveexec_b32 s30, s29
	s_cbranch_execnz .LBB1635_1247
.LBB1635_1179:                          ;   in Loop: Header=BB1635_1032 Depth=2
	s_or_b32 exec_lo, exec_lo, s30
	s_and_saveexec_b32 s29, s27
	s_cbranch_execnz .LBB1635_1248
.LBB1635_1180:                          ;   in Loop: Header=BB1635_1032 Depth=2
	s_or_b32 exec_lo, exec_lo, s29
	s_and_saveexec_b32 s27, s26
	s_cbranch_execnz .LBB1635_1249
.LBB1635_1181:                          ;   in Loop: Header=BB1635_1032 Depth=2
	s_or_b32 exec_lo, exec_lo, s27
	s_and_saveexec_b32 s26, s25
	s_cbranch_execnz .LBB1635_1250
.LBB1635_1182:                          ;   in Loop: Header=BB1635_1032 Depth=2
	s_or_b32 exec_lo, exec_lo, s26
	s_and_saveexec_b32 s25, s24
	s_cbranch_execnz .LBB1635_1251
.LBB1635_1183:                          ;   in Loop: Header=BB1635_1032 Depth=2
	s_or_b32 exec_lo, exec_lo, s25
	s_and_saveexec_b32 s24, s23
	s_cbranch_execnz .LBB1635_1252
.LBB1635_1184:                          ;   in Loop: Header=BB1635_1032 Depth=2
	s_or_b32 exec_lo, exec_lo, s24
	s_and_saveexec_b32 s23, s22
	s_cbranch_execnz .LBB1635_1253
.LBB1635_1185:                          ;   in Loop: Header=BB1635_1032 Depth=2
	s_or_b32 exec_lo, exec_lo, s23
	s_and_saveexec_b32 s22, vcc_lo
	s_cbranch_execz .LBB1635_1187
.LBB1635_1186:                          ;   in Loop: Header=BB1635_1032 Depth=2
	v_lshlrev_b32_e32 v3, 2, v115
	ds_read_b32 v3, v3
	ds_read_b64 v[39:40], v39 offset:33280
	s_waitcnt lgkmcnt(1)
	v_add_nc_u32_e32 v3, v3, v61
	v_lshlrev_b64 v[41:42], 3, v[3:4]
	v_add_co_u32 v41, vcc_lo, s54, v41
	v_add_co_ci_u32_e64 v42, null, s55, v42, vcc_lo
	s_waitcnt lgkmcnt(0)
	global_store_dwordx2 v[41:42], v[39:40], off
.LBB1635_1187:                          ;   in Loop: Header=BB1635_1032 Depth=2
	s_or_b32 exec_lo, exec_lo, s22
	s_waitcnt_vscnt null, 0x0
	s_barrier
	buffer_gl0_inv
	s_and_saveexec_b32 s22, s7
	s_cbranch_execz .LBB1635_1031
; %bb.1188:                             ;   in Loop: Header=BB1635_1032 Depth=2
	ds_read_b32 v3, v43
	s_waitcnt lgkmcnt(0)
	v_add3_u32 v3, v132, v133, v3
	ds_write_b32 v43, v3
	s_branch .LBB1635_1031
.LBB1635_1189:                          ;   in Loop: Header=BB1635_1032 Depth=2
	ds_read_u8 v39, v0 offset:512
	s_waitcnt lgkmcnt(0)
	v_and_b32_e32 v40, 1, v39
	v_lshrrev_b32_e32 v40, s41, v40
	v_and_b32_e32 v40, s62, v40
	v_lshlrev_b32_e32 v40, 2, v40
	ds_read_b32 v40, v40
	s_waitcnt lgkmcnt(0)
	v_add_nc_u32_e32 v40, v40, v0
	global_store_byte v40, v39, s[48:49]
	s_or_b32 exec_lo, exec_lo, s22
	v_cmp_lt_u32_e64 s39, v44, v3
	s_and_saveexec_b32 s22, s39
	s_cbranch_execz .LBB1635_1118
.LBB1635_1190:                          ;   in Loop: Header=BB1635_1032 Depth=2
	ds_read_u8 v39, v0 offset:768
	s_waitcnt lgkmcnt(0)
	v_and_b32_e32 v40, 1, v39
	v_lshrrev_b32_e32 v40, s41, v40
	v_and_b32_e32 v40, s62, v40
	v_lshlrev_b32_e32 v40, 2, v40
	ds_read_b32 v40, v40
	s_waitcnt lgkmcnt(0)
	v_add_nc_u32_e32 v40, v40, v44
	global_store_byte v40, v39, s[48:49]
	s_or_b32 exec_lo, exec_lo, s22
	v_cmp_lt_u32_e64 s37, v47, v3
	s_and_saveexec_b32 s22, s37
	s_cbranch_execz .LBB1635_1119
.LBB1635_1191:                          ;   in Loop: Header=BB1635_1032 Depth=2
	ds_read_u8 v39, v0 offset:1024
	s_waitcnt lgkmcnt(0)
	v_and_b32_e32 v40, 1, v39
	v_lshrrev_b32_e32 v40, s41, v40
	v_and_b32_e32 v40, s62, v40
	v_lshlrev_b32_e32 v40, 2, v40
	ds_read_b32 v40, v40
	s_waitcnt lgkmcnt(0)
	v_add_nc_u32_e32 v40, v40, v47
	global_store_byte v40, v39, s[48:49]
	s_or_b32 exec_lo, exec_lo, s22
	v_cmp_lt_u32_e64 s36, v48, v3
	s_and_saveexec_b32 s22, s36
	s_cbranch_execz .LBB1635_1120
.LBB1635_1192:                          ;   in Loop: Header=BB1635_1032 Depth=2
	ds_read_u8 v39, v0 offset:1280
	s_waitcnt lgkmcnt(0)
	v_and_b32_e32 v40, 1, v39
	v_lshrrev_b32_e32 v40, s41, v40
	v_and_b32_e32 v40, s62, v40
	v_lshlrev_b32_e32 v40, 2, v40
	ds_read_b32 v40, v40
	s_waitcnt lgkmcnt(0)
	v_add_nc_u32_e32 v40, v40, v48
	global_store_byte v40, v39, s[48:49]
	s_or_b32 exec_lo, exec_lo, s22
	v_cmp_lt_u32_e64 s35, v49, v3
	s_and_saveexec_b32 s22, s35
	s_cbranch_execz .LBB1635_1121
.LBB1635_1193:                          ;   in Loop: Header=BB1635_1032 Depth=2
	ds_read_u8 v39, v0 offset:1536
	s_waitcnt lgkmcnt(0)
	v_and_b32_e32 v40, 1, v39
	v_lshrrev_b32_e32 v40, s41, v40
	v_and_b32_e32 v40, s62, v40
	v_lshlrev_b32_e32 v40, 2, v40
	ds_read_b32 v40, v40
	s_waitcnt lgkmcnt(0)
	v_add_nc_u32_e32 v40, v40, v49
	global_store_byte v40, v39, s[48:49]
	s_or_b32 exec_lo, exec_lo, s22
	v_cmp_lt_u32_e64 s34, v50, v3
	s_and_saveexec_b32 s22, s34
	s_cbranch_execz .LBB1635_1122
.LBB1635_1194:                          ;   in Loop: Header=BB1635_1032 Depth=2
	ds_read_u8 v39, v0 offset:1792
	s_waitcnt lgkmcnt(0)
	v_and_b32_e32 v40, 1, v39
	v_lshrrev_b32_e32 v40, s41, v40
	v_and_b32_e32 v40, s62, v40
	v_lshlrev_b32_e32 v40, 2, v40
	ds_read_b32 v40, v40
	s_waitcnt lgkmcnt(0)
	v_add_nc_u32_e32 v40, v40, v50
	global_store_byte v40, v39, s[48:49]
	s_or_b32 exec_lo, exec_lo, s22
	v_cmp_lt_u32_e64 s33, v51, v3
	s_and_saveexec_b32 s22, s33
	s_cbranch_execz .LBB1635_1123
.LBB1635_1195:                          ;   in Loop: Header=BB1635_1032 Depth=2
	ds_read_u8 v39, v0 offset:2048
	s_waitcnt lgkmcnt(0)
	v_and_b32_e32 v40, 1, v39
	v_lshrrev_b32_e32 v40, s41, v40
	v_and_b32_e32 v40, s62, v40
	v_lshlrev_b32_e32 v40, 2, v40
	ds_read_b32 v40, v40
	s_waitcnt lgkmcnt(0)
	v_add_nc_u32_e32 v40, v40, v51
	global_store_byte v40, v39, s[48:49]
	s_or_b32 exec_lo, exec_lo, s22
	v_cmp_lt_u32_e64 s31, v52, v3
	s_and_saveexec_b32 s22, s31
	s_cbranch_execz .LBB1635_1124
.LBB1635_1196:                          ;   in Loop: Header=BB1635_1032 Depth=2
	ds_read_u8 v39, v0 offset:2304
	s_waitcnt lgkmcnt(0)
	v_and_b32_e32 v40, 1, v39
	v_lshrrev_b32_e32 v40, s41, v40
	v_and_b32_e32 v40, s62, v40
	v_lshlrev_b32_e32 v40, 2, v40
	ds_read_b32 v40, v40
	s_waitcnt lgkmcnt(0)
	v_add_nc_u32_e32 v40, v40, v52
	global_store_byte v40, v39, s[48:49]
	s_or_b32 exec_lo, exec_lo, s22
	v_cmp_lt_u32_e64 s30, v53, v3
	s_and_saveexec_b32 s22, s30
	s_cbranch_execz .LBB1635_1125
.LBB1635_1197:                          ;   in Loop: Header=BB1635_1032 Depth=2
	ds_read_u8 v39, v0 offset:2560
	s_waitcnt lgkmcnt(0)
	v_and_b32_e32 v40, 1, v39
	v_lshrrev_b32_e32 v40, s41, v40
	v_and_b32_e32 v40, s62, v40
	v_lshlrev_b32_e32 v40, 2, v40
	ds_read_b32 v40, v40
	s_waitcnt lgkmcnt(0)
	v_add_nc_u32_e32 v40, v40, v53
	global_store_byte v40, v39, s[48:49]
	s_or_b32 exec_lo, exec_lo, s22
	v_cmp_lt_u32_e64 s29, v54, v3
	s_and_saveexec_b32 s22, s29
	s_cbranch_execz .LBB1635_1126
.LBB1635_1198:                          ;   in Loop: Header=BB1635_1032 Depth=2
	ds_read_u8 v39, v0 offset:2816
	s_waitcnt lgkmcnt(0)
	v_and_b32_e32 v40, 1, v39
	v_lshrrev_b32_e32 v40, s41, v40
	v_and_b32_e32 v40, s62, v40
	v_lshlrev_b32_e32 v40, 2, v40
	ds_read_b32 v40, v40
	s_waitcnt lgkmcnt(0)
	v_add_nc_u32_e32 v40, v40, v54
	global_store_byte v40, v39, s[48:49]
	s_or_b32 exec_lo, exec_lo, s22
	v_cmp_lt_u32_e64 s27, v55, v3
	s_and_saveexec_b32 s22, s27
	s_cbranch_execz .LBB1635_1127
.LBB1635_1199:                          ;   in Loop: Header=BB1635_1032 Depth=2
	ds_read_u8 v39, v0 offset:3072
	s_waitcnt lgkmcnt(0)
	v_and_b32_e32 v40, 1, v39
	v_lshrrev_b32_e32 v40, s41, v40
	v_and_b32_e32 v40, s62, v40
	v_lshlrev_b32_e32 v40, 2, v40
	ds_read_b32 v40, v40
	s_waitcnt lgkmcnt(0)
	v_add_nc_u32_e32 v40, v40, v55
	global_store_byte v40, v39, s[48:49]
	s_or_b32 exec_lo, exec_lo, s22
	v_cmp_lt_u32_e64 s26, v56, v3
	s_and_saveexec_b32 s22, s26
	s_cbranch_execz .LBB1635_1128
.LBB1635_1200:                          ;   in Loop: Header=BB1635_1032 Depth=2
	ds_read_u8 v39, v0 offset:3328
	s_waitcnt lgkmcnt(0)
	v_and_b32_e32 v40, 1, v39
	v_lshrrev_b32_e32 v40, s41, v40
	v_and_b32_e32 v40, s62, v40
	v_lshlrev_b32_e32 v40, 2, v40
	ds_read_b32 v40, v40
	s_waitcnt lgkmcnt(0)
	v_add_nc_u32_e32 v40, v40, v56
	global_store_byte v40, v39, s[48:49]
	s_or_b32 exec_lo, exec_lo, s22
	v_cmp_lt_u32_e64 s25, v57, v3
	s_and_saveexec_b32 s22, s25
	s_cbranch_execz .LBB1635_1129
.LBB1635_1201:                          ;   in Loop: Header=BB1635_1032 Depth=2
	ds_read_u8 v39, v0 offset:3584
	s_waitcnt lgkmcnt(0)
	v_and_b32_e32 v40, 1, v39
	v_lshrrev_b32_e32 v40, s41, v40
	v_and_b32_e32 v40, s62, v40
	v_lshlrev_b32_e32 v40, 2, v40
	ds_read_b32 v40, v40
	s_waitcnt lgkmcnt(0)
	v_add_nc_u32_e32 v40, v40, v57
	global_store_byte v40, v39, s[48:49]
	s_or_b32 exec_lo, exec_lo, s22
	v_cmp_lt_u32_e64 s24, v58, v3
	s_and_saveexec_b32 s22, s24
	s_cbranch_execz .LBB1635_1130
.LBB1635_1202:                          ;   in Loop: Header=BB1635_1032 Depth=2
	ds_read_u8 v39, v0 offset:3840
	s_waitcnt lgkmcnt(0)
	v_and_b32_e32 v40, 1, v39
	v_lshrrev_b32_e32 v40, s41, v40
	v_and_b32_e32 v40, s62, v40
	v_lshlrev_b32_e32 v40, 2, v40
	ds_read_b32 v40, v40
	s_waitcnt lgkmcnt(0)
	v_add_nc_u32_e32 v40, v40, v58
	global_store_byte v40, v39, s[48:49]
	s_or_b32 exec_lo, exec_lo, s22
	v_cmp_lt_u32_e64 s23, v59, v3
	s_and_saveexec_b32 s22, s23
	s_cbranch_execz .LBB1635_1131
.LBB1635_1203:                          ;   in Loop: Header=BB1635_1032 Depth=2
	ds_read_u8 v39, v0 offset:4096
	s_waitcnt lgkmcnt(0)
	v_and_b32_e32 v40, 1, v39
	v_lshrrev_b32_e32 v40, s41, v40
	v_and_b32_e32 v40, s62, v40
	v_lshlrev_b32_e32 v40, 2, v40
	ds_read_b32 v40, v40
	s_waitcnt lgkmcnt(0)
	v_add_nc_u32_e32 v40, v40, v59
	global_store_byte v40, v39, s[48:49]
	s_or_b32 exec_lo, exec_lo, s22
	v_cmp_lt_u32_e64 s22, v60, v3
	s_and_saveexec_b32 s40, s22
	s_cbranch_execz .LBB1635_1132
.LBB1635_1204:                          ;   in Loop: Header=BB1635_1032 Depth=2
	ds_read_u8 v39, v0 offset:4352
	s_waitcnt lgkmcnt(0)
	v_and_b32_e32 v40, 1, v39
	v_lshrrev_b32_e32 v40, s41, v40
	v_and_b32_e32 v40, s62, v40
	v_lshlrev_b32_e32 v40, 2, v40
	ds_read_b32 v40, v40
	s_waitcnt lgkmcnt(0)
	v_add_nc_u32_e32 v40, v40, v60
	global_store_byte v40, v39, s[48:49]
	s_or_b32 exec_lo, exec_lo, s40
	v_cmp_lt_u32_e32 vcc_lo, v61, v3
	s_and_saveexec_b32 s40, vcc_lo
	s_cbranch_execnz .LBB1635_1133
	s_branch .LBB1635_1134
.LBB1635_1205:                          ;   in Loop: Header=BB1635_1032 Depth=2
	global_load_dwordx2 v[37:38], v[39:40], off
	s_or_b32 exec_lo, exec_lo, s40
	s_mov_b32 s50, exec_lo
	v_cmpx_lt_u32_e64 v96, v3
	s_cbranch_execz .LBB1635_1136
.LBB1635_1206:                          ;   in Loop: Header=BB1635_1032 Depth=2
	global_load_dwordx2 v[35:36], v[39:40], off offset:256
	s_or_b32 exec_lo, exec_lo, s50
	s_mov_b32 s50, exec_lo
	v_cmpx_lt_u32_e64 v97, v3
	s_cbranch_execz .LBB1635_1137
.LBB1635_1207:                          ;   in Loop: Header=BB1635_1032 Depth=2
	global_load_dwordx2 v[33:34], v[39:40], off offset:512
	s_or_b32 exec_lo, exec_lo, s50
	s_mov_b32 s50, exec_lo
	v_cmpx_lt_u32_e64 v98, v3
	s_cbranch_execz .LBB1635_1138
.LBB1635_1208:                          ;   in Loop: Header=BB1635_1032 Depth=2
	global_load_dwordx2 v[31:32], v[39:40], off offset:768
	s_or_b32 exec_lo, exec_lo, s50
	s_mov_b32 s50, exec_lo
	v_cmpx_lt_u32_e64 v99, v3
	s_cbranch_execz .LBB1635_1139
.LBB1635_1209:                          ;   in Loop: Header=BB1635_1032 Depth=2
	global_load_dwordx2 v[29:30], v[39:40], off offset:1024
	s_or_b32 exec_lo, exec_lo, s50
	s_mov_b32 s50, exec_lo
	v_cmpx_lt_u32_e64 v100, v3
	s_cbranch_execz .LBB1635_1140
.LBB1635_1210:                          ;   in Loop: Header=BB1635_1032 Depth=2
	global_load_dwordx2 v[25:26], v[39:40], off offset:1280
	s_or_b32 exec_lo, exec_lo, s50
	s_mov_b32 s50, exec_lo
	v_cmpx_lt_u32_e64 v101, v3
	s_cbranch_execz .LBB1635_1141
.LBB1635_1211:                          ;   in Loop: Header=BB1635_1032 Depth=2
	global_load_dwordx2 v[21:22], v[39:40], off offset:1536
	s_or_b32 exec_lo, exec_lo, s50
	s_mov_b32 s50, exec_lo
	v_cmpx_lt_u32_e64 v102, v3
	s_cbranch_execz .LBB1635_1142
.LBB1635_1212:                          ;   in Loop: Header=BB1635_1032 Depth=2
	global_load_dwordx2 v[17:18], v[39:40], off offset:1792
	s_or_b32 exec_lo, exec_lo, s50
	s_mov_b32 s50, exec_lo
	v_cmpx_lt_u32_e64 v103, v3
	s_cbranch_execz .LBB1635_1143
.LBB1635_1213:                          ;   in Loop: Header=BB1635_1032 Depth=2
	v_add_co_u32 v27, s40, 0x800, v39
	v_add_co_ci_u32_e64 v28, null, 0, v40, s40
	global_load_dwordx2 v[27:28], v[27:28], off
	s_or_b32 exec_lo, exec_lo, s50
	s_mov_b32 s50, exec_lo
	v_cmpx_lt_u32_e64 v104, v3
	s_cbranch_execz .LBB1635_1144
.LBB1635_1214:                          ;   in Loop: Header=BB1635_1032 Depth=2
	v_add_co_u32 v23, s40, 0x800, v39
	v_add_co_ci_u32_e64 v24, null, 0, v40, s40
	global_load_dwordx2 v[23:24], v[23:24], off offset:256
	s_or_b32 exec_lo, exec_lo, s50
	s_mov_b32 s50, exec_lo
	v_cmpx_lt_u32_e64 v105, v3
	s_cbranch_execz .LBB1635_1145
.LBB1635_1215:                          ;   in Loop: Header=BB1635_1032 Depth=2
	v_add_co_u32 v19, s40, 0x800, v39
	v_add_co_ci_u32_e64 v20, null, 0, v40, s40
	global_load_dwordx2 v[19:20], v[19:20], off offset:512
	s_or_b32 exec_lo, exec_lo, s50
	s_mov_b32 s50, exec_lo
	v_cmpx_lt_u32_e64 v106, v3
	s_cbranch_execz .LBB1635_1146
.LBB1635_1216:                          ;   in Loop: Header=BB1635_1032 Depth=2
	v_add_co_u32 v15, s40, 0x800, v39
	v_add_co_ci_u32_e64 v16, null, 0, v40, s40
	global_load_dwordx2 v[15:16], v[15:16], off offset:768
	s_or_b32 exec_lo, exec_lo, s50
	s_mov_b32 s50, exec_lo
	v_cmpx_lt_u32_e64 v107, v3
	s_cbranch_execz .LBB1635_1147
.LBB1635_1217:                          ;   in Loop: Header=BB1635_1032 Depth=2
	v_add_co_u32 v13, s40, 0x800, v39
	v_add_co_ci_u32_e64 v14, null, 0, v40, s40
	global_load_dwordx2 v[13:14], v[13:14], off offset:1024
	s_or_b32 exec_lo, exec_lo, s50
	s_mov_b32 s50, exec_lo
	v_cmpx_lt_u32_e64 v108, v3
	s_cbranch_execz .LBB1635_1148
.LBB1635_1218:                          ;   in Loop: Header=BB1635_1032 Depth=2
	v_add_co_u32 v11, s40, 0x800, v39
	v_add_co_ci_u32_e64 v12, null, 0, v40, s40
	global_load_dwordx2 v[11:12], v[11:12], off offset:1280
	s_or_b32 exec_lo, exec_lo, s50
	s_mov_b32 s50, exec_lo
	v_cmpx_lt_u32_e64 v109, v3
	s_cbranch_execz .LBB1635_1149
.LBB1635_1219:                          ;   in Loop: Header=BB1635_1032 Depth=2
	v_add_co_u32 v9, s40, 0x800, v39
	v_add_co_ci_u32_e64 v10, null, 0, v40, s40
	global_load_dwordx2 v[9:10], v[9:10], off offset:1536
	s_or_b32 exec_lo, exec_lo, s50
	s_mov_b32 s50, exec_lo
	v_cmpx_lt_u32_e64 v110, v3
	s_cbranch_execz .LBB1635_1150
.LBB1635_1220:                          ;   in Loop: Header=BB1635_1032 Depth=2
	v_add_co_u32 v7, s40, 0x800, v39
	v_add_co_ci_u32_e64 v8, null, 0, v40, s40
	global_load_dwordx2 v[7:8], v[7:8], off offset:1792
	s_or_b32 exec_lo, exec_lo, s50
	s_mov_b32 s50, exec_lo
	v_cmpx_lt_u32_e64 v111, v3
	s_cbranch_execz .LBB1635_1151
.LBB1635_1221:                          ;   in Loop: Header=BB1635_1032 Depth=2
	v_add_co_u32 v5, s40, 0x1000, v39
	v_add_co_ci_u32_e64 v6, null, 0, v40, s40
	global_load_dwordx2 v[5:6], v[5:6], off
	s_or_b32 exec_lo, exec_lo, s50
	s_and_saveexec_b32 s40, s38
	s_cbranch_execz .LBB1635_1152
.LBB1635_1222:                          ;   in Loop: Header=BB1635_1032 Depth=2
	ds_read_u8 v3, v0 offset:512
	s_waitcnt lgkmcnt(0)
	v_lshrrev_b32_e32 v3, s41, v3
	v_and_b32_e32 v131, s62, v3
	s_or_b32 exec_lo, exec_lo, s40
	s_and_saveexec_b32 s40, s39
	s_cbranch_execz .LBB1635_1153
.LBB1635_1223:                          ;   in Loop: Header=BB1635_1032 Depth=2
	ds_read_u8 v3, v0 offset:768
	s_waitcnt lgkmcnt(0)
	v_lshrrev_b32_e32 v3, s41, v3
	v_and_b32_e32 v130, s62, v3
	s_or_b32 exec_lo, exec_lo, s40
	s_and_saveexec_b32 s40, s37
	s_cbranch_execz .LBB1635_1154
.LBB1635_1224:                          ;   in Loop: Header=BB1635_1032 Depth=2
	ds_read_u8 v3, v0 offset:1024
	s_waitcnt lgkmcnt(0)
	v_lshrrev_b32_e32 v3, s41, v3
	v_and_b32_e32 v129, s62, v3
	s_or_b32 exec_lo, exec_lo, s40
	s_and_saveexec_b32 s40, s36
	s_cbranch_execz .LBB1635_1155
.LBB1635_1225:                          ;   in Loop: Header=BB1635_1032 Depth=2
	ds_read_u8 v3, v0 offset:1280
	s_waitcnt lgkmcnt(0)
	v_lshrrev_b32_e32 v3, s41, v3
	v_and_b32_e32 v128, s62, v3
	s_or_b32 exec_lo, exec_lo, s40
	s_and_saveexec_b32 s40, s35
	s_cbranch_execz .LBB1635_1156
.LBB1635_1226:                          ;   in Loop: Header=BB1635_1032 Depth=2
	ds_read_u8 v3, v0 offset:1536
	s_waitcnt lgkmcnt(0)
	v_lshrrev_b32_e32 v3, s41, v3
	v_and_b32_e32 v127, s62, v3
	s_or_b32 exec_lo, exec_lo, s40
	s_and_saveexec_b32 s40, s34
	s_cbranch_execz .LBB1635_1157
.LBB1635_1227:                          ;   in Loop: Header=BB1635_1032 Depth=2
	ds_read_u8 v3, v0 offset:1792
	s_waitcnt lgkmcnt(0)
	v_lshrrev_b32_e32 v3, s41, v3
	v_and_b32_e32 v126, s62, v3
	s_or_b32 exec_lo, exec_lo, s40
	s_and_saveexec_b32 s40, s33
	s_cbranch_execz .LBB1635_1158
.LBB1635_1228:                          ;   in Loop: Header=BB1635_1032 Depth=2
	ds_read_u8 v3, v0 offset:2048
	s_waitcnt lgkmcnt(0)
	v_lshrrev_b32_e32 v3, s41, v3
	v_and_b32_e32 v125, s62, v3
	s_or_b32 exec_lo, exec_lo, s40
	s_and_saveexec_b32 s40, s31
	s_cbranch_execz .LBB1635_1159
.LBB1635_1229:                          ;   in Loop: Header=BB1635_1032 Depth=2
	ds_read_u8 v3, v0 offset:2304
	s_waitcnt lgkmcnt(0)
	v_lshrrev_b32_e32 v3, s41, v3
	v_and_b32_e32 v124, s62, v3
	s_or_b32 exec_lo, exec_lo, s40
	s_and_saveexec_b32 s40, s30
	s_cbranch_execz .LBB1635_1160
.LBB1635_1230:                          ;   in Loop: Header=BB1635_1032 Depth=2
	ds_read_u8 v3, v0 offset:2560
	s_waitcnt lgkmcnt(0)
	v_lshrrev_b32_e32 v3, s41, v3
	v_and_b32_e32 v123, s62, v3
	s_or_b32 exec_lo, exec_lo, s40
	s_and_saveexec_b32 s40, s29
	s_cbranch_execz .LBB1635_1161
.LBB1635_1231:                          ;   in Loop: Header=BB1635_1032 Depth=2
	ds_read_u8 v3, v0 offset:2816
	s_waitcnt lgkmcnt(0)
	v_lshrrev_b32_e32 v3, s41, v3
	v_and_b32_e32 v122, s62, v3
	s_or_b32 exec_lo, exec_lo, s40
	s_and_saveexec_b32 s40, s27
	s_cbranch_execz .LBB1635_1162
.LBB1635_1232:                          ;   in Loop: Header=BB1635_1032 Depth=2
	ds_read_u8 v3, v0 offset:3072
	s_waitcnt lgkmcnt(0)
	v_lshrrev_b32_e32 v3, s41, v3
	v_and_b32_e32 v121, s62, v3
	s_or_b32 exec_lo, exec_lo, s40
	s_and_saveexec_b32 s40, s26
	s_cbranch_execz .LBB1635_1163
.LBB1635_1233:                          ;   in Loop: Header=BB1635_1032 Depth=2
	ds_read_u8 v3, v0 offset:3328
	s_waitcnt lgkmcnt(0)
	v_lshrrev_b32_e32 v3, s41, v3
	v_and_b32_e32 v120, s62, v3
	s_or_b32 exec_lo, exec_lo, s40
	s_and_saveexec_b32 s40, s25
	s_cbranch_execz .LBB1635_1164
.LBB1635_1234:                          ;   in Loop: Header=BB1635_1032 Depth=2
	ds_read_u8 v3, v0 offset:3584
	s_waitcnt lgkmcnt(0)
	v_lshrrev_b32_e32 v3, s41, v3
	v_and_b32_e32 v119, s62, v3
	s_or_b32 exec_lo, exec_lo, s40
	s_and_saveexec_b32 s40, s24
	s_cbranch_execz .LBB1635_1165
.LBB1635_1235:                          ;   in Loop: Header=BB1635_1032 Depth=2
	ds_read_u8 v3, v0 offset:3840
	s_waitcnt lgkmcnt(0)
	v_lshrrev_b32_e32 v3, s41, v3
	v_and_b32_e32 v118, s62, v3
	s_or_b32 exec_lo, exec_lo, s40
	s_and_saveexec_b32 s40, s23
	s_cbranch_execz .LBB1635_1166
.LBB1635_1236:                          ;   in Loop: Header=BB1635_1032 Depth=2
	ds_read_u8 v3, v0 offset:4096
	s_waitcnt lgkmcnt(0)
	v_lshrrev_b32_e32 v3, s41, v3
	v_and_b32_e32 v117, s62, v3
	s_or_b32 exec_lo, exec_lo, s40
	s_and_saveexec_b32 s40, s22
	s_cbranch_execz .LBB1635_1167
.LBB1635_1237:                          ;   in Loop: Header=BB1635_1032 Depth=2
	ds_read_u8 v3, v0 offset:4352
	s_waitcnt lgkmcnt(0)
	v_lshrrev_b32_e32 v3, s41, v3
	v_and_b32_e32 v116, s62, v3
	s_or_b32 exec_lo, exec_lo, s40
	s_and_saveexec_b32 s40, vcc_lo
	s_cbranch_execnz .LBB1635_1168
	s_branch .LBB1635_1169
.LBB1635_1238:                          ;   in Loop: Header=BB1635_1032 Depth=2
	v_lshlrev_b32_e32 v3, 2, v131
	ds_read_b32 v3, v3
	ds_read_b64 v[40:41], v39 offset:512
	s_waitcnt lgkmcnt(1)
	v_add_nc_u32_e32 v3, v3, v0
	v_lshlrev_b64 v[134:135], 3, v[3:4]
	v_add_co_u32 v134, s38, s54, v134
	v_add_co_ci_u32_e64 v135, null, s55, v135, s38
	s_waitcnt lgkmcnt(0)
	global_store_dwordx2 v[134:135], v[40:41], off
	s_or_b32 exec_lo, exec_lo, s40
	s_and_saveexec_b32 s40, s39
	s_cbranch_execz .LBB1635_1171
.LBB1635_1239:                          ;   in Loop: Header=BB1635_1032 Depth=2
	v_lshlrev_b32_e32 v3, 2, v130
	ds_read_b32 v3, v3
	ds_read_b64 v[40:41], v39 offset:2560
	s_waitcnt lgkmcnt(1)
	v_add_nc_u32_e32 v3, v3, v44
	v_lshlrev_b64 v[134:135], 3, v[3:4]
	v_add_co_u32 v134, s38, s54, v134
	v_add_co_ci_u32_e64 v135, null, s55, v135, s38
	s_waitcnt lgkmcnt(0)
	global_store_dwordx2 v[134:135], v[40:41], off
	s_or_b32 exec_lo, exec_lo, s40
	s_and_saveexec_b32 s38, s37
	s_cbranch_execz .LBB1635_1172
.LBB1635_1240:                          ;   in Loop: Header=BB1635_1032 Depth=2
	v_lshlrev_b32_e32 v3, 2, v129
	ds_read_b32 v3, v3
	ds_read_b64 v[40:41], v39 offset:4608
	s_waitcnt lgkmcnt(1)
	v_add_nc_u32_e32 v3, v3, v47
	v_lshlrev_b64 v[134:135], 3, v[3:4]
	v_add_co_u32 v134, s37, s54, v134
	v_add_co_ci_u32_e64 v135, null, s55, v135, s37
	s_waitcnt lgkmcnt(0)
	global_store_dwordx2 v[134:135], v[40:41], off
	s_or_b32 exec_lo, exec_lo, s38
	s_and_saveexec_b32 s37, s36
	s_cbranch_execz .LBB1635_1173
.LBB1635_1241:                          ;   in Loop: Header=BB1635_1032 Depth=2
	v_lshlrev_b32_e32 v3, 2, v128
	ds_read_b32 v3, v3
	ds_read_b64 v[40:41], v39 offset:6656
	s_waitcnt lgkmcnt(1)
	v_add_nc_u32_e32 v3, v3, v48
	v_lshlrev_b64 v[134:135], 3, v[3:4]
	v_add_co_u32 v134, s36, s54, v134
	v_add_co_ci_u32_e64 v135, null, s55, v135, s36
	s_waitcnt lgkmcnt(0)
	global_store_dwordx2 v[134:135], v[40:41], off
	s_or_b32 exec_lo, exec_lo, s37
	s_and_saveexec_b32 s36, s35
	s_cbranch_execz .LBB1635_1174
.LBB1635_1242:                          ;   in Loop: Header=BB1635_1032 Depth=2
	v_lshlrev_b32_e32 v3, 2, v127
	ds_read_b32 v3, v3
	ds_read_b64 v[40:41], v39 offset:8704
	s_waitcnt lgkmcnt(1)
	v_add_nc_u32_e32 v3, v3, v49
	v_lshlrev_b64 v[134:135], 3, v[3:4]
	v_add_co_u32 v134, s35, s54, v134
	v_add_co_ci_u32_e64 v135, null, s55, v135, s35
	s_waitcnt lgkmcnt(0)
	global_store_dwordx2 v[134:135], v[40:41], off
	s_or_b32 exec_lo, exec_lo, s36
	s_and_saveexec_b32 s35, s34
	s_cbranch_execz .LBB1635_1175
.LBB1635_1243:                          ;   in Loop: Header=BB1635_1032 Depth=2
	v_lshlrev_b32_e32 v3, 2, v126
	ds_read_b32 v3, v3
	ds_read_b64 v[40:41], v39 offset:10752
	s_waitcnt lgkmcnt(1)
	v_add_nc_u32_e32 v3, v3, v50
	v_lshlrev_b64 v[134:135], 3, v[3:4]
	v_add_co_u32 v134, s34, s54, v134
	v_add_co_ci_u32_e64 v135, null, s55, v135, s34
	s_waitcnt lgkmcnt(0)
	global_store_dwordx2 v[134:135], v[40:41], off
	s_or_b32 exec_lo, exec_lo, s35
	s_and_saveexec_b32 s34, s33
	s_cbranch_execz .LBB1635_1176
.LBB1635_1244:                          ;   in Loop: Header=BB1635_1032 Depth=2
	v_lshlrev_b32_e32 v3, 2, v125
	ds_read_b32 v3, v3
	ds_read_b64 v[40:41], v39 offset:12800
	s_waitcnt lgkmcnt(1)
	v_add_nc_u32_e32 v3, v3, v51
	v_lshlrev_b64 v[134:135], 3, v[3:4]
	v_add_co_u32 v134, s33, s54, v134
	v_add_co_ci_u32_e64 v135, null, s55, v135, s33
	s_waitcnt lgkmcnt(0)
	global_store_dwordx2 v[134:135], v[40:41], off
	s_or_b32 exec_lo, exec_lo, s34
	s_and_saveexec_b32 s33, s31
	s_cbranch_execz .LBB1635_1177
.LBB1635_1245:                          ;   in Loop: Header=BB1635_1032 Depth=2
	v_lshlrev_b32_e32 v3, 2, v124
	ds_read_b32 v3, v3
	ds_read_b64 v[40:41], v39 offset:14848
	s_waitcnt lgkmcnt(1)
	v_add_nc_u32_e32 v3, v3, v52
	v_lshlrev_b64 v[134:135], 3, v[3:4]
	v_add_co_u32 v134, s31, s54, v134
	v_add_co_ci_u32_e64 v135, null, s55, v135, s31
	s_waitcnt lgkmcnt(0)
	global_store_dwordx2 v[134:135], v[40:41], off
	s_or_b32 exec_lo, exec_lo, s33
	s_and_saveexec_b32 s31, s30
	s_cbranch_execz .LBB1635_1178
.LBB1635_1246:                          ;   in Loop: Header=BB1635_1032 Depth=2
	v_lshlrev_b32_e32 v3, 2, v123
	ds_read_b32 v3, v3
	ds_read_b64 v[40:41], v39 offset:16896
	s_waitcnt lgkmcnt(1)
	v_add_nc_u32_e32 v3, v3, v53
	v_lshlrev_b64 v[134:135], 3, v[3:4]
	v_add_co_u32 v134, s30, s54, v134
	v_add_co_ci_u32_e64 v135, null, s55, v135, s30
	s_waitcnt lgkmcnt(0)
	global_store_dwordx2 v[134:135], v[40:41], off
	s_or_b32 exec_lo, exec_lo, s31
	s_and_saveexec_b32 s30, s29
	s_cbranch_execz .LBB1635_1179
.LBB1635_1247:                          ;   in Loop: Header=BB1635_1032 Depth=2
	v_lshlrev_b32_e32 v3, 2, v122
	ds_read_b32 v3, v3
	ds_read_b64 v[40:41], v39 offset:18944
	s_waitcnt lgkmcnt(1)
	v_add_nc_u32_e32 v3, v3, v54
	v_lshlrev_b64 v[134:135], 3, v[3:4]
	v_add_co_u32 v134, s29, s54, v134
	v_add_co_ci_u32_e64 v135, null, s55, v135, s29
	s_waitcnt lgkmcnt(0)
	global_store_dwordx2 v[134:135], v[40:41], off
	s_or_b32 exec_lo, exec_lo, s30
	s_and_saveexec_b32 s29, s27
	s_cbranch_execz .LBB1635_1180
.LBB1635_1248:                          ;   in Loop: Header=BB1635_1032 Depth=2
	v_lshlrev_b32_e32 v3, 2, v121
	ds_read_b32 v3, v3
	ds_read_b64 v[40:41], v39 offset:20992
	s_waitcnt lgkmcnt(1)
	v_add_nc_u32_e32 v3, v3, v55
	v_lshlrev_b64 v[134:135], 3, v[3:4]
	v_add_co_u32 v134, s27, s54, v134
	v_add_co_ci_u32_e64 v135, null, s55, v135, s27
	s_waitcnt lgkmcnt(0)
	global_store_dwordx2 v[134:135], v[40:41], off
	s_or_b32 exec_lo, exec_lo, s29
	s_and_saveexec_b32 s27, s26
	s_cbranch_execz .LBB1635_1181
.LBB1635_1249:                          ;   in Loop: Header=BB1635_1032 Depth=2
	v_lshlrev_b32_e32 v3, 2, v120
	ds_read_b32 v3, v3
	ds_read_b64 v[40:41], v39 offset:23040
	s_waitcnt lgkmcnt(1)
	v_add_nc_u32_e32 v3, v3, v56
	v_lshlrev_b64 v[134:135], 3, v[3:4]
	v_add_co_u32 v134, s26, s54, v134
	v_add_co_ci_u32_e64 v135, null, s55, v135, s26
	s_waitcnt lgkmcnt(0)
	global_store_dwordx2 v[134:135], v[40:41], off
	s_or_b32 exec_lo, exec_lo, s27
	s_and_saveexec_b32 s26, s25
	s_cbranch_execz .LBB1635_1182
.LBB1635_1250:                          ;   in Loop: Header=BB1635_1032 Depth=2
	v_lshlrev_b32_e32 v3, 2, v119
	ds_read_b32 v3, v3
	ds_read_b64 v[40:41], v39 offset:25088
	s_waitcnt lgkmcnt(1)
	v_add_nc_u32_e32 v3, v3, v57
	v_lshlrev_b64 v[134:135], 3, v[3:4]
	v_add_co_u32 v134, s25, s54, v134
	v_add_co_ci_u32_e64 v135, null, s55, v135, s25
	s_waitcnt lgkmcnt(0)
	global_store_dwordx2 v[134:135], v[40:41], off
	s_or_b32 exec_lo, exec_lo, s26
	s_and_saveexec_b32 s25, s24
	s_cbranch_execz .LBB1635_1183
.LBB1635_1251:                          ;   in Loop: Header=BB1635_1032 Depth=2
	v_lshlrev_b32_e32 v3, 2, v118
	ds_read_b32 v3, v3
	ds_read_b64 v[40:41], v39 offset:27136
	s_waitcnt lgkmcnt(1)
	v_add_nc_u32_e32 v3, v3, v58
	v_lshlrev_b64 v[134:135], 3, v[3:4]
	v_add_co_u32 v134, s24, s54, v134
	v_add_co_ci_u32_e64 v135, null, s55, v135, s24
	s_waitcnt lgkmcnt(0)
	global_store_dwordx2 v[134:135], v[40:41], off
	s_or_b32 exec_lo, exec_lo, s25
	s_and_saveexec_b32 s24, s23
	s_cbranch_execz .LBB1635_1184
.LBB1635_1252:                          ;   in Loop: Header=BB1635_1032 Depth=2
	v_lshlrev_b32_e32 v3, 2, v117
	ds_read_b32 v3, v3
	ds_read_b64 v[40:41], v39 offset:29184
	s_waitcnt lgkmcnt(1)
	v_add_nc_u32_e32 v3, v3, v59
	v_lshlrev_b64 v[134:135], 3, v[3:4]
	v_add_co_u32 v134, s23, s54, v134
	v_add_co_ci_u32_e64 v135, null, s55, v135, s23
	s_waitcnt lgkmcnt(0)
	global_store_dwordx2 v[134:135], v[40:41], off
	s_or_b32 exec_lo, exec_lo, s24
	s_and_saveexec_b32 s23, s22
	s_cbranch_execz .LBB1635_1185
.LBB1635_1253:                          ;   in Loop: Header=BB1635_1032 Depth=2
	v_lshlrev_b32_e32 v3, 2, v116
	ds_read_b32 v3, v3
	ds_read_b64 v[40:41], v39 offset:31232
	s_waitcnt lgkmcnt(1)
	v_add_nc_u32_e32 v3, v3, v60
	v_lshlrev_b64 v[134:135], 3, v[3:4]
	v_add_co_u32 v134, s22, s54, v134
	v_add_co_ci_u32_e64 v135, null, s55, v135, s22
	s_waitcnt lgkmcnt(0)
	global_store_dwordx2 v[134:135], v[40:41], off
	s_or_b32 exec_lo, exec_lo, s23
	s_and_saveexec_b32 s22, vcc_lo
	s_cbranch_execnz .LBB1635_1186
	s_branch .LBB1635_1187
.LBB1635_1254:
	s_endpgm
	.section	.rodata,"a",@progbits
	.p2align	6, 0x0
	.amdhsa_kernel _ZN7rocprim17ROCPRIM_400000_NS6detail17trampoline_kernelINS0_14default_configENS1_36segmented_radix_sort_config_selectorIblEEZNS1_25segmented_radix_sort_implIS3_Lb0EPKbPbPKlPlN2at6native12_GLOBAL__N_18offset_tEEE10hipError_tPvRmT1_PNSt15iterator_traitsISK_E10value_typeET2_T3_PNSL_ISQ_E10value_typeET4_jRbjT5_SW_jjP12ihipStream_tbEUlT_E_NS1_11comp_targetILNS1_3genE8ELNS1_11target_archE1030ELNS1_3gpuE2ELNS1_3repE0EEENS1_30default_config_static_selectorELNS0_4arch9wavefront6targetE0EEEvSK_
		.amdhsa_group_segment_fixed_size 35344
		.amdhsa_private_segment_fixed_size 196
		.amdhsa_kernarg_size 352
		.amdhsa_user_sgpr_count 6
		.amdhsa_user_sgpr_private_segment_buffer 1
		.amdhsa_user_sgpr_dispatch_ptr 0
		.amdhsa_user_sgpr_queue_ptr 0
		.amdhsa_user_sgpr_kernarg_segment_ptr 1
		.amdhsa_user_sgpr_dispatch_id 0
		.amdhsa_user_sgpr_flat_scratch_init 0
		.amdhsa_user_sgpr_private_segment_size 0
		.amdhsa_wavefront_size32 1
		.amdhsa_uses_dynamic_stack 0
		.amdhsa_system_sgpr_private_segment_wavefront_offset 1
		.amdhsa_system_sgpr_workgroup_id_x 1
		.amdhsa_system_sgpr_workgroup_id_y 1
		.amdhsa_system_sgpr_workgroup_id_z 0
		.amdhsa_system_sgpr_workgroup_info 0
		.amdhsa_system_vgpr_workitem_id 2
		.amdhsa_next_free_vgpr 248
		.amdhsa_next_free_sgpr 68
		.amdhsa_reserve_vcc 1
		.amdhsa_reserve_flat_scratch 0
		.amdhsa_float_round_mode_32 0
		.amdhsa_float_round_mode_16_64 0
		.amdhsa_float_denorm_mode_32 3
		.amdhsa_float_denorm_mode_16_64 3
		.amdhsa_dx10_clamp 1
		.amdhsa_ieee_mode 1
		.amdhsa_fp16_overflow 0
		.amdhsa_workgroup_processor_mode 1
		.amdhsa_memory_ordered 1
		.amdhsa_forward_progress 1
		.amdhsa_shared_vgpr_count 0
		.amdhsa_exception_fp_ieee_invalid_op 0
		.amdhsa_exception_fp_denorm_src 0
		.amdhsa_exception_fp_ieee_div_zero 0
		.amdhsa_exception_fp_ieee_overflow 0
		.amdhsa_exception_fp_ieee_underflow 0
		.amdhsa_exception_fp_ieee_inexact 0
		.amdhsa_exception_int_div_zero 0
	.end_amdhsa_kernel
	.section	.text._ZN7rocprim17ROCPRIM_400000_NS6detail17trampoline_kernelINS0_14default_configENS1_36segmented_radix_sort_config_selectorIblEEZNS1_25segmented_radix_sort_implIS3_Lb0EPKbPbPKlPlN2at6native12_GLOBAL__N_18offset_tEEE10hipError_tPvRmT1_PNSt15iterator_traitsISK_E10value_typeET2_T3_PNSL_ISQ_E10value_typeET4_jRbjT5_SW_jjP12ihipStream_tbEUlT_E_NS1_11comp_targetILNS1_3genE8ELNS1_11target_archE1030ELNS1_3gpuE2ELNS1_3repE0EEENS1_30default_config_static_selectorELNS0_4arch9wavefront6targetE0EEEvSK_,"axG",@progbits,_ZN7rocprim17ROCPRIM_400000_NS6detail17trampoline_kernelINS0_14default_configENS1_36segmented_radix_sort_config_selectorIblEEZNS1_25segmented_radix_sort_implIS3_Lb0EPKbPbPKlPlN2at6native12_GLOBAL__N_18offset_tEEE10hipError_tPvRmT1_PNSt15iterator_traitsISK_E10value_typeET2_T3_PNSL_ISQ_E10value_typeET4_jRbjT5_SW_jjP12ihipStream_tbEUlT_E_NS1_11comp_targetILNS1_3genE8ELNS1_11target_archE1030ELNS1_3gpuE2ELNS1_3repE0EEENS1_30default_config_static_selectorELNS0_4arch9wavefront6targetE0EEEvSK_,comdat
.Lfunc_end1635:
	.size	_ZN7rocprim17ROCPRIM_400000_NS6detail17trampoline_kernelINS0_14default_configENS1_36segmented_radix_sort_config_selectorIblEEZNS1_25segmented_radix_sort_implIS3_Lb0EPKbPbPKlPlN2at6native12_GLOBAL__N_18offset_tEEE10hipError_tPvRmT1_PNSt15iterator_traitsISK_E10value_typeET2_T3_PNSL_ISQ_E10value_typeET4_jRbjT5_SW_jjP12ihipStream_tbEUlT_E_NS1_11comp_targetILNS1_3genE8ELNS1_11target_archE1030ELNS1_3gpuE2ELNS1_3repE0EEENS1_30default_config_static_selectorELNS0_4arch9wavefront6targetE0EEEvSK_, .Lfunc_end1635-_ZN7rocprim17ROCPRIM_400000_NS6detail17trampoline_kernelINS0_14default_configENS1_36segmented_radix_sort_config_selectorIblEEZNS1_25segmented_radix_sort_implIS3_Lb0EPKbPbPKlPlN2at6native12_GLOBAL__N_18offset_tEEE10hipError_tPvRmT1_PNSt15iterator_traitsISK_E10value_typeET2_T3_PNSL_ISQ_E10value_typeET4_jRbjT5_SW_jjP12ihipStream_tbEUlT_E_NS1_11comp_targetILNS1_3genE8ELNS1_11target_archE1030ELNS1_3gpuE2ELNS1_3repE0EEENS1_30default_config_static_selectorELNS0_4arch9wavefront6targetE0EEEvSK_
                                        ; -- End function
	.set _ZN7rocprim17ROCPRIM_400000_NS6detail17trampoline_kernelINS0_14default_configENS1_36segmented_radix_sort_config_selectorIblEEZNS1_25segmented_radix_sort_implIS3_Lb0EPKbPbPKlPlN2at6native12_GLOBAL__N_18offset_tEEE10hipError_tPvRmT1_PNSt15iterator_traitsISK_E10value_typeET2_T3_PNSL_ISQ_E10value_typeET4_jRbjT5_SW_jjP12ihipStream_tbEUlT_E_NS1_11comp_targetILNS1_3genE8ELNS1_11target_archE1030ELNS1_3gpuE2ELNS1_3repE0EEENS1_30default_config_static_selectorELNS0_4arch9wavefront6targetE0EEEvSK_.num_vgpr, max(204, .L_ZN7rocprim17ROCPRIM_400000_NS6detail40segmented_radix_sort_single_block_helperIblLj256ELj17ELb0EE4sortIPKbPbPKlPlEEbT_T0_T1_T2_jjjjRNS3_12storage_typeE.num_vgpr)
	.set _ZN7rocprim17ROCPRIM_400000_NS6detail17trampoline_kernelINS0_14default_configENS1_36segmented_radix_sort_config_selectorIblEEZNS1_25segmented_radix_sort_implIS3_Lb0EPKbPbPKlPlN2at6native12_GLOBAL__N_18offset_tEEE10hipError_tPvRmT1_PNSt15iterator_traitsISK_E10value_typeET2_T3_PNSL_ISQ_E10value_typeET4_jRbjT5_SW_jjP12ihipStream_tbEUlT_E_NS1_11comp_targetILNS1_3genE8ELNS1_11target_archE1030ELNS1_3gpuE2ELNS1_3repE0EEENS1_30default_config_static_selectorELNS0_4arch9wavefront6targetE0EEEvSK_.num_agpr, max(0, .L_ZN7rocprim17ROCPRIM_400000_NS6detail40segmented_radix_sort_single_block_helperIblLj256ELj17ELb0EE4sortIPKbPbPKlPlEEbT_T0_T1_T2_jjjjRNS3_12storage_typeE.num_agpr)
	.set _ZN7rocprim17ROCPRIM_400000_NS6detail17trampoline_kernelINS0_14default_configENS1_36segmented_radix_sort_config_selectorIblEEZNS1_25segmented_radix_sort_implIS3_Lb0EPKbPbPKlPlN2at6native12_GLOBAL__N_18offset_tEEE10hipError_tPvRmT1_PNSt15iterator_traitsISK_E10value_typeET2_T3_PNSL_ISQ_E10value_typeET4_jRbjT5_SW_jjP12ihipStream_tbEUlT_E_NS1_11comp_targetILNS1_3genE8ELNS1_11target_archE1030ELNS1_3gpuE2ELNS1_3repE0EEENS1_30default_config_static_selectorELNS0_4arch9wavefront6targetE0EEEvSK_.numbered_sgpr, max(68, .L_ZN7rocprim17ROCPRIM_400000_NS6detail40segmented_radix_sort_single_block_helperIblLj256ELj17ELb0EE4sortIPKbPbPKlPlEEbT_T0_T1_T2_jjjjRNS3_12storage_typeE.numbered_sgpr)
	.set _ZN7rocprim17ROCPRIM_400000_NS6detail17trampoline_kernelINS0_14default_configENS1_36segmented_radix_sort_config_selectorIblEEZNS1_25segmented_radix_sort_implIS3_Lb0EPKbPbPKlPlN2at6native12_GLOBAL__N_18offset_tEEE10hipError_tPvRmT1_PNSt15iterator_traitsISK_E10value_typeET2_T3_PNSL_ISQ_E10value_typeET4_jRbjT5_SW_jjP12ihipStream_tbEUlT_E_NS1_11comp_targetILNS1_3genE8ELNS1_11target_archE1030ELNS1_3gpuE2ELNS1_3repE0EEENS1_30default_config_static_selectorELNS0_4arch9wavefront6targetE0EEEvSK_.num_named_barrier, max(0, .L_ZN7rocprim17ROCPRIM_400000_NS6detail40segmented_radix_sort_single_block_helperIblLj256ELj17ELb0EE4sortIPKbPbPKlPlEEbT_T0_T1_T2_jjjjRNS3_12storage_typeE.num_named_barrier)
	.set _ZN7rocprim17ROCPRIM_400000_NS6detail17trampoline_kernelINS0_14default_configENS1_36segmented_radix_sort_config_selectorIblEEZNS1_25segmented_radix_sort_implIS3_Lb0EPKbPbPKlPlN2at6native12_GLOBAL__N_18offset_tEEE10hipError_tPvRmT1_PNSt15iterator_traitsISK_E10value_typeET2_T3_PNSL_ISQ_E10value_typeET4_jRbjT5_SW_jjP12ihipStream_tbEUlT_E_NS1_11comp_targetILNS1_3genE8ELNS1_11target_archE1030ELNS1_3gpuE2ELNS1_3repE0EEENS1_30default_config_static_selectorELNS0_4arch9wavefront6targetE0EEEvSK_.private_seg_size, 0+max(.L_ZN7rocprim17ROCPRIM_400000_NS6detail40segmented_radix_sort_single_block_helperIblLj256ELj17ELb0EE4sortIPKbPbPKlPlEEbT_T0_T1_T2_jjjjRNS3_12storage_typeE.private_seg_size)
	.set _ZN7rocprim17ROCPRIM_400000_NS6detail17trampoline_kernelINS0_14default_configENS1_36segmented_radix_sort_config_selectorIblEEZNS1_25segmented_radix_sort_implIS3_Lb0EPKbPbPKlPlN2at6native12_GLOBAL__N_18offset_tEEE10hipError_tPvRmT1_PNSt15iterator_traitsISK_E10value_typeET2_T3_PNSL_ISQ_E10value_typeET4_jRbjT5_SW_jjP12ihipStream_tbEUlT_E_NS1_11comp_targetILNS1_3genE8ELNS1_11target_archE1030ELNS1_3gpuE2ELNS1_3repE0EEENS1_30default_config_static_selectorELNS0_4arch9wavefront6targetE0EEEvSK_.uses_vcc, or(1, .L_ZN7rocprim17ROCPRIM_400000_NS6detail40segmented_radix_sort_single_block_helperIblLj256ELj17ELb0EE4sortIPKbPbPKlPlEEbT_T0_T1_T2_jjjjRNS3_12storage_typeE.uses_vcc)
	.set _ZN7rocprim17ROCPRIM_400000_NS6detail17trampoline_kernelINS0_14default_configENS1_36segmented_radix_sort_config_selectorIblEEZNS1_25segmented_radix_sort_implIS3_Lb0EPKbPbPKlPlN2at6native12_GLOBAL__N_18offset_tEEE10hipError_tPvRmT1_PNSt15iterator_traitsISK_E10value_typeET2_T3_PNSL_ISQ_E10value_typeET4_jRbjT5_SW_jjP12ihipStream_tbEUlT_E_NS1_11comp_targetILNS1_3genE8ELNS1_11target_archE1030ELNS1_3gpuE2ELNS1_3repE0EEENS1_30default_config_static_selectorELNS0_4arch9wavefront6targetE0EEEvSK_.uses_flat_scratch, or(0, .L_ZN7rocprim17ROCPRIM_400000_NS6detail40segmented_radix_sort_single_block_helperIblLj256ELj17ELb0EE4sortIPKbPbPKlPlEEbT_T0_T1_T2_jjjjRNS3_12storage_typeE.uses_flat_scratch)
	.set _ZN7rocprim17ROCPRIM_400000_NS6detail17trampoline_kernelINS0_14default_configENS1_36segmented_radix_sort_config_selectorIblEEZNS1_25segmented_radix_sort_implIS3_Lb0EPKbPbPKlPlN2at6native12_GLOBAL__N_18offset_tEEE10hipError_tPvRmT1_PNSt15iterator_traitsISK_E10value_typeET2_T3_PNSL_ISQ_E10value_typeET4_jRbjT5_SW_jjP12ihipStream_tbEUlT_E_NS1_11comp_targetILNS1_3genE8ELNS1_11target_archE1030ELNS1_3gpuE2ELNS1_3repE0EEENS1_30default_config_static_selectorELNS0_4arch9wavefront6targetE0EEEvSK_.has_dyn_sized_stack, or(0, .L_ZN7rocprim17ROCPRIM_400000_NS6detail40segmented_radix_sort_single_block_helperIblLj256ELj17ELb0EE4sortIPKbPbPKlPlEEbT_T0_T1_T2_jjjjRNS3_12storage_typeE.has_dyn_sized_stack)
	.set _ZN7rocprim17ROCPRIM_400000_NS6detail17trampoline_kernelINS0_14default_configENS1_36segmented_radix_sort_config_selectorIblEEZNS1_25segmented_radix_sort_implIS3_Lb0EPKbPbPKlPlN2at6native12_GLOBAL__N_18offset_tEEE10hipError_tPvRmT1_PNSt15iterator_traitsISK_E10value_typeET2_T3_PNSL_ISQ_E10value_typeET4_jRbjT5_SW_jjP12ihipStream_tbEUlT_E_NS1_11comp_targetILNS1_3genE8ELNS1_11target_archE1030ELNS1_3gpuE2ELNS1_3repE0EEENS1_30default_config_static_selectorELNS0_4arch9wavefront6targetE0EEEvSK_.has_recursion, or(0, .L_ZN7rocprim17ROCPRIM_400000_NS6detail40segmented_radix_sort_single_block_helperIblLj256ELj17ELb0EE4sortIPKbPbPKlPlEEbT_T0_T1_T2_jjjjRNS3_12storage_typeE.has_recursion)
	.set _ZN7rocprim17ROCPRIM_400000_NS6detail17trampoline_kernelINS0_14default_configENS1_36segmented_radix_sort_config_selectorIblEEZNS1_25segmented_radix_sort_implIS3_Lb0EPKbPbPKlPlN2at6native12_GLOBAL__N_18offset_tEEE10hipError_tPvRmT1_PNSt15iterator_traitsISK_E10value_typeET2_T3_PNSL_ISQ_E10value_typeET4_jRbjT5_SW_jjP12ihipStream_tbEUlT_E_NS1_11comp_targetILNS1_3genE8ELNS1_11target_archE1030ELNS1_3gpuE2ELNS1_3repE0EEENS1_30default_config_static_selectorELNS0_4arch9wavefront6targetE0EEEvSK_.has_indirect_call, or(0, .L_ZN7rocprim17ROCPRIM_400000_NS6detail40segmented_radix_sort_single_block_helperIblLj256ELj17ELb0EE4sortIPKbPbPKlPlEEbT_T0_T1_T2_jjjjRNS3_12storage_typeE.has_indirect_call)
	.section	.AMDGPU.csdata,"",@progbits
; Kernel info:
; codeLenInByte = 51296
; TotalNumSgprs: 70
; NumVgprs: 248
; ScratchSize: 196
; MemoryBound: 0
; FloatMode: 240
; IeeeMode: 1
; LDSByteSize: 35344 bytes/workgroup (compile time only)
; SGPRBlocks: 0
; VGPRBlocks: 30
; NumSGPRsForWavesPerEU: 70
; NumVGPRsForWavesPerEU: 248
; Occupancy: 4
; WaveLimiterHint : 1
; COMPUTE_PGM_RSRC2:SCRATCH_EN: 1
; COMPUTE_PGM_RSRC2:USER_SGPR: 6
; COMPUTE_PGM_RSRC2:TRAP_HANDLER: 0
; COMPUTE_PGM_RSRC2:TGID_X_EN: 1
; COMPUTE_PGM_RSRC2:TGID_Y_EN: 1
; COMPUTE_PGM_RSRC2:TGID_Z_EN: 0
; COMPUTE_PGM_RSRC2:TIDIG_COMP_CNT: 2
	.section	.text._ZN7rocprim17ROCPRIM_400000_NS6detail17trampoline_kernelINS0_14default_configENS1_36segmented_radix_sort_config_selectorIblEEZNS1_25segmented_radix_sort_implIS3_Lb0EPKbPbPKlPlN2at6native12_GLOBAL__N_18offset_tEEE10hipError_tPvRmT1_PNSt15iterator_traitsISK_E10value_typeET2_T3_PNSL_ISQ_E10value_typeET4_jRbjT5_SW_jjP12ihipStream_tbEUlT_E0_NS1_11comp_targetILNS1_3genE0ELNS1_11target_archE4294967295ELNS1_3gpuE0ELNS1_3repE0EEENS1_60segmented_radix_sort_warp_sort_medium_config_static_selectorELNS0_4arch9wavefront6targetE0EEEvSK_,"axG",@progbits,_ZN7rocprim17ROCPRIM_400000_NS6detail17trampoline_kernelINS0_14default_configENS1_36segmented_radix_sort_config_selectorIblEEZNS1_25segmented_radix_sort_implIS3_Lb0EPKbPbPKlPlN2at6native12_GLOBAL__N_18offset_tEEE10hipError_tPvRmT1_PNSt15iterator_traitsISK_E10value_typeET2_T3_PNSL_ISQ_E10value_typeET4_jRbjT5_SW_jjP12ihipStream_tbEUlT_E0_NS1_11comp_targetILNS1_3genE0ELNS1_11target_archE4294967295ELNS1_3gpuE0ELNS1_3repE0EEENS1_60segmented_radix_sort_warp_sort_medium_config_static_selectorELNS0_4arch9wavefront6targetE0EEEvSK_,comdat
	.globl	_ZN7rocprim17ROCPRIM_400000_NS6detail17trampoline_kernelINS0_14default_configENS1_36segmented_radix_sort_config_selectorIblEEZNS1_25segmented_radix_sort_implIS3_Lb0EPKbPbPKlPlN2at6native12_GLOBAL__N_18offset_tEEE10hipError_tPvRmT1_PNSt15iterator_traitsISK_E10value_typeET2_T3_PNSL_ISQ_E10value_typeET4_jRbjT5_SW_jjP12ihipStream_tbEUlT_E0_NS1_11comp_targetILNS1_3genE0ELNS1_11target_archE4294967295ELNS1_3gpuE0ELNS1_3repE0EEENS1_60segmented_radix_sort_warp_sort_medium_config_static_selectorELNS0_4arch9wavefront6targetE0EEEvSK_ ; -- Begin function _ZN7rocprim17ROCPRIM_400000_NS6detail17trampoline_kernelINS0_14default_configENS1_36segmented_radix_sort_config_selectorIblEEZNS1_25segmented_radix_sort_implIS3_Lb0EPKbPbPKlPlN2at6native12_GLOBAL__N_18offset_tEEE10hipError_tPvRmT1_PNSt15iterator_traitsISK_E10value_typeET2_T3_PNSL_ISQ_E10value_typeET4_jRbjT5_SW_jjP12ihipStream_tbEUlT_E0_NS1_11comp_targetILNS1_3genE0ELNS1_11target_archE4294967295ELNS1_3gpuE0ELNS1_3repE0EEENS1_60segmented_radix_sort_warp_sort_medium_config_static_selectorELNS0_4arch9wavefront6targetE0EEEvSK_
	.p2align	8
	.type	_ZN7rocprim17ROCPRIM_400000_NS6detail17trampoline_kernelINS0_14default_configENS1_36segmented_radix_sort_config_selectorIblEEZNS1_25segmented_radix_sort_implIS3_Lb0EPKbPbPKlPlN2at6native12_GLOBAL__N_18offset_tEEE10hipError_tPvRmT1_PNSt15iterator_traitsISK_E10value_typeET2_T3_PNSL_ISQ_E10value_typeET4_jRbjT5_SW_jjP12ihipStream_tbEUlT_E0_NS1_11comp_targetILNS1_3genE0ELNS1_11target_archE4294967295ELNS1_3gpuE0ELNS1_3repE0EEENS1_60segmented_radix_sort_warp_sort_medium_config_static_selectorELNS0_4arch9wavefront6targetE0EEEvSK_,@function
_ZN7rocprim17ROCPRIM_400000_NS6detail17trampoline_kernelINS0_14default_configENS1_36segmented_radix_sort_config_selectorIblEEZNS1_25segmented_radix_sort_implIS3_Lb0EPKbPbPKlPlN2at6native12_GLOBAL__N_18offset_tEEE10hipError_tPvRmT1_PNSt15iterator_traitsISK_E10value_typeET2_T3_PNSL_ISQ_E10value_typeET4_jRbjT5_SW_jjP12ihipStream_tbEUlT_E0_NS1_11comp_targetILNS1_3genE0ELNS1_11target_archE4294967295ELNS1_3gpuE0ELNS1_3repE0EEENS1_60segmented_radix_sort_warp_sort_medium_config_static_selectorELNS0_4arch9wavefront6targetE0EEEvSK_: ; @_ZN7rocprim17ROCPRIM_400000_NS6detail17trampoline_kernelINS0_14default_configENS1_36segmented_radix_sort_config_selectorIblEEZNS1_25segmented_radix_sort_implIS3_Lb0EPKbPbPKlPlN2at6native12_GLOBAL__N_18offset_tEEE10hipError_tPvRmT1_PNSt15iterator_traitsISK_E10value_typeET2_T3_PNSL_ISQ_E10value_typeET4_jRbjT5_SW_jjP12ihipStream_tbEUlT_E0_NS1_11comp_targetILNS1_3genE0ELNS1_11target_archE4294967295ELNS1_3gpuE0ELNS1_3repE0EEENS1_60segmented_radix_sort_warp_sort_medium_config_static_selectorELNS0_4arch9wavefront6targetE0EEEvSK_
; %bb.0:
	.section	.rodata,"a",@progbits
	.p2align	6, 0x0
	.amdhsa_kernel _ZN7rocprim17ROCPRIM_400000_NS6detail17trampoline_kernelINS0_14default_configENS1_36segmented_radix_sort_config_selectorIblEEZNS1_25segmented_radix_sort_implIS3_Lb0EPKbPbPKlPlN2at6native12_GLOBAL__N_18offset_tEEE10hipError_tPvRmT1_PNSt15iterator_traitsISK_E10value_typeET2_T3_PNSL_ISQ_E10value_typeET4_jRbjT5_SW_jjP12ihipStream_tbEUlT_E0_NS1_11comp_targetILNS1_3genE0ELNS1_11target_archE4294967295ELNS1_3gpuE0ELNS1_3repE0EEENS1_60segmented_radix_sort_warp_sort_medium_config_static_selectorELNS0_4arch9wavefront6targetE0EEEvSK_
		.amdhsa_group_segment_fixed_size 0
		.amdhsa_private_segment_fixed_size 0
		.amdhsa_kernarg_size 88
		.amdhsa_user_sgpr_count 6
		.amdhsa_user_sgpr_private_segment_buffer 1
		.amdhsa_user_sgpr_dispatch_ptr 0
		.amdhsa_user_sgpr_queue_ptr 0
		.amdhsa_user_sgpr_kernarg_segment_ptr 1
		.amdhsa_user_sgpr_dispatch_id 0
		.amdhsa_user_sgpr_flat_scratch_init 0
		.amdhsa_user_sgpr_private_segment_size 0
		.amdhsa_wavefront_size32 1
		.amdhsa_uses_dynamic_stack 0
		.amdhsa_system_sgpr_private_segment_wavefront_offset 0
		.amdhsa_system_sgpr_workgroup_id_x 1
		.amdhsa_system_sgpr_workgroup_id_y 0
		.amdhsa_system_sgpr_workgroup_id_z 0
		.amdhsa_system_sgpr_workgroup_info 0
		.amdhsa_system_vgpr_workitem_id 0
		.amdhsa_next_free_vgpr 1
		.amdhsa_next_free_sgpr 1
		.amdhsa_reserve_vcc 0
		.amdhsa_reserve_flat_scratch 0
		.amdhsa_float_round_mode_32 0
		.amdhsa_float_round_mode_16_64 0
		.amdhsa_float_denorm_mode_32 3
		.amdhsa_float_denorm_mode_16_64 3
		.amdhsa_dx10_clamp 1
		.amdhsa_ieee_mode 1
		.amdhsa_fp16_overflow 0
		.amdhsa_workgroup_processor_mode 1
		.amdhsa_memory_ordered 1
		.amdhsa_forward_progress 1
		.amdhsa_shared_vgpr_count 0
		.amdhsa_exception_fp_ieee_invalid_op 0
		.amdhsa_exception_fp_denorm_src 0
		.amdhsa_exception_fp_ieee_div_zero 0
		.amdhsa_exception_fp_ieee_overflow 0
		.amdhsa_exception_fp_ieee_underflow 0
		.amdhsa_exception_fp_ieee_inexact 0
		.amdhsa_exception_int_div_zero 0
	.end_amdhsa_kernel
	.section	.text._ZN7rocprim17ROCPRIM_400000_NS6detail17trampoline_kernelINS0_14default_configENS1_36segmented_radix_sort_config_selectorIblEEZNS1_25segmented_radix_sort_implIS3_Lb0EPKbPbPKlPlN2at6native12_GLOBAL__N_18offset_tEEE10hipError_tPvRmT1_PNSt15iterator_traitsISK_E10value_typeET2_T3_PNSL_ISQ_E10value_typeET4_jRbjT5_SW_jjP12ihipStream_tbEUlT_E0_NS1_11comp_targetILNS1_3genE0ELNS1_11target_archE4294967295ELNS1_3gpuE0ELNS1_3repE0EEENS1_60segmented_radix_sort_warp_sort_medium_config_static_selectorELNS0_4arch9wavefront6targetE0EEEvSK_,"axG",@progbits,_ZN7rocprim17ROCPRIM_400000_NS6detail17trampoline_kernelINS0_14default_configENS1_36segmented_radix_sort_config_selectorIblEEZNS1_25segmented_radix_sort_implIS3_Lb0EPKbPbPKlPlN2at6native12_GLOBAL__N_18offset_tEEE10hipError_tPvRmT1_PNSt15iterator_traitsISK_E10value_typeET2_T3_PNSL_ISQ_E10value_typeET4_jRbjT5_SW_jjP12ihipStream_tbEUlT_E0_NS1_11comp_targetILNS1_3genE0ELNS1_11target_archE4294967295ELNS1_3gpuE0ELNS1_3repE0EEENS1_60segmented_radix_sort_warp_sort_medium_config_static_selectorELNS0_4arch9wavefront6targetE0EEEvSK_,comdat
.Lfunc_end1636:
	.size	_ZN7rocprim17ROCPRIM_400000_NS6detail17trampoline_kernelINS0_14default_configENS1_36segmented_radix_sort_config_selectorIblEEZNS1_25segmented_radix_sort_implIS3_Lb0EPKbPbPKlPlN2at6native12_GLOBAL__N_18offset_tEEE10hipError_tPvRmT1_PNSt15iterator_traitsISK_E10value_typeET2_T3_PNSL_ISQ_E10value_typeET4_jRbjT5_SW_jjP12ihipStream_tbEUlT_E0_NS1_11comp_targetILNS1_3genE0ELNS1_11target_archE4294967295ELNS1_3gpuE0ELNS1_3repE0EEENS1_60segmented_radix_sort_warp_sort_medium_config_static_selectorELNS0_4arch9wavefront6targetE0EEEvSK_, .Lfunc_end1636-_ZN7rocprim17ROCPRIM_400000_NS6detail17trampoline_kernelINS0_14default_configENS1_36segmented_radix_sort_config_selectorIblEEZNS1_25segmented_radix_sort_implIS3_Lb0EPKbPbPKlPlN2at6native12_GLOBAL__N_18offset_tEEE10hipError_tPvRmT1_PNSt15iterator_traitsISK_E10value_typeET2_T3_PNSL_ISQ_E10value_typeET4_jRbjT5_SW_jjP12ihipStream_tbEUlT_E0_NS1_11comp_targetILNS1_3genE0ELNS1_11target_archE4294967295ELNS1_3gpuE0ELNS1_3repE0EEENS1_60segmented_radix_sort_warp_sort_medium_config_static_selectorELNS0_4arch9wavefront6targetE0EEEvSK_
                                        ; -- End function
	.set _ZN7rocprim17ROCPRIM_400000_NS6detail17trampoline_kernelINS0_14default_configENS1_36segmented_radix_sort_config_selectorIblEEZNS1_25segmented_radix_sort_implIS3_Lb0EPKbPbPKlPlN2at6native12_GLOBAL__N_18offset_tEEE10hipError_tPvRmT1_PNSt15iterator_traitsISK_E10value_typeET2_T3_PNSL_ISQ_E10value_typeET4_jRbjT5_SW_jjP12ihipStream_tbEUlT_E0_NS1_11comp_targetILNS1_3genE0ELNS1_11target_archE4294967295ELNS1_3gpuE0ELNS1_3repE0EEENS1_60segmented_radix_sort_warp_sort_medium_config_static_selectorELNS0_4arch9wavefront6targetE0EEEvSK_.num_vgpr, 0
	.set _ZN7rocprim17ROCPRIM_400000_NS6detail17trampoline_kernelINS0_14default_configENS1_36segmented_radix_sort_config_selectorIblEEZNS1_25segmented_radix_sort_implIS3_Lb0EPKbPbPKlPlN2at6native12_GLOBAL__N_18offset_tEEE10hipError_tPvRmT1_PNSt15iterator_traitsISK_E10value_typeET2_T3_PNSL_ISQ_E10value_typeET4_jRbjT5_SW_jjP12ihipStream_tbEUlT_E0_NS1_11comp_targetILNS1_3genE0ELNS1_11target_archE4294967295ELNS1_3gpuE0ELNS1_3repE0EEENS1_60segmented_radix_sort_warp_sort_medium_config_static_selectorELNS0_4arch9wavefront6targetE0EEEvSK_.num_agpr, 0
	.set _ZN7rocprim17ROCPRIM_400000_NS6detail17trampoline_kernelINS0_14default_configENS1_36segmented_radix_sort_config_selectorIblEEZNS1_25segmented_radix_sort_implIS3_Lb0EPKbPbPKlPlN2at6native12_GLOBAL__N_18offset_tEEE10hipError_tPvRmT1_PNSt15iterator_traitsISK_E10value_typeET2_T3_PNSL_ISQ_E10value_typeET4_jRbjT5_SW_jjP12ihipStream_tbEUlT_E0_NS1_11comp_targetILNS1_3genE0ELNS1_11target_archE4294967295ELNS1_3gpuE0ELNS1_3repE0EEENS1_60segmented_radix_sort_warp_sort_medium_config_static_selectorELNS0_4arch9wavefront6targetE0EEEvSK_.numbered_sgpr, 0
	.set _ZN7rocprim17ROCPRIM_400000_NS6detail17trampoline_kernelINS0_14default_configENS1_36segmented_radix_sort_config_selectorIblEEZNS1_25segmented_radix_sort_implIS3_Lb0EPKbPbPKlPlN2at6native12_GLOBAL__N_18offset_tEEE10hipError_tPvRmT1_PNSt15iterator_traitsISK_E10value_typeET2_T3_PNSL_ISQ_E10value_typeET4_jRbjT5_SW_jjP12ihipStream_tbEUlT_E0_NS1_11comp_targetILNS1_3genE0ELNS1_11target_archE4294967295ELNS1_3gpuE0ELNS1_3repE0EEENS1_60segmented_radix_sort_warp_sort_medium_config_static_selectorELNS0_4arch9wavefront6targetE0EEEvSK_.num_named_barrier, 0
	.set _ZN7rocprim17ROCPRIM_400000_NS6detail17trampoline_kernelINS0_14default_configENS1_36segmented_radix_sort_config_selectorIblEEZNS1_25segmented_radix_sort_implIS3_Lb0EPKbPbPKlPlN2at6native12_GLOBAL__N_18offset_tEEE10hipError_tPvRmT1_PNSt15iterator_traitsISK_E10value_typeET2_T3_PNSL_ISQ_E10value_typeET4_jRbjT5_SW_jjP12ihipStream_tbEUlT_E0_NS1_11comp_targetILNS1_3genE0ELNS1_11target_archE4294967295ELNS1_3gpuE0ELNS1_3repE0EEENS1_60segmented_radix_sort_warp_sort_medium_config_static_selectorELNS0_4arch9wavefront6targetE0EEEvSK_.private_seg_size, 0
	.set _ZN7rocprim17ROCPRIM_400000_NS6detail17trampoline_kernelINS0_14default_configENS1_36segmented_radix_sort_config_selectorIblEEZNS1_25segmented_radix_sort_implIS3_Lb0EPKbPbPKlPlN2at6native12_GLOBAL__N_18offset_tEEE10hipError_tPvRmT1_PNSt15iterator_traitsISK_E10value_typeET2_T3_PNSL_ISQ_E10value_typeET4_jRbjT5_SW_jjP12ihipStream_tbEUlT_E0_NS1_11comp_targetILNS1_3genE0ELNS1_11target_archE4294967295ELNS1_3gpuE0ELNS1_3repE0EEENS1_60segmented_radix_sort_warp_sort_medium_config_static_selectorELNS0_4arch9wavefront6targetE0EEEvSK_.uses_vcc, 0
	.set _ZN7rocprim17ROCPRIM_400000_NS6detail17trampoline_kernelINS0_14default_configENS1_36segmented_radix_sort_config_selectorIblEEZNS1_25segmented_radix_sort_implIS3_Lb0EPKbPbPKlPlN2at6native12_GLOBAL__N_18offset_tEEE10hipError_tPvRmT1_PNSt15iterator_traitsISK_E10value_typeET2_T3_PNSL_ISQ_E10value_typeET4_jRbjT5_SW_jjP12ihipStream_tbEUlT_E0_NS1_11comp_targetILNS1_3genE0ELNS1_11target_archE4294967295ELNS1_3gpuE0ELNS1_3repE0EEENS1_60segmented_radix_sort_warp_sort_medium_config_static_selectorELNS0_4arch9wavefront6targetE0EEEvSK_.uses_flat_scratch, 0
	.set _ZN7rocprim17ROCPRIM_400000_NS6detail17trampoline_kernelINS0_14default_configENS1_36segmented_radix_sort_config_selectorIblEEZNS1_25segmented_radix_sort_implIS3_Lb0EPKbPbPKlPlN2at6native12_GLOBAL__N_18offset_tEEE10hipError_tPvRmT1_PNSt15iterator_traitsISK_E10value_typeET2_T3_PNSL_ISQ_E10value_typeET4_jRbjT5_SW_jjP12ihipStream_tbEUlT_E0_NS1_11comp_targetILNS1_3genE0ELNS1_11target_archE4294967295ELNS1_3gpuE0ELNS1_3repE0EEENS1_60segmented_radix_sort_warp_sort_medium_config_static_selectorELNS0_4arch9wavefront6targetE0EEEvSK_.has_dyn_sized_stack, 0
	.set _ZN7rocprim17ROCPRIM_400000_NS6detail17trampoline_kernelINS0_14default_configENS1_36segmented_radix_sort_config_selectorIblEEZNS1_25segmented_radix_sort_implIS3_Lb0EPKbPbPKlPlN2at6native12_GLOBAL__N_18offset_tEEE10hipError_tPvRmT1_PNSt15iterator_traitsISK_E10value_typeET2_T3_PNSL_ISQ_E10value_typeET4_jRbjT5_SW_jjP12ihipStream_tbEUlT_E0_NS1_11comp_targetILNS1_3genE0ELNS1_11target_archE4294967295ELNS1_3gpuE0ELNS1_3repE0EEENS1_60segmented_radix_sort_warp_sort_medium_config_static_selectorELNS0_4arch9wavefront6targetE0EEEvSK_.has_recursion, 0
	.set _ZN7rocprim17ROCPRIM_400000_NS6detail17trampoline_kernelINS0_14default_configENS1_36segmented_radix_sort_config_selectorIblEEZNS1_25segmented_radix_sort_implIS3_Lb0EPKbPbPKlPlN2at6native12_GLOBAL__N_18offset_tEEE10hipError_tPvRmT1_PNSt15iterator_traitsISK_E10value_typeET2_T3_PNSL_ISQ_E10value_typeET4_jRbjT5_SW_jjP12ihipStream_tbEUlT_E0_NS1_11comp_targetILNS1_3genE0ELNS1_11target_archE4294967295ELNS1_3gpuE0ELNS1_3repE0EEENS1_60segmented_radix_sort_warp_sort_medium_config_static_selectorELNS0_4arch9wavefront6targetE0EEEvSK_.has_indirect_call, 0
	.section	.AMDGPU.csdata,"",@progbits
; Kernel info:
; codeLenInByte = 0
; TotalNumSgprs: 0
; NumVgprs: 0
; ScratchSize: 0
; MemoryBound: 0
; FloatMode: 240
; IeeeMode: 1
; LDSByteSize: 0 bytes/workgroup (compile time only)
; SGPRBlocks: 0
; VGPRBlocks: 0
; NumSGPRsForWavesPerEU: 1
; NumVGPRsForWavesPerEU: 1
; Occupancy: 16
; WaveLimiterHint : 0
; COMPUTE_PGM_RSRC2:SCRATCH_EN: 0
; COMPUTE_PGM_RSRC2:USER_SGPR: 6
; COMPUTE_PGM_RSRC2:TRAP_HANDLER: 0
; COMPUTE_PGM_RSRC2:TGID_X_EN: 1
; COMPUTE_PGM_RSRC2:TGID_Y_EN: 0
; COMPUTE_PGM_RSRC2:TGID_Z_EN: 0
; COMPUTE_PGM_RSRC2:TIDIG_COMP_CNT: 0
	.section	.text._ZN7rocprim17ROCPRIM_400000_NS6detail17trampoline_kernelINS0_14default_configENS1_36segmented_radix_sort_config_selectorIblEEZNS1_25segmented_radix_sort_implIS3_Lb0EPKbPbPKlPlN2at6native12_GLOBAL__N_18offset_tEEE10hipError_tPvRmT1_PNSt15iterator_traitsISK_E10value_typeET2_T3_PNSL_ISQ_E10value_typeET4_jRbjT5_SW_jjP12ihipStream_tbEUlT_E0_NS1_11comp_targetILNS1_3genE5ELNS1_11target_archE942ELNS1_3gpuE9ELNS1_3repE0EEENS1_60segmented_radix_sort_warp_sort_medium_config_static_selectorELNS0_4arch9wavefront6targetE0EEEvSK_,"axG",@progbits,_ZN7rocprim17ROCPRIM_400000_NS6detail17trampoline_kernelINS0_14default_configENS1_36segmented_radix_sort_config_selectorIblEEZNS1_25segmented_radix_sort_implIS3_Lb0EPKbPbPKlPlN2at6native12_GLOBAL__N_18offset_tEEE10hipError_tPvRmT1_PNSt15iterator_traitsISK_E10value_typeET2_T3_PNSL_ISQ_E10value_typeET4_jRbjT5_SW_jjP12ihipStream_tbEUlT_E0_NS1_11comp_targetILNS1_3genE5ELNS1_11target_archE942ELNS1_3gpuE9ELNS1_3repE0EEENS1_60segmented_radix_sort_warp_sort_medium_config_static_selectorELNS0_4arch9wavefront6targetE0EEEvSK_,comdat
	.globl	_ZN7rocprim17ROCPRIM_400000_NS6detail17trampoline_kernelINS0_14default_configENS1_36segmented_radix_sort_config_selectorIblEEZNS1_25segmented_radix_sort_implIS3_Lb0EPKbPbPKlPlN2at6native12_GLOBAL__N_18offset_tEEE10hipError_tPvRmT1_PNSt15iterator_traitsISK_E10value_typeET2_T3_PNSL_ISQ_E10value_typeET4_jRbjT5_SW_jjP12ihipStream_tbEUlT_E0_NS1_11comp_targetILNS1_3genE5ELNS1_11target_archE942ELNS1_3gpuE9ELNS1_3repE0EEENS1_60segmented_radix_sort_warp_sort_medium_config_static_selectorELNS0_4arch9wavefront6targetE0EEEvSK_ ; -- Begin function _ZN7rocprim17ROCPRIM_400000_NS6detail17trampoline_kernelINS0_14default_configENS1_36segmented_radix_sort_config_selectorIblEEZNS1_25segmented_radix_sort_implIS3_Lb0EPKbPbPKlPlN2at6native12_GLOBAL__N_18offset_tEEE10hipError_tPvRmT1_PNSt15iterator_traitsISK_E10value_typeET2_T3_PNSL_ISQ_E10value_typeET4_jRbjT5_SW_jjP12ihipStream_tbEUlT_E0_NS1_11comp_targetILNS1_3genE5ELNS1_11target_archE942ELNS1_3gpuE9ELNS1_3repE0EEENS1_60segmented_radix_sort_warp_sort_medium_config_static_selectorELNS0_4arch9wavefront6targetE0EEEvSK_
	.p2align	8
	.type	_ZN7rocprim17ROCPRIM_400000_NS6detail17trampoline_kernelINS0_14default_configENS1_36segmented_radix_sort_config_selectorIblEEZNS1_25segmented_radix_sort_implIS3_Lb0EPKbPbPKlPlN2at6native12_GLOBAL__N_18offset_tEEE10hipError_tPvRmT1_PNSt15iterator_traitsISK_E10value_typeET2_T3_PNSL_ISQ_E10value_typeET4_jRbjT5_SW_jjP12ihipStream_tbEUlT_E0_NS1_11comp_targetILNS1_3genE5ELNS1_11target_archE942ELNS1_3gpuE9ELNS1_3repE0EEENS1_60segmented_radix_sort_warp_sort_medium_config_static_selectorELNS0_4arch9wavefront6targetE0EEEvSK_,@function
_ZN7rocprim17ROCPRIM_400000_NS6detail17trampoline_kernelINS0_14default_configENS1_36segmented_radix_sort_config_selectorIblEEZNS1_25segmented_radix_sort_implIS3_Lb0EPKbPbPKlPlN2at6native12_GLOBAL__N_18offset_tEEE10hipError_tPvRmT1_PNSt15iterator_traitsISK_E10value_typeET2_T3_PNSL_ISQ_E10value_typeET4_jRbjT5_SW_jjP12ihipStream_tbEUlT_E0_NS1_11comp_targetILNS1_3genE5ELNS1_11target_archE942ELNS1_3gpuE9ELNS1_3repE0EEENS1_60segmented_radix_sort_warp_sort_medium_config_static_selectorELNS0_4arch9wavefront6targetE0EEEvSK_: ; @_ZN7rocprim17ROCPRIM_400000_NS6detail17trampoline_kernelINS0_14default_configENS1_36segmented_radix_sort_config_selectorIblEEZNS1_25segmented_radix_sort_implIS3_Lb0EPKbPbPKlPlN2at6native12_GLOBAL__N_18offset_tEEE10hipError_tPvRmT1_PNSt15iterator_traitsISK_E10value_typeET2_T3_PNSL_ISQ_E10value_typeET4_jRbjT5_SW_jjP12ihipStream_tbEUlT_E0_NS1_11comp_targetILNS1_3genE5ELNS1_11target_archE942ELNS1_3gpuE9ELNS1_3repE0EEENS1_60segmented_radix_sort_warp_sort_medium_config_static_selectorELNS0_4arch9wavefront6targetE0EEEvSK_
; %bb.0:
	.section	.rodata,"a",@progbits
	.p2align	6, 0x0
	.amdhsa_kernel _ZN7rocprim17ROCPRIM_400000_NS6detail17trampoline_kernelINS0_14default_configENS1_36segmented_radix_sort_config_selectorIblEEZNS1_25segmented_radix_sort_implIS3_Lb0EPKbPbPKlPlN2at6native12_GLOBAL__N_18offset_tEEE10hipError_tPvRmT1_PNSt15iterator_traitsISK_E10value_typeET2_T3_PNSL_ISQ_E10value_typeET4_jRbjT5_SW_jjP12ihipStream_tbEUlT_E0_NS1_11comp_targetILNS1_3genE5ELNS1_11target_archE942ELNS1_3gpuE9ELNS1_3repE0EEENS1_60segmented_radix_sort_warp_sort_medium_config_static_selectorELNS0_4arch9wavefront6targetE0EEEvSK_
		.amdhsa_group_segment_fixed_size 0
		.amdhsa_private_segment_fixed_size 0
		.amdhsa_kernarg_size 88
		.amdhsa_user_sgpr_count 6
		.amdhsa_user_sgpr_private_segment_buffer 1
		.amdhsa_user_sgpr_dispatch_ptr 0
		.amdhsa_user_sgpr_queue_ptr 0
		.amdhsa_user_sgpr_kernarg_segment_ptr 1
		.amdhsa_user_sgpr_dispatch_id 0
		.amdhsa_user_sgpr_flat_scratch_init 0
		.amdhsa_user_sgpr_private_segment_size 0
		.amdhsa_wavefront_size32 1
		.amdhsa_uses_dynamic_stack 0
		.amdhsa_system_sgpr_private_segment_wavefront_offset 0
		.amdhsa_system_sgpr_workgroup_id_x 1
		.amdhsa_system_sgpr_workgroup_id_y 0
		.amdhsa_system_sgpr_workgroup_id_z 0
		.amdhsa_system_sgpr_workgroup_info 0
		.amdhsa_system_vgpr_workitem_id 0
		.amdhsa_next_free_vgpr 1
		.amdhsa_next_free_sgpr 1
		.amdhsa_reserve_vcc 0
		.amdhsa_reserve_flat_scratch 0
		.amdhsa_float_round_mode_32 0
		.amdhsa_float_round_mode_16_64 0
		.amdhsa_float_denorm_mode_32 3
		.amdhsa_float_denorm_mode_16_64 3
		.amdhsa_dx10_clamp 1
		.amdhsa_ieee_mode 1
		.amdhsa_fp16_overflow 0
		.amdhsa_workgroup_processor_mode 1
		.amdhsa_memory_ordered 1
		.amdhsa_forward_progress 1
		.amdhsa_shared_vgpr_count 0
		.amdhsa_exception_fp_ieee_invalid_op 0
		.amdhsa_exception_fp_denorm_src 0
		.amdhsa_exception_fp_ieee_div_zero 0
		.amdhsa_exception_fp_ieee_overflow 0
		.amdhsa_exception_fp_ieee_underflow 0
		.amdhsa_exception_fp_ieee_inexact 0
		.amdhsa_exception_int_div_zero 0
	.end_amdhsa_kernel
	.section	.text._ZN7rocprim17ROCPRIM_400000_NS6detail17trampoline_kernelINS0_14default_configENS1_36segmented_radix_sort_config_selectorIblEEZNS1_25segmented_radix_sort_implIS3_Lb0EPKbPbPKlPlN2at6native12_GLOBAL__N_18offset_tEEE10hipError_tPvRmT1_PNSt15iterator_traitsISK_E10value_typeET2_T3_PNSL_ISQ_E10value_typeET4_jRbjT5_SW_jjP12ihipStream_tbEUlT_E0_NS1_11comp_targetILNS1_3genE5ELNS1_11target_archE942ELNS1_3gpuE9ELNS1_3repE0EEENS1_60segmented_radix_sort_warp_sort_medium_config_static_selectorELNS0_4arch9wavefront6targetE0EEEvSK_,"axG",@progbits,_ZN7rocprim17ROCPRIM_400000_NS6detail17trampoline_kernelINS0_14default_configENS1_36segmented_radix_sort_config_selectorIblEEZNS1_25segmented_radix_sort_implIS3_Lb0EPKbPbPKlPlN2at6native12_GLOBAL__N_18offset_tEEE10hipError_tPvRmT1_PNSt15iterator_traitsISK_E10value_typeET2_T3_PNSL_ISQ_E10value_typeET4_jRbjT5_SW_jjP12ihipStream_tbEUlT_E0_NS1_11comp_targetILNS1_3genE5ELNS1_11target_archE942ELNS1_3gpuE9ELNS1_3repE0EEENS1_60segmented_radix_sort_warp_sort_medium_config_static_selectorELNS0_4arch9wavefront6targetE0EEEvSK_,comdat
.Lfunc_end1637:
	.size	_ZN7rocprim17ROCPRIM_400000_NS6detail17trampoline_kernelINS0_14default_configENS1_36segmented_radix_sort_config_selectorIblEEZNS1_25segmented_radix_sort_implIS3_Lb0EPKbPbPKlPlN2at6native12_GLOBAL__N_18offset_tEEE10hipError_tPvRmT1_PNSt15iterator_traitsISK_E10value_typeET2_T3_PNSL_ISQ_E10value_typeET4_jRbjT5_SW_jjP12ihipStream_tbEUlT_E0_NS1_11comp_targetILNS1_3genE5ELNS1_11target_archE942ELNS1_3gpuE9ELNS1_3repE0EEENS1_60segmented_radix_sort_warp_sort_medium_config_static_selectorELNS0_4arch9wavefront6targetE0EEEvSK_, .Lfunc_end1637-_ZN7rocprim17ROCPRIM_400000_NS6detail17trampoline_kernelINS0_14default_configENS1_36segmented_radix_sort_config_selectorIblEEZNS1_25segmented_radix_sort_implIS3_Lb0EPKbPbPKlPlN2at6native12_GLOBAL__N_18offset_tEEE10hipError_tPvRmT1_PNSt15iterator_traitsISK_E10value_typeET2_T3_PNSL_ISQ_E10value_typeET4_jRbjT5_SW_jjP12ihipStream_tbEUlT_E0_NS1_11comp_targetILNS1_3genE5ELNS1_11target_archE942ELNS1_3gpuE9ELNS1_3repE0EEENS1_60segmented_radix_sort_warp_sort_medium_config_static_selectorELNS0_4arch9wavefront6targetE0EEEvSK_
                                        ; -- End function
	.set _ZN7rocprim17ROCPRIM_400000_NS6detail17trampoline_kernelINS0_14default_configENS1_36segmented_radix_sort_config_selectorIblEEZNS1_25segmented_radix_sort_implIS3_Lb0EPKbPbPKlPlN2at6native12_GLOBAL__N_18offset_tEEE10hipError_tPvRmT1_PNSt15iterator_traitsISK_E10value_typeET2_T3_PNSL_ISQ_E10value_typeET4_jRbjT5_SW_jjP12ihipStream_tbEUlT_E0_NS1_11comp_targetILNS1_3genE5ELNS1_11target_archE942ELNS1_3gpuE9ELNS1_3repE0EEENS1_60segmented_radix_sort_warp_sort_medium_config_static_selectorELNS0_4arch9wavefront6targetE0EEEvSK_.num_vgpr, 0
	.set _ZN7rocprim17ROCPRIM_400000_NS6detail17trampoline_kernelINS0_14default_configENS1_36segmented_radix_sort_config_selectorIblEEZNS1_25segmented_radix_sort_implIS3_Lb0EPKbPbPKlPlN2at6native12_GLOBAL__N_18offset_tEEE10hipError_tPvRmT1_PNSt15iterator_traitsISK_E10value_typeET2_T3_PNSL_ISQ_E10value_typeET4_jRbjT5_SW_jjP12ihipStream_tbEUlT_E0_NS1_11comp_targetILNS1_3genE5ELNS1_11target_archE942ELNS1_3gpuE9ELNS1_3repE0EEENS1_60segmented_radix_sort_warp_sort_medium_config_static_selectorELNS0_4arch9wavefront6targetE0EEEvSK_.num_agpr, 0
	.set _ZN7rocprim17ROCPRIM_400000_NS6detail17trampoline_kernelINS0_14default_configENS1_36segmented_radix_sort_config_selectorIblEEZNS1_25segmented_radix_sort_implIS3_Lb0EPKbPbPKlPlN2at6native12_GLOBAL__N_18offset_tEEE10hipError_tPvRmT1_PNSt15iterator_traitsISK_E10value_typeET2_T3_PNSL_ISQ_E10value_typeET4_jRbjT5_SW_jjP12ihipStream_tbEUlT_E0_NS1_11comp_targetILNS1_3genE5ELNS1_11target_archE942ELNS1_3gpuE9ELNS1_3repE0EEENS1_60segmented_radix_sort_warp_sort_medium_config_static_selectorELNS0_4arch9wavefront6targetE0EEEvSK_.numbered_sgpr, 0
	.set _ZN7rocprim17ROCPRIM_400000_NS6detail17trampoline_kernelINS0_14default_configENS1_36segmented_radix_sort_config_selectorIblEEZNS1_25segmented_radix_sort_implIS3_Lb0EPKbPbPKlPlN2at6native12_GLOBAL__N_18offset_tEEE10hipError_tPvRmT1_PNSt15iterator_traitsISK_E10value_typeET2_T3_PNSL_ISQ_E10value_typeET4_jRbjT5_SW_jjP12ihipStream_tbEUlT_E0_NS1_11comp_targetILNS1_3genE5ELNS1_11target_archE942ELNS1_3gpuE9ELNS1_3repE0EEENS1_60segmented_radix_sort_warp_sort_medium_config_static_selectorELNS0_4arch9wavefront6targetE0EEEvSK_.num_named_barrier, 0
	.set _ZN7rocprim17ROCPRIM_400000_NS6detail17trampoline_kernelINS0_14default_configENS1_36segmented_radix_sort_config_selectorIblEEZNS1_25segmented_radix_sort_implIS3_Lb0EPKbPbPKlPlN2at6native12_GLOBAL__N_18offset_tEEE10hipError_tPvRmT1_PNSt15iterator_traitsISK_E10value_typeET2_T3_PNSL_ISQ_E10value_typeET4_jRbjT5_SW_jjP12ihipStream_tbEUlT_E0_NS1_11comp_targetILNS1_3genE5ELNS1_11target_archE942ELNS1_3gpuE9ELNS1_3repE0EEENS1_60segmented_radix_sort_warp_sort_medium_config_static_selectorELNS0_4arch9wavefront6targetE0EEEvSK_.private_seg_size, 0
	.set _ZN7rocprim17ROCPRIM_400000_NS6detail17trampoline_kernelINS0_14default_configENS1_36segmented_radix_sort_config_selectorIblEEZNS1_25segmented_radix_sort_implIS3_Lb0EPKbPbPKlPlN2at6native12_GLOBAL__N_18offset_tEEE10hipError_tPvRmT1_PNSt15iterator_traitsISK_E10value_typeET2_T3_PNSL_ISQ_E10value_typeET4_jRbjT5_SW_jjP12ihipStream_tbEUlT_E0_NS1_11comp_targetILNS1_3genE5ELNS1_11target_archE942ELNS1_3gpuE9ELNS1_3repE0EEENS1_60segmented_radix_sort_warp_sort_medium_config_static_selectorELNS0_4arch9wavefront6targetE0EEEvSK_.uses_vcc, 0
	.set _ZN7rocprim17ROCPRIM_400000_NS6detail17trampoline_kernelINS0_14default_configENS1_36segmented_radix_sort_config_selectorIblEEZNS1_25segmented_radix_sort_implIS3_Lb0EPKbPbPKlPlN2at6native12_GLOBAL__N_18offset_tEEE10hipError_tPvRmT1_PNSt15iterator_traitsISK_E10value_typeET2_T3_PNSL_ISQ_E10value_typeET4_jRbjT5_SW_jjP12ihipStream_tbEUlT_E0_NS1_11comp_targetILNS1_3genE5ELNS1_11target_archE942ELNS1_3gpuE9ELNS1_3repE0EEENS1_60segmented_radix_sort_warp_sort_medium_config_static_selectorELNS0_4arch9wavefront6targetE0EEEvSK_.uses_flat_scratch, 0
	.set _ZN7rocprim17ROCPRIM_400000_NS6detail17trampoline_kernelINS0_14default_configENS1_36segmented_radix_sort_config_selectorIblEEZNS1_25segmented_radix_sort_implIS3_Lb0EPKbPbPKlPlN2at6native12_GLOBAL__N_18offset_tEEE10hipError_tPvRmT1_PNSt15iterator_traitsISK_E10value_typeET2_T3_PNSL_ISQ_E10value_typeET4_jRbjT5_SW_jjP12ihipStream_tbEUlT_E0_NS1_11comp_targetILNS1_3genE5ELNS1_11target_archE942ELNS1_3gpuE9ELNS1_3repE0EEENS1_60segmented_radix_sort_warp_sort_medium_config_static_selectorELNS0_4arch9wavefront6targetE0EEEvSK_.has_dyn_sized_stack, 0
	.set _ZN7rocprim17ROCPRIM_400000_NS6detail17trampoline_kernelINS0_14default_configENS1_36segmented_radix_sort_config_selectorIblEEZNS1_25segmented_radix_sort_implIS3_Lb0EPKbPbPKlPlN2at6native12_GLOBAL__N_18offset_tEEE10hipError_tPvRmT1_PNSt15iterator_traitsISK_E10value_typeET2_T3_PNSL_ISQ_E10value_typeET4_jRbjT5_SW_jjP12ihipStream_tbEUlT_E0_NS1_11comp_targetILNS1_3genE5ELNS1_11target_archE942ELNS1_3gpuE9ELNS1_3repE0EEENS1_60segmented_radix_sort_warp_sort_medium_config_static_selectorELNS0_4arch9wavefront6targetE0EEEvSK_.has_recursion, 0
	.set _ZN7rocprim17ROCPRIM_400000_NS6detail17trampoline_kernelINS0_14default_configENS1_36segmented_radix_sort_config_selectorIblEEZNS1_25segmented_radix_sort_implIS3_Lb0EPKbPbPKlPlN2at6native12_GLOBAL__N_18offset_tEEE10hipError_tPvRmT1_PNSt15iterator_traitsISK_E10value_typeET2_T3_PNSL_ISQ_E10value_typeET4_jRbjT5_SW_jjP12ihipStream_tbEUlT_E0_NS1_11comp_targetILNS1_3genE5ELNS1_11target_archE942ELNS1_3gpuE9ELNS1_3repE0EEENS1_60segmented_radix_sort_warp_sort_medium_config_static_selectorELNS0_4arch9wavefront6targetE0EEEvSK_.has_indirect_call, 0
	.section	.AMDGPU.csdata,"",@progbits
; Kernel info:
; codeLenInByte = 0
; TotalNumSgprs: 0
; NumVgprs: 0
; ScratchSize: 0
; MemoryBound: 0
; FloatMode: 240
; IeeeMode: 1
; LDSByteSize: 0 bytes/workgroup (compile time only)
; SGPRBlocks: 0
; VGPRBlocks: 0
; NumSGPRsForWavesPerEU: 1
; NumVGPRsForWavesPerEU: 1
; Occupancy: 16
; WaveLimiterHint : 0
; COMPUTE_PGM_RSRC2:SCRATCH_EN: 0
; COMPUTE_PGM_RSRC2:USER_SGPR: 6
; COMPUTE_PGM_RSRC2:TRAP_HANDLER: 0
; COMPUTE_PGM_RSRC2:TGID_X_EN: 1
; COMPUTE_PGM_RSRC2:TGID_Y_EN: 0
; COMPUTE_PGM_RSRC2:TGID_Z_EN: 0
; COMPUTE_PGM_RSRC2:TIDIG_COMP_CNT: 0
	.section	.text._ZN7rocprim17ROCPRIM_400000_NS6detail17trampoline_kernelINS0_14default_configENS1_36segmented_radix_sort_config_selectorIblEEZNS1_25segmented_radix_sort_implIS3_Lb0EPKbPbPKlPlN2at6native12_GLOBAL__N_18offset_tEEE10hipError_tPvRmT1_PNSt15iterator_traitsISK_E10value_typeET2_T3_PNSL_ISQ_E10value_typeET4_jRbjT5_SW_jjP12ihipStream_tbEUlT_E0_NS1_11comp_targetILNS1_3genE4ELNS1_11target_archE910ELNS1_3gpuE8ELNS1_3repE0EEENS1_60segmented_radix_sort_warp_sort_medium_config_static_selectorELNS0_4arch9wavefront6targetE0EEEvSK_,"axG",@progbits,_ZN7rocprim17ROCPRIM_400000_NS6detail17trampoline_kernelINS0_14default_configENS1_36segmented_radix_sort_config_selectorIblEEZNS1_25segmented_radix_sort_implIS3_Lb0EPKbPbPKlPlN2at6native12_GLOBAL__N_18offset_tEEE10hipError_tPvRmT1_PNSt15iterator_traitsISK_E10value_typeET2_T3_PNSL_ISQ_E10value_typeET4_jRbjT5_SW_jjP12ihipStream_tbEUlT_E0_NS1_11comp_targetILNS1_3genE4ELNS1_11target_archE910ELNS1_3gpuE8ELNS1_3repE0EEENS1_60segmented_radix_sort_warp_sort_medium_config_static_selectorELNS0_4arch9wavefront6targetE0EEEvSK_,comdat
	.globl	_ZN7rocprim17ROCPRIM_400000_NS6detail17trampoline_kernelINS0_14default_configENS1_36segmented_radix_sort_config_selectorIblEEZNS1_25segmented_radix_sort_implIS3_Lb0EPKbPbPKlPlN2at6native12_GLOBAL__N_18offset_tEEE10hipError_tPvRmT1_PNSt15iterator_traitsISK_E10value_typeET2_T3_PNSL_ISQ_E10value_typeET4_jRbjT5_SW_jjP12ihipStream_tbEUlT_E0_NS1_11comp_targetILNS1_3genE4ELNS1_11target_archE910ELNS1_3gpuE8ELNS1_3repE0EEENS1_60segmented_radix_sort_warp_sort_medium_config_static_selectorELNS0_4arch9wavefront6targetE0EEEvSK_ ; -- Begin function _ZN7rocprim17ROCPRIM_400000_NS6detail17trampoline_kernelINS0_14default_configENS1_36segmented_radix_sort_config_selectorIblEEZNS1_25segmented_radix_sort_implIS3_Lb0EPKbPbPKlPlN2at6native12_GLOBAL__N_18offset_tEEE10hipError_tPvRmT1_PNSt15iterator_traitsISK_E10value_typeET2_T3_PNSL_ISQ_E10value_typeET4_jRbjT5_SW_jjP12ihipStream_tbEUlT_E0_NS1_11comp_targetILNS1_3genE4ELNS1_11target_archE910ELNS1_3gpuE8ELNS1_3repE0EEENS1_60segmented_radix_sort_warp_sort_medium_config_static_selectorELNS0_4arch9wavefront6targetE0EEEvSK_
	.p2align	8
	.type	_ZN7rocprim17ROCPRIM_400000_NS6detail17trampoline_kernelINS0_14default_configENS1_36segmented_radix_sort_config_selectorIblEEZNS1_25segmented_radix_sort_implIS3_Lb0EPKbPbPKlPlN2at6native12_GLOBAL__N_18offset_tEEE10hipError_tPvRmT1_PNSt15iterator_traitsISK_E10value_typeET2_T3_PNSL_ISQ_E10value_typeET4_jRbjT5_SW_jjP12ihipStream_tbEUlT_E0_NS1_11comp_targetILNS1_3genE4ELNS1_11target_archE910ELNS1_3gpuE8ELNS1_3repE0EEENS1_60segmented_radix_sort_warp_sort_medium_config_static_selectorELNS0_4arch9wavefront6targetE0EEEvSK_,@function
_ZN7rocprim17ROCPRIM_400000_NS6detail17trampoline_kernelINS0_14default_configENS1_36segmented_radix_sort_config_selectorIblEEZNS1_25segmented_radix_sort_implIS3_Lb0EPKbPbPKlPlN2at6native12_GLOBAL__N_18offset_tEEE10hipError_tPvRmT1_PNSt15iterator_traitsISK_E10value_typeET2_T3_PNSL_ISQ_E10value_typeET4_jRbjT5_SW_jjP12ihipStream_tbEUlT_E0_NS1_11comp_targetILNS1_3genE4ELNS1_11target_archE910ELNS1_3gpuE8ELNS1_3repE0EEENS1_60segmented_radix_sort_warp_sort_medium_config_static_selectorELNS0_4arch9wavefront6targetE0EEEvSK_: ; @_ZN7rocprim17ROCPRIM_400000_NS6detail17trampoline_kernelINS0_14default_configENS1_36segmented_radix_sort_config_selectorIblEEZNS1_25segmented_radix_sort_implIS3_Lb0EPKbPbPKlPlN2at6native12_GLOBAL__N_18offset_tEEE10hipError_tPvRmT1_PNSt15iterator_traitsISK_E10value_typeET2_T3_PNSL_ISQ_E10value_typeET4_jRbjT5_SW_jjP12ihipStream_tbEUlT_E0_NS1_11comp_targetILNS1_3genE4ELNS1_11target_archE910ELNS1_3gpuE8ELNS1_3repE0EEENS1_60segmented_radix_sort_warp_sort_medium_config_static_selectorELNS0_4arch9wavefront6targetE0EEEvSK_
; %bb.0:
	.section	.rodata,"a",@progbits
	.p2align	6, 0x0
	.amdhsa_kernel _ZN7rocprim17ROCPRIM_400000_NS6detail17trampoline_kernelINS0_14default_configENS1_36segmented_radix_sort_config_selectorIblEEZNS1_25segmented_radix_sort_implIS3_Lb0EPKbPbPKlPlN2at6native12_GLOBAL__N_18offset_tEEE10hipError_tPvRmT1_PNSt15iterator_traitsISK_E10value_typeET2_T3_PNSL_ISQ_E10value_typeET4_jRbjT5_SW_jjP12ihipStream_tbEUlT_E0_NS1_11comp_targetILNS1_3genE4ELNS1_11target_archE910ELNS1_3gpuE8ELNS1_3repE0EEENS1_60segmented_radix_sort_warp_sort_medium_config_static_selectorELNS0_4arch9wavefront6targetE0EEEvSK_
		.amdhsa_group_segment_fixed_size 0
		.amdhsa_private_segment_fixed_size 0
		.amdhsa_kernarg_size 88
		.amdhsa_user_sgpr_count 6
		.amdhsa_user_sgpr_private_segment_buffer 1
		.amdhsa_user_sgpr_dispatch_ptr 0
		.amdhsa_user_sgpr_queue_ptr 0
		.amdhsa_user_sgpr_kernarg_segment_ptr 1
		.amdhsa_user_sgpr_dispatch_id 0
		.amdhsa_user_sgpr_flat_scratch_init 0
		.amdhsa_user_sgpr_private_segment_size 0
		.amdhsa_wavefront_size32 1
		.amdhsa_uses_dynamic_stack 0
		.amdhsa_system_sgpr_private_segment_wavefront_offset 0
		.amdhsa_system_sgpr_workgroup_id_x 1
		.amdhsa_system_sgpr_workgroup_id_y 0
		.amdhsa_system_sgpr_workgroup_id_z 0
		.amdhsa_system_sgpr_workgroup_info 0
		.amdhsa_system_vgpr_workitem_id 0
		.amdhsa_next_free_vgpr 1
		.amdhsa_next_free_sgpr 1
		.amdhsa_reserve_vcc 0
		.amdhsa_reserve_flat_scratch 0
		.amdhsa_float_round_mode_32 0
		.amdhsa_float_round_mode_16_64 0
		.amdhsa_float_denorm_mode_32 3
		.amdhsa_float_denorm_mode_16_64 3
		.amdhsa_dx10_clamp 1
		.amdhsa_ieee_mode 1
		.amdhsa_fp16_overflow 0
		.amdhsa_workgroup_processor_mode 1
		.amdhsa_memory_ordered 1
		.amdhsa_forward_progress 1
		.amdhsa_shared_vgpr_count 0
		.amdhsa_exception_fp_ieee_invalid_op 0
		.amdhsa_exception_fp_denorm_src 0
		.amdhsa_exception_fp_ieee_div_zero 0
		.amdhsa_exception_fp_ieee_overflow 0
		.amdhsa_exception_fp_ieee_underflow 0
		.amdhsa_exception_fp_ieee_inexact 0
		.amdhsa_exception_int_div_zero 0
	.end_amdhsa_kernel
	.section	.text._ZN7rocprim17ROCPRIM_400000_NS6detail17trampoline_kernelINS0_14default_configENS1_36segmented_radix_sort_config_selectorIblEEZNS1_25segmented_radix_sort_implIS3_Lb0EPKbPbPKlPlN2at6native12_GLOBAL__N_18offset_tEEE10hipError_tPvRmT1_PNSt15iterator_traitsISK_E10value_typeET2_T3_PNSL_ISQ_E10value_typeET4_jRbjT5_SW_jjP12ihipStream_tbEUlT_E0_NS1_11comp_targetILNS1_3genE4ELNS1_11target_archE910ELNS1_3gpuE8ELNS1_3repE0EEENS1_60segmented_radix_sort_warp_sort_medium_config_static_selectorELNS0_4arch9wavefront6targetE0EEEvSK_,"axG",@progbits,_ZN7rocprim17ROCPRIM_400000_NS6detail17trampoline_kernelINS0_14default_configENS1_36segmented_radix_sort_config_selectorIblEEZNS1_25segmented_radix_sort_implIS3_Lb0EPKbPbPKlPlN2at6native12_GLOBAL__N_18offset_tEEE10hipError_tPvRmT1_PNSt15iterator_traitsISK_E10value_typeET2_T3_PNSL_ISQ_E10value_typeET4_jRbjT5_SW_jjP12ihipStream_tbEUlT_E0_NS1_11comp_targetILNS1_3genE4ELNS1_11target_archE910ELNS1_3gpuE8ELNS1_3repE0EEENS1_60segmented_radix_sort_warp_sort_medium_config_static_selectorELNS0_4arch9wavefront6targetE0EEEvSK_,comdat
.Lfunc_end1638:
	.size	_ZN7rocprim17ROCPRIM_400000_NS6detail17trampoline_kernelINS0_14default_configENS1_36segmented_radix_sort_config_selectorIblEEZNS1_25segmented_radix_sort_implIS3_Lb0EPKbPbPKlPlN2at6native12_GLOBAL__N_18offset_tEEE10hipError_tPvRmT1_PNSt15iterator_traitsISK_E10value_typeET2_T3_PNSL_ISQ_E10value_typeET4_jRbjT5_SW_jjP12ihipStream_tbEUlT_E0_NS1_11comp_targetILNS1_3genE4ELNS1_11target_archE910ELNS1_3gpuE8ELNS1_3repE0EEENS1_60segmented_radix_sort_warp_sort_medium_config_static_selectorELNS0_4arch9wavefront6targetE0EEEvSK_, .Lfunc_end1638-_ZN7rocprim17ROCPRIM_400000_NS6detail17trampoline_kernelINS0_14default_configENS1_36segmented_radix_sort_config_selectorIblEEZNS1_25segmented_radix_sort_implIS3_Lb0EPKbPbPKlPlN2at6native12_GLOBAL__N_18offset_tEEE10hipError_tPvRmT1_PNSt15iterator_traitsISK_E10value_typeET2_T3_PNSL_ISQ_E10value_typeET4_jRbjT5_SW_jjP12ihipStream_tbEUlT_E0_NS1_11comp_targetILNS1_3genE4ELNS1_11target_archE910ELNS1_3gpuE8ELNS1_3repE0EEENS1_60segmented_radix_sort_warp_sort_medium_config_static_selectorELNS0_4arch9wavefront6targetE0EEEvSK_
                                        ; -- End function
	.set _ZN7rocprim17ROCPRIM_400000_NS6detail17trampoline_kernelINS0_14default_configENS1_36segmented_radix_sort_config_selectorIblEEZNS1_25segmented_radix_sort_implIS3_Lb0EPKbPbPKlPlN2at6native12_GLOBAL__N_18offset_tEEE10hipError_tPvRmT1_PNSt15iterator_traitsISK_E10value_typeET2_T3_PNSL_ISQ_E10value_typeET4_jRbjT5_SW_jjP12ihipStream_tbEUlT_E0_NS1_11comp_targetILNS1_3genE4ELNS1_11target_archE910ELNS1_3gpuE8ELNS1_3repE0EEENS1_60segmented_radix_sort_warp_sort_medium_config_static_selectorELNS0_4arch9wavefront6targetE0EEEvSK_.num_vgpr, 0
	.set _ZN7rocprim17ROCPRIM_400000_NS6detail17trampoline_kernelINS0_14default_configENS1_36segmented_radix_sort_config_selectorIblEEZNS1_25segmented_radix_sort_implIS3_Lb0EPKbPbPKlPlN2at6native12_GLOBAL__N_18offset_tEEE10hipError_tPvRmT1_PNSt15iterator_traitsISK_E10value_typeET2_T3_PNSL_ISQ_E10value_typeET4_jRbjT5_SW_jjP12ihipStream_tbEUlT_E0_NS1_11comp_targetILNS1_3genE4ELNS1_11target_archE910ELNS1_3gpuE8ELNS1_3repE0EEENS1_60segmented_radix_sort_warp_sort_medium_config_static_selectorELNS0_4arch9wavefront6targetE0EEEvSK_.num_agpr, 0
	.set _ZN7rocprim17ROCPRIM_400000_NS6detail17trampoline_kernelINS0_14default_configENS1_36segmented_radix_sort_config_selectorIblEEZNS1_25segmented_radix_sort_implIS3_Lb0EPKbPbPKlPlN2at6native12_GLOBAL__N_18offset_tEEE10hipError_tPvRmT1_PNSt15iterator_traitsISK_E10value_typeET2_T3_PNSL_ISQ_E10value_typeET4_jRbjT5_SW_jjP12ihipStream_tbEUlT_E0_NS1_11comp_targetILNS1_3genE4ELNS1_11target_archE910ELNS1_3gpuE8ELNS1_3repE0EEENS1_60segmented_radix_sort_warp_sort_medium_config_static_selectorELNS0_4arch9wavefront6targetE0EEEvSK_.numbered_sgpr, 0
	.set _ZN7rocprim17ROCPRIM_400000_NS6detail17trampoline_kernelINS0_14default_configENS1_36segmented_radix_sort_config_selectorIblEEZNS1_25segmented_radix_sort_implIS3_Lb0EPKbPbPKlPlN2at6native12_GLOBAL__N_18offset_tEEE10hipError_tPvRmT1_PNSt15iterator_traitsISK_E10value_typeET2_T3_PNSL_ISQ_E10value_typeET4_jRbjT5_SW_jjP12ihipStream_tbEUlT_E0_NS1_11comp_targetILNS1_3genE4ELNS1_11target_archE910ELNS1_3gpuE8ELNS1_3repE0EEENS1_60segmented_radix_sort_warp_sort_medium_config_static_selectorELNS0_4arch9wavefront6targetE0EEEvSK_.num_named_barrier, 0
	.set _ZN7rocprim17ROCPRIM_400000_NS6detail17trampoline_kernelINS0_14default_configENS1_36segmented_radix_sort_config_selectorIblEEZNS1_25segmented_radix_sort_implIS3_Lb0EPKbPbPKlPlN2at6native12_GLOBAL__N_18offset_tEEE10hipError_tPvRmT1_PNSt15iterator_traitsISK_E10value_typeET2_T3_PNSL_ISQ_E10value_typeET4_jRbjT5_SW_jjP12ihipStream_tbEUlT_E0_NS1_11comp_targetILNS1_3genE4ELNS1_11target_archE910ELNS1_3gpuE8ELNS1_3repE0EEENS1_60segmented_radix_sort_warp_sort_medium_config_static_selectorELNS0_4arch9wavefront6targetE0EEEvSK_.private_seg_size, 0
	.set _ZN7rocprim17ROCPRIM_400000_NS6detail17trampoline_kernelINS0_14default_configENS1_36segmented_radix_sort_config_selectorIblEEZNS1_25segmented_radix_sort_implIS3_Lb0EPKbPbPKlPlN2at6native12_GLOBAL__N_18offset_tEEE10hipError_tPvRmT1_PNSt15iterator_traitsISK_E10value_typeET2_T3_PNSL_ISQ_E10value_typeET4_jRbjT5_SW_jjP12ihipStream_tbEUlT_E0_NS1_11comp_targetILNS1_3genE4ELNS1_11target_archE910ELNS1_3gpuE8ELNS1_3repE0EEENS1_60segmented_radix_sort_warp_sort_medium_config_static_selectorELNS0_4arch9wavefront6targetE0EEEvSK_.uses_vcc, 0
	.set _ZN7rocprim17ROCPRIM_400000_NS6detail17trampoline_kernelINS0_14default_configENS1_36segmented_radix_sort_config_selectorIblEEZNS1_25segmented_radix_sort_implIS3_Lb0EPKbPbPKlPlN2at6native12_GLOBAL__N_18offset_tEEE10hipError_tPvRmT1_PNSt15iterator_traitsISK_E10value_typeET2_T3_PNSL_ISQ_E10value_typeET4_jRbjT5_SW_jjP12ihipStream_tbEUlT_E0_NS1_11comp_targetILNS1_3genE4ELNS1_11target_archE910ELNS1_3gpuE8ELNS1_3repE0EEENS1_60segmented_radix_sort_warp_sort_medium_config_static_selectorELNS0_4arch9wavefront6targetE0EEEvSK_.uses_flat_scratch, 0
	.set _ZN7rocprim17ROCPRIM_400000_NS6detail17trampoline_kernelINS0_14default_configENS1_36segmented_radix_sort_config_selectorIblEEZNS1_25segmented_radix_sort_implIS3_Lb0EPKbPbPKlPlN2at6native12_GLOBAL__N_18offset_tEEE10hipError_tPvRmT1_PNSt15iterator_traitsISK_E10value_typeET2_T3_PNSL_ISQ_E10value_typeET4_jRbjT5_SW_jjP12ihipStream_tbEUlT_E0_NS1_11comp_targetILNS1_3genE4ELNS1_11target_archE910ELNS1_3gpuE8ELNS1_3repE0EEENS1_60segmented_radix_sort_warp_sort_medium_config_static_selectorELNS0_4arch9wavefront6targetE0EEEvSK_.has_dyn_sized_stack, 0
	.set _ZN7rocprim17ROCPRIM_400000_NS6detail17trampoline_kernelINS0_14default_configENS1_36segmented_radix_sort_config_selectorIblEEZNS1_25segmented_radix_sort_implIS3_Lb0EPKbPbPKlPlN2at6native12_GLOBAL__N_18offset_tEEE10hipError_tPvRmT1_PNSt15iterator_traitsISK_E10value_typeET2_T3_PNSL_ISQ_E10value_typeET4_jRbjT5_SW_jjP12ihipStream_tbEUlT_E0_NS1_11comp_targetILNS1_3genE4ELNS1_11target_archE910ELNS1_3gpuE8ELNS1_3repE0EEENS1_60segmented_radix_sort_warp_sort_medium_config_static_selectorELNS0_4arch9wavefront6targetE0EEEvSK_.has_recursion, 0
	.set _ZN7rocprim17ROCPRIM_400000_NS6detail17trampoline_kernelINS0_14default_configENS1_36segmented_radix_sort_config_selectorIblEEZNS1_25segmented_radix_sort_implIS3_Lb0EPKbPbPKlPlN2at6native12_GLOBAL__N_18offset_tEEE10hipError_tPvRmT1_PNSt15iterator_traitsISK_E10value_typeET2_T3_PNSL_ISQ_E10value_typeET4_jRbjT5_SW_jjP12ihipStream_tbEUlT_E0_NS1_11comp_targetILNS1_3genE4ELNS1_11target_archE910ELNS1_3gpuE8ELNS1_3repE0EEENS1_60segmented_radix_sort_warp_sort_medium_config_static_selectorELNS0_4arch9wavefront6targetE0EEEvSK_.has_indirect_call, 0
	.section	.AMDGPU.csdata,"",@progbits
; Kernel info:
; codeLenInByte = 0
; TotalNumSgprs: 0
; NumVgprs: 0
; ScratchSize: 0
; MemoryBound: 0
; FloatMode: 240
; IeeeMode: 1
; LDSByteSize: 0 bytes/workgroup (compile time only)
; SGPRBlocks: 0
; VGPRBlocks: 0
; NumSGPRsForWavesPerEU: 1
; NumVGPRsForWavesPerEU: 1
; Occupancy: 16
; WaveLimiterHint : 0
; COMPUTE_PGM_RSRC2:SCRATCH_EN: 0
; COMPUTE_PGM_RSRC2:USER_SGPR: 6
; COMPUTE_PGM_RSRC2:TRAP_HANDLER: 0
; COMPUTE_PGM_RSRC2:TGID_X_EN: 1
; COMPUTE_PGM_RSRC2:TGID_Y_EN: 0
; COMPUTE_PGM_RSRC2:TGID_Z_EN: 0
; COMPUTE_PGM_RSRC2:TIDIG_COMP_CNT: 0
	.section	.text._ZN7rocprim17ROCPRIM_400000_NS6detail17trampoline_kernelINS0_14default_configENS1_36segmented_radix_sort_config_selectorIblEEZNS1_25segmented_radix_sort_implIS3_Lb0EPKbPbPKlPlN2at6native12_GLOBAL__N_18offset_tEEE10hipError_tPvRmT1_PNSt15iterator_traitsISK_E10value_typeET2_T3_PNSL_ISQ_E10value_typeET4_jRbjT5_SW_jjP12ihipStream_tbEUlT_E0_NS1_11comp_targetILNS1_3genE3ELNS1_11target_archE908ELNS1_3gpuE7ELNS1_3repE0EEENS1_60segmented_radix_sort_warp_sort_medium_config_static_selectorELNS0_4arch9wavefront6targetE0EEEvSK_,"axG",@progbits,_ZN7rocprim17ROCPRIM_400000_NS6detail17trampoline_kernelINS0_14default_configENS1_36segmented_radix_sort_config_selectorIblEEZNS1_25segmented_radix_sort_implIS3_Lb0EPKbPbPKlPlN2at6native12_GLOBAL__N_18offset_tEEE10hipError_tPvRmT1_PNSt15iterator_traitsISK_E10value_typeET2_T3_PNSL_ISQ_E10value_typeET4_jRbjT5_SW_jjP12ihipStream_tbEUlT_E0_NS1_11comp_targetILNS1_3genE3ELNS1_11target_archE908ELNS1_3gpuE7ELNS1_3repE0EEENS1_60segmented_radix_sort_warp_sort_medium_config_static_selectorELNS0_4arch9wavefront6targetE0EEEvSK_,comdat
	.globl	_ZN7rocprim17ROCPRIM_400000_NS6detail17trampoline_kernelINS0_14default_configENS1_36segmented_radix_sort_config_selectorIblEEZNS1_25segmented_radix_sort_implIS3_Lb0EPKbPbPKlPlN2at6native12_GLOBAL__N_18offset_tEEE10hipError_tPvRmT1_PNSt15iterator_traitsISK_E10value_typeET2_T3_PNSL_ISQ_E10value_typeET4_jRbjT5_SW_jjP12ihipStream_tbEUlT_E0_NS1_11comp_targetILNS1_3genE3ELNS1_11target_archE908ELNS1_3gpuE7ELNS1_3repE0EEENS1_60segmented_radix_sort_warp_sort_medium_config_static_selectorELNS0_4arch9wavefront6targetE0EEEvSK_ ; -- Begin function _ZN7rocprim17ROCPRIM_400000_NS6detail17trampoline_kernelINS0_14default_configENS1_36segmented_radix_sort_config_selectorIblEEZNS1_25segmented_radix_sort_implIS3_Lb0EPKbPbPKlPlN2at6native12_GLOBAL__N_18offset_tEEE10hipError_tPvRmT1_PNSt15iterator_traitsISK_E10value_typeET2_T3_PNSL_ISQ_E10value_typeET4_jRbjT5_SW_jjP12ihipStream_tbEUlT_E0_NS1_11comp_targetILNS1_3genE3ELNS1_11target_archE908ELNS1_3gpuE7ELNS1_3repE0EEENS1_60segmented_radix_sort_warp_sort_medium_config_static_selectorELNS0_4arch9wavefront6targetE0EEEvSK_
	.p2align	8
	.type	_ZN7rocprim17ROCPRIM_400000_NS6detail17trampoline_kernelINS0_14default_configENS1_36segmented_radix_sort_config_selectorIblEEZNS1_25segmented_radix_sort_implIS3_Lb0EPKbPbPKlPlN2at6native12_GLOBAL__N_18offset_tEEE10hipError_tPvRmT1_PNSt15iterator_traitsISK_E10value_typeET2_T3_PNSL_ISQ_E10value_typeET4_jRbjT5_SW_jjP12ihipStream_tbEUlT_E0_NS1_11comp_targetILNS1_3genE3ELNS1_11target_archE908ELNS1_3gpuE7ELNS1_3repE0EEENS1_60segmented_radix_sort_warp_sort_medium_config_static_selectorELNS0_4arch9wavefront6targetE0EEEvSK_,@function
_ZN7rocprim17ROCPRIM_400000_NS6detail17trampoline_kernelINS0_14default_configENS1_36segmented_radix_sort_config_selectorIblEEZNS1_25segmented_radix_sort_implIS3_Lb0EPKbPbPKlPlN2at6native12_GLOBAL__N_18offset_tEEE10hipError_tPvRmT1_PNSt15iterator_traitsISK_E10value_typeET2_T3_PNSL_ISQ_E10value_typeET4_jRbjT5_SW_jjP12ihipStream_tbEUlT_E0_NS1_11comp_targetILNS1_3genE3ELNS1_11target_archE908ELNS1_3gpuE7ELNS1_3repE0EEENS1_60segmented_radix_sort_warp_sort_medium_config_static_selectorELNS0_4arch9wavefront6targetE0EEEvSK_: ; @_ZN7rocprim17ROCPRIM_400000_NS6detail17trampoline_kernelINS0_14default_configENS1_36segmented_radix_sort_config_selectorIblEEZNS1_25segmented_radix_sort_implIS3_Lb0EPKbPbPKlPlN2at6native12_GLOBAL__N_18offset_tEEE10hipError_tPvRmT1_PNSt15iterator_traitsISK_E10value_typeET2_T3_PNSL_ISQ_E10value_typeET4_jRbjT5_SW_jjP12ihipStream_tbEUlT_E0_NS1_11comp_targetILNS1_3genE3ELNS1_11target_archE908ELNS1_3gpuE7ELNS1_3repE0EEENS1_60segmented_radix_sort_warp_sort_medium_config_static_selectorELNS0_4arch9wavefront6targetE0EEEvSK_
; %bb.0:
	.section	.rodata,"a",@progbits
	.p2align	6, 0x0
	.amdhsa_kernel _ZN7rocprim17ROCPRIM_400000_NS6detail17trampoline_kernelINS0_14default_configENS1_36segmented_radix_sort_config_selectorIblEEZNS1_25segmented_radix_sort_implIS3_Lb0EPKbPbPKlPlN2at6native12_GLOBAL__N_18offset_tEEE10hipError_tPvRmT1_PNSt15iterator_traitsISK_E10value_typeET2_T3_PNSL_ISQ_E10value_typeET4_jRbjT5_SW_jjP12ihipStream_tbEUlT_E0_NS1_11comp_targetILNS1_3genE3ELNS1_11target_archE908ELNS1_3gpuE7ELNS1_3repE0EEENS1_60segmented_radix_sort_warp_sort_medium_config_static_selectorELNS0_4arch9wavefront6targetE0EEEvSK_
		.amdhsa_group_segment_fixed_size 0
		.amdhsa_private_segment_fixed_size 0
		.amdhsa_kernarg_size 88
		.amdhsa_user_sgpr_count 6
		.amdhsa_user_sgpr_private_segment_buffer 1
		.amdhsa_user_sgpr_dispatch_ptr 0
		.amdhsa_user_sgpr_queue_ptr 0
		.amdhsa_user_sgpr_kernarg_segment_ptr 1
		.amdhsa_user_sgpr_dispatch_id 0
		.amdhsa_user_sgpr_flat_scratch_init 0
		.amdhsa_user_sgpr_private_segment_size 0
		.amdhsa_wavefront_size32 1
		.amdhsa_uses_dynamic_stack 0
		.amdhsa_system_sgpr_private_segment_wavefront_offset 0
		.amdhsa_system_sgpr_workgroup_id_x 1
		.amdhsa_system_sgpr_workgroup_id_y 0
		.amdhsa_system_sgpr_workgroup_id_z 0
		.amdhsa_system_sgpr_workgroup_info 0
		.amdhsa_system_vgpr_workitem_id 0
		.amdhsa_next_free_vgpr 1
		.amdhsa_next_free_sgpr 1
		.amdhsa_reserve_vcc 0
		.amdhsa_reserve_flat_scratch 0
		.amdhsa_float_round_mode_32 0
		.amdhsa_float_round_mode_16_64 0
		.amdhsa_float_denorm_mode_32 3
		.amdhsa_float_denorm_mode_16_64 3
		.amdhsa_dx10_clamp 1
		.amdhsa_ieee_mode 1
		.amdhsa_fp16_overflow 0
		.amdhsa_workgroup_processor_mode 1
		.amdhsa_memory_ordered 1
		.amdhsa_forward_progress 1
		.amdhsa_shared_vgpr_count 0
		.amdhsa_exception_fp_ieee_invalid_op 0
		.amdhsa_exception_fp_denorm_src 0
		.amdhsa_exception_fp_ieee_div_zero 0
		.amdhsa_exception_fp_ieee_overflow 0
		.amdhsa_exception_fp_ieee_underflow 0
		.amdhsa_exception_fp_ieee_inexact 0
		.amdhsa_exception_int_div_zero 0
	.end_amdhsa_kernel
	.section	.text._ZN7rocprim17ROCPRIM_400000_NS6detail17trampoline_kernelINS0_14default_configENS1_36segmented_radix_sort_config_selectorIblEEZNS1_25segmented_radix_sort_implIS3_Lb0EPKbPbPKlPlN2at6native12_GLOBAL__N_18offset_tEEE10hipError_tPvRmT1_PNSt15iterator_traitsISK_E10value_typeET2_T3_PNSL_ISQ_E10value_typeET4_jRbjT5_SW_jjP12ihipStream_tbEUlT_E0_NS1_11comp_targetILNS1_3genE3ELNS1_11target_archE908ELNS1_3gpuE7ELNS1_3repE0EEENS1_60segmented_radix_sort_warp_sort_medium_config_static_selectorELNS0_4arch9wavefront6targetE0EEEvSK_,"axG",@progbits,_ZN7rocprim17ROCPRIM_400000_NS6detail17trampoline_kernelINS0_14default_configENS1_36segmented_radix_sort_config_selectorIblEEZNS1_25segmented_radix_sort_implIS3_Lb0EPKbPbPKlPlN2at6native12_GLOBAL__N_18offset_tEEE10hipError_tPvRmT1_PNSt15iterator_traitsISK_E10value_typeET2_T3_PNSL_ISQ_E10value_typeET4_jRbjT5_SW_jjP12ihipStream_tbEUlT_E0_NS1_11comp_targetILNS1_3genE3ELNS1_11target_archE908ELNS1_3gpuE7ELNS1_3repE0EEENS1_60segmented_radix_sort_warp_sort_medium_config_static_selectorELNS0_4arch9wavefront6targetE0EEEvSK_,comdat
.Lfunc_end1639:
	.size	_ZN7rocprim17ROCPRIM_400000_NS6detail17trampoline_kernelINS0_14default_configENS1_36segmented_radix_sort_config_selectorIblEEZNS1_25segmented_radix_sort_implIS3_Lb0EPKbPbPKlPlN2at6native12_GLOBAL__N_18offset_tEEE10hipError_tPvRmT1_PNSt15iterator_traitsISK_E10value_typeET2_T3_PNSL_ISQ_E10value_typeET4_jRbjT5_SW_jjP12ihipStream_tbEUlT_E0_NS1_11comp_targetILNS1_3genE3ELNS1_11target_archE908ELNS1_3gpuE7ELNS1_3repE0EEENS1_60segmented_radix_sort_warp_sort_medium_config_static_selectorELNS0_4arch9wavefront6targetE0EEEvSK_, .Lfunc_end1639-_ZN7rocprim17ROCPRIM_400000_NS6detail17trampoline_kernelINS0_14default_configENS1_36segmented_radix_sort_config_selectorIblEEZNS1_25segmented_radix_sort_implIS3_Lb0EPKbPbPKlPlN2at6native12_GLOBAL__N_18offset_tEEE10hipError_tPvRmT1_PNSt15iterator_traitsISK_E10value_typeET2_T3_PNSL_ISQ_E10value_typeET4_jRbjT5_SW_jjP12ihipStream_tbEUlT_E0_NS1_11comp_targetILNS1_3genE3ELNS1_11target_archE908ELNS1_3gpuE7ELNS1_3repE0EEENS1_60segmented_radix_sort_warp_sort_medium_config_static_selectorELNS0_4arch9wavefront6targetE0EEEvSK_
                                        ; -- End function
	.set _ZN7rocprim17ROCPRIM_400000_NS6detail17trampoline_kernelINS0_14default_configENS1_36segmented_radix_sort_config_selectorIblEEZNS1_25segmented_radix_sort_implIS3_Lb0EPKbPbPKlPlN2at6native12_GLOBAL__N_18offset_tEEE10hipError_tPvRmT1_PNSt15iterator_traitsISK_E10value_typeET2_T3_PNSL_ISQ_E10value_typeET4_jRbjT5_SW_jjP12ihipStream_tbEUlT_E0_NS1_11comp_targetILNS1_3genE3ELNS1_11target_archE908ELNS1_3gpuE7ELNS1_3repE0EEENS1_60segmented_radix_sort_warp_sort_medium_config_static_selectorELNS0_4arch9wavefront6targetE0EEEvSK_.num_vgpr, 0
	.set _ZN7rocprim17ROCPRIM_400000_NS6detail17trampoline_kernelINS0_14default_configENS1_36segmented_radix_sort_config_selectorIblEEZNS1_25segmented_radix_sort_implIS3_Lb0EPKbPbPKlPlN2at6native12_GLOBAL__N_18offset_tEEE10hipError_tPvRmT1_PNSt15iterator_traitsISK_E10value_typeET2_T3_PNSL_ISQ_E10value_typeET4_jRbjT5_SW_jjP12ihipStream_tbEUlT_E0_NS1_11comp_targetILNS1_3genE3ELNS1_11target_archE908ELNS1_3gpuE7ELNS1_3repE0EEENS1_60segmented_radix_sort_warp_sort_medium_config_static_selectorELNS0_4arch9wavefront6targetE0EEEvSK_.num_agpr, 0
	.set _ZN7rocprim17ROCPRIM_400000_NS6detail17trampoline_kernelINS0_14default_configENS1_36segmented_radix_sort_config_selectorIblEEZNS1_25segmented_radix_sort_implIS3_Lb0EPKbPbPKlPlN2at6native12_GLOBAL__N_18offset_tEEE10hipError_tPvRmT1_PNSt15iterator_traitsISK_E10value_typeET2_T3_PNSL_ISQ_E10value_typeET4_jRbjT5_SW_jjP12ihipStream_tbEUlT_E0_NS1_11comp_targetILNS1_3genE3ELNS1_11target_archE908ELNS1_3gpuE7ELNS1_3repE0EEENS1_60segmented_radix_sort_warp_sort_medium_config_static_selectorELNS0_4arch9wavefront6targetE0EEEvSK_.numbered_sgpr, 0
	.set _ZN7rocprim17ROCPRIM_400000_NS6detail17trampoline_kernelINS0_14default_configENS1_36segmented_radix_sort_config_selectorIblEEZNS1_25segmented_radix_sort_implIS3_Lb0EPKbPbPKlPlN2at6native12_GLOBAL__N_18offset_tEEE10hipError_tPvRmT1_PNSt15iterator_traitsISK_E10value_typeET2_T3_PNSL_ISQ_E10value_typeET4_jRbjT5_SW_jjP12ihipStream_tbEUlT_E0_NS1_11comp_targetILNS1_3genE3ELNS1_11target_archE908ELNS1_3gpuE7ELNS1_3repE0EEENS1_60segmented_radix_sort_warp_sort_medium_config_static_selectorELNS0_4arch9wavefront6targetE0EEEvSK_.num_named_barrier, 0
	.set _ZN7rocprim17ROCPRIM_400000_NS6detail17trampoline_kernelINS0_14default_configENS1_36segmented_radix_sort_config_selectorIblEEZNS1_25segmented_radix_sort_implIS3_Lb0EPKbPbPKlPlN2at6native12_GLOBAL__N_18offset_tEEE10hipError_tPvRmT1_PNSt15iterator_traitsISK_E10value_typeET2_T3_PNSL_ISQ_E10value_typeET4_jRbjT5_SW_jjP12ihipStream_tbEUlT_E0_NS1_11comp_targetILNS1_3genE3ELNS1_11target_archE908ELNS1_3gpuE7ELNS1_3repE0EEENS1_60segmented_radix_sort_warp_sort_medium_config_static_selectorELNS0_4arch9wavefront6targetE0EEEvSK_.private_seg_size, 0
	.set _ZN7rocprim17ROCPRIM_400000_NS6detail17trampoline_kernelINS0_14default_configENS1_36segmented_radix_sort_config_selectorIblEEZNS1_25segmented_radix_sort_implIS3_Lb0EPKbPbPKlPlN2at6native12_GLOBAL__N_18offset_tEEE10hipError_tPvRmT1_PNSt15iterator_traitsISK_E10value_typeET2_T3_PNSL_ISQ_E10value_typeET4_jRbjT5_SW_jjP12ihipStream_tbEUlT_E0_NS1_11comp_targetILNS1_3genE3ELNS1_11target_archE908ELNS1_3gpuE7ELNS1_3repE0EEENS1_60segmented_radix_sort_warp_sort_medium_config_static_selectorELNS0_4arch9wavefront6targetE0EEEvSK_.uses_vcc, 0
	.set _ZN7rocprim17ROCPRIM_400000_NS6detail17trampoline_kernelINS0_14default_configENS1_36segmented_radix_sort_config_selectorIblEEZNS1_25segmented_radix_sort_implIS3_Lb0EPKbPbPKlPlN2at6native12_GLOBAL__N_18offset_tEEE10hipError_tPvRmT1_PNSt15iterator_traitsISK_E10value_typeET2_T3_PNSL_ISQ_E10value_typeET4_jRbjT5_SW_jjP12ihipStream_tbEUlT_E0_NS1_11comp_targetILNS1_3genE3ELNS1_11target_archE908ELNS1_3gpuE7ELNS1_3repE0EEENS1_60segmented_radix_sort_warp_sort_medium_config_static_selectorELNS0_4arch9wavefront6targetE0EEEvSK_.uses_flat_scratch, 0
	.set _ZN7rocprim17ROCPRIM_400000_NS6detail17trampoline_kernelINS0_14default_configENS1_36segmented_radix_sort_config_selectorIblEEZNS1_25segmented_radix_sort_implIS3_Lb0EPKbPbPKlPlN2at6native12_GLOBAL__N_18offset_tEEE10hipError_tPvRmT1_PNSt15iterator_traitsISK_E10value_typeET2_T3_PNSL_ISQ_E10value_typeET4_jRbjT5_SW_jjP12ihipStream_tbEUlT_E0_NS1_11comp_targetILNS1_3genE3ELNS1_11target_archE908ELNS1_3gpuE7ELNS1_3repE0EEENS1_60segmented_radix_sort_warp_sort_medium_config_static_selectorELNS0_4arch9wavefront6targetE0EEEvSK_.has_dyn_sized_stack, 0
	.set _ZN7rocprim17ROCPRIM_400000_NS6detail17trampoline_kernelINS0_14default_configENS1_36segmented_radix_sort_config_selectorIblEEZNS1_25segmented_radix_sort_implIS3_Lb0EPKbPbPKlPlN2at6native12_GLOBAL__N_18offset_tEEE10hipError_tPvRmT1_PNSt15iterator_traitsISK_E10value_typeET2_T3_PNSL_ISQ_E10value_typeET4_jRbjT5_SW_jjP12ihipStream_tbEUlT_E0_NS1_11comp_targetILNS1_3genE3ELNS1_11target_archE908ELNS1_3gpuE7ELNS1_3repE0EEENS1_60segmented_radix_sort_warp_sort_medium_config_static_selectorELNS0_4arch9wavefront6targetE0EEEvSK_.has_recursion, 0
	.set _ZN7rocprim17ROCPRIM_400000_NS6detail17trampoline_kernelINS0_14default_configENS1_36segmented_radix_sort_config_selectorIblEEZNS1_25segmented_radix_sort_implIS3_Lb0EPKbPbPKlPlN2at6native12_GLOBAL__N_18offset_tEEE10hipError_tPvRmT1_PNSt15iterator_traitsISK_E10value_typeET2_T3_PNSL_ISQ_E10value_typeET4_jRbjT5_SW_jjP12ihipStream_tbEUlT_E0_NS1_11comp_targetILNS1_3genE3ELNS1_11target_archE908ELNS1_3gpuE7ELNS1_3repE0EEENS1_60segmented_radix_sort_warp_sort_medium_config_static_selectorELNS0_4arch9wavefront6targetE0EEEvSK_.has_indirect_call, 0
	.section	.AMDGPU.csdata,"",@progbits
; Kernel info:
; codeLenInByte = 0
; TotalNumSgprs: 0
; NumVgprs: 0
; ScratchSize: 0
; MemoryBound: 0
; FloatMode: 240
; IeeeMode: 1
; LDSByteSize: 0 bytes/workgroup (compile time only)
; SGPRBlocks: 0
; VGPRBlocks: 0
; NumSGPRsForWavesPerEU: 1
; NumVGPRsForWavesPerEU: 1
; Occupancy: 16
; WaveLimiterHint : 0
; COMPUTE_PGM_RSRC2:SCRATCH_EN: 0
; COMPUTE_PGM_RSRC2:USER_SGPR: 6
; COMPUTE_PGM_RSRC2:TRAP_HANDLER: 0
; COMPUTE_PGM_RSRC2:TGID_X_EN: 1
; COMPUTE_PGM_RSRC2:TGID_Y_EN: 0
; COMPUTE_PGM_RSRC2:TGID_Z_EN: 0
; COMPUTE_PGM_RSRC2:TIDIG_COMP_CNT: 0
	.section	.text._ZN7rocprim17ROCPRIM_400000_NS6detail17trampoline_kernelINS0_14default_configENS1_36segmented_radix_sort_config_selectorIblEEZNS1_25segmented_radix_sort_implIS3_Lb0EPKbPbPKlPlN2at6native12_GLOBAL__N_18offset_tEEE10hipError_tPvRmT1_PNSt15iterator_traitsISK_E10value_typeET2_T3_PNSL_ISQ_E10value_typeET4_jRbjT5_SW_jjP12ihipStream_tbEUlT_E0_NS1_11comp_targetILNS1_3genE2ELNS1_11target_archE906ELNS1_3gpuE6ELNS1_3repE0EEENS1_60segmented_radix_sort_warp_sort_medium_config_static_selectorELNS0_4arch9wavefront6targetE0EEEvSK_,"axG",@progbits,_ZN7rocprim17ROCPRIM_400000_NS6detail17trampoline_kernelINS0_14default_configENS1_36segmented_radix_sort_config_selectorIblEEZNS1_25segmented_radix_sort_implIS3_Lb0EPKbPbPKlPlN2at6native12_GLOBAL__N_18offset_tEEE10hipError_tPvRmT1_PNSt15iterator_traitsISK_E10value_typeET2_T3_PNSL_ISQ_E10value_typeET4_jRbjT5_SW_jjP12ihipStream_tbEUlT_E0_NS1_11comp_targetILNS1_3genE2ELNS1_11target_archE906ELNS1_3gpuE6ELNS1_3repE0EEENS1_60segmented_radix_sort_warp_sort_medium_config_static_selectorELNS0_4arch9wavefront6targetE0EEEvSK_,comdat
	.globl	_ZN7rocprim17ROCPRIM_400000_NS6detail17trampoline_kernelINS0_14default_configENS1_36segmented_radix_sort_config_selectorIblEEZNS1_25segmented_radix_sort_implIS3_Lb0EPKbPbPKlPlN2at6native12_GLOBAL__N_18offset_tEEE10hipError_tPvRmT1_PNSt15iterator_traitsISK_E10value_typeET2_T3_PNSL_ISQ_E10value_typeET4_jRbjT5_SW_jjP12ihipStream_tbEUlT_E0_NS1_11comp_targetILNS1_3genE2ELNS1_11target_archE906ELNS1_3gpuE6ELNS1_3repE0EEENS1_60segmented_radix_sort_warp_sort_medium_config_static_selectorELNS0_4arch9wavefront6targetE0EEEvSK_ ; -- Begin function _ZN7rocprim17ROCPRIM_400000_NS6detail17trampoline_kernelINS0_14default_configENS1_36segmented_radix_sort_config_selectorIblEEZNS1_25segmented_radix_sort_implIS3_Lb0EPKbPbPKlPlN2at6native12_GLOBAL__N_18offset_tEEE10hipError_tPvRmT1_PNSt15iterator_traitsISK_E10value_typeET2_T3_PNSL_ISQ_E10value_typeET4_jRbjT5_SW_jjP12ihipStream_tbEUlT_E0_NS1_11comp_targetILNS1_3genE2ELNS1_11target_archE906ELNS1_3gpuE6ELNS1_3repE0EEENS1_60segmented_radix_sort_warp_sort_medium_config_static_selectorELNS0_4arch9wavefront6targetE0EEEvSK_
	.p2align	8
	.type	_ZN7rocprim17ROCPRIM_400000_NS6detail17trampoline_kernelINS0_14default_configENS1_36segmented_radix_sort_config_selectorIblEEZNS1_25segmented_radix_sort_implIS3_Lb0EPKbPbPKlPlN2at6native12_GLOBAL__N_18offset_tEEE10hipError_tPvRmT1_PNSt15iterator_traitsISK_E10value_typeET2_T3_PNSL_ISQ_E10value_typeET4_jRbjT5_SW_jjP12ihipStream_tbEUlT_E0_NS1_11comp_targetILNS1_3genE2ELNS1_11target_archE906ELNS1_3gpuE6ELNS1_3repE0EEENS1_60segmented_radix_sort_warp_sort_medium_config_static_selectorELNS0_4arch9wavefront6targetE0EEEvSK_,@function
_ZN7rocprim17ROCPRIM_400000_NS6detail17trampoline_kernelINS0_14default_configENS1_36segmented_radix_sort_config_selectorIblEEZNS1_25segmented_radix_sort_implIS3_Lb0EPKbPbPKlPlN2at6native12_GLOBAL__N_18offset_tEEE10hipError_tPvRmT1_PNSt15iterator_traitsISK_E10value_typeET2_T3_PNSL_ISQ_E10value_typeET4_jRbjT5_SW_jjP12ihipStream_tbEUlT_E0_NS1_11comp_targetILNS1_3genE2ELNS1_11target_archE906ELNS1_3gpuE6ELNS1_3repE0EEENS1_60segmented_radix_sort_warp_sort_medium_config_static_selectorELNS0_4arch9wavefront6targetE0EEEvSK_: ; @_ZN7rocprim17ROCPRIM_400000_NS6detail17trampoline_kernelINS0_14default_configENS1_36segmented_radix_sort_config_selectorIblEEZNS1_25segmented_radix_sort_implIS3_Lb0EPKbPbPKlPlN2at6native12_GLOBAL__N_18offset_tEEE10hipError_tPvRmT1_PNSt15iterator_traitsISK_E10value_typeET2_T3_PNSL_ISQ_E10value_typeET4_jRbjT5_SW_jjP12ihipStream_tbEUlT_E0_NS1_11comp_targetILNS1_3genE2ELNS1_11target_archE906ELNS1_3gpuE6ELNS1_3repE0EEENS1_60segmented_radix_sort_warp_sort_medium_config_static_selectorELNS0_4arch9wavefront6targetE0EEEvSK_
; %bb.0:
	.section	.rodata,"a",@progbits
	.p2align	6, 0x0
	.amdhsa_kernel _ZN7rocprim17ROCPRIM_400000_NS6detail17trampoline_kernelINS0_14default_configENS1_36segmented_radix_sort_config_selectorIblEEZNS1_25segmented_radix_sort_implIS3_Lb0EPKbPbPKlPlN2at6native12_GLOBAL__N_18offset_tEEE10hipError_tPvRmT1_PNSt15iterator_traitsISK_E10value_typeET2_T3_PNSL_ISQ_E10value_typeET4_jRbjT5_SW_jjP12ihipStream_tbEUlT_E0_NS1_11comp_targetILNS1_3genE2ELNS1_11target_archE906ELNS1_3gpuE6ELNS1_3repE0EEENS1_60segmented_radix_sort_warp_sort_medium_config_static_selectorELNS0_4arch9wavefront6targetE0EEEvSK_
		.amdhsa_group_segment_fixed_size 0
		.amdhsa_private_segment_fixed_size 0
		.amdhsa_kernarg_size 88
		.amdhsa_user_sgpr_count 6
		.amdhsa_user_sgpr_private_segment_buffer 1
		.amdhsa_user_sgpr_dispatch_ptr 0
		.amdhsa_user_sgpr_queue_ptr 0
		.amdhsa_user_sgpr_kernarg_segment_ptr 1
		.amdhsa_user_sgpr_dispatch_id 0
		.amdhsa_user_sgpr_flat_scratch_init 0
		.amdhsa_user_sgpr_private_segment_size 0
		.amdhsa_wavefront_size32 1
		.amdhsa_uses_dynamic_stack 0
		.amdhsa_system_sgpr_private_segment_wavefront_offset 0
		.amdhsa_system_sgpr_workgroup_id_x 1
		.amdhsa_system_sgpr_workgroup_id_y 0
		.amdhsa_system_sgpr_workgroup_id_z 0
		.amdhsa_system_sgpr_workgroup_info 0
		.amdhsa_system_vgpr_workitem_id 0
		.amdhsa_next_free_vgpr 1
		.amdhsa_next_free_sgpr 1
		.amdhsa_reserve_vcc 0
		.amdhsa_reserve_flat_scratch 0
		.amdhsa_float_round_mode_32 0
		.amdhsa_float_round_mode_16_64 0
		.amdhsa_float_denorm_mode_32 3
		.amdhsa_float_denorm_mode_16_64 3
		.amdhsa_dx10_clamp 1
		.amdhsa_ieee_mode 1
		.amdhsa_fp16_overflow 0
		.amdhsa_workgroup_processor_mode 1
		.amdhsa_memory_ordered 1
		.amdhsa_forward_progress 1
		.amdhsa_shared_vgpr_count 0
		.amdhsa_exception_fp_ieee_invalid_op 0
		.amdhsa_exception_fp_denorm_src 0
		.amdhsa_exception_fp_ieee_div_zero 0
		.amdhsa_exception_fp_ieee_overflow 0
		.amdhsa_exception_fp_ieee_underflow 0
		.amdhsa_exception_fp_ieee_inexact 0
		.amdhsa_exception_int_div_zero 0
	.end_amdhsa_kernel
	.section	.text._ZN7rocprim17ROCPRIM_400000_NS6detail17trampoline_kernelINS0_14default_configENS1_36segmented_radix_sort_config_selectorIblEEZNS1_25segmented_radix_sort_implIS3_Lb0EPKbPbPKlPlN2at6native12_GLOBAL__N_18offset_tEEE10hipError_tPvRmT1_PNSt15iterator_traitsISK_E10value_typeET2_T3_PNSL_ISQ_E10value_typeET4_jRbjT5_SW_jjP12ihipStream_tbEUlT_E0_NS1_11comp_targetILNS1_3genE2ELNS1_11target_archE906ELNS1_3gpuE6ELNS1_3repE0EEENS1_60segmented_radix_sort_warp_sort_medium_config_static_selectorELNS0_4arch9wavefront6targetE0EEEvSK_,"axG",@progbits,_ZN7rocprim17ROCPRIM_400000_NS6detail17trampoline_kernelINS0_14default_configENS1_36segmented_radix_sort_config_selectorIblEEZNS1_25segmented_radix_sort_implIS3_Lb0EPKbPbPKlPlN2at6native12_GLOBAL__N_18offset_tEEE10hipError_tPvRmT1_PNSt15iterator_traitsISK_E10value_typeET2_T3_PNSL_ISQ_E10value_typeET4_jRbjT5_SW_jjP12ihipStream_tbEUlT_E0_NS1_11comp_targetILNS1_3genE2ELNS1_11target_archE906ELNS1_3gpuE6ELNS1_3repE0EEENS1_60segmented_radix_sort_warp_sort_medium_config_static_selectorELNS0_4arch9wavefront6targetE0EEEvSK_,comdat
.Lfunc_end1640:
	.size	_ZN7rocprim17ROCPRIM_400000_NS6detail17trampoline_kernelINS0_14default_configENS1_36segmented_radix_sort_config_selectorIblEEZNS1_25segmented_radix_sort_implIS3_Lb0EPKbPbPKlPlN2at6native12_GLOBAL__N_18offset_tEEE10hipError_tPvRmT1_PNSt15iterator_traitsISK_E10value_typeET2_T3_PNSL_ISQ_E10value_typeET4_jRbjT5_SW_jjP12ihipStream_tbEUlT_E0_NS1_11comp_targetILNS1_3genE2ELNS1_11target_archE906ELNS1_3gpuE6ELNS1_3repE0EEENS1_60segmented_radix_sort_warp_sort_medium_config_static_selectorELNS0_4arch9wavefront6targetE0EEEvSK_, .Lfunc_end1640-_ZN7rocprim17ROCPRIM_400000_NS6detail17trampoline_kernelINS0_14default_configENS1_36segmented_radix_sort_config_selectorIblEEZNS1_25segmented_radix_sort_implIS3_Lb0EPKbPbPKlPlN2at6native12_GLOBAL__N_18offset_tEEE10hipError_tPvRmT1_PNSt15iterator_traitsISK_E10value_typeET2_T3_PNSL_ISQ_E10value_typeET4_jRbjT5_SW_jjP12ihipStream_tbEUlT_E0_NS1_11comp_targetILNS1_3genE2ELNS1_11target_archE906ELNS1_3gpuE6ELNS1_3repE0EEENS1_60segmented_radix_sort_warp_sort_medium_config_static_selectorELNS0_4arch9wavefront6targetE0EEEvSK_
                                        ; -- End function
	.set _ZN7rocprim17ROCPRIM_400000_NS6detail17trampoline_kernelINS0_14default_configENS1_36segmented_radix_sort_config_selectorIblEEZNS1_25segmented_radix_sort_implIS3_Lb0EPKbPbPKlPlN2at6native12_GLOBAL__N_18offset_tEEE10hipError_tPvRmT1_PNSt15iterator_traitsISK_E10value_typeET2_T3_PNSL_ISQ_E10value_typeET4_jRbjT5_SW_jjP12ihipStream_tbEUlT_E0_NS1_11comp_targetILNS1_3genE2ELNS1_11target_archE906ELNS1_3gpuE6ELNS1_3repE0EEENS1_60segmented_radix_sort_warp_sort_medium_config_static_selectorELNS0_4arch9wavefront6targetE0EEEvSK_.num_vgpr, 0
	.set _ZN7rocprim17ROCPRIM_400000_NS6detail17trampoline_kernelINS0_14default_configENS1_36segmented_radix_sort_config_selectorIblEEZNS1_25segmented_radix_sort_implIS3_Lb0EPKbPbPKlPlN2at6native12_GLOBAL__N_18offset_tEEE10hipError_tPvRmT1_PNSt15iterator_traitsISK_E10value_typeET2_T3_PNSL_ISQ_E10value_typeET4_jRbjT5_SW_jjP12ihipStream_tbEUlT_E0_NS1_11comp_targetILNS1_3genE2ELNS1_11target_archE906ELNS1_3gpuE6ELNS1_3repE0EEENS1_60segmented_radix_sort_warp_sort_medium_config_static_selectorELNS0_4arch9wavefront6targetE0EEEvSK_.num_agpr, 0
	.set _ZN7rocprim17ROCPRIM_400000_NS6detail17trampoline_kernelINS0_14default_configENS1_36segmented_radix_sort_config_selectorIblEEZNS1_25segmented_radix_sort_implIS3_Lb0EPKbPbPKlPlN2at6native12_GLOBAL__N_18offset_tEEE10hipError_tPvRmT1_PNSt15iterator_traitsISK_E10value_typeET2_T3_PNSL_ISQ_E10value_typeET4_jRbjT5_SW_jjP12ihipStream_tbEUlT_E0_NS1_11comp_targetILNS1_3genE2ELNS1_11target_archE906ELNS1_3gpuE6ELNS1_3repE0EEENS1_60segmented_radix_sort_warp_sort_medium_config_static_selectorELNS0_4arch9wavefront6targetE0EEEvSK_.numbered_sgpr, 0
	.set _ZN7rocprim17ROCPRIM_400000_NS6detail17trampoline_kernelINS0_14default_configENS1_36segmented_radix_sort_config_selectorIblEEZNS1_25segmented_radix_sort_implIS3_Lb0EPKbPbPKlPlN2at6native12_GLOBAL__N_18offset_tEEE10hipError_tPvRmT1_PNSt15iterator_traitsISK_E10value_typeET2_T3_PNSL_ISQ_E10value_typeET4_jRbjT5_SW_jjP12ihipStream_tbEUlT_E0_NS1_11comp_targetILNS1_3genE2ELNS1_11target_archE906ELNS1_3gpuE6ELNS1_3repE0EEENS1_60segmented_radix_sort_warp_sort_medium_config_static_selectorELNS0_4arch9wavefront6targetE0EEEvSK_.num_named_barrier, 0
	.set _ZN7rocprim17ROCPRIM_400000_NS6detail17trampoline_kernelINS0_14default_configENS1_36segmented_radix_sort_config_selectorIblEEZNS1_25segmented_radix_sort_implIS3_Lb0EPKbPbPKlPlN2at6native12_GLOBAL__N_18offset_tEEE10hipError_tPvRmT1_PNSt15iterator_traitsISK_E10value_typeET2_T3_PNSL_ISQ_E10value_typeET4_jRbjT5_SW_jjP12ihipStream_tbEUlT_E0_NS1_11comp_targetILNS1_3genE2ELNS1_11target_archE906ELNS1_3gpuE6ELNS1_3repE0EEENS1_60segmented_radix_sort_warp_sort_medium_config_static_selectorELNS0_4arch9wavefront6targetE0EEEvSK_.private_seg_size, 0
	.set _ZN7rocprim17ROCPRIM_400000_NS6detail17trampoline_kernelINS0_14default_configENS1_36segmented_radix_sort_config_selectorIblEEZNS1_25segmented_radix_sort_implIS3_Lb0EPKbPbPKlPlN2at6native12_GLOBAL__N_18offset_tEEE10hipError_tPvRmT1_PNSt15iterator_traitsISK_E10value_typeET2_T3_PNSL_ISQ_E10value_typeET4_jRbjT5_SW_jjP12ihipStream_tbEUlT_E0_NS1_11comp_targetILNS1_3genE2ELNS1_11target_archE906ELNS1_3gpuE6ELNS1_3repE0EEENS1_60segmented_radix_sort_warp_sort_medium_config_static_selectorELNS0_4arch9wavefront6targetE0EEEvSK_.uses_vcc, 0
	.set _ZN7rocprim17ROCPRIM_400000_NS6detail17trampoline_kernelINS0_14default_configENS1_36segmented_radix_sort_config_selectorIblEEZNS1_25segmented_radix_sort_implIS3_Lb0EPKbPbPKlPlN2at6native12_GLOBAL__N_18offset_tEEE10hipError_tPvRmT1_PNSt15iterator_traitsISK_E10value_typeET2_T3_PNSL_ISQ_E10value_typeET4_jRbjT5_SW_jjP12ihipStream_tbEUlT_E0_NS1_11comp_targetILNS1_3genE2ELNS1_11target_archE906ELNS1_3gpuE6ELNS1_3repE0EEENS1_60segmented_radix_sort_warp_sort_medium_config_static_selectorELNS0_4arch9wavefront6targetE0EEEvSK_.uses_flat_scratch, 0
	.set _ZN7rocprim17ROCPRIM_400000_NS6detail17trampoline_kernelINS0_14default_configENS1_36segmented_radix_sort_config_selectorIblEEZNS1_25segmented_radix_sort_implIS3_Lb0EPKbPbPKlPlN2at6native12_GLOBAL__N_18offset_tEEE10hipError_tPvRmT1_PNSt15iterator_traitsISK_E10value_typeET2_T3_PNSL_ISQ_E10value_typeET4_jRbjT5_SW_jjP12ihipStream_tbEUlT_E0_NS1_11comp_targetILNS1_3genE2ELNS1_11target_archE906ELNS1_3gpuE6ELNS1_3repE0EEENS1_60segmented_radix_sort_warp_sort_medium_config_static_selectorELNS0_4arch9wavefront6targetE0EEEvSK_.has_dyn_sized_stack, 0
	.set _ZN7rocprim17ROCPRIM_400000_NS6detail17trampoline_kernelINS0_14default_configENS1_36segmented_radix_sort_config_selectorIblEEZNS1_25segmented_radix_sort_implIS3_Lb0EPKbPbPKlPlN2at6native12_GLOBAL__N_18offset_tEEE10hipError_tPvRmT1_PNSt15iterator_traitsISK_E10value_typeET2_T3_PNSL_ISQ_E10value_typeET4_jRbjT5_SW_jjP12ihipStream_tbEUlT_E0_NS1_11comp_targetILNS1_3genE2ELNS1_11target_archE906ELNS1_3gpuE6ELNS1_3repE0EEENS1_60segmented_radix_sort_warp_sort_medium_config_static_selectorELNS0_4arch9wavefront6targetE0EEEvSK_.has_recursion, 0
	.set _ZN7rocprim17ROCPRIM_400000_NS6detail17trampoline_kernelINS0_14default_configENS1_36segmented_radix_sort_config_selectorIblEEZNS1_25segmented_radix_sort_implIS3_Lb0EPKbPbPKlPlN2at6native12_GLOBAL__N_18offset_tEEE10hipError_tPvRmT1_PNSt15iterator_traitsISK_E10value_typeET2_T3_PNSL_ISQ_E10value_typeET4_jRbjT5_SW_jjP12ihipStream_tbEUlT_E0_NS1_11comp_targetILNS1_3genE2ELNS1_11target_archE906ELNS1_3gpuE6ELNS1_3repE0EEENS1_60segmented_radix_sort_warp_sort_medium_config_static_selectorELNS0_4arch9wavefront6targetE0EEEvSK_.has_indirect_call, 0
	.section	.AMDGPU.csdata,"",@progbits
; Kernel info:
; codeLenInByte = 0
; TotalNumSgprs: 0
; NumVgprs: 0
; ScratchSize: 0
; MemoryBound: 0
; FloatMode: 240
; IeeeMode: 1
; LDSByteSize: 0 bytes/workgroup (compile time only)
; SGPRBlocks: 0
; VGPRBlocks: 0
; NumSGPRsForWavesPerEU: 1
; NumVGPRsForWavesPerEU: 1
; Occupancy: 16
; WaveLimiterHint : 0
; COMPUTE_PGM_RSRC2:SCRATCH_EN: 0
; COMPUTE_PGM_RSRC2:USER_SGPR: 6
; COMPUTE_PGM_RSRC2:TRAP_HANDLER: 0
; COMPUTE_PGM_RSRC2:TGID_X_EN: 1
; COMPUTE_PGM_RSRC2:TGID_Y_EN: 0
; COMPUTE_PGM_RSRC2:TGID_Z_EN: 0
; COMPUTE_PGM_RSRC2:TIDIG_COMP_CNT: 0
	.section	.text._ZN7rocprim17ROCPRIM_400000_NS6detail17trampoline_kernelINS0_14default_configENS1_36segmented_radix_sort_config_selectorIblEEZNS1_25segmented_radix_sort_implIS3_Lb0EPKbPbPKlPlN2at6native12_GLOBAL__N_18offset_tEEE10hipError_tPvRmT1_PNSt15iterator_traitsISK_E10value_typeET2_T3_PNSL_ISQ_E10value_typeET4_jRbjT5_SW_jjP12ihipStream_tbEUlT_E0_NS1_11comp_targetILNS1_3genE10ELNS1_11target_archE1201ELNS1_3gpuE5ELNS1_3repE0EEENS1_60segmented_radix_sort_warp_sort_medium_config_static_selectorELNS0_4arch9wavefront6targetE0EEEvSK_,"axG",@progbits,_ZN7rocprim17ROCPRIM_400000_NS6detail17trampoline_kernelINS0_14default_configENS1_36segmented_radix_sort_config_selectorIblEEZNS1_25segmented_radix_sort_implIS3_Lb0EPKbPbPKlPlN2at6native12_GLOBAL__N_18offset_tEEE10hipError_tPvRmT1_PNSt15iterator_traitsISK_E10value_typeET2_T3_PNSL_ISQ_E10value_typeET4_jRbjT5_SW_jjP12ihipStream_tbEUlT_E0_NS1_11comp_targetILNS1_3genE10ELNS1_11target_archE1201ELNS1_3gpuE5ELNS1_3repE0EEENS1_60segmented_radix_sort_warp_sort_medium_config_static_selectorELNS0_4arch9wavefront6targetE0EEEvSK_,comdat
	.globl	_ZN7rocprim17ROCPRIM_400000_NS6detail17trampoline_kernelINS0_14default_configENS1_36segmented_radix_sort_config_selectorIblEEZNS1_25segmented_radix_sort_implIS3_Lb0EPKbPbPKlPlN2at6native12_GLOBAL__N_18offset_tEEE10hipError_tPvRmT1_PNSt15iterator_traitsISK_E10value_typeET2_T3_PNSL_ISQ_E10value_typeET4_jRbjT5_SW_jjP12ihipStream_tbEUlT_E0_NS1_11comp_targetILNS1_3genE10ELNS1_11target_archE1201ELNS1_3gpuE5ELNS1_3repE0EEENS1_60segmented_radix_sort_warp_sort_medium_config_static_selectorELNS0_4arch9wavefront6targetE0EEEvSK_ ; -- Begin function _ZN7rocprim17ROCPRIM_400000_NS6detail17trampoline_kernelINS0_14default_configENS1_36segmented_radix_sort_config_selectorIblEEZNS1_25segmented_radix_sort_implIS3_Lb0EPKbPbPKlPlN2at6native12_GLOBAL__N_18offset_tEEE10hipError_tPvRmT1_PNSt15iterator_traitsISK_E10value_typeET2_T3_PNSL_ISQ_E10value_typeET4_jRbjT5_SW_jjP12ihipStream_tbEUlT_E0_NS1_11comp_targetILNS1_3genE10ELNS1_11target_archE1201ELNS1_3gpuE5ELNS1_3repE0EEENS1_60segmented_radix_sort_warp_sort_medium_config_static_selectorELNS0_4arch9wavefront6targetE0EEEvSK_
	.p2align	8
	.type	_ZN7rocprim17ROCPRIM_400000_NS6detail17trampoline_kernelINS0_14default_configENS1_36segmented_radix_sort_config_selectorIblEEZNS1_25segmented_radix_sort_implIS3_Lb0EPKbPbPKlPlN2at6native12_GLOBAL__N_18offset_tEEE10hipError_tPvRmT1_PNSt15iterator_traitsISK_E10value_typeET2_T3_PNSL_ISQ_E10value_typeET4_jRbjT5_SW_jjP12ihipStream_tbEUlT_E0_NS1_11comp_targetILNS1_3genE10ELNS1_11target_archE1201ELNS1_3gpuE5ELNS1_3repE0EEENS1_60segmented_radix_sort_warp_sort_medium_config_static_selectorELNS0_4arch9wavefront6targetE0EEEvSK_,@function
_ZN7rocprim17ROCPRIM_400000_NS6detail17trampoline_kernelINS0_14default_configENS1_36segmented_radix_sort_config_selectorIblEEZNS1_25segmented_radix_sort_implIS3_Lb0EPKbPbPKlPlN2at6native12_GLOBAL__N_18offset_tEEE10hipError_tPvRmT1_PNSt15iterator_traitsISK_E10value_typeET2_T3_PNSL_ISQ_E10value_typeET4_jRbjT5_SW_jjP12ihipStream_tbEUlT_E0_NS1_11comp_targetILNS1_3genE10ELNS1_11target_archE1201ELNS1_3gpuE5ELNS1_3repE0EEENS1_60segmented_radix_sort_warp_sort_medium_config_static_selectorELNS0_4arch9wavefront6targetE0EEEvSK_: ; @_ZN7rocprim17ROCPRIM_400000_NS6detail17trampoline_kernelINS0_14default_configENS1_36segmented_radix_sort_config_selectorIblEEZNS1_25segmented_radix_sort_implIS3_Lb0EPKbPbPKlPlN2at6native12_GLOBAL__N_18offset_tEEE10hipError_tPvRmT1_PNSt15iterator_traitsISK_E10value_typeET2_T3_PNSL_ISQ_E10value_typeET4_jRbjT5_SW_jjP12ihipStream_tbEUlT_E0_NS1_11comp_targetILNS1_3genE10ELNS1_11target_archE1201ELNS1_3gpuE5ELNS1_3repE0EEENS1_60segmented_radix_sort_warp_sort_medium_config_static_selectorELNS0_4arch9wavefront6targetE0EEEvSK_
; %bb.0:
	.section	.rodata,"a",@progbits
	.p2align	6, 0x0
	.amdhsa_kernel _ZN7rocprim17ROCPRIM_400000_NS6detail17trampoline_kernelINS0_14default_configENS1_36segmented_radix_sort_config_selectorIblEEZNS1_25segmented_radix_sort_implIS3_Lb0EPKbPbPKlPlN2at6native12_GLOBAL__N_18offset_tEEE10hipError_tPvRmT1_PNSt15iterator_traitsISK_E10value_typeET2_T3_PNSL_ISQ_E10value_typeET4_jRbjT5_SW_jjP12ihipStream_tbEUlT_E0_NS1_11comp_targetILNS1_3genE10ELNS1_11target_archE1201ELNS1_3gpuE5ELNS1_3repE0EEENS1_60segmented_radix_sort_warp_sort_medium_config_static_selectorELNS0_4arch9wavefront6targetE0EEEvSK_
		.amdhsa_group_segment_fixed_size 0
		.amdhsa_private_segment_fixed_size 0
		.amdhsa_kernarg_size 88
		.amdhsa_user_sgpr_count 6
		.amdhsa_user_sgpr_private_segment_buffer 1
		.amdhsa_user_sgpr_dispatch_ptr 0
		.amdhsa_user_sgpr_queue_ptr 0
		.amdhsa_user_sgpr_kernarg_segment_ptr 1
		.amdhsa_user_sgpr_dispatch_id 0
		.amdhsa_user_sgpr_flat_scratch_init 0
		.amdhsa_user_sgpr_private_segment_size 0
		.amdhsa_wavefront_size32 1
		.amdhsa_uses_dynamic_stack 0
		.amdhsa_system_sgpr_private_segment_wavefront_offset 0
		.amdhsa_system_sgpr_workgroup_id_x 1
		.amdhsa_system_sgpr_workgroup_id_y 0
		.amdhsa_system_sgpr_workgroup_id_z 0
		.amdhsa_system_sgpr_workgroup_info 0
		.amdhsa_system_vgpr_workitem_id 0
		.amdhsa_next_free_vgpr 1
		.amdhsa_next_free_sgpr 1
		.amdhsa_reserve_vcc 0
		.amdhsa_reserve_flat_scratch 0
		.amdhsa_float_round_mode_32 0
		.amdhsa_float_round_mode_16_64 0
		.amdhsa_float_denorm_mode_32 3
		.amdhsa_float_denorm_mode_16_64 3
		.amdhsa_dx10_clamp 1
		.amdhsa_ieee_mode 1
		.amdhsa_fp16_overflow 0
		.amdhsa_workgroup_processor_mode 1
		.amdhsa_memory_ordered 1
		.amdhsa_forward_progress 1
		.amdhsa_shared_vgpr_count 0
		.amdhsa_exception_fp_ieee_invalid_op 0
		.amdhsa_exception_fp_denorm_src 0
		.amdhsa_exception_fp_ieee_div_zero 0
		.amdhsa_exception_fp_ieee_overflow 0
		.amdhsa_exception_fp_ieee_underflow 0
		.amdhsa_exception_fp_ieee_inexact 0
		.amdhsa_exception_int_div_zero 0
	.end_amdhsa_kernel
	.section	.text._ZN7rocprim17ROCPRIM_400000_NS6detail17trampoline_kernelINS0_14default_configENS1_36segmented_radix_sort_config_selectorIblEEZNS1_25segmented_radix_sort_implIS3_Lb0EPKbPbPKlPlN2at6native12_GLOBAL__N_18offset_tEEE10hipError_tPvRmT1_PNSt15iterator_traitsISK_E10value_typeET2_T3_PNSL_ISQ_E10value_typeET4_jRbjT5_SW_jjP12ihipStream_tbEUlT_E0_NS1_11comp_targetILNS1_3genE10ELNS1_11target_archE1201ELNS1_3gpuE5ELNS1_3repE0EEENS1_60segmented_radix_sort_warp_sort_medium_config_static_selectorELNS0_4arch9wavefront6targetE0EEEvSK_,"axG",@progbits,_ZN7rocprim17ROCPRIM_400000_NS6detail17trampoline_kernelINS0_14default_configENS1_36segmented_radix_sort_config_selectorIblEEZNS1_25segmented_radix_sort_implIS3_Lb0EPKbPbPKlPlN2at6native12_GLOBAL__N_18offset_tEEE10hipError_tPvRmT1_PNSt15iterator_traitsISK_E10value_typeET2_T3_PNSL_ISQ_E10value_typeET4_jRbjT5_SW_jjP12ihipStream_tbEUlT_E0_NS1_11comp_targetILNS1_3genE10ELNS1_11target_archE1201ELNS1_3gpuE5ELNS1_3repE0EEENS1_60segmented_radix_sort_warp_sort_medium_config_static_selectorELNS0_4arch9wavefront6targetE0EEEvSK_,comdat
.Lfunc_end1641:
	.size	_ZN7rocprim17ROCPRIM_400000_NS6detail17trampoline_kernelINS0_14default_configENS1_36segmented_radix_sort_config_selectorIblEEZNS1_25segmented_radix_sort_implIS3_Lb0EPKbPbPKlPlN2at6native12_GLOBAL__N_18offset_tEEE10hipError_tPvRmT1_PNSt15iterator_traitsISK_E10value_typeET2_T3_PNSL_ISQ_E10value_typeET4_jRbjT5_SW_jjP12ihipStream_tbEUlT_E0_NS1_11comp_targetILNS1_3genE10ELNS1_11target_archE1201ELNS1_3gpuE5ELNS1_3repE0EEENS1_60segmented_radix_sort_warp_sort_medium_config_static_selectorELNS0_4arch9wavefront6targetE0EEEvSK_, .Lfunc_end1641-_ZN7rocprim17ROCPRIM_400000_NS6detail17trampoline_kernelINS0_14default_configENS1_36segmented_radix_sort_config_selectorIblEEZNS1_25segmented_radix_sort_implIS3_Lb0EPKbPbPKlPlN2at6native12_GLOBAL__N_18offset_tEEE10hipError_tPvRmT1_PNSt15iterator_traitsISK_E10value_typeET2_T3_PNSL_ISQ_E10value_typeET4_jRbjT5_SW_jjP12ihipStream_tbEUlT_E0_NS1_11comp_targetILNS1_3genE10ELNS1_11target_archE1201ELNS1_3gpuE5ELNS1_3repE0EEENS1_60segmented_radix_sort_warp_sort_medium_config_static_selectorELNS0_4arch9wavefront6targetE0EEEvSK_
                                        ; -- End function
	.set _ZN7rocprim17ROCPRIM_400000_NS6detail17trampoline_kernelINS0_14default_configENS1_36segmented_radix_sort_config_selectorIblEEZNS1_25segmented_radix_sort_implIS3_Lb0EPKbPbPKlPlN2at6native12_GLOBAL__N_18offset_tEEE10hipError_tPvRmT1_PNSt15iterator_traitsISK_E10value_typeET2_T3_PNSL_ISQ_E10value_typeET4_jRbjT5_SW_jjP12ihipStream_tbEUlT_E0_NS1_11comp_targetILNS1_3genE10ELNS1_11target_archE1201ELNS1_3gpuE5ELNS1_3repE0EEENS1_60segmented_radix_sort_warp_sort_medium_config_static_selectorELNS0_4arch9wavefront6targetE0EEEvSK_.num_vgpr, 0
	.set _ZN7rocprim17ROCPRIM_400000_NS6detail17trampoline_kernelINS0_14default_configENS1_36segmented_radix_sort_config_selectorIblEEZNS1_25segmented_radix_sort_implIS3_Lb0EPKbPbPKlPlN2at6native12_GLOBAL__N_18offset_tEEE10hipError_tPvRmT1_PNSt15iterator_traitsISK_E10value_typeET2_T3_PNSL_ISQ_E10value_typeET4_jRbjT5_SW_jjP12ihipStream_tbEUlT_E0_NS1_11comp_targetILNS1_3genE10ELNS1_11target_archE1201ELNS1_3gpuE5ELNS1_3repE0EEENS1_60segmented_radix_sort_warp_sort_medium_config_static_selectorELNS0_4arch9wavefront6targetE0EEEvSK_.num_agpr, 0
	.set _ZN7rocprim17ROCPRIM_400000_NS6detail17trampoline_kernelINS0_14default_configENS1_36segmented_radix_sort_config_selectorIblEEZNS1_25segmented_radix_sort_implIS3_Lb0EPKbPbPKlPlN2at6native12_GLOBAL__N_18offset_tEEE10hipError_tPvRmT1_PNSt15iterator_traitsISK_E10value_typeET2_T3_PNSL_ISQ_E10value_typeET4_jRbjT5_SW_jjP12ihipStream_tbEUlT_E0_NS1_11comp_targetILNS1_3genE10ELNS1_11target_archE1201ELNS1_3gpuE5ELNS1_3repE0EEENS1_60segmented_radix_sort_warp_sort_medium_config_static_selectorELNS0_4arch9wavefront6targetE0EEEvSK_.numbered_sgpr, 0
	.set _ZN7rocprim17ROCPRIM_400000_NS6detail17trampoline_kernelINS0_14default_configENS1_36segmented_radix_sort_config_selectorIblEEZNS1_25segmented_radix_sort_implIS3_Lb0EPKbPbPKlPlN2at6native12_GLOBAL__N_18offset_tEEE10hipError_tPvRmT1_PNSt15iterator_traitsISK_E10value_typeET2_T3_PNSL_ISQ_E10value_typeET4_jRbjT5_SW_jjP12ihipStream_tbEUlT_E0_NS1_11comp_targetILNS1_3genE10ELNS1_11target_archE1201ELNS1_3gpuE5ELNS1_3repE0EEENS1_60segmented_radix_sort_warp_sort_medium_config_static_selectorELNS0_4arch9wavefront6targetE0EEEvSK_.num_named_barrier, 0
	.set _ZN7rocprim17ROCPRIM_400000_NS6detail17trampoline_kernelINS0_14default_configENS1_36segmented_radix_sort_config_selectorIblEEZNS1_25segmented_radix_sort_implIS3_Lb0EPKbPbPKlPlN2at6native12_GLOBAL__N_18offset_tEEE10hipError_tPvRmT1_PNSt15iterator_traitsISK_E10value_typeET2_T3_PNSL_ISQ_E10value_typeET4_jRbjT5_SW_jjP12ihipStream_tbEUlT_E0_NS1_11comp_targetILNS1_3genE10ELNS1_11target_archE1201ELNS1_3gpuE5ELNS1_3repE0EEENS1_60segmented_radix_sort_warp_sort_medium_config_static_selectorELNS0_4arch9wavefront6targetE0EEEvSK_.private_seg_size, 0
	.set _ZN7rocprim17ROCPRIM_400000_NS6detail17trampoline_kernelINS0_14default_configENS1_36segmented_radix_sort_config_selectorIblEEZNS1_25segmented_radix_sort_implIS3_Lb0EPKbPbPKlPlN2at6native12_GLOBAL__N_18offset_tEEE10hipError_tPvRmT1_PNSt15iterator_traitsISK_E10value_typeET2_T3_PNSL_ISQ_E10value_typeET4_jRbjT5_SW_jjP12ihipStream_tbEUlT_E0_NS1_11comp_targetILNS1_3genE10ELNS1_11target_archE1201ELNS1_3gpuE5ELNS1_3repE0EEENS1_60segmented_radix_sort_warp_sort_medium_config_static_selectorELNS0_4arch9wavefront6targetE0EEEvSK_.uses_vcc, 0
	.set _ZN7rocprim17ROCPRIM_400000_NS6detail17trampoline_kernelINS0_14default_configENS1_36segmented_radix_sort_config_selectorIblEEZNS1_25segmented_radix_sort_implIS3_Lb0EPKbPbPKlPlN2at6native12_GLOBAL__N_18offset_tEEE10hipError_tPvRmT1_PNSt15iterator_traitsISK_E10value_typeET2_T3_PNSL_ISQ_E10value_typeET4_jRbjT5_SW_jjP12ihipStream_tbEUlT_E0_NS1_11comp_targetILNS1_3genE10ELNS1_11target_archE1201ELNS1_3gpuE5ELNS1_3repE0EEENS1_60segmented_radix_sort_warp_sort_medium_config_static_selectorELNS0_4arch9wavefront6targetE0EEEvSK_.uses_flat_scratch, 0
	.set _ZN7rocprim17ROCPRIM_400000_NS6detail17trampoline_kernelINS0_14default_configENS1_36segmented_radix_sort_config_selectorIblEEZNS1_25segmented_radix_sort_implIS3_Lb0EPKbPbPKlPlN2at6native12_GLOBAL__N_18offset_tEEE10hipError_tPvRmT1_PNSt15iterator_traitsISK_E10value_typeET2_T3_PNSL_ISQ_E10value_typeET4_jRbjT5_SW_jjP12ihipStream_tbEUlT_E0_NS1_11comp_targetILNS1_3genE10ELNS1_11target_archE1201ELNS1_3gpuE5ELNS1_3repE0EEENS1_60segmented_radix_sort_warp_sort_medium_config_static_selectorELNS0_4arch9wavefront6targetE0EEEvSK_.has_dyn_sized_stack, 0
	.set _ZN7rocprim17ROCPRIM_400000_NS6detail17trampoline_kernelINS0_14default_configENS1_36segmented_radix_sort_config_selectorIblEEZNS1_25segmented_radix_sort_implIS3_Lb0EPKbPbPKlPlN2at6native12_GLOBAL__N_18offset_tEEE10hipError_tPvRmT1_PNSt15iterator_traitsISK_E10value_typeET2_T3_PNSL_ISQ_E10value_typeET4_jRbjT5_SW_jjP12ihipStream_tbEUlT_E0_NS1_11comp_targetILNS1_3genE10ELNS1_11target_archE1201ELNS1_3gpuE5ELNS1_3repE0EEENS1_60segmented_radix_sort_warp_sort_medium_config_static_selectorELNS0_4arch9wavefront6targetE0EEEvSK_.has_recursion, 0
	.set _ZN7rocprim17ROCPRIM_400000_NS6detail17trampoline_kernelINS0_14default_configENS1_36segmented_radix_sort_config_selectorIblEEZNS1_25segmented_radix_sort_implIS3_Lb0EPKbPbPKlPlN2at6native12_GLOBAL__N_18offset_tEEE10hipError_tPvRmT1_PNSt15iterator_traitsISK_E10value_typeET2_T3_PNSL_ISQ_E10value_typeET4_jRbjT5_SW_jjP12ihipStream_tbEUlT_E0_NS1_11comp_targetILNS1_3genE10ELNS1_11target_archE1201ELNS1_3gpuE5ELNS1_3repE0EEENS1_60segmented_radix_sort_warp_sort_medium_config_static_selectorELNS0_4arch9wavefront6targetE0EEEvSK_.has_indirect_call, 0
	.section	.AMDGPU.csdata,"",@progbits
; Kernel info:
; codeLenInByte = 0
; TotalNumSgprs: 0
; NumVgprs: 0
; ScratchSize: 0
; MemoryBound: 0
; FloatMode: 240
; IeeeMode: 1
; LDSByteSize: 0 bytes/workgroup (compile time only)
; SGPRBlocks: 0
; VGPRBlocks: 0
; NumSGPRsForWavesPerEU: 1
; NumVGPRsForWavesPerEU: 1
; Occupancy: 16
; WaveLimiterHint : 0
; COMPUTE_PGM_RSRC2:SCRATCH_EN: 0
; COMPUTE_PGM_RSRC2:USER_SGPR: 6
; COMPUTE_PGM_RSRC2:TRAP_HANDLER: 0
; COMPUTE_PGM_RSRC2:TGID_X_EN: 1
; COMPUTE_PGM_RSRC2:TGID_Y_EN: 0
; COMPUTE_PGM_RSRC2:TGID_Z_EN: 0
; COMPUTE_PGM_RSRC2:TIDIG_COMP_CNT: 0
	.section	.text._ZN7rocprim17ROCPRIM_400000_NS6detail17trampoline_kernelINS0_14default_configENS1_36segmented_radix_sort_config_selectorIblEEZNS1_25segmented_radix_sort_implIS3_Lb0EPKbPbPKlPlN2at6native12_GLOBAL__N_18offset_tEEE10hipError_tPvRmT1_PNSt15iterator_traitsISK_E10value_typeET2_T3_PNSL_ISQ_E10value_typeET4_jRbjT5_SW_jjP12ihipStream_tbEUlT_E0_NS1_11comp_targetILNS1_3genE10ELNS1_11target_archE1200ELNS1_3gpuE4ELNS1_3repE0EEENS1_60segmented_radix_sort_warp_sort_medium_config_static_selectorELNS0_4arch9wavefront6targetE0EEEvSK_,"axG",@progbits,_ZN7rocprim17ROCPRIM_400000_NS6detail17trampoline_kernelINS0_14default_configENS1_36segmented_radix_sort_config_selectorIblEEZNS1_25segmented_radix_sort_implIS3_Lb0EPKbPbPKlPlN2at6native12_GLOBAL__N_18offset_tEEE10hipError_tPvRmT1_PNSt15iterator_traitsISK_E10value_typeET2_T3_PNSL_ISQ_E10value_typeET4_jRbjT5_SW_jjP12ihipStream_tbEUlT_E0_NS1_11comp_targetILNS1_3genE10ELNS1_11target_archE1200ELNS1_3gpuE4ELNS1_3repE0EEENS1_60segmented_radix_sort_warp_sort_medium_config_static_selectorELNS0_4arch9wavefront6targetE0EEEvSK_,comdat
	.globl	_ZN7rocprim17ROCPRIM_400000_NS6detail17trampoline_kernelINS0_14default_configENS1_36segmented_radix_sort_config_selectorIblEEZNS1_25segmented_radix_sort_implIS3_Lb0EPKbPbPKlPlN2at6native12_GLOBAL__N_18offset_tEEE10hipError_tPvRmT1_PNSt15iterator_traitsISK_E10value_typeET2_T3_PNSL_ISQ_E10value_typeET4_jRbjT5_SW_jjP12ihipStream_tbEUlT_E0_NS1_11comp_targetILNS1_3genE10ELNS1_11target_archE1200ELNS1_3gpuE4ELNS1_3repE0EEENS1_60segmented_radix_sort_warp_sort_medium_config_static_selectorELNS0_4arch9wavefront6targetE0EEEvSK_ ; -- Begin function _ZN7rocprim17ROCPRIM_400000_NS6detail17trampoline_kernelINS0_14default_configENS1_36segmented_radix_sort_config_selectorIblEEZNS1_25segmented_radix_sort_implIS3_Lb0EPKbPbPKlPlN2at6native12_GLOBAL__N_18offset_tEEE10hipError_tPvRmT1_PNSt15iterator_traitsISK_E10value_typeET2_T3_PNSL_ISQ_E10value_typeET4_jRbjT5_SW_jjP12ihipStream_tbEUlT_E0_NS1_11comp_targetILNS1_3genE10ELNS1_11target_archE1200ELNS1_3gpuE4ELNS1_3repE0EEENS1_60segmented_radix_sort_warp_sort_medium_config_static_selectorELNS0_4arch9wavefront6targetE0EEEvSK_
	.p2align	8
	.type	_ZN7rocprim17ROCPRIM_400000_NS6detail17trampoline_kernelINS0_14default_configENS1_36segmented_radix_sort_config_selectorIblEEZNS1_25segmented_radix_sort_implIS3_Lb0EPKbPbPKlPlN2at6native12_GLOBAL__N_18offset_tEEE10hipError_tPvRmT1_PNSt15iterator_traitsISK_E10value_typeET2_T3_PNSL_ISQ_E10value_typeET4_jRbjT5_SW_jjP12ihipStream_tbEUlT_E0_NS1_11comp_targetILNS1_3genE10ELNS1_11target_archE1200ELNS1_3gpuE4ELNS1_3repE0EEENS1_60segmented_radix_sort_warp_sort_medium_config_static_selectorELNS0_4arch9wavefront6targetE0EEEvSK_,@function
_ZN7rocprim17ROCPRIM_400000_NS6detail17trampoline_kernelINS0_14default_configENS1_36segmented_radix_sort_config_selectorIblEEZNS1_25segmented_radix_sort_implIS3_Lb0EPKbPbPKlPlN2at6native12_GLOBAL__N_18offset_tEEE10hipError_tPvRmT1_PNSt15iterator_traitsISK_E10value_typeET2_T3_PNSL_ISQ_E10value_typeET4_jRbjT5_SW_jjP12ihipStream_tbEUlT_E0_NS1_11comp_targetILNS1_3genE10ELNS1_11target_archE1200ELNS1_3gpuE4ELNS1_3repE0EEENS1_60segmented_radix_sort_warp_sort_medium_config_static_selectorELNS0_4arch9wavefront6targetE0EEEvSK_: ; @_ZN7rocprim17ROCPRIM_400000_NS6detail17trampoline_kernelINS0_14default_configENS1_36segmented_radix_sort_config_selectorIblEEZNS1_25segmented_radix_sort_implIS3_Lb0EPKbPbPKlPlN2at6native12_GLOBAL__N_18offset_tEEE10hipError_tPvRmT1_PNSt15iterator_traitsISK_E10value_typeET2_T3_PNSL_ISQ_E10value_typeET4_jRbjT5_SW_jjP12ihipStream_tbEUlT_E0_NS1_11comp_targetILNS1_3genE10ELNS1_11target_archE1200ELNS1_3gpuE4ELNS1_3repE0EEENS1_60segmented_radix_sort_warp_sort_medium_config_static_selectorELNS0_4arch9wavefront6targetE0EEEvSK_
; %bb.0:
	.section	.rodata,"a",@progbits
	.p2align	6, 0x0
	.amdhsa_kernel _ZN7rocprim17ROCPRIM_400000_NS6detail17trampoline_kernelINS0_14default_configENS1_36segmented_radix_sort_config_selectorIblEEZNS1_25segmented_radix_sort_implIS3_Lb0EPKbPbPKlPlN2at6native12_GLOBAL__N_18offset_tEEE10hipError_tPvRmT1_PNSt15iterator_traitsISK_E10value_typeET2_T3_PNSL_ISQ_E10value_typeET4_jRbjT5_SW_jjP12ihipStream_tbEUlT_E0_NS1_11comp_targetILNS1_3genE10ELNS1_11target_archE1200ELNS1_3gpuE4ELNS1_3repE0EEENS1_60segmented_radix_sort_warp_sort_medium_config_static_selectorELNS0_4arch9wavefront6targetE0EEEvSK_
		.amdhsa_group_segment_fixed_size 0
		.amdhsa_private_segment_fixed_size 0
		.amdhsa_kernarg_size 88
		.amdhsa_user_sgpr_count 6
		.amdhsa_user_sgpr_private_segment_buffer 1
		.amdhsa_user_sgpr_dispatch_ptr 0
		.amdhsa_user_sgpr_queue_ptr 0
		.amdhsa_user_sgpr_kernarg_segment_ptr 1
		.amdhsa_user_sgpr_dispatch_id 0
		.amdhsa_user_sgpr_flat_scratch_init 0
		.amdhsa_user_sgpr_private_segment_size 0
		.amdhsa_wavefront_size32 1
		.amdhsa_uses_dynamic_stack 0
		.amdhsa_system_sgpr_private_segment_wavefront_offset 0
		.amdhsa_system_sgpr_workgroup_id_x 1
		.amdhsa_system_sgpr_workgroup_id_y 0
		.amdhsa_system_sgpr_workgroup_id_z 0
		.amdhsa_system_sgpr_workgroup_info 0
		.amdhsa_system_vgpr_workitem_id 0
		.amdhsa_next_free_vgpr 1
		.amdhsa_next_free_sgpr 1
		.amdhsa_reserve_vcc 0
		.amdhsa_reserve_flat_scratch 0
		.amdhsa_float_round_mode_32 0
		.amdhsa_float_round_mode_16_64 0
		.amdhsa_float_denorm_mode_32 3
		.amdhsa_float_denorm_mode_16_64 3
		.amdhsa_dx10_clamp 1
		.amdhsa_ieee_mode 1
		.amdhsa_fp16_overflow 0
		.amdhsa_workgroup_processor_mode 1
		.amdhsa_memory_ordered 1
		.amdhsa_forward_progress 1
		.amdhsa_shared_vgpr_count 0
		.amdhsa_exception_fp_ieee_invalid_op 0
		.amdhsa_exception_fp_denorm_src 0
		.amdhsa_exception_fp_ieee_div_zero 0
		.amdhsa_exception_fp_ieee_overflow 0
		.amdhsa_exception_fp_ieee_underflow 0
		.amdhsa_exception_fp_ieee_inexact 0
		.amdhsa_exception_int_div_zero 0
	.end_amdhsa_kernel
	.section	.text._ZN7rocprim17ROCPRIM_400000_NS6detail17trampoline_kernelINS0_14default_configENS1_36segmented_radix_sort_config_selectorIblEEZNS1_25segmented_radix_sort_implIS3_Lb0EPKbPbPKlPlN2at6native12_GLOBAL__N_18offset_tEEE10hipError_tPvRmT1_PNSt15iterator_traitsISK_E10value_typeET2_T3_PNSL_ISQ_E10value_typeET4_jRbjT5_SW_jjP12ihipStream_tbEUlT_E0_NS1_11comp_targetILNS1_3genE10ELNS1_11target_archE1200ELNS1_3gpuE4ELNS1_3repE0EEENS1_60segmented_radix_sort_warp_sort_medium_config_static_selectorELNS0_4arch9wavefront6targetE0EEEvSK_,"axG",@progbits,_ZN7rocprim17ROCPRIM_400000_NS6detail17trampoline_kernelINS0_14default_configENS1_36segmented_radix_sort_config_selectorIblEEZNS1_25segmented_radix_sort_implIS3_Lb0EPKbPbPKlPlN2at6native12_GLOBAL__N_18offset_tEEE10hipError_tPvRmT1_PNSt15iterator_traitsISK_E10value_typeET2_T3_PNSL_ISQ_E10value_typeET4_jRbjT5_SW_jjP12ihipStream_tbEUlT_E0_NS1_11comp_targetILNS1_3genE10ELNS1_11target_archE1200ELNS1_3gpuE4ELNS1_3repE0EEENS1_60segmented_radix_sort_warp_sort_medium_config_static_selectorELNS0_4arch9wavefront6targetE0EEEvSK_,comdat
.Lfunc_end1642:
	.size	_ZN7rocprim17ROCPRIM_400000_NS6detail17trampoline_kernelINS0_14default_configENS1_36segmented_radix_sort_config_selectorIblEEZNS1_25segmented_radix_sort_implIS3_Lb0EPKbPbPKlPlN2at6native12_GLOBAL__N_18offset_tEEE10hipError_tPvRmT1_PNSt15iterator_traitsISK_E10value_typeET2_T3_PNSL_ISQ_E10value_typeET4_jRbjT5_SW_jjP12ihipStream_tbEUlT_E0_NS1_11comp_targetILNS1_3genE10ELNS1_11target_archE1200ELNS1_3gpuE4ELNS1_3repE0EEENS1_60segmented_radix_sort_warp_sort_medium_config_static_selectorELNS0_4arch9wavefront6targetE0EEEvSK_, .Lfunc_end1642-_ZN7rocprim17ROCPRIM_400000_NS6detail17trampoline_kernelINS0_14default_configENS1_36segmented_radix_sort_config_selectorIblEEZNS1_25segmented_radix_sort_implIS3_Lb0EPKbPbPKlPlN2at6native12_GLOBAL__N_18offset_tEEE10hipError_tPvRmT1_PNSt15iterator_traitsISK_E10value_typeET2_T3_PNSL_ISQ_E10value_typeET4_jRbjT5_SW_jjP12ihipStream_tbEUlT_E0_NS1_11comp_targetILNS1_3genE10ELNS1_11target_archE1200ELNS1_3gpuE4ELNS1_3repE0EEENS1_60segmented_radix_sort_warp_sort_medium_config_static_selectorELNS0_4arch9wavefront6targetE0EEEvSK_
                                        ; -- End function
	.set _ZN7rocprim17ROCPRIM_400000_NS6detail17trampoline_kernelINS0_14default_configENS1_36segmented_radix_sort_config_selectorIblEEZNS1_25segmented_radix_sort_implIS3_Lb0EPKbPbPKlPlN2at6native12_GLOBAL__N_18offset_tEEE10hipError_tPvRmT1_PNSt15iterator_traitsISK_E10value_typeET2_T3_PNSL_ISQ_E10value_typeET4_jRbjT5_SW_jjP12ihipStream_tbEUlT_E0_NS1_11comp_targetILNS1_3genE10ELNS1_11target_archE1200ELNS1_3gpuE4ELNS1_3repE0EEENS1_60segmented_radix_sort_warp_sort_medium_config_static_selectorELNS0_4arch9wavefront6targetE0EEEvSK_.num_vgpr, 0
	.set _ZN7rocprim17ROCPRIM_400000_NS6detail17trampoline_kernelINS0_14default_configENS1_36segmented_radix_sort_config_selectorIblEEZNS1_25segmented_radix_sort_implIS3_Lb0EPKbPbPKlPlN2at6native12_GLOBAL__N_18offset_tEEE10hipError_tPvRmT1_PNSt15iterator_traitsISK_E10value_typeET2_T3_PNSL_ISQ_E10value_typeET4_jRbjT5_SW_jjP12ihipStream_tbEUlT_E0_NS1_11comp_targetILNS1_3genE10ELNS1_11target_archE1200ELNS1_3gpuE4ELNS1_3repE0EEENS1_60segmented_radix_sort_warp_sort_medium_config_static_selectorELNS0_4arch9wavefront6targetE0EEEvSK_.num_agpr, 0
	.set _ZN7rocprim17ROCPRIM_400000_NS6detail17trampoline_kernelINS0_14default_configENS1_36segmented_radix_sort_config_selectorIblEEZNS1_25segmented_radix_sort_implIS3_Lb0EPKbPbPKlPlN2at6native12_GLOBAL__N_18offset_tEEE10hipError_tPvRmT1_PNSt15iterator_traitsISK_E10value_typeET2_T3_PNSL_ISQ_E10value_typeET4_jRbjT5_SW_jjP12ihipStream_tbEUlT_E0_NS1_11comp_targetILNS1_3genE10ELNS1_11target_archE1200ELNS1_3gpuE4ELNS1_3repE0EEENS1_60segmented_radix_sort_warp_sort_medium_config_static_selectorELNS0_4arch9wavefront6targetE0EEEvSK_.numbered_sgpr, 0
	.set _ZN7rocprim17ROCPRIM_400000_NS6detail17trampoline_kernelINS0_14default_configENS1_36segmented_radix_sort_config_selectorIblEEZNS1_25segmented_radix_sort_implIS3_Lb0EPKbPbPKlPlN2at6native12_GLOBAL__N_18offset_tEEE10hipError_tPvRmT1_PNSt15iterator_traitsISK_E10value_typeET2_T3_PNSL_ISQ_E10value_typeET4_jRbjT5_SW_jjP12ihipStream_tbEUlT_E0_NS1_11comp_targetILNS1_3genE10ELNS1_11target_archE1200ELNS1_3gpuE4ELNS1_3repE0EEENS1_60segmented_radix_sort_warp_sort_medium_config_static_selectorELNS0_4arch9wavefront6targetE0EEEvSK_.num_named_barrier, 0
	.set _ZN7rocprim17ROCPRIM_400000_NS6detail17trampoline_kernelINS0_14default_configENS1_36segmented_radix_sort_config_selectorIblEEZNS1_25segmented_radix_sort_implIS3_Lb0EPKbPbPKlPlN2at6native12_GLOBAL__N_18offset_tEEE10hipError_tPvRmT1_PNSt15iterator_traitsISK_E10value_typeET2_T3_PNSL_ISQ_E10value_typeET4_jRbjT5_SW_jjP12ihipStream_tbEUlT_E0_NS1_11comp_targetILNS1_3genE10ELNS1_11target_archE1200ELNS1_3gpuE4ELNS1_3repE0EEENS1_60segmented_radix_sort_warp_sort_medium_config_static_selectorELNS0_4arch9wavefront6targetE0EEEvSK_.private_seg_size, 0
	.set _ZN7rocprim17ROCPRIM_400000_NS6detail17trampoline_kernelINS0_14default_configENS1_36segmented_radix_sort_config_selectorIblEEZNS1_25segmented_radix_sort_implIS3_Lb0EPKbPbPKlPlN2at6native12_GLOBAL__N_18offset_tEEE10hipError_tPvRmT1_PNSt15iterator_traitsISK_E10value_typeET2_T3_PNSL_ISQ_E10value_typeET4_jRbjT5_SW_jjP12ihipStream_tbEUlT_E0_NS1_11comp_targetILNS1_3genE10ELNS1_11target_archE1200ELNS1_3gpuE4ELNS1_3repE0EEENS1_60segmented_radix_sort_warp_sort_medium_config_static_selectorELNS0_4arch9wavefront6targetE0EEEvSK_.uses_vcc, 0
	.set _ZN7rocprim17ROCPRIM_400000_NS6detail17trampoline_kernelINS0_14default_configENS1_36segmented_radix_sort_config_selectorIblEEZNS1_25segmented_radix_sort_implIS3_Lb0EPKbPbPKlPlN2at6native12_GLOBAL__N_18offset_tEEE10hipError_tPvRmT1_PNSt15iterator_traitsISK_E10value_typeET2_T3_PNSL_ISQ_E10value_typeET4_jRbjT5_SW_jjP12ihipStream_tbEUlT_E0_NS1_11comp_targetILNS1_3genE10ELNS1_11target_archE1200ELNS1_3gpuE4ELNS1_3repE0EEENS1_60segmented_radix_sort_warp_sort_medium_config_static_selectorELNS0_4arch9wavefront6targetE0EEEvSK_.uses_flat_scratch, 0
	.set _ZN7rocprim17ROCPRIM_400000_NS6detail17trampoline_kernelINS0_14default_configENS1_36segmented_radix_sort_config_selectorIblEEZNS1_25segmented_radix_sort_implIS3_Lb0EPKbPbPKlPlN2at6native12_GLOBAL__N_18offset_tEEE10hipError_tPvRmT1_PNSt15iterator_traitsISK_E10value_typeET2_T3_PNSL_ISQ_E10value_typeET4_jRbjT5_SW_jjP12ihipStream_tbEUlT_E0_NS1_11comp_targetILNS1_3genE10ELNS1_11target_archE1200ELNS1_3gpuE4ELNS1_3repE0EEENS1_60segmented_radix_sort_warp_sort_medium_config_static_selectorELNS0_4arch9wavefront6targetE0EEEvSK_.has_dyn_sized_stack, 0
	.set _ZN7rocprim17ROCPRIM_400000_NS6detail17trampoline_kernelINS0_14default_configENS1_36segmented_radix_sort_config_selectorIblEEZNS1_25segmented_radix_sort_implIS3_Lb0EPKbPbPKlPlN2at6native12_GLOBAL__N_18offset_tEEE10hipError_tPvRmT1_PNSt15iterator_traitsISK_E10value_typeET2_T3_PNSL_ISQ_E10value_typeET4_jRbjT5_SW_jjP12ihipStream_tbEUlT_E0_NS1_11comp_targetILNS1_3genE10ELNS1_11target_archE1200ELNS1_3gpuE4ELNS1_3repE0EEENS1_60segmented_radix_sort_warp_sort_medium_config_static_selectorELNS0_4arch9wavefront6targetE0EEEvSK_.has_recursion, 0
	.set _ZN7rocprim17ROCPRIM_400000_NS6detail17trampoline_kernelINS0_14default_configENS1_36segmented_radix_sort_config_selectorIblEEZNS1_25segmented_radix_sort_implIS3_Lb0EPKbPbPKlPlN2at6native12_GLOBAL__N_18offset_tEEE10hipError_tPvRmT1_PNSt15iterator_traitsISK_E10value_typeET2_T3_PNSL_ISQ_E10value_typeET4_jRbjT5_SW_jjP12ihipStream_tbEUlT_E0_NS1_11comp_targetILNS1_3genE10ELNS1_11target_archE1200ELNS1_3gpuE4ELNS1_3repE0EEENS1_60segmented_radix_sort_warp_sort_medium_config_static_selectorELNS0_4arch9wavefront6targetE0EEEvSK_.has_indirect_call, 0
	.section	.AMDGPU.csdata,"",@progbits
; Kernel info:
; codeLenInByte = 0
; TotalNumSgprs: 0
; NumVgprs: 0
; ScratchSize: 0
; MemoryBound: 0
; FloatMode: 240
; IeeeMode: 1
; LDSByteSize: 0 bytes/workgroup (compile time only)
; SGPRBlocks: 0
; VGPRBlocks: 0
; NumSGPRsForWavesPerEU: 1
; NumVGPRsForWavesPerEU: 1
; Occupancy: 16
; WaveLimiterHint : 0
; COMPUTE_PGM_RSRC2:SCRATCH_EN: 0
; COMPUTE_PGM_RSRC2:USER_SGPR: 6
; COMPUTE_PGM_RSRC2:TRAP_HANDLER: 0
; COMPUTE_PGM_RSRC2:TGID_X_EN: 1
; COMPUTE_PGM_RSRC2:TGID_Y_EN: 0
; COMPUTE_PGM_RSRC2:TGID_Z_EN: 0
; COMPUTE_PGM_RSRC2:TIDIG_COMP_CNT: 0
	.section	.text._ZN7rocprim17ROCPRIM_400000_NS6detail17trampoline_kernelINS0_14default_configENS1_36segmented_radix_sort_config_selectorIblEEZNS1_25segmented_radix_sort_implIS3_Lb0EPKbPbPKlPlN2at6native12_GLOBAL__N_18offset_tEEE10hipError_tPvRmT1_PNSt15iterator_traitsISK_E10value_typeET2_T3_PNSL_ISQ_E10value_typeET4_jRbjT5_SW_jjP12ihipStream_tbEUlT_E0_NS1_11comp_targetILNS1_3genE9ELNS1_11target_archE1100ELNS1_3gpuE3ELNS1_3repE0EEENS1_60segmented_radix_sort_warp_sort_medium_config_static_selectorELNS0_4arch9wavefront6targetE0EEEvSK_,"axG",@progbits,_ZN7rocprim17ROCPRIM_400000_NS6detail17trampoline_kernelINS0_14default_configENS1_36segmented_radix_sort_config_selectorIblEEZNS1_25segmented_radix_sort_implIS3_Lb0EPKbPbPKlPlN2at6native12_GLOBAL__N_18offset_tEEE10hipError_tPvRmT1_PNSt15iterator_traitsISK_E10value_typeET2_T3_PNSL_ISQ_E10value_typeET4_jRbjT5_SW_jjP12ihipStream_tbEUlT_E0_NS1_11comp_targetILNS1_3genE9ELNS1_11target_archE1100ELNS1_3gpuE3ELNS1_3repE0EEENS1_60segmented_radix_sort_warp_sort_medium_config_static_selectorELNS0_4arch9wavefront6targetE0EEEvSK_,comdat
	.globl	_ZN7rocprim17ROCPRIM_400000_NS6detail17trampoline_kernelINS0_14default_configENS1_36segmented_radix_sort_config_selectorIblEEZNS1_25segmented_radix_sort_implIS3_Lb0EPKbPbPKlPlN2at6native12_GLOBAL__N_18offset_tEEE10hipError_tPvRmT1_PNSt15iterator_traitsISK_E10value_typeET2_T3_PNSL_ISQ_E10value_typeET4_jRbjT5_SW_jjP12ihipStream_tbEUlT_E0_NS1_11comp_targetILNS1_3genE9ELNS1_11target_archE1100ELNS1_3gpuE3ELNS1_3repE0EEENS1_60segmented_radix_sort_warp_sort_medium_config_static_selectorELNS0_4arch9wavefront6targetE0EEEvSK_ ; -- Begin function _ZN7rocprim17ROCPRIM_400000_NS6detail17trampoline_kernelINS0_14default_configENS1_36segmented_radix_sort_config_selectorIblEEZNS1_25segmented_radix_sort_implIS3_Lb0EPKbPbPKlPlN2at6native12_GLOBAL__N_18offset_tEEE10hipError_tPvRmT1_PNSt15iterator_traitsISK_E10value_typeET2_T3_PNSL_ISQ_E10value_typeET4_jRbjT5_SW_jjP12ihipStream_tbEUlT_E0_NS1_11comp_targetILNS1_3genE9ELNS1_11target_archE1100ELNS1_3gpuE3ELNS1_3repE0EEENS1_60segmented_radix_sort_warp_sort_medium_config_static_selectorELNS0_4arch9wavefront6targetE0EEEvSK_
	.p2align	8
	.type	_ZN7rocprim17ROCPRIM_400000_NS6detail17trampoline_kernelINS0_14default_configENS1_36segmented_radix_sort_config_selectorIblEEZNS1_25segmented_radix_sort_implIS3_Lb0EPKbPbPKlPlN2at6native12_GLOBAL__N_18offset_tEEE10hipError_tPvRmT1_PNSt15iterator_traitsISK_E10value_typeET2_T3_PNSL_ISQ_E10value_typeET4_jRbjT5_SW_jjP12ihipStream_tbEUlT_E0_NS1_11comp_targetILNS1_3genE9ELNS1_11target_archE1100ELNS1_3gpuE3ELNS1_3repE0EEENS1_60segmented_radix_sort_warp_sort_medium_config_static_selectorELNS0_4arch9wavefront6targetE0EEEvSK_,@function
_ZN7rocprim17ROCPRIM_400000_NS6detail17trampoline_kernelINS0_14default_configENS1_36segmented_radix_sort_config_selectorIblEEZNS1_25segmented_radix_sort_implIS3_Lb0EPKbPbPKlPlN2at6native12_GLOBAL__N_18offset_tEEE10hipError_tPvRmT1_PNSt15iterator_traitsISK_E10value_typeET2_T3_PNSL_ISQ_E10value_typeET4_jRbjT5_SW_jjP12ihipStream_tbEUlT_E0_NS1_11comp_targetILNS1_3genE9ELNS1_11target_archE1100ELNS1_3gpuE3ELNS1_3repE0EEENS1_60segmented_radix_sort_warp_sort_medium_config_static_selectorELNS0_4arch9wavefront6targetE0EEEvSK_: ; @_ZN7rocprim17ROCPRIM_400000_NS6detail17trampoline_kernelINS0_14default_configENS1_36segmented_radix_sort_config_selectorIblEEZNS1_25segmented_radix_sort_implIS3_Lb0EPKbPbPKlPlN2at6native12_GLOBAL__N_18offset_tEEE10hipError_tPvRmT1_PNSt15iterator_traitsISK_E10value_typeET2_T3_PNSL_ISQ_E10value_typeET4_jRbjT5_SW_jjP12ihipStream_tbEUlT_E0_NS1_11comp_targetILNS1_3genE9ELNS1_11target_archE1100ELNS1_3gpuE3ELNS1_3repE0EEENS1_60segmented_radix_sort_warp_sort_medium_config_static_selectorELNS0_4arch9wavefront6targetE0EEEvSK_
; %bb.0:
	.section	.rodata,"a",@progbits
	.p2align	6, 0x0
	.amdhsa_kernel _ZN7rocprim17ROCPRIM_400000_NS6detail17trampoline_kernelINS0_14default_configENS1_36segmented_radix_sort_config_selectorIblEEZNS1_25segmented_radix_sort_implIS3_Lb0EPKbPbPKlPlN2at6native12_GLOBAL__N_18offset_tEEE10hipError_tPvRmT1_PNSt15iterator_traitsISK_E10value_typeET2_T3_PNSL_ISQ_E10value_typeET4_jRbjT5_SW_jjP12ihipStream_tbEUlT_E0_NS1_11comp_targetILNS1_3genE9ELNS1_11target_archE1100ELNS1_3gpuE3ELNS1_3repE0EEENS1_60segmented_radix_sort_warp_sort_medium_config_static_selectorELNS0_4arch9wavefront6targetE0EEEvSK_
		.amdhsa_group_segment_fixed_size 0
		.amdhsa_private_segment_fixed_size 0
		.amdhsa_kernarg_size 88
		.amdhsa_user_sgpr_count 6
		.amdhsa_user_sgpr_private_segment_buffer 1
		.amdhsa_user_sgpr_dispatch_ptr 0
		.amdhsa_user_sgpr_queue_ptr 0
		.amdhsa_user_sgpr_kernarg_segment_ptr 1
		.amdhsa_user_sgpr_dispatch_id 0
		.amdhsa_user_sgpr_flat_scratch_init 0
		.amdhsa_user_sgpr_private_segment_size 0
		.amdhsa_wavefront_size32 1
		.amdhsa_uses_dynamic_stack 0
		.amdhsa_system_sgpr_private_segment_wavefront_offset 0
		.amdhsa_system_sgpr_workgroup_id_x 1
		.amdhsa_system_sgpr_workgroup_id_y 0
		.amdhsa_system_sgpr_workgroup_id_z 0
		.amdhsa_system_sgpr_workgroup_info 0
		.amdhsa_system_vgpr_workitem_id 0
		.amdhsa_next_free_vgpr 1
		.amdhsa_next_free_sgpr 1
		.amdhsa_reserve_vcc 0
		.amdhsa_reserve_flat_scratch 0
		.amdhsa_float_round_mode_32 0
		.amdhsa_float_round_mode_16_64 0
		.amdhsa_float_denorm_mode_32 3
		.amdhsa_float_denorm_mode_16_64 3
		.amdhsa_dx10_clamp 1
		.amdhsa_ieee_mode 1
		.amdhsa_fp16_overflow 0
		.amdhsa_workgroup_processor_mode 1
		.amdhsa_memory_ordered 1
		.amdhsa_forward_progress 1
		.amdhsa_shared_vgpr_count 0
		.amdhsa_exception_fp_ieee_invalid_op 0
		.amdhsa_exception_fp_denorm_src 0
		.amdhsa_exception_fp_ieee_div_zero 0
		.amdhsa_exception_fp_ieee_overflow 0
		.amdhsa_exception_fp_ieee_underflow 0
		.amdhsa_exception_fp_ieee_inexact 0
		.amdhsa_exception_int_div_zero 0
	.end_amdhsa_kernel
	.section	.text._ZN7rocprim17ROCPRIM_400000_NS6detail17trampoline_kernelINS0_14default_configENS1_36segmented_radix_sort_config_selectorIblEEZNS1_25segmented_radix_sort_implIS3_Lb0EPKbPbPKlPlN2at6native12_GLOBAL__N_18offset_tEEE10hipError_tPvRmT1_PNSt15iterator_traitsISK_E10value_typeET2_T3_PNSL_ISQ_E10value_typeET4_jRbjT5_SW_jjP12ihipStream_tbEUlT_E0_NS1_11comp_targetILNS1_3genE9ELNS1_11target_archE1100ELNS1_3gpuE3ELNS1_3repE0EEENS1_60segmented_radix_sort_warp_sort_medium_config_static_selectorELNS0_4arch9wavefront6targetE0EEEvSK_,"axG",@progbits,_ZN7rocprim17ROCPRIM_400000_NS6detail17trampoline_kernelINS0_14default_configENS1_36segmented_radix_sort_config_selectorIblEEZNS1_25segmented_radix_sort_implIS3_Lb0EPKbPbPKlPlN2at6native12_GLOBAL__N_18offset_tEEE10hipError_tPvRmT1_PNSt15iterator_traitsISK_E10value_typeET2_T3_PNSL_ISQ_E10value_typeET4_jRbjT5_SW_jjP12ihipStream_tbEUlT_E0_NS1_11comp_targetILNS1_3genE9ELNS1_11target_archE1100ELNS1_3gpuE3ELNS1_3repE0EEENS1_60segmented_radix_sort_warp_sort_medium_config_static_selectorELNS0_4arch9wavefront6targetE0EEEvSK_,comdat
.Lfunc_end1643:
	.size	_ZN7rocprim17ROCPRIM_400000_NS6detail17trampoline_kernelINS0_14default_configENS1_36segmented_radix_sort_config_selectorIblEEZNS1_25segmented_radix_sort_implIS3_Lb0EPKbPbPKlPlN2at6native12_GLOBAL__N_18offset_tEEE10hipError_tPvRmT1_PNSt15iterator_traitsISK_E10value_typeET2_T3_PNSL_ISQ_E10value_typeET4_jRbjT5_SW_jjP12ihipStream_tbEUlT_E0_NS1_11comp_targetILNS1_3genE9ELNS1_11target_archE1100ELNS1_3gpuE3ELNS1_3repE0EEENS1_60segmented_radix_sort_warp_sort_medium_config_static_selectorELNS0_4arch9wavefront6targetE0EEEvSK_, .Lfunc_end1643-_ZN7rocprim17ROCPRIM_400000_NS6detail17trampoline_kernelINS0_14default_configENS1_36segmented_radix_sort_config_selectorIblEEZNS1_25segmented_radix_sort_implIS3_Lb0EPKbPbPKlPlN2at6native12_GLOBAL__N_18offset_tEEE10hipError_tPvRmT1_PNSt15iterator_traitsISK_E10value_typeET2_T3_PNSL_ISQ_E10value_typeET4_jRbjT5_SW_jjP12ihipStream_tbEUlT_E0_NS1_11comp_targetILNS1_3genE9ELNS1_11target_archE1100ELNS1_3gpuE3ELNS1_3repE0EEENS1_60segmented_radix_sort_warp_sort_medium_config_static_selectorELNS0_4arch9wavefront6targetE0EEEvSK_
                                        ; -- End function
	.set _ZN7rocprim17ROCPRIM_400000_NS6detail17trampoline_kernelINS0_14default_configENS1_36segmented_radix_sort_config_selectorIblEEZNS1_25segmented_radix_sort_implIS3_Lb0EPKbPbPKlPlN2at6native12_GLOBAL__N_18offset_tEEE10hipError_tPvRmT1_PNSt15iterator_traitsISK_E10value_typeET2_T3_PNSL_ISQ_E10value_typeET4_jRbjT5_SW_jjP12ihipStream_tbEUlT_E0_NS1_11comp_targetILNS1_3genE9ELNS1_11target_archE1100ELNS1_3gpuE3ELNS1_3repE0EEENS1_60segmented_radix_sort_warp_sort_medium_config_static_selectorELNS0_4arch9wavefront6targetE0EEEvSK_.num_vgpr, 0
	.set _ZN7rocprim17ROCPRIM_400000_NS6detail17trampoline_kernelINS0_14default_configENS1_36segmented_radix_sort_config_selectorIblEEZNS1_25segmented_radix_sort_implIS3_Lb0EPKbPbPKlPlN2at6native12_GLOBAL__N_18offset_tEEE10hipError_tPvRmT1_PNSt15iterator_traitsISK_E10value_typeET2_T3_PNSL_ISQ_E10value_typeET4_jRbjT5_SW_jjP12ihipStream_tbEUlT_E0_NS1_11comp_targetILNS1_3genE9ELNS1_11target_archE1100ELNS1_3gpuE3ELNS1_3repE0EEENS1_60segmented_radix_sort_warp_sort_medium_config_static_selectorELNS0_4arch9wavefront6targetE0EEEvSK_.num_agpr, 0
	.set _ZN7rocprim17ROCPRIM_400000_NS6detail17trampoline_kernelINS0_14default_configENS1_36segmented_radix_sort_config_selectorIblEEZNS1_25segmented_radix_sort_implIS3_Lb0EPKbPbPKlPlN2at6native12_GLOBAL__N_18offset_tEEE10hipError_tPvRmT1_PNSt15iterator_traitsISK_E10value_typeET2_T3_PNSL_ISQ_E10value_typeET4_jRbjT5_SW_jjP12ihipStream_tbEUlT_E0_NS1_11comp_targetILNS1_3genE9ELNS1_11target_archE1100ELNS1_3gpuE3ELNS1_3repE0EEENS1_60segmented_radix_sort_warp_sort_medium_config_static_selectorELNS0_4arch9wavefront6targetE0EEEvSK_.numbered_sgpr, 0
	.set _ZN7rocprim17ROCPRIM_400000_NS6detail17trampoline_kernelINS0_14default_configENS1_36segmented_radix_sort_config_selectorIblEEZNS1_25segmented_radix_sort_implIS3_Lb0EPKbPbPKlPlN2at6native12_GLOBAL__N_18offset_tEEE10hipError_tPvRmT1_PNSt15iterator_traitsISK_E10value_typeET2_T3_PNSL_ISQ_E10value_typeET4_jRbjT5_SW_jjP12ihipStream_tbEUlT_E0_NS1_11comp_targetILNS1_3genE9ELNS1_11target_archE1100ELNS1_3gpuE3ELNS1_3repE0EEENS1_60segmented_radix_sort_warp_sort_medium_config_static_selectorELNS0_4arch9wavefront6targetE0EEEvSK_.num_named_barrier, 0
	.set _ZN7rocprim17ROCPRIM_400000_NS6detail17trampoline_kernelINS0_14default_configENS1_36segmented_radix_sort_config_selectorIblEEZNS1_25segmented_radix_sort_implIS3_Lb0EPKbPbPKlPlN2at6native12_GLOBAL__N_18offset_tEEE10hipError_tPvRmT1_PNSt15iterator_traitsISK_E10value_typeET2_T3_PNSL_ISQ_E10value_typeET4_jRbjT5_SW_jjP12ihipStream_tbEUlT_E0_NS1_11comp_targetILNS1_3genE9ELNS1_11target_archE1100ELNS1_3gpuE3ELNS1_3repE0EEENS1_60segmented_radix_sort_warp_sort_medium_config_static_selectorELNS0_4arch9wavefront6targetE0EEEvSK_.private_seg_size, 0
	.set _ZN7rocprim17ROCPRIM_400000_NS6detail17trampoline_kernelINS0_14default_configENS1_36segmented_radix_sort_config_selectorIblEEZNS1_25segmented_radix_sort_implIS3_Lb0EPKbPbPKlPlN2at6native12_GLOBAL__N_18offset_tEEE10hipError_tPvRmT1_PNSt15iterator_traitsISK_E10value_typeET2_T3_PNSL_ISQ_E10value_typeET4_jRbjT5_SW_jjP12ihipStream_tbEUlT_E0_NS1_11comp_targetILNS1_3genE9ELNS1_11target_archE1100ELNS1_3gpuE3ELNS1_3repE0EEENS1_60segmented_radix_sort_warp_sort_medium_config_static_selectorELNS0_4arch9wavefront6targetE0EEEvSK_.uses_vcc, 0
	.set _ZN7rocprim17ROCPRIM_400000_NS6detail17trampoline_kernelINS0_14default_configENS1_36segmented_radix_sort_config_selectorIblEEZNS1_25segmented_radix_sort_implIS3_Lb0EPKbPbPKlPlN2at6native12_GLOBAL__N_18offset_tEEE10hipError_tPvRmT1_PNSt15iterator_traitsISK_E10value_typeET2_T3_PNSL_ISQ_E10value_typeET4_jRbjT5_SW_jjP12ihipStream_tbEUlT_E0_NS1_11comp_targetILNS1_3genE9ELNS1_11target_archE1100ELNS1_3gpuE3ELNS1_3repE0EEENS1_60segmented_radix_sort_warp_sort_medium_config_static_selectorELNS0_4arch9wavefront6targetE0EEEvSK_.uses_flat_scratch, 0
	.set _ZN7rocprim17ROCPRIM_400000_NS6detail17trampoline_kernelINS0_14default_configENS1_36segmented_radix_sort_config_selectorIblEEZNS1_25segmented_radix_sort_implIS3_Lb0EPKbPbPKlPlN2at6native12_GLOBAL__N_18offset_tEEE10hipError_tPvRmT1_PNSt15iterator_traitsISK_E10value_typeET2_T3_PNSL_ISQ_E10value_typeET4_jRbjT5_SW_jjP12ihipStream_tbEUlT_E0_NS1_11comp_targetILNS1_3genE9ELNS1_11target_archE1100ELNS1_3gpuE3ELNS1_3repE0EEENS1_60segmented_radix_sort_warp_sort_medium_config_static_selectorELNS0_4arch9wavefront6targetE0EEEvSK_.has_dyn_sized_stack, 0
	.set _ZN7rocprim17ROCPRIM_400000_NS6detail17trampoline_kernelINS0_14default_configENS1_36segmented_radix_sort_config_selectorIblEEZNS1_25segmented_radix_sort_implIS3_Lb0EPKbPbPKlPlN2at6native12_GLOBAL__N_18offset_tEEE10hipError_tPvRmT1_PNSt15iterator_traitsISK_E10value_typeET2_T3_PNSL_ISQ_E10value_typeET4_jRbjT5_SW_jjP12ihipStream_tbEUlT_E0_NS1_11comp_targetILNS1_3genE9ELNS1_11target_archE1100ELNS1_3gpuE3ELNS1_3repE0EEENS1_60segmented_radix_sort_warp_sort_medium_config_static_selectorELNS0_4arch9wavefront6targetE0EEEvSK_.has_recursion, 0
	.set _ZN7rocprim17ROCPRIM_400000_NS6detail17trampoline_kernelINS0_14default_configENS1_36segmented_radix_sort_config_selectorIblEEZNS1_25segmented_radix_sort_implIS3_Lb0EPKbPbPKlPlN2at6native12_GLOBAL__N_18offset_tEEE10hipError_tPvRmT1_PNSt15iterator_traitsISK_E10value_typeET2_T3_PNSL_ISQ_E10value_typeET4_jRbjT5_SW_jjP12ihipStream_tbEUlT_E0_NS1_11comp_targetILNS1_3genE9ELNS1_11target_archE1100ELNS1_3gpuE3ELNS1_3repE0EEENS1_60segmented_radix_sort_warp_sort_medium_config_static_selectorELNS0_4arch9wavefront6targetE0EEEvSK_.has_indirect_call, 0
	.section	.AMDGPU.csdata,"",@progbits
; Kernel info:
; codeLenInByte = 0
; TotalNumSgprs: 0
; NumVgprs: 0
; ScratchSize: 0
; MemoryBound: 0
; FloatMode: 240
; IeeeMode: 1
; LDSByteSize: 0 bytes/workgroup (compile time only)
; SGPRBlocks: 0
; VGPRBlocks: 0
; NumSGPRsForWavesPerEU: 1
; NumVGPRsForWavesPerEU: 1
; Occupancy: 16
; WaveLimiterHint : 0
; COMPUTE_PGM_RSRC2:SCRATCH_EN: 0
; COMPUTE_PGM_RSRC2:USER_SGPR: 6
; COMPUTE_PGM_RSRC2:TRAP_HANDLER: 0
; COMPUTE_PGM_RSRC2:TGID_X_EN: 1
; COMPUTE_PGM_RSRC2:TGID_Y_EN: 0
; COMPUTE_PGM_RSRC2:TGID_Z_EN: 0
; COMPUTE_PGM_RSRC2:TIDIG_COMP_CNT: 0
	.text
	.p2align	2                               ; -- Begin function _ZN7rocprim17ROCPRIM_400000_NS6detail26segmented_warp_sort_helperINS1_20WarpSortHelperConfigILj32ELj4ELj256EEEblLi256ELb0EvE4sortIPKbPbPKlPlEEvT_T0_T1_T2_jjjjRNS5_12storage_typeE
	.type	_ZN7rocprim17ROCPRIM_400000_NS6detail26segmented_warp_sort_helperINS1_20WarpSortHelperConfigILj32ELj4ELj256EEEblLi256ELb0EvE4sortIPKbPbPKlPlEEvT_T0_T1_T2_jjjjRNS5_12storage_typeE,@function
_ZN7rocprim17ROCPRIM_400000_NS6detail26segmented_warp_sort_helperINS1_20WarpSortHelperConfigILj32ELj4ELj256EEEblLi256ELb0EvE4sortIPKbPbPKlPlEEvT_T0_T1_T2_jjjjRNS5_12storage_typeE: ; @_ZN7rocprim17ROCPRIM_400000_NS6detail26segmented_warp_sort_helperINS1_20WarpSortHelperConfigILj32ELj4ELj256EEEblLi256ELb0EvE4sortIPKbPbPKlPlEEvT_T0_T1_T2_jjjjRNS5_12storage_typeE
; %bb.0:
	s_waitcnt vmcnt(0) expcnt(0) lgkmcnt(0)
	v_mbcnt_lo_u32_b32 v15, -1, 0
	v_add_co_u32 v0, vcc_lo, v0, v8
	v_sub_nc_u32_e32 v14, v9, v8
	v_add_co_ci_u32_e64 v1, null, 0, v1, vcc_lo
	v_lshlrev_b32_e32 v30, 2, v15
	v_mov_b32_e32 v9, 0
	v_mov_b32_e32 v33, 1
	;; [unrolled: 1-line block ×3, first 2 shown]
	v_add_co_u32 v0, vcc_lo, v0, v30
	v_add_co_ci_u32_e64 v1, null, 0, v1, vcc_lo
	v_cmp_lt_u32_e32 vcc_lo, v30, v14
	s_and_saveexec_b32 s4, vcc_lo
	s_cbranch_execz .LBB1644_2
; %bb.1:
	flat_load_ubyte v36, v[0:1]
.LBB1644_2:
	s_or_b32 exec_lo, exec_lo, s4
	v_or_b32_e32 v15, 1, v30
	v_cmp_lt_u32_e64 s4, v15, v14
	s_and_saveexec_b32 s5, s4
	s_cbranch_execz .LBB1644_4
; %bb.3:
	flat_load_ubyte v33, v[0:1] offset:1
.LBB1644_4:
	s_or_b32 exec_lo, exec_lo, s5
	v_or_b32_e32 v15, 2, v30
	v_mov_b32_e32 v35, 1
	v_mov_b32_e32 v34, 1
	v_cmp_lt_u32_e64 s5, v15, v14
	s_and_saveexec_b32 s6, s5
	s_cbranch_execz .LBB1644_6
; %bb.5:
	flat_load_ubyte v34, v[0:1] offset:2
.LBB1644_6:
	s_or_b32 exec_lo, exec_lo, s6
	v_or_b32_e32 v15, 3, v30
	v_cmp_lt_u32_e64 s6, v15, v14
	s_and_saveexec_b32 s7, s6
	s_cbranch_execz .LBB1644_8
; %bb.7:
	flat_load_ubyte v35, v[0:1] offset:3
.LBB1644_8:
	s_or_b32 exec_lo, exec_lo, s7
	v_lshlrev_b64 v[0:1], 3, v[8:9]
	v_lshlrev_b32_e32 v32, 3, v30
	v_mov_b32_e32 v22, 0
	v_mov_b32_e32 v23, 0
	; wave barrier
	v_add_co_u32 v9, s7, v4, v0
	v_add_co_ci_u32_e64 v14, null, v5, v1, s7
	v_mov_b32_e32 v4, 0
	v_add_co_u32 v16, s7, v9, v32
	v_mov_b32_e32 v5, 0
	v_add_co_ci_u32_e64 v17, null, 0, v14, s7
	s_and_saveexec_b32 s7, vcc_lo
	s_cbranch_execz .LBB1644_10
; %bb.9:
	flat_load_dwordx2 v[4:5], v[16:17]
.LBB1644_10:
	s_or_b32 exec_lo, exec_lo, s7
	s_mov_b32 s7, 0
	v_mov_b32_e32 v28, s7
	v_mov_b32_e32 v29, s7
	;; [unrolled: 1-line block ×6, first 2 shown]
	s_and_saveexec_b32 s10, s4
	s_cbranch_execz .LBB1644_12
; %bb.11:
	flat_load_dwordx2 v[28:29], v[16:17] offset:8
	v_mov_b32_e32 v24, s7
	v_mov_b32_e32 v25, s7
	v_mov_b32_e32 v26, s7
	v_mov_b32_e32 v27, s7
	s_waitcnt vmcnt(0) lgkmcnt(0)
	v_mov_b32_e32 v22, v28
	v_mov_b32_e32 v23, v29
.LBB1644_12:
	s_or_b32 exec_lo, exec_lo, s10
	v_mov_b32_e32 v20, 0
	v_mov_b32_e32 v14, 0
	;; [unrolled: 1-line block ×4, first 2 shown]
	s_and_saveexec_b32 s7, s5
	s_cbranch_execz .LBB1644_14
; %bb.13:
	flat_load_dwordx2 v[24:25], v[16:17] offset:16
	s_mov_b32 s10, 0
	v_mov_b32_e32 v26, s10
	v_mov_b32_e32 v27, s10
	s_waitcnt vmcnt(0) lgkmcnt(0)
	v_mov_b32_e32 v14, v24
	v_mov_b32_e32 v15, v25
.LBB1644_14:
	s_or_b32 exec_lo, exec_lo, s7
	s_and_saveexec_b32 s7, s6
	s_cbranch_execz .LBB1644_16
; %bb.15:
	flat_load_dwordx2 v[26:27], v[16:17] offset:24
	s_waitcnt vmcnt(0) lgkmcnt(0)
	v_mov_b32_e32 v20, v26
	v_mov_b32_e32 v21, v27
.LBB1644_16:
	s_or_b32 exec_lo, exec_lo, s7
	v_cmp_ne_u32_e64 s7, 0, v10
	v_cmp_ne_u32_e64 s10, 8, v11
	v_bfe_u32 v16, v31, 10, 10
	v_bfe_u32 v17, v31, 20, 10
	v_and_b32_e32 v9, 0x3ff, v31
	s_or_b32 s7, s7, s10
	; wave barrier
	s_and_saveexec_b32 s10, s7
	s_xor_b32 s16, exec_lo, s10
	s_cbranch_execz .LBB1644_78
; %bb.17:
	s_load_dwordx2 s[14:15], s[8:9], 0x0
	v_cmp_ne_u32_e64 s7, 0, v11
	v_cmp_ne_u32_e64 s10, 0, v10
	v_mov_b32_e32 v10, 0
	s_xor_b32 s7, s10, s7
	v_cndmask_b32_e64 v18, 0, 1, s7
	buffer_store_byte v18, off, s[0:3], s32 offset:6
	buffer_load_ubyte v18, off, s[0:3], s32 offset:6
	s_waitcnt lgkmcnt(0)
	s_cmp_lt_u32 s13, s15
	s_cselect_b32 s10, 14, 20
	s_add_u32 s10, s8, s10
	s_addc_u32 s11, s9, 0
	s_cmp_lt_u32 s12, s14
	global_load_ushort v11, v10, s[10:11]
	s_cselect_b32 s10, 12, 18
	s_mov_b32 s14, exec_lo
	s_add_u32 s10, s8, s10
	s_addc_u32 s11, s9, 0
	global_load_ushort v10, v10, s[10:11]
	s_waitcnt vmcnt(1)
	v_mad_u32_u24 v11, v17, v11, v16
	s_waitcnt vmcnt(0)
	v_mul_lo_u32 v10, v11, v10
	v_and_b32_e32 v11, 1, v18
	v_cmp_eq_u32_e64 s7, 1, v11
	v_add_lshl_u32 v9, v10, v9, 2
	v_and_b32_e32 v10, 1, v11
	buffer_store_byte v11, off, s[0:3], s32 offset:5
	buffer_store_byte v10, off, s[0:3], s32 offset:4
	v_cmpx_gt_u32_e32 0x400, v9
	s_cbranch_execz .LBB1644_27
; %bb.18:
	buffer_load_ubyte v10, off, s[0:3], s32 offset:4
	v_mov_b32_e32 v18, v24
	v_mov_b32_e32 v20, v26
	v_mov_b32_e32 v19, v25
	v_mov_b32_e32 v21, v27
	s_waitcnt vmcnt(0)
	v_and_b32_e32 v11, v10, v33
	v_and_b32_e32 v14, v10, v36
	;; [unrolled: 1-line block ×8, first 2 shown]
	v_cmp_gt_u16_e64 s10, v14, v11
	v_cmp_gt_u16_e64 s11, v16, v15
	v_cndmask_b32_e64 v17, v29, v5, s10
	v_cndmask_b32_e64 v16, v28, v4, s10
	;; [unrolled: 1-line block ×4, first 2 shown]
	s_and_saveexec_b32 s15, s11
	s_cbranch_execz .LBB1644_20
; %bb.19:
	v_mov_b32_e32 v18, v26
	v_mov_b32_e32 v20, v24
	;; [unrolled: 1-line block ×7, first 2 shown]
.LBB1644_20:
	s_or_b32 exec_lo, exec_lo, s15
	v_cndmask_b32_e64 v11, v33, 1, s10
	v_and_b32_e32 v4, v11, v10
	v_cmp_gt_u16_sdwa s11, v4, v22 src0_sel:BYTE_0 src1_sel:BYTE_0
	s_and_saveexec_b32 s15, s11
	s_xor_b32 s11, exec_lo, s15
	s_cbranch_execz .LBB1644_22
; %bb.21:
	v_mov_b32_e32 v29, v21
	v_mov_b32_e32 v28, v20
	;; [unrolled: 1-line block ×25, first 2 shown]
.LBB1644_22:
	s_or_b32 exec_lo, exec_lo, s11
	v_cndmask_b32_e64 v24, v36, v33, s10
	v_and_b32_e32 v26, v35, v10
	v_and_b32_e32 v25, v34, v10
	;; [unrolled: 1-line block ×3, first 2 shown]
	v_cmp_gt_u16_sdwa s15, v25, v26 src0_sel:BYTE_0 src1_sel:BYTE_0
	v_cmp_gt_u16_sdwa s10, v5, v4 src0_sel:BYTE_0 src1_sel:BYTE_0
	v_cndmask_b32_e64 v23, v17, v15, s10
	v_cndmask_b32_e64 v22, v16, v14, s10
	;; [unrolled: 1-line block ×4, first 2 shown]
	s_and_saveexec_b32 s11, s15
	s_cbranch_execz .LBB1644_24
; %bb.23:
	v_mov_b32_e32 v14, v18
	v_mov_b32_e32 v15, v19
	;; [unrolled: 1-line block ×9, first 2 shown]
.LBB1644_24:
	s_or_b32 exec_lo, exec_lo, s11
	v_cndmask_b32_e64 v33, v11, 1, s10
	v_mov_b32_e32 v14, v18
	v_mov_b32_e32 v15, v19
	v_and_b32_e32 v10, v33, v10
	v_cmp_gt_u16_sdwa s15, v10, v25 src0_sel:BYTE_0 src1_sel:BYTE_0
	s_and_saveexec_b32 s11, s15
	s_cbranch_execz .LBB1644_26
; %bb.25:
	v_mov_b32_e32 v10, 1
	v_mov_b32_e32 v14, v22
	;; [unrolled: 1-line block ×7, first 2 shown]
.LBB1644_26:
	s_or_b32 exec_lo, exec_lo, s11
	v_cndmask_b32_e64 v36, v24, v11, s10
.LBB1644_27:
	s_or_b32 exec_lo, exec_lo, s14
	v_and_b32_e32 v16, 0xffffff80, v9
	v_and_b32_e32 v28, 0x78, v30
	s_mov_b32 s11, exec_lo
	v_add_co_u32 v11, s10, v12, v16
	v_add_co_ci_u32_e64 v12, null, 0, v13, s10
	v_or_b32_e32 v13, 4, v30
	v_mad_u64_u32 v[9:10], null, v16, 7, v[11:12]
	v_cndmask_b32_e64 v12, 0, 1, s7
	v_add_nc_u32_e32 v10, v11, v30
	buffer_store_byte v12, off, s[0:3], s32 offset:3
	v_lshl_add_u32 v25, v30, 3, v9
	ds_write_b8 v10, v36
	ds_write_b8 v10, v33 offset:1
	ds_write_b8 v10, v34 offset:2
	;; [unrolled: 1-line block ×3, first 2 shown]
	ds_write2_b64 v25, v[4:5], v[22:23] offset0:128 offset1:129
	ds_write2_b64 v25, v[14:15], v[20:21] offset0:130 offset1:131
	; wave barrier
	buffer_load_ubyte v17, off, s[0:3], s32 offset:3
	v_sub_nc_u32_e64 v12, 0x400, v16 clamp
	v_and_b32_e32 v16, 4, v30
	v_min_u32_e32 v26, v12, v13
	v_min_u32_e32 v29, v12, v16
	v_add_nc_u32_e32 v13, 4, v26
	v_min_u32_e32 v27, v12, v13
	v_sub_nc_u32_e32 v13, v26, v28
	v_sub_nc_u32_e32 v16, v27, v26
	v_min_u32_e32 v13, v29, v13
	v_sub_nc_u32_e64 v31, v29, v16 clamp
	s_waitcnt vmcnt(0)
	v_and_b32_e32 v17, 1, v17
	v_cmp_eq_u32_e64 s7, 1, v17
	buffer_store_byte v17, off, s[0:3], s32 offset:2
	v_cmpx_lt_u32_e64 v31, v13
	s_cbranch_execz .LBB1644_31
; %bb.28:
	buffer_load_ubyte v16, off, s[0:3], s32 offset:2
	v_add_co_u32 v17, null, v11, v28
	v_add_co_u32 v18, null, v11, v26
	s_mov_b32 s14, 0
	.p2align	6
.LBB1644_29:                            ; =>This Inner Loop Header: Depth=1
	v_add_nc_u32_e32 v19, v13, v31
	v_lshrrev_b32_e32 v19, 1, v19
	v_not_b32_e32 v24, v19
	v_add_nc_u32_e32 v37, v17, v19
	v_add_nc_u32_e32 v38, 1, v19
	v_add3_u32 v24, v29, v24, v18
	ds_read_u8 v37, v37
	ds_read_u8 v24, v24
	s_waitcnt vmcnt(0) lgkmcnt(1)
	v_and_b32_e32 v37, v37, v16
	s_waitcnt lgkmcnt(0)
	v_and_b32_e32 v24, v24, v16
	v_and_b32_e32 v37, 1, v37
	;; [unrolled: 1-line block ×3, first 2 shown]
	v_cmp_gt_u16_e64 s10, v37, v24
	v_cndmask_b32_e64 v13, v13, v19, s10
	v_cndmask_b32_e64 v31, v38, v31, s10
	v_cmp_ge_u32_e64 s10, v31, v13
	s_or_b32 s14, s10, s14
	s_andn2_b32 exec_lo, exec_lo, s14
	s_cbranch_execnz .LBB1644_29
; %bb.30:
	s_or_b32 exec_lo, exec_lo, s14
.LBB1644_31:
	s_or_b32 exec_lo, exec_lo, s11
	v_cndmask_b32_e64 v37, 0, 1, s7
	v_add_nc_u32_e32 v29, v26, v29
	v_add_nc_u32_e32 v13, 0x400, v25
	;; [unrolled: 1-line block ×4, first 2 shown]
	buffer_store_byte v37, off, s[0:3], s32 offset:1
	buffer_load_ubyte v38, off, s[0:3], s32 offset:1
	v_add_nc_u32_e32 v37, v31, v28
	v_sub_nc_u32_e32 v31, v29, v31
	v_add_nc_u32_e32 v18, 2, v10
	v_add_nc_u32_e32 v19, 0x410, v25
	;; [unrolled: 1-line block ×3, first 2 shown]
	v_cmp_le_u32_e64 s7, v37, v26
	v_cmp_le_u32_e64 s10, v31, v27
	v_add_nc_u32_e32 v25, 0x418, v25
	s_or_b32 s7, s7, s10
	s_waitcnt vmcnt(0)
	v_and_b32_e32 v28, 1, v38
	buffer_store_byte v28, off, s[0:3], s32
	s_and_saveexec_b32 s17, s7
	s_cbranch_execz .LBB1644_37
; %bb.32:
	v_cmp_ge_u32_e64 s7, v37, v26
	s_mov_b32 s11, exec_lo
                                        ; implicit-def: $vgpr28
	v_cmpx_lt_u32_e64 v37, v26
; %bb.33:
	v_add_nc_u32_e32 v4, v11, v37
	ds_read_u8 v28, v4
; %bb.34:
	s_or_b32 exec_lo, exec_lo, s11
	v_cmp_ge_u32_e64 s10, v31, v27
	s_mov_b32 s14, exec_lo
                                        ; implicit-def: $vgpr29
	v_cmpx_lt_u32_e64 v31, v27
; %bb.35:
	v_add_nc_u32_e32 v4, v11, v31
	ds_read_u8 v29, v4
; %bb.36:
	s_or_b32 exec_lo, exec_lo, s14
	buffer_load_ubyte v4, off, s[0:3], s32
	v_cndmask_b32_e64 v15, 0, 1, s10
	s_or_b32 s7, s7, s10
	s_waitcnt vmcnt(0) lgkmcnt(0)
	v_and_b32_e32 v5, v4, v29
	v_and_b32_e32 v14, v4, v28
	;; [unrolled: 1-line block ×4, first 2 shown]
	v_cmp_le_u16_e64 s11, v14, v5
	v_cndmask_b32_e64 v5, 0, 1, s11
	v_cndmask_b32_e64 v5, v5, v15, s7
	v_and_b32_e32 v5, 1, v5
	v_cmp_eq_u32_e64 s7, 1, v5
	v_cndmask_b32_e64 v5, v31, v37, s7
	v_cndmask_b32_e64 v14, v27, v26, s7
	;; [unrolled: 1-line block ×3, first 2 shown]
	v_add_nc_u32_e32 v15, 1, v5
	v_add_nc_u32_e32 v14, -1, v14
	v_lshl_add_u32 v5, v5, 3, v9
	v_min_u32_e32 v14, v15, v14
	v_add_nc_u32_e32 v14, v11, v14
	ds_read_u8 v14, v14
	s_waitcnt lgkmcnt(0)
	v_cndmask_b32_e64 v33, v14, v29, s7
	v_cndmask_b32_e64 v34, v28, v14, s7
	;; [unrolled: 1-line block ×4, first 2 shown]
	v_and_b32_e32 v20, v33, v4
	v_and_b32_e32 v21, v34, v4
	v_cmp_lt_u32_e64 s10, v14, v26
	v_cmp_ge_u32_e64 s11, v15, v27
	v_cmp_le_u16_sdwa s14, v21, v20 src0_sel:BYTE_0 src1_sel:BYTE_0
	s_and_b32 s10, s10, s14
	s_or_b32 s10, s11, s10
	v_cndmask_b32_e64 v20, v15, v14, s10
	v_cndmask_b32_e64 v21, v27, v26, s10
	v_add_nc_u32_e32 v22, 1, v20
	v_add_nc_u32_e32 v21, -1, v21
	v_cndmask_b32_e64 v14, v14, v22, s10
	v_min_u32_e32 v21, v22, v21
	v_cndmask_b32_e64 v15, v22, v15, s10
	v_cmp_lt_u32_e64 s11, v14, v26
	v_add_nc_u32_e32 v21, v11, v21
	v_cmp_ge_u32_e64 s14, v15, v27
	ds_read_u8 v21, v21
	s_waitcnt lgkmcnt(0)
	v_cndmask_b32_e64 v31, v21, v33, s10
	v_cndmask_b32_e64 v35, v34, v21, s10
	;; [unrolled: 1-line block ×3, first 2 shown]
	v_and_b32_e32 v21, v31, v4
	v_and_b32_e32 v23, v35, v4
	v_cmp_le_u16_sdwa s15, v23, v21 src0_sel:BYTE_0 src1_sel:BYTE_0
	s_and_b32 s11, s11, s15
	s_or_b32 s11, s14, s11
	v_cndmask_b32_e64 v21, v15, v14, s11
	v_cndmask_b32_e64 v22, v27, v26, s11
	;; [unrolled: 1-line block ×3, first 2 shown]
	v_add_nc_u32_e32 v23, 1, v21
	v_add_nc_u32_e32 v22, -1, v22
	v_cndmask_b32_e64 v14, v14, v23, s11
	v_min_u32_e32 v22, v23, v22
	v_cndmask_b32_e64 v15, v23, v15, s11
	v_cmp_lt_u32_e64 s14, v14, v26
	v_add_nc_u32_e32 v22, v11, v22
	v_cmp_ge_u32_e64 s15, v15, v27
	ds_read_u8 v22, v22
	s_waitcnt lgkmcnt(0)
	v_cndmask_b32_e64 v37, v22, v31, s11
	v_cndmask_b32_e64 v38, v35, v22, s11
	v_and_b32_e32 v22, v37, v4
	v_and_b32_e32 v4, v38, v4
	v_cmp_le_u16_sdwa s18, v4, v22 src0_sel:BYTE_0 src1_sel:BYTE_0
	s_and_b32 s14, s14, s18
	s_or_b32 s14, s15, s14
	v_cndmask_b32_e64 v4, v15, v14, s14
	v_lshl_add_u32 v14, v20, 3, v9
	v_lshl_add_u32 v15, v21, 3, v9
	v_cndmask_b32_e64 v35, v37, v38, s14
	v_lshl_add_u32 v20, v4, 3, v9
	ds_read_b64 v[4:5], v5 offset:1024
	ds_read_b64 v[22:23], v14 offset:1024
	;; [unrolled: 1-line block ×4, first 2 shown]
.LBB1644_37:
	s_or_b32 exec_lo, exec_lo, s17
	; wave barrier
	ds_write_b8 v10, v36
	s_waitcnt lgkmcnt(4)
	ds_write_b64 v13, v[4:5]
	ds_write_b8 v16, v33
	s_waitcnt lgkmcnt(5)
	ds_write_b64 v17, v[22:23]
	;; [unrolled: 3-line block ×4, first 2 shown]
	; wave barrier
	buffer_load_ubyte v31, off, s[0:3], s32 offset:3
	v_and_b32_e32 v28, 0x70, v30
	v_and_b32_e32 v29, 12, v30
	s_mov_b32 s11, exec_lo
	v_or_b32_e32 v26, 8, v28
	v_min_u32_e32 v29, v12, v29
	v_min_u32_e32 v26, v12, v26
	v_add_nc_u32_e32 v27, 8, v26
	v_sub_nc_u32_e32 v37, v26, v28
	v_min_u32_e32 v27, v12, v27
	v_min_u32_e32 v37, v29, v37
	v_sub_nc_u32_e32 v38, v27, v26
	s_waitcnt vmcnt(0)
	v_and_b32_e32 v39, 1, v31
	v_sub_nc_u32_e64 v31, v29, v38 clamp
	v_cmp_eq_u32_e64 s7, 1, v39
	buffer_store_byte v39, off, s[0:3], s32 offset:2
	v_cmpx_lt_u32_e64 v31, v37
	s_cbranch_execz .LBB1644_41
; %bb.38:
	buffer_load_ubyte v38, off, s[0:3], s32 offset:2
	v_add_co_u32 v39, null, v11, v28
	v_add_co_u32 v48, null, v11, v26
	s_mov_b32 s14, 0
	.p2align	6
.LBB1644_39:                            ; =>This Inner Loop Header: Depth=1
	v_add_nc_u32_e32 v49, v37, v31
	v_lshrrev_b32_e32 v49, 1, v49
	v_not_b32_e32 v50, v49
	v_add_nc_u32_e32 v51, v39, v49
	v_add_nc_u32_e32 v52, 1, v49
	v_add3_u32 v50, v29, v50, v48
	ds_read_u8 v51, v51
	ds_read_u8 v50, v50
	s_waitcnt vmcnt(0) lgkmcnt(1)
	v_and_b32_e32 v51, v51, v38
	s_waitcnt lgkmcnt(0)
	v_and_b32_e32 v50, v50, v38
	v_and_b32_e32 v51, 1, v51
	;; [unrolled: 1-line block ×3, first 2 shown]
	v_cmp_gt_u16_e64 s10, v51, v50
	v_cndmask_b32_e64 v37, v37, v49, s10
	v_cndmask_b32_e64 v31, v52, v31, s10
	v_cmp_ge_u32_e64 s10, v31, v37
	s_or_b32 s14, s10, s14
	s_andn2_b32 exec_lo, exec_lo, s14
	s_cbranch_execnz .LBB1644_39
; %bb.40:
	s_or_b32 exec_lo, exec_lo, s14
.LBB1644_41:
	s_or_b32 exec_lo, exec_lo, s11
	v_cndmask_b32_e64 v37, 0, 1, s7
	v_add_nc_u32_e32 v29, v26, v29
	buffer_store_byte v37, off, s[0:3], s32 offset:1
	buffer_load_ubyte v38, off, s[0:3], s32 offset:1
	v_add_nc_u32_e32 v37, v31, v28
	v_sub_nc_u32_e32 v31, v29, v31
	v_cmp_le_u32_e64 s7, v37, v26
	v_cmp_le_u32_e64 s10, v31, v27
	s_or_b32 s7, s7, s10
	s_waitcnt vmcnt(0)
	v_and_b32_e32 v28, 1, v38
	buffer_store_byte v28, off, s[0:3], s32
	s_and_saveexec_b32 s17, s7
	s_cbranch_execz .LBB1644_47
; %bb.42:
	v_cmp_ge_u32_e64 s7, v37, v26
	s_mov_b32 s11, exec_lo
                                        ; implicit-def: $vgpr28
	v_cmpx_lt_u32_e64 v37, v26
; %bb.43:
	v_add_nc_u32_e32 v4, v11, v37
	ds_read_u8 v28, v4
; %bb.44:
	s_or_b32 exec_lo, exec_lo, s11
	v_cmp_ge_u32_e64 s10, v31, v27
	s_mov_b32 s14, exec_lo
                                        ; implicit-def: $vgpr29
	v_cmpx_lt_u32_e64 v31, v27
; %bb.45:
	v_add_nc_u32_e32 v4, v11, v31
	ds_read_u8 v29, v4
; %bb.46:
	s_or_b32 exec_lo, exec_lo, s14
	buffer_load_ubyte v4, off, s[0:3], s32
	v_cndmask_b32_e64 v15, 0, 1, s10
	s_or_b32 s7, s7, s10
	s_waitcnt vmcnt(0) lgkmcnt(0)
	v_and_b32_e32 v5, v4, v29
	v_and_b32_e32 v14, v4, v28
	;; [unrolled: 1-line block ×4, first 2 shown]
	v_cmp_le_u16_e64 s11, v14, v5
	v_cndmask_b32_e64 v5, 0, 1, s11
	v_cndmask_b32_e64 v5, v5, v15, s7
	v_and_b32_e32 v5, 1, v5
	v_cmp_eq_u32_e64 s7, 1, v5
	v_cndmask_b32_e64 v5, v31, v37, s7
	v_cndmask_b32_e64 v14, v27, v26, s7
	;; [unrolled: 1-line block ×3, first 2 shown]
	v_add_nc_u32_e32 v15, 1, v5
	v_add_nc_u32_e32 v14, -1, v14
	v_lshl_add_u32 v5, v5, 3, v9
	v_min_u32_e32 v14, v15, v14
	v_add_nc_u32_e32 v14, v11, v14
	ds_read_u8 v14, v14
	s_waitcnt lgkmcnt(0)
	v_cndmask_b32_e64 v33, v14, v29, s7
	v_cndmask_b32_e64 v34, v28, v14, s7
	;; [unrolled: 1-line block ×4, first 2 shown]
	v_and_b32_e32 v20, v33, v4
	v_and_b32_e32 v21, v34, v4
	v_cmp_lt_u32_e64 s10, v14, v26
	v_cmp_ge_u32_e64 s11, v15, v27
	v_cmp_le_u16_sdwa s14, v21, v20 src0_sel:BYTE_0 src1_sel:BYTE_0
	s_and_b32 s10, s10, s14
	s_or_b32 s10, s11, s10
	v_cndmask_b32_e64 v20, v15, v14, s10
	v_cndmask_b32_e64 v21, v27, v26, s10
	v_add_nc_u32_e32 v22, 1, v20
	v_add_nc_u32_e32 v21, -1, v21
	v_cndmask_b32_e64 v14, v14, v22, s10
	v_min_u32_e32 v21, v22, v21
	v_cndmask_b32_e64 v15, v22, v15, s10
	v_cmp_lt_u32_e64 s11, v14, v26
	v_add_nc_u32_e32 v21, v11, v21
	v_cmp_ge_u32_e64 s14, v15, v27
	ds_read_u8 v21, v21
	s_waitcnt lgkmcnt(0)
	v_cndmask_b32_e64 v31, v21, v33, s10
	v_cndmask_b32_e64 v35, v34, v21, s10
	;; [unrolled: 1-line block ×3, first 2 shown]
	v_and_b32_e32 v21, v31, v4
	v_and_b32_e32 v23, v35, v4
	v_cmp_le_u16_sdwa s15, v23, v21 src0_sel:BYTE_0 src1_sel:BYTE_0
	s_and_b32 s11, s11, s15
	s_or_b32 s11, s14, s11
	v_cndmask_b32_e64 v21, v15, v14, s11
	v_cndmask_b32_e64 v22, v27, v26, s11
	;; [unrolled: 1-line block ×3, first 2 shown]
	v_add_nc_u32_e32 v23, 1, v21
	v_add_nc_u32_e32 v22, -1, v22
	v_cndmask_b32_e64 v14, v14, v23, s11
	v_min_u32_e32 v22, v23, v22
	v_cndmask_b32_e64 v15, v23, v15, s11
	v_cmp_lt_u32_e64 s14, v14, v26
	v_add_nc_u32_e32 v22, v11, v22
	v_cmp_ge_u32_e64 s15, v15, v27
	ds_read_u8 v22, v22
	s_waitcnt lgkmcnt(0)
	v_cndmask_b32_e64 v37, v22, v31, s11
	v_cndmask_b32_e64 v38, v35, v22, s11
	v_and_b32_e32 v22, v37, v4
	v_and_b32_e32 v4, v38, v4
	v_cmp_le_u16_sdwa s18, v4, v22 src0_sel:BYTE_0 src1_sel:BYTE_0
	s_and_b32 s14, s14, s18
	s_or_b32 s14, s15, s14
	v_cndmask_b32_e64 v4, v15, v14, s14
	v_lshl_add_u32 v14, v20, 3, v9
	v_lshl_add_u32 v15, v21, 3, v9
	v_cndmask_b32_e64 v35, v37, v38, s14
	v_lshl_add_u32 v20, v4, 3, v9
	ds_read_b64 v[4:5], v5 offset:1024
	ds_read_b64 v[22:23], v14 offset:1024
	;; [unrolled: 1-line block ×4, first 2 shown]
.LBB1644_47:
	s_or_b32 exec_lo, exec_lo, s17
	; wave barrier
	ds_write_b8 v10, v36
	s_waitcnt lgkmcnt(4)
	ds_write_b64 v13, v[4:5]
	ds_write_b8 v16, v33
	s_waitcnt lgkmcnt(5)
	ds_write_b64 v17, v[22:23]
	;; [unrolled: 3-line block ×4, first 2 shown]
	; wave barrier
	buffer_load_ubyte v31, off, s[0:3], s32 offset:3
	v_and_b32_e32 v28, 0x60, v30
	v_and_b32_e32 v29, 28, v30
	s_mov_b32 s11, exec_lo
	v_or_b32_e32 v26, 16, v28
	v_min_u32_e32 v29, v12, v29
	v_min_u32_e32 v26, v12, v26
	v_add_nc_u32_e32 v27, 16, v26
	v_sub_nc_u32_e32 v37, v26, v28
	v_min_u32_e32 v27, v12, v27
	v_min_u32_e32 v37, v29, v37
	v_sub_nc_u32_e32 v38, v27, v26
	s_waitcnt vmcnt(0)
	v_and_b32_e32 v39, 1, v31
	v_sub_nc_u32_e64 v31, v29, v38 clamp
	v_cmp_eq_u32_e64 s7, 1, v39
	buffer_store_byte v39, off, s[0:3], s32 offset:2
	v_cmpx_lt_u32_e64 v31, v37
	s_cbranch_execz .LBB1644_51
; %bb.48:
	buffer_load_ubyte v38, off, s[0:3], s32 offset:2
	v_add_co_u32 v39, null, v11, v28
	v_add_co_u32 v48, null, v11, v26
	s_mov_b32 s14, 0
	.p2align	6
.LBB1644_49:                            ; =>This Inner Loop Header: Depth=1
	v_add_nc_u32_e32 v49, v37, v31
	v_lshrrev_b32_e32 v49, 1, v49
	v_not_b32_e32 v50, v49
	v_add_nc_u32_e32 v51, v39, v49
	v_add_nc_u32_e32 v52, 1, v49
	v_add3_u32 v50, v29, v50, v48
	ds_read_u8 v51, v51
	ds_read_u8 v50, v50
	s_waitcnt vmcnt(0) lgkmcnt(1)
	v_and_b32_e32 v51, v51, v38
	s_waitcnt lgkmcnt(0)
	v_and_b32_e32 v50, v50, v38
	v_and_b32_e32 v51, 1, v51
	;; [unrolled: 1-line block ×3, first 2 shown]
	v_cmp_gt_u16_e64 s10, v51, v50
	v_cndmask_b32_e64 v37, v37, v49, s10
	v_cndmask_b32_e64 v31, v52, v31, s10
	v_cmp_ge_u32_e64 s10, v31, v37
	s_or_b32 s14, s10, s14
	s_andn2_b32 exec_lo, exec_lo, s14
	s_cbranch_execnz .LBB1644_49
; %bb.50:
	s_or_b32 exec_lo, exec_lo, s14
.LBB1644_51:
	s_or_b32 exec_lo, exec_lo, s11
	v_cndmask_b32_e64 v37, 0, 1, s7
	v_add_nc_u32_e32 v29, v26, v29
	buffer_store_byte v37, off, s[0:3], s32 offset:1
	buffer_load_ubyte v38, off, s[0:3], s32 offset:1
	v_add_nc_u32_e32 v37, v31, v28
	v_sub_nc_u32_e32 v31, v29, v31
	v_cmp_le_u32_e64 s7, v37, v26
	v_cmp_le_u32_e64 s10, v31, v27
	s_or_b32 s7, s7, s10
	s_waitcnt vmcnt(0)
	v_and_b32_e32 v28, 1, v38
	buffer_store_byte v28, off, s[0:3], s32
	s_and_saveexec_b32 s17, s7
	s_cbranch_execz .LBB1644_57
; %bb.52:
	v_cmp_ge_u32_e64 s7, v37, v26
	s_mov_b32 s11, exec_lo
                                        ; implicit-def: $vgpr28
	v_cmpx_lt_u32_e64 v37, v26
; %bb.53:
	v_add_nc_u32_e32 v4, v11, v37
	ds_read_u8 v28, v4
; %bb.54:
	s_or_b32 exec_lo, exec_lo, s11
	v_cmp_ge_u32_e64 s10, v31, v27
	s_mov_b32 s14, exec_lo
                                        ; implicit-def: $vgpr29
	v_cmpx_lt_u32_e64 v31, v27
; %bb.55:
	v_add_nc_u32_e32 v4, v11, v31
	ds_read_u8 v29, v4
; %bb.56:
	s_or_b32 exec_lo, exec_lo, s14
	buffer_load_ubyte v4, off, s[0:3], s32
	v_cndmask_b32_e64 v15, 0, 1, s10
	s_or_b32 s7, s7, s10
	s_waitcnt vmcnt(0) lgkmcnt(0)
	v_and_b32_e32 v5, v4, v29
	v_and_b32_e32 v14, v4, v28
	;; [unrolled: 1-line block ×4, first 2 shown]
	v_cmp_le_u16_e64 s11, v14, v5
	v_cndmask_b32_e64 v5, 0, 1, s11
	v_cndmask_b32_e64 v5, v5, v15, s7
	v_and_b32_e32 v5, 1, v5
	v_cmp_eq_u32_e64 s7, 1, v5
	v_cndmask_b32_e64 v5, v31, v37, s7
	v_cndmask_b32_e64 v14, v27, v26, s7
	;; [unrolled: 1-line block ×3, first 2 shown]
	v_add_nc_u32_e32 v15, 1, v5
	v_add_nc_u32_e32 v14, -1, v14
	v_lshl_add_u32 v5, v5, 3, v9
	v_min_u32_e32 v14, v15, v14
	v_add_nc_u32_e32 v14, v11, v14
	ds_read_u8 v14, v14
	s_waitcnt lgkmcnt(0)
	v_cndmask_b32_e64 v33, v14, v29, s7
	v_cndmask_b32_e64 v34, v28, v14, s7
	;; [unrolled: 1-line block ×4, first 2 shown]
	v_and_b32_e32 v20, v33, v4
	v_and_b32_e32 v21, v34, v4
	v_cmp_lt_u32_e64 s10, v14, v26
	v_cmp_ge_u32_e64 s11, v15, v27
	v_cmp_le_u16_sdwa s14, v21, v20 src0_sel:BYTE_0 src1_sel:BYTE_0
	s_and_b32 s10, s10, s14
	s_or_b32 s10, s11, s10
	v_cndmask_b32_e64 v20, v15, v14, s10
	v_cndmask_b32_e64 v21, v27, v26, s10
	v_add_nc_u32_e32 v22, 1, v20
	v_add_nc_u32_e32 v21, -1, v21
	v_cndmask_b32_e64 v14, v14, v22, s10
	v_min_u32_e32 v21, v22, v21
	v_cndmask_b32_e64 v15, v22, v15, s10
	v_cmp_lt_u32_e64 s11, v14, v26
	v_add_nc_u32_e32 v21, v11, v21
	v_cmp_ge_u32_e64 s14, v15, v27
	ds_read_u8 v21, v21
	s_waitcnt lgkmcnt(0)
	v_cndmask_b32_e64 v31, v21, v33, s10
	v_cndmask_b32_e64 v35, v34, v21, s10
	v_cndmask_b32_e64 v33, v33, v34, s10
	v_and_b32_e32 v21, v31, v4
	v_and_b32_e32 v23, v35, v4
	v_cmp_le_u16_sdwa s15, v23, v21 src0_sel:BYTE_0 src1_sel:BYTE_0
	s_and_b32 s11, s11, s15
	s_or_b32 s11, s14, s11
	v_cndmask_b32_e64 v21, v15, v14, s11
	v_cndmask_b32_e64 v22, v27, v26, s11
	;; [unrolled: 1-line block ×3, first 2 shown]
	v_add_nc_u32_e32 v23, 1, v21
	v_add_nc_u32_e32 v22, -1, v22
	v_cndmask_b32_e64 v14, v14, v23, s11
	v_min_u32_e32 v22, v23, v22
	v_cndmask_b32_e64 v15, v23, v15, s11
	v_cmp_lt_u32_e64 s14, v14, v26
	v_add_nc_u32_e32 v22, v11, v22
	v_cmp_ge_u32_e64 s15, v15, v27
	ds_read_u8 v22, v22
	s_waitcnt lgkmcnt(0)
	v_cndmask_b32_e64 v37, v22, v31, s11
	v_cndmask_b32_e64 v38, v35, v22, s11
	v_and_b32_e32 v22, v37, v4
	v_and_b32_e32 v4, v38, v4
	v_cmp_le_u16_sdwa s18, v4, v22 src0_sel:BYTE_0 src1_sel:BYTE_0
	s_and_b32 s14, s14, s18
	s_or_b32 s14, s15, s14
	v_cndmask_b32_e64 v4, v15, v14, s14
	v_lshl_add_u32 v14, v20, 3, v9
	v_lshl_add_u32 v15, v21, 3, v9
	v_cndmask_b32_e64 v35, v37, v38, s14
	v_lshl_add_u32 v20, v4, 3, v9
	ds_read_b64 v[4:5], v5 offset:1024
	ds_read_b64 v[22:23], v14 offset:1024
	;; [unrolled: 1-line block ×4, first 2 shown]
.LBB1644_57:
	s_or_b32 exec_lo, exec_lo, s17
	; wave barrier
	ds_write_b8 v10, v36
	s_waitcnt lgkmcnt(4)
	ds_write_b64 v13, v[4:5]
	ds_write_b8 v16, v33
	s_waitcnt lgkmcnt(5)
	ds_write_b64 v17, v[22:23]
	;; [unrolled: 3-line block ×4, first 2 shown]
	; wave barrier
	buffer_load_ubyte v31, off, s[0:3], s32 offset:3
	v_and_b32_e32 v28, 64, v30
	v_and_b32_e32 v29, 60, v30
	s_mov_b32 s11, exec_lo
	v_or_b32_e32 v26, 32, v28
	v_min_u32_e32 v29, v12, v29
	v_min_u32_e32 v26, v12, v26
	v_add_nc_u32_e32 v27, 32, v26
	v_sub_nc_u32_e32 v37, v26, v28
	v_min_u32_e32 v27, v12, v27
	v_min_u32_e32 v37, v29, v37
	v_sub_nc_u32_e32 v38, v27, v26
	s_waitcnt vmcnt(0)
	v_and_b32_e32 v39, 1, v31
	v_sub_nc_u32_e64 v31, v29, v38 clamp
	v_cmp_eq_u32_e64 s7, 1, v39
	buffer_store_byte v39, off, s[0:3], s32 offset:2
	v_cmpx_lt_u32_e64 v31, v37
	s_cbranch_execz .LBB1644_61
; %bb.58:
	buffer_load_ubyte v38, off, s[0:3], s32 offset:2
	v_add_co_u32 v39, null, v11, v28
	v_add_co_u32 v48, null, v11, v26
	s_mov_b32 s14, 0
	.p2align	6
.LBB1644_59:                            ; =>This Inner Loop Header: Depth=1
	v_add_nc_u32_e32 v49, v37, v31
	v_lshrrev_b32_e32 v49, 1, v49
	v_not_b32_e32 v50, v49
	v_add_nc_u32_e32 v51, v39, v49
	v_add_nc_u32_e32 v52, 1, v49
	v_add3_u32 v50, v29, v50, v48
	ds_read_u8 v51, v51
	ds_read_u8 v50, v50
	s_waitcnt vmcnt(0) lgkmcnt(1)
	v_and_b32_e32 v51, v51, v38
	s_waitcnt lgkmcnt(0)
	v_and_b32_e32 v50, v50, v38
	v_and_b32_e32 v51, 1, v51
	;; [unrolled: 1-line block ×3, first 2 shown]
	v_cmp_gt_u16_e64 s10, v51, v50
	v_cndmask_b32_e64 v37, v37, v49, s10
	v_cndmask_b32_e64 v31, v52, v31, s10
	v_cmp_ge_u32_e64 s10, v31, v37
	s_or_b32 s14, s10, s14
	s_andn2_b32 exec_lo, exec_lo, s14
	s_cbranch_execnz .LBB1644_59
; %bb.60:
	s_or_b32 exec_lo, exec_lo, s14
.LBB1644_61:
	s_or_b32 exec_lo, exec_lo, s11
	v_cndmask_b32_e64 v37, 0, 1, s7
	v_add_nc_u32_e32 v29, v26, v29
	buffer_store_byte v37, off, s[0:3], s32 offset:1
	buffer_load_ubyte v38, off, s[0:3], s32 offset:1
	v_add_nc_u32_e32 v37, v31, v28
	v_sub_nc_u32_e32 v31, v29, v31
	v_cmp_le_u32_e64 s7, v37, v26
	v_cmp_le_u32_e64 s10, v31, v27
	s_or_b32 s7, s7, s10
	s_waitcnt vmcnt(0)
	v_and_b32_e32 v28, 1, v38
	buffer_store_byte v28, off, s[0:3], s32
	s_and_saveexec_b32 s17, s7
	s_cbranch_execz .LBB1644_67
; %bb.62:
	v_cmp_ge_u32_e64 s7, v37, v26
	s_mov_b32 s11, exec_lo
                                        ; implicit-def: $vgpr28
	v_cmpx_lt_u32_e64 v37, v26
; %bb.63:
	v_add_nc_u32_e32 v4, v11, v37
	ds_read_u8 v28, v4
; %bb.64:
	s_or_b32 exec_lo, exec_lo, s11
	v_cmp_ge_u32_e64 s10, v31, v27
	s_mov_b32 s14, exec_lo
                                        ; implicit-def: $vgpr29
	v_cmpx_lt_u32_e64 v31, v27
; %bb.65:
	v_add_nc_u32_e32 v4, v11, v31
	ds_read_u8 v29, v4
; %bb.66:
	s_or_b32 exec_lo, exec_lo, s14
	buffer_load_ubyte v4, off, s[0:3], s32
	v_cndmask_b32_e64 v15, 0, 1, s10
	s_or_b32 s7, s7, s10
	s_waitcnt vmcnt(0) lgkmcnt(0)
	v_and_b32_e32 v5, v4, v29
	v_and_b32_e32 v14, v4, v28
	;; [unrolled: 1-line block ×4, first 2 shown]
	v_cmp_le_u16_e64 s11, v14, v5
	v_cndmask_b32_e64 v5, 0, 1, s11
	v_cndmask_b32_e64 v5, v5, v15, s7
	v_and_b32_e32 v5, 1, v5
	v_cmp_eq_u32_e64 s7, 1, v5
	v_cndmask_b32_e64 v5, v31, v37, s7
	v_cndmask_b32_e64 v14, v27, v26, s7
	;; [unrolled: 1-line block ×3, first 2 shown]
	v_add_nc_u32_e32 v15, 1, v5
	v_add_nc_u32_e32 v14, -1, v14
	v_lshl_add_u32 v5, v5, 3, v9
	v_min_u32_e32 v14, v15, v14
	v_add_nc_u32_e32 v14, v11, v14
	ds_read_u8 v14, v14
	s_waitcnt lgkmcnt(0)
	v_cndmask_b32_e64 v33, v14, v29, s7
	v_cndmask_b32_e64 v34, v28, v14, s7
	;; [unrolled: 1-line block ×4, first 2 shown]
	v_and_b32_e32 v20, v33, v4
	v_and_b32_e32 v21, v34, v4
	v_cmp_lt_u32_e64 s10, v14, v26
	v_cmp_ge_u32_e64 s11, v15, v27
	v_cmp_le_u16_sdwa s14, v21, v20 src0_sel:BYTE_0 src1_sel:BYTE_0
	s_and_b32 s10, s10, s14
	s_or_b32 s10, s11, s10
	v_cndmask_b32_e64 v20, v15, v14, s10
	v_cndmask_b32_e64 v21, v27, v26, s10
	v_add_nc_u32_e32 v22, 1, v20
	v_add_nc_u32_e32 v21, -1, v21
	v_cndmask_b32_e64 v14, v14, v22, s10
	v_min_u32_e32 v21, v22, v21
	v_cndmask_b32_e64 v15, v22, v15, s10
	v_cmp_lt_u32_e64 s11, v14, v26
	v_add_nc_u32_e32 v21, v11, v21
	v_cmp_ge_u32_e64 s14, v15, v27
	ds_read_u8 v21, v21
	s_waitcnt lgkmcnt(0)
	v_cndmask_b32_e64 v31, v21, v33, s10
	v_cndmask_b32_e64 v35, v34, v21, s10
	;; [unrolled: 1-line block ×3, first 2 shown]
	v_and_b32_e32 v21, v31, v4
	v_and_b32_e32 v23, v35, v4
	v_cmp_le_u16_sdwa s15, v23, v21 src0_sel:BYTE_0 src1_sel:BYTE_0
	s_and_b32 s11, s11, s15
	s_or_b32 s11, s14, s11
	v_cndmask_b32_e64 v21, v15, v14, s11
	v_cndmask_b32_e64 v22, v27, v26, s11
	v_cndmask_b32_e64 v34, v31, v35, s11
	v_add_nc_u32_e32 v23, 1, v21
	v_add_nc_u32_e32 v22, -1, v22
	v_cndmask_b32_e64 v14, v14, v23, s11
	v_min_u32_e32 v22, v23, v22
	v_cndmask_b32_e64 v15, v23, v15, s11
	v_cmp_lt_u32_e64 s14, v14, v26
	v_add_nc_u32_e32 v22, v11, v22
	v_cmp_ge_u32_e64 s15, v15, v27
	ds_read_u8 v22, v22
	s_waitcnt lgkmcnt(0)
	v_cndmask_b32_e64 v37, v22, v31, s11
	v_cndmask_b32_e64 v38, v35, v22, s11
	v_and_b32_e32 v22, v37, v4
	v_and_b32_e32 v4, v38, v4
	v_cmp_le_u16_sdwa s18, v4, v22 src0_sel:BYTE_0 src1_sel:BYTE_0
	s_and_b32 s14, s14, s18
	s_or_b32 s14, s15, s14
	v_cndmask_b32_e64 v4, v15, v14, s14
	v_lshl_add_u32 v14, v20, 3, v9
	v_lshl_add_u32 v15, v21, 3, v9
	v_cndmask_b32_e64 v35, v37, v38, s14
	v_lshl_add_u32 v20, v4, 3, v9
	ds_read_b64 v[4:5], v5 offset:1024
	ds_read_b64 v[22:23], v14 offset:1024
	;; [unrolled: 1-line block ×4, first 2 shown]
.LBB1644_67:
	s_or_b32 exec_lo, exec_lo, s17
	; wave barrier
	ds_write_b8 v10, v36
	s_waitcnt lgkmcnt(4)
	ds_write_b64 v13, v[4:5]
	ds_write_b8 v16, v33
	s_waitcnt lgkmcnt(5)
	ds_write_b64 v17, v[22:23]
	;; [unrolled: 3-line block ×4, first 2 shown]
	; wave barrier
	buffer_load_ubyte v18, off, s[0:3], s32 offset:3
	v_min_u32_e32 v10, 64, v12
	v_min_u32_e32 v16, v12, v30
	s_mov_b32 s11, exec_lo
	v_add_nc_u32_e32 v13, 64, v10
	v_min_u32_e32 v17, v16, v10
	v_min_u32_e32 v13, v12, v13
	v_sub_nc_u32_e32 v12, v13, v10
	v_sub_nc_u32_e64 v12, v16, v12 clamp
	s_waitcnt vmcnt(0)
	v_and_b32_e32 v18, 1, v18
	v_cmp_eq_u32_e64 s7, 1, v18
	buffer_store_byte v18, off, s[0:3], s32 offset:2
	v_cmpx_lt_u32_e64 v12, v17
	s_cbranch_execz .LBB1644_71
; %bb.68:
	buffer_load_ubyte v18, off, s[0:3], s32 offset:2
	v_add_co_u32 v19, null, v11, v10
	s_mov_b32 s14, 0
	.p2align	6
.LBB1644_69:                            ; =>This Inner Loop Header: Depth=1
	v_add_nc_u32_e32 v24, v17, v12
	v_lshrrev_b32_e32 v24, 1, v24
	v_not_b32_e32 v25, v24
	v_add_nc_u32_e32 v26, v11, v24
	v_add_nc_u32_e32 v27, 1, v24
	v_add3_u32 v25, v16, v25, v19
	ds_read_u8 v26, v26
	ds_read_u8 v25, v25
	s_waitcnt vmcnt(0) lgkmcnt(1)
	v_and_b32_e32 v26, v26, v18
	s_waitcnt lgkmcnt(0)
	v_and_b32_e32 v25, v25, v18
	v_and_b32_e32 v26, 1, v26
	;; [unrolled: 1-line block ×3, first 2 shown]
	v_cmp_gt_u16_e64 s10, v26, v25
	v_cndmask_b32_e64 v17, v17, v24, s10
	v_cndmask_b32_e64 v12, v27, v12, s10
	v_cmp_ge_u32_e64 s10, v12, v17
	s_or_b32 s14, s10, s14
	s_andn2_b32 exec_lo, exec_lo, s14
	s_cbranch_execnz .LBB1644_69
; %bb.70:
	s_or_b32 exec_lo, exec_lo, s14
.LBB1644_71:
	s_or_b32 exec_lo, exec_lo, s11
	v_cndmask_b32_e64 v17, 0, 1, s7
	v_add_nc_u32_e32 v16, v10, v16
	v_cmp_le_u32_e64 s7, v12, v10
	buffer_store_byte v17, off, s[0:3], s32 offset:1
	buffer_load_ubyte v17, off, s[0:3], s32 offset:1
	v_sub_nc_u32_e32 v18, v16, v12
	v_cmp_le_u32_e64 s10, v18, v13
	s_or_b32 s7, s7, s10
	s_waitcnt vmcnt(0)
	v_and_b32_e32 v16, 1, v17
	buffer_store_byte v16, off, s[0:3], s32
	s_and_saveexec_b32 s17, s7
	s_cbranch_execz .LBB1644_77
; %bb.72:
	v_cmp_ge_u32_e64 s7, v12, v10
	s_mov_b32 s11, exec_lo
                                        ; implicit-def: $vgpr16
	v_cmpx_lt_u32_e64 v12, v10
; %bb.73:
	v_add_nc_u32_e32 v4, v11, v12
	ds_read_u8 v16, v4
; %bb.74:
	s_or_b32 exec_lo, exec_lo, s11
	v_cmp_ge_u32_e64 s10, v18, v13
	s_mov_b32 s14, exec_lo
                                        ; implicit-def: $vgpr17
	v_cmpx_lt_u32_e64 v18, v13
; %bb.75:
	v_add_nc_u32_e32 v4, v11, v18
	ds_read_u8 v17, v4
; %bb.76:
	s_or_b32 exec_lo, exec_lo, s14
	buffer_load_ubyte v4, off, s[0:3], s32
	v_cndmask_b32_e64 v15, 0, 1, s10
	s_or_b32 s7, s7, s10
	s_waitcnt vmcnt(0) lgkmcnt(0)
	v_and_b32_e32 v5, v4, v17
	v_and_b32_e32 v14, v4, v16
	v_and_b32_e32 v5, 1, v5
	v_and_b32_e32 v14, 1, v14
	v_cmp_le_u16_e64 s11, v14, v5
	v_cndmask_b32_e64 v5, 0, 1, s11
	v_cndmask_b32_e64 v5, v5, v15, s7
	v_and_b32_e32 v5, 1, v5
	v_cmp_eq_u32_e64 s7, 1, v5
	v_cndmask_b32_e64 v5, v18, v12, s7
	v_cndmask_b32_e64 v14, v13, v10, s7
	;; [unrolled: 1-line block ×3, first 2 shown]
	v_add_nc_u32_e32 v15, 1, v5
	v_add_nc_u32_e32 v14, -1, v14
	v_lshl_add_u32 v5, v5, 3, v9
	v_cndmask_b32_e64 v12, v12, v15, s7
	v_min_u32_e32 v14, v15, v14
	v_cndmask_b32_e64 v15, v15, v18, s7
	v_cmp_lt_u32_e64 s10, v12, v10
	v_add_nc_u32_e32 v14, v11, v14
	v_cmp_ge_u32_e64 s11, v15, v13
	ds_read_u8 v14, v14
	s_waitcnt lgkmcnt(0)
	v_cndmask_b32_e64 v19, v14, v17, s7
	v_cndmask_b32_e64 v24, v16, v14, s7
	v_and_b32_e32 v14, v19, v4
	v_and_b32_e32 v20, v24, v4
	v_cmp_le_u16_sdwa s14, v20, v14 src0_sel:BYTE_0 src1_sel:BYTE_0
	s_and_b32 s10, s10, s14
	s_or_b32 s10, s11, s10
	v_cndmask_b32_e64 v14, v15, v12, s10
	v_cndmask_b32_e64 v18, v13, v10, s10
	;; [unrolled: 1-line block ×3, first 2 shown]
	v_add_nc_u32_e32 v20, 1, v14
	v_add_nc_u32_e32 v18, -1, v18
	v_cndmask_b32_e64 v12, v12, v20, s10
	v_min_u32_e32 v18, v20, v18
	v_cndmask_b32_e64 v15, v20, v15, s10
	v_cmp_lt_u32_e64 s11, v12, v10
	v_add_nc_u32_e32 v18, v11, v18
	v_cmp_ge_u32_e64 s14, v15, v13
	ds_read_u8 v18, v18
	s_waitcnt lgkmcnt(0)
	v_cndmask_b32_e64 v25, v18, v19, s10
	v_cndmask_b32_e64 v18, v24, v18, s10
	v_and_b32_e32 v21, v25, v4
	v_and_b32_e32 v22, v18, v4
	v_cmp_le_u16_sdwa s15, v22, v21 src0_sel:BYTE_0 src1_sel:BYTE_0
	s_and_b32 s11, s11, s15
	s_or_b32 s11, s14, s11
	v_cndmask_b32_e64 v20, v15, v12, s11
	v_cndmask_b32_e64 v21, v13, v10, s11
	v_cndmask_b32_e64 v34, v25, v18, s11
	v_add_nc_u32_e32 v22, 1, v20
	v_add_nc_u32_e32 v21, -1, v21
	v_cndmask_b32_e64 v12, v12, v22, s11
	v_min_u32_e32 v21, v22, v21
	v_cndmask_b32_e64 v15, v22, v15, s11
	v_cmp_lt_u32_e64 s14, v12, v10
	v_add_nc_u32_e32 v11, v11, v21
	v_cmp_ge_u32_e64 s15, v15, v13
	v_lshl_add_u32 v10, v14, 3, v9
	ds_read_u8 v11, v11
	s_waitcnt lgkmcnt(0)
	v_cndmask_b32_e64 v26, v11, v25, s11
	v_cndmask_b32_e64 v11, v18, v11, s11
	v_and_b32_e32 v21, v26, v4
	v_and_b32_e32 v4, v11, v4
	v_cmp_le_u16_sdwa s18, v4, v21 src0_sel:BYTE_0 src1_sel:BYTE_0
	s_and_b32 s14, s14, s18
	s_or_b32 s14, s15, s14
	v_cndmask_b32_e64 v4, v15, v12, s14
	v_lshl_add_u32 v12, v20, 3, v9
	v_cndmask_b32_e64 v35, v26, v11, s14
	v_lshl_add_u32 v9, v4, 3, v9
	ds_read_b64 v[4:5], v5 offset:1024
	ds_read_b64 v[22:23], v10 offset:1024
	;; [unrolled: 1-line block ×4, first 2 shown]
.LBB1644_77:
	s_or_b32 exec_lo, exec_lo, s17
	; wave barrier
	s_waitcnt lgkmcnt(0)
	s_waitcnt_vscnt null, 0x0
	s_barrier
	buffer_gl0_inv
                                        ; implicit-def: $vgpr12
                                        ; implicit-def: $vgpr13
                                        ; implicit-def: $vgpr16
                                        ; implicit-def: $vgpr17
                                        ; implicit-def: $vgpr9
                                        ; implicit-def: $vgpr26_vgpr27
                                        ; implicit-def: $vgpr24_vgpr25
                                        ; implicit-def: $vgpr28_vgpr29
.LBB1644_78:
	s_andn2_saveexec_b32 s14, s16
	s_cbranch_execz .LBB1644_134
; %bb.79:
	s_load_dwordx2 s[10:11], s[8:9], 0x0
	v_mov_b32_e32 v10, 0
	s_waitcnt lgkmcnt(0)
	s_cmp_lt_u32 s13, s11
	s_cselect_b32 s7, 14, 20
	s_add_u32 s16, s8, s7
	s_addc_u32 s17, s9, 0
	s_cmp_lt_u32 s12, s10
	global_load_ushort v11, v10, s[16:17]
	s_cselect_b32 s7, 12, 18
	s_mov_b32 s10, exec_lo
	s_add_u32 s8, s8, s7
	s_addc_u32 s9, s9, 0
	global_load_ushort v10, v10, s[8:9]
	s_waitcnt vmcnt(1)
	v_mad_u32_u24 v11, v17, v11, v16
	s_waitcnt vmcnt(0)
	v_mul_lo_u32 v10, v11, v10
	v_add_lshl_u32 v9, v10, v9, 2
	v_cmpx_gt_u32_e32 0x400, v9
	s_cbranch_execz .LBB1644_83
; %bb.80:
	v_cmp_gt_u16_sdwa s7, v36, v33 src0_sel:BYTE_0 src1_sel:BYTE_0
	v_cmp_gt_u16_sdwa s8, v34, v35 src0_sel:BYTE_0 src1_sel:BYTE_0
	v_cndmask_b32_e64 v14, v33, 1, s7
	v_cndmask_b32_e64 v17, v34, 0, s8
	v_cndmask_b32_e64 v10, v36, 0, s7
	v_cndmask_b32_e64 v11, v35, 1, s8
	v_cndmask_b32_e64 v15, v4, v28, s7
	v_cndmask_b32_e64 v16, v5, v29, s7
	v_cmp_gt_u16_sdwa s9, v14, v17 src0_sel:BYTE_0 src1_sel:BYTE_0
	v_cndmask_b32_e64 v5, v29, v5, s7
	v_cndmask_b32_e64 v4, v28, v4, s7
	;; [unrolled: 1-line block ×9, first 2 shown]
	v_cmp_gt_u16_sdwa s7, v10, v14 src0_sel:BYTE_0 src1_sel:BYTE_0
	v_cmp_gt_u16_sdwa s8, v17, v11 src0_sel:BYTE_0 src1_sel:BYTE_0
	v_cndmask_b32_e64 v25, v20, v4, s9
	v_cndmask_b32_e64 v20, v4, v20, s9
	;; [unrolled: 1-line block ×13, first 2 shown]
	v_cmp_gt_u16_sdwa s11, v33, v34 src0_sel:BYTE_0 src1_sel:BYTE_0
	s_and_saveexec_b32 s9, s11
	s_cbranch_execz .LBB1644_82
; %bb.81:
	v_mov_b32_e32 v17, v15
	v_mov_b32_e32 v16, v14
	;; [unrolled: 1-line block ×8, first 2 shown]
.LBB1644_82:
	s_or_b32 exec_lo, exec_lo, s9
	v_cndmask_b32_e64 v36, v10, 0, s7
	v_cndmask_b32_e64 v35, v11, 1, s8
.LBB1644_83:
	s_or_b32 exec_lo, exec_lo, s10
	v_and_b32_e32 v9, 0xffffff80, v9
	v_or_b32_e32 v10, 4, v30
	v_and_b32_e32 v28, 0x78, v30
	s_mov_b32 s8, exec_lo
	v_sub_nc_u32_e64 v16, 0x400, v9 clamp
	v_add_co_u32 v11, s7, v12, v9
	v_add_co_ci_u32_e64 v12, null, 0, v13, s7
	v_min_u32_e32 v26, v16, v10
	v_and_b32_e32 v13, 4, v30
	v_add_nc_u32_e32 v10, 4, v26
	v_min_u32_e32 v29, v16, v13
	v_sub_nc_u32_e32 v17, v26, v28
	v_min_u32_e32 v27, v16, v10
	v_mad_u64_u32 v[9:10], null, v9, 7, v[11:12]
	v_add_nc_u32_e32 v10, v11, v30
	v_sub_nc_u32_e32 v12, v27, v26
	v_lshl_add_u32 v13, v30, 3, v9
	v_sub_nc_u32_e64 v31, v29, v12 clamp
	v_min_u32_e32 v12, v29, v17
	ds_write_b8 v10, v36
	ds_write_b8 v10, v33 offset:1
	ds_write2_b64 v13, v[4:5], v[22:23] offset0:128 offset1:129
	ds_write_b8 v10, v34 offset:2
	ds_write_b8 v10, v35 offset:3
	ds_write2_b64 v13, v[14:15], v[20:21] offset0:130 offset1:131
	; wave barrier
	v_cmpx_lt_u32_e64 v31, v12
	s_cbranch_execz .LBB1644_87
; %bb.84:
	v_add_co_u32 v17, null, v11, v28
	v_add_co_u32 v18, null, v11, v26
	s_mov_b32 s9, 0
	.p2align	6
.LBB1644_85:                            ; =>This Inner Loop Header: Depth=1
	v_add_nc_u32_e32 v19, v12, v31
	v_lshrrev_b32_e32 v19, 1, v19
	v_not_b32_e32 v24, v19
	v_add_nc_u32_e32 v25, v17, v19
	v_add_nc_u32_e32 v37, 1, v19
	v_add3_u32 v24, v29, v24, v18
	ds_read_u8 v25, v25
	ds_read_u8 v24, v24
	s_waitcnt lgkmcnt(0)
	v_cmp_gt_u16_e64 s7, v25, v24
	v_cndmask_b32_e64 v12, v12, v19, s7
	v_cndmask_b32_e64 v31, v37, v31, s7
	v_cmp_ge_u32_e64 s7, v31, v12
	s_or_b32 s9, s7, s9
	s_andn2_b32 exec_lo, exec_lo, s9
	s_cbranch_execnz .LBB1644_85
; %bb.86:
	s_or_b32 exec_lo, exec_lo, s9
.LBB1644_87:
	s_or_b32 exec_lo, exec_lo, s8
	v_add_nc_u32_e32 v29, v26, v29
	v_add_nc_u32_e32 v37, v31, v28
	;; [unrolled: 1-line block ×5, first 2 shown]
	v_sub_nc_u32_e32 v31, v29, v31
	v_cmp_le_u32_e64 s7, v37, v26
	v_add_nc_u32_e32 v19, 2, v10
	v_add_nc_u32_e32 v24, 0x410, v13
	v_add_nc_u32_e32 v12, 3, v10
	v_cmp_le_u32_e64 s8, v31, v27
	v_add_nc_u32_e32 v13, 0x418, v13
	s_or_b32 s7, s7, s8
	s_and_saveexec_b32 s12, s7
	s_cbranch_execz .LBB1644_93
; %bb.88:
	v_cmp_lt_u32_e64 s7, v37, v26
                                        ; implicit-def: $vgpr28
	s_and_saveexec_b32 s8, s7
; %bb.89:
	v_add_nc_u32_e32 v4, v11, v37
	ds_read_u8 v28, v4
; %bb.90:
	s_or_b32 exec_lo, exec_lo, s8
	v_cmp_ge_u32_e64 s8, v31, v27
	s_mov_b32 s10, exec_lo
                                        ; implicit-def: $vgpr29
	v_cmpx_lt_u32_e64 v31, v27
; %bb.91:
	v_add_nc_u32_e32 v4, v11, v31
	ds_read_u8 v29, v4
; %bb.92:
	s_or_b32 exec_lo, exec_lo, s10
	s_waitcnt lgkmcnt(0)
	v_cmp_le_u16_sdwa s9, v28, v29 src0_sel:BYTE_0 src1_sel:BYTE_0
	s_and_b32 s7, s7, s9
	s_or_b32 s7, s8, s7
	v_cndmask_b32_e64 v4, v31, v37, s7
	v_cndmask_b32_e64 v5, v27, v26, s7
	;; [unrolled: 1-line block ×3, first 2 shown]
	v_add_nc_u32_e32 v14, 1, v4
	v_add_nc_u32_e32 v5, -1, v5
	v_lshl_add_u32 v4, v4, 3, v9
	v_cndmask_b32_e64 v15, v37, v14, s7
	v_min_u32_e32 v5, v14, v5
	v_cmp_lt_u32_e64 s8, v15, v26
	v_add_nc_u32_e32 v5, v11, v5
	ds_read_u8 v5, v5
	s_waitcnt lgkmcnt(0)
	v_cndmask_b32_e64 v33, v5, v29, s7
	v_cndmask_b32_e64 v34, v28, v5, s7
	v_cndmask_b32_e64 v5, v14, v31, s7
	v_cmp_le_u16_sdwa s10, v34, v33 src0_sel:BYTE_0 src1_sel:BYTE_0
	v_cmp_ge_u32_e64 s9, v5, v27
	s_and_b32 s8, s8, s10
	s_or_b32 s8, s9, s8
	v_cndmask_b32_e64 v14, v5, v15, s8
	v_cndmask_b32_e64 v20, v27, v26, s8
	v_add_nc_u32_e32 v21, 1, v14
	v_add_nc_u32_e32 v20, -1, v20
	v_lshl_add_u32 v14, v14, 3, v9
	v_cndmask_b32_e64 v15, v15, v21, s8
	v_min_u32_e32 v20, v21, v20
	v_cndmask_b32_e64 v5, v21, v5, s8
	v_cmp_lt_u32_e64 s9, v15, v26
	v_add_nc_u32_e32 v20, v11, v20
	v_cmp_ge_u32_e64 s10, v5, v27
	ds_read_u8 v20, v20
	s_waitcnt lgkmcnt(0)
	v_cndmask_b32_e64 v31, v20, v33, s8
	v_cndmask_b32_e64 v35, v34, v20, s8
	;; [unrolled: 1-line block ×3, first 2 shown]
	v_cmp_le_u16_sdwa s11, v35, v31 src0_sel:BYTE_0 src1_sel:BYTE_0
	s_and_b32 s9, s9, s11
	s_or_b32 s9, s10, s9
	v_cndmask_b32_e64 v20, v5, v15, s9
	v_cndmask_b32_e64 v21, v27, v26, s9
	v_cndmask_b32_e64 v34, v31, v35, s9
	v_add_nc_u32_e32 v22, 1, v20
	v_add_nc_u32_e32 v21, -1, v21
	v_cndmask_b32_e64 v15, v15, v22, s9
	v_min_u32_e32 v21, v22, v21
	v_cndmask_b32_e64 v5, v22, v5, s9
	v_cmp_lt_u32_e64 s10, v15, v26
	v_add_nc_u32_e32 v21, v11, v21
	v_cmp_ge_u32_e64 s11, v5, v27
	ds_read_u8 v21, v21
	s_waitcnt lgkmcnt(0)
	v_cndmask_b32_e64 v37, v21, v31, s9
	v_cndmask_b32_e64 v38, v35, v21, s9
	v_cmp_le_u16_sdwa s13, v38, v37 src0_sel:BYTE_0 src1_sel:BYTE_0
	s_and_b32 s10, s10, s13
	s_or_b32 s10, s11, s10
	v_cndmask_b32_e64 v5, v5, v15, s10
	v_lshl_add_u32 v15, v20, 3, v9
	v_cndmask_b32_e64 v35, v37, v38, s10
	v_lshl_add_u32 v20, v5, 3, v9
	ds_read_b64 v[4:5], v4 offset:1024
	ds_read_b64 v[22:23], v14 offset:1024
	;; [unrolled: 1-line block ×4, first 2 shown]
.LBB1644_93:
	s_or_b32 exec_lo, exec_lo, s12
	v_and_b32_e32 v28, 0x70, v30
	v_and_b32_e32 v29, 12, v30
	s_mov_b32 s8, exec_lo
	; wave barrier
	v_or_b32_e32 v26, 8, v28
	v_min_u32_e32 v29, v16, v29
	ds_write_b8 v10, v36
	s_waitcnt lgkmcnt(4)
	ds_write_b64 v25, v[4:5]
	ds_write_b8 v17, v33
	s_waitcnt lgkmcnt(5)
	ds_write_b64 v18, v[22:23]
	;; [unrolled: 3-line block ×4, first 2 shown]
	v_min_u32_e32 v26, v16, v26
	; wave barrier
	v_add_nc_u32_e32 v27, 8, v26
	v_sub_nc_u32_e32 v37, v26, v28
	v_min_u32_e32 v27, v16, v27
	v_min_u32_e32 v37, v29, v37
	v_sub_nc_u32_e32 v31, v27, v26
	v_sub_nc_u32_e64 v31, v29, v31 clamp
	v_cmpx_lt_u32_e64 v31, v37
	s_cbranch_execz .LBB1644_97
; %bb.94:
	v_add_co_u32 v38, null, v11, v28
	v_add_co_u32 v39, null, v11, v26
	s_mov_b32 s9, 0
	.p2align	6
.LBB1644_95:                            ; =>This Inner Loop Header: Depth=1
	v_add_nc_u32_e32 v48, v37, v31
	v_lshrrev_b32_e32 v48, 1, v48
	v_not_b32_e32 v49, v48
	v_add_nc_u32_e32 v50, v38, v48
	v_add_nc_u32_e32 v51, 1, v48
	v_add3_u32 v49, v29, v49, v39
	ds_read_u8 v50, v50
	ds_read_u8 v49, v49
	s_waitcnt lgkmcnt(0)
	v_cmp_gt_u16_e64 s7, v50, v49
	v_cndmask_b32_e64 v37, v37, v48, s7
	v_cndmask_b32_e64 v31, v51, v31, s7
	v_cmp_ge_u32_e64 s7, v31, v37
	s_or_b32 s9, s7, s9
	s_andn2_b32 exec_lo, exec_lo, s9
	s_cbranch_execnz .LBB1644_95
; %bb.96:
	s_or_b32 exec_lo, exec_lo, s9
.LBB1644_97:
	s_or_b32 exec_lo, exec_lo, s8
	v_add_nc_u32_e32 v29, v26, v29
	v_add_nc_u32_e32 v37, v31, v28
	v_sub_nc_u32_e32 v31, v29, v31
	v_cmp_le_u32_e64 s7, v37, v26
	v_cmp_le_u32_e64 s8, v31, v27
	s_or_b32 s7, s7, s8
	s_and_saveexec_b32 s12, s7
	s_cbranch_execz .LBB1644_103
; %bb.98:
	v_cmp_lt_u32_e64 s7, v37, v26
                                        ; implicit-def: $vgpr28
	s_and_saveexec_b32 s8, s7
; %bb.99:
	v_add_nc_u32_e32 v4, v11, v37
	ds_read_u8 v28, v4
; %bb.100:
	s_or_b32 exec_lo, exec_lo, s8
	v_cmp_ge_u32_e64 s8, v31, v27
	s_mov_b32 s10, exec_lo
                                        ; implicit-def: $vgpr29
	v_cmpx_lt_u32_e64 v31, v27
; %bb.101:
	v_add_nc_u32_e32 v4, v11, v31
	ds_read_u8 v29, v4
; %bb.102:
	s_or_b32 exec_lo, exec_lo, s10
	s_waitcnt lgkmcnt(0)
	v_cmp_le_u16_sdwa s9, v28, v29 src0_sel:BYTE_0 src1_sel:BYTE_0
	s_and_b32 s7, s7, s9
	s_or_b32 s7, s8, s7
	v_cndmask_b32_e64 v4, v31, v37, s7
	v_cndmask_b32_e64 v5, v27, v26, s7
	v_cndmask_b32_e64 v36, v29, v28, s7
	v_add_nc_u32_e32 v14, 1, v4
	v_add_nc_u32_e32 v5, -1, v5
	v_lshl_add_u32 v4, v4, 3, v9
	v_cndmask_b32_e64 v15, v37, v14, s7
	v_min_u32_e32 v5, v14, v5
	v_cmp_lt_u32_e64 s8, v15, v26
	v_add_nc_u32_e32 v5, v11, v5
	ds_read_u8 v5, v5
	s_waitcnt lgkmcnt(0)
	v_cndmask_b32_e64 v33, v5, v29, s7
	v_cndmask_b32_e64 v34, v28, v5, s7
	;; [unrolled: 1-line block ×3, first 2 shown]
	v_cmp_le_u16_sdwa s10, v34, v33 src0_sel:BYTE_0 src1_sel:BYTE_0
	v_cmp_ge_u32_e64 s9, v5, v27
	s_and_b32 s8, s8, s10
	s_or_b32 s8, s9, s8
	v_cndmask_b32_e64 v14, v5, v15, s8
	v_cndmask_b32_e64 v20, v27, v26, s8
	v_add_nc_u32_e32 v21, 1, v14
	v_add_nc_u32_e32 v20, -1, v20
	v_lshl_add_u32 v14, v14, 3, v9
	v_cndmask_b32_e64 v15, v15, v21, s8
	v_min_u32_e32 v20, v21, v20
	v_cndmask_b32_e64 v5, v21, v5, s8
	v_cmp_lt_u32_e64 s9, v15, v26
	v_add_nc_u32_e32 v20, v11, v20
	v_cmp_ge_u32_e64 s10, v5, v27
	ds_read_u8 v20, v20
	s_waitcnt lgkmcnt(0)
	v_cndmask_b32_e64 v31, v20, v33, s8
	v_cndmask_b32_e64 v35, v34, v20, s8
	v_cndmask_b32_e64 v33, v33, v34, s8
	v_cmp_le_u16_sdwa s11, v35, v31 src0_sel:BYTE_0 src1_sel:BYTE_0
	s_and_b32 s9, s9, s11
	s_or_b32 s9, s10, s9
	v_cndmask_b32_e64 v20, v5, v15, s9
	v_cndmask_b32_e64 v21, v27, v26, s9
	;; [unrolled: 1-line block ×3, first 2 shown]
	v_add_nc_u32_e32 v22, 1, v20
	v_add_nc_u32_e32 v21, -1, v21
	v_cndmask_b32_e64 v15, v15, v22, s9
	v_min_u32_e32 v21, v22, v21
	v_cndmask_b32_e64 v5, v22, v5, s9
	v_cmp_lt_u32_e64 s10, v15, v26
	v_add_nc_u32_e32 v21, v11, v21
	v_cmp_ge_u32_e64 s11, v5, v27
	ds_read_u8 v21, v21
	s_waitcnt lgkmcnt(0)
	v_cndmask_b32_e64 v37, v21, v31, s9
	v_cndmask_b32_e64 v38, v35, v21, s9
	v_cmp_le_u16_sdwa s13, v38, v37 src0_sel:BYTE_0 src1_sel:BYTE_0
	s_and_b32 s10, s10, s13
	s_or_b32 s10, s11, s10
	v_cndmask_b32_e64 v5, v5, v15, s10
	v_lshl_add_u32 v15, v20, 3, v9
	v_cndmask_b32_e64 v35, v37, v38, s10
	v_lshl_add_u32 v20, v5, 3, v9
	ds_read_b64 v[4:5], v4 offset:1024
	ds_read_b64 v[22:23], v14 offset:1024
	;; [unrolled: 1-line block ×4, first 2 shown]
.LBB1644_103:
	s_or_b32 exec_lo, exec_lo, s12
	v_and_b32_e32 v28, 0x60, v30
	v_and_b32_e32 v29, 28, v30
	s_mov_b32 s8, exec_lo
	; wave barrier
	v_or_b32_e32 v26, 16, v28
	v_min_u32_e32 v29, v16, v29
	ds_write_b8 v10, v36
	s_waitcnt lgkmcnt(4)
	ds_write_b64 v25, v[4:5]
	ds_write_b8 v17, v33
	s_waitcnt lgkmcnt(5)
	ds_write_b64 v18, v[22:23]
	;; [unrolled: 3-line block ×4, first 2 shown]
	v_min_u32_e32 v26, v16, v26
	; wave barrier
	v_add_nc_u32_e32 v27, 16, v26
	v_sub_nc_u32_e32 v37, v26, v28
	v_min_u32_e32 v27, v16, v27
	v_min_u32_e32 v37, v29, v37
	v_sub_nc_u32_e32 v31, v27, v26
	v_sub_nc_u32_e64 v31, v29, v31 clamp
	v_cmpx_lt_u32_e64 v31, v37
	s_cbranch_execz .LBB1644_107
; %bb.104:
	v_add_co_u32 v38, null, v11, v28
	v_add_co_u32 v39, null, v11, v26
	s_mov_b32 s9, 0
	.p2align	6
.LBB1644_105:                           ; =>This Inner Loop Header: Depth=1
	v_add_nc_u32_e32 v48, v37, v31
	v_lshrrev_b32_e32 v48, 1, v48
	v_not_b32_e32 v49, v48
	v_add_nc_u32_e32 v50, v38, v48
	v_add_nc_u32_e32 v51, 1, v48
	v_add3_u32 v49, v29, v49, v39
	ds_read_u8 v50, v50
	ds_read_u8 v49, v49
	s_waitcnt lgkmcnt(0)
	v_cmp_gt_u16_e64 s7, v50, v49
	v_cndmask_b32_e64 v37, v37, v48, s7
	v_cndmask_b32_e64 v31, v51, v31, s7
	v_cmp_ge_u32_e64 s7, v31, v37
	s_or_b32 s9, s7, s9
	s_andn2_b32 exec_lo, exec_lo, s9
	s_cbranch_execnz .LBB1644_105
; %bb.106:
	s_or_b32 exec_lo, exec_lo, s9
.LBB1644_107:
	s_or_b32 exec_lo, exec_lo, s8
	v_add_nc_u32_e32 v29, v26, v29
	v_add_nc_u32_e32 v37, v31, v28
	v_sub_nc_u32_e32 v31, v29, v31
	v_cmp_le_u32_e64 s7, v37, v26
	v_cmp_le_u32_e64 s8, v31, v27
	s_or_b32 s7, s7, s8
	s_and_saveexec_b32 s12, s7
	s_cbranch_execz .LBB1644_113
; %bb.108:
	v_cmp_lt_u32_e64 s7, v37, v26
                                        ; implicit-def: $vgpr28
	s_and_saveexec_b32 s8, s7
; %bb.109:
	v_add_nc_u32_e32 v4, v11, v37
	ds_read_u8 v28, v4
; %bb.110:
	s_or_b32 exec_lo, exec_lo, s8
	v_cmp_ge_u32_e64 s8, v31, v27
	s_mov_b32 s10, exec_lo
                                        ; implicit-def: $vgpr29
	v_cmpx_lt_u32_e64 v31, v27
; %bb.111:
	v_add_nc_u32_e32 v4, v11, v31
	ds_read_u8 v29, v4
; %bb.112:
	s_or_b32 exec_lo, exec_lo, s10
	s_waitcnt lgkmcnt(0)
	v_cmp_le_u16_sdwa s9, v28, v29 src0_sel:BYTE_0 src1_sel:BYTE_0
	s_and_b32 s7, s7, s9
	s_or_b32 s7, s8, s7
	v_cndmask_b32_e64 v4, v31, v37, s7
	v_cndmask_b32_e64 v5, v27, v26, s7
	;; [unrolled: 1-line block ×3, first 2 shown]
	v_add_nc_u32_e32 v14, 1, v4
	v_add_nc_u32_e32 v5, -1, v5
	v_lshl_add_u32 v4, v4, 3, v9
	v_cndmask_b32_e64 v15, v37, v14, s7
	v_min_u32_e32 v5, v14, v5
	v_cmp_lt_u32_e64 s8, v15, v26
	v_add_nc_u32_e32 v5, v11, v5
	ds_read_u8 v5, v5
	s_waitcnt lgkmcnt(0)
	v_cndmask_b32_e64 v33, v5, v29, s7
	v_cndmask_b32_e64 v34, v28, v5, s7
	;; [unrolled: 1-line block ×3, first 2 shown]
	v_cmp_le_u16_sdwa s10, v34, v33 src0_sel:BYTE_0 src1_sel:BYTE_0
	v_cmp_ge_u32_e64 s9, v5, v27
	s_and_b32 s8, s8, s10
	s_or_b32 s8, s9, s8
	v_cndmask_b32_e64 v14, v5, v15, s8
	v_cndmask_b32_e64 v20, v27, v26, s8
	v_add_nc_u32_e32 v21, 1, v14
	v_add_nc_u32_e32 v20, -1, v20
	v_lshl_add_u32 v14, v14, 3, v9
	v_cndmask_b32_e64 v15, v15, v21, s8
	v_min_u32_e32 v20, v21, v20
	v_cndmask_b32_e64 v5, v21, v5, s8
	v_cmp_lt_u32_e64 s9, v15, v26
	v_add_nc_u32_e32 v20, v11, v20
	v_cmp_ge_u32_e64 s10, v5, v27
	ds_read_u8 v20, v20
	s_waitcnt lgkmcnt(0)
	v_cndmask_b32_e64 v31, v20, v33, s8
	v_cndmask_b32_e64 v35, v34, v20, s8
	;; [unrolled: 1-line block ×3, first 2 shown]
	v_cmp_le_u16_sdwa s11, v35, v31 src0_sel:BYTE_0 src1_sel:BYTE_0
	s_and_b32 s9, s9, s11
	s_or_b32 s9, s10, s9
	v_cndmask_b32_e64 v20, v5, v15, s9
	v_cndmask_b32_e64 v21, v27, v26, s9
	;; [unrolled: 1-line block ×3, first 2 shown]
	v_add_nc_u32_e32 v22, 1, v20
	v_add_nc_u32_e32 v21, -1, v21
	v_cndmask_b32_e64 v15, v15, v22, s9
	v_min_u32_e32 v21, v22, v21
	v_cndmask_b32_e64 v5, v22, v5, s9
	v_cmp_lt_u32_e64 s10, v15, v26
	v_add_nc_u32_e32 v21, v11, v21
	v_cmp_ge_u32_e64 s11, v5, v27
	ds_read_u8 v21, v21
	s_waitcnt lgkmcnt(0)
	v_cndmask_b32_e64 v37, v21, v31, s9
	v_cndmask_b32_e64 v38, v35, v21, s9
	v_cmp_le_u16_sdwa s13, v38, v37 src0_sel:BYTE_0 src1_sel:BYTE_0
	s_and_b32 s10, s10, s13
	s_or_b32 s10, s11, s10
	v_cndmask_b32_e64 v5, v5, v15, s10
	v_lshl_add_u32 v15, v20, 3, v9
	v_cndmask_b32_e64 v35, v37, v38, s10
	v_lshl_add_u32 v20, v5, 3, v9
	ds_read_b64 v[4:5], v4 offset:1024
	ds_read_b64 v[22:23], v14 offset:1024
	;; [unrolled: 1-line block ×4, first 2 shown]
.LBB1644_113:
	s_or_b32 exec_lo, exec_lo, s12
	v_and_b32_e32 v28, 64, v30
	v_and_b32_e32 v29, 60, v30
	s_mov_b32 s8, exec_lo
	; wave barrier
	v_or_b32_e32 v26, 32, v28
	v_min_u32_e32 v29, v16, v29
	ds_write_b8 v10, v36
	s_waitcnt lgkmcnt(4)
	ds_write_b64 v25, v[4:5]
	ds_write_b8 v17, v33
	s_waitcnt lgkmcnt(5)
	ds_write_b64 v18, v[22:23]
	;; [unrolled: 3-line block ×4, first 2 shown]
	v_min_u32_e32 v26, v16, v26
	; wave barrier
	v_add_nc_u32_e32 v27, 32, v26
	v_sub_nc_u32_e32 v37, v26, v28
	v_min_u32_e32 v27, v16, v27
	v_min_u32_e32 v37, v29, v37
	v_sub_nc_u32_e32 v31, v27, v26
	v_sub_nc_u32_e64 v31, v29, v31 clamp
	v_cmpx_lt_u32_e64 v31, v37
	s_cbranch_execz .LBB1644_117
; %bb.114:
	v_add_co_u32 v38, null, v11, v28
	v_add_co_u32 v39, null, v11, v26
	s_mov_b32 s9, 0
	.p2align	6
.LBB1644_115:                           ; =>This Inner Loop Header: Depth=1
	v_add_nc_u32_e32 v48, v37, v31
	v_lshrrev_b32_e32 v48, 1, v48
	v_not_b32_e32 v49, v48
	v_add_nc_u32_e32 v50, v38, v48
	v_add_nc_u32_e32 v51, 1, v48
	v_add3_u32 v49, v29, v49, v39
	ds_read_u8 v50, v50
	ds_read_u8 v49, v49
	s_waitcnt lgkmcnt(0)
	v_cmp_gt_u16_e64 s7, v50, v49
	v_cndmask_b32_e64 v37, v37, v48, s7
	v_cndmask_b32_e64 v31, v51, v31, s7
	v_cmp_ge_u32_e64 s7, v31, v37
	s_or_b32 s9, s7, s9
	s_andn2_b32 exec_lo, exec_lo, s9
	s_cbranch_execnz .LBB1644_115
; %bb.116:
	s_or_b32 exec_lo, exec_lo, s9
.LBB1644_117:
	s_or_b32 exec_lo, exec_lo, s8
	v_add_nc_u32_e32 v29, v26, v29
	v_add_nc_u32_e32 v37, v31, v28
	v_sub_nc_u32_e32 v31, v29, v31
	v_cmp_le_u32_e64 s7, v37, v26
	v_cmp_le_u32_e64 s8, v31, v27
	s_or_b32 s7, s7, s8
	s_and_saveexec_b32 s12, s7
	s_cbranch_execz .LBB1644_123
; %bb.118:
	v_cmp_lt_u32_e64 s7, v37, v26
                                        ; implicit-def: $vgpr28
	s_and_saveexec_b32 s8, s7
; %bb.119:
	v_add_nc_u32_e32 v4, v11, v37
	ds_read_u8 v28, v4
; %bb.120:
	s_or_b32 exec_lo, exec_lo, s8
	v_cmp_ge_u32_e64 s8, v31, v27
	s_mov_b32 s10, exec_lo
                                        ; implicit-def: $vgpr29
	v_cmpx_lt_u32_e64 v31, v27
; %bb.121:
	v_add_nc_u32_e32 v4, v11, v31
	ds_read_u8 v29, v4
; %bb.122:
	s_or_b32 exec_lo, exec_lo, s10
	s_waitcnt lgkmcnt(0)
	v_cmp_le_u16_sdwa s9, v28, v29 src0_sel:BYTE_0 src1_sel:BYTE_0
	s_and_b32 s7, s7, s9
	s_or_b32 s7, s8, s7
	v_cndmask_b32_e64 v4, v31, v37, s7
	v_cndmask_b32_e64 v5, v27, v26, s7
	v_cndmask_b32_e64 v36, v29, v28, s7
	v_add_nc_u32_e32 v14, 1, v4
	v_add_nc_u32_e32 v5, -1, v5
	v_lshl_add_u32 v4, v4, 3, v9
	v_cndmask_b32_e64 v15, v37, v14, s7
	v_min_u32_e32 v5, v14, v5
	v_cmp_lt_u32_e64 s8, v15, v26
	v_add_nc_u32_e32 v5, v11, v5
	ds_read_u8 v5, v5
	s_waitcnt lgkmcnt(0)
	v_cndmask_b32_e64 v33, v5, v29, s7
	v_cndmask_b32_e64 v34, v28, v5, s7
	;; [unrolled: 1-line block ×3, first 2 shown]
	v_cmp_le_u16_sdwa s10, v34, v33 src0_sel:BYTE_0 src1_sel:BYTE_0
	v_cmp_ge_u32_e64 s9, v5, v27
	s_and_b32 s8, s8, s10
	s_or_b32 s8, s9, s8
	v_cndmask_b32_e64 v14, v5, v15, s8
	v_cndmask_b32_e64 v20, v27, v26, s8
	v_add_nc_u32_e32 v21, 1, v14
	v_add_nc_u32_e32 v20, -1, v20
	v_lshl_add_u32 v14, v14, 3, v9
	v_cndmask_b32_e64 v15, v15, v21, s8
	v_min_u32_e32 v20, v21, v20
	v_cndmask_b32_e64 v5, v21, v5, s8
	v_cmp_lt_u32_e64 s9, v15, v26
	v_add_nc_u32_e32 v20, v11, v20
	v_cmp_ge_u32_e64 s10, v5, v27
	ds_read_u8 v20, v20
	s_waitcnt lgkmcnt(0)
	v_cndmask_b32_e64 v31, v20, v33, s8
	v_cndmask_b32_e64 v35, v34, v20, s8
	;; [unrolled: 1-line block ×3, first 2 shown]
	v_cmp_le_u16_sdwa s11, v35, v31 src0_sel:BYTE_0 src1_sel:BYTE_0
	s_and_b32 s9, s9, s11
	s_or_b32 s9, s10, s9
	v_cndmask_b32_e64 v20, v5, v15, s9
	v_cndmask_b32_e64 v21, v27, v26, s9
	;; [unrolled: 1-line block ×3, first 2 shown]
	v_add_nc_u32_e32 v22, 1, v20
	v_add_nc_u32_e32 v21, -1, v21
	v_cndmask_b32_e64 v15, v15, v22, s9
	v_min_u32_e32 v21, v22, v21
	v_cndmask_b32_e64 v5, v22, v5, s9
	v_cmp_lt_u32_e64 s10, v15, v26
	v_add_nc_u32_e32 v21, v11, v21
	v_cmp_ge_u32_e64 s11, v5, v27
	ds_read_u8 v21, v21
	s_waitcnt lgkmcnt(0)
	v_cndmask_b32_e64 v37, v21, v31, s9
	v_cndmask_b32_e64 v38, v35, v21, s9
	v_cmp_le_u16_sdwa s13, v38, v37 src0_sel:BYTE_0 src1_sel:BYTE_0
	s_and_b32 s10, s10, s13
	s_or_b32 s10, s11, s10
	v_cndmask_b32_e64 v5, v5, v15, s10
	v_lshl_add_u32 v15, v20, 3, v9
	v_cndmask_b32_e64 v35, v37, v38, s10
	v_lshl_add_u32 v20, v5, 3, v9
	ds_read_b64 v[4:5], v4 offset:1024
	ds_read_b64 v[22:23], v14 offset:1024
	;; [unrolled: 1-line block ×4, first 2 shown]
.LBB1644_123:
	s_or_b32 exec_lo, exec_lo, s12
	v_min_u32_e32 v26, 64, v16
	; wave barrier
	ds_write_b8 v10, v36
	s_waitcnt lgkmcnt(4)
	ds_write_b64 v25, v[4:5]
	s_mov_b32 s8, exec_lo
	v_add_nc_u32_e32 v27, 64, v26
	ds_write_b8 v17, v33
	s_waitcnt lgkmcnt(5)
	ds_write_b64 v18, v[22:23]
	ds_write_b8 v19, v34
	s_waitcnt lgkmcnt(6)
	ds_write_b64 v24, v[14:15]
	;; [unrolled: 3-line block ×3, first 2 shown]
	; wave barrier
	v_min_u32_e32 v27, v16, v27
	v_min_u32_e32 v16, v16, v30
	v_sub_nc_u32_e32 v28, v27, v26
	v_min_u32_e32 v25, v16, v26
	v_sub_nc_u32_e64 v10, v16, v28 clamp
	v_cmpx_lt_u32_e64 v10, v25
	s_cbranch_execz .LBB1644_127
; %bb.124:
	v_add_co_u32 v12, null, v11, v26
	s_mov_b32 s9, 0
	.p2align	6
.LBB1644_125:                           ; =>This Inner Loop Header: Depth=1
	v_add_nc_u32_e32 v13, v25, v10
	v_lshrrev_b32_e32 v13, 1, v13
	v_not_b32_e32 v17, v13
	v_add_nc_u32_e32 v18, v11, v13
	v_add_nc_u32_e32 v19, 1, v13
	v_add3_u32 v17, v16, v17, v12
	ds_read_u8 v18, v18
	ds_read_u8 v17, v17
	s_waitcnt lgkmcnt(0)
	v_cmp_gt_u16_e64 s7, v18, v17
	v_cndmask_b32_e64 v25, v25, v13, s7
	v_cndmask_b32_e64 v10, v19, v10, s7
	v_cmp_ge_u32_e64 s7, v10, v25
	s_or_b32 s9, s7, s9
	s_andn2_b32 exec_lo, exec_lo, s9
	s_cbranch_execnz .LBB1644_125
; %bb.126:
	s_or_b32 exec_lo, exec_lo, s9
.LBB1644_127:
	s_or_b32 exec_lo, exec_lo, s8
	v_add_nc_u32_e32 v12, v26, v16
	v_cmp_le_u32_e64 s7, v10, v26
	v_sub_nc_u32_e32 v16, v12, v10
	v_cmp_le_u32_e64 s8, v16, v27
	s_or_b32 s7, s7, s8
	s_and_saveexec_b32 s12, s7
	s_cbranch_execz .LBB1644_133
; %bb.128:
	v_cmp_lt_u32_e64 s7, v10, v26
                                        ; implicit-def: $vgpr12
	s_and_saveexec_b32 s8, s7
; %bb.129:
	v_add_nc_u32_e32 v4, v11, v10
	ds_read_u8 v12, v4
; %bb.130:
	s_or_b32 exec_lo, exec_lo, s8
	v_cmp_ge_u32_e64 s8, v16, v27
	s_mov_b32 s10, exec_lo
                                        ; implicit-def: $vgpr13
	v_cmpx_lt_u32_e64 v16, v27
; %bb.131:
	v_add_nc_u32_e32 v4, v11, v16
	ds_read_u8 v13, v4
; %bb.132:
	s_or_b32 exec_lo, exec_lo, s10
	s_waitcnt lgkmcnt(0)
	v_cmp_le_u16_sdwa s9, v12, v13 src0_sel:BYTE_0 src1_sel:BYTE_0
	s_and_b32 s7, s7, s9
	s_or_b32 s7, s8, s7
	v_cndmask_b32_e64 v4, v16, v10, s7
	v_cndmask_b32_e64 v5, v27, v26, s7
	;; [unrolled: 1-line block ×3, first 2 shown]
	v_add_nc_u32_e32 v14, 1, v4
	v_add_nc_u32_e32 v5, -1, v5
	v_lshl_add_u32 v4, v4, 3, v9
	v_cndmask_b32_e64 v10, v10, v14, s7
	v_min_u32_e32 v5, v14, v5
	v_cmp_lt_u32_e64 s8, v10, v26
	v_add_nc_u32_e32 v5, v11, v5
	ds_read_u8 v5, v5
	s_waitcnt lgkmcnt(0)
	v_cndmask_b32_e64 v17, v5, v13, s7
	v_cndmask_b32_e64 v18, v12, v5, s7
	;; [unrolled: 1-line block ×3, first 2 shown]
	v_cmp_le_u16_sdwa s10, v18, v17 src0_sel:BYTE_0 src1_sel:BYTE_0
	v_cmp_ge_u32_e64 s9, v5, v27
	s_and_b32 s8, s8, s10
	s_or_b32 s8, s9, s8
	v_cndmask_b32_e64 v14, v5, v10, s8
	v_cndmask_b32_e64 v15, v27, v26, s8
	;; [unrolled: 1-line block ×3, first 2 shown]
	v_add_nc_u32_e32 v16, 1, v14
	v_add_nc_u32_e32 v15, -1, v15
	v_cndmask_b32_e64 v10, v10, v16, s8
	v_min_u32_e32 v15, v16, v15
	v_cndmask_b32_e64 v5, v16, v5, s8
	v_cmp_lt_u32_e64 s9, v10, v26
	v_add_nc_u32_e32 v15, v11, v15
	v_cmp_ge_u32_e64 s10, v5, v27
	ds_read_u8 v15, v15
	s_waitcnt lgkmcnt(0)
	v_cndmask_b32_e64 v19, v15, v17, s8
	v_cndmask_b32_e64 v24, v18, v15, s8
	v_cmp_le_u16_sdwa s11, v24, v19 src0_sel:BYTE_0 src1_sel:BYTE_0
	s_and_b32 s9, s9, s11
	s_or_b32 s9, s10, s9
	v_cndmask_b32_e64 v15, v5, v10, s9
	v_cndmask_b32_e64 v16, v27, v26, s9
	;; [unrolled: 1-line block ×3, first 2 shown]
	v_add_nc_u32_e32 v20, 1, v15
	v_add_nc_u32_e32 v16, -1, v16
	v_cndmask_b32_e64 v10, v10, v20, s9
	v_min_u32_e32 v16, v20, v16
	v_cndmask_b32_e64 v5, v20, v5, s9
	v_cmp_lt_u32_e64 s10, v10, v26
	v_add_nc_u32_e32 v11, v11, v16
	v_cmp_ge_u32_e64 s11, v5, v27
	ds_read_u8 v11, v11
	s_waitcnt lgkmcnt(0)
	v_cndmask_b32_e64 v16, v11, v19, s9
	v_cndmask_b32_e64 v11, v24, v11, s9
	v_cmp_le_u16_sdwa s13, v11, v16 src0_sel:BYTE_0 src1_sel:BYTE_0
	s_and_b32 s10, s10, s13
	s_or_b32 s10, s11, s10
	v_cndmask_b32_e64 v5, v5, v10, s10
	v_lshl_add_u32 v10, v14, 3, v9
	v_lshl_add_u32 v14, v15, 3, v9
	v_cndmask_b32_e64 v35, v16, v11, s10
	v_lshl_add_u32 v9, v5, 3, v9
	ds_read_b64 v[4:5], v4 offset:1024
	ds_read_b64 v[22:23], v10 offset:1024
	;; [unrolled: 1-line block ×4, first 2 shown]
.LBB1644_133:
	s_or_b32 exec_lo, exec_lo, s12
	; wave barrier
	s_waitcnt lgkmcnt(0)
	s_waitcnt_vscnt null, 0x0
	s_barrier
	buffer_gl0_inv
.LBB1644_134:
	s_or_b32 exec_lo, exec_lo, s14
	v_add_co_u32 v2, s7, v2, v8
	v_add_co_ci_u32_e64 v3, null, 0, v3, s7
	v_add_co_u32 v2, s7, v2, v30
	v_add_co_ci_u32_e64 v3, null, 0, v3, s7
	; wave barrier
	s_and_saveexec_b32 s7, vcc_lo
	s_cbranch_execnz .LBB1644_144
; %bb.135:
	s_or_b32 exec_lo, exec_lo, s7
	s_and_saveexec_b32 s7, s4
	s_cbranch_execnz .LBB1644_145
.LBB1644_136:
	s_or_b32 exec_lo, exec_lo, s7
	s_and_saveexec_b32 s7, s5
	s_cbranch_execnz .LBB1644_146
.LBB1644_137:
	s_or_b32 exec_lo, exec_lo, s7
	s_and_saveexec_b32 s7, s6
	s_cbranch_execz .LBB1644_139
.LBB1644_138:
	s_waitcnt vmcnt(0) lgkmcnt(0)
	flat_store_byte v[2:3], v35 offset:3
.LBB1644_139:
	s_or_b32 exec_lo, exec_lo, s7
	v_add_co_u32 v0, s7, v6, v0
	v_add_co_ci_u32_e64 v1, null, v7, v1, s7
	v_add_co_u32 v0, s7, v0, v32
	v_add_co_ci_u32_e64 v1, null, 0, v1, s7
	; wave barrier
	s_and_saveexec_b32 s7, vcc_lo
	s_cbranch_execnz .LBB1644_147
; %bb.140:
	s_or_b32 exec_lo, exec_lo, s7
	s_and_saveexec_b32 s7, s4
	s_cbranch_execnz .LBB1644_148
.LBB1644_141:
	s_or_b32 exec_lo, exec_lo, s7
	s_and_saveexec_b32 s4, s5
	s_cbranch_execnz .LBB1644_149
.LBB1644_142:
	s_or_b32 exec_lo, exec_lo, s4
	s_and_saveexec_b32 s4, s6
	s_cbranch_execnz .LBB1644_150
.LBB1644_143:
	s_or_b32 exec_lo, exec_lo, s4
	s_waitcnt vmcnt(0) lgkmcnt(0)
	s_setpc_b64 s[30:31]
.LBB1644_144:
	s_waitcnt vmcnt(0) lgkmcnt(0)
	flat_store_byte v[2:3], v36
	s_or_b32 exec_lo, exec_lo, s7
	s_and_saveexec_b32 s7, s4
	s_cbranch_execz .LBB1644_136
.LBB1644_145:
	s_waitcnt vmcnt(0) lgkmcnt(0)
	flat_store_byte v[2:3], v33 offset:1
	s_or_b32 exec_lo, exec_lo, s7
	s_and_saveexec_b32 s7, s5
	s_cbranch_execz .LBB1644_137
.LBB1644_146:
	s_waitcnt vmcnt(0) lgkmcnt(0)
	flat_store_byte v[2:3], v34 offset:2
	s_or_b32 exec_lo, exec_lo, s7
	s_and_saveexec_b32 s7, s6
	s_cbranch_execnz .LBB1644_138
	s_branch .LBB1644_139
.LBB1644_147:
	s_waitcnt vmcnt(0) lgkmcnt(0)
	flat_store_dwordx2 v[0:1], v[4:5]
	s_or_b32 exec_lo, exec_lo, s7
	s_and_saveexec_b32 s7, s4
	s_cbranch_execz .LBB1644_141
.LBB1644_148:
	flat_store_dwordx2 v[0:1], v[22:23] offset:8
	s_or_b32 exec_lo, exec_lo, s7
	s_and_saveexec_b32 s4, s5
	s_cbranch_execz .LBB1644_142
.LBB1644_149:
	flat_store_dwordx2 v[0:1], v[14:15] offset:16
	s_or_b32 exec_lo, exec_lo, s4
	s_and_saveexec_b32 s4, s6
	s_cbranch_execz .LBB1644_143
.LBB1644_150:
	flat_store_dwordx2 v[0:1], v[20:21] offset:24
	s_or_b32 exec_lo, exec_lo, s4
	s_waitcnt vmcnt(0) lgkmcnt(0)
	s_setpc_b64 s[30:31]
.Lfunc_end1644:
	.size	_ZN7rocprim17ROCPRIM_400000_NS6detail26segmented_warp_sort_helperINS1_20WarpSortHelperConfigILj32ELj4ELj256EEEblLi256ELb0EvE4sortIPKbPbPKlPlEEvT_T0_T1_T2_jjjjRNS5_12storage_typeE, .Lfunc_end1644-_ZN7rocprim17ROCPRIM_400000_NS6detail26segmented_warp_sort_helperINS1_20WarpSortHelperConfigILj32ELj4ELj256EEEblLi256ELb0EvE4sortIPKbPbPKlPlEEvT_T0_T1_T2_jjjjRNS5_12storage_typeE
                                        ; -- End function
	.set .L_ZN7rocprim17ROCPRIM_400000_NS6detail26segmented_warp_sort_helperINS1_20WarpSortHelperConfigILj32ELj4ELj256EEEblLi256ELb0EvE4sortIPKbPbPKlPlEEvT_T0_T1_T2_jjjjRNS5_12storage_typeE.num_vgpr, 53
	.set .L_ZN7rocprim17ROCPRIM_400000_NS6detail26segmented_warp_sort_helperINS1_20WarpSortHelperConfigILj32ELj4ELj256EEEblLi256ELb0EvE4sortIPKbPbPKlPlEEvT_T0_T1_T2_jjjjRNS5_12storage_typeE.num_agpr, 0
	.set .L_ZN7rocprim17ROCPRIM_400000_NS6detail26segmented_warp_sort_helperINS1_20WarpSortHelperConfigILj32ELj4ELj256EEEblLi256ELb0EvE4sortIPKbPbPKlPlEEvT_T0_T1_T2_jjjjRNS5_12storage_typeE.numbered_sgpr, 33
	.set .L_ZN7rocprim17ROCPRIM_400000_NS6detail26segmented_warp_sort_helperINS1_20WarpSortHelperConfigILj32ELj4ELj256EEEblLi256ELb0EvE4sortIPKbPbPKlPlEEvT_T0_T1_T2_jjjjRNS5_12storage_typeE.num_named_barrier, 0
	.set .L_ZN7rocprim17ROCPRIM_400000_NS6detail26segmented_warp_sort_helperINS1_20WarpSortHelperConfigILj32ELj4ELj256EEEblLi256ELb0EvE4sortIPKbPbPKlPlEEvT_T0_T1_T2_jjjjRNS5_12storage_typeE.private_seg_size, 12
	.set .L_ZN7rocprim17ROCPRIM_400000_NS6detail26segmented_warp_sort_helperINS1_20WarpSortHelperConfigILj32ELj4ELj256EEEblLi256ELb0EvE4sortIPKbPbPKlPlEEvT_T0_T1_T2_jjjjRNS5_12storage_typeE.uses_vcc, 1
	.set .L_ZN7rocprim17ROCPRIM_400000_NS6detail26segmented_warp_sort_helperINS1_20WarpSortHelperConfigILj32ELj4ELj256EEEblLi256ELb0EvE4sortIPKbPbPKlPlEEvT_T0_T1_T2_jjjjRNS5_12storage_typeE.uses_flat_scratch, 0
	.set .L_ZN7rocprim17ROCPRIM_400000_NS6detail26segmented_warp_sort_helperINS1_20WarpSortHelperConfigILj32ELj4ELj256EEEblLi256ELb0EvE4sortIPKbPbPKlPlEEvT_T0_T1_T2_jjjjRNS5_12storage_typeE.has_dyn_sized_stack, 0
	.set .L_ZN7rocprim17ROCPRIM_400000_NS6detail26segmented_warp_sort_helperINS1_20WarpSortHelperConfigILj32ELj4ELj256EEEblLi256ELb0EvE4sortIPKbPbPKlPlEEvT_T0_T1_T2_jjjjRNS5_12storage_typeE.has_recursion, 0
	.set .L_ZN7rocprim17ROCPRIM_400000_NS6detail26segmented_warp_sort_helperINS1_20WarpSortHelperConfigILj32ELj4ELj256EEEblLi256ELb0EvE4sortIPKbPbPKlPlEEvT_T0_T1_T2_jjjjRNS5_12storage_typeE.has_indirect_call, 0
	.section	.AMDGPU.csdata,"",@progbits
; Function info:
; codeLenInByte = 11512
; TotalNumSgprs: 35
; NumVgprs: 53
; ScratchSize: 12
; MemoryBound: 1
	.section	.text._ZN7rocprim17ROCPRIM_400000_NS6detail17trampoline_kernelINS0_14default_configENS1_36segmented_radix_sort_config_selectorIblEEZNS1_25segmented_radix_sort_implIS3_Lb0EPKbPbPKlPlN2at6native12_GLOBAL__N_18offset_tEEE10hipError_tPvRmT1_PNSt15iterator_traitsISK_E10value_typeET2_T3_PNSL_ISQ_E10value_typeET4_jRbjT5_SW_jjP12ihipStream_tbEUlT_E0_NS1_11comp_targetILNS1_3genE8ELNS1_11target_archE1030ELNS1_3gpuE2ELNS1_3repE0EEENS1_60segmented_radix_sort_warp_sort_medium_config_static_selectorELNS0_4arch9wavefront6targetE0EEEvSK_,"axG",@progbits,_ZN7rocprim17ROCPRIM_400000_NS6detail17trampoline_kernelINS0_14default_configENS1_36segmented_radix_sort_config_selectorIblEEZNS1_25segmented_radix_sort_implIS3_Lb0EPKbPbPKlPlN2at6native12_GLOBAL__N_18offset_tEEE10hipError_tPvRmT1_PNSt15iterator_traitsISK_E10value_typeET2_T3_PNSL_ISQ_E10value_typeET4_jRbjT5_SW_jjP12ihipStream_tbEUlT_E0_NS1_11comp_targetILNS1_3genE8ELNS1_11target_archE1030ELNS1_3gpuE2ELNS1_3repE0EEENS1_60segmented_radix_sort_warp_sort_medium_config_static_selectorELNS0_4arch9wavefront6targetE0EEEvSK_,comdat
	.globl	_ZN7rocprim17ROCPRIM_400000_NS6detail17trampoline_kernelINS0_14default_configENS1_36segmented_radix_sort_config_selectorIblEEZNS1_25segmented_radix_sort_implIS3_Lb0EPKbPbPKlPlN2at6native12_GLOBAL__N_18offset_tEEE10hipError_tPvRmT1_PNSt15iterator_traitsISK_E10value_typeET2_T3_PNSL_ISQ_E10value_typeET4_jRbjT5_SW_jjP12ihipStream_tbEUlT_E0_NS1_11comp_targetILNS1_3genE8ELNS1_11target_archE1030ELNS1_3gpuE2ELNS1_3repE0EEENS1_60segmented_radix_sort_warp_sort_medium_config_static_selectorELNS0_4arch9wavefront6targetE0EEEvSK_ ; -- Begin function _ZN7rocprim17ROCPRIM_400000_NS6detail17trampoline_kernelINS0_14default_configENS1_36segmented_radix_sort_config_selectorIblEEZNS1_25segmented_radix_sort_implIS3_Lb0EPKbPbPKlPlN2at6native12_GLOBAL__N_18offset_tEEE10hipError_tPvRmT1_PNSt15iterator_traitsISK_E10value_typeET2_T3_PNSL_ISQ_E10value_typeET4_jRbjT5_SW_jjP12ihipStream_tbEUlT_E0_NS1_11comp_targetILNS1_3genE8ELNS1_11target_archE1030ELNS1_3gpuE2ELNS1_3repE0EEENS1_60segmented_radix_sort_warp_sort_medium_config_static_selectorELNS0_4arch9wavefront6targetE0EEEvSK_
	.p2align	8
	.type	_ZN7rocprim17ROCPRIM_400000_NS6detail17trampoline_kernelINS0_14default_configENS1_36segmented_radix_sort_config_selectorIblEEZNS1_25segmented_radix_sort_implIS3_Lb0EPKbPbPKlPlN2at6native12_GLOBAL__N_18offset_tEEE10hipError_tPvRmT1_PNSt15iterator_traitsISK_E10value_typeET2_T3_PNSL_ISQ_E10value_typeET4_jRbjT5_SW_jjP12ihipStream_tbEUlT_E0_NS1_11comp_targetILNS1_3genE8ELNS1_11target_archE1030ELNS1_3gpuE2ELNS1_3repE0EEENS1_60segmented_radix_sort_warp_sort_medium_config_static_selectorELNS0_4arch9wavefront6targetE0EEEvSK_,@function
_ZN7rocprim17ROCPRIM_400000_NS6detail17trampoline_kernelINS0_14default_configENS1_36segmented_radix_sort_config_selectorIblEEZNS1_25segmented_radix_sort_implIS3_Lb0EPKbPbPKlPlN2at6native12_GLOBAL__N_18offset_tEEE10hipError_tPvRmT1_PNSt15iterator_traitsISK_E10value_typeET2_T3_PNSL_ISQ_E10value_typeET4_jRbjT5_SW_jjP12ihipStream_tbEUlT_E0_NS1_11comp_targetILNS1_3genE8ELNS1_11target_archE1030ELNS1_3gpuE2ELNS1_3repE0EEENS1_60segmented_radix_sort_warp_sort_medium_config_static_selectorELNS0_4arch9wavefront6targetE0EEEvSK_: ; @_ZN7rocprim17ROCPRIM_400000_NS6detail17trampoline_kernelINS0_14default_configENS1_36segmented_radix_sort_config_selectorIblEEZNS1_25segmented_radix_sort_implIS3_Lb0EPKbPbPKlPlN2at6native12_GLOBAL__N_18offset_tEEE10hipError_tPvRmT1_PNSt15iterator_traitsISK_E10value_typeET2_T3_PNSL_ISQ_E10value_typeET4_jRbjT5_SW_jjP12ihipStream_tbEUlT_E0_NS1_11comp_targetILNS1_3genE8ELNS1_11target_archE1030ELNS1_3gpuE2ELNS1_3repE0EEENS1_60segmented_radix_sort_warp_sort_medium_config_static_selectorELNS0_4arch9wavefront6targetE0EEEvSK_
; %bb.0:
	s_add_u32 s0, s0, s8
	s_load_dword s8, s[4:5], 0x64
	s_addc_u32 s1, s1, 0
	s_mov_b32 s32, 0
	s_waitcnt lgkmcnt(0)
	s_lshr_b32 s9, s8, 16
	s_and_b32 s8, s8, 0xffff
	v_mad_u32_u24 v3, v2, s9, v1
	s_load_dword s9, s[4:5], 0x34
	v_mad_u64_u32 v[3:4], null, v3, s8, v[0:1]
	s_mov_b32 s8, exec_lo
	v_lshrrev_b32_e32 v3, 5, v3
	v_lshl_add_u32 v3, s6, 3, v3
	s_waitcnt lgkmcnt(0)
	v_cmpx_gt_u32_e64 s9, v3
	s_cbranch_execz .LBB1645_6
; %bb.1:
	s_clause 0x1
	s_load_dwordx2 s[12:13], s[4:5], 0x38
	s_load_dwordx4 s[8:11], s[4:5], 0x40
	v_mov_b32_e32 v4, 0
	v_lshlrev_b64 v[3:4], 2, v[3:4]
	s_waitcnt lgkmcnt(0)
	v_add_co_u32 v3, vcc_lo, s12, v3
	v_add_co_ci_u32_e64 v4, null, s13, v4, vcc_lo
	global_load_dword v3, v[3:4], off
	s_waitcnt vmcnt(0)
	v_add_nc_u32_e32 v4, s9, v3
	v_add_nc_u32_e32 v3, s11, v3
	v_mul_lo_u32 v8, v4, s8
	v_mul_lo_u32 v40, v3, s10
	v_cmp_gt_u32_e32 vcc_lo, v40, v8
	s_and_b32 exec_lo, exec_lo, vcc_lo
	s_cbranch_execz .LBB1645_6
; %bb.2:
	s_clause 0x3
	s_load_dword s8, s[4:5], 0x30
	s_load_dwordx4 s[36:39], s[4:5], 0x20
	s_load_dwordx8 s[20:27], s[4:5], 0x0
	s_load_dwordx2 s[28:29], s[4:5], 0x50
	v_lshlrev_b32_e32 v42, 20, v2
	v_lshlrev_b32_e32 v43, 10, v1
	s_waitcnt lgkmcnt(0)
	s_bitcmp0_b32 s8, 0
	s_mov_b32 s8, -1
	s_cbranch_scc0 .LBB1645_4
; %bb.3:
	s_mov_b64 s[10:11], src_shared_base
	v_or3_b32 v31, v0, v43, v42
	v_mov_b32_e32 v41, v0
	v_mov_b32_e32 v0, s20
	;; [unrolled: 1-line block ×14, first 2 shown]
	s_add_u32 s8, s4, 0x58
	s_addc_u32 s9, s5, 0
	s_getpc_b64 s[14:15]
	s_add_u32 s14, s14, _ZN7rocprim17ROCPRIM_400000_NS6detail26segmented_warp_sort_helperINS1_20WarpSortHelperConfigILj32ELj4ELj256EEEblLi256ELb0EvE4sortIPKbPbPKlPlEEvT_T0_T1_T2_jjjjRNS5_12storage_typeE@rel32@lo+4
	s_addc_u32 s15, s15, _ZN7rocprim17ROCPRIM_400000_NS6detail26segmented_warp_sort_helperINS1_20WarpSortHelperConfigILj32ELj4ELj256EEEblLi256ELb0EvE4sortIPKbPbPKlPlEEvT_T0_T1_T2_jjjjRNS5_12storage_typeE@rel32@hi+12
	s_mov_b32 s12, s6
	s_mov_b32 s13, s7
	s_mov_b64 s[22:23], s[4:5]
	s_mov_b32 s19, s7
	s_mov_b32 s33, s6
	s_swappc_b64 s[30:31], s[14:15]
	v_mov_b32_e32 v0, v41
	s_mov_b32 s6, s33
	s_mov_b32 s7, s19
	s_mov_b64 s[4:5], s[22:23]
	s_mov_b32 s8, 0
.LBB1645_4:
	s_andn2_b32 vcc_lo, exec_lo, s8
	s_cbranch_vccnz .LBB1645_6
; %bb.5:
	s_mov_b64 s[10:11], src_shared_base
	v_or3_b32 v31, v0, v43, v42
	v_mov_b32_e32 v0, s20
	v_mov_b32_e32 v1, s21
	;; [unrolled: 1-line block ×13, first 2 shown]
	s_add_u32 s8, s4, 0x58
	s_addc_u32 s9, s5, 0
	s_getpc_b64 s[4:5]
	s_add_u32 s4, s4, _ZN7rocprim17ROCPRIM_400000_NS6detail26segmented_warp_sort_helperINS1_20WarpSortHelperConfigILj32ELj4ELj256EEEblLi256ELb0EvE4sortIPKbPbPKlPlEEvT_T0_T1_T2_jjjjRNS5_12storage_typeE@rel32@lo+4
	s_addc_u32 s5, s5, _ZN7rocprim17ROCPRIM_400000_NS6detail26segmented_warp_sort_helperINS1_20WarpSortHelperConfigILj32ELj4ELj256EEEblLi256ELb0EvE4sortIPKbPbPKlPlEEvT_T0_T1_T2_jjjjRNS5_12storage_typeE@rel32@hi+12
	s_mov_b32 s12, s6
	s_mov_b32 s13, s7
	s_swappc_b64 s[30:31], s[4:5]
.LBB1645_6:
	s_endpgm
	.section	.rodata,"a",@progbits
	.p2align	6, 0x0
	.amdhsa_kernel _ZN7rocprim17ROCPRIM_400000_NS6detail17trampoline_kernelINS0_14default_configENS1_36segmented_radix_sort_config_selectorIblEEZNS1_25segmented_radix_sort_implIS3_Lb0EPKbPbPKlPlN2at6native12_GLOBAL__N_18offset_tEEE10hipError_tPvRmT1_PNSt15iterator_traitsISK_E10value_typeET2_T3_PNSL_ISQ_E10value_typeET4_jRbjT5_SW_jjP12ihipStream_tbEUlT_E0_NS1_11comp_targetILNS1_3genE8ELNS1_11target_archE1030ELNS1_3gpuE2ELNS1_3repE0EEENS1_60segmented_radix_sort_warp_sort_medium_config_static_selectorELNS0_4arch9wavefront6targetE0EEEvSK_
		.amdhsa_group_segment_fixed_size 9216
		.amdhsa_private_segment_fixed_size 12
		.amdhsa_kernarg_size 344
		.amdhsa_user_sgpr_count 6
		.amdhsa_user_sgpr_private_segment_buffer 1
		.amdhsa_user_sgpr_dispatch_ptr 0
		.amdhsa_user_sgpr_queue_ptr 0
		.amdhsa_user_sgpr_kernarg_segment_ptr 1
		.amdhsa_user_sgpr_dispatch_id 0
		.amdhsa_user_sgpr_flat_scratch_init 0
		.amdhsa_user_sgpr_private_segment_size 0
		.amdhsa_wavefront_size32 1
		.amdhsa_uses_dynamic_stack 0
		.amdhsa_system_sgpr_private_segment_wavefront_offset 1
		.amdhsa_system_sgpr_workgroup_id_x 1
		.amdhsa_system_sgpr_workgroup_id_y 1
		.amdhsa_system_sgpr_workgroup_id_z 0
		.amdhsa_system_sgpr_workgroup_info 0
		.amdhsa_system_vgpr_workitem_id 2
		.amdhsa_next_free_vgpr 53
		.amdhsa_next_free_sgpr 40
		.amdhsa_reserve_vcc 1
		.amdhsa_reserve_flat_scratch 0
		.amdhsa_float_round_mode_32 0
		.amdhsa_float_round_mode_16_64 0
		.amdhsa_float_denorm_mode_32 3
		.amdhsa_float_denorm_mode_16_64 3
		.amdhsa_dx10_clamp 1
		.amdhsa_ieee_mode 1
		.amdhsa_fp16_overflow 0
		.amdhsa_workgroup_processor_mode 1
		.amdhsa_memory_ordered 1
		.amdhsa_forward_progress 1
		.amdhsa_shared_vgpr_count 0
		.amdhsa_exception_fp_ieee_invalid_op 0
		.amdhsa_exception_fp_denorm_src 0
		.amdhsa_exception_fp_ieee_div_zero 0
		.amdhsa_exception_fp_ieee_overflow 0
		.amdhsa_exception_fp_ieee_underflow 0
		.amdhsa_exception_fp_ieee_inexact 0
		.amdhsa_exception_int_div_zero 0
	.end_amdhsa_kernel
	.section	.text._ZN7rocprim17ROCPRIM_400000_NS6detail17trampoline_kernelINS0_14default_configENS1_36segmented_radix_sort_config_selectorIblEEZNS1_25segmented_radix_sort_implIS3_Lb0EPKbPbPKlPlN2at6native12_GLOBAL__N_18offset_tEEE10hipError_tPvRmT1_PNSt15iterator_traitsISK_E10value_typeET2_T3_PNSL_ISQ_E10value_typeET4_jRbjT5_SW_jjP12ihipStream_tbEUlT_E0_NS1_11comp_targetILNS1_3genE8ELNS1_11target_archE1030ELNS1_3gpuE2ELNS1_3repE0EEENS1_60segmented_radix_sort_warp_sort_medium_config_static_selectorELNS0_4arch9wavefront6targetE0EEEvSK_,"axG",@progbits,_ZN7rocprim17ROCPRIM_400000_NS6detail17trampoline_kernelINS0_14default_configENS1_36segmented_radix_sort_config_selectorIblEEZNS1_25segmented_radix_sort_implIS3_Lb0EPKbPbPKlPlN2at6native12_GLOBAL__N_18offset_tEEE10hipError_tPvRmT1_PNSt15iterator_traitsISK_E10value_typeET2_T3_PNSL_ISQ_E10value_typeET4_jRbjT5_SW_jjP12ihipStream_tbEUlT_E0_NS1_11comp_targetILNS1_3genE8ELNS1_11target_archE1030ELNS1_3gpuE2ELNS1_3repE0EEENS1_60segmented_radix_sort_warp_sort_medium_config_static_selectorELNS0_4arch9wavefront6targetE0EEEvSK_,comdat
.Lfunc_end1645:
	.size	_ZN7rocprim17ROCPRIM_400000_NS6detail17trampoline_kernelINS0_14default_configENS1_36segmented_radix_sort_config_selectorIblEEZNS1_25segmented_radix_sort_implIS3_Lb0EPKbPbPKlPlN2at6native12_GLOBAL__N_18offset_tEEE10hipError_tPvRmT1_PNSt15iterator_traitsISK_E10value_typeET2_T3_PNSL_ISQ_E10value_typeET4_jRbjT5_SW_jjP12ihipStream_tbEUlT_E0_NS1_11comp_targetILNS1_3genE8ELNS1_11target_archE1030ELNS1_3gpuE2ELNS1_3repE0EEENS1_60segmented_radix_sort_warp_sort_medium_config_static_selectorELNS0_4arch9wavefront6targetE0EEEvSK_, .Lfunc_end1645-_ZN7rocprim17ROCPRIM_400000_NS6detail17trampoline_kernelINS0_14default_configENS1_36segmented_radix_sort_config_selectorIblEEZNS1_25segmented_radix_sort_implIS3_Lb0EPKbPbPKlPlN2at6native12_GLOBAL__N_18offset_tEEE10hipError_tPvRmT1_PNSt15iterator_traitsISK_E10value_typeET2_T3_PNSL_ISQ_E10value_typeET4_jRbjT5_SW_jjP12ihipStream_tbEUlT_E0_NS1_11comp_targetILNS1_3genE8ELNS1_11target_archE1030ELNS1_3gpuE2ELNS1_3repE0EEENS1_60segmented_radix_sort_warp_sort_medium_config_static_selectorELNS0_4arch9wavefront6targetE0EEEvSK_
                                        ; -- End function
	.set _ZN7rocprim17ROCPRIM_400000_NS6detail17trampoline_kernelINS0_14default_configENS1_36segmented_radix_sort_config_selectorIblEEZNS1_25segmented_radix_sort_implIS3_Lb0EPKbPbPKlPlN2at6native12_GLOBAL__N_18offset_tEEE10hipError_tPvRmT1_PNSt15iterator_traitsISK_E10value_typeET2_T3_PNSL_ISQ_E10value_typeET4_jRbjT5_SW_jjP12ihipStream_tbEUlT_E0_NS1_11comp_targetILNS1_3genE8ELNS1_11target_archE1030ELNS1_3gpuE2ELNS1_3repE0EEENS1_60segmented_radix_sort_warp_sort_medium_config_static_selectorELNS0_4arch9wavefront6targetE0EEEvSK_.num_vgpr, max(44, .L_ZN7rocprim17ROCPRIM_400000_NS6detail26segmented_warp_sort_helperINS1_20WarpSortHelperConfigILj32ELj4ELj256EEEblLi256ELb0EvE4sortIPKbPbPKlPlEEvT_T0_T1_T2_jjjjRNS5_12storage_typeE.num_vgpr)
	.set _ZN7rocprim17ROCPRIM_400000_NS6detail17trampoline_kernelINS0_14default_configENS1_36segmented_radix_sort_config_selectorIblEEZNS1_25segmented_radix_sort_implIS3_Lb0EPKbPbPKlPlN2at6native12_GLOBAL__N_18offset_tEEE10hipError_tPvRmT1_PNSt15iterator_traitsISK_E10value_typeET2_T3_PNSL_ISQ_E10value_typeET4_jRbjT5_SW_jjP12ihipStream_tbEUlT_E0_NS1_11comp_targetILNS1_3genE8ELNS1_11target_archE1030ELNS1_3gpuE2ELNS1_3repE0EEENS1_60segmented_radix_sort_warp_sort_medium_config_static_selectorELNS0_4arch9wavefront6targetE0EEEvSK_.num_agpr, max(0, .L_ZN7rocprim17ROCPRIM_400000_NS6detail26segmented_warp_sort_helperINS1_20WarpSortHelperConfigILj32ELj4ELj256EEEblLi256ELb0EvE4sortIPKbPbPKlPlEEvT_T0_T1_T2_jjjjRNS5_12storage_typeE.num_agpr)
	.set _ZN7rocprim17ROCPRIM_400000_NS6detail17trampoline_kernelINS0_14default_configENS1_36segmented_radix_sort_config_selectorIblEEZNS1_25segmented_radix_sort_implIS3_Lb0EPKbPbPKlPlN2at6native12_GLOBAL__N_18offset_tEEE10hipError_tPvRmT1_PNSt15iterator_traitsISK_E10value_typeET2_T3_PNSL_ISQ_E10value_typeET4_jRbjT5_SW_jjP12ihipStream_tbEUlT_E0_NS1_11comp_targetILNS1_3genE8ELNS1_11target_archE1030ELNS1_3gpuE2ELNS1_3repE0EEENS1_60segmented_radix_sort_warp_sort_medium_config_static_selectorELNS0_4arch9wavefront6targetE0EEEvSK_.numbered_sgpr, max(40, .L_ZN7rocprim17ROCPRIM_400000_NS6detail26segmented_warp_sort_helperINS1_20WarpSortHelperConfigILj32ELj4ELj256EEEblLi256ELb0EvE4sortIPKbPbPKlPlEEvT_T0_T1_T2_jjjjRNS5_12storage_typeE.numbered_sgpr)
	.set _ZN7rocprim17ROCPRIM_400000_NS6detail17trampoline_kernelINS0_14default_configENS1_36segmented_radix_sort_config_selectorIblEEZNS1_25segmented_radix_sort_implIS3_Lb0EPKbPbPKlPlN2at6native12_GLOBAL__N_18offset_tEEE10hipError_tPvRmT1_PNSt15iterator_traitsISK_E10value_typeET2_T3_PNSL_ISQ_E10value_typeET4_jRbjT5_SW_jjP12ihipStream_tbEUlT_E0_NS1_11comp_targetILNS1_3genE8ELNS1_11target_archE1030ELNS1_3gpuE2ELNS1_3repE0EEENS1_60segmented_radix_sort_warp_sort_medium_config_static_selectorELNS0_4arch9wavefront6targetE0EEEvSK_.num_named_barrier, max(0, .L_ZN7rocprim17ROCPRIM_400000_NS6detail26segmented_warp_sort_helperINS1_20WarpSortHelperConfigILj32ELj4ELj256EEEblLi256ELb0EvE4sortIPKbPbPKlPlEEvT_T0_T1_T2_jjjjRNS5_12storage_typeE.num_named_barrier)
	.set _ZN7rocprim17ROCPRIM_400000_NS6detail17trampoline_kernelINS0_14default_configENS1_36segmented_radix_sort_config_selectorIblEEZNS1_25segmented_radix_sort_implIS3_Lb0EPKbPbPKlPlN2at6native12_GLOBAL__N_18offset_tEEE10hipError_tPvRmT1_PNSt15iterator_traitsISK_E10value_typeET2_T3_PNSL_ISQ_E10value_typeET4_jRbjT5_SW_jjP12ihipStream_tbEUlT_E0_NS1_11comp_targetILNS1_3genE8ELNS1_11target_archE1030ELNS1_3gpuE2ELNS1_3repE0EEENS1_60segmented_radix_sort_warp_sort_medium_config_static_selectorELNS0_4arch9wavefront6targetE0EEEvSK_.private_seg_size, 0+max(.L_ZN7rocprim17ROCPRIM_400000_NS6detail26segmented_warp_sort_helperINS1_20WarpSortHelperConfigILj32ELj4ELj256EEEblLi256ELb0EvE4sortIPKbPbPKlPlEEvT_T0_T1_T2_jjjjRNS5_12storage_typeE.private_seg_size)
	.set _ZN7rocprim17ROCPRIM_400000_NS6detail17trampoline_kernelINS0_14default_configENS1_36segmented_radix_sort_config_selectorIblEEZNS1_25segmented_radix_sort_implIS3_Lb0EPKbPbPKlPlN2at6native12_GLOBAL__N_18offset_tEEE10hipError_tPvRmT1_PNSt15iterator_traitsISK_E10value_typeET2_T3_PNSL_ISQ_E10value_typeET4_jRbjT5_SW_jjP12ihipStream_tbEUlT_E0_NS1_11comp_targetILNS1_3genE8ELNS1_11target_archE1030ELNS1_3gpuE2ELNS1_3repE0EEENS1_60segmented_radix_sort_warp_sort_medium_config_static_selectorELNS0_4arch9wavefront6targetE0EEEvSK_.uses_vcc, or(1, .L_ZN7rocprim17ROCPRIM_400000_NS6detail26segmented_warp_sort_helperINS1_20WarpSortHelperConfigILj32ELj4ELj256EEEblLi256ELb0EvE4sortIPKbPbPKlPlEEvT_T0_T1_T2_jjjjRNS5_12storage_typeE.uses_vcc)
	.set _ZN7rocprim17ROCPRIM_400000_NS6detail17trampoline_kernelINS0_14default_configENS1_36segmented_radix_sort_config_selectorIblEEZNS1_25segmented_radix_sort_implIS3_Lb0EPKbPbPKlPlN2at6native12_GLOBAL__N_18offset_tEEE10hipError_tPvRmT1_PNSt15iterator_traitsISK_E10value_typeET2_T3_PNSL_ISQ_E10value_typeET4_jRbjT5_SW_jjP12ihipStream_tbEUlT_E0_NS1_11comp_targetILNS1_3genE8ELNS1_11target_archE1030ELNS1_3gpuE2ELNS1_3repE0EEENS1_60segmented_radix_sort_warp_sort_medium_config_static_selectorELNS0_4arch9wavefront6targetE0EEEvSK_.uses_flat_scratch, or(0, .L_ZN7rocprim17ROCPRIM_400000_NS6detail26segmented_warp_sort_helperINS1_20WarpSortHelperConfigILj32ELj4ELj256EEEblLi256ELb0EvE4sortIPKbPbPKlPlEEvT_T0_T1_T2_jjjjRNS5_12storage_typeE.uses_flat_scratch)
	.set _ZN7rocprim17ROCPRIM_400000_NS6detail17trampoline_kernelINS0_14default_configENS1_36segmented_radix_sort_config_selectorIblEEZNS1_25segmented_radix_sort_implIS3_Lb0EPKbPbPKlPlN2at6native12_GLOBAL__N_18offset_tEEE10hipError_tPvRmT1_PNSt15iterator_traitsISK_E10value_typeET2_T3_PNSL_ISQ_E10value_typeET4_jRbjT5_SW_jjP12ihipStream_tbEUlT_E0_NS1_11comp_targetILNS1_3genE8ELNS1_11target_archE1030ELNS1_3gpuE2ELNS1_3repE0EEENS1_60segmented_radix_sort_warp_sort_medium_config_static_selectorELNS0_4arch9wavefront6targetE0EEEvSK_.has_dyn_sized_stack, or(0, .L_ZN7rocprim17ROCPRIM_400000_NS6detail26segmented_warp_sort_helperINS1_20WarpSortHelperConfigILj32ELj4ELj256EEEblLi256ELb0EvE4sortIPKbPbPKlPlEEvT_T0_T1_T2_jjjjRNS5_12storage_typeE.has_dyn_sized_stack)
	.set _ZN7rocprim17ROCPRIM_400000_NS6detail17trampoline_kernelINS0_14default_configENS1_36segmented_radix_sort_config_selectorIblEEZNS1_25segmented_radix_sort_implIS3_Lb0EPKbPbPKlPlN2at6native12_GLOBAL__N_18offset_tEEE10hipError_tPvRmT1_PNSt15iterator_traitsISK_E10value_typeET2_T3_PNSL_ISQ_E10value_typeET4_jRbjT5_SW_jjP12ihipStream_tbEUlT_E0_NS1_11comp_targetILNS1_3genE8ELNS1_11target_archE1030ELNS1_3gpuE2ELNS1_3repE0EEENS1_60segmented_radix_sort_warp_sort_medium_config_static_selectorELNS0_4arch9wavefront6targetE0EEEvSK_.has_recursion, or(0, .L_ZN7rocprim17ROCPRIM_400000_NS6detail26segmented_warp_sort_helperINS1_20WarpSortHelperConfigILj32ELj4ELj256EEEblLi256ELb0EvE4sortIPKbPbPKlPlEEvT_T0_T1_T2_jjjjRNS5_12storage_typeE.has_recursion)
	.set _ZN7rocprim17ROCPRIM_400000_NS6detail17trampoline_kernelINS0_14default_configENS1_36segmented_radix_sort_config_selectorIblEEZNS1_25segmented_radix_sort_implIS3_Lb0EPKbPbPKlPlN2at6native12_GLOBAL__N_18offset_tEEE10hipError_tPvRmT1_PNSt15iterator_traitsISK_E10value_typeET2_T3_PNSL_ISQ_E10value_typeET4_jRbjT5_SW_jjP12ihipStream_tbEUlT_E0_NS1_11comp_targetILNS1_3genE8ELNS1_11target_archE1030ELNS1_3gpuE2ELNS1_3repE0EEENS1_60segmented_radix_sort_warp_sort_medium_config_static_selectorELNS0_4arch9wavefront6targetE0EEEvSK_.has_indirect_call, or(0, .L_ZN7rocprim17ROCPRIM_400000_NS6detail26segmented_warp_sort_helperINS1_20WarpSortHelperConfigILj32ELj4ELj256EEEblLi256ELb0EvE4sortIPKbPbPKlPlEEvT_T0_T1_T2_jjjjRNS5_12storage_typeE.has_indirect_call)
	.section	.AMDGPU.csdata,"",@progbits
; Kernel info:
; codeLenInByte = 516
; TotalNumSgprs: 42
; NumVgprs: 53
; ScratchSize: 12
; MemoryBound: 0
; FloatMode: 240
; IeeeMode: 1
; LDSByteSize: 9216 bytes/workgroup (compile time only)
; SGPRBlocks: 0
; VGPRBlocks: 6
; NumSGPRsForWavesPerEU: 42
; NumVGPRsForWavesPerEU: 53
; Occupancy: 16
; WaveLimiterHint : 0
; COMPUTE_PGM_RSRC2:SCRATCH_EN: 1
; COMPUTE_PGM_RSRC2:USER_SGPR: 6
; COMPUTE_PGM_RSRC2:TRAP_HANDLER: 0
; COMPUTE_PGM_RSRC2:TGID_X_EN: 1
; COMPUTE_PGM_RSRC2:TGID_Y_EN: 1
; COMPUTE_PGM_RSRC2:TGID_Z_EN: 0
; COMPUTE_PGM_RSRC2:TIDIG_COMP_CNT: 2
	.section	.text._ZN7rocprim17ROCPRIM_400000_NS6detail17trampoline_kernelINS0_14default_configENS1_36segmented_radix_sort_config_selectorIblEEZNS1_25segmented_radix_sort_implIS3_Lb0EPKbPbPKlPlN2at6native12_GLOBAL__N_18offset_tEEE10hipError_tPvRmT1_PNSt15iterator_traitsISK_E10value_typeET2_T3_PNSL_ISQ_E10value_typeET4_jRbjT5_SW_jjP12ihipStream_tbEUlT_E1_NS1_11comp_targetILNS1_3genE0ELNS1_11target_archE4294967295ELNS1_3gpuE0ELNS1_3repE0EEENS1_59segmented_radix_sort_warp_sort_small_config_static_selectorELNS0_4arch9wavefront6targetE0EEEvSK_,"axG",@progbits,_ZN7rocprim17ROCPRIM_400000_NS6detail17trampoline_kernelINS0_14default_configENS1_36segmented_radix_sort_config_selectorIblEEZNS1_25segmented_radix_sort_implIS3_Lb0EPKbPbPKlPlN2at6native12_GLOBAL__N_18offset_tEEE10hipError_tPvRmT1_PNSt15iterator_traitsISK_E10value_typeET2_T3_PNSL_ISQ_E10value_typeET4_jRbjT5_SW_jjP12ihipStream_tbEUlT_E1_NS1_11comp_targetILNS1_3genE0ELNS1_11target_archE4294967295ELNS1_3gpuE0ELNS1_3repE0EEENS1_59segmented_radix_sort_warp_sort_small_config_static_selectorELNS0_4arch9wavefront6targetE0EEEvSK_,comdat
	.globl	_ZN7rocprim17ROCPRIM_400000_NS6detail17trampoline_kernelINS0_14default_configENS1_36segmented_radix_sort_config_selectorIblEEZNS1_25segmented_radix_sort_implIS3_Lb0EPKbPbPKlPlN2at6native12_GLOBAL__N_18offset_tEEE10hipError_tPvRmT1_PNSt15iterator_traitsISK_E10value_typeET2_T3_PNSL_ISQ_E10value_typeET4_jRbjT5_SW_jjP12ihipStream_tbEUlT_E1_NS1_11comp_targetILNS1_3genE0ELNS1_11target_archE4294967295ELNS1_3gpuE0ELNS1_3repE0EEENS1_59segmented_radix_sort_warp_sort_small_config_static_selectorELNS0_4arch9wavefront6targetE0EEEvSK_ ; -- Begin function _ZN7rocprim17ROCPRIM_400000_NS6detail17trampoline_kernelINS0_14default_configENS1_36segmented_radix_sort_config_selectorIblEEZNS1_25segmented_radix_sort_implIS3_Lb0EPKbPbPKlPlN2at6native12_GLOBAL__N_18offset_tEEE10hipError_tPvRmT1_PNSt15iterator_traitsISK_E10value_typeET2_T3_PNSL_ISQ_E10value_typeET4_jRbjT5_SW_jjP12ihipStream_tbEUlT_E1_NS1_11comp_targetILNS1_3genE0ELNS1_11target_archE4294967295ELNS1_3gpuE0ELNS1_3repE0EEENS1_59segmented_radix_sort_warp_sort_small_config_static_selectorELNS0_4arch9wavefront6targetE0EEEvSK_
	.p2align	8
	.type	_ZN7rocprim17ROCPRIM_400000_NS6detail17trampoline_kernelINS0_14default_configENS1_36segmented_radix_sort_config_selectorIblEEZNS1_25segmented_radix_sort_implIS3_Lb0EPKbPbPKlPlN2at6native12_GLOBAL__N_18offset_tEEE10hipError_tPvRmT1_PNSt15iterator_traitsISK_E10value_typeET2_T3_PNSL_ISQ_E10value_typeET4_jRbjT5_SW_jjP12ihipStream_tbEUlT_E1_NS1_11comp_targetILNS1_3genE0ELNS1_11target_archE4294967295ELNS1_3gpuE0ELNS1_3repE0EEENS1_59segmented_radix_sort_warp_sort_small_config_static_selectorELNS0_4arch9wavefront6targetE0EEEvSK_,@function
_ZN7rocprim17ROCPRIM_400000_NS6detail17trampoline_kernelINS0_14default_configENS1_36segmented_radix_sort_config_selectorIblEEZNS1_25segmented_radix_sort_implIS3_Lb0EPKbPbPKlPlN2at6native12_GLOBAL__N_18offset_tEEE10hipError_tPvRmT1_PNSt15iterator_traitsISK_E10value_typeET2_T3_PNSL_ISQ_E10value_typeET4_jRbjT5_SW_jjP12ihipStream_tbEUlT_E1_NS1_11comp_targetILNS1_3genE0ELNS1_11target_archE4294967295ELNS1_3gpuE0ELNS1_3repE0EEENS1_59segmented_radix_sort_warp_sort_small_config_static_selectorELNS0_4arch9wavefront6targetE0EEEvSK_: ; @_ZN7rocprim17ROCPRIM_400000_NS6detail17trampoline_kernelINS0_14default_configENS1_36segmented_radix_sort_config_selectorIblEEZNS1_25segmented_radix_sort_implIS3_Lb0EPKbPbPKlPlN2at6native12_GLOBAL__N_18offset_tEEE10hipError_tPvRmT1_PNSt15iterator_traitsISK_E10value_typeET2_T3_PNSL_ISQ_E10value_typeET4_jRbjT5_SW_jjP12ihipStream_tbEUlT_E1_NS1_11comp_targetILNS1_3genE0ELNS1_11target_archE4294967295ELNS1_3gpuE0ELNS1_3repE0EEENS1_59segmented_radix_sort_warp_sort_small_config_static_selectorELNS0_4arch9wavefront6targetE0EEEvSK_
; %bb.0:
	.section	.rodata,"a",@progbits
	.p2align	6, 0x0
	.amdhsa_kernel _ZN7rocprim17ROCPRIM_400000_NS6detail17trampoline_kernelINS0_14default_configENS1_36segmented_radix_sort_config_selectorIblEEZNS1_25segmented_radix_sort_implIS3_Lb0EPKbPbPKlPlN2at6native12_GLOBAL__N_18offset_tEEE10hipError_tPvRmT1_PNSt15iterator_traitsISK_E10value_typeET2_T3_PNSL_ISQ_E10value_typeET4_jRbjT5_SW_jjP12ihipStream_tbEUlT_E1_NS1_11comp_targetILNS1_3genE0ELNS1_11target_archE4294967295ELNS1_3gpuE0ELNS1_3repE0EEENS1_59segmented_radix_sort_warp_sort_small_config_static_selectorELNS0_4arch9wavefront6targetE0EEEvSK_
		.amdhsa_group_segment_fixed_size 0
		.amdhsa_private_segment_fixed_size 0
		.amdhsa_kernarg_size 88
		.amdhsa_user_sgpr_count 6
		.amdhsa_user_sgpr_private_segment_buffer 1
		.amdhsa_user_sgpr_dispatch_ptr 0
		.amdhsa_user_sgpr_queue_ptr 0
		.amdhsa_user_sgpr_kernarg_segment_ptr 1
		.amdhsa_user_sgpr_dispatch_id 0
		.amdhsa_user_sgpr_flat_scratch_init 0
		.amdhsa_user_sgpr_private_segment_size 0
		.amdhsa_wavefront_size32 1
		.amdhsa_uses_dynamic_stack 0
		.amdhsa_system_sgpr_private_segment_wavefront_offset 0
		.amdhsa_system_sgpr_workgroup_id_x 1
		.amdhsa_system_sgpr_workgroup_id_y 0
		.amdhsa_system_sgpr_workgroup_id_z 0
		.amdhsa_system_sgpr_workgroup_info 0
		.amdhsa_system_vgpr_workitem_id 0
		.amdhsa_next_free_vgpr 1
		.amdhsa_next_free_sgpr 1
		.amdhsa_reserve_vcc 0
		.amdhsa_reserve_flat_scratch 0
		.amdhsa_float_round_mode_32 0
		.amdhsa_float_round_mode_16_64 0
		.amdhsa_float_denorm_mode_32 3
		.amdhsa_float_denorm_mode_16_64 3
		.amdhsa_dx10_clamp 1
		.amdhsa_ieee_mode 1
		.amdhsa_fp16_overflow 0
		.amdhsa_workgroup_processor_mode 1
		.amdhsa_memory_ordered 1
		.amdhsa_forward_progress 1
		.amdhsa_shared_vgpr_count 0
		.amdhsa_exception_fp_ieee_invalid_op 0
		.amdhsa_exception_fp_denorm_src 0
		.amdhsa_exception_fp_ieee_div_zero 0
		.amdhsa_exception_fp_ieee_overflow 0
		.amdhsa_exception_fp_ieee_underflow 0
		.amdhsa_exception_fp_ieee_inexact 0
		.amdhsa_exception_int_div_zero 0
	.end_amdhsa_kernel
	.section	.text._ZN7rocprim17ROCPRIM_400000_NS6detail17trampoline_kernelINS0_14default_configENS1_36segmented_radix_sort_config_selectorIblEEZNS1_25segmented_radix_sort_implIS3_Lb0EPKbPbPKlPlN2at6native12_GLOBAL__N_18offset_tEEE10hipError_tPvRmT1_PNSt15iterator_traitsISK_E10value_typeET2_T3_PNSL_ISQ_E10value_typeET4_jRbjT5_SW_jjP12ihipStream_tbEUlT_E1_NS1_11comp_targetILNS1_3genE0ELNS1_11target_archE4294967295ELNS1_3gpuE0ELNS1_3repE0EEENS1_59segmented_radix_sort_warp_sort_small_config_static_selectorELNS0_4arch9wavefront6targetE0EEEvSK_,"axG",@progbits,_ZN7rocprim17ROCPRIM_400000_NS6detail17trampoline_kernelINS0_14default_configENS1_36segmented_radix_sort_config_selectorIblEEZNS1_25segmented_radix_sort_implIS3_Lb0EPKbPbPKlPlN2at6native12_GLOBAL__N_18offset_tEEE10hipError_tPvRmT1_PNSt15iterator_traitsISK_E10value_typeET2_T3_PNSL_ISQ_E10value_typeET4_jRbjT5_SW_jjP12ihipStream_tbEUlT_E1_NS1_11comp_targetILNS1_3genE0ELNS1_11target_archE4294967295ELNS1_3gpuE0ELNS1_3repE0EEENS1_59segmented_radix_sort_warp_sort_small_config_static_selectorELNS0_4arch9wavefront6targetE0EEEvSK_,comdat
.Lfunc_end1646:
	.size	_ZN7rocprim17ROCPRIM_400000_NS6detail17trampoline_kernelINS0_14default_configENS1_36segmented_radix_sort_config_selectorIblEEZNS1_25segmented_radix_sort_implIS3_Lb0EPKbPbPKlPlN2at6native12_GLOBAL__N_18offset_tEEE10hipError_tPvRmT1_PNSt15iterator_traitsISK_E10value_typeET2_T3_PNSL_ISQ_E10value_typeET4_jRbjT5_SW_jjP12ihipStream_tbEUlT_E1_NS1_11comp_targetILNS1_3genE0ELNS1_11target_archE4294967295ELNS1_3gpuE0ELNS1_3repE0EEENS1_59segmented_radix_sort_warp_sort_small_config_static_selectorELNS0_4arch9wavefront6targetE0EEEvSK_, .Lfunc_end1646-_ZN7rocprim17ROCPRIM_400000_NS6detail17trampoline_kernelINS0_14default_configENS1_36segmented_radix_sort_config_selectorIblEEZNS1_25segmented_radix_sort_implIS3_Lb0EPKbPbPKlPlN2at6native12_GLOBAL__N_18offset_tEEE10hipError_tPvRmT1_PNSt15iterator_traitsISK_E10value_typeET2_T3_PNSL_ISQ_E10value_typeET4_jRbjT5_SW_jjP12ihipStream_tbEUlT_E1_NS1_11comp_targetILNS1_3genE0ELNS1_11target_archE4294967295ELNS1_3gpuE0ELNS1_3repE0EEENS1_59segmented_radix_sort_warp_sort_small_config_static_selectorELNS0_4arch9wavefront6targetE0EEEvSK_
                                        ; -- End function
	.set _ZN7rocprim17ROCPRIM_400000_NS6detail17trampoline_kernelINS0_14default_configENS1_36segmented_radix_sort_config_selectorIblEEZNS1_25segmented_radix_sort_implIS3_Lb0EPKbPbPKlPlN2at6native12_GLOBAL__N_18offset_tEEE10hipError_tPvRmT1_PNSt15iterator_traitsISK_E10value_typeET2_T3_PNSL_ISQ_E10value_typeET4_jRbjT5_SW_jjP12ihipStream_tbEUlT_E1_NS1_11comp_targetILNS1_3genE0ELNS1_11target_archE4294967295ELNS1_3gpuE0ELNS1_3repE0EEENS1_59segmented_radix_sort_warp_sort_small_config_static_selectorELNS0_4arch9wavefront6targetE0EEEvSK_.num_vgpr, 0
	.set _ZN7rocprim17ROCPRIM_400000_NS6detail17trampoline_kernelINS0_14default_configENS1_36segmented_radix_sort_config_selectorIblEEZNS1_25segmented_radix_sort_implIS3_Lb0EPKbPbPKlPlN2at6native12_GLOBAL__N_18offset_tEEE10hipError_tPvRmT1_PNSt15iterator_traitsISK_E10value_typeET2_T3_PNSL_ISQ_E10value_typeET4_jRbjT5_SW_jjP12ihipStream_tbEUlT_E1_NS1_11comp_targetILNS1_3genE0ELNS1_11target_archE4294967295ELNS1_3gpuE0ELNS1_3repE0EEENS1_59segmented_radix_sort_warp_sort_small_config_static_selectorELNS0_4arch9wavefront6targetE0EEEvSK_.num_agpr, 0
	.set _ZN7rocprim17ROCPRIM_400000_NS6detail17trampoline_kernelINS0_14default_configENS1_36segmented_radix_sort_config_selectorIblEEZNS1_25segmented_radix_sort_implIS3_Lb0EPKbPbPKlPlN2at6native12_GLOBAL__N_18offset_tEEE10hipError_tPvRmT1_PNSt15iterator_traitsISK_E10value_typeET2_T3_PNSL_ISQ_E10value_typeET4_jRbjT5_SW_jjP12ihipStream_tbEUlT_E1_NS1_11comp_targetILNS1_3genE0ELNS1_11target_archE4294967295ELNS1_3gpuE0ELNS1_3repE0EEENS1_59segmented_radix_sort_warp_sort_small_config_static_selectorELNS0_4arch9wavefront6targetE0EEEvSK_.numbered_sgpr, 0
	.set _ZN7rocprim17ROCPRIM_400000_NS6detail17trampoline_kernelINS0_14default_configENS1_36segmented_radix_sort_config_selectorIblEEZNS1_25segmented_radix_sort_implIS3_Lb0EPKbPbPKlPlN2at6native12_GLOBAL__N_18offset_tEEE10hipError_tPvRmT1_PNSt15iterator_traitsISK_E10value_typeET2_T3_PNSL_ISQ_E10value_typeET4_jRbjT5_SW_jjP12ihipStream_tbEUlT_E1_NS1_11comp_targetILNS1_3genE0ELNS1_11target_archE4294967295ELNS1_3gpuE0ELNS1_3repE0EEENS1_59segmented_radix_sort_warp_sort_small_config_static_selectorELNS0_4arch9wavefront6targetE0EEEvSK_.num_named_barrier, 0
	.set _ZN7rocprim17ROCPRIM_400000_NS6detail17trampoline_kernelINS0_14default_configENS1_36segmented_radix_sort_config_selectorIblEEZNS1_25segmented_radix_sort_implIS3_Lb0EPKbPbPKlPlN2at6native12_GLOBAL__N_18offset_tEEE10hipError_tPvRmT1_PNSt15iterator_traitsISK_E10value_typeET2_T3_PNSL_ISQ_E10value_typeET4_jRbjT5_SW_jjP12ihipStream_tbEUlT_E1_NS1_11comp_targetILNS1_3genE0ELNS1_11target_archE4294967295ELNS1_3gpuE0ELNS1_3repE0EEENS1_59segmented_radix_sort_warp_sort_small_config_static_selectorELNS0_4arch9wavefront6targetE0EEEvSK_.private_seg_size, 0
	.set _ZN7rocprim17ROCPRIM_400000_NS6detail17trampoline_kernelINS0_14default_configENS1_36segmented_radix_sort_config_selectorIblEEZNS1_25segmented_radix_sort_implIS3_Lb0EPKbPbPKlPlN2at6native12_GLOBAL__N_18offset_tEEE10hipError_tPvRmT1_PNSt15iterator_traitsISK_E10value_typeET2_T3_PNSL_ISQ_E10value_typeET4_jRbjT5_SW_jjP12ihipStream_tbEUlT_E1_NS1_11comp_targetILNS1_3genE0ELNS1_11target_archE4294967295ELNS1_3gpuE0ELNS1_3repE0EEENS1_59segmented_radix_sort_warp_sort_small_config_static_selectorELNS0_4arch9wavefront6targetE0EEEvSK_.uses_vcc, 0
	.set _ZN7rocprim17ROCPRIM_400000_NS6detail17trampoline_kernelINS0_14default_configENS1_36segmented_radix_sort_config_selectorIblEEZNS1_25segmented_radix_sort_implIS3_Lb0EPKbPbPKlPlN2at6native12_GLOBAL__N_18offset_tEEE10hipError_tPvRmT1_PNSt15iterator_traitsISK_E10value_typeET2_T3_PNSL_ISQ_E10value_typeET4_jRbjT5_SW_jjP12ihipStream_tbEUlT_E1_NS1_11comp_targetILNS1_3genE0ELNS1_11target_archE4294967295ELNS1_3gpuE0ELNS1_3repE0EEENS1_59segmented_radix_sort_warp_sort_small_config_static_selectorELNS0_4arch9wavefront6targetE0EEEvSK_.uses_flat_scratch, 0
	.set _ZN7rocprim17ROCPRIM_400000_NS6detail17trampoline_kernelINS0_14default_configENS1_36segmented_radix_sort_config_selectorIblEEZNS1_25segmented_radix_sort_implIS3_Lb0EPKbPbPKlPlN2at6native12_GLOBAL__N_18offset_tEEE10hipError_tPvRmT1_PNSt15iterator_traitsISK_E10value_typeET2_T3_PNSL_ISQ_E10value_typeET4_jRbjT5_SW_jjP12ihipStream_tbEUlT_E1_NS1_11comp_targetILNS1_3genE0ELNS1_11target_archE4294967295ELNS1_3gpuE0ELNS1_3repE0EEENS1_59segmented_radix_sort_warp_sort_small_config_static_selectorELNS0_4arch9wavefront6targetE0EEEvSK_.has_dyn_sized_stack, 0
	.set _ZN7rocprim17ROCPRIM_400000_NS6detail17trampoline_kernelINS0_14default_configENS1_36segmented_radix_sort_config_selectorIblEEZNS1_25segmented_radix_sort_implIS3_Lb0EPKbPbPKlPlN2at6native12_GLOBAL__N_18offset_tEEE10hipError_tPvRmT1_PNSt15iterator_traitsISK_E10value_typeET2_T3_PNSL_ISQ_E10value_typeET4_jRbjT5_SW_jjP12ihipStream_tbEUlT_E1_NS1_11comp_targetILNS1_3genE0ELNS1_11target_archE4294967295ELNS1_3gpuE0ELNS1_3repE0EEENS1_59segmented_radix_sort_warp_sort_small_config_static_selectorELNS0_4arch9wavefront6targetE0EEEvSK_.has_recursion, 0
	.set _ZN7rocprim17ROCPRIM_400000_NS6detail17trampoline_kernelINS0_14default_configENS1_36segmented_radix_sort_config_selectorIblEEZNS1_25segmented_radix_sort_implIS3_Lb0EPKbPbPKlPlN2at6native12_GLOBAL__N_18offset_tEEE10hipError_tPvRmT1_PNSt15iterator_traitsISK_E10value_typeET2_T3_PNSL_ISQ_E10value_typeET4_jRbjT5_SW_jjP12ihipStream_tbEUlT_E1_NS1_11comp_targetILNS1_3genE0ELNS1_11target_archE4294967295ELNS1_3gpuE0ELNS1_3repE0EEENS1_59segmented_radix_sort_warp_sort_small_config_static_selectorELNS0_4arch9wavefront6targetE0EEEvSK_.has_indirect_call, 0
	.section	.AMDGPU.csdata,"",@progbits
; Kernel info:
; codeLenInByte = 0
; TotalNumSgprs: 0
; NumVgprs: 0
; ScratchSize: 0
; MemoryBound: 0
; FloatMode: 240
; IeeeMode: 1
; LDSByteSize: 0 bytes/workgroup (compile time only)
; SGPRBlocks: 0
; VGPRBlocks: 0
; NumSGPRsForWavesPerEU: 1
; NumVGPRsForWavesPerEU: 1
; Occupancy: 16
; WaveLimiterHint : 0
; COMPUTE_PGM_RSRC2:SCRATCH_EN: 0
; COMPUTE_PGM_RSRC2:USER_SGPR: 6
; COMPUTE_PGM_RSRC2:TRAP_HANDLER: 0
; COMPUTE_PGM_RSRC2:TGID_X_EN: 1
; COMPUTE_PGM_RSRC2:TGID_Y_EN: 0
; COMPUTE_PGM_RSRC2:TGID_Z_EN: 0
; COMPUTE_PGM_RSRC2:TIDIG_COMP_CNT: 0
	.section	.text._ZN7rocprim17ROCPRIM_400000_NS6detail17trampoline_kernelINS0_14default_configENS1_36segmented_radix_sort_config_selectorIblEEZNS1_25segmented_radix_sort_implIS3_Lb0EPKbPbPKlPlN2at6native12_GLOBAL__N_18offset_tEEE10hipError_tPvRmT1_PNSt15iterator_traitsISK_E10value_typeET2_T3_PNSL_ISQ_E10value_typeET4_jRbjT5_SW_jjP12ihipStream_tbEUlT_E1_NS1_11comp_targetILNS1_3genE5ELNS1_11target_archE942ELNS1_3gpuE9ELNS1_3repE0EEENS1_59segmented_radix_sort_warp_sort_small_config_static_selectorELNS0_4arch9wavefront6targetE0EEEvSK_,"axG",@progbits,_ZN7rocprim17ROCPRIM_400000_NS6detail17trampoline_kernelINS0_14default_configENS1_36segmented_radix_sort_config_selectorIblEEZNS1_25segmented_radix_sort_implIS3_Lb0EPKbPbPKlPlN2at6native12_GLOBAL__N_18offset_tEEE10hipError_tPvRmT1_PNSt15iterator_traitsISK_E10value_typeET2_T3_PNSL_ISQ_E10value_typeET4_jRbjT5_SW_jjP12ihipStream_tbEUlT_E1_NS1_11comp_targetILNS1_3genE5ELNS1_11target_archE942ELNS1_3gpuE9ELNS1_3repE0EEENS1_59segmented_radix_sort_warp_sort_small_config_static_selectorELNS0_4arch9wavefront6targetE0EEEvSK_,comdat
	.globl	_ZN7rocprim17ROCPRIM_400000_NS6detail17trampoline_kernelINS0_14default_configENS1_36segmented_radix_sort_config_selectorIblEEZNS1_25segmented_radix_sort_implIS3_Lb0EPKbPbPKlPlN2at6native12_GLOBAL__N_18offset_tEEE10hipError_tPvRmT1_PNSt15iterator_traitsISK_E10value_typeET2_T3_PNSL_ISQ_E10value_typeET4_jRbjT5_SW_jjP12ihipStream_tbEUlT_E1_NS1_11comp_targetILNS1_3genE5ELNS1_11target_archE942ELNS1_3gpuE9ELNS1_3repE0EEENS1_59segmented_radix_sort_warp_sort_small_config_static_selectorELNS0_4arch9wavefront6targetE0EEEvSK_ ; -- Begin function _ZN7rocprim17ROCPRIM_400000_NS6detail17trampoline_kernelINS0_14default_configENS1_36segmented_radix_sort_config_selectorIblEEZNS1_25segmented_radix_sort_implIS3_Lb0EPKbPbPKlPlN2at6native12_GLOBAL__N_18offset_tEEE10hipError_tPvRmT1_PNSt15iterator_traitsISK_E10value_typeET2_T3_PNSL_ISQ_E10value_typeET4_jRbjT5_SW_jjP12ihipStream_tbEUlT_E1_NS1_11comp_targetILNS1_3genE5ELNS1_11target_archE942ELNS1_3gpuE9ELNS1_3repE0EEENS1_59segmented_radix_sort_warp_sort_small_config_static_selectorELNS0_4arch9wavefront6targetE0EEEvSK_
	.p2align	8
	.type	_ZN7rocprim17ROCPRIM_400000_NS6detail17trampoline_kernelINS0_14default_configENS1_36segmented_radix_sort_config_selectorIblEEZNS1_25segmented_radix_sort_implIS3_Lb0EPKbPbPKlPlN2at6native12_GLOBAL__N_18offset_tEEE10hipError_tPvRmT1_PNSt15iterator_traitsISK_E10value_typeET2_T3_PNSL_ISQ_E10value_typeET4_jRbjT5_SW_jjP12ihipStream_tbEUlT_E1_NS1_11comp_targetILNS1_3genE5ELNS1_11target_archE942ELNS1_3gpuE9ELNS1_3repE0EEENS1_59segmented_radix_sort_warp_sort_small_config_static_selectorELNS0_4arch9wavefront6targetE0EEEvSK_,@function
_ZN7rocprim17ROCPRIM_400000_NS6detail17trampoline_kernelINS0_14default_configENS1_36segmented_radix_sort_config_selectorIblEEZNS1_25segmented_radix_sort_implIS3_Lb0EPKbPbPKlPlN2at6native12_GLOBAL__N_18offset_tEEE10hipError_tPvRmT1_PNSt15iterator_traitsISK_E10value_typeET2_T3_PNSL_ISQ_E10value_typeET4_jRbjT5_SW_jjP12ihipStream_tbEUlT_E1_NS1_11comp_targetILNS1_3genE5ELNS1_11target_archE942ELNS1_3gpuE9ELNS1_3repE0EEENS1_59segmented_radix_sort_warp_sort_small_config_static_selectorELNS0_4arch9wavefront6targetE0EEEvSK_: ; @_ZN7rocprim17ROCPRIM_400000_NS6detail17trampoline_kernelINS0_14default_configENS1_36segmented_radix_sort_config_selectorIblEEZNS1_25segmented_radix_sort_implIS3_Lb0EPKbPbPKlPlN2at6native12_GLOBAL__N_18offset_tEEE10hipError_tPvRmT1_PNSt15iterator_traitsISK_E10value_typeET2_T3_PNSL_ISQ_E10value_typeET4_jRbjT5_SW_jjP12ihipStream_tbEUlT_E1_NS1_11comp_targetILNS1_3genE5ELNS1_11target_archE942ELNS1_3gpuE9ELNS1_3repE0EEENS1_59segmented_radix_sort_warp_sort_small_config_static_selectorELNS0_4arch9wavefront6targetE0EEEvSK_
; %bb.0:
	.section	.rodata,"a",@progbits
	.p2align	6, 0x0
	.amdhsa_kernel _ZN7rocprim17ROCPRIM_400000_NS6detail17trampoline_kernelINS0_14default_configENS1_36segmented_radix_sort_config_selectorIblEEZNS1_25segmented_radix_sort_implIS3_Lb0EPKbPbPKlPlN2at6native12_GLOBAL__N_18offset_tEEE10hipError_tPvRmT1_PNSt15iterator_traitsISK_E10value_typeET2_T3_PNSL_ISQ_E10value_typeET4_jRbjT5_SW_jjP12ihipStream_tbEUlT_E1_NS1_11comp_targetILNS1_3genE5ELNS1_11target_archE942ELNS1_3gpuE9ELNS1_3repE0EEENS1_59segmented_radix_sort_warp_sort_small_config_static_selectorELNS0_4arch9wavefront6targetE0EEEvSK_
		.amdhsa_group_segment_fixed_size 0
		.amdhsa_private_segment_fixed_size 0
		.amdhsa_kernarg_size 88
		.amdhsa_user_sgpr_count 6
		.amdhsa_user_sgpr_private_segment_buffer 1
		.amdhsa_user_sgpr_dispatch_ptr 0
		.amdhsa_user_sgpr_queue_ptr 0
		.amdhsa_user_sgpr_kernarg_segment_ptr 1
		.amdhsa_user_sgpr_dispatch_id 0
		.amdhsa_user_sgpr_flat_scratch_init 0
		.amdhsa_user_sgpr_private_segment_size 0
		.amdhsa_wavefront_size32 1
		.amdhsa_uses_dynamic_stack 0
		.amdhsa_system_sgpr_private_segment_wavefront_offset 0
		.amdhsa_system_sgpr_workgroup_id_x 1
		.amdhsa_system_sgpr_workgroup_id_y 0
		.amdhsa_system_sgpr_workgroup_id_z 0
		.amdhsa_system_sgpr_workgroup_info 0
		.amdhsa_system_vgpr_workitem_id 0
		.amdhsa_next_free_vgpr 1
		.amdhsa_next_free_sgpr 1
		.amdhsa_reserve_vcc 0
		.amdhsa_reserve_flat_scratch 0
		.amdhsa_float_round_mode_32 0
		.amdhsa_float_round_mode_16_64 0
		.amdhsa_float_denorm_mode_32 3
		.amdhsa_float_denorm_mode_16_64 3
		.amdhsa_dx10_clamp 1
		.amdhsa_ieee_mode 1
		.amdhsa_fp16_overflow 0
		.amdhsa_workgroup_processor_mode 1
		.amdhsa_memory_ordered 1
		.amdhsa_forward_progress 1
		.amdhsa_shared_vgpr_count 0
		.amdhsa_exception_fp_ieee_invalid_op 0
		.amdhsa_exception_fp_denorm_src 0
		.amdhsa_exception_fp_ieee_div_zero 0
		.amdhsa_exception_fp_ieee_overflow 0
		.amdhsa_exception_fp_ieee_underflow 0
		.amdhsa_exception_fp_ieee_inexact 0
		.amdhsa_exception_int_div_zero 0
	.end_amdhsa_kernel
	.section	.text._ZN7rocprim17ROCPRIM_400000_NS6detail17trampoline_kernelINS0_14default_configENS1_36segmented_radix_sort_config_selectorIblEEZNS1_25segmented_radix_sort_implIS3_Lb0EPKbPbPKlPlN2at6native12_GLOBAL__N_18offset_tEEE10hipError_tPvRmT1_PNSt15iterator_traitsISK_E10value_typeET2_T3_PNSL_ISQ_E10value_typeET4_jRbjT5_SW_jjP12ihipStream_tbEUlT_E1_NS1_11comp_targetILNS1_3genE5ELNS1_11target_archE942ELNS1_3gpuE9ELNS1_3repE0EEENS1_59segmented_radix_sort_warp_sort_small_config_static_selectorELNS0_4arch9wavefront6targetE0EEEvSK_,"axG",@progbits,_ZN7rocprim17ROCPRIM_400000_NS6detail17trampoline_kernelINS0_14default_configENS1_36segmented_radix_sort_config_selectorIblEEZNS1_25segmented_radix_sort_implIS3_Lb0EPKbPbPKlPlN2at6native12_GLOBAL__N_18offset_tEEE10hipError_tPvRmT1_PNSt15iterator_traitsISK_E10value_typeET2_T3_PNSL_ISQ_E10value_typeET4_jRbjT5_SW_jjP12ihipStream_tbEUlT_E1_NS1_11comp_targetILNS1_3genE5ELNS1_11target_archE942ELNS1_3gpuE9ELNS1_3repE0EEENS1_59segmented_radix_sort_warp_sort_small_config_static_selectorELNS0_4arch9wavefront6targetE0EEEvSK_,comdat
.Lfunc_end1647:
	.size	_ZN7rocprim17ROCPRIM_400000_NS6detail17trampoline_kernelINS0_14default_configENS1_36segmented_radix_sort_config_selectorIblEEZNS1_25segmented_radix_sort_implIS3_Lb0EPKbPbPKlPlN2at6native12_GLOBAL__N_18offset_tEEE10hipError_tPvRmT1_PNSt15iterator_traitsISK_E10value_typeET2_T3_PNSL_ISQ_E10value_typeET4_jRbjT5_SW_jjP12ihipStream_tbEUlT_E1_NS1_11comp_targetILNS1_3genE5ELNS1_11target_archE942ELNS1_3gpuE9ELNS1_3repE0EEENS1_59segmented_radix_sort_warp_sort_small_config_static_selectorELNS0_4arch9wavefront6targetE0EEEvSK_, .Lfunc_end1647-_ZN7rocprim17ROCPRIM_400000_NS6detail17trampoline_kernelINS0_14default_configENS1_36segmented_radix_sort_config_selectorIblEEZNS1_25segmented_radix_sort_implIS3_Lb0EPKbPbPKlPlN2at6native12_GLOBAL__N_18offset_tEEE10hipError_tPvRmT1_PNSt15iterator_traitsISK_E10value_typeET2_T3_PNSL_ISQ_E10value_typeET4_jRbjT5_SW_jjP12ihipStream_tbEUlT_E1_NS1_11comp_targetILNS1_3genE5ELNS1_11target_archE942ELNS1_3gpuE9ELNS1_3repE0EEENS1_59segmented_radix_sort_warp_sort_small_config_static_selectorELNS0_4arch9wavefront6targetE0EEEvSK_
                                        ; -- End function
	.set _ZN7rocprim17ROCPRIM_400000_NS6detail17trampoline_kernelINS0_14default_configENS1_36segmented_radix_sort_config_selectorIblEEZNS1_25segmented_radix_sort_implIS3_Lb0EPKbPbPKlPlN2at6native12_GLOBAL__N_18offset_tEEE10hipError_tPvRmT1_PNSt15iterator_traitsISK_E10value_typeET2_T3_PNSL_ISQ_E10value_typeET4_jRbjT5_SW_jjP12ihipStream_tbEUlT_E1_NS1_11comp_targetILNS1_3genE5ELNS1_11target_archE942ELNS1_3gpuE9ELNS1_3repE0EEENS1_59segmented_radix_sort_warp_sort_small_config_static_selectorELNS0_4arch9wavefront6targetE0EEEvSK_.num_vgpr, 0
	.set _ZN7rocprim17ROCPRIM_400000_NS6detail17trampoline_kernelINS0_14default_configENS1_36segmented_radix_sort_config_selectorIblEEZNS1_25segmented_radix_sort_implIS3_Lb0EPKbPbPKlPlN2at6native12_GLOBAL__N_18offset_tEEE10hipError_tPvRmT1_PNSt15iterator_traitsISK_E10value_typeET2_T3_PNSL_ISQ_E10value_typeET4_jRbjT5_SW_jjP12ihipStream_tbEUlT_E1_NS1_11comp_targetILNS1_3genE5ELNS1_11target_archE942ELNS1_3gpuE9ELNS1_3repE0EEENS1_59segmented_radix_sort_warp_sort_small_config_static_selectorELNS0_4arch9wavefront6targetE0EEEvSK_.num_agpr, 0
	.set _ZN7rocprim17ROCPRIM_400000_NS6detail17trampoline_kernelINS0_14default_configENS1_36segmented_radix_sort_config_selectorIblEEZNS1_25segmented_radix_sort_implIS3_Lb0EPKbPbPKlPlN2at6native12_GLOBAL__N_18offset_tEEE10hipError_tPvRmT1_PNSt15iterator_traitsISK_E10value_typeET2_T3_PNSL_ISQ_E10value_typeET4_jRbjT5_SW_jjP12ihipStream_tbEUlT_E1_NS1_11comp_targetILNS1_3genE5ELNS1_11target_archE942ELNS1_3gpuE9ELNS1_3repE0EEENS1_59segmented_radix_sort_warp_sort_small_config_static_selectorELNS0_4arch9wavefront6targetE0EEEvSK_.numbered_sgpr, 0
	.set _ZN7rocprim17ROCPRIM_400000_NS6detail17trampoline_kernelINS0_14default_configENS1_36segmented_radix_sort_config_selectorIblEEZNS1_25segmented_radix_sort_implIS3_Lb0EPKbPbPKlPlN2at6native12_GLOBAL__N_18offset_tEEE10hipError_tPvRmT1_PNSt15iterator_traitsISK_E10value_typeET2_T3_PNSL_ISQ_E10value_typeET4_jRbjT5_SW_jjP12ihipStream_tbEUlT_E1_NS1_11comp_targetILNS1_3genE5ELNS1_11target_archE942ELNS1_3gpuE9ELNS1_3repE0EEENS1_59segmented_radix_sort_warp_sort_small_config_static_selectorELNS0_4arch9wavefront6targetE0EEEvSK_.num_named_barrier, 0
	.set _ZN7rocprim17ROCPRIM_400000_NS6detail17trampoline_kernelINS0_14default_configENS1_36segmented_radix_sort_config_selectorIblEEZNS1_25segmented_radix_sort_implIS3_Lb0EPKbPbPKlPlN2at6native12_GLOBAL__N_18offset_tEEE10hipError_tPvRmT1_PNSt15iterator_traitsISK_E10value_typeET2_T3_PNSL_ISQ_E10value_typeET4_jRbjT5_SW_jjP12ihipStream_tbEUlT_E1_NS1_11comp_targetILNS1_3genE5ELNS1_11target_archE942ELNS1_3gpuE9ELNS1_3repE0EEENS1_59segmented_radix_sort_warp_sort_small_config_static_selectorELNS0_4arch9wavefront6targetE0EEEvSK_.private_seg_size, 0
	.set _ZN7rocprim17ROCPRIM_400000_NS6detail17trampoline_kernelINS0_14default_configENS1_36segmented_radix_sort_config_selectorIblEEZNS1_25segmented_radix_sort_implIS3_Lb0EPKbPbPKlPlN2at6native12_GLOBAL__N_18offset_tEEE10hipError_tPvRmT1_PNSt15iterator_traitsISK_E10value_typeET2_T3_PNSL_ISQ_E10value_typeET4_jRbjT5_SW_jjP12ihipStream_tbEUlT_E1_NS1_11comp_targetILNS1_3genE5ELNS1_11target_archE942ELNS1_3gpuE9ELNS1_3repE0EEENS1_59segmented_radix_sort_warp_sort_small_config_static_selectorELNS0_4arch9wavefront6targetE0EEEvSK_.uses_vcc, 0
	.set _ZN7rocprim17ROCPRIM_400000_NS6detail17trampoline_kernelINS0_14default_configENS1_36segmented_radix_sort_config_selectorIblEEZNS1_25segmented_radix_sort_implIS3_Lb0EPKbPbPKlPlN2at6native12_GLOBAL__N_18offset_tEEE10hipError_tPvRmT1_PNSt15iterator_traitsISK_E10value_typeET2_T3_PNSL_ISQ_E10value_typeET4_jRbjT5_SW_jjP12ihipStream_tbEUlT_E1_NS1_11comp_targetILNS1_3genE5ELNS1_11target_archE942ELNS1_3gpuE9ELNS1_3repE0EEENS1_59segmented_radix_sort_warp_sort_small_config_static_selectorELNS0_4arch9wavefront6targetE0EEEvSK_.uses_flat_scratch, 0
	.set _ZN7rocprim17ROCPRIM_400000_NS6detail17trampoline_kernelINS0_14default_configENS1_36segmented_radix_sort_config_selectorIblEEZNS1_25segmented_radix_sort_implIS3_Lb0EPKbPbPKlPlN2at6native12_GLOBAL__N_18offset_tEEE10hipError_tPvRmT1_PNSt15iterator_traitsISK_E10value_typeET2_T3_PNSL_ISQ_E10value_typeET4_jRbjT5_SW_jjP12ihipStream_tbEUlT_E1_NS1_11comp_targetILNS1_3genE5ELNS1_11target_archE942ELNS1_3gpuE9ELNS1_3repE0EEENS1_59segmented_radix_sort_warp_sort_small_config_static_selectorELNS0_4arch9wavefront6targetE0EEEvSK_.has_dyn_sized_stack, 0
	.set _ZN7rocprim17ROCPRIM_400000_NS6detail17trampoline_kernelINS0_14default_configENS1_36segmented_radix_sort_config_selectorIblEEZNS1_25segmented_radix_sort_implIS3_Lb0EPKbPbPKlPlN2at6native12_GLOBAL__N_18offset_tEEE10hipError_tPvRmT1_PNSt15iterator_traitsISK_E10value_typeET2_T3_PNSL_ISQ_E10value_typeET4_jRbjT5_SW_jjP12ihipStream_tbEUlT_E1_NS1_11comp_targetILNS1_3genE5ELNS1_11target_archE942ELNS1_3gpuE9ELNS1_3repE0EEENS1_59segmented_radix_sort_warp_sort_small_config_static_selectorELNS0_4arch9wavefront6targetE0EEEvSK_.has_recursion, 0
	.set _ZN7rocprim17ROCPRIM_400000_NS6detail17trampoline_kernelINS0_14default_configENS1_36segmented_radix_sort_config_selectorIblEEZNS1_25segmented_radix_sort_implIS3_Lb0EPKbPbPKlPlN2at6native12_GLOBAL__N_18offset_tEEE10hipError_tPvRmT1_PNSt15iterator_traitsISK_E10value_typeET2_T3_PNSL_ISQ_E10value_typeET4_jRbjT5_SW_jjP12ihipStream_tbEUlT_E1_NS1_11comp_targetILNS1_3genE5ELNS1_11target_archE942ELNS1_3gpuE9ELNS1_3repE0EEENS1_59segmented_radix_sort_warp_sort_small_config_static_selectorELNS0_4arch9wavefront6targetE0EEEvSK_.has_indirect_call, 0
	.section	.AMDGPU.csdata,"",@progbits
; Kernel info:
; codeLenInByte = 0
; TotalNumSgprs: 0
; NumVgprs: 0
; ScratchSize: 0
; MemoryBound: 0
; FloatMode: 240
; IeeeMode: 1
; LDSByteSize: 0 bytes/workgroup (compile time only)
; SGPRBlocks: 0
; VGPRBlocks: 0
; NumSGPRsForWavesPerEU: 1
; NumVGPRsForWavesPerEU: 1
; Occupancy: 16
; WaveLimiterHint : 0
; COMPUTE_PGM_RSRC2:SCRATCH_EN: 0
; COMPUTE_PGM_RSRC2:USER_SGPR: 6
; COMPUTE_PGM_RSRC2:TRAP_HANDLER: 0
; COMPUTE_PGM_RSRC2:TGID_X_EN: 1
; COMPUTE_PGM_RSRC2:TGID_Y_EN: 0
; COMPUTE_PGM_RSRC2:TGID_Z_EN: 0
; COMPUTE_PGM_RSRC2:TIDIG_COMP_CNT: 0
	.section	.text._ZN7rocprim17ROCPRIM_400000_NS6detail17trampoline_kernelINS0_14default_configENS1_36segmented_radix_sort_config_selectorIblEEZNS1_25segmented_radix_sort_implIS3_Lb0EPKbPbPKlPlN2at6native12_GLOBAL__N_18offset_tEEE10hipError_tPvRmT1_PNSt15iterator_traitsISK_E10value_typeET2_T3_PNSL_ISQ_E10value_typeET4_jRbjT5_SW_jjP12ihipStream_tbEUlT_E1_NS1_11comp_targetILNS1_3genE4ELNS1_11target_archE910ELNS1_3gpuE8ELNS1_3repE0EEENS1_59segmented_radix_sort_warp_sort_small_config_static_selectorELNS0_4arch9wavefront6targetE0EEEvSK_,"axG",@progbits,_ZN7rocprim17ROCPRIM_400000_NS6detail17trampoline_kernelINS0_14default_configENS1_36segmented_radix_sort_config_selectorIblEEZNS1_25segmented_radix_sort_implIS3_Lb0EPKbPbPKlPlN2at6native12_GLOBAL__N_18offset_tEEE10hipError_tPvRmT1_PNSt15iterator_traitsISK_E10value_typeET2_T3_PNSL_ISQ_E10value_typeET4_jRbjT5_SW_jjP12ihipStream_tbEUlT_E1_NS1_11comp_targetILNS1_3genE4ELNS1_11target_archE910ELNS1_3gpuE8ELNS1_3repE0EEENS1_59segmented_radix_sort_warp_sort_small_config_static_selectorELNS0_4arch9wavefront6targetE0EEEvSK_,comdat
	.globl	_ZN7rocprim17ROCPRIM_400000_NS6detail17trampoline_kernelINS0_14default_configENS1_36segmented_radix_sort_config_selectorIblEEZNS1_25segmented_radix_sort_implIS3_Lb0EPKbPbPKlPlN2at6native12_GLOBAL__N_18offset_tEEE10hipError_tPvRmT1_PNSt15iterator_traitsISK_E10value_typeET2_T3_PNSL_ISQ_E10value_typeET4_jRbjT5_SW_jjP12ihipStream_tbEUlT_E1_NS1_11comp_targetILNS1_3genE4ELNS1_11target_archE910ELNS1_3gpuE8ELNS1_3repE0EEENS1_59segmented_radix_sort_warp_sort_small_config_static_selectorELNS0_4arch9wavefront6targetE0EEEvSK_ ; -- Begin function _ZN7rocprim17ROCPRIM_400000_NS6detail17trampoline_kernelINS0_14default_configENS1_36segmented_radix_sort_config_selectorIblEEZNS1_25segmented_radix_sort_implIS3_Lb0EPKbPbPKlPlN2at6native12_GLOBAL__N_18offset_tEEE10hipError_tPvRmT1_PNSt15iterator_traitsISK_E10value_typeET2_T3_PNSL_ISQ_E10value_typeET4_jRbjT5_SW_jjP12ihipStream_tbEUlT_E1_NS1_11comp_targetILNS1_3genE4ELNS1_11target_archE910ELNS1_3gpuE8ELNS1_3repE0EEENS1_59segmented_radix_sort_warp_sort_small_config_static_selectorELNS0_4arch9wavefront6targetE0EEEvSK_
	.p2align	8
	.type	_ZN7rocprim17ROCPRIM_400000_NS6detail17trampoline_kernelINS0_14default_configENS1_36segmented_radix_sort_config_selectorIblEEZNS1_25segmented_radix_sort_implIS3_Lb0EPKbPbPKlPlN2at6native12_GLOBAL__N_18offset_tEEE10hipError_tPvRmT1_PNSt15iterator_traitsISK_E10value_typeET2_T3_PNSL_ISQ_E10value_typeET4_jRbjT5_SW_jjP12ihipStream_tbEUlT_E1_NS1_11comp_targetILNS1_3genE4ELNS1_11target_archE910ELNS1_3gpuE8ELNS1_3repE0EEENS1_59segmented_radix_sort_warp_sort_small_config_static_selectorELNS0_4arch9wavefront6targetE0EEEvSK_,@function
_ZN7rocprim17ROCPRIM_400000_NS6detail17trampoline_kernelINS0_14default_configENS1_36segmented_radix_sort_config_selectorIblEEZNS1_25segmented_radix_sort_implIS3_Lb0EPKbPbPKlPlN2at6native12_GLOBAL__N_18offset_tEEE10hipError_tPvRmT1_PNSt15iterator_traitsISK_E10value_typeET2_T3_PNSL_ISQ_E10value_typeET4_jRbjT5_SW_jjP12ihipStream_tbEUlT_E1_NS1_11comp_targetILNS1_3genE4ELNS1_11target_archE910ELNS1_3gpuE8ELNS1_3repE0EEENS1_59segmented_radix_sort_warp_sort_small_config_static_selectorELNS0_4arch9wavefront6targetE0EEEvSK_: ; @_ZN7rocprim17ROCPRIM_400000_NS6detail17trampoline_kernelINS0_14default_configENS1_36segmented_radix_sort_config_selectorIblEEZNS1_25segmented_radix_sort_implIS3_Lb0EPKbPbPKlPlN2at6native12_GLOBAL__N_18offset_tEEE10hipError_tPvRmT1_PNSt15iterator_traitsISK_E10value_typeET2_T3_PNSL_ISQ_E10value_typeET4_jRbjT5_SW_jjP12ihipStream_tbEUlT_E1_NS1_11comp_targetILNS1_3genE4ELNS1_11target_archE910ELNS1_3gpuE8ELNS1_3repE0EEENS1_59segmented_radix_sort_warp_sort_small_config_static_selectorELNS0_4arch9wavefront6targetE0EEEvSK_
; %bb.0:
	.section	.rodata,"a",@progbits
	.p2align	6, 0x0
	.amdhsa_kernel _ZN7rocprim17ROCPRIM_400000_NS6detail17trampoline_kernelINS0_14default_configENS1_36segmented_radix_sort_config_selectorIblEEZNS1_25segmented_radix_sort_implIS3_Lb0EPKbPbPKlPlN2at6native12_GLOBAL__N_18offset_tEEE10hipError_tPvRmT1_PNSt15iterator_traitsISK_E10value_typeET2_T3_PNSL_ISQ_E10value_typeET4_jRbjT5_SW_jjP12ihipStream_tbEUlT_E1_NS1_11comp_targetILNS1_3genE4ELNS1_11target_archE910ELNS1_3gpuE8ELNS1_3repE0EEENS1_59segmented_radix_sort_warp_sort_small_config_static_selectorELNS0_4arch9wavefront6targetE0EEEvSK_
		.amdhsa_group_segment_fixed_size 0
		.amdhsa_private_segment_fixed_size 0
		.amdhsa_kernarg_size 88
		.amdhsa_user_sgpr_count 6
		.amdhsa_user_sgpr_private_segment_buffer 1
		.amdhsa_user_sgpr_dispatch_ptr 0
		.amdhsa_user_sgpr_queue_ptr 0
		.amdhsa_user_sgpr_kernarg_segment_ptr 1
		.amdhsa_user_sgpr_dispatch_id 0
		.amdhsa_user_sgpr_flat_scratch_init 0
		.amdhsa_user_sgpr_private_segment_size 0
		.amdhsa_wavefront_size32 1
		.amdhsa_uses_dynamic_stack 0
		.amdhsa_system_sgpr_private_segment_wavefront_offset 0
		.amdhsa_system_sgpr_workgroup_id_x 1
		.amdhsa_system_sgpr_workgroup_id_y 0
		.amdhsa_system_sgpr_workgroup_id_z 0
		.amdhsa_system_sgpr_workgroup_info 0
		.amdhsa_system_vgpr_workitem_id 0
		.amdhsa_next_free_vgpr 1
		.amdhsa_next_free_sgpr 1
		.amdhsa_reserve_vcc 0
		.amdhsa_reserve_flat_scratch 0
		.amdhsa_float_round_mode_32 0
		.amdhsa_float_round_mode_16_64 0
		.amdhsa_float_denorm_mode_32 3
		.amdhsa_float_denorm_mode_16_64 3
		.amdhsa_dx10_clamp 1
		.amdhsa_ieee_mode 1
		.amdhsa_fp16_overflow 0
		.amdhsa_workgroup_processor_mode 1
		.amdhsa_memory_ordered 1
		.amdhsa_forward_progress 1
		.amdhsa_shared_vgpr_count 0
		.amdhsa_exception_fp_ieee_invalid_op 0
		.amdhsa_exception_fp_denorm_src 0
		.amdhsa_exception_fp_ieee_div_zero 0
		.amdhsa_exception_fp_ieee_overflow 0
		.amdhsa_exception_fp_ieee_underflow 0
		.amdhsa_exception_fp_ieee_inexact 0
		.amdhsa_exception_int_div_zero 0
	.end_amdhsa_kernel
	.section	.text._ZN7rocprim17ROCPRIM_400000_NS6detail17trampoline_kernelINS0_14default_configENS1_36segmented_radix_sort_config_selectorIblEEZNS1_25segmented_radix_sort_implIS3_Lb0EPKbPbPKlPlN2at6native12_GLOBAL__N_18offset_tEEE10hipError_tPvRmT1_PNSt15iterator_traitsISK_E10value_typeET2_T3_PNSL_ISQ_E10value_typeET4_jRbjT5_SW_jjP12ihipStream_tbEUlT_E1_NS1_11comp_targetILNS1_3genE4ELNS1_11target_archE910ELNS1_3gpuE8ELNS1_3repE0EEENS1_59segmented_radix_sort_warp_sort_small_config_static_selectorELNS0_4arch9wavefront6targetE0EEEvSK_,"axG",@progbits,_ZN7rocprim17ROCPRIM_400000_NS6detail17trampoline_kernelINS0_14default_configENS1_36segmented_radix_sort_config_selectorIblEEZNS1_25segmented_radix_sort_implIS3_Lb0EPKbPbPKlPlN2at6native12_GLOBAL__N_18offset_tEEE10hipError_tPvRmT1_PNSt15iterator_traitsISK_E10value_typeET2_T3_PNSL_ISQ_E10value_typeET4_jRbjT5_SW_jjP12ihipStream_tbEUlT_E1_NS1_11comp_targetILNS1_3genE4ELNS1_11target_archE910ELNS1_3gpuE8ELNS1_3repE0EEENS1_59segmented_radix_sort_warp_sort_small_config_static_selectorELNS0_4arch9wavefront6targetE0EEEvSK_,comdat
.Lfunc_end1648:
	.size	_ZN7rocprim17ROCPRIM_400000_NS6detail17trampoline_kernelINS0_14default_configENS1_36segmented_radix_sort_config_selectorIblEEZNS1_25segmented_radix_sort_implIS3_Lb0EPKbPbPKlPlN2at6native12_GLOBAL__N_18offset_tEEE10hipError_tPvRmT1_PNSt15iterator_traitsISK_E10value_typeET2_T3_PNSL_ISQ_E10value_typeET4_jRbjT5_SW_jjP12ihipStream_tbEUlT_E1_NS1_11comp_targetILNS1_3genE4ELNS1_11target_archE910ELNS1_3gpuE8ELNS1_3repE0EEENS1_59segmented_radix_sort_warp_sort_small_config_static_selectorELNS0_4arch9wavefront6targetE0EEEvSK_, .Lfunc_end1648-_ZN7rocprim17ROCPRIM_400000_NS6detail17trampoline_kernelINS0_14default_configENS1_36segmented_radix_sort_config_selectorIblEEZNS1_25segmented_radix_sort_implIS3_Lb0EPKbPbPKlPlN2at6native12_GLOBAL__N_18offset_tEEE10hipError_tPvRmT1_PNSt15iterator_traitsISK_E10value_typeET2_T3_PNSL_ISQ_E10value_typeET4_jRbjT5_SW_jjP12ihipStream_tbEUlT_E1_NS1_11comp_targetILNS1_3genE4ELNS1_11target_archE910ELNS1_3gpuE8ELNS1_3repE0EEENS1_59segmented_radix_sort_warp_sort_small_config_static_selectorELNS0_4arch9wavefront6targetE0EEEvSK_
                                        ; -- End function
	.set _ZN7rocprim17ROCPRIM_400000_NS6detail17trampoline_kernelINS0_14default_configENS1_36segmented_radix_sort_config_selectorIblEEZNS1_25segmented_radix_sort_implIS3_Lb0EPKbPbPKlPlN2at6native12_GLOBAL__N_18offset_tEEE10hipError_tPvRmT1_PNSt15iterator_traitsISK_E10value_typeET2_T3_PNSL_ISQ_E10value_typeET4_jRbjT5_SW_jjP12ihipStream_tbEUlT_E1_NS1_11comp_targetILNS1_3genE4ELNS1_11target_archE910ELNS1_3gpuE8ELNS1_3repE0EEENS1_59segmented_radix_sort_warp_sort_small_config_static_selectorELNS0_4arch9wavefront6targetE0EEEvSK_.num_vgpr, 0
	.set _ZN7rocprim17ROCPRIM_400000_NS6detail17trampoline_kernelINS0_14default_configENS1_36segmented_radix_sort_config_selectorIblEEZNS1_25segmented_radix_sort_implIS3_Lb0EPKbPbPKlPlN2at6native12_GLOBAL__N_18offset_tEEE10hipError_tPvRmT1_PNSt15iterator_traitsISK_E10value_typeET2_T3_PNSL_ISQ_E10value_typeET4_jRbjT5_SW_jjP12ihipStream_tbEUlT_E1_NS1_11comp_targetILNS1_3genE4ELNS1_11target_archE910ELNS1_3gpuE8ELNS1_3repE0EEENS1_59segmented_radix_sort_warp_sort_small_config_static_selectorELNS0_4arch9wavefront6targetE0EEEvSK_.num_agpr, 0
	.set _ZN7rocprim17ROCPRIM_400000_NS6detail17trampoline_kernelINS0_14default_configENS1_36segmented_radix_sort_config_selectorIblEEZNS1_25segmented_radix_sort_implIS3_Lb0EPKbPbPKlPlN2at6native12_GLOBAL__N_18offset_tEEE10hipError_tPvRmT1_PNSt15iterator_traitsISK_E10value_typeET2_T3_PNSL_ISQ_E10value_typeET4_jRbjT5_SW_jjP12ihipStream_tbEUlT_E1_NS1_11comp_targetILNS1_3genE4ELNS1_11target_archE910ELNS1_3gpuE8ELNS1_3repE0EEENS1_59segmented_radix_sort_warp_sort_small_config_static_selectorELNS0_4arch9wavefront6targetE0EEEvSK_.numbered_sgpr, 0
	.set _ZN7rocprim17ROCPRIM_400000_NS6detail17trampoline_kernelINS0_14default_configENS1_36segmented_radix_sort_config_selectorIblEEZNS1_25segmented_radix_sort_implIS3_Lb0EPKbPbPKlPlN2at6native12_GLOBAL__N_18offset_tEEE10hipError_tPvRmT1_PNSt15iterator_traitsISK_E10value_typeET2_T3_PNSL_ISQ_E10value_typeET4_jRbjT5_SW_jjP12ihipStream_tbEUlT_E1_NS1_11comp_targetILNS1_3genE4ELNS1_11target_archE910ELNS1_3gpuE8ELNS1_3repE0EEENS1_59segmented_radix_sort_warp_sort_small_config_static_selectorELNS0_4arch9wavefront6targetE0EEEvSK_.num_named_barrier, 0
	.set _ZN7rocprim17ROCPRIM_400000_NS6detail17trampoline_kernelINS0_14default_configENS1_36segmented_radix_sort_config_selectorIblEEZNS1_25segmented_radix_sort_implIS3_Lb0EPKbPbPKlPlN2at6native12_GLOBAL__N_18offset_tEEE10hipError_tPvRmT1_PNSt15iterator_traitsISK_E10value_typeET2_T3_PNSL_ISQ_E10value_typeET4_jRbjT5_SW_jjP12ihipStream_tbEUlT_E1_NS1_11comp_targetILNS1_3genE4ELNS1_11target_archE910ELNS1_3gpuE8ELNS1_3repE0EEENS1_59segmented_radix_sort_warp_sort_small_config_static_selectorELNS0_4arch9wavefront6targetE0EEEvSK_.private_seg_size, 0
	.set _ZN7rocprim17ROCPRIM_400000_NS6detail17trampoline_kernelINS0_14default_configENS1_36segmented_radix_sort_config_selectorIblEEZNS1_25segmented_radix_sort_implIS3_Lb0EPKbPbPKlPlN2at6native12_GLOBAL__N_18offset_tEEE10hipError_tPvRmT1_PNSt15iterator_traitsISK_E10value_typeET2_T3_PNSL_ISQ_E10value_typeET4_jRbjT5_SW_jjP12ihipStream_tbEUlT_E1_NS1_11comp_targetILNS1_3genE4ELNS1_11target_archE910ELNS1_3gpuE8ELNS1_3repE0EEENS1_59segmented_radix_sort_warp_sort_small_config_static_selectorELNS0_4arch9wavefront6targetE0EEEvSK_.uses_vcc, 0
	.set _ZN7rocprim17ROCPRIM_400000_NS6detail17trampoline_kernelINS0_14default_configENS1_36segmented_radix_sort_config_selectorIblEEZNS1_25segmented_radix_sort_implIS3_Lb0EPKbPbPKlPlN2at6native12_GLOBAL__N_18offset_tEEE10hipError_tPvRmT1_PNSt15iterator_traitsISK_E10value_typeET2_T3_PNSL_ISQ_E10value_typeET4_jRbjT5_SW_jjP12ihipStream_tbEUlT_E1_NS1_11comp_targetILNS1_3genE4ELNS1_11target_archE910ELNS1_3gpuE8ELNS1_3repE0EEENS1_59segmented_radix_sort_warp_sort_small_config_static_selectorELNS0_4arch9wavefront6targetE0EEEvSK_.uses_flat_scratch, 0
	.set _ZN7rocprim17ROCPRIM_400000_NS6detail17trampoline_kernelINS0_14default_configENS1_36segmented_radix_sort_config_selectorIblEEZNS1_25segmented_radix_sort_implIS3_Lb0EPKbPbPKlPlN2at6native12_GLOBAL__N_18offset_tEEE10hipError_tPvRmT1_PNSt15iterator_traitsISK_E10value_typeET2_T3_PNSL_ISQ_E10value_typeET4_jRbjT5_SW_jjP12ihipStream_tbEUlT_E1_NS1_11comp_targetILNS1_3genE4ELNS1_11target_archE910ELNS1_3gpuE8ELNS1_3repE0EEENS1_59segmented_radix_sort_warp_sort_small_config_static_selectorELNS0_4arch9wavefront6targetE0EEEvSK_.has_dyn_sized_stack, 0
	.set _ZN7rocprim17ROCPRIM_400000_NS6detail17trampoline_kernelINS0_14default_configENS1_36segmented_radix_sort_config_selectorIblEEZNS1_25segmented_radix_sort_implIS3_Lb0EPKbPbPKlPlN2at6native12_GLOBAL__N_18offset_tEEE10hipError_tPvRmT1_PNSt15iterator_traitsISK_E10value_typeET2_T3_PNSL_ISQ_E10value_typeET4_jRbjT5_SW_jjP12ihipStream_tbEUlT_E1_NS1_11comp_targetILNS1_3genE4ELNS1_11target_archE910ELNS1_3gpuE8ELNS1_3repE0EEENS1_59segmented_radix_sort_warp_sort_small_config_static_selectorELNS0_4arch9wavefront6targetE0EEEvSK_.has_recursion, 0
	.set _ZN7rocprim17ROCPRIM_400000_NS6detail17trampoline_kernelINS0_14default_configENS1_36segmented_radix_sort_config_selectorIblEEZNS1_25segmented_radix_sort_implIS3_Lb0EPKbPbPKlPlN2at6native12_GLOBAL__N_18offset_tEEE10hipError_tPvRmT1_PNSt15iterator_traitsISK_E10value_typeET2_T3_PNSL_ISQ_E10value_typeET4_jRbjT5_SW_jjP12ihipStream_tbEUlT_E1_NS1_11comp_targetILNS1_3genE4ELNS1_11target_archE910ELNS1_3gpuE8ELNS1_3repE0EEENS1_59segmented_radix_sort_warp_sort_small_config_static_selectorELNS0_4arch9wavefront6targetE0EEEvSK_.has_indirect_call, 0
	.section	.AMDGPU.csdata,"",@progbits
; Kernel info:
; codeLenInByte = 0
; TotalNumSgprs: 0
; NumVgprs: 0
; ScratchSize: 0
; MemoryBound: 0
; FloatMode: 240
; IeeeMode: 1
; LDSByteSize: 0 bytes/workgroup (compile time only)
; SGPRBlocks: 0
; VGPRBlocks: 0
; NumSGPRsForWavesPerEU: 1
; NumVGPRsForWavesPerEU: 1
; Occupancy: 16
; WaveLimiterHint : 0
; COMPUTE_PGM_RSRC2:SCRATCH_EN: 0
; COMPUTE_PGM_RSRC2:USER_SGPR: 6
; COMPUTE_PGM_RSRC2:TRAP_HANDLER: 0
; COMPUTE_PGM_RSRC2:TGID_X_EN: 1
; COMPUTE_PGM_RSRC2:TGID_Y_EN: 0
; COMPUTE_PGM_RSRC2:TGID_Z_EN: 0
; COMPUTE_PGM_RSRC2:TIDIG_COMP_CNT: 0
	.section	.text._ZN7rocprim17ROCPRIM_400000_NS6detail17trampoline_kernelINS0_14default_configENS1_36segmented_radix_sort_config_selectorIblEEZNS1_25segmented_radix_sort_implIS3_Lb0EPKbPbPKlPlN2at6native12_GLOBAL__N_18offset_tEEE10hipError_tPvRmT1_PNSt15iterator_traitsISK_E10value_typeET2_T3_PNSL_ISQ_E10value_typeET4_jRbjT5_SW_jjP12ihipStream_tbEUlT_E1_NS1_11comp_targetILNS1_3genE3ELNS1_11target_archE908ELNS1_3gpuE7ELNS1_3repE0EEENS1_59segmented_radix_sort_warp_sort_small_config_static_selectorELNS0_4arch9wavefront6targetE0EEEvSK_,"axG",@progbits,_ZN7rocprim17ROCPRIM_400000_NS6detail17trampoline_kernelINS0_14default_configENS1_36segmented_radix_sort_config_selectorIblEEZNS1_25segmented_radix_sort_implIS3_Lb0EPKbPbPKlPlN2at6native12_GLOBAL__N_18offset_tEEE10hipError_tPvRmT1_PNSt15iterator_traitsISK_E10value_typeET2_T3_PNSL_ISQ_E10value_typeET4_jRbjT5_SW_jjP12ihipStream_tbEUlT_E1_NS1_11comp_targetILNS1_3genE3ELNS1_11target_archE908ELNS1_3gpuE7ELNS1_3repE0EEENS1_59segmented_radix_sort_warp_sort_small_config_static_selectorELNS0_4arch9wavefront6targetE0EEEvSK_,comdat
	.globl	_ZN7rocprim17ROCPRIM_400000_NS6detail17trampoline_kernelINS0_14default_configENS1_36segmented_radix_sort_config_selectorIblEEZNS1_25segmented_radix_sort_implIS3_Lb0EPKbPbPKlPlN2at6native12_GLOBAL__N_18offset_tEEE10hipError_tPvRmT1_PNSt15iterator_traitsISK_E10value_typeET2_T3_PNSL_ISQ_E10value_typeET4_jRbjT5_SW_jjP12ihipStream_tbEUlT_E1_NS1_11comp_targetILNS1_3genE3ELNS1_11target_archE908ELNS1_3gpuE7ELNS1_3repE0EEENS1_59segmented_radix_sort_warp_sort_small_config_static_selectorELNS0_4arch9wavefront6targetE0EEEvSK_ ; -- Begin function _ZN7rocprim17ROCPRIM_400000_NS6detail17trampoline_kernelINS0_14default_configENS1_36segmented_radix_sort_config_selectorIblEEZNS1_25segmented_radix_sort_implIS3_Lb0EPKbPbPKlPlN2at6native12_GLOBAL__N_18offset_tEEE10hipError_tPvRmT1_PNSt15iterator_traitsISK_E10value_typeET2_T3_PNSL_ISQ_E10value_typeET4_jRbjT5_SW_jjP12ihipStream_tbEUlT_E1_NS1_11comp_targetILNS1_3genE3ELNS1_11target_archE908ELNS1_3gpuE7ELNS1_3repE0EEENS1_59segmented_radix_sort_warp_sort_small_config_static_selectorELNS0_4arch9wavefront6targetE0EEEvSK_
	.p2align	8
	.type	_ZN7rocprim17ROCPRIM_400000_NS6detail17trampoline_kernelINS0_14default_configENS1_36segmented_radix_sort_config_selectorIblEEZNS1_25segmented_radix_sort_implIS3_Lb0EPKbPbPKlPlN2at6native12_GLOBAL__N_18offset_tEEE10hipError_tPvRmT1_PNSt15iterator_traitsISK_E10value_typeET2_T3_PNSL_ISQ_E10value_typeET4_jRbjT5_SW_jjP12ihipStream_tbEUlT_E1_NS1_11comp_targetILNS1_3genE3ELNS1_11target_archE908ELNS1_3gpuE7ELNS1_3repE0EEENS1_59segmented_radix_sort_warp_sort_small_config_static_selectorELNS0_4arch9wavefront6targetE0EEEvSK_,@function
_ZN7rocprim17ROCPRIM_400000_NS6detail17trampoline_kernelINS0_14default_configENS1_36segmented_radix_sort_config_selectorIblEEZNS1_25segmented_radix_sort_implIS3_Lb0EPKbPbPKlPlN2at6native12_GLOBAL__N_18offset_tEEE10hipError_tPvRmT1_PNSt15iterator_traitsISK_E10value_typeET2_T3_PNSL_ISQ_E10value_typeET4_jRbjT5_SW_jjP12ihipStream_tbEUlT_E1_NS1_11comp_targetILNS1_3genE3ELNS1_11target_archE908ELNS1_3gpuE7ELNS1_3repE0EEENS1_59segmented_radix_sort_warp_sort_small_config_static_selectorELNS0_4arch9wavefront6targetE0EEEvSK_: ; @_ZN7rocprim17ROCPRIM_400000_NS6detail17trampoline_kernelINS0_14default_configENS1_36segmented_radix_sort_config_selectorIblEEZNS1_25segmented_radix_sort_implIS3_Lb0EPKbPbPKlPlN2at6native12_GLOBAL__N_18offset_tEEE10hipError_tPvRmT1_PNSt15iterator_traitsISK_E10value_typeET2_T3_PNSL_ISQ_E10value_typeET4_jRbjT5_SW_jjP12ihipStream_tbEUlT_E1_NS1_11comp_targetILNS1_3genE3ELNS1_11target_archE908ELNS1_3gpuE7ELNS1_3repE0EEENS1_59segmented_radix_sort_warp_sort_small_config_static_selectorELNS0_4arch9wavefront6targetE0EEEvSK_
; %bb.0:
	.section	.rodata,"a",@progbits
	.p2align	6, 0x0
	.amdhsa_kernel _ZN7rocprim17ROCPRIM_400000_NS6detail17trampoline_kernelINS0_14default_configENS1_36segmented_radix_sort_config_selectorIblEEZNS1_25segmented_radix_sort_implIS3_Lb0EPKbPbPKlPlN2at6native12_GLOBAL__N_18offset_tEEE10hipError_tPvRmT1_PNSt15iterator_traitsISK_E10value_typeET2_T3_PNSL_ISQ_E10value_typeET4_jRbjT5_SW_jjP12ihipStream_tbEUlT_E1_NS1_11comp_targetILNS1_3genE3ELNS1_11target_archE908ELNS1_3gpuE7ELNS1_3repE0EEENS1_59segmented_radix_sort_warp_sort_small_config_static_selectorELNS0_4arch9wavefront6targetE0EEEvSK_
		.amdhsa_group_segment_fixed_size 0
		.amdhsa_private_segment_fixed_size 0
		.amdhsa_kernarg_size 88
		.amdhsa_user_sgpr_count 6
		.amdhsa_user_sgpr_private_segment_buffer 1
		.amdhsa_user_sgpr_dispatch_ptr 0
		.amdhsa_user_sgpr_queue_ptr 0
		.amdhsa_user_sgpr_kernarg_segment_ptr 1
		.amdhsa_user_sgpr_dispatch_id 0
		.amdhsa_user_sgpr_flat_scratch_init 0
		.amdhsa_user_sgpr_private_segment_size 0
		.amdhsa_wavefront_size32 1
		.amdhsa_uses_dynamic_stack 0
		.amdhsa_system_sgpr_private_segment_wavefront_offset 0
		.amdhsa_system_sgpr_workgroup_id_x 1
		.amdhsa_system_sgpr_workgroup_id_y 0
		.amdhsa_system_sgpr_workgroup_id_z 0
		.amdhsa_system_sgpr_workgroup_info 0
		.amdhsa_system_vgpr_workitem_id 0
		.amdhsa_next_free_vgpr 1
		.amdhsa_next_free_sgpr 1
		.amdhsa_reserve_vcc 0
		.amdhsa_reserve_flat_scratch 0
		.amdhsa_float_round_mode_32 0
		.amdhsa_float_round_mode_16_64 0
		.amdhsa_float_denorm_mode_32 3
		.amdhsa_float_denorm_mode_16_64 3
		.amdhsa_dx10_clamp 1
		.amdhsa_ieee_mode 1
		.amdhsa_fp16_overflow 0
		.amdhsa_workgroup_processor_mode 1
		.amdhsa_memory_ordered 1
		.amdhsa_forward_progress 1
		.amdhsa_shared_vgpr_count 0
		.amdhsa_exception_fp_ieee_invalid_op 0
		.amdhsa_exception_fp_denorm_src 0
		.amdhsa_exception_fp_ieee_div_zero 0
		.amdhsa_exception_fp_ieee_overflow 0
		.amdhsa_exception_fp_ieee_underflow 0
		.amdhsa_exception_fp_ieee_inexact 0
		.amdhsa_exception_int_div_zero 0
	.end_amdhsa_kernel
	.section	.text._ZN7rocprim17ROCPRIM_400000_NS6detail17trampoline_kernelINS0_14default_configENS1_36segmented_radix_sort_config_selectorIblEEZNS1_25segmented_radix_sort_implIS3_Lb0EPKbPbPKlPlN2at6native12_GLOBAL__N_18offset_tEEE10hipError_tPvRmT1_PNSt15iterator_traitsISK_E10value_typeET2_T3_PNSL_ISQ_E10value_typeET4_jRbjT5_SW_jjP12ihipStream_tbEUlT_E1_NS1_11comp_targetILNS1_3genE3ELNS1_11target_archE908ELNS1_3gpuE7ELNS1_3repE0EEENS1_59segmented_radix_sort_warp_sort_small_config_static_selectorELNS0_4arch9wavefront6targetE0EEEvSK_,"axG",@progbits,_ZN7rocprim17ROCPRIM_400000_NS6detail17trampoline_kernelINS0_14default_configENS1_36segmented_radix_sort_config_selectorIblEEZNS1_25segmented_radix_sort_implIS3_Lb0EPKbPbPKlPlN2at6native12_GLOBAL__N_18offset_tEEE10hipError_tPvRmT1_PNSt15iterator_traitsISK_E10value_typeET2_T3_PNSL_ISQ_E10value_typeET4_jRbjT5_SW_jjP12ihipStream_tbEUlT_E1_NS1_11comp_targetILNS1_3genE3ELNS1_11target_archE908ELNS1_3gpuE7ELNS1_3repE0EEENS1_59segmented_radix_sort_warp_sort_small_config_static_selectorELNS0_4arch9wavefront6targetE0EEEvSK_,comdat
.Lfunc_end1649:
	.size	_ZN7rocprim17ROCPRIM_400000_NS6detail17trampoline_kernelINS0_14default_configENS1_36segmented_radix_sort_config_selectorIblEEZNS1_25segmented_radix_sort_implIS3_Lb0EPKbPbPKlPlN2at6native12_GLOBAL__N_18offset_tEEE10hipError_tPvRmT1_PNSt15iterator_traitsISK_E10value_typeET2_T3_PNSL_ISQ_E10value_typeET4_jRbjT5_SW_jjP12ihipStream_tbEUlT_E1_NS1_11comp_targetILNS1_3genE3ELNS1_11target_archE908ELNS1_3gpuE7ELNS1_3repE0EEENS1_59segmented_radix_sort_warp_sort_small_config_static_selectorELNS0_4arch9wavefront6targetE0EEEvSK_, .Lfunc_end1649-_ZN7rocprim17ROCPRIM_400000_NS6detail17trampoline_kernelINS0_14default_configENS1_36segmented_radix_sort_config_selectorIblEEZNS1_25segmented_radix_sort_implIS3_Lb0EPKbPbPKlPlN2at6native12_GLOBAL__N_18offset_tEEE10hipError_tPvRmT1_PNSt15iterator_traitsISK_E10value_typeET2_T3_PNSL_ISQ_E10value_typeET4_jRbjT5_SW_jjP12ihipStream_tbEUlT_E1_NS1_11comp_targetILNS1_3genE3ELNS1_11target_archE908ELNS1_3gpuE7ELNS1_3repE0EEENS1_59segmented_radix_sort_warp_sort_small_config_static_selectorELNS0_4arch9wavefront6targetE0EEEvSK_
                                        ; -- End function
	.set _ZN7rocprim17ROCPRIM_400000_NS6detail17trampoline_kernelINS0_14default_configENS1_36segmented_radix_sort_config_selectorIblEEZNS1_25segmented_radix_sort_implIS3_Lb0EPKbPbPKlPlN2at6native12_GLOBAL__N_18offset_tEEE10hipError_tPvRmT1_PNSt15iterator_traitsISK_E10value_typeET2_T3_PNSL_ISQ_E10value_typeET4_jRbjT5_SW_jjP12ihipStream_tbEUlT_E1_NS1_11comp_targetILNS1_3genE3ELNS1_11target_archE908ELNS1_3gpuE7ELNS1_3repE0EEENS1_59segmented_radix_sort_warp_sort_small_config_static_selectorELNS0_4arch9wavefront6targetE0EEEvSK_.num_vgpr, 0
	.set _ZN7rocprim17ROCPRIM_400000_NS6detail17trampoline_kernelINS0_14default_configENS1_36segmented_radix_sort_config_selectorIblEEZNS1_25segmented_radix_sort_implIS3_Lb0EPKbPbPKlPlN2at6native12_GLOBAL__N_18offset_tEEE10hipError_tPvRmT1_PNSt15iterator_traitsISK_E10value_typeET2_T3_PNSL_ISQ_E10value_typeET4_jRbjT5_SW_jjP12ihipStream_tbEUlT_E1_NS1_11comp_targetILNS1_3genE3ELNS1_11target_archE908ELNS1_3gpuE7ELNS1_3repE0EEENS1_59segmented_radix_sort_warp_sort_small_config_static_selectorELNS0_4arch9wavefront6targetE0EEEvSK_.num_agpr, 0
	.set _ZN7rocprim17ROCPRIM_400000_NS6detail17trampoline_kernelINS0_14default_configENS1_36segmented_radix_sort_config_selectorIblEEZNS1_25segmented_radix_sort_implIS3_Lb0EPKbPbPKlPlN2at6native12_GLOBAL__N_18offset_tEEE10hipError_tPvRmT1_PNSt15iterator_traitsISK_E10value_typeET2_T3_PNSL_ISQ_E10value_typeET4_jRbjT5_SW_jjP12ihipStream_tbEUlT_E1_NS1_11comp_targetILNS1_3genE3ELNS1_11target_archE908ELNS1_3gpuE7ELNS1_3repE0EEENS1_59segmented_radix_sort_warp_sort_small_config_static_selectorELNS0_4arch9wavefront6targetE0EEEvSK_.numbered_sgpr, 0
	.set _ZN7rocprim17ROCPRIM_400000_NS6detail17trampoline_kernelINS0_14default_configENS1_36segmented_radix_sort_config_selectorIblEEZNS1_25segmented_radix_sort_implIS3_Lb0EPKbPbPKlPlN2at6native12_GLOBAL__N_18offset_tEEE10hipError_tPvRmT1_PNSt15iterator_traitsISK_E10value_typeET2_T3_PNSL_ISQ_E10value_typeET4_jRbjT5_SW_jjP12ihipStream_tbEUlT_E1_NS1_11comp_targetILNS1_3genE3ELNS1_11target_archE908ELNS1_3gpuE7ELNS1_3repE0EEENS1_59segmented_radix_sort_warp_sort_small_config_static_selectorELNS0_4arch9wavefront6targetE0EEEvSK_.num_named_barrier, 0
	.set _ZN7rocprim17ROCPRIM_400000_NS6detail17trampoline_kernelINS0_14default_configENS1_36segmented_radix_sort_config_selectorIblEEZNS1_25segmented_radix_sort_implIS3_Lb0EPKbPbPKlPlN2at6native12_GLOBAL__N_18offset_tEEE10hipError_tPvRmT1_PNSt15iterator_traitsISK_E10value_typeET2_T3_PNSL_ISQ_E10value_typeET4_jRbjT5_SW_jjP12ihipStream_tbEUlT_E1_NS1_11comp_targetILNS1_3genE3ELNS1_11target_archE908ELNS1_3gpuE7ELNS1_3repE0EEENS1_59segmented_radix_sort_warp_sort_small_config_static_selectorELNS0_4arch9wavefront6targetE0EEEvSK_.private_seg_size, 0
	.set _ZN7rocprim17ROCPRIM_400000_NS6detail17trampoline_kernelINS0_14default_configENS1_36segmented_radix_sort_config_selectorIblEEZNS1_25segmented_radix_sort_implIS3_Lb0EPKbPbPKlPlN2at6native12_GLOBAL__N_18offset_tEEE10hipError_tPvRmT1_PNSt15iterator_traitsISK_E10value_typeET2_T3_PNSL_ISQ_E10value_typeET4_jRbjT5_SW_jjP12ihipStream_tbEUlT_E1_NS1_11comp_targetILNS1_3genE3ELNS1_11target_archE908ELNS1_3gpuE7ELNS1_3repE0EEENS1_59segmented_radix_sort_warp_sort_small_config_static_selectorELNS0_4arch9wavefront6targetE0EEEvSK_.uses_vcc, 0
	.set _ZN7rocprim17ROCPRIM_400000_NS6detail17trampoline_kernelINS0_14default_configENS1_36segmented_radix_sort_config_selectorIblEEZNS1_25segmented_radix_sort_implIS3_Lb0EPKbPbPKlPlN2at6native12_GLOBAL__N_18offset_tEEE10hipError_tPvRmT1_PNSt15iterator_traitsISK_E10value_typeET2_T3_PNSL_ISQ_E10value_typeET4_jRbjT5_SW_jjP12ihipStream_tbEUlT_E1_NS1_11comp_targetILNS1_3genE3ELNS1_11target_archE908ELNS1_3gpuE7ELNS1_3repE0EEENS1_59segmented_radix_sort_warp_sort_small_config_static_selectorELNS0_4arch9wavefront6targetE0EEEvSK_.uses_flat_scratch, 0
	.set _ZN7rocprim17ROCPRIM_400000_NS6detail17trampoline_kernelINS0_14default_configENS1_36segmented_radix_sort_config_selectorIblEEZNS1_25segmented_radix_sort_implIS3_Lb0EPKbPbPKlPlN2at6native12_GLOBAL__N_18offset_tEEE10hipError_tPvRmT1_PNSt15iterator_traitsISK_E10value_typeET2_T3_PNSL_ISQ_E10value_typeET4_jRbjT5_SW_jjP12ihipStream_tbEUlT_E1_NS1_11comp_targetILNS1_3genE3ELNS1_11target_archE908ELNS1_3gpuE7ELNS1_3repE0EEENS1_59segmented_radix_sort_warp_sort_small_config_static_selectorELNS0_4arch9wavefront6targetE0EEEvSK_.has_dyn_sized_stack, 0
	.set _ZN7rocprim17ROCPRIM_400000_NS6detail17trampoline_kernelINS0_14default_configENS1_36segmented_radix_sort_config_selectorIblEEZNS1_25segmented_radix_sort_implIS3_Lb0EPKbPbPKlPlN2at6native12_GLOBAL__N_18offset_tEEE10hipError_tPvRmT1_PNSt15iterator_traitsISK_E10value_typeET2_T3_PNSL_ISQ_E10value_typeET4_jRbjT5_SW_jjP12ihipStream_tbEUlT_E1_NS1_11comp_targetILNS1_3genE3ELNS1_11target_archE908ELNS1_3gpuE7ELNS1_3repE0EEENS1_59segmented_radix_sort_warp_sort_small_config_static_selectorELNS0_4arch9wavefront6targetE0EEEvSK_.has_recursion, 0
	.set _ZN7rocprim17ROCPRIM_400000_NS6detail17trampoline_kernelINS0_14default_configENS1_36segmented_radix_sort_config_selectorIblEEZNS1_25segmented_radix_sort_implIS3_Lb0EPKbPbPKlPlN2at6native12_GLOBAL__N_18offset_tEEE10hipError_tPvRmT1_PNSt15iterator_traitsISK_E10value_typeET2_T3_PNSL_ISQ_E10value_typeET4_jRbjT5_SW_jjP12ihipStream_tbEUlT_E1_NS1_11comp_targetILNS1_3genE3ELNS1_11target_archE908ELNS1_3gpuE7ELNS1_3repE0EEENS1_59segmented_radix_sort_warp_sort_small_config_static_selectorELNS0_4arch9wavefront6targetE0EEEvSK_.has_indirect_call, 0
	.section	.AMDGPU.csdata,"",@progbits
; Kernel info:
; codeLenInByte = 0
; TotalNumSgprs: 0
; NumVgprs: 0
; ScratchSize: 0
; MemoryBound: 0
; FloatMode: 240
; IeeeMode: 1
; LDSByteSize: 0 bytes/workgroup (compile time only)
; SGPRBlocks: 0
; VGPRBlocks: 0
; NumSGPRsForWavesPerEU: 1
; NumVGPRsForWavesPerEU: 1
; Occupancy: 16
; WaveLimiterHint : 0
; COMPUTE_PGM_RSRC2:SCRATCH_EN: 0
; COMPUTE_PGM_RSRC2:USER_SGPR: 6
; COMPUTE_PGM_RSRC2:TRAP_HANDLER: 0
; COMPUTE_PGM_RSRC2:TGID_X_EN: 1
; COMPUTE_PGM_RSRC2:TGID_Y_EN: 0
; COMPUTE_PGM_RSRC2:TGID_Z_EN: 0
; COMPUTE_PGM_RSRC2:TIDIG_COMP_CNT: 0
	.section	.text._ZN7rocprim17ROCPRIM_400000_NS6detail17trampoline_kernelINS0_14default_configENS1_36segmented_radix_sort_config_selectorIblEEZNS1_25segmented_radix_sort_implIS3_Lb0EPKbPbPKlPlN2at6native12_GLOBAL__N_18offset_tEEE10hipError_tPvRmT1_PNSt15iterator_traitsISK_E10value_typeET2_T3_PNSL_ISQ_E10value_typeET4_jRbjT5_SW_jjP12ihipStream_tbEUlT_E1_NS1_11comp_targetILNS1_3genE2ELNS1_11target_archE906ELNS1_3gpuE6ELNS1_3repE0EEENS1_59segmented_radix_sort_warp_sort_small_config_static_selectorELNS0_4arch9wavefront6targetE0EEEvSK_,"axG",@progbits,_ZN7rocprim17ROCPRIM_400000_NS6detail17trampoline_kernelINS0_14default_configENS1_36segmented_radix_sort_config_selectorIblEEZNS1_25segmented_radix_sort_implIS3_Lb0EPKbPbPKlPlN2at6native12_GLOBAL__N_18offset_tEEE10hipError_tPvRmT1_PNSt15iterator_traitsISK_E10value_typeET2_T3_PNSL_ISQ_E10value_typeET4_jRbjT5_SW_jjP12ihipStream_tbEUlT_E1_NS1_11comp_targetILNS1_3genE2ELNS1_11target_archE906ELNS1_3gpuE6ELNS1_3repE0EEENS1_59segmented_radix_sort_warp_sort_small_config_static_selectorELNS0_4arch9wavefront6targetE0EEEvSK_,comdat
	.globl	_ZN7rocprim17ROCPRIM_400000_NS6detail17trampoline_kernelINS0_14default_configENS1_36segmented_radix_sort_config_selectorIblEEZNS1_25segmented_radix_sort_implIS3_Lb0EPKbPbPKlPlN2at6native12_GLOBAL__N_18offset_tEEE10hipError_tPvRmT1_PNSt15iterator_traitsISK_E10value_typeET2_T3_PNSL_ISQ_E10value_typeET4_jRbjT5_SW_jjP12ihipStream_tbEUlT_E1_NS1_11comp_targetILNS1_3genE2ELNS1_11target_archE906ELNS1_3gpuE6ELNS1_3repE0EEENS1_59segmented_radix_sort_warp_sort_small_config_static_selectorELNS0_4arch9wavefront6targetE0EEEvSK_ ; -- Begin function _ZN7rocprim17ROCPRIM_400000_NS6detail17trampoline_kernelINS0_14default_configENS1_36segmented_radix_sort_config_selectorIblEEZNS1_25segmented_radix_sort_implIS3_Lb0EPKbPbPKlPlN2at6native12_GLOBAL__N_18offset_tEEE10hipError_tPvRmT1_PNSt15iterator_traitsISK_E10value_typeET2_T3_PNSL_ISQ_E10value_typeET4_jRbjT5_SW_jjP12ihipStream_tbEUlT_E1_NS1_11comp_targetILNS1_3genE2ELNS1_11target_archE906ELNS1_3gpuE6ELNS1_3repE0EEENS1_59segmented_radix_sort_warp_sort_small_config_static_selectorELNS0_4arch9wavefront6targetE0EEEvSK_
	.p2align	8
	.type	_ZN7rocprim17ROCPRIM_400000_NS6detail17trampoline_kernelINS0_14default_configENS1_36segmented_radix_sort_config_selectorIblEEZNS1_25segmented_radix_sort_implIS3_Lb0EPKbPbPKlPlN2at6native12_GLOBAL__N_18offset_tEEE10hipError_tPvRmT1_PNSt15iterator_traitsISK_E10value_typeET2_T3_PNSL_ISQ_E10value_typeET4_jRbjT5_SW_jjP12ihipStream_tbEUlT_E1_NS1_11comp_targetILNS1_3genE2ELNS1_11target_archE906ELNS1_3gpuE6ELNS1_3repE0EEENS1_59segmented_radix_sort_warp_sort_small_config_static_selectorELNS0_4arch9wavefront6targetE0EEEvSK_,@function
_ZN7rocprim17ROCPRIM_400000_NS6detail17trampoline_kernelINS0_14default_configENS1_36segmented_radix_sort_config_selectorIblEEZNS1_25segmented_radix_sort_implIS3_Lb0EPKbPbPKlPlN2at6native12_GLOBAL__N_18offset_tEEE10hipError_tPvRmT1_PNSt15iterator_traitsISK_E10value_typeET2_T3_PNSL_ISQ_E10value_typeET4_jRbjT5_SW_jjP12ihipStream_tbEUlT_E1_NS1_11comp_targetILNS1_3genE2ELNS1_11target_archE906ELNS1_3gpuE6ELNS1_3repE0EEENS1_59segmented_radix_sort_warp_sort_small_config_static_selectorELNS0_4arch9wavefront6targetE0EEEvSK_: ; @_ZN7rocprim17ROCPRIM_400000_NS6detail17trampoline_kernelINS0_14default_configENS1_36segmented_radix_sort_config_selectorIblEEZNS1_25segmented_radix_sort_implIS3_Lb0EPKbPbPKlPlN2at6native12_GLOBAL__N_18offset_tEEE10hipError_tPvRmT1_PNSt15iterator_traitsISK_E10value_typeET2_T3_PNSL_ISQ_E10value_typeET4_jRbjT5_SW_jjP12ihipStream_tbEUlT_E1_NS1_11comp_targetILNS1_3genE2ELNS1_11target_archE906ELNS1_3gpuE6ELNS1_3repE0EEENS1_59segmented_radix_sort_warp_sort_small_config_static_selectorELNS0_4arch9wavefront6targetE0EEEvSK_
; %bb.0:
	.section	.rodata,"a",@progbits
	.p2align	6, 0x0
	.amdhsa_kernel _ZN7rocprim17ROCPRIM_400000_NS6detail17trampoline_kernelINS0_14default_configENS1_36segmented_radix_sort_config_selectorIblEEZNS1_25segmented_radix_sort_implIS3_Lb0EPKbPbPKlPlN2at6native12_GLOBAL__N_18offset_tEEE10hipError_tPvRmT1_PNSt15iterator_traitsISK_E10value_typeET2_T3_PNSL_ISQ_E10value_typeET4_jRbjT5_SW_jjP12ihipStream_tbEUlT_E1_NS1_11comp_targetILNS1_3genE2ELNS1_11target_archE906ELNS1_3gpuE6ELNS1_3repE0EEENS1_59segmented_radix_sort_warp_sort_small_config_static_selectorELNS0_4arch9wavefront6targetE0EEEvSK_
		.amdhsa_group_segment_fixed_size 0
		.amdhsa_private_segment_fixed_size 0
		.amdhsa_kernarg_size 88
		.amdhsa_user_sgpr_count 6
		.amdhsa_user_sgpr_private_segment_buffer 1
		.amdhsa_user_sgpr_dispatch_ptr 0
		.amdhsa_user_sgpr_queue_ptr 0
		.amdhsa_user_sgpr_kernarg_segment_ptr 1
		.amdhsa_user_sgpr_dispatch_id 0
		.amdhsa_user_sgpr_flat_scratch_init 0
		.amdhsa_user_sgpr_private_segment_size 0
		.amdhsa_wavefront_size32 1
		.amdhsa_uses_dynamic_stack 0
		.amdhsa_system_sgpr_private_segment_wavefront_offset 0
		.amdhsa_system_sgpr_workgroup_id_x 1
		.amdhsa_system_sgpr_workgroup_id_y 0
		.amdhsa_system_sgpr_workgroup_id_z 0
		.amdhsa_system_sgpr_workgroup_info 0
		.amdhsa_system_vgpr_workitem_id 0
		.amdhsa_next_free_vgpr 1
		.amdhsa_next_free_sgpr 1
		.amdhsa_reserve_vcc 0
		.amdhsa_reserve_flat_scratch 0
		.amdhsa_float_round_mode_32 0
		.amdhsa_float_round_mode_16_64 0
		.amdhsa_float_denorm_mode_32 3
		.amdhsa_float_denorm_mode_16_64 3
		.amdhsa_dx10_clamp 1
		.amdhsa_ieee_mode 1
		.amdhsa_fp16_overflow 0
		.amdhsa_workgroup_processor_mode 1
		.amdhsa_memory_ordered 1
		.amdhsa_forward_progress 1
		.amdhsa_shared_vgpr_count 0
		.amdhsa_exception_fp_ieee_invalid_op 0
		.amdhsa_exception_fp_denorm_src 0
		.amdhsa_exception_fp_ieee_div_zero 0
		.amdhsa_exception_fp_ieee_overflow 0
		.amdhsa_exception_fp_ieee_underflow 0
		.amdhsa_exception_fp_ieee_inexact 0
		.amdhsa_exception_int_div_zero 0
	.end_amdhsa_kernel
	.section	.text._ZN7rocprim17ROCPRIM_400000_NS6detail17trampoline_kernelINS0_14default_configENS1_36segmented_radix_sort_config_selectorIblEEZNS1_25segmented_radix_sort_implIS3_Lb0EPKbPbPKlPlN2at6native12_GLOBAL__N_18offset_tEEE10hipError_tPvRmT1_PNSt15iterator_traitsISK_E10value_typeET2_T3_PNSL_ISQ_E10value_typeET4_jRbjT5_SW_jjP12ihipStream_tbEUlT_E1_NS1_11comp_targetILNS1_3genE2ELNS1_11target_archE906ELNS1_3gpuE6ELNS1_3repE0EEENS1_59segmented_radix_sort_warp_sort_small_config_static_selectorELNS0_4arch9wavefront6targetE0EEEvSK_,"axG",@progbits,_ZN7rocprim17ROCPRIM_400000_NS6detail17trampoline_kernelINS0_14default_configENS1_36segmented_radix_sort_config_selectorIblEEZNS1_25segmented_radix_sort_implIS3_Lb0EPKbPbPKlPlN2at6native12_GLOBAL__N_18offset_tEEE10hipError_tPvRmT1_PNSt15iterator_traitsISK_E10value_typeET2_T3_PNSL_ISQ_E10value_typeET4_jRbjT5_SW_jjP12ihipStream_tbEUlT_E1_NS1_11comp_targetILNS1_3genE2ELNS1_11target_archE906ELNS1_3gpuE6ELNS1_3repE0EEENS1_59segmented_radix_sort_warp_sort_small_config_static_selectorELNS0_4arch9wavefront6targetE0EEEvSK_,comdat
.Lfunc_end1650:
	.size	_ZN7rocprim17ROCPRIM_400000_NS6detail17trampoline_kernelINS0_14default_configENS1_36segmented_radix_sort_config_selectorIblEEZNS1_25segmented_radix_sort_implIS3_Lb0EPKbPbPKlPlN2at6native12_GLOBAL__N_18offset_tEEE10hipError_tPvRmT1_PNSt15iterator_traitsISK_E10value_typeET2_T3_PNSL_ISQ_E10value_typeET4_jRbjT5_SW_jjP12ihipStream_tbEUlT_E1_NS1_11comp_targetILNS1_3genE2ELNS1_11target_archE906ELNS1_3gpuE6ELNS1_3repE0EEENS1_59segmented_radix_sort_warp_sort_small_config_static_selectorELNS0_4arch9wavefront6targetE0EEEvSK_, .Lfunc_end1650-_ZN7rocprim17ROCPRIM_400000_NS6detail17trampoline_kernelINS0_14default_configENS1_36segmented_radix_sort_config_selectorIblEEZNS1_25segmented_radix_sort_implIS3_Lb0EPKbPbPKlPlN2at6native12_GLOBAL__N_18offset_tEEE10hipError_tPvRmT1_PNSt15iterator_traitsISK_E10value_typeET2_T3_PNSL_ISQ_E10value_typeET4_jRbjT5_SW_jjP12ihipStream_tbEUlT_E1_NS1_11comp_targetILNS1_3genE2ELNS1_11target_archE906ELNS1_3gpuE6ELNS1_3repE0EEENS1_59segmented_radix_sort_warp_sort_small_config_static_selectorELNS0_4arch9wavefront6targetE0EEEvSK_
                                        ; -- End function
	.set _ZN7rocprim17ROCPRIM_400000_NS6detail17trampoline_kernelINS0_14default_configENS1_36segmented_radix_sort_config_selectorIblEEZNS1_25segmented_radix_sort_implIS3_Lb0EPKbPbPKlPlN2at6native12_GLOBAL__N_18offset_tEEE10hipError_tPvRmT1_PNSt15iterator_traitsISK_E10value_typeET2_T3_PNSL_ISQ_E10value_typeET4_jRbjT5_SW_jjP12ihipStream_tbEUlT_E1_NS1_11comp_targetILNS1_3genE2ELNS1_11target_archE906ELNS1_3gpuE6ELNS1_3repE0EEENS1_59segmented_radix_sort_warp_sort_small_config_static_selectorELNS0_4arch9wavefront6targetE0EEEvSK_.num_vgpr, 0
	.set _ZN7rocprim17ROCPRIM_400000_NS6detail17trampoline_kernelINS0_14default_configENS1_36segmented_radix_sort_config_selectorIblEEZNS1_25segmented_radix_sort_implIS3_Lb0EPKbPbPKlPlN2at6native12_GLOBAL__N_18offset_tEEE10hipError_tPvRmT1_PNSt15iterator_traitsISK_E10value_typeET2_T3_PNSL_ISQ_E10value_typeET4_jRbjT5_SW_jjP12ihipStream_tbEUlT_E1_NS1_11comp_targetILNS1_3genE2ELNS1_11target_archE906ELNS1_3gpuE6ELNS1_3repE0EEENS1_59segmented_radix_sort_warp_sort_small_config_static_selectorELNS0_4arch9wavefront6targetE0EEEvSK_.num_agpr, 0
	.set _ZN7rocprim17ROCPRIM_400000_NS6detail17trampoline_kernelINS0_14default_configENS1_36segmented_radix_sort_config_selectorIblEEZNS1_25segmented_radix_sort_implIS3_Lb0EPKbPbPKlPlN2at6native12_GLOBAL__N_18offset_tEEE10hipError_tPvRmT1_PNSt15iterator_traitsISK_E10value_typeET2_T3_PNSL_ISQ_E10value_typeET4_jRbjT5_SW_jjP12ihipStream_tbEUlT_E1_NS1_11comp_targetILNS1_3genE2ELNS1_11target_archE906ELNS1_3gpuE6ELNS1_3repE0EEENS1_59segmented_radix_sort_warp_sort_small_config_static_selectorELNS0_4arch9wavefront6targetE0EEEvSK_.numbered_sgpr, 0
	.set _ZN7rocprim17ROCPRIM_400000_NS6detail17trampoline_kernelINS0_14default_configENS1_36segmented_radix_sort_config_selectorIblEEZNS1_25segmented_radix_sort_implIS3_Lb0EPKbPbPKlPlN2at6native12_GLOBAL__N_18offset_tEEE10hipError_tPvRmT1_PNSt15iterator_traitsISK_E10value_typeET2_T3_PNSL_ISQ_E10value_typeET4_jRbjT5_SW_jjP12ihipStream_tbEUlT_E1_NS1_11comp_targetILNS1_3genE2ELNS1_11target_archE906ELNS1_3gpuE6ELNS1_3repE0EEENS1_59segmented_radix_sort_warp_sort_small_config_static_selectorELNS0_4arch9wavefront6targetE0EEEvSK_.num_named_barrier, 0
	.set _ZN7rocprim17ROCPRIM_400000_NS6detail17trampoline_kernelINS0_14default_configENS1_36segmented_radix_sort_config_selectorIblEEZNS1_25segmented_radix_sort_implIS3_Lb0EPKbPbPKlPlN2at6native12_GLOBAL__N_18offset_tEEE10hipError_tPvRmT1_PNSt15iterator_traitsISK_E10value_typeET2_T3_PNSL_ISQ_E10value_typeET4_jRbjT5_SW_jjP12ihipStream_tbEUlT_E1_NS1_11comp_targetILNS1_3genE2ELNS1_11target_archE906ELNS1_3gpuE6ELNS1_3repE0EEENS1_59segmented_radix_sort_warp_sort_small_config_static_selectorELNS0_4arch9wavefront6targetE0EEEvSK_.private_seg_size, 0
	.set _ZN7rocprim17ROCPRIM_400000_NS6detail17trampoline_kernelINS0_14default_configENS1_36segmented_radix_sort_config_selectorIblEEZNS1_25segmented_radix_sort_implIS3_Lb0EPKbPbPKlPlN2at6native12_GLOBAL__N_18offset_tEEE10hipError_tPvRmT1_PNSt15iterator_traitsISK_E10value_typeET2_T3_PNSL_ISQ_E10value_typeET4_jRbjT5_SW_jjP12ihipStream_tbEUlT_E1_NS1_11comp_targetILNS1_3genE2ELNS1_11target_archE906ELNS1_3gpuE6ELNS1_3repE0EEENS1_59segmented_radix_sort_warp_sort_small_config_static_selectorELNS0_4arch9wavefront6targetE0EEEvSK_.uses_vcc, 0
	.set _ZN7rocprim17ROCPRIM_400000_NS6detail17trampoline_kernelINS0_14default_configENS1_36segmented_radix_sort_config_selectorIblEEZNS1_25segmented_radix_sort_implIS3_Lb0EPKbPbPKlPlN2at6native12_GLOBAL__N_18offset_tEEE10hipError_tPvRmT1_PNSt15iterator_traitsISK_E10value_typeET2_T3_PNSL_ISQ_E10value_typeET4_jRbjT5_SW_jjP12ihipStream_tbEUlT_E1_NS1_11comp_targetILNS1_3genE2ELNS1_11target_archE906ELNS1_3gpuE6ELNS1_3repE0EEENS1_59segmented_radix_sort_warp_sort_small_config_static_selectorELNS0_4arch9wavefront6targetE0EEEvSK_.uses_flat_scratch, 0
	.set _ZN7rocprim17ROCPRIM_400000_NS6detail17trampoline_kernelINS0_14default_configENS1_36segmented_radix_sort_config_selectorIblEEZNS1_25segmented_radix_sort_implIS3_Lb0EPKbPbPKlPlN2at6native12_GLOBAL__N_18offset_tEEE10hipError_tPvRmT1_PNSt15iterator_traitsISK_E10value_typeET2_T3_PNSL_ISQ_E10value_typeET4_jRbjT5_SW_jjP12ihipStream_tbEUlT_E1_NS1_11comp_targetILNS1_3genE2ELNS1_11target_archE906ELNS1_3gpuE6ELNS1_3repE0EEENS1_59segmented_radix_sort_warp_sort_small_config_static_selectorELNS0_4arch9wavefront6targetE0EEEvSK_.has_dyn_sized_stack, 0
	.set _ZN7rocprim17ROCPRIM_400000_NS6detail17trampoline_kernelINS0_14default_configENS1_36segmented_radix_sort_config_selectorIblEEZNS1_25segmented_radix_sort_implIS3_Lb0EPKbPbPKlPlN2at6native12_GLOBAL__N_18offset_tEEE10hipError_tPvRmT1_PNSt15iterator_traitsISK_E10value_typeET2_T3_PNSL_ISQ_E10value_typeET4_jRbjT5_SW_jjP12ihipStream_tbEUlT_E1_NS1_11comp_targetILNS1_3genE2ELNS1_11target_archE906ELNS1_3gpuE6ELNS1_3repE0EEENS1_59segmented_radix_sort_warp_sort_small_config_static_selectorELNS0_4arch9wavefront6targetE0EEEvSK_.has_recursion, 0
	.set _ZN7rocprim17ROCPRIM_400000_NS6detail17trampoline_kernelINS0_14default_configENS1_36segmented_radix_sort_config_selectorIblEEZNS1_25segmented_radix_sort_implIS3_Lb0EPKbPbPKlPlN2at6native12_GLOBAL__N_18offset_tEEE10hipError_tPvRmT1_PNSt15iterator_traitsISK_E10value_typeET2_T3_PNSL_ISQ_E10value_typeET4_jRbjT5_SW_jjP12ihipStream_tbEUlT_E1_NS1_11comp_targetILNS1_3genE2ELNS1_11target_archE906ELNS1_3gpuE6ELNS1_3repE0EEENS1_59segmented_radix_sort_warp_sort_small_config_static_selectorELNS0_4arch9wavefront6targetE0EEEvSK_.has_indirect_call, 0
	.section	.AMDGPU.csdata,"",@progbits
; Kernel info:
; codeLenInByte = 0
; TotalNumSgprs: 0
; NumVgprs: 0
; ScratchSize: 0
; MemoryBound: 0
; FloatMode: 240
; IeeeMode: 1
; LDSByteSize: 0 bytes/workgroup (compile time only)
; SGPRBlocks: 0
; VGPRBlocks: 0
; NumSGPRsForWavesPerEU: 1
; NumVGPRsForWavesPerEU: 1
; Occupancy: 16
; WaveLimiterHint : 0
; COMPUTE_PGM_RSRC2:SCRATCH_EN: 0
; COMPUTE_PGM_RSRC2:USER_SGPR: 6
; COMPUTE_PGM_RSRC2:TRAP_HANDLER: 0
; COMPUTE_PGM_RSRC2:TGID_X_EN: 1
; COMPUTE_PGM_RSRC2:TGID_Y_EN: 0
; COMPUTE_PGM_RSRC2:TGID_Z_EN: 0
; COMPUTE_PGM_RSRC2:TIDIG_COMP_CNT: 0
	.section	.text._ZN7rocprim17ROCPRIM_400000_NS6detail17trampoline_kernelINS0_14default_configENS1_36segmented_radix_sort_config_selectorIblEEZNS1_25segmented_radix_sort_implIS3_Lb0EPKbPbPKlPlN2at6native12_GLOBAL__N_18offset_tEEE10hipError_tPvRmT1_PNSt15iterator_traitsISK_E10value_typeET2_T3_PNSL_ISQ_E10value_typeET4_jRbjT5_SW_jjP12ihipStream_tbEUlT_E1_NS1_11comp_targetILNS1_3genE10ELNS1_11target_archE1201ELNS1_3gpuE5ELNS1_3repE0EEENS1_59segmented_radix_sort_warp_sort_small_config_static_selectorELNS0_4arch9wavefront6targetE0EEEvSK_,"axG",@progbits,_ZN7rocprim17ROCPRIM_400000_NS6detail17trampoline_kernelINS0_14default_configENS1_36segmented_radix_sort_config_selectorIblEEZNS1_25segmented_radix_sort_implIS3_Lb0EPKbPbPKlPlN2at6native12_GLOBAL__N_18offset_tEEE10hipError_tPvRmT1_PNSt15iterator_traitsISK_E10value_typeET2_T3_PNSL_ISQ_E10value_typeET4_jRbjT5_SW_jjP12ihipStream_tbEUlT_E1_NS1_11comp_targetILNS1_3genE10ELNS1_11target_archE1201ELNS1_3gpuE5ELNS1_3repE0EEENS1_59segmented_radix_sort_warp_sort_small_config_static_selectorELNS0_4arch9wavefront6targetE0EEEvSK_,comdat
	.globl	_ZN7rocprim17ROCPRIM_400000_NS6detail17trampoline_kernelINS0_14default_configENS1_36segmented_radix_sort_config_selectorIblEEZNS1_25segmented_radix_sort_implIS3_Lb0EPKbPbPKlPlN2at6native12_GLOBAL__N_18offset_tEEE10hipError_tPvRmT1_PNSt15iterator_traitsISK_E10value_typeET2_T3_PNSL_ISQ_E10value_typeET4_jRbjT5_SW_jjP12ihipStream_tbEUlT_E1_NS1_11comp_targetILNS1_3genE10ELNS1_11target_archE1201ELNS1_3gpuE5ELNS1_3repE0EEENS1_59segmented_radix_sort_warp_sort_small_config_static_selectorELNS0_4arch9wavefront6targetE0EEEvSK_ ; -- Begin function _ZN7rocprim17ROCPRIM_400000_NS6detail17trampoline_kernelINS0_14default_configENS1_36segmented_radix_sort_config_selectorIblEEZNS1_25segmented_radix_sort_implIS3_Lb0EPKbPbPKlPlN2at6native12_GLOBAL__N_18offset_tEEE10hipError_tPvRmT1_PNSt15iterator_traitsISK_E10value_typeET2_T3_PNSL_ISQ_E10value_typeET4_jRbjT5_SW_jjP12ihipStream_tbEUlT_E1_NS1_11comp_targetILNS1_3genE10ELNS1_11target_archE1201ELNS1_3gpuE5ELNS1_3repE0EEENS1_59segmented_radix_sort_warp_sort_small_config_static_selectorELNS0_4arch9wavefront6targetE0EEEvSK_
	.p2align	8
	.type	_ZN7rocprim17ROCPRIM_400000_NS6detail17trampoline_kernelINS0_14default_configENS1_36segmented_radix_sort_config_selectorIblEEZNS1_25segmented_radix_sort_implIS3_Lb0EPKbPbPKlPlN2at6native12_GLOBAL__N_18offset_tEEE10hipError_tPvRmT1_PNSt15iterator_traitsISK_E10value_typeET2_T3_PNSL_ISQ_E10value_typeET4_jRbjT5_SW_jjP12ihipStream_tbEUlT_E1_NS1_11comp_targetILNS1_3genE10ELNS1_11target_archE1201ELNS1_3gpuE5ELNS1_3repE0EEENS1_59segmented_radix_sort_warp_sort_small_config_static_selectorELNS0_4arch9wavefront6targetE0EEEvSK_,@function
_ZN7rocprim17ROCPRIM_400000_NS6detail17trampoline_kernelINS0_14default_configENS1_36segmented_radix_sort_config_selectorIblEEZNS1_25segmented_radix_sort_implIS3_Lb0EPKbPbPKlPlN2at6native12_GLOBAL__N_18offset_tEEE10hipError_tPvRmT1_PNSt15iterator_traitsISK_E10value_typeET2_T3_PNSL_ISQ_E10value_typeET4_jRbjT5_SW_jjP12ihipStream_tbEUlT_E1_NS1_11comp_targetILNS1_3genE10ELNS1_11target_archE1201ELNS1_3gpuE5ELNS1_3repE0EEENS1_59segmented_radix_sort_warp_sort_small_config_static_selectorELNS0_4arch9wavefront6targetE0EEEvSK_: ; @_ZN7rocprim17ROCPRIM_400000_NS6detail17trampoline_kernelINS0_14default_configENS1_36segmented_radix_sort_config_selectorIblEEZNS1_25segmented_radix_sort_implIS3_Lb0EPKbPbPKlPlN2at6native12_GLOBAL__N_18offset_tEEE10hipError_tPvRmT1_PNSt15iterator_traitsISK_E10value_typeET2_T3_PNSL_ISQ_E10value_typeET4_jRbjT5_SW_jjP12ihipStream_tbEUlT_E1_NS1_11comp_targetILNS1_3genE10ELNS1_11target_archE1201ELNS1_3gpuE5ELNS1_3repE0EEENS1_59segmented_radix_sort_warp_sort_small_config_static_selectorELNS0_4arch9wavefront6targetE0EEEvSK_
; %bb.0:
	.section	.rodata,"a",@progbits
	.p2align	6, 0x0
	.amdhsa_kernel _ZN7rocprim17ROCPRIM_400000_NS6detail17trampoline_kernelINS0_14default_configENS1_36segmented_radix_sort_config_selectorIblEEZNS1_25segmented_radix_sort_implIS3_Lb0EPKbPbPKlPlN2at6native12_GLOBAL__N_18offset_tEEE10hipError_tPvRmT1_PNSt15iterator_traitsISK_E10value_typeET2_T3_PNSL_ISQ_E10value_typeET4_jRbjT5_SW_jjP12ihipStream_tbEUlT_E1_NS1_11comp_targetILNS1_3genE10ELNS1_11target_archE1201ELNS1_3gpuE5ELNS1_3repE0EEENS1_59segmented_radix_sort_warp_sort_small_config_static_selectorELNS0_4arch9wavefront6targetE0EEEvSK_
		.amdhsa_group_segment_fixed_size 0
		.amdhsa_private_segment_fixed_size 0
		.amdhsa_kernarg_size 88
		.amdhsa_user_sgpr_count 6
		.amdhsa_user_sgpr_private_segment_buffer 1
		.amdhsa_user_sgpr_dispatch_ptr 0
		.amdhsa_user_sgpr_queue_ptr 0
		.amdhsa_user_sgpr_kernarg_segment_ptr 1
		.amdhsa_user_sgpr_dispatch_id 0
		.amdhsa_user_sgpr_flat_scratch_init 0
		.amdhsa_user_sgpr_private_segment_size 0
		.amdhsa_wavefront_size32 1
		.amdhsa_uses_dynamic_stack 0
		.amdhsa_system_sgpr_private_segment_wavefront_offset 0
		.amdhsa_system_sgpr_workgroup_id_x 1
		.amdhsa_system_sgpr_workgroup_id_y 0
		.amdhsa_system_sgpr_workgroup_id_z 0
		.amdhsa_system_sgpr_workgroup_info 0
		.amdhsa_system_vgpr_workitem_id 0
		.amdhsa_next_free_vgpr 1
		.amdhsa_next_free_sgpr 1
		.amdhsa_reserve_vcc 0
		.amdhsa_reserve_flat_scratch 0
		.amdhsa_float_round_mode_32 0
		.amdhsa_float_round_mode_16_64 0
		.amdhsa_float_denorm_mode_32 3
		.amdhsa_float_denorm_mode_16_64 3
		.amdhsa_dx10_clamp 1
		.amdhsa_ieee_mode 1
		.amdhsa_fp16_overflow 0
		.amdhsa_workgroup_processor_mode 1
		.amdhsa_memory_ordered 1
		.amdhsa_forward_progress 1
		.amdhsa_shared_vgpr_count 0
		.amdhsa_exception_fp_ieee_invalid_op 0
		.amdhsa_exception_fp_denorm_src 0
		.amdhsa_exception_fp_ieee_div_zero 0
		.amdhsa_exception_fp_ieee_overflow 0
		.amdhsa_exception_fp_ieee_underflow 0
		.amdhsa_exception_fp_ieee_inexact 0
		.amdhsa_exception_int_div_zero 0
	.end_amdhsa_kernel
	.section	.text._ZN7rocprim17ROCPRIM_400000_NS6detail17trampoline_kernelINS0_14default_configENS1_36segmented_radix_sort_config_selectorIblEEZNS1_25segmented_radix_sort_implIS3_Lb0EPKbPbPKlPlN2at6native12_GLOBAL__N_18offset_tEEE10hipError_tPvRmT1_PNSt15iterator_traitsISK_E10value_typeET2_T3_PNSL_ISQ_E10value_typeET4_jRbjT5_SW_jjP12ihipStream_tbEUlT_E1_NS1_11comp_targetILNS1_3genE10ELNS1_11target_archE1201ELNS1_3gpuE5ELNS1_3repE0EEENS1_59segmented_radix_sort_warp_sort_small_config_static_selectorELNS0_4arch9wavefront6targetE0EEEvSK_,"axG",@progbits,_ZN7rocprim17ROCPRIM_400000_NS6detail17trampoline_kernelINS0_14default_configENS1_36segmented_radix_sort_config_selectorIblEEZNS1_25segmented_radix_sort_implIS3_Lb0EPKbPbPKlPlN2at6native12_GLOBAL__N_18offset_tEEE10hipError_tPvRmT1_PNSt15iterator_traitsISK_E10value_typeET2_T3_PNSL_ISQ_E10value_typeET4_jRbjT5_SW_jjP12ihipStream_tbEUlT_E1_NS1_11comp_targetILNS1_3genE10ELNS1_11target_archE1201ELNS1_3gpuE5ELNS1_3repE0EEENS1_59segmented_radix_sort_warp_sort_small_config_static_selectorELNS0_4arch9wavefront6targetE0EEEvSK_,comdat
.Lfunc_end1651:
	.size	_ZN7rocprim17ROCPRIM_400000_NS6detail17trampoline_kernelINS0_14default_configENS1_36segmented_radix_sort_config_selectorIblEEZNS1_25segmented_radix_sort_implIS3_Lb0EPKbPbPKlPlN2at6native12_GLOBAL__N_18offset_tEEE10hipError_tPvRmT1_PNSt15iterator_traitsISK_E10value_typeET2_T3_PNSL_ISQ_E10value_typeET4_jRbjT5_SW_jjP12ihipStream_tbEUlT_E1_NS1_11comp_targetILNS1_3genE10ELNS1_11target_archE1201ELNS1_3gpuE5ELNS1_3repE0EEENS1_59segmented_radix_sort_warp_sort_small_config_static_selectorELNS0_4arch9wavefront6targetE0EEEvSK_, .Lfunc_end1651-_ZN7rocprim17ROCPRIM_400000_NS6detail17trampoline_kernelINS0_14default_configENS1_36segmented_radix_sort_config_selectorIblEEZNS1_25segmented_radix_sort_implIS3_Lb0EPKbPbPKlPlN2at6native12_GLOBAL__N_18offset_tEEE10hipError_tPvRmT1_PNSt15iterator_traitsISK_E10value_typeET2_T3_PNSL_ISQ_E10value_typeET4_jRbjT5_SW_jjP12ihipStream_tbEUlT_E1_NS1_11comp_targetILNS1_3genE10ELNS1_11target_archE1201ELNS1_3gpuE5ELNS1_3repE0EEENS1_59segmented_radix_sort_warp_sort_small_config_static_selectorELNS0_4arch9wavefront6targetE0EEEvSK_
                                        ; -- End function
	.set _ZN7rocprim17ROCPRIM_400000_NS6detail17trampoline_kernelINS0_14default_configENS1_36segmented_radix_sort_config_selectorIblEEZNS1_25segmented_radix_sort_implIS3_Lb0EPKbPbPKlPlN2at6native12_GLOBAL__N_18offset_tEEE10hipError_tPvRmT1_PNSt15iterator_traitsISK_E10value_typeET2_T3_PNSL_ISQ_E10value_typeET4_jRbjT5_SW_jjP12ihipStream_tbEUlT_E1_NS1_11comp_targetILNS1_3genE10ELNS1_11target_archE1201ELNS1_3gpuE5ELNS1_3repE0EEENS1_59segmented_radix_sort_warp_sort_small_config_static_selectorELNS0_4arch9wavefront6targetE0EEEvSK_.num_vgpr, 0
	.set _ZN7rocprim17ROCPRIM_400000_NS6detail17trampoline_kernelINS0_14default_configENS1_36segmented_radix_sort_config_selectorIblEEZNS1_25segmented_radix_sort_implIS3_Lb0EPKbPbPKlPlN2at6native12_GLOBAL__N_18offset_tEEE10hipError_tPvRmT1_PNSt15iterator_traitsISK_E10value_typeET2_T3_PNSL_ISQ_E10value_typeET4_jRbjT5_SW_jjP12ihipStream_tbEUlT_E1_NS1_11comp_targetILNS1_3genE10ELNS1_11target_archE1201ELNS1_3gpuE5ELNS1_3repE0EEENS1_59segmented_radix_sort_warp_sort_small_config_static_selectorELNS0_4arch9wavefront6targetE0EEEvSK_.num_agpr, 0
	.set _ZN7rocprim17ROCPRIM_400000_NS6detail17trampoline_kernelINS0_14default_configENS1_36segmented_radix_sort_config_selectorIblEEZNS1_25segmented_radix_sort_implIS3_Lb0EPKbPbPKlPlN2at6native12_GLOBAL__N_18offset_tEEE10hipError_tPvRmT1_PNSt15iterator_traitsISK_E10value_typeET2_T3_PNSL_ISQ_E10value_typeET4_jRbjT5_SW_jjP12ihipStream_tbEUlT_E1_NS1_11comp_targetILNS1_3genE10ELNS1_11target_archE1201ELNS1_3gpuE5ELNS1_3repE0EEENS1_59segmented_radix_sort_warp_sort_small_config_static_selectorELNS0_4arch9wavefront6targetE0EEEvSK_.numbered_sgpr, 0
	.set _ZN7rocprim17ROCPRIM_400000_NS6detail17trampoline_kernelINS0_14default_configENS1_36segmented_radix_sort_config_selectorIblEEZNS1_25segmented_radix_sort_implIS3_Lb0EPKbPbPKlPlN2at6native12_GLOBAL__N_18offset_tEEE10hipError_tPvRmT1_PNSt15iterator_traitsISK_E10value_typeET2_T3_PNSL_ISQ_E10value_typeET4_jRbjT5_SW_jjP12ihipStream_tbEUlT_E1_NS1_11comp_targetILNS1_3genE10ELNS1_11target_archE1201ELNS1_3gpuE5ELNS1_3repE0EEENS1_59segmented_radix_sort_warp_sort_small_config_static_selectorELNS0_4arch9wavefront6targetE0EEEvSK_.num_named_barrier, 0
	.set _ZN7rocprim17ROCPRIM_400000_NS6detail17trampoline_kernelINS0_14default_configENS1_36segmented_radix_sort_config_selectorIblEEZNS1_25segmented_radix_sort_implIS3_Lb0EPKbPbPKlPlN2at6native12_GLOBAL__N_18offset_tEEE10hipError_tPvRmT1_PNSt15iterator_traitsISK_E10value_typeET2_T3_PNSL_ISQ_E10value_typeET4_jRbjT5_SW_jjP12ihipStream_tbEUlT_E1_NS1_11comp_targetILNS1_3genE10ELNS1_11target_archE1201ELNS1_3gpuE5ELNS1_3repE0EEENS1_59segmented_radix_sort_warp_sort_small_config_static_selectorELNS0_4arch9wavefront6targetE0EEEvSK_.private_seg_size, 0
	.set _ZN7rocprim17ROCPRIM_400000_NS6detail17trampoline_kernelINS0_14default_configENS1_36segmented_radix_sort_config_selectorIblEEZNS1_25segmented_radix_sort_implIS3_Lb0EPKbPbPKlPlN2at6native12_GLOBAL__N_18offset_tEEE10hipError_tPvRmT1_PNSt15iterator_traitsISK_E10value_typeET2_T3_PNSL_ISQ_E10value_typeET4_jRbjT5_SW_jjP12ihipStream_tbEUlT_E1_NS1_11comp_targetILNS1_3genE10ELNS1_11target_archE1201ELNS1_3gpuE5ELNS1_3repE0EEENS1_59segmented_radix_sort_warp_sort_small_config_static_selectorELNS0_4arch9wavefront6targetE0EEEvSK_.uses_vcc, 0
	.set _ZN7rocprim17ROCPRIM_400000_NS6detail17trampoline_kernelINS0_14default_configENS1_36segmented_radix_sort_config_selectorIblEEZNS1_25segmented_radix_sort_implIS3_Lb0EPKbPbPKlPlN2at6native12_GLOBAL__N_18offset_tEEE10hipError_tPvRmT1_PNSt15iterator_traitsISK_E10value_typeET2_T3_PNSL_ISQ_E10value_typeET4_jRbjT5_SW_jjP12ihipStream_tbEUlT_E1_NS1_11comp_targetILNS1_3genE10ELNS1_11target_archE1201ELNS1_3gpuE5ELNS1_3repE0EEENS1_59segmented_radix_sort_warp_sort_small_config_static_selectorELNS0_4arch9wavefront6targetE0EEEvSK_.uses_flat_scratch, 0
	.set _ZN7rocprim17ROCPRIM_400000_NS6detail17trampoline_kernelINS0_14default_configENS1_36segmented_radix_sort_config_selectorIblEEZNS1_25segmented_radix_sort_implIS3_Lb0EPKbPbPKlPlN2at6native12_GLOBAL__N_18offset_tEEE10hipError_tPvRmT1_PNSt15iterator_traitsISK_E10value_typeET2_T3_PNSL_ISQ_E10value_typeET4_jRbjT5_SW_jjP12ihipStream_tbEUlT_E1_NS1_11comp_targetILNS1_3genE10ELNS1_11target_archE1201ELNS1_3gpuE5ELNS1_3repE0EEENS1_59segmented_radix_sort_warp_sort_small_config_static_selectorELNS0_4arch9wavefront6targetE0EEEvSK_.has_dyn_sized_stack, 0
	.set _ZN7rocprim17ROCPRIM_400000_NS6detail17trampoline_kernelINS0_14default_configENS1_36segmented_radix_sort_config_selectorIblEEZNS1_25segmented_radix_sort_implIS3_Lb0EPKbPbPKlPlN2at6native12_GLOBAL__N_18offset_tEEE10hipError_tPvRmT1_PNSt15iterator_traitsISK_E10value_typeET2_T3_PNSL_ISQ_E10value_typeET4_jRbjT5_SW_jjP12ihipStream_tbEUlT_E1_NS1_11comp_targetILNS1_3genE10ELNS1_11target_archE1201ELNS1_3gpuE5ELNS1_3repE0EEENS1_59segmented_radix_sort_warp_sort_small_config_static_selectorELNS0_4arch9wavefront6targetE0EEEvSK_.has_recursion, 0
	.set _ZN7rocprim17ROCPRIM_400000_NS6detail17trampoline_kernelINS0_14default_configENS1_36segmented_radix_sort_config_selectorIblEEZNS1_25segmented_radix_sort_implIS3_Lb0EPKbPbPKlPlN2at6native12_GLOBAL__N_18offset_tEEE10hipError_tPvRmT1_PNSt15iterator_traitsISK_E10value_typeET2_T3_PNSL_ISQ_E10value_typeET4_jRbjT5_SW_jjP12ihipStream_tbEUlT_E1_NS1_11comp_targetILNS1_3genE10ELNS1_11target_archE1201ELNS1_3gpuE5ELNS1_3repE0EEENS1_59segmented_radix_sort_warp_sort_small_config_static_selectorELNS0_4arch9wavefront6targetE0EEEvSK_.has_indirect_call, 0
	.section	.AMDGPU.csdata,"",@progbits
; Kernel info:
; codeLenInByte = 0
; TotalNumSgprs: 0
; NumVgprs: 0
; ScratchSize: 0
; MemoryBound: 0
; FloatMode: 240
; IeeeMode: 1
; LDSByteSize: 0 bytes/workgroup (compile time only)
; SGPRBlocks: 0
; VGPRBlocks: 0
; NumSGPRsForWavesPerEU: 1
; NumVGPRsForWavesPerEU: 1
; Occupancy: 16
; WaveLimiterHint : 0
; COMPUTE_PGM_RSRC2:SCRATCH_EN: 0
; COMPUTE_PGM_RSRC2:USER_SGPR: 6
; COMPUTE_PGM_RSRC2:TRAP_HANDLER: 0
; COMPUTE_PGM_RSRC2:TGID_X_EN: 1
; COMPUTE_PGM_RSRC2:TGID_Y_EN: 0
; COMPUTE_PGM_RSRC2:TGID_Z_EN: 0
; COMPUTE_PGM_RSRC2:TIDIG_COMP_CNT: 0
	.section	.text._ZN7rocprim17ROCPRIM_400000_NS6detail17trampoline_kernelINS0_14default_configENS1_36segmented_radix_sort_config_selectorIblEEZNS1_25segmented_radix_sort_implIS3_Lb0EPKbPbPKlPlN2at6native12_GLOBAL__N_18offset_tEEE10hipError_tPvRmT1_PNSt15iterator_traitsISK_E10value_typeET2_T3_PNSL_ISQ_E10value_typeET4_jRbjT5_SW_jjP12ihipStream_tbEUlT_E1_NS1_11comp_targetILNS1_3genE10ELNS1_11target_archE1200ELNS1_3gpuE4ELNS1_3repE0EEENS1_59segmented_radix_sort_warp_sort_small_config_static_selectorELNS0_4arch9wavefront6targetE0EEEvSK_,"axG",@progbits,_ZN7rocprim17ROCPRIM_400000_NS6detail17trampoline_kernelINS0_14default_configENS1_36segmented_radix_sort_config_selectorIblEEZNS1_25segmented_radix_sort_implIS3_Lb0EPKbPbPKlPlN2at6native12_GLOBAL__N_18offset_tEEE10hipError_tPvRmT1_PNSt15iterator_traitsISK_E10value_typeET2_T3_PNSL_ISQ_E10value_typeET4_jRbjT5_SW_jjP12ihipStream_tbEUlT_E1_NS1_11comp_targetILNS1_3genE10ELNS1_11target_archE1200ELNS1_3gpuE4ELNS1_3repE0EEENS1_59segmented_radix_sort_warp_sort_small_config_static_selectorELNS0_4arch9wavefront6targetE0EEEvSK_,comdat
	.globl	_ZN7rocprim17ROCPRIM_400000_NS6detail17trampoline_kernelINS0_14default_configENS1_36segmented_radix_sort_config_selectorIblEEZNS1_25segmented_radix_sort_implIS3_Lb0EPKbPbPKlPlN2at6native12_GLOBAL__N_18offset_tEEE10hipError_tPvRmT1_PNSt15iterator_traitsISK_E10value_typeET2_T3_PNSL_ISQ_E10value_typeET4_jRbjT5_SW_jjP12ihipStream_tbEUlT_E1_NS1_11comp_targetILNS1_3genE10ELNS1_11target_archE1200ELNS1_3gpuE4ELNS1_3repE0EEENS1_59segmented_radix_sort_warp_sort_small_config_static_selectorELNS0_4arch9wavefront6targetE0EEEvSK_ ; -- Begin function _ZN7rocprim17ROCPRIM_400000_NS6detail17trampoline_kernelINS0_14default_configENS1_36segmented_radix_sort_config_selectorIblEEZNS1_25segmented_radix_sort_implIS3_Lb0EPKbPbPKlPlN2at6native12_GLOBAL__N_18offset_tEEE10hipError_tPvRmT1_PNSt15iterator_traitsISK_E10value_typeET2_T3_PNSL_ISQ_E10value_typeET4_jRbjT5_SW_jjP12ihipStream_tbEUlT_E1_NS1_11comp_targetILNS1_3genE10ELNS1_11target_archE1200ELNS1_3gpuE4ELNS1_3repE0EEENS1_59segmented_radix_sort_warp_sort_small_config_static_selectorELNS0_4arch9wavefront6targetE0EEEvSK_
	.p2align	8
	.type	_ZN7rocprim17ROCPRIM_400000_NS6detail17trampoline_kernelINS0_14default_configENS1_36segmented_radix_sort_config_selectorIblEEZNS1_25segmented_radix_sort_implIS3_Lb0EPKbPbPKlPlN2at6native12_GLOBAL__N_18offset_tEEE10hipError_tPvRmT1_PNSt15iterator_traitsISK_E10value_typeET2_T3_PNSL_ISQ_E10value_typeET4_jRbjT5_SW_jjP12ihipStream_tbEUlT_E1_NS1_11comp_targetILNS1_3genE10ELNS1_11target_archE1200ELNS1_3gpuE4ELNS1_3repE0EEENS1_59segmented_radix_sort_warp_sort_small_config_static_selectorELNS0_4arch9wavefront6targetE0EEEvSK_,@function
_ZN7rocprim17ROCPRIM_400000_NS6detail17trampoline_kernelINS0_14default_configENS1_36segmented_radix_sort_config_selectorIblEEZNS1_25segmented_radix_sort_implIS3_Lb0EPKbPbPKlPlN2at6native12_GLOBAL__N_18offset_tEEE10hipError_tPvRmT1_PNSt15iterator_traitsISK_E10value_typeET2_T3_PNSL_ISQ_E10value_typeET4_jRbjT5_SW_jjP12ihipStream_tbEUlT_E1_NS1_11comp_targetILNS1_3genE10ELNS1_11target_archE1200ELNS1_3gpuE4ELNS1_3repE0EEENS1_59segmented_radix_sort_warp_sort_small_config_static_selectorELNS0_4arch9wavefront6targetE0EEEvSK_: ; @_ZN7rocprim17ROCPRIM_400000_NS6detail17trampoline_kernelINS0_14default_configENS1_36segmented_radix_sort_config_selectorIblEEZNS1_25segmented_radix_sort_implIS3_Lb0EPKbPbPKlPlN2at6native12_GLOBAL__N_18offset_tEEE10hipError_tPvRmT1_PNSt15iterator_traitsISK_E10value_typeET2_T3_PNSL_ISQ_E10value_typeET4_jRbjT5_SW_jjP12ihipStream_tbEUlT_E1_NS1_11comp_targetILNS1_3genE10ELNS1_11target_archE1200ELNS1_3gpuE4ELNS1_3repE0EEENS1_59segmented_radix_sort_warp_sort_small_config_static_selectorELNS0_4arch9wavefront6targetE0EEEvSK_
; %bb.0:
	.section	.rodata,"a",@progbits
	.p2align	6, 0x0
	.amdhsa_kernel _ZN7rocprim17ROCPRIM_400000_NS6detail17trampoline_kernelINS0_14default_configENS1_36segmented_radix_sort_config_selectorIblEEZNS1_25segmented_radix_sort_implIS3_Lb0EPKbPbPKlPlN2at6native12_GLOBAL__N_18offset_tEEE10hipError_tPvRmT1_PNSt15iterator_traitsISK_E10value_typeET2_T3_PNSL_ISQ_E10value_typeET4_jRbjT5_SW_jjP12ihipStream_tbEUlT_E1_NS1_11comp_targetILNS1_3genE10ELNS1_11target_archE1200ELNS1_3gpuE4ELNS1_3repE0EEENS1_59segmented_radix_sort_warp_sort_small_config_static_selectorELNS0_4arch9wavefront6targetE0EEEvSK_
		.amdhsa_group_segment_fixed_size 0
		.amdhsa_private_segment_fixed_size 0
		.amdhsa_kernarg_size 88
		.amdhsa_user_sgpr_count 6
		.amdhsa_user_sgpr_private_segment_buffer 1
		.amdhsa_user_sgpr_dispatch_ptr 0
		.amdhsa_user_sgpr_queue_ptr 0
		.amdhsa_user_sgpr_kernarg_segment_ptr 1
		.amdhsa_user_sgpr_dispatch_id 0
		.amdhsa_user_sgpr_flat_scratch_init 0
		.amdhsa_user_sgpr_private_segment_size 0
		.amdhsa_wavefront_size32 1
		.amdhsa_uses_dynamic_stack 0
		.amdhsa_system_sgpr_private_segment_wavefront_offset 0
		.amdhsa_system_sgpr_workgroup_id_x 1
		.amdhsa_system_sgpr_workgroup_id_y 0
		.amdhsa_system_sgpr_workgroup_id_z 0
		.amdhsa_system_sgpr_workgroup_info 0
		.amdhsa_system_vgpr_workitem_id 0
		.amdhsa_next_free_vgpr 1
		.amdhsa_next_free_sgpr 1
		.amdhsa_reserve_vcc 0
		.amdhsa_reserve_flat_scratch 0
		.amdhsa_float_round_mode_32 0
		.amdhsa_float_round_mode_16_64 0
		.amdhsa_float_denorm_mode_32 3
		.amdhsa_float_denorm_mode_16_64 3
		.amdhsa_dx10_clamp 1
		.amdhsa_ieee_mode 1
		.amdhsa_fp16_overflow 0
		.amdhsa_workgroup_processor_mode 1
		.amdhsa_memory_ordered 1
		.amdhsa_forward_progress 1
		.amdhsa_shared_vgpr_count 0
		.amdhsa_exception_fp_ieee_invalid_op 0
		.amdhsa_exception_fp_denorm_src 0
		.amdhsa_exception_fp_ieee_div_zero 0
		.amdhsa_exception_fp_ieee_overflow 0
		.amdhsa_exception_fp_ieee_underflow 0
		.amdhsa_exception_fp_ieee_inexact 0
		.amdhsa_exception_int_div_zero 0
	.end_amdhsa_kernel
	.section	.text._ZN7rocprim17ROCPRIM_400000_NS6detail17trampoline_kernelINS0_14default_configENS1_36segmented_radix_sort_config_selectorIblEEZNS1_25segmented_radix_sort_implIS3_Lb0EPKbPbPKlPlN2at6native12_GLOBAL__N_18offset_tEEE10hipError_tPvRmT1_PNSt15iterator_traitsISK_E10value_typeET2_T3_PNSL_ISQ_E10value_typeET4_jRbjT5_SW_jjP12ihipStream_tbEUlT_E1_NS1_11comp_targetILNS1_3genE10ELNS1_11target_archE1200ELNS1_3gpuE4ELNS1_3repE0EEENS1_59segmented_radix_sort_warp_sort_small_config_static_selectorELNS0_4arch9wavefront6targetE0EEEvSK_,"axG",@progbits,_ZN7rocprim17ROCPRIM_400000_NS6detail17trampoline_kernelINS0_14default_configENS1_36segmented_radix_sort_config_selectorIblEEZNS1_25segmented_radix_sort_implIS3_Lb0EPKbPbPKlPlN2at6native12_GLOBAL__N_18offset_tEEE10hipError_tPvRmT1_PNSt15iterator_traitsISK_E10value_typeET2_T3_PNSL_ISQ_E10value_typeET4_jRbjT5_SW_jjP12ihipStream_tbEUlT_E1_NS1_11comp_targetILNS1_3genE10ELNS1_11target_archE1200ELNS1_3gpuE4ELNS1_3repE0EEENS1_59segmented_radix_sort_warp_sort_small_config_static_selectorELNS0_4arch9wavefront6targetE0EEEvSK_,comdat
.Lfunc_end1652:
	.size	_ZN7rocprim17ROCPRIM_400000_NS6detail17trampoline_kernelINS0_14default_configENS1_36segmented_radix_sort_config_selectorIblEEZNS1_25segmented_radix_sort_implIS3_Lb0EPKbPbPKlPlN2at6native12_GLOBAL__N_18offset_tEEE10hipError_tPvRmT1_PNSt15iterator_traitsISK_E10value_typeET2_T3_PNSL_ISQ_E10value_typeET4_jRbjT5_SW_jjP12ihipStream_tbEUlT_E1_NS1_11comp_targetILNS1_3genE10ELNS1_11target_archE1200ELNS1_3gpuE4ELNS1_3repE0EEENS1_59segmented_radix_sort_warp_sort_small_config_static_selectorELNS0_4arch9wavefront6targetE0EEEvSK_, .Lfunc_end1652-_ZN7rocprim17ROCPRIM_400000_NS6detail17trampoline_kernelINS0_14default_configENS1_36segmented_radix_sort_config_selectorIblEEZNS1_25segmented_radix_sort_implIS3_Lb0EPKbPbPKlPlN2at6native12_GLOBAL__N_18offset_tEEE10hipError_tPvRmT1_PNSt15iterator_traitsISK_E10value_typeET2_T3_PNSL_ISQ_E10value_typeET4_jRbjT5_SW_jjP12ihipStream_tbEUlT_E1_NS1_11comp_targetILNS1_3genE10ELNS1_11target_archE1200ELNS1_3gpuE4ELNS1_3repE0EEENS1_59segmented_radix_sort_warp_sort_small_config_static_selectorELNS0_4arch9wavefront6targetE0EEEvSK_
                                        ; -- End function
	.set _ZN7rocprim17ROCPRIM_400000_NS6detail17trampoline_kernelINS0_14default_configENS1_36segmented_radix_sort_config_selectorIblEEZNS1_25segmented_radix_sort_implIS3_Lb0EPKbPbPKlPlN2at6native12_GLOBAL__N_18offset_tEEE10hipError_tPvRmT1_PNSt15iterator_traitsISK_E10value_typeET2_T3_PNSL_ISQ_E10value_typeET4_jRbjT5_SW_jjP12ihipStream_tbEUlT_E1_NS1_11comp_targetILNS1_3genE10ELNS1_11target_archE1200ELNS1_3gpuE4ELNS1_3repE0EEENS1_59segmented_radix_sort_warp_sort_small_config_static_selectorELNS0_4arch9wavefront6targetE0EEEvSK_.num_vgpr, 0
	.set _ZN7rocprim17ROCPRIM_400000_NS6detail17trampoline_kernelINS0_14default_configENS1_36segmented_radix_sort_config_selectorIblEEZNS1_25segmented_radix_sort_implIS3_Lb0EPKbPbPKlPlN2at6native12_GLOBAL__N_18offset_tEEE10hipError_tPvRmT1_PNSt15iterator_traitsISK_E10value_typeET2_T3_PNSL_ISQ_E10value_typeET4_jRbjT5_SW_jjP12ihipStream_tbEUlT_E1_NS1_11comp_targetILNS1_3genE10ELNS1_11target_archE1200ELNS1_3gpuE4ELNS1_3repE0EEENS1_59segmented_radix_sort_warp_sort_small_config_static_selectorELNS0_4arch9wavefront6targetE0EEEvSK_.num_agpr, 0
	.set _ZN7rocprim17ROCPRIM_400000_NS6detail17trampoline_kernelINS0_14default_configENS1_36segmented_radix_sort_config_selectorIblEEZNS1_25segmented_radix_sort_implIS3_Lb0EPKbPbPKlPlN2at6native12_GLOBAL__N_18offset_tEEE10hipError_tPvRmT1_PNSt15iterator_traitsISK_E10value_typeET2_T3_PNSL_ISQ_E10value_typeET4_jRbjT5_SW_jjP12ihipStream_tbEUlT_E1_NS1_11comp_targetILNS1_3genE10ELNS1_11target_archE1200ELNS1_3gpuE4ELNS1_3repE0EEENS1_59segmented_radix_sort_warp_sort_small_config_static_selectorELNS0_4arch9wavefront6targetE0EEEvSK_.numbered_sgpr, 0
	.set _ZN7rocprim17ROCPRIM_400000_NS6detail17trampoline_kernelINS0_14default_configENS1_36segmented_radix_sort_config_selectorIblEEZNS1_25segmented_radix_sort_implIS3_Lb0EPKbPbPKlPlN2at6native12_GLOBAL__N_18offset_tEEE10hipError_tPvRmT1_PNSt15iterator_traitsISK_E10value_typeET2_T3_PNSL_ISQ_E10value_typeET4_jRbjT5_SW_jjP12ihipStream_tbEUlT_E1_NS1_11comp_targetILNS1_3genE10ELNS1_11target_archE1200ELNS1_3gpuE4ELNS1_3repE0EEENS1_59segmented_radix_sort_warp_sort_small_config_static_selectorELNS0_4arch9wavefront6targetE0EEEvSK_.num_named_barrier, 0
	.set _ZN7rocprim17ROCPRIM_400000_NS6detail17trampoline_kernelINS0_14default_configENS1_36segmented_radix_sort_config_selectorIblEEZNS1_25segmented_radix_sort_implIS3_Lb0EPKbPbPKlPlN2at6native12_GLOBAL__N_18offset_tEEE10hipError_tPvRmT1_PNSt15iterator_traitsISK_E10value_typeET2_T3_PNSL_ISQ_E10value_typeET4_jRbjT5_SW_jjP12ihipStream_tbEUlT_E1_NS1_11comp_targetILNS1_3genE10ELNS1_11target_archE1200ELNS1_3gpuE4ELNS1_3repE0EEENS1_59segmented_radix_sort_warp_sort_small_config_static_selectorELNS0_4arch9wavefront6targetE0EEEvSK_.private_seg_size, 0
	.set _ZN7rocprim17ROCPRIM_400000_NS6detail17trampoline_kernelINS0_14default_configENS1_36segmented_radix_sort_config_selectorIblEEZNS1_25segmented_radix_sort_implIS3_Lb0EPKbPbPKlPlN2at6native12_GLOBAL__N_18offset_tEEE10hipError_tPvRmT1_PNSt15iterator_traitsISK_E10value_typeET2_T3_PNSL_ISQ_E10value_typeET4_jRbjT5_SW_jjP12ihipStream_tbEUlT_E1_NS1_11comp_targetILNS1_3genE10ELNS1_11target_archE1200ELNS1_3gpuE4ELNS1_3repE0EEENS1_59segmented_radix_sort_warp_sort_small_config_static_selectorELNS0_4arch9wavefront6targetE0EEEvSK_.uses_vcc, 0
	.set _ZN7rocprim17ROCPRIM_400000_NS6detail17trampoline_kernelINS0_14default_configENS1_36segmented_radix_sort_config_selectorIblEEZNS1_25segmented_radix_sort_implIS3_Lb0EPKbPbPKlPlN2at6native12_GLOBAL__N_18offset_tEEE10hipError_tPvRmT1_PNSt15iterator_traitsISK_E10value_typeET2_T3_PNSL_ISQ_E10value_typeET4_jRbjT5_SW_jjP12ihipStream_tbEUlT_E1_NS1_11comp_targetILNS1_3genE10ELNS1_11target_archE1200ELNS1_3gpuE4ELNS1_3repE0EEENS1_59segmented_radix_sort_warp_sort_small_config_static_selectorELNS0_4arch9wavefront6targetE0EEEvSK_.uses_flat_scratch, 0
	.set _ZN7rocprim17ROCPRIM_400000_NS6detail17trampoline_kernelINS0_14default_configENS1_36segmented_radix_sort_config_selectorIblEEZNS1_25segmented_radix_sort_implIS3_Lb0EPKbPbPKlPlN2at6native12_GLOBAL__N_18offset_tEEE10hipError_tPvRmT1_PNSt15iterator_traitsISK_E10value_typeET2_T3_PNSL_ISQ_E10value_typeET4_jRbjT5_SW_jjP12ihipStream_tbEUlT_E1_NS1_11comp_targetILNS1_3genE10ELNS1_11target_archE1200ELNS1_3gpuE4ELNS1_3repE0EEENS1_59segmented_radix_sort_warp_sort_small_config_static_selectorELNS0_4arch9wavefront6targetE0EEEvSK_.has_dyn_sized_stack, 0
	.set _ZN7rocprim17ROCPRIM_400000_NS6detail17trampoline_kernelINS0_14default_configENS1_36segmented_radix_sort_config_selectorIblEEZNS1_25segmented_radix_sort_implIS3_Lb0EPKbPbPKlPlN2at6native12_GLOBAL__N_18offset_tEEE10hipError_tPvRmT1_PNSt15iterator_traitsISK_E10value_typeET2_T3_PNSL_ISQ_E10value_typeET4_jRbjT5_SW_jjP12ihipStream_tbEUlT_E1_NS1_11comp_targetILNS1_3genE10ELNS1_11target_archE1200ELNS1_3gpuE4ELNS1_3repE0EEENS1_59segmented_radix_sort_warp_sort_small_config_static_selectorELNS0_4arch9wavefront6targetE0EEEvSK_.has_recursion, 0
	.set _ZN7rocprim17ROCPRIM_400000_NS6detail17trampoline_kernelINS0_14default_configENS1_36segmented_radix_sort_config_selectorIblEEZNS1_25segmented_radix_sort_implIS3_Lb0EPKbPbPKlPlN2at6native12_GLOBAL__N_18offset_tEEE10hipError_tPvRmT1_PNSt15iterator_traitsISK_E10value_typeET2_T3_PNSL_ISQ_E10value_typeET4_jRbjT5_SW_jjP12ihipStream_tbEUlT_E1_NS1_11comp_targetILNS1_3genE10ELNS1_11target_archE1200ELNS1_3gpuE4ELNS1_3repE0EEENS1_59segmented_radix_sort_warp_sort_small_config_static_selectorELNS0_4arch9wavefront6targetE0EEEvSK_.has_indirect_call, 0
	.section	.AMDGPU.csdata,"",@progbits
; Kernel info:
; codeLenInByte = 0
; TotalNumSgprs: 0
; NumVgprs: 0
; ScratchSize: 0
; MemoryBound: 0
; FloatMode: 240
; IeeeMode: 1
; LDSByteSize: 0 bytes/workgroup (compile time only)
; SGPRBlocks: 0
; VGPRBlocks: 0
; NumSGPRsForWavesPerEU: 1
; NumVGPRsForWavesPerEU: 1
; Occupancy: 16
; WaveLimiterHint : 0
; COMPUTE_PGM_RSRC2:SCRATCH_EN: 0
; COMPUTE_PGM_RSRC2:USER_SGPR: 6
; COMPUTE_PGM_RSRC2:TRAP_HANDLER: 0
; COMPUTE_PGM_RSRC2:TGID_X_EN: 1
; COMPUTE_PGM_RSRC2:TGID_Y_EN: 0
; COMPUTE_PGM_RSRC2:TGID_Z_EN: 0
; COMPUTE_PGM_RSRC2:TIDIG_COMP_CNT: 0
	.section	.text._ZN7rocprim17ROCPRIM_400000_NS6detail17trampoline_kernelINS0_14default_configENS1_36segmented_radix_sort_config_selectorIblEEZNS1_25segmented_radix_sort_implIS3_Lb0EPKbPbPKlPlN2at6native12_GLOBAL__N_18offset_tEEE10hipError_tPvRmT1_PNSt15iterator_traitsISK_E10value_typeET2_T3_PNSL_ISQ_E10value_typeET4_jRbjT5_SW_jjP12ihipStream_tbEUlT_E1_NS1_11comp_targetILNS1_3genE9ELNS1_11target_archE1100ELNS1_3gpuE3ELNS1_3repE0EEENS1_59segmented_radix_sort_warp_sort_small_config_static_selectorELNS0_4arch9wavefront6targetE0EEEvSK_,"axG",@progbits,_ZN7rocprim17ROCPRIM_400000_NS6detail17trampoline_kernelINS0_14default_configENS1_36segmented_radix_sort_config_selectorIblEEZNS1_25segmented_radix_sort_implIS3_Lb0EPKbPbPKlPlN2at6native12_GLOBAL__N_18offset_tEEE10hipError_tPvRmT1_PNSt15iterator_traitsISK_E10value_typeET2_T3_PNSL_ISQ_E10value_typeET4_jRbjT5_SW_jjP12ihipStream_tbEUlT_E1_NS1_11comp_targetILNS1_3genE9ELNS1_11target_archE1100ELNS1_3gpuE3ELNS1_3repE0EEENS1_59segmented_radix_sort_warp_sort_small_config_static_selectorELNS0_4arch9wavefront6targetE0EEEvSK_,comdat
	.globl	_ZN7rocprim17ROCPRIM_400000_NS6detail17trampoline_kernelINS0_14default_configENS1_36segmented_radix_sort_config_selectorIblEEZNS1_25segmented_radix_sort_implIS3_Lb0EPKbPbPKlPlN2at6native12_GLOBAL__N_18offset_tEEE10hipError_tPvRmT1_PNSt15iterator_traitsISK_E10value_typeET2_T3_PNSL_ISQ_E10value_typeET4_jRbjT5_SW_jjP12ihipStream_tbEUlT_E1_NS1_11comp_targetILNS1_3genE9ELNS1_11target_archE1100ELNS1_3gpuE3ELNS1_3repE0EEENS1_59segmented_radix_sort_warp_sort_small_config_static_selectorELNS0_4arch9wavefront6targetE0EEEvSK_ ; -- Begin function _ZN7rocprim17ROCPRIM_400000_NS6detail17trampoline_kernelINS0_14default_configENS1_36segmented_radix_sort_config_selectorIblEEZNS1_25segmented_radix_sort_implIS3_Lb0EPKbPbPKlPlN2at6native12_GLOBAL__N_18offset_tEEE10hipError_tPvRmT1_PNSt15iterator_traitsISK_E10value_typeET2_T3_PNSL_ISQ_E10value_typeET4_jRbjT5_SW_jjP12ihipStream_tbEUlT_E1_NS1_11comp_targetILNS1_3genE9ELNS1_11target_archE1100ELNS1_3gpuE3ELNS1_3repE0EEENS1_59segmented_radix_sort_warp_sort_small_config_static_selectorELNS0_4arch9wavefront6targetE0EEEvSK_
	.p2align	8
	.type	_ZN7rocprim17ROCPRIM_400000_NS6detail17trampoline_kernelINS0_14default_configENS1_36segmented_radix_sort_config_selectorIblEEZNS1_25segmented_radix_sort_implIS3_Lb0EPKbPbPKlPlN2at6native12_GLOBAL__N_18offset_tEEE10hipError_tPvRmT1_PNSt15iterator_traitsISK_E10value_typeET2_T3_PNSL_ISQ_E10value_typeET4_jRbjT5_SW_jjP12ihipStream_tbEUlT_E1_NS1_11comp_targetILNS1_3genE9ELNS1_11target_archE1100ELNS1_3gpuE3ELNS1_3repE0EEENS1_59segmented_radix_sort_warp_sort_small_config_static_selectorELNS0_4arch9wavefront6targetE0EEEvSK_,@function
_ZN7rocprim17ROCPRIM_400000_NS6detail17trampoline_kernelINS0_14default_configENS1_36segmented_radix_sort_config_selectorIblEEZNS1_25segmented_radix_sort_implIS3_Lb0EPKbPbPKlPlN2at6native12_GLOBAL__N_18offset_tEEE10hipError_tPvRmT1_PNSt15iterator_traitsISK_E10value_typeET2_T3_PNSL_ISQ_E10value_typeET4_jRbjT5_SW_jjP12ihipStream_tbEUlT_E1_NS1_11comp_targetILNS1_3genE9ELNS1_11target_archE1100ELNS1_3gpuE3ELNS1_3repE0EEENS1_59segmented_radix_sort_warp_sort_small_config_static_selectorELNS0_4arch9wavefront6targetE0EEEvSK_: ; @_ZN7rocprim17ROCPRIM_400000_NS6detail17trampoline_kernelINS0_14default_configENS1_36segmented_radix_sort_config_selectorIblEEZNS1_25segmented_radix_sort_implIS3_Lb0EPKbPbPKlPlN2at6native12_GLOBAL__N_18offset_tEEE10hipError_tPvRmT1_PNSt15iterator_traitsISK_E10value_typeET2_T3_PNSL_ISQ_E10value_typeET4_jRbjT5_SW_jjP12ihipStream_tbEUlT_E1_NS1_11comp_targetILNS1_3genE9ELNS1_11target_archE1100ELNS1_3gpuE3ELNS1_3repE0EEENS1_59segmented_radix_sort_warp_sort_small_config_static_selectorELNS0_4arch9wavefront6targetE0EEEvSK_
; %bb.0:
	.section	.rodata,"a",@progbits
	.p2align	6, 0x0
	.amdhsa_kernel _ZN7rocprim17ROCPRIM_400000_NS6detail17trampoline_kernelINS0_14default_configENS1_36segmented_radix_sort_config_selectorIblEEZNS1_25segmented_radix_sort_implIS3_Lb0EPKbPbPKlPlN2at6native12_GLOBAL__N_18offset_tEEE10hipError_tPvRmT1_PNSt15iterator_traitsISK_E10value_typeET2_T3_PNSL_ISQ_E10value_typeET4_jRbjT5_SW_jjP12ihipStream_tbEUlT_E1_NS1_11comp_targetILNS1_3genE9ELNS1_11target_archE1100ELNS1_3gpuE3ELNS1_3repE0EEENS1_59segmented_radix_sort_warp_sort_small_config_static_selectorELNS0_4arch9wavefront6targetE0EEEvSK_
		.amdhsa_group_segment_fixed_size 0
		.amdhsa_private_segment_fixed_size 0
		.amdhsa_kernarg_size 88
		.amdhsa_user_sgpr_count 6
		.amdhsa_user_sgpr_private_segment_buffer 1
		.amdhsa_user_sgpr_dispatch_ptr 0
		.amdhsa_user_sgpr_queue_ptr 0
		.amdhsa_user_sgpr_kernarg_segment_ptr 1
		.amdhsa_user_sgpr_dispatch_id 0
		.amdhsa_user_sgpr_flat_scratch_init 0
		.amdhsa_user_sgpr_private_segment_size 0
		.amdhsa_wavefront_size32 1
		.amdhsa_uses_dynamic_stack 0
		.amdhsa_system_sgpr_private_segment_wavefront_offset 0
		.amdhsa_system_sgpr_workgroup_id_x 1
		.amdhsa_system_sgpr_workgroup_id_y 0
		.amdhsa_system_sgpr_workgroup_id_z 0
		.amdhsa_system_sgpr_workgroup_info 0
		.amdhsa_system_vgpr_workitem_id 0
		.amdhsa_next_free_vgpr 1
		.amdhsa_next_free_sgpr 1
		.amdhsa_reserve_vcc 0
		.amdhsa_reserve_flat_scratch 0
		.amdhsa_float_round_mode_32 0
		.amdhsa_float_round_mode_16_64 0
		.amdhsa_float_denorm_mode_32 3
		.amdhsa_float_denorm_mode_16_64 3
		.amdhsa_dx10_clamp 1
		.amdhsa_ieee_mode 1
		.amdhsa_fp16_overflow 0
		.amdhsa_workgroup_processor_mode 1
		.amdhsa_memory_ordered 1
		.amdhsa_forward_progress 1
		.amdhsa_shared_vgpr_count 0
		.amdhsa_exception_fp_ieee_invalid_op 0
		.amdhsa_exception_fp_denorm_src 0
		.amdhsa_exception_fp_ieee_div_zero 0
		.amdhsa_exception_fp_ieee_overflow 0
		.amdhsa_exception_fp_ieee_underflow 0
		.amdhsa_exception_fp_ieee_inexact 0
		.amdhsa_exception_int_div_zero 0
	.end_amdhsa_kernel
	.section	.text._ZN7rocprim17ROCPRIM_400000_NS6detail17trampoline_kernelINS0_14default_configENS1_36segmented_radix_sort_config_selectorIblEEZNS1_25segmented_radix_sort_implIS3_Lb0EPKbPbPKlPlN2at6native12_GLOBAL__N_18offset_tEEE10hipError_tPvRmT1_PNSt15iterator_traitsISK_E10value_typeET2_T3_PNSL_ISQ_E10value_typeET4_jRbjT5_SW_jjP12ihipStream_tbEUlT_E1_NS1_11comp_targetILNS1_3genE9ELNS1_11target_archE1100ELNS1_3gpuE3ELNS1_3repE0EEENS1_59segmented_radix_sort_warp_sort_small_config_static_selectorELNS0_4arch9wavefront6targetE0EEEvSK_,"axG",@progbits,_ZN7rocprim17ROCPRIM_400000_NS6detail17trampoline_kernelINS0_14default_configENS1_36segmented_radix_sort_config_selectorIblEEZNS1_25segmented_radix_sort_implIS3_Lb0EPKbPbPKlPlN2at6native12_GLOBAL__N_18offset_tEEE10hipError_tPvRmT1_PNSt15iterator_traitsISK_E10value_typeET2_T3_PNSL_ISQ_E10value_typeET4_jRbjT5_SW_jjP12ihipStream_tbEUlT_E1_NS1_11comp_targetILNS1_3genE9ELNS1_11target_archE1100ELNS1_3gpuE3ELNS1_3repE0EEENS1_59segmented_radix_sort_warp_sort_small_config_static_selectorELNS0_4arch9wavefront6targetE0EEEvSK_,comdat
.Lfunc_end1653:
	.size	_ZN7rocprim17ROCPRIM_400000_NS6detail17trampoline_kernelINS0_14default_configENS1_36segmented_radix_sort_config_selectorIblEEZNS1_25segmented_radix_sort_implIS3_Lb0EPKbPbPKlPlN2at6native12_GLOBAL__N_18offset_tEEE10hipError_tPvRmT1_PNSt15iterator_traitsISK_E10value_typeET2_T3_PNSL_ISQ_E10value_typeET4_jRbjT5_SW_jjP12ihipStream_tbEUlT_E1_NS1_11comp_targetILNS1_3genE9ELNS1_11target_archE1100ELNS1_3gpuE3ELNS1_3repE0EEENS1_59segmented_radix_sort_warp_sort_small_config_static_selectorELNS0_4arch9wavefront6targetE0EEEvSK_, .Lfunc_end1653-_ZN7rocprim17ROCPRIM_400000_NS6detail17trampoline_kernelINS0_14default_configENS1_36segmented_radix_sort_config_selectorIblEEZNS1_25segmented_radix_sort_implIS3_Lb0EPKbPbPKlPlN2at6native12_GLOBAL__N_18offset_tEEE10hipError_tPvRmT1_PNSt15iterator_traitsISK_E10value_typeET2_T3_PNSL_ISQ_E10value_typeET4_jRbjT5_SW_jjP12ihipStream_tbEUlT_E1_NS1_11comp_targetILNS1_3genE9ELNS1_11target_archE1100ELNS1_3gpuE3ELNS1_3repE0EEENS1_59segmented_radix_sort_warp_sort_small_config_static_selectorELNS0_4arch9wavefront6targetE0EEEvSK_
                                        ; -- End function
	.set _ZN7rocprim17ROCPRIM_400000_NS6detail17trampoline_kernelINS0_14default_configENS1_36segmented_radix_sort_config_selectorIblEEZNS1_25segmented_radix_sort_implIS3_Lb0EPKbPbPKlPlN2at6native12_GLOBAL__N_18offset_tEEE10hipError_tPvRmT1_PNSt15iterator_traitsISK_E10value_typeET2_T3_PNSL_ISQ_E10value_typeET4_jRbjT5_SW_jjP12ihipStream_tbEUlT_E1_NS1_11comp_targetILNS1_3genE9ELNS1_11target_archE1100ELNS1_3gpuE3ELNS1_3repE0EEENS1_59segmented_radix_sort_warp_sort_small_config_static_selectorELNS0_4arch9wavefront6targetE0EEEvSK_.num_vgpr, 0
	.set _ZN7rocprim17ROCPRIM_400000_NS6detail17trampoline_kernelINS0_14default_configENS1_36segmented_radix_sort_config_selectorIblEEZNS1_25segmented_radix_sort_implIS3_Lb0EPKbPbPKlPlN2at6native12_GLOBAL__N_18offset_tEEE10hipError_tPvRmT1_PNSt15iterator_traitsISK_E10value_typeET2_T3_PNSL_ISQ_E10value_typeET4_jRbjT5_SW_jjP12ihipStream_tbEUlT_E1_NS1_11comp_targetILNS1_3genE9ELNS1_11target_archE1100ELNS1_3gpuE3ELNS1_3repE0EEENS1_59segmented_radix_sort_warp_sort_small_config_static_selectorELNS0_4arch9wavefront6targetE0EEEvSK_.num_agpr, 0
	.set _ZN7rocprim17ROCPRIM_400000_NS6detail17trampoline_kernelINS0_14default_configENS1_36segmented_radix_sort_config_selectorIblEEZNS1_25segmented_radix_sort_implIS3_Lb0EPKbPbPKlPlN2at6native12_GLOBAL__N_18offset_tEEE10hipError_tPvRmT1_PNSt15iterator_traitsISK_E10value_typeET2_T3_PNSL_ISQ_E10value_typeET4_jRbjT5_SW_jjP12ihipStream_tbEUlT_E1_NS1_11comp_targetILNS1_3genE9ELNS1_11target_archE1100ELNS1_3gpuE3ELNS1_3repE0EEENS1_59segmented_radix_sort_warp_sort_small_config_static_selectorELNS0_4arch9wavefront6targetE0EEEvSK_.numbered_sgpr, 0
	.set _ZN7rocprim17ROCPRIM_400000_NS6detail17trampoline_kernelINS0_14default_configENS1_36segmented_radix_sort_config_selectorIblEEZNS1_25segmented_radix_sort_implIS3_Lb0EPKbPbPKlPlN2at6native12_GLOBAL__N_18offset_tEEE10hipError_tPvRmT1_PNSt15iterator_traitsISK_E10value_typeET2_T3_PNSL_ISQ_E10value_typeET4_jRbjT5_SW_jjP12ihipStream_tbEUlT_E1_NS1_11comp_targetILNS1_3genE9ELNS1_11target_archE1100ELNS1_3gpuE3ELNS1_3repE0EEENS1_59segmented_radix_sort_warp_sort_small_config_static_selectorELNS0_4arch9wavefront6targetE0EEEvSK_.num_named_barrier, 0
	.set _ZN7rocprim17ROCPRIM_400000_NS6detail17trampoline_kernelINS0_14default_configENS1_36segmented_radix_sort_config_selectorIblEEZNS1_25segmented_radix_sort_implIS3_Lb0EPKbPbPKlPlN2at6native12_GLOBAL__N_18offset_tEEE10hipError_tPvRmT1_PNSt15iterator_traitsISK_E10value_typeET2_T3_PNSL_ISQ_E10value_typeET4_jRbjT5_SW_jjP12ihipStream_tbEUlT_E1_NS1_11comp_targetILNS1_3genE9ELNS1_11target_archE1100ELNS1_3gpuE3ELNS1_3repE0EEENS1_59segmented_radix_sort_warp_sort_small_config_static_selectorELNS0_4arch9wavefront6targetE0EEEvSK_.private_seg_size, 0
	.set _ZN7rocprim17ROCPRIM_400000_NS6detail17trampoline_kernelINS0_14default_configENS1_36segmented_radix_sort_config_selectorIblEEZNS1_25segmented_radix_sort_implIS3_Lb0EPKbPbPKlPlN2at6native12_GLOBAL__N_18offset_tEEE10hipError_tPvRmT1_PNSt15iterator_traitsISK_E10value_typeET2_T3_PNSL_ISQ_E10value_typeET4_jRbjT5_SW_jjP12ihipStream_tbEUlT_E1_NS1_11comp_targetILNS1_3genE9ELNS1_11target_archE1100ELNS1_3gpuE3ELNS1_3repE0EEENS1_59segmented_radix_sort_warp_sort_small_config_static_selectorELNS0_4arch9wavefront6targetE0EEEvSK_.uses_vcc, 0
	.set _ZN7rocprim17ROCPRIM_400000_NS6detail17trampoline_kernelINS0_14default_configENS1_36segmented_radix_sort_config_selectorIblEEZNS1_25segmented_radix_sort_implIS3_Lb0EPKbPbPKlPlN2at6native12_GLOBAL__N_18offset_tEEE10hipError_tPvRmT1_PNSt15iterator_traitsISK_E10value_typeET2_T3_PNSL_ISQ_E10value_typeET4_jRbjT5_SW_jjP12ihipStream_tbEUlT_E1_NS1_11comp_targetILNS1_3genE9ELNS1_11target_archE1100ELNS1_3gpuE3ELNS1_3repE0EEENS1_59segmented_radix_sort_warp_sort_small_config_static_selectorELNS0_4arch9wavefront6targetE0EEEvSK_.uses_flat_scratch, 0
	.set _ZN7rocprim17ROCPRIM_400000_NS6detail17trampoline_kernelINS0_14default_configENS1_36segmented_radix_sort_config_selectorIblEEZNS1_25segmented_radix_sort_implIS3_Lb0EPKbPbPKlPlN2at6native12_GLOBAL__N_18offset_tEEE10hipError_tPvRmT1_PNSt15iterator_traitsISK_E10value_typeET2_T3_PNSL_ISQ_E10value_typeET4_jRbjT5_SW_jjP12ihipStream_tbEUlT_E1_NS1_11comp_targetILNS1_3genE9ELNS1_11target_archE1100ELNS1_3gpuE3ELNS1_3repE0EEENS1_59segmented_radix_sort_warp_sort_small_config_static_selectorELNS0_4arch9wavefront6targetE0EEEvSK_.has_dyn_sized_stack, 0
	.set _ZN7rocprim17ROCPRIM_400000_NS6detail17trampoline_kernelINS0_14default_configENS1_36segmented_radix_sort_config_selectorIblEEZNS1_25segmented_radix_sort_implIS3_Lb0EPKbPbPKlPlN2at6native12_GLOBAL__N_18offset_tEEE10hipError_tPvRmT1_PNSt15iterator_traitsISK_E10value_typeET2_T3_PNSL_ISQ_E10value_typeET4_jRbjT5_SW_jjP12ihipStream_tbEUlT_E1_NS1_11comp_targetILNS1_3genE9ELNS1_11target_archE1100ELNS1_3gpuE3ELNS1_3repE0EEENS1_59segmented_radix_sort_warp_sort_small_config_static_selectorELNS0_4arch9wavefront6targetE0EEEvSK_.has_recursion, 0
	.set _ZN7rocprim17ROCPRIM_400000_NS6detail17trampoline_kernelINS0_14default_configENS1_36segmented_radix_sort_config_selectorIblEEZNS1_25segmented_radix_sort_implIS3_Lb0EPKbPbPKlPlN2at6native12_GLOBAL__N_18offset_tEEE10hipError_tPvRmT1_PNSt15iterator_traitsISK_E10value_typeET2_T3_PNSL_ISQ_E10value_typeET4_jRbjT5_SW_jjP12ihipStream_tbEUlT_E1_NS1_11comp_targetILNS1_3genE9ELNS1_11target_archE1100ELNS1_3gpuE3ELNS1_3repE0EEENS1_59segmented_radix_sort_warp_sort_small_config_static_selectorELNS0_4arch9wavefront6targetE0EEEvSK_.has_indirect_call, 0
	.section	.AMDGPU.csdata,"",@progbits
; Kernel info:
; codeLenInByte = 0
; TotalNumSgprs: 0
; NumVgprs: 0
; ScratchSize: 0
; MemoryBound: 0
; FloatMode: 240
; IeeeMode: 1
; LDSByteSize: 0 bytes/workgroup (compile time only)
; SGPRBlocks: 0
; VGPRBlocks: 0
; NumSGPRsForWavesPerEU: 1
; NumVGPRsForWavesPerEU: 1
; Occupancy: 16
; WaveLimiterHint : 0
; COMPUTE_PGM_RSRC2:SCRATCH_EN: 0
; COMPUTE_PGM_RSRC2:USER_SGPR: 6
; COMPUTE_PGM_RSRC2:TRAP_HANDLER: 0
; COMPUTE_PGM_RSRC2:TGID_X_EN: 1
; COMPUTE_PGM_RSRC2:TGID_Y_EN: 0
; COMPUTE_PGM_RSRC2:TGID_Z_EN: 0
; COMPUTE_PGM_RSRC2:TIDIG_COMP_CNT: 0
	.section	.text._ZN7rocprim17ROCPRIM_400000_NS6detail17trampoline_kernelINS0_14default_configENS1_36segmented_radix_sort_config_selectorIblEEZNS1_25segmented_radix_sort_implIS3_Lb0EPKbPbPKlPlN2at6native12_GLOBAL__N_18offset_tEEE10hipError_tPvRmT1_PNSt15iterator_traitsISK_E10value_typeET2_T3_PNSL_ISQ_E10value_typeET4_jRbjT5_SW_jjP12ihipStream_tbEUlT_E1_NS1_11comp_targetILNS1_3genE8ELNS1_11target_archE1030ELNS1_3gpuE2ELNS1_3repE0EEENS1_59segmented_radix_sort_warp_sort_small_config_static_selectorELNS0_4arch9wavefront6targetE0EEEvSK_,"axG",@progbits,_ZN7rocprim17ROCPRIM_400000_NS6detail17trampoline_kernelINS0_14default_configENS1_36segmented_radix_sort_config_selectorIblEEZNS1_25segmented_radix_sort_implIS3_Lb0EPKbPbPKlPlN2at6native12_GLOBAL__N_18offset_tEEE10hipError_tPvRmT1_PNSt15iterator_traitsISK_E10value_typeET2_T3_PNSL_ISQ_E10value_typeET4_jRbjT5_SW_jjP12ihipStream_tbEUlT_E1_NS1_11comp_targetILNS1_3genE8ELNS1_11target_archE1030ELNS1_3gpuE2ELNS1_3repE0EEENS1_59segmented_radix_sort_warp_sort_small_config_static_selectorELNS0_4arch9wavefront6targetE0EEEvSK_,comdat
	.globl	_ZN7rocprim17ROCPRIM_400000_NS6detail17trampoline_kernelINS0_14default_configENS1_36segmented_radix_sort_config_selectorIblEEZNS1_25segmented_radix_sort_implIS3_Lb0EPKbPbPKlPlN2at6native12_GLOBAL__N_18offset_tEEE10hipError_tPvRmT1_PNSt15iterator_traitsISK_E10value_typeET2_T3_PNSL_ISQ_E10value_typeET4_jRbjT5_SW_jjP12ihipStream_tbEUlT_E1_NS1_11comp_targetILNS1_3genE8ELNS1_11target_archE1030ELNS1_3gpuE2ELNS1_3repE0EEENS1_59segmented_radix_sort_warp_sort_small_config_static_selectorELNS0_4arch9wavefront6targetE0EEEvSK_ ; -- Begin function _ZN7rocprim17ROCPRIM_400000_NS6detail17trampoline_kernelINS0_14default_configENS1_36segmented_radix_sort_config_selectorIblEEZNS1_25segmented_radix_sort_implIS3_Lb0EPKbPbPKlPlN2at6native12_GLOBAL__N_18offset_tEEE10hipError_tPvRmT1_PNSt15iterator_traitsISK_E10value_typeET2_T3_PNSL_ISQ_E10value_typeET4_jRbjT5_SW_jjP12ihipStream_tbEUlT_E1_NS1_11comp_targetILNS1_3genE8ELNS1_11target_archE1030ELNS1_3gpuE2ELNS1_3repE0EEENS1_59segmented_radix_sort_warp_sort_small_config_static_selectorELNS0_4arch9wavefront6targetE0EEEvSK_
	.p2align	8
	.type	_ZN7rocprim17ROCPRIM_400000_NS6detail17trampoline_kernelINS0_14default_configENS1_36segmented_radix_sort_config_selectorIblEEZNS1_25segmented_radix_sort_implIS3_Lb0EPKbPbPKlPlN2at6native12_GLOBAL__N_18offset_tEEE10hipError_tPvRmT1_PNSt15iterator_traitsISK_E10value_typeET2_T3_PNSL_ISQ_E10value_typeET4_jRbjT5_SW_jjP12ihipStream_tbEUlT_E1_NS1_11comp_targetILNS1_3genE8ELNS1_11target_archE1030ELNS1_3gpuE2ELNS1_3repE0EEENS1_59segmented_radix_sort_warp_sort_small_config_static_selectorELNS0_4arch9wavefront6targetE0EEEvSK_,@function
_ZN7rocprim17ROCPRIM_400000_NS6detail17trampoline_kernelINS0_14default_configENS1_36segmented_radix_sort_config_selectorIblEEZNS1_25segmented_radix_sort_implIS3_Lb0EPKbPbPKlPlN2at6native12_GLOBAL__N_18offset_tEEE10hipError_tPvRmT1_PNSt15iterator_traitsISK_E10value_typeET2_T3_PNSL_ISQ_E10value_typeET4_jRbjT5_SW_jjP12ihipStream_tbEUlT_E1_NS1_11comp_targetILNS1_3genE8ELNS1_11target_archE1030ELNS1_3gpuE2ELNS1_3repE0EEENS1_59segmented_radix_sort_warp_sort_small_config_static_selectorELNS0_4arch9wavefront6targetE0EEEvSK_: ; @_ZN7rocprim17ROCPRIM_400000_NS6detail17trampoline_kernelINS0_14default_configENS1_36segmented_radix_sort_config_selectorIblEEZNS1_25segmented_radix_sort_implIS3_Lb0EPKbPbPKlPlN2at6native12_GLOBAL__N_18offset_tEEE10hipError_tPvRmT1_PNSt15iterator_traitsISK_E10value_typeET2_T3_PNSL_ISQ_E10value_typeET4_jRbjT5_SW_jjP12ihipStream_tbEUlT_E1_NS1_11comp_targetILNS1_3genE8ELNS1_11target_archE1030ELNS1_3gpuE2ELNS1_3repE0EEENS1_59segmented_radix_sort_warp_sort_small_config_static_selectorELNS0_4arch9wavefront6targetE0EEEvSK_
; %bb.0:
	s_add_u32 s0, s0, s8
	s_load_dword s8, s[4:5], 0x64
	s_addc_u32 s1, s1, 0
	s_mov_b32 s32, 0
	s_waitcnt lgkmcnt(0)
	s_lshr_b32 s9, s8, 16
	s_and_b32 s8, s8, 0xffff
	v_mad_u32_u24 v3, v2, s9, v1
	s_load_dword s9, s[4:5], 0x34
	v_mad_u64_u32 v[3:4], null, v3, s8, v[0:1]
	s_mov_b32 s8, exec_lo
	v_lshrrev_b32_e32 v3, 5, v3
	v_lshl_add_u32 v3, s6, 3, v3
	s_waitcnt lgkmcnt(0)
	v_cmpx_gt_u32_e64 s9, v3
	s_cbranch_execz .LBB1654_6
; %bb.1:
	s_clause 0x1
	s_load_dwordx2 s[12:13], s[4:5], 0x38
	s_load_dwordx4 s[8:11], s[4:5], 0x40
	v_mov_b32_e32 v4, 0
	v_lshlrev_b64 v[3:4], 2, v[3:4]
	s_waitcnt lgkmcnt(0)
	v_sub_co_u32 v3, vcc_lo, s12, v3
	v_sub_co_ci_u32_e64 v4, null, s13, v4, vcc_lo
	global_load_dword v3, v[3:4], off offset:-4
	s_waitcnt vmcnt(0)
	v_add_nc_u32_e32 v4, s9, v3
	v_add_nc_u32_e32 v3, s11, v3
	v_mul_lo_u32 v8, v4, s8
	v_mul_lo_u32 v40, v3, s10
	v_cmp_gt_u32_e32 vcc_lo, v40, v8
	s_and_b32 exec_lo, exec_lo, vcc_lo
	s_cbranch_execz .LBB1654_6
; %bb.2:
	s_clause 0x3
	s_load_dword s8, s[4:5], 0x30
	s_load_dwordx4 s[36:39], s[4:5], 0x20
	s_load_dwordx8 s[20:27], s[4:5], 0x0
	s_load_dwordx2 s[28:29], s[4:5], 0x50
	v_lshlrev_b32_e32 v42, 20, v2
	v_lshlrev_b32_e32 v43, 10, v1
	s_waitcnt lgkmcnt(0)
	s_bitcmp0_b32 s8, 0
	s_mov_b32 s8, -1
	s_cbranch_scc0 .LBB1654_4
; %bb.3:
	s_mov_b64 s[10:11], src_shared_base
	v_or3_b32 v31, v0, v43, v42
	v_mov_b32_e32 v41, v0
	v_mov_b32_e32 v0, s20
	;; [unrolled: 1-line block ×14, first 2 shown]
	s_add_u32 s8, s4, 0x58
	s_addc_u32 s9, s5, 0
	s_getpc_b64 s[14:15]
	s_add_u32 s14, s14, _ZN7rocprim17ROCPRIM_400000_NS6detail26segmented_warp_sort_helperINS1_20WarpSortHelperConfigILj32ELj4ELj256EEEblLi256ELb0EvE4sortIPKbPbPKlPlEEvT_T0_T1_T2_jjjjRNS5_12storage_typeE@rel32@lo+4
	s_addc_u32 s15, s15, _ZN7rocprim17ROCPRIM_400000_NS6detail26segmented_warp_sort_helperINS1_20WarpSortHelperConfigILj32ELj4ELj256EEEblLi256ELb0EvE4sortIPKbPbPKlPlEEvT_T0_T1_T2_jjjjRNS5_12storage_typeE@rel32@hi+12
	s_mov_b32 s12, s6
	s_mov_b32 s13, s7
	s_mov_b64 s[22:23], s[4:5]
	s_mov_b32 s19, s7
	s_mov_b32 s33, s6
	s_swappc_b64 s[30:31], s[14:15]
	v_mov_b32_e32 v0, v41
	s_mov_b32 s6, s33
	s_mov_b32 s7, s19
	s_mov_b64 s[4:5], s[22:23]
	s_mov_b32 s8, 0
.LBB1654_4:
	s_andn2_b32 vcc_lo, exec_lo, s8
	s_cbranch_vccnz .LBB1654_6
; %bb.5:
	s_mov_b64 s[10:11], src_shared_base
	v_or3_b32 v31, v0, v43, v42
	v_mov_b32_e32 v0, s20
	v_mov_b32_e32 v1, s21
	;; [unrolled: 1-line block ×13, first 2 shown]
	s_add_u32 s8, s4, 0x58
	s_addc_u32 s9, s5, 0
	s_getpc_b64 s[4:5]
	s_add_u32 s4, s4, _ZN7rocprim17ROCPRIM_400000_NS6detail26segmented_warp_sort_helperINS1_20WarpSortHelperConfigILj32ELj4ELj256EEEblLi256ELb0EvE4sortIPKbPbPKlPlEEvT_T0_T1_T2_jjjjRNS5_12storage_typeE@rel32@lo+4
	s_addc_u32 s5, s5, _ZN7rocprim17ROCPRIM_400000_NS6detail26segmented_warp_sort_helperINS1_20WarpSortHelperConfigILj32ELj4ELj256EEEblLi256ELb0EvE4sortIPKbPbPKlPlEEvT_T0_T1_T2_jjjjRNS5_12storage_typeE@rel32@hi+12
	s_mov_b32 s12, s6
	s_mov_b32 s13, s7
	s_swappc_b64 s[30:31], s[4:5]
.LBB1654_6:
	s_endpgm
	.section	.rodata,"a",@progbits
	.p2align	6, 0x0
	.amdhsa_kernel _ZN7rocprim17ROCPRIM_400000_NS6detail17trampoline_kernelINS0_14default_configENS1_36segmented_radix_sort_config_selectorIblEEZNS1_25segmented_radix_sort_implIS3_Lb0EPKbPbPKlPlN2at6native12_GLOBAL__N_18offset_tEEE10hipError_tPvRmT1_PNSt15iterator_traitsISK_E10value_typeET2_T3_PNSL_ISQ_E10value_typeET4_jRbjT5_SW_jjP12ihipStream_tbEUlT_E1_NS1_11comp_targetILNS1_3genE8ELNS1_11target_archE1030ELNS1_3gpuE2ELNS1_3repE0EEENS1_59segmented_radix_sort_warp_sort_small_config_static_selectorELNS0_4arch9wavefront6targetE0EEEvSK_
		.amdhsa_group_segment_fixed_size 9216
		.amdhsa_private_segment_fixed_size 12
		.amdhsa_kernarg_size 344
		.amdhsa_user_sgpr_count 6
		.amdhsa_user_sgpr_private_segment_buffer 1
		.amdhsa_user_sgpr_dispatch_ptr 0
		.amdhsa_user_sgpr_queue_ptr 0
		.amdhsa_user_sgpr_kernarg_segment_ptr 1
		.amdhsa_user_sgpr_dispatch_id 0
		.amdhsa_user_sgpr_flat_scratch_init 0
		.amdhsa_user_sgpr_private_segment_size 0
		.amdhsa_wavefront_size32 1
		.amdhsa_uses_dynamic_stack 0
		.amdhsa_system_sgpr_private_segment_wavefront_offset 1
		.amdhsa_system_sgpr_workgroup_id_x 1
		.amdhsa_system_sgpr_workgroup_id_y 1
		.amdhsa_system_sgpr_workgroup_id_z 0
		.amdhsa_system_sgpr_workgroup_info 0
		.amdhsa_system_vgpr_workitem_id 2
		.amdhsa_next_free_vgpr 53
		.amdhsa_next_free_sgpr 40
		.amdhsa_reserve_vcc 1
		.amdhsa_reserve_flat_scratch 0
		.amdhsa_float_round_mode_32 0
		.amdhsa_float_round_mode_16_64 0
		.amdhsa_float_denorm_mode_32 3
		.amdhsa_float_denorm_mode_16_64 3
		.amdhsa_dx10_clamp 1
		.amdhsa_ieee_mode 1
		.amdhsa_fp16_overflow 0
		.amdhsa_workgroup_processor_mode 1
		.amdhsa_memory_ordered 1
		.amdhsa_forward_progress 1
		.amdhsa_shared_vgpr_count 0
		.amdhsa_exception_fp_ieee_invalid_op 0
		.amdhsa_exception_fp_denorm_src 0
		.amdhsa_exception_fp_ieee_div_zero 0
		.amdhsa_exception_fp_ieee_overflow 0
		.amdhsa_exception_fp_ieee_underflow 0
		.amdhsa_exception_fp_ieee_inexact 0
		.amdhsa_exception_int_div_zero 0
	.end_amdhsa_kernel
	.section	.text._ZN7rocprim17ROCPRIM_400000_NS6detail17trampoline_kernelINS0_14default_configENS1_36segmented_radix_sort_config_selectorIblEEZNS1_25segmented_radix_sort_implIS3_Lb0EPKbPbPKlPlN2at6native12_GLOBAL__N_18offset_tEEE10hipError_tPvRmT1_PNSt15iterator_traitsISK_E10value_typeET2_T3_PNSL_ISQ_E10value_typeET4_jRbjT5_SW_jjP12ihipStream_tbEUlT_E1_NS1_11comp_targetILNS1_3genE8ELNS1_11target_archE1030ELNS1_3gpuE2ELNS1_3repE0EEENS1_59segmented_radix_sort_warp_sort_small_config_static_selectorELNS0_4arch9wavefront6targetE0EEEvSK_,"axG",@progbits,_ZN7rocprim17ROCPRIM_400000_NS6detail17trampoline_kernelINS0_14default_configENS1_36segmented_radix_sort_config_selectorIblEEZNS1_25segmented_radix_sort_implIS3_Lb0EPKbPbPKlPlN2at6native12_GLOBAL__N_18offset_tEEE10hipError_tPvRmT1_PNSt15iterator_traitsISK_E10value_typeET2_T3_PNSL_ISQ_E10value_typeET4_jRbjT5_SW_jjP12ihipStream_tbEUlT_E1_NS1_11comp_targetILNS1_3genE8ELNS1_11target_archE1030ELNS1_3gpuE2ELNS1_3repE0EEENS1_59segmented_radix_sort_warp_sort_small_config_static_selectorELNS0_4arch9wavefront6targetE0EEEvSK_,comdat
.Lfunc_end1654:
	.size	_ZN7rocprim17ROCPRIM_400000_NS6detail17trampoline_kernelINS0_14default_configENS1_36segmented_radix_sort_config_selectorIblEEZNS1_25segmented_radix_sort_implIS3_Lb0EPKbPbPKlPlN2at6native12_GLOBAL__N_18offset_tEEE10hipError_tPvRmT1_PNSt15iterator_traitsISK_E10value_typeET2_T3_PNSL_ISQ_E10value_typeET4_jRbjT5_SW_jjP12ihipStream_tbEUlT_E1_NS1_11comp_targetILNS1_3genE8ELNS1_11target_archE1030ELNS1_3gpuE2ELNS1_3repE0EEENS1_59segmented_radix_sort_warp_sort_small_config_static_selectorELNS0_4arch9wavefront6targetE0EEEvSK_, .Lfunc_end1654-_ZN7rocprim17ROCPRIM_400000_NS6detail17trampoline_kernelINS0_14default_configENS1_36segmented_radix_sort_config_selectorIblEEZNS1_25segmented_radix_sort_implIS3_Lb0EPKbPbPKlPlN2at6native12_GLOBAL__N_18offset_tEEE10hipError_tPvRmT1_PNSt15iterator_traitsISK_E10value_typeET2_T3_PNSL_ISQ_E10value_typeET4_jRbjT5_SW_jjP12ihipStream_tbEUlT_E1_NS1_11comp_targetILNS1_3genE8ELNS1_11target_archE1030ELNS1_3gpuE2ELNS1_3repE0EEENS1_59segmented_radix_sort_warp_sort_small_config_static_selectorELNS0_4arch9wavefront6targetE0EEEvSK_
                                        ; -- End function
	.set _ZN7rocprim17ROCPRIM_400000_NS6detail17trampoline_kernelINS0_14default_configENS1_36segmented_radix_sort_config_selectorIblEEZNS1_25segmented_radix_sort_implIS3_Lb0EPKbPbPKlPlN2at6native12_GLOBAL__N_18offset_tEEE10hipError_tPvRmT1_PNSt15iterator_traitsISK_E10value_typeET2_T3_PNSL_ISQ_E10value_typeET4_jRbjT5_SW_jjP12ihipStream_tbEUlT_E1_NS1_11comp_targetILNS1_3genE8ELNS1_11target_archE1030ELNS1_3gpuE2ELNS1_3repE0EEENS1_59segmented_radix_sort_warp_sort_small_config_static_selectorELNS0_4arch9wavefront6targetE0EEEvSK_.num_vgpr, max(44, .L_ZN7rocprim17ROCPRIM_400000_NS6detail26segmented_warp_sort_helperINS1_20WarpSortHelperConfigILj32ELj4ELj256EEEblLi256ELb0EvE4sortIPKbPbPKlPlEEvT_T0_T1_T2_jjjjRNS5_12storage_typeE.num_vgpr)
	.set _ZN7rocprim17ROCPRIM_400000_NS6detail17trampoline_kernelINS0_14default_configENS1_36segmented_radix_sort_config_selectorIblEEZNS1_25segmented_radix_sort_implIS3_Lb0EPKbPbPKlPlN2at6native12_GLOBAL__N_18offset_tEEE10hipError_tPvRmT1_PNSt15iterator_traitsISK_E10value_typeET2_T3_PNSL_ISQ_E10value_typeET4_jRbjT5_SW_jjP12ihipStream_tbEUlT_E1_NS1_11comp_targetILNS1_3genE8ELNS1_11target_archE1030ELNS1_3gpuE2ELNS1_3repE0EEENS1_59segmented_radix_sort_warp_sort_small_config_static_selectorELNS0_4arch9wavefront6targetE0EEEvSK_.num_agpr, max(0, .L_ZN7rocprim17ROCPRIM_400000_NS6detail26segmented_warp_sort_helperINS1_20WarpSortHelperConfigILj32ELj4ELj256EEEblLi256ELb0EvE4sortIPKbPbPKlPlEEvT_T0_T1_T2_jjjjRNS5_12storage_typeE.num_agpr)
	.set _ZN7rocprim17ROCPRIM_400000_NS6detail17trampoline_kernelINS0_14default_configENS1_36segmented_radix_sort_config_selectorIblEEZNS1_25segmented_radix_sort_implIS3_Lb0EPKbPbPKlPlN2at6native12_GLOBAL__N_18offset_tEEE10hipError_tPvRmT1_PNSt15iterator_traitsISK_E10value_typeET2_T3_PNSL_ISQ_E10value_typeET4_jRbjT5_SW_jjP12ihipStream_tbEUlT_E1_NS1_11comp_targetILNS1_3genE8ELNS1_11target_archE1030ELNS1_3gpuE2ELNS1_3repE0EEENS1_59segmented_radix_sort_warp_sort_small_config_static_selectorELNS0_4arch9wavefront6targetE0EEEvSK_.numbered_sgpr, max(40, .L_ZN7rocprim17ROCPRIM_400000_NS6detail26segmented_warp_sort_helperINS1_20WarpSortHelperConfigILj32ELj4ELj256EEEblLi256ELb0EvE4sortIPKbPbPKlPlEEvT_T0_T1_T2_jjjjRNS5_12storage_typeE.numbered_sgpr)
	.set _ZN7rocprim17ROCPRIM_400000_NS6detail17trampoline_kernelINS0_14default_configENS1_36segmented_radix_sort_config_selectorIblEEZNS1_25segmented_radix_sort_implIS3_Lb0EPKbPbPKlPlN2at6native12_GLOBAL__N_18offset_tEEE10hipError_tPvRmT1_PNSt15iterator_traitsISK_E10value_typeET2_T3_PNSL_ISQ_E10value_typeET4_jRbjT5_SW_jjP12ihipStream_tbEUlT_E1_NS1_11comp_targetILNS1_3genE8ELNS1_11target_archE1030ELNS1_3gpuE2ELNS1_3repE0EEENS1_59segmented_radix_sort_warp_sort_small_config_static_selectorELNS0_4arch9wavefront6targetE0EEEvSK_.num_named_barrier, max(0, .L_ZN7rocprim17ROCPRIM_400000_NS6detail26segmented_warp_sort_helperINS1_20WarpSortHelperConfigILj32ELj4ELj256EEEblLi256ELb0EvE4sortIPKbPbPKlPlEEvT_T0_T1_T2_jjjjRNS5_12storage_typeE.num_named_barrier)
	.set _ZN7rocprim17ROCPRIM_400000_NS6detail17trampoline_kernelINS0_14default_configENS1_36segmented_radix_sort_config_selectorIblEEZNS1_25segmented_radix_sort_implIS3_Lb0EPKbPbPKlPlN2at6native12_GLOBAL__N_18offset_tEEE10hipError_tPvRmT1_PNSt15iterator_traitsISK_E10value_typeET2_T3_PNSL_ISQ_E10value_typeET4_jRbjT5_SW_jjP12ihipStream_tbEUlT_E1_NS1_11comp_targetILNS1_3genE8ELNS1_11target_archE1030ELNS1_3gpuE2ELNS1_3repE0EEENS1_59segmented_radix_sort_warp_sort_small_config_static_selectorELNS0_4arch9wavefront6targetE0EEEvSK_.private_seg_size, 0+max(.L_ZN7rocprim17ROCPRIM_400000_NS6detail26segmented_warp_sort_helperINS1_20WarpSortHelperConfigILj32ELj4ELj256EEEblLi256ELb0EvE4sortIPKbPbPKlPlEEvT_T0_T1_T2_jjjjRNS5_12storage_typeE.private_seg_size)
	.set _ZN7rocprim17ROCPRIM_400000_NS6detail17trampoline_kernelINS0_14default_configENS1_36segmented_radix_sort_config_selectorIblEEZNS1_25segmented_radix_sort_implIS3_Lb0EPKbPbPKlPlN2at6native12_GLOBAL__N_18offset_tEEE10hipError_tPvRmT1_PNSt15iterator_traitsISK_E10value_typeET2_T3_PNSL_ISQ_E10value_typeET4_jRbjT5_SW_jjP12ihipStream_tbEUlT_E1_NS1_11comp_targetILNS1_3genE8ELNS1_11target_archE1030ELNS1_3gpuE2ELNS1_3repE0EEENS1_59segmented_radix_sort_warp_sort_small_config_static_selectorELNS0_4arch9wavefront6targetE0EEEvSK_.uses_vcc, or(1, .L_ZN7rocprim17ROCPRIM_400000_NS6detail26segmented_warp_sort_helperINS1_20WarpSortHelperConfigILj32ELj4ELj256EEEblLi256ELb0EvE4sortIPKbPbPKlPlEEvT_T0_T1_T2_jjjjRNS5_12storage_typeE.uses_vcc)
	.set _ZN7rocprim17ROCPRIM_400000_NS6detail17trampoline_kernelINS0_14default_configENS1_36segmented_radix_sort_config_selectorIblEEZNS1_25segmented_radix_sort_implIS3_Lb0EPKbPbPKlPlN2at6native12_GLOBAL__N_18offset_tEEE10hipError_tPvRmT1_PNSt15iterator_traitsISK_E10value_typeET2_T3_PNSL_ISQ_E10value_typeET4_jRbjT5_SW_jjP12ihipStream_tbEUlT_E1_NS1_11comp_targetILNS1_3genE8ELNS1_11target_archE1030ELNS1_3gpuE2ELNS1_3repE0EEENS1_59segmented_radix_sort_warp_sort_small_config_static_selectorELNS0_4arch9wavefront6targetE0EEEvSK_.uses_flat_scratch, or(0, .L_ZN7rocprim17ROCPRIM_400000_NS6detail26segmented_warp_sort_helperINS1_20WarpSortHelperConfigILj32ELj4ELj256EEEblLi256ELb0EvE4sortIPKbPbPKlPlEEvT_T0_T1_T2_jjjjRNS5_12storage_typeE.uses_flat_scratch)
	.set _ZN7rocprim17ROCPRIM_400000_NS6detail17trampoline_kernelINS0_14default_configENS1_36segmented_radix_sort_config_selectorIblEEZNS1_25segmented_radix_sort_implIS3_Lb0EPKbPbPKlPlN2at6native12_GLOBAL__N_18offset_tEEE10hipError_tPvRmT1_PNSt15iterator_traitsISK_E10value_typeET2_T3_PNSL_ISQ_E10value_typeET4_jRbjT5_SW_jjP12ihipStream_tbEUlT_E1_NS1_11comp_targetILNS1_3genE8ELNS1_11target_archE1030ELNS1_3gpuE2ELNS1_3repE0EEENS1_59segmented_radix_sort_warp_sort_small_config_static_selectorELNS0_4arch9wavefront6targetE0EEEvSK_.has_dyn_sized_stack, or(0, .L_ZN7rocprim17ROCPRIM_400000_NS6detail26segmented_warp_sort_helperINS1_20WarpSortHelperConfigILj32ELj4ELj256EEEblLi256ELb0EvE4sortIPKbPbPKlPlEEvT_T0_T1_T2_jjjjRNS5_12storage_typeE.has_dyn_sized_stack)
	.set _ZN7rocprim17ROCPRIM_400000_NS6detail17trampoline_kernelINS0_14default_configENS1_36segmented_radix_sort_config_selectorIblEEZNS1_25segmented_radix_sort_implIS3_Lb0EPKbPbPKlPlN2at6native12_GLOBAL__N_18offset_tEEE10hipError_tPvRmT1_PNSt15iterator_traitsISK_E10value_typeET2_T3_PNSL_ISQ_E10value_typeET4_jRbjT5_SW_jjP12ihipStream_tbEUlT_E1_NS1_11comp_targetILNS1_3genE8ELNS1_11target_archE1030ELNS1_3gpuE2ELNS1_3repE0EEENS1_59segmented_radix_sort_warp_sort_small_config_static_selectorELNS0_4arch9wavefront6targetE0EEEvSK_.has_recursion, or(0, .L_ZN7rocprim17ROCPRIM_400000_NS6detail26segmented_warp_sort_helperINS1_20WarpSortHelperConfigILj32ELj4ELj256EEEblLi256ELb0EvE4sortIPKbPbPKlPlEEvT_T0_T1_T2_jjjjRNS5_12storage_typeE.has_recursion)
	.set _ZN7rocprim17ROCPRIM_400000_NS6detail17trampoline_kernelINS0_14default_configENS1_36segmented_radix_sort_config_selectorIblEEZNS1_25segmented_radix_sort_implIS3_Lb0EPKbPbPKlPlN2at6native12_GLOBAL__N_18offset_tEEE10hipError_tPvRmT1_PNSt15iterator_traitsISK_E10value_typeET2_T3_PNSL_ISQ_E10value_typeET4_jRbjT5_SW_jjP12ihipStream_tbEUlT_E1_NS1_11comp_targetILNS1_3genE8ELNS1_11target_archE1030ELNS1_3gpuE2ELNS1_3repE0EEENS1_59segmented_radix_sort_warp_sort_small_config_static_selectorELNS0_4arch9wavefront6targetE0EEEvSK_.has_indirect_call, or(0, .L_ZN7rocprim17ROCPRIM_400000_NS6detail26segmented_warp_sort_helperINS1_20WarpSortHelperConfigILj32ELj4ELj256EEEblLi256ELb0EvE4sortIPKbPbPKlPlEEvT_T0_T1_T2_jjjjRNS5_12storage_typeE.has_indirect_call)
	.section	.AMDGPU.csdata,"",@progbits
; Kernel info:
; codeLenInByte = 516
; TotalNumSgprs: 42
; NumVgprs: 53
; ScratchSize: 12
; MemoryBound: 0
; FloatMode: 240
; IeeeMode: 1
; LDSByteSize: 9216 bytes/workgroup (compile time only)
; SGPRBlocks: 0
; VGPRBlocks: 6
; NumSGPRsForWavesPerEU: 42
; NumVGPRsForWavesPerEU: 53
; Occupancy: 16
; WaveLimiterHint : 0
; COMPUTE_PGM_RSRC2:SCRATCH_EN: 1
; COMPUTE_PGM_RSRC2:USER_SGPR: 6
; COMPUTE_PGM_RSRC2:TRAP_HANDLER: 0
; COMPUTE_PGM_RSRC2:TGID_X_EN: 1
; COMPUTE_PGM_RSRC2:TGID_Y_EN: 1
; COMPUTE_PGM_RSRC2:TGID_Z_EN: 0
; COMPUTE_PGM_RSRC2:TIDIG_COMP_CNT: 2
	.section	.text._ZN7rocprim17ROCPRIM_400000_NS6detail17trampoline_kernelINS0_14default_configENS1_36segmented_radix_sort_config_selectorIblEEZNS1_25segmented_radix_sort_implIS3_Lb0EPKbPbPKlPlN2at6native12_GLOBAL__N_18offset_tEEE10hipError_tPvRmT1_PNSt15iterator_traitsISK_E10value_typeET2_T3_PNSL_ISQ_E10value_typeET4_jRbjT5_SW_jjP12ihipStream_tbEUlT_E2_NS1_11comp_targetILNS1_3genE0ELNS1_11target_archE4294967295ELNS1_3gpuE0ELNS1_3repE0EEENS1_30default_config_static_selectorELNS0_4arch9wavefront6targetE0EEEvSK_,"axG",@progbits,_ZN7rocprim17ROCPRIM_400000_NS6detail17trampoline_kernelINS0_14default_configENS1_36segmented_radix_sort_config_selectorIblEEZNS1_25segmented_radix_sort_implIS3_Lb0EPKbPbPKlPlN2at6native12_GLOBAL__N_18offset_tEEE10hipError_tPvRmT1_PNSt15iterator_traitsISK_E10value_typeET2_T3_PNSL_ISQ_E10value_typeET4_jRbjT5_SW_jjP12ihipStream_tbEUlT_E2_NS1_11comp_targetILNS1_3genE0ELNS1_11target_archE4294967295ELNS1_3gpuE0ELNS1_3repE0EEENS1_30default_config_static_selectorELNS0_4arch9wavefront6targetE0EEEvSK_,comdat
	.globl	_ZN7rocprim17ROCPRIM_400000_NS6detail17trampoline_kernelINS0_14default_configENS1_36segmented_radix_sort_config_selectorIblEEZNS1_25segmented_radix_sort_implIS3_Lb0EPKbPbPKlPlN2at6native12_GLOBAL__N_18offset_tEEE10hipError_tPvRmT1_PNSt15iterator_traitsISK_E10value_typeET2_T3_PNSL_ISQ_E10value_typeET4_jRbjT5_SW_jjP12ihipStream_tbEUlT_E2_NS1_11comp_targetILNS1_3genE0ELNS1_11target_archE4294967295ELNS1_3gpuE0ELNS1_3repE0EEENS1_30default_config_static_selectorELNS0_4arch9wavefront6targetE0EEEvSK_ ; -- Begin function _ZN7rocprim17ROCPRIM_400000_NS6detail17trampoline_kernelINS0_14default_configENS1_36segmented_radix_sort_config_selectorIblEEZNS1_25segmented_radix_sort_implIS3_Lb0EPKbPbPKlPlN2at6native12_GLOBAL__N_18offset_tEEE10hipError_tPvRmT1_PNSt15iterator_traitsISK_E10value_typeET2_T3_PNSL_ISQ_E10value_typeET4_jRbjT5_SW_jjP12ihipStream_tbEUlT_E2_NS1_11comp_targetILNS1_3genE0ELNS1_11target_archE4294967295ELNS1_3gpuE0ELNS1_3repE0EEENS1_30default_config_static_selectorELNS0_4arch9wavefront6targetE0EEEvSK_
	.p2align	8
	.type	_ZN7rocprim17ROCPRIM_400000_NS6detail17trampoline_kernelINS0_14default_configENS1_36segmented_radix_sort_config_selectorIblEEZNS1_25segmented_radix_sort_implIS3_Lb0EPKbPbPKlPlN2at6native12_GLOBAL__N_18offset_tEEE10hipError_tPvRmT1_PNSt15iterator_traitsISK_E10value_typeET2_T3_PNSL_ISQ_E10value_typeET4_jRbjT5_SW_jjP12ihipStream_tbEUlT_E2_NS1_11comp_targetILNS1_3genE0ELNS1_11target_archE4294967295ELNS1_3gpuE0ELNS1_3repE0EEENS1_30default_config_static_selectorELNS0_4arch9wavefront6targetE0EEEvSK_,@function
_ZN7rocprim17ROCPRIM_400000_NS6detail17trampoline_kernelINS0_14default_configENS1_36segmented_radix_sort_config_selectorIblEEZNS1_25segmented_radix_sort_implIS3_Lb0EPKbPbPKlPlN2at6native12_GLOBAL__N_18offset_tEEE10hipError_tPvRmT1_PNSt15iterator_traitsISK_E10value_typeET2_T3_PNSL_ISQ_E10value_typeET4_jRbjT5_SW_jjP12ihipStream_tbEUlT_E2_NS1_11comp_targetILNS1_3genE0ELNS1_11target_archE4294967295ELNS1_3gpuE0ELNS1_3repE0EEENS1_30default_config_static_selectorELNS0_4arch9wavefront6targetE0EEEvSK_: ; @_ZN7rocprim17ROCPRIM_400000_NS6detail17trampoline_kernelINS0_14default_configENS1_36segmented_radix_sort_config_selectorIblEEZNS1_25segmented_radix_sort_implIS3_Lb0EPKbPbPKlPlN2at6native12_GLOBAL__N_18offset_tEEE10hipError_tPvRmT1_PNSt15iterator_traitsISK_E10value_typeET2_T3_PNSL_ISQ_E10value_typeET4_jRbjT5_SW_jjP12ihipStream_tbEUlT_E2_NS1_11comp_targetILNS1_3genE0ELNS1_11target_archE4294967295ELNS1_3gpuE0ELNS1_3repE0EEENS1_30default_config_static_selectorELNS0_4arch9wavefront6targetE0EEEvSK_
; %bb.0:
	.section	.rodata,"a",@progbits
	.p2align	6, 0x0
	.amdhsa_kernel _ZN7rocprim17ROCPRIM_400000_NS6detail17trampoline_kernelINS0_14default_configENS1_36segmented_radix_sort_config_selectorIblEEZNS1_25segmented_radix_sort_implIS3_Lb0EPKbPbPKlPlN2at6native12_GLOBAL__N_18offset_tEEE10hipError_tPvRmT1_PNSt15iterator_traitsISK_E10value_typeET2_T3_PNSL_ISQ_E10value_typeET4_jRbjT5_SW_jjP12ihipStream_tbEUlT_E2_NS1_11comp_targetILNS1_3genE0ELNS1_11target_archE4294967295ELNS1_3gpuE0ELNS1_3repE0EEENS1_30default_config_static_selectorELNS0_4arch9wavefront6targetE0EEEvSK_
		.amdhsa_group_segment_fixed_size 0
		.amdhsa_private_segment_fixed_size 0
		.amdhsa_kernarg_size 80
		.amdhsa_user_sgpr_count 6
		.amdhsa_user_sgpr_private_segment_buffer 1
		.amdhsa_user_sgpr_dispatch_ptr 0
		.amdhsa_user_sgpr_queue_ptr 0
		.amdhsa_user_sgpr_kernarg_segment_ptr 1
		.amdhsa_user_sgpr_dispatch_id 0
		.amdhsa_user_sgpr_flat_scratch_init 0
		.amdhsa_user_sgpr_private_segment_size 0
		.amdhsa_wavefront_size32 1
		.amdhsa_uses_dynamic_stack 0
		.amdhsa_system_sgpr_private_segment_wavefront_offset 0
		.amdhsa_system_sgpr_workgroup_id_x 1
		.amdhsa_system_sgpr_workgroup_id_y 0
		.amdhsa_system_sgpr_workgroup_id_z 0
		.amdhsa_system_sgpr_workgroup_info 0
		.amdhsa_system_vgpr_workitem_id 0
		.amdhsa_next_free_vgpr 1
		.amdhsa_next_free_sgpr 1
		.amdhsa_reserve_vcc 0
		.amdhsa_reserve_flat_scratch 0
		.amdhsa_float_round_mode_32 0
		.amdhsa_float_round_mode_16_64 0
		.amdhsa_float_denorm_mode_32 3
		.amdhsa_float_denorm_mode_16_64 3
		.amdhsa_dx10_clamp 1
		.amdhsa_ieee_mode 1
		.amdhsa_fp16_overflow 0
		.amdhsa_workgroup_processor_mode 1
		.amdhsa_memory_ordered 1
		.amdhsa_forward_progress 1
		.amdhsa_shared_vgpr_count 0
		.amdhsa_exception_fp_ieee_invalid_op 0
		.amdhsa_exception_fp_denorm_src 0
		.amdhsa_exception_fp_ieee_div_zero 0
		.amdhsa_exception_fp_ieee_overflow 0
		.amdhsa_exception_fp_ieee_underflow 0
		.amdhsa_exception_fp_ieee_inexact 0
		.amdhsa_exception_int_div_zero 0
	.end_amdhsa_kernel
	.section	.text._ZN7rocprim17ROCPRIM_400000_NS6detail17trampoline_kernelINS0_14default_configENS1_36segmented_radix_sort_config_selectorIblEEZNS1_25segmented_radix_sort_implIS3_Lb0EPKbPbPKlPlN2at6native12_GLOBAL__N_18offset_tEEE10hipError_tPvRmT1_PNSt15iterator_traitsISK_E10value_typeET2_T3_PNSL_ISQ_E10value_typeET4_jRbjT5_SW_jjP12ihipStream_tbEUlT_E2_NS1_11comp_targetILNS1_3genE0ELNS1_11target_archE4294967295ELNS1_3gpuE0ELNS1_3repE0EEENS1_30default_config_static_selectorELNS0_4arch9wavefront6targetE0EEEvSK_,"axG",@progbits,_ZN7rocprim17ROCPRIM_400000_NS6detail17trampoline_kernelINS0_14default_configENS1_36segmented_radix_sort_config_selectorIblEEZNS1_25segmented_radix_sort_implIS3_Lb0EPKbPbPKlPlN2at6native12_GLOBAL__N_18offset_tEEE10hipError_tPvRmT1_PNSt15iterator_traitsISK_E10value_typeET2_T3_PNSL_ISQ_E10value_typeET4_jRbjT5_SW_jjP12ihipStream_tbEUlT_E2_NS1_11comp_targetILNS1_3genE0ELNS1_11target_archE4294967295ELNS1_3gpuE0ELNS1_3repE0EEENS1_30default_config_static_selectorELNS0_4arch9wavefront6targetE0EEEvSK_,comdat
.Lfunc_end1655:
	.size	_ZN7rocprim17ROCPRIM_400000_NS6detail17trampoline_kernelINS0_14default_configENS1_36segmented_radix_sort_config_selectorIblEEZNS1_25segmented_radix_sort_implIS3_Lb0EPKbPbPKlPlN2at6native12_GLOBAL__N_18offset_tEEE10hipError_tPvRmT1_PNSt15iterator_traitsISK_E10value_typeET2_T3_PNSL_ISQ_E10value_typeET4_jRbjT5_SW_jjP12ihipStream_tbEUlT_E2_NS1_11comp_targetILNS1_3genE0ELNS1_11target_archE4294967295ELNS1_3gpuE0ELNS1_3repE0EEENS1_30default_config_static_selectorELNS0_4arch9wavefront6targetE0EEEvSK_, .Lfunc_end1655-_ZN7rocprim17ROCPRIM_400000_NS6detail17trampoline_kernelINS0_14default_configENS1_36segmented_radix_sort_config_selectorIblEEZNS1_25segmented_radix_sort_implIS3_Lb0EPKbPbPKlPlN2at6native12_GLOBAL__N_18offset_tEEE10hipError_tPvRmT1_PNSt15iterator_traitsISK_E10value_typeET2_T3_PNSL_ISQ_E10value_typeET4_jRbjT5_SW_jjP12ihipStream_tbEUlT_E2_NS1_11comp_targetILNS1_3genE0ELNS1_11target_archE4294967295ELNS1_3gpuE0ELNS1_3repE0EEENS1_30default_config_static_selectorELNS0_4arch9wavefront6targetE0EEEvSK_
                                        ; -- End function
	.set _ZN7rocprim17ROCPRIM_400000_NS6detail17trampoline_kernelINS0_14default_configENS1_36segmented_radix_sort_config_selectorIblEEZNS1_25segmented_radix_sort_implIS3_Lb0EPKbPbPKlPlN2at6native12_GLOBAL__N_18offset_tEEE10hipError_tPvRmT1_PNSt15iterator_traitsISK_E10value_typeET2_T3_PNSL_ISQ_E10value_typeET4_jRbjT5_SW_jjP12ihipStream_tbEUlT_E2_NS1_11comp_targetILNS1_3genE0ELNS1_11target_archE4294967295ELNS1_3gpuE0ELNS1_3repE0EEENS1_30default_config_static_selectorELNS0_4arch9wavefront6targetE0EEEvSK_.num_vgpr, 0
	.set _ZN7rocprim17ROCPRIM_400000_NS6detail17trampoline_kernelINS0_14default_configENS1_36segmented_radix_sort_config_selectorIblEEZNS1_25segmented_radix_sort_implIS3_Lb0EPKbPbPKlPlN2at6native12_GLOBAL__N_18offset_tEEE10hipError_tPvRmT1_PNSt15iterator_traitsISK_E10value_typeET2_T3_PNSL_ISQ_E10value_typeET4_jRbjT5_SW_jjP12ihipStream_tbEUlT_E2_NS1_11comp_targetILNS1_3genE0ELNS1_11target_archE4294967295ELNS1_3gpuE0ELNS1_3repE0EEENS1_30default_config_static_selectorELNS0_4arch9wavefront6targetE0EEEvSK_.num_agpr, 0
	.set _ZN7rocprim17ROCPRIM_400000_NS6detail17trampoline_kernelINS0_14default_configENS1_36segmented_radix_sort_config_selectorIblEEZNS1_25segmented_radix_sort_implIS3_Lb0EPKbPbPKlPlN2at6native12_GLOBAL__N_18offset_tEEE10hipError_tPvRmT1_PNSt15iterator_traitsISK_E10value_typeET2_T3_PNSL_ISQ_E10value_typeET4_jRbjT5_SW_jjP12ihipStream_tbEUlT_E2_NS1_11comp_targetILNS1_3genE0ELNS1_11target_archE4294967295ELNS1_3gpuE0ELNS1_3repE0EEENS1_30default_config_static_selectorELNS0_4arch9wavefront6targetE0EEEvSK_.numbered_sgpr, 0
	.set _ZN7rocprim17ROCPRIM_400000_NS6detail17trampoline_kernelINS0_14default_configENS1_36segmented_radix_sort_config_selectorIblEEZNS1_25segmented_radix_sort_implIS3_Lb0EPKbPbPKlPlN2at6native12_GLOBAL__N_18offset_tEEE10hipError_tPvRmT1_PNSt15iterator_traitsISK_E10value_typeET2_T3_PNSL_ISQ_E10value_typeET4_jRbjT5_SW_jjP12ihipStream_tbEUlT_E2_NS1_11comp_targetILNS1_3genE0ELNS1_11target_archE4294967295ELNS1_3gpuE0ELNS1_3repE0EEENS1_30default_config_static_selectorELNS0_4arch9wavefront6targetE0EEEvSK_.num_named_barrier, 0
	.set _ZN7rocprim17ROCPRIM_400000_NS6detail17trampoline_kernelINS0_14default_configENS1_36segmented_radix_sort_config_selectorIblEEZNS1_25segmented_radix_sort_implIS3_Lb0EPKbPbPKlPlN2at6native12_GLOBAL__N_18offset_tEEE10hipError_tPvRmT1_PNSt15iterator_traitsISK_E10value_typeET2_T3_PNSL_ISQ_E10value_typeET4_jRbjT5_SW_jjP12ihipStream_tbEUlT_E2_NS1_11comp_targetILNS1_3genE0ELNS1_11target_archE4294967295ELNS1_3gpuE0ELNS1_3repE0EEENS1_30default_config_static_selectorELNS0_4arch9wavefront6targetE0EEEvSK_.private_seg_size, 0
	.set _ZN7rocprim17ROCPRIM_400000_NS6detail17trampoline_kernelINS0_14default_configENS1_36segmented_radix_sort_config_selectorIblEEZNS1_25segmented_radix_sort_implIS3_Lb0EPKbPbPKlPlN2at6native12_GLOBAL__N_18offset_tEEE10hipError_tPvRmT1_PNSt15iterator_traitsISK_E10value_typeET2_T3_PNSL_ISQ_E10value_typeET4_jRbjT5_SW_jjP12ihipStream_tbEUlT_E2_NS1_11comp_targetILNS1_3genE0ELNS1_11target_archE4294967295ELNS1_3gpuE0ELNS1_3repE0EEENS1_30default_config_static_selectorELNS0_4arch9wavefront6targetE0EEEvSK_.uses_vcc, 0
	.set _ZN7rocprim17ROCPRIM_400000_NS6detail17trampoline_kernelINS0_14default_configENS1_36segmented_radix_sort_config_selectorIblEEZNS1_25segmented_radix_sort_implIS3_Lb0EPKbPbPKlPlN2at6native12_GLOBAL__N_18offset_tEEE10hipError_tPvRmT1_PNSt15iterator_traitsISK_E10value_typeET2_T3_PNSL_ISQ_E10value_typeET4_jRbjT5_SW_jjP12ihipStream_tbEUlT_E2_NS1_11comp_targetILNS1_3genE0ELNS1_11target_archE4294967295ELNS1_3gpuE0ELNS1_3repE0EEENS1_30default_config_static_selectorELNS0_4arch9wavefront6targetE0EEEvSK_.uses_flat_scratch, 0
	.set _ZN7rocprim17ROCPRIM_400000_NS6detail17trampoline_kernelINS0_14default_configENS1_36segmented_radix_sort_config_selectorIblEEZNS1_25segmented_radix_sort_implIS3_Lb0EPKbPbPKlPlN2at6native12_GLOBAL__N_18offset_tEEE10hipError_tPvRmT1_PNSt15iterator_traitsISK_E10value_typeET2_T3_PNSL_ISQ_E10value_typeET4_jRbjT5_SW_jjP12ihipStream_tbEUlT_E2_NS1_11comp_targetILNS1_3genE0ELNS1_11target_archE4294967295ELNS1_3gpuE0ELNS1_3repE0EEENS1_30default_config_static_selectorELNS0_4arch9wavefront6targetE0EEEvSK_.has_dyn_sized_stack, 0
	.set _ZN7rocprim17ROCPRIM_400000_NS6detail17trampoline_kernelINS0_14default_configENS1_36segmented_radix_sort_config_selectorIblEEZNS1_25segmented_radix_sort_implIS3_Lb0EPKbPbPKlPlN2at6native12_GLOBAL__N_18offset_tEEE10hipError_tPvRmT1_PNSt15iterator_traitsISK_E10value_typeET2_T3_PNSL_ISQ_E10value_typeET4_jRbjT5_SW_jjP12ihipStream_tbEUlT_E2_NS1_11comp_targetILNS1_3genE0ELNS1_11target_archE4294967295ELNS1_3gpuE0ELNS1_3repE0EEENS1_30default_config_static_selectorELNS0_4arch9wavefront6targetE0EEEvSK_.has_recursion, 0
	.set _ZN7rocprim17ROCPRIM_400000_NS6detail17trampoline_kernelINS0_14default_configENS1_36segmented_radix_sort_config_selectorIblEEZNS1_25segmented_radix_sort_implIS3_Lb0EPKbPbPKlPlN2at6native12_GLOBAL__N_18offset_tEEE10hipError_tPvRmT1_PNSt15iterator_traitsISK_E10value_typeET2_T3_PNSL_ISQ_E10value_typeET4_jRbjT5_SW_jjP12ihipStream_tbEUlT_E2_NS1_11comp_targetILNS1_3genE0ELNS1_11target_archE4294967295ELNS1_3gpuE0ELNS1_3repE0EEENS1_30default_config_static_selectorELNS0_4arch9wavefront6targetE0EEEvSK_.has_indirect_call, 0
	.section	.AMDGPU.csdata,"",@progbits
; Kernel info:
; codeLenInByte = 0
; TotalNumSgprs: 0
; NumVgprs: 0
; ScratchSize: 0
; MemoryBound: 0
; FloatMode: 240
; IeeeMode: 1
; LDSByteSize: 0 bytes/workgroup (compile time only)
; SGPRBlocks: 0
; VGPRBlocks: 0
; NumSGPRsForWavesPerEU: 1
; NumVGPRsForWavesPerEU: 1
; Occupancy: 16
; WaveLimiterHint : 0
; COMPUTE_PGM_RSRC2:SCRATCH_EN: 0
; COMPUTE_PGM_RSRC2:USER_SGPR: 6
; COMPUTE_PGM_RSRC2:TRAP_HANDLER: 0
; COMPUTE_PGM_RSRC2:TGID_X_EN: 1
; COMPUTE_PGM_RSRC2:TGID_Y_EN: 0
; COMPUTE_PGM_RSRC2:TGID_Z_EN: 0
; COMPUTE_PGM_RSRC2:TIDIG_COMP_CNT: 0
	.section	.text._ZN7rocprim17ROCPRIM_400000_NS6detail17trampoline_kernelINS0_14default_configENS1_36segmented_radix_sort_config_selectorIblEEZNS1_25segmented_radix_sort_implIS3_Lb0EPKbPbPKlPlN2at6native12_GLOBAL__N_18offset_tEEE10hipError_tPvRmT1_PNSt15iterator_traitsISK_E10value_typeET2_T3_PNSL_ISQ_E10value_typeET4_jRbjT5_SW_jjP12ihipStream_tbEUlT_E2_NS1_11comp_targetILNS1_3genE5ELNS1_11target_archE942ELNS1_3gpuE9ELNS1_3repE0EEENS1_30default_config_static_selectorELNS0_4arch9wavefront6targetE0EEEvSK_,"axG",@progbits,_ZN7rocprim17ROCPRIM_400000_NS6detail17trampoline_kernelINS0_14default_configENS1_36segmented_radix_sort_config_selectorIblEEZNS1_25segmented_radix_sort_implIS3_Lb0EPKbPbPKlPlN2at6native12_GLOBAL__N_18offset_tEEE10hipError_tPvRmT1_PNSt15iterator_traitsISK_E10value_typeET2_T3_PNSL_ISQ_E10value_typeET4_jRbjT5_SW_jjP12ihipStream_tbEUlT_E2_NS1_11comp_targetILNS1_3genE5ELNS1_11target_archE942ELNS1_3gpuE9ELNS1_3repE0EEENS1_30default_config_static_selectorELNS0_4arch9wavefront6targetE0EEEvSK_,comdat
	.globl	_ZN7rocprim17ROCPRIM_400000_NS6detail17trampoline_kernelINS0_14default_configENS1_36segmented_radix_sort_config_selectorIblEEZNS1_25segmented_radix_sort_implIS3_Lb0EPKbPbPKlPlN2at6native12_GLOBAL__N_18offset_tEEE10hipError_tPvRmT1_PNSt15iterator_traitsISK_E10value_typeET2_T3_PNSL_ISQ_E10value_typeET4_jRbjT5_SW_jjP12ihipStream_tbEUlT_E2_NS1_11comp_targetILNS1_3genE5ELNS1_11target_archE942ELNS1_3gpuE9ELNS1_3repE0EEENS1_30default_config_static_selectorELNS0_4arch9wavefront6targetE0EEEvSK_ ; -- Begin function _ZN7rocprim17ROCPRIM_400000_NS6detail17trampoline_kernelINS0_14default_configENS1_36segmented_radix_sort_config_selectorIblEEZNS1_25segmented_radix_sort_implIS3_Lb0EPKbPbPKlPlN2at6native12_GLOBAL__N_18offset_tEEE10hipError_tPvRmT1_PNSt15iterator_traitsISK_E10value_typeET2_T3_PNSL_ISQ_E10value_typeET4_jRbjT5_SW_jjP12ihipStream_tbEUlT_E2_NS1_11comp_targetILNS1_3genE5ELNS1_11target_archE942ELNS1_3gpuE9ELNS1_3repE0EEENS1_30default_config_static_selectorELNS0_4arch9wavefront6targetE0EEEvSK_
	.p2align	8
	.type	_ZN7rocprim17ROCPRIM_400000_NS6detail17trampoline_kernelINS0_14default_configENS1_36segmented_radix_sort_config_selectorIblEEZNS1_25segmented_radix_sort_implIS3_Lb0EPKbPbPKlPlN2at6native12_GLOBAL__N_18offset_tEEE10hipError_tPvRmT1_PNSt15iterator_traitsISK_E10value_typeET2_T3_PNSL_ISQ_E10value_typeET4_jRbjT5_SW_jjP12ihipStream_tbEUlT_E2_NS1_11comp_targetILNS1_3genE5ELNS1_11target_archE942ELNS1_3gpuE9ELNS1_3repE0EEENS1_30default_config_static_selectorELNS0_4arch9wavefront6targetE0EEEvSK_,@function
_ZN7rocprim17ROCPRIM_400000_NS6detail17trampoline_kernelINS0_14default_configENS1_36segmented_radix_sort_config_selectorIblEEZNS1_25segmented_radix_sort_implIS3_Lb0EPKbPbPKlPlN2at6native12_GLOBAL__N_18offset_tEEE10hipError_tPvRmT1_PNSt15iterator_traitsISK_E10value_typeET2_T3_PNSL_ISQ_E10value_typeET4_jRbjT5_SW_jjP12ihipStream_tbEUlT_E2_NS1_11comp_targetILNS1_3genE5ELNS1_11target_archE942ELNS1_3gpuE9ELNS1_3repE0EEENS1_30default_config_static_selectorELNS0_4arch9wavefront6targetE0EEEvSK_: ; @_ZN7rocprim17ROCPRIM_400000_NS6detail17trampoline_kernelINS0_14default_configENS1_36segmented_radix_sort_config_selectorIblEEZNS1_25segmented_radix_sort_implIS3_Lb0EPKbPbPKlPlN2at6native12_GLOBAL__N_18offset_tEEE10hipError_tPvRmT1_PNSt15iterator_traitsISK_E10value_typeET2_T3_PNSL_ISQ_E10value_typeET4_jRbjT5_SW_jjP12ihipStream_tbEUlT_E2_NS1_11comp_targetILNS1_3genE5ELNS1_11target_archE942ELNS1_3gpuE9ELNS1_3repE0EEENS1_30default_config_static_selectorELNS0_4arch9wavefront6targetE0EEEvSK_
; %bb.0:
	.section	.rodata,"a",@progbits
	.p2align	6, 0x0
	.amdhsa_kernel _ZN7rocprim17ROCPRIM_400000_NS6detail17trampoline_kernelINS0_14default_configENS1_36segmented_radix_sort_config_selectorIblEEZNS1_25segmented_radix_sort_implIS3_Lb0EPKbPbPKlPlN2at6native12_GLOBAL__N_18offset_tEEE10hipError_tPvRmT1_PNSt15iterator_traitsISK_E10value_typeET2_T3_PNSL_ISQ_E10value_typeET4_jRbjT5_SW_jjP12ihipStream_tbEUlT_E2_NS1_11comp_targetILNS1_3genE5ELNS1_11target_archE942ELNS1_3gpuE9ELNS1_3repE0EEENS1_30default_config_static_selectorELNS0_4arch9wavefront6targetE0EEEvSK_
		.amdhsa_group_segment_fixed_size 0
		.amdhsa_private_segment_fixed_size 0
		.amdhsa_kernarg_size 80
		.amdhsa_user_sgpr_count 6
		.amdhsa_user_sgpr_private_segment_buffer 1
		.amdhsa_user_sgpr_dispatch_ptr 0
		.amdhsa_user_sgpr_queue_ptr 0
		.amdhsa_user_sgpr_kernarg_segment_ptr 1
		.amdhsa_user_sgpr_dispatch_id 0
		.amdhsa_user_sgpr_flat_scratch_init 0
		.amdhsa_user_sgpr_private_segment_size 0
		.amdhsa_wavefront_size32 1
		.amdhsa_uses_dynamic_stack 0
		.amdhsa_system_sgpr_private_segment_wavefront_offset 0
		.amdhsa_system_sgpr_workgroup_id_x 1
		.amdhsa_system_sgpr_workgroup_id_y 0
		.amdhsa_system_sgpr_workgroup_id_z 0
		.amdhsa_system_sgpr_workgroup_info 0
		.amdhsa_system_vgpr_workitem_id 0
		.amdhsa_next_free_vgpr 1
		.amdhsa_next_free_sgpr 1
		.amdhsa_reserve_vcc 0
		.amdhsa_reserve_flat_scratch 0
		.amdhsa_float_round_mode_32 0
		.amdhsa_float_round_mode_16_64 0
		.amdhsa_float_denorm_mode_32 3
		.amdhsa_float_denorm_mode_16_64 3
		.amdhsa_dx10_clamp 1
		.amdhsa_ieee_mode 1
		.amdhsa_fp16_overflow 0
		.amdhsa_workgroup_processor_mode 1
		.amdhsa_memory_ordered 1
		.amdhsa_forward_progress 1
		.amdhsa_shared_vgpr_count 0
		.amdhsa_exception_fp_ieee_invalid_op 0
		.amdhsa_exception_fp_denorm_src 0
		.amdhsa_exception_fp_ieee_div_zero 0
		.amdhsa_exception_fp_ieee_overflow 0
		.amdhsa_exception_fp_ieee_underflow 0
		.amdhsa_exception_fp_ieee_inexact 0
		.amdhsa_exception_int_div_zero 0
	.end_amdhsa_kernel
	.section	.text._ZN7rocprim17ROCPRIM_400000_NS6detail17trampoline_kernelINS0_14default_configENS1_36segmented_radix_sort_config_selectorIblEEZNS1_25segmented_radix_sort_implIS3_Lb0EPKbPbPKlPlN2at6native12_GLOBAL__N_18offset_tEEE10hipError_tPvRmT1_PNSt15iterator_traitsISK_E10value_typeET2_T3_PNSL_ISQ_E10value_typeET4_jRbjT5_SW_jjP12ihipStream_tbEUlT_E2_NS1_11comp_targetILNS1_3genE5ELNS1_11target_archE942ELNS1_3gpuE9ELNS1_3repE0EEENS1_30default_config_static_selectorELNS0_4arch9wavefront6targetE0EEEvSK_,"axG",@progbits,_ZN7rocprim17ROCPRIM_400000_NS6detail17trampoline_kernelINS0_14default_configENS1_36segmented_radix_sort_config_selectorIblEEZNS1_25segmented_radix_sort_implIS3_Lb0EPKbPbPKlPlN2at6native12_GLOBAL__N_18offset_tEEE10hipError_tPvRmT1_PNSt15iterator_traitsISK_E10value_typeET2_T3_PNSL_ISQ_E10value_typeET4_jRbjT5_SW_jjP12ihipStream_tbEUlT_E2_NS1_11comp_targetILNS1_3genE5ELNS1_11target_archE942ELNS1_3gpuE9ELNS1_3repE0EEENS1_30default_config_static_selectorELNS0_4arch9wavefront6targetE0EEEvSK_,comdat
.Lfunc_end1656:
	.size	_ZN7rocprim17ROCPRIM_400000_NS6detail17trampoline_kernelINS0_14default_configENS1_36segmented_radix_sort_config_selectorIblEEZNS1_25segmented_radix_sort_implIS3_Lb0EPKbPbPKlPlN2at6native12_GLOBAL__N_18offset_tEEE10hipError_tPvRmT1_PNSt15iterator_traitsISK_E10value_typeET2_T3_PNSL_ISQ_E10value_typeET4_jRbjT5_SW_jjP12ihipStream_tbEUlT_E2_NS1_11comp_targetILNS1_3genE5ELNS1_11target_archE942ELNS1_3gpuE9ELNS1_3repE0EEENS1_30default_config_static_selectorELNS0_4arch9wavefront6targetE0EEEvSK_, .Lfunc_end1656-_ZN7rocprim17ROCPRIM_400000_NS6detail17trampoline_kernelINS0_14default_configENS1_36segmented_radix_sort_config_selectorIblEEZNS1_25segmented_radix_sort_implIS3_Lb0EPKbPbPKlPlN2at6native12_GLOBAL__N_18offset_tEEE10hipError_tPvRmT1_PNSt15iterator_traitsISK_E10value_typeET2_T3_PNSL_ISQ_E10value_typeET4_jRbjT5_SW_jjP12ihipStream_tbEUlT_E2_NS1_11comp_targetILNS1_3genE5ELNS1_11target_archE942ELNS1_3gpuE9ELNS1_3repE0EEENS1_30default_config_static_selectorELNS0_4arch9wavefront6targetE0EEEvSK_
                                        ; -- End function
	.set _ZN7rocprim17ROCPRIM_400000_NS6detail17trampoline_kernelINS0_14default_configENS1_36segmented_radix_sort_config_selectorIblEEZNS1_25segmented_radix_sort_implIS3_Lb0EPKbPbPKlPlN2at6native12_GLOBAL__N_18offset_tEEE10hipError_tPvRmT1_PNSt15iterator_traitsISK_E10value_typeET2_T3_PNSL_ISQ_E10value_typeET4_jRbjT5_SW_jjP12ihipStream_tbEUlT_E2_NS1_11comp_targetILNS1_3genE5ELNS1_11target_archE942ELNS1_3gpuE9ELNS1_3repE0EEENS1_30default_config_static_selectorELNS0_4arch9wavefront6targetE0EEEvSK_.num_vgpr, 0
	.set _ZN7rocprim17ROCPRIM_400000_NS6detail17trampoline_kernelINS0_14default_configENS1_36segmented_radix_sort_config_selectorIblEEZNS1_25segmented_radix_sort_implIS3_Lb0EPKbPbPKlPlN2at6native12_GLOBAL__N_18offset_tEEE10hipError_tPvRmT1_PNSt15iterator_traitsISK_E10value_typeET2_T3_PNSL_ISQ_E10value_typeET4_jRbjT5_SW_jjP12ihipStream_tbEUlT_E2_NS1_11comp_targetILNS1_3genE5ELNS1_11target_archE942ELNS1_3gpuE9ELNS1_3repE0EEENS1_30default_config_static_selectorELNS0_4arch9wavefront6targetE0EEEvSK_.num_agpr, 0
	.set _ZN7rocprim17ROCPRIM_400000_NS6detail17trampoline_kernelINS0_14default_configENS1_36segmented_radix_sort_config_selectorIblEEZNS1_25segmented_radix_sort_implIS3_Lb0EPKbPbPKlPlN2at6native12_GLOBAL__N_18offset_tEEE10hipError_tPvRmT1_PNSt15iterator_traitsISK_E10value_typeET2_T3_PNSL_ISQ_E10value_typeET4_jRbjT5_SW_jjP12ihipStream_tbEUlT_E2_NS1_11comp_targetILNS1_3genE5ELNS1_11target_archE942ELNS1_3gpuE9ELNS1_3repE0EEENS1_30default_config_static_selectorELNS0_4arch9wavefront6targetE0EEEvSK_.numbered_sgpr, 0
	.set _ZN7rocprim17ROCPRIM_400000_NS6detail17trampoline_kernelINS0_14default_configENS1_36segmented_radix_sort_config_selectorIblEEZNS1_25segmented_radix_sort_implIS3_Lb0EPKbPbPKlPlN2at6native12_GLOBAL__N_18offset_tEEE10hipError_tPvRmT1_PNSt15iterator_traitsISK_E10value_typeET2_T3_PNSL_ISQ_E10value_typeET4_jRbjT5_SW_jjP12ihipStream_tbEUlT_E2_NS1_11comp_targetILNS1_3genE5ELNS1_11target_archE942ELNS1_3gpuE9ELNS1_3repE0EEENS1_30default_config_static_selectorELNS0_4arch9wavefront6targetE0EEEvSK_.num_named_barrier, 0
	.set _ZN7rocprim17ROCPRIM_400000_NS6detail17trampoline_kernelINS0_14default_configENS1_36segmented_radix_sort_config_selectorIblEEZNS1_25segmented_radix_sort_implIS3_Lb0EPKbPbPKlPlN2at6native12_GLOBAL__N_18offset_tEEE10hipError_tPvRmT1_PNSt15iterator_traitsISK_E10value_typeET2_T3_PNSL_ISQ_E10value_typeET4_jRbjT5_SW_jjP12ihipStream_tbEUlT_E2_NS1_11comp_targetILNS1_3genE5ELNS1_11target_archE942ELNS1_3gpuE9ELNS1_3repE0EEENS1_30default_config_static_selectorELNS0_4arch9wavefront6targetE0EEEvSK_.private_seg_size, 0
	.set _ZN7rocprim17ROCPRIM_400000_NS6detail17trampoline_kernelINS0_14default_configENS1_36segmented_radix_sort_config_selectorIblEEZNS1_25segmented_radix_sort_implIS3_Lb0EPKbPbPKlPlN2at6native12_GLOBAL__N_18offset_tEEE10hipError_tPvRmT1_PNSt15iterator_traitsISK_E10value_typeET2_T3_PNSL_ISQ_E10value_typeET4_jRbjT5_SW_jjP12ihipStream_tbEUlT_E2_NS1_11comp_targetILNS1_3genE5ELNS1_11target_archE942ELNS1_3gpuE9ELNS1_3repE0EEENS1_30default_config_static_selectorELNS0_4arch9wavefront6targetE0EEEvSK_.uses_vcc, 0
	.set _ZN7rocprim17ROCPRIM_400000_NS6detail17trampoline_kernelINS0_14default_configENS1_36segmented_radix_sort_config_selectorIblEEZNS1_25segmented_radix_sort_implIS3_Lb0EPKbPbPKlPlN2at6native12_GLOBAL__N_18offset_tEEE10hipError_tPvRmT1_PNSt15iterator_traitsISK_E10value_typeET2_T3_PNSL_ISQ_E10value_typeET4_jRbjT5_SW_jjP12ihipStream_tbEUlT_E2_NS1_11comp_targetILNS1_3genE5ELNS1_11target_archE942ELNS1_3gpuE9ELNS1_3repE0EEENS1_30default_config_static_selectorELNS0_4arch9wavefront6targetE0EEEvSK_.uses_flat_scratch, 0
	.set _ZN7rocprim17ROCPRIM_400000_NS6detail17trampoline_kernelINS0_14default_configENS1_36segmented_radix_sort_config_selectorIblEEZNS1_25segmented_radix_sort_implIS3_Lb0EPKbPbPKlPlN2at6native12_GLOBAL__N_18offset_tEEE10hipError_tPvRmT1_PNSt15iterator_traitsISK_E10value_typeET2_T3_PNSL_ISQ_E10value_typeET4_jRbjT5_SW_jjP12ihipStream_tbEUlT_E2_NS1_11comp_targetILNS1_3genE5ELNS1_11target_archE942ELNS1_3gpuE9ELNS1_3repE0EEENS1_30default_config_static_selectorELNS0_4arch9wavefront6targetE0EEEvSK_.has_dyn_sized_stack, 0
	.set _ZN7rocprim17ROCPRIM_400000_NS6detail17trampoline_kernelINS0_14default_configENS1_36segmented_radix_sort_config_selectorIblEEZNS1_25segmented_radix_sort_implIS3_Lb0EPKbPbPKlPlN2at6native12_GLOBAL__N_18offset_tEEE10hipError_tPvRmT1_PNSt15iterator_traitsISK_E10value_typeET2_T3_PNSL_ISQ_E10value_typeET4_jRbjT5_SW_jjP12ihipStream_tbEUlT_E2_NS1_11comp_targetILNS1_3genE5ELNS1_11target_archE942ELNS1_3gpuE9ELNS1_3repE0EEENS1_30default_config_static_selectorELNS0_4arch9wavefront6targetE0EEEvSK_.has_recursion, 0
	.set _ZN7rocprim17ROCPRIM_400000_NS6detail17trampoline_kernelINS0_14default_configENS1_36segmented_radix_sort_config_selectorIblEEZNS1_25segmented_radix_sort_implIS3_Lb0EPKbPbPKlPlN2at6native12_GLOBAL__N_18offset_tEEE10hipError_tPvRmT1_PNSt15iterator_traitsISK_E10value_typeET2_T3_PNSL_ISQ_E10value_typeET4_jRbjT5_SW_jjP12ihipStream_tbEUlT_E2_NS1_11comp_targetILNS1_3genE5ELNS1_11target_archE942ELNS1_3gpuE9ELNS1_3repE0EEENS1_30default_config_static_selectorELNS0_4arch9wavefront6targetE0EEEvSK_.has_indirect_call, 0
	.section	.AMDGPU.csdata,"",@progbits
; Kernel info:
; codeLenInByte = 0
; TotalNumSgprs: 0
; NumVgprs: 0
; ScratchSize: 0
; MemoryBound: 0
; FloatMode: 240
; IeeeMode: 1
; LDSByteSize: 0 bytes/workgroup (compile time only)
; SGPRBlocks: 0
; VGPRBlocks: 0
; NumSGPRsForWavesPerEU: 1
; NumVGPRsForWavesPerEU: 1
; Occupancy: 16
; WaveLimiterHint : 0
; COMPUTE_PGM_RSRC2:SCRATCH_EN: 0
; COMPUTE_PGM_RSRC2:USER_SGPR: 6
; COMPUTE_PGM_RSRC2:TRAP_HANDLER: 0
; COMPUTE_PGM_RSRC2:TGID_X_EN: 1
; COMPUTE_PGM_RSRC2:TGID_Y_EN: 0
; COMPUTE_PGM_RSRC2:TGID_Z_EN: 0
; COMPUTE_PGM_RSRC2:TIDIG_COMP_CNT: 0
	.section	.text._ZN7rocprim17ROCPRIM_400000_NS6detail17trampoline_kernelINS0_14default_configENS1_36segmented_radix_sort_config_selectorIblEEZNS1_25segmented_radix_sort_implIS3_Lb0EPKbPbPKlPlN2at6native12_GLOBAL__N_18offset_tEEE10hipError_tPvRmT1_PNSt15iterator_traitsISK_E10value_typeET2_T3_PNSL_ISQ_E10value_typeET4_jRbjT5_SW_jjP12ihipStream_tbEUlT_E2_NS1_11comp_targetILNS1_3genE4ELNS1_11target_archE910ELNS1_3gpuE8ELNS1_3repE0EEENS1_30default_config_static_selectorELNS0_4arch9wavefront6targetE0EEEvSK_,"axG",@progbits,_ZN7rocprim17ROCPRIM_400000_NS6detail17trampoline_kernelINS0_14default_configENS1_36segmented_radix_sort_config_selectorIblEEZNS1_25segmented_radix_sort_implIS3_Lb0EPKbPbPKlPlN2at6native12_GLOBAL__N_18offset_tEEE10hipError_tPvRmT1_PNSt15iterator_traitsISK_E10value_typeET2_T3_PNSL_ISQ_E10value_typeET4_jRbjT5_SW_jjP12ihipStream_tbEUlT_E2_NS1_11comp_targetILNS1_3genE4ELNS1_11target_archE910ELNS1_3gpuE8ELNS1_3repE0EEENS1_30default_config_static_selectorELNS0_4arch9wavefront6targetE0EEEvSK_,comdat
	.globl	_ZN7rocprim17ROCPRIM_400000_NS6detail17trampoline_kernelINS0_14default_configENS1_36segmented_radix_sort_config_selectorIblEEZNS1_25segmented_radix_sort_implIS3_Lb0EPKbPbPKlPlN2at6native12_GLOBAL__N_18offset_tEEE10hipError_tPvRmT1_PNSt15iterator_traitsISK_E10value_typeET2_T3_PNSL_ISQ_E10value_typeET4_jRbjT5_SW_jjP12ihipStream_tbEUlT_E2_NS1_11comp_targetILNS1_3genE4ELNS1_11target_archE910ELNS1_3gpuE8ELNS1_3repE0EEENS1_30default_config_static_selectorELNS0_4arch9wavefront6targetE0EEEvSK_ ; -- Begin function _ZN7rocprim17ROCPRIM_400000_NS6detail17trampoline_kernelINS0_14default_configENS1_36segmented_radix_sort_config_selectorIblEEZNS1_25segmented_radix_sort_implIS3_Lb0EPKbPbPKlPlN2at6native12_GLOBAL__N_18offset_tEEE10hipError_tPvRmT1_PNSt15iterator_traitsISK_E10value_typeET2_T3_PNSL_ISQ_E10value_typeET4_jRbjT5_SW_jjP12ihipStream_tbEUlT_E2_NS1_11comp_targetILNS1_3genE4ELNS1_11target_archE910ELNS1_3gpuE8ELNS1_3repE0EEENS1_30default_config_static_selectorELNS0_4arch9wavefront6targetE0EEEvSK_
	.p2align	8
	.type	_ZN7rocprim17ROCPRIM_400000_NS6detail17trampoline_kernelINS0_14default_configENS1_36segmented_radix_sort_config_selectorIblEEZNS1_25segmented_radix_sort_implIS3_Lb0EPKbPbPKlPlN2at6native12_GLOBAL__N_18offset_tEEE10hipError_tPvRmT1_PNSt15iterator_traitsISK_E10value_typeET2_T3_PNSL_ISQ_E10value_typeET4_jRbjT5_SW_jjP12ihipStream_tbEUlT_E2_NS1_11comp_targetILNS1_3genE4ELNS1_11target_archE910ELNS1_3gpuE8ELNS1_3repE0EEENS1_30default_config_static_selectorELNS0_4arch9wavefront6targetE0EEEvSK_,@function
_ZN7rocprim17ROCPRIM_400000_NS6detail17trampoline_kernelINS0_14default_configENS1_36segmented_radix_sort_config_selectorIblEEZNS1_25segmented_radix_sort_implIS3_Lb0EPKbPbPKlPlN2at6native12_GLOBAL__N_18offset_tEEE10hipError_tPvRmT1_PNSt15iterator_traitsISK_E10value_typeET2_T3_PNSL_ISQ_E10value_typeET4_jRbjT5_SW_jjP12ihipStream_tbEUlT_E2_NS1_11comp_targetILNS1_3genE4ELNS1_11target_archE910ELNS1_3gpuE8ELNS1_3repE0EEENS1_30default_config_static_selectorELNS0_4arch9wavefront6targetE0EEEvSK_: ; @_ZN7rocprim17ROCPRIM_400000_NS6detail17trampoline_kernelINS0_14default_configENS1_36segmented_radix_sort_config_selectorIblEEZNS1_25segmented_radix_sort_implIS3_Lb0EPKbPbPKlPlN2at6native12_GLOBAL__N_18offset_tEEE10hipError_tPvRmT1_PNSt15iterator_traitsISK_E10value_typeET2_T3_PNSL_ISQ_E10value_typeET4_jRbjT5_SW_jjP12ihipStream_tbEUlT_E2_NS1_11comp_targetILNS1_3genE4ELNS1_11target_archE910ELNS1_3gpuE8ELNS1_3repE0EEENS1_30default_config_static_selectorELNS0_4arch9wavefront6targetE0EEEvSK_
; %bb.0:
	.section	.rodata,"a",@progbits
	.p2align	6, 0x0
	.amdhsa_kernel _ZN7rocprim17ROCPRIM_400000_NS6detail17trampoline_kernelINS0_14default_configENS1_36segmented_radix_sort_config_selectorIblEEZNS1_25segmented_radix_sort_implIS3_Lb0EPKbPbPKlPlN2at6native12_GLOBAL__N_18offset_tEEE10hipError_tPvRmT1_PNSt15iterator_traitsISK_E10value_typeET2_T3_PNSL_ISQ_E10value_typeET4_jRbjT5_SW_jjP12ihipStream_tbEUlT_E2_NS1_11comp_targetILNS1_3genE4ELNS1_11target_archE910ELNS1_3gpuE8ELNS1_3repE0EEENS1_30default_config_static_selectorELNS0_4arch9wavefront6targetE0EEEvSK_
		.amdhsa_group_segment_fixed_size 0
		.amdhsa_private_segment_fixed_size 0
		.amdhsa_kernarg_size 80
		.amdhsa_user_sgpr_count 6
		.amdhsa_user_sgpr_private_segment_buffer 1
		.amdhsa_user_sgpr_dispatch_ptr 0
		.amdhsa_user_sgpr_queue_ptr 0
		.amdhsa_user_sgpr_kernarg_segment_ptr 1
		.amdhsa_user_sgpr_dispatch_id 0
		.amdhsa_user_sgpr_flat_scratch_init 0
		.amdhsa_user_sgpr_private_segment_size 0
		.amdhsa_wavefront_size32 1
		.amdhsa_uses_dynamic_stack 0
		.amdhsa_system_sgpr_private_segment_wavefront_offset 0
		.amdhsa_system_sgpr_workgroup_id_x 1
		.amdhsa_system_sgpr_workgroup_id_y 0
		.amdhsa_system_sgpr_workgroup_id_z 0
		.amdhsa_system_sgpr_workgroup_info 0
		.amdhsa_system_vgpr_workitem_id 0
		.amdhsa_next_free_vgpr 1
		.amdhsa_next_free_sgpr 1
		.amdhsa_reserve_vcc 0
		.amdhsa_reserve_flat_scratch 0
		.amdhsa_float_round_mode_32 0
		.amdhsa_float_round_mode_16_64 0
		.amdhsa_float_denorm_mode_32 3
		.amdhsa_float_denorm_mode_16_64 3
		.amdhsa_dx10_clamp 1
		.amdhsa_ieee_mode 1
		.amdhsa_fp16_overflow 0
		.amdhsa_workgroup_processor_mode 1
		.amdhsa_memory_ordered 1
		.amdhsa_forward_progress 1
		.amdhsa_shared_vgpr_count 0
		.amdhsa_exception_fp_ieee_invalid_op 0
		.amdhsa_exception_fp_denorm_src 0
		.amdhsa_exception_fp_ieee_div_zero 0
		.amdhsa_exception_fp_ieee_overflow 0
		.amdhsa_exception_fp_ieee_underflow 0
		.amdhsa_exception_fp_ieee_inexact 0
		.amdhsa_exception_int_div_zero 0
	.end_amdhsa_kernel
	.section	.text._ZN7rocprim17ROCPRIM_400000_NS6detail17trampoline_kernelINS0_14default_configENS1_36segmented_radix_sort_config_selectorIblEEZNS1_25segmented_radix_sort_implIS3_Lb0EPKbPbPKlPlN2at6native12_GLOBAL__N_18offset_tEEE10hipError_tPvRmT1_PNSt15iterator_traitsISK_E10value_typeET2_T3_PNSL_ISQ_E10value_typeET4_jRbjT5_SW_jjP12ihipStream_tbEUlT_E2_NS1_11comp_targetILNS1_3genE4ELNS1_11target_archE910ELNS1_3gpuE8ELNS1_3repE0EEENS1_30default_config_static_selectorELNS0_4arch9wavefront6targetE0EEEvSK_,"axG",@progbits,_ZN7rocprim17ROCPRIM_400000_NS6detail17trampoline_kernelINS0_14default_configENS1_36segmented_radix_sort_config_selectorIblEEZNS1_25segmented_radix_sort_implIS3_Lb0EPKbPbPKlPlN2at6native12_GLOBAL__N_18offset_tEEE10hipError_tPvRmT1_PNSt15iterator_traitsISK_E10value_typeET2_T3_PNSL_ISQ_E10value_typeET4_jRbjT5_SW_jjP12ihipStream_tbEUlT_E2_NS1_11comp_targetILNS1_3genE4ELNS1_11target_archE910ELNS1_3gpuE8ELNS1_3repE0EEENS1_30default_config_static_selectorELNS0_4arch9wavefront6targetE0EEEvSK_,comdat
.Lfunc_end1657:
	.size	_ZN7rocprim17ROCPRIM_400000_NS6detail17trampoline_kernelINS0_14default_configENS1_36segmented_radix_sort_config_selectorIblEEZNS1_25segmented_radix_sort_implIS3_Lb0EPKbPbPKlPlN2at6native12_GLOBAL__N_18offset_tEEE10hipError_tPvRmT1_PNSt15iterator_traitsISK_E10value_typeET2_T3_PNSL_ISQ_E10value_typeET4_jRbjT5_SW_jjP12ihipStream_tbEUlT_E2_NS1_11comp_targetILNS1_3genE4ELNS1_11target_archE910ELNS1_3gpuE8ELNS1_3repE0EEENS1_30default_config_static_selectorELNS0_4arch9wavefront6targetE0EEEvSK_, .Lfunc_end1657-_ZN7rocprim17ROCPRIM_400000_NS6detail17trampoline_kernelINS0_14default_configENS1_36segmented_radix_sort_config_selectorIblEEZNS1_25segmented_radix_sort_implIS3_Lb0EPKbPbPKlPlN2at6native12_GLOBAL__N_18offset_tEEE10hipError_tPvRmT1_PNSt15iterator_traitsISK_E10value_typeET2_T3_PNSL_ISQ_E10value_typeET4_jRbjT5_SW_jjP12ihipStream_tbEUlT_E2_NS1_11comp_targetILNS1_3genE4ELNS1_11target_archE910ELNS1_3gpuE8ELNS1_3repE0EEENS1_30default_config_static_selectorELNS0_4arch9wavefront6targetE0EEEvSK_
                                        ; -- End function
	.set _ZN7rocprim17ROCPRIM_400000_NS6detail17trampoline_kernelINS0_14default_configENS1_36segmented_radix_sort_config_selectorIblEEZNS1_25segmented_radix_sort_implIS3_Lb0EPKbPbPKlPlN2at6native12_GLOBAL__N_18offset_tEEE10hipError_tPvRmT1_PNSt15iterator_traitsISK_E10value_typeET2_T3_PNSL_ISQ_E10value_typeET4_jRbjT5_SW_jjP12ihipStream_tbEUlT_E2_NS1_11comp_targetILNS1_3genE4ELNS1_11target_archE910ELNS1_3gpuE8ELNS1_3repE0EEENS1_30default_config_static_selectorELNS0_4arch9wavefront6targetE0EEEvSK_.num_vgpr, 0
	.set _ZN7rocprim17ROCPRIM_400000_NS6detail17trampoline_kernelINS0_14default_configENS1_36segmented_radix_sort_config_selectorIblEEZNS1_25segmented_radix_sort_implIS3_Lb0EPKbPbPKlPlN2at6native12_GLOBAL__N_18offset_tEEE10hipError_tPvRmT1_PNSt15iterator_traitsISK_E10value_typeET2_T3_PNSL_ISQ_E10value_typeET4_jRbjT5_SW_jjP12ihipStream_tbEUlT_E2_NS1_11comp_targetILNS1_3genE4ELNS1_11target_archE910ELNS1_3gpuE8ELNS1_3repE0EEENS1_30default_config_static_selectorELNS0_4arch9wavefront6targetE0EEEvSK_.num_agpr, 0
	.set _ZN7rocprim17ROCPRIM_400000_NS6detail17trampoline_kernelINS0_14default_configENS1_36segmented_radix_sort_config_selectorIblEEZNS1_25segmented_radix_sort_implIS3_Lb0EPKbPbPKlPlN2at6native12_GLOBAL__N_18offset_tEEE10hipError_tPvRmT1_PNSt15iterator_traitsISK_E10value_typeET2_T3_PNSL_ISQ_E10value_typeET4_jRbjT5_SW_jjP12ihipStream_tbEUlT_E2_NS1_11comp_targetILNS1_3genE4ELNS1_11target_archE910ELNS1_3gpuE8ELNS1_3repE0EEENS1_30default_config_static_selectorELNS0_4arch9wavefront6targetE0EEEvSK_.numbered_sgpr, 0
	.set _ZN7rocprim17ROCPRIM_400000_NS6detail17trampoline_kernelINS0_14default_configENS1_36segmented_radix_sort_config_selectorIblEEZNS1_25segmented_radix_sort_implIS3_Lb0EPKbPbPKlPlN2at6native12_GLOBAL__N_18offset_tEEE10hipError_tPvRmT1_PNSt15iterator_traitsISK_E10value_typeET2_T3_PNSL_ISQ_E10value_typeET4_jRbjT5_SW_jjP12ihipStream_tbEUlT_E2_NS1_11comp_targetILNS1_3genE4ELNS1_11target_archE910ELNS1_3gpuE8ELNS1_3repE0EEENS1_30default_config_static_selectorELNS0_4arch9wavefront6targetE0EEEvSK_.num_named_barrier, 0
	.set _ZN7rocprim17ROCPRIM_400000_NS6detail17trampoline_kernelINS0_14default_configENS1_36segmented_radix_sort_config_selectorIblEEZNS1_25segmented_radix_sort_implIS3_Lb0EPKbPbPKlPlN2at6native12_GLOBAL__N_18offset_tEEE10hipError_tPvRmT1_PNSt15iterator_traitsISK_E10value_typeET2_T3_PNSL_ISQ_E10value_typeET4_jRbjT5_SW_jjP12ihipStream_tbEUlT_E2_NS1_11comp_targetILNS1_3genE4ELNS1_11target_archE910ELNS1_3gpuE8ELNS1_3repE0EEENS1_30default_config_static_selectorELNS0_4arch9wavefront6targetE0EEEvSK_.private_seg_size, 0
	.set _ZN7rocprim17ROCPRIM_400000_NS6detail17trampoline_kernelINS0_14default_configENS1_36segmented_radix_sort_config_selectorIblEEZNS1_25segmented_radix_sort_implIS3_Lb0EPKbPbPKlPlN2at6native12_GLOBAL__N_18offset_tEEE10hipError_tPvRmT1_PNSt15iterator_traitsISK_E10value_typeET2_T3_PNSL_ISQ_E10value_typeET4_jRbjT5_SW_jjP12ihipStream_tbEUlT_E2_NS1_11comp_targetILNS1_3genE4ELNS1_11target_archE910ELNS1_3gpuE8ELNS1_3repE0EEENS1_30default_config_static_selectorELNS0_4arch9wavefront6targetE0EEEvSK_.uses_vcc, 0
	.set _ZN7rocprim17ROCPRIM_400000_NS6detail17trampoline_kernelINS0_14default_configENS1_36segmented_radix_sort_config_selectorIblEEZNS1_25segmented_radix_sort_implIS3_Lb0EPKbPbPKlPlN2at6native12_GLOBAL__N_18offset_tEEE10hipError_tPvRmT1_PNSt15iterator_traitsISK_E10value_typeET2_T3_PNSL_ISQ_E10value_typeET4_jRbjT5_SW_jjP12ihipStream_tbEUlT_E2_NS1_11comp_targetILNS1_3genE4ELNS1_11target_archE910ELNS1_3gpuE8ELNS1_3repE0EEENS1_30default_config_static_selectorELNS0_4arch9wavefront6targetE0EEEvSK_.uses_flat_scratch, 0
	.set _ZN7rocprim17ROCPRIM_400000_NS6detail17trampoline_kernelINS0_14default_configENS1_36segmented_radix_sort_config_selectorIblEEZNS1_25segmented_radix_sort_implIS3_Lb0EPKbPbPKlPlN2at6native12_GLOBAL__N_18offset_tEEE10hipError_tPvRmT1_PNSt15iterator_traitsISK_E10value_typeET2_T3_PNSL_ISQ_E10value_typeET4_jRbjT5_SW_jjP12ihipStream_tbEUlT_E2_NS1_11comp_targetILNS1_3genE4ELNS1_11target_archE910ELNS1_3gpuE8ELNS1_3repE0EEENS1_30default_config_static_selectorELNS0_4arch9wavefront6targetE0EEEvSK_.has_dyn_sized_stack, 0
	.set _ZN7rocprim17ROCPRIM_400000_NS6detail17trampoline_kernelINS0_14default_configENS1_36segmented_radix_sort_config_selectorIblEEZNS1_25segmented_radix_sort_implIS3_Lb0EPKbPbPKlPlN2at6native12_GLOBAL__N_18offset_tEEE10hipError_tPvRmT1_PNSt15iterator_traitsISK_E10value_typeET2_T3_PNSL_ISQ_E10value_typeET4_jRbjT5_SW_jjP12ihipStream_tbEUlT_E2_NS1_11comp_targetILNS1_3genE4ELNS1_11target_archE910ELNS1_3gpuE8ELNS1_3repE0EEENS1_30default_config_static_selectorELNS0_4arch9wavefront6targetE0EEEvSK_.has_recursion, 0
	.set _ZN7rocprim17ROCPRIM_400000_NS6detail17trampoline_kernelINS0_14default_configENS1_36segmented_radix_sort_config_selectorIblEEZNS1_25segmented_radix_sort_implIS3_Lb0EPKbPbPKlPlN2at6native12_GLOBAL__N_18offset_tEEE10hipError_tPvRmT1_PNSt15iterator_traitsISK_E10value_typeET2_T3_PNSL_ISQ_E10value_typeET4_jRbjT5_SW_jjP12ihipStream_tbEUlT_E2_NS1_11comp_targetILNS1_3genE4ELNS1_11target_archE910ELNS1_3gpuE8ELNS1_3repE0EEENS1_30default_config_static_selectorELNS0_4arch9wavefront6targetE0EEEvSK_.has_indirect_call, 0
	.section	.AMDGPU.csdata,"",@progbits
; Kernel info:
; codeLenInByte = 0
; TotalNumSgprs: 0
; NumVgprs: 0
; ScratchSize: 0
; MemoryBound: 0
; FloatMode: 240
; IeeeMode: 1
; LDSByteSize: 0 bytes/workgroup (compile time only)
; SGPRBlocks: 0
; VGPRBlocks: 0
; NumSGPRsForWavesPerEU: 1
; NumVGPRsForWavesPerEU: 1
; Occupancy: 16
; WaveLimiterHint : 0
; COMPUTE_PGM_RSRC2:SCRATCH_EN: 0
; COMPUTE_PGM_RSRC2:USER_SGPR: 6
; COMPUTE_PGM_RSRC2:TRAP_HANDLER: 0
; COMPUTE_PGM_RSRC2:TGID_X_EN: 1
; COMPUTE_PGM_RSRC2:TGID_Y_EN: 0
; COMPUTE_PGM_RSRC2:TGID_Z_EN: 0
; COMPUTE_PGM_RSRC2:TIDIG_COMP_CNT: 0
	.section	.text._ZN7rocprim17ROCPRIM_400000_NS6detail17trampoline_kernelINS0_14default_configENS1_36segmented_radix_sort_config_selectorIblEEZNS1_25segmented_radix_sort_implIS3_Lb0EPKbPbPKlPlN2at6native12_GLOBAL__N_18offset_tEEE10hipError_tPvRmT1_PNSt15iterator_traitsISK_E10value_typeET2_T3_PNSL_ISQ_E10value_typeET4_jRbjT5_SW_jjP12ihipStream_tbEUlT_E2_NS1_11comp_targetILNS1_3genE3ELNS1_11target_archE908ELNS1_3gpuE7ELNS1_3repE0EEENS1_30default_config_static_selectorELNS0_4arch9wavefront6targetE0EEEvSK_,"axG",@progbits,_ZN7rocprim17ROCPRIM_400000_NS6detail17trampoline_kernelINS0_14default_configENS1_36segmented_radix_sort_config_selectorIblEEZNS1_25segmented_radix_sort_implIS3_Lb0EPKbPbPKlPlN2at6native12_GLOBAL__N_18offset_tEEE10hipError_tPvRmT1_PNSt15iterator_traitsISK_E10value_typeET2_T3_PNSL_ISQ_E10value_typeET4_jRbjT5_SW_jjP12ihipStream_tbEUlT_E2_NS1_11comp_targetILNS1_3genE3ELNS1_11target_archE908ELNS1_3gpuE7ELNS1_3repE0EEENS1_30default_config_static_selectorELNS0_4arch9wavefront6targetE0EEEvSK_,comdat
	.globl	_ZN7rocprim17ROCPRIM_400000_NS6detail17trampoline_kernelINS0_14default_configENS1_36segmented_radix_sort_config_selectorIblEEZNS1_25segmented_radix_sort_implIS3_Lb0EPKbPbPKlPlN2at6native12_GLOBAL__N_18offset_tEEE10hipError_tPvRmT1_PNSt15iterator_traitsISK_E10value_typeET2_T3_PNSL_ISQ_E10value_typeET4_jRbjT5_SW_jjP12ihipStream_tbEUlT_E2_NS1_11comp_targetILNS1_3genE3ELNS1_11target_archE908ELNS1_3gpuE7ELNS1_3repE0EEENS1_30default_config_static_selectorELNS0_4arch9wavefront6targetE0EEEvSK_ ; -- Begin function _ZN7rocprim17ROCPRIM_400000_NS6detail17trampoline_kernelINS0_14default_configENS1_36segmented_radix_sort_config_selectorIblEEZNS1_25segmented_radix_sort_implIS3_Lb0EPKbPbPKlPlN2at6native12_GLOBAL__N_18offset_tEEE10hipError_tPvRmT1_PNSt15iterator_traitsISK_E10value_typeET2_T3_PNSL_ISQ_E10value_typeET4_jRbjT5_SW_jjP12ihipStream_tbEUlT_E2_NS1_11comp_targetILNS1_3genE3ELNS1_11target_archE908ELNS1_3gpuE7ELNS1_3repE0EEENS1_30default_config_static_selectorELNS0_4arch9wavefront6targetE0EEEvSK_
	.p2align	8
	.type	_ZN7rocprim17ROCPRIM_400000_NS6detail17trampoline_kernelINS0_14default_configENS1_36segmented_radix_sort_config_selectorIblEEZNS1_25segmented_radix_sort_implIS3_Lb0EPKbPbPKlPlN2at6native12_GLOBAL__N_18offset_tEEE10hipError_tPvRmT1_PNSt15iterator_traitsISK_E10value_typeET2_T3_PNSL_ISQ_E10value_typeET4_jRbjT5_SW_jjP12ihipStream_tbEUlT_E2_NS1_11comp_targetILNS1_3genE3ELNS1_11target_archE908ELNS1_3gpuE7ELNS1_3repE0EEENS1_30default_config_static_selectorELNS0_4arch9wavefront6targetE0EEEvSK_,@function
_ZN7rocprim17ROCPRIM_400000_NS6detail17trampoline_kernelINS0_14default_configENS1_36segmented_radix_sort_config_selectorIblEEZNS1_25segmented_radix_sort_implIS3_Lb0EPKbPbPKlPlN2at6native12_GLOBAL__N_18offset_tEEE10hipError_tPvRmT1_PNSt15iterator_traitsISK_E10value_typeET2_T3_PNSL_ISQ_E10value_typeET4_jRbjT5_SW_jjP12ihipStream_tbEUlT_E2_NS1_11comp_targetILNS1_3genE3ELNS1_11target_archE908ELNS1_3gpuE7ELNS1_3repE0EEENS1_30default_config_static_selectorELNS0_4arch9wavefront6targetE0EEEvSK_: ; @_ZN7rocprim17ROCPRIM_400000_NS6detail17trampoline_kernelINS0_14default_configENS1_36segmented_radix_sort_config_selectorIblEEZNS1_25segmented_radix_sort_implIS3_Lb0EPKbPbPKlPlN2at6native12_GLOBAL__N_18offset_tEEE10hipError_tPvRmT1_PNSt15iterator_traitsISK_E10value_typeET2_T3_PNSL_ISQ_E10value_typeET4_jRbjT5_SW_jjP12ihipStream_tbEUlT_E2_NS1_11comp_targetILNS1_3genE3ELNS1_11target_archE908ELNS1_3gpuE7ELNS1_3repE0EEENS1_30default_config_static_selectorELNS0_4arch9wavefront6targetE0EEEvSK_
; %bb.0:
	.section	.rodata,"a",@progbits
	.p2align	6, 0x0
	.amdhsa_kernel _ZN7rocprim17ROCPRIM_400000_NS6detail17trampoline_kernelINS0_14default_configENS1_36segmented_radix_sort_config_selectorIblEEZNS1_25segmented_radix_sort_implIS3_Lb0EPKbPbPKlPlN2at6native12_GLOBAL__N_18offset_tEEE10hipError_tPvRmT1_PNSt15iterator_traitsISK_E10value_typeET2_T3_PNSL_ISQ_E10value_typeET4_jRbjT5_SW_jjP12ihipStream_tbEUlT_E2_NS1_11comp_targetILNS1_3genE3ELNS1_11target_archE908ELNS1_3gpuE7ELNS1_3repE0EEENS1_30default_config_static_selectorELNS0_4arch9wavefront6targetE0EEEvSK_
		.amdhsa_group_segment_fixed_size 0
		.amdhsa_private_segment_fixed_size 0
		.amdhsa_kernarg_size 80
		.amdhsa_user_sgpr_count 6
		.amdhsa_user_sgpr_private_segment_buffer 1
		.amdhsa_user_sgpr_dispatch_ptr 0
		.amdhsa_user_sgpr_queue_ptr 0
		.amdhsa_user_sgpr_kernarg_segment_ptr 1
		.amdhsa_user_sgpr_dispatch_id 0
		.amdhsa_user_sgpr_flat_scratch_init 0
		.amdhsa_user_sgpr_private_segment_size 0
		.amdhsa_wavefront_size32 1
		.amdhsa_uses_dynamic_stack 0
		.amdhsa_system_sgpr_private_segment_wavefront_offset 0
		.amdhsa_system_sgpr_workgroup_id_x 1
		.amdhsa_system_sgpr_workgroup_id_y 0
		.amdhsa_system_sgpr_workgroup_id_z 0
		.amdhsa_system_sgpr_workgroup_info 0
		.amdhsa_system_vgpr_workitem_id 0
		.amdhsa_next_free_vgpr 1
		.amdhsa_next_free_sgpr 1
		.amdhsa_reserve_vcc 0
		.amdhsa_reserve_flat_scratch 0
		.amdhsa_float_round_mode_32 0
		.amdhsa_float_round_mode_16_64 0
		.amdhsa_float_denorm_mode_32 3
		.amdhsa_float_denorm_mode_16_64 3
		.amdhsa_dx10_clamp 1
		.amdhsa_ieee_mode 1
		.amdhsa_fp16_overflow 0
		.amdhsa_workgroup_processor_mode 1
		.amdhsa_memory_ordered 1
		.amdhsa_forward_progress 1
		.amdhsa_shared_vgpr_count 0
		.amdhsa_exception_fp_ieee_invalid_op 0
		.amdhsa_exception_fp_denorm_src 0
		.amdhsa_exception_fp_ieee_div_zero 0
		.amdhsa_exception_fp_ieee_overflow 0
		.amdhsa_exception_fp_ieee_underflow 0
		.amdhsa_exception_fp_ieee_inexact 0
		.amdhsa_exception_int_div_zero 0
	.end_amdhsa_kernel
	.section	.text._ZN7rocprim17ROCPRIM_400000_NS6detail17trampoline_kernelINS0_14default_configENS1_36segmented_radix_sort_config_selectorIblEEZNS1_25segmented_radix_sort_implIS3_Lb0EPKbPbPKlPlN2at6native12_GLOBAL__N_18offset_tEEE10hipError_tPvRmT1_PNSt15iterator_traitsISK_E10value_typeET2_T3_PNSL_ISQ_E10value_typeET4_jRbjT5_SW_jjP12ihipStream_tbEUlT_E2_NS1_11comp_targetILNS1_3genE3ELNS1_11target_archE908ELNS1_3gpuE7ELNS1_3repE0EEENS1_30default_config_static_selectorELNS0_4arch9wavefront6targetE0EEEvSK_,"axG",@progbits,_ZN7rocprim17ROCPRIM_400000_NS6detail17trampoline_kernelINS0_14default_configENS1_36segmented_radix_sort_config_selectorIblEEZNS1_25segmented_radix_sort_implIS3_Lb0EPKbPbPKlPlN2at6native12_GLOBAL__N_18offset_tEEE10hipError_tPvRmT1_PNSt15iterator_traitsISK_E10value_typeET2_T3_PNSL_ISQ_E10value_typeET4_jRbjT5_SW_jjP12ihipStream_tbEUlT_E2_NS1_11comp_targetILNS1_3genE3ELNS1_11target_archE908ELNS1_3gpuE7ELNS1_3repE0EEENS1_30default_config_static_selectorELNS0_4arch9wavefront6targetE0EEEvSK_,comdat
.Lfunc_end1658:
	.size	_ZN7rocprim17ROCPRIM_400000_NS6detail17trampoline_kernelINS0_14default_configENS1_36segmented_radix_sort_config_selectorIblEEZNS1_25segmented_radix_sort_implIS3_Lb0EPKbPbPKlPlN2at6native12_GLOBAL__N_18offset_tEEE10hipError_tPvRmT1_PNSt15iterator_traitsISK_E10value_typeET2_T3_PNSL_ISQ_E10value_typeET4_jRbjT5_SW_jjP12ihipStream_tbEUlT_E2_NS1_11comp_targetILNS1_3genE3ELNS1_11target_archE908ELNS1_3gpuE7ELNS1_3repE0EEENS1_30default_config_static_selectorELNS0_4arch9wavefront6targetE0EEEvSK_, .Lfunc_end1658-_ZN7rocprim17ROCPRIM_400000_NS6detail17trampoline_kernelINS0_14default_configENS1_36segmented_radix_sort_config_selectorIblEEZNS1_25segmented_radix_sort_implIS3_Lb0EPKbPbPKlPlN2at6native12_GLOBAL__N_18offset_tEEE10hipError_tPvRmT1_PNSt15iterator_traitsISK_E10value_typeET2_T3_PNSL_ISQ_E10value_typeET4_jRbjT5_SW_jjP12ihipStream_tbEUlT_E2_NS1_11comp_targetILNS1_3genE3ELNS1_11target_archE908ELNS1_3gpuE7ELNS1_3repE0EEENS1_30default_config_static_selectorELNS0_4arch9wavefront6targetE0EEEvSK_
                                        ; -- End function
	.set _ZN7rocprim17ROCPRIM_400000_NS6detail17trampoline_kernelINS0_14default_configENS1_36segmented_radix_sort_config_selectorIblEEZNS1_25segmented_radix_sort_implIS3_Lb0EPKbPbPKlPlN2at6native12_GLOBAL__N_18offset_tEEE10hipError_tPvRmT1_PNSt15iterator_traitsISK_E10value_typeET2_T3_PNSL_ISQ_E10value_typeET4_jRbjT5_SW_jjP12ihipStream_tbEUlT_E2_NS1_11comp_targetILNS1_3genE3ELNS1_11target_archE908ELNS1_3gpuE7ELNS1_3repE0EEENS1_30default_config_static_selectorELNS0_4arch9wavefront6targetE0EEEvSK_.num_vgpr, 0
	.set _ZN7rocprim17ROCPRIM_400000_NS6detail17trampoline_kernelINS0_14default_configENS1_36segmented_radix_sort_config_selectorIblEEZNS1_25segmented_radix_sort_implIS3_Lb0EPKbPbPKlPlN2at6native12_GLOBAL__N_18offset_tEEE10hipError_tPvRmT1_PNSt15iterator_traitsISK_E10value_typeET2_T3_PNSL_ISQ_E10value_typeET4_jRbjT5_SW_jjP12ihipStream_tbEUlT_E2_NS1_11comp_targetILNS1_3genE3ELNS1_11target_archE908ELNS1_3gpuE7ELNS1_3repE0EEENS1_30default_config_static_selectorELNS0_4arch9wavefront6targetE0EEEvSK_.num_agpr, 0
	.set _ZN7rocprim17ROCPRIM_400000_NS6detail17trampoline_kernelINS0_14default_configENS1_36segmented_radix_sort_config_selectorIblEEZNS1_25segmented_radix_sort_implIS3_Lb0EPKbPbPKlPlN2at6native12_GLOBAL__N_18offset_tEEE10hipError_tPvRmT1_PNSt15iterator_traitsISK_E10value_typeET2_T3_PNSL_ISQ_E10value_typeET4_jRbjT5_SW_jjP12ihipStream_tbEUlT_E2_NS1_11comp_targetILNS1_3genE3ELNS1_11target_archE908ELNS1_3gpuE7ELNS1_3repE0EEENS1_30default_config_static_selectorELNS0_4arch9wavefront6targetE0EEEvSK_.numbered_sgpr, 0
	.set _ZN7rocprim17ROCPRIM_400000_NS6detail17trampoline_kernelINS0_14default_configENS1_36segmented_radix_sort_config_selectorIblEEZNS1_25segmented_radix_sort_implIS3_Lb0EPKbPbPKlPlN2at6native12_GLOBAL__N_18offset_tEEE10hipError_tPvRmT1_PNSt15iterator_traitsISK_E10value_typeET2_T3_PNSL_ISQ_E10value_typeET4_jRbjT5_SW_jjP12ihipStream_tbEUlT_E2_NS1_11comp_targetILNS1_3genE3ELNS1_11target_archE908ELNS1_3gpuE7ELNS1_3repE0EEENS1_30default_config_static_selectorELNS0_4arch9wavefront6targetE0EEEvSK_.num_named_barrier, 0
	.set _ZN7rocprim17ROCPRIM_400000_NS6detail17trampoline_kernelINS0_14default_configENS1_36segmented_radix_sort_config_selectorIblEEZNS1_25segmented_radix_sort_implIS3_Lb0EPKbPbPKlPlN2at6native12_GLOBAL__N_18offset_tEEE10hipError_tPvRmT1_PNSt15iterator_traitsISK_E10value_typeET2_T3_PNSL_ISQ_E10value_typeET4_jRbjT5_SW_jjP12ihipStream_tbEUlT_E2_NS1_11comp_targetILNS1_3genE3ELNS1_11target_archE908ELNS1_3gpuE7ELNS1_3repE0EEENS1_30default_config_static_selectorELNS0_4arch9wavefront6targetE0EEEvSK_.private_seg_size, 0
	.set _ZN7rocprim17ROCPRIM_400000_NS6detail17trampoline_kernelINS0_14default_configENS1_36segmented_radix_sort_config_selectorIblEEZNS1_25segmented_radix_sort_implIS3_Lb0EPKbPbPKlPlN2at6native12_GLOBAL__N_18offset_tEEE10hipError_tPvRmT1_PNSt15iterator_traitsISK_E10value_typeET2_T3_PNSL_ISQ_E10value_typeET4_jRbjT5_SW_jjP12ihipStream_tbEUlT_E2_NS1_11comp_targetILNS1_3genE3ELNS1_11target_archE908ELNS1_3gpuE7ELNS1_3repE0EEENS1_30default_config_static_selectorELNS0_4arch9wavefront6targetE0EEEvSK_.uses_vcc, 0
	.set _ZN7rocprim17ROCPRIM_400000_NS6detail17trampoline_kernelINS0_14default_configENS1_36segmented_radix_sort_config_selectorIblEEZNS1_25segmented_radix_sort_implIS3_Lb0EPKbPbPKlPlN2at6native12_GLOBAL__N_18offset_tEEE10hipError_tPvRmT1_PNSt15iterator_traitsISK_E10value_typeET2_T3_PNSL_ISQ_E10value_typeET4_jRbjT5_SW_jjP12ihipStream_tbEUlT_E2_NS1_11comp_targetILNS1_3genE3ELNS1_11target_archE908ELNS1_3gpuE7ELNS1_3repE0EEENS1_30default_config_static_selectorELNS0_4arch9wavefront6targetE0EEEvSK_.uses_flat_scratch, 0
	.set _ZN7rocprim17ROCPRIM_400000_NS6detail17trampoline_kernelINS0_14default_configENS1_36segmented_radix_sort_config_selectorIblEEZNS1_25segmented_radix_sort_implIS3_Lb0EPKbPbPKlPlN2at6native12_GLOBAL__N_18offset_tEEE10hipError_tPvRmT1_PNSt15iterator_traitsISK_E10value_typeET2_T3_PNSL_ISQ_E10value_typeET4_jRbjT5_SW_jjP12ihipStream_tbEUlT_E2_NS1_11comp_targetILNS1_3genE3ELNS1_11target_archE908ELNS1_3gpuE7ELNS1_3repE0EEENS1_30default_config_static_selectorELNS0_4arch9wavefront6targetE0EEEvSK_.has_dyn_sized_stack, 0
	.set _ZN7rocprim17ROCPRIM_400000_NS6detail17trampoline_kernelINS0_14default_configENS1_36segmented_radix_sort_config_selectorIblEEZNS1_25segmented_radix_sort_implIS3_Lb0EPKbPbPKlPlN2at6native12_GLOBAL__N_18offset_tEEE10hipError_tPvRmT1_PNSt15iterator_traitsISK_E10value_typeET2_T3_PNSL_ISQ_E10value_typeET4_jRbjT5_SW_jjP12ihipStream_tbEUlT_E2_NS1_11comp_targetILNS1_3genE3ELNS1_11target_archE908ELNS1_3gpuE7ELNS1_3repE0EEENS1_30default_config_static_selectorELNS0_4arch9wavefront6targetE0EEEvSK_.has_recursion, 0
	.set _ZN7rocprim17ROCPRIM_400000_NS6detail17trampoline_kernelINS0_14default_configENS1_36segmented_radix_sort_config_selectorIblEEZNS1_25segmented_radix_sort_implIS3_Lb0EPKbPbPKlPlN2at6native12_GLOBAL__N_18offset_tEEE10hipError_tPvRmT1_PNSt15iterator_traitsISK_E10value_typeET2_T3_PNSL_ISQ_E10value_typeET4_jRbjT5_SW_jjP12ihipStream_tbEUlT_E2_NS1_11comp_targetILNS1_3genE3ELNS1_11target_archE908ELNS1_3gpuE7ELNS1_3repE0EEENS1_30default_config_static_selectorELNS0_4arch9wavefront6targetE0EEEvSK_.has_indirect_call, 0
	.section	.AMDGPU.csdata,"",@progbits
; Kernel info:
; codeLenInByte = 0
; TotalNumSgprs: 0
; NumVgprs: 0
; ScratchSize: 0
; MemoryBound: 0
; FloatMode: 240
; IeeeMode: 1
; LDSByteSize: 0 bytes/workgroup (compile time only)
; SGPRBlocks: 0
; VGPRBlocks: 0
; NumSGPRsForWavesPerEU: 1
; NumVGPRsForWavesPerEU: 1
; Occupancy: 16
; WaveLimiterHint : 0
; COMPUTE_PGM_RSRC2:SCRATCH_EN: 0
; COMPUTE_PGM_RSRC2:USER_SGPR: 6
; COMPUTE_PGM_RSRC2:TRAP_HANDLER: 0
; COMPUTE_PGM_RSRC2:TGID_X_EN: 1
; COMPUTE_PGM_RSRC2:TGID_Y_EN: 0
; COMPUTE_PGM_RSRC2:TGID_Z_EN: 0
; COMPUTE_PGM_RSRC2:TIDIG_COMP_CNT: 0
	.section	.text._ZN7rocprim17ROCPRIM_400000_NS6detail17trampoline_kernelINS0_14default_configENS1_36segmented_radix_sort_config_selectorIblEEZNS1_25segmented_radix_sort_implIS3_Lb0EPKbPbPKlPlN2at6native12_GLOBAL__N_18offset_tEEE10hipError_tPvRmT1_PNSt15iterator_traitsISK_E10value_typeET2_T3_PNSL_ISQ_E10value_typeET4_jRbjT5_SW_jjP12ihipStream_tbEUlT_E2_NS1_11comp_targetILNS1_3genE2ELNS1_11target_archE906ELNS1_3gpuE6ELNS1_3repE0EEENS1_30default_config_static_selectorELNS0_4arch9wavefront6targetE0EEEvSK_,"axG",@progbits,_ZN7rocprim17ROCPRIM_400000_NS6detail17trampoline_kernelINS0_14default_configENS1_36segmented_radix_sort_config_selectorIblEEZNS1_25segmented_radix_sort_implIS3_Lb0EPKbPbPKlPlN2at6native12_GLOBAL__N_18offset_tEEE10hipError_tPvRmT1_PNSt15iterator_traitsISK_E10value_typeET2_T3_PNSL_ISQ_E10value_typeET4_jRbjT5_SW_jjP12ihipStream_tbEUlT_E2_NS1_11comp_targetILNS1_3genE2ELNS1_11target_archE906ELNS1_3gpuE6ELNS1_3repE0EEENS1_30default_config_static_selectorELNS0_4arch9wavefront6targetE0EEEvSK_,comdat
	.globl	_ZN7rocprim17ROCPRIM_400000_NS6detail17trampoline_kernelINS0_14default_configENS1_36segmented_radix_sort_config_selectorIblEEZNS1_25segmented_radix_sort_implIS3_Lb0EPKbPbPKlPlN2at6native12_GLOBAL__N_18offset_tEEE10hipError_tPvRmT1_PNSt15iterator_traitsISK_E10value_typeET2_T3_PNSL_ISQ_E10value_typeET4_jRbjT5_SW_jjP12ihipStream_tbEUlT_E2_NS1_11comp_targetILNS1_3genE2ELNS1_11target_archE906ELNS1_3gpuE6ELNS1_3repE0EEENS1_30default_config_static_selectorELNS0_4arch9wavefront6targetE0EEEvSK_ ; -- Begin function _ZN7rocprim17ROCPRIM_400000_NS6detail17trampoline_kernelINS0_14default_configENS1_36segmented_radix_sort_config_selectorIblEEZNS1_25segmented_radix_sort_implIS3_Lb0EPKbPbPKlPlN2at6native12_GLOBAL__N_18offset_tEEE10hipError_tPvRmT1_PNSt15iterator_traitsISK_E10value_typeET2_T3_PNSL_ISQ_E10value_typeET4_jRbjT5_SW_jjP12ihipStream_tbEUlT_E2_NS1_11comp_targetILNS1_3genE2ELNS1_11target_archE906ELNS1_3gpuE6ELNS1_3repE0EEENS1_30default_config_static_selectorELNS0_4arch9wavefront6targetE0EEEvSK_
	.p2align	8
	.type	_ZN7rocprim17ROCPRIM_400000_NS6detail17trampoline_kernelINS0_14default_configENS1_36segmented_radix_sort_config_selectorIblEEZNS1_25segmented_radix_sort_implIS3_Lb0EPKbPbPKlPlN2at6native12_GLOBAL__N_18offset_tEEE10hipError_tPvRmT1_PNSt15iterator_traitsISK_E10value_typeET2_T3_PNSL_ISQ_E10value_typeET4_jRbjT5_SW_jjP12ihipStream_tbEUlT_E2_NS1_11comp_targetILNS1_3genE2ELNS1_11target_archE906ELNS1_3gpuE6ELNS1_3repE0EEENS1_30default_config_static_selectorELNS0_4arch9wavefront6targetE0EEEvSK_,@function
_ZN7rocprim17ROCPRIM_400000_NS6detail17trampoline_kernelINS0_14default_configENS1_36segmented_radix_sort_config_selectorIblEEZNS1_25segmented_radix_sort_implIS3_Lb0EPKbPbPKlPlN2at6native12_GLOBAL__N_18offset_tEEE10hipError_tPvRmT1_PNSt15iterator_traitsISK_E10value_typeET2_T3_PNSL_ISQ_E10value_typeET4_jRbjT5_SW_jjP12ihipStream_tbEUlT_E2_NS1_11comp_targetILNS1_3genE2ELNS1_11target_archE906ELNS1_3gpuE6ELNS1_3repE0EEENS1_30default_config_static_selectorELNS0_4arch9wavefront6targetE0EEEvSK_: ; @_ZN7rocprim17ROCPRIM_400000_NS6detail17trampoline_kernelINS0_14default_configENS1_36segmented_radix_sort_config_selectorIblEEZNS1_25segmented_radix_sort_implIS3_Lb0EPKbPbPKlPlN2at6native12_GLOBAL__N_18offset_tEEE10hipError_tPvRmT1_PNSt15iterator_traitsISK_E10value_typeET2_T3_PNSL_ISQ_E10value_typeET4_jRbjT5_SW_jjP12ihipStream_tbEUlT_E2_NS1_11comp_targetILNS1_3genE2ELNS1_11target_archE906ELNS1_3gpuE6ELNS1_3repE0EEENS1_30default_config_static_selectorELNS0_4arch9wavefront6targetE0EEEvSK_
; %bb.0:
	.section	.rodata,"a",@progbits
	.p2align	6, 0x0
	.amdhsa_kernel _ZN7rocprim17ROCPRIM_400000_NS6detail17trampoline_kernelINS0_14default_configENS1_36segmented_radix_sort_config_selectorIblEEZNS1_25segmented_radix_sort_implIS3_Lb0EPKbPbPKlPlN2at6native12_GLOBAL__N_18offset_tEEE10hipError_tPvRmT1_PNSt15iterator_traitsISK_E10value_typeET2_T3_PNSL_ISQ_E10value_typeET4_jRbjT5_SW_jjP12ihipStream_tbEUlT_E2_NS1_11comp_targetILNS1_3genE2ELNS1_11target_archE906ELNS1_3gpuE6ELNS1_3repE0EEENS1_30default_config_static_selectorELNS0_4arch9wavefront6targetE0EEEvSK_
		.amdhsa_group_segment_fixed_size 0
		.amdhsa_private_segment_fixed_size 0
		.amdhsa_kernarg_size 80
		.amdhsa_user_sgpr_count 6
		.amdhsa_user_sgpr_private_segment_buffer 1
		.amdhsa_user_sgpr_dispatch_ptr 0
		.amdhsa_user_sgpr_queue_ptr 0
		.amdhsa_user_sgpr_kernarg_segment_ptr 1
		.amdhsa_user_sgpr_dispatch_id 0
		.amdhsa_user_sgpr_flat_scratch_init 0
		.amdhsa_user_sgpr_private_segment_size 0
		.amdhsa_wavefront_size32 1
		.amdhsa_uses_dynamic_stack 0
		.amdhsa_system_sgpr_private_segment_wavefront_offset 0
		.amdhsa_system_sgpr_workgroup_id_x 1
		.amdhsa_system_sgpr_workgroup_id_y 0
		.amdhsa_system_sgpr_workgroup_id_z 0
		.amdhsa_system_sgpr_workgroup_info 0
		.amdhsa_system_vgpr_workitem_id 0
		.amdhsa_next_free_vgpr 1
		.amdhsa_next_free_sgpr 1
		.amdhsa_reserve_vcc 0
		.amdhsa_reserve_flat_scratch 0
		.amdhsa_float_round_mode_32 0
		.amdhsa_float_round_mode_16_64 0
		.amdhsa_float_denorm_mode_32 3
		.amdhsa_float_denorm_mode_16_64 3
		.amdhsa_dx10_clamp 1
		.amdhsa_ieee_mode 1
		.amdhsa_fp16_overflow 0
		.amdhsa_workgroup_processor_mode 1
		.amdhsa_memory_ordered 1
		.amdhsa_forward_progress 1
		.amdhsa_shared_vgpr_count 0
		.amdhsa_exception_fp_ieee_invalid_op 0
		.amdhsa_exception_fp_denorm_src 0
		.amdhsa_exception_fp_ieee_div_zero 0
		.amdhsa_exception_fp_ieee_overflow 0
		.amdhsa_exception_fp_ieee_underflow 0
		.amdhsa_exception_fp_ieee_inexact 0
		.amdhsa_exception_int_div_zero 0
	.end_amdhsa_kernel
	.section	.text._ZN7rocprim17ROCPRIM_400000_NS6detail17trampoline_kernelINS0_14default_configENS1_36segmented_radix_sort_config_selectorIblEEZNS1_25segmented_radix_sort_implIS3_Lb0EPKbPbPKlPlN2at6native12_GLOBAL__N_18offset_tEEE10hipError_tPvRmT1_PNSt15iterator_traitsISK_E10value_typeET2_T3_PNSL_ISQ_E10value_typeET4_jRbjT5_SW_jjP12ihipStream_tbEUlT_E2_NS1_11comp_targetILNS1_3genE2ELNS1_11target_archE906ELNS1_3gpuE6ELNS1_3repE0EEENS1_30default_config_static_selectorELNS0_4arch9wavefront6targetE0EEEvSK_,"axG",@progbits,_ZN7rocprim17ROCPRIM_400000_NS6detail17trampoline_kernelINS0_14default_configENS1_36segmented_radix_sort_config_selectorIblEEZNS1_25segmented_radix_sort_implIS3_Lb0EPKbPbPKlPlN2at6native12_GLOBAL__N_18offset_tEEE10hipError_tPvRmT1_PNSt15iterator_traitsISK_E10value_typeET2_T3_PNSL_ISQ_E10value_typeET4_jRbjT5_SW_jjP12ihipStream_tbEUlT_E2_NS1_11comp_targetILNS1_3genE2ELNS1_11target_archE906ELNS1_3gpuE6ELNS1_3repE0EEENS1_30default_config_static_selectorELNS0_4arch9wavefront6targetE0EEEvSK_,comdat
.Lfunc_end1659:
	.size	_ZN7rocprim17ROCPRIM_400000_NS6detail17trampoline_kernelINS0_14default_configENS1_36segmented_radix_sort_config_selectorIblEEZNS1_25segmented_radix_sort_implIS3_Lb0EPKbPbPKlPlN2at6native12_GLOBAL__N_18offset_tEEE10hipError_tPvRmT1_PNSt15iterator_traitsISK_E10value_typeET2_T3_PNSL_ISQ_E10value_typeET4_jRbjT5_SW_jjP12ihipStream_tbEUlT_E2_NS1_11comp_targetILNS1_3genE2ELNS1_11target_archE906ELNS1_3gpuE6ELNS1_3repE0EEENS1_30default_config_static_selectorELNS0_4arch9wavefront6targetE0EEEvSK_, .Lfunc_end1659-_ZN7rocprim17ROCPRIM_400000_NS6detail17trampoline_kernelINS0_14default_configENS1_36segmented_radix_sort_config_selectorIblEEZNS1_25segmented_radix_sort_implIS3_Lb0EPKbPbPKlPlN2at6native12_GLOBAL__N_18offset_tEEE10hipError_tPvRmT1_PNSt15iterator_traitsISK_E10value_typeET2_T3_PNSL_ISQ_E10value_typeET4_jRbjT5_SW_jjP12ihipStream_tbEUlT_E2_NS1_11comp_targetILNS1_3genE2ELNS1_11target_archE906ELNS1_3gpuE6ELNS1_3repE0EEENS1_30default_config_static_selectorELNS0_4arch9wavefront6targetE0EEEvSK_
                                        ; -- End function
	.set _ZN7rocprim17ROCPRIM_400000_NS6detail17trampoline_kernelINS0_14default_configENS1_36segmented_radix_sort_config_selectorIblEEZNS1_25segmented_radix_sort_implIS3_Lb0EPKbPbPKlPlN2at6native12_GLOBAL__N_18offset_tEEE10hipError_tPvRmT1_PNSt15iterator_traitsISK_E10value_typeET2_T3_PNSL_ISQ_E10value_typeET4_jRbjT5_SW_jjP12ihipStream_tbEUlT_E2_NS1_11comp_targetILNS1_3genE2ELNS1_11target_archE906ELNS1_3gpuE6ELNS1_3repE0EEENS1_30default_config_static_selectorELNS0_4arch9wavefront6targetE0EEEvSK_.num_vgpr, 0
	.set _ZN7rocprim17ROCPRIM_400000_NS6detail17trampoline_kernelINS0_14default_configENS1_36segmented_radix_sort_config_selectorIblEEZNS1_25segmented_radix_sort_implIS3_Lb0EPKbPbPKlPlN2at6native12_GLOBAL__N_18offset_tEEE10hipError_tPvRmT1_PNSt15iterator_traitsISK_E10value_typeET2_T3_PNSL_ISQ_E10value_typeET4_jRbjT5_SW_jjP12ihipStream_tbEUlT_E2_NS1_11comp_targetILNS1_3genE2ELNS1_11target_archE906ELNS1_3gpuE6ELNS1_3repE0EEENS1_30default_config_static_selectorELNS0_4arch9wavefront6targetE0EEEvSK_.num_agpr, 0
	.set _ZN7rocprim17ROCPRIM_400000_NS6detail17trampoline_kernelINS0_14default_configENS1_36segmented_radix_sort_config_selectorIblEEZNS1_25segmented_radix_sort_implIS3_Lb0EPKbPbPKlPlN2at6native12_GLOBAL__N_18offset_tEEE10hipError_tPvRmT1_PNSt15iterator_traitsISK_E10value_typeET2_T3_PNSL_ISQ_E10value_typeET4_jRbjT5_SW_jjP12ihipStream_tbEUlT_E2_NS1_11comp_targetILNS1_3genE2ELNS1_11target_archE906ELNS1_3gpuE6ELNS1_3repE0EEENS1_30default_config_static_selectorELNS0_4arch9wavefront6targetE0EEEvSK_.numbered_sgpr, 0
	.set _ZN7rocprim17ROCPRIM_400000_NS6detail17trampoline_kernelINS0_14default_configENS1_36segmented_radix_sort_config_selectorIblEEZNS1_25segmented_radix_sort_implIS3_Lb0EPKbPbPKlPlN2at6native12_GLOBAL__N_18offset_tEEE10hipError_tPvRmT1_PNSt15iterator_traitsISK_E10value_typeET2_T3_PNSL_ISQ_E10value_typeET4_jRbjT5_SW_jjP12ihipStream_tbEUlT_E2_NS1_11comp_targetILNS1_3genE2ELNS1_11target_archE906ELNS1_3gpuE6ELNS1_3repE0EEENS1_30default_config_static_selectorELNS0_4arch9wavefront6targetE0EEEvSK_.num_named_barrier, 0
	.set _ZN7rocprim17ROCPRIM_400000_NS6detail17trampoline_kernelINS0_14default_configENS1_36segmented_radix_sort_config_selectorIblEEZNS1_25segmented_radix_sort_implIS3_Lb0EPKbPbPKlPlN2at6native12_GLOBAL__N_18offset_tEEE10hipError_tPvRmT1_PNSt15iterator_traitsISK_E10value_typeET2_T3_PNSL_ISQ_E10value_typeET4_jRbjT5_SW_jjP12ihipStream_tbEUlT_E2_NS1_11comp_targetILNS1_3genE2ELNS1_11target_archE906ELNS1_3gpuE6ELNS1_3repE0EEENS1_30default_config_static_selectorELNS0_4arch9wavefront6targetE0EEEvSK_.private_seg_size, 0
	.set _ZN7rocprim17ROCPRIM_400000_NS6detail17trampoline_kernelINS0_14default_configENS1_36segmented_radix_sort_config_selectorIblEEZNS1_25segmented_radix_sort_implIS3_Lb0EPKbPbPKlPlN2at6native12_GLOBAL__N_18offset_tEEE10hipError_tPvRmT1_PNSt15iterator_traitsISK_E10value_typeET2_T3_PNSL_ISQ_E10value_typeET4_jRbjT5_SW_jjP12ihipStream_tbEUlT_E2_NS1_11comp_targetILNS1_3genE2ELNS1_11target_archE906ELNS1_3gpuE6ELNS1_3repE0EEENS1_30default_config_static_selectorELNS0_4arch9wavefront6targetE0EEEvSK_.uses_vcc, 0
	.set _ZN7rocprim17ROCPRIM_400000_NS6detail17trampoline_kernelINS0_14default_configENS1_36segmented_radix_sort_config_selectorIblEEZNS1_25segmented_radix_sort_implIS3_Lb0EPKbPbPKlPlN2at6native12_GLOBAL__N_18offset_tEEE10hipError_tPvRmT1_PNSt15iterator_traitsISK_E10value_typeET2_T3_PNSL_ISQ_E10value_typeET4_jRbjT5_SW_jjP12ihipStream_tbEUlT_E2_NS1_11comp_targetILNS1_3genE2ELNS1_11target_archE906ELNS1_3gpuE6ELNS1_3repE0EEENS1_30default_config_static_selectorELNS0_4arch9wavefront6targetE0EEEvSK_.uses_flat_scratch, 0
	.set _ZN7rocprim17ROCPRIM_400000_NS6detail17trampoline_kernelINS0_14default_configENS1_36segmented_radix_sort_config_selectorIblEEZNS1_25segmented_radix_sort_implIS3_Lb0EPKbPbPKlPlN2at6native12_GLOBAL__N_18offset_tEEE10hipError_tPvRmT1_PNSt15iterator_traitsISK_E10value_typeET2_T3_PNSL_ISQ_E10value_typeET4_jRbjT5_SW_jjP12ihipStream_tbEUlT_E2_NS1_11comp_targetILNS1_3genE2ELNS1_11target_archE906ELNS1_3gpuE6ELNS1_3repE0EEENS1_30default_config_static_selectorELNS0_4arch9wavefront6targetE0EEEvSK_.has_dyn_sized_stack, 0
	.set _ZN7rocprim17ROCPRIM_400000_NS6detail17trampoline_kernelINS0_14default_configENS1_36segmented_radix_sort_config_selectorIblEEZNS1_25segmented_radix_sort_implIS3_Lb0EPKbPbPKlPlN2at6native12_GLOBAL__N_18offset_tEEE10hipError_tPvRmT1_PNSt15iterator_traitsISK_E10value_typeET2_T3_PNSL_ISQ_E10value_typeET4_jRbjT5_SW_jjP12ihipStream_tbEUlT_E2_NS1_11comp_targetILNS1_3genE2ELNS1_11target_archE906ELNS1_3gpuE6ELNS1_3repE0EEENS1_30default_config_static_selectorELNS0_4arch9wavefront6targetE0EEEvSK_.has_recursion, 0
	.set _ZN7rocprim17ROCPRIM_400000_NS6detail17trampoline_kernelINS0_14default_configENS1_36segmented_radix_sort_config_selectorIblEEZNS1_25segmented_radix_sort_implIS3_Lb0EPKbPbPKlPlN2at6native12_GLOBAL__N_18offset_tEEE10hipError_tPvRmT1_PNSt15iterator_traitsISK_E10value_typeET2_T3_PNSL_ISQ_E10value_typeET4_jRbjT5_SW_jjP12ihipStream_tbEUlT_E2_NS1_11comp_targetILNS1_3genE2ELNS1_11target_archE906ELNS1_3gpuE6ELNS1_3repE0EEENS1_30default_config_static_selectorELNS0_4arch9wavefront6targetE0EEEvSK_.has_indirect_call, 0
	.section	.AMDGPU.csdata,"",@progbits
; Kernel info:
; codeLenInByte = 0
; TotalNumSgprs: 0
; NumVgprs: 0
; ScratchSize: 0
; MemoryBound: 0
; FloatMode: 240
; IeeeMode: 1
; LDSByteSize: 0 bytes/workgroup (compile time only)
; SGPRBlocks: 0
; VGPRBlocks: 0
; NumSGPRsForWavesPerEU: 1
; NumVGPRsForWavesPerEU: 1
; Occupancy: 16
; WaveLimiterHint : 0
; COMPUTE_PGM_RSRC2:SCRATCH_EN: 0
; COMPUTE_PGM_RSRC2:USER_SGPR: 6
; COMPUTE_PGM_RSRC2:TRAP_HANDLER: 0
; COMPUTE_PGM_RSRC2:TGID_X_EN: 1
; COMPUTE_PGM_RSRC2:TGID_Y_EN: 0
; COMPUTE_PGM_RSRC2:TGID_Z_EN: 0
; COMPUTE_PGM_RSRC2:TIDIG_COMP_CNT: 0
	.section	.text._ZN7rocprim17ROCPRIM_400000_NS6detail17trampoline_kernelINS0_14default_configENS1_36segmented_radix_sort_config_selectorIblEEZNS1_25segmented_radix_sort_implIS3_Lb0EPKbPbPKlPlN2at6native12_GLOBAL__N_18offset_tEEE10hipError_tPvRmT1_PNSt15iterator_traitsISK_E10value_typeET2_T3_PNSL_ISQ_E10value_typeET4_jRbjT5_SW_jjP12ihipStream_tbEUlT_E2_NS1_11comp_targetILNS1_3genE10ELNS1_11target_archE1201ELNS1_3gpuE5ELNS1_3repE0EEENS1_30default_config_static_selectorELNS0_4arch9wavefront6targetE0EEEvSK_,"axG",@progbits,_ZN7rocprim17ROCPRIM_400000_NS6detail17trampoline_kernelINS0_14default_configENS1_36segmented_radix_sort_config_selectorIblEEZNS1_25segmented_radix_sort_implIS3_Lb0EPKbPbPKlPlN2at6native12_GLOBAL__N_18offset_tEEE10hipError_tPvRmT1_PNSt15iterator_traitsISK_E10value_typeET2_T3_PNSL_ISQ_E10value_typeET4_jRbjT5_SW_jjP12ihipStream_tbEUlT_E2_NS1_11comp_targetILNS1_3genE10ELNS1_11target_archE1201ELNS1_3gpuE5ELNS1_3repE0EEENS1_30default_config_static_selectorELNS0_4arch9wavefront6targetE0EEEvSK_,comdat
	.globl	_ZN7rocprim17ROCPRIM_400000_NS6detail17trampoline_kernelINS0_14default_configENS1_36segmented_radix_sort_config_selectorIblEEZNS1_25segmented_radix_sort_implIS3_Lb0EPKbPbPKlPlN2at6native12_GLOBAL__N_18offset_tEEE10hipError_tPvRmT1_PNSt15iterator_traitsISK_E10value_typeET2_T3_PNSL_ISQ_E10value_typeET4_jRbjT5_SW_jjP12ihipStream_tbEUlT_E2_NS1_11comp_targetILNS1_3genE10ELNS1_11target_archE1201ELNS1_3gpuE5ELNS1_3repE0EEENS1_30default_config_static_selectorELNS0_4arch9wavefront6targetE0EEEvSK_ ; -- Begin function _ZN7rocprim17ROCPRIM_400000_NS6detail17trampoline_kernelINS0_14default_configENS1_36segmented_radix_sort_config_selectorIblEEZNS1_25segmented_radix_sort_implIS3_Lb0EPKbPbPKlPlN2at6native12_GLOBAL__N_18offset_tEEE10hipError_tPvRmT1_PNSt15iterator_traitsISK_E10value_typeET2_T3_PNSL_ISQ_E10value_typeET4_jRbjT5_SW_jjP12ihipStream_tbEUlT_E2_NS1_11comp_targetILNS1_3genE10ELNS1_11target_archE1201ELNS1_3gpuE5ELNS1_3repE0EEENS1_30default_config_static_selectorELNS0_4arch9wavefront6targetE0EEEvSK_
	.p2align	8
	.type	_ZN7rocprim17ROCPRIM_400000_NS6detail17trampoline_kernelINS0_14default_configENS1_36segmented_radix_sort_config_selectorIblEEZNS1_25segmented_radix_sort_implIS3_Lb0EPKbPbPKlPlN2at6native12_GLOBAL__N_18offset_tEEE10hipError_tPvRmT1_PNSt15iterator_traitsISK_E10value_typeET2_T3_PNSL_ISQ_E10value_typeET4_jRbjT5_SW_jjP12ihipStream_tbEUlT_E2_NS1_11comp_targetILNS1_3genE10ELNS1_11target_archE1201ELNS1_3gpuE5ELNS1_3repE0EEENS1_30default_config_static_selectorELNS0_4arch9wavefront6targetE0EEEvSK_,@function
_ZN7rocprim17ROCPRIM_400000_NS6detail17trampoline_kernelINS0_14default_configENS1_36segmented_radix_sort_config_selectorIblEEZNS1_25segmented_radix_sort_implIS3_Lb0EPKbPbPKlPlN2at6native12_GLOBAL__N_18offset_tEEE10hipError_tPvRmT1_PNSt15iterator_traitsISK_E10value_typeET2_T3_PNSL_ISQ_E10value_typeET4_jRbjT5_SW_jjP12ihipStream_tbEUlT_E2_NS1_11comp_targetILNS1_3genE10ELNS1_11target_archE1201ELNS1_3gpuE5ELNS1_3repE0EEENS1_30default_config_static_selectorELNS0_4arch9wavefront6targetE0EEEvSK_: ; @_ZN7rocprim17ROCPRIM_400000_NS6detail17trampoline_kernelINS0_14default_configENS1_36segmented_radix_sort_config_selectorIblEEZNS1_25segmented_radix_sort_implIS3_Lb0EPKbPbPKlPlN2at6native12_GLOBAL__N_18offset_tEEE10hipError_tPvRmT1_PNSt15iterator_traitsISK_E10value_typeET2_T3_PNSL_ISQ_E10value_typeET4_jRbjT5_SW_jjP12ihipStream_tbEUlT_E2_NS1_11comp_targetILNS1_3genE10ELNS1_11target_archE1201ELNS1_3gpuE5ELNS1_3repE0EEENS1_30default_config_static_selectorELNS0_4arch9wavefront6targetE0EEEvSK_
; %bb.0:
	.section	.rodata,"a",@progbits
	.p2align	6, 0x0
	.amdhsa_kernel _ZN7rocprim17ROCPRIM_400000_NS6detail17trampoline_kernelINS0_14default_configENS1_36segmented_radix_sort_config_selectorIblEEZNS1_25segmented_radix_sort_implIS3_Lb0EPKbPbPKlPlN2at6native12_GLOBAL__N_18offset_tEEE10hipError_tPvRmT1_PNSt15iterator_traitsISK_E10value_typeET2_T3_PNSL_ISQ_E10value_typeET4_jRbjT5_SW_jjP12ihipStream_tbEUlT_E2_NS1_11comp_targetILNS1_3genE10ELNS1_11target_archE1201ELNS1_3gpuE5ELNS1_3repE0EEENS1_30default_config_static_selectorELNS0_4arch9wavefront6targetE0EEEvSK_
		.amdhsa_group_segment_fixed_size 0
		.amdhsa_private_segment_fixed_size 0
		.amdhsa_kernarg_size 80
		.amdhsa_user_sgpr_count 6
		.amdhsa_user_sgpr_private_segment_buffer 1
		.amdhsa_user_sgpr_dispatch_ptr 0
		.amdhsa_user_sgpr_queue_ptr 0
		.amdhsa_user_sgpr_kernarg_segment_ptr 1
		.amdhsa_user_sgpr_dispatch_id 0
		.amdhsa_user_sgpr_flat_scratch_init 0
		.amdhsa_user_sgpr_private_segment_size 0
		.amdhsa_wavefront_size32 1
		.amdhsa_uses_dynamic_stack 0
		.amdhsa_system_sgpr_private_segment_wavefront_offset 0
		.amdhsa_system_sgpr_workgroup_id_x 1
		.amdhsa_system_sgpr_workgroup_id_y 0
		.amdhsa_system_sgpr_workgroup_id_z 0
		.amdhsa_system_sgpr_workgroup_info 0
		.amdhsa_system_vgpr_workitem_id 0
		.amdhsa_next_free_vgpr 1
		.amdhsa_next_free_sgpr 1
		.amdhsa_reserve_vcc 0
		.amdhsa_reserve_flat_scratch 0
		.amdhsa_float_round_mode_32 0
		.amdhsa_float_round_mode_16_64 0
		.amdhsa_float_denorm_mode_32 3
		.amdhsa_float_denorm_mode_16_64 3
		.amdhsa_dx10_clamp 1
		.amdhsa_ieee_mode 1
		.amdhsa_fp16_overflow 0
		.amdhsa_workgroup_processor_mode 1
		.amdhsa_memory_ordered 1
		.amdhsa_forward_progress 1
		.amdhsa_shared_vgpr_count 0
		.amdhsa_exception_fp_ieee_invalid_op 0
		.amdhsa_exception_fp_denorm_src 0
		.amdhsa_exception_fp_ieee_div_zero 0
		.amdhsa_exception_fp_ieee_overflow 0
		.amdhsa_exception_fp_ieee_underflow 0
		.amdhsa_exception_fp_ieee_inexact 0
		.amdhsa_exception_int_div_zero 0
	.end_amdhsa_kernel
	.section	.text._ZN7rocprim17ROCPRIM_400000_NS6detail17trampoline_kernelINS0_14default_configENS1_36segmented_radix_sort_config_selectorIblEEZNS1_25segmented_radix_sort_implIS3_Lb0EPKbPbPKlPlN2at6native12_GLOBAL__N_18offset_tEEE10hipError_tPvRmT1_PNSt15iterator_traitsISK_E10value_typeET2_T3_PNSL_ISQ_E10value_typeET4_jRbjT5_SW_jjP12ihipStream_tbEUlT_E2_NS1_11comp_targetILNS1_3genE10ELNS1_11target_archE1201ELNS1_3gpuE5ELNS1_3repE0EEENS1_30default_config_static_selectorELNS0_4arch9wavefront6targetE0EEEvSK_,"axG",@progbits,_ZN7rocprim17ROCPRIM_400000_NS6detail17trampoline_kernelINS0_14default_configENS1_36segmented_radix_sort_config_selectorIblEEZNS1_25segmented_radix_sort_implIS3_Lb0EPKbPbPKlPlN2at6native12_GLOBAL__N_18offset_tEEE10hipError_tPvRmT1_PNSt15iterator_traitsISK_E10value_typeET2_T3_PNSL_ISQ_E10value_typeET4_jRbjT5_SW_jjP12ihipStream_tbEUlT_E2_NS1_11comp_targetILNS1_3genE10ELNS1_11target_archE1201ELNS1_3gpuE5ELNS1_3repE0EEENS1_30default_config_static_selectorELNS0_4arch9wavefront6targetE0EEEvSK_,comdat
.Lfunc_end1660:
	.size	_ZN7rocprim17ROCPRIM_400000_NS6detail17trampoline_kernelINS0_14default_configENS1_36segmented_radix_sort_config_selectorIblEEZNS1_25segmented_radix_sort_implIS3_Lb0EPKbPbPKlPlN2at6native12_GLOBAL__N_18offset_tEEE10hipError_tPvRmT1_PNSt15iterator_traitsISK_E10value_typeET2_T3_PNSL_ISQ_E10value_typeET4_jRbjT5_SW_jjP12ihipStream_tbEUlT_E2_NS1_11comp_targetILNS1_3genE10ELNS1_11target_archE1201ELNS1_3gpuE5ELNS1_3repE0EEENS1_30default_config_static_selectorELNS0_4arch9wavefront6targetE0EEEvSK_, .Lfunc_end1660-_ZN7rocprim17ROCPRIM_400000_NS6detail17trampoline_kernelINS0_14default_configENS1_36segmented_radix_sort_config_selectorIblEEZNS1_25segmented_radix_sort_implIS3_Lb0EPKbPbPKlPlN2at6native12_GLOBAL__N_18offset_tEEE10hipError_tPvRmT1_PNSt15iterator_traitsISK_E10value_typeET2_T3_PNSL_ISQ_E10value_typeET4_jRbjT5_SW_jjP12ihipStream_tbEUlT_E2_NS1_11comp_targetILNS1_3genE10ELNS1_11target_archE1201ELNS1_3gpuE5ELNS1_3repE0EEENS1_30default_config_static_selectorELNS0_4arch9wavefront6targetE0EEEvSK_
                                        ; -- End function
	.set _ZN7rocprim17ROCPRIM_400000_NS6detail17trampoline_kernelINS0_14default_configENS1_36segmented_radix_sort_config_selectorIblEEZNS1_25segmented_radix_sort_implIS3_Lb0EPKbPbPKlPlN2at6native12_GLOBAL__N_18offset_tEEE10hipError_tPvRmT1_PNSt15iterator_traitsISK_E10value_typeET2_T3_PNSL_ISQ_E10value_typeET4_jRbjT5_SW_jjP12ihipStream_tbEUlT_E2_NS1_11comp_targetILNS1_3genE10ELNS1_11target_archE1201ELNS1_3gpuE5ELNS1_3repE0EEENS1_30default_config_static_selectorELNS0_4arch9wavefront6targetE0EEEvSK_.num_vgpr, 0
	.set _ZN7rocprim17ROCPRIM_400000_NS6detail17trampoline_kernelINS0_14default_configENS1_36segmented_radix_sort_config_selectorIblEEZNS1_25segmented_radix_sort_implIS3_Lb0EPKbPbPKlPlN2at6native12_GLOBAL__N_18offset_tEEE10hipError_tPvRmT1_PNSt15iterator_traitsISK_E10value_typeET2_T3_PNSL_ISQ_E10value_typeET4_jRbjT5_SW_jjP12ihipStream_tbEUlT_E2_NS1_11comp_targetILNS1_3genE10ELNS1_11target_archE1201ELNS1_3gpuE5ELNS1_3repE0EEENS1_30default_config_static_selectorELNS0_4arch9wavefront6targetE0EEEvSK_.num_agpr, 0
	.set _ZN7rocprim17ROCPRIM_400000_NS6detail17trampoline_kernelINS0_14default_configENS1_36segmented_radix_sort_config_selectorIblEEZNS1_25segmented_radix_sort_implIS3_Lb0EPKbPbPKlPlN2at6native12_GLOBAL__N_18offset_tEEE10hipError_tPvRmT1_PNSt15iterator_traitsISK_E10value_typeET2_T3_PNSL_ISQ_E10value_typeET4_jRbjT5_SW_jjP12ihipStream_tbEUlT_E2_NS1_11comp_targetILNS1_3genE10ELNS1_11target_archE1201ELNS1_3gpuE5ELNS1_3repE0EEENS1_30default_config_static_selectorELNS0_4arch9wavefront6targetE0EEEvSK_.numbered_sgpr, 0
	.set _ZN7rocprim17ROCPRIM_400000_NS6detail17trampoline_kernelINS0_14default_configENS1_36segmented_radix_sort_config_selectorIblEEZNS1_25segmented_radix_sort_implIS3_Lb0EPKbPbPKlPlN2at6native12_GLOBAL__N_18offset_tEEE10hipError_tPvRmT1_PNSt15iterator_traitsISK_E10value_typeET2_T3_PNSL_ISQ_E10value_typeET4_jRbjT5_SW_jjP12ihipStream_tbEUlT_E2_NS1_11comp_targetILNS1_3genE10ELNS1_11target_archE1201ELNS1_3gpuE5ELNS1_3repE0EEENS1_30default_config_static_selectorELNS0_4arch9wavefront6targetE0EEEvSK_.num_named_barrier, 0
	.set _ZN7rocprim17ROCPRIM_400000_NS6detail17trampoline_kernelINS0_14default_configENS1_36segmented_radix_sort_config_selectorIblEEZNS1_25segmented_radix_sort_implIS3_Lb0EPKbPbPKlPlN2at6native12_GLOBAL__N_18offset_tEEE10hipError_tPvRmT1_PNSt15iterator_traitsISK_E10value_typeET2_T3_PNSL_ISQ_E10value_typeET4_jRbjT5_SW_jjP12ihipStream_tbEUlT_E2_NS1_11comp_targetILNS1_3genE10ELNS1_11target_archE1201ELNS1_3gpuE5ELNS1_3repE0EEENS1_30default_config_static_selectorELNS0_4arch9wavefront6targetE0EEEvSK_.private_seg_size, 0
	.set _ZN7rocprim17ROCPRIM_400000_NS6detail17trampoline_kernelINS0_14default_configENS1_36segmented_radix_sort_config_selectorIblEEZNS1_25segmented_radix_sort_implIS3_Lb0EPKbPbPKlPlN2at6native12_GLOBAL__N_18offset_tEEE10hipError_tPvRmT1_PNSt15iterator_traitsISK_E10value_typeET2_T3_PNSL_ISQ_E10value_typeET4_jRbjT5_SW_jjP12ihipStream_tbEUlT_E2_NS1_11comp_targetILNS1_3genE10ELNS1_11target_archE1201ELNS1_3gpuE5ELNS1_3repE0EEENS1_30default_config_static_selectorELNS0_4arch9wavefront6targetE0EEEvSK_.uses_vcc, 0
	.set _ZN7rocprim17ROCPRIM_400000_NS6detail17trampoline_kernelINS0_14default_configENS1_36segmented_radix_sort_config_selectorIblEEZNS1_25segmented_radix_sort_implIS3_Lb0EPKbPbPKlPlN2at6native12_GLOBAL__N_18offset_tEEE10hipError_tPvRmT1_PNSt15iterator_traitsISK_E10value_typeET2_T3_PNSL_ISQ_E10value_typeET4_jRbjT5_SW_jjP12ihipStream_tbEUlT_E2_NS1_11comp_targetILNS1_3genE10ELNS1_11target_archE1201ELNS1_3gpuE5ELNS1_3repE0EEENS1_30default_config_static_selectorELNS0_4arch9wavefront6targetE0EEEvSK_.uses_flat_scratch, 0
	.set _ZN7rocprim17ROCPRIM_400000_NS6detail17trampoline_kernelINS0_14default_configENS1_36segmented_radix_sort_config_selectorIblEEZNS1_25segmented_radix_sort_implIS3_Lb0EPKbPbPKlPlN2at6native12_GLOBAL__N_18offset_tEEE10hipError_tPvRmT1_PNSt15iterator_traitsISK_E10value_typeET2_T3_PNSL_ISQ_E10value_typeET4_jRbjT5_SW_jjP12ihipStream_tbEUlT_E2_NS1_11comp_targetILNS1_3genE10ELNS1_11target_archE1201ELNS1_3gpuE5ELNS1_3repE0EEENS1_30default_config_static_selectorELNS0_4arch9wavefront6targetE0EEEvSK_.has_dyn_sized_stack, 0
	.set _ZN7rocprim17ROCPRIM_400000_NS6detail17trampoline_kernelINS0_14default_configENS1_36segmented_radix_sort_config_selectorIblEEZNS1_25segmented_radix_sort_implIS3_Lb0EPKbPbPKlPlN2at6native12_GLOBAL__N_18offset_tEEE10hipError_tPvRmT1_PNSt15iterator_traitsISK_E10value_typeET2_T3_PNSL_ISQ_E10value_typeET4_jRbjT5_SW_jjP12ihipStream_tbEUlT_E2_NS1_11comp_targetILNS1_3genE10ELNS1_11target_archE1201ELNS1_3gpuE5ELNS1_3repE0EEENS1_30default_config_static_selectorELNS0_4arch9wavefront6targetE0EEEvSK_.has_recursion, 0
	.set _ZN7rocprim17ROCPRIM_400000_NS6detail17trampoline_kernelINS0_14default_configENS1_36segmented_radix_sort_config_selectorIblEEZNS1_25segmented_radix_sort_implIS3_Lb0EPKbPbPKlPlN2at6native12_GLOBAL__N_18offset_tEEE10hipError_tPvRmT1_PNSt15iterator_traitsISK_E10value_typeET2_T3_PNSL_ISQ_E10value_typeET4_jRbjT5_SW_jjP12ihipStream_tbEUlT_E2_NS1_11comp_targetILNS1_3genE10ELNS1_11target_archE1201ELNS1_3gpuE5ELNS1_3repE0EEENS1_30default_config_static_selectorELNS0_4arch9wavefront6targetE0EEEvSK_.has_indirect_call, 0
	.section	.AMDGPU.csdata,"",@progbits
; Kernel info:
; codeLenInByte = 0
; TotalNumSgprs: 0
; NumVgprs: 0
; ScratchSize: 0
; MemoryBound: 0
; FloatMode: 240
; IeeeMode: 1
; LDSByteSize: 0 bytes/workgroup (compile time only)
; SGPRBlocks: 0
; VGPRBlocks: 0
; NumSGPRsForWavesPerEU: 1
; NumVGPRsForWavesPerEU: 1
; Occupancy: 16
; WaveLimiterHint : 0
; COMPUTE_PGM_RSRC2:SCRATCH_EN: 0
; COMPUTE_PGM_RSRC2:USER_SGPR: 6
; COMPUTE_PGM_RSRC2:TRAP_HANDLER: 0
; COMPUTE_PGM_RSRC2:TGID_X_EN: 1
; COMPUTE_PGM_RSRC2:TGID_Y_EN: 0
; COMPUTE_PGM_RSRC2:TGID_Z_EN: 0
; COMPUTE_PGM_RSRC2:TIDIG_COMP_CNT: 0
	.section	.text._ZN7rocprim17ROCPRIM_400000_NS6detail17trampoline_kernelINS0_14default_configENS1_36segmented_radix_sort_config_selectorIblEEZNS1_25segmented_radix_sort_implIS3_Lb0EPKbPbPKlPlN2at6native12_GLOBAL__N_18offset_tEEE10hipError_tPvRmT1_PNSt15iterator_traitsISK_E10value_typeET2_T3_PNSL_ISQ_E10value_typeET4_jRbjT5_SW_jjP12ihipStream_tbEUlT_E2_NS1_11comp_targetILNS1_3genE10ELNS1_11target_archE1200ELNS1_3gpuE4ELNS1_3repE0EEENS1_30default_config_static_selectorELNS0_4arch9wavefront6targetE0EEEvSK_,"axG",@progbits,_ZN7rocprim17ROCPRIM_400000_NS6detail17trampoline_kernelINS0_14default_configENS1_36segmented_radix_sort_config_selectorIblEEZNS1_25segmented_radix_sort_implIS3_Lb0EPKbPbPKlPlN2at6native12_GLOBAL__N_18offset_tEEE10hipError_tPvRmT1_PNSt15iterator_traitsISK_E10value_typeET2_T3_PNSL_ISQ_E10value_typeET4_jRbjT5_SW_jjP12ihipStream_tbEUlT_E2_NS1_11comp_targetILNS1_3genE10ELNS1_11target_archE1200ELNS1_3gpuE4ELNS1_3repE0EEENS1_30default_config_static_selectorELNS0_4arch9wavefront6targetE0EEEvSK_,comdat
	.globl	_ZN7rocprim17ROCPRIM_400000_NS6detail17trampoline_kernelINS0_14default_configENS1_36segmented_radix_sort_config_selectorIblEEZNS1_25segmented_radix_sort_implIS3_Lb0EPKbPbPKlPlN2at6native12_GLOBAL__N_18offset_tEEE10hipError_tPvRmT1_PNSt15iterator_traitsISK_E10value_typeET2_T3_PNSL_ISQ_E10value_typeET4_jRbjT5_SW_jjP12ihipStream_tbEUlT_E2_NS1_11comp_targetILNS1_3genE10ELNS1_11target_archE1200ELNS1_3gpuE4ELNS1_3repE0EEENS1_30default_config_static_selectorELNS0_4arch9wavefront6targetE0EEEvSK_ ; -- Begin function _ZN7rocprim17ROCPRIM_400000_NS6detail17trampoline_kernelINS0_14default_configENS1_36segmented_radix_sort_config_selectorIblEEZNS1_25segmented_radix_sort_implIS3_Lb0EPKbPbPKlPlN2at6native12_GLOBAL__N_18offset_tEEE10hipError_tPvRmT1_PNSt15iterator_traitsISK_E10value_typeET2_T3_PNSL_ISQ_E10value_typeET4_jRbjT5_SW_jjP12ihipStream_tbEUlT_E2_NS1_11comp_targetILNS1_3genE10ELNS1_11target_archE1200ELNS1_3gpuE4ELNS1_3repE0EEENS1_30default_config_static_selectorELNS0_4arch9wavefront6targetE0EEEvSK_
	.p2align	8
	.type	_ZN7rocprim17ROCPRIM_400000_NS6detail17trampoline_kernelINS0_14default_configENS1_36segmented_radix_sort_config_selectorIblEEZNS1_25segmented_radix_sort_implIS3_Lb0EPKbPbPKlPlN2at6native12_GLOBAL__N_18offset_tEEE10hipError_tPvRmT1_PNSt15iterator_traitsISK_E10value_typeET2_T3_PNSL_ISQ_E10value_typeET4_jRbjT5_SW_jjP12ihipStream_tbEUlT_E2_NS1_11comp_targetILNS1_3genE10ELNS1_11target_archE1200ELNS1_3gpuE4ELNS1_3repE0EEENS1_30default_config_static_selectorELNS0_4arch9wavefront6targetE0EEEvSK_,@function
_ZN7rocprim17ROCPRIM_400000_NS6detail17trampoline_kernelINS0_14default_configENS1_36segmented_radix_sort_config_selectorIblEEZNS1_25segmented_radix_sort_implIS3_Lb0EPKbPbPKlPlN2at6native12_GLOBAL__N_18offset_tEEE10hipError_tPvRmT1_PNSt15iterator_traitsISK_E10value_typeET2_T3_PNSL_ISQ_E10value_typeET4_jRbjT5_SW_jjP12ihipStream_tbEUlT_E2_NS1_11comp_targetILNS1_3genE10ELNS1_11target_archE1200ELNS1_3gpuE4ELNS1_3repE0EEENS1_30default_config_static_selectorELNS0_4arch9wavefront6targetE0EEEvSK_: ; @_ZN7rocprim17ROCPRIM_400000_NS6detail17trampoline_kernelINS0_14default_configENS1_36segmented_radix_sort_config_selectorIblEEZNS1_25segmented_radix_sort_implIS3_Lb0EPKbPbPKlPlN2at6native12_GLOBAL__N_18offset_tEEE10hipError_tPvRmT1_PNSt15iterator_traitsISK_E10value_typeET2_T3_PNSL_ISQ_E10value_typeET4_jRbjT5_SW_jjP12ihipStream_tbEUlT_E2_NS1_11comp_targetILNS1_3genE10ELNS1_11target_archE1200ELNS1_3gpuE4ELNS1_3repE0EEENS1_30default_config_static_selectorELNS0_4arch9wavefront6targetE0EEEvSK_
; %bb.0:
	.section	.rodata,"a",@progbits
	.p2align	6, 0x0
	.amdhsa_kernel _ZN7rocprim17ROCPRIM_400000_NS6detail17trampoline_kernelINS0_14default_configENS1_36segmented_radix_sort_config_selectorIblEEZNS1_25segmented_radix_sort_implIS3_Lb0EPKbPbPKlPlN2at6native12_GLOBAL__N_18offset_tEEE10hipError_tPvRmT1_PNSt15iterator_traitsISK_E10value_typeET2_T3_PNSL_ISQ_E10value_typeET4_jRbjT5_SW_jjP12ihipStream_tbEUlT_E2_NS1_11comp_targetILNS1_3genE10ELNS1_11target_archE1200ELNS1_3gpuE4ELNS1_3repE0EEENS1_30default_config_static_selectorELNS0_4arch9wavefront6targetE0EEEvSK_
		.amdhsa_group_segment_fixed_size 0
		.amdhsa_private_segment_fixed_size 0
		.amdhsa_kernarg_size 80
		.amdhsa_user_sgpr_count 6
		.amdhsa_user_sgpr_private_segment_buffer 1
		.amdhsa_user_sgpr_dispatch_ptr 0
		.amdhsa_user_sgpr_queue_ptr 0
		.amdhsa_user_sgpr_kernarg_segment_ptr 1
		.amdhsa_user_sgpr_dispatch_id 0
		.amdhsa_user_sgpr_flat_scratch_init 0
		.amdhsa_user_sgpr_private_segment_size 0
		.amdhsa_wavefront_size32 1
		.amdhsa_uses_dynamic_stack 0
		.amdhsa_system_sgpr_private_segment_wavefront_offset 0
		.amdhsa_system_sgpr_workgroup_id_x 1
		.amdhsa_system_sgpr_workgroup_id_y 0
		.amdhsa_system_sgpr_workgroup_id_z 0
		.amdhsa_system_sgpr_workgroup_info 0
		.amdhsa_system_vgpr_workitem_id 0
		.amdhsa_next_free_vgpr 1
		.amdhsa_next_free_sgpr 1
		.amdhsa_reserve_vcc 0
		.amdhsa_reserve_flat_scratch 0
		.amdhsa_float_round_mode_32 0
		.amdhsa_float_round_mode_16_64 0
		.amdhsa_float_denorm_mode_32 3
		.amdhsa_float_denorm_mode_16_64 3
		.amdhsa_dx10_clamp 1
		.amdhsa_ieee_mode 1
		.amdhsa_fp16_overflow 0
		.amdhsa_workgroup_processor_mode 1
		.amdhsa_memory_ordered 1
		.amdhsa_forward_progress 1
		.amdhsa_shared_vgpr_count 0
		.amdhsa_exception_fp_ieee_invalid_op 0
		.amdhsa_exception_fp_denorm_src 0
		.amdhsa_exception_fp_ieee_div_zero 0
		.amdhsa_exception_fp_ieee_overflow 0
		.amdhsa_exception_fp_ieee_underflow 0
		.amdhsa_exception_fp_ieee_inexact 0
		.amdhsa_exception_int_div_zero 0
	.end_amdhsa_kernel
	.section	.text._ZN7rocprim17ROCPRIM_400000_NS6detail17trampoline_kernelINS0_14default_configENS1_36segmented_radix_sort_config_selectorIblEEZNS1_25segmented_radix_sort_implIS3_Lb0EPKbPbPKlPlN2at6native12_GLOBAL__N_18offset_tEEE10hipError_tPvRmT1_PNSt15iterator_traitsISK_E10value_typeET2_T3_PNSL_ISQ_E10value_typeET4_jRbjT5_SW_jjP12ihipStream_tbEUlT_E2_NS1_11comp_targetILNS1_3genE10ELNS1_11target_archE1200ELNS1_3gpuE4ELNS1_3repE0EEENS1_30default_config_static_selectorELNS0_4arch9wavefront6targetE0EEEvSK_,"axG",@progbits,_ZN7rocprim17ROCPRIM_400000_NS6detail17trampoline_kernelINS0_14default_configENS1_36segmented_radix_sort_config_selectorIblEEZNS1_25segmented_radix_sort_implIS3_Lb0EPKbPbPKlPlN2at6native12_GLOBAL__N_18offset_tEEE10hipError_tPvRmT1_PNSt15iterator_traitsISK_E10value_typeET2_T3_PNSL_ISQ_E10value_typeET4_jRbjT5_SW_jjP12ihipStream_tbEUlT_E2_NS1_11comp_targetILNS1_3genE10ELNS1_11target_archE1200ELNS1_3gpuE4ELNS1_3repE0EEENS1_30default_config_static_selectorELNS0_4arch9wavefront6targetE0EEEvSK_,comdat
.Lfunc_end1661:
	.size	_ZN7rocprim17ROCPRIM_400000_NS6detail17trampoline_kernelINS0_14default_configENS1_36segmented_radix_sort_config_selectorIblEEZNS1_25segmented_radix_sort_implIS3_Lb0EPKbPbPKlPlN2at6native12_GLOBAL__N_18offset_tEEE10hipError_tPvRmT1_PNSt15iterator_traitsISK_E10value_typeET2_T3_PNSL_ISQ_E10value_typeET4_jRbjT5_SW_jjP12ihipStream_tbEUlT_E2_NS1_11comp_targetILNS1_3genE10ELNS1_11target_archE1200ELNS1_3gpuE4ELNS1_3repE0EEENS1_30default_config_static_selectorELNS0_4arch9wavefront6targetE0EEEvSK_, .Lfunc_end1661-_ZN7rocprim17ROCPRIM_400000_NS6detail17trampoline_kernelINS0_14default_configENS1_36segmented_radix_sort_config_selectorIblEEZNS1_25segmented_radix_sort_implIS3_Lb0EPKbPbPKlPlN2at6native12_GLOBAL__N_18offset_tEEE10hipError_tPvRmT1_PNSt15iterator_traitsISK_E10value_typeET2_T3_PNSL_ISQ_E10value_typeET4_jRbjT5_SW_jjP12ihipStream_tbEUlT_E2_NS1_11comp_targetILNS1_3genE10ELNS1_11target_archE1200ELNS1_3gpuE4ELNS1_3repE0EEENS1_30default_config_static_selectorELNS0_4arch9wavefront6targetE0EEEvSK_
                                        ; -- End function
	.set _ZN7rocprim17ROCPRIM_400000_NS6detail17trampoline_kernelINS0_14default_configENS1_36segmented_radix_sort_config_selectorIblEEZNS1_25segmented_radix_sort_implIS3_Lb0EPKbPbPKlPlN2at6native12_GLOBAL__N_18offset_tEEE10hipError_tPvRmT1_PNSt15iterator_traitsISK_E10value_typeET2_T3_PNSL_ISQ_E10value_typeET4_jRbjT5_SW_jjP12ihipStream_tbEUlT_E2_NS1_11comp_targetILNS1_3genE10ELNS1_11target_archE1200ELNS1_3gpuE4ELNS1_3repE0EEENS1_30default_config_static_selectorELNS0_4arch9wavefront6targetE0EEEvSK_.num_vgpr, 0
	.set _ZN7rocprim17ROCPRIM_400000_NS6detail17trampoline_kernelINS0_14default_configENS1_36segmented_radix_sort_config_selectorIblEEZNS1_25segmented_radix_sort_implIS3_Lb0EPKbPbPKlPlN2at6native12_GLOBAL__N_18offset_tEEE10hipError_tPvRmT1_PNSt15iterator_traitsISK_E10value_typeET2_T3_PNSL_ISQ_E10value_typeET4_jRbjT5_SW_jjP12ihipStream_tbEUlT_E2_NS1_11comp_targetILNS1_3genE10ELNS1_11target_archE1200ELNS1_3gpuE4ELNS1_3repE0EEENS1_30default_config_static_selectorELNS0_4arch9wavefront6targetE0EEEvSK_.num_agpr, 0
	.set _ZN7rocprim17ROCPRIM_400000_NS6detail17trampoline_kernelINS0_14default_configENS1_36segmented_radix_sort_config_selectorIblEEZNS1_25segmented_radix_sort_implIS3_Lb0EPKbPbPKlPlN2at6native12_GLOBAL__N_18offset_tEEE10hipError_tPvRmT1_PNSt15iterator_traitsISK_E10value_typeET2_T3_PNSL_ISQ_E10value_typeET4_jRbjT5_SW_jjP12ihipStream_tbEUlT_E2_NS1_11comp_targetILNS1_3genE10ELNS1_11target_archE1200ELNS1_3gpuE4ELNS1_3repE0EEENS1_30default_config_static_selectorELNS0_4arch9wavefront6targetE0EEEvSK_.numbered_sgpr, 0
	.set _ZN7rocprim17ROCPRIM_400000_NS6detail17trampoline_kernelINS0_14default_configENS1_36segmented_radix_sort_config_selectorIblEEZNS1_25segmented_radix_sort_implIS3_Lb0EPKbPbPKlPlN2at6native12_GLOBAL__N_18offset_tEEE10hipError_tPvRmT1_PNSt15iterator_traitsISK_E10value_typeET2_T3_PNSL_ISQ_E10value_typeET4_jRbjT5_SW_jjP12ihipStream_tbEUlT_E2_NS1_11comp_targetILNS1_3genE10ELNS1_11target_archE1200ELNS1_3gpuE4ELNS1_3repE0EEENS1_30default_config_static_selectorELNS0_4arch9wavefront6targetE0EEEvSK_.num_named_barrier, 0
	.set _ZN7rocprim17ROCPRIM_400000_NS6detail17trampoline_kernelINS0_14default_configENS1_36segmented_radix_sort_config_selectorIblEEZNS1_25segmented_radix_sort_implIS3_Lb0EPKbPbPKlPlN2at6native12_GLOBAL__N_18offset_tEEE10hipError_tPvRmT1_PNSt15iterator_traitsISK_E10value_typeET2_T3_PNSL_ISQ_E10value_typeET4_jRbjT5_SW_jjP12ihipStream_tbEUlT_E2_NS1_11comp_targetILNS1_3genE10ELNS1_11target_archE1200ELNS1_3gpuE4ELNS1_3repE0EEENS1_30default_config_static_selectorELNS0_4arch9wavefront6targetE0EEEvSK_.private_seg_size, 0
	.set _ZN7rocprim17ROCPRIM_400000_NS6detail17trampoline_kernelINS0_14default_configENS1_36segmented_radix_sort_config_selectorIblEEZNS1_25segmented_radix_sort_implIS3_Lb0EPKbPbPKlPlN2at6native12_GLOBAL__N_18offset_tEEE10hipError_tPvRmT1_PNSt15iterator_traitsISK_E10value_typeET2_T3_PNSL_ISQ_E10value_typeET4_jRbjT5_SW_jjP12ihipStream_tbEUlT_E2_NS1_11comp_targetILNS1_3genE10ELNS1_11target_archE1200ELNS1_3gpuE4ELNS1_3repE0EEENS1_30default_config_static_selectorELNS0_4arch9wavefront6targetE0EEEvSK_.uses_vcc, 0
	.set _ZN7rocprim17ROCPRIM_400000_NS6detail17trampoline_kernelINS0_14default_configENS1_36segmented_radix_sort_config_selectorIblEEZNS1_25segmented_radix_sort_implIS3_Lb0EPKbPbPKlPlN2at6native12_GLOBAL__N_18offset_tEEE10hipError_tPvRmT1_PNSt15iterator_traitsISK_E10value_typeET2_T3_PNSL_ISQ_E10value_typeET4_jRbjT5_SW_jjP12ihipStream_tbEUlT_E2_NS1_11comp_targetILNS1_3genE10ELNS1_11target_archE1200ELNS1_3gpuE4ELNS1_3repE0EEENS1_30default_config_static_selectorELNS0_4arch9wavefront6targetE0EEEvSK_.uses_flat_scratch, 0
	.set _ZN7rocprim17ROCPRIM_400000_NS6detail17trampoline_kernelINS0_14default_configENS1_36segmented_radix_sort_config_selectorIblEEZNS1_25segmented_radix_sort_implIS3_Lb0EPKbPbPKlPlN2at6native12_GLOBAL__N_18offset_tEEE10hipError_tPvRmT1_PNSt15iterator_traitsISK_E10value_typeET2_T3_PNSL_ISQ_E10value_typeET4_jRbjT5_SW_jjP12ihipStream_tbEUlT_E2_NS1_11comp_targetILNS1_3genE10ELNS1_11target_archE1200ELNS1_3gpuE4ELNS1_3repE0EEENS1_30default_config_static_selectorELNS0_4arch9wavefront6targetE0EEEvSK_.has_dyn_sized_stack, 0
	.set _ZN7rocprim17ROCPRIM_400000_NS6detail17trampoline_kernelINS0_14default_configENS1_36segmented_radix_sort_config_selectorIblEEZNS1_25segmented_radix_sort_implIS3_Lb0EPKbPbPKlPlN2at6native12_GLOBAL__N_18offset_tEEE10hipError_tPvRmT1_PNSt15iterator_traitsISK_E10value_typeET2_T3_PNSL_ISQ_E10value_typeET4_jRbjT5_SW_jjP12ihipStream_tbEUlT_E2_NS1_11comp_targetILNS1_3genE10ELNS1_11target_archE1200ELNS1_3gpuE4ELNS1_3repE0EEENS1_30default_config_static_selectorELNS0_4arch9wavefront6targetE0EEEvSK_.has_recursion, 0
	.set _ZN7rocprim17ROCPRIM_400000_NS6detail17trampoline_kernelINS0_14default_configENS1_36segmented_radix_sort_config_selectorIblEEZNS1_25segmented_radix_sort_implIS3_Lb0EPKbPbPKlPlN2at6native12_GLOBAL__N_18offset_tEEE10hipError_tPvRmT1_PNSt15iterator_traitsISK_E10value_typeET2_T3_PNSL_ISQ_E10value_typeET4_jRbjT5_SW_jjP12ihipStream_tbEUlT_E2_NS1_11comp_targetILNS1_3genE10ELNS1_11target_archE1200ELNS1_3gpuE4ELNS1_3repE0EEENS1_30default_config_static_selectorELNS0_4arch9wavefront6targetE0EEEvSK_.has_indirect_call, 0
	.section	.AMDGPU.csdata,"",@progbits
; Kernel info:
; codeLenInByte = 0
; TotalNumSgprs: 0
; NumVgprs: 0
; ScratchSize: 0
; MemoryBound: 0
; FloatMode: 240
; IeeeMode: 1
; LDSByteSize: 0 bytes/workgroup (compile time only)
; SGPRBlocks: 0
; VGPRBlocks: 0
; NumSGPRsForWavesPerEU: 1
; NumVGPRsForWavesPerEU: 1
; Occupancy: 16
; WaveLimiterHint : 0
; COMPUTE_PGM_RSRC2:SCRATCH_EN: 0
; COMPUTE_PGM_RSRC2:USER_SGPR: 6
; COMPUTE_PGM_RSRC2:TRAP_HANDLER: 0
; COMPUTE_PGM_RSRC2:TGID_X_EN: 1
; COMPUTE_PGM_RSRC2:TGID_Y_EN: 0
; COMPUTE_PGM_RSRC2:TGID_Z_EN: 0
; COMPUTE_PGM_RSRC2:TIDIG_COMP_CNT: 0
	.section	.text._ZN7rocprim17ROCPRIM_400000_NS6detail17trampoline_kernelINS0_14default_configENS1_36segmented_radix_sort_config_selectorIblEEZNS1_25segmented_radix_sort_implIS3_Lb0EPKbPbPKlPlN2at6native12_GLOBAL__N_18offset_tEEE10hipError_tPvRmT1_PNSt15iterator_traitsISK_E10value_typeET2_T3_PNSL_ISQ_E10value_typeET4_jRbjT5_SW_jjP12ihipStream_tbEUlT_E2_NS1_11comp_targetILNS1_3genE9ELNS1_11target_archE1100ELNS1_3gpuE3ELNS1_3repE0EEENS1_30default_config_static_selectorELNS0_4arch9wavefront6targetE0EEEvSK_,"axG",@progbits,_ZN7rocprim17ROCPRIM_400000_NS6detail17trampoline_kernelINS0_14default_configENS1_36segmented_radix_sort_config_selectorIblEEZNS1_25segmented_radix_sort_implIS3_Lb0EPKbPbPKlPlN2at6native12_GLOBAL__N_18offset_tEEE10hipError_tPvRmT1_PNSt15iterator_traitsISK_E10value_typeET2_T3_PNSL_ISQ_E10value_typeET4_jRbjT5_SW_jjP12ihipStream_tbEUlT_E2_NS1_11comp_targetILNS1_3genE9ELNS1_11target_archE1100ELNS1_3gpuE3ELNS1_3repE0EEENS1_30default_config_static_selectorELNS0_4arch9wavefront6targetE0EEEvSK_,comdat
	.globl	_ZN7rocprim17ROCPRIM_400000_NS6detail17trampoline_kernelINS0_14default_configENS1_36segmented_radix_sort_config_selectorIblEEZNS1_25segmented_radix_sort_implIS3_Lb0EPKbPbPKlPlN2at6native12_GLOBAL__N_18offset_tEEE10hipError_tPvRmT1_PNSt15iterator_traitsISK_E10value_typeET2_T3_PNSL_ISQ_E10value_typeET4_jRbjT5_SW_jjP12ihipStream_tbEUlT_E2_NS1_11comp_targetILNS1_3genE9ELNS1_11target_archE1100ELNS1_3gpuE3ELNS1_3repE0EEENS1_30default_config_static_selectorELNS0_4arch9wavefront6targetE0EEEvSK_ ; -- Begin function _ZN7rocprim17ROCPRIM_400000_NS6detail17trampoline_kernelINS0_14default_configENS1_36segmented_radix_sort_config_selectorIblEEZNS1_25segmented_radix_sort_implIS3_Lb0EPKbPbPKlPlN2at6native12_GLOBAL__N_18offset_tEEE10hipError_tPvRmT1_PNSt15iterator_traitsISK_E10value_typeET2_T3_PNSL_ISQ_E10value_typeET4_jRbjT5_SW_jjP12ihipStream_tbEUlT_E2_NS1_11comp_targetILNS1_3genE9ELNS1_11target_archE1100ELNS1_3gpuE3ELNS1_3repE0EEENS1_30default_config_static_selectorELNS0_4arch9wavefront6targetE0EEEvSK_
	.p2align	8
	.type	_ZN7rocprim17ROCPRIM_400000_NS6detail17trampoline_kernelINS0_14default_configENS1_36segmented_radix_sort_config_selectorIblEEZNS1_25segmented_radix_sort_implIS3_Lb0EPKbPbPKlPlN2at6native12_GLOBAL__N_18offset_tEEE10hipError_tPvRmT1_PNSt15iterator_traitsISK_E10value_typeET2_T3_PNSL_ISQ_E10value_typeET4_jRbjT5_SW_jjP12ihipStream_tbEUlT_E2_NS1_11comp_targetILNS1_3genE9ELNS1_11target_archE1100ELNS1_3gpuE3ELNS1_3repE0EEENS1_30default_config_static_selectorELNS0_4arch9wavefront6targetE0EEEvSK_,@function
_ZN7rocprim17ROCPRIM_400000_NS6detail17trampoline_kernelINS0_14default_configENS1_36segmented_radix_sort_config_selectorIblEEZNS1_25segmented_radix_sort_implIS3_Lb0EPKbPbPKlPlN2at6native12_GLOBAL__N_18offset_tEEE10hipError_tPvRmT1_PNSt15iterator_traitsISK_E10value_typeET2_T3_PNSL_ISQ_E10value_typeET4_jRbjT5_SW_jjP12ihipStream_tbEUlT_E2_NS1_11comp_targetILNS1_3genE9ELNS1_11target_archE1100ELNS1_3gpuE3ELNS1_3repE0EEENS1_30default_config_static_selectorELNS0_4arch9wavefront6targetE0EEEvSK_: ; @_ZN7rocprim17ROCPRIM_400000_NS6detail17trampoline_kernelINS0_14default_configENS1_36segmented_radix_sort_config_selectorIblEEZNS1_25segmented_radix_sort_implIS3_Lb0EPKbPbPKlPlN2at6native12_GLOBAL__N_18offset_tEEE10hipError_tPvRmT1_PNSt15iterator_traitsISK_E10value_typeET2_T3_PNSL_ISQ_E10value_typeET4_jRbjT5_SW_jjP12ihipStream_tbEUlT_E2_NS1_11comp_targetILNS1_3genE9ELNS1_11target_archE1100ELNS1_3gpuE3ELNS1_3repE0EEENS1_30default_config_static_selectorELNS0_4arch9wavefront6targetE0EEEvSK_
; %bb.0:
	.section	.rodata,"a",@progbits
	.p2align	6, 0x0
	.amdhsa_kernel _ZN7rocprim17ROCPRIM_400000_NS6detail17trampoline_kernelINS0_14default_configENS1_36segmented_radix_sort_config_selectorIblEEZNS1_25segmented_radix_sort_implIS3_Lb0EPKbPbPKlPlN2at6native12_GLOBAL__N_18offset_tEEE10hipError_tPvRmT1_PNSt15iterator_traitsISK_E10value_typeET2_T3_PNSL_ISQ_E10value_typeET4_jRbjT5_SW_jjP12ihipStream_tbEUlT_E2_NS1_11comp_targetILNS1_3genE9ELNS1_11target_archE1100ELNS1_3gpuE3ELNS1_3repE0EEENS1_30default_config_static_selectorELNS0_4arch9wavefront6targetE0EEEvSK_
		.amdhsa_group_segment_fixed_size 0
		.amdhsa_private_segment_fixed_size 0
		.amdhsa_kernarg_size 80
		.amdhsa_user_sgpr_count 6
		.amdhsa_user_sgpr_private_segment_buffer 1
		.amdhsa_user_sgpr_dispatch_ptr 0
		.amdhsa_user_sgpr_queue_ptr 0
		.amdhsa_user_sgpr_kernarg_segment_ptr 1
		.amdhsa_user_sgpr_dispatch_id 0
		.amdhsa_user_sgpr_flat_scratch_init 0
		.amdhsa_user_sgpr_private_segment_size 0
		.amdhsa_wavefront_size32 1
		.amdhsa_uses_dynamic_stack 0
		.amdhsa_system_sgpr_private_segment_wavefront_offset 0
		.amdhsa_system_sgpr_workgroup_id_x 1
		.amdhsa_system_sgpr_workgroup_id_y 0
		.amdhsa_system_sgpr_workgroup_id_z 0
		.amdhsa_system_sgpr_workgroup_info 0
		.amdhsa_system_vgpr_workitem_id 0
		.amdhsa_next_free_vgpr 1
		.amdhsa_next_free_sgpr 1
		.amdhsa_reserve_vcc 0
		.amdhsa_reserve_flat_scratch 0
		.amdhsa_float_round_mode_32 0
		.amdhsa_float_round_mode_16_64 0
		.amdhsa_float_denorm_mode_32 3
		.amdhsa_float_denorm_mode_16_64 3
		.amdhsa_dx10_clamp 1
		.amdhsa_ieee_mode 1
		.amdhsa_fp16_overflow 0
		.amdhsa_workgroup_processor_mode 1
		.amdhsa_memory_ordered 1
		.amdhsa_forward_progress 1
		.amdhsa_shared_vgpr_count 0
		.amdhsa_exception_fp_ieee_invalid_op 0
		.amdhsa_exception_fp_denorm_src 0
		.amdhsa_exception_fp_ieee_div_zero 0
		.amdhsa_exception_fp_ieee_overflow 0
		.amdhsa_exception_fp_ieee_underflow 0
		.amdhsa_exception_fp_ieee_inexact 0
		.amdhsa_exception_int_div_zero 0
	.end_amdhsa_kernel
	.section	.text._ZN7rocprim17ROCPRIM_400000_NS6detail17trampoline_kernelINS0_14default_configENS1_36segmented_radix_sort_config_selectorIblEEZNS1_25segmented_radix_sort_implIS3_Lb0EPKbPbPKlPlN2at6native12_GLOBAL__N_18offset_tEEE10hipError_tPvRmT1_PNSt15iterator_traitsISK_E10value_typeET2_T3_PNSL_ISQ_E10value_typeET4_jRbjT5_SW_jjP12ihipStream_tbEUlT_E2_NS1_11comp_targetILNS1_3genE9ELNS1_11target_archE1100ELNS1_3gpuE3ELNS1_3repE0EEENS1_30default_config_static_selectorELNS0_4arch9wavefront6targetE0EEEvSK_,"axG",@progbits,_ZN7rocprim17ROCPRIM_400000_NS6detail17trampoline_kernelINS0_14default_configENS1_36segmented_radix_sort_config_selectorIblEEZNS1_25segmented_radix_sort_implIS3_Lb0EPKbPbPKlPlN2at6native12_GLOBAL__N_18offset_tEEE10hipError_tPvRmT1_PNSt15iterator_traitsISK_E10value_typeET2_T3_PNSL_ISQ_E10value_typeET4_jRbjT5_SW_jjP12ihipStream_tbEUlT_E2_NS1_11comp_targetILNS1_3genE9ELNS1_11target_archE1100ELNS1_3gpuE3ELNS1_3repE0EEENS1_30default_config_static_selectorELNS0_4arch9wavefront6targetE0EEEvSK_,comdat
.Lfunc_end1662:
	.size	_ZN7rocprim17ROCPRIM_400000_NS6detail17trampoline_kernelINS0_14default_configENS1_36segmented_radix_sort_config_selectorIblEEZNS1_25segmented_radix_sort_implIS3_Lb0EPKbPbPKlPlN2at6native12_GLOBAL__N_18offset_tEEE10hipError_tPvRmT1_PNSt15iterator_traitsISK_E10value_typeET2_T3_PNSL_ISQ_E10value_typeET4_jRbjT5_SW_jjP12ihipStream_tbEUlT_E2_NS1_11comp_targetILNS1_3genE9ELNS1_11target_archE1100ELNS1_3gpuE3ELNS1_3repE0EEENS1_30default_config_static_selectorELNS0_4arch9wavefront6targetE0EEEvSK_, .Lfunc_end1662-_ZN7rocprim17ROCPRIM_400000_NS6detail17trampoline_kernelINS0_14default_configENS1_36segmented_radix_sort_config_selectorIblEEZNS1_25segmented_radix_sort_implIS3_Lb0EPKbPbPKlPlN2at6native12_GLOBAL__N_18offset_tEEE10hipError_tPvRmT1_PNSt15iterator_traitsISK_E10value_typeET2_T3_PNSL_ISQ_E10value_typeET4_jRbjT5_SW_jjP12ihipStream_tbEUlT_E2_NS1_11comp_targetILNS1_3genE9ELNS1_11target_archE1100ELNS1_3gpuE3ELNS1_3repE0EEENS1_30default_config_static_selectorELNS0_4arch9wavefront6targetE0EEEvSK_
                                        ; -- End function
	.set _ZN7rocprim17ROCPRIM_400000_NS6detail17trampoline_kernelINS0_14default_configENS1_36segmented_radix_sort_config_selectorIblEEZNS1_25segmented_radix_sort_implIS3_Lb0EPKbPbPKlPlN2at6native12_GLOBAL__N_18offset_tEEE10hipError_tPvRmT1_PNSt15iterator_traitsISK_E10value_typeET2_T3_PNSL_ISQ_E10value_typeET4_jRbjT5_SW_jjP12ihipStream_tbEUlT_E2_NS1_11comp_targetILNS1_3genE9ELNS1_11target_archE1100ELNS1_3gpuE3ELNS1_3repE0EEENS1_30default_config_static_selectorELNS0_4arch9wavefront6targetE0EEEvSK_.num_vgpr, 0
	.set _ZN7rocprim17ROCPRIM_400000_NS6detail17trampoline_kernelINS0_14default_configENS1_36segmented_radix_sort_config_selectorIblEEZNS1_25segmented_radix_sort_implIS3_Lb0EPKbPbPKlPlN2at6native12_GLOBAL__N_18offset_tEEE10hipError_tPvRmT1_PNSt15iterator_traitsISK_E10value_typeET2_T3_PNSL_ISQ_E10value_typeET4_jRbjT5_SW_jjP12ihipStream_tbEUlT_E2_NS1_11comp_targetILNS1_3genE9ELNS1_11target_archE1100ELNS1_3gpuE3ELNS1_3repE0EEENS1_30default_config_static_selectorELNS0_4arch9wavefront6targetE0EEEvSK_.num_agpr, 0
	.set _ZN7rocprim17ROCPRIM_400000_NS6detail17trampoline_kernelINS0_14default_configENS1_36segmented_radix_sort_config_selectorIblEEZNS1_25segmented_radix_sort_implIS3_Lb0EPKbPbPKlPlN2at6native12_GLOBAL__N_18offset_tEEE10hipError_tPvRmT1_PNSt15iterator_traitsISK_E10value_typeET2_T3_PNSL_ISQ_E10value_typeET4_jRbjT5_SW_jjP12ihipStream_tbEUlT_E2_NS1_11comp_targetILNS1_3genE9ELNS1_11target_archE1100ELNS1_3gpuE3ELNS1_3repE0EEENS1_30default_config_static_selectorELNS0_4arch9wavefront6targetE0EEEvSK_.numbered_sgpr, 0
	.set _ZN7rocprim17ROCPRIM_400000_NS6detail17trampoline_kernelINS0_14default_configENS1_36segmented_radix_sort_config_selectorIblEEZNS1_25segmented_radix_sort_implIS3_Lb0EPKbPbPKlPlN2at6native12_GLOBAL__N_18offset_tEEE10hipError_tPvRmT1_PNSt15iterator_traitsISK_E10value_typeET2_T3_PNSL_ISQ_E10value_typeET4_jRbjT5_SW_jjP12ihipStream_tbEUlT_E2_NS1_11comp_targetILNS1_3genE9ELNS1_11target_archE1100ELNS1_3gpuE3ELNS1_3repE0EEENS1_30default_config_static_selectorELNS0_4arch9wavefront6targetE0EEEvSK_.num_named_barrier, 0
	.set _ZN7rocprim17ROCPRIM_400000_NS6detail17trampoline_kernelINS0_14default_configENS1_36segmented_radix_sort_config_selectorIblEEZNS1_25segmented_radix_sort_implIS3_Lb0EPKbPbPKlPlN2at6native12_GLOBAL__N_18offset_tEEE10hipError_tPvRmT1_PNSt15iterator_traitsISK_E10value_typeET2_T3_PNSL_ISQ_E10value_typeET4_jRbjT5_SW_jjP12ihipStream_tbEUlT_E2_NS1_11comp_targetILNS1_3genE9ELNS1_11target_archE1100ELNS1_3gpuE3ELNS1_3repE0EEENS1_30default_config_static_selectorELNS0_4arch9wavefront6targetE0EEEvSK_.private_seg_size, 0
	.set _ZN7rocprim17ROCPRIM_400000_NS6detail17trampoline_kernelINS0_14default_configENS1_36segmented_radix_sort_config_selectorIblEEZNS1_25segmented_radix_sort_implIS3_Lb0EPKbPbPKlPlN2at6native12_GLOBAL__N_18offset_tEEE10hipError_tPvRmT1_PNSt15iterator_traitsISK_E10value_typeET2_T3_PNSL_ISQ_E10value_typeET4_jRbjT5_SW_jjP12ihipStream_tbEUlT_E2_NS1_11comp_targetILNS1_3genE9ELNS1_11target_archE1100ELNS1_3gpuE3ELNS1_3repE0EEENS1_30default_config_static_selectorELNS0_4arch9wavefront6targetE0EEEvSK_.uses_vcc, 0
	.set _ZN7rocprim17ROCPRIM_400000_NS6detail17trampoline_kernelINS0_14default_configENS1_36segmented_radix_sort_config_selectorIblEEZNS1_25segmented_radix_sort_implIS3_Lb0EPKbPbPKlPlN2at6native12_GLOBAL__N_18offset_tEEE10hipError_tPvRmT1_PNSt15iterator_traitsISK_E10value_typeET2_T3_PNSL_ISQ_E10value_typeET4_jRbjT5_SW_jjP12ihipStream_tbEUlT_E2_NS1_11comp_targetILNS1_3genE9ELNS1_11target_archE1100ELNS1_3gpuE3ELNS1_3repE0EEENS1_30default_config_static_selectorELNS0_4arch9wavefront6targetE0EEEvSK_.uses_flat_scratch, 0
	.set _ZN7rocprim17ROCPRIM_400000_NS6detail17trampoline_kernelINS0_14default_configENS1_36segmented_radix_sort_config_selectorIblEEZNS1_25segmented_radix_sort_implIS3_Lb0EPKbPbPKlPlN2at6native12_GLOBAL__N_18offset_tEEE10hipError_tPvRmT1_PNSt15iterator_traitsISK_E10value_typeET2_T3_PNSL_ISQ_E10value_typeET4_jRbjT5_SW_jjP12ihipStream_tbEUlT_E2_NS1_11comp_targetILNS1_3genE9ELNS1_11target_archE1100ELNS1_3gpuE3ELNS1_3repE0EEENS1_30default_config_static_selectorELNS0_4arch9wavefront6targetE0EEEvSK_.has_dyn_sized_stack, 0
	.set _ZN7rocprim17ROCPRIM_400000_NS6detail17trampoline_kernelINS0_14default_configENS1_36segmented_radix_sort_config_selectorIblEEZNS1_25segmented_radix_sort_implIS3_Lb0EPKbPbPKlPlN2at6native12_GLOBAL__N_18offset_tEEE10hipError_tPvRmT1_PNSt15iterator_traitsISK_E10value_typeET2_T3_PNSL_ISQ_E10value_typeET4_jRbjT5_SW_jjP12ihipStream_tbEUlT_E2_NS1_11comp_targetILNS1_3genE9ELNS1_11target_archE1100ELNS1_3gpuE3ELNS1_3repE0EEENS1_30default_config_static_selectorELNS0_4arch9wavefront6targetE0EEEvSK_.has_recursion, 0
	.set _ZN7rocprim17ROCPRIM_400000_NS6detail17trampoline_kernelINS0_14default_configENS1_36segmented_radix_sort_config_selectorIblEEZNS1_25segmented_radix_sort_implIS3_Lb0EPKbPbPKlPlN2at6native12_GLOBAL__N_18offset_tEEE10hipError_tPvRmT1_PNSt15iterator_traitsISK_E10value_typeET2_T3_PNSL_ISQ_E10value_typeET4_jRbjT5_SW_jjP12ihipStream_tbEUlT_E2_NS1_11comp_targetILNS1_3genE9ELNS1_11target_archE1100ELNS1_3gpuE3ELNS1_3repE0EEENS1_30default_config_static_selectorELNS0_4arch9wavefront6targetE0EEEvSK_.has_indirect_call, 0
	.section	.AMDGPU.csdata,"",@progbits
; Kernel info:
; codeLenInByte = 0
; TotalNumSgprs: 0
; NumVgprs: 0
; ScratchSize: 0
; MemoryBound: 0
; FloatMode: 240
; IeeeMode: 1
; LDSByteSize: 0 bytes/workgroup (compile time only)
; SGPRBlocks: 0
; VGPRBlocks: 0
; NumSGPRsForWavesPerEU: 1
; NumVGPRsForWavesPerEU: 1
; Occupancy: 16
; WaveLimiterHint : 0
; COMPUTE_PGM_RSRC2:SCRATCH_EN: 0
; COMPUTE_PGM_RSRC2:USER_SGPR: 6
; COMPUTE_PGM_RSRC2:TRAP_HANDLER: 0
; COMPUTE_PGM_RSRC2:TGID_X_EN: 1
; COMPUTE_PGM_RSRC2:TGID_Y_EN: 0
; COMPUTE_PGM_RSRC2:TGID_Z_EN: 0
; COMPUTE_PGM_RSRC2:TIDIG_COMP_CNT: 0
	.section	.text._ZN7rocprim17ROCPRIM_400000_NS6detail17trampoline_kernelINS0_14default_configENS1_36segmented_radix_sort_config_selectorIblEEZNS1_25segmented_radix_sort_implIS3_Lb0EPKbPbPKlPlN2at6native12_GLOBAL__N_18offset_tEEE10hipError_tPvRmT1_PNSt15iterator_traitsISK_E10value_typeET2_T3_PNSL_ISQ_E10value_typeET4_jRbjT5_SW_jjP12ihipStream_tbEUlT_E2_NS1_11comp_targetILNS1_3genE8ELNS1_11target_archE1030ELNS1_3gpuE2ELNS1_3repE0EEENS1_30default_config_static_selectorELNS0_4arch9wavefront6targetE0EEEvSK_,"axG",@progbits,_ZN7rocprim17ROCPRIM_400000_NS6detail17trampoline_kernelINS0_14default_configENS1_36segmented_radix_sort_config_selectorIblEEZNS1_25segmented_radix_sort_implIS3_Lb0EPKbPbPKlPlN2at6native12_GLOBAL__N_18offset_tEEE10hipError_tPvRmT1_PNSt15iterator_traitsISK_E10value_typeET2_T3_PNSL_ISQ_E10value_typeET4_jRbjT5_SW_jjP12ihipStream_tbEUlT_E2_NS1_11comp_targetILNS1_3genE8ELNS1_11target_archE1030ELNS1_3gpuE2ELNS1_3repE0EEENS1_30default_config_static_selectorELNS0_4arch9wavefront6targetE0EEEvSK_,comdat
	.globl	_ZN7rocprim17ROCPRIM_400000_NS6detail17trampoline_kernelINS0_14default_configENS1_36segmented_radix_sort_config_selectorIblEEZNS1_25segmented_radix_sort_implIS3_Lb0EPKbPbPKlPlN2at6native12_GLOBAL__N_18offset_tEEE10hipError_tPvRmT1_PNSt15iterator_traitsISK_E10value_typeET2_T3_PNSL_ISQ_E10value_typeET4_jRbjT5_SW_jjP12ihipStream_tbEUlT_E2_NS1_11comp_targetILNS1_3genE8ELNS1_11target_archE1030ELNS1_3gpuE2ELNS1_3repE0EEENS1_30default_config_static_selectorELNS0_4arch9wavefront6targetE0EEEvSK_ ; -- Begin function _ZN7rocprim17ROCPRIM_400000_NS6detail17trampoline_kernelINS0_14default_configENS1_36segmented_radix_sort_config_selectorIblEEZNS1_25segmented_radix_sort_implIS3_Lb0EPKbPbPKlPlN2at6native12_GLOBAL__N_18offset_tEEE10hipError_tPvRmT1_PNSt15iterator_traitsISK_E10value_typeET2_T3_PNSL_ISQ_E10value_typeET4_jRbjT5_SW_jjP12ihipStream_tbEUlT_E2_NS1_11comp_targetILNS1_3genE8ELNS1_11target_archE1030ELNS1_3gpuE2ELNS1_3repE0EEENS1_30default_config_static_selectorELNS0_4arch9wavefront6targetE0EEEvSK_
	.p2align	8
	.type	_ZN7rocprim17ROCPRIM_400000_NS6detail17trampoline_kernelINS0_14default_configENS1_36segmented_radix_sort_config_selectorIblEEZNS1_25segmented_radix_sort_implIS3_Lb0EPKbPbPKlPlN2at6native12_GLOBAL__N_18offset_tEEE10hipError_tPvRmT1_PNSt15iterator_traitsISK_E10value_typeET2_T3_PNSL_ISQ_E10value_typeET4_jRbjT5_SW_jjP12ihipStream_tbEUlT_E2_NS1_11comp_targetILNS1_3genE8ELNS1_11target_archE1030ELNS1_3gpuE2ELNS1_3repE0EEENS1_30default_config_static_selectorELNS0_4arch9wavefront6targetE0EEEvSK_,@function
_ZN7rocprim17ROCPRIM_400000_NS6detail17trampoline_kernelINS0_14default_configENS1_36segmented_radix_sort_config_selectorIblEEZNS1_25segmented_radix_sort_implIS3_Lb0EPKbPbPKlPlN2at6native12_GLOBAL__N_18offset_tEEE10hipError_tPvRmT1_PNSt15iterator_traitsISK_E10value_typeET2_T3_PNSL_ISQ_E10value_typeET4_jRbjT5_SW_jjP12ihipStream_tbEUlT_E2_NS1_11comp_targetILNS1_3genE8ELNS1_11target_archE1030ELNS1_3gpuE2ELNS1_3repE0EEENS1_30default_config_static_selectorELNS0_4arch9wavefront6targetE0EEEvSK_: ; @_ZN7rocprim17ROCPRIM_400000_NS6detail17trampoline_kernelINS0_14default_configENS1_36segmented_radix_sort_config_selectorIblEEZNS1_25segmented_radix_sort_implIS3_Lb0EPKbPbPKlPlN2at6native12_GLOBAL__N_18offset_tEEE10hipError_tPvRmT1_PNSt15iterator_traitsISK_E10value_typeET2_T3_PNSL_ISQ_E10value_typeET4_jRbjT5_SW_jjP12ihipStream_tbEUlT_E2_NS1_11comp_targetILNS1_3genE8ELNS1_11target_archE1030ELNS1_3gpuE2ELNS1_3repE0EEENS1_30default_config_static_selectorELNS0_4arch9wavefront6targetE0EEEvSK_
; %bb.0:
	s_add_u32 s0, s0, s8
	s_load_dwordx4 s[8:11], s[4:5], 0x34
	s_addc_u32 s1, s1, 0
	s_mov_b32 s32, 0
	s_waitcnt lgkmcnt(0)
	s_add_i32 s58, s9, s6
	s_add_i32 s59, s11, s6
	s_mul_i32 s58, s58, s8
	s_mul_i32 s59, s59, s10
	s_cmp_le_u32 s59, s58
	s_cbranch_scc1 .LBB1663_1262
; %bb.1:
	s_clause 0x3
	s_load_dword s8, s[4:5], 0x30
	s_load_dwordx4 s[52:55], s[4:5], 0x20
	s_load_dwordx4 s[40:43], s[4:5], 0x44
	s_load_dwordx8 s[44:51], s[4:5], 0x0
	s_waitcnt lgkmcnt(0)
	s_bitcmp1_b32 s8, 0
	s_mov_b32 s8, -1
	s_cselect_b32 s43, -1, 0
	s_sub_i32 s60, s59, s58
	s_cmpk_lt_u32 s60, 0x1101
	s_cbranch_scc0 .LBB1663_15
; %bb.2:
	s_cmpk_lt_u32 s60, 0x81
	s_cbranch_scc0 .LBB1663_9
; %bb.3:
	s_load_dword s8, s[4:5], 0x5c
	s_mov_b32 s19, exec_lo
	s_waitcnt lgkmcnt(0)
	s_lshr_b32 s9, s8, 16
	s_and_b32 s8, s8, 0xffff
	v_mad_u32_u24 v3, v2, s9, v1
	v_mad_u64_u32 v[3:4], null, v3, s8, v[0:1]
	v_cmpx_gt_u32_e32 32, v3
	s_cbranch_execz .LBB1663_8
; %bb.4:
	v_cndmask_b32_e64 v3, 0, 1, s43
	s_and_b32 s8, s40, 1
	v_cmp_ne_u32_e32 vcc_lo, s8, v3
	s_mov_b32 s8, -1
	s_cbranch_vccnz .LBB1663_6
; %bb.5:
	v_lshlrev_b32_e32 v3, 20, v2
	v_lshlrev_b32_e32 v4, 10, v1
	s_mov_b64 s[10:11], src_shared_base
	v_mov_b32_e32 v40, v0
	v_mov_b32_e32 v41, v1
	;; [unrolled: 1-line block ×3, first 2 shown]
	v_or3_b32 v31, v0, v4, v3
	v_mov_b32_e32 v0, s44
	v_mov_b32_e32 v42, v2
	;; [unrolled: 1-line block ×14, first 2 shown]
	s_add_u32 s8, s4, 0x50
	s_addc_u32 s9, s5, 0
	s_getpc_b64 s[14:15]
	s_add_u32 s14, s14, _ZN7rocprim17ROCPRIM_400000_NS6detail26segmented_warp_sort_helperINS1_20WarpSortHelperConfigILj32ELj4ELj256EEEblLi256ELb0EvE4sortIPKbPbPKlPlEEvT_T0_T1_T2_jjjjRNS5_12storage_typeE@rel32@lo+4
	s_addc_u32 s15, s15, _ZN7rocprim17ROCPRIM_400000_NS6detail26segmented_warp_sort_helperINS1_20WarpSortHelperConfigILj32ELj4ELj256EEEblLi256ELb0EvE4sortIPKbPbPKlPlEEvT_T0_T1_T2_jjjjRNS5_12storage_typeE@rel32@hi+12
	s_mov_b32 s12, s6
	s_mov_b32 s13, s7
	s_mov_b64 s[20:21], s[4:5]
	s_mov_b32 s22, s7
	s_mov_b32 s23, s6
	s_swappc_b64 s[30:31], s[14:15]
	v_mov_b32_e32 v1, v41
	v_mov_b32_e32 v2, v42
	;; [unrolled: 1-line block ×3, first 2 shown]
	s_mov_b32 s6, s23
	s_mov_b32 s7, s22
	s_mov_b64 s[4:5], s[20:21]
	s_mov_b32 s8, 0
.LBB1663_6:
	s_andn2_b32 vcc_lo, exec_lo, s8
	s_cbranch_vccnz .LBB1663_8
; %bb.7:
	v_lshlrev_b32_e32 v3, 20, v2
	v_lshlrev_b32_e32 v4, 10, v1
	s_mov_b64 s[10:11], src_shared_base
	v_mov_b32_e32 v40, v0
	v_mov_b32_e32 v41, v1
	;; [unrolled: 1-line block ×3, first 2 shown]
	v_or3_b32 v31, v0, v4, v3
	v_mov_b32_e32 v0, s44
	v_mov_b32_e32 v42, v2
	;; [unrolled: 1-line block ×14, first 2 shown]
	s_add_u32 s8, s4, 0x50
	s_addc_u32 s9, s5, 0
	s_getpc_b64 s[14:15]
	s_add_u32 s14, s14, _ZN7rocprim17ROCPRIM_400000_NS6detail26segmented_warp_sort_helperINS1_20WarpSortHelperConfigILj32ELj4ELj256EEEblLi256ELb0EvE4sortIPKbPbPKlPlEEvT_T0_T1_T2_jjjjRNS5_12storage_typeE@rel32@lo+4
	s_addc_u32 s15, s15, _ZN7rocprim17ROCPRIM_400000_NS6detail26segmented_warp_sort_helperINS1_20WarpSortHelperConfigILj32ELj4ELj256EEEblLi256ELb0EvE4sortIPKbPbPKlPlEEvT_T0_T1_T2_jjjjRNS5_12storage_typeE@rel32@hi+12
	s_mov_b32 s12, s6
	s_mov_b32 s13, s7
	s_mov_b64 s[20:21], s[4:5]
	s_mov_b32 s23, s7
	s_mov_b32 s22, s6
	s_swappc_b64 s[30:31], s[14:15]
	v_mov_b32_e32 v1, v41
	v_mov_b32_e32 v2, v42
	;; [unrolled: 1-line block ×3, first 2 shown]
	s_mov_b32 s6, s22
	s_mov_b32 s7, s23
	s_mov_b64 s[4:5], s[20:21]
.LBB1663_8:
	s_or_b32 exec_lo, exec_lo, s19
	s_mov_b32 s8, 0
.LBB1663_9:
	s_andn2_b32 vcc_lo, exec_lo, s8
	s_cbranch_vccnz .LBB1663_14
; %bb.10:
	v_cndmask_b32_e64 v3, 0, 1, s43
	s_and_b32 s8, s40, 1
	v_lshlrev_b32_e32 v41, 20, v2
	v_lshlrev_b32_e32 v42, 10, v1
	v_cmp_ne_u32_e32 vcc_lo, s8, v3
	s_mov_b32 s8, -1
	s_cbranch_vccnz .LBB1663_12
; %bb.11:
	s_mov_b64 s[10:11], src_shared_base
	v_or3_b32 v31, v0, v42, v41
	v_mov_b32_e32 v40, v0
	v_mov_b32_e32 v0, s44
	;; [unrolled: 1-line block ×17, first 2 shown]
	s_add_u32 s8, s4, 0x50
	s_addc_u32 s9, s5, 0
	s_getpc_b64 s[14:15]
	s_add_u32 s14, s14, _ZN7rocprim17ROCPRIM_400000_NS6detail40segmented_radix_sort_single_block_helperIblLj256ELj17ELb0EE4sortIPKbPbPKlPlEEbT_T0_T1_T2_jjjjRNS3_12storage_typeE@rel32@lo+4
	s_addc_u32 s15, s15, _ZN7rocprim17ROCPRIM_400000_NS6detail40segmented_radix_sort_single_block_helperIblLj256ELj17ELb0EE4sortIPKbPbPKlPlEEbT_T0_T1_T2_jjjjRNS3_12storage_typeE@rel32@hi+12
	s_mov_b32 s12, s6
	s_mov_b32 s13, s7
	s_mov_b64 s[28:29], s[4:5]
	s_mov_b32 s33, s7
	s_mov_b32 s34, s6
	s_swappc_b64 s[30:31], s[14:15]
	v_mov_b32_e32 v1, v43
	v_mov_b32_e32 v2, v44
	;; [unrolled: 1-line block ×3, first 2 shown]
	s_mov_b32 s6, s34
	s_mov_b32 s7, s33
	s_mov_b64 s[4:5], s[28:29]
	s_mov_b32 s8, 0
.LBB1663_12:
	s_andn2_b32 vcc_lo, exec_lo, s8
	s_cbranch_vccnz .LBB1663_14
; %bb.13:
	s_mov_b64 s[10:11], src_shared_base
	v_or3_b32 v31, v0, v42, v41
	v_mov_b32_e32 v40, v0
	v_mov_b32_e32 v0, s44
	v_mov_b32_e32 v41, v1
	v_mov_b32_e32 v1, s45
	v_mov_b32_e32 v42, v2
	v_mov_b32_e32 v2, s46
	v_mov_b32_e32 v3, s47
	v_mov_b32_e32 v4, s50
	v_mov_b32_e32 v5, s51
	v_mov_b32_e32 v6, s52
	v_mov_b32_e32 v7, s53
	v_mov_b32_e32 v8, s58
	v_mov_b32_e32 v9, s59
	v_mov_b32_e32 v10, s41
	v_mov_b32_e32 v11, s42
	v_mov_b32_e32 v12, 0
	v_mov_b32_e32 v13, s11
	s_add_u32 s8, s4, 0x50
	s_addc_u32 s9, s5, 0
	s_getpc_b64 s[14:15]
	s_add_u32 s14, s14, _ZN7rocprim17ROCPRIM_400000_NS6detail40segmented_radix_sort_single_block_helperIblLj256ELj17ELb0EE4sortIPKbPbPKlPlEEbT_T0_T1_T2_jjjjRNS3_12storage_typeE@rel32@lo+4
	s_addc_u32 s15, s15, _ZN7rocprim17ROCPRIM_400000_NS6detail40segmented_radix_sort_single_block_helperIblLj256ELj17ELb0EE4sortIPKbPbPKlPlEEbT_T0_T1_T2_jjjjRNS3_12storage_typeE@rel32@hi+12
	s_mov_b32 s12, s6
	s_mov_b32 s13, s7
	s_mov_b64 s[28:29], s[4:5]
	s_mov_b32 s34, s7
	s_mov_b32 s33, s6
	s_swappc_b64 s[30:31], s[14:15]
	v_mov_b32_e32 v1, v41
	v_mov_b32_e32 v2, v42
	;; [unrolled: 1-line block ×3, first 2 shown]
	s_mov_b32 s6, s33
	s_mov_b32 s7, s34
	s_mov_b64 s[4:5], s[28:29]
.LBB1663_14:
	s_mov_b32 s8, 0
.LBB1663_15:
	s_andn2_b32 vcc_lo, exec_lo, s8
	s_cbranch_vccnz .LBB1663_1262
; %bb.16:
	s_cmp_ge_u32 s41, s42
	s_cbranch_scc1 .LBB1663_1262
; %bb.17:
	v_lshlrev_b32_e32 v43, 2, v0
	v_and_b32_e32 v3, 3, v0
	v_and_b32_e32 v5, 0xe0, v0
	s_add_u32 s56, s4, 0x50
	v_lshrrev_b32_e32 v7, 3, v0
	v_mad_u32_u24 v64, v0, 12, v43
	v_lshlrev_b32_e32 v63, 2, v3
	v_min_u32_e32 v6, 0x60, v5
	v_or_b32_e32 v3, 31, v5
	v_mul_u32_u24_e32 v68, 17, v5
	v_add_nc_u32_e32 v69, v64, v43
	v_lshlrev_b32_e32 v5, 4, v0
	v_or_b32_e32 v6, 31, v6
	v_cmp_eq_u32_e64 s4, v0, v3
	v_add_nc_u32_e32 v3, 1, v0
	v_mbcnt_lo_u32_b32 v86, -1, 0
	v_sub_nc_u32_e32 v70, v69, v5
	v_lshlrev_b32_e32 v5, 3, v68
	v_cmp_eq_u32_e64 s9, v0, v6
	v_mul_u32_u24_e32 v71, 36, v3
	v_cmp_ne_u32_e64 s14, 0x80, v3
	v_and_b32_e32 v62, 28, v7
	v_add_co_u32 v73, s15, s54, v5
	v_add_co_ci_u32_e64 v74, null, s55, 0, s15
	v_add_co_u32 v3, s15, s48, v68
	v_add_co_ci_u32_e64 v6, null, s49, 0, s15
	;; [unrolled: 2-line block ×6, first 2 shown]
	v_add_co_u32 v84, s15, s50, v5
	v_add_co_u32 v45, s8, s48, v0
	v_add_co_ci_u32_e64 v85, null, s51, 0, s15
	v_add_co_u32 v87, s15, s44, v68
	v_add_co_u32 v90, vcc_lo, v3, v86
	v_mov_b32_e32 v4, 0
	v_or_b32_e32 v44, 0x100, v0
	v_add_co_ci_u32_e64 v46, null, s49, 0, s8
	v_or_b32_e32 v47, 0x200, v0
	v_or_b32_e32 v48, 0x300, v0
	;; [unrolled: 1-line block ×15, first 2 shown]
	v_cmp_gt_u32_e64 s8, 0x80, v0
	v_or_b32_e32 v65, 0x8a00, v62
	v_cmp_gt_u32_e64 s10, 4, v0
	v_add_nc_u32_e32 v66, 0x8a00, v43
	v_cmp_lt_u32_e64 s11, 31, v0
	v_add_nc_u32_e32 v67, 0x89fc, v62
	v_cmp_gt_u32_e64 s12, 8, v0
	v_cmp_eq_u32_e64 s13, 0, v0
	v_lshlrev_b32_e32 v72, 5, v0
	v_mul_u32_u24_e32 v75, 7, v0
	v_add_co_ci_u32_e64 v88, null, s45, 0, s15
	v_mov_b32_e32 v89, 1
	v_add_co_ci_u32_e64 v91, null, 0, v6, vcc_lo
	s_addc_u32 s57, s5, 0
	s_mov_b32 s51, 0
	s_mov_b32 s61, s41
	s_branch .LBB1663_20
.LBB1663_18:                            ;   in Loop: Header=BB1663_20 Depth=1
	s_waitcnt lgkmcnt(0)
	s_barrier
.LBB1663_19:                            ;   in Loop: Header=BB1663_20 Depth=1
	s_add_i32 s61, s61, 7
	buffer_gl0_inv
	s_cmp_ge_u32 s61, s42
	s_cbranch_scc1 .LBB1663_1262
.LBB1663_20:                            ; =>This Loop Header: Depth=1
                                        ;     Child Loop BB1663_24 Depth 2
                                        ;     Child Loop BB1663_108 Depth 2
	;; [unrolled: 1-line block ×8, first 2 shown]
	s_sub_i32 s5, s42, s61
	s_xor_b32 s43, s43, -1
	s_min_u32 s5, s5, 7
	ds_write2st64_b32 v43, v4, v4 offset1:4
	s_lshl_b32 s5, -1, s5
	s_waitcnt lgkmcnt(0)
	s_waitcnt_vscnt null, 0x0
	s_not_b32 s62, s5
	s_cmp_lg_u32 s61, s41
	s_mov_b32 s5, -1
	s_cbranch_scc0 .LBB1663_642
; %bb.21:                               ;   in Loop: Header=BB1663_20 Depth=1
	s_and_b32 vcc_lo, exec_lo, s43
	s_cbranch_vccz .LBB1663_331
; %bb.22:                               ;   in Loop: Header=BB1663_20 Depth=1
	v_mov_b32_e32 v17, 0
	v_mov_b32_e32 v20, 0
	;; [unrolled: 1-line block ×17, first 2 shown]
	s_mov_b32 s5, s60
	s_mov_b32 s17, s58
	s_barrier
	buffer_gl0_inv
	s_branch .LBB1663_24
.LBB1663_23:                            ;   in Loop: Header=BB1663_24 Depth=2
	s_or_b32 exec_lo, exec_lo, s16
	s_addk_i32 s5, 0xef00
	s_cmp_ge_u32 s15, s59
	s_mov_b32 s17, s15
	s_cbranch_scc1 .LBB1663_96
.LBB1663_24:                            ;   Parent Loop BB1663_20 Depth=1
                                        ; =>  This Inner Loop Header: Depth=2
	s_add_i32 s15, s17, 0x1100
	s_mov_b32 s16, -1
	s_cmp_gt_u32 s15, s59
                                        ; implicit-def: $vgpr21
                                        ; implicit-def: $vgpr22
                                        ; implicit-def: $vgpr23
                                        ; implicit-def: $vgpr24
                                        ; implicit-def: $vgpr25
                                        ; implicit-def: $vgpr26
                                        ; implicit-def: $vgpr27
                                        ; implicit-def: $vgpr28
                                        ; implicit-def: $vgpr29
                                        ; implicit-def: $vgpr30
                                        ; implicit-def: $vgpr31
                                        ; implicit-def: $vgpr32
                                        ; implicit-def: $vgpr33
                                        ; implicit-def: $vgpr34
                                        ; implicit-def: $vgpr35
                                        ; implicit-def: $vgpr36
                                        ; implicit-def: $vgpr37
	s_cbranch_scc1 .LBB1663_26
; %bb.25:                               ;   in Loop: Header=BB1663_24 Depth=2
	v_add_co_u32 v38, vcc_lo, v45, s17
	v_add_co_ci_u32_e64 v39, null, 0, v46, vcc_lo
	s_mov_b32 s16, 0
	v_add_co_u32 v21, vcc_lo, 0x800, v38
	v_add_co_ci_u32_e64 v22, null, 0, v39, vcc_lo
	v_add_co_u32 v23, vcc_lo, 0x1000, v38
	v_add_co_ci_u32_e64 v24, null, 0, v39, vcc_lo
	s_clause 0x10
	global_load_ubyte v36, v[21:22], off offset:1792
	global_load_ubyte v37, v[23:24], off
	global_load_ubyte v35, v[21:22], off offset:1536
	global_load_ubyte v34, v[21:22], off offset:1280
	;; [unrolled: 1-line block ×6, first 2 shown]
	global_load_ubyte v29, v[21:22], off
	global_load_ubyte v28, v[38:39], off offset:1792
	global_load_ubyte v27, v[38:39], off offset:1536
	;; [unrolled: 1-line block ×7, first 2 shown]
	global_load_ubyte v21, v[38:39], off
.LBB1663_26:                            ;   in Loop: Header=BB1663_24 Depth=2
	s_andn2_b32 vcc_lo, exec_lo, s16
	s_movk_i32 s16, 0x1100
	s_cbranch_vccnz .LBB1663_46
; %bb.27:                               ;   in Loop: Header=BB1663_24 Depth=2
	s_add_u32 s16, s48, s17
	s_addc_u32 s17, s49, 0
	s_mov_b32 s18, exec_lo
	v_cmpx_gt_u32_e64 s5, v0
	s_cbranch_execnz .LBB1663_80
; %bb.28:                               ;   in Loop: Header=BB1663_24 Depth=2
	s_or_b32 exec_lo, exec_lo, s18
	s_mov_b32 s18, exec_lo
	v_cmpx_gt_u32_e64 s5, v44
	s_cbranch_execnz .LBB1663_81
.LBB1663_29:                            ;   in Loop: Header=BB1663_24 Depth=2
	s_or_b32 exec_lo, exec_lo, s18
	s_mov_b32 s18, exec_lo
	v_cmpx_gt_u32_e64 s5, v47
	s_cbranch_execnz .LBB1663_82
.LBB1663_30:                            ;   in Loop: Header=BB1663_24 Depth=2
	s_or_b32 exec_lo, exec_lo, s18
	s_mov_b32 s18, exec_lo
	v_cmpx_gt_u32_e64 s5, v48
	s_cbranch_execnz .LBB1663_83
.LBB1663_31:                            ;   in Loop: Header=BB1663_24 Depth=2
	s_or_b32 exec_lo, exec_lo, s18
	s_mov_b32 s18, exec_lo
	v_cmpx_gt_u32_e64 s5, v49
	s_cbranch_execnz .LBB1663_84
.LBB1663_32:                            ;   in Loop: Header=BB1663_24 Depth=2
	s_or_b32 exec_lo, exec_lo, s18
	s_mov_b32 s18, exec_lo
	v_cmpx_gt_u32_e64 s5, v50
	s_cbranch_execnz .LBB1663_85
.LBB1663_33:                            ;   in Loop: Header=BB1663_24 Depth=2
	s_or_b32 exec_lo, exec_lo, s18
	s_mov_b32 s18, exec_lo
	v_cmpx_gt_u32_e64 s5, v51
	s_cbranch_execnz .LBB1663_86
.LBB1663_34:                            ;   in Loop: Header=BB1663_24 Depth=2
	s_or_b32 exec_lo, exec_lo, s18
	s_mov_b32 s18, exec_lo
	v_cmpx_gt_u32_e64 s5, v52
	s_cbranch_execnz .LBB1663_87
.LBB1663_35:                            ;   in Loop: Header=BB1663_24 Depth=2
	s_or_b32 exec_lo, exec_lo, s18
	s_mov_b32 s18, exec_lo
	v_cmpx_gt_u32_e64 s5, v53
	s_cbranch_execnz .LBB1663_88
.LBB1663_36:                            ;   in Loop: Header=BB1663_24 Depth=2
	s_or_b32 exec_lo, exec_lo, s18
	s_mov_b32 s18, exec_lo
	v_cmpx_gt_u32_e64 s5, v54
	s_cbranch_execnz .LBB1663_89
.LBB1663_37:                            ;   in Loop: Header=BB1663_24 Depth=2
	s_or_b32 exec_lo, exec_lo, s18
	s_mov_b32 s18, exec_lo
	v_cmpx_gt_u32_e64 s5, v55
	s_cbranch_execnz .LBB1663_90
.LBB1663_38:                            ;   in Loop: Header=BB1663_24 Depth=2
	s_or_b32 exec_lo, exec_lo, s18
	s_mov_b32 s18, exec_lo
	v_cmpx_gt_u32_e64 s5, v56
	s_cbranch_execnz .LBB1663_91
.LBB1663_39:                            ;   in Loop: Header=BB1663_24 Depth=2
	s_or_b32 exec_lo, exec_lo, s18
	s_mov_b32 s18, exec_lo
	v_cmpx_gt_u32_e64 s5, v57
	s_cbranch_execnz .LBB1663_92
.LBB1663_40:                            ;   in Loop: Header=BB1663_24 Depth=2
	s_or_b32 exec_lo, exec_lo, s18
	s_mov_b32 s18, exec_lo
	v_cmpx_gt_u32_e64 s5, v58
	s_cbranch_execnz .LBB1663_93
.LBB1663_41:                            ;   in Loop: Header=BB1663_24 Depth=2
	s_or_b32 exec_lo, exec_lo, s18
	s_mov_b32 s18, exec_lo
	v_cmpx_gt_u32_e64 s5, v59
	s_cbranch_execnz .LBB1663_94
.LBB1663_42:                            ;   in Loop: Header=BB1663_24 Depth=2
	s_or_b32 exec_lo, exec_lo, s18
	s_mov_b32 s18, exec_lo
	v_cmpx_gt_u32_e64 s5, v60
	s_cbranch_execnz .LBB1663_95
.LBB1663_43:                            ;   in Loop: Header=BB1663_24 Depth=2
	s_or_b32 exec_lo, exec_lo, s18
	s_mov_b32 s18, exec_lo
	v_cmpx_gt_u32_e64 s5, v61
	s_cbranch_execz .LBB1663_45
.LBB1663_44:                            ;   in Loop: Header=BB1663_24 Depth=2
	s_waitcnt vmcnt(0)
	v_add_co_u32 v21, s16, s16, v61
	v_add_co_ci_u32_e64 v22, null, s17, 0, s16
	global_load_ubyte v3, v[21:22], off
.LBB1663_45:                            ;   in Loop: Header=BB1663_24 Depth=2
	s_or_b32 exec_lo, exec_lo, s18
	s_waitcnt vmcnt(0)
	v_mov_b32_e32 v21, v17
	v_mov_b32_e32 v22, v20
	;; [unrolled: 1-line block ×17, first 2 shown]
	s_mov_b32 s16, s5
.LBB1663_46:                            ;   in Loop: Header=BB1663_24 Depth=2
	s_waitcnt vmcnt(15)
	v_mov_b32_e32 v3, v37
	v_mov_b32_e32 v5, v36
	s_waitcnt vmcnt(14)
	v_mov_b32_e32 v6, v35
	s_waitcnt vmcnt(13)
	;; [unrolled: 2-line block ×15, first 2 shown]
	v_mov_b32_e32 v17, v21
	s_mov_b32 s17, exec_lo
	v_cmpx_gt_u32_e64 s16, v0
	s_cbranch_execnz .LBB1663_63
; %bb.47:                               ;   in Loop: Header=BB1663_24 Depth=2
	s_or_b32 exec_lo, exec_lo, s17
	s_mov_b32 s17, exec_lo
	v_cmpx_gt_u32_e64 s16, v44
	s_cbranch_execnz .LBB1663_64
.LBB1663_48:                            ;   in Loop: Header=BB1663_24 Depth=2
	s_or_b32 exec_lo, exec_lo, s17
	s_mov_b32 s17, exec_lo
	v_cmpx_gt_u32_e64 s16, v47
	s_cbranch_execnz .LBB1663_65
.LBB1663_49:                            ;   in Loop: Header=BB1663_24 Depth=2
	s_or_b32 exec_lo, exec_lo, s17
	s_mov_b32 s17, exec_lo
	v_cmpx_gt_u32_e64 s16, v48
	s_cbranch_execnz .LBB1663_66
.LBB1663_50:                            ;   in Loop: Header=BB1663_24 Depth=2
	s_or_b32 exec_lo, exec_lo, s17
	s_mov_b32 s17, exec_lo
	v_cmpx_gt_u32_e64 s16, v49
	s_cbranch_execnz .LBB1663_67
.LBB1663_51:                            ;   in Loop: Header=BB1663_24 Depth=2
	s_or_b32 exec_lo, exec_lo, s17
	s_mov_b32 s17, exec_lo
	v_cmpx_gt_u32_e64 s16, v50
	s_cbranch_execnz .LBB1663_68
.LBB1663_52:                            ;   in Loop: Header=BB1663_24 Depth=2
	s_or_b32 exec_lo, exec_lo, s17
	s_mov_b32 s17, exec_lo
	v_cmpx_gt_u32_e64 s16, v51
	s_cbranch_execnz .LBB1663_69
.LBB1663_53:                            ;   in Loop: Header=BB1663_24 Depth=2
	s_or_b32 exec_lo, exec_lo, s17
	s_mov_b32 s17, exec_lo
	v_cmpx_gt_u32_e64 s16, v52
	s_cbranch_execnz .LBB1663_70
.LBB1663_54:                            ;   in Loop: Header=BB1663_24 Depth=2
	s_or_b32 exec_lo, exec_lo, s17
	s_mov_b32 s17, exec_lo
	v_cmpx_gt_u32_e64 s16, v53
	s_cbranch_execnz .LBB1663_71
.LBB1663_55:                            ;   in Loop: Header=BB1663_24 Depth=2
	s_or_b32 exec_lo, exec_lo, s17
	s_mov_b32 s17, exec_lo
	v_cmpx_gt_u32_e64 s16, v54
	s_cbranch_execnz .LBB1663_72
.LBB1663_56:                            ;   in Loop: Header=BB1663_24 Depth=2
	s_or_b32 exec_lo, exec_lo, s17
	s_mov_b32 s17, exec_lo
	v_cmpx_gt_u32_e64 s16, v55
	s_cbranch_execnz .LBB1663_73
.LBB1663_57:                            ;   in Loop: Header=BB1663_24 Depth=2
	s_or_b32 exec_lo, exec_lo, s17
	s_mov_b32 s17, exec_lo
	v_cmpx_gt_u32_e64 s16, v56
	s_cbranch_execnz .LBB1663_74
.LBB1663_58:                            ;   in Loop: Header=BB1663_24 Depth=2
	s_or_b32 exec_lo, exec_lo, s17
	s_mov_b32 s17, exec_lo
	v_cmpx_gt_u32_e64 s16, v57
	s_cbranch_execnz .LBB1663_75
.LBB1663_59:                            ;   in Loop: Header=BB1663_24 Depth=2
	s_or_b32 exec_lo, exec_lo, s17
	s_mov_b32 s17, exec_lo
	v_cmpx_gt_u32_e64 s16, v58
	s_cbranch_execnz .LBB1663_76
.LBB1663_60:                            ;   in Loop: Header=BB1663_24 Depth=2
	s_or_b32 exec_lo, exec_lo, s17
	s_mov_b32 s17, exec_lo
	v_cmpx_gt_u32_e64 s16, v59
	s_cbranch_execnz .LBB1663_77
.LBB1663_61:                            ;   in Loop: Header=BB1663_24 Depth=2
	s_or_b32 exec_lo, exec_lo, s17
	s_mov_b32 s17, exec_lo
	v_cmpx_gt_u32_e64 s16, v60
	s_cbranch_execnz .LBB1663_78
.LBB1663_62:                            ;   in Loop: Header=BB1663_24 Depth=2
	s_or_b32 exec_lo, exec_lo, s17
	v_cmp_gt_u32_e32 vcc_lo, s16, v61
	s_and_saveexec_b32 s16, vcc_lo
	s_cbranch_execz .LBB1663_23
	s_branch .LBB1663_79
.LBB1663_63:                            ;   in Loop: Header=BB1663_24 Depth=2
	v_and_b32_e32 v21, 1, v17
	v_lshrrev_b32_e32 v21, s61, v21
	v_and_b32_e32 v21, s62, v21
	v_lshl_or_b32 v21, v21, 4, v63
	ds_add_u32 v21, v89
	s_or_b32 exec_lo, exec_lo, s17
	s_mov_b32 s17, exec_lo
	v_cmpx_gt_u32_e64 s16, v44
	s_cbranch_execz .LBB1663_48
.LBB1663_64:                            ;   in Loop: Header=BB1663_24 Depth=2
	v_and_b32_e32 v21, 1, v20
	v_lshrrev_b32_e32 v21, s61, v21
	v_and_b32_e32 v21, s62, v21
	v_lshl_or_b32 v21, v21, 4, v63
	ds_add_u32 v21, v89
	s_or_b32 exec_lo, exec_lo, s17
	s_mov_b32 s17, exec_lo
	v_cmpx_gt_u32_e64 s16, v47
	s_cbranch_execz .LBB1663_49
.LBB1663_65:                            ;   in Loop: Header=BB1663_24 Depth=2
	v_and_b32_e32 v21, 1, v19
	v_lshrrev_b32_e32 v21, s61, v21
	v_and_b32_e32 v21, s62, v21
	v_lshl_or_b32 v21, v21, 4, v63
	ds_add_u32 v21, v89
	s_or_b32 exec_lo, exec_lo, s17
	s_mov_b32 s17, exec_lo
	v_cmpx_gt_u32_e64 s16, v48
	s_cbranch_execz .LBB1663_50
.LBB1663_66:                            ;   in Loop: Header=BB1663_24 Depth=2
	v_and_b32_e32 v21, 1, v18
	v_lshrrev_b32_e32 v21, s61, v21
	v_and_b32_e32 v21, s62, v21
	v_lshl_or_b32 v21, v21, 4, v63
	ds_add_u32 v21, v89
	s_or_b32 exec_lo, exec_lo, s17
	s_mov_b32 s17, exec_lo
	v_cmpx_gt_u32_e64 s16, v49
	s_cbranch_execz .LBB1663_51
.LBB1663_67:                            ;   in Loop: Header=BB1663_24 Depth=2
	v_and_b32_e32 v21, 1, v16
	v_lshrrev_b32_e32 v21, s61, v21
	v_and_b32_e32 v21, s62, v21
	v_lshl_or_b32 v21, v21, 4, v63
	ds_add_u32 v21, v89
	s_or_b32 exec_lo, exec_lo, s17
	s_mov_b32 s17, exec_lo
	v_cmpx_gt_u32_e64 s16, v50
	s_cbranch_execz .LBB1663_52
.LBB1663_68:                            ;   in Loop: Header=BB1663_24 Depth=2
	v_and_b32_e32 v21, 1, v15
	v_lshrrev_b32_e32 v21, s61, v21
	v_and_b32_e32 v21, s62, v21
	v_lshl_or_b32 v21, v21, 4, v63
	ds_add_u32 v21, v89
	s_or_b32 exec_lo, exec_lo, s17
	s_mov_b32 s17, exec_lo
	v_cmpx_gt_u32_e64 s16, v51
	s_cbranch_execz .LBB1663_53
.LBB1663_69:                            ;   in Loop: Header=BB1663_24 Depth=2
	v_and_b32_e32 v21, 1, v14
	v_lshrrev_b32_e32 v21, s61, v21
	v_and_b32_e32 v21, s62, v21
	v_lshl_or_b32 v21, v21, 4, v63
	ds_add_u32 v21, v89
	s_or_b32 exec_lo, exec_lo, s17
	s_mov_b32 s17, exec_lo
	v_cmpx_gt_u32_e64 s16, v52
	s_cbranch_execz .LBB1663_54
.LBB1663_70:                            ;   in Loop: Header=BB1663_24 Depth=2
	v_and_b32_e32 v21, 1, v13
	v_lshrrev_b32_e32 v21, s61, v21
	v_and_b32_e32 v21, s62, v21
	v_lshl_or_b32 v21, v21, 4, v63
	ds_add_u32 v21, v89
	s_or_b32 exec_lo, exec_lo, s17
	s_mov_b32 s17, exec_lo
	v_cmpx_gt_u32_e64 s16, v53
	s_cbranch_execz .LBB1663_55
.LBB1663_71:                            ;   in Loop: Header=BB1663_24 Depth=2
	v_and_b32_e32 v21, 1, v12
	v_lshrrev_b32_e32 v21, s61, v21
	v_and_b32_e32 v21, s62, v21
	v_lshl_or_b32 v21, v21, 4, v63
	ds_add_u32 v21, v89
	s_or_b32 exec_lo, exec_lo, s17
	s_mov_b32 s17, exec_lo
	v_cmpx_gt_u32_e64 s16, v54
	s_cbranch_execz .LBB1663_56
.LBB1663_72:                            ;   in Loop: Header=BB1663_24 Depth=2
	v_and_b32_e32 v21, 1, v11
	v_lshrrev_b32_e32 v21, s61, v21
	v_and_b32_e32 v21, s62, v21
	v_lshl_or_b32 v21, v21, 4, v63
	ds_add_u32 v21, v89
	s_or_b32 exec_lo, exec_lo, s17
	s_mov_b32 s17, exec_lo
	v_cmpx_gt_u32_e64 s16, v55
	s_cbranch_execz .LBB1663_57
.LBB1663_73:                            ;   in Loop: Header=BB1663_24 Depth=2
	v_and_b32_e32 v21, 1, v10
	v_lshrrev_b32_e32 v21, s61, v21
	v_and_b32_e32 v21, s62, v21
	v_lshl_or_b32 v21, v21, 4, v63
	ds_add_u32 v21, v89
	s_or_b32 exec_lo, exec_lo, s17
	s_mov_b32 s17, exec_lo
	v_cmpx_gt_u32_e64 s16, v56
	s_cbranch_execz .LBB1663_58
.LBB1663_74:                            ;   in Loop: Header=BB1663_24 Depth=2
	v_and_b32_e32 v21, 1, v9
	v_lshrrev_b32_e32 v21, s61, v21
	v_and_b32_e32 v21, s62, v21
	v_lshl_or_b32 v21, v21, 4, v63
	ds_add_u32 v21, v89
	s_or_b32 exec_lo, exec_lo, s17
	s_mov_b32 s17, exec_lo
	v_cmpx_gt_u32_e64 s16, v57
	s_cbranch_execz .LBB1663_59
.LBB1663_75:                            ;   in Loop: Header=BB1663_24 Depth=2
	v_and_b32_e32 v21, 1, v8
	v_lshrrev_b32_e32 v21, s61, v21
	v_and_b32_e32 v21, s62, v21
	v_lshl_or_b32 v21, v21, 4, v63
	ds_add_u32 v21, v89
	s_or_b32 exec_lo, exec_lo, s17
	s_mov_b32 s17, exec_lo
	v_cmpx_gt_u32_e64 s16, v58
	s_cbranch_execz .LBB1663_60
.LBB1663_76:                            ;   in Loop: Header=BB1663_24 Depth=2
	v_and_b32_e32 v21, 1, v7
	v_lshrrev_b32_e32 v21, s61, v21
	v_and_b32_e32 v21, s62, v21
	v_lshl_or_b32 v21, v21, 4, v63
	ds_add_u32 v21, v89
	s_or_b32 exec_lo, exec_lo, s17
	s_mov_b32 s17, exec_lo
	v_cmpx_gt_u32_e64 s16, v59
	s_cbranch_execz .LBB1663_61
.LBB1663_77:                            ;   in Loop: Header=BB1663_24 Depth=2
	v_and_b32_e32 v21, 1, v6
	v_lshrrev_b32_e32 v21, s61, v21
	v_and_b32_e32 v21, s62, v21
	v_lshl_or_b32 v21, v21, 4, v63
	ds_add_u32 v21, v89
	s_or_b32 exec_lo, exec_lo, s17
	s_mov_b32 s17, exec_lo
	v_cmpx_gt_u32_e64 s16, v60
	s_cbranch_execz .LBB1663_62
.LBB1663_78:                            ;   in Loop: Header=BB1663_24 Depth=2
	v_and_b32_e32 v21, 1, v5
	v_lshrrev_b32_e32 v21, s61, v21
	v_and_b32_e32 v21, s62, v21
	v_lshl_or_b32 v21, v21, 4, v63
	ds_add_u32 v21, v89
	s_or_b32 exec_lo, exec_lo, s17
	v_cmp_gt_u32_e32 vcc_lo, s16, v61
	s_and_saveexec_b32 s16, vcc_lo
	s_cbranch_execz .LBB1663_23
.LBB1663_79:                            ;   in Loop: Header=BB1663_24 Depth=2
	v_and_b32_e32 v21, 1, v3
	v_lshrrev_b32_e32 v21, s61, v21
	v_and_b32_e32 v21, s62, v21
	v_lshl_or_b32 v21, v21, 4, v63
	ds_add_u32 v21, v89
	s_branch .LBB1663_23
.LBB1663_80:                            ;   in Loop: Header=BB1663_24 Depth=2
	s_waitcnt vmcnt(0)
	v_add_co_u32 v21, s19, s16, v0
	v_add_co_ci_u32_e64 v22, null, s17, 0, s19
	global_load_ubyte v17, v[21:22], off
	s_or_b32 exec_lo, exec_lo, s18
	s_mov_b32 s18, exec_lo
	v_cmpx_gt_u32_e64 s5, v44
	s_cbranch_execz .LBB1663_29
.LBB1663_81:                            ;   in Loop: Header=BB1663_24 Depth=2
	v_add_co_u32 v20, s19, s16, v0
	s_waitcnt vmcnt(0)
	v_add_co_ci_u32_e64 v21, null, s17, 0, s19
	global_load_ubyte v20, v[20:21], off offset:256
	s_or_b32 exec_lo, exec_lo, s18
	s_mov_b32 s18, exec_lo
	v_cmpx_gt_u32_e64 s5, v47
	s_cbranch_execz .LBB1663_30
.LBB1663_82:                            ;   in Loop: Header=BB1663_24 Depth=2
	s_waitcnt vmcnt(0)
	v_add_co_u32 v21, s19, s16, v0
	v_add_co_ci_u32_e64 v22, null, s17, 0, s19
	global_load_ubyte v19, v[21:22], off offset:512
	s_or_b32 exec_lo, exec_lo, s18
	s_mov_b32 s18, exec_lo
	v_cmpx_gt_u32_e64 s5, v48
	s_cbranch_execz .LBB1663_31
.LBB1663_83:                            ;   in Loop: Header=BB1663_24 Depth=2
	s_waitcnt vmcnt(0)
	v_add_co_u32 v21, s19, s16, v0
	v_add_co_ci_u32_e64 v22, null, s17, 0, s19
	global_load_ubyte v18, v[21:22], off offset:768
	s_or_b32 exec_lo, exec_lo, s18
	s_mov_b32 s18, exec_lo
	v_cmpx_gt_u32_e64 s5, v49
	s_cbranch_execz .LBB1663_32
.LBB1663_84:                            ;   in Loop: Header=BB1663_24 Depth=2
	s_waitcnt vmcnt(0)
	v_add_co_u32 v21, s19, s16, v0
	v_add_co_ci_u32_e64 v22, null, s17, 0, s19
	global_load_ubyte v16, v[21:22], off offset:1024
	s_or_b32 exec_lo, exec_lo, s18
	s_mov_b32 s18, exec_lo
	v_cmpx_gt_u32_e64 s5, v50
	s_cbranch_execz .LBB1663_33
.LBB1663_85:                            ;   in Loop: Header=BB1663_24 Depth=2
	s_waitcnt vmcnt(0)
	v_add_co_u32 v21, s19, s16, v0
	v_add_co_ci_u32_e64 v22, null, s17, 0, s19
	global_load_ubyte v15, v[21:22], off offset:1280
	s_or_b32 exec_lo, exec_lo, s18
	s_mov_b32 s18, exec_lo
	v_cmpx_gt_u32_e64 s5, v51
	s_cbranch_execz .LBB1663_34
.LBB1663_86:                            ;   in Loop: Header=BB1663_24 Depth=2
	s_waitcnt vmcnt(0)
	v_add_co_u32 v21, s19, s16, v0
	v_add_co_ci_u32_e64 v22, null, s17, 0, s19
	global_load_ubyte v14, v[21:22], off offset:1536
	s_or_b32 exec_lo, exec_lo, s18
	s_mov_b32 s18, exec_lo
	v_cmpx_gt_u32_e64 s5, v52
	s_cbranch_execz .LBB1663_35
.LBB1663_87:                            ;   in Loop: Header=BB1663_24 Depth=2
	s_waitcnt vmcnt(0)
	v_add_co_u32 v21, s19, s16, v0
	v_add_co_ci_u32_e64 v22, null, s17, 0, s19
	global_load_ubyte v13, v[21:22], off offset:1792
	s_or_b32 exec_lo, exec_lo, s18
	s_mov_b32 s18, exec_lo
	v_cmpx_gt_u32_e64 s5, v53
	s_cbranch_execz .LBB1663_36
.LBB1663_88:                            ;   in Loop: Header=BB1663_24 Depth=2
	s_waitcnt vmcnt(0)
	v_add_co_u32 v21, s19, s16, v53
	v_add_co_ci_u32_e64 v22, null, s17, 0, s19
	global_load_ubyte v12, v[21:22], off
	s_or_b32 exec_lo, exec_lo, s18
	s_mov_b32 s18, exec_lo
	v_cmpx_gt_u32_e64 s5, v54
	s_cbranch_execz .LBB1663_37
.LBB1663_89:                            ;   in Loop: Header=BB1663_24 Depth=2
	s_waitcnt vmcnt(0)
	v_add_co_u32 v21, s19, s16, v54
	v_add_co_ci_u32_e64 v22, null, s17, 0, s19
	global_load_ubyte v11, v[21:22], off
	s_or_b32 exec_lo, exec_lo, s18
	s_mov_b32 s18, exec_lo
	v_cmpx_gt_u32_e64 s5, v55
	s_cbranch_execz .LBB1663_38
.LBB1663_90:                            ;   in Loop: Header=BB1663_24 Depth=2
	s_waitcnt vmcnt(0)
	v_add_co_u32 v21, s19, s16, v55
	v_add_co_ci_u32_e64 v22, null, s17, 0, s19
	global_load_ubyte v10, v[21:22], off
	s_or_b32 exec_lo, exec_lo, s18
	s_mov_b32 s18, exec_lo
	v_cmpx_gt_u32_e64 s5, v56
	s_cbranch_execz .LBB1663_39
.LBB1663_91:                            ;   in Loop: Header=BB1663_24 Depth=2
	s_waitcnt vmcnt(0)
	v_add_co_u32 v21, s19, s16, v56
	v_add_co_ci_u32_e64 v22, null, s17, 0, s19
	global_load_ubyte v9, v[21:22], off
	s_or_b32 exec_lo, exec_lo, s18
	s_mov_b32 s18, exec_lo
	v_cmpx_gt_u32_e64 s5, v57
	s_cbranch_execz .LBB1663_40
.LBB1663_92:                            ;   in Loop: Header=BB1663_24 Depth=2
	s_waitcnt vmcnt(0)
	v_add_co_u32 v21, s19, s16, v57
	v_add_co_ci_u32_e64 v22, null, s17, 0, s19
	global_load_ubyte v8, v[21:22], off
	s_or_b32 exec_lo, exec_lo, s18
	s_mov_b32 s18, exec_lo
	v_cmpx_gt_u32_e64 s5, v58
	s_cbranch_execz .LBB1663_41
.LBB1663_93:                            ;   in Loop: Header=BB1663_24 Depth=2
	s_waitcnt vmcnt(0)
	v_add_co_u32 v21, s19, s16, v58
	v_add_co_ci_u32_e64 v22, null, s17, 0, s19
	global_load_ubyte v7, v[21:22], off
	s_or_b32 exec_lo, exec_lo, s18
	s_mov_b32 s18, exec_lo
	v_cmpx_gt_u32_e64 s5, v59
	s_cbranch_execz .LBB1663_42
.LBB1663_94:                            ;   in Loop: Header=BB1663_24 Depth=2
	s_waitcnt vmcnt(0)
	v_add_co_u32 v21, s19, s16, v59
	v_add_co_ci_u32_e64 v22, null, s17, 0, s19
	global_load_ubyte v6, v[21:22], off
	s_or_b32 exec_lo, exec_lo, s18
	s_mov_b32 s18, exec_lo
	v_cmpx_gt_u32_e64 s5, v60
	s_cbranch_execz .LBB1663_43
.LBB1663_95:                            ;   in Loop: Header=BB1663_24 Depth=2
	s_waitcnt vmcnt(0)
	v_add_co_u32 v21, s19, s16, v60
	v_add_co_ci_u32_e64 v22, null, s17, 0, s19
	global_load_ubyte v5, v[21:22], off
	s_or_b32 exec_lo, exec_lo, s18
	s_mov_b32 s18, exec_lo
	v_cmpx_gt_u32_e64 s5, v61
	s_cbranch_execnz .LBB1663_44
	s_branch .LBB1663_45
.LBB1663_96:                            ;   in Loop: Header=BB1663_20 Depth=1
	v_mov_b32_e32 v3, 0
	s_waitcnt lgkmcnt(0)
	s_barrier
	buffer_gl0_inv
	s_and_saveexec_b32 s5, s8
	s_cbranch_execz .LBB1663_98
; %bb.97:                               ;   in Loop: Header=BB1663_20 Depth=1
	ds_read2_b64 v[5:8], v64 offset1:1
	s_waitcnt lgkmcnt(0)
	v_add_nc_u32_e32 v3, v6, v5
	v_add3_u32 v3, v3, v7, v8
.LBB1663_98:                            ;   in Loop: Header=BB1663_20 Depth=1
	s_or_b32 exec_lo, exec_lo, s5
	v_and_b32_e32 v5, 15, v86
	v_mov_b32_dpp v6, v3 row_shr:1 row_mask:0xf bank_mask:0xf
	v_and_b32_e32 v7, 16, v86
	v_cmp_eq_u32_e64 s5, 0, v5
	v_cmp_lt_u32_e64 s15, 1, v5
	v_cmp_lt_u32_e64 s16, 3, v5
	;; [unrolled: 1-line block ×3, first 2 shown]
	v_cmp_eq_u32_e64 s18, 0, v7
	v_cndmask_b32_e64 v6, v6, 0, s5
	v_add_nc_u32_e32 v3, v6, v3
	v_mov_b32_dpp v6, v3 row_shr:2 row_mask:0xf bank_mask:0xf
	v_cndmask_b32_e64 v6, 0, v6, s15
	v_add_nc_u32_e32 v3, v3, v6
	v_mov_b32_dpp v6, v3 row_shr:4 row_mask:0xf bank_mask:0xf
	;; [unrolled: 3-line block ×3, first 2 shown]
	v_cndmask_b32_e64 v5, 0, v6, s17
	v_bfe_i32 v6, v86, 4, 1
	v_add_nc_u32_e32 v3, v3, v5
	ds_swizzle_b32 v5, v3 offset:swizzle(BROADCAST,32,15)
	s_waitcnt lgkmcnt(0)
	v_and_b32_e32 v5, v6, v5
	v_add_nc_u32_e32 v3, v3, v5
	s_and_saveexec_b32 s19, s9
; %bb.99:                               ;   in Loop: Header=BB1663_20 Depth=1
	ds_write_b32 v65, v3
; %bb.100:                              ;   in Loop: Header=BB1663_20 Depth=1
	s_or_b32 exec_lo, exec_lo, s19
	s_waitcnt lgkmcnt(0)
	s_barrier
	buffer_gl0_inv
	s_and_saveexec_b32 s19, s10
	s_cbranch_execz .LBB1663_102
; %bb.101:                              ;   in Loop: Header=BB1663_20 Depth=1
	ds_read_b32 v5, v66
	v_and_b32_e32 v6, 3, v86
	v_cmp_ne_u32_e32 vcc_lo, 0, v6
	s_waitcnt lgkmcnt(0)
	v_mov_b32_dpp v7, v5 row_shr:1 row_mask:0xf bank_mask:0xf
	v_cndmask_b32_e32 v7, 0, v7, vcc_lo
	v_cmp_lt_u32_e32 vcc_lo, 1, v6
	v_add_nc_u32_e32 v5, v7, v5
	v_mov_b32_dpp v7, v5 row_shr:2 row_mask:0xf bank_mask:0xf
	v_cndmask_b32_e32 v6, 0, v7, vcc_lo
	v_add_nc_u32_e32 v5, v5, v6
	ds_write_b32 v66, v5
.LBB1663_102:                           ;   in Loop: Header=BB1663_20 Depth=1
	s_or_b32 exec_lo, exec_lo, s19
	v_mov_b32_e32 v5, 0
	s_waitcnt lgkmcnt(0)
	s_barrier
	buffer_gl0_inv
	s_and_saveexec_b32 s19, s11
; %bb.103:                              ;   in Loop: Header=BB1663_20 Depth=1
	ds_read_b32 v5, v67
; %bb.104:                              ;   in Loop: Header=BB1663_20 Depth=1
	s_or_b32 exec_lo, exec_lo, s19
	v_sub_co_u32 v6, s19, v86, 1
	s_waitcnt lgkmcnt(0)
	v_add_nc_u32_e32 v3, v5, v3
	s_barrier
	v_cmp_gt_i32_e32 vcc_lo, 0, v6
	buffer_gl0_inv
	v_cndmask_b32_e32 v6, v6, v86, vcc_lo
	v_lshlrev_b32_e32 v92, 2, v6
	ds_bpermute_b32 v3, v92, v3
	s_and_saveexec_b32 s20, s8
	s_cbranch_execz .LBB1663_106
; %bb.105:                              ;   in Loop: Header=BB1663_20 Depth=1
	s_waitcnt lgkmcnt(0)
	v_cndmask_b32_e64 v3, v3, v5, s19
	v_add_nc_u32_e32 v3, s58, v3
	ds_write_b32 v43, v3
.LBB1663_106:                           ;   in Loop: Header=BB1663_20 Depth=1
	s_or_b32 exec_lo, exec_lo, s20
	s_clause 0x1
	s_load_dword s20, s[56:57], 0x4
	s_load_dword s23, s[56:57], 0xc
	v_and_b32_e32 v5, 7, v86
	v_lshlrev_b32_e32 v6, 3, v86
	v_or_b32_e32 v93, v86, v68
	s_mov_b32 s63, s60
	s_mov_b32 s50, s58
	v_cmp_lt_u32_e64 s22, 3, v5
	v_add_co_u32 v94, vcc_lo, v73, v6
	v_add_co_ci_u32_e64 v95, null, 0, v74, vcc_lo
	v_add_nc_u32_e32 v96, 32, v93
	v_add_nc_u32_e32 v97, 64, v93
	;; [unrolled: 1-line block ×8, first 2 shown]
	s_waitcnt lgkmcnt(0)
	s_cmp_lt_u32 s7, s20
	v_add_nc_u32_e32 v104, 0x120, v93
	s_cselect_b32 s20, 14, 20
	v_add_nc_u32_e32 v105, 0x140, v93
	s_add_u32 s20, s56, s20
	s_addc_u32 s21, s57, 0
	s_and_b32 s23, s23, 0xffff
	global_load_ushort v3, v4, s[20:21]
	v_cmp_eq_u32_e64 s20, 0, v5
	v_cmp_lt_u32_e64 s21, 1, v5
	v_add_nc_u32_e32 v106, 0x160, v93
	v_add_nc_u32_e32 v107, 0x180, v93
	;; [unrolled: 1-line block ×6, first 2 shown]
                                        ; implicit-def: $vgpr7_vgpr8
                                        ; implicit-def: $vgpr9_vgpr10
                                        ; implicit-def: $vgpr11_vgpr12
                                        ; implicit-def: $vgpr13_vgpr14
                                        ; implicit-def: $vgpr15_vgpr16
                                        ; implicit-def: $vgpr19_vgpr20
                                        ; implicit-def: $vgpr23_vgpr24
                                        ; implicit-def: $vgpr27_vgpr28
                                        ; implicit-def: $vgpr17_vgpr18
                                        ; implicit-def: $vgpr21_vgpr22
                                        ; implicit-def: $vgpr25_vgpr26
                                        ; implicit-def: $vgpr29_vgpr30
                                        ; implicit-def: $vgpr31_vgpr32
                                        ; implicit-def: $vgpr33_vgpr34
                                        ; implicit-def: $vgpr35_vgpr36
                                        ; implicit-def: $vgpr37_vgpr38
                                        ; implicit-def: $vgpr113
                                        ; implicit-def: $vgpr114
                                        ; implicit-def: $vgpr115
                                        ; implicit-def: $vgpr116
                                        ; implicit-def: $vgpr117
                                        ; implicit-def: $vgpr118
                                        ; implicit-def: $vgpr119
                                        ; implicit-def: $vgpr120
                                        ; implicit-def: $vgpr121
                                        ; implicit-def: $vgpr122
                                        ; implicit-def: $vgpr123
                                        ; implicit-def: $vgpr124
                                        ; implicit-def: $vgpr125
                                        ; implicit-def: $vgpr126
                                        ; implicit-def: $vgpr127
                                        ; implicit-def: $vgpr128
                                        ; implicit-def: $vgpr129
                                        ; implicit-def: $vgpr130
                                        ; implicit-def: $vgpr131
	s_waitcnt vmcnt(0)
	v_mad_u32_u24 v3, v2, v3, v1
	v_mad_u64_u32 v[5:6], null, v3, s23, v[0:1]
	v_lshrrev_b32_e32 v3, 3, v5
                                        ; implicit-def: $vgpr5_vgpr6
	v_and_b32_e32 v112, 0x1ffffffc, v3
	s_branch .LBB1663_108
.LBB1663_107:                           ;   in Loop: Header=BB1663_108 Depth=2
	s_or_b32 exec_lo, exec_lo, s23
	s_addk_i32 s63, 0xef00
	s_cmp_lt_u32 s64, s59
	s_mov_b32 s50, s64
	s_cbranch_scc0 .LBB1663_330
.LBB1663_108:                           ;   Parent Loop BB1663_20 Depth=1
                                        ; =>  This Inner Loop Header: Depth=2
	s_add_i32 s64, s50, 0x1100
	s_cmp_gt_u32 s64, s59
	s_cbranch_scc1 .LBB1663_110
; %bb.109:                              ;   in Loop: Header=BB1663_108 Depth=2
	v_add_co_u32 v39, vcc_lo, v90, s50
	v_add_co_ci_u32_e64 v40, null, 0, v91, vcc_lo
	s_mov_b32 s23, -1
	s_clause 0xf
	global_load_ubyte v132, v[39:40], off
	global_load_ubyte v133, v[39:40], off offset:32
	global_load_ubyte v134, v[39:40], off offset:64
	;; [unrolled: 1-line block ×15, first 2 shown]
	s_movk_i32 s24, 0x1100
	s_cbranch_execz .LBB1663_111
	s_branch .LBB1663_144
.LBB1663_110:                           ;   in Loop: Header=BB1663_108 Depth=2
	s_mov_b32 s23, 0
                                        ; implicit-def: $vgpr132
                                        ; implicit-def: $vgpr133
                                        ; implicit-def: $vgpr134
                                        ; implicit-def: $vgpr135
                                        ; implicit-def: $vgpr136
                                        ; implicit-def: $vgpr137
                                        ; implicit-def: $vgpr138
                                        ; implicit-def: $vgpr139
                                        ; implicit-def: $vgpr140
                                        ; implicit-def: $vgpr141
                                        ; implicit-def: $vgpr142
                                        ; implicit-def: $vgpr143
                                        ; implicit-def: $vgpr144
                                        ; implicit-def: $vgpr145
                                        ; implicit-def: $vgpr146
                                        ; implicit-def: $vgpr147
	s_movk_i32 s24, 0x1100
.LBB1663_111:                           ;   in Loop: Header=BB1663_108 Depth=2
	v_add_co_u32 v39, vcc_lo, v90, s50
	v_add_co_ci_u32_e64 v40, null, 0, v91, vcc_lo
	s_waitcnt vmcnt(14)
	v_mov_b32_e32 v133, 1
	v_mov_b32_e32 v132, 1
	s_mov_b32 s23, exec_lo
	v_cmpx_gt_u32_e64 s63, v93
	s_cbranch_execz .LBB1663_113
; %bb.112:                              ;   in Loop: Header=BB1663_108 Depth=2
	global_load_ubyte v132, v[39:40], off
.LBB1663_113:                           ;   in Loop: Header=BB1663_108 Depth=2
	s_or_b32 exec_lo, exec_lo, s23
	s_mov_b32 s23, exec_lo
	v_cmpx_gt_u32_e64 s63, v96
	s_cbranch_execz .LBB1663_115
; %bb.114:                              ;   in Loop: Header=BB1663_108 Depth=2
	global_load_ubyte v133, v[39:40], off offset:32
.LBB1663_115:                           ;   in Loop: Header=BB1663_108 Depth=2
	s_or_b32 exec_lo, exec_lo, s23
	s_waitcnt vmcnt(12)
	v_mov_b32_e32 v135, 1
	v_mov_b32_e32 v134, 1
	s_mov_b32 s23, exec_lo
	v_cmpx_gt_u32_e64 s63, v97
	s_cbranch_execz .LBB1663_117
; %bb.116:                              ;   in Loop: Header=BB1663_108 Depth=2
	global_load_ubyte v134, v[39:40], off offset:64
.LBB1663_117:                           ;   in Loop: Header=BB1663_108 Depth=2
	s_or_b32 exec_lo, exec_lo, s23
	s_mov_b32 s23, exec_lo
	v_cmpx_gt_u32_e64 s63, v98
	s_cbranch_execz .LBB1663_119
; %bb.118:                              ;   in Loop: Header=BB1663_108 Depth=2
	global_load_ubyte v135, v[39:40], off offset:96
.LBB1663_119:                           ;   in Loop: Header=BB1663_108 Depth=2
	s_or_b32 exec_lo, exec_lo, s23
	s_waitcnt vmcnt(10)
	v_mov_b32_e32 v137, 1
	v_mov_b32_e32 v136, 1
	s_mov_b32 s23, exec_lo
	v_cmpx_gt_u32_e64 s63, v99
	s_cbranch_execz .LBB1663_121
; %bb.120:                              ;   in Loop: Header=BB1663_108 Depth=2
	global_load_ubyte v136, v[39:40], off offset:128
.LBB1663_121:                           ;   in Loop: Header=BB1663_108 Depth=2
	;; [unrolled: 17-line block ×7, first 2 shown]
	s_or_b32 exec_lo, exec_lo, s23
	s_mov_b32 s23, exec_lo
	v_cmpx_gt_u32_e64 s63, v110
	s_cbranch_execz .LBB1663_143
; %bb.142:                              ;   in Loop: Header=BB1663_108 Depth=2
	global_load_ubyte v147, v[39:40], off offset:480
.LBB1663_143:                           ;   in Loop: Header=BB1663_108 Depth=2
	s_or_b32 exec_lo, exec_lo, s23
	v_cmp_gt_u32_e64 s23, s63, v111
	s_sub_i32 s24, s59, s50
.LBB1663_144:                           ;   in Loop: Header=BB1663_108 Depth=2
	v_mov_b32_e32 v148, 1
	v_mov_b32_e32 v3, s63
	s_and_saveexec_b32 s25, s23
	s_cbranch_execz .LBB1663_146
; %bb.145:                              ;   in Loop: Header=BB1663_108 Depth=2
	v_add_co_u32 v39, vcc_lo, v90, s50
	v_add_co_ci_u32_e64 v40, null, s51, v91, vcc_lo
	v_mov_b32_e32 v3, s24
	global_load_ubyte v148, v[39:40], off offset:512
.LBB1663_146:                           ;   in Loop: Header=BB1663_108 Depth=2
	s_or_b32 exec_lo, exec_lo, s25
	s_waitcnt vmcnt(15)
	v_lshrrev_b32_sdwa v39, s61, v132 dst_sel:DWORD dst_unused:UNUSED_PAD src0_sel:DWORD src1_sel:BYTE_0
	ds_write2_b32 v69, v4, v4 offset0:136 offset1:137
	ds_write2_b32 v69, v4, v4 offset0:138 offset1:139
	ds_write_b32 v69, v4 offset:560
	s_waitcnt vmcnt(0) lgkmcnt(0)
	s_barrier
	v_and_b32_e32 v40, s62, v39
	buffer_gl0_inv
	; wave barrier
	v_add_co_u32 v39, s23, v40, -1
	v_cndmask_b32_e64 v41, 0, 1, s23
	v_mul_u32_u24_e32 v40, 36, v40
	v_cmp_ne_u32_e32 vcc_lo, 0, v41
	v_add_nc_u32_e32 v152, v112, v40
	v_xor_b32_e32 v39, vcc_lo, v39
	v_and_b32_e32 v39, exec_lo, v39
	v_mbcnt_lo_u32_b32 v149, v39, 0
	v_cmp_ne_u32_e64 s23, 0, v39
	v_cmp_eq_u32_e32 vcc_lo, 0, v149
	s_and_b32 s24, s23, vcc_lo
	s_and_saveexec_b32 s23, s24
; %bb.147:                              ;   in Loop: Header=BB1663_108 Depth=2
	v_bcnt_u32_b32 v39, v39, 0
	ds_write_b32 v152, v39 offset:544
; %bb.148:                              ;   in Loop: Header=BB1663_108 Depth=2
	s_or_b32 exec_lo, exec_lo, s23
	v_lshrrev_b32_sdwa v39, s61, v133 dst_sel:DWORD dst_unused:UNUSED_PAD src0_sel:DWORD src1_sel:BYTE_0
	; wave barrier
	v_and_b32_e32 v40, s62, v39
	v_add_co_u32 v39, s23, v40, -1
	v_cndmask_b32_e64 v41, 0, 1, s23
	v_cmp_ne_u32_e32 vcc_lo, 0, v41
	v_mad_u32_u24 v41, v40, 36, v112
	v_mul_u32_u24_e32 v40, 36, v40
	v_xor_b32_e32 v39, vcc_lo, v39
	ds_read_b32 v150, v41 offset:544
	v_add_nc_u32_e32 v155, v112, v40
	; wave barrier
	v_and_b32_e32 v39, exec_lo, v39
	v_mbcnt_lo_u32_b32 v151, v39, 0
	v_cmp_ne_u32_e64 s23, 0, v39
	v_cmp_eq_u32_e32 vcc_lo, 0, v151
	s_and_b32 s24, s23, vcc_lo
	s_and_saveexec_b32 s23, s24
	s_cbranch_execz .LBB1663_150
; %bb.149:                              ;   in Loop: Header=BB1663_108 Depth=2
	s_waitcnt lgkmcnt(0)
	v_bcnt_u32_b32 v39, v39, v150
	ds_write_b32 v155, v39 offset:544
.LBB1663_150:                           ;   in Loop: Header=BB1663_108 Depth=2
	s_or_b32 exec_lo, exec_lo, s23
	v_lshrrev_b32_sdwa v39, s61, v134 dst_sel:DWORD dst_unused:UNUSED_PAD src0_sel:DWORD src1_sel:BYTE_0
	; wave barrier
	v_and_b32_e32 v40, s62, v39
	v_add_co_u32 v39, s23, v40, -1
	v_cndmask_b32_e64 v41, 0, 1, s23
	v_cmp_ne_u32_e32 vcc_lo, 0, v41
	v_mad_u32_u24 v41, v40, 36, v112
	v_mul_u32_u24_e32 v40, 36, v40
	v_xor_b32_e32 v39, vcc_lo, v39
	ds_read_b32 v153, v41 offset:544
	v_add_nc_u32_e32 v158, v112, v40
	; wave barrier
	v_and_b32_e32 v39, exec_lo, v39
	v_mbcnt_lo_u32_b32 v154, v39, 0
	v_cmp_ne_u32_e64 s23, 0, v39
	v_cmp_eq_u32_e32 vcc_lo, 0, v154
	s_and_b32 s24, s23, vcc_lo
	s_and_saveexec_b32 s23, s24
	s_cbranch_execz .LBB1663_152
; %bb.151:                              ;   in Loop: Header=BB1663_108 Depth=2
	s_waitcnt lgkmcnt(0)
	v_bcnt_u32_b32 v39, v39, v153
	ds_write_b32 v158, v39 offset:544
.LBB1663_152:                           ;   in Loop: Header=BB1663_108 Depth=2
	;; [unrolled: 25-line block ×16, first 2 shown]
	s_or_b32 exec_lo, exec_lo, s23
	; wave barrier
	s_waitcnt lgkmcnt(0)
	s_barrier
	buffer_gl0_inv
	ds_read2_b32 v[41:42], v69 offset0:136 offset1:137
	ds_read2_b32 v[39:40], v69 offset0:138 offset1:139
	ds_read_b32 v199, v69 offset:560
	s_waitcnt lgkmcnt(1)
	v_add3_u32 v200, v42, v41, v39
	s_waitcnt lgkmcnt(0)
	v_add3_u32 v199, v200, v40, v199
	v_mov_b32_dpp v200, v199 row_shr:1 row_mask:0xf bank_mask:0xf
	v_cndmask_b32_e64 v200, v200, 0, s5
	v_add_nc_u32_e32 v199, v200, v199
	v_mov_b32_dpp v200, v199 row_shr:2 row_mask:0xf bank_mask:0xf
	v_cndmask_b32_e64 v200, 0, v200, s15
	v_add_nc_u32_e32 v199, v199, v200
	;; [unrolled: 3-line block ×4, first 2 shown]
	ds_swizzle_b32 v200, v199 offset:swizzle(BROADCAST,32,15)
	s_waitcnt lgkmcnt(0)
	v_cndmask_b32_e64 v200, v200, 0, s18
	v_add_nc_u32_e32 v199, v199, v200
	s_and_saveexec_b32 s23, s4
; %bb.181:                              ;   in Loop: Header=BB1663_108 Depth=2
	ds_write_b32 v62, v199 offset:512
; %bb.182:                              ;   in Loop: Header=BB1663_108 Depth=2
	s_or_b32 exec_lo, exec_lo, s23
	s_waitcnt lgkmcnt(0)
	s_barrier
	buffer_gl0_inv
	s_and_saveexec_b32 s23, s12
	s_cbranch_execz .LBB1663_184
; %bb.183:                              ;   in Loop: Header=BB1663_108 Depth=2
	ds_read_b32 v200, v70 offset:512
	s_waitcnt lgkmcnt(0)
	v_mov_b32_dpp v201, v200 row_shr:1 row_mask:0xf bank_mask:0xf
	v_cndmask_b32_e64 v201, v201, 0, s20
	v_add_nc_u32_e32 v200, v201, v200
	v_mov_b32_dpp v201, v200 row_shr:2 row_mask:0xf bank_mask:0xf
	v_cndmask_b32_e64 v201, 0, v201, s21
	v_add_nc_u32_e32 v200, v200, v201
	v_mov_b32_dpp v201, v200 row_shr:4 row_mask:0xf bank_mask:0xf
	v_cndmask_b32_e64 v201, 0, v201, s22
	v_add_nc_u32_e32 v200, v200, v201
	ds_write_b32 v70, v200 offset:512
.LBB1663_184:                           ;   in Loop: Header=BB1663_108 Depth=2
	s_or_b32 exec_lo, exec_lo, s23
	v_mov_b32_e32 v200, 0
	s_waitcnt lgkmcnt(0)
	s_barrier
	buffer_gl0_inv
	s_and_saveexec_b32 s23, s11
; %bb.185:                              ;   in Loop: Header=BB1663_108 Depth=2
	ds_read_b32 v200, v62 offset:508
; %bb.186:                              ;   in Loop: Header=BB1663_108 Depth=2
	s_or_b32 exec_lo, exec_lo, s23
	s_waitcnt lgkmcnt(0)
	v_add_nc_u32_e32 v199, v200, v199
	ds_bpermute_b32 v199, v92, v199
	s_waitcnt lgkmcnt(0)
	v_cndmask_b32_e64 v199, v199, v200, s19
	v_cndmask_b32_e64 v199, v199, 0, s13
	v_add_nc_u32_e32 v41, v199, v41
	v_add_nc_u32_e32 v42, v41, v42
	;; [unrolled: 1-line block ×4, first 2 shown]
	ds_write2_b32 v69, v199, v41 offset0:136 offset1:137
	ds_write2_b32 v69, v42, v39 offset0:138 offset1:139
	ds_write_b32 v69, v40 offset:560
	s_waitcnt lgkmcnt(0)
	s_barrier
	buffer_gl0_inv
	ds_read_b32 v39, v152 offset:544
	ds_read_b32 v40, v155 offset:544
	;; [unrolled: 1-line block ×17, first 2 shown]
	s_and_saveexec_b32 s23, s8
	s_cbranch_execz .LBB1663_190
; %bb.187:                              ;   in Loop: Header=BB1663_108 Depth=2
	v_add_nc_u32_e32 v130, v70, v72
	v_mov_b32_e32 v131, 0x1100
	ds_read_b32 v130, v130 offset:544
	s_and_saveexec_b32 s24, s14
; %bb.188:                              ;   in Loop: Header=BB1663_108 Depth=2
	ds_read_b32 v131, v71 offset:544
; %bb.189:                              ;   in Loop: Header=BB1663_108 Depth=2
	s_or_b32 exec_lo, exec_lo, s24
	s_waitcnt lgkmcnt(0)
	v_sub_nc_u32_e32 v131, v131, v130
.LBB1663_190:                           ;   in Loop: Header=BB1663_108 Depth=2
	s_or_b32 exec_lo, exec_lo, s23
	s_waitcnt lgkmcnt(0)
	s_barrier
	buffer_gl0_inv
	s_and_saveexec_b32 s23, s8
	s_cbranch_execz .LBB1663_192
; %bb.191:                              ;   in Loop: Header=BB1663_108 Depth=2
	ds_read_b32 v158, v43
	s_waitcnt lgkmcnt(0)
	v_sub_nc_u32_e32 v158, v158, v130
	ds_write_b32 v43, v158
.LBB1663_192:                           ;   in Loop: Header=BB1663_108 Depth=2
	s_or_b32 exec_lo, exec_lo, s23
	v_add_nc_u32_e32 v163, v39, v149
	v_add3_u32 v162, v151, v150, v40
	v_add3_u32 v161, v154, v153, v41
	;; [unrolled: 1-line block ×16, first 2 shown]
	v_cmp_lt_u32_e64 s39, v0, v3
	ds_write_b8 v163, v132 offset:512
	ds_write_b8 v162, v133 offset:512
	;; [unrolled: 1-line block ×17, first 2 shown]
	s_waitcnt lgkmcnt(0)
	s_barrier
	buffer_gl0_inv
	s_and_saveexec_b32 s23, s39
	s_cbranch_execnz .LBB1663_265
; %bb.193:                              ;   in Loop: Header=BB1663_108 Depth=2
	s_or_b32 exec_lo, exec_lo, s23
	v_cmp_lt_u32_e64 s38, v44, v3
	s_and_saveexec_b32 s23, s38
	s_cbranch_execnz .LBB1663_266
.LBB1663_194:                           ;   in Loop: Header=BB1663_108 Depth=2
	s_or_b32 exec_lo, exec_lo, s23
	v_cmp_lt_u32_e64 s37, v47, v3
	s_and_saveexec_b32 s23, s37
	s_cbranch_execnz .LBB1663_267
.LBB1663_195:                           ;   in Loop: Header=BB1663_108 Depth=2
	s_or_b32 exec_lo, exec_lo, s23
	v_cmp_lt_u32_e64 s36, v48, v3
	s_and_saveexec_b32 s23, s36
	s_cbranch_execnz .LBB1663_268
.LBB1663_196:                           ;   in Loop: Header=BB1663_108 Depth=2
	s_or_b32 exec_lo, exec_lo, s23
	v_cmp_lt_u32_e64 s35, v49, v3
	s_and_saveexec_b32 s23, s35
	s_cbranch_execnz .LBB1663_269
.LBB1663_197:                           ;   in Loop: Header=BB1663_108 Depth=2
	s_or_b32 exec_lo, exec_lo, s23
	v_cmp_lt_u32_e64 s34, v50, v3
	s_and_saveexec_b32 s23, s34
	s_cbranch_execnz .LBB1663_270
.LBB1663_198:                           ;   in Loop: Header=BB1663_108 Depth=2
	s_or_b32 exec_lo, exec_lo, s23
	v_cmp_lt_u32_e64 s33, v51, v3
	s_and_saveexec_b32 s23, s33
	s_cbranch_execnz .LBB1663_271
.LBB1663_199:                           ;   in Loop: Header=BB1663_108 Depth=2
	s_or_b32 exec_lo, exec_lo, s23
	v_cmp_lt_u32_e64 s31, v52, v3
	s_and_saveexec_b32 s23, s31
	s_cbranch_execnz .LBB1663_272
.LBB1663_200:                           ;   in Loop: Header=BB1663_108 Depth=2
	s_or_b32 exec_lo, exec_lo, s23
	v_cmp_lt_u32_e64 s30, v53, v3
	s_and_saveexec_b32 s23, s30
	s_cbranch_execnz .LBB1663_273
.LBB1663_201:                           ;   in Loop: Header=BB1663_108 Depth=2
	s_or_b32 exec_lo, exec_lo, s23
	v_cmp_lt_u32_e64 s29, v54, v3
	s_and_saveexec_b32 s23, s29
	s_cbranch_execnz .LBB1663_274
.LBB1663_202:                           ;   in Loop: Header=BB1663_108 Depth=2
	s_or_b32 exec_lo, exec_lo, s23
	v_cmp_lt_u32_e64 s28, v55, v3
	s_and_saveexec_b32 s23, s28
	s_cbranch_execnz .LBB1663_275
.LBB1663_203:                           ;   in Loop: Header=BB1663_108 Depth=2
	s_or_b32 exec_lo, exec_lo, s23
	v_cmp_lt_u32_e64 s27, v56, v3
	s_and_saveexec_b32 s23, s27
	s_cbranch_execnz .LBB1663_276
.LBB1663_204:                           ;   in Loop: Header=BB1663_108 Depth=2
	s_or_b32 exec_lo, exec_lo, s23
	v_cmp_lt_u32_e64 s26, v57, v3
	s_and_saveexec_b32 s23, s26
	s_cbranch_execnz .LBB1663_277
.LBB1663_205:                           ;   in Loop: Header=BB1663_108 Depth=2
	s_or_b32 exec_lo, exec_lo, s23
	v_cmp_lt_u32_e64 s25, v58, v3
	s_and_saveexec_b32 s23, s25
	s_cbranch_execnz .LBB1663_278
.LBB1663_206:                           ;   in Loop: Header=BB1663_108 Depth=2
	s_or_b32 exec_lo, exec_lo, s23
	v_cmp_lt_u32_e64 s24, v59, v3
	s_and_saveexec_b32 s23, s24
	s_cbranch_execnz .LBB1663_279
.LBB1663_207:                           ;   in Loop: Header=BB1663_108 Depth=2
	s_or_b32 exec_lo, exec_lo, s23
	v_cmp_lt_u32_e64 s23, v60, v3
	s_and_saveexec_b32 s40, s23
	s_cbranch_execnz .LBB1663_280
.LBB1663_208:                           ;   in Loop: Header=BB1663_108 Depth=2
	s_or_b32 exec_lo, exec_lo, s40
	v_cmp_lt_u32_e32 vcc_lo, v61, v3
	s_and_saveexec_b32 s40, vcc_lo
	s_cbranch_execz .LBB1663_210
.LBB1663_209:                           ;   in Loop: Header=BB1663_108 Depth=2
	ds_read_u8 v39, v0 offset:4608
	s_waitcnt lgkmcnt(0)
	v_and_b32_e32 v40, 1, v39
	v_lshrrev_b32_e32 v40, s61, v40
	v_and_b32_e32 v40, s62, v40
	v_lshlrev_b32_e32 v40, 2, v40
	ds_read_b32 v40, v40
	s_waitcnt lgkmcnt(0)
	v_add_nc_u32_e32 v40, v40, v61
	global_store_byte v40, v39, s[46:47]
.LBB1663_210:                           ;   in Loop: Header=BB1663_108 Depth=2
	s_or_b32 exec_lo, exec_lo, s40
	s_lshl_b64 s[66:67], s[50:51], 3
	v_add_co_u32 v39, s40, v94, s66
	v_add_co_ci_u32_e64 v40, null, s67, v95, s40
	v_cmp_lt_u32_e64 s40, v93, v3
	s_and_saveexec_b32 s50, s40
	s_xor_b32 s40, exec_lo, s50
	s_cbranch_execnz .LBB1663_281
; %bb.211:                              ;   in Loop: Header=BB1663_108 Depth=2
	s_or_b32 exec_lo, exec_lo, s40
	s_mov_b32 s50, exec_lo
	v_cmpx_lt_u32_e64 v96, v3
	s_cbranch_execnz .LBB1663_282
.LBB1663_212:                           ;   in Loop: Header=BB1663_108 Depth=2
	s_or_b32 exec_lo, exec_lo, s50
	s_mov_b32 s50, exec_lo
	v_cmpx_lt_u32_e64 v97, v3
	s_cbranch_execnz .LBB1663_283
.LBB1663_213:                           ;   in Loop: Header=BB1663_108 Depth=2
	s_or_b32 exec_lo, exec_lo, s50
	s_mov_b32 s50, exec_lo
	v_cmpx_lt_u32_e64 v98, v3
	s_cbranch_execnz .LBB1663_284
.LBB1663_214:                           ;   in Loop: Header=BB1663_108 Depth=2
	s_or_b32 exec_lo, exec_lo, s50
	s_mov_b32 s50, exec_lo
	v_cmpx_lt_u32_e64 v99, v3
	s_cbranch_execnz .LBB1663_285
.LBB1663_215:                           ;   in Loop: Header=BB1663_108 Depth=2
	s_or_b32 exec_lo, exec_lo, s50
	s_mov_b32 s50, exec_lo
	v_cmpx_lt_u32_e64 v100, v3
	s_cbranch_execnz .LBB1663_286
.LBB1663_216:                           ;   in Loop: Header=BB1663_108 Depth=2
	s_or_b32 exec_lo, exec_lo, s50
	s_mov_b32 s50, exec_lo
	v_cmpx_lt_u32_e64 v101, v3
	s_cbranch_execnz .LBB1663_287
.LBB1663_217:                           ;   in Loop: Header=BB1663_108 Depth=2
	s_or_b32 exec_lo, exec_lo, s50
	s_mov_b32 s50, exec_lo
	v_cmpx_lt_u32_e64 v102, v3
	s_cbranch_execnz .LBB1663_288
.LBB1663_218:                           ;   in Loop: Header=BB1663_108 Depth=2
	s_or_b32 exec_lo, exec_lo, s50
	s_mov_b32 s50, exec_lo
	v_cmpx_lt_u32_e64 v103, v3
	s_cbranch_execnz .LBB1663_289
.LBB1663_219:                           ;   in Loop: Header=BB1663_108 Depth=2
	s_or_b32 exec_lo, exec_lo, s50
	s_mov_b32 s50, exec_lo
	v_cmpx_lt_u32_e64 v104, v3
	s_cbranch_execnz .LBB1663_290
.LBB1663_220:                           ;   in Loop: Header=BB1663_108 Depth=2
	s_or_b32 exec_lo, exec_lo, s50
	s_mov_b32 s50, exec_lo
	v_cmpx_lt_u32_e64 v105, v3
	s_cbranch_execnz .LBB1663_291
.LBB1663_221:                           ;   in Loop: Header=BB1663_108 Depth=2
	s_or_b32 exec_lo, exec_lo, s50
	s_mov_b32 s50, exec_lo
	v_cmpx_lt_u32_e64 v106, v3
	s_cbranch_execnz .LBB1663_292
.LBB1663_222:                           ;   in Loop: Header=BB1663_108 Depth=2
	s_or_b32 exec_lo, exec_lo, s50
	s_mov_b32 s50, exec_lo
	v_cmpx_lt_u32_e64 v107, v3
	s_cbranch_execnz .LBB1663_293
.LBB1663_223:                           ;   in Loop: Header=BB1663_108 Depth=2
	s_or_b32 exec_lo, exec_lo, s50
	s_mov_b32 s50, exec_lo
	v_cmpx_lt_u32_e64 v108, v3
	s_cbranch_execnz .LBB1663_294
.LBB1663_224:                           ;   in Loop: Header=BB1663_108 Depth=2
	s_or_b32 exec_lo, exec_lo, s50
	s_mov_b32 s50, exec_lo
	v_cmpx_lt_u32_e64 v109, v3
	s_cbranch_execnz .LBB1663_295
.LBB1663_225:                           ;   in Loop: Header=BB1663_108 Depth=2
	s_or_b32 exec_lo, exec_lo, s50
	s_mov_b32 s50, exec_lo
	v_cmpx_lt_u32_e64 v110, v3
	s_cbranch_execnz .LBB1663_296
.LBB1663_226:                           ;   in Loop: Header=BB1663_108 Depth=2
	s_or_b32 exec_lo, exec_lo, s50
	s_mov_b32 s50, exec_lo
	v_cmpx_lt_u32_e64 v111, v3
	s_cbranch_execnz .LBB1663_297
.LBB1663_227:                           ;   in Loop: Header=BB1663_108 Depth=2
	s_or_b32 exec_lo, exec_lo, s50
	s_and_saveexec_b32 s40, s39
	s_cbranch_execnz .LBB1663_298
.LBB1663_228:                           ;   in Loop: Header=BB1663_108 Depth=2
	s_or_b32 exec_lo, exec_lo, s40
	s_and_saveexec_b32 s40, s38
	s_cbranch_execnz .LBB1663_299
.LBB1663_229:                           ;   in Loop: Header=BB1663_108 Depth=2
	s_or_b32 exec_lo, exec_lo, s40
	s_and_saveexec_b32 s40, s37
	s_cbranch_execnz .LBB1663_300
.LBB1663_230:                           ;   in Loop: Header=BB1663_108 Depth=2
	s_or_b32 exec_lo, exec_lo, s40
	s_and_saveexec_b32 s40, s36
	s_cbranch_execnz .LBB1663_301
.LBB1663_231:                           ;   in Loop: Header=BB1663_108 Depth=2
	s_or_b32 exec_lo, exec_lo, s40
	s_and_saveexec_b32 s40, s35
	s_cbranch_execnz .LBB1663_302
.LBB1663_232:                           ;   in Loop: Header=BB1663_108 Depth=2
	s_or_b32 exec_lo, exec_lo, s40
	s_and_saveexec_b32 s40, s34
	s_cbranch_execnz .LBB1663_303
.LBB1663_233:                           ;   in Loop: Header=BB1663_108 Depth=2
	s_or_b32 exec_lo, exec_lo, s40
	s_and_saveexec_b32 s40, s33
	s_cbranch_execnz .LBB1663_304
.LBB1663_234:                           ;   in Loop: Header=BB1663_108 Depth=2
	s_or_b32 exec_lo, exec_lo, s40
	s_and_saveexec_b32 s40, s31
	s_cbranch_execnz .LBB1663_305
.LBB1663_235:                           ;   in Loop: Header=BB1663_108 Depth=2
	s_or_b32 exec_lo, exec_lo, s40
	s_and_saveexec_b32 s40, s30
	s_cbranch_execnz .LBB1663_306
.LBB1663_236:                           ;   in Loop: Header=BB1663_108 Depth=2
	s_or_b32 exec_lo, exec_lo, s40
	s_and_saveexec_b32 s40, s29
	s_cbranch_execnz .LBB1663_307
.LBB1663_237:                           ;   in Loop: Header=BB1663_108 Depth=2
	s_or_b32 exec_lo, exec_lo, s40
	s_and_saveexec_b32 s40, s28
	s_cbranch_execnz .LBB1663_308
.LBB1663_238:                           ;   in Loop: Header=BB1663_108 Depth=2
	s_or_b32 exec_lo, exec_lo, s40
	s_and_saveexec_b32 s40, s27
	s_cbranch_execnz .LBB1663_309
.LBB1663_239:                           ;   in Loop: Header=BB1663_108 Depth=2
	s_or_b32 exec_lo, exec_lo, s40
	s_and_saveexec_b32 s40, s26
	s_cbranch_execnz .LBB1663_310
.LBB1663_240:                           ;   in Loop: Header=BB1663_108 Depth=2
	s_or_b32 exec_lo, exec_lo, s40
	s_and_saveexec_b32 s40, s25
	s_cbranch_execnz .LBB1663_311
.LBB1663_241:                           ;   in Loop: Header=BB1663_108 Depth=2
	s_or_b32 exec_lo, exec_lo, s40
	s_and_saveexec_b32 s40, s24
	s_cbranch_execnz .LBB1663_312
.LBB1663_242:                           ;   in Loop: Header=BB1663_108 Depth=2
	s_or_b32 exec_lo, exec_lo, s40
	s_and_saveexec_b32 s40, s23
	s_cbranch_execnz .LBB1663_313
.LBB1663_243:                           ;   in Loop: Header=BB1663_108 Depth=2
	s_or_b32 exec_lo, exec_lo, s40
	s_and_saveexec_b32 s40, vcc_lo
	s_cbranch_execz .LBB1663_245
.LBB1663_244:                           ;   in Loop: Header=BB1663_108 Depth=2
	ds_read_u8 v3, v0 offset:4608
	s_waitcnt lgkmcnt(0)
	v_lshrrev_b32_e32 v3, s61, v3
	v_and_b32_e32 v113, s62, v3
.LBB1663_245:                           ;   in Loop: Header=BB1663_108 Depth=2
	s_or_b32 exec_lo, exec_lo, s40
	v_lshlrev_b32_e32 v3, 3, v163
	v_lshlrev_b32_e32 v39, 3, v162
	s_waitcnt vmcnt(0)
	s_waitcnt_vscnt null, 0x0
	s_barrier
	buffer_gl0_inv
	ds_write_b64 v3, v[37:38] offset:512
	ds_write_b64 v39, v[35:36] offset:512
	v_lshlrev_b32_e32 v3, 3, v161
	v_lshlrev_b32_e32 v39, 3, v160
	v_lshlrev_b32_e32 v40, 3, v159
	v_lshlrev_b32_e32 v132, 3, v158
	v_lshlrev_b32_e32 v133, 3, v157
	ds_write_b64 v3, v[33:34] offset:512
	ds_write_b64 v39, v[31:32] offset:512
	ds_write_b64 v40, v[29:30] offset:512
	ds_write_b64 v132, v[25:26] offset:512
	ds_write_b64 v133, v[21:22] offset:512
	v_lshlrev_b32_e32 v3, 3, v156
	v_lshlrev_b32_e32 v39, 3, v155
	v_lshlrev_b32_e32 v40, 3, v154
	v_lshlrev_b32_e32 v132, 3, v153
	v_lshlrev_b32_e32 v133, 3, v152
	ds_write_b64 v3, v[17:18] offset:512
	ds_write_b64 v39, v[27:28] offset:512
	ds_write_b64 v40, v[23:24] offset:512
	;; [unrolled: 10-line block ×3, first 2 shown]
	ds_write_b64 v42, v[7:8] offset:512
	ds_write_b64 v41, v[5:6] offset:512
	s_waitcnt lgkmcnt(0)
	s_barrier
	buffer_gl0_inv
	s_and_saveexec_b32 s40, s39
	s_cbranch_execnz .LBB1663_314
; %bb.246:                              ;   in Loop: Header=BB1663_108 Depth=2
	s_or_b32 exec_lo, exec_lo, s40
	s_and_saveexec_b32 s39, s38
	s_cbranch_execnz .LBB1663_315
.LBB1663_247:                           ;   in Loop: Header=BB1663_108 Depth=2
	s_or_b32 exec_lo, exec_lo, s39
	s_and_saveexec_b32 s38, s37
	s_cbranch_execnz .LBB1663_316
.LBB1663_248:                           ;   in Loop: Header=BB1663_108 Depth=2
	s_or_b32 exec_lo, exec_lo, s38
	s_and_saveexec_b32 s37, s36
	s_cbranch_execnz .LBB1663_317
.LBB1663_249:                           ;   in Loop: Header=BB1663_108 Depth=2
	s_or_b32 exec_lo, exec_lo, s37
	s_and_saveexec_b32 s36, s35
	s_cbranch_execnz .LBB1663_318
.LBB1663_250:                           ;   in Loop: Header=BB1663_108 Depth=2
	s_or_b32 exec_lo, exec_lo, s36
	s_and_saveexec_b32 s35, s34
	s_cbranch_execnz .LBB1663_319
.LBB1663_251:                           ;   in Loop: Header=BB1663_108 Depth=2
	s_or_b32 exec_lo, exec_lo, s35
	s_and_saveexec_b32 s34, s33
	s_cbranch_execnz .LBB1663_320
.LBB1663_252:                           ;   in Loop: Header=BB1663_108 Depth=2
	s_or_b32 exec_lo, exec_lo, s34
	s_and_saveexec_b32 s33, s31
	s_cbranch_execnz .LBB1663_321
.LBB1663_253:                           ;   in Loop: Header=BB1663_108 Depth=2
	s_or_b32 exec_lo, exec_lo, s33
	s_and_saveexec_b32 s31, s30
	s_cbranch_execnz .LBB1663_322
.LBB1663_254:                           ;   in Loop: Header=BB1663_108 Depth=2
	s_or_b32 exec_lo, exec_lo, s31
	s_and_saveexec_b32 s30, s29
	s_cbranch_execnz .LBB1663_323
.LBB1663_255:                           ;   in Loop: Header=BB1663_108 Depth=2
	s_or_b32 exec_lo, exec_lo, s30
	s_and_saveexec_b32 s29, s28
	s_cbranch_execnz .LBB1663_324
.LBB1663_256:                           ;   in Loop: Header=BB1663_108 Depth=2
	s_or_b32 exec_lo, exec_lo, s29
	s_and_saveexec_b32 s28, s27
	s_cbranch_execnz .LBB1663_325
.LBB1663_257:                           ;   in Loop: Header=BB1663_108 Depth=2
	s_or_b32 exec_lo, exec_lo, s28
	s_and_saveexec_b32 s27, s26
	s_cbranch_execnz .LBB1663_326
.LBB1663_258:                           ;   in Loop: Header=BB1663_108 Depth=2
	s_or_b32 exec_lo, exec_lo, s27
	s_and_saveexec_b32 s26, s25
	s_cbranch_execnz .LBB1663_327
.LBB1663_259:                           ;   in Loop: Header=BB1663_108 Depth=2
	s_or_b32 exec_lo, exec_lo, s26
	s_and_saveexec_b32 s25, s24
	s_cbranch_execnz .LBB1663_328
.LBB1663_260:                           ;   in Loop: Header=BB1663_108 Depth=2
	s_or_b32 exec_lo, exec_lo, s25
	s_and_saveexec_b32 s24, s23
	s_cbranch_execnz .LBB1663_329
.LBB1663_261:                           ;   in Loop: Header=BB1663_108 Depth=2
	s_or_b32 exec_lo, exec_lo, s24
	s_and_saveexec_b32 s23, vcc_lo
	s_cbranch_execz .LBB1663_263
.LBB1663_262:                           ;   in Loop: Header=BB1663_108 Depth=2
	v_lshlrev_b32_e32 v3, 2, v113
	v_add_nc_u32_e32 v39, v0, v75
	ds_read_b32 v3, v3
	ds_read_b64 v[39:40], v39 offset:33280
	s_waitcnt lgkmcnt(1)
	v_add_nc_u32_e32 v3, v3, v61
	v_lshlrev_b64 v[41:42], 3, v[3:4]
	v_add_co_u32 v41, vcc_lo, s52, v41
	v_add_co_ci_u32_e64 v42, null, s53, v42, vcc_lo
	s_waitcnt lgkmcnt(0)
	global_store_dwordx2 v[41:42], v[39:40], off
.LBB1663_263:                           ;   in Loop: Header=BB1663_108 Depth=2
	s_or_b32 exec_lo, exec_lo, s23
	s_waitcnt_vscnt null, 0x0
	s_barrier
	buffer_gl0_inv
	s_and_saveexec_b32 s23, s8
	s_cbranch_execz .LBB1663_107
; %bb.264:                              ;   in Loop: Header=BB1663_108 Depth=2
	ds_read_b32 v3, v43
	s_waitcnt lgkmcnt(0)
	v_add3_u32 v3, v130, v131, v3
	ds_write_b32 v43, v3
	s_branch .LBB1663_107
.LBB1663_265:                           ;   in Loop: Header=BB1663_108 Depth=2
	ds_read_u8 v39, v0 offset:512
	s_waitcnt lgkmcnt(0)
	v_and_b32_e32 v40, 1, v39
	v_lshrrev_b32_e32 v40, s61, v40
	v_and_b32_e32 v40, s62, v40
	v_lshlrev_b32_e32 v40, 2, v40
	ds_read_b32 v40, v40
	s_waitcnt lgkmcnt(0)
	v_add_nc_u32_e32 v40, v40, v0
	global_store_byte v40, v39, s[46:47]
	s_or_b32 exec_lo, exec_lo, s23
	v_cmp_lt_u32_e64 s38, v44, v3
	s_and_saveexec_b32 s23, s38
	s_cbranch_execz .LBB1663_194
.LBB1663_266:                           ;   in Loop: Header=BB1663_108 Depth=2
	ds_read_u8 v39, v0 offset:768
	s_waitcnt lgkmcnt(0)
	v_and_b32_e32 v40, 1, v39
	v_lshrrev_b32_e32 v40, s61, v40
	v_and_b32_e32 v40, s62, v40
	v_lshlrev_b32_e32 v40, 2, v40
	ds_read_b32 v40, v40
	s_waitcnt lgkmcnt(0)
	v_add_nc_u32_e32 v40, v40, v44
	global_store_byte v40, v39, s[46:47]
	s_or_b32 exec_lo, exec_lo, s23
	v_cmp_lt_u32_e64 s37, v47, v3
	s_and_saveexec_b32 s23, s37
	s_cbranch_execz .LBB1663_195
.LBB1663_267:                           ;   in Loop: Header=BB1663_108 Depth=2
	ds_read_u8 v39, v0 offset:1024
	s_waitcnt lgkmcnt(0)
	v_and_b32_e32 v40, 1, v39
	v_lshrrev_b32_e32 v40, s61, v40
	v_and_b32_e32 v40, s62, v40
	v_lshlrev_b32_e32 v40, 2, v40
	ds_read_b32 v40, v40
	s_waitcnt lgkmcnt(0)
	v_add_nc_u32_e32 v40, v40, v47
	global_store_byte v40, v39, s[46:47]
	s_or_b32 exec_lo, exec_lo, s23
	v_cmp_lt_u32_e64 s36, v48, v3
	s_and_saveexec_b32 s23, s36
	s_cbranch_execz .LBB1663_196
.LBB1663_268:                           ;   in Loop: Header=BB1663_108 Depth=2
	ds_read_u8 v39, v0 offset:1280
	s_waitcnt lgkmcnt(0)
	v_and_b32_e32 v40, 1, v39
	v_lshrrev_b32_e32 v40, s61, v40
	v_and_b32_e32 v40, s62, v40
	v_lshlrev_b32_e32 v40, 2, v40
	ds_read_b32 v40, v40
	s_waitcnt lgkmcnt(0)
	v_add_nc_u32_e32 v40, v40, v48
	global_store_byte v40, v39, s[46:47]
	s_or_b32 exec_lo, exec_lo, s23
	v_cmp_lt_u32_e64 s35, v49, v3
	s_and_saveexec_b32 s23, s35
	s_cbranch_execz .LBB1663_197
.LBB1663_269:                           ;   in Loop: Header=BB1663_108 Depth=2
	ds_read_u8 v39, v0 offset:1536
	s_waitcnt lgkmcnt(0)
	v_and_b32_e32 v40, 1, v39
	v_lshrrev_b32_e32 v40, s61, v40
	v_and_b32_e32 v40, s62, v40
	v_lshlrev_b32_e32 v40, 2, v40
	ds_read_b32 v40, v40
	s_waitcnt lgkmcnt(0)
	v_add_nc_u32_e32 v40, v40, v49
	global_store_byte v40, v39, s[46:47]
	s_or_b32 exec_lo, exec_lo, s23
	v_cmp_lt_u32_e64 s34, v50, v3
	s_and_saveexec_b32 s23, s34
	s_cbranch_execz .LBB1663_198
.LBB1663_270:                           ;   in Loop: Header=BB1663_108 Depth=2
	ds_read_u8 v39, v0 offset:1792
	s_waitcnt lgkmcnt(0)
	v_and_b32_e32 v40, 1, v39
	v_lshrrev_b32_e32 v40, s61, v40
	v_and_b32_e32 v40, s62, v40
	v_lshlrev_b32_e32 v40, 2, v40
	ds_read_b32 v40, v40
	s_waitcnt lgkmcnt(0)
	v_add_nc_u32_e32 v40, v40, v50
	global_store_byte v40, v39, s[46:47]
	s_or_b32 exec_lo, exec_lo, s23
	v_cmp_lt_u32_e64 s33, v51, v3
	s_and_saveexec_b32 s23, s33
	s_cbranch_execz .LBB1663_199
.LBB1663_271:                           ;   in Loop: Header=BB1663_108 Depth=2
	ds_read_u8 v39, v0 offset:2048
	s_waitcnt lgkmcnt(0)
	v_and_b32_e32 v40, 1, v39
	v_lshrrev_b32_e32 v40, s61, v40
	v_and_b32_e32 v40, s62, v40
	v_lshlrev_b32_e32 v40, 2, v40
	ds_read_b32 v40, v40
	s_waitcnt lgkmcnt(0)
	v_add_nc_u32_e32 v40, v40, v51
	global_store_byte v40, v39, s[46:47]
	s_or_b32 exec_lo, exec_lo, s23
	v_cmp_lt_u32_e64 s31, v52, v3
	s_and_saveexec_b32 s23, s31
	s_cbranch_execz .LBB1663_200
.LBB1663_272:                           ;   in Loop: Header=BB1663_108 Depth=2
	ds_read_u8 v39, v0 offset:2304
	s_waitcnt lgkmcnt(0)
	v_and_b32_e32 v40, 1, v39
	v_lshrrev_b32_e32 v40, s61, v40
	v_and_b32_e32 v40, s62, v40
	v_lshlrev_b32_e32 v40, 2, v40
	ds_read_b32 v40, v40
	s_waitcnt lgkmcnt(0)
	v_add_nc_u32_e32 v40, v40, v52
	global_store_byte v40, v39, s[46:47]
	s_or_b32 exec_lo, exec_lo, s23
	v_cmp_lt_u32_e64 s30, v53, v3
	s_and_saveexec_b32 s23, s30
	s_cbranch_execz .LBB1663_201
.LBB1663_273:                           ;   in Loop: Header=BB1663_108 Depth=2
	ds_read_u8 v39, v0 offset:2560
	s_waitcnt lgkmcnt(0)
	v_and_b32_e32 v40, 1, v39
	v_lshrrev_b32_e32 v40, s61, v40
	v_and_b32_e32 v40, s62, v40
	v_lshlrev_b32_e32 v40, 2, v40
	ds_read_b32 v40, v40
	s_waitcnt lgkmcnt(0)
	v_add_nc_u32_e32 v40, v40, v53
	global_store_byte v40, v39, s[46:47]
	s_or_b32 exec_lo, exec_lo, s23
	v_cmp_lt_u32_e64 s29, v54, v3
	s_and_saveexec_b32 s23, s29
	s_cbranch_execz .LBB1663_202
.LBB1663_274:                           ;   in Loop: Header=BB1663_108 Depth=2
	ds_read_u8 v39, v0 offset:2816
	s_waitcnt lgkmcnt(0)
	v_and_b32_e32 v40, 1, v39
	v_lshrrev_b32_e32 v40, s61, v40
	v_and_b32_e32 v40, s62, v40
	v_lshlrev_b32_e32 v40, 2, v40
	ds_read_b32 v40, v40
	s_waitcnt lgkmcnt(0)
	v_add_nc_u32_e32 v40, v40, v54
	global_store_byte v40, v39, s[46:47]
	s_or_b32 exec_lo, exec_lo, s23
	v_cmp_lt_u32_e64 s28, v55, v3
	s_and_saveexec_b32 s23, s28
	s_cbranch_execz .LBB1663_203
.LBB1663_275:                           ;   in Loop: Header=BB1663_108 Depth=2
	ds_read_u8 v39, v0 offset:3072
	s_waitcnt lgkmcnt(0)
	v_and_b32_e32 v40, 1, v39
	v_lshrrev_b32_e32 v40, s61, v40
	v_and_b32_e32 v40, s62, v40
	v_lshlrev_b32_e32 v40, 2, v40
	ds_read_b32 v40, v40
	s_waitcnt lgkmcnt(0)
	v_add_nc_u32_e32 v40, v40, v55
	global_store_byte v40, v39, s[46:47]
	s_or_b32 exec_lo, exec_lo, s23
	v_cmp_lt_u32_e64 s27, v56, v3
	s_and_saveexec_b32 s23, s27
	s_cbranch_execz .LBB1663_204
.LBB1663_276:                           ;   in Loop: Header=BB1663_108 Depth=2
	ds_read_u8 v39, v0 offset:3328
	s_waitcnt lgkmcnt(0)
	v_and_b32_e32 v40, 1, v39
	v_lshrrev_b32_e32 v40, s61, v40
	v_and_b32_e32 v40, s62, v40
	v_lshlrev_b32_e32 v40, 2, v40
	ds_read_b32 v40, v40
	s_waitcnt lgkmcnt(0)
	v_add_nc_u32_e32 v40, v40, v56
	global_store_byte v40, v39, s[46:47]
	s_or_b32 exec_lo, exec_lo, s23
	v_cmp_lt_u32_e64 s26, v57, v3
	s_and_saveexec_b32 s23, s26
	s_cbranch_execz .LBB1663_205
.LBB1663_277:                           ;   in Loop: Header=BB1663_108 Depth=2
	ds_read_u8 v39, v0 offset:3584
	s_waitcnt lgkmcnt(0)
	v_and_b32_e32 v40, 1, v39
	v_lshrrev_b32_e32 v40, s61, v40
	v_and_b32_e32 v40, s62, v40
	v_lshlrev_b32_e32 v40, 2, v40
	ds_read_b32 v40, v40
	s_waitcnt lgkmcnt(0)
	v_add_nc_u32_e32 v40, v40, v57
	global_store_byte v40, v39, s[46:47]
	s_or_b32 exec_lo, exec_lo, s23
	v_cmp_lt_u32_e64 s25, v58, v3
	s_and_saveexec_b32 s23, s25
	s_cbranch_execz .LBB1663_206
.LBB1663_278:                           ;   in Loop: Header=BB1663_108 Depth=2
	ds_read_u8 v39, v0 offset:3840
	s_waitcnt lgkmcnt(0)
	v_and_b32_e32 v40, 1, v39
	v_lshrrev_b32_e32 v40, s61, v40
	v_and_b32_e32 v40, s62, v40
	v_lshlrev_b32_e32 v40, 2, v40
	ds_read_b32 v40, v40
	s_waitcnt lgkmcnt(0)
	v_add_nc_u32_e32 v40, v40, v58
	global_store_byte v40, v39, s[46:47]
	s_or_b32 exec_lo, exec_lo, s23
	v_cmp_lt_u32_e64 s24, v59, v3
	s_and_saveexec_b32 s23, s24
	s_cbranch_execz .LBB1663_207
.LBB1663_279:                           ;   in Loop: Header=BB1663_108 Depth=2
	ds_read_u8 v39, v0 offset:4096
	s_waitcnt lgkmcnt(0)
	v_and_b32_e32 v40, 1, v39
	v_lshrrev_b32_e32 v40, s61, v40
	v_and_b32_e32 v40, s62, v40
	v_lshlrev_b32_e32 v40, 2, v40
	ds_read_b32 v40, v40
	s_waitcnt lgkmcnt(0)
	v_add_nc_u32_e32 v40, v40, v59
	global_store_byte v40, v39, s[46:47]
	s_or_b32 exec_lo, exec_lo, s23
	v_cmp_lt_u32_e64 s23, v60, v3
	s_and_saveexec_b32 s40, s23
	s_cbranch_execz .LBB1663_208
.LBB1663_280:                           ;   in Loop: Header=BB1663_108 Depth=2
	ds_read_u8 v39, v0 offset:4352
	s_waitcnt lgkmcnt(0)
	v_and_b32_e32 v40, 1, v39
	v_lshrrev_b32_e32 v40, s61, v40
	v_and_b32_e32 v40, s62, v40
	v_lshlrev_b32_e32 v40, 2, v40
	ds_read_b32 v40, v40
	s_waitcnt lgkmcnt(0)
	v_add_nc_u32_e32 v40, v40, v60
	global_store_byte v40, v39, s[46:47]
	s_or_b32 exec_lo, exec_lo, s40
	v_cmp_lt_u32_e32 vcc_lo, v61, v3
	s_and_saveexec_b32 s40, vcc_lo
	s_cbranch_execnz .LBB1663_209
	s_branch .LBB1663_210
.LBB1663_281:                           ;   in Loop: Header=BB1663_108 Depth=2
	global_load_dwordx2 v[37:38], v[39:40], off
	s_or_b32 exec_lo, exec_lo, s40
	s_mov_b32 s50, exec_lo
	v_cmpx_lt_u32_e64 v96, v3
	s_cbranch_execz .LBB1663_212
.LBB1663_282:                           ;   in Loop: Header=BB1663_108 Depth=2
	global_load_dwordx2 v[35:36], v[39:40], off offset:256
	s_or_b32 exec_lo, exec_lo, s50
	s_mov_b32 s50, exec_lo
	v_cmpx_lt_u32_e64 v97, v3
	s_cbranch_execz .LBB1663_213
.LBB1663_283:                           ;   in Loop: Header=BB1663_108 Depth=2
	global_load_dwordx2 v[33:34], v[39:40], off offset:512
	s_or_b32 exec_lo, exec_lo, s50
	s_mov_b32 s50, exec_lo
	v_cmpx_lt_u32_e64 v98, v3
	s_cbranch_execz .LBB1663_214
.LBB1663_284:                           ;   in Loop: Header=BB1663_108 Depth=2
	global_load_dwordx2 v[31:32], v[39:40], off offset:768
	s_or_b32 exec_lo, exec_lo, s50
	s_mov_b32 s50, exec_lo
	v_cmpx_lt_u32_e64 v99, v3
	s_cbranch_execz .LBB1663_215
.LBB1663_285:                           ;   in Loop: Header=BB1663_108 Depth=2
	global_load_dwordx2 v[29:30], v[39:40], off offset:1024
	s_or_b32 exec_lo, exec_lo, s50
	s_mov_b32 s50, exec_lo
	v_cmpx_lt_u32_e64 v100, v3
	s_cbranch_execz .LBB1663_216
.LBB1663_286:                           ;   in Loop: Header=BB1663_108 Depth=2
	global_load_dwordx2 v[25:26], v[39:40], off offset:1280
	s_or_b32 exec_lo, exec_lo, s50
	s_mov_b32 s50, exec_lo
	v_cmpx_lt_u32_e64 v101, v3
	s_cbranch_execz .LBB1663_217
.LBB1663_287:                           ;   in Loop: Header=BB1663_108 Depth=2
	global_load_dwordx2 v[21:22], v[39:40], off offset:1536
	s_or_b32 exec_lo, exec_lo, s50
	s_mov_b32 s50, exec_lo
	v_cmpx_lt_u32_e64 v102, v3
	s_cbranch_execz .LBB1663_218
.LBB1663_288:                           ;   in Loop: Header=BB1663_108 Depth=2
	global_load_dwordx2 v[17:18], v[39:40], off offset:1792
	s_or_b32 exec_lo, exec_lo, s50
	s_mov_b32 s50, exec_lo
	v_cmpx_lt_u32_e64 v103, v3
	s_cbranch_execz .LBB1663_219
.LBB1663_289:                           ;   in Loop: Header=BB1663_108 Depth=2
	v_add_co_u32 v27, s40, 0x800, v39
	v_add_co_ci_u32_e64 v28, null, 0, v40, s40
	global_load_dwordx2 v[27:28], v[27:28], off
	s_or_b32 exec_lo, exec_lo, s50
	s_mov_b32 s50, exec_lo
	v_cmpx_lt_u32_e64 v104, v3
	s_cbranch_execz .LBB1663_220
.LBB1663_290:                           ;   in Loop: Header=BB1663_108 Depth=2
	v_add_co_u32 v23, s40, 0x800, v39
	v_add_co_ci_u32_e64 v24, null, 0, v40, s40
	global_load_dwordx2 v[23:24], v[23:24], off offset:256
	s_or_b32 exec_lo, exec_lo, s50
	s_mov_b32 s50, exec_lo
	v_cmpx_lt_u32_e64 v105, v3
	s_cbranch_execz .LBB1663_221
.LBB1663_291:                           ;   in Loop: Header=BB1663_108 Depth=2
	v_add_co_u32 v19, s40, 0x800, v39
	v_add_co_ci_u32_e64 v20, null, 0, v40, s40
	global_load_dwordx2 v[19:20], v[19:20], off offset:512
	s_or_b32 exec_lo, exec_lo, s50
	s_mov_b32 s50, exec_lo
	v_cmpx_lt_u32_e64 v106, v3
	s_cbranch_execz .LBB1663_222
.LBB1663_292:                           ;   in Loop: Header=BB1663_108 Depth=2
	v_add_co_u32 v15, s40, 0x800, v39
	v_add_co_ci_u32_e64 v16, null, 0, v40, s40
	global_load_dwordx2 v[15:16], v[15:16], off offset:768
	s_or_b32 exec_lo, exec_lo, s50
	s_mov_b32 s50, exec_lo
	v_cmpx_lt_u32_e64 v107, v3
	s_cbranch_execz .LBB1663_223
.LBB1663_293:                           ;   in Loop: Header=BB1663_108 Depth=2
	v_add_co_u32 v13, s40, 0x800, v39
	v_add_co_ci_u32_e64 v14, null, 0, v40, s40
	global_load_dwordx2 v[13:14], v[13:14], off offset:1024
	s_or_b32 exec_lo, exec_lo, s50
	s_mov_b32 s50, exec_lo
	v_cmpx_lt_u32_e64 v108, v3
	s_cbranch_execz .LBB1663_224
.LBB1663_294:                           ;   in Loop: Header=BB1663_108 Depth=2
	v_add_co_u32 v11, s40, 0x800, v39
	v_add_co_ci_u32_e64 v12, null, 0, v40, s40
	global_load_dwordx2 v[11:12], v[11:12], off offset:1280
	s_or_b32 exec_lo, exec_lo, s50
	s_mov_b32 s50, exec_lo
	v_cmpx_lt_u32_e64 v109, v3
	s_cbranch_execz .LBB1663_225
.LBB1663_295:                           ;   in Loop: Header=BB1663_108 Depth=2
	v_add_co_u32 v9, s40, 0x800, v39
	v_add_co_ci_u32_e64 v10, null, 0, v40, s40
	global_load_dwordx2 v[9:10], v[9:10], off offset:1536
	s_or_b32 exec_lo, exec_lo, s50
	s_mov_b32 s50, exec_lo
	v_cmpx_lt_u32_e64 v110, v3
	s_cbranch_execz .LBB1663_226
.LBB1663_296:                           ;   in Loop: Header=BB1663_108 Depth=2
	v_add_co_u32 v7, s40, 0x800, v39
	v_add_co_ci_u32_e64 v8, null, 0, v40, s40
	global_load_dwordx2 v[7:8], v[7:8], off offset:1792
	s_or_b32 exec_lo, exec_lo, s50
	s_mov_b32 s50, exec_lo
	v_cmpx_lt_u32_e64 v111, v3
	s_cbranch_execz .LBB1663_227
.LBB1663_297:                           ;   in Loop: Header=BB1663_108 Depth=2
	v_add_co_u32 v5, s40, 0x1000, v39
	v_add_co_ci_u32_e64 v6, null, 0, v40, s40
	global_load_dwordx2 v[5:6], v[5:6], off
	s_or_b32 exec_lo, exec_lo, s50
	s_and_saveexec_b32 s40, s39
	s_cbranch_execz .LBB1663_228
.LBB1663_298:                           ;   in Loop: Header=BB1663_108 Depth=2
	ds_read_u8 v3, v0 offset:512
	s_waitcnt lgkmcnt(0)
	v_lshrrev_b32_e32 v3, s61, v3
	v_and_b32_e32 v129, s62, v3
	s_or_b32 exec_lo, exec_lo, s40
	s_and_saveexec_b32 s40, s38
	s_cbranch_execz .LBB1663_229
.LBB1663_299:                           ;   in Loop: Header=BB1663_108 Depth=2
	ds_read_u8 v3, v0 offset:768
	s_waitcnt lgkmcnt(0)
	v_lshrrev_b32_e32 v3, s61, v3
	v_and_b32_e32 v128, s62, v3
	s_or_b32 exec_lo, exec_lo, s40
	s_and_saveexec_b32 s40, s37
	s_cbranch_execz .LBB1663_230
.LBB1663_300:                           ;   in Loop: Header=BB1663_108 Depth=2
	ds_read_u8 v3, v0 offset:1024
	s_waitcnt lgkmcnt(0)
	v_lshrrev_b32_e32 v3, s61, v3
	v_and_b32_e32 v127, s62, v3
	s_or_b32 exec_lo, exec_lo, s40
	s_and_saveexec_b32 s40, s36
	s_cbranch_execz .LBB1663_231
.LBB1663_301:                           ;   in Loop: Header=BB1663_108 Depth=2
	ds_read_u8 v3, v0 offset:1280
	s_waitcnt lgkmcnt(0)
	v_lshrrev_b32_e32 v3, s61, v3
	v_and_b32_e32 v126, s62, v3
	s_or_b32 exec_lo, exec_lo, s40
	s_and_saveexec_b32 s40, s35
	s_cbranch_execz .LBB1663_232
.LBB1663_302:                           ;   in Loop: Header=BB1663_108 Depth=2
	ds_read_u8 v3, v0 offset:1536
	s_waitcnt lgkmcnt(0)
	v_lshrrev_b32_e32 v3, s61, v3
	v_and_b32_e32 v125, s62, v3
	s_or_b32 exec_lo, exec_lo, s40
	s_and_saveexec_b32 s40, s34
	s_cbranch_execz .LBB1663_233
.LBB1663_303:                           ;   in Loop: Header=BB1663_108 Depth=2
	ds_read_u8 v3, v0 offset:1792
	s_waitcnt lgkmcnt(0)
	v_lshrrev_b32_e32 v3, s61, v3
	v_and_b32_e32 v124, s62, v3
	s_or_b32 exec_lo, exec_lo, s40
	s_and_saveexec_b32 s40, s33
	s_cbranch_execz .LBB1663_234
.LBB1663_304:                           ;   in Loop: Header=BB1663_108 Depth=2
	ds_read_u8 v3, v0 offset:2048
	s_waitcnt lgkmcnt(0)
	v_lshrrev_b32_e32 v3, s61, v3
	v_and_b32_e32 v123, s62, v3
	s_or_b32 exec_lo, exec_lo, s40
	s_and_saveexec_b32 s40, s31
	s_cbranch_execz .LBB1663_235
.LBB1663_305:                           ;   in Loop: Header=BB1663_108 Depth=2
	ds_read_u8 v3, v0 offset:2304
	s_waitcnt lgkmcnt(0)
	v_lshrrev_b32_e32 v3, s61, v3
	v_and_b32_e32 v122, s62, v3
	s_or_b32 exec_lo, exec_lo, s40
	s_and_saveexec_b32 s40, s30
	s_cbranch_execz .LBB1663_236
.LBB1663_306:                           ;   in Loop: Header=BB1663_108 Depth=2
	ds_read_u8 v3, v0 offset:2560
	s_waitcnt lgkmcnt(0)
	v_lshrrev_b32_e32 v3, s61, v3
	v_and_b32_e32 v121, s62, v3
	s_or_b32 exec_lo, exec_lo, s40
	s_and_saveexec_b32 s40, s29
	s_cbranch_execz .LBB1663_237
.LBB1663_307:                           ;   in Loop: Header=BB1663_108 Depth=2
	ds_read_u8 v3, v0 offset:2816
	s_waitcnt lgkmcnt(0)
	v_lshrrev_b32_e32 v3, s61, v3
	v_and_b32_e32 v120, s62, v3
	s_or_b32 exec_lo, exec_lo, s40
	s_and_saveexec_b32 s40, s28
	s_cbranch_execz .LBB1663_238
.LBB1663_308:                           ;   in Loop: Header=BB1663_108 Depth=2
	ds_read_u8 v3, v0 offset:3072
	s_waitcnt lgkmcnt(0)
	v_lshrrev_b32_e32 v3, s61, v3
	v_and_b32_e32 v119, s62, v3
	s_or_b32 exec_lo, exec_lo, s40
	s_and_saveexec_b32 s40, s27
	s_cbranch_execz .LBB1663_239
.LBB1663_309:                           ;   in Loop: Header=BB1663_108 Depth=2
	ds_read_u8 v3, v0 offset:3328
	s_waitcnt lgkmcnt(0)
	v_lshrrev_b32_e32 v3, s61, v3
	v_and_b32_e32 v118, s62, v3
	s_or_b32 exec_lo, exec_lo, s40
	s_and_saveexec_b32 s40, s26
	s_cbranch_execz .LBB1663_240
.LBB1663_310:                           ;   in Loop: Header=BB1663_108 Depth=2
	ds_read_u8 v3, v0 offset:3584
	s_waitcnt lgkmcnt(0)
	v_lshrrev_b32_e32 v3, s61, v3
	v_and_b32_e32 v117, s62, v3
	s_or_b32 exec_lo, exec_lo, s40
	s_and_saveexec_b32 s40, s25
	s_cbranch_execz .LBB1663_241
.LBB1663_311:                           ;   in Loop: Header=BB1663_108 Depth=2
	ds_read_u8 v3, v0 offset:3840
	s_waitcnt lgkmcnt(0)
	v_lshrrev_b32_e32 v3, s61, v3
	v_and_b32_e32 v116, s62, v3
	s_or_b32 exec_lo, exec_lo, s40
	s_and_saveexec_b32 s40, s24
	s_cbranch_execz .LBB1663_242
.LBB1663_312:                           ;   in Loop: Header=BB1663_108 Depth=2
	ds_read_u8 v3, v0 offset:4096
	s_waitcnt lgkmcnt(0)
	v_lshrrev_b32_e32 v3, s61, v3
	v_and_b32_e32 v115, s62, v3
	s_or_b32 exec_lo, exec_lo, s40
	s_and_saveexec_b32 s40, s23
	s_cbranch_execz .LBB1663_243
.LBB1663_313:                           ;   in Loop: Header=BB1663_108 Depth=2
	ds_read_u8 v3, v0 offset:4352
	s_waitcnt lgkmcnt(0)
	v_lshrrev_b32_e32 v3, s61, v3
	v_and_b32_e32 v114, s62, v3
	s_or_b32 exec_lo, exec_lo, s40
	s_and_saveexec_b32 s40, vcc_lo
	s_cbranch_execnz .LBB1663_244
	s_branch .LBB1663_245
.LBB1663_314:                           ;   in Loop: Header=BB1663_108 Depth=2
	v_lshlrev_b32_e32 v3, 2, v129
	v_add_nc_u32_e32 v39, v0, v75
	ds_read_b32 v3, v3
	ds_read_b64 v[39:40], v39 offset:512
	s_waitcnt lgkmcnt(1)
	v_add_nc_u32_e32 v3, v3, v0
	v_lshlrev_b64 v[41:42], 3, v[3:4]
	v_add_co_u32 v41, s39, s52, v41
	v_add_co_ci_u32_e64 v42, null, s53, v42, s39
	s_waitcnt lgkmcnt(0)
	global_store_dwordx2 v[41:42], v[39:40], off
	s_or_b32 exec_lo, exec_lo, s40
	s_and_saveexec_b32 s39, s38
	s_cbranch_execz .LBB1663_247
.LBB1663_315:                           ;   in Loop: Header=BB1663_108 Depth=2
	v_lshlrev_b32_e32 v3, 2, v128
	v_add_nc_u32_e32 v39, v0, v75
	ds_read_b32 v3, v3
	ds_read_b64 v[39:40], v39 offset:2560
	s_waitcnt lgkmcnt(1)
	v_add_nc_u32_e32 v3, v3, v44
	v_lshlrev_b64 v[41:42], 3, v[3:4]
	v_add_co_u32 v41, s38, s52, v41
	v_add_co_ci_u32_e64 v42, null, s53, v42, s38
	s_waitcnt lgkmcnt(0)
	global_store_dwordx2 v[41:42], v[39:40], off
	s_or_b32 exec_lo, exec_lo, s39
	s_and_saveexec_b32 s38, s37
	s_cbranch_execz .LBB1663_248
.LBB1663_316:                           ;   in Loop: Header=BB1663_108 Depth=2
	v_lshlrev_b32_e32 v3, 2, v127
	v_add_nc_u32_e32 v39, v0, v75
	ds_read_b32 v3, v3
	ds_read_b64 v[39:40], v39 offset:4608
	s_waitcnt lgkmcnt(1)
	v_add_nc_u32_e32 v3, v3, v47
	v_lshlrev_b64 v[41:42], 3, v[3:4]
	v_add_co_u32 v41, s37, s52, v41
	v_add_co_ci_u32_e64 v42, null, s53, v42, s37
	s_waitcnt lgkmcnt(0)
	global_store_dwordx2 v[41:42], v[39:40], off
	s_or_b32 exec_lo, exec_lo, s38
	s_and_saveexec_b32 s37, s36
	s_cbranch_execz .LBB1663_249
.LBB1663_317:                           ;   in Loop: Header=BB1663_108 Depth=2
	v_lshlrev_b32_e32 v3, 2, v126
	v_add_nc_u32_e32 v39, v0, v75
	ds_read_b32 v3, v3
	ds_read_b64 v[39:40], v39 offset:6656
	s_waitcnt lgkmcnt(1)
	v_add_nc_u32_e32 v3, v3, v48
	v_lshlrev_b64 v[41:42], 3, v[3:4]
	v_add_co_u32 v41, s36, s52, v41
	v_add_co_ci_u32_e64 v42, null, s53, v42, s36
	s_waitcnt lgkmcnt(0)
	global_store_dwordx2 v[41:42], v[39:40], off
	s_or_b32 exec_lo, exec_lo, s37
	s_and_saveexec_b32 s36, s35
	s_cbranch_execz .LBB1663_250
.LBB1663_318:                           ;   in Loop: Header=BB1663_108 Depth=2
	v_lshlrev_b32_e32 v3, 2, v125
	v_add_nc_u32_e32 v39, v0, v75
	ds_read_b32 v3, v3
	ds_read_b64 v[39:40], v39 offset:8704
	s_waitcnt lgkmcnt(1)
	v_add_nc_u32_e32 v3, v3, v49
	v_lshlrev_b64 v[41:42], 3, v[3:4]
	v_add_co_u32 v41, s35, s52, v41
	v_add_co_ci_u32_e64 v42, null, s53, v42, s35
	s_waitcnt lgkmcnt(0)
	global_store_dwordx2 v[41:42], v[39:40], off
	s_or_b32 exec_lo, exec_lo, s36
	s_and_saveexec_b32 s35, s34
	s_cbranch_execz .LBB1663_251
.LBB1663_319:                           ;   in Loop: Header=BB1663_108 Depth=2
	v_lshlrev_b32_e32 v3, 2, v124
	v_add_nc_u32_e32 v39, v0, v75
	ds_read_b32 v3, v3
	ds_read_b64 v[39:40], v39 offset:10752
	s_waitcnt lgkmcnt(1)
	v_add_nc_u32_e32 v3, v3, v50
	v_lshlrev_b64 v[41:42], 3, v[3:4]
	v_add_co_u32 v41, s34, s52, v41
	v_add_co_ci_u32_e64 v42, null, s53, v42, s34
	s_waitcnt lgkmcnt(0)
	global_store_dwordx2 v[41:42], v[39:40], off
	s_or_b32 exec_lo, exec_lo, s35
	s_and_saveexec_b32 s34, s33
	s_cbranch_execz .LBB1663_252
.LBB1663_320:                           ;   in Loop: Header=BB1663_108 Depth=2
	v_lshlrev_b32_e32 v3, 2, v123
	v_add_nc_u32_e32 v39, v0, v75
	ds_read_b32 v3, v3
	ds_read_b64 v[39:40], v39 offset:12800
	s_waitcnt lgkmcnt(1)
	v_add_nc_u32_e32 v3, v3, v51
	v_lshlrev_b64 v[41:42], 3, v[3:4]
	v_add_co_u32 v41, s33, s52, v41
	v_add_co_ci_u32_e64 v42, null, s53, v42, s33
	s_waitcnt lgkmcnt(0)
	global_store_dwordx2 v[41:42], v[39:40], off
	s_or_b32 exec_lo, exec_lo, s34
	s_and_saveexec_b32 s33, s31
	s_cbranch_execz .LBB1663_253
.LBB1663_321:                           ;   in Loop: Header=BB1663_108 Depth=2
	v_lshlrev_b32_e32 v3, 2, v122
	v_add_nc_u32_e32 v39, v0, v75
	ds_read_b32 v3, v3
	ds_read_b64 v[39:40], v39 offset:14848
	s_waitcnt lgkmcnt(1)
	v_add_nc_u32_e32 v3, v3, v52
	v_lshlrev_b64 v[41:42], 3, v[3:4]
	v_add_co_u32 v41, s31, s52, v41
	v_add_co_ci_u32_e64 v42, null, s53, v42, s31
	s_waitcnt lgkmcnt(0)
	global_store_dwordx2 v[41:42], v[39:40], off
	s_or_b32 exec_lo, exec_lo, s33
	s_and_saveexec_b32 s31, s30
	s_cbranch_execz .LBB1663_254
.LBB1663_322:                           ;   in Loop: Header=BB1663_108 Depth=2
	v_lshlrev_b32_e32 v3, 2, v121
	v_add_nc_u32_e32 v39, v0, v75
	ds_read_b32 v3, v3
	ds_read_b64 v[39:40], v39 offset:16896
	s_waitcnt lgkmcnt(1)
	v_add_nc_u32_e32 v3, v3, v53
	v_lshlrev_b64 v[41:42], 3, v[3:4]
	v_add_co_u32 v41, s30, s52, v41
	v_add_co_ci_u32_e64 v42, null, s53, v42, s30
	s_waitcnt lgkmcnt(0)
	global_store_dwordx2 v[41:42], v[39:40], off
	s_or_b32 exec_lo, exec_lo, s31
	s_and_saveexec_b32 s30, s29
	s_cbranch_execz .LBB1663_255
.LBB1663_323:                           ;   in Loop: Header=BB1663_108 Depth=2
	v_lshlrev_b32_e32 v3, 2, v120
	v_add_nc_u32_e32 v39, v0, v75
	ds_read_b32 v3, v3
	ds_read_b64 v[39:40], v39 offset:18944
	s_waitcnt lgkmcnt(1)
	v_add_nc_u32_e32 v3, v3, v54
	v_lshlrev_b64 v[41:42], 3, v[3:4]
	v_add_co_u32 v41, s29, s52, v41
	v_add_co_ci_u32_e64 v42, null, s53, v42, s29
	s_waitcnt lgkmcnt(0)
	global_store_dwordx2 v[41:42], v[39:40], off
	s_or_b32 exec_lo, exec_lo, s30
	s_and_saveexec_b32 s29, s28
	s_cbranch_execz .LBB1663_256
.LBB1663_324:                           ;   in Loop: Header=BB1663_108 Depth=2
	v_lshlrev_b32_e32 v3, 2, v119
	v_add_nc_u32_e32 v39, v0, v75
	ds_read_b32 v3, v3
	ds_read_b64 v[39:40], v39 offset:20992
	s_waitcnt lgkmcnt(1)
	v_add_nc_u32_e32 v3, v3, v55
	v_lshlrev_b64 v[41:42], 3, v[3:4]
	v_add_co_u32 v41, s28, s52, v41
	v_add_co_ci_u32_e64 v42, null, s53, v42, s28
	s_waitcnt lgkmcnt(0)
	global_store_dwordx2 v[41:42], v[39:40], off
	s_or_b32 exec_lo, exec_lo, s29
	s_and_saveexec_b32 s28, s27
	s_cbranch_execz .LBB1663_257
.LBB1663_325:                           ;   in Loop: Header=BB1663_108 Depth=2
	v_lshlrev_b32_e32 v3, 2, v118
	v_add_nc_u32_e32 v39, v0, v75
	ds_read_b32 v3, v3
	ds_read_b64 v[39:40], v39 offset:23040
	s_waitcnt lgkmcnt(1)
	v_add_nc_u32_e32 v3, v3, v56
	v_lshlrev_b64 v[41:42], 3, v[3:4]
	v_add_co_u32 v41, s27, s52, v41
	v_add_co_ci_u32_e64 v42, null, s53, v42, s27
	s_waitcnt lgkmcnt(0)
	global_store_dwordx2 v[41:42], v[39:40], off
	s_or_b32 exec_lo, exec_lo, s28
	s_and_saveexec_b32 s27, s26
	s_cbranch_execz .LBB1663_258
.LBB1663_326:                           ;   in Loop: Header=BB1663_108 Depth=2
	v_lshlrev_b32_e32 v3, 2, v117
	v_add_nc_u32_e32 v39, v0, v75
	ds_read_b32 v3, v3
	ds_read_b64 v[39:40], v39 offset:25088
	s_waitcnt lgkmcnt(1)
	v_add_nc_u32_e32 v3, v3, v57
	v_lshlrev_b64 v[41:42], 3, v[3:4]
	v_add_co_u32 v41, s26, s52, v41
	v_add_co_ci_u32_e64 v42, null, s53, v42, s26
	s_waitcnt lgkmcnt(0)
	global_store_dwordx2 v[41:42], v[39:40], off
	s_or_b32 exec_lo, exec_lo, s27
	s_and_saveexec_b32 s26, s25
	s_cbranch_execz .LBB1663_259
.LBB1663_327:                           ;   in Loop: Header=BB1663_108 Depth=2
	v_lshlrev_b32_e32 v3, 2, v116
	v_add_nc_u32_e32 v39, v0, v75
	ds_read_b32 v3, v3
	ds_read_b64 v[39:40], v39 offset:27136
	s_waitcnt lgkmcnt(1)
	v_add_nc_u32_e32 v3, v3, v58
	v_lshlrev_b64 v[41:42], 3, v[3:4]
	v_add_co_u32 v41, s25, s52, v41
	v_add_co_ci_u32_e64 v42, null, s53, v42, s25
	s_waitcnt lgkmcnt(0)
	global_store_dwordx2 v[41:42], v[39:40], off
	s_or_b32 exec_lo, exec_lo, s26
	s_and_saveexec_b32 s25, s24
	s_cbranch_execz .LBB1663_260
.LBB1663_328:                           ;   in Loop: Header=BB1663_108 Depth=2
	v_lshlrev_b32_e32 v3, 2, v115
	v_add_nc_u32_e32 v39, v0, v75
	ds_read_b32 v3, v3
	ds_read_b64 v[39:40], v39 offset:29184
	s_waitcnt lgkmcnt(1)
	v_add_nc_u32_e32 v3, v3, v59
	v_lshlrev_b64 v[41:42], 3, v[3:4]
	v_add_co_u32 v41, s24, s52, v41
	v_add_co_ci_u32_e64 v42, null, s53, v42, s24
	s_waitcnt lgkmcnt(0)
	global_store_dwordx2 v[41:42], v[39:40], off
	s_or_b32 exec_lo, exec_lo, s25
	s_and_saveexec_b32 s24, s23
	s_cbranch_execz .LBB1663_261
.LBB1663_329:                           ;   in Loop: Header=BB1663_108 Depth=2
	v_lshlrev_b32_e32 v3, 2, v114
	v_add_nc_u32_e32 v39, v0, v75
	ds_read_b32 v3, v3
	ds_read_b64 v[39:40], v39 offset:31232
	s_waitcnt lgkmcnt(1)
	v_add_nc_u32_e32 v3, v3, v60
	v_lshlrev_b64 v[41:42], 3, v[3:4]
	v_add_co_u32 v41, s23, s52, v41
	v_add_co_ci_u32_e64 v42, null, s53, v42, s23
	s_waitcnt lgkmcnt(0)
	global_store_dwordx2 v[41:42], v[39:40], off
	s_or_b32 exec_lo, exec_lo, s24
	s_and_saveexec_b32 s23, vcc_lo
	s_cbranch_execnz .LBB1663_262
	s_branch .LBB1663_263
.LBB1663_330:                           ;   in Loop: Header=BB1663_20 Depth=1
	s_waitcnt lgkmcnt(0)
	s_mov_b32 s5, 0
	s_barrier
.LBB1663_331:                           ;   in Loop: Header=BB1663_20 Depth=1
	s_and_b32 vcc_lo, exec_lo, s5
	s_cbranch_vccz .LBB1663_641
; %bb.332:                              ;   in Loop: Header=BB1663_20 Depth=1
	v_mov_b32_e32 v17, 0
	v_mov_b32_e32 v20, 0
	;; [unrolled: 1-line block ×17, first 2 shown]
	s_mov_b32 s5, s60
	s_mov_b32 s17, s58
	s_barrier
	buffer_gl0_inv
	s_branch .LBB1663_334
.LBB1663_333:                           ;   in Loop: Header=BB1663_334 Depth=2
	s_or_b32 exec_lo, exec_lo, s16
	s_addk_i32 s5, 0xef00
	s_cmp_ge_u32 s15, s59
	s_mov_b32 s17, s15
	s_cbranch_scc1 .LBB1663_406
.LBB1663_334:                           ;   Parent Loop BB1663_20 Depth=1
                                        ; =>  This Inner Loop Header: Depth=2
	s_add_i32 s15, s17, 0x1100
	s_mov_b32 s16, -1
	s_cmp_gt_u32 s15, s59
                                        ; implicit-def: $vgpr21
                                        ; implicit-def: $vgpr22
                                        ; implicit-def: $vgpr23
                                        ; implicit-def: $vgpr24
                                        ; implicit-def: $vgpr25
                                        ; implicit-def: $vgpr26
                                        ; implicit-def: $vgpr27
                                        ; implicit-def: $vgpr28
                                        ; implicit-def: $vgpr29
                                        ; implicit-def: $vgpr30
                                        ; implicit-def: $vgpr31
                                        ; implicit-def: $vgpr32
                                        ; implicit-def: $vgpr33
                                        ; implicit-def: $vgpr34
                                        ; implicit-def: $vgpr35
                                        ; implicit-def: $vgpr36
                                        ; implicit-def: $vgpr37
	s_cbranch_scc1 .LBB1663_336
; %bb.335:                              ;   in Loop: Header=BB1663_334 Depth=2
	v_add_co_u32 v38, vcc_lo, v76, s17
	v_add_co_ci_u32_e64 v39, null, 0, v77, vcc_lo
	s_mov_b32 s16, 0
	v_add_co_u32 v21, vcc_lo, 0x800, v38
	v_add_co_ci_u32_e64 v22, null, 0, v39, vcc_lo
	v_add_co_u32 v23, vcc_lo, 0x1000, v38
	v_add_co_ci_u32_e64 v24, null, 0, v39, vcc_lo
	s_clause 0x10
	global_load_ubyte v36, v[21:22], off offset:1792
	global_load_ubyte v37, v[23:24], off
	global_load_ubyte v35, v[21:22], off offset:1536
	global_load_ubyte v34, v[21:22], off offset:1280
	;; [unrolled: 1-line block ×6, first 2 shown]
	global_load_ubyte v29, v[21:22], off
	global_load_ubyte v28, v[38:39], off offset:1792
	global_load_ubyte v27, v[38:39], off offset:1536
	global_load_ubyte v26, v[38:39], off offset:1280
	global_load_ubyte v25, v[38:39], off offset:1024
	global_load_ubyte v24, v[38:39], off offset:768
	global_load_ubyte v23, v[38:39], off offset:512
	global_load_ubyte v22, v[38:39], off offset:256
	global_load_ubyte v21, v[38:39], off
.LBB1663_336:                           ;   in Loop: Header=BB1663_334 Depth=2
	s_andn2_b32 vcc_lo, exec_lo, s16
	s_movk_i32 s16, 0x1100
	s_cbranch_vccnz .LBB1663_356
; %bb.337:                              ;   in Loop: Header=BB1663_334 Depth=2
	s_add_u32 s16, s46, s17
	s_addc_u32 s17, s47, 0
	s_mov_b32 s18, exec_lo
	v_cmpx_gt_u32_e64 s5, v0
	s_cbranch_execnz .LBB1663_390
; %bb.338:                              ;   in Loop: Header=BB1663_334 Depth=2
	s_or_b32 exec_lo, exec_lo, s18
	s_mov_b32 s18, exec_lo
	v_cmpx_gt_u32_e64 s5, v44
	s_cbranch_execnz .LBB1663_391
.LBB1663_339:                           ;   in Loop: Header=BB1663_334 Depth=2
	s_or_b32 exec_lo, exec_lo, s18
	s_mov_b32 s18, exec_lo
	v_cmpx_gt_u32_e64 s5, v47
	s_cbranch_execnz .LBB1663_392
.LBB1663_340:                           ;   in Loop: Header=BB1663_334 Depth=2
	s_or_b32 exec_lo, exec_lo, s18
	s_mov_b32 s18, exec_lo
	v_cmpx_gt_u32_e64 s5, v48
	s_cbranch_execnz .LBB1663_393
.LBB1663_341:                           ;   in Loop: Header=BB1663_334 Depth=2
	s_or_b32 exec_lo, exec_lo, s18
	s_mov_b32 s18, exec_lo
	v_cmpx_gt_u32_e64 s5, v49
	s_cbranch_execnz .LBB1663_394
.LBB1663_342:                           ;   in Loop: Header=BB1663_334 Depth=2
	s_or_b32 exec_lo, exec_lo, s18
	s_mov_b32 s18, exec_lo
	v_cmpx_gt_u32_e64 s5, v50
	s_cbranch_execnz .LBB1663_395
.LBB1663_343:                           ;   in Loop: Header=BB1663_334 Depth=2
	s_or_b32 exec_lo, exec_lo, s18
	s_mov_b32 s18, exec_lo
	v_cmpx_gt_u32_e64 s5, v51
	s_cbranch_execnz .LBB1663_396
.LBB1663_344:                           ;   in Loop: Header=BB1663_334 Depth=2
	s_or_b32 exec_lo, exec_lo, s18
	s_mov_b32 s18, exec_lo
	v_cmpx_gt_u32_e64 s5, v52
	s_cbranch_execnz .LBB1663_397
.LBB1663_345:                           ;   in Loop: Header=BB1663_334 Depth=2
	s_or_b32 exec_lo, exec_lo, s18
	s_mov_b32 s18, exec_lo
	v_cmpx_gt_u32_e64 s5, v53
	s_cbranch_execnz .LBB1663_398
.LBB1663_346:                           ;   in Loop: Header=BB1663_334 Depth=2
	s_or_b32 exec_lo, exec_lo, s18
	s_mov_b32 s18, exec_lo
	v_cmpx_gt_u32_e64 s5, v54
	s_cbranch_execnz .LBB1663_399
.LBB1663_347:                           ;   in Loop: Header=BB1663_334 Depth=2
	s_or_b32 exec_lo, exec_lo, s18
	s_mov_b32 s18, exec_lo
	v_cmpx_gt_u32_e64 s5, v55
	s_cbranch_execnz .LBB1663_400
.LBB1663_348:                           ;   in Loop: Header=BB1663_334 Depth=2
	s_or_b32 exec_lo, exec_lo, s18
	s_mov_b32 s18, exec_lo
	v_cmpx_gt_u32_e64 s5, v56
	s_cbranch_execnz .LBB1663_401
.LBB1663_349:                           ;   in Loop: Header=BB1663_334 Depth=2
	s_or_b32 exec_lo, exec_lo, s18
	s_mov_b32 s18, exec_lo
	v_cmpx_gt_u32_e64 s5, v57
	s_cbranch_execnz .LBB1663_402
.LBB1663_350:                           ;   in Loop: Header=BB1663_334 Depth=2
	s_or_b32 exec_lo, exec_lo, s18
	s_mov_b32 s18, exec_lo
	v_cmpx_gt_u32_e64 s5, v58
	s_cbranch_execnz .LBB1663_403
.LBB1663_351:                           ;   in Loop: Header=BB1663_334 Depth=2
	s_or_b32 exec_lo, exec_lo, s18
	s_mov_b32 s18, exec_lo
	v_cmpx_gt_u32_e64 s5, v59
	s_cbranch_execnz .LBB1663_404
.LBB1663_352:                           ;   in Loop: Header=BB1663_334 Depth=2
	s_or_b32 exec_lo, exec_lo, s18
	s_mov_b32 s18, exec_lo
	v_cmpx_gt_u32_e64 s5, v60
	s_cbranch_execnz .LBB1663_405
.LBB1663_353:                           ;   in Loop: Header=BB1663_334 Depth=2
	s_or_b32 exec_lo, exec_lo, s18
	s_mov_b32 s18, exec_lo
	v_cmpx_gt_u32_e64 s5, v61
	s_cbranch_execz .LBB1663_355
.LBB1663_354:                           ;   in Loop: Header=BB1663_334 Depth=2
	s_waitcnt vmcnt(0)
	v_add_co_u32 v21, s16, s16, v61
	v_add_co_ci_u32_e64 v22, null, s17, 0, s16
	global_load_ubyte v3, v[21:22], off
.LBB1663_355:                           ;   in Loop: Header=BB1663_334 Depth=2
	s_or_b32 exec_lo, exec_lo, s18
	s_waitcnt vmcnt(0)
	v_mov_b32_e32 v21, v17
	v_mov_b32_e32 v22, v20
	;; [unrolled: 1-line block ×17, first 2 shown]
	s_mov_b32 s16, s5
.LBB1663_356:                           ;   in Loop: Header=BB1663_334 Depth=2
	s_waitcnt vmcnt(15)
	v_mov_b32_e32 v3, v37
	v_mov_b32_e32 v5, v36
	s_waitcnt vmcnt(14)
	v_mov_b32_e32 v6, v35
	s_waitcnt vmcnt(13)
	;; [unrolled: 2-line block ×15, first 2 shown]
	v_mov_b32_e32 v17, v21
	s_mov_b32 s17, exec_lo
	v_cmpx_gt_u32_e64 s16, v0
	s_cbranch_execnz .LBB1663_373
; %bb.357:                              ;   in Loop: Header=BB1663_334 Depth=2
	s_or_b32 exec_lo, exec_lo, s17
	s_mov_b32 s17, exec_lo
	v_cmpx_gt_u32_e64 s16, v44
	s_cbranch_execnz .LBB1663_374
.LBB1663_358:                           ;   in Loop: Header=BB1663_334 Depth=2
	s_or_b32 exec_lo, exec_lo, s17
	s_mov_b32 s17, exec_lo
	v_cmpx_gt_u32_e64 s16, v47
	s_cbranch_execnz .LBB1663_375
.LBB1663_359:                           ;   in Loop: Header=BB1663_334 Depth=2
	s_or_b32 exec_lo, exec_lo, s17
	s_mov_b32 s17, exec_lo
	v_cmpx_gt_u32_e64 s16, v48
	s_cbranch_execnz .LBB1663_376
.LBB1663_360:                           ;   in Loop: Header=BB1663_334 Depth=2
	s_or_b32 exec_lo, exec_lo, s17
	s_mov_b32 s17, exec_lo
	v_cmpx_gt_u32_e64 s16, v49
	s_cbranch_execnz .LBB1663_377
.LBB1663_361:                           ;   in Loop: Header=BB1663_334 Depth=2
	s_or_b32 exec_lo, exec_lo, s17
	s_mov_b32 s17, exec_lo
	v_cmpx_gt_u32_e64 s16, v50
	s_cbranch_execnz .LBB1663_378
.LBB1663_362:                           ;   in Loop: Header=BB1663_334 Depth=2
	s_or_b32 exec_lo, exec_lo, s17
	s_mov_b32 s17, exec_lo
	v_cmpx_gt_u32_e64 s16, v51
	s_cbranch_execnz .LBB1663_379
.LBB1663_363:                           ;   in Loop: Header=BB1663_334 Depth=2
	s_or_b32 exec_lo, exec_lo, s17
	s_mov_b32 s17, exec_lo
	v_cmpx_gt_u32_e64 s16, v52
	s_cbranch_execnz .LBB1663_380
.LBB1663_364:                           ;   in Loop: Header=BB1663_334 Depth=2
	s_or_b32 exec_lo, exec_lo, s17
	s_mov_b32 s17, exec_lo
	v_cmpx_gt_u32_e64 s16, v53
	s_cbranch_execnz .LBB1663_381
.LBB1663_365:                           ;   in Loop: Header=BB1663_334 Depth=2
	s_or_b32 exec_lo, exec_lo, s17
	s_mov_b32 s17, exec_lo
	v_cmpx_gt_u32_e64 s16, v54
	s_cbranch_execnz .LBB1663_382
.LBB1663_366:                           ;   in Loop: Header=BB1663_334 Depth=2
	s_or_b32 exec_lo, exec_lo, s17
	s_mov_b32 s17, exec_lo
	v_cmpx_gt_u32_e64 s16, v55
	s_cbranch_execnz .LBB1663_383
.LBB1663_367:                           ;   in Loop: Header=BB1663_334 Depth=2
	s_or_b32 exec_lo, exec_lo, s17
	s_mov_b32 s17, exec_lo
	v_cmpx_gt_u32_e64 s16, v56
	s_cbranch_execnz .LBB1663_384
.LBB1663_368:                           ;   in Loop: Header=BB1663_334 Depth=2
	s_or_b32 exec_lo, exec_lo, s17
	s_mov_b32 s17, exec_lo
	v_cmpx_gt_u32_e64 s16, v57
	s_cbranch_execnz .LBB1663_385
.LBB1663_369:                           ;   in Loop: Header=BB1663_334 Depth=2
	s_or_b32 exec_lo, exec_lo, s17
	s_mov_b32 s17, exec_lo
	v_cmpx_gt_u32_e64 s16, v58
	s_cbranch_execnz .LBB1663_386
.LBB1663_370:                           ;   in Loop: Header=BB1663_334 Depth=2
	s_or_b32 exec_lo, exec_lo, s17
	s_mov_b32 s17, exec_lo
	v_cmpx_gt_u32_e64 s16, v59
	s_cbranch_execnz .LBB1663_387
.LBB1663_371:                           ;   in Loop: Header=BB1663_334 Depth=2
	s_or_b32 exec_lo, exec_lo, s17
	s_mov_b32 s17, exec_lo
	v_cmpx_gt_u32_e64 s16, v60
	s_cbranch_execnz .LBB1663_388
.LBB1663_372:                           ;   in Loop: Header=BB1663_334 Depth=2
	s_or_b32 exec_lo, exec_lo, s17
	v_cmp_gt_u32_e32 vcc_lo, s16, v61
	s_and_saveexec_b32 s16, vcc_lo
	s_cbranch_execz .LBB1663_333
	s_branch .LBB1663_389
.LBB1663_373:                           ;   in Loop: Header=BB1663_334 Depth=2
	v_and_b32_e32 v21, 1, v17
	v_lshrrev_b32_e32 v21, s61, v21
	v_and_b32_e32 v21, s62, v21
	v_lshl_or_b32 v21, v21, 4, v63
	ds_add_u32 v21, v89
	s_or_b32 exec_lo, exec_lo, s17
	s_mov_b32 s17, exec_lo
	v_cmpx_gt_u32_e64 s16, v44
	s_cbranch_execz .LBB1663_358
.LBB1663_374:                           ;   in Loop: Header=BB1663_334 Depth=2
	v_and_b32_e32 v21, 1, v20
	v_lshrrev_b32_e32 v21, s61, v21
	v_and_b32_e32 v21, s62, v21
	v_lshl_or_b32 v21, v21, 4, v63
	ds_add_u32 v21, v89
	s_or_b32 exec_lo, exec_lo, s17
	s_mov_b32 s17, exec_lo
	v_cmpx_gt_u32_e64 s16, v47
	s_cbranch_execz .LBB1663_359
.LBB1663_375:                           ;   in Loop: Header=BB1663_334 Depth=2
	v_and_b32_e32 v21, 1, v19
	v_lshrrev_b32_e32 v21, s61, v21
	v_and_b32_e32 v21, s62, v21
	v_lshl_or_b32 v21, v21, 4, v63
	ds_add_u32 v21, v89
	s_or_b32 exec_lo, exec_lo, s17
	s_mov_b32 s17, exec_lo
	v_cmpx_gt_u32_e64 s16, v48
	s_cbranch_execz .LBB1663_360
.LBB1663_376:                           ;   in Loop: Header=BB1663_334 Depth=2
	v_and_b32_e32 v21, 1, v18
	v_lshrrev_b32_e32 v21, s61, v21
	v_and_b32_e32 v21, s62, v21
	v_lshl_or_b32 v21, v21, 4, v63
	ds_add_u32 v21, v89
	s_or_b32 exec_lo, exec_lo, s17
	s_mov_b32 s17, exec_lo
	v_cmpx_gt_u32_e64 s16, v49
	s_cbranch_execz .LBB1663_361
.LBB1663_377:                           ;   in Loop: Header=BB1663_334 Depth=2
	v_and_b32_e32 v21, 1, v16
	v_lshrrev_b32_e32 v21, s61, v21
	v_and_b32_e32 v21, s62, v21
	v_lshl_or_b32 v21, v21, 4, v63
	ds_add_u32 v21, v89
	s_or_b32 exec_lo, exec_lo, s17
	s_mov_b32 s17, exec_lo
	v_cmpx_gt_u32_e64 s16, v50
	s_cbranch_execz .LBB1663_362
.LBB1663_378:                           ;   in Loop: Header=BB1663_334 Depth=2
	v_and_b32_e32 v21, 1, v15
	v_lshrrev_b32_e32 v21, s61, v21
	v_and_b32_e32 v21, s62, v21
	v_lshl_or_b32 v21, v21, 4, v63
	ds_add_u32 v21, v89
	s_or_b32 exec_lo, exec_lo, s17
	s_mov_b32 s17, exec_lo
	v_cmpx_gt_u32_e64 s16, v51
	s_cbranch_execz .LBB1663_363
.LBB1663_379:                           ;   in Loop: Header=BB1663_334 Depth=2
	v_and_b32_e32 v21, 1, v14
	v_lshrrev_b32_e32 v21, s61, v21
	v_and_b32_e32 v21, s62, v21
	v_lshl_or_b32 v21, v21, 4, v63
	ds_add_u32 v21, v89
	s_or_b32 exec_lo, exec_lo, s17
	s_mov_b32 s17, exec_lo
	v_cmpx_gt_u32_e64 s16, v52
	s_cbranch_execz .LBB1663_364
.LBB1663_380:                           ;   in Loop: Header=BB1663_334 Depth=2
	v_and_b32_e32 v21, 1, v13
	v_lshrrev_b32_e32 v21, s61, v21
	v_and_b32_e32 v21, s62, v21
	v_lshl_or_b32 v21, v21, 4, v63
	ds_add_u32 v21, v89
	s_or_b32 exec_lo, exec_lo, s17
	s_mov_b32 s17, exec_lo
	v_cmpx_gt_u32_e64 s16, v53
	s_cbranch_execz .LBB1663_365
.LBB1663_381:                           ;   in Loop: Header=BB1663_334 Depth=2
	v_and_b32_e32 v21, 1, v12
	v_lshrrev_b32_e32 v21, s61, v21
	v_and_b32_e32 v21, s62, v21
	v_lshl_or_b32 v21, v21, 4, v63
	ds_add_u32 v21, v89
	s_or_b32 exec_lo, exec_lo, s17
	s_mov_b32 s17, exec_lo
	v_cmpx_gt_u32_e64 s16, v54
	s_cbranch_execz .LBB1663_366
.LBB1663_382:                           ;   in Loop: Header=BB1663_334 Depth=2
	v_and_b32_e32 v21, 1, v11
	v_lshrrev_b32_e32 v21, s61, v21
	v_and_b32_e32 v21, s62, v21
	v_lshl_or_b32 v21, v21, 4, v63
	ds_add_u32 v21, v89
	s_or_b32 exec_lo, exec_lo, s17
	s_mov_b32 s17, exec_lo
	v_cmpx_gt_u32_e64 s16, v55
	s_cbranch_execz .LBB1663_367
.LBB1663_383:                           ;   in Loop: Header=BB1663_334 Depth=2
	v_and_b32_e32 v21, 1, v10
	v_lshrrev_b32_e32 v21, s61, v21
	v_and_b32_e32 v21, s62, v21
	v_lshl_or_b32 v21, v21, 4, v63
	ds_add_u32 v21, v89
	s_or_b32 exec_lo, exec_lo, s17
	s_mov_b32 s17, exec_lo
	v_cmpx_gt_u32_e64 s16, v56
	s_cbranch_execz .LBB1663_368
.LBB1663_384:                           ;   in Loop: Header=BB1663_334 Depth=2
	v_and_b32_e32 v21, 1, v9
	v_lshrrev_b32_e32 v21, s61, v21
	v_and_b32_e32 v21, s62, v21
	v_lshl_or_b32 v21, v21, 4, v63
	ds_add_u32 v21, v89
	s_or_b32 exec_lo, exec_lo, s17
	s_mov_b32 s17, exec_lo
	v_cmpx_gt_u32_e64 s16, v57
	s_cbranch_execz .LBB1663_369
.LBB1663_385:                           ;   in Loop: Header=BB1663_334 Depth=2
	v_and_b32_e32 v21, 1, v8
	v_lshrrev_b32_e32 v21, s61, v21
	v_and_b32_e32 v21, s62, v21
	v_lshl_or_b32 v21, v21, 4, v63
	ds_add_u32 v21, v89
	s_or_b32 exec_lo, exec_lo, s17
	s_mov_b32 s17, exec_lo
	v_cmpx_gt_u32_e64 s16, v58
	s_cbranch_execz .LBB1663_370
.LBB1663_386:                           ;   in Loop: Header=BB1663_334 Depth=2
	v_and_b32_e32 v21, 1, v7
	v_lshrrev_b32_e32 v21, s61, v21
	v_and_b32_e32 v21, s62, v21
	v_lshl_or_b32 v21, v21, 4, v63
	ds_add_u32 v21, v89
	s_or_b32 exec_lo, exec_lo, s17
	s_mov_b32 s17, exec_lo
	v_cmpx_gt_u32_e64 s16, v59
	s_cbranch_execz .LBB1663_371
.LBB1663_387:                           ;   in Loop: Header=BB1663_334 Depth=2
	v_and_b32_e32 v21, 1, v6
	v_lshrrev_b32_e32 v21, s61, v21
	v_and_b32_e32 v21, s62, v21
	v_lshl_or_b32 v21, v21, 4, v63
	ds_add_u32 v21, v89
	s_or_b32 exec_lo, exec_lo, s17
	s_mov_b32 s17, exec_lo
	v_cmpx_gt_u32_e64 s16, v60
	s_cbranch_execz .LBB1663_372
.LBB1663_388:                           ;   in Loop: Header=BB1663_334 Depth=2
	v_and_b32_e32 v21, 1, v5
	v_lshrrev_b32_e32 v21, s61, v21
	v_and_b32_e32 v21, s62, v21
	v_lshl_or_b32 v21, v21, 4, v63
	ds_add_u32 v21, v89
	s_or_b32 exec_lo, exec_lo, s17
	v_cmp_gt_u32_e32 vcc_lo, s16, v61
	s_and_saveexec_b32 s16, vcc_lo
	s_cbranch_execz .LBB1663_333
.LBB1663_389:                           ;   in Loop: Header=BB1663_334 Depth=2
	v_and_b32_e32 v21, 1, v3
	v_lshrrev_b32_e32 v21, s61, v21
	v_and_b32_e32 v21, s62, v21
	v_lshl_or_b32 v21, v21, 4, v63
	ds_add_u32 v21, v89
	s_branch .LBB1663_333
.LBB1663_390:                           ;   in Loop: Header=BB1663_334 Depth=2
	s_waitcnt vmcnt(0)
	v_add_co_u32 v21, s19, s16, v0
	v_add_co_ci_u32_e64 v22, null, s17, 0, s19
	global_load_ubyte v17, v[21:22], off
	s_or_b32 exec_lo, exec_lo, s18
	s_mov_b32 s18, exec_lo
	v_cmpx_gt_u32_e64 s5, v44
	s_cbranch_execz .LBB1663_339
.LBB1663_391:                           ;   in Loop: Header=BB1663_334 Depth=2
	v_add_co_u32 v20, s19, s16, v0
	s_waitcnt vmcnt(0)
	v_add_co_ci_u32_e64 v21, null, s17, 0, s19
	global_load_ubyte v20, v[20:21], off offset:256
	s_or_b32 exec_lo, exec_lo, s18
	s_mov_b32 s18, exec_lo
	v_cmpx_gt_u32_e64 s5, v47
	s_cbranch_execz .LBB1663_340
.LBB1663_392:                           ;   in Loop: Header=BB1663_334 Depth=2
	s_waitcnt vmcnt(0)
	v_add_co_u32 v21, s19, s16, v0
	v_add_co_ci_u32_e64 v22, null, s17, 0, s19
	global_load_ubyte v19, v[21:22], off offset:512
	s_or_b32 exec_lo, exec_lo, s18
	s_mov_b32 s18, exec_lo
	v_cmpx_gt_u32_e64 s5, v48
	s_cbranch_execz .LBB1663_341
.LBB1663_393:                           ;   in Loop: Header=BB1663_334 Depth=2
	s_waitcnt vmcnt(0)
	v_add_co_u32 v21, s19, s16, v0
	v_add_co_ci_u32_e64 v22, null, s17, 0, s19
	global_load_ubyte v18, v[21:22], off offset:768
	s_or_b32 exec_lo, exec_lo, s18
	s_mov_b32 s18, exec_lo
	v_cmpx_gt_u32_e64 s5, v49
	s_cbranch_execz .LBB1663_342
.LBB1663_394:                           ;   in Loop: Header=BB1663_334 Depth=2
	s_waitcnt vmcnt(0)
	v_add_co_u32 v21, s19, s16, v0
	v_add_co_ci_u32_e64 v22, null, s17, 0, s19
	global_load_ubyte v16, v[21:22], off offset:1024
	s_or_b32 exec_lo, exec_lo, s18
	s_mov_b32 s18, exec_lo
	v_cmpx_gt_u32_e64 s5, v50
	s_cbranch_execz .LBB1663_343
.LBB1663_395:                           ;   in Loop: Header=BB1663_334 Depth=2
	s_waitcnt vmcnt(0)
	v_add_co_u32 v21, s19, s16, v0
	v_add_co_ci_u32_e64 v22, null, s17, 0, s19
	global_load_ubyte v15, v[21:22], off offset:1280
	s_or_b32 exec_lo, exec_lo, s18
	s_mov_b32 s18, exec_lo
	v_cmpx_gt_u32_e64 s5, v51
	s_cbranch_execz .LBB1663_344
.LBB1663_396:                           ;   in Loop: Header=BB1663_334 Depth=2
	s_waitcnt vmcnt(0)
	v_add_co_u32 v21, s19, s16, v0
	v_add_co_ci_u32_e64 v22, null, s17, 0, s19
	global_load_ubyte v14, v[21:22], off offset:1536
	s_or_b32 exec_lo, exec_lo, s18
	s_mov_b32 s18, exec_lo
	v_cmpx_gt_u32_e64 s5, v52
	s_cbranch_execz .LBB1663_345
.LBB1663_397:                           ;   in Loop: Header=BB1663_334 Depth=2
	s_waitcnt vmcnt(0)
	v_add_co_u32 v21, s19, s16, v0
	v_add_co_ci_u32_e64 v22, null, s17, 0, s19
	global_load_ubyte v13, v[21:22], off offset:1792
	s_or_b32 exec_lo, exec_lo, s18
	s_mov_b32 s18, exec_lo
	v_cmpx_gt_u32_e64 s5, v53
	s_cbranch_execz .LBB1663_346
.LBB1663_398:                           ;   in Loop: Header=BB1663_334 Depth=2
	s_waitcnt vmcnt(0)
	v_add_co_u32 v21, s19, s16, v53
	v_add_co_ci_u32_e64 v22, null, s17, 0, s19
	global_load_ubyte v12, v[21:22], off
	s_or_b32 exec_lo, exec_lo, s18
	s_mov_b32 s18, exec_lo
	v_cmpx_gt_u32_e64 s5, v54
	s_cbranch_execz .LBB1663_347
.LBB1663_399:                           ;   in Loop: Header=BB1663_334 Depth=2
	s_waitcnt vmcnt(0)
	v_add_co_u32 v21, s19, s16, v54
	v_add_co_ci_u32_e64 v22, null, s17, 0, s19
	global_load_ubyte v11, v[21:22], off
	s_or_b32 exec_lo, exec_lo, s18
	s_mov_b32 s18, exec_lo
	v_cmpx_gt_u32_e64 s5, v55
	s_cbranch_execz .LBB1663_348
.LBB1663_400:                           ;   in Loop: Header=BB1663_334 Depth=2
	s_waitcnt vmcnt(0)
	v_add_co_u32 v21, s19, s16, v55
	v_add_co_ci_u32_e64 v22, null, s17, 0, s19
	global_load_ubyte v10, v[21:22], off
	s_or_b32 exec_lo, exec_lo, s18
	s_mov_b32 s18, exec_lo
	v_cmpx_gt_u32_e64 s5, v56
	s_cbranch_execz .LBB1663_349
.LBB1663_401:                           ;   in Loop: Header=BB1663_334 Depth=2
	s_waitcnt vmcnt(0)
	v_add_co_u32 v21, s19, s16, v56
	v_add_co_ci_u32_e64 v22, null, s17, 0, s19
	global_load_ubyte v9, v[21:22], off
	s_or_b32 exec_lo, exec_lo, s18
	s_mov_b32 s18, exec_lo
	v_cmpx_gt_u32_e64 s5, v57
	s_cbranch_execz .LBB1663_350
.LBB1663_402:                           ;   in Loop: Header=BB1663_334 Depth=2
	s_waitcnt vmcnt(0)
	v_add_co_u32 v21, s19, s16, v57
	v_add_co_ci_u32_e64 v22, null, s17, 0, s19
	global_load_ubyte v8, v[21:22], off
	s_or_b32 exec_lo, exec_lo, s18
	s_mov_b32 s18, exec_lo
	v_cmpx_gt_u32_e64 s5, v58
	s_cbranch_execz .LBB1663_351
.LBB1663_403:                           ;   in Loop: Header=BB1663_334 Depth=2
	s_waitcnt vmcnt(0)
	v_add_co_u32 v21, s19, s16, v58
	v_add_co_ci_u32_e64 v22, null, s17, 0, s19
	global_load_ubyte v7, v[21:22], off
	s_or_b32 exec_lo, exec_lo, s18
	s_mov_b32 s18, exec_lo
	v_cmpx_gt_u32_e64 s5, v59
	s_cbranch_execz .LBB1663_352
.LBB1663_404:                           ;   in Loop: Header=BB1663_334 Depth=2
	s_waitcnt vmcnt(0)
	v_add_co_u32 v21, s19, s16, v59
	v_add_co_ci_u32_e64 v22, null, s17, 0, s19
	global_load_ubyte v6, v[21:22], off
	s_or_b32 exec_lo, exec_lo, s18
	s_mov_b32 s18, exec_lo
	v_cmpx_gt_u32_e64 s5, v60
	s_cbranch_execz .LBB1663_353
.LBB1663_405:                           ;   in Loop: Header=BB1663_334 Depth=2
	s_waitcnt vmcnt(0)
	v_add_co_u32 v21, s19, s16, v60
	v_add_co_ci_u32_e64 v22, null, s17, 0, s19
	global_load_ubyte v5, v[21:22], off
	s_or_b32 exec_lo, exec_lo, s18
	s_mov_b32 s18, exec_lo
	v_cmpx_gt_u32_e64 s5, v61
	s_cbranch_execnz .LBB1663_354
	s_branch .LBB1663_355
.LBB1663_406:                           ;   in Loop: Header=BB1663_20 Depth=1
	v_mov_b32_e32 v3, 0
	s_waitcnt lgkmcnt(0)
	s_barrier
	buffer_gl0_inv
	s_and_saveexec_b32 s5, s8
	s_cbranch_execz .LBB1663_408
; %bb.407:                              ;   in Loop: Header=BB1663_20 Depth=1
	ds_read2_b64 v[5:8], v64 offset1:1
	s_waitcnt lgkmcnt(0)
	v_add_nc_u32_e32 v3, v6, v5
	v_add3_u32 v3, v3, v7, v8
.LBB1663_408:                           ;   in Loop: Header=BB1663_20 Depth=1
	s_or_b32 exec_lo, exec_lo, s5
	v_and_b32_e32 v5, 15, v86
	v_mov_b32_dpp v6, v3 row_shr:1 row_mask:0xf bank_mask:0xf
	v_and_b32_e32 v7, 16, v86
	v_cmp_eq_u32_e64 s5, 0, v5
	v_cmp_lt_u32_e64 s15, 1, v5
	v_cmp_lt_u32_e64 s16, 3, v5
	;; [unrolled: 1-line block ×3, first 2 shown]
	v_cmp_eq_u32_e64 s18, 0, v7
	v_cndmask_b32_e64 v6, v6, 0, s5
	v_add_nc_u32_e32 v3, v6, v3
	v_mov_b32_dpp v6, v3 row_shr:2 row_mask:0xf bank_mask:0xf
	v_cndmask_b32_e64 v6, 0, v6, s15
	v_add_nc_u32_e32 v3, v3, v6
	v_mov_b32_dpp v6, v3 row_shr:4 row_mask:0xf bank_mask:0xf
	;; [unrolled: 3-line block ×3, first 2 shown]
	v_cndmask_b32_e64 v5, 0, v6, s17
	v_bfe_i32 v6, v86, 4, 1
	v_add_nc_u32_e32 v3, v3, v5
	ds_swizzle_b32 v5, v3 offset:swizzle(BROADCAST,32,15)
	s_waitcnt lgkmcnt(0)
	v_and_b32_e32 v5, v6, v5
	v_add_nc_u32_e32 v3, v3, v5
	s_and_saveexec_b32 s19, s9
; %bb.409:                              ;   in Loop: Header=BB1663_20 Depth=1
	ds_write_b32 v65, v3
; %bb.410:                              ;   in Loop: Header=BB1663_20 Depth=1
	s_or_b32 exec_lo, exec_lo, s19
	s_waitcnt lgkmcnt(0)
	s_barrier
	buffer_gl0_inv
	s_and_saveexec_b32 s19, s10
	s_cbranch_execz .LBB1663_412
; %bb.411:                              ;   in Loop: Header=BB1663_20 Depth=1
	ds_read_b32 v5, v66
	v_and_b32_e32 v6, 3, v86
	v_cmp_ne_u32_e32 vcc_lo, 0, v6
	s_waitcnt lgkmcnt(0)
	v_mov_b32_dpp v7, v5 row_shr:1 row_mask:0xf bank_mask:0xf
	v_cndmask_b32_e32 v7, 0, v7, vcc_lo
	v_cmp_lt_u32_e32 vcc_lo, 1, v6
	v_add_nc_u32_e32 v5, v7, v5
	v_mov_b32_dpp v7, v5 row_shr:2 row_mask:0xf bank_mask:0xf
	v_cndmask_b32_e32 v6, 0, v7, vcc_lo
	v_add_nc_u32_e32 v5, v5, v6
	ds_write_b32 v66, v5
.LBB1663_412:                           ;   in Loop: Header=BB1663_20 Depth=1
	s_or_b32 exec_lo, exec_lo, s19
	v_mov_b32_e32 v5, 0
	s_waitcnt lgkmcnt(0)
	s_barrier
	buffer_gl0_inv
	s_and_saveexec_b32 s19, s11
; %bb.413:                              ;   in Loop: Header=BB1663_20 Depth=1
	ds_read_b32 v5, v67
; %bb.414:                              ;   in Loop: Header=BB1663_20 Depth=1
	s_or_b32 exec_lo, exec_lo, s19
	v_sub_co_u32 v6, s19, v86, 1
	s_waitcnt lgkmcnt(0)
	v_add_nc_u32_e32 v3, v5, v3
	s_barrier
	v_cmp_gt_i32_e32 vcc_lo, 0, v6
	buffer_gl0_inv
	v_cndmask_b32_e32 v6, v6, v86, vcc_lo
	v_lshlrev_b32_e32 v92, 2, v6
	ds_bpermute_b32 v3, v92, v3
	s_and_saveexec_b32 s20, s8
	s_cbranch_execz .LBB1663_416
; %bb.415:                              ;   in Loop: Header=BB1663_20 Depth=1
	s_waitcnt lgkmcnt(0)
	v_cndmask_b32_e64 v3, v3, v5, s19
	v_add_nc_u32_e32 v3, s58, v3
	ds_write_b32 v43, v3
.LBB1663_416:                           ;   in Loop: Header=BB1663_20 Depth=1
	s_or_b32 exec_lo, exec_lo, s20
	s_load_dwordx2 s[20:21], s[56:57], 0x0
	v_and_b32_e32 v6, 7, v86
	v_lshlrev_b32_e32 v7, 3, v86
	v_or_b32_e32 v93, v86, v68
	s_mov_b32 s63, s60
	s_mov_b32 s50, s58
                                        ; implicit-def: $vgpr9_vgpr10
                                        ; implicit-def: $vgpr11_vgpr12
                                        ; implicit-def: $vgpr13_vgpr14
                                        ; implicit-def: $vgpr15_vgpr16
                                        ; implicit-def: $vgpr19_vgpr20
                                        ; implicit-def: $vgpr23_vgpr24
                                        ; implicit-def: $vgpr27_vgpr28
                                        ; implicit-def: $vgpr17_vgpr18
                                        ; implicit-def: $vgpr21_vgpr22
                                        ; implicit-def: $vgpr25_vgpr26
                                        ; implicit-def: $vgpr29_vgpr30
                                        ; implicit-def: $vgpr31_vgpr32
                                        ; implicit-def: $vgpr33_vgpr34
                                        ; implicit-def: $vgpr35_vgpr36
                                        ; implicit-def: $vgpr37_vgpr38
                                        ; implicit-def: $vgpr115
                                        ; implicit-def: $vgpr116
                                        ; implicit-def: $vgpr117
                                        ; implicit-def: $vgpr118
                                        ; implicit-def: $vgpr119
                                        ; implicit-def: $vgpr120
                                        ; implicit-def: $vgpr121
                                        ; implicit-def: $vgpr122
                                        ; implicit-def: $vgpr123
                                        ; implicit-def: $vgpr124
                                        ; implicit-def: $vgpr125
                                        ; implicit-def: $vgpr126
                                        ; implicit-def: $vgpr127
                                        ; implicit-def: $vgpr128
                                        ; implicit-def: $vgpr129
                                        ; implicit-def: $vgpr130
                                        ; implicit-def: $vgpr131
                                        ; implicit-def: $vgpr132
                                        ; implicit-def: $vgpr133
	v_add_co_u32 v94, vcc_lo, v78, v7
	v_add_co_ci_u32_e64 v95, null, 0, v79, vcc_lo
	v_add_co_u32 v112, vcc_lo, v80, v86
	v_add_nc_u32_e32 v96, 32, v93
	v_add_nc_u32_e32 v97, 64, v93
	;; [unrolled: 1-line block ×7, first 2 shown]
	s_waitcnt lgkmcnt(0)
	s_cmp_lt_u32 s7, s21
	v_add_nc_u32_e32 v103, 0x100, v93
	s_cselect_b32 s21, 14, 20
	v_add_nc_u32_e32 v104, 0x120, v93
	s_add_u32 s22, s56, s21
	s_addc_u32 s23, s57, 0
	s_cmp_lt_u32 s6, s20
	global_load_ushort v3, v4, s[22:23]
	s_cselect_b32 s20, 12, 18
	v_add_nc_u32_e32 v105, 0x140, v93
	s_add_u32 s20, s56, s20
	s_addc_u32 s21, s57, 0
	v_add_nc_u32_e32 v106, 0x160, v93
	global_load_ushort v5, v4, s[20:21]
	v_cmp_eq_u32_e64 s20, 0, v6
	v_cmp_lt_u32_e64 s21, 1, v6
	v_cmp_lt_u32_e64 s22, 3, v6
	v_add_nc_u32_e32 v107, 0x180, v93
	v_add_nc_u32_e32 v108, 0x1a0, v93
	;; [unrolled: 1-line block ×5, first 2 shown]
	v_add_co_ci_u32_e64 v113, null, 0, v81, vcc_lo
                                        ; implicit-def: $vgpr7_vgpr8
	s_waitcnt vmcnt(1)
	v_mad_u32_u24 v3, v2, v3, v1
	s_waitcnt vmcnt(0)
	v_mad_u64_u32 v[5:6], null, v3, v5, v[0:1]
	v_lshrrev_b32_e32 v3, 3, v5
                                        ; implicit-def: $vgpr5_vgpr6
	v_and_b32_e32 v114, 0x1ffffffc, v3
	s_branch .LBB1663_418
.LBB1663_417:                           ;   in Loop: Header=BB1663_418 Depth=2
	s_or_b32 exec_lo, exec_lo, s23
	s_addk_i32 s63, 0xef00
	s_cmp_lt_u32 s64, s59
	s_mov_b32 s50, s64
	s_cbranch_scc0 .LBB1663_640
.LBB1663_418:                           ;   Parent Loop BB1663_20 Depth=1
                                        ; =>  This Inner Loop Header: Depth=2
	s_add_i32 s64, s50, 0x1100
	s_cmp_gt_u32 s64, s59
	s_cbranch_scc1 .LBB1663_420
; %bb.419:                              ;   in Loop: Header=BB1663_418 Depth=2
	v_add_co_u32 v39, vcc_lo, v112, s50
	v_add_co_ci_u32_e64 v40, null, 0, v113, vcc_lo
	s_mov_b32 s23, -1
	s_clause 0xf
	global_load_ubyte v134, v[39:40], off
	global_load_ubyte v135, v[39:40], off offset:32
	global_load_ubyte v136, v[39:40], off offset:64
	;; [unrolled: 1-line block ×15, first 2 shown]
	s_movk_i32 s24, 0x1100
	s_cbranch_execz .LBB1663_421
	s_branch .LBB1663_454
.LBB1663_420:                           ;   in Loop: Header=BB1663_418 Depth=2
	s_mov_b32 s23, 0
                                        ; implicit-def: $vgpr134
                                        ; implicit-def: $vgpr135
                                        ; implicit-def: $vgpr136
                                        ; implicit-def: $vgpr137
                                        ; implicit-def: $vgpr138
                                        ; implicit-def: $vgpr139
                                        ; implicit-def: $vgpr140
                                        ; implicit-def: $vgpr141
                                        ; implicit-def: $vgpr142
                                        ; implicit-def: $vgpr143
                                        ; implicit-def: $vgpr144
                                        ; implicit-def: $vgpr145
                                        ; implicit-def: $vgpr146
                                        ; implicit-def: $vgpr147
                                        ; implicit-def: $vgpr148
                                        ; implicit-def: $vgpr149
	s_movk_i32 s24, 0x1100
.LBB1663_421:                           ;   in Loop: Header=BB1663_418 Depth=2
	v_add_co_u32 v39, vcc_lo, v112, s50
	v_add_co_ci_u32_e64 v40, null, 0, v113, vcc_lo
	s_waitcnt vmcnt(14)
	v_mov_b32_e32 v135, 1
	v_mov_b32_e32 v134, 1
	s_mov_b32 s23, exec_lo
	v_cmpx_gt_u32_e64 s63, v93
	s_cbranch_execz .LBB1663_423
; %bb.422:                              ;   in Loop: Header=BB1663_418 Depth=2
	global_load_ubyte v134, v[39:40], off
.LBB1663_423:                           ;   in Loop: Header=BB1663_418 Depth=2
	s_or_b32 exec_lo, exec_lo, s23
	s_mov_b32 s23, exec_lo
	v_cmpx_gt_u32_e64 s63, v96
	s_cbranch_execz .LBB1663_425
; %bb.424:                              ;   in Loop: Header=BB1663_418 Depth=2
	global_load_ubyte v135, v[39:40], off offset:32
.LBB1663_425:                           ;   in Loop: Header=BB1663_418 Depth=2
	s_or_b32 exec_lo, exec_lo, s23
	s_waitcnt vmcnt(12)
	v_mov_b32_e32 v137, 1
	v_mov_b32_e32 v136, 1
	s_mov_b32 s23, exec_lo
	v_cmpx_gt_u32_e64 s63, v97
	s_cbranch_execz .LBB1663_427
; %bb.426:                              ;   in Loop: Header=BB1663_418 Depth=2
	global_load_ubyte v136, v[39:40], off offset:64
.LBB1663_427:                           ;   in Loop: Header=BB1663_418 Depth=2
	s_or_b32 exec_lo, exec_lo, s23
	s_mov_b32 s23, exec_lo
	v_cmpx_gt_u32_e64 s63, v98
	s_cbranch_execz .LBB1663_429
; %bb.428:                              ;   in Loop: Header=BB1663_418 Depth=2
	global_load_ubyte v137, v[39:40], off offset:96
.LBB1663_429:                           ;   in Loop: Header=BB1663_418 Depth=2
	s_or_b32 exec_lo, exec_lo, s23
	s_waitcnt vmcnt(10)
	v_mov_b32_e32 v139, 1
	v_mov_b32_e32 v138, 1
	s_mov_b32 s23, exec_lo
	v_cmpx_gt_u32_e64 s63, v99
	s_cbranch_execz .LBB1663_431
; %bb.430:                              ;   in Loop: Header=BB1663_418 Depth=2
	global_load_ubyte v138, v[39:40], off offset:128
.LBB1663_431:                           ;   in Loop: Header=BB1663_418 Depth=2
	;; [unrolled: 17-line block ×7, first 2 shown]
	s_or_b32 exec_lo, exec_lo, s23
	s_mov_b32 s23, exec_lo
	v_cmpx_gt_u32_e64 s63, v110
	s_cbranch_execz .LBB1663_453
; %bb.452:                              ;   in Loop: Header=BB1663_418 Depth=2
	global_load_ubyte v149, v[39:40], off offset:480
.LBB1663_453:                           ;   in Loop: Header=BB1663_418 Depth=2
	s_or_b32 exec_lo, exec_lo, s23
	v_cmp_gt_u32_e64 s23, s63, v111
	s_sub_i32 s24, s59, s50
.LBB1663_454:                           ;   in Loop: Header=BB1663_418 Depth=2
	v_mov_b32_e32 v150, 1
	v_mov_b32_e32 v3, s63
	s_and_saveexec_b32 s25, s23
	s_cbranch_execz .LBB1663_456
; %bb.455:                              ;   in Loop: Header=BB1663_418 Depth=2
	v_add_co_u32 v39, vcc_lo, v112, s50
	v_add_co_ci_u32_e64 v40, null, s51, v113, vcc_lo
	v_mov_b32_e32 v3, s24
	global_load_ubyte v150, v[39:40], off offset:512
.LBB1663_456:                           ;   in Loop: Header=BB1663_418 Depth=2
	s_or_b32 exec_lo, exec_lo, s25
	s_waitcnt vmcnt(15)
	v_lshrrev_b32_sdwa v39, s61, v134 dst_sel:DWORD dst_unused:UNUSED_PAD src0_sel:DWORD src1_sel:BYTE_0
	ds_write2_b32 v69, v4, v4 offset0:136 offset1:137
	ds_write2_b32 v69, v4, v4 offset0:138 offset1:139
	ds_write_b32 v69, v4 offset:560
	s_waitcnt vmcnt(0) lgkmcnt(0)
	s_barrier
	v_and_b32_e32 v40, s62, v39
	buffer_gl0_inv
	; wave barrier
	v_add_co_u32 v39, s23, v40, -1
	v_cndmask_b32_e64 v41, 0, 1, s23
	v_mul_u32_u24_e32 v40, 36, v40
	v_cmp_ne_u32_e32 vcc_lo, 0, v41
	v_add_nc_u32_e32 v154, v114, v40
	v_xor_b32_e32 v39, vcc_lo, v39
	v_and_b32_e32 v39, exec_lo, v39
	v_mbcnt_lo_u32_b32 v151, v39, 0
	v_cmp_ne_u32_e64 s23, 0, v39
	v_cmp_eq_u32_e32 vcc_lo, 0, v151
	s_and_b32 s24, s23, vcc_lo
	s_and_saveexec_b32 s23, s24
; %bb.457:                              ;   in Loop: Header=BB1663_418 Depth=2
	v_bcnt_u32_b32 v39, v39, 0
	ds_write_b32 v154, v39 offset:544
; %bb.458:                              ;   in Loop: Header=BB1663_418 Depth=2
	s_or_b32 exec_lo, exec_lo, s23
	v_lshrrev_b32_sdwa v39, s61, v135 dst_sel:DWORD dst_unused:UNUSED_PAD src0_sel:DWORD src1_sel:BYTE_0
	; wave barrier
	v_and_b32_e32 v40, s62, v39
	v_add_co_u32 v39, s23, v40, -1
	v_cndmask_b32_e64 v41, 0, 1, s23
	v_cmp_ne_u32_e32 vcc_lo, 0, v41
	v_mad_u32_u24 v41, v40, 36, v114
	v_mul_u32_u24_e32 v40, 36, v40
	v_xor_b32_e32 v39, vcc_lo, v39
	ds_read_b32 v152, v41 offset:544
	v_add_nc_u32_e32 v157, v114, v40
	; wave barrier
	v_and_b32_e32 v39, exec_lo, v39
	v_mbcnt_lo_u32_b32 v153, v39, 0
	v_cmp_ne_u32_e64 s23, 0, v39
	v_cmp_eq_u32_e32 vcc_lo, 0, v153
	s_and_b32 s24, s23, vcc_lo
	s_and_saveexec_b32 s23, s24
	s_cbranch_execz .LBB1663_460
; %bb.459:                              ;   in Loop: Header=BB1663_418 Depth=2
	s_waitcnt lgkmcnt(0)
	v_bcnt_u32_b32 v39, v39, v152
	ds_write_b32 v157, v39 offset:544
.LBB1663_460:                           ;   in Loop: Header=BB1663_418 Depth=2
	s_or_b32 exec_lo, exec_lo, s23
	v_lshrrev_b32_sdwa v39, s61, v136 dst_sel:DWORD dst_unused:UNUSED_PAD src0_sel:DWORD src1_sel:BYTE_0
	; wave barrier
	v_and_b32_e32 v40, s62, v39
	v_add_co_u32 v39, s23, v40, -1
	v_cndmask_b32_e64 v41, 0, 1, s23
	v_cmp_ne_u32_e32 vcc_lo, 0, v41
	v_mad_u32_u24 v41, v40, 36, v114
	v_mul_u32_u24_e32 v40, 36, v40
	v_xor_b32_e32 v39, vcc_lo, v39
	ds_read_b32 v155, v41 offset:544
	v_add_nc_u32_e32 v160, v114, v40
	; wave barrier
	v_and_b32_e32 v39, exec_lo, v39
	v_mbcnt_lo_u32_b32 v156, v39, 0
	v_cmp_ne_u32_e64 s23, 0, v39
	v_cmp_eq_u32_e32 vcc_lo, 0, v156
	s_and_b32 s24, s23, vcc_lo
	s_and_saveexec_b32 s23, s24
	s_cbranch_execz .LBB1663_462
; %bb.461:                              ;   in Loop: Header=BB1663_418 Depth=2
	s_waitcnt lgkmcnt(0)
	v_bcnt_u32_b32 v39, v39, v155
	ds_write_b32 v160, v39 offset:544
.LBB1663_462:                           ;   in Loop: Header=BB1663_418 Depth=2
	;; [unrolled: 25-line block ×16, first 2 shown]
	s_or_b32 exec_lo, exec_lo, s23
	; wave barrier
	s_waitcnt lgkmcnt(0)
	s_barrier
	buffer_gl0_inv
	ds_read2_b32 v[41:42], v69 offset0:136 offset1:137
	ds_read2_b32 v[39:40], v69 offset0:138 offset1:139
	ds_read_b32 v201, v69 offset:560
	s_waitcnt lgkmcnt(1)
	v_add3_u32 v202, v42, v41, v39
	s_waitcnt lgkmcnt(0)
	v_add3_u32 v201, v202, v40, v201
	v_mov_b32_dpp v202, v201 row_shr:1 row_mask:0xf bank_mask:0xf
	v_cndmask_b32_e64 v202, v202, 0, s5
	v_add_nc_u32_e32 v201, v202, v201
	v_mov_b32_dpp v202, v201 row_shr:2 row_mask:0xf bank_mask:0xf
	v_cndmask_b32_e64 v202, 0, v202, s15
	v_add_nc_u32_e32 v201, v201, v202
	;; [unrolled: 3-line block ×4, first 2 shown]
	ds_swizzle_b32 v202, v201 offset:swizzle(BROADCAST,32,15)
	s_waitcnt lgkmcnt(0)
	v_cndmask_b32_e64 v202, v202, 0, s18
	v_add_nc_u32_e32 v201, v201, v202
	s_and_saveexec_b32 s23, s4
; %bb.491:                              ;   in Loop: Header=BB1663_418 Depth=2
	ds_write_b32 v62, v201 offset:512
; %bb.492:                              ;   in Loop: Header=BB1663_418 Depth=2
	s_or_b32 exec_lo, exec_lo, s23
	s_waitcnt lgkmcnt(0)
	s_barrier
	buffer_gl0_inv
	s_and_saveexec_b32 s23, s12
	s_cbranch_execz .LBB1663_494
; %bb.493:                              ;   in Loop: Header=BB1663_418 Depth=2
	ds_read_b32 v202, v70 offset:512
	s_waitcnt lgkmcnt(0)
	v_mov_b32_dpp v203, v202 row_shr:1 row_mask:0xf bank_mask:0xf
	v_cndmask_b32_e64 v203, v203, 0, s20
	v_add_nc_u32_e32 v202, v203, v202
	v_mov_b32_dpp v203, v202 row_shr:2 row_mask:0xf bank_mask:0xf
	v_cndmask_b32_e64 v203, 0, v203, s21
	v_add_nc_u32_e32 v202, v202, v203
	;; [unrolled: 3-line block ×3, first 2 shown]
	ds_write_b32 v70, v202 offset:512
.LBB1663_494:                           ;   in Loop: Header=BB1663_418 Depth=2
	s_or_b32 exec_lo, exec_lo, s23
	v_mov_b32_e32 v202, 0
	s_waitcnt lgkmcnt(0)
	s_barrier
	buffer_gl0_inv
	s_and_saveexec_b32 s23, s11
; %bb.495:                              ;   in Loop: Header=BB1663_418 Depth=2
	ds_read_b32 v202, v62 offset:508
; %bb.496:                              ;   in Loop: Header=BB1663_418 Depth=2
	s_or_b32 exec_lo, exec_lo, s23
	s_waitcnt lgkmcnt(0)
	v_add_nc_u32_e32 v201, v202, v201
	ds_bpermute_b32 v201, v92, v201
	s_waitcnt lgkmcnt(0)
	v_cndmask_b32_e64 v201, v201, v202, s19
	v_cndmask_b32_e64 v201, v201, 0, s13
	v_add_nc_u32_e32 v41, v201, v41
	v_add_nc_u32_e32 v42, v41, v42
	;; [unrolled: 1-line block ×4, first 2 shown]
	ds_write2_b32 v69, v201, v41 offset0:136 offset1:137
	ds_write2_b32 v69, v42, v39 offset0:138 offset1:139
	ds_write_b32 v69, v40 offset:560
	s_waitcnt lgkmcnt(0)
	s_barrier
	buffer_gl0_inv
	ds_read_b32 v39, v154 offset:544
	ds_read_b32 v40, v157 offset:544
	;; [unrolled: 1-line block ×17, first 2 shown]
	s_and_saveexec_b32 s23, s8
	s_cbranch_execz .LBB1663_500
; %bb.497:                              ;   in Loop: Header=BB1663_418 Depth=2
	v_add_nc_u32_e32 v132, v70, v72
	v_mov_b32_e32 v133, 0x1100
	ds_read_b32 v132, v132 offset:544
	s_and_saveexec_b32 s24, s14
; %bb.498:                              ;   in Loop: Header=BB1663_418 Depth=2
	ds_read_b32 v133, v71 offset:544
; %bb.499:                              ;   in Loop: Header=BB1663_418 Depth=2
	s_or_b32 exec_lo, exec_lo, s24
	s_waitcnt lgkmcnt(0)
	v_sub_nc_u32_e32 v133, v133, v132
.LBB1663_500:                           ;   in Loop: Header=BB1663_418 Depth=2
	s_or_b32 exec_lo, exec_lo, s23
	s_waitcnt lgkmcnt(0)
	s_barrier
	buffer_gl0_inv
	s_and_saveexec_b32 s23, s8
	s_cbranch_execz .LBB1663_502
; %bb.501:                              ;   in Loop: Header=BB1663_418 Depth=2
	ds_read_b32 v160, v43
	s_waitcnt lgkmcnt(0)
	v_sub_nc_u32_e32 v160, v160, v132
	ds_write_b32 v43, v160
.LBB1663_502:                           ;   in Loop: Header=BB1663_418 Depth=2
	s_or_b32 exec_lo, exec_lo, s23
	v_add_nc_u32_e32 v165, v39, v151
	v_add3_u32 v164, v153, v152, v40
	v_add3_u32 v163, v156, v155, v41
	;; [unrolled: 1-line block ×16, first 2 shown]
	v_cmp_lt_u32_e64 s39, v0, v3
	ds_write_b8 v165, v134 offset:512
	ds_write_b8 v164, v135 offset:512
	;; [unrolled: 1-line block ×17, first 2 shown]
	s_waitcnt lgkmcnt(0)
	s_barrier
	buffer_gl0_inv
	s_and_saveexec_b32 s23, s39
	s_cbranch_execnz .LBB1663_575
; %bb.503:                              ;   in Loop: Header=BB1663_418 Depth=2
	s_or_b32 exec_lo, exec_lo, s23
	v_cmp_lt_u32_e64 s38, v44, v3
	s_and_saveexec_b32 s23, s38
	s_cbranch_execnz .LBB1663_576
.LBB1663_504:                           ;   in Loop: Header=BB1663_418 Depth=2
	s_or_b32 exec_lo, exec_lo, s23
	v_cmp_lt_u32_e64 s37, v47, v3
	s_and_saveexec_b32 s23, s37
	s_cbranch_execnz .LBB1663_577
.LBB1663_505:                           ;   in Loop: Header=BB1663_418 Depth=2
	s_or_b32 exec_lo, exec_lo, s23
	v_cmp_lt_u32_e64 s36, v48, v3
	s_and_saveexec_b32 s23, s36
	s_cbranch_execnz .LBB1663_578
.LBB1663_506:                           ;   in Loop: Header=BB1663_418 Depth=2
	s_or_b32 exec_lo, exec_lo, s23
	v_cmp_lt_u32_e64 s35, v49, v3
	s_and_saveexec_b32 s23, s35
	s_cbranch_execnz .LBB1663_579
.LBB1663_507:                           ;   in Loop: Header=BB1663_418 Depth=2
	s_or_b32 exec_lo, exec_lo, s23
	v_cmp_lt_u32_e64 s34, v50, v3
	s_and_saveexec_b32 s23, s34
	s_cbranch_execnz .LBB1663_580
.LBB1663_508:                           ;   in Loop: Header=BB1663_418 Depth=2
	s_or_b32 exec_lo, exec_lo, s23
	v_cmp_lt_u32_e64 s33, v51, v3
	s_and_saveexec_b32 s23, s33
	s_cbranch_execnz .LBB1663_581
.LBB1663_509:                           ;   in Loop: Header=BB1663_418 Depth=2
	s_or_b32 exec_lo, exec_lo, s23
	v_cmp_lt_u32_e64 s31, v52, v3
	s_and_saveexec_b32 s23, s31
	s_cbranch_execnz .LBB1663_582
.LBB1663_510:                           ;   in Loop: Header=BB1663_418 Depth=2
	s_or_b32 exec_lo, exec_lo, s23
	v_cmp_lt_u32_e64 s30, v53, v3
	s_and_saveexec_b32 s23, s30
	s_cbranch_execnz .LBB1663_583
.LBB1663_511:                           ;   in Loop: Header=BB1663_418 Depth=2
	s_or_b32 exec_lo, exec_lo, s23
	v_cmp_lt_u32_e64 s29, v54, v3
	s_and_saveexec_b32 s23, s29
	s_cbranch_execnz .LBB1663_584
.LBB1663_512:                           ;   in Loop: Header=BB1663_418 Depth=2
	s_or_b32 exec_lo, exec_lo, s23
	v_cmp_lt_u32_e64 s28, v55, v3
	s_and_saveexec_b32 s23, s28
	s_cbranch_execnz .LBB1663_585
.LBB1663_513:                           ;   in Loop: Header=BB1663_418 Depth=2
	s_or_b32 exec_lo, exec_lo, s23
	v_cmp_lt_u32_e64 s27, v56, v3
	s_and_saveexec_b32 s23, s27
	s_cbranch_execnz .LBB1663_586
.LBB1663_514:                           ;   in Loop: Header=BB1663_418 Depth=2
	s_or_b32 exec_lo, exec_lo, s23
	v_cmp_lt_u32_e64 s26, v57, v3
	s_and_saveexec_b32 s23, s26
	s_cbranch_execnz .LBB1663_587
.LBB1663_515:                           ;   in Loop: Header=BB1663_418 Depth=2
	s_or_b32 exec_lo, exec_lo, s23
	v_cmp_lt_u32_e64 s25, v58, v3
	s_and_saveexec_b32 s23, s25
	s_cbranch_execnz .LBB1663_588
.LBB1663_516:                           ;   in Loop: Header=BB1663_418 Depth=2
	s_or_b32 exec_lo, exec_lo, s23
	v_cmp_lt_u32_e64 s24, v59, v3
	s_and_saveexec_b32 s23, s24
	s_cbranch_execnz .LBB1663_589
.LBB1663_517:                           ;   in Loop: Header=BB1663_418 Depth=2
	s_or_b32 exec_lo, exec_lo, s23
	v_cmp_lt_u32_e64 s23, v60, v3
	s_and_saveexec_b32 s40, s23
	s_cbranch_execnz .LBB1663_590
.LBB1663_518:                           ;   in Loop: Header=BB1663_418 Depth=2
	s_or_b32 exec_lo, exec_lo, s40
	v_cmp_lt_u32_e32 vcc_lo, v61, v3
	s_and_saveexec_b32 s40, vcc_lo
	s_cbranch_execz .LBB1663_520
.LBB1663_519:                           ;   in Loop: Header=BB1663_418 Depth=2
	ds_read_u8 v39, v0 offset:4608
	s_waitcnt lgkmcnt(0)
	v_and_b32_e32 v40, 1, v39
	v_lshrrev_b32_e32 v40, s61, v40
	v_and_b32_e32 v40, s62, v40
	v_lshlrev_b32_e32 v40, 2, v40
	ds_read_b32 v40, v40
	s_waitcnt lgkmcnt(0)
	v_add_nc_u32_e32 v40, v40, v61
	global_store_byte v40, v39, s[48:49]
.LBB1663_520:                           ;   in Loop: Header=BB1663_418 Depth=2
	s_or_b32 exec_lo, exec_lo, s40
	s_lshl_b64 s[66:67], s[50:51], 3
	v_add_co_u32 v39, s40, v94, s66
	v_add_co_ci_u32_e64 v40, null, s67, v95, s40
	v_cmp_lt_u32_e64 s40, v93, v3
	s_and_saveexec_b32 s50, s40
	s_xor_b32 s40, exec_lo, s50
	s_cbranch_execnz .LBB1663_591
; %bb.521:                              ;   in Loop: Header=BB1663_418 Depth=2
	s_or_b32 exec_lo, exec_lo, s40
	s_mov_b32 s50, exec_lo
	v_cmpx_lt_u32_e64 v96, v3
	s_cbranch_execnz .LBB1663_592
.LBB1663_522:                           ;   in Loop: Header=BB1663_418 Depth=2
	s_or_b32 exec_lo, exec_lo, s50
	s_mov_b32 s50, exec_lo
	v_cmpx_lt_u32_e64 v97, v3
	s_cbranch_execnz .LBB1663_593
.LBB1663_523:                           ;   in Loop: Header=BB1663_418 Depth=2
	s_or_b32 exec_lo, exec_lo, s50
	s_mov_b32 s50, exec_lo
	v_cmpx_lt_u32_e64 v98, v3
	s_cbranch_execnz .LBB1663_594
.LBB1663_524:                           ;   in Loop: Header=BB1663_418 Depth=2
	s_or_b32 exec_lo, exec_lo, s50
	s_mov_b32 s50, exec_lo
	v_cmpx_lt_u32_e64 v99, v3
	s_cbranch_execnz .LBB1663_595
.LBB1663_525:                           ;   in Loop: Header=BB1663_418 Depth=2
	s_or_b32 exec_lo, exec_lo, s50
	s_mov_b32 s50, exec_lo
	v_cmpx_lt_u32_e64 v100, v3
	s_cbranch_execnz .LBB1663_596
.LBB1663_526:                           ;   in Loop: Header=BB1663_418 Depth=2
	s_or_b32 exec_lo, exec_lo, s50
	s_mov_b32 s50, exec_lo
	v_cmpx_lt_u32_e64 v101, v3
	s_cbranch_execnz .LBB1663_597
.LBB1663_527:                           ;   in Loop: Header=BB1663_418 Depth=2
	s_or_b32 exec_lo, exec_lo, s50
	s_mov_b32 s50, exec_lo
	v_cmpx_lt_u32_e64 v102, v3
	s_cbranch_execnz .LBB1663_598
.LBB1663_528:                           ;   in Loop: Header=BB1663_418 Depth=2
	s_or_b32 exec_lo, exec_lo, s50
	s_mov_b32 s50, exec_lo
	v_cmpx_lt_u32_e64 v103, v3
	s_cbranch_execnz .LBB1663_599
.LBB1663_529:                           ;   in Loop: Header=BB1663_418 Depth=2
	s_or_b32 exec_lo, exec_lo, s50
	s_mov_b32 s50, exec_lo
	v_cmpx_lt_u32_e64 v104, v3
	s_cbranch_execnz .LBB1663_600
.LBB1663_530:                           ;   in Loop: Header=BB1663_418 Depth=2
	s_or_b32 exec_lo, exec_lo, s50
	s_mov_b32 s50, exec_lo
	v_cmpx_lt_u32_e64 v105, v3
	s_cbranch_execnz .LBB1663_601
.LBB1663_531:                           ;   in Loop: Header=BB1663_418 Depth=2
	s_or_b32 exec_lo, exec_lo, s50
	s_mov_b32 s50, exec_lo
	v_cmpx_lt_u32_e64 v106, v3
	s_cbranch_execnz .LBB1663_602
.LBB1663_532:                           ;   in Loop: Header=BB1663_418 Depth=2
	s_or_b32 exec_lo, exec_lo, s50
	s_mov_b32 s50, exec_lo
	v_cmpx_lt_u32_e64 v107, v3
	s_cbranch_execnz .LBB1663_603
.LBB1663_533:                           ;   in Loop: Header=BB1663_418 Depth=2
	s_or_b32 exec_lo, exec_lo, s50
	s_mov_b32 s50, exec_lo
	v_cmpx_lt_u32_e64 v108, v3
	s_cbranch_execnz .LBB1663_604
.LBB1663_534:                           ;   in Loop: Header=BB1663_418 Depth=2
	s_or_b32 exec_lo, exec_lo, s50
	s_mov_b32 s50, exec_lo
	v_cmpx_lt_u32_e64 v109, v3
	s_cbranch_execnz .LBB1663_605
.LBB1663_535:                           ;   in Loop: Header=BB1663_418 Depth=2
	s_or_b32 exec_lo, exec_lo, s50
	s_mov_b32 s50, exec_lo
	v_cmpx_lt_u32_e64 v110, v3
	s_cbranch_execnz .LBB1663_606
.LBB1663_536:                           ;   in Loop: Header=BB1663_418 Depth=2
	s_or_b32 exec_lo, exec_lo, s50
	s_mov_b32 s50, exec_lo
	v_cmpx_lt_u32_e64 v111, v3
	s_cbranch_execnz .LBB1663_607
.LBB1663_537:                           ;   in Loop: Header=BB1663_418 Depth=2
	s_or_b32 exec_lo, exec_lo, s50
	s_and_saveexec_b32 s40, s39
	s_cbranch_execnz .LBB1663_608
.LBB1663_538:                           ;   in Loop: Header=BB1663_418 Depth=2
	s_or_b32 exec_lo, exec_lo, s40
	s_and_saveexec_b32 s40, s38
	s_cbranch_execnz .LBB1663_609
.LBB1663_539:                           ;   in Loop: Header=BB1663_418 Depth=2
	s_or_b32 exec_lo, exec_lo, s40
	s_and_saveexec_b32 s40, s37
	s_cbranch_execnz .LBB1663_610
.LBB1663_540:                           ;   in Loop: Header=BB1663_418 Depth=2
	s_or_b32 exec_lo, exec_lo, s40
	s_and_saveexec_b32 s40, s36
	s_cbranch_execnz .LBB1663_611
.LBB1663_541:                           ;   in Loop: Header=BB1663_418 Depth=2
	s_or_b32 exec_lo, exec_lo, s40
	s_and_saveexec_b32 s40, s35
	s_cbranch_execnz .LBB1663_612
.LBB1663_542:                           ;   in Loop: Header=BB1663_418 Depth=2
	s_or_b32 exec_lo, exec_lo, s40
	s_and_saveexec_b32 s40, s34
	s_cbranch_execnz .LBB1663_613
.LBB1663_543:                           ;   in Loop: Header=BB1663_418 Depth=2
	s_or_b32 exec_lo, exec_lo, s40
	s_and_saveexec_b32 s40, s33
	s_cbranch_execnz .LBB1663_614
.LBB1663_544:                           ;   in Loop: Header=BB1663_418 Depth=2
	s_or_b32 exec_lo, exec_lo, s40
	s_and_saveexec_b32 s40, s31
	s_cbranch_execnz .LBB1663_615
.LBB1663_545:                           ;   in Loop: Header=BB1663_418 Depth=2
	s_or_b32 exec_lo, exec_lo, s40
	s_and_saveexec_b32 s40, s30
	s_cbranch_execnz .LBB1663_616
.LBB1663_546:                           ;   in Loop: Header=BB1663_418 Depth=2
	s_or_b32 exec_lo, exec_lo, s40
	s_and_saveexec_b32 s40, s29
	s_cbranch_execnz .LBB1663_617
.LBB1663_547:                           ;   in Loop: Header=BB1663_418 Depth=2
	s_or_b32 exec_lo, exec_lo, s40
	s_and_saveexec_b32 s40, s28
	s_cbranch_execnz .LBB1663_618
.LBB1663_548:                           ;   in Loop: Header=BB1663_418 Depth=2
	s_or_b32 exec_lo, exec_lo, s40
	s_and_saveexec_b32 s40, s27
	s_cbranch_execnz .LBB1663_619
.LBB1663_549:                           ;   in Loop: Header=BB1663_418 Depth=2
	s_or_b32 exec_lo, exec_lo, s40
	s_and_saveexec_b32 s40, s26
	s_cbranch_execnz .LBB1663_620
.LBB1663_550:                           ;   in Loop: Header=BB1663_418 Depth=2
	s_or_b32 exec_lo, exec_lo, s40
	s_and_saveexec_b32 s40, s25
	s_cbranch_execnz .LBB1663_621
.LBB1663_551:                           ;   in Loop: Header=BB1663_418 Depth=2
	s_or_b32 exec_lo, exec_lo, s40
	s_and_saveexec_b32 s40, s24
	s_cbranch_execnz .LBB1663_622
.LBB1663_552:                           ;   in Loop: Header=BB1663_418 Depth=2
	s_or_b32 exec_lo, exec_lo, s40
	s_and_saveexec_b32 s40, s23
	s_cbranch_execnz .LBB1663_623
.LBB1663_553:                           ;   in Loop: Header=BB1663_418 Depth=2
	s_or_b32 exec_lo, exec_lo, s40
	s_and_saveexec_b32 s40, vcc_lo
	s_cbranch_execz .LBB1663_555
.LBB1663_554:                           ;   in Loop: Header=BB1663_418 Depth=2
	ds_read_u8 v3, v0 offset:4608
	s_waitcnt lgkmcnt(0)
	v_lshrrev_b32_e32 v3, s61, v3
	v_and_b32_e32 v115, s62, v3
.LBB1663_555:                           ;   in Loop: Header=BB1663_418 Depth=2
	s_or_b32 exec_lo, exec_lo, s40
	v_lshlrev_b32_e32 v3, 3, v165
	v_lshlrev_b32_e32 v39, 3, v164
	s_waitcnt vmcnt(0)
	s_waitcnt_vscnt null, 0x0
	s_barrier
	buffer_gl0_inv
	ds_write_b64 v3, v[37:38] offset:512
	ds_write_b64 v39, v[35:36] offset:512
	v_lshlrev_b32_e32 v3, 3, v163
	v_lshlrev_b32_e32 v39, 3, v162
	v_lshlrev_b32_e32 v40, 3, v161
	v_lshlrev_b32_e32 v134, 3, v160
	v_lshlrev_b32_e32 v135, 3, v159
	ds_write_b64 v3, v[33:34] offset:512
	ds_write_b64 v39, v[31:32] offset:512
	ds_write_b64 v40, v[29:30] offset:512
	ds_write_b64 v134, v[25:26] offset:512
	ds_write_b64 v135, v[21:22] offset:512
	v_lshlrev_b32_e32 v3, 3, v158
	v_lshlrev_b32_e32 v39, 3, v157
	v_lshlrev_b32_e32 v40, 3, v156
	v_lshlrev_b32_e32 v134, 3, v155
	v_lshlrev_b32_e32 v135, 3, v154
	ds_write_b64 v3, v[17:18] offset:512
	ds_write_b64 v39, v[27:28] offset:512
	ds_write_b64 v40, v[23:24] offset:512
	;; [unrolled: 10-line block ×3, first 2 shown]
	ds_write_b64 v42, v[7:8] offset:512
	ds_write_b64 v41, v[5:6] offset:512
	s_waitcnt lgkmcnt(0)
	s_barrier
	buffer_gl0_inv
	s_and_saveexec_b32 s40, s39
	s_cbranch_execnz .LBB1663_624
; %bb.556:                              ;   in Loop: Header=BB1663_418 Depth=2
	s_or_b32 exec_lo, exec_lo, s40
	s_and_saveexec_b32 s39, s38
	s_cbranch_execnz .LBB1663_625
.LBB1663_557:                           ;   in Loop: Header=BB1663_418 Depth=2
	s_or_b32 exec_lo, exec_lo, s39
	s_and_saveexec_b32 s38, s37
	s_cbranch_execnz .LBB1663_626
.LBB1663_558:                           ;   in Loop: Header=BB1663_418 Depth=2
	s_or_b32 exec_lo, exec_lo, s38
	s_and_saveexec_b32 s37, s36
	s_cbranch_execnz .LBB1663_627
.LBB1663_559:                           ;   in Loop: Header=BB1663_418 Depth=2
	s_or_b32 exec_lo, exec_lo, s37
	s_and_saveexec_b32 s36, s35
	s_cbranch_execnz .LBB1663_628
.LBB1663_560:                           ;   in Loop: Header=BB1663_418 Depth=2
	s_or_b32 exec_lo, exec_lo, s36
	s_and_saveexec_b32 s35, s34
	s_cbranch_execnz .LBB1663_629
.LBB1663_561:                           ;   in Loop: Header=BB1663_418 Depth=2
	s_or_b32 exec_lo, exec_lo, s35
	s_and_saveexec_b32 s34, s33
	s_cbranch_execnz .LBB1663_630
.LBB1663_562:                           ;   in Loop: Header=BB1663_418 Depth=2
	s_or_b32 exec_lo, exec_lo, s34
	s_and_saveexec_b32 s33, s31
	s_cbranch_execnz .LBB1663_631
.LBB1663_563:                           ;   in Loop: Header=BB1663_418 Depth=2
	s_or_b32 exec_lo, exec_lo, s33
	s_and_saveexec_b32 s31, s30
	s_cbranch_execnz .LBB1663_632
.LBB1663_564:                           ;   in Loop: Header=BB1663_418 Depth=2
	s_or_b32 exec_lo, exec_lo, s31
	s_and_saveexec_b32 s30, s29
	s_cbranch_execnz .LBB1663_633
.LBB1663_565:                           ;   in Loop: Header=BB1663_418 Depth=2
	s_or_b32 exec_lo, exec_lo, s30
	s_and_saveexec_b32 s29, s28
	s_cbranch_execnz .LBB1663_634
.LBB1663_566:                           ;   in Loop: Header=BB1663_418 Depth=2
	s_or_b32 exec_lo, exec_lo, s29
	s_and_saveexec_b32 s28, s27
	s_cbranch_execnz .LBB1663_635
.LBB1663_567:                           ;   in Loop: Header=BB1663_418 Depth=2
	s_or_b32 exec_lo, exec_lo, s28
	s_and_saveexec_b32 s27, s26
	s_cbranch_execnz .LBB1663_636
.LBB1663_568:                           ;   in Loop: Header=BB1663_418 Depth=2
	s_or_b32 exec_lo, exec_lo, s27
	s_and_saveexec_b32 s26, s25
	s_cbranch_execnz .LBB1663_637
.LBB1663_569:                           ;   in Loop: Header=BB1663_418 Depth=2
	s_or_b32 exec_lo, exec_lo, s26
	s_and_saveexec_b32 s25, s24
	s_cbranch_execnz .LBB1663_638
.LBB1663_570:                           ;   in Loop: Header=BB1663_418 Depth=2
	s_or_b32 exec_lo, exec_lo, s25
	s_and_saveexec_b32 s24, s23
	s_cbranch_execnz .LBB1663_639
.LBB1663_571:                           ;   in Loop: Header=BB1663_418 Depth=2
	s_or_b32 exec_lo, exec_lo, s24
	s_and_saveexec_b32 s23, vcc_lo
	s_cbranch_execz .LBB1663_573
.LBB1663_572:                           ;   in Loop: Header=BB1663_418 Depth=2
	v_lshlrev_b32_e32 v3, 2, v115
	v_add_nc_u32_e32 v39, v0, v75
	ds_read_b32 v3, v3
	ds_read_b64 v[39:40], v39 offset:33280
	s_waitcnt lgkmcnt(1)
	v_add_nc_u32_e32 v3, v3, v61
	v_lshlrev_b64 v[41:42], 3, v[3:4]
	v_add_co_u32 v41, vcc_lo, s54, v41
	v_add_co_ci_u32_e64 v42, null, s55, v42, vcc_lo
	s_waitcnt lgkmcnt(0)
	global_store_dwordx2 v[41:42], v[39:40], off
.LBB1663_573:                           ;   in Loop: Header=BB1663_418 Depth=2
	s_or_b32 exec_lo, exec_lo, s23
	s_waitcnt_vscnt null, 0x0
	s_barrier
	buffer_gl0_inv
	s_and_saveexec_b32 s23, s8
	s_cbranch_execz .LBB1663_417
; %bb.574:                              ;   in Loop: Header=BB1663_418 Depth=2
	ds_read_b32 v3, v43
	s_waitcnt lgkmcnt(0)
	v_add3_u32 v3, v132, v133, v3
	ds_write_b32 v43, v3
	s_branch .LBB1663_417
.LBB1663_575:                           ;   in Loop: Header=BB1663_418 Depth=2
	ds_read_u8 v39, v0 offset:512
	s_waitcnt lgkmcnt(0)
	v_and_b32_e32 v40, 1, v39
	v_lshrrev_b32_e32 v40, s61, v40
	v_and_b32_e32 v40, s62, v40
	v_lshlrev_b32_e32 v40, 2, v40
	ds_read_b32 v40, v40
	s_waitcnt lgkmcnt(0)
	v_add_nc_u32_e32 v40, v40, v0
	global_store_byte v40, v39, s[48:49]
	s_or_b32 exec_lo, exec_lo, s23
	v_cmp_lt_u32_e64 s38, v44, v3
	s_and_saveexec_b32 s23, s38
	s_cbranch_execz .LBB1663_504
.LBB1663_576:                           ;   in Loop: Header=BB1663_418 Depth=2
	ds_read_u8 v39, v0 offset:768
	s_waitcnt lgkmcnt(0)
	v_and_b32_e32 v40, 1, v39
	v_lshrrev_b32_e32 v40, s61, v40
	v_and_b32_e32 v40, s62, v40
	v_lshlrev_b32_e32 v40, 2, v40
	ds_read_b32 v40, v40
	s_waitcnt lgkmcnt(0)
	v_add_nc_u32_e32 v40, v40, v44
	global_store_byte v40, v39, s[48:49]
	s_or_b32 exec_lo, exec_lo, s23
	v_cmp_lt_u32_e64 s37, v47, v3
	s_and_saveexec_b32 s23, s37
	s_cbranch_execz .LBB1663_505
.LBB1663_577:                           ;   in Loop: Header=BB1663_418 Depth=2
	ds_read_u8 v39, v0 offset:1024
	s_waitcnt lgkmcnt(0)
	v_and_b32_e32 v40, 1, v39
	v_lshrrev_b32_e32 v40, s61, v40
	v_and_b32_e32 v40, s62, v40
	v_lshlrev_b32_e32 v40, 2, v40
	ds_read_b32 v40, v40
	s_waitcnt lgkmcnt(0)
	v_add_nc_u32_e32 v40, v40, v47
	global_store_byte v40, v39, s[48:49]
	s_or_b32 exec_lo, exec_lo, s23
	v_cmp_lt_u32_e64 s36, v48, v3
	s_and_saveexec_b32 s23, s36
	s_cbranch_execz .LBB1663_506
.LBB1663_578:                           ;   in Loop: Header=BB1663_418 Depth=2
	ds_read_u8 v39, v0 offset:1280
	s_waitcnt lgkmcnt(0)
	v_and_b32_e32 v40, 1, v39
	v_lshrrev_b32_e32 v40, s61, v40
	v_and_b32_e32 v40, s62, v40
	v_lshlrev_b32_e32 v40, 2, v40
	ds_read_b32 v40, v40
	s_waitcnt lgkmcnt(0)
	v_add_nc_u32_e32 v40, v40, v48
	global_store_byte v40, v39, s[48:49]
	s_or_b32 exec_lo, exec_lo, s23
	v_cmp_lt_u32_e64 s35, v49, v3
	s_and_saveexec_b32 s23, s35
	s_cbranch_execz .LBB1663_507
.LBB1663_579:                           ;   in Loop: Header=BB1663_418 Depth=2
	ds_read_u8 v39, v0 offset:1536
	s_waitcnt lgkmcnt(0)
	v_and_b32_e32 v40, 1, v39
	v_lshrrev_b32_e32 v40, s61, v40
	v_and_b32_e32 v40, s62, v40
	v_lshlrev_b32_e32 v40, 2, v40
	ds_read_b32 v40, v40
	s_waitcnt lgkmcnt(0)
	v_add_nc_u32_e32 v40, v40, v49
	global_store_byte v40, v39, s[48:49]
	s_or_b32 exec_lo, exec_lo, s23
	v_cmp_lt_u32_e64 s34, v50, v3
	s_and_saveexec_b32 s23, s34
	s_cbranch_execz .LBB1663_508
.LBB1663_580:                           ;   in Loop: Header=BB1663_418 Depth=2
	ds_read_u8 v39, v0 offset:1792
	s_waitcnt lgkmcnt(0)
	v_and_b32_e32 v40, 1, v39
	v_lshrrev_b32_e32 v40, s61, v40
	v_and_b32_e32 v40, s62, v40
	v_lshlrev_b32_e32 v40, 2, v40
	ds_read_b32 v40, v40
	s_waitcnt lgkmcnt(0)
	v_add_nc_u32_e32 v40, v40, v50
	global_store_byte v40, v39, s[48:49]
	s_or_b32 exec_lo, exec_lo, s23
	v_cmp_lt_u32_e64 s33, v51, v3
	s_and_saveexec_b32 s23, s33
	s_cbranch_execz .LBB1663_509
.LBB1663_581:                           ;   in Loop: Header=BB1663_418 Depth=2
	ds_read_u8 v39, v0 offset:2048
	s_waitcnt lgkmcnt(0)
	v_and_b32_e32 v40, 1, v39
	v_lshrrev_b32_e32 v40, s61, v40
	v_and_b32_e32 v40, s62, v40
	v_lshlrev_b32_e32 v40, 2, v40
	ds_read_b32 v40, v40
	s_waitcnt lgkmcnt(0)
	v_add_nc_u32_e32 v40, v40, v51
	global_store_byte v40, v39, s[48:49]
	s_or_b32 exec_lo, exec_lo, s23
	v_cmp_lt_u32_e64 s31, v52, v3
	s_and_saveexec_b32 s23, s31
	s_cbranch_execz .LBB1663_510
.LBB1663_582:                           ;   in Loop: Header=BB1663_418 Depth=2
	ds_read_u8 v39, v0 offset:2304
	s_waitcnt lgkmcnt(0)
	v_and_b32_e32 v40, 1, v39
	v_lshrrev_b32_e32 v40, s61, v40
	v_and_b32_e32 v40, s62, v40
	v_lshlrev_b32_e32 v40, 2, v40
	ds_read_b32 v40, v40
	s_waitcnt lgkmcnt(0)
	v_add_nc_u32_e32 v40, v40, v52
	global_store_byte v40, v39, s[48:49]
	s_or_b32 exec_lo, exec_lo, s23
	v_cmp_lt_u32_e64 s30, v53, v3
	s_and_saveexec_b32 s23, s30
	s_cbranch_execz .LBB1663_511
.LBB1663_583:                           ;   in Loop: Header=BB1663_418 Depth=2
	ds_read_u8 v39, v0 offset:2560
	s_waitcnt lgkmcnt(0)
	v_and_b32_e32 v40, 1, v39
	v_lshrrev_b32_e32 v40, s61, v40
	v_and_b32_e32 v40, s62, v40
	v_lshlrev_b32_e32 v40, 2, v40
	ds_read_b32 v40, v40
	s_waitcnt lgkmcnt(0)
	v_add_nc_u32_e32 v40, v40, v53
	global_store_byte v40, v39, s[48:49]
	s_or_b32 exec_lo, exec_lo, s23
	v_cmp_lt_u32_e64 s29, v54, v3
	s_and_saveexec_b32 s23, s29
	s_cbranch_execz .LBB1663_512
.LBB1663_584:                           ;   in Loop: Header=BB1663_418 Depth=2
	ds_read_u8 v39, v0 offset:2816
	s_waitcnt lgkmcnt(0)
	v_and_b32_e32 v40, 1, v39
	v_lshrrev_b32_e32 v40, s61, v40
	v_and_b32_e32 v40, s62, v40
	v_lshlrev_b32_e32 v40, 2, v40
	ds_read_b32 v40, v40
	s_waitcnt lgkmcnt(0)
	v_add_nc_u32_e32 v40, v40, v54
	global_store_byte v40, v39, s[48:49]
	s_or_b32 exec_lo, exec_lo, s23
	v_cmp_lt_u32_e64 s28, v55, v3
	s_and_saveexec_b32 s23, s28
	s_cbranch_execz .LBB1663_513
.LBB1663_585:                           ;   in Loop: Header=BB1663_418 Depth=2
	ds_read_u8 v39, v0 offset:3072
	s_waitcnt lgkmcnt(0)
	v_and_b32_e32 v40, 1, v39
	v_lshrrev_b32_e32 v40, s61, v40
	v_and_b32_e32 v40, s62, v40
	v_lshlrev_b32_e32 v40, 2, v40
	ds_read_b32 v40, v40
	s_waitcnt lgkmcnt(0)
	v_add_nc_u32_e32 v40, v40, v55
	global_store_byte v40, v39, s[48:49]
	s_or_b32 exec_lo, exec_lo, s23
	v_cmp_lt_u32_e64 s27, v56, v3
	s_and_saveexec_b32 s23, s27
	s_cbranch_execz .LBB1663_514
.LBB1663_586:                           ;   in Loop: Header=BB1663_418 Depth=2
	ds_read_u8 v39, v0 offset:3328
	s_waitcnt lgkmcnt(0)
	v_and_b32_e32 v40, 1, v39
	v_lshrrev_b32_e32 v40, s61, v40
	v_and_b32_e32 v40, s62, v40
	v_lshlrev_b32_e32 v40, 2, v40
	ds_read_b32 v40, v40
	s_waitcnt lgkmcnt(0)
	v_add_nc_u32_e32 v40, v40, v56
	global_store_byte v40, v39, s[48:49]
	s_or_b32 exec_lo, exec_lo, s23
	v_cmp_lt_u32_e64 s26, v57, v3
	s_and_saveexec_b32 s23, s26
	s_cbranch_execz .LBB1663_515
.LBB1663_587:                           ;   in Loop: Header=BB1663_418 Depth=2
	ds_read_u8 v39, v0 offset:3584
	s_waitcnt lgkmcnt(0)
	v_and_b32_e32 v40, 1, v39
	v_lshrrev_b32_e32 v40, s61, v40
	v_and_b32_e32 v40, s62, v40
	v_lshlrev_b32_e32 v40, 2, v40
	ds_read_b32 v40, v40
	s_waitcnt lgkmcnt(0)
	v_add_nc_u32_e32 v40, v40, v57
	global_store_byte v40, v39, s[48:49]
	s_or_b32 exec_lo, exec_lo, s23
	v_cmp_lt_u32_e64 s25, v58, v3
	s_and_saveexec_b32 s23, s25
	s_cbranch_execz .LBB1663_516
.LBB1663_588:                           ;   in Loop: Header=BB1663_418 Depth=2
	ds_read_u8 v39, v0 offset:3840
	s_waitcnt lgkmcnt(0)
	v_and_b32_e32 v40, 1, v39
	v_lshrrev_b32_e32 v40, s61, v40
	v_and_b32_e32 v40, s62, v40
	v_lshlrev_b32_e32 v40, 2, v40
	ds_read_b32 v40, v40
	s_waitcnt lgkmcnt(0)
	v_add_nc_u32_e32 v40, v40, v58
	global_store_byte v40, v39, s[48:49]
	s_or_b32 exec_lo, exec_lo, s23
	v_cmp_lt_u32_e64 s24, v59, v3
	s_and_saveexec_b32 s23, s24
	s_cbranch_execz .LBB1663_517
.LBB1663_589:                           ;   in Loop: Header=BB1663_418 Depth=2
	ds_read_u8 v39, v0 offset:4096
	s_waitcnt lgkmcnt(0)
	v_and_b32_e32 v40, 1, v39
	v_lshrrev_b32_e32 v40, s61, v40
	v_and_b32_e32 v40, s62, v40
	v_lshlrev_b32_e32 v40, 2, v40
	ds_read_b32 v40, v40
	s_waitcnt lgkmcnt(0)
	v_add_nc_u32_e32 v40, v40, v59
	global_store_byte v40, v39, s[48:49]
	s_or_b32 exec_lo, exec_lo, s23
	v_cmp_lt_u32_e64 s23, v60, v3
	s_and_saveexec_b32 s40, s23
	s_cbranch_execz .LBB1663_518
.LBB1663_590:                           ;   in Loop: Header=BB1663_418 Depth=2
	ds_read_u8 v39, v0 offset:4352
	s_waitcnt lgkmcnt(0)
	v_and_b32_e32 v40, 1, v39
	v_lshrrev_b32_e32 v40, s61, v40
	v_and_b32_e32 v40, s62, v40
	v_lshlrev_b32_e32 v40, 2, v40
	ds_read_b32 v40, v40
	s_waitcnt lgkmcnt(0)
	v_add_nc_u32_e32 v40, v40, v60
	global_store_byte v40, v39, s[48:49]
	s_or_b32 exec_lo, exec_lo, s40
	v_cmp_lt_u32_e32 vcc_lo, v61, v3
	s_and_saveexec_b32 s40, vcc_lo
	s_cbranch_execnz .LBB1663_519
	s_branch .LBB1663_520
.LBB1663_591:                           ;   in Loop: Header=BB1663_418 Depth=2
	global_load_dwordx2 v[37:38], v[39:40], off
	s_or_b32 exec_lo, exec_lo, s40
	s_mov_b32 s50, exec_lo
	v_cmpx_lt_u32_e64 v96, v3
	s_cbranch_execz .LBB1663_522
.LBB1663_592:                           ;   in Loop: Header=BB1663_418 Depth=2
	global_load_dwordx2 v[35:36], v[39:40], off offset:256
	s_or_b32 exec_lo, exec_lo, s50
	s_mov_b32 s50, exec_lo
	v_cmpx_lt_u32_e64 v97, v3
	s_cbranch_execz .LBB1663_523
.LBB1663_593:                           ;   in Loop: Header=BB1663_418 Depth=2
	global_load_dwordx2 v[33:34], v[39:40], off offset:512
	s_or_b32 exec_lo, exec_lo, s50
	s_mov_b32 s50, exec_lo
	v_cmpx_lt_u32_e64 v98, v3
	s_cbranch_execz .LBB1663_524
.LBB1663_594:                           ;   in Loop: Header=BB1663_418 Depth=2
	global_load_dwordx2 v[31:32], v[39:40], off offset:768
	s_or_b32 exec_lo, exec_lo, s50
	s_mov_b32 s50, exec_lo
	v_cmpx_lt_u32_e64 v99, v3
	s_cbranch_execz .LBB1663_525
.LBB1663_595:                           ;   in Loop: Header=BB1663_418 Depth=2
	global_load_dwordx2 v[29:30], v[39:40], off offset:1024
	s_or_b32 exec_lo, exec_lo, s50
	s_mov_b32 s50, exec_lo
	v_cmpx_lt_u32_e64 v100, v3
	s_cbranch_execz .LBB1663_526
.LBB1663_596:                           ;   in Loop: Header=BB1663_418 Depth=2
	global_load_dwordx2 v[25:26], v[39:40], off offset:1280
	s_or_b32 exec_lo, exec_lo, s50
	s_mov_b32 s50, exec_lo
	v_cmpx_lt_u32_e64 v101, v3
	s_cbranch_execz .LBB1663_527
.LBB1663_597:                           ;   in Loop: Header=BB1663_418 Depth=2
	global_load_dwordx2 v[21:22], v[39:40], off offset:1536
	s_or_b32 exec_lo, exec_lo, s50
	s_mov_b32 s50, exec_lo
	v_cmpx_lt_u32_e64 v102, v3
	s_cbranch_execz .LBB1663_528
.LBB1663_598:                           ;   in Loop: Header=BB1663_418 Depth=2
	global_load_dwordx2 v[17:18], v[39:40], off offset:1792
	s_or_b32 exec_lo, exec_lo, s50
	s_mov_b32 s50, exec_lo
	v_cmpx_lt_u32_e64 v103, v3
	s_cbranch_execz .LBB1663_529
.LBB1663_599:                           ;   in Loop: Header=BB1663_418 Depth=2
	v_add_co_u32 v27, s40, 0x800, v39
	v_add_co_ci_u32_e64 v28, null, 0, v40, s40
	global_load_dwordx2 v[27:28], v[27:28], off
	s_or_b32 exec_lo, exec_lo, s50
	s_mov_b32 s50, exec_lo
	v_cmpx_lt_u32_e64 v104, v3
	s_cbranch_execz .LBB1663_530
.LBB1663_600:                           ;   in Loop: Header=BB1663_418 Depth=2
	v_add_co_u32 v23, s40, 0x800, v39
	v_add_co_ci_u32_e64 v24, null, 0, v40, s40
	global_load_dwordx2 v[23:24], v[23:24], off offset:256
	s_or_b32 exec_lo, exec_lo, s50
	s_mov_b32 s50, exec_lo
	v_cmpx_lt_u32_e64 v105, v3
	s_cbranch_execz .LBB1663_531
.LBB1663_601:                           ;   in Loop: Header=BB1663_418 Depth=2
	v_add_co_u32 v19, s40, 0x800, v39
	v_add_co_ci_u32_e64 v20, null, 0, v40, s40
	global_load_dwordx2 v[19:20], v[19:20], off offset:512
	s_or_b32 exec_lo, exec_lo, s50
	s_mov_b32 s50, exec_lo
	v_cmpx_lt_u32_e64 v106, v3
	s_cbranch_execz .LBB1663_532
.LBB1663_602:                           ;   in Loop: Header=BB1663_418 Depth=2
	v_add_co_u32 v15, s40, 0x800, v39
	v_add_co_ci_u32_e64 v16, null, 0, v40, s40
	global_load_dwordx2 v[15:16], v[15:16], off offset:768
	s_or_b32 exec_lo, exec_lo, s50
	s_mov_b32 s50, exec_lo
	v_cmpx_lt_u32_e64 v107, v3
	s_cbranch_execz .LBB1663_533
.LBB1663_603:                           ;   in Loop: Header=BB1663_418 Depth=2
	v_add_co_u32 v13, s40, 0x800, v39
	v_add_co_ci_u32_e64 v14, null, 0, v40, s40
	global_load_dwordx2 v[13:14], v[13:14], off offset:1024
	s_or_b32 exec_lo, exec_lo, s50
	s_mov_b32 s50, exec_lo
	v_cmpx_lt_u32_e64 v108, v3
	s_cbranch_execz .LBB1663_534
.LBB1663_604:                           ;   in Loop: Header=BB1663_418 Depth=2
	v_add_co_u32 v11, s40, 0x800, v39
	v_add_co_ci_u32_e64 v12, null, 0, v40, s40
	global_load_dwordx2 v[11:12], v[11:12], off offset:1280
	s_or_b32 exec_lo, exec_lo, s50
	s_mov_b32 s50, exec_lo
	v_cmpx_lt_u32_e64 v109, v3
	s_cbranch_execz .LBB1663_535
.LBB1663_605:                           ;   in Loop: Header=BB1663_418 Depth=2
	v_add_co_u32 v9, s40, 0x800, v39
	v_add_co_ci_u32_e64 v10, null, 0, v40, s40
	global_load_dwordx2 v[9:10], v[9:10], off offset:1536
	s_or_b32 exec_lo, exec_lo, s50
	s_mov_b32 s50, exec_lo
	v_cmpx_lt_u32_e64 v110, v3
	s_cbranch_execz .LBB1663_536
.LBB1663_606:                           ;   in Loop: Header=BB1663_418 Depth=2
	v_add_co_u32 v7, s40, 0x800, v39
	v_add_co_ci_u32_e64 v8, null, 0, v40, s40
	global_load_dwordx2 v[7:8], v[7:8], off offset:1792
	s_or_b32 exec_lo, exec_lo, s50
	s_mov_b32 s50, exec_lo
	v_cmpx_lt_u32_e64 v111, v3
	s_cbranch_execz .LBB1663_537
.LBB1663_607:                           ;   in Loop: Header=BB1663_418 Depth=2
	v_add_co_u32 v5, s40, 0x1000, v39
	v_add_co_ci_u32_e64 v6, null, 0, v40, s40
	global_load_dwordx2 v[5:6], v[5:6], off
	s_or_b32 exec_lo, exec_lo, s50
	s_and_saveexec_b32 s40, s39
	s_cbranch_execz .LBB1663_538
.LBB1663_608:                           ;   in Loop: Header=BB1663_418 Depth=2
	ds_read_u8 v3, v0 offset:512
	s_waitcnt lgkmcnt(0)
	v_lshrrev_b32_e32 v3, s61, v3
	v_and_b32_e32 v131, s62, v3
	s_or_b32 exec_lo, exec_lo, s40
	s_and_saveexec_b32 s40, s38
	s_cbranch_execz .LBB1663_539
.LBB1663_609:                           ;   in Loop: Header=BB1663_418 Depth=2
	ds_read_u8 v3, v0 offset:768
	s_waitcnt lgkmcnt(0)
	v_lshrrev_b32_e32 v3, s61, v3
	v_and_b32_e32 v130, s62, v3
	s_or_b32 exec_lo, exec_lo, s40
	s_and_saveexec_b32 s40, s37
	s_cbranch_execz .LBB1663_540
.LBB1663_610:                           ;   in Loop: Header=BB1663_418 Depth=2
	ds_read_u8 v3, v0 offset:1024
	s_waitcnt lgkmcnt(0)
	v_lshrrev_b32_e32 v3, s61, v3
	v_and_b32_e32 v129, s62, v3
	s_or_b32 exec_lo, exec_lo, s40
	s_and_saveexec_b32 s40, s36
	s_cbranch_execz .LBB1663_541
.LBB1663_611:                           ;   in Loop: Header=BB1663_418 Depth=2
	ds_read_u8 v3, v0 offset:1280
	s_waitcnt lgkmcnt(0)
	v_lshrrev_b32_e32 v3, s61, v3
	v_and_b32_e32 v128, s62, v3
	s_or_b32 exec_lo, exec_lo, s40
	s_and_saveexec_b32 s40, s35
	s_cbranch_execz .LBB1663_542
.LBB1663_612:                           ;   in Loop: Header=BB1663_418 Depth=2
	ds_read_u8 v3, v0 offset:1536
	s_waitcnt lgkmcnt(0)
	v_lshrrev_b32_e32 v3, s61, v3
	v_and_b32_e32 v127, s62, v3
	s_or_b32 exec_lo, exec_lo, s40
	s_and_saveexec_b32 s40, s34
	s_cbranch_execz .LBB1663_543
.LBB1663_613:                           ;   in Loop: Header=BB1663_418 Depth=2
	ds_read_u8 v3, v0 offset:1792
	s_waitcnt lgkmcnt(0)
	v_lshrrev_b32_e32 v3, s61, v3
	v_and_b32_e32 v126, s62, v3
	s_or_b32 exec_lo, exec_lo, s40
	s_and_saveexec_b32 s40, s33
	s_cbranch_execz .LBB1663_544
.LBB1663_614:                           ;   in Loop: Header=BB1663_418 Depth=2
	ds_read_u8 v3, v0 offset:2048
	s_waitcnt lgkmcnt(0)
	v_lshrrev_b32_e32 v3, s61, v3
	v_and_b32_e32 v125, s62, v3
	s_or_b32 exec_lo, exec_lo, s40
	s_and_saveexec_b32 s40, s31
	s_cbranch_execz .LBB1663_545
.LBB1663_615:                           ;   in Loop: Header=BB1663_418 Depth=2
	ds_read_u8 v3, v0 offset:2304
	s_waitcnt lgkmcnt(0)
	v_lshrrev_b32_e32 v3, s61, v3
	v_and_b32_e32 v124, s62, v3
	s_or_b32 exec_lo, exec_lo, s40
	s_and_saveexec_b32 s40, s30
	s_cbranch_execz .LBB1663_546
.LBB1663_616:                           ;   in Loop: Header=BB1663_418 Depth=2
	ds_read_u8 v3, v0 offset:2560
	s_waitcnt lgkmcnt(0)
	v_lshrrev_b32_e32 v3, s61, v3
	v_and_b32_e32 v123, s62, v3
	s_or_b32 exec_lo, exec_lo, s40
	s_and_saveexec_b32 s40, s29
	s_cbranch_execz .LBB1663_547
.LBB1663_617:                           ;   in Loop: Header=BB1663_418 Depth=2
	ds_read_u8 v3, v0 offset:2816
	s_waitcnt lgkmcnt(0)
	v_lshrrev_b32_e32 v3, s61, v3
	v_and_b32_e32 v122, s62, v3
	s_or_b32 exec_lo, exec_lo, s40
	s_and_saveexec_b32 s40, s28
	s_cbranch_execz .LBB1663_548
.LBB1663_618:                           ;   in Loop: Header=BB1663_418 Depth=2
	ds_read_u8 v3, v0 offset:3072
	s_waitcnt lgkmcnt(0)
	v_lshrrev_b32_e32 v3, s61, v3
	v_and_b32_e32 v121, s62, v3
	s_or_b32 exec_lo, exec_lo, s40
	s_and_saveexec_b32 s40, s27
	s_cbranch_execz .LBB1663_549
.LBB1663_619:                           ;   in Loop: Header=BB1663_418 Depth=2
	ds_read_u8 v3, v0 offset:3328
	s_waitcnt lgkmcnt(0)
	v_lshrrev_b32_e32 v3, s61, v3
	v_and_b32_e32 v120, s62, v3
	s_or_b32 exec_lo, exec_lo, s40
	s_and_saveexec_b32 s40, s26
	s_cbranch_execz .LBB1663_550
.LBB1663_620:                           ;   in Loop: Header=BB1663_418 Depth=2
	ds_read_u8 v3, v0 offset:3584
	s_waitcnt lgkmcnt(0)
	v_lshrrev_b32_e32 v3, s61, v3
	v_and_b32_e32 v119, s62, v3
	s_or_b32 exec_lo, exec_lo, s40
	s_and_saveexec_b32 s40, s25
	s_cbranch_execz .LBB1663_551
.LBB1663_621:                           ;   in Loop: Header=BB1663_418 Depth=2
	ds_read_u8 v3, v0 offset:3840
	s_waitcnt lgkmcnt(0)
	v_lshrrev_b32_e32 v3, s61, v3
	v_and_b32_e32 v118, s62, v3
	s_or_b32 exec_lo, exec_lo, s40
	s_and_saveexec_b32 s40, s24
	s_cbranch_execz .LBB1663_552
.LBB1663_622:                           ;   in Loop: Header=BB1663_418 Depth=2
	ds_read_u8 v3, v0 offset:4096
	s_waitcnt lgkmcnt(0)
	v_lshrrev_b32_e32 v3, s61, v3
	v_and_b32_e32 v117, s62, v3
	s_or_b32 exec_lo, exec_lo, s40
	s_and_saveexec_b32 s40, s23
	s_cbranch_execz .LBB1663_553
.LBB1663_623:                           ;   in Loop: Header=BB1663_418 Depth=2
	ds_read_u8 v3, v0 offset:4352
	s_waitcnt lgkmcnt(0)
	v_lshrrev_b32_e32 v3, s61, v3
	v_and_b32_e32 v116, s62, v3
	s_or_b32 exec_lo, exec_lo, s40
	s_and_saveexec_b32 s40, vcc_lo
	s_cbranch_execnz .LBB1663_554
	s_branch .LBB1663_555
.LBB1663_624:                           ;   in Loop: Header=BB1663_418 Depth=2
	v_lshlrev_b32_e32 v3, 2, v131
	v_add_nc_u32_e32 v39, v0, v75
	ds_read_b32 v3, v3
	ds_read_b64 v[39:40], v39 offset:512
	s_waitcnt lgkmcnt(1)
	v_add_nc_u32_e32 v3, v3, v0
	v_lshlrev_b64 v[41:42], 3, v[3:4]
	v_add_co_u32 v41, s39, s54, v41
	v_add_co_ci_u32_e64 v42, null, s55, v42, s39
	s_waitcnt lgkmcnt(0)
	global_store_dwordx2 v[41:42], v[39:40], off
	s_or_b32 exec_lo, exec_lo, s40
	s_and_saveexec_b32 s39, s38
	s_cbranch_execz .LBB1663_557
.LBB1663_625:                           ;   in Loop: Header=BB1663_418 Depth=2
	v_lshlrev_b32_e32 v3, 2, v130
	v_add_nc_u32_e32 v39, v0, v75
	ds_read_b32 v3, v3
	ds_read_b64 v[39:40], v39 offset:2560
	s_waitcnt lgkmcnt(1)
	v_add_nc_u32_e32 v3, v3, v44
	v_lshlrev_b64 v[41:42], 3, v[3:4]
	v_add_co_u32 v41, s38, s54, v41
	v_add_co_ci_u32_e64 v42, null, s55, v42, s38
	s_waitcnt lgkmcnt(0)
	global_store_dwordx2 v[41:42], v[39:40], off
	s_or_b32 exec_lo, exec_lo, s39
	s_and_saveexec_b32 s38, s37
	s_cbranch_execz .LBB1663_558
.LBB1663_626:                           ;   in Loop: Header=BB1663_418 Depth=2
	v_lshlrev_b32_e32 v3, 2, v129
	v_add_nc_u32_e32 v39, v0, v75
	ds_read_b32 v3, v3
	ds_read_b64 v[39:40], v39 offset:4608
	s_waitcnt lgkmcnt(1)
	v_add_nc_u32_e32 v3, v3, v47
	v_lshlrev_b64 v[41:42], 3, v[3:4]
	v_add_co_u32 v41, s37, s54, v41
	v_add_co_ci_u32_e64 v42, null, s55, v42, s37
	s_waitcnt lgkmcnt(0)
	global_store_dwordx2 v[41:42], v[39:40], off
	s_or_b32 exec_lo, exec_lo, s38
	s_and_saveexec_b32 s37, s36
	s_cbranch_execz .LBB1663_559
.LBB1663_627:                           ;   in Loop: Header=BB1663_418 Depth=2
	v_lshlrev_b32_e32 v3, 2, v128
	v_add_nc_u32_e32 v39, v0, v75
	ds_read_b32 v3, v3
	ds_read_b64 v[39:40], v39 offset:6656
	s_waitcnt lgkmcnt(1)
	v_add_nc_u32_e32 v3, v3, v48
	v_lshlrev_b64 v[41:42], 3, v[3:4]
	v_add_co_u32 v41, s36, s54, v41
	v_add_co_ci_u32_e64 v42, null, s55, v42, s36
	s_waitcnt lgkmcnt(0)
	global_store_dwordx2 v[41:42], v[39:40], off
	s_or_b32 exec_lo, exec_lo, s37
	s_and_saveexec_b32 s36, s35
	s_cbranch_execz .LBB1663_560
.LBB1663_628:                           ;   in Loop: Header=BB1663_418 Depth=2
	v_lshlrev_b32_e32 v3, 2, v127
	v_add_nc_u32_e32 v39, v0, v75
	ds_read_b32 v3, v3
	ds_read_b64 v[39:40], v39 offset:8704
	s_waitcnt lgkmcnt(1)
	v_add_nc_u32_e32 v3, v3, v49
	v_lshlrev_b64 v[41:42], 3, v[3:4]
	v_add_co_u32 v41, s35, s54, v41
	v_add_co_ci_u32_e64 v42, null, s55, v42, s35
	s_waitcnt lgkmcnt(0)
	global_store_dwordx2 v[41:42], v[39:40], off
	s_or_b32 exec_lo, exec_lo, s36
	s_and_saveexec_b32 s35, s34
	s_cbranch_execz .LBB1663_561
.LBB1663_629:                           ;   in Loop: Header=BB1663_418 Depth=2
	v_lshlrev_b32_e32 v3, 2, v126
	v_add_nc_u32_e32 v39, v0, v75
	ds_read_b32 v3, v3
	ds_read_b64 v[39:40], v39 offset:10752
	s_waitcnt lgkmcnt(1)
	v_add_nc_u32_e32 v3, v3, v50
	v_lshlrev_b64 v[41:42], 3, v[3:4]
	v_add_co_u32 v41, s34, s54, v41
	v_add_co_ci_u32_e64 v42, null, s55, v42, s34
	s_waitcnt lgkmcnt(0)
	global_store_dwordx2 v[41:42], v[39:40], off
	s_or_b32 exec_lo, exec_lo, s35
	s_and_saveexec_b32 s34, s33
	s_cbranch_execz .LBB1663_562
.LBB1663_630:                           ;   in Loop: Header=BB1663_418 Depth=2
	v_lshlrev_b32_e32 v3, 2, v125
	v_add_nc_u32_e32 v39, v0, v75
	ds_read_b32 v3, v3
	ds_read_b64 v[39:40], v39 offset:12800
	s_waitcnt lgkmcnt(1)
	v_add_nc_u32_e32 v3, v3, v51
	v_lshlrev_b64 v[41:42], 3, v[3:4]
	v_add_co_u32 v41, s33, s54, v41
	v_add_co_ci_u32_e64 v42, null, s55, v42, s33
	s_waitcnt lgkmcnt(0)
	global_store_dwordx2 v[41:42], v[39:40], off
	s_or_b32 exec_lo, exec_lo, s34
	s_and_saveexec_b32 s33, s31
	s_cbranch_execz .LBB1663_563
.LBB1663_631:                           ;   in Loop: Header=BB1663_418 Depth=2
	v_lshlrev_b32_e32 v3, 2, v124
	v_add_nc_u32_e32 v39, v0, v75
	ds_read_b32 v3, v3
	ds_read_b64 v[39:40], v39 offset:14848
	s_waitcnt lgkmcnt(1)
	v_add_nc_u32_e32 v3, v3, v52
	v_lshlrev_b64 v[41:42], 3, v[3:4]
	v_add_co_u32 v41, s31, s54, v41
	v_add_co_ci_u32_e64 v42, null, s55, v42, s31
	s_waitcnt lgkmcnt(0)
	global_store_dwordx2 v[41:42], v[39:40], off
	s_or_b32 exec_lo, exec_lo, s33
	s_and_saveexec_b32 s31, s30
	s_cbranch_execz .LBB1663_564
.LBB1663_632:                           ;   in Loop: Header=BB1663_418 Depth=2
	v_lshlrev_b32_e32 v3, 2, v123
	v_add_nc_u32_e32 v39, v0, v75
	ds_read_b32 v3, v3
	ds_read_b64 v[39:40], v39 offset:16896
	s_waitcnt lgkmcnt(1)
	v_add_nc_u32_e32 v3, v3, v53
	v_lshlrev_b64 v[41:42], 3, v[3:4]
	v_add_co_u32 v41, s30, s54, v41
	v_add_co_ci_u32_e64 v42, null, s55, v42, s30
	s_waitcnt lgkmcnt(0)
	global_store_dwordx2 v[41:42], v[39:40], off
	s_or_b32 exec_lo, exec_lo, s31
	s_and_saveexec_b32 s30, s29
	s_cbranch_execz .LBB1663_565
.LBB1663_633:                           ;   in Loop: Header=BB1663_418 Depth=2
	v_lshlrev_b32_e32 v3, 2, v122
	v_add_nc_u32_e32 v39, v0, v75
	ds_read_b32 v3, v3
	ds_read_b64 v[39:40], v39 offset:18944
	s_waitcnt lgkmcnt(1)
	v_add_nc_u32_e32 v3, v3, v54
	v_lshlrev_b64 v[41:42], 3, v[3:4]
	v_add_co_u32 v41, s29, s54, v41
	v_add_co_ci_u32_e64 v42, null, s55, v42, s29
	s_waitcnt lgkmcnt(0)
	global_store_dwordx2 v[41:42], v[39:40], off
	s_or_b32 exec_lo, exec_lo, s30
	s_and_saveexec_b32 s29, s28
	s_cbranch_execz .LBB1663_566
.LBB1663_634:                           ;   in Loop: Header=BB1663_418 Depth=2
	v_lshlrev_b32_e32 v3, 2, v121
	v_add_nc_u32_e32 v39, v0, v75
	ds_read_b32 v3, v3
	ds_read_b64 v[39:40], v39 offset:20992
	s_waitcnt lgkmcnt(1)
	v_add_nc_u32_e32 v3, v3, v55
	v_lshlrev_b64 v[41:42], 3, v[3:4]
	v_add_co_u32 v41, s28, s54, v41
	v_add_co_ci_u32_e64 v42, null, s55, v42, s28
	s_waitcnt lgkmcnt(0)
	global_store_dwordx2 v[41:42], v[39:40], off
	s_or_b32 exec_lo, exec_lo, s29
	s_and_saveexec_b32 s28, s27
	s_cbranch_execz .LBB1663_567
.LBB1663_635:                           ;   in Loop: Header=BB1663_418 Depth=2
	v_lshlrev_b32_e32 v3, 2, v120
	v_add_nc_u32_e32 v39, v0, v75
	ds_read_b32 v3, v3
	ds_read_b64 v[39:40], v39 offset:23040
	s_waitcnt lgkmcnt(1)
	v_add_nc_u32_e32 v3, v3, v56
	v_lshlrev_b64 v[41:42], 3, v[3:4]
	v_add_co_u32 v41, s27, s54, v41
	v_add_co_ci_u32_e64 v42, null, s55, v42, s27
	s_waitcnt lgkmcnt(0)
	global_store_dwordx2 v[41:42], v[39:40], off
	s_or_b32 exec_lo, exec_lo, s28
	s_and_saveexec_b32 s27, s26
	s_cbranch_execz .LBB1663_568
.LBB1663_636:                           ;   in Loop: Header=BB1663_418 Depth=2
	v_lshlrev_b32_e32 v3, 2, v119
	v_add_nc_u32_e32 v39, v0, v75
	ds_read_b32 v3, v3
	ds_read_b64 v[39:40], v39 offset:25088
	s_waitcnt lgkmcnt(1)
	v_add_nc_u32_e32 v3, v3, v57
	v_lshlrev_b64 v[41:42], 3, v[3:4]
	v_add_co_u32 v41, s26, s54, v41
	v_add_co_ci_u32_e64 v42, null, s55, v42, s26
	s_waitcnt lgkmcnt(0)
	global_store_dwordx2 v[41:42], v[39:40], off
	s_or_b32 exec_lo, exec_lo, s27
	s_and_saveexec_b32 s26, s25
	s_cbranch_execz .LBB1663_569
.LBB1663_637:                           ;   in Loop: Header=BB1663_418 Depth=2
	v_lshlrev_b32_e32 v3, 2, v118
	v_add_nc_u32_e32 v39, v0, v75
	ds_read_b32 v3, v3
	ds_read_b64 v[39:40], v39 offset:27136
	s_waitcnt lgkmcnt(1)
	v_add_nc_u32_e32 v3, v3, v58
	v_lshlrev_b64 v[41:42], 3, v[3:4]
	v_add_co_u32 v41, s25, s54, v41
	v_add_co_ci_u32_e64 v42, null, s55, v42, s25
	s_waitcnt lgkmcnt(0)
	global_store_dwordx2 v[41:42], v[39:40], off
	s_or_b32 exec_lo, exec_lo, s26
	s_and_saveexec_b32 s25, s24
	s_cbranch_execz .LBB1663_570
.LBB1663_638:                           ;   in Loop: Header=BB1663_418 Depth=2
	v_lshlrev_b32_e32 v3, 2, v117
	v_add_nc_u32_e32 v39, v0, v75
	ds_read_b32 v3, v3
	ds_read_b64 v[39:40], v39 offset:29184
	s_waitcnt lgkmcnt(1)
	v_add_nc_u32_e32 v3, v3, v59
	v_lshlrev_b64 v[41:42], 3, v[3:4]
	v_add_co_u32 v41, s24, s54, v41
	v_add_co_ci_u32_e64 v42, null, s55, v42, s24
	s_waitcnt lgkmcnt(0)
	global_store_dwordx2 v[41:42], v[39:40], off
	s_or_b32 exec_lo, exec_lo, s25
	s_and_saveexec_b32 s24, s23
	s_cbranch_execz .LBB1663_571
.LBB1663_639:                           ;   in Loop: Header=BB1663_418 Depth=2
	v_lshlrev_b32_e32 v3, 2, v116
	v_add_nc_u32_e32 v39, v0, v75
	ds_read_b32 v3, v3
	ds_read_b64 v[39:40], v39 offset:31232
	s_waitcnt lgkmcnt(1)
	v_add_nc_u32_e32 v3, v3, v60
	v_lshlrev_b64 v[41:42], 3, v[3:4]
	v_add_co_u32 v41, s23, s54, v41
	v_add_co_ci_u32_e64 v42, null, s55, v42, s23
	s_waitcnt lgkmcnt(0)
	global_store_dwordx2 v[41:42], v[39:40], off
	s_or_b32 exec_lo, exec_lo, s24
	s_and_saveexec_b32 s23, vcc_lo
	s_cbranch_execnz .LBB1663_572
	s_branch .LBB1663_573
.LBB1663_640:                           ;   in Loop: Header=BB1663_20 Depth=1
	s_waitcnt lgkmcnt(0)
	s_barrier
.LBB1663_641:                           ;   in Loop: Header=BB1663_20 Depth=1
	s_mov_b32 s5, 0
.LBB1663_642:                           ;   in Loop: Header=BB1663_20 Depth=1
	s_andn2_b32 vcc_lo, exec_lo, s5
	s_cbranch_vccnz .LBB1663_19
; %bb.643:                              ;   in Loop: Header=BB1663_20 Depth=1
	s_and_b32 vcc_lo, exec_lo, s43
	s_mov_b32 s5, -1
	s_cbranch_vccz .LBB1663_953
; %bb.644:                              ;   in Loop: Header=BB1663_20 Depth=1
	v_mov_b32_e32 v17, 0
	v_mov_b32_e32 v20, 0
	;; [unrolled: 1-line block ×17, first 2 shown]
	s_mov_b32 s5, s60
	s_mov_b32 s17, s58
	s_barrier
	buffer_gl0_inv
	s_branch .LBB1663_646
.LBB1663_645:                           ;   in Loop: Header=BB1663_646 Depth=2
	s_or_b32 exec_lo, exec_lo, s16
	s_addk_i32 s5, 0xef00
	s_cmp_ge_u32 s15, s59
	s_mov_b32 s17, s15
	s_cbranch_scc1 .LBB1663_718
.LBB1663_646:                           ;   Parent Loop BB1663_20 Depth=1
                                        ; =>  This Inner Loop Header: Depth=2
	s_add_i32 s15, s17, 0x1100
	s_mov_b32 s16, -1
	s_cmp_gt_u32 s15, s59
                                        ; implicit-def: $vgpr21
                                        ; implicit-def: $vgpr22
                                        ; implicit-def: $vgpr23
                                        ; implicit-def: $vgpr24
                                        ; implicit-def: $vgpr25
                                        ; implicit-def: $vgpr26
                                        ; implicit-def: $vgpr27
                                        ; implicit-def: $vgpr28
                                        ; implicit-def: $vgpr29
                                        ; implicit-def: $vgpr30
                                        ; implicit-def: $vgpr31
                                        ; implicit-def: $vgpr32
                                        ; implicit-def: $vgpr33
                                        ; implicit-def: $vgpr34
                                        ; implicit-def: $vgpr35
                                        ; implicit-def: $vgpr36
                                        ; implicit-def: $vgpr37
	s_cbranch_scc1 .LBB1663_648
; %bb.647:                              ;   in Loop: Header=BB1663_646 Depth=2
	v_add_co_u32 v38, vcc_lo, v82, s17
	v_add_co_ci_u32_e64 v39, null, 0, v83, vcc_lo
	s_mov_b32 s16, 0
	v_add_co_u32 v21, vcc_lo, 0x800, v38
	v_add_co_ci_u32_e64 v22, null, 0, v39, vcc_lo
	v_add_co_u32 v23, vcc_lo, 0x1000, v38
	v_add_co_ci_u32_e64 v24, null, 0, v39, vcc_lo
	s_clause 0x10
	global_load_ubyte v36, v[21:22], off offset:1792
	global_load_ubyte v37, v[23:24], off
	global_load_ubyte v35, v[21:22], off offset:1536
	global_load_ubyte v34, v[21:22], off offset:1280
	;; [unrolled: 1-line block ×6, first 2 shown]
	global_load_ubyte v29, v[21:22], off
	global_load_ubyte v28, v[38:39], off offset:1792
	global_load_ubyte v27, v[38:39], off offset:1536
	;; [unrolled: 1-line block ×7, first 2 shown]
	global_load_ubyte v21, v[38:39], off
.LBB1663_648:                           ;   in Loop: Header=BB1663_646 Depth=2
	s_andn2_b32 vcc_lo, exec_lo, s16
	s_movk_i32 s16, 0x1100
	s_cbranch_vccnz .LBB1663_668
; %bb.649:                              ;   in Loop: Header=BB1663_646 Depth=2
	s_add_u32 s16, s44, s17
	s_addc_u32 s17, s45, 0
	s_mov_b32 s18, exec_lo
	v_cmpx_gt_u32_e64 s5, v0
	s_cbranch_execnz .LBB1663_702
; %bb.650:                              ;   in Loop: Header=BB1663_646 Depth=2
	s_or_b32 exec_lo, exec_lo, s18
	s_mov_b32 s18, exec_lo
	v_cmpx_gt_u32_e64 s5, v44
	s_cbranch_execnz .LBB1663_703
.LBB1663_651:                           ;   in Loop: Header=BB1663_646 Depth=2
	s_or_b32 exec_lo, exec_lo, s18
	s_mov_b32 s18, exec_lo
	v_cmpx_gt_u32_e64 s5, v47
	s_cbranch_execnz .LBB1663_704
.LBB1663_652:                           ;   in Loop: Header=BB1663_646 Depth=2
	s_or_b32 exec_lo, exec_lo, s18
	s_mov_b32 s18, exec_lo
	v_cmpx_gt_u32_e64 s5, v48
	s_cbranch_execnz .LBB1663_705
.LBB1663_653:                           ;   in Loop: Header=BB1663_646 Depth=2
	s_or_b32 exec_lo, exec_lo, s18
	s_mov_b32 s18, exec_lo
	v_cmpx_gt_u32_e64 s5, v49
	s_cbranch_execnz .LBB1663_706
.LBB1663_654:                           ;   in Loop: Header=BB1663_646 Depth=2
	s_or_b32 exec_lo, exec_lo, s18
	s_mov_b32 s18, exec_lo
	v_cmpx_gt_u32_e64 s5, v50
	s_cbranch_execnz .LBB1663_707
.LBB1663_655:                           ;   in Loop: Header=BB1663_646 Depth=2
	s_or_b32 exec_lo, exec_lo, s18
	s_mov_b32 s18, exec_lo
	v_cmpx_gt_u32_e64 s5, v51
	s_cbranch_execnz .LBB1663_708
.LBB1663_656:                           ;   in Loop: Header=BB1663_646 Depth=2
	s_or_b32 exec_lo, exec_lo, s18
	s_mov_b32 s18, exec_lo
	v_cmpx_gt_u32_e64 s5, v52
	s_cbranch_execnz .LBB1663_709
.LBB1663_657:                           ;   in Loop: Header=BB1663_646 Depth=2
	s_or_b32 exec_lo, exec_lo, s18
	s_mov_b32 s18, exec_lo
	v_cmpx_gt_u32_e64 s5, v53
	s_cbranch_execnz .LBB1663_710
.LBB1663_658:                           ;   in Loop: Header=BB1663_646 Depth=2
	s_or_b32 exec_lo, exec_lo, s18
	s_mov_b32 s18, exec_lo
	v_cmpx_gt_u32_e64 s5, v54
	s_cbranch_execnz .LBB1663_711
.LBB1663_659:                           ;   in Loop: Header=BB1663_646 Depth=2
	s_or_b32 exec_lo, exec_lo, s18
	s_mov_b32 s18, exec_lo
	v_cmpx_gt_u32_e64 s5, v55
	s_cbranch_execnz .LBB1663_712
.LBB1663_660:                           ;   in Loop: Header=BB1663_646 Depth=2
	s_or_b32 exec_lo, exec_lo, s18
	s_mov_b32 s18, exec_lo
	v_cmpx_gt_u32_e64 s5, v56
	s_cbranch_execnz .LBB1663_713
.LBB1663_661:                           ;   in Loop: Header=BB1663_646 Depth=2
	s_or_b32 exec_lo, exec_lo, s18
	s_mov_b32 s18, exec_lo
	v_cmpx_gt_u32_e64 s5, v57
	s_cbranch_execnz .LBB1663_714
.LBB1663_662:                           ;   in Loop: Header=BB1663_646 Depth=2
	s_or_b32 exec_lo, exec_lo, s18
	s_mov_b32 s18, exec_lo
	v_cmpx_gt_u32_e64 s5, v58
	s_cbranch_execnz .LBB1663_715
.LBB1663_663:                           ;   in Loop: Header=BB1663_646 Depth=2
	s_or_b32 exec_lo, exec_lo, s18
	s_mov_b32 s18, exec_lo
	v_cmpx_gt_u32_e64 s5, v59
	s_cbranch_execnz .LBB1663_716
.LBB1663_664:                           ;   in Loop: Header=BB1663_646 Depth=2
	s_or_b32 exec_lo, exec_lo, s18
	s_mov_b32 s18, exec_lo
	v_cmpx_gt_u32_e64 s5, v60
	s_cbranch_execnz .LBB1663_717
.LBB1663_665:                           ;   in Loop: Header=BB1663_646 Depth=2
	s_or_b32 exec_lo, exec_lo, s18
	s_mov_b32 s18, exec_lo
	v_cmpx_gt_u32_e64 s5, v61
	s_cbranch_execz .LBB1663_667
.LBB1663_666:                           ;   in Loop: Header=BB1663_646 Depth=2
	s_waitcnt vmcnt(0)
	v_add_co_u32 v21, s16, s16, v61
	v_add_co_ci_u32_e64 v22, null, s17, 0, s16
	global_load_ubyte v3, v[21:22], off
.LBB1663_667:                           ;   in Loop: Header=BB1663_646 Depth=2
	s_or_b32 exec_lo, exec_lo, s18
	s_waitcnt vmcnt(0)
	v_mov_b32_e32 v21, v17
	v_mov_b32_e32 v22, v20
	;; [unrolled: 1-line block ×17, first 2 shown]
	s_mov_b32 s16, s5
.LBB1663_668:                           ;   in Loop: Header=BB1663_646 Depth=2
	s_waitcnt vmcnt(15)
	v_mov_b32_e32 v3, v37
	v_mov_b32_e32 v5, v36
	s_waitcnt vmcnt(14)
	v_mov_b32_e32 v6, v35
	s_waitcnt vmcnt(13)
	;; [unrolled: 2-line block ×15, first 2 shown]
	v_mov_b32_e32 v17, v21
	s_mov_b32 s17, exec_lo
	v_cmpx_gt_u32_e64 s16, v0
	s_cbranch_execnz .LBB1663_685
; %bb.669:                              ;   in Loop: Header=BB1663_646 Depth=2
	s_or_b32 exec_lo, exec_lo, s17
	s_mov_b32 s17, exec_lo
	v_cmpx_gt_u32_e64 s16, v44
	s_cbranch_execnz .LBB1663_686
.LBB1663_670:                           ;   in Loop: Header=BB1663_646 Depth=2
	s_or_b32 exec_lo, exec_lo, s17
	s_mov_b32 s17, exec_lo
	v_cmpx_gt_u32_e64 s16, v47
	s_cbranch_execnz .LBB1663_687
.LBB1663_671:                           ;   in Loop: Header=BB1663_646 Depth=2
	s_or_b32 exec_lo, exec_lo, s17
	s_mov_b32 s17, exec_lo
	v_cmpx_gt_u32_e64 s16, v48
	s_cbranch_execnz .LBB1663_688
.LBB1663_672:                           ;   in Loop: Header=BB1663_646 Depth=2
	s_or_b32 exec_lo, exec_lo, s17
	s_mov_b32 s17, exec_lo
	v_cmpx_gt_u32_e64 s16, v49
	s_cbranch_execnz .LBB1663_689
.LBB1663_673:                           ;   in Loop: Header=BB1663_646 Depth=2
	s_or_b32 exec_lo, exec_lo, s17
	s_mov_b32 s17, exec_lo
	v_cmpx_gt_u32_e64 s16, v50
	s_cbranch_execnz .LBB1663_690
.LBB1663_674:                           ;   in Loop: Header=BB1663_646 Depth=2
	s_or_b32 exec_lo, exec_lo, s17
	s_mov_b32 s17, exec_lo
	v_cmpx_gt_u32_e64 s16, v51
	s_cbranch_execnz .LBB1663_691
.LBB1663_675:                           ;   in Loop: Header=BB1663_646 Depth=2
	s_or_b32 exec_lo, exec_lo, s17
	s_mov_b32 s17, exec_lo
	v_cmpx_gt_u32_e64 s16, v52
	s_cbranch_execnz .LBB1663_692
.LBB1663_676:                           ;   in Loop: Header=BB1663_646 Depth=2
	s_or_b32 exec_lo, exec_lo, s17
	s_mov_b32 s17, exec_lo
	v_cmpx_gt_u32_e64 s16, v53
	s_cbranch_execnz .LBB1663_693
.LBB1663_677:                           ;   in Loop: Header=BB1663_646 Depth=2
	s_or_b32 exec_lo, exec_lo, s17
	s_mov_b32 s17, exec_lo
	v_cmpx_gt_u32_e64 s16, v54
	s_cbranch_execnz .LBB1663_694
.LBB1663_678:                           ;   in Loop: Header=BB1663_646 Depth=2
	s_or_b32 exec_lo, exec_lo, s17
	s_mov_b32 s17, exec_lo
	v_cmpx_gt_u32_e64 s16, v55
	s_cbranch_execnz .LBB1663_695
.LBB1663_679:                           ;   in Loop: Header=BB1663_646 Depth=2
	s_or_b32 exec_lo, exec_lo, s17
	s_mov_b32 s17, exec_lo
	v_cmpx_gt_u32_e64 s16, v56
	s_cbranch_execnz .LBB1663_696
.LBB1663_680:                           ;   in Loop: Header=BB1663_646 Depth=2
	s_or_b32 exec_lo, exec_lo, s17
	s_mov_b32 s17, exec_lo
	v_cmpx_gt_u32_e64 s16, v57
	s_cbranch_execnz .LBB1663_697
.LBB1663_681:                           ;   in Loop: Header=BB1663_646 Depth=2
	s_or_b32 exec_lo, exec_lo, s17
	s_mov_b32 s17, exec_lo
	v_cmpx_gt_u32_e64 s16, v58
	s_cbranch_execnz .LBB1663_698
.LBB1663_682:                           ;   in Loop: Header=BB1663_646 Depth=2
	s_or_b32 exec_lo, exec_lo, s17
	s_mov_b32 s17, exec_lo
	v_cmpx_gt_u32_e64 s16, v59
	s_cbranch_execnz .LBB1663_699
.LBB1663_683:                           ;   in Loop: Header=BB1663_646 Depth=2
	s_or_b32 exec_lo, exec_lo, s17
	s_mov_b32 s17, exec_lo
	v_cmpx_gt_u32_e64 s16, v60
	s_cbranch_execnz .LBB1663_700
.LBB1663_684:                           ;   in Loop: Header=BB1663_646 Depth=2
	s_or_b32 exec_lo, exec_lo, s17
	v_cmp_gt_u32_e32 vcc_lo, s16, v61
	s_and_saveexec_b32 s16, vcc_lo
	s_cbranch_execz .LBB1663_645
	s_branch .LBB1663_701
.LBB1663_685:                           ;   in Loop: Header=BB1663_646 Depth=2
	v_and_b32_e32 v21, 1, v17
	v_lshrrev_b32_e32 v21, s41, v21
	v_and_b32_e32 v21, s62, v21
	v_lshl_or_b32 v21, v21, 4, v63
	ds_add_u32 v21, v89
	s_or_b32 exec_lo, exec_lo, s17
	s_mov_b32 s17, exec_lo
	v_cmpx_gt_u32_e64 s16, v44
	s_cbranch_execz .LBB1663_670
.LBB1663_686:                           ;   in Loop: Header=BB1663_646 Depth=2
	v_and_b32_e32 v21, 1, v20
	v_lshrrev_b32_e32 v21, s41, v21
	v_and_b32_e32 v21, s62, v21
	v_lshl_or_b32 v21, v21, 4, v63
	ds_add_u32 v21, v89
	s_or_b32 exec_lo, exec_lo, s17
	s_mov_b32 s17, exec_lo
	v_cmpx_gt_u32_e64 s16, v47
	s_cbranch_execz .LBB1663_671
.LBB1663_687:                           ;   in Loop: Header=BB1663_646 Depth=2
	v_and_b32_e32 v21, 1, v19
	v_lshrrev_b32_e32 v21, s41, v21
	v_and_b32_e32 v21, s62, v21
	v_lshl_or_b32 v21, v21, 4, v63
	ds_add_u32 v21, v89
	s_or_b32 exec_lo, exec_lo, s17
	s_mov_b32 s17, exec_lo
	v_cmpx_gt_u32_e64 s16, v48
	s_cbranch_execz .LBB1663_672
.LBB1663_688:                           ;   in Loop: Header=BB1663_646 Depth=2
	v_and_b32_e32 v21, 1, v18
	v_lshrrev_b32_e32 v21, s41, v21
	v_and_b32_e32 v21, s62, v21
	v_lshl_or_b32 v21, v21, 4, v63
	ds_add_u32 v21, v89
	s_or_b32 exec_lo, exec_lo, s17
	s_mov_b32 s17, exec_lo
	v_cmpx_gt_u32_e64 s16, v49
	s_cbranch_execz .LBB1663_673
.LBB1663_689:                           ;   in Loop: Header=BB1663_646 Depth=2
	v_and_b32_e32 v21, 1, v16
	v_lshrrev_b32_e32 v21, s41, v21
	v_and_b32_e32 v21, s62, v21
	v_lshl_or_b32 v21, v21, 4, v63
	ds_add_u32 v21, v89
	s_or_b32 exec_lo, exec_lo, s17
	s_mov_b32 s17, exec_lo
	v_cmpx_gt_u32_e64 s16, v50
	s_cbranch_execz .LBB1663_674
.LBB1663_690:                           ;   in Loop: Header=BB1663_646 Depth=2
	v_and_b32_e32 v21, 1, v15
	v_lshrrev_b32_e32 v21, s41, v21
	v_and_b32_e32 v21, s62, v21
	v_lshl_or_b32 v21, v21, 4, v63
	ds_add_u32 v21, v89
	s_or_b32 exec_lo, exec_lo, s17
	s_mov_b32 s17, exec_lo
	v_cmpx_gt_u32_e64 s16, v51
	s_cbranch_execz .LBB1663_675
.LBB1663_691:                           ;   in Loop: Header=BB1663_646 Depth=2
	v_and_b32_e32 v21, 1, v14
	v_lshrrev_b32_e32 v21, s41, v21
	v_and_b32_e32 v21, s62, v21
	v_lshl_or_b32 v21, v21, 4, v63
	ds_add_u32 v21, v89
	s_or_b32 exec_lo, exec_lo, s17
	s_mov_b32 s17, exec_lo
	v_cmpx_gt_u32_e64 s16, v52
	s_cbranch_execz .LBB1663_676
.LBB1663_692:                           ;   in Loop: Header=BB1663_646 Depth=2
	v_and_b32_e32 v21, 1, v13
	v_lshrrev_b32_e32 v21, s41, v21
	v_and_b32_e32 v21, s62, v21
	v_lshl_or_b32 v21, v21, 4, v63
	ds_add_u32 v21, v89
	s_or_b32 exec_lo, exec_lo, s17
	s_mov_b32 s17, exec_lo
	v_cmpx_gt_u32_e64 s16, v53
	s_cbranch_execz .LBB1663_677
.LBB1663_693:                           ;   in Loop: Header=BB1663_646 Depth=2
	v_and_b32_e32 v21, 1, v12
	v_lshrrev_b32_e32 v21, s41, v21
	v_and_b32_e32 v21, s62, v21
	v_lshl_or_b32 v21, v21, 4, v63
	ds_add_u32 v21, v89
	s_or_b32 exec_lo, exec_lo, s17
	s_mov_b32 s17, exec_lo
	v_cmpx_gt_u32_e64 s16, v54
	s_cbranch_execz .LBB1663_678
.LBB1663_694:                           ;   in Loop: Header=BB1663_646 Depth=2
	v_and_b32_e32 v21, 1, v11
	v_lshrrev_b32_e32 v21, s41, v21
	v_and_b32_e32 v21, s62, v21
	v_lshl_or_b32 v21, v21, 4, v63
	ds_add_u32 v21, v89
	s_or_b32 exec_lo, exec_lo, s17
	s_mov_b32 s17, exec_lo
	v_cmpx_gt_u32_e64 s16, v55
	s_cbranch_execz .LBB1663_679
.LBB1663_695:                           ;   in Loop: Header=BB1663_646 Depth=2
	v_and_b32_e32 v21, 1, v10
	v_lshrrev_b32_e32 v21, s41, v21
	v_and_b32_e32 v21, s62, v21
	v_lshl_or_b32 v21, v21, 4, v63
	ds_add_u32 v21, v89
	s_or_b32 exec_lo, exec_lo, s17
	s_mov_b32 s17, exec_lo
	v_cmpx_gt_u32_e64 s16, v56
	s_cbranch_execz .LBB1663_680
.LBB1663_696:                           ;   in Loop: Header=BB1663_646 Depth=2
	v_and_b32_e32 v21, 1, v9
	v_lshrrev_b32_e32 v21, s41, v21
	v_and_b32_e32 v21, s62, v21
	v_lshl_or_b32 v21, v21, 4, v63
	ds_add_u32 v21, v89
	s_or_b32 exec_lo, exec_lo, s17
	s_mov_b32 s17, exec_lo
	v_cmpx_gt_u32_e64 s16, v57
	s_cbranch_execz .LBB1663_681
.LBB1663_697:                           ;   in Loop: Header=BB1663_646 Depth=2
	v_and_b32_e32 v21, 1, v8
	v_lshrrev_b32_e32 v21, s41, v21
	v_and_b32_e32 v21, s62, v21
	v_lshl_or_b32 v21, v21, 4, v63
	ds_add_u32 v21, v89
	s_or_b32 exec_lo, exec_lo, s17
	s_mov_b32 s17, exec_lo
	v_cmpx_gt_u32_e64 s16, v58
	s_cbranch_execz .LBB1663_682
.LBB1663_698:                           ;   in Loop: Header=BB1663_646 Depth=2
	v_and_b32_e32 v21, 1, v7
	v_lshrrev_b32_e32 v21, s41, v21
	v_and_b32_e32 v21, s62, v21
	v_lshl_or_b32 v21, v21, 4, v63
	ds_add_u32 v21, v89
	s_or_b32 exec_lo, exec_lo, s17
	s_mov_b32 s17, exec_lo
	v_cmpx_gt_u32_e64 s16, v59
	s_cbranch_execz .LBB1663_683
.LBB1663_699:                           ;   in Loop: Header=BB1663_646 Depth=2
	v_and_b32_e32 v21, 1, v6
	v_lshrrev_b32_e32 v21, s41, v21
	v_and_b32_e32 v21, s62, v21
	v_lshl_or_b32 v21, v21, 4, v63
	ds_add_u32 v21, v89
	s_or_b32 exec_lo, exec_lo, s17
	s_mov_b32 s17, exec_lo
	v_cmpx_gt_u32_e64 s16, v60
	s_cbranch_execz .LBB1663_684
.LBB1663_700:                           ;   in Loop: Header=BB1663_646 Depth=2
	v_and_b32_e32 v21, 1, v5
	v_lshrrev_b32_e32 v21, s41, v21
	v_and_b32_e32 v21, s62, v21
	v_lshl_or_b32 v21, v21, 4, v63
	ds_add_u32 v21, v89
	s_or_b32 exec_lo, exec_lo, s17
	v_cmp_gt_u32_e32 vcc_lo, s16, v61
	s_and_saveexec_b32 s16, vcc_lo
	s_cbranch_execz .LBB1663_645
.LBB1663_701:                           ;   in Loop: Header=BB1663_646 Depth=2
	v_and_b32_e32 v21, 1, v3
	v_lshrrev_b32_e32 v21, s41, v21
	v_and_b32_e32 v21, s62, v21
	v_lshl_or_b32 v21, v21, 4, v63
	ds_add_u32 v21, v89
	s_branch .LBB1663_645
.LBB1663_702:                           ;   in Loop: Header=BB1663_646 Depth=2
	s_waitcnt vmcnt(0)
	v_add_co_u32 v21, s19, s16, v0
	v_add_co_ci_u32_e64 v22, null, s17, 0, s19
	global_load_ubyte v17, v[21:22], off
	s_or_b32 exec_lo, exec_lo, s18
	s_mov_b32 s18, exec_lo
	v_cmpx_gt_u32_e64 s5, v44
	s_cbranch_execz .LBB1663_651
.LBB1663_703:                           ;   in Loop: Header=BB1663_646 Depth=2
	v_add_co_u32 v20, s19, s16, v0
	s_waitcnt vmcnt(0)
	v_add_co_ci_u32_e64 v21, null, s17, 0, s19
	global_load_ubyte v20, v[20:21], off offset:256
	s_or_b32 exec_lo, exec_lo, s18
	s_mov_b32 s18, exec_lo
	v_cmpx_gt_u32_e64 s5, v47
	s_cbranch_execz .LBB1663_652
.LBB1663_704:                           ;   in Loop: Header=BB1663_646 Depth=2
	s_waitcnt vmcnt(0)
	v_add_co_u32 v21, s19, s16, v0
	v_add_co_ci_u32_e64 v22, null, s17, 0, s19
	global_load_ubyte v19, v[21:22], off offset:512
	s_or_b32 exec_lo, exec_lo, s18
	s_mov_b32 s18, exec_lo
	v_cmpx_gt_u32_e64 s5, v48
	s_cbranch_execz .LBB1663_653
.LBB1663_705:                           ;   in Loop: Header=BB1663_646 Depth=2
	s_waitcnt vmcnt(0)
	v_add_co_u32 v21, s19, s16, v0
	v_add_co_ci_u32_e64 v22, null, s17, 0, s19
	global_load_ubyte v18, v[21:22], off offset:768
	s_or_b32 exec_lo, exec_lo, s18
	s_mov_b32 s18, exec_lo
	v_cmpx_gt_u32_e64 s5, v49
	s_cbranch_execz .LBB1663_654
.LBB1663_706:                           ;   in Loop: Header=BB1663_646 Depth=2
	s_waitcnt vmcnt(0)
	v_add_co_u32 v21, s19, s16, v0
	v_add_co_ci_u32_e64 v22, null, s17, 0, s19
	global_load_ubyte v16, v[21:22], off offset:1024
	s_or_b32 exec_lo, exec_lo, s18
	s_mov_b32 s18, exec_lo
	v_cmpx_gt_u32_e64 s5, v50
	s_cbranch_execz .LBB1663_655
.LBB1663_707:                           ;   in Loop: Header=BB1663_646 Depth=2
	s_waitcnt vmcnt(0)
	v_add_co_u32 v21, s19, s16, v0
	v_add_co_ci_u32_e64 v22, null, s17, 0, s19
	global_load_ubyte v15, v[21:22], off offset:1280
	s_or_b32 exec_lo, exec_lo, s18
	s_mov_b32 s18, exec_lo
	v_cmpx_gt_u32_e64 s5, v51
	s_cbranch_execz .LBB1663_656
.LBB1663_708:                           ;   in Loop: Header=BB1663_646 Depth=2
	s_waitcnt vmcnt(0)
	v_add_co_u32 v21, s19, s16, v0
	v_add_co_ci_u32_e64 v22, null, s17, 0, s19
	global_load_ubyte v14, v[21:22], off offset:1536
	s_or_b32 exec_lo, exec_lo, s18
	s_mov_b32 s18, exec_lo
	v_cmpx_gt_u32_e64 s5, v52
	s_cbranch_execz .LBB1663_657
.LBB1663_709:                           ;   in Loop: Header=BB1663_646 Depth=2
	s_waitcnt vmcnt(0)
	v_add_co_u32 v21, s19, s16, v0
	v_add_co_ci_u32_e64 v22, null, s17, 0, s19
	global_load_ubyte v13, v[21:22], off offset:1792
	s_or_b32 exec_lo, exec_lo, s18
	s_mov_b32 s18, exec_lo
	v_cmpx_gt_u32_e64 s5, v53
	s_cbranch_execz .LBB1663_658
.LBB1663_710:                           ;   in Loop: Header=BB1663_646 Depth=2
	s_waitcnt vmcnt(0)
	v_add_co_u32 v21, s19, s16, v53
	v_add_co_ci_u32_e64 v22, null, s17, 0, s19
	global_load_ubyte v12, v[21:22], off
	s_or_b32 exec_lo, exec_lo, s18
	s_mov_b32 s18, exec_lo
	v_cmpx_gt_u32_e64 s5, v54
	s_cbranch_execz .LBB1663_659
.LBB1663_711:                           ;   in Loop: Header=BB1663_646 Depth=2
	s_waitcnt vmcnt(0)
	v_add_co_u32 v21, s19, s16, v54
	v_add_co_ci_u32_e64 v22, null, s17, 0, s19
	global_load_ubyte v11, v[21:22], off
	s_or_b32 exec_lo, exec_lo, s18
	s_mov_b32 s18, exec_lo
	v_cmpx_gt_u32_e64 s5, v55
	s_cbranch_execz .LBB1663_660
.LBB1663_712:                           ;   in Loop: Header=BB1663_646 Depth=2
	s_waitcnt vmcnt(0)
	v_add_co_u32 v21, s19, s16, v55
	v_add_co_ci_u32_e64 v22, null, s17, 0, s19
	global_load_ubyte v10, v[21:22], off
	s_or_b32 exec_lo, exec_lo, s18
	s_mov_b32 s18, exec_lo
	v_cmpx_gt_u32_e64 s5, v56
	s_cbranch_execz .LBB1663_661
.LBB1663_713:                           ;   in Loop: Header=BB1663_646 Depth=2
	s_waitcnt vmcnt(0)
	v_add_co_u32 v21, s19, s16, v56
	v_add_co_ci_u32_e64 v22, null, s17, 0, s19
	global_load_ubyte v9, v[21:22], off
	s_or_b32 exec_lo, exec_lo, s18
	s_mov_b32 s18, exec_lo
	v_cmpx_gt_u32_e64 s5, v57
	s_cbranch_execz .LBB1663_662
.LBB1663_714:                           ;   in Loop: Header=BB1663_646 Depth=2
	s_waitcnt vmcnt(0)
	v_add_co_u32 v21, s19, s16, v57
	v_add_co_ci_u32_e64 v22, null, s17, 0, s19
	global_load_ubyte v8, v[21:22], off
	s_or_b32 exec_lo, exec_lo, s18
	s_mov_b32 s18, exec_lo
	v_cmpx_gt_u32_e64 s5, v58
	s_cbranch_execz .LBB1663_663
.LBB1663_715:                           ;   in Loop: Header=BB1663_646 Depth=2
	s_waitcnt vmcnt(0)
	v_add_co_u32 v21, s19, s16, v58
	v_add_co_ci_u32_e64 v22, null, s17, 0, s19
	global_load_ubyte v7, v[21:22], off
	s_or_b32 exec_lo, exec_lo, s18
	s_mov_b32 s18, exec_lo
	v_cmpx_gt_u32_e64 s5, v59
	s_cbranch_execz .LBB1663_664
.LBB1663_716:                           ;   in Loop: Header=BB1663_646 Depth=2
	s_waitcnt vmcnt(0)
	v_add_co_u32 v21, s19, s16, v59
	v_add_co_ci_u32_e64 v22, null, s17, 0, s19
	global_load_ubyte v6, v[21:22], off
	s_or_b32 exec_lo, exec_lo, s18
	s_mov_b32 s18, exec_lo
	v_cmpx_gt_u32_e64 s5, v60
	s_cbranch_execz .LBB1663_665
.LBB1663_717:                           ;   in Loop: Header=BB1663_646 Depth=2
	s_waitcnt vmcnt(0)
	v_add_co_u32 v21, s19, s16, v60
	v_add_co_ci_u32_e64 v22, null, s17, 0, s19
	global_load_ubyte v5, v[21:22], off
	s_or_b32 exec_lo, exec_lo, s18
	s_mov_b32 s18, exec_lo
	v_cmpx_gt_u32_e64 s5, v61
	s_cbranch_execnz .LBB1663_666
	s_branch .LBB1663_667
.LBB1663_718:                           ;   in Loop: Header=BB1663_20 Depth=1
	v_mov_b32_e32 v3, 0
	s_waitcnt lgkmcnt(0)
	s_barrier
	buffer_gl0_inv
	s_and_saveexec_b32 s5, s8
	s_cbranch_execz .LBB1663_720
; %bb.719:                              ;   in Loop: Header=BB1663_20 Depth=1
	ds_read2_b64 v[5:8], v64 offset1:1
	s_waitcnt lgkmcnt(0)
	v_add_nc_u32_e32 v3, v6, v5
	v_add3_u32 v3, v3, v7, v8
.LBB1663_720:                           ;   in Loop: Header=BB1663_20 Depth=1
	s_or_b32 exec_lo, exec_lo, s5
	v_and_b32_e32 v5, 15, v86
	v_mov_b32_dpp v6, v3 row_shr:1 row_mask:0xf bank_mask:0xf
	v_and_b32_e32 v7, 16, v86
	v_cmp_eq_u32_e64 s5, 0, v5
	v_cmp_lt_u32_e64 s15, 1, v5
	v_cmp_lt_u32_e64 s16, 3, v5
	;; [unrolled: 1-line block ×3, first 2 shown]
	v_cmp_eq_u32_e64 s18, 0, v7
	v_cndmask_b32_e64 v6, v6, 0, s5
	v_add_nc_u32_e32 v3, v6, v3
	v_mov_b32_dpp v6, v3 row_shr:2 row_mask:0xf bank_mask:0xf
	v_cndmask_b32_e64 v6, 0, v6, s15
	v_add_nc_u32_e32 v3, v3, v6
	v_mov_b32_dpp v6, v3 row_shr:4 row_mask:0xf bank_mask:0xf
	;; [unrolled: 3-line block ×3, first 2 shown]
	v_cndmask_b32_e64 v5, 0, v6, s17
	v_bfe_i32 v6, v86, 4, 1
	v_add_nc_u32_e32 v3, v3, v5
	ds_swizzle_b32 v5, v3 offset:swizzle(BROADCAST,32,15)
	s_waitcnt lgkmcnt(0)
	v_and_b32_e32 v5, v6, v5
	v_add_nc_u32_e32 v3, v3, v5
	s_and_saveexec_b32 s19, s9
; %bb.721:                              ;   in Loop: Header=BB1663_20 Depth=1
	ds_write_b32 v65, v3
; %bb.722:                              ;   in Loop: Header=BB1663_20 Depth=1
	s_or_b32 exec_lo, exec_lo, s19
	s_waitcnt lgkmcnt(0)
	s_barrier
	buffer_gl0_inv
	s_and_saveexec_b32 s19, s10
	s_cbranch_execz .LBB1663_724
; %bb.723:                              ;   in Loop: Header=BB1663_20 Depth=1
	ds_read_b32 v5, v66
	v_and_b32_e32 v6, 3, v86
	v_cmp_ne_u32_e32 vcc_lo, 0, v6
	s_waitcnt lgkmcnt(0)
	v_mov_b32_dpp v7, v5 row_shr:1 row_mask:0xf bank_mask:0xf
	v_cndmask_b32_e32 v7, 0, v7, vcc_lo
	v_cmp_lt_u32_e32 vcc_lo, 1, v6
	v_add_nc_u32_e32 v5, v7, v5
	v_mov_b32_dpp v7, v5 row_shr:2 row_mask:0xf bank_mask:0xf
	v_cndmask_b32_e32 v6, 0, v7, vcc_lo
	v_add_nc_u32_e32 v5, v5, v6
	ds_write_b32 v66, v5
.LBB1663_724:                           ;   in Loop: Header=BB1663_20 Depth=1
	s_or_b32 exec_lo, exec_lo, s19
	v_mov_b32_e32 v5, 0
	s_waitcnt lgkmcnt(0)
	s_barrier
	buffer_gl0_inv
	s_and_saveexec_b32 s19, s11
; %bb.725:                              ;   in Loop: Header=BB1663_20 Depth=1
	ds_read_b32 v5, v67
; %bb.726:                              ;   in Loop: Header=BB1663_20 Depth=1
	s_or_b32 exec_lo, exec_lo, s19
	v_sub_co_u32 v6, s19, v86, 1
	s_waitcnt lgkmcnt(0)
	v_add_nc_u32_e32 v3, v5, v3
	s_barrier
	v_cmp_gt_i32_e32 vcc_lo, 0, v6
	buffer_gl0_inv
	v_cndmask_b32_e32 v6, v6, v86, vcc_lo
	v_lshlrev_b32_e32 v92, 2, v6
	ds_bpermute_b32 v3, v92, v3
	s_and_saveexec_b32 s20, s8
	s_cbranch_execz .LBB1663_728
; %bb.727:                              ;   in Loop: Header=BB1663_20 Depth=1
	s_waitcnt lgkmcnt(0)
	v_cndmask_b32_e64 v3, v3, v5, s19
	v_add_nc_u32_e32 v3, s58, v3
	ds_write_b32 v43, v3
.LBB1663_728:                           ;   in Loop: Header=BB1663_20 Depth=1
	s_or_b32 exec_lo, exec_lo, s20
	s_load_dwordx2 s[20:21], s[56:57], 0x0
	v_and_b32_e32 v6, 7, v86
	v_lshlrev_b32_e32 v7, 3, v86
	v_or_b32_e32 v93, v86, v68
	s_mov_b32 s63, s60
	s_mov_b32 s50, s58
                                        ; implicit-def: $vgpr9_vgpr10
                                        ; implicit-def: $vgpr11_vgpr12
                                        ; implicit-def: $vgpr13_vgpr14
                                        ; implicit-def: $vgpr15_vgpr16
                                        ; implicit-def: $vgpr19_vgpr20
                                        ; implicit-def: $vgpr23_vgpr24
                                        ; implicit-def: $vgpr27_vgpr28
                                        ; implicit-def: $vgpr17_vgpr18
                                        ; implicit-def: $vgpr21_vgpr22
                                        ; implicit-def: $vgpr25_vgpr26
                                        ; implicit-def: $vgpr29_vgpr30
                                        ; implicit-def: $vgpr31_vgpr32
                                        ; implicit-def: $vgpr33_vgpr34
                                        ; implicit-def: $vgpr35_vgpr36
                                        ; implicit-def: $vgpr37_vgpr38
                                        ; implicit-def: $vgpr115
                                        ; implicit-def: $vgpr116
                                        ; implicit-def: $vgpr117
                                        ; implicit-def: $vgpr118
                                        ; implicit-def: $vgpr119
                                        ; implicit-def: $vgpr120
                                        ; implicit-def: $vgpr121
                                        ; implicit-def: $vgpr122
                                        ; implicit-def: $vgpr123
                                        ; implicit-def: $vgpr124
                                        ; implicit-def: $vgpr125
                                        ; implicit-def: $vgpr126
                                        ; implicit-def: $vgpr127
                                        ; implicit-def: $vgpr128
                                        ; implicit-def: $vgpr129
                                        ; implicit-def: $vgpr130
                                        ; implicit-def: $vgpr131
                                        ; implicit-def: $vgpr132
                                        ; implicit-def: $vgpr133
	v_add_co_u32 v94, vcc_lo, v84, v7
	v_add_co_ci_u32_e64 v95, null, 0, v85, vcc_lo
	v_add_co_u32 v112, vcc_lo, v87, v86
	v_add_nc_u32_e32 v96, 32, v93
	v_add_nc_u32_e32 v97, 64, v93
	;; [unrolled: 1-line block ×7, first 2 shown]
	s_waitcnt lgkmcnt(0)
	s_cmp_lt_u32 s7, s21
	v_add_nc_u32_e32 v103, 0x100, v93
	s_cselect_b32 s21, 14, 20
	v_add_nc_u32_e32 v104, 0x120, v93
	s_add_u32 s22, s56, s21
	s_addc_u32 s23, s57, 0
	s_cmp_lt_u32 s6, s20
	global_load_ushort v3, v4, s[22:23]
	s_cselect_b32 s20, 12, 18
	v_add_nc_u32_e32 v105, 0x140, v93
	s_add_u32 s20, s56, s20
	s_addc_u32 s21, s57, 0
	v_add_nc_u32_e32 v106, 0x160, v93
	global_load_ushort v5, v4, s[20:21]
	v_cmp_eq_u32_e64 s20, 0, v6
	v_cmp_lt_u32_e64 s21, 1, v6
	v_cmp_lt_u32_e64 s22, 3, v6
	v_add_nc_u32_e32 v107, 0x180, v93
	v_add_nc_u32_e32 v108, 0x1a0, v93
	;; [unrolled: 1-line block ×5, first 2 shown]
	v_add_co_ci_u32_e64 v113, null, 0, v88, vcc_lo
                                        ; implicit-def: $vgpr7_vgpr8
	s_waitcnt vmcnt(1)
	v_mad_u32_u24 v3, v2, v3, v1
	s_waitcnt vmcnt(0)
	v_mad_u64_u32 v[5:6], null, v3, v5, v[0:1]
	v_lshrrev_b32_e32 v3, 3, v5
                                        ; implicit-def: $vgpr5_vgpr6
	v_and_b32_e32 v114, 0x1ffffffc, v3
	s_branch .LBB1663_730
.LBB1663_729:                           ;   in Loop: Header=BB1663_730 Depth=2
	s_or_b32 exec_lo, exec_lo, s23
	s_addk_i32 s63, 0xef00
	s_cmp_lt_u32 s64, s59
	s_mov_b32 s50, s64
	s_cbranch_scc0 .LBB1663_952
.LBB1663_730:                           ;   Parent Loop BB1663_20 Depth=1
                                        ; =>  This Inner Loop Header: Depth=2
	s_add_i32 s64, s50, 0x1100
	s_cmp_gt_u32 s64, s59
	s_cbranch_scc1 .LBB1663_732
; %bb.731:                              ;   in Loop: Header=BB1663_730 Depth=2
	v_add_co_u32 v39, vcc_lo, v112, s50
	v_add_co_ci_u32_e64 v40, null, 0, v113, vcc_lo
	s_mov_b32 s23, -1
	s_clause 0xf
	global_load_ubyte v134, v[39:40], off
	global_load_ubyte v135, v[39:40], off offset:32
	global_load_ubyte v136, v[39:40], off offset:64
	;; [unrolled: 1-line block ×15, first 2 shown]
	s_movk_i32 s24, 0x1100
	s_cbranch_execz .LBB1663_733
	s_branch .LBB1663_766
.LBB1663_732:                           ;   in Loop: Header=BB1663_730 Depth=2
	s_mov_b32 s23, 0
                                        ; implicit-def: $vgpr134
                                        ; implicit-def: $vgpr135
                                        ; implicit-def: $vgpr136
                                        ; implicit-def: $vgpr137
                                        ; implicit-def: $vgpr138
                                        ; implicit-def: $vgpr139
                                        ; implicit-def: $vgpr140
                                        ; implicit-def: $vgpr141
                                        ; implicit-def: $vgpr142
                                        ; implicit-def: $vgpr143
                                        ; implicit-def: $vgpr144
                                        ; implicit-def: $vgpr145
                                        ; implicit-def: $vgpr146
                                        ; implicit-def: $vgpr147
                                        ; implicit-def: $vgpr148
                                        ; implicit-def: $vgpr149
	s_movk_i32 s24, 0x1100
.LBB1663_733:                           ;   in Loop: Header=BB1663_730 Depth=2
	v_add_co_u32 v39, vcc_lo, v112, s50
	v_add_co_ci_u32_e64 v40, null, 0, v113, vcc_lo
	s_waitcnt vmcnt(14)
	v_mov_b32_e32 v135, 1
	v_mov_b32_e32 v134, 1
	s_mov_b32 s23, exec_lo
	v_cmpx_gt_u32_e64 s63, v93
	s_cbranch_execz .LBB1663_735
; %bb.734:                              ;   in Loop: Header=BB1663_730 Depth=2
	global_load_ubyte v134, v[39:40], off
.LBB1663_735:                           ;   in Loop: Header=BB1663_730 Depth=2
	s_or_b32 exec_lo, exec_lo, s23
	s_mov_b32 s23, exec_lo
	v_cmpx_gt_u32_e64 s63, v96
	s_cbranch_execz .LBB1663_737
; %bb.736:                              ;   in Loop: Header=BB1663_730 Depth=2
	global_load_ubyte v135, v[39:40], off offset:32
.LBB1663_737:                           ;   in Loop: Header=BB1663_730 Depth=2
	s_or_b32 exec_lo, exec_lo, s23
	s_waitcnt vmcnt(12)
	v_mov_b32_e32 v137, 1
	v_mov_b32_e32 v136, 1
	s_mov_b32 s23, exec_lo
	v_cmpx_gt_u32_e64 s63, v97
	s_cbranch_execz .LBB1663_739
; %bb.738:                              ;   in Loop: Header=BB1663_730 Depth=2
	global_load_ubyte v136, v[39:40], off offset:64
.LBB1663_739:                           ;   in Loop: Header=BB1663_730 Depth=2
	s_or_b32 exec_lo, exec_lo, s23
	s_mov_b32 s23, exec_lo
	v_cmpx_gt_u32_e64 s63, v98
	s_cbranch_execz .LBB1663_741
; %bb.740:                              ;   in Loop: Header=BB1663_730 Depth=2
	global_load_ubyte v137, v[39:40], off offset:96
.LBB1663_741:                           ;   in Loop: Header=BB1663_730 Depth=2
	s_or_b32 exec_lo, exec_lo, s23
	s_waitcnt vmcnt(10)
	v_mov_b32_e32 v139, 1
	v_mov_b32_e32 v138, 1
	s_mov_b32 s23, exec_lo
	v_cmpx_gt_u32_e64 s63, v99
	s_cbranch_execz .LBB1663_743
; %bb.742:                              ;   in Loop: Header=BB1663_730 Depth=2
	global_load_ubyte v138, v[39:40], off offset:128
.LBB1663_743:                           ;   in Loop: Header=BB1663_730 Depth=2
	;; [unrolled: 17-line block ×7, first 2 shown]
	s_or_b32 exec_lo, exec_lo, s23
	s_mov_b32 s23, exec_lo
	v_cmpx_gt_u32_e64 s63, v110
	s_cbranch_execz .LBB1663_765
; %bb.764:                              ;   in Loop: Header=BB1663_730 Depth=2
	global_load_ubyte v149, v[39:40], off offset:480
.LBB1663_765:                           ;   in Loop: Header=BB1663_730 Depth=2
	s_or_b32 exec_lo, exec_lo, s23
	v_cmp_gt_u32_e64 s23, s63, v111
	s_sub_i32 s24, s59, s50
.LBB1663_766:                           ;   in Loop: Header=BB1663_730 Depth=2
	v_mov_b32_e32 v150, 1
	v_mov_b32_e32 v3, s63
	s_and_saveexec_b32 s25, s23
	s_cbranch_execz .LBB1663_768
; %bb.767:                              ;   in Loop: Header=BB1663_730 Depth=2
	v_add_co_u32 v39, vcc_lo, v112, s50
	v_add_co_ci_u32_e64 v40, null, s51, v113, vcc_lo
	v_mov_b32_e32 v3, s24
	global_load_ubyte v150, v[39:40], off offset:512
.LBB1663_768:                           ;   in Loop: Header=BB1663_730 Depth=2
	s_or_b32 exec_lo, exec_lo, s25
	s_waitcnt vmcnt(15)
	v_lshrrev_b32_sdwa v39, s41, v134 dst_sel:DWORD dst_unused:UNUSED_PAD src0_sel:DWORD src1_sel:BYTE_0
	ds_write2_b32 v69, v4, v4 offset0:136 offset1:137
	ds_write2_b32 v69, v4, v4 offset0:138 offset1:139
	ds_write_b32 v69, v4 offset:560
	s_waitcnt vmcnt(0) lgkmcnt(0)
	s_barrier
	v_and_b32_e32 v40, s62, v39
	buffer_gl0_inv
	; wave barrier
	v_add_co_u32 v39, s23, v40, -1
	v_cndmask_b32_e64 v41, 0, 1, s23
	v_mul_u32_u24_e32 v40, 36, v40
	v_cmp_ne_u32_e32 vcc_lo, 0, v41
	v_add_nc_u32_e32 v154, v114, v40
	v_xor_b32_e32 v39, vcc_lo, v39
	v_and_b32_e32 v39, exec_lo, v39
	v_mbcnt_lo_u32_b32 v151, v39, 0
	v_cmp_ne_u32_e64 s23, 0, v39
	v_cmp_eq_u32_e32 vcc_lo, 0, v151
	s_and_b32 s24, s23, vcc_lo
	s_and_saveexec_b32 s23, s24
; %bb.769:                              ;   in Loop: Header=BB1663_730 Depth=2
	v_bcnt_u32_b32 v39, v39, 0
	ds_write_b32 v154, v39 offset:544
; %bb.770:                              ;   in Loop: Header=BB1663_730 Depth=2
	s_or_b32 exec_lo, exec_lo, s23
	v_lshrrev_b32_sdwa v39, s41, v135 dst_sel:DWORD dst_unused:UNUSED_PAD src0_sel:DWORD src1_sel:BYTE_0
	; wave barrier
	v_and_b32_e32 v40, s62, v39
	v_add_co_u32 v39, s23, v40, -1
	v_cndmask_b32_e64 v41, 0, 1, s23
	v_cmp_ne_u32_e32 vcc_lo, 0, v41
	v_mad_u32_u24 v41, v40, 36, v114
	v_mul_u32_u24_e32 v40, 36, v40
	v_xor_b32_e32 v39, vcc_lo, v39
	ds_read_b32 v152, v41 offset:544
	v_add_nc_u32_e32 v157, v114, v40
	; wave barrier
	v_and_b32_e32 v39, exec_lo, v39
	v_mbcnt_lo_u32_b32 v153, v39, 0
	v_cmp_ne_u32_e64 s23, 0, v39
	v_cmp_eq_u32_e32 vcc_lo, 0, v153
	s_and_b32 s24, s23, vcc_lo
	s_and_saveexec_b32 s23, s24
	s_cbranch_execz .LBB1663_772
; %bb.771:                              ;   in Loop: Header=BB1663_730 Depth=2
	s_waitcnt lgkmcnt(0)
	v_bcnt_u32_b32 v39, v39, v152
	ds_write_b32 v157, v39 offset:544
.LBB1663_772:                           ;   in Loop: Header=BB1663_730 Depth=2
	s_or_b32 exec_lo, exec_lo, s23
	v_lshrrev_b32_sdwa v39, s41, v136 dst_sel:DWORD dst_unused:UNUSED_PAD src0_sel:DWORD src1_sel:BYTE_0
	; wave barrier
	v_and_b32_e32 v40, s62, v39
	v_add_co_u32 v39, s23, v40, -1
	v_cndmask_b32_e64 v41, 0, 1, s23
	v_cmp_ne_u32_e32 vcc_lo, 0, v41
	v_mad_u32_u24 v41, v40, 36, v114
	v_mul_u32_u24_e32 v40, 36, v40
	v_xor_b32_e32 v39, vcc_lo, v39
	ds_read_b32 v155, v41 offset:544
	v_add_nc_u32_e32 v160, v114, v40
	; wave barrier
	v_and_b32_e32 v39, exec_lo, v39
	v_mbcnt_lo_u32_b32 v156, v39, 0
	v_cmp_ne_u32_e64 s23, 0, v39
	v_cmp_eq_u32_e32 vcc_lo, 0, v156
	s_and_b32 s24, s23, vcc_lo
	s_and_saveexec_b32 s23, s24
	s_cbranch_execz .LBB1663_774
; %bb.773:                              ;   in Loop: Header=BB1663_730 Depth=2
	s_waitcnt lgkmcnt(0)
	v_bcnt_u32_b32 v39, v39, v155
	ds_write_b32 v160, v39 offset:544
.LBB1663_774:                           ;   in Loop: Header=BB1663_730 Depth=2
	;; [unrolled: 25-line block ×16, first 2 shown]
	s_or_b32 exec_lo, exec_lo, s23
	; wave barrier
	s_waitcnt lgkmcnt(0)
	s_barrier
	buffer_gl0_inv
	ds_read2_b32 v[41:42], v69 offset0:136 offset1:137
	ds_read2_b32 v[39:40], v69 offset0:138 offset1:139
	ds_read_b32 v201, v69 offset:560
	s_waitcnt lgkmcnt(1)
	v_add3_u32 v202, v42, v41, v39
	s_waitcnt lgkmcnt(0)
	v_add3_u32 v201, v202, v40, v201
	v_mov_b32_dpp v202, v201 row_shr:1 row_mask:0xf bank_mask:0xf
	v_cndmask_b32_e64 v202, v202, 0, s5
	v_add_nc_u32_e32 v201, v202, v201
	v_mov_b32_dpp v202, v201 row_shr:2 row_mask:0xf bank_mask:0xf
	v_cndmask_b32_e64 v202, 0, v202, s15
	v_add_nc_u32_e32 v201, v201, v202
	;; [unrolled: 3-line block ×4, first 2 shown]
	ds_swizzle_b32 v202, v201 offset:swizzle(BROADCAST,32,15)
	s_waitcnt lgkmcnt(0)
	v_cndmask_b32_e64 v202, v202, 0, s18
	v_add_nc_u32_e32 v201, v201, v202
	s_and_saveexec_b32 s23, s4
; %bb.803:                              ;   in Loop: Header=BB1663_730 Depth=2
	ds_write_b32 v62, v201 offset:512
; %bb.804:                              ;   in Loop: Header=BB1663_730 Depth=2
	s_or_b32 exec_lo, exec_lo, s23
	s_waitcnt lgkmcnt(0)
	s_barrier
	buffer_gl0_inv
	s_and_saveexec_b32 s23, s12
	s_cbranch_execz .LBB1663_806
; %bb.805:                              ;   in Loop: Header=BB1663_730 Depth=2
	ds_read_b32 v202, v70 offset:512
	s_waitcnt lgkmcnt(0)
	v_mov_b32_dpp v203, v202 row_shr:1 row_mask:0xf bank_mask:0xf
	v_cndmask_b32_e64 v203, v203, 0, s20
	v_add_nc_u32_e32 v202, v203, v202
	v_mov_b32_dpp v203, v202 row_shr:2 row_mask:0xf bank_mask:0xf
	v_cndmask_b32_e64 v203, 0, v203, s21
	v_add_nc_u32_e32 v202, v202, v203
	;; [unrolled: 3-line block ×3, first 2 shown]
	ds_write_b32 v70, v202 offset:512
.LBB1663_806:                           ;   in Loop: Header=BB1663_730 Depth=2
	s_or_b32 exec_lo, exec_lo, s23
	v_mov_b32_e32 v202, 0
	s_waitcnt lgkmcnt(0)
	s_barrier
	buffer_gl0_inv
	s_and_saveexec_b32 s23, s11
; %bb.807:                              ;   in Loop: Header=BB1663_730 Depth=2
	ds_read_b32 v202, v62 offset:508
; %bb.808:                              ;   in Loop: Header=BB1663_730 Depth=2
	s_or_b32 exec_lo, exec_lo, s23
	s_waitcnt lgkmcnt(0)
	v_add_nc_u32_e32 v201, v202, v201
	ds_bpermute_b32 v201, v92, v201
	s_waitcnt lgkmcnt(0)
	v_cndmask_b32_e64 v201, v201, v202, s19
	v_cndmask_b32_e64 v201, v201, 0, s13
	v_add_nc_u32_e32 v41, v201, v41
	v_add_nc_u32_e32 v42, v41, v42
	;; [unrolled: 1-line block ×4, first 2 shown]
	ds_write2_b32 v69, v201, v41 offset0:136 offset1:137
	ds_write2_b32 v69, v42, v39 offset0:138 offset1:139
	ds_write_b32 v69, v40 offset:560
	s_waitcnt lgkmcnt(0)
	s_barrier
	buffer_gl0_inv
	ds_read_b32 v39, v154 offset:544
	ds_read_b32 v40, v157 offset:544
	ds_read_b32 v41, v160 offset:544
	ds_read_b32 v42, v162 offset:544
	ds_read_b32 v154, v163 offset:544
	ds_read_b32 v157, v164 offset:544
	ds_read_b32 v201, v165 offset:544
	ds_read_b32 v175, v175 offset:544
	ds_read_b32 v178, v178 offset:544
	ds_read_b32 v181, v181 offset:544
	ds_read_b32 v184, v184 offset:544
	ds_read_b32 v187, v187 offset:544
	ds_read_b32 v190, v190 offset:544
	ds_read_b32 v193, v193 offset:544
	ds_read_b32 v196, v196 offset:544
	ds_read_b32 v199, v199 offset:544
	ds_read_b32 v200, v200 offset:544
	s_and_saveexec_b32 s23, s8
	s_cbranch_execz .LBB1663_812
; %bb.809:                              ;   in Loop: Header=BB1663_730 Depth=2
	v_add_nc_u32_e32 v132, v70, v72
	v_mov_b32_e32 v133, 0x1100
	ds_read_b32 v132, v132 offset:544
	s_and_saveexec_b32 s24, s14
; %bb.810:                              ;   in Loop: Header=BB1663_730 Depth=2
	ds_read_b32 v133, v71 offset:544
; %bb.811:                              ;   in Loop: Header=BB1663_730 Depth=2
	s_or_b32 exec_lo, exec_lo, s24
	s_waitcnt lgkmcnt(0)
	v_sub_nc_u32_e32 v133, v133, v132
.LBB1663_812:                           ;   in Loop: Header=BB1663_730 Depth=2
	s_or_b32 exec_lo, exec_lo, s23
	s_waitcnt lgkmcnt(0)
	s_barrier
	buffer_gl0_inv
	s_and_saveexec_b32 s23, s8
	s_cbranch_execz .LBB1663_814
; %bb.813:                              ;   in Loop: Header=BB1663_730 Depth=2
	ds_read_b32 v160, v43
	s_waitcnt lgkmcnt(0)
	v_sub_nc_u32_e32 v160, v160, v132
	ds_write_b32 v43, v160
.LBB1663_814:                           ;   in Loop: Header=BB1663_730 Depth=2
	s_or_b32 exec_lo, exec_lo, s23
	v_add_nc_u32_e32 v165, v39, v151
	v_add3_u32 v164, v153, v152, v40
	v_add3_u32 v163, v156, v155, v41
	v_add3_u32 v162, v159, v158, v42
	v_add3_u32 v161, v166, v161, v154
	v_add3_u32 v160, v168, v167, v157
	v_add3_u32 v159, v170, v169, v201
	v_add3_u32 v158, v172, v171, v175
	v_add3_u32 v157, v174, v173, v178
	v_add3_u32 v156, v177, v176, v181
	v_add3_u32 v155, v180, v179, v184
	v_add3_u32 v154, v183, v182, v187
	v_add3_u32 v153, v186, v185, v190
	v_add3_u32 v152, v189, v188, v193
	v_add3_u32 v151, v192, v191, v196
	v_add3_u32 v42, v195, v194, v199
	v_add3_u32 v41, v198, v197, v200
	v_cmp_lt_u32_e64 s39, v0, v3
	ds_write_b8 v165, v134 offset:512
	ds_write_b8 v164, v135 offset:512
	;; [unrolled: 1-line block ×17, first 2 shown]
	s_waitcnt lgkmcnt(0)
	s_barrier
	buffer_gl0_inv
	s_and_saveexec_b32 s23, s39
	s_cbranch_execnz .LBB1663_887
; %bb.815:                              ;   in Loop: Header=BB1663_730 Depth=2
	s_or_b32 exec_lo, exec_lo, s23
	v_cmp_lt_u32_e64 s38, v44, v3
	s_and_saveexec_b32 s23, s38
	s_cbranch_execnz .LBB1663_888
.LBB1663_816:                           ;   in Loop: Header=BB1663_730 Depth=2
	s_or_b32 exec_lo, exec_lo, s23
	v_cmp_lt_u32_e64 s37, v47, v3
	s_and_saveexec_b32 s23, s37
	s_cbranch_execnz .LBB1663_889
.LBB1663_817:                           ;   in Loop: Header=BB1663_730 Depth=2
	s_or_b32 exec_lo, exec_lo, s23
	v_cmp_lt_u32_e64 s36, v48, v3
	s_and_saveexec_b32 s23, s36
	s_cbranch_execnz .LBB1663_890
.LBB1663_818:                           ;   in Loop: Header=BB1663_730 Depth=2
	s_or_b32 exec_lo, exec_lo, s23
	v_cmp_lt_u32_e64 s35, v49, v3
	s_and_saveexec_b32 s23, s35
	s_cbranch_execnz .LBB1663_891
.LBB1663_819:                           ;   in Loop: Header=BB1663_730 Depth=2
	s_or_b32 exec_lo, exec_lo, s23
	v_cmp_lt_u32_e64 s34, v50, v3
	s_and_saveexec_b32 s23, s34
	s_cbranch_execnz .LBB1663_892
.LBB1663_820:                           ;   in Loop: Header=BB1663_730 Depth=2
	s_or_b32 exec_lo, exec_lo, s23
	v_cmp_lt_u32_e64 s33, v51, v3
	s_and_saveexec_b32 s23, s33
	s_cbranch_execnz .LBB1663_893
.LBB1663_821:                           ;   in Loop: Header=BB1663_730 Depth=2
	s_or_b32 exec_lo, exec_lo, s23
	v_cmp_lt_u32_e64 s31, v52, v3
	s_and_saveexec_b32 s23, s31
	s_cbranch_execnz .LBB1663_894
.LBB1663_822:                           ;   in Loop: Header=BB1663_730 Depth=2
	s_or_b32 exec_lo, exec_lo, s23
	v_cmp_lt_u32_e64 s30, v53, v3
	s_and_saveexec_b32 s23, s30
	s_cbranch_execnz .LBB1663_895
.LBB1663_823:                           ;   in Loop: Header=BB1663_730 Depth=2
	s_or_b32 exec_lo, exec_lo, s23
	v_cmp_lt_u32_e64 s29, v54, v3
	s_and_saveexec_b32 s23, s29
	s_cbranch_execnz .LBB1663_896
.LBB1663_824:                           ;   in Loop: Header=BB1663_730 Depth=2
	s_or_b32 exec_lo, exec_lo, s23
	v_cmp_lt_u32_e64 s28, v55, v3
	s_and_saveexec_b32 s23, s28
	s_cbranch_execnz .LBB1663_897
.LBB1663_825:                           ;   in Loop: Header=BB1663_730 Depth=2
	s_or_b32 exec_lo, exec_lo, s23
	v_cmp_lt_u32_e64 s27, v56, v3
	s_and_saveexec_b32 s23, s27
	s_cbranch_execnz .LBB1663_898
.LBB1663_826:                           ;   in Loop: Header=BB1663_730 Depth=2
	s_or_b32 exec_lo, exec_lo, s23
	v_cmp_lt_u32_e64 s26, v57, v3
	s_and_saveexec_b32 s23, s26
	s_cbranch_execnz .LBB1663_899
.LBB1663_827:                           ;   in Loop: Header=BB1663_730 Depth=2
	s_or_b32 exec_lo, exec_lo, s23
	v_cmp_lt_u32_e64 s25, v58, v3
	s_and_saveexec_b32 s23, s25
	s_cbranch_execnz .LBB1663_900
.LBB1663_828:                           ;   in Loop: Header=BB1663_730 Depth=2
	s_or_b32 exec_lo, exec_lo, s23
	v_cmp_lt_u32_e64 s24, v59, v3
	s_and_saveexec_b32 s23, s24
	s_cbranch_execnz .LBB1663_901
.LBB1663_829:                           ;   in Loop: Header=BB1663_730 Depth=2
	s_or_b32 exec_lo, exec_lo, s23
	v_cmp_lt_u32_e64 s23, v60, v3
	s_and_saveexec_b32 s40, s23
	s_cbranch_execnz .LBB1663_902
.LBB1663_830:                           ;   in Loop: Header=BB1663_730 Depth=2
	s_or_b32 exec_lo, exec_lo, s40
	v_cmp_lt_u32_e32 vcc_lo, v61, v3
	s_and_saveexec_b32 s40, vcc_lo
	s_cbranch_execz .LBB1663_832
.LBB1663_831:                           ;   in Loop: Header=BB1663_730 Depth=2
	ds_read_u8 v39, v0 offset:4608
	s_waitcnt lgkmcnt(0)
	v_and_b32_e32 v40, 1, v39
	v_lshrrev_b32_e32 v40, s41, v40
	v_and_b32_e32 v40, s62, v40
	v_lshlrev_b32_e32 v40, 2, v40
	ds_read_b32 v40, v40
	s_waitcnt lgkmcnt(0)
	v_add_nc_u32_e32 v40, v40, v61
	global_store_byte v40, v39, s[46:47]
.LBB1663_832:                           ;   in Loop: Header=BB1663_730 Depth=2
	s_or_b32 exec_lo, exec_lo, s40
	s_lshl_b64 s[66:67], s[50:51], 3
	v_add_co_u32 v39, s40, v94, s66
	v_add_co_ci_u32_e64 v40, null, s67, v95, s40
	v_cmp_lt_u32_e64 s40, v93, v3
	s_and_saveexec_b32 s50, s40
	s_xor_b32 s40, exec_lo, s50
	s_cbranch_execnz .LBB1663_903
; %bb.833:                              ;   in Loop: Header=BB1663_730 Depth=2
	s_or_b32 exec_lo, exec_lo, s40
	s_mov_b32 s50, exec_lo
	v_cmpx_lt_u32_e64 v96, v3
	s_cbranch_execnz .LBB1663_904
.LBB1663_834:                           ;   in Loop: Header=BB1663_730 Depth=2
	s_or_b32 exec_lo, exec_lo, s50
	s_mov_b32 s50, exec_lo
	v_cmpx_lt_u32_e64 v97, v3
	s_cbranch_execnz .LBB1663_905
.LBB1663_835:                           ;   in Loop: Header=BB1663_730 Depth=2
	s_or_b32 exec_lo, exec_lo, s50
	s_mov_b32 s50, exec_lo
	v_cmpx_lt_u32_e64 v98, v3
	s_cbranch_execnz .LBB1663_906
.LBB1663_836:                           ;   in Loop: Header=BB1663_730 Depth=2
	s_or_b32 exec_lo, exec_lo, s50
	s_mov_b32 s50, exec_lo
	v_cmpx_lt_u32_e64 v99, v3
	s_cbranch_execnz .LBB1663_907
.LBB1663_837:                           ;   in Loop: Header=BB1663_730 Depth=2
	s_or_b32 exec_lo, exec_lo, s50
	s_mov_b32 s50, exec_lo
	v_cmpx_lt_u32_e64 v100, v3
	s_cbranch_execnz .LBB1663_908
.LBB1663_838:                           ;   in Loop: Header=BB1663_730 Depth=2
	s_or_b32 exec_lo, exec_lo, s50
	s_mov_b32 s50, exec_lo
	v_cmpx_lt_u32_e64 v101, v3
	s_cbranch_execnz .LBB1663_909
.LBB1663_839:                           ;   in Loop: Header=BB1663_730 Depth=2
	s_or_b32 exec_lo, exec_lo, s50
	s_mov_b32 s50, exec_lo
	v_cmpx_lt_u32_e64 v102, v3
	s_cbranch_execnz .LBB1663_910
.LBB1663_840:                           ;   in Loop: Header=BB1663_730 Depth=2
	s_or_b32 exec_lo, exec_lo, s50
	s_mov_b32 s50, exec_lo
	v_cmpx_lt_u32_e64 v103, v3
	s_cbranch_execnz .LBB1663_911
.LBB1663_841:                           ;   in Loop: Header=BB1663_730 Depth=2
	s_or_b32 exec_lo, exec_lo, s50
	s_mov_b32 s50, exec_lo
	v_cmpx_lt_u32_e64 v104, v3
	s_cbranch_execnz .LBB1663_912
.LBB1663_842:                           ;   in Loop: Header=BB1663_730 Depth=2
	s_or_b32 exec_lo, exec_lo, s50
	s_mov_b32 s50, exec_lo
	v_cmpx_lt_u32_e64 v105, v3
	s_cbranch_execnz .LBB1663_913
.LBB1663_843:                           ;   in Loop: Header=BB1663_730 Depth=2
	s_or_b32 exec_lo, exec_lo, s50
	s_mov_b32 s50, exec_lo
	v_cmpx_lt_u32_e64 v106, v3
	s_cbranch_execnz .LBB1663_914
.LBB1663_844:                           ;   in Loop: Header=BB1663_730 Depth=2
	s_or_b32 exec_lo, exec_lo, s50
	s_mov_b32 s50, exec_lo
	v_cmpx_lt_u32_e64 v107, v3
	s_cbranch_execnz .LBB1663_915
.LBB1663_845:                           ;   in Loop: Header=BB1663_730 Depth=2
	s_or_b32 exec_lo, exec_lo, s50
	s_mov_b32 s50, exec_lo
	v_cmpx_lt_u32_e64 v108, v3
	s_cbranch_execnz .LBB1663_916
.LBB1663_846:                           ;   in Loop: Header=BB1663_730 Depth=2
	s_or_b32 exec_lo, exec_lo, s50
	s_mov_b32 s50, exec_lo
	v_cmpx_lt_u32_e64 v109, v3
	s_cbranch_execnz .LBB1663_917
.LBB1663_847:                           ;   in Loop: Header=BB1663_730 Depth=2
	s_or_b32 exec_lo, exec_lo, s50
	s_mov_b32 s50, exec_lo
	v_cmpx_lt_u32_e64 v110, v3
	s_cbranch_execnz .LBB1663_918
.LBB1663_848:                           ;   in Loop: Header=BB1663_730 Depth=2
	s_or_b32 exec_lo, exec_lo, s50
	s_mov_b32 s50, exec_lo
	v_cmpx_lt_u32_e64 v111, v3
	s_cbranch_execnz .LBB1663_919
.LBB1663_849:                           ;   in Loop: Header=BB1663_730 Depth=2
	s_or_b32 exec_lo, exec_lo, s50
	s_and_saveexec_b32 s40, s39
	s_cbranch_execnz .LBB1663_920
.LBB1663_850:                           ;   in Loop: Header=BB1663_730 Depth=2
	s_or_b32 exec_lo, exec_lo, s40
	s_and_saveexec_b32 s40, s38
	s_cbranch_execnz .LBB1663_921
.LBB1663_851:                           ;   in Loop: Header=BB1663_730 Depth=2
	s_or_b32 exec_lo, exec_lo, s40
	s_and_saveexec_b32 s40, s37
	s_cbranch_execnz .LBB1663_922
.LBB1663_852:                           ;   in Loop: Header=BB1663_730 Depth=2
	s_or_b32 exec_lo, exec_lo, s40
	s_and_saveexec_b32 s40, s36
	s_cbranch_execnz .LBB1663_923
.LBB1663_853:                           ;   in Loop: Header=BB1663_730 Depth=2
	s_or_b32 exec_lo, exec_lo, s40
	s_and_saveexec_b32 s40, s35
	s_cbranch_execnz .LBB1663_924
.LBB1663_854:                           ;   in Loop: Header=BB1663_730 Depth=2
	s_or_b32 exec_lo, exec_lo, s40
	s_and_saveexec_b32 s40, s34
	s_cbranch_execnz .LBB1663_925
.LBB1663_855:                           ;   in Loop: Header=BB1663_730 Depth=2
	s_or_b32 exec_lo, exec_lo, s40
	s_and_saveexec_b32 s40, s33
	s_cbranch_execnz .LBB1663_926
.LBB1663_856:                           ;   in Loop: Header=BB1663_730 Depth=2
	s_or_b32 exec_lo, exec_lo, s40
	s_and_saveexec_b32 s40, s31
	s_cbranch_execnz .LBB1663_927
.LBB1663_857:                           ;   in Loop: Header=BB1663_730 Depth=2
	s_or_b32 exec_lo, exec_lo, s40
	s_and_saveexec_b32 s40, s30
	s_cbranch_execnz .LBB1663_928
.LBB1663_858:                           ;   in Loop: Header=BB1663_730 Depth=2
	s_or_b32 exec_lo, exec_lo, s40
	s_and_saveexec_b32 s40, s29
	s_cbranch_execnz .LBB1663_929
.LBB1663_859:                           ;   in Loop: Header=BB1663_730 Depth=2
	s_or_b32 exec_lo, exec_lo, s40
	s_and_saveexec_b32 s40, s28
	s_cbranch_execnz .LBB1663_930
.LBB1663_860:                           ;   in Loop: Header=BB1663_730 Depth=2
	s_or_b32 exec_lo, exec_lo, s40
	s_and_saveexec_b32 s40, s27
	s_cbranch_execnz .LBB1663_931
.LBB1663_861:                           ;   in Loop: Header=BB1663_730 Depth=2
	s_or_b32 exec_lo, exec_lo, s40
	s_and_saveexec_b32 s40, s26
	s_cbranch_execnz .LBB1663_932
.LBB1663_862:                           ;   in Loop: Header=BB1663_730 Depth=2
	s_or_b32 exec_lo, exec_lo, s40
	s_and_saveexec_b32 s40, s25
	s_cbranch_execnz .LBB1663_933
.LBB1663_863:                           ;   in Loop: Header=BB1663_730 Depth=2
	s_or_b32 exec_lo, exec_lo, s40
	s_and_saveexec_b32 s40, s24
	s_cbranch_execnz .LBB1663_934
.LBB1663_864:                           ;   in Loop: Header=BB1663_730 Depth=2
	s_or_b32 exec_lo, exec_lo, s40
	s_and_saveexec_b32 s40, s23
	s_cbranch_execnz .LBB1663_935
.LBB1663_865:                           ;   in Loop: Header=BB1663_730 Depth=2
	s_or_b32 exec_lo, exec_lo, s40
	s_and_saveexec_b32 s40, vcc_lo
	s_cbranch_execz .LBB1663_867
.LBB1663_866:                           ;   in Loop: Header=BB1663_730 Depth=2
	ds_read_u8 v3, v0 offset:4608
	s_waitcnt lgkmcnt(0)
	v_lshrrev_b32_e32 v3, s41, v3
	v_and_b32_e32 v115, s62, v3
.LBB1663_867:                           ;   in Loop: Header=BB1663_730 Depth=2
	s_or_b32 exec_lo, exec_lo, s40
	v_lshlrev_b32_e32 v3, 3, v165
	v_lshlrev_b32_e32 v39, 3, v164
	s_waitcnt vmcnt(0)
	s_waitcnt_vscnt null, 0x0
	s_barrier
	buffer_gl0_inv
	ds_write_b64 v3, v[37:38] offset:512
	ds_write_b64 v39, v[35:36] offset:512
	v_lshlrev_b32_e32 v3, 3, v163
	v_lshlrev_b32_e32 v39, 3, v162
	v_lshlrev_b32_e32 v40, 3, v161
	v_lshlrev_b32_e32 v134, 3, v160
	v_lshlrev_b32_e32 v135, 3, v159
	ds_write_b64 v3, v[33:34] offset:512
	ds_write_b64 v39, v[31:32] offset:512
	ds_write_b64 v40, v[29:30] offset:512
	ds_write_b64 v134, v[25:26] offset:512
	ds_write_b64 v135, v[21:22] offset:512
	v_lshlrev_b32_e32 v3, 3, v158
	v_lshlrev_b32_e32 v39, 3, v157
	v_lshlrev_b32_e32 v40, 3, v156
	v_lshlrev_b32_e32 v134, 3, v155
	v_lshlrev_b32_e32 v135, 3, v154
	ds_write_b64 v3, v[17:18] offset:512
	ds_write_b64 v39, v[27:28] offset:512
	ds_write_b64 v40, v[23:24] offset:512
	;; [unrolled: 10-line block ×3, first 2 shown]
	ds_write_b64 v42, v[7:8] offset:512
	ds_write_b64 v41, v[5:6] offset:512
	s_waitcnt lgkmcnt(0)
	s_barrier
	buffer_gl0_inv
	s_and_saveexec_b32 s40, s39
	s_cbranch_execnz .LBB1663_936
; %bb.868:                              ;   in Loop: Header=BB1663_730 Depth=2
	s_or_b32 exec_lo, exec_lo, s40
	s_and_saveexec_b32 s39, s38
	s_cbranch_execnz .LBB1663_937
.LBB1663_869:                           ;   in Loop: Header=BB1663_730 Depth=2
	s_or_b32 exec_lo, exec_lo, s39
	s_and_saveexec_b32 s38, s37
	s_cbranch_execnz .LBB1663_938
.LBB1663_870:                           ;   in Loop: Header=BB1663_730 Depth=2
	s_or_b32 exec_lo, exec_lo, s38
	s_and_saveexec_b32 s37, s36
	s_cbranch_execnz .LBB1663_939
.LBB1663_871:                           ;   in Loop: Header=BB1663_730 Depth=2
	s_or_b32 exec_lo, exec_lo, s37
	s_and_saveexec_b32 s36, s35
	s_cbranch_execnz .LBB1663_940
.LBB1663_872:                           ;   in Loop: Header=BB1663_730 Depth=2
	s_or_b32 exec_lo, exec_lo, s36
	s_and_saveexec_b32 s35, s34
	s_cbranch_execnz .LBB1663_941
.LBB1663_873:                           ;   in Loop: Header=BB1663_730 Depth=2
	s_or_b32 exec_lo, exec_lo, s35
	s_and_saveexec_b32 s34, s33
	s_cbranch_execnz .LBB1663_942
.LBB1663_874:                           ;   in Loop: Header=BB1663_730 Depth=2
	s_or_b32 exec_lo, exec_lo, s34
	s_and_saveexec_b32 s33, s31
	s_cbranch_execnz .LBB1663_943
.LBB1663_875:                           ;   in Loop: Header=BB1663_730 Depth=2
	s_or_b32 exec_lo, exec_lo, s33
	s_and_saveexec_b32 s31, s30
	s_cbranch_execnz .LBB1663_944
.LBB1663_876:                           ;   in Loop: Header=BB1663_730 Depth=2
	s_or_b32 exec_lo, exec_lo, s31
	s_and_saveexec_b32 s30, s29
	s_cbranch_execnz .LBB1663_945
.LBB1663_877:                           ;   in Loop: Header=BB1663_730 Depth=2
	s_or_b32 exec_lo, exec_lo, s30
	s_and_saveexec_b32 s29, s28
	s_cbranch_execnz .LBB1663_946
.LBB1663_878:                           ;   in Loop: Header=BB1663_730 Depth=2
	s_or_b32 exec_lo, exec_lo, s29
	s_and_saveexec_b32 s28, s27
	s_cbranch_execnz .LBB1663_947
.LBB1663_879:                           ;   in Loop: Header=BB1663_730 Depth=2
	s_or_b32 exec_lo, exec_lo, s28
	s_and_saveexec_b32 s27, s26
	s_cbranch_execnz .LBB1663_948
.LBB1663_880:                           ;   in Loop: Header=BB1663_730 Depth=2
	s_or_b32 exec_lo, exec_lo, s27
	s_and_saveexec_b32 s26, s25
	s_cbranch_execnz .LBB1663_949
.LBB1663_881:                           ;   in Loop: Header=BB1663_730 Depth=2
	s_or_b32 exec_lo, exec_lo, s26
	s_and_saveexec_b32 s25, s24
	s_cbranch_execnz .LBB1663_950
.LBB1663_882:                           ;   in Loop: Header=BB1663_730 Depth=2
	s_or_b32 exec_lo, exec_lo, s25
	s_and_saveexec_b32 s24, s23
	s_cbranch_execnz .LBB1663_951
.LBB1663_883:                           ;   in Loop: Header=BB1663_730 Depth=2
	s_or_b32 exec_lo, exec_lo, s24
	s_and_saveexec_b32 s23, vcc_lo
	s_cbranch_execz .LBB1663_885
.LBB1663_884:                           ;   in Loop: Header=BB1663_730 Depth=2
	v_lshlrev_b32_e32 v3, 2, v115
	v_add_nc_u32_e32 v39, v0, v75
	ds_read_b32 v3, v3
	ds_read_b64 v[39:40], v39 offset:33280
	s_waitcnt lgkmcnt(1)
	v_add_nc_u32_e32 v3, v3, v61
	v_lshlrev_b64 v[41:42], 3, v[3:4]
	v_add_co_u32 v41, vcc_lo, s52, v41
	v_add_co_ci_u32_e64 v42, null, s53, v42, vcc_lo
	s_waitcnt lgkmcnt(0)
	global_store_dwordx2 v[41:42], v[39:40], off
.LBB1663_885:                           ;   in Loop: Header=BB1663_730 Depth=2
	s_or_b32 exec_lo, exec_lo, s23
	s_waitcnt_vscnt null, 0x0
	s_barrier
	buffer_gl0_inv
	s_and_saveexec_b32 s23, s8
	s_cbranch_execz .LBB1663_729
; %bb.886:                              ;   in Loop: Header=BB1663_730 Depth=2
	ds_read_b32 v3, v43
	s_waitcnt lgkmcnt(0)
	v_add3_u32 v3, v132, v133, v3
	ds_write_b32 v43, v3
	s_branch .LBB1663_729
.LBB1663_887:                           ;   in Loop: Header=BB1663_730 Depth=2
	ds_read_u8 v39, v0 offset:512
	s_waitcnt lgkmcnt(0)
	v_and_b32_e32 v40, 1, v39
	v_lshrrev_b32_e32 v40, s41, v40
	v_and_b32_e32 v40, s62, v40
	v_lshlrev_b32_e32 v40, 2, v40
	ds_read_b32 v40, v40
	s_waitcnt lgkmcnt(0)
	v_add_nc_u32_e32 v40, v40, v0
	global_store_byte v40, v39, s[46:47]
	s_or_b32 exec_lo, exec_lo, s23
	v_cmp_lt_u32_e64 s38, v44, v3
	s_and_saveexec_b32 s23, s38
	s_cbranch_execz .LBB1663_816
.LBB1663_888:                           ;   in Loop: Header=BB1663_730 Depth=2
	ds_read_u8 v39, v0 offset:768
	s_waitcnt lgkmcnt(0)
	v_and_b32_e32 v40, 1, v39
	v_lshrrev_b32_e32 v40, s41, v40
	v_and_b32_e32 v40, s62, v40
	v_lshlrev_b32_e32 v40, 2, v40
	ds_read_b32 v40, v40
	s_waitcnt lgkmcnt(0)
	v_add_nc_u32_e32 v40, v40, v44
	global_store_byte v40, v39, s[46:47]
	s_or_b32 exec_lo, exec_lo, s23
	v_cmp_lt_u32_e64 s37, v47, v3
	s_and_saveexec_b32 s23, s37
	s_cbranch_execz .LBB1663_817
.LBB1663_889:                           ;   in Loop: Header=BB1663_730 Depth=2
	ds_read_u8 v39, v0 offset:1024
	s_waitcnt lgkmcnt(0)
	v_and_b32_e32 v40, 1, v39
	v_lshrrev_b32_e32 v40, s41, v40
	v_and_b32_e32 v40, s62, v40
	v_lshlrev_b32_e32 v40, 2, v40
	ds_read_b32 v40, v40
	s_waitcnt lgkmcnt(0)
	v_add_nc_u32_e32 v40, v40, v47
	global_store_byte v40, v39, s[46:47]
	s_or_b32 exec_lo, exec_lo, s23
	v_cmp_lt_u32_e64 s36, v48, v3
	s_and_saveexec_b32 s23, s36
	s_cbranch_execz .LBB1663_818
.LBB1663_890:                           ;   in Loop: Header=BB1663_730 Depth=2
	ds_read_u8 v39, v0 offset:1280
	s_waitcnt lgkmcnt(0)
	v_and_b32_e32 v40, 1, v39
	v_lshrrev_b32_e32 v40, s41, v40
	v_and_b32_e32 v40, s62, v40
	v_lshlrev_b32_e32 v40, 2, v40
	ds_read_b32 v40, v40
	s_waitcnt lgkmcnt(0)
	v_add_nc_u32_e32 v40, v40, v48
	global_store_byte v40, v39, s[46:47]
	s_or_b32 exec_lo, exec_lo, s23
	v_cmp_lt_u32_e64 s35, v49, v3
	s_and_saveexec_b32 s23, s35
	s_cbranch_execz .LBB1663_819
.LBB1663_891:                           ;   in Loop: Header=BB1663_730 Depth=2
	ds_read_u8 v39, v0 offset:1536
	s_waitcnt lgkmcnt(0)
	v_and_b32_e32 v40, 1, v39
	v_lshrrev_b32_e32 v40, s41, v40
	v_and_b32_e32 v40, s62, v40
	v_lshlrev_b32_e32 v40, 2, v40
	ds_read_b32 v40, v40
	s_waitcnt lgkmcnt(0)
	v_add_nc_u32_e32 v40, v40, v49
	global_store_byte v40, v39, s[46:47]
	s_or_b32 exec_lo, exec_lo, s23
	v_cmp_lt_u32_e64 s34, v50, v3
	s_and_saveexec_b32 s23, s34
	s_cbranch_execz .LBB1663_820
.LBB1663_892:                           ;   in Loop: Header=BB1663_730 Depth=2
	ds_read_u8 v39, v0 offset:1792
	s_waitcnt lgkmcnt(0)
	v_and_b32_e32 v40, 1, v39
	v_lshrrev_b32_e32 v40, s41, v40
	v_and_b32_e32 v40, s62, v40
	v_lshlrev_b32_e32 v40, 2, v40
	ds_read_b32 v40, v40
	s_waitcnt lgkmcnt(0)
	v_add_nc_u32_e32 v40, v40, v50
	global_store_byte v40, v39, s[46:47]
	s_or_b32 exec_lo, exec_lo, s23
	v_cmp_lt_u32_e64 s33, v51, v3
	s_and_saveexec_b32 s23, s33
	s_cbranch_execz .LBB1663_821
.LBB1663_893:                           ;   in Loop: Header=BB1663_730 Depth=2
	ds_read_u8 v39, v0 offset:2048
	s_waitcnt lgkmcnt(0)
	v_and_b32_e32 v40, 1, v39
	v_lshrrev_b32_e32 v40, s41, v40
	v_and_b32_e32 v40, s62, v40
	v_lshlrev_b32_e32 v40, 2, v40
	ds_read_b32 v40, v40
	s_waitcnt lgkmcnt(0)
	v_add_nc_u32_e32 v40, v40, v51
	global_store_byte v40, v39, s[46:47]
	s_or_b32 exec_lo, exec_lo, s23
	v_cmp_lt_u32_e64 s31, v52, v3
	s_and_saveexec_b32 s23, s31
	s_cbranch_execz .LBB1663_822
.LBB1663_894:                           ;   in Loop: Header=BB1663_730 Depth=2
	ds_read_u8 v39, v0 offset:2304
	s_waitcnt lgkmcnt(0)
	v_and_b32_e32 v40, 1, v39
	v_lshrrev_b32_e32 v40, s41, v40
	v_and_b32_e32 v40, s62, v40
	v_lshlrev_b32_e32 v40, 2, v40
	ds_read_b32 v40, v40
	s_waitcnt lgkmcnt(0)
	v_add_nc_u32_e32 v40, v40, v52
	global_store_byte v40, v39, s[46:47]
	s_or_b32 exec_lo, exec_lo, s23
	v_cmp_lt_u32_e64 s30, v53, v3
	s_and_saveexec_b32 s23, s30
	s_cbranch_execz .LBB1663_823
.LBB1663_895:                           ;   in Loop: Header=BB1663_730 Depth=2
	ds_read_u8 v39, v0 offset:2560
	s_waitcnt lgkmcnt(0)
	v_and_b32_e32 v40, 1, v39
	v_lshrrev_b32_e32 v40, s41, v40
	v_and_b32_e32 v40, s62, v40
	v_lshlrev_b32_e32 v40, 2, v40
	ds_read_b32 v40, v40
	s_waitcnt lgkmcnt(0)
	v_add_nc_u32_e32 v40, v40, v53
	global_store_byte v40, v39, s[46:47]
	s_or_b32 exec_lo, exec_lo, s23
	v_cmp_lt_u32_e64 s29, v54, v3
	s_and_saveexec_b32 s23, s29
	s_cbranch_execz .LBB1663_824
.LBB1663_896:                           ;   in Loop: Header=BB1663_730 Depth=2
	ds_read_u8 v39, v0 offset:2816
	s_waitcnt lgkmcnt(0)
	v_and_b32_e32 v40, 1, v39
	v_lshrrev_b32_e32 v40, s41, v40
	v_and_b32_e32 v40, s62, v40
	v_lshlrev_b32_e32 v40, 2, v40
	ds_read_b32 v40, v40
	s_waitcnt lgkmcnt(0)
	v_add_nc_u32_e32 v40, v40, v54
	global_store_byte v40, v39, s[46:47]
	s_or_b32 exec_lo, exec_lo, s23
	v_cmp_lt_u32_e64 s28, v55, v3
	s_and_saveexec_b32 s23, s28
	s_cbranch_execz .LBB1663_825
.LBB1663_897:                           ;   in Loop: Header=BB1663_730 Depth=2
	ds_read_u8 v39, v0 offset:3072
	s_waitcnt lgkmcnt(0)
	v_and_b32_e32 v40, 1, v39
	v_lshrrev_b32_e32 v40, s41, v40
	v_and_b32_e32 v40, s62, v40
	v_lshlrev_b32_e32 v40, 2, v40
	ds_read_b32 v40, v40
	s_waitcnt lgkmcnt(0)
	v_add_nc_u32_e32 v40, v40, v55
	global_store_byte v40, v39, s[46:47]
	s_or_b32 exec_lo, exec_lo, s23
	v_cmp_lt_u32_e64 s27, v56, v3
	s_and_saveexec_b32 s23, s27
	s_cbranch_execz .LBB1663_826
.LBB1663_898:                           ;   in Loop: Header=BB1663_730 Depth=2
	ds_read_u8 v39, v0 offset:3328
	s_waitcnt lgkmcnt(0)
	v_and_b32_e32 v40, 1, v39
	v_lshrrev_b32_e32 v40, s41, v40
	v_and_b32_e32 v40, s62, v40
	v_lshlrev_b32_e32 v40, 2, v40
	ds_read_b32 v40, v40
	s_waitcnt lgkmcnt(0)
	v_add_nc_u32_e32 v40, v40, v56
	global_store_byte v40, v39, s[46:47]
	s_or_b32 exec_lo, exec_lo, s23
	v_cmp_lt_u32_e64 s26, v57, v3
	s_and_saveexec_b32 s23, s26
	s_cbranch_execz .LBB1663_827
.LBB1663_899:                           ;   in Loop: Header=BB1663_730 Depth=2
	ds_read_u8 v39, v0 offset:3584
	s_waitcnt lgkmcnt(0)
	v_and_b32_e32 v40, 1, v39
	v_lshrrev_b32_e32 v40, s41, v40
	v_and_b32_e32 v40, s62, v40
	v_lshlrev_b32_e32 v40, 2, v40
	ds_read_b32 v40, v40
	s_waitcnt lgkmcnt(0)
	v_add_nc_u32_e32 v40, v40, v57
	global_store_byte v40, v39, s[46:47]
	s_or_b32 exec_lo, exec_lo, s23
	v_cmp_lt_u32_e64 s25, v58, v3
	s_and_saveexec_b32 s23, s25
	s_cbranch_execz .LBB1663_828
.LBB1663_900:                           ;   in Loop: Header=BB1663_730 Depth=2
	ds_read_u8 v39, v0 offset:3840
	s_waitcnt lgkmcnt(0)
	v_and_b32_e32 v40, 1, v39
	v_lshrrev_b32_e32 v40, s41, v40
	v_and_b32_e32 v40, s62, v40
	v_lshlrev_b32_e32 v40, 2, v40
	ds_read_b32 v40, v40
	s_waitcnt lgkmcnt(0)
	v_add_nc_u32_e32 v40, v40, v58
	global_store_byte v40, v39, s[46:47]
	s_or_b32 exec_lo, exec_lo, s23
	v_cmp_lt_u32_e64 s24, v59, v3
	s_and_saveexec_b32 s23, s24
	s_cbranch_execz .LBB1663_829
.LBB1663_901:                           ;   in Loop: Header=BB1663_730 Depth=2
	ds_read_u8 v39, v0 offset:4096
	s_waitcnt lgkmcnt(0)
	v_and_b32_e32 v40, 1, v39
	v_lshrrev_b32_e32 v40, s41, v40
	v_and_b32_e32 v40, s62, v40
	v_lshlrev_b32_e32 v40, 2, v40
	ds_read_b32 v40, v40
	s_waitcnt lgkmcnt(0)
	v_add_nc_u32_e32 v40, v40, v59
	global_store_byte v40, v39, s[46:47]
	s_or_b32 exec_lo, exec_lo, s23
	v_cmp_lt_u32_e64 s23, v60, v3
	s_and_saveexec_b32 s40, s23
	s_cbranch_execz .LBB1663_830
.LBB1663_902:                           ;   in Loop: Header=BB1663_730 Depth=2
	ds_read_u8 v39, v0 offset:4352
	s_waitcnt lgkmcnt(0)
	v_and_b32_e32 v40, 1, v39
	v_lshrrev_b32_e32 v40, s41, v40
	v_and_b32_e32 v40, s62, v40
	v_lshlrev_b32_e32 v40, 2, v40
	ds_read_b32 v40, v40
	s_waitcnt lgkmcnt(0)
	v_add_nc_u32_e32 v40, v40, v60
	global_store_byte v40, v39, s[46:47]
	s_or_b32 exec_lo, exec_lo, s40
	v_cmp_lt_u32_e32 vcc_lo, v61, v3
	s_and_saveexec_b32 s40, vcc_lo
	s_cbranch_execnz .LBB1663_831
	s_branch .LBB1663_832
.LBB1663_903:                           ;   in Loop: Header=BB1663_730 Depth=2
	global_load_dwordx2 v[37:38], v[39:40], off
	s_or_b32 exec_lo, exec_lo, s40
	s_mov_b32 s50, exec_lo
	v_cmpx_lt_u32_e64 v96, v3
	s_cbranch_execz .LBB1663_834
.LBB1663_904:                           ;   in Loop: Header=BB1663_730 Depth=2
	global_load_dwordx2 v[35:36], v[39:40], off offset:256
	s_or_b32 exec_lo, exec_lo, s50
	s_mov_b32 s50, exec_lo
	v_cmpx_lt_u32_e64 v97, v3
	s_cbranch_execz .LBB1663_835
.LBB1663_905:                           ;   in Loop: Header=BB1663_730 Depth=2
	global_load_dwordx2 v[33:34], v[39:40], off offset:512
	s_or_b32 exec_lo, exec_lo, s50
	s_mov_b32 s50, exec_lo
	v_cmpx_lt_u32_e64 v98, v3
	s_cbranch_execz .LBB1663_836
.LBB1663_906:                           ;   in Loop: Header=BB1663_730 Depth=2
	global_load_dwordx2 v[31:32], v[39:40], off offset:768
	s_or_b32 exec_lo, exec_lo, s50
	s_mov_b32 s50, exec_lo
	v_cmpx_lt_u32_e64 v99, v3
	s_cbranch_execz .LBB1663_837
.LBB1663_907:                           ;   in Loop: Header=BB1663_730 Depth=2
	global_load_dwordx2 v[29:30], v[39:40], off offset:1024
	s_or_b32 exec_lo, exec_lo, s50
	s_mov_b32 s50, exec_lo
	v_cmpx_lt_u32_e64 v100, v3
	s_cbranch_execz .LBB1663_838
.LBB1663_908:                           ;   in Loop: Header=BB1663_730 Depth=2
	global_load_dwordx2 v[25:26], v[39:40], off offset:1280
	s_or_b32 exec_lo, exec_lo, s50
	s_mov_b32 s50, exec_lo
	v_cmpx_lt_u32_e64 v101, v3
	s_cbranch_execz .LBB1663_839
.LBB1663_909:                           ;   in Loop: Header=BB1663_730 Depth=2
	global_load_dwordx2 v[21:22], v[39:40], off offset:1536
	s_or_b32 exec_lo, exec_lo, s50
	s_mov_b32 s50, exec_lo
	v_cmpx_lt_u32_e64 v102, v3
	s_cbranch_execz .LBB1663_840
.LBB1663_910:                           ;   in Loop: Header=BB1663_730 Depth=2
	global_load_dwordx2 v[17:18], v[39:40], off offset:1792
	s_or_b32 exec_lo, exec_lo, s50
	s_mov_b32 s50, exec_lo
	v_cmpx_lt_u32_e64 v103, v3
	s_cbranch_execz .LBB1663_841
.LBB1663_911:                           ;   in Loop: Header=BB1663_730 Depth=2
	v_add_co_u32 v27, s40, 0x800, v39
	v_add_co_ci_u32_e64 v28, null, 0, v40, s40
	global_load_dwordx2 v[27:28], v[27:28], off
	s_or_b32 exec_lo, exec_lo, s50
	s_mov_b32 s50, exec_lo
	v_cmpx_lt_u32_e64 v104, v3
	s_cbranch_execz .LBB1663_842
.LBB1663_912:                           ;   in Loop: Header=BB1663_730 Depth=2
	v_add_co_u32 v23, s40, 0x800, v39
	v_add_co_ci_u32_e64 v24, null, 0, v40, s40
	global_load_dwordx2 v[23:24], v[23:24], off offset:256
	s_or_b32 exec_lo, exec_lo, s50
	s_mov_b32 s50, exec_lo
	v_cmpx_lt_u32_e64 v105, v3
	s_cbranch_execz .LBB1663_843
.LBB1663_913:                           ;   in Loop: Header=BB1663_730 Depth=2
	v_add_co_u32 v19, s40, 0x800, v39
	v_add_co_ci_u32_e64 v20, null, 0, v40, s40
	global_load_dwordx2 v[19:20], v[19:20], off offset:512
	s_or_b32 exec_lo, exec_lo, s50
	s_mov_b32 s50, exec_lo
	v_cmpx_lt_u32_e64 v106, v3
	s_cbranch_execz .LBB1663_844
.LBB1663_914:                           ;   in Loop: Header=BB1663_730 Depth=2
	v_add_co_u32 v15, s40, 0x800, v39
	v_add_co_ci_u32_e64 v16, null, 0, v40, s40
	global_load_dwordx2 v[15:16], v[15:16], off offset:768
	s_or_b32 exec_lo, exec_lo, s50
	s_mov_b32 s50, exec_lo
	v_cmpx_lt_u32_e64 v107, v3
	s_cbranch_execz .LBB1663_845
.LBB1663_915:                           ;   in Loop: Header=BB1663_730 Depth=2
	v_add_co_u32 v13, s40, 0x800, v39
	v_add_co_ci_u32_e64 v14, null, 0, v40, s40
	global_load_dwordx2 v[13:14], v[13:14], off offset:1024
	s_or_b32 exec_lo, exec_lo, s50
	s_mov_b32 s50, exec_lo
	v_cmpx_lt_u32_e64 v108, v3
	s_cbranch_execz .LBB1663_846
.LBB1663_916:                           ;   in Loop: Header=BB1663_730 Depth=2
	v_add_co_u32 v11, s40, 0x800, v39
	v_add_co_ci_u32_e64 v12, null, 0, v40, s40
	global_load_dwordx2 v[11:12], v[11:12], off offset:1280
	s_or_b32 exec_lo, exec_lo, s50
	s_mov_b32 s50, exec_lo
	v_cmpx_lt_u32_e64 v109, v3
	s_cbranch_execz .LBB1663_847
.LBB1663_917:                           ;   in Loop: Header=BB1663_730 Depth=2
	v_add_co_u32 v9, s40, 0x800, v39
	v_add_co_ci_u32_e64 v10, null, 0, v40, s40
	global_load_dwordx2 v[9:10], v[9:10], off offset:1536
	s_or_b32 exec_lo, exec_lo, s50
	s_mov_b32 s50, exec_lo
	v_cmpx_lt_u32_e64 v110, v3
	s_cbranch_execz .LBB1663_848
.LBB1663_918:                           ;   in Loop: Header=BB1663_730 Depth=2
	v_add_co_u32 v7, s40, 0x800, v39
	v_add_co_ci_u32_e64 v8, null, 0, v40, s40
	global_load_dwordx2 v[7:8], v[7:8], off offset:1792
	s_or_b32 exec_lo, exec_lo, s50
	s_mov_b32 s50, exec_lo
	v_cmpx_lt_u32_e64 v111, v3
	s_cbranch_execz .LBB1663_849
.LBB1663_919:                           ;   in Loop: Header=BB1663_730 Depth=2
	v_add_co_u32 v5, s40, 0x1000, v39
	v_add_co_ci_u32_e64 v6, null, 0, v40, s40
	global_load_dwordx2 v[5:6], v[5:6], off
	s_or_b32 exec_lo, exec_lo, s50
	s_and_saveexec_b32 s40, s39
	s_cbranch_execz .LBB1663_850
.LBB1663_920:                           ;   in Loop: Header=BB1663_730 Depth=2
	ds_read_u8 v3, v0 offset:512
	s_waitcnt lgkmcnt(0)
	v_lshrrev_b32_e32 v3, s41, v3
	v_and_b32_e32 v131, s62, v3
	s_or_b32 exec_lo, exec_lo, s40
	s_and_saveexec_b32 s40, s38
	s_cbranch_execz .LBB1663_851
.LBB1663_921:                           ;   in Loop: Header=BB1663_730 Depth=2
	ds_read_u8 v3, v0 offset:768
	s_waitcnt lgkmcnt(0)
	v_lshrrev_b32_e32 v3, s41, v3
	v_and_b32_e32 v130, s62, v3
	s_or_b32 exec_lo, exec_lo, s40
	s_and_saveexec_b32 s40, s37
	s_cbranch_execz .LBB1663_852
.LBB1663_922:                           ;   in Loop: Header=BB1663_730 Depth=2
	ds_read_u8 v3, v0 offset:1024
	s_waitcnt lgkmcnt(0)
	v_lshrrev_b32_e32 v3, s41, v3
	v_and_b32_e32 v129, s62, v3
	s_or_b32 exec_lo, exec_lo, s40
	s_and_saveexec_b32 s40, s36
	s_cbranch_execz .LBB1663_853
.LBB1663_923:                           ;   in Loop: Header=BB1663_730 Depth=2
	ds_read_u8 v3, v0 offset:1280
	s_waitcnt lgkmcnt(0)
	v_lshrrev_b32_e32 v3, s41, v3
	v_and_b32_e32 v128, s62, v3
	s_or_b32 exec_lo, exec_lo, s40
	s_and_saveexec_b32 s40, s35
	s_cbranch_execz .LBB1663_854
.LBB1663_924:                           ;   in Loop: Header=BB1663_730 Depth=2
	ds_read_u8 v3, v0 offset:1536
	s_waitcnt lgkmcnt(0)
	v_lshrrev_b32_e32 v3, s41, v3
	v_and_b32_e32 v127, s62, v3
	s_or_b32 exec_lo, exec_lo, s40
	s_and_saveexec_b32 s40, s34
	s_cbranch_execz .LBB1663_855
.LBB1663_925:                           ;   in Loop: Header=BB1663_730 Depth=2
	ds_read_u8 v3, v0 offset:1792
	s_waitcnt lgkmcnt(0)
	v_lshrrev_b32_e32 v3, s41, v3
	v_and_b32_e32 v126, s62, v3
	s_or_b32 exec_lo, exec_lo, s40
	s_and_saveexec_b32 s40, s33
	s_cbranch_execz .LBB1663_856
.LBB1663_926:                           ;   in Loop: Header=BB1663_730 Depth=2
	ds_read_u8 v3, v0 offset:2048
	s_waitcnt lgkmcnt(0)
	v_lshrrev_b32_e32 v3, s41, v3
	v_and_b32_e32 v125, s62, v3
	s_or_b32 exec_lo, exec_lo, s40
	s_and_saveexec_b32 s40, s31
	s_cbranch_execz .LBB1663_857
.LBB1663_927:                           ;   in Loop: Header=BB1663_730 Depth=2
	ds_read_u8 v3, v0 offset:2304
	s_waitcnt lgkmcnt(0)
	v_lshrrev_b32_e32 v3, s41, v3
	v_and_b32_e32 v124, s62, v3
	s_or_b32 exec_lo, exec_lo, s40
	s_and_saveexec_b32 s40, s30
	s_cbranch_execz .LBB1663_858
.LBB1663_928:                           ;   in Loop: Header=BB1663_730 Depth=2
	ds_read_u8 v3, v0 offset:2560
	s_waitcnt lgkmcnt(0)
	v_lshrrev_b32_e32 v3, s41, v3
	v_and_b32_e32 v123, s62, v3
	s_or_b32 exec_lo, exec_lo, s40
	s_and_saveexec_b32 s40, s29
	s_cbranch_execz .LBB1663_859
.LBB1663_929:                           ;   in Loop: Header=BB1663_730 Depth=2
	ds_read_u8 v3, v0 offset:2816
	s_waitcnt lgkmcnt(0)
	v_lshrrev_b32_e32 v3, s41, v3
	v_and_b32_e32 v122, s62, v3
	s_or_b32 exec_lo, exec_lo, s40
	s_and_saveexec_b32 s40, s28
	s_cbranch_execz .LBB1663_860
.LBB1663_930:                           ;   in Loop: Header=BB1663_730 Depth=2
	ds_read_u8 v3, v0 offset:3072
	s_waitcnt lgkmcnt(0)
	v_lshrrev_b32_e32 v3, s41, v3
	v_and_b32_e32 v121, s62, v3
	s_or_b32 exec_lo, exec_lo, s40
	s_and_saveexec_b32 s40, s27
	s_cbranch_execz .LBB1663_861
.LBB1663_931:                           ;   in Loop: Header=BB1663_730 Depth=2
	ds_read_u8 v3, v0 offset:3328
	s_waitcnt lgkmcnt(0)
	v_lshrrev_b32_e32 v3, s41, v3
	v_and_b32_e32 v120, s62, v3
	s_or_b32 exec_lo, exec_lo, s40
	s_and_saveexec_b32 s40, s26
	s_cbranch_execz .LBB1663_862
.LBB1663_932:                           ;   in Loop: Header=BB1663_730 Depth=2
	ds_read_u8 v3, v0 offset:3584
	s_waitcnt lgkmcnt(0)
	v_lshrrev_b32_e32 v3, s41, v3
	v_and_b32_e32 v119, s62, v3
	s_or_b32 exec_lo, exec_lo, s40
	s_and_saveexec_b32 s40, s25
	s_cbranch_execz .LBB1663_863
.LBB1663_933:                           ;   in Loop: Header=BB1663_730 Depth=2
	ds_read_u8 v3, v0 offset:3840
	s_waitcnt lgkmcnt(0)
	v_lshrrev_b32_e32 v3, s41, v3
	v_and_b32_e32 v118, s62, v3
	s_or_b32 exec_lo, exec_lo, s40
	s_and_saveexec_b32 s40, s24
	s_cbranch_execz .LBB1663_864
.LBB1663_934:                           ;   in Loop: Header=BB1663_730 Depth=2
	ds_read_u8 v3, v0 offset:4096
	s_waitcnt lgkmcnt(0)
	v_lshrrev_b32_e32 v3, s41, v3
	v_and_b32_e32 v117, s62, v3
	s_or_b32 exec_lo, exec_lo, s40
	s_and_saveexec_b32 s40, s23
	s_cbranch_execz .LBB1663_865
.LBB1663_935:                           ;   in Loop: Header=BB1663_730 Depth=2
	ds_read_u8 v3, v0 offset:4352
	s_waitcnt lgkmcnt(0)
	v_lshrrev_b32_e32 v3, s41, v3
	v_and_b32_e32 v116, s62, v3
	s_or_b32 exec_lo, exec_lo, s40
	s_and_saveexec_b32 s40, vcc_lo
	s_cbranch_execnz .LBB1663_866
	s_branch .LBB1663_867
.LBB1663_936:                           ;   in Loop: Header=BB1663_730 Depth=2
	v_lshlrev_b32_e32 v3, 2, v131
	v_add_nc_u32_e32 v39, v0, v75
	ds_read_b32 v3, v3
	ds_read_b64 v[39:40], v39 offset:512
	s_waitcnt lgkmcnt(1)
	v_add_nc_u32_e32 v3, v3, v0
	v_lshlrev_b64 v[41:42], 3, v[3:4]
	v_add_co_u32 v41, s39, s52, v41
	v_add_co_ci_u32_e64 v42, null, s53, v42, s39
	s_waitcnt lgkmcnt(0)
	global_store_dwordx2 v[41:42], v[39:40], off
	s_or_b32 exec_lo, exec_lo, s40
	s_and_saveexec_b32 s39, s38
	s_cbranch_execz .LBB1663_869
.LBB1663_937:                           ;   in Loop: Header=BB1663_730 Depth=2
	v_lshlrev_b32_e32 v3, 2, v130
	v_add_nc_u32_e32 v39, v0, v75
	ds_read_b32 v3, v3
	ds_read_b64 v[39:40], v39 offset:2560
	s_waitcnt lgkmcnt(1)
	v_add_nc_u32_e32 v3, v3, v44
	v_lshlrev_b64 v[41:42], 3, v[3:4]
	v_add_co_u32 v41, s38, s52, v41
	v_add_co_ci_u32_e64 v42, null, s53, v42, s38
	s_waitcnt lgkmcnt(0)
	global_store_dwordx2 v[41:42], v[39:40], off
	s_or_b32 exec_lo, exec_lo, s39
	s_and_saveexec_b32 s38, s37
	s_cbranch_execz .LBB1663_870
.LBB1663_938:                           ;   in Loop: Header=BB1663_730 Depth=2
	v_lshlrev_b32_e32 v3, 2, v129
	v_add_nc_u32_e32 v39, v0, v75
	ds_read_b32 v3, v3
	ds_read_b64 v[39:40], v39 offset:4608
	s_waitcnt lgkmcnt(1)
	v_add_nc_u32_e32 v3, v3, v47
	v_lshlrev_b64 v[41:42], 3, v[3:4]
	v_add_co_u32 v41, s37, s52, v41
	v_add_co_ci_u32_e64 v42, null, s53, v42, s37
	s_waitcnt lgkmcnt(0)
	global_store_dwordx2 v[41:42], v[39:40], off
	s_or_b32 exec_lo, exec_lo, s38
	s_and_saveexec_b32 s37, s36
	s_cbranch_execz .LBB1663_871
.LBB1663_939:                           ;   in Loop: Header=BB1663_730 Depth=2
	v_lshlrev_b32_e32 v3, 2, v128
	v_add_nc_u32_e32 v39, v0, v75
	ds_read_b32 v3, v3
	ds_read_b64 v[39:40], v39 offset:6656
	s_waitcnt lgkmcnt(1)
	v_add_nc_u32_e32 v3, v3, v48
	v_lshlrev_b64 v[41:42], 3, v[3:4]
	v_add_co_u32 v41, s36, s52, v41
	v_add_co_ci_u32_e64 v42, null, s53, v42, s36
	s_waitcnt lgkmcnt(0)
	global_store_dwordx2 v[41:42], v[39:40], off
	s_or_b32 exec_lo, exec_lo, s37
	s_and_saveexec_b32 s36, s35
	s_cbranch_execz .LBB1663_872
.LBB1663_940:                           ;   in Loop: Header=BB1663_730 Depth=2
	v_lshlrev_b32_e32 v3, 2, v127
	v_add_nc_u32_e32 v39, v0, v75
	ds_read_b32 v3, v3
	ds_read_b64 v[39:40], v39 offset:8704
	s_waitcnt lgkmcnt(1)
	v_add_nc_u32_e32 v3, v3, v49
	v_lshlrev_b64 v[41:42], 3, v[3:4]
	v_add_co_u32 v41, s35, s52, v41
	v_add_co_ci_u32_e64 v42, null, s53, v42, s35
	s_waitcnt lgkmcnt(0)
	global_store_dwordx2 v[41:42], v[39:40], off
	s_or_b32 exec_lo, exec_lo, s36
	s_and_saveexec_b32 s35, s34
	s_cbranch_execz .LBB1663_873
.LBB1663_941:                           ;   in Loop: Header=BB1663_730 Depth=2
	v_lshlrev_b32_e32 v3, 2, v126
	v_add_nc_u32_e32 v39, v0, v75
	ds_read_b32 v3, v3
	ds_read_b64 v[39:40], v39 offset:10752
	s_waitcnt lgkmcnt(1)
	v_add_nc_u32_e32 v3, v3, v50
	v_lshlrev_b64 v[41:42], 3, v[3:4]
	v_add_co_u32 v41, s34, s52, v41
	v_add_co_ci_u32_e64 v42, null, s53, v42, s34
	s_waitcnt lgkmcnt(0)
	global_store_dwordx2 v[41:42], v[39:40], off
	s_or_b32 exec_lo, exec_lo, s35
	s_and_saveexec_b32 s34, s33
	s_cbranch_execz .LBB1663_874
.LBB1663_942:                           ;   in Loop: Header=BB1663_730 Depth=2
	v_lshlrev_b32_e32 v3, 2, v125
	v_add_nc_u32_e32 v39, v0, v75
	ds_read_b32 v3, v3
	ds_read_b64 v[39:40], v39 offset:12800
	s_waitcnt lgkmcnt(1)
	v_add_nc_u32_e32 v3, v3, v51
	v_lshlrev_b64 v[41:42], 3, v[3:4]
	v_add_co_u32 v41, s33, s52, v41
	v_add_co_ci_u32_e64 v42, null, s53, v42, s33
	s_waitcnt lgkmcnt(0)
	global_store_dwordx2 v[41:42], v[39:40], off
	s_or_b32 exec_lo, exec_lo, s34
	s_and_saveexec_b32 s33, s31
	s_cbranch_execz .LBB1663_875
.LBB1663_943:                           ;   in Loop: Header=BB1663_730 Depth=2
	v_lshlrev_b32_e32 v3, 2, v124
	v_add_nc_u32_e32 v39, v0, v75
	ds_read_b32 v3, v3
	ds_read_b64 v[39:40], v39 offset:14848
	s_waitcnt lgkmcnt(1)
	v_add_nc_u32_e32 v3, v3, v52
	v_lshlrev_b64 v[41:42], 3, v[3:4]
	v_add_co_u32 v41, s31, s52, v41
	v_add_co_ci_u32_e64 v42, null, s53, v42, s31
	s_waitcnt lgkmcnt(0)
	global_store_dwordx2 v[41:42], v[39:40], off
	s_or_b32 exec_lo, exec_lo, s33
	s_and_saveexec_b32 s31, s30
	s_cbranch_execz .LBB1663_876
.LBB1663_944:                           ;   in Loop: Header=BB1663_730 Depth=2
	v_lshlrev_b32_e32 v3, 2, v123
	v_add_nc_u32_e32 v39, v0, v75
	ds_read_b32 v3, v3
	ds_read_b64 v[39:40], v39 offset:16896
	s_waitcnt lgkmcnt(1)
	v_add_nc_u32_e32 v3, v3, v53
	v_lshlrev_b64 v[41:42], 3, v[3:4]
	v_add_co_u32 v41, s30, s52, v41
	v_add_co_ci_u32_e64 v42, null, s53, v42, s30
	s_waitcnt lgkmcnt(0)
	global_store_dwordx2 v[41:42], v[39:40], off
	s_or_b32 exec_lo, exec_lo, s31
	s_and_saveexec_b32 s30, s29
	s_cbranch_execz .LBB1663_877
.LBB1663_945:                           ;   in Loop: Header=BB1663_730 Depth=2
	v_lshlrev_b32_e32 v3, 2, v122
	v_add_nc_u32_e32 v39, v0, v75
	ds_read_b32 v3, v3
	ds_read_b64 v[39:40], v39 offset:18944
	s_waitcnt lgkmcnt(1)
	v_add_nc_u32_e32 v3, v3, v54
	v_lshlrev_b64 v[41:42], 3, v[3:4]
	v_add_co_u32 v41, s29, s52, v41
	v_add_co_ci_u32_e64 v42, null, s53, v42, s29
	s_waitcnt lgkmcnt(0)
	global_store_dwordx2 v[41:42], v[39:40], off
	s_or_b32 exec_lo, exec_lo, s30
	s_and_saveexec_b32 s29, s28
	s_cbranch_execz .LBB1663_878
.LBB1663_946:                           ;   in Loop: Header=BB1663_730 Depth=2
	v_lshlrev_b32_e32 v3, 2, v121
	v_add_nc_u32_e32 v39, v0, v75
	ds_read_b32 v3, v3
	ds_read_b64 v[39:40], v39 offset:20992
	s_waitcnt lgkmcnt(1)
	v_add_nc_u32_e32 v3, v3, v55
	v_lshlrev_b64 v[41:42], 3, v[3:4]
	v_add_co_u32 v41, s28, s52, v41
	v_add_co_ci_u32_e64 v42, null, s53, v42, s28
	s_waitcnt lgkmcnt(0)
	global_store_dwordx2 v[41:42], v[39:40], off
	s_or_b32 exec_lo, exec_lo, s29
	s_and_saveexec_b32 s28, s27
	s_cbranch_execz .LBB1663_879
.LBB1663_947:                           ;   in Loop: Header=BB1663_730 Depth=2
	v_lshlrev_b32_e32 v3, 2, v120
	v_add_nc_u32_e32 v39, v0, v75
	ds_read_b32 v3, v3
	ds_read_b64 v[39:40], v39 offset:23040
	s_waitcnt lgkmcnt(1)
	v_add_nc_u32_e32 v3, v3, v56
	v_lshlrev_b64 v[41:42], 3, v[3:4]
	v_add_co_u32 v41, s27, s52, v41
	v_add_co_ci_u32_e64 v42, null, s53, v42, s27
	s_waitcnt lgkmcnt(0)
	global_store_dwordx2 v[41:42], v[39:40], off
	s_or_b32 exec_lo, exec_lo, s28
	s_and_saveexec_b32 s27, s26
	s_cbranch_execz .LBB1663_880
.LBB1663_948:                           ;   in Loop: Header=BB1663_730 Depth=2
	v_lshlrev_b32_e32 v3, 2, v119
	v_add_nc_u32_e32 v39, v0, v75
	ds_read_b32 v3, v3
	ds_read_b64 v[39:40], v39 offset:25088
	s_waitcnt lgkmcnt(1)
	v_add_nc_u32_e32 v3, v3, v57
	v_lshlrev_b64 v[41:42], 3, v[3:4]
	v_add_co_u32 v41, s26, s52, v41
	v_add_co_ci_u32_e64 v42, null, s53, v42, s26
	s_waitcnt lgkmcnt(0)
	global_store_dwordx2 v[41:42], v[39:40], off
	s_or_b32 exec_lo, exec_lo, s27
	s_and_saveexec_b32 s26, s25
	s_cbranch_execz .LBB1663_881
.LBB1663_949:                           ;   in Loop: Header=BB1663_730 Depth=2
	v_lshlrev_b32_e32 v3, 2, v118
	v_add_nc_u32_e32 v39, v0, v75
	ds_read_b32 v3, v3
	ds_read_b64 v[39:40], v39 offset:27136
	s_waitcnt lgkmcnt(1)
	v_add_nc_u32_e32 v3, v3, v58
	v_lshlrev_b64 v[41:42], 3, v[3:4]
	v_add_co_u32 v41, s25, s52, v41
	v_add_co_ci_u32_e64 v42, null, s53, v42, s25
	s_waitcnt lgkmcnt(0)
	global_store_dwordx2 v[41:42], v[39:40], off
	s_or_b32 exec_lo, exec_lo, s26
	s_and_saveexec_b32 s25, s24
	s_cbranch_execz .LBB1663_882
.LBB1663_950:                           ;   in Loop: Header=BB1663_730 Depth=2
	v_lshlrev_b32_e32 v3, 2, v117
	v_add_nc_u32_e32 v39, v0, v75
	ds_read_b32 v3, v3
	ds_read_b64 v[39:40], v39 offset:29184
	s_waitcnt lgkmcnt(1)
	v_add_nc_u32_e32 v3, v3, v59
	v_lshlrev_b64 v[41:42], 3, v[3:4]
	v_add_co_u32 v41, s24, s52, v41
	v_add_co_ci_u32_e64 v42, null, s53, v42, s24
	s_waitcnt lgkmcnt(0)
	global_store_dwordx2 v[41:42], v[39:40], off
	s_or_b32 exec_lo, exec_lo, s25
	s_and_saveexec_b32 s24, s23
	s_cbranch_execz .LBB1663_883
.LBB1663_951:                           ;   in Loop: Header=BB1663_730 Depth=2
	v_lshlrev_b32_e32 v3, 2, v116
	v_add_nc_u32_e32 v39, v0, v75
	ds_read_b32 v3, v3
	ds_read_b64 v[39:40], v39 offset:31232
	s_waitcnt lgkmcnt(1)
	v_add_nc_u32_e32 v3, v3, v60
	v_lshlrev_b64 v[41:42], 3, v[3:4]
	v_add_co_u32 v41, s23, s52, v41
	v_add_co_ci_u32_e64 v42, null, s53, v42, s23
	s_waitcnt lgkmcnt(0)
	global_store_dwordx2 v[41:42], v[39:40], off
	s_or_b32 exec_lo, exec_lo, s24
	s_and_saveexec_b32 s23, vcc_lo
	s_cbranch_execnz .LBB1663_884
	s_branch .LBB1663_885
.LBB1663_952:                           ;   in Loop: Header=BB1663_20 Depth=1
	s_waitcnt lgkmcnt(0)
	s_mov_b32 s5, 0
	s_barrier
.LBB1663_953:                           ;   in Loop: Header=BB1663_20 Depth=1
	s_and_b32 vcc_lo, exec_lo, s5
	s_cbranch_vccz .LBB1663_19
; %bb.954:                              ;   in Loop: Header=BB1663_20 Depth=1
	v_mov_b32_e32 v17, 0
	v_mov_b32_e32 v20, 0
	;; [unrolled: 1-line block ×17, first 2 shown]
	s_mov_b32 s5, s60
	s_mov_b32 s17, s58
	s_barrier
	buffer_gl0_inv
	s_branch .LBB1663_956
.LBB1663_955:                           ;   in Loop: Header=BB1663_956 Depth=2
	s_or_b32 exec_lo, exec_lo, s16
	s_addk_i32 s5, 0xef00
	s_cmp_ge_u32 s15, s59
	s_mov_b32 s17, s15
	s_cbranch_scc1 .LBB1663_1028
.LBB1663_956:                           ;   Parent Loop BB1663_20 Depth=1
                                        ; =>  This Inner Loop Header: Depth=2
	s_add_i32 s15, s17, 0x1100
	s_mov_b32 s16, -1
	s_cmp_gt_u32 s15, s59
                                        ; implicit-def: $vgpr21
                                        ; implicit-def: $vgpr22
                                        ; implicit-def: $vgpr23
                                        ; implicit-def: $vgpr24
                                        ; implicit-def: $vgpr25
                                        ; implicit-def: $vgpr26
                                        ; implicit-def: $vgpr27
                                        ; implicit-def: $vgpr28
                                        ; implicit-def: $vgpr29
                                        ; implicit-def: $vgpr30
                                        ; implicit-def: $vgpr31
                                        ; implicit-def: $vgpr32
                                        ; implicit-def: $vgpr33
                                        ; implicit-def: $vgpr34
                                        ; implicit-def: $vgpr35
                                        ; implicit-def: $vgpr36
                                        ; implicit-def: $vgpr37
	s_cbranch_scc1 .LBB1663_958
; %bb.957:                              ;   in Loop: Header=BB1663_956 Depth=2
	v_add_co_u32 v38, vcc_lo, v82, s17
	v_add_co_ci_u32_e64 v39, null, 0, v83, vcc_lo
	s_mov_b32 s16, 0
	v_add_co_u32 v21, vcc_lo, 0x800, v38
	v_add_co_ci_u32_e64 v22, null, 0, v39, vcc_lo
	v_add_co_u32 v23, vcc_lo, 0x1000, v38
	v_add_co_ci_u32_e64 v24, null, 0, v39, vcc_lo
	s_clause 0x10
	global_load_ubyte v36, v[21:22], off offset:1792
	global_load_ubyte v37, v[23:24], off
	global_load_ubyte v35, v[21:22], off offset:1536
	global_load_ubyte v34, v[21:22], off offset:1280
	;; [unrolled: 1-line block ×6, first 2 shown]
	global_load_ubyte v29, v[21:22], off
	global_load_ubyte v28, v[38:39], off offset:1792
	global_load_ubyte v27, v[38:39], off offset:1536
	;; [unrolled: 1-line block ×7, first 2 shown]
	global_load_ubyte v21, v[38:39], off
.LBB1663_958:                           ;   in Loop: Header=BB1663_956 Depth=2
	s_andn2_b32 vcc_lo, exec_lo, s16
	s_movk_i32 s16, 0x1100
	s_cbranch_vccnz .LBB1663_978
; %bb.959:                              ;   in Loop: Header=BB1663_956 Depth=2
	s_add_u32 s16, s44, s17
	s_addc_u32 s17, s45, 0
	s_mov_b32 s18, exec_lo
	v_cmpx_gt_u32_e64 s5, v0
	s_cbranch_execnz .LBB1663_1012
; %bb.960:                              ;   in Loop: Header=BB1663_956 Depth=2
	s_or_b32 exec_lo, exec_lo, s18
	s_mov_b32 s18, exec_lo
	v_cmpx_gt_u32_e64 s5, v44
	s_cbranch_execnz .LBB1663_1013
.LBB1663_961:                           ;   in Loop: Header=BB1663_956 Depth=2
	s_or_b32 exec_lo, exec_lo, s18
	s_mov_b32 s18, exec_lo
	v_cmpx_gt_u32_e64 s5, v47
	s_cbranch_execnz .LBB1663_1014
.LBB1663_962:                           ;   in Loop: Header=BB1663_956 Depth=2
	s_or_b32 exec_lo, exec_lo, s18
	s_mov_b32 s18, exec_lo
	v_cmpx_gt_u32_e64 s5, v48
	s_cbranch_execnz .LBB1663_1015
.LBB1663_963:                           ;   in Loop: Header=BB1663_956 Depth=2
	s_or_b32 exec_lo, exec_lo, s18
	s_mov_b32 s18, exec_lo
	v_cmpx_gt_u32_e64 s5, v49
	s_cbranch_execnz .LBB1663_1016
.LBB1663_964:                           ;   in Loop: Header=BB1663_956 Depth=2
	s_or_b32 exec_lo, exec_lo, s18
	s_mov_b32 s18, exec_lo
	v_cmpx_gt_u32_e64 s5, v50
	s_cbranch_execnz .LBB1663_1017
.LBB1663_965:                           ;   in Loop: Header=BB1663_956 Depth=2
	s_or_b32 exec_lo, exec_lo, s18
	s_mov_b32 s18, exec_lo
	v_cmpx_gt_u32_e64 s5, v51
	s_cbranch_execnz .LBB1663_1018
.LBB1663_966:                           ;   in Loop: Header=BB1663_956 Depth=2
	s_or_b32 exec_lo, exec_lo, s18
	s_mov_b32 s18, exec_lo
	v_cmpx_gt_u32_e64 s5, v52
	s_cbranch_execnz .LBB1663_1019
.LBB1663_967:                           ;   in Loop: Header=BB1663_956 Depth=2
	s_or_b32 exec_lo, exec_lo, s18
	s_mov_b32 s18, exec_lo
	v_cmpx_gt_u32_e64 s5, v53
	s_cbranch_execnz .LBB1663_1020
.LBB1663_968:                           ;   in Loop: Header=BB1663_956 Depth=2
	s_or_b32 exec_lo, exec_lo, s18
	s_mov_b32 s18, exec_lo
	v_cmpx_gt_u32_e64 s5, v54
	s_cbranch_execnz .LBB1663_1021
.LBB1663_969:                           ;   in Loop: Header=BB1663_956 Depth=2
	s_or_b32 exec_lo, exec_lo, s18
	s_mov_b32 s18, exec_lo
	v_cmpx_gt_u32_e64 s5, v55
	s_cbranch_execnz .LBB1663_1022
.LBB1663_970:                           ;   in Loop: Header=BB1663_956 Depth=2
	s_or_b32 exec_lo, exec_lo, s18
	s_mov_b32 s18, exec_lo
	v_cmpx_gt_u32_e64 s5, v56
	s_cbranch_execnz .LBB1663_1023
.LBB1663_971:                           ;   in Loop: Header=BB1663_956 Depth=2
	s_or_b32 exec_lo, exec_lo, s18
	s_mov_b32 s18, exec_lo
	v_cmpx_gt_u32_e64 s5, v57
	s_cbranch_execnz .LBB1663_1024
.LBB1663_972:                           ;   in Loop: Header=BB1663_956 Depth=2
	s_or_b32 exec_lo, exec_lo, s18
	s_mov_b32 s18, exec_lo
	v_cmpx_gt_u32_e64 s5, v58
	s_cbranch_execnz .LBB1663_1025
.LBB1663_973:                           ;   in Loop: Header=BB1663_956 Depth=2
	s_or_b32 exec_lo, exec_lo, s18
	s_mov_b32 s18, exec_lo
	v_cmpx_gt_u32_e64 s5, v59
	s_cbranch_execnz .LBB1663_1026
.LBB1663_974:                           ;   in Loop: Header=BB1663_956 Depth=2
	s_or_b32 exec_lo, exec_lo, s18
	s_mov_b32 s18, exec_lo
	v_cmpx_gt_u32_e64 s5, v60
	s_cbranch_execnz .LBB1663_1027
.LBB1663_975:                           ;   in Loop: Header=BB1663_956 Depth=2
	s_or_b32 exec_lo, exec_lo, s18
	s_mov_b32 s18, exec_lo
	v_cmpx_gt_u32_e64 s5, v61
	s_cbranch_execz .LBB1663_977
.LBB1663_976:                           ;   in Loop: Header=BB1663_956 Depth=2
	s_waitcnt vmcnt(0)
	v_add_co_u32 v21, s16, s16, v61
	v_add_co_ci_u32_e64 v22, null, s17, 0, s16
	global_load_ubyte v3, v[21:22], off
.LBB1663_977:                           ;   in Loop: Header=BB1663_956 Depth=2
	s_or_b32 exec_lo, exec_lo, s18
	s_waitcnt vmcnt(0)
	v_mov_b32_e32 v21, v17
	v_mov_b32_e32 v22, v20
	;; [unrolled: 1-line block ×17, first 2 shown]
	s_mov_b32 s16, s5
.LBB1663_978:                           ;   in Loop: Header=BB1663_956 Depth=2
	s_waitcnt vmcnt(15)
	v_mov_b32_e32 v3, v37
	v_mov_b32_e32 v5, v36
	s_waitcnt vmcnt(14)
	v_mov_b32_e32 v6, v35
	s_waitcnt vmcnt(13)
	;; [unrolled: 2-line block ×15, first 2 shown]
	v_mov_b32_e32 v17, v21
	s_mov_b32 s17, exec_lo
	v_cmpx_gt_u32_e64 s16, v0
	s_cbranch_execnz .LBB1663_995
; %bb.979:                              ;   in Loop: Header=BB1663_956 Depth=2
	s_or_b32 exec_lo, exec_lo, s17
	s_mov_b32 s17, exec_lo
	v_cmpx_gt_u32_e64 s16, v44
	s_cbranch_execnz .LBB1663_996
.LBB1663_980:                           ;   in Loop: Header=BB1663_956 Depth=2
	s_or_b32 exec_lo, exec_lo, s17
	s_mov_b32 s17, exec_lo
	v_cmpx_gt_u32_e64 s16, v47
	s_cbranch_execnz .LBB1663_997
.LBB1663_981:                           ;   in Loop: Header=BB1663_956 Depth=2
	s_or_b32 exec_lo, exec_lo, s17
	s_mov_b32 s17, exec_lo
	v_cmpx_gt_u32_e64 s16, v48
	s_cbranch_execnz .LBB1663_998
.LBB1663_982:                           ;   in Loop: Header=BB1663_956 Depth=2
	s_or_b32 exec_lo, exec_lo, s17
	s_mov_b32 s17, exec_lo
	v_cmpx_gt_u32_e64 s16, v49
	s_cbranch_execnz .LBB1663_999
.LBB1663_983:                           ;   in Loop: Header=BB1663_956 Depth=2
	s_or_b32 exec_lo, exec_lo, s17
	s_mov_b32 s17, exec_lo
	v_cmpx_gt_u32_e64 s16, v50
	s_cbranch_execnz .LBB1663_1000
.LBB1663_984:                           ;   in Loop: Header=BB1663_956 Depth=2
	s_or_b32 exec_lo, exec_lo, s17
	s_mov_b32 s17, exec_lo
	v_cmpx_gt_u32_e64 s16, v51
	s_cbranch_execnz .LBB1663_1001
.LBB1663_985:                           ;   in Loop: Header=BB1663_956 Depth=2
	s_or_b32 exec_lo, exec_lo, s17
	s_mov_b32 s17, exec_lo
	v_cmpx_gt_u32_e64 s16, v52
	s_cbranch_execnz .LBB1663_1002
.LBB1663_986:                           ;   in Loop: Header=BB1663_956 Depth=2
	s_or_b32 exec_lo, exec_lo, s17
	s_mov_b32 s17, exec_lo
	v_cmpx_gt_u32_e64 s16, v53
	s_cbranch_execnz .LBB1663_1003
.LBB1663_987:                           ;   in Loop: Header=BB1663_956 Depth=2
	s_or_b32 exec_lo, exec_lo, s17
	s_mov_b32 s17, exec_lo
	v_cmpx_gt_u32_e64 s16, v54
	s_cbranch_execnz .LBB1663_1004
.LBB1663_988:                           ;   in Loop: Header=BB1663_956 Depth=2
	s_or_b32 exec_lo, exec_lo, s17
	s_mov_b32 s17, exec_lo
	v_cmpx_gt_u32_e64 s16, v55
	s_cbranch_execnz .LBB1663_1005
.LBB1663_989:                           ;   in Loop: Header=BB1663_956 Depth=2
	s_or_b32 exec_lo, exec_lo, s17
	s_mov_b32 s17, exec_lo
	v_cmpx_gt_u32_e64 s16, v56
	s_cbranch_execnz .LBB1663_1006
.LBB1663_990:                           ;   in Loop: Header=BB1663_956 Depth=2
	s_or_b32 exec_lo, exec_lo, s17
	s_mov_b32 s17, exec_lo
	v_cmpx_gt_u32_e64 s16, v57
	s_cbranch_execnz .LBB1663_1007
.LBB1663_991:                           ;   in Loop: Header=BB1663_956 Depth=2
	s_or_b32 exec_lo, exec_lo, s17
	s_mov_b32 s17, exec_lo
	v_cmpx_gt_u32_e64 s16, v58
	s_cbranch_execnz .LBB1663_1008
.LBB1663_992:                           ;   in Loop: Header=BB1663_956 Depth=2
	s_or_b32 exec_lo, exec_lo, s17
	s_mov_b32 s17, exec_lo
	v_cmpx_gt_u32_e64 s16, v59
	s_cbranch_execnz .LBB1663_1009
.LBB1663_993:                           ;   in Loop: Header=BB1663_956 Depth=2
	s_or_b32 exec_lo, exec_lo, s17
	s_mov_b32 s17, exec_lo
	v_cmpx_gt_u32_e64 s16, v60
	s_cbranch_execnz .LBB1663_1010
.LBB1663_994:                           ;   in Loop: Header=BB1663_956 Depth=2
	s_or_b32 exec_lo, exec_lo, s17
	v_cmp_gt_u32_e32 vcc_lo, s16, v61
	s_and_saveexec_b32 s16, vcc_lo
	s_cbranch_execz .LBB1663_955
	s_branch .LBB1663_1011
.LBB1663_995:                           ;   in Loop: Header=BB1663_956 Depth=2
	v_and_b32_e32 v21, 1, v17
	v_lshrrev_b32_e32 v21, s41, v21
	v_and_b32_e32 v21, s62, v21
	v_lshl_or_b32 v21, v21, 4, v63
	ds_add_u32 v21, v89
	s_or_b32 exec_lo, exec_lo, s17
	s_mov_b32 s17, exec_lo
	v_cmpx_gt_u32_e64 s16, v44
	s_cbranch_execz .LBB1663_980
.LBB1663_996:                           ;   in Loop: Header=BB1663_956 Depth=2
	v_and_b32_e32 v21, 1, v20
	v_lshrrev_b32_e32 v21, s41, v21
	v_and_b32_e32 v21, s62, v21
	v_lshl_or_b32 v21, v21, 4, v63
	ds_add_u32 v21, v89
	s_or_b32 exec_lo, exec_lo, s17
	s_mov_b32 s17, exec_lo
	v_cmpx_gt_u32_e64 s16, v47
	s_cbranch_execz .LBB1663_981
.LBB1663_997:                           ;   in Loop: Header=BB1663_956 Depth=2
	v_and_b32_e32 v21, 1, v19
	v_lshrrev_b32_e32 v21, s41, v21
	v_and_b32_e32 v21, s62, v21
	v_lshl_or_b32 v21, v21, 4, v63
	ds_add_u32 v21, v89
	s_or_b32 exec_lo, exec_lo, s17
	s_mov_b32 s17, exec_lo
	v_cmpx_gt_u32_e64 s16, v48
	s_cbranch_execz .LBB1663_982
.LBB1663_998:                           ;   in Loop: Header=BB1663_956 Depth=2
	v_and_b32_e32 v21, 1, v18
	v_lshrrev_b32_e32 v21, s41, v21
	v_and_b32_e32 v21, s62, v21
	v_lshl_or_b32 v21, v21, 4, v63
	ds_add_u32 v21, v89
	s_or_b32 exec_lo, exec_lo, s17
	s_mov_b32 s17, exec_lo
	v_cmpx_gt_u32_e64 s16, v49
	s_cbranch_execz .LBB1663_983
.LBB1663_999:                           ;   in Loop: Header=BB1663_956 Depth=2
	v_and_b32_e32 v21, 1, v16
	v_lshrrev_b32_e32 v21, s41, v21
	v_and_b32_e32 v21, s62, v21
	v_lshl_or_b32 v21, v21, 4, v63
	ds_add_u32 v21, v89
	s_or_b32 exec_lo, exec_lo, s17
	s_mov_b32 s17, exec_lo
	v_cmpx_gt_u32_e64 s16, v50
	s_cbranch_execz .LBB1663_984
.LBB1663_1000:                          ;   in Loop: Header=BB1663_956 Depth=2
	v_and_b32_e32 v21, 1, v15
	v_lshrrev_b32_e32 v21, s41, v21
	v_and_b32_e32 v21, s62, v21
	v_lshl_or_b32 v21, v21, 4, v63
	ds_add_u32 v21, v89
	s_or_b32 exec_lo, exec_lo, s17
	s_mov_b32 s17, exec_lo
	v_cmpx_gt_u32_e64 s16, v51
	s_cbranch_execz .LBB1663_985
.LBB1663_1001:                          ;   in Loop: Header=BB1663_956 Depth=2
	v_and_b32_e32 v21, 1, v14
	v_lshrrev_b32_e32 v21, s41, v21
	v_and_b32_e32 v21, s62, v21
	v_lshl_or_b32 v21, v21, 4, v63
	ds_add_u32 v21, v89
	s_or_b32 exec_lo, exec_lo, s17
	s_mov_b32 s17, exec_lo
	v_cmpx_gt_u32_e64 s16, v52
	s_cbranch_execz .LBB1663_986
.LBB1663_1002:                          ;   in Loop: Header=BB1663_956 Depth=2
	v_and_b32_e32 v21, 1, v13
	v_lshrrev_b32_e32 v21, s41, v21
	v_and_b32_e32 v21, s62, v21
	v_lshl_or_b32 v21, v21, 4, v63
	ds_add_u32 v21, v89
	s_or_b32 exec_lo, exec_lo, s17
	s_mov_b32 s17, exec_lo
	v_cmpx_gt_u32_e64 s16, v53
	s_cbranch_execz .LBB1663_987
.LBB1663_1003:                          ;   in Loop: Header=BB1663_956 Depth=2
	v_and_b32_e32 v21, 1, v12
	v_lshrrev_b32_e32 v21, s41, v21
	v_and_b32_e32 v21, s62, v21
	v_lshl_or_b32 v21, v21, 4, v63
	ds_add_u32 v21, v89
	s_or_b32 exec_lo, exec_lo, s17
	s_mov_b32 s17, exec_lo
	v_cmpx_gt_u32_e64 s16, v54
	s_cbranch_execz .LBB1663_988
.LBB1663_1004:                          ;   in Loop: Header=BB1663_956 Depth=2
	v_and_b32_e32 v21, 1, v11
	v_lshrrev_b32_e32 v21, s41, v21
	v_and_b32_e32 v21, s62, v21
	v_lshl_or_b32 v21, v21, 4, v63
	ds_add_u32 v21, v89
	s_or_b32 exec_lo, exec_lo, s17
	s_mov_b32 s17, exec_lo
	v_cmpx_gt_u32_e64 s16, v55
	s_cbranch_execz .LBB1663_989
.LBB1663_1005:                          ;   in Loop: Header=BB1663_956 Depth=2
	v_and_b32_e32 v21, 1, v10
	v_lshrrev_b32_e32 v21, s41, v21
	v_and_b32_e32 v21, s62, v21
	v_lshl_or_b32 v21, v21, 4, v63
	ds_add_u32 v21, v89
	s_or_b32 exec_lo, exec_lo, s17
	s_mov_b32 s17, exec_lo
	v_cmpx_gt_u32_e64 s16, v56
	s_cbranch_execz .LBB1663_990
.LBB1663_1006:                          ;   in Loop: Header=BB1663_956 Depth=2
	v_and_b32_e32 v21, 1, v9
	v_lshrrev_b32_e32 v21, s41, v21
	v_and_b32_e32 v21, s62, v21
	v_lshl_or_b32 v21, v21, 4, v63
	ds_add_u32 v21, v89
	s_or_b32 exec_lo, exec_lo, s17
	s_mov_b32 s17, exec_lo
	v_cmpx_gt_u32_e64 s16, v57
	s_cbranch_execz .LBB1663_991
.LBB1663_1007:                          ;   in Loop: Header=BB1663_956 Depth=2
	v_and_b32_e32 v21, 1, v8
	v_lshrrev_b32_e32 v21, s41, v21
	v_and_b32_e32 v21, s62, v21
	v_lshl_or_b32 v21, v21, 4, v63
	ds_add_u32 v21, v89
	s_or_b32 exec_lo, exec_lo, s17
	s_mov_b32 s17, exec_lo
	v_cmpx_gt_u32_e64 s16, v58
	s_cbranch_execz .LBB1663_992
.LBB1663_1008:                          ;   in Loop: Header=BB1663_956 Depth=2
	v_and_b32_e32 v21, 1, v7
	v_lshrrev_b32_e32 v21, s41, v21
	v_and_b32_e32 v21, s62, v21
	v_lshl_or_b32 v21, v21, 4, v63
	ds_add_u32 v21, v89
	s_or_b32 exec_lo, exec_lo, s17
	s_mov_b32 s17, exec_lo
	v_cmpx_gt_u32_e64 s16, v59
	s_cbranch_execz .LBB1663_993
.LBB1663_1009:                          ;   in Loop: Header=BB1663_956 Depth=2
	v_and_b32_e32 v21, 1, v6
	v_lshrrev_b32_e32 v21, s41, v21
	v_and_b32_e32 v21, s62, v21
	v_lshl_or_b32 v21, v21, 4, v63
	ds_add_u32 v21, v89
	s_or_b32 exec_lo, exec_lo, s17
	s_mov_b32 s17, exec_lo
	v_cmpx_gt_u32_e64 s16, v60
	s_cbranch_execz .LBB1663_994
.LBB1663_1010:                          ;   in Loop: Header=BB1663_956 Depth=2
	v_and_b32_e32 v21, 1, v5
	v_lshrrev_b32_e32 v21, s41, v21
	v_and_b32_e32 v21, s62, v21
	v_lshl_or_b32 v21, v21, 4, v63
	ds_add_u32 v21, v89
	s_or_b32 exec_lo, exec_lo, s17
	v_cmp_gt_u32_e32 vcc_lo, s16, v61
	s_and_saveexec_b32 s16, vcc_lo
	s_cbranch_execz .LBB1663_955
.LBB1663_1011:                          ;   in Loop: Header=BB1663_956 Depth=2
	v_and_b32_e32 v21, 1, v3
	v_lshrrev_b32_e32 v21, s41, v21
	v_and_b32_e32 v21, s62, v21
	v_lshl_or_b32 v21, v21, 4, v63
	ds_add_u32 v21, v89
	s_branch .LBB1663_955
.LBB1663_1012:                          ;   in Loop: Header=BB1663_956 Depth=2
	s_waitcnt vmcnt(0)
	v_add_co_u32 v21, s19, s16, v0
	v_add_co_ci_u32_e64 v22, null, s17, 0, s19
	global_load_ubyte v17, v[21:22], off
	s_or_b32 exec_lo, exec_lo, s18
	s_mov_b32 s18, exec_lo
	v_cmpx_gt_u32_e64 s5, v44
	s_cbranch_execz .LBB1663_961
.LBB1663_1013:                          ;   in Loop: Header=BB1663_956 Depth=2
	v_add_co_u32 v20, s19, s16, v0
	s_waitcnt vmcnt(0)
	v_add_co_ci_u32_e64 v21, null, s17, 0, s19
	global_load_ubyte v20, v[20:21], off offset:256
	s_or_b32 exec_lo, exec_lo, s18
	s_mov_b32 s18, exec_lo
	v_cmpx_gt_u32_e64 s5, v47
	s_cbranch_execz .LBB1663_962
.LBB1663_1014:                          ;   in Loop: Header=BB1663_956 Depth=2
	s_waitcnt vmcnt(0)
	v_add_co_u32 v21, s19, s16, v0
	v_add_co_ci_u32_e64 v22, null, s17, 0, s19
	global_load_ubyte v19, v[21:22], off offset:512
	s_or_b32 exec_lo, exec_lo, s18
	s_mov_b32 s18, exec_lo
	v_cmpx_gt_u32_e64 s5, v48
	s_cbranch_execz .LBB1663_963
.LBB1663_1015:                          ;   in Loop: Header=BB1663_956 Depth=2
	s_waitcnt vmcnt(0)
	v_add_co_u32 v21, s19, s16, v0
	v_add_co_ci_u32_e64 v22, null, s17, 0, s19
	global_load_ubyte v18, v[21:22], off offset:768
	s_or_b32 exec_lo, exec_lo, s18
	s_mov_b32 s18, exec_lo
	v_cmpx_gt_u32_e64 s5, v49
	s_cbranch_execz .LBB1663_964
.LBB1663_1016:                          ;   in Loop: Header=BB1663_956 Depth=2
	s_waitcnt vmcnt(0)
	v_add_co_u32 v21, s19, s16, v0
	v_add_co_ci_u32_e64 v22, null, s17, 0, s19
	global_load_ubyte v16, v[21:22], off offset:1024
	s_or_b32 exec_lo, exec_lo, s18
	s_mov_b32 s18, exec_lo
	v_cmpx_gt_u32_e64 s5, v50
	s_cbranch_execz .LBB1663_965
.LBB1663_1017:                          ;   in Loop: Header=BB1663_956 Depth=2
	s_waitcnt vmcnt(0)
	v_add_co_u32 v21, s19, s16, v0
	v_add_co_ci_u32_e64 v22, null, s17, 0, s19
	global_load_ubyte v15, v[21:22], off offset:1280
	s_or_b32 exec_lo, exec_lo, s18
	s_mov_b32 s18, exec_lo
	v_cmpx_gt_u32_e64 s5, v51
	s_cbranch_execz .LBB1663_966
.LBB1663_1018:                          ;   in Loop: Header=BB1663_956 Depth=2
	s_waitcnt vmcnt(0)
	v_add_co_u32 v21, s19, s16, v0
	v_add_co_ci_u32_e64 v22, null, s17, 0, s19
	global_load_ubyte v14, v[21:22], off offset:1536
	s_or_b32 exec_lo, exec_lo, s18
	s_mov_b32 s18, exec_lo
	v_cmpx_gt_u32_e64 s5, v52
	s_cbranch_execz .LBB1663_967
.LBB1663_1019:                          ;   in Loop: Header=BB1663_956 Depth=2
	s_waitcnt vmcnt(0)
	v_add_co_u32 v21, s19, s16, v0
	v_add_co_ci_u32_e64 v22, null, s17, 0, s19
	global_load_ubyte v13, v[21:22], off offset:1792
	s_or_b32 exec_lo, exec_lo, s18
	s_mov_b32 s18, exec_lo
	v_cmpx_gt_u32_e64 s5, v53
	s_cbranch_execz .LBB1663_968
.LBB1663_1020:                          ;   in Loop: Header=BB1663_956 Depth=2
	s_waitcnt vmcnt(0)
	v_add_co_u32 v21, s19, s16, v53
	v_add_co_ci_u32_e64 v22, null, s17, 0, s19
	global_load_ubyte v12, v[21:22], off
	s_or_b32 exec_lo, exec_lo, s18
	s_mov_b32 s18, exec_lo
	v_cmpx_gt_u32_e64 s5, v54
	s_cbranch_execz .LBB1663_969
.LBB1663_1021:                          ;   in Loop: Header=BB1663_956 Depth=2
	s_waitcnt vmcnt(0)
	v_add_co_u32 v21, s19, s16, v54
	v_add_co_ci_u32_e64 v22, null, s17, 0, s19
	global_load_ubyte v11, v[21:22], off
	s_or_b32 exec_lo, exec_lo, s18
	s_mov_b32 s18, exec_lo
	v_cmpx_gt_u32_e64 s5, v55
	s_cbranch_execz .LBB1663_970
.LBB1663_1022:                          ;   in Loop: Header=BB1663_956 Depth=2
	s_waitcnt vmcnt(0)
	v_add_co_u32 v21, s19, s16, v55
	v_add_co_ci_u32_e64 v22, null, s17, 0, s19
	global_load_ubyte v10, v[21:22], off
	s_or_b32 exec_lo, exec_lo, s18
	s_mov_b32 s18, exec_lo
	v_cmpx_gt_u32_e64 s5, v56
	s_cbranch_execz .LBB1663_971
.LBB1663_1023:                          ;   in Loop: Header=BB1663_956 Depth=2
	s_waitcnt vmcnt(0)
	v_add_co_u32 v21, s19, s16, v56
	v_add_co_ci_u32_e64 v22, null, s17, 0, s19
	global_load_ubyte v9, v[21:22], off
	s_or_b32 exec_lo, exec_lo, s18
	s_mov_b32 s18, exec_lo
	v_cmpx_gt_u32_e64 s5, v57
	s_cbranch_execz .LBB1663_972
.LBB1663_1024:                          ;   in Loop: Header=BB1663_956 Depth=2
	s_waitcnt vmcnt(0)
	v_add_co_u32 v21, s19, s16, v57
	v_add_co_ci_u32_e64 v22, null, s17, 0, s19
	global_load_ubyte v8, v[21:22], off
	s_or_b32 exec_lo, exec_lo, s18
	s_mov_b32 s18, exec_lo
	v_cmpx_gt_u32_e64 s5, v58
	s_cbranch_execz .LBB1663_973
.LBB1663_1025:                          ;   in Loop: Header=BB1663_956 Depth=2
	s_waitcnt vmcnt(0)
	v_add_co_u32 v21, s19, s16, v58
	v_add_co_ci_u32_e64 v22, null, s17, 0, s19
	global_load_ubyte v7, v[21:22], off
	s_or_b32 exec_lo, exec_lo, s18
	s_mov_b32 s18, exec_lo
	v_cmpx_gt_u32_e64 s5, v59
	s_cbranch_execz .LBB1663_974
.LBB1663_1026:                          ;   in Loop: Header=BB1663_956 Depth=2
	s_waitcnt vmcnt(0)
	v_add_co_u32 v21, s19, s16, v59
	v_add_co_ci_u32_e64 v22, null, s17, 0, s19
	global_load_ubyte v6, v[21:22], off
	s_or_b32 exec_lo, exec_lo, s18
	s_mov_b32 s18, exec_lo
	v_cmpx_gt_u32_e64 s5, v60
	s_cbranch_execz .LBB1663_975
.LBB1663_1027:                          ;   in Loop: Header=BB1663_956 Depth=2
	s_waitcnt vmcnt(0)
	v_add_co_u32 v21, s19, s16, v60
	v_add_co_ci_u32_e64 v22, null, s17, 0, s19
	global_load_ubyte v5, v[21:22], off
	s_or_b32 exec_lo, exec_lo, s18
	s_mov_b32 s18, exec_lo
	v_cmpx_gt_u32_e64 s5, v61
	s_cbranch_execnz .LBB1663_976
	s_branch .LBB1663_977
.LBB1663_1028:                          ;   in Loop: Header=BB1663_20 Depth=1
	v_mov_b32_e32 v3, 0
	s_waitcnt lgkmcnt(0)
	s_barrier
	buffer_gl0_inv
	s_and_saveexec_b32 s5, s8
	s_cbranch_execz .LBB1663_1030
; %bb.1029:                             ;   in Loop: Header=BB1663_20 Depth=1
	ds_read2_b64 v[5:8], v64 offset1:1
	s_waitcnt lgkmcnt(0)
	v_add_nc_u32_e32 v3, v6, v5
	v_add3_u32 v3, v3, v7, v8
.LBB1663_1030:                          ;   in Loop: Header=BB1663_20 Depth=1
	s_or_b32 exec_lo, exec_lo, s5
	v_and_b32_e32 v5, 15, v86
	v_mov_b32_dpp v6, v3 row_shr:1 row_mask:0xf bank_mask:0xf
	v_and_b32_e32 v7, 16, v86
	v_cmp_eq_u32_e64 s5, 0, v5
	v_cmp_lt_u32_e64 s15, 1, v5
	v_cmp_lt_u32_e64 s16, 3, v5
	;; [unrolled: 1-line block ×3, first 2 shown]
	v_cmp_eq_u32_e64 s18, 0, v7
	v_cndmask_b32_e64 v6, v6, 0, s5
	v_add_nc_u32_e32 v3, v6, v3
	v_mov_b32_dpp v6, v3 row_shr:2 row_mask:0xf bank_mask:0xf
	v_cndmask_b32_e64 v6, 0, v6, s15
	v_add_nc_u32_e32 v3, v3, v6
	v_mov_b32_dpp v6, v3 row_shr:4 row_mask:0xf bank_mask:0xf
	;; [unrolled: 3-line block ×3, first 2 shown]
	v_cndmask_b32_e64 v5, 0, v6, s17
	v_bfe_i32 v6, v86, 4, 1
	v_add_nc_u32_e32 v3, v3, v5
	ds_swizzle_b32 v5, v3 offset:swizzle(BROADCAST,32,15)
	s_waitcnt lgkmcnt(0)
	v_and_b32_e32 v5, v6, v5
	v_add_nc_u32_e32 v3, v3, v5
	s_and_saveexec_b32 s19, s9
; %bb.1031:                             ;   in Loop: Header=BB1663_20 Depth=1
	ds_write_b32 v65, v3
; %bb.1032:                             ;   in Loop: Header=BB1663_20 Depth=1
	s_or_b32 exec_lo, exec_lo, s19
	s_waitcnt lgkmcnt(0)
	s_barrier
	buffer_gl0_inv
	s_and_saveexec_b32 s19, s10
	s_cbranch_execz .LBB1663_1034
; %bb.1033:                             ;   in Loop: Header=BB1663_20 Depth=1
	ds_read_b32 v5, v66
	v_and_b32_e32 v6, 3, v86
	v_cmp_ne_u32_e32 vcc_lo, 0, v6
	s_waitcnt lgkmcnt(0)
	v_mov_b32_dpp v7, v5 row_shr:1 row_mask:0xf bank_mask:0xf
	v_cndmask_b32_e32 v7, 0, v7, vcc_lo
	v_cmp_lt_u32_e32 vcc_lo, 1, v6
	v_add_nc_u32_e32 v5, v7, v5
	v_mov_b32_dpp v7, v5 row_shr:2 row_mask:0xf bank_mask:0xf
	v_cndmask_b32_e32 v6, 0, v7, vcc_lo
	v_add_nc_u32_e32 v5, v5, v6
	ds_write_b32 v66, v5
.LBB1663_1034:                          ;   in Loop: Header=BB1663_20 Depth=1
	s_or_b32 exec_lo, exec_lo, s19
	v_mov_b32_e32 v5, 0
	s_waitcnt lgkmcnt(0)
	s_barrier
	buffer_gl0_inv
	s_and_saveexec_b32 s19, s11
; %bb.1035:                             ;   in Loop: Header=BB1663_20 Depth=1
	ds_read_b32 v5, v67
; %bb.1036:                             ;   in Loop: Header=BB1663_20 Depth=1
	s_or_b32 exec_lo, exec_lo, s19
	v_sub_co_u32 v6, s19, v86, 1
	s_waitcnt lgkmcnt(0)
	v_add_nc_u32_e32 v3, v5, v3
	s_barrier
	v_cmp_gt_i32_e32 vcc_lo, 0, v6
	buffer_gl0_inv
	v_cndmask_b32_e32 v6, v6, v86, vcc_lo
	v_lshlrev_b32_e32 v92, 2, v6
	ds_bpermute_b32 v3, v92, v3
	s_and_saveexec_b32 s20, s8
	s_cbranch_execz .LBB1663_1038
; %bb.1037:                             ;   in Loop: Header=BB1663_20 Depth=1
	s_waitcnt lgkmcnt(0)
	v_cndmask_b32_e64 v3, v3, v5, s19
	v_add_nc_u32_e32 v3, s58, v3
	ds_write_b32 v43, v3
.LBB1663_1038:                          ;   in Loop: Header=BB1663_20 Depth=1
	s_or_b32 exec_lo, exec_lo, s20
	s_load_dwordx2 s[20:21], s[56:57], 0x0
	v_and_b32_e32 v6, 7, v86
	v_lshlrev_b32_e32 v7, 3, v86
	v_or_b32_e32 v93, v86, v68
	s_mov_b32 s63, s60
	s_mov_b32 s50, s58
                                        ; implicit-def: $vgpr9_vgpr10
                                        ; implicit-def: $vgpr11_vgpr12
                                        ; implicit-def: $vgpr13_vgpr14
                                        ; implicit-def: $vgpr15_vgpr16
                                        ; implicit-def: $vgpr19_vgpr20
                                        ; implicit-def: $vgpr23_vgpr24
                                        ; implicit-def: $vgpr27_vgpr28
                                        ; implicit-def: $vgpr17_vgpr18
                                        ; implicit-def: $vgpr21_vgpr22
                                        ; implicit-def: $vgpr25_vgpr26
                                        ; implicit-def: $vgpr29_vgpr30
                                        ; implicit-def: $vgpr31_vgpr32
                                        ; implicit-def: $vgpr33_vgpr34
                                        ; implicit-def: $vgpr35_vgpr36
                                        ; implicit-def: $vgpr37_vgpr38
                                        ; implicit-def: $vgpr115
                                        ; implicit-def: $vgpr116
                                        ; implicit-def: $vgpr117
                                        ; implicit-def: $vgpr118
                                        ; implicit-def: $vgpr119
                                        ; implicit-def: $vgpr120
                                        ; implicit-def: $vgpr121
                                        ; implicit-def: $vgpr122
                                        ; implicit-def: $vgpr123
                                        ; implicit-def: $vgpr124
                                        ; implicit-def: $vgpr125
                                        ; implicit-def: $vgpr126
                                        ; implicit-def: $vgpr127
                                        ; implicit-def: $vgpr128
                                        ; implicit-def: $vgpr129
                                        ; implicit-def: $vgpr130
                                        ; implicit-def: $vgpr131
                                        ; implicit-def: $vgpr132
                                        ; implicit-def: $vgpr133
	v_add_co_u32 v94, vcc_lo, v84, v7
	v_add_co_ci_u32_e64 v95, null, 0, v85, vcc_lo
	v_add_co_u32 v112, vcc_lo, v87, v86
	v_add_nc_u32_e32 v96, 32, v93
	v_add_nc_u32_e32 v97, 64, v93
	;; [unrolled: 1-line block ×7, first 2 shown]
	s_waitcnt lgkmcnt(0)
	s_cmp_lt_u32 s7, s21
	v_add_nc_u32_e32 v103, 0x100, v93
	s_cselect_b32 s21, 14, 20
	v_add_nc_u32_e32 v104, 0x120, v93
	s_add_u32 s22, s56, s21
	s_addc_u32 s23, s57, 0
	s_cmp_lt_u32 s6, s20
	global_load_ushort v3, v4, s[22:23]
	s_cselect_b32 s20, 12, 18
	v_add_nc_u32_e32 v105, 0x140, v93
	s_add_u32 s20, s56, s20
	s_addc_u32 s21, s57, 0
	v_add_nc_u32_e32 v106, 0x160, v93
	global_load_ushort v5, v4, s[20:21]
	v_cmp_eq_u32_e64 s20, 0, v6
	v_cmp_lt_u32_e64 s21, 1, v6
	v_cmp_lt_u32_e64 s22, 3, v6
	v_add_nc_u32_e32 v107, 0x180, v93
	v_add_nc_u32_e32 v108, 0x1a0, v93
	;; [unrolled: 1-line block ×5, first 2 shown]
	v_add_co_ci_u32_e64 v113, null, 0, v88, vcc_lo
                                        ; implicit-def: $vgpr7_vgpr8
	s_waitcnt vmcnt(1)
	v_mad_u32_u24 v3, v2, v3, v1
	s_waitcnt vmcnt(0)
	v_mad_u64_u32 v[5:6], null, v3, v5, v[0:1]
	v_lshrrev_b32_e32 v3, 3, v5
                                        ; implicit-def: $vgpr5_vgpr6
	v_and_b32_e32 v114, 0x1ffffffc, v3
	s_branch .LBB1663_1040
.LBB1663_1039:                          ;   in Loop: Header=BB1663_1040 Depth=2
	s_or_b32 exec_lo, exec_lo, s23
	s_addk_i32 s63, 0xef00
	s_cmp_lt_u32 s64, s59
	s_mov_b32 s50, s64
	s_cbranch_scc0 .LBB1663_18
.LBB1663_1040:                          ;   Parent Loop BB1663_20 Depth=1
                                        ; =>  This Inner Loop Header: Depth=2
	s_add_i32 s64, s50, 0x1100
	s_cmp_gt_u32 s64, s59
	s_cbranch_scc1 .LBB1663_1042
; %bb.1041:                             ;   in Loop: Header=BB1663_1040 Depth=2
	v_add_co_u32 v39, vcc_lo, v112, s50
	v_add_co_ci_u32_e64 v40, null, 0, v113, vcc_lo
	s_mov_b32 s23, -1
	s_clause 0xf
	global_load_ubyte v134, v[39:40], off
	global_load_ubyte v135, v[39:40], off offset:32
	global_load_ubyte v136, v[39:40], off offset:64
	;; [unrolled: 1-line block ×15, first 2 shown]
	s_movk_i32 s24, 0x1100
	s_cbranch_execz .LBB1663_1043
	s_branch .LBB1663_1076
.LBB1663_1042:                          ;   in Loop: Header=BB1663_1040 Depth=2
	s_mov_b32 s23, 0
                                        ; implicit-def: $vgpr134
                                        ; implicit-def: $vgpr135
                                        ; implicit-def: $vgpr136
                                        ; implicit-def: $vgpr137
                                        ; implicit-def: $vgpr138
                                        ; implicit-def: $vgpr139
                                        ; implicit-def: $vgpr140
                                        ; implicit-def: $vgpr141
                                        ; implicit-def: $vgpr142
                                        ; implicit-def: $vgpr143
                                        ; implicit-def: $vgpr144
                                        ; implicit-def: $vgpr145
                                        ; implicit-def: $vgpr146
                                        ; implicit-def: $vgpr147
                                        ; implicit-def: $vgpr148
                                        ; implicit-def: $vgpr149
	s_movk_i32 s24, 0x1100
.LBB1663_1043:                          ;   in Loop: Header=BB1663_1040 Depth=2
	v_add_co_u32 v39, vcc_lo, v112, s50
	v_add_co_ci_u32_e64 v40, null, 0, v113, vcc_lo
	s_waitcnt vmcnt(14)
	v_mov_b32_e32 v135, 1
	v_mov_b32_e32 v134, 1
	s_mov_b32 s23, exec_lo
	v_cmpx_gt_u32_e64 s63, v93
	s_cbranch_execz .LBB1663_1045
; %bb.1044:                             ;   in Loop: Header=BB1663_1040 Depth=2
	global_load_ubyte v134, v[39:40], off
.LBB1663_1045:                          ;   in Loop: Header=BB1663_1040 Depth=2
	s_or_b32 exec_lo, exec_lo, s23
	s_mov_b32 s23, exec_lo
	v_cmpx_gt_u32_e64 s63, v96
	s_cbranch_execz .LBB1663_1047
; %bb.1046:                             ;   in Loop: Header=BB1663_1040 Depth=2
	global_load_ubyte v135, v[39:40], off offset:32
.LBB1663_1047:                          ;   in Loop: Header=BB1663_1040 Depth=2
	s_or_b32 exec_lo, exec_lo, s23
	s_waitcnt vmcnt(12)
	v_mov_b32_e32 v137, 1
	v_mov_b32_e32 v136, 1
	s_mov_b32 s23, exec_lo
	v_cmpx_gt_u32_e64 s63, v97
	s_cbranch_execz .LBB1663_1049
; %bb.1048:                             ;   in Loop: Header=BB1663_1040 Depth=2
	global_load_ubyte v136, v[39:40], off offset:64
.LBB1663_1049:                          ;   in Loop: Header=BB1663_1040 Depth=2
	s_or_b32 exec_lo, exec_lo, s23
	s_mov_b32 s23, exec_lo
	v_cmpx_gt_u32_e64 s63, v98
	s_cbranch_execz .LBB1663_1051
; %bb.1050:                             ;   in Loop: Header=BB1663_1040 Depth=2
	global_load_ubyte v137, v[39:40], off offset:96
.LBB1663_1051:                          ;   in Loop: Header=BB1663_1040 Depth=2
	s_or_b32 exec_lo, exec_lo, s23
	s_waitcnt vmcnt(10)
	v_mov_b32_e32 v139, 1
	v_mov_b32_e32 v138, 1
	s_mov_b32 s23, exec_lo
	v_cmpx_gt_u32_e64 s63, v99
	s_cbranch_execz .LBB1663_1053
; %bb.1052:                             ;   in Loop: Header=BB1663_1040 Depth=2
	global_load_ubyte v138, v[39:40], off offset:128
.LBB1663_1053:                          ;   in Loop: Header=BB1663_1040 Depth=2
	;; [unrolled: 17-line block ×7, first 2 shown]
	s_or_b32 exec_lo, exec_lo, s23
	s_mov_b32 s23, exec_lo
	v_cmpx_gt_u32_e64 s63, v110
	s_cbranch_execz .LBB1663_1075
; %bb.1074:                             ;   in Loop: Header=BB1663_1040 Depth=2
	global_load_ubyte v149, v[39:40], off offset:480
.LBB1663_1075:                          ;   in Loop: Header=BB1663_1040 Depth=2
	s_or_b32 exec_lo, exec_lo, s23
	v_cmp_gt_u32_e64 s23, s63, v111
	s_sub_i32 s24, s59, s50
.LBB1663_1076:                          ;   in Loop: Header=BB1663_1040 Depth=2
	v_mov_b32_e32 v150, 1
	v_mov_b32_e32 v3, s63
	s_and_saveexec_b32 s25, s23
	s_cbranch_execz .LBB1663_1078
; %bb.1077:                             ;   in Loop: Header=BB1663_1040 Depth=2
	v_add_co_u32 v39, vcc_lo, v112, s50
	v_add_co_ci_u32_e64 v40, null, s51, v113, vcc_lo
	v_mov_b32_e32 v3, s24
	global_load_ubyte v150, v[39:40], off offset:512
.LBB1663_1078:                          ;   in Loop: Header=BB1663_1040 Depth=2
	s_or_b32 exec_lo, exec_lo, s25
	s_waitcnt vmcnt(15)
	v_lshrrev_b32_sdwa v39, s41, v134 dst_sel:DWORD dst_unused:UNUSED_PAD src0_sel:DWORD src1_sel:BYTE_0
	ds_write2_b32 v69, v4, v4 offset0:136 offset1:137
	ds_write2_b32 v69, v4, v4 offset0:138 offset1:139
	ds_write_b32 v69, v4 offset:560
	s_waitcnt vmcnt(0) lgkmcnt(0)
	s_barrier
	v_and_b32_e32 v40, s62, v39
	buffer_gl0_inv
	; wave barrier
	v_add_co_u32 v39, s23, v40, -1
	v_cndmask_b32_e64 v41, 0, 1, s23
	v_mul_u32_u24_e32 v40, 36, v40
	v_cmp_ne_u32_e32 vcc_lo, 0, v41
	v_add_nc_u32_e32 v154, v114, v40
	v_xor_b32_e32 v39, vcc_lo, v39
	v_and_b32_e32 v39, exec_lo, v39
	v_mbcnt_lo_u32_b32 v151, v39, 0
	v_cmp_ne_u32_e64 s23, 0, v39
	v_cmp_eq_u32_e32 vcc_lo, 0, v151
	s_and_b32 s24, s23, vcc_lo
	s_and_saveexec_b32 s23, s24
; %bb.1079:                             ;   in Loop: Header=BB1663_1040 Depth=2
	v_bcnt_u32_b32 v39, v39, 0
	ds_write_b32 v154, v39 offset:544
; %bb.1080:                             ;   in Loop: Header=BB1663_1040 Depth=2
	s_or_b32 exec_lo, exec_lo, s23
	v_lshrrev_b32_sdwa v39, s41, v135 dst_sel:DWORD dst_unused:UNUSED_PAD src0_sel:DWORD src1_sel:BYTE_0
	; wave barrier
	v_and_b32_e32 v40, s62, v39
	v_add_co_u32 v39, s23, v40, -1
	v_cndmask_b32_e64 v41, 0, 1, s23
	v_cmp_ne_u32_e32 vcc_lo, 0, v41
	v_mad_u32_u24 v41, v40, 36, v114
	v_mul_u32_u24_e32 v40, 36, v40
	v_xor_b32_e32 v39, vcc_lo, v39
	ds_read_b32 v152, v41 offset:544
	v_add_nc_u32_e32 v157, v114, v40
	; wave barrier
	v_and_b32_e32 v39, exec_lo, v39
	v_mbcnt_lo_u32_b32 v153, v39, 0
	v_cmp_ne_u32_e64 s23, 0, v39
	v_cmp_eq_u32_e32 vcc_lo, 0, v153
	s_and_b32 s24, s23, vcc_lo
	s_and_saveexec_b32 s23, s24
	s_cbranch_execz .LBB1663_1082
; %bb.1081:                             ;   in Loop: Header=BB1663_1040 Depth=2
	s_waitcnt lgkmcnt(0)
	v_bcnt_u32_b32 v39, v39, v152
	ds_write_b32 v157, v39 offset:544
.LBB1663_1082:                          ;   in Loop: Header=BB1663_1040 Depth=2
	s_or_b32 exec_lo, exec_lo, s23
	v_lshrrev_b32_sdwa v39, s41, v136 dst_sel:DWORD dst_unused:UNUSED_PAD src0_sel:DWORD src1_sel:BYTE_0
	; wave barrier
	v_and_b32_e32 v40, s62, v39
	v_add_co_u32 v39, s23, v40, -1
	v_cndmask_b32_e64 v41, 0, 1, s23
	v_cmp_ne_u32_e32 vcc_lo, 0, v41
	v_mad_u32_u24 v41, v40, 36, v114
	v_mul_u32_u24_e32 v40, 36, v40
	v_xor_b32_e32 v39, vcc_lo, v39
	ds_read_b32 v155, v41 offset:544
	v_add_nc_u32_e32 v160, v114, v40
	; wave barrier
	v_and_b32_e32 v39, exec_lo, v39
	v_mbcnt_lo_u32_b32 v156, v39, 0
	v_cmp_ne_u32_e64 s23, 0, v39
	v_cmp_eq_u32_e32 vcc_lo, 0, v156
	s_and_b32 s24, s23, vcc_lo
	s_and_saveexec_b32 s23, s24
	s_cbranch_execz .LBB1663_1084
; %bb.1083:                             ;   in Loop: Header=BB1663_1040 Depth=2
	s_waitcnt lgkmcnt(0)
	v_bcnt_u32_b32 v39, v39, v155
	ds_write_b32 v160, v39 offset:544
.LBB1663_1084:                          ;   in Loop: Header=BB1663_1040 Depth=2
	;; [unrolled: 25-line block ×16, first 2 shown]
	s_or_b32 exec_lo, exec_lo, s23
	; wave barrier
	s_waitcnt lgkmcnt(0)
	s_barrier
	buffer_gl0_inv
	ds_read2_b32 v[41:42], v69 offset0:136 offset1:137
	ds_read2_b32 v[39:40], v69 offset0:138 offset1:139
	ds_read_b32 v201, v69 offset:560
	s_waitcnt lgkmcnt(1)
	v_add3_u32 v202, v42, v41, v39
	s_waitcnt lgkmcnt(0)
	v_add3_u32 v201, v202, v40, v201
	v_mov_b32_dpp v202, v201 row_shr:1 row_mask:0xf bank_mask:0xf
	v_cndmask_b32_e64 v202, v202, 0, s5
	v_add_nc_u32_e32 v201, v202, v201
	v_mov_b32_dpp v202, v201 row_shr:2 row_mask:0xf bank_mask:0xf
	v_cndmask_b32_e64 v202, 0, v202, s15
	v_add_nc_u32_e32 v201, v201, v202
	;; [unrolled: 3-line block ×4, first 2 shown]
	ds_swizzle_b32 v202, v201 offset:swizzle(BROADCAST,32,15)
	s_waitcnt lgkmcnt(0)
	v_cndmask_b32_e64 v202, v202, 0, s18
	v_add_nc_u32_e32 v201, v201, v202
	s_and_saveexec_b32 s23, s4
; %bb.1113:                             ;   in Loop: Header=BB1663_1040 Depth=2
	ds_write_b32 v62, v201 offset:512
; %bb.1114:                             ;   in Loop: Header=BB1663_1040 Depth=2
	s_or_b32 exec_lo, exec_lo, s23
	s_waitcnt lgkmcnt(0)
	s_barrier
	buffer_gl0_inv
	s_and_saveexec_b32 s23, s12
	s_cbranch_execz .LBB1663_1116
; %bb.1115:                             ;   in Loop: Header=BB1663_1040 Depth=2
	ds_read_b32 v202, v70 offset:512
	s_waitcnt lgkmcnt(0)
	v_mov_b32_dpp v203, v202 row_shr:1 row_mask:0xf bank_mask:0xf
	v_cndmask_b32_e64 v203, v203, 0, s20
	v_add_nc_u32_e32 v202, v203, v202
	v_mov_b32_dpp v203, v202 row_shr:2 row_mask:0xf bank_mask:0xf
	v_cndmask_b32_e64 v203, 0, v203, s21
	v_add_nc_u32_e32 v202, v202, v203
	;; [unrolled: 3-line block ×3, first 2 shown]
	ds_write_b32 v70, v202 offset:512
.LBB1663_1116:                          ;   in Loop: Header=BB1663_1040 Depth=2
	s_or_b32 exec_lo, exec_lo, s23
	v_mov_b32_e32 v202, 0
	s_waitcnt lgkmcnt(0)
	s_barrier
	buffer_gl0_inv
	s_and_saveexec_b32 s23, s11
; %bb.1117:                             ;   in Loop: Header=BB1663_1040 Depth=2
	ds_read_b32 v202, v62 offset:508
; %bb.1118:                             ;   in Loop: Header=BB1663_1040 Depth=2
	s_or_b32 exec_lo, exec_lo, s23
	s_waitcnt lgkmcnt(0)
	v_add_nc_u32_e32 v201, v202, v201
	ds_bpermute_b32 v201, v92, v201
	s_waitcnt lgkmcnt(0)
	v_cndmask_b32_e64 v201, v201, v202, s19
	v_cndmask_b32_e64 v201, v201, 0, s13
	v_add_nc_u32_e32 v41, v201, v41
	v_add_nc_u32_e32 v42, v41, v42
	;; [unrolled: 1-line block ×4, first 2 shown]
	ds_write2_b32 v69, v201, v41 offset0:136 offset1:137
	ds_write2_b32 v69, v42, v39 offset0:138 offset1:139
	ds_write_b32 v69, v40 offset:560
	s_waitcnt lgkmcnt(0)
	s_barrier
	buffer_gl0_inv
	ds_read_b32 v39, v154 offset:544
	ds_read_b32 v40, v157 offset:544
	;; [unrolled: 1-line block ×17, first 2 shown]
	s_and_saveexec_b32 s23, s8
	s_cbranch_execz .LBB1663_1122
; %bb.1119:                             ;   in Loop: Header=BB1663_1040 Depth=2
	v_add_nc_u32_e32 v132, v70, v72
	v_mov_b32_e32 v133, 0x1100
	ds_read_b32 v132, v132 offset:544
	s_and_saveexec_b32 s24, s14
; %bb.1120:                             ;   in Loop: Header=BB1663_1040 Depth=2
	ds_read_b32 v133, v71 offset:544
; %bb.1121:                             ;   in Loop: Header=BB1663_1040 Depth=2
	s_or_b32 exec_lo, exec_lo, s24
	s_waitcnt lgkmcnt(0)
	v_sub_nc_u32_e32 v133, v133, v132
.LBB1663_1122:                          ;   in Loop: Header=BB1663_1040 Depth=2
	s_or_b32 exec_lo, exec_lo, s23
	s_waitcnt lgkmcnt(0)
	s_barrier
	buffer_gl0_inv
	s_and_saveexec_b32 s23, s8
	s_cbranch_execz .LBB1663_1124
; %bb.1123:                             ;   in Loop: Header=BB1663_1040 Depth=2
	ds_read_b32 v160, v43
	s_waitcnt lgkmcnt(0)
	v_sub_nc_u32_e32 v160, v160, v132
	ds_write_b32 v43, v160
.LBB1663_1124:                          ;   in Loop: Header=BB1663_1040 Depth=2
	s_or_b32 exec_lo, exec_lo, s23
	v_add_nc_u32_e32 v165, v39, v151
	v_add3_u32 v164, v153, v152, v40
	v_add3_u32 v163, v156, v155, v41
	;; [unrolled: 1-line block ×16, first 2 shown]
	v_cmp_lt_u32_e64 s38, v0, v3
	ds_write_b8 v165, v134 offset:512
	ds_write_b8 v164, v135 offset:512
	;; [unrolled: 1-line block ×17, first 2 shown]
	s_waitcnt lgkmcnt(0)
	s_barrier
	buffer_gl0_inv
	s_and_saveexec_b32 s23, s38
	s_cbranch_execnz .LBB1663_1197
; %bb.1125:                             ;   in Loop: Header=BB1663_1040 Depth=2
	s_or_b32 exec_lo, exec_lo, s23
	v_cmp_lt_u32_e64 s39, v44, v3
	s_and_saveexec_b32 s23, s39
	s_cbranch_execnz .LBB1663_1198
.LBB1663_1126:                          ;   in Loop: Header=BB1663_1040 Depth=2
	s_or_b32 exec_lo, exec_lo, s23
	v_cmp_lt_u32_e64 s37, v47, v3
	s_and_saveexec_b32 s23, s37
	s_cbranch_execnz .LBB1663_1199
.LBB1663_1127:                          ;   in Loop: Header=BB1663_1040 Depth=2
	s_or_b32 exec_lo, exec_lo, s23
	v_cmp_lt_u32_e64 s36, v48, v3
	s_and_saveexec_b32 s23, s36
	s_cbranch_execnz .LBB1663_1200
.LBB1663_1128:                          ;   in Loop: Header=BB1663_1040 Depth=2
	s_or_b32 exec_lo, exec_lo, s23
	v_cmp_lt_u32_e64 s35, v49, v3
	s_and_saveexec_b32 s23, s35
	s_cbranch_execnz .LBB1663_1201
.LBB1663_1129:                          ;   in Loop: Header=BB1663_1040 Depth=2
	s_or_b32 exec_lo, exec_lo, s23
	v_cmp_lt_u32_e64 s34, v50, v3
	s_and_saveexec_b32 s23, s34
	s_cbranch_execnz .LBB1663_1202
.LBB1663_1130:                          ;   in Loop: Header=BB1663_1040 Depth=2
	s_or_b32 exec_lo, exec_lo, s23
	v_cmp_lt_u32_e64 s33, v51, v3
	s_and_saveexec_b32 s23, s33
	s_cbranch_execnz .LBB1663_1203
.LBB1663_1131:                          ;   in Loop: Header=BB1663_1040 Depth=2
	s_or_b32 exec_lo, exec_lo, s23
	v_cmp_lt_u32_e64 s31, v52, v3
	s_and_saveexec_b32 s23, s31
	s_cbranch_execnz .LBB1663_1204
.LBB1663_1132:                          ;   in Loop: Header=BB1663_1040 Depth=2
	s_or_b32 exec_lo, exec_lo, s23
	v_cmp_lt_u32_e64 s30, v53, v3
	s_and_saveexec_b32 s23, s30
	s_cbranch_execnz .LBB1663_1205
.LBB1663_1133:                          ;   in Loop: Header=BB1663_1040 Depth=2
	s_or_b32 exec_lo, exec_lo, s23
	v_cmp_lt_u32_e64 s29, v54, v3
	s_and_saveexec_b32 s23, s29
	s_cbranch_execnz .LBB1663_1206
.LBB1663_1134:                          ;   in Loop: Header=BB1663_1040 Depth=2
	s_or_b32 exec_lo, exec_lo, s23
	v_cmp_lt_u32_e64 s28, v55, v3
	s_and_saveexec_b32 s23, s28
	s_cbranch_execnz .LBB1663_1207
.LBB1663_1135:                          ;   in Loop: Header=BB1663_1040 Depth=2
	s_or_b32 exec_lo, exec_lo, s23
	v_cmp_lt_u32_e64 s27, v56, v3
	s_and_saveexec_b32 s23, s27
	s_cbranch_execnz .LBB1663_1208
.LBB1663_1136:                          ;   in Loop: Header=BB1663_1040 Depth=2
	s_or_b32 exec_lo, exec_lo, s23
	v_cmp_lt_u32_e64 s26, v57, v3
	s_and_saveexec_b32 s23, s26
	s_cbranch_execnz .LBB1663_1209
.LBB1663_1137:                          ;   in Loop: Header=BB1663_1040 Depth=2
	s_or_b32 exec_lo, exec_lo, s23
	v_cmp_lt_u32_e64 s25, v58, v3
	s_and_saveexec_b32 s23, s25
	s_cbranch_execnz .LBB1663_1210
.LBB1663_1138:                          ;   in Loop: Header=BB1663_1040 Depth=2
	s_or_b32 exec_lo, exec_lo, s23
	v_cmp_lt_u32_e64 s24, v59, v3
	s_and_saveexec_b32 s23, s24
	s_cbranch_execnz .LBB1663_1211
.LBB1663_1139:                          ;   in Loop: Header=BB1663_1040 Depth=2
	s_or_b32 exec_lo, exec_lo, s23
	v_cmp_lt_u32_e64 s23, v60, v3
	s_and_saveexec_b32 s40, s23
	s_cbranch_execnz .LBB1663_1212
.LBB1663_1140:                          ;   in Loop: Header=BB1663_1040 Depth=2
	s_or_b32 exec_lo, exec_lo, s40
	v_cmp_lt_u32_e32 vcc_lo, v61, v3
	s_and_saveexec_b32 s40, vcc_lo
	s_cbranch_execz .LBB1663_1142
.LBB1663_1141:                          ;   in Loop: Header=BB1663_1040 Depth=2
	ds_read_u8 v39, v0 offset:4608
	s_waitcnt lgkmcnt(0)
	v_and_b32_e32 v40, 1, v39
	v_lshrrev_b32_e32 v40, s41, v40
	v_and_b32_e32 v40, s62, v40
	v_lshlrev_b32_e32 v40, 2, v40
	ds_read_b32 v40, v40
	s_waitcnt lgkmcnt(0)
	v_add_nc_u32_e32 v40, v40, v61
	global_store_byte v40, v39, s[48:49]
.LBB1663_1142:                          ;   in Loop: Header=BB1663_1040 Depth=2
	s_or_b32 exec_lo, exec_lo, s40
	s_lshl_b64 s[66:67], s[50:51], 3
	v_add_co_u32 v39, s40, v94, s66
	v_add_co_ci_u32_e64 v40, null, s67, v95, s40
	v_cmp_lt_u32_e64 s40, v93, v3
	s_and_saveexec_b32 s50, s40
	s_xor_b32 s40, exec_lo, s50
	s_cbranch_execnz .LBB1663_1213
; %bb.1143:                             ;   in Loop: Header=BB1663_1040 Depth=2
	s_or_b32 exec_lo, exec_lo, s40
	s_mov_b32 s50, exec_lo
	v_cmpx_lt_u32_e64 v96, v3
	s_cbranch_execnz .LBB1663_1214
.LBB1663_1144:                          ;   in Loop: Header=BB1663_1040 Depth=2
	s_or_b32 exec_lo, exec_lo, s50
	s_mov_b32 s50, exec_lo
	v_cmpx_lt_u32_e64 v97, v3
	s_cbranch_execnz .LBB1663_1215
.LBB1663_1145:                          ;   in Loop: Header=BB1663_1040 Depth=2
	s_or_b32 exec_lo, exec_lo, s50
	s_mov_b32 s50, exec_lo
	v_cmpx_lt_u32_e64 v98, v3
	s_cbranch_execnz .LBB1663_1216
.LBB1663_1146:                          ;   in Loop: Header=BB1663_1040 Depth=2
	s_or_b32 exec_lo, exec_lo, s50
	s_mov_b32 s50, exec_lo
	v_cmpx_lt_u32_e64 v99, v3
	s_cbranch_execnz .LBB1663_1217
.LBB1663_1147:                          ;   in Loop: Header=BB1663_1040 Depth=2
	s_or_b32 exec_lo, exec_lo, s50
	s_mov_b32 s50, exec_lo
	v_cmpx_lt_u32_e64 v100, v3
	s_cbranch_execnz .LBB1663_1218
.LBB1663_1148:                          ;   in Loop: Header=BB1663_1040 Depth=2
	s_or_b32 exec_lo, exec_lo, s50
	s_mov_b32 s50, exec_lo
	v_cmpx_lt_u32_e64 v101, v3
	s_cbranch_execnz .LBB1663_1219
.LBB1663_1149:                          ;   in Loop: Header=BB1663_1040 Depth=2
	s_or_b32 exec_lo, exec_lo, s50
	s_mov_b32 s50, exec_lo
	v_cmpx_lt_u32_e64 v102, v3
	s_cbranch_execnz .LBB1663_1220
.LBB1663_1150:                          ;   in Loop: Header=BB1663_1040 Depth=2
	s_or_b32 exec_lo, exec_lo, s50
	s_mov_b32 s50, exec_lo
	v_cmpx_lt_u32_e64 v103, v3
	s_cbranch_execnz .LBB1663_1221
.LBB1663_1151:                          ;   in Loop: Header=BB1663_1040 Depth=2
	s_or_b32 exec_lo, exec_lo, s50
	s_mov_b32 s50, exec_lo
	v_cmpx_lt_u32_e64 v104, v3
	s_cbranch_execnz .LBB1663_1222
.LBB1663_1152:                          ;   in Loop: Header=BB1663_1040 Depth=2
	s_or_b32 exec_lo, exec_lo, s50
	s_mov_b32 s50, exec_lo
	v_cmpx_lt_u32_e64 v105, v3
	s_cbranch_execnz .LBB1663_1223
.LBB1663_1153:                          ;   in Loop: Header=BB1663_1040 Depth=2
	s_or_b32 exec_lo, exec_lo, s50
	s_mov_b32 s50, exec_lo
	v_cmpx_lt_u32_e64 v106, v3
	s_cbranch_execnz .LBB1663_1224
.LBB1663_1154:                          ;   in Loop: Header=BB1663_1040 Depth=2
	s_or_b32 exec_lo, exec_lo, s50
	s_mov_b32 s50, exec_lo
	v_cmpx_lt_u32_e64 v107, v3
	s_cbranch_execnz .LBB1663_1225
.LBB1663_1155:                          ;   in Loop: Header=BB1663_1040 Depth=2
	s_or_b32 exec_lo, exec_lo, s50
	s_mov_b32 s50, exec_lo
	v_cmpx_lt_u32_e64 v108, v3
	s_cbranch_execnz .LBB1663_1226
.LBB1663_1156:                          ;   in Loop: Header=BB1663_1040 Depth=2
	s_or_b32 exec_lo, exec_lo, s50
	s_mov_b32 s50, exec_lo
	v_cmpx_lt_u32_e64 v109, v3
	s_cbranch_execnz .LBB1663_1227
.LBB1663_1157:                          ;   in Loop: Header=BB1663_1040 Depth=2
	s_or_b32 exec_lo, exec_lo, s50
	s_mov_b32 s50, exec_lo
	v_cmpx_lt_u32_e64 v110, v3
	s_cbranch_execnz .LBB1663_1228
.LBB1663_1158:                          ;   in Loop: Header=BB1663_1040 Depth=2
	s_or_b32 exec_lo, exec_lo, s50
	s_mov_b32 s50, exec_lo
	v_cmpx_lt_u32_e64 v111, v3
	s_cbranch_execnz .LBB1663_1229
.LBB1663_1159:                          ;   in Loop: Header=BB1663_1040 Depth=2
	s_or_b32 exec_lo, exec_lo, s50
	s_and_saveexec_b32 s40, s38
	s_cbranch_execnz .LBB1663_1230
.LBB1663_1160:                          ;   in Loop: Header=BB1663_1040 Depth=2
	s_or_b32 exec_lo, exec_lo, s40
	s_and_saveexec_b32 s40, s39
	s_cbranch_execnz .LBB1663_1231
.LBB1663_1161:                          ;   in Loop: Header=BB1663_1040 Depth=2
	s_or_b32 exec_lo, exec_lo, s40
	s_and_saveexec_b32 s40, s37
	s_cbranch_execnz .LBB1663_1232
.LBB1663_1162:                          ;   in Loop: Header=BB1663_1040 Depth=2
	s_or_b32 exec_lo, exec_lo, s40
	s_and_saveexec_b32 s40, s36
	s_cbranch_execnz .LBB1663_1233
.LBB1663_1163:                          ;   in Loop: Header=BB1663_1040 Depth=2
	s_or_b32 exec_lo, exec_lo, s40
	s_and_saveexec_b32 s40, s35
	s_cbranch_execnz .LBB1663_1234
.LBB1663_1164:                          ;   in Loop: Header=BB1663_1040 Depth=2
	s_or_b32 exec_lo, exec_lo, s40
	s_and_saveexec_b32 s40, s34
	s_cbranch_execnz .LBB1663_1235
.LBB1663_1165:                          ;   in Loop: Header=BB1663_1040 Depth=2
	s_or_b32 exec_lo, exec_lo, s40
	s_and_saveexec_b32 s40, s33
	s_cbranch_execnz .LBB1663_1236
.LBB1663_1166:                          ;   in Loop: Header=BB1663_1040 Depth=2
	s_or_b32 exec_lo, exec_lo, s40
	s_and_saveexec_b32 s40, s31
	s_cbranch_execnz .LBB1663_1237
.LBB1663_1167:                          ;   in Loop: Header=BB1663_1040 Depth=2
	s_or_b32 exec_lo, exec_lo, s40
	s_and_saveexec_b32 s40, s30
	s_cbranch_execnz .LBB1663_1238
.LBB1663_1168:                          ;   in Loop: Header=BB1663_1040 Depth=2
	s_or_b32 exec_lo, exec_lo, s40
	s_and_saveexec_b32 s40, s29
	s_cbranch_execnz .LBB1663_1239
.LBB1663_1169:                          ;   in Loop: Header=BB1663_1040 Depth=2
	s_or_b32 exec_lo, exec_lo, s40
	s_and_saveexec_b32 s40, s28
	s_cbranch_execnz .LBB1663_1240
.LBB1663_1170:                          ;   in Loop: Header=BB1663_1040 Depth=2
	s_or_b32 exec_lo, exec_lo, s40
	s_and_saveexec_b32 s40, s27
	s_cbranch_execnz .LBB1663_1241
.LBB1663_1171:                          ;   in Loop: Header=BB1663_1040 Depth=2
	s_or_b32 exec_lo, exec_lo, s40
	s_and_saveexec_b32 s40, s26
	s_cbranch_execnz .LBB1663_1242
.LBB1663_1172:                          ;   in Loop: Header=BB1663_1040 Depth=2
	s_or_b32 exec_lo, exec_lo, s40
	s_and_saveexec_b32 s40, s25
	s_cbranch_execnz .LBB1663_1243
.LBB1663_1173:                          ;   in Loop: Header=BB1663_1040 Depth=2
	s_or_b32 exec_lo, exec_lo, s40
	s_and_saveexec_b32 s40, s24
	s_cbranch_execnz .LBB1663_1244
.LBB1663_1174:                          ;   in Loop: Header=BB1663_1040 Depth=2
	s_or_b32 exec_lo, exec_lo, s40
	s_and_saveexec_b32 s40, s23
	s_cbranch_execnz .LBB1663_1245
.LBB1663_1175:                          ;   in Loop: Header=BB1663_1040 Depth=2
	s_or_b32 exec_lo, exec_lo, s40
	s_and_saveexec_b32 s40, vcc_lo
	s_cbranch_execz .LBB1663_1177
.LBB1663_1176:                          ;   in Loop: Header=BB1663_1040 Depth=2
	ds_read_u8 v3, v0 offset:4608
	s_waitcnt lgkmcnt(0)
	v_lshrrev_b32_e32 v3, s41, v3
	v_and_b32_e32 v115, s62, v3
.LBB1663_1177:                          ;   in Loop: Header=BB1663_1040 Depth=2
	s_or_b32 exec_lo, exec_lo, s40
	v_lshlrev_b32_e32 v3, 3, v165
	v_lshlrev_b32_e32 v39, 3, v164
	s_waitcnt vmcnt(0)
	s_waitcnt_vscnt null, 0x0
	s_barrier
	buffer_gl0_inv
	ds_write_b64 v3, v[37:38] offset:512
	v_lshlrev_b32_e32 v3, 3, v163
	ds_write_b64 v39, v[35:36] offset:512
	v_lshlrev_b32_e32 v39, 3, v162
	v_lshlrev_b32_e32 v40, 3, v161
	;; [unrolled: 1-line block ×3, first 2 shown]
	ds_write_b64 v3, v[33:34] offset:512
	v_lshlrev_b32_e32 v3, 3, v159
	ds_write_b64 v39, v[31:32] offset:512
	ds_write_b64 v40, v[29:30] offset:512
	;; [unrolled: 1-line block ×3, first 2 shown]
	v_lshlrev_b32_e32 v39, 3, v158
	v_lshlrev_b32_e32 v40, 3, v156
	;; [unrolled: 1-line block ×3, first 2 shown]
	ds_write_b64 v3, v[21:22] offset:512
	v_lshlrev_b32_e32 v3, 3, v157
	ds_write_b64 v39, v[17:18] offset:512
	v_lshlrev_b32_e32 v39, 3, v154
	ds_write_b64 v3, v[27:28] offset:512
	ds_write_b64 v40, v[23:24] offset:512
	;; [unrolled: 1-line block ×3, first 2 shown]
	v_lshlrev_b32_e32 v3, 3, v153
	ds_write_b64 v39, v[15:16] offset:512
	v_lshlrev_b32_e32 v39, 3, v152
	v_lshlrev_b32_e32 v40, 3, v151
	;; [unrolled: 1-line block ×3, first 2 shown]
	ds_write_b64 v3, v[13:14] offset:512
	v_lshlrev_b32_e32 v3, 3, v41
	ds_write_b64 v39, v[11:12] offset:512
	ds_write_b64 v40, v[9:10] offset:512
	;; [unrolled: 1-line block ×3, first 2 shown]
	v_add_nc_u32_e32 v39, v0, v75
	ds_write_b64 v3, v[5:6] offset:512
	s_waitcnt lgkmcnt(0)
	s_barrier
	buffer_gl0_inv
	s_and_saveexec_b32 s40, s38
	s_cbranch_execnz .LBB1663_1246
; %bb.1178:                             ;   in Loop: Header=BB1663_1040 Depth=2
	s_or_b32 exec_lo, exec_lo, s40
	s_and_saveexec_b32 s40, s39
	s_cbranch_execnz .LBB1663_1247
.LBB1663_1179:                          ;   in Loop: Header=BB1663_1040 Depth=2
	s_or_b32 exec_lo, exec_lo, s40
	s_and_saveexec_b32 s38, s37
	s_cbranch_execnz .LBB1663_1248
.LBB1663_1180:                          ;   in Loop: Header=BB1663_1040 Depth=2
	s_or_b32 exec_lo, exec_lo, s38
	s_and_saveexec_b32 s37, s36
	s_cbranch_execnz .LBB1663_1249
.LBB1663_1181:                          ;   in Loop: Header=BB1663_1040 Depth=2
	s_or_b32 exec_lo, exec_lo, s37
	s_and_saveexec_b32 s36, s35
	s_cbranch_execnz .LBB1663_1250
.LBB1663_1182:                          ;   in Loop: Header=BB1663_1040 Depth=2
	s_or_b32 exec_lo, exec_lo, s36
	s_and_saveexec_b32 s35, s34
	s_cbranch_execnz .LBB1663_1251
.LBB1663_1183:                          ;   in Loop: Header=BB1663_1040 Depth=2
	s_or_b32 exec_lo, exec_lo, s35
	s_and_saveexec_b32 s34, s33
	s_cbranch_execnz .LBB1663_1252
.LBB1663_1184:                          ;   in Loop: Header=BB1663_1040 Depth=2
	s_or_b32 exec_lo, exec_lo, s34
	s_and_saveexec_b32 s33, s31
	s_cbranch_execnz .LBB1663_1253
.LBB1663_1185:                          ;   in Loop: Header=BB1663_1040 Depth=2
	s_or_b32 exec_lo, exec_lo, s33
	s_and_saveexec_b32 s31, s30
	s_cbranch_execnz .LBB1663_1254
.LBB1663_1186:                          ;   in Loop: Header=BB1663_1040 Depth=2
	s_or_b32 exec_lo, exec_lo, s31
	s_and_saveexec_b32 s30, s29
	s_cbranch_execnz .LBB1663_1255
.LBB1663_1187:                          ;   in Loop: Header=BB1663_1040 Depth=2
	s_or_b32 exec_lo, exec_lo, s30
	s_and_saveexec_b32 s29, s28
	s_cbranch_execnz .LBB1663_1256
.LBB1663_1188:                          ;   in Loop: Header=BB1663_1040 Depth=2
	s_or_b32 exec_lo, exec_lo, s29
	s_and_saveexec_b32 s28, s27
	s_cbranch_execnz .LBB1663_1257
.LBB1663_1189:                          ;   in Loop: Header=BB1663_1040 Depth=2
	s_or_b32 exec_lo, exec_lo, s28
	s_and_saveexec_b32 s27, s26
	s_cbranch_execnz .LBB1663_1258
.LBB1663_1190:                          ;   in Loop: Header=BB1663_1040 Depth=2
	s_or_b32 exec_lo, exec_lo, s27
	s_and_saveexec_b32 s26, s25
	s_cbranch_execnz .LBB1663_1259
.LBB1663_1191:                          ;   in Loop: Header=BB1663_1040 Depth=2
	s_or_b32 exec_lo, exec_lo, s26
	s_and_saveexec_b32 s25, s24
	s_cbranch_execnz .LBB1663_1260
.LBB1663_1192:                          ;   in Loop: Header=BB1663_1040 Depth=2
	s_or_b32 exec_lo, exec_lo, s25
	s_and_saveexec_b32 s24, s23
	s_cbranch_execnz .LBB1663_1261
.LBB1663_1193:                          ;   in Loop: Header=BB1663_1040 Depth=2
	s_or_b32 exec_lo, exec_lo, s24
	s_and_saveexec_b32 s23, vcc_lo
	s_cbranch_execz .LBB1663_1195
.LBB1663_1194:                          ;   in Loop: Header=BB1663_1040 Depth=2
	v_lshlrev_b32_e32 v3, 2, v115
	ds_read_b32 v3, v3
	ds_read_b64 v[39:40], v39 offset:33280
	s_waitcnt lgkmcnt(1)
	v_add_nc_u32_e32 v3, v3, v61
	v_lshlrev_b64 v[41:42], 3, v[3:4]
	v_add_co_u32 v41, vcc_lo, s54, v41
	v_add_co_ci_u32_e64 v42, null, s55, v42, vcc_lo
	s_waitcnt lgkmcnt(0)
	global_store_dwordx2 v[41:42], v[39:40], off
.LBB1663_1195:                          ;   in Loop: Header=BB1663_1040 Depth=2
	s_or_b32 exec_lo, exec_lo, s23
	s_waitcnt_vscnt null, 0x0
	s_barrier
	buffer_gl0_inv
	s_and_saveexec_b32 s23, s8
	s_cbranch_execz .LBB1663_1039
; %bb.1196:                             ;   in Loop: Header=BB1663_1040 Depth=2
	ds_read_b32 v3, v43
	s_waitcnt lgkmcnt(0)
	v_add3_u32 v3, v132, v133, v3
	ds_write_b32 v43, v3
	s_branch .LBB1663_1039
.LBB1663_1197:                          ;   in Loop: Header=BB1663_1040 Depth=2
	ds_read_u8 v39, v0 offset:512
	s_waitcnt lgkmcnt(0)
	v_and_b32_e32 v40, 1, v39
	v_lshrrev_b32_e32 v40, s41, v40
	v_and_b32_e32 v40, s62, v40
	v_lshlrev_b32_e32 v40, 2, v40
	ds_read_b32 v40, v40
	s_waitcnt lgkmcnt(0)
	v_add_nc_u32_e32 v40, v40, v0
	global_store_byte v40, v39, s[48:49]
	s_or_b32 exec_lo, exec_lo, s23
	v_cmp_lt_u32_e64 s39, v44, v3
	s_and_saveexec_b32 s23, s39
	s_cbranch_execz .LBB1663_1126
.LBB1663_1198:                          ;   in Loop: Header=BB1663_1040 Depth=2
	ds_read_u8 v39, v0 offset:768
	s_waitcnt lgkmcnt(0)
	v_and_b32_e32 v40, 1, v39
	v_lshrrev_b32_e32 v40, s41, v40
	v_and_b32_e32 v40, s62, v40
	v_lshlrev_b32_e32 v40, 2, v40
	ds_read_b32 v40, v40
	s_waitcnt lgkmcnt(0)
	v_add_nc_u32_e32 v40, v40, v44
	global_store_byte v40, v39, s[48:49]
	s_or_b32 exec_lo, exec_lo, s23
	v_cmp_lt_u32_e64 s37, v47, v3
	s_and_saveexec_b32 s23, s37
	s_cbranch_execz .LBB1663_1127
.LBB1663_1199:                          ;   in Loop: Header=BB1663_1040 Depth=2
	ds_read_u8 v39, v0 offset:1024
	s_waitcnt lgkmcnt(0)
	v_and_b32_e32 v40, 1, v39
	v_lshrrev_b32_e32 v40, s41, v40
	v_and_b32_e32 v40, s62, v40
	v_lshlrev_b32_e32 v40, 2, v40
	ds_read_b32 v40, v40
	s_waitcnt lgkmcnt(0)
	v_add_nc_u32_e32 v40, v40, v47
	global_store_byte v40, v39, s[48:49]
	s_or_b32 exec_lo, exec_lo, s23
	v_cmp_lt_u32_e64 s36, v48, v3
	s_and_saveexec_b32 s23, s36
	s_cbranch_execz .LBB1663_1128
.LBB1663_1200:                          ;   in Loop: Header=BB1663_1040 Depth=2
	ds_read_u8 v39, v0 offset:1280
	s_waitcnt lgkmcnt(0)
	v_and_b32_e32 v40, 1, v39
	v_lshrrev_b32_e32 v40, s41, v40
	v_and_b32_e32 v40, s62, v40
	v_lshlrev_b32_e32 v40, 2, v40
	ds_read_b32 v40, v40
	s_waitcnt lgkmcnt(0)
	v_add_nc_u32_e32 v40, v40, v48
	global_store_byte v40, v39, s[48:49]
	s_or_b32 exec_lo, exec_lo, s23
	v_cmp_lt_u32_e64 s35, v49, v3
	s_and_saveexec_b32 s23, s35
	s_cbranch_execz .LBB1663_1129
.LBB1663_1201:                          ;   in Loop: Header=BB1663_1040 Depth=2
	ds_read_u8 v39, v0 offset:1536
	s_waitcnt lgkmcnt(0)
	v_and_b32_e32 v40, 1, v39
	v_lshrrev_b32_e32 v40, s41, v40
	v_and_b32_e32 v40, s62, v40
	v_lshlrev_b32_e32 v40, 2, v40
	ds_read_b32 v40, v40
	s_waitcnt lgkmcnt(0)
	v_add_nc_u32_e32 v40, v40, v49
	global_store_byte v40, v39, s[48:49]
	s_or_b32 exec_lo, exec_lo, s23
	v_cmp_lt_u32_e64 s34, v50, v3
	s_and_saveexec_b32 s23, s34
	s_cbranch_execz .LBB1663_1130
.LBB1663_1202:                          ;   in Loop: Header=BB1663_1040 Depth=2
	ds_read_u8 v39, v0 offset:1792
	s_waitcnt lgkmcnt(0)
	v_and_b32_e32 v40, 1, v39
	v_lshrrev_b32_e32 v40, s41, v40
	v_and_b32_e32 v40, s62, v40
	v_lshlrev_b32_e32 v40, 2, v40
	ds_read_b32 v40, v40
	s_waitcnt lgkmcnt(0)
	v_add_nc_u32_e32 v40, v40, v50
	global_store_byte v40, v39, s[48:49]
	s_or_b32 exec_lo, exec_lo, s23
	v_cmp_lt_u32_e64 s33, v51, v3
	s_and_saveexec_b32 s23, s33
	s_cbranch_execz .LBB1663_1131
.LBB1663_1203:                          ;   in Loop: Header=BB1663_1040 Depth=2
	ds_read_u8 v39, v0 offset:2048
	s_waitcnt lgkmcnt(0)
	v_and_b32_e32 v40, 1, v39
	v_lshrrev_b32_e32 v40, s41, v40
	v_and_b32_e32 v40, s62, v40
	v_lshlrev_b32_e32 v40, 2, v40
	ds_read_b32 v40, v40
	s_waitcnt lgkmcnt(0)
	v_add_nc_u32_e32 v40, v40, v51
	global_store_byte v40, v39, s[48:49]
	s_or_b32 exec_lo, exec_lo, s23
	v_cmp_lt_u32_e64 s31, v52, v3
	s_and_saveexec_b32 s23, s31
	s_cbranch_execz .LBB1663_1132
.LBB1663_1204:                          ;   in Loop: Header=BB1663_1040 Depth=2
	ds_read_u8 v39, v0 offset:2304
	s_waitcnt lgkmcnt(0)
	v_and_b32_e32 v40, 1, v39
	v_lshrrev_b32_e32 v40, s41, v40
	v_and_b32_e32 v40, s62, v40
	v_lshlrev_b32_e32 v40, 2, v40
	ds_read_b32 v40, v40
	s_waitcnt lgkmcnt(0)
	v_add_nc_u32_e32 v40, v40, v52
	global_store_byte v40, v39, s[48:49]
	s_or_b32 exec_lo, exec_lo, s23
	v_cmp_lt_u32_e64 s30, v53, v3
	s_and_saveexec_b32 s23, s30
	s_cbranch_execz .LBB1663_1133
.LBB1663_1205:                          ;   in Loop: Header=BB1663_1040 Depth=2
	ds_read_u8 v39, v0 offset:2560
	s_waitcnt lgkmcnt(0)
	v_and_b32_e32 v40, 1, v39
	v_lshrrev_b32_e32 v40, s41, v40
	v_and_b32_e32 v40, s62, v40
	v_lshlrev_b32_e32 v40, 2, v40
	ds_read_b32 v40, v40
	s_waitcnt lgkmcnt(0)
	v_add_nc_u32_e32 v40, v40, v53
	global_store_byte v40, v39, s[48:49]
	s_or_b32 exec_lo, exec_lo, s23
	v_cmp_lt_u32_e64 s29, v54, v3
	s_and_saveexec_b32 s23, s29
	s_cbranch_execz .LBB1663_1134
.LBB1663_1206:                          ;   in Loop: Header=BB1663_1040 Depth=2
	ds_read_u8 v39, v0 offset:2816
	s_waitcnt lgkmcnt(0)
	v_and_b32_e32 v40, 1, v39
	v_lshrrev_b32_e32 v40, s41, v40
	v_and_b32_e32 v40, s62, v40
	v_lshlrev_b32_e32 v40, 2, v40
	ds_read_b32 v40, v40
	s_waitcnt lgkmcnt(0)
	v_add_nc_u32_e32 v40, v40, v54
	global_store_byte v40, v39, s[48:49]
	s_or_b32 exec_lo, exec_lo, s23
	v_cmp_lt_u32_e64 s28, v55, v3
	s_and_saveexec_b32 s23, s28
	s_cbranch_execz .LBB1663_1135
.LBB1663_1207:                          ;   in Loop: Header=BB1663_1040 Depth=2
	ds_read_u8 v39, v0 offset:3072
	s_waitcnt lgkmcnt(0)
	v_and_b32_e32 v40, 1, v39
	v_lshrrev_b32_e32 v40, s41, v40
	v_and_b32_e32 v40, s62, v40
	v_lshlrev_b32_e32 v40, 2, v40
	ds_read_b32 v40, v40
	s_waitcnt lgkmcnt(0)
	v_add_nc_u32_e32 v40, v40, v55
	global_store_byte v40, v39, s[48:49]
	s_or_b32 exec_lo, exec_lo, s23
	v_cmp_lt_u32_e64 s27, v56, v3
	s_and_saveexec_b32 s23, s27
	s_cbranch_execz .LBB1663_1136
.LBB1663_1208:                          ;   in Loop: Header=BB1663_1040 Depth=2
	ds_read_u8 v39, v0 offset:3328
	s_waitcnt lgkmcnt(0)
	v_and_b32_e32 v40, 1, v39
	v_lshrrev_b32_e32 v40, s41, v40
	v_and_b32_e32 v40, s62, v40
	v_lshlrev_b32_e32 v40, 2, v40
	ds_read_b32 v40, v40
	s_waitcnt lgkmcnt(0)
	v_add_nc_u32_e32 v40, v40, v56
	global_store_byte v40, v39, s[48:49]
	s_or_b32 exec_lo, exec_lo, s23
	v_cmp_lt_u32_e64 s26, v57, v3
	s_and_saveexec_b32 s23, s26
	s_cbranch_execz .LBB1663_1137
.LBB1663_1209:                          ;   in Loop: Header=BB1663_1040 Depth=2
	ds_read_u8 v39, v0 offset:3584
	s_waitcnt lgkmcnt(0)
	v_and_b32_e32 v40, 1, v39
	v_lshrrev_b32_e32 v40, s41, v40
	v_and_b32_e32 v40, s62, v40
	v_lshlrev_b32_e32 v40, 2, v40
	ds_read_b32 v40, v40
	s_waitcnt lgkmcnt(0)
	v_add_nc_u32_e32 v40, v40, v57
	global_store_byte v40, v39, s[48:49]
	s_or_b32 exec_lo, exec_lo, s23
	v_cmp_lt_u32_e64 s25, v58, v3
	s_and_saveexec_b32 s23, s25
	s_cbranch_execz .LBB1663_1138
.LBB1663_1210:                          ;   in Loop: Header=BB1663_1040 Depth=2
	ds_read_u8 v39, v0 offset:3840
	s_waitcnt lgkmcnt(0)
	v_and_b32_e32 v40, 1, v39
	v_lshrrev_b32_e32 v40, s41, v40
	v_and_b32_e32 v40, s62, v40
	v_lshlrev_b32_e32 v40, 2, v40
	ds_read_b32 v40, v40
	s_waitcnt lgkmcnt(0)
	v_add_nc_u32_e32 v40, v40, v58
	global_store_byte v40, v39, s[48:49]
	s_or_b32 exec_lo, exec_lo, s23
	v_cmp_lt_u32_e64 s24, v59, v3
	s_and_saveexec_b32 s23, s24
	s_cbranch_execz .LBB1663_1139
.LBB1663_1211:                          ;   in Loop: Header=BB1663_1040 Depth=2
	ds_read_u8 v39, v0 offset:4096
	s_waitcnt lgkmcnt(0)
	v_and_b32_e32 v40, 1, v39
	v_lshrrev_b32_e32 v40, s41, v40
	v_and_b32_e32 v40, s62, v40
	v_lshlrev_b32_e32 v40, 2, v40
	ds_read_b32 v40, v40
	s_waitcnt lgkmcnt(0)
	v_add_nc_u32_e32 v40, v40, v59
	global_store_byte v40, v39, s[48:49]
	s_or_b32 exec_lo, exec_lo, s23
	v_cmp_lt_u32_e64 s23, v60, v3
	s_and_saveexec_b32 s40, s23
	s_cbranch_execz .LBB1663_1140
.LBB1663_1212:                          ;   in Loop: Header=BB1663_1040 Depth=2
	ds_read_u8 v39, v0 offset:4352
	s_waitcnt lgkmcnt(0)
	v_and_b32_e32 v40, 1, v39
	v_lshrrev_b32_e32 v40, s41, v40
	v_and_b32_e32 v40, s62, v40
	v_lshlrev_b32_e32 v40, 2, v40
	ds_read_b32 v40, v40
	s_waitcnt lgkmcnt(0)
	v_add_nc_u32_e32 v40, v40, v60
	global_store_byte v40, v39, s[48:49]
	s_or_b32 exec_lo, exec_lo, s40
	v_cmp_lt_u32_e32 vcc_lo, v61, v3
	s_and_saveexec_b32 s40, vcc_lo
	s_cbranch_execnz .LBB1663_1141
	s_branch .LBB1663_1142
.LBB1663_1213:                          ;   in Loop: Header=BB1663_1040 Depth=2
	global_load_dwordx2 v[37:38], v[39:40], off
	s_or_b32 exec_lo, exec_lo, s40
	s_mov_b32 s50, exec_lo
	v_cmpx_lt_u32_e64 v96, v3
	s_cbranch_execz .LBB1663_1144
.LBB1663_1214:                          ;   in Loop: Header=BB1663_1040 Depth=2
	global_load_dwordx2 v[35:36], v[39:40], off offset:256
	s_or_b32 exec_lo, exec_lo, s50
	s_mov_b32 s50, exec_lo
	v_cmpx_lt_u32_e64 v97, v3
	s_cbranch_execz .LBB1663_1145
.LBB1663_1215:                          ;   in Loop: Header=BB1663_1040 Depth=2
	global_load_dwordx2 v[33:34], v[39:40], off offset:512
	s_or_b32 exec_lo, exec_lo, s50
	s_mov_b32 s50, exec_lo
	v_cmpx_lt_u32_e64 v98, v3
	s_cbranch_execz .LBB1663_1146
.LBB1663_1216:                          ;   in Loop: Header=BB1663_1040 Depth=2
	global_load_dwordx2 v[31:32], v[39:40], off offset:768
	s_or_b32 exec_lo, exec_lo, s50
	s_mov_b32 s50, exec_lo
	v_cmpx_lt_u32_e64 v99, v3
	s_cbranch_execz .LBB1663_1147
.LBB1663_1217:                          ;   in Loop: Header=BB1663_1040 Depth=2
	global_load_dwordx2 v[29:30], v[39:40], off offset:1024
	s_or_b32 exec_lo, exec_lo, s50
	s_mov_b32 s50, exec_lo
	v_cmpx_lt_u32_e64 v100, v3
	s_cbranch_execz .LBB1663_1148
.LBB1663_1218:                          ;   in Loop: Header=BB1663_1040 Depth=2
	global_load_dwordx2 v[25:26], v[39:40], off offset:1280
	s_or_b32 exec_lo, exec_lo, s50
	s_mov_b32 s50, exec_lo
	v_cmpx_lt_u32_e64 v101, v3
	s_cbranch_execz .LBB1663_1149
.LBB1663_1219:                          ;   in Loop: Header=BB1663_1040 Depth=2
	global_load_dwordx2 v[21:22], v[39:40], off offset:1536
	s_or_b32 exec_lo, exec_lo, s50
	s_mov_b32 s50, exec_lo
	v_cmpx_lt_u32_e64 v102, v3
	s_cbranch_execz .LBB1663_1150
.LBB1663_1220:                          ;   in Loop: Header=BB1663_1040 Depth=2
	global_load_dwordx2 v[17:18], v[39:40], off offset:1792
	s_or_b32 exec_lo, exec_lo, s50
	s_mov_b32 s50, exec_lo
	v_cmpx_lt_u32_e64 v103, v3
	s_cbranch_execz .LBB1663_1151
.LBB1663_1221:                          ;   in Loop: Header=BB1663_1040 Depth=2
	v_add_co_u32 v27, s40, 0x800, v39
	v_add_co_ci_u32_e64 v28, null, 0, v40, s40
	global_load_dwordx2 v[27:28], v[27:28], off
	s_or_b32 exec_lo, exec_lo, s50
	s_mov_b32 s50, exec_lo
	v_cmpx_lt_u32_e64 v104, v3
	s_cbranch_execz .LBB1663_1152
.LBB1663_1222:                          ;   in Loop: Header=BB1663_1040 Depth=2
	v_add_co_u32 v23, s40, 0x800, v39
	v_add_co_ci_u32_e64 v24, null, 0, v40, s40
	global_load_dwordx2 v[23:24], v[23:24], off offset:256
	s_or_b32 exec_lo, exec_lo, s50
	s_mov_b32 s50, exec_lo
	v_cmpx_lt_u32_e64 v105, v3
	s_cbranch_execz .LBB1663_1153
.LBB1663_1223:                          ;   in Loop: Header=BB1663_1040 Depth=2
	v_add_co_u32 v19, s40, 0x800, v39
	v_add_co_ci_u32_e64 v20, null, 0, v40, s40
	global_load_dwordx2 v[19:20], v[19:20], off offset:512
	s_or_b32 exec_lo, exec_lo, s50
	s_mov_b32 s50, exec_lo
	v_cmpx_lt_u32_e64 v106, v3
	s_cbranch_execz .LBB1663_1154
.LBB1663_1224:                          ;   in Loop: Header=BB1663_1040 Depth=2
	v_add_co_u32 v15, s40, 0x800, v39
	v_add_co_ci_u32_e64 v16, null, 0, v40, s40
	global_load_dwordx2 v[15:16], v[15:16], off offset:768
	s_or_b32 exec_lo, exec_lo, s50
	s_mov_b32 s50, exec_lo
	v_cmpx_lt_u32_e64 v107, v3
	s_cbranch_execz .LBB1663_1155
.LBB1663_1225:                          ;   in Loop: Header=BB1663_1040 Depth=2
	v_add_co_u32 v13, s40, 0x800, v39
	v_add_co_ci_u32_e64 v14, null, 0, v40, s40
	global_load_dwordx2 v[13:14], v[13:14], off offset:1024
	s_or_b32 exec_lo, exec_lo, s50
	s_mov_b32 s50, exec_lo
	v_cmpx_lt_u32_e64 v108, v3
	s_cbranch_execz .LBB1663_1156
.LBB1663_1226:                          ;   in Loop: Header=BB1663_1040 Depth=2
	v_add_co_u32 v11, s40, 0x800, v39
	v_add_co_ci_u32_e64 v12, null, 0, v40, s40
	global_load_dwordx2 v[11:12], v[11:12], off offset:1280
	s_or_b32 exec_lo, exec_lo, s50
	s_mov_b32 s50, exec_lo
	v_cmpx_lt_u32_e64 v109, v3
	s_cbranch_execz .LBB1663_1157
.LBB1663_1227:                          ;   in Loop: Header=BB1663_1040 Depth=2
	v_add_co_u32 v9, s40, 0x800, v39
	v_add_co_ci_u32_e64 v10, null, 0, v40, s40
	global_load_dwordx2 v[9:10], v[9:10], off offset:1536
	s_or_b32 exec_lo, exec_lo, s50
	s_mov_b32 s50, exec_lo
	v_cmpx_lt_u32_e64 v110, v3
	s_cbranch_execz .LBB1663_1158
.LBB1663_1228:                          ;   in Loop: Header=BB1663_1040 Depth=2
	v_add_co_u32 v7, s40, 0x800, v39
	v_add_co_ci_u32_e64 v8, null, 0, v40, s40
	global_load_dwordx2 v[7:8], v[7:8], off offset:1792
	s_or_b32 exec_lo, exec_lo, s50
	s_mov_b32 s50, exec_lo
	v_cmpx_lt_u32_e64 v111, v3
	s_cbranch_execz .LBB1663_1159
.LBB1663_1229:                          ;   in Loop: Header=BB1663_1040 Depth=2
	v_add_co_u32 v5, s40, 0x1000, v39
	v_add_co_ci_u32_e64 v6, null, 0, v40, s40
	global_load_dwordx2 v[5:6], v[5:6], off
	s_or_b32 exec_lo, exec_lo, s50
	s_and_saveexec_b32 s40, s38
	s_cbranch_execz .LBB1663_1160
.LBB1663_1230:                          ;   in Loop: Header=BB1663_1040 Depth=2
	ds_read_u8 v3, v0 offset:512
	s_waitcnt lgkmcnt(0)
	v_lshrrev_b32_e32 v3, s41, v3
	v_and_b32_e32 v131, s62, v3
	s_or_b32 exec_lo, exec_lo, s40
	s_and_saveexec_b32 s40, s39
	s_cbranch_execz .LBB1663_1161
.LBB1663_1231:                          ;   in Loop: Header=BB1663_1040 Depth=2
	ds_read_u8 v3, v0 offset:768
	s_waitcnt lgkmcnt(0)
	v_lshrrev_b32_e32 v3, s41, v3
	v_and_b32_e32 v130, s62, v3
	s_or_b32 exec_lo, exec_lo, s40
	s_and_saveexec_b32 s40, s37
	s_cbranch_execz .LBB1663_1162
.LBB1663_1232:                          ;   in Loop: Header=BB1663_1040 Depth=2
	ds_read_u8 v3, v0 offset:1024
	s_waitcnt lgkmcnt(0)
	v_lshrrev_b32_e32 v3, s41, v3
	v_and_b32_e32 v129, s62, v3
	s_or_b32 exec_lo, exec_lo, s40
	s_and_saveexec_b32 s40, s36
	s_cbranch_execz .LBB1663_1163
.LBB1663_1233:                          ;   in Loop: Header=BB1663_1040 Depth=2
	ds_read_u8 v3, v0 offset:1280
	s_waitcnt lgkmcnt(0)
	v_lshrrev_b32_e32 v3, s41, v3
	v_and_b32_e32 v128, s62, v3
	s_or_b32 exec_lo, exec_lo, s40
	s_and_saveexec_b32 s40, s35
	s_cbranch_execz .LBB1663_1164
.LBB1663_1234:                          ;   in Loop: Header=BB1663_1040 Depth=2
	ds_read_u8 v3, v0 offset:1536
	s_waitcnt lgkmcnt(0)
	v_lshrrev_b32_e32 v3, s41, v3
	v_and_b32_e32 v127, s62, v3
	s_or_b32 exec_lo, exec_lo, s40
	s_and_saveexec_b32 s40, s34
	s_cbranch_execz .LBB1663_1165
.LBB1663_1235:                          ;   in Loop: Header=BB1663_1040 Depth=2
	ds_read_u8 v3, v0 offset:1792
	s_waitcnt lgkmcnt(0)
	v_lshrrev_b32_e32 v3, s41, v3
	v_and_b32_e32 v126, s62, v3
	s_or_b32 exec_lo, exec_lo, s40
	s_and_saveexec_b32 s40, s33
	s_cbranch_execz .LBB1663_1166
.LBB1663_1236:                          ;   in Loop: Header=BB1663_1040 Depth=2
	ds_read_u8 v3, v0 offset:2048
	s_waitcnt lgkmcnt(0)
	v_lshrrev_b32_e32 v3, s41, v3
	v_and_b32_e32 v125, s62, v3
	s_or_b32 exec_lo, exec_lo, s40
	s_and_saveexec_b32 s40, s31
	s_cbranch_execz .LBB1663_1167
.LBB1663_1237:                          ;   in Loop: Header=BB1663_1040 Depth=2
	ds_read_u8 v3, v0 offset:2304
	s_waitcnt lgkmcnt(0)
	v_lshrrev_b32_e32 v3, s41, v3
	v_and_b32_e32 v124, s62, v3
	s_or_b32 exec_lo, exec_lo, s40
	s_and_saveexec_b32 s40, s30
	s_cbranch_execz .LBB1663_1168
.LBB1663_1238:                          ;   in Loop: Header=BB1663_1040 Depth=2
	ds_read_u8 v3, v0 offset:2560
	s_waitcnt lgkmcnt(0)
	v_lshrrev_b32_e32 v3, s41, v3
	v_and_b32_e32 v123, s62, v3
	s_or_b32 exec_lo, exec_lo, s40
	s_and_saveexec_b32 s40, s29
	s_cbranch_execz .LBB1663_1169
.LBB1663_1239:                          ;   in Loop: Header=BB1663_1040 Depth=2
	ds_read_u8 v3, v0 offset:2816
	s_waitcnt lgkmcnt(0)
	v_lshrrev_b32_e32 v3, s41, v3
	v_and_b32_e32 v122, s62, v3
	s_or_b32 exec_lo, exec_lo, s40
	s_and_saveexec_b32 s40, s28
	s_cbranch_execz .LBB1663_1170
.LBB1663_1240:                          ;   in Loop: Header=BB1663_1040 Depth=2
	ds_read_u8 v3, v0 offset:3072
	s_waitcnt lgkmcnt(0)
	v_lshrrev_b32_e32 v3, s41, v3
	v_and_b32_e32 v121, s62, v3
	s_or_b32 exec_lo, exec_lo, s40
	s_and_saveexec_b32 s40, s27
	s_cbranch_execz .LBB1663_1171
.LBB1663_1241:                          ;   in Loop: Header=BB1663_1040 Depth=2
	ds_read_u8 v3, v0 offset:3328
	s_waitcnt lgkmcnt(0)
	v_lshrrev_b32_e32 v3, s41, v3
	v_and_b32_e32 v120, s62, v3
	s_or_b32 exec_lo, exec_lo, s40
	s_and_saveexec_b32 s40, s26
	s_cbranch_execz .LBB1663_1172
.LBB1663_1242:                          ;   in Loop: Header=BB1663_1040 Depth=2
	ds_read_u8 v3, v0 offset:3584
	s_waitcnt lgkmcnt(0)
	v_lshrrev_b32_e32 v3, s41, v3
	v_and_b32_e32 v119, s62, v3
	s_or_b32 exec_lo, exec_lo, s40
	s_and_saveexec_b32 s40, s25
	s_cbranch_execz .LBB1663_1173
.LBB1663_1243:                          ;   in Loop: Header=BB1663_1040 Depth=2
	ds_read_u8 v3, v0 offset:3840
	s_waitcnt lgkmcnt(0)
	v_lshrrev_b32_e32 v3, s41, v3
	v_and_b32_e32 v118, s62, v3
	s_or_b32 exec_lo, exec_lo, s40
	s_and_saveexec_b32 s40, s24
	s_cbranch_execz .LBB1663_1174
.LBB1663_1244:                          ;   in Loop: Header=BB1663_1040 Depth=2
	ds_read_u8 v3, v0 offset:4096
	s_waitcnt lgkmcnt(0)
	v_lshrrev_b32_e32 v3, s41, v3
	v_and_b32_e32 v117, s62, v3
	s_or_b32 exec_lo, exec_lo, s40
	s_and_saveexec_b32 s40, s23
	s_cbranch_execz .LBB1663_1175
.LBB1663_1245:                          ;   in Loop: Header=BB1663_1040 Depth=2
	ds_read_u8 v3, v0 offset:4352
	s_waitcnt lgkmcnt(0)
	v_lshrrev_b32_e32 v3, s41, v3
	v_and_b32_e32 v116, s62, v3
	s_or_b32 exec_lo, exec_lo, s40
	s_and_saveexec_b32 s40, vcc_lo
	s_cbranch_execnz .LBB1663_1176
	s_branch .LBB1663_1177
.LBB1663_1246:                          ;   in Loop: Header=BB1663_1040 Depth=2
	v_lshlrev_b32_e32 v3, 2, v131
	ds_read_b32 v3, v3
	ds_read_b64 v[40:41], v39 offset:512
	s_waitcnt lgkmcnt(1)
	v_add_nc_u32_e32 v3, v3, v0
	v_lshlrev_b64 v[134:135], 3, v[3:4]
	v_add_co_u32 v134, s38, s54, v134
	v_add_co_ci_u32_e64 v135, null, s55, v135, s38
	s_waitcnt lgkmcnt(0)
	global_store_dwordx2 v[134:135], v[40:41], off
	s_or_b32 exec_lo, exec_lo, s40
	s_and_saveexec_b32 s40, s39
	s_cbranch_execz .LBB1663_1179
.LBB1663_1247:                          ;   in Loop: Header=BB1663_1040 Depth=2
	v_lshlrev_b32_e32 v3, 2, v130
	ds_read_b32 v3, v3
	ds_read_b64 v[40:41], v39 offset:2560
	s_waitcnt lgkmcnt(1)
	v_add_nc_u32_e32 v3, v3, v44
	v_lshlrev_b64 v[134:135], 3, v[3:4]
	v_add_co_u32 v134, s38, s54, v134
	v_add_co_ci_u32_e64 v135, null, s55, v135, s38
	s_waitcnt lgkmcnt(0)
	global_store_dwordx2 v[134:135], v[40:41], off
	s_or_b32 exec_lo, exec_lo, s40
	s_and_saveexec_b32 s38, s37
	s_cbranch_execz .LBB1663_1180
.LBB1663_1248:                          ;   in Loop: Header=BB1663_1040 Depth=2
	v_lshlrev_b32_e32 v3, 2, v129
	ds_read_b32 v3, v3
	ds_read_b64 v[40:41], v39 offset:4608
	s_waitcnt lgkmcnt(1)
	v_add_nc_u32_e32 v3, v3, v47
	v_lshlrev_b64 v[134:135], 3, v[3:4]
	v_add_co_u32 v134, s37, s54, v134
	v_add_co_ci_u32_e64 v135, null, s55, v135, s37
	s_waitcnt lgkmcnt(0)
	global_store_dwordx2 v[134:135], v[40:41], off
	s_or_b32 exec_lo, exec_lo, s38
	s_and_saveexec_b32 s37, s36
	s_cbranch_execz .LBB1663_1181
.LBB1663_1249:                          ;   in Loop: Header=BB1663_1040 Depth=2
	v_lshlrev_b32_e32 v3, 2, v128
	ds_read_b32 v3, v3
	ds_read_b64 v[40:41], v39 offset:6656
	s_waitcnt lgkmcnt(1)
	v_add_nc_u32_e32 v3, v3, v48
	v_lshlrev_b64 v[134:135], 3, v[3:4]
	v_add_co_u32 v134, s36, s54, v134
	v_add_co_ci_u32_e64 v135, null, s55, v135, s36
	s_waitcnt lgkmcnt(0)
	global_store_dwordx2 v[134:135], v[40:41], off
	s_or_b32 exec_lo, exec_lo, s37
	s_and_saveexec_b32 s36, s35
	s_cbranch_execz .LBB1663_1182
.LBB1663_1250:                          ;   in Loop: Header=BB1663_1040 Depth=2
	v_lshlrev_b32_e32 v3, 2, v127
	ds_read_b32 v3, v3
	ds_read_b64 v[40:41], v39 offset:8704
	s_waitcnt lgkmcnt(1)
	v_add_nc_u32_e32 v3, v3, v49
	v_lshlrev_b64 v[134:135], 3, v[3:4]
	v_add_co_u32 v134, s35, s54, v134
	v_add_co_ci_u32_e64 v135, null, s55, v135, s35
	s_waitcnt lgkmcnt(0)
	global_store_dwordx2 v[134:135], v[40:41], off
	s_or_b32 exec_lo, exec_lo, s36
	s_and_saveexec_b32 s35, s34
	s_cbranch_execz .LBB1663_1183
.LBB1663_1251:                          ;   in Loop: Header=BB1663_1040 Depth=2
	v_lshlrev_b32_e32 v3, 2, v126
	ds_read_b32 v3, v3
	ds_read_b64 v[40:41], v39 offset:10752
	s_waitcnt lgkmcnt(1)
	v_add_nc_u32_e32 v3, v3, v50
	v_lshlrev_b64 v[134:135], 3, v[3:4]
	v_add_co_u32 v134, s34, s54, v134
	v_add_co_ci_u32_e64 v135, null, s55, v135, s34
	s_waitcnt lgkmcnt(0)
	global_store_dwordx2 v[134:135], v[40:41], off
	s_or_b32 exec_lo, exec_lo, s35
	s_and_saveexec_b32 s34, s33
	s_cbranch_execz .LBB1663_1184
.LBB1663_1252:                          ;   in Loop: Header=BB1663_1040 Depth=2
	v_lshlrev_b32_e32 v3, 2, v125
	ds_read_b32 v3, v3
	ds_read_b64 v[40:41], v39 offset:12800
	s_waitcnt lgkmcnt(1)
	v_add_nc_u32_e32 v3, v3, v51
	v_lshlrev_b64 v[134:135], 3, v[3:4]
	v_add_co_u32 v134, s33, s54, v134
	v_add_co_ci_u32_e64 v135, null, s55, v135, s33
	s_waitcnt lgkmcnt(0)
	global_store_dwordx2 v[134:135], v[40:41], off
	s_or_b32 exec_lo, exec_lo, s34
	s_and_saveexec_b32 s33, s31
	s_cbranch_execz .LBB1663_1185
.LBB1663_1253:                          ;   in Loop: Header=BB1663_1040 Depth=2
	v_lshlrev_b32_e32 v3, 2, v124
	ds_read_b32 v3, v3
	ds_read_b64 v[40:41], v39 offset:14848
	s_waitcnt lgkmcnt(1)
	v_add_nc_u32_e32 v3, v3, v52
	v_lshlrev_b64 v[134:135], 3, v[3:4]
	v_add_co_u32 v134, s31, s54, v134
	v_add_co_ci_u32_e64 v135, null, s55, v135, s31
	s_waitcnt lgkmcnt(0)
	global_store_dwordx2 v[134:135], v[40:41], off
	s_or_b32 exec_lo, exec_lo, s33
	s_and_saveexec_b32 s31, s30
	s_cbranch_execz .LBB1663_1186
.LBB1663_1254:                          ;   in Loop: Header=BB1663_1040 Depth=2
	v_lshlrev_b32_e32 v3, 2, v123
	ds_read_b32 v3, v3
	ds_read_b64 v[40:41], v39 offset:16896
	s_waitcnt lgkmcnt(1)
	v_add_nc_u32_e32 v3, v3, v53
	v_lshlrev_b64 v[134:135], 3, v[3:4]
	v_add_co_u32 v134, s30, s54, v134
	v_add_co_ci_u32_e64 v135, null, s55, v135, s30
	s_waitcnt lgkmcnt(0)
	global_store_dwordx2 v[134:135], v[40:41], off
	s_or_b32 exec_lo, exec_lo, s31
	s_and_saveexec_b32 s30, s29
	s_cbranch_execz .LBB1663_1187
.LBB1663_1255:                          ;   in Loop: Header=BB1663_1040 Depth=2
	v_lshlrev_b32_e32 v3, 2, v122
	ds_read_b32 v3, v3
	ds_read_b64 v[40:41], v39 offset:18944
	s_waitcnt lgkmcnt(1)
	v_add_nc_u32_e32 v3, v3, v54
	v_lshlrev_b64 v[134:135], 3, v[3:4]
	v_add_co_u32 v134, s29, s54, v134
	v_add_co_ci_u32_e64 v135, null, s55, v135, s29
	s_waitcnt lgkmcnt(0)
	global_store_dwordx2 v[134:135], v[40:41], off
	s_or_b32 exec_lo, exec_lo, s30
	s_and_saveexec_b32 s29, s28
	s_cbranch_execz .LBB1663_1188
.LBB1663_1256:                          ;   in Loop: Header=BB1663_1040 Depth=2
	v_lshlrev_b32_e32 v3, 2, v121
	ds_read_b32 v3, v3
	ds_read_b64 v[40:41], v39 offset:20992
	s_waitcnt lgkmcnt(1)
	v_add_nc_u32_e32 v3, v3, v55
	v_lshlrev_b64 v[134:135], 3, v[3:4]
	v_add_co_u32 v134, s28, s54, v134
	v_add_co_ci_u32_e64 v135, null, s55, v135, s28
	s_waitcnt lgkmcnt(0)
	global_store_dwordx2 v[134:135], v[40:41], off
	s_or_b32 exec_lo, exec_lo, s29
	s_and_saveexec_b32 s28, s27
	s_cbranch_execz .LBB1663_1189
.LBB1663_1257:                          ;   in Loop: Header=BB1663_1040 Depth=2
	v_lshlrev_b32_e32 v3, 2, v120
	ds_read_b32 v3, v3
	ds_read_b64 v[40:41], v39 offset:23040
	s_waitcnt lgkmcnt(1)
	v_add_nc_u32_e32 v3, v3, v56
	v_lshlrev_b64 v[134:135], 3, v[3:4]
	v_add_co_u32 v134, s27, s54, v134
	v_add_co_ci_u32_e64 v135, null, s55, v135, s27
	s_waitcnt lgkmcnt(0)
	global_store_dwordx2 v[134:135], v[40:41], off
	s_or_b32 exec_lo, exec_lo, s28
	s_and_saveexec_b32 s27, s26
	s_cbranch_execz .LBB1663_1190
.LBB1663_1258:                          ;   in Loop: Header=BB1663_1040 Depth=2
	v_lshlrev_b32_e32 v3, 2, v119
	ds_read_b32 v3, v3
	ds_read_b64 v[40:41], v39 offset:25088
	s_waitcnt lgkmcnt(1)
	v_add_nc_u32_e32 v3, v3, v57
	v_lshlrev_b64 v[134:135], 3, v[3:4]
	v_add_co_u32 v134, s26, s54, v134
	v_add_co_ci_u32_e64 v135, null, s55, v135, s26
	s_waitcnt lgkmcnt(0)
	global_store_dwordx2 v[134:135], v[40:41], off
	s_or_b32 exec_lo, exec_lo, s27
	s_and_saveexec_b32 s26, s25
	s_cbranch_execz .LBB1663_1191
.LBB1663_1259:                          ;   in Loop: Header=BB1663_1040 Depth=2
	v_lshlrev_b32_e32 v3, 2, v118
	ds_read_b32 v3, v3
	ds_read_b64 v[40:41], v39 offset:27136
	s_waitcnt lgkmcnt(1)
	v_add_nc_u32_e32 v3, v3, v58
	v_lshlrev_b64 v[134:135], 3, v[3:4]
	v_add_co_u32 v134, s25, s54, v134
	v_add_co_ci_u32_e64 v135, null, s55, v135, s25
	s_waitcnt lgkmcnt(0)
	global_store_dwordx2 v[134:135], v[40:41], off
	s_or_b32 exec_lo, exec_lo, s26
	s_and_saveexec_b32 s25, s24
	s_cbranch_execz .LBB1663_1192
.LBB1663_1260:                          ;   in Loop: Header=BB1663_1040 Depth=2
	v_lshlrev_b32_e32 v3, 2, v117
	ds_read_b32 v3, v3
	ds_read_b64 v[40:41], v39 offset:29184
	s_waitcnt lgkmcnt(1)
	v_add_nc_u32_e32 v3, v3, v59
	v_lshlrev_b64 v[134:135], 3, v[3:4]
	v_add_co_u32 v134, s24, s54, v134
	v_add_co_ci_u32_e64 v135, null, s55, v135, s24
	s_waitcnt lgkmcnt(0)
	global_store_dwordx2 v[134:135], v[40:41], off
	s_or_b32 exec_lo, exec_lo, s25
	s_and_saveexec_b32 s24, s23
	s_cbranch_execz .LBB1663_1193
.LBB1663_1261:                          ;   in Loop: Header=BB1663_1040 Depth=2
	v_lshlrev_b32_e32 v3, 2, v116
	ds_read_b32 v3, v3
	ds_read_b64 v[40:41], v39 offset:31232
	s_waitcnt lgkmcnt(1)
	v_add_nc_u32_e32 v3, v3, v60
	v_lshlrev_b64 v[134:135], 3, v[3:4]
	v_add_co_u32 v134, s23, s54, v134
	v_add_co_ci_u32_e64 v135, null, s55, v135, s23
	s_waitcnt lgkmcnt(0)
	global_store_dwordx2 v[134:135], v[40:41], off
	s_or_b32 exec_lo, exec_lo, s24
	s_and_saveexec_b32 s23, vcc_lo
	s_cbranch_execnz .LBB1663_1194
	s_branch .LBB1663_1195
.LBB1663_1262:
	s_endpgm
	.section	.rodata,"a",@progbits
	.p2align	6, 0x0
	.amdhsa_kernel _ZN7rocprim17ROCPRIM_400000_NS6detail17trampoline_kernelINS0_14default_configENS1_36segmented_radix_sort_config_selectorIblEEZNS1_25segmented_radix_sort_implIS3_Lb0EPKbPbPKlPlN2at6native12_GLOBAL__N_18offset_tEEE10hipError_tPvRmT1_PNSt15iterator_traitsISK_E10value_typeET2_T3_PNSL_ISQ_E10value_typeET4_jRbjT5_SW_jjP12ihipStream_tbEUlT_E2_NS1_11comp_targetILNS1_3genE8ELNS1_11target_archE1030ELNS1_3gpuE2ELNS1_3repE0EEENS1_30default_config_static_selectorELNS0_4arch9wavefront6targetE0EEEvSK_
		.amdhsa_group_segment_fixed_size 35344
		.amdhsa_private_segment_fixed_size 196
		.amdhsa_kernarg_size 336
		.amdhsa_user_sgpr_count 6
		.amdhsa_user_sgpr_private_segment_buffer 1
		.amdhsa_user_sgpr_dispatch_ptr 0
		.amdhsa_user_sgpr_queue_ptr 0
		.amdhsa_user_sgpr_kernarg_segment_ptr 1
		.amdhsa_user_sgpr_dispatch_id 0
		.amdhsa_user_sgpr_flat_scratch_init 0
		.amdhsa_user_sgpr_private_segment_size 0
		.amdhsa_wavefront_size32 1
		.amdhsa_uses_dynamic_stack 0
		.amdhsa_system_sgpr_private_segment_wavefront_offset 1
		.amdhsa_system_sgpr_workgroup_id_x 1
		.amdhsa_system_sgpr_workgroup_id_y 1
		.amdhsa_system_sgpr_workgroup_id_z 0
		.amdhsa_system_sgpr_workgroup_info 0
		.amdhsa_system_vgpr_workitem_id 2
		.amdhsa_next_free_vgpr 248
		.amdhsa_next_free_sgpr 68
		.amdhsa_reserve_vcc 1
		.amdhsa_reserve_flat_scratch 0
		.amdhsa_float_round_mode_32 0
		.amdhsa_float_round_mode_16_64 0
		.amdhsa_float_denorm_mode_32 3
		.amdhsa_float_denorm_mode_16_64 3
		.amdhsa_dx10_clamp 1
		.amdhsa_ieee_mode 1
		.amdhsa_fp16_overflow 0
		.amdhsa_workgroup_processor_mode 1
		.amdhsa_memory_ordered 1
		.amdhsa_forward_progress 1
		.amdhsa_shared_vgpr_count 0
		.amdhsa_exception_fp_ieee_invalid_op 0
		.amdhsa_exception_fp_denorm_src 0
		.amdhsa_exception_fp_ieee_div_zero 0
		.amdhsa_exception_fp_ieee_overflow 0
		.amdhsa_exception_fp_ieee_underflow 0
		.amdhsa_exception_fp_ieee_inexact 0
		.amdhsa_exception_int_div_zero 0
	.end_amdhsa_kernel
	.section	.text._ZN7rocprim17ROCPRIM_400000_NS6detail17trampoline_kernelINS0_14default_configENS1_36segmented_radix_sort_config_selectorIblEEZNS1_25segmented_radix_sort_implIS3_Lb0EPKbPbPKlPlN2at6native12_GLOBAL__N_18offset_tEEE10hipError_tPvRmT1_PNSt15iterator_traitsISK_E10value_typeET2_T3_PNSL_ISQ_E10value_typeET4_jRbjT5_SW_jjP12ihipStream_tbEUlT_E2_NS1_11comp_targetILNS1_3genE8ELNS1_11target_archE1030ELNS1_3gpuE2ELNS1_3repE0EEENS1_30default_config_static_selectorELNS0_4arch9wavefront6targetE0EEEvSK_,"axG",@progbits,_ZN7rocprim17ROCPRIM_400000_NS6detail17trampoline_kernelINS0_14default_configENS1_36segmented_radix_sort_config_selectorIblEEZNS1_25segmented_radix_sort_implIS3_Lb0EPKbPbPKlPlN2at6native12_GLOBAL__N_18offset_tEEE10hipError_tPvRmT1_PNSt15iterator_traitsISK_E10value_typeET2_T3_PNSL_ISQ_E10value_typeET4_jRbjT5_SW_jjP12ihipStream_tbEUlT_E2_NS1_11comp_targetILNS1_3genE8ELNS1_11target_archE1030ELNS1_3gpuE2ELNS1_3repE0EEENS1_30default_config_static_selectorELNS0_4arch9wavefront6targetE0EEEvSK_,comdat
.Lfunc_end1663:
	.size	_ZN7rocprim17ROCPRIM_400000_NS6detail17trampoline_kernelINS0_14default_configENS1_36segmented_radix_sort_config_selectorIblEEZNS1_25segmented_radix_sort_implIS3_Lb0EPKbPbPKlPlN2at6native12_GLOBAL__N_18offset_tEEE10hipError_tPvRmT1_PNSt15iterator_traitsISK_E10value_typeET2_T3_PNSL_ISQ_E10value_typeET4_jRbjT5_SW_jjP12ihipStream_tbEUlT_E2_NS1_11comp_targetILNS1_3genE8ELNS1_11target_archE1030ELNS1_3gpuE2ELNS1_3repE0EEENS1_30default_config_static_selectorELNS0_4arch9wavefront6targetE0EEEvSK_, .Lfunc_end1663-_ZN7rocprim17ROCPRIM_400000_NS6detail17trampoline_kernelINS0_14default_configENS1_36segmented_radix_sort_config_selectorIblEEZNS1_25segmented_radix_sort_implIS3_Lb0EPKbPbPKlPlN2at6native12_GLOBAL__N_18offset_tEEE10hipError_tPvRmT1_PNSt15iterator_traitsISK_E10value_typeET2_T3_PNSL_ISQ_E10value_typeET4_jRbjT5_SW_jjP12ihipStream_tbEUlT_E2_NS1_11comp_targetILNS1_3genE8ELNS1_11target_archE1030ELNS1_3gpuE2ELNS1_3repE0EEENS1_30default_config_static_selectorELNS0_4arch9wavefront6targetE0EEEvSK_
                                        ; -- End function
	.set _ZN7rocprim17ROCPRIM_400000_NS6detail17trampoline_kernelINS0_14default_configENS1_36segmented_radix_sort_config_selectorIblEEZNS1_25segmented_radix_sort_implIS3_Lb0EPKbPbPKlPlN2at6native12_GLOBAL__N_18offset_tEEE10hipError_tPvRmT1_PNSt15iterator_traitsISK_E10value_typeET2_T3_PNSL_ISQ_E10value_typeET4_jRbjT5_SW_jjP12ihipStream_tbEUlT_E2_NS1_11comp_targetILNS1_3genE8ELNS1_11target_archE1030ELNS1_3gpuE2ELNS1_3repE0EEENS1_30default_config_static_selectorELNS0_4arch9wavefront6targetE0EEEvSK_.num_vgpr, max(204, .L_ZN7rocprim17ROCPRIM_400000_NS6detail26segmented_warp_sort_helperINS1_20WarpSortHelperConfigILj32ELj4ELj256EEEblLi256ELb0EvE4sortIPKbPbPKlPlEEvT_T0_T1_T2_jjjjRNS5_12storage_typeE.num_vgpr, .L_ZN7rocprim17ROCPRIM_400000_NS6detail40segmented_radix_sort_single_block_helperIblLj256ELj17ELb0EE4sortIPKbPbPKlPlEEbT_T0_T1_T2_jjjjRNS3_12storage_typeE.num_vgpr)
	.set _ZN7rocprim17ROCPRIM_400000_NS6detail17trampoline_kernelINS0_14default_configENS1_36segmented_radix_sort_config_selectorIblEEZNS1_25segmented_radix_sort_implIS3_Lb0EPKbPbPKlPlN2at6native12_GLOBAL__N_18offset_tEEE10hipError_tPvRmT1_PNSt15iterator_traitsISK_E10value_typeET2_T3_PNSL_ISQ_E10value_typeET4_jRbjT5_SW_jjP12ihipStream_tbEUlT_E2_NS1_11comp_targetILNS1_3genE8ELNS1_11target_archE1030ELNS1_3gpuE2ELNS1_3repE0EEENS1_30default_config_static_selectorELNS0_4arch9wavefront6targetE0EEEvSK_.num_agpr, max(0, .L_ZN7rocprim17ROCPRIM_400000_NS6detail26segmented_warp_sort_helperINS1_20WarpSortHelperConfigILj32ELj4ELj256EEEblLi256ELb0EvE4sortIPKbPbPKlPlEEvT_T0_T1_T2_jjjjRNS5_12storage_typeE.num_agpr, .L_ZN7rocprim17ROCPRIM_400000_NS6detail40segmented_radix_sort_single_block_helperIblLj256ELj17ELb0EE4sortIPKbPbPKlPlEEbT_T0_T1_T2_jjjjRNS3_12storage_typeE.num_agpr)
	.set _ZN7rocprim17ROCPRIM_400000_NS6detail17trampoline_kernelINS0_14default_configENS1_36segmented_radix_sort_config_selectorIblEEZNS1_25segmented_radix_sort_implIS3_Lb0EPKbPbPKlPlN2at6native12_GLOBAL__N_18offset_tEEE10hipError_tPvRmT1_PNSt15iterator_traitsISK_E10value_typeET2_T3_PNSL_ISQ_E10value_typeET4_jRbjT5_SW_jjP12ihipStream_tbEUlT_E2_NS1_11comp_targetILNS1_3genE8ELNS1_11target_archE1030ELNS1_3gpuE2ELNS1_3repE0EEENS1_30default_config_static_selectorELNS0_4arch9wavefront6targetE0EEEvSK_.numbered_sgpr, max(68, .L_ZN7rocprim17ROCPRIM_400000_NS6detail26segmented_warp_sort_helperINS1_20WarpSortHelperConfigILj32ELj4ELj256EEEblLi256ELb0EvE4sortIPKbPbPKlPlEEvT_T0_T1_T2_jjjjRNS5_12storage_typeE.numbered_sgpr, .L_ZN7rocprim17ROCPRIM_400000_NS6detail40segmented_radix_sort_single_block_helperIblLj256ELj17ELb0EE4sortIPKbPbPKlPlEEbT_T0_T1_T2_jjjjRNS3_12storage_typeE.numbered_sgpr)
	.set _ZN7rocprim17ROCPRIM_400000_NS6detail17trampoline_kernelINS0_14default_configENS1_36segmented_radix_sort_config_selectorIblEEZNS1_25segmented_radix_sort_implIS3_Lb0EPKbPbPKlPlN2at6native12_GLOBAL__N_18offset_tEEE10hipError_tPvRmT1_PNSt15iterator_traitsISK_E10value_typeET2_T3_PNSL_ISQ_E10value_typeET4_jRbjT5_SW_jjP12ihipStream_tbEUlT_E2_NS1_11comp_targetILNS1_3genE8ELNS1_11target_archE1030ELNS1_3gpuE2ELNS1_3repE0EEENS1_30default_config_static_selectorELNS0_4arch9wavefront6targetE0EEEvSK_.num_named_barrier, max(0, .L_ZN7rocprim17ROCPRIM_400000_NS6detail26segmented_warp_sort_helperINS1_20WarpSortHelperConfigILj32ELj4ELj256EEEblLi256ELb0EvE4sortIPKbPbPKlPlEEvT_T0_T1_T2_jjjjRNS5_12storage_typeE.num_named_barrier, .L_ZN7rocprim17ROCPRIM_400000_NS6detail40segmented_radix_sort_single_block_helperIblLj256ELj17ELb0EE4sortIPKbPbPKlPlEEbT_T0_T1_T2_jjjjRNS3_12storage_typeE.num_named_barrier)
	.set _ZN7rocprim17ROCPRIM_400000_NS6detail17trampoline_kernelINS0_14default_configENS1_36segmented_radix_sort_config_selectorIblEEZNS1_25segmented_radix_sort_implIS3_Lb0EPKbPbPKlPlN2at6native12_GLOBAL__N_18offset_tEEE10hipError_tPvRmT1_PNSt15iterator_traitsISK_E10value_typeET2_T3_PNSL_ISQ_E10value_typeET4_jRbjT5_SW_jjP12ihipStream_tbEUlT_E2_NS1_11comp_targetILNS1_3genE8ELNS1_11target_archE1030ELNS1_3gpuE2ELNS1_3repE0EEENS1_30default_config_static_selectorELNS0_4arch9wavefront6targetE0EEEvSK_.private_seg_size, 0+max(.L_ZN7rocprim17ROCPRIM_400000_NS6detail26segmented_warp_sort_helperINS1_20WarpSortHelperConfigILj32ELj4ELj256EEEblLi256ELb0EvE4sortIPKbPbPKlPlEEvT_T0_T1_T2_jjjjRNS5_12storage_typeE.private_seg_size, .L_ZN7rocprim17ROCPRIM_400000_NS6detail40segmented_radix_sort_single_block_helperIblLj256ELj17ELb0EE4sortIPKbPbPKlPlEEbT_T0_T1_T2_jjjjRNS3_12storage_typeE.private_seg_size)
	.set _ZN7rocprim17ROCPRIM_400000_NS6detail17trampoline_kernelINS0_14default_configENS1_36segmented_radix_sort_config_selectorIblEEZNS1_25segmented_radix_sort_implIS3_Lb0EPKbPbPKlPlN2at6native12_GLOBAL__N_18offset_tEEE10hipError_tPvRmT1_PNSt15iterator_traitsISK_E10value_typeET2_T3_PNSL_ISQ_E10value_typeET4_jRbjT5_SW_jjP12ihipStream_tbEUlT_E2_NS1_11comp_targetILNS1_3genE8ELNS1_11target_archE1030ELNS1_3gpuE2ELNS1_3repE0EEENS1_30default_config_static_selectorELNS0_4arch9wavefront6targetE0EEEvSK_.uses_vcc, or(1, .L_ZN7rocprim17ROCPRIM_400000_NS6detail26segmented_warp_sort_helperINS1_20WarpSortHelperConfigILj32ELj4ELj256EEEblLi256ELb0EvE4sortIPKbPbPKlPlEEvT_T0_T1_T2_jjjjRNS5_12storage_typeE.uses_vcc, .L_ZN7rocprim17ROCPRIM_400000_NS6detail40segmented_radix_sort_single_block_helperIblLj256ELj17ELb0EE4sortIPKbPbPKlPlEEbT_T0_T1_T2_jjjjRNS3_12storage_typeE.uses_vcc)
	.set _ZN7rocprim17ROCPRIM_400000_NS6detail17trampoline_kernelINS0_14default_configENS1_36segmented_radix_sort_config_selectorIblEEZNS1_25segmented_radix_sort_implIS3_Lb0EPKbPbPKlPlN2at6native12_GLOBAL__N_18offset_tEEE10hipError_tPvRmT1_PNSt15iterator_traitsISK_E10value_typeET2_T3_PNSL_ISQ_E10value_typeET4_jRbjT5_SW_jjP12ihipStream_tbEUlT_E2_NS1_11comp_targetILNS1_3genE8ELNS1_11target_archE1030ELNS1_3gpuE2ELNS1_3repE0EEENS1_30default_config_static_selectorELNS0_4arch9wavefront6targetE0EEEvSK_.uses_flat_scratch, or(0, .L_ZN7rocprim17ROCPRIM_400000_NS6detail26segmented_warp_sort_helperINS1_20WarpSortHelperConfigILj32ELj4ELj256EEEblLi256ELb0EvE4sortIPKbPbPKlPlEEvT_T0_T1_T2_jjjjRNS5_12storage_typeE.uses_flat_scratch, .L_ZN7rocprim17ROCPRIM_400000_NS6detail40segmented_radix_sort_single_block_helperIblLj256ELj17ELb0EE4sortIPKbPbPKlPlEEbT_T0_T1_T2_jjjjRNS3_12storage_typeE.uses_flat_scratch)
	.set _ZN7rocprim17ROCPRIM_400000_NS6detail17trampoline_kernelINS0_14default_configENS1_36segmented_radix_sort_config_selectorIblEEZNS1_25segmented_radix_sort_implIS3_Lb0EPKbPbPKlPlN2at6native12_GLOBAL__N_18offset_tEEE10hipError_tPvRmT1_PNSt15iterator_traitsISK_E10value_typeET2_T3_PNSL_ISQ_E10value_typeET4_jRbjT5_SW_jjP12ihipStream_tbEUlT_E2_NS1_11comp_targetILNS1_3genE8ELNS1_11target_archE1030ELNS1_3gpuE2ELNS1_3repE0EEENS1_30default_config_static_selectorELNS0_4arch9wavefront6targetE0EEEvSK_.has_dyn_sized_stack, or(0, .L_ZN7rocprim17ROCPRIM_400000_NS6detail26segmented_warp_sort_helperINS1_20WarpSortHelperConfigILj32ELj4ELj256EEEblLi256ELb0EvE4sortIPKbPbPKlPlEEvT_T0_T1_T2_jjjjRNS5_12storage_typeE.has_dyn_sized_stack, .L_ZN7rocprim17ROCPRIM_400000_NS6detail40segmented_radix_sort_single_block_helperIblLj256ELj17ELb0EE4sortIPKbPbPKlPlEEbT_T0_T1_T2_jjjjRNS3_12storage_typeE.has_dyn_sized_stack)
	.set _ZN7rocprim17ROCPRIM_400000_NS6detail17trampoline_kernelINS0_14default_configENS1_36segmented_radix_sort_config_selectorIblEEZNS1_25segmented_radix_sort_implIS3_Lb0EPKbPbPKlPlN2at6native12_GLOBAL__N_18offset_tEEE10hipError_tPvRmT1_PNSt15iterator_traitsISK_E10value_typeET2_T3_PNSL_ISQ_E10value_typeET4_jRbjT5_SW_jjP12ihipStream_tbEUlT_E2_NS1_11comp_targetILNS1_3genE8ELNS1_11target_archE1030ELNS1_3gpuE2ELNS1_3repE0EEENS1_30default_config_static_selectorELNS0_4arch9wavefront6targetE0EEEvSK_.has_recursion, or(0, .L_ZN7rocprim17ROCPRIM_400000_NS6detail26segmented_warp_sort_helperINS1_20WarpSortHelperConfigILj32ELj4ELj256EEEblLi256ELb0EvE4sortIPKbPbPKlPlEEvT_T0_T1_T2_jjjjRNS5_12storage_typeE.has_recursion, .L_ZN7rocprim17ROCPRIM_400000_NS6detail40segmented_radix_sort_single_block_helperIblLj256ELj17ELb0EE4sortIPKbPbPKlPlEEbT_T0_T1_T2_jjjjRNS3_12storage_typeE.has_recursion)
	.set _ZN7rocprim17ROCPRIM_400000_NS6detail17trampoline_kernelINS0_14default_configENS1_36segmented_radix_sort_config_selectorIblEEZNS1_25segmented_radix_sort_implIS3_Lb0EPKbPbPKlPlN2at6native12_GLOBAL__N_18offset_tEEE10hipError_tPvRmT1_PNSt15iterator_traitsISK_E10value_typeET2_T3_PNSL_ISQ_E10value_typeET4_jRbjT5_SW_jjP12ihipStream_tbEUlT_E2_NS1_11comp_targetILNS1_3genE8ELNS1_11target_archE1030ELNS1_3gpuE2ELNS1_3repE0EEENS1_30default_config_static_selectorELNS0_4arch9wavefront6targetE0EEEvSK_.has_indirect_call, or(0, .L_ZN7rocprim17ROCPRIM_400000_NS6detail26segmented_warp_sort_helperINS1_20WarpSortHelperConfigILj32ELj4ELj256EEEblLi256ELb0EvE4sortIPKbPbPKlPlEEvT_T0_T1_T2_jjjjRNS5_12storage_typeE.has_indirect_call, .L_ZN7rocprim17ROCPRIM_400000_NS6detail40segmented_radix_sort_single_block_helperIblLj256ELj17ELb0EE4sortIPKbPbPKlPlEEbT_T0_T1_T2_jjjjRNS3_12storage_typeE.has_indirect_call)
	.section	.AMDGPU.csdata,"",@progbits
; Kernel info:
; codeLenInByte = 51720
; TotalNumSgprs: 70
; NumVgprs: 248
; ScratchSize: 196
; MemoryBound: 0
; FloatMode: 240
; IeeeMode: 1
; LDSByteSize: 35344 bytes/workgroup (compile time only)
; SGPRBlocks: 0
; VGPRBlocks: 30
; NumSGPRsForWavesPerEU: 70
; NumVGPRsForWavesPerEU: 248
; Occupancy: 4
; WaveLimiterHint : 1
; COMPUTE_PGM_RSRC2:SCRATCH_EN: 1
; COMPUTE_PGM_RSRC2:USER_SGPR: 6
; COMPUTE_PGM_RSRC2:TRAP_HANDLER: 0
; COMPUTE_PGM_RSRC2:TGID_X_EN: 1
; COMPUTE_PGM_RSRC2:TGID_Y_EN: 1
; COMPUTE_PGM_RSRC2:TGID_Z_EN: 0
; COMPUTE_PGM_RSRC2:TIDIG_COMP_CNT: 2
	.section	.text._ZN2at6native12_GLOBAL__N_123sort_postprocess_kernelIN3c104HalfEEEvPKT_PS5_PlPK15HIP_vector_typeIiLj2EEii,"axG",@progbits,_ZN2at6native12_GLOBAL__N_123sort_postprocess_kernelIN3c104HalfEEEvPKT_PS5_PlPK15HIP_vector_typeIiLj2EEii,comdat
	.globl	_ZN2at6native12_GLOBAL__N_123sort_postprocess_kernelIN3c104HalfEEEvPKT_PS5_PlPK15HIP_vector_typeIiLj2EEii ; -- Begin function _ZN2at6native12_GLOBAL__N_123sort_postprocess_kernelIN3c104HalfEEEvPKT_PS5_PlPK15HIP_vector_typeIiLj2EEii
	.p2align	8
	.type	_ZN2at6native12_GLOBAL__N_123sort_postprocess_kernelIN3c104HalfEEEvPKT_PS5_PlPK15HIP_vector_typeIiLj2EEii,@function
_ZN2at6native12_GLOBAL__N_123sort_postprocess_kernelIN3c104HalfEEEvPKT_PS5_PlPK15HIP_vector_typeIiLj2EEii: ; @_ZN2at6native12_GLOBAL__N_123sort_postprocess_kernelIN3c104HalfEEEvPKT_PS5_PlPK15HIP_vector_typeIiLj2EEii
; %bb.0:
	s_clause 0x1
	s_load_dword s2, s[4:5], 0x34
	s_load_dwordx2 s[8:9], s[4:5], 0x20
	s_add_u32 s0, s4, 40
	s_addc_u32 s1, s5, 0
	s_waitcnt lgkmcnt(0)
	s_and_b32 s15, s2, 0xffff
	s_mul_i32 s13, s15, s6
	s_mul_hi_u32 s12, s15, s6
	v_add_co_u32 v1, s2, s13, v0
	v_add_co_ci_u32_e64 v2, null, s12, 0, s2
	s_mul_i32 s2, s9, s8
	s_ashr_i32 s3, s2, 31
	v_cmp_gt_i64_e32 vcc_lo, s[2:3], v[1:2]
	v_mov_b32_e32 v1, 0
	s_and_saveexec_b32 s6, vcc_lo
	s_cbranch_execz .LBB1664_3
; %bb.1:
	s_abs_i32 s14, s9
	s_load_dword s0, s[0:1], 0x0
	v_cvt_f32_u32_e32 v2, s14
	s_sub_i32 s1, 0, s14
	s_load_dwordx8 s[4:11], s[4:5], 0x0
	v_rcp_iflag_f32_e32 v2, v2
	v_mul_f32_e32 v2, 0x4f7ffffe, v2
	v_cvt_u32_f32_e32 v2, v2
	v_mul_lo_u32 v3, s1, v2
	s_waitcnt lgkmcnt(0)
	s_mul_i32 s1, s0, s15
	s_mov_b32 s15, 0
	v_mul_hi_u32 v3, v2, v3
	v_add_nc_u32_e32 v2, v2, v3
.LBB1664_2:                             ; =>This Inner Loop Header: Depth=1
	v_add_nc_u32_e32 v3, s13, v0
	v_sub_nc_u32_e32 v4, 0, v3
	v_ashrrev_i32_e32 v6, 31, v3
	v_max_i32_e32 v4, v3, v4
	v_add_nc_u32_e32 v3, v3, v6
	v_mul_hi_u32 v5, v4, v2
	v_mul_lo_u32 v5, v5, s14
	v_sub_nc_u32_e32 v4, v4, v5
	v_subrev_nc_u32_e32 v5, s14, v4
	v_cmp_le_u32_e32 vcc_lo, s14, v4
	v_cndmask_b32_e32 v4, v4, v5, vcc_lo
	v_subrev_nc_u32_e32 v5, s14, v4
	v_cmp_le_u32_e32 vcc_lo, s14, v4
	v_cndmask_b32_e32 v4, v4, v5, vcc_lo
	v_xor_b32_e32 v4, v4, v6
	v_sub_nc_u32_e32 v3, v3, v4
	v_sub_nc_u32_e32 v5, v4, v6
	v_ashrrev_i32_e32 v4, 31, v3
	v_ashrrev_i32_e32 v6, 31, v5
	v_lshlrev_b64 v[7:8], 3, v[3:4]
	v_lshlrev_b64 v[9:10], 3, v[5:6]
	;; [unrolled: 1-line block ×4, first 2 shown]
	v_add_co_u32 v11, vcc_lo, s10, v7
	v_add_co_ci_u32_e64 v12, null, s11, v8, vcc_lo
	v_add_co_u32 v7, s0, s8, v7
	v_add_co_u32 v11, vcc_lo, v11, v9
	v_add_co_ci_u32_e64 v12, null, v12, v10, vcc_lo
	v_add_co_u32 v15, vcc_lo, s4, v3
	v_add_co_ci_u32_e64 v16, null, s5, v4, vcc_lo
	global_load_dword v11, v[11:12], off offset:4
	v_add_co_ci_u32_e64 v8, null, s9, v8, s0
	s_waitcnt vmcnt(0)
	v_ashrrev_i32_e32 v12, 31, v11
	v_lshlrev_b64 v[13:14], 1, v[11:12]
	v_add_co_u32 v13, vcc_lo, v15, v13
	v_add_co_ci_u32_e64 v14, null, v16, v14, vcc_lo
	v_add_co_u32 v0, vcc_lo, v0, s1
	v_add_co_ci_u32_e64 v1, null, 0, v1, vcc_lo
	global_load_ushort v15, v[13:14], off
	v_add_co_u32 v13, vcc_lo, s13, v0
	v_add_co_ci_u32_e64 v14, null, s12, v1, vcc_lo
	v_cmp_le_i64_e32 vcc_lo, s[2:3], v[13:14]
	v_add_co_u32 v13, s0, s6, v3
	v_add_co_ci_u32_e64 v14, null, s7, v4, s0
	v_add_co_u32 v3, s0, v7, v9
	v_add_co_ci_u32_e64 v4, null, v8, v10, s0
	;; [unrolled: 2-line block ×3, first 2 shown]
	s_or_b32 s15, vcc_lo, s15
	global_store_dwordx2 v[3:4], v[11:12], off
	s_waitcnt vmcnt(0)
	global_store_short v[5:6], v15, off
	s_andn2_b32 exec_lo, exec_lo, s15
	s_cbranch_execnz .LBB1664_2
.LBB1664_3:
	s_endpgm
	.section	.rodata,"a",@progbits
	.p2align	6, 0x0
	.amdhsa_kernel _ZN2at6native12_GLOBAL__N_123sort_postprocess_kernelIN3c104HalfEEEvPKT_PS5_PlPK15HIP_vector_typeIiLj2EEii
		.amdhsa_group_segment_fixed_size 0
		.amdhsa_private_segment_fixed_size 0
		.amdhsa_kernarg_size 296
		.amdhsa_user_sgpr_count 6
		.amdhsa_user_sgpr_private_segment_buffer 1
		.amdhsa_user_sgpr_dispatch_ptr 0
		.amdhsa_user_sgpr_queue_ptr 0
		.amdhsa_user_sgpr_kernarg_segment_ptr 1
		.amdhsa_user_sgpr_dispatch_id 0
		.amdhsa_user_sgpr_flat_scratch_init 0
		.amdhsa_user_sgpr_private_segment_size 0
		.amdhsa_wavefront_size32 1
		.amdhsa_uses_dynamic_stack 0
		.amdhsa_system_sgpr_private_segment_wavefront_offset 0
		.amdhsa_system_sgpr_workgroup_id_x 1
		.amdhsa_system_sgpr_workgroup_id_y 0
		.amdhsa_system_sgpr_workgroup_id_z 0
		.amdhsa_system_sgpr_workgroup_info 0
		.amdhsa_system_vgpr_workitem_id 0
		.amdhsa_next_free_vgpr 17
		.amdhsa_next_free_sgpr 16
		.amdhsa_reserve_vcc 1
		.amdhsa_reserve_flat_scratch 0
		.amdhsa_float_round_mode_32 0
		.amdhsa_float_round_mode_16_64 0
		.amdhsa_float_denorm_mode_32 3
		.amdhsa_float_denorm_mode_16_64 3
		.amdhsa_dx10_clamp 1
		.amdhsa_ieee_mode 1
		.amdhsa_fp16_overflow 0
		.amdhsa_workgroup_processor_mode 1
		.amdhsa_memory_ordered 1
		.amdhsa_forward_progress 1
		.amdhsa_shared_vgpr_count 0
		.amdhsa_exception_fp_ieee_invalid_op 0
		.amdhsa_exception_fp_denorm_src 0
		.amdhsa_exception_fp_ieee_div_zero 0
		.amdhsa_exception_fp_ieee_overflow 0
		.amdhsa_exception_fp_ieee_underflow 0
		.amdhsa_exception_fp_ieee_inexact 0
		.amdhsa_exception_int_div_zero 0
	.end_amdhsa_kernel
	.section	.text._ZN2at6native12_GLOBAL__N_123sort_postprocess_kernelIN3c104HalfEEEvPKT_PS5_PlPK15HIP_vector_typeIiLj2EEii,"axG",@progbits,_ZN2at6native12_GLOBAL__N_123sort_postprocess_kernelIN3c104HalfEEEvPKT_PS5_PlPK15HIP_vector_typeIiLj2EEii,comdat
.Lfunc_end1664:
	.size	_ZN2at6native12_GLOBAL__N_123sort_postprocess_kernelIN3c104HalfEEEvPKT_PS5_PlPK15HIP_vector_typeIiLj2EEii, .Lfunc_end1664-_ZN2at6native12_GLOBAL__N_123sort_postprocess_kernelIN3c104HalfEEEvPKT_PS5_PlPK15HIP_vector_typeIiLj2EEii
                                        ; -- End function
	.set _ZN2at6native12_GLOBAL__N_123sort_postprocess_kernelIN3c104HalfEEEvPKT_PS5_PlPK15HIP_vector_typeIiLj2EEii.num_vgpr, 17
	.set _ZN2at6native12_GLOBAL__N_123sort_postprocess_kernelIN3c104HalfEEEvPKT_PS5_PlPK15HIP_vector_typeIiLj2EEii.num_agpr, 0
	.set _ZN2at6native12_GLOBAL__N_123sort_postprocess_kernelIN3c104HalfEEEvPKT_PS5_PlPK15HIP_vector_typeIiLj2EEii.numbered_sgpr, 16
	.set _ZN2at6native12_GLOBAL__N_123sort_postprocess_kernelIN3c104HalfEEEvPKT_PS5_PlPK15HIP_vector_typeIiLj2EEii.num_named_barrier, 0
	.set _ZN2at6native12_GLOBAL__N_123sort_postprocess_kernelIN3c104HalfEEEvPKT_PS5_PlPK15HIP_vector_typeIiLj2EEii.private_seg_size, 0
	.set _ZN2at6native12_GLOBAL__N_123sort_postprocess_kernelIN3c104HalfEEEvPKT_PS5_PlPK15HIP_vector_typeIiLj2EEii.uses_vcc, 1
	.set _ZN2at6native12_GLOBAL__N_123sort_postprocess_kernelIN3c104HalfEEEvPKT_PS5_PlPK15HIP_vector_typeIiLj2EEii.uses_flat_scratch, 0
	.set _ZN2at6native12_GLOBAL__N_123sort_postprocess_kernelIN3c104HalfEEEvPKT_PS5_PlPK15HIP_vector_typeIiLj2EEii.has_dyn_sized_stack, 0
	.set _ZN2at6native12_GLOBAL__N_123sort_postprocess_kernelIN3c104HalfEEEvPKT_PS5_PlPK15HIP_vector_typeIiLj2EEii.has_recursion, 0
	.set _ZN2at6native12_GLOBAL__N_123sort_postprocess_kernelIN3c104HalfEEEvPKT_PS5_PlPK15HIP_vector_typeIiLj2EEii.has_indirect_call, 0
	.section	.AMDGPU.csdata,"",@progbits
; Kernel info:
; codeLenInByte = 512
; TotalNumSgprs: 18
; NumVgprs: 17
; ScratchSize: 0
; MemoryBound: 0
; FloatMode: 240
; IeeeMode: 1
; LDSByteSize: 0 bytes/workgroup (compile time only)
; SGPRBlocks: 0
; VGPRBlocks: 2
; NumSGPRsForWavesPerEU: 18
; NumVGPRsForWavesPerEU: 17
; Occupancy: 16
; WaveLimiterHint : 1
; COMPUTE_PGM_RSRC2:SCRATCH_EN: 0
; COMPUTE_PGM_RSRC2:USER_SGPR: 6
; COMPUTE_PGM_RSRC2:TRAP_HANDLER: 0
; COMPUTE_PGM_RSRC2:TGID_X_EN: 1
; COMPUTE_PGM_RSRC2:TGID_Y_EN: 0
; COMPUTE_PGM_RSRC2:TGID_Z_EN: 0
; COMPUTE_PGM_RSRC2:TIDIG_COMP_CNT: 0
	.section	.text._ZN7rocprim17ROCPRIM_400000_NS6detail17trampoline_kernelINS0_13select_configILj256ELj13ELNS0_17block_load_methodE3ELS4_3ELS4_3ELNS0_20block_scan_algorithmE0ELj4294967295EEENS1_25partition_config_selectorILNS1_17partition_subalgoE4EjNS0_10empty_typeEbEEZZNS1_14partition_implILS8_4ELb0ES6_15HIP_vector_typeIjLj2EENS0_17counting_iteratorIjlEEPS9_SG_NS0_5tupleIJPjSI_NS0_16reverse_iteratorISI_EEEEENSH_IJSG_SG_SG_EEES9_SI_JZNS1_25segmented_radix_sort_implINS0_14default_configELb1EPK6__halfPSP_PKlPlN2at6native12_GLOBAL__N_18offset_tEEE10hipError_tPvRmT1_PNSt15iterator_traitsIS13_E10value_typeET2_T3_PNS14_IS19_E10value_typeET4_jRbjT5_S1F_jjP12ihipStream_tbEUljE_ZNSN_ISO_Lb1ESR_SS_SU_SV_SZ_EES10_S11_S12_S13_S17_S18_S19_S1C_S1D_jS1E_jS1F_S1F_jjS1H_bEUljE0_EEES10_S11_S12_S19_S1D_S1F_T6_T7_T9_mT8_S1H_bDpT10_ENKUlT_T0_E_clISt17integral_constantIbLb0EES1V_EEDaS1Q_S1R_EUlS1Q_E_NS1_11comp_targetILNS1_3genE0ELNS1_11target_archE4294967295ELNS1_3gpuE0ELNS1_3repE0EEENS1_30default_config_static_selectorELNS0_4arch9wavefront6targetE0EEEvS13_,"axG",@progbits,_ZN7rocprim17ROCPRIM_400000_NS6detail17trampoline_kernelINS0_13select_configILj256ELj13ELNS0_17block_load_methodE3ELS4_3ELS4_3ELNS0_20block_scan_algorithmE0ELj4294967295EEENS1_25partition_config_selectorILNS1_17partition_subalgoE4EjNS0_10empty_typeEbEEZZNS1_14partition_implILS8_4ELb0ES6_15HIP_vector_typeIjLj2EENS0_17counting_iteratorIjlEEPS9_SG_NS0_5tupleIJPjSI_NS0_16reverse_iteratorISI_EEEEENSH_IJSG_SG_SG_EEES9_SI_JZNS1_25segmented_radix_sort_implINS0_14default_configELb1EPK6__halfPSP_PKlPlN2at6native12_GLOBAL__N_18offset_tEEE10hipError_tPvRmT1_PNSt15iterator_traitsIS13_E10value_typeET2_T3_PNS14_IS19_E10value_typeET4_jRbjT5_S1F_jjP12ihipStream_tbEUljE_ZNSN_ISO_Lb1ESR_SS_SU_SV_SZ_EES10_S11_S12_S13_S17_S18_S19_S1C_S1D_jS1E_jS1F_S1F_jjS1H_bEUljE0_EEES10_S11_S12_S19_S1D_S1F_T6_T7_T9_mT8_S1H_bDpT10_ENKUlT_T0_E_clISt17integral_constantIbLb0EES1V_EEDaS1Q_S1R_EUlS1Q_E_NS1_11comp_targetILNS1_3genE0ELNS1_11target_archE4294967295ELNS1_3gpuE0ELNS1_3repE0EEENS1_30default_config_static_selectorELNS0_4arch9wavefront6targetE0EEEvS13_,comdat
	.globl	_ZN7rocprim17ROCPRIM_400000_NS6detail17trampoline_kernelINS0_13select_configILj256ELj13ELNS0_17block_load_methodE3ELS4_3ELS4_3ELNS0_20block_scan_algorithmE0ELj4294967295EEENS1_25partition_config_selectorILNS1_17partition_subalgoE4EjNS0_10empty_typeEbEEZZNS1_14partition_implILS8_4ELb0ES6_15HIP_vector_typeIjLj2EENS0_17counting_iteratorIjlEEPS9_SG_NS0_5tupleIJPjSI_NS0_16reverse_iteratorISI_EEEEENSH_IJSG_SG_SG_EEES9_SI_JZNS1_25segmented_radix_sort_implINS0_14default_configELb1EPK6__halfPSP_PKlPlN2at6native12_GLOBAL__N_18offset_tEEE10hipError_tPvRmT1_PNSt15iterator_traitsIS13_E10value_typeET2_T3_PNS14_IS19_E10value_typeET4_jRbjT5_S1F_jjP12ihipStream_tbEUljE_ZNSN_ISO_Lb1ESR_SS_SU_SV_SZ_EES10_S11_S12_S13_S17_S18_S19_S1C_S1D_jS1E_jS1F_S1F_jjS1H_bEUljE0_EEES10_S11_S12_S19_S1D_S1F_T6_T7_T9_mT8_S1H_bDpT10_ENKUlT_T0_E_clISt17integral_constantIbLb0EES1V_EEDaS1Q_S1R_EUlS1Q_E_NS1_11comp_targetILNS1_3genE0ELNS1_11target_archE4294967295ELNS1_3gpuE0ELNS1_3repE0EEENS1_30default_config_static_selectorELNS0_4arch9wavefront6targetE0EEEvS13_ ; -- Begin function _ZN7rocprim17ROCPRIM_400000_NS6detail17trampoline_kernelINS0_13select_configILj256ELj13ELNS0_17block_load_methodE3ELS4_3ELS4_3ELNS0_20block_scan_algorithmE0ELj4294967295EEENS1_25partition_config_selectorILNS1_17partition_subalgoE4EjNS0_10empty_typeEbEEZZNS1_14partition_implILS8_4ELb0ES6_15HIP_vector_typeIjLj2EENS0_17counting_iteratorIjlEEPS9_SG_NS0_5tupleIJPjSI_NS0_16reverse_iteratorISI_EEEEENSH_IJSG_SG_SG_EEES9_SI_JZNS1_25segmented_radix_sort_implINS0_14default_configELb1EPK6__halfPSP_PKlPlN2at6native12_GLOBAL__N_18offset_tEEE10hipError_tPvRmT1_PNSt15iterator_traitsIS13_E10value_typeET2_T3_PNS14_IS19_E10value_typeET4_jRbjT5_S1F_jjP12ihipStream_tbEUljE_ZNSN_ISO_Lb1ESR_SS_SU_SV_SZ_EES10_S11_S12_S13_S17_S18_S19_S1C_S1D_jS1E_jS1F_S1F_jjS1H_bEUljE0_EEES10_S11_S12_S19_S1D_S1F_T6_T7_T9_mT8_S1H_bDpT10_ENKUlT_T0_E_clISt17integral_constantIbLb0EES1V_EEDaS1Q_S1R_EUlS1Q_E_NS1_11comp_targetILNS1_3genE0ELNS1_11target_archE4294967295ELNS1_3gpuE0ELNS1_3repE0EEENS1_30default_config_static_selectorELNS0_4arch9wavefront6targetE0EEEvS13_
	.p2align	8
	.type	_ZN7rocprim17ROCPRIM_400000_NS6detail17trampoline_kernelINS0_13select_configILj256ELj13ELNS0_17block_load_methodE3ELS4_3ELS4_3ELNS0_20block_scan_algorithmE0ELj4294967295EEENS1_25partition_config_selectorILNS1_17partition_subalgoE4EjNS0_10empty_typeEbEEZZNS1_14partition_implILS8_4ELb0ES6_15HIP_vector_typeIjLj2EENS0_17counting_iteratorIjlEEPS9_SG_NS0_5tupleIJPjSI_NS0_16reverse_iteratorISI_EEEEENSH_IJSG_SG_SG_EEES9_SI_JZNS1_25segmented_radix_sort_implINS0_14default_configELb1EPK6__halfPSP_PKlPlN2at6native12_GLOBAL__N_18offset_tEEE10hipError_tPvRmT1_PNSt15iterator_traitsIS13_E10value_typeET2_T3_PNS14_IS19_E10value_typeET4_jRbjT5_S1F_jjP12ihipStream_tbEUljE_ZNSN_ISO_Lb1ESR_SS_SU_SV_SZ_EES10_S11_S12_S13_S17_S18_S19_S1C_S1D_jS1E_jS1F_S1F_jjS1H_bEUljE0_EEES10_S11_S12_S19_S1D_S1F_T6_T7_T9_mT8_S1H_bDpT10_ENKUlT_T0_E_clISt17integral_constantIbLb0EES1V_EEDaS1Q_S1R_EUlS1Q_E_NS1_11comp_targetILNS1_3genE0ELNS1_11target_archE4294967295ELNS1_3gpuE0ELNS1_3repE0EEENS1_30default_config_static_selectorELNS0_4arch9wavefront6targetE0EEEvS13_,@function
_ZN7rocprim17ROCPRIM_400000_NS6detail17trampoline_kernelINS0_13select_configILj256ELj13ELNS0_17block_load_methodE3ELS4_3ELS4_3ELNS0_20block_scan_algorithmE0ELj4294967295EEENS1_25partition_config_selectorILNS1_17partition_subalgoE4EjNS0_10empty_typeEbEEZZNS1_14partition_implILS8_4ELb0ES6_15HIP_vector_typeIjLj2EENS0_17counting_iteratorIjlEEPS9_SG_NS0_5tupleIJPjSI_NS0_16reverse_iteratorISI_EEEEENSH_IJSG_SG_SG_EEES9_SI_JZNS1_25segmented_radix_sort_implINS0_14default_configELb1EPK6__halfPSP_PKlPlN2at6native12_GLOBAL__N_18offset_tEEE10hipError_tPvRmT1_PNSt15iterator_traitsIS13_E10value_typeET2_T3_PNS14_IS19_E10value_typeET4_jRbjT5_S1F_jjP12ihipStream_tbEUljE_ZNSN_ISO_Lb1ESR_SS_SU_SV_SZ_EES10_S11_S12_S13_S17_S18_S19_S1C_S1D_jS1E_jS1F_S1F_jjS1H_bEUljE0_EEES10_S11_S12_S19_S1D_S1F_T6_T7_T9_mT8_S1H_bDpT10_ENKUlT_T0_E_clISt17integral_constantIbLb0EES1V_EEDaS1Q_S1R_EUlS1Q_E_NS1_11comp_targetILNS1_3genE0ELNS1_11target_archE4294967295ELNS1_3gpuE0ELNS1_3repE0EEENS1_30default_config_static_selectorELNS0_4arch9wavefront6targetE0EEEvS13_: ; @_ZN7rocprim17ROCPRIM_400000_NS6detail17trampoline_kernelINS0_13select_configILj256ELj13ELNS0_17block_load_methodE3ELS4_3ELS4_3ELNS0_20block_scan_algorithmE0ELj4294967295EEENS1_25partition_config_selectorILNS1_17partition_subalgoE4EjNS0_10empty_typeEbEEZZNS1_14partition_implILS8_4ELb0ES6_15HIP_vector_typeIjLj2EENS0_17counting_iteratorIjlEEPS9_SG_NS0_5tupleIJPjSI_NS0_16reverse_iteratorISI_EEEEENSH_IJSG_SG_SG_EEES9_SI_JZNS1_25segmented_radix_sort_implINS0_14default_configELb1EPK6__halfPSP_PKlPlN2at6native12_GLOBAL__N_18offset_tEEE10hipError_tPvRmT1_PNSt15iterator_traitsIS13_E10value_typeET2_T3_PNS14_IS19_E10value_typeET4_jRbjT5_S1F_jjP12ihipStream_tbEUljE_ZNSN_ISO_Lb1ESR_SS_SU_SV_SZ_EES10_S11_S12_S13_S17_S18_S19_S1C_S1D_jS1E_jS1F_S1F_jjS1H_bEUljE0_EEES10_S11_S12_S19_S1D_S1F_T6_T7_T9_mT8_S1H_bDpT10_ENKUlT_T0_E_clISt17integral_constantIbLb0EES1V_EEDaS1Q_S1R_EUlS1Q_E_NS1_11comp_targetILNS1_3genE0ELNS1_11target_archE4294967295ELNS1_3gpuE0ELNS1_3repE0EEENS1_30default_config_static_selectorELNS0_4arch9wavefront6targetE0EEEvS13_
; %bb.0:
	.section	.rodata,"a",@progbits
	.p2align	6, 0x0
	.amdhsa_kernel _ZN7rocprim17ROCPRIM_400000_NS6detail17trampoline_kernelINS0_13select_configILj256ELj13ELNS0_17block_load_methodE3ELS4_3ELS4_3ELNS0_20block_scan_algorithmE0ELj4294967295EEENS1_25partition_config_selectorILNS1_17partition_subalgoE4EjNS0_10empty_typeEbEEZZNS1_14partition_implILS8_4ELb0ES6_15HIP_vector_typeIjLj2EENS0_17counting_iteratorIjlEEPS9_SG_NS0_5tupleIJPjSI_NS0_16reverse_iteratorISI_EEEEENSH_IJSG_SG_SG_EEES9_SI_JZNS1_25segmented_radix_sort_implINS0_14default_configELb1EPK6__halfPSP_PKlPlN2at6native12_GLOBAL__N_18offset_tEEE10hipError_tPvRmT1_PNSt15iterator_traitsIS13_E10value_typeET2_T3_PNS14_IS19_E10value_typeET4_jRbjT5_S1F_jjP12ihipStream_tbEUljE_ZNSN_ISO_Lb1ESR_SS_SU_SV_SZ_EES10_S11_S12_S13_S17_S18_S19_S1C_S1D_jS1E_jS1F_S1F_jjS1H_bEUljE0_EEES10_S11_S12_S19_S1D_S1F_T6_T7_T9_mT8_S1H_bDpT10_ENKUlT_T0_E_clISt17integral_constantIbLb0EES1V_EEDaS1Q_S1R_EUlS1Q_E_NS1_11comp_targetILNS1_3genE0ELNS1_11target_archE4294967295ELNS1_3gpuE0ELNS1_3repE0EEENS1_30default_config_static_selectorELNS0_4arch9wavefront6targetE0EEEvS13_
		.amdhsa_group_segment_fixed_size 0
		.amdhsa_private_segment_fixed_size 0
		.amdhsa_kernarg_size 176
		.amdhsa_user_sgpr_count 6
		.amdhsa_user_sgpr_private_segment_buffer 1
		.amdhsa_user_sgpr_dispatch_ptr 0
		.amdhsa_user_sgpr_queue_ptr 0
		.amdhsa_user_sgpr_kernarg_segment_ptr 1
		.amdhsa_user_sgpr_dispatch_id 0
		.amdhsa_user_sgpr_flat_scratch_init 0
		.amdhsa_user_sgpr_private_segment_size 0
		.amdhsa_wavefront_size32 1
		.amdhsa_uses_dynamic_stack 0
		.amdhsa_system_sgpr_private_segment_wavefront_offset 0
		.amdhsa_system_sgpr_workgroup_id_x 1
		.amdhsa_system_sgpr_workgroup_id_y 0
		.amdhsa_system_sgpr_workgroup_id_z 0
		.amdhsa_system_sgpr_workgroup_info 0
		.amdhsa_system_vgpr_workitem_id 0
		.amdhsa_next_free_vgpr 1
		.amdhsa_next_free_sgpr 1
		.amdhsa_reserve_vcc 0
		.amdhsa_reserve_flat_scratch 0
		.amdhsa_float_round_mode_32 0
		.amdhsa_float_round_mode_16_64 0
		.amdhsa_float_denorm_mode_32 3
		.amdhsa_float_denorm_mode_16_64 3
		.amdhsa_dx10_clamp 1
		.amdhsa_ieee_mode 1
		.amdhsa_fp16_overflow 0
		.amdhsa_workgroup_processor_mode 1
		.amdhsa_memory_ordered 1
		.amdhsa_forward_progress 1
		.amdhsa_shared_vgpr_count 0
		.amdhsa_exception_fp_ieee_invalid_op 0
		.amdhsa_exception_fp_denorm_src 0
		.amdhsa_exception_fp_ieee_div_zero 0
		.amdhsa_exception_fp_ieee_overflow 0
		.amdhsa_exception_fp_ieee_underflow 0
		.amdhsa_exception_fp_ieee_inexact 0
		.amdhsa_exception_int_div_zero 0
	.end_amdhsa_kernel
	.section	.text._ZN7rocprim17ROCPRIM_400000_NS6detail17trampoline_kernelINS0_13select_configILj256ELj13ELNS0_17block_load_methodE3ELS4_3ELS4_3ELNS0_20block_scan_algorithmE0ELj4294967295EEENS1_25partition_config_selectorILNS1_17partition_subalgoE4EjNS0_10empty_typeEbEEZZNS1_14partition_implILS8_4ELb0ES6_15HIP_vector_typeIjLj2EENS0_17counting_iteratorIjlEEPS9_SG_NS0_5tupleIJPjSI_NS0_16reverse_iteratorISI_EEEEENSH_IJSG_SG_SG_EEES9_SI_JZNS1_25segmented_radix_sort_implINS0_14default_configELb1EPK6__halfPSP_PKlPlN2at6native12_GLOBAL__N_18offset_tEEE10hipError_tPvRmT1_PNSt15iterator_traitsIS13_E10value_typeET2_T3_PNS14_IS19_E10value_typeET4_jRbjT5_S1F_jjP12ihipStream_tbEUljE_ZNSN_ISO_Lb1ESR_SS_SU_SV_SZ_EES10_S11_S12_S13_S17_S18_S19_S1C_S1D_jS1E_jS1F_S1F_jjS1H_bEUljE0_EEES10_S11_S12_S19_S1D_S1F_T6_T7_T9_mT8_S1H_bDpT10_ENKUlT_T0_E_clISt17integral_constantIbLb0EES1V_EEDaS1Q_S1R_EUlS1Q_E_NS1_11comp_targetILNS1_3genE0ELNS1_11target_archE4294967295ELNS1_3gpuE0ELNS1_3repE0EEENS1_30default_config_static_selectorELNS0_4arch9wavefront6targetE0EEEvS13_,"axG",@progbits,_ZN7rocprim17ROCPRIM_400000_NS6detail17trampoline_kernelINS0_13select_configILj256ELj13ELNS0_17block_load_methodE3ELS4_3ELS4_3ELNS0_20block_scan_algorithmE0ELj4294967295EEENS1_25partition_config_selectorILNS1_17partition_subalgoE4EjNS0_10empty_typeEbEEZZNS1_14partition_implILS8_4ELb0ES6_15HIP_vector_typeIjLj2EENS0_17counting_iteratorIjlEEPS9_SG_NS0_5tupleIJPjSI_NS0_16reverse_iteratorISI_EEEEENSH_IJSG_SG_SG_EEES9_SI_JZNS1_25segmented_radix_sort_implINS0_14default_configELb1EPK6__halfPSP_PKlPlN2at6native12_GLOBAL__N_18offset_tEEE10hipError_tPvRmT1_PNSt15iterator_traitsIS13_E10value_typeET2_T3_PNS14_IS19_E10value_typeET4_jRbjT5_S1F_jjP12ihipStream_tbEUljE_ZNSN_ISO_Lb1ESR_SS_SU_SV_SZ_EES10_S11_S12_S13_S17_S18_S19_S1C_S1D_jS1E_jS1F_S1F_jjS1H_bEUljE0_EEES10_S11_S12_S19_S1D_S1F_T6_T7_T9_mT8_S1H_bDpT10_ENKUlT_T0_E_clISt17integral_constantIbLb0EES1V_EEDaS1Q_S1R_EUlS1Q_E_NS1_11comp_targetILNS1_3genE0ELNS1_11target_archE4294967295ELNS1_3gpuE0ELNS1_3repE0EEENS1_30default_config_static_selectorELNS0_4arch9wavefront6targetE0EEEvS13_,comdat
.Lfunc_end1665:
	.size	_ZN7rocprim17ROCPRIM_400000_NS6detail17trampoline_kernelINS0_13select_configILj256ELj13ELNS0_17block_load_methodE3ELS4_3ELS4_3ELNS0_20block_scan_algorithmE0ELj4294967295EEENS1_25partition_config_selectorILNS1_17partition_subalgoE4EjNS0_10empty_typeEbEEZZNS1_14partition_implILS8_4ELb0ES6_15HIP_vector_typeIjLj2EENS0_17counting_iteratorIjlEEPS9_SG_NS0_5tupleIJPjSI_NS0_16reverse_iteratorISI_EEEEENSH_IJSG_SG_SG_EEES9_SI_JZNS1_25segmented_radix_sort_implINS0_14default_configELb1EPK6__halfPSP_PKlPlN2at6native12_GLOBAL__N_18offset_tEEE10hipError_tPvRmT1_PNSt15iterator_traitsIS13_E10value_typeET2_T3_PNS14_IS19_E10value_typeET4_jRbjT5_S1F_jjP12ihipStream_tbEUljE_ZNSN_ISO_Lb1ESR_SS_SU_SV_SZ_EES10_S11_S12_S13_S17_S18_S19_S1C_S1D_jS1E_jS1F_S1F_jjS1H_bEUljE0_EEES10_S11_S12_S19_S1D_S1F_T6_T7_T9_mT8_S1H_bDpT10_ENKUlT_T0_E_clISt17integral_constantIbLb0EES1V_EEDaS1Q_S1R_EUlS1Q_E_NS1_11comp_targetILNS1_3genE0ELNS1_11target_archE4294967295ELNS1_3gpuE0ELNS1_3repE0EEENS1_30default_config_static_selectorELNS0_4arch9wavefront6targetE0EEEvS13_, .Lfunc_end1665-_ZN7rocprim17ROCPRIM_400000_NS6detail17trampoline_kernelINS0_13select_configILj256ELj13ELNS0_17block_load_methodE3ELS4_3ELS4_3ELNS0_20block_scan_algorithmE0ELj4294967295EEENS1_25partition_config_selectorILNS1_17partition_subalgoE4EjNS0_10empty_typeEbEEZZNS1_14partition_implILS8_4ELb0ES6_15HIP_vector_typeIjLj2EENS0_17counting_iteratorIjlEEPS9_SG_NS0_5tupleIJPjSI_NS0_16reverse_iteratorISI_EEEEENSH_IJSG_SG_SG_EEES9_SI_JZNS1_25segmented_radix_sort_implINS0_14default_configELb1EPK6__halfPSP_PKlPlN2at6native12_GLOBAL__N_18offset_tEEE10hipError_tPvRmT1_PNSt15iterator_traitsIS13_E10value_typeET2_T3_PNS14_IS19_E10value_typeET4_jRbjT5_S1F_jjP12ihipStream_tbEUljE_ZNSN_ISO_Lb1ESR_SS_SU_SV_SZ_EES10_S11_S12_S13_S17_S18_S19_S1C_S1D_jS1E_jS1F_S1F_jjS1H_bEUljE0_EEES10_S11_S12_S19_S1D_S1F_T6_T7_T9_mT8_S1H_bDpT10_ENKUlT_T0_E_clISt17integral_constantIbLb0EES1V_EEDaS1Q_S1R_EUlS1Q_E_NS1_11comp_targetILNS1_3genE0ELNS1_11target_archE4294967295ELNS1_3gpuE0ELNS1_3repE0EEENS1_30default_config_static_selectorELNS0_4arch9wavefront6targetE0EEEvS13_
                                        ; -- End function
	.set _ZN7rocprim17ROCPRIM_400000_NS6detail17trampoline_kernelINS0_13select_configILj256ELj13ELNS0_17block_load_methodE3ELS4_3ELS4_3ELNS0_20block_scan_algorithmE0ELj4294967295EEENS1_25partition_config_selectorILNS1_17partition_subalgoE4EjNS0_10empty_typeEbEEZZNS1_14partition_implILS8_4ELb0ES6_15HIP_vector_typeIjLj2EENS0_17counting_iteratorIjlEEPS9_SG_NS0_5tupleIJPjSI_NS0_16reverse_iteratorISI_EEEEENSH_IJSG_SG_SG_EEES9_SI_JZNS1_25segmented_radix_sort_implINS0_14default_configELb1EPK6__halfPSP_PKlPlN2at6native12_GLOBAL__N_18offset_tEEE10hipError_tPvRmT1_PNSt15iterator_traitsIS13_E10value_typeET2_T3_PNS14_IS19_E10value_typeET4_jRbjT5_S1F_jjP12ihipStream_tbEUljE_ZNSN_ISO_Lb1ESR_SS_SU_SV_SZ_EES10_S11_S12_S13_S17_S18_S19_S1C_S1D_jS1E_jS1F_S1F_jjS1H_bEUljE0_EEES10_S11_S12_S19_S1D_S1F_T6_T7_T9_mT8_S1H_bDpT10_ENKUlT_T0_E_clISt17integral_constantIbLb0EES1V_EEDaS1Q_S1R_EUlS1Q_E_NS1_11comp_targetILNS1_3genE0ELNS1_11target_archE4294967295ELNS1_3gpuE0ELNS1_3repE0EEENS1_30default_config_static_selectorELNS0_4arch9wavefront6targetE0EEEvS13_.num_vgpr, 0
	.set _ZN7rocprim17ROCPRIM_400000_NS6detail17trampoline_kernelINS0_13select_configILj256ELj13ELNS0_17block_load_methodE3ELS4_3ELS4_3ELNS0_20block_scan_algorithmE0ELj4294967295EEENS1_25partition_config_selectorILNS1_17partition_subalgoE4EjNS0_10empty_typeEbEEZZNS1_14partition_implILS8_4ELb0ES6_15HIP_vector_typeIjLj2EENS0_17counting_iteratorIjlEEPS9_SG_NS0_5tupleIJPjSI_NS0_16reverse_iteratorISI_EEEEENSH_IJSG_SG_SG_EEES9_SI_JZNS1_25segmented_radix_sort_implINS0_14default_configELb1EPK6__halfPSP_PKlPlN2at6native12_GLOBAL__N_18offset_tEEE10hipError_tPvRmT1_PNSt15iterator_traitsIS13_E10value_typeET2_T3_PNS14_IS19_E10value_typeET4_jRbjT5_S1F_jjP12ihipStream_tbEUljE_ZNSN_ISO_Lb1ESR_SS_SU_SV_SZ_EES10_S11_S12_S13_S17_S18_S19_S1C_S1D_jS1E_jS1F_S1F_jjS1H_bEUljE0_EEES10_S11_S12_S19_S1D_S1F_T6_T7_T9_mT8_S1H_bDpT10_ENKUlT_T0_E_clISt17integral_constantIbLb0EES1V_EEDaS1Q_S1R_EUlS1Q_E_NS1_11comp_targetILNS1_3genE0ELNS1_11target_archE4294967295ELNS1_3gpuE0ELNS1_3repE0EEENS1_30default_config_static_selectorELNS0_4arch9wavefront6targetE0EEEvS13_.num_agpr, 0
	.set _ZN7rocprim17ROCPRIM_400000_NS6detail17trampoline_kernelINS0_13select_configILj256ELj13ELNS0_17block_load_methodE3ELS4_3ELS4_3ELNS0_20block_scan_algorithmE0ELj4294967295EEENS1_25partition_config_selectorILNS1_17partition_subalgoE4EjNS0_10empty_typeEbEEZZNS1_14partition_implILS8_4ELb0ES6_15HIP_vector_typeIjLj2EENS0_17counting_iteratorIjlEEPS9_SG_NS0_5tupleIJPjSI_NS0_16reverse_iteratorISI_EEEEENSH_IJSG_SG_SG_EEES9_SI_JZNS1_25segmented_radix_sort_implINS0_14default_configELb1EPK6__halfPSP_PKlPlN2at6native12_GLOBAL__N_18offset_tEEE10hipError_tPvRmT1_PNSt15iterator_traitsIS13_E10value_typeET2_T3_PNS14_IS19_E10value_typeET4_jRbjT5_S1F_jjP12ihipStream_tbEUljE_ZNSN_ISO_Lb1ESR_SS_SU_SV_SZ_EES10_S11_S12_S13_S17_S18_S19_S1C_S1D_jS1E_jS1F_S1F_jjS1H_bEUljE0_EEES10_S11_S12_S19_S1D_S1F_T6_T7_T9_mT8_S1H_bDpT10_ENKUlT_T0_E_clISt17integral_constantIbLb0EES1V_EEDaS1Q_S1R_EUlS1Q_E_NS1_11comp_targetILNS1_3genE0ELNS1_11target_archE4294967295ELNS1_3gpuE0ELNS1_3repE0EEENS1_30default_config_static_selectorELNS0_4arch9wavefront6targetE0EEEvS13_.numbered_sgpr, 0
	.set _ZN7rocprim17ROCPRIM_400000_NS6detail17trampoline_kernelINS0_13select_configILj256ELj13ELNS0_17block_load_methodE3ELS4_3ELS4_3ELNS0_20block_scan_algorithmE0ELj4294967295EEENS1_25partition_config_selectorILNS1_17partition_subalgoE4EjNS0_10empty_typeEbEEZZNS1_14partition_implILS8_4ELb0ES6_15HIP_vector_typeIjLj2EENS0_17counting_iteratorIjlEEPS9_SG_NS0_5tupleIJPjSI_NS0_16reverse_iteratorISI_EEEEENSH_IJSG_SG_SG_EEES9_SI_JZNS1_25segmented_radix_sort_implINS0_14default_configELb1EPK6__halfPSP_PKlPlN2at6native12_GLOBAL__N_18offset_tEEE10hipError_tPvRmT1_PNSt15iterator_traitsIS13_E10value_typeET2_T3_PNS14_IS19_E10value_typeET4_jRbjT5_S1F_jjP12ihipStream_tbEUljE_ZNSN_ISO_Lb1ESR_SS_SU_SV_SZ_EES10_S11_S12_S13_S17_S18_S19_S1C_S1D_jS1E_jS1F_S1F_jjS1H_bEUljE0_EEES10_S11_S12_S19_S1D_S1F_T6_T7_T9_mT8_S1H_bDpT10_ENKUlT_T0_E_clISt17integral_constantIbLb0EES1V_EEDaS1Q_S1R_EUlS1Q_E_NS1_11comp_targetILNS1_3genE0ELNS1_11target_archE4294967295ELNS1_3gpuE0ELNS1_3repE0EEENS1_30default_config_static_selectorELNS0_4arch9wavefront6targetE0EEEvS13_.num_named_barrier, 0
	.set _ZN7rocprim17ROCPRIM_400000_NS6detail17trampoline_kernelINS0_13select_configILj256ELj13ELNS0_17block_load_methodE3ELS4_3ELS4_3ELNS0_20block_scan_algorithmE0ELj4294967295EEENS1_25partition_config_selectorILNS1_17partition_subalgoE4EjNS0_10empty_typeEbEEZZNS1_14partition_implILS8_4ELb0ES6_15HIP_vector_typeIjLj2EENS0_17counting_iteratorIjlEEPS9_SG_NS0_5tupleIJPjSI_NS0_16reverse_iteratorISI_EEEEENSH_IJSG_SG_SG_EEES9_SI_JZNS1_25segmented_radix_sort_implINS0_14default_configELb1EPK6__halfPSP_PKlPlN2at6native12_GLOBAL__N_18offset_tEEE10hipError_tPvRmT1_PNSt15iterator_traitsIS13_E10value_typeET2_T3_PNS14_IS19_E10value_typeET4_jRbjT5_S1F_jjP12ihipStream_tbEUljE_ZNSN_ISO_Lb1ESR_SS_SU_SV_SZ_EES10_S11_S12_S13_S17_S18_S19_S1C_S1D_jS1E_jS1F_S1F_jjS1H_bEUljE0_EEES10_S11_S12_S19_S1D_S1F_T6_T7_T9_mT8_S1H_bDpT10_ENKUlT_T0_E_clISt17integral_constantIbLb0EES1V_EEDaS1Q_S1R_EUlS1Q_E_NS1_11comp_targetILNS1_3genE0ELNS1_11target_archE4294967295ELNS1_3gpuE0ELNS1_3repE0EEENS1_30default_config_static_selectorELNS0_4arch9wavefront6targetE0EEEvS13_.private_seg_size, 0
	.set _ZN7rocprim17ROCPRIM_400000_NS6detail17trampoline_kernelINS0_13select_configILj256ELj13ELNS0_17block_load_methodE3ELS4_3ELS4_3ELNS0_20block_scan_algorithmE0ELj4294967295EEENS1_25partition_config_selectorILNS1_17partition_subalgoE4EjNS0_10empty_typeEbEEZZNS1_14partition_implILS8_4ELb0ES6_15HIP_vector_typeIjLj2EENS0_17counting_iteratorIjlEEPS9_SG_NS0_5tupleIJPjSI_NS0_16reverse_iteratorISI_EEEEENSH_IJSG_SG_SG_EEES9_SI_JZNS1_25segmented_radix_sort_implINS0_14default_configELb1EPK6__halfPSP_PKlPlN2at6native12_GLOBAL__N_18offset_tEEE10hipError_tPvRmT1_PNSt15iterator_traitsIS13_E10value_typeET2_T3_PNS14_IS19_E10value_typeET4_jRbjT5_S1F_jjP12ihipStream_tbEUljE_ZNSN_ISO_Lb1ESR_SS_SU_SV_SZ_EES10_S11_S12_S13_S17_S18_S19_S1C_S1D_jS1E_jS1F_S1F_jjS1H_bEUljE0_EEES10_S11_S12_S19_S1D_S1F_T6_T7_T9_mT8_S1H_bDpT10_ENKUlT_T0_E_clISt17integral_constantIbLb0EES1V_EEDaS1Q_S1R_EUlS1Q_E_NS1_11comp_targetILNS1_3genE0ELNS1_11target_archE4294967295ELNS1_3gpuE0ELNS1_3repE0EEENS1_30default_config_static_selectorELNS0_4arch9wavefront6targetE0EEEvS13_.uses_vcc, 0
	.set _ZN7rocprim17ROCPRIM_400000_NS6detail17trampoline_kernelINS0_13select_configILj256ELj13ELNS0_17block_load_methodE3ELS4_3ELS4_3ELNS0_20block_scan_algorithmE0ELj4294967295EEENS1_25partition_config_selectorILNS1_17partition_subalgoE4EjNS0_10empty_typeEbEEZZNS1_14partition_implILS8_4ELb0ES6_15HIP_vector_typeIjLj2EENS0_17counting_iteratorIjlEEPS9_SG_NS0_5tupleIJPjSI_NS0_16reverse_iteratorISI_EEEEENSH_IJSG_SG_SG_EEES9_SI_JZNS1_25segmented_radix_sort_implINS0_14default_configELb1EPK6__halfPSP_PKlPlN2at6native12_GLOBAL__N_18offset_tEEE10hipError_tPvRmT1_PNSt15iterator_traitsIS13_E10value_typeET2_T3_PNS14_IS19_E10value_typeET4_jRbjT5_S1F_jjP12ihipStream_tbEUljE_ZNSN_ISO_Lb1ESR_SS_SU_SV_SZ_EES10_S11_S12_S13_S17_S18_S19_S1C_S1D_jS1E_jS1F_S1F_jjS1H_bEUljE0_EEES10_S11_S12_S19_S1D_S1F_T6_T7_T9_mT8_S1H_bDpT10_ENKUlT_T0_E_clISt17integral_constantIbLb0EES1V_EEDaS1Q_S1R_EUlS1Q_E_NS1_11comp_targetILNS1_3genE0ELNS1_11target_archE4294967295ELNS1_3gpuE0ELNS1_3repE0EEENS1_30default_config_static_selectorELNS0_4arch9wavefront6targetE0EEEvS13_.uses_flat_scratch, 0
	.set _ZN7rocprim17ROCPRIM_400000_NS6detail17trampoline_kernelINS0_13select_configILj256ELj13ELNS0_17block_load_methodE3ELS4_3ELS4_3ELNS0_20block_scan_algorithmE0ELj4294967295EEENS1_25partition_config_selectorILNS1_17partition_subalgoE4EjNS0_10empty_typeEbEEZZNS1_14partition_implILS8_4ELb0ES6_15HIP_vector_typeIjLj2EENS0_17counting_iteratorIjlEEPS9_SG_NS0_5tupleIJPjSI_NS0_16reverse_iteratorISI_EEEEENSH_IJSG_SG_SG_EEES9_SI_JZNS1_25segmented_radix_sort_implINS0_14default_configELb1EPK6__halfPSP_PKlPlN2at6native12_GLOBAL__N_18offset_tEEE10hipError_tPvRmT1_PNSt15iterator_traitsIS13_E10value_typeET2_T3_PNS14_IS19_E10value_typeET4_jRbjT5_S1F_jjP12ihipStream_tbEUljE_ZNSN_ISO_Lb1ESR_SS_SU_SV_SZ_EES10_S11_S12_S13_S17_S18_S19_S1C_S1D_jS1E_jS1F_S1F_jjS1H_bEUljE0_EEES10_S11_S12_S19_S1D_S1F_T6_T7_T9_mT8_S1H_bDpT10_ENKUlT_T0_E_clISt17integral_constantIbLb0EES1V_EEDaS1Q_S1R_EUlS1Q_E_NS1_11comp_targetILNS1_3genE0ELNS1_11target_archE4294967295ELNS1_3gpuE0ELNS1_3repE0EEENS1_30default_config_static_selectorELNS0_4arch9wavefront6targetE0EEEvS13_.has_dyn_sized_stack, 0
	.set _ZN7rocprim17ROCPRIM_400000_NS6detail17trampoline_kernelINS0_13select_configILj256ELj13ELNS0_17block_load_methodE3ELS4_3ELS4_3ELNS0_20block_scan_algorithmE0ELj4294967295EEENS1_25partition_config_selectorILNS1_17partition_subalgoE4EjNS0_10empty_typeEbEEZZNS1_14partition_implILS8_4ELb0ES6_15HIP_vector_typeIjLj2EENS0_17counting_iteratorIjlEEPS9_SG_NS0_5tupleIJPjSI_NS0_16reverse_iteratorISI_EEEEENSH_IJSG_SG_SG_EEES9_SI_JZNS1_25segmented_radix_sort_implINS0_14default_configELb1EPK6__halfPSP_PKlPlN2at6native12_GLOBAL__N_18offset_tEEE10hipError_tPvRmT1_PNSt15iterator_traitsIS13_E10value_typeET2_T3_PNS14_IS19_E10value_typeET4_jRbjT5_S1F_jjP12ihipStream_tbEUljE_ZNSN_ISO_Lb1ESR_SS_SU_SV_SZ_EES10_S11_S12_S13_S17_S18_S19_S1C_S1D_jS1E_jS1F_S1F_jjS1H_bEUljE0_EEES10_S11_S12_S19_S1D_S1F_T6_T7_T9_mT8_S1H_bDpT10_ENKUlT_T0_E_clISt17integral_constantIbLb0EES1V_EEDaS1Q_S1R_EUlS1Q_E_NS1_11comp_targetILNS1_3genE0ELNS1_11target_archE4294967295ELNS1_3gpuE0ELNS1_3repE0EEENS1_30default_config_static_selectorELNS0_4arch9wavefront6targetE0EEEvS13_.has_recursion, 0
	.set _ZN7rocprim17ROCPRIM_400000_NS6detail17trampoline_kernelINS0_13select_configILj256ELj13ELNS0_17block_load_methodE3ELS4_3ELS4_3ELNS0_20block_scan_algorithmE0ELj4294967295EEENS1_25partition_config_selectorILNS1_17partition_subalgoE4EjNS0_10empty_typeEbEEZZNS1_14partition_implILS8_4ELb0ES6_15HIP_vector_typeIjLj2EENS0_17counting_iteratorIjlEEPS9_SG_NS0_5tupleIJPjSI_NS0_16reverse_iteratorISI_EEEEENSH_IJSG_SG_SG_EEES9_SI_JZNS1_25segmented_radix_sort_implINS0_14default_configELb1EPK6__halfPSP_PKlPlN2at6native12_GLOBAL__N_18offset_tEEE10hipError_tPvRmT1_PNSt15iterator_traitsIS13_E10value_typeET2_T3_PNS14_IS19_E10value_typeET4_jRbjT5_S1F_jjP12ihipStream_tbEUljE_ZNSN_ISO_Lb1ESR_SS_SU_SV_SZ_EES10_S11_S12_S13_S17_S18_S19_S1C_S1D_jS1E_jS1F_S1F_jjS1H_bEUljE0_EEES10_S11_S12_S19_S1D_S1F_T6_T7_T9_mT8_S1H_bDpT10_ENKUlT_T0_E_clISt17integral_constantIbLb0EES1V_EEDaS1Q_S1R_EUlS1Q_E_NS1_11comp_targetILNS1_3genE0ELNS1_11target_archE4294967295ELNS1_3gpuE0ELNS1_3repE0EEENS1_30default_config_static_selectorELNS0_4arch9wavefront6targetE0EEEvS13_.has_indirect_call, 0
	.section	.AMDGPU.csdata,"",@progbits
; Kernel info:
; codeLenInByte = 0
; TotalNumSgprs: 0
; NumVgprs: 0
; ScratchSize: 0
; MemoryBound: 0
; FloatMode: 240
; IeeeMode: 1
; LDSByteSize: 0 bytes/workgroup (compile time only)
; SGPRBlocks: 0
; VGPRBlocks: 0
; NumSGPRsForWavesPerEU: 1
; NumVGPRsForWavesPerEU: 1
; Occupancy: 16
; WaveLimiterHint : 0
; COMPUTE_PGM_RSRC2:SCRATCH_EN: 0
; COMPUTE_PGM_RSRC2:USER_SGPR: 6
; COMPUTE_PGM_RSRC2:TRAP_HANDLER: 0
; COMPUTE_PGM_RSRC2:TGID_X_EN: 1
; COMPUTE_PGM_RSRC2:TGID_Y_EN: 0
; COMPUTE_PGM_RSRC2:TGID_Z_EN: 0
; COMPUTE_PGM_RSRC2:TIDIG_COMP_CNT: 0
	.section	.text._ZN7rocprim17ROCPRIM_400000_NS6detail17trampoline_kernelINS0_13select_configILj256ELj13ELNS0_17block_load_methodE3ELS4_3ELS4_3ELNS0_20block_scan_algorithmE0ELj4294967295EEENS1_25partition_config_selectorILNS1_17partition_subalgoE4EjNS0_10empty_typeEbEEZZNS1_14partition_implILS8_4ELb0ES6_15HIP_vector_typeIjLj2EENS0_17counting_iteratorIjlEEPS9_SG_NS0_5tupleIJPjSI_NS0_16reverse_iteratorISI_EEEEENSH_IJSG_SG_SG_EEES9_SI_JZNS1_25segmented_radix_sort_implINS0_14default_configELb1EPK6__halfPSP_PKlPlN2at6native12_GLOBAL__N_18offset_tEEE10hipError_tPvRmT1_PNSt15iterator_traitsIS13_E10value_typeET2_T3_PNS14_IS19_E10value_typeET4_jRbjT5_S1F_jjP12ihipStream_tbEUljE_ZNSN_ISO_Lb1ESR_SS_SU_SV_SZ_EES10_S11_S12_S13_S17_S18_S19_S1C_S1D_jS1E_jS1F_S1F_jjS1H_bEUljE0_EEES10_S11_S12_S19_S1D_S1F_T6_T7_T9_mT8_S1H_bDpT10_ENKUlT_T0_E_clISt17integral_constantIbLb0EES1V_EEDaS1Q_S1R_EUlS1Q_E_NS1_11comp_targetILNS1_3genE5ELNS1_11target_archE942ELNS1_3gpuE9ELNS1_3repE0EEENS1_30default_config_static_selectorELNS0_4arch9wavefront6targetE0EEEvS13_,"axG",@progbits,_ZN7rocprim17ROCPRIM_400000_NS6detail17trampoline_kernelINS0_13select_configILj256ELj13ELNS0_17block_load_methodE3ELS4_3ELS4_3ELNS0_20block_scan_algorithmE0ELj4294967295EEENS1_25partition_config_selectorILNS1_17partition_subalgoE4EjNS0_10empty_typeEbEEZZNS1_14partition_implILS8_4ELb0ES6_15HIP_vector_typeIjLj2EENS0_17counting_iteratorIjlEEPS9_SG_NS0_5tupleIJPjSI_NS0_16reverse_iteratorISI_EEEEENSH_IJSG_SG_SG_EEES9_SI_JZNS1_25segmented_radix_sort_implINS0_14default_configELb1EPK6__halfPSP_PKlPlN2at6native12_GLOBAL__N_18offset_tEEE10hipError_tPvRmT1_PNSt15iterator_traitsIS13_E10value_typeET2_T3_PNS14_IS19_E10value_typeET4_jRbjT5_S1F_jjP12ihipStream_tbEUljE_ZNSN_ISO_Lb1ESR_SS_SU_SV_SZ_EES10_S11_S12_S13_S17_S18_S19_S1C_S1D_jS1E_jS1F_S1F_jjS1H_bEUljE0_EEES10_S11_S12_S19_S1D_S1F_T6_T7_T9_mT8_S1H_bDpT10_ENKUlT_T0_E_clISt17integral_constantIbLb0EES1V_EEDaS1Q_S1R_EUlS1Q_E_NS1_11comp_targetILNS1_3genE5ELNS1_11target_archE942ELNS1_3gpuE9ELNS1_3repE0EEENS1_30default_config_static_selectorELNS0_4arch9wavefront6targetE0EEEvS13_,comdat
	.globl	_ZN7rocprim17ROCPRIM_400000_NS6detail17trampoline_kernelINS0_13select_configILj256ELj13ELNS0_17block_load_methodE3ELS4_3ELS4_3ELNS0_20block_scan_algorithmE0ELj4294967295EEENS1_25partition_config_selectorILNS1_17partition_subalgoE4EjNS0_10empty_typeEbEEZZNS1_14partition_implILS8_4ELb0ES6_15HIP_vector_typeIjLj2EENS0_17counting_iteratorIjlEEPS9_SG_NS0_5tupleIJPjSI_NS0_16reverse_iteratorISI_EEEEENSH_IJSG_SG_SG_EEES9_SI_JZNS1_25segmented_radix_sort_implINS0_14default_configELb1EPK6__halfPSP_PKlPlN2at6native12_GLOBAL__N_18offset_tEEE10hipError_tPvRmT1_PNSt15iterator_traitsIS13_E10value_typeET2_T3_PNS14_IS19_E10value_typeET4_jRbjT5_S1F_jjP12ihipStream_tbEUljE_ZNSN_ISO_Lb1ESR_SS_SU_SV_SZ_EES10_S11_S12_S13_S17_S18_S19_S1C_S1D_jS1E_jS1F_S1F_jjS1H_bEUljE0_EEES10_S11_S12_S19_S1D_S1F_T6_T7_T9_mT8_S1H_bDpT10_ENKUlT_T0_E_clISt17integral_constantIbLb0EES1V_EEDaS1Q_S1R_EUlS1Q_E_NS1_11comp_targetILNS1_3genE5ELNS1_11target_archE942ELNS1_3gpuE9ELNS1_3repE0EEENS1_30default_config_static_selectorELNS0_4arch9wavefront6targetE0EEEvS13_ ; -- Begin function _ZN7rocprim17ROCPRIM_400000_NS6detail17trampoline_kernelINS0_13select_configILj256ELj13ELNS0_17block_load_methodE3ELS4_3ELS4_3ELNS0_20block_scan_algorithmE0ELj4294967295EEENS1_25partition_config_selectorILNS1_17partition_subalgoE4EjNS0_10empty_typeEbEEZZNS1_14partition_implILS8_4ELb0ES6_15HIP_vector_typeIjLj2EENS0_17counting_iteratorIjlEEPS9_SG_NS0_5tupleIJPjSI_NS0_16reverse_iteratorISI_EEEEENSH_IJSG_SG_SG_EEES9_SI_JZNS1_25segmented_radix_sort_implINS0_14default_configELb1EPK6__halfPSP_PKlPlN2at6native12_GLOBAL__N_18offset_tEEE10hipError_tPvRmT1_PNSt15iterator_traitsIS13_E10value_typeET2_T3_PNS14_IS19_E10value_typeET4_jRbjT5_S1F_jjP12ihipStream_tbEUljE_ZNSN_ISO_Lb1ESR_SS_SU_SV_SZ_EES10_S11_S12_S13_S17_S18_S19_S1C_S1D_jS1E_jS1F_S1F_jjS1H_bEUljE0_EEES10_S11_S12_S19_S1D_S1F_T6_T7_T9_mT8_S1H_bDpT10_ENKUlT_T0_E_clISt17integral_constantIbLb0EES1V_EEDaS1Q_S1R_EUlS1Q_E_NS1_11comp_targetILNS1_3genE5ELNS1_11target_archE942ELNS1_3gpuE9ELNS1_3repE0EEENS1_30default_config_static_selectorELNS0_4arch9wavefront6targetE0EEEvS13_
	.p2align	8
	.type	_ZN7rocprim17ROCPRIM_400000_NS6detail17trampoline_kernelINS0_13select_configILj256ELj13ELNS0_17block_load_methodE3ELS4_3ELS4_3ELNS0_20block_scan_algorithmE0ELj4294967295EEENS1_25partition_config_selectorILNS1_17partition_subalgoE4EjNS0_10empty_typeEbEEZZNS1_14partition_implILS8_4ELb0ES6_15HIP_vector_typeIjLj2EENS0_17counting_iteratorIjlEEPS9_SG_NS0_5tupleIJPjSI_NS0_16reverse_iteratorISI_EEEEENSH_IJSG_SG_SG_EEES9_SI_JZNS1_25segmented_radix_sort_implINS0_14default_configELb1EPK6__halfPSP_PKlPlN2at6native12_GLOBAL__N_18offset_tEEE10hipError_tPvRmT1_PNSt15iterator_traitsIS13_E10value_typeET2_T3_PNS14_IS19_E10value_typeET4_jRbjT5_S1F_jjP12ihipStream_tbEUljE_ZNSN_ISO_Lb1ESR_SS_SU_SV_SZ_EES10_S11_S12_S13_S17_S18_S19_S1C_S1D_jS1E_jS1F_S1F_jjS1H_bEUljE0_EEES10_S11_S12_S19_S1D_S1F_T6_T7_T9_mT8_S1H_bDpT10_ENKUlT_T0_E_clISt17integral_constantIbLb0EES1V_EEDaS1Q_S1R_EUlS1Q_E_NS1_11comp_targetILNS1_3genE5ELNS1_11target_archE942ELNS1_3gpuE9ELNS1_3repE0EEENS1_30default_config_static_selectorELNS0_4arch9wavefront6targetE0EEEvS13_,@function
_ZN7rocprim17ROCPRIM_400000_NS6detail17trampoline_kernelINS0_13select_configILj256ELj13ELNS0_17block_load_methodE3ELS4_3ELS4_3ELNS0_20block_scan_algorithmE0ELj4294967295EEENS1_25partition_config_selectorILNS1_17partition_subalgoE4EjNS0_10empty_typeEbEEZZNS1_14partition_implILS8_4ELb0ES6_15HIP_vector_typeIjLj2EENS0_17counting_iteratorIjlEEPS9_SG_NS0_5tupleIJPjSI_NS0_16reverse_iteratorISI_EEEEENSH_IJSG_SG_SG_EEES9_SI_JZNS1_25segmented_radix_sort_implINS0_14default_configELb1EPK6__halfPSP_PKlPlN2at6native12_GLOBAL__N_18offset_tEEE10hipError_tPvRmT1_PNSt15iterator_traitsIS13_E10value_typeET2_T3_PNS14_IS19_E10value_typeET4_jRbjT5_S1F_jjP12ihipStream_tbEUljE_ZNSN_ISO_Lb1ESR_SS_SU_SV_SZ_EES10_S11_S12_S13_S17_S18_S19_S1C_S1D_jS1E_jS1F_S1F_jjS1H_bEUljE0_EEES10_S11_S12_S19_S1D_S1F_T6_T7_T9_mT8_S1H_bDpT10_ENKUlT_T0_E_clISt17integral_constantIbLb0EES1V_EEDaS1Q_S1R_EUlS1Q_E_NS1_11comp_targetILNS1_3genE5ELNS1_11target_archE942ELNS1_3gpuE9ELNS1_3repE0EEENS1_30default_config_static_selectorELNS0_4arch9wavefront6targetE0EEEvS13_: ; @_ZN7rocprim17ROCPRIM_400000_NS6detail17trampoline_kernelINS0_13select_configILj256ELj13ELNS0_17block_load_methodE3ELS4_3ELS4_3ELNS0_20block_scan_algorithmE0ELj4294967295EEENS1_25partition_config_selectorILNS1_17partition_subalgoE4EjNS0_10empty_typeEbEEZZNS1_14partition_implILS8_4ELb0ES6_15HIP_vector_typeIjLj2EENS0_17counting_iteratorIjlEEPS9_SG_NS0_5tupleIJPjSI_NS0_16reverse_iteratorISI_EEEEENSH_IJSG_SG_SG_EEES9_SI_JZNS1_25segmented_radix_sort_implINS0_14default_configELb1EPK6__halfPSP_PKlPlN2at6native12_GLOBAL__N_18offset_tEEE10hipError_tPvRmT1_PNSt15iterator_traitsIS13_E10value_typeET2_T3_PNS14_IS19_E10value_typeET4_jRbjT5_S1F_jjP12ihipStream_tbEUljE_ZNSN_ISO_Lb1ESR_SS_SU_SV_SZ_EES10_S11_S12_S13_S17_S18_S19_S1C_S1D_jS1E_jS1F_S1F_jjS1H_bEUljE0_EEES10_S11_S12_S19_S1D_S1F_T6_T7_T9_mT8_S1H_bDpT10_ENKUlT_T0_E_clISt17integral_constantIbLb0EES1V_EEDaS1Q_S1R_EUlS1Q_E_NS1_11comp_targetILNS1_3genE5ELNS1_11target_archE942ELNS1_3gpuE9ELNS1_3repE0EEENS1_30default_config_static_selectorELNS0_4arch9wavefront6targetE0EEEvS13_
; %bb.0:
	.section	.rodata,"a",@progbits
	.p2align	6, 0x0
	.amdhsa_kernel _ZN7rocprim17ROCPRIM_400000_NS6detail17trampoline_kernelINS0_13select_configILj256ELj13ELNS0_17block_load_methodE3ELS4_3ELS4_3ELNS0_20block_scan_algorithmE0ELj4294967295EEENS1_25partition_config_selectorILNS1_17partition_subalgoE4EjNS0_10empty_typeEbEEZZNS1_14partition_implILS8_4ELb0ES6_15HIP_vector_typeIjLj2EENS0_17counting_iteratorIjlEEPS9_SG_NS0_5tupleIJPjSI_NS0_16reverse_iteratorISI_EEEEENSH_IJSG_SG_SG_EEES9_SI_JZNS1_25segmented_radix_sort_implINS0_14default_configELb1EPK6__halfPSP_PKlPlN2at6native12_GLOBAL__N_18offset_tEEE10hipError_tPvRmT1_PNSt15iterator_traitsIS13_E10value_typeET2_T3_PNS14_IS19_E10value_typeET4_jRbjT5_S1F_jjP12ihipStream_tbEUljE_ZNSN_ISO_Lb1ESR_SS_SU_SV_SZ_EES10_S11_S12_S13_S17_S18_S19_S1C_S1D_jS1E_jS1F_S1F_jjS1H_bEUljE0_EEES10_S11_S12_S19_S1D_S1F_T6_T7_T9_mT8_S1H_bDpT10_ENKUlT_T0_E_clISt17integral_constantIbLb0EES1V_EEDaS1Q_S1R_EUlS1Q_E_NS1_11comp_targetILNS1_3genE5ELNS1_11target_archE942ELNS1_3gpuE9ELNS1_3repE0EEENS1_30default_config_static_selectorELNS0_4arch9wavefront6targetE0EEEvS13_
		.amdhsa_group_segment_fixed_size 0
		.amdhsa_private_segment_fixed_size 0
		.amdhsa_kernarg_size 176
		.amdhsa_user_sgpr_count 6
		.amdhsa_user_sgpr_private_segment_buffer 1
		.amdhsa_user_sgpr_dispatch_ptr 0
		.amdhsa_user_sgpr_queue_ptr 0
		.amdhsa_user_sgpr_kernarg_segment_ptr 1
		.amdhsa_user_sgpr_dispatch_id 0
		.amdhsa_user_sgpr_flat_scratch_init 0
		.amdhsa_user_sgpr_private_segment_size 0
		.amdhsa_wavefront_size32 1
		.amdhsa_uses_dynamic_stack 0
		.amdhsa_system_sgpr_private_segment_wavefront_offset 0
		.amdhsa_system_sgpr_workgroup_id_x 1
		.amdhsa_system_sgpr_workgroup_id_y 0
		.amdhsa_system_sgpr_workgroup_id_z 0
		.amdhsa_system_sgpr_workgroup_info 0
		.amdhsa_system_vgpr_workitem_id 0
		.amdhsa_next_free_vgpr 1
		.amdhsa_next_free_sgpr 1
		.amdhsa_reserve_vcc 0
		.amdhsa_reserve_flat_scratch 0
		.amdhsa_float_round_mode_32 0
		.amdhsa_float_round_mode_16_64 0
		.amdhsa_float_denorm_mode_32 3
		.amdhsa_float_denorm_mode_16_64 3
		.amdhsa_dx10_clamp 1
		.amdhsa_ieee_mode 1
		.amdhsa_fp16_overflow 0
		.amdhsa_workgroup_processor_mode 1
		.amdhsa_memory_ordered 1
		.amdhsa_forward_progress 1
		.amdhsa_shared_vgpr_count 0
		.amdhsa_exception_fp_ieee_invalid_op 0
		.amdhsa_exception_fp_denorm_src 0
		.amdhsa_exception_fp_ieee_div_zero 0
		.amdhsa_exception_fp_ieee_overflow 0
		.amdhsa_exception_fp_ieee_underflow 0
		.amdhsa_exception_fp_ieee_inexact 0
		.amdhsa_exception_int_div_zero 0
	.end_amdhsa_kernel
	.section	.text._ZN7rocprim17ROCPRIM_400000_NS6detail17trampoline_kernelINS0_13select_configILj256ELj13ELNS0_17block_load_methodE3ELS4_3ELS4_3ELNS0_20block_scan_algorithmE0ELj4294967295EEENS1_25partition_config_selectorILNS1_17partition_subalgoE4EjNS0_10empty_typeEbEEZZNS1_14partition_implILS8_4ELb0ES6_15HIP_vector_typeIjLj2EENS0_17counting_iteratorIjlEEPS9_SG_NS0_5tupleIJPjSI_NS0_16reverse_iteratorISI_EEEEENSH_IJSG_SG_SG_EEES9_SI_JZNS1_25segmented_radix_sort_implINS0_14default_configELb1EPK6__halfPSP_PKlPlN2at6native12_GLOBAL__N_18offset_tEEE10hipError_tPvRmT1_PNSt15iterator_traitsIS13_E10value_typeET2_T3_PNS14_IS19_E10value_typeET4_jRbjT5_S1F_jjP12ihipStream_tbEUljE_ZNSN_ISO_Lb1ESR_SS_SU_SV_SZ_EES10_S11_S12_S13_S17_S18_S19_S1C_S1D_jS1E_jS1F_S1F_jjS1H_bEUljE0_EEES10_S11_S12_S19_S1D_S1F_T6_T7_T9_mT8_S1H_bDpT10_ENKUlT_T0_E_clISt17integral_constantIbLb0EES1V_EEDaS1Q_S1R_EUlS1Q_E_NS1_11comp_targetILNS1_3genE5ELNS1_11target_archE942ELNS1_3gpuE9ELNS1_3repE0EEENS1_30default_config_static_selectorELNS0_4arch9wavefront6targetE0EEEvS13_,"axG",@progbits,_ZN7rocprim17ROCPRIM_400000_NS6detail17trampoline_kernelINS0_13select_configILj256ELj13ELNS0_17block_load_methodE3ELS4_3ELS4_3ELNS0_20block_scan_algorithmE0ELj4294967295EEENS1_25partition_config_selectorILNS1_17partition_subalgoE4EjNS0_10empty_typeEbEEZZNS1_14partition_implILS8_4ELb0ES6_15HIP_vector_typeIjLj2EENS0_17counting_iteratorIjlEEPS9_SG_NS0_5tupleIJPjSI_NS0_16reverse_iteratorISI_EEEEENSH_IJSG_SG_SG_EEES9_SI_JZNS1_25segmented_radix_sort_implINS0_14default_configELb1EPK6__halfPSP_PKlPlN2at6native12_GLOBAL__N_18offset_tEEE10hipError_tPvRmT1_PNSt15iterator_traitsIS13_E10value_typeET2_T3_PNS14_IS19_E10value_typeET4_jRbjT5_S1F_jjP12ihipStream_tbEUljE_ZNSN_ISO_Lb1ESR_SS_SU_SV_SZ_EES10_S11_S12_S13_S17_S18_S19_S1C_S1D_jS1E_jS1F_S1F_jjS1H_bEUljE0_EEES10_S11_S12_S19_S1D_S1F_T6_T7_T9_mT8_S1H_bDpT10_ENKUlT_T0_E_clISt17integral_constantIbLb0EES1V_EEDaS1Q_S1R_EUlS1Q_E_NS1_11comp_targetILNS1_3genE5ELNS1_11target_archE942ELNS1_3gpuE9ELNS1_3repE0EEENS1_30default_config_static_selectorELNS0_4arch9wavefront6targetE0EEEvS13_,comdat
.Lfunc_end1666:
	.size	_ZN7rocprim17ROCPRIM_400000_NS6detail17trampoline_kernelINS0_13select_configILj256ELj13ELNS0_17block_load_methodE3ELS4_3ELS4_3ELNS0_20block_scan_algorithmE0ELj4294967295EEENS1_25partition_config_selectorILNS1_17partition_subalgoE4EjNS0_10empty_typeEbEEZZNS1_14partition_implILS8_4ELb0ES6_15HIP_vector_typeIjLj2EENS0_17counting_iteratorIjlEEPS9_SG_NS0_5tupleIJPjSI_NS0_16reverse_iteratorISI_EEEEENSH_IJSG_SG_SG_EEES9_SI_JZNS1_25segmented_radix_sort_implINS0_14default_configELb1EPK6__halfPSP_PKlPlN2at6native12_GLOBAL__N_18offset_tEEE10hipError_tPvRmT1_PNSt15iterator_traitsIS13_E10value_typeET2_T3_PNS14_IS19_E10value_typeET4_jRbjT5_S1F_jjP12ihipStream_tbEUljE_ZNSN_ISO_Lb1ESR_SS_SU_SV_SZ_EES10_S11_S12_S13_S17_S18_S19_S1C_S1D_jS1E_jS1F_S1F_jjS1H_bEUljE0_EEES10_S11_S12_S19_S1D_S1F_T6_T7_T9_mT8_S1H_bDpT10_ENKUlT_T0_E_clISt17integral_constantIbLb0EES1V_EEDaS1Q_S1R_EUlS1Q_E_NS1_11comp_targetILNS1_3genE5ELNS1_11target_archE942ELNS1_3gpuE9ELNS1_3repE0EEENS1_30default_config_static_selectorELNS0_4arch9wavefront6targetE0EEEvS13_, .Lfunc_end1666-_ZN7rocprim17ROCPRIM_400000_NS6detail17trampoline_kernelINS0_13select_configILj256ELj13ELNS0_17block_load_methodE3ELS4_3ELS4_3ELNS0_20block_scan_algorithmE0ELj4294967295EEENS1_25partition_config_selectorILNS1_17partition_subalgoE4EjNS0_10empty_typeEbEEZZNS1_14partition_implILS8_4ELb0ES6_15HIP_vector_typeIjLj2EENS0_17counting_iteratorIjlEEPS9_SG_NS0_5tupleIJPjSI_NS0_16reverse_iteratorISI_EEEEENSH_IJSG_SG_SG_EEES9_SI_JZNS1_25segmented_radix_sort_implINS0_14default_configELb1EPK6__halfPSP_PKlPlN2at6native12_GLOBAL__N_18offset_tEEE10hipError_tPvRmT1_PNSt15iterator_traitsIS13_E10value_typeET2_T3_PNS14_IS19_E10value_typeET4_jRbjT5_S1F_jjP12ihipStream_tbEUljE_ZNSN_ISO_Lb1ESR_SS_SU_SV_SZ_EES10_S11_S12_S13_S17_S18_S19_S1C_S1D_jS1E_jS1F_S1F_jjS1H_bEUljE0_EEES10_S11_S12_S19_S1D_S1F_T6_T7_T9_mT8_S1H_bDpT10_ENKUlT_T0_E_clISt17integral_constantIbLb0EES1V_EEDaS1Q_S1R_EUlS1Q_E_NS1_11comp_targetILNS1_3genE5ELNS1_11target_archE942ELNS1_3gpuE9ELNS1_3repE0EEENS1_30default_config_static_selectorELNS0_4arch9wavefront6targetE0EEEvS13_
                                        ; -- End function
	.set _ZN7rocprim17ROCPRIM_400000_NS6detail17trampoline_kernelINS0_13select_configILj256ELj13ELNS0_17block_load_methodE3ELS4_3ELS4_3ELNS0_20block_scan_algorithmE0ELj4294967295EEENS1_25partition_config_selectorILNS1_17partition_subalgoE4EjNS0_10empty_typeEbEEZZNS1_14partition_implILS8_4ELb0ES6_15HIP_vector_typeIjLj2EENS0_17counting_iteratorIjlEEPS9_SG_NS0_5tupleIJPjSI_NS0_16reverse_iteratorISI_EEEEENSH_IJSG_SG_SG_EEES9_SI_JZNS1_25segmented_radix_sort_implINS0_14default_configELb1EPK6__halfPSP_PKlPlN2at6native12_GLOBAL__N_18offset_tEEE10hipError_tPvRmT1_PNSt15iterator_traitsIS13_E10value_typeET2_T3_PNS14_IS19_E10value_typeET4_jRbjT5_S1F_jjP12ihipStream_tbEUljE_ZNSN_ISO_Lb1ESR_SS_SU_SV_SZ_EES10_S11_S12_S13_S17_S18_S19_S1C_S1D_jS1E_jS1F_S1F_jjS1H_bEUljE0_EEES10_S11_S12_S19_S1D_S1F_T6_T7_T9_mT8_S1H_bDpT10_ENKUlT_T0_E_clISt17integral_constantIbLb0EES1V_EEDaS1Q_S1R_EUlS1Q_E_NS1_11comp_targetILNS1_3genE5ELNS1_11target_archE942ELNS1_3gpuE9ELNS1_3repE0EEENS1_30default_config_static_selectorELNS0_4arch9wavefront6targetE0EEEvS13_.num_vgpr, 0
	.set _ZN7rocprim17ROCPRIM_400000_NS6detail17trampoline_kernelINS0_13select_configILj256ELj13ELNS0_17block_load_methodE3ELS4_3ELS4_3ELNS0_20block_scan_algorithmE0ELj4294967295EEENS1_25partition_config_selectorILNS1_17partition_subalgoE4EjNS0_10empty_typeEbEEZZNS1_14partition_implILS8_4ELb0ES6_15HIP_vector_typeIjLj2EENS0_17counting_iteratorIjlEEPS9_SG_NS0_5tupleIJPjSI_NS0_16reverse_iteratorISI_EEEEENSH_IJSG_SG_SG_EEES9_SI_JZNS1_25segmented_radix_sort_implINS0_14default_configELb1EPK6__halfPSP_PKlPlN2at6native12_GLOBAL__N_18offset_tEEE10hipError_tPvRmT1_PNSt15iterator_traitsIS13_E10value_typeET2_T3_PNS14_IS19_E10value_typeET4_jRbjT5_S1F_jjP12ihipStream_tbEUljE_ZNSN_ISO_Lb1ESR_SS_SU_SV_SZ_EES10_S11_S12_S13_S17_S18_S19_S1C_S1D_jS1E_jS1F_S1F_jjS1H_bEUljE0_EEES10_S11_S12_S19_S1D_S1F_T6_T7_T9_mT8_S1H_bDpT10_ENKUlT_T0_E_clISt17integral_constantIbLb0EES1V_EEDaS1Q_S1R_EUlS1Q_E_NS1_11comp_targetILNS1_3genE5ELNS1_11target_archE942ELNS1_3gpuE9ELNS1_3repE0EEENS1_30default_config_static_selectorELNS0_4arch9wavefront6targetE0EEEvS13_.num_agpr, 0
	.set _ZN7rocprim17ROCPRIM_400000_NS6detail17trampoline_kernelINS0_13select_configILj256ELj13ELNS0_17block_load_methodE3ELS4_3ELS4_3ELNS0_20block_scan_algorithmE0ELj4294967295EEENS1_25partition_config_selectorILNS1_17partition_subalgoE4EjNS0_10empty_typeEbEEZZNS1_14partition_implILS8_4ELb0ES6_15HIP_vector_typeIjLj2EENS0_17counting_iteratorIjlEEPS9_SG_NS0_5tupleIJPjSI_NS0_16reverse_iteratorISI_EEEEENSH_IJSG_SG_SG_EEES9_SI_JZNS1_25segmented_radix_sort_implINS0_14default_configELb1EPK6__halfPSP_PKlPlN2at6native12_GLOBAL__N_18offset_tEEE10hipError_tPvRmT1_PNSt15iterator_traitsIS13_E10value_typeET2_T3_PNS14_IS19_E10value_typeET4_jRbjT5_S1F_jjP12ihipStream_tbEUljE_ZNSN_ISO_Lb1ESR_SS_SU_SV_SZ_EES10_S11_S12_S13_S17_S18_S19_S1C_S1D_jS1E_jS1F_S1F_jjS1H_bEUljE0_EEES10_S11_S12_S19_S1D_S1F_T6_T7_T9_mT8_S1H_bDpT10_ENKUlT_T0_E_clISt17integral_constantIbLb0EES1V_EEDaS1Q_S1R_EUlS1Q_E_NS1_11comp_targetILNS1_3genE5ELNS1_11target_archE942ELNS1_3gpuE9ELNS1_3repE0EEENS1_30default_config_static_selectorELNS0_4arch9wavefront6targetE0EEEvS13_.numbered_sgpr, 0
	.set _ZN7rocprim17ROCPRIM_400000_NS6detail17trampoline_kernelINS0_13select_configILj256ELj13ELNS0_17block_load_methodE3ELS4_3ELS4_3ELNS0_20block_scan_algorithmE0ELj4294967295EEENS1_25partition_config_selectorILNS1_17partition_subalgoE4EjNS0_10empty_typeEbEEZZNS1_14partition_implILS8_4ELb0ES6_15HIP_vector_typeIjLj2EENS0_17counting_iteratorIjlEEPS9_SG_NS0_5tupleIJPjSI_NS0_16reverse_iteratorISI_EEEEENSH_IJSG_SG_SG_EEES9_SI_JZNS1_25segmented_radix_sort_implINS0_14default_configELb1EPK6__halfPSP_PKlPlN2at6native12_GLOBAL__N_18offset_tEEE10hipError_tPvRmT1_PNSt15iterator_traitsIS13_E10value_typeET2_T3_PNS14_IS19_E10value_typeET4_jRbjT5_S1F_jjP12ihipStream_tbEUljE_ZNSN_ISO_Lb1ESR_SS_SU_SV_SZ_EES10_S11_S12_S13_S17_S18_S19_S1C_S1D_jS1E_jS1F_S1F_jjS1H_bEUljE0_EEES10_S11_S12_S19_S1D_S1F_T6_T7_T9_mT8_S1H_bDpT10_ENKUlT_T0_E_clISt17integral_constantIbLb0EES1V_EEDaS1Q_S1R_EUlS1Q_E_NS1_11comp_targetILNS1_3genE5ELNS1_11target_archE942ELNS1_3gpuE9ELNS1_3repE0EEENS1_30default_config_static_selectorELNS0_4arch9wavefront6targetE0EEEvS13_.num_named_barrier, 0
	.set _ZN7rocprim17ROCPRIM_400000_NS6detail17trampoline_kernelINS0_13select_configILj256ELj13ELNS0_17block_load_methodE3ELS4_3ELS4_3ELNS0_20block_scan_algorithmE0ELj4294967295EEENS1_25partition_config_selectorILNS1_17partition_subalgoE4EjNS0_10empty_typeEbEEZZNS1_14partition_implILS8_4ELb0ES6_15HIP_vector_typeIjLj2EENS0_17counting_iteratorIjlEEPS9_SG_NS0_5tupleIJPjSI_NS0_16reverse_iteratorISI_EEEEENSH_IJSG_SG_SG_EEES9_SI_JZNS1_25segmented_radix_sort_implINS0_14default_configELb1EPK6__halfPSP_PKlPlN2at6native12_GLOBAL__N_18offset_tEEE10hipError_tPvRmT1_PNSt15iterator_traitsIS13_E10value_typeET2_T3_PNS14_IS19_E10value_typeET4_jRbjT5_S1F_jjP12ihipStream_tbEUljE_ZNSN_ISO_Lb1ESR_SS_SU_SV_SZ_EES10_S11_S12_S13_S17_S18_S19_S1C_S1D_jS1E_jS1F_S1F_jjS1H_bEUljE0_EEES10_S11_S12_S19_S1D_S1F_T6_T7_T9_mT8_S1H_bDpT10_ENKUlT_T0_E_clISt17integral_constantIbLb0EES1V_EEDaS1Q_S1R_EUlS1Q_E_NS1_11comp_targetILNS1_3genE5ELNS1_11target_archE942ELNS1_3gpuE9ELNS1_3repE0EEENS1_30default_config_static_selectorELNS0_4arch9wavefront6targetE0EEEvS13_.private_seg_size, 0
	.set _ZN7rocprim17ROCPRIM_400000_NS6detail17trampoline_kernelINS0_13select_configILj256ELj13ELNS0_17block_load_methodE3ELS4_3ELS4_3ELNS0_20block_scan_algorithmE0ELj4294967295EEENS1_25partition_config_selectorILNS1_17partition_subalgoE4EjNS0_10empty_typeEbEEZZNS1_14partition_implILS8_4ELb0ES6_15HIP_vector_typeIjLj2EENS0_17counting_iteratorIjlEEPS9_SG_NS0_5tupleIJPjSI_NS0_16reverse_iteratorISI_EEEEENSH_IJSG_SG_SG_EEES9_SI_JZNS1_25segmented_radix_sort_implINS0_14default_configELb1EPK6__halfPSP_PKlPlN2at6native12_GLOBAL__N_18offset_tEEE10hipError_tPvRmT1_PNSt15iterator_traitsIS13_E10value_typeET2_T3_PNS14_IS19_E10value_typeET4_jRbjT5_S1F_jjP12ihipStream_tbEUljE_ZNSN_ISO_Lb1ESR_SS_SU_SV_SZ_EES10_S11_S12_S13_S17_S18_S19_S1C_S1D_jS1E_jS1F_S1F_jjS1H_bEUljE0_EEES10_S11_S12_S19_S1D_S1F_T6_T7_T9_mT8_S1H_bDpT10_ENKUlT_T0_E_clISt17integral_constantIbLb0EES1V_EEDaS1Q_S1R_EUlS1Q_E_NS1_11comp_targetILNS1_3genE5ELNS1_11target_archE942ELNS1_3gpuE9ELNS1_3repE0EEENS1_30default_config_static_selectorELNS0_4arch9wavefront6targetE0EEEvS13_.uses_vcc, 0
	.set _ZN7rocprim17ROCPRIM_400000_NS6detail17trampoline_kernelINS0_13select_configILj256ELj13ELNS0_17block_load_methodE3ELS4_3ELS4_3ELNS0_20block_scan_algorithmE0ELj4294967295EEENS1_25partition_config_selectorILNS1_17partition_subalgoE4EjNS0_10empty_typeEbEEZZNS1_14partition_implILS8_4ELb0ES6_15HIP_vector_typeIjLj2EENS0_17counting_iteratorIjlEEPS9_SG_NS0_5tupleIJPjSI_NS0_16reverse_iteratorISI_EEEEENSH_IJSG_SG_SG_EEES9_SI_JZNS1_25segmented_radix_sort_implINS0_14default_configELb1EPK6__halfPSP_PKlPlN2at6native12_GLOBAL__N_18offset_tEEE10hipError_tPvRmT1_PNSt15iterator_traitsIS13_E10value_typeET2_T3_PNS14_IS19_E10value_typeET4_jRbjT5_S1F_jjP12ihipStream_tbEUljE_ZNSN_ISO_Lb1ESR_SS_SU_SV_SZ_EES10_S11_S12_S13_S17_S18_S19_S1C_S1D_jS1E_jS1F_S1F_jjS1H_bEUljE0_EEES10_S11_S12_S19_S1D_S1F_T6_T7_T9_mT8_S1H_bDpT10_ENKUlT_T0_E_clISt17integral_constantIbLb0EES1V_EEDaS1Q_S1R_EUlS1Q_E_NS1_11comp_targetILNS1_3genE5ELNS1_11target_archE942ELNS1_3gpuE9ELNS1_3repE0EEENS1_30default_config_static_selectorELNS0_4arch9wavefront6targetE0EEEvS13_.uses_flat_scratch, 0
	.set _ZN7rocprim17ROCPRIM_400000_NS6detail17trampoline_kernelINS0_13select_configILj256ELj13ELNS0_17block_load_methodE3ELS4_3ELS4_3ELNS0_20block_scan_algorithmE0ELj4294967295EEENS1_25partition_config_selectorILNS1_17partition_subalgoE4EjNS0_10empty_typeEbEEZZNS1_14partition_implILS8_4ELb0ES6_15HIP_vector_typeIjLj2EENS0_17counting_iteratorIjlEEPS9_SG_NS0_5tupleIJPjSI_NS0_16reverse_iteratorISI_EEEEENSH_IJSG_SG_SG_EEES9_SI_JZNS1_25segmented_radix_sort_implINS0_14default_configELb1EPK6__halfPSP_PKlPlN2at6native12_GLOBAL__N_18offset_tEEE10hipError_tPvRmT1_PNSt15iterator_traitsIS13_E10value_typeET2_T3_PNS14_IS19_E10value_typeET4_jRbjT5_S1F_jjP12ihipStream_tbEUljE_ZNSN_ISO_Lb1ESR_SS_SU_SV_SZ_EES10_S11_S12_S13_S17_S18_S19_S1C_S1D_jS1E_jS1F_S1F_jjS1H_bEUljE0_EEES10_S11_S12_S19_S1D_S1F_T6_T7_T9_mT8_S1H_bDpT10_ENKUlT_T0_E_clISt17integral_constantIbLb0EES1V_EEDaS1Q_S1R_EUlS1Q_E_NS1_11comp_targetILNS1_3genE5ELNS1_11target_archE942ELNS1_3gpuE9ELNS1_3repE0EEENS1_30default_config_static_selectorELNS0_4arch9wavefront6targetE0EEEvS13_.has_dyn_sized_stack, 0
	.set _ZN7rocprim17ROCPRIM_400000_NS6detail17trampoline_kernelINS0_13select_configILj256ELj13ELNS0_17block_load_methodE3ELS4_3ELS4_3ELNS0_20block_scan_algorithmE0ELj4294967295EEENS1_25partition_config_selectorILNS1_17partition_subalgoE4EjNS0_10empty_typeEbEEZZNS1_14partition_implILS8_4ELb0ES6_15HIP_vector_typeIjLj2EENS0_17counting_iteratorIjlEEPS9_SG_NS0_5tupleIJPjSI_NS0_16reverse_iteratorISI_EEEEENSH_IJSG_SG_SG_EEES9_SI_JZNS1_25segmented_radix_sort_implINS0_14default_configELb1EPK6__halfPSP_PKlPlN2at6native12_GLOBAL__N_18offset_tEEE10hipError_tPvRmT1_PNSt15iterator_traitsIS13_E10value_typeET2_T3_PNS14_IS19_E10value_typeET4_jRbjT5_S1F_jjP12ihipStream_tbEUljE_ZNSN_ISO_Lb1ESR_SS_SU_SV_SZ_EES10_S11_S12_S13_S17_S18_S19_S1C_S1D_jS1E_jS1F_S1F_jjS1H_bEUljE0_EEES10_S11_S12_S19_S1D_S1F_T6_T7_T9_mT8_S1H_bDpT10_ENKUlT_T0_E_clISt17integral_constantIbLb0EES1V_EEDaS1Q_S1R_EUlS1Q_E_NS1_11comp_targetILNS1_3genE5ELNS1_11target_archE942ELNS1_3gpuE9ELNS1_3repE0EEENS1_30default_config_static_selectorELNS0_4arch9wavefront6targetE0EEEvS13_.has_recursion, 0
	.set _ZN7rocprim17ROCPRIM_400000_NS6detail17trampoline_kernelINS0_13select_configILj256ELj13ELNS0_17block_load_methodE3ELS4_3ELS4_3ELNS0_20block_scan_algorithmE0ELj4294967295EEENS1_25partition_config_selectorILNS1_17partition_subalgoE4EjNS0_10empty_typeEbEEZZNS1_14partition_implILS8_4ELb0ES6_15HIP_vector_typeIjLj2EENS0_17counting_iteratorIjlEEPS9_SG_NS0_5tupleIJPjSI_NS0_16reverse_iteratorISI_EEEEENSH_IJSG_SG_SG_EEES9_SI_JZNS1_25segmented_radix_sort_implINS0_14default_configELb1EPK6__halfPSP_PKlPlN2at6native12_GLOBAL__N_18offset_tEEE10hipError_tPvRmT1_PNSt15iterator_traitsIS13_E10value_typeET2_T3_PNS14_IS19_E10value_typeET4_jRbjT5_S1F_jjP12ihipStream_tbEUljE_ZNSN_ISO_Lb1ESR_SS_SU_SV_SZ_EES10_S11_S12_S13_S17_S18_S19_S1C_S1D_jS1E_jS1F_S1F_jjS1H_bEUljE0_EEES10_S11_S12_S19_S1D_S1F_T6_T7_T9_mT8_S1H_bDpT10_ENKUlT_T0_E_clISt17integral_constantIbLb0EES1V_EEDaS1Q_S1R_EUlS1Q_E_NS1_11comp_targetILNS1_3genE5ELNS1_11target_archE942ELNS1_3gpuE9ELNS1_3repE0EEENS1_30default_config_static_selectorELNS0_4arch9wavefront6targetE0EEEvS13_.has_indirect_call, 0
	.section	.AMDGPU.csdata,"",@progbits
; Kernel info:
; codeLenInByte = 0
; TotalNumSgprs: 0
; NumVgprs: 0
; ScratchSize: 0
; MemoryBound: 0
; FloatMode: 240
; IeeeMode: 1
; LDSByteSize: 0 bytes/workgroup (compile time only)
; SGPRBlocks: 0
; VGPRBlocks: 0
; NumSGPRsForWavesPerEU: 1
; NumVGPRsForWavesPerEU: 1
; Occupancy: 16
; WaveLimiterHint : 0
; COMPUTE_PGM_RSRC2:SCRATCH_EN: 0
; COMPUTE_PGM_RSRC2:USER_SGPR: 6
; COMPUTE_PGM_RSRC2:TRAP_HANDLER: 0
; COMPUTE_PGM_RSRC2:TGID_X_EN: 1
; COMPUTE_PGM_RSRC2:TGID_Y_EN: 0
; COMPUTE_PGM_RSRC2:TGID_Z_EN: 0
; COMPUTE_PGM_RSRC2:TIDIG_COMP_CNT: 0
	.section	.text._ZN7rocprim17ROCPRIM_400000_NS6detail17trampoline_kernelINS0_13select_configILj256ELj13ELNS0_17block_load_methodE3ELS4_3ELS4_3ELNS0_20block_scan_algorithmE0ELj4294967295EEENS1_25partition_config_selectorILNS1_17partition_subalgoE4EjNS0_10empty_typeEbEEZZNS1_14partition_implILS8_4ELb0ES6_15HIP_vector_typeIjLj2EENS0_17counting_iteratorIjlEEPS9_SG_NS0_5tupleIJPjSI_NS0_16reverse_iteratorISI_EEEEENSH_IJSG_SG_SG_EEES9_SI_JZNS1_25segmented_radix_sort_implINS0_14default_configELb1EPK6__halfPSP_PKlPlN2at6native12_GLOBAL__N_18offset_tEEE10hipError_tPvRmT1_PNSt15iterator_traitsIS13_E10value_typeET2_T3_PNS14_IS19_E10value_typeET4_jRbjT5_S1F_jjP12ihipStream_tbEUljE_ZNSN_ISO_Lb1ESR_SS_SU_SV_SZ_EES10_S11_S12_S13_S17_S18_S19_S1C_S1D_jS1E_jS1F_S1F_jjS1H_bEUljE0_EEES10_S11_S12_S19_S1D_S1F_T6_T7_T9_mT8_S1H_bDpT10_ENKUlT_T0_E_clISt17integral_constantIbLb0EES1V_EEDaS1Q_S1R_EUlS1Q_E_NS1_11comp_targetILNS1_3genE4ELNS1_11target_archE910ELNS1_3gpuE8ELNS1_3repE0EEENS1_30default_config_static_selectorELNS0_4arch9wavefront6targetE0EEEvS13_,"axG",@progbits,_ZN7rocprim17ROCPRIM_400000_NS6detail17trampoline_kernelINS0_13select_configILj256ELj13ELNS0_17block_load_methodE3ELS4_3ELS4_3ELNS0_20block_scan_algorithmE0ELj4294967295EEENS1_25partition_config_selectorILNS1_17partition_subalgoE4EjNS0_10empty_typeEbEEZZNS1_14partition_implILS8_4ELb0ES6_15HIP_vector_typeIjLj2EENS0_17counting_iteratorIjlEEPS9_SG_NS0_5tupleIJPjSI_NS0_16reverse_iteratorISI_EEEEENSH_IJSG_SG_SG_EEES9_SI_JZNS1_25segmented_radix_sort_implINS0_14default_configELb1EPK6__halfPSP_PKlPlN2at6native12_GLOBAL__N_18offset_tEEE10hipError_tPvRmT1_PNSt15iterator_traitsIS13_E10value_typeET2_T3_PNS14_IS19_E10value_typeET4_jRbjT5_S1F_jjP12ihipStream_tbEUljE_ZNSN_ISO_Lb1ESR_SS_SU_SV_SZ_EES10_S11_S12_S13_S17_S18_S19_S1C_S1D_jS1E_jS1F_S1F_jjS1H_bEUljE0_EEES10_S11_S12_S19_S1D_S1F_T6_T7_T9_mT8_S1H_bDpT10_ENKUlT_T0_E_clISt17integral_constantIbLb0EES1V_EEDaS1Q_S1R_EUlS1Q_E_NS1_11comp_targetILNS1_3genE4ELNS1_11target_archE910ELNS1_3gpuE8ELNS1_3repE0EEENS1_30default_config_static_selectorELNS0_4arch9wavefront6targetE0EEEvS13_,comdat
	.globl	_ZN7rocprim17ROCPRIM_400000_NS6detail17trampoline_kernelINS0_13select_configILj256ELj13ELNS0_17block_load_methodE3ELS4_3ELS4_3ELNS0_20block_scan_algorithmE0ELj4294967295EEENS1_25partition_config_selectorILNS1_17partition_subalgoE4EjNS0_10empty_typeEbEEZZNS1_14partition_implILS8_4ELb0ES6_15HIP_vector_typeIjLj2EENS0_17counting_iteratorIjlEEPS9_SG_NS0_5tupleIJPjSI_NS0_16reverse_iteratorISI_EEEEENSH_IJSG_SG_SG_EEES9_SI_JZNS1_25segmented_radix_sort_implINS0_14default_configELb1EPK6__halfPSP_PKlPlN2at6native12_GLOBAL__N_18offset_tEEE10hipError_tPvRmT1_PNSt15iterator_traitsIS13_E10value_typeET2_T3_PNS14_IS19_E10value_typeET4_jRbjT5_S1F_jjP12ihipStream_tbEUljE_ZNSN_ISO_Lb1ESR_SS_SU_SV_SZ_EES10_S11_S12_S13_S17_S18_S19_S1C_S1D_jS1E_jS1F_S1F_jjS1H_bEUljE0_EEES10_S11_S12_S19_S1D_S1F_T6_T7_T9_mT8_S1H_bDpT10_ENKUlT_T0_E_clISt17integral_constantIbLb0EES1V_EEDaS1Q_S1R_EUlS1Q_E_NS1_11comp_targetILNS1_3genE4ELNS1_11target_archE910ELNS1_3gpuE8ELNS1_3repE0EEENS1_30default_config_static_selectorELNS0_4arch9wavefront6targetE0EEEvS13_ ; -- Begin function _ZN7rocprim17ROCPRIM_400000_NS6detail17trampoline_kernelINS0_13select_configILj256ELj13ELNS0_17block_load_methodE3ELS4_3ELS4_3ELNS0_20block_scan_algorithmE0ELj4294967295EEENS1_25partition_config_selectorILNS1_17partition_subalgoE4EjNS0_10empty_typeEbEEZZNS1_14partition_implILS8_4ELb0ES6_15HIP_vector_typeIjLj2EENS0_17counting_iteratorIjlEEPS9_SG_NS0_5tupleIJPjSI_NS0_16reverse_iteratorISI_EEEEENSH_IJSG_SG_SG_EEES9_SI_JZNS1_25segmented_radix_sort_implINS0_14default_configELb1EPK6__halfPSP_PKlPlN2at6native12_GLOBAL__N_18offset_tEEE10hipError_tPvRmT1_PNSt15iterator_traitsIS13_E10value_typeET2_T3_PNS14_IS19_E10value_typeET4_jRbjT5_S1F_jjP12ihipStream_tbEUljE_ZNSN_ISO_Lb1ESR_SS_SU_SV_SZ_EES10_S11_S12_S13_S17_S18_S19_S1C_S1D_jS1E_jS1F_S1F_jjS1H_bEUljE0_EEES10_S11_S12_S19_S1D_S1F_T6_T7_T9_mT8_S1H_bDpT10_ENKUlT_T0_E_clISt17integral_constantIbLb0EES1V_EEDaS1Q_S1R_EUlS1Q_E_NS1_11comp_targetILNS1_3genE4ELNS1_11target_archE910ELNS1_3gpuE8ELNS1_3repE0EEENS1_30default_config_static_selectorELNS0_4arch9wavefront6targetE0EEEvS13_
	.p2align	8
	.type	_ZN7rocprim17ROCPRIM_400000_NS6detail17trampoline_kernelINS0_13select_configILj256ELj13ELNS0_17block_load_methodE3ELS4_3ELS4_3ELNS0_20block_scan_algorithmE0ELj4294967295EEENS1_25partition_config_selectorILNS1_17partition_subalgoE4EjNS0_10empty_typeEbEEZZNS1_14partition_implILS8_4ELb0ES6_15HIP_vector_typeIjLj2EENS0_17counting_iteratorIjlEEPS9_SG_NS0_5tupleIJPjSI_NS0_16reverse_iteratorISI_EEEEENSH_IJSG_SG_SG_EEES9_SI_JZNS1_25segmented_radix_sort_implINS0_14default_configELb1EPK6__halfPSP_PKlPlN2at6native12_GLOBAL__N_18offset_tEEE10hipError_tPvRmT1_PNSt15iterator_traitsIS13_E10value_typeET2_T3_PNS14_IS19_E10value_typeET4_jRbjT5_S1F_jjP12ihipStream_tbEUljE_ZNSN_ISO_Lb1ESR_SS_SU_SV_SZ_EES10_S11_S12_S13_S17_S18_S19_S1C_S1D_jS1E_jS1F_S1F_jjS1H_bEUljE0_EEES10_S11_S12_S19_S1D_S1F_T6_T7_T9_mT8_S1H_bDpT10_ENKUlT_T0_E_clISt17integral_constantIbLb0EES1V_EEDaS1Q_S1R_EUlS1Q_E_NS1_11comp_targetILNS1_3genE4ELNS1_11target_archE910ELNS1_3gpuE8ELNS1_3repE0EEENS1_30default_config_static_selectorELNS0_4arch9wavefront6targetE0EEEvS13_,@function
_ZN7rocprim17ROCPRIM_400000_NS6detail17trampoline_kernelINS0_13select_configILj256ELj13ELNS0_17block_load_methodE3ELS4_3ELS4_3ELNS0_20block_scan_algorithmE0ELj4294967295EEENS1_25partition_config_selectorILNS1_17partition_subalgoE4EjNS0_10empty_typeEbEEZZNS1_14partition_implILS8_4ELb0ES6_15HIP_vector_typeIjLj2EENS0_17counting_iteratorIjlEEPS9_SG_NS0_5tupleIJPjSI_NS0_16reverse_iteratorISI_EEEEENSH_IJSG_SG_SG_EEES9_SI_JZNS1_25segmented_radix_sort_implINS0_14default_configELb1EPK6__halfPSP_PKlPlN2at6native12_GLOBAL__N_18offset_tEEE10hipError_tPvRmT1_PNSt15iterator_traitsIS13_E10value_typeET2_T3_PNS14_IS19_E10value_typeET4_jRbjT5_S1F_jjP12ihipStream_tbEUljE_ZNSN_ISO_Lb1ESR_SS_SU_SV_SZ_EES10_S11_S12_S13_S17_S18_S19_S1C_S1D_jS1E_jS1F_S1F_jjS1H_bEUljE0_EEES10_S11_S12_S19_S1D_S1F_T6_T7_T9_mT8_S1H_bDpT10_ENKUlT_T0_E_clISt17integral_constantIbLb0EES1V_EEDaS1Q_S1R_EUlS1Q_E_NS1_11comp_targetILNS1_3genE4ELNS1_11target_archE910ELNS1_3gpuE8ELNS1_3repE0EEENS1_30default_config_static_selectorELNS0_4arch9wavefront6targetE0EEEvS13_: ; @_ZN7rocprim17ROCPRIM_400000_NS6detail17trampoline_kernelINS0_13select_configILj256ELj13ELNS0_17block_load_methodE3ELS4_3ELS4_3ELNS0_20block_scan_algorithmE0ELj4294967295EEENS1_25partition_config_selectorILNS1_17partition_subalgoE4EjNS0_10empty_typeEbEEZZNS1_14partition_implILS8_4ELb0ES6_15HIP_vector_typeIjLj2EENS0_17counting_iteratorIjlEEPS9_SG_NS0_5tupleIJPjSI_NS0_16reverse_iteratorISI_EEEEENSH_IJSG_SG_SG_EEES9_SI_JZNS1_25segmented_radix_sort_implINS0_14default_configELb1EPK6__halfPSP_PKlPlN2at6native12_GLOBAL__N_18offset_tEEE10hipError_tPvRmT1_PNSt15iterator_traitsIS13_E10value_typeET2_T3_PNS14_IS19_E10value_typeET4_jRbjT5_S1F_jjP12ihipStream_tbEUljE_ZNSN_ISO_Lb1ESR_SS_SU_SV_SZ_EES10_S11_S12_S13_S17_S18_S19_S1C_S1D_jS1E_jS1F_S1F_jjS1H_bEUljE0_EEES10_S11_S12_S19_S1D_S1F_T6_T7_T9_mT8_S1H_bDpT10_ENKUlT_T0_E_clISt17integral_constantIbLb0EES1V_EEDaS1Q_S1R_EUlS1Q_E_NS1_11comp_targetILNS1_3genE4ELNS1_11target_archE910ELNS1_3gpuE8ELNS1_3repE0EEENS1_30default_config_static_selectorELNS0_4arch9wavefront6targetE0EEEvS13_
; %bb.0:
	.section	.rodata,"a",@progbits
	.p2align	6, 0x0
	.amdhsa_kernel _ZN7rocprim17ROCPRIM_400000_NS6detail17trampoline_kernelINS0_13select_configILj256ELj13ELNS0_17block_load_methodE3ELS4_3ELS4_3ELNS0_20block_scan_algorithmE0ELj4294967295EEENS1_25partition_config_selectorILNS1_17partition_subalgoE4EjNS0_10empty_typeEbEEZZNS1_14partition_implILS8_4ELb0ES6_15HIP_vector_typeIjLj2EENS0_17counting_iteratorIjlEEPS9_SG_NS0_5tupleIJPjSI_NS0_16reverse_iteratorISI_EEEEENSH_IJSG_SG_SG_EEES9_SI_JZNS1_25segmented_radix_sort_implINS0_14default_configELb1EPK6__halfPSP_PKlPlN2at6native12_GLOBAL__N_18offset_tEEE10hipError_tPvRmT1_PNSt15iterator_traitsIS13_E10value_typeET2_T3_PNS14_IS19_E10value_typeET4_jRbjT5_S1F_jjP12ihipStream_tbEUljE_ZNSN_ISO_Lb1ESR_SS_SU_SV_SZ_EES10_S11_S12_S13_S17_S18_S19_S1C_S1D_jS1E_jS1F_S1F_jjS1H_bEUljE0_EEES10_S11_S12_S19_S1D_S1F_T6_T7_T9_mT8_S1H_bDpT10_ENKUlT_T0_E_clISt17integral_constantIbLb0EES1V_EEDaS1Q_S1R_EUlS1Q_E_NS1_11comp_targetILNS1_3genE4ELNS1_11target_archE910ELNS1_3gpuE8ELNS1_3repE0EEENS1_30default_config_static_selectorELNS0_4arch9wavefront6targetE0EEEvS13_
		.amdhsa_group_segment_fixed_size 0
		.amdhsa_private_segment_fixed_size 0
		.amdhsa_kernarg_size 176
		.amdhsa_user_sgpr_count 6
		.amdhsa_user_sgpr_private_segment_buffer 1
		.amdhsa_user_sgpr_dispatch_ptr 0
		.amdhsa_user_sgpr_queue_ptr 0
		.amdhsa_user_sgpr_kernarg_segment_ptr 1
		.amdhsa_user_sgpr_dispatch_id 0
		.amdhsa_user_sgpr_flat_scratch_init 0
		.amdhsa_user_sgpr_private_segment_size 0
		.amdhsa_wavefront_size32 1
		.amdhsa_uses_dynamic_stack 0
		.amdhsa_system_sgpr_private_segment_wavefront_offset 0
		.amdhsa_system_sgpr_workgroup_id_x 1
		.amdhsa_system_sgpr_workgroup_id_y 0
		.amdhsa_system_sgpr_workgroup_id_z 0
		.amdhsa_system_sgpr_workgroup_info 0
		.amdhsa_system_vgpr_workitem_id 0
		.amdhsa_next_free_vgpr 1
		.amdhsa_next_free_sgpr 1
		.amdhsa_reserve_vcc 0
		.amdhsa_reserve_flat_scratch 0
		.amdhsa_float_round_mode_32 0
		.amdhsa_float_round_mode_16_64 0
		.amdhsa_float_denorm_mode_32 3
		.amdhsa_float_denorm_mode_16_64 3
		.amdhsa_dx10_clamp 1
		.amdhsa_ieee_mode 1
		.amdhsa_fp16_overflow 0
		.amdhsa_workgroup_processor_mode 1
		.amdhsa_memory_ordered 1
		.amdhsa_forward_progress 1
		.amdhsa_shared_vgpr_count 0
		.amdhsa_exception_fp_ieee_invalid_op 0
		.amdhsa_exception_fp_denorm_src 0
		.amdhsa_exception_fp_ieee_div_zero 0
		.amdhsa_exception_fp_ieee_overflow 0
		.amdhsa_exception_fp_ieee_underflow 0
		.amdhsa_exception_fp_ieee_inexact 0
		.amdhsa_exception_int_div_zero 0
	.end_amdhsa_kernel
	.section	.text._ZN7rocprim17ROCPRIM_400000_NS6detail17trampoline_kernelINS0_13select_configILj256ELj13ELNS0_17block_load_methodE3ELS4_3ELS4_3ELNS0_20block_scan_algorithmE0ELj4294967295EEENS1_25partition_config_selectorILNS1_17partition_subalgoE4EjNS0_10empty_typeEbEEZZNS1_14partition_implILS8_4ELb0ES6_15HIP_vector_typeIjLj2EENS0_17counting_iteratorIjlEEPS9_SG_NS0_5tupleIJPjSI_NS0_16reverse_iteratorISI_EEEEENSH_IJSG_SG_SG_EEES9_SI_JZNS1_25segmented_radix_sort_implINS0_14default_configELb1EPK6__halfPSP_PKlPlN2at6native12_GLOBAL__N_18offset_tEEE10hipError_tPvRmT1_PNSt15iterator_traitsIS13_E10value_typeET2_T3_PNS14_IS19_E10value_typeET4_jRbjT5_S1F_jjP12ihipStream_tbEUljE_ZNSN_ISO_Lb1ESR_SS_SU_SV_SZ_EES10_S11_S12_S13_S17_S18_S19_S1C_S1D_jS1E_jS1F_S1F_jjS1H_bEUljE0_EEES10_S11_S12_S19_S1D_S1F_T6_T7_T9_mT8_S1H_bDpT10_ENKUlT_T0_E_clISt17integral_constantIbLb0EES1V_EEDaS1Q_S1R_EUlS1Q_E_NS1_11comp_targetILNS1_3genE4ELNS1_11target_archE910ELNS1_3gpuE8ELNS1_3repE0EEENS1_30default_config_static_selectorELNS0_4arch9wavefront6targetE0EEEvS13_,"axG",@progbits,_ZN7rocprim17ROCPRIM_400000_NS6detail17trampoline_kernelINS0_13select_configILj256ELj13ELNS0_17block_load_methodE3ELS4_3ELS4_3ELNS0_20block_scan_algorithmE0ELj4294967295EEENS1_25partition_config_selectorILNS1_17partition_subalgoE4EjNS0_10empty_typeEbEEZZNS1_14partition_implILS8_4ELb0ES6_15HIP_vector_typeIjLj2EENS0_17counting_iteratorIjlEEPS9_SG_NS0_5tupleIJPjSI_NS0_16reverse_iteratorISI_EEEEENSH_IJSG_SG_SG_EEES9_SI_JZNS1_25segmented_radix_sort_implINS0_14default_configELb1EPK6__halfPSP_PKlPlN2at6native12_GLOBAL__N_18offset_tEEE10hipError_tPvRmT1_PNSt15iterator_traitsIS13_E10value_typeET2_T3_PNS14_IS19_E10value_typeET4_jRbjT5_S1F_jjP12ihipStream_tbEUljE_ZNSN_ISO_Lb1ESR_SS_SU_SV_SZ_EES10_S11_S12_S13_S17_S18_S19_S1C_S1D_jS1E_jS1F_S1F_jjS1H_bEUljE0_EEES10_S11_S12_S19_S1D_S1F_T6_T7_T9_mT8_S1H_bDpT10_ENKUlT_T0_E_clISt17integral_constantIbLb0EES1V_EEDaS1Q_S1R_EUlS1Q_E_NS1_11comp_targetILNS1_3genE4ELNS1_11target_archE910ELNS1_3gpuE8ELNS1_3repE0EEENS1_30default_config_static_selectorELNS0_4arch9wavefront6targetE0EEEvS13_,comdat
.Lfunc_end1667:
	.size	_ZN7rocprim17ROCPRIM_400000_NS6detail17trampoline_kernelINS0_13select_configILj256ELj13ELNS0_17block_load_methodE3ELS4_3ELS4_3ELNS0_20block_scan_algorithmE0ELj4294967295EEENS1_25partition_config_selectorILNS1_17partition_subalgoE4EjNS0_10empty_typeEbEEZZNS1_14partition_implILS8_4ELb0ES6_15HIP_vector_typeIjLj2EENS0_17counting_iteratorIjlEEPS9_SG_NS0_5tupleIJPjSI_NS0_16reverse_iteratorISI_EEEEENSH_IJSG_SG_SG_EEES9_SI_JZNS1_25segmented_radix_sort_implINS0_14default_configELb1EPK6__halfPSP_PKlPlN2at6native12_GLOBAL__N_18offset_tEEE10hipError_tPvRmT1_PNSt15iterator_traitsIS13_E10value_typeET2_T3_PNS14_IS19_E10value_typeET4_jRbjT5_S1F_jjP12ihipStream_tbEUljE_ZNSN_ISO_Lb1ESR_SS_SU_SV_SZ_EES10_S11_S12_S13_S17_S18_S19_S1C_S1D_jS1E_jS1F_S1F_jjS1H_bEUljE0_EEES10_S11_S12_S19_S1D_S1F_T6_T7_T9_mT8_S1H_bDpT10_ENKUlT_T0_E_clISt17integral_constantIbLb0EES1V_EEDaS1Q_S1R_EUlS1Q_E_NS1_11comp_targetILNS1_3genE4ELNS1_11target_archE910ELNS1_3gpuE8ELNS1_3repE0EEENS1_30default_config_static_selectorELNS0_4arch9wavefront6targetE0EEEvS13_, .Lfunc_end1667-_ZN7rocprim17ROCPRIM_400000_NS6detail17trampoline_kernelINS0_13select_configILj256ELj13ELNS0_17block_load_methodE3ELS4_3ELS4_3ELNS0_20block_scan_algorithmE0ELj4294967295EEENS1_25partition_config_selectorILNS1_17partition_subalgoE4EjNS0_10empty_typeEbEEZZNS1_14partition_implILS8_4ELb0ES6_15HIP_vector_typeIjLj2EENS0_17counting_iteratorIjlEEPS9_SG_NS0_5tupleIJPjSI_NS0_16reverse_iteratorISI_EEEEENSH_IJSG_SG_SG_EEES9_SI_JZNS1_25segmented_radix_sort_implINS0_14default_configELb1EPK6__halfPSP_PKlPlN2at6native12_GLOBAL__N_18offset_tEEE10hipError_tPvRmT1_PNSt15iterator_traitsIS13_E10value_typeET2_T3_PNS14_IS19_E10value_typeET4_jRbjT5_S1F_jjP12ihipStream_tbEUljE_ZNSN_ISO_Lb1ESR_SS_SU_SV_SZ_EES10_S11_S12_S13_S17_S18_S19_S1C_S1D_jS1E_jS1F_S1F_jjS1H_bEUljE0_EEES10_S11_S12_S19_S1D_S1F_T6_T7_T9_mT8_S1H_bDpT10_ENKUlT_T0_E_clISt17integral_constantIbLb0EES1V_EEDaS1Q_S1R_EUlS1Q_E_NS1_11comp_targetILNS1_3genE4ELNS1_11target_archE910ELNS1_3gpuE8ELNS1_3repE0EEENS1_30default_config_static_selectorELNS0_4arch9wavefront6targetE0EEEvS13_
                                        ; -- End function
	.set _ZN7rocprim17ROCPRIM_400000_NS6detail17trampoline_kernelINS0_13select_configILj256ELj13ELNS0_17block_load_methodE3ELS4_3ELS4_3ELNS0_20block_scan_algorithmE0ELj4294967295EEENS1_25partition_config_selectorILNS1_17partition_subalgoE4EjNS0_10empty_typeEbEEZZNS1_14partition_implILS8_4ELb0ES6_15HIP_vector_typeIjLj2EENS0_17counting_iteratorIjlEEPS9_SG_NS0_5tupleIJPjSI_NS0_16reverse_iteratorISI_EEEEENSH_IJSG_SG_SG_EEES9_SI_JZNS1_25segmented_radix_sort_implINS0_14default_configELb1EPK6__halfPSP_PKlPlN2at6native12_GLOBAL__N_18offset_tEEE10hipError_tPvRmT1_PNSt15iterator_traitsIS13_E10value_typeET2_T3_PNS14_IS19_E10value_typeET4_jRbjT5_S1F_jjP12ihipStream_tbEUljE_ZNSN_ISO_Lb1ESR_SS_SU_SV_SZ_EES10_S11_S12_S13_S17_S18_S19_S1C_S1D_jS1E_jS1F_S1F_jjS1H_bEUljE0_EEES10_S11_S12_S19_S1D_S1F_T6_T7_T9_mT8_S1H_bDpT10_ENKUlT_T0_E_clISt17integral_constantIbLb0EES1V_EEDaS1Q_S1R_EUlS1Q_E_NS1_11comp_targetILNS1_3genE4ELNS1_11target_archE910ELNS1_3gpuE8ELNS1_3repE0EEENS1_30default_config_static_selectorELNS0_4arch9wavefront6targetE0EEEvS13_.num_vgpr, 0
	.set _ZN7rocprim17ROCPRIM_400000_NS6detail17trampoline_kernelINS0_13select_configILj256ELj13ELNS0_17block_load_methodE3ELS4_3ELS4_3ELNS0_20block_scan_algorithmE0ELj4294967295EEENS1_25partition_config_selectorILNS1_17partition_subalgoE4EjNS0_10empty_typeEbEEZZNS1_14partition_implILS8_4ELb0ES6_15HIP_vector_typeIjLj2EENS0_17counting_iteratorIjlEEPS9_SG_NS0_5tupleIJPjSI_NS0_16reverse_iteratorISI_EEEEENSH_IJSG_SG_SG_EEES9_SI_JZNS1_25segmented_radix_sort_implINS0_14default_configELb1EPK6__halfPSP_PKlPlN2at6native12_GLOBAL__N_18offset_tEEE10hipError_tPvRmT1_PNSt15iterator_traitsIS13_E10value_typeET2_T3_PNS14_IS19_E10value_typeET4_jRbjT5_S1F_jjP12ihipStream_tbEUljE_ZNSN_ISO_Lb1ESR_SS_SU_SV_SZ_EES10_S11_S12_S13_S17_S18_S19_S1C_S1D_jS1E_jS1F_S1F_jjS1H_bEUljE0_EEES10_S11_S12_S19_S1D_S1F_T6_T7_T9_mT8_S1H_bDpT10_ENKUlT_T0_E_clISt17integral_constantIbLb0EES1V_EEDaS1Q_S1R_EUlS1Q_E_NS1_11comp_targetILNS1_3genE4ELNS1_11target_archE910ELNS1_3gpuE8ELNS1_3repE0EEENS1_30default_config_static_selectorELNS0_4arch9wavefront6targetE0EEEvS13_.num_agpr, 0
	.set _ZN7rocprim17ROCPRIM_400000_NS6detail17trampoline_kernelINS0_13select_configILj256ELj13ELNS0_17block_load_methodE3ELS4_3ELS4_3ELNS0_20block_scan_algorithmE0ELj4294967295EEENS1_25partition_config_selectorILNS1_17partition_subalgoE4EjNS0_10empty_typeEbEEZZNS1_14partition_implILS8_4ELb0ES6_15HIP_vector_typeIjLj2EENS0_17counting_iteratorIjlEEPS9_SG_NS0_5tupleIJPjSI_NS0_16reverse_iteratorISI_EEEEENSH_IJSG_SG_SG_EEES9_SI_JZNS1_25segmented_radix_sort_implINS0_14default_configELb1EPK6__halfPSP_PKlPlN2at6native12_GLOBAL__N_18offset_tEEE10hipError_tPvRmT1_PNSt15iterator_traitsIS13_E10value_typeET2_T3_PNS14_IS19_E10value_typeET4_jRbjT5_S1F_jjP12ihipStream_tbEUljE_ZNSN_ISO_Lb1ESR_SS_SU_SV_SZ_EES10_S11_S12_S13_S17_S18_S19_S1C_S1D_jS1E_jS1F_S1F_jjS1H_bEUljE0_EEES10_S11_S12_S19_S1D_S1F_T6_T7_T9_mT8_S1H_bDpT10_ENKUlT_T0_E_clISt17integral_constantIbLb0EES1V_EEDaS1Q_S1R_EUlS1Q_E_NS1_11comp_targetILNS1_3genE4ELNS1_11target_archE910ELNS1_3gpuE8ELNS1_3repE0EEENS1_30default_config_static_selectorELNS0_4arch9wavefront6targetE0EEEvS13_.numbered_sgpr, 0
	.set _ZN7rocprim17ROCPRIM_400000_NS6detail17trampoline_kernelINS0_13select_configILj256ELj13ELNS0_17block_load_methodE3ELS4_3ELS4_3ELNS0_20block_scan_algorithmE0ELj4294967295EEENS1_25partition_config_selectorILNS1_17partition_subalgoE4EjNS0_10empty_typeEbEEZZNS1_14partition_implILS8_4ELb0ES6_15HIP_vector_typeIjLj2EENS0_17counting_iteratorIjlEEPS9_SG_NS0_5tupleIJPjSI_NS0_16reverse_iteratorISI_EEEEENSH_IJSG_SG_SG_EEES9_SI_JZNS1_25segmented_radix_sort_implINS0_14default_configELb1EPK6__halfPSP_PKlPlN2at6native12_GLOBAL__N_18offset_tEEE10hipError_tPvRmT1_PNSt15iterator_traitsIS13_E10value_typeET2_T3_PNS14_IS19_E10value_typeET4_jRbjT5_S1F_jjP12ihipStream_tbEUljE_ZNSN_ISO_Lb1ESR_SS_SU_SV_SZ_EES10_S11_S12_S13_S17_S18_S19_S1C_S1D_jS1E_jS1F_S1F_jjS1H_bEUljE0_EEES10_S11_S12_S19_S1D_S1F_T6_T7_T9_mT8_S1H_bDpT10_ENKUlT_T0_E_clISt17integral_constantIbLb0EES1V_EEDaS1Q_S1R_EUlS1Q_E_NS1_11comp_targetILNS1_3genE4ELNS1_11target_archE910ELNS1_3gpuE8ELNS1_3repE0EEENS1_30default_config_static_selectorELNS0_4arch9wavefront6targetE0EEEvS13_.num_named_barrier, 0
	.set _ZN7rocprim17ROCPRIM_400000_NS6detail17trampoline_kernelINS0_13select_configILj256ELj13ELNS0_17block_load_methodE3ELS4_3ELS4_3ELNS0_20block_scan_algorithmE0ELj4294967295EEENS1_25partition_config_selectorILNS1_17partition_subalgoE4EjNS0_10empty_typeEbEEZZNS1_14partition_implILS8_4ELb0ES6_15HIP_vector_typeIjLj2EENS0_17counting_iteratorIjlEEPS9_SG_NS0_5tupleIJPjSI_NS0_16reverse_iteratorISI_EEEEENSH_IJSG_SG_SG_EEES9_SI_JZNS1_25segmented_radix_sort_implINS0_14default_configELb1EPK6__halfPSP_PKlPlN2at6native12_GLOBAL__N_18offset_tEEE10hipError_tPvRmT1_PNSt15iterator_traitsIS13_E10value_typeET2_T3_PNS14_IS19_E10value_typeET4_jRbjT5_S1F_jjP12ihipStream_tbEUljE_ZNSN_ISO_Lb1ESR_SS_SU_SV_SZ_EES10_S11_S12_S13_S17_S18_S19_S1C_S1D_jS1E_jS1F_S1F_jjS1H_bEUljE0_EEES10_S11_S12_S19_S1D_S1F_T6_T7_T9_mT8_S1H_bDpT10_ENKUlT_T0_E_clISt17integral_constantIbLb0EES1V_EEDaS1Q_S1R_EUlS1Q_E_NS1_11comp_targetILNS1_3genE4ELNS1_11target_archE910ELNS1_3gpuE8ELNS1_3repE0EEENS1_30default_config_static_selectorELNS0_4arch9wavefront6targetE0EEEvS13_.private_seg_size, 0
	.set _ZN7rocprim17ROCPRIM_400000_NS6detail17trampoline_kernelINS0_13select_configILj256ELj13ELNS0_17block_load_methodE3ELS4_3ELS4_3ELNS0_20block_scan_algorithmE0ELj4294967295EEENS1_25partition_config_selectorILNS1_17partition_subalgoE4EjNS0_10empty_typeEbEEZZNS1_14partition_implILS8_4ELb0ES6_15HIP_vector_typeIjLj2EENS0_17counting_iteratorIjlEEPS9_SG_NS0_5tupleIJPjSI_NS0_16reverse_iteratorISI_EEEEENSH_IJSG_SG_SG_EEES9_SI_JZNS1_25segmented_radix_sort_implINS0_14default_configELb1EPK6__halfPSP_PKlPlN2at6native12_GLOBAL__N_18offset_tEEE10hipError_tPvRmT1_PNSt15iterator_traitsIS13_E10value_typeET2_T3_PNS14_IS19_E10value_typeET4_jRbjT5_S1F_jjP12ihipStream_tbEUljE_ZNSN_ISO_Lb1ESR_SS_SU_SV_SZ_EES10_S11_S12_S13_S17_S18_S19_S1C_S1D_jS1E_jS1F_S1F_jjS1H_bEUljE0_EEES10_S11_S12_S19_S1D_S1F_T6_T7_T9_mT8_S1H_bDpT10_ENKUlT_T0_E_clISt17integral_constantIbLb0EES1V_EEDaS1Q_S1R_EUlS1Q_E_NS1_11comp_targetILNS1_3genE4ELNS1_11target_archE910ELNS1_3gpuE8ELNS1_3repE0EEENS1_30default_config_static_selectorELNS0_4arch9wavefront6targetE0EEEvS13_.uses_vcc, 0
	.set _ZN7rocprim17ROCPRIM_400000_NS6detail17trampoline_kernelINS0_13select_configILj256ELj13ELNS0_17block_load_methodE3ELS4_3ELS4_3ELNS0_20block_scan_algorithmE0ELj4294967295EEENS1_25partition_config_selectorILNS1_17partition_subalgoE4EjNS0_10empty_typeEbEEZZNS1_14partition_implILS8_4ELb0ES6_15HIP_vector_typeIjLj2EENS0_17counting_iteratorIjlEEPS9_SG_NS0_5tupleIJPjSI_NS0_16reverse_iteratorISI_EEEEENSH_IJSG_SG_SG_EEES9_SI_JZNS1_25segmented_radix_sort_implINS0_14default_configELb1EPK6__halfPSP_PKlPlN2at6native12_GLOBAL__N_18offset_tEEE10hipError_tPvRmT1_PNSt15iterator_traitsIS13_E10value_typeET2_T3_PNS14_IS19_E10value_typeET4_jRbjT5_S1F_jjP12ihipStream_tbEUljE_ZNSN_ISO_Lb1ESR_SS_SU_SV_SZ_EES10_S11_S12_S13_S17_S18_S19_S1C_S1D_jS1E_jS1F_S1F_jjS1H_bEUljE0_EEES10_S11_S12_S19_S1D_S1F_T6_T7_T9_mT8_S1H_bDpT10_ENKUlT_T0_E_clISt17integral_constantIbLb0EES1V_EEDaS1Q_S1R_EUlS1Q_E_NS1_11comp_targetILNS1_3genE4ELNS1_11target_archE910ELNS1_3gpuE8ELNS1_3repE0EEENS1_30default_config_static_selectorELNS0_4arch9wavefront6targetE0EEEvS13_.uses_flat_scratch, 0
	.set _ZN7rocprim17ROCPRIM_400000_NS6detail17trampoline_kernelINS0_13select_configILj256ELj13ELNS0_17block_load_methodE3ELS4_3ELS4_3ELNS0_20block_scan_algorithmE0ELj4294967295EEENS1_25partition_config_selectorILNS1_17partition_subalgoE4EjNS0_10empty_typeEbEEZZNS1_14partition_implILS8_4ELb0ES6_15HIP_vector_typeIjLj2EENS0_17counting_iteratorIjlEEPS9_SG_NS0_5tupleIJPjSI_NS0_16reverse_iteratorISI_EEEEENSH_IJSG_SG_SG_EEES9_SI_JZNS1_25segmented_radix_sort_implINS0_14default_configELb1EPK6__halfPSP_PKlPlN2at6native12_GLOBAL__N_18offset_tEEE10hipError_tPvRmT1_PNSt15iterator_traitsIS13_E10value_typeET2_T3_PNS14_IS19_E10value_typeET4_jRbjT5_S1F_jjP12ihipStream_tbEUljE_ZNSN_ISO_Lb1ESR_SS_SU_SV_SZ_EES10_S11_S12_S13_S17_S18_S19_S1C_S1D_jS1E_jS1F_S1F_jjS1H_bEUljE0_EEES10_S11_S12_S19_S1D_S1F_T6_T7_T9_mT8_S1H_bDpT10_ENKUlT_T0_E_clISt17integral_constantIbLb0EES1V_EEDaS1Q_S1R_EUlS1Q_E_NS1_11comp_targetILNS1_3genE4ELNS1_11target_archE910ELNS1_3gpuE8ELNS1_3repE0EEENS1_30default_config_static_selectorELNS0_4arch9wavefront6targetE0EEEvS13_.has_dyn_sized_stack, 0
	.set _ZN7rocprim17ROCPRIM_400000_NS6detail17trampoline_kernelINS0_13select_configILj256ELj13ELNS0_17block_load_methodE3ELS4_3ELS4_3ELNS0_20block_scan_algorithmE0ELj4294967295EEENS1_25partition_config_selectorILNS1_17partition_subalgoE4EjNS0_10empty_typeEbEEZZNS1_14partition_implILS8_4ELb0ES6_15HIP_vector_typeIjLj2EENS0_17counting_iteratorIjlEEPS9_SG_NS0_5tupleIJPjSI_NS0_16reverse_iteratorISI_EEEEENSH_IJSG_SG_SG_EEES9_SI_JZNS1_25segmented_radix_sort_implINS0_14default_configELb1EPK6__halfPSP_PKlPlN2at6native12_GLOBAL__N_18offset_tEEE10hipError_tPvRmT1_PNSt15iterator_traitsIS13_E10value_typeET2_T3_PNS14_IS19_E10value_typeET4_jRbjT5_S1F_jjP12ihipStream_tbEUljE_ZNSN_ISO_Lb1ESR_SS_SU_SV_SZ_EES10_S11_S12_S13_S17_S18_S19_S1C_S1D_jS1E_jS1F_S1F_jjS1H_bEUljE0_EEES10_S11_S12_S19_S1D_S1F_T6_T7_T9_mT8_S1H_bDpT10_ENKUlT_T0_E_clISt17integral_constantIbLb0EES1V_EEDaS1Q_S1R_EUlS1Q_E_NS1_11comp_targetILNS1_3genE4ELNS1_11target_archE910ELNS1_3gpuE8ELNS1_3repE0EEENS1_30default_config_static_selectorELNS0_4arch9wavefront6targetE0EEEvS13_.has_recursion, 0
	.set _ZN7rocprim17ROCPRIM_400000_NS6detail17trampoline_kernelINS0_13select_configILj256ELj13ELNS0_17block_load_methodE3ELS4_3ELS4_3ELNS0_20block_scan_algorithmE0ELj4294967295EEENS1_25partition_config_selectorILNS1_17partition_subalgoE4EjNS0_10empty_typeEbEEZZNS1_14partition_implILS8_4ELb0ES6_15HIP_vector_typeIjLj2EENS0_17counting_iteratorIjlEEPS9_SG_NS0_5tupleIJPjSI_NS0_16reverse_iteratorISI_EEEEENSH_IJSG_SG_SG_EEES9_SI_JZNS1_25segmented_radix_sort_implINS0_14default_configELb1EPK6__halfPSP_PKlPlN2at6native12_GLOBAL__N_18offset_tEEE10hipError_tPvRmT1_PNSt15iterator_traitsIS13_E10value_typeET2_T3_PNS14_IS19_E10value_typeET4_jRbjT5_S1F_jjP12ihipStream_tbEUljE_ZNSN_ISO_Lb1ESR_SS_SU_SV_SZ_EES10_S11_S12_S13_S17_S18_S19_S1C_S1D_jS1E_jS1F_S1F_jjS1H_bEUljE0_EEES10_S11_S12_S19_S1D_S1F_T6_T7_T9_mT8_S1H_bDpT10_ENKUlT_T0_E_clISt17integral_constantIbLb0EES1V_EEDaS1Q_S1R_EUlS1Q_E_NS1_11comp_targetILNS1_3genE4ELNS1_11target_archE910ELNS1_3gpuE8ELNS1_3repE0EEENS1_30default_config_static_selectorELNS0_4arch9wavefront6targetE0EEEvS13_.has_indirect_call, 0
	.section	.AMDGPU.csdata,"",@progbits
; Kernel info:
; codeLenInByte = 0
; TotalNumSgprs: 0
; NumVgprs: 0
; ScratchSize: 0
; MemoryBound: 0
; FloatMode: 240
; IeeeMode: 1
; LDSByteSize: 0 bytes/workgroup (compile time only)
; SGPRBlocks: 0
; VGPRBlocks: 0
; NumSGPRsForWavesPerEU: 1
; NumVGPRsForWavesPerEU: 1
; Occupancy: 16
; WaveLimiterHint : 0
; COMPUTE_PGM_RSRC2:SCRATCH_EN: 0
; COMPUTE_PGM_RSRC2:USER_SGPR: 6
; COMPUTE_PGM_RSRC2:TRAP_HANDLER: 0
; COMPUTE_PGM_RSRC2:TGID_X_EN: 1
; COMPUTE_PGM_RSRC2:TGID_Y_EN: 0
; COMPUTE_PGM_RSRC2:TGID_Z_EN: 0
; COMPUTE_PGM_RSRC2:TIDIG_COMP_CNT: 0
	.section	.text._ZN7rocprim17ROCPRIM_400000_NS6detail17trampoline_kernelINS0_13select_configILj256ELj13ELNS0_17block_load_methodE3ELS4_3ELS4_3ELNS0_20block_scan_algorithmE0ELj4294967295EEENS1_25partition_config_selectorILNS1_17partition_subalgoE4EjNS0_10empty_typeEbEEZZNS1_14partition_implILS8_4ELb0ES6_15HIP_vector_typeIjLj2EENS0_17counting_iteratorIjlEEPS9_SG_NS0_5tupleIJPjSI_NS0_16reverse_iteratorISI_EEEEENSH_IJSG_SG_SG_EEES9_SI_JZNS1_25segmented_radix_sort_implINS0_14default_configELb1EPK6__halfPSP_PKlPlN2at6native12_GLOBAL__N_18offset_tEEE10hipError_tPvRmT1_PNSt15iterator_traitsIS13_E10value_typeET2_T3_PNS14_IS19_E10value_typeET4_jRbjT5_S1F_jjP12ihipStream_tbEUljE_ZNSN_ISO_Lb1ESR_SS_SU_SV_SZ_EES10_S11_S12_S13_S17_S18_S19_S1C_S1D_jS1E_jS1F_S1F_jjS1H_bEUljE0_EEES10_S11_S12_S19_S1D_S1F_T6_T7_T9_mT8_S1H_bDpT10_ENKUlT_T0_E_clISt17integral_constantIbLb0EES1V_EEDaS1Q_S1R_EUlS1Q_E_NS1_11comp_targetILNS1_3genE3ELNS1_11target_archE908ELNS1_3gpuE7ELNS1_3repE0EEENS1_30default_config_static_selectorELNS0_4arch9wavefront6targetE0EEEvS13_,"axG",@progbits,_ZN7rocprim17ROCPRIM_400000_NS6detail17trampoline_kernelINS0_13select_configILj256ELj13ELNS0_17block_load_methodE3ELS4_3ELS4_3ELNS0_20block_scan_algorithmE0ELj4294967295EEENS1_25partition_config_selectorILNS1_17partition_subalgoE4EjNS0_10empty_typeEbEEZZNS1_14partition_implILS8_4ELb0ES6_15HIP_vector_typeIjLj2EENS0_17counting_iteratorIjlEEPS9_SG_NS0_5tupleIJPjSI_NS0_16reverse_iteratorISI_EEEEENSH_IJSG_SG_SG_EEES9_SI_JZNS1_25segmented_radix_sort_implINS0_14default_configELb1EPK6__halfPSP_PKlPlN2at6native12_GLOBAL__N_18offset_tEEE10hipError_tPvRmT1_PNSt15iterator_traitsIS13_E10value_typeET2_T3_PNS14_IS19_E10value_typeET4_jRbjT5_S1F_jjP12ihipStream_tbEUljE_ZNSN_ISO_Lb1ESR_SS_SU_SV_SZ_EES10_S11_S12_S13_S17_S18_S19_S1C_S1D_jS1E_jS1F_S1F_jjS1H_bEUljE0_EEES10_S11_S12_S19_S1D_S1F_T6_T7_T9_mT8_S1H_bDpT10_ENKUlT_T0_E_clISt17integral_constantIbLb0EES1V_EEDaS1Q_S1R_EUlS1Q_E_NS1_11comp_targetILNS1_3genE3ELNS1_11target_archE908ELNS1_3gpuE7ELNS1_3repE0EEENS1_30default_config_static_selectorELNS0_4arch9wavefront6targetE0EEEvS13_,comdat
	.globl	_ZN7rocprim17ROCPRIM_400000_NS6detail17trampoline_kernelINS0_13select_configILj256ELj13ELNS0_17block_load_methodE3ELS4_3ELS4_3ELNS0_20block_scan_algorithmE0ELj4294967295EEENS1_25partition_config_selectorILNS1_17partition_subalgoE4EjNS0_10empty_typeEbEEZZNS1_14partition_implILS8_4ELb0ES6_15HIP_vector_typeIjLj2EENS0_17counting_iteratorIjlEEPS9_SG_NS0_5tupleIJPjSI_NS0_16reverse_iteratorISI_EEEEENSH_IJSG_SG_SG_EEES9_SI_JZNS1_25segmented_radix_sort_implINS0_14default_configELb1EPK6__halfPSP_PKlPlN2at6native12_GLOBAL__N_18offset_tEEE10hipError_tPvRmT1_PNSt15iterator_traitsIS13_E10value_typeET2_T3_PNS14_IS19_E10value_typeET4_jRbjT5_S1F_jjP12ihipStream_tbEUljE_ZNSN_ISO_Lb1ESR_SS_SU_SV_SZ_EES10_S11_S12_S13_S17_S18_S19_S1C_S1D_jS1E_jS1F_S1F_jjS1H_bEUljE0_EEES10_S11_S12_S19_S1D_S1F_T6_T7_T9_mT8_S1H_bDpT10_ENKUlT_T0_E_clISt17integral_constantIbLb0EES1V_EEDaS1Q_S1R_EUlS1Q_E_NS1_11comp_targetILNS1_3genE3ELNS1_11target_archE908ELNS1_3gpuE7ELNS1_3repE0EEENS1_30default_config_static_selectorELNS0_4arch9wavefront6targetE0EEEvS13_ ; -- Begin function _ZN7rocprim17ROCPRIM_400000_NS6detail17trampoline_kernelINS0_13select_configILj256ELj13ELNS0_17block_load_methodE3ELS4_3ELS4_3ELNS0_20block_scan_algorithmE0ELj4294967295EEENS1_25partition_config_selectorILNS1_17partition_subalgoE4EjNS0_10empty_typeEbEEZZNS1_14partition_implILS8_4ELb0ES6_15HIP_vector_typeIjLj2EENS0_17counting_iteratorIjlEEPS9_SG_NS0_5tupleIJPjSI_NS0_16reverse_iteratorISI_EEEEENSH_IJSG_SG_SG_EEES9_SI_JZNS1_25segmented_radix_sort_implINS0_14default_configELb1EPK6__halfPSP_PKlPlN2at6native12_GLOBAL__N_18offset_tEEE10hipError_tPvRmT1_PNSt15iterator_traitsIS13_E10value_typeET2_T3_PNS14_IS19_E10value_typeET4_jRbjT5_S1F_jjP12ihipStream_tbEUljE_ZNSN_ISO_Lb1ESR_SS_SU_SV_SZ_EES10_S11_S12_S13_S17_S18_S19_S1C_S1D_jS1E_jS1F_S1F_jjS1H_bEUljE0_EEES10_S11_S12_S19_S1D_S1F_T6_T7_T9_mT8_S1H_bDpT10_ENKUlT_T0_E_clISt17integral_constantIbLb0EES1V_EEDaS1Q_S1R_EUlS1Q_E_NS1_11comp_targetILNS1_3genE3ELNS1_11target_archE908ELNS1_3gpuE7ELNS1_3repE0EEENS1_30default_config_static_selectorELNS0_4arch9wavefront6targetE0EEEvS13_
	.p2align	8
	.type	_ZN7rocprim17ROCPRIM_400000_NS6detail17trampoline_kernelINS0_13select_configILj256ELj13ELNS0_17block_load_methodE3ELS4_3ELS4_3ELNS0_20block_scan_algorithmE0ELj4294967295EEENS1_25partition_config_selectorILNS1_17partition_subalgoE4EjNS0_10empty_typeEbEEZZNS1_14partition_implILS8_4ELb0ES6_15HIP_vector_typeIjLj2EENS0_17counting_iteratorIjlEEPS9_SG_NS0_5tupleIJPjSI_NS0_16reverse_iteratorISI_EEEEENSH_IJSG_SG_SG_EEES9_SI_JZNS1_25segmented_radix_sort_implINS0_14default_configELb1EPK6__halfPSP_PKlPlN2at6native12_GLOBAL__N_18offset_tEEE10hipError_tPvRmT1_PNSt15iterator_traitsIS13_E10value_typeET2_T3_PNS14_IS19_E10value_typeET4_jRbjT5_S1F_jjP12ihipStream_tbEUljE_ZNSN_ISO_Lb1ESR_SS_SU_SV_SZ_EES10_S11_S12_S13_S17_S18_S19_S1C_S1D_jS1E_jS1F_S1F_jjS1H_bEUljE0_EEES10_S11_S12_S19_S1D_S1F_T6_T7_T9_mT8_S1H_bDpT10_ENKUlT_T0_E_clISt17integral_constantIbLb0EES1V_EEDaS1Q_S1R_EUlS1Q_E_NS1_11comp_targetILNS1_3genE3ELNS1_11target_archE908ELNS1_3gpuE7ELNS1_3repE0EEENS1_30default_config_static_selectorELNS0_4arch9wavefront6targetE0EEEvS13_,@function
_ZN7rocprim17ROCPRIM_400000_NS6detail17trampoline_kernelINS0_13select_configILj256ELj13ELNS0_17block_load_methodE3ELS4_3ELS4_3ELNS0_20block_scan_algorithmE0ELj4294967295EEENS1_25partition_config_selectorILNS1_17partition_subalgoE4EjNS0_10empty_typeEbEEZZNS1_14partition_implILS8_4ELb0ES6_15HIP_vector_typeIjLj2EENS0_17counting_iteratorIjlEEPS9_SG_NS0_5tupleIJPjSI_NS0_16reverse_iteratorISI_EEEEENSH_IJSG_SG_SG_EEES9_SI_JZNS1_25segmented_radix_sort_implINS0_14default_configELb1EPK6__halfPSP_PKlPlN2at6native12_GLOBAL__N_18offset_tEEE10hipError_tPvRmT1_PNSt15iterator_traitsIS13_E10value_typeET2_T3_PNS14_IS19_E10value_typeET4_jRbjT5_S1F_jjP12ihipStream_tbEUljE_ZNSN_ISO_Lb1ESR_SS_SU_SV_SZ_EES10_S11_S12_S13_S17_S18_S19_S1C_S1D_jS1E_jS1F_S1F_jjS1H_bEUljE0_EEES10_S11_S12_S19_S1D_S1F_T6_T7_T9_mT8_S1H_bDpT10_ENKUlT_T0_E_clISt17integral_constantIbLb0EES1V_EEDaS1Q_S1R_EUlS1Q_E_NS1_11comp_targetILNS1_3genE3ELNS1_11target_archE908ELNS1_3gpuE7ELNS1_3repE0EEENS1_30default_config_static_selectorELNS0_4arch9wavefront6targetE0EEEvS13_: ; @_ZN7rocprim17ROCPRIM_400000_NS6detail17trampoline_kernelINS0_13select_configILj256ELj13ELNS0_17block_load_methodE3ELS4_3ELS4_3ELNS0_20block_scan_algorithmE0ELj4294967295EEENS1_25partition_config_selectorILNS1_17partition_subalgoE4EjNS0_10empty_typeEbEEZZNS1_14partition_implILS8_4ELb0ES6_15HIP_vector_typeIjLj2EENS0_17counting_iteratorIjlEEPS9_SG_NS0_5tupleIJPjSI_NS0_16reverse_iteratorISI_EEEEENSH_IJSG_SG_SG_EEES9_SI_JZNS1_25segmented_radix_sort_implINS0_14default_configELb1EPK6__halfPSP_PKlPlN2at6native12_GLOBAL__N_18offset_tEEE10hipError_tPvRmT1_PNSt15iterator_traitsIS13_E10value_typeET2_T3_PNS14_IS19_E10value_typeET4_jRbjT5_S1F_jjP12ihipStream_tbEUljE_ZNSN_ISO_Lb1ESR_SS_SU_SV_SZ_EES10_S11_S12_S13_S17_S18_S19_S1C_S1D_jS1E_jS1F_S1F_jjS1H_bEUljE0_EEES10_S11_S12_S19_S1D_S1F_T6_T7_T9_mT8_S1H_bDpT10_ENKUlT_T0_E_clISt17integral_constantIbLb0EES1V_EEDaS1Q_S1R_EUlS1Q_E_NS1_11comp_targetILNS1_3genE3ELNS1_11target_archE908ELNS1_3gpuE7ELNS1_3repE0EEENS1_30default_config_static_selectorELNS0_4arch9wavefront6targetE0EEEvS13_
; %bb.0:
	.section	.rodata,"a",@progbits
	.p2align	6, 0x0
	.amdhsa_kernel _ZN7rocprim17ROCPRIM_400000_NS6detail17trampoline_kernelINS0_13select_configILj256ELj13ELNS0_17block_load_methodE3ELS4_3ELS4_3ELNS0_20block_scan_algorithmE0ELj4294967295EEENS1_25partition_config_selectorILNS1_17partition_subalgoE4EjNS0_10empty_typeEbEEZZNS1_14partition_implILS8_4ELb0ES6_15HIP_vector_typeIjLj2EENS0_17counting_iteratorIjlEEPS9_SG_NS0_5tupleIJPjSI_NS0_16reverse_iteratorISI_EEEEENSH_IJSG_SG_SG_EEES9_SI_JZNS1_25segmented_radix_sort_implINS0_14default_configELb1EPK6__halfPSP_PKlPlN2at6native12_GLOBAL__N_18offset_tEEE10hipError_tPvRmT1_PNSt15iterator_traitsIS13_E10value_typeET2_T3_PNS14_IS19_E10value_typeET4_jRbjT5_S1F_jjP12ihipStream_tbEUljE_ZNSN_ISO_Lb1ESR_SS_SU_SV_SZ_EES10_S11_S12_S13_S17_S18_S19_S1C_S1D_jS1E_jS1F_S1F_jjS1H_bEUljE0_EEES10_S11_S12_S19_S1D_S1F_T6_T7_T9_mT8_S1H_bDpT10_ENKUlT_T0_E_clISt17integral_constantIbLb0EES1V_EEDaS1Q_S1R_EUlS1Q_E_NS1_11comp_targetILNS1_3genE3ELNS1_11target_archE908ELNS1_3gpuE7ELNS1_3repE0EEENS1_30default_config_static_selectorELNS0_4arch9wavefront6targetE0EEEvS13_
		.amdhsa_group_segment_fixed_size 0
		.amdhsa_private_segment_fixed_size 0
		.amdhsa_kernarg_size 176
		.amdhsa_user_sgpr_count 6
		.amdhsa_user_sgpr_private_segment_buffer 1
		.amdhsa_user_sgpr_dispatch_ptr 0
		.amdhsa_user_sgpr_queue_ptr 0
		.amdhsa_user_sgpr_kernarg_segment_ptr 1
		.amdhsa_user_sgpr_dispatch_id 0
		.amdhsa_user_sgpr_flat_scratch_init 0
		.amdhsa_user_sgpr_private_segment_size 0
		.amdhsa_wavefront_size32 1
		.amdhsa_uses_dynamic_stack 0
		.amdhsa_system_sgpr_private_segment_wavefront_offset 0
		.amdhsa_system_sgpr_workgroup_id_x 1
		.amdhsa_system_sgpr_workgroup_id_y 0
		.amdhsa_system_sgpr_workgroup_id_z 0
		.amdhsa_system_sgpr_workgroup_info 0
		.amdhsa_system_vgpr_workitem_id 0
		.amdhsa_next_free_vgpr 1
		.amdhsa_next_free_sgpr 1
		.amdhsa_reserve_vcc 0
		.amdhsa_reserve_flat_scratch 0
		.amdhsa_float_round_mode_32 0
		.amdhsa_float_round_mode_16_64 0
		.amdhsa_float_denorm_mode_32 3
		.amdhsa_float_denorm_mode_16_64 3
		.amdhsa_dx10_clamp 1
		.amdhsa_ieee_mode 1
		.amdhsa_fp16_overflow 0
		.amdhsa_workgroup_processor_mode 1
		.amdhsa_memory_ordered 1
		.amdhsa_forward_progress 1
		.amdhsa_shared_vgpr_count 0
		.amdhsa_exception_fp_ieee_invalid_op 0
		.amdhsa_exception_fp_denorm_src 0
		.amdhsa_exception_fp_ieee_div_zero 0
		.amdhsa_exception_fp_ieee_overflow 0
		.amdhsa_exception_fp_ieee_underflow 0
		.amdhsa_exception_fp_ieee_inexact 0
		.amdhsa_exception_int_div_zero 0
	.end_amdhsa_kernel
	.section	.text._ZN7rocprim17ROCPRIM_400000_NS6detail17trampoline_kernelINS0_13select_configILj256ELj13ELNS0_17block_load_methodE3ELS4_3ELS4_3ELNS0_20block_scan_algorithmE0ELj4294967295EEENS1_25partition_config_selectorILNS1_17partition_subalgoE4EjNS0_10empty_typeEbEEZZNS1_14partition_implILS8_4ELb0ES6_15HIP_vector_typeIjLj2EENS0_17counting_iteratorIjlEEPS9_SG_NS0_5tupleIJPjSI_NS0_16reverse_iteratorISI_EEEEENSH_IJSG_SG_SG_EEES9_SI_JZNS1_25segmented_radix_sort_implINS0_14default_configELb1EPK6__halfPSP_PKlPlN2at6native12_GLOBAL__N_18offset_tEEE10hipError_tPvRmT1_PNSt15iterator_traitsIS13_E10value_typeET2_T3_PNS14_IS19_E10value_typeET4_jRbjT5_S1F_jjP12ihipStream_tbEUljE_ZNSN_ISO_Lb1ESR_SS_SU_SV_SZ_EES10_S11_S12_S13_S17_S18_S19_S1C_S1D_jS1E_jS1F_S1F_jjS1H_bEUljE0_EEES10_S11_S12_S19_S1D_S1F_T6_T7_T9_mT8_S1H_bDpT10_ENKUlT_T0_E_clISt17integral_constantIbLb0EES1V_EEDaS1Q_S1R_EUlS1Q_E_NS1_11comp_targetILNS1_3genE3ELNS1_11target_archE908ELNS1_3gpuE7ELNS1_3repE0EEENS1_30default_config_static_selectorELNS0_4arch9wavefront6targetE0EEEvS13_,"axG",@progbits,_ZN7rocprim17ROCPRIM_400000_NS6detail17trampoline_kernelINS0_13select_configILj256ELj13ELNS0_17block_load_methodE3ELS4_3ELS4_3ELNS0_20block_scan_algorithmE0ELj4294967295EEENS1_25partition_config_selectorILNS1_17partition_subalgoE4EjNS0_10empty_typeEbEEZZNS1_14partition_implILS8_4ELb0ES6_15HIP_vector_typeIjLj2EENS0_17counting_iteratorIjlEEPS9_SG_NS0_5tupleIJPjSI_NS0_16reverse_iteratorISI_EEEEENSH_IJSG_SG_SG_EEES9_SI_JZNS1_25segmented_radix_sort_implINS0_14default_configELb1EPK6__halfPSP_PKlPlN2at6native12_GLOBAL__N_18offset_tEEE10hipError_tPvRmT1_PNSt15iterator_traitsIS13_E10value_typeET2_T3_PNS14_IS19_E10value_typeET4_jRbjT5_S1F_jjP12ihipStream_tbEUljE_ZNSN_ISO_Lb1ESR_SS_SU_SV_SZ_EES10_S11_S12_S13_S17_S18_S19_S1C_S1D_jS1E_jS1F_S1F_jjS1H_bEUljE0_EEES10_S11_S12_S19_S1D_S1F_T6_T7_T9_mT8_S1H_bDpT10_ENKUlT_T0_E_clISt17integral_constantIbLb0EES1V_EEDaS1Q_S1R_EUlS1Q_E_NS1_11comp_targetILNS1_3genE3ELNS1_11target_archE908ELNS1_3gpuE7ELNS1_3repE0EEENS1_30default_config_static_selectorELNS0_4arch9wavefront6targetE0EEEvS13_,comdat
.Lfunc_end1668:
	.size	_ZN7rocprim17ROCPRIM_400000_NS6detail17trampoline_kernelINS0_13select_configILj256ELj13ELNS0_17block_load_methodE3ELS4_3ELS4_3ELNS0_20block_scan_algorithmE0ELj4294967295EEENS1_25partition_config_selectorILNS1_17partition_subalgoE4EjNS0_10empty_typeEbEEZZNS1_14partition_implILS8_4ELb0ES6_15HIP_vector_typeIjLj2EENS0_17counting_iteratorIjlEEPS9_SG_NS0_5tupleIJPjSI_NS0_16reverse_iteratorISI_EEEEENSH_IJSG_SG_SG_EEES9_SI_JZNS1_25segmented_radix_sort_implINS0_14default_configELb1EPK6__halfPSP_PKlPlN2at6native12_GLOBAL__N_18offset_tEEE10hipError_tPvRmT1_PNSt15iterator_traitsIS13_E10value_typeET2_T3_PNS14_IS19_E10value_typeET4_jRbjT5_S1F_jjP12ihipStream_tbEUljE_ZNSN_ISO_Lb1ESR_SS_SU_SV_SZ_EES10_S11_S12_S13_S17_S18_S19_S1C_S1D_jS1E_jS1F_S1F_jjS1H_bEUljE0_EEES10_S11_S12_S19_S1D_S1F_T6_T7_T9_mT8_S1H_bDpT10_ENKUlT_T0_E_clISt17integral_constantIbLb0EES1V_EEDaS1Q_S1R_EUlS1Q_E_NS1_11comp_targetILNS1_3genE3ELNS1_11target_archE908ELNS1_3gpuE7ELNS1_3repE0EEENS1_30default_config_static_selectorELNS0_4arch9wavefront6targetE0EEEvS13_, .Lfunc_end1668-_ZN7rocprim17ROCPRIM_400000_NS6detail17trampoline_kernelINS0_13select_configILj256ELj13ELNS0_17block_load_methodE3ELS4_3ELS4_3ELNS0_20block_scan_algorithmE0ELj4294967295EEENS1_25partition_config_selectorILNS1_17partition_subalgoE4EjNS0_10empty_typeEbEEZZNS1_14partition_implILS8_4ELb0ES6_15HIP_vector_typeIjLj2EENS0_17counting_iteratorIjlEEPS9_SG_NS0_5tupleIJPjSI_NS0_16reverse_iteratorISI_EEEEENSH_IJSG_SG_SG_EEES9_SI_JZNS1_25segmented_radix_sort_implINS0_14default_configELb1EPK6__halfPSP_PKlPlN2at6native12_GLOBAL__N_18offset_tEEE10hipError_tPvRmT1_PNSt15iterator_traitsIS13_E10value_typeET2_T3_PNS14_IS19_E10value_typeET4_jRbjT5_S1F_jjP12ihipStream_tbEUljE_ZNSN_ISO_Lb1ESR_SS_SU_SV_SZ_EES10_S11_S12_S13_S17_S18_S19_S1C_S1D_jS1E_jS1F_S1F_jjS1H_bEUljE0_EEES10_S11_S12_S19_S1D_S1F_T6_T7_T9_mT8_S1H_bDpT10_ENKUlT_T0_E_clISt17integral_constantIbLb0EES1V_EEDaS1Q_S1R_EUlS1Q_E_NS1_11comp_targetILNS1_3genE3ELNS1_11target_archE908ELNS1_3gpuE7ELNS1_3repE0EEENS1_30default_config_static_selectorELNS0_4arch9wavefront6targetE0EEEvS13_
                                        ; -- End function
	.set _ZN7rocprim17ROCPRIM_400000_NS6detail17trampoline_kernelINS0_13select_configILj256ELj13ELNS0_17block_load_methodE3ELS4_3ELS4_3ELNS0_20block_scan_algorithmE0ELj4294967295EEENS1_25partition_config_selectorILNS1_17partition_subalgoE4EjNS0_10empty_typeEbEEZZNS1_14partition_implILS8_4ELb0ES6_15HIP_vector_typeIjLj2EENS0_17counting_iteratorIjlEEPS9_SG_NS0_5tupleIJPjSI_NS0_16reverse_iteratorISI_EEEEENSH_IJSG_SG_SG_EEES9_SI_JZNS1_25segmented_radix_sort_implINS0_14default_configELb1EPK6__halfPSP_PKlPlN2at6native12_GLOBAL__N_18offset_tEEE10hipError_tPvRmT1_PNSt15iterator_traitsIS13_E10value_typeET2_T3_PNS14_IS19_E10value_typeET4_jRbjT5_S1F_jjP12ihipStream_tbEUljE_ZNSN_ISO_Lb1ESR_SS_SU_SV_SZ_EES10_S11_S12_S13_S17_S18_S19_S1C_S1D_jS1E_jS1F_S1F_jjS1H_bEUljE0_EEES10_S11_S12_S19_S1D_S1F_T6_T7_T9_mT8_S1H_bDpT10_ENKUlT_T0_E_clISt17integral_constantIbLb0EES1V_EEDaS1Q_S1R_EUlS1Q_E_NS1_11comp_targetILNS1_3genE3ELNS1_11target_archE908ELNS1_3gpuE7ELNS1_3repE0EEENS1_30default_config_static_selectorELNS0_4arch9wavefront6targetE0EEEvS13_.num_vgpr, 0
	.set _ZN7rocprim17ROCPRIM_400000_NS6detail17trampoline_kernelINS0_13select_configILj256ELj13ELNS0_17block_load_methodE3ELS4_3ELS4_3ELNS0_20block_scan_algorithmE0ELj4294967295EEENS1_25partition_config_selectorILNS1_17partition_subalgoE4EjNS0_10empty_typeEbEEZZNS1_14partition_implILS8_4ELb0ES6_15HIP_vector_typeIjLj2EENS0_17counting_iteratorIjlEEPS9_SG_NS0_5tupleIJPjSI_NS0_16reverse_iteratorISI_EEEEENSH_IJSG_SG_SG_EEES9_SI_JZNS1_25segmented_radix_sort_implINS0_14default_configELb1EPK6__halfPSP_PKlPlN2at6native12_GLOBAL__N_18offset_tEEE10hipError_tPvRmT1_PNSt15iterator_traitsIS13_E10value_typeET2_T3_PNS14_IS19_E10value_typeET4_jRbjT5_S1F_jjP12ihipStream_tbEUljE_ZNSN_ISO_Lb1ESR_SS_SU_SV_SZ_EES10_S11_S12_S13_S17_S18_S19_S1C_S1D_jS1E_jS1F_S1F_jjS1H_bEUljE0_EEES10_S11_S12_S19_S1D_S1F_T6_T7_T9_mT8_S1H_bDpT10_ENKUlT_T0_E_clISt17integral_constantIbLb0EES1V_EEDaS1Q_S1R_EUlS1Q_E_NS1_11comp_targetILNS1_3genE3ELNS1_11target_archE908ELNS1_3gpuE7ELNS1_3repE0EEENS1_30default_config_static_selectorELNS0_4arch9wavefront6targetE0EEEvS13_.num_agpr, 0
	.set _ZN7rocprim17ROCPRIM_400000_NS6detail17trampoline_kernelINS0_13select_configILj256ELj13ELNS0_17block_load_methodE3ELS4_3ELS4_3ELNS0_20block_scan_algorithmE0ELj4294967295EEENS1_25partition_config_selectorILNS1_17partition_subalgoE4EjNS0_10empty_typeEbEEZZNS1_14partition_implILS8_4ELb0ES6_15HIP_vector_typeIjLj2EENS0_17counting_iteratorIjlEEPS9_SG_NS0_5tupleIJPjSI_NS0_16reverse_iteratorISI_EEEEENSH_IJSG_SG_SG_EEES9_SI_JZNS1_25segmented_radix_sort_implINS0_14default_configELb1EPK6__halfPSP_PKlPlN2at6native12_GLOBAL__N_18offset_tEEE10hipError_tPvRmT1_PNSt15iterator_traitsIS13_E10value_typeET2_T3_PNS14_IS19_E10value_typeET4_jRbjT5_S1F_jjP12ihipStream_tbEUljE_ZNSN_ISO_Lb1ESR_SS_SU_SV_SZ_EES10_S11_S12_S13_S17_S18_S19_S1C_S1D_jS1E_jS1F_S1F_jjS1H_bEUljE0_EEES10_S11_S12_S19_S1D_S1F_T6_T7_T9_mT8_S1H_bDpT10_ENKUlT_T0_E_clISt17integral_constantIbLb0EES1V_EEDaS1Q_S1R_EUlS1Q_E_NS1_11comp_targetILNS1_3genE3ELNS1_11target_archE908ELNS1_3gpuE7ELNS1_3repE0EEENS1_30default_config_static_selectorELNS0_4arch9wavefront6targetE0EEEvS13_.numbered_sgpr, 0
	.set _ZN7rocprim17ROCPRIM_400000_NS6detail17trampoline_kernelINS0_13select_configILj256ELj13ELNS0_17block_load_methodE3ELS4_3ELS4_3ELNS0_20block_scan_algorithmE0ELj4294967295EEENS1_25partition_config_selectorILNS1_17partition_subalgoE4EjNS0_10empty_typeEbEEZZNS1_14partition_implILS8_4ELb0ES6_15HIP_vector_typeIjLj2EENS0_17counting_iteratorIjlEEPS9_SG_NS0_5tupleIJPjSI_NS0_16reverse_iteratorISI_EEEEENSH_IJSG_SG_SG_EEES9_SI_JZNS1_25segmented_radix_sort_implINS0_14default_configELb1EPK6__halfPSP_PKlPlN2at6native12_GLOBAL__N_18offset_tEEE10hipError_tPvRmT1_PNSt15iterator_traitsIS13_E10value_typeET2_T3_PNS14_IS19_E10value_typeET4_jRbjT5_S1F_jjP12ihipStream_tbEUljE_ZNSN_ISO_Lb1ESR_SS_SU_SV_SZ_EES10_S11_S12_S13_S17_S18_S19_S1C_S1D_jS1E_jS1F_S1F_jjS1H_bEUljE0_EEES10_S11_S12_S19_S1D_S1F_T6_T7_T9_mT8_S1H_bDpT10_ENKUlT_T0_E_clISt17integral_constantIbLb0EES1V_EEDaS1Q_S1R_EUlS1Q_E_NS1_11comp_targetILNS1_3genE3ELNS1_11target_archE908ELNS1_3gpuE7ELNS1_3repE0EEENS1_30default_config_static_selectorELNS0_4arch9wavefront6targetE0EEEvS13_.num_named_barrier, 0
	.set _ZN7rocprim17ROCPRIM_400000_NS6detail17trampoline_kernelINS0_13select_configILj256ELj13ELNS0_17block_load_methodE3ELS4_3ELS4_3ELNS0_20block_scan_algorithmE0ELj4294967295EEENS1_25partition_config_selectorILNS1_17partition_subalgoE4EjNS0_10empty_typeEbEEZZNS1_14partition_implILS8_4ELb0ES6_15HIP_vector_typeIjLj2EENS0_17counting_iteratorIjlEEPS9_SG_NS0_5tupleIJPjSI_NS0_16reverse_iteratorISI_EEEEENSH_IJSG_SG_SG_EEES9_SI_JZNS1_25segmented_radix_sort_implINS0_14default_configELb1EPK6__halfPSP_PKlPlN2at6native12_GLOBAL__N_18offset_tEEE10hipError_tPvRmT1_PNSt15iterator_traitsIS13_E10value_typeET2_T3_PNS14_IS19_E10value_typeET4_jRbjT5_S1F_jjP12ihipStream_tbEUljE_ZNSN_ISO_Lb1ESR_SS_SU_SV_SZ_EES10_S11_S12_S13_S17_S18_S19_S1C_S1D_jS1E_jS1F_S1F_jjS1H_bEUljE0_EEES10_S11_S12_S19_S1D_S1F_T6_T7_T9_mT8_S1H_bDpT10_ENKUlT_T0_E_clISt17integral_constantIbLb0EES1V_EEDaS1Q_S1R_EUlS1Q_E_NS1_11comp_targetILNS1_3genE3ELNS1_11target_archE908ELNS1_3gpuE7ELNS1_3repE0EEENS1_30default_config_static_selectorELNS0_4arch9wavefront6targetE0EEEvS13_.private_seg_size, 0
	.set _ZN7rocprim17ROCPRIM_400000_NS6detail17trampoline_kernelINS0_13select_configILj256ELj13ELNS0_17block_load_methodE3ELS4_3ELS4_3ELNS0_20block_scan_algorithmE0ELj4294967295EEENS1_25partition_config_selectorILNS1_17partition_subalgoE4EjNS0_10empty_typeEbEEZZNS1_14partition_implILS8_4ELb0ES6_15HIP_vector_typeIjLj2EENS0_17counting_iteratorIjlEEPS9_SG_NS0_5tupleIJPjSI_NS0_16reverse_iteratorISI_EEEEENSH_IJSG_SG_SG_EEES9_SI_JZNS1_25segmented_radix_sort_implINS0_14default_configELb1EPK6__halfPSP_PKlPlN2at6native12_GLOBAL__N_18offset_tEEE10hipError_tPvRmT1_PNSt15iterator_traitsIS13_E10value_typeET2_T3_PNS14_IS19_E10value_typeET4_jRbjT5_S1F_jjP12ihipStream_tbEUljE_ZNSN_ISO_Lb1ESR_SS_SU_SV_SZ_EES10_S11_S12_S13_S17_S18_S19_S1C_S1D_jS1E_jS1F_S1F_jjS1H_bEUljE0_EEES10_S11_S12_S19_S1D_S1F_T6_T7_T9_mT8_S1H_bDpT10_ENKUlT_T0_E_clISt17integral_constantIbLb0EES1V_EEDaS1Q_S1R_EUlS1Q_E_NS1_11comp_targetILNS1_3genE3ELNS1_11target_archE908ELNS1_3gpuE7ELNS1_3repE0EEENS1_30default_config_static_selectorELNS0_4arch9wavefront6targetE0EEEvS13_.uses_vcc, 0
	.set _ZN7rocprim17ROCPRIM_400000_NS6detail17trampoline_kernelINS0_13select_configILj256ELj13ELNS0_17block_load_methodE3ELS4_3ELS4_3ELNS0_20block_scan_algorithmE0ELj4294967295EEENS1_25partition_config_selectorILNS1_17partition_subalgoE4EjNS0_10empty_typeEbEEZZNS1_14partition_implILS8_4ELb0ES6_15HIP_vector_typeIjLj2EENS0_17counting_iteratorIjlEEPS9_SG_NS0_5tupleIJPjSI_NS0_16reverse_iteratorISI_EEEEENSH_IJSG_SG_SG_EEES9_SI_JZNS1_25segmented_radix_sort_implINS0_14default_configELb1EPK6__halfPSP_PKlPlN2at6native12_GLOBAL__N_18offset_tEEE10hipError_tPvRmT1_PNSt15iterator_traitsIS13_E10value_typeET2_T3_PNS14_IS19_E10value_typeET4_jRbjT5_S1F_jjP12ihipStream_tbEUljE_ZNSN_ISO_Lb1ESR_SS_SU_SV_SZ_EES10_S11_S12_S13_S17_S18_S19_S1C_S1D_jS1E_jS1F_S1F_jjS1H_bEUljE0_EEES10_S11_S12_S19_S1D_S1F_T6_T7_T9_mT8_S1H_bDpT10_ENKUlT_T0_E_clISt17integral_constantIbLb0EES1V_EEDaS1Q_S1R_EUlS1Q_E_NS1_11comp_targetILNS1_3genE3ELNS1_11target_archE908ELNS1_3gpuE7ELNS1_3repE0EEENS1_30default_config_static_selectorELNS0_4arch9wavefront6targetE0EEEvS13_.uses_flat_scratch, 0
	.set _ZN7rocprim17ROCPRIM_400000_NS6detail17trampoline_kernelINS0_13select_configILj256ELj13ELNS0_17block_load_methodE3ELS4_3ELS4_3ELNS0_20block_scan_algorithmE0ELj4294967295EEENS1_25partition_config_selectorILNS1_17partition_subalgoE4EjNS0_10empty_typeEbEEZZNS1_14partition_implILS8_4ELb0ES6_15HIP_vector_typeIjLj2EENS0_17counting_iteratorIjlEEPS9_SG_NS0_5tupleIJPjSI_NS0_16reverse_iteratorISI_EEEEENSH_IJSG_SG_SG_EEES9_SI_JZNS1_25segmented_radix_sort_implINS0_14default_configELb1EPK6__halfPSP_PKlPlN2at6native12_GLOBAL__N_18offset_tEEE10hipError_tPvRmT1_PNSt15iterator_traitsIS13_E10value_typeET2_T3_PNS14_IS19_E10value_typeET4_jRbjT5_S1F_jjP12ihipStream_tbEUljE_ZNSN_ISO_Lb1ESR_SS_SU_SV_SZ_EES10_S11_S12_S13_S17_S18_S19_S1C_S1D_jS1E_jS1F_S1F_jjS1H_bEUljE0_EEES10_S11_S12_S19_S1D_S1F_T6_T7_T9_mT8_S1H_bDpT10_ENKUlT_T0_E_clISt17integral_constantIbLb0EES1V_EEDaS1Q_S1R_EUlS1Q_E_NS1_11comp_targetILNS1_3genE3ELNS1_11target_archE908ELNS1_3gpuE7ELNS1_3repE0EEENS1_30default_config_static_selectorELNS0_4arch9wavefront6targetE0EEEvS13_.has_dyn_sized_stack, 0
	.set _ZN7rocprim17ROCPRIM_400000_NS6detail17trampoline_kernelINS0_13select_configILj256ELj13ELNS0_17block_load_methodE3ELS4_3ELS4_3ELNS0_20block_scan_algorithmE0ELj4294967295EEENS1_25partition_config_selectorILNS1_17partition_subalgoE4EjNS0_10empty_typeEbEEZZNS1_14partition_implILS8_4ELb0ES6_15HIP_vector_typeIjLj2EENS0_17counting_iteratorIjlEEPS9_SG_NS0_5tupleIJPjSI_NS0_16reverse_iteratorISI_EEEEENSH_IJSG_SG_SG_EEES9_SI_JZNS1_25segmented_radix_sort_implINS0_14default_configELb1EPK6__halfPSP_PKlPlN2at6native12_GLOBAL__N_18offset_tEEE10hipError_tPvRmT1_PNSt15iterator_traitsIS13_E10value_typeET2_T3_PNS14_IS19_E10value_typeET4_jRbjT5_S1F_jjP12ihipStream_tbEUljE_ZNSN_ISO_Lb1ESR_SS_SU_SV_SZ_EES10_S11_S12_S13_S17_S18_S19_S1C_S1D_jS1E_jS1F_S1F_jjS1H_bEUljE0_EEES10_S11_S12_S19_S1D_S1F_T6_T7_T9_mT8_S1H_bDpT10_ENKUlT_T0_E_clISt17integral_constantIbLb0EES1V_EEDaS1Q_S1R_EUlS1Q_E_NS1_11comp_targetILNS1_3genE3ELNS1_11target_archE908ELNS1_3gpuE7ELNS1_3repE0EEENS1_30default_config_static_selectorELNS0_4arch9wavefront6targetE0EEEvS13_.has_recursion, 0
	.set _ZN7rocprim17ROCPRIM_400000_NS6detail17trampoline_kernelINS0_13select_configILj256ELj13ELNS0_17block_load_methodE3ELS4_3ELS4_3ELNS0_20block_scan_algorithmE0ELj4294967295EEENS1_25partition_config_selectorILNS1_17partition_subalgoE4EjNS0_10empty_typeEbEEZZNS1_14partition_implILS8_4ELb0ES6_15HIP_vector_typeIjLj2EENS0_17counting_iteratorIjlEEPS9_SG_NS0_5tupleIJPjSI_NS0_16reverse_iteratorISI_EEEEENSH_IJSG_SG_SG_EEES9_SI_JZNS1_25segmented_radix_sort_implINS0_14default_configELb1EPK6__halfPSP_PKlPlN2at6native12_GLOBAL__N_18offset_tEEE10hipError_tPvRmT1_PNSt15iterator_traitsIS13_E10value_typeET2_T3_PNS14_IS19_E10value_typeET4_jRbjT5_S1F_jjP12ihipStream_tbEUljE_ZNSN_ISO_Lb1ESR_SS_SU_SV_SZ_EES10_S11_S12_S13_S17_S18_S19_S1C_S1D_jS1E_jS1F_S1F_jjS1H_bEUljE0_EEES10_S11_S12_S19_S1D_S1F_T6_T7_T9_mT8_S1H_bDpT10_ENKUlT_T0_E_clISt17integral_constantIbLb0EES1V_EEDaS1Q_S1R_EUlS1Q_E_NS1_11comp_targetILNS1_3genE3ELNS1_11target_archE908ELNS1_3gpuE7ELNS1_3repE0EEENS1_30default_config_static_selectorELNS0_4arch9wavefront6targetE0EEEvS13_.has_indirect_call, 0
	.section	.AMDGPU.csdata,"",@progbits
; Kernel info:
; codeLenInByte = 0
; TotalNumSgprs: 0
; NumVgprs: 0
; ScratchSize: 0
; MemoryBound: 0
; FloatMode: 240
; IeeeMode: 1
; LDSByteSize: 0 bytes/workgroup (compile time only)
; SGPRBlocks: 0
; VGPRBlocks: 0
; NumSGPRsForWavesPerEU: 1
; NumVGPRsForWavesPerEU: 1
; Occupancy: 16
; WaveLimiterHint : 0
; COMPUTE_PGM_RSRC2:SCRATCH_EN: 0
; COMPUTE_PGM_RSRC2:USER_SGPR: 6
; COMPUTE_PGM_RSRC2:TRAP_HANDLER: 0
; COMPUTE_PGM_RSRC2:TGID_X_EN: 1
; COMPUTE_PGM_RSRC2:TGID_Y_EN: 0
; COMPUTE_PGM_RSRC2:TGID_Z_EN: 0
; COMPUTE_PGM_RSRC2:TIDIG_COMP_CNT: 0
	.section	.text._ZN7rocprim17ROCPRIM_400000_NS6detail17trampoline_kernelINS0_13select_configILj256ELj13ELNS0_17block_load_methodE3ELS4_3ELS4_3ELNS0_20block_scan_algorithmE0ELj4294967295EEENS1_25partition_config_selectorILNS1_17partition_subalgoE4EjNS0_10empty_typeEbEEZZNS1_14partition_implILS8_4ELb0ES6_15HIP_vector_typeIjLj2EENS0_17counting_iteratorIjlEEPS9_SG_NS0_5tupleIJPjSI_NS0_16reverse_iteratorISI_EEEEENSH_IJSG_SG_SG_EEES9_SI_JZNS1_25segmented_radix_sort_implINS0_14default_configELb1EPK6__halfPSP_PKlPlN2at6native12_GLOBAL__N_18offset_tEEE10hipError_tPvRmT1_PNSt15iterator_traitsIS13_E10value_typeET2_T3_PNS14_IS19_E10value_typeET4_jRbjT5_S1F_jjP12ihipStream_tbEUljE_ZNSN_ISO_Lb1ESR_SS_SU_SV_SZ_EES10_S11_S12_S13_S17_S18_S19_S1C_S1D_jS1E_jS1F_S1F_jjS1H_bEUljE0_EEES10_S11_S12_S19_S1D_S1F_T6_T7_T9_mT8_S1H_bDpT10_ENKUlT_T0_E_clISt17integral_constantIbLb0EES1V_EEDaS1Q_S1R_EUlS1Q_E_NS1_11comp_targetILNS1_3genE2ELNS1_11target_archE906ELNS1_3gpuE6ELNS1_3repE0EEENS1_30default_config_static_selectorELNS0_4arch9wavefront6targetE0EEEvS13_,"axG",@progbits,_ZN7rocprim17ROCPRIM_400000_NS6detail17trampoline_kernelINS0_13select_configILj256ELj13ELNS0_17block_load_methodE3ELS4_3ELS4_3ELNS0_20block_scan_algorithmE0ELj4294967295EEENS1_25partition_config_selectorILNS1_17partition_subalgoE4EjNS0_10empty_typeEbEEZZNS1_14partition_implILS8_4ELb0ES6_15HIP_vector_typeIjLj2EENS0_17counting_iteratorIjlEEPS9_SG_NS0_5tupleIJPjSI_NS0_16reverse_iteratorISI_EEEEENSH_IJSG_SG_SG_EEES9_SI_JZNS1_25segmented_radix_sort_implINS0_14default_configELb1EPK6__halfPSP_PKlPlN2at6native12_GLOBAL__N_18offset_tEEE10hipError_tPvRmT1_PNSt15iterator_traitsIS13_E10value_typeET2_T3_PNS14_IS19_E10value_typeET4_jRbjT5_S1F_jjP12ihipStream_tbEUljE_ZNSN_ISO_Lb1ESR_SS_SU_SV_SZ_EES10_S11_S12_S13_S17_S18_S19_S1C_S1D_jS1E_jS1F_S1F_jjS1H_bEUljE0_EEES10_S11_S12_S19_S1D_S1F_T6_T7_T9_mT8_S1H_bDpT10_ENKUlT_T0_E_clISt17integral_constantIbLb0EES1V_EEDaS1Q_S1R_EUlS1Q_E_NS1_11comp_targetILNS1_3genE2ELNS1_11target_archE906ELNS1_3gpuE6ELNS1_3repE0EEENS1_30default_config_static_selectorELNS0_4arch9wavefront6targetE0EEEvS13_,comdat
	.globl	_ZN7rocprim17ROCPRIM_400000_NS6detail17trampoline_kernelINS0_13select_configILj256ELj13ELNS0_17block_load_methodE3ELS4_3ELS4_3ELNS0_20block_scan_algorithmE0ELj4294967295EEENS1_25partition_config_selectorILNS1_17partition_subalgoE4EjNS0_10empty_typeEbEEZZNS1_14partition_implILS8_4ELb0ES6_15HIP_vector_typeIjLj2EENS0_17counting_iteratorIjlEEPS9_SG_NS0_5tupleIJPjSI_NS0_16reverse_iteratorISI_EEEEENSH_IJSG_SG_SG_EEES9_SI_JZNS1_25segmented_radix_sort_implINS0_14default_configELb1EPK6__halfPSP_PKlPlN2at6native12_GLOBAL__N_18offset_tEEE10hipError_tPvRmT1_PNSt15iterator_traitsIS13_E10value_typeET2_T3_PNS14_IS19_E10value_typeET4_jRbjT5_S1F_jjP12ihipStream_tbEUljE_ZNSN_ISO_Lb1ESR_SS_SU_SV_SZ_EES10_S11_S12_S13_S17_S18_S19_S1C_S1D_jS1E_jS1F_S1F_jjS1H_bEUljE0_EEES10_S11_S12_S19_S1D_S1F_T6_T7_T9_mT8_S1H_bDpT10_ENKUlT_T0_E_clISt17integral_constantIbLb0EES1V_EEDaS1Q_S1R_EUlS1Q_E_NS1_11comp_targetILNS1_3genE2ELNS1_11target_archE906ELNS1_3gpuE6ELNS1_3repE0EEENS1_30default_config_static_selectorELNS0_4arch9wavefront6targetE0EEEvS13_ ; -- Begin function _ZN7rocprim17ROCPRIM_400000_NS6detail17trampoline_kernelINS0_13select_configILj256ELj13ELNS0_17block_load_methodE3ELS4_3ELS4_3ELNS0_20block_scan_algorithmE0ELj4294967295EEENS1_25partition_config_selectorILNS1_17partition_subalgoE4EjNS0_10empty_typeEbEEZZNS1_14partition_implILS8_4ELb0ES6_15HIP_vector_typeIjLj2EENS0_17counting_iteratorIjlEEPS9_SG_NS0_5tupleIJPjSI_NS0_16reverse_iteratorISI_EEEEENSH_IJSG_SG_SG_EEES9_SI_JZNS1_25segmented_radix_sort_implINS0_14default_configELb1EPK6__halfPSP_PKlPlN2at6native12_GLOBAL__N_18offset_tEEE10hipError_tPvRmT1_PNSt15iterator_traitsIS13_E10value_typeET2_T3_PNS14_IS19_E10value_typeET4_jRbjT5_S1F_jjP12ihipStream_tbEUljE_ZNSN_ISO_Lb1ESR_SS_SU_SV_SZ_EES10_S11_S12_S13_S17_S18_S19_S1C_S1D_jS1E_jS1F_S1F_jjS1H_bEUljE0_EEES10_S11_S12_S19_S1D_S1F_T6_T7_T9_mT8_S1H_bDpT10_ENKUlT_T0_E_clISt17integral_constantIbLb0EES1V_EEDaS1Q_S1R_EUlS1Q_E_NS1_11comp_targetILNS1_3genE2ELNS1_11target_archE906ELNS1_3gpuE6ELNS1_3repE0EEENS1_30default_config_static_selectorELNS0_4arch9wavefront6targetE0EEEvS13_
	.p2align	8
	.type	_ZN7rocprim17ROCPRIM_400000_NS6detail17trampoline_kernelINS0_13select_configILj256ELj13ELNS0_17block_load_methodE3ELS4_3ELS4_3ELNS0_20block_scan_algorithmE0ELj4294967295EEENS1_25partition_config_selectorILNS1_17partition_subalgoE4EjNS0_10empty_typeEbEEZZNS1_14partition_implILS8_4ELb0ES6_15HIP_vector_typeIjLj2EENS0_17counting_iteratorIjlEEPS9_SG_NS0_5tupleIJPjSI_NS0_16reverse_iteratorISI_EEEEENSH_IJSG_SG_SG_EEES9_SI_JZNS1_25segmented_radix_sort_implINS0_14default_configELb1EPK6__halfPSP_PKlPlN2at6native12_GLOBAL__N_18offset_tEEE10hipError_tPvRmT1_PNSt15iterator_traitsIS13_E10value_typeET2_T3_PNS14_IS19_E10value_typeET4_jRbjT5_S1F_jjP12ihipStream_tbEUljE_ZNSN_ISO_Lb1ESR_SS_SU_SV_SZ_EES10_S11_S12_S13_S17_S18_S19_S1C_S1D_jS1E_jS1F_S1F_jjS1H_bEUljE0_EEES10_S11_S12_S19_S1D_S1F_T6_T7_T9_mT8_S1H_bDpT10_ENKUlT_T0_E_clISt17integral_constantIbLb0EES1V_EEDaS1Q_S1R_EUlS1Q_E_NS1_11comp_targetILNS1_3genE2ELNS1_11target_archE906ELNS1_3gpuE6ELNS1_3repE0EEENS1_30default_config_static_selectorELNS0_4arch9wavefront6targetE0EEEvS13_,@function
_ZN7rocprim17ROCPRIM_400000_NS6detail17trampoline_kernelINS0_13select_configILj256ELj13ELNS0_17block_load_methodE3ELS4_3ELS4_3ELNS0_20block_scan_algorithmE0ELj4294967295EEENS1_25partition_config_selectorILNS1_17partition_subalgoE4EjNS0_10empty_typeEbEEZZNS1_14partition_implILS8_4ELb0ES6_15HIP_vector_typeIjLj2EENS0_17counting_iteratorIjlEEPS9_SG_NS0_5tupleIJPjSI_NS0_16reverse_iteratorISI_EEEEENSH_IJSG_SG_SG_EEES9_SI_JZNS1_25segmented_radix_sort_implINS0_14default_configELb1EPK6__halfPSP_PKlPlN2at6native12_GLOBAL__N_18offset_tEEE10hipError_tPvRmT1_PNSt15iterator_traitsIS13_E10value_typeET2_T3_PNS14_IS19_E10value_typeET4_jRbjT5_S1F_jjP12ihipStream_tbEUljE_ZNSN_ISO_Lb1ESR_SS_SU_SV_SZ_EES10_S11_S12_S13_S17_S18_S19_S1C_S1D_jS1E_jS1F_S1F_jjS1H_bEUljE0_EEES10_S11_S12_S19_S1D_S1F_T6_T7_T9_mT8_S1H_bDpT10_ENKUlT_T0_E_clISt17integral_constantIbLb0EES1V_EEDaS1Q_S1R_EUlS1Q_E_NS1_11comp_targetILNS1_3genE2ELNS1_11target_archE906ELNS1_3gpuE6ELNS1_3repE0EEENS1_30default_config_static_selectorELNS0_4arch9wavefront6targetE0EEEvS13_: ; @_ZN7rocprim17ROCPRIM_400000_NS6detail17trampoline_kernelINS0_13select_configILj256ELj13ELNS0_17block_load_methodE3ELS4_3ELS4_3ELNS0_20block_scan_algorithmE0ELj4294967295EEENS1_25partition_config_selectorILNS1_17partition_subalgoE4EjNS0_10empty_typeEbEEZZNS1_14partition_implILS8_4ELb0ES6_15HIP_vector_typeIjLj2EENS0_17counting_iteratorIjlEEPS9_SG_NS0_5tupleIJPjSI_NS0_16reverse_iteratorISI_EEEEENSH_IJSG_SG_SG_EEES9_SI_JZNS1_25segmented_radix_sort_implINS0_14default_configELb1EPK6__halfPSP_PKlPlN2at6native12_GLOBAL__N_18offset_tEEE10hipError_tPvRmT1_PNSt15iterator_traitsIS13_E10value_typeET2_T3_PNS14_IS19_E10value_typeET4_jRbjT5_S1F_jjP12ihipStream_tbEUljE_ZNSN_ISO_Lb1ESR_SS_SU_SV_SZ_EES10_S11_S12_S13_S17_S18_S19_S1C_S1D_jS1E_jS1F_S1F_jjS1H_bEUljE0_EEES10_S11_S12_S19_S1D_S1F_T6_T7_T9_mT8_S1H_bDpT10_ENKUlT_T0_E_clISt17integral_constantIbLb0EES1V_EEDaS1Q_S1R_EUlS1Q_E_NS1_11comp_targetILNS1_3genE2ELNS1_11target_archE906ELNS1_3gpuE6ELNS1_3repE0EEENS1_30default_config_static_selectorELNS0_4arch9wavefront6targetE0EEEvS13_
; %bb.0:
	.section	.rodata,"a",@progbits
	.p2align	6, 0x0
	.amdhsa_kernel _ZN7rocprim17ROCPRIM_400000_NS6detail17trampoline_kernelINS0_13select_configILj256ELj13ELNS0_17block_load_methodE3ELS4_3ELS4_3ELNS0_20block_scan_algorithmE0ELj4294967295EEENS1_25partition_config_selectorILNS1_17partition_subalgoE4EjNS0_10empty_typeEbEEZZNS1_14partition_implILS8_4ELb0ES6_15HIP_vector_typeIjLj2EENS0_17counting_iteratorIjlEEPS9_SG_NS0_5tupleIJPjSI_NS0_16reverse_iteratorISI_EEEEENSH_IJSG_SG_SG_EEES9_SI_JZNS1_25segmented_radix_sort_implINS0_14default_configELb1EPK6__halfPSP_PKlPlN2at6native12_GLOBAL__N_18offset_tEEE10hipError_tPvRmT1_PNSt15iterator_traitsIS13_E10value_typeET2_T3_PNS14_IS19_E10value_typeET4_jRbjT5_S1F_jjP12ihipStream_tbEUljE_ZNSN_ISO_Lb1ESR_SS_SU_SV_SZ_EES10_S11_S12_S13_S17_S18_S19_S1C_S1D_jS1E_jS1F_S1F_jjS1H_bEUljE0_EEES10_S11_S12_S19_S1D_S1F_T6_T7_T9_mT8_S1H_bDpT10_ENKUlT_T0_E_clISt17integral_constantIbLb0EES1V_EEDaS1Q_S1R_EUlS1Q_E_NS1_11comp_targetILNS1_3genE2ELNS1_11target_archE906ELNS1_3gpuE6ELNS1_3repE0EEENS1_30default_config_static_selectorELNS0_4arch9wavefront6targetE0EEEvS13_
		.amdhsa_group_segment_fixed_size 0
		.amdhsa_private_segment_fixed_size 0
		.amdhsa_kernarg_size 176
		.amdhsa_user_sgpr_count 6
		.amdhsa_user_sgpr_private_segment_buffer 1
		.amdhsa_user_sgpr_dispatch_ptr 0
		.amdhsa_user_sgpr_queue_ptr 0
		.amdhsa_user_sgpr_kernarg_segment_ptr 1
		.amdhsa_user_sgpr_dispatch_id 0
		.amdhsa_user_sgpr_flat_scratch_init 0
		.amdhsa_user_sgpr_private_segment_size 0
		.amdhsa_wavefront_size32 1
		.amdhsa_uses_dynamic_stack 0
		.amdhsa_system_sgpr_private_segment_wavefront_offset 0
		.amdhsa_system_sgpr_workgroup_id_x 1
		.amdhsa_system_sgpr_workgroup_id_y 0
		.amdhsa_system_sgpr_workgroup_id_z 0
		.amdhsa_system_sgpr_workgroup_info 0
		.amdhsa_system_vgpr_workitem_id 0
		.amdhsa_next_free_vgpr 1
		.amdhsa_next_free_sgpr 1
		.amdhsa_reserve_vcc 0
		.amdhsa_reserve_flat_scratch 0
		.amdhsa_float_round_mode_32 0
		.amdhsa_float_round_mode_16_64 0
		.amdhsa_float_denorm_mode_32 3
		.amdhsa_float_denorm_mode_16_64 3
		.amdhsa_dx10_clamp 1
		.amdhsa_ieee_mode 1
		.amdhsa_fp16_overflow 0
		.amdhsa_workgroup_processor_mode 1
		.amdhsa_memory_ordered 1
		.amdhsa_forward_progress 1
		.amdhsa_shared_vgpr_count 0
		.amdhsa_exception_fp_ieee_invalid_op 0
		.amdhsa_exception_fp_denorm_src 0
		.amdhsa_exception_fp_ieee_div_zero 0
		.amdhsa_exception_fp_ieee_overflow 0
		.amdhsa_exception_fp_ieee_underflow 0
		.amdhsa_exception_fp_ieee_inexact 0
		.amdhsa_exception_int_div_zero 0
	.end_amdhsa_kernel
	.section	.text._ZN7rocprim17ROCPRIM_400000_NS6detail17trampoline_kernelINS0_13select_configILj256ELj13ELNS0_17block_load_methodE3ELS4_3ELS4_3ELNS0_20block_scan_algorithmE0ELj4294967295EEENS1_25partition_config_selectorILNS1_17partition_subalgoE4EjNS0_10empty_typeEbEEZZNS1_14partition_implILS8_4ELb0ES6_15HIP_vector_typeIjLj2EENS0_17counting_iteratorIjlEEPS9_SG_NS0_5tupleIJPjSI_NS0_16reverse_iteratorISI_EEEEENSH_IJSG_SG_SG_EEES9_SI_JZNS1_25segmented_radix_sort_implINS0_14default_configELb1EPK6__halfPSP_PKlPlN2at6native12_GLOBAL__N_18offset_tEEE10hipError_tPvRmT1_PNSt15iterator_traitsIS13_E10value_typeET2_T3_PNS14_IS19_E10value_typeET4_jRbjT5_S1F_jjP12ihipStream_tbEUljE_ZNSN_ISO_Lb1ESR_SS_SU_SV_SZ_EES10_S11_S12_S13_S17_S18_S19_S1C_S1D_jS1E_jS1F_S1F_jjS1H_bEUljE0_EEES10_S11_S12_S19_S1D_S1F_T6_T7_T9_mT8_S1H_bDpT10_ENKUlT_T0_E_clISt17integral_constantIbLb0EES1V_EEDaS1Q_S1R_EUlS1Q_E_NS1_11comp_targetILNS1_3genE2ELNS1_11target_archE906ELNS1_3gpuE6ELNS1_3repE0EEENS1_30default_config_static_selectorELNS0_4arch9wavefront6targetE0EEEvS13_,"axG",@progbits,_ZN7rocprim17ROCPRIM_400000_NS6detail17trampoline_kernelINS0_13select_configILj256ELj13ELNS0_17block_load_methodE3ELS4_3ELS4_3ELNS0_20block_scan_algorithmE0ELj4294967295EEENS1_25partition_config_selectorILNS1_17partition_subalgoE4EjNS0_10empty_typeEbEEZZNS1_14partition_implILS8_4ELb0ES6_15HIP_vector_typeIjLj2EENS0_17counting_iteratorIjlEEPS9_SG_NS0_5tupleIJPjSI_NS0_16reverse_iteratorISI_EEEEENSH_IJSG_SG_SG_EEES9_SI_JZNS1_25segmented_radix_sort_implINS0_14default_configELb1EPK6__halfPSP_PKlPlN2at6native12_GLOBAL__N_18offset_tEEE10hipError_tPvRmT1_PNSt15iterator_traitsIS13_E10value_typeET2_T3_PNS14_IS19_E10value_typeET4_jRbjT5_S1F_jjP12ihipStream_tbEUljE_ZNSN_ISO_Lb1ESR_SS_SU_SV_SZ_EES10_S11_S12_S13_S17_S18_S19_S1C_S1D_jS1E_jS1F_S1F_jjS1H_bEUljE0_EEES10_S11_S12_S19_S1D_S1F_T6_T7_T9_mT8_S1H_bDpT10_ENKUlT_T0_E_clISt17integral_constantIbLb0EES1V_EEDaS1Q_S1R_EUlS1Q_E_NS1_11comp_targetILNS1_3genE2ELNS1_11target_archE906ELNS1_3gpuE6ELNS1_3repE0EEENS1_30default_config_static_selectorELNS0_4arch9wavefront6targetE0EEEvS13_,comdat
.Lfunc_end1669:
	.size	_ZN7rocprim17ROCPRIM_400000_NS6detail17trampoline_kernelINS0_13select_configILj256ELj13ELNS0_17block_load_methodE3ELS4_3ELS4_3ELNS0_20block_scan_algorithmE0ELj4294967295EEENS1_25partition_config_selectorILNS1_17partition_subalgoE4EjNS0_10empty_typeEbEEZZNS1_14partition_implILS8_4ELb0ES6_15HIP_vector_typeIjLj2EENS0_17counting_iteratorIjlEEPS9_SG_NS0_5tupleIJPjSI_NS0_16reverse_iteratorISI_EEEEENSH_IJSG_SG_SG_EEES9_SI_JZNS1_25segmented_radix_sort_implINS0_14default_configELb1EPK6__halfPSP_PKlPlN2at6native12_GLOBAL__N_18offset_tEEE10hipError_tPvRmT1_PNSt15iterator_traitsIS13_E10value_typeET2_T3_PNS14_IS19_E10value_typeET4_jRbjT5_S1F_jjP12ihipStream_tbEUljE_ZNSN_ISO_Lb1ESR_SS_SU_SV_SZ_EES10_S11_S12_S13_S17_S18_S19_S1C_S1D_jS1E_jS1F_S1F_jjS1H_bEUljE0_EEES10_S11_S12_S19_S1D_S1F_T6_T7_T9_mT8_S1H_bDpT10_ENKUlT_T0_E_clISt17integral_constantIbLb0EES1V_EEDaS1Q_S1R_EUlS1Q_E_NS1_11comp_targetILNS1_3genE2ELNS1_11target_archE906ELNS1_3gpuE6ELNS1_3repE0EEENS1_30default_config_static_selectorELNS0_4arch9wavefront6targetE0EEEvS13_, .Lfunc_end1669-_ZN7rocprim17ROCPRIM_400000_NS6detail17trampoline_kernelINS0_13select_configILj256ELj13ELNS0_17block_load_methodE3ELS4_3ELS4_3ELNS0_20block_scan_algorithmE0ELj4294967295EEENS1_25partition_config_selectorILNS1_17partition_subalgoE4EjNS0_10empty_typeEbEEZZNS1_14partition_implILS8_4ELb0ES6_15HIP_vector_typeIjLj2EENS0_17counting_iteratorIjlEEPS9_SG_NS0_5tupleIJPjSI_NS0_16reverse_iteratorISI_EEEEENSH_IJSG_SG_SG_EEES9_SI_JZNS1_25segmented_radix_sort_implINS0_14default_configELb1EPK6__halfPSP_PKlPlN2at6native12_GLOBAL__N_18offset_tEEE10hipError_tPvRmT1_PNSt15iterator_traitsIS13_E10value_typeET2_T3_PNS14_IS19_E10value_typeET4_jRbjT5_S1F_jjP12ihipStream_tbEUljE_ZNSN_ISO_Lb1ESR_SS_SU_SV_SZ_EES10_S11_S12_S13_S17_S18_S19_S1C_S1D_jS1E_jS1F_S1F_jjS1H_bEUljE0_EEES10_S11_S12_S19_S1D_S1F_T6_T7_T9_mT8_S1H_bDpT10_ENKUlT_T0_E_clISt17integral_constantIbLb0EES1V_EEDaS1Q_S1R_EUlS1Q_E_NS1_11comp_targetILNS1_3genE2ELNS1_11target_archE906ELNS1_3gpuE6ELNS1_3repE0EEENS1_30default_config_static_selectorELNS0_4arch9wavefront6targetE0EEEvS13_
                                        ; -- End function
	.set _ZN7rocprim17ROCPRIM_400000_NS6detail17trampoline_kernelINS0_13select_configILj256ELj13ELNS0_17block_load_methodE3ELS4_3ELS4_3ELNS0_20block_scan_algorithmE0ELj4294967295EEENS1_25partition_config_selectorILNS1_17partition_subalgoE4EjNS0_10empty_typeEbEEZZNS1_14partition_implILS8_4ELb0ES6_15HIP_vector_typeIjLj2EENS0_17counting_iteratorIjlEEPS9_SG_NS0_5tupleIJPjSI_NS0_16reverse_iteratorISI_EEEEENSH_IJSG_SG_SG_EEES9_SI_JZNS1_25segmented_radix_sort_implINS0_14default_configELb1EPK6__halfPSP_PKlPlN2at6native12_GLOBAL__N_18offset_tEEE10hipError_tPvRmT1_PNSt15iterator_traitsIS13_E10value_typeET2_T3_PNS14_IS19_E10value_typeET4_jRbjT5_S1F_jjP12ihipStream_tbEUljE_ZNSN_ISO_Lb1ESR_SS_SU_SV_SZ_EES10_S11_S12_S13_S17_S18_S19_S1C_S1D_jS1E_jS1F_S1F_jjS1H_bEUljE0_EEES10_S11_S12_S19_S1D_S1F_T6_T7_T9_mT8_S1H_bDpT10_ENKUlT_T0_E_clISt17integral_constantIbLb0EES1V_EEDaS1Q_S1R_EUlS1Q_E_NS1_11comp_targetILNS1_3genE2ELNS1_11target_archE906ELNS1_3gpuE6ELNS1_3repE0EEENS1_30default_config_static_selectorELNS0_4arch9wavefront6targetE0EEEvS13_.num_vgpr, 0
	.set _ZN7rocprim17ROCPRIM_400000_NS6detail17trampoline_kernelINS0_13select_configILj256ELj13ELNS0_17block_load_methodE3ELS4_3ELS4_3ELNS0_20block_scan_algorithmE0ELj4294967295EEENS1_25partition_config_selectorILNS1_17partition_subalgoE4EjNS0_10empty_typeEbEEZZNS1_14partition_implILS8_4ELb0ES6_15HIP_vector_typeIjLj2EENS0_17counting_iteratorIjlEEPS9_SG_NS0_5tupleIJPjSI_NS0_16reverse_iteratorISI_EEEEENSH_IJSG_SG_SG_EEES9_SI_JZNS1_25segmented_radix_sort_implINS0_14default_configELb1EPK6__halfPSP_PKlPlN2at6native12_GLOBAL__N_18offset_tEEE10hipError_tPvRmT1_PNSt15iterator_traitsIS13_E10value_typeET2_T3_PNS14_IS19_E10value_typeET4_jRbjT5_S1F_jjP12ihipStream_tbEUljE_ZNSN_ISO_Lb1ESR_SS_SU_SV_SZ_EES10_S11_S12_S13_S17_S18_S19_S1C_S1D_jS1E_jS1F_S1F_jjS1H_bEUljE0_EEES10_S11_S12_S19_S1D_S1F_T6_T7_T9_mT8_S1H_bDpT10_ENKUlT_T0_E_clISt17integral_constantIbLb0EES1V_EEDaS1Q_S1R_EUlS1Q_E_NS1_11comp_targetILNS1_3genE2ELNS1_11target_archE906ELNS1_3gpuE6ELNS1_3repE0EEENS1_30default_config_static_selectorELNS0_4arch9wavefront6targetE0EEEvS13_.num_agpr, 0
	.set _ZN7rocprim17ROCPRIM_400000_NS6detail17trampoline_kernelINS0_13select_configILj256ELj13ELNS0_17block_load_methodE3ELS4_3ELS4_3ELNS0_20block_scan_algorithmE0ELj4294967295EEENS1_25partition_config_selectorILNS1_17partition_subalgoE4EjNS0_10empty_typeEbEEZZNS1_14partition_implILS8_4ELb0ES6_15HIP_vector_typeIjLj2EENS0_17counting_iteratorIjlEEPS9_SG_NS0_5tupleIJPjSI_NS0_16reverse_iteratorISI_EEEEENSH_IJSG_SG_SG_EEES9_SI_JZNS1_25segmented_radix_sort_implINS0_14default_configELb1EPK6__halfPSP_PKlPlN2at6native12_GLOBAL__N_18offset_tEEE10hipError_tPvRmT1_PNSt15iterator_traitsIS13_E10value_typeET2_T3_PNS14_IS19_E10value_typeET4_jRbjT5_S1F_jjP12ihipStream_tbEUljE_ZNSN_ISO_Lb1ESR_SS_SU_SV_SZ_EES10_S11_S12_S13_S17_S18_S19_S1C_S1D_jS1E_jS1F_S1F_jjS1H_bEUljE0_EEES10_S11_S12_S19_S1D_S1F_T6_T7_T9_mT8_S1H_bDpT10_ENKUlT_T0_E_clISt17integral_constantIbLb0EES1V_EEDaS1Q_S1R_EUlS1Q_E_NS1_11comp_targetILNS1_3genE2ELNS1_11target_archE906ELNS1_3gpuE6ELNS1_3repE0EEENS1_30default_config_static_selectorELNS0_4arch9wavefront6targetE0EEEvS13_.numbered_sgpr, 0
	.set _ZN7rocprim17ROCPRIM_400000_NS6detail17trampoline_kernelINS0_13select_configILj256ELj13ELNS0_17block_load_methodE3ELS4_3ELS4_3ELNS0_20block_scan_algorithmE0ELj4294967295EEENS1_25partition_config_selectorILNS1_17partition_subalgoE4EjNS0_10empty_typeEbEEZZNS1_14partition_implILS8_4ELb0ES6_15HIP_vector_typeIjLj2EENS0_17counting_iteratorIjlEEPS9_SG_NS0_5tupleIJPjSI_NS0_16reverse_iteratorISI_EEEEENSH_IJSG_SG_SG_EEES9_SI_JZNS1_25segmented_radix_sort_implINS0_14default_configELb1EPK6__halfPSP_PKlPlN2at6native12_GLOBAL__N_18offset_tEEE10hipError_tPvRmT1_PNSt15iterator_traitsIS13_E10value_typeET2_T3_PNS14_IS19_E10value_typeET4_jRbjT5_S1F_jjP12ihipStream_tbEUljE_ZNSN_ISO_Lb1ESR_SS_SU_SV_SZ_EES10_S11_S12_S13_S17_S18_S19_S1C_S1D_jS1E_jS1F_S1F_jjS1H_bEUljE0_EEES10_S11_S12_S19_S1D_S1F_T6_T7_T9_mT8_S1H_bDpT10_ENKUlT_T0_E_clISt17integral_constantIbLb0EES1V_EEDaS1Q_S1R_EUlS1Q_E_NS1_11comp_targetILNS1_3genE2ELNS1_11target_archE906ELNS1_3gpuE6ELNS1_3repE0EEENS1_30default_config_static_selectorELNS0_4arch9wavefront6targetE0EEEvS13_.num_named_barrier, 0
	.set _ZN7rocprim17ROCPRIM_400000_NS6detail17trampoline_kernelINS0_13select_configILj256ELj13ELNS0_17block_load_methodE3ELS4_3ELS4_3ELNS0_20block_scan_algorithmE0ELj4294967295EEENS1_25partition_config_selectorILNS1_17partition_subalgoE4EjNS0_10empty_typeEbEEZZNS1_14partition_implILS8_4ELb0ES6_15HIP_vector_typeIjLj2EENS0_17counting_iteratorIjlEEPS9_SG_NS0_5tupleIJPjSI_NS0_16reverse_iteratorISI_EEEEENSH_IJSG_SG_SG_EEES9_SI_JZNS1_25segmented_radix_sort_implINS0_14default_configELb1EPK6__halfPSP_PKlPlN2at6native12_GLOBAL__N_18offset_tEEE10hipError_tPvRmT1_PNSt15iterator_traitsIS13_E10value_typeET2_T3_PNS14_IS19_E10value_typeET4_jRbjT5_S1F_jjP12ihipStream_tbEUljE_ZNSN_ISO_Lb1ESR_SS_SU_SV_SZ_EES10_S11_S12_S13_S17_S18_S19_S1C_S1D_jS1E_jS1F_S1F_jjS1H_bEUljE0_EEES10_S11_S12_S19_S1D_S1F_T6_T7_T9_mT8_S1H_bDpT10_ENKUlT_T0_E_clISt17integral_constantIbLb0EES1V_EEDaS1Q_S1R_EUlS1Q_E_NS1_11comp_targetILNS1_3genE2ELNS1_11target_archE906ELNS1_3gpuE6ELNS1_3repE0EEENS1_30default_config_static_selectorELNS0_4arch9wavefront6targetE0EEEvS13_.private_seg_size, 0
	.set _ZN7rocprim17ROCPRIM_400000_NS6detail17trampoline_kernelINS0_13select_configILj256ELj13ELNS0_17block_load_methodE3ELS4_3ELS4_3ELNS0_20block_scan_algorithmE0ELj4294967295EEENS1_25partition_config_selectorILNS1_17partition_subalgoE4EjNS0_10empty_typeEbEEZZNS1_14partition_implILS8_4ELb0ES6_15HIP_vector_typeIjLj2EENS0_17counting_iteratorIjlEEPS9_SG_NS0_5tupleIJPjSI_NS0_16reverse_iteratorISI_EEEEENSH_IJSG_SG_SG_EEES9_SI_JZNS1_25segmented_radix_sort_implINS0_14default_configELb1EPK6__halfPSP_PKlPlN2at6native12_GLOBAL__N_18offset_tEEE10hipError_tPvRmT1_PNSt15iterator_traitsIS13_E10value_typeET2_T3_PNS14_IS19_E10value_typeET4_jRbjT5_S1F_jjP12ihipStream_tbEUljE_ZNSN_ISO_Lb1ESR_SS_SU_SV_SZ_EES10_S11_S12_S13_S17_S18_S19_S1C_S1D_jS1E_jS1F_S1F_jjS1H_bEUljE0_EEES10_S11_S12_S19_S1D_S1F_T6_T7_T9_mT8_S1H_bDpT10_ENKUlT_T0_E_clISt17integral_constantIbLb0EES1V_EEDaS1Q_S1R_EUlS1Q_E_NS1_11comp_targetILNS1_3genE2ELNS1_11target_archE906ELNS1_3gpuE6ELNS1_3repE0EEENS1_30default_config_static_selectorELNS0_4arch9wavefront6targetE0EEEvS13_.uses_vcc, 0
	.set _ZN7rocprim17ROCPRIM_400000_NS6detail17trampoline_kernelINS0_13select_configILj256ELj13ELNS0_17block_load_methodE3ELS4_3ELS4_3ELNS0_20block_scan_algorithmE0ELj4294967295EEENS1_25partition_config_selectorILNS1_17partition_subalgoE4EjNS0_10empty_typeEbEEZZNS1_14partition_implILS8_4ELb0ES6_15HIP_vector_typeIjLj2EENS0_17counting_iteratorIjlEEPS9_SG_NS0_5tupleIJPjSI_NS0_16reverse_iteratorISI_EEEEENSH_IJSG_SG_SG_EEES9_SI_JZNS1_25segmented_radix_sort_implINS0_14default_configELb1EPK6__halfPSP_PKlPlN2at6native12_GLOBAL__N_18offset_tEEE10hipError_tPvRmT1_PNSt15iterator_traitsIS13_E10value_typeET2_T3_PNS14_IS19_E10value_typeET4_jRbjT5_S1F_jjP12ihipStream_tbEUljE_ZNSN_ISO_Lb1ESR_SS_SU_SV_SZ_EES10_S11_S12_S13_S17_S18_S19_S1C_S1D_jS1E_jS1F_S1F_jjS1H_bEUljE0_EEES10_S11_S12_S19_S1D_S1F_T6_T7_T9_mT8_S1H_bDpT10_ENKUlT_T0_E_clISt17integral_constantIbLb0EES1V_EEDaS1Q_S1R_EUlS1Q_E_NS1_11comp_targetILNS1_3genE2ELNS1_11target_archE906ELNS1_3gpuE6ELNS1_3repE0EEENS1_30default_config_static_selectorELNS0_4arch9wavefront6targetE0EEEvS13_.uses_flat_scratch, 0
	.set _ZN7rocprim17ROCPRIM_400000_NS6detail17trampoline_kernelINS0_13select_configILj256ELj13ELNS0_17block_load_methodE3ELS4_3ELS4_3ELNS0_20block_scan_algorithmE0ELj4294967295EEENS1_25partition_config_selectorILNS1_17partition_subalgoE4EjNS0_10empty_typeEbEEZZNS1_14partition_implILS8_4ELb0ES6_15HIP_vector_typeIjLj2EENS0_17counting_iteratorIjlEEPS9_SG_NS0_5tupleIJPjSI_NS0_16reverse_iteratorISI_EEEEENSH_IJSG_SG_SG_EEES9_SI_JZNS1_25segmented_radix_sort_implINS0_14default_configELb1EPK6__halfPSP_PKlPlN2at6native12_GLOBAL__N_18offset_tEEE10hipError_tPvRmT1_PNSt15iterator_traitsIS13_E10value_typeET2_T3_PNS14_IS19_E10value_typeET4_jRbjT5_S1F_jjP12ihipStream_tbEUljE_ZNSN_ISO_Lb1ESR_SS_SU_SV_SZ_EES10_S11_S12_S13_S17_S18_S19_S1C_S1D_jS1E_jS1F_S1F_jjS1H_bEUljE0_EEES10_S11_S12_S19_S1D_S1F_T6_T7_T9_mT8_S1H_bDpT10_ENKUlT_T0_E_clISt17integral_constantIbLb0EES1V_EEDaS1Q_S1R_EUlS1Q_E_NS1_11comp_targetILNS1_3genE2ELNS1_11target_archE906ELNS1_3gpuE6ELNS1_3repE0EEENS1_30default_config_static_selectorELNS0_4arch9wavefront6targetE0EEEvS13_.has_dyn_sized_stack, 0
	.set _ZN7rocprim17ROCPRIM_400000_NS6detail17trampoline_kernelINS0_13select_configILj256ELj13ELNS0_17block_load_methodE3ELS4_3ELS4_3ELNS0_20block_scan_algorithmE0ELj4294967295EEENS1_25partition_config_selectorILNS1_17partition_subalgoE4EjNS0_10empty_typeEbEEZZNS1_14partition_implILS8_4ELb0ES6_15HIP_vector_typeIjLj2EENS0_17counting_iteratorIjlEEPS9_SG_NS0_5tupleIJPjSI_NS0_16reverse_iteratorISI_EEEEENSH_IJSG_SG_SG_EEES9_SI_JZNS1_25segmented_radix_sort_implINS0_14default_configELb1EPK6__halfPSP_PKlPlN2at6native12_GLOBAL__N_18offset_tEEE10hipError_tPvRmT1_PNSt15iterator_traitsIS13_E10value_typeET2_T3_PNS14_IS19_E10value_typeET4_jRbjT5_S1F_jjP12ihipStream_tbEUljE_ZNSN_ISO_Lb1ESR_SS_SU_SV_SZ_EES10_S11_S12_S13_S17_S18_S19_S1C_S1D_jS1E_jS1F_S1F_jjS1H_bEUljE0_EEES10_S11_S12_S19_S1D_S1F_T6_T7_T9_mT8_S1H_bDpT10_ENKUlT_T0_E_clISt17integral_constantIbLb0EES1V_EEDaS1Q_S1R_EUlS1Q_E_NS1_11comp_targetILNS1_3genE2ELNS1_11target_archE906ELNS1_3gpuE6ELNS1_3repE0EEENS1_30default_config_static_selectorELNS0_4arch9wavefront6targetE0EEEvS13_.has_recursion, 0
	.set _ZN7rocprim17ROCPRIM_400000_NS6detail17trampoline_kernelINS0_13select_configILj256ELj13ELNS0_17block_load_methodE3ELS4_3ELS4_3ELNS0_20block_scan_algorithmE0ELj4294967295EEENS1_25partition_config_selectorILNS1_17partition_subalgoE4EjNS0_10empty_typeEbEEZZNS1_14partition_implILS8_4ELb0ES6_15HIP_vector_typeIjLj2EENS0_17counting_iteratorIjlEEPS9_SG_NS0_5tupleIJPjSI_NS0_16reverse_iteratorISI_EEEEENSH_IJSG_SG_SG_EEES9_SI_JZNS1_25segmented_radix_sort_implINS0_14default_configELb1EPK6__halfPSP_PKlPlN2at6native12_GLOBAL__N_18offset_tEEE10hipError_tPvRmT1_PNSt15iterator_traitsIS13_E10value_typeET2_T3_PNS14_IS19_E10value_typeET4_jRbjT5_S1F_jjP12ihipStream_tbEUljE_ZNSN_ISO_Lb1ESR_SS_SU_SV_SZ_EES10_S11_S12_S13_S17_S18_S19_S1C_S1D_jS1E_jS1F_S1F_jjS1H_bEUljE0_EEES10_S11_S12_S19_S1D_S1F_T6_T7_T9_mT8_S1H_bDpT10_ENKUlT_T0_E_clISt17integral_constantIbLb0EES1V_EEDaS1Q_S1R_EUlS1Q_E_NS1_11comp_targetILNS1_3genE2ELNS1_11target_archE906ELNS1_3gpuE6ELNS1_3repE0EEENS1_30default_config_static_selectorELNS0_4arch9wavefront6targetE0EEEvS13_.has_indirect_call, 0
	.section	.AMDGPU.csdata,"",@progbits
; Kernel info:
; codeLenInByte = 0
; TotalNumSgprs: 0
; NumVgprs: 0
; ScratchSize: 0
; MemoryBound: 0
; FloatMode: 240
; IeeeMode: 1
; LDSByteSize: 0 bytes/workgroup (compile time only)
; SGPRBlocks: 0
; VGPRBlocks: 0
; NumSGPRsForWavesPerEU: 1
; NumVGPRsForWavesPerEU: 1
; Occupancy: 16
; WaveLimiterHint : 0
; COMPUTE_PGM_RSRC2:SCRATCH_EN: 0
; COMPUTE_PGM_RSRC2:USER_SGPR: 6
; COMPUTE_PGM_RSRC2:TRAP_HANDLER: 0
; COMPUTE_PGM_RSRC2:TGID_X_EN: 1
; COMPUTE_PGM_RSRC2:TGID_Y_EN: 0
; COMPUTE_PGM_RSRC2:TGID_Z_EN: 0
; COMPUTE_PGM_RSRC2:TIDIG_COMP_CNT: 0
	.section	.text._ZN7rocprim17ROCPRIM_400000_NS6detail17trampoline_kernelINS0_13select_configILj256ELj13ELNS0_17block_load_methodE3ELS4_3ELS4_3ELNS0_20block_scan_algorithmE0ELj4294967295EEENS1_25partition_config_selectorILNS1_17partition_subalgoE4EjNS0_10empty_typeEbEEZZNS1_14partition_implILS8_4ELb0ES6_15HIP_vector_typeIjLj2EENS0_17counting_iteratorIjlEEPS9_SG_NS0_5tupleIJPjSI_NS0_16reverse_iteratorISI_EEEEENSH_IJSG_SG_SG_EEES9_SI_JZNS1_25segmented_radix_sort_implINS0_14default_configELb1EPK6__halfPSP_PKlPlN2at6native12_GLOBAL__N_18offset_tEEE10hipError_tPvRmT1_PNSt15iterator_traitsIS13_E10value_typeET2_T3_PNS14_IS19_E10value_typeET4_jRbjT5_S1F_jjP12ihipStream_tbEUljE_ZNSN_ISO_Lb1ESR_SS_SU_SV_SZ_EES10_S11_S12_S13_S17_S18_S19_S1C_S1D_jS1E_jS1F_S1F_jjS1H_bEUljE0_EEES10_S11_S12_S19_S1D_S1F_T6_T7_T9_mT8_S1H_bDpT10_ENKUlT_T0_E_clISt17integral_constantIbLb0EES1V_EEDaS1Q_S1R_EUlS1Q_E_NS1_11comp_targetILNS1_3genE10ELNS1_11target_archE1200ELNS1_3gpuE4ELNS1_3repE0EEENS1_30default_config_static_selectorELNS0_4arch9wavefront6targetE0EEEvS13_,"axG",@progbits,_ZN7rocprim17ROCPRIM_400000_NS6detail17trampoline_kernelINS0_13select_configILj256ELj13ELNS0_17block_load_methodE3ELS4_3ELS4_3ELNS0_20block_scan_algorithmE0ELj4294967295EEENS1_25partition_config_selectorILNS1_17partition_subalgoE4EjNS0_10empty_typeEbEEZZNS1_14partition_implILS8_4ELb0ES6_15HIP_vector_typeIjLj2EENS0_17counting_iteratorIjlEEPS9_SG_NS0_5tupleIJPjSI_NS0_16reverse_iteratorISI_EEEEENSH_IJSG_SG_SG_EEES9_SI_JZNS1_25segmented_radix_sort_implINS0_14default_configELb1EPK6__halfPSP_PKlPlN2at6native12_GLOBAL__N_18offset_tEEE10hipError_tPvRmT1_PNSt15iterator_traitsIS13_E10value_typeET2_T3_PNS14_IS19_E10value_typeET4_jRbjT5_S1F_jjP12ihipStream_tbEUljE_ZNSN_ISO_Lb1ESR_SS_SU_SV_SZ_EES10_S11_S12_S13_S17_S18_S19_S1C_S1D_jS1E_jS1F_S1F_jjS1H_bEUljE0_EEES10_S11_S12_S19_S1D_S1F_T6_T7_T9_mT8_S1H_bDpT10_ENKUlT_T0_E_clISt17integral_constantIbLb0EES1V_EEDaS1Q_S1R_EUlS1Q_E_NS1_11comp_targetILNS1_3genE10ELNS1_11target_archE1200ELNS1_3gpuE4ELNS1_3repE0EEENS1_30default_config_static_selectorELNS0_4arch9wavefront6targetE0EEEvS13_,comdat
	.globl	_ZN7rocprim17ROCPRIM_400000_NS6detail17trampoline_kernelINS0_13select_configILj256ELj13ELNS0_17block_load_methodE3ELS4_3ELS4_3ELNS0_20block_scan_algorithmE0ELj4294967295EEENS1_25partition_config_selectorILNS1_17partition_subalgoE4EjNS0_10empty_typeEbEEZZNS1_14partition_implILS8_4ELb0ES6_15HIP_vector_typeIjLj2EENS0_17counting_iteratorIjlEEPS9_SG_NS0_5tupleIJPjSI_NS0_16reverse_iteratorISI_EEEEENSH_IJSG_SG_SG_EEES9_SI_JZNS1_25segmented_radix_sort_implINS0_14default_configELb1EPK6__halfPSP_PKlPlN2at6native12_GLOBAL__N_18offset_tEEE10hipError_tPvRmT1_PNSt15iterator_traitsIS13_E10value_typeET2_T3_PNS14_IS19_E10value_typeET4_jRbjT5_S1F_jjP12ihipStream_tbEUljE_ZNSN_ISO_Lb1ESR_SS_SU_SV_SZ_EES10_S11_S12_S13_S17_S18_S19_S1C_S1D_jS1E_jS1F_S1F_jjS1H_bEUljE0_EEES10_S11_S12_S19_S1D_S1F_T6_T7_T9_mT8_S1H_bDpT10_ENKUlT_T0_E_clISt17integral_constantIbLb0EES1V_EEDaS1Q_S1R_EUlS1Q_E_NS1_11comp_targetILNS1_3genE10ELNS1_11target_archE1200ELNS1_3gpuE4ELNS1_3repE0EEENS1_30default_config_static_selectorELNS0_4arch9wavefront6targetE0EEEvS13_ ; -- Begin function _ZN7rocprim17ROCPRIM_400000_NS6detail17trampoline_kernelINS0_13select_configILj256ELj13ELNS0_17block_load_methodE3ELS4_3ELS4_3ELNS0_20block_scan_algorithmE0ELj4294967295EEENS1_25partition_config_selectorILNS1_17partition_subalgoE4EjNS0_10empty_typeEbEEZZNS1_14partition_implILS8_4ELb0ES6_15HIP_vector_typeIjLj2EENS0_17counting_iteratorIjlEEPS9_SG_NS0_5tupleIJPjSI_NS0_16reverse_iteratorISI_EEEEENSH_IJSG_SG_SG_EEES9_SI_JZNS1_25segmented_radix_sort_implINS0_14default_configELb1EPK6__halfPSP_PKlPlN2at6native12_GLOBAL__N_18offset_tEEE10hipError_tPvRmT1_PNSt15iterator_traitsIS13_E10value_typeET2_T3_PNS14_IS19_E10value_typeET4_jRbjT5_S1F_jjP12ihipStream_tbEUljE_ZNSN_ISO_Lb1ESR_SS_SU_SV_SZ_EES10_S11_S12_S13_S17_S18_S19_S1C_S1D_jS1E_jS1F_S1F_jjS1H_bEUljE0_EEES10_S11_S12_S19_S1D_S1F_T6_T7_T9_mT8_S1H_bDpT10_ENKUlT_T0_E_clISt17integral_constantIbLb0EES1V_EEDaS1Q_S1R_EUlS1Q_E_NS1_11comp_targetILNS1_3genE10ELNS1_11target_archE1200ELNS1_3gpuE4ELNS1_3repE0EEENS1_30default_config_static_selectorELNS0_4arch9wavefront6targetE0EEEvS13_
	.p2align	8
	.type	_ZN7rocprim17ROCPRIM_400000_NS6detail17trampoline_kernelINS0_13select_configILj256ELj13ELNS0_17block_load_methodE3ELS4_3ELS4_3ELNS0_20block_scan_algorithmE0ELj4294967295EEENS1_25partition_config_selectorILNS1_17partition_subalgoE4EjNS0_10empty_typeEbEEZZNS1_14partition_implILS8_4ELb0ES6_15HIP_vector_typeIjLj2EENS0_17counting_iteratorIjlEEPS9_SG_NS0_5tupleIJPjSI_NS0_16reverse_iteratorISI_EEEEENSH_IJSG_SG_SG_EEES9_SI_JZNS1_25segmented_radix_sort_implINS0_14default_configELb1EPK6__halfPSP_PKlPlN2at6native12_GLOBAL__N_18offset_tEEE10hipError_tPvRmT1_PNSt15iterator_traitsIS13_E10value_typeET2_T3_PNS14_IS19_E10value_typeET4_jRbjT5_S1F_jjP12ihipStream_tbEUljE_ZNSN_ISO_Lb1ESR_SS_SU_SV_SZ_EES10_S11_S12_S13_S17_S18_S19_S1C_S1D_jS1E_jS1F_S1F_jjS1H_bEUljE0_EEES10_S11_S12_S19_S1D_S1F_T6_T7_T9_mT8_S1H_bDpT10_ENKUlT_T0_E_clISt17integral_constantIbLb0EES1V_EEDaS1Q_S1R_EUlS1Q_E_NS1_11comp_targetILNS1_3genE10ELNS1_11target_archE1200ELNS1_3gpuE4ELNS1_3repE0EEENS1_30default_config_static_selectorELNS0_4arch9wavefront6targetE0EEEvS13_,@function
_ZN7rocprim17ROCPRIM_400000_NS6detail17trampoline_kernelINS0_13select_configILj256ELj13ELNS0_17block_load_methodE3ELS4_3ELS4_3ELNS0_20block_scan_algorithmE0ELj4294967295EEENS1_25partition_config_selectorILNS1_17partition_subalgoE4EjNS0_10empty_typeEbEEZZNS1_14partition_implILS8_4ELb0ES6_15HIP_vector_typeIjLj2EENS0_17counting_iteratorIjlEEPS9_SG_NS0_5tupleIJPjSI_NS0_16reverse_iteratorISI_EEEEENSH_IJSG_SG_SG_EEES9_SI_JZNS1_25segmented_radix_sort_implINS0_14default_configELb1EPK6__halfPSP_PKlPlN2at6native12_GLOBAL__N_18offset_tEEE10hipError_tPvRmT1_PNSt15iterator_traitsIS13_E10value_typeET2_T3_PNS14_IS19_E10value_typeET4_jRbjT5_S1F_jjP12ihipStream_tbEUljE_ZNSN_ISO_Lb1ESR_SS_SU_SV_SZ_EES10_S11_S12_S13_S17_S18_S19_S1C_S1D_jS1E_jS1F_S1F_jjS1H_bEUljE0_EEES10_S11_S12_S19_S1D_S1F_T6_T7_T9_mT8_S1H_bDpT10_ENKUlT_T0_E_clISt17integral_constantIbLb0EES1V_EEDaS1Q_S1R_EUlS1Q_E_NS1_11comp_targetILNS1_3genE10ELNS1_11target_archE1200ELNS1_3gpuE4ELNS1_3repE0EEENS1_30default_config_static_selectorELNS0_4arch9wavefront6targetE0EEEvS13_: ; @_ZN7rocprim17ROCPRIM_400000_NS6detail17trampoline_kernelINS0_13select_configILj256ELj13ELNS0_17block_load_methodE3ELS4_3ELS4_3ELNS0_20block_scan_algorithmE0ELj4294967295EEENS1_25partition_config_selectorILNS1_17partition_subalgoE4EjNS0_10empty_typeEbEEZZNS1_14partition_implILS8_4ELb0ES6_15HIP_vector_typeIjLj2EENS0_17counting_iteratorIjlEEPS9_SG_NS0_5tupleIJPjSI_NS0_16reverse_iteratorISI_EEEEENSH_IJSG_SG_SG_EEES9_SI_JZNS1_25segmented_radix_sort_implINS0_14default_configELb1EPK6__halfPSP_PKlPlN2at6native12_GLOBAL__N_18offset_tEEE10hipError_tPvRmT1_PNSt15iterator_traitsIS13_E10value_typeET2_T3_PNS14_IS19_E10value_typeET4_jRbjT5_S1F_jjP12ihipStream_tbEUljE_ZNSN_ISO_Lb1ESR_SS_SU_SV_SZ_EES10_S11_S12_S13_S17_S18_S19_S1C_S1D_jS1E_jS1F_S1F_jjS1H_bEUljE0_EEES10_S11_S12_S19_S1D_S1F_T6_T7_T9_mT8_S1H_bDpT10_ENKUlT_T0_E_clISt17integral_constantIbLb0EES1V_EEDaS1Q_S1R_EUlS1Q_E_NS1_11comp_targetILNS1_3genE10ELNS1_11target_archE1200ELNS1_3gpuE4ELNS1_3repE0EEENS1_30default_config_static_selectorELNS0_4arch9wavefront6targetE0EEEvS13_
; %bb.0:
	.section	.rodata,"a",@progbits
	.p2align	6, 0x0
	.amdhsa_kernel _ZN7rocprim17ROCPRIM_400000_NS6detail17trampoline_kernelINS0_13select_configILj256ELj13ELNS0_17block_load_methodE3ELS4_3ELS4_3ELNS0_20block_scan_algorithmE0ELj4294967295EEENS1_25partition_config_selectorILNS1_17partition_subalgoE4EjNS0_10empty_typeEbEEZZNS1_14partition_implILS8_4ELb0ES6_15HIP_vector_typeIjLj2EENS0_17counting_iteratorIjlEEPS9_SG_NS0_5tupleIJPjSI_NS0_16reverse_iteratorISI_EEEEENSH_IJSG_SG_SG_EEES9_SI_JZNS1_25segmented_radix_sort_implINS0_14default_configELb1EPK6__halfPSP_PKlPlN2at6native12_GLOBAL__N_18offset_tEEE10hipError_tPvRmT1_PNSt15iterator_traitsIS13_E10value_typeET2_T3_PNS14_IS19_E10value_typeET4_jRbjT5_S1F_jjP12ihipStream_tbEUljE_ZNSN_ISO_Lb1ESR_SS_SU_SV_SZ_EES10_S11_S12_S13_S17_S18_S19_S1C_S1D_jS1E_jS1F_S1F_jjS1H_bEUljE0_EEES10_S11_S12_S19_S1D_S1F_T6_T7_T9_mT8_S1H_bDpT10_ENKUlT_T0_E_clISt17integral_constantIbLb0EES1V_EEDaS1Q_S1R_EUlS1Q_E_NS1_11comp_targetILNS1_3genE10ELNS1_11target_archE1200ELNS1_3gpuE4ELNS1_3repE0EEENS1_30default_config_static_selectorELNS0_4arch9wavefront6targetE0EEEvS13_
		.amdhsa_group_segment_fixed_size 0
		.amdhsa_private_segment_fixed_size 0
		.amdhsa_kernarg_size 176
		.amdhsa_user_sgpr_count 6
		.amdhsa_user_sgpr_private_segment_buffer 1
		.amdhsa_user_sgpr_dispatch_ptr 0
		.amdhsa_user_sgpr_queue_ptr 0
		.amdhsa_user_sgpr_kernarg_segment_ptr 1
		.amdhsa_user_sgpr_dispatch_id 0
		.amdhsa_user_sgpr_flat_scratch_init 0
		.amdhsa_user_sgpr_private_segment_size 0
		.amdhsa_wavefront_size32 1
		.amdhsa_uses_dynamic_stack 0
		.amdhsa_system_sgpr_private_segment_wavefront_offset 0
		.amdhsa_system_sgpr_workgroup_id_x 1
		.amdhsa_system_sgpr_workgroup_id_y 0
		.amdhsa_system_sgpr_workgroup_id_z 0
		.amdhsa_system_sgpr_workgroup_info 0
		.amdhsa_system_vgpr_workitem_id 0
		.amdhsa_next_free_vgpr 1
		.amdhsa_next_free_sgpr 1
		.amdhsa_reserve_vcc 0
		.amdhsa_reserve_flat_scratch 0
		.amdhsa_float_round_mode_32 0
		.amdhsa_float_round_mode_16_64 0
		.amdhsa_float_denorm_mode_32 3
		.amdhsa_float_denorm_mode_16_64 3
		.amdhsa_dx10_clamp 1
		.amdhsa_ieee_mode 1
		.amdhsa_fp16_overflow 0
		.amdhsa_workgroup_processor_mode 1
		.amdhsa_memory_ordered 1
		.amdhsa_forward_progress 1
		.amdhsa_shared_vgpr_count 0
		.amdhsa_exception_fp_ieee_invalid_op 0
		.amdhsa_exception_fp_denorm_src 0
		.amdhsa_exception_fp_ieee_div_zero 0
		.amdhsa_exception_fp_ieee_overflow 0
		.amdhsa_exception_fp_ieee_underflow 0
		.amdhsa_exception_fp_ieee_inexact 0
		.amdhsa_exception_int_div_zero 0
	.end_amdhsa_kernel
	.section	.text._ZN7rocprim17ROCPRIM_400000_NS6detail17trampoline_kernelINS0_13select_configILj256ELj13ELNS0_17block_load_methodE3ELS4_3ELS4_3ELNS0_20block_scan_algorithmE0ELj4294967295EEENS1_25partition_config_selectorILNS1_17partition_subalgoE4EjNS0_10empty_typeEbEEZZNS1_14partition_implILS8_4ELb0ES6_15HIP_vector_typeIjLj2EENS0_17counting_iteratorIjlEEPS9_SG_NS0_5tupleIJPjSI_NS0_16reverse_iteratorISI_EEEEENSH_IJSG_SG_SG_EEES9_SI_JZNS1_25segmented_radix_sort_implINS0_14default_configELb1EPK6__halfPSP_PKlPlN2at6native12_GLOBAL__N_18offset_tEEE10hipError_tPvRmT1_PNSt15iterator_traitsIS13_E10value_typeET2_T3_PNS14_IS19_E10value_typeET4_jRbjT5_S1F_jjP12ihipStream_tbEUljE_ZNSN_ISO_Lb1ESR_SS_SU_SV_SZ_EES10_S11_S12_S13_S17_S18_S19_S1C_S1D_jS1E_jS1F_S1F_jjS1H_bEUljE0_EEES10_S11_S12_S19_S1D_S1F_T6_T7_T9_mT8_S1H_bDpT10_ENKUlT_T0_E_clISt17integral_constantIbLb0EES1V_EEDaS1Q_S1R_EUlS1Q_E_NS1_11comp_targetILNS1_3genE10ELNS1_11target_archE1200ELNS1_3gpuE4ELNS1_3repE0EEENS1_30default_config_static_selectorELNS0_4arch9wavefront6targetE0EEEvS13_,"axG",@progbits,_ZN7rocprim17ROCPRIM_400000_NS6detail17trampoline_kernelINS0_13select_configILj256ELj13ELNS0_17block_load_methodE3ELS4_3ELS4_3ELNS0_20block_scan_algorithmE0ELj4294967295EEENS1_25partition_config_selectorILNS1_17partition_subalgoE4EjNS0_10empty_typeEbEEZZNS1_14partition_implILS8_4ELb0ES6_15HIP_vector_typeIjLj2EENS0_17counting_iteratorIjlEEPS9_SG_NS0_5tupleIJPjSI_NS0_16reverse_iteratorISI_EEEEENSH_IJSG_SG_SG_EEES9_SI_JZNS1_25segmented_radix_sort_implINS0_14default_configELb1EPK6__halfPSP_PKlPlN2at6native12_GLOBAL__N_18offset_tEEE10hipError_tPvRmT1_PNSt15iterator_traitsIS13_E10value_typeET2_T3_PNS14_IS19_E10value_typeET4_jRbjT5_S1F_jjP12ihipStream_tbEUljE_ZNSN_ISO_Lb1ESR_SS_SU_SV_SZ_EES10_S11_S12_S13_S17_S18_S19_S1C_S1D_jS1E_jS1F_S1F_jjS1H_bEUljE0_EEES10_S11_S12_S19_S1D_S1F_T6_T7_T9_mT8_S1H_bDpT10_ENKUlT_T0_E_clISt17integral_constantIbLb0EES1V_EEDaS1Q_S1R_EUlS1Q_E_NS1_11comp_targetILNS1_3genE10ELNS1_11target_archE1200ELNS1_3gpuE4ELNS1_3repE0EEENS1_30default_config_static_selectorELNS0_4arch9wavefront6targetE0EEEvS13_,comdat
.Lfunc_end1670:
	.size	_ZN7rocprim17ROCPRIM_400000_NS6detail17trampoline_kernelINS0_13select_configILj256ELj13ELNS0_17block_load_methodE3ELS4_3ELS4_3ELNS0_20block_scan_algorithmE0ELj4294967295EEENS1_25partition_config_selectorILNS1_17partition_subalgoE4EjNS0_10empty_typeEbEEZZNS1_14partition_implILS8_4ELb0ES6_15HIP_vector_typeIjLj2EENS0_17counting_iteratorIjlEEPS9_SG_NS0_5tupleIJPjSI_NS0_16reverse_iteratorISI_EEEEENSH_IJSG_SG_SG_EEES9_SI_JZNS1_25segmented_radix_sort_implINS0_14default_configELb1EPK6__halfPSP_PKlPlN2at6native12_GLOBAL__N_18offset_tEEE10hipError_tPvRmT1_PNSt15iterator_traitsIS13_E10value_typeET2_T3_PNS14_IS19_E10value_typeET4_jRbjT5_S1F_jjP12ihipStream_tbEUljE_ZNSN_ISO_Lb1ESR_SS_SU_SV_SZ_EES10_S11_S12_S13_S17_S18_S19_S1C_S1D_jS1E_jS1F_S1F_jjS1H_bEUljE0_EEES10_S11_S12_S19_S1D_S1F_T6_T7_T9_mT8_S1H_bDpT10_ENKUlT_T0_E_clISt17integral_constantIbLb0EES1V_EEDaS1Q_S1R_EUlS1Q_E_NS1_11comp_targetILNS1_3genE10ELNS1_11target_archE1200ELNS1_3gpuE4ELNS1_3repE0EEENS1_30default_config_static_selectorELNS0_4arch9wavefront6targetE0EEEvS13_, .Lfunc_end1670-_ZN7rocprim17ROCPRIM_400000_NS6detail17trampoline_kernelINS0_13select_configILj256ELj13ELNS0_17block_load_methodE3ELS4_3ELS4_3ELNS0_20block_scan_algorithmE0ELj4294967295EEENS1_25partition_config_selectorILNS1_17partition_subalgoE4EjNS0_10empty_typeEbEEZZNS1_14partition_implILS8_4ELb0ES6_15HIP_vector_typeIjLj2EENS0_17counting_iteratorIjlEEPS9_SG_NS0_5tupleIJPjSI_NS0_16reverse_iteratorISI_EEEEENSH_IJSG_SG_SG_EEES9_SI_JZNS1_25segmented_radix_sort_implINS0_14default_configELb1EPK6__halfPSP_PKlPlN2at6native12_GLOBAL__N_18offset_tEEE10hipError_tPvRmT1_PNSt15iterator_traitsIS13_E10value_typeET2_T3_PNS14_IS19_E10value_typeET4_jRbjT5_S1F_jjP12ihipStream_tbEUljE_ZNSN_ISO_Lb1ESR_SS_SU_SV_SZ_EES10_S11_S12_S13_S17_S18_S19_S1C_S1D_jS1E_jS1F_S1F_jjS1H_bEUljE0_EEES10_S11_S12_S19_S1D_S1F_T6_T7_T9_mT8_S1H_bDpT10_ENKUlT_T0_E_clISt17integral_constantIbLb0EES1V_EEDaS1Q_S1R_EUlS1Q_E_NS1_11comp_targetILNS1_3genE10ELNS1_11target_archE1200ELNS1_3gpuE4ELNS1_3repE0EEENS1_30default_config_static_selectorELNS0_4arch9wavefront6targetE0EEEvS13_
                                        ; -- End function
	.set _ZN7rocprim17ROCPRIM_400000_NS6detail17trampoline_kernelINS0_13select_configILj256ELj13ELNS0_17block_load_methodE3ELS4_3ELS4_3ELNS0_20block_scan_algorithmE0ELj4294967295EEENS1_25partition_config_selectorILNS1_17partition_subalgoE4EjNS0_10empty_typeEbEEZZNS1_14partition_implILS8_4ELb0ES6_15HIP_vector_typeIjLj2EENS0_17counting_iteratorIjlEEPS9_SG_NS0_5tupleIJPjSI_NS0_16reverse_iteratorISI_EEEEENSH_IJSG_SG_SG_EEES9_SI_JZNS1_25segmented_radix_sort_implINS0_14default_configELb1EPK6__halfPSP_PKlPlN2at6native12_GLOBAL__N_18offset_tEEE10hipError_tPvRmT1_PNSt15iterator_traitsIS13_E10value_typeET2_T3_PNS14_IS19_E10value_typeET4_jRbjT5_S1F_jjP12ihipStream_tbEUljE_ZNSN_ISO_Lb1ESR_SS_SU_SV_SZ_EES10_S11_S12_S13_S17_S18_S19_S1C_S1D_jS1E_jS1F_S1F_jjS1H_bEUljE0_EEES10_S11_S12_S19_S1D_S1F_T6_T7_T9_mT8_S1H_bDpT10_ENKUlT_T0_E_clISt17integral_constantIbLb0EES1V_EEDaS1Q_S1R_EUlS1Q_E_NS1_11comp_targetILNS1_3genE10ELNS1_11target_archE1200ELNS1_3gpuE4ELNS1_3repE0EEENS1_30default_config_static_selectorELNS0_4arch9wavefront6targetE0EEEvS13_.num_vgpr, 0
	.set _ZN7rocprim17ROCPRIM_400000_NS6detail17trampoline_kernelINS0_13select_configILj256ELj13ELNS0_17block_load_methodE3ELS4_3ELS4_3ELNS0_20block_scan_algorithmE0ELj4294967295EEENS1_25partition_config_selectorILNS1_17partition_subalgoE4EjNS0_10empty_typeEbEEZZNS1_14partition_implILS8_4ELb0ES6_15HIP_vector_typeIjLj2EENS0_17counting_iteratorIjlEEPS9_SG_NS0_5tupleIJPjSI_NS0_16reverse_iteratorISI_EEEEENSH_IJSG_SG_SG_EEES9_SI_JZNS1_25segmented_radix_sort_implINS0_14default_configELb1EPK6__halfPSP_PKlPlN2at6native12_GLOBAL__N_18offset_tEEE10hipError_tPvRmT1_PNSt15iterator_traitsIS13_E10value_typeET2_T3_PNS14_IS19_E10value_typeET4_jRbjT5_S1F_jjP12ihipStream_tbEUljE_ZNSN_ISO_Lb1ESR_SS_SU_SV_SZ_EES10_S11_S12_S13_S17_S18_S19_S1C_S1D_jS1E_jS1F_S1F_jjS1H_bEUljE0_EEES10_S11_S12_S19_S1D_S1F_T6_T7_T9_mT8_S1H_bDpT10_ENKUlT_T0_E_clISt17integral_constantIbLb0EES1V_EEDaS1Q_S1R_EUlS1Q_E_NS1_11comp_targetILNS1_3genE10ELNS1_11target_archE1200ELNS1_3gpuE4ELNS1_3repE0EEENS1_30default_config_static_selectorELNS0_4arch9wavefront6targetE0EEEvS13_.num_agpr, 0
	.set _ZN7rocprim17ROCPRIM_400000_NS6detail17trampoline_kernelINS0_13select_configILj256ELj13ELNS0_17block_load_methodE3ELS4_3ELS4_3ELNS0_20block_scan_algorithmE0ELj4294967295EEENS1_25partition_config_selectorILNS1_17partition_subalgoE4EjNS0_10empty_typeEbEEZZNS1_14partition_implILS8_4ELb0ES6_15HIP_vector_typeIjLj2EENS0_17counting_iteratorIjlEEPS9_SG_NS0_5tupleIJPjSI_NS0_16reverse_iteratorISI_EEEEENSH_IJSG_SG_SG_EEES9_SI_JZNS1_25segmented_radix_sort_implINS0_14default_configELb1EPK6__halfPSP_PKlPlN2at6native12_GLOBAL__N_18offset_tEEE10hipError_tPvRmT1_PNSt15iterator_traitsIS13_E10value_typeET2_T3_PNS14_IS19_E10value_typeET4_jRbjT5_S1F_jjP12ihipStream_tbEUljE_ZNSN_ISO_Lb1ESR_SS_SU_SV_SZ_EES10_S11_S12_S13_S17_S18_S19_S1C_S1D_jS1E_jS1F_S1F_jjS1H_bEUljE0_EEES10_S11_S12_S19_S1D_S1F_T6_T7_T9_mT8_S1H_bDpT10_ENKUlT_T0_E_clISt17integral_constantIbLb0EES1V_EEDaS1Q_S1R_EUlS1Q_E_NS1_11comp_targetILNS1_3genE10ELNS1_11target_archE1200ELNS1_3gpuE4ELNS1_3repE0EEENS1_30default_config_static_selectorELNS0_4arch9wavefront6targetE0EEEvS13_.numbered_sgpr, 0
	.set _ZN7rocprim17ROCPRIM_400000_NS6detail17trampoline_kernelINS0_13select_configILj256ELj13ELNS0_17block_load_methodE3ELS4_3ELS4_3ELNS0_20block_scan_algorithmE0ELj4294967295EEENS1_25partition_config_selectorILNS1_17partition_subalgoE4EjNS0_10empty_typeEbEEZZNS1_14partition_implILS8_4ELb0ES6_15HIP_vector_typeIjLj2EENS0_17counting_iteratorIjlEEPS9_SG_NS0_5tupleIJPjSI_NS0_16reverse_iteratorISI_EEEEENSH_IJSG_SG_SG_EEES9_SI_JZNS1_25segmented_radix_sort_implINS0_14default_configELb1EPK6__halfPSP_PKlPlN2at6native12_GLOBAL__N_18offset_tEEE10hipError_tPvRmT1_PNSt15iterator_traitsIS13_E10value_typeET2_T3_PNS14_IS19_E10value_typeET4_jRbjT5_S1F_jjP12ihipStream_tbEUljE_ZNSN_ISO_Lb1ESR_SS_SU_SV_SZ_EES10_S11_S12_S13_S17_S18_S19_S1C_S1D_jS1E_jS1F_S1F_jjS1H_bEUljE0_EEES10_S11_S12_S19_S1D_S1F_T6_T7_T9_mT8_S1H_bDpT10_ENKUlT_T0_E_clISt17integral_constantIbLb0EES1V_EEDaS1Q_S1R_EUlS1Q_E_NS1_11comp_targetILNS1_3genE10ELNS1_11target_archE1200ELNS1_3gpuE4ELNS1_3repE0EEENS1_30default_config_static_selectorELNS0_4arch9wavefront6targetE0EEEvS13_.num_named_barrier, 0
	.set _ZN7rocprim17ROCPRIM_400000_NS6detail17trampoline_kernelINS0_13select_configILj256ELj13ELNS0_17block_load_methodE3ELS4_3ELS4_3ELNS0_20block_scan_algorithmE0ELj4294967295EEENS1_25partition_config_selectorILNS1_17partition_subalgoE4EjNS0_10empty_typeEbEEZZNS1_14partition_implILS8_4ELb0ES6_15HIP_vector_typeIjLj2EENS0_17counting_iteratorIjlEEPS9_SG_NS0_5tupleIJPjSI_NS0_16reverse_iteratorISI_EEEEENSH_IJSG_SG_SG_EEES9_SI_JZNS1_25segmented_radix_sort_implINS0_14default_configELb1EPK6__halfPSP_PKlPlN2at6native12_GLOBAL__N_18offset_tEEE10hipError_tPvRmT1_PNSt15iterator_traitsIS13_E10value_typeET2_T3_PNS14_IS19_E10value_typeET4_jRbjT5_S1F_jjP12ihipStream_tbEUljE_ZNSN_ISO_Lb1ESR_SS_SU_SV_SZ_EES10_S11_S12_S13_S17_S18_S19_S1C_S1D_jS1E_jS1F_S1F_jjS1H_bEUljE0_EEES10_S11_S12_S19_S1D_S1F_T6_T7_T9_mT8_S1H_bDpT10_ENKUlT_T0_E_clISt17integral_constantIbLb0EES1V_EEDaS1Q_S1R_EUlS1Q_E_NS1_11comp_targetILNS1_3genE10ELNS1_11target_archE1200ELNS1_3gpuE4ELNS1_3repE0EEENS1_30default_config_static_selectorELNS0_4arch9wavefront6targetE0EEEvS13_.private_seg_size, 0
	.set _ZN7rocprim17ROCPRIM_400000_NS6detail17trampoline_kernelINS0_13select_configILj256ELj13ELNS0_17block_load_methodE3ELS4_3ELS4_3ELNS0_20block_scan_algorithmE0ELj4294967295EEENS1_25partition_config_selectorILNS1_17partition_subalgoE4EjNS0_10empty_typeEbEEZZNS1_14partition_implILS8_4ELb0ES6_15HIP_vector_typeIjLj2EENS0_17counting_iteratorIjlEEPS9_SG_NS0_5tupleIJPjSI_NS0_16reverse_iteratorISI_EEEEENSH_IJSG_SG_SG_EEES9_SI_JZNS1_25segmented_radix_sort_implINS0_14default_configELb1EPK6__halfPSP_PKlPlN2at6native12_GLOBAL__N_18offset_tEEE10hipError_tPvRmT1_PNSt15iterator_traitsIS13_E10value_typeET2_T3_PNS14_IS19_E10value_typeET4_jRbjT5_S1F_jjP12ihipStream_tbEUljE_ZNSN_ISO_Lb1ESR_SS_SU_SV_SZ_EES10_S11_S12_S13_S17_S18_S19_S1C_S1D_jS1E_jS1F_S1F_jjS1H_bEUljE0_EEES10_S11_S12_S19_S1D_S1F_T6_T7_T9_mT8_S1H_bDpT10_ENKUlT_T0_E_clISt17integral_constantIbLb0EES1V_EEDaS1Q_S1R_EUlS1Q_E_NS1_11comp_targetILNS1_3genE10ELNS1_11target_archE1200ELNS1_3gpuE4ELNS1_3repE0EEENS1_30default_config_static_selectorELNS0_4arch9wavefront6targetE0EEEvS13_.uses_vcc, 0
	.set _ZN7rocprim17ROCPRIM_400000_NS6detail17trampoline_kernelINS0_13select_configILj256ELj13ELNS0_17block_load_methodE3ELS4_3ELS4_3ELNS0_20block_scan_algorithmE0ELj4294967295EEENS1_25partition_config_selectorILNS1_17partition_subalgoE4EjNS0_10empty_typeEbEEZZNS1_14partition_implILS8_4ELb0ES6_15HIP_vector_typeIjLj2EENS0_17counting_iteratorIjlEEPS9_SG_NS0_5tupleIJPjSI_NS0_16reverse_iteratorISI_EEEEENSH_IJSG_SG_SG_EEES9_SI_JZNS1_25segmented_radix_sort_implINS0_14default_configELb1EPK6__halfPSP_PKlPlN2at6native12_GLOBAL__N_18offset_tEEE10hipError_tPvRmT1_PNSt15iterator_traitsIS13_E10value_typeET2_T3_PNS14_IS19_E10value_typeET4_jRbjT5_S1F_jjP12ihipStream_tbEUljE_ZNSN_ISO_Lb1ESR_SS_SU_SV_SZ_EES10_S11_S12_S13_S17_S18_S19_S1C_S1D_jS1E_jS1F_S1F_jjS1H_bEUljE0_EEES10_S11_S12_S19_S1D_S1F_T6_T7_T9_mT8_S1H_bDpT10_ENKUlT_T0_E_clISt17integral_constantIbLb0EES1V_EEDaS1Q_S1R_EUlS1Q_E_NS1_11comp_targetILNS1_3genE10ELNS1_11target_archE1200ELNS1_3gpuE4ELNS1_3repE0EEENS1_30default_config_static_selectorELNS0_4arch9wavefront6targetE0EEEvS13_.uses_flat_scratch, 0
	.set _ZN7rocprim17ROCPRIM_400000_NS6detail17trampoline_kernelINS0_13select_configILj256ELj13ELNS0_17block_load_methodE3ELS4_3ELS4_3ELNS0_20block_scan_algorithmE0ELj4294967295EEENS1_25partition_config_selectorILNS1_17partition_subalgoE4EjNS0_10empty_typeEbEEZZNS1_14partition_implILS8_4ELb0ES6_15HIP_vector_typeIjLj2EENS0_17counting_iteratorIjlEEPS9_SG_NS0_5tupleIJPjSI_NS0_16reverse_iteratorISI_EEEEENSH_IJSG_SG_SG_EEES9_SI_JZNS1_25segmented_radix_sort_implINS0_14default_configELb1EPK6__halfPSP_PKlPlN2at6native12_GLOBAL__N_18offset_tEEE10hipError_tPvRmT1_PNSt15iterator_traitsIS13_E10value_typeET2_T3_PNS14_IS19_E10value_typeET4_jRbjT5_S1F_jjP12ihipStream_tbEUljE_ZNSN_ISO_Lb1ESR_SS_SU_SV_SZ_EES10_S11_S12_S13_S17_S18_S19_S1C_S1D_jS1E_jS1F_S1F_jjS1H_bEUljE0_EEES10_S11_S12_S19_S1D_S1F_T6_T7_T9_mT8_S1H_bDpT10_ENKUlT_T0_E_clISt17integral_constantIbLb0EES1V_EEDaS1Q_S1R_EUlS1Q_E_NS1_11comp_targetILNS1_3genE10ELNS1_11target_archE1200ELNS1_3gpuE4ELNS1_3repE0EEENS1_30default_config_static_selectorELNS0_4arch9wavefront6targetE0EEEvS13_.has_dyn_sized_stack, 0
	.set _ZN7rocprim17ROCPRIM_400000_NS6detail17trampoline_kernelINS0_13select_configILj256ELj13ELNS0_17block_load_methodE3ELS4_3ELS4_3ELNS0_20block_scan_algorithmE0ELj4294967295EEENS1_25partition_config_selectorILNS1_17partition_subalgoE4EjNS0_10empty_typeEbEEZZNS1_14partition_implILS8_4ELb0ES6_15HIP_vector_typeIjLj2EENS0_17counting_iteratorIjlEEPS9_SG_NS0_5tupleIJPjSI_NS0_16reverse_iteratorISI_EEEEENSH_IJSG_SG_SG_EEES9_SI_JZNS1_25segmented_radix_sort_implINS0_14default_configELb1EPK6__halfPSP_PKlPlN2at6native12_GLOBAL__N_18offset_tEEE10hipError_tPvRmT1_PNSt15iterator_traitsIS13_E10value_typeET2_T3_PNS14_IS19_E10value_typeET4_jRbjT5_S1F_jjP12ihipStream_tbEUljE_ZNSN_ISO_Lb1ESR_SS_SU_SV_SZ_EES10_S11_S12_S13_S17_S18_S19_S1C_S1D_jS1E_jS1F_S1F_jjS1H_bEUljE0_EEES10_S11_S12_S19_S1D_S1F_T6_T7_T9_mT8_S1H_bDpT10_ENKUlT_T0_E_clISt17integral_constantIbLb0EES1V_EEDaS1Q_S1R_EUlS1Q_E_NS1_11comp_targetILNS1_3genE10ELNS1_11target_archE1200ELNS1_3gpuE4ELNS1_3repE0EEENS1_30default_config_static_selectorELNS0_4arch9wavefront6targetE0EEEvS13_.has_recursion, 0
	.set _ZN7rocprim17ROCPRIM_400000_NS6detail17trampoline_kernelINS0_13select_configILj256ELj13ELNS0_17block_load_methodE3ELS4_3ELS4_3ELNS0_20block_scan_algorithmE0ELj4294967295EEENS1_25partition_config_selectorILNS1_17partition_subalgoE4EjNS0_10empty_typeEbEEZZNS1_14partition_implILS8_4ELb0ES6_15HIP_vector_typeIjLj2EENS0_17counting_iteratorIjlEEPS9_SG_NS0_5tupleIJPjSI_NS0_16reverse_iteratorISI_EEEEENSH_IJSG_SG_SG_EEES9_SI_JZNS1_25segmented_radix_sort_implINS0_14default_configELb1EPK6__halfPSP_PKlPlN2at6native12_GLOBAL__N_18offset_tEEE10hipError_tPvRmT1_PNSt15iterator_traitsIS13_E10value_typeET2_T3_PNS14_IS19_E10value_typeET4_jRbjT5_S1F_jjP12ihipStream_tbEUljE_ZNSN_ISO_Lb1ESR_SS_SU_SV_SZ_EES10_S11_S12_S13_S17_S18_S19_S1C_S1D_jS1E_jS1F_S1F_jjS1H_bEUljE0_EEES10_S11_S12_S19_S1D_S1F_T6_T7_T9_mT8_S1H_bDpT10_ENKUlT_T0_E_clISt17integral_constantIbLb0EES1V_EEDaS1Q_S1R_EUlS1Q_E_NS1_11comp_targetILNS1_3genE10ELNS1_11target_archE1200ELNS1_3gpuE4ELNS1_3repE0EEENS1_30default_config_static_selectorELNS0_4arch9wavefront6targetE0EEEvS13_.has_indirect_call, 0
	.section	.AMDGPU.csdata,"",@progbits
; Kernel info:
; codeLenInByte = 0
; TotalNumSgprs: 0
; NumVgprs: 0
; ScratchSize: 0
; MemoryBound: 0
; FloatMode: 240
; IeeeMode: 1
; LDSByteSize: 0 bytes/workgroup (compile time only)
; SGPRBlocks: 0
; VGPRBlocks: 0
; NumSGPRsForWavesPerEU: 1
; NumVGPRsForWavesPerEU: 1
; Occupancy: 16
; WaveLimiterHint : 0
; COMPUTE_PGM_RSRC2:SCRATCH_EN: 0
; COMPUTE_PGM_RSRC2:USER_SGPR: 6
; COMPUTE_PGM_RSRC2:TRAP_HANDLER: 0
; COMPUTE_PGM_RSRC2:TGID_X_EN: 1
; COMPUTE_PGM_RSRC2:TGID_Y_EN: 0
; COMPUTE_PGM_RSRC2:TGID_Z_EN: 0
; COMPUTE_PGM_RSRC2:TIDIG_COMP_CNT: 0
	.section	.text._ZN7rocprim17ROCPRIM_400000_NS6detail17trampoline_kernelINS0_13select_configILj256ELj13ELNS0_17block_load_methodE3ELS4_3ELS4_3ELNS0_20block_scan_algorithmE0ELj4294967295EEENS1_25partition_config_selectorILNS1_17partition_subalgoE4EjNS0_10empty_typeEbEEZZNS1_14partition_implILS8_4ELb0ES6_15HIP_vector_typeIjLj2EENS0_17counting_iteratorIjlEEPS9_SG_NS0_5tupleIJPjSI_NS0_16reverse_iteratorISI_EEEEENSH_IJSG_SG_SG_EEES9_SI_JZNS1_25segmented_radix_sort_implINS0_14default_configELb1EPK6__halfPSP_PKlPlN2at6native12_GLOBAL__N_18offset_tEEE10hipError_tPvRmT1_PNSt15iterator_traitsIS13_E10value_typeET2_T3_PNS14_IS19_E10value_typeET4_jRbjT5_S1F_jjP12ihipStream_tbEUljE_ZNSN_ISO_Lb1ESR_SS_SU_SV_SZ_EES10_S11_S12_S13_S17_S18_S19_S1C_S1D_jS1E_jS1F_S1F_jjS1H_bEUljE0_EEES10_S11_S12_S19_S1D_S1F_T6_T7_T9_mT8_S1H_bDpT10_ENKUlT_T0_E_clISt17integral_constantIbLb0EES1V_EEDaS1Q_S1R_EUlS1Q_E_NS1_11comp_targetILNS1_3genE9ELNS1_11target_archE1100ELNS1_3gpuE3ELNS1_3repE0EEENS1_30default_config_static_selectorELNS0_4arch9wavefront6targetE0EEEvS13_,"axG",@progbits,_ZN7rocprim17ROCPRIM_400000_NS6detail17trampoline_kernelINS0_13select_configILj256ELj13ELNS0_17block_load_methodE3ELS4_3ELS4_3ELNS0_20block_scan_algorithmE0ELj4294967295EEENS1_25partition_config_selectorILNS1_17partition_subalgoE4EjNS0_10empty_typeEbEEZZNS1_14partition_implILS8_4ELb0ES6_15HIP_vector_typeIjLj2EENS0_17counting_iteratorIjlEEPS9_SG_NS0_5tupleIJPjSI_NS0_16reverse_iteratorISI_EEEEENSH_IJSG_SG_SG_EEES9_SI_JZNS1_25segmented_radix_sort_implINS0_14default_configELb1EPK6__halfPSP_PKlPlN2at6native12_GLOBAL__N_18offset_tEEE10hipError_tPvRmT1_PNSt15iterator_traitsIS13_E10value_typeET2_T3_PNS14_IS19_E10value_typeET4_jRbjT5_S1F_jjP12ihipStream_tbEUljE_ZNSN_ISO_Lb1ESR_SS_SU_SV_SZ_EES10_S11_S12_S13_S17_S18_S19_S1C_S1D_jS1E_jS1F_S1F_jjS1H_bEUljE0_EEES10_S11_S12_S19_S1D_S1F_T6_T7_T9_mT8_S1H_bDpT10_ENKUlT_T0_E_clISt17integral_constantIbLb0EES1V_EEDaS1Q_S1R_EUlS1Q_E_NS1_11comp_targetILNS1_3genE9ELNS1_11target_archE1100ELNS1_3gpuE3ELNS1_3repE0EEENS1_30default_config_static_selectorELNS0_4arch9wavefront6targetE0EEEvS13_,comdat
	.globl	_ZN7rocprim17ROCPRIM_400000_NS6detail17trampoline_kernelINS0_13select_configILj256ELj13ELNS0_17block_load_methodE3ELS4_3ELS4_3ELNS0_20block_scan_algorithmE0ELj4294967295EEENS1_25partition_config_selectorILNS1_17partition_subalgoE4EjNS0_10empty_typeEbEEZZNS1_14partition_implILS8_4ELb0ES6_15HIP_vector_typeIjLj2EENS0_17counting_iteratorIjlEEPS9_SG_NS0_5tupleIJPjSI_NS0_16reverse_iteratorISI_EEEEENSH_IJSG_SG_SG_EEES9_SI_JZNS1_25segmented_radix_sort_implINS0_14default_configELb1EPK6__halfPSP_PKlPlN2at6native12_GLOBAL__N_18offset_tEEE10hipError_tPvRmT1_PNSt15iterator_traitsIS13_E10value_typeET2_T3_PNS14_IS19_E10value_typeET4_jRbjT5_S1F_jjP12ihipStream_tbEUljE_ZNSN_ISO_Lb1ESR_SS_SU_SV_SZ_EES10_S11_S12_S13_S17_S18_S19_S1C_S1D_jS1E_jS1F_S1F_jjS1H_bEUljE0_EEES10_S11_S12_S19_S1D_S1F_T6_T7_T9_mT8_S1H_bDpT10_ENKUlT_T0_E_clISt17integral_constantIbLb0EES1V_EEDaS1Q_S1R_EUlS1Q_E_NS1_11comp_targetILNS1_3genE9ELNS1_11target_archE1100ELNS1_3gpuE3ELNS1_3repE0EEENS1_30default_config_static_selectorELNS0_4arch9wavefront6targetE0EEEvS13_ ; -- Begin function _ZN7rocprim17ROCPRIM_400000_NS6detail17trampoline_kernelINS0_13select_configILj256ELj13ELNS0_17block_load_methodE3ELS4_3ELS4_3ELNS0_20block_scan_algorithmE0ELj4294967295EEENS1_25partition_config_selectorILNS1_17partition_subalgoE4EjNS0_10empty_typeEbEEZZNS1_14partition_implILS8_4ELb0ES6_15HIP_vector_typeIjLj2EENS0_17counting_iteratorIjlEEPS9_SG_NS0_5tupleIJPjSI_NS0_16reverse_iteratorISI_EEEEENSH_IJSG_SG_SG_EEES9_SI_JZNS1_25segmented_radix_sort_implINS0_14default_configELb1EPK6__halfPSP_PKlPlN2at6native12_GLOBAL__N_18offset_tEEE10hipError_tPvRmT1_PNSt15iterator_traitsIS13_E10value_typeET2_T3_PNS14_IS19_E10value_typeET4_jRbjT5_S1F_jjP12ihipStream_tbEUljE_ZNSN_ISO_Lb1ESR_SS_SU_SV_SZ_EES10_S11_S12_S13_S17_S18_S19_S1C_S1D_jS1E_jS1F_S1F_jjS1H_bEUljE0_EEES10_S11_S12_S19_S1D_S1F_T6_T7_T9_mT8_S1H_bDpT10_ENKUlT_T0_E_clISt17integral_constantIbLb0EES1V_EEDaS1Q_S1R_EUlS1Q_E_NS1_11comp_targetILNS1_3genE9ELNS1_11target_archE1100ELNS1_3gpuE3ELNS1_3repE0EEENS1_30default_config_static_selectorELNS0_4arch9wavefront6targetE0EEEvS13_
	.p2align	8
	.type	_ZN7rocprim17ROCPRIM_400000_NS6detail17trampoline_kernelINS0_13select_configILj256ELj13ELNS0_17block_load_methodE3ELS4_3ELS4_3ELNS0_20block_scan_algorithmE0ELj4294967295EEENS1_25partition_config_selectorILNS1_17partition_subalgoE4EjNS0_10empty_typeEbEEZZNS1_14partition_implILS8_4ELb0ES6_15HIP_vector_typeIjLj2EENS0_17counting_iteratorIjlEEPS9_SG_NS0_5tupleIJPjSI_NS0_16reverse_iteratorISI_EEEEENSH_IJSG_SG_SG_EEES9_SI_JZNS1_25segmented_radix_sort_implINS0_14default_configELb1EPK6__halfPSP_PKlPlN2at6native12_GLOBAL__N_18offset_tEEE10hipError_tPvRmT1_PNSt15iterator_traitsIS13_E10value_typeET2_T3_PNS14_IS19_E10value_typeET4_jRbjT5_S1F_jjP12ihipStream_tbEUljE_ZNSN_ISO_Lb1ESR_SS_SU_SV_SZ_EES10_S11_S12_S13_S17_S18_S19_S1C_S1D_jS1E_jS1F_S1F_jjS1H_bEUljE0_EEES10_S11_S12_S19_S1D_S1F_T6_T7_T9_mT8_S1H_bDpT10_ENKUlT_T0_E_clISt17integral_constantIbLb0EES1V_EEDaS1Q_S1R_EUlS1Q_E_NS1_11comp_targetILNS1_3genE9ELNS1_11target_archE1100ELNS1_3gpuE3ELNS1_3repE0EEENS1_30default_config_static_selectorELNS0_4arch9wavefront6targetE0EEEvS13_,@function
_ZN7rocprim17ROCPRIM_400000_NS6detail17trampoline_kernelINS0_13select_configILj256ELj13ELNS0_17block_load_methodE3ELS4_3ELS4_3ELNS0_20block_scan_algorithmE0ELj4294967295EEENS1_25partition_config_selectorILNS1_17partition_subalgoE4EjNS0_10empty_typeEbEEZZNS1_14partition_implILS8_4ELb0ES6_15HIP_vector_typeIjLj2EENS0_17counting_iteratorIjlEEPS9_SG_NS0_5tupleIJPjSI_NS0_16reverse_iteratorISI_EEEEENSH_IJSG_SG_SG_EEES9_SI_JZNS1_25segmented_radix_sort_implINS0_14default_configELb1EPK6__halfPSP_PKlPlN2at6native12_GLOBAL__N_18offset_tEEE10hipError_tPvRmT1_PNSt15iterator_traitsIS13_E10value_typeET2_T3_PNS14_IS19_E10value_typeET4_jRbjT5_S1F_jjP12ihipStream_tbEUljE_ZNSN_ISO_Lb1ESR_SS_SU_SV_SZ_EES10_S11_S12_S13_S17_S18_S19_S1C_S1D_jS1E_jS1F_S1F_jjS1H_bEUljE0_EEES10_S11_S12_S19_S1D_S1F_T6_T7_T9_mT8_S1H_bDpT10_ENKUlT_T0_E_clISt17integral_constantIbLb0EES1V_EEDaS1Q_S1R_EUlS1Q_E_NS1_11comp_targetILNS1_3genE9ELNS1_11target_archE1100ELNS1_3gpuE3ELNS1_3repE0EEENS1_30default_config_static_selectorELNS0_4arch9wavefront6targetE0EEEvS13_: ; @_ZN7rocprim17ROCPRIM_400000_NS6detail17trampoline_kernelINS0_13select_configILj256ELj13ELNS0_17block_load_methodE3ELS4_3ELS4_3ELNS0_20block_scan_algorithmE0ELj4294967295EEENS1_25partition_config_selectorILNS1_17partition_subalgoE4EjNS0_10empty_typeEbEEZZNS1_14partition_implILS8_4ELb0ES6_15HIP_vector_typeIjLj2EENS0_17counting_iteratorIjlEEPS9_SG_NS0_5tupleIJPjSI_NS0_16reverse_iteratorISI_EEEEENSH_IJSG_SG_SG_EEES9_SI_JZNS1_25segmented_radix_sort_implINS0_14default_configELb1EPK6__halfPSP_PKlPlN2at6native12_GLOBAL__N_18offset_tEEE10hipError_tPvRmT1_PNSt15iterator_traitsIS13_E10value_typeET2_T3_PNS14_IS19_E10value_typeET4_jRbjT5_S1F_jjP12ihipStream_tbEUljE_ZNSN_ISO_Lb1ESR_SS_SU_SV_SZ_EES10_S11_S12_S13_S17_S18_S19_S1C_S1D_jS1E_jS1F_S1F_jjS1H_bEUljE0_EEES10_S11_S12_S19_S1D_S1F_T6_T7_T9_mT8_S1H_bDpT10_ENKUlT_T0_E_clISt17integral_constantIbLb0EES1V_EEDaS1Q_S1R_EUlS1Q_E_NS1_11comp_targetILNS1_3genE9ELNS1_11target_archE1100ELNS1_3gpuE3ELNS1_3repE0EEENS1_30default_config_static_selectorELNS0_4arch9wavefront6targetE0EEEvS13_
; %bb.0:
	.section	.rodata,"a",@progbits
	.p2align	6, 0x0
	.amdhsa_kernel _ZN7rocprim17ROCPRIM_400000_NS6detail17trampoline_kernelINS0_13select_configILj256ELj13ELNS0_17block_load_methodE3ELS4_3ELS4_3ELNS0_20block_scan_algorithmE0ELj4294967295EEENS1_25partition_config_selectorILNS1_17partition_subalgoE4EjNS0_10empty_typeEbEEZZNS1_14partition_implILS8_4ELb0ES6_15HIP_vector_typeIjLj2EENS0_17counting_iteratorIjlEEPS9_SG_NS0_5tupleIJPjSI_NS0_16reverse_iteratorISI_EEEEENSH_IJSG_SG_SG_EEES9_SI_JZNS1_25segmented_radix_sort_implINS0_14default_configELb1EPK6__halfPSP_PKlPlN2at6native12_GLOBAL__N_18offset_tEEE10hipError_tPvRmT1_PNSt15iterator_traitsIS13_E10value_typeET2_T3_PNS14_IS19_E10value_typeET4_jRbjT5_S1F_jjP12ihipStream_tbEUljE_ZNSN_ISO_Lb1ESR_SS_SU_SV_SZ_EES10_S11_S12_S13_S17_S18_S19_S1C_S1D_jS1E_jS1F_S1F_jjS1H_bEUljE0_EEES10_S11_S12_S19_S1D_S1F_T6_T7_T9_mT8_S1H_bDpT10_ENKUlT_T0_E_clISt17integral_constantIbLb0EES1V_EEDaS1Q_S1R_EUlS1Q_E_NS1_11comp_targetILNS1_3genE9ELNS1_11target_archE1100ELNS1_3gpuE3ELNS1_3repE0EEENS1_30default_config_static_selectorELNS0_4arch9wavefront6targetE0EEEvS13_
		.amdhsa_group_segment_fixed_size 0
		.amdhsa_private_segment_fixed_size 0
		.amdhsa_kernarg_size 176
		.amdhsa_user_sgpr_count 6
		.amdhsa_user_sgpr_private_segment_buffer 1
		.amdhsa_user_sgpr_dispatch_ptr 0
		.amdhsa_user_sgpr_queue_ptr 0
		.amdhsa_user_sgpr_kernarg_segment_ptr 1
		.amdhsa_user_sgpr_dispatch_id 0
		.amdhsa_user_sgpr_flat_scratch_init 0
		.amdhsa_user_sgpr_private_segment_size 0
		.amdhsa_wavefront_size32 1
		.amdhsa_uses_dynamic_stack 0
		.amdhsa_system_sgpr_private_segment_wavefront_offset 0
		.amdhsa_system_sgpr_workgroup_id_x 1
		.amdhsa_system_sgpr_workgroup_id_y 0
		.amdhsa_system_sgpr_workgroup_id_z 0
		.amdhsa_system_sgpr_workgroup_info 0
		.amdhsa_system_vgpr_workitem_id 0
		.amdhsa_next_free_vgpr 1
		.amdhsa_next_free_sgpr 1
		.amdhsa_reserve_vcc 0
		.amdhsa_reserve_flat_scratch 0
		.amdhsa_float_round_mode_32 0
		.amdhsa_float_round_mode_16_64 0
		.amdhsa_float_denorm_mode_32 3
		.amdhsa_float_denorm_mode_16_64 3
		.amdhsa_dx10_clamp 1
		.amdhsa_ieee_mode 1
		.amdhsa_fp16_overflow 0
		.amdhsa_workgroup_processor_mode 1
		.amdhsa_memory_ordered 1
		.amdhsa_forward_progress 1
		.amdhsa_shared_vgpr_count 0
		.amdhsa_exception_fp_ieee_invalid_op 0
		.amdhsa_exception_fp_denorm_src 0
		.amdhsa_exception_fp_ieee_div_zero 0
		.amdhsa_exception_fp_ieee_overflow 0
		.amdhsa_exception_fp_ieee_underflow 0
		.amdhsa_exception_fp_ieee_inexact 0
		.amdhsa_exception_int_div_zero 0
	.end_amdhsa_kernel
	.section	.text._ZN7rocprim17ROCPRIM_400000_NS6detail17trampoline_kernelINS0_13select_configILj256ELj13ELNS0_17block_load_methodE3ELS4_3ELS4_3ELNS0_20block_scan_algorithmE0ELj4294967295EEENS1_25partition_config_selectorILNS1_17partition_subalgoE4EjNS0_10empty_typeEbEEZZNS1_14partition_implILS8_4ELb0ES6_15HIP_vector_typeIjLj2EENS0_17counting_iteratorIjlEEPS9_SG_NS0_5tupleIJPjSI_NS0_16reverse_iteratorISI_EEEEENSH_IJSG_SG_SG_EEES9_SI_JZNS1_25segmented_radix_sort_implINS0_14default_configELb1EPK6__halfPSP_PKlPlN2at6native12_GLOBAL__N_18offset_tEEE10hipError_tPvRmT1_PNSt15iterator_traitsIS13_E10value_typeET2_T3_PNS14_IS19_E10value_typeET4_jRbjT5_S1F_jjP12ihipStream_tbEUljE_ZNSN_ISO_Lb1ESR_SS_SU_SV_SZ_EES10_S11_S12_S13_S17_S18_S19_S1C_S1D_jS1E_jS1F_S1F_jjS1H_bEUljE0_EEES10_S11_S12_S19_S1D_S1F_T6_T7_T9_mT8_S1H_bDpT10_ENKUlT_T0_E_clISt17integral_constantIbLb0EES1V_EEDaS1Q_S1R_EUlS1Q_E_NS1_11comp_targetILNS1_3genE9ELNS1_11target_archE1100ELNS1_3gpuE3ELNS1_3repE0EEENS1_30default_config_static_selectorELNS0_4arch9wavefront6targetE0EEEvS13_,"axG",@progbits,_ZN7rocprim17ROCPRIM_400000_NS6detail17trampoline_kernelINS0_13select_configILj256ELj13ELNS0_17block_load_methodE3ELS4_3ELS4_3ELNS0_20block_scan_algorithmE0ELj4294967295EEENS1_25partition_config_selectorILNS1_17partition_subalgoE4EjNS0_10empty_typeEbEEZZNS1_14partition_implILS8_4ELb0ES6_15HIP_vector_typeIjLj2EENS0_17counting_iteratorIjlEEPS9_SG_NS0_5tupleIJPjSI_NS0_16reverse_iteratorISI_EEEEENSH_IJSG_SG_SG_EEES9_SI_JZNS1_25segmented_radix_sort_implINS0_14default_configELb1EPK6__halfPSP_PKlPlN2at6native12_GLOBAL__N_18offset_tEEE10hipError_tPvRmT1_PNSt15iterator_traitsIS13_E10value_typeET2_T3_PNS14_IS19_E10value_typeET4_jRbjT5_S1F_jjP12ihipStream_tbEUljE_ZNSN_ISO_Lb1ESR_SS_SU_SV_SZ_EES10_S11_S12_S13_S17_S18_S19_S1C_S1D_jS1E_jS1F_S1F_jjS1H_bEUljE0_EEES10_S11_S12_S19_S1D_S1F_T6_T7_T9_mT8_S1H_bDpT10_ENKUlT_T0_E_clISt17integral_constantIbLb0EES1V_EEDaS1Q_S1R_EUlS1Q_E_NS1_11comp_targetILNS1_3genE9ELNS1_11target_archE1100ELNS1_3gpuE3ELNS1_3repE0EEENS1_30default_config_static_selectorELNS0_4arch9wavefront6targetE0EEEvS13_,comdat
.Lfunc_end1671:
	.size	_ZN7rocprim17ROCPRIM_400000_NS6detail17trampoline_kernelINS0_13select_configILj256ELj13ELNS0_17block_load_methodE3ELS4_3ELS4_3ELNS0_20block_scan_algorithmE0ELj4294967295EEENS1_25partition_config_selectorILNS1_17partition_subalgoE4EjNS0_10empty_typeEbEEZZNS1_14partition_implILS8_4ELb0ES6_15HIP_vector_typeIjLj2EENS0_17counting_iteratorIjlEEPS9_SG_NS0_5tupleIJPjSI_NS0_16reverse_iteratorISI_EEEEENSH_IJSG_SG_SG_EEES9_SI_JZNS1_25segmented_radix_sort_implINS0_14default_configELb1EPK6__halfPSP_PKlPlN2at6native12_GLOBAL__N_18offset_tEEE10hipError_tPvRmT1_PNSt15iterator_traitsIS13_E10value_typeET2_T3_PNS14_IS19_E10value_typeET4_jRbjT5_S1F_jjP12ihipStream_tbEUljE_ZNSN_ISO_Lb1ESR_SS_SU_SV_SZ_EES10_S11_S12_S13_S17_S18_S19_S1C_S1D_jS1E_jS1F_S1F_jjS1H_bEUljE0_EEES10_S11_S12_S19_S1D_S1F_T6_T7_T9_mT8_S1H_bDpT10_ENKUlT_T0_E_clISt17integral_constantIbLb0EES1V_EEDaS1Q_S1R_EUlS1Q_E_NS1_11comp_targetILNS1_3genE9ELNS1_11target_archE1100ELNS1_3gpuE3ELNS1_3repE0EEENS1_30default_config_static_selectorELNS0_4arch9wavefront6targetE0EEEvS13_, .Lfunc_end1671-_ZN7rocprim17ROCPRIM_400000_NS6detail17trampoline_kernelINS0_13select_configILj256ELj13ELNS0_17block_load_methodE3ELS4_3ELS4_3ELNS0_20block_scan_algorithmE0ELj4294967295EEENS1_25partition_config_selectorILNS1_17partition_subalgoE4EjNS0_10empty_typeEbEEZZNS1_14partition_implILS8_4ELb0ES6_15HIP_vector_typeIjLj2EENS0_17counting_iteratorIjlEEPS9_SG_NS0_5tupleIJPjSI_NS0_16reverse_iteratorISI_EEEEENSH_IJSG_SG_SG_EEES9_SI_JZNS1_25segmented_radix_sort_implINS0_14default_configELb1EPK6__halfPSP_PKlPlN2at6native12_GLOBAL__N_18offset_tEEE10hipError_tPvRmT1_PNSt15iterator_traitsIS13_E10value_typeET2_T3_PNS14_IS19_E10value_typeET4_jRbjT5_S1F_jjP12ihipStream_tbEUljE_ZNSN_ISO_Lb1ESR_SS_SU_SV_SZ_EES10_S11_S12_S13_S17_S18_S19_S1C_S1D_jS1E_jS1F_S1F_jjS1H_bEUljE0_EEES10_S11_S12_S19_S1D_S1F_T6_T7_T9_mT8_S1H_bDpT10_ENKUlT_T0_E_clISt17integral_constantIbLb0EES1V_EEDaS1Q_S1R_EUlS1Q_E_NS1_11comp_targetILNS1_3genE9ELNS1_11target_archE1100ELNS1_3gpuE3ELNS1_3repE0EEENS1_30default_config_static_selectorELNS0_4arch9wavefront6targetE0EEEvS13_
                                        ; -- End function
	.set _ZN7rocprim17ROCPRIM_400000_NS6detail17trampoline_kernelINS0_13select_configILj256ELj13ELNS0_17block_load_methodE3ELS4_3ELS4_3ELNS0_20block_scan_algorithmE0ELj4294967295EEENS1_25partition_config_selectorILNS1_17partition_subalgoE4EjNS0_10empty_typeEbEEZZNS1_14partition_implILS8_4ELb0ES6_15HIP_vector_typeIjLj2EENS0_17counting_iteratorIjlEEPS9_SG_NS0_5tupleIJPjSI_NS0_16reverse_iteratorISI_EEEEENSH_IJSG_SG_SG_EEES9_SI_JZNS1_25segmented_radix_sort_implINS0_14default_configELb1EPK6__halfPSP_PKlPlN2at6native12_GLOBAL__N_18offset_tEEE10hipError_tPvRmT1_PNSt15iterator_traitsIS13_E10value_typeET2_T3_PNS14_IS19_E10value_typeET4_jRbjT5_S1F_jjP12ihipStream_tbEUljE_ZNSN_ISO_Lb1ESR_SS_SU_SV_SZ_EES10_S11_S12_S13_S17_S18_S19_S1C_S1D_jS1E_jS1F_S1F_jjS1H_bEUljE0_EEES10_S11_S12_S19_S1D_S1F_T6_T7_T9_mT8_S1H_bDpT10_ENKUlT_T0_E_clISt17integral_constantIbLb0EES1V_EEDaS1Q_S1R_EUlS1Q_E_NS1_11comp_targetILNS1_3genE9ELNS1_11target_archE1100ELNS1_3gpuE3ELNS1_3repE0EEENS1_30default_config_static_selectorELNS0_4arch9wavefront6targetE0EEEvS13_.num_vgpr, 0
	.set _ZN7rocprim17ROCPRIM_400000_NS6detail17trampoline_kernelINS0_13select_configILj256ELj13ELNS0_17block_load_methodE3ELS4_3ELS4_3ELNS0_20block_scan_algorithmE0ELj4294967295EEENS1_25partition_config_selectorILNS1_17partition_subalgoE4EjNS0_10empty_typeEbEEZZNS1_14partition_implILS8_4ELb0ES6_15HIP_vector_typeIjLj2EENS0_17counting_iteratorIjlEEPS9_SG_NS0_5tupleIJPjSI_NS0_16reverse_iteratorISI_EEEEENSH_IJSG_SG_SG_EEES9_SI_JZNS1_25segmented_radix_sort_implINS0_14default_configELb1EPK6__halfPSP_PKlPlN2at6native12_GLOBAL__N_18offset_tEEE10hipError_tPvRmT1_PNSt15iterator_traitsIS13_E10value_typeET2_T3_PNS14_IS19_E10value_typeET4_jRbjT5_S1F_jjP12ihipStream_tbEUljE_ZNSN_ISO_Lb1ESR_SS_SU_SV_SZ_EES10_S11_S12_S13_S17_S18_S19_S1C_S1D_jS1E_jS1F_S1F_jjS1H_bEUljE0_EEES10_S11_S12_S19_S1D_S1F_T6_T7_T9_mT8_S1H_bDpT10_ENKUlT_T0_E_clISt17integral_constantIbLb0EES1V_EEDaS1Q_S1R_EUlS1Q_E_NS1_11comp_targetILNS1_3genE9ELNS1_11target_archE1100ELNS1_3gpuE3ELNS1_3repE0EEENS1_30default_config_static_selectorELNS0_4arch9wavefront6targetE0EEEvS13_.num_agpr, 0
	.set _ZN7rocprim17ROCPRIM_400000_NS6detail17trampoline_kernelINS0_13select_configILj256ELj13ELNS0_17block_load_methodE3ELS4_3ELS4_3ELNS0_20block_scan_algorithmE0ELj4294967295EEENS1_25partition_config_selectorILNS1_17partition_subalgoE4EjNS0_10empty_typeEbEEZZNS1_14partition_implILS8_4ELb0ES6_15HIP_vector_typeIjLj2EENS0_17counting_iteratorIjlEEPS9_SG_NS0_5tupleIJPjSI_NS0_16reverse_iteratorISI_EEEEENSH_IJSG_SG_SG_EEES9_SI_JZNS1_25segmented_radix_sort_implINS0_14default_configELb1EPK6__halfPSP_PKlPlN2at6native12_GLOBAL__N_18offset_tEEE10hipError_tPvRmT1_PNSt15iterator_traitsIS13_E10value_typeET2_T3_PNS14_IS19_E10value_typeET4_jRbjT5_S1F_jjP12ihipStream_tbEUljE_ZNSN_ISO_Lb1ESR_SS_SU_SV_SZ_EES10_S11_S12_S13_S17_S18_S19_S1C_S1D_jS1E_jS1F_S1F_jjS1H_bEUljE0_EEES10_S11_S12_S19_S1D_S1F_T6_T7_T9_mT8_S1H_bDpT10_ENKUlT_T0_E_clISt17integral_constantIbLb0EES1V_EEDaS1Q_S1R_EUlS1Q_E_NS1_11comp_targetILNS1_3genE9ELNS1_11target_archE1100ELNS1_3gpuE3ELNS1_3repE0EEENS1_30default_config_static_selectorELNS0_4arch9wavefront6targetE0EEEvS13_.numbered_sgpr, 0
	.set _ZN7rocprim17ROCPRIM_400000_NS6detail17trampoline_kernelINS0_13select_configILj256ELj13ELNS0_17block_load_methodE3ELS4_3ELS4_3ELNS0_20block_scan_algorithmE0ELj4294967295EEENS1_25partition_config_selectorILNS1_17partition_subalgoE4EjNS0_10empty_typeEbEEZZNS1_14partition_implILS8_4ELb0ES6_15HIP_vector_typeIjLj2EENS0_17counting_iteratorIjlEEPS9_SG_NS0_5tupleIJPjSI_NS0_16reverse_iteratorISI_EEEEENSH_IJSG_SG_SG_EEES9_SI_JZNS1_25segmented_radix_sort_implINS0_14default_configELb1EPK6__halfPSP_PKlPlN2at6native12_GLOBAL__N_18offset_tEEE10hipError_tPvRmT1_PNSt15iterator_traitsIS13_E10value_typeET2_T3_PNS14_IS19_E10value_typeET4_jRbjT5_S1F_jjP12ihipStream_tbEUljE_ZNSN_ISO_Lb1ESR_SS_SU_SV_SZ_EES10_S11_S12_S13_S17_S18_S19_S1C_S1D_jS1E_jS1F_S1F_jjS1H_bEUljE0_EEES10_S11_S12_S19_S1D_S1F_T6_T7_T9_mT8_S1H_bDpT10_ENKUlT_T0_E_clISt17integral_constantIbLb0EES1V_EEDaS1Q_S1R_EUlS1Q_E_NS1_11comp_targetILNS1_3genE9ELNS1_11target_archE1100ELNS1_3gpuE3ELNS1_3repE0EEENS1_30default_config_static_selectorELNS0_4arch9wavefront6targetE0EEEvS13_.num_named_barrier, 0
	.set _ZN7rocprim17ROCPRIM_400000_NS6detail17trampoline_kernelINS0_13select_configILj256ELj13ELNS0_17block_load_methodE3ELS4_3ELS4_3ELNS0_20block_scan_algorithmE0ELj4294967295EEENS1_25partition_config_selectorILNS1_17partition_subalgoE4EjNS0_10empty_typeEbEEZZNS1_14partition_implILS8_4ELb0ES6_15HIP_vector_typeIjLj2EENS0_17counting_iteratorIjlEEPS9_SG_NS0_5tupleIJPjSI_NS0_16reverse_iteratorISI_EEEEENSH_IJSG_SG_SG_EEES9_SI_JZNS1_25segmented_radix_sort_implINS0_14default_configELb1EPK6__halfPSP_PKlPlN2at6native12_GLOBAL__N_18offset_tEEE10hipError_tPvRmT1_PNSt15iterator_traitsIS13_E10value_typeET2_T3_PNS14_IS19_E10value_typeET4_jRbjT5_S1F_jjP12ihipStream_tbEUljE_ZNSN_ISO_Lb1ESR_SS_SU_SV_SZ_EES10_S11_S12_S13_S17_S18_S19_S1C_S1D_jS1E_jS1F_S1F_jjS1H_bEUljE0_EEES10_S11_S12_S19_S1D_S1F_T6_T7_T9_mT8_S1H_bDpT10_ENKUlT_T0_E_clISt17integral_constantIbLb0EES1V_EEDaS1Q_S1R_EUlS1Q_E_NS1_11comp_targetILNS1_3genE9ELNS1_11target_archE1100ELNS1_3gpuE3ELNS1_3repE0EEENS1_30default_config_static_selectorELNS0_4arch9wavefront6targetE0EEEvS13_.private_seg_size, 0
	.set _ZN7rocprim17ROCPRIM_400000_NS6detail17trampoline_kernelINS0_13select_configILj256ELj13ELNS0_17block_load_methodE3ELS4_3ELS4_3ELNS0_20block_scan_algorithmE0ELj4294967295EEENS1_25partition_config_selectorILNS1_17partition_subalgoE4EjNS0_10empty_typeEbEEZZNS1_14partition_implILS8_4ELb0ES6_15HIP_vector_typeIjLj2EENS0_17counting_iteratorIjlEEPS9_SG_NS0_5tupleIJPjSI_NS0_16reverse_iteratorISI_EEEEENSH_IJSG_SG_SG_EEES9_SI_JZNS1_25segmented_radix_sort_implINS0_14default_configELb1EPK6__halfPSP_PKlPlN2at6native12_GLOBAL__N_18offset_tEEE10hipError_tPvRmT1_PNSt15iterator_traitsIS13_E10value_typeET2_T3_PNS14_IS19_E10value_typeET4_jRbjT5_S1F_jjP12ihipStream_tbEUljE_ZNSN_ISO_Lb1ESR_SS_SU_SV_SZ_EES10_S11_S12_S13_S17_S18_S19_S1C_S1D_jS1E_jS1F_S1F_jjS1H_bEUljE0_EEES10_S11_S12_S19_S1D_S1F_T6_T7_T9_mT8_S1H_bDpT10_ENKUlT_T0_E_clISt17integral_constantIbLb0EES1V_EEDaS1Q_S1R_EUlS1Q_E_NS1_11comp_targetILNS1_3genE9ELNS1_11target_archE1100ELNS1_3gpuE3ELNS1_3repE0EEENS1_30default_config_static_selectorELNS0_4arch9wavefront6targetE0EEEvS13_.uses_vcc, 0
	.set _ZN7rocprim17ROCPRIM_400000_NS6detail17trampoline_kernelINS0_13select_configILj256ELj13ELNS0_17block_load_methodE3ELS4_3ELS4_3ELNS0_20block_scan_algorithmE0ELj4294967295EEENS1_25partition_config_selectorILNS1_17partition_subalgoE4EjNS0_10empty_typeEbEEZZNS1_14partition_implILS8_4ELb0ES6_15HIP_vector_typeIjLj2EENS0_17counting_iteratorIjlEEPS9_SG_NS0_5tupleIJPjSI_NS0_16reverse_iteratorISI_EEEEENSH_IJSG_SG_SG_EEES9_SI_JZNS1_25segmented_radix_sort_implINS0_14default_configELb1EPK6__halfPSP_PKlPlN2at6native12_GLOBAL__N_18offset_tEEE10hipError_tPvRmT1_PNSt15iterator_traitsIS13_E10value_typeET2_T3_PNS14_IS19_E10value_typeET4_jRbjT5_S1F_jjP12ihipStream_tbEUljE_ZNSN_ISO_Lb1ESR_SS_SU_SV_SZ_EES10_S11_S12_S13_S17_S18_S19_S1C_S1D_jS1E_jS1F_S1F_jjS1H_bEUljE0_EEES10_S11_S12_S19_S1D_S1F_T6_T7_T9_mT8_S1H_bDpT10_ENKUlT_T0_E_clISt17integral_constantIbLb0EES1V_EEDaS1Q_S1R_EUlS1Q_E_NS1_11comp_targetILNS1_3genE9ELNS1_11target_archE1100ELNS1_3gpuE3ELNS1_3repE0EEENS1_30default_config_static_selectorELNS0_4arch9wavefront6targetE0EEEvS13_.uses_flat_scratch, 0
	.set _ZN7rocprim17ROCPRIM_400000_NS6detail17trampoline_kernelINS0_13select_configILj256ELj13ELNS0_17block_load_methodE3ELS4_3ELS4_3ELNS0_20block_scan_algorithmE0ELj4294967295EEENS1_25partition_config_selectorILNS1_17partition_subalgoE4EjNS0_10empty_typeEbEEZZNS1_14partition_implILS8_4ELb0ES6_15HIP_vector_typeIjLj2EENS0_17counting_iteratorIjlEEPS9_SG_NS0_5tupleIJPjSI_NS0_16reverse_iteratorISI_EEEEENSH_IJSG_SG_SG_EEES9_SI_JZNS1_25segmented_radix_sort_implINS0_14default_configELb1EPK6__halfPSP_PKlPlN2at6native12_GLOBAL__N_18offset_tEEE10hipError_tPvRmT1_PNSt15iterator_traitsIS13_E10value_typeET2_T3_PNS14_IS19_E10value_typeET4_jRbjT5_S1F_jjP12ihipStream_tbEUljE_ZNSN_ISO_Lb1ESR_SS_SU_SV_SZ_EES10_S11_S12_S13_S17_S18_S19_S1C_S1D_jS1E_jS1F_S1F_jjS1H_bEUljE0_EEES10_S11_S12_S19_S1D_S1F_T6_T7_T9_mT8_S1H_bDpT10_ENKUlT_T0_E_clISt17integral_constantIbLb0EES1V_EEDaS1Q_S1R_EUlS1Q_E_NS1_11comp_targetILNS1_3genE9ELNS1_11target_archE1100ELNS1_3gpuE3ELNS1_3repE0EEENS1_30default_config_static_selectorELNS0_4arch9wavefront6targetE0EEEvS13_.has_dyn_sized_stack, 0
	.set _ZN7rocprim17ROCPRIM_400000_NS6detail17trampoline_kernelINS0_13select_configILj256ELj13ELNS0_17block_load_methodE3ELS4_3ELS4_3ELNS0_20block_scan_algorithmE0ELj4294967295EEENS1_25partition_config_selectorILNS1_17partition_subalgoE4EjNS0_10empty_typeEbEEZZNS1_14partition_implILS8_4ELb0ES6_15HIP_vector_typeIjLj2EENS0_17counting_iteratorIjlEEPS9_SG_NS0_5tupleIJPjSI_NS0_16reverse_iteratorISI_EEEEENSH_IJSG_SG_SG_EEES9_SI_JZNS1_25segmented_radix_sort_implINS0_14default_configELb1EPK6__halfPSP_PKlPlN2at6native12_GLOBAL__N_18offset_tEEE10hipError_tPvRmT1_PNSt15iterator_traitsIS13_E10value_typeET2_T3_PNS14_IS19_E10value_typeET4_jRbjT5_S1F_jjP12ihipStream_tbEUljE_ZNSN_ISO_Lb1ESR_SS_SU_SV_SZ_EES10_S11_S12_S13_S17_S18_S19_S1C_S1D_jS1E_jS1F_S1F_jjS1H_bEUljE0_EEES10_S11_S12_S19_S1D_S1F_T6_T7_T9_mT8_S1H_bDpT10_ENKUlT_T0_E_clISt17integral_constantIbLb0EES1V_EEDaS1Q_S1R_EUlS1Q_E_NS1_11comp_targetILNS1_3genE9ELNS1_11target_archE1100ELNS1_3gpuE3ELNS1_3repE0EEENS1_30default_config_static_selectorELNS0_4arch9wavefront6targetE0EEEvS13_.has_recursion, 0
	.set _ZN7rocprim17ROCPRIM_400000_NS6detail17trampoline_kernelINS0_13select_configILj256ELj13ELNS0_17block_load_methodE3ELS4_3ELS4_3ELNS0_20block_scan_algorithmE0ELj4294967295EEENS1_25partition_config_selectorILNS1_17partition_subalgoE4EjNS0_10empty_typeEbEEZZNS1_14partition_implILS8_4ELb0ES6_15HIP_vector_typeIjLj2EENS0_17counting_iteratorIjlEEPS9_SG_NS0_5tupleIJPjSI_NS0_16reverse_iteratorISI_EEEEENSH_IJSG_SG_SG_EEES9_SI_JZNS1_25segmented_radix_sort_implINS0_14default_configELb1EPK6__halfPSP_PKlPlN2at6native12_GLOBAL__N_18offset_tEEE10hipError_tPvRmT1_PNSt15iterator_traitsIS13_E10value_typeET2_T3_PNS14_IS19_E10value_typeET4_jRbjT5_S1F_jjP12ihipStream_tbEUljE_ZNSN_ISO_Lb1ESR_SS_SU_SV_SZ_EES10_S11_S12_S13_S17_S18_S19_S1C_S1D_jS1E_jS1F_S1F_jjS1H_bEUljE0_EEES10_S11_S12_S19_S1D_S1F_T6_T7_T9_mT8_S1H_bDpT10_ENKUlT_T0_E_clISt17integral_constantIbLb0EES1V_EEDaS1Q_S1R_EUlS1Q_E_NS1_11comp_targetILNS1_3genE9ELNS1_11target_archE1100ELNS1_3gpuE3ELNS1_3repE0EEENS1_30default_config_static_selectorELNS0_4arch9wavefront6targetE0EEEvS13_.has_indirect_call, 0
	.section	.AMDGPU.csdata,"",@progbits
; Kernel info:
; codeLenInByte = 0
; TotalNumSgprs: 0
; NumVgprs: 0
; ScratchSize: 0
; MemoryBound: 0
; FloatMode: 240
; IeeeMode: 1
; LDSByteSize: 0 bytes/workgroup (compile time only)
; SGPRBlocks: 0
; VGPRBlocks: 0
; NumSGPRsForWavesPerEU: 1
; NumVGPRsForWavesPerEU: 1
; Occupancy: 16
; WaveLimiterHint : 0
; COMPUTE_PGM_RSRC2:SCRATCH_EN: 0
; COMPUTE_PGM_RSRC2:USER_SGPR: 6
; COMPUTE_PGM_RSRC2:TRAP_HANDLER: 0
; COMPUTE_PGM_RSRC2:TGID_X_EN: 1
; COMPUTE_PGM_RSRC2:TGID_Y_EN: 0
; COMPUTE_PGM_RSRC2:TGID_Z_EN: 0
; COMPUTE_PGM_RSRC2:TIDIG_COMP_CNT: 0
	.section	.text._ZN7rocprim17ROCPRIM_400000_NS6detail17trampoline_kernelINS0_13select_configILj256ELj13ELNS0_17block_load_methodE3ELS4_3ELS4_3ELNS0_20block_scan_algorithmE0ELj4294967295EEENS1_25partition_config_selectorILNS1_17partition_subalgoE4EjNS0_10empty_typeEbEEZZNS1_14partition_implILS8_4ELb0ES6_15HIP_vector_typeIjLj2EENS0_17counting_iteratorIjlEEPS9_SG_NS0_5tupleIJPjSI_NS0_16reverse_iteratorISI_EEEEENSH_IJSG_SG_SG_EEES9_SI_JZNS1_25segmented_radix_sort_implINS0_14default_configELb1EPK6__halfPSP_PKlPlN2at6native12_GLOBAL__N_18offset_tEEE10hipError_tPvRmT1_PNSt15iterator_traitsIS13_E10value_typeET2_T3_PNS14_IS19_E10value_typeET4_jRbjT5_S1F_jjP12ihipStream_tbEUljE_ZNSN_ISO_Lb1ESR_SS_SU_SV_SZ_EES10_S11_S12_S13_S17_S18_S19_S1C_S1D_jS1E_jS1F_S1F_jjS1H_bEUljE0_EEES10_S11_S12_S19_S1D_S1F_T6_T7_T9_mT8_S1H_bDpT10_ENKUlT_T0_E_clISt17integral_constantIbLb0EES1V_EEDaS1Q_S1R_EUlS1Q_E_NS1_11comp_targetILNS1_3genE8ELNS1_11target_archE1030ELNS1_3gpuE2ELNS1_3repE0EEENS1_30default_config_static_selectorELNS0_4arch9wavefront6targetE0EEEvS13_,"axG",@progbits,_ZN7rocprim17ROCPRIM_400000_NS6detail17trampoline_kernelINS0_13select_configILj256ELj13ELNS0_17block_load_methodE3ELS4_3ELS4_3ELNS0_20block_scan_algorithmE0ELj4294967295EEENS1_25partition_config_selectorILNS1_17partition_subalgoE4EjNS0_10empty_typeEbEEZZNS1_14partition_implILS8_4ELb0ES6_15HIP_vector_typeIjLj2EENS0_17counting_iteratorIjlEEPS9_SG_NS0_5tupleIJPjSI_NS0_16reverse_iteratorISI_EEEEENSH_IJSG_SG_SG_EEES9_SI_JZNS1_25segmented_radix_sort_implINS0_14default_configELb1EPK6__halfPSP_PKlPlN2at6native12_GLOBAL__N_18offset_tEEE10hipError_tPvRmT1_PNSt15iterator_traitsIS13_E10value_typeET2_T3_PNS14_IS19_E10value_typeET4_jRbjT5_S1F_jjP12ihipStream_tbEUljE_ZNSN_ISO_Lb1ESR_SS_SU_SV_SZ_EES10_S11_S12_S13_S17_S18_S19_S1C_S1D_jS1E_jS1F_S1F_jjS1H_bEUljE0_EEES10_S11_S12_S19_S1D_S1F_T6_T7_T9_mT8_S1H_bDpT10_ENKUlT_T0_E_clISt17integral_constantIbLb0EES1V_EEDaS1Q_S1R_EUlS1Q_E_NS1_11comp_targetILNS1_3genE8ELNS1_11target_archE1030ELNS1_3gpuE2ELNS1_3repE0EEENS1_30default_config_static_selectorELNS0_4arch9wavefront6targetE0EEEvS13_,comdat
	.globl	_ZN7rocprim17ROCPRIM_400000_NS6detail17trampoline_kernelINS0_13select_configILj256ELj13ELNS0_17block_load_methodE3ELS4_3ELS4_3ELNS0_20block_scan_algorithmE0ELj4294967295EEENS1_25partition_config_selectorILNS1_17partition_subalgoE4EjNS0_10empty_typeEbEEZZNS1_14partition_implILS8_4ELb0ES6_15HIP_vector_typeIjLj2EENS0_17counting_iteratorIjlEEPS9_SG_NS0_5tupleIJPjSI_NS0_16reverse_iteratorISI_EEEEENSH_IJSG_SG_SG_EEES9_SI_JZNS1_25segmented_radix_sort_implINS0_14default_configELb1EPK6__halfPSP_PKlPlN2at6native12_GLOBAL__N_18offset_tEEE10hipError_tPvRmT1_PNSt15iterator_traitsIS13_E10value_typeET2_T3_PNS14_IS19_E10value_typeET4_jRbjT5_S1F_jjP12ihipStream_tbEUljE_ZNSN_ISO_Lb1ESR_SS_SU_SV_SZ_EES10_S11_S12_S13_S17_S18_S19_S1C_S1D_jS1E_jS1F_S1F_jjS1H_bEUljE0_EEES10_S11_S12_S19_S1D_S1F_T6_T7_T9_mT8_S1H_bDpT10_ENKUlT_T0_E_clISt17integral_constantIbLb0EES1V_EEDaS1Q_S1R_EUlS1Q_E_NS1_11comp_targetILNS1_3genE8ELNS1_11target_archE1030ELNS1_3gpuE2ELNS1_3repE0EEENS1_30default_config_static_selectorELNS0_4arch9wavefront6targetE0EEEvS13_ ; -- Begin function _ZN7rocprim17ROCPRIM_400000_NS6detail17trampoline_kernelINS0_13select_configILj256ELj13ELNS0_17block_load_methodE3ELS4_3ELS4_3ELNS0_20block_scan_algorithmE0ELj4294967295EEENS1_25partition_config_selectorILNS1_17partition_subalgoE4EjNS0_10empty_typeEbEEZZNS1_14partition_implILS8_4ELb0ES6_15HIP_vector_typeIjLj2EENS0_17counting_iteratorIjlEEPS9_SG_NS0_5tupleIJPjSI_NS0_16reverse_iteratorISI_EEEEENSH_IJSG_SG_SG_EEES9_SI_JZNS1_25segmented_radix_sort_implINS0_14default_configELb1EPK6__halfPSP_PKlPlN2at6native12_GLOBAL__N_18offset_tEEE10hipError_tPvRmT1_PNSt15iterator_traitsIS13_E10value_typeET2_T3_PNS14_IS19_E10value_typeET4_jRbjT5_S1F_jjP12ihipStream_tbEUljE_ZNSN_ISO_Lb1ESR_SS_SU_SV_SZ_EES10_S11_S12_S13_S17_S18_S19_S1C_S1D_jS1E_jS1F_S1F_jjS1H_bEUljE0_EEES10_S11_S12_S19_S1D_S1F_T6_T7_T9_mT8_S1H_bDpT10_ENKUlT_T0_E_clISt17integral_constantIbLb0EES1V_EEDaS1Q_S1R_EUlS1Q_E_NS1_11comp_targetILNS1_3genE8ELNS1_11target_archE1030ELNS1_3gpuE2ELNS1_3repE0EEENS1_30default_config_static_selectorELNS0_4arch9wavefront6targetE0EEEvS13_
	.p2align	8
	.type	_ZN7rocprim17ROCPRIM_400000_NS6detail17trampoline_kernelINS0_13select_configILj256ELj13ELNS0_17block_load_methodE3ELS4_3ELS4_3ELNS0_20block_scan_algorithmE0ELj4294967295EEENS1_25partition_config_selectorILNS1_17partition_subalgoE4EjNS0_10empty_typeEbEEZZNS1_14partition_implILS8_4ELb0ES6_15HIP_vector_typeIjLj2EENS0_17counting_iteratorIjlEEPS9_SG_NS0_5tupleIJPjSI_NS0_16reverse_iteratorISI_EEEEENSH_IJSG_SG_SG_EEES9_SI_JZNS1_25segmented_radix_sort_implINS0_14default_configELb1EPK6__halfPSP_PKlPlN2at6native12_GLOBAL__N_18offset_tEEE10hipError_tPvRmT1_PNSt15iterator_traitsIS13_E10value_typeET2_T3_PNS14_IS19_E10value_typeET4_jRbjT5_S1F_jjP12ihipStream_tbEUljE_ZNSN_ISO_Lb1ESR_SS_SU_SV_SZ_EES10_S11_S12_S13_S17_S18_S19_S1C_S1D_jS1E_jS1F_S1F_jjS1H_bEUljE0_EEES10_S11_S12_S19_S1D_S1F_T6_T7_T9_mT8_S1H_bDpT10_ENKUlT_T0_E_clISt17integral_constantIbLb0EES1V_EEDaS1Q_S1R_EUlS1Q_E_NS1_11comp_targetILNS1_3genE8ELNS1_11target_archE1030ELNS1_3gpuE2ELNS1_3repE0EEENS1_30default_config_static_selectorELNS0_4arch9wavefront6targetE0EEEvS13_,@function
_ZN7rocprim17ROCPRIM_400000_NS6detail17trampoline_kernelINS0_13select_configILj256ELj13ELNS0_17block_load_methodE3ELS4_3ELS4_3ELNS0_20block_scan_algorithmE0ELj4294967295EEENS1_25partition_config_selectorILNS1_17partition_subalgoE4EjNS0_10empty_typeEbEEZZNS1_14partition_implILS8_4ELb0ES6_15HIP_vector_typeIjLj2EENS0_17counting_iteratorIjlEEPS9_SG_NS0_5tupleIJPjSI_NS0_16reverse_iteratorISI_EEEEENSH_IJSG_SG_SG_EEES9_SI_JZNS1_25segmented_radix_sort_implINS0_14default_configELb1EPK6__halfPSP_PKlPlN2at6native12_GLOBAL__N_18offset_tEEE10hipError_tPvRmT1_PNSt15iterator_traitsIS13_E10value_typeET2_T3_PNS14_IS19_E10value_typeET4_jRbjT5_S1F_jjP12ihipStream_tbEUljE_ZNSN_ISO_Lb1ESR_SS_SU_SV_SZ_EES10_S11_S12_S13_S17_S18_S19_S1C_S1D_jS1E_jS1F_S1F_jjS1H_bEUljE0_EEES10_S11_S12_S19_S1D_S1F_T6_T7_T9_mT8_S1H_bDpT10_ENKUlT_T0_E_clISt17integral_constantIbLb0EES1V_EEDaS1Q_S1R_EUlS1Q_E_NS1_11comp_targetILNS1_3genE8ELNS1_11target_archE1030ELNS1_3gpuE2ELNS1_3repE0EEENS1_30default_config_static_selectorELNS0_4arch9wavefront6targetE0EEEvS13_: ; @_ZN7rocprim17ROCPRIM_400000_NS6detail17trampoline_kernelINS0_13select_configILj256ELj13ELNS0_17block_load_methodE3ELS4_3ELS4_3ELNS0_20block_scan_algorithmE0ELj4294967295EEENS1_25partition_config_selectorILNS1_17partition_subalgoE4EjNS0_10empty_typeEbEEZZNS1_14partition_implILS8_4ELb0ES6_15HIP_vector_typeIjLj2EENS0_17counting_iteratorIjlEEPS9_SG_NS0_5tupleIJPjSI_NS0_16reverse_iteratorISI_EEEEENSH_IJSG_SG_SG_EEES9_SI_JZNS1_25segmented_radix_sort_implINS0_14default_configELb1EPK6__halfPSP_PKlPlN2at6native12_GLOBAL__N_18offset_tEEE10hipError_tPvRmT1_PNSt15iterator_traitsIS13_E10value_typeET2_T3_PNS14_IS19_E10value_typeET4_jRbjT5_S1F_jjP12ihipStream_tbEUljE_ZNSN_ISO_Lb1ESR_SS_SU_SV_SZ_EES10_S11_S12_S13_S17_S18_S19_S1C_S1D_jS1E_jS1F_S1F_jjS1H_bEUljE0_EEES10_S11_S12_S19_S1D_S1F_T6_T7_T9_mT8_S1H_bDpT10_ENKUlT_T0_E_clISt17integral_constantIbLb0EES1V_EEDaS1Q_S1R_EUlS1Q_E_NS1_11comp_targetILNS1_3genE8ELNS1_11target_archE1030ELNS1_3gpuE2ELNS1_3repE0EEENS1_30default_config_static_selectorELNS0_4arch9wavefront6targetE0EEEvS13_
; %bb.0:
	s_clause 0x6
	s_load_dword s3, s[4:5], 0x80
	s_load_dwordx2 s[34:35], s[4:5], 0x10
	s_load_dwordx2 s[0:1], s[4:5], 0x68
	s_load_dword s7, s[4:5], 0x8
	s_load_dwordx4 s[24:27], s[4:5], 0x58
	s_load_dwordx2 s[40:41], s[4:5], 0xa8
	s_load_dwordx8 s[16:23], s[4:5], 0x88
	s_mul_i32 s42, s6, 0xd00
	s_waitcnt lgkmcnt(0)
	s_mul_i32 s2, s3, 0xd00
	s_add_i32 s3, s3, -1
	s_add_u32 s8, s34, s2
	s_addc_u32 s9, s35, 0
	s_load_dwordx4 s[28:31], s[26:27], 0x0
	s_cmp_eq_u32 s6, s3
	v_cmp_gt_u64_e64 s1, s[0:1], s[8:9]
	s_cselect_b32 s33, -1, 0
	s_cmp_lg_u32 s6, s3
	s_cselect_b32 s3, -1, 0
	s_add_i32 s7, s7, s42
	s_or_b32 s1, s3, s1
	s_add_i32 s7, s7, s34
	s_and_b32 vcc_lo, exec_lo, s1
	v_add_nc_u32_e32 v1, s7, v0
	s_mov_b32 s3, -1
	v_add_nc_u32_e32 v2, 0x100, v1
	v_add_nc_u32_e32 v3, 0x200, v1
	;; [unrolled: 1-line block ×12, first 2 shown]
	s_cbranch_vccz .LBB1672_2
; %bb.1:
	v_lshlrev_b32_e32 v14, 2, v0
	s_mov_b32 s3, 0
	ds_write2st64_b32 v14, v1, v2 offset1:4
	ds_write2st64_b32 v14, v3, v4 offset0:8 offset1:12
	ds_write2st64_b32 v14, v5, v6 offset0:16 offset1:20
	;; [unrolled: 1-line block ×5, first 2 shown]
	ds_write_b32 v14, v13 offset:12288
	s_waitcnt lgkmcnt(0)
	s_barrier
.LBB1672_2:
	s_andn2_b32 vcc_lo, exec_lo, s3
	s_add_i32 s2, s2, s34
	s_cbranch_vccnz .LBB1672_4
; %bb.3:
	v_lshlrev_b32_e32 v14, 2, v0
	ds_write2st64_b32 v14, v1, v2 offset1:4
	ds_write2st64_b32 v14, v3, v4 offset0:8 offset1:12
	ds_write2st64_b32 v14, v5, v6 offset0:16 offset1:20
	ds_write2st64_b32 v14, v7, v8 offset0:24 offset1:28
	ds_write2st64_b32 v14, v9, v10 offset0:32 offset1:36
	ds_write2st64_b32 v14, v11, v12 offset0:40 offset1:44
	ds_write_b32 v14, v13 offset:12288
	s_waitcnt lgkmcnt(0)
	s_barrier
.LBB1672_4:
	v_mul_u32_u24_e32 v29, 13, v0
	s_clause 0x1
	s_load_dwordx4 s[36:39], s[4:5], 0x28
	s_load_dwordx2 s[26:27], s[4:5], 0x38
	s_waitcnt lgkmcnt(0)
	buffer_gl0_inv
	v_cndmask_b32_e64 v27, 0, 1, s1
	s_sub_i32 s43, s0, s2
	v_lshlrev_b32_e32 v1, 2, v29
	s_andn2_b32 vcc_lo, exec_lo, s1
	ds_read_b32 v28, v1 offset:48
	ds_read2_b32 v[9:10], v1 offset0:10 offset1:11
	ds_read2_b32 v[11:12], v1 offset0:8 offset1:9
	;; [unrolled: 1-line block ×4, first 2 shown]
	ds_read2_b32 v[19:20], v1 offset1:1
	ds_read2_b32 v[17:18], v1 offset0:2 offset1:3
	s_waitcnt lgkmcnt(0)
	s_barrier
	buffer_gl0_inv
	s_cbranch_vccnz .LBB1672_32
; %bb.5:
	v_add_nc_u32_e32 v1, s17, v19
	v_add_nc_u32_e32 v2, s19, v19
	s_mov_b32 s45, 0
	s_mov_b32 s44, 0
	s_mov_b32 s1, exec_lo
	v_mul_lo_u32 v1, v1, s16
	v_mul_lo_u32 v2, v2, s18
	v_sub_nc_u32_e32 v1, v1, v2
	v_cmp_lt_u32_e32 vcc_lo, s20, v1
	v_cmpx_ge_u32_e64 s20, v1
	s_cbranch_execz .LBB1672_7
; %bb.6:
	v_add_nc_u32_e32 v1, s22, v19
	v_add_nc_u32_e32 v2, s40, v19
	v_mul_lo_u32 v1, v1, s21
	v_mul_lo_u32 v2, v2, s23
	v_sub_nc_u32_e32 v1, v1, v2
	v_cmp_lt_u32_e64 s0, s41, v1
	s_and_b32 s44, s0, exec_lo
.LBB1672_7:
	s_or_b32 exec_lo, exec_lo, s1
	v_add_nc_u32_e32 v1, s17, v20
	v_add_nc_u32_e32 v2, s19, v20
	s_mov_b32 s2, exec_lo
	v_mul_lo_u32 v1, v1, s16
	v_mul_lo_u32 v2, v2, s18
	v_sub_nc_u32_e32 v1, v1, v2
	v_cmp_lt_u32_e64 s0, s20, v1
	v_cmpx_ge_u32_e64 s20, v1
	s_cbranch_execz .LBB1672_9
; %bb.8:
	v_add_nc_u32_e32 v1, s22, v20
	v_add_nc_u32_e32 v2, s40, v20
	v_mul_lo_u32 v1, v1, s21
	v_mul_lo_u32 v2, v2, s23
	v_sub_nc_u32_e32 v1, v1, v2
	v_cmp_lt_u32_e64 s1, s41, v1
	s_and_b32 s45, s1, exec_lo
.LBB1672_9:
	s_or_b32 exec_lo, exec_lo, s2
	v_add_nc_u32_e32 v1, s17, v17
	v_add_nc_u32_e32 v2, s19, v17
	s_mov_b32 s47, 0
	s_mov_b32 s46, 0
	s_mov_b32 s3, exec_lo
	v_mul_lo_u32 v1, v1, s16
	v_mul_lo_u32 v2, v2, s18
	v_sub_nc_u32_e32 v1, v1, v2
	v_cmp_lt_u32_e64 s1, s20, v1
	v_cmpx_ge_u32_e64 s20, v1
	s_cbranch_execz .LBB1672_11
; %bb.10:
	v_add_nc_u32_e32 v1, s22, v17
	v_add_nc_u32_e32 v2, s40, v17
	v_mul_lo_u32 v1, v1, s21
	v_mul_lo_u32 v2, v2, s23
	v_sub_nc_u32_e32 v1, v1, v2
	v_cmp_lt_u32_e64 s2, s41, v1
	s_and_b32 s46, s2, exec_lo
.LBB1672_11:
	s_or_b32 exec_lo, exec_lo, s3
	v_add_nc_u32_e32 v1, s17, v18
	v_add_nc_u32_e32 v2, s19, v18
	s_mov_b32 s7, exec_lo
	v_mul_lo_u32 v1, v1, s16
	v_mul_lo_u32 v2, v2, s18
	v_sub_nc_u32_e32 v1, v1, v2
	v_cmp_lt_u32_e64 s2, s20, v1
	v_cmpx_ge_u32_e64 s20, v1
	s_cbranch_execz .LBB1672_13
; %bb.12:
	v_add_nc_u32_e32 v1, s22, v18
	v_add_nc_u32_e32 v2, s40, v18
	v_mul_lo_u32 v1, v1, s21
	v_mul_lo_u32 v2, v2, s23
	v_sub_nc_u32_e32 v1, v1, v2
	v_cmp_lt_u32_e64 s3, s41, v1
	s_and_b32 s47, s3, exec_lo
.LBB1672_13:
	s_or_b32 exec_lo, exec_lo, s7
	v_add_nc_u32_e32 v1, s17, v15
	v_add_nc_u32_e32 v2, s19, v15
	s_mov_b32 s49, 0
	s_mov_b32 s48, 0
	s_mov_b32 s8, exec_lo
	v_mul_lo_u32 v1, v1, s16
	v_mul_lo_u32 v2, v2, s18
	v_sub_nc_u32_e32 v1, v1, v2
	v_cmp_lt_u32_e64 s3, s20, v1
	;; [unrolled: 40-line block ×6, first 2 shown]
	v_cmpx_ge_u32_e64 s20, v1
	s_cbranch_execz .LBB1672_31
; %bb.30:
	v_add_nc_u32_e32 v1, s22, v28
	v_add_nc_u32_e32 v2, s40, v28
	v_mul_lo_u32 v1, v1, s21
	v_mul_lo_u32 v2, v2, s23
	v_sub_nc_u32_e32 v1, v1, v2
	v_cmp_lt_u32_e64 s15, s41, v1
	s_and_b32 s57, s15, exec_lo
.LBB1672_31:
	s_or_b32 exec_lo, exec_lo, s58
	v_cndmask_b32_e64 v2, 0, 1, s0
	v_cndmask_b32_e64 v4, 0, 1, s2
	v_cndmask_b32_e64 v1, 0, 1, vcc_lo
	v_cndmask_b32_e64 v3, 0, 1, s1
	v_cndmask_b32_e64 v6, 0, 1, s7
	v_lshlrev_b16 v2, 8, v2
	v_lshlrev_b16 v4, 8, v4
	v_cndmask_b32_e64 v8, 0, 1, s9
	v_cndmask_b32_e64 v22, 0, 1, s11
	;; [unrolled: 1-line block ×3, first 2 shown]
	v_or_b32_e32 v1, v1, v2
	v_or_b32_sdwa v2, v3, v4 dst_sel:WORD_1 dst_unused:UNUSED_PAD src0_sel:DWORD src1_sel:DWORD
	v_cndmask_b32_e64 v3, 0, 1, s44
	v_cndmask_b32_e64 v5, 0, 1, s3
	;; [unrolled: 1-line block ×11, first 2 shown]
	v_or_b32_sdwa v30, v1, v2 dst_sel:DWORD dst_unused:UNUSED_PAD src0_sel:WORD_0 src1_sel:DWORD
	v_lshlrev_b16 v1, 8, v6
	v_lshlrev_b16 v2, 8, v8
	;; [unrolled: 1-line block ×5, first 2 shown]
	v_cndmask_b32_e64 v26, 0, 1, s53
	v_cndmask_b32_e64 v32, 0, 1, s51
	;; [unrolled: 1-line block ×5, first 2 shown]
	v_or_b32_e32 v1, v5, v1
	v_or_b32_sdwa v2, v7, v2 dst_sel:WORD_1 dst_unused:UNUSED_PAD src0_sel:DWORD src1_sel:DWORD
	v_or_b32_e32 v5, v21, v6
	v_or_b32_sdwa v6, v23, v8 dst_sel:WORD_1 dst_unused:UNUSED_PAD src0_sel:DWORD src1_sel:DWORD
	v_or_b32_e32 v3, v4, v3
	v_lshlrev_b16 v4, 8, v39
	v_lshlrev_b16 v7, 8, v36
	;; [unrolled: 1-line block ×5, first 2 shown]
	v_or_b32_sdwa v4, v40, v4 dst_sel:WORD_1 dst_unused:UNUSED_PAD src0_sel:DWORD src1_sel:DWORD
	v_or_b32_e32 v7, v38, v7
	v_or_b32_sdwa v8, v35, v8 dst_sel:WORD_1 dst_unused:UNUSED_PAD src0_sel:DWORD src1_sel:DWORD
	v_or_b32_e32 v21, v32, v21
	v_or_b32_sdwa v22, v26, v22 dst_sel:WORD_1 dst_unused:UNUSED_PAD src0_sel:DWORD src1_sel:DWORD
	v_cndmask_b32_e64 v34, 0, 1, s55
	v_cndmask_b32_e64 v37, 0, 1, s57
	v_or_b32_sdwa v32, v1, v2 dst_sel:DWORD dst_unused:UNUSED_PAD src0_sel:WORD_0 src1_sel:DWORD
	v_or_b32_sdwa v35, v5, v6 dst_sel:DWORD dst_unused:UNUSED_PAD src0_sel:WORD_0 src1_sel:DWORD
	;; [unrolled: 1-line block ×5, first 2 shown]
	s_load_dwordx2 s[4:5], s[4:5], 0x78
	s_and_b32 vcc_lo, exec_lo, s54
	s_add_i32 s7, s43, 0xd00
	s_cbranch_vccnz .LBB1672_33
	s_branch .LBB1672_110
.LBB1672_32:
                                        ; implicit-def: $vgpr37
                                        ; implicit-def: $vgpr34
                                        ; implicit-def: $vgpr33
                                        ; implicit-def: $vgpr31
                                        ; implicit-def: $vgpr36
                                        ; implicit-def: $vgpr35
                                        ; implicit-def: $vgpr32
                                        ; implicit-def: $vgpr30
	s_load_dwordx2 s[4:5], s[4:5], 0x78
	s_add_i32 s7, s43, 0xd00
	s_cbranch_execz .LBB1672_110
.LBB1672_33:
	v_mov_b32_e32 v2, 0
	v_mov_b32_e32 v1, 0
	s_mov_b32 s1, exec_lo
	v_cmpx_gt_u32_e64 s7, v29
	s_cbranch_execz .LBB1672_37
; %bb.34:
	v_add_nc_u32_e32 v1, s17, v19
	v_add_nc_u32_e32 v2, s19, v19
	s_mov_b32 s3, 0
	s_mov_b32 s2, exec_lo
	v_mul_lo_u32 v1, v1, s16
	v_mul_lo_u32 v2, v2, s18
	v_sub_nc_u32_e32 v1, v1, v2
	v_cmp_lt_u32_e32 vcc_lo, s20, v1
	v_cmpx_ge_u32_e64 s20, v1
	s_cbranch_execz .LBB1672_36
; %bb.35:
	v_add_nc_u32_e32 v1, s22, v19
	v_add_nc_u32_e32 v2, s40, v19
	v_mul_lo_u32 v1, v1, s21
	v_mul_lo_u32 v2, v2, s23
	v_sub_nc_u32_e32 v1, v1, v2
	v_cmp_lt_u32_e64 s0, s41, v1
	s_and_b32 s3, s0, exec_lo
.LBB1672_36:
	s_or_b32 exec_lo, exec_lo, s2
	v_cndmask_b32_e64 v2, 0, 1, s3
	v_cndmask_b32_e64 v1, 0, 1, vcc_lo
.LBB1672_37:
	s_or_b32 exec_lo, exec_lo, s1
	v_add_nc_u32_e32 v3, 1, v29
	v_lshlrev_b16 v21, 8, v2
	v_and_b32_e32 v6, 0xff, v1
	v_lshlrev_b16 v7, 8, 0
                                        ; implicit-def: $vgpr5
                                        ; implicit-def: $vgpr8
                                        ; implicit-def: $vgpr2
                                        ; implicit-def: $vgpr4
	v_cmp_le_u32_e32 vcc_lo, s7, v3
                                        ; implicit-def: $vgpr3
	s_and_saveexec_b32 s0, vcc_lo
	s_xor_b32 s0, exec_lo, s0
	s_cbranch_execz .LBB1672_39
; %bb.38:
	v_mov_b32_e32 v1, 8
	v_mov_b32_e32 v2, 0xff
	;; [unrolled: 1-line block ×3, first 2 shown]
	v_and_b32_e32 v4, 0xffff, v7
	v_and_b32_e32 v3, 0xffff, v7
	v_lshrrev_b32_sdwa v1, v1, v21 dst_sel:BYTE_1 dst_unused:UNUSED_PAD src0_sel:DWORD src1_sel:WORD_0
	v_and_b32_sdwa v2, v21, v2 dst_sel:DWORD dst_unused:UNUSED_PAD src0_sel:WORD_0 src1_sel:DWORD
                                        ; implicit-def: $vgpr21
	v_or_b32_e32 v1, v2, v1
	v_and_b32_e32 v2, 0xffff, v7
                                        ; implicit-def: $vgpr7
	v_and_b32_e32 v8, 0xffff, v1
                                        ; implicit-def: $vgpr1
.LBB1672_39:
	s_andn2_saveexec_b32 s1, s0
	s_cbranch_execz .LBB1672_43
; %bb.40:
	v_add_nc_u32_e32 v2, s17, v20
	v_add_nc_u32_e32 v3, s19, v20
	s_mov_b32 s2, 0
	s_mov_b32 s3, exec_lo
	v_mul_lo_u32 v2, v2, s16
	v_mul_lo_u32 v3, v3, s18
	v_sub_nc_u32_e32 v2, v2, v3
	v_cmp_lt_u32_e32 vcc_lo, s20, v2
	v_cmpx_ge_u32_e64 s20, v2
	s_cbranch_execz .LBB1672_42
; %bb.41:
	v_add_nc_u32_e32 v2, s22, v20
	v_add_nc_u32_e32 v3, s40, v20
	v_mul_lo_u32 v2, v2, s21
	v_mul_lo_u32 v3, v3, s23
	v_sub_nc_u32_e32 v2, v2, v3
	v_cmp_lt_u32_e64 s0, s41, v2
	s_and_b32 s2, s0, exec_lo
.LBB1672_42:
	s_or_b32 exec_lo, exec_lo, s3
	v_mov_b32_e32 v2, 0xff
	v_mov_b32_e32 v3, 8
	v_cndmask_b32_e64 v4, 0, 1, vcc_lo
	v_mov_b32_e32 v5, 0
	v_and_b32_sdwa v2, v21, v2 dst_sel:DWORD dst_unused:UNUSED_PAD src0_sel:WORD_0 src1_sel:DWORD
	v_lshrrev_b32_sdwa v3, v3, v21 dst_sel:BYTE_1 dst_unused:UNUSED_PAD src0_sel:DWORD src1_sel:WORD_0
	v_lshlrev_b16 v4, 8, v4
	v_or_b32_e32 v2, v2, v3
	v_cndmask_b32_e64 v3, 0, 1, s2
	v_or_b32_sdwa v1, v1, v4 dst_sel:DWORD dst_unused:UNUSED_PAD src0_sel:BYTE_0 src1_sel:DWORD
	v_and_b32_e32 v4, 0xffff, v7
	v_and_b32_e32 v8, 0xffff, v2
	v_mov_b32_e32 v2, 0
	v_and_b32_e32 v6, 0xffff, v1
	v_lshl_or_b32 v8, v3, 16, v8
	v_and_b32_e32 v3, 0xffff, v7
.LBB1672_43:
	s_or_b32 exec_lo, exec_lo, s1
	v_add_nc_u32_e32 v1, 2, v29
                                        ; implicit-def: $vgpr7
	v_cmp_le_u32_e32 vcc_lo, s7, v1
                                        ; implicit-def: $vgpr1
	s_and_saveexec_b32 s0, vcc_lo
	s_xor_b32 s0, exec_lo, s0
	s_cbranch_execz .LBB1672_45
; %bb.44:
	v_lshrrev_b32_e32 v1, 24, v6
	v_mov_b32_e32 v7, 8
	v_and_b32_e32 v21, 0xff0000, v8
	v_perm_b32 v4, v4, v4, 0x3060504
	v_perm_b32 v1, v1, v6, 0x40c0100
	v_lshrrev_b32_sdwa v6, v7, v1 dst_sel:BYTE_1 dst_unused:UNUSED_PAD src0_sel:DWORD src1_sel:DWORD
	v_or_b32_sdwa v6, v1, v6 dst_sel:DWORD dst_unused:UNUSED_PAD src0_sel:BYTE_0 src1_sel:DWORD
	v_and_b32_e32 v6, 0xffff, v6
	v_and_or_b32 v7, 0xff000000, v1, v6
	v_perm_b32 v1, v8, v21, 0x3020504
                                        ; implicit-def: $vgpr6
                                        ; implicit-def: $vgpr8
.LBB1672_45:
	s_andn2_saveexec_b32 s1, s0
	s_cbranch_execz .LBB1672_49
; %bb.46:
	v_add_nc_u32_e32 v1, s17, v17
	v_add_nc_u32_e32 v7, s19, v17
	s_mov_b32 s2, 0
	s_mov_b32 s3, exec_lo
	v_mul_lo_u32 v1, v1, s16
	v_mul_lo_u32 v7, v7, s18
	v_sub_nc_u32_e32 v1, v1, v7
	v_cmp_lt_u32_e32 vcc_lo, s20, v1
	v_cmpx_ge_u32_e64 s20, v1
	s_cbranch_execz .LBB1672_48
; %bb.47:
	v_add_nc_u32_e32 v1, s22, v17
	v_add_nc_u32_e32 v7, s40, v17
	v_mul_lo_u32 v1, v1, s21
	v_mul_lo_u32 v7, v7, s23
	v_sub_nc_u32_e32 v1, v1, v7
	v_cmp_lt_u32_e64 s0, s41, v1
	s_and_b32 s2, s0, exec_lo
.LBB1672_48:
	s_or_b32 exec_lo, exec_lo, s3
	v_mov_b32_e32 v1, 8
	v_mov_b32_e32 v7, 24
	v_cndmask_b32_e64 v22, 0, 1, s2
	v_mov_b32_e32 v23, 0xff
	v_cndmask_b32_e64 v21, 0, 1, vcc_lo
	v_lshrrev_b32_sdwa v24, v1, v6 dst_sel:BYTE_1 dst_unused:UNUSED_PAD src0_sel:DWORD src1_sel:DWORD
	v_lshrrev_b32_sdwa v7, v7, v6 dst_sel:BYTE_1 dst_unused:UNUSED_PAD src0_sel:DWORD src1_sel:DWORD
	;; [unrolled: 1-line block ×3, first 2 shown]
	v_lshlrev_b16 v22, 8, v22
	v_and_b32_sdwa v23, v8, v23 dst_sel:DWORD dst_unused:UNUSED_PAD src0_sel:WORD_1 src1_sel:DWORD
	v_or_b32_sdwa v6, v6, v24 dst_sel:DWORD dst_unused:UNUSED_PAD src0_sel:BYTE_0 src1_sel:DWORD
	v_or_b32_sdwa v7, v21, v7 dst_sel:WORD_1 dst_unused:UNUSED_PAD src0_sel:DWORD src1_sel:DWORD
	v_or_b32_sdwa v1, v8, v1 dst_sel:DWORD dst_unused:UNUSED_PAD src0_sel:BYTE_0 src1_sel:DWORD
	v_or_b32_sdwa v8, v23, v22 dst_sel:WORD_1 dst_unused:UNUSED_PAD src0_sel:DWORD src1_sel:DWORD
	v_or_b32_sdwa v7, v6, v7 dst_sel:DWORD dst_unused:UNUSED_PAD src0_sel:WORD_0 src1_sel:DWORD
	v_or_b32_sdwa v1, v1, v8 dst_sel:DWORD dst_unused:UNUSED_PAD src0_sel:WORD_0 src1_sel:DWORD
.LBB1672_49:
	s_or_b32 exec_lo, exec_lo, s1
	v_add_nc_u32_e32 v6, 3, v29
                                        ; implicit-def: $vgpr30
	v_cmp_le_u32_e32 vcc_lo, s7, v6
                                        ; implicit-def: $vgpr6
	s_and_saveexec_b32 s0, vcc_lo
	s_xor_b32 s0, exec_lo, s0
	s_cbranch_execz .LBB1672_51
; %bb.50:
	v_mov_b32_e32 v6, 24
	v_mov_b32_e32 v8, 0xff
	;; [unrolled: 1-line block ×3, first 2 shown]
	v_and_b32_e32 v22, 0xff0000, v7
	v_perm_b32 v4, v4, v4, 0x3060504
	v_lshrrev_b32_sdwa v6, v6, v5 dst_sel:BYTE_1 dst_unused:UNUSED_PAD src0_sel:DWORD src1_sel:DWORD
	v_and_b32_sdwa v8, v5, v8 dst_sel:DWORD dst_unused:UNUSED_PAD src0_sel:WORD_1 src1_sel:DWORD
	v_lshrrev_b32_sdwa v5, v21, v5 dst_sel:BYTE_1 dst_unused:UNUSED_PAD src0_sel:DWORD src1_sel:DWORD
	v_perm_b32 v30, v7, v22, 0x3020504
	v_perm_b32 v3, v3, v3, 0x3060504
                                        ; implicit-def: $vgpr7
	v_or_b32_sdwa v6, v8, v6 dst_sel:WORD_1 dst_unused:UNUSED_PAD src0_sel:DWORD src1_sel:DWORD
	v_or_b32_sdwa v6, v5, v6 dst_sel:DWORD dst_unused:UNUSED_PAD src0_sel:WORD_0 src1_sel:DWORD
                                        ; implicit-def: $vgpr5
.LBB1672_51:
	s_andn2_saveexec_b32 s1, s0
	s_cbranch_execz .LBB1672_55
; %bb.52:
	v_add_nc_u32_e32 v6, s17, v18
	v_add_nc_u32_e32 v8, s19, v18
	s_mov_b32 s2, 0
	s_mov_b32 s3, exec_lo
	v_mul_lo_u32 v6, v6, s16
	v_mul_lo_u32 v8, v8, s18
	v_sub_nc_u32_e32 v6, v6, v8
	v_cmp_lt_u32_e32 vcc_lo, s20, v6
	v_cmpx_ge_u32_e64 s20, v6
	s_cbranch_execz .LBB1672_54
; %bb.53:
	v_add_nc_u32_e32 v6, s22, v18
	v_add_nc_u32_e32 v8, s40, v18
	v_mul_lo_u32 v6, v6, s21
	v_mul_lo_u32 v8, v8, s23
	v_sub_nc_u32_e32 v6, v6, v8
	v_cmp_lt_u32_e64 s0, s41, v6
	s_and_b32 s2, s0, exec_lo
.LBB1672_54:
	s_or_b32 exec_lo, exec_lo, s3
	v_mov_b32_e32 v6, 8
	v_cndmask_b32_e64 v8, 0, 1, vcc_lo
	v_mov_b32_e32 v21, 0xff
	v_mov_b32_e32 v22, 24
	v_cndmask_b32_e64 v23, 0, 1, s2
	v_lshrrev_b32_sdwa v24, v6, v7 dst_sel:BYTE_1 dst_unused:UNUSED_PAD src0_sel:DWORD src1_sel:DWORD
	v_lshlrev_b16 v8, 8, v8
	v_and_b32_sdwa v25, v7, v21 dst_sel:DWORD dst_unused:UNUSED_PAD src0_sel:WORD_1 src1_sel:DWORD
	v_lshrrev_b32_sdwa v22, v22, v5 dst_sel:BYTE_1 dst_unused:UNUSED_PAD src0_sel:DWORD src1_sel:DWORD
	v_and_b32_sdwa v21, v5, v21 dst_sel:DWORD dst_unused:UNUSED_PAD src0_sel:WORD_1 src1_sel:DWORD
	v_lshrrev_b32_sdwa v5, v6, v5 dst_sel:BYTE_1 dst_unused:UNUSED_PAD src0_sel:DWORD src1_sel:DWORD
	v_or_b32_sdwa v6, v7, v24 dst_sel:DWORD dst_unused:UNUSED_PAD src0_sel:BYTE_0 src1_sel:DWORD
	v_or_b32_sdwa v7, v25, v8 dst_sel:WORD_1 dst_unused:UNUSED_PAD src0_sel:DWORD src1_sel:DWORD
	v_or_b32_sdwa v8, v21, v22 dst_sel:WORD_1 dst_unused:UNUSED_PAD src0_sel:DWORD src1_sel:DWORD
	v_or_b32_e32 v5, v23, v5
	v_or_b32_sdwa v30, v6, v7 dst_sel:DWORD dst_unused:UNUSED_PAD src0_sel:WORD_0 src1_sel:DWORD
	v_or_b32_sdwa v6, v5, v8 dst_sel:DWORD dst_unused:UNUSED_PAD src0_sel:WORD_0 src1_sel:DWORD
.LBB1672_55:
	s_or_b32 exec_lo, exec_lo, s1
	v_add_nc_u32_e32 v5, 4, v29
                                        ; implicit-def: $vgpr7
	v_cmp_le_u32_e32 vcc_lo, s7, v5
                                        ; implicit-def: $vgpr5
	s_and_saveexec_b32 s0, vcc_lo
	s_xor_b32 s0, exec_lo, s0
	s_cbranch_execz .LBB1672_57
; %bb.56:
	v_mov_b32_e32 v5, 24
	v_mov_b32_e32 v7, 0xff
	v_mov_b32_e32 v8, 8
	v_perm_b32 v3, v3, v3, 0x3060504
	v_lshrrev_b32_sdwa v21, v5, v4 dst_sel:BYTE_1 dst_unused:UNUSED_PAD src0_sel:DWORD src1_sel:DWORD
	v_and_b32_sdwa v22, v4, v7 dst_sel:DWORD dst_unused:UNUSED_PAD src0_sel:WORD_1 src1_sel:DWORD
	v_lshrrev_b32_sdwa v5, v5, v6 dst_sel:BYTE_1 dst_unused:UNUSED_PAD src0_sel:DWORD src1_sel:DWORD
	v_and_b32_sdwa v7, v6, v7 dst_sel:DWORD dst_unused:UNUSED_PAD src0_sel:WORD_1 src1_sel:DWORD
	v_lshrrev_b32_sdwa v4, v8, v4 dst_sel:BYTE_1 dst_unused:UNUSED_PAD src0_sel:DWORD src1_sel:DWORD
	v_or_b32_sdwa v8, v22, v21 dst_sel:WORD_1 dst_unused:UNUSED_PAD src0_sel:DWORD src1_sel:DWORD
	v_or_b32_e32 v7, v7, v5
	v_or_b32_sdwa v5, v4, v8 dst_sel:DWORD dst_unused:UNUSED_PAD src0_sel:WORD_0 src1_sel:DWORD
                                        ; implicit-def: $vgpr4
	v_perm_b32 v7, v7, v6, 0x5040c00
                                        ; implicit-def: $vgpr6
.LBB1672_57:
	s_andn2_saveexec_b32 s1, s0
	s_cbranch_execz .LBB1672_61
; %bb.58:
	v_add_nc_u32_e32 v5, s17, v15
	v_add_nc_u32_e32 v7, s19, v15
	s_mov_b32 s2, 0
	s_mov_b32 s3, exec_lo
	v_mul_lo_u32 v5, v5, s16
	v_mul_lo_u32 v7, v7, s18
	v_sub_nc_u32_e32 v5, v5, v7
	v_cmp_lt_u32_e32 vcc_lo, s20, v5
	v_cmpx_ge_u32_e64 s20, v5
	s_cbranch_execz .LBB1672_60
; %bb.59:
	v_add_nc_u32_e32 v5, s22, v15
	v_add_nc_u32_e32 v7, s40, v15
	v_mul_lo_u32 v5, v5, s21
	v_mul_lo_u32 v7, v7, s23
	v_sub_nc_u32_e32 v5, v5, v7
	v_cmp_lt_u32_e64 s0, s41, v5
	s_and_b32 s2, s0, exec_lo
.LBB1672_60:
	s_or_b32 exec_lo, exec_lo, s3
	v_mov_b32_e32 v5, 24
	v_mov_b32_e32 v7, 0xff
	;; [unrolled: 1-line block ×3, first 2 shown]
	v_cndmask_b32_e64 v21, 0, 1, s2
	v_cndmask_b32_e64 v22, 0, 1, vcc_lo
	v_lshrrev_b32_sdwa v23, v5, v4 dst_sel:BYTE_1 dst_unused:UNUSED_PAD src0_sel:DWORD src1_sel:DWORD
	v_and_b32_sdwa v24, v4, v7 dst_sel:DWORD dst_unused:UNUSED_PAD src0_sel:WORD_1 src1_sel:DWORD
	v_lshrrev_b32_sdwa v4, v8, v4 dst_sel:BYTE_1 dst_unused:UNUSED_PAD src0_sel:DWORD src1_sel:DWORD
	v_lshlrev_b16 v8, 8, v21
	v_lshrrev_b32_sdwa v5, v5, v6 dst_sel:BYTE_1 dst_unused:UNUSED_PAD src0_sel:DWORD src1_sel:DWORD
	v_and_b32_sdwa v7, v6, v7 dst_sel:DWORD dst_unused:UNUSED_PAD src0_sel:WORD_1 src1_sel:DWORD
	v_or_b32_sdwa v21, v24, v23 dst_sel:WORD_1 dst_unused:UNUSED_PAD src0_sel:DWORD src1_sel:DWORD
	v_or_b32_e32 v4, v22, v4
	v_or_b32_sdwa v6, v6, v8 dst_sel:DWORD dst_unused:UNUSED_PAD src0_sel:BYTE_0 src1_sel:DWORD
	v_or_b32_sdwa v7, v7, v5 dst_sel:WORD_1 dst_unused:UNUSED_PAD src0_sel:DWORD src1_sel:DWORD
	v_or_b32_sdwa v5, v4, v21 dst_sel:DWORD dst_unused:UNUSED_PAD src0_sel:WORD_0 src1_sel:DWORD
	v_or_b32_sdwa v7, v6, v7 dst_sel:DWORD dst_unused:UNUSED_PAD src0_sel:WORD_0 src1_sel:DWORD
.LBB1672_61:
	s_or_b32 exec_lo, exec_lo, s1
	v_add_nc_u32_e32 v4, 5, v29
                                        ; implicit-def: $vgpr6
	v_cmp_le_u32_e32 vcc_lo, s7, v4
                                        ; implicit-def: $vgpr4
	s_and_saveexec_b32 s0, vcc_lo
	s_xor_b32 s0, exec_lo, s0
	s_cbranch_execz .LBB1672_63
; %bb.62:
	v_lshrrev_b32_e32 v4, 24, v7
	v_mov_b32_e32 v6, 8
	v_mov_b32_e32 v8, 0xff
	v_perm_b32 v3, v3, v3, 0x3060504
	v_perm_b32 v4, v4, v7, 0x40c0100
	v_mov_b32_e32 v7, 24
	v_and_b32_sdwa v8, v5, v8 dst_sel:DWORD dst_unused:UNUSED_PAD src0_sel:WORD_1 src1_sel:DWORD
	v_lshrrev_b32_sdwa v6, v6, v4 dst_sel:BYTE_1 dst_unused:UNUSED_PAD src0_sel:DWORD src1_sel:DWORD
	v_lshrrev_b32_sdwa v7, v7, v5 dst_sel:BYTE_1 dst_unused:UNUSED_PAD src0_sel:DWORD src1_sel:DWORD
	v_or_b32_sdwa v6, v4, v6 dst_sel:DWORD dst_unused:UNUSED_PAD src0_sel:BYTE_0 src1_sel:DWORD
	v_or_b32_e32 v7, v8, v7
	v_and_b32_e32 v8, 0xffff, v6
	v_perm_b32 v6, v7, v5, 0x5040c00
                                        ; implicit-def: $vgpr5
                                        ; implicit-def: $vgpr7
	v_and_or_b32 v4, 0xff000000, v4, v8
.LBB1672_63:
	s_andn2_saveexec_b32 s1, s0
	s_cbranch_execz .LBB1672_67
; %bb.64:
	v_add_nc_u32_e32 v4, s17, v16
	v_add_nc_u32_e32 v6, s19, v16
	s_mov_b32 s2, 0
	s_mov_b32 s3, exec_lo
	v_mul_lo_u32 v4, v4, s16
	v_mul_lo_u32 v6, v6, s18
	v_sub_nc_u32_e32 v4, v4, v6
	v_cmp_lt_u32_e32 vcc_lo, s20, v4
	v_cmpx_ge_u32_e64 s20, v4
	s_cbranch_execz .LBB1672_66
; %bb.65:
	v_add_nc_u32_e32 v4, s22, v16
	v_add_nc_u32_e32 v6, s40, v16
	v_mul_lo_u32 v4, v4, s21
	v_mul_lo_u32 v6, v6, s23
	v_sub_nc_u32_e32 v4, v4, v6
	v_cmp_lt_u32_e64 s0, s41, v4
	s_and_b32 s2, s0, exec_lo
.LBB1672_66:
	s_or_b32 exec_lo, exec_lo, s3
	v_cndmask_b32_e64 v4, 0, 1, vcc_lo
	v_mov_b32_e32 v6, 24
	v_mov_b32_e32 v8, 0xff
	;; [unrolled: 1-line block ×3, first 2 shown]
	v_cndmask_b32_e64 v22, 0, 1, s2
	v_lshlrev_b16 v4, 8, v4
	v_lshrrev_b32_sdwa v23, v6, v5 dst_sel:BYTE_1 dst_unused:UNUSED_PAD src0_sel:DWORD src1_sel:DWORD
	v_and_b32_sdwa v8, v5, v8 dst_sel:DWORD dst_unused:UNUSED_PAD src0_sel:WORD_1 src1_sel:DWORD
	v_lshrrev_b32_sdwa v21, v21, v7 dst_sel:BYTE_1 dst_unused:UNUSED_PAD src0_sel:DWORD src1_sel:DWORD
	v_lshrrev_b32_sdwa v6, v6, v7 dst_sel:BYTE_1 dst_unused:UNUSED_PAD src0_sel:DWORD src1_sel:DWORD
	v_or_b32_sdwa v4, v5, v4 dst_sel:DWORD dst_unused:UNUSED_PAD src0_sel:BYTE_0 src1_sel:DWORD
	v_or_b32_sdwa v5, v8, v23 dst_sel:WORD_1 dst_unused:UNUSED_PAD src0_sel:DWORD src1_sel:DWORD
	v_or_b32_sdwa v7, v7, v21 dst_sel:DWORD dst_unused:UNUSED_PAD src0_sel:BYTE_0 src1_sel:DWORD
	v_or_b32_sdwa v8, v22, v6 dst_sel:WORD_1 dst_unused:UNUSED_PAD src0_sel:DWORD src1_sel:DWORD
	v_or_b32_sdwa v6, v4, v5 dst_sel:DWORD dst_unused:UNUSED_PAD src0_sel:WORD_0 src1_sel:DWORD
	v_or_b32_sdwa v4, v7, v8 dst_sel:DWORD dst_unused:UNUSED_PAD src0_sel:WORD_0 src1_sel:DWORD
.LBB1672_67:
	s_or_b32 exec_lo, exec_lo, s1
	v_add_nc_u32_e32 v5, 6, v29
                                        ; implicit-def: $vgpr31
	v_cmp_le_u32_e32 vcc_lo, s7, v5
                                        ; implicit-def: $vgpr5
	s_and_saveexec_b32 s0, vcc_lo
	s_xor_b32 s0, exec_lo, s0
	s_cbranch_execz .LBB1672_69
; %bb.68:
	v_lshrrev_b32_e32 v5, 24, v6
	v_mov_b32_e32 v7, 8
	v_perm_b32 v3, v3, v3, 0x3060504
	v_perm_b32 v5, v5, v6, 0x40c0100
	v_lshrrev_b32_sdwa v6, v7, v5 dst_sel:BYTE_1 dst_unused:UNUSED_PAD src0_sel:DWORD src1_sel:DWORD
	v_and_b32_e32 v7, 0xff0000, v4
	v_or_b32_sdwa v6, v5, v6 dst_sel:DWORD dst_unused:UNUSED_PAD src0_sel:BYTE_0 src1_sel:DWORD
	v_perm_b32 v31, v4, v7, 0x3020504
                                        ; implicit-def: $vgpr4
	v_and_b32_e32 v6, 0xffff, v6
	v_and_or_b32 v5, 0xff000000, v5, v6
                                        ; implicit-def: $vgpr6
.LBB1672_69:
	s_andn2_saveexec_b32 s1, s0
	s_cbranch_execz .LBB1672_73
; %bb.70:
	v_add_nc_u32_e32 v5, s17, v13
	v_add_nc_u32_e32 v7, s19, v13
	s_mov_b32 s2, 0
	s_mov_b32 s3, exec_lo
	v_mul_lo_u32 v5, v5, s16
	v_mul_lo_u32 v7, v7, s18
	v_sub_nc_u32_e32 v5, v5, v7
	v_cmp_lt_u32_e32 vcc_lo, s20, v5
	v_cmpx_ge_u32_e64 s20, v5
	s_cbranch_execz .LBB1672_72
; %bb.71:
	v_add_nc_u32_e32 v5, s22, v13
	v_add_nc_u32_e32 v7, s40, v13
	v_mul_lo_u32 v5, v5, s21
	v_mul_lo_u32 v7, v7, s23
	v_sub_nc_u32_e32 v5, v5, v7
	v_cmp_lt_u32_e64 s0, s41, v5
	s_and_b32 s2, s0, exec_lo
.LBB1672_72:
	s_or_b32 exec_lo, exec_lo, s3
	v_mov_b32_e32 v5, 8
	v_mov_b32_e32 v7, 24
	v_cndmask_b32_e64 v21, 0, 1, s2
	v_mov_b32_e32 v22, 0xff
	v_cndmask_b32_e64 v8, 0, 1, vcc_lo
	v_lshrrev_b32_sdwa v23, v5, v6 dst_sel:BYTE_1 dst_unused:UNUSED_PAD src0_sel:DWORD src1_sel:DWORD
	v_lshrrev_b32_sdwa v7, v7, v6 dst_sel:BYTE_1 dst_unused:UNUSED_PAD src0_sel:DWORD src1_sel:DWORD
	;; [unrolled: 1-line block ×3, first 2 shown]
	v_lshlrev_b16 v21, 8, v21
	v_and_b32_sdwa v22, v4, v22 dst_sel:DWORD dst_unused:UNUSED_PAD src0_sel:WORD_1 src1_sel:DWORD
	v_or_b32_sdwa v6, v6, v23 dst_sel:DWORD dst_unused:UNUSED_PAD src0_sel:BYTE_0 src1_sel:DWORD
	v_or_b32_sdwa v7, v8, v7 dst_sel:WORD_1 dst_unused:UNUSED_PAD src0_sel:DWORD src1_sel:DWORD
	v_or_b32_sdwa v4, v4, v5 dst_sel:DWORD dst_unused:UNUSED_PAD src0_sel:BYTE_0 src1_sel:DWORD
	v_or_b32_sdwa v8, v22, v21 dst_sel:WORD_1 dst_unused:UNUSED_PAD src0_sel:DWORD src1_sel:DWORD
	v_or_b32_sdwa v5, v6, v7 dst_sel:DWORD dst_unused:UNUSED_PAD src0_sel:WORD_0 src1_sel:DWORD
	v_or_b32_sdwa v31, v4, v8 dst_sel:DWORD dst_unused:UNUSED_PAD src0_sel:WORD_0 src1_sel:DWORD
.LBB1672_73:
	s_or_b32 exec_lo, exec_lo, s1
	v_add_nc_u32_e32 v4, 7, v29
                                        ; implicit-def: $vgpr32
	v_cmp_le_u32_e32 vcc_lo, s7, v4
                                        ; implicit-def: $vgpr4
	s_and_saveexec_b32 s0, vcc_lo
	s_xor_b32 s0, exec_lo, s0
	s_cbranch_execz .LBB1672_75
; %bb.74:
	v_mov_b32_e32 v4, 24
	v_mov_b32_e32 v6, 0xff
	;; [unrolled: 1-line block ×3, first 2 shown]
	v_lshrrev_b32_sdwa v4, v4, v3 dst_sel:BYTE_1 dst_unused:UNUSED_PAD src0_sel:DWORD src1_sel:DWORD
	v_and_b32_sdwa v6, v3, v6 dst_sel:DWORD dst_unused:UNUSED_PAD src0_sel:WORD_1 src1_sel:DWORD
	v_lshrrev_b32_sdwa v3, v7, v3 dst_sel:BYTE_1 dst_unused:UNUSED_PAD src0_sel:DWORD src1_sel:DWORD
	v_and_b32_e32 v7, 0xff0000, v5
	v_or_b32_sdwa v4, v6, v4 dst_sel:WORD_1 dst_unused:UNUSED_PAD src0_sel:DWORD src1_sel:DWORD
	v_perm_b32 v32, v5, v7, 0x3020504
                                        ; implicit-def: $vgpr5
	v_or_b32_sdwa v4, v3, v4 dst_sel:DWORD dst_unused:UNUSED_PAD src0_sel:WORD_0 src1_sel:DWORD
                                        ; implicit-def: $vgpr3
.LBB1672_75:
	s_andn2_saveexec_b32 s1, s0
	s_cbranch_execz .LBB1672_79
; %bb.76:
	v_add_nc_u32_e32 v4, s17, v14
	v_add_nc_u32_e32 v6, s19, v14
	s_mov_b32 s2, 0
	s_mov_b32 s3, exec_lo
	v_mul_lo_u32 v4, v4, s16
	v_mul_lo_u32 v6, v6, s18
	v_sub_nc_u32_e32 v4, v4, v6
	v_cmp_lt_u32_e32 vcc_lo, s20, v4
	v_cmpx_ge_u32_e64 s20, v4
	s_cbranch_execz .LBB1672_78
; %bb.77:
	v_add_nc_u32_e32 v4, s22, v14
	v_add_nc_u32_e32 v6, s40, v14
	v_mul_lo_u32 v4, v4, s21
	v_mul_lo_u32 v6, v6, s23
	v_sub_nc_u32_e32 v4, v4, v6
	v_cmp_lt_u32_e64 s0, s41, v4
	s_and_b32 s2, s0, exec_lo
.LBB1672_78:
	s_or_b32 exec_lo, exec_lo, s3
	v_mov_b32_e32 v4, 8
	v_cndmask_b32_e64 v6, 0, 1, vcc_lo
	v_mov_b32_e32 v7, 0xff
	v_mov_b32_e32 v8, 24
	v_cndmask_b32_e64 v21, 0, 1, s2
	v_lshrrev_b32_sdwa v22, v4, v5 dst_sel:BYTE_1 dst_unused:UNUSED_PAD src0_sel:DWORD src1_sel:DWORD
	v_lshlrev_b16 v6, 8, v6
	v_and_b32_sdwa v23, v5, v7 dst_sel:DWORD dst_unused:UNUSED_PAD src0_sel:WORD_1 src1_sel:DWORD
	v_lshrrev_b32_sdwa v8, v8, v3 dst_sel:BYTE_1 dst_unused:UNUSED_PAD src0_sel:DWORD src1_sel:DWORD
	v_and_b32_sdwa v7, v3, v7 dst_sel:DWORD dst_unused:UNUSED_PAD src0_sel:WORD_1 src1_sel:DWORD
	v_lshrrev_b32_sdwa v3, v4, v3 dst_sel:BYTE_1 dst_unused:UNUSED_PAD src0_sel:DWORD src1_sel:DWORD
	v_or_b32_sdwa v4, v5, v22 dst_sel:DWORD dst_unused:UNUSED_PAD src0_sel:BYTE_0 src1_sel:DWORD
	v_or_b32_sdwa v5, v23, v6 dst_sel:WORD_1 dst_unused:UNUSED_PAD src0_sel:DWORD src1_sel:DWORD
	v_or_b32_sdwa v6, v7, v8 dst_sel:WORD_1 dst_unused:UNUSED_PAD src0_sel:DWORD src1_sel:DWORD
	v_or_b32_e32 v3, v21, v3
	v_or_b32_sdwa v32, v4, v5 dst_sel:DWORD dst_unused:UNUSED_PAD src0_sel:WORD_0 src1_sel:DWORD
	v_or_b32_sdwa v4, v3, v6 dst_sel:DWORD dst_unused:UNUSED_PAD src0_sel:WORD_0 src1_sel:DWORD
.LBB1672_79:
	s_or_b32 exec_lo, exec_lo, s1
	v_add_nc_u32_e32 v3, 8, v29
                                        ; implicit-def: $vgpr5
	v_cmp_le_u32_e32 vcc_lo, s7, v3
                                        ; implicit-def: $vgpr3
	s_and_saveexec_b32 s0, vcc_lo
	s_xor_b32 s0, exec_lo, s0
	s_cbranch_execz .LBB1672_81
; %bb.80:
	v_mov_b32_e32 v3, 24
	v_mov_b32_e32 v5, 0xff
	;; [unrolled: 1-line block ×3, first 2 shown]
	v_perm_b32 v1, v1, v1, 0x3060504
	v_lshrrev_b32_sdwa v7, v3, v4 dst_sel:BYTE_1 dst_unused:UNUSED_PAD src0_sel:DWORD src1_sel:DWORD
	v_lshrrev_b32_sdwa v3, v3, v2 dst_sel:BYTE_1 dst_unused:UNUSED_PAD src0_sel:DWORD src1_sel:DWORD
	v_and_b32_sdwa v8, v2, v5 dst_sel:DWORD dst_unused:UNUSED_PAD src0_sel:WORD_1 src1_sel:DWORD
	v_and_b32_sdwa v5, v4, v5 dst_sel:DWORD dst_unused:UNUSED_PAD src0_sel:WORD_1 src1_sel:DWORD
	v_lshrrev_b32_sdwa v2, v6, v2 dst_sel:BYTE_1 dst_unused:UNUSED_PAD src0_sel:DWORD src1_sel:DWORD
	v_or_b32_sdwa v3, v8, v3 dst_sel:WORD_1 dst_unused:UNUSED_PAD src0_sel:DWORD src1_sel:DWORD
	v_or_b32_e32 v5, v5, v7
	v_or_b32_sdwa v3, v2, v3 dst_sel:DWORD dst_unused:UNUSED_PAD src0_sel:WORD_0 src1_sel:DWORD
	v_perm_b32 v5, v5, v4, 0x5040c00
                                        ; implicit-def: $vgpr2
                                        ; implicit-def: $vgpr4
.LBB1672_81:
	s_andn2_saveexec_b32 s1, s0
	s_cbranch_execz .LBB1672_85
; %bb.82:
	v_add_nc_u32_e32 v3, s17, v11
	v_add_nc_u32_e32 v5, s19, v11
	s_mov_b32 s2, 0
	s_mov_b32 s3, exec_lo
	v_mul_lo_u32 v3, v3, s16
	v_mul_lo_u32 v5, v5, s18
	v_sub_nc_u32_e32 v3, v3, v5
	v_cmp_lt_u32_e32 vcc_lo, s20, v3
	v_cmpx_ge_u32_e64 s20, v3
	s_cbranch_execz .LBB1672_84
; %bb.83:
	v_add_nc_u32_e32 v3, s22, v11
	v_add_nc_u32_e32 v5, s40, v11
	v_mul_lo_u32 v3, v3, s21
	v_mul_lo_u32 v5, v5, s23
	v_sub_nc_u32_e32 v3, v3, v5
	v_cmp_lt_u32_e64 s0, s41, v3
	s_and_b32 s2, s0, exec_lo
.LBB1672_84:
	s_or_b32 exec_lo, exec_lo, s3
	v_mov_b32_e32 v3, 24
	v_mov_b32_e32 v5, 0xff
	;; [unrolled: 1-line block ×3, first 2 shown]
	v_cndmask_b32_e64 v7, 0, 1, s2
	v_cndmask_b32_e64 v8, 0, 1, vcc_lo
	v_lshrrev_b32_sdwa v21, v3, v2 dst_sel:BYTE_1 dst_unused:UNUSED_PAD src0_sel:DWORD src1_sel:DWORD
	v_and_b32_sdwa v22, v2, v5 dst_sel:DWORD dst_unused:UNUSED_PAD src0_sel:WORD_1 src1_sel:DWORD
	v_lshrrev_b32_sdwa v2, v6, v2 dst_sel:BYTE_1 dst_unused:UNUSED_PAD src0_sel:DWORD src1_sel:DWORD
	v_lshlrev_b16 v6, 8, v7
	v_lshrrev_b32_sdwa v3, v3, v4 dst_sel:BYTE_1 dst_unused:UNUSED_PAD src0_sel:DWORD src1_sel:DWORD
	v_and_b32_sdwa v5, v4, v5 dst_sel:DWORD dst_unused:UNUSED_PAD src0_sel:WORD_1 src1_sel:DWORD
	v_or_b32_sdwa v7, v22, v21 dst_sel:WORD_1 dst_unused:UNUSED_PAD src0_sel:DWORD src1_sel:DWORD
	v_or_b32_e32 v2, v8, v2
	v_or_b32_sdwa v4, v4, v6 dst_sel:DWORD dst_unused:UNUSED_PAD src0_sel:BYTE_0 src1_sel:DWORD
	v_or_b32_sdwa v5, v5, v3 dst_sel:WORD_1 dst_unused:UNUSED_PAD src0_sel:DWORD src1_sel:DWORD
	v_or_b32_sdwa v3, v2, v7 dst_sel:DWORD dst_unused:UNUSED_PAD src0_sel:WORD_0 src1_sel:DWORD
	v_or_b32_sdwa v5, v4, v5 dst_sel:DWORD dst_unused:UNUSED_PAD src0_sel:WORD_0 src1_sel:DWORD
.LBB1672_85:
	s_or_b32 exec_lo, exec_lo, s1
	v_add_nc_u32_e32 v2, 9, v29
                                        ; implicit-def: $vgpr4
	v_cmp_le_u32_e32 vcc_lo, s7, v2
                                        ; implicit-def: $vgpr2
	s_and_saveexec_b32 s0, vcc_lo
	s_xor_b32 s0, exec_lo, s0
	s_cbranch_execz .LBB1672_87
; %bb.86:
	v_lshrrev_b32_e32 v2, 24, v5
	v_mov_b32_e32 v4, 8
	v_mov_b32_e32 v6, 0xff
	v_perm_b32 v1, v1, v1, 0x3060504
	v_perm_b32 v2, v2, v5, 0x40c0100
	v_mov_b32_e32 v5, 24
	v_and_b32_sdwa v6, v3, v6 dst_sel:DWORD dst_unused:UNUSED_PAD src0_sel:WORD_1 src1_sel:DWORD
	v_lshrrev_b32_sdwa v4, v4, v2 dst_sel:BYTE_1 dst_unused:UNUSED_PAD src0_sel:DWORD src1_sel:DWORD
	v_lshrrev_b32_sdwa v5, v5, v3 dst_sel:BYTE_1 dst_unused:UNUSED_PAD src0_sel:DWORD src1_sel:DWORD
	v_or_b32_sdwa v4, v2, v4 dst_sel:DWORD dst_unused:UNUSED_PAD src0_sel:BYTE_0 src1_sel:DWORD
	v_or_b32_e32 v5, v6, v5
	v_and_b32_e32 v6, 0xffff, v4
	v_perm_b32 v4, v5, v3, 0x5040c00
                                        ; implicit-def: $vgpr3
                                        ; implicit-def: $vgpr5
	v_and_or_b32 v2, 0xff000000, v2, v6
.LBB1672_87:
	s_andn2_saveexec_b32 s1, s0
	s_cbranch_execz .LBB1672_91
; %bb.88:
	v_add_nc_u32_e32 v2, s17, v12
	v_add_nc_u32_e32 v4, s19, v12
	s_mov_b32 s2, 0
	s_mov_b32 s3, exec_lo
	v_mul_lo_u32 v2, v2, s16
	v_mul_lo_u32 v4, v4, s18
	v_sub_nc_u32_e32 v2, v2, v4
	v_cmp_lt_u32_e32 vcc_lo, s20, v2
	v_cmpx_ge_u32_e64 s20, v2
	s_cbranch_execz .LBB1672_90
; %bb.89:
	v_add_nc_u32_e32 v2, s22, v12
	v_add_nc_u32_e32 v4, s40, v12
	v_mul_lo_u32 v2, v2, s21
	v_mul_lo_u32 v4, v4, s23
	v_sub_nc_u32_e32 v2, v2, v4
	v_cmp_lt_u32_e64 s0, s41, v2
	s_and_b32 s2, s0, exec_lo
.LBB1672_90:
	s_or_b32 exec_lo, exec_lo, s3
	v_cndmask_b32_e64 v2, 0, 1, vcc_lo
	v_mov_b32_e32 v4, 24
	v_mov_b32_e32 v6, 0xff
	;; [unrolled: 1-line block ×3, first 2 shown]
	v_cndmask_b32_e64 v8, 0, 1, s2
	v_lshlrev_b16 v2, 8, v2
	v_lshrrev_b32_sdwa v21, v4, v3 dst_sel:BYTE_1 dst_unused:UNUSED_PAD src0_sel:DWORD src1_sel:DWORD
	v_and_b32_sdwa v6, v3, v6 dst_sel:DWORD dst_unused:UNUSED_PAD src0_sel:WORD_1 src1_sel:DWORD
	v_lshrrev_b32_sdwa v7, v7, v5 dst_sel:BYTE_1 dst_unused:UNUSED_PAD src0_sel:DWORD src1_sel:DWORD
	v_lshrrev_b32_sdwa v4, v4, v5 dst_sel:BYTE_1 dst_unused:UNUSED_PAD src0_sel:DWORD src1_sel:DWORD
	v_or_b32_sdwa v2, v3, v2 dst_sel:DWORD dst_unused:UNUSED_PAD src0_sel:BYTE_0 src1_sel:DWORD
	v_or_b32_sdwa v3, v6, v21 dst_sel:WORD_1 dst_unused:UNUSED_PAD src0_sel:DWORD src1_sel:DWORD
	v_or_b32_sdwa v5, v5, v7 dst_sel:DWORD dst_unused:UNUSED_PAD src0_sel:BYTE_0 src1_sel:DWORD
	v_or_b32_sdwa v6, v8, v4 dst_sel:WORD_1 dst_unused:UNUSED_PAD src0_sel:DWORD src1_sel:DWORD
	v_or_b32_sdwa v4, v2, v3 dst_sel:DWORD dst_unused:UNUSED_PAD src0_sel:WORD_0 src1_sel:DWORD
	v_or_b32_sdwa v2, v5, v6 dst_sel:DWORD dst_unused:UNUSED_PAD src0_sel:WORD_0 src1_sel:DWORD
.LBB1672_91:
	s_or_b32 exec_lo, exec_lo, s1
	v_add_nc_u32_e32 v3, 10, v29
                                        ; implicit-def: $vgpr33
	v_cmp_le_u32_e32 vcc_lo, s7, v3
                                        ; implicit-def: $vgpr3
	s_and_saveexec_b32 s0, vcc_lo
	s_xor_b32 s0, exec_lo, s0
	s_cbranch_execz .LBB1672_93
; %bb.92:
	v_lshrrev_b32_e32 v3, 24, v4
	v_mov_b32_e32 v5, 8
	v_perm_b32 v1, v1, v1, 0x3060504
	v_perm_b32 v3, v3, v4, 0x40c0100
	v_lshrrev_b32_sdwa v4, v5, v3 dst_sel:BYTE_1 dst_unused:UNUSED_PAD src0_sel:DWORD src1_sel:DWORD
	v_and_b32_e32 v5, 0xff0000, v2
	v_or_b32_sdwa v4, v3, v4 dst_sel:DWORD dst_unused:UNUSED_PAD src0_sel:BYTE_0 src1_sel:DWORD
	v_perm_b32 v33, v2, v5, 0x3020504
                                        ; implicit-def: $vgpr2
	v_and_b32_e32 v4, 0xffff, v4
	v_and_or_b32 v3, 0xff000000, v3, v4
                                        ; implicit-def: $vgpr4
.LBB1672_93:
	s_andn2_saveexec_b32 s1, s0
	s_cbranch_execz .LBB1672_97
; %bb.94:
	v_add_nc_u32_e32 v3, s17, v9
	v_add_nc_u32_e32 v5, s19, v9
	s_mov_b32 s2, 0
	s_mov_b32 s3, exec_lo
	v_mul_lo_u32 v3, v3, s16
	v_mul_lo_u32 v5, v5, s18
	v_sub_nc_u32_e32 v3, v3, v5
	v_cmp_lt_u32_e32 vcc_lo, s20, v3
	v_cmpx_ge_u32_e64 s20, v3
	s_cbranch_execz .LBB1672_96
; %bb.95:
	v_add_nc_u32_e32 v3, s22, v9
	v_add_nc_u32_e32 v5, s40, v9
	v_mul_lo_u32 v3, v3, s21
	v_mul_lo_u32 v5, v5, s23
	v_sub_nc_u32_e32 v3, v3, v5
	v_cmp_lt_u32_e64 s0, s41, v3
	s_and_b32 s2, s0, exec_lo
.LBB1672_96:
	s_or_b32 exec_lo, exec_lo, s3
	v_mov_b32_e32 v3, 8
	v_mov_b32_e32 v5, 24
	v_cndmask_b32_e64 v7, 0, 1, s2
	v_mov_b32_e32 v8, 0xff
	v_cndmask_b32_e64 v6, 0, 1, vcc_lo
	v_lshrrev_b32_sdwa v21, v3, v4 dst_sel:BYTE_1 dst_unused:UNUSED_PAD src0_sel:DWORD src1_sel:DWORD
	v_lshrrev_b32_sdwa v5, v5, v4 dst_sel:BYTE_1 dst_unused:UNUSED_PAD src0_sel:DWORD src1_sel:DWORD
	;; [unrolled: 1-line block ×3, first 2 shown]
	v_lshlrev_b16 v7, 8, v7
	v_and_b32_sdwa v8, v2, v8 dst_sel:DWORD dst_unused:UNUSED_PAD src0_sel:WORD_1 src1_sel:DWORD
	v_or_b32_sdwa v4, v4, v21 dst_sel:DWORD dst_unused:UNUSED_PAD src0_sel:BYTE_0 src1_sel:DWORD
	v_or_b32_sdwa v5, v6, v5 dst_sel:WORD_1 dst_unused:UNUSED_PAD src0_sel:DWORD src1_sel:DWORD
	v_or_b32_sdwa v2, v2, v3 dst_sel:DWORD dst_unused:UNUSED_PAD src0_sel:BYTE_0 src1_sel:DWORD
	v_or_b32_sdwa v6, v8, v7 dst_sel:WORD_1 dst_unused:UNUSED_PAD src0_sel:DWORD src1_sel:DWORD
	v_or_b32_sdwa v3, v4, v5 dst_sel:DWORD dst_unused:UNUSED_PAD src0_sel:WORD_0 src1_sel:DWORD
	v_or_b32_sdwa v33, v2, v6 dst_sel:DWORD dst_unused:UNUSED_PAD src0_sel:WORD_0 src1_sel:DWORD
.LBB1672_97:
	s_or_b32 exec_lo, exec_lo, s1
	v_add_nc_u32_e32 v2, 11, v29
	v_mov_b32_e32 v34, 0
	s_mov_b32 s0, exec_lo
                                        ; implicit-def: $vgpr35
	v_cmpx_le_u32_e64 s7, v2
	s_xor_b32 s0, exec_lo, s0
; %bb.98:
	v_and_b32_e32 v2, 0xff0000, v3
	v_perm_b32 v1, v1, v1, 0x3060504
	v_perm_b32 v35, v3, v2, 0x3020504
                                        ; implicit-def: $vgpr3
; %bb.99:
	s_andn2_saveexec_b32 s1, s0
	s_cbranch_execz .LBB1672_103
; %bb.100:
	v_add_nc_u32_e32 v2, s17, v10
	v_add_nc_u32_e32 v4, s19, v10
	s_mov_b32 s2, 0
	s_mov_b32 s3, exec_lo
	v_mul_lo_u32 v2, v2, s16
	v_mul_lo_u32 v4, v4, s18
	v_sub_nc_u32_e32 v2, v2, v4
	v_cmp_lt_u32_e32 vcc_lo, s20, v2
	v_cmpx_ge_u32_e64 s20, v2
	s_cbranch_execz .LBB1672_102
; %bb.101:
	v_add_nc_u32_e32 v2, s22, v10
	v_add_nc_u32_e32 v4, s40, v10
	v_mul_lo_u32 v2, v2, s21
	v_mul_lo_u32 v4, v4, s23
	v_sub_nc_u32_e32 v2, v2, v4
	v_cmp_lt_u32_e64 s0, s41, v2
	s_and_b32 s2, s0, exec_lo
.LBB1672_102:
	s_or_b32 exec_lo, exec_lo, s3
	v_mov_b32_e32 v2, 8
	v_cndmask_b32_e64 v4, 0, 1, vcc_lo
	v_mov_b32_e32 v5, 0xff
	v_cndmask_b32_e64 v34, 0, 1, s2
	v_lshrrev_b32_sdwa v2, v2, v3 dst_sel:BYTE_1 dst_unused:UNUSED_PAD src0_sel:DWORD src1_sel:DWORD
	v_lshlrev_b16 v4, 8, v4
	v_and_b32_sdwa v5, v3, v5 dst_sel:DWORD dst_unused:UNUSED_PAD src0_sel:WORD_1 src1_sel:DWORD
	v_or_b32_sdwa v2, v3, v2 dst_sel:DWORD dst_unused:UNUSED_PAD src0_sel:BYTE_0 src1_sel:DWORD
	v_or_b32_sdwa v3, v5, v4 dst_sel:WORD_1 dst_unused:UNUSED_PAD src0_sel:DWORD src1_sel:DWORD
	v_or_b32_sdwa v35, v2, v3 dst_sel:DWORD dst_unused:UNUSED_PAD src0_sel:WORD_0 src1_sel:DWORD
.LBB1672_103:
	s_or_b32 exec_lo, exec_lo, s1
	v_add_nc_u32_e32 v2, 12, v29
	s_mov_b32 s0, exec_lo
                                        ; implicit-def: $vgpr36
	v_cmpx_le_u32_e64 s7, v2
	s_xor_b32 s0, exec_lo, s0
	s_cbranch_execz .LBB1672_105
; %bb.104:
	v_mov_b32_e32 v2, 24
	v_mov_b32_e32 v3, 0xff
	;; [unrolled: 1-line block ×3, first 2 shown]
	v_lshrrev_b32_sdwa v2, v2, v1 dst_sel:BYTE_1 dst_unused:UNUSED_PAD src0_sel:DWORD src1_sel:DWORD
	v_and_b32_sdwa v3, v1, v3 dst_sel:DWORD dst_unused:UNUSED_PAD src0_sel:WORD_1 src1_sel:DWORD
	v_lshrrev_b32_sdwa v1, v4, v1 dst_sel:BYTE_1 dst_unused:UNUSED_PAD src0_sel:DWORD src1_sel:DWORD
	v_or_b32_sdwa v2, v3, v2 dst_sel:WORD_1 dst_unused:UNUSED_PAD src0_sel:DWORD src1_sel:DWORD
	v_or_b32_sdwa v36, v1, v2 dst_sel:DWORD dst_unused:UNUSED_PAD src0_sel:WORD_0 src1_sel:DWORD
                                        ; implicit-def: $vgpr1
.LBB1672_105:
	s_or_saveexec_b32 s1, s0
	v_mov_b32_e32 v37, 0
	s_xor_b32 exec_lo, exec_lo, s1
	s_cbranch_execz .LBB1672_109
; %bb.106:
	v_add_nc_u32_e32 v2, s17, v28
	v_add_nc_u32_e32 v3, s19, v28
	s_mov_b32 s2, 0
	s_mov_b32 s3, exec_lo
	v_mul_lo_u32 v2, v2, s16
	v_mul_lo_u32 v3, v3, s18
	v_sub_nc_u32_e32 v2, v2, v3
	v_cmp_lt_u32_e32 vcc_lo, s20, v2
	v_cmpx_ge_u32_e64 s20, v2
	s_cbranch_execz .LBB1672_108
; %bb.107:
	v_add_nc_u32_e32 v2, s22, v28
	v_add_nc_u32_e32 v3, s40, v28
	v_mul_lo_u32 v2, v2, s21
	v_mul_lo_u32 v3, v3, s23
	v_sub_nc_u32_e32 v2, v2, v3
	v_cmp_lt_u32_e64 s0, s41, v2
	s_and_b32 s2, s0, exec_lo
.LBB1672_108:
	s_or_b32 exec_lo, exec_lo, s3
	v_mov_b32_e32 v2, 24
	v_mov_b32_e32 v3, 0xff
	;; [unrolled: 1-line block ×3, first 2 shown]
	v_cndmask_b32_e64 v5, 0, 1, vcc_lo
	v_cndmask_b32_e64 v37, 0, 1, s2
	v_lshrrev_b32_sdwa v2, v2, v1 dst_sel:BYTE_1 dst_unused:UNUSED_PAD src0_sel:DWORD src1_sel:DWORD
	v_and_b32_sdwa v3, v1, v3 dst_sel:DWORD dst_unused:UNUSED_PAD src0_sel:WORD_1 src1_sel:DWORD
	v_lshrrev_b32_sdwa v1, v4, v1 dst_sel:BYTE_1 dst_unused:UNUSED_PAD src0_sel:DWORD src1_sel:DWORD
	v_or_b32_sdwa v2, v3, v2 dst_sel:WORD_1 dst_unused:UNUSED_PAD src0_sel:DWORD src1_sel:DWORD
	v_or_b32_e32 v1, v5, v1
	v_or_b32_sdwa v36, v1, v2 dst_sel:DWORD dst_unused:UNUSED_PAD src0_sel:WORD_0 src1_sel:DWORD
.LBB1672_109:
	s_or_b32 exec_lo, exec_lo, s1
.LBB1672_110:
	v_and_b32_e32 v60, 0xff, v30
	v_bfe_u32 v61, v36, 8, 8
	v_bfe_u32 v57, v30, 8, 8
	v_bfe_u32 v58, v36, 16, 8
	v_bfe_u32 v59, v30, 16, 8
	v_lshrrev_b32_e32 v43, 24, v36
	v_lshrrev_b32_e32 v42, 24, v30
	v_and_b32_e32 v56, 0xff, v31
	v_and_b32_e32 v54, 0xff, v32
	v_bfe_u32 v55, v31, 8, 8
	v_add3_u32 v1, v57, v60, v59
	v_add3_u32 v2, v58, v61, v43
	v_bfe_u32 v52, v32, 8, 8
	v_bfe_u32 v53, v31, 16, 8
	;; [unrolled: 1-line block ×3, first 2 shown]
	v_lshrrev_b32_e32 v41, 24, v31
	v_add3_u32 v1, v1, v42, v54
	v_add3_u32 v2, v2, v56, v55
	v_lshrrev_b32_e32 v40, 24, v32
	v_and_b32_e32 v51, 0xff, v33
	v_and_b32_e32 v49, 0xff, v35
	v_bfe_u32 v50, v33, 8, 8
	v_add3_u32 v1, v1, v52, v46
	v_add3_u32 v2, v2, v53, v41
	v_bfe_u32 v47, v35, 8, 8
	v_bfe_u32 v48, v33, 16, 8
	;; [unrolled: 1-line block ×3, first 2 shown]
	v_lshrrev_b32_e32 v39, 24, v33
	v_add3_u32 v1, v1, v40, v49
	v_add3_u32 v2, v2, v51, v50
	v_mbcnt_lo_u32_b32 v62, -1, 0
	v_lshrrev_b32_e32 v38, 24, v35
	v_and_b32_e32 v44, 0xff, v34
	v_and_b32_e32 v3, 0xff, v36
	;; [unrolled: 1-line block ×3, first 2 shown]
	v_add3_u32 v1, v1, v47, v45
	v_add3_u32 v2, v2, v48, v39
	v_and_b32_e32 v64, 15, v62
	v_and_b32_e32 v66, 16, v62
	v_lshrrev_b32_e32 v63, 5, v0
	v_add3_u32 v67, v1, v38, v3
	v_add3_u32 v68, v2, v44, v4
	v_cmp_eq_u32_e64 s1, 0, v64
	v_cmp_lt_u32_e64 s0, 1, v64
	v_cmp_lt_u32_e64 s2, 3, v64
	v_or_b32_e32 v65, 31, v0
	s_cmp_lg_u32 s6, 0
	s_mov_b32 s3, -1
	v_cmp_lt_u32_e32 vcc_lo, 7, v64
	s_cbranch_scc0 .LBB1672_132
; %bb.111:
	v_mov_b32_dpp v1, v68 row_shr:1 row_mask:0xf bank_mask:0xf
	v_mov_b32_dpp v2, v67 row_shr:1 row_mask:0xf bank_mask:0xf
	s_mov_b32 s3, exec_lo
	v_add_nc_u32_e32 v1, v1, v68
	v_add_nc_u32_e32 v2, v2, v67
	v_cndmask_b32_e64 v1, v1, v68, s1
	v_cndmask_b32_e64 v2, v2, v67, s1
	v_mov_b32_dpp v3, v1 row_shr:2 row_mask:0xf bank_mask:0xf
	v_mov_b32_dpp v4, v2 row_shr:2 row_mask:0xf bank_mask:0xf
	v_add_nc_u32_e32 v3, v1, v3
	v_add_nc_u32_e32 v4, v2, v4
	v_cndmask_b32_e64 v1, v1, v3, s0
	v_cndmask_b32_e64 v2, v2, v4, s0
	v_mov_b32_dpp v3, v1 row_shr:4 row_mask:0xf bank_mask:0xf
	v_mov_b32_dpp v4, v2 row_shr:4 row_mask:0xf bank_mask:0xf
	v_add_nc_u32_e32 v3, v1, v3
	v_add_nc_u32_e32 v4, v2, v4
	v_cndmask_b32_e64 v1, v1, v3, s2
	v_cndmask_b32_e64 v2, v2, v4, s2
	v_mov_b32_dpp v3, v1 row_shr:8 row_mask:0xf bank_mask:0xf
	v_mov_b32_dpp v4, v2 row_shr:8 row_mask:0xf bank_mask:0xf
	v_add_nc_u32_e32 v3, v1, v3
	v_add_nc_u32_e32 v4, v2, v4
	v_cndmask_b32_e32 v1, v1, v3, vcc_lo
	v_cndmask_b32_e32 v2, v2, v4, vcc_lo
	v_cmp_eq_u32_e32 vcc_lo, 0, v66
	ds_swizzle_b32 v3, v1 offset:swizzle(BROADCAST,32,15)
	ds_swizzle_b32 v4, v2 offset:swizzle(BROADCAST,32,15)
	s_waitcnt lgkmcnt(0)
	v_add_nc_u32_e32 v3, v1, v3
	v_add_nc_u32_e32 v4, v2, v4
	v_cmpx_eq_u32_e64 v0, v65
	s_cbranch_execz .LBB1672_113
; %bb.112:
	v_lshlrev_b32_e32 v7, 3, v63
	v_cndmask_b32_e32 v6, v3, v1, vcc_lo
	v_cndmask_b32_e32 v5, v4, v2, vcc_lo
	ds_write_b64 v7, v[5:6]
.LBB1672_113:
	s_or_b32 exec_lo, exec_lo, s3
	s_mov_b32 s3, exec_lo
	s_waitcnt lgkmcnt(0)
	s_barrier
	buffer_gl0_inv
	v_cmpx_gt_u32_e32 8, v0
	s_cbranch_execz .LBB1672_115
; %bb.114:
	v_lshlrev_b32_e32 v7, 3, v0
	v_and_b32_e32 v22, 7, v62
	ds_read_b64 v[5:6], v7
	v_cmp_eq_u32_e64 s2, 0, v22
	s_waitcnt lgkmcnt(0)
	v_mov_b32_dpp v8, v5 row_shr:1 row_mask:0xf bank_mask:0xf
	v_mov_b32_dpp v21, v6 row_shr:1 row_mask:0xf bank_mask:0xf
	v_add_nc_u32_e32 v8, v8, v5
	v_add_nc_u32_e32 v21, v21, v6
	v_cndmask_b32_e64 v5, v8, v5, s2
	v_cndmask_b32_e64 v6, v21, v6, s2
	v_cmp_lt_u32_e64 s2, 1, v22
	v_mov_b32_dpp v8, v5 row_shr:2 row_mask:0xf bank_mask:0xf
	v_mov_b32_dpp v21, v6 row_shr:2 row_mask:0xf bank_mask:0xf
	v_add_nc_u32_e32 v8, v5, v8
	v_add_nc_u32_e32 v21, v6, v21
	v_cndmask_b32_e64 v5, v5, v8, s2
	v_cndmask_b32_e64 v6, v6, v21, s2
	v_cmp_lt_u32_e64 s2, 3, v22
	v_mov_b32_dpp v8, v5 row_shr:4 row_mask:0xf bank_mask:0xf
	v_mov_b32_dpp v21, v6 row_shr:4 row_mask:0xf bank_mask:0xf
	v_cndmask_b32_e64 v8, 0, v8, s2
	v_cndmask_b32_e64 v21, 0, v21, s2
	v_add_nc_u32_e32 v5, v8, v5
	v_add_nc_u32_e32 v6, v21, v6
	ds_write_b64 v7, v[5:6]
.LBB1672_115:
	s_or_b32 exec_lo, exec_lo, s3
	v_cndmask_b32_e32 v1, v3, v1, vcc_lo
	v_cndmask_b32_e32 v2, v4, v2, vcc_lo
	s_mov_b32 s3, exec_lo
	v_cmp_gt_u32_e32 vcc_lo, 32, v0
	s_waitcnt lgkmcnt(0)
	s_barrier
	buffer_gl0_inv
                                        ; implicit-def: $vgpr21
	v_cmpx_lt_u32_e32 31, v0
	s_cbranch_execz .LBB1672_117
; %bb.116:
	v_lshl_add_u32 v3, v63, 3, -8
	ds_read_b64 v[21:22], v3
	s_waitcnt lgkmcnt(0)
	v_add_nc_u32_e32 v1, v22, v1
	v_add_nc_u32_e32 v2, v21, v2
.LBB1672_117:
	s_or_b32 exec_lo, exec_lo, s3
	v_sub_co_u32 v3, s2, v62, 1
	v_cmp_gt_i32_e64 s3, 0, v3
	v_cndmask_b32_e64 v3, v3, v62, s3
	v_lshlrev_b32_e32 v3, 2, v3
	ds_bpermute_b32 v69, v3, v2
	ds_bpermute_b32 v70, v3, v1
	s_and_saveexec_b32 s3, vcc_lo
	s_cbranch_execz .LBB1672_137
; %bb.118:
	v_mov_b32_e32 v4, 0
	ds_read_b64 v[1:2], v4 offset:56
	s_and_saveexec_b32 s8, s2
	s_cbranch_execz .LBB1672_120
; %bb.119:
	s_add_i32 s10, s6, 32
	s_mov_b32 s11, 0
	v_mov_b32_e32 v3, 1
	s_lshl_b64 s[10:11], s[10:11], 4
	s_add_u32 s10, s4, s10
	s_addc_u32 s11, s5, s11
	v_mov_b32_e32 v5, s10
	v_mov_b32_e32 v6, s11
	s_waitcnt lgkmcnt(0)
	;;#ASMSTART
	global_store_dwordx4 v[5:6], v[1:4] off	
s_waitcnt vmcnt(0)
	;;#ASMEND
.LBB1672_120:
	s_or_b32 exec_lo, exec_lo, s8
	v_xad_u32 v23, v62, -1, s6
	s_mov_b32 s9, 0
	v_add_nc_u32_e32 v3, 32, v23
	v_lshlrev_b64 v[5:6], 4, v[3:4]
	v_add_co_u32 v24, vcc_lo, s4, v5
	v_add_co_ci_u32_e64 v25, null, s5, v6, vcc_lo
	;;#ASMSTART
	global_load_dwordx4 v[5:8], v[24:25] off glc dlc	
s_waitcnt vmcnt(0)
	;;#ASMEND
	v_cmp_eq_u16_sdwa s10, v7, v4 src0_sel:BYTE_0 src1_sel:DWORD
	s_and_saveexec_b32 s8, s10
	s_cbranch_execz .LBB1672_124
; %bb.121:
	v_mov_b32_e32 v3, 0
.LBB1672_122:                           ; =>This Inner Loop Header: Depth=1
	;;#ASMSTART
	global_load_dwordx4 v[5:8], v[24:25] off glc dlc	
s_waitcnt vmcnt(0)
	;;#ASMEND
	v_cmp_ne_u16_sdwa s10, v7, v3 src0_sel:BYTE_0 src1_sel:DWORD
	s_or_b32 s9, s10, s9
	s_andn2_b32 exec_lo, exec_lo, s9
	s_cbranch_execnz .LBB1672_122
; %bb.123:
	s_or_b32 exec_lo, exec_lo, s9
.LBB1672_124:
	s_or_b32 exec_lo, exec_lo, s8
	v_cmp_ne_u32_e32 vcc_lo, 31, v62
	v_mov_b32_e32 v72, 2
	v_lshlrev_b32_e64 v73, v62, -1
	v_add_nc_u32_e32 v75, 2, v62
	v_add_nc_u32_e32 v77, 4, v62
	v_add_co_ci_u32_e64 v3, null, 0, v62, vcc_lo
	v_cmp_eq_u16_sdwa s8, v7, v72 src0_sel:BYTE_0 src1_sel:DWORD
	v_cmp_gt_u32_e32 vcc_lo, 30, v62
	v_add_nc_u32_e32 v79, 8, v62
	v_lshlrev_b32_e32 v71, 2, v3
	v_lshl_or_b32 v80, v62, 2, 64
	v_and_b32_e32 v8, s8, v73
	v_cndmask_b32_e64 v24, 0, 2, vcc_lo
	v_add_nc_u32_e32 v81, 16, v62
	ds_bpermute_b32 v3, v71, v6
	ds_bpermute_b32 v4, v71, v5
	v_or_b32_e32 v8, 0x80000000, v8
	v_add_lshl_u32 v74, v24, v62, 2
	v_ffbl_b32_e32 v8, v8
	v_cmp_lt_u32_e32 vcc_lo, v62, v8
	s_waitcnt lgkmcnt(1)
	v_add_nc_u32_e32 v3, v3, v6
	s_waitcnt lgkmcnt(0)
	v_add_nc_u32_e32 v4, v4, v5
	v_cndmask_b32_e32 v3, v6, v3, vcc_lo
	v_cndmask_b32_e32 v4, v5, v4, vcc_lo
	v_cmp_gt_u32_e32 vcc_lo, 28, v62
	ds_bpermute_b32 v5, v74, v3
	ds_bpermute_b32 v6, v74, v4
	v_cndmask_b32_e64 v24, 0, 4, vcc_lo
	v_cmp_gt_u32_e32 vcc_lo, v75, v8
	v_add_lshl_u32 v76, v24, v62, 2
	s_waitcnt lgkmcnt(1)
	v_add_nc_u32_e32 v5, v3, v5
	s_waitcnt lgkmcnt(0)
	v_add_nc_u32_e32 v6, v4, v6
	v_cndmask_b32_e32 v3, v5, v3, vcc_lo
	v_cndmask_b32_e32 v4, v6, v4, vcc_lo
	v_cmp_gt_u32_e32 vcc_lo, 24, v62
	ds_bpermute_b32 v5, v76, v3
	ds_bpermute_b32 v6, v76, v4
	v_cndmask_b32_e64 v24, 0, 8, vcc_lo
	v_cmp_gt_u32_e32 vcc_lo, v77, v8
	v_add_lshl_u32 v78, v24, v62, 2
	v_mov_b32_e32 v24, 0
	s_waitcnt lgkmcnt(1)
	v_add_nc_u32_e32 v5, v3, v5
	s_waitcnt lgkmcnt(0)
	v_add_nc_u32_e32 v6, v4, v6
	v_cndmask_b32_e32 v3, v5, v3, vcc_lo
	v_cndmask_b32_e32 v4, v6, v4, vcc_lo
	v_cmp_gt_u32_e32 vcc_lo, v79, v8
	ds_bpermute_b32 v5, v78, v3
	ds_bpermute_b32 v6, v78, v4
	s_waitcnt lgkmcnt(1)
	v_add_nc_u32_e32 v5, v3, v5
	s_waitcnt lgkmcnt(0)
	v_add_nc_u32_e32 v6, v4, v6
	v_cndmask_b32_e32 v3, v5, v3, vcc_lo
	v_cndmask_b32_e32 v4, v6, v4, vcc_lo
	v_cmp_le_u32_e32 vcc_lo, v81, v8
	ds_bpermute_b32 v6, v80, v3
	ds_bpermute_b32 v5, v80, v4
	s_waitcnt lgkmcnt(1)
	v_cndmask_b32_e32 v6, 0, v6, vcc_lo
	s_waitcnt lgkmcnt(0)
	v_cndmask_b32_e32 v5, 0, v5, vcc_lo
	v_add_nc_u32_e32 v6, v6, v3
	v_add_nc_u32_e32 v5, v5, v4
	s_branch .LBB1672_128
.LBB1672_125:                           ;   in Loop: Header=BB1672_128 Depth=1
	s_or_b32 exec_lo, exec_lo, s9
.LBB1672_126:                           ;   in Loop: Header=BB1672_128 Depth=1
	s_or_b32 exec_lo, exec_lo, s8
	ds_bpermute_b32 v8, v71, v5
	ds_bpermute_b32 v25, v71, v6
	v_cmp_eq_u16_sdwa s8, v7, v72 src0_sel:BYTE_0 src1_sel:DWORD
	v_subrev_nc_u32_e32 v23, 32, v23
	v_and_or_b32 v26, s8, v73, 0x80000000
	s_mov_b32 s8, 0
	v_ffbl_b32_e32 v26, v26
	v_cmp_lt_u32_e32 vcc_lo, v62, v26
	s_waitcnt lgkmcnt(1)
	v_add_nc_u32_e32 v8, v8, v5
	s_waitcnt lgkmcnt(0)
	v_add_nc_u32_e32 v25, v25, v6
	v_cndmask_b32_e32 v5, v5, v8, vcc_lo
	v_cndmask_b32_e32 v6, v6, v25, vcc_lo
	v_cmp_gt_u32_e32 vcc_lo, v75, v26
	ds_bpermute_b32 v8, v74, v5
	ds_bpermute_b32 v25, v74, v6
	s_waitcnt lgkmcnt(1)
	v_add_nc_u32_e32 v8, v5, v8
	s_waitcnt lgkmcnt(0)
	v_add_nc_u32_e32 v25, v6, v25
	v_cndmask_b32_e32 v5, v8, v5, vcc_lo
	v_cndmask_b32_e32 v6, v25, v6, vcc_lo
	v_cmp_gt_u32_e32 vcc_lo, v77, v26
	ds_bpermute_b32 v8, v76, v5
	ds_bpermute_b32 v25, v76, v6
	;; [unrolled: 9-line block ×3, first 2 shown]
	s_waitcnt lgkmcnt(1)
	v_add_nc_u32_e32 v8, v5, v8
	s_waitcnt lgkmcnt(0)
	v_add_nc_u32_e32 v25, v6, v25
	v_cndmask_b32_e32 v5, v8, v5, vcc_lo
	v_cndmask_b32_e32 v6, v25, v6, vcc_lo
	v_cmp_le_u32_e32 vcc_lo, v81, v26
	ds_bpermute_b32 v8, v80, v5
	ds_bpermute_b32 v25, v80, v6
	s_waitcnt lgkmcnt(1)
	v_cndmask_b32_e32 v8, 0, v8, vcc_lo
	s_waitcnt lgkmcnt(0)
	v_cndmask_b32_e32 v25, 0, v25, vcc_lo
	v_add3_u32 v5, v5, v3, v8
	v_add3_u32 v6, v6, v4, v25
.LBB1672_127:                           ;   in Loop: Header=BB1672_128 Depth=1
	s_and_b32 vcc_lo, exec_lo, s8
	s_cbranch_vccnz .LBB1672_133
.LBB1672_128:                           ; =>This Loop Header: Depth=1
                                        ;     Child Loop BB1672_131 Depth 2
	v_cmp_ne_u16_sdwa s8, v7, v72 src0_sel:BYTE_0 src1_sel:DWORD
	v_mov_b32_e32 v3, v5
	v_mov_b32_e32 v4, v6
                                        ; implicit-def: $vgpr7
                                        ; implicit-def: $vgpr5_vgpr6
	s_cmp_lg_u32 s8, exec_lo
	s_mov_b32 s8, -1
	s_cbranch_scc1 .LBB1672_127
; %bb.129:                              ;   in Loop: Header=BB1672_128 Depth=1
	v_lshlrev_b64 v[5:6], 4, v[23:24]
	v_add_co_u32 v25, vcc_lo, s4, v5
	v_add_co_ci_u32_e64 v26, null, s5, v6, vcc_lo
	;;#ASMSTART
	global_load_dwordx4 v[5:8], v[25:26] off glc dlc	
s_waitcnt vmcnt(0)
	;;#ASMEND
	v_cmp_eq_u16_sdwa s9, v7, v24 src0_sel:BYTE_0 src1_sel:DWORD
	s_and_saveexec_b32 s8, s9
	s_cbranch_execz .LBB1672_126
; %bb.130:                              ;   in Loop: Header=BB1672_128 Depth=1
	s_mov_b32 s9, 0
.LBB1672_131:                           ;   Parent Loop BB1672_128 Depth=1
                                        ; =>  This Inner Loop Header: Depth=2
	;;#ASMSTART
	global_load_dwordx4 v[5:8], v[25:26] off glc dlc	
s_waitcnt vmcnt(0)
	;;#ASMEND
	v_cmp_ne_u16_sdwa s10, v7, v24 src0_sel:BYTE_0 src1_sel:DWORD
	s_or_b32 s9, s10, s9
	s_andn2_b32 exec_lo, exec_lo, s9
	s_cbranch_execnz .LBB1672_131
	s_branch .LBB1672_125
.LBB1672_132:
                                        ; implicit-def: $vgpr23
                                        ; implicit-def: $vgpr3
                                        ; implicit-def: $vgpr24
	s_and_b32 vcc_lo, exec_lo, s3
	s_cbranch_vccnz .LBB1672_138
	s_branch .LBB1672_147
.LBB1672_133:
	s_and_saveexec_b32 s8, s2
	s_cbranch_execnz .LBB1672_375
; %bb.134:
	s_or_b32 exec_lo, exec_lo, s8
	s_and_saveexec_b32 s6, s2
	s_cbranch_execnz .LBB1672_376
.LBB1672_135:
	s_or_b32 exec_lo, exec_lo, s6
	v_cmp_eq_u32_e32 vcc_lo, 0, v0
	s_and_b32 exec_lo, exec_lo, vcc_lo
.LBB1672_136:
	v_mov_b32_e32 v1, 0
	ds_write_b64 v1, v[3:4] offset:56
.LBB1672_137:
	s_or_b32 exec_lo, exec_lo, s3
	v_mov_b32_e32 v1, 0
	s_waitcnt lgkmcnt(0)
	s_barrier
	buffer_gl0_inv
	v_cndmask_b32_e64 v7, v69, v21, s2
	ds_read_b64 v[5:6], v1 offset:56
	s_waitcnt lgkmcnt(0)
	s_barrier
	buffer_gl0_inv
	ds_read_b128 v[1:4], v1 offset:13312
	v_cndmask_b32_e64 v8, v70, v22, s2
	v_cmp_eq_u32_e32 vcc_lo, 0, v0
	v_add_nc_u32_e32 v7, v5, v7
	v_add_nc_u32_e32 v8, v6, v8
	v_cndmask_b32_e32 v24, v7, v5, vcc_lo
	v_cndmask_b32_e32 v23, v8, v6, vcc_lo
	s_branch .LBB1672_147
.LBB1672_138:
	s_waitcnt lgkmcnt(0)
	v_mov_b32_dpp v1, v67 row_shr:1 row_mask:0xf bank_mask:0xf
	v_mov_b32_dpp v2, v68 row_shr:1 row_mask:0xf bank_mask:0xf
	v_cmp_lt_u32_e32 vcc_lo, 3, v64
	v_add_nc_u32_e32 v1, v1, v67
	v_add_nc_u32_e32 v2, v2, v68
	v_cndmask_b32_e64 v1, v1, v67, s1
	v_cndmask_b32_e64 v2, v2, v68, s1
	s_mov_b32 s1, exec_lo
	v_mov_b32_dpp v3, v1 row_shr:2 row_mask:0xf bank_mask:0xf
	v_mov_b32_dpp v4, v2 row_shr:2 row_mask:0xf bank_mask:0xf
	v_add_nc_u32_e32 v3, v1, v3
	v_add_nc_u32_e32 v4, v2, v4
	v_cndmask_b32_e64 v1, v1, v3, s0
	v_cndmask_b32_e64 v2, v2, v4, s0
	v_mov_b32_dpp v3, v1 row_shr:4 row_mask:0xf bank_mask:0xf
	v_mov_b32_dpp v4, v2 row_shr:4 row_mask:0xf bank_mask:0xf
	v_add_nc_u32_e32 v3, v1, v3
	v_add_nc_u32_e32 v4, v2, v4
	v_cndmask_b32_e32 v3, v1, v3, vcc_lo
	v_cndmask_b32_e32 v2, v2, v4, vcc_lo
	v_cmp_lt_u32_e32 vcc_lo, 7, v64
	v_mov_b32_dpp v1, v3 row_shr:8 row_mask:0xf bank_mask:0xf
	v_mov_b32_dpp v4, v2 row_shr:8 row_mask:0xf bank_mask:0xf
	v_add_nc_u32_e32 v5, v3, v1
	v_add_nc_u32_e32 v1, v2, v4
	v_cndmask_b32_e32 v1, v2, v1, vcc_lo
	v_cndmask_b32_e32 v2, v3, v5, vcc_lo
	v_cmp_eq_u32_e32 vcc_lo, 0, v66
	ds_swizzle_b32 v3, v1 offset:swizzle(BROADCAST,32,15)
	ds_swizzle_b32 v4, v2 offset:swizzle(BROADCAST,32,15)
	s_waitcnt lgkmcnt(1)
	v_add_nc_u32_e32 v3, v1, v3
	s_waitcnt lgkmcnt(0)
	v_add_nc_u32_e32 v4, v2, v4
	v_cmpx_eq_u32_e64 v0, v65
	s_cbranch_execz .LBB1672_140
; %bb.139:
	v_cndmask_b32_e32 v5, v4, v2, vcc_lo
	v_cndmask_b32_e32 v6, v3, v1, vcc_lo
	v_lshlrev_b32_e32 v7, 3, v63
	ds_write_b64 v7, v[5:6]
.LBB1672_140:
	s_or_b32 exec_lo, exec_lo, s1
	s_mov_b32 s1, exec_lo
	s_waitcnt lgkmcnt(0)
	s_barrier
	buffer_gl0_inv
	v_cmpx_gt_u32_e32 8, v0
	s_cbranch_execz .LBB1672_142
; %bb.141:
	v_lshlrev_b32_e32 v7, 3, v0
	v_and_b32_e32 v22, 7, v62
	ds_read_b64 v[5:6], v7
	v_cmp_eq_u32_e64 s0, 0, v22
	s_waitcnt lgkmcnt(0)
	v_mov_b32_dpp v8, v5 row_shr:1 row_mask:0xf bank_mask:0xf
	v_mov_b32_dpp v21, v6 row_shr:1 row_mask:0xf bank_mask:0xf
	v_add_nc_u32_e32 v8, v8, v5
	v_add_nc_u32_e32 v21, v21, v6
	v_cndmask_b32_e64 v5, v8, v5, s0
	v_cndmask_b32_e64 v6, v21, v6, s0
	v_cmp_lt_u32_e64 s0, 1, v22
	v_mov_b32_dpp v8, v5 row_shr:2 row_mask:0xf bank_mask:0xf
	v_mov_b32_dpp v21, v6 row_shr:2 row_mask:0xf bank_mask:0xf
	v_add_nc_u32_e32 v8, v5, v8
	v_add_nc_u32_e32 v21, v6, v21
	v_cndmask_b32_e64 v5, v5, v8, s0
	v_cndmask_b32_e64 v6, v6, v21, s0
	v_cmp_lt_u32_e64 s0, 3, v22
	v_mov_b32_dpp v8, v5 row_shr:4 row_mask:0xf bank_mask:0xf
	v_mov_b32_dpp v21, v6 row_shr:4 row_mask:0xf bank_mask:0xf
	v_cndmask_b32_e64 v8, 0, v8, s0
	v_cndmask_b32_e64 v21, 0, v21, s0
	v_add_nc_u32_e32 v5, v8, v5
	v_add_nc_u32_e32 v6, v21, v6
	ds_write_b64 v7, v[5:6]
.LBB1672_142:
	s_or_b32 exec_lo, exec_lo, s1
	v_mov_b32_e32 v7, 0
	v_mov_b32_e32 v5, 0
	;; [unrolled: 1-line block ×3, first 2 shown]
	s_mov_b32 s1, exec_lo
	s_waitcnt lgkmcnt(0)
	s_barrier
	buffer_gl0_inv
	v_cmpx_lt_u32_e32 31, v0
; %bb.143:
	v_lshl_add_u32 v5, v63, 3, -8
	ds_read_b64 v[5:6], v5
; %bb.144:
	s_or_b32 exec_lo, exec_lo, s1
	v_sub_co_u32 v8, s0, v62, 1
	v_cndmask_b32_e32 v2, v4, v2, vcc_lo
	v_cndmask_b32_e32 v1, v3, v1, vcc_lo
	v_cmp_eq_u32_e32 vcc_lo, 0, v0
	v_cmp_gt_i32_e64 s1, 0, v8
	s_waitcnt lgkmcnt(0)
	v_add_nc_u32_e32 v2, v5, v2
	v_add_nc_u32_e32 v1, v6, v1
	v_cndmask_b32_e64 v4, v8, v62, s1
	v_lshlrev_b32_e32 v3, 2, v4
	ds_bpermute_b32 v8, v3, v2
	ds_bpermute_b32 v21, v3, v1
	ds_read_b64 v[1:2], v7 offset:56
	s_and_saveexec_b32 s1, vcc_lo
	s_cbranch_execz .LBB1672_146
; %bb.145:
	s_add_u32 s2, s4, 0x200
	s_addc_u32 s3, s5, 0
	v_mov_b32_e32 v3, 2
	v_mov_b32_e32 v23, s3
	;; [unrolled: 1-line block ×4, first 2 shown]
	s_waitcnt lgkmcnt(0)
	;;#ASMSTART
	global_store_dwordx4 v[22:23], v[1:4] off	
s_waitcnt vmcnt(0)
	;;#ASMEND
.LBB1672_146:
	s_or_b32 exec_lo, exec_lo, s1
	s_waitcnt lgkmcnt(1)
	v_cndmask_b32_e64 v3, v21, v6, s0
	v_cndmask_b32_e64 v5, v8, v5, s0
	v_mov_b32_e32 v4, 0
	s_waitcnt lgkmcnt(0)
	s_barrier
	v_cndmask_b32_e64 v23, v3, 0, vcc_lo
	v_cndmask_b32_e64 v24, v5, 0, vcc_lo
	v_mov_b32_e32 v3, 0
	buffer_gl0_inv
.LBB1672_147:
	v_add_nc_u32_e32 v61, v23, v61
	v_add_nc_u32_e32 v60, v24, v60
	s_waitcnt lgkmcnt(0)
	v_sub_nc_u32_e32 v23, v23, v4
	v_lshrrev_b32_e32 v26, 8, v36
	v_lshlrev_b32_e32 v66, 1, v1
	v_add_nc_u32_e32 v58, v61, v58
	v_sub_nc_u32_e32 v61, v61, v4
	v_add_nc_u32_e32 v57, v60, v57
	v_sub_nc_u32_e32 v24, v24, v3
	v_sub_nc_u32_e32 v60, v60, v3
	v_add_nc_u32_e32 v23, v23, v1
	v_add_nc_u32_e32 v61, v61, v1
	v_and_b32_e32 v26, 1, v26
	v_mov_b32_e32 v68, 1
	v_add3_u32 v29, v66, v2, v29
	v_add_nc_u32_e32 v73, v24, v23
	v_add_nc_u32_e32 v72, v61, v60
	v_cmp_eq_u32_e32 vcc_lo, 1, v26
	v_and_b32_sdwa v71, v68, v36 dst_sel:DWORD dst_unused:UNUSED_PAD src0_sel:DWORD src1_sel:WORD_1
	v_lshrrev_b32_e32 v25, 8, v30
	v_sub_nc_u32_e32 v73, v29, v73
	v_sub_nc_u32_e32 v72, v29, v72
	v_and_b32_e32 v67, 1, v30
	v_add_nc_u32_e32 v62, v58, v43
	v_and_b32_e32 v25, 1, v25
	v_cndmask_b32_e32 v23, v73, v23, vcc_lo
	v_add_nc_u32_e32 v72, 1, v72
	v_cmp_eq_u32_e32 vcc_lo, 1, v71
	v_sub_nc_u32_e32 v58, v58, v4
	v_add_nc_u32_e32 v59, v57, v59
	v_sub_nc_u32_e32 v57, v57, v3
	v_add_co_u32 v5, s0, s28, v3
	v_cndmask_b32_e32 v26, v72, v61, vcc_lo
	v_cmp_eq_u32_e32 vcc_lo, 1, v67
	v_add_nc_u32_e32 v58, v58, v1
	v_add_co_ci_u32_e64 v6, null, s29, 0, s0
	v_sub_co_u32 v64, s0, s30, v1
	v_cndmask_b32_e32 v67, v23, v24, vcc_lo
	v_cmp_eq_u32_e32 vcc_lo, 1, v25
	v_sub_co_ci_u32_e64 v65, null, s31, 0, s0
	v_and_b32_e32 v43, 1, v43
	v_add_nc_u32_e32 v56, v62, v56
	v_cndmask_b32_e32 v25, v26, v60, vcc_lo
	v_add_nc_u32_e32 v26, v58, v57
	v_add_co_u32 v23, vcc_lo, v64, v4
	v_add_co_ci_u32_e64 v24, null, 0, v65, vcc_lo
	v_sub_nc_u32_e32 v26, v29, v26
	v_sub_nc_u32_e32 v62, v62, v4
	v_and_b32_sdwa v30, v68, v30 dst_sel:DWORD dst_unused:UNUSED_PAD src0_sel:DWORD src1_sel:WORD_1
	v_cmp_eq_u32_e32 vcc_lo, 1, v43
	v_add_nc_u32_e32 v63, v59, v42
	v_add_nc_u32_e32 v26, 2, v26
	v_sub_nc_u32_e32 v59, v59, v3
	v_add_nc_u32_e32 v62, v62, v1
	v_add_nc_u32_e32 v55, v56, v55
	v_lshlrev_b32_e32 v60, 2, v67
	v_cndmask_b32_e32 v26, v26, v58, vcc_lo
	v_cmp_eq_u32_e32 vcc_lo, 1, v30
	v_lshlrev_b32_e32 v25, 2, v25
	v_sub_nc_u32_e32 v56, v56, v4
	v_add_nc_u32_e32 v43, v59, v62
	v_sub_nc_u32_e32 v58, v63, v3
	v_cndmask_b32_e32 v26, v26, v57, vcc_lo
	ds_write_b32 v60, v19
	v_add_nc_u32_e32 v56, v56, v1
	v_sub_nc_u32_e32 v19, v29, v43
	ds_write_b32 v25, v20
	v_lshlrev_b32_e32 v25, 2, v26
	v_and_b32_e32 v26, 1, v31
	v_lshrrev_b32_e32 v22, 8, v31
	v_add_nc_u32_e32 v54, v63, v54
	v_add_nc_u32_e32 v20, v58, v56
	;; [unrolled: 1-line block ×3, first 2 shown]
	v_and_b32_e32 v30, 1, v42
	v_sub_nc_u32_e32 v42, v55, v4
	v_cmp_eq_u32_e32 vcc_lo, 1, v26
	v_sub_nc_u32_e32 v20, v29, v20
	v_and_b32_e32 v22, 1, v22
	v_sub_nc_u32_e32 v26, v54, v3
	v_add_nc_u32_e32 v42, v42, v1
	v_cndmask_b32_e32 v19, v19, v62, vcc_lo
	v_cmp_eq_u32_e32 vcc_lo, 1, v30
	v_add_nc_u32_e32 v20, 4, v20
	v_and_b32_e32 v30, 1, v32
	v_add_nc_u32_e32 v43, v26, v42
	v_lshrrev_b32_e32 v21, 8, v32
	v_cndmask_b32_e32 v19, v19, v59, vcc_lo
	v_cmp_eq_u32_e32 vcc_lo, 1, v22
	v_add_nc_u32_e32 v53, v55, v53
	ds_write_b32 v25, v17
	v_and_b32_sdwa v25, v68, v31 dst_sel:DWORD dst_unused:UNUSED_PAD src0_sel:DWORD src1_sel:WORD_1
	v_lshlrev_b32_e32 v17, 2, v19
	v_cndmask_b32_e32 v20, v20, v56, vcc_lo
	v_sub_nc_u32_e32 v19, v29, v43
	v_cmp_eq_u32_e32 vcc_lo, 1, v30
	v_add_nc_u32_e32 v52, v54, v52
	v_add_nc_u32_e32 v69, v53, v41
	v_and_b32_e32 v21, 1, v21
	v_sub_nc_u32_e32 v22, v53, v4
	v_cndmask_b32_e32 v20, v20, v58, vcc_lo
	v_add_nc_u32_e32 v19, 5, v19
	v_cmp_eq_u32_e32 vcc_lo, 1, v25
	v_add_nc_u32_e32 v46, v52, v46
	v_sub_nc_u32_e32 v30, v52, v3
	v_sub_nc_u32_e32 v31, v69, v4
	v_add_nc_u32_e32 v22, v22, v1
	v_cndmask_b32_e32 v19, v19, v42, vcc_lo
	v_cmp_eq_u32_e32 vcc_lo, 1, v21
	v_sub_nc_u32_e32 v25, v46, v3
	v_add_nc_u32_e32 v31, v31, v1
	v_lshlrev_b32_e32 v20, 2, v20
	v_add_nc_u32_e32 v42, v30, v22
	v_cndmask_b32_e32 v19, v19, v26, vcc_lo
	ds_write_b32 v17, v18
	v_add_nc_u32_e32 v21, v25, v31
	ds_write_b32 v20, v15
	v_sub_nc_u32_e32 v17, v29, v42
	v_lshlrev_b32_e32 v15, 2, v19
	v_and_b32_e32 v19, 1, v41
	v_sub_nc_u32_e32 v18, v29, v21
	v_and_b32_e32 v21, 1, v33
	v_add_nc_u32_e32 v17, 6, v17
	v_add_nc_u32_e32 v51, v69, v51
	v_cmp_eq_u32_e32 vcc_lo, 1, v19
	v_and_b32_sdwa v20, v68, v32 dst_sel:DWORD dst_unused:UNUSED_PAD src0_sel:DWORD src1_sel:WORD_1
	v_add_nc_u32_e32 v18, 7, v18
	v_add_nc_u32_e32 v70, v46, v40
	v_sub_nc_u32_e32 v19, v51, v4
	v_cndmask_b32_e32 v17, v17, v22, vcc_lo
	v_cmp_eq_u32_e32 vcc_lo, 1, v21
	v_and_b32_e32 v22, 1, v40
	v_add_nc_u32_e32 v50, v51, v50
	v_sub_nc_u32_e32 v21, v70, v3
	v_add_nc_u32_e32 v19, v19, v1
	v_cndmask_b32_e32 v18, v18, v31, vcc_lo
	v_cmp_eq_u32_e32 vcc_lo, 1, v20
	v_lshrrev_b32_e32 v8, 8, v33
	v_add_nc_u32_e32 v49, v70, v49
	v_add_nc_u32_e32 v20, v21, v19
	ds_write_b32 v15, v16
	v_cndmask_b32_e32 v17, v17, v30, vcc_lo
	v_cmp_eq_u32_e32 vcc_lo, 1, v22
	v_sub_nc_u32_e32 v15, v50, v4
	v_add_nc_u32_e32 v48, v50, v48
	v_and_b32_e32 v8, 1, v8
	v_lshlrev_b32_e32 v16, 2, v17
	v_cndmask_b32_e32 v18, v18, v25, vcc_lo
	v_add_nc_u32_e32 v15, v15, v1
	v_add_nc_u32_e32 v47, v49, v47
	v_cmp_eq_u32_e32 vcc_lo, 1, v8
	v_lshrrev_b32_e32 v7, 8, v35
	v_lshlrev_b32_e32 v17, 2, v18
	v_sub_nc_u32_e32 v18, v29, v20
	v_sub_nc_u32_e32 v20, v49, v3
	ds_write_b32 v16, v13
	ds_write_b32 v17, v14
	v_and_b32_e32 v16, 1, v35
	v_add_nc_u32_e32 v13, 8, v18
	v_add_nc_u32_e32 v14, v20, v15
	v_sub_nc_u32_e32 v17, v48, v4
	v_add_nc_u32_e32 v74, v48, v39
	v_add_nc_u32_e32 v45, v47, v45
	v_cndmask_b32_e32 v8, v13, v19, vcc_lo
	v_sub_nc_u32_e32 v13, v29, v14
	v_sub_nc_u32_e32 v14, v47, v3
	v_add_nc_u32_e32 v17, v17, v1
	v_cmp_eq_u32_e32 vcc_lo, 1, v16
	v_and_b32_sdwa v16, v68, v33 dst_sel:DWORD dst_unused:UNUSED_PAD src0_sel:DWORD src1_sel:WORD_1
	v_add_nc_u32_e32 v44, v74, v44
	v_add_nc_u32_e32 v13, 9, v13
	v_and_b32_e32 v7, 1, v7
	v_cndmask_b32_e32 v8, v8, v21, vcc_lo
	v_add_nc_u32_e32 v18, v14, v17
	v_sub_nc_u32_e32 v19, v74, v4
	v_cmp_eq_u32_e32 vcc_lo, 1, v16
	v_add_nc_u32_e32 v61, v45, v38
	v_and_b32_e32 v25, 1, v37
	v_sub_nc_u32_e32 v16, v29, v18
	v_sub_nc_u32_e32 v18, v45, v3
	v_cndmask_b32_e32 v13, v13, v15, vcc_lo
	v_sub_nc_u32_e32 v15, v44, v4
	v_add_nc_u32_e32 v19, v19, v1
	v_cmp_eq_u32_e32 vcc_lo, 1, v7
	v_sub_nc_u32_e32 v3, v61, v3
	v_add_nc_u32_e32 v16, 10, v16
	v_add_nc_u32_e32 v15, v15, v1
	v_and_b32_sdwa v22, v68, v35 dst_sel:DWORD dst_unused:UNUSED_PAD src0_sel:DWORD src1_sel:WORD_1
	v_cndmask_b32_e32 v7, v13, v20, vcc_lo
	v_add_nc_u32_e32 v13, v18, v19
	v_and_b32_e32 v20, 1, v39
	v_add_nc_u32_e32 v21, v3, v15
	v_lshlrev_b32_e32 v8, 2, v8
	v_lshlrev_b32_e32 v7, 2, v7
	v_sub_nc_u32_e32 v13, v29, v13
	v_cmp_eq_u32_e32 vcc_lo, 1, v20
	v_and_b32_e32 v20, 1, v34
	v_add_nc_u32_e32 v13, 11, v13
	v_cndmask_b32_e32 v16, v16, v17, vcc_lo
	v_sub_nc_u32_e32 v17, v29, v21
	v_cmp_eq_u32_e32 vcc_lo, 1, v20
	v_and_b32_e32 v21, 1, v38
	v_add_nc_u32_e32 v17, 12, v17
	v_cndmask_b32_e32 v13, v13, v19, vcc_lo
	v_cmp_eq_u32_e32 vcc_lo, 1, v25
	v_and_b32_e32 v19, 1, v36
	v_cndmask_b32_e32 v15, v17, v15, vcc_lo
	v_cmp_eq_u32_e32 vcc_lo, 1, v22
	v_cndmask_b32_e32 v14, v16, v14, vcc_lo
	v_cmp_eq_u32_e32 vcc_lo, 1, v21
	v_lshlrev_b32_e32 v14, 2, v14
	v_cndmask_b32_e32 v13, v13, v18, vcc_lo
	v_cmp_eq_u32_e32 vcc_lo, 1, v19
	v_lshlrev_b32_e32 v13, 2, v13
	v_cndmask_b32_e32 v3, v15, v3, vcc_lo
	v_lshlrev_b32_e32 v3, 2, v3
	ds_write_b32 v8, v11
	ds_write_b32 v7, v12
	;; [unrolled: 1-line block ×5, first 2 shown]
	v_add_co_u32 v3, s0, v2, v66
	v_add_co_ci_u32_e64 v7, null, 0, 0, s0
	s_add_u32 s0, s34, s42
	v_add_co_u32 v3, vcc_lo, v3, v23
	v_add_co_ci_u32_e64 v7, null, v7, v24, vcc_lo
	s_addc_u32 s1, s35, 0
	v_add_co_u32 v3, vcc_lo, v3, v5
	v_add_co_ci_u32_e64 v9, null, v7, v6, vcc_lo
	v_lshlrev_b64 v[7:8], 2, v[23:24]
	v_sub_co_u32 v3, vcc_lo, s0, v3
	v_sub_co_ci_u32_e64 v11, null, s1, v9, vcc_lo
	v_lshlrev_b64 v[9:10], 2, v[5:6]
	v_add_co_u32 v7, vcc_lo, s38, v7
	v_add_co_ci_u32_e64 v8, null, s39, v8, vcc_lo
	v_cmp_ne_u32_e32 vcc_lo, 1, v27
	v_add_co_u32 v9, s0, s36, v9
	v_add_nc_u32_e32 v12, v1, v2
	v_add_co_ci_u32_e64 v10, null, s37, v10, s0
	s_and_b32 vcc_lo, exec_lo, vcc_lo
	s_mov_b32 s0, -1
	s_waitcnt lgkmcnt(0)
	s_barrier
	buffer_gl0_inv
	s_cbranch_vccz .LBB1672_151
; %bb.148:
	s_and_b32 vcc_lo, exec_lo, s0
	s_cbranch_vccnz .LBB1672_256
.LBB1672_149:
	v_cmp_eq_u32_e32 vcc_lo, 0, v0
	s_and_b32 s0, vcc_lo, s33
	s_and_saveexec_b32 s1, s0
	s_cbranch_execnz .LBB1672_374
.LBB1672_150:
	s_endpgm
.LBB1672_151:
	s_mov_b32 s0, exec_lo
	v_cmpx_ge_u32_e64 v0, v1
	s_xor_b32 s0, exec_lo, s0
	s_cbranch_execz .LBB1672_157
; %bb.152:
	s_mov_b32 s1, exec_lo
	v_cmpx_ge_u32_e64 v0, v12
	s_xor_b32 s1, exec_lo, s1
	s_cbranch_execz .LBB1672_154
; %bb.153:
	v_lshlrev_b32_e32 v13, 2, v0
	ds_read_b32 v15, v13
	v_add_co_u32 v13, vcc_lo, v3, v0
	v_add_co_ci_u32_e64 v14, null, 0, v11, vcc_lo
	v_lshlrev_b64 v[13:14], 2, v[13:14]
	v_sub_co_u32 v13, vcc_lo, s26, v13
	v_sub_co_ci_u32_e64 v14, null, s27, v14, vcc_lo
	s_waitcnt lgkmcnt(0)
	global_store_dword v[13:14], v15, off offset:-4
.LBB1672_154:
	s_andn2_saveexec_b32 s1, s1
	s_cbranch_execz .LBB1672_156
; %bb.155:
	v_lshlrev_b32_e32 v13, 2, v0
	v_readfirstlane_b32 s2, v7
	v_readfirstlane_b32 s3, v8
	ds_read_b32 v14, v13
	s_waitcnt lgkmcnt(0)
	global_store_dword v13, v14, s[2:3]
.LBB1672_156:
	s_or_b32 exec_lo, exec_lo, s1
.LBB1672_157:
	s_andn2_saveexec_b32 s0, s0
	s_cbranch_execz .LBB1672_159
; %bb.158:
	v_lshlrev_b32_e32 v13, 2, v0
	v_readfirstlane_b32 s2, v9
	v_readfirstlane_b32 s3, v10
	ds_read_b32 v14, v13
	s_waitcnt lgkmcnt(0)
	global_store_dword v13, v14, s[2:3]
.LBB1672_159:
	s_or_b32 exec_lo, exec_lo, s0
	v_or_b32_e32 v13, 0x100, v0
	s_mov_b32 s0, exec_lo
	v_cmpx_ge_u32_e64 v13, v1
	s_xor_b32 s0, exec_lo, s0
	s_cbranch_execz .LBB1672_165
; %bb.160:
	s_mov_b32 s1, exec_lo
	v_cmpx_ge_u32_e64 v13, v12
	s_xor_b32 s1, exec_lo, s1
	s_cbranch_execz .LBB1672_162
; %bb.161:
	v_lshlrev_b32_e32 v13, 2, v0
	ds_read_b32 v15, v13 offset:1024
	v_add_co_u32 v13, vcc_lo, v3, v0
	v_add_co_ci_u32_e64 v14, null, 0, v11, vcc_lo
	v_lshlrev_b64 v[13:14], 2, v[13:14]
	v_sub_co_u32 v13, vcc_lo, s26, v13
	v_sub_co_ci_u32_e64 v14, null, s27, v14, vcc_lo
	s_waitcnt lgkmcnt(0)
	global_store_dword v[13:14], v15, off offset:-1028
.LBB1672_162:
	s_andn2_saveexec_b32 s1, s1
	s_cbranch_execz .LBB1672_164
; %bb.163:
	v_lshlrev_b32_e32 v13, 2, v0
	v_readfirstlane_b32 s2, v7
	v_readfirstlane_b32 s3, v8
	ds_read_b32 v14, v13 offset:1024
	s_waitcnt lgkmcnt(0)
	global_store_dword v13, v14, s[2:3] offset:1024
.LBB1672_164:
	s_or_b32 exec_lo, exec_lo, s1
.LBB1672_165:
	s_andn2_saveexec_b32 s0, s0
	s_cbranch_execz .LBB1672_167
; %bb.166:
	v_lshlrev_b32_e32 v13, 2, v0
	v_readfirstlane_b32 s2, v9
	v_readfirstlane_b32 s3, v10
	ds_read_b32 v14, v13 offset:1024
	s_waitcnt lgkmcnt(0)
	global_store_dword v13, v14, s[2:3] offset:1024
.LBB1672_167:
	s_or_b32 exec_lo, exec_lo, s0
	v_or_b32_e32 v13, 0x200, v0
	s_mov_b32 s0, exec_lo
	v_cmpx_ge_u32_e64 v13, v1
	s_xor_b32 s0, exec_lo, s0
	s_cbranch_execz .LBB1672_173
; %bb.168:
	s_mov_b32 s1, exec_lo
	v_cmpx_ge_u32_e64 v13, v12
	s_xor_b32 s1, exec_lo, s1
	s_cbranch_execz .LBB1672_170
; %bb.169:
	v_lshlrev_b32_e32 v15, 2, v0
	v_add_co_u32 v13, vcc_lo, v3, v0
	v_add_co_ci_u32_e64 v14, null, 0, v11, vcc_lo
	ds_read_b32 v15, v15 offset:2048
	v_lshlrev_b64 v[13:14], 2, v[13:14]
	v_sub_co_u32 v13, vcc_lo, s26, v13
	v_sub_co_ci_u32_e64 v14, null, s27, v14, vcc_lo
	v_add_co_u32 v13, vcc_lo, 0xfffff800, v13
	v_add_co_ci_u32_e64 v14, null, -1, v14, vcc_lo
	s_waitcnt lgkmcnt(0)
	global_store_dword v[13:14], v15, off offset:-4
                                        ; implicit-def: $vgpr13
.LBB1672_170:
	s_andn2_saveexec_b32 s1, s1
	s_cbranch_execz .LBB1672_172
; %bb.171:
	v_lshlrev_b32_e32 v14, 2, v0
	v_lshlrev_b32_e32 v13, 2, v13
	v_readfirstlane_b32 s2, v7
	v_readfirstlane_b32 s3, v8
	ds_read_b32 v14, v14 offset:2048
	s_waitcnt lgkmcnt(0)
	global_store_dword v13, v14, s[2:3]
.LBB1672_172:
	s_or_b32 exec_lo, exec_lo, s1
                                        ; implicit-def: $vgpr13
.LBB1672_173:
	s_andn2_saveexec_b32 s0, s0
	s_cbranch_execz .LBB1672_175
; %bb.174:
	v_lshlrev_b32_e32 v14, 2, v0
	v_lshlrev_b32_e32 v13, 2, v13
	v_readfirstlane_b32 s2, v9
	v_readfirstlane_b32 s3, v10
	ds_read_b32 v14, v14 offset:2048
	s_waitcnt lgkmcnt(0)
	global_store_dword v13, v14, s[2:3]
.LBB1672_175:
	s_or_b32 exec_lo, exec_lo, s0
	v_or_b32_e32 v13, 0x300, v0
	s_mov_b32 s0, exec_lo
	v_cmpx_ge_u32_e64 v13, v1
	s_xor_b32 s0, exec_lo, s0
	s_cbranch_execz .LBB1672_181
; %bb.176:
	s_mov_b32 s1, exec_lo
	v_cmpx_ge_u32_e64 v13, v12
	s_xor_b32 s1, exec_lo, s1
	s_cbranch_execz .LBB1672_178
; %bb.177:
	v_lshlrev_b32_e32 v14, 2, v0
	v_add_co_u32 v13, vcc_lo, v3, v13
	ds_read_b32 v15, v14 offset:3072
	v_add_co_ci_u32_e64 v14, null, 0, v11, vcc_lo
	v_lshlrev_b64 v[13:14], 2, v[13:14]
	v_sub_co_u32 v13, vcc_lo, s26, v13
	v_sub_co_ci_u32_e64 v14, null, s27, v14, vcc_lo
	s_waitcnt lgkmcnt(0)
	global_store_dword v[13:14], v15, off offset:-4
                                        ; implicit-def: $vgpr13
.LBB1672_178:
	s_andn2_saveexec_b32 s1, s1
	s_cbranch_execz .LBB1672_180
; %bb.179:
	v_lshlrev_b32_e32 v14, 2, v0
	v_lshlrev_b32_e32 v13, 2, v13
	v_readfirstlane_b32 s2, v7
	v_readfirstlane_b32 s3, v8
	ds_read_b32 v14, v14 offset:3072
	s_waitcnt lgkmcnt(0)
	global_store_dword v13, v14, s[2:3]
.LBB1672_180:
	s_or_b32 exec_lo, exec_lo, s1
                                        ; implicit-def: $vgpr13
.LBB1672_181:
	s_andn2_saveexec_b32 s0, s0
	s_cbranch_execz .LBB1672_183
; %bb.182:
	v_lshlrev_b32_e32 v14, 2, v0
	v_lshlrev_b32_e32 v13, 2, v13
	v_readfirstlane_b32 s2, v9
	v_readfirstlane_b32 s3, v10
	ds_read_b32 v14, v14 offset:3072
	s_waitcnt lgkmcnt(0)
	global_store_dword v13, v14, s[2:3]
.LBB1672_183:
	s_or_b32 exec_lo, exec_lo, s0
	v_or_b32_e32 v13, 0x400, v0
	s_mov_b32 s0, exec_lo
	v_cmpx_ge_u32_e64 v13, v1
	s_xor_b32 s0, exec_lo, s0
	s_cbranch_execz .LBB1672_189
; %bb.184:
	s_mov_b32 s1, exec_lo
	v_cmpx_ge_u32_e64 v13, v12
	s_xor_b32 s1, exec_lo, s1
	s_cbranch_execz .LBB1672_186
; %bb.185:
	v_lshlrev_b32_e32 v14, 2, v0
	v_add_co_u32 v13, vcc_lo, v3, v13
	ds_read_b32 v15, v14 offset:4096
	v_add_co_ci_u32_e64 v14, null, 0, v11, vcc_lo
	v_lshlrev_b64 v[13:14], 2, v[13:14]
	v_sub_co_u32 v13, vcc_lo, s26, v13
	v_sub_co_ci_u32_e64 v14, null, s27, v14, vcc_lo
	s_waitcnt lgkmcnt(0)
	global_store_dword v[13:14], v15, off offset:-4
                                        ; implicit-def: $vgpr13
.LBB1672_186:
	s_andn2_saveexec_b32 s1, s1
	s_cbranch_execz .LBB1672_188
; %bb.187:
	v_lshlrev_b32_e32 v14, 2, v0
	v_lshlrev_b32_e32 v13, 2, v13
	v_readfirstlane_b32 s2, v7
	v_readfirstlane_b32 s3, v8
	ds_read_b32 v14, v14 offset:4096
	s_waitcnt lgkmcnt(0)
	global_store_dword v13, v14, s[2:3]
.LBB1672_188:
	s_or_b32 exec_lo, exec_lo, s1
                                        ; implicit-def: $vgpr13
.LBB1672_189:
	;; [unrolled: 48-line block ×10, first 2 shown]
	s_andn2_saveexec_b32 s0, s0
	s_cbranch_execz .LBB1672_255
; %bb.254:
	v_lshlrev_b32_e32 v14, 2, v0
	v_lshlrev_b32_e32 v13, 2, v13
	v_readfirstlane_b32 s2, v9
	v_readfirstlane_b32 s3, v10
	ds_read_b32 v14, v14 offset:12288
	s_waitcnt lgkmcnt(0)
	global_store_dword v13, v14, s[2:3]
.LBB1672_255:
	s_or_b32 exec_lo, exec_lo, s0
	s_branch .LBB1672_149
.LBB1672_256:
	s_mov_b32 s0, exec_lo
	v_cmpx_gt_u32_e64 s7, v0
	s_cbranch_execz .LBB1672_265
; %bb.257:
	s_mov_b32 s1, exec_lo
	v_cmpx_ge_u32_e64 v0, v1
	s_xor_b32 s1, exec_lo, s1
	s_cbranch_execz .LBB1672_263
; %bb.258:
	s_mov_b32 s2, exec_lo
	v_cmpx_ge_u32_e64 v0, v12
	s_xor_b32 s2, exec_lo, s2
	s_cbranch_execz .LBB1672_260
; %bb.259:
	v_lshlrev_b32_e32 v13, 2, v0
	ds_read_b32 v15, v13
	v_add_co_u32 v13, vcc_lo, v3, v0
	v_add_co_ci_u32_e64 v14, null, 0, v11, vcc_lo
	v_lshlrev_b64 v[13:14], 2, v[13:14]
	v_sub_co_u32 v13, vcc_lo, s26, v13
	v_sub_co_ci_u32_e64 v14, null, s27, v14, vcc_lo
	s_waitcnt lgkmcnt(0)
	global_store_dword v[13:14], v15, off offset:-4
.LBB1672_260:
	s_andn2_saveexec_b32 s2, s2
	s_cbranch_execz .LBB1672_262
; %bb.261:
	v_lshlrev_b32_e32 v13, 2, v0
	v_readfirstlane_b32 s4, v7
	v_readfirstlane_b32 s5, v8
	ds_read_b32 v14, v13
	s_waitcnt lgkmcnt(0)
	global_store_dword v13, v14, s[4:5]
.LBB1672_262:
	s_or_b32 exec_lo, exec_lo, s2
.LBB1672_263:
	s_andn2_saveexec_b32 s1, s1
	s_cbranch_execz .LBB1672_265
; %bb.264:
	v_lshlrev_b32_e32 v13, 2, v0
	v_readfirstlane_b32 s2, v9
	v_readfirstlane_b32 s3, v10
	ds_read_b32 v14, v13
	s_waitcnt lgkmcnt(0)
	global_store_dword v13, v14, s[2:3]
.LBB1672_265:
	s_or_b32 exec_lo, exec_lo, s0
	v_or_b32_e32 v13, 0x100, v0
	s_mov_b32 s0, exec_lo
	v_cmpx_gt_u32_e64 s7, v13
	s_cbranch_execz .LBB1672_274
; %bb.266:
	s_mov_b32 s1, exec_lo
	v_cmpx_ge_u32_e64 v13, v1
	s_xor_b32 s1, exec_lo, s1
	s_cbranch_execz .LBB1672_272
; %bb.267:
	s_mov_b32 s2, exec_lo
	v_cmpx_ge_u32_e64 v13, v12
	s_xor_b32 s2, exec_lo, s2
	s_cbranch_execz .LBB1672_269
; %bb.268:
	v_lshlrev_b32_e32 v13, 2, v0
	ds_read_b32 v15, v13 offset:1024
	v_add_co_u32 v13, vcc_lo, v3, v0
	v_add_co_ci_u32_e64 v14, null, 0, v11, vcc_lo
	v_lshlrev_b64 v[13:14], 2, v[13:14]
	v_sub_co_u32 v13, vcc_lo, s26, v13
	v_sub_co_ci_u32_e64 v14, null, s27, v14, vcc_lo
	s_waitcnt lgkmcnt(0)
	global_store_dword v[13:14], v15, off offset:-1028
.LBB1672_269:
	s_andn2_saveexec_b32 s2, s2
	s_cbranch_execz .LBB1672_271
; %bb.270:
	v_lshlrev_b32_e32 v13, 2, v0
	v_readfirstlane_b32 s4, v7
	v_readfirstlane_b32 s5, v8
	ds_read_b32 v14, v13 offset:1024
	s_waitcnt lgkmcnt(0)
	global_store_dword v13, v14, s[4:5] offset:1024
.LBB1672_271:
	s_or_b32 exec_lo, exec_lo, s2
.LBB1672_272:
	s_andn2_saveexec_b32 s1, s1
	s_cbranch_execz .LBB1672_274
; %bb.273:
	v_lshlrev_b32_e32 v13, 2, v0
	v_readfirstlane_b32 s2, v9
	v_readfirstlane_b32 s3, v10
	ds_read_b32 v14, v13 offset:1024
	s_waitcnt lgkmcnt(0)
	global_store_dword v13, v14, s[2:3] offset:1024
.LBB1672_274:
	s_or_b32 exec_lo, exec_lo, s0
	v_or_b32_e32 v13, 0x200, v0
	s_mov_b32 s0, exec_lo
	v_cmpx_gt_u32_e64 s7, v13
	s_cbranch_execz .LBB1672_283
; %bb.275:
	s_mov_b32 s1, exec_lo
	v_cmpx_ge_u32_e64 v13, v1
	s_xor_b32 s1, exec_lo, s1
	s_cbranch_execz .LBB1672_281
; %bb.276:
	s_mov_b32 s2, exec_lo
	v_cmpx_ge_u32_e64 v13, v12
	s_xor_b32 s2, exec_lo, s2
	s_cbranch_execz .LBB1672_278
; %bb.277:
	v_lshlrev_b32_e32 v15, 2, v0
	v_add_co_u32 v13, vcc_lo, v3, v0
	v_add_co_ci_u32_e64 v14, null, 0, v11, vcc_lo
	ds_read_b32 v15, v15 offset:2048
	v_lshlrev_b64 v[13:14], 2, v[13:14]
	v_sub_co_u32 v13, vcc_lo, s26, v13
	v_sub_co_ci_u32_e64 v14, null, s27, v14, vcc_lo
	v_add_co_u32 v13, vcc_lo, 0xfffff800, v13
	v_add_co_ci_u32_e64 v14, null, -1, v14, vcc_lo
	s_waitcnt lgkmcnt(0)
	global_store_dword v[13:14], v15, off offset:-4
                                        ; implicit-def: $vgpr13
.LBB1672_278:
	s_andn2_saveexec_b32 s2, s2
	s_cbranch_execz .LBB1672_280
; %bb.279:
	v_lshlrev_b32_e32 v14, 2, v0
	v_lshlrev_b32_e32 v13, 2, v13
	v_readfirstlane_b32 s4, v7
	v_readfirstlane_b32 s5, v8
	ds_read_b32 v14, v14 offset:2048
	s_waitcnt lgkmcnt(0)
	global_store_dword v13, v14, s[4:5]
.LBB1672_280:
	s_or_b32 exec_lo, exec_lo, s2
                                        ; implicit-def: $vgpr13
.LBB1672_281:
	s_andn2_saveexec_b32 s1, s1
	s_cbranch_execz .LBB1672_283
; %bb.282:
	v_lshlrev_b32_e32 v14, 2, v0
	v_lshlrev_b32_e32 v13, 2, v13
	v_readfirstlane_b32 s2, v9
	v_readfirstlane_b32 s3, v10
	ds_read_b32 v14, v14 offset:2048
	s_waitcnt lgkmcnt(0)
	global_store_dword v13, v14, s[2:3]
.LBB1672_283:
	s_or_b32 exec_lo, exec_lo, s0
	v_or_b32_e32 v13, 0x300, v0
	s_mov_b32 s0, exec_lo
	v_cmpx_gt_u32_e64 s7, v13
	s_cbranch_execz .LBB1672_292
; %bb.284:
	s_mov_b32 s1, exec_lo
	v_cmpx_ge_u32_e64 v13, v1
	s_xor_b32 s1, exec_lo, s1
	s_cbranch_execz .LBB1672_290
; %bb.285:
	s_mov_b32 s2, exec_lo
	v_cmpx_ge_u32_e64 v13, v12
	s_xor_b32 s2, exec_lo, s2
	s_cbranch_execz .LBB1672_287
; %bb.286:
	v_lshlrev_b32_e32 v14, 2, v0
	v_add_co_u32 v13, vcc_lo, v3, v13
	ds_read_b32 v15, v14 offset:3072
	v_add_co_ci_u32_e64 v14, null, 0, v11, vcc_lo
	v_lshlrev_b64 v[13:14], 2, v[13:14]
	v_sub_co_u32 v13, vcc_lo, s26, v13
	v_sub_co_ci_u32_e64 v14, null, s27, v14, vcc_lo
	s_waitcnt lgkmcnt(0)
	global_store_dword v[13:14], v15, off offset:-4
                                        ; implicit-def: $vgpr13
.LBB1672_287:
	s_andn2_saveexec_b32 s2, s2
	s_cbranch_execz .LBB1672_289
; %bb.288:
	v_lshlrev_b32_e32 v14, 2, v0
	v_lshlrev_b32_e32 v13, 2, v13
	v_readfirstlane_b32 s4, v7
	v_readfirstlane_b32 s5, v8
	ds_read_b32 v14, v14 offset:3072
	s_waitcnt lgkmcnt(0)
	global_store_dword v13, v14, s[4:5]
.LBB1672_289:
	s_or_b32 exec_lo, exec_lo, s2
                                        ; implicit-def: $vgpr13
.LBB1672_290:
	s_andn2_saveexec_b32 s1, s1
	s_cbranch_execz .LBB1672_292
; %bb.291:
	v_lshlrev_b32_e32 v14, 2, v0
	v_lshlrev_b32_e32 v13, 2, v13
	v_readfirstlane_b32 s2, v9
	v_readfirstlane_b32 s3, v10
	ds_read_b32 v14, v14 offset:3072
	s_waitcnt lgkmcnt(0)
	global_store_dword v13, v14, s[2:3]
.LBB1672_292:
	s_or_b32 exec_lo, exec_lo, s0
	v_or_b32_e32 v13, 0x400, v0
	s_mov_b32 s0, exec_lo
	v_cmpx_gt_u32_e64 s7, v13
	s_cbranch_execz .LBB1672_301
; %bb.293:
	s_mov_b32 s1, exec_lo
	v_cmpx_ge_u32_e64 v13, v1
	s_xor_b32 s1, exec_lo, s1
	s_cbranch_execz .LBB1672_299
; %bb.294:
	s_mov_b32 s2, exec_lo
	v_cmpx_ge_u32_e64 v13, v12
	s_xor_b32 s2, exec_lo, s2
	s_cbranch_execz .LBB1672_296
; %bb.295:
	v_lshlrev_b32_e32 v14, 2, v0
	v_add_co_u32 v13, vcc_lo, v3, v13
	ds_read_b32 v15, v14 offset:4096
	v_add_co_ci_u32_e64 v14, null, 0, v11, vcc_lo
	v_lshlrev_b64 v[13:14], 2, v[13:14]
	v_sub_co_u32 v13, vcc_lo, s26, v13
	v_sub_co_ci_u32_e64 v14, null, s27, v14, vcc_lo
	s_waitcnt lgkmcnt(0)
	global_store_dword v[13:14], v15, off offset:-4
                                        ; implicit-def: $vgpr13
.LBB1672_296:
	s_andn2_saveexec_b32 s2, s2
	s_cbranch_execz .LBB1672_298
; %bb.297:
	v_lshlrev_b32_e32 v14, 2, v0
	v_lshlrev_b32_e32 v13, 2, v13
	v_readfirstlane_b32 s4, v7
	v_readfirstlane_b32 s5, v8
	ds_read_b32 v14, v14 offset:4096
	s_waitcnt lgkmcnt(0)
	global_store_dword v13, v14, s[4:5]
.LBB1672_298:
	s_or_b32 exec_lo, exec_lo, s2
                                        ; implicit-def: $vgpr13
.LBB1672_299:
	s_andn2_saveexec_b32 s1, s1
	s_cbranch_execz .LBB1672_301
; %bb.300:
	v_lshlrev_b32_e32 v14, 2, v0
	v_lshlrev_b32_e32 v13, 2, v13
	v_readfirstlane_b32 s2, v9
	v_readfirstlane_b32 s3, v10
	ds_read_b32 v14, v14 offset:4096
	s_waitcnt lgkmcnt(0)
	global_store_dword v13, v14, s[2:3]
.LBB1672_301:
	s_or_b32 exec_lo, exec_lo, s0
	v_or_b32_e32 v13, 0x500, v0
	s_mov_b32 s0, exec_lo
	v_cmpx_gt_u32_e64 s7, v13
	s_cbranch_execz .LBB1672_310
; %bb.302:
	s_mov_b32 s1, exec_lo
	v_cmpx_ge_u32_e64 v13, v1
	s_xor_b32 s1, exec_lo, s1
	s_cbranch_execz .LBB1672_308
; %bb.303:
	s_mov_b32 s2, exec_lo
	v_cmpx_ge_u32_e64 v13, v12
	s_xor_b32 s2, exec_lo, s2
	s_cbranch_execz .LBB1672_305
; %bb.304:
	v_lshlrev_b32_e32 v14, 2, v0
	v_add_co_u32 v13, vcc_lo, v3, v13
	ds_read_b32 v15, v14 offset:5120
	v_add_co_ci_u32_e64 v14, null, 0, v11, vcc_lo
	v_lshlrev_b64 v[13:14], 2, v[13:14]
	v_sub_co_u32 v13, vcc_lo, s26, v13
	v_sub_co_ci_u32_e64 v14, null, s27, v14, vcc_lo
	s_waitcnt lgkmcnt(0)
	global_store_dword v[13:14], v15, off offset:-4
                                        ; implicit-def: $vgpr13
.LBB1672_305:
	s_andn2_saveexec_b32 s2, s2
	s_cbranch_execz .LBB1672_307
; %bb.306:
	v_lshlrev_b32_e32 v14, 2, v0
	v_lshlrev_b32_e32 v13, 2, v13
	v_readfirstlane_b32 s4, v7
	v_readfirstlane_b32 s5, v8
	ds_read_b32 v14, v14 offset:5120
	s_waitcnt lgkmcnt(0)
	global_store_dword v13, v14, s[4:5]
.LBB1672_307:
	s_or_b32 exec_lo, exec_lo, s2
                                        ; implicit-def: $vgpr13
.LBB1672_308:
	s_andn2_saveexec_b32 s1, s1
	s_cbranch_execz .LBB1672_310
; %bb.309:
	v_lshlrev_b32_e32 v14, 2, v0
	v_lshlrev_b32_e32 v13, 2, v13
	v_readfirstlane_b32 s2, v9
	v_readfirstlane_b32 s3, v10
	ds_read_b32 v14, v14 offset:5120
	s_waitcnt lgkmcnt(0)
	global_store_dword v13, v14, s[2:3]
.LBB1672_310:
	s_or_b32 exec_lo, exec_lo, s0
	v_or_b32_e32 v13, 0x600, v0
	s_mov_b32 s0, exec_lo
	v_cmpx_gt_u32_e64 s7, v13
	s_cbranch_execz .LBB1672_319
; %bb.311:
	s_mov_b32 s1, exec_lo
	v_cmpx_ge_u32_e64 v13, v1
	s_xor_b32 s1, exec_lo, s1
	s_cbranch_execz .LBB1672_317
; %bb.312:
	s_mov_b32 s2, exec_lo
	v_cmpx_ge_u32_e64 v13, v12
	s_xor_b32 s2, exec_lo, s2
	s_cbranch_execz .LBB1672_314
; %bb.313:
	v_lshlrev_b32_e32 v14, 2, v0
	v_add_co_u32 v13, vcc_lo, v3, v13
	ds_read_b32 v15, v14 offset:6144
	v_add_co_ci_u32_e64 v14, null, 0, v11, vcc_lo
	v_lshlrev_b64 v[13:14], 2, v[13:14]
	v_sub_co_u32 v13, vcc_lo, s26, v13
	v_sub_co_ci_u32_e64 v14, null, s27, v14, vcc_lo
	s_waitcnt lgkmcnt(0)
	global_store_dword v[13:14], v15, off offset:-4
                                        ; implicit-def: $vgpr13
.LBB1672_314:
	s_andn2_saveexec_b32 s2, s2
	s_cbranch_execz .LBB1672_316
; %bb.315:
	v_lshlrev_b32_e32 v14, 2, v0
	v_lshlrev_b32_e32 v13, 2, v13
	v_readfirstlane_b32 s4, v7
	v_readfirstlane_b32 s5, v8
	ds_read_b32 v14, v14 offset:6144
	s_waitcnt lgkmcnt(0)
	global_store_dword v13, v14, s[4:5]
.LBB1672_316:
	s_or_b32 exec_lo, exec_lo, s2
                                        ; implicit-def: $vgpr13
.LBB1672_317:
	s_andn2_saveexec_b32 s1, s1
	s_cbranch_execz .LBB1672_319
; %bb.318:
	v_lshlrev_b32_e32 v14, 2, v0
	v_lshlrev_b32_e32 v13, 2, v13
	v_readfirstlane_b32 s2, v9
	v_readfirstlane_b32 s3, v10
	ds_read_b32 v14, v14 offset:6144
	s_waitcnt lgkmcnt(0)
	global_store_dword v13, v14, s[2:3]
.LBB1672_319:
	s_or_b32 exec_lo, exec_lo, s0
	v_or_b32_e32 v13, 0x700, v0
	s_mov_b32 s0, exec_lo
	v_cmpx_gt_u32_e64 s7, v13
	s_cbranch_execz .LBB1672_328
; %bb.320:
	s_mov_b32 s1, exec_lo
	v_cmpx_ge_u32_e64 v13, v1
	s_xor_b32 s1, exec_lo, s1
	s_cbranch_execz .LBB1672_326
; %bb.321:
	s_mov_b32 s2, exec_lo
	v_cmpx_ge_u32_e64 v13, v12
	s_xor_b32 s2, exec_lo, s2
	s_cbranch_execz .LBB1672_323
; %bb.322:
	v_lshlrev_b32_e32 v14, 2, v0
	v_add_co_u32 v13, vcc_lo, v3, v13
	ds_read_b32 v15, v14 offset:7168
	v_add_co_ci_u32_e64 v14, null, 0, v11, vcc_lo
	v_lshlrev_b64 v[13:14], 2, v[13:14]
	v_sub_co_u32 v13, vcc_lo, s26, v13
	v_sub_co_ci_u32_e64 v14, null, s27, v14, vcc_lo
	s_waitcnt lgkmcnt(0)
	global_store_dword v[13:14], v15, off offset:-4
                                        ; implicit-def: $vgpr13
.LBB1672_323:
	s_andn2_saveexec_b32 s2, s2
	s_cbranch_execz .LBB1672_325
; %bb.324:
	v_lshlrev_b32_e32 v14, 2, v0
	v_lshlrev_b32_e32 v13, 2, v13
	v_readfirstlane_b32 s4, v7
	v_readfirstlane_b32 s5, v8
	ds_read_b32 v14, v14 offset:7168
	s_waitcnt lgkmcnt(0)
	global_store_dword v13, v14, s[4:5]
.LBB1672_325:
	s_or_b32 exec_lo, exec_lo, s2
                                        ; implicit-def: $vgpr13
.LBB1672_326:
	s_andn2_saveexec_b32 s1, s1
	s_cbranch_execz .LBB1672_328
; %bb.327:
	v_lshlrev_b32_e32 v14, 2, v0
	v_lshlrev_b32_e32 v13, 2, v13
	v_readfirstlane_b32 s2, v9
	v_readfirstlane_b32 s3, v10
	ds_read_b32 v14, v14 offset:7168
	s_waitcnt lgkmcnt(0)
	global_store_dword v13, v14, s[2:3]
.LBB1672_328:
	s_or_b32 exec_lo, exec_lo, s0
	v_or_b32_e32 v13, 0x800, v0
	s_mov_b32 s0, exec_lo
	v_cmpx_gt_u32_e64 s7, v13
	s_cbranch_execz .LBB1672_337
; %bb.329:
	s_mov_b32 s1, exec_lo
	v_cmpx_ge_u32_e64 v13, v1
	s_xor_b32 s1, exec_lo, s1
	s_cbranch_execz .LBB1672_335
; %bb.330:
	s_mov_b32 s2, exec_lo
	v_cmpx_ge_u32_e64 v13, v12
	s_xor_b32 s2, exec_lo, s2
	s_cbranch_execz .LBB1672_332
; %bb.331:
	v_lshlrev_b32_e32 v14, 2, v0
	v_add_co_u32 v13, vcc_lo, v3, v13
	ds_read_b32 v15, v14 offset:8192
	v_add_co_ci_u32_e64 v14, null, 0, v11, vcc_lo
	v_lshlrev_b64 v[13:14], 2, v[13:14]
	v_sub_co_u32 v13, vcc_lo, s26, v13
	v_sub_co_ci_u32_e64 v14, null, s27, v14, vcc_lo
	s_waitcnt lgkmcnt(0)
	global_store_dword v[13:14], v15, off offset:-4
                                        ; implicit-def: $vgpr13
.LBB1672_332:
	s_andn2_saveexec_b32 s2, s2
	s_cbranch_execz .LBB1672_334
; %bb.333:
	v_lshlrev_b32_e32 v14, 2, v0
	v_lshlrev_b32_e32 v13, 2, v13
	v_readfirstlane_b32 s4, v7
	v_readfirstlane_b32 s5, v8
	ds_read_b32 v14, v14 offset:8192
	s_waitcnt lgkmcnt(0)
	global_store_dword v13, v14, s[4:5]
.LBB1672_334:
	s_or_b32 exec_lo, exec_lo, s2
                                        ; implicit-def: $vgpr13
.LBB1672_335:
	s_andn2_saveexec_b32 s1, s1
	s_cbranch_execz .LBB1672_337
; %bb.336:
	v_lshlrev_b32_e32 v14, 2, v0
	v_lshlrev_b32_e32 v13, 2, v13
	v_readfirstlane_b32 s2, v9
	v_readfirstlane_b32 s3, v10
	ds_read_b32 v14, v14 offset:8192
	s_waitcnt lgkmcnt(0)
	global_store_dword v13, v14, s[2:3]
.LBB1672_337:
	s_or_b32 exec_lo, exec_lo, s0
	v_or_b32_e32 v13, 0x900, v0
	s_mov_b32 s0, exec_lo
	v_cmpx_gt_u32_e64 s7, v13
	s_cbranch_execz .LBB1672_346
; %bb.338:
	s_mov_b32 s1, exec_lo
	v_cmpx_ge_u32_e64 v13, v1
	s_xor_b32 s1, exec_lo, s1
	s_cbranch_execz .LBB1672_344
; %bb.339:
	s_mov_b32 s2, exec_lo
	v_cmpx_ge_u32_e64 v13, v12
	s_xor_b32 s2, exec_lo, s2
	s_cbranch_execz .LBB1672_341
; %bb.340:
	v_lshlrev_b32_e32 v14, 2, v0
	v_add_co_u32 v13, vcc_lo, v3, v13
	ds_read_b32 v15, v14 offset:9216
	v_add_co_ci_u32_e64 v14, null, 0, v11, vcc_lo
	v_lshlrev_b64 v[13:14], 2, v[13:14]
	v_sub_co_u32 v13, vcc_lo, s26, v13
	v_sub_co_ci_u32_e64 v14, null, s27, v14, vcc_lo
	s_waitcnt lgkmcnt(0)
	global_store_dword v[13:14], v15, off offset:-4
                                        ; implicit-def: $vgpr13
.LBB1672_341:
	s_andn2_saveexec_b32 s2, s2
	s_cbranch_execz .LBB1672_343
; %bb.342:
	v_lshlrev_b32_e32 v14, 2, v0
	v_lshlrev_b32_e32 v13, 2, v13
	v_readfirstlane_b32 s4, v7
	v_readfirstlane_b32 s5, v8
	ds_read_b32 v14, v14 offset:9216
	s_waitcnt lgkmcnt(0)
	global_store_dword v13, v14, s[4:5]
.LBB1672_343:
	s_or_b32 exec_lo, exec_lo, s2
                                        ; implicit-def: $vgpr13
.LBB1672_344:
	s_andn2_saveexec_b32 s1, s1
	s_cbranch_execz .LBB1672_346
; %bb.345:
	v_lshlrev_b32_e32 v14, 2, v0
	v_lshlrev_b32_e32 v13, 2, v13
	v_readfirstlane_b32 s2, v9
	v_readfirstlane_b32 s3, v10
	ds_read_b32 v14, v14 offset:9216
	s_waitcnt lgkmcnt(0)
	global_store_dword v13, v14, s[2:3]
.LBB1672_346:
	s_or_b32 exec_lo, exec_lo, s0
	v_or_b32_e32 v13, 0xa00, v0
	s_mov_b32 s0, exec_lo
	v_cmpx_gt_u32_e64 s7, v13
	s_cbranch_execz .LBB1672_355
; %bb.347:
	s_mov_b32 s1, exec_lo
	v_cmpx_ge_u32_e64 v13, v1
	s_xor_b32 s1, exec_lo, s1
	s_cbranch_execz .LBB1672_353
; %bb.348:
	s_mov_b32 s2, exec_lo
	v_cmpx_ge_u32_e64 v13, v12
	s_xor_b32 s2, exec_lo, s2
	s_cbranch_execz .LBB1672_350
; %bb.349:
	v_lshlrev_b32_e32 v14, 2, v0
	v_add_co_u32 v13, vcc_lo, v3, v13
	ds_read_b32 v15, v14 offset:10240
	v_add_co_ci_u32_e64 v14, null, 0, v11, vcc_lo
	v_lshlrev_b64 v[13:14], 2, v[13:14]
	v_sub_co_u32 v13, vcc_lo, s26, v13
	v_sub_co_ci_u32_e64 v14, null, s27, v14, vcc_lo
	s_waitcnt lgkmcnt(0)
	global_store_dword v[13:14], v15, off offset:-4
                                        ; implicit-def: $vgpr13
.LBB1672_350:
	s_andn2_saveexec_b32 s2, s2
	s_cbranch_execz .LBB1672_352
; %bb.351:
	v_lshlrev_b32_e32 v14, 2, v0
	v_lshlrev_b32_e32 v13, 2, v13
	v_readfirstlane_b32 s4, v7
	v_readfirstlane_b32 s5, v8
	ds_read_b32 v14, v14 offset:10240
	s_waitcnt lgkmcnt(0)
	global_store_dword v13, v14, s[4:5]
.LBB1672_352:
	s_or_b32 exec_lo, exec_lo, s2
                                        ; implicit-def: $vgpr13
.LBB1672_353:
	s_andn2_saveexec_b32 s1, s1
	s_cbranch_execz .LBB1672_355
; %bb.354:
	v_lshlrev_b32_e32 v14, 2, v0
	v_lshlrev_b32_e32 v13, 2, v13
	v_readfirstlane_b32 s2, v9
	v_readfirstlane_b32 s3, v10
	ds_read_b32 v14, v14 offset:10240
	s_waitcnt lgkmcnt(0)
	global_store_dword v13, v14, s[2:3]
.LBB1672_355:
	s_or_b32 exec_lo, exec_lo, s0
	v_or_b32_e32 v13, 0xb00, v0
	s_mov_b32 s0, exec_lo
	v_cmpx_gt_u32_e64 s7, v13
	s_cbranch_execz .LBB1672_364
; %bb.356:
	s_mov_b32 s1, exec_lo
	v_cmpx_ge_u32_e64 v13, v1
	s_xor_b32 s1, exec_lo, s1
	s_cbranch_execz .LBB1672_362
; %bb.357:
	s_mov_b32 s2, exec_lo
	v_cmpx_ge_u32_e64 v13, v12
	s_xor_b32 s2, exec_lo, s2
	s_cbranch_execz .LBB1672_359
; %bb.358:
	v_lshlrev_b32_e32 v14, 2, v0
	v_add_co_u32 v13, vcc_lo, v3, v13
	ds_read_b32 v15, v14 offset:11264
	v_add_co_ci_u32_e64 v14, null, 0, v11, vcc_lo
	v_lshlrev_b64 v[13:14], 2, v[13:14]
	v_sub_co_u32 v13, vcc_lo, s26, v13
	v_sub_co_ci_u32_e64 v14, null, s27, v14, vcc_lo
	s_waitcnt lgkmcnt(0)
	global_store_dword v[13:14], v15, off offset:-4
                                        ; implicit-def: $vgpr13
.LBB1672_359:
	s_andn2_saveexec_b32 s2, s2
	s_cbranch_execz .LBB1672_361
; %bb.360:
	v_lshlrev_b32_e32 v14, 2, v0
	v_lshlrev_b32_e32 v13, 2, v13
	v_readfirstlane_b32 s4, v7
	v_readfirstlane_b32 s5, v8
	ds_read_b32 v14, v14 offset:11264
	s_waitcnt lgkmcnt(0)
	global_store_dword v13, v14, s[4:5]
.LBB1672_361:
	s_or_b32 exec_lo, exec_lo, s2
                                        ; implicit-def: $vgpr13
.LBB1672_362:
	s_andn2_saveexec_b32 s1, s1
	s_cbranch_execz .LBB1672_364
; %bb.363:
	v_lshlrev_b32_e32 v14, 2, v0
	v_lshlrev_b32_e32 v13, 2, v13
	v_readfirstlane_b32 s2, v9
	v_readfirstlane_b32 s3, v10
	ds_read_b32 v14, v14 offset:11264
	s_waitcnt lgkmcnt(0)
	global_store_dword v13, v14, s[2:3]
.LBB1672_364:
	s_or_b32 exec_lo, exec_lo, s0
	v_or_b32_e32 v13, 0xc00, v0
	s_mov_b32 s0, exec_lo
	v_cmpx_gt_u32_e64 s7, v13
	s_cbranch_execz .LBB1672_373
; %bb.365:
	s_mov_b32 s1, exec_lo
	v_cmpx_ge_u32_e64 v13, v1
	s_xor_b32 s1, exec_lo, s1
	s_cbranch_execz .LBB1672_371
; %bb.366:
	s_mov_b32 s2, exec_lo
	v_cmpx_ge_u32_e64 v13, v12
	s_xor_b32 s2, exec_lo, s2
	s_cbranch_execz .LBB1672_368
; %bb.367:
	v_lshlrev_b32_e32 v7, 2, v0
	ds_read_b32 v9, v7 offset:12288
	v_add_co_u32 v7, vcc_lo, v3, v13
	v_add_co_ci_u32_e64 v8, null, 0, v11, vcc_lo
                                        ; implicit-def: $vgpr13
	v_lshlrev_b64 v[7:8], 2, v[7:8]
	v_sub_co_u32 v7, vcc_lo, s26, v7
	v_sub_co_ci_u32_e64 v8, null, s27, v8, vcc_lo
	s_waitcnt lgkmcnt(0)
	global_store_dword v[7:8], v9, off offset:-4
                                        ; implicit-def: $vgpr7_vgpr8
.LBB1672_368:
	s_andn2_saveexec_b32 s2, s2
	s_cbranch_execz .LBB1672_370
; %bb.369:
	v_lshlrev_b32_e32 v3, 2, v0
	v_lshlrev_b32_e32 v9, 2, v13
	v_readfirstlane_b32 s4, v7
	v_readfirstlane_b32 s5, v8
	ds_read_b32 v3, v3 offset:12288
	s_waitcnt lgkmcnt(0)
	global_store_dword v9, v3, s[4:5]
.LBB1672_370:
	s_or_b32 exec_lo, exec_lo, s2
                                        ; implicit-def: $vgpr13
                                        ; implicit-def: $vgpr9_vgpr10
.LBB1672_371:
	s_andn2_saveexec_b32 s1, s1
	s_cbranch_execz .LBB1672_373
; %bb.372:
	v_lshlrev_b32_e32 v3, 2, v0
	v_lshlrev_b32_e32 v7, 2, v13
	v_readfirstlane_b32 s2, v9
	v_readfirstlane_b32 s3, v10
	ds_read_b32 v3, v3 offset:12288
	s_waitcnt lgkmcnt(0)
	global_store_dword v7, v3, s[2:3]
.LBB1672_373:
	s_or_b32 exec_lo, exec_lo, s0
	v_cmp_eq_u32_e32 vcc_lo, 0, v0
	s_and_b32 s0, vcc_lo, s33
	s_and_saveexec_b32 s1, s0
	s_cbranch_execz .LBB1672_150
.LBB1672_374:
	v_add_co_u32 v0, s0, s30, v2
	v_add_co_ci_u32_e64 v3, null, s31, 0, s0
	v_mov_b32_e32 v7, 0
	v_add_co_u32 v2, vcc_lo, v0, v4
	v_add_co_ci_u32_e64 v3, null, 0, v3, vcc_lo
	v_add_co_u32 v0, vcc_lo, v5, v1
	v_add_co_ci_u32_e64 v1, null, 0, v6, vcc_lo
	global_store_dwordx4 v7, v[0:3], s[24:25]
	s_endpgm
.LBB1672_375:
	s_add_i32 s10, s6, 32
	s_mov_b32 s11, 0
	v_add_nc_u32_e32 v6, v4, v2
	s_lshl_b64 s[10:11], s[10:11], 4
	v_add_nc_u32_e32 v5, v3, v1
	s_add_u32 s10, s4, s10
	s_addc_u32 s11, s5, s11
	v_mov_b32_e32 v7, 2
	v_mov_b32_e32 v24, s11
	;; [unrolled: 1-line block ×4, first 2 shown]
	;;#ASMSTART
	global_store_dwordx4 v[23:24], v[5:8] off	
s_waitcnt vmcnt(0)
	;;#ASMEND
	s_or_b32 exec_lo, exec_lo, s8
	s_and_saveexec_b32 s6, s2
	s_cbranch_execz .LBB1672_135
.LBB1672_376:
	v_mov_b32_e32 v5, 0
	ds_write_b128 v5, v[1:4] offset:13312
	s_or_b32 exec_lo, exec_lo, s6
	v_cmp_eq_u32_e32 vcc_lo, 0, v0
	s_and_b32 exec_lo, exec_lo, vcc_lo
	s_cbranch_execnz .LBB1672_136
	s_branch .LBB1672_137
	.section	.rodata,"a",@progbits
	.p2align	6, 0x0
	.amdhsa_kernel _ZN7rocprim17ROCPRIM_400000_NS6detail17trampoline_kernelINS0_13select_configILj256ELj13ELNS0_17block_load_methodE3ELS4_3ELS4_3ELNS0_20block_scan_algorithmE0ELj4294967295EEENS1_25partition_config_selectorILNS1_17partition_subalgoE4EjNS0_10empty_typeEbEEZZNS1_14partition_implILS8_4ELb0ES6_15HIP_vector_typeIjLj2EENS0_17counting_iteratorIjlEEPS9_SG_NS0_5tupleIJPjSI_NS0_16reverse_iteratorISI_EEEEENSH_IJSG_SG_SG_EEES9_SI_JZNS1_25segmented_radix_sort_implINS0_14default_configELb1EPK6__halfPSP_PKlPlN2at6native12_GLOBAL__N_18offset_tEEE10hipError_tPvRmT1_PNSt15iterator_traitsIS13_E10value_typeET2_T3_PNS14_IS19_E10value_typeET4_jRbjT5_S1F_jjP12ihipStream_tbEUljE_ZNSN_ISO_Lb1ESR_SS_SU_SV_SZ_EES10_S11_S12_S13_S17_S18_S19_S1C_S1D_jS1E_jS1F_S1F_jjS1H_bEUljE0_EEES10_S11_S12_S19_S1D_S1F_T6_T7_T9_mT8_S1H_bDpT10_ENKUlT_T0_E_clISt17integral_constantIbLb0EES1V_EEDaS1Q_S1R_EUlS1Q_E_NS1_11comp_targetILNS1_3genE8ELNS1_11target_archE1030ELNS1_3gpuE2ELNS1_3repE0EEENS1_30default_config_static_selectorELNS0_4arch9wavefront6targetE0EEEvS13_
		.amdhsa_group_segment_fixed_size 13328
		.amdhsa_private_segment_fixed_size 0
		.amdhsa_kernarg_size 176
		.amdhsa_user_sgpr_count 6
		.amdhsa_user_sgpr_private_segment_buffer 1
		.amdhsa_user_sgpr_dispatch_ptr 0
		.amdhsa_user_sgpr_queue_ptr 0
		.amdhsa_user_sgpr_kernarg_segment_ptr 1
		.amdhsa_user_sgpr_dispatch_id 0
		.amdhsa_user_sgpr_flat_scratch_init 0
		.amdhsa_user_sgpr_private_segment_size 0
		.amdhsa_wavefront_size32 1
		.amdhsa_uses_dynamic_stack 0
		.amdhsa_system_sgpr_private_segment_wavefront_offset 0
		.amdhsa_system_sgpr_workgroup_id_x 1
		.amdhsa_system_sgpr_workgroup_id_y 0
		.amdhsa_system_sgpr_workgroup_id_z 0
		.amdhsa_system_sgpr_workgroup_info 0
		.amdhsa_system_vgpr_workitem_id 0
		.amdhsa_next_free_vgpr 82
		.amdhsa_next_free_sgpr 59
		.amdhsa_reserve_vcc 1
		.amdhsa_reserve_flat_scratch 0
		.amdhsa_float_round_mode_32 0
		.amdhsa_float_round_mode_16_64 0
		.amdhsa_float_denorm_mode_32 3
		.amdhsa_float_denorm_mode_16_64 3
		.amdhsa_dx10_clamp 1
		.amdhsa_ieee_mode 1
		.amdhsa_fp16_overflow 0
		.amdhsa_workgroup_processor_mode 1
		.amdhsa_memory_ordered 1
		.amdhsa_forward_progress 1
		.amdhsa_shared_vgpr_count 0
		.amdhsa_exception_fp_ieee_invalid_op 0
		.amdhsa_exception_fp_denorm_src 0
		.amdhsa_exception_fp_ieee_div_zero 0
		.amdhsa_exception_fp_ieee_overflow 0
		.amdhsa_exception_fp_ieee_underflow 0
		.amdhsa_exception_fp_ieee_inexact 0
		.amdhsa_exception_int_div_zero 0
	.end_amdhsa_kernel
	.section	.text._ZN7rocprim17ROCPRIM_400000_NS6detail17trampoline_kernelINS0_13select_configILj256ELj13ELNS0_17block_load_methodE3ELS4_3ELS4_3ELNS0_20block_scan_algorithmE0ELj4294967295EEENS1_25partition_config_selectorILNS1_17partition_subalgoE4EjNS0_10empty_typeEbEEZZNS1_14partition_implILS8_4ELb0ES6_15HIP_vector_typeIjLj2EENS0_17counting_iteratorIjlEEPS9_SG_NS0_5tupleIJPjSI_NS0_16reverse_iteratorISI_EEEEENSH_IJSG_SG_SG_EEES9_SI_JZNS1_25segmented_radix_sort_implINS0_14default_configELb1EPK6__halfPSP_PKlPlN2at6native12_GLOBAL__N_18offset_tEEE10hipError_tPvRmT1_PNSt15iterator_traitsIS13_E10value_typeET2_T3_PNS14_IS19_E10value_typeET4_jRbjT5_S1F_jjP12ihipStream_tbEUljE_ZNSN_ISO_Lb1ESR_SS_SU_SV_SZ_EES10_S11_S12_S13_S17_S18_S19_S1C_S1D_jS1E_jS1F_S1F_jjS1H_bEUljE0_EEES10_S11_S12_S19_S1D_S1F_T6_T7_T9_mT8_S1H_bDpT10_ENKUlT_T0_E_clISt17integral_constantIbLb0EES1V_EEDaS1Q_S1R_EUlS1Q_E_NS1_11comp_targetILNS1_3genE8ELNS1_11target_archE1030ELNS1_3gpuE2ELNS1_3repE0EEENS1_30default_config_static_selectorELNS0_4arch9wavefront6targetE0EEEvS13_,"axG",@progbits,_ZN7rocprim17ROCPRIM_400000_NS6detail17trampoline_kernelINS0_13select_configILj256ELj13ELNS0_17block_load_methodE3ELS4_3ELS4_3ELNS0_20block_scan_algorithmE0ELj4294967295EEENS1_25partition_config_selectorILNS1_17partition_subalgoE4EjNS0_10empty_typeEbEEZZNS1_14partition_implILS8_4ELb0ES6_15HIP_vector_typeIjLj2EENS0_17counting_iteratorIjlEEPS9_SG_NS0_5tupleIJPjSI_NS0_16reverse_iteratorISI_EEEEENSH_IJSG_SG_SG_EEES9_SI_JZNS1_25segmented_radix_sort_implINS0_14default_configELb1EPK6__halfPSP_PKlPlN2at6native12_GLOBAL__N_18offset_tEEE10hipError_tPvRmT1_PNSt15iterator_traitsIS13_E10value_typeET2_T3_PNS14_IS19_E10value_typeET4_jRbjT5_S1F_jjP12ihipStream_tbEUljE_ZNSN_ISO_Lb1ESR_SS_SU_SV_SZ_EES10_S11_S12_S13_S17_S18_S19_S1C_S1D_jS1E_jS1F_S1F_jjS1H_bEUljE0_EEES10_S11_S12_S19_S1D_S1F_T6_T7_T9_mT8_S1H_bDpT10_ENKUlT_T0_E_clISt17integral_constantIbLb0EES1V_EEDaS1Q_S1R_EUlS1Q_E_NS1_11comp_targetILNS1_3genE8ELNS1_11target_archE1030ELNS1_3gpuE2ELNS1_3repE0EEENS1_30default_config_static_selectorELNS0_4arch9wavefront6targetE0EEEvS13_,comdat
.Lfunc_end1672:
	.size	_ZN7rocprim17ROCPRIM_400000_NS6detail17trampoline_kernelINS0_13select_configILj256ELj13ELNS0_17block_load_methodE3ELS4_3ELS4_3ELNS0_20block_scan_algorithmE0ELj4294967295EEENS1_25partition_config_selectorILNS1_17partition_subalgoE4EjNS0_10empty_typeEbEEZZNS1_14partition_implILS8_4ELb0ES6_15HIP_vector_typeIjLj2EENS0_17counting_iteratorIjlEEPS9_SG_NS0_5tupleIJPjSI_NS0_16reverse_iteratorISI_EEEEENSH_IJSG_SG_SG_EEES9_SI_JZNS1_25segmented_radix_sort_implINS0_14default_configELb1EPK6__halfPSP_PKlPlN2at6native12_GLOBAL__N_18offset_tEEE10hipError_tPvRmT1_PNSt15iterator_traitsIS13_E10value_typeET2_T3_PNS14_IS19_E10value_typeET4_jRbjT5_S1F_jjP12ihipStream_tbEUljE_ZNSN_ISO_Lb1ESR_SS_SU_SV_SZ_EES10_S11_S12_S13_S17_S18_S19_S1C_S1D_jS1E_jS1F_S1F_jjS1H_bEUljE0_EEES10_S11_S12_S19_S1D_S1F_T6_T7_T9_mT8_S1H_bDpT10_ENKUlT_T0_E_clISt17integral_constantIbLb0EES1V_EEDaS1Q_S1R_EUlS1Q_E_NS1_11comp_targetILNS1_3genE8ELNS1_11target_archE1030ELNS1_3gpuE2ELNS1_3repE0EEENS1_30default_config_static_selectorELNS0_4arch9wavefront6targetE0EEEvS13_, .Lfunc_end1672-_ZN7rocprim17ROCPRIM_400000_NS6detail17trampoline_kernelINS0_13select_configILj256ELj13ELNS0_17block_load_methodE3ELS4_3ELS4_3ELNS0_20block_scan_algorithmE0ELj4294967295EEENS1_25partition_config_selectorILNS1_17partition_subalgoE4EjNS0_10empty_typeEbEEZZNS1_14partition_implILS8_4ELb0ES6_15HIP_vector_typeIjLj2EENS0_17counting_iteratorIjlEEPS9_SG_NS0_5tupleIJPjSI_NS0_16reverse_iteratorISI_EEEEENSH_IJSG_SG_SG_EEES9_SI_JZNS1_25segmented_radix_sort_implINS0_14default_configELb1EPK6__halfPSP_PKlPlN2at6native12_GLOBAL__N_18offset_tEEE10hipError_tPvRmT1_PNSt15iterator_traitsIS13_E10value_typeET2_T3_PNS14_IS19_E10value_typeET4_jRbjT5_S1F_jjP12ihipStream_tbEUljE_ZNSN_ISO_Lb1ESR_SS_SU_SV_SZ_EES10_S11_S12_S13_S17_S18_S19_S1C_S1D_jS1E_jS1F_S1F_jjS1H_bEUljE0_EEES10_S11_S12_S19_S1D_S1F_T6_T7_T9_mT8_S1H_bDpT10_ENKUlT_T0_E_clISt17integral_constantIbLb0EES1V_EEDaS1Q_S1R_EUlS1Q_E_NS1_11comp_targetILNS1_3genE8ELNS1_11target_archE1030ELNS1_3gpuE2ELNS1_3repE0EEENS1_30default_config_static_selectorELNS0_4arch9wavefront6targetE0EEEvS13_
                                        ; -- End function
	.set _ZN7rocprim17ROCPRIM_400000_NS6detail17trampoline_kernelINS0_13select_configILj256ELj13ELNS0_17block_load_methodE3ELS4_3ELS4_3ELNS0_20block_scan_algorithmE0ELj4294967295EEENS1_25partition_config_selectorILNS1_17partition_subalgoE4EjNS0_10empty_typeEbEEZZNS1_14partition_implILS8_4ELb0ES6_15HIP_vector_typeIjLj2EENS0_17counting_iteratorIjlEEPS9_SG_NS0_5tupleIJPjSI_NS0_16reverse_iteratorISI_EEEEENSH_IJSG_SG_SG_EEES9_SI_JZNS1_25segmented_radix_sort_implINS0_14default_configELb1EPK6__halfPSP_PKlPlN2at6native12_GLOBAL__N_18offset_tEEE10hipError_tPvRmT1_PNSt15iterator_traitsIS13_E10value_typeET2_T3_PNS14_IS19_E10value_typeET4_jRbjT5_S1F_jjP12ihipStream_tbEUljE_ZNSN_ISO_Lb1ESR_SS_SU_SV_SZ_EES10_S11_S12_S13_S17_S18_S19_S1C_S1D_jS1E_jS1F_S1F_jjS1H_bEUljE0_EEES10_S11_S12_S19_S1D_S1F_T6_T7_T9_mT8_S1H_bDpT10_ENKUlT_T0_E_clISt17integral_constantIbLb0EES1V_EEDaS1Q_S1R_EUlS1Q_E_NS1_11comp_targetILNS1_3genE8ELNS1_11target_archE1030ELNS1_3gpuE2ELNS1_3repE0EEENS1_30default_config_static_selectorELNS0_4arch9wavefront6targetE0EEEvS13_.num_vgpr, 82
	.set _ZN7rocprim17ROCPRIM_400000_NS6detail17trampoline_kernelINS0_13select_configILj256ELj13ELNS0_17block_load_methodE3ELS4_3ELS4_3ELNS0_20block_scan_algorithmE0ELj4294967295EEENS1_25partition_config_selectorILNS1_17partition_subalgoE4EjNS0_10empty_typeEbEEZZNS1_14partition_implILS8_4ELb0ES6_15HIP_vector_typeIjLj2EENS0_17counting_iteratorIjlEEPS9_SG_NS0_5tupleIJPjSI_NS0_16reverse_iteratorISI_EEEEENSH_IJSG_SG_SG_EEES9_SI_JZNS1_25segmented_radix_sort_implINS0_14default_configELb1EPK6__halfPSP_PKlPlN2at6native12_GLOBAL__N_18offset_tEEE10hipError_tPvRmT1_PNSt15iterator_traitsIS13_E10value_typeET2_T3_PNS14_IS19_E10value_typeET4_jRbjT5_S1F_jjP12ihipStream_tbEUljE_ZNSN_ISO_Lb1ESR_SS_SU_SV_SZ_EES10_S11_S12_S13_S17_S18_S19_S1C_S1D_jS1E_jS1F_S1F_jjS1H_bEUljE0_EEES10_S11_S12_S19_S1D_S1F_T6_T7_T9_mT8_S1H_bDpT10_ENKUlT_T0_E_clISt17integral_constantIbLb0EES1V_EEDaS1Q_S1R_EUlS1Q_E_NS1_11comp_targetILNS1_3genE8ELNS1_11target_archE1030ELNS1_3gpuE2ELNS1_3repE0EEENS1_30default_config_static_selectorELNS0_4arch9wavefront6targetE0EEEvS13_.num_agpr, 0
	.set _ZN7rocprim17ROCPRIM_400000_NS6detail17trampoline_kernelINS0_13select_configILj256ELj13ELNS0_17block_load_methodE3ELS4_3ELS4_3ELNS0_20block_scan_algorithmE0ELj4294967295EEENS1_25partition_config_selectorILNS1_17partition_subalgoE4EjNS0_10empty_typeEbEEZZNS1_14partition_implILS8_4ELb0ES6_15HIP_vector_typeIjLj2EENS0_17counting_iteratorIjlEEPS9_SG_NS0_5tupleIJPjSI_NS0_16reverse_iteratorISI_EEEEENSH_IJSG_SG_SG_EEES9_SI_JZNS1_25segmented_radix_sort_implINS0_14default_configELb1EPK6__halfPSP_PKlPlN2at6native12_GLOBAL__N_18offset_tEEE10hipError_tPvRmT1_PNSt15iterator_traitsIS13_E10value_typeET2_T3_PNS14_IS19_E10value_typeET4_jRbjT5_S1F_jjP12ihipStream_tbEUljE_ZNSN_ISO_Lb1ESR_SS_SU_SV_SZ_EES10_S11_S12_S13_S17_S18_S19_S1C_S1D_jS1E_jS1F_S1F_jjS1H_bEUljE0_EEES10_S11_S12_S19_S1D_S1F_T6_T7_T9_mT8_S1H_bDpT10_ENKUlT_T0_E_clISt17integral_constantIbLb0EES1V_EEDaS1Q_S1R_EUlS1Q_E_NS1_11comp_targetILNS1_3genE8ELNS1_11target_archE1030ELNS1_3gpuE2ELNS1_3repE0EEENS1_30default_config_static_selectorELNS0_4arch9wavefront6targetE0EEEvS13_.numbered_sgpr, 59
	.set _ZN7rocprim17ROCPRIM_400000_NS6detail17trampoline_kernelINS0_13select_configILj256ELj13ELNS0_17block_load_methodE3ELS4_3ELS4_3ELNS0_20block_scan_algorithmE0ELj4294967295EEENS1_25partition_config_selectorILNS1_17partition_subalgoE4EjNS0_10empty_typeEbEEZZNS1_14partition_implILS8_4ELb0ES6_15HIP_vector_typeIjLj2EENS0_17counting_iteratorIjlEEPS9_SG_NS0_5tupleIJPjSI_NS0_16reverse_iteratorISI_EEEEENSH_IJSG_SG_SG_EEES9_SI_JZNS1_25segmented_radix_sort_implINS0_14default_configELb1EPK6__halfPSP_PKlPlN2at6native12_GLOBAL__N_18offset_tEEE10hipError_tPvRmT1_PNSt15iterator_traitsIS13_E10value_typeET2_T3_PNS14_IS19_E10value_typeET4_jRbjT5_S1F_jjP12ihipStream_tbEUljE_ZNSN_ISO_Lb1ESR_SS_SU_SV_SZ_EES10_S11_S12_S13_S17_S18_S19_S1C_S1D_jS1E_jS1F_S1F_jjS1H_bEUljE0_EEES10_S11_S12_S19_S1D_S1F_T6_T7_T9_mT8_S1H_bDpT10_ENKUlT_T0_E_clISt17integral_constantIbLb0EES1V_EEDaS1Q_S1R_EUlS1Q_E_NS1_11comp_targetILNS1_3genE8ELNS1_11target_archE1030ELNS1_3gpuE2ELNS1_3repE0EEENS1_30default_config_static_selectorELNS0_4arch9wavefront6targetE0EEEvS13_.num_named_barrier, 0
	.set _ZN7rocprim17ROCPRIM_400000_NS6detail17trampoline_kernelINS0_13select_configILj256ELj13ELNS0_17block_load_methodE3ELS4_3ELS4_3ELNS0_20block_scan_algorithmE0ELj4294967295EEENS1_25partition_config_selectorILNS1_17partition_subalgoE4EjNS0_10empty_typeEbEEZZNS1_14partition_implILS8_4ELb0ES6_15HIP_vector_typeIjLj2EENS0_17counting_iteratorIjlEEPS9_SG_NS0_5tupleIJPjSI_NS0_16reverse_iteratorISI_EEEEENSH_IJSG_SG_SG_EEES9_SI_JZNS1_25segmented_radix_sort_implINS0_14default_configELb1EPK6__halfPSP_PKlPlN2at6native12_GLOBAL__N_18offset_tEEE10hipError_tPvRmT1_PNSt15iterator_traitsIS13_E10value_typeET2_T3_PNS14_IS19_E10value_typeET4_jRbjT5_S1F_jjP12ihipStream_tbEUljE_ZNSN_ISO_Lb1ESR_SS_SU_SV_SZ_EES10_S11_S12_S13_S17_S18_S19_S1C_S1D_jS1E_jS1F_S1F_jjS1H_bEUljE0_EEES10_S11_S12_S19_S1D_S1F_T6_T7_T9_mT8_S1H_bDpT10_ENKUlT_T0_E_clISt17integral_constantIbLb0EES1V_EEDaS1Q_S1R_EUlS1Q_E_NS1_11comp_targetILNS1_3genE8ELNS1_11target_archE1030ELNS1_3gpuE2ELNS1_3repE0EEENS1_30default_config_static_selectorELNS0_4arch9wavefront6targetE0EEEvS13_.private_seg_size, 0
	.set _ZN7rocprim17ROCPRIM_400000_NS6detail17trampoline_kernelINS0_13select_configILj256ELj13ELNS0_17block_load_methodE3ELS4_3ELS4_3ELNS0_20block_scan_algorithmE0ELj4294967295EEENS1_25partition_config_selectorILNS1_17partition_subalgoE4EjNS0_10empty_typeEbEEZZNS1_14partition_implILS8_4ELb0ES6_15HIP_vector_typeIjLj2EENS0_17counting_iteratorIjlEEPS9_SG_NS0_5tupleIJPjSI_NS0_16reverse_iteratorISI_EEEEENSH_IJSG_SG_SG_EEES9_SI_JZNS1_25segmented_radix_sort_implINS0_14default_configELb1EPK6__halfPSP_PKlPlN2at6native12_GLOBAL__N_18offset_tEEE10hipError_tPvRmT1_PNSt15iterator_traitsIS13_E10value_typeET2_T3_PNS14_IS19_E10value_typeET4_jRbjT5_S1F_jjP12ihipStream_tbEUljE_ZNSN_ISO_Lb1ESR_SS_SU_SV_SZ_EES10_S11_S12_S13_S17_S18_S19_S1C_S1D_jS1E_jS1F_S1F_jjS1H_bEUljE0_EEES10_S11_S12_S19_S1D_S1F_T6_T7_T9_mT8_S1H_bDpT10_ENKUlT_T0_E_clISt17integral_constantIbLb0EES1V_EEDaS1Q_S1R_EUlS1Q_E_NS1_11comp_targetILNS1_3genE8ELNS1_11target_archE1030ELNS1_3gpuE2ELNS1_3repE0EEENS1_30default_config_static_selectorELNS0_4arch9wavefront6targetE0EEEvS13_.uses_vcc, 1
	.set _ZN7rocprim17ROCPRIM_400000_NS6detail17trampoline_kernelINS0_13select_configILj256ELj13ELNS0_17block_load_methodE3ELS4_3ELS4_3ELNS0_20block_scan_algorithmE0ELj4294967295EEENS1_25partition_config_selectorILNS1_17partition_subalgoE4EjNS0_10empty_typeEbEEZZNS1_14partition_implILS8_4ELb0ES6_15HIP_vector_typeIjLj2EENS0_17counting_iteratorIjlEEPS9_SG_NS0_5tupleIJPjSI_NS0_16reverse_iteratorISI_EEEEENSH_IJSG_SG_SG_EEES9_SI_JZNS1_25segmented_radix_sort_implINS0_14default_configELb1EPK6__halfPSP_PKlPlN2at6native12_GLOBAL__N_18offset_tEEE10hipError_tPvRmT1_PNSt15iterator_traitsIS13_E10value_typeET2_T3_PNS14_IS19_E10value_typeET4_jRbjT5_S1F_jjP12ihipStream_tbEUljE_ZNSN_ISO_Lb1ESR_SS_SU_SV_SZ_EES10_S11_S12_S13_S17_S18_S19_S1C_S1D_jS1E_jS1F_S1F_jjS1H_bEUljE0_EEES10_S11_S12_S19_S1D_S1F_T6_T7_T9_mT8_S1H_bDpT10_ENKUlT_T0_E_clISt17integral_constantIbLb0EES1V_EEDaS1Q_S1R_EUlS1Q_E_NS1_11comp_targetILNS1_3genE8ELNS1_11target_archE1030ELNS1_3gpuE2ELNS1_3repE0EEENS1_30default_config_static_selectorELNS0_4arch9wavefront6targetE0EEEvS13_.uses_flat_scratch, 0
	.set _ZN7rocprim17ROCPRIM_400000_NS6detail17trampoline_kernelINS0_13select_configILj256ELj13ELNS0_17block_load_methodE3ELS4_3ELS4_3ELNS0_20block_scan_algorithmE0ELj4294967295EEENS1_25partition_config_selectorILNS1_17partition_subalgoE4EjNS0_10empty_typeEbEEZZNS1_14partition_implILS8_4ELb0ES6_15HIP_vector_typeIjLj2EENS0_17counting_iteratorIjlEEPS9_SG_NS0_5tupleIJPjSI_NS0_16reverse_iteratorISI_EEEEENSH_IJSG_SG_SG_EEES9_SI_JZNS1_25segmented_radix_sort_implINS0_14default_configELb1EPK6__halfPSP_PKlPlN2at6native12_GLOBAL__N_18offset_tEEE10hipError_tPvRmT1_PNSt15iterator_traitsIS13_E10value_typeET2_T3_PNS14_IS19_E10value_typeET4_jRbjT5_S1F_jjP12ihipStream_tbEUljE_ZNSN_ISO_Lb1ESR_SS_SU_SV_SZ_EES10_S11_S12_S13_S17_S18_S19_S1C_S1D_jS1E_jS1F_S1F_jjS1H_bEUljE0_EEES10_S11_S12_S19_S1D_S1F_T6_T7_T9_mT8_S1H_bDpT10_ENKUlT_T0_E_clISt17integral_constantIbLb0EES1V_EEDaS1Q_S1R_EUlS1Q_E_NS1_11comp_targetILNS1_3genE8ELNS1_11target_archE1030ELNS1_3gpuE2ELNS1_3repE0EEENS1_30default_config_static_selectorELNS0_4arch9wavefront6targetE0EEEvS13_.has_dyn_sized_stack, 0
	.set _ZN7rocprim17ROCPRIM_400000_NS6detail17trampoline_kernelINS0_13select_configILj256ELj13ELNS0_17block_load_methodE3ELS4_3ELS4_3ELNS0_20block_scan_algorithmE0ELj4294967295EEENS1_25partition_config_selectorILNS1_17partition_subalgoE4EjNS0_10empty_typeEbEEZZNS1_14partition_implILS8_4ELb0ES6_15HIP_vector_typeIjLj2EENS0_17counting_iteratorIjlEEPS9_SG_NS0_5tupleIJPjSI_NS0_16reverse_iteratorISI_EEEEENSH_IJSG_SG_SG_EEES9_SI_JZNS1_25segmented_radix_sort_implINS0_14default_configELb1EPK6__halfPSP_PKlPlN2at6native12_GLOBAL__N_18offset_tEEE10hipError_tPvRmT1_PNSt15iterator_traitsIS13_E10value_typeET2_T3_PNS14_IS19_E10value_typeET4_jRbjT5_S1F_jjP12ihipStream_tbEUljE_ZNSN_ISO_Lb1ESR_SS_SU_SV_SZ_EES10_S11_S12_S13_S17_S18_S19_S1C_S1D_jS1E_jS1F_S1F_jjS1H_bEUljE0_EEES10_S11_S12_S19_S1D_S1F_T6_T7_T9_mT8_S1H_bDpT10_ENKUlT_T0_E_clISt17integral_constantIbLb0EES1V_EEDaS1Q_S1R_EUlS1Q_E_NS1_11comp_targetILNS1_3genE8ELNS1_11target_archE1030ELNS1_3gpuE2ELNS1_3repE0EEENS1_30default_config_static_selectorELNS0_4arch9wavefront6targetE0EEEvS13_.has_recursion, 0
	.set _ZN7rocprim17ROCPRIM_400000_NS6detail17trampoline_kernelINS0_13select_configILj256ELj13ELNS0_17block_load_methodE3ELS4_3ELS4_3ELNS0_20block_scan_algorithmE0ELj4294967295EEENS1_25partition_config_selectorILNS1_17partition_subalgoE4EjNS0_10empty_typeEbEEZZNS1_14partition_implILS8_4ELb0ES6_15HIP_vector_typeIjLj2EENS0_17counting_iteratorIjlEEPS9_SG_NS0_5tupleIJPjSI_NS0_16reverse_iteratorISI_EEEEENSH_IJSG_SG_SG_EEES9_SI_JZNS1_25segmented_radix_sort_implINS0_14default_configELb1EPK6__halfPSP_PKlPlN2at6native12_GLOBAL__N_18offset_tEEE10hipError_tPvRmT1_PNSt15iterator_traitsIS13_E10value_typeET2_T3_PNS14_IS19_E10value_typeET4_jRbjT5_S1F_jjP12ihipStream_tbEUljE_ZNSN_ISO_Lb1ESR_SS_SU_SV_SZ_EES10_S11_S12_S13_S17_S18_S19_S1C_S1D_jS1E_jS1F_S1F_jjS1H_bEUljE0_EEES10_S11_S12_S19_S1D_S1F_T6_T7_T9_mT8_S1H_bDpT10_ENKUlT_T0_E_clISt17integral_constantIbLb0EES1V_EEDaS1Q_S1R_EUlS1Q_E_NS1_11comp_targetILNS1_3genE8ELNS1_11target_archE1030ELNS1_3gpuE2ELNS1_3repE0EEENS1_30default_config_static_selectorELNS0_4arch9wavefront6targetE0EEEvS13_.has_indirect_call, 0
	.section	.AMDGPU.csdata,"",@progbits
; Kernel info:
; codeLenInByte = 16236
; TotalNumSgprs: 61
; NumVgprs: 82
; ScratchSize: 0
; MemoryBound: 0
; FloatMode: 240
; IeeeMode: 1
; LDSByteSize: 13328 bytes/workgroup (compile time only)
; SGPRBlocks: 0
; VGPRBlocks: 10
; NumSGPRsForWavesPerEU: 61
; NumVGPRsForWavesPerEU: 82
; Occupancy: 10
; WaveLimiterHint : 1
; COMPUTE_PGM_RSRC2:SCRATCH_EN: 0
; COMPUTE_PGM_RSRC2:USER_SGPR: 6
; COMPUTE_PGM_RSRC2:TRAP_HANDLER: 0
; COMPUTE_PGM_RSRC2:TGID_X_EN: 1
; COMPUTE_PGM_RSRC2:TGID_Y_EN: 0
; COMPUTE_PGM_RSRC2:TGID_Z_EN: 0
; COMPUTE_PGM_RSRC2:TIDIG_COMP_CNT: 0
	.section	.text._ZN7rocprim17ROCPRIM_400000_NS6detail17trampoline_kernelINS0_13select_configILj256ELj13ELNS0_17block_load_methodE3ELS4_3ELS4_3ELNS0_20block_scan_algorithmE0ELj4294967295EEENS1_25partition_config_selectorILNS1_17partition_subalgoE4EjNS0_10empty_typeEbEEZZNS1_14partition_implILS8_4ELb0ES6_15HIP_vector_typeIjLj2EENS0_17counting_iteratorIjlEEPS9_SG_NS0_5tupleIJPjSI_NS0_16reverse_iteratorISI_EEEEENSH_IJSG_SG_SG_EEES9_SI_JZNS1_25segmented_radix_sort_implINS0_14default_configELb1EPK6__halfPSP_PKlPlN2at6native12_GLOBAL__N_18offset_tEEE10hipError_tPvRmT1_PNSt15iterator_traitsIS13_E10value_typeET2_T3_PNS14_IS19_E10value_typeET4_jRbjT5_S1F_jjP12ihipStream_tbEUljE_ZNSN_ISO_Lb1ESR_SS_SU_SV_SZ_EES10_S11_S12_S13_S17_S18_S19_S1C_S1D_jS1E_jS1F_S1F_jjS1H_bEUljE0_EEES10_S11_S12_S19_S1D_S1F_T6_T7_T9_mT8_S1H_bDpT10_ENKUlT_T0_E_clISt17integral_constantIbLb1EES1V_EEDaS1Q_S1R_EUlS1Q_E_NS1_11comp_targetILNS1_3genE0ELNS1_11target_archE4294967295ELNS1_3gpuE0ELNS1_3repE0EEENS1_30default_config_static_selectorELNS0_4arch9wavefront6targetE0EEEvS13_,"axG",@progbits,_ZN7rocprim17ROCPRIM_400000_NS6detail17trampoline_kernelINS0_13select_configILj256ELj13ELNS0_17block_load_methodE3ELS4_3ELS4_3ELNS0_20block_scan_algorithmE0ELj4294967295EEENS1_25partition_config_selectorILNS1_17partition_subalgoE4EjNS0_10empty_typeEbEEZZNS1_14partition_implILS8_4ELb0ES6_15HIP_vector_typeIjLj2EENS0_17counting_iteratorIjlEEPS9_SG_NS0_5tupleIJPjSI_NS0_16reverse_iteratorISI_EEEEENSH_IJSG_SG_SG_EEES9_SI_JZNS1_25segmented_radix_sort_implINS0_14default_configELb1EPK6__halfPSP_PKlPlN2at6native12_GLOBAL__N_18offset_tEEE10hipError_tPvRmT1_PNSt15iterator_traitsIS13_E10value_typeET2_T3_PNS14_IS19_E10value_typeET4_jRbjT5_S1F_jjP12ihipStream_tbEUljE_ZNSN_ISO_Lb1ESR_SS_SU_SV_SZ_EES10_S11_S12_S13_S17_S18_S19_S1C_S1D_jS1E_jS1F_S1F_jjS1H_bEUljE0_EEES10_S11_S12_S19_S1D_S1F_T6_T7_T9_mT8_S1H_bDpT10_ENKUlT_T0_E_clISt17integral_constantIbLb1EES1V_EEDaS1Q_S1R_EUlS1Q_E_NS1_11comp_targetILNS1_3genE0ELNS1_11target_archE4294967295ELNS1_3gpuE0ELNS1_3repE0EEENS1_30default_config_static_selectorELNS0_4arch9wavefront6targetE0EEEvS13_,comdat
	.globl	_ZN7rocprim17ROCPRIM_400000_NS6detail17trampoline_kernelINS0_13select_configILj256ELj13ELNS0_17block_load_methodE3ELS4_3ELS4_3ELNS0_20block_scan_algorithmE0ELj4294967295EEENS1_25partition_config_selectorILNS1_17partition_subalgoE4EjNS0_10empty_typeEbEEZZNS1_14partition_implILS8_4ELb0ES6_15HIP_vector_typeIjLj2EENS0_17counting_iteratorIjlEEPS9_SG_NS0_5tupleIJPjSI_NS0_16reverse_iteratorISI_EEEEENSH_IJSG_SG_SG_EEES9_SI_JZNS1_25segmented_radix_sort_implINS0_14default_configELb1EPK6__halfPSP_PKlPlN2at6native12_GLOBAL__N_18offset_tEEE10hipError_tPvRmT1_PNSt15iterator_traitsIS13_E10value_typeET2_T3_PNS14_IS19_E10value_typeET4_jRbjT5_S1F_jjP12ihipStream_tbEUljE_ZNSN_ISO_Lb1ESR_SS_SU_SV_SZ_EES10_S11_S12_S13_S17_S18_S19_S1C_S1D_jS1E_jS1F_S1F_jjS1H_bEUljE0_EEES10_S11_S12_S19_S1D_S1F_T6_T7_T9_mT8_S1H_bDpT10_ENKUlT_T0_E_clISt17integral_constantIbLb1EES1V_EEDaS1Q_S1R_EUlS1Q_E_NS1_11comp_targetILNS1_3genE0ELNS1_11target_archE4294967295ELNS1_3gpuE0ELNS1_3repE0EEENS1_30default_config_static_selectorELNS0_4arch9wavefront6targetE0EEEvS13_ ; -- Begin function _ZN7rocprim17ROCPRIM_400000_NS6detail17trampoline_kernelINS0_13select_configILj256ELj13ELNS0_17block_load_methodE3ELS4_3ELS4_3ELNS0_20block_scan_algorithmE0ELj4294967295EEENS1_25partition_config_selectorILNS1_17partition_subalgoE4EjNS0_10empty_typeEbEEZZNS1_14partition_implILS8_4ELb0ES6_15HIP_vector_typeIjLj2EENS0_17counting_iteratorIjlEEPS9_SG_NS0_5tupleIJPjSI_NS0_16reverse_iteratorISI_EEEEENSH_IJSG_SG_SG_EEES9_SI_JZNS1_25segmented_radix_sort_implINS0_14default_configELb1EPK6__halfPSP_PKlPlN2at6native12_GLOBAL__N_18offset_tEEE10hipError_tPvRmT1_PNSt15iterator_traitsIS13_E10value_typeET2_T3_PNS14_IS19_E10value_typeET4_jRbjT5_S1F_jjP12ihipStream_tbEUljE_ZNSN_ISO_Lb1ESR_SS_SU_SV_SZ_EES10_S11_S12_S13_S17_S18_S19_S1C_S1D_jS1E_jS1F_S1F_jjS1H_bEUljE0_EEES10_S11_S12_S19_S1D_S1F_T6_T7_T9_mT8_S1H_bDpT10_ENKUlT_T0_E_clISt17integral_constantIbLb1EES1V_EEDaS1Q_S1R_EUlS1Q_E_NS1_11comp_targetILNS1_3genE0ELNS1_11target_archE4294967295ELNS1_3gpuE0ELNS1_3repE0EEENS1_30default_config_static_selectorELNS0_4arch9wavefront6targetE0EEEvS13_
	.p2align	8
	.type	_ZN7rocprim17ROCPRIM_400000_NS6detail17trampoline_kernelINS0_13select_configILj256ELj13ELNS0_17block_load_methodE3ELS4_3ELS4_3ELNS0_20block_scan_algorithmE0ELj4294967295EEENS1_25partition_config_selectorILNS1_17partition_subalgoE4EjNS0_10empty_typeEbEEZZNS1_14partition_implILS8_4ELb0ES6_15HIP_vector_typeIjLj2EENS0_17counting_iteratorIjlEEPS9_SG_NS0_5tupleIJPjSI_NS0_16reverse_iteratorISI_EEEEENSH_IJSG_SG_SG_EEES9_SI_JZNS1_25segmented_radix_sort_implINS0_14default_configELb1EPK6__halfPSP_PKlPlN2at6native12_GLOBAL__N_18offset_tEEE10hipError_tPvRmT1_PNSt15iterator_traitsIS13_E10value_typeET2_T3_PNS14_IS19_E10value_typeET4_jRbjT5_S1F_jjP12ihipStream_tbEUljE_ZNSN_ISO_Lb1ESR_SS_SU_SV_SZ_EES10_S11_S12_S13_S17_S18_S19_S1C_S1D_jS1E_jS1F_S1F_jjS1H_bEUljE0_EEES10_S11_S12_S19_S1D_S1F_T6_T7_T9_mT8_S1H_bDpT10_ENKUlT_T0_E_clISt17integral_constantIbLb1EES1V_EEDaS1Q_S1R_EUlS1Q_E_NS1_11comp_targetILNS1_3genE0ELNS1_11target_archE4294967295ELNS1_3gpuE0ELNS1_3repE0EEENS1_30default_config_static_selectorELNS0_4arch9wavefront6targetE0EEEvS13_,@function
_ZN7rocprim17ROCPRIM_400000_NS6detail17trampoline_kernelINS0_13select_configILj256ELj13ELNS0_17block_load_methodE3ELS4_3ELS4_3ELNS0_20block_scan_algorithmE0ELj4294967295EEENS1_25partition_config_selectorILNS1_17partition_subalgoE4EjNS0_10empty_typeEbEEZZNS1_14partition_implILS8_4ELb0ES6_15HIP_vector_typeIjLj2EENS0_17counting_iteratorIjlEEPS9_SG_NS0_5tupleIJPjSI_NS0_16reverse_iteratorISI_EEEEENSH_IJSG_SG_SG_EEES9_SI_JZNS1_25segmented_radix_sort_implINS0_14default_configELb1EPK6__halfPSP_PKlPlN2at6native12_GLOBAL__N_18offset_tEEE10hipError_tPvRmT1_PNSt15iterator_traitsIS13_E10value_typeET2_T3_PNS14_IS19_E10value_typeET4_jRbjT5_S1F_jjP12ihipStream_tbEUljE_ZNSN_ISO_Lb1ESR_SS_SU_SV_SZ_EES10_S11_S12_S13_S17_S18_S19_S1C_S1D_jS1E_jS1F_S1F_jjS1H_bEUljE0_EEES10_S11_S12_S19_S1D_S1F_T6_T7_T9_mT8_S1H_bDpT10_ENKUlT_T0_E_clISt17integral_constantIbLb1EES1V_EEDaS1Q_S1R_EUlS1Q_E_NS1_11comp_targetILNS1_3genE0ELNS1_11target_archE4294967295ELNS1_3gpuE0ELNS1_3repE0EEENS1_30default_config_static_selectorELNS0_4arch9wavefront6targetE0EEEvS13_: ; @_ZN7rocprim17ROCPRIM_400000_NS6detail17trampoline_kernelINS0_13select_configILj256ELj13ELNS0_17block_load_methodE3ELS4_3ELS4_3ELNS0_20block_scan_algorithmE0ELj4294967295EEENS1_25partition_config_selectorILNS1_17partition_subalgoE4EjNS0_10empty_typeEbEEZZNS1_14partition_implILS8_4ELb0ES6_15HIP_vector_typeIjLj2EENS0_17counting_iteratorIjlEEPS9_SG_NS0_5tupleIJPjSI_NS0_16reverse_iteratorISI_EEEEENSH_IJSG_SG_SG_EEES9_SI_JZNS1_25segmented_radix_sort_implINS0_14default_configELb1EPK6__halfPSP_PKlPlN2at6native12_GLOBAL__N_18offset_tEEE10hipError_tPvRmT1_PNSt15iterator_traitsIS13_E10value_typeET2_T3_PNS14_IS19_E10value_typeET4_jRbjT5_S1F_jjP12ihipStream_tbEUljE_ZNSN_ISO_Lb1ESR_SS_SU_SV_SZ_EES10_S11_S12_S13_S17_S18_S19_S1C_S1D_jS1E_jS1F_S1F_jjS1H_bEUljE0_EEES10_S11_S12_S19_S1D_S1F_T6_T7_T9_mT8_S1H_bDpT10_ENKUlT_T0_E_clISt17integral_constantIbLb1EES1V_EEDaS1Q_S1R_EUlS1Q_E_NS1_11comp_targetILNS1_3genE0ELNS1_11target_archE4294967295ELNS1_3gpuE0ELNS1_3repE0EEENS1_30default_config_static_selectorELNS0_4arch9wavefront6targetE0EEEvS13_
; %bb.0:
	.section	.rodata,"a",@progbits
	.p2align	6, 0x0
	.amdhsa_kernel _ZN7rocprim17ROCPRIM_400000_NS6detail17trampoline_kernelINS0_13select_configILj256ELj13ELNS0_17block_load_methodE3ELS4_3ELS4_3ELNS0_20block_scan_algorithmE0ELj4294967295EEENS1_25partition_config_selectorILNS1_17partition_subalgoE4EjNS0_10empty_typeEbEEZZNS1_14partition_implILS8_4ELb0ES6_15HIP_vector_typeIjLj2EENS0_17counting_iteratorIjlEEPS9_SG_NS0_5tupleIJPjSI_NS0_16reverse_iteratorISI_EEEEENSH_IJSG_SG_SG_EEES9_SI_JZNS1_25segmented_radix_sort_implINS0_14default_configELb1EPK6__halfPSP_PKlPlN2at6native12_GLOBAL__N_18offset_tEEE10hipError_tPvRmT1_PNSt15iterator_traitsIS13_E10value_typeET2_T3_PNS14_IS19_E10value_typeET4_jRbjT5_S1F_jjP12ihipStream_tbEUljE_ZNSN_ISO_Lb1ESR_SS_SU_SV_SZ_EES10_S11_S12_S13_S17_S18_S19_S1C_S1D_jS1E_jS1F_S1F_jjS1H_bEUljE0_EEES10_S11_S12_S19_S1D_S1F_T6_T7_T9_mT8_S1H_bDpT10_ENKUlT_T0_E_clISt17integral_constantIbLb1EES1V_EEDaS1Q_S1R_EUlS1Q_E_NS1_11comp_targetILNS1_3genE0ELNS1_11target_archE4294967295ELNS1_3gpuE0ELNS1_3repE0EEENS1_30default_config_static_selectorELNS0_4arch9wavefront6targetE0EEEvS13_
		.amdhsa_group_segment_fixed_size 0
		.amdhsa_private_segment_fixed_size 0
		.amdhsa_kernarg_size 184
		.amdhsa_user_sgpr_count 6
		.amdhsa_user_sgpr_private_segment_buffer 1
		.amdhsa_user_sgpr_dispatch_ptr 0
		.amdhsa_user_sgpr_queue_ptr 0
		.amdhsa_user_sgpr_kernarg_segment_ptr 1
		.amdhsa_user_sgpr_dispatch_id 0
		.amdhsa_user_sgpr_flat_scratch_init 0
		.amdhsa_user_sgpr_private_segment_size 0
		.amdhsa_wavefront_size32 1
		.amdhsa_uses_dynamic_stack 0
		.amdhsa_system_sgpr_private_segment_wavefront_offset 0
		.amdhsa_system_sgpr_workgroup_id_x 1
		.amdhsa_system_sgpr_workgroup_id_y 0
		.amdhsa_system_sgpr_workgroup_id_z 0
		.amdhsa_system_sgpr_workgroup_info 0
		.amdhsa_system_vgpr_workitem_id 0
		.amdhsa_next_free_vgpr 1
		.amdhsa_next_free_sgpr 1
		.amdhsa_reserve_vcc 0
		.amdhsa_reserve_flat_scratch 0
		.amdhsa_float_round_mode_32 0
		.amdhsa_float_round_mode_16_64 0
		.amdhsa_float_denorm_mode_32 3
		.amdhsa_float_denorm_mode_16_64 3
		.amdhsa_dx10_clamp 1
		.amdhsa_ieee_mode 1
		.amdhsa_fp16_overflow 0
		.amdhsa_workgroup_processor_mode 1
		.amdhsa_memory_ordered 1
		.amdhsa_forward_progress 1
		.amdhsa_shared_vgpr_count 0
		.amdhsa_exception_fp_ieee_invalid_op 0
		.amdhsa_exception_fp_denorm_src 0
		.amdhsa_exception_fp_ieee_div_zero 0
		.amdhsa_exception_fp_ieee_overflow 0
		.amdhsa_exception_fp_ieee_underflow 0
		.amdhsa_exception_fp_ieee_inexact 0
		.amdhsa_exception_int_div_zero 0
	.end_amdhsa_kernel
	.section	.text._ZN7rocprim17ROCPRIM_400000_NS6detail17trampoline_kernelINS0_13select_configILj256ELj13ELNS0_17block_load_methodE3ELS4_3ELS4_3ELNS0_20block_scan_algorithmE0ELj4294967295EEENS1_25partition_config_selectorILNS1_17partition_subalgoE4EjNS0_10empty_typeEbEEZZNS1_14partition_implILS8_4ELb0ES6_15HIP_vector_typeIjLj2EENS0_17counting_iteratorIjlEEPS9_SG_NS0_5tupleIJPjSI_NS0_16reverse_iteratorISI_EEEEENSH_IJSG_SG_SG_EEES9_SI_JZNS1_25segmented_radix_sort_implINS0_14default_configELb1EPK6__halfPSP_PKlPlN2at6native12_GLOBAL__N_18offset_tEEE10hipError_tPvRmT1_PNSt15iterator_traitsIS13_E10value_typeET2_T3_PNS14_IS19_E10value_typeET4_jRbjT5_S1F_jjP12ihipStream_tbEUljE_ZNSN_ISO_Lb1ESR_SS_SU_SV_SZ_EES10_S11_S12_S13_S17_S18_S19_S1C_S1D_jS1E_jS1F_S1F_jjS1H_bEUljE0_EEES10_S11_S12_S19_S1D_S1F_T6_T7_T9_mT8_S1H_bDpT10_ENKUlT_T0_E_clISt17integral_constantIbLb1EES1V_EEDaS1Q_S1R_EUlS1Q_E_NS1_11comp_targetILNS1_3genE0ELNS1_11target_archE4294967295ELNS1_3gpuE0ELNS1_3repE0EEENS1_30default_config_static_selectorELNS0_4arch9wavefront6targetE0EEEvS13_,"axG",@progbits,_ZN7rocprim17ROCPRIM_400000_NS6detail17trampoline_kernelINS0_13select_configILj256ELj13ELNS0_17block_load_methodE3ELS4_3ELS4_3ELNS0_20block_scan_algorithmE0ELj4294967295EEENS1_25partition_config_selectorILNS1_17partition_subalgoE4EjNS0_10empty_typeEbEEZZNS1_14partition_implILS8_4ELb0ES6_15HIP_vector_typeIjLj2EENS0_17counting_iteratorIjlEEPS9_SG_NS0_5tupleIJPjSI_NS0_16reverse_iteratorISI_EEEEENSH_IJSG_SG_SG_EEES9_SI_JZNS1_25segmented_radix_sort_implINS0_14default_configELb1EPK6__halfPSP_PKlPlN2at6native12_GLOBAL__N_18offset_tEEE10hipError_tPvRmT1_PNSt15iterator_traitsIS13_E10value_typeET2_T3_PNS14_IS19_E10value_typeET4_jRbjT5_S1F_jjP12ihipStream_tbEUljE_ZNSN_ISO_Lb1ESR_SS_SU_SV_SZ_EES10_S11_S12_S13_S17_S18_S19_S1C_S1D_jS1E_jS1F_S1F_jjS1H_bEUljE0_EEES10_S11_S12_S19_S1D_S1F_T6_T7_T9_mT8_S1H_bDpT10_ENKUlT_T0_E_clISt17integral_constantIbLb1EES1V_EEDaS1Q_S1R_EUlS1Q_E_NS1_11comp_targetILNS1_3genE0ELNS1_11target_archE4294967295ELNS1_3gpuE0ELNS1_3repE0EEENS1_30default_config_static_selectorELNS0_4arch9wavefront6targetE0EEEvS13_,comdat
.Lfunc_end1673:
	.size	_ZN7rocprim17ROCPRIM_400000_NS6detail17trampoline_kernelINS0_13select_configILj256ELj13ELNS0_17block_load_methodE3ELS4_3ELS4_3ELNS0_20block_scan_algorithmE0ELj4294967295EEENS1_25partition_config_selectorILNS1_17partition_subalgoE4EjNS0_10empty_typeEbEEZZNS1_14partition_implILS8_4ELb0ES6_15HIP_vector_typeIjLj2EENS0_17counting_iteratorIjlEEPS9_SG_NS0_5tupleIJPjSI_NS0_16reverse_iteratorISI_EEEEENSH_IJSG_SG_SG_EEES9_SI_JZNS1_25segmented_radix_sort_implINS0_14default_configELb1EPK6__halfPSP_PKlPlN2at6native12_GLOBAL__N_18offset_tEEE10hipError_tPvRmT1_PNSt15iterator_traitsIS13_E10value_typeET2_T3_PNS14_IS19_E10value_typeET4_jRbjT5_S1F_jjP12ihipStream_tbEUljE_ZNSN_ISO_Lb1ESR_SS_SU_SV_SZ_EES10_S11_S12_S13_S17_S18_S19_S1C_S1D_jS1E_jS1F_S1F_jjS1H_bEUljE0_EEES10_S11_S12_S19_S1D_S1F_T6_T7_T9_mT8_S1H_bDpT10_ENKUlT_T0_E_clISt17integral_constantIbLb1EES1V_EEDaS1Q_S1R_EUlS1Q_E_NS1_11comp_targetILNS1_3genE0ELNS1_11target_archE4294967295ELNS1_3gpuE0ELNS1_3repE0EEENS1_30default_config_static_selectorELNS0_4arch9wavefront6targetE0EEEvS13_, .Lfunc_end1673-_ZN7rocprim17ROCPRIM_400000_NS6detail17trampoline_kernelINS0_13select_configILj256ELj13ELNS0_17block_load_methodE3ELS4_3ELS4_3ELNS0_20block_scan_algorithmE0ELj4294967295EEENS1_25partition_config_selectorILNS1_17partition_subalgoE4EjNS0_10empty_typeEbEEZZNS1_14partition_implILS8_4ELb0ES6_15HIP_vector_typeIjLj2EENS0_17counting_iteratorIjlEEPS9_SG_NS0_5tupleIJPjSI_NS0_16reverse_iteratorISI_EEEEENSH_IJSG_SG_SG_EEES9_SI_JZNS1_25segmented_radix_sort_implINS0_14default_configELb1EPK6__halfPSP_PKlPlN2at6native12_GLOBAL__N_18offset_tEEE10hipError_tPvRmT1_PNSt15iterator_traitsIS13_E10value_typeET2_T3_PNS14_IS19_E10value_typeET4_jRbjT5_S1F_jjP12ihipStream_tbEUljE_ZNSN_ISO_Lb1ESR_SS_SU_SV_SZ_EES10_S11_S12_S13_S17_S18_S19_S1C_S1D_jS1E_jS1F_S1F_jjS1H_bEUljE0_EEES10_S11_S12_S19_S1D_S1F_T6_T7_T9_mT8_S1H_bDpT10_ENKUlT_T0_E_clISt17integral_constantIbLb1EES1V_EEDaS1Q_S1R_EUlS1Q_E_NS1_11comp_targetILNS1_3genE0ELNS1_11target_archE4294967295ELNS1_3gpuE0ELNS1_3repE0EEENS1_30default_config_static_selectorELNS0_4arch9wavefront6targetE0EEEvS13_
                                        ; -- End function
	.set _ZN7rocprim17ROCPRIM_400000_NS6detail17trampoline_kernelINS0_13select_configILj256ELj13ELNS0_17block_load_methodE3ELS4_3ELS4_3ELNS0_20block_scan_algorithmE0ELj4294967295EEENS1_25partition_config_selectorILNS1_17partition_subalgoE4EjNS0_10empty_typeEbEEZZNS1_14partition_implILS8_4ELb0ES6_15HIP_vector_typeIjLj2EENS0_17counting_iteratorIjlEEPS9_SG_NS0_5tupleIJPjSI_NS0_16reverse_iteratorISI_EEEEENSH_IJSG_SG_SG_EEES9_SI_JZNS1_25segmented_radix_sort_implINS0_14default_configELb1EPK6__halfPSP_PKlPlN2at6native12_GLOBAL__N_18offset_tEEE10hipError_tPvRmT1_PNSt15iterator_traitsIS13_E10value_typeET2_T3_PNS14_IS19_E10value_typeET4_jRbjT5_S1F_jjP12ihipStream_tbEUljE_ZNSN_ISO_Lb1ESR_SS_SU_SV_SZ_EES10_S11_S12_S13_S17_S18_S19_S1C_S1D_jS1E_jS1F_S1F_jjS1H_bEUljE0_EEES10_S11_S12_S19_S1D_S1F_T6_T7_T9_mT8_S1H_bDpT10_ENKUlT_T0_E_clISt17integral_constantIbLb1EES1V_EEDaS1Q_S1R_EUlS1Q_E_NS1_11comp_targetILNS1_3genE0ELNS1_11target_archE4294967295ELNS1_3gpuE0ELNS1_3repE0EEENS1_30default_config_static_selectorELNS0_4arch9wavefront6targetE0EEEvS13_.num_vgpr, 0
	.set _ZN7rocprim17ROCPRIM_400000_NS6detail17trampoline_kernelINS0_13select_configILj256ELj13ELNS0_17block_load_methodE3ELS4_3ELS4_3ELNS0_20block_scan_algorithmE0ELj4294967295EEENS1_25partition_config_selectorILNS1_17partition_subalgoE4EjNS0_10empty_typeEbEEZZNS1_14partition_implILS8_4ELb0ES6_15HIP_vector_typeIjLj2EENS0_17counting_iteratorIjlEEPS9_SG_NS0_5tupleIJPjSI_NS0_16reverse_iteratorISI_EEEEENSH_IJSG_SG_SG_EEES9_SI_JZNS1_25segmented_radix_sort_implINS0_14default_configELb1EPK6__halfPSP_PKlPlN2at6native12_GLOBAL__N_18offset_tEEE10hipError_tPvRmT1_PNSt15iterator_traitsIS13_E10value_typeET2_T3_PNS14_IS19_E10value_typeET4_jRbjT5_S1F_jjP12ihipStream_tbEUljE_ZNSN_ISO_Lb1ESR_SS_SU_SV_SZ_EES10_S11_S12_S13_S17_S18_S19_S1C_S1D_jS1E_jS1F_S1F_jjS1H_bEUljE0_EEES10_S11_S12_S19_S1D_S1F_T6_T7_T9_mT8_S1H_bDpT10_ENKUlT_T0_E_clISt17integral_constantIbLb1EES1V_EEDaS1Q_S1R_EUlS1Q_E_NS1_11comp_targetILNS1_3genE0ELNS1_11target_archE4294967295ELNS1_3gpuE0ELNS1_3repE0EEENS1_30default_config_static_selectorELNS0_4arch9wavefront6targetE0EEEvS13_.num_agpr, 0
	.set _ZN7rocprim17ROCPRIM_400000_NS6detail17trampoline_kernelINS0_13select_configILj256ELj13ELNS0_17block_load_methodE3ELS4_3ELS4_3ELNS0_20block_scan_algorithmE0ELj4294967295EEENS1_25partition_config_selectorILNS1_17partition_subalgoE4EjNS0_10empty_typeEbEEZZNS1_14partition_implILS8_4ELb0ES6_15HIP_vector_typeIjLj2EENS0_17counting_iteratorIjlEEPS9_SG_NS0_5tupleIJPjSI_NS0_16reverse_iteratorISI_EEEEENSH_IJSG_SG_SG_EEES9_SI_JZNS1_25segmented_radix_sort_implINS0_14default_configELb1EPK6__halfPSP_PKlPlN2at6native12_GLOBAL__N_18offset_tEEE10hipError_tPvRmT1_PNSt15iterator_traitsIS13_E10value_typeET2_T3_PNS14_IS19_E10value_typeET4_jRbjT5_S1F_jjP12ihipStream_tbEUljE_ZNSN_ISO_Lb1ESR_SS_SU_SV_SZ_EES10_S11_S12_S13_S17_S18_S19_S1C_S1D_jS1E_jS1F_S1F_jjS1H_bEUljE0_EEES10_S11_S12_S19_S1D_S1F_T6_T7_T9_mT8_S1H_bDpT10_ENKUlT_T0_E_clISt17integral_constantIbLb1EES1V_EEDaS1Q_S1R_EUlS1Q_E_NS1_11comp_targetILNS1_3genE0ELNS1_11target_archE4294967295ELNS1_3gpuE0ELNS1_3repE0EEENS1_30default_config_static_selectorELNS0_4arch9wavefront6targetE0EEEvS13_.numbered_sgpr, 0
	.set _ZN7rocprim17ROCPRIM_400000_NS6detail17trampoline_kernelINS0_13select_configILj256ELj13ELNS0_17block_load_methodE3ELS4_3ELS4_3ELNS0_20block_scan_algorithmE0ELj4294967295EEENS1_25partition_config_selectorILNS1_17partition_subalgoE4EjNS0_10empty_typeEbEEZZNS1_14partition_implILS8_4ELb0ES6_15HIP_vector_typeIjLj2EENS0_17counting_iteratorIjlEEPS9_SG_NS0_5tupleIJPjSI_NS0_16reverse_iteratorISI_EEEEENSH_IJSG_SG_SG_EEES9_SI_JZNS1_25segmented_radix_sort_implINS0_14default_configELb1EPK6__halfPSP_PKlPlN2at6native12_GLOBAL__N_18offset_tEEE10hipError_tPvRmT1_PNSt15iterator_traitsIS13_E10value_typeET2_T3_PNS14_IS19_E10value_typeET4_jRbjT5_S1F_jjP12ihipStream_tbEUljE_ZNSN_ISO_Lb1ESR_SS_SU_SV_SZ_EES10_S11_S12_S13_S17_S18_S19_S1C_S1D_jS1E_jS1F_S1F_jjS1H_bEUljE0_EEES10_S11_S12_S19_S1D_S1F_T6_T7_T9_mT8_S1H_bDpT10_ENKUlT_T0_E_clISt17integral_constantIbLb1EES1V_EEDaS1Q_S1R_EUlS1Q_E_NS1_11comp_targetILNS1_3genE0ELNS1_11target_archE4294967295ELNS1_3gpuE0ELNS1_3repE0EEENS1_30default_config_static_selectorELNS0_4arch9wavefront6targetE0EEEvS13_.num_named_barrier, 0
	.set _ZN7rocprim17ROCPRIM_400000_NS6detail17trampoline_kernelINS0_13select_configILj256ELj13ELNS0_17block_load_methodE3ELS4_3ELS4_3ELNS0_20block_scan_algorithmE0ELj4294967295EEENS1_25partition_config_selectorILNS1_17partition_subalgoE4EjNS0_10empty_typeEbEEZZNS1_14partition_implILS8_4ELb0ES6_15HIP_vector_typeIjLj2EENS0_17counting_iteratorIjlEEPS9_SG_NS0_5tupleIJPjSI_NS0_16reverse_iteratorISI_EEEEENSH_IJSG_SG_SG_EEES9_SI_JZNS1_25segmented_radix_sort_implINS0_14default_configELb1EPK6__halfPSP_PKlPlN2at6native12_GLOBAL__N_18offset_tEEE10hipError_tPvRmT1_PNSt15iterator_traitsIS13_E10value_typeET2_T3_PNS14_IS19_E10value_typeET4_jRbjT5_S1F_jjP12ihipStream_tbEUljE_ZNSN_ISO_Lb1ESR_SS_SU_SV_SZ_EES10_S11_S12_S13_S17_S18_S19_S1C_S1D_jS1E_jS1F_S1F_jjS1H_bEUljE0_EEES10_S11_S12_S19_S1D_S1F_T6_T7_T9_mT8_S1H_bDpT10_ENKUlT_T0_E_clISt17integral_constantIbLb1EES1V_EEDaS1Q_S1R_EUlS1Q_E_NS1_11comp_targetILNS1_3genE0ELNS1_11target_archE4294967295ELNS1_3gpuE0ELNS1_3repE0EEENS1_30default_config_static_selectorELNS0_4arch9wavefront6targetE0EEEvS13_.private_seg_size, 0
	.set _ZN7rocprim17ROCPRIM_400000_NS6detail17trampoline_kernelINS0_13select_configILj256ELj13ELNS0_17block_load_methodE3ELS4_3ELS4_3ELNS0_20block_scan_algorithmE0ELj4294967295EEENS1_25partition_config_selectorILNS1_17partition_subalgoE4EjNS0_10empty_typeEbEEZZNS1_14partition_implILS8_4ELb0ES6_15HIP_vector_typeIjLj2EENS0_17counting_iteratorIjlEEPS9_SG_NS0_5tupleIJPjSI_NS0_16reverse_iteratorISI_EEEEENSH_IJSG_SG_SG_EEES9_SI_JZNS1_25segmented_radix_sort_implINS0_14default_configELb1EPK6__halfPSP_PKlPlN2at6native12_GLOBAL__N_18offset_tEEE10hipError_tPvRmT1_PNSt15iterator_traitsIS13_E10value_typeET2_T3_PNS14_IS19_E10value_typeET4_jRbjT5_S1F_jjP12ihipStream_tbEUljE_ZNSN_ISO_Lb1ESR_SS_SU_SV_SZ_EES10_S11_S12_S13_S17_S18_S19_S1C_S1D_jS1E_jS1F_S1F_jjS1H_bEUljE0_EEES10_S11_S12_S19_S1D_S1F_T6_T7_T9_mT8_S1H_bDpT10_ENKUlT_T0_E_clISt17integral_constantIbLb1EES1V_EEDaS1Q_S1R_EUlS1Q_E_NS1_11comp_targetILNS1_3genE0ELNS1_11target_archE4294967295ELNS1_3gpuE0ELNS1_3repE0EEENS1_30default_config_static_selectorELNS0_4arch9wavefront6targetE0EEEvS13_.uses_vcc, 0
	.set _ZN7rocprim17ROCPRIM_400000_NS6detail17trampoline_kernelINS0_13select_configILj256ELj13ELNS0_17block_load_methodE3ELS4_3ELS4_3ELNS0_20block_scan_algorithmE0ELj4294967295EEENS1_25partition_config_selectorILNS1_17partition_subalgoE4EjNS0_10empty_typeEbEEZZNS1_14partition_implILS8_4ELb0ES6_15HIP_vector_typeIjLj2EENS0_17counting_iteratorIjlEEPS9_SG_NS0_5tupleIJPjSI_NS0_16reverse_iteratorISI_EEEEENSH_IJSG_SG_SG_EEES9_SI_JZNS1_25segmented_radix_sort_implINS0_14default_configELb1EPK6__halfPSP_PKlPlN2at6native12_GLOBAL__N_18offset_tEEE10hipError_tPvRmT1_PNSt15iterator_traitsIS13_E10value_typeET2_T3_PNS14_IS19_E10value_typeET4_jRbjT5_S1F_jjP12ihipStream_tbEUljE_ZNSN_ISO_Lb1ESR_SS_SU_SV_SZ_EES10_S11_S12_S13_S17_S18_S19_S1C_S1D_jS1E_jS1F_S1F_jjS1H_bEUljE0_EEES10_S11_S12_S19_S1D_S1F_T6_T7_T9_mT8_S1H_bDpT10_ENKUlT_T0_E_clISt17integral_constantIbLb1EES1V_EEDaS1Q_S1R_EUlS1Q_E_NS1_11comp_targetILNS1_3genE0ELNS1_11target_archE4294967295ELNS1_3gpuE0ELNS1_3repE0EEENS1_30default_config_static_selectorELNS0_4arch9wavefront6targetE0EEEvS13_.uses_flat_scratch, 0
	.set _ZN7rocprim17ROCPRIM_400000_NS6detail17trampoline_kernelINS0_13select_configILj256ELj13ELNS0_17block_load_methodE3ELS4_3ELS4_3ELNS0_20block_scan_algorithmE0ELj4294967295EEENS1_25partition_config_selectorILNS1_17partition_subalgoE4EjNS0_10empty_typeEbEEZZNS1_14partition_implILS8_4ELb0ES6_15HIP_vector_typeIjLj2EENS0_17counting_iteratorIjlEEPS9_SG_NS0_5tupleIJPjSI_NS0_16reverse_iteratorISI_EEEEENSH_IJSG_SG_SG_EEES9_SI_JZNS1_25segmented_radix_sort_implINS0_14default_configELb1EPK6__halfPSP_PKlPlN2at6native12_GLOBAL__N_18offset_tEEE10hipError_tPvRmT1_PNSt15iterator_traitsIS13_E10value_typeET2_T3_PNS14_IS19_E10value_typeET4_jRbjT5_S1F_jjP12ihipStream_tbEUljE_ZNSN_ISO_Lb1ESR_SS_SU_SV_SZ_EES10_S11_S12_S13_S17_S18_S19_S1C_S1D_jS1E_jS1F_S1F_jjS1H_bEUljE0_EEES10_S11_S12_S19_S1D_S1F_T6_T7_T9_mT8_S1H_bDpT10_ENKUlT_T0_E_clISt17integral_constantIbLb1EES1V_EEDaS1Q_S1R_EUlS1Q_E_NS1_11comp_targetILNS1_3genE0ELNS1_11target_archE4294967295ELNS1_3gpuE0ELNS1_3repE0EEENS1_30default_config_static_selectorELNS0_4arch9wavefront6targetE0EEEvS13_.has_dyn_sized_stack, 0
	.set _ZN7rocprim17ROCPRIM_400000_NS6detail17trampoline_kernelINS0_13select_configILj256ELj13ELNS0_17block_load_methodE3ELS4_3ELS4_3ELNS0_20block_scan_algorithmE0ELj4294967295EEENS1_25partition_config_selectorILNS1_17partition_subalgoE4EjNS0_10empty_typeEbEEZZNS1_14partition_implILS8_4ELb0ES6_15HIP_vector_typeIjLj2EENS0_17counting_iteratorIjlEEPS9_SG_NS0_5tupleIJPjSI_NS0_16reverse_iteratorISI_EEEEENSH_IJSG_SG_SG_EEES9_SI_JZNS1_25segmented_radix_sort_implINS0_14default_configELb1EPK6__halfPSP_PKlPlN2at6native12_GLOBAL__N_18offset_tEEE10hipError_tPvRmT1_PNSt15iterator_traitsIS13_E10value_typeET2_T3_PNS14_IS19_E10value_typeET4_jRbjT5_S1F_jjP12ihipStream_tbEUljE_ZNSN_ISO_Lb1ESR_SS_SU_SV_SZ_EES10_S11_S12_S13_S17_S18_S19_S1C_S1D_jS1E_jS1F_S1F_jjS1H_bEUljE0_EEES10_S11_S12_S19_S1D_S1F_T6_T7_T9_mT8_S1H_bDpT10_ENKUlT_T0_E_clISt17integral_constantIbLb1EES1V_EEDaS1Q_S1R_EUlS1Q_E_NS1_11comp_targetILNS1_3genE0ELNS1_11target_archE4294967295ELNS1_3gpuE0ELNS1_3repE0EEENS1_30default_config_static_selectorELNS0_4arch9wavefront6targetE0EEEvS13_.has_recursion, 0
	.set _ZN7rocprim17ROCPRIM_400000_NS6detail17trampoline_kernelINS0_13select_configILj256ELj13ELNS0_17block_load_methodE3ELS4_3ELS4_3ELNS0_20block_scan_algorithmE0ELj4294967295EEENS1_25partition_config_selectorILNS1_17partition_subalgoE4EjNS0_10empty_typeEbEEZZNS1_14partition_implILS8_4ELb0ES6_15HIP_vector_typeIjLj2EENS0_17counting_iteratorIjlEEPS9_SG_NS0_5tupleIJPjSI_NS0_16reverse_iteratorISI_EEEEENSH_IJSG_SG_SG_EEES9_SI_JZNS1_25segmented_radix_sort_implINS0_14default_configELb1EPK6__halfPSP_PKlPlN2at6native12_GLOBAL__N_18offset_tEEE10hipError_tPvRmT1_PNSt15iterator_traitsIS13_E10value_typeET2_T3_PNS14_IS19_E10value_typeET4_jRbjT5_S1F_jjP12ihipStream_tbEUljE_ZNSN_ISO_Lb1ESR_SS_SU_SV_SZ_EES10_S11_S12_S13_S17_S18_S19_S1C_S1D_jS1E_jS1F_S1F_jjS1H_bEUljE0_EEES10_S11_S12_S19_S1D_S1F_T6_T7_T9_mT8_S1H_bDpT10_ENKUlT_T0_E_clISt17integral_constantIbLb1EES1V_EEDaS1Q_S1R_EUlS1Q_E_NS1_11comp_targetILNS1_3genE0ELNS1_11target_archE4294967295ELNS1_3gpuE0ELNS1_3repE0EEENS1_30default_config_static_selectorELNS0_4arch9wavefront6targetE0EEEvS13_.has_indirect_call, 0
	.section	.AMDGPU.csdata,"",@progbits
; Kernel info:
; codeLenInByte = 0
; TotalNumSgprs: 0
; NumVgprs: 0
; ScratchSize: 0
; MemoryBound: 0
; FloatMode: 240
; IeeeMode: 1
; LDSByteSize: 0 bytes/workgroup (compile time only)
; SGPRBlocks: 0
; VGPRBlocks: 0
; NumSGPRsForWavesPerEU: 1
; NumVGPRsForWavesPerEU: 1
; Occupancy: 16
; WaveLimiterHint : 0
; COMPUTE_PGM_RSRC2:SCRATCH_EN: 0
; COMPUTE_PGM_RSRC2:USER_SGPR: 6
; COMPUTE_PGM_RSRC2:TRAP_HANDLER: 0
; COMPUTE_PGM_RSRC2:TGID_X_EN: 1
; COMPUTE_PGM_RSRC2:TGID_Y_EN: 0
; COMPUTE_PGM_RSRC2:TGID_Z_EN: 0
; COMPUTE_PGM_RSRC2:TIDIG_COMP_CNT: 0
	.section	.text._ZN7rocprim17ROCPRIM_400000_NS6detail17trampoline_kernelINS0_13select_configILj256ELj13ELNS0_17block_load_methodE3ELS4_3ELS4_3ELNS0_20block_scan_algorithmE0ELj4294967295EEENS1_25partition_config_selectorILNS1_17partition_subalgoE4EjNS0_10empty_typeEbEEZZNS1_14partition_implILS8_4ELb0ES6_15HIP_vector_typeIjLj2EENS0_17counting_iteratorIjlEEPS9_SG_NS0_5tupleIJPjSI_NS0_16reverse_iteratorISI_EEEEENSH_IJSG_SG_SG_EEES9_SI_JZNS1_25segmented_radix_sort_implINS0_14default_configELb1EPK6__halfPSP_PKlPlN2at6native12_GLOBAL__N_18offset_tEEE10hipError_tPvRmT1_PNSt15iterator_traitsIS13_E10value_typeET2_T3_PNS14_IS19_E10value_typeET4_jRbjT5_S1F_jjP12ihipStream_tbEUljE_ZNSN_ISO_Lb1ESR_SS_SU_SV_SZ_EES10_S11_S12_S13_S17_S18_S19_S1C_S1D_jS1E_jS1F_S1F_jjS1H_bEUljE0_EEES10_S11_S12_S19_S1D_S1F_T6_T7_T9_mT8_S1H_bDpT10_ENKUlT_T0_E_clISt17integral_constantIbLb1EES1V_EEDaS1Q_S1R_EUlS1Q_E_NS1_11comp_targetILNS1_3genE5ELNS1_11target_archE942ELNS1_3gpuE9ELNS1_3repE0EEENS1_30default_config_static_selectorELNS0_4arch9wavefront6targetE0EEEvS13_,"axG",@progbits,_ZN7rocprim17ROCPRIM_400000_NS6detail17trampoline_kernelINS0_13select_configILj256ELj13ELNS0_17block_load_methodE3ELS4_3ELS4_3ELNS0_20block_scan_algorithmE0ELj4294967295EEENS1_25partition_config_selectorILNS1_17partition_subalgoE4EjNS0_10empty_typeEbEEZZNS1_14partition_implILS8_4ELb0ES6_15HIP_vector_typeIjLj2EENS0_17counting_iteratorIjlEEPS9_SG_NS0_5tupleIJPjSI_NS0_16reverse_iteratorISI_EEEEENSH_IJSG_SG_SG_EEES9_SI_JZNS1_25segmented_radix_sort_implINS0_14default_configELb1EPK6__halfPSP_PKlPlN2at6native12_GLOBAL__N_18offset_tEEE10hipError_tPvRmT1_PNSt15iterator_traitsIS13_E10value_typeET2_T3_PNS14_IS19_E10value_typeET4_jRbjT5_S1F_jjP12ihipStream_tbEUljE_ZNSN_ISO_Lb1ESR_SS_SU_SV_SZ_EES10_S11_S12_S13_S17_S18_S19_S1C_S1D_jS1E_jS1F_S1F_jjS1H_bEUljE0_EEES10_S11_S12_S19_S1D_S1F_T6_T7_T9_mT8_S1H_bDpT10_ENKUlT_T0_E_clISt17integral_constantIbLb1EES1V_EEDaS1Q_S1R_EUlS1Q_E_NS1_11comp_targetILNS1_3genE5ELNS1_11target_archE942ELNS1_3gpuE9ELNS1_3repE0EEENS1_30default_config_static_selectorELNS0_4arch9wavefront6targetE0EEEvS13_,comdat
	.globl	_ZN7rocprim17ROCPRIM_400000_NS6detail17trampoline_kernelINS0_13select_configILj256ELj13ELNS0_17block_load_methodE3ELS4_3ELS4_3ELNS0_20block_scan_algorithmE0ELj4294967295EEENS1_25partition_config_selectorILNS1_17partition_subalgoE4EjNS0_10empty_typeEbEEZZNS1_14partition_implILS8_4ELb0ES6_15HIP_vector_typeIjLj2EENS0_17counting_iteratorIjlEEPS9_SG_NS0_5tupleIJPjSI_NS0_16reverse_iteratorISI_EEEEENSH_IJSG_SG_SG_EEES9_SI_JZNS1_25segmented_radix_sort_implINS0_14default_configELb1EPK6__halfPSP_PKlPlN2at6native12_GLOBAL__N_18offset_tEEE10hipError_tPvRmT1_PNSt15iterator_traitsIS13_E10value_typeET2_T3_PNS14_IS19_E10value_typeET4_jRbjT5_S1F_jjP12ihipStream_tbEUljE_ZNSN_ISO_Lb1ESR_SS_SU_SV_SZ_EES10_S11_S12_S13_S17_S18_S19_S1C_S1D_jS1E_jS1F_S1F_jjS1H_bEUljE0_EEES10_S11_S12_S19_S1D_S1F_T6_T7_T9_mT8_S1H_bDpT10_ENKUlT_T0_E_clISt17integral_constantIbLb1EES1V_EEDaS1Q_S1R_EUlS1Q_E_NS1_11comp_targetILNS1_3genE5ELNS1_11target_archE942ELNS1_3gpuE9ELNS1_3repE0EEENS1_30default_config_static_selectorELNS0_4arch9wavefront6targetE0EEEvS13_ ; -- Begin function _ZN7rocprim17ROCPRIM_400000_NS6detail17trampoline_kernelINS0_13select_configILj256ELj13ELNS0_17block_load_methodE3ELS4_3ELS4_3ELNS0_20block_scan_algorithmE0ELj4294967295EEENS1_25partition_config_selectorILNS1_17partition_subalgoE4EjNS0_10empty_typeEbEEZZNS1_14partition_implILS8_4ELb0ES6_15HIP_vector_typeIjLj2EENS0_17counting_iteratorIjlEEPS9_SG_NS0_5tupleIJPjSI_NS0_16reverse_iteratorISI_EEEEENSH_IJSG_SG_SG_EEES9_SI_JZNS1_25segmented_radix_sort_implINS0_14default_configELb1EPK6__halfPSP_PKlPlN2at6native12_GLOBAL__N_18offset_tEEE10hipError_tPvRmT1_PNSt15iterator_traitsIS13_E10value_typeET2_T3_PNS14_IS19_E10value_typeET4_jRbjT5_S1F_jjP12ihipStream_tbEUljE_ZNSN_ISO_Lb1ESR_SS_SU_SV_SZ_EES10_S11_S12_S13_S17_S18_S19_S1C_S1D_jS1E_jS1F_S1F_jjS1H_bEUljE0_EEES10_S11_S12_S19_S1D_S1F_T6_T7_T9_mT8_S1H_bDpT10_ENKUlT_T0_E_clISt17integral_constantIbLb1EES1V_EEDaS1Q_S1R_EUlS1Q_E_NS1_11comp_targetILNS1_3genE5ELNS1_11target_archE942ELNS1_3gpuE9ELNS1_3repE0EEENS1_30default_config_static_selectorELNS0_4arch9wavefront6targetE0EEEvS13_
	.p2align	8
	.type	_ZN7rocprim17ROCPRIM_400000_NS6detail17trampoline_kernelINS0_13select_configILj256ELj13ELNS0_17block_load_methodE3ELS4_3ELS4_3ELNS0_20block_scan_algorithmE0ELj4294967295EEENS1_25partition_config_selectorILNS1_17partition_subalgoE4EjNS0_10empty_typeEbEEZZNS1_14partition_implILS8_4ELb0ES6_15HIP_vector_typeIjLj2EENS0_17counting_iteratorIjlEEPS9_SG_NS0_5tupleIJPjSI_NS0_16reverse_iteratorISI_EEEEENSH_IJSG_SG_SG_EEES9_SI_JZNS1_25segmented_radix_sort_implINS0_14default_configELb1EPK6__halfPSP_PKlPlN2at6native12_GLOBAL__N_18offset_tEEE10hipError_tPvRmT1_PNSt15iterator_traitsIS13_E10value_typeET2_T3_PNS14_IS19_E10value_typeET4_jRbjT5_S1F_jjP12ihipStream_tbEUljE_ZNSN_ISO_Lb1ESR_SS_SU_SV_SZ_EES10_S11_S12_S13_S17_S18_S19_S1C_S1D_jS1E_jS1F_S1F_jjS1H_bEUljE0_EEES10_S11_S12_S19_S1D_S1F_T6_T7_T9_mT8_S1H_bDpT10_ENKUlT_T0_E_clISt17integral_constantIbLb1EES1V_EEDaS1Q_S1R_EUlS1Q_E_NS1_11comp_targetILNS1_3genE5ELNS1_11target_archE942ELNS1_3gpuE9ELNS1_3repE0EEENS1_30default_config_static_selectorELNS0_4arch9wavefront6targetE0EEEvS13_,@function
_ZN7rocprim17ROCPRIM_400000_NS6detail17trampoline_kernelINS0_13select_configILj256ELj13ELNS0_17block_load_methodE3ELS4_3ELS4_3ELNS0_20block_scan_algorithmE0ELj4294967295EEENS1_25partition_config_selectorILNS1_17partition_subalgoE4EjNS0_10empty_typeEbEEZZNS1_14partition_implILS8_4ELb0ES6_15HIP_vector_typeIjLj2EENS0_17counting_iteratorIjlEEPS9_SG_NS0_5tupleIJPjSI_NS0_16reverse_iteratorISI_EEEEENSH_IJSG_SG_SG_EEES9_SI_JZNS1_25segmented_radix_sort_implINS0_14default_configELb1EPK6__halfPSP_PKlPlN2at6native12_GLOBAL__N_18offset_tEEE10hipError_tPvRmT1_PNSt15iterator_traitsIS13_E10value_typeET2_T3_PNS14_IS19_E10value_typeET4_jRbjT5_S1F_jjP12ihipStream_tbEUljE_ZNSN_ISO_Lb1ESR_SS_SU_SV_SZ_EES10_S11_S12_S13_S17_S18_S19_S1C_S1D_jS1E_jS1F_S1F_jjS1H_bEUljE0_EEES10_S11_S12_S19_S1D_S1F_T6_T7_T9_mT8_S1H_bDpT10_ENKUlT_T0_E_clISt17integral_constantIbLb1EES1V_EEDaS1Q_S1R_EUlS1Q_E_NS1_11comp_targetILNS1_3genE5ELNS1_11target_archE942ELNS1_3gpuE9ELNS1_3repE0EEENS1_30default_config_static_selectorELNS0_4arch9wavefront6targetE0EEEvS13_: ; @_ZN7rocprim17ROCPRIM_400000_NS6detail17trampoline_kernelINS0_13select_configILj256ELj13ELNS0_17block_load_methodE3ELS4_3ELS4_3ELNS0_20block_scan_algorithmE0ELj4294967295EEENS1_25partition_config_selectorILNS1_17partition_subalgoE4EjNS0_10empty_typeEbEEZZNS1_14partition_implILS8_4ELb0ES6_15HIP_vector_typeIjLj2EENS0_17counting_iteratorIjlEEPS9_SG_NS0_5tupleIJPjSI_NS0_16reverse_iteratorISI_EEEEENSH_IJSG_SG_SG_EEES9_SI_JZNS1_25segmented_radix_sort_implINS0_14default_configELb1EPK6__halfPSP_PKlPlN2at6native12_GLOBAL__N_18offset_tEEE10hipError_tPvRmT1_PNSt15iterator_traitsIS13_E10value_typeET2_T3_PNS14_IS19_E10value_typeET4_jRbjT5_S1F_jjP12ihipStream_tbEUljE_ZNSN_ISO_Lb1ESR_SS_SU_SV_SZ_EES10_S11_S12_S13_S17_S18_S19_S1C_S1D_jS1E_jS1F_S1F_jjS1H_bEUljE0_EEES10_S11_S12_S19_S1D_S1F_T6_T7_T9_mT8_S1H_bDpT10_ENKUlT_T0_E_clISt17integral_constantIbLb1EES1V_EEDaS1Q_S1R_EUlS1Q_E_NS1_11comp_targetILNS1_3genE5ELNS1_11target_archE942ELNS1_3gpuE9ELNS1_3repE0EEENS1_30default_config_static_selectorELNS0_4arch9wavefront6targetE0EEEvS13_
; %bb.0:
	.section	.rodata,"a",@progbits
	.p2align	6, 0x0
	.amdhsa_kernel _ZN7rocprim17ROCPRIM_400000_NS6detail17trampoline_kernelINS0_13select_configILj256ELj13ELNS0_17block_load_methodE3ELS4_3ELS4_3ELNS0_20block_scan_algorithmE0ELj4294967295EEENS1_25partition_config_selectorILNS1_17partition_subalgoE4EjNS0_10empty_typeEbEEZZNS1_14partition_implILS8_4ELb0ES6_15HIP_vector_typeIjLj2EENS0_17counting_iteratorIjlEEPS9_SG_NS0_5tupleIJPjSI_NS0_16reverse_iteratorISI_EEEEENSH_IJSG_SG_SG_EEES9_SI_JZNS1_25segmented_radix_sort_implINS0_14default_configELb1EPK6__halfPSP_PKlPlN2at6native12_GLOBAL__N_18offset_tEEE10hipError_tPvRmT1_PNSt15iterator_traitsIS13_E10value_typeET2_T3_PNS14_IS19_E10value_typeET4_jRbjT5_S1F_jjP12ihipStream_tbEUljE_ZNSN_ISO_Lb1ESR_SS_SU_SV_SZ_EES10_S11_S12_S13_S17_S18_S19_S1C_S1D_jS1E_jS1F_S1F_jjS1H_bEUljE0_EEES10_S11_S12_S19_S1D_S1F_T6_T7_T9_mT8_S1H_bDpT10_ENKUlT_T0_E_clISt17integral_constantIbLb1EES1V_EEDaS1Q_S1R_EUlS1Q_E_NS1_11comp_targetILNS1_3genE5ELNS1_11target_archE942ELNS1_3gpuE9ELNS1_3repE0EEENS1_30default_config_static_selectorELNS0_4arch9wavefront6targetE0EEEvS13_
		.amdhsa_group_segment_fixed_size 0
		.amdhsa_private_segment_fixed_size 0
		.amdhsa_kernarg_size 184
		.amdhsa_user_sgpr_count 6
		.amdhsa_user_sgpr_private_segment_buffer 1
		.amdhsa_user_sgpr_dispatch_ptr 0
		.amdhsa_user_sgpr_queue_ptr 0
		.amdhsa_user_sgpr_kernarg_segment_ptr 1
		.amdhsa_user_sgpr_dispatch_id 0
		.amdhsa_user_sgpr_flat_scratch_init 0
		.amdhsa_user_sgpr_private_segment_size 0
		.amdhsa_wavefront_size32 1
		.amdhsa_uses_dynamic_stack 0
		.amdhsa_system_sgpr_private_segment_wavefront_offset 0
		.amdhsa_system_sgpr_workgroup_id_x 1
		.amdhsa_system_sgpr_workgroup_id_y 0
		.amdhsa_system_sgpr_workgroup_id_z 0
		.amdhsa_system_sgpr_workgroup_info 0
		.amdhsa_system_vgpr_workitem_id 0
		.amdhsa_next_free_vgpr 1
		.amdhsa_next_free_sgpr 1
		.amdhsa_reserve_vcc 0
		.amdhsa_reserve_flat_scratch 0
		.amdhsa_float_round_mode_32 0
		.amdhsa_float_round_mode_16_64 0
		.amdhsa_float_denorm_mode_32 3
		.amdhsa_float_denorm_mode_16_64 3
		.amdhsa_dx10_clamp 1
		.amdhsa_ieee_mode 1
		.amdhsa_fp16_overflow 0
		.amdhsa_workgroup_processor_mode 1
		.amdhsa_memory_ordered 1
		.amdhsa_forward_progress 1
		.amdhsa_shared_vgpr_count 0
		.amdhsa_exception_fp_ieee_invalid_op 0
		.amdhsa_exception_fp_denorm_src 0
		.amdhsa_exception_fp_ieee_div_zero 0
		.amdhsa_exception_fp_ieee_overflow 0
		.amdhsa_exception_fp_ieee_underflow 0
		.amdhsa_exception_fp_ieee_inexact 0
		.amdhsa_exception_int_div_zero 0
	.end_amdhsa_kernel
	.section	.text._ZN7rocprim17ROCPRIM_400000_NS6detail17trampoline_kernelINS0_13select_configILj256ELj13ELNS0_17block_load_methodE3ELS4_3ELS4_3ELNS0_20block_scan_algorithmE0ELj4294967295EEENS1_25partition_config_selectorILNS1_17partition_subalgoE4EjNS0_10empty_typeEbEEZZNS1_14partition_implILS8_4ELb0ES6_15HIP_vector_typeIjLj2EENS0_17counting_iteratorIjlEEPS9_SG_NS0_5tupleIJPjSI_NS0_16reverse_iteratorISI_EEEEENSH_IJSG_SG_SG_EEES9_SI_JZNS1_25segmented_radix_sort_implINS0_14default_configELb1EPK6__halfPSP_PKlPlN2at6native12_GLOBAL__N_18offset_tEEE10hipError_tPvRmT1_PNSt15iterator_traitsIS13_E10value_typeET2_T3_PNS14_IS19_E10value_typeET4_jRbjT5_S1F_jjP12ihipStream_tbEUljE_ZNSN_ISO_Lb1ESR_SS_SU_SV_SZ_EES10_S11_S12_S13_S17_S18_S19_S1C_S1D_jS1E_jS1F_S1F_jjS1H_bEUljE0_EEES10_S11_S12_S19_S1D_S1F_T6_T7_T9_mT8_S1H_bDpT10_ENKUlT_T0_E_clISt17integral_constantIbLb1EES1V_EEDaS1Q_S1R_EUlS1Q_E_NS1_11comp_targetILNS1_3genE5ELNS1_11target_archE942ELNS1_3gpuE9ELNS1_3repE0EEENS1_30default_config_static_selectorELNS0_4arch9wavefront6targetE0EEEvS13_,"axG",@progbits,_ZN7rocprim17ROCPRIM_400000_NS6detail17trampoline_kernelINS0_13select_configILj256ELj13ELNS0_17block_load_methodE3ELS4_3ELS4_3ELNS0_20block_scan_algorithmE0ELj4294967295EEENS1_25partition_config_selectorILNS1_17partition_subalgoE4EjNS0_10empty_typeEbEEZZNS1_14partition_implILS8_4ELb0ES6_15HIP_vector_typeIjLj2EENS0_17counting_iteratorIjlEEPS9_SG_NS0_5tupleIJPjSI_NS0_16reverse_iteratorISI_EEEEENSH_IJSG_SG_SG_EEES9_SI_JZNS1_25segmented_radix_sort_implINS0_14default_configELb1EPK6__halfPSP_PKlPlN2at6native12_GLOBAL__N_18offset_tEEE10hipError_tPvRmT1_PNSt15iterator_traitsIS13_E10value_typeET2_T3_PNS14_IS19_E10value_typeET4_jRbjT5_S1F_jjP12ihipStream_tbEUljE_ZNSN_ISO_Lb1ESR_SS_SU_SV_SZ_EES10_S11_S12_S13_S17_S18_S19_S1C_S1D_jS1E_jS1F_S1F_jjS1H_bEUljE0_EEES10_S11_S12_S19_S1D_S1F_T6_T7_T9_mT8_S1H_bDpT10_ENKUlT_T0_E_clISt17integral_constantIbLb1EES1V_EEDaS1Q_S1R_EUlS1Q_E_NS1_11comp_targetILNS1_3genE5ELNS1_11target_archE942ELNS1_3gpuE9ELNS1_3repE0EEENS1_30default_config_static_selectorELNS0_4arch9wavefront6targetE0EEEvS13_,comdat
.Lfunc_end1674:
	.size	_ZN7rocprim17ROCPRIM_400000_NS6detail17trampoline_kernelINS0_13select_configILj256ELj13ELNS0_17block_load_methodE3ELS4_3ELS4_3ELNS0_20block_scan_algorithmE0ELj4294967295EEENS1_25partition_config_selectorILNS1_17partition_subalgoE4EjNS0_10empty_typeEbEEZZNS1_14partition_implILS8_4ELb0ES6_15HIP_vector_typeIjLj2EENS0_17counting_iteratorIjlEEPS9_SG_NS0_5tupleIJPjSI_NS0_16reverse_iteratorISI_EEEEENSH_IJSG_SG_SG_EEES9_SI_JZNS1_25segmented_radix_sort_implINS0_14default_configELb1EPK6__halfPSP_PKlPlN2at6native12_GLOBAL__N_18offset_tEEE10hipError_tPvRmT1_PNSt15iterator_traitsIS13_E10value_typeET2_T3_PNS14_IS19_E10value_typeET4_jRbjT5_S1F_jjP12ihipStream_tbEUljE_ZNSN_ISO_Lb1ESR_SS_SU_SV_SZ_EES10_S11_S12_S13_S17_S18_S19_S1C_S1D_jS1E_jS1F_S1F_jjS1H_bEUljE0_EEES10_S11_S12_S19_S1D_S1F_T6_T7_T9_mT8_S1H_bDpT10_ENKUlT_T0_E_clISt17integral_constantIbLb1EES1V_EEDaS1Q_S1R_EUlS1Q_E_NS1_11comp_targetILNS1_3genE5ELNS1_11target_archE942ELNS1_3gpuE9ELNS1_3repE0EEENS1_30default_config_static_selectorELNS0_4arch9wavefront6targetE0EEEvS13_, .Lfunc_end1674-_ZN7rocprim17ROCPRIM_400000_NS6detail17trampoline_kernelINS0_13select_configILj256ELj13ELNS0_17block_load_methodE3ELS4_3ELS4_3ELNS0_20block_scan_algorithmE0ELj4294967295EEENS1_25partition_config_selectorILNS1_17partition_subalgoE4EjNS0_10empty_typeEbEEZZNS1_14partition_implILS8_4ELb0ES6_15HIP_vector_typeIjLj2EENS0_17counting_iteratorIjlEEPS9_SG_NS0_5tupleIJPjSI_NS0_16reverse_iteratorISI_EEEEENSH_IJSG_SG_SG_EEES9_SI_JZNS1_25segmented_radix_sort_implINS0_14default_configELb1EPK6__halfPSP_PKlPlN2at6native12_GLOBAL__N_18offset_tEEE10hipError_tPvRmT1_PNSt15iterator_traitsIS13_E10value_typeET2_T3_PNS14_IS19_E10value_typeET4_jRbjT5_S1F_jjP12ihipStream_tbEUljE_ZNSN_ISO_Lb1ESR_SS_SU_SV_SZ_EES10_S11_S12_S13_S17_S18_S19_S1C_S1D_jS1E_jS1F_S1F_jjS1H_bEUljE0_EEES10_S11_S12_S19_S1D_S1F_T6_T7_T9_mT8_S1H_bDpT10_ENKUlT_T0_E_clISt17integral_constantIbLb1EES1V_EEDaS1Q_S1R_EUlS1Q_E_NS1_11comp_targetILNS1_3genE5ELNS1_11target_archE942ELNS1_3gpuE9ELNS1_3repE0EEENS1_30default_config_static_selectorELNS0_4arch9wavefront6targetE0EEEvS13_
                                        ; -- End function
	.set _ZN7rocprim17ROCPRIM_400000_NS6detail17trampoline_kernelINS0_13select_configILj256ELj13ELNS0_17block_load_methodE3ELS4_3ELS4_3ELNS0_20block_scan_algorithmE0ELj4294967295EEENS1_25partition_config_selectorILNS1_17partition_subalgoE4EjNS0_10empty_typeEbEEZZNS1_14partition_implILS8_4ELb0ES6_15HIP_vector_typeIjLj2EENS0_17counting_iteratorIjlEEPS9_SG_NS0_5tupleIJPjSI_NS0_16reverse_iteratorISI_EEEEENSH_IJSG_SG_SG_EEES9_SI_JZNS1_25segmented_radix_sort_implINS0_14default_configELb1EPK6__halfPSP_PKlPlN2at6native12_GLOBAL__N_18offset_tEEE10hipError_tPvRmT1_PNSt15iterator_traitsIS13_E10value_typeET2_T3_PNS14_IS19_E10value_typeET4_jRbjT5_S1F_jjP12ihipStream_tbEUljE_ZNSN_ISO_Lb1ESR_SS_SU_SV_SZ_EES10_S11_S12_S13_S17_S18_S19_S1C_S1D_jS1E_jS1F_S1F_jjS1H_bEUljE0_EEES10_S11_S12_S19_S1D_S1F_T6_T7_T9_mT8_S1H_bDpT10_ENKUlT_T0_E_clISt17integral_constantIbLb1EES1V_EEDaS1Q_S1R_EUlS1Q_E_NS1_11comp_targetILNS1_3genE5ELNS1_11target_archE942ELNS1_3gpuE9ELNS1_3repE0EEENS1_30default_config_static_selectorELNS0_4arch9wavefront6targetE0EEEvS13_.num_vgpr, 0
	.set _ZN7rocprim17ROCPRIM_400000_NS6detail17trampoline_kernelINS0_13select_configILj256ELj13ELNS0_17block_load_methodE3ELS4_3ELS4_3ELNS0_20block_scan_algorithmE0ELj4294967295EEENS1_25partition_config_selectorILNS1_17partition_subalgoE4EjNS0_10empty_typeEbEEZZNS1_14partition_implILS8_4ELb0ES6_15HIP_vector_typeIjLj2EENS0_17counting_iteratorIjlEEPS9_SG_NS0_5tupleIJPjSI_NS0_16reverse_iteratorISI_EEEEENSH_IJSG_SG_SG_EEES9_SI_JZNS1_25segmented_radix_sort_implINS0_14default_configELb1EPK6__halfPSP_PKlPlN2at6native12_GLOBAL__N_18offset_tEEE10hipError_tPvRmT1_PNSt15iterator_traitsIS13_E10value_typeET2_T3_PNS14_IS19_E10value_typeET4_jRbjT5_S1F_jjP12ihipStream_tbEUljE_ZNSN_ISO_Lb1ESR_SS_SU_SV_SZ_EES10_S11_S12_S13_S17_S18_S19_S1C_S1D_jS1E_jS1F_S1F_jjS1H_bEUljE0_EEES10_S11_S12_S19_S1D_S1F_T6_T7_T9_mT8_S1H_bDpT10_ENKUlT_T0_E_clISt17integral_constantIbLb1EES1V_EEDaS1Q_S1R_EUlS1Q_E_NS1_11comp_targetILNS1_3genE5ELNS1_11target_archE942ELNS1_3gpuE9ELNS1_3repE0EEENS1_30default_config_static_selectorELNS0_4arch9wavefront6targetE0EEEvS13_.num_agpr, 0
	.set _ZN7rocprim17ROCPRIM_400000_NS6detail17trampoline_kernelINS0_13select_configILj256ELj13ELNS0_17block_load_methodE3ELS4_3ELS4_3ELNS0_20block_scan_algorithmE0ELj4294967295EEENS1_25partition_config_selectorILNS1_17partition_subalgoE4EjNS0_10empty_typeEbEEZZNS1_14partition_implILS8_4ELb0ES6_15HIP_vector_typeIjLj2EENS0_17counting_iteratorIjlEEPS9_SG_NS0_5tupleIJPjSI_NS0_16reverse_iteratorISI_EEEEENSH_IJSG_SG_SG_EEES9_SI_JZNS1_25segmented_radix_sort_implINS0_14default_configELb1EPK6__halfPSP_PKlPlN2at6native12_GLOBAL__N_18offset_tEEE10hipError_tPvRmT1_PNSt15iterator_traitsIS13_E10value_typeET2_T3_PNS14_IS19_E10value_typeET4_jRbjT5_S1F_jjP12ihipStream_tbEUljE_ZNSN_ISO_Lb1ESR_SS_SU_SV_SZ_EES10_S11_S12_S13_S17_S18_S19_S1C_S1D_jS1E_jS1F_S1F_jjS1H_bEUljE0_EEES10_S11_S12_S19_S1D_S1F_T6_T7_T9_mT8_S1H_bDpT10_ENKUlT_T0_E_clISt17integral_constantIbLb1EES1V_EEDaS1Q_S1R_EUlS1Q_E_NS1_11comp_targetILNS1_3genE5ELNS1_11target_archE942ELNS1_3gpuE9ELNS1_3repE0EEENS1_30default_config_static_selectorELNS0_4arch9wavefront6targetE0EEEvS13_.numbered_sgpr, 0
	.set _ZN7rocprim17ROCPRIM_400000_NS6detail17trampoline_kernelINS0_13select_configILj256ELj13ELNS0_17block_load_methodE3ELS4_3ELS4_3ELNS0_20block_scan_algorithmE0ELj4294967295EEENS1_25partition_config_selectorILNS1_17partition_subalgoE4EjNS0_10empty_typeEbEEZZNS1_14partition_implILS8_4ELb0ES6_15HIP_vector_typeIjLj2EENS0_17counting_iteratorIjlEEPS9_SG_NS0_5tupleIJPjSI_NS0_16reverse_iteratorISI_EEEEENSH_IJSG_SG_SG_EEES9_SI_JZNS1_25segmented_radix_sort_implINS0_14default_configELb1EPK6__halfPSP_PKlPlN2at6native12_GLOBAL__N_18offset_tEEE10hipError_tPvRmT1_PNSt15iterator_traitsIS13_E10value_typeET2_T3_PNS14_IS19_E10value_typeET4_jRbjT5_S1F_jjP12ihipStream_tbEUljE_ZNSN_ISO_Lb1ESR_SS_SU_SV_SZ_EES10_S11_S12_S13_S17_S18_S19_S1C_S1D_jS1E_jS1F_S1F_jjS1H_bEUljE0_EEES10_S11_S12_S19_S1D_S1F_T6_T7_T9_mT8_S1H_bDpT10_ENKUlT_T0_E_clISt17integral_constantIbLb1EES1V_EEDaS1Q_S1R_EUlS1Q_E_NS1_11comp_targetILNS1_3genE5ELNS1_11target_archE942ELNS1_3gpuE9ELNS1_3repE0EEENS1_30default_config_static_selectorELNS0_4arch9wavefront6targetE0EEEvS13_.num_named_barrier, 0
	.set _ZN7rocprim17ROCPRIM_400000_NS6detail17trampoline_kernelINS0_13select_configILj256ELj13ELNS0_17block_load_methodE3ELS4_3ELS4_3ELNS0_20block_scan_algorithmE0ELj4294967295EEENS1_25partition_config_selectorILNS1_17partition_subalgoE4EjNS0_10empty_typeEbEEZZNS1_14partition_implILS8_4ELb0ES6_15HIP_vector_typeIjLj2EENS0_17counting_iteratorIjlEEPS9_SG_NS0_5tupleIJPjSI_NS0_16reverse_iteratorISI_EEEEENSH_IJSG_SG_SG_EEES9_SI_JZNS1_25segmented_radix_sort_implINS0_14default_configELb1EPK6__halfPSP_PKlPlN2at6native12_GLOBAL__N_18offset_tEEE10hipError_tPvRmT1_PNSt15iterator_traitsIS13_E10value_typeET2_T3_PNS14_IS19_E10value_typeET4_jRbjT5_S1F_jjP12ihipStream_tbEUljE_ZNSN_ISO_Lb1ESR_SS_SU_SV_SZ_EES10_S11_S12_S13_S17_S18_S19_S1C_S1D_jS1E_jS1F_S1F_jjS1H_bEUljE0_EEES10_S11_S12_S19_S1D_S1F_T6_T7_T9_mT8_S1H_bDpT10_ENKUlT_T0_E_clISt17integral_constantIbLb1EES1V_EEDaS1Q_S1R_EUlS1Q_E_NS1_11comp_targetILNS1_3genE5ELNS1_11target_archE942ELNS1_3gpuE9ELNS1_3repE0EEENS1_30default_config_static_selectorELNS0_4arch9wavefront6targetE0EEEvS13_.private_seg_size, 0
	.set _ZN7rocprim17ROCPRIM_400000_NS6detail17trampoline_kernelINS0_13select_configILj256ELj13ELNS0_17block_load_methodE3ELS4_3ELS4_3ELNS0_20block_scan_algorithmE0ELj4294967295EEENS1_25partition_config_selectorILNS1_17partition_subalgoE4EjNS0_10empty_typeEbEEZZNS1_14partition_implILS8_4ELb0ES6_15HIP_vector_typeIjLj2EENS0_17counting_iteratorIjlEEPS9_SG_NS0_5tupleIJPjSI_NS0_16reverse_iteratorISI_EEEEENSH_IJSG_SG_SG_EEES9_SI_JZNS1_25segmented_radix_sort_implINS0_14default_configELb1EPK6__halfPSP_PKlPlN2at6native12_GLOBAL__N_18offset_tEEE10hipError_tPvRmT1_PNSt15iterator_traitsIS13_E10value_typeET2_T3_PNS14_IS19_E10value_typeET4_jRbjT5_S1F_jjP12ihipStream_tbEUljE_ZNSN_ISO_Lb1ESR_SS_SU_SV_SZ_EES10_S11_S12_S13_S17_S18_S19_S1C_S1D_jS1E_jS1F_S1F_jjS1H_bEUljE0_EEES10_S11_S12_S19_S1D_S1F_T6_T7_T9_mT8_S1H_bDpT10_ENKUlT_T0_E_clISt17integral_constantIbLb1EES1V_EEDaS1Q_S1R_EUlS1Q_E_NS1_11comp_targetILNS1_3genE5ELNS1_11target_archE942ELNS1_3gpuE9ELNS1_3repE0EEENS1_30default_config_static_selectorELNS0_4arch9wavefront6targetE0EEEvS13_.uses_vcc, 0
	.set _ZN7rocprim17ROCPRIM_400000_NS6detail17trampoline_kernelINS0_13select_configILj256ELj13ELNS0_17block_load_methodE3ELS4_3ELS4_3ELNS0_20block_scan_algorithmE0ELj4294967295EEENS1_25partition_config_selectorILNS1_17partition_subalgoE4EjNS0_10empty_typeEbEEZZNS1_14partition_implILS8_4ELb0ES6_15HIP_vector_typeIjLj2EENS0_17counting_iteratorIjlEEPS9_SG_NS0_5tupleIJPjSI_NS0_16reverse_iteratorISI_EEEEENSH_IJSG_SG_SG_EEES9_SI_JZNS1_25segmented_radix_sort_implINS0_14default_configELb1EPK6__halfPSP_PKlPlN2at6native12_GLOBAL__N_18offset_tEEE10hipError_tPvRmT1_PNSt15iterator_traitsIS13_E10value_typeET2_T3_PNS14_IS19_E10value_typeET4_jRbjT5_S1F_jjP12ihipStream_tbEUljE_ZNSN_ISO_Lb1ESR_SS_SU_SV_SZ_EES10_S11_S12_S13_S17_S18_S19_S1C_S1D_jS1E_jS1F_S1F_jjS1H_bEUljE0_EEES10_S11_S12_S19_S1D_S1F_T6_T7_T9_mT8_S1H_bDpT10_ENKUlT_T0_E_clISt17integral_constantIbLb1EES1V_EEDaS1Q_S1R_EUlS1Q_E_NS1_11comp_targetILNS1_3genE5ELNS1_11target_archE942ELNS1_3gpuE9ELNS1_3repE0EEENS1_30default_config_static_selectorELNS0_4arch9wavefront6targetE0EEEvS13_.uses_flat_scratch, 0
	.set _ZN7rocprim17ROCPRIM_400000_NS6detail17trampoline_kernelINS0_13select_configILj256ELj13ELNS0_17block_load_methodE3ELS4_3ELS4_3ELNS0_20block_scan_algorithmE0ELj4294967295EEENS1_25partition_config_selectorILNS1_17partition_subalgoE4EjNS0_10empty_typeEbEEZZNS1_14partition_implILS8_4ELb0ES6_15HIP_vector_typeIjLj2EENS0_17counting_iteratorIjlEEPS9_SG_NS0_5tupleIJPjSI_NS0_16reverse_iteratorISI_EEEEENSH_IJSG_SG_SG_EEES9_SI_JZNS1_25segmented_radix_sort_implINS0_14default_configELb1EPK6__halfPSP_PKlPlN2at6native12_GLOBAL__N_18offset_tEEE10hipError_tPvRmT1_PNSt15iterator_traitsIS13_E10value_typeET2_T3_PNS14_IS19_E10value_typeET4_jRbjT5_S1F_jjP12ihipStream_tbEUljE_ZNSN_ISO_Lb1ESR_SS_SU_SV_SZ_EES10_S11_S12_S13_S17_S18_S19_S1C_S1D_jS1E_jS1F_S1F_jjS1H_bEUljE0_EEES10_S11_S12_S19_S1D_S1F_T6_T7_T9_mT8_S1H_bDpT10_ENKUlT_T0_E_clISt17integral_constantIbLb1EES1V_EEDaS1Q_S1R_EUlS1Q_E_NS1_11comp_targetILNS1_3genE5ELNS1_11target_archE942ELNS1_3gpuE9ELNS1_3repE0EEENS1_30default_config_static_selectorELNS0_4arch9wavefront6targetE0EEEvS13_.has_dyn_sized_stack, 0
	.set _ZN7rocprim17ROCPRIM_400000_NS6detail17trampoline_kernelINS0_13select_configILj256ELj13ELNS0_17block_load_methodE3ELS4_3ELS4_3ELNS0_20block_scan_algorithmE0ELj4294967295EEENS1_25partition_config_selectorILNS1_17partition_subalgoE4EjNS0_10empty_typeEbEEZZNS1_14partition_implILS8_4ELb0ES6_15HIP_vector_typeIjLj2EENS0_17counting_iteratorIjlEEPS9_SG_NS0_5tupleIJPjSI_NS0_16reverse_iteratorISI_EEEEENSH_IJSG_SG_SG_EEES9_SI_JZNS1_25segmented_radix_sort_implINS0_14default_configELb1EPK6__halfPSP_PKlPlN2at6native12_GLOBAL__N_18offset_tEEE10hipError_tPvRmT1_PNSt15iterator_traitsIS13_E10value_typeET2_T3_PNS14_IS19_E10value_typeET4_jRbjT5_S1F_jjP12ihipStream_tbEUljE_ZNSN_ISO_Lb1ESR_SS_SU_SV_SZ_EES10_S11_S12_S13_S17_S18_S19_S1C_S1D_jS1E_jS1F_S1F_jjS1H_bEUljE0_EEES10_S11_S12_S19_S1D_S1F_T6_T7_T9_mT8_S1H_bDpT10_ENKUlT_T0_E_clISt17integral_constantIbLb1EES1V_EEDaS1Q_S1R_EUlS1Q_E_NS1_11comp_targetILNS1_3genE5ELNS1_11target_archE942ELNS1_3gpuE9ELNS1_3repE0EEENS1_30default_config_static_selectorELNS0_4arch9wavefront6targetE0EEEvS13_.has_recursion, 0
	.set _ZN7rocprim17ROCPRIM_400000_NS6detail17trampoline_kernelINS0_13select_configILj256ELj13ELNS0_17block_load_methodE3ELS4_3ELS4_3ELNS0_20block_scan_algorithmE0ELj4294967295EEENS1_25partition_config_selectorILNS1_17partition_subalgoE4EjNS0_10empty_typeEbEEZZNS1_14partition_implILS8_4ELb0ES6_15HIP_vector_typeIjLj2EENS0_17counting_iteratorIjlEEPS9_SG_NS0_5tupleIJPjSI_NS0_16reverse_iteratorISI_EEEEENSH_IJSG_SG_SG_EEES9_SI_JZNS1_25segmented_radix_sort_implINS0_14default_configELb1EPK6__halfPSP_PKlPlN2at6native12_GLOBAL__N_18offset_tEEE10hipError_tPvRmT1_PNSt15iterator_traitsIS13_E10value_typeET2_T3_PNS14_IS19_E10value_typeET4_jRbjT5_S1F_jjP12ihipStream_tbEUljE_ZNSN_ISO_Lb1ESR_SS_SU_SV_SZ_EES10_S11_S12_S13_S17_S18_S19_S1C_S1D_jS1E_jS1F_S1F_jjS1H_bEUljE0_EEES10_S11_S12_S19_S1D_S1F_T6_T7_T9_mT8_S1H_bDpT10_ENKUlT_T0_E_clISt17integral_constantIbLb1EES1V_EEDaS1Q_S1R_EUlS1Q_E_NS1_11comp_targetILNS1_3genE5ELNS1_11target_archE942ELNS1_3gpuE9ELNS1_3repE0EEENS1_30default_config_static_selectorELNS0_4arch9wavefront6targetE0EEEvS13_.has_indirect_call, 0
	.section	.AMDGPU.csdata,"",@progbits
; Kernel info:
; codeLenInByte = 0
; TotalNumSgprs: 0
; NumVgprs: 0
; ScratchSize: 0
; MemoryBound: 0
; FloatMode: 240
; IeeeMode: 1
; LDSByteSize: 0 bytes/workgroup (compile time only)
; SGPRBlocks: 0
; VGPRBlocks: 0
; NumSGPRsForWavesPerEU: 1
; NumVGPRsForWavesPerEU: 1
; Occupancy: 16
; WaveLimiterHint : 0
; COMPUTE_PGM_RSRC2:SCRATCH_EN: 0
; COMPUTE_PGM_RSRC2:USER_SGPR: 6
; COMPUTE_PGM_RSRC2:TRAP_HANDLER: 0
; COMPUTE_PGM_RSRC2:TGID_X_EN: 1
; COMPUTE_PGM_RSRC2:TGID_Y_EN: 0
; COMPUTE_PGM_RSRC2:TGID_Z_EN: 0
; COMPUTE_PGM_RSRC2:TIDIG_COMP_CNT: 0
	.section	.text._ZN7rocprim17ROCPRIM_400000_NS6detail17trampoline_kernelINS0_13select_configILj256ELj13ELNS0_17block_load_methodE3ELS4_3ELS4_3ELNS0_20block_scan_algorithmE0ELj4294967295EEENS1_25partition_config_selectorILNS1_17partition_subalgoE4EjNS0_10empty_typeEbEEZZNS1_14partition_implILS8_4ELb0ES6_15HIP_vector_typeIjLj2EENS0_17counting_iteratorIjlEEPS9_SG_NS0_5tupleIJPjSI_NS0_16reverse_iteratorISI_EEEEENSH_IJSG_SG_SG_EEES9_SI_JZNS1_25segmented_radix_sort_implINS0_14default_configELb1EPK6__halfPSP_PKlPlN2at6native12_GLOBAL__N_18offset_tEEE10hipError_tPvRmT1_PNSt15iterator_traitsIS13_E10value_typeET2_T3_PNS14_IS19_E10value_typeET4_jRbjT5_S1F_jjP12ihipStream_tbEUljE_ZNSN_ISO_Lb1ESR_SS_SU_SV_SZ_EES10_S11_S12_S13_S17_S18_S19_S1C_S1D_jS1E_jS1F_S1F_jjS1H_bEUljE0_EEES10_S11_S12_S19_S1D_S1F_T6_T7_T9_mT8_S1H_bDpT10_ENKUlT_T0_E_clISt17integral_constantIbLb1EES1V_EEDaS1Q_S1R_EUlS1Q_E_NS1_11comp_targetILNS1_3genE4ELNS1_11target_archE910ELNS1_3gpuE8ELNS1_3repE0EEENS1_30default_config_static_selectorELNS0_4arch9wavefront6targetE0EEEvS13_,"axG",@progbits,_ZN7rocprim17ROCPRIM_400000_NS6detail17trampoline_kernelINS0_13select_configILj256ELj13ELNS0_17block_load_methodE3ELS4_3ELS4_3ELNS0_20block_scan_algorithmE0ELj4294967295EEENS1_25partition_config_selectorILNS1_17partition_subalgoE4EjNS0_10empty_typeEbEEZZNS1_14partition_implILS8_4ELb0ES6_15HIP_vector_typeIjLj2EENS0_17counting_iteratorIjlEEPS9_SG_NS0_5tupleIJPjSI_NS0_16reverse_iteratorISI_EEEEENSH_IJSG_SG_SG_EEES9_SI_JZNS1_25segmented_radix_sort_implINS0_14default_configELb1EPK6__halfPSP_PKlPlN2at6native12_GLOBAL__N_18offset_tEEE10hipError_tPvRmT1_PNSt15iterator_traitsIS13_E10value_typeET2_T3_PNS14_IS19_E10value_typeET4_jRbjT5_S1F_jjP12ihipStream_tbEUljE_ZNSN_ISO_Lb1ESR_SS_SU_SV_SZ_EES10_S11_S12_S13_S17_S18_S19_S1C_S1D_jS1E_jS1F_S1F_jjS1H_bEUljE0_EEES10_S11_S12_S19_S1D_S1F_T6_T7_T9_mT8_S1H_bDpT10_ENKUlT_T0_E_clISt17integral_constantIbLb1EES1V_EEDaS1Q_S1R_EUlS1Q_E_NS1_11comp_targetILNS1_3genE4ELNS1_11target_archE910ELNS1_3gpuE8ELNS1_3repE0EEENS1_30default_config_static_selectorELNS0_4arch9wavefront6targetE0EEEvS13_,comdat
	.globl	_ZN7rocprim17ROCPRIM_400000_NS6detail17trampoline_kernelINS0_13select_configILj256ELj13ELNS0_17block_load_methodE3ELS4_3ELS4_3ELNS0_20block_scan_algorithmE0ELj4294967295EEENS1_25partition_config_selectorILNS1_17partition_subalgoE4EjNS0_10empty_typeEbEEZZNS1_14partition_implILS8_4ELb0ES6_15HIP_vector_typeIjLj2EENS0_17counting_iteratorIjlEEPS9_SG_NS0_5tupleIJPjSI_NS0_16reverse_iteratorISI_EEEEENSH_IJSG_SG_SG_EEES9_SI_JZNS1_25segmented_radix_sort_implINS0_14default_configELb1EPK6__halfPSP_PKlPlN2at6native12_GLOBAL__N_18offset_tEEE10hipError_tPvRmT1_PNSt15iterator_traitsIS13_E10value_typeET2_T3_PNS14_IS19_E10value_typeET4_jRbjT5_S1F_jjP12ihipStream_tbEUljE_ZNSN_ISO_Lb1ESR_SS_SU_SV_SZ_EES10_S11_S12_S13_S17_S18_S19_S1C_S1D_jS1E_jS1F_S1F_jjS1H_bEUljE0_EEES10_S11_S12_S19_S1D_S1F_T6_T7_T9_mT8_S1H_bDpT10_ENKUlT_T0_E_clISt17integral_constantIbLb1EES1V_EEDaS1Q_S1R_EUlS1Q_E_NS1_11comp_targetILNS1_3genE4ELNS1_11target_archE910ELNS1_3gpuE8ELNS1_3repE0EEENS1_30default_config_static_selectorELNS0_4arch9wavefront6targetE0EEEvS13_ ; -- Begin function _ZN7rocprim17ROCPRIM_400000_NS6detail17trampoline_kernelINS0_13select_configILj256ELj13ELNS0_17block_load_methodE3ELS4_3ELS4_3ELNS0_20block_scan_algorithmE0ELj4294967295EEENS1_25partition_config_selectorILNS1_17partition_subalgoE4EjNS0_10empty_typeEbEEZZNS1_14partition_implILS8_4ELb0ES6_15HIP_vector_typeIjLj2EENS0_17counting_iteratorIjlEEPS9_SG_NS0_5tupleIJPjSI_NS0_16reverse_iteratorISI_EEEEENSH_IJSG_SG_SG_EEES9_SI_JZNS1_25segmented_radix_sort_implINS0_14default_configELb1EPK6__halfPSP_PKlPlN2at6native12_GLOBAL__N_18offset_tEEE10hipError_tPvRmT1_PNSt15iterator_traitsIS13_E10value_typeET2_T3_PNS14_IS19_E10value_typeET4_jRbjT5_S1F_jjP12ihipStream_tbEUljE_ZNSN_ISO_Lb1ESR_SS_SU_SV_SZ_EES10_S11_S12_S13_S17_S18_S19_S1C_S1D_jS1E_jS1F_S1F_jjS1H_bEUljE0_EEES10_S11_S12_S19_S1D_S1F_T6_T7_T9_mT8_S1H_bDpT10_ENKUlT_T0_E_clISt17integral_constantIbLb1EES1V_EEDaS1Q_S1R_EUlS1Q_E_NS1_11comp_targetILNS1_3genE4ELNS1_11target_archE910ELNS1_3gpuE8ELNS1_3repE0EEENS1_30default_config_static_selectorELNS0_4arch9wavefront6targetE0EEEvS13_
	.p2align	8
	.type	_ZN7rocprim17ROCPRIM_400000_NS6detail17trampoline_kernelINS0_13select_configILj256ELj13ELNS0_17block_load_methodE3ELS4_3ELS4_3ELNS0_20block_scan_algorithmE0ELj4294967295EEENS1_25partition_config_selectorILNS1_17partition_subalgoE4EjNS0_10empty_typeEbEEZZNS1_14partition_implILS8_4ELb0ES6_15HIP_vector_typeIjLj2EENS0_17counting_iteratorIjlEEPS9_SG_NS0_5tupleIJPjSI_NS0_16reverse_iteratorISI_EEEEENSH_IJSG_SG_SG_EEES9_SI_JZNS1_25segmented_radix_sort_implINS0_14default_configELb1EPK6__halfPSP_PKlPlN2at6native12_GLOBAL__N_18offset_tEEE10hipError_tPvRmT1_PNSt15iterator_traitsIS13_E10value_typeET2_T3_PNS14_IS19_E10value_typeET4_jRbjT5_S1F_jjP12ihipStream_tbEUljE_ZNSN_ISO_Lb1ESR_SS_SU_SV_SZ_EES10_S11_S12_S13_S17_S18_S19_S1C_S1D_jS1E_jS1F_S1F_jjS1H_bEUljE0_EEES10_S11_S12_S19_S1D_S1F_T6_T7_T9_mT8_S1H_bDpT10_ENKUlT_T0_E_clISt17integral_constantIbLb1EES1V_EEDaS1Q_S1R_EUlS1Q_E_NS1_11comp_targetILNS1_3genE4ELNS1_11target_archE910ELNS1_3gpuE8ELNS1_3repE0EEENS1_30default_config_static_selectorELNS0_4arch9wavefront6targetE0EEEvS13_,@function
_ZN7rocprim17ROCPRIM_400000_NS6detail17trampoline_kernelINS0_13select_configILj256ELj13ELNS0_17block_load_methodE3ELS4_3ELS4_3ELNS0_20block_scan_algorithmE0ELj4294967295EEENS1_25partition_config_selectorILNS1_17partition_subalgoE4EjNS0_10empty_typeEbEEZZNS1_14partition_implILS8_4ELb0ES6_15HIP_vector_typeIjLj2EENS0_17counting_iteratorIjlEEPS9_SG_NS0_5tupleIJPjSI_NS0_16reverse_iteratorISI_EEEEENSH_IJSG_SG_SG_EEES9_SI_JZNS1_25segmented_radix_sort_implINS0_14default_configELb1EPK6__halfPSP_PKlPlN2at6native12_GLOBAL__N_18offset_tEEE10hipError_tPvRmT1_PNSt15iterator_traitsIS13_E10value_typeET2_T3_PNS14_IS19_E10value_typeET4_jRbjT5_S1F_jjP12ihipStream_tbEUljE_ZNSN_ISO_Lb1ESR_SS_SU_SV_SZ_EES10_S11_S12_S13_S17_S18_S19_S1C_S1D_jS1E_jS1F_S1F_jjS1H_bEUljE0_EEES10_S11_S12_S19_S1D_S1F_T6_T7_T9_mT8_S1H_bDpT10_ENKUlT_T0_E_clISt17integral_constantIbLb1EES1V_EEDaS1Q_S1R_EUlS1Q_E_NS1_11comp_targetILNS1_3genE4ELNS1_11target_archE910ELNS1_3gpuE8ELNS1_3repE0EEENS1_30default_config_static_selectorELNS0_4arch9wavefront6targetE0EEEvS13_: ; @_ZN7rocprim17ROCPRIM_400000_NS6detail17trampoline_kernelINS0_13select_configILj256ELj13ELNS0_17block_load_methodE3ELS4_3ELS4_3ELNS0_20block_scan_algorithmE0ELj4294967295EEENS1_25partition_config_selectorILNS1_17partition_subalgoE4EjNS0_10empty_typeEbEEZZNS1_14partition_implILS8_4ELb0ES6_15HIP_vector_typeIjLj2EENS0_17counting_iteratorIjlEEPS9_SG_NS0_5tupleIJPjSI_NS0_16reverse_iteratorISI_EEEEENSH_IJSG_SG_SG_EEES9_SI_JZNS1_25segmented_radix_sort_implINS0_14default_configELb1EPK6__halfPSP_PKlPlN2at6native12_GLOBAL__N_18offset_tEEE10hipError_tPvRmT1_PNSt15iterator_traitsIS13_E10value_typeET2_T3_PNS14_IS19_E10value_typeET4_jRbjT5_S1F_jjP12ihipStream_tbEUljE_ZNSN_ISO_Lb1ESR_SS_SU_SV_SZ_EES10_S11_S12_S13_S17_S18_S19_S1C_S1D_jS1E_jS1F_S1F_jjS1H_bEUljE0_EEES10_S11_S12_S19_S1D_S1F_T6_T7_T9_mT8_S1H_bDpT10_ENKUlT_T0_E_clISt17integral_constantIbLb1EES1V_EEDaS1Q_S1R_EUlS1Q_E_NS1_11comp_targetILNS1_3genE4ELNS1_11target_archE910ELNS1_3gpuE8ELNS1_3repE0EEENS1_30default_config_static_selectorELNS0_4arch9wavefront6targetE0EEEvS13_
; %bb.0:
	.section	.rodata,"a",@progbits
	.p2align	6, 0x0
	.amdhsa_kernel _ZN7rocprim17ROCPRIM_400000_NS6detail17trampoline_kernelINS0_13select_configILj256ELj13ELNS0_17block_load_methodE3ELS4_3ELS4_3ELNS0_20block_scan_algorithmE0ELj4294967295EEENS1_25partition_config_selectorILNS1_17partition_subalgoE4EjNS0_10empty_typeEbEEZZNS1_14partition_implILS8_4ELb0ES6_15HIP_vector_typeIjLj2EENS0_17counting_iteratorIjlEEPS9_SG_NS0_5tupleIJPjSI_NS0_16reverse_iteratorISI_EEEEENSH_IJSG_SG_SG_EEES9_SI_JZNS1_25segmented_radix_sort_implINS0_14default_configELb1EPK6__halfPSP_PKlPlN2at6native12_GLOBAL__N_18offset_tEEE10hipError_tPvRmT1_PNSt15iterator_traitsIS13_E10value_typeET2_T3_PNS14_IS19_E10value_typeET4_jRbjT5_S1F_jjP12ihipStream_tbEUljE_ZNSN_ISO_Lb1ESR_SS_SU_SV_SZ_EES10_S11_S12_S13_S17_S18_S19_S1C_S1D_jS1E_jS1F_S1F_jjS1H_bEUljE0_EEES10_S11_S12_S19_S1D_S1F_T6_T7_T9_mT8_S1H_bDpT10_ENKUlT_T0_E_clISt17integral_constantIbLb1EES1V_EEDaS1Q_S1R_EUlS1Q_E_NS1_11comp_targetILNS1_3genE4ELNS1_11target_archE910ELNS1_3gpuE8ELNS1_3repE0EEENS1_30default_config_static_selectorELNS0_4arch9wavefront6targetE0EEEvS13_
		.amdhsa_group_segment_fixed_size 0
		.amdhsa_private_segment_fixed_size 0
		.amdhsa_kernarg_size 184
		.amdhsa_user_sgpr_count 6
		.amdhsa_user_sgpr_private_segment_buffer 1
		.amdhsa_user_sgpr_dispatch_ptr 0
		.amdhsa_user_sgpr_queue_ptr 0
		.amdhsa_user_sgpr_kernarg_segment_ptr 1
		.amdhsa_user_sgpr_dispatch_id 0
		.amdhsa_user_sgpr_flat_scratch_init 0
		.amdhsa_user_sgpr_private_segment_size 0
		.amdhsa_wavefront_size32 1
		.amdhsa_uses_dynamic_stack 0
		.amdhsa_system_sgpr_private_segment_wavefront_offset 0
		.amdhsa_system_sgpr_workgroup_id_x 1
		.amdhsa_system_sgpr_workgroup_id_y 0
		.amdhsa_system_sgpr_workgroup_id_z 0
		.amdhsa_system_sgpr_workgroup_info 0
		.amdhsa_system_vgpr_workitem_id 0
		.amdhsa_next_free_vgpr 1
		.amdhsa_next_free_sgpr 1
		.amdhsa_reserve_vcc 0
		.amdhsa_reserve_flat_scratch 0
		.amdhsa_float_round_mode_32 0
		.amdhsa_float_round_mode_16_64 0
		.amdhsa_float_denorm_mode_32 3
		.amdhsa_float_denorm_mode_16_64 3
		.amdhsa_dx10_clamp 1
		.amdhsa_ieee_mode 1
		.amdhsa_fp16_overflow 0
		.amdhsa_workgroup_processor_mode 1
		.amdhsa_memory_ordered 1
		.amdhsa_forward_progress 1
		.amdhsa_shared_vgpr_count 0
		.amdhsa_exception_fp_ieee_invalid_op 0
		.amdhsa_exception_fp_denorm_src 0
		.amdhsa_exception_fp_ieee_div_zero 0
		.amdhsa_exception_fp_ieee_overflow 0
		.amdhsa_exception_fp_ieee_underflow 0
		.amdhsa_exception_fp_ieee_inexact 0
		.amdhsa_exception_int_div_zero 0
	.end_amdhsa_kernel
	.section	.text._ZN7rocprim17ROCPRIM_400000_NS6detail17trampoline_kernelINS0_13select_configILj256ELj13ELNS0_17block_load_methodE3ELS4_3ELS4_3ELNS0_20block_scan_algorithmE0ELj4294967295EEENS1_25partition_config_selectorILNS1_17partition_subalgoE4EjNS0_10empty_typeEbEEZZNS1_14partition_implILS8_4ELb0ES6_15HIP_vector_typeIjLj2EENS0_17counting_iteratorIjlEEPS9_SG_NS0_5tupleIJPjSI_NS0_16reverse_iteratorISI_EEEEENSH_IJSG_SG_SG_EEES9_SI_JZNS1_25segmented_radix_sort_implINS0_14default_configELb1EPK6__halfPSP_PKlPlN2at6native12_GLOBAL__N_18offset_tEEE10hipError_tPvRmT1_PNSt15iterator_traitsIS13_E10value_typeET2_T3_PNS14_IS19_E10value_typeET4_jRbjT5_S1F_jjP12ihipStream_tbEUljE_ZNSN_ISO_Lb1ESR_SS_SU_SV_SZ_EES10_S11_S12_S13_S17_S18_S19_S1C_S1D_jS1E_jS1F_S1F_jjS1H_bEUljE0_EEES10_S11_S12_S19_S1D_S1F_T6_T7_T9_mT8_S1H_bDpT10_ENKUlT_T0_E_clISt17integral_constantIbLb1EES1V_EEDaS1Q_S1R_EUlS1Q_E_NS1_11comp_targetILNS1_3genE4ELNS1_11target_archE910ELNS1_3gpuE8ELNS1_3repE0EEENS1_30default_config_static_selectorELNS0_4arch9wavefront6targetE0EEEvS13_,"axG",@progbits,_ZN7rocprim17ROCPRIM_400000_NS6detail17trampoline_kernelINS0_13select_configILj256ELj13ELNS0_17block_load_methodE3ELS4_3ELS4_3ELNS0_20block_scan_algorithmE0ELj4294967295EEENS1_25partition_config_selectorILNS1_17partition_subalgoE4EjNS0_10empty_typeEbEEZZNS1_14partition_implILS8_4ELb0ES6_15HIP_vector_typeIjLj2EENS0_17counting_iteratorIjlEEPS9_SG_NS0_5tupleIJPjSI_NS0_16reverse_iteratorISI_EEEEENSH_IJSG_SG_SG_EEES9_SI_JZNS1_25segmented_radix_sort_implINS0_14default_configELb1EPK6__halfPSP_PKlPlN2at6native12_GLOBAL__N_18offset_tEEE10hipError_tPvRmT1_PNSt15iterator_traitsIS13_E10value_typeET2_T3_PNS14_IS19_E10value_typeET4_jRbjT5_S1F_jjP12ihipStream_tbEUljE_ZNSN_ISO_Lb1ESR_SS_SU_SV_SZ_EES10_S11_S12_S13_S17_S18_S19_S1C_S1D_jS1E_jS1F_S1F_jjS1H_bEUljE0_EEES10_S11_S12_S19_S1D_S1F_T6_T7_T9_mT8_S1H_bDpT10_ENKUlT_T0_E_clISt17integral_constantIbLb1EES1V_EEDaS1Q_S1R_EUlS1Q_E_NS1_11comp_targetILNS1_3genE4ELNS1_11target_archE910ELNS1_3gpuE8ELNS1_3repE0EEENS1_30default_config_static_selectorELNS0_4arch9wavefront6targetE0EEEvS13_,comdat
.Lfunc_end1675:
	.size	_ZN7rocprim17ROCPRIM_400000_NS6detail17trampoline_kernelINS0_13select_configILj256ELj13ELNS0_17block_load_methodE3ELS4_3ELS4_3ELNS0_20block_scan_algorithmE0ELj4294967295EEENS1_25partition_config_selectorILNS1_17partition_subalgoE4EjNS0_10empty_typeEbEEZZNS1_14partition_implILS8_4ELb0ES6_15HIP_vector_typeIjLj2EENS0_17counting_iteratorIjlEEPS9_SG_NS0_5tupleIJPjSI_NS0_16reverse_iteratorISI_EEEEENSH_IJSG_SG_SG_EEES9_SI_JZNS1_25segmented_radix_sort_implINS0_14default_configELb1EPK6__halfPSP_PKlPlN2at6native12_GLOBAL__N_18offset_tEEE10hipError_tPvRmT1_PNSt15iterator_traitsIS13_E10value_typeET2_T3_PNS14_IS19_E10value_typeET4_jRbjT5_S1F_jjP12ihipStream_tbEUljE_ZNSN_ISO_Lb1ESR_SS_SU_SV_SZ_EES10_S11_S12_S13_S17_S18_S19_S1C_S1D_jS1E_jS1F_S1F_jjS1H_bEUljE0_EEES10_S11_S12_S19_S1D_S1F_T6_T7_T9_mT8_S1H_bDpT10_ENKUlT_T0_E_clISt17integral_constantIbLb1EES1V_EEDaS1Q_S1R_EUlS1Q_E_NS1_11comp_targetILNS1_3genE4ELNS1_11target_archE910ELNS1_3gpuE8ELNS1_3repE0EEENS1_30default_config_static_selectorELNS0_4arch9wavefront6targetE0EEEvS13_, .Lfunc_end1675-_ZN7rocprim17ROCPRIM_400000_NS6detail17trampoline_kernelINS0_13select_configILj256ELj13ELNS0_17block_load_methodE3ELS4_3ELS4_3ELNS0_20block_scan_algorithmE0ELj4294967295EEENS1_25partition_config_selectorILNS1_17partition_subalgoE4EjNS0_10empty_typeEbEEZZNS1_14partition_implILS8_4ELb0ES6_15HIP_vector_typeIjLj2EENS0_17counting_iteratorIjlEEPS9_SG_NS0_5tupleIJPjSI_NS0_16reverse_iteratorISI_EEEEENSH_IJSG_SG_SG_EEES9_SI_JZNS1_25segmented_radix_sort_implINS0_14default_configELb1EPK6__halfPSP_PKlPlN2at6native12_GLOBAL__N_18offset_tEEE10hipError_tPvRmT1_PNSt15iterator_traitsIS13_E10value_typeET2_T3_PNS14_IS19_E10value_typeET4_jRbjT5_S1F_jjP12ihipStream_tbEUljE_ZNSN_ISO_Lb1ESR_SS_SU_SV_SZ_EES10_S11_S12_S13_S17_S18_S19_S1C_S1D_jS1E_jS1F_S1F_jjS1H_bEUljE0_EEES10_S11_S12_S19_S1D_S1F_T6_T7_T9_mT8_S1H_bDpT10_ENKUlT_T0_E_clISt17integral_constantIbLb1EES1V_EEDaS1Q_S1R_EUlS1Q_E_NS1_11comp_targetILNS1_3genE4ELNS1_11target_archE910ELNS1_3gpuE8ELNS1_3repE0EEENS1_30default_config_static_selectorELNS0_4arch9wavefront6targetE0EEEvS13_
                                        ; -- End function
	.set _ZN7rocprim17ROCPRIM_400000_NS6detail17trampoline_kernelINS0_13select_configILj256ELj13ELNS0_17block_load_methodE3ELS4_3ELS4_3ELNS0_20block_scan_algorithmE0ELj4294967295EEENS1_25partition_config_selectorILNS1_17partition_subalgoE4EjNS0_10empty_typeEbEEZZNS1_14partition_implILS8_4ELb0ES6_15HIP_vector_typeIjLj2EENS0_17counting_iteratorIjlEEPS9_SG_NS0_5tupleIJPjSI_NS0_16reverse_iteratorISI_EEEEENSH_IJSG_SG_SG_EEES9_SI_JZNS1_25segmented_radix_sort_implINS0_14default_configELb1EPK6__halfPSP_PKlPlN2at6native12_GLOBAL__N_18offset_tEEE10hipError_tPvRmT1_PNSt15iterator_traitsIS13_E10value_typeET2_T3_PNS14_IS19_E10value_typeET4_jRbjT5_S1F_jjP12ihipStream_tbEUljE_ZNSN_ISO_Lb1ESR_SS_SU_SV_SZ_EES10_S11_S12_S13_S17_S18_S19_S1C_S1D_jS1E_jS1F_S1F_jjS1H_bEUljE0_EEES10_S11_S12_S19_S1D_S1F_T6_T7_T9_mT8_S1H_bDpT10_ENKUlT_T0_E_clISt17integral_constantIbLb1EES1V_EEDaS1Q_S1R_EUlS1Q_E_NS1_11comp_targetILNS1_3genE4ELNS1_11target_archE910ELNS1_3gpuE8ELNS1_3repE0EEENS1_30default_config_static_selectorELNS0_4arch9wavefront6targetE0EEEvS13_.num_vgpr, 0
	.set _ZN7rocprim17ROCPRIM_400000_NS6detail17trampoline_kernelINS0_13select_configILj256ELj13ELNS0_17block_load_methodE3ELS4_3ELS4_3ELNS0_20block_scan_algorithmE0ELj4294967295EEENS1_25partition_config_selectorILNS1_17partition_subalgoE4EjNS0_10empty_typeEbEEZZNS1_14partition_implILS8_4ELb0ES6_15HIP_vector_typeIjLj2EENS0_17counting_iteratorIjlEEPS9_SG_NS0_5tupleIJPjSI_NS0_16reverse_iteratorISI_EEEEENSH_IJSG_SG_SG_EEES9_SI_JZNS1_25segmented_radix_sort_implINS0_14default_configELb1EPK6__halfPSP_PKlPlN2at6native12_GLOBAL__N_18offset_tEEE10hipError_tPvRmT1_PNSt15iterator_traitsIS13_E10value_typeET2_T3_PNS14_IS19_E10value_typeET4_jRbjT5_S1F_jjP12ihipStream_tbEUljE_ZNSN_ISO_Lb1ESR_SS_SU_SV_SZ_EES10_S11_S12_S13_S17_S18_S19_S1C_S1D_jS1E_jS1F_S1F_jjS1H_bEUljE0_EEES10_S11_S12_S19_S1D_S1F_T6_T7_T9_mT8_S1H_bDpT10_ENKUlT_T0_E_clISt17integral_constantIbLb1EES1V_EEDaS1Q_S1R_EUlS1Q_E_NS1_11comp_targetILNS1_3genE4ELNS1_11target_archE910ELNS1_3gpuE8ELNS1_3repE0EEENS1_30default_config_static_selectorELNS0_4arch9wavefront6targetE0EEEvS13_.num_agpr, 0
	.set _ZN7rocprim17ROCPRIM_400000_NS6detail17trampoline_kernelINS0_13select_configILj256ELj13ELNS0_17block_load_methodE3ELS4_3ELS4_3ELNS0_20block_scan_algorithmE0ELj4294967295EEENS1_25partition_config_selectorILNS1_17partition_subalgoE4EjNS0_10empty_typeEbEEZZNS1_14partition_implILS8_4ELb0ES6_15HIP_vector_typeIjLj2EENS0_17counting_iteratorIjlEEPS9_SG_NS0_5tupleIJPjSI_NS0_16reverse_iteratorISI_EEEEENSH_IJSG_SG_SG_EEES9_SI_JZNS1_25segmented_radix_sort_implINS0_14default_configELb1EPK6__halfPSP_PKlPlN2at6native12_GLOBAL__N_18offset_tEEE10hipError_tPvRmT1_PNSt15iterator_traitsIS13_E10value_typeET2_T3_PNS14_IS19_E10value_typeET4_jRbjT5_S1F_jjP12ihipStream_tbEUljE_ZNSN_ISO_Lb1ESR_SS_SU_SV_SZ_EES10_S11_S12_S13_S17_S18_S19_S1C_S1D_jS1E_jS1F_S1F_jjS1H_bEUljE0_EEES10_S11_S12_S19_S1D_S1F_T6_T7_T9_mT8_S1H_bDpT10_ENKUlT_T0_E_clISt17integral_constantIbLb1EES1V_EEDaS1Q_S1R_EUlS1Q_E_NS1_11comp_targetILNS1_3genE4ELNS1_11target_archE910ELNS1_3gpuE8ELNS1_3repE0EEENS1_30default_config_static_selectorELNS0_4arch9wavefront6targetE0EEEvS13_.numbered_sgpr, 0
	.set _ZN7rocprim17ROCPRIM_400000_NS6detail17trampoline_kernelINS0_13select_configILj256ELj13ELNS0_17block_load_methodE3ELS4_3ELS4_3ELNS0_20block_scan_algorithmE0ELj4294967295EEENS1_25partition_config_selectorILNS1_17partition_subalgoE4EjNS0_10empty_typeEbEEZZNS1_14partition_implILS8_4ELb0ES6_15HIP_vector_typeIjLj2EENS0_17counting_iteratorIjlEEPS9_SG_NS0_5tupleIJPjSI_NS0_16reverse_iteratorISI_EEEEENSH_IJSG_SG_SG_EEES9_SI_JZNS1_25segmented_radix_sort_implINS0_14default_configELb1EPK6__halfPSP_PKlPlN2at6native12_GLOBAL__N_18offset_tEEE10hipError_tPvRmT1_PNSt15iterator_traitsIS13_E10value_typeET2_T3_PNS14_IS19_E10value_typeET4_jRbjT5_S1F_jjP12ihipStream_tbEUljE_ZNSN_ISO_Lb1ESR_SS_SU_SV_SZ_EES10_S11_S12_S13_S17_S18_S19_S1C_S1D_jS1E_jS1F_S1F_jjS1H_bEUljE0_EEES10_S11_S12_S19_S1D_S1F_T6_T7_T9_mT8_S1H_bDpT10_ENKUlT_T0_E_clISt17integral_constantIbLb1EES1V_EEDaS1Q_S1R_EUlS1Q_E_NS1_11comp_targetILNS1_3genE4ELNS1_11target_archE910ELNS1_3gpuE8ELNS1_3repE0EEENS1_30default_config_static_selectorELNS0_4arch9wavefront6targetE0EEEvS13_.num_named_barrier, 0
	.set _ZN7rocprim17ROCPRIM_400000_NS6detail17trampoline_kernelINS0_13select_configILj256ELj13ELNS0_17block_load_methodE3ELS4_3ELS4_3ELNS0_20block_scan_algorithmE0ELj4294967295EEENS1_25partition_config_selectorILNS1_17partition_subalgoE4EjNS0_10empty_typeEbEEZZNS1_14partition_implILS8_4ELb0ES6_15HIP_vector_typeIjLj2EENS0_17counting_iteratorIjlEEPS9_SG_NS0_5tupleIJPjSI_NS0_16reverse_iteratorISI_EEEEENSH_IJSG_SG_SG_EEES9_SI_JZNS1_25segmented_radix_sort_implINS0_14default_configELb1EPK6__halfPSP_PKlPlN2at6native12_GLOBAL__N_18offset_tEEE10hipError_tPvRmT1_PNSt15iterator_traitsIS13_E10value_typeET2_T3_PNS14_IS19_E10value_typeET4_jRbjT5_S1F_jjP12ihipStream_tbEUljE_ZNSN_ISO_Lb1ESR_SS_SU_SV_SZ_EES10_S11_S12_S13_S17_S18_S19_S1C_S1D_jS1E_jS1F_S1F_jjS1H_bEUljE0_EEES10_S11_S12_S19_S1D_S1F_T6_T7_T9_mT8_S1H_bDpT10_ENKUlT_T0_E_clISt17integral_constantIbLb1EES1V_EEDaS1Q_S1R_EUlS1Q_E_NS1_11comp_targetILNS1_3genE4ELNS1_11target_archE910ELNS1_3gpuE8ELNS1_3repE0EEENS1_30default_config_static_selectorELNS0_4arch9wavefront6targetE0EEEvS13_.private_seg_size, 0
	.set _ZN7rocprim17ROCPRIM_400000_NS6detail17trampoline_kernelINS0_13select_configILj256ELj13ELNS0_17block_load_methodE3ELS4_3ELS4_3ELNS0_20block_scan_algorithmE0ELj4294967295EEENS1_25partition_config_selectorILNS1_17partition_subalgoE4EjNS0_10empty_typeEbEEZZNS1_14partition_implILS8_4ELb0ES6_15HIP_vector_typeIjLj2EENS0_17counting_iteratorIjlEEPS9_SG_NS0_5tupleIJPjSI_NS0_16reverse_iteratorISI_EEEEENSH_IJSG_SG_SG_EEES9_SI_JZNS1_25segmented_radix_sort_implINS0_14default_configELb1EPK6__halfPSP_PKlPlN2at6native12_GLOBAL__N_18offset_tEEE10hipError_tPvRmT1_PNSt15iterator_traitsIS13_E10value_typeET2_T3_PNS14_IS19_E10value_typeET4_jRbjT5_S1F_jjP12ihipStream_tbEUljE_ZNSN_ISO_Lb1ESR_SS_SU_SV_SZ_EES10_S11_S12_S13_S17_S18_S19_S1C_S1D_jS1E_jS1F_S1F_jjS1H_bEUljE0_EEES10_S11_S12_S19_S1D_S1F_T6_T7_T9_mT8_S1H_bDpT10_ENKUlT_T0_E_clISt17integral_constantIbLb1EES1V_EEDaS1Q_S1R_EUlS1Q_E_NS1_11comp_targetILNS1_3genE4ELNS1_11target_archE910ELNS1_3gpuE8ELNS1_3repE0EEENS1_30default_config_static_selectorELNS0_4arch9wavefront6targetE0EEEvS13_.uses_vcc, 0
	.set _ZN7rocprim17ROCPRIM_400000_NS6detail17trampoline_kernelINS0_13select_configILj256ELj13ELNS0_17block_load_methodE3ELS4_3ELS4_3ELNS0_20block_scan_algorithmE0ELj4294967295EEENS1_25partition_config_selectorILNS1_17partition_subalgoE4EjNS0_10empty_typeEbEEZZNS1_14partition_implILS8_4ELb0ES6_15HIP_vector_typeIjLj2EENS0_17counting_iteratorIjlEEPS9_SG_NS0_5tupleIJPjSI_NS0_16reverse_iteratorISI_EEEEENSH_IJSG_SG_SG_EEES9_SI_JZNS1_25segmented_radix_sort_implINS0_14default_configELb1EPK6__halfPSP_PKlPlN2at6native12_GLOBAL__N_18offset_tEEE10hipError_tPvRmT1_PNSt15iterator_traitsIS13_E10value_typeET2_T3_PNS14_IS19_E10value_typeET4_jRbjT5_S1F_jjP12ihipStream_tbEUljE_ZNSN_ISO_Lb1ESR_SS_SU_SV_SZ_EES10_S11_S12_S13_S17_S18_S19_S1C_S1D_jS1E_jS1F_S1F_jjS1H_bEUljE0_EEES10_S11_S12_S19_S1D_S1F_T6_T7_T9_mT8_S1H_bDpT10_ENKUlT_T0_E_clISt17integral_constantIbLb1EES1V_EEDaS1Q_S1R_EUlS1Q_E_NS1_11comp_targetILNS1_3genE4ELNS1_11target_archE910ELNS1_3gpuE8ELNS1_3repE0EEENS1_30default_config_static_selectorELNS0_4arch9wavefront6targetE0EEEvS13_.uses_flat_scratch, 0
	.set _ZN7rocprim17ROCPRIM_400000_NS6detail17trampoline_kernelINS0_13select_configILj256ELj13ELNS0_17block_load_methodE3ELS4_3ELS4_3ELNS0_20block_scan_algorithmE0ELj4294967295EEENS1_25partition_config_selectorILNS1_17partition_subalgoE4EjNS0_10empty_typeEbEEZZNS1_14partition_implILS8_4ELb0ES6_15HIP_vector_typeIjLj2EENS0_17counting_iteratorIjlEEPS9_SG_NS0_5tupleIJPjSI_NS0_16reverse_iteratorISI_EEEEENSH_IJSG_SG_SG_EEES9_SI_JZNS1_25segmented_radix_sort_implINS0_14default_configELb1EPK6__halfPSP_PKlPlN2at6native12_GLOBAL__N_18offset_tEEE10hipError_tPvRmT1_PNSt15iterator_traitsIS13_E10value_typeET2_T3_PNS14_IS19_E10value_typeET4_jRbjT5_S1F_jjP12ihipStream_tbEUljE_ZNSN_ISO_Lb1ESR_SS_SU_SV_SZ_EES10_S11_S12_S13_S17_S18_S19_S1C_S1D_jS1E_jS1F_S1F_jjS1H_bEUljE0_EEES10_S11_S12_S19_S1D_S1F_T6_T7_T9_mT8_S1H_bDpT10_ENKUlT_T0_E_clISt17integral_constantIbLb1EES1V_EEDaS1Q_S1R_EUlS1Q_E_NS1_11comp_targetILNS1_3genE4ELNS1_11target_archE910ELNS1_3gpuE8ELNS1_3repE0EEENS1_30default_config_static_selectorELNS0_4arch9wavefront6targetE0EEEvS13_.has_dyn_sized_stack, 0
	.set _ZN7rocprim17ROCPRIM_400000_NS6detail17trampoline_kernelINS0_13select_configILj256ELj13ELNS0_17block_load_methodE3ELS4_3ELS4_3ELNS0_20block_scan_algorithmE0ELj4294967295EEENS1_25partition_config_selectorILNS1_17partition_subalgoE4EjNS0_10empty_typeEbEEZZNS1_14partition_implILS8_4ELb0ES6_15HIP_vector_typeIjLj2EENS0_17counting_iteratorIjlEEPS9_SG_NS0_5tupleIJPjSI_NS0_16reverse_iteratorISI_EEEEENSH_IJSG_SG_SG_EEES9_SI_JZNS1_25segmented_radix_sort_implINS0_14default_configELb1EPK6__halfPSP_PKlPlN2at6native12_GLOBAL__N_18offset_tEEE10hipError_tPvRmT1_PNSt15iterator_traitsIS13_E10value_typeET2_T3_PNS14_IS19_E10value_typeET4_jRbjT5_S1F_jjP12ihipStream_tbEUljE_ZNSN_ISO_Lb1ESR_SS_SU_SV_SZ_EES10_S11_S12_S13_S17_S18_S19_S1C_S1D_jS1E_jS1F_S1F_jjS1H_bEUljE0_EEES10_S11_S12_S19_S1D_S1F_T6_T7_T9_mT8_S1H_bDpT10_ENKUlT_T0_E_clISt17integral_constantIbLb1EES1V_EEDaS1Q_S1R_EUlS1Q_E_NS1_11comp_targetILNS1_3genE4ELNS1_11target_archE910ELNS1_3gpuE8ELNS1_3repE0EEENS1_30default_config_static_selectorELNS0_4arch9wavefront6targetE0EEEvS13_.has_recursion, 0
	.set _ZN7rocprim17ROCPRIM_400000_NS6detail17trampoline_kernelINS0_13select_configILj256ELj13ELNS0_17block_load_methodE3ELS4_3ELS4_3ELNS0_20block_scan_algorithmE0ELj4294967295EEENS1_25partition_config_selectorILNS1_17partition_subalgoE4EjNS0_10empty_typeEbEEZZNS1_14partition_implILS8_4ELb0ES6_15HIP_vector_typeIjLj2EENS0_17counting_iteratorIjlEEPS9_SG_NS0_5tupleIJPjSI_NS0_16reverse_iteratorISI_EEEEENSH_IJSG_SG_SG_EEES9_SI_JZNS1_25segmented_radix_sort_implINS0_14default_configELb1EPK6__halfPSP_PKlPlN2at6native12_GLOBAL__N_18offset_tEEE10hipError_tPvRmT1_PNSt15iterator_traitsIS13_E10value_typeET2_T3_PNS14_IS19_E10value_typeET4_jRbjT5_S1F_jjP12ihipStream_tbEUljE_ZNSN_ISO_Lb1ESR_SS_SU_SV_SZ_EES10_S11_S12_S13_S17_S18_S19_S1C_S1D_jS1E_jS1F_S1F_jjS1H_bEUljE0_EEES10_S11_S12_S19_S1D_S1F_T6_T7_T9_mT8_S1H_bDpT10_ENKUlT_T0_E_clISt17integral_constantIbLb1EES1V_EEDaS1Q_S1R_EUlS1Q_E_NS1_11comp_targetILNS1_3genE4ELNS1_11target_archE910ELNS1_3gpuE8ELNS1_3repE0EEENS1_30default_config_static_selectorELNS0_4arch9wavefront6targetE0EEEvS13_.has_indirect_call, 0
	.section	.AMDGPU.csdata,"",@progbits
; Kernel info:
; codeLenInByte = 0
; TotalNumSgprs: 0
; NumVgprs: 0
; ScratchSize: 0
; MemoryBound: 0
; FloatMode: 240
; IeeeMode: 1
; LDSByteSize: 0 bytes/workgroup (compile time only)
; SGPRBlocks: 0
; VGPRBlocks: 0
; NumSGPRsForWavesPerEU: 1
; NumVGPRsForWavesPerEU: 1
; Occupancy: 16
; WaveLimiterHint : 0
; COMPUTE_PGM_RSRC2:SCRATCH_EN: 0
; COMPUTE_PGM_RSRC2:USER_SGPR: 6
; COMPUTE_PGM_RSRC2:TRAP_HANDLER: 0
; COMPUTE_PGM_RSRC2:TGID_X_EN: 1
; COMPUTE_PGM_RSRC2:TGID_Y_EN: 0
; COMPUTE_PGM_RSRC2:TGID_Z_EN: 0
; COMPUTE_PGM_RSRC2:TIDIG_COMP_CNT: 0
	.section	.text._ZN7rocprim17ROCPRIM_400000_NS6detail17trampoline_kernelINS0_13select_configILj256ELj13ELNS0_17block_load_methodE3ELS4_3ELS4_3ELNS0_20block_scan_algorithmE0ELj4294967295EEENS1_25partition_config_selectorILNS1_17partition_subalgoE4EjNS0_10empty_typeEbEEZZNS1_14partition_implILS8_4ELb0ES6_15HIP_vector_typeIjLj2EENS0_17counting_iteratorIjlEEPS9_SG_NS0_5tupleIJPjSI_NS0_16reverse_iteratorISI_EEEEENSH_IJSG_SG_SG_EEES9_SI_JZNS1_25segmented_radix_sort_implINS0_14default_configELb1EPK6__halfPSP_PKlPlN2at6native12_GLOBAL__N_18offset_tEEE10hipError_tPvRmT1_PNSt15iterator_traitsIS13_E10value_typeET2_T3_PNS14_IS19_E10value_typeET4_jRbjT5_S1F_jjP12ihipStream_tbEUljE_ZNSN_ISO_Lb1ESR_SS_SU_SV_SZ_EES10_S11_S12_S13_S17_S18_S19_S1C_S1D_jS1E_jS1F_S1F_jjS1H_bEUljE0_EEES10_S11_S12_S19_S1D_S1F_T6_T7_T9_mT8_S1H_bDpT10_ENKUlT_T0_E_clISt17integral_constantIbLb1EES1V_EEDaS1Q_S1R_EUlS1Q_E_NS1_11comp_targetILNS1_3genE3ELNS1_11target_archE908ELNS1_3gpuE7ELNS1_3repE0EEENS1_30default_config_static_selectorELNS0_4arch9wavefront6targetE0EEEvS13_,"axG",@progbits,_ZN7rocprim17ROCPRIM_400000_NS6detail17trampoline_kernelINS0_13select_configILj256ELj13ELNS0_17block_load_methodE3ELS4_3ELS4_3ELNS0_20block_scan_algorithmE0ELj4294967295EEENS1_25partition_config_selectorILNS1_17partition_subalgoE4EjNS0_10empty_typeEbEEZZNS1_14partition_implILS8_4ELb0ES6_15HIP_vector_typeIjLj2EENS0_17counting_iteratorIjlEEPS9_SG_NS0_5tupleIJPjSI_NS0_16reverse_iteratorISI_EEEEENSH_IJSG_SG_SG_EEES9_SI_JZNS1_25segmented_radix_sort_implINS0_14default_configELb1EPK6__halfPSP_PKlPlN2at6native12_GLOBAL__N_18offset_tEEE10hipError_tPvRmT1_PNSt15iterator_traitsIS13_E10value_typeET2_T3_PNS14_IS19_E10value_typeET4_jRbjT5_S1F_jjP12ihipStream_tbEUljE_ZNSN_ISO_Lb1ESR_SS_SU_SV_SZ_EES10_S11_S12_S13_S17_S18_S19_S1C_S1D_jS1E_jS1F_S1F_jjS1H_bEUljE0_EEES10_S11_S12_S19_S1D_S1F_T6_T7_T9_mT8_S1H_bDpT10_ENKUlT_T0_E_clISt17integral_constantIbLb1EES1V_EEDaS1Q_S1R_EUlS1Q_E_NS1_11comp_targetILNS1_3genE3ELNS1_11target_archE908ELNS1_3gpuE7ELNS1_3repE0EEENS1_30default_config_static_selectorELNS0_4arch9wavefront6targetE0EEEvS13_,comdat
	.globl	_ZN7rocprim17ROCPRIM_400000_NS6detail17trampoline_kernelINS0_13select_configILj256ELj13ELNS0_17block_load_methodE3ELS4_3ELS4_3ELNS0_20block_scan_algorithmE0ELj4294967295EEENS1_25partition_config_selectorILNS1_17partition_subalgoE4EjNS0_10empty_typeEbEEZZNS1_14partition_implILS8_4ELb0ES6_15HIP_vector_typeIjLj2EENS0_17counting_iteratorIjlEEPS9_SG_NS0_5tupleIJPjSI_NS0_16reverse_iteratorISI_EEEEENSH_IJSG_SG_SG_EEES9_SI_JZNS1_25segmented_radix_sort_implINS0_14default_configELb1EPK6__halfPSP_PKlPlN2at6native12_GLOBAL__N_18offset_tEEE10hipError_tPvRmT1_PNSt15iterator_traitsIS13_E10value_typeET2_T3_PNS14_IS19_E10value_typeET4_jRbjT5_S1F_jjP12ihipStream_tbEUljE_ZNSN_ISO_Lb1ESR_SS_SU_SV_SZ_EES10_S11_S12_S13_S17_S18_S19_S1C_S1D_jS1E_jS1F_S1F_jjS1H_bEUljE0_EEES10_S11_S12_S19_S1D_S1F_T6_T7_T9_mT8_S1H_bDpT10_ENKUlT_T0_E_clISt17integral_constantIbLb1EES1V_EEDaS1Q_S1R_EUlS1Q_E_NS1_11comp_targetILNS1_3genE3ELNS1_11target_archE908ELNS1_3gpuE7ELNS1_3repE0EEENS1_30default_config_static_selectorELNS0_4arch9wavefront6targetE0EEEvS13_ ; -- Begin function _ZN7rocprim17ROCPRIM_400000_NS6detail17trampoline_kernelINS0_13select_configILj256ELj13ELNS0_17block_load_methodE3ELS4_3ELS4_3ELNS0_20block_scan_algorithmE0ELj4294967295EEENS1_25partition_config_selectorILNS1_17partition_subalgoE4EjNS0_10empty_typeEbEEZZNS1_14partition_implILS8_4ELb0ES6_15HIP_vector_typeIjLj2EENS0_17counting_iteratorIjlEEPS9_SG_NS0_5tupleIJPjSI_NS0_16reverse_iteratorISI_EEEEENSH_IJSG_SG_SG_EEES9_SI_JZNS1_25segmented_radix_sort_implINS0_14default_configELb1EPK6__halfPSP_PKlPlN2at6native12_GLOBAL__N_18offset_tEEE10hipError_tPvRmT1_PNSt15iterator_traitsIS13_E10value_typeET2_T3_PNS14_IS19_E10value_typeET4_jRbjT5_S1F_jjP12ihipStream_tbEUljE_ZNSN_ISO_Lb1ESR_SS_SU_SV_SZ_EES10_S11_S12_S13_S17_S18_S19_S1C_S1D_jS1E_jS1F_S1F_jjS1H_bEUljE0_EEES10_S11_S12_S19_S1D_S1F_T6_T7_T9_mT8_S1H_bDpT10_ENKUlT_T0_E_clISt17integral_constantIbLb1EES1V_EEDaS1Q_S1R_EUlS1Q_E_NS1_11comp_targetILNS1_3genE3ELNS1_11target_archE908ELNS1_3gpuE7ELNS1_3repE0EEENS1_30default_config_static_selectorELNS0_4arch9wavefront6targetE0EEEvS13_
	.p2align	8
	.type	_ZN7rocprim17ROCPRIM_400000_NS6detail17trampoline_kernelINS0_13select_configILj256ELj13ELNS0_17block_load_methodE3ELS4_3ELS4_3ELNS0_20block_scan_algorithmE0ELj4294967295EEENS1_25partition_config_selectorILNS1_17partition_subalgoE4EjNS0_10empty_typeEbEEZZNS1_14partition_implILS8_4ELb0ES6_15HIP_vector_typeIjLj2EENS0_17counting_iteratorIjlEEPS9_SG_NS0_5tupleIJPjSI_NS0_16reverse_iteratorISI_EEEEENSH_IJSG_SG_SG_EEES9_SI_JZNS1_25segmented_radix_sort_implINS0_14default_configELb1EPK6__halfPSP_PKlPlN2at6native12_GLOBAL__N_18offset_tEEE10hipError_tPvRmT1_PNSt15iterator_traitsIS13_E10value_typeET2_T3_PNS14_IS19_E10value_typeET4_jRbjT5_S1F_jjP12ihipStream_tbEUljE_ZNSN_ISO_Lb1ESR_SS_SU_SV_SZ_EES10_S11_S12_S13_S17_S18_S19_S1C_S1D_jS1E_jS1F_S1F_jjS1H_bEUljE0_EEES10_S11_S12_S19_S1D_S1F_T6_T7_T9_mT8_S1H_bDpT10_ENKUlT_T0_E_clISt17integral_constantIbLb1EES1V_EEDaS1Q_S1R_EUlS1Q_E_NS1_11comp_targetILNS1_3genE3ELNS1_11target_archE908ELNS1_3gpuE7ELNS1_3repE0EEENS1_30default_config_static_selectorELNS0_4arch9wavefront6targetE0EEEvS13_,@function
_ZN7rocprim17ROCPRIM_400000_NS6detail17trampoline_kernelINS0_13select_configILj256ELj13ELNS0_17block_load_methodE3ELS4_3ELS4_3ELNS0_20block_scan_algorithmE0ELj4294967295EEENS1_25partition_config_selectorILNS1_17partition_subalgoE4EjNS0_10empty_typeEbEEZZNS1_14partition_implILS8_4ELb0ES6_15HIP_vector_typeIjLj2EENS0_17counting_iteratorIjlEEPS9_SG_NS0_5tupleIJPjSI_NS0_16reverse_iteratorISI_EEEEENSH_IJSG_SG_SG_EEES9_SI_JZNS1_25segmented_radix_sort_implINS0_14default_configELb1EPK6__halfPSP_PKlPlN2at6native12_GLOBAL__N_18offset_tEEE10hipError_tPvRmT1_PNSt15iterator_traitsIS13_E10value_typeET2_T3_PNS14_IS19_E10value_typeET4_jRbjT5_S1F_jjP12ihipStream_tbEUljE_ZNSN_ISO_Lb1ESR_SS_SU_SV_SZ_EES10_S11_S12_S13_S17_S18_S19_S1C_S1D_jS1E_jS1F_S1F_jjS1H_bEUljE0_EEES10_S11_S12_S19_S1D_S1F_T6_T7_T9_mT8_S1H_bDpT10_ENKUlT_T0_E_clISt17integral_constantIbLb1EES1V_EEDaS1Q_S1R_EUlS1Q_E_NS1_11comp_targetILNS1_3genE3ELNS1_11target_archE908ELNS1_3gpuE7ELNS1_3repE0EEENS1_30default_config_static_selectorELNS0_4arch9wavefront6targetE0EEEvS13_: ; @_ZN7rocprim17ROCPRIM_400000_NS6detail17trampoline_kernelINS0_13select_configILj256ELj13ELNS0_17block_load_methodE3ELS4_3ELS4_3ELNS0_20block_scan_algorithmE0ELj4294967295EEENS1_25partition_config_selectorILNS1_17partition_subalgoE4EjNS0_10empty_typeEbEEZZNS1_14partition_implILS8_4ELb0ES6_15HIP_vector_typeIjLj2EENS0_17counting_iteratorIjlEEPS9_SG_NS0_5tupleIJPjSI_NS0_16reverse_iteratorISI_EEEEENSH_IJSG_SG_SG_EEES9_SI_JZNS1_25segmented_radix_sort_implINS0_14default_configELb1EPK6__halfPSP_PKlPlN2at6native12_GLOBAL__N_18offset_tEEE10hipError_tPvRmT1_PNSt15iterator_traitsIS13_E10value_typeET2_T3_PNS14_IS19_E10value_typeET4_jRbjT5_S1F_jjP12ihipStream_tbEUljE_ZNSN_ISO_Lb1ESR_SS_SU_SV_SZ_EES10_S11_S12_S13_S17_S18_S19_S1C_S1D_jS1E_jS1F_S1F_jjS1H_bEUljE0_EEES10_S11_S12_S19_S1D_S1F_T6_T7_T9_mT8_S1H_bDpT10_ENKUlT_T0_E_clISt17integral_constantIbLb1EES1V_EEDaS1Q_S1R_EUlS1Q_E_NS1_11comp_targetILNS1_3genE3ELNS1_11target_archE908ELNS1_3gpuE7ELNS1_3repE0EEENS1_30default_config_static_selectorELNS0_4arch9wavefront6targetE0EEEvS13_
; %bb.0:
	.section	.rodata,"a",@progbits
	.p2align	6, 0x0
	.amdhsa_kernel _ZN7rocprim17ROCPRIM_400000_NS6detail17trampoline_kernelINS0_13select_configILj256ELj13ELNS0_17block_load_methodE3ELS4_3ELS4_3ELNS0_20block_scan_algorithmE0ELj4294967295EEENS1_25partition_config_selectorILNS1_17partition_subalgoE4EjNS0_10empty_typeEbEEZZNS1_14partition_implILS8_4ELb0ES6_15HIP_vector_typeIjLj2EENS0_17counting_iteratorIjlEEPS9_SG_NS0_5tupleIJPjSI_NS0_16reverse_iteratorISI_EEEEENSH_IJSG_SG_SG_EEES9_SI_JZNS1_25segmented_radix_sort_implINS0_14default_configELb1EPK6__halfPSP_PKlPlN2at6native12_GLOBAL__N_18offset_tEEE10hipError_tPvRmT1_PNSt15iterator_traitsIS13_E10value_typeET2_T3_PNS14_IS19_E10value_typeET4_jRbjT5_S1F_jjP12ihipStream_tbEUljE_ZNSN_ISO_Lb1ESR_SS_SU_SV_SZ_EES10_S11_S12_S13_S17_S18_S19_S1C_S1D_jS1E_jS1F_S1F_jjS1H_bEUljE0_EEES10_S11_S12_S19_S1D_S1F_T6_T7_T9_mT8_S1H_bDpT10_ENKUlT_T0_E_clISt17integral_constantIbLb1EES1V_EEDaS1Q_S1R_EUlS1Q_E_NS1_11comp_targetILNS1_3genE3ELNS1_11target_archE908ELNS1_3gpuE7ELNS1_3repE0EEENS1_30default_config_static_selectorELNS0_4arch9wavefront6targetE0EEEvS13_
		.amdhsa_group_segment_fixed_size 0
		.amdhsa_private_segment_fixed_size 0
		.amdhsa_kernarg_size 184
		.amdhsa_user_sgpr_count 6
		.amdhsa_user_sgpr_private_segment_buffer 1
		.amdhsa_user_sgpr_dispatch_ptr 0
		.amdhsa_user_sgpr_queue_ptr 0
		.amdhsa_user_sgpr_kernarg_segment_ptr 1
		.amdhsa_user_sgpr_dispatch_id 0
		.amdhsa_user_sgpr_flat_scratch_init 0
		.amdhsa_user_sgpr_private_segment_size 0
		.amdhsa_wavefront_size32 1
		.amdhsa_uses_dynamic_stack 0
		.amdhsa_system_sgpr_private_segment_wavefront_offset 0
		.amdhsa_system_sgpr_workgroup_id_x 1
		.amdhsa_system_sgpr_workgroup_id_y 0
		.amdhsa_system_sgpr_workgroup_id_z 0
		.amdhsa_system_sgpr_workgroup_info 0
		.amdhsa_system_vgpr_workitem_id 0
		.amdhsa_next_free_vgpr 1
		.amdhsa_next_free_sgpr 1
		.amdhsa_reserve_vcc 0
		.amdhsa_reserve_flat_scratch 0
		.amdhsa_float_round_mode_32 0
		.amdhsa_float_round_mode_16_64 0
		.amdhsa_float_denorm_mode_32 3
		.amdhsa_float_denorm_mode_16_64 3
		.amdhsa_dx10_clamp 1
		.amdhsa_ieee_mode 1
		.amdhsa_fp16_overflow 0
		.amdhsa_workgroup_processor_mode 1
		.amdhsa_memory_ordered 1
		.amdhsa_forward_progress 1
		.amdhsa_shared_vgpr_count 0
		.amdhsa_exception_fp_ieee_invalid_op 0
		.amdhsa_exception_fp_denorm_src 0
		.amdhsa_exception_fp_ieee_div_zero 0
		.amdhsa_exception_fp_ieee_overflow 0
		.amdhsa_exception_fp_ieee_underflow 0
		.amdhsa_exception_fp_ieee_inexact 0
		.amdhsa_exception_int_div_zero 0
	.end_amdhsa_kernel
	.section	.text._ZN7rocprim17ROCPRIM_400000_NS6detail17trampoline_kernelINS0_13select_configILj256ELj13ELNS0_17block_load_methodE3ELS4_3ELS4_3ELNS0_20block_scan_algorithmE0ELj4294967295EEENS1_25partition_config_selectorILNS1_17partition_subalgoE4EjNS0_10empty_typeEbEEZZNS1_14partition_implILS8_4ELb0ES6_15HIP_vector_typeIjLj2EENS0_17counting_iteratorIjlEEPS9_SG_NS0_5tupleIJPjSI_NS0_16reverse_iteratorISI_EEEEENSH_IJSG_SG_SG_EEES9_SI_JZNS1_25segmented_radix_sort_implINS0_14default_configELb1EPK6__halfPSP_PKlPlN2at6native12_GLOBAL__N_18offset_tEEE10hipError_tPvRmT1_PNSt15iterator_traitsIS13_E10value_typeET2_T3_PNS14_IS19_E10value_typeET4_jRbjT5_S1F_jjP12ihipStream_tbEUljE_ZNSN_ISO_Lb1ESR_SS_SU_SV_SZ_EES10_S11_S12_S13_S17_S18_S19_S1C_S1D_jS1E_jS1F_S1F_jjS1H_bEUljE0_EEES10_S11_S12_S19_S1D_S1F_T6_T7_T9_mT8_S1H_bDpT10_ENKUlT_T0_E_clISt17integral_constantIbLb1EES1V_EEDaS1Q_S1R_EUlS1Q_E_NS1_11comp_targetILNS1_3genE3ELNS1_11target_archE908ELNS1_3gpuE7ELNS1_3repE0EEENS1_30default_config_static_selectorELNS0_4arch9wavefront6targetE0EEEvS13_,"axG",@progbits,_ZN7rocprim17ROCPRIM_400000_NS6detail17trampoline_kernelINS0_13select_configILj256ELj13ELNS0_17block_load_methodE3ELS4_3ELS4_3ELNS0_20block_scan_algorithmE0ELj4294967295EEENS1_25partition_config_selectorILNS1_17partition_subalgoE4EjNS0_10empty_typeEbEEZZNS1_14partition_implILS8_4ELb0ES6_15HIP_vector_typeIjLj2EENS0_17counting_iteratorIjlEEPS9_SG_NS0_5tupleIJPjSI_NS0_16reverse_iteratorISI_EEEEENSH_IJSG_SG_SG_EEES9_SI_JZNS1_25segmented_radix_sort_implINS0_14default_configELb1EPK6__halfPSP_PKlPlN2at6native12_GLOBAL__N_18offset_tEEE10hipError_tPvRmT1_PNSt15iterator_traitsIS13_E10value_typeET2_T3_PNS14_IS19_E10value_typeET4_jRbjT5_S1F_jjP12ihipStream_tbEUljE_ZNSN_ISO_Lb1ESR_SS_SU_SV_SZ_EES10_S11_S12_S13_S17_S18_S19_S1C_S1D_jS1E_jS1F_S1F_jjS1H_bEUljE0_EEES10_S11_S12_S19_S1D_S1F_T6_T7_T9_mT8_S1H_bDpT10_ENKUlT_T0_E_clISt17integral_constantIbLb1EES1V_EEDaS1Q_S1R_EUlS1Q_E_NS1_11comp_targetILNS1_3genE3ELNS1_11target_archE908ELNS1_3gpuE7ELNS1_3repE0EEENS1_30default_config_static_selectorELNS0_4arch9wavefront6targetE0EEEvS13_,comdat
.Lfunc_end1676:
	.size	_ZN7rocprim17ROCPRIM_400000_NS6detail17trampoline_kernelINS0_13select_configILj256ELj13ELNS0_17block_load_methodE3ELS4_3ELS4_3ELNS0_20block_scan_algorithmE0ELj4294967295EEENS1_25partition_config_selectorILNS1_17partition_subalgoE4EjNS0_10empty_typeEbEEZZNS1_14partition_implILS8_4ELb0ES6_15HIP_vector_typeIjLj2EENS0_17counting_iteratorIjlEEPS9_SG_NS0_5tupleIJPjSI_NS0_16reverse_iteratorISI_EEEEENSH_IJSG_SG_SG_EEES9_SI_JZNS1_25segmented_radix_sort_implINS0_14default_configELb1EPK6__halfPSP_PKlPlN2at6native12_GLOBAL__N_18offset_tEEE10hipError_tPvRmT1_PNSt15iterator_traitsIS13_E10value_typeET2_T3_PNS14_IS19_E10value_typeET4_jRbjT5_S1F_jjP12ihipStream_tbEUljE_ZNSN_ISO_Lb1ESR_SS_SU_SV_SZ_EES10_S11_S12_S13_S17_S18_S19_S1C_S1D_jS1E_jS1F_S1F_jjS1H_bEUljE0_EEES10_S11_S12_S19_S1D_S1F_T6_T7_T9_mT8_S1H_bDpT10_ENKUlT_T0_E_clISt17integral_constantIbLb1EES1V_EEDaS1Q_S1R_EUlS1Q_E_NS1_11comp_targetILNS1_3genE3ELNS1_11target_archE908ELNS1_3gpuE7ELNS1_3repE0EEENS1_30default_config_static_selectorELNS0_4arch9wavefront6targetE0EEEvS13_, .Lfunc_end1676-_ZN7rocprim17ROCPRIM_400000_NS6detail17trampoline_kernelINS0_13select_configILj256ELj13ELNS0_17block_load_methodE3ELS4_3ELS4_3ELNS0_20block_scan_algorithmE0ELj4294967295EEENS1_25partition_config_selectorILNS1_17partition_subalgoE4EjNS0_10empty_typeEbEEZZNS1_14partition_implILS8_4ELb0ES6_15HIP_vector_typeIjLj2EENS0_17counting_iteratorIjlEEPS9_SG_NS0_5tupleIJPjSI_NS0_16reverse_iteratorISI_EEEEENSH_IJSG_SG_SG_EEES9_SI_JZNS1_25segmented_radix_sort_implINS0_14default_configELb1EPK6__halfPSP_PKlPlN2at6native12_GLOBAL__N_18offset_tEEE10hipError_tPvRmT1_PNSt15iterator_traitsIS13_E10value_typeET2_T3_PNS14_IS19_E10value_typeET4_jRbjT5_S1F_jjP12ihipStream_tbEUljE_ZNSN_ISO_Lb1ESR_SS_SU_SV_SZ_EES10_S11_S12_S13_S17_S18_S19_S1C_S1D_jS1E_jS1F_S1F_jjS1H_bEUljE0_EEES10_S11_S12_S19_S1D_S1F_T6_T7_T9_mT8_S1H_bDpT10_ENKUlT_T0_E_clISt17integral_constantIbLb1EES1V_EEDaS1Q_S1R_EUlS1Q_E_NS1_11comp_targetILNS1_3genE3ELNS1_11target_archE908ELNS1_3gpuE7ELNS1_3repE0EEENS1_30default_config_static_selectorELNS0_4arch9wavefront6targetE0EEEvS13_
                                        ; -- End function
	.set _ZN7rocprim17ROCPRIM_400000_NS6detail17trampoline_kernelINS0_13select_configILj256ELj13ELNS0_17block_load_methodE3ELS4_3ELS4_3ELNS0_20block_scan_algorithmE0ELj4294967295EEENS1_25partition_config_selectorILNS1_17partition_subalgoE4EjNS0_10empty_typeEbEEZZNS1_14partition_implILS8_4ELb0ES6_15HIP_vector_typeIjLj2EENS0_17counting_iteratorIjlEEPS9_SG_NS0_5tupleIJPjSI_NS0_16reverse_iteratorISI_EEEEENSH_IJSG_SG_SG_EEES9_SI_JZNS1_25segmented_radix_sort_implINS0_14default_configELb1EPK6__halfPSP_PKlPlN2at6native12_GLOBAL__N_18offset_tEEE10hipError_tPvRmT1_PNSt15iterator_traitsIS13_E10value_typeET2_T3_PNS14_IS19_E10value_typeET4_jRbjT5_S1F_jjP12ihipStream_tbEUljE_ZNSN_ISO_Lb1ESR_SS_SU_SV_SZ_EES10_S11_S12_S13_S17_S18_S19_S1C_S1D_jS1E_jS1F_S1F_jjS1H_bEUljE0_EEES10_S11_S12_S19_S1D_S1F_T6_T7_T9_mT8_S1H_bDpT10_ENKUlT_T0_E_clISt17integral_constantIbLb1EES1V_EEDaS1Q_S1R_EUlS1Q_E_NS1_11comp_targetILNS1_3genE3ELNS1_11target_archE908ELNS1_3gpuE7ELNS1_3repE0EEENS1_30default_config_static_selectorELNS0_4arch9wavefront6targetE0EEEvS13_.num_vgpr, 0
	.set _ZN7rocprim17ROCPRIM_400000_NS6detail17trampoline_kernelINS0_13select_configILj256ELj13ELNS0_17block_load_methodE3ELS4_3ELS4_3ELNS0_20block_scan_algorithmE0ELj4294967295EEENS1_25partition_config_selectorILNS1_17partition_subalgoE4EjNS0_10empty_typeEbEEZZNS1_14partition_implILS8_4ELb0ES6_15HIP_vector_typeIjLj2EENS0_17counting_iteratorIjlEEPS9_SG_NS0_5tupleIJPjSI_NS0_16reverse_iteratorISI_EEEEENSH_IJSG_SG_SG_EEES9_SI_JZNS1_25segmented_radix_sort_implINS0_14default_configELb1EPK6__halfPSP_PKlPlN2at6native12_GLOBAL__N_18offset_tEEE10hipError_tPvRmT1_PNSt15iterator_traitsIS13_E10value_typeET2_T3_PNS14_IS19_E10value_typeET4_jRbjT5_S1F_jjP12ihipStream_tbEUljE_ZNSN_ISO_Lb1ESR_SS_SU_SV_SZ_EES10_S11_S12_S13_S17_S18_S19_S1C_S1D_jS1E_jS1F_S1F_jjS1H_bEUljE0_EEES10_S11_S12_S19_S1D_S1F_T6_T7_T9_mT8_S1H_bDpT10_ENKUlT_T0_E_clISt17integral_constantIbLb1EES1V_EEDaS1Q_S1R_EUlS1Q_E_NS1_11comp_targetILNS1_3genE3ELNS1_11target_archE908ELNS1_3gpuE7ELNS1_3repE0EEENS1_30default_config_static_selectorELNS0_4arch9wavefront6targetE0EEEvS13_.num_agpr, 0
	.set _ZN7rocprim17ROCPRIM_400000_NS6detail17trampoline_kernelINS0_13select_configILj256ELj13ELNS0_17block_load_methodE3ELS4_3ELS4_3ELNS0_20block_scan_algorithmE0ELj4294967295EEENS1_25partition_config_selectorILNS1_17partition_subalgoE4EjNS0_10empty_typeEbEEZZNS1_14partition_implILS8_4ELb0ES6_15HIP_vector_typeIjLj2EENS0_17counting_iteratorIjlEEPS9_SG_NS0_5tupleIJPjSI_NS0_16reverse_iteratorISI_EEEEENSH_IJSG_SG_SG_EEES9_SI_JZNS1_25segmented_radix_sort_implINS0_14default_configELb1EPK6__halfPSP_PKlPlN2at6native12_GLOBAL__N_18offset_tEEE10hipError_tPvRmT1_PNSt15iterator_traitsIS13_E10value_typeET2_T3_PNS14_IS19_E10value_typeET4_jRbjT5_S1F_jjP12ihipStream_tbEUljE_ZNSN_ISO_Lb1ESR_SS_SU_SV_SZ_EES10_S11_S12_S13_S17_S18_S19_S1C_S1D_jS1E_jS1F_S1F_jjS1H_bEUljE0_EEES10_S11_S12_S19_S1D_S1F_T6_T7_T9_mT8_S1H_bDpT10_ENKUlT_T0_E_clISt17integral_constantIbLb1EES1V_EEDaS1Q_S1R_EUlS1Q_E_NS1_11comp_targetILNS1_3genE3ELNS1_11target_archE908ELNS1_3gpuE7ELNS1_3repE0EEENS1_30default_config_static_selectorELNS0_4arch9wavefront6targetE0EEEvS13_.numbered_sgpr, 0
	.set _ZN7rocprim17ROCPRIM_400000_NS6detail17trampoline_kernelINS0_13select_configILj256ELj13ELNS0_17block_load_methodE3ELS4_3ELS4_3ELNS0_20block_scan_algorithmE0ELj4294967295EEENS1_25partition_config_selectorILNS1_17partition_subalgoE4EjNS0_10empty_typeEbEEZZNS1_14partition_implILS8_4ELb0ES6_15HIP_vector_typeIjLj2EENS0_17counting_iteratorIjlEEPS9_SG_NS0_5tupleIJPjSI_NS0_16reverse_iteratorISI_EEEEENSH_IJSG_SG_SG_EEES9_SI_JZNS1_25segmented_radix_sort_implINS0_14default_configELb1EPK6__halfPSP_PKlPlN2at6native12_GLOBAL__N_18offset_tEEE10hipError_tPvRmT1_PNSt15iterator_traitsIS13_E10value_typeET2_T3_PNS14_IS19_E10value_typeET4_jRbjT5_S1F_jjP12ihipStream_tbEUljE_ZNSN_ISO_Lb1ESR_SS_SU_SV_SZ_EES10_S11_S12_S13_S17_S18_S19_S1C_S1D_jS1E_jS1F_S1F_jjS1H_bEUljE0_EEES10_S11_S12_S19_S1D_S1F_T6_T7_T9_mT8_S1H_bDpT10_ENKUlT_T0_E_clISt17integral_constantIbLb1EES1V_EEDaS1Q_S1R_EUlS1Q_E_NS1_11comp_targetILNS1_3genE3ELNS1_11target_archE908ELNS1_3gpuE7ELNS1_3repE0EEENS1_30default_config_static_selectorELNS0_4arch9wavefront6targetE0EEEvS13_.num_named_barrier, 0
	.set _ZN7rocprim17ROCPRIM_400000_NS6detail17trampoline_kernelINS0_13select_configILj256ELj13ELNS0_17block_load_methodE3ELS4_3ELS4_3ELNS0_20block_scan_algorithmE0ELj4294967295EEENS1_25partition_config_selectorILNS1_17partition_subalgoE4EjNS0_10empty_typeEbEEZZNS1_14partition_implILS8_4ELb0ES6_15HIP_vector_typeIjLj2EENS0_17counting_iteratorIjlEEPS9_SG_NS0_5tupleIJPjSI_NS0_16reverse_iteratorISI_EEEEENSH_IJSG_SG_SG_EEES9_SI_JZNS1_25segmented_radix_sort_implINS0_14default_configELb1EPK6__halfPSP_PKlPlN2at6native12_GLOBAL__N_18offset_tEEE10hipError_tPvRmT1_PNSt15iterator_traitsIS13_E10value_typeET2_T3_PNS14_IS19_E10value_typeET4_jRbjT5_S1F_jjP12ihipStream_tbEUljE_ZNSN_ISO_Lb1ESR_SS_SU_SV_SZ_EES10_S11_S12_S13_S17_S18_S19_S1C_S1D_jS1E_jS1F_S1F_jjS1H_bEUljE0_EEES10_S11_S12_S19_S1D_S1F_T6_T7_T9_mT8_S1H_bDpT10_ENKUlT_T0_E_clISt17integral_constantIbLb1EES1V_EEDaS1Q_S1R_EUlS1Q_E_NS1_11comp_targetILNS1_3genE3ELNS1_11target_archE908ELNS1_3gpuE7ELNS1_3repE0EEENS1_30default_config_static_selectorELNS0_4arch9wavefront6targetE0EEEvS13_.private_seg_size, 0
	.set _ZN7rocprim17ROCPRIM_400000_NS6detail17trampoline_kernelINS0_13select_configILj256ELj13ELNS0_17block_load_methodE3ELS4_3ELS4_3ELNS0_20block_scan_algorithmE0ELj4294967295EEENS1_25partition_config_selectorILNS1_17partition_subalgoE4EjNS0_10empty_typeEbEEZZNS1_14partition_implILS8_4ELb0ES6_15HIP_vector_typeIjLj2EENS0_17counting_iteratorIjlEEPS9_SG_NS0_5tupleIJPjSI_NS0_16reverse_iteratorISI_EEEEENSH_IJSG_SG_SG_EEES9_SI_JZNS1_25segmented_radix_sort_implINS0_14default_configELb1EPK6__halfPSP_PKlPlN2at6native12_GLOBAL__N_18offset_tEEE10hipError_tPvRmT1_PNSt15iterator_traitsIS13_E10value_typeET2_T3_PNS14_IS19_E10value_typeET4_jRbjT5_S1F_jjP12ihipStream_tbEUljE_ZNSN_ISO_Lb1ESR_SS_SU_SV_SZ_EES10_S11_S12_S13_S17_S18_S19_S1C_S1D_jS1E_jS1F_S1F_jjS1H_bEUljE0_EEES10_S11_S12_S19_S1D_S1F_T6_T7_T9_mT8_S1H_bDpT10_ENKUlT_T0_E_clISt17integral_constantIbLb1EES1V_EEDaS1Q_S1R_EUlS1Q_E_NS1_11comp_targetILNS1_3genE3ELNS1_11target_archE908ELNS1_3gpuE7ELNS1_3repE0EEENS1_30default_config_static_selectorELNS0_4arch9wavefront6targetE0EEEvS13_.uses_vcc, 0
	.set _ZN7rocprim17ROCPRIM_400000_NS6detail17trampoline_kernelINS0_13select_configILj256ELj13ELNS0_17block_load_methodE3ELS4_3ELS4_3ELNS0_20block_scan_algorithmE0ELj4294967295EEENS1_25partition_config_selectorILNS1_17partition_subalgoE4EjNS0_10empty_typeEbEEZZNS1_14partition_implILS8_4ELb0ES6_15HIP_vector_typeIjLj2EENS0_17counting_iteratorIjlEEPS9_SG_NS0_5tupleIJPjSI_NS0_16reverse_iteratorISI_EEEEENSH_IJSG_SG_SG_EEES9_SI_JZNS1_25segmented_radix_sort_implINS0_14default_configELb1EPK6__halfPSP_PKlPlN2at6native12_GLOBAL__N_18offset_tEEE10hipError_tPvRmT1_PNSt15iterator_traitsIS13_E10value_typeET2_T3_PNS14_IS19_E10value_typeET4_jRbjT5_S1F_jjP12ihipStream_tbEUljE_ZNSN_ISO_Lb1ESR_SS_SU_SV_SZ_EES10_S11_S12_S13_S17_S18_S19_S1C_S1D_jS1E_jS1F_S1F_jjS1H_bEUljE0_EEES10_S11_S12_S19_S1D_S1F_T6_T7_T9_mT8_S1H_bDpT10_ENKUlT_T0_E_clISt17integral_constantIbLb1EES1V_EEDaS1Q_S1R_EUlS1Q_E_NS1_11comp_targetILNS1_3genE3ELNS1_11target_archE908ELNS1_3gpuE7ELNS1_3repE0EEENS1_30default_config_static_selectorELNS0_4arch9wavefront6targetE0EEEvS13_.uses_flat_scratch, 0
	.set _ZN7rocprim17ROCPRIM_400000_NS6detail17trampoline_kernelINS0_13select_configILj256ELj13ELNS0_17block_load_methodE3ELS4_3ELS4_3ELNS0_20block_scan_algorithmE0ELj4294967295EEENS1_25partition_config_selectorILNS1_17partition_subalgoE4EjNS0_10empty_typeEbEEZZNS1_14partition_implILS8_4ELb0ES6_15HIP_vector_typeIjLj2EENS0_17counting_iteratorIjlEEPS9_SG_NS0_5tupleIJPjSI_NS0_16reverse_iteratorISI_EEEEENSH_IJSG_SG_SG_EEES9_SI_JZNS1_25segmented_radix_sort_implINS0_14default_configELb1EPK6__halfPSP_PKlPlN2at6native12_GLOBAL__N_18offset_tEEE10hipError_tPvRmT1_PNSt15iterator_traitsIS13_E10value_typeET2_T3_PNS14_IS19_E10value_typeET4_jRbjT5_S1F_jjP12ihipStream_tbEUljE_ZNSN_ISO_Lb1ESR_SS_SU_SV_SZ_EES10_S11_S12_S13_S17_S18_S19_S1C_S1D_jS1E_jS1F_S1F_jjS1H_bEUljE0_EEES10_S11_S12_S19_S1D_S1F_T6_T7_T9_mT8_S1H_bDpT10_ENKUlT_T0_E_clISt17integral_constantIbLb1EES1V_EEDaS1Q_S1R_EUlS1Q_E_NS1_11comp_targetILNS1_3genE3ELNS1_11target_archE908ELNS1_3gpuE7ELNS1_3repE0EEENS1_30default_config_static_selectorELNS0_4arch9wavefront6targetE0EEEvS13_.has_dyn_sized_stack, 0
	.set _ZN7rocprim17ROCPRIM_400000_NS6detail17trampoline_kernelINS0_13select_configILj256ELj13ELNS0_17block_load_methodE3ELS4_3ELS4_3ELNS0_20block_scan_algorithmE0ELj4294967295EEENS1_25partition_config_selectorILNS1_17partition_subalgoE4EjNS0_10empty_typeEbEEZZNS1_14partition_implILS8_4ELb0ES6_15HIP_vector_typeIjLj2EENS0_17counting_iteratorIjlEEPS9_SG_NS0_5tupleIJPjSI_NS0_16reverse_iteratorISI_EEEEENSH_IJSG_SG_SG_EEES9_SI_JZNS1_25segmented_radix_sort_implINS0_14default_configELb1EPK6__halfPSP_PKlPlN2at6native12_GLOBAL__N_18offset_tEEE10hipError_tPvRmT1_PNSt15iterator_traitsIS13_E10value_typeET2_T3_PNS14_IS19_E10value_typeET4_jRbjT5_S1F_jjP12ihipStream_tbEUljE_ZNSN_ISO_Lb1ESR_SS_SU_SV_SZ_EES10_S11_S12_S13_S17_S18_S19_S1C_S1D_jS1E_jS1F_S1F_jjS1H_bEUljE0_EEES10_S11_S12_S19_S1D_S1F_T6_T7_T9_mT8_S1H_bDpT10_ENKUlT_T0_E_clISt17integral_constantIbLb1EES1V_EEDaS1Q_S1R_EUlS1Q_E_NS1_11comp_targetILNS1_3genE3ELNS1_11target_archE908ELNS1_3gpuE7ELNS1_3repE0EEENS1_30default_config_static_selectorELNS0_4arch9wavefront6targetE0EEEvS13_.has_recursion, 0
	.set _ZN7rocprim17ROCPRIM_400000_NS6detail17trampoline_kernelINS0_13select_configILj256ELj13ELNS0_17block_load_methodE3ELS4_3ELS4_3ELNS0_20block_scan_algorithmE0ELj4294967295EEENS1_25partition_config_selectorILNS1_17partition_subalgoE4EjNS0_10empty_typeEbEEZZNS1_14partition_implILS8_4ELb0ES6_15HIP_vector_typeIjLj2EENS0_17counting_iteratorIjlEEPS9_SG_NS0_5tupleIJPjSI_NS0_16reverse_iteratorISI_EEEEENSH_IJSG_SG_SG_EEES9_SI_JZNS1_25segmented_radix_sort_implINS0_14default_configELb1EPK6__halfPSP_PKlPlN2at6native12_GLOBAL__N_18offset_tEEE10hipError_tPvRmT1_PNSt15iterator_traitsIS13_E10value_typeET2_T3_PNS14_IS19_E10value_typeET4_jRbjT5_S1F_jjP12ihipStream_tbEUljE_ZNSN_ISO_Lb1ESR_SS_SU_SV_SZ_EES10_S11_S12_S13_S17_S18_S19_S1C_S1D_jS1E_jS1F_S1F_jjS1H_bEUljE0_EEES10_S11_S12_S19_S1D_S1F_T6_T7_T9_mT8_S1H_bDpT10_ENKUlT_T0_E_clISt17integral_constantIbLb1EES1V_EEDaS1Q_S1R_EUlS1Q_E_NS1_11comp_targetILNS1_3genE3ELNS1_11target_archE908ELNS1_3gpuE7ELNS1_3repE0EEENS1_30default_config_static_selectorELNS0_4arch9wavefront6targetE0EEEvS13_.has_indirect_call, 0
	.section	.AMDGPU.csdata,"",@progbits
; Kernel info:
; codeLenInByte = 0
; TotalNumSgprs: 0
; NumVgprs: 0
; ScratchSize: 0
; MemoryBound: 0
; FloatMode: 240
; IeeeMode: 1
; LDSByteSize: 0 bytes/workgroup (compile time only)
; SGPRBlocks: 0
; VGPRBlocks: 0
; NumSGPRsForWavesPerEU: 1
; NumVGPRsForWavesPerEU: 1
; Occupancy: 16
; WaveLimiterHint : 0
; COMPUTE_PGM_RSRC2:SCRATCH_EN: 0
; COMPUTE_PGM_RSRC2:USER_SGPR: 6
; COMPUTE_PGM_RSRC2:TRAP_HANDLER: 0
; COMPUTE_PGM_RSRC2:TGID_X_EN: 1
; COMPUTE_PGM_RSRC2:TGID_Y_EN: 0
; COMPUTE_PGM_RSRC2:TGID_Z_EN: 0
; COMPUTE_PGM_RSRC2:TIDIG_COMP_CNT: 0
	.section	.text._ZN7rocprim17ROCPRIM_400000_NS6detail17trampoline_kernelINS0_13select_configILj256ELj13ELNS0_17block_load_methodE3ELS4_3ELS4_3ELNS0_20block_scan_algorithmE0ELj4294967295EEENS1_25partition_config_selectorILNS1_17partition_subalgoE4EjNS0_10empty_typeEbEEZZNS1_14partition_implILS8_4ELb0ES6_15HIP_vector_typeIjLj2EENS0_17counting_iteratorIjlEEPS9_SG_NS0_5tupleIJPjSI_NS0_16reverse_iteratorISI_EEEEENSH_IJSG_SG_SG_EEES9_SI_JZNS1_25segmented_radix_sort_implINS0_14default_configELb1EPK6__halfPSP_PKlPlN2at6native12_GLOBAL__N_18offset_tEEE10hipError_tPvRmT1_PNSt15iterator_traitsIS13_E10value_typeET2_T3_PNS14_IS19_E10value_typeET4_jRbjT5_S1F_jjP12ihipStream_tbEUljE_ZNSN_ISO_Lb1ESR_SS_SU_SV_SZ_EES10_S11_S12_S13_S17_S18_S19_S1C_S1D_jS1E_jS1F_S1F_jjS1H_bEUljE0_EEES10_S11_S12_S19_S1D_S1F_T6_T7_T9_mT8_S1H_bDpT10_ENKUlT_T0_E_clISt17integral_constantIbLb1EES1V_EEDaS1Q_S1R_EUlS1Q_E_NS1_11comp_targetILNS1_3genE2ELNS1_11target_archE906ELNS1_3gpuE6ELNS1_3repE0EEENS1_30default_config_static_selectorELNS0_4arch9wavefront6targetE0EEEvS13_,"axG",@progbits,_ZN7rocprim17ROCPRIM_400000_NS6detail17trampoline_kernelINS0_13select_configILj256ELj13ELNS0_17block_load_methodE3ELS4_3ELS4_3ELNS0_20block_scan_algorithmE0ELj4294967295EEENS1_25partition_config_selectorILNS1_17partition_subalgoE4EjNS0_10empty_typeEbEEZZNS1_14partition_implILS8_4ELb0ES6_15HIP_vector_typeIjLj2EENS0_17counting_iteratorIjlEEPS9_SG_NS0_5tupleIJPjSI_NS0_16reverse_iteratorISI_EEEEENSH_IJSG_SG_SG_EEES9_SI_JZNS1_25segmented_radix_sort_implINS0_14default_configELb1EPK6__halfPSP_PKlPlN2at6native12_GLOBAL__N_18offset_tEEE10hipError_tPvRmT1_PNSt15iterator_traitsIS13_E10value_typeET2_T3_PNS14_IS19_E10value_typeET4_jRbjT5_S1F_jjP12ihipStream_tbEUljE_ZNSN_ISO_Lb1ESR_SS_SU_SV_SZ_EES10_S11_S12_S13_S17_S18_S19_S1C_S1D_jS1E_jS1F_S1F_jjS1H_bEUljE0_EEES10_S11_S12_S19_S1D_S1F_T6_T7_T9_mT8_S1H_bDpT10_ENKUlT_T0_E_clISt17integral_constantIbLb1EES1V_EEDaS1Q_S1R_EUlS1Q_E_NS1_11comp_targetILNS1_3genE2ELNS1_11target_archE906ELNS1_3gpuE6ELNS1_3repE0EEENS1_30default_config_static_selectorELNS0_4arch9wavefront6targetE0EEEvS13_,comdat
	.globl	_ZN7rocprim17ROCPRIM_400000_NS6detail17trampoline_kernelINS0_13select_configILj256ELj13ELNS0_17block_load_methodE3ELS4_3ELS4_3ELNS0_20block_scan_algorithmE0ELj4294967295EEENS1_25partition_config_selectorILNS1_17partition_subalgoE4EjNS0_10empty_typeEbEEZZNS1_14partition_implILS8_4ELb0ES6_15HIP_vector_typeIjLj2EENS0_17counting_iteratorIjlEEPS9_SG_NS0_5tupleIJPjSI_NS0_16reverse_iteratorISI_EEEEENSH_IJSG_SG_SG_EEES9_SI_JZNS1_25segmented_radix_sort_implINS0_14default_configELb1EPK6__halfPSP_PKlPlN2at6native12_GLOBAL__N_18offset_tEEE10hipError_tPvRmT1_PNSt15iterator_traitsIS13_E10value_typeET2_T3_PNS14_IS19_E10value_typeET4_jRbjT5_S1F_jjP12ihipStream_tbEUljE_ZNSN_ISO_Lb1ESR_SS_SU_SV_SZ_EES10_S11_S12_S13_S17_S18_S19_S1C_S1D_jS1E_jS1F_S1F_jjS1H_bEUljE0_EEES10_S11_S12_S19_S1D_S1F_T6_T7_T9_mT8_S1H_bDpT10_ENKUlT_T0_E_clISt17integral_constantIbLb1EES1V_EEDaS1Q_S1R_EUlS1Q_E_NS1_11comp_targetILNS1_3genE2ELNS1_11target_archE906ELNS1_3gpuE6ELNS1_3repE0EEENS1_30default_config_static_selectorELNS0_4arch9wavefront6targetE0EEEvS13_ ; -- Begin function _ZN7rocprim17ROCPRIM_400000_NS6detail17trampoline_kernelINS0_13select_configILj256ELj13ELNS0_17block_load_methodE3ELS4_3ELS4_3ELNS0_20block_scan_algorithmE0ELj4294967295EEENS1_25partition_config_selectorILNS1_17partition_subalgoE4EjNS0_10empty_typeEbEEZZNS1_14partition_implILS8_4ELb0ES6_15HIP_vector_typeIjLj2EENS0_17counting_iteratorIjlEEPS9_SG_NS0_5tupleIJPjSI_NS0_16reverse_iteratorISI_EEEEENSH_IJSG_SG_SG_EEES9_SI_JZNS1_25segmented_radix_sort_implINS0_14default_configELb1EPK6__halfPSP_PKlPlN2at6native12_GLOBAL__N_18offset_tEEE10hipError_tPvRmT1_PNSt15iterator_traitsIS13_E10value_typeET2_T3_PNS14_IS19_E10value_typeET4_jRbjT5_S1F_jjP12ihipStream_tbEUljE_ZNSN_ISO_Lb1ESR_SS_SU_SV_SZ_EES10_S11_S12_S13_S17_S18_S19_S1C_S1D_jS1E_jS1F_S1F_jjS1H_bEUljE0_EEES10_S11_S12_S19_S1D_S1F_T6_T7_T9_mT8_S1H_bDpT10_ENKUlT_T0_E_clISt17integral_constantIbLb1EES1V_EEDaS1Q_S1R_EUlS1Q_E_NS1_11comp_targetILNS1_3genE2ELNS1_11target_archE906ELNS1_3gpuE6ELNS1_3repE0EEENS1_30default_config_static_selectorELNS0_4arch9wavefront6targetE0EEEvS13_
	.p2align	8
	.type	_ZN7rocprim17ROCPRIM_400000_NS6detail17trampoline_kernelINS0_13select_configILj256ELj13ELNS0_17block_load_methodE3ELS4_3ELS4_3ELNS0_20block_scan_algorithmE0ELj4294967295EEENS1_25partition_config_selectorILNS1_17partition_subalgoE4EjNS0_10empty_typeEbEEZZNS1_14partition_implILS8_4ELb0ES6_15HIP_vector_typeIjLj2EENS0_17counting_iteratorIjlEEPS9_SG_NS0_5tupleIJPjSI_NS0_16reverse_iteratorISI_EEEEENSH_IJSG_SG_SG_EEES9_SI_JZNS1_25segmented_radix_sort_implINS0_14default_configELb1EPK6__halfPSP_PKlPlN2at6native12_GLOBAL__N_18offset_tEEE10hipError_tPvRmT1_PNSt15iterator_traitsIS13_E10value_typeET2_T3_PNS14_IS19_E10value_typeET4_jRbjT5_S1F_jjP12ihipStream_tbEUljE_ZNSN_ISO_Lb1ESR_SS_SU_SV_SZ_EES10_S11_S12_S13_S17_S18_S19_S1C_S1D_jS1E_jS1F_S1F_jjS1H_bEUljE0_EEES10_S11_S12_S19_S1D_S1F_T6_T7_T9_mT8_S1H_bDpT10_ENKUlT_T0_E_clISt17integral_constantIbLb1EES1V_EEDaS1Q_S1R_EUlS1Q_E_NS1_11comp_targetILNS1_3genE2ELNS1_11target_archE906ELNS1_3gpuE6ELNS1_3repE0EEENS1_30default_config_static_selectorELNS0_4arch9wavefront6targetE0EEEvS13_,@function
_ZN7rocprim17ROCPRIM_400000_NS6detail17trampoline_kernelINS0_13select_configILj256ELj13ELNS0_17block_load_methodE3ELS4_3ELS4_3ELNS0_20block_scan_algorithmE0ELj4294967295EEENS1_25partition_config_selectorILNS1_17partition_subalgoE4EjNS0_10empty_typeEbEEZZNS1_14partition_implILS8_4ELb0ES6_15HIP_vector_typeIjLj2EENS0_17counting_iteratorIjlEEPS9_SG_NS0_5tupleIJPjSI_NS0_16reverse_iteratorISI_EEEEENSH_IJSG_SG_SG_EEES9_SI_JZNS1_25segmented_radix_sort_implINS0_14default_configELb1EPK6__halfPSP_PKlPlN2at6native12_GLOBAL__N_18offset_tEEE10hipError_tPvRmT1_PNSt15iterator_traitsIS13_E10value_typeET2_T3_PNS14_IS19_E10value_typeET4_jRbjT5_S1F_jjP12ihipStream_tbEUljE_ZNSN_ISO_Lb1ESR_SS_SU_SV_SZ_EES10_S11_S12_S13_S17_S18_S19_S1C_S1D_jS1E_jS1F_S1F_jjS1H_bEUljE0_EEES10_S11_S12_S19_S1D_S1F_T6_T7_T9_mT8_S1H_bDpT10_ENKUlT_T0_E_clISt17integral_constantIbLb1EES1V_EEDaS1Q_S1R_EUlS1Q_E_NS1_11comp_targetILNS1_3genE2ELNS1_11target_archE906ELNS1_3gpuE6ELNS1_3repE0EEENS1_30default_config_static_selectorELNS0_4arch9wavefront6targetE0EEEvS13_: ; @_ZN7rocprim17ROCPRIM_400000_NS6detail17trampoline_kernelINS0_13select_configILj256ELj13ELNS0_17block_load_methodE3ELS4_3ELS4_3ELNS0_20block_scan_algorithmE0ELj4294967295EEENS1_25partition_config_selectorILNS1_17partition_subalgoE4EjNS0_10empty_typeEbEEZZNS1_14partition_implILS8_4ELb0ES6_15HIP_vector_typeIjLj2EENS0_17counting_iteratorIjlEEPS9_SG_NS0_5tupleIJPjSI_NS0_16reverse_iteratorISI_EEEEENSH_IJSG_SG_SG_EEES9_SI_JZNS1_25segmented_radix_sort_implINS0_14default_configELb1EPK6__halfPSP_PKlPlN2at6native12_GLOBAL__N_18offset_tEEE10hipError_tPvRmT1_PNSt15iterator_traitsIS13_E10value_typeET2_T3_PNS14_IS19_E10value_typeET4_jRbjT5_S1F_jjP12ihipStream_tbEUljE_ZNSN_ISO_Lb1ESR_SS_SU_SV_SZ_EES10_S11_S12_S13_S17_S18_S19_S1C_S1D_jS1E_jS1F_S1F_jjS1H_bEUljE0_EEES10_S11_S12_S19_S1D_S1F_T6_T7_T9_mT8_S1H_bDpT10_ENKUlT_T0_E_clISt17integral_constantIbLb1EES1V_EEDaS1Q_S1R_EUlS1Q_E_NS1_11comp_targetILNS1_3genE2ELNS1_11target_archE906ELNS1_3gpuE6ELNS1_3repE0EEENS1_30default_config_static_selectorELNS0_4arch9wavefront6targetE0EEEvS13_
; %bb.0:
	.section	.rodata,"a",@progbits
	.p2align	6, 0x0
	.amdhsa_kernel _ZN7rocprim17ROCPRIM_400000_NS6detail17trampoline_kernelINS0_13select_configILj256ELj13ELNS0_17block_load_methodE3ELS4_3ELS4_3ELNS0_20block_scan_algorithmE0ELj4294967295EEENS1_25partition_config_selectorILNS1_17partition_subalgoE4EjNS0_10empty_typeEbEEZZNS1_14partition_implILS8_4ELb0ES6_15HIP_vector_typeIjLj2EENS0_17counting_iteratorIjlEEPS9_SG_NS0_5tupleIJPjSI_NS0_16reverse_iteratorISI_EEEEENSH_IJSG_SG_SG_EEES9_SI_JZNS1_25segmented_radix_sort_implINS0_14default_configELb1EPK6__halfPSP_PKlPlN2at6native12_GLOBAL__N_18offset_tEEE10hipError_tPvRmT1_PNSt15iterator_traitsIS13_E10value_typeET2_T3_PNS14_IS19_E10value_typeET4_jRbjT5_S1F_jjP12ihipStream_tbEUljE_ZNSN_ISO_Lb1ESR_SS_SU_SV_SZ_EES10_S11_S12_S13_S17_S18_S19_S1C_S1D_jS1E_jS1F_S1F_jjS1H_bEUljE0_EEES10_S11_S12_S19_S1D_S1F_T6_T7_T9_mT8_S1H_bDpT10_ENKUlT_T0_E_clISt17integral_constantIbLb1EES1V_EEDaS1Q_S1R_EUlS1Q_E_NS1_11comp_targetILNS1_3genE2ELNS1_11target_archE906ELNS1_3gpuE6ELNS1_3repE0EEENS1_30default_config_static_selectorELNS0_4arch9wavefront6targetE0EEEvS13_
		.amdhsa_group_segment_fixed_size 0
		.amdhsa_private_segment_fixed_size 0
		.amdhsa_kernarg_size 184
		.amdhsa_user_sgpr_count 6
		.amdhsa_user_sgpr_private_segment_buffer 1
		.amdhsa_user_sgpr_dispatch_ptr 0
		.amdhsa_user_sgpr_queue_ptr 0
		.amdhsa_user_sgpr_kernarg_segment_ptr 1
		.amdhsa_user_sgpr_dispatch_id 0
		.amdhsa_user_sgpr_flat_scratch_init 0
		.amdhsa_user_sgpr_private_segment_size 0
		.amdhsa_wavefront_size32 1
		.amdhsa_uses_dynamic_stack 0
		.amdhsa_system_sgpr_private_segment_wavefront_offset 0
		.amdhsa_system_sgpr_workgroup_id_x 1
		.amdhsa_system_sgpr_workgroup_id_y 0
		.amdhsa_system_sgpr_workgroup_id_z 0
		.amdhsa_system_sgpr_workgroup_info 0
		.amdhsa_system_vgpr_workitem_id 0
		.amdhsa_next_free_vgpr 1
		.amdhsa_next_free_sgpr 1
		.amdhsa_reserve_vcc 0
		.amdhsa_reserve_flat_scratch 0
		.amdhsa_float_round_mode_32 0
		.amdhsa_float_round_mode_16_64 0
		.amdhsa_float_denorm_mode_32 3
		.amdhsa_float_denorm_mode_16_64 3
		.amdhsa_dx10_clamp 1
		.amdhsa_ieee_mode 1
		.amdhsa_fp16_overflow 0
		.amdhsa_workgroup_processor_mode 1
		.amdhsa_memory_ordered 1
		.amdhsa_forward_progress 1
		.amdhsa_shared_vgpr_count 0
		.amdhsa_exception_fp_ieee_invalid_op 0
		.amdhsa_exception_fp_denorm_src 0
		.amdhsa_exception_fp_ieee_div_zero 0
		.amdhsa_exception_fp_ieee_overflow 0
		.amdhsa_exception_fp_ieee_underflow 0
		.amdhsa_exception_fp_ieee_inexact 0
		.amdhsa_exception_int_div_zero 0
	.end_amdhsa_kernel
	.section	.text._ZN7rocprim17ROCPRIM_400000_NS6detail17trampoline_kernelINS0_13select_configILj256ELj13ELNS0_17block_load_methodE3ELS4_3ELS4_3ELNS0_20block_scan_algorithmE0ELj4294967295EEENS1_25partition_config_selectorILNS1_17partition_subalgoE4EjNS0_10empty_typeEbEEZZNS1_14partition_implILS8_4ELb0ES6_15HIP_vector_typeIjLj2EENS0_17counting_iteratorIjlEEPS9_SG_NS0_5tupleIJPjSI_NS0_16reverse_iteratorISI_EEEEENSH_IJSG_SG_SG_EEES9_SI_JZNS1_25segmented_radix_sort_implINS0_14default_configELb1EPK6__halfPSP_PKlPlN2at6native12_GLOBAL__N_18offset_tEEE10hipError_tPvRmT1_PNSt15iterator_traitsIS13_E10value_typeET2_T3_PNS14_IS19_E10value_typeET4_jRbjT5_S1F_jjP12ihipStream_tbEUljE_ZNSN_ISO_Lb1ESR_SS_SU_SV_SZ_EES10_S11_S12_S13_S17_S18_S19_S1C_S1D_jS1E_jS1F_S1F_jjS1H_bEUljE0_EEES10_S11_S12_S19_S1D_S1F_T6_T7_T9_mT8_S1H_bDpT10_ENKUlT_T0_E_clISt17integral_constantIbLb1EES1V_EEDaS1Q_S1R_EUlS1Q_E_NS1_11comp_targetILNS1_3genE2ELNS1_11target_archE906ELNS1_3gpuE6ELNS1_3repE0EEENS1_30default_config_static_selectorELNS0_4arch9wavefront6targetE0EEEvS13_,"axG",@progbits,_ZN7rocprim17ROCPRIM_400000_NS6detail17trampoline_kernelINS0_13select_configILj256ELj13ELNS0_17block_load_methodE3ELS4_3ELS4_3ELNS0_20block_scan_algorithmE0ELj4294967295EEENS1_25partition_config_selectorILNS1_17partition_subalgoE4EjNS0_10empty_typeEbEEZZNS1_14partition_implILS8_4ELb0ES6_15HIP_vector_typeIjLj2EENS0_17counting_iteratorIjlEEPS9_SG_NS0_5tupleIJPjSI_NS0_16reverse_iteratorISI_EEEEENSH_IJSG_SG_SG_EEES9_SI_JZNS1_25segmented_radix_sort_implINS0_14default_configELb1EPK6__halfPSP_PKlPlN2at6native12_GLOBAL__N_18offset_tEEE10hipError_tPvRmT1_PNSt15iterator_traitsIS13_E10value_typeET2_T3_PNS14_IS19_E10value_typeET4_jRbjT5_S1F_jjP12ihipStream_tbEUljE_ZNSN_ISO_Lb1ESR_SS_SU_SV_SZ_EES10_S11_S12_S13_S17_S18_S19_S1C_S1D_jS1E_jS1F_S1F_jjS1H_bEUljE0_EEES10_S11_S12_S19_S1D_S1F_T6_T7_T9_mT8_S1H_bDpT10_ENKUlT_T0_E_clISt17integral_constantIbLb1EES1V_EEDaS1Q_S1R_EUlS1Q_E_NS1_11comp_targetILNS1_3genE2ELNS1_11target_archE906ELNS1_3gpuE6ELNS1_3repE0EEENS1_30default_config_static_selectorELNS0_4arch9wavefront6targetE0EEEvS13_,comdat
.Lfunc_end1677:
	.size	_ZN7rocprim17ROCPRIM_400000_NS6detail17trampoline_kernelINS0_13select_configILj256ELj13ELNS0_17block_load_methodE3ELS4_3ELS4_3ELNS0_20block_scan_algorithmE0ELj4294967295EEENS1_25partition_config_selectorILNS1_17partition_subalgoE4EjNS0_10empty_typeEbEEZZNS1_14partition_implILS8_4ELb0ES6_15HIP_vector_typeIjLj2EENS0_17counting_iteratorIjlEEPS9_SG_NS0_5tupleIJPjSI_NS0_16reverse_iteratorISI_EEEEENSH_IJSG_SG_SG_EEES9_SI_JZNS1_25segmented_radix_sort_implINS0_14default_configELb1EPK6__halfPSP_PKlPlN2at6native12_GLOBAL__N_18offset_tEEE10hipError_tPvRmT1_PNSt15iterator_traitsIS13_E10value_typeET2_T3_PNS14_IS19_E10value_typeET4_jRbjT5_S1F_jjP12ihipStream_tbEUljE_ZNSN_ISO_Lb1ESR_SS_SU_SV_SZ_EES10_S11_S12_S13_S17_S18_S19_S1C_S1D_jS1E_jS1F_S1F_jjS1H_bEUljE0_EEES10_S11_S12_S19_S1D_S1F_T6_T7_T9_mT8_S1H_bDpT10_ENKUlT_T0_E_clISt17integral_constantIbLb1EES1V_EEDaS1Q_S1R_EUlS1Q_E_NS1_11comp_targetILNS1_3genE2ELNS1_11target_archE906ELNS1_3gpuE6ELNS1_3repE0EEENS1_30default_config_static_selectorELNS0_4arch9wavefront6targetE0EEEvS13_, .Lfunc_end1677-_ZN7rocprim17ROCPRIM_400000_NS6detail17trampoline_kernelINS0_13select_configILj256ELj13ELNS0_17block_load_methodE3ELS4_3ELS4_3ELNS0_20block_scan_algorithmE0ELj4294967295EEENS1_25partition_config_selectorILNS1_17partition_subalgoE4EjNS0_10empty_typeEbEEZZNS1_14partition_implILS8_4ELb0ES6_15HIP_vector_typeIjLj2EENS0_17counting_iteratorIjlEEPS9_SG_NS0_5tupleIJPjSI_NS0_16reverse_iteratorISI_EEEEENSH_IJSG_SG_SG_EEES9_SI_JZNS1_25segmented_radix_sort_implINS0_14default_configELb1EPK6__halfPSP_PKlPlN2at6native12_GLOBAL__N_18offset_tEEE10hipError_tPvRmT1_PNSt15iterator_traitsIS13_E10value_typeET2_T3_PNS14_IS19_E10value_typeET4_jRbjT5_S1F_jjP12ihipStream_tbEUljE_ZNSN_ISO_Lb1ESR_SS_SU_SV_SZ_EES10_S11_S12_S13_S17_S18_S19_S1C_S1D_jS1E_jS1F_S1F_jjS1H_bEUljE0_EEES10_S11_S12_S19_S1D_S1F_T6_T7_T9_mT8_S1H_bDpT10_ENKUlT_T0_E_clISt17integral_constantIbLb1EES1V_EEDaS1Q_S1R_EUlS1Q_E_NS1_11comp_targetILNS1_3genE2ELNS1_11target_archE906ELNS1_3gpuE6ELNS1_3repE0EEENS1_30default_config_static_selectorELNS0_4arch9wavefront6targetE0EEEvS13_
                                        ; -- End function
	.set _ZN7rocprim17ROCPRIM_400000_NS6detail17trampoline_kernelINS0_13select_configILj256ELj13ELNS0_17block_load_methodE3ELS4_3ELS4_3ELNS0_20block_scan_algorithmE0ELj4294967295EEENS1_25partition_config_selectorILNS1_17partition_subalgoE4EjNS0_10empty_typeEbEEZZNS1_14partition_implILS8_4ELb0ES6_15HIP_vector_typeIjLj2EENS0_17counting_iteratorIjlEEPS9_SG_NS0_5tupleIJPjSI_NS0_16reverse_iteratorISI_EEEEENSH_IJSG_SG_SG_EEES9_SI_JZNS1_25segmented_radix_sort_implINS0_14default_configELb1EPK6__halfPSP_PKlPlN2at6native12_GLOBAL__N_18offset_tEEE10hipError_tPvRmT1_PNSt15iterator_traitsIS13_E10value_typeET2_T3_PNS14_IS19_E10value_typeET4_jRbjT5_S1F_jjP12ihipStream_tbEUljE_ZNSN_ISO_Lb1ESR_SS_SU_SV_SZ_EES10_S11_S12_S13_S17_S18_S19_S1C_S1D_jS1E_jS1F_S1F_jjS1H_bEUljE0_EEES10_S11_S12_S19_S1D_S1F_T6_T7_T9_mT8_S1H_bDpT10_ENKUlT_T0_E_clISt17integral_constantIbLb1EES1V_EEDaS1Q_S1R_EUlS1Q_E_NS1_11comp_targetILNS1_3genE2ELNS1_11target_archE906ELNS1_3gpuE6ELNS1_3repE0EEENS1_30default_config_static_selectorELNS0_4arch9wavefront6targetE0EEEvS13_.num_vgpr, 0
	.set _ZN7rocprim17ROCPRIM_400000_NS6detail17trampoline_kernelINS0_13select_configILj256ELj13ELNS0_17block_load_methodE3ELS4_3ELS4_3ELNS0_20block_scan_algorithmE0ELj4294967295EEENS1_25partition_config_selectorILNS1_17partition_subalgoE4EjNS0_10empty_typeEbEEZZNS1_14partition_implILS8_4ELb0ES6_15HIP_vector_typeIjLj2EENS0_17counting_iteratorIjlEEPS9_SG_NS0_5tupleIJPjSI_NS0_16reverse_iteratorISI_EEEEENSH_IJSG_SG_SG_EEES9_SI_JZNS1_25segmented_radix_sort_implINS0_14default_configELb1EPK6__halfPSP_PKlPlN2at6native12_GLOBAL__N_18offset_tEEE10hipError_tPvRmT1_PNSt15iterator_traitsIS13_E10value_typeET2_T3_PNS14_IS19_E10value_typeET4_jRbjT5_S1F_jjP12ihipStream_tbEUljE_ZNSN_ISO_Lb1ESR_SS_SU_SV_SZ_EES10_S11_S12_S13_S17_S18_S19_S1C_S1D_jS1E_jS1F_S1F_jjS1H_bEUljE0_EEES10_S11_S12_S19_S1D_S1F_T6_T7_T9_mT8_S1H_bDpT10_ENKUlT_T0_E_clISt17integral_constantIbLb1EES1V_EEDaS1Q_S1R_EUlS1Q_E_NS1_11comp_targetILNS1_3genE2ELNS1_11target_archE906ELNS1_3gpuE6ELNS1_3repE0EEENS1_30default_config_static_selectorELNS0_4arch9wavefront6targetE0EEEvS13_.num_agpr, 0
	.set _ZN7rocprim17ROCPRIM_400000_NS6detail17trampoline_kernelINS0_13select_configILj256ELj13ELNS0_17block_load_methodE3ELS4_3ELS4_3ELNS0_20block_scan_algorithmE0ELj4294967295EEENS1_25partition_config_selectorILNS1_17partition_subalgoE4EjNS0_10empty_typeEbEEZZNS1_14partition_implILS8_4ELb0ES6_15HIP_vector_typeIjLj2EENS0_17counting_iteratorIjlEEPS9_SG_NS0_5tupleIJPjSI_NS0_16reverse_iteratorISI_EEEEENSH_IJSG_SG_SG_EEES9_SI_JZNS1_25segmented_radix_sort_implINS0_14default_configELb1EPK6__halfPSP_PKlPlN2at6native12_GLOBAL__N_18offset_tEEE10hipError_tPvRmT1_PNSt15iterator_traitsIS13_E10value_typeET2_T3_PNS14_IS19_E10value_typeET4_jRbjT5_S1F_jjP12ihipStream_tbEUljE_ZNSN_ISO_Lb1ESR_SS_SU_SV_SZ_EES10_S11_S12_S13_S17_S18_S19_S1C_S1D_jS1E_jS1F_S1F_jjS1H_bEUljE0_EEES10_S11_S12_S19_S1D_S1F_T6_T7_T9_mT8_S1H_bDpT10_ENKUlT_T0_E_clISt17integral_constantIbLb1EES1V_EEDaS1Q_S1R_EUlS1Q_E_NS1_11comp_targetILNS1_3genE2ELNS1_11target_archE906ELNS1_3gpuE6ELNS1_3repE0EEENS1_30default_config_static_selectorELNS0_4arch9wavefront6targetE0EEEvS13_.numbered_sgpr, 0
	.set _ZN7rocprim17ROCPRIM_400000_NS6detail17trampoline_kernelINS0_13select_configILj256ELj13ELNS0_17block_load_methodE3ELS4_3ELS4_3ELNS0_20block_scan_algorithmE0ELj4294967295EEENS1_25partition_config_selectorILNS1_17partition_subalgoE4EjNS0_10empty_typeEbEEZZNS1_14partition_implILS8_4ELb0ES6_15HIP_vector_typeIjLj2EENS0_17counting_iteratorIjlEEPS9_SG_NS0_5tupleIJPjSI_NS0_16reverse_iteratorISI_EEEEENSH_IJSG_SG_SG_EEES9_SI_JZNS1_25segmented_radix_sort_implINS0_14default_configELb1EPK6__halfPSP_PKlPlN2at6native12_GLOBAL__N_18offset_tEEE10hipError_tPvRmT1_PNSt15iterator_traitsIS13_E10value_typeET2_T3_PNS14_IS19_E10value_typeET4_jRbjT5_S1F_jjP12ihipStream_tbEUljE_ZNSN_ISO_Lb1ESR_SS_SU_SV_SZ_EES10_S11_S12_S13_S17_S18_S19_S1C_S1D_jS1E_jS1F_S1F_jjS1H_bEUljE0_EEES10_S11_S12_S19_S1D_S1F_T6_T7_T9_mT8_S1H_bDpT10_ENKUlT_T0_E_clISt17integral_constantIbLb1EES1V_EEDaS1Q_S1R_EUlS1Q_E_NS1_11comp_targetILNS1_3genE2ELNS1_11target_archE906ELNS1_3gpuE6ELNS1_3repE0EEENS1_30default_config_static_selectorELNS0_4arch9wavefront6targetE0EEEvS13_.num_named_barrier, 0
	.set _ZN7rocprim17ROCPRIM_400000_NS6detail17trampoline_kernelINS0_13select_configILj256ELj13ELNS0_17block_load_methodE3ELS4_3ELS4_3ELNS0_20block_scan_algorithmE0ELj4294967295EEENS1_25partition_config_selectorILNS1_17partition_subalgoE4EjNS0_10empty_typeEbEEZZNS1_14partition_implILS8_4ELb0ES6_15HIP_vector_typeIjLj2EENS0_17counting_iteratorIjlEEPS9_SG_NS0_5tupleIJPjSI_NS0_16reverse_iteratorISI_EEEEENSH_IJSG_SG_SG_EEES9_SI_JZNS1_25segmented_radix_sort_implINS0_14default_configELb1EPK6__halfPSP_PKlPlN2at6native12_GLOBAL__N_18offset_tEEE10hipError_tPvRmT1_PNSt15iterator_traitsIS13_E10value_typeET2_T3_PNS14_IS19_E10value_typeET4_jRbjT5_S1F_jjP12ihipStream_tbEUljE_ZNSN_ISO_Lb1ESR_SS_SU_SV_SZ_EES10_S11_S12_S13_S17_S18_S19_S1C_S1D_jS1E_jS1F_S1F_jjS1H_bEUljE0_EEES10_S11_S12_S19_S1D_S1F_T6_T7_T9_mT8_S1H_bDpT10_ENKUlT_T0_E_clISt17integral_constantIbLb1EES1V_EEDaS1Q_S1R_EUlS1Q_E_NS1_11comp_targetILNS1_3genE2ELNS1_11target_archE906ELNS1_3gpuE6ELNS1_3repE0EEENS1_30default_config_static_selectorELNS0_4arch9wavefront6targetE0EEEvS13_.private_seg_size, 0
	.set _ZN7rocprim17ROCPRIM_400000_NS6detail17trampoline_kernelINS0_13select_configILj256ELj13ELNS0_17block_load_methodE3ELS4_3ELS4_3ELNS0_20block_scan_algorithmE0ELj4294967295EEENS1_25partition_config_selectorILNS1_17partition_subalgoE4EjNS0_10empty_typeEbEEZZNS1_14partition_implILS8_4ELb0ES6_15HIP_vector_typeIjLj2EENS0_17counting_iteratorIjlEEPS9_SG_NS0_5tupleIJPjSI_NS0_16reverse_iteratorISI_EEEEENSH_IJSG_SG_SG_EEES9_SI_JZNS1_25segmented_radix_sort_implINS0_14default_configELb1EPK6__halfPSP_PKlPlN2at6native12_GLOBAL__N_18offset_tEEE10hipError_tPvRmT1_PNSt15iterator_traitsIS13_E10value_typeET2_T3_PNS14_IS19_E10value_typeET4_jRbjT5_S1F_jjP12ihipStream_tbEUljE_ZNSN_ISO_Lb1ESR_SS_SU_SV_SZ_EES10_S11_S12_S13_S17_S18_S19_S1C_S1D_jS1E_jS1F_S1F_jjS1H_bEUljE0_EEES10_S11_S12_S19_S1D_S1F_T6_T7_T9_mT8_S1H_bDpT10_ENKUlT_T0_E_clISt17integral_constantIbLb1EES1V_EEDaS1Q_S1R_EUlS1Q_E_NS1_11comp_targetILNS1_3genE2ELNS1_11target_archE906ELNS1_3gpuE6ELNS1_3repE0EEENS1_30default_config_static_selectorELNS0_4arch9wavefront6targetE0EEEvS13_.uses_vcc, 0
	.set _ZN7rocprim17ROCPRIM_400000_NS6detail17trampoline_kernelINS0_13select_configILj256ELj13ELNS0_17block_load_methodE3ELS4_3ELS4_3ELNS0_20block_scan_algorithmE0ELj4294967295EEENS1_25partition_config_selectorILNS1_17partition_subalgoE4EjNS0_10empty_typeEbEEZZNS1_14partition_implILS8_4ELb0ES6_15HIP_vector_typeIjLj2EENS0_17counting_iteratorIjlEEPS9_SG_NS0_5tupleIJPjSI_NS0_16reverse_iteratorISI_EEEEENSH_IJSG_SG_SG_EEES9_SI_JZNS1_25segmented_radix_sort_implINS0_14default_configELb1EPK6__halfPSP_PKlPlN2at6native12_GLOBAL__N_18offset_tEEE10hipError_tPvRmT1_PNSt15iterator_traitsIS13_E10value_typeET2_T3_PNS14_IS19_E10value_typeET4_jRbjT5_S1F_jjP12ihipStream_tbEUljE_ZNSN_ISO_Lb1ESR_SS_SU_SV_SZ_EES10_S11_S12_S13_S17_S18_S19_S1C_S1D_jS1E_jS1F_S1F_jjS1H_bEUljE0_EEES10_S11_S12_S19_S1D_S1F_T6_T7_T9_mT8_S1H_bDpT10_ENKUlT_T0_E_clISt17integral_constantIbLb1EES1V_EEDaS1Q_S1R_EUlS1Q_E_NS1_11comp_targetILNS1_3genE2ELNS1_11target_archE906ELNS1_3gpuE6ELNS1_3repE0EEENS1_30default_config_static_selectorELNS0_4arch9wavefront6targetE0EEEvS13_.uses_flat_scratch, 0
	.set _ZN7rocprim17ROCPRIM_400000_NS6detail17trampoline_kernelINS0_13select_configILj256ELj13ELNS0_17block_load_methodE3ELS4_3ELS4_3ELNS0_20block_scan_algorithmE0ELj4294967295EEENS1_25partition_config_selectorILNS1_17partition_subalgoE4EjNS0_10empty_typeEbEEZZNS1_14partition_implILS8_4ELb0ES6_15HIP_vector_typeIjLj2EENS0_17counting_iteratorIjlEEPS9_SG_NS0_5tupleIJPjSI_NS0_16reverse_iteratorISI_EEEEENSH_IJSG_SG_SG_EEES9_SI_JZNS1_25segmented_radix_sort_implINS0_14default_configELb1EPK6__halfPSP_PKlPlN2at6native12_GLOBAL__N_18offset_tEEE10hipError_tPvRmT1_PNSt15iterator_traitsIS13_E10value_typeET2_T3_PNS14_IS19_E10value_typeET4_jRbjT5_S1F_jjP12ihipStream_tbEUljE_ZNSN_ISO_Lb1ESR_SS_SU_SV_SZ_EES10_S11_S12_S13_S17_S18_S19_S1C_S1D_jS1E_jS1F_S1F_jjS1H_bEUljE0_EEES10_S11_S12_S19_S1D_S1F_T6_T7_T9_mT8_S1H_bDpT10_ENKUlT_T0_E_clISt17integral_constantIbLb1EES1V_EEDaS1Q_S1R_EUlS1Q_E_NS1_11comp_targetILNS1_3genE2ELNS1_11target_archE906ELNS1_3gpuE6ELNS1_3repE0EEENS1_30default_config_static_selectorELNS0_4arch9wavefront6targetE0EEEvS13_.has_dyn_sized_stack, 0
	.set _ZN7rocprim17ROCPRIM_400000_NS6detail17trampoline_kernelINS0_13select_configILj256ELj13ELNS0_17block_load_methodE3ELS4_3ELS4_3ELNS0_20block_scan_algorithmE0ELj4294967295EEENS1_25partition_config_selectorILNS1_17partition_subalgoE4EjNS0_10empty_typeEbEEZZNS1_14partition_implILS8_4ELb0ES6_15HIP_vector_typeIjLj2EENS0_17counting_iteratorIjlEEPS9_SG_NS0_5tupleIJPjSI_NS0_16reverse_iteratorISI_EEEEENSH_IJSG_SG_SG_EEES9_SI_JZNS1_25segmented_radix_sort_implINS0_14default_configELb1EPK6__halfPSP_PKlPlN2at6native12_GLOBAL__N_18offset_tEEE10hipError_tPvRmT1_PNSt15iterator_traitsIS13_E10value_typeET2_T3_PNS14_IS19_E10value_typeET4_jRbjT5_S1F_jjP12ihipStream_tbEUljE_ZNSN_ISO_Lb1ESR_SS_SU_SV_SZ_EES10_S11_S12_S13_S17_S18_S19_S1C_S1D_jS1E_jS1F_S1F_jjS1H_bEUljE0_EEES10_S11_S12_S19_S1D_S1F_T6_T7_T9_mT8_S1H_bDpT10_ENKUlT_T0_E_clISt17integral_constantIbLb1EES1V_EEDaS1Q_S1R_EUlS1Q_E_NS1_11comp_targetILNS1_3genE2ELNS1_11target_archE906ELNS1_3gpuE6ELNS1_3repE0EEENS1_30default_config_static_selectorELNS0_4arch9wavefront6targetE0EEEvS13_.has_recursion, 0
	.set _ZN7rocprim17ROCPRIM_400000_NS6detail17trampoline_kernelINS0_13select_configILj256ELj13ELNS0_17block_load_methodE3ELS4_3ELS4_3ELNS0_20block_scan_algorithmE0ELj4294967295EEENS1_25partition_config_selectorILNS1_17partition_subalgoE4EjNS0_10empty_typeEbEEZZNS1_14partition_implILS8_4ELb0ES6_15HIP_vector_typeIjLj2EENS0_17counting_iteratorIjlEEPS9_SG_NS0_5tupleIJPjSI_NS0_16reverse_iteratorISI_EEEEENSH_IJSG_SG_SG_EEES9_SI_JZNS1_25segmented_radix_sort_implINS0_14default_configELb1EPK6__halfPSP_PKlPlN2at6native12_GLOBAL__N_18offset_tEEE10hipError_tPvRmT1_PNSt15iterator_traitsIS13_E10value_typeET2_T3_PNS14_IS19_E10value_typeET4_jRbjT5_S1F_jjP12ihipStream_tbEUljE_ZNSN_ISO_Lb1ESR_SS_SU_SV_SZ_EES10_S11_S12_S13_S17_S18_S19_S1C_S1D_jS1E_jS1F_S1F_jjS1H_bEUljE0_EEES10_S11_S12_S19_S1D_S1F_T6_T7_T9_mT8_S1H_bDpT10_ENKUlT_T0_E_clISt17integral_constantIbLb1EES1V_EEDaS1Q_S1R_EUlS1Q_E_NS1_11comp_targetILNS1_3genE2ELNS1_11target_archE906ELNS1_3gpuE6ELNS1_3repE0EEENS1_30default_config_static_selectorELNS0_4arch9wavefront6targetE0EEEvS13_.has_indirect_call, 0
	.section	.AMDGPU.csdata,"",@progbits
; Kernel info:
; codeLenInByte = 0
; TotalNumSgprs: 0
; NumVgprs: 0
; ScratchSize: 0
; MemoryBound: 0
; FloatMode: 240
; IeeeMode: 1
; LDSByteSize: 0 bytes/workgroup (compile time only)
; SGPRBlocks: 0
; VGPRBlocks: 0
; NumSGPRsForWavesPerEU: 1
; NumVGPRsForWavesPerEU: 1
; Occupancy: 16
; WaveLimiterHint : 0
; COMPUTE_PGM_RSRC2:SCRATCH_EN: 0
; COMPUTE_PGM_RSRC2:USER_SGPR: 6
; COMPUTE_PGM_RSRC2:TRAP_HANDLER: 0
; COMPUTE_PGM_RSRC2:TGID_X_EN: 1
; COMPUTE_PGM_RSRC2:TGID_Y_EN: 0
; COMPUTE_PGM_RSRC2:TGID_Z_EN: 0
; COMPUTE_PGM_RSRC2:TIDIG_COMP_CNT: 0
	.section	.text._ZN7rocprim17ROCPRIM_400000_NS6detail17trampoline_kernelINS0_13select_configILj256ELj13ELNS0_17block_load_methodE3ELS4_3ELS4_3ELNS0_20block_scan_algorithmE0ELj4294967295EEENS1_25partition_config_selectorILNS1_17partition_subalgoE4EjNS0_10empty_typeEbEEZZNS1_14partition_implILS8_4ELb0ES6_15HIP_vector_typeIjLj2EENS0_17counting_iteratorIjlEEPS9_SG_NS0_5tupleIJPjSI_NS0_16reverse_iteratorISI_EEEEENSH_IJSG_SG_SG_EEES9_SI_JZNS1_25segmented_radix_sort_implINS0_14default_configELb1EPK6__halfPSP_PKlPlN2at6native12_GLOBAL__N_18offset_tEEE10hipError_tPvRmT1_PNSt15iterator_traitsIS13_E10value_typeET2_T3_PNS14_IS19_E10value_typeET4_jRbjT5_S1F_jjP12ihipStream_tbEUljE_ZNSN_ISO_Lb1ESR_SS_SU_SV_SZ_EES10_S11_S12_S13_S17_S18_S19_S1C_S1D_jS1E_jS1F_S1F_jjS1H_bEUljE0_EEES10_S11_S12_S19_S1D_S1F_T6_T7_T9_mT8_S1H_bDpT10_ENKUlT_T0_E_clISt17integral_constantIbLb1EES1V_EEDaS1Q_S1R_EUlS1Q_E_NS1_11comp_targetILNS1_3genE10ELNS1_11target_archE1200ELNS1_3gpuE4ELNS1_3repE0EEENS1_30default_config_static_selectorELNS0_4arch9wavefront6targetE0EEEvS13_,"axG",@progbits,_ZN7rocprim17ROCPRIM_400000_NS6detail17trampoline_kernelINS0_13select_configILj256ELj13ELNS0_17block_load_methodE3ELS4_3ELS4_3ELNS0_20block_scan_algorithmE0ELj4294967295EEENS1_25partition_config_selectorILNS1_17partition_subalgoE4EjNS0_10empty_typeEbEEZZNS1_14partition_implILS8_4ELb0ES6_15HIP_vector_typeIjLj2EENS0_17counting_iteratorIjlEEPS9_SG_NS0_5tupleIJPjSI_NS0_16reverse_iteratorISI_EEEEENSH_IJSG_SG_SG_EEES9_SI_JZNS1_25segmented_radix_sort_implINS0_14default_configELb1EPK6__halfPSP_PKlPlN2at6native12_GLOBAL__N_18offset_tEEE10hipError_tPvRmT1_PNSt15iterator_traitsIS13_E10value_typeET2_T3_PNS14_IS19_E10value_typeET4_jRbjT5_S1F_jjP12ihipStream_tbEUljE_ZNSN_ISO_Lb1ESR_SS_SU_SV_SZ_EES10_S11_S12_S13_S17_S18_S19_S1C_S1D_jS1E_jS1F_S1F_jjS1H_bEUljE0_EEES10_S11_S12_S19_S1D_S1F_T6_T7_T9_mT8_S1H_bDpT10_ENKUlT_T0_E_clISt17integral_constantIbLb1EES1V_EEDaS1Q_S1R_EUlS1Q_E_NS1_11comp_targetILNS1_3genE10ELNS1_11target_archE1200ELNS1_3gpuE4ELNS1_3repE0EEENS1_30default_config_static_selectorELNS0_4arch9wavefront6targetE0EEEvS13_,comdat
	.globl	_ZN7rocprim17ROCPRIM_400000_NS6detail17trampoline_kernelINS0_13select_configILj256ELj13ELNS0_17block_load_methodE3ELS4_3ELS4_3ELNS0_20block_scan_algorithmE0ELj4294967295EEENS1_25partition_config_selectorILNS1_17partition_subalgoE4EjNS0_10empty_typeEbEEZZNS1_14partition_implILS8_4ELb0ES6_15HIP_vector_typeIjLj2EENS0_17counting_iteratorIjlEEPS9_SG_NS0_5tupleIJPjSI_NS0_16reverse_iteratorISI_EEEEENSH_IJSG_SG_SG_EEES9_SI_JZNS1_25segmented_radix_sort_implINS0_14default_configELb1EPK6__halfPSP_PKlPlN2at6native12_GLOBAL__N_18offset_tEEE10hipError_tPvRmT1_PNSt15iterator_traitsIS13_E10value_typeET2_T3_PNS14_IS19_E10value_typeET4_jRbjT5_S1F_jjP12ihipStream_tbEUljE_ZNSN_ISO_Lb1ESR_SS_SU_SV_SZ_EES10_S11_S12_S13_S17_S18_S19_S1C_S1D_jS1E_jS1F_S1F_jjS1H_bEUljE0_EEES10_S11_S12_S19_S1D_S1F_T6_T7_T9_mT8_S1H_bDpT10_ENKUlT_T0_E_clISt17integral_constantIbLb1EES1V_EEDaS1Q_S1R_EUlS1Q_E_NS1_11comp_targetILNS1_3genE10ELNS1_11target_archE1200ELNS1_3gpuE4ELNS1_3repE0EEENS1_30default_config_static_selectorELNS0_4arch9wavefront6targetE0EEEvS13_ ; -- Begin function _ZN7rocprim17ROCPRIM_400000_NS6detail17trampoline_kernelINS0_13select_configILj256ELj13ELNS0_17block_load_methodE3ELS4_3ELS4_3ELNS0_20block_scan_algorithmE0ELj4294967295EEENS1_25partition_config_selectorILNS1_17partition_subalgoE4EjNS0_10empty_typeEbEEZZNS1_14partition_implILS8_4ELb0ES6_15HIP_vector_typeIjLj2EENS0_17counting_iteratorIjlEEPS9_SG_NS0_5tupleIJPjSI_NS0_16reverse_iteratorISI_EEEEENSH_IJSG_SG_SG_EEES9_SI_JZNS1_25segmented_radix_sort_implINS0_14default_configELb1EPK6__halfPSP_PKlPlN2at6native12_GLOBAL__N_18offset_tEEE10hipError_tPvRmT1_PNSt15iterator_traitsIS13_E10value_typeET2_T3_PNS14_IS19_E10value_typeET4_jRbjT5_S1F_jjP12ihipStream_tbEUljE_ZNSN_ISO_Lb1ESR_SS_SU_SV_SZ_EES10_S11_S12_S13_S17_S18_S19_S1C_S1D_jS1E_jS1F_S1F_jjS1H_bEUljE0_EEES10_S11_S12_S19_S1D_S1F_T6_T7_T9_mT8_S1H_bDpT10_ENKUlT_T0_E_clISt17integral_constantIbLb1EES1V_EEDaS1Q_S1R_EUlS1Q_E_NS1_11comp_targetILNS1_3genE10ELNS1_11target_archE1200ELNS1_3gpuE4ELNS1_3repE0EEENS1_30default_config_static_selectorELNS0_4arch9wavefront6targetE0EEEvS13_
	.p2align	8
	.type	_ZN7rocprim17ROCPRIM_400000_NS6detail17trampoline_kernelINS0_13select_configILj256ELj13ELNS0_17block_load_methodE3ELS4_3ELS4_3ELNS0_20block_scan_algorithmE0ELj4294967295EEENS1_25partition_config_selectorILNS1_17partition_subalgoE4EjNS0_10empty_typeEbEEZZNS1_14partition_implILS8_4ELb0ES6_15HIP_vector_typeIjLj2EENS0_17counting_iteratorIjlEEPS9_SG_NS0_5tupleIJPjSI_NS0_16reverse_iteratorISI_EEEEENSH_IJSG_SG_SG_EEES9_SI_JZNS1_25segmented_radix_sort_implINS0_14default_configELb1EPK6__halfPSP_PKlPlN2at6native12_GLOBAL__N_18offset_tEEE10hipError_tPvRmT1_PNSt15iterator_traitsIS13_E10value_typeET2_T3_PNS14_IS19_E10value_typeET4_jRbjT5_S1F_jjP12ihipStream_tbEUljE_ZNSN_ISO_Lb1ESR_SS_SU_SV_SZ_EES10_S11_S12_S13_S17_S18_S19_S1C_S1D_jS1E_jS1F_S1F_jjS1H_bEUljE0_EEES10_S11_S12_S19_S1D_S1F_T6_T7_T9_mT8_S1H_bDpT10_ENKUlT_T0_E_clISt17integral_constantIbLb1EES1V_EEDaS1Q_S1R_EUlS1Q_E_NS1_11comp_targetILNS1_3genE10ELNS1_11target_archE1200ELNS1_3gpuE4ELNS1_3repE0EEENS1_30default_config_static_selectorELNS0_4arch9wavefront6targetE0EEEvS13_,@function
_ZN7rocprim17ROCPRIM_400000_NS6detail17trampoline_kernelINS0_13select_configILj256ELj13ELNS0_17block_load_methodE3ELS4_3ELS4_3ELNS0_20block_scan_algorithmE0ELj4294967295EEENS1_25partition_config_selectorILNS1_17partition_subalgoE4EjNS0_10empty_typeEbEEZZNS1_14partition_implILS8_4ELb0ES6_15HIP_vector_typeIjLj2EENS0_17counting_iteratorIjlEEPS9_SG_NS0_5tupleIJPjSI_NS0_16reverse_iteratorISI_EEEEENSH_IJSG_SG_SG_EEES9_SI_JZNS1_25segmented_radix_sort_implINS0_14default_configELb1EPK6__halfPSP_PKlPlN2at6native12_GLOBAL__N_18offset_tEEE10hipError_tPvRmT1_PNSt15iterator_traitsIS13_E10value_typeET2_T3_PNS14_IS19_E10value_typeET4_jRbjT5_S1F_jjP12ihipStream_tbEUljE_ZNSN_ISO_Lb1ESR_SS_SU_SV_SZ_EES10_S11_S12_S13_S17_S18_S19_S1C_S1D_jS1E_jS1F_S1F_jjS1H_bEUljE0_EEES10_S11_S12_S19_S1D_S1F_T6_T7_T9_mT8_S1H_bDpT10_ENKUlT_T0_E_clISt17integral_constantIbLb1EES1V_EEDaS1Q_S1R_EUlS1Q_E_NS1_11comp_targetILNS1_3genE10ELNS1_11target_archE1200ELNS1_3gpuE4ELNS1_3repE0EEENS1_30default_config_static_selectorELNS0_4arch9wavefront6targetE0EEEvS13_: ; @_ZN7rocprim17ROCPRIM_400000_NS6detail17trampoline_kernelINS0_13select_configILj256ELj13ELNS0_17block_load_methodE3ELS4_3ELS4_3ELNS0_20block_scan_algorithmE0ELj4294967295EEENS1_25partition_config_selectorILNS1_17partition_subalgoE4EjNS0_10empty_typeEbEEZZNS1_14partition_implILS8_4ELb0ES6_15HIP_vector_typeIjLj2EENS0_17counting_iteratorIjlEEPS9_SG_NS0_5tupleIJPjSI_NS0_16reverse_iteratorISI_EEEEENSH_IJSG_SG_SG_EEES9_SI_JZNS1_25segmented_radix_sort_implINS0_14default_configELb1EPK6__halfPSP_PKlPlN2at6native12_GLOBAL__N_18offset_tEEE10hipError_tPvRmT1_PNSt15iterator_traitsIS13_E10value_typeET2_T3_PNS14_IS19_E10value_typeET4_jRbjT5_S1F_jjP12ihipStream_tbEUljE_ZNSN_ISO_Lb1ESR_SS_SU_SV_SZ_EES10_S11_S12_S13_S17_S18_S19_S1C_S1D_jS1E_jS1F_S1F_jjS1H_bEUljE0_EEES10_S11_S12_S19_S1D_S1F_T6_T7_T9_mT8_S1H_bDpT10_ENKUlT_T0_E_clISt17integral_constantIbLb1EES1V_EEDaS1Q_S1R_EUlS1Q_E_NS1_11comp_targetILNS1_3genE10ELNS1_11target_archE1200ELNS1_3gpuE4ELNS1_3repE0EEENS1_30default_config_static_selectorELNS0_4arch9wavefront6targetE0EEEvS13_
; %bb.0:
	.section	.rodata,"a",@progbits
	.p2align	6, 0x0
	.amdhsa_kernel _ZN7rocprim17ROCPRIM_400000_NS6detail17trampoline_kernelINS0_13select_configILj256ELj13ELNS0_17block_load_methodE3ELS4_3ELS4_3ELNS0_20block_scan_algorithmE0ELj4294967295EEENS1_25partition_config_selectorILNS1_17partition_subalgoE4EjNS0_10empty_typeEbEEZZNS1_14partition_implILS8_4ELb0ES6_15HIP_vector_typeIjLj2EENS0_17counting_iteratorIjlEEPS9_SG_NS0_5tupleIJPjSI_NS0_16reverse_iteratorISI_EEEEENSH_IJSG_SG_SG_EEES9_SI_JZNS1_25segmented_radix_sort_implINS0_14default_configELb1EPK6__halfPSP_PKlPlN2at6native12_GLOBAL__N_18offset_tEEE10hipError_tPvRmT1_PNSt15iterator_traitsIS13_E10value_typeET2_T3_PNS14_IS19_E10value_typeET4_jRbjT5_S1F_jjP12ihipStream_tbEUljE_ZNSN_ISO_Lb1ESR_SS_SU_SV_SZ_EES10_S11_S12_S13_S17_S18_S19_S1C_S1D_jS1E_jS1F_S1F_jjS1H_bEUljE0_EEES10_S11_S12_S19_S1D_S1F_T6_T7_T9_mT8_S1H_bDpT10_ENKUlT_T0_E_clISt17integral_constantIbLb1EES1V_EEDaS1Q_S1R_EUlS1Q_E_NS1_11comp_targetILNS1_3genE10ELNS1_11target_archE1200ELNS1_3gpuE4ELNS1_3repE0EEENS1_30default_config_static_selectorELNS0_4arch9wavefront6targetE0EEEvS13_
		.amdhsa_group_segment_fixed_size 0
		.amdhsa_private_segment_fixed_size 0
		.amdhsa_kernarg_size 184
		.amdhsa_user_sgpr_count 6
		.amdhsa_user_sgpr_private_segment_buffer 1
		.amdhsa_user_sgpr_dispatch_ptr 0
		.amdhsa_user_sgpr_queue_ptr 0
		.amdhsa_user_sgpr_kernarg_segment_ptr 1
		.amdhsa_user_sgpr_dispatch_id 0
		.amdhsa_user_sgpr_flat_scratch_init 0
		.amdhsa_user_sgpr_private_segment_size 0
		.amdhsa_wavefront_size32 1
		.amdhsa_uses_dynamic_stack 0
		.amdhsa_system_sgpr_private_segment_wavefront_offset 0
		.amdhsa_system_sgpr_workgroup_id_x 1
		.amdhsa_system_sgpr_workgroup_id_y 0
		.amdhsa_system_sgpr_workgroup_id_z 0
		.amdhsa_system_sgpr_workgroup_info 0
		.amdhsa_system_vgpr_workitem_id 0
		.amdhsa_next_free_vgpr 1
		.amdhsa_next_free_sgpr 1
		.amdhsa_reserve_vcc 0
		.amdhsa_reserve_flat_scratch 0
		.amdhsa_float_round_mode_32 0
		.amdhsa_float_round_mode_16_64 0
		.amdhsa_float_denorm_mode_32 3
		.amdhsa_float_denorm_mode_16_64 3
		.amdhsa_dx10_clamp 1
		.amdhsa_ieee_mode 1
		.amdhsa_fp16_overflow 0
		.amdhsa_workgroup_processor_mode 1
		.amdhsa_memory_ordered 1
		.amdhsa_forward_progress 1
		.amdhsa_shared_vgpr_count 0
		.amdhsa_exception_fp_ieee_invalid_op 0
		.amdhsa_exception_fp_denorm_src 0
		.amdhsa_exception_fp_ieee_div_zero 0
		.amdhsa_exception_fp_ieee_overflow 0
		.amdhsa_exception_fp_ieee_underflow 0
		.amdhsa_exception_fp_ieee_inexact 0
		.amdhsa_exception_int_div_zero 0
	.end_amdhsa_kernel
	.section	.text._ZN7rocprim17ROCPRIM_400000_NS6detail17trampoline_kernelINS0_13select_configILj256ELj13ELNS0_17block_load_methodE3ELS4_3ELS4_3ELNS0_20block_scan_algorithmE0ELj4294967295EEENS1_25partition_config_selectorILNS1_17partition_subalgoE4EjNS0_10empty_typeEbEEZZNS1_14partition_implILS8_4ELb0ES6_15HIP_vector_typeIjLj2EENS0_17counting_iteratorIjlEEPS9_SG_NS0_5tupleIJPjSI_NS0_16reverse_iteratorISI_EEEEENSH_IJSG_SG_SG_EEES9_SI_JZNS1_25segmented_radix_sort_implINS0_14default_configELb1EPK6__halfPSP_PKlPlN2at6native12_GLOBAL__N_18offset_tEEE10hipError_tPvRmT1_PNSt15iterator_traitsIS13_E10value_typeET2_T3_PNS14_IS19_E10value_typeET4_jRbjT5_S1F_jjP12ihipStream_tbEUljE_ZNSN_ISO_Lb1ESR_SS_SU_SV_SZ_EES10_S11_S12_S13_S17_S18_S19_S1C_S1D_jS1E_jS1F_S1F_jjS1H_bEUljE0_EEES10_S11_S12_S19_S1D_S1F_T6_T7_T9_mT8_S1H_bDpT10_ENKUlT_T0_E_clISt17integral_constantIbLb1EES1V_EEDaS1Q_S1R_EUlS1Q_E_NS1_11comp_targetILNS1_3genE10ELNS1_11target_archE1200ELNS1_3gpuE4ELNS1_3repE0EEENS1_30default_config_static_selectorELNS0_4arch9wavefront6targetE0EEEvS13_,"axG",@progbits,_ZN7rocprim17ROCPRIM_400000_NS6detail17trampoline_kernelINS0_13select_configILj256ELj13ELNS0_17block_load_methodE3ELS4_3ELS4_3ELNS0_20block_scan_algorithmE0ELj4294967295EEENS1_25partition_config_selectorILNS1_17partition_subalgoE4EjNS0_10empty_typeEbEEZZNS1_14partition_implILS8_4ELb0ES6_15HIP_vector_typeIjLj2EENS0_17counting_iteratorIjlEEPS9_SG_NS0_5tupleIJPjSI_NS0_16reverse_iteratorISI_EEEEENSH_IJSG_SG_SG_EEES9_SI_JZNS1_25segmented_radix_sort_implINS0_14default_configELb1EPK6__halfPSP_PKlPlN2at6native12_GLOBAL__N_18offset_tEEE10hipError_tPvRmT1_PNSt15iterator_traitsIS13_E10value_typeET2_T3_PNS14_IS19_E10value_typeET4_jRbjT5_S1F_jjP12ihipStream_tbEUljE_ZNSN_ISO_Lb1ESR_SS_SU_SV_SZ_EES10_S11_S12_S13_S17_S18_S19_S1C_S1D_jS1E_jS1F_S1F_jjS1H_bEUljE0_EEES10_S11_S12_S19_S1D_S1F_T6_T7_T9_mT8_S1H_bDpT10_ENKUlT_T0_E_clISt17integral_constantIbLb1EES1V_EEDaS1Q_S1R_EUlS1Q_E_NS1_11comp_targetILNS1_3genE10ELNS1_11target_archE1200ELNS1_3gpuE4ELNS1_3repE0EEENS1_30default_config_static_selectorELNS0_4arch9wavefront6targetE0EEEvS13_,comdat
.Lfunc_end1678:
	.size	_ZN7rocprim17ROCPRIM_400000_NS6detail17trampoline_kernelINS0_13select_configILj256ELj13ELNS0_17block_load_methodE3ELS4_3ELS4_3ELNS0_20block_scan_algorithmE0ELj4294967295EEENS1_25partition_config_selectorILNS1_17partition_subalgoE4EjNS0_10empty_typeEbEEZZNS1_14partition_implILS8_4ELb0ES6_15HIP_vector_typeIjLj2EENS0_17counting_iteratorIjlEEPS9_SG_NS0_5tupleIJPjSI_NS0_16reverse_iteratorISI_EEEEENSH_IJSG_SG_SG_EEES9_SI_JZNS1_25segmented_radix_sort_implINS0_14default_configELb1EPK6__halfPSP_PKlPlN2at6native12_GLOBAL__N_18offset_tEEE10hipError_tPvRmT1_PNSt15iterator_traitsIS13_E10value_typeET2_T3_PNS14_IS19_E10value_typeET4_jRbjT5_S1F_jjP12ihipStream_tbEUljE_ZNSN_ISO_Lb1ESR_SS_SU_SV_SZ_EES10_S11_S12_S13_S17_S18_S19_S1C_S1D_jS1E_jS1F_S1F_jjS1H_bEUljE0_EEES10_S11_S12_S19_S1D_S1F_T6_T7_T9_mT8_S1H_bDpT10_ENKUlT_T0_E_clISt17integral_constantIbLb1EES1V_EEDaS1Q_S1R_EUlS1Q_E_NS1_11comp_targetILNS1_3genE10ELNS1_11target_archE1200ELNS1_3gpuE4ELNS1_3repE0EEENS1_30default_config_static_selectorELNS0_4arch9wavefront6targetE0EEEvS13_, .Lfunc_end1678-_ZN7rocprim17ROCPRIM_400000_NS6detail17trampoline_kernelINS0_13select_configILj256ELj13ELNS0_17block_load_methodE3ELS4_3ELS4_3ELNS0_20block_scan_algorithmE0ELj4294967295EEENS1_25partition_config_selectorILNS1_17partition_subalgoE4EjNS0_10empty_typeEbEEZZNS1_14partition_implILS8_4ELb0ES6_15HIP_vector_typeIjLj2EENS0_17counting_iteratorIjlEEPS9_SG_NS0_5tupleIJPjSI_NS0_16reverse_iteratorISI_EEEEENSH_IJSG_SG_SG_EEES9_SI_JZNS1_25segmented_radix_sort_implINS0_14default_configELb1EPK6__halfPSP_PKlPlN2at6native12_GLOBAL__N_18offset_tEEE10hipError_tPvRmT1_PNSt15iterator_traitsIS13_E10value_typeET2_T3_PNS14_IS19_E10value_typeET4_jRbjT5_S1F_jjP12ihipStream_tbEUljE_ZNSN_ISO_Lb1ESR_SS_SU_SV_SZ_EES10_S11_S12_S13_S17_S18_S19_S1C_S1D_jS1E_jS1F_S1F_jjS1H_bEUljE0_EEES10_S11_S12_S19_S1D_S1F_T6_T7_T9_mT8_S1H_bDpT10_ENKUlT_T0_E_clISt17integral_constantIbLb1EES1V_EEDaS1Q_S1R_EUlS1Q_E_NS1_11comp_targetILNS1_3genE10ELNS1_11target_archE1200ELNS1_3gpuE4ELNS1_3repE0EEENS1_30default_config_static_selectorELNS0_4arch9wavefront6targetE0EEEvS13_
                                        ; -- End function
	.set _ZN7rocprim17ROCPRIM_400000_NS6detail17trampoline_kernelINS0_13select_configILj256ELj13ELNS0_17block_load_methodE3ELS4_3ELS4_3ELNS0_20block_scan_algorithmE0ELj4294967295EEENS1_25partition_config_selectorILNS1_17partition_subalgoE4EjNS0_10empty_typeEbEEZZNS1_14partition_implILS8_4ELb0ES6_15HIP_vector_typeIjLj2EENS0_17counting_iteratorIjlEEPS9_SG_NS0_5tupleIJPjSI_NS0_16reverse_iteratorISI_EEEEENSH_IJSG_SG_SG_EEES9_SI_JZNS1_25segmented_radix_sort_implINS0_14default_configELb1EPK6__halfPSP_PKlPlN2at6native12_GLOBAL__N_18offset_tEEE10hipError_tPvRmT1_PNSt15iterator_traitsIS13_E10value_typeET2_T3_PNS14_IS19_E10value_typeET4_jRbjT5_S1F_jjP12ihipStream_tbEUljE_ZNSN_ISO_Lb1ESR_SS_SU_SV_SZ_EES10_S11_S12_S13_S17_S18_S19_S1C_S1D_jS1E_jS1F_S1F_jjS1H_bEUljE0_EEES10_S11_S12_S19_S1D_S1F_T6_T7_T9_mT8_S1H_bDpT10_ENKUlT_T0_E_clISt17integral_constantIbLb1EES1V_EEDaS1Q_S1R_EUlS1Q_E_NS1_11comp_targetILNS1_3genE10ELNS1_11target_archE1200ELNS1_3gpuE4ELNS1_3repE0EEENS1_30default_config_static_selectorELNS0_4arch9wavefront6targetE0EEEvS13_.num_vgpr, 0
	.set _ZN7rocprim17ROCPRIM_400000_NS6detail17trampoline_kernelINS0_13select_configILj256ELj13ELNS0_17block_load_methodE3ELS4_3ELS4_3ELNS0_20block_scan_algorithmE0ELj4294967295EEENS1_25partition_config_selectorILNS1_17partition_subalgoE4EjNS0_10empty_typeEbEEZZNS1_14partition_implILS8_4ELb0ES6_15HIP_vector_typeIjLj2EENS0_17counting_iteratorIjlEEPS9_SG_NS0_5tupleIJPjSI_NS0_16reverse_iteratorISI_EEEEENSH_IJSG_SG_SG_EEES9_SI_JZNS1_25segmented_radix_sort_implINS0_14default_configELb1EPK6__halfPSP_PKlPlN2at6native12_GLOBAL__N_18offset_tEEE10hipError_tPvRmT1_PNSt15iterator_traitsIS13_E10value_typeET2_T3_PNS14_IS19_E10value_typeET4_jRbjT5_S1F_jjP12ihipStream_tbEUljE_ZNSN_ISO_Lb1ESR_SS_SU_SV_SZ_EES10_S11_S12_S13_S17_S18_S19_S1C_S1D_jS1E_jS1F_S1F_jjS1H_bEUljE0_EEES10_S11_S12_S19_S1D_S1F_T6_T7_T9_mT8_S1H_bDpT10_ENKUlT_T0_E_clISt17integral_constantIbLb1EES1V_EEDaS1Q_S1R_EUlS1Q_E_NS1_11comp_targetILNS1_3genE10ELNS1_11target_archE1200ELNS1_3gpuE4ELNS1_3repE0EEENS1_30default_config_static_selectorELNS0_4arch9wavefront6targetE0EEEvS13_.num_agpr, 0
	.set _ZN7rocprim17ROCPRIM_400000_NS6detail17trampoline_kernelINS0_13select_configILj256ELj13ELNS0_17block_load_methodE3ELS4_3ELS4_3ELNS0_20block_scan_algorithmE0ELj4294967295EEENS1_25partition_config_selectorILNS1_17partition_subalgoE4EjNS0_10empty_typeEbEEZZNS1_14partition_implILS8_4ELb0ES6_15HIP_vector_typeIjLj2EENS0_17counting_iteratorIjlEEPS9_SG_NS0_5tupleIJPjSI_NS0_16reverse_iteratorISI_EEEEENSH_IJSG_SG_SG_EEES9_SI_JZNS1_25segmented_radix_sort_implINS0_14default_configELb1EPK6__halfPSP_PKlPlN2at6native12_GLOBAL__N_18offset_tEEE10hipError_tPvRmT1_PNSt15iterator_traitsIS13_E10value_typeET2_T3_PNS14_IS19_E10value_typeET4_jRbjT5_S1F_jjP12ihipStream_tbEUljE_ZNSN_ISO_Lb1ESR_SS_SU_SV_SZ_EES10_S11_S12_S13_S17_S18_S19_S1C_S1D_jS1E_jS1F_S1F_jjS1H_bEUljE0_EEES10_S11_S12_S19_S1D_S1F_T6_T7_T9_mT8_S1H_bDpT10_ENKUlT_T0_E_clISt17integral_constantIbLb1EES1V_EEDaS1Q_S1R_EUlS1Q_E_NS1_11comp_targetILNS1_3genE10ELNS1_11target_archE1200ELNS1_3gpuE4ELNS1_3repE0EEENS1_30default_config_static_selectorELNS0_4arch9wavefront6targetE0EEEvS13_.numbered_sgpr, 0
	.set _ZN7rocprim17ROCPRIM_400000_NS6detail17trampoline_kernelINS0_13select_configILj256ELj13ELNS0_17block_load_methodE3ELS4_3ELS4_3ELNS0_20block_scan_algorithmE0ELj4294967295EEENS1_25partition_config_selectorILNS1_17partition_subalgoE4EjNS0_10empty_typeEbEEZZNS1_14partition_implILS8_4ELb0ES6_15HIP_vector_typeIjLj2EENS0_17counting_iteratorIjlEEPS9_SG_NS0_5tupleIJPjSI_NS0_16reverse_iteratorISI_EEEEENSH_IJSG_SG_SG_EEES9_SI_JZNS1_25segmented_radix_sort_implINS0_14default_configELb1EPK6__halfPSP_PKlPlN2at6native12_GLOBAL__N_18offset_tEEE10hipError_tPvRmT1_PNSt15iterator_traitsIS13_E10value_typeET2_T3_PNS14_IS19_E10value_typeET4_jRbjT5_S1F_jjP12ihipStream_tbEUljE_ZNSN_ISO_Lb1ESR_SS_SU_SV_SZ_EES10_S11_S12_S13_S17_S18_S19_S1C_S1D_jS1E_jS1F_S1F_jjS1H_bEUljE0_EEES10_S11_S12_S19_S1D_S1F_T6_T7_T9_mT8_S1H_bDpT10_ENKUlT_T0_E_clISt17integral_constantIbLb1EES1V_EEDaS1Q_S1R_EUlS1Q_E_NS1_11comp_targetILNS1_3genE10ELNS1_11target_archE1200ELNS1_3gpuE4ELNS1_3repE0EEENS1_30default_config_static_selectorELNS0_4arch9wavefront6targetE0EEEvS13_.num_named_barrier, 0
	.set _ZN7rocprim17ROCPRIM_400000_NS6detail17trampoline_kernelINS0_13select_configILj256ELj13ELNS0_17block_load_methodE3ELS4_3ELS4_3ELNS0_20block_scan_algorithmE0ELj4294967295EEENS1_25partition_config_selectorILNS1_17partition_subalgoE4EjNS0_10empty_typeEbEEZZNS1_14partition_implILS8_4ELb0ES6_15HIP_vector_typeIjLj2EENS0_17counting_iteratorIjlEEPS9_SG_NS0_5tupleIJPjSI_NS0_16reverse_iteratorISI_EEEEENSH_IJSG_SG_SG_EEES9_SI_JZNS1_25segmented_radix_sort_implINS0_14default_configELb1EPK6__halfPSP_PKlPlN2at6native12_GLOBAL__N_18offset_tEEE10hipError_tPvRmT1_PNSt15iterator_traitsIS13_E10value_typeET2_T3_PNS14_IS19_E10value_typeET4_jRbjT5_S1F_jjP12ihipStream_tbEUljE_ZNSN_ISO_Lb1ESR_SS_SU_SV_SZ_EES10_S11_S12_S13_S17_S18_S19_S1C_S1D_jS1E_jS1F_S1F_jjS1H_bEUljE0_EEES10_S11_S12_S19_S1D_S1F_T6_T7_T9_mT8_S1H_bDpT10_ENKUlT_T0_E_clISt17integral_constantIbLb1EES1V_EEDaS1Q_S1R_EUlS1Q_E_NS1_11comp_targetILNS1_3genE10ELNS1_11target_archE1200ELNS1_3gpuE4ELNS1_3repE0EEENS1_30default_config_static_selectorELNS0_4arch9wavefront6targetE0EEEvS13_.private_seg_size, 0
	.set _ZN7rocprim17ROCPRIM_400000_NS6detail17trampoline_kernelINS0_13select_configILj256ELj13ELNS0_17block_load_methodE3ELS4_3ELS4_3ELNS0_20block_scan_algorithmE0ELj4294967295EEENS1_25partition_config_selectorILNS1_17partition_subalgoE4EjNS0_10empty_typeEbEEZZNS1_14partition_implILS8_4ELb0ES6_15HIP_vector_typeIjLj2EENS0_17counting_iteratorIjlEEPS9_SG_NS0_5tupleIJPjSI_NS0_16reverse_iteratorISI_EEEEENSH_IJSG_SG_SG_EEES9_SI_JZNS1_25segmented_radix_sort_implINS0_14default_configELb1EPK6__halfPSP_PKlPlN2at6native12_GLOBAL__N_18offset_tEEE10hipError_tPvRmT1_PNSt15iterator_traitsIS13_E10value_typeET2_T3_PNS14_IS19_E10value_typeET4_jRbjT5_S1F_jjP12ihipStream_tbEUljE_ZNSN_ISO_Lb1ESR_SS_SU_SV_SZ_EES10_S11_S12_S13_S17_S18_S19_S1C_S1D_jS1E_jS1F_S1F_jjS1H_bEUljE0_EEES10_S11_S12_S19_S1D_S1F_T6_T7_T9_mT8_S1H_bDpT10_ENKUlT_T0_E_clISt17integral_constantIbLb1EES1V_EEDaS1Q_S1R_EUlS1Q_E_NS1_11comp_targetILNS1_3genE10ELNS1_11target_archE1200ELNS1_3gpuE4ELNS1_3repE0EEENS1_30default_config_static_selectorELNS0_4arch9wavefront6targetE0EEEvS13_.uses_vcc, 0
	.set _ZN7rocprim17ROCPRIM_400000_NS6detail17trampoline_kernelINS0_13select_configILj256ELj13ELNS0_17block_load_methodE3ELS4_3ELS4_3ELNS0_20block_scan_algorithmE0ELj4294967295EEENS1_25partition_config_selectorILNS1_17partition_subalgoE4EjNS0_10empty_typeEbEEZZNS1_14partition_implILS8_4ELb0ES6_15HIP_vector_typeIjLj2EENS0_17counting_iteratorIjlEEPS9_SG_NS0_5tupleIJPjSI_NS0_16reverse_iteratorISI_EEEEENSH_IJSG_SG_SG_EEES9_SI_JZNS1_25segmented_radix_sort_implINS0_14default_configELb1EPK6__halfPSP_PKlPlN2at6native12_GLOBAL__N_18offset_tEEE10hipError_tPvRmT1_PNSt15iterator_traitsIS13_E10value_typeET2_T3_PNS14_IS19_E10value_typeET4_jRbjT5_S1F_jjP12ihipStream_tbEUljE_ZNSN_ISO_Lb1ESR_SS_SU_SV_SZ_EES10_S11_S12_S13_S17_S18_S19_S1C_S1D_jS1E_jS1F_S1F_jjS1H_bEUljE0_EEES10_S11_S12_S19_S1D_S1F_T6_T7_T9_mT8_S1H_bDpT10_ENKUlT_T0_E_clISt17integral_constantIbLb1EES1V_EEDaS1Q_S1R_EUlS1Q_E_NS1_11comp_targetILNS1_3genE10ELNS1_11target_archE1200ELNS1_3gpuE4ELNS1_3repE0EEENS1_30default_config_static_selectorELNS0_4arch9wavefront6targetE0EEEvS13_.uses_flat_scratch, 0
	.set _ZN7rocprim17ROCPRIM_400000_NS6detail17trampoline_kernelINS0_13select_configILj256ELj13ELNS0_17block_load_methodE3ELS4_3ELS4_3ELNS0_20block_scan_algorithmE0ELj4294967295EEENS1_25partition_config_selectorILNS1_17partition_subalgoE4EjNS0_10empty_typeEbEEZZNS1_14partition_implILS8_4ELb0ES6_15HIP_vector_typeIjLj2EENS0_17counting_iteratorIjlEEPS9_SG_NS0_5tupleIJPjSI_NS0_16reverse_iteratorISI_EEEEENSH_IJSG_SG_SG_EEES9_SI_JZNS1_25segmented_radix_sort_implINS0_14default_configELb1EPK6__halfPSP_PKlPlN2at6native12_GLOBAL__N_18offset_tEEE10hipError_tPvRmT1_PNSt15iterator_traitsIS13_E10value_typeET2_T3_PNS14_IS19_E10value_typeET4_jRbjT5_S1F_jjP12ihipStream_tbEUljE_ZNSN_ISO_Lb1ESR_SS_SU_SV_SZ_EES10_S11_S12_S13_S17_S18_S19_S1C_S1D_jS1E_jS1F_S1F_jjS1H_bEUljE0_EEES10_S11_S12_S19_S1D_S1F_T6_T7_T9_mT8_S1H_bDpT10_ENKUlT_T0_E_clISt17integral_constantIbLb1EES1V_EEDaS1Q_S1R_EUlS1Q_E_NS1_11comp_targetILNS1_3genE10ELNS1_11target_archE1200ELNS1_3gpuE4ELNS1_3repE0EEENS1_30default_config_static_selectorELNS0_4arch9wavefront6targetE0EEEvS13_.has_dyn_sized_stack, 0
	.set _ZN7rocprim17ROCPRIM_400000_NS6detail17trampoline_kernelINS0_13select_configILj256ELj13ELNS0_17block_load_methodE3ELS4_3ELS4_3ELNS0_20block_scan_algorithmE0ELj4294967295EEENS1_25partition_config_selectorILNS1_17partition_subalgoE4EjNS0_10empty_typeEbEEZZNS1_14partition_implILS8_4ELb0ES6_15HIP_vector_typeIjLj2EENS0_17counting_iteratorIjlEEPS9_SG_NS0_5tupleIJPjSI_NS0_16reverse_iteratorISI_EEEEENSH_IJSG_SG_SG_EEES9_SI_JZNS1_25segmented_radix_sort_implINS0_14default_configELb1EPK6__halfPSP_PKlPlN2at6native12_GLOBAL__N_18offset_tEEE10hipError_tPvRmT1_PNSt15iterator_traitsIS13_E10value_typeET2_T3_PNS14_IS19_E10value_typeET4_jRbjT5_S1F_jjP12ihipStream_tbEUljE_ZNSN_ISO_Lb1ESR_SS_SU_SV_SZ_EES10_S11_S12_S13_S17_S18_S19_S1C_S1D_jS1E_jS1F_S1F_jjS1H_bEUljE0_EEES10_S11_S12_S19_S1D_S1F_T6_T7_T9_mT8_S1H_bDpT10_ENKUlT_T0_E_clISt17integral_constantIbLb1EES1V_EEDaS1Q_S1R_EUlS1Q_E_NS1_11comp_targetILNS1_3genE10ELNS1_11target_archE1200ELNS1_3gpuE4ELNS1_3repE0EEENS1_30default_config_static_selectorELNS0_4arch9wavefront6targetE0EEEvS13_.has_recursion, 0
	.set _ZN7rocprim17ROCPRIM_400000_NS6detail17trampoline_kernelINS0_13select_configILj256ELj13ELNS0_17block_load_methodE3ELS4_3ELS4_3ELNS0_20block_scan_algorithmE0ELj4294967295EEENS1_25partition_config_selectorILNS1_17partition_subalgoE4EjNS0_10empty_typeEbEEZZNS1_14partition_implILS8_4ELb0ES6_15HIP_vector_typeIjLj2EENS0_17counting_iteratorIjlEEPS9_SG_NS0_5tupleIJPjSI_NS0_16reverse_iteratorISI_EEEEENSH_IJSG_SG_SG_EEES9_SI_JZNS1_25segmented_radix_sort_implINS0_14default_configELb1EPK6__halfPSP_PKlPlN2at6native12_GLOBAL__N_18offset_tEEE10hipError_tPvRmT1_PNSt15iterator_traitsIS13_E10value_typeET2_T3_PNS14_IS19_E10value_typeET4_jRbjT5_S1F_jjP12ihipStream_tbEUljE_ZNSN_ISO_Lb1ESR_SS_SU_SV_SZ_EES10_S11_S12_S13_S17_S18_S19_S1C_S1D_jS1E_jS1F_S1F_jjS1H_bEUljE0_EEES10_S11_S12_S19_S1D_S1F_T6_T7_T9_mT8_S1H_bDpT10_ENKUlT_T0_E_clISt17integral_constantIbLb1EES1V_EEDaS1Q_S1R_EUlS1Q_E_NS1_11comp_targetILNS1_3genE10ELNS1_11target_archE1200ELNS1_3gpuE4ELNS1_3repE0EEENS1_30default_config_static_selectorELNS0_4arch9wavefront6targetE0EEEvS13_.has_indirect_call, 0
	.section	.AMDGPU.csdata,"",@progbits
; Kernel info:
; codeLenInByte = 0
; TotalNumSgprs: 0
; NumVgprs: 0
; ScratchSize: 0
; MemoryBound: 0
; FloatMode: 240
; IeeeMode: 1
; LDSByteSize: 0 bytes/workgroup (compile time only)
; SGPRBlocks: 0
; VGPRBlocks: 0
; NumSGPRsForWavesPerEU: 1
; NumVGPRsForWavesPerEU: 1
; Occupancy: 16
; WaveLimiterHint : 0
; COMPUTE_PGM_RSRC2:SCRATCH_EN: 0
; COMPUTE_PGM_RSRC2:USER_SGPR: 6
; COMPUTE_PGM_RSRC2:TRAP_HANDLER: 0
; COMPUTE_PGM_RSRC2:TGID_X_EN: 1
; COMPUTE_PGM_RSRC2:TGID_Y_EN: 0
; COMPUTE_PGM_RSRC2:TGID_Z_EN: 0
; COMPUTE_PGM_RSRC2:TIDIG_COMP_CNT: 0
	.section	.text._ZN7rocprim17ROCPRIM_400000_NS6detail17trampoline_kernelINS0_13select_configILj256ELj13ELNS0_17block_load_methodE3ELS4_3ELS4_3ELNS0_20block_scan_algorithmE0ELj4294967295EEENS1_25partition_config_selectorILNS1_17partition_subalgoE4EjNS0_10empty_typeEbEEZZNS1_14partition_implILS8_4ELb0ES6_15HIP_vector_typeIjLj2EENS0_17counting_iteratorIjlEEPS9_SG_NS0_5tupleIJPjSI_NS0_16reverse_iteratorISI_EEEEENSH_IJSG_SG_SG_EEES9_SI_JZNS1_25segmented_radix_sort_implINS0_14default_configELb1EPK6__halfPSP_PKlPlN2at6native12_GLOBAL__N_18offset_tEEE10hipError_tPvRmT1_PNSt15iterator_traitsIS13_E10value_typeET2_T3_PNS14_IS19_E10value_typeET4_jRbjT5_S1F_jjP12ihipStream_tbEUljE_ZNSN_ISO_Lb1ESR_SS_SU_SV_SZ_EES10_S11_S12_S13_S17_S18_S19_S1C_S1D_jS1E_jS1F_S1F_jjS1H_bEUljE0_EEES10_S11_S12_S19_S1D_S1F_T6_T7_T9_mT8_S1H_bDpT10_ENKUlT_T0_E_clISt17integral_constantIbLb1EES1V_EEDaS1Q_S1R_EUlS1Q_E_NS1_11comp_targetILNS1_3genE9ELNS1_11target_archE1100ELNS1_3gpuE3ELNS1_3repE0EEENS1_30default_config_static_selectorELNS0_4arch9wavefront6targetE0EEEvS13_,"axG",@progbits,_ZN7rocprim17ROCPRIM_400000_NS6detail17trampoline_kernelINS0_13select_configILj256ELj13ELNS0_17block_load_methodE3ELS4_3ELS4_3ELNS0_20block_scan_algorithmE0ELj4294967295EEENS1_25partition_config_selectorILNS1_17partition_subalgoE4EjNS0_10empty_typeEbEEZZNS1_14partition_implILS8_4ELb0ES6_15HIP_vector_typeIjLj2EENS0_17counting_iteratorIjlEEPS9_SG_NS0_5tupleIJPjSI_NS0_16reverse_iteratorISI_EEEEENSH_IJSG_SG_SG_EEES9_SI_JZNS1_25segmented_radix_sort_implINS0_14default_configELb1EPK6__halfPSP_PKlPlN2at6native12_GLOBAL__N_18offset_tEEE10hipError_tPvRmT1_PNSt15iterator_traitsIS13_E10value_typeET2_T3_PNS14_IS19_E10value_typeET4_jRbjT5_S1F_jjP12ihipStream_tbEUljE_ZNSN_ISO_Lb1ESR_SS_SU_SV_SZ_EES10_S11_S12_S13_S17_S18_S19_S1C_S1D_jS1E_jS1F_S1F_jjS1H_bEUljE0_EEES10_S11_S12_S19_S1D_S1F_T6_T7_T9_mT8_S1H_bDpT10_ENKUlT_T0_E_clISt17integral_constantIbLb1EES1V_EEDaS1Q_S1R_EUlS1Q_E_NS1_11comp_targetILNS1_3genE9ELNS1_11target_archE1100ELNS1_3gpuE3ELNS1_3repE0EEENS1_30default_config_static_selectorELNS0_4arch9wavefront6targetE0EEEvS13_,comdat
	.globl	_ZN7rocprim17ROCPRIM_400000_NS6detail17trampoline_kernelINS0_13select_configILj256ELj13ELNS0_17block_load_methodE3ELS4_3ELS4_3ELNS0_20block_scan_algorithmE0ELj4294967295EEENS1_25partition_config_selectorILNS1_17partition_subalgoE4EjNS0_10empty_typeEbEEZZNS1_14partition_implILS8_4ELb0ES6_15HIP_vector_typeIjLj2EENS0_17counting_iteratorIjlEEPS9_SG_NS0_5tupleIJPjSI_NS0_16reverse_iteratorISI_EEEEENSH_IJSG_SG_SG_EEES9_SI_JZNS1_25segmented_radix_sort_implINS0_14default_configELb1EPK6__halfPSP_PKlPlN2at6native12_GLOBAL__N_18offset_tEEE10hipError_tPvRmT1_PNSt15iterator_traitsIS13_E10value_typeET2_T3_PNS14_IS19_E10value_typeET4_jRbjT5_S1F_jjP12ihipStream_tbEUljE_ZNSN_ISO_Lb1ESR_SS_SU_SV_SZ_EES10_S11_S12_S13_S17_S18_S19_S1C_S1D_jS1E_jS1F_S1F_jjS1H_bEUljE0_EEES10_S11_S12_S19_S1D_S1F_T6_T7_T9_mT8_S1H_bDpT10_ENKUlT_T0_E_clISt17integral_constantIbLb1EES1V_EEDaS1Q_S1R_EUlS1Q_E_NS1_11comp_targetILNS1_3genE9ELNS1_11target_archE1100ELNS1_3gpuE3ELNS1_3repE0EEENS1_30default_config_static_selectorELNS0_4arch9wavefront6targetE0EEEvS13_ ; -- Begin function _ZN7rocprim17ROCPRIM_400000_NS6detail17trampoline_kernelINS0_13select_configILj256ELj13ELNS0_17block_load_methodE3ELS4_3ELS4_3ELNS0_20block_scan_algorithmE0ELj4294967295EEENS1_25partition_config_selectorILNS1_17partition_subalgoE4EjNS0_10empty_typeEbEEZZNS1_14partition_implILS8_4ELb0ES6_15HIP_vector_typeIjLj2EENS0_17counting_iteratorIjlEEPS9_SG_NS0_5tupleIJPjSI_NS0_16reverse_iteratorISI_EEEEENSH_IJSG_SG_SG_EEES9_SI_JZNS1_25segmented_radix_sort_implINS0_14default_configELb1EPK6__halfPSP_PKlPlN2at6native12_GLOBAL__N_18offset_tEEE10hipError_tPvRmT1_PNSt15iterator_traitsIS13_E10value_typeET2_T3_PNS14_IS19_E10value_typeET4_jRbjT5_S1F_jjP12ihipStream_tbEUljE_ZNSN_ISO_Lb1ESR_SS_SU_SV_SZ_EES10_S11_S12_S13_S17_S18_S19_S1C_S1D_jS1E_jS1F_S1F_jjS1H_bEUljE0_EEES10_S11_S12_S19_S1D_S1F_T6_T7_T9_mT8_S1H_bDpT10_ENKUlT_T0_E_clISt17integral_constantIbLb1EES1V_EEDaS1Q_S1R_EUlS1Q_E_NS1_11comp_targetILNS1_3genE9ELNS1_11target_archE1100ELNS1_3gpuE3ELNS1_3repE0EEENS1_30default_config_static_selectorELNS0_4arch9wavefront6targetE0EEEvS13_
	.p2align	8
	.type	_ZN7rocprim17ROCPRIM_400000_NS6detail17trampoline_kernelINS0_13select_configILj256ELj13ELNS0_17block_load_methodE3ELS4_3ELS4_3ELNS0_20block_scan_algorithmE0ELj4294967295EEENS1_25partition_config_selectorILNS1_17partition_subalgoE4EjNS0_10empty_typeEbEEZZNS1_14partition_implILS8_4ELb0ES6_15HIP_vector_typeIjLj2EENS0_17counting_iteratorIjlEEPS9_SG_NS0_5tupleIJPjSI_NS0_16reverse_iteratorISI_EEEEENSH_IJSG_SG_SG_EEES9_SI_JZNS1_25segmented_radix_sort_implINS0_14default_configELb1EPK6__halfPSP_PKlPlN2at6native12_GLOBAL__N_18offset_tEEE10hipError_tPvRmT1_PNSt15iterator_traitsIS13_E10value_typeET2_T3_PNS14_IS19_E10value_typeET4_jRbjT5_S1F_jjP12ihipStream_tbEUljE_ZNSN_ISO_Lb1ESR_SS_SU_SV_SZ_EES10_S11_S12_S13_S17_S18_S19_S1C_S1D_jS1E_jS1F_S1F_jjS1H_bEUljE0_EEES10_S11_S12_S19_S1D_S1F_T6_T7_T9_mT8_S1H_bDpT10_ENKUlT_T0_E_clISt17integral_constantIbLb1EES1V_EEDaS1Q_S1R_EUlS1Q_E_NS1_11comp_targetILNS1_3genE9ELNS1_11target_archE1100ELNS1_3gpuE3ELNS1_3repE0EEENS1_30default_config_static_selectorELNS0_4arch9wavefront6targetE0EEEvS13_,@function
_ZN7rocprim17ROCPRIM_400000_NS6detail17trampoline_kernelINS0_13select_configILj256ELj13ELNS0_17block_load_methodE3ELS4_3ELS4_3ELNS0_20block_scan_algorithmE0ELj4294967295EEENS1_25partition_config_selectorILNS1_17partition_subalgoE4EjNS0_10empty_typeEbEEZZNS1_14partition_implILS8_4ELb0ES6_15HIP_vector_typeIjLj2EENS0_17counting_iteratorIjlEEPS9_SG_NS0_5tupleIJPjSI_NS0_16reverse_iteratorISI_EEEEENSH_IJSG_SG_SG_EEES9_SI_JZNS1_25segmented_radix_sort_implINS0_14default_configELb1EPK6__halfPSP_PKlPlN2at6native12_GLOBAL__N_18offset_tEEE10hipError_tPvRmT1_PNSt15iterator_traitsIS13_E10value_typeET2_T3_PNS14_IS19_E10value_typeET4_jRbjT5_S1F_jjP12ihipStream_tbEUljE_ZNSN_ISO_Lb1ESR_SS_SU_SV_SZ_EES10_S11_S12_S13_S17_S18_S19_S1C_S1D_jS1E_jS1F_S1F_jjS1H_bEUljE0_EEES10_S11_S12_S19_S1D_S1F_T6_T7_T9_mT8_S1H_bDpT10_ENKUlT_T0_E_clISt17integral_constantIbLb1EES1V_EEDaS1Q_S1R_EUlS1Q_E_NS1_11comp_targetILNS1_3genE9ELNS1_11target_archE1100ELNS1_3gpuE3ELNS1_3repE0EEENS1_30default_config_static_selectorELNS0_4arch9wavefront6targetE0EEEvS13_: ; @_ZN7rocprim17ROCPRIM_400000_NS6detail17trampoline_kernelINS0_13select_configILj256ELj13ELNS0_17block_load_methodE3ELS4_3ELS4_3ELNS0_20block_scan_algorithmE0ELj4294967295EEENS1_25partition_config_selectorILNS1_17partition_subalgoE4EjNS0_10empty_typeEbEEZZNS1_14partition_implILS8_4ELb0ES6_15HIP_vector_typeIjLj2EENS0_17counting_iteratorIjlEEPS9_SG_NS0_5tupleIJPjSI_NS0_16reverse_iteratorISI_EEEEENSH_IJSG_SG_SG_EEES9_SI_JZNS1_25segmented_radix_sort_implINS0_14default_configELb1EPK6__halfPSP_PKlPlN2at6native12_GLOBAL__N_18offset_tEEE10hipError_tPvRmT1_PNSt15iterator_traitsIS13_E10value_typeET2_T3_PNS14_IS19_E10value_typeET4_jRbjT5_S1F_jjP12ihipStream_tbEUljE_ZNSN_ISO_Lb1ESR_SS_SU_SV_SZ_EES10_S11_S12_S13_S17_S18_S19_S1C_S1D_jS1E_jS1F_S1F_jjS1H_bEUljE0_EEES10_S11_S12_S19_S1D_S1F_T6_T7_T9_mT8_S1H_bDpT10_ENKUlT_T0_E_clISt17integral_constantIbLb1EES1V_EEDaS1Q_S1R_EUlS1Q_E_NS1_11comp_targetILNS1_3genE9ELNS1_11target_archE1100ELNS1_3gpuE3ELNS1_3repE0EEENS1_30default_config_static_selectorELNS0_4arch9wavefront6targetE0EEEvS13_
; %bb.0:
	.section	.rodata,"a",@progbits
	.p2align	6, 0x0
	.amdhsa_kernel _ZN7rocprim17ROCPRIM_400000_NS6detail17trampoline_kernelINS0_13select_configILj256ELj13ELNS0_17block_load_methodE3ELS4_3ELS4_3ELNS0_20block_scan_algorithmE0ELj4294967295EEENS1_25partition_config_selectorILNS1_17partition_subalgoE4EjNS0_10empty_typeEbEEZZNS1_14partition_implILS8_4ELb0ES6_15HIP_vector_typeIjLj2EENS0_17counting_iteratorIjlEEPS9_SG_NS0_5tupleIJPjSI_NS0_16reverse_iteratorISI_EEEEENSH_IJSG_SG_SG_EEES9_SI_JZNS1_25segmented_radix_sort_implINS0_14default_configELb1EPK6__halfPSP_PKlPlN2at6native12_GLOBAL__N_18offset_tEEE10hipError_tPvRmT1_PNSt15iterator_traitsIS13_E10value_typeET2_T3_PNS14_IS19_E10value_typeET4_jRbjT5_S1F_jjP12ihipStream_tbEUljE_ZNSN_ISO_Lb1ESR_SS_SU_SV_SZ_EES10_S11_S12_S13_S17_S18_S19_S1C_S1D_jS1E_jS1F_S1F_jjS1H_bEUljE0_EEES10_S11_S12_S19_S1D_S1F_T6_T7_T9_mT8_S1H_bDpT10_ENKUlT_T0_E_clISt17integral_constantIbLb1EES1V_EEDaS1Q_S1R_EUlS1Q_E_NS1_11comp_targetILNS1_3genE9ELNS1_11target_archE1100ELNS1_3gpuE3ELNS1_3repE0EEENS1_30default_config_static_selectorELNS0_4arch9wavefront6targetE0EEEvS13_
		.amdhsa_group_segment_fixed_size 0
		.amdhsa_private_segment_fixed_size 0
		.amdhsa_kernarg_size 184
		.amdhsa_user_sgpr_count 6
		.amdhsa_user_sgpr_private_segment_buffer 1
		.amdhsa_user_sgpr_dispatch_ptr 0
		.amdhsa_user_sgpr_queue_ptr 0
		.amdhsa_user_sgpr_kernarg_segment_ptr 1
		.amdhsa_user_sgpr_dispatch_id 0
		.amdhsa_user_sgpr_flat_scratch_init 0
		.amdhsa_user_sgpr_private_segment_size 0
		.amdhsa_wavefront_size32 1
		.amdhsa_uses_dynamic_stack 0
		.amdhsa_system_sgpr_private_segment_wavefront_offset 0
		.amdhsa_system_sgpr_workgroup_id_x 1
		.amdhsa_system_sgpr_workgroup_id_y 0
		.amdhsa_system_sgpr_workgroup_id_z 0
		.amdhsa_system_sgpr_workgroup_info 0
		.amdhsa_system_vgpr_workitem_id 0
		.amdhsa_next_free_vgpr 1
		.amdhsa_next_free_sgpr 1
		.amdhsa_reserve_vcc 0
		.amdhsa_reserve_flat_scratch 0
		.amdhsa_float_round_mode_32 0
		.amdhsa_float_round_mode_16_64 0
		.amdhsa_float_denorm_mode_32 3
		.amdhsa_float_denorm_mode_16_64 3
		.amdhsa_dx10_clamp 1
		.amdhsa_ieee_mode 1
		.amdhsa_fp16_overflow 0
		.amdhsa_workgroup_processor_mode 1
		.amdhsa_memory_ordered 1
		.amdhsa_forward_progress 1
		.amdhsa_shared_vgpr_count 0
		.amdhsa_exception_fp_ieee_invalid_op 0
		.amdhsa_exception_fp_denorm_src 0
		.amdhsa_exception_fp_ieee_div_zero 0
		.amdhsa_exception_fp_ieee_overflow 0
		.amdhsa_exception_fp_ieee_underflow 0
		.amdhsa_exception_fp_ieee_inexact 0
		.amdhsa_exception_int_div_zero 0
	.end_amdhsa_kernel
	.section	.text._ZN7rocprim17ROCPRIM_400000_NS6detail17trampoline_kernelINS0_13select_configILj256ELj13ELNS0_17block_load_methodE3ELS4_3ELS4_3ELNS0_20block_scan_algorithmE0ELj4294967295EEENS1_25partition_config_selectorILNS1_17partition_subalgoE4EjNS0_10empty_typeEbEEZZNS1_14partition_implILS8_4ELb0ES6_15HIP_vector_typeIjLj2EENS0_17counting_iteratorIjlEEPS9_SG_NS0_5tupleIJPjSI_NS0_16reverse_iteratorISI_EEEEENSH_IJSG_SG_SG_EEES9_SI_JZNS1_25segmented_radix_sort_implINS0_14default_configELb1EPK6__halfPSP_PKlPlN2at6native12_GLOBAL__N_18offset_tEEE10hipError_tPvRmT1_PNSt15iterator_traitsIS13_E10value_typeET2_T3_PNS14_IS19_E10value_typeET4_jRbjT5_S1F_jjP12ihipStream_tbEUljE_ZNSN_ISO_Lb1ESR_SS_SU_SV_SZ_EES10_S11_S12_S13_S17_S18_S19_S1C_S1D_jS1E_jS1F_S1F_jjS1H_bEUljE0_EEES10_S11_S12_S19_S1D_S1F_T6_T7_T9_mT8_S1H_bDpT10_ENKUlT_T0_E_clISt17integral_constantIbLb1EES1V_EEDaS1Q_S1R_EUlS1Q_E_NS1_11comp_targetILNS1_3genE9ELNS1_11target_archE1100ELNS1_3gpuE3ELNS1_3repE0EEENS1_30default_config_static_selectorELNS0_4arch9wavefront6targetE0EEEvS13_,"axG",@progbits,_ZN7rocprim17ROCPRIM_400000_NS6detail17trampoline_kernelINS0_13select_configILj256ELj13ELNS0_17block_load_methodE3ELS4_3ELS4_3ELNS0_20block_scan_algorithmE0ELj4294967295EEENS1_25partition_config_selectorILNS1_17partition_subalgoE4EjNS0_10empty_typeEbEEZZNS1_14partition_implILS8_4ELb0ES6_15HIP_vector_typeIjLj2EENS0_17counting_iteratorIjlEEPS9_SG_NS0_5tupleIJPjSI_NS0_16reverse_iteratorISI_EEEEENSH_IJSG_SG_SG_EEES9_SI_JZNS1_25segmented_radix_sort_implINS0_14default_configELb1EPK6__halfPSP_PKlPlN2at6native12_GLOBAL__N_18offset_tEEE10hipError_tPvRmT1_PNSt15iterator_traitsIS13_E10value_typeET2_T3_PNS14_IS19_E10value_typeET4_jRbjT5_S1F_jjP12ihipStream_tbEUljE_ZNSN_ISO_Lb1ESR_SS_SU_SV_SZ_EES10_S11_S12_S13_S17_S18_S19_S1C_S1D_jS1E_jS1F_S1F_jjS1H_bEUljE0_EEES10_S11_S12_S19_S1D_S1F_T6_T7_T9_mT8_S1H_bDpT10_ENKUlT_T0_E_clISt17integral_constantIbLb1EES1V_EEDaS1Q_S1R_EUlS1Q_E_NS1_11comp_targetILNS1_3genE9ELNS1_11target_archE1100ELNS1_3gpuE3ELNS1_3repE0EEENS1_30default_config_static_selectorELNS0_4arch9wavefront6targetE0EEEvS13_,comdat
.Lfunc_end1679:
	.size	_ZN7rocprim17ROCPRIM_400000_NS6detail17trampoline_kernelINS0_13select_configILj256ELj13ELNS0_17block_load_methodE3ELS4_3ELS4_3ELNS0_20block_scan_algorithmE0ELj4294967295EEENS1_25partition_config_selectorILNS1_17partition_subalgoE4EjNS0_10empty_typeEbEEZZNS1_14partition_implILS8_4ELb0ES6_15HIP_vector_typeIjLj2EENS0_17counting_iteratorIjlEEPS9_SG_NS0_5tupleIJPjSI_NS0_16reverse_iteratorISI_EEEEENSH_IJSG_SG_SG_EEES9_SI_JZNS1_25segmented_radix_sort_implINS0_14default_configELb1EPK6__halfPSP_PKlPlN2at6native12_GLOBAL__N_18offset_tEEE10hipError_tPvRmT1_PNSt15iterator_traitsIS13_E10value_typeET2_T3_PNS14_IS19_E10value_typeET4_jRbjT5_S1F_jjP12ihipStream_tbEUljE_ZNSN_ISO_Lb1ESR_SS_SU_SV_SZ_EES10_S11_S12_S13_S17_S18_S19_S1C_S1D_jS1E_jS1F_S1F_jjS1H_bEUljE0_EEES10_S11_S12_S19_S1D_S1F_T6_T7_T9_mT8_S1H_bDpT10_ENKUlT_T0_E_clISt17integral_constantIbLb1EES1V_EEDaS1Q_S1R_EUlS1Q_E_NS1_11comp_targetILNS1_3genE9ELNS1_11target_archE1100ELNS1_3gpuE3ELNS1_3repE0EEENS1_30default_config_static_selectorELNS0_4arch9wavefront6targetE0EEEvS13_, .Lfunc_end1679-_ZN7rocprim17ROCPRIM_400000_NS6detail17trampoline_kernelINS0_13select_configILj256ELj13ELNS0_17block_load_methodE3ELS4_3ELS4_3ELNS0_20block_scan_algorithmE0ELj4294967295EEENS1_25partition_config_selectorILNS1_17partition_subalgoE4EjNS0_10empty_typeEbEEZZNS1_14partition_implILS8_4ELb0ES6_15HIP_vector_typeIjLj2EENS0_17counting_iteratorIjlEEPS9_SG_NS0_5tupleIJPjSI_NS0_16reverse_iteratorISI_EEEEENSH_IJSG_SG_SG_EEES9_SI_JZNS1_25segmented_radix_sort_implINS0_14default_configELb1EPK6__halfPSP_PKlPlN2at6native12_GLOBAL__N_18offset_tEEE10hipError_tPvRmT1_PNSt15iterator_traitsIS13_E10value_typeET2_T3_PNS14_IS19_E10value_typeET4_jRbjT5_S1F_jjP12ihipStream_tbEUljE_ZNSN_ISO_Lb1ESR_SS_SU_SV_SZ_EES10_S11_S12_S13_S17_S18_S19_S1C_S1D_jS1E_jS1F_S1F_jjS1H_bEUljE0_EEES10_S11_S12_S19_S1D_S1F_T6_T7_T9_mT8_S1H_bDpT10_ENKUlT_T0_E_clISt17integral_constantIbLb1EES1V_EEDaS1Q_S1R_EUlS1Q_E_NS1_11comp_targetILNS1_3genE9ELNS1_11target_archE1100ELNS1_3gpuE3ELNS1_3repE0EEENS1_30default_config_static_selectorELNS0_4arch9wavefront6targetE0EEEvS13_
                                        ; -- End function
	.set _ZN7rocprim17ROCPRIM_400000_NS6detail17trampoline_kernelINS0_13select_configILj256ELj13ELNS0_17block_load_methodE3ELS4_3ELS4_3ELNS0_20block_scan_algorithmE0ELj4294967295EEENS1_25partition_config_selectorILNS1_17partition_subalgoE4EjNS0_10empty_typeEbEEZZNS1_14partition_implILS8_4ELb0ES6_15HIP_vector_typeIjLj2EENS0_17counting_iteratorIjlEEPS9_SG_NS0_5tupleIJPjSI_NS0_16reverse_iteratorISI_EEEEENSH_IJSG_SG_SG_EEES9_SI_JZNS1_25segmented_radix_sort_implINS0_14default_configELb1EPK6__halfPSP_PKlPlN2at6native12_GLOBAL__N_18offset_tEEE10hipError_tPvRmT1_PNSt15iterator_traitsIS13_E10value_typeET2_T3_PNS14_IS19_E10value_typeET4_jRbjT5_S1F_jjP12ihipStream_tbEUljE_ZNSN_ISO_Lb1ESR_SS_SU_SV_SZ_EES10_S11_S12_S13_S17_S18_S19_S1C_S1D_jS1E_jS1F_S1F_jjS1H_bEUljE0_EEES10_S11_S12_S19_S1D_S1F_T6_T7_T9_mT8_S1H_bDpT10_ENKUlT_T0_E_clISt17integral_constantIbLb1EES1V_EEDaS1Q_S1R_EUlS1Q_E_NS1_11comp_targetILNS1_3genE9ELNS1_11target_archE1100ELNS1_3gpuE3ELNS1_3repE0EEENS1_30default_config_static_selectorELNS0_4arch9wavefront6targetE0EEEvS13_.num_vgpr, 0
	.set _ZN7rocprim17ROCPRIM_400000_NS6detail17trampoline_kernelINS0_13select_configILj256ELj13ELNS0_17block_load_methodE3ELS4_3ELS4_3ELNS0_20block_scan_algorithmE0ELj4294967295EEENS1_25partition_config_selectorILNS1_17partition_subalgoE4EjNS0_10empty_typeEbEEZZNS1_14partition_implILS8_4ELb0ES6_15HIP_vector_typeIjLj2EENS0_17counting_iteratorIjlEEPS9_SG_NS0_5tupleIJPjSI_NS0_16reverse_iteratorISI_EEEEENSH_IJSG_SG_SG_EEES9_SI_JZNS1_25segmented_radix_sort_implINS0_14default_configELb1EPK6__halfPSP_PKlPlN2at6native12_GLOBAL__N_18offset_tEEE10hipError_tPvRmT1_PNSt15iterator_traitsIS13_E10value_typeET2_T3_PNS14_IS19_E10value_typeET4_jRbjT5_S1F_jjP12ihipStream_tbEUljE_ZNSN_ISO_Lb1ESR_SS_SU_SV_SZ_EES10_S11_S12_S13_S17_S18_S19_S1C_S1D_jS1E_jS1F_S1F_jjS1H_bEUljE0_EEES10_S11_S12_S19_S1D_S1F_T6_T7_T9_mT8_S1H_bDpT10_ENKUlT_T0_E_clISt17integral_constantIbLb1EES1V_EEDaS1Q_S1R_EUlS1Q_E_NS1_11comp_targetILNS1_3genE9ELNS1_11target_archE1100ELNS1_3gpuE3ELNS1_3repE0EEENS1_30default_config_static_selectorELNS0_4arch9wavefront6targetE0EEEvS13_.num_agpr, 0
	.set _ZN7rocprim17ROCPRIM_400000_NS6detail17trampoline_kernelINS0_13select_configILj256ELj13ELNS0_17block_load_methodE3ELS4_3ELS4_3ELNS0_20block_scan_algorithmE0ELj4294967295EEENS1_25partition_config_selectorILNS1_17partition_subalgoE4EjNS0_10empty_typeEbEEZZNS1_14partition_implILS8_4ELb0ES6_15HIP_vector_typeIjLj2EENS0_17counting_iteratorIjlEEPS9_SG_NS0_5tupleIJPjSI_NS0_16reverse_iteratorISI_EEEEENSH_IJSG_SG_SG_EEES9_SI_JZNS1_25segmented_radix_sort_implINS0_14default_configELb1EPK6__halfPSP_PKlPlN2at6native12_GLOBAL__N_18offset_tEEE10hipError_tPvRmT1_PNSt15iterator_traitsIS13_E10value_typeET2_T3_PNS14_IS19_E10value_typeET4_jRbjT5_S1F_jjP12ihipStream_tbEUljE_ZNSN_ISO_Lb1ESR_SS_SU_SV_SZ_EES10_S11_S12_S13_S17_S18_S19_S1C_S1D_jS1E_jS1F_S1F_jjS1H_bEUljE0_EEES10_S11_S12_S19_S1D_S1F_T6_T7_T9_mT8_S1H_bDpT10_ENKUlT_T0_E_clISt17integral_constantIbLb1EES1V_EEDaS1Q_S1R_EUlS1Q_E_NS1_11comp_targetILNS1_3genE9ELNS1_11target_archE1100ELNS1_3gpuE3ELNS1_3repE0EEENS1_30default_config_static_selectorELNS0_4arch9wavefront6targetE0EEEvS13_.numbered_sgpr, 0
	.set _ZN7rocprim17ROCPRIM_400000_NS6detail17trampoline_kernelINS0_13select_configILj256ELj13ELNS0_17block_load_methodE3ELS4_3ELS4_3ELNS0_20block_scan_algorithmE0ELj4294967295EEENS1_25partition_config_selectorILNS1_17partition_subalgoE4EjNS0_10empty_typeEbEEZZNS1_14partition_implILS8_4ELb0ES6_15HIP_vector_typeIjLj2EENS0_17counting_iteratorIjlEEPS9_SG_NS0_5tupleIJPjSI_NS0_16reverse_iteratorISI_EEEEENSH_IJSG_SG_SG_EEES9_SI_JZNS1_25segmented_radix_sort_implINS0_14default_configELb1EPK6__halfPSP_PKlPlN2at6native12_GLOBAL__N_18offset_tEEE10hipError_tPvRmT1_PNSt15iterator_traitsIS13_E10value_typeET2_T3_PNS14_IS19_E10value_typeET4_jRbjT5_S1F_jjP12ihipStream_tbEUljE_ZNSN_ISO_Lb1ESR_SS_SU_SV_SZ_EES10_S11_S12_S13_S17_S18_S19_S1C_S1D_jS1E_jS1F_S1F_jjS1H_bEUljE0_EEES10_S11_S12_S19_S1D_S1F_T6_T7_T9_mT8_S1H_bDpT10_ENKUlT_T0_E_clISt17integral_constantIbLb1EES1V_EEDaS1Q_S1R_EUlS1Q_E_NS1_11comp_targetILNS1_3genE9ELNS1_11target_archE1100ELNS1_3gpuE3ELNS1_3repE0EEENS1_30default_config_static_selectorELNS0_4arch9wavefront6targetE0EEEvS13_.num_named_barrier, 0
	.set _ZN7rocprim17ROCPRIM_400000_NS6detail17trampoline_kernelINS0_13select_configILj256ELj13ELNS0_17block_load_methodE3ELS4_3ELS4_3ELNS0_20block_scan_algorithmE0ELj4294967295EEENS1_25partition_config_selectorILNS1_17partition_subalgoE4EjNS0_10empty_typeEbEEZZNS1_14partition_implILS8_4ELb0ES6_15HIP_vector_typeIjLj2EENS0_17counting_iteratorIjlEEPS9_SG_NS0_5tupleIJPjSI_NS0_16reverse_iteratorISI_EEEEENSH_IJSG_SG_SG_EEES9_SI_JZNS1_25segmented_radix_sort_implINS0_14default_configELb1EPK6__halfPSP_PKlPlN2at6native12_GLOBAL__N_18offset_tEEE10hipError_tPvRmT1_PNSt15iterator_traitsIS13_E10value_typeET2_T3_PNS14_IS19_E10value_typeET4_jRbjT5_S1F_jjP12ihipStream_tbEUljE_ZNSN_ISO_Lb1ESR_SS_SU_SV_SZ_EES10_S11_S12_S13_S17_S18_S19_S1C_S1D_jS1E_jS1F_S1F_jjS1H_bEUljE0_EEES10_S11_S12_S19_S1D_S1F_T6_T7_T9_mT8_S1H_bDpT10_ENKUlT_T0_E_clISt17integral_constantIbLb1EES1V_EEDaS1Q_S1R_EUlS1Q_E_NS1_11comp_targetILNS1_3genE9ELNS1_11target_archE1100ELNS1_3gpuE3ELNS1_3repE0EEENS1_30default_config_static_selectorELNS0_4arch9wavefront6targetE0EEEvS13_.private_seg_size, 0
	.set _ZN7rocprim17ROCPRIM_400000_NS6detail17trampoline_kernelINS0_13select_configILj256ELj13ELNS0_17block_load_methodE3ELS4_3ELS4_3ELNS0_20block_scan_algorithmE0ELj4294967295EEENS1_25partition_config_selectorILNS1_17partition_subalgoE4EjNS0_10empty_typeEbEEZZNS1_14partition_implILS8_4ELb0ES6_15HIP_vector_typeIjLj2EENS0_17counting_iteratorIjlEEPS9_SG_NS0_5tupleIJPjSI_NS0_16reverse_iteratorISI_EEEEENSH_IJSG_SG_SG_EEES9_SI_JZNS1_25segmented_radix_sort_implINS0_14default_configELb1EPK6__halfPSP_PKlPlN2at6native12_GLOBAL__N_18offset_tEEE10hipError_tPvRmT1_PNSt15iterator_traitsIS13_E10value_typeET2_T3_PNS14_IS19_E10value_typeET4_jRbjT5_S1F_jjP12ihipStream_tbEUljE_ZNSN_ISO_Lb1ESR_SS_SU_SV_SZ_EES10_S11_S12_S13_S17_S18_S19_S1C_S1D_jS1E_jS1F_S1F_jjS1H_bEUljE0_EEES10_S11_S12_S19_S1D_S1F_T6_T7_T9_mT8_S1H_bDpT10_ENKUlT_T0_E_clISt17integral_constantIbLb1EES1V_EEDaS1Q_S1R_EUlS1Q_E_NS1_11comp_targetILNS1_3genE9ELNS1_11target_archE1100ELNS1_3gpuE3ELNS1_3repE0EEENS1_30default_config_static_selectorELNS0_4arch9wavefront6targetE0EEEvS13_.uses_vcc, 0
	.set _ZN7rocprim17ROCPRIM_400000_NS6detail17trampoline_kernelINS0_13select_configILj256ELj13ELNS0_17block_load_methodE3ELS4_3ELS4_3ELNS0_20block_scan_algorithmE0ELj4294967295EEENS1_25partition_config_selectorILNS1_17partition_subalgoE4EjNS0_10empty_typeEbEEZZNS1_14partition_implILS8_4ELb0ES6_15HIP_vector_typeIjLj2EENS0_17counting_iteratorIjlEEPS9_SG_NS0_5tupleIJPjSI_NS0_16reverse_iteratorISI_EEEEENSH_IJSG_SG_SG_EEES9_SI_JZNS1_25segmented_radix_sort_implINS0_14default_configELb1EPK6__halfPSP_PKlPlN2at6native12_GLOBAL__N_18offset_tEEE10hipError_tPvRmT1_PNSt15iterator_traitsIS13_E10value_typeET2_T3_PNS14_IS19_E10value_typeET4_jRbjT5_S1F_jjP12ihipStream_tbEUljE_ZNSN_ISO_Lb1ESR_SS_SU_SV_SZ_EES10_S11_S12_S13_S17_S18_S19_S1C_S1D_jS1E_jS1F_S1F_jjS1H_bEUljE0_EEES10_S11_S12_S19_S1D_S1F_T6_T7_T9_mT8_S1H_bDpT10_ENKUlT_T0_E_clISt17integral_constantIbLb1EES1V_EEDaS1Q_S1R_EUlS1Q_E_NS1_11comp_targetILNS1_3genE9ELNS1_11target_archE1100ELNS1_3gpuE3ELNS1_3repE0EEENS1_30default_config_static_selectorELNS0_4arch9wavefront6targetE0EEEvS13_.uses_flat_scratch, 0
	.set _ZN7rocprim17ROCPRIM_400000_NS6detail17trampoline_kernelINS0_13select_configILj256ELj13ELNS0_17block_load_methodE3ELS4_3ELS4_3ELNS0_20block_scan_algorithmE0ELj4294967295EEENS1_25partition_config_selectorILNS1_17partition_subalgoE4EjNS0_10empty_typeEbEEZZNS1_14partition_implILS8_4ELb0ES6_15HIP_vector_typeIjLj2EENS0_17counting_iteratorIjlEEPS9_SG_NS0_5tupleIJPjSI_NS0_16reverse_iteratorISI_EEEEENSH_IJSG_SG_SG_EEES9_SI_JZNS1_25segmented_radix_sort_implINS0_14default_configELb1EPK6__halfPSP_PKlPlN2at6native12_GLOBAL__N_18offset_tEEE10hipError_tPvRmT1_PNSt15iterator_traitsIS13_E10value_typeET2_T3_PNS14_IS19_E10value_typeET4_jRbjT5_S1F_jjP12ihipStream_tbEUljE_ZNSN_ISO_Lb1ESR_SS_SU_SV_SZ_EES10_S11_S12_S13_S17_S18_S19_S1C_S1D_jS1E_jS1F_S1F_jjS1H_bEUljE0_EEES10_S11_S12_S19_S1D_S1F_T6_T7_T9_mT8_S1H_bDpT10_ENKUlT_T0_E_clISt17integral_constantIbLb1EES1V_EEDaS1Q_S1R_EUlS1Q_E_NS1_11comp_targetILNS1_3genE9ELNS1_11target_archE1100ELNS1_3gpuE3ELNS1_3repE0EEENS1_30default_config_static_selectorELNS0_4arch9wavefront6targetE0EEEvS13_.has_dyn_sized_stack, 0
	.set _ZN7rocprim17ROCPRIM_400000_NS6detail17trampoline_kernelINS0_13select_configILj256ELj13ELNS0_17block_load_methodE3ELS4_3ELS4_3ELNS0_20block_scan_algorithmE0ELj4294967295EEENS1_25partition_config_selectorILNS1_17partition_subalgoE4EjNS0_10empty_typeEbEEZZNS1_14partition_implILS8_4ELb0ES6_15HIP_vector_typeIjLj2EENS0_17counting_iteratorIjlEEPS9_SG_NS0_5tupleIJPjSI_NS0_16reverse_iteratorISI_EEEEENSH_IJSG_SG_SG_EEES9_SI_JZNS1_25segmented_radix_sort_implINS0_14default_configELb1EPK6__halfPSP_PKlPlN2at6native12_GLOBAL__N_18offset_tEEE10hipError_tPvRmT1_PNSt15iterator_traitsIS13_E10value_typeET2_T3_PNS14_IS19_E10value_typeET4_jRbjT5_S1F_jjP12ihipStream_tbEUljE_ZNSN_ISO_Lb1ESR_SS_SU_SV_SZ_EES10_S11_S12_S13_S17_S18_S19_S1C_S1D_jS1E_jS1F_S1F_jjS1H_bEUljE0_EEES10_S11_S12_S19_S1D_S1F_T6_T7_T9_mT8_S1H_bDpT10_ENKUlT_T0_E_clISt17integral_constantIbLb1EES1V_EEDaS1Q_S1R_EUlS1Q_E_NS1_11comp_targetILNS1_3genE9ELNS1_11target_archE1100ELNS1_3gpuE3ELNS1_3repE0EEENS1_30default_config_static_selectorELNS0_4arch9wavefront6targetE0EEEvS13_.has_recursion, 0
	.set _ZN7rocprim17ROCPRIM_400000_NS6detail17trampoline_kernelINS0_13select_configILj256ELj13ELNS0_17block_load_methodE3ELS4_3ELS4_3ELNS0_20block_scan_algorithmE0ELj4294967295EEENS1_25partition_config_selectorILNS1_17partition_subalgoE4EjNS0_10empty_typeEbEEZZNS1_14partition_implILS8_4ELb0ES6_15HIP_vector_typeIjLj2EENS0_17counting_iteratorIjlEEPS9_SG_NS0_5tupleIJPjSI_NS0_16reverse_iteratorISI_EEEEENSH_IJSG_SG_SG_EEES9_SI_JZNS1_25segmented_radix_sort_implINS0_14default_configELb1EPK6__halfPSP_PKlPlN2at6native12_GLOBAL__N_18offset_tEEE10hipError_tPvRmT1_PNSt15iterator_traitsIS13_E10value_typeET2_T3_PNS14_IS19_E10value_typeET4_jRbjT5_S1F_jjP12ihipStream_tbEUljE_ZNSN_ISO_Lb1ESR_SS_SU_SV_SZ_EES10_S11_S12_S13_S17_S18_S19_S1C_S1D_jS1E_jS1F_S1F_jjS1H_bEUljE0_EEES10_S11_S12_S19_S1D_S1F_T6_T7_T9_mT8_S1H_bDpT10_ENKUlT_T0_E_clISt17integral_constantIbLb1EES1V_EEDaS1Q_S1R_EUlS1Q_E_NS1_11comp_targetILNS1_3genE9ELNS1_11target_archE1100ELNS1_3gpuE3ELNS1_3repE0EEENS1_30default_config_static_selectorELNS0_4arch9wavefront6targetE0EEEvS13_.has_indirect_call, 0
	.section	.AMDGPU.csdata,"",@progbits
; Kernel info:
; codeLenInByte = 0
; TotalNumSgprs: 0
; NumVgprs: 0
; ScratchSize: 0
; MemoryBound: 0
; FloatMode: 240
; IeeeMode: 1
; LDSByteSize: 0 bytes/workgroup (compile time only)
; SGPRBlocks: 0
; VGPRBlocks: 0
; NumSGPRsForWavesPerEU: 1
; NumVGPRsForWavesPerEU: 1
; Occupancy: 16
; WaveLimiterHint : 0
; COMPUTE_PGM_RSRC2:SCRATCH_EN: 0
; COMPUTE_PGM_RSRC2:USER_SGPR: 6
; COMPUTE_PGM_RSRC2:TRAP_HANDLER: 0
; COMPUTE_PGM_RSRC2:TGID_X_EN: 1
; COMPUTE_PGM_RSRC2:TGID_Y_EN: 0
; COMPUTE_PGM_RSRC2:TGID_Z_EN: 0
; COMPUTE_PGM_RSRC2:TIDIG_COMP_CNT: 0
	.section	.text._ZN7rocprim17ROCPRIM_400000_NS6detail17trampoline_kernelINS0_13select_configILj256ELj13ELNS0_17block_load_methodE3ELS4_3ELS4_3ELNS0_20block_scan_algorithmE0ELj4294967295EEENS1_25partition_config_selectorILNS1_17partition_subalgoE4EjNS0_10empty_typeEbEEZZNS1_14partition_implILS8_4ELb0ES6_15HIP_vector_typeIjLj2EENS0_17counting_iteratorIjlEEPS9_SG_NS0_5tupleIJPjSI_NS0_16reverse_iteratorISI_EEEEENSH_IJSG_SG_SG_EEES9_SI_JZNS1_25segmented_radix_sort_implINS0_14default_configELb1EPK6__halfPSP_PKlPlN2at6native12_GLOBAL__N_18offset_tEEE10hipError_tPvRmT1_PNSt15iterator_traitsIS13_E10value_typeET2_T3_PNS14_IS19_E10value_typeET4_jRbjT5_S1F_jjP12ihipStream_tbEUljE_ZNSN_ISO_Lb1ESR_SS_SU_SV_SZ_EES10_S11_S12_S13_S17_S18_S19_S1C_S1D_jS1E_jS1F_S1F_jjS1H_bEUljE0_EEES10_S11_S12_S19_S1D_S1F_T6_T7_T9_mT8_S1H_bDpT10_ENKUlT_T0_E_clISt17integral_constantIbLb1EES1V_EEDaS1Q_S1R_EUlS1Q_E_NS1_11comp_targetILNS1_3genE8ELNS1_11target_archE1030ELNS1_3gpuE2ELNS1_3repE0EEENS1_30default_config_static_selectorELNS0_4arch9wavefront6targetE0EEEvS13_,"axG",@progbits,_ZN7rocprim17ROCPRIM_400000_NS6detail17trampoline_kernelINS0_13select_configILj256ELj13ELNS0_17block_load_methodE3ELS4_3ELS4_3ELNS0_20block_scan_algorithmE0ELj4294967295EEENS1_25partition_config_selectorILNS1_17partition_subalgoE4EjNS0_10empty_typeEbEEZZNS1_14partition_implILS8_4ELb0ES6_15HIP_vector_typeIjLj2EENS0_17counting_iteratorIjlEEPS9_SG_NS0_5tupleIJPjSI_NS0_16reverse_iteratorISI_EEEEENSH_IJSG_SG_SG_EEES9_SI_JZNS1_25segmented_radix_sort_implINS0_14default_configELb1EPK6__halfPSP_PKlPlN2at6native12_GLOBAL__N_18offset_tEEE10hipError_tPvRmT1_PNSt15iterator_traitsIS13_E10value_typeET2_T3_PNS14_IS19_E10value_typeET4_jRbjT5_S1F_jjP12ihipStream_tbEUljE_ZNSN_ISO_Lb1ESR_SS_SU_SV_SZ_EES10_S11_S12_S13_S17_S18_S19_S1C_S1D_jS1E_jS1F_S1F_jjS1H_bEUljE0_EEES10_S11_S12_S19_S1D_S1F_T6_T7_T9_mT8_S1H_bDpT10_ENKUlT_T0_E_clISt17integral_constantIbLb1EES1V_EEDaS1Q_S1R_EUlS1Q_E_NS1_11comp_targetILNS1_3genE8ELNS1_11target_archE1030ELNS1_3gpuE2ELNS1_3repE0EEENS1_30default_config_static_selectorELNS0_4arch9wavefront6targetE0EEEvS13_,comdat
	.globl	_ZN7rocprim17ROCPRIM_400000_NS6detail17trampoline_kernelINS0_13select_configILj256ELj13ELNS0_17block_load_methodE3ELS4_3ELS4_3ELNS0_20block_scan_algorithmE0ELj4294967295EEENS1_25partition_config_selectorILNS1_17partition_subalgoE4EjNS0_10empty_typeEbEEZZNS1_14partition_implILS8_4ELb0ES6_15HIP_vector_typeIjLj2EENS0_17counting_iteratorIjlEEPS9_SG_NS0_5tupleIJPjSI_NS0_16reverse_iteratorISI_EEEEENSH_IJSG_SG_SG_EEES9_SI_JZNS1_25segmented_radix_sort_implINS0_14default_configELb1EPK6__halfPSP_PKlPlN2at6native12_GLOBAL__N_18offset_tEEE10hipError_tPvRmT1_PNSt15iterator_traitsIS13_E10value_typeET2_T3_PNS14_IS19_E10value_typeET4_jRbjT5_S1F_jjP12ihipStream_tbEUljE_ZNSN_ISO_Lb1ESR_SS_SU_SV_SZ_EES10_S11_S12_S13_S17_S18_S19_S1C_S1D_jS1E_jS1F_S1F_jjS1H_bEUljE0_EEES10_S11_S12_S19_S1D_S1F_T6_T7_T9_mT8_S1H_bDpT10_ENKUlT_T0_E_clISt17integral_constantIbLb1EES1V_EEDaS1Q_S1R_EUlS1Q_E_NS1_11comp_targetILNS1_3genE8ELNS1_11target_archE1030ELNS1_3gpuE2ELNS1_3repE0EEENS1_30default_config_static_selectorELNS0_4arch9wavefront6targetE0EEEvS13_ ; -- Begin function _ZN7rocprim17ROCPRIM_400000_NS6detail17trampoline_kernelINS0_13select_configILj256ELj13ELNS0_17block_load_methodE3ELS4_3ELS4_3ELNS0_20block_scan_algorithmE0ELj4294967295EEENS1_25partition_config_selectorILNS1_17partition_subalgoE4EjNS0_10empty_typeEbEEZZNS1_14partition_implILS8_4ELb0ES6_15HIP_vector_typeIjLj2EENS0_17counting_iteratorIjlEEPS9_SG_NS0_5tupleIJPjSI_NS0_16reverse_iteratorISI_EEEEENSH_IJSG_SG_SG_EEES9_SI_JZNS1_25segmented_radix_sort_implINS0_14default_configELb1EPK6__halfPSP_PKlPlN2at6native12_GLOBAL__N_18offset_tEEE10hipError_tPvRmT1_PNSt15iterator_traitsIS13_E10value_typeET2_T3_PNS14_IS19_E10value_typeET4_jRbjT5_S1F_jjP12ihipStream_tbEUljE_ZNSN_ISO_Lb1ESR_SS_SU_SV_SZ_EES10_S11_S12_S13_S17_S18_S19_S1C_S1D_jS1E_jS1F_S1F_jjS1H_bEUljE0_EEES10_S11_S12_S19_S1D_S1F_T6_T7_T9_mT8_S1H_bDpT10_ENKUlT_T0_E_clISt17integral_constantIbLb1EES1V_EEDaS1Q_S1R_EUlS1Q_E_NS1_11comp_targetILNS1_3genE8ELNS1_11target_archE1030ELNS1_3gpuE2ELNS1_3repE0EEENS1_30default_config_static_selectorELNS0_4arch9wavefront6targetE0EEEvS13_
	.p2align	8
	.type	_ZN7rocprim17ROCPRIM_400000_NS6detail17trampoline_kernelINS0_13select_configILj256ELj13ELNS0_17block_load_methodE3ELS4_3ELS4_3ELNS0_20block_scan_algorithmE0ELj4294967295EEENS1_25partition_config_selectorILNS1_17partition_subalgoE4EjNS0_10empty_typeEbEEZZNS1_14partition_implILS8_4ELb0ES6_15HIP_vector_typeIjLj2EENS0_17counting_iteratorIjlEEPS9_SG_NS0_5tupleIJPjSI_NS0_16reverse_iteratorISI_EEEEENSH_IJSG_SG_SG_EEES9_SI_JZNS1_25segmented_radix_sort_implINS0_14default_configELb1EPK6__halfPSP_PKlPlN2at6native12_GLOBAL__N_18offset_tEEE10hipError_tPvRmT1_PNSt15iterator_traitsIS13_E10value_typeET2_T3_PNS14_IS19_E10value_typeET4_jRbjT5_S1F_jjP12ihipStream_tbEUljE_ZNSN_ISO_Lb1ESR_SS_SU_SV_SZ_EES10_S11_S12_S13_S17_S18_S19_S1C_S1D_jS1E_jS1F_S1F_jjS1H_bEUljE0_EEES10_S11_S12_S19_S1D_S1F_T6_T7_T9_mT8_S1H_bDpT10_ENKUlT_T0_E_clISt17integral_constantIbLb1EES1V_EEDaS1Q_S1R_EUlS1Q_E_NS1_11comp_targetILNS1_3genE8ELNS1_11target_archE1030ELNS1_3gpuE2ELNS1_3repE0EEENS1_30default_config_static_selectorELNS0_4arch9wavefront6targetE0EEEvS13_,@function
_ZN7rocprim17ROCPRIM_400000_NS6detail17trampoline_kernelINS0_13select_configILj256ELj13ELNS0_17block_load_methodE3ELS4_3ELS4_3ELNS0_20block_scan_algorithmE0ELj4294967295EEENS1_25partition_config_selectorILNS1_17partition_subalgoE4EjNS0_10empty_typeEbEEZZNS1_14partition_implILS8_4ELb0ES6_15HIP_vector_typeIjLj2EENS0_17counting_iteratorIjlEEPS9_SG_NS0_5tupleIJPjSI_NS0_16reverse_iteratorISI_EEEEENSH_IJSG_SG_SG_EEES9_SI_JZNS1_25segmented_radix_sort_implINS0_14default_configELb1EPK6__halfPSP_PKlPlN2at6native12_GLOBAL__N_18offset_tEEE10hipError_tPvRmT1_PNSt15iterator_traitsIS13_E10value_typeET2_T3_PNS14_IS19_E10value_typeET4_jRbjT5_S1F_jjP12ihipStream_tbEUljE_ZNSN_ISO_Lb1ESR_SS_SU_SV_SZ_EES10_S11_S12_S13_S17_S18_S19_S1C_S1D_jS1E_jS1F_S1F_jjS1H_bEUljE0_EEES10_S11_S12_S19_S1D_S1F_T6_T7_T9_mT8_S1H_bDpT10_ENKUlT_T0_E_clISt17integral_constantIbLb1EES1V_EEDaS1Q_S1R_EUlS1Q_E_NS1_11comp_targetILNS1_3genE8ELNS1_11target_archE1030ELNS1_3gpuE2ELNS1_3repE0EEENS1_30default_config_static_selectorELNS0_4arch9wavefront6targetE0EEEvS13_: ; @_ZN7rocprim17ROCPRIM_400000_NS6detail17trampoline_kernelINS0_13select_configILj256ELj13ELNS0_17block_load_methodE3ELS4_3ELS4_3ELNS0_20block_scan_algorithmE0ELj4294967295EEENS1_25partition_config_selectorILNS1_17partition_subalgoE4EjNS0_10empty_typeEbEEZZNS1_14partition_implILS8_4ELb0ES6_15HIP_vector_typeIjLj2EENS0_17counting_iteratorIjlEEPS9_SG_NS0_5tupleIJPjSI_NS0_16reverse_iteratorISI_EEEEENSH_IJSG_SG_SG_EEES9_SI_JZNS1_25segmented_radix_sort_implINS0_14default_configELb1EPK6__halfPSP_PKlPlN2at6native12_GLOBAL__N_18offset_tEEE10hipError_tPvRmT1_PNSt15iterator_traitsIS13_E10value_typeET2_T3_PNS14_IS19_E10value_typeET4_jRbjT5_S1F_jjP12ihipStream_tbEUljE_ZNSN_ISO_Lb1ESR_SS_SU_SV_SZ_EES10_S11_S12_S13_S17_S18_S19_S1C_S1D_jS1E_jS1F_S1F_jjS1H_bEUljE0_EEES10_S11_S12_S19_S1D_S1F_T6_T7_T9_mT8_S1H_bDpT10_ENKUlT_T0_E_clISt17integral_constantIbLb1EES1V_EEDaS1Q_S1R_EUlS1Q_E_NS1_11comp_targetILNS1_3genE8ELNS1_11target_archE1030ELNS1_3gpuE2ELNS1_3repE0EEENS1_30default_config_static_selectorELNS0_4arch9wavefront6targetE0EEEvS13_
; %bb.0:
	s_endpgm
	.section	.rodata,"a",@progbits
	.p2align	6, 0x0
	.amdhsa_kernel _ZN7rocprim17ROCPRIM_400000_NS6detail17trampoline_kernelINS0_13select_configILj256ELj13ELNS0_17block_load_methodE3ELS4_3ELS4_3ELNS0_20block_scan_algorithmE0ELj4294967295EEENS1_25partition_config_selectorILNS1_17partition_subalgoE4EjNS0_10empty_typeEbEEZZNS1_14partition_implILS8_4ELb0ES6_15HIP_vector_typeIjLj2EENS0_17counting_iteratorIjlEEPS9_SG_NS0_5tupleIJPjSI_NS0_16reverse_iteratorISI_EEEEENSH_IJSG_SG_SG_EEES9_SI_JZNS1_25segmented_radix_sort_implINS0_14default_configELb1EPK6__halfPSP_PKlPlN2at6native12_GLOBAL__N_18offset_tEEE10hipError_tPvRmT1_PNSt15iterator_traitsIS13_E10value_typeET2_T3_PNS14_IS19_E10value_typeET4_jRbjT5_S1F_jjP12ihipStream_tbEUljE_ZNSN_ISO_Lb1ESR_SS_SU_SV_SZ_EES10_S11_S12_S13_S17_S18_S19_S1C_S1D_jS1E_jS1F_S1F_jjS1H_bEUljE0_EEES10_S11_S12_S19_S1D_S1F_T6_T7_T9_mT8_S1H_bDpT10_ENKUlT_T0_E_clISt17integral_constantIbLb1EES1V_EEDaS1Q_S1R_EUlS1Q_E_NS1_11comp_targetILNS1_3genE8ELNS1_11target_archE1030ELNS1_3gpuE2ELNS1_3repE0EEENS1_30default_config_static_selectorELNS0_4arch9wavefront6targetE0EEEvS13_
		.amdhsa_group_segment_fixed_size 0
		.amdhsa_private_segment_fixed_size 0
		.amdhsa_kernarg_size 184
		.amdhsa_user_sgpr_count 6
		.amdhsa_user_sgpr_private_segment_buffer 1
		.amdhsa_user_sgpr_dispatch_ptr 0
		.amdhsa_user_sgpr_queue_ptr 0
		.amdhsa_user_sgpr_kernarg_segment_ptr 1
		.amdhsa_user_sgpr_dispatch_id 0
		.amdhsa_user_sgpr_flat_scratch_init 0
		.amdhsa_user_sgpr_private_segment_size 0
		.amdhsa_wavefront_size32 1
		.amdhsa_uses_dynamic_stack 0
		.amdhsa_system_sgpr_private_segment_wavefront_offset 0
		.amdhsa_system_sgpr_workgroup_id_x 1
		.amdhsa_system_sgpr_workgroup_id_y 0
		.amdhsa_system_sgpr_workgroup_id_z 0
		.amdhsa_system_sgpr_workgroup_info 0
		.amdhsa_system_vgpr_workitem_id 0
		.amdhsa_next_free_vgpr 1
		.amdhsa_next_free_sgpr 1
		.amdhsa_reserve_vcc 0
		.amdhsa_reserve_flat_scratch 0
		.amdhsa_float_round_mode_32 0
		.amdhsa_float_round_mode_16_64 0
		.amdhsa_float_denorm_mode_32 3
		.amdhsa_float_denorm_mode_16_64 3
		.amdhsa_dx10_clamp 1
		.amdhsa_ieee_mode 1
		.amdhsa_fp16_overflow 0
		.amdhsa_workgroup_processor_mode 1
		.amdhsa_memory_ordered 1
		.amdhsa_forward_progress 1
		.amdhsa_shared_vgpr_count 0
		.amdhsa_exception_fp_ieee_invalid_op 0
		.amdhsa_exception_fp_denorm_src 0
		.amdhsa_exception_fp_ieee_div_zero 0
		.amdhsa_exception_fp_ieee_overflow 0
		.amdhsa_exception_fp_ieee_underflow 0
		.amdhsa_exception_fp_ieee_inexact 0
		.amdhsa_exception_int_div_zero 0
	.end_amdhsa_kernel
	.section	.text._ZN7rocprim17ROCPRIM_400000_NS6detail17trampoline_kernelINS0_13select_configILj256ELj13ELNS0_17block_load_methodE3ELS4_3ELS4_3ELNS0_20block_scan_algorithmE0ELj4294967295EEENS1_25partition_config_selectorILNS1_17partition_subalgoE4EjNS0_10empty_typeEbEEZZNS1_14partition_implILS8_4ELb0ES6_15HIP_vector_typeIjLj2EENS0_17counting_iteratorIjlEEPS9_SG_NS0_5tupleIJPjSI_NS0_16reverse_iteratorISI_EEEEENSH_IJSG_SG_SG_EEES9_SI_JZNS1_25segmented_radix_sort_implINS0_14default_configELb1EPK6__halfPSP_PKlPlN2at6native12_GLOBAL__N_18offset_tEEE10hipError_tPvRmT1_PNSt15iterator_traitsIS13_E10value_typeET2_T3_PNS14_IS19_E10value_typeET4_jRbjT5_S1F_jjP12ihipStream_tbEUljE_ZNSN_ISO_Lb1ESR_SS_SU_SV_SZ_EES10_S11_S12_S13_S17_S18_S19_S1C_S1D_jS1E_jS1F_S1F_jjS1H_bEUljE0_EEES10_S11_S12_S19_S1D_S1F_T6_T7_T9_mT8_S1H_bDpT10_ENKUlT_T0_E_clISt17integral_constantIbLb1EES1V_EEDaS1Q_S1R_EUlS1Q_E_NS1_11comp_targetILNS1_3genE8ELNS1_11target_archE1030ELNS1_3gpuE2ELNS1_3repE0EEENS1_30default_config_static_selectorELNS0_4arch9wavefront6targetE0EEEvS13_,"axG",@progbits,_ZN7rocprim17ROCPRIM_400000_NS6detail17trampoline_kernelINS0_13select_configILj256ELj13ELNS0_17block_load_methodE3ELS4_3ELS4_3ELNS0_20block_scan_algorithmE0ELj4294967295EEENS1_25partition_config_selectorILNS1_17partition_subalgoE4EjNS0_10empty_typeEbEEZZNS1_14partition_implILS8_4ELb0ES6_15HIP_vector_typeIjLj2EENS0_17counting_iteratorIjlEEPS9_SG_NS0_5tupleIJPjSI_NS0_16reverse_iteratorISI_EEEEENSH_IJSG_SG_SG_EEES9_SI_JZNS1_25segmented_radix_sort_implINS0_14default_configELb1EPK6__halfPSP_PKlPlN2at6native12_GLOBAL__N_18offset_tEEE10hipError_tPvRmT1_PNSt15iterator_traitsIS13_E10value_typeET2_T3_PNS14_IS19_E10value_typeET4_jRbjT5_S1F_jjP12ihipStream_tbEUljE_ZNSN_ISO_Lb1ESR_SS_SU_SV_SZ_EES10_S11_S12_S13_S17_S18_S19_S1C_S1D_jS1E_jS1F_S1F_jjS1H_bEUljE0_EEES10_S11_S12_S19_S1D_S1F_T6_T7_T9_mT8_S1H_bDpT10_ENKUlT_T0_E_clISt17integral_constantIbLb1EES1V_EEDaS1Q_S1R_EUlS1Q_E_NS1_11comp_targetILNS1_3genE8ELNS1_11target_archE1030ELNS1_3gpuE2ELNS1_3repE0EEENS1_30default_config_static_selectorELNS0_4arch9wavefront6targetE0EEEvS13_,comdat
.Lfunc_end1680:
	.size	_ZN7rocprim17ROCPRIM_400000_NS6detail17trampoline_kernelINS0_13select_configILj256ELj13ELNS0_17block_load_methodE3ELS4_3ELS4_3ELNS0_20block_scan_algorithmE0ELj4294967295EEENS1_25partition_config_selectorILNS1_17partition_subalgoE4EjNS0_10empty_typeEbEEZZNS1_14partition_implILS8_4ELb0ES6_15HIP_vector_typeIjLj2EENS0_17counting_iteratorIjlEEPS9_SG_NS0_5tupleIJPjSI_NS0_16reverse_iteratorISI_EEEEENSH_IJSG_SG_SG_EEES9_SI_JZNS1_25segmented_radix_sort_implINS0_14default_configELb1EPK6__halfPSP_PKlPlN2at6native12_GLOBAL__N_18offset_tEEE10hipError_tPvRmT1_PNSt15iterator_traitsIS13_E10value_typeET2_T3_PNS14_IS19_E10value_typeET4_jRbjT5_S1F_jjP12ihipStream_tbEUljE_ZNSN_ISO_Lb1ESR_SS_SU_SV_SZ_EES10_S11_S12_S13_S17_S18_S19_S1C_S1D_jS1E_jS1F_S1F_jjS1H_bEUljE0_EEES10_S11_S12_S19_S1D_S1F_T6_T7_T9_mT8_S1H_bDpT10_ENKUlT_T0_E_clISt17integral_constantIbLb1EES1V_EEDaS1Q_S1R_EUlS1Q_E_NS1_11comp_targetILNS1_3genE8ELNS1_11target_archE1030ELNS1_3gpuE2ELNS1_3repE0EEENS1_30default_config_static_selectorELNS0_4arch9wavefront6targetE0EEEvS13_, .Lfunc_end1680-_ZN7rocprim17ROCPRIM_400000_NS6detail17trampoline_kernelINS0_13select_configILj256ELj13ELNS0_17block_load_methodE3ELS4_3ELS4_3ELNS0_20block_scan_algorithmE0ELj4294967295EEENS1_25partition_config_selectorILNS1_17partition_subalgoE4EjNS0_10empty_typeEbEEZZNS1_14partition_implILS8_4ELb0ES6_15HIP_vector_typeIjLj2EENS0_17counting_iteratorIjlEEPS9_SG_NS0_5tupleIJPjSI_NS0_16reverse_iteratorISI_EEEEENSH_IJSG_SG_SG_EEES9_SI_JZNS1_25segmented_radix_sort_implINS0_14default_configELb1EPK6__halfPSP_PKlPlN2at6native12_GLOBAL__N_18offset_tEEE10hipError_tPvRmT1_PNSt15iterator_traitsIS13_E10value_typeET2_T3_PNS14_IS19_E10value_typeET4_jRbjT5_S1F_jjP12ihipStream_tbEUljE_ZNSN_ISO_Lb1ESR_SS_SU_SV_SZ_EES10_S11_S12_S13_S17_S18_S19_S1C_S1D_jS1E_jS1F_S1F_jjS1H_bEUljE0_EEES10_S11_S12_S19_S1D_S1F_T6_T7_T9_mT8_S1H_bDpT10_ENKUlT_T0_E_clISt17integral_constantIbLb1EES1V_EEDaS1Q_S1R_EUlS1Q_E_NS1_11comp_targetILNS1_3genE8ELNS1_11target_archE1030ELNS1_3gpuE2ELNS1_3repE0EEENS1_30default_config_static_selectorELNS0_4arch9wavefront6targetE0EEEvS13_
                                        ; -- End function
	.set _ZN7rocprim17ROCPRIM_400000_NS6detail17trampoline_kernelINS0_13select_configILj256ELj13ELNS0_17block_load_methodE3ELS4_3ELS4_3ELNS0_20block_scan_algorithmE0ELj4294967295EEENS1_25partition_config_selectorILNS1_17partition_subalgoE4EjNS0_10empty_typeEbEEZZNS1_14partition_implILS8_4ELb0ES6_15HIP_vector_typeIjLj2EENS0_17counting_iteratorIjlEEPS9_SG_NS0_5tupleIJPjSI_NS0_16reverse_iteratorISI_EEEEENSH_IJSG_SG_SG_EEES9_SI_JZNS1_25segmented_radix_sort_implINS0_14default_configELb1EPK6__halfPSP_PKlPlN2at6native12_GLOBAL__N_18offset_tEEE10hipError_tPvRmT1_PNSt15iterator_traitsIS13_E10value_typeET2_T3_PNS14_IS19_E10value_typeET4_jRbjT5_S1F_jjP12ihipStream_tbEUljE_ZNSN_ISO_Lb1ESR_SS_SU_SV_SZ_EES10_S11_S12_S13_S17_S18_S19_S1C_S1D_jS1E_jS1F_S1F_jjS1H_bEUljE0_EEES10_S11_S12_S19_S1D_S1F_T6_T7_T9_mT8_S1H_bDpT10_ENKUlT_T0_E_clISt17integral_constantIbLb1EES1V_EEDaS1Q_S1R_EUlS1Q_E_NS1_11comp_targetILNS1_3genE8ELNS1_11target_archE1030ELNS1_3gpuE2ELNS1_3repE0EEENS1_30default_config_static_selectorELNS0_4arch9wavefront6targetE0EEEvS13_.num_vgpr, 0
	.set _ZN7rocprim17ROCPRIM_400000_NS6detail17trampoline_kernelINS0_13select_configILj256ELj13ELNS0_17block_load_methodE3ELS4_3ELS4_3ELNS0_20block_scan_algorithmE0ELj4294967295EEENS1_25partition_config_selectorILNS1_17partition_subalgoE4EjNS0_10empty_typeEbEEZZNS1_14partition_implILS8_4ELb0ES6_15HIP_vector_typeIjLj2EENS0_17counting_iteratorIjlEEPS9_SG_NS0_5tupleIJPjSI_NS0_16reverse_iteratorISI_EEEEENSH_IJSG_SG_SG_EEES9_SI_JZNS1_25segmented_radix_sort_implINS0_14default_configELb1EPK6__halfPSP_PKlPlN2at6native12_GLOBAL__N_18offset_tEEE10hipError_tPvRmT1_PNSt15iterator_traitsIS13_E10value_typeET2_T3_PNS14_IS19_E10value_typeET4_jRbjT5_S1F_jjP12ihipStream_tbEUljE_ZNSN_ISO_Lb1ESR_SS_SU_SV_SZ_EES10_S11_S12_S13_S17_S18_S19_S1C_S1D_jS1E_jS1F_S1F_jjS1H_bEUljE0_EEES10_S11_S12_S19_S1D_S1F_T6_T7_T9_mT8_S1H_bDpT10_ENKUlT_T0_E_clISt17integral_constantIbLb1EES1V_EEDaS1Q_S1R_EUlS1Q_E_NS1_11comp_targetILNS1_3genE8ELNS1_11target_archE1030ELNS1_3gpuE2ELNS1_3repE0EEENS1_30default_config_static_selectorELNS0_4arch9wavefront6targetE0EEEvS13_.num_agpr, 0
	.set _ZN7rocprim17ROCPRIM_400000_NS6detail17trampoline_kernelINS0_13select_configILj256ELj13ELNS0_17block_load_methodE3ELS4_3ELS4_3ELNS0_20block_scan_algorithmE0ELj4294967295EEENS1_25partition_config_selectorILNS1_17partition_subalgoE4EjNS0_10empty_typeEbEEZZNS1_14partition_implILS8_4ELb0ES6_15HIP_vector_typeIjLj2EENS0_17counting_iteratorIjlEEPS9_SG_NS0_5tupleIJPjSI_NS0_16reverse_iteratorISI_EEEEENSH_IJSG_SG_SG_EEES9_SI_JZNS1_25segmented_radix_sort_implINS0_14default_configELb1EPK6__halfPSP_PKlPlN2at6native12_GLOBAL__N_18offset_tEEE10hipError_tPvRmT1_PNSt15iterator_traitsIS13_E10value_typeET2_T3_PNS14_IS19_E10value_typeET4_jRbjT5_S1F_jjP12ihipStream_tbEUljE_ZNSN_ISO_Lb1ESR_SS_SU_SV_SZ_EES10_S11_S12_S13_S17_S18_S19_S1C_S1D_jS1E_jS1F_S1F_jjS1H_bEUljE0_EEES10_S11_S12_S19_S1D_S1F_T6_T7_T9_mT8_S1H_bDpT10_ENKUlT_T0_E_clISt17integral_constantIbLb1EES1V_EEDaS1Q_S1R_EUlS1Q_E_NS1_11comp_targetILNS1_3genE8ELNS1_11target_archE1030ELNS1_3gpuE2ELNS1_3repE0EEENS1_30default_config_static_selectorELNS0_4arch9wavefront6targetE0EEEvS13_.numbered_sgpr, 0
	.set _ZN7rocprim17ROCPRIM_400000_NS6detail17trampoline_kernelINS0_13select_configILj256ELj13ELNS0_17block_load_methodE3ELS4_3ELS4_3ELNS0_20block_scan_algorithmE0ELj4294967295EEENS1_25partition_config_selectorILNS1_17partition_subalgoE4EjNS0_10empty_typeEbEEZZNS1_14partition_implILS8_4ELb0ES6_15HIP_vector_typeIjLj2EENS0_17counting_iteratorIjlEEPS9_SG_NS0_5tupleIJPjSI_NS0_16reverse_iteratorISI_EEEEENSH_IJSG_SG_SG_EEES9_SI_JZNS1_25segmented_radix_sort_implINS0_14default_configELb1EPK6__halfPSP_PKlPlN2at6native12_GLOBAL__N_18offset_tEEE10hipError_tPvRmT1_PNSt15iterator_traitsIS13_E10value_typeET2_T3_PNS14_IS19_E10value_typeET4_jRbjT5_S1F_jjP12ihipStream_tbEUljE_ZNSN_ISO_Lb1ESR_SS_SU_SV_SZ_EES10_S11_S12_S13_S17_S18_S19_S1C_S1D_jS1E_jS1F_S1F_jjS1H_bEUljE0_EEES10_S11_S12_S19_S1D_S1F_T6_T7_T9_mT8_S1H_bDpT10_ENKUlT_T0_E_clISt17integral_constantIbLb1EES1V_EEDaS1Q_S1R_EUlS1Q_E_NS1_11comp_targetILNS1_3genE8ELNS1_11target_archE1030ELNS1_3gpuE2ELNS1_3repE0EEENS1_30default_config_static_selectorELNS0_4arch9wavefront6targetE0EEEvS13_.num_named_barrier, 0
	.set _ZN7rocprim17ROCPRIM_400000_NS6detail17trampoline_kernelINS0_13select_configILj256ELj13ELNS0_17block_load_methodE3ELS4_3ELS4_3ELNS0_20block_scan_algorithmE0ELj4294967295EEENS1_25partition_config_selectorILNS1_17partition_subalgoE4EjNS0_10empty_typeEbEEZZNS1_14partition_implILS8_4ELb0ES6_15HIP_vector_typeIjLj2EENS0_17counting_iteratorIjlEEPS9_SG_NS0_5tupleIJPjSI_NS0_16reverse_iteratorISI_EEEEENSH_IJSG_SG_SG_EEES9_SI_JZNS1_25segmented_radix_sort_implINS0_14default_configELb1EPK6__halfPSP_PKlPlN2at6native12_GLOBAL__N_18offset_tEEE10hipError_tPvRmT1_PNSt15iterator_traitsIS13_E10value_typeET2_T3_PNS14_IS19_E10value_typeET4_jRbjT5_S1F_jjP12ihipStream_tbEUljE_ZNSN_ISO_Lb1ESR_SS_SU_SV_SZ_EES10_S11_S12_S13_S17_S18_S19_S1C_S1D_jS1E_jS1F_S1F_jjS1H_bEUljE0_EEES10_S11_S12_S19_S1D_S1F_T6_T7_T9_mT8_S1H_bDpT10_ENKUlT_T0_E_clISt17integral_constantIbLb1EES1V_EEDaS1Q_S1R_EUlS1Q_E_NS1_11comp_targetILNS1_3genE8ELNS1_11target_archE1030ELNS1_3gpuE2ELNS1_3repE0EEENS1_30default_config_static_selectorELNS0_4arch9wavefront6targetE0EEEvS13_.private_seg_size, 0
	.set _ZN7rocprim17ROCPRIM_400000_NS6detail17trampoline_kernelINS0_13select_configILj256ELj13ELNS0_17block_load_methodE3ELS4_3ELS4_3ELNS0_20block_scan_algorithmE0ELj4294967295EEENS1_25partition_config_selectorILNS1_17partition_subalgoE4EjNS0_10empty_typeEbEEZZNS1_14partition_implILS8_4ELb0ES6_15HIP_vector_typeIjLj2EENS0_17counting_iteratorIjlEEPS9_SG_NS0_5tupleIJPjSI_NS0_16reverse_iteratorISI_EEEEENSH_IJSG_SG_SG_EEES9_SI_JZNS1_25segmented_radix_sort_implINS0_14default_configELb1EPK6__halfPSP_PKlPlN2at6native12_GLOBAL__N_18offset_tEEE10hipError_tPvRmT1_PNSt15iterator_traitsIS13_E10value_typeET2_T3_PNS14_IS19_E10value_typeET4_jRbjT5_S1F_jjP12ihipStream_tbEUljE_ZNSN_ISO_Lb1ESR_SS_SU_SV_SZ_EES10_S11_S12_S13_S17_S18_S19_S1C_S1D_jS1E_jS1F_S1F_jjS1H_bEUljE0_EEES10_S11_S12_S19_S1D_S1F_T6_T7_T9_mT8_S1H_bDpT10_ENKUlT_T0_E_clISt17integral_constantIbLb1EES1V_EEDaS1Q_S1R_EUlS1Q_E_NS1_11comp_targetILNS1_3genE8ELNS1_11target_archE1030ELNS1_3gpuE2ELNS1_3repE0EEENS1_30default_config_static_selectorELNS0_4arch9wavefront6targetE0EEEvS13_.uses_vcc, 0
	.set _ZN7rocprim17ROCPRIM_400000_NS6detail17trampoline_kernelINS0_13select_configILj256ELj13ELNS0_17block_load_methodE3ELS4_3ELS4_3ELNS0_20block_scan_algorithmE0ELj4294967295EEENS1_25partition_config_selectorILNS1_17partition_subalgoE4EjNS0_10empty_typeEbEEZZNS1_14partition_implILS8_4ELb0ES6_15HIP_vector_typeIjLj2EENS0_17counting_iteratorIjlEEPS9_SG_NS0_5tupleIJPjSI_NS0_16reverse_iteratorISI_EEEEENSH_IJSG_SG_SG_EEES9_SI_JZNS1_25segmented_radix_sort_implINS0_14default_configELb1EPK6__halfPSP_PKlPlN2at6native12_GLOBAL__N_18offset_tEEE10hipError_tPvRmT1_PNSt15iterator_traitsIS13_E10value_typeET2_T3_PNS14_IS19_E10value_typeET4_jRbjT5_S1F_jjP12ihipStream_tbEUljE_ZNSN_ISO_Lb1ESR_SS_SU_SV_SZ_EES10_S11_S12_S13_S17_S18_S19_S1C_S1D_jS1E_jS1F_S1F_jjS1H_bEUljE0_EEES10_S11_S12_S19_S1D_S1F_T6_T7_T9_mT8_S1H_bDpT10_ENKUlT_T0_E_clISt17integral_constantIbLb1EES1V_EEDaS1Q_S1R_EUlS1Q_E_NS1_11comp_targetILNS1_3genE8ELNS1_11target_archE1030ELNS1_3gpuE2ELNS1_3repE0EEENS1_30default_config_static_selectorELNS0_4arch9wavefront6targetE0EEEvS13_.uses_flat_scratch, 0
	.set _ZN7rocprim17ROCPRIM_400000_NS6detail17trampoline_kernelINS0_13select_configILj256ELj13ELNS0_17block_load_methodE3ELS4_3ELS4_3ELNS0_20block_scan_algorithmE0ELj4294967295EEENS1_25partition_config_selectorILNS1_17partition_subalgoE4EjNS0_10empty_typeEbEEZZNS1_14partition_implILS8_4ELb0ES6_15HIP_vector_typeIjLj2EENS0_17counting_iteratorIjlEEPS9_SG_NS0_5tupleIJPjSI_NS0_16reverse_iteratorISI_EEEEENSH_IJSG_SG_SG_EEES9_SI_JZNS1_25segmented_radix_sort_implINS0_14default_configELb1EPK6__halfPSP_PKlPlN2at6native12_GLOBAL__N_18offset_tEEE10hipError_tPvRmT1_PNSt15iterator_traitsIS13_E10value_typeET2_T3_PNS14_IS19_E10value_typeET4_jRbjT5_S1F_jjP12ihipStream_tbEUljE_ZNSN_ISO_Lb1ESR_SS_SU_SV_SZ_EES10_S11_S12_S13_S17_S18_S19_S1C_S1D_jS1E_jS1F_S1F_jjS1H_bEUljE0_EEES10_S11_S12_S19_S1D_S1F_T6_T7_T9_mT8_S1H_bDpT10_ENKUlT_T0_E_clISt17integral_constantIbLb1EES1V_EEDaS1Q_S1R_EUlS1Q_E_NS1_11comp_targetILNS1_3genE8ELNS1_11target_archE1030ELNS1_3gpuE2ELNS1_3repE0EEENS1_30default_config_static_selectorELNS0_4arch9wavefront6targetE0EEEvS13_.has_dyn_sized_stack, 0
	.set _ZN7rocprim17ROCPRIM_400000_NS6detail17trampoline_kernelINS0_13select_configILj256ELj13ELNS0_17block_load_methodE3ELS4_3ELS4_3ELNS0_20block_scan_algorithmE0ELj4294967295EEENS1_25partition_config_selectorILNS1_17partition_subalgoE4EjNS0_10empty_typeEbEEZZNS1_14partition_implILS8_4ELb0ES6_15HIP_vector_typeIjLj2EENS0_17counting_iteratorIjlEEPS9_SG_NS0_5tupleIJPjSI_NS0_16reverse_iteratorISI_EEEEENSH_IJSG_SG_SG_EEES9_SI_JZNS1_25segmented_radix_sort_implINS0_14default_configELb1EPK6__halfPSP_PKlPlN2at6native12_GLOBAL__N_18offset_tEEE10hipError_tPvRmT1_PNSt15iterator_traitsIS13_E10value_typeET2_T3_PNS14_IS19_E10value_typeET4_jRbjT5_S1F_jjP12ihipStream_tbEUljE_ZNSN_ISO_Lb1ESR_SS_SU_SV_SZ_EES10_S11_S12_S13_S17_S18_S19_S1C_S1D_jS1E_jS1F_S1F_jjS1H_bEUljE0_EEES10_S11_S12_S19_S1D_S1F_T6_T7_T9_mT8_S1H_bDpT10_ENKUlT_T0_E_clISt17integral_constantIbLb1EES1V_EEDaS1Q_S1R_EUlS1Q_E_NS1_11comp_targetILNS1_3genE8ELNS1_11target_archE1030ELNS1_3gpuE2ELNS1_3repE0EEENS1_30default_config_static_selectorELNS0_4arch9wavefront6targetE0EEEvS13_.has_recursion, 0
	.set _ZN7rocprim17ROCPRIM_400000_NS6detail17trampoline_kernelINS0_13select_configILj256ELj13ELNS0_17block_load_methodE3ELS4_3ELS4_3ELNS0_20block_scan_algorithmE0ELj4294967295EEENS1_25partition_config_selectorILNS1_17partition_subalgoE4EjNS0_10empty_typeEbEEZZNS1_14partition_implILS8_4ELb0ES6_15HIP_vector_typeIjLj2EENS0_17counting_iteratorIjlEEPS9_SG_NS0_5tupleIJPjSI_NS0_16reverse_iteratorISI_EEEEENSH_IJSG_SG_SG_EEES9_SI_JZNS1_25segmented_radix_sort_implINS0_14default_configELb1EPK6__halfPSP_PKlPlN2at6native12_GLOBAL__N_18offset_tEEE10hipError_tPvRmT1_PNSt15iterator_traitsIS13_E10value_typeET2_T3_PNS14_IS19_E10value_typeET4_jRbjT5_S1F_jjP12ihipStream_tbEUljE_ZNSN_ISO_Lb1ESR_SS_SU_SV_SZ_EES10_S11_S12_S13_S17_S18_S19_S1C_S1D_jS1E_jS1F_S1F_jjS1H_bEUljE0_EEES10_S11_S12_S19_S1D_S1F_T6_T7_T9_mT8_S1H_bDpT10_ENKUlT_T0_E_clISt17integral_constantIbLb1EES1V_EEDaS1Q_S1R_EUlS1Q_E_NS1_11comp_targetILNS1_3genE8ELNS1_11target_archE1030ELNS1_3gpuE2ELNS1_3repE0EEENS1_30default_config_static_selectorELNS0_4arch9wavefront6targetE0EEEvS13_.has_indirect_call, 0
	.section	.AMDGPU.csdata,"",@progbits
; Kernel info:
; codeLenInByte = 4
; TotalNumSgprs: 0
; NumVgprs: 0
; ScratchSize: 0
; MemoryBound: 0
; FloatMode: 240
; IeeeMode: 1
; LDSByteSize: 0 bytes/workgroup (compile time only)
; SGPRBlocks: 0
; VGPRBlocks: 0
; NumSGPRsForWavesPerEU: 1
; NumVGPRsForWavesPerEU: 1
; Occupancy: 16
; WaveLimiterHint : 0
; COMPUTE_PGM_RSRC2:SCRATCH_EN: 0
; COMPUTE_PGM_RSRC2:USER_SGPR: 6
; COMPUTE_PGM_RSRC2:TRAP_HANDLER: 0
; COMPUTE_PGM_RSRC2:TGID_X_EN: 1
; COMPUTE_PGM_RSRC2:TGID_Y_EN: 0
; COMPUTE_PGM_RSRC2:TGID_Z_EN: 0
; COMPUTE_PGM_RSRC2:TIDIG_COMP_CNT: 0
	.section	.text._ZN7rocprim17ROCPRIM_400000_NS6detail17trampoline_kernelINS0_13select_configILj256ELj13ELNS0_17block_load_methodE3ELS4_3ELS4_3ELNS0_20block_scan_algorithmE0ELj4294967295EEENS1_25partition_config_selectorILNS1_17partition_subalgoE4EjNS0_10empty_typeEbEEZZNS1_14partition_implILS8_4ELb0ES6_15HIP_vector_typeIjLj2EENS0_17counting_iteratorIjlEEPS9_SG_NS0_5tupleIJPjSI_NS0_16reverse_iteratorISI_EEEEENSH_IJSG_SG_SG_EEES9_SI_JZNS1_25segmented_radix_sort_implINS0_14default_configELb1EPK6__halfPSP_PKlPlN2at6native12_GLOBAL__N_18offset_tEEE10hipError_tPvRmT1_PNSt15iterator_traitsIS13_E10value_typeET2_T3_PNS14_IS19_E10value_typeET4_jRbjT5_S1F_jjP12ihipStream_tbEUljE_ZNSN_ISO_Lb1ESR_SS_SU_SV_SZ_EES10_S11_S12_S13_S17_S18_S19_S1C_S1D_jS1E_jS1F_S1F_jjS1H_bEUljE0_EEES10_S11_S12_S19_S1D_S1F_T6_T7_T9_mT8_S1H_bDpT10_ENKUlT_T0_E_clISt17integral_constantIbLb1EES1U_IbLb0EEEEDaS1Q_S1R_EUlS1Q_E_NS1_11comp_targetILNS1_3genE0ELNS1_11target_archE4294967295ELNS1_3gpuE0ELNS1_3repE0EEENS1_30default_config_static_selectorELNS0_4arch9wavefront6targetE0EEEvS13_,"axG",@progbits,_ZN7rocprim17ROCPRIM_400000_NS6detail17trampoline_kernelINS0_13select_configILj256ELj13ELNS0_17block_load_methodE3ELS4_3ELS4_3ELNS0_20block_scan_algorithmE0ELj4294967295EEENS1_25partition_config_selectorILNS1_17partition_subalgoE4EjNS0_10empty_typeEbEEZZNS1_14partition_implILS8_4ELb0ES6_15HIP_vector_typeIjLj2EENS0_17counting_iteratorIjlEEPS9_SG_NS0_5tupleIJPjSI_NS0_16reverse_iteratorISI_EEEEENSH_IJSG_SG_SG_EEES9_SI_JZNS1_25segmented_radix_sort_implINS0_14default_configELb1EPK6__halfPSP_PKlPlN2at6native12_GLOBAL__N_18offset_tEEE10hipError_tPvRmT1_PNSt15iterator_traitsIS13_E10value_typeET2_T3_PNS14_IS19_E10value_typeET4_jRbjT5_S1F_jjP12ihipStream_tbEUljE_ZNSN_ISO_Lb1ESR_SS_SU_SV_SZ_EES10_S11_S12_S13_S17_S18_S19_S1C_S1D_jS1E_jS1F_S1F_jjS1H_bEUljE0_EEES10_S11_S12_S19_S1D_S1F_T6_T7_T9_mT8_S1H_bDpT10_ENKUlT_T0_E_clISt17integral_constantIbLb1EES1U_IbLb0EEEEDaS1Q_S1R_EUlS1Q_E_NS1_11comp_targetILNS1_3genE0ELNS1_11target_archE4294967295ELNS1_3gpuE0ELNS1_3repE0EEENS1_30default_config_static_selectorELNS0_4arch9wavefront6targetE0EEEvS13_,comdat
	.globl	_ZN7rocprim17ROCPRIM_400000_NS6detail17trampoline_kernelINS0_13select_configILj256ELj13ELNS0_17block_load_methodE3ELS4_3ELS4_3ELNS0_20block_scan_algorithmE0ELj4294967295EEENS1_25partition_config_selectorILNS1_17partition_subalgoE4EjNS0_10empty_typeEbEEZZNS1_14partition_implILS8_4ELb0ES6_15HIP_vector_typeIjLj2EENS0_17counting_iteratorIjlEEPS9_SG_NS0_5tupleIJPjSI_NS0_16reverse_iteratorISI_EEEEENSH_IJSG_SG_SG_EEES9_SI_JZNS1_25segmented_radix_sort_implINS0_14default_configELb1EPK6__halfPSP_PKlPlN2at6native12_GLOBAL__N_18offset_tEEE10hipError_tPvRmT1_PNSt15iterator_traitsIS13_E10value_typeET2_T3_PNS14_IS19_E10value_typeET4_jRbjT5_S1F_jjP12ihipStream_tbEUljE_ZNSN_ISO_Lb1ESR_SS_SU_SV_SZ_EES10_S11_S12_S13_S17_S18_S19_S1C_S1D_jS1E_jS1F_S1F_jjS1H_bEUljE0_EEES10_S11_S12_S19_S1D_S1F_T6_T7_T9_mT8_S1H_bDpT10_ENKUlT_T0_E_clISt17integral_constantIbLb1EES1U_IbLb0EEEEDaS1Q_S1R_EUlS1Q_E_NS1_11comp_targetILNS1_3genE0ELNS1_11target_archE4294967295ELNS1_3gpuE0ELNS1_3repE0EEENS1_30default_config_static_selectorELNS0_4arch9wavefront6targetE0EEEvS13_ ; -- Begin function _ZN7rocprim17ROCPRIM_400000_NS6detail17trampoline_kernelINS0_13select_configILj256ELj13ELNS0_17block_load_methodE3ELS4_3ELS4_3ELNS0_20block_scan_algorithmE0ELj4294967295EEENS1_25partition_config_selectorILNS1_17partition_subalgoE4EjNS0_10empty_typeEbEEZZNS1_14partition_implILS8_4ELb0ES6_15HIP_vector_typeIjLj2EENS0_17counting_iteratorIjlEEPS9_SG_NS0_5tupleIJPjSI_NS0_16reverse_iteratorISI_EEEEENSH_IJSG_SG_SG_EEES9_SI_JZNS1_25segmented_radix_sort_implINS0_14default_configELb1EPK6__halfPSP_PKlPlN2at6native12_GLOBAL__N_18offset_tEEE10hipError_tPvRmT1_PNSt15iterator_traitsIS13_E10value_typeET2_T3_PNS14_IS19_E10value_typeET4_jRbjT5_S1F_jjP12ihipStream_tbEUljE_ZNSN_ISO_Lb1ESR_SS_SU_SV_SZ_EES10_S11_S12_S13_S17_S18_S19_S1C_S1D_jS1E_jS1F_S1F_jjS1H_bEUljE0_EEES10_S11_S12_S19_S1D_S1F_T6_T7_T9_mT8_S1H_bDpT10_ENKUlT_T0_E_clISt17integral_constantIbLb1EES1U_IbLb0EEEEDaS1Q_S1R_EUlS1Q_E_NS1_11comp_targetILNS1_3genE0ELNS1_11target_archE4294967295ELNS1_3gpuE0ELNS1_3repE0EEENS1_30default_config_static_selectorELNS0_4arch9wavefront6targetE0EEEvS13_
	.p2align	8
	.type	_ZN7rocprim17ROCPRIM_400000_NS6detail17trampoline_kernelINS0_13select_configILj256ELj13ELNS0_17block_load_methodE3ELS4_3ELS4_3ELNS0_20block_scan_algorithmE0ELj4294967295EEENS1_25partition_config_selectorILNS1_17partition_subalgoE4EjNS0_10empty_typeEbEEZZNS1_14partition_implILS8_4ELb0ES6_15HIP_vector_typeIjLj2EENS0_17counting_iteratorIjlEEPS9_SG_NS0_5tupleIJPjSI_NS0_16reverse_iteratorISI_EEEEENSH_IJSG_SG_SG_EEES9_SI_JZNS1_25segmented_radix_sort_implINS0_14default_configELb1EPK6__halfPSP_PKlPlN2at6native12_GLOBAL__N_18offset_tEEE10hipError_tPvRmT1_PNSt15iterator_traitsIS13_E10value_typeET2_T3_PNS14_IS19_E10value_typeET4_jRbjT5_S1F_jjP12ihipStream_tbEUljE_ZNSN_ISO_Lb1ESR_SS_SU_SV_SZ_EES10_S11_S12_S13_S17_S18_S19_S1C_S1D_jS1E_jS1F_S1F_jjS1H_bEUljE0_EEES10_S11_S12_S19_S1D_S1F_T6_T7_T9_mT8_S1H_bDpT10_ENKUlT_T0_E_clISt17integral_constantIbLb1EES1U_IbLb0EEEEDaS1Q_S1R_EUlS1Q_E_NS1_11comp_targetILNS1_3genE0ELNS1_11target_archE4294967295ELNS1_3gpuE0ELNS1_3repE0EEENS1_30default_config_static_selectorELNS0_4arch9wavefront6targetE0EEEvS13_,@function
_ZN7rocprim17ROCPRIM_400000_NS6detail17trampoline_kernelINS0_13select_configILj256ELj13ELNS0_17block_load_methodE3ELS4_3ELS4_3ELNS0_20block_scan_algorithmE0ELj4294967295EEENS1_25partition_config_selectorILNS1_17partition_subalgoE4EjNS0_10empty_typeEbEEZZNS1_14partition_implILS8_4ELb0ES6_15HIP_vector_typeIjLj2EENS0_17counting_iteratorIjlEEPS9_SG_NS0_5tupleIJPjSI_NS0_16reverse_iteratorISI_EEEEENSH_IJSG_SG_SG_EEES9_SI_JZNS1_25segmented_radix_sort_implINS0_14default_configELb1EPK6__halfPSP_PKlPlN2at6native12_GLOBAL__N_18offset_tEEE10hipError_tPvRmT1_PNSt15iterator_traitsIS13_E10value_typeET2_T3_PNS14_IS19_E10value_typeET4_jRbjT5_S1F_jjP12ihipStream_tbEUljE_ZNSN_ISO_Lb1ESR_SS_SU_SV_SZ_EES10_S11_S12_S13_S17_S18_S19_S1C_S1D_jS1E_jS1F_S1F_jjS1H_bEUljE0_EEES10_S11_S12_S19_S1D_S1F_T6_T7_T9_mT8_S1H_bDpT10_ENKUlT_T0_E_clISt17integral_constantIbLb1EES1U_IbLb0EEEEDaS1Q_S1R_EUlS1Q_E_NS1_11comp_targetILNS1_3genE0ELNS1_11target_archE4294967295ELNS1_3gpuE0ELNS1_3repE0EEENS1_30default_config_static_selectorELNS0_4arch9wavefront6targetE0EEEvS13_: ; @_ZN7rocprim17ROCPRIM_400000_NS6detail17trampoline_kernelINS0_13select_configILj256ELj13ELNS0_17block_load_methodE3ELS4_3ELS4_3ELNS0_20block_scan_algorithmE0ELj4294967295EEENS1_25partition_config_selectorILNS1_17partition_subalgoE4EjNS0_10empty_typeEbEEZZNS1_14partition_implILS8_4ELb0ES6_15HIP_vector_typeIjLj2EENS0_17counting_iteratorIjlEEPS9_SG_NS0_5tupleIJPjSI_NS0_16reverse_iteratorISI_EEEEENSH_IJSG_SG_SG_EEES9_SI_JZNS1_25segmented_radix_sort_implINS0_14default_configELb1EPK6__halfPSP_PKlPlN2at6native12_GLOBAL__N_18offset_tEEE10hipError_tPvRmT1_PNSt15iterator_traitsIS13_E10value_typeET2_T3_PNS14_IS19_E10value_typeET4_jRbjT5_S1F_jjP12ihipStream_tbEUljE_ZNSN_ISO_Lb1ESR_SS_SU_SV_SZ_EES10_S11_S12_S13_S17_S18_S19_S1C_S1D_jS1E_jS1F_S1F_jjS1H_bEUljE0_EEES10_S11_S12_S19_S1D_S1F_T6_T7_T9_mT8_S1H_bDpT10_ENKUlT_T0_E_clISt17integral_constantIbLb1EES1U_IbLb0EEEEDaS1Q_S1R_EUlS1Q_E_NS1_11comp_targetILNS1_3genE0ELNS1_11target_archE4294967295ELNS1_3gpuE0ELNS1_3repE0EEENS1_30default_config_static_selectorELNS0_4arch9wavefront6targetE0EEEvS13_
; %bb.0:
	.section	.rodata,"a",@progbits
	.p2align	6, 0x0
	.amdhsa_kernel _ZN7rocprim17ROCPRIM_400000_NS6detail17trampoline_kernelINS0_13select_configILj256ELj13ELNS0_17block_load_methodE3ELS4_3ELS4_3ELNS0_20block_scan_algorithmE0ELj4294967295EEENS1_25partition_config_selectorILNS1_17partition_subalgoE4EjNS0_10empty_typeEbEEZZNS1_14partition_implILS8_4ELb0ES6_15HIP_vector_typeIjLj2EENS0_17counting_iteratorIjlEEPS9_SG_NS0_5tupleIJPjSI_NS0_16reverse_iteratorISI_EEEEENSH_IJSG_SG_SG_EEES9_SI_JZNS1_25segmented_radix_sort_implINS0_14default_configELb1EPK6__halfPSP_PKlPlN2at6native12_GLOBAL__N_18offset_tEEE10hipError_tPvRmT1_PNSt15iterator_traitsIS13_E10value_typeET2_T3_PNS14_IS19_E10value_typeET4_jRbjT5_S1F_jjP12ihipStream_tbEUljE_ZNSN_ISO_Lb1ESR_SS_SU_SV_SZ_EES10_S11_S12_S13_S17_S18_S19_S1C_S1D_jS1E_jS1F_S1F_jjS1H_bEUljE0_EEES10_S11_S12_S19_S1D_S1F_T6_T7_T9_mT8_S1H_bDpT10_ENKUlT_T0_E_clISt17integral_constantIbLb1EES1U_IbLb0EEEEDaS1Q_S1R_EUlS1Q_E_NS1_11comp_targetILNS1_3genE0ELNS1_11target_archE4294967295ELNS1_3gpuE0ELNS1_3repE0EEENS1_30default_config_static_selectorELNS0_4arch9wavefront6targetE0EEEvS13_
		.amdhsa_group_segment_fixed_size 0
		.amdhsa_private_segment_fixed_size 0
		.amdhsa_kernarg_size 176
		.amdhsa_user_sgpr_count 6
		.amdhsa_user_sgpr_private_segment_buffer 1
		.amdhsa_user_sgpr_dispatch_ptr 0
		.amdhsa_user_sgpr_queue_ptr 0
		.amdhsa_user_sgpr_kernarg_segment_ptr 1
		.amdhsa_user_sgpr_dispatch_id 0
		.amdhsa_user_sgpr_flat_scratch_init 0
		.amdhsa_user_sgpr_private_segment_size 0
		.amdhsa_wavefront_size32 1
		.amdhsa_uses_dynamic_stack 0
		.amdhsa_system_sgpr_private_segment_wavefront_offset 0
		.amdhsa_system_sgpr_workgroup_id_x 1
		.amdhsa_system_sgpr_workgroup_id_y 0
		.amdhsa_system_sgpr_workgroup_id_z 0
		.amdhsa_system_sgpr_workgroup_info 0
		.amdhsa_system_vgpr_workitem_id 0
		.amdhsa_next_free_vgpr 1
		.amdhsa_next_free_sgpr 1
		.amdhsa_reserve_vcc 0
		.amdhsa_reserve_flat_scratch 0
		.amdhsa_float_round_mode_32 0
		.amdhsa_float_round_mode_16_64 0
		.amdhsa_float_denorm_mode_32 3
		.amdhsa_float_denorm_mode_16_64 3
		.amdhsa_dx10_clamp 1
		.amdhsa_ieee_mode 1
		.amdhsa_fp16_overflow 0
		.amdhsa_workgroup_processor_mode 1
		.amdhsa_memory_ordered 1
		.amdhsa_forward_progress 1
		.amdhsa_shared_vgpr_count 0
		.amdhsa_exception_fp_ieee_invalid_op 0
		.amdhsa_exception_fp_denorm_src 0
		.amdhsa_exception_fp_ieee_div_zero 0
		.amdhsa_exception_fp_ieee_overflow 0
		.amdhsa_exception_fp_ieee_underflow 0
		.amdhsa_exception_fp_ieee_inexact 0
		.amdhsa_exception_int_div_zero 0
	.end_amdhsa_kernel
	.section	.text._ZN7rocprim17ROCPRIM_400000_NS6detail17trampoline_kernelINS0_13select_configILj256ELj13ELNS0_17block_load_methodE3ELS4_3ELS4_3ELNS0_20block_scan_algorithmE0ELj4294967295EEENS1_25partition_config_selectorILNS1_17partition_subalgoE4EjNS0_10empty_typeEbEEZZNS1_14partition_implILS8_4ELb0ES6_15HIP_vector_typeIjLj2EENS0_17counting_iteratorIjlEEPS9_SG_NS0_5tupleIJPjSI_NS0_16reverse_iteratorISI_EEEEENSH_IJSG_SG_SG_EEES9_SI_JZNS1_25segmented_radix_sort_implINS0_14default_configELb1EPK6__halfPSP_PKlPlN2at6native12_GLOBAL__N_18offset_tEEE10hipError_tPvRmT1_PNSt15iterator_traitsIS13_E10value_typeET2_T3_PNS14_IS19_E10value_typeET4_jRbjT5_S1F_jjP12ihipStream_tbEUljE_ZNSN_ISO_Lb1ESR_SS_SU_SV_SZ_EES10_S11_S12_S13_S17_S18_S19_S1C_S1D_jS1E_jS1F_S1F_jjS1H_bEUljE0_EEES10_S11_S12_S19_S1D_S1F_T6_T7_T9_mT8_S1H_bDpT10_ENKUlT_T0_E_clISt17integral_constantIbLb1EES1U_IbLb0EEEEDaS1Q_S1R_EUlS1Q_E_NS1_11comp_targetILNS1_3genE0ELNS1_11target_archE4294967295ELNS1_3gpuE0ELNS1_3repE0EEENS1_30default_config_static_selectorELNS0_4arch9wavefront6targetE0EEEvS13_,"axG",@progbits,_ZN7rocprim17ROCPRIM_400000_NS6detail17trampoline_kernelINS0_13select_configILj256ELj13ELNS0_17block_load_methodE3ELS4_3ELS4_3ELNS0_20block_scan_algorithmE0ELj4294967295EEENS1_25partition_config_selectorILNS1_17partition_subalgoE4EjNS0_10empty_typeEbEEZZNS1_14partition_implILS8_4ELb0ES6_15HIP_vector_typeIjLj2EENS0_17counting_iteratorIjlEEPS9_SG_NS0_5tupleIJPjSI_NS0_16reverse_iteratorISI_EEEEENSH_IJSG_SG_SG_EEES9_SI_JZNS1_25segmented_radix_sort_implINS0_14default_configELb1EPK6__halfPSP_PKlPlN2at6native12_GLOBAL__N_18offset_tEEE10hipError_tPvRmT1_PNSt15iterator_traitsIS13_E10value_typeET2_T3_PNS14_IS19_E10value_typeET4_jRbjT5_S1F_jjP12ihipStream_tbEUljE_ZNSN_ISO_Lb1ESR_SS_SU_SV_SZ_EES10_S11_S12_S13_S17_S18_S19_S1C_S1D_jS1E_jS1F_S1F_jjS1H_bEUljE0_EEES10_S11_S12_S19_S1D_S1F_T6_T7_T9_mT8_S1H_bDpT10_ENKUlT_T0_E_clISt17integral_constantIbLb1EES1U_IbLb0EEEEDaS1Q_S1R_EUlS1Q_E_NS1_11comp_targetILNS1_3genE0ELNS1_11target_archE4294967295ELNS1_3gpuE0ELNS1_3repE0EEENS1_30default_config_static_selectorELNS0_4arch9wavefront6targetE0EEEvS13_,comdat
.Lfunc_end1681:
	.size	_ZN7rocprim17ROCPRIM_400000_NS6detail17trampoline_kernelINS0_13select_configILj256ELj13ELNS0_17block_load_methodE3ELS4_3ELS4_3ELNS0_20block_scan_algorithmE0ELj4294967295EEENS1_25partition_config_selectorILNS1_17partition_subalgoE4EjNS0_10empty_typeEbEEZZNS1_14partition_implILS8_4ELb0ES6_15HIP_vector_typeIjLj2EENS0_17counting_iteratorIjlEEPS9_SG_NS0_5tupleIJPjSI_NS0_16reverse_iteratorISI_EEEEENSH_IJSG_SG_SG_EEES9_SI_JZNS1_25segmented_radix_sort_implINS0_14default_configELb1EPK6__halfPSP_PKlPlN2at6native12_GLOBAL__N_18offset_tEEE10hipError_tPvRmT1_PNSt15iterator_traitsIS13_E10value_typeET2_T3_PNS14_IS19_E10value_typeET4_jRbjT5_S1F_jjP12ihipStream_tbEUljE_ZNSN_ISO_Lb1ESR_SS_SU_SV_SZ_EES10_S11_S12_S13_S17_S18_S19_S1C_S1D_jS1E_jS1F_S1F_jjS1H_bEUljE0_EEES10_S11_S12_S19_S1D_S1F_T6_T7_T9_mT8_S1H_bDpT10_ENKUlT_T0_E_clISt17integral_constantIbLb1EES1U_IbLb0EEEEDaS1Q_S1R_EUlS1Q_E_NS1_11comp_targetILNS1_3genE0ELNS1_11target_archE4294967295ELNS1_3gpuE0ELNS1_3repE0EEENS1_30default_config_static_selectorELNS0_4arch9wavefront6targetE0EEEvS13_, .Lfunc_end1681-_ZN7rocprim17ROCPRIM_400000_NS6detail17trampoline_kernelINS0_13select_configILj256ELj13ELNS0_17block_load_methodE3ELS4_3ELS4_3ELNS0_20block_scan_algorithmE0ELj4294967295EEENS1_25partition_config_selectorILNS1_17partition_subalgoE4EjNS0_10empty_typeEbEEZZNS1_14partition_implILS8_4ELb0ES6_15HIP_vector_typeIjLj2EENS0_17counting_iteratorIjlEEPS9_SG_NS0_5tupleIJPjSI_NS0_16reverse_iteratorISI_EEEEENSH_IJSG_SG_SG_EEES9_SI_JZNS1_25segmented_radix_sort_implINS0_14default_configELb1EPK6__halfPSP_PKlPlN2at6native12_GLOBAL__N_18offset_tEEE10hipError_tPvRmT1_PNSt15iterator_traitsIS13_E10value_typeET2_T3_PNS14_IS19_E10value_typeET4_jRbjT5_S1F_jjP12ihipStream_tbEUljE_ZNSN_ISO_Lb1ESR_SS_SU_SV_SZ_EES10_S11_S12_S13_S17_S18_S19_S1C_S1D_jS1E_jS1F_S1F_jjS1H_bEUljE0_EEES10_S11_S12_S19_S1D_S1F_T6_T7_T9_mT8_S1H_bDpT10_ENKUlT_T0_E_clISt17integral_constantIbLb1EES1U_IbLb0EEEEDaS1Q_S1R_EUlS1Q_E_NS1_11comp_targetILNS1_3genE0ELNS1_11target_archE4294967295ELNS1_3gpuE0ELNS1_3repE0EEENS1_30default_config_static_selectorELNS0_4arch9wavefront6targetE0EEEvS13_
                                        ; -- End function
	.set _ZN7rocprim17ROCPRIM_400000_NS6detail17trampoline_kernelINS0_13select_configILj256ELj13ELNS0_17block_load_methodE3ELS4_3ELS4_3ELNS0_20block_scan_algorithmE0ELj4294967295EEENS1_25partition_config_selectorILNS1_17partition_subalgoE4EjNS0_10empty_typeEbEEZZNS1_14partition_implILS8_4ELb0ES6_15HIP_vector_typeIjLj2EENS0_17counting_iteratorIjlEEPS9_SG_NS0_5tupleIJPjSI_NS0_16reverse_iteratorISI_EEEEENSH_IJSG_SG_SG_EEES9_SI_JZNS1_25segmented_radix_sort_implINS0_14default_configELb1EPK6__halfPSP_PKlPlN2at6native12_GLOBAL__N_18offset_tEEE10hipError_tPvRmT1_PNSt15iterator_traitsIS13_E10value_typeET2_T3_PNS14_IS19_E10value_typeET4_jRbjT5_S1F_jjP12ihipStream_tbEUljE_ZNSN_ISO_Lb1ESR_SS_SU_SV_SZ_EES10_S11_S12_S13_S17_S18_S19_S1C_S1D_jS1E_jS1F_S1F_jjS1H_bEUljE0_EEES10_S11_S12_S19_S1D_S1F_T6_T7_T9_mT8_S1H_bDpT10_ENKUlT_T0_E_clISt17integral_constantIbLb1EES1U_IbLb0EEEEDaS1Q_S1R_EUlS1Q_E_NS1_11comp_targetILNS1_3genE0ELNS1_11target_archE4294967295ELNS1_3gpuE0ELNS1_3repE0EEENS1_30default_config_static_selectorELNS0_4arch9wavefront6targetE0EEEvS13_.num_vgpr, 0
	.set _ZN7rocprim17ROCPRIM_400000_NS6detail17trampoline_kernelINS0_13select_configILj256ELj13ELNS0_17block_load_methodE3ELS4_3ELS4_3ELNS0_20block_scan_algorithmE0ELj4294967295EEENS1_25partition_config_selectorILNS1_17partition_subalgoE4EjNS0_10empty_typeEbEEZZNS1_14partition_implILS8_4ELb0ES6_15HIP_vector_typeIjLj2EENS0_17counting_iteratorIjlEEPS9_SG_NS0_5tupleIJPjSI_NS0_16reverse_iteratorISI_EEEEENSH_IJSG_SG_SG_EEES9_SI_JZNS1_25segmented_radix_sort_implINS0_14default_configELb1EPK6__halfPSP_PKlPlN2at6native12_GLOBAL__N_18offset_tEEE10hipError_tPvRmT1_PNSt15iterator_traitsIS13_E10value_typeET2_T3_PNS14_IS19_E10value_typeET4_jRbjT5_S1F_jjP12ihipStream_tbEUljE_ZNSN_ISO_Lb1ESR_SS_SU_SV_SZ_EES10_S11_S12_S13_S17_S18_S19_S1C_S1D_jS1E_jS1F_S1F_jjS1H_bEUljE0_EEES10_S11_S12_S19_S1D_S1F_T6_T7_T9_mT8_S1H_bDpT10_ENKUlT_T0_E_clISt17integral_constantIbLb1EES1U_IbLb0EEEEDaS1Q_S1R_EUlS1Q_E_NS1_11comp_targetILNS1_3genE0ELNS1_11target_archE4294967295ELNS1_3gpuE0ELNS1_3repE0EEENS1_30default_config_static_selectorELNS0_4arch9wavefront6targetE0EEEvS13_.num_agpr, 0
	.set _ZN7rocprim17ROCPRIM_400000_NS6detail17trampoline_kernelINS0_13select_configILj256ELj13ELNS0_17block_load_methodE3ELS4_3ELS4_3ELNS0_20block_scan_algorithmE0ELj4294967295EEENS1_25partition_config_selectorILNS1_17partition_subalgoE4EjNS0_10empty_typeEbEEZZNS1_14partition_implILS8_4ELb0ES6_15HIP_vector_typeIjLj2EENS0_17counting_iteratorIjlEEPS9_SG_NS0_5tupleIJPjSI_NS0_16reverse_iteratorISI_EEEEENSH_IJSG_SG_SG_EEES9_SI_JZNS1_25segmented_radix_sort_implINS0_14default_configELb1EPK6__halfPSP_PKlPlN2at6native12_GLOBAL__N_18offset_tEEE10hipError_tPvRmT1_PNSt15iterator_traitsIS13_E10value_typeET2_T3_PNS14_IS19_E10value_typeET4_jRbjT5_S1F_jjP12ihipStream_tbEUljE_ZNSN_ISO_Lb1ESR_SS_SU_SV_SZ_EES10_S11_S12_S13_S17_S18_S19_S1C_S1D_jS1E_jS1F_S1F_jjS1H_bEUljE0_EEES10_S11_S12_S19_S1D_S1F_T6_T7_T9_mT8_S1H_bDpT10_ENKUlT_T0_E_clISt17integral_constantIbLb1EES1U_IbLb0EEEEDaS1Q_S1R_EUlS1Q_E_NS1_11comp_targetILNS1_3genE0ELNS1_11target_archE4294967295ELNS1_3gpuE0ELNS1_3repE0EEENS1_30default_config_static_selectorELNS0_4arch9wavefront6targetE0EEEvS13_.numbered_sgpr, 0
	.set _ZN7rocprim17ROCPRIM_400000_NS6detail17trampoline_kernelINS0_13select_configILj256ELj13ELNS0_17block_load_methodE3ELS4_3ELS4_3ELNS0_20block_scan_algorithmE0ELj4294967295EEENS1_25partition_config_selectorILNS1_17partition_subalgoE4EjNS0_10empty_typeEbEEZZNS1_14partition_implILS8_4ELb0ES6_15HIP_vector_typeIjLj2EENS0_17counting_iteratorIjlEEPS9_SG_NS0_5tupleIJPjSI_NS0_16reverse_iteratorISI_EEEEENSH_IJSG_SG_SG_EEES9_SI_JZNS1_25segmented_radix_sort_implINS0_14default_configELb1EPK6__halfPSP_PKlPlN2at6native12_GLOBAL__N_18offset_tEEE10hipError_tPvRmT1_PNSt15iterator_traitsIS13_E10value_typeET2_T3_PNS14_IS19_E10value_typeET4_jRbjT5_S1F_jjP12ihipStream_tbEUljE_ZNSN_ISO_Lb1ESR_SS_SU_SV_SZ_EES10_S11_S12_S13_S17_S18_S19_S1C_S1D_jS1E_jS1F_S1F_jjS1H_bEUljE0_EEES10_S11_S12_S19_S1D_S1F_T6_T7_T9_mT8_S1H_bDpT10_ENKUlT_T0_E_clISt17integral_constantIbLb1EES1U_IbLb0EEEEDaS1Q_S1R_EUlS1Q_E_NS1_11comp_targetILNS1_3genE0ELNS1_11target_archE4294967295ELNS1_3gpuE0ELNS1_3repE0EEENS1_30default_config_static_selectorELNS0_4arch9wavefront6targetE0EEEvS13_.num_named_barrier, 0
	.set _ZN7rocprim17ROCPRIM_400000_NS6detail17trampoline_kernelINS0_13select_configILj256ELj13ELNS0_17block_load_methodE3ELS4_3ELS4_3ELNS0_20block_scan_algorithmE0ELj4294967295EEENS1_25partition_config_selectorILNS1_17partition_subalgoE4EjNS0_10empty_typeEbEEZZNS1_14partition_implILS8_4ELb0ES6_15HIP_vector_typeIjLj2EENS0_17counting_iteratorIjlEEPS9_SG_NS0_5tupleIJPjSI_NS0_16reverse_iteratorISI_EEEEENSH_IJSG_SG_SG_EEES9_SI_JZNS1_25segmented_radix_sort_implINS0_14default_configELb1EPK6__halfPSP_PKlPlN2at6native12_GLOBAL__N_18offset_tEEE10hipError_tPvRmT1_PNSt15iterator_traitsIS13_E10value_typeET2_T3_PNS14_IS19_E10value_typeET4_jRbjT5_S1F_jjP12ihipStream_tbEUljE_ZNSN_ISO_Lb1ESR_SS_SU_SV_SZ_EES10_S11_S12_S13_S17_S18_S19_S1C_S1D_jS1E_jS1F_S1F_jjS1H_bEUljE0_EEES10_S11_S12_S19_S1D_S1F_T6_T7_T9_mT8_S1H_bDpT10_ENKUlT_T0_E_clISt17integral_constantIbLb1EES1U_IbLb0EEEEDaS1Q_S1R_EUlS1Q_E_NS1_11comp_targetILNS1_3genE0ELNS1_11target_archE4294967295ELNS1_3gpuE0ELNS1_3repE0EEENS1_30default_config_static_selectorELNS0_4arch9wavefront6targetE0EEEvS13_.private_seg_size, 0
	.set _ZN7rocprim17ROCPRIM_400000_NS6detail17trampoline_kernelINS0_13select_configILj256ELj13ELNS0_17block_load_methodE3ELS4_3ELS4_3ELNS0_20block_scan_algorithmE0ELj4294967295EEENS1_25partition_config_selectorILNS1_17partition_subalgoE4EjNS0_10empty_typeEbEEZZNS1_14partition_implILS8_4ELb0ES6_15HIP_vector_typeIjLj2EENS0_17counting_iteratorIjlEEPS9_SG_NS0_5tupleIJPjSI_NS0_16reverse_iteratorISI_EEEEENSH_IJSG_SG_SG_EEES9_SI_JZNS1_25segmented_radix_sort_implINS0_14default_configELb1EPK6__halfPSP_PKlPlN2at6native12_GLOBAL__N_18offset_tEEE10hipError_tPvRmT1_PNSt15iterator_traitsIS13_E10value_typeET2_T3_PNS14_IS19_E10value_typeET4_jRbjT5_S1F_jjP12ihipStream_tbEUljE_ZNSN_ISO_Lb1ESR_SS_SU_SV_SZ_EES10_S11_S12_S13_S17_S18_S19_S1C_S1D_jS1E_jS1F_S1F_jjS1H_bEUljE0_EEES10_S11_S12_S19_S1D_S1F_T6_T7_T9_mT8_S1H_bDpT10_ENKUlT_T0_E_clISt17integral_constantIbLb1EES1U_IbLb0EEEEDaS1Q_S1R_EUlS1Q_E_NS1_11comp_targetILNS1_3genE0ELNS1_11target_archE4294967295ELNS1_3gpuE0ELNS1_3repE0EEENS1_30default_config_static_selectorELNS0_4arch9wavefront6targetE0EEEvS13_.uses_vcc, 0
	.set _ZN7rocprim17ROCPRIM_400000_NS6detail17trampoline_kernelINS0_13select_configILj256ELj13ELNS0_17block_load_methodE3ELS4_3ELS4_3ELNS0_20block_scan_algorithmE0ELj4294967295EEENS1_25partition_config_selectorILNS1_17partition_subalgoE4EjNS0_10empty_typeEbEEZZNS1_14partition_implILS8_4ELb0ES6_15HIP_vector_typeIjLj2EENS0_17counting_iteratorIjlEEPS9_SG_NS0_5tupleIJPjSI_NS0_16reverse_iteratorISI_EEEEENSH_IJSG_SG_SG_EEES9_SI_JZNS1_25segmented_radix_sort_implINS0_14default_configELb1EPK6__halfPSP_PKlPlN2at6native12_GLOBAL__N_18offset_tEEE10hipError_tPvRmT1_PNSt15iterator_traitsIS13_E10value_typeET2_T3_PNS14_IS19_E10value_typeET4_jRbjT5_S1F_jjP12ihipStream_tbEUljE_ZNSN_ISO_Lb1ESR_SS_SU_SV_SZ_EES10_S11_S12_S13_S17_S18_S19_S1C_S1D_jS1E_jS1F_S1F_jjS1H_bEUljE0_EEES10_S11_S12_S19_S1D_S1F_T6_T7_T9_mT8_S1H_bDpT10_ENKUlT_T0_E_clISt17integral_constantIbLb1EES1U_IbLb0EEEEDaS1Q_S1R_EUlS1Q_E_NS1_11comp_targetILNS1_3genE0ELNS1_11target_archE4294967295ELNS1_3gpuE0ELNS1_3repE0EEENS1_30default_config_static_selectorELNS0_4arch9wavefront6targetE0EEEvS13_.uses_flat_scratch, 0
	.set _ZN7rocprim17ROCPRIM_400000_NS6detail17trampoline_kernelINS0_13select_configILj256ELj13ELNS0_17block_load_methodE3ELS4_3ELS4_3ELNS0_20block_scan_algorithmE0ELj4294967295EEENS1_25partition_config_selectorILNS1_17partition_subalgoE4EjNS0_10empty_typeEbEEZZNS1_14partition_implILS8_4ELb0ES6_15HIP_vector_typeIjLj2EENS0_17counting_iteratorIjlEEPS9_SG_NS0_5tupleIJPjSI_NS0_16reverse_iteratorISI_EEEEENSH_IJSG_SG_SG_EEES9_SI_JZNS1_25segmented_radix_sort_implINS0_14default_configELb1EPK6__halfPSP_PKlPlN2at6native12_GLOBAL__N_18offset_tEEE10hipError_tPvRmT1_PNSt15iterator_traitsIS13_E10value_typeET2_T3_PNS14_IS19_E10value_typeET4_jRbjT5_S1F_jjP12ihipStream_tbEUljE_ZNSN_ISO_Lb1ESR_SS_SU_SV_SZ_EES10_S11_S12_S13_S17_S18_S19_S1C_S1D_jS1E_jS1F_S1F_jjS1H_bEUljE0_EEES10_S11_S12_S19_S1D_S1F_T6_T7_T9_mT8_S1H_bDpT10_ENKUlT_T0_E_clISt17integral_constantIbLb1EES1U_IbLb0EEEEDaS1Q_S1R_EUlS1Q_E_NS1_11comp_targetILNS1_3genE0ELNS1_11target_archE4294967295ELNS1_3gpuE0ELNS1_3repE0EEENS1_30default_config_static_selectorELNS0_4arch9wavefront6targetE0EEEvS13_.has_dyn_sized_stack, 0
	.set _ZN7rocprim17ROCPRIM_400000_NS6detail17trampoline_kernelINS0_13select_configILj256ELj13ELNS0_17block_load_methodE3ELS4_3ELS4_3ELNS0_20block_scan_algorithmE0ELj4294967295EEENS1_25partition_config_selectorILNS1_17partition_subalgoE4EjNS0_10empty_typeEbEEZZNS1_14partition_implILS8_4ELb0ES6_15HIP_vector_typeIjLj2EENS0_17counting_iteratorIjlEEPS9_SG_NS0_5tupleIJPjSI_NS0_16reverse_iteratorISI_EEEEENSH_IJSG_SG_SG_EEES9_SI_JZNS1_25segmented_radix_sort_implINS0_14default_configELb1EPK6__halfPSP_PKlPlN2at6native12_GLOBAL__N_18offset_tEEE10hipError_tPvRmT1_PNSt15iterator_traitsIS13_E10value_typeET2_T3_PNS14_IS19_E10value_typeET4_jRbjT5_S1F_jjP12ihipStream_tbEUljE_ZNSN_ISO_Lb1ESR_SS_SU_SV_SZ_EES10_S11_S12_S13_S17_S18_S19_S1C_S1D_jS1E_jS1F_S1F_jjS1H_bEUljE0_EEES10_S11_S12_S19_S1D_S1F_T6_T7_T9_mT8_S1H_bDpT10_ENKUlT_T0_E_clISt17integral_constantIbLb1EES1U_IbLb0EEEEDaS1Q_S1R_EUlS1Q_E_NS1_11comp_targetILNS1_3genE0ELNS1_11target_archE4294967295ELNS1_3gpuE0ELNS1_3repE0EEENS1_30default_config_static_selectorELNS0_4arch9wavefront6targetE0EEEvS13_.has_recursion, 0
	.set _ZN7rocprim17ROCPRIM_400000_NS6detail17trampoline_kernelINS0_13select_configILj256ELj13ELNS0_17block_load_methodE3ELS4_3ELS4_3ELNS0_20block_scan_algorithmE0ELj4294967295EEENS1_25partition_config_selectorILNS1_17partition_subalgoE4EjNS0_10empty_typeEbEEZZNS1_14partition_implILS8_4ELb0ES6_15HIP_vector_typeIjLj2EENS0_17counting_iteratorIjlEEPS9_SG_NS0_5tupleIJPjSI_NS0_16reverse_iteratorISI_EEEEENSH_IJSG_SG_SG_EEES9_SI_JZNS1_25segmented_radix_sort_implINS0_14default_configELb1EPK6__halfPSP_PKlPlN2at6native12_GLOBAL__N_18offset_tEEE10hipError_tPvRmT1_PNSt15iterator_traitsIS13_E10value_typeET2_T3_PNS14_IS19_E10value_typeET4_jRbjT5_S1F_jjP12ihipStream_tbEUljE_ZNSN_ISO_Lb1ESR_SS_SU_SV_SZ_EES10_S11_S12_S13_S17_S18_S19_S1C_S1D_jS1E_jS1F_S1F_jjS1H_bEUljE0_EEES10_S11_S12_S19_S1D_S1F_T6_T7_T9_mT8_S1H_bDpT10_ENKUlT_T0_E_clISt17integral_constantIbLb1EES1U_IbLb0EEEEDaS1Q_S1R_EUlS1Q_E_NS1_11comp_targetILNS1_3genE0ELNS1_11target_archE4294967295ELNS1_3gpuE0ELNS1_3repE0EEENS1_30default_config_static_selectorELNS0_4arch9wavefront6targetE0EEEvS13_.has_indirect_call, 0
	.section	.AMDGPU.csdata,"",@progbits
; Kernel info:
; codeLenInByte = 0
; TotalNumSgprs: 0
; NumVgprs: 0
; ScratchSize: 0
; MemoryBound: 0
; FloatMode: 240
; IeeeMode: 1
; LDSByteSize: 0 bytes/workgroup (compile time only)
; SGPRBlocks: 0
; VGPRBlocks: 0
; NumSGPRsForWavesPerEU: 1
; NumVGPRsForWavesPerEU: 1
; Occupancy: 16
; WaveLimiterHint : 0
; COMPUTE_PGM_RSRC2:SCRATCH_EN: 0
; COMPUTE_PGM_RSRC2:USER_SGPR: 6
; COMPUTE_PGM_RSRC2:TRAP_HANDLER: 0
; COMPUTE_PGM_RSRC2:TGID_X_EN: 1
; COMPUTE_PGM_RSRC2:TGID_Y_EN: 0
; COMPUTE_PGM_RSRC2:TGID_Z_EN: 0
; COMPUTE_PGM_RSRC2:TIDIG_COMP_CNT: 0
	.section	.text._ZN7rocprim17ROCPRIM_400000_NS6detail17trampoline_kernelINS0_13select_configILj256ELj13ELNS0_17block_load_methodE3ELS4_3ELS4_3ELNS0_20block_scan_algorithmE0ELj4294967295EEENS1_25partition_config_selectorILNS1_17partition_subalgoE4EjNS0_10empty_typeEbEEZZNS1_14partition_implILS8_4ELb0ES6_15HIP_vector_typeIjLj2EENS0_17counting_iteratorIjlEEPS9_SG_NS0_5tupleIJPjSI_NS0_16reverse_iteratorISI_EEEEENSH_IJSG_SG_SG_EEES9_SI_JZNS1_25segmented_radix_sort_implINS0_14default_configELb1EPK6__halfPSP_PKlPlN2at6native12_GLOBAL__N_18offset_tEEE10hipError_tPvRmT1_PNSt15iterator_traitsIS13_E10value_typeET2_T3_PNS14_IS19_E10value_typeET4_jRbjT5_S1F_jjP12ihipStream_tbEUljE_ZNSN_ISO_Lb1ESR_SS_SU_SV_SZ_EES10_S11_S12_S13_S17_S18_S19_S1C_S1D_jS1E_jS1F_S1F_jjS1H_bEUljE0_EEES10_S11_S12_S19_S1D_S1F_T6_T7_T9_mT8_S1H_bDpT10_ENKUlT_T0_E_clISt17integral_constantIbLb1EES1U_IbLb0EEEEDaS1Q_S1R_EUlS1Q_E_NS1_11comp_targetILNS1_3genE5ELNS1_11target_archE942ELNS1_3gpuE9ELNS1_3repE0EEENS1_30default_config_static_selectorELNS0_4arch9wavefront6targetE0EEEvS13_,"axG",@progbits,_ZN7rocprim17ROCPRIM_400000_NS6detail17trampoline_kernelINS0_13select_configILj256ELj13ELNS0_17block_load_methodE3ELS4_3ELS4_3ELNS0_20block_scan_algorithmE0ELj4294967295EEENS1_25partition_config_selectorILNS1_17partition_subalgoE4EjNS0_10empty_typeEbEEZZNS1_14partition_implILS8_4ELb0ES6_15HIP_vector_typeIjLj2EENS0_17counting_iteratorIjlEEPS9_SG_NS0_5tupleIJPjSI_NS0_16reverse_iteratorISI_EEEEENSH_IJSG_SG_SG_EEES9_SI_JZNS1_25segmented_radix_sort_implINS0_14default_configELb1EPK6__halfPSP_PKlPlN2at6native12_GLOBAL__N_18offset_tEEE10hipError_tPvRmT1_PNSt15iterator_traitsIS13_E10value_typeET2_T3_PNS14_IS19_E10value_typeET4_jRbjT5_S1F_jjP12ihipStream_tbEUljE_ZNSN_ISO_Lb1ESR_SS_SU_SV_SZ_EES10_S11_S12_S13_S17_S18_S19_S1C_S1D_jS1E_jS1F_S1F_jjS1H_bEUljE0_EEES10_S11_S12_S19_S1D_S1F_T6_T7_T9_mT8_S1H_bDpT10_ENKUlT_T0_E_clISt17integral_constantIbLb1EES1U_IbLb0EEEEDaS1Q_S1R_EUlS1Q_E_NS1_11comp_targetILNS1_3genE5ELNS1_11target_archE942ELNS1_3gpuE9ELNS1_3repE0EEENS1_30default_config_static_selectorELNS0_4arch9wavefront6targetE0EEEvS13_,comdat
	.globl	_ZN7rocprim17ROCPRIM_400000_NS6detail17trampoline_kernelINS0_13select_configILj256ELj13ELNS0_17block_load_methodE3ELS4_3ELS4_3ELNS0_20block_scan_algorithmE0ELj4294967295EEENS1_25partition_config_selectorILNS1_17partition_subalgoE4EjNS0_10empty_typeEbEEZZNS1_14partition_implILS8_4ELb0ES6_15HIP_vector_typeIjLj2EENS0_17counting_iteratorIjlEEPS9_SG_NS0_5tupleIJPjSI_NS0_16reverse_iteratorISI_EEEEENSH_IJSG_SG_SG_EEES9_SI_JZNS1_25segmented_radix_sort_implINS0_14default_configELb1EPK6__halfPSP_PKlPlN2at6native12_GLOBAL__N_18offset_tEEE10hipError_tPvRmT1_PNSt15iterator_traitsIS13_E10value_typeET2_T3_PNS14_IS19_E10value_typeET4_jRbjT5_S1F_jjP12ihipStream_tbEUljE_ZNSN_ISO_Lb1ESR_SS_SU_SV_SZ_EES10_S11_S12_S13_S17_S18_S19_S1C_S1D_jS1E_jS1F_S1F_jjS1H_bEUljE0_EEES10_S11_S12_S19_S1D_S1F_T6_T7_T9_mT8_S1H_bDpT10_ENKUlT_T0_E_clISt17integral_constantIbLb1EES1U_IbLb0EEEEDaS1Q_S1R_EUlS1Q_E_NS1_11comp_targetILNS1_3genE5ELNS1_11target_archE942ELNS1_3gpuE9ELNS1_3repE0EEENS1_30default_config_static_selectorELNS0_4arch9wavefront6targetE0EEEvS13_ ; -- Begin function _ZN7rocprim17ROCPRIM_400000_NS6detail17trampoline_kernelINS0_13select_configILj256ELj13ELNS0_17block_load_methodE3ELS4_3ELS4_3ELNS0_20block_scan_algorithmE0ELj4294967295EEENS1_25partition_config_selectorILNS1_17partition_subalgoE4EjNS0_10empty_typeEbEEZZNS1_14partition_implILS8_4ELb0ES6_15HIP_vector_typeIjLj2EENS0_17counting_iteratorIjlEEPS9_SG_NS0_5tupleIJPjSI_NS0_16reverse_iteratorISI_EEEEENSH_IJSG_SG_SG_EEES9_SI_JZNS1_25segmented_radix_sort_implINS0_14default_configELb1EPK6__halfPSP_PKlPlN2at6native12_GLOBAL__N_18offset_tEEE10hipError_tPvRmT1_PNSt15iterator_traitsIS13_E10value_typeET2_T3_PNS14_IS19_E10value_typeET4_jRbjT5_S1F_jjP12ihipStream_tbEUljE_ZNSN_ISO_Lb1ESR_SS_SU_SV_SZ_EES10_S11_S12_S13_S17_S18_S19_S1C_S1D_jS1E_jS1F_S1F_jjS1H_bEUljE0_EEES10_S11_S12_S19_S1D_S1F_T6_T7_T9_mT8_S1H_bDpT10_ENKUlT_T0_E_clISt17integral_constantIbLb1EES1U_IbLb0EEEEDaS1Q_S1R_EUlS1Q_E_NS1_11comp_targetILNS1_3genE5ELNS1_11target_archE942ELNS1_3gpuE9ELNS1_3repE0EEENS1_30default_config_static_selectorELNS0_4arch9wavefront6targetE0EEEvS13_
	.p2align	8
	.type	_ZN7rocprim17ROCPRIM_400000_NS6detail17trampoline_kernelINS0_13select_configILj256ELj13ELNS0_17block_load_methodE3ELS4_3ELS4_3ELNS0_20block_scan_algorithmE0ELj4294967295EEENS1_25partition_config_selectorILNS1_17partition_subalgoE4EjNS0_10empty_typeEbEEZZNS1_14partition_implILS8_4ELb0ES6_15HIP_vector_typeIjLj2EENS0_17counting_iteratorIjlEEPS9_SG_NS0_5tupleIJPjSI_NS0_16reverse_iteratorISI_EEEEENSH_IJSG_SG_SG_EEES9_SI_JZNS1_25segmented_radix_sort_implINS0_14default_configELb1EPK6__halfPSP_PKlPlN2at6native12_GLOBAL__N_18offset_tEEE10hipError_tPvRmT1_PNSt15iterator_traitsIS13_E10value_typeET2_T3_PNS14_IS19_E10value_typeET4_jRbjT5_S1F_jjP12ihipStream_tbEUljE_ZNSN_ISO_Lb1ESR_SS_SU_SV_SZ_EES10_S11_S12_S13_S17_S18_S19_S1C_S1D_jS1E_jS1F_S1F_jjS1H_bEUljE0_EEES10_S11_S12_S19_S1D_S1F_T6_T7_T9_mT8_S1H_bDpT10_ENKUlT_T0_E_clISt17integral_constantIbLb1EES1U_IbLb0EEEEDaS1Q_S1R_EUlS1Q_E_NS1_11comp_targetILNS1_3genE5ELNS1_11target_archE942ELNS1_3gpuE9ELNS1_3repE0EEENS1_30default_config_static_selectorELNS0_4arch9wavefront6targetE0EEEvS13_,@function
_ZN7rocprim17ROCPRIM_400000_NS6detail17trampoline_kernelINS0_13select_configILj256ELj13ELNS0_17block_load_methodE3ELS4_3ELS4_3ELNS0_20block_scan_algorithmE0ELj4294967295EEENS1_25partition_config_selectorILNS1_17partition_subalgoE4EjNS0_10empty_typeEbEEZZNS1_14partition_implILS8_4ELb0ES6_15HIP_vector_typeIjLj2EENS0_17counting_iteratorIjlEEPS9_SG_NS0_5tupleIJPjSI_NS0_16reverse_iteratorISI_EEEEENSH_IJSG_SG_SG_EEES9_SI_JZNS1_25segmented_radix_sort_implINS0_14default_configELb1EPK6__halfPSP_PKlPlN2at6native12_GLOBAL__N_18offset_tEEE10hipError_tPvRmT1_PNSt15iterator_traitsIS13_E10value_typeET2_T3_PNS14_IS19_E10value_typeET4_jRbjT5_S1F_jjP12ihipStream_tbEUljE_ZNSN_ISO_Lb1ESR_SS_SU_SV_SZ_EES10_S11_S12_S13_S17_S18_S19_S1C_S1D_jS1E_jS1F_S1F_jjS1H_bEUljE0_EEES10_S11_S12_S19_S1D_S1F_T6_T7_T9_mT8_S1H_bDpT10_ENKUlT_T0_E_clISt17integral_constantIbLb1EES1U_IbLb0EEEEDaS1Q_S1R_EUlS1Q_E_NS1_11comp_targetILNS1_3genE5ELNS1_11target_archE942ELNS1_3gpuE9ELNS1_3repE0EEENS1_30default_config_static_selectorELNS0_4arch9wavefront6targetE0EEEvS13_: ; @_ZN7rocprim17ROCPRIM_400000_NS6detail17trampoline_kernelINS0_13select_configILj256ELj13ELNS0_17block_load_methodE3ELS4_3ELS4_3ELNS0_20block_scan_algorithmE0ELj4294967295EEENS1_25partition_config_selectorILNS1_17partition_subalgoE4EjNS0_10empty_typeEbEEZZNS1_14partition_implILS8_4ELb0ES6_15HIP_vector_typeIjLj2EENS0_17counting_iteratorIjlEEPS9_SG_NS0_5tupleIJPjSI_NS0_16reverse_iteratorISI_EEEEENSH_IJSG_SG_SG_EEES9_SI_JZNS1_25segmented_radix_sort_implINS0_14default_configELb1EPK6__halfPSP_PKlPlN2at6native12_GLOBAL__N_18offset_tEEE10hipError_tPvRmT1_PNSt15iterator_traitsIS13_E10value_typeET2_T3_PNS14_IS19_E10value_typeET4_jRbjT5_S1F_jjP12ihipStream_tbEUljE_ZNSN_ISO_Lb1ESR_SS_SU_SV_SZ_EES10_S11_S12_S13_S17_S18_S19_S1C_S1D_jS1E_jS1F_S1F_jjS1H_bEUljE0_EEES10_S11_S12_S19_S1D_S1F_T6_T7_T9_mT8_S1H_bDpT10_ENKUlT_T0_E_clISt17integral_constantIbLb1EES1U_IbLb0EEEEDaS1Q_S1R_EUlS1Q_E_NS1_11comp_targetILNS1_3genE5ELNS1_11target_archE942ELNS1_3gpuE9ELNS1_3repE0EEENS1_30default_config_static_selectorELNS0_4arch9wavefront6targetE0EEEvS13_
; %bb.0:
	.section	.rodata,"a",@progbits
	.p2align	6, 0x0
	.amdhsa_kernel _ZN7rocprim17ROCPRIM_400000_NS6detail17trampoline_kernelINS0_13select_configILj256ELj13ELNS0_17block_load_methodE3ELS4_3ELS4_3ELNS0_20block_scan_algorithmE0ELj4294967295EEENS1_25partition_config_selectorILNS1_17partition_subalgoE4EjNS0_10empty_typeEbEEZZNS1_14partition_implILS8_4ELb0ES6_15HIP_vector_typeIjLj2EENS0_17counting_iteratorIjlEEPS9_SG_NS0_5tupleIJPjSI_NS0_16reverse_iteratorISI_EEEEENSH_IJSG_SG_SG_EEES9_SI_JZNS1_25segmented_radix_sort_implINS0_14default_configELb1EPK6__halfPSP_PKlPlN2at6native12_GLOBAL__N_18offset_tEEE10hipError_tPvRmT1_PNSt15iterator_traitsIS13_E10value_typeET2_T3_PNS14_IS19_E10value_typeET4_jRbjT5_S1F_jjP12ihipStream_tbEUljE_ZNSN_ISO_Lb1ESR_SS_SU_SV_SZ_EES10_S11_S12_S13_S17_S18_S19_S1C_S1D_jS1E_jS1F_S1F_jjS1H_bEUljE0_EEES10_S11_S12_S19_S1D_S1F_T6_T7_T9_mT8_S1H_bDpT10_ENKUlT_T0_E_clISt17integral_constantIbLb1EES1U_IbLb0EEEEDaS1Q_S1R_EUlS1Q_E_NS1_11comp_targetILNS1_3genE5ELNS1_11target_archE942ELNS1_3gpuE9ELNS1_3repE0EEENS1_30default_config_static_selectorELNS0_4arch9wavefront6targetE0EEEvS13_
		.amdhsa_group_segment_fixed_size 0
		.amdhsa_private_segment_fixed_size 0
		.amdhsa_kernarg_size 176
		.amdhsa_user_sgpr_count 6
		.amdhsa_user_sgpr_private_segment_buffer 1
		.amdhsa_user_sgpr_dispatch_ptr 0
		.amdhsa_user_sgpr_queue_ptr 0
		.amdhsa_user_sgpr_kernarg_segment_ptr 1
		.amdhsa_user_sgpr_dispatch_id 0
		.amdhsa_user_sgpr_flat_scratch_init 0
		.amdhsa_user_sgpr_private_segment_size 0
		.amdhsa_wavefront_size32 1
		.amdhsa_uses_dynamic_stack 0
		.amdhsa_system_sgpr_private_segment_wavefront_offset 0
		.amdhsa_system_sgpr_workgroup_id_x 1
		.amdhsa_system_sgpr_workgroup_id_y 0
		.amdhsa_system_sgpr_workgroup_id_z 0
		.amdhsa_system_sgpr_workgroup_info 0
		.amdhsa_system_vgpr_workitem_id 0
		.amdhsa_next_free_vgpr 1
		.amdhsa_next_free_sgpr 1
		.amdhsa_reserve_vcc 0
		.amdhsa_reserve_flat_scratch 0
		.amdhsa_float_round_mode_32 0
		.amdhsa_float_round_mode_16_64 0
		.amdhsa_float_denorm_mode_32 3
		.amdhsa_float_denorm_mode_16_64 3
		.amdhsa_dx10_clamp 1
		.amdhsa_ieee_mode 1
		.amdhsa_fp16_overflow 0
		.amdhsa_workgroup_processor_mode 1
		.amdhsa_memory_ordered 1
		.amdhsa_forward_progress 1
		.amdhsa_shared_vgpr_count 0
		.amdhsa_exception_fp_ieee_invalid_op 0
		.amdhsa_exception_fp_denorm_src 0
		.amdhsa_exception_fp_ieee_div_zero 0
		.amdhsa_exception_fp_ieee_overflow 0
		.amdhsa_exception_fp_ieee_underflow 0
		.amdhsa_exception_fp_ieee_inexact 0
		.amdhsa_exception_int_div_zero 0
	.end_amdhsa_kernel
	.section	.text._ZN7rocprim17ROCPRIM_400000_NS6detail17trampoline_kernelINS0_13select_configILj256ELj13ELNS0_17block_load_methodE3ELS4_3ELS4_3ELNS0_20block_scan_algorithmE0ELj4294967295EEENS1_25partition_config_selectorILNS1_17partition_subalgoE4EjNS0_10empty_typeEbEEZZNS1_14partition_implILS8_4ELb0ES6_15HIP_vector_typeIjLj2EENS0_17counting_iteratorIjlEEPS9_SG_NS0_5tupleIJPjSI_NS0_16reverse_iteratorISI_EEEEENSH_IJSG_SG_SG_EEES9_SI_JZNS1_25segmented_radix_sort_implINS0_14default_configELb1EPK6__halfPSP_PKlPlN2at6native12_GLOBAL__N_18offset_tEEE10hipError_tPvRmT1_PNSt15iterator_traitsIS13_E10value_typeET2_T3_PNS14_IS19_E10value_typeET4_jRbjT5_S1F_jjP12ihipStream_tbEUljE_ZNSN_ISO_Lb1ESR_SS_SU_SV_SZ_EES10_S11_S12_S13_S17_S18_S19_S1C_S1D_jS1E_jS1F_S1F_jjS1H_bEUljE0_EEES10_S11_S12_S19_S1D_S1F_T6_T7_T9_mT8_S1H_bDpT10_ENKUlT_T0_E_clISt17integral_constantIbLb1EES1U_IbLb0EEEEDaS1Q_S1R_EUlS1Q_E_NS1_11comp_targetILNS1_3genE5ELNS1_11target_archE942ELNS1_3gpuE9ELNS1_3repE0EEENS1_30default_config_static_selectorELNS0_4arch9wavefront6targetE0EEEvS13_,"axG",@progbits,_ZN7rocprim17ROCPRIM_400000_NS6detail17trampoline_kernelINS0_13select_configILj256ELj13ELNS0_17block_load_methodE3ELS4_3ELS4_3ELNS0_20block_scan_algorithmE0ELj4294967295EEENS1_25partition_config_selectorILNS1_17partition_subalgoE4EjNS0_10empty_typeEbEEZZNS1_14partition_implILS8_4ELb0ES6_15HIP_vector_typeIjLj2EENS0_17counting_iteratorIjlEEPS9_SG_NS0_5tupleIJPjSI_NS0_16reverse_iteratorISI_EEEEENSH_IJSG_SG_SG_EEES9_SI_JZNS1_25segmented_radix_sort_implINS0_14default_configELb1EPK6__halfPSP_PKlPlN2at6native12_GLOBAL__N_18offset_tEEE10hipError_tPvRmT1_PNSt15iterator_traitsIS13_E10value_typeET2_T3_PNS14_IS19_E10value_typeET4_jRbjT5_S1F_jjP12ihipStream_tbEUljE_ZNSN_ISO_Lb1ESR_SS_SU_SV_SZ_EES10_S11_S12_S13_S17_S18_S19_S1C_S1D_jS1E_jS1F_S1F_jjS1H_bEUljE0_EEES10_S11_S12_S19_S1D_S1F_T6_T7_T9_mT8_S1H_bDpT10_ENKUlT_T0_E_clISt17integral_constantIbLb1EES1U_IbLb0EEEEDaS1Q_S1R_EUlS1Q_E_NS1_11comp_targetILNS1_3genE5ELNS1_11target_archE942ELNS1_3gpuE9ELNS1_3repE0EEENS1_30default_config_static_selectorELNS0_4arch9wavefront6targetE0EEEvS13_,comdat
.Lfunc_end1682:
	.size	_ZN7rocprim17ROCPRIM_400000_NS6detail17trampoline_kernelINS0_13select_configILj256ELj13ELNS0_17block_load_methodE3ELS4_3ELS4_3ELNS0_20block_scan_algorithmE0ELj4294967295EEENS1_25partition_config_selectorILNS1_17partition_subalgoE4EjNS0_10empty_typeEbEEZZNS1_14partition_implILS8_4ELb0ES6_15HIP_vector_typeIjLj2EENS0_17counting_iteratorIjlEEPS9_SG_NS0_5tupleIJPjSI_NS0_16reverse_iteratorISI_EEEEENSH_IJSG_SG_SG_EEES9_SI_JZNS1_25segmented_radix_sort_implINS0_14default_configELb1EPK6__halfPSP_PKlPlN2at6native12_GLOBAL__N_18offset_tEEE10hipError_tPvRmT1_PNSt15iterator_traitsIS13_E10value_typeET2_T3_PNS14_IS19_E10value_typeET4_jRbjT5_S1F_jjP12ihipStream_tbEUljE_ZNSN_ISO_Lb1ESR_SS_SU_SV_SZ_EES10_S11_S12_S13_S17_S18_S19_S1C_S1D_jS1E_jS1F_S1F_jjS1H_bEUljE0_EEES10_S11_S12_S19_S1D_S1F_T6_T7_T9_mT8_S1H_bDpT10_ENKUlT_T0_E_clISt17integral_constantIbLb1EES1U_IbLb0EEEEDaS1Q_S1R_EUlS1Q_E_NS1_11comp_targetILNS1_3genE5ELNS1_11target_archE942ELNS1_3gpuE9ELNS1_3repE0EEENS1_30default_config_static_selectorELNS0_4arch9wavefront6targetE0EEEvS13_, .Lfunc_end1682-_ZN7rocprim17ROCPRIM_400000_NS6detail17trampoline_kernelINS0_13select_configILj256ELj13ELNS0_17block_load_methodE3ELS4_3ELS4_3ELNS0_20block_scan_algorithmE0ELj4294967295EEENS1_25partition_config_selectorILNS1_17partition_subalgoE4EjNS0_10empty_typeEbEEZZNS1_14partition_implILS8_4ELb0ES6_15HIP_vector_typeIjLj2EENS0_17counting_iteratorIjlEEPS9_SG_NS0_5tupleIJPjSI_NS0_16reverse_iteratorISI_EEEEENSH_IJSG_SG_SG_EEES9_SI_JZNS1_25segmented_radix_sort_implINS0_14default_configELb1EPK6__halfPSP_PKlPlN2at6native12_GLOBAL__N_18offset_tEEE10hipError_tPvRmT1_PNSt15iterator_traitsIS13_E10value_typeET2_T3_PNS14_IS19_E10value_typeET4_jRbjT5_S1F_jjP12ihipStream_tbEUljE_ZNSN_ISO_Lb1ESR_SS_SU_SV_SZ_EES10_S11_S12_S13_S17_S18_S19_S1C_S1D_jS1E_jS1F_S1F_jjS1H_bEUljE0_EEES10_S11_S12_S19_S1D_S1F_T6_T7_T9_mT8_S1H_bDpT10_ENKUlT_T0_E_clISt17integral_constantIbLb1EES1U_IbLb0EEEEDaS1Q_S1R_EUlS1Q_E_NS1_11comp_targetILNS1_3genE5ELNS1_11target_archE942ELNS1_3gpuE9ELNS1_3repE0EEENS1_30default_config_static_selectorELNS0_4arch9wavefront6targetE0EEEvS13_
                                        ; -- End function
	.set _ZN7rocprim17ROCPRIM_400000_NS6detail17trampoline_kernelINS0_13select_configILj256ELj13ELNS0_17block_load_methodE3ELS4_3ELS4_3ELNS0_20block_scan_algorithmE0ELj4294967295EEENS1_25partition_config_selectorILNS1_17partition_subalgoE4EjNS0_10empty_typeEbEEZZNS1_14partition_implILS8_4ELb0ES6_15HIP_vector_typeIjLj2EENS0_17counting_iteratorIjlEEPS9_SG_NS0_5tupleIJPjSI_NS0_16reverse_iteratorISI_EEEEENSH_IJSG_SG_SG_EEES9_SI_JZNS1_25segmented_radix_sort_implINS0_14default_configELb1EPK6__halfPSP_PKlPlN2at6native12_GLOBAL__N_18offset_tEEE10hipError_tPvRmT1_PNSt15iterator_traitsIS13_E10value_typeET2_T3_PNS14_IS19_E10value_typeET4_jRbjT5_S1F_jjP12ihipStream_tbEUljE_ZNSN_ISO_Lb1ESR_SS_SU_SV_SZ_EES10_S11_S12_S13_S17_S18_S19_S1C_S1D_jS1E_jS1F_S1F_jjS1H_bEUljE0_EEES10_S11_S12_S19_S1D_S1F_T6_T7_T9_mT8_S1H_bDpT10_ENKUlT_T0_E_clISt17integral_constantIbLb1EES1U_IbLb0EEEEDaS1Q_S1R_EUlS1Q_E_NS1_11comp_targetILNS1_3genE5ELNS1_11target_archE942ELNS1_3gpuE9ELNS1_3repE0EEENS1_30default_config_static_selectorELNS0_4arch9wavefront6targetE0EEEvS13_.num_vgpr, 0
	.set _ZN7rocprim17ROCPRIM_400000_NS6detail17trampoline_kernelINS0_13select_configILj256ELj13ELNS0_17block_load_methodE3ELS4_3ELS4_3ELNS0_20block_scan_algorithmE0ELj4294967295EEENS1_25partition_config_selectorILNS1_17partition_subalgoE4EjNS0_10empty_typeEbEEZZNS1_14partition_implILS8_4ELb0ES6_15HIP_vector_typeIjLj2EENS0_17counting_iteratorIjlEEPS9_SG_NS0_5tupleIJPjSI_NS0_16reverse_iteratorISI_EEEEENSH_IJSG_SG_SG_EEES9_SI_JZNS1_25segmented_radix_sort_implINS0_14default_configELb1EPK6__halfPSP_PKlPlN2at6native12_GLOBAL__N_18offset_tEEE10hipError_tPvRmT1_PNSt15iterator_traitsIS13_E10value_typeET2_T3_PNS14_IS19_E10value_typeET4_jRbjT5_S1F_jjP12ihipStream_tbEUljE_ZNSN_ISO_Lb1ESR_SS_SU_SV_SZ_EES10_S11_S12_S13_S17_S18_S19_S1C_S1D_jS1E_jS1F_S1F_jjS1H_bEUljE0_EEES10_S11_S12_S19_S1D_S1F_T6_T7_T9_mT8_S1H_bDpT10_ENKUlT_T0_E_clISt17integral_constantIbLb1EES1U_IbLb0EEEEDaS1Q_S1R_EUlS1Q_E_NS1_11comp_targetILNS1_3genE5ELNS1_11target_archE942ELNS1_3gpuE9ELNS1_3repE0EEENS1_30default_config_static_selectorELNS0_4arch9wavefront6targetE0EEEvS13_.num_agpr, 0
	.set _ZN7rocprim17ROCPRIM_400000_NS6detail17trampoline_kernelINS0_13select_configILj256ELj13ELNS0_17block_load_methodE3ELS4_3ELS4_3ELNS0_20block_scan_algorithmE0ELj4294967295EEENS1_25partition_config_selectorILNS1_17partition_subalgoE4EjNS0_10empty_typeEbEEZZNS1_14partition_implILS8_4ELb0ES6_15HIP_vector_typeIjLj2EENS0_17counting_iteratorIjlEEPS9_SG_NS0_5tupleIJPjSI_NS0_16reverse_iteratorISI_EEEEENSH_IJSG_SG_SG_EEES9_SI_JZNS1_25segmented_radix_sort_implINS0_14default_configELb1EPK6__halfPSP_PKlPlN2at6native12_GLOBAL__N_18offset_tEEE10hipError_tPvRmT1_PNSt15iterator_traitsIS13_E10value_typeET2_T3_PNS14_IS19_E10value_typeET4_jRbjT5_S1F_jjP12ihipStream_tbEUljE_ZNSN_ISO_Lb1ESR_SS_SU_SV_SZ_EES10_S11_S12_S13_S17_S18_S19_S1C_S1D_jS1E_jS1F_S1F_jjS1H_bEUljE0_EEES10_S11_S12_S19_S1D_S1F_T6_T7_T9_mT8_S1H_bDpT10_ENKUlT_T0_E_clISt17integral_constantIbLb1EES1U_IbLb0EEEEDaS1Q_S1R_EUlS1Q_E_NS1_11comp_targetILNS1_3genE5ELNS1_11target_archE942ELNS1_3gpuE9ELNS1_3repE0EEENS1_30default_config_static_selectorELNS0_4arch9wavefront6targetE0EEEvS13_.numbered_sgpr, 0
	.set _ZN7rocprim17ROCPRIM_400000_NS6detail17trampoline_kernelINS0_13select_configILj256ELj13ELNS0_17block_load_methodE3ELS4_3ELS4_3ELNS0_20block_scan_algorithmE0ELj4294967295EEENS1_25partition_config_selectorILNS1_17partition_subalgoE4EjNS0_10empty_typeEbEEZZNS1_14partition_implILS8_4ELb0ES6_15HIP_vector_typeIjLj2EENS0_17counting_iteratorIjlEEPS9_SG_NS0_5tupleIJPjSI_NS0_16reverse_iteratorISI_EEEEENSH_IJSG_SG_SG_EEES9_SI_JZNS1_25segmented_radix_sort_implINS0_14default_configELb1EPK6__halfPSP_PKlPlN2at6native12_GLOBAL__N_18offset_tEEE10hipError_tPvRmT1_PNSt15iterator_traitsIS13_E10value_typeET2_T3_PNS14_IS19_E10value_typeET4_jRbjT5_S1F_jjP12ihipStream_tbEUljE_ZNSN_ISO_Lb1ESR_SS_SU_SV_SZ_EES10_S11_S12_S13_S17_S18_S19_S1C_S1D_jS1E_jS1F_S1F_jjS1H_bEUljE0_EEES10_S11_S12_S19_S1D_S1F_T6_T7_T9_mT8_S1H_bDpT10_ENKUlT_T0_E_clISt17integral_constantIbLb1EES1U_IbLb0EEEEDaS1Q_S1R_EUlS1Q_E_NS1_11comp_targetILNS1_3genE5ELNS1_11target_archE942ELNS1_3gpuE9ELNS1_3repE0EEENS1_30default_config_static_selectorELNS0_4arch9wavefront6targetE0EEEvS13_.num_named_barrier, 0
	.set _ZN7rocprim17ROCPRIM_400000_NS6detail17trampoline_kernelINS0_13select_configILj256ELj13ELNS0_17block_load_methodE3ELS4_3ELS4_3ELNS0_20block_scan_algorithmE0ELj4294967295EEENS1_25partition_config_selectorILNS1_17partition_subalgoE4EjNS0_10empty_typeEbEEZZNS1_14partition_implILS8_4ELb0ES6_15HIP_vector_typeIjLj2EENS0_17counting_iteratorIjlEEPS9_SG_NS0_5tupleIJPjSI_NS0_16reverse_iteratorISI_EEEEENSH_IJSG_SG_SG_EEES9_SI_JZNS1_25segmented_radix_sort_implINS0_14default_configELb1EPK6__halfPSP_PKlPlN2at6native12_GLOBAL__N_18offset_tEEE10hipError_tPvRmT1_PNSt15iterator_traitsIS13_E10value_typeET2_T3_PNS14_IS19_E10value_typeET4_jRbjT5_S1F_jjP12ihipStream_tbEUljE_ZNSN_ISO_Lb1ESR_SS_SU_SV_SZ_EES10_S11_S12_S13_S17_S18_S19_S1C_S1D_jS1E_jS1F_S1F_jjS1H_bEUljE0_EEES10_S11_S12_S19_S1D_S1F_T6_T7_T9_mT8_S1H_bDpT10_ENKUlT_T0_E_clISt17integral_constantIbLb1EES1U_IbLb0EEEEDaS1Q_S1R_EUlS1Q_E_NS1_11comp_targetILNS1_3genE5ELNS1_11target_archE942ELNS1_3gpuE9ELNS1_3repE0EEENS1_30default_config_static_selectorELNS0_4arch9wavefront6targetE0EEEvS13_.private_seg_size, 0
	.set _ZN7rocprim17ROCPRIM_400000_NS6detail17trampoline_kernelINS0_13select_configILj256ELj13ELNS0_17block_load_methodE3ELS4_3ELS4_3ELNS0_20block_scan_algorithmE0ELj4294967295EEENS1_25partition_config_selectorILNS1_17partition_subalgoE4EjNS0_10empty_typeEbEEZZNS1_14partition_implILS8_4ELb0ES6_15HIP_vector_typeIjLj2EENS0_17counting_iteratorIjlEEPS9_SG_NS0_5tupleIJPjSI_NS0_16reverse_iteratorISI_EEEEENSH_IJSG_SG_SG_EEES9_SI_JZNS1_25segmented_radix_sort_implINS0_14default_configELb1EPK6__halfPSP_PKlPlN2at6native12_GLOBAL__N_18offset_tEEE10hipError_tPvRmT1_PNSt15iterator_traitsIS13_E10value_typeET2_T3_PNS14_IS19_E10value_typeET4_jRbjT5_S1F_jjP12ihipStream_tbEUljE_ZNSN_ISO_Lb1ESR_SS_SU_SV_SZ_EES10_S11_S12_S13_S17_S18_S19_S1C_S1D_jS1E_jS1F_S1F_jjS1H_bEUljE0_EEES10_S11_S12_S19_S1D_S1F_T6_T7_T9_mT8_S1H_bDpT10_ENKUlT_T0_E_clISt17integral_constantIbLb1EES1U_IbLb0EEEEDaS1Q_S1R_EUlS1Q_E_NS1_11comp_targetILNS1_3genE5ELNS1_11target_archE942ELNS1_3gpuE9ELNS1_3repE0EEENS1_30default_config_static_selectorELNS0_4arch9wavefront6targetE0EEEvS13_.uses_vcc, 0
	.set _ZN7rocprim17ROCPRIM_400000_NS6detail17trampoline_kernelINS0_13select_configILj256ELj13ELNS0_17block_load_methodE3ELS4_3ELS4_3ELNS0_20block_scan_algorithmE0ELj4294967295EEENS1_25partition_config_selectorILNS1_17partition_subalgoE4EjNS0_10empty_typeEbEEZZNS1_14partition_implILS8_4ELb0ES6_15HIP_vector_typeIjLj2EENS0_17counting_iteratorIjlEEPS9_SG_NS0_5tupleIJPjSI_NS0_16reverse_iteratorISI_EEEEENSH_IJSG_SG_SG_EEES9_SI_JZNS1_25segmented_radix_sort_implINS0_14default_configELb1EPK6__halfPSP_PKlPlN2at6native12_GLOBAL__N_18offset_tEEE10hipError_tPvRmT1_PNSt15iterator_traitsIS13_E10value_typeET2_T3_PNS14_IS19_E10value_typeET4_jRbjT5_S1F_jjP12ihipStream_tbEUljE_ZNSN_ISO_Lb1ESR_SS_SU_SV_SZ_EES10_S11_S12_S13_S17_S18_S19_S1C_S1D_jS1E_jS1F_S1F_jjS1H_bEUljE0_EEES10_S11_S12_S19_S1D_S1F_T6_T7_T9_mT8_S1H_bDpT10_ENKUlT_T0_E_clISt17integral_constantIbLb1EES1U_IbLb0EEEEDaS1Q_S1R_EUlS1Q_E_NS1_11comp_targetILNS1_3genE5ELNS1_11target_archE942ELNS1_3gpuE9ELNS1_3repE0EEENS1_30default_config_static_selectorELNS0_4arch9wavefront6targetE0EEEvS13_.uses_flat_scratch, 0
	.set _ZN7rocprim17ROCPRIM_400000_NS6detail17trampoline_kernelINS0_13select_configILj256ELj13ELNS0_17block_load_methodE3ELS4_3ELS4_3ELNS0_20block_scan_algorithmE0ELj4294967295EEENS1_25partition_config_selectorILNS1_17partition_subalgoE4EjNS0_10empty_typeEbEEZZNS1_14partition_implILS8_4ELb0ES6_15HIP_vector_typeIjLj2EENS0_17counting_iteratorIjlEEPS9_SG_NS0_5tupleIJPjSI_NS0_16reverse_iteratorISI_EEEEENSH_IJSG_SG_SG_EEES9_SI_JZNS1_25segmented_radix_sort_implINS0_14default_configELb1EPK6__halfPSP_PKlPlN2at6native12_GLOBAL__N_18offset_tEEE10hipError_tPvRmT1_PNSt15iterator_traitsIS13_E10value_typeET2_T3_PNS14_IS19_E10value_typeET4_jRbjT5_S1F_jjP12ihipStream_tbEUljE_ZNSN_ISO_Lb1ESR_SS_SU_SV_SZ_EES10_S11_S12_S13_S17_S18_S19_S1C_S1D_jS1E_jS1F_S1F_jjS1H_bEUljE0_EEES10_S11_S12_S19_S1D_S1F_T6_T7_T9_mT8_S1H_bDpT10_ENKUlT_T0_E_clISt17integral_constantIbLb1EES1U_IbLb0EEEEDaS1Q_S1R_EUlS1Q_E_NS1_11comp_targetILNS1_3genE5ELNS1_11target_archE942ELNS1_3gpuE9ELNS1_3repE0EEENS1_30default_config_static_selectorELNS0_4arch9wavefront6targetE0EEEvS13_.has_dyn_sized_stack, 0
	.set _ZN7rocprim17ROCPRIM_400000_NS6detail17trampoline_kernelINS0_13select_configILj256ELj13ELNS0_17block_load_methodE3ELS4_3ELS4_3ELNS0_20block_scan_algorithmE0ELj4294967295EEENS1_25partition_config_selectorILNS1_17partition_subalgoE4EjNS0_10empty_typeEbEEZZNS1_14partition_implILS8_4ELb0ES6_15HIP_vector_typeIjLj2EENS0_17counting_iteratorIjlEEPS9_SG_NS0_5tupleIJPjSI_NS0_16reverse_iteratorISI_EEEEENSH_IJSG_SG_SG_EEES9_SI_JZNS1_25segmented_radix_sort_implINS0_14default_configELb1EPK6__halfPSP_PKlPlN2at6native12_GLOBAL__N_18offset_tEEE10hipError_tPvRmT1_PNSt15iterator_traitsIS13_E10value_typeET2_T3_PNS14_IS19_E10value_typeET4_jRbjT5_S1F_jjP12ihipStream_tbEUljE_ZNSN_ISO_Lb1ESR_SS_SU_SV_SZ_EES10_S11_S12_S13_S17_S18_S19_S1C_S1D_jS1E_jS1F_S1F_jjS1H_bEUljE0_EEES10_S11_S12_S19_S1D_S1F_T6_T7_T9_mT8_S1H_bDpT10_ENKUlT_T0_E_clISt17integral_constantIbLb1EES1U_IbLb0EEEEDaS1Q_S1R_EUlS1Q_E_NS1_11comp_targetILNS1_3genE5ELNS1_11target_archE942ELNS1_3gpuE9ELNS1_3repE0EEENS1_30default_config_static_selectorELNS0_4arch9wavefront6targetE0EEEvS13_.has_recursion, 0
	.set _ZN7rocprim17ROCPRIM_400000_NS6detail17trampoline_kernelINS0_13select_configILj256ELj13ELNS0_17block_load_methodE3ELS4_3ELS4_3ELNS0_20block_scan_algorithmE0ELj4294967295EEENS1_25partition_config_selectorILNS1_17partition_subalgoE4EjNS0_10empty_typeEbEEZZNS1_14partition_implILS8_4ELb0ES6_15HIP_vector_typeIjLj2EENS0_17counting_iteratorIjlEEPS9_SG_NS0_5tupleIJPjSI_NS0_16reverse_iteratorISI_EEEEENSH_IJSG_SG_SG_EEES9_SI_JZNS1_25segmented_radix_sort_implINS0_14default_configELb1EPK6__halfPSP_PKlPlN2at6native12_GLOBAL__N_18offset_tEEE10hipError_tPvRmT1_PNSt15iterator_traitsIS13_E10value_typeET2_T3_PNS14_IS19_E10value_typeET4_jRbjT5_S1F_jjP12ihipStream_tbEUljE_ZNSN_ISO_Lb1ESR_SS_SU_SV_SZ_EES10_S11_S12_S13_S17_S18_S19_S1C_S1D_jS1E_jS1F_S1F_jjS1H_bEUljE0_EEES10_S11_S12_S19_S1D_S1F_T6_T7_T9_mT8_S1H_bDpT10_ENKUlT_T0_E_clISt17integral_constantIbLb1EES1U_IbLb0EEEEDaS1Q_S1R_EUlS1Q_E_NS1_11comp_targetILNS1_3genE5ELNS1_11target_archE942ELNS1_3gpuE9ELNS1_3repE0EEENS1_30default_config_static_selectorELNS0_4arch9wavefront6targetE0EEEvS13_.has_indirect_call, 0
	.section	.AMDGPU.csdata,"",@progbits
; Kernel info:
; codeLenInByte = 0
; TotalNumSgprs: 0
; NumVgprs: 0
; ScratchSize: 0
; MemoryBound: 0
; FloatMode: 240
; IeeeMode: 1
; LDSByteSize: 0 bytes/workgroup (compile time only)
; SGPRBlocks: 0
; VGPRBlocks: 0
; NumSGPRsForWavesPerEU: 1
; NumVGPRsForWavesPerEU: 1
; Occupancy: 16
; WaveLimiterHint : 0
; COMPUTE_PGM_RSRC2:SCRATCH_EN: 0
; COMPUTE_PGM_RSRC2:USER_SGPR: 6
; COMPUTE_PGM_RSRC2:TRAP_HANDLER: 0
; COMPUTE_PGM_RSRC2:TGID_X_EN: 1
; COMPUTE_PGM_RSRC2:TGID_Y_EN: 0
; COMPUTE_PGM_RSRC2:TGID_Z_EN: 0
; COMPUTE_PGM_RSRC2:TIDIG_COMP_CNT: 0
	.section	.text._ZN7rocprim17ROCPRIM_400000_NS6detail17trampoline_kernelINS0_13select_configILj256ELj13ELNS0_17block_load_methodE3ELS4_3ELS4_3ELNS0_20block_scan_algorithmE0ELj4294967295EEENS1_25partition_config_selectorILNS1_17partition_subalgoE4EjNS0_10empty_typeEbEEZZNS1_14partition_implILS8_4ELb0ES6_15HIP_vector_typeIjLj2EENS0_17counting_iteratorIjlEEPS9_SG_NS0_5tupleIJPjSI_NS0_16reverse_iteratorISI_EEEEENSH_IJSG_SG_SG_EEES9_SI_JZNS1_25segmented_radix_sort_implINS0_14default_configELb1EPK6__halfPSP_PKlPlN2at6native12_GLOBAL__N_18offset_tEEE10hipError_tPvRmT1_PNSt15iterator_traitsIS13_E10value_typeET2_T3_PNS14_IS19_E10value_typeET4_jRbjT5_S1F_jjP12ihipStream_tbEUljE_ZNSN_ISO_Lb1ESR_SS_SU_SV_SZ_EES10_S11_S12_S13_S17_S18_S19_S1C_S1D_jS1E_jS1F_S1F_jjS1H_bEUljE0_EEES10_S11_S12_S19_S1D_S1F_T6_T7_T9_mT8_S1H_bDpT10_ENKUlT_T0_E_clISt17integral_constantIbLb1EES1U_IbLb0EEEEDaS1Q_S1R_EUlS1Q_E_NS1_11comp_targetILNS1_3genE4ELNS1_11target_archE910ELNS1_3gpuE8ELNS1_3repE0EEENS1_30default_config_static_selectorELNS0_4arch9wavefront6targetE0EEEvS13_,"axG",@progbits,_ZN7rocprim17ROCPRIM_400000_NS6detail17trampoline_kernelINS0_13select_configILj256ELj13ELNS0_17block_load_methodE3ELS4_3ELS4_3ELNS0_20block_scan_algorithmE0ELj4294967295EEENS1_25partition_config_selectorILNS1_17partition_subalgoE4EjNS0_10empty_typeEbEEZZNS1_14partition_implILS8_4ELb0ES6_15HIP_vector_typeIjLj2EENS0_17counting_iteratorIjlEEPS9_SG_NS0_5tupleIJPjSI_NS0_16reverse_iteratorISI_EEEEENSH_IJSG_SG_SG_EEES9_SI_JZNS1_25segmented_radix_sort_implINS0_14default_configELb1EPK6__halfPSP_PKlPlN2at6native12_GLOBAL__N_18offset_tEEE10hipError_tPvRmT1_PNSt15iterator_traitsIS13_E10value_typeET2_T3_PNS14_IS19_E10value_typeET4_jRbjT5_S1F_jjP12ihipStream_tbEUljE_ZNSN_ISO_Lb1ESR_SS_SU_SV_SZ_EES10_S11_S12_S13_S17_S18_S19_S1C_S1D_jS1E_jS1F_S1F_jjS1H_bEUljE0_EEES10_S11_S12_S19_S1D_S1F_T6_T7_T9_mT8_S1H_bDpT10_ENKUlT_T0_E_clISt17integral_constantIbLb1EES1U_IbLb0EEEEDaS1Q_S1R_EUlS1Q_E_NS1_11comp_targetILNS1_3genE4ELNS1_11target_archE910ELNS1_3gpuE8ELNS1_3repE0EEENS1_30default_config_static_selectorELNS0_4arch9wavefront6targetE0EEEvS13_,comdat
	.globl	_ZN7rocprim17ROCPRIM_400000_NS6detail17trampoline_kernelINS0_13select_configILj256ELj13ELNS0_17block_load_methodE3ELS4_3ELS4_3ELNS0_20block_scan_algorithmE0ELj4294967295EEENS1_25partition_config_selectorILNS1_17partition_subalgoE4EjNS0_10empty_typeEbEEZZNS1_14partition_implILS8_4ELb0ES6_15HIP_vector_typeIjLj2EENS0_17counting_iteratorIjlEEPS9_SG_NS0_5tupleIJPjSI_NS0_16reverse_iteratorISI_EEEEENSH_IJSG_SG_SG_EEES9_SI_JZNS1_25segmented_radix_sort_implINS0_14default_configELb1EPK6__halfPSP_PKlPlN2at6native12_GLOBAL__N_18offset_tEEE10hipError_tPvRmT1_PNSt15iterator_traitsIS13_E10value_typeET2_T3_PNS14_IS19_E10value_typeET4_jRbjT5_S1F_jjP12ihipStream_tbEUljE_ZNSN_ISO_Lb1ESR_SS_SU_SV_SZ_EES10_S11_S12_S13_S17_S18_S19_S1C_S1D_jS1E_jS1F_S1F_jjS1H_bEUljE0_EEES10_S11_S12_S19_S1D_S1F_T6_T7_T9_mT8_S1H_bDpT10_ENKUlT_T0_E_clISt17integral_constantIbLb1EES1U_IbLb0EEEEDaS1Q_S1R_EUlS1Q_E_NS1_11comp_targetILNS1_3genE4ELNS1_11target_archE910ELNS1_3gpuE8ELNS1_3repE0EEENS1_30default_config_static_selectorELNS0_4arch9wavefront6targetE0EEEvS13_ ; -- Begin function _ZN7rocprim17ROCPRIM_400000_NS6detail17trampoline_kernelINS0_13select_configILj256ELj13ELNS0_17block_load_methodE3ELS4_3ELS4_3ELNS0_20block_scan_algorithmE0ELj4294967295EEENS1_25partition_config_selectorILNS1_17partition_subalgoE4EjNS0_10empty_typeEbEEZZNS1_14partition_implILS8_4ELb0ES6_15HIP_vector_typeIjLj2EENS0_17counting_iteratorIjlEEPS9_SG_NS0_5tupleIJPjSI_NS0_16reverse_iteratorISI_EEEEENSH_IJSG_SG_SG_EEES9_SI_JZNS1_25segmented_radix_sort_implINS0_14default_configELb1EPK6__halfPSP_PKlPlN2at6native12_GLOBAL__N_18offset_tEEE10hipError_tPvRmT1_PNSt15iterator_traitsIS13_E10value_typeET2_T3_PNS14_IS19_E10value_typeET4_jRbjT5_S1F_jjP12ihipStream_tbEUljE_ZNSN_ISO_Lb1ESR_SS_SU_SV_SZ_EES10_S11_S12_S13_S17_S18_S19_S1C_S1D_jS1E_jS1F_S1F_jjS1H_bEUljE0_EEES10_S11_S12_S19_S1D_S1F_T6_T7_T9_mT8_S1H_bDpT10_ENKUlT_T0_E_clISt17integral_constantIbLb1EES1U_IbLb0EEEEDaS1Q_S1R_EUlS1Q_E_NS1_11comp_targetILNS1_3genE4ELNS1_11target_archE910ELNS1_3gpuE8ELNS1_3repE0EEENS1_30default_config_static_selectorELNS0_4arch9wavefront6targetE0EEEvS13_
	.p2align	8
	.type	_ZN7rocprim17ROCPRIM_400000_NS6detail17trampoline_kernelINS0_13select_configILj256ELj13ELNS0_17block_load_methodE3ELS4_3ELS4_3ELNS0_20block_scan_algorithmE0ELj4294967295EEENS1_25partition_config_selectorILNS1_17partition_subalgoE4EjNS0_10empty_typeEbEEZZNS1_14partition_implILS8_4ELb0ES6_15HIP_vector_typeIjLj2EENS0_17counting_iteratorIjlEEPS9_SG_NS0_5tupleIJPjSI_NS0_16reverse_iteratorISI_EEEEENSH_IJSG_SG_SG_EEES9_SI_JZNS1_25segmented_radix_sort_implINS0_14default_configELb1EPK6__halfPSP_PKlPlN2at6native12_GLOBAL__N_18offset_tEEE10hipError_tPvRmT1_PNSt15iterator_traitsIS13_E10value_typeET2_T3_PNS14_IS19_E10value_typeET4_jRbjT5_S1F_jjP12ihipStream_tbEUljE_ZNSN_ISO_Lb1ESR_SS_SU_SV_SZ_EES10_S11_S12_S13_S17_S18_S19_S1C_S1D_jS1E_jS1F_S1F_jjS1H_bEUljE0_EEES10_S11_S12_S19_S1D_S1F_T6_T7_T9_mT8_S1H_bDpT10_ENKUlT_T0_E_clISt17integral_constantIbLb1EES1U_IbLb0EEEEDaS1Q_S1R_EUlS1Q_E_NS1_11comp_targetILNS1_3genE4ELNS1_11target_archE910ELNS1_3gpuE8ELNS1_3repE0EEENS1_30default_config_static_selectorELNS0_4arch9wavefront6targetE0EEEvS13_,@function
_ZN7rocprim17ROCPRIM_400000_NS6detail17trampoline_kernelINS0_13select_configILj256ELj13ELNS0_17block_load_methodE3ELS4_3ELS4_3ELNS0_20block_scan_algorithmE0ELj4294967295EEENS1_25partition_config_selectorILNS1_17partition_subalgoE4EjNS0_10empty_typeEbEEZZNS1_14partition_implILS8_4ELb0ES6_15HIP_vector_typeIjLj2EENS0_17counting_iteratorIjlEEPS9_SG_NS0_5tupleIJPjSI_NS0_16reverse_iteratorISI_EEEEENSH_IJSG_SG_SG_EEES9_SI_JZNS1_25segmented_radix_sort_implINS0_14default_configELb1EPK6__halfPSP_PKlPlN2at6native12_GLOBAL__N_18offset_tEEE10hipError_tPvRmT1_PNSt15iterator_traitsIS13_E10value_typeET2_T3_PNS14_IS19_E10value_typeET4_jRbjT5_S1F_jjP12ihipStream_tbEUljE_ZNSN_ISO_Lb1ESR_SS_SU_SV_SZ_EES10_S11_S12_S13_S17_S18_S19_S1C_S1D_jS1E_jS1F_S1F_jjS1H_bEUljE0_EEES10_S11_S12_S19_S1D_S1F_T6_T7_T9_mT8_S1H_bDpT10_ENKUlT_T0_E_clISt17integral_constantIbLb1EES1U_IbLb0EEEEDaS1Q_S1R_EUlS1Q_E_NS1_11comp_targetILNS1_3genE4ELNS1_11target_archE910ELNS1_3gpuE8ELNS1_3repE0EEENS1_30default_config_static_selectorELNS0_4arch9wavefront6targetE0EEEvS13_: ; @_ZN7rocprim17ROCPRIM_400000_NS6detail17trampoline_kernelINS0_13select_configILj256ELj13ELNS0_17block_load_methodE3ELS4_3ELS4_3ELNS0_20block_scan_algorithmE0ELj4294967295EEENS1_25partition_config_selectorILNS1_17partition_subalgoE4EjNS0_10empty_typeEbEEZZNS1_14partition_implILS8_4ELb0ES6_15HIP_vector_typeIjLj2EENS0_17counting_iteratorIjlEEPS9_SG_NS0_5tupleIJPjSI_NS0_16reverse_iteratorISI_EEEEENSH_IJSG_SG_SG_EEES9_SI_JZNS1_25segmented_radix_sort_implINS0_14default_configELb1EPK6__halfPSP_PKlPlN2at6native12_GLOBAL__N_18offset_tEEE10hipError_tPvRmT1_PNSt15iterator_traitsIS13_E10value_typeET2_T3_PNS14_IS19_E10value_typeET4_jRbjT5_S1F_jjP12ihipStream_tbEUljE_ZNSN_ISO_Lb1ESR_SS_SU_SV_SZ_EES10_S11_S12_S13_S17_S18_S19_S1C_S1D_jS1E_jS1F_S1F_jjS1H_bEUljE0_EEES10_S11_S12_S19_S1D_S1F_T6_T7_T9_mT8_S1H_bDpT10_ENKUlT_T0_E_clISt17integral_constantIbLb1EES1U_IbLb0EEEEDaS1Q_S1R_EUlS1Q_E_NS1_11comp_targetILNS1_3genE4ELNS1_11target_archE910ELNS1_3gpuE8ELNS1_3repE0EEENS1_30default_config_static_selectorELNS0_4arch9wavefront6targetE0EEEvS13_
; %bb.0:
	.section	.rodata,"a",@progbits
	.p2align	6, 0x0
	.amdhsa_kernel _ZN7rocprim17ROCPRIM_400000_NS6detail17trampoline_kernelINS0_13select_configILj256ELj13ELNS0_17block_load_methodE3ELS4_3ELS4_3ELNS0_20block_scan_algorithmE0ELj4294967295EEENS1_25partition_config_selectorILNS1_17partition_subalgoE4EjNS0_10empty_typeEbEEZZNS1_14partition_implILS8_4ELb0ES6_15HIP_vector_typeIjLj2EENS0_17counting_iteratorIjlEEPS9_SG_NS0_5tupleIJPjSI_NS0_16reverse_iteratorISI_EEEEENSH_IJSG_SG_SG_EEES9_SI_JZNS1_25segmented_radix_sort_implINS0_14default_configELb1EPK6__halfPSP_PKlPlN2at6native12_GLOBAL__N_18offset_tEEE10hipError_tPvRmT1_PNSt15iterator_traitsIS13_E10value_typeET2_T3_PNS14_IS19_E10value_typeET4_jRbjT5_S1F_jjP12ihipStream_tbEUljE_ZNSN_ISO_Lb1ESR_SS_SU_SV_SZ_EES10_S11_S12_S13_S17_S18_S19_S1C_S1D_jS1E_jS1F_S1F_jjS1H_bEUljE0_EEES10_S11_S12_S19_S1D_S1F_T6_T7_T9_mT8_S1H_bDpT10_ENKUlT_T0_E_clISt17integral_constantIbLb1EES1U_IbLb0EEEEDaS1Q_S1R_EUlS1Q_E_NS1_11comp_targetILNS1_3genE4ELNS1_11target_archE910ELNS1_3gpuE8ELNS1_3repE0EEENS1_30default_config_static_selectorELNS0_4arch9wavefront6targetE0EEEvS13_
		.amdhsa_group_segment_fixed_size 0
		.amdhsa_private_segment_fixed_size 0
		.amdhsa_kernarg_size 176
		.amdhsa_user_sgpr_count 6
		.amdhsa_user_sgpr_private_segment_buffer 1
		.amdhsa_user_sgpr_dispatch_ptr 0
		.amdhsa_user_sgpr_queue_ptr 0
		.amdhsa_user_sgpr_kernarg_segment_ptr 1
		.amdhsa_user_sgpr_dispatch_id 0
		.amdhsa_user_sgpr_flat_scratch_init 0
		.amdhsa_user_sgpr_private_segment_size 0
		.amdhsa_wavefront_size32 1
		.amdhsa_uses_dynamic_stack 0
		.amdhsa_system_sgpr_private_segment_wavefront_offset 0
		.amdhsa_system_sgpr_workgroup_id_x 1
		.amdhsa_system_sgpr_workgroup_id_y 0
		.amdhsa_system_sgpr_workgroup_id_z 0
		.amdhsa_system_sgpr_workgroup_info 0
		.amdhsa_system_vgpr_workitem_id 0
		.amdhsa_next_free_vgpr 1
		.amdhsa_next_free_sgpr 1
		.amdhsa_reserve_vcc 0
		.amdhsa_reserve_flat_scratch 0
		.amdhsa_float_round_mode_32 0
		.amdhsa_float_round_mode_16_64 0
		.amdhsa_float_denorm_mode_32 3
		.amdhsa_float_denorm_mode_16_64 3
		.amdhsa_dx10_clamp 1
		.amdhsa_ieee_mode 1
		.amdhsa_fp16_overflow 0
		.amdhsa_workgroup_processor_mode 1
		.amdhsa_memory_ordered 1
		.amdhsa_forward_progress 1
		.amdhsa_shared_vgpr_count 0
		.amdhsa_exception_fp_ieee_invalid_op 0
		.amdhsa_exception_fp_denorm_src 0
		.amdhsa_exception_fp_ieee_div_zero 0
		.amdhsa_exception_fp_ieee_overflow 0
		.amdhsa_exception_fp_ieee_underflow 0
		.amdhsa_exception_fp_ieee_inexact 0
		.amdhsa_exception_int_div_zero 0
	.end_amdhsa_kernel
	.section	.text._ZN7rocprim17ROCPRIM_400000_NS6detail17trampoline_kernelINS0_13select_configILj256ELj13ELNS0_17block_load_methodE3ELS4_3ELS4_3ELNS0_20block_scan_algorithmE0ELj4294967295EEENS1_25partition_config_selectorILNS1_17partition_subalgoE4EjNS0_10empty_typeEbEEZZNS1_14partition_implILS8_4ELb0ES6_15HIP_vector_typeIjLj2EENS0_17counting_iteratorIjlEEPS9_SG_NS0_5tupleIJPjSI_NS0_16reverse_iteratorISI_EEEEENSH_IJSG_SG_SG_EEES9_SI_JZNS1_25segmented_radix_sort_implINS0_14default_configELb1EPK6__halfPSP_PKlPlN2at6native12_GLOBAL__N_18offset_tEEE10hipError_tPvRmT1_PNSt15iterator_traitsIS13_E10value_typeET2_T3_PNS14_IS19_E10value_typeET4_jRbjT5_S1F_jjP12ihipStream_tbEUljE_ZNSN_ISO_Lb1ESR_SS_SU_SV_SZ_EES10_S11_S12_S13_S17_S18_S19_S1C_S1D_jS1E_jS1F_S1F_jjS1H_bEUljE0_EEES10_S11_S12_S19_S1D_S1F_T6_T7_T9_mT8_S1H_bDpT10_ENKUlT_T0_E_clISt17integral_constantIbLb1EES1U_IbLb0EEEEDaS1Q_S1R_EUlS1Q_E_NS1_11comp_targetILNS1_3genE4ELNS1_11target_archE910ELNS1_3gpuE8ELNS1_3repE0EEENS1_30default_config_static_selectorELNS0_4arch9wavefront6targetE0EEEvS13_,"axG",@progbits,_ZN7rocprim17ROCPRIM_400000_NS6detail17trampoline_kernelINS0_13select_configILj256ELj13ELNS0_17block_load_methodE3ELS4_3ELS4_3ELNS0_20block_scan_algorithmE0ELj4294967295EEENS1_25partition_config_selectorILNS1_17partition_subalgoE4EjNS0_10empty_typeEbEEZZNS1_14partition_implILS8_4ELb0ES6_15HIP_vector_typeIjLj2EENS0_17counting_iteratorIjlEEPS9_SG_NS0_5tupleIJPjSI_NS0_16reverse_iteratorISI_EEEEENSH_IJSG_SG_SG_EEES9_SI_JZNS1_25segmented_radix_sort_implINS0_14default_configELb1EPK6__halfPSP_PKlPlN2at6native12_GLOBAL__N_18offset_tEEE10hipError_tPvRmT1_PNSt15iterator_traitsIS13_E10value_typeET2_T3_PNS14_IS19_E10value_typeET4_jRbjT5_S1F_jjP12ihipStream_tbEUljE_ZNSN_ISO_Lb1ESR_SS_SU_SV_SZ_EES10_S11_S12_S13_S17_S18_S19_S1C_S1D_jS1E_jS1F_S1F_jjS1H_bEUljE0_EEES10_S11_S12_S19_S1D_S1F_T6_T7_T9_mT8_S1H_bDpT10_ENKUlT_T0_E_clISt17integral_constantIbLb1EES1U_IbLb0EEEEDaS1Q_S1R_EUlS1Q_E_NS1_11comp_targetILNS1_3genE4ELNS1_11target_archE910ELNS1_3gpuE8ELNS1_3repE0EEENS1_30default_config_static_selectorELNS0_4arch9wavefront6targetE0EEEvS13_,comdat
.Lfunc_end1683:
	.size	_ZN7rocprim17ROCPRIM_400000_NS6detail17trampoline_kernelINS0_13select_configILj256ELj13ELNS0_17block_load_methodE3ELS4_3ELS4_3ELNS0_20block_scan_algorithmE0ELj4294967295EEENS1_25partition_config_selectorILNS1_17partition_subalgoE4EjNS0_10empty_typeEbEEZZNS1_14partition_implILS8_4ELb0ES6_15HIP_vector_typeIjLj2EENS0_17counting_iteratorIjlEEPS9_SG_NS0_5tupleIJPjSI_NS0_16reverse_iteratorISI_EEEEENSH_IJSG_SG_SG_EEES9_SI_JZNS1_25segmented_radix_sort_implINS0_14default_configELb1EPK6__halfPSP_PKlPlN2at6native12_GLOBAL__N_18offset_tEEE10hipError_tPvRmT1_PNSt15iterator_traitsIS13_E10value_typeET2_T3_PNS14_IS19_E10value_typeET4_jRbjT5_S1F_jjP12ihipStream_tbEUljE_ZNSN_ISO_Lb1ESR_SS_SU_SV_SZ_EES10_S11_S12_S13_S17_S18_S19_S1C_S1D_jS1E_jS1F_S1F_jjS1H_bEUljE0_EEES10_S11_S12_S19_S1D_S1F_T6_T7_T9_mT8_S1H_bDpT10_ENKUlT_T0_E_clISt17integral_constantIbLb1EES1U_IbLb0EEEEDaS1Q_S1R_EUlS1Q_E_NS1_11comp_targetILNS1_3genE4ELNS1_11target_archE910ELNS1_3gpuE8ELNS1_3repE0EEENS1_30default_config_static_selectorELNS0_4arch9wavefront6targetE0EEEvS13_, .Lfunc_end1683-_ZN7rocprim17ROCPRIM_400000_NS6detail17trampoline_kernelINS0_13select_configILj256ELj13ELNS0_17block_load_methodE3ELS4_3ELS4_3ELNS0_20block_scan_algorithmE0ELj4294967295EEENS1_25partition_config_selectorILNS1_17partition_subalgoE4EjNS0_10empty_typeEbEEZZNS1_14partition_implILS8_4ELb0ES6_15HIP_vector_typeIjLj2EENS0_17counting_iteratorIjlEEPS9_SG_NS0_5tupleIJPjSI_NS0_16reverse_iteratorISI_EEEEENSH_IJSG_SG_SG_EEES9_SI_JZNS1_25segmented_radix_sort_implINS0_14default_configELb1EPK6__halfPSP_PKlPlN2at6native12_GLOBAL__N_18offset_tEEE10hipError_tPvRmT1_PNSt15iterator_traitsIS13_E10value_typeET2_T3_PNS14_IS19_E10value_typeET4_jRbjT5_S1F_jjP12ihipStream_tbEUljE_ZNSN_ISO_Lb1ESR_SS_SU_SV_SZ_EES10_S11_S12_S13_S17_S18_S19_S1C_S1D_jS1E_jS1F_S1F_jjS1H_bEUljE0_EEES10_S11_S12_S19_S1D_S1F_T6_T7_T9_mT8_S1H_bDpT10_ENKUlT_T0_E_clISt17integral_constantIbLb1EES1U_IbLb0EEEEDaS1Q_S1R_EUlS1Q_E_NS1_11comp_targetILNS1_3genE4ELNS1_11target_archE910ELNS1_3gpuE8ELNS1_3repE0EEENS1_30default_config_static_selectorELNS0_4arch9wavefront6targetE0EEEvS13_
                                        ; -- End function
	.set _ZN7rocprim17ROCPRIM_400000_NS6detail17trampoline_kernelINS0_13select_configILj256ELj13ELNS0_17block_load_methodE3ELS4_3ELS4_3ELNS0_20block_scan_algorithmE0ELj4294967295EEENS1_25partition_config_selectorILNS1_17partition_subalgoE4EjNS0_10empty_typeEbEEZZNS1_14partition_implILS8_4ELb0ES6_15HIP_vector_typeIjLj2EENS0_17counting_iteratorIjlEEPS9_SG_NS0_5tupleIJPjSI_NS0_16reverse_iteratorISI_EEEEENSH_IJSG_SG_SG_EEES9_SI_JZNS1_25segmented_radix_sort_implINS0_14default_configELb1EPK6__halfPSP_PKlPlN2at6native12_GLOBAL__N_18offset_tEEE10hipError_tPvRmT1_PNSt15iterator_traitsIS13_E10value_typeET2_T3_PNS14_IS19_E10value_typeET4_jRbjT5_S1F_jjP12ihipStream_tbEUljE_ZNSN_ISO_Lb1ESR_SS_SU_SV_SZ_EES10_S11_S12_S13_S17_S18_S19_S1C_S1D_jS1E_jS1F_S1F_jjS1H_bEUljE0_EEES10_S11_S12_S19_S1D_S1F_T6_T7_T9_mT8_S1H_bDpT10_ENKUlT_T0_E_clISt17integral_constantIbLb1EES1U_IbLb0EEEEDaS1Q_S1R_EUlS1Q_E_NS1_11comp_targetILNS1_3genE4ELNS1_11target_archE910ELNS1_3gpuE8ELNS1_3repE0EEENS1_30default_config_static_selectorELNS0_4arch9wavefront6targetE0EEEvS13_.num_vgpr, 0
	.set _ZN7rocprim17ROCPRIM_400000_NS6detail17trampoline_kernelINS0_13select_configILj256ELj13ELNS0_17block_load_methodE3ELS4_3ELS4_3ELNS0_20block_scan_algorithmE0ELj4294967295EEENS1_25partition_config_selectorILNS1_17partition_subalgoE4EjNS0_10empty_typeEbEEZZNS1_14partition_implILS8_4ELb0ES6_15HIP_vector_typeIjLj2EENS0_17counting_iteratorIjlEEPS9_SG_NS0_5tupleIJPjSI_NS0_16reverse_iteratorISI_EEEEENSH_IJSG_SG_SG_EEES9_SI_JZNS1_25segmented_radix_sort_implINS0_14default_configELb1EPK6__halfPSP_PKlPlN2at6native12_GLOBAL__N_18offset_tEEE10hipError_tPvRmT1_PNSt15iterator_traitsIS13_E10value_typeET2_T3_PNS14_IS19_E10value_typeET4_jRbjT5_S1F_jjP12ihipStream_tbEUljE_ZNSN_ISO_Lb1ESR_SS_SU_SV_SZ_EES10_S11_S12_S13_S17_S18_S19_S1C_S1D_jS1E_jS1F_S1F_jjS1H_bEUljE0_EEES10_S11_S12_S19_S1D_S1F_T6_T7_T9_mT8_S1H_bDpT10_ENKUlT_T0_E_clISt17integral_constantIbLb1EES1U_IbLb0EEEEDaS1Q_S1R_EUlS1Q_E_NS1_11comp_targetILNS1_3genE4ELNS1_11target_archE910ELNS1_3gpuE8ELNS1_3repE0EEENS1_30default_config_static_selectorELNS0_4arch9wavefront6targetE0EEEvS13_.num_agpr, 0
	.set _ZN7rocprim17ROCPRIM_400000_NS6detail17trampoline_kernelINS0_13select_configILj256ELj13ELNS0_17block_load_methodE3ELS4_3ELS4_3ELNS0_20block_scan_algorithmE0ELj4294967295EEENS1_25partition_config_selectorILNS1_17partition_subalgoE4EjNS0_10empty_typeEbEEZZNS1_14partition_implILS8_4ELb0ES6_15HIP_vector_typeIjLj2EENS0_17counting_iteratorIjlEEPS9_SG_NS0_5tupleIJPjSI_NS0_16reverse_iteratorISI_EEEEENSH_IJSG_SG_SG_EEES9_SI_JZNS1_25segmented_radix_sort_implINS0_14default_configELb1EPK6__halfPSP_PKlPlN2at6native12_GLOBAL__N_18offset_tEEE10hipError_tPvRmT1_PNSt15iterator_traitsIS13_E10value_typeET2_T3_PNS14_IS19_E10value_typeET4_jRbjT5_S1F_jjP12ihipStream_tbEUljE_ZNSN_ISO_Lb1ESR_SS_SU_SV_SZ_EES10_S11_S12_S13_S17_S18_S19_S1C_S1D_jS1E_jS1F_S1F_jjS1H_bEUljE0_EEES10_S11_S12_S19_S1D_S1F_T6_T7_T9_mT8_S1H_bDpT10_ENKUlT_T0_E_clISt17integral_constantIbLb1EES1U_IbLb0EEEEDaS1Q_S1R_EUlS1Q_E_NS1_11comp_targetILNS1_3genE4ELNS1_11target_archE910ELNS1_3gpuE8ELNS1_3repE0EEENS1_30default_config_static_selectorELNS0_4arch9wavefront6targetE0EEEvS13_.numbered_sgpr, 0
	.set _ZN7rocprim17ROCPRIM_400000_NS6detail17trampoline_kernelINS0_13select_configILj256ELj13ELNS0_17block_load_methodE3ELS4_3ELS4_3ELNS0_20block_scan_algorithmE0ELj4294967295EEENS1_25partition_config_selectorILNS1_17partition_subalgoE4EjNS0_10empty_typeEbEEZZNS1_14partition_implILS8_4ELb0ES6_15HIP_vector_typeIjLj2EENS0_17counting_iteratorIjlEEPS9_SG_NS0_5tupleIJPjSI_NS0_16reverse_iteratorISI_EEEEENSH_IJSG_SG_SG_EEES9_SI_JZNS1_25segmented_radix_sort_implINS0_14default_configELb1EPK6__halfPSP_PKlPlN2at6native12_GLOBAL__N_18offset_tEEE10hipError_tPvRmT1_PNSt15iterator_traitsIS13_E10value_typeET2_T3_PNS14_IS19_E10value_typeET4_jRbjT5_S1F_jjP12ihipStream_tbEUljE_ZNSN_ISO_Lb1ESR_SS_SU_SV_SZ_EES10_S11_S12_S13_S17_S18_S19_S1C_S1D_jS1E_jS1F_S1F_jjS1H_bEUljE0_EEES10_S11_S12_S19_S1D_S1F_T6_T7_T9_mT8_S1H_bDpT10_ENKUlT_T0_E_clISt17integral_constantIbLb1EES1U_IbLb0EEEEDaS1Q_S1R_EUlS1Q_E_NS1_11comp_targetILNS1_3genE4ELNS1_11target_archE910ELNS1_3gpuE8ELNS1_3repE0EEENS1_30default_config_static_selectorELNS0_4arch9wavefront6targetE0EEEvS13_.num_named_barrier, 0
	.set _ZN7rocprim17ROCPRIM_400000_NS6detail17trampoline_kernelINS0_13select_configILj256ELj13ELNS0_17block_load_methodE3ELS4_3ELS4_3ELNS0_20block_scan_algorithmE0ELj4294967295EEENS1_25partition_config_selectorILNS1_17partition_subalgoE4EjNS0_10empty_typeEbEEZZNS1_14partition_implILS8_4ELb0ES6_15HIP_vector_typeIjLj2EENS0_17counting_iteratorIjlEEPS9_SG_NS0_5tupleIJPjSI_NS0_16reverse_iteratorISI_EEEEENSH_IJSG_SG_SG_EEES9_SI_JZNS1_25segmented_radix_sort_implINS0_14default_configELb1EPK6__halfPSP_PKlPlN2at6native12_GLOBAL__N_18offset_tEEE10hipError_tPvRmT1_PNSt15iterator_traitsIS13_E10value_typeET2_T3_PNS14_IS19_E10value_typeET4_jRbjT5_S1F_jjP12ihipStream_tbEUljE_ZNSN_ISO_Lb1ESR_SS_SU_SV_SZ_EES10_S11_S12_S13_S17_S18_S19_S1C_S1D_jS1E_jS1F_S1F_jjS1H_bEUljE0_EEES10_S11_S12_S19_S1D_S1F_T6_T7_T9_mT8_S1H_bDpT10_ENKUlT_T0_E_clISt17integral_constantIbLb1EES1U_IbLb0EEEEDaS1Q_S1R_EUlS1Q_E_NS1_11comp_targetILNS1_3genE4ELNS1_11target_archE910ELNS1_3gpuE8ELNS1_3repE0EEENS1_30default_config_static_selectorELNS0_4arch9wavefront6targetE0EEEvS13_.private_seg_size, 0
	.set _ZN7rocprim17ROCPRIM_400000_NS6detail17trampoline_kernelINS0_13select_configILj256ELj13ELNS0_17block_load_methodE3ELS4_3ELS4_3ELNS0_20block_scan_algorithmE0ELj4294967295EEENS1_25partition_config_selectorILNS1_17partition_subalgoE4EjNS0_10empty_typeEbEEZZNS1_14partition_implILS8_4ELb0ES6_15HIP_vector_typeIjLj2EENS0_17counting_iteratorIjlEEPS9_SG_NS0_5tupleIJPjSI_NS0_16reverse_iteratorISI_EEEEENSH_IJSG_SG_SG_EEES9_SI_JZNS1_25segmented_radix_sort_implINS0_14default_configELb1EPK6__halfPSP_PKlPlN2at6native12_GLOBAL__N_18offset_tEEE10hipError_tPvRmT1_PNSt15iterator_traitsIS13_E10value_typeET2_T3_PNS14_IS19_E10value_typeET4_jRbjT5_S1F_jjP12ihipStream_tbEUljE_ZNSN_ISO_Lb1ESR_SS_SU_SV_SZ_EES10_S11_S12_S13_S17_S18_S19_S1C_S1D_jS1E_jS1F_S1F_jjS1H_bEUljE0_EEES10_S11_S12_S19_S1D_S1F_T6_T7_T9_mT8_S1H_bDpT10_ENKUlT_T0_E_clISt17integral_constantIbLb1EES1U_IbLb0EEEEDaS1Q_S1R_EUlS1Q_E_NS1_11comp_targetILNS1_3genE4ELNS1_11target_archE910ELNS1_3gpuE8ELNS1_3repE0EEENS1_30default_config_static_selectorELNS0_4arch9wavefront6targetE0EEEvS13_.uses_vcc, 0
	.set _ZN7rocprim17ROCPRIM_400000_NS6detail17trampoline_kernelINS0_13select_configILj256ELj13ELNS0_17block_load_methodE3ELS4_3ELS4_3ELNS0_20block_scan_algorithmE0ELj4294967295EEENS1_25partition_config_selectorILNS1_17partition_subalgoE4EjNS0_10empty_typeEbEEZZNS1_14partition_implILS8_4ELb0ES6_15HIP_vector_typeIjLj2EENS0_17counting_iteratorIjlEEPS9_SG_NS0_5tupleIJPjSI_NS0_16reverse_iteratorISI_EEEEENSH_IJSG_SG_SG_EEES9_SI_JZNS1_25segmented_radix_sort_implINS0_14default_configELb1EPK6__halfPSP_PKlPlN2at6native12_GLOBAL__N_18offset_tEEE10hipError_tPvRmT1_PNSt15iterator_traitsIS13_E10value_typeET2_T3_PNS14_IS19_E10value_typeET4_jRbjT5_S1F_jjP12ihipStream_tbEUljE_ZNSN_ISO_Lb1ESR_SS_SU_SV_SZ_EES10_S11_S12_S13_S17_S18_S19_S1C_S1D_jS1E_jS1F_S1F_jjS1H_bEUljE0_EEES10_S11_S12_S19_S1D_S1F_T6_T7_T9_mT8_S1H_bDpT10_ENKUlT_T0_E_clISt17integral_constantIbLb1EES1U_IbLb0EEEEDaS1Q_S1R_EUlS1Q_E_NS1_11comp_targetILNS1_3genE4ELNS1_11target_archE910ELNS1_3gpuE8ELNS1_3repE0EEENS1_30default_config_static_selectorELNS0_4arch9wavefront6targetE0EEEvS13_.uses_flat_scratch, 0
	.set _ZN7rocprim17ROCPRIM_400000_NS6detail17trampoline_kernelINS0_13select_configILj256ELj13ELNS0_17block_load_methodE3ELS4_3ELS4_3ELNS0_20block_scan_algorithmE0ELj4294967295EEENS1_25partition_config_selectorILNS1_17partition_subalgoE4EjNS0_10empty_typeEbEEZZNS1_14partition_implILS8_4ELb0ES6_15HIP_vector_typeIjLj2EENS0_17counting_iteratorIjlEEPS9_SG_NS0_5tupleIJPjSI_NS0_16reverse_iteratorISI_EEEEENSH_IJSG_SG_SG_EEES9_SI_JZNS1_25segmented_radix_sort_implINS0_14default_configELb1EPK6__halfPSP_PKlPlN2at6native12_GLOBAL__N_18offset_tEEE10hipError_tPvRmT1_PNSt15iterator_traitsIS13_E10value_typeET2_T3_PNS14_IS19_E10value_typeET4_jRbjT5_S1F_jjP12ihipStream_tbEUljE_ZNSN_ISO_Lb1ESR_SS_SU_SV_SZ_EES10_S11_S12_S13_S17_S18_S19_S1C_S1D_jS1E_jS1F_S1F_jjS1H_bEUljE0_EEES10_S11_S12_S19_S1D_S1F_T6_T7_T9_mT8_S1H_bDpT10_ENKUlT_T0_E_clISt17integral_constantIbLb1EES1U_IbLb0EEEEDaS1Q_S1R_EUlS1Q_E_NS1_11comp_targetILNS1_3genE4ELNS1_11target_archE910ELNS1_3gpuE8ELNS1_3repE0EEENS1_30default_config_static_selectorELNS0_4arch9wavefront6targetE0EEEvS13_.has_dyn_sized_stack, 0
	.set _ZN7rocprim17ROCPRIM_400000_NS6detail17trampoline_kernelINS0_13select_configILj256ELj13ELNS0_17block_load_methodE3ELS4_3ELS4_3ELNS0_20block_scan_algorithmE0ELj4294967295EEENS1_25partition_config_selectorILNS1_17partition_subalgoE4EjNS0_10empty_typeEbEEZZNS1_14partition_implILS8_4ELb0ES6_15HIP_vector_typeIjLj2EENS0_17counting_iteratorIjlEEPS9_SG_NS0_5tupleIJPjSI_NS0_16reverse_iteratorISI_EEEEENSH_IJSG_SG_SG_EEES9_SI_JZNS1_25segmented_radix_sort_implINS0_14default_configELb1EPK6__halfPSP_PKlPlN2at6native12_GLOBAL__N_18offset_tEEE10hipError_tPvRmT1_PNSt15iterator_traitsIS13_E10value_typeET2_T3_PNS14_IS19_E10value_typeET4_jRbjT5_S1F_jjP12ihipStream_tbEUljE_ZNSN_ISO_Lb1ESR_SS_SU_SV_SZ_EES10_S11_S12_S13_S17_S18_S19_S1C_S1D_jS1E_jS1F_S1F_jjS1H_bEUljE0_EEES10_S11_S12_S19_S1D_S1F_T6_T7_T9_mT8_S1H_bDpT10_ENKUlT_T0_E_clISt17integral_constantIbLb1EES1U_IbLb0EEEEDaS1Q_S1R_EUlS1Q_E_NS1_11comp_targetILNS1_3genE4ELNS1_11target_archE910ELNS1_3gpuE8ELNS1_3repE0EEENS1_30default_config_static_selectorELNS0_4arch9wavefront6targetE0EEEvS13_.has_recursion, 0
	.set _ZN7rocprim17ROCPRIM_400000_NS6detail17trampoline_kernelINS0_13select_configILj256ELj13ELNS0_17block_load_methodE3ELS4_3ELS4_3ELNS0_20block_scan_algorithmE0ELj4294967295EEENS1_25partition_config_selectorILNS1_17partition_subalgoE4EjNS0_10empty_typeEbEEZZNS1_14partition_implILS8_4ELb0ES6_15HIP_vector_typeIjLj2EENS0_17counting_iteratorIjlEEPS9_SG_NS0_5tupleIJPjSI_NS0_16reverse_iteratorISI_EEEEENSH_IJSG_SG_SG_EEES9_SI_JZNS1_25segmented_radix_sort_implINS0_14default_configELb1EPK6__halfPSP_PKlPlN2at6native12_GLOBAL__N_18offset_tEEE10hipError_tPvRmT1_PNSt15iterator_traitsIS13_E10value_typeET2_T3_PNS14_IS19_E10value_typeET4_jRbjT5_S1F_jjP12ihipStream_tbEUljE_ZNSN_ISO_Lb1ESR_SS_SU_SV_SZ_EES10_S11_S12_S13_S17_S18_S19_S1C_S1D_jS1E_jS1F_S1F_jjS1H_bEUljE0_EEES10_S11_S12_S19_S1D_S1F_T6_T7_T9_mT8_S1H_bDpT10_ENKUlT_T0_E_clISt17integral_constantIbLb1EES1U_IbLb0EEEEDaS1Q_S1R_EUlS1Q_E_NS1_11comp_targetILNS1_3genE4ELNS1_11target_archE910ELNS1_3gpuE8ELNS1_3repE0EEENS1_30default_config_static_selectorELNS0_4arch9wavefront6targetE0EEEvS13_.has_indirect_call, 0
	.section	.AMDGPU.csdata,"",@progbits
; Kernel info:
; codeLenInByte = 0
; TotalNumSgprs: 0
; NumVgprs: 0
; ScratchSize: 0
; MemoryBound: 0
; FloatMode: 240
; IeeeMode: 1
; LDSByteSize: 0 bytes/workgroup (compile time only)
; SGPRBlocks: 0
; VGPRBlocks: 0
; NumSGPRsForWavesPerEU: 1
; NumVGPRsForWavesPerEU: 1
; Occupancy: 16
; WaveLimiterHint : 0
; COMPUTE_PGM_RSRC2:SCRATCH_EN: 0
; COMPUTE_PGM_RSRC2:USER_SGPR: 6
; COMPUTE_PGM_RSRC2:TRAP_HANDLER: 0
; COMPUTE_PGM_RSRC2:TGID_X_EN: 1
; COMPUTE_PGM_RSRC2:TGID_Y_EN: 0
; COMPUTE_PGM_RSRC2:TGID_Z_EN: 0
; COMPUTE_PGM_RSRC2:TIDIG_COMP_CNT: 0
	.section	.text._ZN7rocprim17ROCPRIM_400000_NS6detail17trampoline_kernelINS0_13select_configILj256ELj13ELNS0_17block_load_methodE3ELS4_3ELS4_3ELNS0_20block_scan_algorithmE0ELj4294967295EEENS1_25partition_config_selectorILNS1_17partition_subalgoE4EjNS0_10empty_typeEbEEZZNS1_14partition_implILS8_4ELb0ES6_15HIP_vector_typeIjLj2EENS0_17counting_iteratorIjlEEPS9_SG_NS0_5tupleIJPjSI_NS0_16reverse_iteratorISI_EEEEENSH_IJSG_SG_SG_EEES9_SI_JZNS1_25segmented_radix_sort_implINS0_14default_configELb1EPK6__halfPSP_PKlPlN2at6native12_GLOBAL__N_18offset_tEEE10hipError_tPvRmT1_PNSt15iterator_traitsIS13_E10value_typeET2_T3_PNS14_IS19_E10value_typeET4_jRbjT5_S1F_jjP12ihipStream_tbEUljE_ZNSN_ISO_Lb1ESR_SS_SU_SV_SZ_EES10_S11_S12_S13_S17_S18_S19_S1C_S1D_jS1E_jS1F_S1F_jjS1H_bEUljE0_EEES10_S11_S12_S19_S1D_S1F_T6_T7_T9_mT8_S1H_bDpT10_ENKUlT_T0_E_clISt17integral_constantIbLb1EES1U_IbLb0EEEEDaS1Q_S1R_EUlS1Q_E_NS1_11comp_targetILNS1_3genE3ELNS1_11target_archE908ELNS1_3gpuE7ELNS1_3repE0EEENS1_30default_config_static_selectorELNS0_4arch9wavefront6targetE0EEEvS13_,"axG",@progbits,_ZN7rocprim17ROCPRIM_400000_NS6detail17trampoline_kernelINS0_13select_configILj256ELj13ELNS0_17block_load_methodE3ELS4_3ELS4_3ELNS0_20block_scan_algorithmE0ELj4294967295EEENS1_25partition_config_selectorILNS1_17partition_subalgoE4EjNS0_10empty_typeEbEEZZNS1_14partition_implILS8_4ELb0ES6_15HIP_vector_typeIjLj2EENS0_17counting_iteratorIjlEEPS9_SG_NS0_5tupleIJPjSI_NS0_16reverse_iteratorISI_EEEEENSH_IJSG_SG_SG_EEES9_SI_JZNS1_25segmented_radix_sort_implINS0_14default_configELb1EPK6__halfPSP_PKlPlN2at6native12_GLOBAL__N_18offset_tEEE10hipError_tPvRmT1_PNSt15iterator_traitsIS13_E10value_typeET2_T3_PNS14_IS19_E10value_typeET4_jRbjT5_S1F_jjP12ihipStream_tbEUljE_ZNSN_ISO_Lb1ESR_SS_SU_SV_SZ_EES10_S11_S12_S13_S17_S18_S19_S1C_S1D_jS1E_jS1F_S1F_jjS1H_bEUljE0_EEES10_S11_S12_S19_S1D_S1F_T6_T7_T9_mT8_S1H_bDpT10_ENKUlT_T0_E_clISt17integral_constantIbLb1EES1U_IbLb0EEEEDaS1Q_S1R_EUlS1Q_E_NS1_11comp_targetILNS1_3genE3ELNS1_11target_archE908ELNS1_3gpuE7ELNS1_3repE0EEENS1_30default_config_static_selectorELNS0_4arch9wavefront6targetE0EEEvS13_,comdat
	.globl	_ZN7rocprim17ROCPRIM_400000_NS6detail17trampoline_kernelINS0_13select_configILj256ELj13ELNS0_17block_load_methodE3ELS4_3ELS4_3ELNS0_20block_scan_algorithmE0ELj4294967295EEENS1_25partition_config_selectorILNS1_17partition_subalgoE4EjNS0_10empty_typeEbEEZZNS1_14partition_implILS8_4ELb0ES6_15HIP_vector_typeIjLj2EENS0_17counting_iteratorIjlEEPS9_SG_NS0_5tupleIJPjSI_NS0_16reverse_iteratorISI_EEEEENSH_IJSG_SG_SG_EEES9_SI_JZNS1_25segmented_radix_sort_implINS0_14default_configELb1EPK6__halfPSP_PKlPlN2at6native12_GLOBAL__N_18offset_tEEE10hipError_tPvRmT1_PNSt15iterator_traitsIS13_E10value_typeET2_T3_PNS14_IS19_E10value_typeET4_jRbjT5_S1F_jjP12ihipStream_tbEUljE_ZNSN_ISO_Lb1ESR_SS_SU_SV_SZ_EES10_S11_S12_S13_S17_S18_S19_S1C_S1D_jS1E_jS1F_S1F_jjS1H_bEUljE0_EEES10_S11_S12_S19_S1D_S1F_T6_T7_T9_mT8_S1H_bDpT10_ENKUlT_T0_E_clISt17integral_constantIbLb1EES1U_IbLb0EEEEDaS1Q_S1R_EUlS1Q_E_NS1_11comp_targetILNS1_3genE3ELNS1_11target_archE908ELNS1_3gpuE7ELNS1_3repE0EEENS1_30default_config_static_selectorELNS0_4arch9wavefront6targetE0EEEvS13_ ; -- Begin function _ZN7rocprim17ROCPRIM_400000_NS6detail17trampoline_kernelINS0_13select_configILj256ELj13ELNS0_17block_load_methodE3ELS4_3ELS4_3ELNS0_20block_scan_algorithmE0ELj4294967295EEENS1_25partition_config_selectorILNS1_17partition_subalgoE4EjNS0_10empty_typeEbEEZZNS1_14partition_implILS8_4ELb0ES6_15HIP_vector_typeIjLj2EENS0_17counting_iteratorIjlEEPS9_SG_NS0_5tupleIJPjSI_NS0_16reverse_iteratorISI_EEEEENSH_IJSG_SG_SG_EEES9_SI_JZNS1_25segmented_radix_sort_implINS0_14default_configELb1EPK6__halfPSP_PKlPlN2at6native12_GLOBAL__N_18offset_tEEE10hipError_tPvRmT1_PNSt15iterator_traitsIS13_E10value_typeET2_T3_PNS14_IS19_E10value_typeET4_jRbjT5_S1F_jjP12ihipStream_tbEUljE_ZNSN_ISO_Lb1ESR_SS_SU_SV_SZ_EES10_S11_S12_S13_S17_S18_S19_S1C_S1D_jS1E_jS1F_S1F_jjS1H_bEUljE0_EEES10_S11_S12_S19_S1D_S1F_T6_T7_T9_mT8_S1H_bDpT10_ENKUlT_T0_E_clISt17integral_constantIbLb1EES1U_IbLb0EEEEDaS1Q_S1R_EUlS1Q_E_NS1_11comp_targetILNS1_3genE3ELNS1_11target_archE908ELNS1_3gpuE7ELNS1_3repE0EEENS1_30default_config_static_selectorELNS0_4arch9wavefront6targetE0EEEvS13_
	.p2align	8
	.type	_ZN7rocprim17ROCPRIM_400000_NS6detail17trampoline_kernelINS0_13select_configILj256ELj13ELNS0_17block_load_methodE3ELS4_3ELS4_3ELNS0_20block_scan_algorithmE0ELj4294967295EEENS1_25partition_config_selectorILNS1_17partition_subalgoE4EjNS0_10empty_typeEbEEZZNS1_14partition_implILS8_4ELb0ES6_15HIP_vector_typeIjLj2EENS0_17counting_iteratorIjlEEPS9_SG_NS0_5tupleIJPjSI_NS0_16reverse_iteratorISI_EEEEENSH_IJSG_SG_SG_EEES9_SI_JZNS1_25segmented_radix_sort_implINS0_14default_configELb1EPK6__halfPSP_PKlPlN2at6native12_GLOBAL__N_18offset_tEEE10hipError_tPvRmT1_PNSt15iterator_traitsIS13_E10value_typeET2_T3_PNS14_IS19_E10value_typeET4_jRbjT5_S1F_jjP12ihipStream_tbEUljE_ZNSN_ISO_Lb1ESR_SS_SU_SV_SZ_EES10_S11_S12_S13_S17_S18_S19_S1C_S1D_jS1E_jS1F_S1F_jjS1H_bEUljE0_EEES10_S11_S12_S19_S1D_S1F_T6_T7_T9_mT8_S1H_bDpT10_ENKUlT_T0_E_clISt17integral_constantIbLb1EES1U_IbLb0EEEEDaS1Q_S1R_EUlS1Q_E_NS1_11comp_targetILNS1_3genE3ELNS1_11target_archE908ELNS1_3gpuE7ELNS1_3repE0EEENS1_30default_config_static_selectorELNS0_4arch9wavefront6targetE0EEEvS13_,@function
_ZN7rocprim17ROCPRIM_400000_NS6detail17trampoline_kernelINS0_13select_configILj256ELj13ELNS0_17block_load_methodE3ELS4_3ELS4_3ELNS0_20block_scan_algorithmE0ELj4294967295EEENS1_25partition_config_selectorILNS1_17partition_subalgoE4EjNS0_10empty_typeEbEEZZNS1_14partition_implILS8_4ELb0ES6_15HIP_vector_typeIjLj2EENS0_17counting_iteratorIjlEEPS9_SG_NS0_5tupleIJPjSI_NS0_16reverse_iteratorISI_EEEEENSH_IJSG_SG_SG_EEES9_SI_JZNS1_25segmented_radix_sort_implINS0_14default_configELb1EPK6__halfPSP_PKlPlN2at6native12_GLOBAL__N_18offset_tEEE10hipError_tPvRmT1_PNSt15iterator_traitsIS13_E10value_typeET2_T3_PNS14_IS19_E10value_typeET4_jRbjT5_S1F_jjP12ihipStream_tbEUljE_ZNSN_ISO_Lb1ESR_SS_SU_SV_SZ_EES10_S11_S12_S13_S17_S18_S19_S1C_S1D_jS1E_jS1F_S1F_jjS1H_bEUljE0_EEES10_S11_S12_S19_S1D_S1F_T6_T7_T9_mT8_S1H_bDpT10_ENKUlT_T0_E_clISt17integral_constantIbLb1EES1U_IbLb0EEEEDaS1Q_S1R_EUlS1Q_E_NS1_11comp_targetILNS1_3genE3ELNS1_11target_archE908ELNS1_3gpuE7ELNS1_3repE0EEENS1_30default_config_static_selectorELNS0_4arch9wavefront6targetE0EEEvS13_: ; @_ZN7rocprim17ROCPRIM_400000_NS6detail17trampoline_kernelINS0_13select_configILj256ELj13ELNS0_17block_load_methodE3ELS4_3ELS4_3ELNS0_20block_scan_algorithmE0ELj4294967295EEENS1_25partition_config_selectorILNS1_17partition_subalgoE4EjNS0_10empty_typeEbEEZZNS1_14partition_implILS8_4ELb0ES6_15HIP_vector_typeIjLj2EENS0_17counting_iteratorIjlEEPS9_SG_NS0_5tupleIJPjSI_NS0_16reverse_iteratorISI_EEEEENSH_IJSG_SG_SG_EEES9_SI_JZNS1_25segmented_radix_sort_implINS0_14default_configELb1EPK6__halfPSP_PKlPlN2at6native12_GLOBAL__N_18offset_tEEE10hipError_tPvRmT1_PNSt15iterator_traitsIS13_E10value_typeET2_T3_PNS14_IS19_E10value_typeET4_jRbjT5_S1F_jjP12ihipStream_tbEUljE_ZNSN_ISO_Lb1ESR_SS_SU_SV_SZ_EES10_S11_S12_S13_S17_S18_S19_S1C_S1D_jS1E_jS1F_S1F_jjS1H_bEUljE0_EEES10_S11_S12_S19_S1D_S1F_T6_T7_T9_mT8_S1H_bDpT10_ENKUlT_T0_E_clISt17integral_constantIbLb1EES1U_IbLb0EEEEDaS1Q_S1R_EUlS1Q_E_NS1_11comp_targetILNS1_3genE3ELNS1_11target_archE908ELNS1_3gpuE7ELNS1_3repE0EEENS1_30default_config_static_selectorELNS0_4arch9wavefront6targetE0EEEvS13_
; %bb.0:
	.section	.rodata,"a",@progbits
	.p2align	6, 0x0
	.amdhsa_kernel _ZN7rocprim17ROCPRIM_400000_NS6detail17trampoline_kernelINS0_13select_configILj256ELj13ELNS0_17block_load_methodE3ELS4_3ELS4_3ELNS0_20block_scan_algorithmE0ELj4294967295EEENS1_25partition_config_selectorILNS1_17partition_subalgoE4EjNS0_10empty_typeEbEEZZNS1_14partition_implILS8_4ELb0ES6_15HIP_vector_typeIjLj2EENS0_17counting_iteratorIjlEEPS9_SG_NS0_5tupleIJPjSI_NS0_16reverse_iteratorISI_EEEEENSH_IJSG_SG_SG_EEES9_SI_JZNS1_25segmented_radix_sort_implINS0_14default_configELb1EPK6__halfPSP_PKlPlN2at6native12_GLOBAL__N_18offset_tEEE10hipError_tPvRmT1_PNSt15iterator_traitsIS13_E10value_typeET2_T3_PNS14_IS19_E10value_typeET4_jRbjT5_S1F_jjP12ihipStream_tbEUljE_ZNSN_ISO_Lb1ESR_SS_SU_SV_SZ_EES10_S11_S12_S13_S17_S18_S19_S1C_S1D_jS1E_jS1F_S1F_jjS1H_bEUljE0_EEES10_S11_S12_S19_S1D_S1F_T6_T7_T9_mT8_S1H_bDpT10_ENKUlT_T0_E_clISt17integral_constantIbLb1EES1U_IbLb0EEEEDaS1Q_S1R_EUlS1Q_E_NS1_11comp_targetILNS1_3genE3ELNS1_11target_archE908ELNS1_3gpuE7ELNS1_3repE0EEENS1_30default_config_static_selectorELNS0_4arch9wavefront6targetE0EEEvS13_
		.amdhsa_group_segment_fixed_size 0
		.amdhsa_private_segment_fixed_size 0
		.amdhsa_kernarg_size 176
		.amdhsa_user_sgpr_count 6
		.amdhsa_user_sgpr_private_segment_buffer 1
		.amdhsa_user_sgpr_dispatch_ptr 0
		.amdhsa_user_sgpr_queue_ptr 0
		.amdhsa_user_sgpr_kernarg_segment_ptr 1
		.amdhsa_user_sgpr_dispatch_id 0
		.amdhsa_user_sgpr_flat_scratch_init 0
		.amdhsa_user_sgpr_private_segment_size 0
		.amdhsa_wavefront_size32 1
		.amdhsa_uses_dynamic_stack 0
		.amdhsa_system_sgpr_private_segment_wavefront_offset 0
		.amdhsa_system_sgpr_workgroup_id_x 1
		.amdhsa_system_sgpr_workgroup_id_y 0
		.amdhsa_system_sgpr_workgroup_id_z 0
		.amdhsa_system_sgpr_workgroup_info 0
		.amdhsa_system_vgpr_workitem_id 0
		.amdhsa_next_free_vgpr 1
		.amdhsa_next_free_sgpr 1
		.amdhsa_reserve_vcc 0
		.amdhsa_reserve_flat_scratch 0
		.amdhsa_float_round_mode_32 0
		.amdhsa_float_round_mode_16_64 0
		.amdhsa_float_denorm_mode_32 3
		.amdhsa_float_denorm_mode_16_64 3
		.amdhsa_dx10_clamp 1
		.amdhsa_ieee_mode 1
		.amdhsa_fp16_overflow 0
		.amdhsa_workgroup_processor_mode 1
		.amdhsa_memory_ordered 1
		.amdhsa_forward_progress 1
		.amdhsa_shared_vgpr_count 0
		.amdhsa_exception_fp_ieee_invalid_op 0
		.amdhsa_exception_fp_denorm_src 0
		.amdhsa_exception_fp_ieee_div_zero 0
		.amdhsa_exception_fp_ieee_overflow 0
		.amdhsa_exception_fp_ieee_underflow 0
		.amdhsa_exception_fp_ieee_inexact 0
		.amdhsa_exception_int_div_zero 0
	.end_amdhsa_kernel
	.section	.text._ZN7rocprim17ROCPRIM_400000_NS6detail17trampoline_kernelINS0_13select_configILj256ELj13ELNS0_17block_load_methodE3ELS4_3ELS4_3ELNS0_20block_scan_algorithmE0ELj4294967295EEENS1_25partition_config_selectorILNS1_17partition_subalgoE4EjNS0_10empty_typeEbEEZZNS1_14partition_implILS8_4ELb0ES6_15HIP_vector_typeIjLj2EENS0_17counting_iteratorIjlEEPS9_SG_NS0_5tupleIJPjSI_NS0_16reverse_iteratorISI_EEEEENSH_IJSG_SG_SG_EEES9_SI_JZNS1_25segmented_radix_sort_implINS0_14default_configELb1EPK6__halfPSP_PKlPlN2at6native12_GLOBAL__N_18offset_tEEE10hipError_tPvRmT1_PNSt15iterator_traitsIS13_E10value_typeET2_T3_PNS14_IS19_E10value_typeET4_jRbjT5_S1F_jjP12ihipStream_tbEUljE_ZNSN_ISO_Lb1ESR_SS_SU_SV_SZ_EES10_S11_S12_S13_S17_S18_S19_S1C_S1D_jS1E_jS1F_S1F_jjS1H_bEUljE0_EEES10_S11_S12_S19_S1D_S1F_T6_T7_T9_mT8_S1H_bDpT10_ENKUlT_T0_E_clISt17integral_constantIbLb1EES1U_IbLb0EEEEDaS1Q_S1R_EUlS1Q_E_NS1_11comp_targetILNS1_3genE3ELNS1_11target_archE908ELNS1_3gpuE7ELNS1_3repE0EEENS1_30default_config_static_selectorELNS0_4arch9wavefront6targetE0EEEvS13_,"axG",@progbits,_ZN7rocprim17ROCPRIM_400000_NS6detail17trampoline_kernelINS0_13select_configILj256ELj13ELNS0_17block_load_methodE3ELS4_3ELS4_3ELNS0_20block_scan_algorithmE0ELj4294967295EEENS1_25partition_config_selectorILNS1_17partition_subalgoE4EjNS0_10empty_typeEbEEZZNS1_14partition_implILS8_4ELb0ES6_15HIP_vector_typeIjLj2EENS0_17counting_iteratorIjlEEPS9_SG_NS0_5tupleIJPjSI_NS0_16reverse_iteratorISI_EEEEENSH_IJSG_SG_SG_EEES9_SI_JZNS1_25segmented_radix_sort_implINS0_14default_configELb1EPK6__halfPSP_PKlPlN2at6native12_GLOBAL__N_18offset_tEEE10hipError_tPvRmT1_PNSt15iterator_traitsIS13_E10value_typeET2_T3_PNS14_IS19_E10value_typeET4_jRbjT5_S1F_jjP12ihipStream_tbEUljE_ZNSN_ISO_Lb1ESR_SS_SU_SV_SZ_EES10_S11_S12_S13_S17_S18_S19_S1C_S1D_jS1E_jS1F_S1F_jjS1H_bEUljE0_EEES10_S11_S12_S19_S1D_S1F_T6_T7_T9_mT8_S1H_bDpT10_ENKUlT_T0_E_clISt17integral_constantIbLb1EES1U_IbLb0EEEEDaS1Q_S1R_EUlS1Q_E_NS1_11comp_targetILNS1_3genE3ELNS1_11target_archE908ELNS1_3gpuE7ELNS1_3repE0EEENS1_30default_config_static_selectorELNS0_4arch9wavefront6targetE0EEEvS13_,comdat
.Lfunc_end1684:
	.size	_ZN7rocprim17ROCPRIM_400000_NS6detail17trampoline_kernelINS0_13select_configILj256ELj13ELNS0_17block_load_methodE3ELS4_3ELS4_3ELNS0_20block_scan_algorithmE0ELj4294967295EEENS1_25partition_config_selectorILNS1_17partition_subalgoE4EjNS0_10empty_typeEbEEZZNS1_14partition_implILS8_4ELb0ES6_15HIP_vector_typeIjLj2EENS0_17counting_iteratorIjlEEPS9_SG_NS0_5tupleIJPjSI_NS0_16reverse_iteratorISI_EEEEENSH_IJSG_SG_SG_EEES9_SI_JZNS1_25segmented_radix_sort_implINS0_14default_configELb1EPK6__halfPSP_PKlPlN2at6native12_GLOBAL__N_18offset_tEEE10hipError_tPvRmT1_PNSt15iterator_traitsIS13_E10value_typeET2_T3_PNS14_IS19_E10value_typeET4_jRbjT5_S1F_jjP12ihipStream_tbEUljE_ZNSN_ISO_Lb1ESR_SS_SU_SV_SZ_EES10_S11_S12_S13_S17_S18_S19_S1C_S1D_jS1E_jS1F_S1F_jjS1H_bEUljE0_EEES10_S11_S12_S19_S1D_S1F_T6_T7_T9_mT8_S1H_bDpT10_ENKUlT_T0_E_clISt17integral_constantIbLb1EES1U_IbLb0EEEEDaS1Q_S1R_EUlS1Q_E_NS1_11comp_targetILNS1_3genE3ELNS1_11target_archE908ELNS1_3gpuE7ELNS1_3repE0EEENS1_30default_config_static_selectorELNS0_4arch9wavefront6targetE0EEEvS13_, .Lfunc_end1684-_ZN7rocprim17ROCPRIM_400000_NS6detail17trampoline_kernelINS0_13select_configILj256ELj13ELNS0_17block_load_methodE3ELS4_3ELS4_3ELNS0_20block_scan_algorithmE0ELj4294967295EEENS1_25partition_config_selectorILNS1_17partition_subalgoE4EjNS0_10empty_typeEbEEZZNS1_14partition_implILS8_4ELb0ES6_15HIP_vector_typeIjLj2EENS0_17counting_iteratorIjlEEPS9_SG_NS0_5tupleIJPjSI_NS0_16reverse_iteratorISI_EEEEENSH_IJSG_SG_SG_EEES9_SI_JZNS1_25segmented_radix_sort_implINS0_14default_configELb1EPK6__halfPSP_PKlPlN2at6native12_GLOBAL__N_18offset_tEEE10hipError_tPvRmT1_PNSt15iterator_traitsIS13_E10value_typeET2_T3_PNS14_IS19_E10value_typeET4_jRbjT5_S1F_jjP12ihipStream_tbEUljE_ZNSN_ISO_Lb1ESR_SS_SU_SV_SZ_EES10_S11_S12_S13_S17_S18_S19_S1C_S1D_jS1E_jS1F_S1F_jjS1H_bEUljE0_EEES10_S11_S12_S19_S1D_S1F_T6_T7_T9_mT8_S1H_bDpT10_ENKUlT_T0_E_clISt17integral_constantIbLb1EES1U_IbLb0EEEEDaS1Q_S1R_EUlS1Q_E_NS1_11comp_targetILNS1_3genE3ELNS1_11target_archE908ELNS1_3gpuE7ELNS1_3repE0EEENS1_30default_config_static_selectorELNS0_4arch9wavefront6targetE0EEEvS13_
                                        ; -- End function
	.set _ZN7rocprim17ROCPRIM_400000_NS6detail17trampoline_kernelINS0_13select_configILj256ELj13ELNS0_17block_load_methodE3ELS4_3ELS4_3ELNS0_20block_scan_algorithmE0ELj4294967295EEENS1_25partition_config_selectorILNS1_17partition_subalgoE4EjNS0_10empty_typeEbEEZZNS1_14partition_implILS8_4ELb0ES6_15HIP_vector_typeIjLj2EENS0_17counting_iteratorIjlEEPS9_SG_NS0_5tupleIJPjSI_NS0_16reverse_iteratorISI_EEEEENSH_IJSG_SG_SG_EEES9_SI_JZNS1_25segmented_radix_sort_implINS0_14default_configELb1EPK6__halfPSP_PKlPlN2at6native12_GLOBAL__N_18offset_tEEE10hipError_tPvRmT1_PNSt15iterator_traitsIS13_E10value_typeET2_T3_PNS14_IS19_E10value_typeET4_jRbjT5_S1F_jjP12ihipStream_tbEUljE_ZNSN_ISO_Lb1ESR_SS_SU_SV_SZ_EES10_S11_S12_S13_S17_S18_S19_S1C_S1D_jS1E_jS1F_S1F_jjS1H_bEUljE0_EEES10_S11_S12_S19_S1D_S1F_T6_T7_T9_mT8_S1H_bDpT10_ENKUlT_T0_E_clISt17integral_constantIbLb1EES1U_IbLb0EEEEDaS1Q_S1R_EUlS1Q_E_NS1_11comp_targetILNS1_3genE3ELNS1_11target_archE908ELNS1_3gpuE7ELNS1_3repE0EEENS1_30default_config_static_selectorELNS0_4arch9wavefront6targetE0EEEvS13_.num_vgpr, 0
	.set _ZN7rocprim17ROCPRIM_400000_NS6detail17trampoline_kernelINS0_13select_configILj256ELj13ELNS0_17block_load_methodE3ELS4_3ELS4_3ELNS0_20block_scan_algorithmE0ELj4294967295EEENS1_25partition_config_selectorILNS1_17partition_subalgoE4EjNS0_10empty_typeEbEEZZNS1_14partition_implILS8_4ELb0ES6_15HIP_vector_typeIjLj2EENS0_17counting_iteratorIjlEEPS9_SG_NS0_5tupleIJPjSI_NS0_16reverse_iteratorISI_EEEEENSH_IJSG_SG_SG_EEES9_SI_JZNS1_25segmented_radix_sort_implINS0_14default_configELb1EPK6__halfPSP_PKlPlN2at6native12_GLOBAL__N_18offset_tEEE10hipError_tPvRmT1_PNSt15iterator_traitsIS13_E10value_typeET2_T3_PNS14_IS19_E10value_typeET4_jRbjT5_S1F_jjP12ihipStream_tbEUljE_ZNSN_ISO_Lb1ESR_SS_SU_SV_SZ_EES10_S11_S12_S13_S17_S18_S19_S1C_S1D_jS1E_jS1F_S1F_jjS1H_bEUljE0_EEES10_S11_S12_S19_S1D_S1F_T6_T7_T9_mT8_S1H_bDpT10_ENKUlT_T0_E_clISt17integral_constantIbLb1EES1U_IbLb0EEEEDaS1Q_S1R_EUlS1Q_E_NS1_11comp_targetILNS1_3genE3ELNS1_11target_archE908ELNS1_3gpuE7ELNS1_3repE0EEENS1_30default_config_static_selectorELNS0_4arch9wavefront6targetE0EEEvS13_.num_agpr, 0
	.set _ZN7rocprim17ROCPRIM_400000_NS6detail17trampoline_kernelINS0_13select_configILj256ELj13ELNS0_17block_load_methodE3ELS4_3ELS4_3ELNS0_20block_scan_algorithmE0ELj4294967295EEENS1_25partition_config_selectorILNS1_17partition_subalgoE4EjNS0_10empty_typeEbEEZZNS1_14partition_implILS8_4ELb0ES6_15HIP_vector_typeIjLj2EENS0_17counting_iteratorIjlEEPS9_SG_NS0_5tupleIJPjSI_NS0_16reverse_iteratorISI_EEEEENSH_IJSG_SG_SG_EEES9_SI_JZNS1_25segmented_radix_sort_implINS0_14default_configELb1EPK6__halfPSP_PKlPlN2at6native12_GLOBAL__N_18offset_tEEE10hipError_tPvRmT1_PNSt15iterator_traitsIS13_E10value_typeET2_T3_PNS14_IS19_E10value_typeET4_jRbjT5_S1F_jjP12ihipStream_tbEUljE_ZNSN_ISO_Lb1ESR_SS_SU_SV_SZ_EES10_S11_S12_S13_S17_S18_S19_S1C_S1D_jS1E_jS1F_S1F_jjS1H_bEUljE0_EEES10_S11_S12_S19_S1D_S1F_T6_T7_T9_mT8_S1H_bDpT10_ENKUlT_T0_E_clISt17integral_constantIbLb1EES1U_IbLb0EEEEDaS1Q_S1R_EUlS1Q_E_NS1_11comp_targetILNS1_3genE3ELNS1_11target_archE908ELNS1_3gpuE7ELNS1_3repE0EEENS1_30default_config_static_selectorELNS0_4arch9wavefront6targetE0EEEvS13_.numbered_sgpr, 0
	.set _ZN7rocprim17ROCPRIM_400000_NS6detail17trampoline_kernelINS0_13select_configILj256ELj13ELNS0_17block_load_methodE3ELS4_3ELS4_3ELNS0_20block_scan_algorithmE0ELj4294967295EEENS1_25partition_config_selectorILNS1_17partition_subalgoE4EjNS0_10empty_typeEbEEZZNS1_14partition_implILS8_4ELb0ES6_15HIP_vector_typeIjLj2EENS0_17counting_iteratorIjlEEPS9_SG_NS0_5tupleIJPjSI_NS0_16reverse_iteratorISI_EEEEENSH_IJSG_SG_SG_EEES9_SI_JZNS1_25segmented_radix_sort_implINS0_14default_configELb1EPK6__halfPSP_PKlPlN2at6native12_GLOBAL__N_18offset_tEEE10hipError_tPvRmT1_PNSt15iterator_traitsIS13_E10value_typeET2_T3_PNS14_IS19_E10value_typeET4_jRbjT5_S1F_jjP12ihipStream_tbEUljE_ZNSN_ISO_Lb1ESR_SS_SU_SV_SZ_EES10_S11_S12_S13_S17_S18_S19_S1C_S1D_jS1E_jS1F_S1F_jjS1H_bEUljE0_EEES10_S11_S12_S19_S1D_S1F_T6_T7_T9_mT8_S1H_bDpT10_ENKUlT_T0_E_clISt17integral_constantIbLb1EES1U_IbLb0EEEEDaS1Q_S1R_EUlS1Q_E_NS1_11comp_targetILNS1_3genE3ELNS1_11target_archE908ELNS1_3gpuE7ELNS1_3repE0EEENS1_30default_config_static_selectorELNS0_4arch9wavefront6targetE0EEEvS13_.num_named_barrier, 0
	.set _ZN7rocprim17ROCPRIM_400000_NS6detail17trampoline_kernelINS0_13select_configILj256ELj13ELNS0_17block_load_methodE3ELS4_3ELS4_3ELNS0_20block_scan_algorithmE0ELj4294967295EEENS1_25partition_config_selectorILNS1_17partition_subalgoE4EjNS0_10empty_typeEbEEZZNS1_14partition_implILS8_4ELb0ES6_15HIP_vector_typeIjLj2EENS0_17counting_iteratorIjlEEPS9_SG_NS0_5tupleIJPjSI_NS0_16reverse_iteratorISI_EEEEENSH_IJSG_SG_SG_EEES9_SI_JZNS1_25segmented_radix_sort_implINS0_14default_configELb1EPK6__halfPSP_PKlPlN2at6native12_GLOBAL__N_18offset_tEEE10hipError_tPvRmT1_PNSt15iterator_traitsIS13_E10value_typeET2_T3_PNS14_IS19_E10value_typeET4_jRbjT5_S1F_jjP12ihipStream_tbEUljE_ZNSN_ISO_Lb1ESR_SS_SU_SV_SZ_EES10_S11_S12_S13_S17_S18_S19_S1C_S1D_jS1E_jS1F_S1F_jjS1H_bEUljE0_EEES10_S11_S12_S19_S1D_S1F_T6_T7_T9_mT8_S1H_bDpT10_ENKUlT_T0_E_clISt17integral_constantIbLb1EES1U_IbLb0EEEEDaS1Q_S1R_EUlS1Q_E_NS1_11comp_targetILNS1_3genE3ELNS1_11target_archE908ELNS1_3gpuE7ELNS1_3repE0EEENS1_30default_config_static_selectorELNS0_4arch9wavefront6targetE0EEEvS13_.private_seg_size, 0
	.set _ZN7rocprim17ROCPRIM_400000_NS6detail17trampoline_kernelINS0_13select_configILj256ELj13ELNS0_17block_load_methodE3ELS4_3ELS4_3ELNS0_20block_scan_algorithmE0ELj4294967295EEENS1_25partition_config_selectorILNS1_17partition_subalgoE4EjNS0_10empty_typeEbEEZZNS1_14partition_implILS8_4ELb0ES6_15HIP_vector_typeIjLj2EENS0_17counting_iteratorIjlEEPS9_SG_NS0_5tupleIJPjSI_NS0_16reverse_iteratorISI_EEEEENSH_IJSG_SG_SG_EEES9_SI_JZNS1_25segmented_radix_sort_implINS0_14default_configELb1EPK6__halfPSP_PKlPlN2at6native12_GLOBAL__N_18offset_tEEE10hipError_tPvRmT1_PNSt15iterator_traitsIS13_E10value_typeET2_T3_PNS14_IS19_E10value_typeET4_jRbjT5_S1F_jjP12ihipStream_tbEUljE_ZNSN_ISO_Lb1ESR_SS_SU_SV_SZ_EES10_S11_S12_S13_S17_S18_S19_S1C_S1D_jS1E_jS1F_S1F_jjS1H_bEUljE0_EEES10_S11_S12_S19_S1D_S1F_T6_T7_T9_mT8_S1H_bDpT10_ENKUlT_T0_E_clISt17integral_constantIbLb1EES1U_IbLb0EEEEDaS1Q_S1R_EUlS1Q_E_NS1_11comp_targetILNS1_3genE3ELNS1_11target_archE908ELNS1_3gpuE7ELNS1_3repE0EEENS1_30default_config_static_selectorELNS0_4arch9wavefront6targetE0EEEvS13_.uses_vcc, 0
	.set _ZN7rocprim17ROCPRIM_400000_NS6detail17trampoline_kernelINS0_13select_configILj256ELj13ELNS0_17block_load_methodE3ELS4_3ELS4_3ELNS0_20block_scan_algorithmE0ELj4294967295EEENS1_25partition_config_selectorILNS1_17partition_subalgoE4EjNS0_10empty_typeEbEEZZNS1_14partition_implILS8_4ELb0ES6_15HIP_vector_typeIjLj2EENS0_17counting_iteratorIjlEEPS9_SG_NS0_5tupleIJPjSI_NS0_16reverse_iteratorISI_EEEEENSH_IJSG_SG_SG_EEES9_SI_JZNS1_25segmented_radix_sort_implINS0_14default_configELb1EPK6__halfPSP_PKlPlN2at6native12_GLOBAL__N_18offset_tEEE10hipError_tPvRmT1_PNSt15iterator_traitsIS13_E10value_typeET2_T3_PNS14_IS19_E10value_typeET4_jRbjT5_S1F_jjP12ihipStream_tbEUljE_ZNSN_ISO_Lb1ESR_SS_SU_SV_SZ_EES10_S11_S12_S13_S17_S18_S19_S1C_S1D_jS1E_jS1F_S1F_jjS1H_bEUljE0_EEES10_S11_S12_S19_S1D_S1F_T6_T7_T9_mT8_S1H_bDpT10_ENKUlT_T0_E_clISt17integral_constantIbLb1EES1U_IbLb0EEEEDaS1Q_S1R_EUlS1Q_E_NS1_11comp_targetILNS1_3genE3ELNS1_11target_archE908ELNS1_3gpuE7ELNS1_3repE0EEENS1_30default_config_static_selectorELNS0_4arch9wavefront6targetE0EEEvS13_.uses_flat_scratch, 0
	.set _ZN7rocprim17ROCPRIM_400000_NS6detail17trampoline_kernelINS0_13select_configILj256ELj13ELNS0_17block_load_methodE3ELS4_3ELS4_3ELNS0_20block_scan_algorithmE0ELj4294967295EEENS1_25partition_config_selectorILNS1_17partition_subalgoE4EjNS0_10empty_typeEbEEZZNS1_14partition_implILS8_4ELb0ES6_15HIP_vector_typeIjLj2EENS0_17counting_iteratorIjlEEPS9_SG_NS0_5tupleIJPjSI_NS0_16reverse_iteratorISI_EEEEENSH_IJSG_SG_SG_EEES9_SI_JZNS1_25segmented_radix_sort_implINS0_14default_configELb1EPK6__halfPSP_PKlPlN2at6native12_GLOBAL__N_18offset_tEEE10hipError_tPvRmT1_PNSt15iterator_traitsIS13_E10value_typeET2_T3_PNS14_IS19_E10value_typeET4_jRbjT5_S1F_jjP12ihipStream_tbEUljE_ZNSN_ISO_Lb1ESR_SS_SU_SV_SZ_EES10_S11_S12_S13_S17_S18_S19_S1C_S1D_jS1E_jS1F_S1F_jjS1H_bEUljE0_EEES10_S11_S12_S19_S1D_S1F_T6_T7_T9_mT8_S1H_bDpT10_ENKUlT_T0_E_clISt17integral_constantIbLb1EES1U_IbLb0EEEEDaS1Q_S1R_EUlS1Q_E_NS1_11comp_targetILNS1_3genE3ELNS1_11target_archE908ELNS1_3gpuE7ELNS1_3repE0EEENS1_30default_config_static_selectorELNS0_4arch9wavefront6targetE0EEEvS13_.has_dyn_sized_stack, 0
	.set _ZN7rocprim17ROCPRIM_400000_NS6detail17trampoline_kernelINS0_13select_configILj256ELj13ELNS0_17block_load_methodE3ELS4_3ELS4_3ELNS0_20block_scan_algorithmE0ELj4294967295EEENS1_25partition_config_selectorILNS1_17partition_subalgoE4EjNS0_10empty_typeEbEEZZNS1_14partition_implILS8_4ELb0ES6_15HIP_vector_typeIjLj2EENS0_17counting_iteratorIjlEEPS9_SG_NS0_5tupleIJPjSI_NS0_16reverse_iteratorISI_EEEEENSH_IJSG_SG_SG_EEES9_SI_JZNS1_25segmented_radix_sort_implINS0_14default_configELb1EPK6__halfPSP_PKlPlN2at6native12_GLOBAL__N_18offset_tEEE10hipError_tPvRmT1_PNSt15iterator_traitsIS13_E10value_typeET2_T3_PNS14_IS19_E10value_typeET4_jRbjT5_S1F_jjP12ihipStream_tbEUljE_ZNSN_ISO_Lb1ESR_SS_SU_SV_SZ_EES10_S11_S12_S13_S17_S18_S19_S1C_S1D_jS1E_jS1F_S1F_jjS1H_bEUljE0_EEES10_S11_S12_S19_S1D_S1F_T6_T7_T9_mT8_S1H_bDpT10_ENKUlT_T0_E_clISt17integral_constantIbLb1EES1U_IbLb0EEEEDaS1Q_S1R_EUlS1Q_E_NS1_11comp_targetILNS1_3genE3ELNS1_11target_archE908ELNS1_3gpuE7ELNS1_3repE0EEENS1_30default_config_static_selectorELNS0_4arch9wavefront6targetE0EEEvS13_.has_recursion, 0
	.set _ZN7rocprim17ROCPRIM_400000_NS6detail17trampoline_kernelINS0_13select_configILj256ELj13ELNS0_17block_load_methodE3ELS4_3ELS4_3ELNS0_20block_scan_algorithmE0ELj4294967295EEENS1_25partition_config_selectorILNS1_17partition_subalgoE4EjNS0_10empty_typeEbEEZZNS1_14partition_implILS8_4ELb0ES6_15HIP_vector_typeIjLj2EENS0_17counting_iteratorIjlEEPS9_SG_NS0_5tupleIJPjSI_NS0_16reverse_iteratorISI_EEEEENSH_IJSG_SG_SG_EEES9_SI_JZNS1_25segmented_radix_sort_implINS0_14default_configELb1EPK6__halfPSP_PKlPlN2at6native12_GLOBAL__N_18offset_tEEE10hipError_tPvRmT1_PNSt15iterator_traitsIS13_E10value_typeET2_T3_PNS14_IS19_E10value_typeET4_jRbjT5_S1F_jjP12ihipStream_tbEUljE_ZNSN_ISO_Lb1ESR_SS_SU_SV_SZ_EES10_S11_S12_S13_S17_S18_S19_S1C_S1D_jS1E_jS1F_S1F_jjS1H_bEUljE0_EEES10_S11_S12_S19_S1D_S1F_T6_T7_T9_mT8_S1H_bDpT10_ENKUlT_T0_E_clISt17integral_constantIbLb1EES1U_IbLb0EEEEDaS1Q_S1R_EUlS1Q_E_NS1_11comp_targetILNS1_3genE3ELNS1_11target_archE908ELNS1_3gpuE7ELNS1_3repE0EEENS1_30default_config_static_selectorELNS0_4arch9wavefront6targetE0EEEvS13_.has_indirect_call, 0
	.section	.AMDGPU.csdata,"",@progbits
; Kernel info:
; codeLenInByte = 0
; TotalNumSgprs: 0
; NumVgprs: 0
; ScratchSize: 0
; MemoryBound: 0
; FloatMode: 240
; IeeeMode: 1
; LDSByteSize: 0 bytes/workgroup (compile time only)
; SGPRBlocks: 0
; VGPRBlocks: 0
; NumSGPRsForWavesPerEU: 1
; NumVGPRsForWavesPerEU: 1
; Occupancy: 16
; WaveLimiterHint : 0
; COMPUTE_PGM_RSRC2:SCRATCH_EN: 0
; COMPUTE_PGM_RSRC2:USER_SGPR: 6
; COMPUTE_PGM_RSRC2:TRAP_HANDLER: 0
; COMPUTE_PGM_RSRC2:TGID_X_EN: 1
; COMPUTE_PGM_RSRC2:TGID_Y_EN: 0
; COMPUTE_PGM_RSRC2:TGID_Z_EN: 0
; COMPUTE_PGM_RSRC2:TIDIG_COMP_CNT: 0
	.section	.text._ZN7rocprim17ROCPRIM_400000_NS6detail17trampoline_kernelINS0_13select_configILj256ELj13ELNS0_17block_load_methodE3ELS4_3ELS4_3ELNS0_20block_scan_algorithmE0ELj4294967295EEENS1_25partition_config_selectorILNS1_17partition_subalgoE4EjNS0_10empty_typeEbEEZZNS1_14partition_implILS8_4ELb0ES6_15HIP_vector_typeIjLj2EENS0_17counting_iteratorIjlEEPS9_SG_NS0_5tupleIJPjSI_NS0_16reverse_iteratorISI_EEEEENSH_IJSG_SG_SG_EEES9_SI_JZNS1_25segmented_radix_sort_implINS0_14default_configELb1EPK6__halfPSP_PKlPlN2at6native12_GLOBAL__N_18offset_tEEE10hipError_tPvRmT1_PNSt15iterator_traitsIS13_E10value_typeET2_T3_PNS14_IS19_E10value_typeET4_jRbjT5_S1F_jjP12ihipStream_tbEUljE_ZNSN_ISO_Lb1ESR_SS_SU_SV_SZ_EES10_S11_S12_S13_S17_S18_S19_S1C_S1D_jS1E_jS1F_S1F_jjS1H_bEUljE0_EEES10_S11_S12_S19_S1D_S1F_T6_T7_T9_mT8_S1H_bDpT10_ENKUlT_T0_E_clISt17integral_constantIbLb1EES1U_IbLb0EEEEDaS1Q_S1R_EUlS1Q_E_NS1_11comp_targetILNS1_3genE2ELNS1_11target_archE906ELNS1_3gpuE6ELNS1_3repE0EEENS1_30default_config_static_selectorELNS0_4arch9wavefront6targetE0EEEvS13_,"axG",@progbits,_ZN7rocprim17ROCPRIM_400000_NS6detail17trampoline_kernelINS0_13select_configILj256ELj13ELNS0_17block_load_methodE3ELS4_3ELS4_3ELNS0_20block_scan_algorithmE0ELj4294967295EEENS1_25partition_config_selectorILNS1_17partition_subalgoE4EjNS0_10empty_typeEbEEZZNS1_14partition_implILS8_4ELb0ES6_15HIP_vector_typeIjLj2EENS0_17counting_iteratorIjlEEPS9_SG_NS0_5tupleIJPjSI_NS0_16reverse_iteratorISI_EEEEENSH_IJSG_SG_SG_EEES9_SI_JZNS1_25segmented_radix_sort_implINS0_14default_configELb1EPK6__halfPSP_PKlPlN2at6native12_GLOBAL__N_18offset_tEEE10hipError_tPvRmT1_PNSt15iterator_traitsIS13_E10value_typeET2_T3_PNS14_IS19_E10value_typeET4_jRbjT5_S1F_jjP12ihipStream_tbEUljE_ZNSN_ISO_Lb1ESR_SS_SU_SV_SZ_EES10_S11_S12_S13_S17_S18_S19_S1C_S1D_jS1E_jS1F_S1F_jjS1H_bEUljE0_EEES10_S11_S12_S19_S1D_S1F_T6_T7_T9_mT8_S1H_bDpT10_ENKUlT_T0_E_clISt17integral_constantIbLb1EES1U_IbLb0EEEEDaS1Q_S1R_EUlS1Q_E_NS1_11comp_targetILNS1_3genE2ELNS1_11target_archE906ELNS1_3gpuE6ELNS1_3repE0EEENS1_30default_config_static_selectorELNS0_4arch9wavefront6targetE0EEEvS13_,comdat
	.globl	_ZN7rocprim17ROCPRIM_400000_NS6detail17trampoline_kernelINS0_13select_configILj256ELj13ELNS0_17block_load_methodE3ELS4_3ELS4_3ELNS0_20block_scan_algorithmE0ELj4294967295EEENS1_25partition_config_selectorILNS1_17partition_subalgoE4EjNS0_10empty_typeEbEEZZNS1_14partition_implILS8_4ELb0ES6_15HIP_vector_typeIjLj2EENS0_17counting_iteratorIjlEEPS9_SG_NS0_5tupleIJPjSI_NS0_16reverse_iteratorISI_EEEEENSH_IJSG_SG_SG_EEES9_SI_JZNS1_25segmented_radix_sort_implINS0_14default_configELb1EPK6__halfPSP_PKlPlN2at6native12_GLOBAL__N_18offset_tEEE10hipError_tPvRmT1_PNSt15iterator_traitsIS13_E10value_typeET2_T3_PNS14_IS19_E10value_typeET4_jRbjT5_S1F_jjP12ihipStream_tbEUljE_ZNSN_ISO_Lb1ESR_SS_SU_SV_SZ_EES10_S11_S12_S13_S17_S18_S19_S1C_S1D_jS1E_jS1F_S1F_jjS1H_bEUljE0_EEES10_S11_S12_S19_S1D_S1F_T6_T7_T9_mT8_S1H_bDpT10_ENKUlT_T0_E_clISt17integral_constantIbLb1EES1U_IbLb0EEEEDaS1Q_S1R_EUlS1Q_E_NS1_11comp_targetILNS1_3genE2ELNS1_11target_archE906ELNS1_3gpuE6ELNS1_3repE0EEENS1_30default_config_static_selectorELNS0_4arch9wavefront6targetE0EEEvS13_ ; -- Begin function _ZN7rocprim17ROCPRIM_400000_NS6detail17trampoline_kernelINS0_13select_configILj256ELj13ELNS0_17block_load_methodE3ELS4_3ELS4_3ELNS0_20block_scan_algorithmE0ELj4294967295EEENS1_25partition_config_selectorILNS1_17partition_subalgoE4EjNS0_10empty_typeEbEEZZNS1_14partition_implILS8_4ELb0ES6_15HIP_vector_typeIjLj2EENS0_17counting_iteratorIjlEEPS9_SG_NS0_5tupleIJPjSI_NS0_16reverse_iteratorISI_EEEEENSH_IJSG_SG_SG_EEES9_SI_JZNS1_25segmented_radix_sort_implINS0_14default_configELb1EPK6__halfPSP_PKlPlN2at6native12_GLOBAL__N_18offset_tEEE10hipError_tPvRmT1_PNSt15iterator_traitsIS13_E10value_typeET2_T3_PNS14_IS19_E10value_typeET4_jRbjT5_S1F_jjP12ihipStream_tbEUljE_ZNSN_ISO_Lb1ESR_SS_SU_SV_SZ_EES10_S11_S12_S13_S17_S18_S19_S1C_S1D_jS1E_jS1F_S1F_jjS1H_bEUljE0_EEES10_S11_S12_S19_S1D_S1F_T6_T7_T9_mT8_S1H_bDpT10_ENKUlT_T0_E_clISt17integral_constantIbLb1EES1U_IbLb0EEEEDaS1Q_S1R_EUlS1Q_E_NS1_11comp_targetILNS1_3genE2ELNS1_11target_archE906ELNS1_3gpuE6ELNS1_3repE0EEENS1_30default_config_static_selectorELNS0_4arch9wavefront6targetE0EEEvS13_
	.p2align	8
	.type	_ZN7rocprim17ROCPRIM_400000_NS6detail17trampoline_kernelINS0_13select_configILj256ELj13ELNS0_17block_load_methodE3ELS4_3ELS4_3ELNS0_20block_scan_algorithmE0ELj4294967295EEENS1_25partition_config_selectorILNS1_17partition_subalgoE4EjNS0_10empty_typeEbEEZZNS1_14partition_implILS8_4ELb0ES6_15HIP_vector_typeIjLj2EENS0_17counting_iteratorIjlEEPS9_SG_NS0_5tupleIJPjSI_NS0_16reverse_iteratorISI_EEEEENSH_IJSG_SG_SG_EEES9_SI_JZNS1_25segmented_radix_sort_implINS0_14default_configELb1EPK6__halfPSP_PKlPlN2at6native12_GLOBAL__N_18offset_tEEE10hipError_tPvRmT1_PNSt15iterator_traitsIS13_E10value_typeET2_T3_PNS14_IS19_E10value_typeET4_jRbjT5_S1F_jjP12ihipStream_tbEUljE_ZNSN_ISO_Lb1ESR_SS_SU_SV_SZ_EES10_S11_S12_S13_S17_S18_S19_S1C_S1D_jS1E_jS1F_S1F_jjS1H_bEUljE0_EEES10_S11_S12_S19_S1D_S1F_T6_T7_T9_mT8_S1H_bDpT10_ENKUlT_T0_E_clISt17integral_constantIbLb1EES1U_IbLb0EEEEDaS1Q_S1R_EUlS1Q_E_NS1_11comp_targetILNS1_3genE2ELNS1_11target_archE906ELNS1_3gpuE6ELNS1_3repE0EEENS1_30default_config_static_selectorELNS0_4arch9wavefront6targetE0EEEvS13_,@function
_ZN7rocprim17ROCPRIM_400000_NS6detail17trampoline_kernelINS0_13select_configILj256ELj13ELNS0_17block_load_methodE3ELS4_3ELS4_3ELNS0_20block_scan_algorithmE0ELj4294967295EEENS1_25partition_config_selectorILNS1_17partition_subalgoE4EjNS0_10empty_typeEbEEZZNS1_14partition_implILS8_4ELb0ES6_15HIP_vector_typeIjLj2EENS0_17counting_iteratorIjlEEPS9_SG_NS0_5tupleIJPjSI_NS0_16reverse_iteratorISI_EEEEENSH_IJSG_SG_SG_EEES9_SI_JZNS1_25segmented_radix_sort_implINS0_14default_configELb1EPK6__halfPSP_PKlPlN2at6native12_GLOBAL__N_18offset_tEEE10hipError_tPvRmT1_PNSt15iterator_traitsIS13_E10value_typeET2_T3_PNS14_IS19_E10value_typeET4_jRbjT5_S1F_jjP12ihipStream_tbEUljE_ZNSN_ISO_Lb1ESR_SS_SU_SV_SZ_EES10_S11_S12_S13_S17_S18_S19_S1C_S1D_jS1E_jS1F_S1F_jjS1H_bEUljE0_EEES10_S11_S12_S19_S1D_S1F_T6_T7_T9_mT8_S1H_bDpT10_ENKUlT_T0_E_clISt17integral_constantIbLb1EES1U_IbLb0EEEEDaS1Q_S1R_EUlS1Q_E_NS1_11comp_targetILNS1_3genE2ELNS1_11target_archE906ELNS1_3gpuE6ELNS1_3repE0EEENS1_30default_config_static_selectorELNS0_4arch9wavefront6targetE0EEEvS13_: ; @_ZN7rocprim17ROCPRIM_400000_NS6detail17trampoline_kernelINS0_13select_configILj256ELj13ELNS0_17block_load_methodE3ELS4_3ELS4_3ELNS0_20block_scan_algorithmE0ELj4294967295EEENS1_25partition_config_selectorILNS1_17partition_subalgoE4EjNS0_10empty_typeEbEEZZNS1_14partition_implILS8_4ELb0ES6_15HIP_vector_typeIjLj2EENS0_17counting_iteratorIjlEEPS9_SG_NS0_5tupleIJPjSI_NS0_16reverse_iteratorISI_EEEEENSH_IJSG_SG_SG_EEES9_SI_JZNS1_25segmented_radix_sort_implINS0_14default_configELb1EPK6__halfPSP_PKlPlN2at6native12_GLOBAL__N_18offset_tEEE10hipError_tPvRmT1_PNSt15iterator_traitsIS13_E10value_typeET2_T3_PNS14_IS19_E10value_typeET4_jRbjT5_S1F_jjP12ihipStream_tbEUljE_ZNSN_ISO_Lb1ESR_SS_SU_SV_SZ_EES10_S11_S12_S13_S17_S18_S19_S1C_S1D_jS1E_jS1F_S1F_jjS1H_bEUljE0_EEES10_S11_S12_S19_S1D_S1F_T6_T7_T9_mT8_S1H_bDpT10_ENKUlT_T0_E_clISt17integral_constantIbLb1EES1U_IbLb0EEEEDaS1Q_S1R_EUlS1Q_E_NS1_11comp_targetILNS1_3genE2ELNS1_11target_archE906ELNS1_3gpuE6ELNS1_3repE0EEENS1_30default_config_static_selectorELNS0_4arch9wavefront6targetE0EEEvS13_
; %bb.0:
	.section	.rodata,"a",@progbits
	.p2align	6, 0x0
	.amdhsa_kernel _ZN7rocprim17ROCPRIM_400000_NS6detail17trampoline_kernelINS0_13select_configILj256ELj13ELNS0_17block_load_methodE3ELS4_3ELS4_3ELNS0_20block_scan_algorithmE0ELj4294967295EEENS1_25partition_config_selectorILNS1_17partition_subalgoE4EjNS0_10empty_typeEbEEZZNS1_14partition_implILS8_4ELb0ES6_15HIP_vector_typeIjLj2EENS0_17counting_iteratorIjlEEPS9_SG_NS0_5tupleIJPjSI_NS0_16reverse_iteratorISI_EEEEENSH_IJSG_SG_SG_EEES9_SI_JZNS1_25segmented_radix_sort_implINS0_14default_configELb1EPK6__halfPSP_PKlPlN2at6native12_GLOBAL__N_18offset_tEEE10hipError_tPvRmT1_PNSt15iterator_traitsIS13_E10value_typeET2_T3_PNS14_IS19_E10value_typeET4_jRbjT5_S1F_jjP12ihipStream_tbEUljE_ZNSN_ISO_Lb1ESR_SS_SU_SV_SZ_EES10_S11_S12_S13_S17_S18_S19_S1C_S1D_jS1E_jS1F_S1F_jjS1H_bEUljE0_EEES10_S11_S12_S19_S1D_S1F_T6_T7_T9_mT8_S1H_bDpT10_ENKUlT_T0_E_clISt17integral_constantIbLb1EES1U_IbLb0EEEEDaS1Q_S1R_EUlS1Q_E_NS1_11comp_targetILNS1_3genE2ELNS1_11target_archE906ELNS1_3gpuE6ELNS1_3repE0EEENS1_30default_config_static_selectorELNS0_4arch9wavefront6targetE0EEEvS13_
		.amdhsa_group_segment_fixed_size 0
		.amdhsa_private_segment_fixed_size 0
		.amdhsa_kernarg_size 176
		.amdhsa_user_sgpr_count 6
		.amdhsa_user_sgpr_private_segment_buffer 1
		.amdhsa_user_sgpr_dispatch_ptr 0
		.amdhsa_user_sgpr_queue_ptr 0
		.amdhsa_user_sgpr_kernarg_segment_ptr 1
		.amdhsa_user_sgpr_dispatch_id 0
		.amdhsa_user_sgpr_flat_scratch_init 0
		.amdhsa_user_sgpr_private_segment_size 0
		.amdhsa_wavefront_size32 1
		.amdhsa_uses_dynamic_stack 0
		.amdhsa_system_sgpr_private_segment_wavefront_offset 0
		.amdhsa_system_sgpr_workgroup_id_x 1
		.amdhsa_system_sgpr_workgroup_id_y 0
		.amdhsa_system_sgpr_workgroup_id_z 0
		.amdhsa_system_sgpr_workgroup_info 0
		.amdhsa_system_vgpr_workitem_id 0
		.amdhsa_next_free_vgpr 1
		.amdhsa_next_free_sgpr 1
		.amdhsa_reserve_vcc 0
		.amdhsa_reserve_flat_scratch 0
		.amdhsa_float_round_mode_32 0
		.amdhsa_float_round_mode_16_64 0
		.amdhsa_float_denorm_mode_32 3
		.amdhsa_float_denorm_mode_16_64 3
		.amdhsa_dx10_clamp 1
		.amdhsa_ieee_mode 1
		.amdhsa_fp16_overflow 0
		.amdhsa_workgroup_processor_mode 1
		.amdhsa_memory_ordered 1
		.amdhsa_forward_progress 1
		.amdhsa_shared_vgpr_count 0
		.amdhsa_exception_fp_ieee_invalid_op 0
		.amdhsa_exception_fp_denorm_src 0
		.amdhsa_exception_fp_ieee_div_zero 0
		.amdhsa_exception_fp_ieee_overflow 0
		.amdhsa_exception_fp_ieee_underflow 0
		.amdhsa_exception_fp_ieee_inexact 0
		.amdhsa_exception_int_div_zero 0
	.end_amdhsa_kernel
	.section	.text._ZN7rocprim17ROCPRIM_400000_NS6detail17trampoline_kernelINS0_13select_configILj256ELj13ELNS0_17block_load_methodE3ELS4_3ELS4_3ELNS0_20block_scan_algorithmE0ELj4294967295EEENS1_25partition_config_selectorILNS1_17partition_subalgoE4EjNS0_10empty_typeEbEEZZNS1_14partition_implILS8_4ELb0ES6_15HIP_vector_typeIjLj2EENS0_17counting_iteratorIjlEEPS9_SG_NS0_5tupleIJPjSI_NS0_16reverse_iteratorISI_EEEEENSH_IJSG_SG_SG_EEES9_SI_JZNS1_25segmented_radix_sort_implINS0_14default_configELb1EPK6__halfPSP_PKlPlN2at6native12_GLOBAL__N_18offset_tEEE10hipError_tPvRmT1_PNSt15iterator_traitsIS13_E10value_typeET2_T3_PNS14_IS19_E10value_typeET4_jRbjT5_S1F_jjP12ihipStream_tbEUljE_ZNSN_ISO_Lb1ESR_SS_SU_SV_SZ_EES10_S11_S12_S13_S17_S18_S19_S1C_S1D_jS1E_jS1F_S1F_jjS1H_bEUljE0_EEES10_S11_S12_S19_S1D_S1F_T6_T7_T9_mT8_S1H_bDpT10_ENKUlT_T0_E_clISt17integral_constantIbLb1EES1U_IbLb0EEEEDaS1Q_S1R_EUlS1Q_E_NS1_11comp_targetILNS1_3genE2ELNS1_11target_archE906ELNS1_3gpuE6ELNS1_3repE0EEENS1_30default_config_static_selectorELNS0_4arch9wavefront6targetE0EEEvS13_,"axG",@progbits,_ZN7rocprim17ROCPRIM_400000_NS6detail17trampoline_kernelINS0_13select_configILj256ELj13ELNS0_17block_load_methodE3ELS4_3ELS4_3ELNS0_20block_scan_algorithmE0ELj4294967295EEENS1_25partition_config_selectorILNS1_17partition_subalgoE4EjNS0_10empty_typeEbEEZZNS1_14partition_implILS8_4ELb0ES6_15HIP_vector_typeIjLj2EENS0_17counting_iteratorIjlEEPS9_SG_NS0_5tupleIJPjSI_NS0_16reverse_iteratorISI_EEEEENSH_IJSG_SG_SG_EEES9_SI_JZNS1_25segmented_radix_sort_implINS0_14default_configELb1EPK6__halfPSP_PKlPlN2at6native12_GLOBAL__N_18offset_tEEE10hipError_tPvRmT1_PNSt15iterator_traitsIS13_E10value_typeET2_T3_PNS14_IS19_E10value_typeET4_jRbjT5_S1F_jjP12ihipStream_tbEUljE_ZNSN_ISO_Lb1ESR_SS_SU_SV_SZ_EES10_S11_S12_S13_S17_S18_S19_S1C_S1D_jS1E_jS1F_S1F_jjS1H_bEUljE0_EEES10_S11_S12_S19_S1D_S1F_T6_T7_T9_mT8_S1H_bDpT10_ENKUlT_T0_E_clISt17integral_constantIbLb1EES1U_IbLb0EEEEDaS1Q_S1R_EUlS1Q_E_NS1_11comp_targetILNS1_3genE2ELNS1_11target_archE906ELNS1_3gpuE6ELNS1_3repE0EEENS1_30default_config_static_selectorELNS0_4arch9wavefront6targetE0EEEvS13_,comdat
.Lfunc_end1685:
	.size	_ZN7rocprim17ROCPRIM_400000_NS6detail17trampoline_kernelINS0_13select_configILj256ELj13ELNS0_17block_load_methodE3ELS4_3ELS4_3ELNS0_20block_scan_algorithmE0ELj4294967295EEENS1_25partition_config_selectorILNS1_17partition_subalgoE4EjNS0_10empty_typeEbEEZZNS1_14partition_implILS8_4ELb0ES6_15HIP_vector_typeIjLj2EENS0_17counting_iteratorIjlEEPS9_SG_NS0_5tupleIJPjSI_NS0_16reverse_iteratorISI_EEEEENSH_IJSG_SG_SG_EEES9_SI_JZNS1_25segmented_radix_sort_implINS0_14default_configELb1EPK6__halfPSP_PKlPlN2at6native12_GLOBAL__N_18offset_tEEE10hipError_tPvRmT1_PNSt15iterator_traitsIS13_E10value_typeET2_T3_PNS14_IS19_E10value_typeET4_jRbjT5_S1F_jjP12ihipStream_tbEUljE_ZNSN_ISO_Lb1ESR_SS_SU_SV_SZ_EES10_S11_S12_S13_S17_S18_S19_S1C_S1D_jS1E_jS1F_S1F_jjS1H_bEUljE0_EEES10_S11_S12_S19_S1D_S1F_T6_T7_T9_mT8_S1H_bDpT10_ENKUlT_T0_E_clISt17integral_constantIbLb1EES1U_IbLb0EEEEDaS1Q_S1R_EUlS1Q_E_NS1_11comp_targetILNS1_3genE2ELNS1_11target_archE906ELNS1_3gpuE6ELNS1_3repE0EEENS1_30default_config_static_selectorELNS0_4arch9wavefront6targetE0EEEvS13_, .Lfunc_end1685-_ZN7rocprim17ROCPRIM_400000_NS6detail17trampoline_kernelINS0_13select_configILj256ELj13ELNS0_17block_load_methodE3ELS4_3ELS4_3ELNS0_20block_scan_algorithmE0ELj4294967295EEENS1_25partition_config_selectorILNS1_17partition_subalgoE4EjNS0_10empty_typeEbEEZZNS1_14partition_implILS8_4ELb0ES6_15HIP_vector_typeIjLj2EENS0_17counting_iteratorIjlEEPS9_SG_NS0_5tupleIJPjSI_NS0_16reverse_iteratorISI_EEEEENSH_IJSG_SG_SG_EEES9_SI_JZNS1_25segmented_radix_sort_implINS0_14default_configELb1EPK6__halfPSP_PKlPlN2at6native12_GLOBAL__N_18offset_tEEE10hipError_tPvRmT1_PNSt15iterator_traitsIS13_E10value_typeET2_T3_PNS14_IS19_E10value_typeET4_jRbjT5_S1F_jjP12ihipStream_tbEUljE_ZNSN_ISO_Lb1ESR_SS_SU_SV_SZ_EES10_S11_S12_S13_S17_S18_S19_S1C_S1D_jS1E_jS1F_S1F_jjS1H_bEUljE0_EEES10_S11_S12_S19_S1D_S1F_T6_T7_T9_mT8_S1H_bDpT10_ENKUlT_T0_E_clISt17integral_constantIbLb1EES1U_IbLb0EEEEDaS1Q_S1R_EUlS1Q_E_NS1_11comp_targetILNS1_3genE2ELNS1_11target_archE906ELNS1_3gpuE6ELNS1_3repE0EEENS1_30default_config_static_selectorELNS0_4arch9wavefront6targetE0EEEvS13_
                                        ; -- End function
	.set _ZN7rocprim17ROCPRIM_400000_NS6detail17trampoline_kernelINS0_13select_configILj256ELj13ELNS0_17block_load_methodE3ELS4_3ELS4_3ELNS0_20block_scan_algorithmE0ELj4294967295EEENS1_25partition_config_selectorILNS1_17partition_subalgoE4EjNS0_10empty_typeEbEEZZNS1_14partition_implILS8_4ELb0ES6_15HIP_vector_typeIjLj2EENS0_17counting_iteratorIjlEEPS9_SG_NS0_5tupleIJPjSI_NS0_16reverse_iteratorISI_EEEEENSH_IJSG_SG_SG_EEES9_SI_JZNS1_25segmented_radix_sort_implINS0_14default_configELb1EPK6__halfPSP_PKlPlN2at6native12_GLOBAL__N_18offset_tEEE10hipError_tPvRmT1_PNSt15iterator_traitsIS13_E10value_typeET2_T3_PNS14_IS19_E10value_typeET4_jRbjT5_S1F_jjP12ihipStream_tbEUljE_ZNSN_ISO_Lb1ESR_SS_SU_SV_SZ_EES10_S11_S12_S13_S17_S18_S19_S1C_S1D_jS1E_jS1F_S1F_jjS1H_bEUljE0_EEES10_S11_S12_S19_S1D_S1F_T6_T7_T9_mT8_S1H_bDpT10_ENKUlT_T0_E_clISt17integral_constantIbLb1EES1U_IbLb0EEEEDaS1Q_S1R_EUlS1Q_E_NS1_11comp_targetILNS1_3genE2ELNS1_11target_archE906ELNS1_3gpuE6ELNS1_3repE0EEENS1_30default_config_static_selectorELNS0_4arch9wavefront6targetE0EEEvS13_.num_vgpr, 0
	.set _ZN7rocprim17ROCPRIM_400000_NS6detail17trampoline_kernelINS0_13select_configILj256ELj13ELNS0_17block_load_methodE3ELS4_3ELS4_3ELNS0_20block_scan_algorithmE0ELj4294967295EEENS1_25partition_config_selectorILNS1_17partition_subalgoE4EjNS0_10empty_typeEbEEZZNS1_14partition_implILS8_4ELb0ES6_15HIP_vector_typeIjLj2EENS0_17counting_iteratorIjlEEPS9_SG_NS0_5tupleIJPjSI_NS0_16reverse_iteratorISI_EEEEENSH_IJSG_SG_SG_EEES9_SI_JZNS1_25segmented_radix_sort_implINS0_14default_configELb1EPK6__halfPSP_PKlPlN2at6native12_GLOBAL__N_18offset_tEEE10hipError_tPvRmT1_PNSt15iterator_traitsIS13_E10value_typeET2_T3_PNS14_IS19_E10value_typeET4_jRbjT5_S1F_jjP12ihipStream_tbEUljE_ZNSN_ISO_Lb1ESR_SS_SU_SV_SZ_EES10_S11_S12_S13_S17_S18_S19_S1C_S1D_jS1E_jS1F_S1F_jjS1H_bEUljE0_EEES10_S11_S12_S19_S1D_S1F_T6_T7_T9_mT8_S1H_bDpT10_ENKUlT_T0_E_clISt17integral_constantIbLb1EES1U_IbLb0EEEEDaS1Q_S1R_EUlS1Q_E_NS1_11comp_targetILNS1_3genE2ELNS1_11target_archE906ELNS1_3gpuE6ELNS1_3repE0EEENS1_30default_config_static_selectorELNS0_4arch9wavefront6targetE0EEEvS13_.num_agpr, 0
	.set _ZN7rocprim17ROCPRIM_400000_NS6detail17trampoline_kernelINS0_13select_configILj256ELj13ELNS0_17block_load_methodE3ELS4_3ELS4_3ELNS0_20block_scan_algorithmE0ELj4294967295EEENS1_25partition_config_selectorILNS1_17partition_subalgoE4EjNS0_10empty_typeEbEEZZNS1_14partition_implILS8_4ELb0ES6_15HIP_vector_typeIjLj2EENS0_17counting_iteratorIjlEEPS9_SG_NS0_5tupleIJPjSI_NS0_16reverse_iteratorISI_EEEEENSH_IJSG_SG_SG_EEES9_SI_JZNS1_25segmented_radix_sort_implINS0_14default_configELb1EPK6__halfPSP_PKlPlN2at6native12_GLOBAL__N_18offset_tEEE10hipError_tPvRmT1_PNSt15iterator_traitsIS13_E10value_typeET2_T3_PNS14_IS19_E10value_typeET4_jRbjT5_S1F_jjP12ihipStream_tbEUljE_ZNSN_ISO_Lb1ESR_SS_SU_SV_SZ_EES10_S11_S12_S13_S17_S18_S19_S1C_S1D_jS1E_jS1F_S1F_jjS1H_bEUljE0_EEES10_S11_S12_S19_S1D_S1F_T6_T7_T9_mT8_S1H_bDpT10_ENKUlT_T0_E_clISt17integral_constantIbLb1EES1U_IbLb0EEEEDaS1Q_S1R_EUlS1Q_E_NS1_11comp_targetILNS1_3genE2ELNS1_11target_archE906ELNS1_3gpuE6ELNS1_3repE0EEENS1_30default_config_static_selectorELNS0_4arch9wavefront6targetE0EEEvS13_.numbered_sgpr, 0
	.set _ZN7rocprim17ROCPRIM_400000_NS6detail17trampoline_kernelINS0_13select_configILj256ELj13ELNS0_17block_load_methodE3ELS4_3ELS4_3ELNS0_20block_scan_algorithmE0ELj4294967295EEENS1_25partition_config_selectorILNS1_17partition_subalgoE4EjNS0_10empty_typeEbEEZZNS1_14partition_implILS8_4ELb0ES6_15HIP_vector_typeIjLj2EENS0_17counting_iteratorIjlEEPS9_SG_NS0_5tupleIJPjSI_NS0_16reverse_iteratorISI_EEEEENSH_IJSG_SG_SG_EEES9_SI_JZNS1_25segmented_radix_sort_implINS0_14default_configELb1EPK6__halfPSP_PKlPlN2at6native12_GLOBAL__N_18offset_tEEE10hipError_tPvRmT1_PNSt15iterator_traitsIS13_E10value_typeET2_T3_PNS14_IS19_E10value_typeET4_jRbjT5_S1F_jjP12ihipStream_tbEUljE_ZNSN_ISO_Lb1ESR_SS_SU_SV_SZ_EES10_S11_S12_S13_S17_S18_S19_S1C_S1D_jS1E_jS1F_S1F_jjS1H_bEUljE0_EEES10_S11_S12_S19_S1D_S1F_T6_T7_T9_mT8_S1H_bDpT10_ENKUlT_T0_E_clISt17integral_constantIbLb1EES1U_IbLb0EEEEDaS1Q_S1R_EUlS1Q_E_NS1_11comp_targetILNS1_3genE2ELNS1_11target_archE906ELNS1_3gpuE6ELNS1_3repE0EEENS1_30default_config_static_selectorELNS0_4arch9wavefront6targetE0EEEvS13_.num_named_barrier, 0
	.set _ZN7rocprim17ROCPRIM_400000_NS6detail17trampoline_kernelINS0_13select_configILj256ELj13ELNS0_17block_load_methodE3ELS4_3ELS4_3ELNS0_20block_scan_algorithmE0ELj4294967295EEENS1_25partition_config_selectorILNS1_17partition_subalgoE4EjNS0_10empty_typeEbEEZZNS1_14partition_implILS8_4ELb0ES6_15HIP_vector_typeIjLj2EENS0_17counting_iteratorIjlEEPS9_SG_NS0_5tupleIJPjSI_NS0_16reverse_iteratorISI_EEEEENSH_IJSG_SG_SG_EEES9_SI_JZNS1_25segmented_radix_sort_implINS0_14default_configELb1EPK6__halfPSP_PKlPlN2at6native12_GLOBAL__N_18offset_tEEE10hipError_tPvRmT1_PNSt15iterator_traitsIS13_E10value_typeET2_T3_PNS14_IS19_E10value_typeET4_jRbjT5_S1F_jjP12ihipStream_tbEUljE_ZNSN_ISO_Lb1ESR_SS_SU_SV_SZ_EES10_S11_S12_S13_S17_S18_S19_S1C_S1D_jS1E_jS1F_S1F_jjS1H_bEUljE0_EEES10_S11_S12_S19_S1D_S1F_T6_T7_T9_mT8_S1H_bDpT10_ENKUlT_T0_E_clISt17integral_constantIbLb1EES1U_IbLb0EEEEDaS1Q_S1R_EUlS1Q_E_NS1_11comp_targetILNS1_3genE2ELNS1_11target_archE906ELNS1_3gpuE6ELNS1_3repE0EEENS1_30default_config_static_selectorELNS0_4arch9wavefront6targetE0EEEvS13_.private_seg_size, 0
	.set _ZN7rocprim17ROCPRIM_400000_NS6detail17trampoline_kernelINS0_13select_configILj256ELj13ELNS0_17block_load_methodE3ELS4_3ELS4_3ELNS0_20block_scan_algorithmE0ELj4294967295EEENS1_25partition_config_selectorILNS1_17partition_subalgoE4EjNS0_10empty_typeEbEEZZNS1_14partition_implILS8_4ELb0ES6_15HIP_vector_typeIjLj2EENS0_17counting_iteratorIjlEEPS9_SG_NS0_5tupleIJPjSI_NS0_16reverse_iteratorISI_EEEEENSH_IJSG_SG_SG_EEES9_SI_JZNS1_25segmented_radix_sort_implINS0_14default_configELb1EPK6__halfPSP_PKlPlN2at6native12_GLOBAL__N_18offset_tEEE10hipError_tPvRmT1_PNSt15iterator_traitsIS13_E10value_typeET2_T3_PNS14_IS19_E10value_typeET4_jRbjT5_S1F_jjP12ihipStream_tbEUljE_ZNSN_ISO_Lb1ESR_SS_SU_SV_SZ_EES10_S11_S12_S13_S17_S18_S19_S1C_S1D_jS1E_jS1F_S1F_jjS1H_bEUljE0_EEES10_S11_S12_S19_S1D_S1F_T6_T7_T9_mT8_S1H_bDpT10_ENKUlT_T0_E_clISt17integral_constantIbLb1EES1U_IbLb0EEEEDaS1Q_S1R_EUlS1Q_E_NS1_11comp_targetILNS1_3genE2ELNS1_11target_archE906ELNS1_3gpuE6ELNS1_3repE0EEENS1_30default_config_static_selectorELNS0_4arch9wavefront6targetE0EEEvS13_.uses_vcc, 0
	.set _ZN7rocprim17ROCPRIM_400000_NS6detail17trampoline_kernelINS0_13select_configILj256ELj13ELNS0_17block_load_methodE3ELS4_3ELS4_3ELNS0_20block_scan_algorithmE0ELj4294967295EEENS1_25partition_config_selectorILNS1_17partition_subalgoE4EjNS0_10empty_typeEbEEZZNS1_14partition_implILS8_4ELb0ES6_15HIP_vector_typeIjLj2EENS0_17counting_iteratorIjlEEPS9_SG_NS0_5tupleIJPjSI_NS0_16reverse_iteratorISI_EEEEENSH_IJSG_SG_SG_EEES9_SI_JZNS1_25segmented_radix_sort_implINS0_14default_configELb1EPK6__halfPSP_PKlPlN2at6native12_GLOBAL__N_18offset_tEEE10hipError_tPvRmT1_PNSt15iterator_traitsIS13_E10value_typeET2_T3_PNS14_IS19_E10value_typeET4_jRbjT5_S1F_jjP12ihipStream_tbEUljE_ZNSN_ISO_Lb1ESR_SS_SU_SV_SZ_EES10_S11_S12_S13_S17_S18_S19_S1C_S1D_jS1E_jS1F_S1F_jjS1H_bEUljE0_EEES10_S11_S12_S19_S1D_S1F_T6_T7_T9_mT8_S1H_bDpT10_ENKUlT_T0_E_clISt17integral_constantIbLb1EES1U_IbLb0EEEEDaS1Q_S1R_EUlS1Q_E_NS1_11comp_targetILNS1_3genE2ELNS1_11target_archE906ELNS1_3gpuE6ELNS1_3repE0EEENS1_30default_config_static_selectorELNS0_4arch9wavefront6targetE0EEEvS13_.uses_flat_scratch, 0
	.set _ZN7rocprim17ROCPRIM_400000_NS6detail17trampoline_kernelINS0_13select_configILj256ELj13ELNS0_17block_load_methodE3ELS4_3ELS4_3ELNS0_20block_scan_algorithmE0ELj4294967295EEENS1_25partition_config_selectorILNS1_17partition_subalgoE4EjNS0_10empty_typeEbEEZZNS1_14partition_implILS8_4ELb0ES6_15HIP_vector_typeIjLj2EENS0_17counting_iteratorIjlEEPS9_SG_NS0_5tupleIJPjSI_NS0_16reverse_iteratorISI_EEEEENSH_IJSG_SG_SG_EEES9_SI_JZNS1_25segmented_radix_sort_implINS0_14default_configELb1EPK6__halfPSP_PKlPlN2at6native12_GLOBAL__N_18offset_tEEE10hipError_tPvRmT1_PNSt15iterator_traitsIS13_E10value_typeET2_T3_PNS14_IS19_E10value_typeET4_jRbjT5_S1F_jjP12ihipStream_tbEUljE_ZNSN_ISO_Lb1ESR_SS_SU_SV_SZ_EES10_S11_S12_S13_S17_S18_S19_S1C_S1D_jS1E_jS1F_S1F_jjS1H_bEUljE0_EEES10_S11_S12_S19_S1D_S1F_T6_T7_T9_mT8_S1H_bDpT10_ENKUlT_T0_E_clISt17integral_constantIbLb1EES1U_IbLb0EEEEDaS1Q_S1R_EUlS1Q_E_NS1_11comp_targetILNS1_3genE2ELNS1_11target_archE906ELNS1_3gpuE6ELNS1_3repE0EEENS1_30default_config_static_selectorELNS0_4arch9wavefront6targetE0EEEvS13_.has_dyn_sized_stack, 0
	.set _ZN7rocprim17ROCPRIM_400000_NS6detail17trampoline_kernelINS0_13select_configILj256ELj13ELNS0_17block_load_methodE3ELS4_3ELS4_3ELNS0_20block_scan_algorithmE0ELj4294967295EEENS1_25partition_config_selectorILNS1_17partition_subalgoE4EjNS0_10empty_typeEbEEZZNS1_14partition_implILS8_4ELb0ES6_15HIP_vector_typeIjLj2EENS0_17counting_iteratorIjlEEPS9_SG_NS0_5tupleIJPjSI_NS0_16reverse_iteratorISI_EEEEENSH_IJSG_SG_SG_EEES9_SI_JZNS1_25segmented_radix_sort_implINS0_14default_configELb1EPK6__halfPSP_PKlPlN2at6native12_GLOBAL__N_18offset_tEEE10hipError_tPvRmT1_PNSt15iterator_traitsIS13_E10value_typeET2_T3_PNS14_IS19_E10value_typeET4_jRbjT5_S1F_jjP12ihipStream_tbEUljE_ZNSN_ISO_Lb1ESR_SS_SU_SV_SZ_EES10_S11_S12_S13_S17_S18_S19_S1C_S1D_jS1E_jS1F_S1F_jjS1H_bEUljE0_EEES10_S11_S12_S19_S1D_S1F_T6_T7_T9_mT8_S1H_bDpT10_ENKUlT_T0_E_clISt17integral_constantIbLb1EES1U_IbLb0EEEEDaS1Q_S1R_EUlS1Q_E_NS1_11comp_targetILNS1_3genE2ELNS1_11target_archE906ELNS1_3gpuE6ELNS1_3repE0EEENS1_30default_config_static_selectorELNS0_4arch9wavefront6targetE0EEEvS13_.has_recursion, 0
	.set _ZN7rocprim17ROCPRIM_400000_NS6detail17trampoline_kernelINS0_13select_configILj256ELj13ELNS0_17block_load_methodE3ELS4_3ELS4_3ELNS0_20block_scan_algorithmE0ELj4294967295EEENS1_25partition_config_selectorILNS1_17partition_subalgoE4EjNS0_10empty_typeEbEEZZNS1_14partition_implILS8_4ELb0ES6_15HIP_vector_typeIjLj2EENS0_17counting_iteratorIjlEEPS9_SG_NS0_5tupleIJPjSI_NS0_16reverse_iteratorISI_EEEEENSH_IJSG_SG_SG_EEES9_SI_JZNS1_25segmented_radix_sort_implINS0_14default_configELb1EPK6__halfPSP_PKlPlN2at6native12_GLOBAL__N_18offset_tEEE10hipError_tPvRmT1_PNSt15iterator_traitsIS13_E10value_typeET2_T3_PNS14_IS19_E10value_typeET4_jRbjT5_S1F_jjP12ihipStream_tbEUljE_ZNSN_ISO_Lb1ESR_SS_SU_SV_SZ_EES10_S11_S12_S13_S17_S18_S19_S1C_S1D_jS1E_jS1F_S1F_jjS1H_bEUljE0_EEES10_S11_S12_S19_S1D_S1F_T6_T7_T9_mT8_S1H_bDpT10_ENKUlT_T0_E_clISt17integral_constantIbLb1EES1U_IbLb0EEEEDaS1Q_S1R_EUlS1Q_E_NS1_11comp_targetILNS1_3genE2ELNS1_11target_archE906ELNS1_3gpuE6ELNS1_3repE0EEENS1_30default_config_static_selectorELNS0_4arch9wavefront6targetE0EEEvS13_.has_indirect_call, 0
	.section	.AMDGPU.csdata,"",@progbits
; Kernel info:
; codeLenInByte = 0
; TotalNumSgprs: 0
; NumVgprs: 0
; ScratchSize: 0
; MemoryBound: 0
; FloatMode: 240
; IeeeMode: 1
; LDSByteSize: 0 bytes/workgroup (compile time only)
; SGPRBlocks: 0
; VGPRBlocks: 0
; NumSGPRsForWavesPerEU: 1
; NumVGPRsForWavesPerEU: 1
; Occupancy: 16
; WaveLimiterHint : 0
; COMPUTE_PGM_RSRC2:SCRATCH_EN: 0
; COMPUTE_PGM_RSRC2:USER_SGPR: 6
; COMPUTE_PGM_RSRC2:TRAP_HANDLER: 0
; COMPUTE_PGM_RSRC2:TGID_X_EN: 1
; COMPUTE_PGM_RSRC2:TGID_Y_EN: 0
; COMPUTE_PGM_RSRC2:TGID_Z_EN: 0
; COMPUTE_PGM_RSRC2:TIDIG_COMP_CNT: 0
	.section	.text._ZN7rocprim17ROCPRIM_400000_NS6detail17trampoline_kernelINS0_13select_configILj256ELj13ELNS0_17block_load_methodE3ELS4_3ELS4_3ELNS0_20block_scan_algorithmE0ELj4294967295EEENS1_25partition_config_selectorILNS1_17partition_subalgoE4EjNS0_10empty_typeEbEEZZNS1_14partition_implILS8_4ELb0ES6_15HIP_vector_typeIjLj2EENS0_17counting_iteratorIjlEEPS9_SG_NS0_5tupleIJPjSI_NS0_16reverse_iteratorISI_EEEEENSH_IJSG_SG_SG_EEES9_SI_JZNS1_25segmented_radix_sort_implINS0_14default_configELb1EPK6__halfPSP_PKlPlN2at6native12_GLOBAL__N_18offset_tEEE10hipError_tPvRmT1_PNSt15iterator_traitsIS13_E10value_typeET2_T3_PNS14_IS19_E10value_typeET4_jRbjT5_S1F_jjP12ihipStream_tbEUljE_ZNSN_ISO_Lb1ESR_SS_SU_SV_SZ_EES10_S11_S12_S13_S17_S18_S19_S1C_S1D_jS1E_jS1F_S1F_jjS1H_bEUljE0_EEES10_S11_S12_S19_S1D_S1F_T6_T7_T9_mT8_S1H_bDpT10_ENKUlT_T0_E_clISt17integral_constantIbLb1EES1U_IbLb0EEEEDaS1Q_S1R_EUlS1Q_E_NS1_11comp_targetILNS1_3genE10ELNS1_11target_archE1200ELNS1_3gpuE4ELNS1_3repE0EEENS1_30default_config_static_selectorELNS0_4arch9wavefront6targetE0EEEvS13_,"axG",@progbits,_ZN7rocprim17ROCPRIM_400000_NS6detail17trampoline_kernelINS0_13select_configILj256ELj13ELNS0_17block_load_methodE3ELS4_3ELS4_3ELNS0_20block_scan_algorithmE0ELj4294967295EEENS1_25partition_config_selectorILNS1_17partition_subalgoE4EjNS0_10empty_typeEbEEZZNS1_14partition_implILS8_4ELb0ES6_15HIP_vector_typeIjLj2EENS0_17counting_iteratorIjlEEPS9_SG_NS0_5tupleIJPjSI_NS0_16reverse_iteratorISI_EEEEENSH_IJSG_SG_SG_EEES9_SI_JZNS1_25segmented_radix_sort_implINS0_14default_configELb1EPK6__halfPSP_PKlPlN2at6native12_GLOBAL__N_18offset_tEEE10hipError_tPvRmT1_PNSt15iterator_traitsIS13_E10value_typeET2_T3_PNS14_IS19_E10value_typeET4_jRbjT5_S1F_jjP12ihipStream_tbEUljE_ZNSN_ISO_Lb1ESR_SS_SU_SV_SZ_EES10_S11_S12_S13_S17_S18_S19_S1C_S1D_jS1E_jS1F_S1F_jjS1H_bEUljE0_EEES10_S11_S12_S19_S1D_S1F_T6_T7_T9_mT8_S1H_bDpT10_ENKUlT_T0_E_clISt17integral_constantIbLb1EES1U_IbLb0EEEEDaS1Q_S1R_EUlS1Q_E_NS1_11comp_targetILNS1_3genE10ELNS1_11target_archE1200ELNS1_3gpuE4ELNS1_3repE0EEENS1_30default_config_static_selectorELNS0_4arch9wavefront6targetE0EEEvS13_,comdat
	.globl	_ZN7rocprim17ROCPRIM_400000_NS6detail17trampoline_kernelINS0_13select_configILj256ELj13ELNS0_17block_load_methodE3ELS4_3ELS4_3ELNS0_20block_scan_algorithmE0ELj4294967295EEENS1_25partition_config_selectorILNS1_17partition_subalgoE4EjNS0_10empty_typeEbEEZZNS1_14partition_implILS8_4ELb0ES6_15HIP_vector_typeIjLj2EENS0_17counting_iteratorIjlEEPS9_SG_NS0_5tupleIJPjSI_NS0_16reverse_iteratorISI_EEEEENSH_IJSG_SG_SG_EEES9_SI_JZNS1_25segmented_radix_sort_implINS0_14default_configELb1EPK6__halfPSP_PKlPlN2at6native12_GLOBAL__N_18offset_tEEE10hipError_tPvRmT1_PNSt15iterator_traitsIS13_E10value_typeET2_T3_PNS14_IS19_E10value_typeET4_jRbjT5_S1F_jjP12ihipStream_tbEUljE_ZNSN_ISO_Lb1ESR_SS_SU_SV_SZ_EES10_S11_S12_S13_S17_S18_S19_S1C_S1D_jS1E_jS1F_S1F_jjS1H_bEUljE0_EEES10_S11_S12_S19_S1D_S1F_T6_T7_T9_mT8_S1H_bDpT10_ENKUlT_T0_E_clISt17integral_constantIbLb1EES1U_IbLb0EEEEDaS1Q_S1R_EUlS1Q_E_NS1_11comp_targetILNS1_3genE10ELNS1_11target_archE1200ELNS1_3gpuE4ELNS1_3repE0EEENS1_30default_config_static_selectorELNS0_4arch9wavefront6targetE0EEEvS13_ ; -- Begin function _ZN7rocprim17ROCPRIM_400000_NS6detail17trampoline_kernelINS0_13select_configILj256ELj13ELNS0_17block_load_methodE3ELS4_3ELS4_3ELNS0_20block_scan_algorithmE0ELj4294967295EEENS1_25partition_config_selectorILNS1_17partition_subalgoE4EjNS0_10empty_typeEbEEZZNS1_14partition_implILS8_4ELb0ES6_15HIP_vector_typeIjLj2EENS0_17counting_iteratorIjlEEPS9_SG_NS0_5tupleIJPjSI_NS0_16reverse_iteratorISI_EEEEENSH_IJSG_SG_SG_EEES9_SI_JZNS1_25segmented_radix_sort_implINS0_14default_configELb1EPK6__halfPSP_PKlPlN2at6native12_GLOBAL__N_18offset_tEEE10hipError_tPvRmT1_PNSt15iterator_traitsIS13_E10value_typeET2_T3_PNS14_IS19_E10value_typeET4_jRbjT5_S1F_jjP12ihipStream_tbEUljE_ZNSN_ISO_Lb1ESR_SS_SU_SV_SZ_EES10_S11_S12_S13_S17_S18_S19_S1C_S1D_jS1E_jS1F_S1F_jjS1H_bEUljE0_EEES10_S11_S12_S19_S1D_S1F_T6_T7_T9_mT8_S1H_bDpT10_ENKUlT_T0_E_clISt17integral_constantIbLb1EES1U_IbLb0EEEEDaS1Q_S1R_EUlS1Q_E_NS1_11comp_targetILNS1_3genE10ELNS1_11target_archE1200ELNS1_3gpuE4ELNS1_3repE0EEENS1_30default_config_static_selectorELNS0_4arch9wavefront6targetE0EEEvS13_
	.p2align	8
	.type	_ZN7rocprim17ROCPRIM_400000_NS6detail17trampoline_kernelINS0_13select_configILj256ELj13ELNS0_17block_load_methodE3ELS4_3ELS4_3ELNS0_20block_scan_algorithmE0ELj4294967295EEENS1_25partition_config_selectorILNS1_17partition_subalgoE4EjNS0_10empty_typeEbEEZZNS1_14partition_implILS8_4ELb0ES6_15HIP_vector_typeIjLj2EENS0_17counting_iteratorIjlEEPS9_SG_NS0_5tupleIJPjSI_NS0_16reverse_iteratorISI_EEEEENSH_IJSG_SG_SG_EEES9_SI_JZNS1_25segmented_radix_sort_implINS0_14default_configELb1EPK6__halfPSP_PKlPlN2at6native12_GLOBAL__N_18offset_tEEE10hipError_tPvRmT1_PNSt15iterator_traitsIS13_E10value_typeET2_T3_PNS14_IS19_E10value_typeET4_jRbjT5_S1F_jjP12ihipStream_tbEUljE_ZNSN_ISO_Lb1ESR_SS_SU_SV_SZ_EES10_S11_S12_S13_S17_S18_S19_S1C_S1D_jS1E_jS1F_S1F_jjS1H_bEUljE0_EEES10_S11_S12_S19_S1D_S1F_T6_T7_T9_mT8_S1H_bDpT10_ENKUlT_T0_E_clISt17integral_constantIbLb1EES1U_IbLb0EEEEDaS1Q_S1R_EUlS1Q_E_NS1_11comp_targetILNS1_3genE10ELNS1_11target_archE1200ELNS1_3gpuE4ELNS1_3repE0EEENS1_30default_config_static_selectorELNS0_4arch9wavefront6targetE0EEEvS13_,@function
_ZN7rocprim17ROCPRIM_400000_NS6detail17trampoline_kernelINS0_13select_configILj256ELj13ELNS0_17block_load_methodE3ELS4_3ELS4_3ELNS0_20block_scan_algorithmE0ELj4294967295EEENS1_25partition_config_selectorILNS1_17partition_subalgoE4EjNS0_10empty_typeEbEEZZNS1_14partition_implILS8_4ELb0ES6_15HIP_vector_typeIjLj2EENS0_17counting_iteratorIjlEEPS9_SG_NS0_5tupleIJPjSI_NS0_16reverse_iteratorISI_EEEEENSH_IJSG_SG_SG_EEES9_SI_JZNS1_25segmented_radix_sort_implINS0_14default_configELb1EPK6__halfPSP_PKlPlN2at6native12_GLOBAL__N_18offset_tEEE10hipError_tPvRmT1_PNSt15iterator_traitsIS13_E10value_typeET2_T3_PNS14_IS19_E10value_typeET4_jRbjT5_S1F_jjP12ihipStream_tbEUljE_ZNSN_ISO_Lb1ESR_SS_SU_SV_SZ_EES10_S11_S12_S13_S17_S18_S19_S1C_S1D_jS1E_jS1F_S1F_jjS1H_bEUljE0_EEES10_S11_S12_S19_S1D_S1F_T6_T7_T9_mT8_S1H_bDpT10_ENKUlT_T0_E_clISt17integral_constantIbLb1EES1U_IbLb0EEEEDaS1Q_S1R_EUlS1Q_E_NS1_11comp_targetILNS1_3genE10ELNS1_11target_archE1200ELNS1_3gpuE4ELNS1_3repE0EEENS1_30default_config_static_selectorELNS0_4arch9wavefront6targetE0EEEvS13_: ; @_ZN7rocprim17ROCPRIM_400000_NS6detail17trampoline_kernelINS0_13select_configILj256ELj13ELNS0_17block_load_methodE3ELS4_3ELS4_3ELNS0_20block_scan_algorithmE0ELj4294967295EEENS1_25partition_config_selectorILNS1_17partition_subalgoE4EjNS0_10empty_typeEbEEZZNS1_14partition_implILS8_4ELb0ES6_15HIP_vector_typeIjLj2EENS0_17counting_iteratorIjlEEPS9_SG_NS0_5tupleIJPjSI_NS0_16reverse_iteratorISI_EEEEENSH_IJSG_SG_SG_EEES9_SI_JZNS1_25segmented_radix_sort_implINS0_14default_configELb1EPK6__halfPSP_PKlPlN2at6native12_GLOBAL__N_18offset_tEEE10hipError_tPvRmT1_PNSt15iterator_traitsIS13_E10value_typeET2_T3_PNS14_IS19_E10value_typeET4_jRbjT5_S1F_jjP12ihipStream_tbEUljE_ZNSN_ISO_Lb1ESR_SS_SU_SV_SZ_EES10_S11_S12_S13_S17_S18_S19_S1C_S1D_jS1E_jS1F_S1F_jjS1H_bEUljE0_EEES10_S11_S12_S19_S1D_S1F_T6_T7_T9_mT8_S1H_bDpT10_ENKUlT_T0_E_clISt17integral_constantIbLb1EES1U_IbLb0EEEEDaS1Q_S1R_EUlS1Q_E_NS1_11comp_targetILNS1_3genE10ELNS1_11target_archE1200ELNS1_3gpuE4ELNS1_3repE0EEENS1_30default_config_static_selectorELNS0_4arch9wavefront6targetE0EEEvS13_
; %bb.0:
	.section	.rodata,"a",@progbits
	.p2align	6, 0x0
	.amdhsa_kernel _ZN7rocprim17ROCPRIM_400000_NS6detail17trampoline_kernelINS0_13select_configILj256ELj13ELNS0_17block_load_methodE3ELS4_3ELS4_3ELNS0_20block_scan_algorithmE0ELj4294967295EEENS1_25partition_config_selectorILNS1_17partition_subalgoE4EjNS0_10empty_typeEbEEZZNS1_14partition_implILS8_4ELb0ES6_15HIP_vector_typeIjLj2EENS0_17counting_iteratorIjlEEPS9_SG_NS0_5tupleIJPjSI_NS0_16reverse_iteratorISI_EEEEENSH_IJSG_SG_SG_EEES9_SI_JZNS1_25segmented_radix_sort_implINS0_14default_configELb1EPK6__halfPSP_PKlPlN2at6native12_GLOBAL__N_18offset_tEEE10hipError_tPvRmT1_PNSt15iterator_traitsIS13_E10value_typeET2_T3_PNS14_IS19_E10value_typeET4_jRbjT5_S1F_jjP12ihipStream_tbEUljE_ZNSN_ISO_Lb1ESR_SS_SU_SV_SZ_EES10_S11_S12_S13_S17_S18_S19_S1C_S1D_jS1E_jS1F_S1F_jjS1H_bEUljE0_EEES10_S11_S12_S19_S1D_S1F_T6_T7_T9_mT8_S1H_bDpT10_ENKUlT_T0_E_clISt17integral_constantIbLb1EES1U_IbLb0EEEEDaS1Q_S1R_EUlS1Q_E_NS1_11comp_targetILNS1_3genE10ELNS1_11target_archE1200ELNS1_3gpuE4ELNS1_3repE0EEENS1_30default_config_static_selectorELNS0_4arch9wavefront6targetE0EEEvS13_
		.amdhsa_group_segment_fixed_size 0
		.amdhsa_private_segment_fixed_size 0
		.amdhsa_kernarg_size 176
		.amdhsa_user_sgpr_count 6
		.amdhsa_user_sgpr_private_segment_buffer 1
		.amdhsa_user_sgpr_dispatch_ptr 0
		.amdhsa_user_sgpr_queue_ptr 0
		.amdhsa_user_sgpr_kernarg_segment_ptr 1
		.amdhsa_user_sgpr_dispatch_id 0
		.amdhsa_user_sgpr_flat_scratch_init 0
		.amdhsa_user_sgpr_private_segment_size 0
		.amdhsa_wavefront_size32 1
		.amdhsa_uses_dynamic_stack 0
		.amdhsa_system_sgpr_private_segment_wavefront_offset 0
		.amdhsa_system_sgpr_workgroup_id_x 1
		.amdhsa_system_sgpr_workgroup_id_y 0
		.amdhsa_system_sgpr_workgroup_id_z 0
		.amdhsa_system_sgpr_workgroup_info 0
		.amdhsa_system_vgpr_workitem_id 0
		.amdhsa_next_free_vgpr 1
		.amdhsa_next_free_sgpr 1
		.amdhsa_reserve_vcc 0
		.amdhsa_reserve_flat_scratch 0
		.amdhsa_float_round_mode_32 0
		.amdhsa_float_round_mode_16_64 0
		.amdhsa_float_denorm_mode_32 3
		.amdhsa_float_denorm_mode_16_64 3
		.amdhsa_dx10_clamp 1
		.amdhsa_ieee_mode 1
		.amdhsa_fp16_overflow 0
		.amdhsa_workgroup_processor_mode 1
		.amdhsa_memory_ordered 1
		.amdhsa_forward_progress 1
		.amdhsa_shared_vgpr_count 0
		.amdhsa_exception_fp_ieee_invalid_op 0
		.amdhsa_exception_fp_denorm_src 0
		.amdhsa_exception_fp_ieee_div_zero 0
		.amdhsa_exception_fp_ieee_overflow 0
		.amdhsa_exception_fp_ieee_underflow 0
		.amdhsa_exception_fp_ieee_inexact 0
		.amdhsa_exception_int_div_zero 0
	.end_amdhsa_kernel
	.section	.text._ZN7rocprim17ROCPRIM_400000_NS6detail17trampoline_kernelINS0_13select_configILj256ELj13ELNS0_17block_load_methodE3ELS4_3ELS4_3ELNS0_20block_scan_algorithmE0ELj4294967295EEENS1_25partition_config_selectorILNS1_17partition_subalgoE4EjNS0_10empty_typeEbEEZZNS1_14partition_implILS8_4ELb0ES6_15HIP_vector_typeIjLj2EENS0_17counting_iteratorIjlEEPS9_SG_NS0_5tupleIJPjSI_NS0_16reverse_iteratorISI_EEEEENSH_IJSG_SG_SG_EEES9_SI_JZNS1_25segmented_radix_sort_implINS0_14default_configELb1EPK6__halfPSP_PKlPlN2at6native12_GLOBAL__N_18offset_tEEE10hipError_tPvRmT1_PNSt15iterator_traitsIS13_E10value_typeET2_T3_PNS14_IS19_E10value_typeET4_jRbjT5_S1F_jjP12ihipStream_tbEUljE_ZNSN_ISO_Lb1ESR_SS_SU_SV_SZ_EES10_S11_S12_S13_S17_S18_S19_S1C_S1D_jS1E_jS1F_S1F_jjS1H_bEUljE0_EEES10_S11_S12_S19_S1D_S1F_T6_T7_T9_mT8_S1H_bDpT10_ENKUlT_T0_E_clISt17integral_constantIbLb1EES1U_IbLb0EEEEDaS1Q_S1R_EUlS1Q_E_NS1_11comp_targetILNS1_3genE10ELNS1_11target_archE1200ELNS1_3gpuE4ELNS1_3repE0EEENS1_30default_config_static_selectorELNS0_4arch9wavefront6targetE0EEEvS13_,"axG",@progbits,_ZN7rocprim17ROCPRIM_400000_NS6detail17trampoline_kernelINS0_13select_configILj256ELj13ELNS0_17block_load_methodE3ELS4_3ELS4_3ELNS0_20block_scan_algorithmE0ELj4294967295EEENS1_25partition_config_selectorILNS1_17partition_subalgoE4EjNS0_10empty_typeEbEEZZNS1_14partition_implILS8_4ELb0ES6_15HIP_vector_typeIjLj2EENS0_17counting_iteratorIjlEEPS9_SG_NS0_5tupleIJPjSI_NS0_16reverse_iteratorISI_EEEEENSH_IJSG_SG_SG_EEES9_SI_JZNS1_25segmented_radix_sort_implINS0_14default_configELb1EPK6__halfPSP_PKlPlN2at6native12_GLOBAL__N_18offset_tEEE10hipError_tPvRmT1_PNSt15iterator_traitsIS13_E10value_typeET2_T3_PNS14_IS19_E10value_typeET4_jRbjT5_S1F_jjP12ihipStream_tbEUljE_ZNSN_ISO_Lb1ESR_SS_SU_SV_SZ_EES10_S11_S12_S13_S17_S18_S19_S1C_S1D_jS1E_jS1F_S1F_jjS1H_bEUljE0_EEES10_S11_S12_S19_S1D_S1F_T6_T7_T9_mT8_S1H_bDpT10_ENKUlT_T0_E_clISt17integral_constantIbLb1EES1U_IbLb0EEEEDaS1Q_S1R_EUlS1Q_E_NS1_11comp_targetILNS1_3genE10ELNS1_11target_archE1200ELNS1_3gpuE4ELNS1_3repE0EEENS1_30default_config_static_selectorELNS0_4arch9wavefront6targetE0EEEvS13_,comdat
.Lfunc_end1686:
	.size	_ZN7rocprim17ROCPRIM_400000_NS6detail17trampoline_kernelINS0_13select_configILj256ELj13ELNS0_17block_load_methodE3ELS4_3ELS4_3ELNS0_20block_scan_algorithmE0ELj4294967295EEENS1_25partition_config_selectorILNS1_17partition_subalgoE4EjNS0_10empty_typeEbEEZZNS1_14partition_implILS8_4ELb0ES6_15HIP_vector_typeIjLj2EENS0_17counting_iteratorIjlEEPS9_SG_NS0_5tupleIJPjSI_NS0_16reverse_iteratorISI_EEEEENSH_IJSG_SG_SG_EEES9_SI_JZNS1_25segmented_radix_sort_implINS0_14default_configELb1EPK6__halfPSP_PKlPlN2at6native12_GLOBAL__N_18offset_tEEE10hipError_tPvRmT1_PNSt15iterator_traitsIS13_E10value_typeET2_T3_PNS14_IS19_E10value_typeET4_jRbjT5_S1F_jjP12ihipStream_tbEUljE_ZNSN_ISO_Lb1ESR_SS_SU_SV_SZ_EES10_S11_S12_S13_S17_S18_S19_S1C_S1D_jS1E_jS1F_S1F_jjS1H_bEUljE0_EEES10_S11_S12_S19_S1D_S1F_T6_T7_T9_mT8_S1H_bDpT10_ENKUlT_T0_E_clISt17integral_constantIbLb1EES1U_IbLb0EEEEDaS1Q_S1R_EUlS1Q_E_NS1_11comp_targetILNS1_3genE10ELNS1_11target_archE1200ELNS1_3gpuE4ELNS1_3repE0EEENS1_30default_config_static_selectorELNS0_4arch9wavefront6targetE0EEEvS13_, .Lfunc_end1686-_ZN7rocprim17ROCPRIM_400000_NS6detail17trampoline_kernelINS0_13select_configILj256ELj13ELNS0_17block_load_methodE3ELS4_3ELS4_3ELNS0_20block_scan_algorithmE0ELj4294967295EEENS1_25partition_config_selectorILNS1_17partition_subalgoE4EjNS0_10empty_typeEbEEZZNS1_14partition_implILS8_4ELb0ES6_15HIP_vector_typeIjLj2EENS0_17counting_iteratorIjlEEPS9_SG_NS0_5tupleIJPjSI_NS0_16reverse_iteratorISI_EEEEENSH_IJSG_SG_SG_EEES9_SI_JZNS1_25segmented_radix_sort_implINS0_14default_configELb1EPK6__halfPSP_PKlPlN2at6native12_GLOBAL__N_18offset_tEEE10hipError_tPvRmT1_PNSt15iterator_traitsIS13_E10value_typeET2_T3_PNS14_IS19_E10value_typeET4_jRbjT5_S1F_jjP12ihipStream_tbEUljE_ZNSN_ISO_Lb1ESR_SS_SU_SV_SZ_EES10_S11_S12_S13_S17_S18_S19_S1C_S1D_jS1E_jS1F_S1F_jjS1H_bEUljE0_EEES10_S11_S12_S19_S1D_S1F_T6_T7_T9_mT8_S1H_bDpT10_ENKUlT_T0_E_clISt17integral_constantIbLb1EES1U_IbLb0EEEEDaS1Q_S1R_EUlS1Q_E_NS1_11comp_targetILNS1_3genE10ELNS1_11target_archE1200ELNS1_3gpuE4ELNS1_3repE0EEENS1_30default_config_static_selectorELNS0_4arch9wavefront6targetE0EEEvS13_
                                        ; -- End function
	.set _ZN7rocprim17ROCPRIM_400000_NS6detail17trampoline_kernelINS0_13select_configILj256ELj13ELNS0_17block_load_methodE3ELS4_3ELS4_3ELNS0_20block_scan_algorithmE0ELj4294967295EEENS1_25partition_config_selectorILNS1_17partition_subalgoE4EjNS0_10empty_typeEbEEZZNS1_14partition_implILS8_4ELb0ES6_15HIP_vector_typeIjLj2EENS0_17counting_iteratorIjlEEPS9_SG_NS0_5tupleIJPjSI_NS0_16reverse_iteratorISI_EEEEENSH_IJSG_SG_SG_EEES9_SI_JZNS1_25segmented_radix_sort_implINS0_14default_configELb1EPK6__halfPSP_PKlPlN2at6native12_GLOBAL__N_18offset_tEEE10hipError_tPvRmT1_PNSt15iterator_traitsIS13_E10value_typeET2_T3_PNS14_IS19_E10value_typeET4_jRbjT5_S1F_jjP12ihipStream_tbEUljE_ZNSN_ISO_Lb1ESR_SS_SU_SV_SZ_EES10_S11_S12_S13_S17_S18_S19_S1C_S1D_jS1E_jS1F_S1F_jjS1H_bEUljE0_EEES10_S11_S12_S19_S1D_S1F_T6_T7_T9_mT8_S1H_bDpT10_ENKUlT_T0_E_clISt17integral_constantIbLb1EES1U_IbLb0EEEEDaS1Q_S1R_EUlS1Q_E_NS1_11comp_targetILNS1_3genE10ELNS1_11target_archE1200ELNS1_3gpuE4ELNS1_3repE0EEENS1_30default_config_static_selectorELNS0_4arch9wavefront6targetE0EEEvS13_.num_vgpr, 0
	.set _ZN7rocprim17ROCPRIM_400000_NS6detail17trampoline_kernelINS0_13select_configILj256ELj13ELNS0_17block_load_methodE3ELS4_3ELS4_3ELNS0_20block_scan_algorithmE0ELj4294967295EEENS1_25partition_config_selectorILNS1_17partition_subalgoE4EjNS0_10empty_typeEbEEZZNS1_14partition_implILS8_4ELb0ES6_15HIP_vector_typeIjLj2EENS0_17counting_iteratorIjlEEPS9_SG_NS0_5tupleIJPjSI_NS0_16reverse_iteratorISI_EEEEENSH_IJSG_SG_SG_EEES9_SI_JZNS1_25segmented_radix_sort_implINS0_14default_configELb1EPK6__halfPSP_PKlPlN2at6native12_GLOBAL__N_18offset_tEEE10hipError_tPvRmT1_PNSt15iterator_traitsIS13_E10value_typeET2_T3_PNS14_IS19_E10value_typeET4_jRbjT5_S1F_jjP12ihipStream_tbEUljE_ZNSN_ISO_Lb1ESR_SS_SU_SV_SZ_EES10_S11_S12_S13_S17_S18_S19_S1C_S1D_jS1E_jS1F_S1F_jjS1H_bEUljE0_EEES10_S11_S12_S19_S1D_S1F_T6_T7_T9_mT8_S1H_bDpT10_ENKUlT_T0_E_clISt17integral_constantIbLb1EES1U_IbLb0EEEEDaS1Q_S1R_EUlS1Q_E_NS1_11comp_targetILNS1_3genE10ELNS1_11target_archE1200ELNS1_3gpuE4ELNS1_3repE0EEENS1_30default_config_static_selectorELNS0_4arch9wavefront6targetE0EEEvS13_.num_agpr, 0
	.set _ZN7rocprim17ROCPRIM_400000_NS6detail17trampoline_kernelINS0_13select_configILj256ELj13ELNS0_17block_load_methodE3ELS4_3ELS4_3ELNS0_20block_scan_algorithmE0ELj4294967295EEENS1_25partition_config_selectorILNS1_17partition_subalgoE4EjNS0_10empty_typeEbEEZZNS1_14partition_implILS8_4ELb0ES6_15HIP_vector_typeIjLj2EENS0_17counting_iteratorIjlEEPS9_SG_NS0_5tupleIJPjSI_NS0_16reverse_iteratorISI_EEEEENSH_IJSG_SG_SG_EEES9_SI_JZNS1_25segmented_radix_sort_implINS0_14default_configELb1EPK6__halfPSP_PKlPlN2at6native12_GLOBAL__N_18offset_tEEE10hipError_tPvRmT1_PNSt15iterator_traitsIS13_E10value_typeET2_T3_PNS14_IS19_E10value_typeET4_jRbjT5_S1F_jjP12ihipStream_tbEUljE_ZNSN_ISO_Lb1ESR_SS_SU_SV_SZ_EES10_S11_S12_S13_S17_S18_S19_S1C_S1D_jS1E_jS1F_S1F_jjS1H_bEUljE0_EEES10_S11_S12_S19_S1D_S1F_T6_T7_T9_mT8_S1H_bDpT10_ENKUlT_T0_E_clISt17integral_constantIbLb1EES1U_IbLb0EEEEDaS1Q_S1R_EUlS1Q_E_NS1_11comp_targetILNS1_3genE10ELNS1_11target_archE1200ELNS1_3gpuE4ELNS1_3repE0EEENS1_30default_config_static_selectorELNS0_4arch9wavefront6targetE0EEEvS13_.numbered_sgpr, 0
	.set _ZN7rocprim17ROCPRIM_400000_NS6detail17trampoline_kernelINS0_13select_configILj256ELj13ELNS0_17block_load_methodE3ELS4_3ELS4_3ELNS0_20block_scan_algorithmE0ELj4294967295EEENS1_25partition_config_selectorILNS1_17partition_subalgoE4EjNS0_10empty_typeEbEEZZNS1_14partition_implILS8_4ELb0ES6_15HIP_vector_typeIjLj2EENS0_17counting_iteratorIjlEEPS9_SG_NS0_5tupleIJPjSI_NS0_16reverse_iteratorISI_EEEEENSH_IJSG_SG_SG_EEES9_SI_JZNS1_25segmented_radix_sort_implINS0_14default_configELb1EPK6__halfPSP_PKlPlN2at6native12_GLOBAL__N_18offset_tEEE10hipError_tPvRmT1_PNSt15iterator_traitsIS13_E10value_typeET2_T3_PNS14_IS19_E10value_typeET4_jRbjT5_S1F_jjP12ihipStream_tbEUljE_ZNSN_ISO_Lb1ESR_SS_SU_SV_SZ_EES10_S11_S12_S13_S17_S18_S19_S1C_S1D_jS1E_jS1F_S1F_jjS1H_bEUljE0_EEES10_S11_S12_S19_S1D_S1F_T6_T7_T9_mT8_S1H_bDpT10_ENKUlT_T0_E_clISt17integral_constantIbLb1EES1U_IbLb0EEEEDaS1Q_S1R_EUlS1Q_E_NS1_11comp_targetILNS1_3genE10ELNS1_11target_archE1200ELNS1_3gpuE4ELNS1_3repE0EEENS1_30default_config_static_selectorELNS0_4arch9wavefront6targetE0EEEvS13_.num_named_barrier, 0
	.set _ZN7rocprim17ROCPRIM_400000_NS6detail17trampoline_kernelINS0_13select_configILj256ELj13ELNS0_17block_load_methodE3ELS4_3ELS4_3ELNS0_20block_scan_algorithmE0ELj4294967295EEENS1_25partition_config_selectorILNS1_17partition_subalgoE4EjNS0_10empty_typeEbEEZZNS1_14partition_implILS8_4ELb0ES6_15HIP_vector_typeIjLj2EENS0_17counting_iteratorIjlEEPS9_SG_NS0_5tupleIJPjSI_NS0_16reverse_iteratorISI_EEEEENSH_IJSG_SG_SG_EEES9_SI_JZNS1_25segmented_radix_sort_implINS0_14default_configELb1EPK6__halfPSP_PKlPlN2at6native12_GLOBAL__N_18offset_tEEE10hipError_tPvRmT1_PNSt15iterator_traitsIS13_E10value_typeET2_T3_PNS14_IS19_E10value_typeET4_jRbjT5_S1F_jjP12ihipStream_tbEUljE_ZNSN_ISO_Lb1ESR_SS_SU_SV_SZ_EES10_S11_S12_S13_S17_S18_S19_S1C_S1D_jS1E_jS1F_S1F_jjS1H_bEUljE0_EEES10_S11_S12_S19_S1D_S1F_T6_T7_T9_mT8_S1H_bDpT10_ENKUlT_T0_E_clISt17integral_constantIbLb1EES1U_IbLb0EEEEDaS1Q_S1R_EUlS1Q_E_NS1_11comp_targetILNS1_3genE10ELNS1_11target_archE1200ELNS1_3gpuE4ELNS1_3repE0EEENS1_30default_config_static_selectorELNS0_4arch9wavefront6targetE0EEEvS13_.private_seg_size, 0
	.set _ZN7rocprim17ROCPRIM_400000_NS6detail17trampoline_kernelINS0_13select_configILj256ELj13ELNS0_17block_load_methodE3ELS4_3ELS4_3ELNS0_20block_scan_algorithmE0ELj4294967295EEENS1_25partition_config_selectorILNS1_17partition_subalgoE4EjNS0_10empty_typeEbEEZZNS1_14partition_implILS8_4ELb0ES6_15HIP_vector_typeIjLj2EENS0_17counting_iteratorIjlEEPS9_SG_NS0_5tupleIJPjSI_NS0_16reverse_iteratorISI_EEEEENSH_IJSG_SG_SG_EEES9_SI_JZNS1_25segmented_radix_sort_implINS0_14default_configELb1EPK6__halfPSP_PKlPlN2at6native12_GLOBAL__N_18offset_tEEE10hipError_tPvRmT1_PNSt15iterator_traitsIS13_E10value_typeET2_T3_PNS14_IS19_E10value_typeET4_jRbjT5_S1F_jjP12ihipStream_tbEUljE_ZNSN_ISO_Lb1ESR_SS_SU_SV_SZ_EES10_S11_S12_S13_S17_S18_S19_S1C_S1D_jS1E_jS1F_S1F_jjS1H_bEUljE0_EEES10_S11_S12_S19_S1D_S1F_T6_T7_T9_mT8_S1H_bDpT10_ENKUlT_T0_E_clISt17integral_constantIbLb1EES1U_IbLb0EEEEDaS1Q_S1R_EUlS1Q_E_NS1_11comp_targetILNS1_3genE10ELNS1_11target_archE1200ELNS1_3gpuE4ELNS1_3repE0EEENS1_30default_config_static_selectorELNS0_4arch9wavefront6targetE0EEEvS13_.uses_vcc, 0
	.set _ZN7rocprim17ROCPRIM_400000_NS6detail17trampoline_kernelINS0_13select_configILj256ELj13ELNS0_17block_load_methodE3ELS4_3ELS4_3ELNS0_20block_scan_algorithmE0ELj4294967295EEENS1_25partition_config_selectorILNS1_17partition_subalgoE4EjNS0_10empty_typeEbEEZZNS1_14partition_implILS8_4ELb0ES6_15HIP_vector_typeIjLj2EENS0_17counting_iteratorIjlEEPS9_SG_NS0_5tupleIJPjSI_NS0_16reverse_iteratorISI_EEEEENSH_IJSG_SG_SG_EEES9_SI_JZNS1_25segmented_radix_sort_implINS0_14default_configELb1EPK6__halfPSP_PKlPlN2at6native12_GLOBAL__N_18offset_tEEE10hipError_tPvRmT1_PNSt15iterator_traitsIS13_E10value_typeET2_T3_PNS14_IS19_E10value_typeET4_jRbjT5_S1F_jjP12ihipStream_tbEUljE_ZNSN_ISO_Lb1ESR_SS_SU_SV_SZ_EES10_S11_S12_S13_S17_S18_S19_S1C_S1D_jS1E_jS1F_S1F_jjS1H_bEUljE0_EEES10_S11_S12_S19_S1D_S1F_T6_T7_T9_mT8_S1H_bDpT10_ENKUlT_T0_E_clISt17integral_constantIbLb1EES1U_IbLb0EEEEDaS1Q_S1R_EUlS1Q_E_NS1_11comp_targetILNS1_3genE10ELNS1_11target_archE1200ELNS1_3gpuE4ELNS1_3repE0EEENS1_30default_config_static_selectorELNS0_4arch9wavefront6targetE0EEEvS13_.uses_flat_scratch, 0
	.set _ZN7rocprim17ROCPRIM_400000_NS6detail17trampoline_kernelINS0_13select_configILj256ELj13ELNS0_17block_load_methodE3ELS4_3ELS4_3ELNS0_20block_scan_algorithmE0ELj4294967295EEENS1_25partition_config_selectorILNS1_17partition_subalgoE4EjNS0_10empty_typeEbEEZZNS1_14partition_implILS8_4ELb0ES6_15HIP_vector_typeIjLj2EENS0_17counting_iteratorIjlEEPS9_SG_NS0_5tupleIJPjSI_NS0_16reverse_iteratorISI_EEEEENSH_IJSG_SG_SG_EEES9_SI_JZNS1_25segmented_radix_sort_implINS0_14default_configELb1EPK6__halfPSP_PKlPlN2at6native12_GLOBAL__N_18offset_tEEE10hipError_tPvRmT1_PNSt15iterator_traitsIS13_E10value_typeET2_T3_PNS14_IS19_E10value_typeET4_jRbjT5_S1F_jjP12ihipStream_tbEUljE_ZNSN_ISO_Lb1ESR_SS_SU_SV_SZ_EES10_S11_S12_S13_S17_S18_S19_S1C_S1D_jS1E_jS1F_S1F_jjS1H_bEUljE0_EEES10_S11_S12_S19_S1D_S1F_T6_T7_T9_mT8_S1H_bDpT10_ENKUlT_T0_E_clISt17integral_constantIbLb1EES1U_IbLb0EEEEDaS1Q_S1R_EUlS1Q_E_NS1_11comp_targetILNS1_3genE10ELNS1_11target_archE1200ELNS1_3gpuE4ELNS1_3repE0EEENS1_30default_config_static_selectorELNS0_4arch9wavefront6targetE0EEEvS13_.has_dyn_sized_stack, 0
	.set _ZN7rocprim17ROCPRIM_400000_NS6detail17trampoline_kernelINS0_13select_configILj256ELj13ELNS0_17block_load_methodE3ELS4_3ELS4_3ELNS0_20block_scan_algorithmE0ELj4294967295EEENS1_25partition_config_selectorILNS1_17partition_subalgoE4EjNS0_10empty_typeEbEEZZNS1_14partition_implILS8_4ELb0ES6_15HIP_vector_typeIjLj2EENS0_17counting_iteratorIjlEEPS9_SG_NS0_5tupleIJPjSI_NS0_16reverse_iteratorISI_EEEEENSH_IJSG_SG_SG_EEES9_SI_JZNS1_25segmented_radix_sort_implINS0_14default_configELb1EPK6__halfPSP_PKlPlN2at6native12_GLOBAL__N_18offset_tEEE10hipError_tPvRmT1_PNSt15iterator_traitsIS13_E10value_typeET2_T3_PNS14_IS19_E10value_typeET4_jRbjT5_S1F_jjP12ihipStream_tbEUljE_ZNSN_ISO_Lb1ESR_SS_SU_SV_SZ_EES10_S11_S12_S13_S17_S18_S19_S1C_S1D_jS1E_jS1F_S1F_jjS1H_bEUljE0_EEES10_S11_S12_S19_S1D_S1F_T6_T7_T9_mT8_S1H_bDpT10_ENKUlT_T0_E_clISt17integral_constantIbLb1EES1U_IbLb0EEEEDaS1Q_S1R_EUlS1Q_E_NS1_11comp_targetILNS1_3genE10ELNS1_11target_archE1200ELNS1_3gpuE4ELNS1_3repE0EEENS1_30default_config_static_selectorELNS0_4arch9wavefront6targetE0EEEvS13_.has_recursion, 0
	.set _ZN7rocprim17ROCPRIM_400000_NS6detail17trampoline_kernelINS0_13select_configILj256ELj13ELNS0_17block_load_methodE3ELS4_3ELS4_3ELNS0_20block_scan_algorithmE0ELj4294967295EEENS1_25partition_config_selectorILNS1_17partition_subalgoE4EjNS0_10empty_typeEbEEZZNS1_14partition_implILS8_4ELb0ES6_15HIP_vector_typeIjLj2EENS0_17counting_iteratorIjlEEPS9_SG_NS0_5tupleIJPjSI_NS0_16reverse_iteratorISI_EEEEENSH_IJSG_SG_SG_EEES9_SI_JZNS1_25segmented_radix_sort_implINS0_14default_configELb1EPK6__halfPSP_PKlPlN2at6native12_GLOBAL__N_18offset_tEEE10hipError_tPvRmT1_PNSt15iterator_traitsIS13_E10value_typeET2_T3_PNS14_IS19_E10value_typeET4_jRbjT5_S1F_jjP12ihipStream_tbEUljE_ZNSN_ISO_Lb1ESR_SS_SU_SV_SZ_EES10_S11_S12_S13_S17_S18_S19_S1C_S1D_jS1E_jS1F_S1F_jjS1H_bEUljE0_EEES10_S11_S12_S19_S1D_S1F_T6_T7_T9_mT8_S1H_bDpT10_ENKUlT_T0_E_clISt17integral_constantIbLb1EES1U_IbLb0EEEEDaS1Q_S1R_EUlS1Q_E_NS1_11comp_targetILNS1_3genE10ELNS1_11target_archE1200ELNS1_3gpuE4ELNS1_3repE0EEENS1_30default_config_static_selectorELNS0_4arch9wavefront6targetE0EEEvS13_.has_indirect_call, 0
	.section	.AMDGPU.csdata,"",@progbits
; Kernel info:
; codeLenInByte = 0
; TotalNumSgprs: 0
; NumVgprs: 0
; ScratchSize: 0
; MemoryBound: 0
; FloatMode: 240
; IeeeMode: 1
; LDSByteSize: 0 bytes/workgroup (compile time only)
; SGPRBlocks: 0
; VGPRBlocks: 0
; NumSGPRsForWavesPerEU: 1
; NumVGPRsForWavesPerEU: 1
; Occupancy: 16
; WaveLimiterHint : 0
; COMPUTE_PGM_RSRC2:SCRATCH_EN: 0
; COMPUTE_PGM_RSRC2:USER_SGPR: 6
; COMPUTE_PGM_RSRC2:TRAP_HANDLER: 0
; COMPUTE_PGM_RSRC2:TGID_X_EN: 1
; COMPUTE_PGM_RSRC2:TGID_Y_EN: 0
; COMPUTE_PGM_RSRC2:TGID_Z_EN: 0
; COMPUTE_PGM_RSRC2:TIDIG_COMP_CNT: 0
	.section	.text._ZN7rocprim17ROCPRIM_400000_NS6detail17trampoline_kernelINS0_13select_configILj256ELj13ELNS0_17block_load_methodE3ELS4_3ELS4_3ELNS0_20block_scan_algorithmE0ELj4294967295EEENS1_25partition_config_selectorILNS1_17partition_subalgoE4EjNS0_10empty_typeEbEEZZNS1_14partition_implILS8_4ELb0ES6_15HIP_vector_typeIjLj2EENS0_17counting_iteratorIjlEEPS9_SG_NS0_5tupleIJPjSI_NS0_16reverse_iteratorISI_EEEEENSH_IJSG_SG_SG_EEES9_SI_JZNS1_25segmented_radix_sort_implINS0_14default_configELb1EPK6__halfPSP_PKlPlN2at6native12_GLOBAL__N_18offset_tEEE10hipError_tPvRmT1_PNSt15iterator_traitsIS13_E10value_typeET2_T3_PNS14_IS19_E10value_typeET4_jRbjT5_S1F_jjP12ihipStream_tbEUljE_ZNSN_ISO_Lb1ESR_SS_SU_SV_SZ_EES10_S11_S12_S13_S17_S18_S19_S1C_S1D_jS1E_jS1F_S1F_jjS1H_bEUljE0_EEES10_S11_S12_S19_S1D_S1F_T6_T7_T9_mT8_S1H_bDpT10_ENKUlT_T0_E_clISt17integral_constantIbLb1EES1U_IbLb0EEEEDaS1Q_S1R_EUlS1Q_E_NS1_11comp_targetILNS1_3genE9ELNS1_11target_archE1100ELNS1_3gpuE3ELNS1_3repE0EEENS1_30default_config_static_selectorELNS0_4arch9wavefront6targetE0EEEvS13_,"axG",@progbits,_ZN7rocprim17ROCPRIM_400000_NS6detail17trampoline_kernelINS0_13select_configILj256ELj13ELNS0_17block_load_methodE3ELS4_3ELS4_3ELNS0_20block_scan_algorithmE0ELj4294967295EEENS1_25partition_config_selectorILNS1_17partition_subalgoE4EjNS0_10empty_typeEbEEZZNS1_14partition_implILS8_4ELb0ES6_15HIP_vector_typeIjLj2EENS0_17counting_iteratorIjlEEPS9_SG_NS0_5tupleIJPjSI_NS0_16reverse_iteratorISI_EEEEENSH_IJSG_SG_SG_EEES9_SI_JZNS1_25segmented_radix_sort_implINS0_14default_configELb1EPK6__halfPSP_PKlPlN2at6native12_GLOBAL__N_18offset_tEEE10hipError_tPvRmT1_PNSt15iterator_traitsIS13_E10value_typeET2_T3_PNS14_IS19_E10value_typeET4_jRbjT5_S1F_jjP12ihipStream_tbEUljE_ZNSN_ISO_Lb1ESR_SS_SU_SV_SZ_EES10_S11_S12_S13_S17_S18_S19_S1C_S1D_jS1E_jS1F_S1F_jjS1H_bEUljE0_EEES10_S11_S12_S19_S1D_S1F_T6_T7_T9_mT8_S1H_bDpT10_ENKUlT_T0_E_clISt17integral_constantIbLb1EES1U_IbLb0EEEEDaS1Q_S1R_EUlS1Q_E_NS1_11comp_targetILNS1_3genE9ELNS1_11target_archE1100ELNS1_3gpuE3ELNS1_3repE0EEENS1_30default_config_static_selectorELNS0_4arch9wavefront6targetE0EEEvS13_,comdat
	.globl	_ZN7rocprim17ROCPRIM_400000_NS6detail17trampoline_kernelINS0_13select_configILj256ELj13ELNS0_17block_load_methodE3ELS4_3ELS4_3ELNS0_20block_scan_algorithmE0ELj4294967295EEENS1_25partition_config_selectorILNS1_17partition_subalgoE4EjNS0_10empty_typeEbEEZZNS1_14partition_implILS8_4ELb0ES6_15HIP_vector_typeIjLj2EENS0_17counting_iteratorIjlEEPS9_SG_NS0_5tupleIJPjSI_NS0_16reverse_iteratorISI_EEEEENSH_IJSG_SG_SG_EEES9_SI_JZNS1_25segmented_radix_sort_implINS0_14default_configELb1EPK6__halfPSP_PKlPlN2at6native12_GLOBAL__N_18offset_tEEE10hipError_tPvRmT1_PNSt15iterator_traitsIS13_E10value_typeET2_T3_PNS14_IS19_E10value_typeET4_jRbjT5_S1F_jjP12ihipStream_tbEUljE_ZNSN_ISO_Lb1ESR_SS_SU_SV_SZ_EES10_S11_S12_S13_S17_S18_S19_S1C_S1D_jS1E_jS1F_S1F_jjS1H_bEUljE0_EEES10_S11_S12_S19_S1D_S1F_T6_T7_T9_mT8_S1H_bDpT10_ENKUlT_T0_E_clISt17integral_constantIbLb1EES1U_IbLb0EEEEDaS1Q_S1R_EUlS1Q_E_NS1_11comp_targetILNS1_3genE9ELNS1_11target_archE1100ELNS1_3gpuE3ELNS1_3repE0EEENS1_30default_config_static_selectorELNS0_4arch9wavefront6targetE0EEEvS13_ ; -- Begin function _ZN7rocprim17ROCPRIM_400000_NS6detail17trampoline_kernelINS0_13select_configILj256ELj13ELNS0_17block_load_methodE3ELS4_3ELS4_3ELNS0_20block_scan_algorithmE0ELj4294967295EEENS1_25partition_config_selectorILNS1_17partition_subalgoE4EjNS0_10empty_typeEbEEZZNS1_14partition_implILS8_4ELb0ES6_15HIP_vector_typeIjLj2EENS0_17counting_iteratorIjlEEPS9_SG_NS0_5tupleIJPjSI_NS0_16reverse_iteratorISI_EEEEENSH_IJSG_SG_SG_EEES9_SI_JZNS1_25segmented_radix_sort_implINS0_14default_configELb1EPK6__halfPSP_PKlPlN2at6native12_GLOBAL__N_18offset_tEEE10hipError_tPvRmT1_PNSt15iterator_traitsIS13_E10value_typeET2_T3_PNS14_IS19_E10value_typeET4_jRbjT5_S1F_jjP12ihipStream_tbEUljE_ZNSN_ISO_Lb1ESR_SS_SU_SV_SZ_EES10_S11_S12_S13_S17_S18_S19_S1C_S1D_jS1E_jS1F_S1F_jjS1H_bEUljE0_EEES10_S11_S12_S19_S1D_S1F_T6_T7_T9_mT8_S1H_bDpT10_ENKUlT_T0_E_clISt17integral_constantIbLb1EES1U_IbLb0EEEEDaS1Q_S1R_EUlS1Q_E_NS1_11comp_targetILNS1_3genE9ELNS1_11target_archE1100ELNS1_3gpuE3ELNS1_3repE0EEENS1_30default_config_static_selectorELNS0_4arch9wavefront6targetE0EEEvS13_
	.p2align	8
	.type	_ZN7rocprim17ROCPRIM_400000_NS6detail17trampoline_kernelINS0_13select_configILj256ELj13ELNS0_17block_load_methodE3ELS4_3ELS4_3ELNS0_20block_scan_algorithmE0ELj4294967295EEENS1_25partition_config_selectorILNS1_17partition_subalgoE4EjNS0_10empty_typeEbEEZZNS1_14partition_implILS8_4ELb0ES6_15HIP_vector_typeIjLj2EENS0_17counting_iteratorIjlEEPS9_SG_NS0_5tupleIJPjSI_NS0_16reverse_iteratorISI_EEEEENSH_IJSG_SG_SG_EEES9_SI_JZNS1_25segmented_radix_sort_implINS0_14default_configELb1EPK6__halfPSP_PKlPlN2at6native12_GLOBAL__N_18offset_tEEE10hipError_tPvRmT1_PNSt15iterator_traitsIS13_E10value_typeET2_T3_PNS14_IS19_E10value_typeET4_jRbjT5_S1F_jjP12ihipStream_tbEUljE_ZNSN_ISO_Lb1ESR_SS_SU_SV_SZ_EES10_S11_S12_S13_S17_S18_S19_S1C_S1D_jS1E_jS1F_S1F_jjS1H_bEUljE0_EEES10_S11_S12_S19_S1D_S1F_T6_T7_T9_mT8_S1H_bDpT10_ENKUlT_T0_E_clISt17integral_constantIbLb1EES1U_IbLb0EEEEDaS1Q_S1R_EUlS1Q_E_NS1_11comp_targetILNS1_3genE9ELNS1_11target_archE1100ELNS1_3gpuE3ELNS1_3repE0EEENS1_30default_config_static_selectorELNS0_4arch9wavefront6targetE0EEEvS13_,@function
_ZN7rocprim17ROCPRIM_400000_NS6detail17trampoline_kernelINS0_13select_configILj256ELj13ELNS0_17block_load_methodE3ELS4_3ELS4_3ELNS0_20block_scan_algorithmE0ELj4294967295EEENS1_25partition_config_selectorILNS1_17partition_subalgoE4EjNS0_10empty_typeEbEEZZNS1_14partition_implILS8_4ELb0ES6_15HIP_vector_typeIjLj2EENS0_17counting_iteratorIjlEEPS9_SG_NS0_5tupleIJPjSI_NS0_16reverse_iteratorISI_EEEEENSH_IJSG_SG_SG_EEES9_SI_JZNS1_25segmented_radix_sort_implINS0_14default_configELb1EPK6__halfPSP_PKlPlN2at6native12_GLOBAL__N_18offset_tEEE10hipError_tPvRmT1_PNSt15iterator_traitsIS13_E10value_typeET2_T3_PNS14_IS19_E10value_typeET4_jRbjT5_S1F_jjP12ihipStream_tbEUljE_ZNSN_ISO_Lb1ESR_SS_SU_SV_SZ_EES10_S11_S12_S13_S17_S18_S19_S1C_S1D_jS1E_jS1F_S1F_jjS1H_bEUljE0_EEES10_S11_S12_S19_S1D_S1F_T6_T7_T9_mT8_S1H_bDpT10_ENKUlT_T0_E_clISt17integral_constantIbLb1EES1U_IbLb0EEEEDaS1Q_S1R_EUlS1Q_E_NS1_11comp_targetILNS1_3genE9ELNS1_11target_archE1100ELNS1_3gpuE3ELNS1_3repE0EEENS1_30default_config_static_selectorELNS0_4arch9wavefront6targetE0EEEvS13_: ; @_ZN7rocprim17ROCPRIM_400000_NS6detail17trampoline_kernelINS0_13select_configILj256ELj13ELNS0_17block_load_methodE3ELS4_3ELS4_3ELNS0_20block_scan_algorithmE0ELj4294967295EEENS1_25partition_config_selectorILNS1_17partition_subalgoE4EjNS0_10empty_typeEbEEZZNS1_14partition_implILS8_4ELb0ES6_15HIP_vector_typeIjLj2EENS0_17counting_iteratorIjlEEPS9_SG_NS0_5tupleIJPjSI_NS0_16reverse_iteratorISI_EEEEENSH_IJSG_SG_SG_EEES9_SI_JZNS1_25segmented_radix_sort_implINS0_14default_configELb1EPK6__halfPSP_PKlPlN2at6native12_GLOBAL__N_18offset_tEEE10hipError_tPvRmT1_PNSt15iterator_traitsIS13_E10value_typeET2_T3_PNS14_IS19_E10value_typeET4_jRbjT5_S1F_jjP12ihipStream_tbEUljE_ZNSN_ISO_Lb1ESR_SS_SU_SV_SZ_EES10_S11_S12_S13_S17_S18_S19_S1C_S1D_jS1E_jS1F_S1F_jjS1H_bEUljE0_EEES10_S11_S12_S19_S1D_S1F_T6_T7_T9_mT8_S1H_bDpT10_ENKUlT_T0_E_clISt17integral_constantIbLb1EES1U_IbLb0EEEEDaS1Q_S1R_EUlS1Q_E_NS1_11comp_targetILNS1_3genE9ELNS1_11target_archE1100ELNS1_3gpuE3ELNS1_3repE0EEENS1_30default_config_static_selectorELNS0_4arch9wavefront6targetE0EEEvS13_
; %bb.0:
	.section	.rodata,"a",@progbits
	.p2align	6, 0x0
	.amdhsa_kernel _ZN7rocprim17ROCPRIM_400000_NS6detail17trampoline_kernelINS0_13select_configILj256ELj13ELNS0_17block_load_methodE3ELS4_3ELS4_3ELNS0_20block_scan_algorithmE0ELj4294967295EEENS1_25partition_config_selectorILNS1_17partition_subalgoE4EjNS0_10empty_typeEbEEZZNS1_14partition_implILS8_4ELb0ES6_15HIP_vector_typeIjLj2EENS0_17counting_iteratorIjlEEPS9_SG_NS0_5tupleIJPjSI_NS0_16reverse_iteratorISI_EEEEENSH_IJSG_SG_SG_EEES9_SI_JZNS1_25segmented_radix_sort_implINS0_14default_configELb1EPK6__halfPSP_PKlPlN2at6native12_GLOBAL__N_18offset_tEEE10hipError_tPvRmT1_PNSt15iterator_traitsIS13_E10value_typeET2_T3_PNS14_IS19_E10value_typeET4_jRbjT5_S1F_jjP12ihipStream_tbEUljE_ZNSN_ISO_Lb1ESR_SS_SU_SV_SZ_EES10_S11_S12_S13_S17_S18_S19_S1C_S1D_jS1E_jS1F_S1F_jjS1H_bEUljE0_EEES10_S11_S12_S19_S1D_S1F_T6_T7_T9_mT8_S1H_bDpT10_ENKUlT_T0_E_clISt17integral_constantIbLb1EES1U_IbLb0EEEEDaS1Q_S1R_EUlS1Q_E_NS1_11comp_targetILNS1_3genE9ELNS1_11target_archE1100ELNS1_3gpuE3ELNS1_3repE0EEENS1_30default_config_static_selectorELNS0_4arch9wavefront6targetE0EEEvS13_
		.amdhsa_group_segment_fixed_size 0
		.amdhsa_private_segment_fixed_size 0
		.amdhsa_kernarg_size 176
		.amdhsa_user_sgpr_count 6
		.amdhsa_user_sgpr_private_segment_buffer 1
		.amdhsa_user_sgpr_dispatch_ptr 0
		.amdhsa_user_sgpr_queue_ptr 0
		.amdhsa_user_sgpr_kernarg_segment_ptr 1
		.amdhsa_user_sgpr_dispatch_id 0
		.amdhsa_user_sgpr_flat_scratch_init 0
		.amdhsa_user_sgpr_private_segment_size 0
		.amdhsa_wavefront_size32 1
		.amdhsa_uses_dynamic_stack 0
		.amdhsa_system_sgpr_private_segment_wavefront_offset 0
		.amdhsa_system_sgpr_workgroup_id_x 1
		.amdhsa_system_sgpr_workgroup_id_y 0
		.amdhsa_system_sgpr_workgroup_id_z 0
		.amdhsa_system_sgpr_workgroup_info 0
		.amdhsa_system_vgpr_workitem_id 0
		.amdhsa_next_free_vgpr 1
		.amdhsa_next_free_sgpr 1
		.amdhsa_reserve_vcc 0
		.amdhsa_reserve_flat_scratch 0
		.amdhsa_float_round_mode_32 0
		.amdhsa_float_round_mode_16_64 0
		.amdhsa_float_denorm_mode_32 3
		.amdhsa_float_denorm_mode_16_64 3
		.amdhsa_dx10_clamp 1
		.amdhsa_ieee_mode 1
		.amdhsa_fp16_overflow 0
		.amdhsa_workgroup_processor_mode 1
		.amdhsa_memory_ordered 1
		.amdhsa_forward_progress 1
		.amdhsa_shared_vgpr_count 0
		.amdhsa_exception_fp_ieee_invalid_op 0
		.amdhsa_exception_fp_denorm_src 0
		.amdhsa_exception_fp_ieee_div_zero 0
		.amdhsa_exception_fp_ieee_overflow 0
		.amdhsa_exception_fp_ieee_underflow 0
		.amdhsa_exception_fp_ieee_inexact 0
		.amdhsa_exception_int_div_zero 0
	.end_amdhsa_kernel
	.section	.text._ZN7rocprim17ROCPRIM_400000_NS6detail17trampoline_kernelINS0_13select_configILj256ELj13ELNS0_17block_load_methodE3ELS4_3ELS4_3ELNS0_20block_scan_algorithmE0ELj4294967295EEENS1_25partition_config_selectorILNS1_17partition_subalgoE4EjNS0_10empty_typeEbEEZZNS1_14partition_implILS8_4ELb0ES6_15HIP_vector_typeIjLj2EENS0_17counting_iteratorIjlEEPS9_SG_NS0_5tupleIJPjSI_NS0_16reverse_iteratorISI_EEEEENSH_IJSG_SG_SG_EEES9_SI_JZNS1_25segmented_radix_sort_implINS0_14default_configELb1EPK6__halfPSP_PKlPlN2at6native12_GLOBAL__N_18offset_tEEE10hipError_tPvRmT1_PNSt15iterator_traitsIS13_E10value_typeET2_T3_PNS14_IS19_E10value_typeET4_jRbjT5_S1F_jjP12ihipStream_tbEUljE_ZNSN_ISO_Lb1ESR_SS_SU_SV_SZ_EES10_S11_S12_S13_S17_S18_S19_S1C_S1D_jS1E_jS1F_S1F_jjS1H_bEUljE0_EEES10_S11_S12_S19_S1D_S1F_T6_T7_T9_mT8_S1H_bDpT10_ENKUlT_T0_E_clISt17integral_constantIbLb1EES1U_IbLb0EEEEDaS1Q_S1R_EUlS1Q_E_NS1_11comp_targetILNS1_3genE9ELNS1_11target_archE1100ELNS1_3gpuE3ELNS1_3repE0EEENS1_30default_config_static_selectorELNS0_4arch9wavefront6targetE0EEEvS13_,"axG",@progbits,_ZN7rocprim17ROCPRIM_400000_NS6detail17trampoline_kernelINS0_13select_configILj256ELj13ELNS0_17block_load_methodE3ELS4_3ELS4_3ELNS0_20block_scan_algorithmE0ELj4294967295EEENS1_25partition_config_selectorILNS1_17partition_subalgoE4EjNS0_10empty_typeEbEEZZNS1_14partition_implILS8_4ELb0ES6_15HIP_vector_typeIjLj2EENS0_17counting_iteratorIjlEEPS9_SG_NS0_5tupleIJPjSI_NS0_16reverse_iteratorISI_EEEEENSH_IJSG_SG_SG_EEES9_SI_JZNS1_25segmented_radix_sort_implINS0_14default_configELb1EPK6__halfPSP_PKlPlN2at6native12_GLOBAL__N_18offset_tEEE10hipError_tPvRmT1_PNSt15iterator_traitsIS13_E10value_typeET2_T3_PNS14_IS19_E10value_typeET4_jRbjT5_S1F_jjP12ihipStream_tbEUljE_ZNSN_ISO_Lb1ESR_SS_SU_SV_SZ_EES10_S11_S12_S13_S17_S18_S19_S1C_S1D_jS1E_jS1F_S1F_jjS1H_bEUljE0_EEES10_S11_S12_S19_S1D_S1F_T6_T7_T9_mT8_S1H_bDpT10_ENKUlT_T0_E_clISt17integral_constantIbLb1EES1U_IbLb0EEEEDaS1Q_S1R_EUlS1Q_E_NS1_11comp_targetILNS1_3genE9ELNS1_11target_archE1100ELNS1_3gpuE3ELNS1_3repE0EEENS1_30default_config_static_selectorELNS0_4arch9wavefront6targetE0EEEvS13_,comdat
.Lfunc_end1687:
	.size	_ZN7rocprim17ROCPRIM_400000_NS6detail17trampoline_kernelINS0_13select_configILj256ELj13ELNS0_17block_load_methodE3ELS4_3ELS4_3ELNS0_20block_scan_algorithmE0ELj4294967295EEENS1_25partition_config_selectorILNS1_17partition_subalgoE4EjNS0_10empty_typeEbEEZZNS1_14partition_implILS8_4ELb0ES6_15HIP_vector_typeIjLj2EENS0_17counting_iteratorIjlEEPS9_SG_NS0_5tupleIJPjSI_NS0_16reverse_iteratorISI_EEEEENSH_IJSG_SG_SG_EEES9_SI_JZNS1_25segmented_radix_sort_implINS0_14default_configELb1EPK6__halfPSP_PKlPlN2at6native12_GLOBAL__N_18offset_tEEE10hipError_tPvRmT1_PNSt15iterator_traitsIS13_E10value_typeET2_T3_PNS14_IS19_E10value_typeET4_jRbjT5_S1F_jjP12ihipStream_tbEUljE_ZNSN_ISO_Lb1ESR_SS_SU_SV_SZ_EES10_S11_S12_S13_S17_S18_S19_S1C_S1D_jS1E_jS1F_S1F_jjS1H_bEUljE0_EEES10_S11_S12_S19_S1D_S1F_T6_T7_T9_mT8_S1H_bDpT10_ENKUlT_T0_E_clISt17integral_constantIbLb1EES1U_IbLb0EEEEDaS1Q_S1R_EUlS1Q_E_NS1_11comp_targetILNS1_3genE9ELNS1_11target_archE1100ELNS1_3gpuE3ELNS1_3repE0EEENS1_30default_config_static_selectorELNS0_4arch9wavefront6targetE0EEEvS13_, .Lfunc_end1687-_ZN7rocprim17ROCPRIM_400000_NS6detail17trampoline_kernelINS0_13select_configILj256ELj13ELNS0_17block_load_methodE3ELS4_3ELS4_3ELNS0_20block_scan_algorithmE0ELj4294967295EEENS1_25partition_config_selectorILNS1_17partition_subalgoE4EjNS0_10empty_typeEbEEZZNS1_14partition_implILS8_4ELb0ES6_15HIP_vector_typeIjLj2EENS0_17counting_iteratorIjlEEPS9_SG_NS0_5tupleIJPjSI_NS0_16reverse_iteratorISI_EEEEENSH_IJSG_SG_SG_EEES9_SI_JZNS1_25segmented_radix_sort_implINS0_14default_configELb1EPK6__halfPSP_PKlPlN2at6native12_GLOBAL__N_18offset_tEEE10hipError_tPvRmT1_PNSt15iterator_traitsIS13_E10value_typeET2_T3_PNS14_IS19_E10value_typeET4_jRbjT5_S1F_jjP12ihipStream_tbEUljE_ZNSN_ISO_Lb1ESR_SS_SU_SV_SZ_EES10_S11_S12_S13_S17_S18_S19_S1C_S1D_jS1E_jS1F_S1F_jjS1H_bEUljE0_EEES10_S11_S12_S19_S1D_S1F_T6_T7_T9_mT8_S1H_bDpT10_ENKUlT_T0_E_clISt17integral_constantIbLb1EES1U_IbLb0EEEEDaS1Q_S1R_EUlS1Q_E_NS1_11comp_targetILNS1_3genE9ELNS1_11target_archE1100ELNS1_3gpuE3ELNS1_3repE0EEENS1_30default_config_static_selectorELNS0_4arch9wavefront6targetE0EEEvS13_
                                        ; -- End function
	.set _ZN7rocprim17ROCPRIM_400000_NS6detail17trampoline_kernelINS0_13select_configILj256ELj13ELNS0_17block_load_methodE3ELS4_3ELS4_3ELNS0_20block_scan_algorithmE0ELj4294967295EEENS1_25partition_config_selectorILNS1_17partition_subalgoE4EjNS0_10empty_typeEbEEZZNS1_14partition_implILS8_4ELb0ES6_15HIP_vector_typeIjLj2EENS0_17counting_iteratorIjlEEPS9_SG_NS0_5tupleIJPjSI_NS0_16reverse_iteratorISI_EEEEENSH_IJSG_SG_SG_EEES9_SI_JZNS1_25segmented_radix_sort_implINS0_14default_configELb1EPK6__halfPSP_PKlPlN2at6native12_GLOBAL__N_18offset_tEEE10hipError_tPvRmT1_PNSt15iterator_traitsIS13_E10value_typeET2_T3_PNS14_IS19_E10value_typeET4_jRbjT5_S1F_jjP12ihipStream_tbEUljE_ZNSN_ISO_Lb1ESR_SS_SU_SV_SZ_EES10_S11_S12_S13_S17_S18_S19_S1C_S1D_jS1E_jS1F_S1F_jjS1H_bEUljE0_EEES10_S11_S12_S19_S1D_S1F_T6_T7_T9_mT8_S1H_bDpT10_ENKUlT_T0_E_clISt17integral_constantIbLb1EES1U_IbLb0EEEEDaS1Q_S1R_EUlS1Q_E_NS1_11comp_targetILNS1_3genE9ELNS1_11target_archE1100ELNS1_3gpuE3ELNS1_3repE0EEENS1_30default_config_static_selectorELNS0_4arch9wavefront6targetE0EEEvS13_.num_vgpr, 0
	.set _ZN7rocprim17ROCPRIM_400000_NS6detail17trampoline_kernelINS0_13select_configILj256ELj13ELNS0_17block_load_methodE3ELS4_3ELS4_3ELNS0_20block_scan_algorithmE0ELj4294967295EEENS1_25partition_config_selectorILNS1_17partition_subalgoE4EjNS0_10empty_typeEbEEZZNS1_14partition_implILS8_4ELb0ES6_15HIP_vector_typeIjLj2EENS0_17counting_iteratorIjlEEPS9_SG_NS0_5tupleIJPjSI_NS0_16reverse_iteratorISI_EEEEENSH_IJSG_SG_SG_EEES9_SI_JZNS1_25segmented_radix_sort_implINS0_14default_configELb1EPK6__halfPSP_PKlPlN2at6native12_GLOBAL__N_18offset_tEEE10hipError_tPvRmT1_PNSt15iterator_traitsIS13_E10value_typeET2_T3_PNS14_IS19_E10value_typeET4_jRbjT5_S1F_jjP12ihipStream_tbEUljE_ZNSN_ISO_Lb1ESR_SS_SU_SV_SZ_EES10_S11_S12_S13_S17_S18_S19_S1C_S1D_jS1E_jS1F_S1F_jjS1H_bEUljE0_EEES10_S11_S12_S19_S1D_S1F_T6_T7_T9_mT8_S1H_bDpT10_ENKUlT_T0_E_clISt17integral_constantIbLb1EES1U_IbLb0EEEEDaS1Q_S1R_EUlS1Q_E_NS1_11comp_targetILNS1_3genE9ELNS1_11target_archE1100ELNS1_3gpuE3ELNS1_3repE0EEENS1_30default_config_static_selectorELNS0_4arch9wavefront6targetE0EEEvS13_.num_agpr, 0
	.set _ZN7rocprim17ROCPRIM_400000_NS6detail17trampoline_kernelINS0_13select_configILj256ELj13ELNS0_17block_load_methodE3ELS4_3ELS4_3ELNS0_20block_scan_algorithmE0ELj4294967295EEENS1_25partition_config_selectorILNS1_17partition_subalgoE4EjNS0_10empty_typeEbEEZZNS1_14partition_implILS8_4ELb0ES6_15HIP_vector_typeIjLj2EENS0_17counting_iteratorIjlEEPS9_SG_NS0_5tupleIJPjSI_NS0_16reverse_iteratorISI_EEEEENSH_IJSG_SG_SG_EEES9_SI_JZNS1_25segmented_radix_sort_implINS0_14default_configELb1EPK6__halfPSP_PKlPlN2at6native12_GLOBAL__N_18offset_tEEE10hipError_tPvRmT1_PNSt15iterator_traitsIS13_E10value_typeET2_T3_PNS14_IS19_E10value_typeET4_jRbjT5_S1F_jjP12ihipStream_tbEUljE_ZNSN_ISO_Lb1ESR_SS_SU_SV_SZ_EES10_S11_S12_S13_S17_S18_S19_S1C_S1D_jS1E_jS1F_S1F_jjS1H_bEUljE0_EEES10_S11_S12_S19_S1D_S1F_T6_T7_T9_mT8_S1H_bDpT10_ENKUlT_T0_E_clISt17integral_constantIbLb1EES1U_IbLb0EEEEDaS1Q_S1R_EUlS1Q_E_NS1_11comp_targetILNS1_3genE9ELNS1_11target_archE1100ELNS1_3gpuE3ELNS1_3repE0EEENS1_30default_config_static_selectorELNS0_4arch9wavefront6targetE0EEEvS13_.numbered_sgpr, 0
	.set _ZN7rocprim17ROCPRIM_400000_NS6detail17trampoline_kernelINS0_13select_configILj256ELj13ELNS0_17block_load_methodE3ELS4_3ELS4_3ELNS0_20block_scan_algorithmE0ELj4294967295EEENS1_25partition_config_selectorILNS1_17partition_subalgoE4EjNS0_10empty_typeEbEEZZNS1_14partition_implILS8_4ELb0ES6_15HIP_vector_typeIjLj2EENS0_17counting_iteratorIjlEEPS9_SG_NS0_5tupleIJPjSI_NS0_16reverse_iteratorISI_EEEEENSH_IJSG_SG_SG_EEES9_SI_JZNS1_25segmented_radix_sort_implINS0_14default_configELb1EPK6__halfPSP_PKlPlN2at6native12_GLOBAL__N_18offset_tEEE10hipError_tPvRmT1_PNSt15iterator_traitsIS13_E10value_typeET2_T3_PNS14_IS19_E10value_typeET4_jRbjT5_S1F_jjP12ihipStream_tbEUljE_ZNSN_ISO_Lb1ESR_SS_SU_SV_SZ_EES10_S11_S12_S13_S17_S18_S19_S1C_S1D_jS1E_jS1F_S1F_jjS1H_bEUljE0_EEES10_S11_S12_S19_S1D_S1F_T6_T7_T9_mT8_S1H_bDpT10_ENKUlT_T0_E_clISt17integral_constantIbLb1EES1U_IbLb0EEEEDaS1Q_S1R_EUlS1Q_E_NS1_11comp_targetILNS1_3genE9ELNS1_11target_archE1100ELNS1_3gpuE3ELNS1_3repE0EEENS1_30default_config_static_selectorELNS0_4arch9wavefront6targetE0EEEvS13_.num_named_barrier, 0
	.set _ZN7rocprim17ROCPRIM_400000_NS6detail17trampoline_kernelINS0_13select_configILj256ELj13ELNS0_17block_load_methodE3ELS4_3ELS4_3ELNS0_20block_scan_algorithmE0ELj4294967295EEENS1_25partition_config_selectorILNS1_17partition_subalgoE4EjNS0_10empty_typeEbEEZZNS1_14partition_implILS8_4ELb0ES6_15HIP_vector_typeIjLj2EENS0_17counting_iteratorIjlEEPS9_SG_NS0_5tupleIJPjSI_NS0_16reverse_iteratorISI_EEEEENSH_IJSG_SG_SG_EEES9_SI_JZNS1_25segmented_radix_sort_implINS0_14default_configELb1EPK6__halfPSP_PKlPlN2at6native12_GLOBAL__N_18offset_tEEE10hipError_tPvRmT1_PNSt15iterator_traitsIS13_E10value_typeET2_T3_PNS14_IS19_E10value_typeET4_jRbjT5_S1F_jjP12ihipStream_tbEUljE_ZNSN_ISO_Lb1ESR_SS_SU_SV_SZ_EES10_S11_S12_S13_S17_S18_S19_S1C_S1D_jS1E_jS1F_S1F_jjS1H_bEUljE0_EEES10_S11_S12_S19_S1D_S1F_T6_T7_T9_mT8_S1H_bDpT10_ENKUlT_T0_E_clISt17integral_constantIbLb1EES1U_IbLb0EEEEDaS1Q_S1R_EUlS1Q_E_NS1_11comp_targetILNS1_3genE9ELNS1_11target_archE1100ELNS1_3gpuE3ELNS1_3repE0EEENS1_30default_config_static_selectorELNS0_4arch9wavefront6targetE0EEEvS13_.private_seg_size, 0
	.set _ZN7rocprim17ROCPRIM_400000_NS6detail17trampoline_kernelINS0_13select_configILj256ELj13ELNS0_17block_load_methodE3ELS4_3ELS4_3ELNS0_20block_scan_algorithmE0ELj4294967295EEENS1_25partition_config_selectorILNS1_17partition_subalgoE4EjNS0_10empty_typeEbEEZZNS1_14partition_implILS8_4ELb0ES6_15HIP_vector_typeIjLj2EENS0_17counting_iteratorIjlEEPS9_SG_NS0_5tupleIJPjSI_NS0_16reverse_iteratorISI_EEEEENSH_IJSG_SG_SG_EEES9_SI_JZNS1_25segmented_radix_sort_implINS0_14default_configELb1EPK6__halfPSP_PKlPlN2at6native12_GLOBAL__N_18offset_tEEE10hipError_tPvRmT1_PNSt15iterator_traitsIS13_E10value_typeET2_T3_PNS14_IS19_E10value_typeET4_jRbjT5_S1F_jjP12ihipStream_tbEUljE_ZNSN_ISO_Lb1ESR_SS_SU_SV_SZ_EES10_S11_S12_S13_S17_S18_S19_S1C_S1D_jS1E_jS1F_S1F_jjS1H_bEUljE0_EEES10_S11_S12_S19_S1D_S1F_T6_T7_T9_mT8_S1H_bDpT10_ENKUlT_T0_E_clISt17integral_constantIbLb1EES1U_IbLb0EEEEDaS1Q_S1R_EUlS1Q_E_NS1_11comp_targetILNS1_3genE9ELNS1_11target_archE1100ELNS1_3gpuE3ELNS1_3repE0EEENS1_30default_config_static_selectorELNS0_4arch9wavefront6targetE0EEEvS13_.uses_vcc, 0
	.set _ZN7rocprim17ROCPRIM_400000_NS6detail17trampoline_kernelINS0_13select_configILj256ELj13ELNS0_17block_load_methodE3ELS4_3ELS4_3ELNS0_20block_scan_algorithmE0ELj4294967295EEENS1_25partition_config_selectorILNS1_17partition_subalgoE4EjNS0_10empty_typeEbEEZZNS1_14partition_implILS8_4ELb0ES6_15HIP_vector_typeIjLj2EENS0_17counting_iteratorIjlEEPS9_SG_NS0_5tupleIJPjSI_NS0_16reverse_iteratorISI_EEEEENSH_IJSG_SG_SG_EEES9_SI_JZNS1_25segmented_radix_sort_implINS0_14default_configELb1EPK6__halfPSP_PKlPlN2at6native12_GLOBAL__N_18offset_tEEE10hipError_tPvRmT1_PNSt15iterator_traitsIS13_E10value_typeET2_T3_PNS14_IS19_E10value_typeET4_jRbjT5_S1F_jjP12ihipStream_tbEUljE_ZNSN_ISO_Lb1ESR_SS_SU_SV_SZ_EES10_S11_S12_S13_S17_S18_S19_S1C_S1D_jS1E_jS1F_S1F_jjS1H_bEUljE0_EEES10_S11_S12_S19_S1D_S1F_T6_T7_T9_mT8_S1H_bDpT10_ENKUlT_T0_E_clISt17integral_constantIbLb1EES1U_IbLb0EEEEDaS1Q_S1R_EUlS1Q_E_NS1_11comp_targetILNS1_3genE9ELNS1_11target_archE1100ELNS1_3gpuE3ELNS1_3repE0EEENS1_30default_config_static_selectorELNS0_4arch9wavefront6targetE0EEEvS13_.uses_flat_scratch, 0
	.set _ZN7rocprim17ROCPRIM_400000_NS6detail17trampoline_kernelINS0_13select_configILj256ELj13ELNS0_17block_load_methodE3ELS4_3ELS4_3ELNS0_20block_scan_algorithmE0ELj4294967295EEENS1_25partition_config_selectorILNS1_17partition_subalgoE4EjNS0_10empty_typeEbEEZZNS1_14partition_implILS8_4ELb0ES6_15HIP_vector_typeIjLj2EENS0_17counting_iteratorIjlEEPS9_SG_NS0_5tupleIJPjSI_NS0_16reverse_iteratorISI_EEEEENSH_IJSG_SG_SG_EEES9_SI_JZNS1_25segmented_radix_sort_implINS0_14default_configELb1EPK6__halfPSP_PKlPlN2at6native12_GLOBAL__N_18offset_tEEE10hipError_tPvRmT1_PNSt15iterator_traitsIS13_E10value_typeET2_T3_PNS14_IS19_E10value_typeET4_jRbjT5_S1F_jjP12ihipStream_tbEUljE_ZNSN_ISO_Lb1ESR_SS_SU_SV_SZ_EES10_S11_S12_S13_S17_S18_S19_S1C_S1D_jS1E_jS1F_S1F_jjS1H_bEUljE0_EEES10_S11_S12_S19_S1D_S1F_T6_T7_T9_mT8_S1H_bDpT10_ENKUlT_T0_E_clISt17integral_constantIbLb1EES1U_IbLb0EEEEDaS1Q_S1R_EUlS1Q_E_NS1_11comp_targetILNS1_3genE9ELNS1_11target_archE1100ELNS1_3gpuE3ELNS1_3repE0EEENS1_30default_config_static_selectorELNS0_4arch9wavefront6targetE0EEEvS13_.has_dyn_sized_stack, 0
	.set _ZN7rocprim17ROCPRIM_400000_NS6detail17trampoline_kernelINS0_13select_configILj256ELj13ELNS0_17block_load_methodE3ELS4_3ELS4_3ELNS0_20block_scan_algorithmE0ELj4294967295EEENS1_25partition_config_selectorILNS1_17partition_subalgoE4EjNS0_10empty_typeEbEEZZNS1_14partition_implILS8_4ELb0ES6_15HIP_vector_typeIjLj2EENS0_17counting_iteratorIjlEEPS9_SG_NS0_5tupleIJPjSI_NS0_16reverse_iteratorISI_EEEEENSH_IJSG_SG_SG_EEES9_SI_JZNS1_25segmented_radix_sort_implINS0_14default_configELb1EPK6__halfPSP_PKlPlN2at6native12_GLOBAL__N_18offset_tEEE10hipError_tPvRmT1_PNSt15iterator_traitsIS13_E10value_typeET2_T3_PNS14_IS19_E10value_typeET4_jRbjT5_S1F_jjP12ihipStream_tbEUljE_ZNSN_ISO_Lb1ESR_SS_SU_SV_SZ_EES10_S11_S12_S13_S17_S18_S19_S1C_S1D_jS1E_jS1F_S1F_jjS1H_bEUljE0_EEES10_S11_S12_S19_S1D_S1F_T6_T7_T9_mT8_S1H_bDpT10_ENKUlT_T0_E_clISt17integral_constantIbLb1EES1U_IbLb0EEEEDaS1Q_S1R_EUlS1Q_E_NS1_11comp_targetILNS1_3genE9ELNS1_11target_archE1100ELNS1_3gpuE3ELNS1_3repE0EEENS1_30default_config_static_selectorELNS0_4arch9wavefront6targetE0EEEvS13_.has_recursion, 0
	.set _ZN7rocprim17ROCPRIM_400000_NS6detail17trampoline_kernelINS0_13select_configILj256ELj13ELNS0_17block_load_methodE3ELS4_3ELS4_3ELNS0_20block_scan_algorithmE0ELj4294967295EEENS1_25partition_config_selectorILNS1_17partition_subalgoE4EjNS0_10empty_typeEbEEZZNS1_14partition_implILS8_4ELb0ES6_15HIP_vector_typeIjLj2EENS0_17counting_iteratorIjlEEPS9_SG_NS0_5tupleIJPjSI_NS0_16reverse_iteratorISI_EEEEENSH_IJSG_SG_SG_EEES9_SI_JZNS1_25segmented_radix_sort_implINS0_14default_configELb1EPK6__halfPSP_PKlPlN2at6native12_GLOBAL__N_18offset_tEEE10hipError_tPvRmT1_PNSt15iterator_traitsIS13_E10value_typeET2_T3_PNS14_IS19_E10value_typeET4_jRbjT5_S1F_jjP12ihipStream_tbEUljE_ZNSN_ISO_Lb1ESR_SS_SU_SV_SZ_EES10_S11_S12_S13_S17_S18_S19_S1C_S1D_jS1E_jS1F_S1F_jjS1H_bEUljE0_EEES10_S11_S12_S19_S1D_S1F_T6_T7_T9_mT8_S1H_bDpT10_ENKUlT_T0_E_clISt17integral_constantIbLb1EES1U_IbLb0EEEEDaS1Q_S1R_EUlS1Q_E_NS1_11comp_targetILNS1_3genE9ELNS1_11target_archE1100ELNS1_3gpuE3ELNS1_3repE0EEENS1_30default_config_static_selectorELNS0_4arch9wavefront6targetE0EEEvS13_.has_indirect_call, 0
	.section	.AMDGPU.csdata,"",@progbits
; Kernel info:
; codeLenInByte = 0
; TotalNumSgprs: 0
; NumVgprs: 0
; ScratchSize: 0
; MemoryBound: 0
; FloatMode: 240
; IeeeMode: 1
; LDSByteSize: 0 bytes/workgroup (compile time only)
; SGPRBlocks: 0
; VGPRBlocks: 0
; NumSGPRsForWavesPerEU: 1
; NumVGPRsForWavesPerEU: 1
; Occupancy: 16
; WaveLimiterHint : 0
; COMPUTE_PGM_RSRC2:SCRATCH_EN: 0
; COMPUTE_PGM_RSRC2:USER_SGPR: 6
; COMPUTE_PGM_RSRC2:TRAP_HANDLER: 0
; COMPUTE_PGM_RSRC2:TGID_X_EN: 1
; COMPUTE_PGM_RSRC2:TGID_Y_EN: 0
; COMPUTE_PGM_RSRC2:TGID_Z_EN: 0
; COMPUTE_PGM_RSRC2:TIDIG_COMP_CNT: 0
	.section	.text._ZN7rocprim17ROCPRIM_400000_NS6detail17trampoline_kernelINS0_13select_configILj256ELj13ELNS0_17block_load_methodE3ELS4_3ELS4_3ELNS0_20block_scan_algorithmE0ELj4294967295EEENS1_25partition_config_selectorILNS1_17partition_subalgoE4EjNS0_10empty_typeEbEEZZNS1_14partition_implILS8_4ELb0ES6_15HIP_vector_typeIjLj2EENS0_17counting_iteratorIjlEEPS9_SG_NS0_5tupleIJPjSI_NS0_16reverse_iteratorISI_EEEEENSH_IJSG_SG_SG_EEES9_SI_JZNS1_25segmented_radix_sort_implINS0_14default_configELb1EPK6__halfPSP_PKlPlN2at6native12_GLOBAL__N_18offset_tEEE10hipError_tPvRmT1_PNSt15iterator_traitsIS13_E10value_typeET2_T3_PNS14_IS19_E10value_typeET4_jRbjT5_S1F_jjP12ihipStream_tbEUljE_ZNSN_ISO_Lb1ESR_SS_SU_SV_SZ_EES10_S11_S12_S13_S17_S18_S19_S1C_S1D_jS1E_jS1F_S1F_jjS1H_bEUljE0_EEES10_S11_S12_S19_S1D_S1F_T6_T7_T9_mT8_S1H_bDpT10_ENKUlT_T0_E_clISt17integral_constantIbLb1EES1U_IbLb0EEEEDaS1Q_S1R_EUlS1Q_E_NS1_11comp_targetILNS1_3genE8ELNS1_11target_archE1030ELNS1_3gpuE2ELNS1_3repE0EEENS1_30default_config_static_selectorELNS0_4arch9wavefront6targetE0EEEvS13_,"axG",@progbits,_ZN7rocprim17ROCPRIM_400000_NS6detail17trampoline_kernelINS0_13select_configILj256ELj13ELNS0_17block_load_methodE3ELS4_3ELS4_3ELNS0_20block_scan_algorithmE0ELj4294967295EEENS1_25partition_config_selectorILNS1_17partition_subalgoE4EjNS0_10empty_typeEbEEZZNS1_14partition_implILS8_4ELb0ES6_15HIP_vector_typeIjLj2EENS0_17counting_iteratorIjlEEPS9_SG_NS0_5tupleIJPjSI_NS0_16reverse_iteratorISI_EEEEENSH_IJSG_SG_SG_EEES9_SI_JZNS1_25segmented_radix_sort_implINS0_14default_configELb1EPK6__halfPSP_PKlPlN2at6native12_GLOBAL__N_18offset_tEEE10hipError_tPvRmT1_PNSt15iterator_traitsIS13_E10value_typeET2_T3_PNS14_IS19_E10value_typeET4_jRbjT5_S1F_jjP12ihipStream_tbEUljE_ZNSN_ISO_Lb1ESR_SS_SU_SV_SZ_EES10_S11_S12_S13_S17_S18_S19_S1C_S1D_jS1E_jS1F_S1F_jjS1H_bEUljE0_EEES10_S11_S12_S19_S1D_S1F_T6_T7_T9_mT8_S1H_bDpT10_ENKUlT_T0_E_clISt17integral_constantIbLb1EES1U_IbLb0EEEEDaS1Q_S1R_EUlS1Q_E_NS1_11comp_targetILNS1_3genE8ELNS1_11target_archE1030ELNS1_3gpuE2ELNS1_3repE0EEENS1_30default_config_static_selectorELNS0_4arch9wavefront6targetE0EEEvS13_,comdat
	.globl	_ZN7rocprim17ROCPRIM_400000_NS6detail17trampoline_kernelINS0_13select_configILj256ELj13ELNS0_17block_load_methodE3ELS4_3ELS4_3ELNS0_20block_scan_algorithmE0ELj4294967295EEENS1_25partition_config_selectorILNS1_17partition_subalgoE4EjNS0_10empty_typeEbEEZZNS1_14partition_implILS8_4ELb0ES6_15HIP_vector_typeIjLj2EENS0_17counting_iteratorIjlEEPS9_SG_NS0_5tupleIJPjSI_NS0_16reverse_iteratorISI_EEEEENSH_IJSG_SG_SG_EEES9_SI_JZNS1_25segmented_radix_sort_implINS0_14default_configELb1EPK6__halfPSP_PKlPlN2at6native12_GLOBAL__N_18offset_tEEE10hipError_tPvRmT1_PNSt15iterator_traitsIS13_E10value_typeET2_T3_PNS14_IS19_E10value_typeET4_jRbjT5_S1F_jjP12ihipStream_tbEUljE_ZNSN_ISO_Lb1ESR_SS_SU_SV_SZ_EES10_S11_S12_S13_S17_S18_S19_S1C_S1D_jS1E_jS1F_S1F_jjS1H_bEUljE0_EEES10_S11_S12_S19_S1D_S1F_T6_T7_T9_mT8_S1H_bDpT10_ENKUlT_T0_E_clISt17integral_constantIbLb1EES1U_IbLb0EEEEDaS1Q_S1R_EUlS1Q_E_NS1_11comp_targetILNS1_3genE8ELNS1_11target_archE1030ELNS1_3gpuE2ELNS1_3repE0EEENS1_30default_config_static_selectorELNS0_4arch9wavefront6targetE0EEEvS13_ ; -- Begin function _ZN7rocprim17ROCPRIM_400000_NS6detail17trampoline_kernelINS0_13select_configILj256ELj13ELNS0_17block_load_methodE3ELS4_3ELS4_3ELNS0_20block_scan_algorithmE0ELj4294967295EEENS1_25partition_config_selectorILNS1_17partition_subalgoE4EjNS0_10empty_typeEbEEZZNS1_14partition_implILS8_4ELb0ES6_15HIP_vector_typeIjLj2EENS0_17counting_iteratorIjlEEPS9_SG_NS0_5tupleIJPjSI_NS0_16reverse_iteratorISI_EEEEENSH_IJSG_SG_SG_EEES9_SI_JZNS1_25segmented_radix_sort_implINS0_14default_configELb1EPK6__halfPSP_PKlPlN2at6native12_GLOBAL__N_18offset_tEEE10hipError_tPvRmT1_PNSt15iterator_traitsIS13_E10value_typeET2_T3_PNS14_IS19_E10value_typeET4_jRbjT5_S1F_jjP12ihipStream_tbEUljE_ZNSN_ISO_Lb1ESR_SS_SU_SV_SZ_EES10_S11_S12_S13_S17_S18_S19_S1C_S1D_jS1E_jS1F_S1F_jjS1H_bEUljE0_EEES10_S11_S12_S19_S1D_S1F_T6_T7_T9_mT8_S1H_bDpT10_ENKUlT_T0_E_clISt17integral_constantIbLb1EES1U_IbLb0EEEEDaS1Q_S1R_EUlS1Q_E_NS1_11comp_targetILNS1_3genE8ELNS1_11target_archE1030ELNS1_3gpuE2ELNS1_3repE0EEENS1_30default_config_static_selectorELNS0_4arch9wavefront6targetE0EEEvS13_
	.p2align	8
	.type	_ZN7rocprim17ROCPRIM_400000_NS6detail17trampoline_kernelINS0_13select_configILj256ELj13ELNS0_17block_load_methodE3ELS4_3ELS4_3ELNS0_20block_scan_algorithmE0ELj4294967295EEENS1_25partition_config_selectorILNS1_17partition_subalgoE4EjNS0_10empty_typeEbEEZZNS1_14partition_implILS8_4ELb0ES6_15HIP_vector_typeIjLj2EENS0_17counting_iteratorIjlEEPS9_SG_NS0_5tupleIJPjSI_NS0_16reverse_iteratorISI_EEEEENSH_IJSG_SG_SG_EEES9_SI_JZNS1_25segmented_radix_sort_implINS0_14default_configELb1EPK6__halfPSP_PKlPlN2at6native12_GLOBAL__N_18offset_tEEE10hipError_tPvRmT1_PNSt15iterator_traitsIS13_E10value_typeET2_T3_PNS14_IS19_E10value_typeET4_jRbjT5_S1F_jjP12ihipStream_tbEUljE_ZNSN_ISO_Lb1ESR_SS_SU_SV_SZ_EES10_S11_S12_S13_S17_S18_S19_S1C_S1D_jS1E_jS1F_S1F_jjS1H_bEUljE0_EEES10_S11_S12_S19_S1D_S1F_T6_T7_T9_mT8_S1H_bDpT10_ENKUlT_T0_E_clISt17integral_constantIbLb1EES1U_IbLb0EEEEDaS1Q_S1R_EUlS1Q_E_NS1_11comp_targetILNS1_3genE8ELNS1_11target_archE1030ELNS1_3gpuE2ELNS1_3repE0EEENS1_30default_config_static_selectorELNS0_4arch9wavefront6targetE0EEEvS13_,@function
_ZN7rocprim17ROCPRIM_400000_NS6detail17trampoline_kernelINS0_13select_configILj256ELj13ELNS0_17block_load_methodE3ELS4_3ELS4_3ELNS0_20block_scan_algorithmE0ELj4294967295EEENS1_25partition_config_selectorILNS1_17partition_subalgoE4EjNS0_10empty_typeEbEEZZNS1_14partition_implILS8_4ELb0ES6_15HIP_vector_typeIjLj2EENS0_17counting_iteratorIjlEEPS9_SG_NS0_5tupleIJPjSI_NS0_16reverse_iteratorISI_EEEEENSH_IJSG_SG_SG_EEES9_SI_JZNS1_25segmented_radix_sort_implINS0_14default_configELb1EPK6__halfPSP_PKlPlN2at6native12_GLOBAL__N_18offset_tEEE10hipError_tPvRmT1_PNSt15iterator_traitsIS13_E10value_typeET2_T3_PNS14_IS19_E10value_typeET4_jRbjT5_S1F_jjP12ihipStream_tbEUljE_ZNSN_ISO_Lb1ESR_SS_SU_SV_SZ_EES10_S11_S12_S13_S17_S18_S19_S1C_S1D_jS1E_jS1F_S1F_jjS1H_bEUljE0_EEES10_S11_S12_S19_S1D_S1F_T6_T7_T9_mT8_S1H_bDpT10_ENKUlT_T0_E_clISt17integral_constantIbLb1EES1U_IbLb0EEEEDaS1Q_S1R_EUlS1Q_E_NS1_11comp_targetILNS1_3genE8ELNS1_11target_archE1030ELNS1_3gpuE2ELNS1_3repE0EEENS1_30default_config_static_selectorELNS0_4arch9wavefront6targetE0EEEvS13_: ; @_ZN7rocprim17ROCPRIM_400000_NS6detail17trampoline_kernelINS0_13select_configILj256ELj13ELNS0_17block_load_methodE3ELS4_3ELS4_3ELNS0_20block_scan_algorithmE0ELj4294967295EEENS1_25partition_config_selectorILNS1_17partition_subalgoE4EjNS0_10empty_typeEbEEZZNS1_14partition_implILS8_4ELb0ES6_15HIP_vector_typeIjLj2EENS0_17counting_iteratorIjlEEPS9_SG_NS0_5tupleIJPjSI_NS0_16reverse_iteratorISI_EEEEENSH_IJSG_SG_SG_EEES9_SI_JZNS1_25segmented_radix_sort_implINS0_14default_configELb1EPK6__halfPSP_PKlPlN2at6native12_GLOBAL__N_18offset_tEEE10hipError_tPvRmT1_PNSt15iterator_traitsIS13_E10value_typeET2_T3_PNS14_IS19_E10value_typeET4_jRbjT5_S1F_jjP12ihipStream_tbEUljE_ZNSN_ISO_Lb1ESR_SS_SU_SV_SZ_EES10_S11_S12_S13_S17_S18_S19_S1C_S1D_jS1E_jS1F_S1F_jjS1H_bEUljE0_EEES10_S11_S12_S19_S1D_S1F_T6_T7_T9_mT8_S1H_bDpT10_ENKUlT_T0_E_clISt17integral_constantIbLb1EES1U_IbLb0EEEEDaS1Q_S1R_EUlS1Q_E_NS1_11comp_targetILNS1_3genE8ELNS1_11target_archE1030ELNS1_3gpuE2ELNS1_3repE0EEENS1_30default_config_static_selectorELNS0_4arch9wavefront6targetE0EEEvS13_
; %bb.0:
	s_endpgm
	.section	.rodata,"a",@progbits
	.p2align	6, 0x0
	.amdhsa_kernel _ZN7rocprim17ROCPRIM_400000_NS6detail17trampoline_kernelINS0_13select_configILj256ELj13ELNS0_17block_load_methodE3ELS4_3ELS4_3ELNS0_20block_scan_algorithmE0ELj4294967295EEENS1_25partition_config_selectorILNS1_17partition_subalgoE4EjNS0_10empty_typeEbEEZZNS1_14partition_implILS8_4ELb0ES6_15HIP_vector_typeIjLj2EENS0_17counting_iteratorIjlEEPS9_SG_NS0_5tupleIJPjSI_NS0_16reverse_iteratorISI_EEEEENSH_IJSG_SG_SG_EEES9_SI_JZNS1_25segmented_radix_sort_implINS0_14default_configELb1EPK6__halfPSP_PKlPlN2at6native12_GLOBAL__N_18offset_tEEE10hipError_tPvRmT1_PNSt15iterator_traitsIS13_E10value_typeET2_T3_PNS14_IS19_E10value_typeET4_jRbjT5_S1F_jjP12ihipStream_tbEUljE_ZNSN_ISO_Lb1ESR_SS_SU_SV_SZ_EES10_S11_S12_S13_S17_S18_S19_S1C_S1D_jS1E_jS1F_S1F_jjS1H_bEUljE0_EEES10_S11_S12_S19_S1D_S1F_T6_T7_T9_mT8_S1H_bDpT10_ENKUlT_T0_E_clISt17integral_constantIbLb1EES1U_IbLb0EEEEDaS1Q_S1R_EUlS1Q_E_NS1_11comp_targetILNS1_3genE8ELNS1_11target_archE1030ELNS1_3gpuE2ELNS1_3repE0EEENS1_30default_config_static_selectorELNS0_4arch9wavefront6targetE0EEEvS13_
		.amdhsa_group_segment_fixed_size 0
		.amdhsa_private_segment_fixed_size 0
		.amdhsa_kernarg_size 176
		.amdhsa_user_sgpr_count 6
		.amdhsa_user_sgpr_private_segment_buffer 1
		.amdhsa_user_sgpr_dispatch_ptr 0
		.amdhsa_user_sgpr_queue_ptr 0
		.amdhsa_user_sgpr_kernarg_segment_ptr 1
		.amdhsa_user_sgpr_dispatch_id 0
		.amdhsa_user_sgpr_flat_scratch_init 0
		.amdhsa_user_sgpr_private_segment_size 0
		.amdhsa_wavefront_size32 1
		.amdhsa_uses_dynamic_stack 0
		.amdhsa_system_sgpr_private_segment_wavefront_offset 0
		.amdhsa_system_sgpr_workgroup_id_x 1
		.amdhsa_system_sgpr_workgroup_id_y 0
		.amdhsa_system_sgpr_workgroup_id_z 0
		.amdhsa_system_sgpr_workgroup_info 0
		.amdhsa_system_vgpr_workitem_id 0
		.amdhsa_next_free_vgpr 1
		.amdhsa_next_free_sgpr 1
		.amdhsa_reserve_vcc 0
		.amdhsa_reserve_flat_scratch 0
		.amdhsa_float_round_mode_32 0
		.amdhsa_float_round_mode_16_64 0
		.amdhsa_float_denorm_mode_32 3
		.amdhsa_float_denorm_mode_16_64 3
		.amdhsa_dx10_clamp 1
		.amdhsa_ieee_mode 1
		.amdhsa_fp16_overflow 0
		.amdhsa_workgroup_processor_mode 1
		.amdhsa_memory_ordered 1
		.amdhsa_forward_progress 1
		.amdhsa_shared_vgpr_count 0
		.amdhsa_exception_fp_ieee_invalid_op 0
		.amdhsa_exception_fp_denorm_src 0
		.amdhsa_exception_fp_ieee_div_zero 0
		.amdhsa_exception_fp_ieee_overflow 0
		.amdhsa_exception_fp_ieee_underflow 0
		.amdhsa_exception_fp_ieee_inexact 0
		.amdhsa_exception_int_div_zero 0
	.end_amdhsa_kernel
	.section	.text._ZN7rocprim17ROCPRIM_400000_NS6detail17trampoline_kernelINS0_13select_configILj256ELj13ELNS0_17block_load_methodE3ELS4_3ELS4_3ELNS0_20block_scan_algorithmE0ELj4294967295EEENS1_25partition_config_selectorILNS1_17partition_subalgoE4EjNS0_10empty_typeEbEEZZNS1_14partition_implILS8_4ELb0ES6_15HIP_vector_typeIjLj2EENS0_17counting_iteratorIjlEEPS9_SG_NS0_5tupleIJPjSI_NS0_16reverse_iteratorISI_EEEEENSH_IJSG_SG_SG_EEES9_SI_JZNS1_25segmented_radix_sort_implINS0_14default_configELb1EPK6__halfPSP_PKlPlN2at6native12_GLOBAL__N_18offset_tEEE10hipError_tPvRmT1_PNSt15iterator_traitsIS13_E10value_typeET2_T3_PNS14_IS19_E10value_typeET4_jRbjT5_S1F_jjP12ihipStream_tbEUljE_ZNSN_ISO_Lb1ESR_SS_SU_SV_SZ_EES10_S11_S12_S13_S17_S18_S19_S1C_S1D_jS1E_jS1F_S1F_jjS1H_bEUljE0_EEES10_S11_S12_S19_S1D_S1F_T6_T7_T9_mT8_S1H_bDpT10_ENKUlT_T0_E_clISt17integral_constantIbLb1EES1U_IbLb0EEEEDaS1Q_S1R_EUlS1Q_E_NS1_11comp_targetILNS1_3genE8ELNS1_11target_archE1030ELNS1_3gpuE2ELNS1_3repE0EEENS1_30default_config_static_selectorELNS0_4arch9wavefront6targetE0EEEvS13_,"axG",@progbits,_ZN7rocprim17ROCPRIM_400000_NS6detail17trampoline_kernelINS0_13select_configILj256ELj13ELNS0_17block_load_methodE3ELS4_3ELS4_3ELNS0_20block_scan_algorithmE0ELj4294967295EEENS1_25partition_config_selectorILNS1_17partition_subalgoE4EjNS0_10empty_typeEbEEZZNS1_14partition_implILS8_4ELb0ES6_15HIP_vector_typeIjLj2EENS0_17counting_iteratorIjlEEPS9_SG_NS0_5tupleIJPjSI_NS0_16reverse_iteratorISI_EEEEENSH_IJSG_SG_SG_EEES9_SI_JZNS1_25segmented_radix_sort_implINS0_14default_configELb1EPK6__halfPSP_PKlPlN2at6native12_GLOBAL__N_18offset_tEEE10hipError_tPvRmT1_PNSt15iterator_traitsIS13_E10value_typeET2_T3_PNS14_IS19_E10value_typeET4_jRbjT5_S1F_jjP12ihipStream_tbEUljE_ZNSN_ISO_Lb1ESR_SS_SU_SV_SZ_EES10_S11_S12_S13_S17_S18_S19_S1C_S1D_jS1E_jS1F_S1F_jjS1H_bEUljE0_EEES10_S11_S12_S19_S1D_S1F_T6_T7_T9_mT8_S1H_bDpT10_ENKUlT_T0_E_clISt17integral_constantIbLb1EES1U_IbLb0EEEEDaS1Q_S1R_EUlS1Q_E_NS1_11comp_targetILNS1_3genE8ELNS1_11target_archE1030ELNS1_3gpuE2ELNS1_3repE0EEENS1_30default_config_static_selectorELNS0_4arch9wavefront6targetE0EEEvS13_,comdat
.Lfunc_end1688:
	.size	_ZN7rocprim17ROCPRIM_400000_NS6detail17trampoline_kernelINS0_13select_configILj256ELj13ELNS0_17block_load_methodE3ELS4_3ELS4_3ELNS0_20block_scan_algorithmE0ELj4294967295EEENS1_25partition_config_selectorILNS1_17partition_subalgoE4EjNS0_10empty_typeEbEEZZNS1_14partition_implILS8_4ELb0ES6_15HIP_vector_typeIjLj2EENS0_17counting_iteratorIjlEEPS9_SG_NS0_5tupleIJPjSI_NS0_16reverse_iteratorISI_EEEEENSH_IJSG_SG_SG_EEES9_SI_JZNS1_25segmented_radix_sort_implINS0_14default_configELb1EPK6__halfPSP_PKlPlN2at6native12_GLOBAL__N_18offset_tEEE10hipError_tPvRmT1_PNSt15iterator_traitsIS13_E10value_typeET2_T3_PNS14_IS19_E10value_typeET4_jRbjT5_S1F_jjP12ihipStream_tbEUljE_ZNSN_ISO_Lb1ESR_SS_SU_SV_SZ_EES10_S11_S12_S13_S17_S18_S19_S1C_S1D_jS1E_jS1F_S1F_jjS1H_bEUljE0_EEES10_S11_S12_S19_S1D_S1F_T6_T7_T9_mT8_S1H_bDpT10_ENKUlT_T0_E_clISt17integral_constantIbLb1EES1U_IbLb0EEEEDaS1Q_S1R_EUlS1Q_E_NS1_11comp_targetILNS1_3genE8ELNS1_11target_archE1030ELNS1_3gpuE2ELNS1_3repE0EEENS1_30default_config_static_selectorELNS0_4arch9wavefront6targetE0EEEvS13_, .Lfunc_end1688-_ZN7rocprim17ROCPRIM_400000_NS6detail17trampoline_kernelINS0_13select_configILj256ELj13ELNS0_17block_load_methodE3ELS4_3ELS4_3ELNS0_20block_scan_algorithmE0ELj4294967295EEENS1_25partition_config_selectorILNS1_17partition_subalgoE4EjNS0_10empty_typeEbEEZZNS1_14partition_implILS8_4ELb0ES6_15HIP_vector_typeIjLj2EENS0_17counting_iteratorIjlEEPS9_SG_NS0_5tupleIJPjSI_NS0_16reverse_iteratorISI_EEEEENSH_IJSG_SG_SG_EEES9_SI_JZNS1_25segmented_radix_sort_implINS0_14default_configELb1EPK6__halfPSP_PKlPlN2at6native12_GLOBAL__N_18offset_tEEE10hipError_tPvRmT1_PNSt15iterator_traitsIS13_E10value_typeET2_T3_PNS14_IS19_E10value_typeET4_jRbjT5_S1F_jjP12ihipStream_tbEUljE_ZNSN_ISO_Lb1ESR_SS_SU_SV_SZ_EES10_S11_S12_S13_S17_S18_S19_S1C_S1D_jS1E_jS1F_S1F_jjS1H_bEUljE0_EEES10_S11_S12_S19_S1D_S1F_T6_T7_T9_mT8_S1H_bDpT10_ENKUlT_T0_E_clISt17integral_constantIbLb1EES1U_IbLb0EEEEDaS1Q_S1R_EUlS1Q_E_NS1_11comp_targetILNS1_3genE8ELNS1_11target_archE1030ELNS1_3gpuE2ELNS1_3repE0EEENS1_30default_config_static_selectorELNS0_4arch9wavefront6targetE0EEEvS13_
                                        ; -- End function
	.set _ZN7rocprim17ROCPRIM_400000_NS6detail17trampoline_kernelINS0_13select_configILj256ELj13ELNS0_17block_load_methodE3ELS4_3ELS4_3ELNS0_20block_scan_algorithmE0ELj4294967295EEENS1_25partition_config_selectorILNS1_17partition_subalgoE4EjNS0_10empty_typeEbEEZZNS1_14partition_implILS8_4ELb0ES6_15HIP_vector_typeIjLj2EENS0_17counting_iteratorIjlEEPS9_SG_NS0_5tupleIJPjSI_NS0_16reverse_iteratorISI_EEEEENSH_IJSG_SG_SG_EEES9_SI_JZNS1_25segmented_radix_sort_implINS0_14default_configELb1EPK6__halfPSP_PKlPlN2at6native12_GLOBAL__N_18offset_tEEE10hipError_tPvRmT1_PNSt15iterator_traitsIS13_E10value_typeET2_T3_PNS14_IS19_E10value_typeET4_jRbjT5_S1F_jjP12ihipStream_tbEUljE_ZNSN_ISO_Lb1ESR_SS_SU_SV_SZ_EES10_S11_S12_S13_S17_S18_S19_S1C_S1D_jS1E_jS1F_S1F_jjS1H_bEUljE0_EEES10_S11_S12_S19_S1D_S1F_T6_T7_T9_mT8_S1H_bDpT10_ENKUlT_T0_E_clISt17integral_constantIbLb1EES1U_IbLb0EEEEDaS1Q_S1R_EUlS1Q_E_NS1_11comp_targetILNS1_3genE8ELNS1_11target_archE1030ELNS1_3gpuE2ELNS1_3repE0EEENS1_30default_config_static_selectorELNS0_4arch9wavefront6targetE0EEEvS13_.num_vgpr, 0
	.set _ZN7rocprim17ROCPRIM_400000_NS6detail17trampoline_kernelINS0_13select_configILj256ELj13ELNS0_17block_load_methodE3ELS4_3ELS4_3ELNS0_20block_scan_algorithmE0ELj4294967295EEENS1_25partition_config_selectorILNS1_17partition_subalgoE4EjNS0_10empty_typeEbEEZZNS1_14partition_implILS8_4ELb0ES6_15HIP_vector_typeIjLj2EENS0_17counting_iteratorIjlEEPS9_SG_NS0_5tupleIJPjSI_NS0_16reverse_iteratorISI_EEEEENSH_IJSG_SG_SG_EEES9_SI_JZNS1_25segmented_radix_sort_implINS0_14default_configELb1EPK6__halfPSP_PKlPlN2at6native12_GLOBAL__N_18offset_tEEE10hipError_tPvRmT1_PNSt15iterator_traitsIS13_E10value_typeET2_T3_PNS14_IS19_E10value_typeET4_jRbjT5_S1F_jjP12ihipStream_tbEUljE_ZNSN_ISO_Lb1ESR_SS_SU_SV_SZ_EES10_S11_S12_S13_S17_S18_S19_S1C_S1D_jS1E_jS1F_S1F_jjS1H_bEUljE0_EEES10_S11_S12_S19_S1D_S1F_T6_T7_T9_mT8_S1H_bDpT10_ENKUlT_T0_E_clISt17integral_constantIbLb1EES1U_IbLb0EEEEDaS1Q_S1R_EUlS1Q_E_NS1_11comp_targetILNS1_3genE8ELNS1_11target_archE1030ELNS1_3gpuE2ELNS1_3repE0EEENS1_30default_config_static_selectorELNS0_4arch9wavefront6targetE0EEEvS13_.num_agpr, 0
	.set _ZN7rocprim17ROCPRIM_400000_NS6detail17trampoline_kernelINS0_13select_configILj256ELj13ELNS0_17block_load_methodE3ELS4_3ELS4_3ELNS0_20block_scan_algorithmE0ELj4294967295EEENS1_25partition_config_selectorILNS1_17partition_subalgoE4EjNS0_10empty_typeEbEEZZNS1_14partition_implILS8_4ELb0ES6_15HIP_vector_typeIjLj2EENS0_17counting_iteratorIjlEEPS9_SG_NS0_5tupleIJPjSI_NS0_16reverse_iteratorISI_EEEEENSH_IJSG_SG_SG_EEES9_SI_JZNS1_25segmented_radix_sort_implINS0_14default_configELb1EPK6__halfPSP_PKlPlN2at6native12_GLOBAL__N_18offset_tEEE10hipError_tPvRmT1_PNSt15iterator_traitsIS13_E10value_typeET2_T3_PNS14_IS19_E10value_typeET4_jRbjT5_S1F_jjP12ihipStream_tbEUljE_ZNSN_ISO_Lb1ESR_SS_SU_SV_SZ_EES10_S11_S12_S13_S17_S18_S19_S1C_S1D_jS1E_jS1F_S1F_jjS1H_bEUljE0_EEES10_S11_S12_S19_S1D_S1F_T6_T7_T9_mT8_S1H_bDpT10_ENKUlT_T0_E_clISt17integral_constantIbLb1EES1U_IbLb0EEEEDaS1Q_S1R_EUlS1Q_E_NS1_11comp_targetILNS1_3genE8ELNS1_11target_archE1030ELNS1_3gpuE2ELNS1_3repE0EEENS1_30default_config_static_selectorELNS0_4arch9wavefront6targetE0EEEvS13_.numbered_sgpr, 0
	.set _ZN7rocprim17ROCPRIM_400000_NS6detail17trampoline_kernelINS0_13select_configILj256ELj13ELNS0_17block_load_methodE3ELS4_3ELS4_3ELNS0_20block_scan_algorithmE0ELj4294967295EEENS1_25partition_config_selectorILNS1_17partition_subalgoE4EjNS0_10empty_typeEbEEZZNS1_14partition_implILS8_4ELb0ES6_15HIP_vector_typeIjLj2EENS0_17counting_iteratorIjlEEPS9_SG_NS0_5tupleIJPjSI_NS0_16reverse_iteratorISI_EEEEENSH_IJSG_SG_SG_EEES9_SI_JZNS1_25segmented_radix_sort_implINS0_14default_configELb1EPK6__halfPSP_PKlPlN2at6native12_GLOBAL__N_18offset_tEEE10hipError_tPvRmT1_PNSt15iterator_traitsIS13_E10value_typeET2_T3_PNS14_IS19_E10value_typeET4_jRbjT5_S1F_jjP12ihipStream_tbEUljE_ZNSN_ISO_Lb1ESR_SS_SU_SV_SZ_EES10_S11_S12_S13_S17_S18_S19_S1C_S1D_jS1E_jS1F_S1F_jjS1H_bEUljE0_EEES10_S11_S12_S19_S1D_S1F_T6_T7_T9_mT8_S1H_bDpT10_ENKUlT_T0_E_clISt17integral_constantIbLb1EES1U_IbLb0EEEEDaS1Q_S1R_EUlS1Q_E_NS1_11comp_targetILNS1_3genE8ELNS1_11target_archE1030ELNS1_3gpuE2ELNS1_3repE0EEENS1_30default_config_static_selectorELNS0_4arch9wavefront6targetE0EEEvS13_.num_named_barrier, 0
	.set _ZN7rocprim17ROCPRIM_400000_NS6detail17trampoline_kernelINS0_13select_configILj256ELj13ELNS0_17block_load_methodE3ELS4_3ELS4_3ELNS0_20block_scan_algorithmE0ELj4294967295EEENS1_25partition_config_selectorILNS1_17partition_subalgoE4EjNS0_10empty_typeEbEEZZNS1_14partition_implILS8_4ELb0ES6_15HIP_vector_typeIjLj2EENS0_17counting_iteratorIjlEEPS9_SG_NS0_5tupleIJPjSI_NS0_16reverse_iteratorISI_EEEEENSH_IJSG_SG_SG_EEES9_SI_JZNS1_25segmented_radix_sort_implINS0_14default_configELb1EPK6__halfPSP_PKlPlN2at6native12_GLOBAL__N_18offset_tEEE10hipError_tPvRmT1_PNSt15iterator_traitsIS13_E10value_typeET2_T3_PNS14_IS19_E10value_typeET4_jRbjT5_S1F_jjP12ihipStream_tbEUljE_ZNSN_ISO_Lb1ESR_SS_SU_SV_SZ_EES10_S11_S12_S13_S17_S18_S19_S1C_S1D_jS1E_jS1F_S1F_jjS1H_bEUljE0_EEES10_S11_S12_S19_S1D_S1F_T6_T7_T9_mT8_S1H_bDpT10_ENKUlT_T0_E_clISt17integral_constantIbLb1EES1U_IbLb0EEEEDaS1Q_S1R_EUlS1Q_E_NS1_11comp_targetILNS1_3genE8ELNS1_11target_archE1030ELNS1_3gpuE2ELNS1_3repE0EEENS1_30default_config_static_selectorELNS0_4arch9wavefront6targetE0EEEvS13_.private_seg_size, 0
	.set _ZN7rocprim17ROCPRIM_400000_NS6detail17trampoline_kernelINS0_13select_configILj256ELj13ELNS0_17block_load_methodE3ELS4_3ELS4_3ELNS0_20block_scan_algorithmE0ELj4294967295EEENS1_25partition_config_selectorILNS1_17partition_subalgoE4EjNS0_10empty_typeEbEEZZNS1_14partition_implILS8_4ELb0ES6_15HIP_vector_typeIjLj2EENS0_17counting_iteratorIjlEEPS9_SG_NS0_5tupleIJPjSI_NS0_16reverse_iteratorISI_EEEEENSH_IJSG_SG_SG_EEES9_SI_JZNS1_25segmented_radix_sort_implINS0_14default_configELb1EPK6__halfPSP_PKlPlN2at6native12_GLOBAL__N_18offset_tEEE10hipError_tPvRmT1_PNSt15iterator_traitsIS13_E10value_typeET2_T3_PNS14_IS19_E10value_typeET4_jRbjT5_S1F_jjP12ihipStream_tbEUljE_ZNSN_ISO_Lb1ESR_SS_SU_SV_SZ_EES10_S11_S12_S13_S17_S18_S19_S1C_S1D_jS1E_jS1F_S1F_jjS1H_bEUljE0_EEES10_S11_S12_S19_S1D_S1F_T6_T7_T9_mT8_S1H_bDpT10_ENKUlT_T0_E_clISt17integral_constantIbLb1EES1U_IbLb0EEEEDaS1Q_S1R_EUlS1Q_E_NS1_11comp_targetILNS1_3genE8ELNS1_11target_archE1030ELNS1_3gpuE2ELNS1_3repE0EEENS1_30default_config_static_selectorELNS0_4arch9wavefront6targetE0EEEvS13_.uses_vcc, 0
	.set _ZN7rocprim17ROCPRIM_400000_NS6detail17trampoline_kernelINS0_13select_configILj256ELj13ELNS0_17block_load_methodE3ELS4_3ELS4_3ELNS0_20block_scan_algorithmE0ELj4294967295EEENS1_25partition_config_selectorILNS1_17partition_subalgoE4EjNS0_10empty_typeEbEEZZNS1_14partition_implILS8_4ELb0ES6_15HIP_vector_typeIjLj2EENS0_17counting_iteratorIjlEEPS9_SG_NS0_5tupleIJPjSI_NS0_16reverse_iteratorISI_EEEEENSH_IJSG_SG_SG_EEES9_SI_JZNS1_25segmented_radix_sort_implINS0_14default_configELb1EPK6__halfPSP_PKlPlN2at6native12_GLOBAL__N_18offset_tEEE10hipError_tPvRmT1_PNSt15iterator_traitsIS13_E10value_typeET2_T3_PNS14_IS19_E10value_typeET4_jRbjT5_S1F_jjP12ihipStream_tbEUljE_ZNSN_ISO_Lb1ESR_SS_SU_SV_SZ_EES10_S11_S12_S13_S17_S18_S19_S1C_S1D_jS1E_jS1F_S1F_jjS1H_bEUljE0_EEES10_S11_S12_S19_S1D_S1F_T6_T7_T9_mT8_S1H_bDpT10_ENKUlT_T0_E_clISt17integral_constantIbLb1EES1U_IbLb0EEEEDaS1Q_S1R_EUlS1Q_E_NS1_11comp_targetILNS1_3genE8ELNS1_11target_archE1030ELNS1_3gpuE2ELNS1_3repE0EEENS1_30default_config_static_selectorELNS0_4arch9wavefront6targetE0EEEvS13_.uses_flat_scratch, 0
	.set _ZN7rocprim17ROCPRIM_400000_NS6detail17trampoline_kernelINS0_13select_configILj256ELj13ELNS0_17block_load_methodE3ELS4_3ELS4_3ELNS0_20block_scan_algorithmE0ELj4294967295EEENS1_25partition_config_selectorILNS1_17partition_subalgoE4EjNS0_10empty_typeEbEEZZNS1_14partition_implILS8_4ELb0ES6_15HIP_vector_typeIjLj2EENS0_17counting_iteratorIjlEEPS9_SG_NS0_5tupleIJPjSI_NS0_16reverse_iteratorISI_EEEEENSH_IJSG_SG_SG_EEES9_SI_JZNS1_25segmented_radix_sort_implINS0_14default_configELb1EPK6__halfPSP_PKlPlN2at6native12_GLOBAL__N_18offset_tEEE10hipError_tPvRmT1_PNSt15iterator_traitsIS13_E10value_typeET2_T3_PNS14_IS19_E10value_typeET4_jRbjT5_S1F_jjP12ihipStream_tbEUljE_ZNSN_ISO_Lb1ESR_SS_SU_SV_SZ_EES10_S11_S12_S13_S17_S18_S19_S1C_S1D_jS1E_jS1F_S1F_jjS1H_bEUljE0_EEES10_S11_S12_S19_S1D_S1F_T6_T7_T9_mT8_S1H_bDpT10_ENKUlT_T0_E_clISt17integral_constantIbLb1EES1U_IbLb0EEEEDaS1Q_S1R_EUlS1Q_E_NS1_11comp_targetILNS1_3genE8ELNS1_11target_archE1030ELNS1_3gpuE2ELNS1_3repE0EEENS1_30default_config_static_selectorELNS0_4arch9wavefront6targetE0EEEvS13_.has_dyn_sized_stack, 0
	.set _ZN7rocprim17ROCPRIM_400000_NS6detail17trampoline_kernelINS0_13select_configILj256ELj13ELNS0_17block_load_methodE3ELS4_3ELS4_3ELNS0_20block_scan_algorithmE0ELj4294967295EEENS1_25partition_config_selectorILNS1_17partition_subalgoE4EjNS0_10empty_typeEbEEZZNS1_14partition_implILS8_4ELb0ES6_15HIP_vector_typeIjLj2EENS0_17counting_iteratorIjlEEPS9_SG_NS0_5tupleIJPjSI_NS0_16reverse_iteratorISI_EEEEENSH_IJSG_SG_SG_EEES9_SI_JZNS1_25segmented_radix_sort_implINS0_14default_configELb1EPK6__halfPSP_PKlPlN2at6native12_GLOBAL__N_18offset_tEEE10hipError_tPvRmT1_PNSt15iterator_traitsIS13_E10value_typeET2_T3_PNS14_IS19_E10value_typeET4_jRbjT5_S1F_jjP12ihipStream_tbEUljE_ZNSN_ISO_Lb1ESR_SS_SU_SV_SZ_EES10_S11_S12_S13_S17_S18_S19_S1C_S1D_jS1E_jS1F_S1F_jjS1H_bEUljE0_EEES10_S11_S12_S19_S1D_S1F_T6_T7_T9_mT8_S1H_bDpT10_ENKUlT_T0_E_clISt17integral_constantIbLb1EES1U_IbLb0EEEEDaS1Q_S1R_EUlS1Q_E_NS1_11comp_targetILNS1_3genE8ELNS1_11target_archE1030ELNS1_3gpuE2ELNS1_3repE0EEENS1_30default_config_static_selectorELNS0_4arch9wavefront6targetE0EEEvS13_.has_recursion, 0
	.set _ZN7rocprim17ROCPRIM_400000_NS6detail17trampoline_kernelINS0_13select_configILj256ELj13ELNS0_17block_load_methodE3ELS4_3ELS4_3ELNS0_20block_scan_algorithmE0ELj4294967295EEENS1_25partition_config_selectorILNS1_17partition_subalgoE4EjNS0_10empty_typeEbEEZZNS1_14partition_implILS8_4ELb0ES6_15HIP_vector_typeIjLj2EENS0_17counting_iteratorIjlEEPS9_SG_NS0_5tupleIJPjSI_NS0_16reverse_iteratorISI_EEEEENSH_IJSG_SG_SG_EEES9_SI_JZNS1_25segmented_radix_sort_implINS0_14default_configELb1EPK6__halfPSP_PKlPlN2at6native12_GLOBAL__N_18offset_tEEE10hipError_tPvRmT1_PNSt15iterator_traitsIS13_E10value_typeET2_T3_PNS14_IS19_E10value_typeET4_jRbjT5_S1F_jjP12ihipStream_tbEUljE_ZNSN_ISO_Lb1ESR_SS_SU_SV_SZ_EES10_S11_S12_S13_S17_S18_S19_S1C_S1D_jS1E_jS1F_S1F_jjS1H_bEUljE0_EEES10_S11_S12_S19_S1D_S1F_T6_T7_T9_mT8_S1H_bDpT10_ENKUlT_T0_E_clISt17integral_constantIbLb1EES1U_IbLb0EEEEDaS1Q_S1R_EUlS1Q_E_NS1_11comp_targetILNS1_3genE8ELNS1_11target_archE1030ELNS1_3gpuE2ELNS1_3repE0EEENS1_30default_config_static_selectorELNS0_4arch9wavefront6targetE0EEEvS13_.has_indirect_call, 0
	.section	.AMDGPU.csdata,"",@progbits
; Kernel info:
; codeLenInByte = 4
; TotalNumSgprs: 0
; NumVgprs: 0
; ScratchSize: 0
; MemoryBound: 0
; FloatMode: 240
; IeeeMode: 1
; LDSByteSize: 0 bytes/workgroup (compile time only)
; SGPRBlocks: 0
; VGPRBlocks: 0
; NumSGPRsForWavesPerEU: 1
; NumVGPRsForWavesPerEU: 1
; Occupancy: 16
; WaveLimiterHint : 0
; COMPUTE_PGM_RSRC2:SCRATCH_EN: 0
; COMPUTE_PGM_RSRC2:USER_SGPR: 6
; COMPUTE_PGM_RSRC2:TRAP_HANDLER: 0
; COMPUTE_PGM_RSRC2:TGID_X_EN: 1
; COMPUTE_PGM_RSRC2:TGID_Y_EN: 0
; COMPUTE_PGM_RSRC2:TGID_Z_EN: 0
; COMPUTE_PGM_RSRC2:TIDIG_COMP_CNT: 0
	.section	.text._ZN7rocprim17ROCPRIM_400000_NS6detail17trampoline_kernelINS0_13select_configILj256ELj13ELNS0_17block_load_methodE3ELS4_3ELS4_3ELNS0_20block_scan_algorithmE0ELj4294967295EEENS1_25partition_config_selectorILNS1_17partition_subalgoE4EjNS0_10empty_typeEbEEZZNS1_14partition_implILS8_4ELb0ES6_15HIP_vector_typeIjLj2EENS0_17counting_iteratorIjlEEPS9_SG_NS0_5tupleIJPjSI_NS0_16reverse_iteratorISI_EEEEENSH_IJSG_SG_SG_EEES9_SI_JZNS1_25segmented_radix_sort_implINS0_14default_configELb1EPK6__halfPSP_PKlPlN2at6native12_GLOBAL__N_18offset_tEEE10hipError_tPvRmT1_PNSt15iterator_traitsIS13_E10value_typeET2_T3_PNS14_IS19_E10value_typeET4_jRbjT5_S1F_jjP12ihipStream_tbEUljE_ZNSN_ISO_Lb1ESR_SS_SU_SV_SZ_EES10_S11_S12_S13_S17_S18_S19_S1C_S1D_jS1E_jS1F_S1F_jjS1H_bEUljE0_EEES10_S11_S12_S19_S1D_S1F_T6_T7_T9_mT8_S1H_bDpT10_ENKUlT_T0_E_clISt17integral_constantIbLb0EES1U_IbLb1EEEEDaS1Q_S1R_EUlS1Q_E_NS1_11comp_targetILNS1_3genE0ELNS1_11target_archE4294967295ELNS1_3gpuE0ELNS1_3repE0EEENS1_30default_config_static_selectorELNS0_4arch9wavefront6targetE0EEEvS13_,"axG",@progbits,_ZN7rocprim17ROCPRIM_400000_NS6detail17trampoline_kernelINS0_13select_configILj256ELj13ELNS0_17block_load_methodE3ELS4_3ELS4_3ELNS0_20block_scan_algorithmE0ELj4294967295EEENS1_25partition_config_selectorILNS1_17partition_subalgoE4EjNS0_10empty_typeEbEEZZNS1_14partition_implILS8_4ELb0ES6_15HIP_vector_typeIjLj2EENS0_17counting_iteratorIjlEEPS9_SG_NS0_5tupleIJPjSI_NS0_16reverse_iteratorISI_EEEEENSH_IJSG_SG_SG_EEES9_SI_JZNS1_25segmented_radix_sort_implINS0_14default_configELb1EPK6__halfPSP_PKlPlN2at6native12_GLOBAL__N_18offset_tEEE10hipError_tPvRmT1_PNSt15iterator_traitsIS13_E10value_typeET2_T3_PNS14_IS19_E10value_typeET4_jRbjT5_S1F_jjP12ihipStream_tbEUljE_ZNSN_ISO_Lb1ESR_SS_SU_SV_SZ_EES10_S11_S12_S13_S17_S18_S19_S1C_S1D_jS1E_jS1F_S1F_jjS1H_bEUljE0_EEES10_S11_S12_S19_S1D_S1F_T6_T7_T9_mT8_S1H_bDpT10_ENKUlT_T0_E_clISt17integral_constantIbLb0EES1U_IbLb1EEEEDaS1Q_S1R_EUlS1Q_E_NS1_11comp_targetILNS1_3genE0ELNS1_11target_archE4294967295ELNS1_3gpuE0ELNS1_3repE0EEENS1_30default_config_static_selectorELNS0_4arch9wavefront6targetE0EEEvS13_,comdat
	.globl	_ZN7rocprim17ROCPRIM_400000_NS6detail17trampoline_kernelINS0_13select_configILj256ELj13ELNS0_17block_load_methodE3ELS4_3ELS4_3ELNS0_20block_scan_algorithmE0ELj4294967295EEENS1_25partition_config_selectorILNS1_17partition_subalgoE4EjNS0_10empty_typeEbEEZZNS1_14partition_implILS8_4ELb0ES6_15HIP_vector_typeIjLj2EENS0_17counting_iteratorIjlEEPS9_SG_NS0_5tupleIJPjSI_NS0_16reverse_iteratorISI_EEEEENSH_IJSG_SG_SG_EEES9_SI_JZNS1_25segmented_radix_sort_implINS0_14default_configELb1EPK6__halfPSP_PKlPlN2at6native12_GLOBAL__N_18offset_tEEE10hipError_tPvRmT1_PNSt15iterator_traitsIS13_E10value_typeET2_T3_PNS14_IS19_E10value_typeET4_jRbjT5_S1F_jjP12ihipStream_tbEUljE_ZNSN_ISO_Lb1ESR_SS_SU_SV_SZ_EES10_S11_S12_S13_S17_S18_S19_S1C_S1D_jS1E_jS1F_S1F_jjS1H_bEUljE0_EEES10_S11_S12_S19_S1D_S1F_T6_T7_T9_mT8_S1H_bDpT10_ENKUlT_T0_E_clISt17integral_constantIbLb0EES1U_IbLb1EEEEDaS1Q_S1R_EUlS1Q_E_NS1_11comp_targetILNS1_3genE0ELNS1_11target_archE4294967295ELNS1_3gpuE0ELNS1_3repE0EEENS1_30default_config_static_selectorELNS0_4arch9wavefront6targetE0EEEvS13_ ; -- Begin function _ZN7rocprim17ROCPRIM_400000_NS6detail17trampoline_kernelINS0_13select_configILj256ELj13ELNS0_17block_load_methodE3ELS4_3ELS4_3ELNS0_20block_scan_algorithmE0ELj4294967295EEENS1_25partition_config_selectorILNS1_17partition_subalgoE4EjNS0_10empty_typeEbEEZZNS1_14partition_implILS8_4ELb0ES6_15HIP_vector_typeIjLj2EENS0_17counting_iteratorIjlEEPS9_SG_NS0_5tupleIJPjSI_NS0_16reverse_iteratorISI_EEEEENSH_IJSG_SG_SG_EEES9_SI_JZNS1_25segmented_radix_sort_implINS0_14default_configELb1EPK6__halfPSP_PKlPlN2at6native12_GLOBAL__N_18offset_tEEE10hipError_tPvRmT1_PNSt15iterator_traitsIS13_E10value_typeET2_T3_PNS14_IS19_E10value_typeET4_jRbjT5_S1F_jjP12ihipStream_tbEUljE_ZNSN_ISO_Lb1ESR_SS_SU_SV_SZ_EES10_S11_S12_S13_S17_S18_S19_S1C_S1D_jS1E_jS1F_S1F_jjS1H_bEUljE0_EEES10_S11_S12_S19_S1D_S1F_T6_T7_T9_mT8_S1H_bDpT10_ENKUlT_T0_E_clISt17integral_constantIbLb0EES1U_IbLb1EEEEDaS1Q_S1R_EUlS1Q_E_NS1_11comp_targetILNS1_3genE0ELNS1_11target_archE4294967295ELNS1_3gpuE0ELNS1_3repE0EEENS1_30default_config_static_selectorELNS0_4arch9wavefront6targetE0EEEvS13_
	.p2align	8
	.type	_ZN7rocprim17ROCPRIM_400000_NS6detail17trampoline_kernelINS0_13select_configILj256ELj13ELNS0_17block_load_methodE3ELS4_3ELS4_3ELNS0_20block_scan_algorithmE0ELj4294967295EEENS1_25partition_config_selectorILNS1_17partition_subalgoE4EjNS0_10empty_typeEbEEZZNS1_14partition_implILS8_4ELb0ES6_15HIP_vector_typeIjLj2EENS0_17counting_iteratorIjlEEPS9_SG_NS0_5tupleIJPjSI_NS0_16reverse_iteratorISI_EEEEENSH_IJSG_SG_SG_EEES9_SI_JZNS1_25segmented_radix_sort_implINS0_14default_configELb1EPK6__halfPSP_PKlPlN2at6native12_GLOBAL__N_18offset_tEEE10hipError_tPvRmT1_PNSt15iterator_traitsIS13_E10value_typeET2_T3_PNS14_IS19_E10value_typeET4_jRbjT5_S1F_jjP12ihipStream_tbEUljE_ZNSN_ISO_Lb1ESR_SS_SU_SV_SZ_EES10_S11_S12_S13_S17_S18_S19_S1C_S1D_jS1E_jS1F_S1F_jjS1H_bEUljE0_EEES10_S11_S12_S19_S1D_S1F_T6_T7_T9_mT8_S1H_bDpT10_ENKUlT_T0_E_clISt17integral_constantIbLb0EES1U_IbLb1EEEEDaS1Q_S1R_EUlS1Q_E_NS1_11comp_targetILNS1_3genE0ELNS1_11target_archE4294967295ELNS1_3gpuE0ELNS1_3repE0EEENS1_30default_config_static_selectorELNS0_4arch9wavefront6targetE0EEEvS13_,@function
_ZN7rocprim17ROCPRIM_400000_NS6detail17trampoline_kernelINS0_13select_configILj256ELj13ELNS0_17block_load_methodE3ELS4_3ELS4_3ELNS0_20block_scan_algorithmE0ELj4294967295EEENS1_25partition_config_selectorILNS1_17partition_subalgoE4EjNS0_10empty_typeEbEEZZNS1_14partition_implILS8_4ELb0ES6_15HIP_vector_typeIjLj2EENS0_17counting_iteratorIjlEEPS9_SG_NS0_5tupleIJPjSI_NS0_16reverse_iteratorISI_EEEEENSH_IJSG_SG_SG_EEES9_SI_JZNS1_25segmented_radix_sort_implINS0_14default_configELb1EPK6__halfPSP_PKlPlN2at6native12_GLOBAL__N_18offset_tEEE10hipError_tPvRmT1_PNSt15iterator_traitsIS13_E10value_typeET2_T3_PNS14_IS19_E10value_typeET4_jRbjT5_S1F_jjP12ihipStream_tbEUljE_ZNSN_ISO_Lb1ESR_SS_SU_SV_SZ_EES10_S11_S12_S13_S17_S18_S19_S1C_S1D_jS1E_jS1F_S1F_jjS1H_bEUljE0_EEES10_S11_S12_S19_S1D_S1F_T6_T7_T9_mT8_S1H_bDpT10_ENKUlT_T0_E_clISt17integral_constantIbLb0EES1U_IbLb1EEEEDaS1Q_S1R_EUlS1Q_E_NS1_11comp_targetILNS1_3genE0ELNS1_11target_archE4294967295ELNS1_3gpuE0ELNS1_3repE0EEENS1_30default_config_static_selectorELNS0_4arch9wavefront6targetE0EEEvS13_: ; @_ZN7rocprim17ROCPRIM_400000_NS6detail17trampoline_kernelINS0_13select_configILj256ELj13ELNS0_17block_load_methodE3ELS4_3ELS4_3ELNS0_20block_scan_algorithmE0ELj4294967295EEENS1_25partition_config_selectorILNS1_17partition_subalgoE4EjNS0_10empty_typeEbEEZZNS1_14partition_implILS8_4ELb0ES6_15HIP_vector_typeIjLj2EENS0_17counting_iteratorIjlEEPS9_SG_NS0_5tupleIJPjSI_NS0_16reverse_iteratorISI_EEEEENSH_IJSG_SG_SG_EEES9_SI_JZNS1_25segmented_radix_sort_implINS0_14default_configELb1EPK6__halfPSP_PKlPlN2at6native12_GLOBAL__N_18offset_tEEE10hipError_tPvRmT1_PNSt15iterator_traitsIS13_E10value_typeET2_T3_PNS14_IS19_E10value_typeET4_jRbjT5_S1F_jjP12ihipStream_tbEUljE_ZNSN_ISO_Lb1ESR_SS_SU_SV_SZ_EES10_S11_S12_S13_S17_S18_S19_S1C_S1D_jS1E_jS1F_S1F_jjS1H_bEUljE0_EEES10_S11_S12_S19_S1D_S1F_T6_T7_T9_mT8_S1H_bDpT10_ENKUlT_T0_E_clISt17integral_constantIbLb0EES1U_IbLb1EEEEDaS1Q_S1R_EUlS1Q_E_NS1_11comp_targetILNS1_3genE0ELNS1_11target_archE4294967295ELNS1_3gpuE0ELNS1_3repE0EEENS1_30default_config_static_selectorELNS0_4arch9wavefront6targetE0EEEvS13_
; %bb.0:
	.section	.rodata,"a",@progbits
	.p2align	6, 0x0
	.amdhsa_kernel _ZN7rocprim17ROCPRIM_400000_NS6detail17trampoline_kernelINS0_13select_configILj256ELj13ELNS0_17block_load_methodE3ELS4_3ELS4_3ELNS0_20block_scan_algorithmE0ELj4294967295EEENS1_25partition_config_selectorILNS1_17partition_subalgoE4EjNS0_10empty_typeEbEEZZNS1_14partition_implILS8_4ELb0ES6_15HIP_vector_typeIjLj2EENS0_17counting_iteratorIjlEEPS9_SG_NS0_5tupleIJPjSI_NS0_16reverse_iteratorISI_EEEEENSH_IJSG_SG_SG_EEES9_SI_JZNS1_25segmented_radix_sort_implINS0_14default_configELb1EPK6__halfPSP_PKlPlN2at6native12_GLOBAL__N_18offset_tEEE10hipError_tPvRmT1_PNSt15iterator_traitsIS13_E10value_typeET2_T3_PNS14_IS19_E10value_typeET4_jRbjT5_S1F_jjP12ihipStream_tbEUljE_ZNSN_ISO_Lb1ESR_SS_SU_SV_SZ_EES10_S11_S12_S13_S17_S18_S19_S1C_S1D_jS1E_jS1F_S1F_jjS1H_bEUljE0_EEES10_S11_S12_S19_S1D_S1F_T6_T7_T9_mT8_S1H_bDpT10_ENKUlT_T0_E_clISt17integral_constantIbLb0EES1U_IbLb1EEEEDaS1Q_S1R_EUlS1Q_E_NS1_11comp_targetILNS1_3genE0ELNS1_11target_archE4294967295ELNS1_3gpuE0ELNS1_3repE0EEENS1_30default_config_static_selectorELNS0_4arch9wavefront6targetE0EEEvS13_
		.amdhsa_group_segment_fixed_size 0
		.amdhsa_private_segment_fixed_size 0
		.amdhsa_kernarg_size 184
		.amdhsa_user_sgpr_count 6
		.amdhsa_user_sgpr_private_segment_buffer 1
		.amdhsa_user_sgpr_dispatch_ptr 0
		.amdhsa_user_sgpr_queue_ptr 0
		.amdhsa_user_sgpr_kernarg_segment_ptr 1
		.amdhsa_user_sgpr_dispatch_id 0
		.amdhsa_user_sgpr_flat_scratch_init 0
		.amdhsa_user_sgpr_private_segment_size 0
		.amdhsa_wavefront_size32 1
		.amdhsa_uses_dynamic_stack 0
		.amdhsa_system_sgpr_private_segment_wavefront_offset 0
		.amdhsa_system_sgpr_workgroup_id_x 1
		.amdhsa_system_sgpr_workgroup_id_y 0
		.amdhsa_system_sgpr_workgroup_id_z 0
		.amdhsa_system_sgpr_workgroup_info 0
		.amdhsa_system_vgpr_workitem_id 0
		.amdhsa_next_free_vgpr 1
		.amdhsa_next_free_sgpr 1
		.amdhsa_reserve_vcc 0
		.amdhsa_reserve_flat_scratch 0
		.amdhsa_float_round_mode_32 0
		.amdhsa_float_round_mode_16_64 0
		.amdhsa_float_denorm_mode_32 3
		.amdhsa_float_denorm_mode_16_64 3
		.amdhsa_dx10_clamp 1
		.amdhsa_ieee_mode 1
		.amdhsa_fp16_overflow 0
		.amdhsa_workgroup_processor_mode 1
		.amdhsa_memory_ordered 1
		.amdhsa_forward_progress 1
		.amdhsa_shared_vgpr_count 0
		.amdhsa_exception_fp_ieee_invalid_op 0
		.amdhsa_exception_fp_denorm_src 0
		.amdhsa_exception_fp_ieee_div_zero 0
		.amdhsa_exception_fp_ieee_overflow 0
		.amdhsa_exception_fp_ieee_underflow 0
		.amdhsa_exception_fp_ieee_inexact 0
		.amdhsa_exception_int_div_zero 0
	.end_amdhsa_kernel
	.section	.text._ZN7rocprim17ROCPRIM_400000_NS6detail17trampoline_kernelINS0_13select_configILj256ELj13ELNS0_17block_load_methodE3ELS4_3ELS4_3ELNS0_20block_scan_algorithmE0ELj4294967295EEENS1_25partition_config_selectorILNS1_17partition_subalgoE4EjNS0_10empty_typeEbEEZZNS1_14partition_implILS8_4ELb0ES6_15HIP_vector_typeIjLj2EENS0_17counting_iteratorIjlEEPS9_SG_NS0_5tupleIJPjSI_NS0_16reverse_iteratorISI_EEEEENSH_IJSG_SG_SG_EEES9_SI_JZNS1_25segmented_radix_sort_implINS0_14default_configELb1EPK6__halfPSP_PKlPlN2at6native12_GLOBAL__N_18offset_tEEE10hipError_tPvRmT1_PNSt15iterator_traitsIS13_E10value_typeET2_T3_PNS14_IS19_E10value_typeET4_jRbjT5_S1F_jjP12ihipStream_tbEUljE_ZNSN_ISO_Lb1ESR_SS_SU_SV_SZ_EES10_S11_S12_S13_S17_S18_S19_S1C_S1D_jS1E_jS1F_S1F_jjS1H_bEUljE0_EEES10_S11_S12_S19_S1D_S1F_T6_T7_T9_mT8_S1H_bDpT10_ENKUlT_T0_E_clISt17integral_constantIbLb0EES1U_IbLb1EEEEDaS1Q_S1R_EUlS1Q_E_NS1_11comp_targetILNS1_3genE0ELNS1_11target_archE4294967295ELNS1_3gpuE0ELNS1_3repE0EEENS1_30default_config_static_selectorELNS0_4arch9wavefront6targetE0EEEvS13_,"axG",@progbits,_ZN7rocprim17ROCPRIM_400000_NS6detail17trampoline_kernelINS0_13select_configILj256ELj13ELNS0_17block_load_methodE3ELS4_3ELS4_3ELNS0_20block_scan_algorithmE0ELj4294967295EEENS1_25partition_config_selectorILNS1_17partition_subalgoE4EjNS0_10empty_typeEbEEZZNS1_14partition_implILS8_4ELb0ES6_15HIP_vector_typeIjLj2EENS0_17counting_iteratorIjlEEPS9_SG_NS0_5tupleIJPjSI_NS0_16reverse_iteratorISI_EEEEENSH_IJSG_SG_SG_EEES9_SI_JZNS1_25segmented_radix_sort_implINS0_14default_configELb1EPK6__halfPSP_PKlPlN2at6native12_GLOBAL__N_18offset_tEEE10hipError_tPvRmT1_PNSt15iterator_traitsIS13_E10value_typeET2_T3_PNS14_IS19_E10value_typeET4_jRbjT5_S1F_jjP12ihipStream_tbEUljE_ZNSN_ISO_Lb1ESR_SS_SU_SV_SZ_EES10_S11_S12_S13_S17_S18_S19_S1C_S1D_jS1E_jS1F_S1F_jjS1H_bEUljE0_EEES10_S11_S12_S19_S1D_S1F_T6_T7_T9_mT8_S1H_bDpT10_ENKUlT_T0_E_clISt17integral_constantIbLb0EES1U_IbLb1EEEEDaS1Q_S1R_EUlS1Q_E_NS1_11comp_targetILNS1_3genE0ELNS1_11target_archE4294967295ELNS1_3gpuE0ELNS1_3repE0EEENS1_30default_config_static_selectorELNS0_4arch9wavefront6targetE0EEEvS13_,comdat
.Lfunc_end1689:
	.size	_ZN7rocprim17ROCPRIM_400000_NS6detail17trampoline_kernelINS0_13select_configILj256ELj13ELNS0_17block_load_methodE3ELS4_3ELS4_3ELNS0_20block_scan_algorithmE0ELj4294967295EEENS1_25partition_config_selectorILNS1_17partition_subalgoE4EjNS0_10empty_typeEbEEZZNS1_14partition_implILS8_4ELb0ES6_15HIP_vector_typeIjLj2EENS0_17counting_iteratorIjlEEPS9_SG_NS0_5tupleIJPjSI_NS0_16reverse_iteratorISI_EEEEENSH_IJSG_SG_SG_EEES9_SI_JZNS1_25segmented_radix_sort_implINS0_14default_configELb1EPK6__halfPSP_PKlPlN2at6native12_GLOBAL__N_18offset_tEEE10hipError_tPvRmT1_PNSt15iterator_traitsIS13_E10value_typeET2_T3_PNS14_IS19_E10value_typeET4_jRbjT5_S1F_jjP12ihipStream_tbEUljE_ZNSN_ISO_Lb1ESR_SS_SU_SV_SZ_EES10_S11_S12_S13_S17_S18_S19_S1C_S1D_jS1E_jS1F_S1F_jjS1H_bEUljE0_EEES10_S11_S12_S19_S1D_S1F_T6_T7_T9_mT8_S1H_bDpT10_ENKUlT_T0_E_clISt17integral_constantIbLb0EES1U_IbLb1EEEEDaS1Q_S1R_EUlS1Q_E_NS1_11comp_targetILNS1_3genE0ELNS1_11target_archE4294967295ELNS1_3gpuE0ELNS1_3repE0EEENS1_30default_config_static_selectorELNS0_4arch9wavefront6targetE0EEEvS13_, .Lfunc_end1689-_ZN7rocprim17ROCPRIM_400000_NS6detail17trampoline_kernelINS0_13select_configILj256ELj13ELNS0_17block_load_methodE3ELS4_3ELS4_3ELNS0_20block_scan_algorithmE0ELj4294967295EEENS1_25partition_config_selectorILNS1_17partition_subalgoE4EjNS0_10empty_typeEbEEZZNS1_14partition_implILS8_4ELb0ES6_15HIP_vector_typeIjLj2EENS0_17counting_iteratorIjlEEPS9_SG_NS0_5tupleIJPjSI_NS0_16reverse_iteratorISI_EEEEENSH_IJSG_SG_SG_EEES9_SI_JZNS1_25segmented_radix_sort_implINS0_14default_configELb1EPK6__halfPSP_PKlPlN2at6native12_GLOBAL__N_18offset_tEEE10hipError_tPvRmT1_PNSt15iterator_traitsIS13_E10value_typeET2_T3_PNS14_IS19_E10value_typeET4_jRbjT5_S1F_jjP12ihipStream_tbEUljE_ZNSN_ISO_Lb1ESR_SS_SU_SV_SZ_EES10_S11_S12_S13_S17_S18_S19_S1C_S1D_jS1E_jS1F_S1F_jjS1H_bEUljE0_EEES10_S11_S12_S19_S1D_S1F_T6_T7_T9_mT8_S1H_bDpT10_ENKUlT_T0_E_clISt17integral_constantIbLb0EES1U_IbLb1EEEEDaS1Q_S1R_EUlS1Q_E_NS1_11comp_targetILNS1_3genE0ELNS1_11target_archE4294967295ELNS1_3gpuE0ELNS1_3repE0EEENS1_30default_config_static_selectorELNS0_4arch9wavefront6targetE0EEEvS13_
                                        ; -- End function
	.set _ZN7rocprim17ROCPRIM_400000_NS6detail17trampoline_kernelINS0_13select_configILj256ELj13ELNS0_17block_load_methodE3ELS4_3ELS4_3ELNS0_20block_scan_algorithmE0ELj4294967295EEENS1_25partition_config_selectorILNS1_17partition_subalgoE4EjNS0_10empty_typeEbEEZZNS1_14partition_implILS8_4ELb0ES6_15HIP_vector_typeIjLj2EENS0_17counting_iteratorIjlEEPS9_SG_NS0_5tupleIJPjSI_NS0_16reverse_iteratorISI_EEEEENSH_IJSG_SG_SG_EEES9_SI_JZNS1_25segmented_radix_sort_implINS0_14default_configELb1EPK6__halfPSP_PKlPlN2at6native12_GLOBAL__N_18offset_tEEE10hipError_tPvRmT1_PNSt15iterator_traitsIS13_E10value_typeET2_T3_PNS14_IS19_E10value_typeET4_jRbjT5_S1F_jjP12ihipStream_tbEUljE_ZNSN_ISO_Lb1ESR_SS_SU_SV_SZ_EES10_S11_S12_S13_S17_S18_S19_S1C_S1D_jS1E_jS1F_S1F_jjS1H_bEUljE0_EEES10_S11_S12_S19_S1D_S1F_T6_T7_T9_mT8_S1H_bDpT10_ENKUlT_T0_E_clISt17integral_constantIbLb0EES1U_IbLb1EEEEDaS1Q_S1R_EUlS1Q_E_NS1_11comp_targetILNS1_3genE0ELNS1_11target_archE4294967295ELNS1_3gpuE0ELNS1_3repE0EEENS1_30default_config_static_selectorELNS0_4arch9wavefront6targetE0EEEvS13_.num_vgpr, 0
	.set _ZN7rocprim17ROCPRIM_400000_NS6detail17trampoline_kernelINS0_13select_configILj256ELj13ELNS0_17block_load_methodE3ELS4_3ELS4_3ELNS0_20block_scan_algorithmE0ELj4294967295EEENS1_25partition_config_selectorILNS1_17partition_subalgoE4EjNS0_10empty_typeEbEEZZNS1_14partition_implILS8_4ELb0ES6_15HIP_vector_typeIjLj2EENS0_17counting_iteratorIjlEEPS9_SG_NS0_5tupleIJPjSI_NS0_16reverse_iteratorISI_EEEEENSH_IJSG_SG_SG_EEES9_SI_JZNS1_25segmented_radix_sort_implINS0_14default_configELb1EPK6__halfPSP_PKlPlN2at6native12_GLOBAL__N_18offset_tEEE10hipError_tPvRmT1_PNSt15iterator_traitsIS13_E10value_typeET2_T3_PNS14_IS19_E10value_typeET4_jRbjT5_S1F_jjP12ihipStream_tbEUljE_ZNSN_ISO_Lb1ESR_SS_SU_SV_SZ_EES10_S11_S12_S13_S17_S18_S19_S1C_S1D_jS1E_jS1F_S1F_jjS1H_bEUljE0_EEES10_S11_S12_S19_S1D_S1F_T6_T7_T9_mT8_S1H_bDpT10_ENKUlT_T0_E_clISt17integral_constantIbLb0EES1U_IbLb1EEEEDaS1Q_S1R_EUlS1Q_E_NS1_11comp_targetILNS1_3genE0ELNS1_11target_archE4294967295ELNS1_3gpuE0ELNS1_3repE0EEENS1_30default_config_static_selectorELNS0_4arch9wavefront6targetE0EEEvS13_.num_agpr, 0
	.set _ZN7rocprim17ROCPRIM_400000_NS6detail17trampoline_kernelINS0_13select_configILj256ELj13ELNS0_17block_load_methodE3ELS4_3ELS4_3ELNS0_20block_scan_algorithmE0ELj4294967295EEENS1_25partition_config_selectorILNS1_17partition_subalgoE4EjNS0_10empty_typeEbEEZZNS1_14partition_implILS8_4ELb0ES6_15HIP_vector_typeIjLj2EENS0_17counting_iteratorIjlEEPS9_SG_NS0_5tupleIJPjSI_NS0_16reverse_iteratorISI_EEEEENSH_IJSG_SG_SG_EEES9_SI_JZNS1_25segmented_radix_sort_implINS0_14default_configELb1EPK6__halfPSP_PKlPlN2at6native12_GLOBAL__N_18offset_tEEE10hipError_tPvRmT1_PNSt15iterator_traitsIS13_E10value_typeET2_T3_PNS14_IS19_E10value_typeET4_jRbjT5_S1F_jjP12ihipStream_tbEUljE_ZNSN_ISO_Lb1ESR_SS_SU_SV_SZ_EES10_S11_S12_S13_S17_S18_S19_S1C_S1D_jS1E_jS1F_S1F_jjS1H_bEUljE0_EEES10_S11_S12_S19_S1D_S1F_T6_T7_T9_mT8_S1H_bDpT10_ENKUlT_T0_E_clISt17integral_constantIbLb0EES1U_IbLb1EEEEDaS1Q_S1R_EUlS1Q_E_NS1_11comp_targetILNS1_3genE0ELNS1_11target_archE4294967295ELNS1_3gpuE0ELNS1_3repE0EEENS1_30default_config_static_selectorELNS0_4arch9wavefront6targetE0EEEvS13_.numbered_sgpr, 0
	.set _ZN7rocprim17ROCPRIM_400000_NS6detail17trampoline_kernelINS0_13select_configILj256ELj13ELNS0_17block_load_methodE3ELS4_3ELS4_3ELNS0_20block_scan_algorithmE0ELj4294967295EEENS1_25partition_config_selectorILNS1_17partition_subalgoE4EjNS0_10empty_typeEbEEZZNS1_14partition_implILS8_4ELb0ES6_15HIP_vector_typeIjLj2EENS0_17counting_iteratorIjlEEPS9_SG_NS0_5tupleIJPjSI_NS0_16reverse_iteratorISI_EEEEENSH_IJSG_SG_SG_EEES9_SI_JZNS1_25segmented_radix_sort_implINS0_14default_configELb1EPK6__halfPSP_PKlPlN2at6native12_GLOBAL__N_18offset_tEEE10hipError_tPvRmT1_PNSt15iterator_traitsIS13_E10value_typeET2_T3_PNS14_IS19_E10value_typeET4_jRbjT5_S1F_jjP12ihipStream_tbEUljE_ZNSN_ISO_Lb1ESR_SS_SU_SV_SZ_EES10_S11_S12_S13_S17_S18_S19_S1C_S1D_jS1E_jS1F_S1F_jjS1H_bEUljE0_EEES10_S11_S12_S19_S1D_S1F_T6_T7_T9_mT8_S1H_bDpT10_ENKUlT_T0_E_clISt17integral_constantIbLb0EES1U_IbLb1EEEEDaS1Q_S1R_EUlS1Q_E_NS1_11comp_targetILNS1_3genE0ELNS1_11target_archE4294967295ELNS1_3gpuE0ELNS1_3repE0EEENS1_30default_config_static_selectorELNS0_4arch9wavefront6targetE0EEEvS13_.num_named_barrier, 0
	.set _ZN7rocprim17ROCPRIM_400000_NS6detail17trampoline_kernelINS0_13select_configILj256ELj13ELNS0_17block_load_methodE3ELS4_3ELS4_3ELNS0_20block_scan_algorithmE0ELj4294967295EEENS1_25partition_config_selectorILNS1_17partition_subalgoE4EjNS0_10empty_typeEbEEZZNS1_14partition_implILS8_4ELb0ES6_15HIP_vector_typeIjLj2EENS0_17counting_iteratorIjlEEPS9_SG_NS0_5tupleIJPjSI_NS0_16reverse_iteratorISI_EEEEENSH_IJSG_SG_SG_EEES9_SI_JZNS1_25segmented_radix_sort_implINS0_14default_configELb1EPK6__halfPSP_PKlPlN2at6native12_GLOBAL__N_18offset_tEEE10hipError_tPvRmT1_PNSt15iterator_traitsIS13_E10value_typeET2_T3_PNS14_IS19_E10value_typeET4_jRbjT5_S1F_jjP12ihipStream_tbEUljE_ZNSN_ISO_Lb1ESR_SS_SU_SV_SZ_EES10_S11_S12_S13_S17_S18_S19_S1C_S1D_jS1E_jS1F_S1F_jjS1H_bEUljE0_EEES10_S11_S12_S19_S1D_S1F_T6_T7_T9_mT8_S1H_bDpT10_ENKUlT_T0_E_clISt17integral_constantIbLb0EES1U_IbLb1EEEEDaS1Q_S1R_EUlS1Q_E_NS1_11comp_targetILNS1_3genE0ELNS1_11target_archE4294967295ELNS1_3gpuE0ELNS1_3repE0EEENS1_30default_config_static_selectorELNS0_4arch9wavefront6targetE0EEEvS13_.private_seg_size, 0
	.set _ZN7rocprim17ROCPRIM_400000_NS6detail17trampoline_kernelINS0_13select_configILj256ELj13ELNS0_17block_load_methodE3ELS4_3ELS4_3ELNS0_20block_scan_algorithmE0ELj4294967295EEENS1_25partition_config_selectorILNS1_17partition_subalgoE4EjNS0_10empty_typeEbEEZZNS1_14partition_implILS8_4ELb0ES6_15HIP_vector_typeIjLj2EENS0_17counting_iteratorIjlEEPS9_SG_NS0_5tupleIJPjSI_NS0_16reverse_iteratorISI_EEEEENSH_IJSG_SG_SG_EEES9_SI_JZNS1_25segmented_radix_sort_implINS0_14default_configELb1EPK6__halfPSP_PKlPlN2at6native12_GLOBAL__N_18offset_tEEE10hipError_tPvRmT1_PNSt15iterator_traitsIS13_E10value_typeET2_T3_PNS14_IS19_E10value_typeET4_jRbjT5_S1F_jjP12ihipStream_tbEUljE_ZNSN_ISO_Lb1ESR_SS_SU_SV_SZ_EES10_S11_S12_S13_S17_S18_S19_S1C_S1D_jS1E_jS1F_S1F_jjS1H_bEUljE0_EEES10_S11_S12_S19_S1D_S1F_T6_T7_T9_mT8_S1H_bDpT10_ENKUlT_T0_E_clISt17integral_constantIbLb0EES1U_IbLb1EEEEDaS1Q_S1R_EUlS1Q_E_NS1_11comp_targetILNS1_3genE0ELNS1_11target_archE4294967295ELNS1_3gpuE0ELNS1_3repE0EEENS1_30default_config_static_selectorELNS0_4arch9wavefront6targetE0EEEvS13_.uses_vcc, 0
	.set _ZN7rocprim17ROCPRIM_400000_NS6detail17trampoline_kernelINS0_13select_configILj256ELj13ELNS0_17block_load_methodE3ELS4_3ELS4_3ELNS0_20block_scan_algorithmE0ELj4294967295EEENS1_25partition_config_selectorILNS1_17partition_subalgoE4EjNS0_10empty_typeEbEEZZNS1_14partition_implILS8_4ELb0ES6_15HIP_vector_typeIjLj2EENS0_17counting_iteratorIjlEEPS9_SG_NS0_5tupleIJPjSI_NS0_16reverse_iteratorISI_EEEEENSH_IJSG_SG_SG_EEES9_SI_JZNS1_25segmented_radix_sort_implINS0_14default_configELb1EPK6__halfPSP_PKlPlN2at6native12_GLOBAL__N_18offset_tEEE10hipError_tPvRmT1_PNSt15iterator_traitsIS13_E10value_typeET2_T3_PNS14_IS19_E10value_typeET4_jRbjT5_S1F_jjP12ihipStream_tbEUljE_ZNSN_ISO_Lb1ESR_SS_SU_SV_SZ_EES10_S11_S12_S13_S17_S18_S19_S1C_S1D_jS1E_jS1F_S1F_jjS1H_bEUljE0_EEES10_S11_S12_S19_S1D_S1F_T6_T7_T9_mT8_S1H_bDpT10_ENKUlT_T0_E_clISt17integral_constantIbLb0EES1U_IbLb1EEEEDaS1Q_S1R_EUlS1Q_E_NS1_11comp_targetILNS1_3genE0ELNS1_11target_archE4294967295ELNS1_3gpuE0ELNS1_3repE0EEENS1_30default_config_static_selectorELNS0_4arch9wavefront6targetE0EEEvS13_.uses_flat_scratch, 0
	.set _ZN7rocprim17ROCPRIM_400000_NS6detail17trampoline_kernelINS0_13select_configILj256ELj13ELNS0_17block_load_methodE3ELS4_3ELS4_3ELNS0_20block_scan_algorithmE0ELj4294967295EEENS1_25partition_config_selectorILNS1_17partition_subalgoE4EjNS0_10empty_typeEbEEZZNS1_14partition_implILS8_4ELb0ES6_15HIP_vector_typeIjLj2EENS0_17counting_iteratorIjlEEPS9_SG_NS0_5tupleIJPjSI_NS0_16reverse_iteratorISI_EEEEENSH_IJSG_SG_SG_EEES9_SI_JZNS1_25segmented_radix_sort_implINS0_14default_configELb1EPK6__halfPSP_PKlPlN2at6native12_GLOBAL__N_18offset_tEEE10hipError_tPvRmT1_PNSt15iterator_traitsIS13_E10value_typeET2_T3_PNS14_IS19_E10value_typeET4_jRbjT5_S1F_jjP12ihipStream_tbEUljE_ZNSN_ISO_Lb1ESR_SS_SU_SV_SZ_EES10_S11_S12_S13_S17_S18_S19_S1C_S1D_jS1E_jS1F_S1F_jjS1H_bEUljE0_EEES10_S11_S12_S19_S1D_S1F_T6_T7_T9_mT8_S1H_bDpT10_ENKUlT_T0_E_clISt17integral_constantIbLb0EES1U_IbLb1EEEEDaS1Q_S1R_EUlS1Q_E_NS1_11comp_targetILNS1_3genE0ELNS1_11target_archE4294967295ELNS1_3gpuE0ELNS1_3repE0EEENS1_30default_config_static_selectorELNS0_4arch9wavefront6targetE0EEEvS13_.has_dyn_sized_stack, 0
	.set _ZN7rocprim17ROCPRIM_400000_NS6detail17trampoline_kernelINS0_13select_configILj256ELj13ELNS0_17block_load_methodE3ELS4_3ELS4_3ELNS0_20block_scan_algorithmE0ELj4294967295EEENS1_25partition_config_selectorILNS1_17partition_subalgoE4EjNS0_10empty_typeEbEEZZNS1_14partition_implILS8_4ELb0ES6_15HIP_vector_typeIjLj2EENS0_17counting_iteratorIjlEEPS9_SG_NS0_5tupleIJPjSI_NS0_16reverse_iteratorISI_EEEEENSH_IJSG_SG_SG_EEES9_SI_JZNS1_25segmented_radix_sort_implINS0_14default_configELb1EPK6__halfPSP_PKlPlN2at6native12_GLOBAL__N_18offset_tEEE10hipError_tPvRmT1_PNSt15iterator_traitsIS13_E10value_typeET2_T3_PNS14_IS19_E10value_typeET4_jRbjT5_S1F_jjP12ihipStream_tbEUljE_ZNSN_ISO_Lb1ESR_SS_SU_SV_SZ_EES10_S11_S12_S13_S17_S18_S19_S1C_S1D_jS1E_jS1F_S1F_jjS1H_bEUljE0_EEES10_S11_S12_S19_S1D_S1F_T6_T7_T9_mT8_S1H_bDpT10_ENKUlT_T0_E_clISt17integral_constantIbLb0EES1U_IbLb1EEEEDaS1Q_S1R_EUlS1Q_E_NS1_11comp_targetILNS1_3genE0ELNS1_11target_archE4294967295ELNS1_3gpuE0ELNS1_3repE0EEENS1_30default_config_static_selectorELNS0_4arch9wavefront6targetE0EEEvS13_.has_recursion, 0
	.set _ZN7rocprim17ROCPRIM_400000_NS6detail17trampoline_kernelINS0_13select_configILj256ELj13ELNS0_17block_load_methodE3ELS4_3ELS4_3ELNS0_20block_scan_algorithmE0ELj4294967295EEENS1_25partition_config_selectorILNS1_17partition_subalgoE4EjNS0_10empty_typeEbEEZZNS1_14partition_implILS8_4ELb0ES6_15HIP_vector_typeIjLj2EENS0_17counting_iteratorIjlEEPS9_SG_NS0_5tupleIJPjSI_NS0_16reverse_iteratorISI_EEEEENSH_IJSG_SG_SG_EEES9_SI_JZNS1_25segmented_radix_sort_implINS0_14default_configELb1EPK6__halfPSP_PKlPlN2at6native12_GLOBAL__N_18offset_tEEE10hipError_tPvRmT1_PNSt15iterator_traitsIS13_E10value_typeET2_T3_PNS14_IS19_E10value_typeET4_jRbjT5_S1F_jjP12ihipStream_tbEUljE_ZNSN_ISO_Lb1ESR_SS_SU_SV_SZ_EES10_S11_S12_S13_S17_S18_S19_S1C_S1D_jS1E_jS1F_S1F_jjS1H_bEUljE0_EEES10_S11_S12_S19_S1D_S1F_T6_T7_T9_mT8_S1H_bDpT10_ENKUlT_T0_E_clISt17integral_constantIbLb0EES1U_IbLb1EEEEDaS1Q_S1R_EUlS1Q_E_NS1_11comp_targetILNS1_3genE0ELNS1_11target_archE4294967295ELNS1_3gpuE0ELNS1_3repE0EEENS1_30default_config_static_selectorELNS0_4arch9wavefront6targetE0EEEvS13_.has_indirect_call, 0
	.section	.AMDGPU.csdata,"",@progbits
; Kernel info:
; codeLenInByte = 0
; TotalNumSgprs: 0
; NumVgprs: 0
; ScratchSize: 0
; MemoryBound: 0
; FloatMode: 240
; IeeeMode: 1
; LDSByteSize: 0 bytes/workgroup (compile time only)
; SGPRBlocks: 0
; VGPRBlocks: 0
; NumSGPRsForWavesPerEU: 1
; NumVGPRsForWavesPerEU: 1
; Occupancy: 16
; WaveLimiterHint : 0
; COMPUTE_PGM_RSRC2:SCRATCH_EN: 0
; COMPUTE_PGM_RSRC2:USER_SGPR: 6
; COMPUTE_PGM_RSRC2:TRAP_HANDLER: 0
; COMPUTE_PGM_RSRC2:TGID_X_EN: 1
; COMPUTE_PGM_RSRC2:TGID_Y_EN: 0
; COMPUTE_PGM_RSRC2:TGID_Z_EN: 0
; COMPUTE_PGM_RSRC2:TIDIG_COMP_CNT: 0
	.section	.text._ZN7rocprim17ROCPRIM_400000_NS6detail17trampoline_kernelINS0_13select_configILj256ELj13ELNS0_17block_load_methodE3ELS4_3ELS4_3ELNS0_20block_scan_algorithmE0ELj4294967295EEENS1_25partition_config_selectorILNS1_17partition_subalgoE4EjNS0_10empty_typeEbEEZZNS1_14partition_implILS8_4ELb0ES6_15HIP_vector_typeIjLj2EENS0_17counting_iteratorIjlEEPS9_SG_NS0_5tupleIJPjSI_NS0_16reverse_iteratorISI_EEEEENSH_IJSG_SG_SG_EEES9_SI_JZNS1_25segmented_radix_sort_implINS0_14default_configELb1EPK6__halfPSP_PKlPlN2at6native12_GLOBAL__N_18offset_tEEE10hipError_tPvRmT1_PNSt15iterator_traitsIS13_E10value_typeET2_T3_PNS14_IS19_E10value_typeET4_jRbjT5_S1F_jjP12ihipStream_tbEUljE_ZNSN_ISO_Lb1ESR_SS_SU_SV_SZ_EES10_S11_S12_S13_S17_S18_S19_S1C_S1D_jS1E_jS1F_S1F_jjS1H_bEUljE0_EEES10_S11_S12_S19_S1D_S1F_T6_T7_T9_mT8_S1H_bDpT10_ENKUlT_T0_E_clISt17integral_constantIbLb0EES1U_IbLb1EEEEDaS1Q_S1R_EUlS1Q_E_NS1_11comp_targetILNS1_3genE5ELNS1_11target_archE942ELNS1_3gpuE9ELNS1_3repE0EEENS1_30default_config_static_selectorELNS0_4arch9wavefront6targetE0EEEvS13_,"axG",@progbits,_ZN7rocprim17ROCPRIM_400000_NS6detail17trampoline_kernelINS0_13select_configILj256ELj13ELNS0_17block_load_methodE3ELS4_3ELS4_3ELNS0_20block_scan_algorithmE0ELj4294967295EEENS1_25partition_config_selectorILNS1_17partition_subalgoE4EjNS0_10empty_typeEbEEZZNS1_14partition_implILS8_4ELb0ES6_15HIP_vector_typeIjLj2EENS0_17counting_iteratorIjlEEPS9_SG_NS0_5tupleIJPjSI_NS0_16reverse_iteratorISI_EEEEENSH_IJSG_SG_SG_EEES9_SI_JZNS1_25segmented_radix_sort_implINS0_14default_configELb1EPK6__halfPSP_PKlPlN2at6native12_GLOBAL__N_18offset_tEEE10hipError_tPvRmT1_PNSt15iterator_traitsIS13_E10value_typeET2_T3_PNS14_IS19_E10value_typeET4_jRbjT5_S1F_jjP12ihipStream_tbEUljE_ZNSN_ISO_Lb1ESR_SS_SU_SV_SZ_EES10_S11_S12_S13_S17_S18_S19_S1C_S1D_jS1E_jS1F_S1F_jjS1H_bEUljE0_EEES10_S11_S12_S19_S1D_S1F_T6_T7_T9_mT8_S1H_bDpT10_ENKUlT_T0_E_clISt17integral_constantIbLb0EES1U_IbLb1EEEEDaS1Q_S1R_EUlS1Q_E_NS1_11comp_targetILNS1_3genE5ELNS1_11target_archE942ELNS1_3gpuE9ELNS1_3repE0EEENS1_30default_config_static_selectorELNS0_4arch9wavefront6targetE0EEEvS13_,comdat
	.globl	_ZN7rocprim17ROCPRIM_400000_NS6detail17trampoline_kernelINS0_13select_configILj256ELj13ELNS0_17block_load_methodE3ELS4_3ELS4_3ELNS0_20block_scan_algorithmE0ELj4294967295EEENS1_25partition_config_selectorILNS1_17partition_subalgoE4EjNS0_10empty_typeEbEEZZNS1_14partition_implILS8_4ELb0ES6_15HIP_vector_typeIjLj2EENS0_17counting_iteratorIjlEEPS9_SG_NS0_5tupleIJPjSI_NS0_16reverse_iteratorISI_EEEEENSH_IJSG_SG_SG_EEES9_SI_JZNS1_25segmented_radix_sort_implINS0_14default_configELb1EPK6__halfPSP_PKlPlN2at6native12_GLOBAL__N_18offset_tEEE10hipError_tPvRmT1_PNSt15iterator_traitsIS13_E10value_typeET2_T3_PNS14_IS19_E10value_typeET4_jRbjT5_S1F_jjP12ihipStream_tbEUljE_ZNSN_ISO_Lb1ESR_SS_SU_SV_SZ_EES10_S11_S12_S13_S17_S18_S19_S1C_S1D_jS1E_jS1F_S1F_jjS1H_bEUljE0_EEES10_S11_S12_S19_S1D_S1F_T6_T7_T9_mT8_S1H_bDpT10_ENKUlT_T0_E_clISt17integral_constantIbLb0EES1U_IbLb1EEEEDaS1Q_S1R_EUlS1Q_E_NS1_11comp_targetILNS1_3genE5ELNS1_11target_archE942ELNS1_3gpuE9ELNS1_3repE0EEENS1_30default_config_static_selectorELNS0_4arch9wavefront6targetE0EEEvS13_ ; -- Begin function _ZN7rocprim17ROCPRIM_400000_NS6detail17trampoline_kernelINS0_13select_configILj256ELj13ELNS0_17block_load_methodE3ELS4_3ELS4_3ELNS0_20block_scan_algorithmE0ELj4294967295EEENS1_25partition_config_selectorILNS1_17partition_subalgoE4EjNS0_10empty_typeEbEEZZNS1_14partition_implILS8_4ELb0ES6_15HIP_vector_typeIjLj2EENS0_17counting_iteratorIjlEEPS9_SG_NS0_5tupleIJPjSI_NS0_16reverse_iteratorISI_EEEEENSH_IJSG_SG_SG_EEES9_SI_JZNS1_25segmented_radix_sort_implINS0_14default_configELb1EPK6__halfPSP_PKlPlN2at6native12_GLOBAL__N_18offset_tEEE10hipError_tPvRmT1_PNSt15iterator_traitsIS13_E10value_typeET2_T3_PNS14_IS19_E10value_typeET4_jRbjT5_S1F_jjP12ihipStream_tbEUljE_ZNSN_ISO_Lb1ESR_SS_SU_SV_SZ_EES10_S11_S12_S13_S17_S18_S19_S1C_S1D_jS1E_jS1F_S1F_jjS1H_bEUljE0_EEES10_S11_S12_S19_S1D_S1F_T6_T7_T9_mT8_S1H_bDpT10_ENKUlT_T0_E_clISt17integral_constantIbLb0EES1U_IbLb1EEEEDaS1Q_S1R_EUlS1Q_E_NS1_11comp_targetILNS1_3genE5ELNS1_11target_archE942ELNS1_3gpuE9ELNS1_3repE0EEENS1_30default_config_static_selectorELNS0_4arch9wavefront6targetE0EEEvS13_
	.p2align	8
	.type	_ZN7rocprim17ROCPRIM_400000_NS6detail17trampoline_kernelINS0_13select_configILj256ELj13ELNS0_17block_load_methodE3ELS4_3ELS4_3ELNS0_20block_scan_algorithmE0ELj4294967295EEENS1_25partition_config_selectorILNS1_17partition_subalgoE4EjNS0_10empty_typeEbEEZZNS1_14partition_implILS8_4ELb0ES6_15HIP_vector_typeIjLj2EENS0_17counting_iteratorIjlEEPS9_SG_NS0_5tupleIJPjSI_NS0_16reverse_iteratorISI_EEEEENSH_IJSG_SG_SG_EEES9_SI_JZNS1_25segmented_radix_sort_implINS0_14default_configELb1EPK6__halfPSP_PKlPlN2at6native12_GLOBAL__N_18offset_tEEE10hipError_tPvRmT1_PNSt15iterator_traitsIS13_E10value_typeET2_T3_PNS14_IS19_E10value_typeET4_jRbjT5_S1F_jjP12ihipStream_tbEUljE_ZNSN_ISO_Lb1ESR_SS_SU_SV_SZ_EES10_S11_S12_S13_S17_S18_S19_S1C_S1D_jS1E_jS1F_S1F_jjS1H_bEUljE0_EEES10_S11_S12_S19_S1D_S1F_T6_T7_T9_mT8_S1H_bDpT10_ENKUlT_T0_E_clISt17integral_constantIbLb0EES1U_IbLb1EEEEDaS1Q_S1R_EUlS1Q_E_NS1_11comp_targetILNS1_3genE5ELNS1_11target_archE942ELNS1_3gpuE9ELNS1_3repE0EEENS1_30default_config_static_selectorELNS0_4arch9wavefront6targetE0EEEvS13_,@function
_ZN7rocprim17ROCPRIM_400000_NS6detail17trampoline_kernelINS0_13select_configILj256ELj13ELNS0_17block_load_methodE3ELS4_3ELS4_3ELNS0_20block_scan_algorithmE0ELj4294967295EEENS1_25partition_config_selectorILNS1_17partition_subalgoE4EjNS0_10empty_typeEbEEZZNS1_14partition_implILS8_4ELb0ES6_15HIP_vector_typeIjLj2EENS0_17counting_iteratorIjlEEPS9_SG_NS0_5tupleIJPjSI_NS0_16reverse_iteratorISI_EEEEENSH_IJSG_SG_SG_EEES9_SI_JZNS1_25segmented_radix_sort_implINS0_14default_configELb1EPK6__halfPSP_PKlPlN2at6native12_GLOBAL__N_18offset_tEEE10hipError_tPvRmT1_PNSt15iterator_traitsIS13_E10value_typeET2_T3_PNS14_IS19_E10value_typeET4_jRbjT5_S1F_jjP12ihipStream_tbEUljE_ZNSN_ISO_Lb1ESR_SS_SU_SV_SZ_EES10_S11_S12_S13_S17_S18_S19_S1C_S1D_jS1E_jS1F_S1F_jjS1H_bEUljE0_EEES10_S11_S12_S19_S1D_S1F_T6_T7_T9_mT8_S1H_bDpT10_ENKUlT_T0_E_clISt17integral_constantIbLb0EES1U_IbLb1EEEEDaS1Q_S1R_EUlS1Q_E_NS1_11comp_targetILNS1_3genE5ELNS1_11target_archE942ELNS1_3gpuE9ELNS1_3repE0EEENS1_30default_config_static_selectorELNS0_4arch9wavefront6targetE0EEEvS13_: ; @_ZN7rocprim17ROCPRIM_400000_NS6detail17trampoline_kernelINS0_13select_configILj256ELj13ELNS0_17block_load_methodE3ELS4_3ELS4_3ELNS0_20block_scan_algorithmE0ELj4294967295EEENS1_25partition_config_selectorILNS1_17partition_subalgoE4EjNS0_10empty_typeEbEEZZNS1_14partition_implILS8_4ELb0ES6_15HIP_vector_typeIjLj2EENS0_17counting_iteratorIjlEEPS9_SG_NS0_5tupleIJPjSI_NS0_16reverse_iteratorISI_EEEEENSH_IJSG_SG_SG_EEES9_SI_JZNS1_25segmented_radix_sort_implINS0_14default_configELb1EPK6__halfPSP_PKlPlN2at6native12_GLOBAL__N_18offset_tEEE10hipError_tPvRmT1_PNSt15iterator_traitsIS13_E10value_typeET2_T3_PNS14_IS19_E10value_typeET4_jRbjT5_S1F_jjP12ihipStream_tbEUljE_ZNSN_ISO_Lb1ESR_SS_SU_SV_SZ_EES10_S11_S12_S13_S17_S18_S19_S1C_S1D_jS1E_jS1F_S1F_jjS1H_bEUljE0_EEES10_S11_S12_S19_S1D_S1F_T6_T7_T9_mT8_S1H_bDpT10_ENKUlT_T0_E_clISt17integral_constantIbLb0EES1U_IbLb1EEEEDaS1Q_S1R_EUlS1Q_E_NS1_11comp_targetILNS1_3genE5ELNS1_11target_archE942ELNS1_3gpuE9ELNS1_3repE0EEENS1_30default_config_static_selectorELNS0_4arch9wavefront6targetE0EEEvS13_
; %bb.0:
	.section	.rodata,"a",@progbits
	.p2align	6, 0x0
	.amdhsa_kernel _ZN7rocprim17ROCPRIM_400000_NS6detail17trampoline_kernelINS0_13select_configILj256ELj13ELNS0_17block_load_methodE3ELS4_3ELS4_3ELNS0_20block_scan_algorithmE0ELj4294967295EEENS1_25partition_config_selectorILNS1_17partition_subalgoE4EjNS0_10empty_typeEbEEZZNS1_14partition_implILS8_4ELb0ES6_15HIP_vector_typeIjLj2EENS0_17counting_iteratorIjlEEPS9_SG_NS0_5tupleIJPjSI_NS0_16reverse_iteratorISI_EEEEENSH_IJSG_SG_SG_EEES9_SI_JZNS1_25segmented_radix_sort_implINS0_14default_configELb1EPK6__halfPSP_PKlPlN2at6native12_GLOBAL__N_18offset_tEEE10hipError_tPvRmT1_PNSt15iterator_traitsIS13_E10value_typeET2_T3_PNS14_IS19_E10value_typeET4_jRbjT5_S1F_jjP12ihipStream_tbEUljE_ZNSN_ISO_Lb1ESR_SS_SU_SV_SZ_EES10_S11_S12_S13_S17_S18_S19_S1C_S1D_jS1E_jS1F_S1F_jjS1H_bEUljE0_EEES10_S11_S12_S19_S1D_S1F_T6_T7_T9_mT8_S1H_bDpT10_ENKUlT_T0_E_clISt17integral_constantIbLb0EES1U_IbLb1EEEEDaS1Q_S1R_EUlS1Q_E_NS1_11comp_targetILNS1_3genE5ELNS1_11target_archE942ELNS1_3gpuE9ELNS1_3repE0EEENS1_30default_config_static_selectorELNS0_4arch9wavefront6targetE0EEEvS13_
		.amdhsa_group_segment_fixed_size 0
		.amdhsa_private_segment_fixed_size 0
		.amdhsa_kernarg_size 184
		.amdhsa_user_sgpr_count 6
		.amdhsa_user_sgpr_private_segment_buffer 1
		.amdhsa_user_sgpr_dispatch_ptr 0
		.amdhsa_user_sgpr_queue_ptr 0
		.amdhsa_user_sgpr_kernarg_segment_ptr 1
		.amdhsa_user_sgpr_dispatch_id 0
		.amdhsa_user_sgpr_flat_scratch_init 0
		.amdhsa_user_sgpr_private_segment_size 0
		.amdhsa_wavefront_size32 1
		.amdhsa_uses_dynamic_stack 0
		.amdhsa_system_sgpr_private_segment_wavefront_offset 0
		.amdhsa_system_sgpr_workgroup_id_x 1
		.amdhsa_system_sgpr_workgroup_id_y 0
		.amdhsa_system_sgpr_workgroup_id_z 0
		.amdhsa_system_sgpr_workgroup_info 0
		.amdhsa_system_vgpr_workitem_id 0
		.amdhsa_next_free_vgpr 1
		.amdhsa_next_free_sgpr 1
		.amdhsa_reserve_vcc 0
		.amdhsa_reserve_flat_scratch 0
		.amdhsa_float_round_mode_32 0
		.amdhsa_float_round_mode_16_64 0
		.amdhsa_float_denorm_mode_32 3
		.amdhsa_float_denorm_mode_16_64 3
		.amdhsa_dx10_clamp 1
		.amdhsa_ieee_mode 1
		.amdhsa_fp16_overflow 0
		.amdhsa_workgroup_processor_mode 1
		.amdhsa_memory_ordered 1
		.amdhsa_forward_progress 1
		.amdhsa_shared_vgpr_count 0
		.amdhsa_exception_fp_ieee_invalid_op 0
		.amdhsa_exception_fp_denorm_src 0
		.amdhsa_exception_fp_ieee_div_zero 0
		.amdhsa_exception_fp_ieee_overflow 0
		.amdhsa_exception_fp_ieee_underflow 0
		.amdhsa_exception_fp_ieee_inexact 0
		.amdhsa_exception_int_div_zero 0
	.end_amdhsa_kernel
	.section	.text._ZN7rocprim17ROCPRIM_400000_NS6detail17trampoline_kernelINS0_13select_configILj256ELj13ELNS0_17block_load_methodE3ELS4_3ELS4_3ELNS0_20block_scan_algorithmE0ELj4294967295EEENS1_25partition_config_selectorILNS1_17partition_subalgoE4EjNS0_10empty_typeEbEEZZNS1_14partition_implILS8_4ELb0ES6_15HIP_vector_typeIjLj2EENS0_17counting_iteratorIjlEEPS9_SG_NS0_5tupleIJPjSI_NS0_16reverse_iteratorISI_EEEEENSH_IJSG_SG_SG_EEES9_SI_JZNS1_25segmented_radix_sort_implINS0_14default_configELb1EPK6__halfPSP_PKlPlN2at6native12_GLOBAL__N_18offset_tEEE10hipError_tPvRmT1_PNSt15iterator_traitsIS13_E10value_typeET2_T3_PNS14_IS19_E10value_typeET4_jRbjT5_S1F_jjP12ihipStream_tbEUljE_ZNSN_ISO_Lb1ESR_SS_SU_SV_SZ_EES10_S11_S12_S13_S17_S18_S19_S1C_S1D_jS1E_jS1F_S1F_jjS1H_bEUljE0_EEES10_S11_S12_S19_S1D_S1F_T6_T7_T9_mT8_S1H_bDpT10_ENKUlT_T0_E_clISt17integral_constantIbLb0EES1U_IbLb1EEEEDaS1Q_S1R_EUlS1Q_E_NS1_11comp_targetILNS1_3genE5ELNS1_11target_archE942ELNS1_3gpuE9ELNS1_3repE0EEENS1_30default_config_static_selectorELNS0_4arch9wavefront6targetE0EEEvS13_,"axG",@progbits,_ZN7rocprim17ROCPRIM_400000_NS6detail17trampoline_kernelINS0_13select_configILj256ELj13ELNS0_17block_load_methodE3ELS4_3ELS4_3ELNS0_20block_scan_algorithmE0ELj4294967295EEENS1_25partition_config_selectorILNS1_17partition_subalgoE4EjNS0_10empty_typeEbEEZZNS1_14partition_implILS8_4ELb0ES6_15HIP_vector_typeIjLj2EENS0_17counting_iteratorIjlEEPS9_SG_NS0_5tupleIJPjSI_NS0_16reverse_iteratorISI_EEEEENSH_IJSG_SG_SG_EEES9_SI_JZNS1_25segmented_radix_sort_implINS0_14default_configELb1EPK6__halfPSP_PKlPlN2at6native12_GLOBAL__N_18offset_tEEE10hipError_tPvRmT1_PNSt15iterator_traitsIS13_E10value_typeET2_T3_PNS14_IS19_E10value_typeET4_jRbjT5_S1F_jjP12ihipStream_tbEUljE_ZNSN_ISO_Lb1ESR_SS_SU_SV_SZ_EES10_S11_S12_S13_S17_S18_S19_S1C_S1D_jS1E_jS1F_S1F_jjS1H_bEUljE0_EEES10_S11_S12_S19_S1D_S1F_T6_T7_T9_mT8_S1H_bDpT10_ENKUlT_T0_E_clISt17integral_constantIbLb0EES1U_IbLb1EEEEDaS1Q_S1R_EUlS1Q_E_NS1_11comp_targetILNS1_3genE5ELNS1_11target_archE942ELNS1_3gpuE9ELNS1_3repE0EEENS1_30default_config_static_selectorELNS0_4arch9wavefront6targetE0EEEvS13_,comdat
.Lfunc_end1690:
	.size	_ZN7rocprim17ROCPRIM_400000_NS6detail17trampoline_kernelINS0_13select_configILj256ELj13ELNS0_17block_load_methodE3ELS4_3ELS4_3ELNS0_20block_scan_algorithmE0ELj4294967295EEENS1_25partition_config_selectorILNS1_17partition_subalgoE4EjNS0_10empty_typeEbEEZZNS1_14partition_implILS8_4ELb0ES6_15HIP_vector_typeIjLj2EENS0_17counting_iteratorIjlEEPS9_SG_NS0_5tupleIJPjSI_NS0_16reverse_iteratorISI_EEEEENSH_IJSG_SG_SG_EEES9_SI_JZNS1_25segmented_radix_sort_implINS0_14default_configELb1EPK6__halfPSP_PKlPlN2at6native12_GLOBAL__N_18offset_tEEE10hipError_tPvRmT1_PNSt15iterator_traitsIS13_E10value_typeET2_T3_PNS14_IS19_E10value_typeET4_jRbjT5_S1F_jjP12ihipStream_tbEUljE_ZNSN_ISO_Lb1ESR_SS_SU_SV_SZ_EES10_S11_S12_S13_S17_S18_S19_S1C_S1D_jS1E_jS1F_S1F_jjS1H_bEUljE0_EEES10_S11_S12_S19_S1D_S1F_T6_T7_T9_mT8_S1H_bDpT10_ENKUlT_T0_E_clISt17integral_constantIbLb0EES1U_IbLb1EEEEDaS1Q_S1R_EUlS1Q_E_NS1_11comp_targetILNS1_3genE5ELNS1_11target_archE942ELNS1_3gpuE9ELNS1_3repE0EEENS1_30default_config_static_selectorELNS0_4arch9wavefront6targetE0EEEvS13_, .Lfunc_end1690-_ZN7rocprim17ROCPRIM_400000_NS6detail17trampoline_kernelINS0_13select_configILj256ELj13ELNS0_17block_load_methodE3ELS4_3ELS4_3ELNS0_20block_scan_algorithmE0ELj4294967295EEENS1_25partition_config_selectorILNS1_17partition_subalgoE4EjNS0_10empty_typeEbEEZZNS1_14partition_implILS8_4ELb0ES6_15HIP_vector_typeIjLj2EENS0_17counting_iteratorIjlEEPS9_SG_NS0_5tupleIJPjSI_NS0_16reverse_iteratorISI_EEEEENSH_IJSG_SG_SG_EEES9_SI_JZNS1_25segmented_radix_sort_implINS0_14default_configELb1EPK6__halfPSP_PKlPlN2at6native12_GLOBAL__N_18offset_tEEE10hipError_tPvRmT1_PNSt15iterator_traitsIS13_E10value_typeET2_T3_PNS14_IS19_E10value_typeET4_jRbjT5_S1F_jjP12ihipStream_tbEUljE_ZNSN_ISO_Lb1ESR_SS_SU_SV_SZ_EES10_S11_S12_S13_S17_S18_S19_S1C_S1D_jS1E_jS1F_S1F_jjS1H_bEUljE0_EEES10_S11_S12_S19_S1D_S1F_T6_T7_T9_mT8_S1H_bDpT10_ENKUlT_T0_E_clISt17integral_constantIbLb0EES1U_IbLb1EEEEDaS1Q_S1R_EUlS1Q_E_NS1_11comp_targetILNS1_3genE5ELNS1_11target_archE942ELNS1_3gpuE9ELNS1_3repE0EEENS1_30default_config_static_selectorELNS0_4arch9wavefront6targetE0EEEvS13_
                                        ; -- End function
	.set _ZN7rocprim17ROCPRIM_400000_NS6detail17trampoline_kernelINS0_13select_configILj256ELj13ELNS0_17block_load_methodE3ELS4_3ELS4_3ELNS0_20block_scan_algorithmE0ELj4294967295EEENS1_25partition_config_selectorILNS1_17partition_subalgoE4EjNS0_10empty_typeEbEEZZNS1_14partition_implILS8_4ELb0ES6_15HIP_vector_typeIjLj2EENS0_17counting_iteratorIjlEEPS9_SG_NS0_5tupleIJPjSI_NS0_16reverse_iteratorISI_EEEEENSH_IJSG_SG_SG_EEES9_SI_JZNS1_25segmented_radix_sort_implINS0_14default_configELb1EPK6__halfPSP_PKlPlN2at6native12_GLOBAL__N_18offset_tEEE10hipError_tPvRmT1_PNSt15iterator_traitsIS13_E10value_typeET2_T3_PNS14_IS19_E10value_typeET4_jRbjT5_S1F_jjP12ihipStream_tbEUljE_ZNSN_ISO_Lb1ESR_SS_SU_SV_SZ_EES10_S11_S12_S13_S17_S18_S19_S1C_S1D_jS1E_jS1F_S1F_jjS1H_bEUljE0_EEES10_S11_S12_S19_S1D_S1F_T6_T7_T9_mT8_S1H_bDpT10_ENKUlT_T0_E_clISt17integral_constantIbLb0EES1U_IbLb1EEEEDaS1Q_S1R_EUlS1Q_E_NS1_11comp_targetILNS1_3genE5ELNS1_11target_archE942ELNS1_3gpuE9ELNS1_3repE0EEENS1_30default_config_static_selectorELNS0_4arch9wavefront6targetE0EEEvS13_.num_vgpr, 0
	.set _ZN7rocprim17ROCPRIM_400000_NS6detail17trampoline_kernelINS0_13select_configILj256ELj13ELNS0_17block_load_methodE3ELS4_3ELS4_3ELNS0_20block_scan_algorithmE0ELj4294967295EEENS1_25partition_config_selectorILNS1_17partition_subalgoE4EjNS0_10empty_typeEbEEZZNS1_14partition_implILS8_4ELb0ES6_15HIP_vector_typeIjLj2EENS0_17counting_iteratorIjlEEPS9_SG_NS0_5tupleIJPjSI_NS0_16reverse_iteratorISI_EEEEENSH_IJSG_SG_SG_EEES9_SI_JZNS1_25segmented_radix_sort_implINS0_14default_configELb1EPK6__halfPSP_PKlPlN2at6native12_GLOBAL__N_18offset_tEEE10hipError_tPvRmT1_PNSt15iterator_traitsIS13_E10value_typeET2_T3_PNS14_IS19_E10value_typeET4_jRbjT5_S1F_jjP12ihipStream_tbEUljE_ZNSN_ISO_Lb1ESR_SS_SU_SV_SZ_EES10_S11_S12_S13_S17_S18_S19_S1C_S1D_jS1E_jS1F_S1F_jjS1H_bEUljE0_EEES10_S11_S12_S19_S1D_S1F_T6_T7_T9_mT8_S1H_bDpT10_ENKUlT_T0_E_clISt17integral_constantIbLb0EES1U_IbLb1EEEEDaS1Q_S1R_EUlS1Q_E_NS1_11comp_targetILNS1_3genE5ELNS1_11target_archE942ELNS1_3gpuE9ELNS1_3repE0EEENS1_30default_config_static_selectorELNS0_4arch9wavefront6targetE0EEEvS13_.num_agpr, 0
	.set _ZN7rocprim17ROCPRIM_400000_NS6detail17trampoline_kernelINS0_13select_configILj256ELj13ELNS0_17block_load_methodE3ELS4_3ELS4_3ELNS0_20block_scan_algorithmE0ELj4294967295EEENS1_25partition_config_selectorILNS1_17partition_subalgoE4EjNS0_10empty_typeEbEEZZNS1_14partition_implILS8_4ELb0ES6_15HIP_vector_typeIjLj2EENS0_17counting_iteratorIjlEEPS9_SG_NS0_5tupleIJPjSI_NS0_16reverse_iteratorISI_EEEEENSH_IJSG_SG_SG_EEES9_SI_JZNS1_25segmented_radix_sort_implINS0_14default_configELb1EPK6__halfPSP_PKlPlN2at6native12_GLOBAL__N_18offset_tEEE10hipError_tPvRmT1_PNSt15iterator_traitsIS13_E10value_typeET2_T3_PNS14_IS19_E10value_typeET4_jRbjT5_S1F_jjP12ihipStream_tbEUljE_ZNSN_ISO_Lb1ESR_SS_SU_SV_SZ_EES10_S11_S12_S13_S17_S18_S19_S1C_S1D_jS1E_jS1F_S1F_jjS1H_bEUljE0_EEES10_S11_S12_S19_S1D_S1F_T6_T7_T9_mT8_S1H_bDpT10_ENKUlT_T0_E_clISt17integral_constantIbLb0EES1U_IbLb1EEEEDaS1Q_S1R_EUlS1Q_E_NS1_11comp_targetILNS1_3genE5ELNS1_11target_archE942ELNS1_3gpuE9ELNS1_3repE0EEENS1_30default_config_static_selectorELNS0_4arch9wavefront6targetE0EEEvS13_.numbered_sgpr, 0
	.set _ZN7rocprim17ROCPRIM_400000_NS6detail17trampoline_kernelINS0_13select_configILj256ELj13ELNS0_17block_load_methodE3ELS4_3ELS4_3ELNS0_20block_scan_algorithmE0ELj4294967295EEENS1_25partition_config_selectorILNS1_17partition_subalgoE4EjNS0_10empty_typeEbEEZZNS1_14partition_implILS8_4ELb0ES6_15HIP_vector_typeIjLj2EENS0_17counting_iteratorIjlEEPS9_SG_NS0_5tupleIJPjSI_NS0_16reverse_iteratorISI_EEEEENSH_IJSG_SG_SG_EEES9_SI_JZNS1_25segmented_radix_sort_implINS0_14default_configELb1EPK6__halfPSP_PKlPlN2at6native12_GLOBAL__N_18offset_tEEE10hipError_tPvRmT1_PNSt15iterator_traitsIS13_E10value_typeET2_T3_PNS14_IS19_E10value_typeET4_jRbjT5_S1F_jjP12ihipStream_tbEUljE_ZNSN_ISO_Lb1ESR_SS_SU_SV_SZ_EES10_S11_S12_S13_S17_S18_S19_S1C_S1D_jS1E_jS1F_S1F_jjS1H_bEUljE0_EEES10_S11_S12_S19_S1D_S1F_T6_T7_T9_mT8_S1H_bDpT10_ENKUlT_T0_E_clISt17integral_constantIbLb0EES1U_IbLb1EEEEDaS1Q_S1R_EUlS1Q_E_NS1_11comp_targetILNS1_3genE5ELNS1_11target_archE942ELNS1_3gpuE9ELNS1_3repE0EEENS1_30default_config_static_selectorELNS0_4arch9wavefront6targetE0EEEvS13_.num_named_barrier, 0
	.set _ZN7rocprim17ROCPRIM_400000_NS6detail17trampoline_kernelINS0_13select_configILj256ELj13ELNS0_17block_load_methodE3ELS4_3ELS4_3ELNS0_20block_scan_algorithmE0ELj4294967295EEENS1_25partition_config_selectorILNS1_17partition_subalgoE4EjNS0_10empty_typeEbEEZZNS1_14partition_implILS8_4ELb0ES6_15HIP_vector_typeIjLj2EENS0_17counting_iteratorIjlEEPS9_SG_NS0_5tupleIJPjSI_NS0_16reverse_iteratorISI_EEEEENSH_IJSG_SG_SG_EEES9_SI_JZNS1_25segmented_radix_sort_implINS0_14default_configELb1EPK6__halfPSP_PKlPlN2at6native12_GLOBAL__N_18offset_tEEE10hipError_tPvRmT1_PNSt15iterator_traitsIS13_E10value_typeET2_T3_PNS14_IS19_E10value_typeET4_jRbjT5_S1F_jjP12ihipStream_tbEUljE_ZNSN_ISO_Lb1ESR_SS_SU_SV_SZ_EES10_S11_S12_S13_S17_S18_S19_S1C_S1D_jS1E_jS1F_S1F_jjS1H_bEUljE0_EEES10_S11_S12_S19_S1D_S1F_T6_T7_T9_mT8_S1H_bDpT10_ENKUlT_T0_E_clISt17integral_constantIbLb0EES1U_IbLb1EEEEDaS1Q_S1R_EUlS1Q_E_NS1_11comp_targetILNS1_3genE5ELNS1_11target_archE942ELNS1_3gpuE9ELNS1_3repE0EEENS1_30default_config_static_selectorELNS0_4arch9wavefront6targetE0EEEvS13_.private_seg_size, 0
	.set _ZN7rocprim17ROCPRIM_400000_NS6detail17trampoline_kernelINS0_13select_configILj256ELj13ELNS0_17block_load_methodE3ELS4_3ELS4_3ELNS0_20block_scan_algorithmE0ELj4294967295EEENS1_25partition_config_selectorILNS1_17partition_subalgoE4EjNS0_10empty_typeEbEEZZNS1_14partition_implILS8_4ELb0ES6_15HIP_vector_typeIjLj2EENS0_17counting_iteratorIjlEEPS9_SG_NS0_5tupleIJPjSI_NS0_16reverse_iteratorISI_EEEEENSH_IJSG_SG_SG_EEES9_SI_JZNS1_25segmented_radix_sort_implINS0_14default_configELb1EPK6__halfPSP_PKlPlN2at6native12_GLOBAL__N_18offset_tEEE10hipError_tPvRmT1_PNSt15iterator_traitsIS13_E10value_typeET2_T3_PNS14_IS19_E10value_typeET4_jRbjT5_S1F_jjP12ihipStream_tbEUljE_ZNSN_ISO_Lb1ESR_SS_SU_SV_SZ_EES10_S11_S12_S13_S17_S18_S19_S1C_S1D_jS1E_jS1F_S1F_jjS1H_bEUljE0_EEES10_S11_S12_S19_S1D_S1F_T6_T7_T9_mT8_S1H_bDpT10_ENKUlT_T0_E_clISt17integral_constantIbLb0EES1U_IbLb1EEEEDaS1Q_S1R_EUlS1Q_E_NS1_11comp_targetILNS1_3genE5ELNS1_11target_archE942ELNS1_3gpuE9ELNS1_3repE0EEENS1_30default_config_static_selectorELNS0_4arch9wavefront6targetE0EEEvS13_.uses_vcc, 0
	.set _ZN7rocprim17ROCPRIM_400000_NS6detail17trampoline_kernelINS0_13select_configILj256ELj13ELNS0_17block_load_methodE3ELS4_3ELS4_3ELNS0_20block_scan_algorithmE0ELj4294967295EEENS1_25partition_config_selectorILNS1_17partition_subalgoE4EjNS0_10empty_typeEbEEZZNS1_14partition_implILS8_4ELb0ES6_15HIP_vector_typeIjLj2EENS0_17counting_iteratorIjlEEPS9_SG_NS0_5tupleIJPjSI_NS0_16reverse_iteratorISI_EEEEENSH_IJSG_SG_SG_EEES9_SI_JZNS1_25segmented_radix_sort_implINS0_14default_configELb1EPK6__halfPSP_PKlPlN2at6native12_GLOBAL__N_18offset_tEEE10hipError_tPvRmT1_PNSt15iterator_traitsIS13_E10value_typeET2_T3_PNS14_IS19_E10value_typeET4_jRbjT5_S1F_jjP12ihipStream_tbEUljE_ZNSN_ISO_Lb1ESR_SS_SU_SV_SZ_EES10_S11_S12_S13_S17_S18_S19_S1C_S1D_jS1E_jS1F_S1F_jjS1H_bEUljE0_EEES10_S11_S12_S19_S1D_S1F_T6_T7_T9_mT8_S1H_bDpT10_ENKUlT_T0_E_clISt17integral_constantIbLb0EES1U_IbLb1EEEEDaS1Q_S1R_EUlS1Q_E_NS1_11comp_targetILNS1_3genE5ELNS1_11target_archE942ELNS1_3gpuE9ELNS1_3repE0EEENS1_30default_config_static_selectorELNS0_4arch9wavefront6targetE0EEEvS13_.uses_flat_scratch, 0
	.set _ZN7rocprim17ROCPRIM_400000_NS6detail17trampoline_kernelINS0_13select_configILj256ELj13ELNS0_17block_load_methodE3ELS4_3ELS4_3ELNS0_20block_scan_algorithmE0ELj4294967295EEENS1_25partition_config_selectorILNS1_17partition_subalgoE4EjNS0_10empty_typeEbEEZZNS1_14partition_implILS8_4ELb0ES6_15HIP_vector_typeIjLj2EENS0_17counting_iteratorIjlEEPS9_SG_NS0_5tupleIJPjSI_NS0_16reverse_iteratorISI_EEEEENSH_IJSG_SG_SG_EEES9_SI_JZNS1_25segmented_radix_sort_implINS0_14default_configELb1EPK6__halfPSP_PKlPlN2at6native12_GLOBAL__N_18offset_tEEE10hipError_tPvRmT1_PNSt15iterator_traitsIS13_E10value_typeET2_T3_PNS14_IS19_E10value_typeET4_jRbjT5_S1F_jjP12ihipStream_tbEUljE_ZNSN_ISO_Lb1ESR_SS_SU_SV_SZ_EES10_S11_S12_S13_S17_S18_S19_S1C_S1D_jS1E_jS1F_S1F_jjS1H_bEUljE0_EEES10_S11_S12_S19_S1D_S1F_T6_T7_T9_mT8_S1H_bDpT10_ENKUlT_T0_E_clISt17integral_constantIbLb0EES1U_IbLb1EEEEDaS1Q_S1R_EUlS1Q_E_NS1_11comp_targetILNS1_3genE5ELNS1_11target_archE942ELNS1_3gpuE9ELNS1_3repE0EEENS1_30default_config_static_selectorELNS0_4arch9wavefront6targetE0EEEvS13_.has_dyn_sized_stack, 0
	.set _ZN7rocprim17ROCPRIM_400000_NS6detail17trampoline_kernelINS0_13select_configILj256ELj13ELNS0_17block_load_methodE3ELS4_3ELS4_3ELNS0_20block_scan_algorithmE0ELj4294967295EEENS1_25partition_config_selectorILNS1_17partition_subalgoE4EjNS0_10empty_typeEbEEZZNS1_14partition_implILS8_4ELb0ES6_15HIP_vector_typeIjLj2EENS0_17counting_iteratorIjlEEPS9_SG_NS0_5tupleIJPjSI_NS0_16reverse_iteratorISI_EEEEENSH_IJSG_SG_SG_EEES9_SI_JZNS1_25segmented_radix_sort_implINS0_14default_configELb1EPK6__halfPSP_PKlPlN2at6native12_GLOBAL__N_18offset_tEEE10hipError_tPvRmT1_PNSt15iterator_traitsIS13_E10value_typeET2_T3_PNS14_IS19_E10value_typeET4_jRbjT5_S1F_jjP12ihipStream_tbEUljE_ZNSN_ISO_Lb1ESR_SS_SU_SV_SZ_EES10_S11_S12_S13_S17_S18_S19_S1C_S1D_jS1E_jS1F_S1F_jjS1H_bEUljE0_EEES10_S11_S12_S19_S1D_S1F_T6_T7_T9_mT8_S1H_bDpT10_ENKUlT_T0_E_clISt17integral_constantIbLb0EES1U_IbLb1EEEEDaS1Q_S1R_EUlS1Q_E_NS1_11comp_targetILNS1_3genE5ELNS1_11target_archE942ELNS1_3gpuE9ELNS1_3repE0EEENS1_30default_config_static_selectorELNS0_4arch9wavefront6targetE0EEEvS13_.has_recursion, 0
	.set _ZN7rocprim17ROCPRIM_400000_NS6detail17trampoline_kernelINS0_13select_configILj256ELj13ELNS0_17block_load_methodE3ELS4_3ELS4_3ELNS0_20block_scan_algorithmE0ELj4294967295EEENS1_25partition_config_selectorILNS1_17partition_subalgoE4EjNS0_10empty_typeEbEEZZNS1_14partition_implILS8_4ELb0ES6_15HIP_vector_typeIjLj2EENS0_17counting_iteratorIjlEEPS9_SG_NS0_5tupleIJPjSI_NS0_16reverse_iteratorISI_EEEEENSH_IJSG_SG_SG_EEES9_SI_JZNS1_25segmented_radix_sort_implINS0_14default_configELb1EPK6__halfPSP_PKlPlN2at6native12_GLOBAL__N_18offset_tEEE10hipError_tPvRmT1_PNSt15iterator_traitsIS13_E10value_typeET2_T3_PNS14_IS19_E10value_typeET4_jRbjT5_S1F_jjP12ihipStream_tbEUljE_ZNSN_ISO_Lb1ESR_SS_SU_SV_SZ_EES10_S11_S12_S13_S17_S18_S19_S1C_S1D_jS1E_jS1F_S1F_jjS1H_bEUljE0_EEES10_S11_S12_S19_S1D_S1F_T6_T7_T9_mT8_S1H_bDpT10_ENKUlT_T0_E_clISt17integral_constantIbLb0EES1U_IbLb1EEEEDaS1Q_S1R_EUlS1Q_E_NS1_11comp_targetILNS1_3genE5ELNS1_11target_archE942ELNS1_3gpuE9ELNS1_3repE0EEENS1_30default_config_static_selectorELNS0_4arch9wavefront6targetE0EEEvS13_.has_indirect_call, 0
	.section	.AMDGPU.csdata,"",@progbits
; Kernel info:
; codeLenInByte = 0
; TotalNumSgprs: 0
; NumVgprs: 0
; ScratchSize: 0
; MemoryBound: 0
; FloatMode: 240
; IeeeMode: 1
; LDSByteSize: 0 bytes/workgroup (compile time only)
; SGPRBlocks: 0
; VGPRBlocks: 0
; NumSGPRsForWavesPerEU: 1
; NumVGPRsForWavesPerEU: 1
; Occupancy: 16
; WaveLimiterHint : 0
; COMPUTE_PGM_RSRC2:SCRATCH_EN: 0
; COMPUTE_PGM_RSRC2:USER_SGPR: 6
; COMPUTE_PGM_RSRC2:TRAP_HANDLER: 0
; COMPUTE_PGM_RSRC2:TGID_X_EN: 1
; COMPUTE_PGM_RSRC2:TGID_Y_EN: 0
; COMPUTE_PGM_RSRC2:TGID_Z_EN: 0
; COMPUTE_PGM_RSRC2:TIDIG_COMP_CNT: 0
	.section	.text._ZN7rocprim17ROCPRIM_400000_NS6detail17trampoline_kernelINS0_13select_configILj256ELj13ELNS0_17block_load_methodE3ELS4_3ELS4_3ELNS0_20block_scan_algorithmE0ELj4294967295EEENS1_25partition_config_selectorILNS1_17partition_subalgoE4EjNS0_10empty_typeEbEEZZNS1_14partition_implILS8_4ELb0ES6_15HIP_vector_typeIjLj2EENS0_17counting_iteratorIjlEEPS9_SG_NS0_5tupleIJPjSI_NS0_16reverse_iteratorISI_EEEEENSH_IJSG_SG_SG_EEES9_SI_JZNS1_25segmented_radix_sort_implINS0_14default_configELb1EPK6__halfPSP_PKlPlN2at6native12_GLOBAL__N_18offset_tEEE10hipError_tPvRmT1_PNSt15iterator_traitsIS13_E10value_typeET2_T3_PNS14_IS19_E10value_typeET4_jRbjT5_S1F_jjP12ihipStream_tbEUljE_ZNSN_ISO_Lb1ESR_SS_SU_SV_SZ_EES10_S11_S12_S13_S17_S18_S19_S1C_S1D_jS1E_jS1F_S1F_jjS1H_bEUljE0_EEES10_S11_S12_S19_S1D_S1F_T6_T7_T9_mT8_S1H_bDpT10_ENKUlT_T0_E_clISt17integral_constantIbLb0EES1U_IbLb1EEEEDaS1Q_S1R_EUlS1Q_E_NS1_11comp_targetILNS1_3genE4ELNS1_11target_archE910ELNS1_3gpuE8ELNS1_3repE0EEENS1_30default_config_static_selectorELNS0_4arch9wavefront6targetE0EEEvS13_,"axG",@progbits,_ZN7rocprim17ROCPRIM_400000_NS6detail17trampoline_kernelINS0_13select_configILj256ELj13ELNS0_17block_load_methodE3ELS4_3ELS4_3ELNS0_20block_scan_algorithmE0ELj4294967295EEENS1_25partition_config_selectorILNS1_17partition_subalgoE4EjNS0_10empty_typeEbEEZZNS1_14partition_implILS8_4ELb0ES6_15HIP_vector_typeIjLj2EENS0_17counting_iteratorIjlEEPS9_SG_NS0_5tupleIJPjSI_NS0_16reverse_iteratorISI_EEEEENSH_IJSG_SG_SG_EEES9_SI_JZNS1_25segmented_radix_sort_implINS0_14default_configELb1EPK6__halfPSP_PKlPlN2at6native12_GLOBAL__N_18offset_tEEE10hipError_tPvRmT1_PNSt15iterator_traitsIS13_E10value_typeET2_T3_PNS14_IS19_E10value_typeET4_jRbjT5_S1F_jjP12ihipStream_tbEUljE_ZNSN_ISO_Lb1ESR_SS_SU_SV_SZ_EES10_S11_S12_S13_S17_S18_S19_S1C_S1D_jS1E_jS1F_S1F_jjS1H_bEUljE0_EEES10_S11_S12_S19_S1D_S1F_T6_T7_T9_mT8_S1H_bDpT10_ENKUlT_T0_E_clISt17integral_constantIbLb0EES1U_IbLb1EEEEDaS1Q_S1R_EUlS1Q_E_NS1_11comp_targetILNS1_3genE4ELNS1_11target_archE910ELNS1_3gpuE8ELNS1_3repE0EEENS1_30default_config_static_selectorELNS0_4arch9wavefront6targetE0EEEvS13_,comdat
	.globl	_ZN7rocprim17ROCPRIM_400000_NS6detail17trampoline_kernelINS0_13select_configILj256ELj13ELNS0_17block_load_methodE3ELS4_3ELS4_3ELNS0_20block_scan_algorithmE0ELj4294967295EEENS1_25partition_config_selectorILNS1_17partition_subalgoE4EjNS0_10empty_typeEbEEZZNS1_14partition_implILS8_4ELb0ES6_15HIP_vector_typeIjLj2EENS0_17counting_iteratorIjlEEPS9_SG_NS0_5tupleIJPjSI_NS0_16reverse_iteratorISI_EEEEENSH_IJSG_SG_SG_EEES9_SI_JZNS1_25segmented_radix_sort_implINS0_14default_configELb1EPK6__halfPSP_PKlPlN2at6native12_GLOBAL__N_18offset_tEEE10hipError_tPvRmT1_PNSt15iterator_traitsIS13_E10value_typeET2_T3_PNS14_IS19_E10value_typeET4_jRbjT5_S1F_jjP12ihipStream_tbEUljE_ZNSN_ISO_Lb1ESR_SS_SU_SV_SZ_EES10_S11_S12_S13_S17_S18_S19_S1C_S1D_jS1E_jS1F_S1F_jjS1H_bEUljE0_EEES10_S11_S12_S19_S1D_S1F_T6_T7_T9_mT8_S1H_bDpT10_ENKUlT_T0_E_clISt17integral_constantIbLb0EES1U_IbLb1EEEEDaS1Q_S1R_EUlS1Q_E_NS1_11comp_targetILNS1_3genE4ELNS1_11target_archE910ELNS1_3gpuE8ELNS1_3repE0EEENS1_30default_config_static_selectorELNS0_4arch9wavefront6targetE0EEEvS13_ ; -- Begin function _ZN7rocprim17ROCPRIM_400000_NS6detail17trampoline_kernelINS0_13select_configILj256ELj13ELNS0_17block_load_methodE3ELS4_3ELS4_3ELNS0_20block_scan_algorithmE0ELj4294967295EEENS1_25partition_config_selectorILNS1_17partition_subalgoE4EjNS0_10empty_typeEbEEZZNS1_14partition_implILS8_4ELb0ES6_15HIP_vector_typeIjLj2EENS0_17counting_iteratorIjlEEPS9_SG_NS0_5tupleIJPjSI_NS0_16reverse_iteratorISI_EEEEENSH_IJSG_SG_SG_EEES9_SI_JZNS1_25segmented_radix_sort_implINS0_14default_configELb1EPK6__halfPSP_PKlPlN2at6native12_GLOBAL__N_18offset_tEEE10hipError_tPvRmT1_PNSt15iterator_traitsIS13_E10value_typeET2_T3_PNS14_IS19_E10value_typeET4_jRbjT5_S1F_jjP12ihipStream_tbEUljE_ZNSN_ISO_Lb1ESR_SS_SU_SV_SZ_EES10_S11_S12_S13_S17_S18_S19_S1C_S1D_jS1E_jS1F_S1F_jjS1H_bEUljE0_EEES10_S11_S12_S19_S1D_S1F_T6_T7_T9_mT8_S1H_bDpT10_ENKUlT_T0_E_clISt17integral_constantIbLb0EES1U_IbLb1EEEEDaS1Q_S1R_EUlS1Q_E_NS1_11comp_targetILNS1_3genE4ELNS1_11target_archE910ELNS1_3gpuE8ELNS1_3repE0EEENS1_30default_config_static_selectorELNS0_4arch9wavefront6targetE0EEEvS13_
	.p2align	8
	.type	_ZN7rocprim17ROCPRIM_400000_NS6detail17trampoline_kernelINS0_13select_configILj256ELj13ELNS0_17block_load_methodE3ELS4_3ELS4_3ELNS0_20block_scan_algorithmE0ELj4294967295EEENS1_25partition_config_selectorILNS1_17partition_subalgoE4EjNS0_10empty_typeEbEEZZNS1_14partition_implILS8_4ELb0ES6_15HIP_vector_typeIjLj2EENS0_17counting_iteratorIjlEEPS9_SG_NS0_5tupleIJPjSI_NS0_16reverse_iteratorISI_EEEEENSH_IJSG_SG_SG_EEES9_SI_JZNS1_25segmented_radix_sort_implINS0_14default_configELb1EPK6__halfPSP_PKlPlN2at6native12_GLOBAL__N_18offset_tEEE10hipError_tPvRmT1_PNSt15iterator_traitsIS13_E10value_typeET2_T3_PNS14_IS19_E10value_typeET4_jRbjT5_S1F_jjP12ihipStream_tbEUljE_ZNSN_ISO_Lb1ESR_SS_SU_SV_SZ_EES10_S11_S12_S13_S17_S18_S19_S1C_S1D_jS1E_jS1F_S1F_jjS1H_bEUljE0_EEES10_S11_S12_S19_S1D_S1F_T6_T7_T9_mT8_S1H_bDpT10_ENKUlT_T0_E_clISt17integral_constantIbLb0EES1U_IbLb1EEEEDaS1Q_S1R_EUlS1Q_E_NS1_11comp_targetILNS1_3genE4ELNS1_11target_archE910ELNS1_3gpuE8ELNS1_3repE0EEENS1_30default_config_static_selectorELNS0_4arch9wavefront6targetE0EEEvS13_,@function
_ZN7rocprim17ROCPRIM_400000_NS6detail17trampoline_kernelINS0_13select_configILj256ELj13ELNS0_17block_load_methodE3ELS4_3ELS4_3ELNS0_20block_scan_algorithmE0ELj4294967295EEENS1_25partition_config_selectorILNS1_17partition_subalgoE4EjNS0_10empty_typeEbEEZZNS1_14partition_implILS8_4ELb0ES6_15HIP_vector_typeIjLj2EENS0_17counting_iteratorIjlEEPS9_SG_NS0_5tupleIJPjSI_NS0_16reverse_iteratorISI_EEEEENSH_IJSG_SG_SG_EEES9_SI_JZNS1_25segmented_radix_sort_implINS0_14default_configELb1EPK6__halfPSP_PKlPlN2at6native12_GLOBAL__N_18offset_tEEE10hipError_tPvRmT1_PNSt15iterator_traitsIS13_E10value_typeET2_T3_PNS14_IS19_E10value_typeET4_jRbjT5_S1F_jjP12ihipStream_tbEUljE_ZNSN_ISO_Lb1ESR_SS_SU_SV_SZ_EES10_S11_S12_S13_S17_S18_S19_S1C_S1D_jS1E_jS1F_S1F_jjS1H_bEUljE0_EEES10_S11_S12_S19_S1D_S1F_T6_T7_T9_mT8_S1H_bDpT10_ENKUlT_T0_E_clISt17integral_constantIbLb0EES1U_IbLb1EEEEDaS1Q_S1R_EUlS1Q_E_NS1_11comp_targetILNS1_3genE4ELNS1_11target_archE910ELNS1_3gpuE8ELNS1_3repE0EEENS1_30default_config_static_selectorELNS0_4arch9wavefront6targetE0EEEvS13_: ; @_ZN7rocprim17ROCPRIM_400000_NS6detail17trampoline_kernelINS0_13select_configILj256ELj13ELNS0_17block_load_methodE3ELS4_3ELS4_3ELNS0_20block_scan_algorithmE0ELj4294967295EEENS1_25partition_config_selectorILNS1_17partition_subalgoE4EjNS0_10empty_typeEbEEZZNS1_14partition_implILS8_4ELb0ES6_15HIP_vector_typeIjLj2EENS0_17counting_iteratorIjlEEPS9_SG_NS0_5tupleIJPjSI_NS0_16reverse_iteratorISI_EEEEENSH_IJSG_SG_SG_EEES9_SI_JZNS1_25segmented_radix_sort_implINS0_14default_configELb1EPK6__halfPSP_PKlPlN2at6native12_GLOBAL__N_18offset_tEEE10hipError_tPvRmT1_PNSt15iterator_traitsIS13_E10value_typeET2_T3_PNS14_IS19_E10value_typeET4_jRbjT5_S1F_jjP12ihipStream_tbEUljE_ZNSN_ISO_Lb1ESR_SS_SU_SV_SZ_EES10_S11_S12_S13_S17_S18_S19_S1C_S1D_jS1E_jS1F_S1F_jjS1H_bEUljE0_EEES10_S11_S12_S19_S1D_S1F_T6_T7_T9_mT8_S1H_bDpT10_ENKUlT_T0_E_clISt17integral_constantIbLb0EES1U_IbLb1EEEEDaS1Q_S1R_EUlS1Q_E_NS1_11comp_targetILNS1_3genE4ELNS1_11target_archE910ELNS1_3gpuE8ELNS1_3repE0EEENS1_30default_config_static_selectorELNS0_4arch9wavefront6targetE0EEEvS13_
; %bb.0:
	.section	.rodata,"a",@progbits
	.p2align	6, 0x0
	.amdhsa_kernel _ZN7rocprim17ROCPRIM_400000_NS6detail17trampoline_kernelINS0_13select_configILj256ELj13ELNS0_17block_load_methodE3ELS4_3ELS4_3ELNS0_20block_scan_algorithmE0ELj4294967295EEENS1_25partition_config_selectorILNS1_17partition_subalgoE4EjNS0_10empty_typeEbEEZZNS1_14partition_implILS8_4ELb0ES6_15HIP_vector_typeIjLj2EENS0_17counting_iteratorIjlEEPS9_SG_NS0_5tupleIJPjSI_NS0_16reverse_iteratorISI_EEEEENSH_IJSG_SG_SG_EEES9_SI_JZNS1_25segmented_radix_sort_implINS0_14default_configELb1EPK6__halfPSP_PKlPlN2at6native12_GLOBAL__N_18offset_tEEE10hipError_tPvRmT1_PNSt15iterator_traitsIS13_E10value_typeET2_T3_PNS14_IS19_E10value_typeET4_jRbjT5_S1F_jjP12ihipStream_tbEUljE_ZNSN_ISO_Lb1ESR_SS_SU_SV_SZ_EES10_S11_S12_S13_S17_S18_S19_S1C_S1D_jS1E_jS1F_S1F_jjS1H_bEUljE0_EEES10_S11_S12_S19_S1D_S1F_T6_T7_T9_mT8_S1H_bDpT10_ENKUlT_T0_E_clISt17integral_constantIbLb0EES1U_IbLb1EEEEDaS1Q_S1R_EUlS1Q_E_NS1_11comp_targetILNS1_3genE4ELNS1_11target_archE910ELNS1_3gpuE8ELNS1_3repE0EEENS1_30default_config_static_selectorELNS0_4arch9wavefront6targetE0EEEvS13_
		.amdhsa_group_segment_fixed_size 0
		.amdhsa_private_segment_fixed_size 0
		.amdhsa_kernarg_size 184
		.amdhsa_user_sgpr_count 6
		.amdhsa_user_sgpr_private_segment_buffer 1
		.amdhsa_user_sgpr_dispatch_ptr 0
		.amdhsa_user_sgpr_queue_ptr 0
		.amdhsa_user_sgpr_kernarg_segment_ptr 1
		.amdhsa_user_sgpr_dispatch_id 0
		.amdhsa_user_sgpr_flat_scratch_init 0
		.amdhsa_user_sgpr_private_segment_size 0
		.amdhsa_wavefront_size32 1
		.amdhsa_uses_dynamic_stack 0
		.amdhsa_system_sgpr_private_segment_wavefront_offset 0
		.amdhsa_system_sgpr_workgroup_id_x 1
		.amdhsa_system_sgpr_workgroup_id_y 0
		.amdhsa_system_sgpr_workgroup_id_z 0
		.amdhsa_system_sgpr_workgroup_info 0
		.amdhsa_system_vgpr_workitem_id 0
		.amdhsa_next_free_vgpr 1
		.amdhsa_next_free_sgpr 1
		.amdhsa_reserve_vcc 0
		.amdhsa_reserve_flat_scratch 0
		.amdhsa_float_round_mode_32 0
		.amdhsa_float_round_mode_16_64 0
		.amdhsa_float_denorm_mode_32 3
		.amdhsa_float_denorm_mode_16_64 3
		.amdhsa_dx10_clamp 1
		.amdhsa_ieee_mode 1
		.amdhsa_fp16_overflow 0
		.amdhsa_workgroup_processor_mode 1
		.amdhsa_memory_ordered 1
		.amdhsa_forward_progress 1
		.amdhsa_shared_vgpr_count 0
		.amdhsa_exception_fp_ieee_invalid_op 0
		.amdhsa_exception_fp_denorm_src 0
		.amdhsa_exception_fp_ieee_div_zero 0
		.amdhsa_exception_fp_ieee_overflow 0
		.amdhsa_exception_fp_ieee_underflow 0
		.amdhsa_exception_fp_ieee_inexact 0
		.amdhsa_exception_int_div_zero 0
	.end_amdhsa_kernel
	.section	.text._ZN7rocprim17ROCPRIM_400000_NS6detail17trampoline_kernelINS0_13select_configILj256ELj13ELNS0_17block_load_methodE3ELS4_3ELS4_3ELNS0_20block_scan_algorithmE0ELj4294967295EEENS1_25partition_config_selectorILNS1_17partition_subalgoE4EjNS0_10empty_typeEbEEZZNS1_14partition_implILS8_4ELb0ES6_15HIP_vector_typeIjLj2EENS0_17counting_iteratorIjlEEPS9_SG_NS0_5tupleIJPjSI_NS0_16reverse_iteratorISI_EEEEENSH_IJSG_SG_SG_EEES9_SI_JZNS1_25segmented_radix_sort_implINS0_14default_configELb1EPK6__halfPSP_PKlPlN2at6native12_GLOBAL__N_18offset_tEEE10hipError_tPvRmT1_PNSt15iterator_traitsIS13_E10value_typeET2_T3_PNS14_IS19_E10value_typeET4_jRbjT5_S1F_jjP12ihipStream_tbEUljE_ZNSN_ISO_Lb1ESR_SS_SU_SV_SZ_EES10_S11_S12_S13_S17_S18_S19_S1C_S1D_jS1E_jS1F_S1F_jjS1H_bEUljE0_EEES10_S11_S12_S19_S1D_S1F_T6_T7_T9_mT8_S1H_bDpT10_ENKUlT_T0_E_clISt17integral_constantIbLb0EES1U_IbLb1EEEEDaS1Q_S1R_EUlS1Q_E_NS1_11comp_targetILNS1_3genE4ELNS1_11target_archE910ELNS1_3gpuE8ELNS1_3repE0EEENS1_30default_config_static_selectorELNS0_4arch9wavefront6targetE0EEEvS13_,"axG",@progbits,_ZN7rocprim17ROCPRIM_400000_NS6detail17trampoline_kernelINS0_13select_configILj256ELj13ELNS0_17block_load_methodE3ELS4_3ELS4_3ELNS0_20block_scan_algorithmE0ELj4294967295EEENS1_25partition_config_selectorILNS1_17partition_subalgoE4EjNS0_10empty_typeEbEEZZNS1_14partition_implILS8_4ELb0ES6_15HIP_vector_typeIjLj2EENS0_17counting_iteratorIjlEEPS9_SG_NS0_5tupleIJPjSI_NS0_16reverse_iteratorISI_EEEEENSH_IJSG_SG_SG_EEES9_SI_JZNS1_25segmented_radix_sort_implINS0_14default_configELb1EPK6__halfPSP_PKlPlN2at6native12_GLOBAL__N_18offset_tEEE10hipError_tPvRmT1_PNSt15iterator_traitsIS13_E10value_typeET2_T3_PNS14_IS19_E10value_typeET4_jRbjT5_S1F_jjP12ihipStream_tbEUljE_ZNSN_ISO_Lb1ESR_SS_SU_SV_SZ_EES10_S11_S12_S13_S17_S18_S19_S1C_S1D_jS1E_jS1F_S1F_jjS1H_bEUljE0_EEES10_S11_S12_S19_S1D_S1F_T6_T7_T9_mT8_S1H_bDpT10_ENKUlT_T0_E_clISt17integral_constantIbLb0EES1U_IbLb1EEEEDaS1Q_S1R_EUlS1Q_E_NS1_11comp_targetILNS1_3genE4ELNS1_11target_archE910ELNS1_3gpuE8ELNS1_3repE0EEENS1_30default_config_static_selectorELNS0_4arch9wavefront6targetE0EEEvS13_,comdat
.Lfunc_end1691:
	.size	_ZN7rocprim17ROCPRIM_400000_NS6detail17trampoline_kernelINS0_13select_configILj256ELj13ELNS0_17block_load_methodE3ELS4_3ELS4_3ELNS0_20block_scan_algorithmE0ELj4294967295EEENS1_25partition_config_selectorILNS1_17partition_subalgoE4EjNS0_10empty_typeEbEEZZNS1_14partition_implILS8_4ELb0ES6_15HIP_vector_typeIjLj2EENS0_17counting_iteratorIjlEEPS9_SG_NS0_5tupleIJPjSI_NS0_16reverse_iteratorISI_EEEEENSH_IJSG_SG_SG_EEES9_SI_JZNS1_25segmented_radix_sort_implINS0_14default_configELb1EPK6__halfPSP_PKlPlN2at6native12_GLOBAL__N_18offset_tEEE10hipError_tPvRmT1_PNSt15iterator_traitsIS13_E10value_typeET2_T3_PNS14_IS19_E10value_typeET4_jRbjT5_S1F_jjP12ihipStream_tbEUljE_ZNSN_ISO_Lb1ESR_SS_SU_SV_SZ_EES10_S11_S12_S13_S17_S18_S19_S1C_S1D_jS1E_jS1F_S1F_jjS1H_bEUljE0_EEES10_S11_S12_S19_S1D_S1F_T6_T7_T9_mT8_S1H_bDpT10_ENKUlT_T0_E_clISt17integral_constantIbLb0EES1U_IbLb1EEEEDaS1Q_S1R_EUlS1Q_E_NS1_11comp_targetILNS1_3genE4ELNS1_11target_archE910ELNS1_3gpuE8ELNS1_3repE0EEENS1_30default_config_static_selectorELNS0_4arch9wavefront6targetE0EEEvS13_, .Lfunc_end1691-_ZN7rocprim17ROCPRIM_400000_NS6detail17trampoline_kernelINS0_13select_configILj256ELj13ELNS0_17block_load_methodE3ELS4_3ELS4_3ELNS0_20block_scan_algorithmE0ELj4294967295EEENS1_25partition_config_selectorILNS1_17partition_subalgoE4EjNS0_10empty_typeEbEEZZNS1_14partition_implILS8_4ELb0ES6_15HIP_vector_typeIjLj2EENS0_17counting_iteratorIjlEEPS9_SG_NS0_5tupleIJPjSI_NS0_16reverse_iteratorISI_EEEEENSH_IJSG_SG_SG_EEES9_SI_JZNS1_25segmented_radix_sort_implINS0_14default_configELb1EPK6__halfPSP_PKlPlN2at6native12_GLOBAL__N_18offset_tEEE10hipError_tPvRmT1_PNSt15iterator_traitsIS13_E10value_typeET2_T3_PNS14_IS19_E10value_typeET4_jRbjT5_S1F_jjP12ihipStream_tbEUljE_ZNSN_ISO_Lb1ESR_SS_SU_SV_SZ_EES10_S11_S12_S13_S17_S18_S19_S1C_S1D_jS1E_jS1F_S1F_jjS1H_bEUljE0_EEES10_S11_S12_S19_S1D_S1F_T6_T7_T9_mT8_S1H_bDpT10_ENKUlT_T0_E_clISt17integral_constantIbLb0EES1U_IbLb1EEEEDaS1Q_S1R_EUlS1Q_E_NS1_11comp_targetILNS1_3genE4ELNS1_11target_archE910ELNS1_3gpuE8ELNS1_3repE0EEENS1_30default_config_static_selectorELNS0_4arch9wavefront6targetE0EEEvS13_
                                        ; -- End function
	.set _ZN7rocprim17ROCPRIM_400000_NS6detail17trampoline_kernelINS0_13select_configILj256ELj13ELNS0_17block_load_methodE3ELS4_3ELS4_3ELNS0_20block_scan_algorithmE0ELj4294967295EEENS1_25partition_config_selectorILNS1_17partition_subalgoE4EjNS0_10empty_typeEbEEZZNS1_14partition_implILS8_4ELb0ES6_15HIP_vector_typeIjLj2EENS0_17counting_iteratorIjlEEPS9_SG_NS0_5tupleIJPjSI_NS0_16reverse_iteratorISI_EEEEENSH_IJSG_SG_SG_EEES9_SI_JZNS1_25segmented_radix_sort_implINS0_14default_configELb1EPK6__halfPSP_PKlPlN2at6native12_GLOBAL__N_18offset_tEEE10hipError_tPvRmT1_PNSt15iterator_traitsIS13_E10value_typeET2_T3_PNS14_IS19_E10value_typeET4_jRbjT5_S1F_jjP12ihipStream_tbEUljE_ZNSN_ISO_Lb1ESR_SS_SU_SV_SZ_EES10_S11_S12_S13_S17_S18_S19_S1C_S1D_jS1E_jS1F_S1F_jjS1H_bEUljE0_EEES10_S11_S12_S19_S1D_S1F_T6_T7_T9_mT8_S1H_bDpT10_ENKUlT_T0_E_clISt17integral_constantIbLb0EES1U_IbLb1EEEEDaS1Q_S1R_EUlS1Q_E_NS1_11comp_targetILNS1_3genE4ELNS1_11target_archE910ELNS1_3gpuE8ELNS1_3repE0EEENS1_30default_config_static_selectorELNS0_4arch9wavefront6targetE0EEEvS13_.num_vgpr, 0
	.set _ZN7rocprim17ROCPRIM_400000_NS6detail17trampoline_kernelINS0_13select_configILj256ELj13ELNS0_17block_load_methodE3ELS4_3ELS4_3ELNS0_20block_scan_algorithmE0ELj4294967295EEENS1_25partition_config_selectorILNS1_17partition_subalgoE4EjNS0_10empty_typeEbEEZZNS1_14partition_implILS8_4ELb0ES6_15HIP_vector_typeIjLj2EENS0_17counting_iteratorIjlEEPS9_SG_NS0_5tupleIJPjSI_NS0_16reverse_iteratorISI_EEEEENSH_IJSG_SG_SG_EEES9_SI_JZNS1_25segmented_radix_sort_implINS0_14default_configELb1EPK6__halfPSP_PKlPlN2at6native12_GLOBAL__N_18offset_tEEE10hipError_tPvRmT1_PNSt15iterator_traitsIS13_E10value_typeET2_T3_PNS14_IS19_E10value_typeET4_jRbjT5_S1F_jjP12ihipStream_tbEUljE_ZNSN_ISO_Lb1ESR_SS_SU_SV_SZ_EES10_S11_S12_S13_S17_S18_S19_S1C_S1D_jS1E_jS1F_S1F_jjS1H_bEUljE0_EEES10_S11_S12_S19_S1D_S1F_T6_T7_T9_mT8_S1H_bDpT10_ENKUlT_T0_E_clISt17integral_constantIbLb0EES1U_IbLb1EEEEDaS1Q_S1R_EUlS1Q_E_NS1_11comp_targetILNS1_3genE4ELNS1_11target_archE910ELNS1_3gpuE8ELNS1_3repE0EEENS1_30default_config_static_selectorELNS0_4arch9wavefront6targetE0EEEvS13_.num_agpr, 0
	.set _ZN7rocprim17ROCPRIM_400000_NS6detail17trampoline_kernelINS0_13select_configILj256ELj13ELNS0_17block_load_methodE3ELS4_3ELS4_3ELNS0_20block_scan_algorithmE0ELj4294967295EEENS1_25partition_config_selectorILNS1_17partition_subalgoE4EjNS0_10empty_typeEbEEZZNS1_14partition_implILS8_4ELb0ES6_15HIP_vector_typeIjLj2EENS0_17counting_iteratorIjlEEPS9_SG_NS0_5tupleIJPjSI_NS0_16reverse_iteratorISI_EEEEENSH_IJSG_SG_SG_EEES9_SI_JZNS1_25segmented_radix_sort_implINS0_14default_configELb1EPK6__halfPSP_PKlPlN2at6native12_GLOBAL__N_18offset_tEEE10hipError_tPvRmT1_PNSt15iterator_traitsIS13_E10value_typeET2_T3_PNS14_IS19_E10value_typeET4_jRbjT5_S1F_jjP12ihipStream_tbEUljE_ZNSN_ISO_Lb1ESR_SS_SU_SV_SZ_EES10_S11_S12_S13_S17_S18_S19_S1C_S1D_jS1E_jS1F_S1F_jjS1H_bEUljE0_EEES10_S11_S12_S19_S1D_S1F_T6_T7_T9_mT8_S1H_bDpT10_ENKUlT_T0_E_clISt17integral_constantIbLb0EES1U_IbLb1EEEEDaS1Q_S1R_EUlS1Q_E_NS1_11comp_targetILNS1_3genE4ELNS1_11target_archE910ELNS1_3gpuE8ELNS1_3repE0EEENS1_30default_config_static_selectorELNS0_4arch9wavefront6targetE0EEEvS13_.numbered_sgpr, 0
	.set _ZN7rocprim17ROCPRIM_400000_NS6detail17trampoline_kernelINS0_13select_configILj256ELj13ELNS0_17block_load_methodE3ELS4_3ELS4_3ELNS0_20block_scan_algorithmE0ELj4294967295EEENS1_25partition_config_selectorILNS1_17partition_subalgoE4EjNS0_10empty_typeEbEEZZNS1_14partition_implILS8_4ELb0ES6_15HIP_vector_typeIjLj2EENS0_17counting_iteratorIjlEEPS9_SG_NS0_5tupleIJPjSI_NS0_16reverse_iteratorISI_EEEEENSH_IJSG_SG_SG_EEES9_SI_JZNS1_25segmented_radix_sort_implINS0_14default_configELb1EPK6__halfPSP_PKlPlN2at6native12_GLOBAL__N_18offset_tEEE10hipError_tPvRmT1_PNSt15iterator_traitsIS13_E10value_typeET2_T3_PNS14_IS19_E10value_typeET4_jRbjT5_S1F_jjP12ihipStream_tbEUljE_ZNSN_ISO_Lb1ESR_SS_SU_SV_SZ_EES10_S11_S12_S13_S17_S18_S19_S1C_S1D_jS1E_jS1F_S1F_jjS1H_bEUljE0_EEES10_S11_S12_S19_S1D_S1F_T6_T7_T9_mT8_S1H_bDpT10_ENKUlT_T0_E_clISt17integral_constantIbLb0EES1U_IbLb1EEEEDaS1Q_S1R_EUlS1Q_E_NS1_11comp_targetILNS1_3genE4ELNS1_11target_archE910ELNS1_3gpuE8ELNS1_3repE0EEENS1_30default_config_static_selectorELNS0_4arch9wavefront6targetE0EEEvS13_.num_named_barrier, 0
	.set _ZN7rocprim17ROCPRIM_400000_NS6detail17trampoline_kernelINS0_13select_configILj256ELj13ELNS0_17block_load_methodE3ELS4_3ELS4_3ELNS0_20block_scan_algorithmE0ELj4294967295EEENS1_25partition_config_selectorILNS1_17partition_subalgoE4EjNS0_10empty_typeEbEEZZNS1_14partition_implILS8_4ELb0ES6_15HIP_vector_typeIjLj2EENS0_17counting_iteratorIjlEEPS9_SG_NS0_5tupleIJPjSI_NS0_16reverse_iteratorISI_EEEEENSH_IJSG_SG_SG_EEES9_SI_JZNS1_25segmented_radix_sort_implINS0_14default_configELb1EPK6__halfPSP_PKlPlN2at6native12_GLOBAL__N_18offset_tEEE10hipError_tPvRmT1_PNSt15iterator_traitsIS13_E10value_typeET2_T3_PNS14_IS19_E10value_typeET4_jRbjT5_S1F_jjP12ihipStream_tbEUljE_ZNSN_ISO_Lb1ESR_SS_SU_SV_SZ_EES10_S11_S12_S13_S17_S18_S19_S1C_S1D_jS1E_jS1F_S1F_jjS1H_bEUljE0_EEES10_S11_S12_S19_S1D_S1F_T6_T7_T9_mT8_S1H_bDpT10_ENKUlT_T0_E_clISt17integral_constantIbLb0EES1U_IbLb1EEEEDaS1Q_S1R_EUlS1Q_E_NS1_11comp_targetILNS1_3genE4ELNS1_11target_archE910ELNS1_3gpuE8ELNS1_3repE0EEENS1_30default_config_static_selectorELNS0_4arch9wavefront6targetE0EEEvS13_.private_seg_size, 0
	.set _ZN7rocprim17ROCPRIM_400000_NS6detail17trampoline_kernelINS0_13select_configILj256ELj13ELNS0_17block_load_methodE3ELS4_3ELS4_3ELNS0_20block_scan_algorithmE0ELj4294967295EEENS1_25partition_config_selectorILNS1_17partition_subalgoE4EjNS0_10empty_typeEbEEZZNS1_14partition_implILS8_4ELb0ES6_15HIP_vector_typeIjLj2EENS0_17counting_iteratorIjlEEPS9_SG_NS0_5tupleIJPjSI_NS0_16reverse_iteratorISI_EEEEENSH_IJSG_SG_SG_EEES9_SI_JZNS1_25segmented_radix_sort_implINS0_14default_configELb1EPK6__halfPSP_PKlPlN2at6native12_GLOBAL__N_18offset_tEEE10hipError_tPvRmT1_PNSt15iterator_traitsIS13_E10value_typeET2_T3_PNS14_IS19_E10value_typeET4_jRbjT5_S1F_jjP12ihipStream_tbEUljE_ZNSN_ISO_Lb1ESR_SS_SU_SV_SZ_EES10_S11_S12_S13_S17_S18_S19_S1C_S1D_jS1E_jS1F_S1F_jjS1H_bEUljE0_EEES10_S11_S12_S19_S1D_S1F_T6_T7_T9_mT8_S1H_bDpT10_ENKUlT_T0_E_clISt17integral_constantIbLb0EES1U_IbLb1EEEEDaS1Q_S1R_EUlS1Q_E_NS1_11comp_targetILNS1_3genE4ELNS1_11target_archE910ELNS1_3gpuE8ELNS1_3repE0EEENS1_30default_config_static_selectorELNS0_4arch9wavefront6targetE0EEEvS13_.uses_vcc, 0
	.set _ZN7rocprim17ROCPRIM_400000_NS6detail17trampoline_kernelINS0_13select_configILj256ELj13ELNS0_17block_load_methodE3ELS4_3ELS4_3ELNS0_20block_scan_algorithmE0ELj4294967295EEENS1_25partition_config_selectorILNS1_17partition_subalgoE4EjNS0_10empty_typeEbEEZZNS1_14partition_implILS8_4ELb0ES6_15HIP_vector_typeIjLj2EENS0_17counting_iteratorIjlEEPS9_SG_NS0_5tupleIJPjSI_NS0_16reverse_iteratorISI_EEEEENSH_IJSG_SG_SG_EEES9_SI_JZNS1_25segmented_radix_sort_implINS0_14default_configELb1EPK6__halfPSP_PKlPlN2at6native12_GLOBAL__N_18offset_tEEE10hipError_tPvRmT1_PNSt15iterator_traitsIS13_E10value_typeET2_T3_PNS14_IS19_E10value_typeET4_jRbjT5_S1F_jjP12ihipStream_tbEUljE_ZNSN_ISO_Lb1ESR_SS_SU_SV_SZ_EES10_S11_S12_S13_S17_S18_S19_S1C_S1D_jS1E_jS1F_S1F_jjS1H_bEUljE0_EEES10_S11_S12_S19_S1D_S1F_T6_T7_T9_mT8_S1H_bDpT10_ENKUlT_T0_E_clISt17integral_constantIbLb0EES1U_IbLb1EEEEDaS1Q_S1R_EUlS1Q_E_NS1_11comp_targetILNS1_3genE4ELNS1_11target_archE910ELNS1_3gpuE8ELNS1_3repE0EEENS1_30default_config_static_selectorELNS0_4arch9wavefront6targetE0EEEvS13_.uses_flat_scratch, 0
	.set _ZN7rocprim17ROCPRIM_400000_NS6detail17trampoline_kernelINS0_13select_configILj256ELj13ELNS0_17block_load_methodE3ELS4_3ELS4_3ELNS0_20block_scan_algorithmE0ELj4294967295EEENS1_25partition_config_selectorILNS1_17partition_subalgoE4EjNS0_10empty_typeEbEEZZNS1_14partition_implILS8_4ELb0ES6_15HIP_vector_typeIjLj2EENS0_17counting_iteratorIjlEEPS9_SG_NS0_5tupleIJPjSI_NS0_16reverse_iteratorISI_EEEEENSH_IJSG_SG_SG_EEES9_SI_JZNS1_25segmented_radix_sort_implINS0_14default_configELb1EPK6__halfPSP_PKlPlN2at6native12_GLOBAL__N_18offset_tEEE10hipError_tPvRmT1_PNSt15iterator_traitsIS13_E10value_typeET2_T3_PNS14_IS19_E10value_typeET4_jRbjT5_S1F_jjP12ihipStream_tbEUljE_ZNSN_ISO_Lb1ESR_SS_SU_SV_SZ_EES10_S11_S12_S13_S17_S18_S19_S1C_S1D_jS1E_jS1F_S1F_jjS1H_bEUljE0_EEES10_S11_S12_S19_S1D_S1F_T6_T7_T9_mT8_S1H_bDpT10_ENKUlT_T0_E_clISt17integral_constantIbLb0EES1U_IbLb1EEEEDaS1Q_S1R_EUlS1Q_E_NS1_11comp_targetILNS1_3genE4ELNS1_11target_archE910ELNS1_3gpuE8ELNS1_3repE0EEENS1_30default_config_static_selectorELNS0_4arch9wavefront6targetE0EEEvS13_.has_dyn_sized_stack, 0
	.set _ZN7rocprim17ROCPRIM_400000_NS6detail17trampoline_kernelINS0_13select_configILj256ELj13ELNS0_17block_load_methodE3ELS4_3ELS4_3ELNS0_20block_scan_algorithmE0ELj4294967295EEENS1_25partition_config_selectorILNS1_17partition_subalgoE4EjNS0_10empty_typeEbEEZZNS1_14partition_implILS8_4ELb0ES6_15HIP_vector_typeIjLj2EENS0_17counting_iteratorIjlEEPS9_SG_NS0_5tupleIJPjSI_NS0_16reverse_iteratorISI_EEEEENSH_IJSG_SG_SG_EEES9_SI_JZNS1_25segmented_radix_sort_implINS0_14default_configELb1EPK6__halfPSP_PKlPlN2at6native12_GLOBAL__N_18offset_tEEE10hipError_tPvRmT1_PNSt15iterator_traitsIS13_E10value_typeET2_T3_PNS14_IS19_E10value_typeET4_jRbjT5_S1F_jjP12ihipStream_tbEUljE_ZNSN_ISO_Lb1ESR_SS_SU_SV_SZ_EES10_S11_S12_S13_S17_S18_S19_S1C_S1D_jS1E_jS1F_S1F_jjS1H_bEUljE0_EEES10_S11_S12_S19_S1D_S1F_T6_T7_T9_mT8_S1H_bDpT10_ENKUlT_T0_E_clISt17integral_constantIbLb0EES1U_IbLb1EEEEDaS1Q_S1R_EUlS1Q_E_NS1_11comp_targetILNS1_3genE4ELNS1_11target_archE910ELNS1_3gpuE8ELNS1_3repE0EEENS1_30default_config_static_selectorELNS0_4arch9wavefront6targetE0EEEvS13_.has_recursion, 0
	.set _ZN7rocprim17ROCPRIM_400000_NS6detail17trampoline_kernelINS0_13select_configILj256ELj13ELNS0_17block_load_methodE3ELS4_3ELS4_3ELNS0_20block_scan_algorithmE0ELj4294967295EEENS1_25partition_config_selectorILNS1_17partition_subalgoE4EjNS0_10empty_typeEbEEZZNS1_14partition_implILS8_4ELb0ES6_15HIP_vector_typeIjLj2EENS0_17counting_iteratorIjlEEPS9_SG_NS0_5tupleIJPjSI_NS0_16reverse_iteratorISI_EEEEENSH_IJSG_SG_SG_EEES9_SI_JZNS1_25segmented_radix_sort_implINS0_14default_configELb1EPK6__halfPSP_PKlPlN2at6native12_GLOBAL__N_18offset_tEEE10hipError_tPvRmT1_PNSt15iterator_traitsIS13_E10value_typeET2_T3_PNS14_IS19_E10value_typeET4_jRbjT5_S1F_jjP12ihipStream_tbEUljE_ZNSN_ISO_Lb1ESR_SS_SU_SV_SZ_EES10_S11_S12_S13_S17_S18_S19_S1C_S1D_jS1E_jS1F_S1F_jjS1H_bEUljE0_EEES10_S11_S12_S19_S1D_S1F_T6_T7_T9_mT8_S1H_bDpT10_ENKUlT_T0_E_clISt17integral_constantIbLb0EES1U_IbLb1EEEEDaS1Q_S1R_EUlS1Q_E_NS1_11comp_targetILNS1_3genE4ELNS1_11target_archE910ELNS1_3gpuE8ELNS1_3repE0EEENS1_30default_config_static_selectorELNS0_4arch9wavefront6targetE0EEEvS13_.has_indirect_call, 0
	.section	.AMDGPU.csdata,"",@progbits
; Kernel info:
; codeLenInByte = 0
; TotalNumSgprs: 0
; NumVgprs: 0
; ScratchSize: 0
; MemoryBound: 0
; FloatMode: 240
; IeeeMode: 1
; LDSByteSize: 0 bytes/workgroup (compile time only)
; SGPRBlocks: 0
; VGPRBlocks: 0
; NumSGPRsForWavesPerEU: 1
; NumVGPRsForWavesPerEU: 1
; Occupancy: 16
; WaveLimiterHint : 0
; COMPUTE_PGM_RSRC2:SCRATCH_EN: 0
; COMPUTE_PGM_RSRC2:USER_SGPR: 6
; COMPUTE_PGM_RSRC2:TRAP_HANDLER: 0
; COMPUTE_PGM_RSRC2:TGID_X_EN: 1
; COMPUTE_PGM_RSRC2:TGID_Y_EN: 0
; COMPUTE_PGM_RSRC2:TGID_Z_EN: 0
; COMPUTE_PGM_RSRC2:TIDIG_COMP_CNT: 0
	.section	.text._ZN7rocprim17ROCPRIM_400000_NS6detail17trampoline_kernelINS0_13select_configILj256ELj13ELNS0_17block_load_methodE3ELS4_3ELS4_3ELNS0_20block_scan_algorithmE0ELj4294967295EEENS1_25partition_config_selectorILNS1_17partition_subalgoE4EjNS0_10empty_typeEbEEZZNS1_14partition_implILS8_4ELb0ES6_15HIP_vector_typeIjLj2EENS0_17counting_iteratorIjlEEPS9_SG_NS0_5tupleIJPjSI_NS0_16reverse_iteratorISI_EEEEENSH_IJSG_SG_SG_EEES9_SI_JZNS1_25segmented_radix_sort_implINS0_14default_configELb1EPK6__halfPSP_PKlPlN2at6native12_GLOBAL__N_18offset_tEEE10hipError_tPvRmT1_PNSt15iterator_traitsIS13_E10value_typeET2_T3_PNS14_IS19_E10value_typeET4_jRbjT5_S1F_jjP12ihipStream_tbEUljE_ZNSN_ISO_Lb1ESR_SS_SU_SV_SZ_EES10_S11_S12_S13_S17_S18_S19_S1C_S1D_jS1E_jS1F_S1F_jjS1H_bEUljE0_EEES10_S11_S12_S19_S1D_S1F_T6_T7_T9_mT8_S1H_bDpT10_ENKUlT_T0_E_clISt17integral_constantIbLb0EES1U_IbLb1EEEEDaS1Q_S1R_EUlS1Q_E_NS1_11comp_targetILNS1_3genE3ELNS1_11target_archE908ELNS1_3gpuE7ELNS1_3repE0EEENS1_30default_config_static_selectorELNS0_4arch9wavefront6targetE0EEEvS13_,"axG",@progbits,_ZN7rocprim17ROCPRIM_400000_NS6detail17trampoline_kernelINS0_13select_configILj256ELj13ELNS0_17block_load_methodE3ELS4_3ELS4_3ELNS0_20block_scan_algorithmE0ELj4294967295EEENS1_25partition_config_selectorILNS1_17partition_subalgoE4EjNS0_10empty_typeEbEEZZNS1_14partition_implILS8_4ELb0ES6_15HIP_vector_typeIjLj2EENS0_17counting_iteratorIjlEEPS9_SG_NS0_5tupleIJPjSI_NS0_16reverse_iteratorISI_EEEEENSH_IJSG_SG_SG_EEES9_SI_JZNS1_25segmented_radix_sort_implINS0_14default_configELb1EPK6__halfPSP_PKlPlN2at6native12_GLOBAL__N_18offset_tEEE10hipError_tPvRmT1_PNSt15iterator_traitsIS13_E10value_typeET2_T3_PNS14_IS19_E10value_typeET4_jRbjT5_S1F_jjP12ihipStream_tbEUljE_ZNSN_ISO_Lb1ESR_SS_SU_SV_SZ_EES10_S11_S12_S13_S17_S18_S19_S1C_S1D_jS1E_jS1F_S1F_jjS1H_bEUljE0_EEES10_S11_S12_S19_S1D_S1F_T6_T7_T9_mT8_S1H_bDpT10_ENKUlT_T0_E_clISt17integral_constantIbLb0EES1U_IbLb1EEEEDaS1Q_S1R_EUlS1Q_E_NS1_11comp_targetILNS1_3genE3ELNS1_11target_archE908ELNS1_3gpuE7ELNS1_3repE0EEENS1_30default_config_static_selectorELNS0_4arch9wavefront6targetE0EEEvS13_,comdat
	.globl	_ZN7rocprim17ROCPRIM_400000_NS6detail17trampoline_kernelINS0_13select_configILj256ELj13ELNS0_17block_load_methodE3ELS4_3ELS4_3ELNS0_20block_scan_algorithmE0ELj4294967295EEENS1_25partition_config_selectorILNS1_17partition_subalgoE4EjNS0_10empty_typeEbEEZZNS1_14partition_implILS8_4ELb0ES6_15HIP_vector_typeIjLj2EENS0_17counting_iteratorIjlEEPS9_SG_NS0_5tupleIJPjSI_NS0_16reverse_iteratorISI_EEEEENSH_IJSG_SG_SG_EEES9_SI_JZNS1_25segmented_radix_sort_implINS0_14default_configELb1EPK6__halfPSP_PKlPlN2at6native12_GLOBAL__N_18offset_tEEE10hipError_tPvRmT1_PNSt15iterator_traitsIS13_E10value_typeET2_T3_PNS14_IS19_E10value_typeET4_jRbjT5_S1F_jjP12ihipStream_tbEUljE_ZNSN_ISO_Lb1ESR_SS_SU_SV_SZ_EES10_S11_S12_S13_S17_S18_S19_S1C_S1D_jS1E_jS1F_S1F_jjS1H_bEUljE0_EEES10_S11_S12_S19_S1D_S1F_T6_T7_T9_mT8_S1H_bDpT10_ENKUlT_T0_E_clISt17integral_constantIbLb0EES1U_IbLb1EEEEDaS1Q_S1R_EUlS1Q_E_NS1_11comp_targetILNS1_3genE3ELNS1_11target_archE908ELNS1_3gpuE7ELNS1_3repE0EEENS1_30default_config_static_selectorELNS0_4arch9wavefront6targetE0EEEvS13_ ; -- Begin function _ZN7rocprim17ROCPRIM_400000_NS6detail17trampoline_kernelINS0_13select_configILj256ELj13ELNS0_17block_load_methodE3ELS4_3ELS4_3ELNS0_20block_scan_algorithmE0ELj4294967295EEENS1_25partition_config_selectorILNS1_17partition_subalgoE4EjNS0_10empty_typeEbEEZZNS1_14partition_implILS8_4ELb0ES6_15HIP_vector_typeIjLj2EENS0_17counting_iteratorIjlEEPS9_SG_NS0_5tupleIJPjSI_NS0_16reverse_iteratorISI_EEEEENSH_IJSG_SG_SG_EEES9_SI_JZNS1_25segmented_radix_sort_implINS0_14default_configELb1EPK6__halfPSP_PKlPlN2at6native12_GLOBAL__N_18offset_tEEE10hipError_tPvRmT1_PNSt15iterator_traitsIS13_E10value_typeET2_T3_PNS14_IS19_E10value_typeET4_jRbjT5_S1F_jjP12ihipStream_tbEUljE_ZNSN_ISO_Lb1ESR_SS_SU_SV_SZ_EES10_S11_S12_S13_S17_S18_S19_S1C_S1D_jS1E_jS1F_S1F_jjS1H_bEUljE0_EEES10_S11_S12_S19_S1D_S1F_T6_T7_T9_mT8_S1H_bDpT10_ENKUlT_T0_E_clISt17integral_constantIbLb0EES1U_IbLb1EEEEDaS1Q_S1R_EUlS1Q_E_NS1_11comp_targetILNS1_3genE3ELNS1_11target_archE908ELNS1_3gpuE7ELNS1_3repE0EEENS1_30default_config_static_selectorELNS0_4arch9wavefront6targetE0EEEvS13_
	.p2align	8
	.type	_ZN7rocprim17ROCPRIM_400000_NS6detail17trampoline_kernelINS0_13select_configILj256ELj13ELNS0_17block_load_methodE3ELS4_3ELS4_3ELNS0_20block_scan_algorithmE0ELj4294967295EEENS1_25partition_config_selectorILNS1_17partition_subalgoE4EjNS0_10empty_typeEbEEZZNS1_14partition_implILS8_4ELb0ES6_15HIP_vector_typeIjLj2EENS0_17counting_iteratorIjlEEPS9_SG_NS0_5tupleIJPjSI_NS0_16reverse_iteratorISI_EEEEENSH_IJSG_SG_SG_EEES9_SI_JZNS1_25segmented_radix_sort_implINS0_14default_configELb1EPK6__halfPSP_PKlPlN2at6native12_GLOBAL__N_18offset_tEEE10hipError_tPvRmT1_PNSt15iterator_traitsIS13_E10value_typeET2_T3_PNS14_IS19_E10value_typeET4_jRbjT5_S1F_jjP12ihipStream_tbEUljE_ZNSN_ISO_Lb1ESR_SS_SU_SV_SZ_EES10_S11_S12_S13_S17_S18_S19_S1C_S1D_jS1E_jS1F_S1F_jjS1H_bEUljE0_EEES10_S11_S12_S19_S1D_S1F_T6_T7_T9_mT8_S1H_bDpT10_ENKUlT_T0_E_clISt17integral_constantIbLb0EES1U_IbLb1EEEEDaS1Q_S1R_EUlS1Q_E_NS1_11comp_targetILNS1_3genE3ELNS1_11target_archE908ELNS1_3gpuE7ELNS1_3repE0EEENS1_30default_config_static_selectorELNS0_4arch9wavefront6targetE0EEEvS13_,@function
_ZN7rocprim17ROCPRIM_400000_NS6detail17trampoline_kernelINS0_13select_configILj256ELj13ELNS0_17block_load_methodE3ELS4_3ELS4_3ELNS0_20block_scan_algorithmE0ELj4294967295EEENS1_25partition_config_selectorILNS1_17partition_subalgoE4EjNS0_10empty_typeEbEEZZNS1_14partition_implILS8_4ELb0ES6_15HIP_vector_typeIjLj2EENS0_17counting_iteratorIjlEEPS9_SG_NS0_5tupleIJPjSI_NS0_16reverse_iteratorISI_EEEEENSH_IJSG_SG_SG_EEES9_SI_JZNS1_25segmented_radix_sort_implINS0_14default_configELb1EPK6__halfPSP_PKlPlN2at6native12_GLOBAL__N_18offset_tEEE10hipError_tPvRmT1_PNSt15iterator_traitsIS13_E10value_typeET2_T3_PNS14_IS19_E10value_typeET4_jRbjT5_S1F_jjP12ihipStream_tbEUljE_ZNSN_ISO_Lb1ESR_SS_SU_SV_SZ_EES10_S11_S12_S13_S17_S18_S19_S1C_S1D_jS1E_jS1F_S1F_jjS1H_bEUljE0_EEES10_S11_S12_S19_S1D_S1F_T6_T7_T9_mT8_S1H_bDpT10_ENKUlT_T0_E_clISt17integral_constantIbLb0EES1U_IbLb1EEEEDaS1Q_S1R_EUlS1Q_E_NS1_11comp_targetILNS1_3genE3ELNS1_11target_archE908ELNS1_3gpuE7ELNS1_3repE0EEENS1_30default_config_static_selectorELNS0_4arch9wavefront6targetE0EEEvS13_: ; @_ZN7rocprim17ROCPRIM_400000_NS6detail17trampoline_kernelINS0_13select_configILj256ELj13ELNS0_17block_load_methodE3ELS4_3ELS4_3ELNS0_20block_scan_algorithmE0ELj4294967295EEENS1_25partition_config_selectorILNS1_17partition_subalgoE4EjNS0_10empty_typeEbEEZZNS1_14partition_implILS8_4ELb0ES6_15HIP_vector_typeIjLj2EENS0_17counting_iteratorIjlEEPS9_SG_NS0_5tupleIJPjSI_NS0_16reverse_iteratorISI_EEEEENSH_IJSG_SG_SG_EEES9_SI_JZNS1_25segmented_radix_sort_implINS0_14default_configELb1EPK6__halfPSP_PKlPlN2at6native12_GLOBAL__N_18offset_tEEE10hipError_tPvRmT1_PNSt15iterator_traitsIS13_E10value_typeET2_T3_PNS14_IS19_E10value_typeET4_jRbjT5_S1F_jjP12ihipStream_tbEUljE_ZNSN_ISO_Lb1ESR_SS_SU_SV_SZ_EES10_S11_S12_S13_S17_S18_S19_S1C_S1D_jS1E_jS1F_S1F_jjS1H_bEUljE0_EEES10_S11_S12_S19_S1D_S1F_T6_T7_T9_mT8_S1H_bDpT10_ENKUlT_T0_E_clISt17integral_constantIbLb0EES1U_IbLb1EEEEDaS1Q_S1R_EUlS1Q_E_NS1_11comp_targetILNS1_3genE3ELNS1_11target_archE908ELNS1_3gpuE7ELNS1_3repE0EEENS1_30default_config_static_selectorELNS0_4arch9wavefront6targetE0EEEvS13_
; %bb.0:
	.section	.rodata,"a",@progbits
	.p2align	6, 0x0
	.amdhsa_kernel _ZN7rocprim17ROCPRIM_400000_NS6detail17trampoline_kernelINS0_13select_configILj256ELj13ELNS0_17block_load_methodE3ELS4_3ELS4_3ELNS0_20block_scan_algorithmE0ELj4294967295EEENS1_25partition_config_selectorILNS1_17partition_subalgoE4EjNS0_10empty_typeEbEEZZNS1_14partition_implILS8_4ELb0ES6_15HIP_vector_typeIjLj2EENS0_17counting_iteratorIjlEEPS9_SG_NS0_5tupleIJPjSI_NS0_16reverse_iteratorISI_EEEEENSH_IJSG_SG_SG_EEES9_SI_JZNS1_25segmented_radix_sort_implINS0_14default_configELb1EPK6__halfPSP_PKlPlN2at6native12_GLOBAL__N_18offset_tEEE10hipError_tPvRmT1_PNSt15iterator_traitsIS13_E10value_typeET2_T3_PNS14_IS19_E10value_typeET4_jRbjT5_S1F_jjP12ihipStream_tbEUljE_ZNSN_ISO_Lb1ESR_SS_SU_SV_SZ_EES10_S11_S12_S13_S17_S18_S19_S1C_S1D_jS1E_jS1F_S1F_jjS1H_bEUljE0_EEES10_S11_S12_S19_S1D_S1F_T6_T7_T9_mT8_S1H_bDpT10_ENKUlT_T0_E_clISt17integral_constantIbLb0EES1U_IbLb1EEEEDaS1Q_S1R_EUlS1Q_E_NS1_11comp_targetILNS1_3genE3ELNS1_11target_archE908ELNS1_3gpuE7ELNS1_3repE0EEENS1_30default_config_static_selectorELNS0_4arch9wavefront6targetE0EEEvS13_
		.amdhsa_group_segment_fixed_size 0
		.amdhsa_private_segment_fixed_size 0
		.amdhsa_kernarg_size 184
		.amdhsa_user_sgpr_count 6
		.amdhsa_user_sgpr_private_segment_buffer 1
		.amdhsa_user_sgpr_dispatch_ptr 0
		.amdhsa_user_sgpr_queue_ptr 0
		.amdhsa_user_sgpr_kernarg_segment_ptr 1
		.amdhsa_user_sgpr_dispatch_id 0
		.amdhsa_user_sgpr_flat_scratch_init 0
		.amdhsa_user_sgpr_private_segment_size 0
		.amdhsa_wavefront_size32 1
		.amdhsa_uses_dynamic_stack 0
		.amdhsa_system_sgpr_private_segment_wavefront_offset 0
		.amdhsa_system_sgpr_workgroup_id_x 1
		.amdhsa_system_sgpr_workgroup_id_y 0
		.amdhsa_system_sgpr_workgroup_id_z 0
		.amdhsa_system_sgpr_workgroup_info 0
		.amdhsa_system_vgpr_workitem_id 0
		.amdhsa_next_free_vgpr 1
		.amdhsa_next_free_sgpr 1
		.amdhsa_reserve_vcc 0
		.amdhsa_reserve_flat_scratch 0
		.amdhsa_float_round_mode_32 0
		.amdhsa_float_round_mode_16_64 0
		.amdhsa_float_denorm_mode_32 3
		.amdhsa_float_denorm_mode_16_64 3
		.amdhsa_dx10_clamp 1
		.amdhsa_ieee_mode 1
		.amdhsa_fp16_overflow 0
		.amdhsa_workgroup_processor_mode 1
		.amdhsa_memory_ordered 1
		.amdhsa_forward_progress 1
		.amdhsa_shared_vgpr_count 0
		.amdhsa_exception_fp_ieee_invalid_op 0
		.amdhsa_exception_fp_denorm_src 0
		.amdhsa_exception_fp_ieee_div_zero 0
		.amdhsa_exception_fp_ieee_overflow 0
		.amdhsa_exception_fp_ieee_underflow 0
		.amdhsa_exception_fp_ieee_inexact 0
		.amdhsa_exception_int_div_zero 0
	.end_amdhsa_kernel
	.section	.text._ZN7rocprim17ROCPRIM_400000_NS6detail17trampoline_kernelINS0_13select_configILj256ELj13ELNS0_17block_load_methodE3ELS4_3ELS4_3ELNS0_20block_scan_algorithmE0ELj4294967295EEENS1_25partition_config_selectorILNS1_17partition_subalgoE4EjNS0_10empty_typeEbEEZZNS1_14partition_implILS8_4ELb0ES6_15HIP_vector_typeIjLj2EENS0_17counting_iteratorIjlEEPS9_SG_NS0_5tupleIJPjSI_NS0_16reverse_iteratorISI_EEEEENSH_IJSG_SG_SG_EEES9_SI_JZNS1_25segmented_radix_sort_implINS0_14default_configELb1EPK6__halfPSP_PKlPlN2at6native12_GLOBAL__N_18offset_tEEE10hipError_tPvRmT1_PNSt15iterator_traitsIS13_E10value_typeET2_T3_PNS14_IS19_E10value_typeET4_jRbjT5_S1F_jjP12ihipStream_tbEUljE_ZNSN_ISO_Lb1ESR_SS_SU_SV_SZ_EES10_S11_S12_S13_S17_S18_S19_S1C_S1D_jS1E_jS1F_S1F_jjS1H_bEUljE0_EEES10_S11_S12_S19_S1D_S1F_T6_T7_T9_mT8_S1H_bDpT10_ENKUlT_T0_E_clISt17integral_constantIbLb0EES1U_IbLb1EEEEDaS1Q_S1R_EUlS1Q_E_NS1_11comp_targetILNS1_3genE3ELNS1_11target_archE908ELNS1_3gpuE7ELNS1_3repE0EEENS1_30default_config_static_selectorELNS0_4arch9wavefront6targetE0EEEvS13_,"axG",@progbits,_ZN7rocprim17ROCPRIM_400000_NS6detail17trampoline_kernelINS0_13select_configILj256ELj13ELNS0_17block_load_methodE3ELS4_3ELS4_3ELNS0_20block_scan_algorithmE0ELj4294967295EEENS1_25partition_config_selectorILNS1_17partition_subalgoE4EjNS0_10empty_typeEbEEZZNS1_14partition_implILS8_4ELb0ES6_15HIP_vector_typeIjLj2EENS0_17counting_iteratorIjlEEPS9_SG_NS0_5tupleIJPjSI_NS0_16reverse_iteratorISI_EEEEENSH_IJSG_SG_SG_EEES9_SI_JZNS1_25segmented_radix_sort_implINS0_14default_configELb1EPK6__halfPSP_PKlPlN2at6native12_GLOBAL__N_18offset_tEEE10hipError_tPvRmT1_PNSt15iterator_traitsIS13_E10value_typeET2_T3_PNS14_IS19_E10value_typeET4_jRbjT5_S1F_jjP12ihipStream_tbEUljE_ZNSN_ISO_Lb1ESR_SS_SU_SV_SZ_EES10_S11_S12_S13_S17_S18_S19_S1C_S1D_jS1E_jS1F_S1F_jjS1H_bEUljE0_EEES10_S11_S12_S19_S1D_S1F_T6_T7_T9_mT8_S1H_bDpT10_ENKUlT_T0_E_clISt17integral_constantIbLb0EES1U_IbLb1EEEEDaS1Q_S1R_EUlS1Q_E_NS1_11comp_targetILNS1_3genE3ELNS1_11target_archE908ELNS1_3gpuE7ELNS1_3repE0EEENS1_30default_config_static_selectorELNS0_4arch9wavefront6targetE0EEEvS13_,comdat
.Lfunc_end1692:
	.size	_ZN7rocprim17ROCPRIM_400000_NS6detail17trampoline_kernelINS0_13select_configILj256ELj13ELNS0_17block_load_methodE3ELS4_3ELS4_3ELNS0_20block_scan_algorithmE0ELj4294967295EEENS1_25partition_config_selectorILNS1_17partition_subalgoE4EjNS0_10empty_typeEbEEZZNS1_14partition_implILS8_4ELb0ES6_15HIP_vector_typeIjLj2EENS0_17counting_iteratorIjlEEPS9_SG_NS0_5tupleIJPjSI_NS0_16reverse_iteratorISI_EEEEENSH_IJSG_SG_SG_EEES9_SI_JZNS1_25segmented_radix_sort_implINS0_14default_configELb1EPK6__halfPSP_PKlPlN2at6native12_GLOBAL__N_18offset_tEEE10hipError_tPvRmT1_PNSt15iterator_traitsIS13_E10value_typeET2_T3_PNS14_IS19_E10value_typeET4_jRbjT5_S1F_jjP12ihipStream_tbEUljE_ZNSN_ISO_Lb1ESR_SS_SU_SV_SZ_EES10_S11_S12_S13_S17_S18_S19_S1C_S1D_jS1E_jS1F_S1F_jjS1H_bEUljE0_EEES10_S11_S12_S19_S1D_S1F_T6_T7_T9_mT8_S1H_bDpT10_ENKUlT_T0_E_clISt17integral_constantIbLb0EES1U_IbLb1EEEEDaS1Q_S1R_EUlS1Q_E_NS1_11comp_targetILNS1_3genE3ELNS1_11target_archE908ELNS1_3gpuE7ELNS1_3repE0EEENS1_30default_config_static_selectorELNS0_4arch9wavefront6targetE0EEEvS13_, .Lfunc_end1692-_ZN7rocprim17ROCPRIM_400000_NS6detail17trampoline_kernelINS0_13select_configILj256ELj13ELNS0_17block_load_methodE3ELS4_3ELS4_3ELNS0_20block_scan_algorithmE0ELj4294967295EEENS1_25partition_config_selectorILNS1_17partition_subalgoE4EjNS0_10empty_typeEbEEZZNS1_14partition_implILS8_4ELb0ES6_15HIP_vector_typeIjLj2EENS0_17counting_iteratorIjlEEPS9_SG_NS0_5tupleIJPjSI_NS0_16reverse_iteratorISI_EEEEENSH_IJSG_SG_SG_EEES9_SI_JZNS1_25segmented_radix_sort_implINS0_14default_configELb1EPK6__halfPSP_PKlPlN2at6native12_GLOBAL__N_18offset_tEEE10hipError_tPvRmT1_PNSt15iterator_traitsIS13_E10value_typeET2_T3_PNS14_IS19_E10value_typeET4_jRbjT5_S1F_jjP12ihipStream_tbEUljE_ZNSN_ISO_Lb1ESR_SS_SU_SV_SZ_EES10_S11_S12_S13_S17_S18_S19_S1C_S1D_jS1E_jS1F_S1F_jjS1H_bEUljE0_EEES10_S11_S12_S19_S1D_S1F_T6_T7_T9_mT8_S1H_bDpT10_ENKUlT_T0_E_clISt17integral_constantIbLb0EES1U_IbLb1EEEEDaS1Q_S1R_EUlS1Q_E_NS1_11comp_targetILNS1_3genE3ELNS1_11target_archE908ELNS1_3gpuE7ELNS1_3repE0EEENS1_30default_config_static_selectorELNS0_4arch9wavefront6targetE0EEEvS13_
                                        ; -- End function
	.set _ZN7rocprim17ROCPRIM_400000_NS6detail17trampoline_kernelINS0_13select_configILj256ELj13ELNS0_17block_load_methodE3ELS4_3ELS4_3ELNS0_20block_scan_algorithmE0ELj4294967295EEENS1_25partition_config_selectorILNS1_17partition_subalgoE4EjNS0_10empty_typeEbEEZZNS1_14partition_implILS8_4ELb0ES6_15HIP_vector_typeIjLj2EENS0_17counting_iteratorIjlEEPS9_SG_NS0_5tupleIJPjSI_NS0_16reverse_iteratorISI_EEEEENSH_IJSG_SG_SG_EEES9_SI_JZNS1_25segmented_radix_sort_implINS0_14default_configELb1EPK6__halfPSP_PKlPlN2at6native12_GLOBAL__N_18offset_tEEE10hipError_tPvRmT1_PNSt15iterator_traitsIS13_E10value_typeET2_T3_PNS14_IS19_E10value_typeET4_jRbjT5_S1F_jjP12ihipStream_tbEUljE_ZNSN_ISO_Lb1ESR_SS_SU_SV_SZ_EES10_S11_S12_S13_S17_S18_S19_S1C_S1D_jS1E_jS1F_S1F_jjS1H_bEUljE0_EEES10_S11_S12_S19_S1D_S1F_T6_T7_T9_mT8_S1H_bDpT10_ENKUlT_T0_E_clISt17integral_constantIbLb0EES1U_IbLb1EEEEDaS1Q_S1R_EUlS1Q_E_NS1_11comp_targetILNS1_3genE3ELNS1_11target_archE908ELNS1_3gpuE7ELNS1_3repE0EEENS1_30default_config_static_selectorELNS0_4arch9wavefront6targetE0EEEvS13_.num_vgpr, 0
	.set _ZN7rocprim17ROCPRIM_400000_NS6detail17trampoline_kernelINS0_13select_configILj256ELj13ELNS0_17block_load_methodE3ELS4_3ELS4_3ELNS0_20block_scan_algorithmE0ELj4294967295EEENS1_25partition_config_selectorILNS1_17partition_subalgoE4EjNS0_10empty_typeEbEEZZNS1_14partition_implILS8_4ELb0ES6_15HIP_vector_typeIjLj2EENS0_17counting_iteratorIjlEEPS9_SG_NS0_5tupleIJPjSI_NS0_16reverse_iteratorISI_EEEEENSH_IJSG_SG_SG_EEES9_SI_JZNS1_25segmented_radix_sort_implINS0_14default_configELb1EPK6__halfPSP_PKlPlN2at6native12_GLOBAL__N_18offset_tEEE10hipError_tPvRmT1_PNSt15iterator_traitsIS13_E10value_typeET2_T3_PNS14_IS19_E10value_typeET4_jRbjT5_S1F_jjP12ihipStream_tbEUljE_ZNSN_ISO_Lb1ESR_SS_SU_SV_SZ_EES10_S11_S12_S13_S17_S18_S19_S1C_S1D_jS1E_jS1F_S1F_jjS1H_bEUljE0_EEES10_S11_S12_S19_S1D_S1F_T6_T7_T9_mT8_S1H_bDpT10_ENKUlT_T0_E_clISt17integral_constantIbLb0EES1U_IbLb1EEEEDaS1Q_S1R_EUlS1Q_E_NS1_11comp_targetILNS1_3genE3ELNS1_11target_archE908ELNS1_3gpuE7ELNS1_3repE0EEENS1_30default_config_static_selectorELNS0_4arch9wavefront6targetE0EEEvS13_.num_agpr, 0
	.set _ZN7rocprim17ROCPRIM_400000_NS6detail17trampoline_kernelINS0_13select_configILj256ELj13ELNS0_17block_load_methodE3ELS4_3ELS4_3ELNS0_20block_scan_algorithmE0ELj4294967295EEENS1_25partition_config_selectorILNS1_17partition_subalgoE4EjNS0_10empty_typeEbEEZZNS1_14partition_implILS8_4ELb0ES6_15HIP_vector_typeIjLj2EENS0_17counting_iteratorIjlEEPS9_SG_NS0_5tupleIJPjSI_NS0_16reverse_iteratorISI_EEEEENSH_IJSG_SG_SG_EEES9_SI_JZNS1_25segmented_radix_sort_implINS0_14default_configELb1EPK6__halfPSP_PKlPlN2at6native12_GLOBAL__N_18offset_tEEE10hipError_tPvRmT1_PNSt15iterator_traitsIS13_E10value_typeET2_T3_PNS14_IS19_E10value_typeET4_jRbjT5_S1F_jjP12ihipStream_tbEUljE_ZNSN_ISO_Lb1ESR_SS_SU_SV_SZ_EES10_S11_S12_S13_S17_S18_S19_S1C_S1D_jS1E_jS1F_S1F_jjS1H_bEUljE0_EEES10_S11_S12_S19_S1D_S1F_T6_T7_T9_mT8_S1H_bDpT10_ENKUlT_T0_E_clISt17integral_constantIbLb0EES1U_IbLb1EEEEDaS1Q_S1R_EUlS1Q_E_NS1_11comp_targetILNS1_3genE3ELNS1_11target_archE908ELNS1_3gpuE7ELNS1_3repE0EEENS1_30default_config_static_selectorELNS0_4arch9wavefront6targetE0EEEvS13_.numbered_sgpr, 0
	.set _ZN7rocprim17ROCPRIM_400000_NS6detail17trampoline_kernelINS0_13select_configILj256ELj13ELNS0_17block_load_methodE3ELS4_3ELS4_3ELNS0_20block_scan_algorithmE0ELj4294967295EEENS1_25partition_config_selectorILNS1_17partition_subalgoE4EjNS0_10empty_typeEbEEZZNS1_14partition_implILS8_4ELb0ES6_15HIP_vector_typeIjLj2EENS0_17counting_iteratorIjlEEPS9_SG_NS0_5tupleIJPjSI_NS0_16reverse_iteratorISI_EEEEENSH_IJSG_SG_SG_EEES9_SI_JZNS1_25segmented_radix_sort_implINS0_14default_configELb1EPK6__halfPSP_PKlPlN2at6native12_GLOBAL__N_18offset_tEEE10hipError_tPvRmT1_PNSt15iterator_traitsIS13_E10value_typeET2_T3_PNS14_IS19_E10value_typeET4_jRbjT5_S1F_jjP12ihipStream_tbEUljE_ZNSN_ISO_Lb1ESR_SS_SU_SV_SZ_EES10_S11_S12_S13_S17_S18_S19_S1C_S1D_jS1E_jS1F_S1F_jjS1H_bEUljE0_EEES10_S11_S12_S19_S1D_S1F_T6_T7_T9_mT8_S1H_bDpT10_ENKUlT_T0_E_clISt17integral_constantIbLb0EES1U_IbLb1EEEEDaS1Q_S1R_EUlS1Q_E_NS1_11comp_targetILNS1_3genE3ELNS1_11target_archE908ELNS1_3gpuE7ELNS1_3repE0EEENS1_30default_config_static_selectorELNS0_4arch9wavefront6targetE0EEEvS13_.num_named_barrier, 0
	.set _ZN7rocprim17ROCPRIM_400000_NS6detail17trampoline_kernelINS0_13select_configILj256ELj13ELNS0_17block_load_methodE3ELS4_3ELS4_3ELNS0_20block_scan_algorithmE0ELj4294967295EEENS1_25partition_config_selectorILNS1_17partition_subalgoE4EjNS0_10empty_typeEbEEZZNS1_14partition_implILS8_4ELb0ES6_15HIP_vector_typeIjLj2EENS0_17counting_iteratorIjlEEPS9_SG_NS0_5tupleIJPjSI_NS0_16reverse_iteratorISI_EEEEENSH_IJSG_SG_SG_EEES9_SI_JZNS1_25segmented_radix_sort_implINS0_14default_configELb1EPK6__halfPSP_PKlPlN2at6native12_GLOBAL__N_18offset_tEEE10hipError_tPvRmT1_PNSt15iterator_traitsIS13_E10value_typeET2_T3_PNS14_IS19_E10value_typeET4_jRbjT5_S1F_jjP12ihipStream_tbEUljE_ZNSN_ISO_Lb1ESR_SS_SU_SV_SZ_EES10_S11_S12_S13_S17_S18_S19_S1C_S1D_jS1E_jS1F_S1F_jjS1H_bEUljE0_EEES10_S11_S12_S19_S1D_S1F_T6_T7_T9_mT8_S1H_bDpT10_ENKUlT_T0_E_clISt17integral_constantIbLb0EES1U_IbLb1EEEEDaS1Q_S1R_EUlS1Q_E_NS1_11comp_targetILNS1_3genE3ELNS1_11target_archE908ELNS1_3gpuE7ELNS1_3repE0EEENS1_30default_config_static_selectorELNS0_4arch9wavefront6targetE0EEEvS13_.private_seg_size, 0
	.set _ZN7rocprim17ROCPRIM_400000_NS6detail17trampoline_kernelINS0_13select_configILj256ELj13ELNS0_17block_load_methodE3ELS4_3ELS4_3ELNS0_20block_scan_algorithmE0ELj4294967295EEENS1_25partition_config_selectorILNS1_17partition_subalgoE4EjNS0_10empty_typeEbEEZZNS1_14partition_implILS8_4ELb0ES6_15HIP_vector_typeIjLj2EENS0_17counting_iteratorIjlEEPS9_SG_NS0_5tupleIJPjSI_NS0_16reverse_iteratorISI_EEEEENSH_IJSG_SG_SG_EEES9_SI_JZNS1_25segmented_radix_sort_implINS0_14default_configELb1EPK6__halfPSP_PKlPlN2at6native12_GLOBAL__N_18offset_tEEE10hipError_tPvRmT1_PNSt15iterator_traitsIS13_E10value_typeET2_T3_PNS14_IS19_E10value_typeET4_jRbjT5_S1F_jjP12ihipStream_tbEUljE_ZNSN_ISO_Lb1ESR_SS_SU_SV_SZ_EES10_S11_S12_S13_S17_S18_S19_S1C_S1D_jS1E_jS1F_S1F_jjS1H_bEUljE0_EEES10_S11_S12_S19_S1D_S1F_T6_T7_T9_mT8_S1H_bDpT10_ENKUlT_T0_E_clISt17integral_constantIbLb0EES1U_IbLb1EEEEDaS1Q_S1R_EUlS1Q_E_NS1_11comp_targetILNS1_3genE3ELNS1_11target_archE908ELNS1_3gpuE7ELNS1_3repE0EEENS1_30default_config_static_selectorELNS0_4arch9wavefront6targetE0EEEvS13_.uses_vcc, 0
	.set _ZN7rocprim17ROCPRIM_400000_NS6detail17trampoline_kernelINS0_13select_configILj256ELj13ELNS0_17block_load_methodE3ELS4_3ELS4_3ELNS0_20block_scan_algorithmE0ELj4294967295EEENS1_25partition_config_selectorILNS1_17partition_subalgoE4EjNS0_10empty_typeEbEEZZNS1_14partition_implILS8_4ELb0ES6_15HIP_vector_typeIjLj2EENS0_17counting_iteratorIjlEEPS9_SG_NS0_5tupleIJPjSI_NS0_16reverse_iteratorISI_EEEEENSH_IJSG_SG_SG_EEES9_SI_JZNS1_25segmented_radix_sort_implINS0_14default_configELb1EPK6__halfPSP_PKlPlN2at6native12_GLOBAL__N_18offset_tEEE10hipError_tPvRmT1_PNSt15iterator_traitsIS13_E10value_typeET2_T3_PNS14_IS19_E10value_typeET4_jRbjT5_S1F_jjP12ihipStream_tbEUljE_ZNSN_ISO_Lb1ESR_SS_SU_SV_SZ_EES10_S11_S12_S13_S17_S18_S19_S1C_S1D_jS1E_jS1F_S1F_jjS1H_bEUljE0_EEES10_S11_S12_S19_S1D_S1F_T6_T7_T9_mT8_S1H_bDpT10_ENKUlT_T0_E_clISt17integral_constantIbLb0EES1U_IbLb1EEEEDaS1Q_S1R_EUlS1Q_E_NS1_11comp_targetILNS1_3genE3ELNS1_11target_archE908ELNS1_3gpuE7ELNS1_3repE0EEENS1_30default_config_static_selectorELNS0_4arch9wavefront6targetE0EEEvS13_.uses_flat_scratch, 0
	.set _ZN7rocprim17ROCPRIM_400000_NS6detail17trampoline_kernelINS0_13select_configILj256ELj13ELNS0_17block_load_methodE3ELS4_3ELS4_3ELNS0_20block_scan_algorithmE0ELj4294967295EEENS1_25partition_config_selectorILNS1_17partition_subalgoE4EjNS0_10empty_typeEbEEZZNS1_14partition_implILS8_4ELb0ES6_15HIP_vector_typeIjLj2EENS0_17counting_iteratorIjlEEPS9_SG_NS0_5tupleIJPjSI_NS0_16reverse_iteratorISI_EEEEENSH_IJSG_SG_SG_EEES9_SI_JZNS1_25segmented_radix_sort_implINS0_14default_configELb1EPK6__halfPSP_PKlPlN2at6native12_GLOBAL__N_18offset_tEEE10hipError_tPvRmT1_PNSt15iterator_traitsIS13_E10value_typeET2_T3_PNS14_IS19_E10value_typeET4_jRbjT5_S1F_jjP12ihipStream_tbEUljE_ZNSN_ISO_Lb1ESR_SS_SU_SV_SZ_EES10_S11_S12_S13_S17_S18_S19_S1C_S1D_jS1E_jS1F_S1F_jjS1H_bEUljE0_EEES10_S11_S12_S19_S1D_S1F_T6_T7_T9_mT8_S1H_bDpT10_ENKUlT_T0_E_clISt17integral_constantIbLb0EES1U_IbLb1EEEEDaS1Q_S1R_EUlS1Q_E_NS1_11comp_targetILNS1_3genE3ELNS1_11target_archE908ELNS1_3gpuE7ELNS1_3repE0EEENS1_30default_config_static_selectorELNS0_4arch9wavefront6targetE0EEEvS13_.has_dyn_sized_stack, 0
	.set _ZN7rocprim17ROCPRIM_400000_NS6detail17trampoline_kernelINS0_13select_configILj256ELj13ELNS0_17block_load_methodE3ELS4_3ELS4_3ELNS0_20block_scan_algorithmE0ELj4294967295EEENS1_25partition_config_selectorILNS1_17partition_subalgoE4EjNS0_10empty_typeEbEEZZNS1_14partition_implILS8_4ELb0ES6_15HIP_vector_typeIjLj2EENS0_17counting_iteratorIjlEEPS9_SG_NS0_5tupleIJPjSI_NS0_16reverse_iteratorISI_EEEEENSH_IJSG_SG_SG_EEES9_SI_JZNS1_25segmented_radix_sort_implINS0_14default_configELb1EPK6__halfPSP_PKlPlN2at6native12_GLOBAL__N_18offset_tEEE10hipError_tPvRmT1_PNSt15iterator_traitsIS13_E10value_typeET2_T3_PNS14_IS19_E10value_typeET4_jRbjT5_S1F_jjP12ihipStream_tbEUljE_ZNSN_ISO_Lb1ESR_SS_SU_SV_SZ_EES10_S11_S12_S13_S17_S18_S19_S1C_S1D_jS1E_jS1F_S1F_jjS1H_bEUljE0_EEES10_S11_S12_S19_S1D_S1F_T6_T7_T9_mT8_S1H_bDpT10_ENKUlT_T0_E_clISt17integral_constantIbLb0EES1U_IbLb1EEEEDaS1Q_S1R_EUlS1Q_E_NS1_11comp_targetILNS1_3genE3ELNS1_11target_archE908ELNS1_3gpuE7ELNS1_3repE0EEENS1_30default_config_static_selectorELNS0_4arch9wavefront6targetE0EEEvS13_.has_recursion, 0
	.set _ZN7rocprim17ROCPRIM_400000_NS6detail17trampoline_kernelINS0_13select_configILj256ELj13ELNS0_17block_load_methodE3ELS4_3ELS4_3ELNS0_20block_scan_algorithmE0ELj4294967295EEENS1_25partition_config_selectorILNS1_17partition_subalgoE4EjNS0_10empty_typeEbEEZZNS1_14partition_implILS8_4ELb0ES6_15HIP_vector_typeIjLj2EENS0_17counting_iteratorIjlEEPS9_SG_NS0_5tupleIJPjSI_NS0_16reverse_iteratorISI_EEEEENSH_IJSG_SG_SG_EEES9_SI_JZNS1_25segmented_radix_sort_implINS0_14default_configELb1EPK6__halfPSP_PKlPlN2at6native12_GLOBAL__N_18offset_tEEE10hipError_tPvRmT1_PNSt15iterator_traitsIS13_E10value_typeET2_T3_PNS14_IS19_E10value_typeET4_jRbjT5_S1F_jjP12ihipStream_tbEUljE_ZNSN_ISO_Lb1ESR_SS_SU_SV_SZ_EES10_S11_S12_S13_S17_S18_S19_S1C_S1D_jS1E_jS1F_S1F_jjS1H_bEUljE0_EEES10_S11_S12_S19_S1D_S1F_T6_T7_T9_mT8_S1H_bDpT10_ENKUlT_T0_E_clISt17integral_constantIbLb0EES1U_IbLb1EEEEDaS1Q_S1R_EUlS1Q_E_NS1_11comp_targetILNS1_3genE3ELNS1_11target_archE908ELNS1_3gpuE7ELNS1_3repE0EEENS1_30default_config_static_selectorELNS0_4arch9wavefront6targetE0EEEvS13_.has_indirect_call, 0
	.section	.AMDGPU.csdata,"",@progbits
; Kernel info:
; codeLenInByte = 0
; TotalNumSgprs: 0
; NumVgprs: 0
; ScratchSize: 0
; MemoryBound: 0
; FloatMode: 240
; IeeeMode: 1
; LDSByteSize: 0 bytes/workgroup (compile time only)
; SGPRBlocks: 0
; VGPRBlocks: 0
; NumSGPRsForWavesPerEU: 1
; NumVGPRsForWavesPerEU: 1
; Occupancy: 16
; WaveLimiterHint : 0
; COMPUTE_PGM_RSRC2:SCRATCH_EN: 0
; COMPUTE_PGM_RSRC2:USER_SGPR: 6
; COMPUTE_PGM_RSRC2:TRAP_HANDLER: 0
; COMPUTE_PGM_RSRC2:TGID_X_EN: 1
; COMPUTE_PGM_RSRC2:TGID_Y_EN: 0
; COMPUTE_PGM_RSRC2:TGID_Z_EN: 0
; COMPUTE_PGM_RSRC2:TIDIG_COMP_CNT: 0
	.section	.text._ZN7rocprim17ROCPRIM_400000_NS6detail17trampoline_kernelINS0_13select_configILj256ELj13ELNS0_17block_load_methodE3ELS4_3ELS4_3ELNS0_20block_scan_algorithmE0ELj4294967295EEENS1_25partition_config_selectorILNS1_17partition_subalgoE4EjNS0_10empty_typeEbEEZZNS1_14partition_implILS8_4ELb0ES6_15HIP_vector_typeIjLj2EENS0_17counting_iteratorIjlEEPS9_SG_NS0_5tupleIJPjSI_NS0_16reverse_iteratorISI_EEEEENSH_IJSG_SG_SG_EEES9_SI_JZNS1_25segmented_radix_sort_implINS0_14default_configELb1EPK6__halfPSP_PKlPlN2at6native12_GLOBAL__N_18offset_tEEE10hipError_tPvRmT1_PNSt15iterator_traitsIS13_E10value_typeET2_T3_PNS14_IS19_E10value_typeET4_jRbjT5_S1F_jjP12ihipStream_tbEUljE_ZNSN_ISO_Lb1ESR_SS_SU_SV_SZ_EES10_S11_S12_S13_S17_S18_S19_S1C_S1D_jS1E_jS1F_S1F_jjS1H_bEUljE0_EEES10_S11_S12_S19_S1D_S1F_T6_T7_T9_mT8_S1H_bDpT10_ENKUlT_T0_E_clISt17integral_constantIbLb0EES1U_IbLb1EEEEDaS1Q_S1R_EUlS1Q_E_NS1_11comp_targetILNS1_3genE2ELNS1_11target_archE906ELNS1_3gpuE6ELNS1_3repE0EEENS1_30default_config_static_selectorELNS0_4arch9wavefront6targetE0EEEvS13_,"axG",@progbits,_ZN7rocprim17ROCPRIM_400000_NS6detail17trampoline_kernelINS0_13select_configILj256ELj13ELNS0_17block_load_methodE3ELS4_3ELS4_3ELNS0_20block_scan_algorithmE0ELj4294967295EEENS1_25partition_config_selectorILNS1_17partition_subalgoE4EjNS0_10empty_typeEbEEZZNS1_14partition_implILS8_4ELb0ES6_15HIP_vector_typeIjLj2EENS0_17counting_iteratorIjlEEPS9_SG_NS0_5tupleIJPjSI_NS0_16reverse_iteratorISI_EEEEENSH_IJSG_SG_SG_EEES9_SI_JZNS1_25segmented_radix_sort_implINS0_14default_configELb1EPK6__halfPSP_PKlPlN2at6native12_GLOBAL__N_18offset_tEEE10hipError_tPvRmT1_PNSt15iterator_traitsIS13_E10value_typeET2_T3_PNS14_IS19_E10value_typeET4_jRbjT5_S1F_jjP12ihipStream_tbEUljE_ZNSN_ISO_Lb1ESR_SS_SU_SV_SZ_EES10_S11_S12_S13_S17_S18_S19_S1C_S1D_jS1E_jS1F_S1F_jjS1H_bEUljE0_EEES10_S11_S12_S19_S1D_S1F_T6_T7_T9_mT8_S1H_bDpT10_ENKUlT_T0_E_clISt17integral_constantIbLb0EES1U_IbLb1EEEEDaS1Q_S1R_EUlS1Q_E_NS1_11comp_targetILNS1_3genE2ELNS1_11target_archE906ELNS1_3gpuE6ELNS1_3repE0EEENS1_30default_config_static_selectorELNS0_4arch9wavefront6targetE0EEEvS13_,comdat
	.globl	_ZN7rocprim17ROCPRIM_400000_NS6detail17trampoline_kernelINS0_13select_configILj256ELj13ELNS0_17block_load_methodE3ELS4_3ELS4_3ELNS0_20block_scan_algorithmE0ELj4294967295EEENS1_25partition_config_selectorILNS1_17partition_subalgoE4EjNS0_10empty_typeEbEEZZNS1_14partition_implILS8_4ELb0ES6_15HIP_vector_typeIjLj2EENS0_17counting_iteratorIjlEEPS9_SG_NS0_5tupleIJPjSI_NS0_16reverse_iteratorISI_EEEEENSH_IJSG_SG_SG_EEES9_SI_JZNS1_25segmented_radix_sort_implINS0_14default_configELb1EPK6__halfPSP_PKlPlN2at6native12_GLOBAL__N_18offset_tEEE10hipError_tPvRmT1_PNSt15iterator_traitsIS13_E10value_typeET2_T3_PNS14_IS19_E10value_typeET4_jRbjT5_S1F_jjP12ihipStream_tbEUljE_ZNSN_ISO_Lb1ESR_SS_SU_SV_SZ_EES10_S11_S12_S13_S17_S18_S19_S1C_S1D_jS1E_jS1F_S1F_jjS1H_bEUljE0_EEES10_S11_S12_S19_S1D_S1F_T6_T7_T9_mT8_S1H_bDpT10_ENKUlT_T0_E_clISt17integral_constantIbLb0EES1U_IbLb1EEEEDaS1Q_S1R_EUlS1Q_E_NS1_11comp_targetILNS1_3genE2ELNS1_11target_archE906ELNS1_3gpuE6ELNS1_3repE0EEENS1_30default_config_static_selectorELNS0_4arch9wavefront6targetE0EEEvS13_ ; -- Begin function _ZN7rocprim17ROCPRIM_400000_NS6detail17trampoline_kernelINS0_13select_configILj256ELj13ELNS0_17block_load_methodE3ELS4_3ELS4_3ELNS0_20block_scan_algorithmE0ELj4294967295EEENS1_25partition_config_selectorILNS1_17partition_subalgoE4EjNS0_10empty_typeEbEEZZNS1_14partition_implILS8_4ELb0ES6_15HIP_vector_typeIjLj2EENS0_17counting_iteratorIjlEEPS9_SG_NS0_5tupleIJPjSI_NS0_16reverse_iteratorISI_EEEEENSH_IJSG_SG_SG_EEES9_SI_JZNS1_25segmented_radix_sort_implINS0_14default_configELb1EPK6__halfPSP_PKlPlN2at6native12_GLOBAL__N_18offset_tEEE10hipError_tPvRmT1_PNSt15iterator_traitsIS13_E10value_typeET2_T3_PNS14_IS19_E10value_typeET4_jRbjT5_S1F_jjP12ihipStream_tbEUljE_ZNSN_ISO_Lb1ESR_SS_SU_SV_SZ_EES10_S11_S12_S13_S17_S18_S19_S1C_S1D_jS1E_jS1F_S1F_jjS1H_bEUljE0_EEES10_S11_S12_S19_S1D_S1F_T6_T7_T9_mT8_S1H_bDpT10_ENKUlT_T0_E_clISt17integral_constantIbLb0EES1U_IbLb1EEEEDaS1Q_S1R_EUlS1Q_E_NS1_11comp_targetILNS1_3genE2ELNS1_11target_archE906ELNS1_3gpuE6ELNS1_3repE0EEENS1_30default_config_static_selectorELNS0_4arch9wavefront6targetE0EEEvS13_
	.p2align	8
	.type	_ZN7rocprim17ROCPRIM_400000_NS6detail17trampoline_kernelINS0_13select_configILj256ELj13ELNS0_17block_load_methodE3ELS4_3ELS4_3ELNS0_20block_scan_algorithmE0ELj4294967295EEENS1_25partition_config_selectorILNS1_17partition_subalgoE4EjNS0_10empty_typeEbEEZZNS1_14partition_implILS8_4ELb0ES6_15HIP_vector_typeIjLj2EENS0_17counting_iteratorIjlEEPS9_SG_NS0_5tupleIJPjSI_NS0_16reverse_iteratorISI_EEEEENSH_IJSG_SG_SG_EEES9_SI_JZNS1_25segmented_radix_sort_implINS0_14default_configELb1EPK6__halfPSP_PKlPlN2at6native12_GLOBAL__N_18offset_tEEE10hipError_tPvRmT1_PNSt15iterator_traitsIS13_E10value_typeET2_T3_PNS14_IS19_E10value_typeET4_jRbjT5_S1F_jjP12ihipStream_tbEUljE_ZNSN_ISO_Lb1ESR_SS_SU_SV_SZ_EES10_S11_S12_S13_S17_S18_S19_S1C_S1D_jS1E_jS1F_S1F_jjS1H_bEUljE0_EEES10_S11_S12_S19_S1D_S1F_T6_T7_T9_mT8_S1H_bDpT10_ENKUlT_T0_E_clISt17integral_constantIbLb0EES1U_IbLb1EEEEDaS1Q_S1R_EUlS1Q_E_NS1_11comp_targetILNS1_3genE2ELNS1_11target_archE906ELNS1_3gpuE6ELNS1_3repE0EEENS1_30default_config_static_selectorELNS0_4arch9wavefront6targetE0EEEvS13_,@function
_ZN7rocprim17ROCPRIM_400000_NS6detail17trampoline_kernelINS0_13select_configILj256ELj13ELNS0_17block_load_methodE3ELS4_3ELS4_3ELNS0_20block_scan_algorithmE0ELj4294967295EEENS1_25partition_config_selectorILNS1_17partition_subalgoE4EjNS0_10empty_typeEbEEZZNS1_14partition_implILS8_4ELb0ES6_15HIP_vector_typeIjLj2EENS0_17counting_iteratorIjlEEPS9_SG_NS0_5tupleIJPjSI_NS0_16reverse_iteratorISI_EEEEENSH_IJSG_SG_SG_EEES9_SI_JZNS1_25segmented_radix_sort_implINS0_14default_configELb1EPK6__halfPSP_PKlPlN2at6native12_GLOBAL__N_18offset_tEEE10hipError_tPvRmT1_PNSt15iterator_traitsIS13_E10value_typeET2_T3_PNS14_IS19_E10value_typeET4_jRbjT5_S1F_jjP12ihipStream_tbEUljE_ZNSN_ISO_Lb1ESR_SS_SU_SV_SZ_EES10_S11_S12_S13_S17_S18_S19_S1C_S1D_jS1E_jS1F_S1F_jjS1H_bEUljE0_EEES10_S11_S12_S19_S1D_S1F_T6_T7_T9_mT8_S1H_bDpT10_ENKUlT_T0_E_clISt17integral_constantIbLb0EES1U_IbLb1EEEEDaS1Q_S1R_EUlS1Q_E_NS1_11comp_targetILNS1_3genE2ELNS1_11target_archE906ELNS1_3gpuE6ELNS1_3repE0EEENS1_30default_config_static_selectorELNS0_4arch9wavefront6targetE0EEEvS13_: ; @_ZN7rocprim17ROCPRIM_400000_NS6detail17trampoline_kernelINS0_13select_configILj256ELj13ELNS0_17block_load_methodE3ELS4_3ELS4_3ELNS0_20block_scan_algorithmE0ELj4294967295EEENS1_25partition_config_selectorILNS1_17partition_subalgoE4EjNS0_10empty_typeEbEEZZNS1_14partition_implILS8_4ELb0ES6_15HIP_vector_typeIjLj2EENS0_17counting_iteratorIjlEEPS9_SG_NS0_5tupleIJPjSI_NS0_16reverse_iteratorISI_EEEEENSH_IJSG_SG_SG_EEES9_SI_JZNS1_25segmented_radix_sort_implINS0_14default_configELb1EPK6__halfPSP_PKlPlN2at6native12_GLOBAL__N_18offset_tEEE10hipError_tPvRmT1_PNSt15iterator_traitsIS13_E10value_typeET2_T3_PNS14_IS19_E10value_typeET4_jRbjT5_S1F_jjP12ihipStream_tbEUljE_ZNSN_ISO_Lb1ESR_SS_SU_SV_SZ_EES10_S11_S12_S13_S17_S18_S19_S1C_S1D_jS1E_jS1F_S1F_jjS1H_bEUljE0_EEES10_S11_S12_S19_S1D_S1F_T6_T7_T9_mT8_S1H_bDpT10_ENKUlT_T0_E_clISt17integral_constantIbLb0EES1U_IbLb1EEEEDaS1Q_S1R_EUlS1Q_E_NS1_11comp_targetILNS1_3genE2ELNS1_11target_archE906ELNS1_3gpuE6ELNS1_3repE0EEENS1_30default_config_static_selectorELNS0_4arch9wavefront6targetE0EEEvS13_
; %bb.0:
	.section	.rodata,"a",@progbits
	.p2align	6, 0x0
	.amdhsa_kernel _ZN7rocprim17ROCPRIM_400000_NS6detail17trampoline_kernelINS0_13select_configILj256ELj13ELNS0_17block_load_methodE3ELS4_3ELS4_3ELNS0_20block_scan_algorithmE0ELj4294967295EEENS1_25partition_config_selectorILNS1_17partition_subalgoE4EjNS0_10empty_typeEbEEZZNS1_14partition_implILS8_4ELb0ES6_15HIP_vector_typeIjLj2EENS0_17counting_iteratorIjlEEPS9_SG_NS0_5tupleIJPjSI_NS0_16reverse_iteratorISI_EEEEENSH_IJSG_SG_SG_EEES9_SI_JZNS1_25segmented_radix_sort_implINS0_14default_configELb1EPK6__halfPSP_PKlPlN2at6native12_GLOBAL__N_18offset_tEEE10hipError_tPvRmT1_PNSt15iterator_traitsIS13_E10value_typeET2_T3_PNS14_IS19_E10value_typeET4_jRbjT5_S1F_jjP12ihipStream_tbEUljE_ZNSN_ISO_Lb1ESR_SS_SU_SV_SZ_EES10_S11_S12_S13_S17_S18_S19_S1C_S1D_jS1E_jS1F_S1F_jjS1H_bEUljE0_EEES10_S11_S12_S19_S1D_S1F_T6_T7_T9_mT8_S1H_bDpT10_ENKUlT_T0_E_clISt17integral_constantIbLb0EES1U_IbLb1EEEEDaS1Q_S1R_EUlS1Q_E_NS1_11comp_targetILNS1_3genE2ELNS1_11target_archE906ELNS1_3gpuE6ELNS1_3repE0EEENS1_30default_config_static_selectorELNS0_4arch9wavefront6targetE0EEEvS13_
		.amdhsa_group_segment_fixed_size 0
		.amdhsa_private_segment_fixed_size 0
		.amdhsa_kernarg_size 184
		.amdhsa_user_sgpr_count 6
		.amdhsa_user_sgpr_private_segment_buffer 1
		.amdhsa_user_sgpr_dispatch_ptr 0
		.amdhsa_user_sgpr_queue_ptr 0
		.amdhsa_user_sgpr_kernarg_segment_ptr 1
		.amdhsa_user_sgpr_dispatch_id 0
		.amdhsa_user_sgpr_flat_scratch_init 0
		.amdhsa_user_sgpr_private_segment_size 0
		.amdhsa_wavefront_size32 1
		.amdhsa_uses_dynamic_stack 0
		.amdhsa_system_sgpr_private_segment_wavefront_offset 0
		.amdhsa_system_sgpr_workgroup_id_x 1
		.amdhsa_system_sgpr_workgroup_id_y 0
		.amdhsa_system_sgpr_workgroup_id_z 0
		.amdhsa_system_sgpr_workgroup_info 0
		.amdhsa_system_vgpr_workitem_id 0
		.amdhsa_next_free_vgpr 1
		.amdhsa_next_free_sgpr 1
		.amdhsa_reserve_vcc 0
		.amdhsa_reserve_flat_scratch 0
		.amdhsa_float_round_mode_32 0
		.amdhsa_float_round_mode_16_64 0
		.amdhsa_float_denorm_mode_32 3
		.amdhsa_float_denorm_mode_16_64 3
		.amdhsa_dx10_clamp 1
		.amdhsa_ieee_mode 1
		.amdhsa_fp16_overflow 0
		.amdhsa_workgroup_processor_mode 1
		.amdhsa_memory_ordered 1
		.amdhsa_forward_progress 1
		.amdhsa_shared_vgpr_count 0
		.amdhsa_exception_fp_ieee_invalid_op 0
		.amdhsa_exception_fp_denorm_src 0
		.amdhsa_exception_fp_ieee_div_zero 0
		.amdhsa_exception_fp_ieee_overflow 0
		.amdhsa_exception_fp_ieee_underflow 0
		.amdhsa_exception_fp_ieee_inexact 0
		.amdhsa_exception_int_div_zero 0
	.end_amdhsa_kernel
	.section	.text._ZN7rocprim17ROCPRIM_400000_NS6detail17trampoline_kernelINS0_13select_configILj256ELj13ELNS0_17block_load_methodE3ELS4_3ELS4_3ELNS0_20block_scan_algorithmE0ELj4294967295EEENS1_25partition_config_selectorILNS1_17partition_subalgoE4EjNS0_10empty_typeEbEEZZNS1_14partition_implILS8_4ELb0ES6_15HIP_vector_typeIjLj2EENS0_17counting_iteratorIjlEEPS9_SG_NS0_5tupleIJPjSI_NS0_16reverse_iteratorISI_EEEEENSH_IJSG_SG_SG_EEES9_SI_JZNS1_25segmented_radix_sort_implINS0_14default_configELb1EPK6__halfPSP_PKlPlN2at6native12_GLOBAL__N_18offset_tEEE10hipError_tPvRmT1_PNSt15iterator_traitsIS13_E10value_typeET2_T3_PNS14_IS19_E10value_typeET4_jRbjT5_S1F_jjP12ihipStream_tbEUljE_ZNSN_ISO_Lb1ESR_SS_SU_SV_SZ_EES10_S11_S12_S13_S17_S18_S19_S1C_S1D_jS1E_jS1F_S1F_jjS1H_bEUljE0_EEES10_S11_S12_S19_S1D_S1F_T6_T7_T9_mT8_S1H_bDpT10_ENKUlT_T0_E_clISt17integral_constantIbLb0EES1U_IbLb1EEEEDaS1Q_S1R_EUlS1Q_E_NS1_11comp_targetILNS1_3genE2ELNS1_11target_archE906ELNS1_3gpuE6ELNS1_3repE0EEENS1_30default_config_static_selectorELNS0_4arch9wavefront6targetE0EEEvS13_,"axG",@progbits,_ZN7rocprim17ROCPRIM_400000_NS6detail17trampoline_kernelINS0_13select_configILj256ELj13ELNS0_17block_load_methodE3ELS4_3ELS4_3ELNS0_20block_scan_algorithmE0ELj4294967295EEENS1_25partition_config_selectorILNS1_17partition_subalgoE4EjNS0_10empty_typeEbEEZZNS1_14partition_implILS8_4ELb0ES6_15HIP_vector_typeIjLj2EENS0_17counting_iteratorIjlEEPS9_SG_NS0_5tupleIJPjSI_NS0_16reverse_iteratorISI_EEEEENSH_IJSG_SG_SG_EEES9_SI_JZNS1_25segmented_radix_sort_implINS0_14default_configELb1EPK6__halfPSP_PKlPlN2at6native12_GLOBAL__N_18offset_tEEE10hipError_tPvRmT1_PNSt15iterator_traitsIS13_E10value_typeET2_T3_PNS14_IS19_E10value_typeET4_jRbjT5_S1F_jjP12ihipStream_tbEUljE_ZNSN_ISO_Lb1ESR_SS_SU_SV_SZ_EES10_S11_S12_S13_S17_S18_S19_S1C_S1D_jS1E_jS1F_S1F_jjS1H_bEUljE0_EEES10_S11_S12_S19_S1D_S1F_T6_T7_T9_mT8_S1H_bDpT10_ENKUlT_T0_E_clISt17integral_constantIbLb0EES1U_IbLb1EEEEDaS1Q_S1R_EUlS1Q_E_NS1_11comp_targetILNS1_3genE2ELNS1_11target_archE906ELNS1_3gpuE6ELNS1_3repE0EEENS1_30default_config_static_selectorELNS0_4arch9wavefront6targetE0EEEvS13_,comdat
.Lfunc_end1693:
	.size	_ZN7rocprim17ROCPRIM_400000_NS6detail17trampoline_kernelINS0_13select_configILj256ELj13ELNS0_17block_load_methodE3ELS4_3ELS4_3ELNS0_20block_scan_algorithmE0ELj4294967295EEENS1_25partition_config_selectorILNS1_17partition_subalgoE4EjNS0_10empty_typeEbEEZZNS1_14partition_implILS8_4ELb0ES6_15HIP_vector_typeIjLj2EENS0_17counting_iteratorIjlEEPS9_SG_NS0_5tupleIJPjSI_NS0_16reverse_iteratorISI_EEEEENSH_IJSG_SG_SG_EEES9_SI_JZNS1_25segmented_radix_sort_implINS0_14default_configELb1EPK6__halfPSP_PKlPlN2at6native12_GLOBAL__N_18offset_tEEE10hipError_tPvRmT1_PNSt15iterator_traitsIS13_E10value_typeET2_T3_PNS14_IS19_E10value_typeET4_jRbjT5_S1F_jjP12ihipStream_tbEUljE_ZNSN_ISO_Lb1ESR_SS_SU_SV_SZ_EES10_S11_S12_S13_S17_S18_S19_S1C_S1D_jS1E_jS1F_S1F_jjS1H_bEUljE0_EEES10_S11_S12_S19_S1D_S1F_T6_T7_T9_mT8_S1H_bDpT10_ENKUlT_T0_E_clISt17integral_constantIbLb0EES1U_IbLb1EEEEDaS1Q_S1R_EUlS1Q_E_NS1_11comp_targetILNS1_3genE2ELNS1_11target_archE906ELNS1_3gpuE6ELNS1_3repE0EEENS1_30default_config_static_selectorELNS0_4arch9wavefront6targetE0EEEvS13_, .Lfunc_end1693-_ZN7rocprim17ROCPRIM_400000_NS6detail17trampoline_kernelINS0_13select_configILj256ELj13ELNS0_17block_load_methodE3ELS4_3ELS4_3ELNS0_20block_scan_algorithmE0ELj4294967295EEENS1_25partition_config_selectorILNS1_17partition_subalgoE4EjNS0_10empty_typeEbEEZZNS1_14partition_implILS8_4ELb0ES6_15HIP_vector_typeIjLj2EENS0_17counting_iteratorIjlEEPS9_SG_NS0_5tupleIJPjSI_NS0_16reverse_iteratorISI_EEEEENSH_IJSG_SG_SG_EEES9_SI_JZNS1_25segmented_radix_sort_implINS0_14default_configELb1EPK6__halfPSP_PKlPlN2at6native12_GLOBAL__N_18offset_tEEE10hipError_tPvRmT1_PNSt15iterator_traitsIS13_E10value_typeET2_T3_PNS14_IS19_E10value_typeET4_jRbjT5_S1F_jjP12ihipStream_tbEUljE_ZNSN_ISO_Lb1ESR_SS_SU_SV_SZ_EES10_S11_S12_S13_S17_S18_S19_S1C_S1D_jS1E_jS1F_S1F_jjS1H_bEUljE0_EEES10_S11_S12_S19_S1D_S1F_T6_T7_T9_mT8_S1H_bDpT10_ENKUlT_T0_E_clISt17integral_constantIbLb0EES1U_IbLb1EEEEDaS1Q_S1R_EUlS1Q_E_NS1_11comp_targetILNS1_3genE2ELNS1_11target_archE906ELNS1_3gpuE6ELNS1_3repE0EEENS1_30default_config_static_selectorELNS0_4arch9wavefront6targetE0EEEvS13_
                                        ; -- End function
	.set _ZN7rocprim17ROCPRIM_400000_NS6detail17trampoline_kernelINS0_13select_configILj256ELj13ELNS0_17block_load_methodE3ELS4_3ELS4_3ELNS0_20block_scan_algorithmE0ELj4294967295EEENS1_25partition_config_selectorILNS1_17partition_subalgoE4EjNS0_10empty_typeEbEEZZNS1_14partition_implILS8_4ELb0ES6_15HIP_vector_typeIjLj2EENS0_17counting_iteratorIjlEEPS9_SG_NS0_5tupleIJPjSI_NS0_16reverse_iteratorISI_EEEEENSH_IJSG_SG_SG_EEES9_SI_JZNS1_25segmented_radix_sort_implINS0_14default_configELb1EPK6__halfPSP_PKlPlN2at6native12_GLOBAL__N_18offset_tEEE10hipError_tPvRmT1_PNSt15iterator_traitsIS13_E10value_typeET2_T3_PNS14_IS19_E10value_typeET4_jRbjT5_S1F_jjP12ihipStream_tbEUljE_ZNSN_ISO_Lb1ESR_SS_SU_SV_SZ_EES10_S11_S12_S13_S17_S18_S19_S1C_S1D_jS1E_jS1F_S1F_jjS1H_bEUljE0_EEES10_S11_S12_S19_S1D_S1F_T6_T7_T9_mT8_S1H_bDpT10_ENKUlT_T0_E_clISt17integral_constantIbLb0EES1U_IbLb1EEEEDaS1Q_S1R_EUlS1Q_E_NS1_11comp_targetILNS1_3genE2ELNS1_11target_archE906ELNS1_3gpuE6ELNS1_3repE0EEENS1_30default_config_static_selectorELNS0_4arch9wavefront6targetE0EEEvS13_.num_vgpr, 0
	.set _ZN7rocprim17ROCPRIM_400000_NS6detail17trampoline_kernelINS0_13select_configILj256ELj13ELNS0_17block_load_methodE3ELS4_3ELS4_3ELNS0_20block_scan_algorithmE0ELj4294967295EEENS1_25partition_config_selectorILNS1_17partition_subalgoE4EjNS0_10empty_typeEbEEZZNS1_14partition_implILS8_4ELb0ES6_15HIP_vector_typeIjLj2EENS0_17counting_iteratorIjlEEPS9_SG_NS0_5tupleIJPjSI_NS0_16reverse_iteratorISI_EEEEENSH_IJSG_SG_SG_EEES9_SI_JZNS1_25segmented_radix_sort_implINS0_14default_configELb1EPK6__halfPSP_PKlPlN2at6native12_GLOBAL__N_18offset_tEEE10hipError_tPvRmT1_PNSt15iterator_traitsIS13_E10value_typeET2_T3_PNS14_IS19_E10value_typeET4_jRbjT5_S1F_jjP12ihipStream_tbEUljE_ZNSN_ISO_Lb1ESR_SS_SU_SV_SZ_EES10_S11_S12_S13_S17_S18_S19_S1C_S1D_jS1E_jS1F_S1F_jjS1H_bEUljE0_EEES10_S11_S12_S19_S1D_S1F_T6_T7_T9_mT8_S1H_bDpT10_ENKUlT_T0_E_clISt17integral_constantIbLb0EES1U_IbLb1EEEEDaS1Q_S1R_EUlS1Q_E_NS1_11comp_targetILNS1_3genE2ELNS1_11target_archE906ELNS1_3gpuE6ELNS1_3repE0EEENS1_30default_config_static_selectorELNS0_4arch9wavefront6targetE0EEEvS13_.num_agpr, 0
	.set _ZN7rocprim17ROCPRIM_400000_NS6detail17trampoline_kernelINS0_13select_configILj256ELj13ELNS0_17block_load_methodE3ELS4_3ELS4_3ELNS0_20block_scan_algorithmE0ELj4294967295EEENS1_25partition_config_selectorILNS1_17partition_subalgoE4EjNS0_10empty_typeEbEEZZNS1_14partition_implILS8_4ELb0ES6_15HIP_vector_typeIjLj2EENS0_17counting_iteratorIjlEEPS9_SG_NS0_5tupleIJPjSI_NS0_16reverse_iteratorISI_EEEEENSH_IJSG_SG_SG_EEES9_SI_JZNS1_25segmented_radix_sort_implINS0_14default_configELb1EPK6__halfPSP_PKlPlN2at6native12_GLOBAL__N_18offset_tEEE10hipError_tPvRmT1_PNSt15iterator_traitsIS13_E10value_typeET2_T3_PNS14_IS19_E10value_typeET4_jRbjT5_S1F_jjP12ihipStream_tbEUljE_ZNSN_ISO_Lb1ESR_SS_SU_SV_SZ_EES10_S11_S12_S13_S17_S18_S19_S1C_S1D_jS1E_jS1F_S1F_jjS1H_bEUljE0_EEES10_S11_S12_S19_S1D_S1F_T6_T7_T9_mT8_S1H_bDpT10_ENKUlT_T0_E_clISt17integral_constantIbLb0EES1U_IbLb1EEEEDaS1Q_S1R_EUlS1Q_E_NS1_11comp_targetILNS1_3genE2ELNS1_11target_archE906ELNS1_3gpuE6ELNS1_3repE0EEENS1_30default_config_static_selectorELNS0_4arch9wavefront6targetE0EEEvS13_.numbered_sgpr, 0
	.set _ZN7rocprim17ROCPRIM_400000_NS6detail17trampoline_kernelINS0_13select_configILj256ELj13ELNS0_17block_load_methodE3ELS4_3ELS4_3ELNS0_20block_scan_algorithmE0ELj4294967295EEENS1_25partition_config_selectorILNS1_17partition_subalgoE4EjNS0_10empty_typeEbEEZZNS1_14partition_implILS8_4ELb0ES6_15HIP_vector_typeIjLj2EENS0_17counting_iteratorIjlEEPS9_SG_NS0_5tupleIJPjSI_NS0_16reverse_iteratorISI_EEEEENSH_IJSG_SG_SG_EEES9_SI_JZNS1_25segmented_radix_sort_implINS0_14default_configELb1EPK6__halfPSP_PKlPlN2at6native12_GLOBAL__N_18offset_tEEE10hipError_tPvRmT1_PNSt15iterator_traitsIS13_E10value_typeET2_T3_PNS14_IS19_E10value_typeET4_jRbjT5_S1F_jjP12ihipStream_tbEUljE_ZNSN_ISO_Lb1ESR_SS_SU_SV_SZ_EES10_S11_S12_S13_S17_S18_S19_S1C_S1D_jS1E_jS1F_S1F_jjS1H_bEUljE0_EEES10_S11_S12_S19_S1D_S1F_T6_T7_T9_mT8_S1H_bDpT10_ENKUlT_T0_E_clISt17integral_constantIbLb0EES1U_IbLb1EEEEDaS1Q_S1R_EUlS1Q_E_NS1_11comp_targetILNS1_3genE2ELNS1_11target_archE906ELNS1_3gpuE6ELNS1_3repE0EEENS1_30default_config_static_selectorELNS0_4arch9wavefront6targetE0EEEvS13_.num_named_barrier, 0
	.set _ZN7rocprim17ROCPRIM_400000_NS6detail17trampoline_kernelINS0_13select_configILj256ELj13ELNS0_17block_load_methodE3ELS4_3ELS4_3ELNS0_20block_scan_algorithmE0ELj4294967295EEENS1_25partition_config_selectorILNS1_17partition_subalgoE4EjNS0_10empty_typeEbEEZZNS1_14partition_implILS8_4ELb0ES6_15HIP_vector_typeIjLj2EENS0_17counting_iteratorIjlEEPS9_SG_NS0_5tupleIJPjSI_NS0_16reverse_iteratorISI_EEEEENSH_IJSG_SG_SG_EEES9_SI_JZNS1_25segmented_radix_sort_implINS0_14default_configELb1EPK6__halfPSP_PKlPlN2at6native12_GLOBAL__N_18offset_tEEE10hipError_tPvRmT1_PNSt15iterator_traitsIS13_E10value_typeET2_T3_PNS14_IS19_E10value_typeET4_jRbjT5_S1F_jjP12ihipStream_tbEUljE_ZNSN_ISO_Lb1ESR_SS_SU_SV_SZ_EES10_S11_S12_S13_S17_S18_S19_S1C_S1D_jS1E_jS1F_S1F_jjS1H_bEUljE0_EEES10_S11_S12_S19_S1D_S1F_T6_T7_T9_mT8_S1H_bDpT10_ENKUlT_T0_E_clISt17integral_constantIbLb0EES1U_IbLb1EEEEDaS1Q_S1R_EUlS1Q_E_NS1_11comp_targetILNS1_3genE2ELNS1_11target_archE906ELNS1_3gpuE6ELNS1_3repE0EEENS1_30default_config_static_selectorELNS0_4arch9wavefront6targetE0EEEvS13_.private_seg_size, 0
	.set _ZN7rocprim17ROCPRIM_400000_NS6detail17trampoline_kernelINS0_13select_configILj256ELj13ELNS0_17block_load_methodE3ELS4_3ELS4_3ELNS0_20block_scan_algorithmE0ELj4294967295EEENS1_25partition_config_selectorILNS1_17partition_subalgoE4EjNS0_10empty_typeEbEEZZNS1_14partition_implILS8_4ELb0ES6_15HIP_vector_typeIjLj2EENS0_17counting_iteratorIjlEEPS9_SG_NS0_5tupleIJPjSI_NS0_16reverse_iteratorISI_EEEEENSH_IJSG_SG_SG_EEES9_SI_JZNS1_25segmented_radix_sort_implINS0_14default_configELb1EPK6__halfPSP_PKlPlN2at6native12_GLOBAL__N_18offset_tEEE10hipError_tPvRmT1_PNSt15iterator_traitsIS13_E10value_typeET2_T3_PNS14_IS19_E10value_typeET4_jRbjT5_S1F_jjP12ihipStream_tbEUljE_ZNSN_ISO_Lb1ESR_SS_SU_SV_SZ_EES10_S11_S12_S13_S17_S18_S19_S1C_S1D_jS1E_jS1F_S1F_jjS1H_bEUljE0_EEES10_S11_S12_S19_S1D_S1F_T6_T7_T9_mT8_S1H_bDpT10_ENKUlT_T0_E_clISt17integral_constantIbLb0EES1U_IbLb1EEEEDaS1Q_S1R_EUlS1Q_E_NS1_11comp_targetILNS1_3genE2ELNS1_11target_archE906ELNS1_3gpuE6ELNS1_3repE0EEENS1_30default_config_static_selectorELNS0_4arch9wavefront6targetE0EEEvS13_.uses_vcc, 0
	.set _ZN7rocprim17ROCPRIM_400000_NS6detail17trampoline_kernelINS0_13select_configILj256ELj13ELNS0_17block_load_methodE3ELS4_3ELS4_3ELNS0_20block_scan_algorithmE0ELj4294967295EEENS1_25partition_config_selectorILNS1_17partition_subalgoE4EjNS0_10empty_typeEbEEZZNS1_14partition_implILS8_4ELb0ES6_15HIP_vector_typeIjLj2EENS0_17counting_iteratorIjlEEPS9_SG_NS0_5tupleIJPjSI_NS0_16reverse_iteratorISI_EEEEENSH_IJSG_SG_SG_EEES9_SI_JZNS1_25segmented_radix_sort_implINS0_14default_configELb1EPK6__halfPSP_PKlPlN2at6native12_GLOBAL__N_18offset_tEEE10hipError_tPvRmT1_PNSt15iterator_traitsIS13_E10value_typeET2_T3_PNS14_IS19_E10value_typeET4_jRbjT5_S1F_jjP12ihipStream_tbEUljE_ZNSN_ISO_Lb1ESR_SS_SU_SV_SZ_EES10_S11_S12_S13_S17_S18_S19_S1C_S1D_jS1E_jS1F_S1F_jjS1H_bEUljE0_EEES10_S11_S12_S19_S1D_S1F_T6_T7_T9_mT8_S1H_bDpT10_ENKUlT_T0_E_clISt17integral_constantIbLb0EES1U_IbLb1EEEEDaS1Q_S1R_EUlS1Q_E_NS1_11comp_targetILNS1_3genE2ELNS1_11target_archE906ELNS1_3gpuE6ELNS1_3repE0EEENS1_30default_config_static_selectorELNS0_4arch9wavefront6targetE0EEEvS13_.uses_flat_scratch, 0
	.set _ZN7rocprim17ROCPRIM_400000_NS6detail17trampoline_kernelINS0_13select_configILj256ELj13ELNS0_17block_load_methodE3ELS4_3ELS4_3ELNS0_20block_scan_algorithmE0ELj4294967295EEENS1_25partition_config_selectorILNS1_17partition_subalgoE4EjNS0_10empty_typeEbEEZZNS1_14partition_implILS8_4ELb0ES6_15HIP_vector_typeIjLj2EENS0_17counting_iteratorIjlEEPS9_SG_NS0_5tupleIJPjSI_NS0_16reverse_iteratorISI_EEEEENSH_IJSG_SG_SG_EEES9_SI_JZNS1_25segmented_radix_sort_implINS0_14default_configELb1EPK6__halfPSP_PKlPlN2at6native12_GLOBAL__N_18offset_tEEE10hipError_tPvRmT1_PNSt15iterator_traitsIS13_E10value_typeET2_T3_PNS14_IS19_E10value_typeET4_jRbjT5_S1F_jjP12ihipStream_tbEUljE_ZNSN_ISO_Lb1ESR_SS_SU_SV_SZ_EES10_S11_S12_S13_S17_S18_S19_S1C_S1D_jS1E_jS1F_S1F_jjS1H_bEUljE0_EEES10_S11_S12_S19_S1D_S1F_T6_T7_T9_mT8_S1H_bDpT10_ENKUlT_T0_E_clISt17integral_constantIbLb0EES1U_IbLb1EEEEDaS1Q_S1R_EUlS1Q_E_NS1_11comp_targetILNS1_3genE2ELNS1_11target_archE906ELNS1_3gpuE6ELNS1_3repE0EEENS1_30default_config_static_selectorELNS0_4arch9wavefront6targetE0EEEvS13_.has_dyn_sized_stack, 0
	.set _ZN7rocprim17ROCPRIM_400000_NS6detail17trampoline_kernelINS0_13select_configILj256ELj13ELNS0_17block_load_methodE3ELS4_3ELS4_3ELNS0_20block_scan_algorithmE0ELj4294967295EEENS1_25partition_config_selectorILNS1_17partition_subalgoE4EjNS0_10empty_typeEbEEZZNS1_14partition_implILS8_4ELb0ES6_15HIP_vector_typeIjLj2EENS0_17counting_iteratorIjlEEPS9_SG_NS0_5tupleIJPjSI_NS0_16reverse_iteratorISI_EEEEENSH_IJSG_SG_SG_EEES9_SI_JZNS1_25segmented_radix_sort_implINS0_14default_configELb1EPK6__halfPSP_PKlPlN2at6native12_GLOBAL__N_18offset_tEEE10hipError_tPvRmT1_PNSt15iterator_traitsIS13_E10value_typeET2_T3_PNS14_IS19_E10value_typeET4_jRbjT5_S1F_jjP12ihipStream_tbEUljE_ZNSN_ISO_Lb1ESR_SS_SU_SV_SZ_EES10_S11_S12_S13_S17_S18_S19_S1C_S1D_jS1E_jS1F_S1F_jjS1H_bEUljE0_EEES10_S11_S12_S19_S1D_S1F_T6_T7_T9_mT8_S1H_bDpT10_ENKUlT_T0_E_clISt17integral_constantIbLb0EES1U_IbLb1EEEEDaS1Q_S1R_EUlS1Q_E_NS1_11comp_targetILNS1_3genE2ELNS1_11target_archE906ELNS1_3gpuE6ELNS1_3repE0EEENS1_30default_config_static_selectorELNS0_4arch9wavefront6targetE0EEEvS13_.has_recursion, 0
	.set _ZN7rocprim17ROCPRIM_400000_NS6detail17trampoline_kernelINS0_13select_configILj256ELj13ELNS0_17block_load_methodE3ELS4_3ELS4_3ELNS0_20block_scan_algorithmE0ELj4294967295EEENS1_25partition_config_selectorILNS1_17partition_subalgoE4EjNS0_10empty_typeEbEEZZNS1_14partition_implILS8_4ELb0ES6_15HIP_vector_typeIjLj2EENS0_17counting_iteratorIjlEEPS9_SG_NS0_5tupleIJPjSI_NS0_16reverse_iteratorISI_EEEEENSH_IJSG_SG_SG_EEES9_SI_JZNS1_25segmented_radix_sort_implINS0_14default_configELb1EPK6__halfPSP_PKlPlN2at6native12_GLOBAL__N_18offset_tEEE10hipError_tPvRmT1_PNSt15iterator_traitsIS13_E10value_typeET2_T3_PNS14_IS19_E10value_typeET4_jRbjT5_S1F_jjP12ihipStream_tbEUljE_ZNSN_ISO_Lb1ESR_SS_SU_SV_SZ_EES10_S11_S12_S13_S17_S18_S19_S1C_S1D_jS1E_jS1F_S1F_jjS1H_bEUljE0_EEES10_S11_S12_S19_S1D_S1F_T6_T7_T9_mT8_S1H_bDpT10_ENKUlT_T0_E_clISt17integral_constantIbLb0EES1U_IbLb1EEEEDaS1Q_S1R_EUlS1Q_E_NS1_11comp_targetILNS1_3genE2ELNS1_11target_archE906ELNS1_3gpuE6ELNS1_3repE0EEENS1_30default_config_static_selectorELNS0_4arch9wavefront6targetE0EEEvS13_.has_indirect_call, 0
	.section	.AMDGPU.csdata,"",@progbits
; Kernel info:
; codeLenInByte = 0
; TotalNumSgprs: 0
; NumVgprs: 0
; ScratchSize: 0
; MemoryBound: 0
; FloatMode: 240
; IeeeMode: 1
; LDSByteSize: 0 bytes/workgroup (compile time only)
; SGPRBlocks: 0
; VGPRBlocks: 0
; NumSGPRsForWavesPerEU: 1
; NumVGPRsForWavesPerEU: 1
; Occupancy: 16
; WaveLimiterHint : 0
; COMPUTE_PGM_RSRC2:SCRATCH_EN: 0
; COMPUTE_PGM_RSRC2:USER_SGPR: 6
; COMPUTE_PGM_RSRC2:TRAP_HANDLER: 0
; COMPUTE_PGM_RSRC2:TGID_X_EN: 1
; COMPUTE_PGM_RSRC2:TGID_Y_EN: 0
; COMPUTE_PGM_RSRC2:TGID_Z_EN: 0
; COMPUTE_PGM_RSRC2:TIDIG_COMP_CNT: 0
	.section	.text._ZN7rocprim17ROCPRIM_400000_NS6detail17trampoline_kernelINS0_13select_configILj256ELj13ELNS0_17block_load_methodE3ELS4_3ELS4_3ELNS0_20block_scan_algorithmE0ELj4294967295EEENS1_25partition_config_selectorILNS1_17partition_subalgoE4EjNS0_10empty_typeEbEEZZNS1_14partition_implILS8_4ELb0ES6_15HIP_vector_typeIjLj2EENS0_17counting_iteratorIjlEEPS9_SG_NS0_5tupleIJPjSI_NS0_16reverse_iteratorISI_EEEEENSH_IJSG_SG_SG_EEES9_SI_JZNS1_25segmented_radix_sort_implINS0_14default_configELb1EPK6__halfPSP_PKlPlN2at6native12_GLOBAL__N_18offset_tEEE10hipError_tPvRmT1_PNSt15iterator_traitsIS13_E10value_typeET2_T3_PNS14_IS19_E10value_typeET4_jRbjT5_S1F_jjP12ihipStream_tbEUljE_ZNSN_ISO_Lb1ESR_SS_SU_SV_SZ_EES10_S11_S12_S13_S17_S18_S19_S1C_S1D_jS1E_jS1F_S1F_jjS1H_bEUljE0_EEES10_S11_S12_S19_S1D_S1F_T6_T7_T9_mT8_S1H_bDpT10_ENKUlT_T0_E_clISt17integral_constantIbLb0EES1U_IbLb1EEEEDaS1Q_S1R_EUlS1Q_E_NS1_11comp_targetILNS1_3genE10ELNS1_11target_archE1200ELNS1_3gpuE4ELNS1_3repE0EEENS1_30default_config_static_selectorELNS0_4arch9wavefront6targetE0EEEvS13_,"axG",@progbits,_ZN7rocprim17ROCPRIM_400000_NS6detail17trampoline_kernelINS0_13select_configILj256ELj13ELNS0_17block_load_methodE3ELS4_3ELS4_3ELNS0_20block_scan_algorithmE0ELj4294967295EEENS1_25partition_config_selectorILNS1_17partition_subalgoE4EjNS0_10empty_typeEbEEZZNS1_14partition_implILS8_4ELb0ES6_15HIP_vector_typeIjLj2EENS0_17counting_iteratorIjlEEPS9_SG_NS0_5tupleIJPjSI_NS0_16reverse_iteratorISI_EEEEENSH_IJSG_SG_SG_EEES9_SI_JZNS1_25segmented_radix_sort_implINS0_14default_configELb1EPK6__halfPSP_PKlPlN2at6native12_GLOBAL__N_18offset_tEEE10hipError_tPvRmT1_PNSt15iterator_traitsIS13_E10value_typeET2_T3_PNS14_IS19_E10value_typeET4_jRbjT5_S1F_jjP12ihipStream_tbEUljE_ZNSN_ISO_Lb1ESR_SS_SU_SV_SZ_EES10_S11_S12_S13_S17_S18_S19_S1C_S1D_jS1E_jS1F_S1F_jjS1H_bEUljE0_EEES10_S11_S12_S19_S1D_S1F_T6_T7_T9_mT8_S1H_bDpT10_ENKUlT_T0_E_clISt17integral_constantIbLb0EES1U_IbLb1EEEEDaS1Q_S1R_EUlS1Q_E_NS1_11comp_targetILNS1_3genE10ELNS1_11target_archE1200ELNS1_3gpuE4ELNS1_3repE0EEENS1_30default_config_static_selectorELNS0_4arch9wavefront6targetE0EEEvS13_,comdat
	.globl	_ZN7rocprim17ROCPRIM_400000_NS6detail17trampoline_kernelINS0_13select_configILj256ELj13ELNS0_17block_load_methodE3ELS4_3ELS4_3ELNS0_20block_scan_algorithmE0ELj4294967295EEENS1_25partition_config_selectorILNS1_17partition_subalgoE4EjNS0_10empty_typeEbEEZZNS1_14partition_implILS8_4ELb0ES6_15HIP_vector_typeIjLj2EENS0_17counting_iteratorIjlEEPS9_SG_NS0_5tupleIJPjSI_NS0_16reverse_iteratorISI_EEEEENSH_IJSG_SG_SG_EEES9_SI_JZNS1_25segmented_radix_sort_implINS0_14default_configELb1EPK6__halfPSP_PKlPlN2at6native12_GLOBAL__N_18offset_tEEE10hipError_tPvRmT1_PNSt15iterator_traitsIS13_E10value_typeET2_T3_PNS14_IS19_E10value_typeET4_jRbjT5_S1F_jjP12ihipStream_tbEUljE_ZNSN_ISO_Lb1ESR_SS_SU_SV_SZ_EES10_S11_S12_S13_S17_S18_S19_S1C_S1D_jS1E_jS1F_S1F_jjS1H_bEUljE0_EEES10_S11_S12_S19_S1D_S1F_T6_T7_T9_mT8_S1H_bDpT10_ENKUlT_T0_E_clISt17integral_constantIbLb0EES1U_IbLb1EEEEDaS1Q_S1R_EUlS1Q_E_NS1_11comp_targetILNS1_3genE10ELNS1_11target_archE1200ELNS1_3gpuE4ELNS1_3repE0EEENS1_30default_config_static_selectorELNS0_4arch9wavefront6targetE0EEEvS13_ ; -- Begin function _ZN7rocprim17ROCPRIM_400000_NS6detail17trampoline_kernelINS0_13select_configILj256ELj13ELNS0_17block_load_methodE3ELS4_3ELS4_3ELNS0_20block_scan_algorithmE0ELj4294967295EEENS1_25partition_config_selectorILNS1_17partition_subalgoE4EjNS0_10empty_typeEbEEZZNS1_14partition_implILS8_4ELb0ES6_15HIP_vector_typeIjLj2EENS0_17counting_iteratorIjlEEPS9_SG_NS0_5tupleIJPjSI_NS0_16reverse_iteratorISI_EEEEENSH_IJSG_SG_SG_EEES9_SI_JZNS1_25segmented_radix_sort_implINS0_14default_configELb1EPK6__halfPSP_PKlPlN2at6native12_GLOBAL__N_18offset_tEEE10hipError_tPvRmT1_PNSt15iterator_traitsIS13_E10value_typeET2_T3_PNS14_IS19_E10value_typeET4_jRbjT5_S1F_jjP12ihipStream_tbEUljE_ZNSN_ISO_Lb1ESR_SS_SU_SV_SZ_EES10_S11_S12_S13_S17_S18_S19_S1C_S1D_jS1E_jS1F_S1F_jjS1H_bEUljE0_EEES10_S11_S12_S19_S1D_S1F_T6_T7_T9_mT8_S1H_bDpT10_ENKUlT_T0_E_clISt17integral_constantIbLb0EES1U_IbLb1EEEEDaS1Q_S1R_EUlS1Q_E_NS1_11comp_targetILNS1_3genE10ELNS1_11target_archE1200ELNS1_3gpuE4ELNS1_3repE0EEENS1_30default_config_static_selectorELNS0_4arch9wavefront6targetE0EEEvS13_
	.p2align	8
	.type	_ZN7rocprim17ROCPRIM_400000_NS6detail17trampoline_kernelINS0_13select_configILj256ELj13ELNS0_17block_load_methodE3ELS4_3ELS4_3ELNS0_20block_scan_algorithmE0ELj4294967295EEENS1_25partition_config_selectorILNS1_17partition_subalgoE4EjNS0_10empty_typeEbEEZZNS1_14partition_implILS8_4ELb0ES6_15HIP_vector_typeIjLj2EENS0_17counting_iteratorIjlEEPS9_SG_NS0_5tupleIJPjSI_NS0_16reverse_iteratorISI_EEEEENSH_IJSG_SG_SG_EEES9_SI_JZNS1_25segmented_radix_sort_implINS0_14default_configELb1EPK6__halfPSP_PKlPlN2at6native12_GLOBAL__N_18offset_tEEE10hipError_tPvRmT1_PNSt15iterator_traitsIS13_E10value_typeET2_T3_PNS14_IS19_E10value_typeET4_jRbjT5_S1F_jjP12ihipStream_tbEUljE_ZNSN_ISO_Lb1ESR_SS_SU_SV_SZ_EES10_S11_S12_S13_S17_S18_S19_S1C_S1D_jS1E_jS1F_S1F_jjS1H_bEUljE0_EEES10_S11_S12_S19_S1D_S1F_T6_T7_T9_mT8_S1H_bDpT10_ENKUlT_T0_E_clISt17integral_constantIbLb0EES1U_IbLb1EEEEDaS1Q_S1R_EUlS1Q_E_NS1_11comp_targetILNS1_3genE10ELNS1_11target_archE1200ELNS1_3gpuE4ELNS1_3repE0EEENS1_30default_config_static_selectorELNS0_4arch9wavefront6targetE0EEEvS13_,@function
_ZN7rocprim17ROCPRIM_400000_NS6detail17trampoline_kernelINS0_13select_configILj256ELj13ELNS0_17block_load_methodE3ELS4_3ELS4_3ELNS0_20block_scan_algorithmE0ELj4294967295EEENS1_25partition_config_selectorILNS1_17partition_subalgoE4EjNS0_10empty_typeEbEEZZNS1_14partition_implILS8_4ELb0ES6_15HIP_vector_typeIjLj2EENS0_17counting_iteratorIjlEEPS9_SG_NS0_5tupleIJPjSI_NS0_16reverse_iteratorISI_EEEEENSH_IJSG_SG_SG_EEES9_SI_JZNS1_25segmented_radix_sort_implINS0_14default_configELb1EPK6__halfPSP_PKlPlN2at6native12_GLOBAL__N_18offset_tEEE10hipError_tPvRmT1_PNSt15iterator_traitsIS13_E10value_typeET2_T3_PNS14_IS19_E10value_typeET4_jRbjT5_S1F_jjP12ihipStream_tbEUljE_ZNSN_ISO_Lb1ESR_SS_SU_SV_SZ_EES10_S11_S12_S13_S17_S18_S19_S1C_S1D_jS1E_jS1F_S1F_jjS1H_bEUljE0_EEES10_S11_S12_S19_S1D_S1F_T6_T7_T9_mT8_S1H_bDpT10_ENKUlT_T0_E_clISt17integral_constantIbLb0EES1U_IbLb1EEEEDaS1Q_S1R_EUlS1Q_E_NS1_11comp_targetILNS1_3genE10ELNS1_11target_archE1200ELNS1_3gpuE4ELNS1_3repE0EEENS1_30default_config_static_selectorELNS0_4arch9wavefront6targetE0EEEvS13_: ; @_ZN7rocprim17ROCPRIM_400000_NS6detail17trampoline_kernelINS0_13select_configILj256ELj13ELNS0_17block_load_methodE3ELS4_3ELS4_3ELNS0_20block_scan_algorithmE0ELj4294967295EEENS1_25partition_config_selectorILNS1_17partition_subalgoE4EjNS0_10empty_typeEbEEZZNS1_14partition_implILS8_4ELb0ES6_15HIP_vector_typeIjLj2EENS0_17counting_iteratorIjlEEPS9_SG_NS0_5tupleIJPjSI_NS0_16reverse_iteratorISI_EEEEENSH_IJSG_SG_SG_EEES9_SI_JZNS1_25segmented_radix_sort_implINS0_14default_configELb1EPK6__halfPSP_PKlPlN2at6native12_GLOBAL__N_18offset_tEEE10hipError_tPvRmT1_PNSt15iterator_traitsIS13_E10value_typeET2_T3_PNS14_IS19_E10value_typeET4_jRbjT5_S1F_jjP12ihipStream_tbEUljE_ZNSN_ISO_Lb1ESR_SS_SU_SV_SZ_EES10_S11_S12_S13_S17_S18_S19_S1C_S1D_jS1E_jS1F_S1F_jjS1H_bEUljE0_EEES10_S11_S12_S19_S1D_S1F_T6_T7_T9_mT8_S1H_bDpT10_ENKUlT_T0_E_clISt17integral_constantIbLb0EES1U_IbLb1EEEEDaS1Q_S1R_EUlS1Q_E_NS1_11comp_targetILNS1_3genE10ELNS1_11target_archE1200ELNS1_3gpuE4ELNS1_3repE0EEENS1_30default_config_static_selectorELNS0_4arch9wavefront6targetE0EEEvS13_
; %bb.0:
	.section	.rodata,"a",@progbits
	.p2align	6, 0x0
	.amdhsa_kernel _ZN7rocprim17ROCPRIM_400000_NS6detail17trampoline_kernelINS0_13select_configILj256ELj13ELNS0_17block_load_methodE3ELS4_3ELS4_3ELNS0_20block_scan_algorithmE0ELj4294967295EEENS1_25partition_config_selectorILNS1_17partition_subalgoE4EjNS0_10empty_typeEbEEZZNS1_14partition_implILS8_4ELb0ES6_15HIP_vector_typeIjLj2EENS0_17counting_iteratorIjlEEPS9_SG_NS0_5tupleIJPjSI_NS0_16reverse_iteratorISI_EEEEENSH_IJSG_SG_SG_EEES9_SI_JZNS1_25segmented_radix_sort_implINS0_14default_configELb1EPK6__halfPSP_PKlPlN2at6native12_GLOBAL__N_18offset_tEEE10hipError_tPvRmT1_PNSt15iterator_traitsIS13_E10value_typeET2_T3_PNS14_IS19_E10value_typeET4_jRbjT5_S1F_jjP12ihipStream_tbEUljE_ZNSN_ISO_Lb1ESR_SS_SU_SV_SZ_EES10_S11_S12_S13_S17_S18_S19_S1C_S1D_jS1E_jS1F_S1F_jjS1H_bEUljE0_EEES10_S11_S12_S19_S1D_S1F_T6_T7_T9_mT8_S1H_bDpT10_ENKUlT_T0_E_clISt17integral_constantIbLb0EES1U_IbLb1EEEEDaS1Q_S1R_EUlS1Q_E_NS1_11comp_targetILNS1_3genE10ELNS1_11target_archE1200ELNS1_3gpuE4ELNS1_3repE0EEENS1_30default_config_static_selectorELNS0_4arch9wavefront6targetE0EEEvS13_
		.amdhsa_group_segment_fixed_size 0
		.amdhsa_private_segment_fixed_size 0
		.amdhsa_kernarg_size 184
		.amdhsa_user_sgpr_count 6
		.amdhsa_user_sgpr_private_segment_buffer 1
		.amdhsa_user_sgpr_dispatch_ptr 0
		.amdhsa_user_sgpr_queue_ptr 0
		.amdhsa_user_sgpr_kernarg_segment_ptr 1
		.amdhsa_user_sgpr_dispatch_id 0
		.amdhsa_user_sgpr_flat_scratch_init 0
		.amdhsa_user_sgpr_private_segment_size 0
		.amdhsa_wavefront_size32 1
		.amdhsa_uses_dynamic_stack 0
		.amdhsa_system_sgpr_private_segment_wavefront_offset 0
		.amdhsa_system_sgpr_workgroup_id_x 1
		.amdhsa_system_sgpr_workgroup_id_y 0
		.amdhsa_system_sgpr_workgroup_id_z 0
		.amdhsa_system_sgpr_workgroup_info 0
		.amdhsa_system_vgpr_workitem_id 0
		.amdhsa_next_free_vgpr 1
		.amdhsa_next_free_sgpr 1
		.amdhsa_reserve_vcc 0
		.amdhsa_reserve_flat_scratch 0
		.amdhsa_float_round_mode_32 0
		.amdhsa_float_round_mode_16_64 0
		.amdhsa_float_denorm_mode_32 3
		.amdhsa_float_denorm_mode_16_64 3
		.amdhsa_dx10_clamp 1
		.amdhsa_ieee_mode 1
		.amdhsa_fp16_overflow 0
		.amdhsa_workgroup_processor_mode 1
		.amdhsa_memory_ordered 1
		.amdhsa_forward_progress 1
		.amdhsa_shared_vgpr_count 0
		.amdhsa_exception_fp_ieee_invalid_op 0
		.amdhsa_exception_fp_denorm_src 0
		.amdhsa_exception_fp_ieee_div_zero 0
		.amdhsa_exception_fp_ieee_overflow 0
		.amdhsa_exception_fp_ieee_underflow 0
		.amdhsa_exception_fp_ieee_inexact 0
		.amdhsa_exception_int_div_zero 0
	.end_amdhsa_kernel
	.section	.text._ZN7rocprim17ROCPRIM_400000_NS6detail17trampoline_kernelINS0_13select_configILj256ELj13ELNS0_17block_load_methodE3ELS4_3ELS4_3ELNS0_20block_scan_algorithmE0ELj4294967295EEENS1_25partition_config_selectorILNS1_17partition_subalgoE4EjNS0_10empty_typeEbEEZZNS1_14partition_implILS8_4ELb0ES6_15HIP_vector_typeIjLj2EENS0_17counting_iteratorIjlEEPS9_SG_NS0_5tupleIJPjSI_NS0_16reverse_iteratorISI_EEEEENSH_IJSG_SG_SG_EEES9_SI_JZNS1_25segmented_radix_sort_implINS0_14default_configELb1EPK6__halfPSP_PKlPlN2at6native12_GLOBAL__N_18offset_tEEE10hipError_tPvRmT1_PNSt15iterator_traitsIS13_E10value_typeET2_T3_PNS14_IS19_E10value_typeET4_jRbjT5_S1F_jjP12ihipStream_tbEUljE_ZNSN_ISO_Lb1ESR_SS_SU_SV_SZ_EES10_S11_S12_S13_S17_S18_S19_S1C_S1D_jS1E_jS1F_S1F_jjS1H_bEUljE0_EEES10_S11_S12_S19_S1D_S1F_T6_T7_T9_mT8_S1H_bDpT10_ENKUlT_T0_E_clISt17integral_constantIbLb0EES1U_IbLb1EEEEDaS1Q_S1R_EUlS1Q_E_NS1_11comp_targetILNS1_3genE10ELNS1_11target_archE1200ELNS1_3gpuE4ELNS1_3repE0EEENS1_30default_config_static_selectorELNS0_4arch9wavefront6targetE0EEEvS13_,"axG",@progbits,_ZN7rocprim17ROCPRIM_400000_NS6detail17trampoline_kernelINS0_13select_configILj256ELj13ELNS0_17block_load_methodE3ELS4_3ELS4_3ELNS0_20block_scan_algorithmE0ELj4294967295EEENS1_25partition_config_selectorILNS1_17partition_subalgoE4EjNS0_10empty_typeEbEEZZNS1_14partition_implILS8_4ELb0ES6_15HIP_vector_typeIjLj2EENS0_17counting_iteratorIjlEEPS9_SG_NS0_5tupleIJPjSI_NS0_16reverse_iteratorISI_EEEEENSH_IJSG_SG_SG_EEES9_SI_JZNS1_25segmented_radix_sort_implINS0_14default_configELb1EPK6__halfPSP_PKlPlN2at6native12_GLOBAL__N_18offset_tEEE10hipError_tPvRmT1_PNSt15iterator_traitsIS13_E10value_typeET2_T3_PNS14_IS19_E10value_typeET4_jRbjT5_S1F_jjP12ihipStream_tbEUljE_ZNSN_ISO_Lb1ESR_SS_SU_SV_SZ_EES10_S11_S12_S13_S17_S18_S19_S1C_S1D_jS1E_jS1F_S1F_jjS1H_bEUljE0_EEES10_S11_S12_S19_S1D_S1F_T6_T7_T9_mT8_S1H_bDpT10_ENKUlT_T0_E_clISt17integral_constantIbLb0EES1U_IbLb1EEEEDaS1Q_S1R_EUlS1Q_E_NS1_11comp_targetILNS1_3genE10ELNS1_11target_archE1200ELNS1_3gpuE4ELNS1_3repE0EEENS1_30default_config_static_selectorELNS0_4arch9wavefront6targetE0EEEvS13_,comdat
.Lfunc_end1694:
	.size	_ZN7rocprim17ROCPRIM_400000_NS6detail17trampoline_kernelINS0_13select_configILj256ELj13ELNS0_17block_load_methodE3ELS4_3ELS4_3ELNS0_20block_scan_algorithmE0ELj4294967295EEENS1_25partition_config_selectorILNS1_17partition_subalgoE4EjNS0_10empty_typeEbEEZZNS1_14partition_implILS8_4ELb0ES6_15HIP_vector_typeIjLj2EENS0_17counting_iteratorIjlEEPS9_SG_NS0_5tupleIJPjSI_NS0_16reverse_iteratorISI_EEEEENSH_IJSG_SG_SG_EEES9_SI_JZNS1_25segmented_radix_sort_implINS0_14default_configELb1EPK6__halfPSP_PKlPlN2at6native12_GLOBAL__N_18offset_tEEE10hipError_tPvRmT1_PNSt15iterator_traitsIS13_E10value_typeET2_T3_PNS14_IS19_E10value_typeET4_jRbjT5_S1F_jjP12ihipStream_tbEUljE_ZNSN_ISO_Lb1ESR_SS_SU_SV_SZ_EES10_S11_S12_S13_S17_S18_S19_S1C_S1D_jS1E_jS1F_S1F_jjS1H_bEUljE0_EEES10_S11_S12_S19_S1D_S1F_T6_T7_T9_mT8_S1H_bDpT10_ENKUlT_T0_E_clISt17integral_constantIbLb0EES1U_IbLb1EEEEDaS1Q_S1R_EUlS1Q_E_NS1_11comp_targetILNS1_3genE10ELNS1_11target_archE1200ELNS1_3gpuE4ELNS1_3repE0EEENS1_30default_config_static_selectorELNS0_4arch9wavefront6targetE0EEEvS13_, .Lfunc_end1694-_ZN7rocprim17ROCPRIM_400000_NS6detail17trampoline_kernelINS0_13select_configILj256ELj13ELNS0_17block_load_methodE3ELS4_3ELS4_3ELNS0_20block_scan_algorithmE0ELj4294967295EEENS1_25partition_config_selectorILNS1_17partition_subalgoE4EjNS0_10empty_typeEbEEZZNS1_14partition_implILS8_4ELb0ES6_15HIP_vector_typeIjLj2EENS0_17counting_iteratorIjlEEPS9_SG_NS0_5tupleIJPjSI_NS0_16reverse_iteratorISI_EEEEENSH_IJSG_SG_SG_EEES9_SI_JZNS1_25segmented_radix_sort_implINS0_14default_configELb1EPK6__halfPSP_PKlPlN2at6native12_GLOBAL__N_18offset_tEEE10hipError_tPvRmT1_PNSt15iterator_traitsIS13_E10value_typeET2_T3_PNS14_IS19_E10value_typeET4_jRbjT5_S1F_jjP12ihipStream_tbEUljE_ZNSN_ISO_Lb1ESR_SS_SU_SV_SZ_EES10_S11_S12_S13_S17_S18_S19_S1C_S1D_jS1E_jS1F_S1F_jjS1H_bEUljE0_EEES10_S11_S12_S19_S1D_S1F_T6_T7_T9_mT8_S1H_bDpT10_ENKUlT_T0_E_clISt17integral_constantIbLb0EES1U_IbLb1EEEEDaS1Q_S1R_EUlS1Q_E_NS1_11comp_targetILNS1_3genE10ELNS1_11target_archE1200ELNS1_3gpuE4ELNS1_3repE0EEENS1_30default_config_static_selectorELNS0_4arch9wavefront6targetE0EEEvS13_
                                        ; -- End function
	.set _ZN7rocprim17ROCPRIM_400000_NS6detail17trampoline_kernelINS0_13select_configILj256ELj13ELNS0_17block_load_methodE3ELS4_3ELS4_3ELNS0_20block_scan_algorithmE0ELj4294967295EEENS1_25partition_config_selectorILNS1_17partition_subalgoE4EjNS0_10empty_typeEbEEZZNS1_14partition_implILS8_4ELb0ES6_15HIP_vector_typeIjLj2EENS0_17counting_iteratorIjlEEPS9_SG_NS0_5tupleIJPjSI_NS0_16reverse_iteratorISI_EEEEENSH_IJSG_SG_SG_EEES9_SI_JZNS1_25segmented_radix_sort_implINS0_14default_configELb1EPK6__halfPSP_PKlPlN2at6native12_GLOBAL__N_18offset_tEEE10hipError_tPvRmT1_PNSt15iterator_traitsIS13_E10value_typeET2_T3_PNS14_IS19_E10value_typeET4_jRbjT5_S1F_jjP12ihipStream_tbEUljE_ZNSN_ISO_Lb1ESR_SS_SU_SV_SZ_EES10_S11_S12_S13_S17_S18_S19_S1C_S1D_jS1E_jS1F_S1F_jjS1H_bEUljE0_EEES10_S11_S12_S19_S1D_S1F_T6_T7_T9_mT8_S1H_bDpT10_ENKUlT_T0_E_clISt17integral_constantIbLb0EES1U_IbLb1EEEEDaS1Q_S1R_EUlS1Q_E_NS1_11comp_targetILNS1_3genE10ELNS1_11target_archE1200ELNS1_3gpuE4ELNS1_3repE0EEENS1_30default_config_static_selectorELNS0_4arch9wavefront6targetE0EEEvS13_.num_vgpr, 0
	.set _ZN7rocprim17ROCPRIM_400000_NS6detail17trampoline_kernelINS0_13select_configILj256ELj13ELNS0_17block_load_methodE3ELS4_3ELS4_3ELNS0_20block_scan_algorithmE0ELj4294967295EEENS1_25partition_config_selectorILNS1_17partition_subalgoE4EjNS0_10empty_typeEbEEZZNS1_14partition_implILS8_4ELb0ES6_15HIP_vector_typeIjLj2EENS0_17counting_iteratorIjlEEPS9_SG_NS0_5tupleIJPjSI_NS0_16reverse_iteratorISI_EEEEENSH_IJSG_SG_SG_EEES9_SI_JZNS1_25segmented_radix_sort_implINS0_14default_configELb1EPK6__halfPSP_PKlPlN2at6native12_GLOBAL__N_18offset_tEEE10hipError_tPvRmT1_PNSt15iterator_traitsIS13_E10value_typeET2_T3_PNS14_IS19_E10value_typeET4_jRbjT5_S1F_jjP12ihipStream_tbEUljE_ZNSN_ISO_Lb1ESR_SS_SU_SV_SZ_EES10_S11_S12_S13_S17_S18_S19_S1C_S1D_jS1E_jS1F_S1F_jjS1H_bEUljE0_EEES10_S11_S12_S19_S1D_S1F_T6_T7_T9_mT8_S1H_bDpT10_ENKUlT_T0_E_clISt17integral_constantIbLb0EES1U_IbLb1EEEEDaS1Q_S1R_EUlS1Q_E_NS1_11comp_targetILNS1_3genE10ELNS1_11target_archE1200ELNS1_3gpuE4ELNS1_3repE0EEENS1_30default_config_static_selectorELNS0_4arch9wavefront6targetE0EEEvS13_.num_agpr, 0
	.set _ZN7rocprim17ROCPRIM_400000_NS6detail17trampoline_kernelINS0_13select_configILj256ELj13ELNS0_17block_load_methodE3ELS4_3ELS4_3ELNS0_20block_scan_algorithmE0ELj4294967295EEENS1_25partition_config_selectorILNS1_17partition_subalgoE4EjNS0_10empty_typeEbEEZZNS1_14partition_implILS8_4ELb0ES6_15HIP_vector_typeIjLj2EENS0_17counting_iteratorIjlEEPS9_SG_NS0_5tupleIJPjSI_NS0_16reverse_iteratorISI_EEEEENSH_IJSG_SG_SG_EEES9_SI_JZNS1_25segmented_radix_sort_implINS0_14default_configELb1EPK6__halfPSP_PKlPlN2at6native12_GLOBAL__N_18offset_tEEE10hipError_tPvRmT1_PNSt15iterator_traitsIS13_E10value_typeET2_T3_PNS14_IS19_E10value_typeET4_jRbjT5_S1F_jjP12ihipStream_tbEUljE_ZNSN_ISO_Lb1ESR_SS_SU_SV_SZ_EES10_S11_S12_S13_S17_S18_S19_S1C_S1D_jS1E_jS1F_S1F_jjS1H_bEUljE0_EEES10_S11_S12_S19_S1D_S1F_T6_T7_T9_mT8_S1H_bDpT10_ENKUlT_T0_E_clISt17integral_constantIbLb0EES1U_IbLb1EEEEDaS1Q_S1R_EUlS1Q_E_NS1_11comp_targetILNS1_3genE10ELNS1_11target_archE1200ELNS1_3gpuE4ELNS1_3repE0EEENS1_30default_config_static_selectorELNS0_4arch9wavefront6targetE0EEEvS13_.numbered_sgpr, 0
	.set _ZN7rocprim17ROCPRIM_400000_NS6detail17trampoline_kernelINS0_13select_configILj256ELj13ELNS0_17block_load_methodE3ELS4_3ELS4_3ELNS0_20block_scan_algorithmE0ELj4294967295EEENS1_25partition_config_selectorILNS1_17partition_subalgoE4EjNS0_10empty_typeEbEEZZNS1_14partition_implILS8_4ELb0ES6_15HIP_vector_typeIjLj2EENS0_17counting_iteratorIjlEEPS9_SG_NS0_5tupleIJPjSI_NS0_16reverse_iteratorISI_EEEEENSH_IJSG_SG_SG_EEES9_SI_JZNS1_25segmented_radix_sort_implINS0_14default_configELb1EPK6__halfPSP_PKlPlN2at6native12_GLOBAL__N_18offset_tEEE10hipError_tPvRmT1_PNSt15iterator_traitsIS13_E10value_typeET2_T3_PNS14_IS19_E10value_typeET4_jRbjT5_S1F_jjP12ihipStream_tbEUljE_ZNSN_ISO_Lb1ESR_SS_SU_SV_SZ_EES10_S11_S12_S13_S17_S18_S19_S1C_S1D_jS1E_jS1F_S1F_jjS1H_bEUljE0_EEES10_S11_S12_S19_S1D_S1F_T6_T7_T9_mT8_S1H_bDpT10_ENKUlT_T0_E_clISt17integral_constantIbLb0EES1U_IbLb1EEEEDaS1Q_S1R_EUlS1Q_E_NS1_11comp_targetILNS1_3genE10ELNS1_11target_archE1200ELNS1_3gpuE4ELNS1_3repE0EEENS1_30default_config_static_selectorELNS0_4arch9wavefront6targetE0EEEvS13_.num_named_barrier, 0
	.set _ZN7rocprim17ROCPRIM_400000_NS6detail17trampoline_kernelINS0_13select_configILj256ELj13ELNS0_17block_load_methodE3ELS4_3ELS4_3ELNS0_20block_scan_algorithmE0ELj4294967295EEENS1_25partition_config_selectorILNS1_17partition_subalgoE4EjNS0_10empty_typeEbEEZZNS1_14partition_implILS8_4ELb0ES6_15HIP_vector_typeIjLj2EENS0_17counting_iteratorIjlEEPS9_SG_NS0_5tupleIJPjSI_NS0_16reverse_iteratorISI_EEEEENSH_IJSG_SG_SG_EEES9_SI_JZNS1_25segmented_radix_sort_implINS0_14default_configELb1EPK6__halfPSP_PKlPlN2at6native12_GLOBAL__N_18offset_tEEE10hipError_tPvRmT1_PNSt15iterator_traitsIS13_E10value_typeET2_T3_PNS14_IS19_E10value_typeET4_jRbjT5_S1F_jjP12ihipStream_tbEUljE_ZNSN_ISO_Lb1ESR_SS_SU_SV_SZ_EES10_S11_S12_S13_S17_S18_S19_S1C_S1D_jS1E_jS1F_S1F_jjS1H_bEUljE0_EEES10_S11_S12_S19_S1D_S1F_T6_T7_T9_mT8_S1H_bDpT10_ENKUlT_T0_E_clISt17integral_constantIbLb0EES1U_IbLb1EEEEDaS1Q_S1R_EUlS1Q_E_NS1_11comp_targetILNS1_3genE10ELNS1_11target_archE1200ELNS1_3gpuE4ELNS1_3repE0EEENS1_30default_config_static_selectorELNS0_4arch9wavefront6targetE0EEEvS13_.private_seg_size, 0
	.set _ZN7rocprim17ROCPRIM_400000_NS6detail17trampoline_kernelINS0_13select_configILj256ELj13ELNS0_17block_load_methodE3ELS4_3ELS4_3ELNS0_20block_scan_algorithmE0ELj4294967295EEENS1_25partition_config_selectorILNS1_17partition_subalgoE4EjNS0_10empty_typeEbEEZZNS1_14partition_implILS8_4ELb0ES6_15HIP_vector_typeIjLj2EENS0_17counting_iteratorIjlEEPS9_SG_NS0_5tupleIJPjSI_NS0_16reverse_iteratorISI_EEEEENSH_IJSG_SG_SG_EEES9_SI_JZNS1_25segmented_radix_sort_implINS0_14default_configELb1EPK6__halfPSP_PKlPlN2at6native12_GLOBAL__N_18offset_tEEE10hipError_tPvRmT1_PNSt15iterator_traitsIS13_E10value_typeET2_T3_PNS14_IS19_E10value_typeET4_jRbjT5_S1F_jjP12ihipStream_tbEUljE_ZNSN_ISO_Lb1ESR_SS_SU_SV_SZ_EES10_S11_S12_S13_S17_S18_S19_S1C_S1D_jS1E_jS1F_S1F_jjS1H_bEUljE0_EEES10_S11_S12_S19_S1D_S1F_T6_T7_T9_mT8_S1H_bDpT10_ENKUlT_T0_E_clISt17integral_constantIbLb0EES1U_IbLb1EEEEDaS1Q_S1R_EUlS1Q_E_NS1_11comp_targetILNS1_3genE10ELNS1_11target_archE1200ELNS1_3gpuE4ELNS1_3repE0EEENS1_30default_config_static_selectorELNS0_4arch9wavefront6targetE0EEEvS13_.uses_vcc, 0
	.set _ZN7rocprim17ROCPRIM_400000_NS6detail17trampoline_kernelINS0_13select_configILj256ELj13ELNS0_17block_load_methodE3ELS4_3ELS4_3ELNS0_20block_scan_algorithmE0ELj4294967295EEENS1_25partition_config_selectorILNS1_17partition_subalgoE4EjNS0_10empty_typeEbEEZZNS1_14partition_implILS8_4ELb0ES6_15HIP_vector_typeIjLj2EENS0_17counting_iteratorIjlEEPS9_SG_NS0_5tupleIJPjSI_NS0_16reverse_iteratorISI_EEEEENSH_IJSG_SG_SG_EEES9_SI_JZNS1_25segmented_radix_sort_implINS0_14default_configELb1EPK6__halfPSP_PKlPlN2at6native12_GLOBAL__N_18offset_tEEE10hipError_tPvRmT1_PNSt15iterator_traitsIS13_E10value_typeET2_T3_PNS14_IS19_E10value_typeET4_jRbjT5_S1F_jjP12ihipStream_tbEUljE_ZNSN_ISO_Lb1ESR_SS_SU_SV_SZ_EES10_S11_S12_S13_S17_S18_S19_S1C_S1D_jS1E_jS1F_S1F_jjS1H_bEUljE0_EEES10_S11_S12_S19_S1D_S1F_T6_T7_T9_mT8_S1H_bDpT10_ENKUlT_T0_E_clISt17integral_constantIbLb0EES1U_IbLb1EEEEDaS1Q_S1R_EUlS1Q_E_NS1_11comp_targetILNS1_3genE10ELNS1_11target_archE1200ELNS1_3gpuE4ELNS1_3repE0EEENS1_30default_config_static_selectorELNS0_4arch9wavefront6targetE0EEEvS13_.uses_flat_scratch, 0
	.set _ZN7rocprim17ROCPRIM_400000_NS6detail17trampoline_kernelINS0_13select_configILj256ELj13ELNS0_17block_load_methodE3ELS4_3ELS4_3ELNS0_20block_scan_algorithmE0ELj4294967295EEENS1_25partition_config_selectorILNS1_17partition_subalgoE4EjNS0_10empty_typeEbEEZZNS1_14partition_implILS8_4ELb0ES6_15HIP_vector_typeIjLj2EENS0_17counting_iteratorIjlEEPS9_SG_NS0_5tupleIJPjSI_NS0_16reverse_iteratorISI_EEEEENSH_IJSG_SG_SG_EEES9_SI_JZNS1_25segmented_radix_sort_implINS0_14default_configELb1EPK6__halfPSP_PKlPlN2at6native12_GLOBAL__N_18offset_tEEE10hipError_tPvRmT1_PNSt15iterator_traitsIS13_E10value_typeET2_T3_PNS14_IS19_E10value_typeET4_jRbjT5_S1F_jjP12ihipStream_tbEUljE_ZNSN_ISO_Lb1ESR_SS_SU_SV_SZ_EES10_S11_S12_S13_S17_S18_S19_S1C_S1D_jS1E_jS1F_S1F_jjS1H_bEUljE0_EEES10_S11_S12_S19_S1D_S1F_T6_T7_T9_mT8_S1H_bDpT10_ENKUlT_T0_E_clISt17integral_constantIbLb0EES1U_IbLb1EEEEDaS1Q_S1R_EUlS1Q_E_NS1_11comp_targetILNS1_3genE10ELNS1_11target_archE1200ELNS1_3gpuE4ELNS1_3repE0EEENS1_30default_config_static_selectorELNS0_4arch9wavefront6targetE0EEEvS13_.has_dyn_sized_stack, 0
	.set _ZN7rocprim17ROCPRIM_400000_NS6detail17trampoline_kernelINS0_13select_configILj256ELj13ELNS0_17block_load_methodE3ELS4_3ELS4_3ELNS0_20block_scan_algorithmE0ELj4294967295EEENS1_25partition_config_selectorILNS1_17partition_subalgoE4EjNS0_10empty_typeEbEEZZNS1_14partition_implILS8_4ELb0ES6_15HIP_vector_typeIjLj2EENS0_17counting_iteratorIjlEEPS9_SG_NS0_5tupleIJPjSI_NS0_16reverse_iteratorISI_EEEEENSH_IJSG_SG_SG_EEES9_SI_JZNS1_25segmented_radix_sort_implINS0_14default_configELb1EPK6__halfPSP_PKlPlN2at6native12_GLOBAL__N_18offset_tEEE10hipError_tPvRmT1_PNSt15iterator_traitsIS13_E10value_typeET2_T3_PNS14_IS19_E10value_typeET4_jRbjT5_S1F_jjP12ihipStream_tbEUljE_ZNSN_ISO_Lb1ESR_SS_SU_SV_SZ_EES10_S11_S12_S13_S17_S18_S19_S1C_S1D_jS1E_jS1F_S1F_jjS1H_bEUljE0_EEES10_S11_S12_S19_S1D_S1F_T6_T7_T9_mT8_S1H_bDpT10_ENKUlT_T0_E_clISt17integral_constantIbLb0EES1U_IbLb1EEEEDaS1Q_S1R_EUlS1Q_E_NS1_11comp_targetILNS1_3genE10ELNS1_11target_archE1200ELNS1_3gpuE4ELNS1_3repE0EEENS1_30default_config_static_selectorELNS0_4arch9wavefront6targetE0EEEvS13_.has_recursion, 0
	.set _ZN7rocprim17ROCPRIM_400000_NS6detail17trampoline_kernelINS0_13select_configILj256ELj13ELNS0_17block_load_methodE3ELS4_3ELS4_3ELNS0_20block_scan_algorithmE0ELj4294967295EEENS1_25partition_config_selectorILNS1_17partition_subalgoE4EjNS0_10empty_typeEbEEZZNS1_14partition_implILS8_4ELb0ES6_15HIP_vector_typeIjLj2EENS0_17counting_iteratorIjlEEPS9_SG_NS0_5tupleIJPjSI_NS0_16reverse_iteratorISI_EEEEENSH_IJSG_SG_SG_EEES9_SI_JZNS1_25segmented_radix_sort_implINS0_14default_configELb1EPK6__halfPSP_PKlPlN2at6native12_GLOBAL__N_18offset_tEEE10hipError_tPvRmT1_PNSt15iterator_traitsIS13_E10value_typeET2_T3_PNS14_IS19_E10value_typeET4_jRbjT5_S1F_jjP12ihipStream_tbEUljE_ZNSN_ISO_Lb1ESR_SS_SU_SV_SZ_EES10_S11_S12_S13_S17_S18_S19_S1C_S1D_jS1E_jS1F_S1F_jjS1H_bEUljE0_EEES10_S11_S12_S19_S1D_S1F_T6_T7_T9_mT8_S1H_bDpT10_ENKUlT_T0_E_clISt17integral_constantIbLb0EES1U_IbLb1EEEEDaS1Q_S1R_EUlS1Q_E_NS1_11comp_targetILNS1_3genE10ELNS1_11target_archE1200ELNS1_3gpuE4ELNS1_3repE0EEENS1_30default_config_static_selectorELNS0_4arch9wavefront6targetE0EEEvS13_.has_indirect_call, 0
	.section	.AMDGPU.csdata,"",@progbits
; Kernel info:
; codeLenInByte = 0
; TotalNumSgprs: 0
; NumVgprs: 0
; ScratchSize: 0
; MemoryBound: 0
; FloatMode: 240
; IeeeMode: 1
; LDSByteSize: 0 bytes/workgroup (compile time only)
; SGPRBlocks: 0
; VGPRBlocks: 0
; NumSGPRsForWavesPerEU: 1
; NumVGPRsForWavesPerEU: 1
; Occupancy: 16
; WaveLimiterHint : 0
; COMPUTE_PGM_RSRC2:SCRATCH_EN: 0
; COMPUTE_PGM_RSRC2:USER_SGPR: 6
; COMPUTE_PGM_RSRC2:TRAP_HANDLER: 0
; COMPUTE_PGM_RSRC2:TGID_X_EN: 1
; COMPUTE_PGM_RSRC2:TGID_Y_EN: 0
; COMPUTE_PGM_RSRC2:TGID_Z_EN: 0
; COMPUTE_PGM_RSRC2:TIDIG_COMP_CNT: 0
	.section	.text._ZN7rocprim17ROCPRIM_400000_NS6detail17trampoline_kernelINS0_13select_configILj256ELj13ELNS0_17block_load_methodE3ELS4_3ELS4_3ELNS0_20block_scan_algorithmE0ELj4294967295EEENS1_25partition_config_selectorILNS1_17partition_subalgoE4EjNS0_10empty_typeEbEEZZNS1_14partition_implILS8_4ELb0ES6_15HIP_vector_typeIjLj2EENS0_17counting_iteratorIjlEEPS9_SG_NS0_5tupleIJPjSI_NS0_16reverse_iteratorISI_EEEEENSH_IJSG_SG_SG_EEES9_SI_JZNS1_25segmented_radix_sort_implINS0_14default_configELb1EPK6__halfPSP_PKlPlN2at6native12_GLOBAL__N_18offset_tEEE10hipError_tPvRmT1_PNSt15iterator_traitsIS13_E10value_typeET2_T3_PNS14_IS19_E10value_typeET4_jRbjT5_S1F_jjP12ihipStream_tbEUljE_ZNSN_ISO_Lb1ESR_SS_SU_SV_SZ_EES10_S11_S12_S13_S17_S18_S19_S1C_S1D_jS1E_jS1F_S1F_jjS1H_bEUljE0_EEES10_S11_S12_S19_S1D_S1F_T6_T7_T9_mT8_S1H_bDpT10_ENKUlT_T0_E_clISt17integral_constantIbLb0EES1U_IbLb1EEEEDaS1Q_S1R_EUlS1Q_E_NS1_11comp_targetILNS1_3genE9ELNS1_11target_archE1100ELNS1_3gpuE3ELNS1_3repE0EEENS1_30default_config_static_selectorELNS0_4arch9wavefront6targetE0EEEvS13_,"axG",@progbits,_ZN7rocprim17ROCPRIM_400000_NS6detail17trampoline_kernelINS0_13select_configILj256ELj13ELNS0_17block_load_methodE3ELS4_3ELS4_3ELNS0_20block_scan_algorithmE0ELj4294967295EEENS1_25partition_config_selectorILNS1_17partition_subalgoE4EjNS0_10empty_typeEbEEZZNS1_14partition_implILS8_4ELb0ES6_15HIP_vector_typeIjLj2EENS0_17counting_iteratorIjlEEPS9_SG_NS0_5tupleIJPjSI_NS0_16reverse_iteratorISI_EEEEENSH_IJSG_SG_SG_EEES9_SI_JZNS1_25segmented_radix_sort_implINS0_14default_configELb1EPK6__halfPSP_PKlPlN2at6native12_GLOBAL__N_18offset_tEEE10hipError_tPvRmT1_PNSt15iterator_traitsIS13_E10value_typeET2_T3_PNS14_IS19_E10value_typeET4_jRbjT5_S1F_jjP12ihipStream_tbEUljE_ZNSN_ISO_Lb1ESR_SS_SU_SV_SZ_EES10_S11_S12_S13_S17_S18_S19_S1C_S1D_jS1E_jS1F_S1F_jjS1H_bEUljE0_EEES10_S11_S12_S19_S1D_S1F_T6_T7_T9_mT8_S1H_bDpT10_ENKUlT_T0_E_clISt17integral_constantIbLb0EES1U_IbLb1EEEEDaS1Q_S1R_EUlS1Q_E_NS1_11comp_targetILNS1_3genE9ELNS1_11target_archE1100ELNS1_3gpuE3ELNS1_3repE0EEENS1_30default_config_static_selectorELNS0_4arch9wavefront6targetE0EEEvS13_,comdat
	.globl	_ZN7rocprim17ROCPRIM_400000_NS6detail17trampoline_kernelINS0_13select_configILj256ELj13ELNS0_17block_load_methodE3ELS4_3ELS4_3ELNS0_20block_scan_algorithmE0ELj4294967295EEENS1_25partition_config_selectorILNS1_17partition_subalgoE4EjNS0_10empty_typeEbEEZZNS1_14partition_implILS8_4ELb0ES6_15HIP_vector_typeIjLj2EENS0_17counting_iteratorIjlEEPS9_SG_NS0_5tupleIJPjSI_NS0_16reverse_iteratorISI_EEEEENSH_IJSG_SG_SG_EEES9_SI_JZNS1_25segmented_radix_sort_implINS0_14default_configELb1EPK6__halfPSP_PKlPlN2at6native12_GLOBAL__N_18offset_tEEE10hipError_tPvRmT1_PNSt15iterator_traitsIS13_E10value_typeET2_T3_PNS14_IS19_E10value_typeET4_jRbjT5_S1F_jjP12ihipStream_tbEUljE_ZNSN_ISO_Lb1ESR_SS_SU_SV_SZ_EES10_S11_S12_S13_S17_S18_S19_S1C_S1D_jS1E_jS1F_S1F_jjS1H_bEUljE0_EEES10_S11_S12_S19_S1D_S1F_T6_T7_T9_mT8_S1H_bDpT10_ENKUlT_T0_E_clISt17integral_constantIbLb0EES1U_IbLb1EEEEDaS1Q_S1R_EUlS1Q_E_NS1_11comp_targetILNS1_3genE9ELNS1_11target_archE1100ELNS1_3gpuE3ELNS1_3repE0EEENS1_30default_config_static_selectorELNS0_4arch9wavefront6targetE0EEEvS13_ ; -- Begin function _ZN7rocprim17ROCPRIM_400000_NS6detail17trampoline_kernelINS0_13select_configILj256ELj13ELNS0_17block_load_methodE3ELS4_3ELS4_3ELNS0_20block_scan_algorithmE0ELj4294967295EEENS1_25partition_config_selectorILNS1_17partition_subalgoE4EjNS0_10empty_typeEbEEZZNS1_14partition_implILS8_4ELb0ES6_15HIP_vector_typeIjLj2EENS0_17counting_iteratorIjlEEPS9_SG_NS0_5tupleIJPjSI_NS0_16reverse_iteratorISI_EEEEENSH_IJSG_SG_SG_EEES9_SI_JZNS1_25segmented_radix_sort_implINS0_14default_configELb1EPK6__halfPSP_PKlPlN2at6native12_GLOBAL__N_18offset_tEEE10hipError_tPvRmT1_PNSt15iterator_traitsIS13_E10value_typeET2_T3_PNS14_IS19_E10value_typeET4_jRbjT5_S1F_jjP12ihipStream_tbEUljE_ZNSN_ISO_Lb1ESR_SS_SU_SV_SZ_EES10_S11_S12_S13_S17_S18_S19_S1C_S1D_jS1E_jS1F_S1F_jjS1H_bEUljE0_EEES10_S11_S12_S19_S1D_S1F_T6_T7_T9_mT8_S1H_bDpT10_ENKUlT_T0_E_clISt17integral_constantIbLb0EES1U_IbLb1EEEEDaS1Q_S1R_EUlS1Q_E_NS1_11comp_targetILNS1_3genE9ELNS1_11target_archE1100ELNS1_3gpuE3ELNS1_3repE0EEENS1_30default_config_static_selectorELNS0_4arch9wavefront6targetE0EEEvS13_
	.p2align	8
	.type	_ZN7rocprim17ROCPRIM_400000_NS6detail17trampoline_kernelINS0_13select_configILj256ELj13ELNS0_17block_load_methodE3ELS4_3ELS4_3ELNS0_20block_scan_algorithmE0ELj4294967295EEENS1_25partition_config_selectorILNS1_17partition_subalgoE4EjNS0_10empty_typeEbEEZZNS1_14partition_implILS8_4ELb0ES6_15HIP_vector_typeIjLj2EENS0_17counting_iteratorIjlEEPS9_SG_NS0_5tupleIJPjSI_NS0_16reverse_iteratorISI_EEEEENSH_IJSG_SG_SG_EEES9_SI_JZNS1_25segmented_radix_sort_implINS0_14default_configELb1EPK6__halfPSP_PKlPlN2at6native12_GLOBAL__N_18offset_tEEE10hipError_tPvRmT1_PNSt15iterator_traitsIS13_E10value_typeET2_T3_PNS14_IS19_E10value_typeET4_jRbjT5_S1F_jjP12ihipStream_tbEUljE_ZNSN_ISO_Lb1ESR_SS_SU_SV_SZ_EES10_S11_S12_S13_S17_S18_S19_S1C_S1D_jS1E_jS1F_S1F_jjS1H_bEUljE0_EEES10_S11_S12_S19_S1D_S1F_T6_T7_T9_mT8_S1H_bDpT10_ENKUlT_T0_E_clISt17integral_constantIbLb0EES1U_IbLb1EEEEDaS1Q_S1R_EUlS1Q_E_NS1_11comp_targetILNS1_3genE9ELNS1_11target_archE1100ELNS1_3gpuE3ELNS1_3repE0EEENS1_30default_config_static_selectorELNS0_4arch9wavefront6targetE0EEEvS13_,@function
_ZN7rocprim17ROCPRIM_400000_NS6detail17trampoline_kernelINS0_13select_configILj256ELj13ELNS0_17block_load_methodE3ELS4_3ELS4_3ELNS0_20block_scan_algorithmE0ELj4294967295EEENS1_25partition_config_selectorILNS1_17partition_subalgoE4EjNS0_10empty_typeEbEEZZNS1_14partition_implILS8_4ELb0ES6_15HIP_vector_typeIjLj2EENS0_17counting_iteratorIjlEEPS9_SG_NS0_5tupleIJPjSI_NS0_16reverse_iteratorISI_EEEEENSH_IJSG_SG_SG_EEES9_SI_JZNS1_25segmented_radix_sort_implINS0_14default_configELb1EPK6__halfPSP_PKlPlN2at6native12_GLOBAL__N_18offset_tEEE10hipError_tPvRmT1_PNSt15iterator_traitsIS13_E10value_typeET2_T3_PNS14_IS19_E10value_typeET4_jRbjT5_S1F_jjP12ihipStream_tbEUljE_ZNSN_ISO_Lb1ESR_SS_SU_SV_SZ_EES10_S11_S12_S13_S17_S18_S19_S1C_S1D_jS1E_jS1F_S1F_jjS1H_bEUljE0_EEES10_S11_S12_S19_S1D_S1F_T6_T7_T9_mT8_S1H_bDpT10_ENKUlT_T0_E_clISt17integral_constantIbLb0EES1U_IbLb1EEEEDaS1Q_S1R_EUlS1Q_E_NS1_11comp_targetILNS1_3genE9ELNS1_11target_archE1100ELNS1_3gpuE3ELNS1_3repE0EEENS1_30default_config_static_selectorELNS0_4arch9wavefront6targetE0EEEvS13_: ; @_ZN7rocprim17ROCPRIM_400000_NS6detail17trampoline_kernelINS0_13select_configILj256ELj13ELNS0_17block_load_methodE3ELS4_3ELS4_3ELNS0_20block_scan_algorithmE0ELj4294967295EEENS1_25partition_config_selectorILNS1_17partition_subalgoE4EjNS0_10empty_typeEbEEZZNS1_14partition_implILS8_4ELb0ES6_15HIP_vector_typeIjLj2EENS0_17counting_iteratorIjlEEPS9_SG_NS0_5tupleIJPjSI_NS0_16reverse_iteratorISI_EEEEENSH_IJSG_SG_SG_EEES9_SI_JZNS1_25segmented_radix_sort_implINS0_14default_configELb1EPK6__halfPSP_PKlPlN2at6native12_GLOBAL__N_18offset_tEEE10hipError_tPvRmT1_PNSt15iterator_traitsIS13_E10value_typeET2_T3_PNS14_IS19_E10value_typeET4_jRbjT5_S1F_jjP12ihipStream_tbEUljE_ZNSN_ISO_Lb1ESR_SS_SU_SV_SZ_EES10_S11_S12_S13_S17_S18_S19_S1C_S1D_jS1E_jS1F_S1F_jjS1H_bEUljE0_EEES10_S11_S12_S19_S1D_S1F_T6_T7_T9_mT8_S1H_bDpT10_ENKUlT_T0_E_clISt17integral_constantIbLb0EES1U_IbLb1EEEEDaS1Q_S1R_EUlS1Q_E_NS1_11comp_targetILNS1_3genE9ELNS1_11target_archE1100ELNS1_3gpuE3ELNS1_3repE0EEENS1_30default_config_static_selectorELNS0_4arch9wavefront6targetE0EEEvS13_
; %bb.0:
	.section	.rodata,"a",@progbits
	.p2align	6, 0x0
	.amdhsa_kernel _ZN7rocprim17ROCPRIM_400000_NS6detail17trampoline_kernelINS0_13select_configILj256ELj13ELNS0_17block_load_methodE3ELS4_3ELS4_3ELNS0_20block_scan_algorithmE0ELj4294967295EEENS1_25partition_config_selectorILNS1_17partition_subalgoE4EjNS0_10empty_typeEbEEZZNS1_14partition_implILS8_4ELb0ES6_15HIP_vector_typeIjLj2EENS0_17counting_iteratorIjlEEPS9_SG_NS0_5tupleIJPjSI_NS0_16reverse_iteratorISI_EEEEENSH_IJSG_SG_SG_EEES9_SI_JZNS1_25segmented_radix_sort_implINS0_14default_configELb1EPK6__halfPSP_PKlPlN2at6native12_GLOBAL__N_18offset_tEEE10hipError_tPvRmT1_PNSt15iterator_traitsIS13_E10value_typeET2_T3_PNS14_IS19_E10value_typeET4_jRbjT5_S1F_jjP12ihipStream_tbEUljE_ZNSN_ISO_Lb1ESR_SS_SU_SV_SZ_EES10_S11_S12_S13_S17_S18_S19_S1C_S1D_jS1E_jS1F_S1F_jjS1H_bEUljE0_EEES10_S11_S12_S19_S1D_S1F_T6_T7_T9_mT8_S1H_bDpT10_ENKUlT_T0_E_clISt17integral_constantIbLb0EES1U_IbLb1EEEEDaS1Q_S1R_EUlS1Q_E_NS1_11comp_targetILNS1_3genE9ELNS1_11target_archE1100ELNS1_3gpuE3ELNS1_3repE0EEENS1_30default_config_static_selectorELNS0_4arch9wavefront6targetE0EEEvS13_
		.amdhsa_group_segment_fixed_size 0
		.amdhsa_private_segment_fixed_size 0
		.amdhsa_kernarg_size 184
		.amdhsa_user_sgpr_count 6
		.amdhsa_user_sgpr_private_segment_buffer 1
		.amdhsa_user_sgpr_dispatch_ptr 0
		.amdhsa_user_sgpr_queue_ptr 0
		.amdhsa_user_sgpr_kernarg_segment_ptr 1
		.amdhsa_user_sgpr_dispatch_id 0
		.amdhsa_user_sgpr_flat_scratch_init 0
		.amdhsa_user_sgpr_private_segment_size 0
		.amdhsa_wavefront_size32 1
		.amdhsa_uses_dynamic_stack 0
		.amdhsa_system_sgpr_private_segment_wavefront_offset 0
		.amdhsa_system_sgpr_workgroup_id_x 1
		.amdhsa_system_sgpr_workgroup_id_y 0
		.amdhsa_system_sgpr_workgroup_id_z 0
		.amdhsa_system_sgpr_workgroup_info 0
		.amdhsa_system_vgpr_workitem_id 0
		.amdhsa_next_free_vgpr 1
		.amdhsa_next_free_sgpr 1
		.amdhsa_reserve_vcc 0
		.amdhsa_reserve_flat_scratch 0
		.amdhsa_float_round_mode_32 0
		.amdhsa_float_round_mode_16_64 0
		.amdhsa_float_denorm_mode_32 3
		.amdhsa_float_denorm_mode_16_64 3
		.amdhsa_dx10_clamp 1
		.amdhsa_ieee_mode 1
		.amdhsa_fp16_overflow 0
		.amdhsa_workgroup_processor_mode 1
		.amdhsa_memory_ordered 1
		.amdhsa_forward_progress 1
		.amdhsa_shared_vgpr_count 0
		.amdhsa_exception_fp_ieee_invalid_op 0
		.amdhsa_exception_fp_denorm_src 0
		.amdhsa_exception_fp_ieee_div_zero 0
		.amdhsa_exception_fp_ieee_overflow 0
		.amdhsa_exception_fp_ieee_underflow 0
		.amdhsa_exception_fp_ieee_inexact 0
		.amdhsa_exception_int_div_zero 0
	.end_amdhsa_kernel
	.section	.text._ZN7rocprim17ROCPRIM_400000_NS6detail17trampoline_kernelINS0_13select_configILj256ELj13ELNS0_17block_load_methodE3ELS4_3ELS4_3ELNS0_20block_scan_algorithmE0ELj4294967295EEENS1_25partition_config_selectorILNS1_17partition_subalgoE4EjNS0_10empty_typeEbEEZZNS1_14partition_implILS8_4ELb0ES6_15HIP_vector_typeIjLj2EENS0_17counting_iteratorIjlEEPS9_SG_NS0_5tupleIJPjSI_NS0_16reverse_iteratorISI_EEEEENSH_IJSG_SG_SG_EEES9_SI_JZNS1_25segmented_radix_sort_implINS0_14default_configELb1EPK6__halfPSP_PKlPlN2at6native12_GLOBAL__N_18offset_tEEE10hipError_tPvRmT1_PNSt15iterator_traitsIS13_E10value_typeET2_T3_PNS14_IS19_E10value_typeET4_jRbjT5_S1F_jjP12ihipStream_tbEUljE_ZNSN_ISO_Lb1ESR_SS_SU_SV_SZ_EES10_S11_S12_S13_S17_S18_S19_S1C_S1D_jS1E_jS1F_S1F_jjS1H_bEUljE0_EEES10_S11_S12_S19_S1D_S1F_T6_T7_T9_mT8_S1H_bDpT10_ENKUlT_T0_E_clISt17integral_constantIbLb0EES1U_IbLb1EEEEDaS1Q_S1R_EUlS1Q_E_NS1_11comp_targetILNS1_3genE9ELNS1_11target_archE1100ELNS1_3gpuE3ELNS1_3repE0EEENS1_30default_config_static_selectorELNS0_4arch9wavefront6targetE0EEEvS13_,"axG",@progbits,_ZN7rocprim17ROCPRIM_400000_NS6detail17trampoline_kernelINS0_13select_configILj256ELj13ELNS0_17block_load_methodE3ELS4_3ELS4_3ELNS0_20block_scan_algorithmE0ELj4294967295EEENS1_25partition_config_selectorILNS1_17partition_subalgoE4EjNS0_10empty_typeEbEEZZNS1_14partition_implILS8_4ELb0ES6_15HIP_vector_typeIjLj2EENS0_17counting_iteratorIjlEEPS9_SG_NS0_5tupleIJPjSI_NS0_16reverse_iteratorISI_EEEEENSH_IJSG_SG_SG_EEES9_SI_JZNS1_25segmented_radix_sort_implINS0_14default_configELb1EPK6__halfPSP_PKlPlN2at6native12_GLOBAL__N_18offset_tEEE10hipError_tPvRmT1_PNSt15iterator_traitsIS13_E10value_typeET2_T3_PNS14_IS19_E10value_typeET4_jRbjT5_S1F_jjP12ihipStream_tbEUljE_ZNSN_ISO_Lb1ESR_SS_SU_SV_SZ_EES10_S11_S12_S13_S17_S18_S19_S1C_S1D_jS1E_jS1F_S1F_jjS1H_bEUljE0_EEES10_S11_S12_S19_S1D_S1F_T6_T7_T9_mT8_S1H_bDpT10_ENKUlT_T0_E_clISt17integral_constantIbLb0EES1U_IbLb1EEEEDaS1Q_S1R_EUlS1Q_E_NS1_11comp_targetILNS1_3genE9ELNS1_11target_archE1100ELNS1_3gpuE3ELNS1_3repE0EEENS1_30default_config_static_selectorELNS0_4arch9wavefront6targetE0EEEvS13_,comdat
.Lfunc_end1695:
	.size	_ZN7rocprim17ROCPRIM_400000_NS6detail17trampoline_kernelINS0_13select_configILj256ELj13ELNS0_17block_load_methodE3ELS4_3ELS4_3ELNS0_20block_scan_algorithmE0ELj4294967295EEENS1_25partition_config_selectorILNS1_17partition_subalgoE4EjNS0_10empty_typeEbEEZZNS1_14partition_implILS8_4ELb0ES6_15HIP_vector_typeIjLj2EENS0_17counting_iteratorIjlEEPS9_SG_NS0_5tupleIJPjSI_NS0_16reverse_iteratorISI_EEEEENSH_IJSG_SG_SG_EEES9_SI_JZNS1_25segmented_radix_sort_implINS0_14default_configELb1EPK6__halfPSP_PKlPlN2at6native12_GLOBAL__N_18offset_tEEE10hipError_tPvRmT1_PNSt15iterator_traitsIS13_E10value_typeET2_T3_PNS14_IS19_E10value_typeET4_jRbjT5_S1F_jjP12ihipStream_tbEUljE_ZNSN_ISO_Lb1ESR_SS_SU_SV_SZ_EES10_S11_S12_S13_S17_S18_S19_S1C_S1D_jS1E_jS1F_S1F_jjS1H_bEUljE0_EEES10_S11_S12_S19_S1D_S1F_T6_T7_T9_mT8_S1H_bDpT10_ENKUlT_T0_E_clISt17integral_constantIbLb0EES1U_IbLb1EEEEDaS1Q_S1R_EUlS1Q_E_NS1_11comp_targetILNS1_3genE9ELNS1_11target_archE1100ELNS1_3gpuE3ELNS1_3repE0EEENS1_30default_config_static_selectorELNS0_4arch9wavefront6targetE0EEEvS13_, .Lfunc_end1695-_ZN7rocprim17ROCPRIM_400000_NS6detail17trampoline_kernelINS0_13select_configILj256ELj13ELNS0_17block_load_methodE3ELS4_3ELS4_3ELNS0_20block_scan_algorithmE0ELj4294967295EEENS1_25partition_config_selectorILNS1_17partition_subalgoE4EjNS0_10empty_typeEbEEZZNS1_14partition_implILS8_4ELb0ES6_15HIP_vector_typeIjLj2EENS0_17counting_iteratorIjlEEPS9_SG_NS0_5tupleIJPjSI_NS0_16reverse_iteratorISI_EEEEENSH_IJSG_SG_SG_EEES9_SI_JZNS1_25segmented_radix_sort_implINS0_14default_configELb1EPK6__halfPSP_PKlPlN2at6native12_GLOBAL__N_18offset_tEEE10hipError_tPvRmT1_PNSt15iterator_traitsIS13_E10value_typeET2_T3_PNS14_IS19_E10value_typeET4_jRbjT5_S1F_jjP12ihipStream_tbEUljE_ZNSN_ISO_Lb1ESR_SS_SU_SV_SZ_EES10_S11_S12_S13_S17_S18_S19_S1C_S1D_jS1E_jS1F_S1F_jjS1H_bEUljE0_EEES10_S11_S12_S19_S1D_S1F_T6_T7_T9_mT8_S1H_bDpT10_ENKUlT_T0_E_clISt17integral_constantIbLb0EES1U_IbLb1EEEEDaS1Q_S1R_EUlS1Q_E_NS1_11comp_targetILNS1_3genE9ELNS1_11target_archE1100ELNS1_3gpuE3ELNS1_3repE0EEENS1_30default_config_static_selectorELNS0_4arch9wavefront6targetE0EEEvS13_
                                        ; -- End function
	.set _ZN7rocprim17ROCPRIM_400000_NS6detail17trampoline_kernelINS0_13select_configILj256ELj13ELNS0_17block_load_methodE3ELS4_3ELS4_3ELNS0_20block_scan_algorithmE0ELj4294967295EEENS1_25partition_config_selectorILNS1_17partition_subalgoE4EjNS0_10empty_typeEbEEZZNS1_14partition_implILS8_4ELb0ES6_15HIP_vector_typeIjLj2EENS0_17counting_iteratorIjlEEPS9_SG_NS0_5tupleIJPjSI_NS0_16reverse_iteratorISI_EEEEENSH_IJSG_SG_SG_EEES9_SI_JZNS1_25segmented_radix_sort_implINS0_14default_configELb1EPK6__halfPSP_PKlPlN2at6native12_GLOBAL__N_18offset_tEEE10hipError_tPvRmT1_PNSt15iterator_traitsIS13_E10value_typeET2_T3_PNS14_IS19_E10value_typeET4_jRbjT5_S1F_jjP12ihipStream_tbEUljE_ZNSN_ISO_Lb1ESR_SS_SU_SV_SZ_EES10_S11_S12_S13_S17_S18_S19_S1C_S1D_jS1E_jS1F_S1F_jjS1H_bEUljE0_EEES10_S11_S12_S19_S1D_S1F_T6_T7_T9_mT8_S1H_bDpT10_ENKUlT_T0_E_clISt17integral_constantIbLb0EES1U_IbLb1EEEEDaS1Q_S1R_EUlS1Q_E_NS1_11comp_targetILNS1_3genE9ELNS1_11target_archE1100ELNS1_3gpuE3ELNS1_3repE0EEENS1_30default_config_static_selectorELNS0_4arch9wavefront6targetE0EEEvS13_.num_vgpr, 0
	.set _ZN7rocprim17ROCPRIM_400000_NS6detail17trampoline_kernelINS0_13select_configILj256ELj13ELNS0_17block_load_methodE3ELS4_3ELS4_3ELNS0_20block_scan_algorithmE0ELj4294967295EEENS1_25partition_config_selectorILNS1_17partition_subalgoE4EjNS0_10empty_typeEbEEZZNS1_14partition_implILS8_4ELb0ES6_15HIP_vector_typeIjLj2EENS0_17counting_iteratorIjlEEPS9_SG_NS0_5tupleIJPjSI_NS0_16reverse_iteratorISI_EEEEENSH_IJSG_SG_SG_EEES9_SI_JZNS1_25segmented_radix_sort_implINS0_14default_configELb1EPK6__halfPSP_PKlPlN2at6native12_GLOBAL__N_18offset_tEEE10hipError_tPvRmT1_PNSt15iterator_traitsIS13_E10value_typeET2_T3_PNS14_IS19_E10value_typeET4_jRbjT5_S1F_jjP12ihipStream_tbEUljE_ZNSN_ISO_Lb1ESR_SS_SU_SV_SZ_EES10_S11_S12_S13_S17_S18_S19_S1C_S1D_jS1E_jS1F_S1F_jjS1H_bEUljE0_EEES10_S11_S12_S19_S1D_S1F_T6_T7_T9_mT8_S1H_bDpT10_ENKUlT_T0_E_clISt17integral_constantIbLb0EES1U_IbLb1EEEEDaS1Q_S1R_EUlS1Q_E_NS1_11comp_targetILNS1_3genE9ELNS1_11target_archE1100ELNS1_3gpuE3ELNS1_3repE0EEENS1_30default_config_static_selectorELNS0_4arch9wavefront6targetE0EEEvS13_.num_agpr, 0
	.set _ZN7rocprim17ROCPRIM_400000_NS6detail17trampoline_kernelINS0_13select_configILj256ELj13ELNS0_17block_load_methodE3ELS4_3ELS4_3ELNS0_20block_scan_algorithmE0ELj4294967295EEENS1_25partition_config_selectorILNS1_17partition_subalgoE4EjNS0_10empty_typeEbEEZZNS1_14partition_implILS8_4ELb0ES6_15HIP_vector_typeIjLj2EENS0_17counting_iteratorIjlEEPS9_SG_NS0_5tupleIJPjSI_NS0_16reverse_iteratorISI_EEEEENSH_IJSG_SG_SG_EEES9_SI_JZNS1_25segmented_radix_sort_implINS0_14default_configELb1EPK6__halfPSP_PKlPlN2at6native12_GLOBAL__N_18offset_tEEE10hipError_tPvRmT1_PNSt15iterator_traitsIS13_E10value_typeET2_T3_PNS14_IS19_E10value_typeET4_jRbjT5_S1F_jjP12ihipStream_tbEUljE_ZNSN_ISO_Lb1ESR_SS_SU_SV_SZ_EES10_S11_S12_S13_S17_S18_S19_S1C_S1D_jS1E_jS1F_S1F_jjS1H_bEUljE0_EEES10_S11_S12_S19_S1D_S1F_T6_T7_T9_mT8_S1H_bDpT10_ENKUlT_T0_E_clISt17integral_constantIbLb0EES1U_IbLb1EEEEDaS1Q_S1R_EUlS1Q_E_NS1_11comp_targetILNS1_3genE9ELNS1_11target_archE1100ELNS1_3gpuE3ELNS1_3repE0EEENS1_30default_config_static_selectorELNS0_4arch9wavefront6targetE0EEEvS13_.numbered_sgpr, 0
	.set _ZN7rocprim17ROCPRIM_400000_NS6detail17trampoline_kernelINS0_13select_configILj256ELj13ELNS0_17block_load_methodE3ELS4_3ELS4_3ELNS0_20block_scan_algorithmE0ELj4294967295EEENS1_25partition_config_selectorILNS1_17partition_subalgoE4EjNS0_10empty_typeEbEEZZNS1_14partition_implILS8_4ELb0ES6_15HIP_vector_typeIjLj2EENS0_17counting_iteratorIjlEEPS9_SG_NS0_5tupleIJPjSI_NS0_16reverse_iteratorISI_EEEEENSH_IJSG_SG_SG_EEES9_SI_JZNS1_25segmented_radix_sort_implINS0_14default_configELb1EPK6__halfPSP_PKlPlN2at6native12_GLOBAL__N_18offset_tEEE10hipError_tPvRmT1_PNSt15iterator_traitsIS13_E10value_typeET2_T3_PNS14_IS19_E10value_typeET4_jRbjT5_S1F_jjP12ihipStream_tbEUljE_ZNSN_ISO_Lb1ESR_SS_SU_SV_SZ_EES10_S11_S12_S13_S17_S18_S19_S1C_S1D_jS1E_jS1F_S1F_jjS1H_bEUljE0_EEES10_S11_S12_S19_S1D_S1F_T6_T7_T9_mT8_S1H_bDpT10_ENKUlT_T0_E_clISt17integral_constantIbLb0EES1U_IbLb1EEEEDaS1Q_S1R_EUlS1Q_E_NS1_11comp_targetILNS1_3genE9ELNS1_11target_archE1100ELNS1_3gpuE3ELNS1_3repE0EEENS1_30default_config_static_selectorELNS0_4arch9wavefront6targetE0EEEvS13_.num_named_barrier, 0
	.set _ZN7rocprim17ROCPRIM_400000_NS6detail17trampoline_kernelINS0_13select_configILj256ELj13ELNS0_17block_load_methodE3ELS4_3ELS4_3ELNS0_20block_scan_algorithmE0ELj4294967295EEENS1_25partition_config_selectorILNS1_17partition_subalgoE4EjNS0_10empty_typeEbEEZZNS1_14partition_implILS8_4ELb0ES6_15HIP_vector_typeIjLj2EENS0_17counting_iteratorIjlEEPS9_SG_NS0_5tupleIJPjSI_NS0_16reverse_iteratorISI_EEEEENSH_IJSG_SG_SG_EEES9_SI_JZNS1_25segmented_radix_sort_implINS0_14default_configELb1EPK6__halfPSP_PKlPlN2at6native12_GLOBAL__N_18offset_tEEE10hipError_tPvRmT1_PNSt15iterator_traitsIS13_E10value_typeET2_T3_PNS14_IS19_E10value_typeET4_jRbjT5_S1F_jjP12ihipStream_tbEUljE_ZNSN_ISO_Lb1ESR_SS_SU_SV_SZ_EES10_S11_S12_S13_S17_S18_S19_S1C_S1D_jS1E_jS1F_S1F_jjS1H_bEUljE0_EEES10_S11_S12_S19_S1D_S1F_T6_T7_T9_mT8_S1H_bDpT10_ENKUlT_T0_E_clISt17integral_constantIbLb0EES1U_IbLb1EEEEDaS1Q_S1R_EUlS1Q_E_NS1_11comp_targetILNS1_3genE9ELNS1_11target_archE1100ELNS1_3gpuE3ELNS1_3repE0EEENS1_30default_config_static_selectorELNS0_4arch9wavefront6targetE0EEEvS13_.private_seg_size, 0
	.set _ZN7rocprim17ROCPRIM_400000_NS6detail17trampoline_kernelINS0_13select_configILj256ELj13ELNS0_17block_load_methodE3ELS4_3ELS4_3ELNS0_20block_scan_algorithmE0ELj4294967295EEENS1_25partition_config_selectorILNS1_17partition_subalgoE4EjNS0_10empty_typeEbEEZZNS1_14partition_implILS8_4ELb0ES6_15HIP_vector_typeIjLj2EENS0_17counting_iteratorIjlEEPS9_SG_NS0_5tupleIJPjSI_NS0_16reverse_iteratorISI_EEEEENSH_IJSG_SG_SG_EEES9_SI_JZNS1_25segmented_radix_sort_implINS0_14default_configELb1EPK6__halfPSP_PKlPlN2at6native12_GLOBAL__N_18offset_tEEE10hipError_tPvRmT1_PNSt15iterator_traitsIS13_E10value_typeET2_T3_PNS14_IS19_E10value_typeET4_jRbjT5_S1F_jjP12ihipStream_tbEUljE_ZNSN_ISO_Lb1ESR_SS_SU_SV_SZ_EES10_S11_S12_S13_S17_S18_S19_S1C_S1D_jS1E_jS1F_S1F_jjS1H_bEUljE0_EEES10_S11_S12_S19_S1D_S1F_T6_T7_T9_mT8_S1H_bDpT10_ENKUlT_T0_E_clISt17integral_constantIbLb0EES1U_IbLb1EEEEDaS1Q_S1R_EUlS1Q_E_NS1_11comp_targetILNS1_3genE9ELNS1_11target_archE1100ELNS1_3gpuE3ELNS1_3repE0EEENS1_30default_config_static_selectorELNS0_4arch9wavefront6targetE0EEEvS13_.uses_vcc, 0
	.set _ZN7rocprim17ROCPRIM_400000_NS6detail17trampoline_kernelINS0_13select_configILj256ELj13ELNS0_17block_load_methodE3ELS4_3ELS4_3ELNS0_20block_scan_algorithmE0ELj4294967295EEENS1_25partition_config_selectorILNS1_17partition_subalgoE4EjNS0_10empty_typeEbEEZZNS1_14partition_implILS8_4ELb0ES6_15HIP_vector_typeIjLj2EENS0_17counting_iteratorIjlEEPS9_SG_NS0_5tupleIJPjSI_NS0_16reverse_iteratorISI_EEEEENSH_IJSG_SG_SG_EEES9_SI_JZNS1_25segmented_radix_sort_implINS0_14default_configELb1EPK6__halfPSP_PKlPlN2at6native12_GLOBAL__N_18offset_tEEE10hipError_tPvRmT1_PNSt15iterator_traitsIS13_E10value_typeET2_T3_PNS14_IS19_E10value_typeET4_jRbjT5_S1F_jjP12ihipStream_tbEUljE_ZNSN_ISO_Lb1ESR_SS_SU_SV_SZ_EES10_S11_S12_S13_S17_S18_S19_S1C_S1D_jS1E_jS1F_S1F_jjS1H_bEUljE0_EEES10_S11_S12_S19_S1D_S1F_T6_T7_T9_mT8_S1H_bDpT10_ENKUlT_T0_E_clISt17integral_constantIbLb0EES1U_IbLb1EEEEDaS1Q_S1R_EUlS1Q_E_NS1_11comp_targetILNS1_3genE9ELNS1_11target_archE1100ELNS1_3gpuE3ELNS1_3repE0EEENS1_30default_config_static_selectorELNS0_4arch9wavefront6targetE0EEEvS13_.uses_flat_scratch, 0
	.set _ZN7rocprim17ROCPRIM_400000_NS6detail17trampoline_kernelINS0_13select_configILj256ELj13ELNS0_17block_load_methodE3ELS4_3ELS4_3ELNS0_20block_scan_algorithmE0ELj4294967295EEENS1_25partition_config_selectorILNS1_17partition_subalgoE4EjNS0_10empty_typeEbEEZZNS1_14partition_implILS8_4ELb0ES6_15HIP_vector_typeIjLj2EENS0_17counting_iteratorIjlEEPS9_SG_NS0_5tupleIJPjSI_NS0_16reverse_iteratorISI_EEEEENSH_IJSG_SG_SG_EEES9_SI_JZNS1_25segmented_radix_sort_implINS0_14default_configELb1EPK6__halfPSP_PKlPlN2at6native12_GLOBAL__N_18offset_tEEE10hipError_tPvRmT1_PNSt15iterator_traitsIS13_E10value_typeET2_T3_PNS14_IS19_E10value_typeET4_jRbjT5_S1F_jjP12ihipStream_tbEUljE_ZNSN_ISO_Lb1ESR_SS_SU_SV_SZ_EES10_S11_S12_S13_S17_S18_S19_S1C_S1D_jS1E_jS1F_S1F_jjS1H_bEUljE0_EEES10_S11_S12_S19_S1D_S1F_T6_T7_T9_mT8_S1H_bDpT10_ENKUlT_T0_E_clISt17integral_constantIbLb0EES1U_IbLb1EEEEDaS1Q_S1R_EUlS1Q_E_NS1_11comp_targetILNS1_3genE9ELNS1_11target_archE1100ELNS1_3gpuE3ELNS1_3repE0EEENS1_30default_config_static_selectorELNS0_4arch9wavefront6targetE0EEEvS13_.has_dyn_sized_stack, 0
	.set _ZN7rocprim17ROCPRIM_400000_NS6detail17trampoline_kernelINS0_13select_configILj256ELj13ELNS0_17block_load_methodE3ELS4_3ELS4_3ELNS0_20block_scan_algorithmE0ELj4294967295EEENS1_25partition_config_selectorILNS1_17partition_subalgoE4EjNS0_10empty_typeEbEEZZNS1_14partition_implILS8_4ELb0ES6_15HIP_vector_typeIjLj2EENS0_17counting_iteratorIjlEEPS9_SG_NS0_5tupleIJPjSI_NS0_16reverse_iteratorISI_EEEEENSH_IJSG_SG_SG_EEES9_SI_JZNS1_25segmented_radix_sort_implINS0_14default_configELb1EPK6__halfPSP_PKlPlN2at6native12_GLOBAL__N_18offset_tEEE10hipError_tPvRmT1_PNSt15iterator_traitsIS13_E10value_typeET2_T3_PNS14_IS19_E10value_typeET4_jRbjT5_S1F_jjP12ihipStream_tbEUljE_ZNSN_ISO_Lb1ESR_SS_SU_SV_SZ_EES10_S11_S12_S13_S17_S18_S19_S1C_S1D_jS1E_jS1F_S1F_jjS1H_bEUljE0_EEES10_S11_S12_S19_S1D_S1F_T6_T7_T9_mT8_S1H_bDpT10_ENKUlT_T0_E_clISt17integral_constantIbLb0EES1U_IbLb1EEEEDaS1Q_S1R_EUlS1Q_E_NS1_11comp_targetILNS1_3genE9ELNS1_11target_archE1100ELNS1_3gpuE3ELNS1_3repE0EEENS1_30default_config_static_selectorELNS0_4arch9wavefront6targetE0EEEvS13_.has_recursion, 0
	.set _ZN7rocprim17ROCPRIM_400000_NS6detail17trampoline_kernelINS0_13select_configILj256ELj13ELNS0_17block_load_methodE3ELS4_3ELS4_3ELNS0_20block_scan_algorithmE0ELj4294967295EEENS1_25partition_config_selectorILNS1_17partition_subalgoE4EjNS0_10empty_typeEbEEZZNS1_14partition_implILS8_4ELb0ES6_15HIP_vector_typeIjLj2EENS0_17counting_iteratorIjlEEPS9_SG_NS0_5tupleIJPjSI_NS0_16reverse_iteratorISI_EEEEENSH_IJSG_SG_SG_EEES9_SI_JZNS1_25segmented_radix_sort_implINS0_14default_configELb1EPK6__halfPSP_PKlPlN2at6native12_GLOBAL__N_18offset_tEEE10hipError_tPvRmT1_PNSt15iterator_traitsIS13_E10value_typeET2_T3_PNS14_IS19_E10value_typeET4_jRbjT5_S1F_jjP12ihipStream_tbEUljE_ZNSN_ISO_Lb1ESR_SS_SU_SV_SZ_EES10_S11_S12_S13_S17_S18_S19_S1C_S1D_jS1E_jS1F_S1F_jjS1H_bEUljE0_EEES10_S11_S12_S19_S1D_S1F_T6_T7_T9_mT8_S1H_bDpT10_ENKUlT_T0_E_clISt17integral_constantIbLb0EES1U_IbLb1EEEEDaS1Q_S1R_EUlS1Q_E_NS1_11comp_targetILNS1_3genE9ELNS1_11target_archE1100ELNS1_3gpuE3ELNS1_3repE0EEENS1_30default_config_static_selectorELNS0_4arch9wavefront6targetE0EEEvS13_.has_indirect_call, 0
	.section	.AMDGPU.csdata,"",@progbits
; Kernel info:
; codeLenInByte = 0
; TotalNumSgprs: 0
; NumVgprs: 0
; ScratchSize: 0
; MemoryBound: 0
; FloatMode: 240
; IeeeMode: 1
; LDSByteSize: 0 bytes/workgroup (compile time only)
; SGPRBlocks: 0
; VGPRBlocks: 0
; NumSGPRsForWavesPerEU: 1
; NumVGPRsForWavesPerEU: 1
; Occupancy: 16
; WaveLimiterHint : 0
; COMPUTE_PGM_RSRC2:SCRATCH_EN: 0
; COMPUTE_PGM_RSRC2:USER_SGPR: 6
; COMPUTE_PGM_RSRC2:TRAP_HANDLER: 0
; COMPUTE_PGM_RSRC2:TGID_X_EN: 1
; COMPUTE_PGM_RSRC2:TGID_Y_EN: 0
; COMPUTE_PGM_RSRC2:TGID_Z_EN: 0
; COMPUTE_PGM_RSRC2:TIDIG_COMP_CNT: 0
	.section	.text._ZN7rocprim17ROCPRIM_400000_NS6detail17trampoline_kernelINS0_13select_configILj256ELj13ELNS0_17block_load_methodE3ELS4_3ELS4_3ELNS0_20block_scan_algorithmE0ELj4294967295EEENS1_25partition_config_selectorILNS1_17partition_subalgoE4EjNS0_10empty_typeEbEEZZNS1_14partition_implILS8_4ELb0ES6_15HIP_vector_typeIjLj2EENS0_17counting_iteratorIjlEEPS9_SG_NS0_5tupleIJPjSI_NS0_16reverse_iteratorISI_EEEEENSH_IJSG_SG_SG_EEES9_SI_JZNS1_25segmented_radix_sort_implINS0_14default_configELb1EPK6__halfPSP_PKlPlN2at6native12_GLOBAL__N_18offset_tEEE10hipError_tPvRmT1_PNSt15iterator_traitsIS13_E10value_typeET2_T3_PNS14_IS19_E10value_typeET4_jRbjT5_S1F_jjP12ihipStream_tbEUljE_ZNSN_ISO_Lb1ESR_SS_SU_SV_SZ_EES10_S11_S12_S13_S17_S18_S19_S1C_S1D_jS1E_jS1F_S1F_jjS1H_bEUljE0_EEES10_S11_S12_S19_S1D_S1F_T6_T7_T9_mT8_S1H_bDpT10_ENKUlT_T0_E_clISt17integral_constantIbLb0EES1U_IbLb1EEEEDaS1Q_S1R_EUlS1Q_E_NS1_11comp_targetILNS1_3genE8ELNS1_11target_archE1030ELNS1_3gpuE2ELNS1_3repE0EEENS1_30default_config_static_selectorELNS0_4arch9wavefront6targetE0EEEvS13_,"axG",@progbits,_ZN7rocprim17ROCPRIM_400000_NS6detail17trampoline_kernelINS0_13select_configILj256ELj13ELNS0_17block_load_methodE3ELS4_3ELS4_3ELNS0_20block_scan_algorithmE0ELj4294967295EEENS1_25partition_config_selectorILNS1_17partition_subalgoE4EjNS0_10empty_typeEbEEZZNS1_14partition_implILS8_4ELb0ES6_15HIP_vector_typeIjLj2EENS0_17counting_iteratorIjlEEPS9_SG_NS0_5tupleIJPjSI_NS0_16reverse_iteratorISI_EEEEENSH_IJSG_SG_SG_EEES9_SI_JZNS1_25segmented_radix_sort_implINS0_14default_configELb1EPK6__halfPSP_PKlPlN2at6native12_GLOBAL__N_18offset_tEEE10hipError_tPvRmT1_PNSt15iterator_traitsIS13_E10value_typeET2_T3_PNS14_IS19_E10value_typeET4_jRbjT5_S1F_jjP12ihipStream_tbEUljE_ZNSN_ISO_Lb1ESR_SS_SU_SV_SZ_EES10_S11_S12_S13_S17_S18_S19_S1C_S1D_jS1E_jS1F_S1F_jjS1H_bEUljE0_EEES10_S11_S12_S19_S1D_S1F_T6_T7_T9_mT8_S1H_bDpT10_ENKUlT_T0_E_clISt17integral_constantIbLb0EES1U_IbLb1EEEEDaS1Q_S1R_EUlS1Q_E_NS1_11comp_targetILNS1_3genE8ELNS1_11target_archE1030ELNS1_3gpuE2ELNS1_3repE0EEENS1_30default_config_static_selectorELNS0_4arch9wavefront6targetE0EEEvS13_,comdat
	.globl	_ZN7rocprim17ROCPRIM_400000_NS6detail17trampoline_kernelINS0_13select_configILj256ELj13ELNS0_17block_load_methodE3ELS4_3ELS4_3ELNS0_20block_scan_algorithmE0ELj4294967295EEENS1_25partition_config_selectorILNS1_17partition_subalgoE4EjNS0_10empty_typeEbEEZZNS1_14partition_implILS8_4ELb0ES6_15HIP_vector_typeIjLj2EENS0_17counting_iteratorIjlEEPS9_SG_NS0_5tupleIJPjSI_NS0_16reverse_iteratorISI_EEEEENSH_IJSG_SG_SG_EEES9_SI_JZNS1_25segmented_radix_sort_implINS0_14default_configELb1EPK6__halfPSP_PKlPlN2at6native12_GLOBAL__N_18offset_tEEE10hipError_tPvRmT1_PNSt15iterator_traitsIS13_E10value_typeET2_T3_PNS14_IS19_E10value_typeET4_jRbjT5_S1F_jjP12ihipStream_tbEUljE_ZNSN_ISO_Lb1ESR_SS_SU_SV_SZ_EES10_S11_S12_S13_S17_S18_S19_S1C_S1D_jS1E_jS1F_S1F_jjS1H_bEUljE0_EEES10_S11_S12_S19_S1D_S1F_T6_T7_T9_mT8_S1H_bDpT10_ENKUlT_T0_E_clISt17integral_constantIbLb0EES1U_IbLb1EEEEDaS1Q_S1R_EUlS1Q_E_NS1_11comp_targetILNS1_3genE8ELNS1_11target_archE1030ELNS1_3gpuE2ELNS1_3repE0EEENS1_30default_config_static_selectorELNS0_4arch9wavefront6targetE0EEEvS13_ ; -- Begin function _ZN7rocprim17ROCPRIM_400000_NS6detail17trampoline_kernelINS0_13select_configILj256ELj13ELNS0_17block_load_methodE3ELS4_3ELS4_3ELNS0_20block_scan_algorithmE0ELj4294967295EEENS1_25partition_config_selectorILNS1_17partition_subalgoE4EjNS0_10empty_typeEbEEZZNS1_14partition_implILS8_4ELb0ES6_15HIP_vector_typeIjLj2EENS0_17counting_iteratorIjlEEPS9_SG_NS0_5tupleIJPjSI_NS0_16reverse_iteratorISI_EEEEENSH_IJSG_SG_SG_EEES9_SI_JZNS1_25segmented_radix_sort_implINS0_14default_configELb1EPK6__halfPSP_PKlPlN2at6native12_GLOBAL__N_18offset_tEEE10hipError_tPvRmT1_PNSt15iterator_traitsIS13_E10value_typeET2_T3_PNS14_IS19_E10value_typeET4_jRbjT5_S1F_jjP12ihipStream_tbEUljE_ZNSN_ISO_Lb1ESR_SS_SU_SV_SZ_EES10_S11_S12_S13_S17_S18_S19_S1C_S1D_jS1E_jS1F_S1F_jjS1H_bEUljE0_EEES10_S11_S12_S19_S1D_S1F_T6_T7_T9_mT8_S1H_bDpT10_ENKUlT_T0_E_clISt17integral_constantIbLb0EES1U_IbLb1EEEEDaS1Q_S1R_EUlS1Q_E_NS1_11comp_targetILNS1_3genE8ELNS1_11target_archE1030ELNS1_3gpuE2ELNS1_3repE0EEENS1_30default_config_static_selectorELNS0_4arch9wavefront6targetE0EEEvS13_
	.p2align	8
	.type	_ZN7rocprim17ROCPRIM_400000_NS6detail17trampoline_kernelINS0_13select_configILj256ELj13ELNS0_17block_load_methodE3ELS4_3ELS4_3ELNS0_20block_scan_algorithmE0ELj4294967295EEENS1_25partition_config_selectorILNS1_17partition_subalgoE4EjNS0_10empty_typeEbEEZZNS1_14partition_implILS8_4ELb0ES6_15HIP_vector_typeIjLj2EENS0_17counting_iteratorIjlEEPS9_SG_NS0_5tupleIJPjSI_NS0_16reverse_iteratorISI_EEEEENSH_IJSG_SG_SG_EEES9_SI_JZNS1_25segmented_radix_sort_implINS0_14default_configELb1EPK6__halfPSP_PKlPlN2at6native12_GLOBAL__N_18offset_tEEE10hipError_tPvRmT1_PNSt15iterator_traitsIS13_E10value_typeET2_T3_PNS14_IS19_E10value_typeET4_jRbjT5_S1F_jjP12ihipStream_tbEUljE_ZNSN_ISO_Lb1ESR_SS_SU_SV_SZ_EES10_S11_S12_S13_S17_S18_S19_S1C_S1D_jS1E_jS1F_S1F_jjS1H_bEUljE0_EEES10_S11_S12_S19_S1D_S1F_T6_T7_T9_mT8_S1H_bDpT10_ENKUlT_T0_E_clISt17integral_constantIbLb0EES1U_IbLb1EEEEDaS1Q_S1R_EUlS1Q_E_NS1_11comp_targetILNS1_3genE8ELNS1_11target_archE1030ELNS1_3gpuE2ELNS1_3repE0EEENS1_30default_config_static_selectorELNS0_4arch9wavefront6targetE0EEEvS13_,@function
_ZN7rocprim17ROCPRIM_400000_NS6detail17trampoline_kernelINS0_13select_configILj256ELj13ELNS0_17block_load_methodE3ELS4_3ELS4_3ELNS0_20block_scan_algorithmE0ELj4294967295EEENS1_25partition_config_selectorILNS1_17partition_subalgoE4EjNS0_10empty_typeEbEEZZNS1_14partition_implILS8_4ELb0ES6_15HIP_vector_typeIjLj2EENS0_17counting_iteratorIjlEEPS9_SG_NS0_5tupleIJPjSI_NS0_16reverse_iteratorISI_EEEEENSH_IJSG_SG_SG_EEES9_SI_JZNS1_25segmented_radix_sort_implINS0_14default_configELb1EPK6__halfPSP_PKlPlN2at6native12_GLOBAL__N_18offset_tEEE10hipError_tPvRmT1_PNSt15iterator_traitsIS13_E10value_typeET2_T3_PNS14_IS19_E10value_typeET4_jRbjT5_S1F_jjP12ihipStream_tbEUljE_ZNSN_ISO_Lb1ESR_SS_SU_SV_SZ_EES10_S11_S12_S13_S17_S18_S19_S1C_S1D_jS1E_jS1F_S1F_jjS1H_bEUljE0_EEES10_S11_S12_S19_S1D_S1F_T6_T7_T9_mT8_S1H_bDpT10_ENKUlT_T0_E_clISt17integral_constantIbLb0EES1U_IbLb1EEEEDaS1Q_S1R_EUlS1Q_E_NS1_11comp_targetILNS1_3genE8ELNS1_11target_archE1030ELNS1_3gpuE2ELNS1_3repE0EEENS1_30default_config_static_selectorELNS0_4arch9wavefront6targetE0EEEvS13_: ; @_ZN7rocprim17ROCPRIM_400000_NS6detail17trampoline_kernelINS0_13select_configILj256ELj13ELNS0_17block_load_methodE3ELS4_3ELS4_3ELNS0_20block_scan_algorithmE0ELj4294967295EEENS1_25partition_config_selectorILNS1_17partition_subalgoE4EjNS0_10empty_typeEbEEZZNS1_14partition_implILS8_4ELb0ES6_15HIP_vector_typeIjLj2EENS0_17counting_iteratorIjlEEPS9_SG_NS0_5tupleIJPjSI_NS0_16reverse_iteratorISI_EEEEENSH_IJSG_SG_SG_EEES9_SI_JZNS1_25segmented_radix_sort_implINS0_14default_configELb1EPK6__halfPSP_PKlPlN2at6native12_GLOBAL__N_18offset_tEEE10hipError_tPvRmT1_PNSt15iterator_traitsIS13_E10value_typeET2_T3_PNS14_IS19_E10value_typeET4_jRbjT5_S1F_jjP12ihipStream_tbEUljE_ZNSN_ISO_Lb1ESR_SS_SU_SV_SZ_EES10_S11_S12_S13_S17_S18_S19_S1C_S1D_jS1E_jS1F_S1F_jjS1H_bEUljE0_EEES10_S11_S12_S19_S1D_S1F_T6_T7_T9_mT8_S1H_bDpT10_ENKUlT_T0_E_clISt17integral_constantIbLb0EES1U_IbLb1EEEEDaS1Q_S1R_EUlS1Q_E_NS1_11comp_targetILNS1_3genE8ELNS1_11target_archE1030ELNS1_3gpuE2ELNS1_3repE0EEENS1_30default_config_static_selectorELNS0_4arch9wavefront6targetE0EEEvS13_
; %bb.0:
	s_clause 0x7
	s_load_dwordx2 s[34:35], s[4:5], 0x10
	s_load_dwordx4 s[28:31], s[4:5], 0x28
	s_load_dwordx2 s[14:15], s[4:5], 0x38
	s_load_dwordx4 s[24:27], s[4:5], 0x58
	s_load_dwordx2 s[2:3], s[4:5], 0x68
	s_load_dwordx2 s[36:37], s[4:5], 0x78
	;; [unrolled: 1-line block ×3, first 2 shown]
	s_load_dwordx8 s[16:23], s[4:5], 0x90
	v_cmp_eq_u32_e64 s0, 0, v0
	s_and_saveexec_b32 s1, s0
	s_cbranch_execz .LBB1696_4
; %bb.1:
	s_mov_b32 s7, exec_lo
	s_mov_b32 s6, exec_lo
	v_mbcnt_lo_u32_b32 v1, s7, 0
                                        ; implicit-def: $vgpr2
	v_cmpx_eq_u32_e32 0, v1
	s_cbranch_execz .LBB1696_3
; %bb.2:
	s_load_dwordx2 s[8:9], s[4:5], 0x88
	s_bcnt1_i32_b32 s7, s7
	v_mov_b32_e32 v2, 0
	v_mov_b32_e32 v3, s7
	s_waitcnt lgkmcnt(0)
	global_atomic_add v2, v2, v3, s[8:9] glc
.LBB1696_3:
	s_or_b32 exec_lo, exec_lo, s6
	s_waitcnt vmcnt(0)
	v_readfirstlane_b32 s6, v2
	v_mov_b32_e32 v2, 0
	v_add_nc_u32_e32 v1, s6, v1
	ds_write_b32 v2, v1
.LBB1696_4:
	s_or_b32 exec_lo, exec_lo, s1
	v_mov_b32_e32 v1, 0
	s_clause 0x1
	s_load_dword s6, s[4:5], 0x8
	s_load_dword s1, s[4:5], 0x80
	s_waitcnt lgkmcnt(0)
	s_barrier
	buffer_gl0_inv
	ds_read_b32 v5, v1
	s_waitcnt lgkmcnt(0)
	s_barrier
	buffer_gl0_inv
	global_load_dwordx4 v[1:4], v1, s[26:27]
	s_add_i32 s5, s6, s34
	s_mul_i32 s4, s1, 0xd00
	s_add_i32 s1, s1, -1
	s_add_u32 s6, s34, s4
	s_addc_u32 s7, s35, 0
	v_mul_lo_u32 v31, 0xd00, v5
	v_readfirstlane_b32 s27, v5
	v_cmp_gt_u64_e64 s3, s[2:3], s[6:7]
	v_cmp_ne_u32_e32 vcc_lo, s1, v5
	s_cmp_eq_u32 s27, s1
	s_cselect_b32 s26, -1, 0
	v_add3_u32 v5, v31, s5, v0
	s_or_b32 s1, s3, vcc_lo
	s_mov_b32 s3, -1
	s_and_b32 vcc_lo, exec_lo, s1
	v_add_nc_u32_e32 v6, 0x100, v5
	v_add_nc_u32_e32 v7, 0x200, v5
	;; [unrolled: 1-line block ×12, first 2 shown]
	s_cbranch_vccz .LBB1696_6
; %bb.5:
	v_lshlrev_b32_e32 v18, 2, v0
	s_mov_b32 s3, 0
	ds_write2st64_b32 v18, v5, v6 offset1:4
	ds_write2st64_b32 v18, v7, v8 offset0:8 offset1:12
	ds_write2st64_b32 v18, v9, v10 offset0:16 offset1:20
	;; [unrolled: 1-line block ×5, first 2 shown]
	ds_write_b32 v18, v17 offset:12288
	s_waitcnt vmcnt(0) lgkmcnt(0)
	s_barrier
.LBB1696_6:
	s_andn2_b32 vcc_lo, exec_lo, s3
	s_add_i32 s4, s4, s34
	s_cbranch_vccnz .LBB1696_8
; %bb.7:
	v_lshlrev_b32_e32 v18, 2, v0
	ds_write2st64_b32 v18, v5, v6 offset1:4
	ds_write2st64_b32 v18, v7, v8 offset0:8 offset1:12
	ds_write2st64_b32 v18, v9, v10 offset0:16 offset1:20
	;; [unrolled: 1-line block ×5, first 2 shown]
	ds_write_b32 v18, v17 offset:12288
	s_waitcnt vmcnt(0) lgkmcnt(0)
	s_barrier
.LBB1696_8:
	v_mul_u32_u24_e32 v34, 13, v0
	s_waitcnt vmcnt(0)
	buffer_gl0_inv
	v_cndmask_b32_e64 v32, 0, 1, s1
	s_sub_i32 s33, s2, s4
	s_andn2_b32 vcc_lo, exec_lo, s1
	v_lshlrev_b32_e32 v5, 2, v34
	ds_read_b32 v33, v5 offset:48
	ds_read2_b32 v[13:14], v5 offset0:10 offset1:11
	ds_read2_b32 v[15:16], v5 offset0:8 offset1:9
	;; [unrolled: 1-line block ×4, first 2 shown]
	ds_read2_b32 v[23:24], v5 offset1:1
	ds_read2_b32 v[21:22], v5 offset0:2 offset1:3
	s_waitcnt lgkmcnt(0)
	s_barrier
	buffer_gl0_inv
	s_cbranch_vccnz .LBB1696_36
; %bb.9:
	v_add_nc_u32_e32 v5, s17, v23
	v_add_nc_u32_e32 v6, s19, v23
	s_mov_b32 s41, 0
	s_mov_b32 s40, 0
	s_mov_b32 s2, exec_lo
	v_mul_lo_u32 v5, v5, s16
	v_mul_lo_u32 v6, v6, s18
	v_sub_nc_u32_e32 v5, v5, v6
	v_cmp_lt_u32_e32 vcc_lo, s20, v5
	v_cmpx_ge_u32_e64 s20, v5
	s_cbranch_execz .LBB1696_11
; %bb.10:
	v_add_nc_u32_e32 v5, s22, v23
	v_add_nc_u32_e32 v6, s38, v23
	v_mul_lo_u32 v5, v5, s21
	v_mul_lo_u32 v6, v6, s23
	v_sub_nc_u32_e32 v5, v5, v6
	v_cmp_lt_u32_e64 s1, s39, v5
	s_and_b32 s40, s1, exec_lo
.LBB1696_11:
	s_or_b32 exec_lo, exec_lo, s2
	v_add_nc_u32_e32 v5, s17, v24
	v_add_nc_u32_e32 v6, s19, v24
	s_mov_b32 s3, exec_lo
	v_mul_lo_u32 v5, v5, s16
	v_mul_lo_u32 v6, v6, s18
	v_sub_nc_u32_e32 v5, v5, v6
	v_cmp_lt_u32_e64 s1, s20, v5
	v_cmpx_ge_u32_e64 s20, v5
	s_cbranch_execz .LBB1696_13
; %bb.12:
	v_add_nc_u32_e32 v5, s22, v24
	v_add_nc_u32_e32 v6, s38, v24
	v_mul_lo_u32 v5, v5, s21
	v_mul_lo_u32 v6, v6, s23
	v_sub_nc_u32_e32 v5, v5, v6
	v_cmp_lt_u32_e64 s2, s39, v5
	s_and_b32 s41, s2, exec_lo
.LBB1696_13:
	s_or_b32 exec_lo, exec_lo, s3
	v_add_nc_u32_e32 v5, s17, v21
	v_add_nc_u32_e32 v6, s19, v21
	s_mov_b32 s43, 0
	s_mov_b32 s42, 0
	s_mov_b32 s4, exec_lo
	v_mul_lo_u32 v5, v5, s16
	v_mul_lo_u32 v6, v6, s18
	v_sub_nc_u32_e32 v5, v5, v6
	v_cmp_lt_u32_e64 s2, s20, v5
	v_cmpx_ge_u32_e64 s20, v5
	s_cbranch_execz .LBB1696_15
; %bb.14:
	v_add_nc_u32_e32 v5, s22, v21
	v_add_nc_u32_e32 v6, s38, v21
	v_mul_lo_u32 v5, v5, s21
	v_mul_lo_u32 v6, v6, s23
	v_sub_nc_u32_e32 v5, v5, v6
	v_cmp_lt_u32_e64 s3, s39, v5
	s_and_b32 s42, s3, exec_lo
.LBB1696_15:
	s_or_b32 exec_lo, exec_lo, s4
	v_add_nc_u32_e32 v5, s17, v22
	v_add_nc_u32_e32 v6, s19, v22
	s_mov_b32 s5, exec_lo
	v_mul_lo_u32 v5, v5, s16
	v_mul_lo_u32 v6, v6, s18
	v_sub_nc_u32_e32 v5, v5, v6
	v_cmp_lt_u32_e64 s3, s20, v5
	v_cmpx_ge_u32_e64 s20, v5
	s_cbranch_execz .LBB1696_17
; %bb.16:
	v_add_nc_u32_e32 v5, s22, v22
	v_add_nc_u32_e32 v6, s38, v22
	v_mul_lo_u32 v5, v5, s21
	v_mul_lo_u32 v6, v6, s23
	v_sub_nc_u32_e32 v5, v5, v6
	v_cmp_lt_u32_e64 s4, s39, v5
	s_and_b32 s43, s4, exec_lo
.LBB1696_17:
	s_or_b32 exec_lo, exec_lo, s5
	v_add_nc_u32_e32 v5, s17, v19
	v_add_nc_u32_e32 v6, s19, v19
	s_mov_b32 s45, 0
	s_mov_b32 s44, 0
	s_mov_b32 s6, exec_lo
	v_mul_lo_u32 v5, v5, s16
	v_mul_lo_u32 v6, v6, s18
	v_sub_nc_u32_e32 v5, v5, v6
	v_cmp_lt_u32_e64 s4, s20, v5
	;; [unrolled: 40-line block ×6, first 2 shown]
	v_cmpx_ge_u32_e64 s20, v5
	s_cbranch_execz .LBB1696_35
; %bb.34:
	v_add_nc_u32_e32 v5, s22, v33
	v_add_nc_u32_e32 v6, s38, v33
	v_mul_lo_u32 v5, v5, s21
	v_mul_lo_u32 v6, v6, s23
	v_sub_nc_u32_e32 v5, v5, v6
	v_cmp_lt_u32_e64 s13, s39, v5
	s_and_b32 s53, s13, exec_lo
.LBB1696_35:
	s_or_b32 exec_lo, exec_lo, s54
	v_cndmask_b32_e64 v6, 0, 1, s1
	v_cndmask_b32_e64 v8, 0, 1, s3
	v_cndmask_b32_e64 v5, 0, 1, vcc_lo
	v_cndmask_b32_e64 v7, 0, 1, s2
	v_cndmask_b32_e64 v10, 0, 1, s5
	v_lshlrev_b16 v6, 8, v6
	v_lshlrev_b16 v8, 8, v8
	v_cndmask_b32_e64 v12, 0, 1, s7
	v_cndmask_b32_e64 v26, 0, 1, s9
	;; [unrolled: 1-line block ×3, first 2 shown]
	v_or_b32_e32 v5, v5, v6
	v_or_b32_sdwa v6, v7, v8 dst_sel:WORD_1 dst_unused:UNUSED_PAD src0_sel:DWORD src1_sel:DWORD
	v_cndmask_b32_e64 v7, 0, 1, s40
	v_cndmask_b32_e64 v9, 0, 1, s4
	;; [unrolled: 1-line block ×11, first 2 shown]
	v_or_b32_sdwa v35, v5, v6 dst_sel:DWORD dst_unused:UNUSED_PAD src0_sel:WORD_0 src1_sel:DWORD
	v_lshlrev_b16 v5, 8, v10
	v_lshlrev_b16 v6, 8, v12
	;; [unrolled: 1-line block ×5, first 2 shown]
	v_cndmask_b32_e64 v30, 0, 1, s49
	v_cndmask_b32_e64 v37, 0, 1, s47
	;; [unrolled: 1-line block ×5, first 2 shown]
	v_or_b32_e32 v5, v9, v5
	v_or_b32_sdwa v6, v11, v6 dst_sel:WORD_1 dst_unused:UNUSED_PAD src0_sel:DWORD src1_sel:DWORD
	v_or_b32_e32 v9, v25, v10
	v_or_b32_sdwa v10, v27, v12 dst_sel:WORD_1 dst_unused:UNUSED_PAD src0_sel:DWORD src1_sel:DWORD
	v_or_b32_e32 v7, v8, v7
	v_lshlrev_b16 v8, 8, v44
	v_lshlrev_b16 v11, 8, v41
	v_lshlrev_b16 v12, 8, v38
	v_lshlrev_b16 v25, 8, v36
	v_lshlrev_b16 v26, 8, v28
	v_or_b32_sdwa v8, v45, v8 dst_sel:WORD_1 dst_unused:UNUSED_PAD src0_sel:DWORD src1_sel:DWORD
	v_or_b32_e32 v11, v43, v11
	v_or_b32_sdwa v12, v40, v12 dst_sel:WORD_1 dst_unused:UNUSED_PAD src0_sel:DWORD src1_sel:DWORD
	v_or_b32_e32 v25, v37, v25
	v_or_b32_sdwa v26, v30, v26 dst_sel:WORD_1 dst_unused:UNUSED_PAD src0_sel:DWORD src1_sel:DWORD
	v_cndmask_b32_e64 v39, 0, 1, s51
	v_cndmask_b32_e64 v42, 0, 1, s53
	v_or_b32_sdwa v37, v5, v6 dst_sel:DWORD dst_unused:UNUSED_PAD src0_sel:WORD_0 src1_sel:DWORD
	v_or_b32_sdwa v40, v9, v10 dst_sel:DWORD dst_unused:UNUSED_PAD src0_sel:WORD_0 src1_sel:DWORD
	;; [unrolled: 1-line block ×5, first 2 shown]
	s_and_b32 vcc_lo, exec_lo, s50
	s_add_i32 s5, s33, 0xd00
	s_cbranch_vccnz .LBB1696_37
	s_branch .LBB1696_114
.LBB1696_36:
                                        ; implicit-def: $vgpr42
                                        ; implicit-def: $vgpr39
                                        ; implicit-def: $vgpr38
                                        ; implicit-def: $vgpr36
                                        ; implicit-def: $vgpr41
                                        ; implicit-def: $vgpr40
                                        ; implicit-def: $vgpr37
                                        ; implicit-def: $vgpr35
	s_add_i32 s5, s33, 0xd00
	s_cbranch_execz .LBB1696_114
.LBB1696_37:
	v_mov_b32_e32 v6, 0
	v_mov_b32_e32 v5, 0
	s_mov_b32 s2, exec_lo
	v_cmpx_gt_u32_e64 s5, v34
	s_cbranch_execz .LBB1696_41
; %bb.38:
	v_add_nc_u32_e32 v5, s17, v23
	v_add_nc_u32_e32 v6, s19, v23
	s_mov_b32 s4, 0
	s_mov_b32 s3, exec_lo
	v_mul_lo_u32 v5, v5, s16
	v_mul_lo_u32 v6, v6, s18
	v_sub_nc_u32_e32 v5, v5, v6
	v_cmp_lt_u32_e32 vcc_lo, s20, v5
	v_cmpx_ge_u32_e64 s20, v5
	s_cbranch_execz .LBB1696_40
; %bb.39:
	v_add_nc_u32_e32 v5, s22, v23
	v_add_nc_u32_e32 v6, s38, v23
	v_mul_lo_u32 v5, v5, s21
	v_mul_lo_u32 v6, v6, s23
	v_sub_nc_u32_e32 v5, v5, v6
	v_cmp_lt_u32_e64 s1, s39, v5
	s_and_b32 s4, s1, exec_lo
.LBB1696_40:
	s_or_b32 exec_lo, exec_lo, s3
	v_cndmask_b32_e64 v6, 0, 1, s4
	v_cndmask_b32_e64 v5, 0, 1, vcc_lo
.LBB1696_41:
	s_or_b32 exec_lo, exec_lo, s2
	v_add_nc_u32_e32 v7, 1, v34
	v_lshlrev_b16 v25, 8, v6
	v_and_b32_e32 v10, 0xff, v5
	v_lshlrev_b16 v11, 8, 0
                                        ; implicit-def: $vgpr9
                                        ; implicit-def: $vgpr12
                                        ; implicit-def: $vgpr6
                                        ; implicit-def: $vgpr8
	v_cmp_le_u32_e32 vcc_lo, s5, v7
                                        ; implicit-def: $vgpr7
	s_and_saveexec_b32 s1, vcc_lo
	s_xor_b32 s1, exec_lo, s1
	s_cbranch_execz .LBB1696_43
; %bb.42:
	v_mov_b32_e32 v5, 8
	v_mov_b32_e32 v6, 0xff
	;; [unrolled: 1-line block ×3, first 2 shown]
	v_and_b32_e32 v8, 0xffff, v11
	v_and_b32_e32 v7, 0xffff, v11
	v_lshrrev_b32_sdwa v5, v5, v25 dst_sel:BYTE_1 dst_unused:UNUSED_PAD src0_sel:DWORD src1_sel:WORD_0
	v_and_b32_sdwa v6, v25, v6 dst_sel:DWORD dst_unused:UNUSED_PAD src0_sel:WORD_0 src1_sel:DWORD
                                        ; implicit-def: $vgpr25
	v_or_b32_e32 v5, v6, v5
	v_and_b32_e32 v6, 0xffff, v11
                                        ; implicit-def: $vgpr11
	v_and_b32_e32 v12, 0xffff, v5
                                        ; implicit-def: $vgpr5
.LBB1696_43:
	s_andn2_saveexec_b32 s2, s1
	s_cbranch_execz .LBB1696_47
; %bb.44:
	v_add_nc_u32_e32 v6, s17, v24
	v_add_nc_u32_e32 v7, s19, v24
	s_mov_b32 s3, 0
	s_mov_b32 s4, exec_lo
	v_mul_lo_u32 v6, v6, s16
	v_mul_lo_u32 v7, v7, s18
	v_sub_nc_u32_e32 v6, v6, v7
	v_cmp_lt_u32_e32 vcc_lo, s20, v6
	v_cmpx_ge_u32_e64 s20, v6
	s_cbranch_execz .LBB1696_46
; %bb.45:
	v_add_nc_u32_e32 v6, s22, v24
	v_add_nc_u32_e32 v7, s38, v24
	v_mul_lo_u32 v6, v6, s21
	v_mul_lo_u32 v7, v7, s23
	v_sub_nc_u32_e32 v6, v6, v7
	v_cmp_lt_u32_e64 s1, s39, v6
	s_and_b32 s3, s1, exec_lo
.LBB1696_46:
	s_or_b32 exec_lo, exec_lo, s4
	v_mov_b32_e32 v6, 0xff
	v_mov_b32_e32 v7, 8
	v_cndmask_b32_e64 v8, 0, 1, vcc_lo
	v_mov_b32_e32 v9, 0
	v_and_b32_sdwa v6, v25, v6 dst_sel:DWORD dst_unused:UNUSED_PAD src0_sel:WORD_0 src1_sel:DWORD
	v_lshrrev_b32_sdwa v7, v7, v25 dst_sel:BYTE_1 dst_unused:UNUSED_PAD src0_sel:DWORD src1_sel:WORD_0
	v_lshlrev_b16 v8, 8, v8
	v_or_b32_e32 v6, v6, v7
	v_cndmask_b32_e64 v7, 0, 1, s3
	v_or_b32_sdwa v5, v5, v8 dst_sel:DWORD dst_unused:UNUSED_PAD src0_sel:BYTE_0 src1_sel:DWORD
	v_and_b32_e32 v8, 0xffff, v11
	v_and_b32_e32 v12, 0xffff, v6
	v_mov_b32_e32 v6, 0
	v_and_b32_e32 v10, 0xffff, v5
	v_lshl_or_b32 v12, v7, 16, v12
	v_and_b32_e32 v7, 0xffff, v11
.LBB1696_47:
	s_or_b32 exec_lo, exec_lo, s2
	v_add_nc_u32_e32 v5, 2, v34
                                        ; implicit-def: $vgpr11
	v_cmp_le_u32_e32 vcc_lo, s5, v5
                                        ; implicit-def: $vgpr5
	s_and_saveexec_b32 s1, vcc_lo
	s_xor_b32 s1, exec_lo, s1
	s_cbranch_execz .LBB1696_49
; %bb.48:
	v_lshrrev_b32_e32 v5, 24, v10
	v_mov_b32_e32 v11, 8
	v_and_b32_e32 v25, 0xff0000, v12
	v_perm_b32 v8, v8, v8, 0x3060504
	v_perm_b32 v5, v5, v10, 0x40c0100
	v_lshrrev_b32_sdwa v10, v11, v5 dst_sel:BYTE_1 dst_unused:UNUSED_PAD src0_sel:DWORD src1_sel:DWORD
	v_or_b32_sdwa v10, v5, v10 dst_sel:DWORD dst_unused:UNUSED_PAD src0_sel:BYTE_0 src1_sel:DWORD
	v_and_b32_e32 v10, 0xffff, v10
	v_and_or_b32 v11, 0xff000000, v5, v10
	v_perm_b32 v5, v12, v25, 0x3020504
                                        ; implicit-def: $vgpr10
                                        ; implicit-def: $vgpr12
.LBB1696_49:
	s_andn2_saveexec_b32 s2, s1
	s_cbranch_execz .LBB1696_53
; %bb.50:
	v_add_nc_u32_e32 v5, s17, v21
	v_add_nc_u32_e32 v11, s19, v21
	s_mov_b32 s3, 0
	s_mov_b32 s4, exec_lo
	v_mul_lo_u32 v5, v5, s16
	v_mul_lo_u32 v11, v11, s18
	v_sub_nc_u32_e32 v5, v5, v11
	v_cmp_lt_u32_e32 vcc_lo, s20, v5
	v_cmpx_ge_u32_e64 s20, v5
	s_cbranch_execz .LBB1696_52
; %bb.51:
	v_add_nc_u32_e32 v5, s22, v21
	v_add_nc_u32_e32 v11, s38, v21
	v_mul_lo_u32 v5, v5, s21
	v_mul_lo_u32 v11, v11, s23
	v_sub_nc_u32_e32 v5, v5, v11
	v_cmp_lt_u32_e64 s1, s39, v5
	s_and_b32 s3, s1, exec_lo
.LBB1696_52:
	s_or_b32 exec_lo, exec_lo, s4
	v_mov_b32_e32 v5, 8
	v_mov_b32_e32 v11, 24
	v_cndmask_b32_e64 v26, 0, 1, s3
	v_mov_b32_e32 v27, 0xff
	v_cndmask_b32_e64 v25, 0, 1, vcc_lo
	v_lshrrev_b32_sdwa v28, v5, v10 dst_sel:BYTE_1 dst_unused:UNUSED_PAD src0_sel:DWORD src1_sel:DWORD
	v_lshrrev_b32_sdwa v11, v11, v10 dst_sel:BYTE_1 dst_unused:UNUSED_PAD src0_sel:DWORD src1_sel:DWORD
	;; [unrolled: 1-line block ×3, first 2 shown]
	v_lshlrev_b16 v26, 8, v26
	v_and_b32_sdwa v27, v12, v27 dst_sel:DWORD dst_unused:UNUSED_PAD src0_sel:WORD_1 src1_sel:DWORD
	v_or_b32_sdwa v10, v10, v28 dst_sel:DWORD dst_unused:UNUSED_PAD src0_sel:BYTE_0 src1_sel:DWORD
	v_or_b32_sdwa v11, v25, v11 dst_sel:WORD_1 dst_unused:UNUSED_PAD src0_sel:DWORD src1_sel:DWORD
	v_or_b32_sdwa v5, v12, v5 dst_sel:DWORD dst_unused:UNUSED_PAD src0_sel:BYTE_0 src1_sel:DWORD
	v_or_b32_sdwa v12, v27, v26 dst_sel:WORD_1 dst_unused:UNUSED_PAD src0_sel:DWORD src1_sel:DWORD
	v_or_b32_sdwa v11, v10, v11 dst_sel:DWORD dst_unused:UNUSED_PAD src0_sel:WORD_0 src1_sel:DWORD
	v_or_b32_sdwa v5, v5, v12 dst_sel:DWORD dst_unused:UNUSED_PAD src0_sel:WORD_0 src1_sel:DWORD
.LBB1696_53:
	s_or_b32 exec_lo, exec_lo, s2
	v_add_nc_u32_e32 v10, 3, v34
                                        ; implicit-def: $vgpr35
	v_cmp_le_u32_e32 vcc_lo, s5, v10
                                        ; implicit-def: $vgpr10
	s_and_saveexec_b32 s1, vcc_lo
	s_xor_b32 s1, exec_lo, s1
	s_cbranch_execz .LBB1696_55
; %bb.54:
	v_mov_b32_e32 v10, 24
	v_mov_b32_e32 v12, 0xff
	;; [unrolled: 1-line block ×3, first 2 shown]
	v_and_b32_e32 v26, 0xff0000, v11
	v_perm_b32 v8, v8, v8, 0x3060504
	v_lshrrev_b32_sdwa v10, v10, v9 dst_sel:BYTE_1 dst_unused:UNUSED_PAD src0_sel:DWORD src1_sel:DWORD
	v_and_b32_sdwa v12, v9, v12 dst_sel:DWORD dst_unused:UNUSED_PAD src0_sel:WORD_1 src1_sel:DWORD
	v_lshrrev_b32_sdwa v9, v25, v9 dst_sel:BYTE_1 dst_unused:UNUSED_PAD src0_sel:DWORD src1_sel:DWORD
	v_perm_b32 v35, v11, v26, 0x3020504
	v_perm_b32 v7, v7, v7, 0x3060504
                                        ; implicit-def: $vgpr11
	v_or_b32_sdwa v10, v12, v10 dst_sel:WORD_1 dst_unused:UNUSED_PAD src0_sel:DWORD src1_sel:DWORD
	v_or_b32_sdwa v10, v9, v10 dst_sel:DWORD dst_unused:UNUSED_PAD src0_sel:WORD_0 src1_sel:DWORD
                                        ; implicit-def: $vgpr9
.LBB1696_55:
	s_andn2_saveexec_b32 s2, s1
	s_cbranch_execz .LBB1696_59
; %bb.56:
	v_add_nc_u32_e32 v10, s17, v22
	v_add_nc_u32_e32 v12, s19, v22
	s_mov_b32 s3, 0
	s_mov_b32 s4, exec_lo
	v_mul_lo_u32 v10, v10, s16
	v_mul_lo_u32 v12, v12, s18
	v_sub_nc_u32_e32 v10, v10, v12
	v_cmp_lt_u32_e32 vcc_lo, s20, v10
	v_cmpx_ge_u32_e64 s20, v10
	s_cbranch_execz .LBB1696_58
; %bb.57:
	v_add_nc_u32_e32 v10, s22, v22
	v_add_nc_u32_e32 v12, s38, v22
	v_mul_lo_u32 v10, v10, s21
	v_mul_lo_u32 v12, v12, s23
	v_sub_nc_u32_e32 v10, v10, v12
	v_cmp_lt_u32_e64 s1, s39, v10
	s_and_b32 s3, s1, exec_lo
.LBB1696_58:
	s_or_b32 exec_lo, exec_lo, s4
	v_mov_b32_e32 v10, 8
	v_cndmask_b32_e64 v12, 0, 1, vcc_lo
	v_mov_b32_e32 v25, 0xff
	v_mov_b32_e32 v26, 24
	v_cndmask_b32_e64 v27, 0, 1, s3
	v_lshrrev_b32_sdwa v28, v10, v11 dst_sel:BYTE_1 dst_unused:UNUSED_PAD src0_sel:DWORD src1_sel:DWORD
	v_lshlrev_b16 v12, 8, v12
	v_and_b32_sdwa v29, v11, v25 dst_sel:DWORD dst_unused:UNUSED_PAD src0_sel:WORD_1 src1_sel:DWORD
	v_lshrrev_b32_sdwa v26, v26, v9 dst_sel:BYTE_1 dst_unused:UNUSED_PAD src0_sel:DWORD src1_sel:DWORD
	v_and_b32_sdwa v25, v9, v25 dst_sel:DWORD dst_unused:UNUSED_PAD src0_sel:WORD_1 src1_sel:DWORD
	v_lshrrev_b32_sdwa v9, v10, v9 dst_sel:BYTE_1 dst_unused:UNUSED_PAD src0_sel:DWORD src1_sel:DWORD
	v_or_b32_sdwa v10, v11, v28 dst_sel:DWORD dst_unused:UNUSED_PAD src0_sel:BYTE_0 src1_sel:DWORD
	v_or_b32_sdwa v11, v29, v12 dst_sel:WORD_1 dst_unused:UNUSED_PAD src0_sel:DWORD src1_sel:DWORD
	v_or_b32_sdwa v12, v25, v26 dst_sel:WORD_1 dst_unused:UNUSED_PAD src0_sel:DWORD src1_sel:DWORD
	v_or_b32_e32 v9, v27, v9
	v_or_b32_sdwa v35, v10, v11 dst_sel:DWORD dst_unused:UNUSED_PAD src0_sel:WORD_0 src1_sel:DWORD
	v_or_b32_sdwa v10, v9, v12 dst_sel:DWORD dst_unused:UNUSED_PAD src0_sel:WORD_0 src1_sel:DWORD
.LBB1696_59:
	s_or_b32 exec_lo, exec_lo, s2
	v_add_nc_u32_e32 v9, 4, v34
                                        ; implicit-def: $vgpr11
	v_cmp_le_u32_e32 vcc_lo, s5, v9
                                        ; implicit-def: $vgpr9
	s_and_saveexec_b32 s1, vcc_lo
	s_xor_b32 s1, exec_lo, s1
	s_cbranch_execz .LBB1696_61
; %bb.60:
	v_mov_b32_e32 v9, 24
	v_mov_b32_e32 v11, 0xff
	;; [unrolled: 1-line block ×3, first 2 shown]
	v_perm_b32 v7, v7, v7, 0x3060504
	v_lshrrev_b32_sdwa v25, v9, v8 dst_sel:BYTE_1 dst_unused:UNUSED_PAD src0_sel:DWORD src1_sel:DWORD
	v_and_b32_sdwa v26, v8, v11 dst_sel:DWORD dst_unused:UNUSED_PAD src0_sel:WORD_1 src1_sel:DWORD
	v_lshrrev_b32_sdwa v9, v9, v10 dst_sel:BYTE_1 dst_unused:UNUSED_PAD src0_sel:DWORD src1_sel:DWORD
	v_and_b32_sdwa v11, v10, v11 dst_sel:DWORD dst_unused:UNUSED_PAD src0_sel:WORD_1 src1_sel:DWORD
	v_lshrrev_b32_sdwa v8, v12, v8 dst_sel:BYTE_1 dst_unused:UNUSED_PAD src0_sel:DWORD src1_sel:DWORD
	v_or_b32_sdwa v12, v26, v25 dst_sel:WORD_1 dst_unused:UNUSED_PAD src0_sel:DWORD src1_sel:DWORD
	v_or_b32_e32 v11, v11, v9
	v_or_b32_sdwa v9, v8, v12 dst_sel:DWORD dst_unused:UNUSED_PAD src0_sel:WORD_0 src1_sel:DWORD
                                        ; implicit-def: $vgpr8
	v_perm_b32 v11, v11, v10, 0x5040c00
                                        ; implicit-def: $vgpr10
.LBB1696_61:
	s_andn2_saveexec_b32 s2, s1
	s_cbranch_execz .LBB1696_65
; %bb.62:
	v_add_nc_u32_e32 v9, s17, v19
	v_add_nc_u32_e32 v11, s19, v19
	s_mov_b32 s3, 0
	s_mov_b32 s4, exec_lo
	v_mul_lo_u32 v9, v9, s16
	v_mul_lo_u32 v11, v11, s18
	v_sub_nc_u32_e32 v9, v9, v11
	v_cmp_lt_u32_e32 vcc_lo, s20, v9
	v_cmpx_ge_u32_e64 s20, v9
	s_cbranch_execz .LBB1696_64
; %bb.63:
	v_add_nc_u32_e32 v9, s22, v19
	v_add_nc_u32_e32 v11, s38, v19
	v_mul_lo_u32 v9, v9, s21
	v_mul_lo_u32 v11, v11, s23
	v_sub_nc_u32_e32 v9, v9, v11
	v_cmp_lt_u32_e64 s1, s39, v9
	s_and_b32 s3, s1, exec_lo
.LBB1696_64:
	s_or_b32 exec_lo, exec_lo, s4
	v_mov_b32_e32 v9, 24
	v_mov_b32_e32 v11, 0xff
	;; [unrolled: 1-line block ×3, first 2 shown]
	v_cndmask_b32_e64 v25, 0, 1, s3
	v_cndmask_b32_e64 v26, 0, 1, vcc_lo
	v_lshrrev_b32_sdwa v27, v9, v8 dst_sel:BYTE_1 dst_unused:UNUSED_PAD src0_sel:DWORD src1_sel:DWORD
	v_and_b32_sdwa v28, v8, v11 dst_sel:DWORD dst_unused:UNUSED_PAD src0_sel:WORD_1 src1_sel:DWORD
	v_lshrrev_b32_sdwa v8, v12, v8 dst_sel:BYTE_1 dst_unused:UNUSED_PAD src0_sel:DWORD src1_sel:DWORD
	v_lshlrev_b16 v12, 8, v25
	v_lshrrev_b32_sdwa v9, v9, v10 dst_sel:BYTE_1 dst_unused:UNUSED_PAD src0_sel:DWORD src1_sel:DWORD
	v_and_b32_sdwa v11, v10, v11 dst_sel:DWORD dst_unused:UNUSED_PAD src0_sel:WORD_1 src1_sel:DWORD
	v_or_b32_sdwa v25, v28, v27 dst_sel:WORD_1 dst_unused:UNUSED_PAD src0_sel:DWORD src1_sel:DWORD
	v_or_b32_e32 v8, v26, v8
	v_or_b32_sdwa v10, v10, v12 dst_sel:DWORD dst_unused:UNUSED_PAD src0_sel:BYTE_0 src1_sel:DWORD
	v_or_b32_sdwa v11, v11, v9 dst_sel:WORD_1 dst_unused:UNUSED_PAD src0_sel:DWORD src1_sel:DWORD
	v_or_b32_sdwa v9, v8, v25 dst_sel:DWORD dst_unused:UNUSED_PAD src0_sel:WORD_0 src1_sel:DWORD
	v_or_b32_sdwa v11, v10, v11 dst_sel:DWORD dst_unused:UNUSED_PAD src0_sel:WORD_0 src1_sel:DWORD
.LBB1696_65:
	s_or_b32 exec_lo, exec_lo, s2
	v_add_nc_u32_e32 v8, 5, v34
                                        ; implicit-def: $vgpr10
	v_cmp_le_u32_e32 vcc_lo, s5, v8
                                        ; implicit-def: $vgpr8
	s_and_saveexec_b32 s1, vcc_lo
	s_xor_b32 s1, exec_lo, s1
	s_cbranch_execz .LBB1696_67
; %bb.66:
	v_lshrrev_b32_e32 v8, 24, v11
	v_mov_b32_e32 v10, 8
	v_mov_b32_e32 v12, 0xff
	v_perm_b32 v7, v7, v7, 0x3060504
	v_perm_b32 v8, v8, v11, 0x40c0100
	v_mov_b32_e32 v11, 24
	v_and_b32_sdwa v12, v9, v12 dst_sel:DWORD dst_unused:UNUSED_PAD src0_sel:WORD_1 src1_sel:DWORD
	v_lshrrev_b32_sdwa v10, v10, v8 dst_sel:BYTE_1 dst_unused:UNUSED_PAD src0_sel:DWORD src1_sel:DWORD
	v_lshrrev_b32_sdwa v11, v11, v9 dst_sel:BYTE_1 dst_unused:UNUSED_PAD src0_sel:DWORD src1_sel:DWORD
	v_or_b32_sdwa v10, v8, v10 dst_sel:DWORD dst_unused:UNUSED_PAD src0_sel:BYTE_0 src1_sel:DWORD
	v_or_b32_e32 v11, v12, v11
	v_and_b32_e32 v12, 0xffff, v10
	v_perm_b32 v10, v11, v9, 0x5040c00
                                        ; implicit-def: $vgpr9
                                        ; implicit-def: $vgpr11
	v_and_or_b32 v8, 0xff000000, v8, v12
.LBB1696_67:
	s_andn2_saveexec_b32 s2, s1
	s_cbranch_execz .LBB1696_71
; %bb.68:
	v_add_nc_u32_e32 v8, s17, v20
	v_add_nc_u32_e32 v10, s19, v20
	s_mov_b32 s3, 0
	s_mov_b32 s4, exec_lo
	v_mul_lo_u32 v8, v8, s16
	v_mul_lo_u32 v10, v10, s18
	v_sub_nc_u32_e32 v8, v8, v10
	v_cmp_lt_u32_e32 vcc_lo, s20, v8
	v_cmpx_ge_u32_e64 s20, v8
	s_cbranch_execz .LBB1696_70
; %bb.69:
	v_add_nc_u32_e32 v8, s22, v20
	v_add_nc_u32_e32 v10, s38, v20
	v_mul_lo_u32 v8, v8, s21
	v_mul_lo_u32 v10, v10, s23
	v_sub_nc_u32_e32 v8, v8, v10
	v_cmp_lt_u32_e64 s1, s39, v8
	s_and_b32 s3, s1, exec_lo
.LBB1696_70:
	s_or_b32 exec_lo, exec_lo, s4
	v_cndmask_b32_e64 v8, 0, 1, vcc_lo
	v_mov_b32_e32 v10, 24
	v_mov_b32_e32 v12, 0xff
	;; [unrolled: 1-line block ×3, first 2 shown]
	v_cndmask_b32_e64 v26, 0, 1, s3
	v_lshlrev_b16 v8, 8, v8
	v_lshrrev_b32_sdwa v27, v10, v9 dst_sel:BYTE_1 dst_unused:UNUSED_PAD src0_sel:DWORD src1_sel:DWORD
	v_and_b32_sdwa v12, v9, v12 dst_sel:DWORD dst_unused:UNUSED_PAD src0_sel:WORD_1 src1_sel:DWORD
	v_lshrrev_b32_sdwa v25, v25, v11 dst_sel:BYTE_1 dst_unused:UNUSED_PAD src0_sel:DWORD src1_sel:DWORD
	v_lshrrev_b32_sdwa v10, v10, v11 dst_sel:BYTE_1 dst_unused:UNUSED_PAD src0_sel:DWORD src1_sel:DWORD
	v_or_b32_sdwa v8, v9, v8 dst_sel:DWORD dst_unused:UNUSED_PAD src0_sel:BYTE_0 src1_sel:DWORD
	v_or_b32_sdwa v9, v12, v27 dst_sel:WORD_1 dst_unused:UNUSED_PAD src0_sel:DWORD src1_sel:DWORD
	v_or_b32_sdwa v11, v11, v25 dst_sel:DWORD dst_unused:UNUSED_PAD src0_sel:BYTE_0 src1_sel:DWORD
	v_or_b32_sdwa v12, v26, v10 dst_sel:WORD_1 dst_unused:UNUSED_PAD src0_sel:DWORD src1_sel:DWORD
	v_or_b32_sdwa v10, v8, v9 dst_sel:DWORD dst_unused:UNUSED_PAD src0_sel:WORD_0 src1_sel:DWORD
	v_or_b32_sdwa v8, v11, v12 dst_sel:DWORD dst_unused:UNUSED_PAD src0_sel:WORD_0 src1_sel:DWORD
.LBB1696_71:
	s_or_b32 exec_lo, exec_lo, s2
	v_add_nc_u32_e32 v9, 6, v34
                                        ; implicit-def: $vgpr36
	v_cmp_le_u32_e32 vcc_lo, s5, v9
                                        ; implicit-def: $vgpr9
	s_and_saveexec_b32 s1, vcc_lo
	s_xor_b32 s1, exec_lo, s1
	s_cbranch_execz .LBB1696_73
; %bb.72:
	v_lshrrev_b32_e32 v9, 24, v10
	v_mov_b32_e32 v11, 8
	v_perm_b32 v7, v7, v7, 0x3060504
	v_perm_b32 v9, v9, v10, 0x40c0100
	v_lshrrev_b32_sdwa v10, v11, v9 dst_sel:BYTE_1 dst_unused:UNUSED_PAD src0_sel:DWORD src1_sel:DWORD
	v_and_b32_e32 v11, 0xff0000, v8
	v_or_b32_sdwa v10, v9, v10 dst_sel:DWORD dst_unused:UNUSED_PAD src0_sel:BYTE_0 src1_sel:DWORD
	v_perm_b32 v36, v8, v11, 0x3020504
                                        ; implicit-def: $vgpr8
	v_and_b32_e32 v10, 0xffff, v10
	v_and_or_b32 v9, 0xff000000, v9, v10
                                        ; implicit-def: $vgpr10
.LBB1696_73:
	s_andn2_saveexec_b32 s2, s1
	s_cbranch_execz .LBB1696_77
; %bb.74:
	v_add_nc_u32_e32 v9, s17, v17
	v_add_nc_u32_e32 v11, s19, v17
	s_mov_b32 s3, 0
	s_mov_b32 s4, exec_lo
	v_mul_lo_u32 v9, v9, s16
	v_mul_lo_u32 v11, v11, s18
	v_sub_nc_u32_e32 v9, v9, v11
	v_cmp_lt_u32_e32 vcc_lo, s20, v9
	v_cmpx_ge_u32_e64 s20, v9
	s_cbranch_execz .LBB1696_76
; %bb.75:
	v_add_nc_u32_e32 v9, s22, v17
	v_add_nc_u32_e32 v11, s38, v17
	v_mul_lo_u32 v9, v9, s21
	v_mul_lo_u32 v11, v11, s23
	v_sub_nc_u32_e32 v9, v9, v11
	v_cmp_lt_u32_e64 s1, s39, v9
	s_and_b32 s3, s1, exec_lo
.LBB1696_76:
	s_or_b32 exec_lo, exec_lo, s4
	v_mov_b32_e32 v9, 8
	v_mov_b32_e32 v11, 24
	v_cndmask_b32_e64 v25, 0, 1, s3
	v_mov_b32_e32 v26, 0xff
	v_cndmask_b32_e64 v12, 0, 1, vcc_lo
	v_lshrrev_b32_sdwa v27, v9, v10 dst_sel:BYTE_1 dst_unused:UNUSED_PAD src0_sel:DWORD src1_sel:DWORD
	v_lshrrev_b32_sdwa v11, v11, v10 dst_sel:BYTE_1 dst_unused:UNUSED_PAD src0_sel:DWORD src1_sel:DWORD
	;; [unrolled: 1-line block ×3, first 2 shown]
	v_lshlrev_b16 v25, 8, v25
	v_and_b32_sdwa v26, v8, v26 dst_sel:DWORD dst_unused:UNUSED_PAD src0_sel:WORD_1 src1_sel:DWORD
	v_or_b32_sdwa v10, v10, v27 dst_sel:DWORD dst_unused:UNUSED_PAD src0_sel:BYTE_0 src1_sel:DWORD
	v_or_b32_sdwa v11, v12, v11 dst_sel:WORD_1 dst_unused:UNUSED_PAD src0_sel:DWORD src1_sel:DWORD
	v_or_b32_sdwa v8, v8, v9 dst_sel:DWORD dst_unused:UNUSED_PAD src0_sel:BYTE_0 src1_sel:DWORD
	v_or_b32_sdwa v12, v26, v25 dst_sel:WORD_1 dst_unused:UNUSED_PAD src0_sel:DWORD src1_sel:DWORD
	v_or_b32_sdwa v9, v10, v11 dst_sel:DWORD dst_unused:UNUSED_PAD src0_sel:WORD_0 src1_sel:DWORD
	v_or_b32_sdwa v36, v8, v12 dst_sel:DWORD dst_unused:UNUSED_PAD src0_sel:WORD_0 src1_sel:DWORD
.LBB1696_77:
	s_or_b32 exec_lo, exec_lo, s2
	v_add_nc_u32_e32 v8, 7, v34
                                        ; implicit-def: $vgpr37
	v_cmp_le_u32_e32 vcc_lo, s5, v8
                                        ; implicit-def: $vgpr8
	s_and_saveexec_b32 s1, vcc_lo
	s_xor_b32 s1, exec_lo, s1
	s_cbranch_execz .LBB1696_79
; %bb.78:
	v_mov_b32_e32 v8, 24
	v_mov_b32_e32 v10, 0xff
	;; [unrolled: 1-line block ×3, first 2 shown]
	v_lshrrev_b32_sdwa v8, v8, v7 dst_sel:BYTE_1 dst_unused:UNUSED_PAD src0_sel:DWORD src1_sel:DWORD
	v_and_b32_sdwa v10, v7, v10 dst_sel:DWORD dst_unused:UNUSED_PAD src0_sel:WORD_1 src1_sel:DWORD
	v_lshrrev_b32_sdwa v7, v11, v7 dst_sel:BYTE_1 dst_unused:UNUSED_PAD src0_sel:DWORD src1_sel:DWORD
	v_and_b32_e32 v11, 0xff0000, v9
	v_or_b32_sdwa v8, v10, v8 dst_sel:WORD_1 dst_unused:UNUSED_PAD src0_sel:DWORD src1_sel:DWORD
	v_perm_b32 v37, v9, v11, 0x3020504
                                        ; implicit-def: $vgpr9
	v_or_b32_sdwa v8, v7, v8 dst_sel:DWORD dst_unused:UNUSED_PAD src0_sel:WORD_0 src1_sel:DWORD
                                        ; implicit-def: $vgpr7
.LBB1696_79:
	s_andn2_saveexec_b32 s2, s1
	s_cbranch_execz .LBB1696_83
; %bb.80:
	v_add_nc_u32_e32 v8, s17, v18
	v_add_nc_u32_e32 v10, s19, v18
	s_mov_b32 s3, 0
	s_mov_b32 s4, exec_lo
	v_mul_lo_u32 v8, v8, s16
	v_mul_lo_u32 v10, v10, s18
	v_sub_nc_u32_e32 v8, v8, v10
	v_cmp_lt_u32_e32 vcc_lo, s20, v8
	v_cmpx_ge_u32_e64 s20, v8
	s_cbranch_execz .LBB1696_82
; %bb.81:
	v_add_nc_u32_e32 v8, s22, v18
	v_add_nc_u32_e32 v10, s38, v18
	v_mul_lo_u32 v8, v8, s21
	v_mul_lo_u32 v10, v10, s23
	v_sub_nc_u32_e32 v8, v8, v10
	v_cmp_lt_u32_e64 s1, s39, v8
	s_and_b32 s3, s1, exec_lo
.LBB1696_82:
	s_or_b32 exec_lo, exec_lo, s4
	v_mov_b32_e32 v8, 8
	v_cndmask_b32_e64 v10, 0, 1, vcc_lo
	v_mov_b32_e32 v11, 0xff
	v_mov_b32_e32 v12, 24
	v_cndmask_b32_e64 v25, 0, 1, s3
	v_lshrrev_b32_sdwa v26, v8, v9 dst_sel:BYTE_1 dst_unused:UNUSED_PAD src0_sel:DWORD src1_sel:DWORD
	v_lshlrev_b16 v10, 8, v10
	v_and_b32_sdwa v27, v9, v11 dst_sel:DWORD dst_unused:UNUSED_PAD src0_sel:WORD_1 src1_sel:DWORD
	v_lshrrev_b32_sdwa v12, v12, v7 dst_sel:BYTE_1 dst_unused:UNUSED_PAD src0_sel:DWORD src1_sel:DWORD
	v_and_b32_sdwa v11, v7, v11 dst_sel:DWORD dst_unused:UNUSED_PAD src0_sel:WORD_1 src1_sel:DWORD
	v_lshrrev_b32_sdwa v7, v8, v7 dst_sel:BYTE_1 dst_unused:UNUSED_PAD src0_sel:DWORD src1_sel:DWORD
	v_or_b32_sdwa v8, v9, v26 dst_sel:DWORD dst_unused:UNUSED_PAD src0_sel:BYTE_0 src1_sel:DWORD
	v_or_b32_sdwa v9, v27, v10 dst_sel:WORD_1 dst_unused:UNUSED_PAD src0_sel:DWORD src1_sel:DWORD
	v_or_b32_sdwa v10, v11, v12 dst_sel:WORD_1 dst_unused:UNUSED_PAD src0_sel:DWORD src1_sel:DWORD
	v_or_b32_e32 v7, v25, v7
	v_or_b32_sdwa v37, v8, v9 dst_sel:DWORD dst_unused:UNUSED_PAD src0_sel:WORD_0 src1_sel:DWORD
	v_or_b32_sdwa v8, v7, v10 dst_sel:DWORD dst_unused:UNUSED_PAD src0_sel:WORD_0 src1_sel:DWORD
.LBB1696_83:
	s_or_b32 exec_lo, exec_lo, s2
	v_add_nc_u32_e32 v7, 8, v34
                                        ; implicit-def: $vgpr9
	v_cmp_le_u32_e32 vcc_lo, s5, v7
                                        ; implicit-def: $vgpr7
	s_and_saveexec_b32 s1, vcc_lo
	s_xor_b32 s1, exec_lo, s1
	s_cbranch_execz .LBB1696_85
; %bb.84:
	v_mov_b32_e32 v7, 24
	v_mov_b32_e32 v9, 0xff
	;; [unrolled: 1-line block ×3, first 2 shown]
	v_perm_b32 v5, v5, v5, 0x3060504
	v_lshrrev_b32_sdwa v11, v7, v8 dst_sel:BYTE_1 dst_unused:UNUSED_PAD src0_sel:DWORD src1_sel:DWORD
	v_lshrrev_b32_sdwa v7, v7, v6 dst_sel:BYTE_1 dst_unused:UNUSED_PAD src0_sel:DWORD src1_sel:DWORD
	v_and_b32_sdwa v12, v6, v9 dst_sel:DWORD dst_unused:UNUSED_PAD src0_sel:WORD_1 src1_sel:DWORD
	v_and_b32_sdwa v9, v8, v9 dst_sel:DWORD dst_unused:UNUSED_PAD src0_sel:WORD_1 src1_sel:DWORD
	v_lshrrev_b32_sdwa v6, v10, v6 dst_sel:BYTE_1 dst_unused:UNUSED_PAD src0_sel:DWORD src1_sel:DWORD
	v_or_b32_sdwa v7, v12, v7 dst_sel:WORD_1 dst_unused:UNUSED_PAD src0_sel:DWORD src1_sel:DWORD
	v_or_b32_e32 v9, v9, v11
	v_or_b32_sdwa v7, v6, v7 dst_sel:DWORD dst_unused:UNUSED_PAD src0_sel:WORD_0 src1_sel:DWORD
	v_perm_b32 v9, v9, v8, 0x5040c00
                                        ; implicit-def: $vgpr6
                                        ; implicit-def: $vgpr8
.LBB1696_85:
	s_andn2_saveexec_b32 s2, s1
	s_cbranch_execz .LBB1696_89
; %bb.86:
	v_add_nc_u32_e32 v7, s17, v15
	v_add_nc_u32_e32 v9, s19, v15
	s_mov_b32 s3, 0
	s_mov_b32 s4, exec_lo
	v_mul_lo_u32 v7, v7, s16
	v_mul_lo_u32 v9, v9, s18
	v_sub_nc_u32_e32 v7, v7, v9
	v_cmp_lt_u32_e32 vcc_lo, s20, v7
	v_cmpx_ge_u32_e64 s20, v7
	s_cbranch_execz .LBB1696_88
; %bb.87:
	v_add_nc_u32_e32 v7, s22, v15
	v_add_nc_u32_e32 v9, s38, v15
	v_mul_lo_u32 v7, v7, s21
	v_mul_lo_u32 v9, v9, s23
	v_sub_nc_u32_e32 v7, v7, v9
	v_cmp_lt_u32_e64 s1, s39, v7
	s_and_b32 s3, s1, exec_lo
.LBB1696_88:
	s_or_b32 exec_lo, exec_lo, s4
	v_mov_b32_e32 v7, 24
	v_mov_b32_e32 v9, 0xff
	;; [unrolled: 1-line block ×3, first 2 shown]
	v_cndmask_b32_e64 v11, 0, 1, s3
	v_cndmask_b32_e64 v12, 0, 1, vcc_lo
	v_lshrrev_b32_sdwa v25, v7, v6 dst_sel:BYTE_1 dst_unused:UNUSED_PAD src0_sel:DWORD src1_sel:DWORD
	v_and_b32_sdwa v26, v6, v9 dst_sel:DWORD dst_unused:UNUSED_PAD src0_sel:WORD_1 src1_sel:DWORD
	v_lshrrev_b32_sdwa v6, v10, v6 dst_sel:BYTE_1 dst_unused:UNUSED_PAD src0_sel:DWORD src1_sel:DWORD
	v_lshlrev_b16 v10, 8, v11
	v_lshrrev_b32_sdwa v7, v7, v8 dst_sel:BYTE_1 dst_unused:UNUSED_PAD src0_sel:DWORD src1_sel:DWORD
	v_and_b32_sdwa v9, v8, v9 dst_sel:DWORD dst_unused:UNUSED_PAD src0_sel:WORD_1 src1_sel:DWORD
	v_or_b32_sdwa v11, v26, v25 dst_sel:WORD_1 dst_unused:UNUSED_PAD src0_sel:DWORD src1_sel:DWORD
	v_or_b32_e32 v6, v12, v6
	v_or_b32_sdwa v8, v8, v10 dst_sel:DWORD dst_unused:UNUSED_PAD src0_sel:BYTE_0 src1_sel:DWORD
	v_or_b32_sdwa v9, v9, v7 dst_sel:WORD_1 dst_unused:UNUSED_PAD src0_sel:DWORD src1_sel:DWORD
	v_or_b32_sdwa v7, v6, v11 dst_sel:DWORD dst_unused:UNUSED_PAD src0_sel:WORD_0 src1_sel:DWORD
	v_or_b32_sdwa v9, v8, v9 dst_sel:DWORD dst_unused:UNUSED_PAD src0_sel:WORD_0 src1_sel:DWORD
.LBB1696_89:
	s_or_b32 exec_lo, exec_lo, s2
	v_add_nc_u32_e32 v6, 9, v34
                                        ; implicit-def: $vgpr8
	v_cmp_le_u32_e32 vcc_lo, s5, v6
                                        ; implicit-def: $vgpr6
	s_and_saveexec_b32 s1, vcc_lo
	s_xor_b32 s1, exec_lo, s1
	s_cbranch_execz .LBB1696_91
; %bb.90:
	v_lshrrev_b32_e32 v6, 24, v9
	v_mov_b32_e32 v8, 8
	v_mov_b32_e32 v10, 0xff
	v_perm_b32 v5, v5, v5, 0x3060504
	v_perm_b32 v6, v6, v9, 0x40c0100
	v_mov_b32_e32 v9, 24
	v_and_b32_sdwa v10, v7, v10 dst_sel:DWORD dst_unused:UNUSED_PAD src0_sel:WORD_1 src1_sel:DWORD
	v_lshrrev_b32_sdwa v8, v8, v6 dst_sel:BYTE_1 dst_unused:UNUSED_PAD src0_sel:DWORD src1_sel:DWORD
	v_lshrrev_b32_sdwa v9, v9, v7 dst_sel:BYTE_1 dst_unused:UNUSED_PAD src0_sel:DWORD src1_sel:DWORD
	v_or_b32_sdwa v8, v6, v8 dst_sel:DWORD dst_unused:UNUSED_PAD src0_sel:BYTE_0 src1_sel:DWORD
	v_or_b32_e32 v9, v10, v9
	v_and_b32_e32 v10, 0xffff, v8
	v_perm_b32 v8, v9, v7, 0x5040c00
                                        ; implicit-def: $vgpr7
                                        ; implicit-def: $vgpr9
	v_and_or_b32 v6, 0xff000000, v6, v10
.LBB1696_91:
	s_andn2_saveexec_b32 s2, s1
	s_cbranch_execz .LBB1696_95
; %bb.92:
	v_add_nc_u32_e32 v6, s17, v16
	v_add_nc_u32_e32 v8, s19, v16
	s_mov_b32 s3, 0
	s_mov_b32 s4, exec_lo
	v_mul_lo_u32 v6, v6, s16
	v_mul_lo_u32 v8, v8, s18
	v_sub_nc_u32_e32 v6, v6, v8
	v_cmp_lt_u32_e32 vcc_lo, s20, v6
	v_cmpx_ge_u32_e64 s20, v6
	s_cbranch_execz .LBB1696_94
; %bb.93:
	v_add_nc_u32_e32 v6, s22, v16
	v_add_nc_u32_e32 v8, s38, v16
	v_mul_lo_u32 v6, v6, s21
	v_mul_lo_u32 v8, v8, s23
	v_sub_nc_u32_e32 v6, v6, v8
	v_cmp_lt_u32_e64 s1, s39, v6
	s_and_b32 s3, s1, exec_lo
.LBB1696_94:
	s_or_b32 exec_lo, exec_lo, s4
	v_cndmask_b32_e64 v6, 0, 1, vcc_lo
	v_mov_b32_e32 v8, 24
	v_mov_b32_e32 v10, 0xff
	;; [unrolled: 1-line block ×3, first 2 shown]
	v_cndmask_b32_e64 v12, 0, 1, s3
	v_lshlrev_b16 v6, 8, v6
	v_lshrrev_b32_sdwa v25, v8, v7 dst_sel:BYTE_1 dst_unused:UNUSED_PAD src0_sel:DWORD src1_sel:DWORD
	v_and_b32_sdwa v10, v7, v10 dst_sel:DWORD dst_unused:UNUSED_PAD src0_sel:WORD_1 src1_sel:DWORD
	v_lshrrev_b32_sdwa v11, v11, v9 dst_sel:BYTE_1 dst_unused:UNUSED_PAD src0_sel:DWORD src1_sel:DWORD
	v_lshrrev_b32_sdwa v8, v8, v9 dst_sel:BYTE_1 dst_unused:UNUSED_PAD src0_sel:DWORD src1_sel:DWORD
	v_or_b32_sdwa v6, v7, v6 dst_sel:DWORD dst_unused:UNUSED_PAD src0_sel:BYTE_0 src1_sel:DWORD
	v_or_b32_sdwa v7, v10, v25 dst_sel:WORD_1 dst_unused:UNUSED_PAD src0_sel:DWORD src1_sel:DWORD
	v_or_b32_sdwa v9, v9, v11 dst_sel:DWORD dst_unused:UNUSED_PAD src0_sel:BYTE_0 src1_sel:DWORD
	v_or_b32_sdwa v10, v12, v8 dst_sel:WORD_1 dst_unused:UNUSED_PAD src0_sel:DWORD src1_sel:DWORD
	v_or_b32_sdwa v8, v6, v7 dst_sel:DWORD dst_unused:UNUSED_PAD src0_sel:WORD_0 src1_sel:DWORD
	v_or_b32_sdwa v6, v9, v10 dst_sel:DWORD dst_unused:UNUSED_PAD src0_sel:WORD_0 src1_sel:DWORD
.LBB1696_95:
	s_or_b32 exec_lo, exec_lo, s2
	v_add_nc_u32_e32 v7, 10, v34
                                        ; implicit-def: $vgpr38
	v_cmp_le_u32_e32 vcc_lo, s5, v7
                                        ; implicit-def: $vgpr7
	s_and_saveexec_b32 s1, vcc_lo
	s_xor_b32 s1, exec_lo, s1
	s_cbranch_execz .LBB1696_97
; %bb.96:
	v_lshrrev_b32_e32 v7, 24, v8
	v_mov_b32_e32 v9, 8
	v_perm_b32 v5, v5, v5, 0x3060504
	v_perm_b32 v7, v7, v8, 0x40c0100
	v_lshrrev_b32_sdwa v8, v9, v7 dst_sel:BYTE_1 dst_unused:UNUSED_PAD src0_sel:DWORD src1_sel:DWORD
	v_and_b32_e32 v9, 0xff0000, v6
	v_or_b32_sdwa v8, v7, v8 dst_sel:DWORD dst_unused:UNUSED_PAD src0_sel:BYTE_0 src1_sel:DWORD
	v_perm_b32 v38, v6, v9, 0x3020504
                                        ; implicit-def: $vgpr6
	v_and_b32_e32 v8, 0xffff, v8
	v_and_or_b32 v7, 0xff000000, v7, v8
                                        ; implicit-def: $vgpr8
.LBB1696_97:
	s_andn2_saveexec_b32 s2, s1
	s_cbranch_execz .LBB1696_101
; %bb.98:
	v_add_nc_u32_e32 v7, s17, v13
	v_add_nc_u32_e32 v9, s19, v13
	s_mov_b32 s3, 0
	s_mov_b32 s4, exec_lo
	v_mul_lo_u32 v7, v7, s16
	v_mul_lo_u32 v9, v9, s18
	v_sub_nc_u32_e32 v7, v7, v9
	v_cmp_lt_u32_e32 vcc_lo, s20, v7
	v_cmpx_ge_u32_e64 s20, v7
	s_cbranch_execz .LBB1696_100
; %bb.99:
	v_add_nc_u32_e32 v7, s22, v13
	v_add_nc_u32_e32 v9, s38, v13
	v_mul_lo_u32 v7, v7, s21
	v_mul_lo_u32 v9, v9, s23
	v_sub_nc_u32_e32 v7, v7, v9
	v_cmp_lt_u32_e64 s1, s39, v7
	s_and_b32 s3, s1, exec_lo
.LBB1696_100:
	s_or_b32 exec_lo, exec_lo, s4
	v_mov_b32_e32 v7, 8
	v_mov_b32_e32 v9, 24
	v_cndmask_b32_e64 v11, 0, 1, s3
	v_mov_b32_e32 v12, 0xff
	v_cndmask_b32_e64 v10, 0, 1, vcc_lo
	v_lshrrev_b32_sdwa v25, v7, v8 dst_sel:BYTE_1 dst_unused:UNUSED_PAD src0_sel:DWORD src1_sel:DWORD
	v_lshrrev_b32_sdwa v9, v9, v8 dst_sel:BYTE_1 dst_unused:UNUSED_PAD src0_sel:DWORD src1_sel:DWORD
	;; [unrolled: 1-line block ×3, first 2 shown]
	v_lshlrev_b16 v11, 8, v11
	v_and_b32_sdwa v12, v6, v12 dst_sel:DWORD dst_unused:UNUSED_PAD src0_sel:WORD_1 src1_sel:DWORD
	v_or_b32_sdwa v8, v8, v25 dst_sel:DWORD dst_unused:UNUSED_PAD src0_sel:BYTE_0 src1_sel:DWORD
	v_or_b32_sdwa v9, v10, v9 dst_sel:WORD_1 dst_unused:UNUSED_PAD src0_sel:DWORD src1_sel:DWORD
	v_or_b32_sdwa v6, v6, v7 dst_sel:DWORD dst_unused:UNUSED_PAD src0_sel:BYTE_0 src1_sel:DWORD
	v_or_b32_sdwa v10, v12, v11 dst_sel:WORD_1 dst_unused:UNUSED_PAD src0_sel:DWORD src1_sel:DWORD
	v_or_b32_sdwa v7, v8, v9 dst_sel:DWORD dst_unused:UNUSED_PAD src0_sel:WORD_0 src1_sel:DWORD
	v_or_b32_sdwa v38, v6, v10 dst_sel:DWORD dst_unused:UNUSED_PAD src0_sel:WORD_0 src1_sel:DWORD
.LBB1696_101:
	s_or_b32 exec_lo, exec_lo, s2
	v_add_nc_u32_e32 v6, 11, v34
	v_mov_b32_e32 v39, 0
	s_mov_b32 s1, exec_lo
                                        ; implicit-def: $vgpr40
	v_cmpx_le_u32_e64 s5, v6
	s_xor_b32 s1, exec_lo, s1
; %bb.102:
	v_and_b32_e32 v6, 0xff0000, v7
	v_perm_b32 v5, v5, v5, 0x3060504
	v_perm_b32 v40, v7, v6, 0x3020504
                                        ; implicit-def: $vgpr7
; %bb.103:
	s_andn2_saveexec_b32 s2, s1
	s_cbranch_execz .LBB1696_107
; %bb.104:
	v_add_nc_u32_e32 v6, s17, v14
	v_add_nc_u32_e32 v8, s19, v14
	s_mov_b32 s3, 0
	s_mov_b32 s4, exec_lo
	v_mul_lo_u32 v6, v6, s16
	v_mul_lo_u32 v8, v8, s18
	v_sub_nc_u32_e32 v6, v6, v8
	v_cmp_lt_u32_e32 vcc_lo, s20, v6
	v_cmpx_ge_u32_e64 s20, v6
	s_cbranch_execz .LBB1696_106
; %bb.105:
	v_add_nc_u32_e32 v6, s22, v14
	v_add_nc_u32_e32 v8, s38, v14
	v_mul_lo_u32 v6, v6, s21
	v_mul_lo_u32 v8, v8, s23
	v_sub_nc_u32_e32 v6, v6, v8
	v_cmp_lt_u32_e64 s1, s39, v6
	s_and_b32 s3, s1, exec_lo
.LBB1696_106:
	s_or_b32 exec_lo, exec_lo, s4
	v_mov_b32_e32 v6, 8
	v_cndmask_b32_e64 v8, 0, 1, vcc_lo
	v_mov_b32_e32 v9, 0xff
	v_cndmask_b32_e64 v39, 0, 1, s3
	v_lshrrev_b32_sdwa v6, v6, v7 dst_sel:BYTE_1 dst_unused:UNUSED_PAD src0_sel:DWORD src1_sel:DWORD
	v_lshlrev_b16 v8, 8, v8
	v_and_b32_sdwa v9, v7, v9 dst_sel:DWORD dst_unused:UNUSED_PAD src0_sel:WORD_1 src1_sel:DWORD
	v_or_b32_sdwa v6, v7, v6 dst_sel:DWORD dst_unused:UNUSED_PAD src0_sel:BYTE_0 src1_sel:DWORD
	v_or_b32_sdwa v7, v9, v8 dst_sel:WORD_1 dst_unused:UNUSED_PAD src0_sel:DWORD src1_sel:DWORD
	v_or_b32_sdwa v40, v6, v7 dst_sel:DWORD dst_unused:UNUSED_PAD src0_sel:WORD_0 src1_sel:DWORD
.LBB1696_107:
	s_or_b32 exec_lo, exec_lo, s2
	v_add_nc_u32_e32 v6, 12, v34
	s_mov_b32 s1, exec_lo
                                        ; implicit-def: $vgpr41
	v_cmpx_le_u32_e64 s5, v6
	s_xor_b32 s1, exec_lo, s1
	s_cbranch_execz .LBB1696_109
; %bb.108:
	v_mov_b32_e32 v6, 24
	v_mov_b32_e32 v7, 0xff
	;; [unrolled: 1-line block ×3, first 2 shown]
	v_lshrrev_b32_sdwa v6, v6, v5 dst_sel:BYTE_1 dst_unused:UNUSED_PAD src0_sel:DWORD src1_sel:DWORD
	v_and_b32_sdwa v7, v5, v7 dst_sel:DWORD dst_unused:UNUSED_PAD src0_sel:WORD_1 src1_sel:DWORD
	v_lshrrev_b32_sdwa v5, v8, v5 dst_sel:BYTE_1 dst_unused:UNUSED_PAD src0_sel:DWORD src1_sel:DWORD
	v_or_b32_sdwa v6, v7, v6 dst_sel:WORD_1 dst_unused:UNUSED_PAD src0_sel:DWORD src1_sel:DWORD
	v_or_b32_sdwa v41, v5, v6 dst_sel:DWORD dst_unused:UNUSED_PAD src0_sel:WORD_0 src1_sel:DWORD
                                        ; implicit-def: $vgpr5
.LBB1696_109:
	s_or_saveexec_b32 s2, s1
	v_mov_b32_e32 v42, 0
	s_xor_b32 exec_lo, exec_lo, s2
	s_cbranch_execz .LBB1696_113
; %bb.110:
	v_add_nc_u32_e32 v6, s17, v33
	v_add_nc_u32_e32 v7, s19, v33
	s_mov_b32 s3, 0
	s_mov_b32 s4, exec_lo
	v_mul_lo_u32 v6, v6, s16
	v_mul_lo_u32 v7, v7, s18
	v_sub_nc_u32_e32 v6, v6, v7
	v_cmp_lt_u32_e32 vcc_lo, s20, v6
	v_cmpx_ge_u32_e64 s20, v6
	s_cbranch_execz .LBB1696_112
; %bb.111:
	v_add_nc_u32_e32 v6, s22, v33
	v_add_nc_u32_e32 v7, s38, v33
	v_mul_lo_u32 v6, v6, s21
	v_mul_lo_u32 v7, v7, s23
	v_sub_nc_u32_e32 v6, v6, v7
	v_cmp_lt_u32_e64 s1, s39, v6
	s_and_b32 s3, s1, exec_lo
.LBB1696_112:
	s_or_b32 exec_lo, exec_lo, s4
	v_mov_b32_e32 v6, 24
	v_mov_b32_e32 v7, 0xff
	;; [unrolled: 1-line block ×3, first 2 shown]
	v_cndmask_b32_e64 v9, 0, 1, vcc_lo
	v_cndmask_b32_e64 v42, 0, 1, s3
	v_lshrrev_b32_sdwa v6, v6, v5 dst_sel:BYTE_1 dst_unused:UNUSED_PAD src0_sel:DWORD src1_sel:DWORD
	v_and_b32_sdwa v7, v5, v7 dst_sel:DWORD dst_unused:UNUSED_PAD src0_sel:WORD_1 src1_sel:DWORD
	v_lshrrev_b32_sdwa v5, v8, v5 dst_sel:BYTE_1 dst_unused:UNUSED_PAD src0_sel:DWORD src1_sel:DWORD
	v_or_b32_sdwa v6, v7, v6 dst_sel:WORD_1 dst_unused:UNUSED_PAD src0_sel:DWORD src1_sel:DWORD
	v_or_b32_e32 v5, v9, v5
	v_or_b32_sdwa v41, v5, v6 dst_sel:DWORD dst_unused:UNUSED_PAD src0_sel:WORD_0 src1_sel:DWORD
.LBB1696_113:
	s_or_b32 exec_lo, exec_lo, s2
.LBB1696_114:
	v_and_b32_e32 v65, 0xff, v35
	v_bfe_u32 v66, v41, 8, 8
	v_bfe_u32 v62, v35, 8, 8
	;; [unrolled: 1-line block ×4, first 2 shown]
	v_lshrrev_b32_e32 v48, 24, v41
	v_lshrrev_b32_e32 v47, 24, v35
	v_and_b32_e32 v61, 0xff, v36
	v_and_b32_e32 v59, 0xff, v37
	v_bfe_u32 v60, v36, 8, 8
	v_add3_u32 v5, v62, v65, v64
	v_add3_u32 v6, v63, v66, v48
	v_bfe_u32 v57, v37, 8, 8
	v_bfe_u32 v58, v36, 16, 8
	;; [unrolled: 1-line block ×3, first 2 shown]
	v_lshrrev_b32_e32 v46, 24, v36
	v_add3_u32 v5, v5, v47, v59
	v_add3_u32 v6, v6, v61, v60
	v_lshrrev_b32_e32 v45, 24, v37
	v_and_b32_e32 v56, 0xff, v38
	v_and_b32_e32 v54, 0xff, v40
	v_bfe_u32 v55, v38, 8, 8
	v_add3_u32 v5, v5, v57, v52
	v_add3_u32 v6, v6, v58, v46
	v_bfe_u32 v51, v40, 8, 8
	v_bfe_u32 v53, v38, 16, 8
	;; [unrolled: 1-line block ×3, first 2 shown]
	v_lshrrev_b32_e32 v44, 24, v38
	v_add3_u32 v5, v5, v45, v54
	v_add3_u32 v6, v6, v56, v55
	v_mbcnt_lo_u32_b32 v67, -1, 0
	v_lshrrev_b32_e32 v43, 24, v40
	v_and_b32_e32 v50, 0xff, v39
	v_and_b32_e32 v7, 0xff, v41
	;; [unrolled: 1-line block ×3, first 2 shown]
	v_add3_u32 v5, v5, v51, v49
	v_add3_u32 v6, v6, v53, v44
	v_and_b32_e32 v69, 15, v67
	v_and_b32_e32 v71, 16, v67
	v_lshrrev_b32_e32 v68, 5, v0
	v_add3_u32 v72, v5, v43, v7
	v_add3_u32 v73, v6, v50, v8
	v_cmp_eq_u32_e64 s2, 0, v69
	v_cmp_lt_u32_e64 s1, 1, v69
	v_cmp_lt_u32_e64 s3, 3, v69
	v_or_b32_e32 v70, 31, v0
	s_cmp_lg_u32 s27, 0
	s_mov_b32 s4, -1
	v_cmp_lt_u32_e32 vcc_lo, 7, v69
	s_cbranch_scc0 .LBB1696_136
; %bb.115:
	v_mov_b32_dpp v5, v73 row_shr:1 row_mask:0xf bank_mask:0xf
	v_mov_b32_dpp v6, v72 row_shr:1 row_mask:0xf bank_mask:0xf
	s_mov_b32 s4, exec_lo
	v_add_nc_u32_e32 v5, v5, v73
	v_add_nc_u32_e32 v6, v6, v72
	v_cndmask_b32_e64 v5, v5, v73, s2
	v_cndmask_b32_e64 v6, v6, v72, s2
	v_mov_b32_dpp v7, v5 row_shr:2 row_mask:0xf bank_mask:0xf
	v_mov_b32_dpp v8, v6 row_shr:2 row_mask:0xf bank_mask:0xf
	v_add_nc_u32_e32 v7, v5, v7
	v_add_nc_u32_e32 v8, v6, v8
	v_cndmask_b32_e64 v5, v5, v7, s1
	v_cndmask_b32_e64 v6, v6, v8, s1
	v_mov_b32_dpp v7, v5 row_shr:4 row_mask:0xf bank_mask:0xf
	v_mov_b32_dpp v8, v6 row_shr:4 row_mask:0xf bank_mask:0xf
	;; [unrolled: 6-line block ×3, first 2 shown]
	v_add_nc_u32_e32 v7, v5, v7
	v_add_nc_u32_e32 v8, v6, v8
	v_cndmask_b32_e32 v5, v5, v7, vcc_lo
	v_cndmask_b32_e32 v6, v6, v8, vcc_lo
	v_cmp_eq_u32_e32 vcc_lo, 0, v71
	ds_swizzle_b32 v7, v5 offset:swizzle(BROADCAST,32,15)
	ds_swizzle_b32 v8, v6 offset:swizzle(BROADCAST,32,15)
	s_waitcnt lgkmcnt(1)
	v_add_nc_u32_e32 v7, v5, v7
	s_waitcnt lgkmcnt(0)
	v_add_nc_u32_e32 v8, v6, v8
	v_cmpx_eq_u32_e64 v0, v70
	s_cbranch_execz .LBB1696_117
; %bb.116:
	v_lshlrev_b32_e32 v11, 3, v68
	v_cndmask_b32_e32 v10, v7, v5, vcc_lo
	v_cndmask_b32_e32 v9, v8, v6, vcc_lo
	ds_write_b64 v11, v[9:10]
.LBB1696_117:
	s_or_b32 exec_lo, exec_lo, s4
	s_mov_b32 s4, exec_lo
	s_waitcnt lgkmcnt(0)
	s_barrier
	buffer_gl0_inv
	v_cmpx_gt_u32_e32 8, v0
	s_cbranch_execz .LBB1696_119
; %bb.118:
	v_lshlrev_b32_e32 v11, 3, v0
	v_and_b32_e32 v26, 7, v67
	ds_read_b64 v[9:10], v11
	v_cmp_eq_u32_e64 s3, 0, v26
	s_waitcnt lgkmcnt(0)
	v_mov_b32_dpp v12, v9 row_shr:1 row_mask:0xf bank_mask:0xf
	v_mov_b32_dpp v25, v10 row_shr:1 row_mask:0xf bank_mask:0xf
	v_add_nc_u32_e32 v12, v12, v9
	v_add_nc_u32_e32 v25, v25, v10
	v_cndmask_b32_e64 v9, v12, v9, s3
	v_cndmask_b32_e64 v10, v25, v10, s3
	v_cmp_lt_u32_e64 s3, 1, v26
	v_mov_b32_dpp v12, v9 row_shr:2 row_mask:0xf bank_mask:0xf
	v_mov_b32_dpp v25, v10 row_shr:2 row_mask:0xf bank_mask:0xf
	v_add_nc_u32_e32 v12, v9, v12
	v_add_nc_u32_e32 v25, v10, v25
	v_cndmask_b32_e64 v9, v9, v12, s3
	v_cndmask_b32_e64 v10, v10, v25, s3
	v_cmp_lt_u32_e64 s3, 3, v26
	v_mov_b32_dpp v12, v9 row_shr:4 row_mask:0xf bank_mask:0xf
	v_mov_b32_dpp v25, v10 row_shr:4 row_mask:0xf bank_mask:0xf
	v_cndmask_b32_e64 v12, 0, v12, s3
	v_cndmask_b32_e64 v25, 0, v25, s3
	v_add_nc_u32_e32 v9, v12, v9
	v_add_nc_u32_e32 v10, v25, v10
	ds_write_b64 v11, v[9:10]
.LBB1696_119:
	s_or_b32 exec_lo, exec_lo, s4
	v_cndmask_b32_e32 v5, v7, v5, vcc_lo
	v_cndmask_b32_e32 v6, v8, v6, vcc_lo
	s_mov_b32 s4, exec_lo
	v_cmp_gt_u32_e32 vcc_lo, 32, v0
	s_waitcnt lgkmcnt(0)
	s_barrier
	buffer_gl0_inv
                                        ; implicit-def: $vgpr25
	v_cmpx_lt_u32_e32 31, v0
	s_cbranch_execz .LBB1696_121
; %bb.120:
	v_lshl_add_u32 v7, v68, 3, -8
	ds_read_b64 v[25:26], v7
	s_waitcnt lgkmcnt(0)
	v_add_nc_u32_e32 v5, v26, v5
	v_add_nc_u32_e32 v6, v25, v6
.LBB1696_121:
	s_or_b32 exec_lo, exec_lo, s4
	v_sub_co_u32 v7, s3, v67, 1
	v_cmp_gt_i32_e64 s4, 0, v7
	v_cndmask_b32_e64 v7, v7, v67, s4
	v_lshlrev_b32_e32 v7, 2, v7
	ds_bpermute_b32 v74, v7, v6
	ds_bpermute_b32 v75, v7, v5
	s_and_saveexec_b32 s4, vcc_lo
	s_cbranch_execz .LBB1696_141
; %bb.122:
	v_mov_b32_e32 v8, 0
	ds_read_b64 v[5:6], v8 offset:56
	s_and_saveexec_b32 s6, s3
	s_cbranch_execz .LBB1696_124
; %bb.123:
	s_add_i32 s8, s27, 32
	s_mov_b32 s9, 0
	v_mov_b32_e32 v7, 1
	s_lshl_b64 s[8:9], s[8:9], 4
	s_add_u32 s8, s36, s8
	s_addc_u32 s9, s37, s9
	v_mov_b32_e32 v10, s9
	v_mov_b32_e32 v9, s8
	s_waitcnt lgkmcnt(0)
	;;#ASMSTART
	global_store_dwordx4 v[9:10], v[5:8] off	
s_waitcnt vmcnt(0)
	;;#ASMEND
.LBB1696_124:
	s_or_b32 exec_lo, exec_lo, s6
	v_xad_u32 v27, v67, -1, s27
	s_mov_b32 s7, 0
	v_add_nc_u32_e32 v7, 32, v27
	v_lshlrev_b64 v[9:10], 4, v[7:8]
	v_add_co_u32 v28, vcc_lo, s36, v9
	v_add_co_ci_u32_e64 v29, null, s37, v10, vcc_lo
	;;#ASMSTART
	global_load_dwordx4 v[9:12], v[28:29] off glc dlc	
s_waitcnt vmcnt(0)
	;;#ASMEND
	v_cmp_eq_u16_sdwa s8, v11, v8 src0_sel:BYTE_0 src1_sel:DWORD
	s_and_saveexec_b32 s6, s8
	s_cbranch_execz .LBB1696_128
; %bb.125:
	v_mov_b32_e32 v7, 0
.LBB1696_126:                           ; =>This Inner Loop Header: Depth=1
	;;#ASMSTART
	global_load_dwordx4 v[9:12], v[28:29] off glc dlc	
s_waitcnt vmcnt(0)
	;;#ASMEND
	v_cmp_ne_u16_sdwa s8, v11, v7 src0_sel:BYTE_0 src1_sel:DWORD
	s_or_b32 s7, s8, s7
	s_andn2_b32 exec_lo, exec_lo, s7
	s_cbranch_execnz .LBB1696_126
; %bb.127:
	s_or_b32 exec_lo, exec_lo, s7
.LBB1696_128:
	s_or_b32 exec_lo, exec_lo, s6
	v_cmp_ne_u32_e32 vcc_lo, 31, v67
	v_mov_b32_e32 v77, 2
	v_lshlrev_b32_e64 v78, v67, -1
	v_add_nc_u32_e32 v80, 2, v67
	v_add_nc_u32_e32 v82, 4, v67
	v_add_co_ci_u32_e64 v7, null, 0, v67, vcc_lo
	v_cmp_eq_u16_sdwa s6, v11, v77 src0_sel:BYTE_0 src1_sel:DWORD
	v_cmp_gt_u32_e32 vcc_lo, 30, v67
	v_add_nc_u32_e32 v84, 8, v67
	v_lshlrev_b32_e32 v76, 2, v7
	v_lshl_or_b32 v85, v67, 2, 64
	v_and_b32_e32 v12, s6, v78
	v_cndmask_b32_e64 v28, 0, 2, vcc_lo
	v_add_nc_u32_e32 v86, 16, v67
	ds_bpermute_b32 v7, v76, v10
	ds_bpermute_b32 v8, v76, v9
	v_or_b32_e32 v12, 0x80000000, v12
	v_add_lshl_u32 v79, v28, v67, 2
	v_ffbl_b32_e32 v12, v12
	v_cmp_lt_u32_e32 vcc_lo, v67, v12
	s_waitcnt lgkmcnt(1)
	v_add_nc_u32_e32 v7, v7, v10
	s_waitcnt lgkmcnt(0)
	v_add_nc_u32_e32 v8, v8, v9
	v_cndmask_b32_e32 v7, v10, v7, vcc_lo
	v_cndmask_b32_e32 v8, v9, v8, vcc_lo
	v_cmp_gt_u32_e32 vcc_lo, 28, v67
	ds_bpermute_b32 v9, v79, v7
	ds_bpermute_b32 v10, v79, v8
	v_cndmask_b32_e64 v28, 0, 4, vcc_lo
	v_cmp_gt_u32_e32 vcc_lo, v80, v12
	v_add_lshl_u32 v81, v28, v67, 2
	s_waitcnt lgkmcnt(1)
	v_add_nc_u32_e32 v9, v7, v9
	s_waitcnt lgkmcnt(0)
	v_add_nc_u32_e32 v10, v8, v10
	v_cndmask_b32_e32 v7, v9, v7, vcc_lo
	v_cndmask_b32_e32 v8, v10, v8, vcc_lo
	v_cmp_gt_u32_e32 vcc_lo, 24, v67
	ds_bpermute_b32 v9, v81, v7
	ds_bpermute_b32 v10, v81, v8
	v_cndmask_b32_e64 v28, 0, 8, vcc_lo
	v_cmp_gt_u32_e32 vcc_lo, v82, v12
	v_add_lshl_u32 v83, v28, v67, 2
	v_mov_b32_e32 v28, 0
	s_waitcnt lgkmcnt(1)
	v_add_nc_u32_e32 v9, v7, v9
	s_waitcnt lgkmcnt(0)
	v_add_nc_u32_e32 v10, v8, v10
	v_cndmask_b32_e32 v7, v9, v7, vcc_lo
	v_cndmask_b32_e32 v8, v10, v8, vcc_lo
	v_cmp_gt_u32_e32 vcc_lo, v84, v12
	ds_bpermute_b32 v9, v83, v7
	ds_bpermute_b32 v10, v83, v8
	s_waitcnt lgkmcnt(1)
	v_add_nc_u32_e32 v9, v7, v9
	s_waitcnt lgkmcnt(0)
	v_add_nc_u32_e32 v10, v8, v10
	v_cndmask_b32_e32 v7, v9, v7, vcc_lo
	v_cndmask_b32_e32 v8, v10, v8, vcc_lo
	v_cmp_le_u32_e32 vcc_lo, v86, v12
	ds_bpermute_b32 v10, v85, v7
	ds_bpermute_b32 v9, v85, v8
	s_waitcnt lgkmcnt(1)
	v_cndmask_b32_e32 v10, 0, v10, vcc_lo
	s_waitcnt lgkmcnt(0)
	v_cndmask_b32_e32 v9, 0, v9, vcc_lo
	v_add_nc_u32_e32 v10, v10, v7
	v_add_nc_u32_e32 v9, v9, v8
	s_branch .LBB1696_132
.LBB1696_129:                           ;   in Loop: Header=BB1696_132 Depth=1
	s_or_b32 exec_lo, exec_lo, s7
.LBB1696_130:                           ;   in Loop: Header=BB1696_132 Depth=1
	s_or_b32 exec_lo, exec_lo, s6
	ds_bpermute_b32 v12, v76, v9
	ds_bpermute_b32 v29, v76, v10
	v_cmp_eq_u16_sdwa s6, v11, v77 src0_sel:BYTE_0 src1_sel:DWORD
	v_subrev_nc_u32_e32 v27, 32, v27
	v_and_or_b32 v30, s6, v78, 0x80000000
	s_mov_b32 s6, 0
	v_ffbl_b32_e32 v30, v30
	v_cmp_lt_u32_e32 vcc_lo, v67, v30
	s_waitcnt lgkmcnt(1)
	v_add_nc_u32_e32 v12, v12, v9
	s_waitcnt lgkmcnt(0)
	v_add_nc_u32_e32 v29, v29, v10
	v_cndmask_b32_e32 v9, v9, v12, vcc_lo
	v_cndmask_b32_e32 v10, v10, v29, vcc_lo
	v_cmp_gt_u32_e32 vcc_lo, v80, v30
	ds_bpermute_b32 v12, v79, v9
	ds_bpermute_b32 v29, v79, v10
	s_waitcnt lgkmcnt(1)
	v_add_nc_u32_e32 v12, v9, v12
	s_waitcnt lgkmcnt(0)
	v_add_nc_u32_e32 v29, v10, v29
	v_cndmask_b32_e32 v9, v12, v9, vcc_lo
	v_cndmask_b32_e32 v10, v29, v10, vcc_lo
	v_cmp_gt_u32_e32 vcc_lo, v82, v30
	ds_bpermute_b32 v12, v81, v9
	ds_bpermute_b32 v29, v81, v10
	;; [unrolled: 9-line block ×3, first 2 shown]
	s_waitcnt lgkmcnt(1)
	v_add_nc_u32_e32 v12, v9, v12
	s_waitcnt lgkmcnt(0)
	v_add_nc_u32_e32 v29, v10, v29
	v_cndmask_b32_e32 v9, v12, v9, vcc_lo
	v_cndmask_b32_e32 v10, v29, v10, vcc_lo
	v_cmp_le_u32_e32 vcc_lo, v86, v30
	ds_bpermute_b32 v12, v85, v9
	ds_bpermute_b32 v29, v85, v10
	s_waitcnt lgkmcnt(1)
	v_cndmask_b32_e32 v12, 0, v12, vcc_lo
	s_waitcnt lgkmcnt(0)
	v_cndmask_b32_e32 v29, 0, v29, vcc_lo
	v_add3_u32 v9, v9, v7, v12
	v_add3_u32 v10, v10, v8, v29
.LBB1696_131:                           ;   in Loop: Header=BB1696_132 Depth=1
	s_and_b32 vcc_lo, exec_lo, s6
	s_cbranch_vccnz .LBB1696_137
.LBB1696_132:                           ; =>This Loop Header: Depth=1
                                        ;     Child Loop BB1696_135 Depth 2
	v_cmp_ne_u16_sdwa s6, v11, v77 src0_sel:BYTE_0 src1_sel:DWORD
	v_mov_b32_e32 v7, v9
	v_mov_b32_e32 v8, v10
                                        ; implicit-def: $vgpr11
                                        ; implicit-def: $vgpr9_vgpr10
	s_cmp_lg_u32 s6, exec_lo
	s_mov_b32 s6, -1
	s_cbranch_scc1 .LBB1696_131
; %bb.133:                              ;   in Loop: Header=BB1696_132 Depth=1
	v_lshlrev_b64 v[9:10], 4, v[27:28]
	v_add_co_u32 v29, vcc_lo, s36, v9
	v_add_co_ci_u32_e64 v30, null, s37, v10, vcc_lo
	;;#ASMSTART
	global_load_dwordx4 v[9:12], v[29:30] off glc dlc	
s_waitcnt vmcnt(0)
	;;#ASMEND
	v_cmp_eq_u16_sdwa s7, v11, v28 src0_sel:BYTE_0 src1_sel:DWORD
	s_and_saveexec_b32 s6, s7
	s_cbranch_execz .LBB1696_130
; %bb.134:                              ;   in Loop: Header=BB1696_132 Depth=1
	s_mov_b32 s7, 0
.LBB1696_135:                           ;   Parent Loop BB1696_132 Depth=1
                                        ; =>  This Inner Loop Header: Depth=2
	;;#ASMSTART
	global_load_dwordx4 v[9:12], v[29:30] off glc dlc	
s_waitcnt vmcnt(0)
	;;#ASMEND
	v_cmp_ne_u16_sdwa s8, v11, v28 src0_sel:BYTE_0 src1_sel:DWORD
	s_or_b32 s7, s8, s7
	s_andn2_b32 exec_lo, exec_lo, s7
	s_cbranch_execnz .LBB1696_135
	s_branch .LBB1696_129
.LBB1696_136:
                                        ; implicit-def: $vgpr25
                                        ; implicit-def: $vgpr7
                                        ; implicit-def: $vgpr26
	s_and_b32 vcc_lo, exec_lo, s4
	s_cbranch_vccnz .LBB1696_142
	s_branch .LBB1696_151
.LBB1696_137:
	s_and_saveexec_b32 s6, s3
	s_cbranch_execnz .LBB1696_379
; %bb.138:
	s_or_b32 exec_lo, exec_lo, s6
	s_and_saveexec_b32 s6, s3
	s_cbranch_execnz .LBB1696_380
.LBB1696_139:
	s_or_b32 exec_lo, exec_lo, s6
	s_and_b32 exec_lo, exec_lo, s0
.LBB1696_140:
	v_mov_b32_e32 v5, 0
	ds_write_b64 v5, v[7:8] offset:56
.LBB1696_141:
	s_or_b32 exec_lo, exec_lo, s4
	v_mov_b32_e32 v5, 0
	s_waitcnt lgkmcnt(0)
	s_barrier
	buffer_gl0_inv
	v_cndmask_b32_e64 v11, v75, v26, s3
	ds_read_b64 v[9:10], v5 offset:56
	s_waitcnt lgkmcnt(0)
	s_barrier
	buffer_gl0_inv
	ds_read_b128 v[5:8], v5 offset:13312
	v_cndmask_b32_e64 v12, v74, v25, s3
	v_add_nc_u32_e32 v11, v10, v11
	v_add_nc_u32_e32 v12, v9, v12
	v_cndmask_b32_e64 v25, v11, v10, s0
	v_cndmask_b32_e64 v26, v12, v9, s0
	s_branch .LBB1696_151
.LBB1696_142:
	s_waitcnt lgkmcnt(0)
	v_mov_b32_dpp v5, v72 row_shr:1 row_mask:0xf bank_mask:0xf
	v_mov_b32_dpp v6, v73 row_shr:1 row_mask:0xf bank_mask:0xf
	v_cmp_lt_u32_e32 vcc_lo, 3, v69
	v_add_nc_u32_e32 v5, v5, v72
	v_add_nc_u32_e32 v6, v6, v73
	v_cndmask_b32_e64 v5, v5, v72, s2
	v_cndmask_b32_e64 v6, v6, v73, s2
	s_mov_b32 s2, exec_lo
	v_mov_b32_dpp v7, v5 row_shr:2 row_mask:0xf bank_mask:0xf
	v_mov_b32_dpp v8, v6 row_shr:2 row_mask:0xf bank_mask:0xf
	v_add_nc_u32_e32 v7, v5, v7
	v_add_nc_u32_e32 v8, v6, v8
	v_cndmask_b32_e64 v5, v5, v7, s1
	v_cndmask_b32_e64 v6, v6, v8, s1
	v_mov_b32_dpp v7, v5 row_shr:4 row_mask:0xf bank_mask:0xf
	v_mov_b32_dpp v8, v6 row_shr:4 row_mask:0xf bank_mask:0xf
	v_add_nc_u32_e32 v7, v5, v7
	v_add_nc_u32_e32 v8, v6, v8
	v_cndmask_b32_e32 v7, v5, v7, vcc_lo
	v_cndmask_b32_e32 v6, v6, v8, vcc_lo
	v_cmp_lt_u32_e32 vcc_lo, 7, v69
	v_mov_b32_dpp v5, v7 row_shr:8 row_mask:0xf bank_mask:0xf
	v_mov_b32_dpp v8, v6 row_shr:8 row_mask:0xf bank_mask:0xf
	v_add_nc_u32_e32 v9, v7, v5
	v_add_nc_u32_e32 v5, v6, v8
	v_cndmask_b32_e32 v5, v6, v5, vcc_lo
	v_cndmask_b32_e32 v6, v7, v9, vcc_lo
	v_cmp_eq_u32_e32 vcc_lo, 0, v71
	ds_swizzle_b32 v7, v5 offset:swizzle(BROADCAST,32,15)
	ds_swizzle_b32 v8, v6 offset:swizzle(BROADCAST,32,15)
	s_waitcnt lgkmcnt(1)
	v_add_nc_u32_e32 v7, v5, v7
	s_waitcnt lgkmcnt(0)
	v_add_nc_u32_e32 v8, v6, v8
	v_cmpx_eq_u32_e64 v0, v70
	s_cbranch_execz .LBB1696_144
; %bb.143:
	v_cndmask_b32_e32 v9, v8, v6, vcc_lo
	v_cndmask_b32_e32 v10, v7, v5, vcc_lo
	v_lshlrev_b32_e32 v11, 3, v68
	ds_write_b64 v11, v[9:10]
.LBB1696_144:
	s_or_b32 exec_lo, exec_lo, s2
	s_mov_b32 s2, exec_lo
	s_waitcnt lgkmcnt(0)
	s_barrier
	buffer_gl0_inv
	v_cmpx_gt_u32_e32 8, v0
	s_cbranch_execz .LBB1696_146
; %bb.145:
	v_lshlrev_b32_e32 v11, 3, v0
	v_and_b32_e32 v26, 7, v67
	ds_read_b64 v[9:10], v11
	v_cmp_eq_u32_e64 s1, 0, v26
	s_waitcnt lgkmcnt(0)
	v_mov_b32_dpp v12, v9 row_shr:1 row_mask:0xf bank_mask:0xf
	v_mov_b32_dpp v25, v10 row_shr:1 row_mask:0xf bank_mask:0xf
	v_add_nc_u32_e32 v12, v12, v9
	v_add_nc_u32_e32 v25, v25, v10
	v_cndmask_b32_e64 v9, v12, v9, s1
	v_cndmask_b32_e64 v10, v25, v10, s1
	v_cmp_lt_u32_e64 s1, 1, v26
	v_mov_b32_dpp v12, v9 row_shr:2 row_mask:0xf bank_mask:0xf
	v_mov_b32_dpp v25, v10 row_shr:2 row_mask:0xf bank_mask:0xf
	v_add_nc_u32_e32 v12, v9, v12
	v_add_nc_u32_e32 v25, v10, v25
	v_cndmask_b32_e64 v9, v9, v12, s1
	v_cndmask_b32_e64 v10, v10, v25, s1
	v_cmp_lt_u32_e64 s1, 3, v26
	v_mov_b32_dpp v12, v9 row_shr:4 row_mask:0xf bank_mask:0xf
	v_mov_b32_dpp v25, v10 row_shr:4 row_mask:0xf bank_mask:0xf
	v_cndmask_b32_e64 v12, 0, v12, s1
	v_cndmask_b32_e64 v25, 0, v25, s1
	v_add_nc_u32_e32 v9, v12, v9
	v_add_nc_u32_e32 v10, v25, v10
	ds_write_b64 v11, v[9:10]
.LBB1696_146:
	s_or_b32 exec_lo, exec_lo, s2
	v_mov_b32_e32 v11, 0
	v_mov_b32_e32 v9, 0
	;; [unrolled: 1-line block ×3, first 2 shown]
	s_mov_b32 s2, exec_lo
	s_waitcnt lgkmcnt(0)
	s_barrier
	buffer_gl0_inv
	v_cmpx_lt_u32_e32 31, v0
; %bb.147:
	v_lshl_add_u32 v9, v68, 3, -8
	ds_read_b64 v[9:10], v9
; %bb.148:
	s_or_b32 exec_lo, exec_lo, s2
	v_sub_co_u32 v12, s1, v67, 1
	v_cndmask_b32_e32 v6, v8, v6, vcc_lo
	v_cndmask_b32_e32 v5, v7, v5, vcc_lo
	v_cmp_gt_i32_e64 s2, 0, v12
	s_waitcnt lgkmcnt(0)
	v_add_nc_u32_e32 v6, v9, v6
	v_add_nc_u32_e32 v5, v10, v5
	v_cndmask_b32_e64 v8, v12, v67, s2
	v_lshlrev_b32_e32 v7, 2, v8
	ds_bpermute_b32 v12, v7, v6
	ds_bpermute_b32 v25, v7, v5
	ds_read_b64 v[5:6], v11 offset:56
	s_and_saveexec_b32 s2, s0
	s_cbranch_execz .LBB1696_150
; %bb.149:
	s_add_u32 s6, s36, 0x200
	s_addc_u32 s7, s37, 0
	v_mov_b32_e32 v7, 2
	v_mov_b32_e32 v27, s7
	v_mov_b32_e32 v8, 0
	v_mov_b32_e32 v26, s6
	s_waitcnt lgkmcnt(0)
	;;#ASMSTART
	global_store_dwordx4 v[26:27], v[5:8] off	
s_waitcnt vmcnt(0)
	;;#ASMEND
.LBB1696_150:
	s_or_b32 exec_lo, exec_lo, s2
	s_waitcnt lgkmcnt(1)
	v_cndmask_b32_e64 v7, v25, v10, s1
	v_cndmask_b32_e64 v9, v12, v9, s1
	v_mov_b32_e32 v8, 0
	s_waitcnt lgkmcnt(0)
	s_barrier
	v_cndmask_b32_e64 v25, v7, 0, s0
	v_cndmask_b32_e64 v26, v9, 0, s0
	v_mov_b32_e32 v7, 0
	buffer_gl0_inv
.LBB1696_151:
	v_add_nc_u32_e32 v30, v25, v66
	v_add_nc_u32_e32 v29, v26, v65
	s_waitcnt lgkmcnt(0)
	v_sub_nc_u32_e32 v25, v25, v8
	v_lshrrev_b32_e32 v28, 8, v41
	v_lshlrev_b32_e32 v69, 1, v5
	v_add_nc_u32_e32 v63, v30, v63
	v_sub_nc_u32_e32 v30, v30, v8
	v_add_nc_u32_e32 v62, v29, v62
	v_sub_nc_u32_e32 v26, v26, v7
	;; [unrolled: 2-line block ×3, first 2 shown]
	v_add_nc_u32_e32 v30, v30, v5
	v_and_b32_e32 v28, 1, v28
	v_mov_b32_e32 v71, 1
	v_add3_u32 v34, v69, v6, v34
	v_add_nc_u32_e32 v75, v26, v25
	v_add_nc_u32_e32 v76, v30, v29
	v_add_co_u32 v1, vcc_lo, v1, v7
	v_add_co_ci_u32_e64 v2, null, 0, v2, vcc_lo
	v_sub_co_u32 v67, vcc_lo, v3, v5
	v_subrev_co_ci_u32_e64 v68, null, 0, v4, vcc_lo
	v_and_b32_sdwa v74, v71, v41 dst_sel:DWORD dst_unused:UNUSED_PAD src0_sel:DWORD src1_sel:WORD_1
	v_sub_nc_u32_e32 v76, v34, v76
	v_sub_nc_u32_e32 v75, v34, v75
	v_cmp_eq_u32_e32 vcc_lo, 1, v28
	v_lshrrev_b32_e32 v27, 8, v35
	v_add_nc_u32_e32 v65, v63, v48
	v_and_b32_e32 v70, 1, v35
	v_sub_nc_u32_e32 v63, v63, v8
	v_add_nc_u32_e32 v76, 1, v76
	v_cndmask_b32_e32 v25, v75, v25, vcc_lo
	v_cmp_eq_u32_e32 vcc_lo, 1, v74
	v_add_nc_u32_e32 v64, v62, v64
	v_and_b32_e32 v27, 1, v27
	v_sub_nc_u32_e32 v62, v62, v7
	v_add_nc_u32_e32 v63, v63, v5
	v_cndmask_b32_e32 v30, v76, v30, vcc_lo
	v_cmp_eq_u32_e32 vcc_lo, 1, v70
	v_and_b32_e32 v48, 1, v48
	v_add_nc_u32_e32 v61, v65, v61
	v_add_nc_u32_e32 v74, v63, v62
	v_and_b32_sdwa v35, v71, v35 dst_sel:DWORD dst_unused:UNUSED_PAD src0_sel:DWORD src1_sel:WORD_1
	v_cndmask_b32_e32 v70, v25, v26, vcc_lo
	v_cmp_eq_u32_e32 vcc_lo, 1, v27
	v_sub_nc_u32_e32 v65, v65, v8
	v_add_nc_u32_e32 v66, v64, v47
	v_add_nc_u32_e32 v60, v61, v60
	v_sub_nc_u32_e32 v61, v61, v8
	v_cndmask_b32_e32 v27, v30, v29, vcc_lo
	v_sub_nc_u32_e32 v29, v34, v74
	v_add_co_u32 v25, vcc_lo, v67, v8
	v_add_co_ci_u32_e64 v26, null, 0, v68, vcc_lo
	v_add_nc_u32_e32 v29, 2, v29
	v_cmp_eq_u32_e32 vcc_lo, 1, v48
	v_sub_nc_u32_e32 v48, v64, v7
	v_lshlrev_b32_e32 v30, 2, v70
	v_add_nc_u32_e32 v61, v61, v5
	v_lshlrev_b32_e32 v27, 2, v27
	v_cndmask_b32_e32 v29, v29, v63, vcc_lo
	v_add_nc_u32_e32 v63, v65, v5
	v_cmp_eq_u32_e32 vcc_lo, 1, v35
	v_sub_nc_u32_e32 v35, v66, v7
	v_lshrrev_b32_e32 v12, 8, v36
	ds_write_b32 v30, v23
	ds_write_b32 v27, v24
	v_and_b32_e32 v30, 1, v36
	v_cndmask_b32_e32 v29, v29, v62, vcc_lo
	v_add_nc_u32_e32 v62, v48, v63
	v_add_nc_u32_e32 v24, v35, v61
	;; [unrolled: 1-line block ×3, first 2 shown]
	v_and_b32_e32 v12, 1, v12
	v_lshlrev_b32_e32 v23, 2, v29
	v_sub_nc_u32_e32 v27, v34, v62
	v_and_b32_e32 v29, 1, v47
	v_sub_nc_u32_e32 v47, v60, v8
	v_sub_nc_u32_e32 v24, v34, v24
	v_cmp_eq_u32_e32 vcc_lo, 1, v30
	v_add_nc_u32_e32 v27, 3, v27
	v_add_nc_u32_e32 v57, v59, v57
	v_sub_nc_u32_e32 v59, v59, v7
	v_add_nc_u32_e32 v47, v47, v5
	v_add_nc_u32_e32 v24, 4, v24
	v_cndmask_b32_e32 v27, v27, v63, vcc_lo
	v_cmp_eq_u32_e32 vcc_lo, 1, v12
	v_add_nc_u32_e32 v58, v60, v58
	v_and_b32_e32 v30, 1, v37
	v_add_nc_u32_e32 v60, v59, v47
	v_lshrrev_b32_e32 v11, 8, v37
	v_cndmask_b32_e32 v12, v24, v61, vcc_lo
	v_cmp_eq_u32_e32 vcc_lo, 1, v29
	ds_write_b32 v23, v21
	v_and_b32_sdwa v23, v71, v36 dst_sel:DWORD dst_unused:UNUSED_PAD src0_sel:DWORD src1_sel:WORD_1
	v_add_nc_u32_e32 v72, v58, v46
	v_and_b32_e32 v11, 1, v11
	v_cndmask_b32_e32 v24, v27, v48, vcc_lo
	v_sub_nc_u32_e32 v27, v34, v60
	v_cmp_eq_u32_e32 vcc_lo, 1, v30
	v_add_nc_u32_e32 v52, v57, v52
	v_sub_nc_u32_e32 v29, v72, v8
	v_lshlrev_b32_e32 v21, 2, v24
	v_add_nc_u32_e32 v24, 5, v27
	v_cndmask_b32_e32 v12, v12, v35, vcc_lo
	v_sub_nc_u32_e32 v27, v58, v8
	v_cmp_eq_u32_e32 vcc_lo, 1, v23
	v_add_nc_u32_e32 v29, v29, v5
	v_add_nc_u32_e32 v56, v72, v56
	v_lshlrev_b32_e32 v12, 2, v12
	v_add_nc_u32_e32 v27, v27, v5
	v_cndmask_b32_e32 v23, v24, v47, vcc_lo
	v_sub_nc_u32_e32 v24, v57, v7
	v_cmp_eq_u32_e32 vcc_lo, 1, v11
	ds_write_b32 v21, v22
	ds_write_b32 v12, v19
	v_and_b32_e32 v22, 1, v46
	v_and_b32_e32 v35, 1, v38
	v_add_nc_u32_e32 v30, v24, v27
	v_cndmask_b32_e32 v11, v23, v59, vcc_lo
	v_sub_nc_u32_e32 v23, v52, v7
	v_cmp_eq_u32_e32 vcc_lo, 1, v22
	v_add_nc_u32_e32 v73, v52, v45
	v_sub_nc_u32_e32 v19, v34, v30
	v_sub_nc_u32_e32 v30, v56, v8
	v_add_nc_u32_e32 v12, v23, v29
	v_and_b32_sdwa v21, v71, v37 dst_sel:DWORD dst_unused:UNUSED_PAD src0_sel:DWORD src1_sel:WORD_1
	v_sub_nc_u32_e32 v36, v73, v7
	v_add_nc_u32_e32 v19, 6, v19
	v_add_nc_u32_e32 v30, v30, v5
	v_sub_nc_u32_e32 v12, v34, v12
	v_and_b32_e32 v22, 1, v45
	v_lshrrev_b32_e32 v10, 8, v38
	v_cndmask_b32_e32 v19, v19, v27, vcc_lo
	v_cmp_eq_u32_e32 vcc_lo, 1, v35
	v_add_nc_u32_e32 v12, 7, v12
	v_add_nc_u32_e32 v55, v56, v55
	;; [unrolled: 1-line block ×4, first 2 shown]
	v_and_b32_e32 v10, 1, v10
	v_cndmask_b32_e32 v12, v12, v29, vcc_lo
	v_cmp_eq_u32_e32 vcc_lo, 1, v21
	v_sub_nc_u32_e32 v21, v34, v27
	v_add_nc_u32_e32 v53, v55, v53
	v_lshlrev_b32_e32 v11, 2, v11
	v_add_nc_u32_e32 v51, v54, v51
	v_cndmask_b32_e32 v19, v19, v24, vcc_lo
	v_cmp_eq_u32_e32 vcc_lo, 1, v22
	v_sub_nc_u32_e32 v22, v55, v8
	v_add_nc_u32_e32 v21, 8, v21
	v_sub_nc_u32_e32 v24, v54, v7
	v_lshlrev_b32_e32 v19, 2, v19
	v_cndmask_b32_e32 v12, v12, v23, vcc_lo
	v_add_nc_u32_e32 v22, v22, v5
	v_cmp_eq_u32_e32 vcc_lo, 1, v10
	v_add_nc_u32_e32 v77, v53, v44
	v_and_b32_e32 v23, 1, v40
	v_lshlrev_b32_e32 v12, 2, v12
	ds_write_b32 v11, v20
	ds_write_b32 v19, v17
	ds_write_b32 v12, v18
	v_cndmask_b32_e32 v10, v21, v30, vcc_lo
	v_add_nc_u32_e32 v21, v24, v22
	v_sub_nc_u32_e32 v12, v53, v8
	v_lshrrev_b32_e32 v9, 8, v40
	v_add_nc_u32_e32 v49, v51, v49
	v_cmp_eq_u32_e32 vcc_lo, 1, v23
	v_sub_nc_u32_e32 v11, v34, v21
	v_and_b32_sdwa v17, v71, v38 dst_sel:DWORD dst_unused:UNUSED_PAD src0_sel:DWORD src1_sel:WORD_1
	v_sub_nc_u32_e32 v18, v51, v7
	v_sub_nc_u32_e32 v19, v77, v8
	v_add_nc_u32_e32 v12, v12, v5
	v_cndmask_b32_e32 v10, v10, v36, vcc_lo
	v_and_b32_e32 v9, 1, v9
	v_add_nc_u32_e32 v11, 9, v11
	v_cmp_eq_u32_e32 vcc_lo, 1, v17
	v_sub_nc_u32_e32 v17, v49, v7
	v_add_nc_u32_e32 v19, v19, v5
	v_add_nc_u32_e32 v20, v18, v12
	v_add_nc_u32_e32 v28, v77, v50
	v_cndmask_b32_e32 v11, v11, v22, vcc_lo
	v_cmp_eq_u32_e32 vcc_lo, 1, v9
	v_add_nc_u32_e32 v21, v17, v19
	v_sub_nc_u32_e32 v20, v34, v20
	v_and_b32_e32 v23, 1, v44
	v_add_nc_u32_e32 v50, v49, v43
	v_cndmask_b32_e32 v9, v11, v24, vcc_lo
	v_sub_nc_u32_e32 v11, v28, v8
	v_sub_nc_u32_e32 v21, v34, v21
	v_add_nc_u32_e32 v20, 10, v20
	v_and_b32_e32 v24, 1, v39
	v_cmp_eq_u32_e32 vcc_lo, 1, v23
	v_and_b32_sdwa v22, v71, v40 dst_sel:DWORD dst_unused:UNUSED_PAD src0_sel:DWORD src1_sel:WORD_1
	v_sub_nc_u32_e32 v7, v50, v7
	v_add_nc_u32_e32 v11, v11, v5
	v_add_nc_u32_e32 v21, 11, v21
	v_cndmask_b32_e32 v12, v20, v12, vcc_lo
	v_cmp_eq_u32_e32 vcc_lo, 1, v24
	v_and_b32_e32 v20, 1, v43
	v_add_nc_u32_e32 v27, v7, v11
	v_lshlrev_b32_e32 v10, 2, v10
	v_lshlrev_b32_e32 v9, 2, v9
	v_cndmask_b32_e32 v19, v21, v19, vcc_lo
	v_cmp_eq_u32_e32 vcc_lo, 1, v22
	v_sub_nc_u32_e32 v23, v34, v27
	v_cndmask_b32_e32 v12, v12, v18, vcc_lo
	v_and_b32_e32 v18, 1, v42
	v_cmp_eq_u32_e32 vcc_lo, 1, v20
	v_add_nc_u32_e32 v21, 12, v23
	v_lshlrev_b32_e32 v12, 2, v12
	v_cndmask_b32_e32 v17, v19, v17, vcc_lo
	v_and_b32_e32 v19, 1, v41
	v_cmp_eq_u32_e32 vcc_lo, 1, v18
	v_lshlrev_b32_e32 v17, 2, v17
	ds_write_b32 v10, v15
	ds_write_b32 v9, v16
	;; [unrolled: 1-line block ×4, first 2 shown]
	v_cndmask_b32_e32 v11, v21, v11, vcc_lo
	v_cmp_eq_u32_e32 vcc_lo, 1, v19
	v_add_co_u32 v9, s1, v6, v69
	v_add_co_ci_u32_e64 v10, null, 0, 0, s1
	v_cndmask_b32_e32 v7, v11, v7, vcc_lo
	v_add_co_u32 v11, s1, s34, v31
	v_add_co_ci_u32_e64 v12, null, s35, 0, s1
	v_lshlrev_b32_e32 v7, 2, v7
	v_add_nc_u32_e32 v14, v5, v6
	ds_write_b32 v7, v33
	v_add_co_u32 v7, vcc_lo, v9, v25
	v_add_co_ci_u32_e64 v9, null, v10, v26, vcc_lo
	s_waitcnt lgkmcnt(0)
	v_add_co_u32 v7, vcc_lo, v7, v1
	v_add_co_ci_u32_e64 v13, null, v9, v2, vcc_lo
	v_lshlrev_b64 v[9:10], 2, v[25:26]
	v_sub_co_u32 v7, vcc_lo, v11, v7
	v_sub_co_ci_u32_e64 v13, null, v12, v13, vcc_lo
	v_lshlrev_b64 v[11:12], 2, v[1:2]
	v_add_co_u32 v9, vcc_lo, s30, v9
	v_add_co_ci_u32_e64 v10, null, s31, v10, vcc_lo
	v_cmp_ne_u32_e32 vcc_lo, 1, v32
	v_add_co_u32 v11, s1, s28, v11
	v_add_co_ci_u32_e64 v12, null, s29, v12, s1
	s_mov_b32 s1, -1
	s_barrier
	buffer_gl0_inv
	s_cbranch_vccz .LBB1696_155
; %bb.152:
	s_and_b32 vcc_lo, exec_lo, s1
	s_cbranch_vccnz .LBB1696_260
.LBB1696_153:
	s_and_b32 s0, s0, s26
	s_and_saveexec_b32 s1, s0
	s_cbranch_execnz .LBB1696_378
.LBB1696_154:
	s_endpgm
.LBB1696_155:
	s_mov_b32 s1, exec_lo
	v_cmpx_ge_u32_e64 v0, v5
	s_xor_b32 s1, exec_lo, s1
	s_cbranch_execz .LBB1696_161
; %bb.156:
	s_mov_b32 s2, exec_lo
	v_cmpx_ge_u32_e64 v0, v14
	s_xor_b32 s2, exec_lo, s2
	s_cbranch_execz .LBB1696_158
; %bb.157:
	v_lshlrev_b32_e32 v15, 2, v0
	ds_read_b32 v17, v15
	v_add_co_u32 v15, vcc_lo, v7, v0
	v_add_co_ci_u32_e64 v16, null, 0, v13, vcc_lo
	v_lshlrev_b64 v[15:16], 2, v[15:16]
	v_sub_co_u32 v15, vcc_lo, s14, v15
	v_sub_co_ci_u32_e64 v16, null, s15, v16, vcc_lo
	s_waitcnt lgkmcnt(0)
	global_store_dword v[15:16], v17, off offset:-4
.LBB1696_158:
	s_andn2_saveexec_b32 s2, s2
	s_cbranch_execz .LBB1696_160
; %bb.159:
	v_lshlrev_b32_e32 v15, 2, v0
	v_readfirstlane_b32 s6, v9
	v_readfirstlane_b32 s7, v10
	ds_read_b32 v16, v15
	s_waitcnt lgkmcnt(0)
	global_store_dword v15, v16, s[6:7]
.LBB1696_160:
	s_or_b32 exec_lo, exec_lo, s2
.LBB1696_161:
	s_andn2_saveexec_b32 s1, s1
	s_cbranch_execz .LBB1696_163
; %bb.162:
	v_lshlrev_b32_e32 v15, 2, v0
	v_readfirstlane_b32 s2, v11
	v_readfirstlane_b32 s3, v12
	ds_read_b32 v16, v15
	s_waitcnt lgkmcnt(0)
	global_store_dword v15, v16, s[2:3]
.LBB1696_163:
	s_or_b32 exec_lo, exec_lo, s1
	v_or_b32_e32 v15, 0x100, v0
	s_mov_b32 s1, exec_lo
	v_cmpx_ge_u32_e64 v15, v5
	s_xor_b32 s1, exec_lo, s1
	s_cbranch_execz .LBB1696_169
; %bb.164:
	s_mov_b32 s2, exec_lo
	v_cmpx_ge_u32_e64 v15, v14
	s_xor_b32 s2, exec_lo, s2
	s_cbranch_execz .LBB1696_166
; %bb.165:
	v_lshlrev_b32_e32 v15, 2, v0
	ds_read_b32 v17, v15 offset:1024
	v_add_co_u32 v15, vcc_lo, v7, v0
	v_add_co_ci_u32_e64 v16, null, 0, v13, vcc_lo
	v_lshlrev_b64 v[15:16], 2, v[15:16]
	v_sub_co_u32 v15, vcc_lo, s14, v15
	v_sub_co_ci_u32_e64 v16, null, s15, v16, vcc_lo
	s_waitcnt lgkmcnt(0)
	global_store_dword v[15:16], v17, off offset:-1028
.LBB1696_166:
	s_andn2_saveexec_b32 s2, s2
	s_cbranch_execz .LBB1696_168
; %bb.167:
	v_lshlrev_b32_e32 v15, 2, v0
	v_readfirstlane_b32 s6, v9
	v_readfirstlane_b32 s7, v10
	ds_read_b32 v16, v15 offset:1024
	s_waitcnt lgkmcnt(0)
	global_store_dword v15, v16, s[6:7] offset:1024
.LBB1696_168:
	s_or_b32 exec_lo, exec_lo, s2
.LBB1696_169:
	s_andn2_saveexec_b32 s1, s1
	s_cbranch_execz .LBB1696_171
; %bb.170:
	v_lshlrev_b32_e32 v15, 2, v0
	v_readfirstlane_b32 s2, v11
	v_readfirstlane_b32 s3, v12
	ds_read_b32 v16, v15 offset:1024
	s_waitcnt lgkmcnt(0)
	global_store_dword v15, v16, s[2:3] offset:1024
.LBB1696_171:
	s_or_b32 exec_lo, exec_lo, s1
	v_or_b32_e32 v15, 0x200, v0
	s_mov_b32 s1, exec_lo
	v_cmpx_ge_u32_e64 v15, v5
	s_xor_b32 s1, exec_lo, s1
	s_cbranch_execz .LBB1696_177
; %bb.172:
	s_mov_b32 s2, exec_lo
	v_cmpx_ge_u32_e64 v15, v14
	s_xor_b32 s2, exec_lo, s2
	s_cbranch_execz .LBB1696_174
; %bb.173:
	v_lshlrev_b32_e32 v17, 2, v0
	v_add_co_u32 v15, vcc_lo, v7, v0
	v_add_co_ci_u32_e64 v16, null, 0, v13, vcc_lo
	ds_read_b32 v17, v17 offset:2048
	v_lshlrev_b64 v[15:16], 2, v[15:16]
	v_sub_co_u32 v15, vcc_lo, s14, v15
	v_sub_co_ci_u32_e64 v16, null, s15, v16, vcc_lo
	v_add_co_u32 v15, vcc_lo, 0xfffff800, v15
	v_add_co_ci_u32_e64 v16, null, -1, v16, vcc_lo
	s_waitcnt lgkmcnt(0)
	global_store_dword v[15:16], v17, off offset:-4
                                        ; implicit-def: $vgpr15
.LBB1696_174:
	s_andn2_saveexec_b32 s2, s2
	s_cbranch_execz .LBB1696_176
; %bb.175:
	v_lshlrev_b32_e32 v16, 2, v0
	v_lshlrev_b32_e32 v15, 2, v15
	v_readfirstlane_b32 s6, v9
	v_readfirstlane_b32 s7, v10
	ds_read_b32 v16, v16 offset:2048
	s_waitcnt lgkmcnt(0)
	global_store_dword v15, v16, s[6:7]
.LBB1696_176:
	s_or_b32 exec_lo, exec_lo, s2
                                        ; implicit-def: $vgpr15
.LBB1696_177:
	s_andn2_saveexec_b32 s1, s1
	s_cbranch_execz .LBB1696_179
; %bb.178:
	v_lshlrev_b32_e32 v16, 2, v0
	v_lshlrev_b32_e32 v15, 2, v15
	v_readfirstlane_b32 s2, v11
	v_readfirstlane_b32 s3, v12
	ds_read_b32 v16, v16 offset:2048
	s_waitcnt lgkmcnt(0)
	global_store_dword v15, v16, s[2:3]
.LBB1696_179:
	s_or_b32 exec_lo, exec_lo, s1
	v_or_b32_e32 v15, 0x300, v0
	s_mov_b32 s1, exec_lo
	v_cmpx_ge_u32_e64 v15, v5
	s_xor_b32 s1, exec_lo, s1
	s_cbranch_execz .LBB1696_185
; %bb.180:
	s_mov_b32 s2, exec_lo
	v_cmpx_ge_u32_e64 v15, v14
	s_xor_b32 s2, exec_lo, s2
	s_cbranch_execz .LBB1696_182
; %bb.181:
	v_lshlrev_b32_e32 v16, 2, v0
	v_add_co_u32 v15, vcc_lo, v7, v15
	ds_read_b32 v17, v16 offset:3072
	v_add_co_ci_u32_e64 v16, null, 0, v13, vcc_lo
	v_lshlrev_b64 v[15:16], 2, v[15:16]
	v_sub_co_u32 v15, vcc_lo, s14, v15
	v_sub_co_ci_u32_e64 v16, null, s15, v16, vcc_lo
	s_waitcnt lgkmcnt(0)
	global_store_dword v[15:16], v17, off offset:-4
                                        ; implicit-def: $vgpr15
.LBB1696_182:
	s_andn2_saveexec_b32 s2, s2
	s_cbranch_execz .LBB1696_184
; %bb.183:
	v_lshlrev_b32_e32 v16, 2, v0
	v_lshlrev_b32_e32 v15, 2, v15
	v_readfirstlane_b32 s6, v9
	v_readfirstlane_b32 s7, v10
	ds_read_b32 v16, v16 offset:3072
	s_waitcnt lgkmcnt(0)
	global_store_dword v15, v16, s[6:7]
.LBB1696_184:
	s_or_b32 exec_lo, exec_lo, s2
                                        ; implicit-def: $vgpr15
.LBB1696_185:
	s_andn2_saveexec_b32 s1, s1
	s_cbranch_execz .LBB1696_187
; %bb.186:
	v_lshlrev_b32_e32 v16, 2, v0
	v_lshlrev_b32_e32 v15, 2, v15
	v_readfirstlane_b32 s2, v11
	v_readfirstlane_b32 s3, v12
	ds_read_b32 v16, v16 offset:3072
	s_waitcnt lgkmcnt(0)
	global_store_dword v15, v16, s[2:3]
.LBB1696_187:
	s_or_b32 exec_lo, exec_lo, s1
	v_or_b32_e32 v15, 0x400, v0
	s_mov_b32 s1, exec_lo
	v_cmpx_ge_u32_e64 v15, v5
	s_xor_b32 s1, exec_lo, s1
	s_cbranch_execz .LBB1696_193
; %bb.188:
	s_mov_b32 s2, exec_lo
	v_cmpx_ge_u32_e64 v15, v14
	s_xor_b32 s2, exec_lo, s2
	s_cbranch_execz .LBB1696_190
; %bb.189:
	v_lshlrev_b32_e32 v16, 2, v0
	v_add_co_u32 v15, vcc_lo, v7, v15
	ds_read_b32 v17, v16 offset:4096
	v_add_co_ci_u32_e64 v16, null, 0, v13, vcc_lo
	v_lshlrev_b64 v[15:16], 2, v[15:16]
	v_sub_co_u32 v15, vcc_lo, s14, v15
	v_sub_co_ci_u32_e64 v16, null, s15, v16, vcc_lo
	s_waitcnt lgkmcnt(0)
	global_store_dword v[15:16], v17, off offset:-4
                                        ; implicit-def: $vgpr15
.LBB1696_190:
	s_andn2_saveexec_b32 s2, s2
	s_cbranch_execz .LBB1696_192
; %bb.191:
	v_lshlrev_b32_e32 v16, 2, v0
	v_lshlrev_b32_e32 v15, 2, v15
	v_readfirstlane_b32 s6, v9
	v_readfirstlane_b32 s7, v10
	ds_read_b32 v16, v16 offset:4096
	s_waitcnt lgkmcnt(0)
	global_store_dword v15, v16, s[6:7]
.LBB1696_192:
	s_or_b32 exec_lo, exec_lo, s2
                                        ; implicit-def: $vgpr15
.LBB1696_193:
	;; [unrolled: 48-line block ×10, first 2 shown]
	s_andn2_saveexec_b32 s1, s1
	s_cbranch_execz .LBB1696_259
; %bb.258:
	v_lshlrev_b32_e32 v16, 2, v0
	v_lshlrev_b32_e32 v15, 2, v15
	v_readfirstlane_b32 s2, v11
	v_readfirstlane_b32 s3, v12
	ds_read_b32 v16, v16 offset:12288
	s_waitcnt lgkmcnt(0)
	global_store_dword v15, v16, s[2:3]
.LBB1696_259:
	s_or_b32 exec_lo, exec_lo, s1
	s_branch .LBB1696_153
.LBB1696_260:
	s_mov_b32 s1, exec_lo
	v_cmpx_gt_u32_e64 s5, v0
	s_cbranch_execz .LBB1696_269
; %bb.261:
	s_mov_b32 s2, exec_lo
	v_cmpx_ge_u32_e64 v0, v5
	s_xor_b32 s2, exec_lo, s2
	s_cbranch_execz .LBB1696_267
; %bb.262:
	s_mov_b32 s3, exec_lo
	v_cmpx_ge_u32_e64 v0, v14
	s_xor_b32 s3, exec_lo, s3
	s_cbranch_execz .LBB1696_264
; %bb.263:
	v_lshlrev_b32_e32 v15, 2, v0
	ds_read_b32 v17, v15
	v_add_co_u32 v15, vcc_lo, v7, v0
	v_add_co_ci_u32_e64 v16, null, 0, v13, vcc_lo
	v_lshlrev_b64 v[15:16], 2, v[15:16]
	v_sub_co_u32 v15, vcc_lo, s14, v15
	v_sub_co_ci_u32_e64 v16, null, s15, v16, vcc_lo
	s_waitcnt lgkmcnt(0)
	global_store_dword v[15:16], v17, off offset:-4
.LBB1696_264:
	s_andn2_saveexec_b32 s3, s3
	s_cbranch_execz .LBB1696_266
; %bb.265:
	v_lshlrev_b32_e32 v15, 2, v0
	v_readfirstlane_b32 s6, v9
	v_readfirstlane_b32 s7, v10
	ds_read_b32 v16, v15
	s_waitcnt lgkmcnt(0)
	global_store_dword v15, v16, s[6:7]
.LBB1696_266:
	s_or_b32 exec_lo, exec_lo, s3
.LBB1696_267:
	s_andn2_saveexec_b32 s2, s2
	s_cbranch_execz .LBB1696_269
; %bb.268:
	v_lshlrev_b32_e32 v15, 2, v0
	v_readfirstlane_b32 s2, v11
	v_readfirstlane_b32 s3, v12
	ds_read_b32 v16, v15
	s_waitcnt lgkmcnt(0)
	global_store_dword v15, v16, s[2:3]
.LBB1696_269:
	s_or_b32 exec_lo, exec_lo, s1
	v_or_b32_e32 v15, 0x100, v0
	s_mov_b32 s1, exec_lo
	v_cmpx_gt_u32_e64 s5, v15
	s_cbranch_execz .LBB1696_278
; %bb.270:
	s_mov_b32 s2, exec_lo
	v_cmpx_ge_u32_e64 v15, v5
	s_xor_b32 s2, exec_lo, s2
	s_cbranch_execz .LBB1696_276
; %bb.271:
	s_mov_b32 s3, exec_lo
	v_cmpx_ge_u32_e64 v15, v14
	s_xor_b32 s3, exec_lo, s3
	s_cbranch_execz .LBB1696_273
; %bb.272:
	v_lshlrev_b32_e32 v15, 2, v0
	ds_read_b32 v17, v15 offset:1024
	v_add_co_u32 v15, vcc_lo, v7, v0
	v_add_co_ci_u32_e64 v16, null, 0, v13, vcc_lo
	v_lshlrev_b64 v[15:16], 2, v[15:16]
	v_sub_co_u32 v15, vcc_lo, s14, v15
	v_sub_co_ci_u32_e64 v16, null, s15, v16, vcc_lo
	s_waitcnt lgkmcnt(0)
	global_store_dword v[15:16], v17, off offset:-1028
.LBB1696_273:
	s_andn2_saveexec_b32 s3, s3
	s_cbranch_execz .LBB1696_275
; %bb.274:
	v_lshlrev_b32_e32 v15, 2, v0
	v_readfirstlane_b32 s6, v9
	v_readfirstlane_b32 s7, v10
	ds_read_b32 v16, v15 offset:1024
	s_waitcnt lgkmcnt(0)
	global_store_dword v15, v16, s[6:7] offset:1024
.LBB1696_275:
	s_or_b32 exec_lo, exec_lo, s3
.LBB1696_276:
	s_andn2_saveexec_b32 s2, s2
	s_cbranch_execz .LBB1696_278
; %bb.277:
	v_lshlrev_b32_e32 v15, 2, v0
	v_readfirstlane_b32 s2, v11
	v_readfirstlane_b32 s3, v12
	ds_read_b32 v16, v15 offset:1024
	s_waitcnt lgkmcnt(0)
	global_store_dword v15, v16, s[2:3] offset:1024
.LBB1696_278:
	s_or_b32 exec_lo, exec_lo, s1
	v_or_b32_e32 v15, 0x200, v0
	s_mov_b32 s1, exec_lo
	v_cmpx_gt_u32_e64 s5, v15
	s_cbranch_execz .LBB1696_287
; %bb.279:
	s_mov_b32 s2, exec_lo
	v_cmpx_ge_u32_e64 v15, v5
	s_xor_b32 s2, exec_lo, s2
	s_cbranch_execz .LBB1696_285
; %bb.280:
	s_mov_b32 s3, exec_lo
	v_cmpx_ge_u32_e64 v15, v14
	s_xor_b32 s3, exec_lo, s3
	s_cbranch_execz .LBB1696_282
; %bb.281:
	v_lshlrev_b32_e32 v17, 2, v0
	v_add_co_u32 v15, vcc_lo, v7, v0
	v_add_co_ci_u32_e64 v16, null, 0, v13, vcc_lo
	ds_read_b32 v17, v17 offset:2048
	v_lshlrev_b64 v[15:16], 2, v[15:16]
	v_sub_co_u32 v15, vcc_lo, s14, v15
	v_sub_co_ci_u32_e64 v16, null, s15, v16, vcc_lo
	v_add_co_u32 v15, vcc_lo, 0xfffff800, v15
	v_add_co_ci_u32_e64 v16, null, -1, v16, vcc_lo
	s_waitcnt lgkmcnt(0)
	global_store_dword v[15:16], v17, off offset:-4
                                        ; implicit-def: $vgpr15
.LBB1696_282:
	s_andn2_saveexec_b32 s3, s3
	s_cbranch_execz .LBB1696_284
; %bb.283:
	v_lshlrev_b32_e32 v16, 2, v0
	v_lshlrev_b32_e32 v15, 2, v15
	v_readfirstlane_b32 s6, v9
	v_readfirstlane_b32 s7, v10
	ds_read_b32 v16, v16 offset:2048
	s_waitcnt lgkmcnt(0)
	global_store_dword v15, v16, s[6:7]
.LBB1696_284:
	s_or_b32 exec_lo, exec_lo, s3
                                        ; implicit-def: $vgpr15
.LBB1696_285:
	s_andn2_saveexec_b32 s2, s2
	s_cbranch_execz .LBB1696_287
; %bb.286:
	v_lshlrev_b32_e32 v16, 2, v0
	v_lshlrev_b32_e32 v15, 2, v15
	v_readfirstlane_b32 s2, v11
	v_readfirstlane_b32 s3, v12
	ds_read_b32 v16, v16 offset:2048
	s_waitcnt lgkmcnt(0)
	global_store_dword v15, v16, s[2:3]
.LBB1696_287:
	s_or_b32 exec_lo, exec_lo, s1
	v_or_b32_e32 v15, 0x300, v0
	s_mov_b32 s1, exec_lo
	v_cmpx_gt_u32_e64 s5, v15
	s_cbranch_execz .LBB1696_296
; %bb.288:
	s_mov_b32 s2, exec_lo
	v_cmpx_ge_u32_e64 v15, v5
	s_xor_b32 s2, exec_lo, s2
	s_cbranch_execz .LBB1696_294
; %bb.289:
	s_mov_b32 s3, exec_lo
	v_cmpx_ge_u32_e64 v15, v14
	s_xor_b32 s3, exec_lo, s3
	s_cbranch_execz .LBB1696_291
; %bb.290:
	v_lshlrev_b32_e32 v16, 2, v0
	v_add_co_u32 v15, vcc_lo, v7, v15
	ds_read_b32 v17, v16 offset:3072
	v_add_co_ci_u32_e64 v16, null, 0, v13, vcc_lo
	v_lshlrev_b64 v[15:16], 2, v[15:16]
	v_sub_co_u32 v15, vcc_lo, s14, v15
	v_sub_co_ci_u32_e64 v16, null, s15, v16, vcc_lo
	s_waitcnt lgkmcnt(0)
	global_store_dword v[15:16], v17, off offset:-4
                                        ; implicit-def: $vgpr15
.LBB1696_291:
	s_andn2_saveexec_b32 s3, s3
	s_cbranch_execz .LBB1696_293
; %bb.292:
	v_lshlrev_b32_e32 v16, 2, v0
	v_lshlrev_b32_e32 v15, 2, v15
	v_readfirstlane_b32 s6, v9
	v_readfirstlane_b32 s7, v10
	ds_read_b32 v16, v16 offset:3072
	s_waitcnt lgkmcnt(0)
	global_store_dword v15, v16, s[6:7]
.LBB1696_293:
	s_or_b32 exec_lo, exec_lo, s3
                                        ; implicit-def: $vgpr15
.LBB1696_294:
	s_andn2_saveexec_b32 s2, s2
	s_cbranch_execz .LBB1696_296
; %bb.295:
	v_lshlrev_b32_e32 v16, 2, v0
	v_lshlrev_b32_e32 v15, 2, v15
	v_readfirstlane_b32 s2, v11
	v_readfirstlane_b32 s3, v12
	ds_read_b32 v16, v16 offset:3072
	s_waitcnt lgkmcnt(0)
	global_store_dword v15, v16, s[2:3]
.LBB1696_296:
	s_or_b32 exec_lo, exec_lo, s1
	v_or_b32_e32 v15, 0x400, v0
	s_mov_b32 s1, exec_lo
	v_cmpx_gt_u32_e64 s5, v15
	s_cbranch_execz .LBB1696_305
; %bb.297:
	s_mov_b32 s2, exec_lo
	v_cmpx_ge_u32_e64 v15, v5
	s_xor_b32 s2, exec_lo, s2
	s_cbranch_execz .LBB1696_303
; %bb.298:
	s_mov_b32 s3, exec_lo
	v_cmpx_ge_u32_e64 v15, v14
	s_xor_b32 s3, exec_lo, s3
	s_cbranch_execz .LBB1696_300
; %bb.299:
	v_lshlrev_b32_e32 v16, 2, v0
	v_add_co_u32 v15, vcc_lo, v7, v15
	ds_read_b32 v17, v16 offset:4096
	v_add_co_ci_u32_e64 v16, null, 0, v13, vcc_lo
	v_lshlrev_b64 v[15:16], 2, v[15:16]
	v_sub_co_u32 v15, vcc_lo, s14, v15
	v_sub_co_ci_u32_e64 v16, null, s15, v16, vcc_lo
	s_waitcnt lgkmcnt(0)
	global_store_dword v[15:16], v17, off offset:-4
                                        ; implicit-def: $vgpr15
.LBB1696_300:
	s_andn2_saveexec_b32 s3, s3
	s_cbranch_execz .LBB1696_302
; %bb.301:
	v_lshlrev_b32_e32 v16, 2, v0
	v_lshlrev_b32_e32 v15, 2, v15
	v_readfirstlane_b32 s6, v9
	v_readfirstlane_b32 s7, v10
	ds_read_b32 v16, v16 offset:4096
	s_waitcnt lgkmcnt(0)
	global_store_dword v15, v16, s[6:7]
.LBB1696_302:
	s_or_b32 exec_lo, exec_lo, s3
                                        ; implicit-def: $vgpr15
.LBB1696_303:
	s_andn2_saveexec_b32 s2, s2
	s_cbranch_execz .LBB1696_305
; %bb.304:
	v_lshlrev_b32_e32 v16, 2, v0
	v_lshlrev_b32_e32 v15, 2, v15
	v_readfirstlane_b32 s2, v11
	v_readfirstlane_b32 s3, v12
	ds_read_b32 v16, v16 offset:4096
	s_waitcnt lgkmcnt(0)
	global_store_dword v15, v16, s[2:3]
.LBB1696_305:
	;; [unrolled: 52-line block ×9, first 2 shown]
	s_or_b32 exec_lo, exec_lo, s1
	v_or_b32_e32 v15, 0xc00, v0
	s_mov_b32 s1, exec_lo
	v_cmpx_gt_u32_e64 s5, v15
	s_cbranch_execz .LBB1696_377
; %bb.369:
	s_mov_b32 s2, exec_lo
	v_cmpx_ge_u32_e64 v15, v5
	s_xor_b32 s2, exec_lo, s2
	s_cbranch_execz .LBB1696_375
; %bb.370:
	s_mov_b32 s3, exec_lo
	v_cmpx_ge_u32_e64 v15, v14
	s_xor_b32 s3, exec_lo, s3
	s_cbranch_execz .LBB1696_372
; %bb.371:
	v_lshlrev_b32_e32 v0, 2, v0
	v_add_co_u32 v9, vcc_lo, v7, v15
	v_add_co_ci_u32_e64 v10, null, 0, v13, vcc_lo
	ds_read_b32 v0, v0 offset:12288
                                        ; implicit-def: $vgpr15
	v_lshlrev_b64 v[9:10], 2, v[9:10]
	v_sub_co_u32 v9, vcc_lo, s14, v9
	v_sub_co_ci_u32_e64 v10, null, s15, v10, vcc_lo
	s_waitcnt lgkmcnt(0)
	global_store_dword v[9:10], v0, off offset:-4
                                        ; implicit-def: $vgpr0
                                        ; implicit-def: $vgpr9_vgpr10
.LBB1696_372:
	s_andn2_saveexec_b32 s3, s3
	s_cbranch_execz .LBB1696_374
; %bb.373:
	v_lshlrev_b32_e32 v0, 2, v0
	v_lshlrev_b32_e32 v7, 2, v15
	v_readfirstlane_b32 s4, v9
	v_readfirstlane_b32 s5, v10
	ds_read_b32 v0, v0 offset:12288
	s_waitcnt lgkmcnt(0)
	global_store_dword v7, v0, s[4:5]
.LBB1696_374:
	s_or_b32 exec_lo, exec_lo, s3
                                        ; implicit-def: $vgpr0
                                        ; implicit-def: $vgpr15
                                        ; implicit-def: $vgpr11_vgpr12
.LBB1696_375:
	s_andn2_saveexec_b32 s2, s2
	s_cbranch_execz .LBB1696_377
; %bb.376:
	v_lshlrev_b32_e32 v0, 2, v0
	v_lshlrev_b32_e32 v7, 2, v15
	v_readfirstlane_b32 s2, v11
	v_readfirstlane_b32 s3, v12
	ds_read_b32 v0, v0 offset:12288
	s_waitcnt lgkmcnt(0)
	global_store_dword v7, v0, s[2:3]
.LBB1696_377:
	s_or_b32 exec_lo, exec_lo, s1
	s_and_b32 s0, s0, s26
	s_and_saveexec_b32 s1, s0
	s_cbranch_execz .LBB1696_154
.LBB1696_378:
	v_add_co_u32 v0, vcc_lo, v3, v6
	v_add_co_ci_u32_e64 v4, null, 0, v4, vcc_lo
	v_mov_b32_e32 v6, 0
	v_add_co_u32 v3, vcc_lo, v0, v8
	v_add_co_ci_u32_e64 v4, null, 0, v4, vcc_lo
	v_add_co_u32 v1, vcc_lo, v1, v5
	v_add_co_ci_u32_e64 v2, null, 0, v2, vcc_lo
	global_store_dwordx4 v6, v[1:4], s[24:25]
	s_endpgm
.LBB1696_379:
	s_add_i32 s8, s27, 32
	s_mov_b32 s9, 0
	v_add_nc_u32_e32 v10, v8, v6
	s_lshl_b64 s[8:9], s[8:9], 4
	v_add_nc_u32_e32 v9, v7, v5
	s_add_u32 s8, s36, s8
	s_addc_u32 s9, s37, s9
	v_mov_b32_e32 v11, 2
	v_mov_b32_e32 v28, s9
	v_mov_b32_e32 v12, 0
	v_mov_b32_e32 v27, s8
	;;#ASMSTART
	global_store_dwordx4 v[27:28], v[9:12] off	
s_waitcnt vmcnt(0)
	;;#ASMEND
	s_or_b32 exec_lo, exec_lo, s6
	s_and_saveexec_b32 s6, s3
	s_cbranch_execz .LBB1696_139
.LBB1696_380:
	v_mov_b32_e32 v9, 0
	ds_write_b128 v9, v[5:8] offset:13312
	s_or_b32 exec_lo, exec_lo, s6
	s_and_b32 exec_lo, exec_lo, s0
	s_cbranch_execnz .LBB1696_140
	s_branch .LBB1696_141
	.section	.rodata,"a",@progbits
	.p2align	6, 0x0
	.amdhsa_kernel _ZN7rocprim17ROCPRIM_400000_NS6detail17trampoline_kernelINS0_13select_configILj256ELj13ELNS0_17block_load_methodE3ELS4_3ELS4_3ELNS0_20block_scan_algorithmE0ELj4294967295EEENS1_25partition_config_selectorILNS1_17partition_subalgoE4EjNS0_10empty_typeEbEEZZNS1_14partition_implILS8_4ELb0ES6_15HIP_vector_typeIjLj2EENS0_17counting_iteratorIjlEEPS9_SG_NS0_5tupleIJPjSI_NS0_16reverse_iteratorISI_EEEEENSH_IJSG_SG_SG_EEES9_SI_JZNS1_25segmented_radix_sort_implINS0_14default_configELb1EPK6__halfPSP_PKlPlN2at6native12_GLOBAL__N_18offset_tEEE10hipError_tPvRmT1_PNSt15iterator_traitsIS13_E10value_typeET2_T3_PNS14_IS19_E10value_typeET4_jRbjT5_S1F_jjP12ihipStream_tbEUljE_ZNSN_ISO_Lb1ESR_SS_SU_SV_SZ_EES10_S11_S12_S13_S17_S18_S19_S1C_S1D_jS1E_jS1F_S1F_jjS1H_bEUljE0_EEES10_S11_S12_S19_S1D_S1F_T6_T7_T9_mT8_S1H_bDpT10_ENKUlT_T0_E_clISt17integral_constantIbLb0EES1U_IbLb1EEEEDaS1Q_S1R_EUlS1Q_E_NS1_11comp_targetILNS1_3genE8ELNS1_11target_archE1030ELNS1_3gpuE2ELNS1_3repE0EEENS1_30default_config_static_selectorELNS0_4arch9wavefront6targetE0EEEvS13_
		.amdhsa_group_segment_fixed_size 13328
		.amdhsa_private_segment_fixed_size 0
		.amdhsa_kernarg_size 184
		.amdhsa_user_sgpr_count 6
		.amdhsa_user_sgpr_private_segment_buffer 1
		.amdhsa_user_sgpr_dispatch_ptr 0
		.amdhsa_user_sgpr_queue_ptr 0
		.amdhsa_user_sgpr_kernarg_segment_ptr 1
		.amdhsa_user_sgpr_dispatch_id 0
		.amdhsa_user_sgpr_flat_scratch_init 0
		.amdhsa_user_sgpr_private_segment_size 0
		.amdhsa_wavefront_size32 1
		.amdhsa_uses_dynamic_stack 0
		.amdhsa_system_sgpr_private_segment_wavefront_offset 0
		.amdhsa_system_sgpr_workgroup_id_x 1
		.amdhsa_system_sgpr_workgroup_id_y 0
		.amdhsa_system_sgpr_workgroup_id_z 0
		.amdhsa_system_sgpr_workgroup_info 0
		.amdhsa_system_vgpr_workitem_id 0
		.amdhsa_next_free_vgpr 87
		.amdhsa_next_free_sgpr 55
		.amdhsa_reserve_vcc 1
		.amdhsa_reserve_flat_scratch 0
		.amdhsa_float_round_mode_32 0
		.amdhsa_float_round_mode_16_64 0
		.amdhsa_float_denorm_mode_32 3
		.amdhsa_float_denorm_mode_16_64 3
		.amdhsa_dx10_clamp 1
		.amdhsa_ieee_mode 1
		.amdhsa_fp16_overflow 0
		.amdhsa_workgroup_processor_mode 1
		.amdhsa_memory_ordered 1
		.amdhsa_forward_progress 1
		.amdhsa_shared_vgpr_count 0
		.amdhsa_exception_fp_ieee_invalid_op 0
		.amdhsa_exception_fp_denorm_src 0
		.amdhsa_exception_fp_ieee_div_zero 0
		.amdhsa_exception_fp_ieee_overflow 0
		.amdhsa_exception_fp_ieee_underflow 0
		.amdhsa_exception_fp_ieee_inexact 0
		.amdhsa_exception_int_div_zero 0
	.end_amdhsa_kernel
	.section	.text._ZN7rocprim17ROCPRIM_400000_NS6detail17trampoline_kernelINS0_13select_configILj256ELj13ELNS0_17block_load_methodE3ELS4_3ELS4_3ELNS0_20block_scan_algorithmE0ELj4294967295EEENS1_25partition_config_selectorILNS1_17partition_subalgoE4EjNS0_10empty_typeEbEEZZNS1_14partition_implILS8_4ELb0ES6_15HIP_vector_typeIjLj2EENS0_17counting_iteratorIjlEEPS9_SG_NS0_5tupleIJPjSI_NS0_16reverse_iteratorISI_EEEEENSH_IJSG_SG_SG_EEES9_SI_JZNS1_25segmented_radix_sort_implINS0_14default_configELb1EPK6__halfPSP_PKlPlN2at6native12_GLOBAL__N_18offset_tEEE10hipError_tPvRmT1_PNSt15iterator_traitsIS13_E10value_typeET2_T3_PNS14_IS19_E10value_typeET4_jRbjT5_S1F_jjP12ihipStream_tbEUljE_ZNSN_ISO_Lb1ESR_SS_SU_SV_SZ_EES10_S11_S12_S13_S17_S18_S19_S1C_S1D_jS1E_jS1F_S1F_jjS1H_bEUljE0_EEES10_S11_S12_S19_S1D_S1F_T6_T7_T9_mT8_S1H_bDpT10_ENKUlT_T0_E_clISt17integral_constantIbLb0EES1U_IbLb1EEEEDaS1Q_S1R_EUlS1Q_E_NS1_11comp_targetILNS1_3genE8ELNS1_11target_archE1030ELNS1_3gpuE2ELNS1_3repE0EEENS1_30default_config_static_selectorELNS0_4arch9wavefront6targetE0EEEvS13_,"axG",@progbits,_ZN7rocprim17ROCPRIM_400000_NS6detail17trampoline_kernelINS0_13select_configILj256ELj13ELNS0_17block_load_methodE3ELS4_3ELS4_3ELNS0_20block_scan_algorithmE0ELj4294967295EEENS1_25partition_config_selectorILNS1_17partition_subalgoE4EjNS0_10empty_typeEbEEZZNS1_14partition_implILS8_4ELb0ES6_15HIP_vector_typeIjLj2EENS0_17counting_iteratorIjlEEPS9_SG_NS0_5tupleIJPjSI_NS0_16reverse_iteratorISI_EEEEENSH_IJSG_SG_SG_EEES9_SI_JZNS1_25segmented_radix_sort_implINS0_14default_configELb1EPK6__halfPSP_PKlPlN2at6native12_GLOBAL__N_18offset_tEEE10hipError_tPvRmT1_PNSt15iterator_traitsIS13_E10value_typeET2_T3_PNS14_IS19_E10value_typeET4_jRbjT5_S1F_jjP12ihipStream_tbEUljE_ZNSN_ISO_Lb1ESR_SS_SU_SV_SZ_EES10_S11_S12_S13_S17_S18_S19_S1C_S1D_jS1E_jS1F_S1F_jjS1H_bEUljE0_EEES10_S11_S12_S19_S1D_S1F_T6_T7_T9_mT8_S1H_bDpT10_ENKUlT_T0_E_clISt17integral_constantIbLb0EES1U_IbLb1EEEEDaS1Q_S1R_EUlS1Q_E_NS1_11comp_targetILNS1_3genE8ELNS1_11target_archE1030ELNS1_3gpuE2ELNS1_3repE0EEENS1_30default_config_static_selectorELNS0_4arch9wavefront6targetE0EEEvS13_,comdat
.Lfunc_end1696:
	.size	_ZN7rocprim17ROCPRIM_400000_NS6detail17trampoline_kernelINS0_13select_configILj256ELj13ELNS0_17block_load_methodE3ELS4_3ELS4_3ELNS0_20block_scan_algorithmE0ELj4294967295EEENS1_25partition_config_selectorILNS1_17partition_subalgoE4EjNS0_10empty_typeEbEEZZNS1_14partition_implILS8_4ELb0ES6_15HIP_vector_typeIjLj2EENS0_17counting_iteratorIjlEEPS9_SG_NS0_5tupleIJPjSI_NS0_16reverse_iteratorISI_EEEEENSH_IJSG_SG_SG_EEES9_SI_JZNS1_25segmented_radix_sort_implINS0_14default_configELb1EPK6__halfPSP_PKlPlN2at6native12_GLOBAL__N_18offset_tEEE10hipError_tPvRmT1_PNSt15iterator_traitsIS13_E10value_typeET2_T3_PNS14_IS19_E10value_typeET4_jRbjT5_S1F_jjP12ihipStream_tbEUljE_ZNSN_ISO_Lb1ESR_SS_SU_SV_SZ_EES10_S11_S12_S13_S17_S18_S19_S1C_S1D_jS1E_jS1F_S1F_jjS1H_bEUljE0_EEES10_S11_S12_S19_S1D_S1F_T6_T7_T9_mT8_S1H_bDpT10_ENKUlT_T0_E_clISt17integral_constantIbLb0EES1U_IbLb1EEEEDaS1Q_S1R_EUlS1Q_E_NS1_11comp_targetILNS1_3genE8ELNS1_11target_archE1030ELNS1_3gpuE2ELNS1_3repE0EEENS1_30default_config_static_selectorELNS0_4arch9wavefront6targetE0EEEvS13_, .Lfunc_end1696-_ZN7rocprim17ROCPRIM_400000_NS6detail17trampoline_kernelINS0_13select_configILj256ELj13ELNS0_17block_load_methodE3ELS4_3ELS4_3ELNS0_20block_scan_algorithmE0ELj4294967295EEENS1_25partition_config_selectorILNS1_17partition_subalgoE4EjNS0_10empty_typeEbEEZZNS1_14partition_implILS8_4ELb0ES6_15HIP_vector_typeIjLj2EENS0_17counting_iteratorIjlEEPS9_SG_NS0_5tupleIJPjSI_NS0_16reverse_iteratorISI_EEEEENSH_IJSG_SG_SG_EEES9_SI_JZNS1_25segmented_radix_sort_implINS0_14default_configELb1EPK6__halfPSP_PKlPlN2at6native12_GLOBAL__N_18offset_tEEE10hipError_tPvRmT1_PNSt15iterator_traitsIS13_E10value_typeET2_T3_PNS14_IS19_E10value_typeET4_jRbjT5_S1F_jjP12ihipStream_tbEUljE_ZNSN_ISO_Lb1ESR_SS_SU_SV_SZ_EES10_S11_S12_S13_S17_S18_S19_S1C_S1D_jS1E_jS1F_S1F_jjS1H_bEUljE0_EEES10_S11_S12_S19_S1D_S1F_T6_T7_T9_mT8_S1H_bDpT10_ENKUlT_T0_E_clISt17integral_constantIbLb0EES1U_IbLb1EEEEDaS1Q_S1R_EUlS1Q_E_NS1_11comp_targetILNS1_3genE8ELNS1_11target_archE1030ELNS1_3gpuE2ELNS1_3repE0EEENS1_30default_config_static_selectorELNS0_4arch9wavefront6targetE0EEEvS13_
                                        ; -- End function
	.set _ZN7rocprim17ROCPRIM_400000_NS6detail17trampoline_kernelINS0_13select_configILj256ELj13ELNS0_17block_load_methodE3ELS4_3ELS4_3ELNS0_20block_scan_algorithmE0ELj4294967295EEENS1_25partition_config_selectorILNS1_17partition_subalgoE4EjNS0_10empty_typeEbEEZZNS1_14partition_implILS8_4ELb0ES6_15HIP_vector_typeIjLj2EENS0_17counting_iteratorIjlEEPS9_SG_NS0_5tupleIJPjSI_NS0_16reverse_iteratorISI_EEEEENSH_IJSG_SG_SG_EEES9_SI_JZNS1_25segmented_radix_sort_implINS0_14default_configELb1EPK6__halfPSP_PKlPlN2at6native12_GLOBAL__N_18offset_tEEE10hipError_tPvRmT1_PNSt15iterator_traitsIS13_E10value_typeET2_T3_PNS14_IS19_E10value_typeET4_jRbjT5_S1F_jjP12ihipStream_tbEUljE_ZNSN_ISO_Lb1ESR_SS_SU_SV_SZ_EES10_S11_S12_S13_S17_S18_S19_S1C_S1D_jS1E_jS1F_S1F_jjS1H_bEUljE0_EEES10_S11_S12_S19_S1D_S1F_T6_T7_T9_mT8_S1H_bDpT10_ENKUlT_T0_E_clISt17integral_constantIbLb0EES1U_IbLb1EEEEDaS1Q_S1R_EUlS1Q_E_NS1_11comp_targetILNS1_3genE8ELNS1_11target_archE1030ELNS1_3gpuE2ELNS1_3repE0EEENS1_30default_config_static_selectorELNS0_4arch9wavefront6targetE0EEEvS13_.num_vgpr, 87
	.set _ZN7rocprim17ROCPRIM_400000_NS6detail17trampoline_kernelINS0_13select_configILj256ELj13ELNS0_17block_load_methodE3ELS4_3ELS4_3ELNS0_20block_scan_algorithmE0ELj4294967295EEENS1_25partition_config_selectorILNS1_17partition_subalgoE4EjNS0_10empty_typeEbEEZZNS1_14partition_implILS8_4ELb0ES6_15HIP_vector_typeIjLj2EENS0_17counting_iteratorIjlEEPS9_SG_NS0_5tupleIJPjSI_NS0_16reverse_iteratorISI_EEEEENSH_IJSG_SG_SG_EEES9_SI_JZNS1_25segmented_radix_sort_implINS0_14default_configELb1EPK6__halfPSP_PKlPlN2at6native12_GLOBAL__N_18offset_tEEE10hipError_tPvRmT1_PNSt15iterator_traitsIS13_E10value_typeET2_T3_PNS14_IS19_E10value_typeET4_jRbjT5_S1F_jjP12ihipStream_tbEUljE_ZNSN_ISO_Lb1ESR_SS_SU_SV_SZ_EES10_S11_S12_S13_S17_S18_S19_S1C_S1D_jS1E_jS1F_S1F_jjS1H_bEUljE0_EEES10_S11_S12_S19_S1D_S1F_T6_T7_T9_mT8_S1H_bDpT10_ENKUlT_T0_E_clISt17integral_constantIbLb0EES1U_IbLb1EEEEDaS1Q_S1R_EUlS1Q_E_NS1_11comp_targetILNS1_3genE8ELNS1_11target_archE1030ELNS1_3gpuE2ELNS1_3repE0EEENS1_30default_config_static_selectorELNS0_4arch9wavefront6targetE0EEEvS13_.num_agpr, 0
	.set _ZN7rocprim17ROCPRIM_400000_NS6detail17trampoline_kernelINS0_13select_configILj256ELj13ELNS0_17block_load_methodE3ELS4_3ELS4_3ELNS0_20block_scan_algorithmE0ELj4294967295EEENS1_25partition_config_selectorILNS1_17partition_subalgoE4EjNS0_10empty_typeEbEEZZNS1_14partition_implILS8_4ELb0ES6_15HIP_vector_typeIjLj2EENS0_17counting_iteratorIjlEEPS9_SG_NS0_5tupleIJPjSI_NS0_16reverse_iteratorISI_EEEEENSH_IJSG_SG_SG_EEES9_SI_JZNS1_25segmented_radix_sort_implINS0_14default_configELb1EPK6__halfPSP_PKlPlN2at6native12_GLOBAL__N_18offset_tEEE10hipError_tPvRmT1_PNSt15iterator_traitsIS13_E10value_typeET2_T3_PNS14_IS19_E10value_typeET4_jRbjT5_S1F_jjP12ihipStream_tbEUljE_ZNSN_ISO_Lb1ESR_SS_SU_SV_SZ_EES10_S11_S12_S13_S17_S18_S19_S1C_S1D_jS1E_jS1F_S1F_jjS1H_bEUljE0_EEES10_S11_S12_S19_S1D_S1F_T6_T7_T9_mT8_S1H_bDpT10_ENKUlT_T0_E_clISt17integral_constantIbLb0EES1U_IbLb1EEEEDaS1Q_S1R_EUlS1Q_E_NS1_11comp_targetILNS1_3genE8ELNS1_11target_archE1030ELNS1_3gpuE2ELNS1_3repE0EEENS1_30default_config_static_selectorELNS0_4arch9wavefront6targetE0EEEvS13_.numbered_sgpr, 55
	.set _ZN7rocprim17ROCPRIM_400000_NS6detail17trampoline_kernelINS0_13select_configILj256ELj13ELNS0_17block_load_methodE3ELS4_3ELS4_3ELNS0_20block_scan_algorithmE0ELj4294967295EEENS1_25partition_config_selectorILNS1_17partition_subalgoE4EjNS0_10empty_typeEbEEZZNS1_14partition_implILS8_4ELb0ES6_15HIP_vector_typeIjLj2EENS0_17counting_iteratorIjlEEPS9_SG_NS0_5tupleIJPjSI_NS0_16reverse_iteratorISI_EEEEENSH_IJSG_SG_SG_EEES9_SI_JZNS1_25segmented_radix_sort_implINS0_14default_configELb1EPK6__halfPSP_PKlPlN2at6native12_GLOBAL__N_18offset_tEEE10hipError_tPvRmT1_PNSt15iterator_traitsIS13_E10value_typeET2_T3_PNS14_IS19_E10value_typeET4_jRbjT5_S1F_jjP12ihipStream_tbEUljE_ZNSN_ISO_Lb1ESR_SS_SU_SV_SZ_EES10_S11_S12_S13_S17_S18_S19_S1C_S1D_jS1E_jS1F_S1F_jjS1H_bEUljE0_EEES10_S11_S12_S19_S1D_S1F_T6_T7_T9_mT8_S1H_bDpT10_ENKUlT_T0_E_clISt17integral_constantIbLb0EES1U_IbLb1EEEEDaS1Q_S1R_EUlS1Q_E_NS1_11comp_targetILNS1_3genE8ELNS1_11target_archE1030ELNS1_3gpuE2ELNS1_3repE0EEENS1_30default_config_static_selectorELNS0_4arch9wavefront6targetE0EEEvS13_.num_named_barrier, 0
	.set _ZN7rocprim17ROCPRIM_400000_NS6detail17trampoline_kernelINS0_13select_configILj256ELj13ELNS0_17block_load_methodE3ELS4_3ELS4_3ELNS0_20block_scan_algorithmE0ELj4294967295EEENS1_25partition_config_selectorILNS1_17partition_subalgoE4EjNS0_10empty_typeEbEEZZNS1_14partition_implILS8_4ELb0ES6_15HIP_vector_typeIjLj2EENS0_17counting_iteratorIjlEEPS9_SG_NS0_5tupleIJPjSI_NS0_16reverse_iteratorISI_EEEEENSH_IJSG_SG_SG_EEES9_SI_JZNS1_25segmented_radix_sort_implINS0_14default_configELb1EPK6__halfPSP_PKlPlN2at6native12_GLOBAL__N_18offset_tEEE10hipError_tPvRmT1_PNSt15iterator_traitsIS13_E10value_typeET2_T3_PNS14_IS19_E10value_typeET4_jRbjT5_S1F_jjP12ihipStream_tbEUljE_ZNSN_ISO_Lb1ESR_SS_SU_SV_SZ_EES10_S11_S12_S13_S17_S18_S19_S1C_S1D_jS1E_jS1F_S1F_jjS1H_bEUljE0_EEES10_S11_S12_S19_S1D_S1F_T6_T7_T9_mT8_S1H_bDpT10_ENKUlT_T0_E_clISt17integral_constantIbLb0EES1U_IbLb1EEEEDaS1Q_S1R_EUlS1Q_E_NS1_11comp_targetILNS1_3genE8ELNS1_11target_archE1030ELNS1_3gpuE2ELNS1_3repE0EEENS1_30default_config_static_selectorELNS0_4arch9wavefront6targetE0EEEvS13_.private_seg_size, 0
	.set _ZN7rocprim17ROCPRIM_400000_NS6detail17trampoline_kernelINS0_13select_configILj256ELj13ELNS0_17block_load_methodE3ELS4_3ELS4_3ELNS0_20block_scan_algorithmE0ELj4294967295EEENS1_25partition_config_selectorILNS1_17partition_subalgoE4EjNS0_10empty_typeEbEEZZNS1_14partition_implILS8_4ELb0ES6_15HIP_vector_typeIjLj2EENS0_17counting_iteratorIjlEEPS9_SG_NS0_5tupleIJPjSI_NS0_16reverse_iteratorISI_EEEEENSH_IJSG_SG_SG_EEES9_SI_JZNS1_25segmented_radix_sort_implINS0_14default_configELb1EPK6__halfPSP_PKlPlN2at6native12_GLOBAL__N_18offset_tEEE10hipError_tPvRmT1_PNSt15iterator_traitsIS13_E10value_typeET2_T3_PNS14_IS19_E10value_typeET4_jRbjT5_S1F_jjP12ihipStream_tbEUljE_ZNSN_ISO_Lb1ESR_SS_SU_SV_SZ_EES10_S11_S12_S13_S17_S18_S19_S1C_S1D_jS1E_jS1F_S1F_jjS1H_bEUljE0_EEES10_S11_S12_S19_S1D_S1F_T6_T7_T9_mT8_S1H_bDpT10_ENKUlT_T0_E_clISt17integral_constantIbLb0EES1U_IbLb1EEEEDaS1Q_S1R_EUlS1Q_E_NS1_11comp_targetILNS1_3genE8ELNS1_11target_archE1030ELNS1_3gpuE2ELNS1_3repE0EEENS1_30default_config_static_selectorELNS0_4arch9wavefront6targetE0EEEvS13_.uses_vcc, 1
	.set _ZN7rocprim17ROCPRIM_400000_NS6detail17trampoline_kernelINS0_13select_configILj256ELj13ELNS0_17block_load_methodE3ELS4_3ELS4_3ELNS0_20block_scan_algorithmE0ELj4294967295EEENS1_25partition_config_selectorILNS1_17partition_subalgoE4EjNS0_10empty_typeEbEEZZNS1_14partition_implILS8_4ELb0ES6_15HIP_vector_typeIjLj2EENS0_17counting_iteratorIjlEEPS9_SG_NS0_5tupleIJPjSI_NS0_16reverse_iteratorISI_EEEEENSH_IJSG_SG_SG_EEES9_SI_JZNS1_25segmented_radix_sort_implINS0_14default_configELb1EPK6__halfPSP_PKlPlN2at6native12_GLOBAL__N_18offset_tEEE10hipError_tPvRmT1_PNSt15iterator_traitsIS13_E10value_typeET2_T3_PNS14_IS19_E10value_typeET4_jRbjT5_S1F_jjP12ihipStream_tbEUljE_ZNSN_ISO_Lb1ESR_SS_SU_SV_SZ_EES10_S11_S12_S13_S17_S18_S19_S1C_S1D_jS1E_jS1F_S1F_jjS1H_bEUljE0_EEES10_S11_S12_S19_S1D_S1F_T6_T7_T9_mT8_S1H_bDpT10_ENKUlT_T0_E_clISt17integral_constantIbLb0EES1U_IbLb1EEEEDaS1Q_S1R_EUlS1Q_E_NS1_11comp_targetILNS1_3genE8ELNS1_11target_archE1030ELNS1_3gpuE2ELNS1_3repE0EEENS1_30default_config_static_selectorELNS0_4arch9wavefront6targetE0EEEvS13_.uses_flat_scratch, 0
	.set _ZN7rocprim17ROCPRIM_400000_NS6detail17trampoline_kernelINS0_13select_configILj256ELj13ELNS0_17block_load_methodE3ELS4_3ELS4_3ELNS0_20block_scan_algorithmE0ELj4294967295EEENS1_25partition_config_selectorILNS1_17partition_subalgoE4EjNS0_10empty_typeEbEEZZNS1_14partition_implILS8_4ELb0ES6_15HIP_vector_typeIjLj2EENS0_17counting_iteratorIjlEEPS9_SG_NS0_5tupleIJPjSI_NS0_16reverse_iteratorISI_EEEEENSH_IJSG_SG_SG_EEES9_SI_JZNS1_25segmented_radix_sort_implINS0_14default_configELb1EPK6__halfPSP_PKlPlN2at6native12_GLOBAL__N_18offset_tEEE10hipError_tPvRmT1_PNSt15iterator_traitsIS13_E10value_typeET2_T3_PNS14_IS19_E10value_typeET4_jRbjT5_S1F_jjP12ihipStream_tbEUljE_ZNSN_ISO_Lb1ESR_SS_SU_SV_SZ_EES10_S11_S12_S13_S17_S18_S19_S1C_S1D_jS1E_jS1F_S1F_jjS1H_bEUljE0_EEES10_S11_S12_S19_S1D_S1F_T6_T7_T9_mT8_S1H_bDpT10_ENKUlT_T0_E_clISt17integral_constantIbLb0EES1U_IbLb1EEEEDaS1Q_S1R_EUlS1Q_E_NS1_11comp_targetILNS1_3genE8ELNS1_11target_archE1030ELNS1_3gpuE2ELNS1_3repE0EEENS1_30default_config_static_selectorELNS0_4arch9wavefront6targetE0EEEvS13_.has_dyn_sized_stack, 0
	.set _ZN7rocprim17ROCPRIM_400000_NS6detail17trampoline_kernelINS0_13select_configILj256ELj13ELNS0_17block_load_methodE3ELS4_3ELS4_3ELNS0_20block_scan_algorithmE0ELj4294967295EEENS1_25partition_config_selectorILNS1_17partition_subalgoE4EjNS0_10empty_typeEbEEZZNS1_14partition_implILS8_4ELb0ES6_15HIP_vector_typeIjLj2EENS0_17counting_iteratorIjlEEPS9_SG_NS0_5tupleIJPjSI_NS0_16reverse_iteratorISI_EEEEENSH_IJSG_SG_SG_EEES9_SI_JZNS1_25segmented_radix_sort_implINS0_14default_configELb1EPK6__halfPSP_PKlPlN2at6native12_GLOBAL__N_18offset_tEEE10hipError_tPvRmT1_PNSt15iterator_traitsIS13_E10value_typeET2_T3_PNS14_IS19_E10value_typeET4_jRbjT5_S1F_jjP12ihipStream_tbEUljE_ZNSN_ISO_Lb1ESR_SS_SU_SV_SZ_EES10_S11_S12_S13_S17_S18_S19_S1C_S1D_jS1E_jS1F_S1F_jjS1H_bEUljE0_EEES10_S11_S12_S19_S1D_S1F_T6_T7_T9_mT8_S1H_bDpT10_ENKUlT_T0_E_clISt17integral_constantIbLb0EES1U_IbLb1EEEEDaS1Q_S1R_EUlS1Q_E_NS1_11comp_targetILNS1_3genE8ELNS1_11target_archE1030ELNS1_3gpuE2ELNS1_3repE0EEENS1_30default_config_static_selectorELNS0_4arch9wavefront6targetE0EEEvS13_.has_recursion, 0
	.set _ZN7rocprim17ROCPRIM_400000_NS6detail17trampoline_kernelINS0_13select_configILj256ELj13ELNS0_17block_load_methodE3ELS4_3ELS4_3ELNS0_20block_scan_algorithmE0ELj4294967295EEENS1_25partition_config_selectorILNS1_17partition_subalgoE4EjNS0_10empty_typeEbEEZZNS1_14partition_implILS8_4ELb0ES6_15HIP_vector_typeIjLj2EENS0_17counting_iteratorIjlEEPS9_SG_NS0_5tupleIJPjSI_NS0_16reverse_iteratorISI_EEEEENSH_IJSG_SG_SG_EEES9_SI_JZNS1_25segmented_radix_sort_implINS0_14default_configELb1EPK6__halfPSP_PKlPlN2at6native12_GLOBAL__N_18offset_tEEE10hipError_tPvRmT1_PNSt15iterator_traitsIS13_E10value_typeET2_T3_PNS14_IS19_E10value_typeET4_jRbjT5_S1F_jjP12ihipStream_tbEUljE_ZNSN_ISO_Lb1ESR_SS_SU_SV_SZ_EES10_S11_S12_S13_S17_S18_S19_S1C_S1D_jS1E_jS1F_S1F_jjS1H_bEUljE0_EEES10_S11_S12_S19_S1D_S1F_T6_T7_T9_mT8_S1H_bDpT10_ENKUlT_T0_E_clISt17integral_constantIbLb0EES1U_IbLb1EEEEDaS1Q_S1R_EUlS1Q_E_NS1_11comp_targetILNS1_3genE8ELNS1_11target_archE1030ELNS1_3gpuE2ELNS1_3repE0EEENS1_30default_config_static_selectorELNS0_4arch9wavefront6targetE0EEEvS13_.has_indirect_call, 0
	.section	.AMDGPU.csdata,"",@progbits
; Kernel info:
; codeLenInByte = 16368
; TotalNumSgprs: 57
; NumVgprs: 87
; ScratchSize: 0
; MemoryBound: 0
; FloatMode: 240
; IeeeMode: 1
; LDSByteSize: 13328 bytes/workgroup (compile time only)
; SGPRBlocks: 0
; VGPRBlocks: 10
; NumSGPRsForWavesPerEU: 57
; NumVGPRsForWavesPerEU: 87
; Occupancy: 10
; WaveLimiterHint : 1
; COMPUTE_PGM_RSRC2:SCRATCH_EN: 0
; COMPUTE_PGM_RSRC2:USER_SGPR: 6
; COMPUTE_PGM_RSRC2:TRAP_HANDLER: 0
; COMPUTE_PGM_RSRC2:TGID_X_EN: 1
; COMPUTE_PGM_RSRC2:TGID_Y_EN: 0
; COMPUTE_PGM_RSRC2:TGID_Z_EN: 0
; COMPUTE_PGM_RSRC2:TIDIG_COMP_CNT: 0
	.section	.text._ZN7rocprim17ROCPRIM_400000_NS6detail17trampoline_kernelINS0_13select_configILj256ELj13ELNS0_17block_load_methodE3ELS4_3ELS4_3ELNS0_20block_scan_algorithmE0ELj4294967295EEENS1_25partition_config_selectorILNS1_17partition_subalgoE3EjNS0_10empty_typeEbEEZZNS1_14partition_implILS8_3ELb0ES6_jNS0_17counting_iteratorIjlEEPS9_SE_NS0_5tupleIJPjSE_EEENSF_IJSE_SE_EEES9_SG_JZNS1_25segmented_radix_sort_implINS0_14default_configELb1EPK6__halfPSL_PKlPlN2at6native12_GLOBAL__N_18offset_tEEE10hipError_tPvRmT1_PNSt15iterator_traitsISZ_E10value_typeET2_T3_PNS10_IS15_E10value_typeET4_jRbjT5_S1B_jjP12ihipStream_tbEUljE_EEESW_SX_SY_S15_S19_S1B_T6_T7_T9_mT8_S1D_bDpT10_ENKUlT_T0_E_clISt17integral_constantIbLb0EES1Q_EEDaS1L_S1M_EUlS1L_E_NS1_11comp_targetILNS1_3genE0ELNS1_11target_archE4294967295ELNS1_3gpuE0ELNS1_3repE0EEENS1_30default_config_static_selectorELNS0_4arch9wavefront6targetE0EEEvSZ_,"axG",@progbits,_ZN7rocprim17ROCPRIM_400000_NS6detail17trampoline_kernelINS0_13select_configILj256ELj13ELNS0_17block_load_methodE3ELS4_3ELS4_3ELNS0_20block_scan_algorithmE0ELj4294967295EEENS1_25partition_config_selectorILNS1_17partition_subalgoE3EjNS0_10empty_typeEbEEZZNS1_14partition_implILS8_3ELb0ES6_jNS0_17counting_iteratorIjlEEPS9_SE_NS0_5tupleIJPjSE_EEENSF_IJSE_SE_EEES9_SG_JZNS1_25segmented_radix_sort_implINS0_14default_configELb1EPK6__halfPSL_PKlPlN2at6native12_GLOBAL__N_18offset_tEEE10hipError_tPvRmT1_PNSt15iterator_traitsISZ_E10value_typeET2_T3_PNS10_IS15_E10value_typeET4_jRbjT5_S1B_jjP12ihipStream_tbEUljE_EEESW_SX_SY_S15_S19_S1B_T6_T7_T9_mT8_S1D_bDpT10_ENKUlT_T0_E_clISt17integral_constantIbLb0EES1Q_EEDaS1L_S1M_EUlS1L_E_NS1_11comp_targetILNS1_3genE0ELNS1_11target_archE4294967295ELNS1_3gpuE0ELNS1_3repE0EEENS1_30default_config_static_selectorELNS0_4arch9wavefront6targetE0EEEvSZ_,comdat
	.globl	_ZN7rocprim17ROCPRIM_400000_NS6detail17trampoline_kernelINS0_13select_configILj256ELj13ELNS0_17block_load_methodE3ELS4_3ELS4_3ELNS0_20block_scan_algorithmE0ELj4294967295EEENS1_25partition_config_selectorILNS1_17partition_subalgoE3EjNS0_10empty_typeEbEEZZNS1_14partition_implILS8_3ELb0ES6_jNS0_17counting_iteratorIjlEEPS9_SE_NS0_5tupleIJPjSE_EEENSF_IJSE_SE_EEES9_SG_JZNS1_25segmented_radix_sort_implINS0_14default_configELb1EPK6__halfPSL_PKlPlN2at6native12_GLOBAL__N_18offset_tEEE10hipError_tPvRmT1_PNSt15iterator_traitsISZ_E10value_typeET2_T3_PNS10_IS15_E10value_typeET4_jRbjT5_S1B_jjP12ihipStream_tbEUljE_EEESW_SX_SY_S15_S19_S1B_T6_T7_T9_mT8_S1D_bDpT10_ENKUlT_T0_E_clISt17integral_constantIbLb0EES1Q_EEDaS1L_S1M_EUlS1L_E_NS1_11comp_targetILNS1_3genE0ELNS1_11target_archE4294967295ELNS1_3gpuE0ELNS1_3repE0EEENS1_30default_config_static_selectorELNS0_4arch9wavefront6targetE0EEEvSZ_ ; -- Begin function _ZN7rocprim17ROCPRIM_400000_NS6detail17trampoline_kernelINS0_13select_configILj256ELj13ELNS0_17block_load_methodE3ELS4_3ELS4_3ELNS0_20block_scan_algorithmE0ELj4294967295EEENS1_25partition_config_selectorILNS1_17partition_subalgoE3EjNS0_10empty_typeEbEEZZNS1_14partition_implILS8_3ELb0ES6_jNS0_17counting_iteratorIjlEEPS9_SE_NS0_5tupleIJPjSE_EEENSF_IJSE_SE_EEES9_SG_JZNS1_25segmented_radix_sort_implINS0_14default_configELb1EPK6__halfPSL_PKlPlN2at6native12_GLOBAL__N_18offset_tEEE10hipError_tPvRmT1_PNSt15iterator_traitsISZ_E10value_typeET2_T3_PNS10_IS15_E10value_typeET4_jRbjT5_S1B_jjP12ihipStream_tbEUljE_EEESW_SX_SY_S15_S19_S1B_T6_T7_T9_mT8_S1D_bDpT10_ENKUlT_T0_E_clISt17integral_constantIbLb0EES1Q_EEDaS1L_S1M_EUlS1L_E_NS1_11comp_targetILNS1_3genE0ELNS1_11target_archE4294967295ELNS1_3gpuE0ELNS1_3repE0EEENS1_30default_config_static_selectorELNS0_4arch9wavefront6targetE0EEEvSZ_
	.p2align	8
	.type	_ZN7rocprim17ROCPRIM_400000_NS6detail17trampoline_kernelINS0_13select_configILj256ELj13ELNS0_17block_load_methodE3ELS4_3ELS4_3ELNS0_20block_scan_algorithmE0ELj4294967295EEENS1_25partition_config_selectorILNS1_17partition_subalgoE3EjNS0_10empty_typeEbEEZZNS1_14partition_implILS8_3ELb0ES6_jNS0_17counting_iteratorIjlEEPS9_SE_NS0_5tupleIJPjSE_EEENSF_IJSE_SE_EEES9_SG_JZNS1_25segmented_radix_sort_implINS0_14default_configELb1EPK6__halfPSL_PKlPlN2at6native12_GLOBAL__N_18offset_tEEE10hipError_tPvRmT1_PNSt15iterator_traitsISZ_E10value_typeET2_T3_PNS10_IS15_E10value_typeET4_jRbjT5_S1B_jjP12ihipStream_tbEUljE_EEESW_SX_SY_S15_S19_S1B_T6_T7_T9_mT8_S1D_bDpT10_ENKUlT_T0_E_clISt17integral_constantIbLb0EES1Q_EEDaS1L_S1M_EUlS1L_E_NS1_11comp_targetILNS1_3genE0ELNS1_11target_archE4294967295ELNS1_3gpuE0ELNS1_3repE0EEENS1_30default_config_static_selectorELNS0_4arch9wavefront6targetE0EEEvSZ_,@function
_ZN7rocprim17ROCPRIM_400000_NS6detail17trampoline_kernelINS0_13select_configILj256ELj13ELNS0_17block_load_methodE3ELS4_3ELS4_3ELNS0_20block_scan_algorithmE0ELj4294967295EEENS1_25partition_config_selectorILNS1_17partition_subalgoE3EjNS0_10empty_typeEbEEZZNS1_14partition_implILS8_3ELb0ES6_jNS0_17counting_iteratorIjlEEPS9_SE_NS0_5tupleIJPjSE_EEENSF_IJSE_SE_EEES9_SG_JZNS1_25segmented_radix_sort_implINS0_14default_configELb1EPK6__halfPSL_PKlPlN2at6native12_GLOBAL__N_18offset_tEEE10hipError_tPvRmT1_PNSt15iterator_traitsISZ_E10value_typeET2_T3_PNS10_IS15_E10value_typeET4_jRbjT5_S1B_jjP12ihipStream_tbEUljE_EEESW_SX_SY_S15_S19_S1B_T6_T7_T9_mT8_S1D_bDpT10_ENKUlT_T0_E_clISt17integral_constantIbLb0EES1Q_EEDaS1L_S1M_EUlS1L_E_NS1_11comp_targetILNS1_3genE0ELNS1_11target_archE4294967295ELNS1_3gpuE0ELNS1_3repE0EEENS1_30default_config_static_selectorELNS0_4arch9wavefront6targetE0EEEvSZ_: ; @_ZN7rocprim17ROCPRIM_400000_NS6detail17trampoline_kernelINS0_13select_configILj256ELj13ELNS0_17block_load_methodE3ELS4_3ELS4_3ELNS0_20block_scan_algorithmE0ELj4294967295EEENS1_25partition_config_selectorILNS1_17partition_subalgoE3EjNS0_10empty_typeEbEEZZNS1_14partition_implILS8_3ELb0ES6_jNS0_17counting_iteratorIjlEEPS9_SE_NS0_5tupleIJPjSE_EEENSF_IJSE_SE_EEES9_SG_JZNS1_25segmented_radix_sort_implINS0_14default_configELb1EPK6__halfPSL_PKlPlN2at6native12_GLOBAL__N_18offset_tEEE10hipError_tPvRmT1_PNSt15iterator_traitsISZ_E10value_typeET2_T3_PNS10_IS15_E10value_typeET4_jRbjT5_S1B_jjP12ihipStream_tbEUljE_EEESW_SX_SY_S15_S19_S1B_T6_T7_T9_mT8_S1D_bDpT10_ENKUlT_T0_E_clISt17integral_constantIbLb0EES1Q_EEDaS1L_S1M_EUlS1L_E_NS1_11comp_targetILNS1_3genE0ELNS1_11target_archE4294967295ELNS1_3gpuE0ELNS1_3repE0EEENS1_30default_config_static_selectorELNS0_4arch9wavefront6targetE0EEEvSZ_
; %bb.0:
	.section	.rodata,"a",@progbits
	.p2align	6, 0x0
	.amdhsa_kernel _ZN7rocprim17ROCPRIM_400000_NS6detail17trampoline_kernelINS0_13select_configILj256ELj13ELNS0_17block_load_methodE3ELS4_3ELS4_3ELNS0_20block_scan_algorithmE0ELj4294967295EEENS1_25partition_config_selectorILNS1_17partition_subalgoE3EjNS0_10empty_typeEbEEZZNS1_14partition_implILS8_3ELb0ES6_jNS0_17counting_iteratorIjlEEPS9_SE_NS0_5tupleIJPjSE_EEENSF_IJSE_SE_EEES9_SG_JZNS1_25segmented_radix_sort_implINS0_14default_configELb1EPK6__halfPSL_PKlPlN2at6native12_GLOBAL__N_18offset_tEEE10hipError_tPvRmT1_PNSt15iterator_traitsISZ_E10value_typeET2_T3_PNS10_IS15_E10value_typeET4_jRbjT5_S1B_jjP12ihipStream_tbEUljE_EEESW_SX_SY_S15_S19_S1B_T6_T7_T9_mT8_S1D_bDpT10_ENKUlT_T0_E_clISt17integral_constantIbLb0EES1Q_EEDaS1L_S1M_EUlS1L_E_NS1_11comp_targetILNS1_3genE0ELNS1_11target_archE4294967295ELNS1_3gpuE0ELNS1_3repE0EEENS1_30default_config_static_selectorELNS0_4arch9wavefront6targetE0EEEvSZ_
		.amdhsa_group_segment_fixed_size 0
		.amdhsa_private_segment_fixed_size 0
		.amdhsa_kernarg_size 144
		.amdhsa_user_sgpr_count 6
		.amdhsa_user_sgpr_private_segment_buffer 1
		.amdhsa_user_sgpr_dispatch_ptr 0
		.amdhsa_user_sgpr_queue_ptr 0
		.amdhsa_user_sgpr_kernarg_segment_ptr 1
		.amdhsa_user_sgpr_dispatch_id 0
		.amdhsa_user_sgpr_flat_scratch_init 0
		.amdhsa_user_sgpr_private_segment_size 0
		.amdhsa_wavefront_size32 1
		.amdhsa_uses_dynamic_stack 0
		.amdhsa_system_sgpr_private_segment_wavefront_offset 0
		.amdhsa_system_sgpr_workgroup_id_x 1
		.amdhsa_system_sgpr_workgroup_id_y 0
		.amdhsa_system_sgpr_workgroup_id_z 0
		.amdhsa_system_sgpr_workgroup_info 0
		.amdhsa_system_vgpr_workitem_id 0
		.amdhsa_next_free_vgpr 1
		.amdhsa_next_free_sgpr 1
		.amdhsa_reserve_vcc 0
		.amdhsa_reserve_flat_scratch 0
		.amdhsa_float_round_mode_32 0
		.amdhsa_float_round_mode_16_64 0
		.amdhsa_float_denorm_mode_32 3
		.amdhsa_float_denorm_mode_16_64 3
		.amdhsa_dx10_clamp 1
		.amdhsa_ieee_mode 1
		.amdhsa_fp16_overflow 0
		.amdhsa_workgroup_processor_mode 1
		.amdhsa_memory_ordered 1
		.amdhsa_forward_progress 1
		.amdhsa_shared_vgpr_count 0
		.amdhsa_exception_fp_ieee_invalid_op 0
		.amdhsa_exception_fp_denorm_src 0
		.amdhsa_exception_fp_ieee_div_zero 0
		.amdhsa_exception_fp_ieee_overflow 0
		.amdhsa_exception_fp_ieee_underflow 0
		.amdhsa_exception_fp_ieee_inexact 0
		.amdhsa_exception_int_div_zero 0
	.end_amdhsa_kernel
	.section	.text._ZN7rocprim17ROCPRIM_400000_NS6detail17trampoline_kernelINS0_13select_configILj256ELj13ELNS0_17block_load_methodE3ELS4_3ELS4_3ELNS0_20block_scan_algorithmE0ELj4294967295EEENS1_25partition_config_selectorILNS1_17partition_subalgoE3EjNS0_10empty_typeEbEEZZNS1_14partition_implILS8_3ELb0ES6_jNS0_17counting_iteratorIjlEEPS9_SE_NS0_5tupleIJPjSE_EEENSF_IJSE_SE_EEES9_SG_JZNS1_25segmented_radix_sort_implINS0_14default_configELb1EPK6__halfPSL_PKlPlN2at6native12_GLOBAL__N_18offset_tEEE10hipError_tPvRmT1_PNSt15iterator_traitsISZ_E10value_typeET2_T3_PNS10_IS15_E10value_typeET4_jRbjT5_S1B_jjP12ihipStream_tbEUljE_EEESW_SX_SY_S15_S19_S1B_T6_T7_T9_mT8_S1D_bDpT10_ENKUlT_T0_E_clISt17integral_constantIbLb0EES1Q_EEDaS1L_S1M_EUlS1L_E_NS1_11comp_targetILNS1_3genE0ELNS1_11target_archE4294967295ELNS1_3gpuE0ELNS1_3repE0EEENS1_30default_config_static_selectorELNS0_4arch9wavefront6targetE0EEEvSZ_,"axG",@progbits,_ZN7rocprim17ROCPRIM_400000_NS6detail17trampoline_kernelINS0_13select_configILj256ELj13ELNS0_17block_load_methodE3ELS4_3ELS4_3ELNS0_20block_scan_algorithmE0ELj4294967295EEENS1_25partition_config_selectorILNS1_17partition_subalgoE3EjNS0_10empty_typeEbEEZZNS1_14partition_implILS8_3ELb0ES6_jNS0_17counting_iteratorIjlEEPS9_SE_NS0_5tupleIJPjSE_EEENSF_IJSE_SE_EEES9_SG_JZNS1_25segmented_radix_sort_implINS0_14default_configELb1EPK6__halfPSL_PKlPlN2at6native12_GLOBAL__N_18offset_tEEE10hipError_tPvRmT1_PNSt15iterator_traitsISZ_E10value_typeET2_T3_PNS10_IS15_E10value_typeET4_jRbjT5_S1B_jjP12ihipStream_tbEUljE_EEESW_SX_SY_S15_S19_S1B_T6_T7_T9_mT8_S1D_bDpT10_ENKUlT_T0_E_clISt17integral_constantIbLb0EES1Q_EEDaS1L_S1M_EUlS1L_E_NS1_11comp_targetILNS1_3genE0ELNS1_11target_archE4294967295ELNS1_3gpuE0ELNS1_3repE0EEENS1_30default_config_static_selectorELNS0_4arch9wavefront6targetE0EEEvSZ_,comdat
.Lfunc_end1697:
	.size	_ZN7rocprim17ROCPRIM_400000_NS6detail17trampoline_kernelINS0_13select_configILj256ELj13ELNS0_17block_load_methodE3ELS4_3ELS4_3ELNS0_20block_scan_algorithmE0ELj4294967295EEENS1_25partition_config_selectorILNS1_17partition_subalgoE3EjNS0_10empty_typeEbEEZZNS1_14partition_implILS8_3ELb0ES6_jNS0_17counting_iteratorIjlEEPS9_SE_NS0_5tupleIJPjSE_EEENSF_IJSE_SE_EEES9_SG_JZNS1_25segmented_radix_sort_implINS0_14default_configELb1EPK6__halfPSL_PKlPlN2at6native12_GLOBAL__N_18offset_tEEE10hipError_tPvRmT1_PNSt15iterator_traitsISZ_E10value_typeET2_T3_PNS10_IS15_E10value_typeET4_jRbjT5_S1B_jjP12ihipStream_tbEUljE_EEESW_SX_SY_S15_S19_S1B_T6_T7_T9_mT8_S1D_bDpT10_ENKUlT_T0_E_clISt17integral_constantIbLb0EES1Q_EEDaS1L_S1M_EUlS1L_E_NS1_11comp_targetILNS1_3genE0ELNS1_11target_archE4294967295ELNS1_3gpuE0ELNS1_3repE0EEENS1_30default_config_static_selectorELNS0_4arch9wavefront6targetE0EEEvSZ_, .Lfunc_end1697-_ZN7rocprim17ROCPRIM_400000_NS6detail17trampoline_kernelINS0_13select_configILj256ELj13ELNS0_17block_load_methodE3ELS4_3ELS4_3ELNS0_20block_scan_algorithmE0ELj4294967295EEENS1_25partition_config_selectorILNS1_17partition_subalgoE3EjNS0_10empty_typeEbEEZZNS1_14partition_implILS8_3ELb0ES6_jNS0_17counting_iteratorIjlEEPS9_SE_NS0_5tupleIJPjSE_EEENSF_IJSE_SE_EEES9_SG_JZNS1_25segmented_radix_sort_implINS0_14default_configELb1EPK6__halfPSL_PKlPlN2at6native12_GLOBAL__N_18offset_tEEE10hipError_tPvRmT1_PNSt15iterator_traitsISZ_E10value_typeET2_T3_PNS10_IS15_E10value_typeET4_jRbjT5_S1B_jjP12ihipStream_tbEUljE_EEESW_SX_SY_S15_S19_S1B_T6_T7_T9_mT8_S1D_bDpT10_ENKUlT_T0_E_clISt17integral_constantIbLb0EES1Q_EEDaS1L_S1M_EUlS1L_E_NS1_11comp_targetILNS1_3genE0ELNS1_11target_archE4294967295ELNS1_3gpuE0ELNS1_3repE0EEENS1_30default_config_static_selectorELNS0_4arch9wavefront6targetE0EEEvSZ_
                                        ; -- End function
	.set _ZN7rocprim17ROCPRIM_400000_NS6detail17trampoline_kernelINS0_13select_configILj256ELj13ELNS0_17block_load_methodE3ELS4_3ELS4_3ELNS0_20block_scan_algorithmE0ELj4294967295EEENS1_25partition_config_selectorILNS1_17partition_subalgoE3EjNS0_10empty_typeEbEEZZNS1_14partition_implILS8_3ELb0ES6_jNS0_17counting_iteratorIjlEEPS9_SE_NS0_5tupleIJPjSE_EEENSF_IJSE_SE_EEES9_SG_JZNS1_25segmented_radix_sort_implINS0_14default_configELb1EPK6__halfPSL_PKlPlN2at6native12_GLOBAL__N_18offset_tEEE10hipError_tPvRmT1_PNSt15iterator_traitsISZ_E10value_typeET2_T3_PNS10_IS15_E10value_typeET4_jRbjT5_S1B_jjP12ihipStream_tbEUljE_EEESW_SX_SY_S15_S19_S1B_T6_T7_T9_mT8_S1D_bDpT10_ENKUlT_T0_E_clISt17integral_constantIbLb0EES1Q_EEDaS1L_S1M_EUlS1L_E_NS1_11comp_targetILNS1_3genE0ELNS1_11target_archE4294967295ELNS1_3gpuE0ELNS1_3repE0EEENS1_30default_config_static_selectorELNS0_4arch9wavefront6targetE0EEEvSZ_.num_vgpr, 0
	.set _ZN7rocprim17ROCPRIM_400000_NS6detail17trampoline_kernelINS0_13select_configILj256ELj13ELNS0_17block_load_methodE3ELS4_3ELS4_3ELNS0_20block_scan_algorithmE0ELj4294967295EEENS1_25partition_config_selectorILNS1_17partition_subalgoE3EjNS0_10empty_typeEbEEZZNS1_14partition_implILS8_3ELb0ES6_jNS0_17counting_iteratorIjlEEPS9_SE_NS0_5tupleIJPjSE_EEENSF_IJSE_SE_EEES9_SG_JZNS1_25segmented_radix_sort_implINS0_14default_configELb1EPK6__halfPSL_PKlPlN2at6native12_GLOBAL__N_18offset_tEEE10hipError_tPvRmT1_PNSt15iterator_traitsISZ_E10value_typeET2_T3_PNS10_IS15_E10value_typeET4_jRbjT5_S1B_jjP12ihipStream_tbEUljE_EEESW_SX_SY_S15_S19_S1B_T6_T7_T9_mT8_S1D_bDpT10_ENKUlT_T0_E_clISt17integral_constantIbLb0EES1Q_EEDaS1L_S1M_EUlS1L_E_NS1_11comp_targetILNS1_3genE0ELNS1_11target_archE4294967295ELNS1_3gpuE0ELNS1_3repE0EEENS1_30default_config_static_selectorELNS0_4arch9wavefront6targetE0EEEvSZ_.num_agpr, 0
	.set _ZN7rocprim17ROCPRIM_400000_NS6detail17trampoline_kernelINS0_13select_configILj256ELj13ELNS0_17block_load_methodE3ELS4_3ELS4_3ELNS0_20block_scan_algorithmE0ELj4294967295EEENS1_25partition_config_selectorILNS1_17partition_subalgoE3EjNS0_10empty_typeEbEEZZNS1_14partition_implILS8_3ELb0ES6_jNS0_17counting_iteratorIjlEEPS9_SE_NS0_5tupleIJPjSE_EEENSF_IJSE_SE_EEES9_SG_JZNS1_25segmented_radix_sort_implINS0_14default_configELb1EPK6__halfPSL_PKlPlN2at6native12_GLOBAL__N_18offset_tEEE10hipError_tPvRmT1_PNSt15iterator_traitsISZ_E10value_typeET2_T3_PNS10_IS15_E10value_typeET4_jRbjT5_S1B_jjP12ihipStream_tbEUljE_EEESW_SX_SY_S15_S19_S1B_T6_T7_T9_mT8_S1D_bDpT10_ENKUlT_T0_E_clISt17integral_constantIbLb0EES1Q_EEDaS1L_S1M_EUlS1L_E_NS1_11comp_targetILNS1_3genE0ELNS1_11target_archE4294967295ELNS1_3gpuE0ELNS1_3repE0EEENS1_30default_config_static_selectorELNS0_4arch9wavefront6targetE0EEEvSZ_.numbered_sgpr, 0
	.set _ZN7rocprim17ROCPRIM_400000_NS6detail17trampoline_kernelINS0_13select_configILj256ELj13ELNS0_17block_load_methodE3ELS4_3ELS4_3ELNS0_20block_scan_algorithmE0ELj4294967295EEENS1_25partition_config_selectorILNS1_17partition_subalgoE3EjNS0_10empty_typeEbEEZZNS1_14partition_implILS8_3ELb0ES6_jNS0_17counting_iteratorIjlEEPS9_SE_NS0_5tupleIJPjSE_EEENSF_IJSE_SE_EEES9_SG_JZNS1_25segmented_radix_sort_implINS0_14default_configELb1EPK6__halfPSL_PKlPlN2at6native12_GLOBAL__N_18offset_tEEE10hipError_tPvRmT1_PNSt15iterator_traitsISZ_E10value_typeET2_T3_PNS10_IS15_E10value_typeET4_jRbjT5_S1B_jjP12ihipStream_tbEUljE_EEESW_SX_SY_S15_S19_S1B_T6_T7_T9_mT8_S1D_bDpT10_ENKUlT_T0_E_clISt17integral_constantIbLb0EES1Q_EEDaS1L_S1M_EUlS1L_E_NS1_11comp_targetILNS1_3genE0ELNS1_11target_archE4294967295ELNS1_3gpuE0ELNS1_3repE0EEENS1_30default_config_static_selectorELNS0_4arch9wavefront6targetE0EEEvSZ_.num_named_barrier, 0
	.set _ZN7rocprim17ROCPRIM_400000_NS6detail17trampoline_kernelINS0_13select_configILj256ELj13ELNS0_17block_load_methodE3ELS4_3ELS4_3ELNS0_20block_scan_algorithmE0ELj4294967295EEENS1_25partition_config_selectorILNS1_17partition_subalgoE3EjNS0_10empty_typeEbEEZZNS1_14partition_implILS8_3ELb0ES6_jNS0_17counting_iteratorIjlEEPS9_SE_NS0_5tupleIJPjSE_EEENSF_IJSE_SE_EEES9_SG_JZNS1_25segmented_radix_sort_implINS0_14default_configELb1EPK6__halfPSL_PKlPlN2at6native12_GLOBAL__N_18offset_tEEE10hipError_tPvRmT1_PNSt15iterator_traitsISZ_E10value_typeET2_T3_PNS10_IS15_E10value_typeET4_jRbjT5_S1B_jjP12ihipStream_tbEUljE_EEESW_SX_SY_S15_S19_S1B_T6_T7_T9_mT8_S1D_bDpT10_ENKUlT_T0_E_clISt17integral_constantIbLb0EES1Q_EEDaS1L_S1M_EUlS1L_E_NS1_11comp_targetILNS1_3genE0ELNS1_11target_archE4294967295ELNS1_3gpuE0ELNS1_3repE0EEENS1_30default_config_static_selectorELNS0_4arch9wavefront6targetE0EEEvSZ_.private_seg_size, 0
	.set _ZN7rocprim17ROCPRIM_400000_NS6detail17trampoline_kernelINS0_13select_configILj256ELj13ELNS0_17block_load_methodE3ELS4_3ELS4_3ELNS0_20block_scan_algorithmE0ELj4294967295EEENS1_25partition_config_selectorILNS1_17partition_subalgoE3EjNS0_10empty_typeEbEEZZNS1_14partition_implILS8_3ELb0ES6_jNS0_17counting_iteratorIjlEEPS9_SE_NS0_5tupleIJPjSE_EEENSF_IJSE_SE_EEES9_SG_JZNS1_25segmented_radix_sort_implINS0_14default_configELb1EPK6__halfPSL_PKlPlN2at6native12_GLOBAL__N_18offset_tEEE10hipError_tPvRmT1_PNSt15iterator_traitsISZ_E10value_typeET2_T3_PNS10_IS15_E10value_typeET4_jRbjT5_S1B_jjP12ihipStream_tbEUljE_EEESW_SX_SY_S15_S19_S1B_T6_T7_T9_mT8_S1D_bDpT10_ENKUlT_T0_E_clISt17integral_constantIbLb0EES1Q_EEDaS1L_S1M_EUlS1L_E_NS1_11comp_targetILNS1_3genE0ELNS1_11target_archE4294967295ELNS1_3gpuE0ELNS1_3repE0EEENS1_30default_config_static_selectorELNS0_4arch9wavefront6targetE0EEEvSZ_.uses_vcc, 0
	.set _ZN7rocprim17ROCPRIM_400000_NS6detail17trampoline_kernelINS0_13select_configILj256ELj13ELNS0_17block_load_methodE3ELS4_3ELS4_3ELNS0_20block_scan_algorithmE0ELj4294967295EEENS1_25partition_config_selectorILNS1_17partition_subalgoE3EjNS0_10empty_typeEbEEZZNS1_14partition_implILS8_3ELb0ES6_jNS0_17counting_iteratorIjlEEPS9_SE_NS0_5tupleIJPjSE_EEENSF_IJSE_SE_EEES9_SG_JZNS1_25segmented_radix_sort_implINS0_14default_configELb1EPK6__halfPSL_PKlPlN2at6native12_GLOBAL__N_18offset_tEEE10hipError_tPvRmT1_PNSt15iterator_traitsISZ_E10value_typeET2_T3_PNS10_IS15_E10value_typeET4_jRbjT5_S1B_jjP12ihipStream_tbEUljE_EEESW_SX_SY_S15_S19_S1B_T6_T7_T9_mT8_S1D_bDpT10_ENKUlT_T0_E_clISt17integral_constantIbLb0EES1Q_EEDaS1L_S1M_EUlS1L_E_NS1_11comp_targetILNS1_3genE0ELNS1_11target_archE4294967295ELNS1_3gpuE0ELNS1_3repE0EEENS1_30default_config_static_selectorELNS0_4arch9wavefront6targetE0EEEvSZ_.uses_flat_scratch, 0
	.set _ZN7rocprim17ROCPRIM_400000_NS6detail17trampoline_kernelINS0_13select_configILj256ELj13ELNS0_17block_load_methodE3ELS4_3ELS4_3ELNS0_20block_scan_algorithmE0ELj4294967295EEENS1_25partition_config_selectorILNS1_17partition_subalgoE3EjNS0_10empty_typeEbEEZZNS1_14partition_implILS8_3ELb0ES6_jNS0_17counting_iteratorIjlEEPS9_SE_NS0_5tupleIJPjSE_EEENSF_IJSE_SE_EEES9_SG_JZNS1_25segmented_radix_sort_implINS0_14default_configELb1EPK6__halfPSL_PKlPlN2at6native12_GLOBAL__N_18offset_tEEE10hipError_tPvRmT1_PNSt15iterator_traitsISZ_E10value_typeET2_T3_PNS10_IS15_E10value_typeET4_jRbjT5_S1B_jjP12ihipStream_tbEUljE_EEESW_SX_SY_S15_S19_S1B_T6_T7_T9_mT8_S1D_bDpT10_ENKUlT_T0_E_clISt17integral_constantIbLb0EES1Q_EEDaS1L_S1M_EUlS1L_E_NS1_11comp_targetILNS1_3genE0ELNS1_11target_archE4294967295ELNS1_3gpuE0ELNS1_3repE0EEENS1_30default_config_static_selectorELNS0_4arch9wavefront6targetE0EEEvSZ_.has_dyn_sized_stack, 0
	.set _ZN7rocprim17ROCPRIM_400000_NS6detail17trampoline_kernelINS0_13select_configILj256ELj13ELNS0_17block_load_methodE3ELS4_3ELS4_3ELNS0_20block_scan_algorithmE0ELj4294967295EEENS1_25partition_config_selectorILNS1_17partition_subalgoE3EjNS0_10empty_typeEbEEZZNS1_14partition_implILS8_3ELb0ES6_jNS0_17counting_iteratorIjlEEPS9_SE_NS0_5tupleIJPjSE_EEENSF_IJSE_SE_EEES9_SG_JZNS1_25segmented_radix_sort_implINS0_14default_configELb1EPK6__halfPSL_PKlPlN2at6native12_GLOBAL__N_18offset_tEEE10hipError_tPvRmT1_PNSt15iterator_traitsISZ_E10value_typeET2_T3_PNS10_IS15_E10value_typeET4_jRbjT5_S1B_jjP12ihipStream_tbEUljE_EEESW_SX_SY_S15_S19_S1B_T6_T7_T9_mT8_S1D_bDpT10_ENKUlT_T0_E_clISt17integral_constantIbLb0EES1Q_EEDaS1L_S1M_EUlS1L_E_NS1_11comp_targetILNS1_3genE0ELNS1_11target_archE4294967295ELNS1_3gpuE0ELNS1_3repE0EEENS1_30default_config_static_selectorELNS0_4arch9wavefront6targetE0EEEvSZ_.has_recursion, 0
	.set _ZN7rocprim17ROCPRIM_400000_NS6detail17trampoline_kernelINS0_13select_configILj256ELj13ELNS0_17block_load_methodE3ELS4_3ELS4_3ELNS0_20block_scan_algorithmE0ELj4294967295EEENS1_25partition_config_selectorILNS1_17partition_subalgoE3EjNS0_10empty_typeEbEEZZNS1_14partition_implILS8_3ELb0ES6_jNS0_17counting_iteratorIjlEEPS9_SE_NS0_5tupleIJPjSE_EEENSF_IJSE_SE_EEES9_SG_JZNS1_25segmented_radix_sort_implINS0_14default_configELb1EPK6__halfPSL_PKlPlN2at6native12_GLOBAL__N_18offset_tEEE10hipError_tPvRmT1_PNSt15iterator_traitsISZ_E10value_typeET2_T3_PNS10_IS15_E10value_typeET4_jRbjT5_S1B_jjP12ihipStream_tbEUljE_EEESW_SX_SY_S15_S19_S1B_T6_T7_T9_mT8_S1D_bDpT10_ENKUlT_T0_E_clISt17integral_constantIbLb0EES1Q_EEDaS1L_S1M_EUlS1L_E_NS1_11comp_targetILNS1_3genE0ELNS1_11target_archE4294967295ELNS1_3gpuE0ELNS1_3repE0EEENS1_30default_config_static_selectorELNS0_4arch9wavefront6targetE0EEEvSZ_.has_indirect_call, 0
	.section	.AMDGPU.csdata,"",@progbits
; Kernel info:
; codeLenInByte = 0
; TotalNumSgprs: 0
; NumVgprs: 0
; ScratchSize: 0
; MemoryBound: 0
; FloatMode: 240
; IeeeMode: 1
; LDSByteSize: 0 bytes/workgroup (compile time only)
; SGPRBlocks: 0
; VGPRBlocks: 0
; NumSGPRsForWavesPerEU: 1
; NumVGPRsForWavesPerEU: 1
; Occupancy: 16
; WaveLimiterHint : 0
; COMPUTE_PGM_RSRC2:SCRATCH_EN: 0
; COMPUTE_PGM_RSRC2:USER_SGPR: 6
; COMPUTE_PGM_RSRC2:TRAP_HANDLER: 0
; COMPUTE_PGM_RSRC2:TGID_X_EN: 1
; COMPUTE_PGM_RSRC2:TGID_Y_EN: 0
; COMPUTE_PGM_RSRC2:TGID_Z_EN: 0
; COMPUTE_PGM_RSRC2:TIDIG_COMP_CNT: 0
	.section	.text._ZN7rocprim17ROCPRIM_400000_NS6detail17trampoline_kernelINS0_13select_configILj256ELj13ELNS0_17block_load_methodE3ELS4_3ELS4_3ELNS0_20block_scan_algorithmE0ELj4294967295EEENS1_25partition_config_selectorILNS1_17partition_subalgoE3EjNS0_10empty_typeEbEEZZNS1_14partition_implILS8_3ELb0ES6_jNS0_17counting_iteratorIjlEEPS9_SE_NS0_5tupleIJPjSE_EEENSF_IJSE_SE_EEES9_SG_JZNS1_25segmented_radix_sort_implINS0_14default_configELb1EPK6__halfPSL_PKlPlN2at6native12_GLOBAL__N_18offset_tEEE10hipError_tPvRmT1_PNSt15iterator_traitsISZ_E10value_typeET2_T3_PNS10_IS15_E10value_typeET4_jRbjT5_S1B_jjP12ihipStream_tbEUljE_EEESW_SX_SY_S15_S19_S1B_T6_T7_T9_mT8_S1D_bDpT10_ENKUlT_T0_E_clISt17integral_constantIbLb0EES1Q_EEDaS1L_S1M_EUlS1L_E_NS1_11comp_targetILNS1_3genE5ELNS1_11target_archE942ELNS1_3gpuE9ELNS1_3repE0EEENS1_30default_config_static_selectorELNS0_4arch9wavefront6targetE0EEEvSZ_,"axG",@progbits,_ZN7rocprim17ROCPRIM_400000_NS6detail17trampoline_kernelINS0_13select_configILj256ELj13ELNS0_17block_load_methodE3ELS4_3ELS4_3ELNS0_20block_scan_algorithmE0ELj4294967295EEENS1_25partition_config_selectorILNS1_17partition_subalgoE3EjNS0_10empty_typeEbEEZZNS1_14partition_implILS8_3ELb0ES6_jNS0_17counting_iteratorIjlEEPS9_SE_NS0_5tupleIJPjSE_EEENSF_IJSE_SE_EEES9_SG_JZNS1_25segmented_radix_sort_implINS0_14default_configELb1EPK6__halfPSL_PKlPlN2at6native12_GLOBAL__N_18offset_tEEE10hipError_tPvRmT1_PNSt15iterator_traitsISZ_E10value_typeET2_T3_PNS10_IS15_E10value_typeET4_jRbjT5_S1B_jjP12ihipStream_tbEUljE_EEESW_SX_SY_S15_S19_S1B_T6_T7_T9_mT8_S1D_bDpT10_ENKUlT_T0_E_clISt17integral_constantIbLb0EES1Q_EEDaS1L_S1M_EUlS1L_E_NS1_11comp_targetILNS1_3genE5ELNS1_11target_archE942ELNS1_3gpuE9ELNS1_3repE0EEENS1_30default_config_static_selectorELNS0_4arch9wavefront6targetE0EEEvSZ_,comdat
	.globl	_ZN7rocprim17ROCPRIM_400000_NS6detail17trampoline_kernelINS0_13select_configILj256ELj13ELNS0_17block_load_methodE3ELS4_3ELS4_3ELNS0_20block_scan_algorithmE0ELj4294967295EEENS1_25partition_config_selectorILNS1_17partition_subalgoE3EjNS0_10empty_typeEbEEZZNS1_14partition_implILS8_3ELb0ES6_jNS0_17counting_iteratorIjlEEPS9_SE_NS0_5tupleIJPjSE_EEENSF_IJSE_SE_EEES9_SG_JZNS1_25segmented_radix_sort_implINS0_14default_configELb1EPK6__halfPSL_PKlPlN2at6native12_GLOBAL__N_18offset_tEEE10hipError_tPvRmT1_PNSt15iterator_traitsISZ_E10value_typeET2_T3_PNS10_IS15_E10value_typeET4_jRbjT5_S1B_jjP12ihipStream_tbEUljE_EEESW_SX_SY_S15_S19_S1B_T6_T7_T9_mT8_S1D_bDpT10_ENKUlT_T0_E_clISt17integral_constantIbLb0EES1Q_EEDaS1L_S1M_EUlS1L_E_NS1_11comp_targetILNS1_3genE5ELNS1_11target_archE942ELNS1_3gpuE9ELNS1_3repE0EEENS1_30default_config_static_selectorELNS0_4arch9wavefront6targetE0EEEvSZ_ ; -- Begin function _ZN7rocprim17ROCPRIM_400000_NS6detail17trampoline_kernelINS0_13select_configILj256ELj13ELNS0_17block_load_methodE3ELS4_3ELS4_3ELNS0_20block_scan_algorithmE0ELj4294967295EEENS1_25partition_config_selectorILNS1_17partition_subalgoE3EjNS0_10empty_typeEbEEZZNS1_14partition_implILS8_3ELb0ES6_jNS0_17counting_iteratorIjlEEPS9_SE_NS0_5tupleIJPjSE_EEENSF_IJSE_SE_EEES9_SG_JZNS1_25segmented_radix_sort_implINS0_14default_configELb1EPK6__halfPSL_PKlPlN2at6native12_GLOBAL__N_18offset_tEEE10hipError_tPvRmT1_PNSt15iterator_traitsISZ_E10value_typeET2_T3_PNS10_IS15_E10value_typeET4_jRbjT5_S1B_jjP12ihipStream_tbEUljE_EEESW_SX_SY_S15_S19_S1B_T6_T7_T9_mT8_S1D_bDpT10_ENKUlT_T0_E_clISt17integral_constantIbLb0EES1Q_EEDaS1L_S1M_EUlS1L_E_NS1_11comp_targetILNS1_3genE5ELNS1_11target_archE942ELNS1_3gpuE9ELNS1_3repE0EEENS1_30default_config_static_selectorELNS0_4arch9wavefront6targetE0EEEvSZ_
	.p2align	8
	.type	_ZN7rocprim17ROCPRIM_400000_NS6detail17trampoline_kernelINS0_13select_configILj256ELj13ELNS0_17block_load_methodE3ELS4_3ELS4_3ELNS0_20block_scan_algorithmE0ELj4294967295EEENS1_25partition_config_selectorILNS1_17partition_subalgoE3EjNS0_10empty_typeEbEEZZNS1_14partition_implILS8_3ELb0ES6_jNS0_17counting_iteratorIjlEEPS9_SE_NS0_5tupleIJPjSE_EEENSF_IJSE_SE_EEES9_SG_JZNS1_25segmented_radix_sort_implINS0_14default_configELb1EPK6__halfPSL_PKlPlN2at6native12_GLOBAL__N_18offset_tEEE10hipError_tPvRmT1_PNSt15iterator_traitsISZ_E10value_typeET2_T3_PNS10_IS15_E10value_typeET4_jRbjT5_S1B_jjP12ihipStream_tbEUljE_EEESW_SX_SY_S15_S19_S1B_T6_T7_T9_mT8_S1D_bDpT10_ENKUlT_T0_E_clISt17integral_constantIbLb0EES1Q_EEDaS1L_S1M_EUlS1L_E_NS1_11comp_targetILNS1_3genE5ELNS1_11target_archE942ELNS1_3gpuE9ELNS1_3repE0EEENS1_30default_config_static_selectorELNS0_4arch9wavefront6targetE0EEEvSZ_,@function
_ZN7rocprim17ROCPRIM_400000_NS6detail17trampoline_kernelINS0_13select_configILj256ELj13ELNS0_17block_load_methodE3ELS4_3ELS4_3ELNS0_20block_scan_algorithmE0ELj4294967295EEENS1_25partition_config_selectorILNS1_17partition_subalgoE3EjNS0_10empty_typeEbEEZZNS1_14partition_implILS8_3ELb0ES6_jNS0_17counting_iteratorIjlEEPS9_SE_NS0_5tupleIJPjSE_EEENSF_IJSE_SE_EEES9_SG_JZNS1_25segmented_radix_sort_implINS0_14default_configELb1EPK6__halfPSL_PKlPlN2at6native12_GLOBAL__N_18offset_tEEE10hipError_tPvRmT1_PNSt15iterator_traitsISZ_E10value_typeET2_T3_PNS10_IS15_E10value_typeET4_jRbjT5_S1B_jjP12ihipStream_tbEUljE_EEESW_SX_SY_S15_S19_S1B_T6_T7_T9_mT8_S1D_bDpT10_ENKUlT_T0_E_clISt17integral_constantIbLb0EES1Q_EEDaS1L_S1M_EUlS1L_E_NS1_11comp_targetILNS1_3genE5ELNS1_11target_archE942ELNS1_3gpuE9ELNS1_3repE0EEENS1_30default_config_static_selectorELNS0_4arch9wavefront6targetE0EEEvSZ_: ; @_ZN7rocprim17ROCPRIM_400000_NS6detail17trampoline_kernelINS0_13select_configILj256ELj13ELNS0_17block_load_methodE3ELS4_3ELS4_3ELNS0_20block_scan_algorithmE0ELj4294967295EEENS1_25partition_config_selectorILNS1_17partition_subalgoE3EjNS0_10empty_typeEbEEZZNS1_14partition_implILS8_3ELb0ES6_jNS0_17counting_iteratorIjlEEPS9_SE_NS0_5tupleIJPjSE_EEENSF_IJSE_SE_EEES9_SG_JZNS1_25segmented_radix_sort_implINS0_14default_configELb1EPK6__halfPSL_PKlPlN2at6native12_GLOBAL__N_18offset_tEEE10hipError_tPvRmT1_PNSt15iterator_traitsISZ_E10value_typeET2_T3_PNS10_IS15_E10value_typeET4_jRbjT5_S1B_jjP12ihipStream_tbEUljE_EEESW_SX_SY_S15_S19_S1B_T6_T7_T9_mT8_S1D_bDpT10_ENKUlT_T0_E_clISt17integral_constantIbLb0EES1Q_EEDaS1L_S1M_EUlS1L_E_NS1_11comp_targetILNS1_3genE5ELNS1_11target_archE942ELNS1_3gpuE9ELNS1_3repE0EEENS1_30default_config_static_selectorELNS0_4arch9wavefront6targetE0EEEvSZ_
; %bb.0:
	.section	.rodata,"a",@progbits
	.p2align	6, 0x0
	.amdhsa_kernel _ZN7rocprim17ROCPRIM_400000_NS6detail17trampoline_kernelINS0_13select_configILj256ELj13ELNS0_17block_load_methodE3ELS4_3ELS4_3ELNS0_20block_scan_algorithmE0ELj4294967295EEENS1_25partition_config_selectorILNS1_17partition_subalgoE3EjNS0_10empty_typeEbEEZZNS1_14partition_implILS8_3ELb0ES6_jNS0_17counting_iteratorIjlEEPS9_SE_NS0_5tupleIJPjSE_EEENSF_IJSE_SE_EEES9_SG_JZNS1_25segmented_radix_sort_implINS0_14default_configELb1EPK6__halfPSL_PKlPlN2at6native12_GLOBAL__N_18offset_tEEE10hipError_tPvRmT1_PNSt15iterator_traitsISZ_E10value_typeET2_T3_PNS10_IS15_E10value_typeET4_jRbjT5_S1B_jjP12ihipStream_tbEUljE_EEESW_SX_SY_S15_S19_S1B_T6_T7_T9_mT8_S1D_bDpT10_ENKUlT_T0_E_clISt17integral_constantIbLb0EES1Q_EEDaS1L_S1M_EUlS1L_E_NS1_11comp_targetILNS1_3genE5ELNS1_11target_archE942ELNS1_3gpuE9ELNS1_3repE0EEENS1_30default_config_static_selectorELNS0_4arch9wavefront6targetE0EEEvSZ_
		.amdhsa_group_segment_fixed_size 0
		.amdhsa_private_segment_fixed_size 0
		.amdhsa_kernarg_size 144
		.amdhsa_user_sgpr_count 6
		.amdhsa_user_sgpr_private_segment_buffer 1
		.amdhsa_user_sgpr_dispatch_ptr 0
		.amdhsa_user_sgpr_queue_ptr 0
		.amdhsa_user_sgpr_kernarg_segment_ptr 1
		.amdhsa_user_sgpr_dispatch_id 0
		.amdhsa_user_sgpr_flat_scratch_init 0
		.amdhsa_user_sgpr_private_segment_size 0
		.amdhsa_wavefront_size32 1
		.amdhsa_uses_dynamic_stack 0
		.amdhsa_system_sgpr_private_segment_wavefront_offset 0
		.amdhsa_system_sgpr_workgroup_id_x 1
		.amdhsa_system_sgpr_workgroup_id_y 0
		.amdhsa_system_sgpr_workgroup_id_z 0
		.amdhsa_system_sgpr_workgroup_info 0
		.amdhsa_system_vgpr_workitem_id 0
		.amdhsa_next_free_vgpr 1
		.amdhsa_next_free_sgpr 1
		.amdhsa_reserve_vcc 0
		.amdhsa_reserve_flat_scratch 0
		.amdhsa_float_round_mode_32 0
		.amdhsa_float_round_mode_16_64 0
		.amdhsa_float_denorm_mode_32 3
		.amdhsa_float_denorm_mode_16_64 3
		.amdhsa_dx10_clamp 1
		.amdhsa_ieee_mode 1
		.amdhsa_fp16_overflow 0
		.amdhsa_workgroup_processor_mode 1
		.amdhsa_memory_ordered 1
		.amdhsa_forward_progress 1
		.amdhsa_shared_vgpr_count 0
		.amdhsa_exception_fp_ieee_invalid_op 0
		.amdhsa_exception_fp_denorm_src 0
		.amdhsa_exception_fp_ieee_div_zero 0
		.amdhsa_exception_fp_ieee_overflow 0
		.amdhsa_exception_fp_ieee_underflow 0
		.amdhsa_exception_fp_ieee_inexact 0
		.amdhsa_exception_int_div_zero 0
	.end_amdhsa_kernel
	.section	.text._ZN7rocprim17ROCPRIM_400000_NS6detail17trampoline_kernelINS0_13select_configILj256ELj13ELNS0_17block_load_methodE3ELS4_3ELS4_3ELNS0_20block_scan_algorithmE0ELj4294967295EEENS1_25partition_config_selectorILNS1_17partition_subalgoE3EjNS0_10empty_typeEbEEZZNS1_14partition_implILS8_3ELb0ES6_jNS0_17counting_iteratorIjlEEPS9_SE_NS0_5tupleIJPjSE_EEENSF_IJSE_SE_EEES9_SG_JZNS1_25segmented_radix_sort_implINS0_14default_configELb1EPK6__halfPSL_PKlPlN2at6native12_GLOBAL__N_18offset_tEEE10hipError_tPvRmT1_PNSt15iterator_traitsISZ_E10value_typeET2_T3_PNS10_IS15_E10value_typeET4_jRbjT5_S1B_jjP12ihipStream_tbEUljE_EEESW_SX_SY_S15_S19_S1B_T6_T7_T9_mT8_S1D_bDpT10_ENKUlT_T0_E_clISt17integral_constantIbLb0EES1Q_EEDaS1L_S1M_EUlS1L_E_NS1_11comp_targetILNS1_3genE5ELNS1_11target_archE942ELNS1_3gpuE9ELNS1_3repE0EEENS1_30default_config_static_selectorELNS0_4arch9wavefront6targetE0EEEvSZ_,"axG",@progbits,_ZN7rocprim17ROCPRIM_400000_NS6detail17trampoline_kernelINS0_13select_configILj256ELj13ELNS0_17block_load_methodE3ELS4_3ELS4_3ELNS0_20block_scan_algorithmE0ELj4294967295EEENS1_25partition_config_selectorILNS1_17partition_subalgoE3EjNS0_10empty_typeEbEEZZNS1_14partition_implILS8_3ELb0ES6_jNS0_17counting_iteratorIjlEEPS9_SE_NS0_5tupleIJPjSE_EEENSF_IJSE_SE_EEES9_SG_JZNS1_25segmented_radix_sort_implINS0_14default_configELb1EPK6__halfPSL_PKlPlN2at6native12_GLOBAL__N_18offset_tEEE10hipError_tPvRmT1_PNSt15iterator_traitsISZ_E10value_typeET2_T3_PNS10_IS15_E10value_typeET4_jRbjT5_S1B_jjP12ihipStream_tbEUljE_EEESW_SX_SY_S15_S19_S1B_T6_T7_T9_mT8_S1D_bDpT10_ENKUlT_T0_E_clISt17integral_constantIbLb0EES1Q_EEDaS1L_S1M_EUlS1L_E_NS1_11comp_targetILNS1_3genE5ELNS1_11target_archE942ELNS1_3gpuE9ELNS1_3repE0EEENS1_30default_config_static_selectorELNS0_4arch9wavefront6targetE0EEEvSZ_,comdat
.Lfunc_end1698:
	.size	_ZN7rocprim17ROCPRIM_400000_NS6detail17trampoline_kernelINS0_13select_configILj256ELj13ELNS0_17block_load_methodE3ELS4_3ELS4_3ELNS0_20block_scan_algorithmE0ELj4294967295EEENS1_25partition_config_selectorILNS1_17partition_subalgoE3EjNS0_10empty_typeEbEEZZNS1_14partition_implILS8_3ELb0ES6_jNS0_17counting_iteratorIjlEEPS9_SE_NS0_5tupleIJPjSE_EEENSF_IJSE_SE_EEES9_SG_JZNS1_25segmented_radix_sort_implINS0_14default_configELb1EPK6__halfPSL_PKlPlN2at6native12_GLOBAL__N_18offset_tEEE10hipError_tPvRmT1_PNSt15iterator_traitsISZ_E10value_typeET2_T3_PNS10_IS15_E10value_typeET4_jRbjT5_S1B_jjP12ihipStream_tbEUljE_EEESW_SX_SY_S15_S19_S1B_T6_T7_T9_mT8_S1D_bDpT10_ENKUlT_T0_E_clISt17integral_constantIbLb0EES1Q_EEDaS1L_S1M_EUlS1L_E_NS1_11comp_targetILNS1_3genE5ELNS1_11target_archE942ELNS1_3gpuE9ELNS1_3repE0EEENS1_30default_config_static_selectorELNS0_4arch9wavefront6targetE0EEEvSZ_, .Lfunc_end1698-_ZN7rocprim17ROCPRIM_400000_NS6detail17trampoline_kernelINS0_13select_configILj256ELj13ELNS0_17block_load_methodE3ELS4_3ELS4_3ELNS0_20block_scan_algorithmE0ELj4294967295EEENS1_25partition_config_selectorILNS1_17partition_subalgoE3EjNS0_10empty_typeEbEEZZNS1_14partition_implILS8_3ELb0ES6_jNS0_17counting_iteratorIjlEEPS9_SE_NS0_5tupleIJPjSE_EEENSF_IJSE_SE_EEES9_SG_JZNS1_25segmented_radix_sort_implINS0_14default_configELb1EPK6__halfPSL_PKlPlN2at6native12_GLOBAL__N_18offset_tEEE10hipError_tPvRmT1_PNSt15iterator_traitsISZ_E10value_typeET2_T3_PNS10_IS15_E10value_typeET4_jRbjT5_S1B_jjP12ihipStream_tbEUljE_EEESW_SX_SY_S15_S19_S1B_T6_T7_T9_mT8_S1D_bDpT10_ENKUlT_T0_E_clISt17integral_constantIbLb0EES1Q_EEDaS1L_S1M_EUlS1L_E_NS1_11comp_targetILNS1_3genE5ELNS1_11target_archE942ELNS1_3gpuE9ELNS1_3repE0EEENS1_30default_config_static_selectorELNS0_4arch9wavefront6targetE0EEEvSZ_
                                        ; -- End function
	.set _ZN7rocprim17ROCPRIM_400000_NS6detail17trampoline_kernelINS0_13select_configILj256ELj13ELNS0_17block_load_methodE3ELS4_3ELS4_3ELNS0_20block_scan_algorithmE0ELj4294967295EEENS1_25partition_config_selectorILNS1_17partition_subalgoE3EjNS0_10empty_typeEbEEZZNS1_14partition_implILS8_3ELb0ES6_jNS0_17counting_iteratorIjlEEPS9_SE_NS0_5tupleIJPjSE_EEENSF_IJSE_SE_EEES9_SG_JZNS1_25segmented_radix_sort_implINS0_14default_configELb1EPK6__halfPSL_PKlPlN2at6native12_GLOBAL__N_18offset_tEEE10hipError_tPvRmT1_PNSt15iterator_traitsISZ_E10value_typeET2_T3_PNS10_IS15_E10value_typeET4_jRbjT5_S1B_jjP12ihipStream_tbEUljE_EEESW_SX_SY_S15_S19_S1B_T6_T7_T9_mT8_S1D_bDpT10_ENKUlT_T0_E_clISt17integral_constantIbLb0EES1Q_EEDaS1L_S1M_EUlS1L_E_NS1_11comp_targetILNS1_3genE5ELNS1_11target_archE942ELNS1_3gpuE9ELNS1_3repE0EEENS1_30default_config_static_selectorELNS0_4arch9wavefront6targetE0EEEvSZ_.num_vgpr, 0
	.set _ZN7rocprim17ROCPRIM_400000_NS6detail17trampoline_kernelINS0_13select_configILj256ELj13ELNS0_17block_load_methodE3ELS4_3ELS4_3ELNS0_20block_scan_algorithmE0ELj4294967295EEENS1_25partition_config_selectorILNS1_17partition_subalgoE3EjNS0_10empty_typeEbEEZZNS1_14partition_implILS8_3ELb0ES6_jNS0_17counting_iteratorIjlEEPS9_SE_NS0_5tupleIJPjSE_EEENSF_IJSE_SE_EEES9_SG_JZNS1_25segmented_radix_sort_implINS0_14default_configELb1EPK6__halfPSL_PKlPlN2at6native12_GLOBAL__N_18offset_tEEE10hipError_tPvRmT1_PNSt15iterator_traitsISZ_E10value_typeET2_T3_PNS10_IS15_E10value_typeET4_jRbjT5_S1B_jjP12ihipStream_tbEUljE_EEESW_SX_SY_S15_S19_S1B_T6_T7_T9_mT8_S1D_bDpT10_ENKUlT_T0_E_clISt17integral_constantIbLb0EES1Q_EEDaS1L_S1M_EUlS1L_E_NS1_11comp_targetILNS1_3genE5ELNS1_11target_archE942ELNS1_3gpuE9ELNS1_3repE0EEENS1_30default_config_static_selectorELNS0_4arch9wavefront6targetE0EEEvSZ_.num_agpr, 0
	.set _ZN7rocprim17ROCPRIM_400000_NS6detail17trampoline_kernelINS0_13select_configILj256ELj13ELNS0_17block_load_methodE3ELS4_3ELS4_3ELNS0_20block_scan_algorithmE0ELj4294967295EEENS1_25partition_config_selectorILNS1_17partition_subalgoE3EjNS0_10empty_typeEbEEZZNS1_14partition_implILS8_3ELb0ES6_jNS0_17counting_iteratorIjlEEPS9_SE_NS0_5tupleIJPjSE_EEENSF_IJSE_SE_EEES9_SG_JZNS1_25segmented_radix_sort_implINS0_14default_configELb1EPK6__halfPSL_PKlPlN2at6native12_GLOBAL__N_18offset_tEEE10hipError_tPvRmT1_PNSt15iterator_traitsISZ_E10value_typeET2_T3_PNS10_IS15_E10value_typeET4_jRbjT5_S1B_jjP12ihipStream_tbEUljE_EEESW_SX_SY_S15_S19_S1B_T6_T7_T9_mT8_S1D_bDpT10_ENKUlT_T0_E_clISt17integral_constantIbLb0EES1Q_EEDaS1L_S1M_EUlS1L_E_NS1_11comp_targetILNS1_3genE5ELNS1_11target_archE942ELNS1_3gpuE9ELNS1_3repE0EEENS1_30default_config_static_selectorELNS0_4arch9wavefront6targetE0EEEvSZ_.numbered_sgpr, 0
	.set _ZN7rocprim17ROCPRIM_400000_NS6detail17trampoline_kernelINS0_13select_configILj256ELj13ELNS0_17block_load_methodE3ELS4_3ELS4_3ELNS0_20block_scan_algorithmE0ELj4294967295EEENS1_25partition_config_selectorILNS1_17partition_subalgoE3EjNS0_10empty_typeEbEEZZNS1_14partition_implILS8_3ELb0ES6_jNS0_17counting_iteratorIjlEEPS9_SE_NS0_5tupleIJPjSE_EEENSF_IJSE_SE_EEES9_SG_JZNS1_25segmented_radix_sort_implINS0_14default_configELb1EPK6__halfPSL_PKlPlN2at6native12_GLOBAL__N_18offset_tEEE10hipError_tPvRmT1_PNSt15iterator_traitsISZ_E10value_typeET2_T3_PNS10_IS15_E10value_typeET4_jRbjT5_S1B_jjP12ihipStream_tbEUljE_EEESW_SX_SY_S15_S19_S1B_T6_T7_T9_mT8_S1D_bDpT10_ENKUlT_T0_E_clISt17integral_constantIbLb0EES1Q_EEDaS1L_S1M_EUlS1L_E_NS1_11comp_targetILNS1_3genE5ELNS1_11target_archE942ELNS1_3gpuE9ELNS1_3repE0EEENS1_30default_config_static_selectorELNS0_4arch9wavefront6targetE0EEEvSZ_.num_named_barrier, 0
	.set _ZN7rocprim17ROCPRIM_400000_NS6detail17trampoline_kernelINS0_13select_configILj256ELj13ELNS0_17block_load_methodE3ELS4_3ELS4_3ELNS0_20block_scan_algorithmE0ELj4294967295EEENS1_25partition_config_selectorILNS1_17partition_subalgoE3EjNS0_10empty_typeEbEEZZNS1_14partition_implILS8_3ELb0ES6_jNS0_17counting_iteratorIjlEEPS9_SE_NS0_5tupleIJPjSE_EEENSF_IJSE_SE_EEES9_SG_JZNS1_25segmented_radix_sort_implINS0_14default_configELb1EPK6__halfPSL_PKlPlN2at6native12_GLOBAL__N_18offset_tEEE10hipError_tPvRmT1_PNSt15iterator_traitsISZ_E10value_typeET2_T3_PNS10_IS15_E10value_typeET4_jRbjT5_S1B_jjP12ihipStream_tbEUljE_EEESW_SX_SY_S15_S19_S1B_T6_T7_T9_mT8_S1D_bDpT10_ENKUlT_T0_E_clISt17integral_constantIbLb0EES1Q_EEDaS1L_S1M_EUlS1L_E_NS1_11comp_targetILNS1_3genE5ELNS1_11target_archE942ELNS1_3gpuE9ELNS1_3repE0EEENS1_30default_config_static_selectorELNS0_4arch9wavefront6targetE0EEEvSZ_.private_seg_size, 0
	.set _ZN7rocprim17ROCPRIM_400000_NS6detail17trampoline_kernelINS0_13select_configILj256ELj13ELNS0_17block_load_methodE3ELS4_3ELS4_3ELNS0_20block_scan_algorithmE0ELj4294967295EEENS1_25partition_config_selectorILNS1_17partition_subalgoE3EjNS0_10empty_typeEbEEZZNS1_14partition_implILS8_3ELb0ES6_jNS0_17counting_iteratorIjlEEPS9_SE_NS0_5tupleIJPjSE_EEENSF_IJSE_SE_EEES9_SG_JZNS1_25segmented_radix_sort_implINS0_14default_configELb1EPK6__halfPSL_PKlPlN2at6native12_GLOBAL__N_18offset_tEEE10hipError_tPvRmT1_PNSt15iterator_traitsISZ_E10value_typeET2_T3_PNS10_IS15_E10value_typeET4_jRbjT5_S1B_jjP12ihipStream_tbEUljE_EEESW_SX_SY_S15_S19_S1B_T6_T7_T9_mT8_S1D_bDpT10_ENKUlT_T0_E_clISt17integral_constantIbLb0EES1Q_EEDaS1L_S1M_EUlS1L_E_NS1_11comp_targetILNS1_3genE5ELNS1_11target_archE942ELNS1_3gpuE9ELNS1_3repE0EEENS1_30default_config_static_selectorELNS0_4arch9wavefront6targetE0EEEvSZ_.uses_vcc, 0
	.set _ZN7rocprim17ROCPRIM_400000_NS6detail17trampoline_kernelINS0_13select_configILj256ELj13ELNS0_17block_load_methodE3ELS4_3ELS4_3ELNS0_20block_scan_algorithmE0ELj4294967295EEENS1_25partition_config_selectorILNS1_17partition_subalgoE3EjNS0_10empty_typeEbEEZZNS1_14partition_implILS8_3ELb0ES6_jNS0_17counting_iteratorIjlEEPS9_SE_NS0_5tupleIJPjSE_EEENSF_IJSE_SE_EEES9_SG_JZNS1_25segmented_radix_sort_implINS0_14default_configELb1EPK6__halfPSL_PKlPlN2at6native12_GLOBAL__N_18offset_tEEE10hipError_tPvRmT1_PNSt15iterator_traitsISZ_E10value_typeET2_T3_PNS10_IS15_E10value_typeET4_jRbjT5_S1B_jjP12ihipStream_tbEUljE_EEESW_SX_SY_S15_S19_S1B_T6_T7_T9_mT8_S1D_bDpT10_ENKUlT_T0_E_clISt17integral_constantIbLb0EES1Q_EEDaS1L_S1M_EUlS1L_E_NS1_11comp_targetILNS1_3genE5ELNS1_11target_archE942ELNS1_3gpuE9ELNS1_3repE0EEENS1_30default_config_static_selectorELNS0_4arch9wavefront6targetE0EEEvSZ_.uses_flat_scratch, 0
	.set _ZN7rocprim17ROCPRIM_400000_NS6detail17trampoline_kernelINS0_13select_configILj256ELj13ELNS0_17block_load_methodE3ELS4_3ELS4_3ELNS0_20block_scan_algorithmE0ELj4294967295EEENS1_25partition_config_selectorILNS1_17partition_subalgoE3EjNS0_10empty_typeEbEEZZNS1_14partition_implILS8_3ELb0ES6_jNS0_17counting_iteratorIjlEEPS9_SE_NS0_5tupleIJPjSE_EEENSF_IJSE_SE_EEES9_SG_JZNS1_25segmented_radix_sort_implINS0_14default_configELb1EPK6__halfPSL_PKlPlN2at6native12_GLOBAL__N_18offset_tEEE10hipError_tPvRmT1_PNSt15iterator_traitsISZ_E10value_typeET2_T3_PNS10_IS15_E10value_typeET4_jRbjT5_S1B_jjP12ihipStream_tbEUljE_EEESW_SX_SY_S15_S19_S1B_T6_T7_T9_mT8_S1D_bDpT10_ENKUlT_T0_E_clISt17integral_constantIbLb0EES1Q_EEDaS1L_S1M_EUlS1L_E_NS1_11comp_targetILNS1_3genE5ELNS1_11target_archE942ELNS1_3gpuE9ELNS1_3repE0EEENS1_30default_config_static_selectorELNS0_4arch9wavefront6targetE0EEEvSZ_.has_dyn_sized_stack, 0
	.set _ZN7rocprim17ROCPRIM_400000_NS6detail17trampoline_kernelINS0_13select_configILj256ELj13ELNS0_17block_load_methodE3ELS4_3ELS4_3ELNS0_20block_scan_algorithmE0ELj4294967295EEENS1_25partition_config_selectorILNS1_17partition_subalgoE3EjNS0_10empty_typeEbEEZZNS1_14partition_implILS8_3ELb0ES6_jNS0_17counting_iteratorIjlEEPS9_SE_NS0_5tupleIJPjSE_EEENSF_IJSE_SE_EEES9_SG_JZNS1_25segmented_radix_sort_implINS0_14default_configELb1EPK6__halfPSL_PKlPlN2at6native12_GLOBAL__N_18offset_tEEE10hipError_tPvRmT1_PNSt15iterator_traitsISZ_E10value_typeET2_T3_PNS10_IS15_E10value_typeET4_jRbjT5_S1B_jjP12ihipStream_tbEUljE_EEESW_SX_SY_S15_S19_S1B_T6_T7_T9_mT8_S1D_bDpT10_ENKUlT_T0_E_clISt17integral_constantIbLb0EES1Q_EEDaS1L_S1M_EUlS1L_E_NS1_11comp_targetILNS1_3genE5ELNS1_11target_archE942ELNS1_3gpuE9ELNS1_3repE0EEENS1_30default_config_static_selectorELNS0_4arch9wavefront6targetE0EEEvSZ_.has_recursion, 0
	.set _ZN7rocprim17ROCPRIM_400000_NS6detail17trampoline_kernelINS0_13select_configILj256ELj13ELNS0_17block_load_methodE3ELS4_3ELS4_3ELNS0_20block_scan_algorithmE0ELj4294967295EEENS1_25partition_config_selectorILNS1_17partition_subalgoE3EjNS0_10empty_typeEbEEZZNS1_14partition_implILS8_3ELb0ES6_jNS0_17counting_iteratorIjlEEPS9_SE_NS0_5tupleIJPjSE_EEENSF_IJSE_SE_EEES9_SG_JZNS1_25segmented_radix_sort_implINS0_14default_configELb1EPK6__halfPSL_PKlPlN2at6native12_GLOBAL__N_18offset_tEEE10hipError_tPvRmT1_PNSt15iterator_traitsISZ_E10value_typeET2_T3_PNS10_IS15_E10value_typeET4_jRbjT5_S1B_jjP12ihipStream_tbEUljE_EEESW_SX_SY_S15_S19_S1B_T6_T7_T9_mT8_S1D_bDpT10_ENKUlT_T0_E_clISt17integral_constantIbLb0EES1Q_EEDaS1L_S1M_EUlS1L_E_NS1_11comp_targetILNS1_3genE5ELNS1_11target_archE942ELNS1_3gpuE9ELNS1_3repE0EEENS1_30default_config_static_selectorELNS0_4arch9wavefront6targetE0EEEvSZ_.has_indirect_call, 0
	.section	.AMDGPU.csdata,"",@progbits
; Kernel info:
; codeLenInByte = 0
; TotalNumSgprs: 0
; NumVgprs: 0
; ScratchSize: 0
; MemoryBound: 0
; FloatMode: 240
; IeeeMode: 1
; LDSByteSize: 0 bytes/workgroup (compile time only)
; SGPRBlocks: 0
; VGPRBlocks: 0
; NumSGPRsForWavesPerEU: 1
; NumVGPRsForWavesPerEU: 1
; Occupancy: 16
; WaveLimiterHint : 0
; COMPUTE_PGM_RSRC2:SCRATCH_EN: 0
; COMPUTE_PGM_RSRC2:USER_SGPR: 6
; COMPUTE_PGM_RSRC2:TRAP_HANDLER: 0
; COMPUTE_PGM_RSRC2:TGID_X_EN: 1
; COMPUTE_PGM_RSRC2:TGID_Y_EN: 0
; COMPUTE_PGM_RSRC2:TGID_Z_EN: 0
; COMPUTE_PGM_RSRC2:TIDIG_COMP_CNT: 0
	.section	.text._ZN7rocprim17ROCPRIM_400000_NS6detail17trampoline_kernelINS0_13select_configILj256ELj13ELNS0_17block_load_methodE3ELS4_3ELS4_3ELNS0_20block_scan_algorithmE0ELj4294967295EEENS1_25partition_config_selectorILNS1_17partition_subalgoE3EjNS0_10empty_typeEbEEZZNS1_14partition_implILS8_3ELb0ES6_jNS0_17counting_iteratorIjlEEPS9_SE_NS0_5tupleIJPjSE_EEENSF_IJSE_SE_EEES9_SG_JZNS1_25segmented_radix_sort_implINS0_14default_configELb1EPK6__halfPSL_PKlPlN2at6native12_GLOBAL__N_18offset_tEEE10hipError_tPvRmT1_PNSt15iterator_traitsISZ_E10value_typeET2_T3_PNS10_IS15_E10value_typeET4_jRbjT5_S1B_jjP12ihipStream_tbEUljE_EEESW_SX_SY_S15_S19_S1B_T6_T7_T9_mT8_S1D_bDpT10_ENKUlT_T0_E_clISt17integral_constantIbLb0EES1Q_EEDaS1L_S1M_EUlS1L_E_NS1_11comp_targetILNS1_3genE4ELNS1_11target_archE910ELNS1_3gpuE8ELNS1_3repE0EEENS1_30default_config_static_selectorELNS0_4arch9wavefront6targetE0EEEvSZ_,"axG",@progbits,_ZN7rocprim17ROCPRIM_400000_NS6detail17trampoline_kernelINS0_13select_configILj256ELj13ELNS0_17block_load_methodE3ELS4_3ELS4_3ELNS0_20block_scan_algorithmE0ELj4294967295EEENS1_25partition_config_selectorILNS1_17partition_subalgoE3EjNS0_10empty_typeEbEEZZNS1_14partition_implILS8_3ELb0ES6_jNS0_17counting_iteratorIjlEEPS9_SE_NS0_5tupleIJPjSE_EEENSF_IJSE_SE_EEES9_SG_JZNS1_25segmented_radix_sort_implINS0_14default_configELb1EPK6__halfPSL_PKlPlN2at6native12_GLOBAL__N_18offset_tEEE10hipError_tPvRmT1_PNSt15iterator_traitsISZ_E10value_typeET2_T3_PNS10_IS15_E10value_typeET4_jRbjT5_S1B_jjP12ihipStream_tbEUljE_EEESW_SX_SY_S15_S19_S1B_T6_T7_T9_mT8_S1D_bDpT10_ENKUlT_T0_E_clISt17integral_constantIbLb0EES1Q_EEDaS1L_S1M_EUlS1L_E_NS1_11comp_targetILNS1_3genE4ELNS1_11target_archE910ELNS1_3gpuE8ELNS1_3repE0EEENS1_30default_config_static_selectorELNS0_4arch9wavefront6targetE0EEEvSZ_,comdat
	.globl	_ZN7rocprim17ROCPRIM_400000_NS6detail17trampoline_kernelINS0_13select_configILj256ELj13ELNS0_17block_load_methodE3ELS4_3ELS4_3ELNS0_20block_scan_algorithmE0ELj4294967295EEENS1_25partition_config_selectorILNS1_17partition_subalgoE3EjNS0_10empty_typeEbEEZZNS1_14partition_implILS8_3ELb0ES6_jNS0_17counting_iteratorIjlEEPS9_SE_NS0_5tupleIJPjSE_EEENSF_IJSE_SE_EEES9_SG_JZNS1_25segmented_radix_sort_implINS0_14default_configELb1EPK6__halfPSL_PKlPlN2at6native12_GLOBAL__N_18offset_tEEE10hipError_tPvRmT1_PNSt15iterator_traitsISZ_E10value_typeET2_T3_PNS10_IS15_E10value_typeET4_jRbjT5_S1B_jjP12ihipStream_tbEUljE_EEESW_SX_SY_S15_S19_S1B_T6_T7_T9_mT8_S1D_bDpT10_ENKUlT_T0_E_clISt17integral_constantIbLb0EES1Q_EEDaS1L_S1M_EUlS1L_E_NS1_11comp_targetILNS1_3genE4ELNS1_11target_archE910ELNS1_3gpuE8ELNS1_3repE0EEENS1_30default_config_static_selectorELNS0_4arch9wavefront6targetE0EEEvSZ_ ; -- Begin function _ZN7rocprim17ROCPRIM_400000_NS6detail17trampoline_kernelINS0_13select_configILj256ELj13ELNS0_17block_load_methodE3ELS4_3ELS4_3ELNS0_20block_scan_algorithmE0ELj4294967295EEENS1_25partition_config_selectorILNS1_17partition_subalgoE3EjNS0_10empty_typeEbEEZZNS1_14partition_implILS8_3ELb0ES6_jNS0_17counting_iteratorIjlEEPS9_SE_NS0_5tupleIJPjSE_EEENSF_IJSE_SE_EEES9_SG_JZNS1_25segmented_radix_sort_implINS0_14default_configELb1EPK6__halfPSL_PKlPlN2at6native12_GLOBAL__N_18offset_tEEE10hipError_tPvRmT1_PNSt15iterator_traitsISZ_E10value_typeET2_T3_PNS10_IS15_E10value_typeET4_jRbjT5_S1B_jjP12ihipStream_tbEUljE_EEESW_SX_SY_S15_S19_S1B_T6_T7_T9_mT8_S1D_bDpT10_ENKUlT_T0_E_clISt17integral_constantIbLb0EES1Q_EEDaS1L_S1M_EUlS1L_E_NS1_11comp_targetILNS1_3genE4ELNS1_11target_archE910ELNS1_3gpuE8ELNS1_3repE0EEENS1_30default_config_static_selectorELNS0_4arch9wavefront6targetE0EEEvSZ_
	.p2align	8
	.type	_ZN7rocprim17ROCPRIM_400000_NS6detail17trampoline_kernelINS0_13select_configILj256ELj13ELNS0_17block_load_methodE3ELS4_3ELS4_3ELNS0_20block_scan_algorithmE0ELj4294967295EEENS1_25partition_config_selectorILNS1_17partition_subalgoE3EjNS0_10empty_typeEbEEZZNS1_14partition_implILS8_3ELb0ES6_jNS0_17counting_iteratorIjlEEPS9_SE_NS0_5tupleIJPjSE_EEENSF_IJSE_SE_EEES9_SG_JZNS1_25segmented_radix_sort_implINS0_14default_configELb1EPK6__halfPSL_PKlPlN2at6native12_GLOBAL__N_18offset_tEEE10hipError_tPvRmT1_PNSt15iterator_traitsISZ_E10value_typeET2_T3_PNS10_IS15_E10value_typeET4_jRbjT5_S1B_jjP12ihipStream_tbEUljE_EEESW_SX_SY_S15_S19_S1B_T6_T7_T9_mT8_S1D_bDpT10_ENKUlT_T0_E_clISt17integral_constantIbLb0EES1Q_EEDaS1L_S1M_EUlS1L_E_NS1_11comp_targetILNS1_3genE4ELNS1_11target_archE910ELNS1_3gpuE8ELNS1_3repE0EEENS1_30default_config_static_selectorELNS0_4arch9wavefront6targetE0EEEvSZ_,@function
_ZN7rocprim17ROCPRIM_400000_NS6detail17trampoline_kernelINS0_13select_configILj256ELj13ELNS0_17block_load_methodE3ELS4_3ELS4_3ELNS0_20block_scan_algorithmE0ELj4294967295EEENS1_25partition_config_selectorILNS1_17partition_subalgoE3EjNS0_10empty_typeEbEEZZNS1_14partition_implILS8_3ELb0ES6_jNS0_17counting_iteratorIjlEEPS9_SE_NS0_5tupleIJPjSE_EEENSF_IJSE_SE_EEES9_SG_JZNS1_25segmented_radix_sort_implINS0_14default_configELb1EPK6__halfPSL_PKlPlN2at6native12_GLOBAL__N_18offset_tEEE10hipError_tPvRmT1_PNSt15iterator_traitsISZ_E10value_typeET2_T3_PNS10_IS15_E10value_typeET4_jRbjT5_S1B_jjP12ihipStream_tbEUljE_EEESW_SX_SY_S15_S19_S1B_T6_T7_T9_mT8_S1D_bDpT10_ENKUlT_T0_E_clISt17integral_constantIbLb0EES1Q_EEDaS1L_S1M_EUlS1L_E_NS1_11comp_targetILNS1_3genE4ELNS1_11target_archE910ELNS1_3gpuE8ELNS1_3repE0EEENS1_30default_config_static_selectorELNS0_4arch9wavefront6targetE0EEEvSZ_: ; @_ZN7rocprim17ROCPRIM_400000_NS6detail17trampoline_kernelINS0_13select_configILj256ELj13ELNS0_17block_load_methodE3ELS4_3ELS4_3ELNS0_20block_scan_algorithmE0ELj4294967295EEENS1_25partition_config_selectorILNS1_17partition_subalgoE3EjNS0_10empty_typeEbEEZZNS1_14partition_implILS8_3ELb0ES6_jNS0_17counting_iteratorIjlEEPS9_SE_NS0_5tupleIJPjSE_EEENSF_IJSE_SE_EEES9_SG_JZNS1_25segmented_radix_sort_implINS0_14default_configELb1EPK6__halfPSL_PKlPlN2at6native12_GLOBAL__N_18offset_tEEE10hipError_tPvRmT1_PNSt15iterator_traitsISZ_E10value_typeET2_T3_PNS10_IS15_E10value_typeET4_jRbjT5_S1B_jjP12ihipStream_tbEUljE_EEESW_SX_SY_S15_S19_S1B_T6_T7_T9_mT8_S1D_bDpT10_ENKUlT_T0_E_clISt17integral_constantIbLb0EES1Q_EEDaS1L_S1M_EUlS1L_E_NS1_11comp_targetILNS1_3genE4ELNS1_11target_archE910ELNS1_3gpuE8ELNS1_3repE0EEENS1_30default_config_static_selectorELNS0_4arch9wavefront6targetE0EEEvSZ_
; %bb.0:
	.section	.rodata,"a",@progbits
	.p2align	6, 0x0
	.amdhsa_kernel _ZN7rocprim17ROCPRIM_400000_NS6detail17trampoline_kernelINS0_13select_configILj256ELj13ELNS0_17block_load_methodE3ELS4_3ELS4_3ELNS0_20block_scan_algorithmE0ELj4294967295EEENS1_25partition_config_selectorILNS1_17partition_subalgoE3EjNS0_10empty_typeEbEEZZNS1_14partition_implILS8_3ELb0ES6_jNS0_17counting_iteratorIjlEEPS9_SE_NS0_5tupleIJPjSE_EEENSF_IJSE_SE_EEES9_SG_JZNS1_25segmented_radix_sort_implINS0_14default_configELb1EPK6__halfPSL_PKlPlN2at6native12_GLOBAL__N_18offset_tEEE10hipError_tPvRmT1_PNSt15iterator_traitsISZ_E10value_typeET2_T3_PNS10_IS15_E10value_typeET4_jRbjT5_S1B_jjP12ihipStream_tbEUljE_EEESW_SX_SY_S15_S19_S1B_T6_T7_T9_mT8_S1D_bDpT10_ENKUlT_T0_E_clISt17integral_constantIbLb0EES1Q_EEDaS1L_S1M_EUlS1L_E_NS1_11comp_targetILNS1_3genE4ELNS1_11target_archE910ELNS1_3gpuE8ELNS1_3repE0EEENS1_30default_config_static_selectorELNS0_4arch9wavefront6targetE0EEEvSZ_
		.amdhsa_group_segment_fixed_size 0
		.amdhsa_private_segment_fixed_size 0
		.amdhsa_kernarg_size 144
		.amdhsa_user_sgpr_count 6
		.amdhsa_user_sgpr_private_segment_buffer 1
		.amdhsa_user_sgpr_dispatch_ptr 0
		.amdhsa_user_sgpr_queue_ptr 0
		.amdhsa_user_sgpr_kernarg_segment_ptr 1
		.amdhsa_user_sgpr_dispatch_id 0
		.amdhsa_user_sgpr_flat_scratch_init 0
		.amdhsa_user_sgpr_private_segment_size 0
		.amdhsa_wavefront_size32 1
		.amdhsa_uses_dynamic_stack 0
		.amdhsa_system_sgpr_private_segment_wavefront_offset 0
		.amdhsa_system_sgpr_workgroup_id_x 1
		.amdhsa_system_sgpr_workgroup_id_y 0
		.amdhsa_system_sgpr_workgroup_id_z 0
		.amdhsa_system_sgpr_workgroup_info 0
		.amdhsa_system_vgpr_workitem_id 0
		.amdhsa_next_free_vgpr 1
		.amdhsa_next_free_sgpr 1
		.amdhsa_reserve_vcc 0
		.amdhsa_reserve_flat_scratch 0
		.amdhsa_float_round_mode_32 0
		.amdhsa_float_round_mode_16_64 0
		.amdhsa_float_denorm_mode_32 3
		.amdhsa_float_denorm_mode_16_64 3
		.amdhsa_dx10_clamp 1
		.amdhsa_ieee_mode 1
		.amdhsa_fp16_overflow 0
		.amdhsa_workgroup_processor_mode 1
		.amdhsa_memory_ordered 1
		.amdhsa_forward_progress 1
		.amdhsa_shared_vgpr_count 0
		.amdhsa_exception_fp_ieee_invalid_op 0
		.amdhsa_exception_fp_denorm_src 0
		.amdhsa_exception_fp_ieee_div_zero 0
		.amdhsa_exception_fp_ieee_overflow 0
		.amdhsa_exception_fp_ieee_underflow 0
		.amdhsa_exception_fp_ieee_inexact 0
		.amdhsa_exception_int_div_zero 0
	.end_amdhsa_kernel
	.section	.text._ZN7rocprim17ROCPRIM_400000_NS6detail17trampoline_kernelINS0_13select_configILj256ELj13ELNS0_17block_load_methodE3ELS4_3ELS4_3ELNS0_20block_scan_algorithmE0ELj4294967295EEENS1_25partition_config_selectorILNS1_17partition_subalgoE3EjNS0_10empty_typeEbEEZZNS1_14partition_implILS8_3ELb0ES6_jNS0_17counting_iteratorIjlEEPS9_SE_NS0_5tupleIJPjSE_EEENSF_IJSE_SE_EEES9_SG_JZNS1_25segmented_radix_sort_implINS0_14default_configELb1EPK6__halfPSL_PKlPlN2at6native12_GLOBAL__N_18offset_tEEE10hipError_tPvRmT1_PNSt15iterator_traitsISZ_E10value_typeET2_T3_PNS10_IS15_E10value_typeET4_jRbjT5_S1B_jjP12ihipStream_tbEUljE_EEESW_SX_SY_S15_S19_S1B_T6_T7_T9_mT8_S1D_bDpT10_ENKUlT_T0_E_clISt17integral_constantIbLb0EES1Q_EEDaS1L_S1M_EUlS1L_E_NS1_11comp_targetILNS1_3genE4ELNS1_11target_archE910ELNS1_3gpuE8ELNS1_3repE0EEENS1_30default_config_static_selectorELNS0_4arch9wavefront6targetE0EEEvSZ_,"axG",@progbits,_ZN7rocprim17ROCPRIM_400000_NS6detail17trampoline_kernelINS0_13select_configILj256ELj13ELNS0_17block_load_methodE3ELS4_3ELS4_3ELNS0_20block_scan_algorithmE0ELj4294967295EEENS1_25partition_config_selectorILNS1_17partition_subalgoE3EjNS0_10empty_typeEbEEZZNS1_14partition_implILS8_3ELb0ES6_jNS0_17counting_iteratorIjlEEPS9_SE_NS0_5tupleIJPjSE_EEENSF_IJSE_SE_EEES9_SG_JZNS1_25segmented_radix_sort_implINS0_14default_configELb1EPK6__halfPSL_PKlPlN2at6native12_GLOBAL__N_18offset_tEEE10hipError_tPvRmT1_PNSt15iterator_traitsISZ_E10value_typeET2_T3_PNS10_IS15_E10value_typeET4_jRbjT5_S1B_jjP12ihipStream_tbEUljE_EEESW_SX_SY_S15_S19_S1B_T6_T7_T9_mT8_S1D_bDpT10_ENKUlT_T0_E_clISt17integral_constantIbLb0EES1Q_EEDaS1L_S1M_EUlS1L_E_NS1_11comp_targetILNS1_3genE4ELNS1_11target_archE910ELNS1_3gpuE8ELNS1_3repE0EEENS1_30default_config_static_selectorELNS0_4arch9wavefront6targetE0EEEvSZ_,comdat
.Lfunc_end1699:
	.size	_ZN7rocprim17ROCPRIM_400000_NS6detail17trampoline_kernelINS0_13select_configILj256ELj13ELNS0_17block_load_methodE3ELS4_3ELS4_3ELNS0_20block_scan_algorithmE0ELj4294967295EEENS1_25partition_config_selectorILNS1_17partition_subalgoE3EjNS0_10empty_typeEbEEZZNS1_14partition_implILS8_3ELb0ES6_jNS0_17counting_iteratorIjlEEPS9_SE_NS0_5tupleIJPjSE_EEENSF_IJSE_SE_EEES9_SG_JZNS1_25segmented_radix_sort_implINS0_14default_configELb1EPK6__halfPSL_PKlPlN2at6native12_GLOBAL__N_18offset_tEEE10hipError_tPvRmT1_PNSt15iterator_traitsISZ_E10value_typeET2_T3_PNS10_IS15_E10value_typeET4_jRbjT5_S1B_jjP12ihipStream_tbEUljE_EEESW_SX_SY_S15_S19_S1B_T6_T7_T9_mT8_S1D_bDpT10_ENKUlT_T0_E_clISt17integral_constantIbLb0EES1Q_EEDaS1L_S1M_EUlS1L_E_NS1_11comp_targetILNS1_3genE4ELNS1_11target_archE910ELNS1_3gpuE8ELNS1_3repE0EEENS1_30default_config_static_selectorELNS0_4arch9wavefront6targetE0EEEvSZ_, .Lfunc_end1699-_ZN7rocprim17ROCPRIM_400000_NS6detail17trampoline_kernelINS0_13select_configILj256ELj13ELNS0_17block_load_methodE3ELS4_3ELS4_3ELNS0_20block_scan_algorithmE0ELj4294967295EEENS1_25partition_config_selectorILNS1_17partition_subalgoE3EjNS0_10empty_typeEbEEZZNS1_14partition_implILS8_3ELb0ES6_jNS0_17counting_iteratorIjlEEPS9_SE_NS0_5tupleIJPjSE_EEENSF_IJSE_SE_EEES9_SG_JZNS1_25segmented_radix_sort_implINS0_14default_configELb1EPK6__halfPSL_PKlPlN2at6native12_GLOBAL__N_18offset_tEEE10hipError_tPvRmT1_PNSt15iterator_traitsISZ_E10value_typeET2_T3_PNS10_IS15_E10value_typeET4_jRbjT5_S1B_jjP12ihipStream_tbEUljE_EEESW_SX_SY_S15_S19_S1B_T6_T7_T9_mT8_S1D_bDpT10_ENKUlT_T0_E_clISt17integral_constantIbLb0EES1Q_EEDaS1L_S1M_EUlS1L_E_NS1_11comp_targetILNS1_3genE4ELNS1_11target_archE910ELNS1_3gpuE8ELNS1_3repE0EEENS1_30default_config_static_selectorELNS0_4arch9wavefront6targetE0EEEvSZ_
                                        ; -- End function
	.set _ZN7rocprim17ROCPRIM_400000_NS6detail17trampoline_kernelINS0_13select_configILj256ELj13ELNS0_17block_load_methodE3ELS4_3ELS4_3ELNS0_20block_scan_algorithmE0ELj4294967295EEENS1_25partition_config_selectorILNS1_17partition_subalgoE3EjNS0_10empty_typeEbEEZZNS1_14partition_implILS8_3ELb0ES6_jNS0_17counting_iteratorIjlEEPS9_SE_NS0_5tupleIJPjSE_EEENSF_IJSE_SE_EEES9_SG_JZNS1_25segmented_radix_sort_implINS0_14default_configELb1EPK6__halfPSL_PKlPlN2at6native12_GLOBAL__N_18offset_tEEE10hipError_tPvRmT1_PNSt15iterator_traitsISZ_E10value_typeET2_T3_PNS10_IS15_E10value_typeET4_jRbjT5_S1B_jjP12ihipStream_tbEUljE_EEESW_SX_SY_S15_S19_S1B_T6_T7_T9_mT8_S1D_bDpT10_ENKUlT_T0_E_clISt17integral_constantIbLb0EES1Q_EEDaS1L_S1M_EUlS1L_E_NS1_11comp_targetILNS1_3genE4ELNS1_11target_archE910ELNS1_3gpuE8ELNS1_3repE0EEENS1_30default_config_static_selectorELNS0_4arch9wavefront6targetE0EEEvSZ_.num_vgpr, 0
	.set _ZN7rocprim17ROCPRIM_400000_NS6detail17trampoline_kernelINS0_13select_configILj256ELj13ELNS0_17block_load_methodE3ELS4_3ELS4_3ELNS0_20block_scan_algorithmE0ELj4294967295EEENS1_25partition_config_selectorILNS1_17partition_subalgoE3EjNS0_10empty_typeEbEEZZNS1_14partition_implILS8_3ELb0ES6_jNS0_17counting_iteratorIjlEEPS9_SE_NS0_5tupleIJPjSE_EEENSF_IJSE_SE_EEES9_SG_JZNS1_25segmented_radix_sort_implINS0_14default_configELb1EPK6__halfPSL_PKlPlN2at6native12_GLOBAL__N_18offset_tEEE10hipError_tPvRmT1_PNSt15iterator_traitsISZ_E10value_typeET2_T3_PNS10_IS15_E10value_typeET4_jRbjT5_S1B_jjP12ihipStream_tbEUljE_EEESW_SX_SY_S15_S19_S1B_T6_T7_T9_mT8_S1D_bDpT10_ENKUlT_T0_E_clISt17integral_constantIbLb0EES1Q_EEDaS1L_S1M_EUlS1L_E_NS1_11comp_targetILNS1_3genE4ELNS1_11target_archE910ELNS1_3gpuE8ELNS1_3repE0EEENS1_30default_config_static_selectorELNS0_4arch9wavefront6targetE0EEEvSZ_.num_agpr, 0
	.set _ZN7rocprim17ROCPRIM_400000_NS6detail17trampoline_kernelINS0_13select_configILj256ELj13ELNS0_17block_load_methodE3ELS4_3ELS4_3ELNS0_20block_scan_algorithmE0ELj4294967295EEENS1_25partition_config_selectorILNS1_17partition_subalgoE3EjNS0_10empty_typeEbEEZZNS1_14partition_implILS8_3ELb0ES6_jNS0_17counting_iteratorIjlEEPS9_SE_NS0_5tupleIJPjSE_EEENSF_IJSE_SE_EEES9_SG_JZNS1_25segmented_radix_sort_implINS0_14default_configELb1EPK6__halfPSL_PKlPlN2at6native12_GLOBAL__N_18offset_tEEE10hipError_tPvRmT1_PNSt15iterator_traitsISZ_E10value_typeET2_T3_PNS10_IS15_E10value_typeET4_jRbjT5_S1B_jjP12ihipStream_tbEUljE_EEESW_SX_SY_S15_S19_S1B_T6_T7_T9_mT8_S1D_bDpT10_ENKUlT_T0_E_clISt17integral_constantIbLb0EES1Q_EEDaS1L_S1M_EUlS1L_E_NS1_11comp_targetILNS1_3genE4ELNS1_11target_archE910ELNS1_3gpuE8ELNS1_3repE0EEENS1_30default_config_static_selectorELNS0_4arch9wavefront6targetE0EEEvSZ_.numbered_sgpr, 0
	.set _ZN7rocprim17ROCPRIM_400000_NS6detail17trampoline_kernelINS0_13select_configILj256ELj13ELNS0_17block_load_methodE3ELS4_3ELS4_3ELNS0_20block_scan_algorithmE0ELj4294967295EEENS1_25partition_config_selectorILNS1_17partition_subalgoE3EjNS0_10empty_typeEbEEZZNS1_14partition_implILS8_3ELb0ES6_jNS0_17counting_iteratorIjlEEPS9_SE_NS0_5tupleIJPjSE_EEENSF_IJSE_SE_EEES9_SG_JZNS1_25segmented_radix_sort_implINS0_14default_configELb1EPK6__halfPSL_PKlPlN2at6native12_GLOBAL__N_18offset_tEEE10hipError_tPvRmT1_PNSt15iterator_traitsISZ_E10value_typeET2_T3_PNS10_IS15_E10value_typeET4_jRbjT5_S1B_jjP12ihipStream_tbEUljE_EEESW_SX_SY_S15_S19_S1B_T6_T7_T9_mT8_S1D_bDpT10_ENKUlT_T0_E_clISt17integral_constantIbLb0EES1Q_EEDaS1L_S1M_EUlS1L_E_NS1_11comp_targetILNS1_3genE4ELNS1_11target_archE910ELNS1_3gpuE8ELNS1_3repE0EEENS1_30default_config_static_selectorELNS0_4arch9wavefront6targetE0EEEvSZ_.num_named_barrier, 0
	.set _ZN7rocprim17ROCPRIM_400000_NS6detail17trampoline_kernelINS0_13select_configILj256ELj13ELNS0_17block_load_methodE3ELS4_3ELS4_3ELNS0_20block_scan_algorithmE0ELj4294967295EEENS1_25partition_config_selectorILNS1_17partition_subalgoE3EjNS0_10empty_typeEbEEZZNS1_14partition_implILS8_3ELb0ES6_jNS0_17counting_iteratorIjlEEPS9_SE_NS0_5tupleIJPjSE_EEENSF_IJSE_SE_EEES9_SG_JZNS1_25segmented_radix_sort_implINS0_14default_configELb1EPK6__halfPSL_PKlPlN2at6native12_GLOBAL__N_18offset_tEEE10hipError_tPvRmT1_PNSt15iterator_traitsISZ_E10value_typeET2_T3_PNS10_IS15_E10value_typeET4_jRbjT5_S1B_jjP12ihipStream_tbEUljE_EEESW_SX_SY_S15_S19_S1B_T6_T7_T9_mT8_S1D_bDpT10_ENKUlT_T0_E_clISt17integral_constantIbLb0EES1Q_EEDaS1L_S1M_EUlS1L_E_NS1_11comp_targetILNS1_3genE4ELNS1_11target_archE910ELNS1_3gpuE8ELNS1_3repE0EEENS1_30default_config_static_selectorELNS0_4arch9wavefront6targetE0EEEvSZ_.private_seg_size, 0
	.set _ZN7rocprim17ROCPRIM_400000_NS6detail17trampoline_kernelINS0_13select_configILj256ELj13ELNS0_17block_load_methodE3ELS4_3ELS4_3ELNS0_20block_scan_algorithmE0ELj4294967295EEENS1_25partition_config_selectorILNS1_17partition_subalgoE3EjNS0_10empty_typeEbEEZZNS1_14partition_implILS8_3ELb0ES6_jNS0_17counting_iteratorIjlEEPS9_SE_NS0_5tupleIJPjSE_EEENSF_IJSE_SE_EEES9_SG_JZNS1_25segmented_radix_sort_implINS0_14default_configELb1EPK6__halfPSL_PKlPlN2at6native12_GLOBAL__N_18offset_tEEE10hipError_tPvRmT1_PNSt15iterator_traitsISZ_E10value_typeET2_T3_PNS10_IS15_E10value_typeET4_jRbjT5_S1B_jjP12ihipStream_tbEUljE_EEESW_SX_SY_S15_S19_S1B_T6_T7_T9_mT8_S1D_bDpT10_ENKUlT_T0_E_clISt17integral_constantIbLb0EES1Q_EEDaS1L_S1M_EUlS1L_E_NS1_11comp_targetILNS1_3genE4ELNS1_11target_archE910ELNS1_3gpuE8ELNS1_3repE0EEENS1_30default_config_static_selectorELNS0_4arch9wavefront6targetE0EEEvSZ_.uses_vcc, 0
	.set _ZN7rocprim17ROCPRIM_400000_NS6detail17trampoline_kernelINS0_13select_configILj256ELj13ELNS0_17block_load_methodE3ELS4_3ELS4_3ELNS0_20block_scan_algorithmE0ELj4294967295EEENS1_25partition_config_selectorILNS1_17partition_subalgoE3EjNS0_10empty_typeEbEEZZNS1_14partition_implILS8_3ELb0ES6_jNS0_17counting_iteratorIjlEEPS9_SE_NS0_5tupleIJPjSE_EEENSF_IJSE_SE_EEES9_SG_JZNS1_25segmented_radix_sort_implINS0_14default_configELb1EPK6__halfPSL_PKlPlN2at6native12_GLOBAL__N_18offset_tEEE10hipError_tPvRmT1_PNSt15iterator_traitsISZ_E10value_typeET2_T3_PNS10_IS15_E10value_typeET4_jRbjT5_S1B_jjP12ihipStream_tbEUljE_EEESW_SX_SY_S15_S19_S1B_T6_T7_T9_mT8_S1D_bDpT10_ENKUlT_T0_E_clISt17integral_constantIbLb0EES1Q_EEDaS1L_S1M_EUlS1L_E_NS1_11comp_targetILNS1_3genE4ELNS1_11target_archE910ELNS1_3gpuE8ELNS1_3repE0EEENS1_30default_config_static_selectorELNS0_4arch9wavefront6targetE0EEEvSZ_.uses_flat_scratch, 0
	.set _ZN7rocprim17ROCPRIM_400000_NS6detail17trampoline_kernelINS0_13select_configILj256ELj13ELNS0_17block_load_methodE3ELS4_3ELS4_3ELNS0_20block_scan_algorithmE0ELj4294967295EEENS1_25partition_config_selectorILNS1_17partition_subalgoE3EjNS0_10empty_typeEbEEZZNS1_14partition_implILS8_3ELb0ES6_jNS0_17counting_iteratorIjlEEPS9_SE_NS0_5tupleIJPjSE_EEENSF_IJSE_SE_EEES9_SG_JZNS1_25segmented_radix_sort_implINS0_14default_configELb1EPK6__halfPSL_PKlPlN2at6native12_GLOBAL__N_18offset_tEEE10hipError_tPvRmT1_PNSt15iterator_traitsISZ_E10value_typeET2_T3_PNS10_IS15_E10value_typeET4_jRbjT5_S1B_jjP12ihipStream_tbEUljE_EEESW_SX_SY_S15_S19_S1B_T6_T7_T9_mT8_S1D_bDpT10_ENKUlT_T0_E_clISt17integral_constantIbLb0EES1Q_EEDaS1L_S1M_EUlS1L_E_NS1_11comp_targetILNS1_3genE4ELNS1_11target_archE910ELNS1_3gpuE8ELNS1_3repE0EEENS1_30default_config_static_selectorELNS0_4arch9wavefront6targetE0EEEvSZ_.has_dyn_sized_stack, 0
	.set _ZN7rocprim17ROCPRIM_400000_NS6detail17trampoline_kernelINS0_13select_configILj256ELj13ELNS0_17block_load_methodE3ELS4_3ELS4_3ELNS0_20block_scan_algorithmE0ELj4294967295EEENS1_25partition_config_selectorILNS1_17partition_subalgoE3EjNS0_10empty_typeEbEEZZNS1_14partition_implILS8_3ELb0ES6_jNS0_17counting_iteratorIjlEEPS9_SE_NS0_5tupleIJPjSE_EEENSF_IJSE_SE_EEES9_SG_JZNS1_25segmented_radix_sort_implINS0_14default_configELb1EPK6__halfPSL_PKlPlN2at6native12_GLOBAL__N_18offset_tEEE10hipError_tPvRmT1_PNSt15iterator_traitsISZ_E10value_typeET2_T3_PNS10_IS15_E10value_typeET4_jRbjT5_S1B_jjP12ihipStream_tbEUljE_EEESW_SX_SY_S15_S19_S1B_T6_T7_T9_mT8_S1D_bDpT10_ENKUlT_T0_E_clISt17integral_constantIbLb0EES1Q_EEDaS1L_S1M_EUlS1L_E_NS1_11comp_targetILNS1_3genE4ELNS1_11target_archE910ELNS1_3gpuE8ELNS1_3repE0EEENS1_30default_config_static_selectorELNS0_4arch9wavefront6targetE0EEEvSZ_.has_recursion, 0
	.set _ZN7rocprim17ROCPRIM_400000_NS6detail17trampoline_kernelINS0_13select_configILj256ELj13ELNS0_17block_load_methodE3ELS4_3ELS4_3ELNS0_20block_scan_algorithmE0ELj4294967295EEENS1_25partition_config_selectorILNS1_17partition_subalgoE3EjNS0_10empty_typeEbEEZZNS1_14partition_implILS8_3ELb0ES6_jNS0_17counting_iteratorIjlEEPS9_SE_NS0_5tupleIJPjSE_EEENSF_IJSE_SE_EEES9_SG_JZNS1_25segmented_radix_sort_implINS0_14default_configELb1EPK6__halfPSL_PKlPlN2at6native12_GLOBAL__N_18offset_tEEE10hipError_tPvRmT1_PNSt15iterator_traitsISZ_E10value_typeET2_T3_PNS10_IS15_E10value_typeET4_jRbjT5_S1B_jjP12ihipStream_tbEUljE_EEESW_SX_SY_S15_S19_S1B_T6_T7_T9_mT8_S1D_bDpT10_ENKUlT_T0_E_clISt17integral_constantIbLb0EES1Q_EEDaS1L_S1M_EUlS1L_E_NS1_11comp_targetILNS1_3genE4ELNS1_11target_archE910ELNS1_3gpuE8ELNS1_3repE0EEENS1_30default_config_static_selectorELNS0_4arch9wavefront6targetE0EEEvSZ_.has_indirect_call, 0
	.section	.AMDGPU.csdata,"",@progbits
; Kernel info:
; codeLenInByte = 0
; TotalNumSgprs: 0
; NumVgprs: 0
; ScratchSize: 0
; MemoryBound: 0
; FloatMode: 240
; IeeeMode: 1
; LDSByteSize: 0 bytes/workgroup (compile time only)
; SGPRBlocks: 0
; VGPRBlocks: 0
; NumSGPRsForWavesPerEU: 1
; NumVGPRsForWavesPerEU: 1
; Occupancy: 16
; WaveLimiterHint : 0
; COMPUTE_PGM_RSRC2:SCRATCH_EN: 0
; COMPUTE_PGM_RSRC2:USER_SGPR: 6
; COMPUTE_PGM_RSRC2:TRAP_HANDLER: 0
; COMPUTE_PGM_RSRC2:TGID_X_EN: 1
; COMPUTE_PGM_RSRC2:TGID_Y_EN: 0
; COMPUTE_PGM_RSRC2:TGID_Z_EN: 0
; COMPUTE_PGM_RSRC2:TIDIG_COMP_CNT: 0
	.section	.text._ZN7rocprim17ROCPRIM_400000_NS6detail17trampoline_kernelINS0_13select_configILj256ELj13ELNS0_17block_load_methodE3ELS4_3ELS4_3ELNS0_20block_scan_algorithmE0ELj4294967295EEENS1_25partition_config_selectorILNS1_17partition_subalgoE3EjNS0_10empty_typeEbEEZZNS1_14partition_implILS8_3ELb0ES6_jNS0_17counting_iteratorIjlEEPS9_SE_NS0_5tupleIJPjSE_EEENSF_IJSE_SE_EEES9_SG_JZNS1_25segmented_radix_sort_implINS0_14default_configELb1EPK6__halfPSL_PKlPlN2at6native12_GLOBAL__N_18offset_tEEE10hipError_tPvRmT1_PNSt15iterator_traitsISZ_E10value_typeET2_T3_PNS10_IS15_E10value_typeET4_jRbjT5_S1B_jjP12ihipStream_tbEUljE_EEESW_SX_SY_S15_S19_S1B_T6_T7_T9_mT8_S1D_bDpT10_ENKUlT_T0_E_clISt17integral_constantIbLb0EES1Q_EEDaS1L_S1M_EUlS1L_E_NS1_11comp_targetILNS1_3genE3ELNS1_11target_archE908ELNS1_3gpuE7ELNS1_3repE0EEENS1_30default_config_static_selectorELNS0_4arch9wavefront6targetE0EEEvSZ_,"axG",@progbits,_ZN7rocprim17ROCPRIM_400000_NS6detail17trampoline_kernelINS0_13select_configILj256ELj13ELNS0_17block_load_methodE3ELS4_3ELS4_3ELNS0_20block_scan_algorithmE0ELj4294967295EEENS1_25partition_config_selectorILNS1_17partition_subalgoE3EjNS0_10empty_typeEbEEZZNS1_14partition_implILS8_3ELb0ES6_jNS0_17counting_iteratorIjlEEPS9_SE_NS0_5tupleIJPjSE_EEENSF_IJSE_SE_EEES9_SG_JZNS1_25segmented_radix_sort_implINS0_14default_configELb1EPK6__halfPSL_PKlPlN2at6native12_GLOBAL__N_18offset_tEEE10hipError_tPvRmT1_PNSt15iterator_traitsISZ_E10value_typeET2_T3_PNS10_IS15_E10value_typeET4_jRbjT5_S1B_jjP12ihipStream_tbEUljE_EEESW_SX_SY_S15_S19_S1B_T6_T7_T9_mT8_S1D_bDpT10_ENKUlT_T0_E_clISt17integral_constantIbLb0EES1Q_EEDaS1L_S1M_EUlS1L_E_NS1_11comp_targetILNS1_3genE3ELNS1_11target_archE908ELNS1_3gpuE7ELNS1_3repE0EEENS1_30default_config_static_selectorELNS0_4arch9wavefront6targetE0EEEvSZ_,comdat
	.globl	_ZN7rocprim17ROCPRIM_400000_NS6detail17trampoline_kernelINS0_13select_configILj256ELj13ELNS0_17block_load_methodE3ELS4_3ELS4_3ELNS0_20block_scan_algorithmE0ELj4294967295EEENS1_25partition_config_selectorILNS1_17partition_subalgoE3EjNS0_10empty_typeEbEEZZNS1_14partition_implILS8_3ELb0ES6_jNS0_17counting_iteratorIjlEEPS9_SE_NS0_5tupleIJPjSE_EEENSF_IJSE_SE_EEES9_SG_JZNS1_25segmented_radix_sort_implINS0_14default_configELb1EPK6__halfPSL_PKlPlN2at6native12_GLOBAL__N_18offset_tEEE10hipError_tPvRmT1_PNSt15iterator_traitsISZ_E10value_typeET2_T3_PNS10_IS15_E10value_typeET4_jRbjT5_S1B_jjP12ihipStream_tbEUljE_EEESW_SX_SY_S15_S19_S1B_T6_T7_T9_mT8_S1D_bDpT10_ENKUlT_T0_E_clISt17integral_constantIbLb0EES1Q_EEDaS1L_S1M_EUlS1L_E_NS1_11comp_targetILNS1_3genE3ELNS1_11target_archE908ELNS1_3gpuE7ELNS1_3repE0EEENS1_30default_config_static_selectorELNS0_4arch9wavefront6targetE0EEEvSZ_ ; -- Begin function _ZN7rocprim17ROCPRIM_400000_NS6detail17trampoline_kernelINS0_13select_configILj256ELj13ELNS0_17block_load_methodE3ELS4_3ELS4_3ELNS0_20block_scan_algorithmE0ELj4294967295EEENS1_25partition_config_selectorILNS1_17partition_subalgoE3EjNS0_10empty_typeEbEEZZNS1_14partition_implILS8_3ELb0ES6_jNS0_17counting_iteratorIjlEEPS9_SE_NS0_5tupleIJPjSE_EEENSF_IJSE_SE_EEES9_SG_JZNS1_25segmented_radix_sort_implINS0_14default_configELb1EPK6__halfPSL_PKlPlN2at6native12_GLOBAL__N_18offset_tEEE10hipError_tPvRmT1_PNSt15iterator_traitsISZ_E10value_typeET2_T3_PNS10_IS15_E10value_typeET4_jRbjT5_S1B_jjP12ihipStream_tbEUljE_EEESW_SX_SY_S15_S19_S1B_T6_T7_T9_mT8_S1D_bDpT10_ENKUlT_T0_E_clISt17integral_constantIbLb0EES1Q_EEDaS1L_S1M_EUlS1L_E_NS1_11comp_targetILNS1_3genE3ELNS1_11target_archE908ELNS1_3gpuE7ELNS1_3repE0EEENS1_30default_config_static_selectorELNS0_4arch9wavefront6targetE0EEEvSZ_
	.p2align	8
	.type	_ZN7rocprim17ROCPRIM_400000_NS6detail17trampoline_kernelINS0_13select_configILj256ELj13ELNS0_17block_load_methodE3ELS4_3ELS4_3ELNS0_20block_scan_algorithmE0ELj4294967295EEENS1_25partition_config_selectorILNS1_17partition_subalgoE3EjNS0_10empty_typeEbEEZZNS1_14partition_implILS8_3ELb0ES6_jNS0_17counting_iteratorIjlEEPS9_SE_NS0_5tupleIJPjSE_EEENSF_IJSE_SE_EEES9_SG_JZNS1_25segmented_radix_sort_implINS0_14default_configELb1EPK6__halfPSL_PKlPlN2at6native12_GLOBAL__N_18offset_tEEE10hipError_tPvRmT1_PNSt15iterator_traitsISZ_E10value_typeET2_T3_PNS10_IS15_E10value_typeET4_jRbjT5_S1B_jjP12ihipStream_tbEUljE_EEESW_SX_SY_S15_S19_S1B_T6_T7_T9_mT8_S1D_bDpT10_ENKUlT_T0_E_clISt17integral_constantIbLb0EES1Q_EEDaS1L_S1M_EUlS1L_E_NS1_11comp_targetILNS1_3genE3ELNS1_11target_archE908ELNS1_3gpuE7ELNS1_3repE0EEENS1_30default_config_static_selectorELNS0_4arch9wavefront6targetE0EEEvSZ_,@function
_ZN7rocprim17ROCPRIM_400000_NS6detail17trampoline_kernelINS0_13select_configILj256ELj13ELNS0_17block_load_methodE3ELS4_3ELS4_3ELNS0_20block_scan_algorithmE0ELj4294967295EEENS1_25partition_config_selectorILNS1_17partition_subalgoE3EjNS0_10empty_typeEbEEZZNS1_14partition_implILS8_3ELb0ES6_jNS0_17counting_iteratorIjlEEPS9_SE_NS0_5tupleIJPjSE_EEENSF_IJSE_SE_EEES9_SG_JZNS1_25segmented_radix_sort_implINS0_14default_configELb1EPK6__halfPSL_PKlPlN2at6native12_GLOBAL__N_18offset_tEEE10hipError_tPvRmT1_PNSt15iterator_traitsISZ_E10value_typeET2_T3_PNS10_IS15_E10value_typeET4_jRbjT5_S1B_jjP12ihipStream_tbEUljE_EEESW_SX_SY_S15_S19_S1B_T6_T7_T9_mT8_S1D_bDpT10_ENKUlT_T0_E_clISt17integral_constantIbLb0EES1Q_EEDaS1L_S1M_EUlS1L_E_NS1_11comp_targetILNS1_3genE3ELNS1_11target_archE908ELNS1_3gpuE7ELNS1_3repE0EEENS1_30default_config_static_selectorELNS0_4arch9wavefront6targetE0EEEvSZ_: ; @_ZN7rocprim17ROCPRIM_400000_NS6detail17trampoline_kernelINS0_13select_configILj256ELj13ELNS0_17block_load_methodE3ELS4_3ELS4_3ELNS0_20block_scan_algorithmE0ELj4294967295EEENS1_25partition_config_selectorILNS1_17partition_subalgoE3EjNS0_10empty_typeEbEEZZNS1_14partition_implILS8_3ELb0ES6_jNS0_17counting_iteratorIjlEEPS9_SE_NS0_5tupleIJPjSE_EEENSF_IJSE_SE_EEES9_SG_JZNS1_25segmented_radix_sort_implINS0_14default_configELb1EPK6__halfPSL_PKlPlN2at6native12_GLOBAL__N_18offset_tEEE10hipError_tPvRmT1_PNSt15iterator_traitsISZ_E10value_typeET2_T3_PNS10_IS15_E10value_typeET4_jRbjT5_S1B_jjP12ihipStream_tbEUljE_EEESW_SX_SY_S15_S19_S1B_T6_T7_T9_mT8_S1D_bDpT10_ENKUlT_T0_E_clISt17integral_constantIbLb0EES1Q_EEDaS1L_S1M_EUlS1L_E_NS1_11comp_targetILNS1_3genE3ELNS1_11target_archE908ELNS1_3gpuE7ELNS1_3repE0EEENS1_30default_config_static_selectorELNS0_4arch9wavefront6targetE0EEEvSZ_
; %bb.0:
	.section	.rodata,"a",@progbits
	.p2align	6, 0x0
	.amdhsa_kernel _ZN7rocprim17ROCPRIM_400000_NS6detail17trampoline_kernelINS0_13select_configILj256ELj13ELNS0_17block_load_methodE3ELS4_3ELS4_3ELNS0_20block_scan_algorithmE0ELj4294967295EEENS1_25partition_config_selectorILNS1_17partition_subalgoE3EjNS0_10empty_typeEbEEZZNS1_14partition_implILS8_3ELb0ES6_jNS0_17counting_iteratorIjlEEPS9_SE_NS0_5tupleIJPjSE_EEENSF_IJSE_SE_EEES9_SG_JZNS1_25segmented_radix_sort_implINS0_14default_configELb1EPK6__halfPSL_PKlPlN2at6native12_GLOBAL__N_18offset_tEEE10hipError_tPvRmT1_PNSt15iterator_traitsISZ_E10value_typeET2_T3_PNS10_IS15_E10value_typeET4_jRbjT5_S1B_jjP12ihipStream_tbEUljE_EEESW_SX_SY_S15_S19_S1B_T6_T7_T9_mT8_S1D_bDpT10_ENKUlT_T0_E_clISt17integral_constantIbLb0EES1Q_EEDaS1L_S1M_EUlS1L_E_NS1_11comp_targetILNS1_3genE3ELNS1_11target_archE908ELNS1_3gpuE7ELNS1_3repE0EEENS1_30default_config_static_selectorELNS0_4arch9wavefront6targetE0EEEvSZ_
		.amdhsa_group_segment_fixed_size 0
		.amdhsa_private_segment_fixed_size 0
		.amdhsa_kernarg_size 144
		.amdhsa_user_sgpr_count 6
		.amdhsa_user_sgpr_private_segment_buffer 1
		.amdhsa_user_sgpr_dispatch_ptr 0
		.amdhsa_user_sgpr_queue_ptr 0
		.amdhsa_user_sgpr_kernarg_segment_ptr 1
		.amdhsa_user_sgpr_dispatch_id 0
		.amdhsa_user_sgpr_flat_scratch_init 0
		.amdhsa_user_sgpr_private_segment_size 0
		.amdhsa_wavefront_size32 1
		.amdhsa_uses_dynamic_stack 0
		.amdhsa_system_sgpr_private_segment_wavefront_offset 0
		.amdhsa_system_sgpr_workgroup_id_x 1
		.amdhsa_system_sgpr_workgroup_id_y 0
		.amdhsa_system_sgpr_workgroup_id_z 0
		.amdhsa_system_sgpr_workgroup_info 0
		.amdhsa_system_vgpr_workitem_id 0
		.amdhsa_next_free_vgpr 1
		.amdhsa_next_free_sgpr 1
		.amdhsa_reserve_vcc 0
		.amdhsa_reserve_flat_scratch 0
		.amdhsa_float_round_mode_32 0
		.amdhsa_float_round_mode_16_64 0
		.amdhsa_float_denorm_mode_32 3
		.amdhsa_float_denorm_mode_16_64 3
		.amdhsa_dx10_clamp 1
		.amdhsa_ieee_mode 1
		.amdhsa_fp16_overflow 0
		.amdhsa_workgroup_processor_mode 1
		.amdhsa_memory_ordered 1
		.amdhsa_forward_progress 1
		.amdhsa_shared_vgpr_count 0
		.amdhsa_exception_fp_ieee_invalid_op 0
		.amdhsa_exception_fp_denorm_src 0
		.amdhsa_exception_fp_ieee_div_zero 0
		.amdhsa_exception_fp_ieee_overflow 0
		.amdhsa_exception_fp_ieee_underflow 0
		.amdhsa_exception_fp_ieee_inexact 0
		.amdhsa_exception_int_div_zero 0
	.end_amdhsa_kernel
	.section	.text._ZN7rocprim17ROCPRIM_400000_NS6detail17trampoline_kernelINS0_13select_configILj256ELj13ELNS0_17block_load_methodE3ELS4_3ELS4_3ELNS0_20block_scan_algorithmE0ELj4294967295EEENS1_25partition_config_selectorILNS1_17partition_subalgoE3EjNS0_10empty_typeEbEEZZNS1_14partition_implILS8_3ELb0ES6_jNS0_17counting_iteratorIjlEEPS9_SE_NS0_5tupleIJPjSE_EEENSF_IJSE_SE_EEES9_SG_JZNS1_25segmented_radix_sort_implINS0_14default_configELb1EPK6__halfPSL_PKlPlN2at6native12_GLOBAL__N_18offset_tEEE10hipError_tPvRmT1_PNSt15iterator_traitsISZ_E10value_typeET2_T3_PNS10_IS15_E10value_typeET4_jRbjT5_S1B_jjP12ihipStream_tbEUljE_EEESW_SX_SY_S15_S19_S1B_T6_T7_T9_mT8_S1D_bDpT10_ENKUlT_T0_E_clISt17integral_constantIbLb0EES1Q_EEDaS1L_S1M_EUlS1L_E_NS1_11comp_targetILNS1_3genE3ELNS1_11target_archE908ELNS1_3gpuE7ELNS1_3repE0EEENS1_30default_config_static_selectorELNS0_4arch9wavefront6targetE0EEEvSZ_,"axG",@progbits,_ZN7rocprim17ROCPRIM_400000_NS6detail17trampoline_kernelINS0_13select_configILj256ELj13ELNS0_17block_load_methodE3ELS4_3ELS4_3ELNS0_20block_scan_algorithmE0ELj4294967295EEENS1_25partition_config_selectorILNS1_17partition_subalgoE3EjNS0_10empty_typeEbEEZZNS1_14partition_implILS8_3ELb0ES6_jNS0_17counting_iteratorIjlEEPS9_SE_NS0_5tupleIJPjSE_EEENSF_IJSE_SE_EEES9_SG_JZNS1_25segmented_radix_sort_implINS0_14default_configELb1EPK6__halfPSL_PKlPlN2at6native12_GLOBAL__N_18offset_tEEE10hipError_tPvRmT1_PNSt15iterator_traitsISZ_E10value_typeET2_T3_PNS10_IS15_E10value_typeET4_jRbjT5_S1B_jjP12ihipStream_tbEUljE_EEESW_SX_SY_S15_S19_S1B_T6_T7_T9_mT8_S1D_bDpT10_ENKUlT_T0_E_clISt17integral_constantIbLb0EES1Q_EEDaS1L_S1M_EUlS1L_E_NS1_11comp_targetILNS1_3genE3ELNS1_11target_archE908ELNS1_3gpuE7ELNS1_3repE0EEENS1_30default_config_static_selectorELNS0_4arch9wavefront6targetE0EEEvSZ_,comdat
.Lfunc_end1700:
	.size	_ZN7rocprim17ROCPRIM_400000_NS6detail17trampoline_kernelINS0_13select_configILj256ELj13ELNS0_17block_load_methodE3ELS4_3ELS4_3ELNS0_20block_scan_algorithmE0ELj4294967295EEENS1_25partition_config_selectorILNS1_17partition_subalgoE3EjNS0_10empty_typeEbEEZZNS1_14partition_implILS8_3ELb0ES6_jNS0_17counting_iteratorIjlEEPS9_SE_NS0_5tupleIJPjSE_EEENSF_IJSE_SE_EEES9_SG_JZNS1_25segmented_radix_sort_implINS0_14default_configELb1EPK6__halfPSL_PKlPlN2at6native12_GLOBAL__N_18offset_tEEE10hipError_tPvRmT1_PNSt15iterator_traitsISZ_E10value_typeET2_T3_PNS10_IS15_E10value_typeET4_jRbjT5_S1B_jjP12ihipStream_tbEUljE_EEESW_SX_SY_S15_S19_S1B_T6_T7_T9_mT8_S1D_bDpT10_ENKUlT_T0_E_clISt17integral_constantIbLb0EES1Q_EEDaS1L_S1M_EUlS1L_E_NS1_11comp_targetILNS1_3genE3ELNS1_11target_archE908ELNS1_3gpuE7ELNS1_3repE0EEENS1_30default_config_static_selectorELNS0_4arch9wavefront6targetE0EEEvSZ_, .Lfunc_end1700-_ZN7rocprim17ROCPRIM_400000_NS6detail17trampoline_kernelINS0_13select_configILj256ELj13ELNS0_17block_load_methodE3ELS4_3ELS4_3ELNS0_20block_scan_algorithmE0ELj4294967295EEENS1_25partition_config_selectorILNS1_17partition_subalgoE3EjNS0_10empty_typeEbEEZZNS1_14partition_implILS8_3ELb0ES6_jNS0_17counting_iteratorIjlEEPS9_SE_NS0_5tupleIJPjSE_EEENSF_IJSE_SE_EEES9_SG_JZNS1_25segmented_radix_sort_implINS0_14default_configELb1EPK6__halfPSL_PKlPlN2at6native12_GLOBAL__N_18offset_tEEE10hipError_tPvRmT1_PNSt15iterator_traitsISZ_E10value_typeET2_T3_PNS10_IS15_E10value_typeET4_jRbjT5_S1B_jjP12ihipStream_tbEUljE_EEESW_SX_SY_S15_S19_S1B_T6_T7_T9_mT8_S1D_bDpT10_ENKUlT_T0_E_clISt17integral_constantIbLb0EES1Q_EEDaS1L_S1M_EUlS1L_E_NS1_11comp_targetILNS1_3genE3ELNS1_11target_archE908ELNS1_3gpuE7ELNS1_3repE0EEENS1_30default_config_static_selectorELNS0_4arch9wavefront6targetE0EEEvSZ_
                                        ; -- End function
	.set _ZN7rocprim17ROCPRIM_400000_NS6detail17trampoline_kernelINS0_13select_configILj256ELj13ELNS0_17block_load_methodE3ELS4_3ELS4_3ELNS0_20block_scan_algorithmE0ELj4294967295EEENS1_25partition_config_selectorILNS1_17partition_subalgoE3EjNS0_10empty_typeEbEEZZNS1_14partition_implILS8_3ELb0ES6_jNS0_17counting_iteratorIjlEEPS9_SE_NS0_5tupleIJPjSE_EEENSF_IJSE_SE_EEES9_SG_JZNS1_25segmented_radix_sort_implINS0_14default_configELb1EPK6__halfPSL_PKlPlN2at6native12_GLOBAL__N_18offset_tEEE10hipError_tPvRmT1_PNSt15iterator_traitsISZ_E10value_typeET2_T3_PNS10_IS15_E10value_typeET4_jRbjT5_S1B_jjP12ihipStream_tbEUljE_EEESW_SX_SY_S15_S19_S1B_T6_T7_T9_mT8_S1D_bDpT10_ENKUlT_T0_E_clISt17integral_constantIbLb0EES1Q_EEDaS1L_S1M_EUlS1L_E_NS1_11comp_targetILNS1_3genE3ELNS1_11target_archE908ELNS1_3gpuE7ELNS1_3repE0EEENS1_30default_config_static_selectorELNS0_4arch9wavefront6targetE0EEEvSZ_.num_vgpr, 0
	.set _ZN7rocprim17ROCPRIM_400000_NS6detail17trampoline_kernelINS0_13select_configILj256ELj13ELNS0_17block_load_methodE3ELS4_3ELS4_3ELNS0_20block_scan_algorithmE0ELj4294967295EEENS1_25partition_config_selectorILNS1_17partition_subalgoE3EjNS0_10empty_typeEbEEZZNS1_14partition_implILS8_3ELb0ES6_jNS0_17counting_iteratorIjlEEPS9_SE_NS0_5tupleIJPjSE_EEENSF_IJSE_SE_EEES9_SG_JZNS1_25segmented_radix_sort_implINS0_14default_configELb1EPK6__halfPSL_PKlPlN2at6native12_GLOBAL__N_18offset_tEEE10hipError_tPvRmT1_PNSt15iterator_traitsISZ_E10value_typeET2_T3_PNS10_IS15_E10value_typeET4_jRbjT5_S1B_jjP12ihipStream_tbEUljE_EEESW_SX_SY_S15_S19_S1B_T6_T7_T9_mT8_S1D_bDpT10_ENKUlT_T0_E_clISt17integral_constantIbLb0EES1Q_EEDaS1L_S1M_EUlS1L_E_NS1_11comp_targetILNS1_3genE3ELNS1_11target_archE908ELNS1_3gpuE7ELNS1_3repE0EEENS1_30default_config_static_selectorELNS0_4arch9wavefront6targetE0EEEvSZ_.num_agpr, 0
	.set _ZN7rocprim17ROCPRIM_400000_NS6detail17trampoline_kernelINS0_13select_configILj256ELj13ELNS0_17block_load_methodE3ELS4_3ELS4_3ELNS0_20block_scan_algorithmE0ELj4294967295EEENS1_25partition_config_selectorILNS1_17partition_subalgoE3EjNS0_10empty_typeEbEEZZNS1_14partition_implILS8_3ELb0ES6_jNS0_17counting_iteratorIjlEEPS9_SE_NS0_5tupleIJPjSE_EEENSF_IJSE_SE_EEES9_SG_JZNS1_25segmented_radix_sort_implINS0_14default_configELb1EPK6__halfPSL_PKlPlN2at6native12_GLOBAL__N_18offset_tEEE10hipError_tPvRmT1_PNSt15iterator_traitsISZ_E10value_typeET2_T3_PNS10_IS15_E10value_typeET4_jRbjT5_S1B_jjP12ihipStream_tbEUljE_EEESW_SX_SY_S15_S19_S1B_T6_T7_T9_mT8_S1D_bDpT10_ENKUlT_T0_E_clISt17integral_constantIbLb0EES1Q_EEDaS1L_S1M_EUlS1L_E_NS1_11comp_targetILNS1_3genE3ELNS1_11target_archE908ELNS1_3gpuE7ELNS1_3repE0EEENS1_30default_config_static_selectorELNS0_4arch9wavefront6targetE0EEEvSZ_.numbered_sgpr, 0
	.set _ZN7rocprim17ROCPRIM_400000_NS6detail17trampoline_kernelINS0_13select_configILj256ELj13ELNS0_17block_load_methodE3ELS4_3ELS4_3ELNS0_20block_scan_algorithmE0ELj4294967295EEENS1_25partition_config_selectorILNS1_17partition_subalgoE3EjNS0_10empty_typeEbEEZZNS1_14partition_implILS8_3ELb0ES6_jNS0_17counting_iteratorIjlEEPS9_SE_NS0_5tupleIJPjSE_EEENSF_IJSE_SE_EEES9_SG_JZNS1_25segmented_radix_sort_implINS0_14default_configELb1EPK6__halfPSL_PKlPlN2at6native12_GLOBAL__N_18offset_tEEE10hipError_tPvRmT1_PNSt15iterator_traitsISZ_E10value_typeET2_T3_PNS10_IS15_E10value_typeET4_jRbjT5_S1B_jjP12ihipStream_tbEUljE_EEESW_SX_SY_S15_S19_S1B_T6_T7_T9_mT8_S1D_bDpT10_ENKUlT_T0_E_clISt17integral_constantIbLb0EES1Q_EEDaS1L_S1M_EUlS1L_E_NS1_11comp_targetILNS1_3genE3ELNS1_11target_archE908ELNS1_3gpuE7ELNS1_3repE0EEENS1_30default_config_static_selectorELNS0_4arch9wavefront6targetE0EEEvSZ_.num_named_barrier, 0
	.set _ZN7rocprim17ROCPRIM_400000_NS6detail17trampoline_kernelINS0_13select_configILj256ELj13ELNS0_17block_load_methodE3ELS4_3ELS4_3ELNS0_20block_scan_algorithmE0ELj4294967295EEENS1_25partition_config_selectorILNS1_17partition_subalgoE3EjNS0_10empty_typeEbEEZZNS1_14partition_implILS8_3ELb0ES6_jNS0_17counting_iteratorIjlEEPS9_SE_NS0_5tupleIJPjSE_EEENSF_IJSE_SE_EEES9_SG_JZNS1_25segmented_radix_sort_implINS0_14default_configELb1EPK6__halfPSL_PKlPlN2at6native12_GLOBAL__N_18offset_tEEE10hipError_tPvRmT1_PNSt15iterator_traitsISZ_E10value_typeET2_T3_PNS10_IS15_E10value_typeET4_jRbjT5_S1B_jjP12ihipStream_tbEUljE_EEESW_SX_SY_S15_S19_S1B_T6_T7_T9_mT8_S1D_bDpT10_ENKUlT_T0_E_clISt17integral_constantIbLb0EES1Q_EEDaS1L_S1M_EUlS1L_E_NS1_11comp_targetILNS1_3genE3ELNS1_11target_archE908ELNS1_3gpuE7ELNS1_3repE0EEENS1_30default_config_static_selectorELNS0_4arch9wavefront6targetE0EEEvSZ_.private_seg_size, 0
	.set _ZN7rocprim17ROCPRIM_400000_NS6detail17trampoline_kernelINS0_13select_configILj256ELj13ELNS0_17block_load_methodE3ELS4_3ELS4_3ELNS0_20block_scan_algorithmE0ELj4294967295EEENS1_25partition_config_selectorILNS1_17partition_subalgoE3EjNS0_10empty_typeEbEEZZNS1_14partition_implILS8_3ELb0ES6_jNS0_17counting_iteratorIjlEEPS9_SE_NS0_5tupleIJPjSE_EEENSF_IJSE_SE_EEES9_SG_JZNS1_25segmented_radix_sort_implINS0_14default_configELb1EPK6__halfPSL_PKlPlN2at6native12_GLOBAL__N_18offset_tEEE10hipError_tPvRmT1_PNSt15iterator_traitsISZ_E10value_typeET2_T3_PNS10_IS15_E10value_typeET4_jRbjT5_S1B_jjP12ihipStream_tbEUljE_EEESW_SX_SY_S15_S19_S1B_T6_T7_T9_mT8_S1D_bDpT10_ENKUlT_T0_E_clISt17integral_constantIbLb0EES1Q_EEDaS1L_S1M_EUlS1L_E_NS1_11comp_targetILNS1_3genE3ELNS1_11target_archE908ELNS1_3gpuE7ELNS1_3repE0EEENS1_30default_config_static_selectorELNS0_4arch9wavefront6targetE0EEEvSZ_.uses_vcc, 0
	.set _ZN7rocprim17ROCPRIM_400000_NS6detail17trampoline_kernelINS0_13select_configILj256ELj13ELNS0_17block_load_methodE3ELS4_3ELS4_3ELNS0_20block_scan_algorithmE0ELj4294967295EEENS1_25partition_config_selectorILNS1_17partition_subalgoE3EjNS0_10empty_typeEbEEZZNS1_14partition_implILS8_3ELb0ES6_jNS0_17counting_iteratorIjlEEPS9_SE_NS0_5tupleIJPjSE_EEENSF_IJSE_SE_EEES9_SG_JZNS1_25segmented_radix_sort_implINS0_14default_configELb1EPK6__halfPSL_PKlPlN2at6native12_GLOBAL__N_18offset_tEEE10hipError_tPvRmT1_PNSt15iterator_traitsISZ_E10value_typeET2_T3_PNS10_IS15_E10value_typeET4_jRbjT5_S1B_jjP12ihipStream_tbEUljE_EEESW_SX_SY_S15_S19_S1B_T6_T7_T9_mT8_S1D_bDpT10_ENKUlT_T0_E_clISt17integral_constantIbLb0EES1Q_EEDaS1L_S1M_EUlS1L_E_NS1_11comp_targetILNS1_3genE3ELNS1_11target_archE908ELNS1_3gpuE7ELNS1_3repE0EEENS1_30default_config_static_selectorELNS0_4arch9wavefront6targetE0EEEvSZ_.uses_flat_scratch, 0
	.set _ZN7rocprim17ROCPRIM_400000_NS6detail17trampoline_kernelINS0_13select_configILj256ELj13ELNS0_17block_load_methodE3ELS4_3ELS4_3ELNS0_20block_scan_algorithmE0ELj4294967295EEENS1_25partition_config_selectorILNS1_17partition_subalgoE3EjNS0_10empty_typeEbEEZZNS1_14partition_implILS8_3ELb0ES6_jNS0_17counting_iteratorIjlEEPS9_SE_NS0_5tupleIJPjSE_EEENSF_IJSE_SE_EEES9_SG_JZNS1_25segmented_radix_sort_implINS0_14default_configELb1EPK6__halfPSL_PKlPlN2at6native12_GLOBAL__N_18offset_tEEE10hipError_tPvRmT1_PNSt15iterator_traitsISZ_E10value_typeET2_T3_PNS10_IS15_E10value_typeET4_jRbjT5_S1B_jjP12ihipStream_tbEUljE_EEESW_SX_SY_S15_S19_S1B_T6_T7_T9_mT8_S1D_bDpT10_ENKUlT_T0_E_clISt17integral_constantIbLb0EES1Q_EEDaS1L_S1M_EUlS1L_E_NS1_11comp_targetILNS1_3genE3ELNS1_11target_archE908ELNS1_3gpuE7ELNS1_3repE0EEENS1_30default_config_static_selectorELNS0_4arch9wavefront6targetE0EEEvSZ_.has_dyn_sized_stack, 0
	.set _ZN7rocprim17ROCPRIM_400000_NS6detail17trampoline_kernelINS0_13select_configILj256ELj13ELNS0_17block_load_methodE3ELS4_3ELS4_3ELNS0_20block_scan_algorithmE0ELj4294967295EEENS1_25partition_config_selectorILNS1_17partition_subalgoE3EjNS0_10empty_typeEbEEZZNS1_14partition_implILS8_3ELb0ES6_jNS0_17counting_iteratorIjlEEPS9_SE_NS0_5tupleIJPjSE_EEENSF_IJSE_SE_EEES9_SG_JZNS1_25segmented_radix_sort_implINS0_14default_configELb1EPK6__halfPSL_PKlPlN2at6native12_GLOBAL__N_18offset_tEEE10hipError_tPvRmT1_PNSt15iterator_traitsISZ_E10value_typeET2_T3_PNS10_IS15_E10value_typeET4_jRbjT5_S1B_jjP12ihipStream_tbEUljE_EEESW_SX_SY_S15_S19_S1B_T6_T7_T9_mT8_S1D_bDpT10_ENKUlT_T0_E_clISt17integral_constantIbLb0EES1Q_EEDaS1L_S1M_EUlS1L_E_NS1_11comp_targetILNS1_3genE3ELNS1_11target_archE908ELNS1_3gpuE7ELNS1_3repE0EEENS1_30default_config_static_selectorELNS0_4arch9wavefront6targetE0EEEvSZ_.has_recursion, 0
	.set _ZN7rocprim17ROCPRIM_400000_NS6detail17trampoline_kernelINS0_13select_configILj256ELj13ELNS0_17block_load_methodE3ELS4_3ELS4_3ELNS0_20block_scan_algorithmE0ELj4294967295EEENS1_25partition_config_selectorILNS1_17partition_subalgoE3EjNS0_10empty_typeEbEEZZNS1_14partition_implILS8_3ELb0ES6_jNS0_17counting_iteratorIjlEEPS9_SE_NS0_5tupleIJPjSE_EEENSF_IJSE_SE_EEES9_SG_JZNS1_25segmented_radix_sort_implINS0_14default_configELb1EPK6__halfPSL_PKlPlN2at6native12_GLOBAL__N_18offset_tEEE10hipError_tPvRmT1_PNSt15iterator_traitsISZ_E10value_typeET2_T3_PNS10_IS15_E10value_typeET4_jRbjT5_S1B_jjP12ihipStream_tbEUljE_EEESW_SX_SY_S15_S19_S1B_T6_T7_T9_mT8_S1D_bDpT10_ENKUlT_T0_E_clISt17integral_constantIbLb0EES1Q_EEDaS1L_S1M_EUlS1L_E_NS1_11comp_targetILNS1_3genE3ELNS1_11target_archE908ELNS1_3gpuE7ELNS1_3repE0EEENS1_30default_config_static_selectorELNS0_4arch9wavefront6targetE0EEEvSZ_.has_indirect_call, 0
	.section	.AMDGPU.csdata,"",@progbits
; Kernel info:
; codeLenInByte = 0
; TotalNumSgprs: 0
; NumVgprs: 0
; ScratchSize: 0
; MemoryBound: 0
; FloatMode: 240
; IeeeMode: 1
; LDSByteSize: 0 bytes/workgroup (compile time only)
; SGPRBlocks: 0
; VGPRBlocks: 0
; NumSGPRsForWavesPerEU: 1
; NumVGPRsForWavesPerEU: 1
; Occupancy: 16
; WaveLimiterHint : 0
; COMPUTE_PGM_RSRC2:SCRATCH_EN: 0
; COMPUTE_PGM_RSRC2:USER_SGPR: 6
; COMPUTE_PGM_RSRC2:TRAP_HANDLER: 0
; COMPUTE_PGM_RSRC2:TGID_X_EN: 1
; COMPUTE_PGM_RSRC2:TGID_Y_EN: 0
; COMPUTE_PGM_RSRC2:TGID_Z_EN: 0
; COMPUTE_PGM_RSRC2:TIDIG_COMP_CNT: 0
	.section	.text._ZN7rocprim17ROCPRIM_400000_NS6detail17trampoline_kernelINS0_13select_configILj256ELj13ELNS0_17block_load_methodE3ELS4_3ELS4_3ELNS0_20block_scan_algorithmE0ELj4294967295EEENS1_25partition_config_selectorILNS1_17partition_subalgoE3EjNS0_10empty_typeEbEEZZNS1_14partition_implILS8_3ELb0ES6_jNS0_17counting_iteratorIjlEEPS9_SE_NS0_5tupleIJPjSE_EEENSF_IJSE_SE_EEES9_SG_JZNS1_25segmented_radix_sort_implINS0_14default_configELb1EPK6__halfPSL_PKlPlN2at6native12_GLOBAL__N_18offset_tEEE10hipError_tPvRmT1_PNSt15iterator_traitsISZ_E10value_typeET2_T3_PNS10_IS15_E10value_typeET4_jRbjT5_S1B_jjP12ihipStream_tbEUljE_EEESW_SX_SY_S15_S19_S1B_T6_T7_T9_mT8_S1D_bDpT10_ENKUlT_T0_E_clISt17integral_constantIbLb0EES1Q_EEDaS1L_S1M_EUlS1L_E_NS1_11comp_targetILNS1_3genE2ELNS1_11target_archE906ELNS1_3gpuE6ELNS1_3repE0EEENS1_30default_config_static_selectorELNS0_4arch9wavefront6targetE0EEEvSZ_,"axG",@progbits,_ZN7rocprim17ROCPRIM_400000_NS6detail17trampoline_kernelINS0_13select_configILj256ELj13ELNS0_17block_load_methodE3ELS4_3ELS4_3ELNS0_20block_scan_algorithmE0ELj4294967295EEENS1_25partition_config_selectorILNS1_17partition_subalgoE3EjNS0_10empty_typeEbEEZZNS1_14partition_implILS8_3ELb0ES6_jNS0_17counting_iteratorIjlEEPS9_SE_NS0_5tupleIJPjSE_EEENSF_IJSE_SE_EEES9_SG_JZNS1_25segmented_radix_sort_implINS0_14default_configELb1EPK6__halfPSL_PKlPlN2at6native12_GLOBAL__N_18offset_tEEE10hipError_tPvRmT1_PNSt15iterator_traitsISZ_E10value_typeET2_T3_PNS10_IS15_E10value_typeET4_jRbjT5_S1B_jjP12ihipStream_tbEUljE_EEESW_SX_SY_S15_S19_S1B_T6_T7_T9_mT8_S1D_bDpT10_ENKUlT_T0_E_clISt17integral_constantIbLb0EES1Q_EEDaS1L_S1M_EUlS1L_E_NS1_11comp_targetILNS1_3genE2ELNS1_11target_archE906ELNS1_3gpuE6ELNS1_3repE0EEENS1_30default_config_static_selectorELNS0_4arch9wavefront6targetE0EEEvSZ_,comdat
	.globl	_ZN7rocprim17ROCPRIM_400000_NS6detail17trampoline_kernelINS0_13select_configILj256ELj13ELNS0_17block_load_methodE3ELS4_3ELS4_3ELNS0_20block_scan_algorithmE0ELj4294967295EEENS1_25partition_config_selectorILNS1_17partition_subalgoE3EjNS0_10empty_typeEbEEZZNS1_14partition_implILS8_3ELb0ES6_jNS0_17counting_iteratorIjlEEPS9_SE_NS0_5tupleIJPjSE_EEENSF_IJSE_SE_EEES9_SG_JZNS1_25segmented_radix_sort_implINS0_14default_configELb1EPK6__halfPSL_PKlPlN2at6native12_GLOBAL__N_18offset_tEEE10hipError_tPvRmT1_PNSt15iterator_traitsISZ_E10value_typeET2_T3_PNS10_IS15_E10value_typeET4_jRbjT5_S1B_jjP12ihipStream_tbEUljE_EEESW_SX_SY_S15_S19_S1B_T6_T7_T9_mT8_S1D_bDpT10_ENKUlT_T0_E_clISt17integral_constantIbLb0EES1Q_EEDaS1L_S1M_EUlS1L_E_NS1_11comp_targetILNS1_3genE2ELNS1_11target_archE906ELNS1_3gpuE6ELNS1_3repE0EEENS1_30default_config_static_selectorELNS0_4arch9wavefront6targetE0EEEvSZ_ ; -- Begin function _ZN7rocprim17ROCPRIM_400000_NS6detail17trampoline_kernelINS0_13select_configILj256ELj13ELNS0_17block_load_methodE3ELS4_3ELS4_3ELNS0_20block_scan_algorithmE0ELj4294967295EEENS1_25partition_config_selectorILNS1_17partition_subalgoE3EjNS0_10empty_typeEbEEZZNS1_14partition_implILS8_3ELb0ES6_jNS0_17counting_iteratorIjlEEPS9_SE_NS0_5tupleIJPjSE_EEENSF_IJSE_SE_EEES9_SG_JZNS1_25segmented_radix_sort_implINS0_14default_configELb1EPK6__halfPSL_PKlPlN2at6native12_GLOBAL__N_18offset_tEEE10hipError_tPvRmT1_PNSt15iterator_traitsISZ_E10value_typeET2_T3_PNS10_IS15_E10value_typeET4_jRbjT5_S1B_jjP12ihipStream_tbEUljE_EEESW_SX_SY_S15_S19_S1B_T6_T7_T9_mT8_S1D_bDpT10_ENKUlT_T0_E_clISt17integral_constantIbLb0EES1Q_EEDaS1L_S1M_EUlS1L_E_NS1_11comp_targetILNS1_3genE2ELNS1_11target_archE906ELNS1_3gpuE6ELNS1_3repE0EEENS1_30default_config_static_selectorELNS0_4arch9wavefront6targetE0EEEvSZ_
	.p2align	8
	.type	_ZN7rocprim17ROCPRIM_400000_NS6detail17trampoline_kernelINS0_13select_configILj256ELj13ELNS0_17block_load_methodE3ELS4_3ELS4_3ELNS0_20block_scan_algorithmE0ELj4294967295EEENS1_25partition_config_selectorILNS1_17partition_subalgoE3EjNS0_10empty_typeEbEEZZNS1_14partition_implILS8_3ELb0ES6_jNS0_17counting_iteratorIjlEEPS9_SE_NS0_5tupleIJPjSE_EEENSF_IJSE_SE_EEES9_SG_JZNS1_25segmented_radix_sort_implINS0_14default_configELb1EPK6__halfPSL_PKlPlN2at6native12_GLOBAL__N_18offset_tEEE10hipError_tPvRmT1_PNSt15iterator_traitsISZ_E10value_typeET2_T3_PNS10_IS15_E10value_typeET4_jRbjT5_S1B_jjP12ihipStream_tbEUljE_EEESW_SX_SY_S15_S19_S1B_T6_T7_T9_mT8_S1D_bDpT10_ENKUlT_T0_E_clISt17integral_constantIbLb0EES1Q_EEDaS1L_S1M_EUlS1L_E_NS1_11comp_targetILNS1_3genE2ELNS1_11target_archE906ELNS1_3gpuE6ELNS1_3repE0EEENS1_30default_config_static_selectorELNS0_4arch9wavefront6targetE0EEEvSZ_,@function
_ZN7rocprim17ROCPRIM_400000_NS6detail17trampoline_kernelINS0_13select_configILj256ELj13ELNS0_17block_load_methodE3ELS4_3ELS4_3ELNS0_20block_scan_algorithmE0ELj4294967295EEENS1_25partition_config_selectorILNS1_17partition_subalgoE3EjNS0_10empty_typeEbEEZZNS1_14partition_implILS8_3ELb0ES6_jNS0_17counting_iteratorIjlEEPS9_SE_NS0_5tupleIJPjSE_EEENSF_IJSE_SE_EEES9_SG_JZNS1_25segmented_radix_sort_implINS0_14default_configELb1EPK6__halfPSL_PKlPlN2at6native12_GLOBAL__N_18offset_tEEE10hipError_tPvRmT1_PNSt15iterator_traitsISZ_E10value_typeET2_T3_PNS10_IS15_E10value_typeET4_jRbjT5_S1B_jjP12ihipStream_tbEUljE_EEESW_SX_SY_S15_S19_S1B_T6_T7_T9_mT8_S1D_bDpT10_ENKUlT_T0_E_clISt17integral_constantIbLb0EES1Q_EEDaS1L_S1M_EUlS1L_E_NS1_11comp_targetILNS1_3genE2ELNS1_11target_archE906ELNS1_3gpuE6ELNS1_3repE0EEENS1_30default_config_static_selectorELNS0_4arch9wavefront6targetE0EEEvSZ_: ; @_ZN7rocprim17ROCPRIM_400000_NS6detail17trampoline_kernelINS0_13select_configILj256ELj13ELNS0_17block_load_methodE3ELS4_3ELS4_3ELNS0_20block_scan_algorithmE0ELj4294967295EEENS1_25partition_config_selectorILNS1_17partition_subalgoE3EjNS0_10empty_typeEbEEZZNS1_14partition_implILS8_3ELb0ES6_jNS0_17counting_iteratorIjlEEPS9_SE_NS0_5tupleIJPjSE_EEENSF_IJSE_SE_EEES9_SG_JZNS1_25segmented_radix_sort_implINS0_14default_configELb1EPK6__halfPSL_PKlPlN2at6native12_GLOBAL__N_18offset_tEEE10hipError_tPvRmT1_PNSt15iterator_traitsISZ_E10value_typeET2_T3_PNS10_IS15_E10value_typeET4_jRbjT5_S1B_jjP12ihipStream_tbEUljE_EEESW_SX_SY_S15_S19_S1B_T6_T7_T9_mT8_S1D_bDpT10_ENKUlT_T0_E_clISt17integral_constantIbLb0EES1Q_EEDaS1L_S1M_EUlS1L_E_NS1_11comp_targetILNS1_3genE2ELNS1_11target_archE906ELNS1_3gpuE6ELNS1_3repE0EEENS1_30default_config_static_selectorELNS0_4arch9wavefront6targetE0EEEvSZ_
; %bb.0:
	.section	.rodata,"a",@progbits
	.p2align	6, 0x0
	.amdhsa_kernel _ZN7rocprim17ROCPRIM_400000_NS6detail17trampoline_kernelINS0_13select_configILj256ELj13ELNS0_17block_load_methodE3ELS4_3ELS4_3ELNS0_20block_scan_algorithmE0ELj4294967295EEENS1_25partition_config_selectorILNS1_17partition_subalgoE3EjNS0_10empty_typeEbEEZZNS1_14partition_implILS8_3ELb0ES6_jNS0_17counting_iteratorIjlEEPS9_SE_NS0_5tupleIJPjSE_EEENSF_IJSE_SE_EEES9_SG_JZNS1_25segmented_radix_sort_implINS0_14default_configELb1EPK6__halfPSL_PKlPlN2at6native12_GLOBAL__N_18offset_tEEE10hipError_tPvRmT1_PNSt15iterator_traitsISZ_E10value_typeET2_T3_PNS10_IS15_E10value_typeET4_jRbjT5_S1B_jjP12ihipStream_tbEUljE_EEESW_SX_SY_S15_S19_S1B_T6_T7_T9_mT8_S1D_bDpT10_ENKUlT_T0_E_clISt17integral_constantIbLb0EES1Q_EEDaS1L_S1M_EUlS1L_E_NS1_11comp_targetILNS1_3genE2ELNS1_11target_archE906ELNS1_3gpuE6ELNS1_3repE0EEENS1_30default_config_static_selectorELNS0_4arch9wavefront6targetE0EEEvSZ_
		.amdhsa_group_segment_fixed_size 0
		.amdhsa_private_segment_fixed_size 0
		.amdhsa_kernarg_size 144
		.amdhsa_user_sgpr_count 6
		.amdhsa_user_sgpr_private_segment_buffer 1
		.amdhsa_user_sgpr_dispatch_ptr 0
		.amdhsa_user_sgpr_queue_ptr 0
		.amdhsa_user_sgpr_kernarg_segment_ptr 1
		.amdhsa_user_sgpr_dispatch_id 0
		.amdhsa_user_sgpr_flat_scratch_init 0
		.amdhsa_user_sgpr_private_segment_size 0
		.amdhsa_wavefront_size32 1
		.amdhsa_uses_dynamic_stack 0
		.amdhsa_system_sgpr_private_segment_wavefront_offset 0
		.amdhsa_system_sgpr_workgroup_id_x 1
		.amdhsa_system_sgpr_workgroup_id_y 0
		.amdhsa_system_sgpr_workgroup_id_z 0
		.amdhsa_system_sgpr_workgroup_info 0
		.amdhsa_system_vgpr_workitem_id 0
		.amdhsa_next_free_vgpr 1
		.amdhsa_next_free_sgpr 1
		.amdhsa_reserve_vcc 0
		.amdhsa_reserve_flat_scratch 0
		.amdhsa_float_round_mode_32 0
		.amdhsa_float_round_mode_16_64 0
		.amdhsa_float_denorm_mode_32 3
		.amdhsa_float_denorm_mode_16_64 3
		.amdhsa_dx10_clamp 1
		.amdhsa_ieee_mode 1
		.amdhsa_fp16_overflow 0
		.amdhsa_workgroup_processor_mode 1
		.amdhsa_memory_ordered 1
		.amdhsa_forward_progress 1
		.amdhsa_shared_vgpr_count 0
		.amdhsa_exception_fp_ieee_invalid_op 0
		.amdhsa_exception_fp_denorm_src 0
		.amdhsa_exception_fp_ieee_div_zero 0
		.amdhsa_exception_fp_ieee_overflow 0
		.amdhsa_exception_fp_ieee_underflow 0
		.amdhsa_exception_fp_ieee_inexact 0
		.amdhsa_exception_int_div_zero 0
	.end_amdhsa_kernel
	.section	.text._ZN7rocprim17ROCPRIM_400000_NS6detail17trampoline_kernelINS0_13select_configILj256ELj13ELNS0_17block_load_methodE3ELS4_3ELS4_3ELNS0_20block_scan_algorithmE0ELj4294967295EEENS1_25partition_config_selectorILNS1_17partition_subalgoE3EjNS0_10empty_typeEbEEZZNS1_14partition_implILS8_3ELb0ES6_jNS0_17counting_iteratorIjlEEPS9_SE_NS0_5tupleIJPjSE_EEENSF_IJSE_SE_EEES9_SG_JZNS1_25segmented_radix_sort_implINS0_14default_configELb1EPK6__halfPSL_PKlPlN2at6native12_GLOBAL__N_18offset_tEEE10hipError_tPvRmT1_PNSt15iterator_traitsISZ_E10value_typeET2_T3_PNS10_IS15_E10value_typeET4_jRbjT5_S1B_jjP12ihipStream_tbEUljE_EEESW_SX_SY_S15_S19_S1B_T6_T7_T9_mT8_S1D_bDpT10_ENKUlT_T0_E_clISt17integral_constantIbLb0EES1Q_EEDaS1L_S1M_EUlS1L_E_NS1_11comp_targetILNS1_3genE2ELNS1_11target_archE906ELNS1_3gpuE6ELNS1_3repE0EEENS1_30default_config_static_selectorELNS0_4arch9wavefront6targetE0EEEvSZ_,"axG",@progbits,_ZN7rocprim17ROCPRIM_400000_NS6detail17trampoline_kernelINS0_13select_configILj256ELj13ELNS0_17block_load_methodE3ELS4_3ELS4_3ELNS0_20block_scan_algorithmE0ELj4294967295EEENS1_25partition_config_selectorILNS1_17partition_subalgoE3EjNS0_10empty_typeEbEEZZNS1_14partition_implILS8_3ELb0ES6_jNS0_17counting_iteratorIjlEEPS9_SE_NS0_5tupleIJPjSE_EEENSF_IJSE_SE_EEES9_SG_JZNS1_25segmented_radix_sort_implINS0_14default_configELb1EPK6__halfPSL_PKlPlN2at6native12_GLOBAL__N_18offset_tEEE10hipError_tPvRmT1_PNSt15iterator_traitsISZ_E10value_typeET2_T3_PNS10_IS15_E10value_typeET4_jRbjT5_S1B_jjP12ihipStream_tbEUljE_EEESW_SX_SY_S15_S19_S1B_T6_T7_T9_mT8_S1D_bDpT10_ENKUlT_T0_E_clISt17integral_constantIbLb0EES1Q_EEDaS1L_S1M_EUlS1L_E_NS1_11comp_targetILNS1_3genE2ELNS1_11target_archE906ELNS1_3gpuE6ELNS1_3repE0EEENS1_30default_config_static_selectorELNS0_4arch9wavefront6targetE0EEEvSZ_,comdat
.Lfunc_end1701:
	.size	_ZN7rocprim17ROCPRIM_400000_NS6detail17trampoline_kernelINS0_13select_configILj256ELj13ELNS0_17block_load_methodE3ELS4_3ELS4_3ELNS0_20block_scan_algorithmE0ELj4294967295EEENS1_25partition_config_selectorILNS1_17partition_subalgoE3EjNS0_10empty_typeEbEEZZNS1_14partition_implILS8_3ELb0ES6_jNS0_17counting_iteratorIjlEEPS9_SE_NS0_5tupleIJPjSE_EEENSF_IJSE_SE_EEES9_SG_JZNS1_25segmented_radix_sort_implINS0_14default_configELb1EPK6__halfPSL_PKlPlN2at6native12_GLOBAL__N_18offset_tEEE10hipError_tPvRmT1_PNSt15iterator_traitsISZ_E10value_typeET2_T3_PNS10_IS15_E10value_typeET4_jRbjT5_S1B_jjP12ihipStream_tbEUljE_EEESW_SX_SY_S15_S19_S1B_T6_T7_T9_mT8_S1D_bDpT10_ENKUlT_T0_E_clISt17integral_constantIbLb0EES1Q_EEDaS1L_S1M_EUlS1L_E_NS1_11comp_targetILNS1_3genE2ELNS1_11target_archE906ELNS1_3gpuE6ELNS1_3repE0EEENS1_30default_config_static_selectorELNS0_4arch9wavefront6targetE0EEEvSZ_, .Lfunc_end1701-_ZN7rocprim17ROCPRIM_400000_NS6detail17trampoline_kernelINS0_13select_configILj256ELj13ELNS0_17block_load_methodE3ELS4_3ELS4_3ELNS0_20block_scan_algorithmE0ELj4294967295EEENS1_25partition_config_selectorILNS1_17partition_subalgoE3EjNS0_10empty_typeEbEEZZNS1_14partition_implILS8_3ELb0ES6_jNS0_17counting_iteratorIjlEEPS9_SE_NS0_5tupleIJPjSE_EEENSF_IJSE_SE_EEES9_SG_JZNS1_25segmented_radix_sort_implINS0_14default_configELb1EPK6__halfPSL_PKlPlN2at6native12_GLOBAL__N_18offset_tEEE10hipError_tPvRmT1_PNSt15iterator_traitsISZ_E10value_typeET2_T3_PNS10_IS15_E10value_typeET4_jRbjT5_S1B_jjP12ihipStream_tbEUljE_EEESW_SX_SY_S15_S19_S1B_T6_T7_T9_mT8_S1D_bDpT10_ENKUlT_T0_E_clISt17integral_constantIbLb0EES1Q_EEDaS1L_S1M_EUlS1L_E_NS1_11comp_targetILNS1_3genE2ELNS1_11target_archE906ELNS1_3gpuE6ELNS1_3repE0EEENS1_30default_config_static_selectorELNS0_4arch9wavefront6targetE0EEEvSZ_
                                        ; -- End function
	.set _ZN7rocprim17ROCPRIM_400000_NS6detail17trampoline_kernelINS0_13select_configILj256ELj13ELNS0_17block_load_methodE3ELS4_3ELS4_3ELNS0_20block_scan_algorithmE0ELj4294967295EEENS1_25partition_config_selectorILNS1_17partition_subalgoE3EjNS0_10empty_typeEbEEZZNS1_14partition_implILS8_3ELb0ES6_jNS0_17counting_iteratorIjlEEPS9_SE_NS0_5tupleIJPjSE_EEENSF_IJSE_SE_EEES9_SG_JZNS1_25segmented_radix_sort_implINS0_14default_configELb1EPK6__halfPSL_PKlPlN2at6native12_GLOBAL__N_18offset_tEEE10hipError_tPvRmT1_PNSt15iterator_traitsISZ_E10value_typeET2_T3_PNS10_IS15_E10value_typeET4_jRbjT5_S1B_jjP12ihipStream_tbEUljE_EEESW_SX_SY_S15_S19_S1B_T6_T7_T9_mT8_S1D_bDpT10_ENKUlT_T0_E_clISt17integral_constantIbLb0EES1Q_EEDaS1L_S1M_EUlS1L_E_NS1_11comp_targetILNS1_3genE2ELNS1_11target_archE906ELNS1_3gpuE6ELNS1_3repE0EEENS1_30default_config_static_selectorELNS0_4arch9wavefront6targetE0EEEvSZ_.num_vgpr, 0
	.set _ZN7rocprim17ROCPRIM_400000_NS6detail17trampoline_kernelINS0_13select_configILj256ELj13ELNS0_17block_load_methodE3ELS4_3ELS4_3ELNS0_20block_scan_algorithmE0ELj4294967295EEENS1_25partition_config_selectorILNS1_17partition_subalgoE3EjNS0_10empty_typeEbEEZZNS1_14partition_implILS8_3ELb0ES6_jNS0_17counting_iteratorIjlEEPS9_SE_NS0_5tupleIJPjSE_EEENSF_IJSE_SE_EEES9_SG_JZNS1_25segmented_radix_sort_implINS0_14default_configELb1EPK6__halfPSL_PKlPlN2at6native12_GLOBAL__N_18offset_tEEE10hipError_tPvRmT1_PNSt15iterator_traitsISZ_E10value_typeET2_T3_PNS10_IS15_E10value_typeET4_jRbjT5_S1B_jjP12ihipStream_tbEUljE_EEESW_SX_SY_S15_S19_S1B_T6_T7_T9_mT8_S1D_bDpT10_ENKUlT_T0_E_clISt17integral_constantIbLb0EES1Q_EEDaS1L_S1M_EUlS1L_E_NS1_11comp_targetILNS1_3genE2ELNS1_11target_archE906ELNS1_3gpuE6ELNS1_3repE0EEENS1_30default_config_static_selectorELNS0_4arch9wavefront6targetE0EEEvSZ_.num_agpr, 0
	.set _ZN7rocprim17ROCPRIM_400000_NS6detail17trampoline_kernelINS0_13select_configILj256ELj13ELNS0_17block_load_methodE3ELS4_3ELS4_3ELNS0_20block_scan_algorithmE0ELj4294967295EEENS1_25partition_config_selectorILNS1_17partition_subalgoE3EjNS0_10empty_typeEbEEZZNS1_14partition_implILS8_3ELb0ES6_jNS0_17counting_iteratorIjlEEPS9_SE_NS0_5tupleIJPjSE_EEENSF_IJSE_SE_EEES9_SG_JZNS1_25segmented_radix_sort_implINS0_14default_configELb1EPK6__halfPSL_PKlPlN2at6native12_GLOBAL__N_18offset_tEEE10hipError_tPvRmT1_PNSt15iterator_traitsISZ_E10value_typeET2_T3_PNS10_IS15_E10value_typeET4_jRbjT5_S1B_jjP12ihipStream_tbEUljE_EEESW_SX_SY_S15_S19_S1B_T6_T7_T9_mT8_S1D_bDpT10_ENKUlT_T0_E_clISt17integral_constantIbLb0EES1Q_EEDaS1L_S1M_EUlS1L_E_NS1_11comp_targetILNS1_3genE2ELNS1_11target_archE906ELNS1_3gpuE6ELNS1_3repE0EEENS1_30default_config_static_selectorELNS0_4arch9wavefront6targetE0EEEvSZ_.numbered_sgpr, 0
	.set _ZN7rocprim17ROCPRIM_400000_NS6detail17trampoline_kernelINS0_13select_configILj256ELj13ELNS0_17block_load_methodE3ELS4_3ELS4_3ELNS0_20block_scan_algorithmE0ELj4294967295EEENS1_25partition_config_selectorILNS1_17partition_subalgoE3EjNS0_10empty_typeEbEEZZNS1_14partition_implILS8_3ELb0ES6_jNS0_17counting_iteratorIjlEEPS9_SE_NS0_5tupleIJPjSE_EEENSF_IJSE_SE_EEES9_SG_JZNS1_25segmented_radix_sort_implINS0_14default_configELb1EPK6__halfPSL_PKlPlN2at6native12_GLOBAL__N_18offset_tEEE10hipError_tPvRmT1_PNSt15iterator_traitsISZ_E10value_typeET2_T3_PNS10_IS15_E10value_typeET4_jRbjT5_S1B_jjP12ihipStream_tbEUljE_EEESW_SX_SY_S15_S19_S1B_T6_T7_T9_mT8_S1D_bDpT10_ENKUlT_T0_E_clISt17integral_constantIbLb0EES1Q_EEDaS1L_S1M_EUlS1L_E_NS1_11comp_targetILNS1_3genE2ELNS1_11target_archE906ELNS1_3gpuE6ELNS1_3repE0EEENS1_30default_config_static_selectorELNS0_4arch9wavefront6targetE0EEEvSZ_.num_named_barrier, 0
	.set _ZN7rocprim17ROCPRIM_400000_NS6detail17trampoline_kernelINS0_13select_configILj256ELj13ELNS0_17block_load_methodE3ELS4_3ELS4_3ELNS0_20block_scan_algorithmE0ELj4294967295EEENS1_25partition_config_selectorILNS1_17partition_subalgoE3EjNS0_10empty_typeEbEEZZNS1_14partition_implILS8_3ELb0ES6_jNS0_17counting_iteratorIjlEEPS9_SE_NS0_5tupleIJPjSE_EEENSF_IJSE_SE_EEES9_SG_JZNS1_25segmented_radix_sort_implINS0_14default_configELb1EPK6__halfPSL_PKlPlN2at6native12_GLOBAL__N_18offset_tEEE10hipError_tPvRmT1_PNSt15iterator_traitsISZ_E10value_typeET2_T3_PNS10_IS15_E10value_typeET4_jRbjT5_S1B_jjP12ihipStream_tbEUljE_EEESW_SX_SY_S15_S19_S1B_T6_T7_T9_mT8_S1D_bDpT10_ENKUlT_T0_E_clISt17integral_constantIbLb0EES1Q_EEDaS1L_S1M_EUlS1L_E_NS1_11comp_targetILNS1_3genE2ELNS1_11target_archE906ELNS1_3gpuE6ELNS1_3repE0EEENS1_30default_config_static_selectorELNS0_4arch9wavefront6targetE0EEEvSZ_.private_seg_size, 0
	.set _ZN7rocprim17ROCPRIM_400000_NS6detail17trampoline_kernelINS0_13select_configILj256ELj13ELNS0_17block_load_methodE3ELS4_3ELS4_3ELNS0_20block_scan_algorithmE0ELj4294967295EEENS1_25partition_config_selectorILNS1_17partition_subalgoE3EjNS0_10empty_typeEbEEZZNS1_14partition_implILS8_3ELb0ES6_jNS0_17counting_iteratorIjlEEPS9_SE_NS0_5tupleIJPjSE_EEENSF_IJSE_SE_EEES9_SG_JZNS1_25segmented_radix_sort_implINS0_14default_configELb1EPK6__halfPSL_PKlPlN2at6native12_GLOBAL__N_18offset_tEEE10hipError_tPvRmT1_PNSt15iterator_traitsISZ_E10value_typeET2_T3_PNS10_IS15_E10value_typeET4_jRbjT5_S1B_jjP12ihipStream_tbEUljE_EEESW_SX_SY_S15_S19_S1B_T6_T7_T9_mT8_S1D_bDpT10_ENKUlT_T0_E_clISt17integral_constantIbLb0EES1Q_EEDaS1L_S1M_EUlS1L_E_NS1_11comp_targetILNS1_3genE2ELNS1_11target_archE906ELNS1_3gpuE6ELNS1_3repE0EEENS1_30default_config_static_selectorELNS0_4arch9wavefront6targetE0EEEvSZ_.uses_vcc, 0
	.set _ZN7rocprim17ROCPRIM_400000_NS6detail17trampoline_kernelINS0_13select_configILj256ELj13ELNS0_17block_load_methodE3ELS4_3ELS4_3ELNS0_20block_scan_algorithmE0ELj4294967295EEENS1_25partition_config_selectorILNS1_17partition_subalgoE3EjNS0_10empty_typeEbEEZZNS1_14partition_implILS8_3ELb0ES6_jNS0_17counting_iteratorIjlEEPS9_SE_NS0_5tupleIJPjSE_EEENSF_IJSE_SE_EEES9_SG_JZNS1_25segmented_radix_sort_implINS0_14default_configELb1EPK6__halfPSL_PKlPlN2at6native12_GLOBAL__N_18offset_tEEE10hipError_tPvRmT1_PNSt15iterator_traitsISZ_E10value_typeET2_T3_PNS10_IS15_E10value_typeET4_jRbjT5_S1B_jjP12ihipStream_tbEUljE_EEESW_SX_SY_S15_S19_S1B_T6_T7_T9_mT8_S1D_bDpT10_ENKUlT_T0_E_clISt17integral_constantIbLb0EES1Q_EEDaS1L_S1M_EUlS1L_E_NS1_11comp_targetILNS1_3genE2ELNS1_11target_archE906ELNS1_3gpuE6ELNS1_3repE0EEENS1_30default_config_static_selectorELNS0_4arch9wavefront6targetE0EEEvSZ_.uses_flat_scratch, 0
	.set _ZN7rocprim17ROCPRIM_400000_NS6detail17trampoline_kernelINS0_13select_configILj256ELj13ELNS0_17block_load_methodE3ELS4_3ELS4_3ELNS0_20block_scan_algorithmE0ELj4294967295EEENS1_25partition_config_selectorILNS1_17partition_subalgoE3EjNS0_10empty_typeEbEEZZNS1_14partition_implILS8_3ELb0ES6_jNS0_17counting_iteratorIjlEEPS9_SE_NS0_5tupleIJPjSE_EEENSF_IJSE_SE_EEES9_SG_JZNS1_25segmented_radix_sort_implINS0_14default_configELb1EPK6__halfPSL_PKlPlN2at6native12_GLOBAL__N_18offset_tEEE10hipError_tPvRmT1_PNSt15iterator_traitsISZ_E10value_typeET2_T3_PNS10_IS15_E10value_typeET4_jRbjT5_S1B_jjP12ihipStream_tbEUljE_EEESW_SX_SY_S15_S19_S1B_T6_T7_T9_mT8_S1D_bDpT10_ENKUlT_T0_E_clISt17integral_constantIbLb0EES1Q_EEDaS1L_S1M_EUlS1L_E_NS1_11comp_targetILNS1_3genE2ELNS1_11target_archE906ELNS1_3gpuE6ELNS1_3repE0EEENS1_30default_config_static_selectorELNS0_4arch9wavefront6targetE0EEEvSZ_.has_dyn_sized_stack, 0
	.set _ZN7rocprim17ROCPRIM_400000_NS6detail17trampoline_kernelINS0_13select_configILj256ELj13ELNS0_17block_load_methodE3ELS4_3ELS4_3ELNS0_20block_scan_algorithmE0ELj4294967295EEENS1_25partition_config_selectorILNS1_17partition_subalgoE3EjNS0_10empty_typeEbEEZZNS1_14partition_implILS8_3ELb0ES6_jNS0_17counting_iteratorIjlEEPS9_SE_NS0_5tupleIJPjSE_EEENSF_IJSE_SE_EEES9_SG_JZNS1_25segmented_radix_sort_implINS0_14default_configELb1EPK6__halfPSL_PKlPlN2at6native12_GLOBAL__N_18offset_tEEE10hipError_tPvRmT1_PNSt15iterator_traitsISZ_E10value_typeET2_T3_PNS10_IS15_E10value_typeET4_jRbjT5_S1B_jjP12ihipStream_tbEUljE_EEESW_SX_SY_S15_S19_S1B_T6_T7_T9_mT8_S1D_bDpT10_ENKUlT_T0_E_clISt17integral_constantIbLb0EES1Q_EEDaS1L_S1M_EUlS1L_E_NS1_11comp_targetILNS1_3genE2ELNS1_11target_archE906ELNS1_3gpuE6ELNS1_3repE0EEENS1_30default_config_static_selectorELNS0_4arch9wavefront6targetE0EEEvSZ_.has_recursion, 0
	.set _ZN7rocprim17ROCPRIM_400000_NS6detail17trampoline_kernelINS0_13select_configILj256ELj13ELNS0_17block_load_methodE3ELS4_3ELS4_3ELNS0_20block_scan_algorithmE0ELj4294967295EEENS1_25partition_config_selectorILNS1_17partition_subalgoE3EjNS0_10empty_typeEbEEZZNS1_14partition_implILS8_3ELb0ES6_jNS0_17counting_iteratorIjlEEPS9_SE_NS0_5tupleIJPjSE_EEENSF_IJSE_SE_EEES9_SG_JZNS1_25segmented_radix_sort_implINS0_14default_configELb1EPK6__halfPSL_PKlPlN2at6native12_GLOBAL__N_18offset_tEEE10hipError_tPvRmT1_PNSt15iterator_traitsISZ_E10value_typeET2_T3_PNS10_IS15_E10value_typeET4_jRbjT5_S1B_jjP12ihipStream_tbEUljE_EEESW_SX_SY_S15_S19_S1B_T6_T7_T9_mT8_S1D_bDpT10_ENKUlT_T0_E_clISt17integral_constantIbLb0EES1Q_EEDaS1L_S1M_EUlS1L_E_NS1_11comp_targetILNS1_3genE2ELNS1_11target_archE906ELNS1_3gpuE6ELNS1_3repE0EEENS1_30default_config_static_selectorELNS0_4arch9wavefront6targetE0EEEvSZ_.has_indirect_call, 0
	.section	.AMDGPU.csdata,"",@progbits
; Kernel info:
; codeLenInByte = 0
; TotalNumSgprs: 0
; NumVgprs: 0
; ScratchSize: 0
; MemoryBound: 0
; FloatMode: 240
; IeeeMode: 1
; LDSByteSize: 0 bytes/workgroup (compile time only)
; SGPRBlocks: 0
; VGPRBlocks: 0
; NumSGPRsForWavesPerEU: 1
; NumVGPRsForWavesPerEU: 1
; Occupancy: 16
; WaveLimiterHint : 0
; COMPUTE_PGM_RSRC2:SCRATCH_EN: 0
; COMPUTE_PGM_RSRC2:USER_SGPR: 6
; COMPUTE_PGM_RSRC2:TRAP_HANDLER: 0
; COMPUTE_PGM_RSRC2:TGID_X_EN: 1
; COMPUTE_PGM_RSRC2:TGID_Y_EN: 0
; COMPUTE_PGM_RSRC2:TGID_Z_EN: 0
; COMPUTE_PGM_RSRC2:TIDIG_COMP_CNT: 0
	.section	.text._ZN7rocprim17ROCPRIM_400000_NS6detail17trampoline_kernelINS0_13select_configILj256ELj13ELNS0_17block_load_methodE3ELS4_3ELS4_3ELNS0_20block_scan_algorithmE0ELj4294967295EEENS1_25partition_config_selectorILNS1_17partition_subalgoE3EjNS0_10empty_typeEbEEZZNS1_14partition_implILS8_3ELb0ES6_jNS0_17counting_iteratorIjlEEPS9_SE_NS0_5tupleIJPjSE_EEENSF_IJSE_SE_EEES9_SG_JZNS1_25segmented_radix_sort_implINS0_14default_configELb1EPK6__halfPSL_PKlPlN2at6native12_GLOBAL__N_18offset_tEEE10hipError_tPvRmT1_PNSt15iterator_traitsISZ_E10value_typeET2_T3_PNS10_IS15_E10value_typeET4_jRbjT5_S1B_jjP12ihipStream_tbEUljE_EEESW_SX_SY_S15_S19_S1B_T6_T7_T9_mT8_S1D_bDpT10_ENKUlT_T0_E_clISt17integral_constantIbLb0EES1Q_EEDaS1L_S1M_EUlS1L_E_NS1_11comp_targetILNS1_3genE10ELNS1_11target_archE1200ELNS1_3gpuE4ELNS1_3repE0EEENS1_30default_config_static_selectorELNS0_4arch9wavefront6targetE0EEEvSZ_,"axG",@progbits,_ZN7rocprim17ROCPRIM_400000_NS6detail17trampoline_kernelINS0_13select_configILj256ELj13ELNS0_17block_load_methodE3ELS4_3ELS4_3ELNS0_20block_scan_algorithmE0ELj4294967295EEENS1_25partition_config_selectorILNS1_17partition_subalgoE3EjNS0_10empty_typeEbEEZZNS1_14partition_implILS8_3ELb0ES6_jNS0_17counting_iteratorIjlEEPS9_SE_NS0_5tupleIJPjSE_EEENSF_IJSE_SE_EEES9_SG_JZNS1_25segmented_radix_sort_implINS0_14default_configELb1EPK6__halfPSL_PKlPlN2at6native12_GLOBAL__N_18offset_tEEE10hipError_tPvRmT1_PNSt15iterator_traitsISZ_E10value_typeET2_T3_PNS10_IS15_E10value_typeET4_jRbjT5_S1B_jjP12ihipStream_tbEUljE_EEESW_SX_SY_S15_S19_S1B_T6_T7_T9_mT8_S1D_bDpT10_ENKUlT_T0_E_clISt17integral_constantIbLb0EES1Q_EEDaS1L_S1M_EUlS1L_E_NS1_11comp_targetILNS1_3genE10ELNS1_11target_archE1200ELNS1_3gpuE4ELNS1_3repE0EEENS1_30default_config_static_selectorELNS0_4arch9wavefront6targetE0EEEvSZ_,comdat
	.globl	_ZN7rocprim17ROCPRIM_400000_NS6detail17trampoline_kernelINS0_13select_configILj256ELj13ELNS0_17block_load_methodE3ELS4_3ELS4_3ELNS0_20block_scan_algorithmE0ELj4294967295EEENS1_25partition_config_selectorILNS1_17partition_subalgoE3EjNS0_10empty_typeEbEEZZNS1_14partition_implILS8_3ELb0ES6_jNS0_17counting_iteratorIjlEEPS9_SE_NS0_5tupleIJPjSE_EEENSF_IJSE_SE_EEES9_SG_JZNS1_25segmented_radix_sort_implINS0_14default_configELb1EPK6__halfPSL_PKlPlN2at6native12_GLOBAL__N_18offset_tEEE10hipError_tPvRmT1_PNSt15iterator_traitsISZ_E10value_typeET2_T3_PNS10_IS15_E10value_typeET4_jRbjT5_S1B_jjP12ihipStream_tbEUljE_EEESW_SX_SY_S15_S19_S1B_T6_T7_T9_mT8_S1D_bDpT10_ENKUlT_T0_E_clISt17integral_constantIbLb0EES1Q_EEDaS1L_S1M_EUlS1L_E_NS1_11comp_targetILNS1_3genE10ELNS1_11target_archE1200ELNS1_3gpuE4ELNS1_3repE0EEENS1_30default_config_static_selectorELNS0_4arch9wavefront6targetE0EEEvSZ_ ; -- Begin function _ZN7rocprim17ROCPRIM_400000_NS6detail17trampoline_kernelINS0_13select_configILj256ELj13ELNS0_17block_load_methodE3ELS4_3ELS4_3ELNS0_20block_scan_algorithmE0ELj4294967295EEENS1_25partition_config_selectorILNS1_17partition_subalgoE3EjNS0_10empty_typeEbEEZZNS1_14partition_implILS8_3ELb0ES6_jNS0_17counting_iteratorIjlEEPS9_SE_NS0_5tupleIJPjSE_EEENSF_IJSE_SE_EEES9_SG_JZNS1_25segmented_radix_sort_implINS0_14default_configELb1EPK6__halfPSL_PKlPlN2at6native12_GLOBAL__N_18offset_tEEE10hipError_tPvRmT1_PNSt15iterator_traitsISZ_E10value_typeET2_T3_PNS10_IS15_E10value_typeET4_jRbjT5_S1B_jjP12ihipStream_tbEUljE_EEESW_SX_SY_S15_S19_S1B_T6_T7_T9_mT8_S1D_bDpT10_ENKUlT_T0_E_clISt17integral_constantIbLb0EES1Q_EEDaS1L_S1M_EUlS1L_E_NS1_11comp_targetILNS1_3genE10ELNS1_11target_archE1200ELNS1_3gpuE4ELNS1_3repE0EEENS1_30default_config_static_selectorELNS0_4arch9wavefront6targetE0EEEvSZ_
	.p2align	8
	.type	_ZN7rocprim17ROCPRIM_400000_NS6detail17trampoline_kernelINS0_13select_configILj256ELj13ELNS0_17block_load_methodE3ELS4_3ELS4_3ELNS0_20block_scan_algorithmE0ELj4294967295EEENS1_25partition_config_selectorILNS1_17partition_subalgoE3EjNS0_10empty_typeEbEEZZNS1_14partition_implILS8_3ELb0ES6_jNS0_17counting_iteratorIjlEEPS9_SE_NS0_5tupleIJPjSE_EEENSF_IJSE_SE_EEES9_SG_JZNS1_25segmented_radix_sort_implINS0_14default_configELb1EPK6__halfPSL_PKlPlN2at6native12_GLOBAL__N_18offset_tEEE10hipError_tPvRmT1_PNSt15iterator_traitsISZ_E10value_typeET2_T3_PNS10_IS15_E10value_typeET4_jRbjT5_S1B_jjP12ihipStream_tbEUljE_EEESW_SX_SY_S15_S19_S1B_T6_T7_T9_mT8_S1D_bDpT10_ENKUlT_T0_E_clISt17integral_constantIbLb0EES1Q_EEDaS1L_S1M_EUlS1L_E_NS1_11comp_targetILNS1_3genE10ELNS1_11target_archE1200ELNS1_3gpuE4ELNS1_3repE0EEENS1_30default_config_static_selectorELNS0_4arch9wavefront6targetE0EEEvSZ_,@function
_ZN7rocprim17ROCPRIM_400000_NS6detail17trampoline_kernelINS0_13select_configILj256ELj13ELNS0_17block_load_methodE3ELS4_3ELS4_3ELNS0_20block_scan_algorithmE0ELj4294967295EEENS1_25partition_config_selectorILNS1_17partition_subalgoE3EjNS0_10empty_typeEbEEZZNS1_14partition_implILS8_3ELb0ES6_jNS0_17counting_iteratorIjlEEPS9_SE_NS0_5tupleIJPjSE_EEENSF_IJSE_SE_EEES9_SG_JZNS1_25segmented_radix_sort_implINS0_14default_configELb1EPK6__halfPSL_PKlPlN2at6native12_GLOBAL__N_18offset_tEEE10hipError_tPvRmT1_PNSt15iterator_traitsISZ_E10value_typeET2_T3_PNS10_IS15_E10value_typeET4_jRbjT5_S1B_jjP12ihipStream_tbEUljE_EEESW_SX_SY_S15_S19_S1B_T6_T7_T9_mT8_S1D_bDpT10_ENKUlT_T0_E_clISt17integral_constantIbLb0EES1Q_EEDaS1L_S1M_EUlS1L_E_NS1_11comp_targetILNS1_3genE10ELNS1_11target_archE1200ELNS1_3gpuE4ELNS1_3repE0EEENS1_30default_config_static_selectorELNS0_4arch9wavefront6targetE0EEEvSZ_: ; @_ZN7rocprim17ROCPRIM_400000_NS6detail17trampoline_kernelINS0_13select_configILj256ELj13ELNS0_17block_load_methodE3ELS4_3ELS4_3ELNS0_20block_scan_algorithmE0ELj4294967295EEENS1_25partition_config_selectorILNS1_17partition_subalgoE3EjNS0_10empty_typeEbEEZZNS1_14partition_implILS8_3ELb0ES6_jNS0_17counting_iteratorIjlEEPS9_SE_NS0_5tupleIJPjSE_EEENSF_IJSE_SE_EEES9_SG_JZNS1_25segmented_radix_sort_implINS0_14default_configELb1EPK6__halfPSL_PKlPlN2at6native12_GLOBAL__N_18offset_tEEE10hipError_tPvRmT1_PNSt15iterator_traitsISZ_E10value_typeET2_T3_PNS10_IS15_E10value_typeET4_jRbjT5_S1B_jjP12ihipStream_tbEUljE_EEESW_SX_SY_S15_S19_S1B_T6_T7_T9_mT8_S1D_bDpT10_ENKUlT_T0_E_clISt17integral_constantIbLb0EES1Q_EEDaS1L_S1M_EUlS1L_E_NS1_11comp_targetILNS1_3genE10ELNS1_11target_archE1200ELNS1_3gpuE4ELNS1_3repE0EEENS1_30default_config_static_selectorELNS0_4arch9wavefront6targetE0EEEvSZ_
; %bb.0:
	.section	.rodata,"a",@progbits
	.p2align	6, 0x0
	.amdhsa_kernel _ZN7rocprim17ROCPRIM_400000_NS6detail17trampoline_kernelINS0_13select_configILj256ELj13ELNS0_17block_load_methodE3ELS4_3ELS4_3ELNS0_20block_scan_algorithmE0ELj4294967295EEENS1_25partition_config_selectorILNS1_17partition_subalgoE3EjNS0_10empty_typeEbEEZZNS1_14partition_implILS8_3ELb0ES6_jNS0_17counting_iteratorIjlEEPS9_SE_NS0_5tupleIJPjSE_EEENSF_IJSE_SE_EEES9_SG_JZNS1_25segmented_radix_sort_implINS0_14default_configELb1EPK6__halfPSL_PKlPlN2at6native12_GLOBAL__N_18offset_tEEE10hipError_tPvRmT1_PNSt15iterator_traitsISZ_E10value_typeET2_T3_PNS10_IS15_E10value_typeET4_jRbjT5_S1B_jjP12ihipStream_tbEUljE_EEESW_SX_SY_S15_S19_S1B_T6_T7_T9_mT8_S1D_bDpT10_ENKUlT_T0_E_clISt17integral_constantIbLb0EES1Q_EEDaS1L_S1M_EUlS1L_E_NS1_11comp_targetILNS1_3genE10ELNS1_11target_archE1200ELNS1_3gpuE4ELNS1_3repE0EEENS1_30default_config_static_selectorELNS0_4arch9wavefront6targetE0EEEvSZ_
		.amdhsa_group_segment_fixed_size 0
		.amdhsa_private_segment_fixed_size 0
		.amdhsa_kernarg_size 144
		.amdhsa_user_sgpr_count 6
		.amdhsa_user_sgpr_private_segment_buffer 1
		.amdhsa_user_sgpr_dispatch_ptr 0
		.amdhsa_user_sgpr_queue_ptr 0
		.amdhsa_user_sgpr_kernarg_segment_ptr 1
		.amdhsa_user_sgpr_dispatch_id 0
		.amdhsa_user_sgpr_flat_scratch_init 0
		.amdhsa_user_sgpr_private_segment_size 0
		.amdhsa_wavefront_size32 1
		.amdhsa_uses_dynamic_stack 0
		.amdhsa_system_sgpr_private_segment_wavefront_offset 0
		.amdhsa_system_sgpr_workgroup_id_x 1
		.amdhsa_system_sgpr_workgroup_id_y 0
		.amdhsa_system_sgpr_workgroup_id_z 0
		.amdhsa_system_sgpr_workgroup_info 0
		.amdhsa_system_vgpr_workitem_id 0
		.amdhsa_next_free_vgpr 1
		.amdhsa_next_free_sgpr 1
		.amdhsa_reserve_vcc 0
		.amdhsa_reserve_flat_scratch 0
		.amdhsa_float_round_mode_32 0
		.amdhsa_float_round_mode_16_64 0
		.amdhsa_float_denorm_mode_32 3
		.amdhsa_float_denorm_mode_16_64 3
		.amdhsa_dx10_clamp 1
		.amdhsa_ieee_mode 1
		.amdhsa_fp16_overflow 0
		.amdhsa_workgroup_processor_mode 1
		.amdhsa_memory_ordered 1
		.amdhsa_forward_progress 1
		.amdhsa_shared_vgpr_count 0
		.amdhsa_exception_fp_ieee_invalid_op 0
		.amdhsa_exception_fp_denorm_src 0
		.amdhsa_exception_fp_ieee_div_zero 0
		.amdhsa_exception_fp_ieee_overflow 0
		.amdhsa_exception_fp_ieee_underflow 0
		.amdhsa_exception_fp_ieee_inexact 0
		.amdhsa_exception_int_div_zero 0
	.end_amdhsa_kernel
	.section	.text._ZN7rocprim17ROCPRIM_400000_NS6detail17trampoline_kernelINS0_13select_configILj256ELj13ELNS0_17block_load_methodE3ELS4_3ELS4_3ELNS0_20block_scan_algorithmE0ELj4294967295EEENS1_25partition_config_selectorILNS1_17partition_subalgoE3EjNS0_10empty_typeEbEEZZNS1_14partition_implILS8_3ELb0ES6_jNS0_17counting_iteratorIjlEEPS9_SE_NS0_5tupleIJPjSE_EEENSF_IJSE_SE_EEES9_SG_JZNS1_25segmented_radix_sort_implINS0_14default_configELb1EPK6__halfPSL_PKlPlN2at6native12_GLOBAL__N_18offset_tEEE10hipError_tPvRmT1_PNSt15iterator_traitsISZ_E10value_typeET2_T3_PNS10_IS15_E10value_typeET4_jRbjT5_S1B_jjP12ihipStream_tbEUljE_EEESW_SX_SY_S15_S19_S1B_T6_T7_T9_mT8_S1D_bDpT10_ENKUlT_T0_E_clISt17integral_constantIbLb0EES1Q_EEDaS1L_S1M_EUlS1L_E_NS1_11comp_targetILNS1_3genE10ELNS1_11target_archE1200ELNS1_3gpuE4ELNS1_3repE0EEENS1_30default_config_static_selectorELNS0_4arch9wavefront6targetE0EEEvSZ_,"axG",@progbits,_ZN7rocprim17ROCPRIM_400000_NS6detail17trampoline_kernelINS0_13select_configILj256ELj13ELNS0_17block_load_methodE3ELS4_3ELS4_3ELNS0_20block_scan_algorithmE0ELj4294967295EEENS1_25partition_config_selectorILNS1_17partition_subalgoE3EjNS0_10empty_typeEbEEZZNS1_14partition_implILS8_3ELb0ES6_jNS0_17counting_iteratorIjlEEPS9_SE_NS0_5tupleIJPjSE_EEENSF_IJSE_SE_EEES9_SG_JZNS1_25segmented_radix_sort_implINS0_14default_configELb1EPK6__halfPSL_PKlPlN2at6native12_GLOBAL__N_18offset_tEEE10hipError_tPvRmT1_PNSt15iterator_traitsISZ_E10value_typeET2_T3_PNS10_IS15_E10value_typeET4_jRbjT5_S1B_jjP12ihipStream_tbEUljE_EEESW_SX_SY_S15_S19_S1B_T6_T7_T9_mT8_S1D_bDpT10_ENKUlT_T0_E_clISt17integral_constantIbLb0EES1Q_EEDaS1L_S1M_EUlS1L_E_NS1_11comp_targetILNS1_3genE10ELNS1_11target_archE1200ELNS1_3gpuE4ELNS1_3repE0EEENS1_30default_config_static_selectorELNS0_4arch9wavefront6targetE0EEEvSZ_,comdat
.Lfunc_end1702:
	.size	_ZN7rocprim17ROCPRIM_400000_NS6detail17trampoline_kernelINS0_13select_configILj256ELj13ELNS0_17block_load_methodE3ELS4_3ELS4_3ELNS0_20block_scan_algorithmE0ELj4294967295EEENS1_25partition_config_selectorILNS1_17partition_subalgoE3EjNS0_10empty_typeEbEEZZNS1_14partition_implILS8_3ELb0ES6_jNS0_17counting_iteratorIjlEEPS9_SE_NS0_5tupleIJPjSE_EEENSF_IJSE_SE_EEES9_SG_JZNS1_25segmented_radix_sort_implINS0_14default_configELb1EPK6__halfPSL_PKlPlN2at6native12_GLOBAL__N_18offset_tEEE10hipError_tPvRmT1_PNSt15iterator_traitsISZ_E10value_typeET2_T3_PNS10_IS15_E10value_typeET4_jRbjT5_S1B_jjP12ihipStream_tbEUljE_EEESW_SX_SY_S15_S19_S1B_T6_T7_T9_mT8_S1D_bDpT10_ENKUlT_T0_E_clISt17integral_constantIbLb0EES1Q_EEDaS1L_S1M_EUlS1L_E_NS1_11comp_targetILNS1_3genE10ELNS1_11target_archE1200ELNS1_3gpuE4ELNS1_3repE0EEENS1_30default_config_static_selectorELNS0_4arch9wavefront6targetE0EEEvSZ_, .Lfunc_end1702-_ZN7rocprim17ROCPRIM_400000_NS6detail17trampoline_kernelINS0_13select_configILj256ELj13ELNS0_17block_load_methodE3ELS4_3ELS4_3ELNS0_20block_scan_algorithmE0ELj4294967295EEENS1_25partition_config_selectorILNS1_17partition_subalgoE3EjNS0_10empty_typeEbEEZZNS1_14partition_implILS8_3ELb0ES6_jNS0_17counting_iteratorIjlEEPS9_SE_NS0_5tupleIJPjSE_EEENSF_IJSE_SE_EEES9_SG_JZNS1_25segmented_radix_sort_implINS0_14default_configELb1EPK6__halfPSL_PKlPlN2at6native12_GLOBAL__N_18offset_tEEE10hipError_tPvRmT1_PNSt15iterator_traitsISZ_E10value_typeET2_T3_PNS10_IS15_E10value_typeET4_jRbjT5_S1B_jjP12ihipStream_tbEUljE_EEESW_SX_SY_S15_S19_S1B_T6_T7_T9_mT8_S1D_bDpT10_ENKUlT_T0_E_clISt17integral_constantIbLb0EES1Q_EEDaS1L_S1M_EUlS1L_E_NS1_11comp_targetILNS1_3genE10ELNS1_11target_archE1200ELNS1_3gpuE4ELNS1_3repE0EEENS1_30default_config_static_selectorELNS0_4arch9wavefront6targetE0EEEvSZ_
                                        ; -- End function
	.set _ZN7rocprim17ROCPRIM_400000_NS6detail17trampoline_kernelINS0_13select_configILj256ELj13ELNS0_17block_load_methodE3ELS4_3ELS4_3ELNS0_20block_scan_algorithmE0ELj4294967295EEENS1_25partition_config_selectorILNS1_17partition_subalgoE3EjNS0_10empty_typeEbEEZZNS1_14partition_implILS8_3ELb0ES6_jNS0_17counting_iteratorIjlEEPS9_SE_NS0_5tupleIJPjSE_EEENSF_IJSE_SE_EEES9_SG_JZNS1_25segmented_radix_sort_implINS0_14default_configELb1EPK6__halfPSL_PKlPlN2at6native12_GLOBAL__N_18offset_tEEE10hipError_tPvRmT1_PNSt15iterator_traitsISZ_E10value_typeET2_T3_PNS10_IS15_E10value_typeET4_jRbjT5_S1B_jjP12ihipStream_tbEUljE_EEESW_SX_SY_S15_S19_S1B_T6_T7_T9_mT8_S1D_bDpT10_ENKUlT_T0_E_clISt17integral_constantIbLb0EES1Q_EEDaS1L_S1M_EUlS1L_E_NS1_11comp_targetILNS1_3genE10ELNS1_11target_archE1200ELNS1_3gpuE4ELNS1_3repE0EEENS1_30default_config_static_selectorELNS0_4arch9wavefront6targetE0EEEvSZ_.num_vgpr, 0
	.set _ZN7rocprim17ROCPRIM_400000_NS6detail17trampoline_kernelINS0_13select_configILj256ELj13ELNS0_17block_load_methodE3ELS4_3ELS4_3ELNS0_20block_scan_algorithmE0ELj4294967295EEENS1_25partition_config_selectorILNS1_17partition_subalgoE3EjNS0_10empty_typeEbEEZZNS1_14partition_implILS8_3ELb0ES6_jNS0_17counting_iteratorIjlEEPS9_SE_NS0_5tupleIJPjSE_EEENSF_IJSE_SE_EEES9_SG_JZNS1_25segmented_radix_sort_implINS0_14default_configELb1EPK6__halfPSL_PKlPlN2at6native12_GLOBAL__N_18offset_tEEE10hipError_tPvRmT1_PNSt15iterator_traitsISZ_E10value_typeET2_T3_PNS10_IS15_E10value_typeET4_jRbjT5_S1B_jjP12ihipStream_tbEUljE_EEESW_SX_SY_S15_S19_S1B_T6_T7_T9_mT8_S1D_bDpT10_ENKUlT_T0_E_clISt17integral_constantIbLb0EES1Q_EEDaS1L_S1M_EUlS1L_E_NS1_11comp_targetILNS1_3genE10ELNS1_11target_archE1200ELNS1_3gpuE4ELNS1_3repE0EEENS1_30default_config_static_selectorELNS0_4arch9wavefront6targetE0EEEvSZ_.num_agpr, 0
	.set _ZN7rocprim17ROCPRIM_400000_NS6detail17trampoline_kernelINS0_13select_configILj256ELj13ELNS0_17block_load_methodE3ELS4_3ELS4_3ELNS0_20block_scan_algorithmE0ELj4294967295EEENS1_25partition_config_selectorILNS1_17partition_subalgoE3EjNS0_10empty_typeEbEEZZNS1_14partition_implILS8_3ELb0ES6_jNS0_17counting_iteratorIjlEEPS9_SE_NS0_5tupleIJPjSE_EEENSF_IJSE_SE_EEES9_SG_JZNS1_25segmented_radix_sort_implINS0_14default_configELb1EPK6__halfPSL_PKlPlN2at6native12_GLOBAL__N_18offset_tEEE10hipError_tPvRmT1_PNSt15iterator_traitsISZ_E10value_typeET2_T3_PNS10_IS15_E10value_typeET4_jRbjT5_S1B_jjP12ihipStream_tbEUljE_EEESW_SX_SY_S15_S19_S1B_T6_T7_T9_mT8_S1D_bDpT10_ENKUlT_T0_E_clISt17integral_constantIbLb0EES1Q_EEDaS1L_S1M_EUlS1L_E_NS1_11comp_targetILNS1_3genE10ELNS1_11target_archE1200ELNS1_3gpuE4ELNS1_3repE0EEENS1_30default_config_static_selectorELNS0_4arch9wavefront6targetE0EEEvSZ_.numbered_sgpr, 0
	.set _ZN7rocprim17ROCPRIM_400000_NS6detail17trampoline_kernelINS0_13select_configILj256ELj13ELNS0_17block_load_methodE3ELS4_3ELS4_3ELNS0_20block_scan_algorithmE0ELj4294967295EEENS1_25partition_config_selectorILNS1_17partition_subalgoE3EjNS0_10empty_typeEbEEZZNS1_14partition_implILS8_3ELb0ES6_jNS0_17counting_iteratorIjlEEPS9_SE_NS0_5tupleIJPjSE_EEENSF_IJSE_SE_EEES9_SG_JZNS1_25segmented_radix_sort_implINS0_14default_configELb1EPK6__halfPSL_PKlPlN2at6native12_GLOBAL__N_18offset_tEEE10hipError_tPvRmT1_PNSt15iterator_traitsISZ_E10value_typeET2_T3_PNS10_IS15_E10value_typeET4_jRbjT5_S1B_jjP12ihipStream_tbEUljE_EEESW_SX_SY_S15_S19_S1B_T6_T7_T9_mT8_S1D_bDpT10_ENKUlT_T0_E_clISt17integral_constantIbLb0EES1Q_EEDaS1L_S1M_EUlS1L_E_NS1_11comp_targetILNS1_3genE10ELNS1_11target_archE1200ELNS1_3gpuE4ELNS1_3repE0EEENS1_30default_config_static_selectorELNS0_4arch9wavefront6targetE0EEEvSZ_.num_named_barrier, 0
	.set _ZN7rocprim17ROCPRIM_400000_NS6detail17trampoline_kernelINS0_13select_configILj256ELj13ELNS0_17block_load_methodE3ELS4_3ELS4_3ELNS0_20block_scan_algorithmE0ELj4294967295EEENS1_25partition_config_selectorILNS1_17partition_subalgoE3EjNS0_10empty_typeEbEEZZNS1_14partition_implILS8_3ELb0ES6_jNS0_17counting_iteratorIjlEEPS9_SE_NS0_5tupleIJPjSE_EEENSF_IJSE_SE_EEES9_SG_JZNS1_25segmented_radix_sort_implINS0_14default_configELb1EPK6__halfPSL_PKlPlN2at6native12_GLOBAL__N_18offset_tEEE10hipError_tPvRmT1_PNSt15iterator_traitsISZ_E10value_typeET2_T3_PNS10_IS15_E10value_typeET4_jRbjT5_S1B_jjP12ihipStream_tbEUljE_EEESW_SX_SY_S15_S19_S1B_T6_T7_T9_mT8_S1D_bDpT10_ENKUlT_T0_E_clISt17integral_constantIbLb0EES1Q_EEDaS1L_S1M_EUlS1L_E_NS1_11comp_targetILNS1_3genE10ELNS1_11target_archE1200ELNS1_3gpuE4ELNS1_3repE0EEENS1_30default_config_static_selectorELNS0_4arch9wavefront6targetE0EEEvSZ_.private_seg_size, 0
	.set _ZN7rocprim17ROCPRIM_400000_NS6detail17trampoline_kernelINS0_13select_configILj256ELj13ELNS0_17block_load_methodE3ELS4_3ELS4_3ELNS0_20block_scan_algorithmE0ELj4294967295EEENS1_25partition_config_selectorILNS1_17partition_subalgoE3EjNS0_10empty_typeEbEEZZNS1_14partition_implILS8_3ELb0ES6_jNS0_17counting_iteratorIjlEEPS9_SE_NS0_5tupleIJPjSE_EEENSF_IJSE_SE_EEES9_SG_JZNS1_25segmented_radix_sort_implINS0_14default_configELb1EPK6__halfPSL_PKlPlN2at6native12_GLOBAL__N_18offset_tEEE10hipError_tPvRmT1_PNSt15iterator_traitsISZ_E10value_typeET2_T3_PNS10_IS15_E10value_typeET4_jRbjT5_S1B_jjP12ihipStream_tbEUljE_EEESW_SX_SY_S15_S19_S1B_T6_T7_T9_mT8_S1D_bDpT10_ENKUlT_T0_E_clISt17integral_constantIbLb0EES1Q_EEDaS1L_S1M_EUlS1L_E_NS1_11comp_targetILNS1_3genE10ELNS1_11target_archE1200ELNS1_3gpuE4ELNS1_3repE0EEENS1_30default_config_static_selectorELNS0_4arch9wavefront6targetE0EEEvSZ_.uses_vcc, 0
	.set _ZN7rocprim17ROCPRIM_400000_NS6detail17trampoline_kernelINS0_13select_configILj256ELj13ELNS0_17block_load_methodE3ELS4_3ELS4_3ELNS0_20block_scan_algorithmE0ELj4294967295EEENS1_25partition_config_selectorILNS1_17partition_subalgoE3EjNS0_10empty_typeEbEEZZNS1_14partition_implILS8_3ELb0ES6_jNS0_17counting_iteratorIjlEEPS9_SE_NS0_5tupleIJPjSE_EEENSF_IJSE_SE_EEES9_SG_JZNS1_25segmented_radix_sort_implINS0_14default_configELb1EPK6__halfPSL_PKlPlN2at6native12_GLOBAL__N_18offset_tEEE10hipError_tPvRmT1_PNSt15iterator_traitsISZ_E10value_typeET2_T3_PNS10_IS15_E10value_typeET4_jRbjT5_S1B_jjP12ihipStream_tbEUljE_EEESW_SX_SY_S15_S19_S1B_T6_T7_T9_mT8_S1D_bDpT10_ENKUlT_T0_E_clISt17integral_constantIbLb0EES1Q_EEDaS1L_S1M_EUlS1L_E_NS1_11comp_targetILNS1_3genE10ELNS1_11target_archE1200ELNS1_3gpuE4ELNS1_3repE0EEENS1_30default_config_static_selectorELNS0_4arch9wavefront6targetE0EEEvSZ_.uses_flat_scratch, 0
	.set _ZN7rocprim17ROCPRIM_400000_NS6detail17trampoline_kernelINS0_13select_configILj256ELj13ELNS0_17block_load_methodE3ELS4_3ELS4_3ELNS0_20block_scan_algorithmE0ELj4294967295EEENS1_25partition_config_selectorILNS1_17partition_subalgoE3EjNS0_10empty_typeEbEEZZNS1_14partition_implILS8_3ELb0ES6_jNS0_17counting_iteratorIjlEEPS9_SE_NS0_5tupleIJPjSE_EEENSF_IJSE_SE_EEES9_SG_JZNS1_25segmented_radix_sort_implINS0_14default_configELb1EPK6__halfPSL_PKlPlN2at6native12_GLOBAL__N_18offset_tEEE10hipError_tPvRmT1_PNSt15iterator_traitsISZ_E10value_typeET2_T3_PNS10_IS15_E10value_typeET4_jRbjT5_S1B_jjP12ihipStream_tbEUljE_EEESW_SX_SY_S15_S19_S1B_T6_T7_T9_mT8_S1D_bDpT10_ENKUlT_T0_E_clISt17integral_constantIbLb0EES1Q_EEDaS1L_S1M_EUlS1L_E_NS1_11comp_targetILNS1_3genE10ELNS1_11target_archE1200ELNS1_3gpuE4ELNS1_3repE0EEENS1_30default_config_static_selectorELNS0_4arch9wavefront6targetE0EEEvSZ_.has_dyn_sized_stack, 0
	.set _ZN7rocprim17ROCPRIM_400000_NS6detail17trampoline_kernelINS0_13select_configILj256ELj13ELNS0_17block_load_methodE3ELS4_3ELS4_3ELNS0_20block_scan_algorithmE0ELj4294967295EEENS1_25partition_config_selectorILNS1_17partition_subalgoE3EjNS0_10empty_typeEbEEZZNS1_14partition_implILS8_3ELb0ES6_jNS0_17counting_iteratorIjlEEPS9_SE_NS0_5tupleIJPjSE_EEENSF_IJSE_SE_EEES9_SG_JZNS1_25segmented_radix_sort_implINS0_14default_configELb1EPK6__halfPSL_PKlPlN2at6native12_GLOBAL__N_18offset_tEEE10hipError_tPvRmT1_PNSt15iterator_traitsISZ_E10value_typeET2_T3_PNS10_IS15_E10value_typeET4_jRbjT5_S1B_jjP12ihipStream_tbEUljE_EEESW_SX_SY_S15_S19_S1B_T6_T7_T9_mT8_S1D_bDpT10_ENKUlT_T0_E_clISt17integral_constantIbLb0EES1Q_EEDaS1L_S1M_EUlS1L_E_NS1_11comp_targetILNS1_3genE10ELNS1_11target_archE1200ELNS1_3gpuE4ELNS1_3repE0EEENS1_30default_config_static_selectorELNS0_4arch9wavefront6targetE0EEEvSZ_.has_recursion, 0
	.set _ZN7rocprim17ROCPRIM_400000_NS6detail17trampoline_kernelINS0_13select_configILj256ELj13ELNS0_17block_load_methodE3ELS4_3ELS4_3ELNS0_20block_scan_algorithmE0ELj4294967295EEENS1_25partition_config_selectorILNS1_17partition_subalgoE3EjNS0_10empty_typeEbEEZZNS1_14partition_implILS8_3ELb0ES6_jNS0_17counting_iteratorIjlEEPS9_SE_NS0_5tupleIJPjSE_EEENSF_IJSE_SE_EEES9_SG_JZNS1_25segmented_radix_sort_implINS0_14default_configELb1EPK6__halfPSL_PKlPlN2at6native12_GLOBAL__N_18offset_tEEE10hipError_tPvRmT1_PNSt15iterator_traitsISZ_E10value_typeET2_T3_PNS10_IS15_E10value_typeET4_jRbjT5_S1B_jjP12ihipStream_tbEUljE_EEESW_SX_SY_S15_S19_S1B_T6_T7_T9_mT8_S1D_bDpT10_ENKUlT_T0_E_clISt17integral_constantIbLb0EES1Q_EEDaS1L_S1M_EUlS1L_E_NS1_11comp_targetILNS1_3genE10ELNS1_11target_archE1200ELNS1_3gpuE4ELNS1_3repE0EEENS1_30default_config_static_selectorELNS0_4arch9wavefront6targetE0EEEvSZ_.has_indirect_call, 0
	.section	.AMDGPU.csdata,"",@progbits
; Kernel info:
; codeLenInByte = 0
; TotalNumSgprs: 0
; NumVgprs: 0
; ScratchSize: 0
; MemoryBound: 0
; FloatMode: 240
; IeeeMode: 1
; LDSByteSize: 0 bytes/workgroup (compile time only)
; SGPRBlocks: 0
; VGPRBlocks: 0
; NumSGPRsForWavesPerEU: 1
; NumVGPRsForWavesPerEU: 1
; Occupancy: 16
; WaveLimiterHint : 0
; COMPUTE_PGM_RSRC2:SCRATCH_EN: 0
; COMPUTE_PGM_RSRC2:USER_SGPR: 6
; COMPUTE_PGM_RSRC2:TRAP_HANDLER: 0
; COMPUTE_PGM_RSRC2:TGID_X_EN: 1
; COMPUTE_PGM_RSRC2:TGID_Y_EN: 0
; COMPUTE_PGM_RSRC2:TGID_Z_EN: 0
; COMPUTE_PGM_RSRC2:TIDIG_COMP_CNT: 0
	.section	.text._ZN7rocprim17ROCPRIM_400000_NS6detail17trampoline_kernelINS0_13select_configILj256ELj13ELNS0_17block_load_methodE3ELS4_3ELS4_3ELNS0_20block_scan_algorithmE0ELj4294967295EEENS1_25partition_config_selectorILNS1_17partition_subalgoE3EjNS0_10empty_typeEbEEZZNS1_14partition_implILS8_3ELb0ES6_jNS0_17counting_iteratorIjlEEPS9_SE_NS0_5tupleIJPjSE_EEENSF_IJSE_SE_EEES9_SG_JZNS1_25segmented_radix_sort_implINS0_14default_configELb1EPK6__halfPSL_PKlPlN2at6native12_GLOBAL__N_18offset_tEEE10hipError_tPvRmT1_PNSt15iterator_traitsISZ_E10value_typeET2_T3_PNS10_IS15_E10value_typeET4_jRbjT5_S1B_jjP12ihipStream_tbEUljE_EEESW_SX_SY_S15_S19_S1B_T6_T7_T9_mT8_S1D_bDpT10_ENKUlT_T0_E_clISt17integral_constantIbLb0EES1Q_EEDaS1L_S1M_EUlS1L_E_NS1_11comp_targetILNS1_3genE9ELNS1_11target_archE1100ELNS1_3gpuE3ELNS1_3repE0EEENS1_30default_config_static_selectorELNS0_4arch9wavefront6targetE0EEEvSZ_,"axG",@progbits,_ZN7rocprim17ROCPRIM_400000_NS6detail17trampoline_kernelINS0_13select_configILj256ELj13ELNS0_17block_load_methodE3ELS4_3ELS4_3ELNS0_20block_scan_algorithmE0ELj4294967295EEENS1_25partition_config_selectorILNS1_17partition_subalgoE3EjNS0_10empty_typeEbEEZZNS1_14partition_implILS8_3ELb0ES6_jNS0_17counting_iteratorIjlEEPS9_SE_NS0_5tupleIJPjSE_EEENSF_IJSE_SE_EEES9_SG_JZNS1_25segmented_radix_sort_implINS0_14default_configELb1EPK6__halfPSL_PKlPlN2at6native12_GLOBAL__N_18offset_tEEE10hipError_tPvRmT1_PNSt15iterator_traitsISZ_E10value_typeET2_T3_PNS10_IS15_E10value_typeET4_jRbjT5_S1B_jjP12ihipStream_tbEUljE_EEESW_SX_SY_S15_S19_S1B_T6_T7_T9_mT8_S1D_bDpT10_ENKUlT_T0_E_clISt17integral_constantIbLb0EES1Q_EEDaS1L_S1M_EUlS1L_E_NS1_11comp_targetILNS1_3genE9ELNS1_11target_archE1100ELNS1_3gpuE3ELNS1_3repE0EEENS1_30default_config_static_selectorELNS0_4arch9wavefront6targetE0EEEvSZ_,comdat
	.globl	_ZN7rocprim17ROCPRIM_400000_NS6detail17trampoline_kernelINS0_13select_configILj256ELj13ELNS0_17block_load_methodE3ELS4_3ELS4_3ELNS0_20block_scan_algorithmE0ELj4294967295EEENS1_25partition_config_selectorILNS1_17partition_subalgoE3EjNS0_10empty_typeEbEEZZNS1_14partition_implILS8_3ELb0ES6_jNS0_17counting_iteratorIjlEEPS9_SE_NS0_5tupleIJPjSE_EEENSF_IJSE_SE_EEES9_SG_JZNS1_25segmented_radix_sort_implINS0_14default_configELb1EPK6__halfPSL_PKlPlN2at6native12_GLOBAL__N_18offset_tEEE10hipError_tPvRmT1_PNSt15iterator_traitsISZ_E10value_typeET2_T3_PNS10_IS15_E10value_typeET4_jRbjT5_S1B_jjP12ihipStream_tbEUljE_EEESW_SX_SY_S15_S19_S1B_T6_T7_T9_mT8_S1D_bDpT10_ENKUlT_T0_E_clISt17integral_constantIbLb0EES1Q_EEDaS1L_S1M_EUlS1L_E_NS1_11comp_targetILNS1_3genE9ELNS1_11target_archE1100ELNS1_3gpuE3ELNS1_3repE0EEENS1_30default_config_static_selectorELNS0_4arch9wavefront6targetE0EEEvSZ_ ; -- Begin function _ZN7rocprim17ROCPRIM_400000_NS6detail17trampoline_kernelINS0_13select_configILj256ELj13ELNS0_17block_load_methodE3ELS4_3ELS4_3ELNS0_20block_scan_algorithmE0ELj4294967295EEENS1_25partition_config_selectorILNS1_17partition_subalgoE3EjNS0_10empty_typeEbEEZZNS1_14partition_implILS8_3ELb0ES6_jNS0_17counting_iteratorIjlEEPS9_SE_NS0_5tupleIJPjSE_EEENSF_IJSE_SE_EEES9_SG_JZNS1_25segmented_radix_sort_implINS0_14default_configELb1EPK6__halfPSL_PKlPlN2at6native12_GLOBAL__N_18offset_tEEE10hipError_tPvRmT1_PNSt15iterator_traitsISZ_E10value_typeET2_T3_PNS10_IS15_E10value_typeET4_jRbjT5_S1B_jjP12ihipStream_tbEUljE_EEESW_SX_SY_S15_S19_S1B_T6_T7_T9_mT8_S1D_bDpT10_ENKUlT_T0_E_clISt17integral_constantIbLb0EES1Q_EEDaS1L_S1M_EUlS1L_E_NS1_11comp_targetILNS1_3genE9ELNS1_11target_archE1100ELNS1_3gpuE3ELNS1_3repE0EEENS1_30default_config_static_selectorELNS0_4arch9wavefront6targetE0EEEvSZ_
	.p2align	8
	.type	_ZN7rocprim17ROCPRIM_400000_NS6detail17trampoline_kernelINS0_13select_configILj256ELj13ELNS0_17block_load_methodE3ELS4_3ELS4_3ELNS0_20block_scan_algorithmE0ELj4294967295EEENS1_25partition_config_selectorILNS1_17partition_subalgoE3EjNS0_10empty_typeEbEEZZNS1_14partition_implILS8_3ELb0ES6_jNS0_17counting_iteratorIjlEEPS9_SE_NS0_5tupleIJPjSE_EEENSF_IJSE_SE_EEES9_SG_JZNS1_25segmented_radix_sort_implINS0_14default_configELb1EPK6__halfPSL_PKlPlN2at6native12_GLOBAL__N_18offset_tEEE10hipError_tPvRmT1_PNSt15iterator_traitsISZ_E10value_typeET2_T3_PNS10_IS15_E10value_typeET4_jRbjT5_S1B_jjP12ihipStream_tbEUljE_EEESW_SX_SY_S15_S19_S1B_T6_T7_T9_mT8_S1D_bDpT10_ENKUlT_T0_E_clISt17integral_constantIbLb0EES1Q_EEDaS1L_S1M_EUlS1L_E_NS1_11comp_targetILNS1_3genE9ELNS1_11target_archE1100ELNS1_3gpuE3ELNS1_3repE0EEENS1_30default_config_static_selectorELNS0_4arch9wavefront6targetE0EEEvSZ_,@function
_ZN7rocprim17ROCPRIM_400000_NS6detail17trampoline_kernelINS0_13select_configILj256ELj13ELNS0_17block_load_methodE3ELS4_3ELS4_3ELNS0_20block_scan_algorithmE0ELj4294967295EEENS1_25partition_config_selectorILNS1_17partition_subalgoE3EjNS0_10empty_typeEbEEZZNS1_14partition_implILS8_3ELb0ES6_jNS0_17counting_iteratorIjlEEPS9_SE_NS0_5tupleIJPjSE_EEENSF_IJSE_SE_EEES9_SG_JZNS1_25segmented_radix_sort_implINS0_14default_configELb1EPK6__halfPSL_PKlPlN2at6native12_GLOBAL__N_18offset_tEEE10hipError_tPvRmT1_PNSt15iterator_traitsISZ_E10value_typeET2_T3_PNS10_IS15_E10value_typeET4_jRbjT5_S1B_jjP12ihipStream_tbEUljE_EEESW_SX_SY_S15_S19_S1B_T6_T7_T9_mT8_S1D_bDpT10_ENKUlT_T0_E_clISt17integral_constantIbLb0EES1Q_EEDaS1L_S1M_EUlS1L_E_NS1_11comp_targetILNS1_3genE9ELNS1_11target_archE1100ELNS1_3gpuE3ELNS1_3repE0EEENS1_30default_config_static_selectorELNS0_4arch9wavefront6targetE0EEEvSZ_: ; @_ZN7rocprim17ROCPRIM_400000_NS6detail17trampoline_kernelINS0_13select_configILj256ELj13ELNS0_17block_load_methodE3ELS4_3ELS4_3ELNS0_20block_scan_algorithmE0ELj4294967295EEENS1_25partition_config_selectorILNS1_17partition_subalgoE3EjNS0_10empty_typeEbEEZZNS1_14partition_implILS8_3ELb0ES6_jNS0_17counting_iteratorIjlEEPS9_SE_NS0_5tupleIJPjSE_EEENSF_IJSE_SE_EEES9_SG_JZNS1_25segmented_radix_sort_implINS0_14default_configELb1EPK6__halfPSL_PKlPlN2at6native12_GLOBAL__N_18offset_tEEE10hipError_tPvRmT1_PNSt15iterator_traitsISZ_E10value_typeET2_T3_PNS10_IS15_E10value_typeET4_jRbjT5_S1B_jjP12ihipStream_tbEUljE_EEESW_SX_SY_S15_S19_S1B_T6_T7_T9_mT8_S1D_bDpT10_ENKUlT_T0_E_clISt17integral_constantIbLb0EES1Q_EEDaS1L_S1M_EUlS1L_E_NS1_11comp_targetILNS1_3genE9ELNS1_11target_archE1100ELNS1_3gpuE3ELNS1_3repE0EEENS1_30default_config_static_selectorELNS0_4arch9wavefront6targetE0EEEvSZ_
; %bb.0:
	.section	.rodata,"a",@progbits
	.p2align	6, 0x0
	.amdhsa_kernel _ZN7rocprim17ROCPRIM_400000_NS6detail17trampoline_kernelINS0_13select_configILj256ELj13ELNS0_17block_load_methodE3ELS4_3ELS4_3ELNS0_20block_scan_algorithmE0ELj4294967295EEENS1_25partition_config_selectorILNS1_17partition_subalgoE3EjNS0_10empty_typeEbEEZZNS1_14partition_implILS8_3ELb0ES6_jNS0_17counting_iteratorIjlEEPS9_SE_NS0_5tupleIJPjSE_EEENSF_IJSE_SE_EEES9_SG_JZNS1_25segmented_radix_sort_implINS0_14default_configELb1EPK6__halfPSL_PKlPlN2at6native12_GLOBAL__N_18offset_tEEE10hipError_tPvRmT1_PNSt15iterator_traitsISZ_E10value_typeET2_T3_PNS10_IS15_E10value_typeET4_jRbjT5_S1B_jjP12ihipStream_tbEUljE_EEESW_SX_SY_S15_S19_S1B_T6_T7_T9_mT8_S1D_bDpT10_ENKUlT_T0_E_clISt17integral_constantIbLb0EES1Q_EEDaS1L_S1M_EUlS1L_E_NS1_11comp_targetILNS1_3genE9ELNS1_11target_archE1100ELNS1_3gpuE3ELNS1_3repE0EEENS1_30default_config_static_selectorELNS0_4arch9wavefront6targetE0EEEvSZ_
		.amdhsa_group_segment_fixed_size 0
		.amdhsa_private_segment_fixed_size 0
		.amdhsa_kernarg_size 144
		.amdhsa_user_sgpr_count 6
		.amdhsa_user_sgpr_private_segment_buffer 1
		.amdhsa_user_sgpr_dispatch_ptr 0
		.amdhsa_user_sgpr_queue_ptr 0
		.amdhsa_user_sgpr_kernarg_segment_ptr 1
		.amdhsa_user_sgpr_dispatch_id 0
		.amdhsa_user_sgpr_flat_scratch_init 0
		.amdhsa_user_sgpr_private_segment_size 0
		.amdhsa_wavefront_size32 1
		.amdhsa_uses_dynamic_stack 0
		.amdhsa_system_sgpr_private_segment_wavefront_offset 0
		.amdhsa_system_sgpr_workgroup_id_x 1
		.amdhsa_system_sgpr_workgroup_id_y 0
		.amdhsa_system_sgpr_workgroup_id_z 0
		.amdhsa_system_sgpr_workgroup_info 0
		.amdhsa_system_vgpr_workitem_id 0
		.amdhsa_next_free_vgpr 1
		.amdhsa_next_free_sgpr 1
		.amdhsa_reserve_vcc 0
		.amdhsa_reserve_flat_scratch 0
		.amdhsa_float_round_mode_32 0
		.amdhsa_float_round_mode_16_64 0
		.amdhsa_float_denorm_mode_32 3
		.amdhsa_float_denorm_mode_16_64 3
		.amdhsa_dx10_clamp 1
		.amdhsa_ieee_mode 1
		.amdhsa_fp16_overflow 0
		.amdhsa_workgroup_processor_mode 1
		.amdhsa_memory_ordered 1
		.amdhsa_forward_progress 1
		.amdhsa_shared_vgpr_count 0
		.amdhsa_exception_fp_ieee_invalid_op 0
		.amdhsa_exception_fp_denorm_src 0
		.amdhsa_exception_fp_ieee_div_zero 0
		.amdhsa_exception_fp_ieee_overflow 0
		.amdhsa_exception_fp_ieee_underflow 0
		.amdhsa_exception_fp_ieee_inexact 0
		.amdhsa_exception_int_div_zero 0
	.end_amdhsa_kernel
	.section	.text._ZN7rocprim17ROCPRIM_400000_NS6detail17trampoline_kernelINS0_13select_configILj256ELj13ELNS0_17block_load_methodE3ELS4_3ELS4_3ELNS0_20block_scan_algorithmE0ELj4294967295EEENS1_25partition_config_selectorILNS1_17partition_subalgoE3EjNS0_10empty_typeEbEEZZNS1_14partition_implILS8_3ELb0ES6_jNS0_17counting_iteratorIjlEEPS9_SE_NS0_5tupleIJPjSE_EEENSF_IJSE_SE_EEES9_SG_JZNS1_25segmented_radix_sort_implINS0_14default_configELb1EPK6__halfPSL_PKlPlN2at6native12_GLOBAL__N_18offset_tEEE10hipError_tPvRmT1_PNSt15iterator_traitsISZ_E10value_typeET2_T3_PNS10_IS15_E10value_typeET4_jRbjT5_S1B_jjP12ihipStream_tbEUljE_EEESW_SX_SY_S15_S19_S1B_T6_T7_T9_mT8_S1D_bDpT10_ENKUlT_T0_E_clISt17integral_constantIbLb0EES1Q_EEDaS1L_S1M_EUlS1L_E_NS1_11comp_targetILNS1_3genE9ELNS1_11target_archE1100ELNS1_3gpuE3ELNS1_3repE0EEENS1_30default_config_static_selectorELNS0_4arch9wavefront6targetE0EEEvSZ_,"axG",@progbits,_ZN7rocprim17ROCPRIM_400000_NS6detail17trampoline_kernelINS0_13select_configILj256ELj13ELNS0_17block_load_methodE3ELS4_3ELS4_3ELNS0_20block_scan_algorithmE0ELj4294967295EEENS1_25partition_config_selectorILNS1_17partition_subalgoE3EjNS0_10empty_typeEbEEZZNS1_14partition_implILS8_3ELb0ES6_jNS0_17counting_iteratorIjlEEPS9_SE_NS0_5tupleIJPjSE_EEENSF_IJSE_SE_EEES9_SG_JZNS1_25segmented_radix_sort_implINS0_14default_configELb1EPK6__halfPSL_PKlPlN2at6native12_GLOBAL__N_18offset_tEEE10hipError_tPvRmT1_PNSt15iterator_traitsISZ_E10value_typeET2_T3_PNS10_IS15_E10value_typeET4_jRbjT5_S1B_jjP12ihipStream_tbEUljE_EEESW_SX_SY_S15_S19_S1B_T6_T7_T9_mT8_S1D_bDpT10_ENKUlT_T0_E_clISt17integral_constantIbLb0EES1Q_EEDaS1L_S1M_EUlS1L_E_NS1_11comp_targetILNS1_3genE9ELNS1_11target_archE1100ELNS1_3gpuE3ELNS1_3repE0EEENS1_30default_config_static_selectorELNS0_4arch9wavefront6targetE0EEEvSZ_,comdat
.Lfunc_end1703:
	.size	_ZN7rocprim17ROCPRIM_400000_NS6detail17trampoline_kernelINS0_13select_configILj256ELj13ELNS0_17block_load_methodE3ELS4_3ELS4_3ELNS0_20block_scan_algorithmE0ELj4294967295EEENS1_25partition_config_selectorILNS1_17partition_subalgoE3EjNS0_10empty_typeEbEEZZNS1_14partition_implILS8_3ELb0ES6_jNS0_17counting_iteratorIjlEEPS9_SE_NS0_5tupleIJPjSE_EEENSF_IJSE_SE_EEES9_SG_JZNS1_25segmented_radix_sort_implINS0_14default_configELb1EPK6__halfPSL_PKlPlN2at6native12_GLOBAL__N_18offset_tEEE10hipError_tPvRmT1_PNSt15iterator_traitsISZ_E10value_typeET2_T3_PNS10_IS15_E10value_typeET4_jRbjT5_S1B_jjP12ihipStream_tbEUljE_EEESW_SX_SY_S15_S19_S1B_T6_T7_T9_mT8_S1D_bDpT10_ENKUlT_T0_E_clISt17integral_constantIbLb0EES1Q_EEDaS1L_S1M_EUlS1L_E_NS1_11comp_targetILNS1_3genE9ELNS1_11target_archE1100ELNS1_3gpuE3ELNS1_3repE0EEENS1_30default_config_static_selectorELNS0_4arch9wavefront6targetE0EEEvSZ_, .Lfunc_end1703-_ZN7rocprim17ROCPRIM_400000_NS6detail17trampoline_kernelINS0_13select_configILj256ELj13ELNS0_17block_load_methodE3ELS4_3ELS4_3ELNS0_20block_scan_algorithmE0ELj4294967295EEENS1_25partition_config_selectorILNS1_17partition_subalgoE3EjNS0_10empty_typeEbEEZZNS1_14partition_implILS8_3ELb0ES6_jNS0_17counting_iteratorIjlEEPS9_SE_NS0_5tupleIJPjSE_EEENSF_IJSE_SE_EEES9_SG_JZNS1_25segmented_radix_sort_implINS0_14default_configELb1EPK6__halfPSL_PKlPlN2at6native12_GLOBAL__N_18offset_tEEE10hipError_tPvRmT1_PNSt15iterator_traitsISZ_E10value_typeET2_T3_PNS10_IS15_E10value_typeET4_jRbjT5_S1B_jjP12ihipStream_tbEUljE_EEESW_SX_SY_S15_S19_S1B_T6_T7_T9_mT8_S1D_bDpT10_ENKUlT_T0_E_clISt17integral_constantIbLb0EES1Q_EEDaS1L_S1M_EUlS1L_E_NS1_11comp_targetILNS1_3genE9ELNS1_11target_archE1100ELNS1_3gpuE3ELNS1_3repE0EEENS1_30default_config_static_selectorELNS0_4arch9wavefront6targetE0EEEvSZ_
                                        ; -- End function
	.set _ZN7rocprim17ROCPRIM_400000_NS6detail17trampoline_kernelINS0_13select_configILj256ELj13ELNS0_17block_load_methodE3ELS4_3ELS4_3ELNS0_20block_scan_algorithmE0ELj4294967295EEENS1_25partition_config_selectorILNS1_17partition_subalgoE3EjNS0_10empty_typeEbEEZZNS1_14partition_implILS8_3ELb0ES6_jNS0_17counting_iteratorIjlEEPS9_SE_NS0_5tupleIJPjSE_EEENSF_IJSE_SE_EEES9_SG_JZNS1_25segmented_radix_sort_implINS0_14default_configELb1EPK6__halfPSL_PKlPlN2at6native12_GLOBAL__N_18offset_tEEE10hipError_tPvRmT1_PNSt15iterator_traitsISZ_E10value_typeET2_T3_PNS10_IS15_E10value_typeET4_jRbjT5_S1B_jjP12ihipStream_tbEUljE_EEESW_SX_SY_S15_S19_S1B_T6_T7_T9_mT8_S1D_bDpT10_ENKUlT_T0_E_clISt17integral_constantIbLb0EES1Q_EEDaS1L_S1M_EUlS1L_E_NS1_11comp_targetILNS1_3genE9ELNS1_11target_archE1100ELNS1_3gpuE3ELNS1_3repE0EEENS1_30default_config_static_selectorELNS0_4arch9wavefront6targetE0EEEvSZ_.num_vgpr, 0
	.set _ZN7rocprim17ROCPRIM_400000_NS6detail17trampoline_kernelINS0_13select_configILj256ELj13ELNS0_17block_load_methodE3ELS4_3ELS4_3ELNS0_20block_scan_algorithmE0ELj4294967295EEENS1_25partition_config_selectorILNS1_17partition_subalgoE3EjNS0_10empty_typeEbEEZZNS1_14partition_implILS8_3ELb0ES6_jNS0_17counting_iteratorIjlEEPS9_SE_NS0_5tupleIJPjSE_EEENSF_IJSE_SE_EEES9_SG_JZNS1_25segmented_radix_sort_implINS0_14default_configELb1EPK6__halfPSL_PKlPlN2at6native12_GLOBAL__N_18offset_tEEE10hipError_tPvRmT1_PNSt15iterator_traitsISZ_E10value_typeET2_T3_PNS10_IS15_E10value_typeET4_jRbjT5_S1B_jjP12ihipStream_tbEUljE_EEESW_SX_SY_S15_S19_S1B_T6_T7_T9_mT8_S1D_bDpT10_ENKUlT_T0_E_clISt17integral_constantIbLb0EES1Q_EEDaS1L_S1M_EUlS1L_E_NS1_11comp_targetILNS1_3genE9ELNS1_11target_archE1100ELNS1_3gpuE3ELNS1_3repE0EEENS1_30default_config_static_selectorELNS0_4arch9wavefront6targetE0EEEvSZ_.num_agpr, 0
	.set _ZN7rocprim17ROCPRIM_400000_NS6detail17trampoline_kernelINS0_13select_configILj256ELj13ELNS0_17block_load_methodE3ELS4_3ELS4_3ELNS0_20block_scan_algorithmE0ELj4294967295EEENS1_25partition_config_selectorILNS1_17partition_subalgoE3EjNS0_10empty_typeEbEEZZNS1_14partition_implILS8_3ELb0ES6_jNS0_17counting_iteratorIjlEEPS9_SE_NS0_5tupleIJPjSE_EEENSF_IJSE_SE_EEES9_SG_JZNS1_25segmented_radix_sort_implINS0_14default_configELb1EPK6__halfPSL_PKlPlN2at6native12_GLOBAL__N_18offset_tEEE10hipError_tPvRmT1_PNSt15iterator_traitsISZ_E10value_typeET2_T3_PNS10_IS15_E10value_typeET4_jRbjT5_S1B_jjP12ihipStream_tbEUljE_EEESW_SX_SY_S15_S19_S1B_T6_T7_T9_mT8_S1D_bDpT10_ENKUlT_T0_E_clISt17integral_constantIbLb0EES1Q_EEDaS1L_S1M_EUlS1L_E_NS1_11comp_targetILNS1_3genE9ELNS1_11target_archE1100ELNS1_3gpuE3ELNS1_3repE0EEENS1_30default_config_static_selectorELNS0_4arch9wavefront6targetE0EEEvSZ_.numbered_sgpr, 0
	.set _ZN7rocprim17ROCPRIM_400000_NS6detail17trampoline_kernelINS0_13select_configILj256ELj13ELNS0_17block_load_methodE3ELS4_3ELS4_3ELNS0_20block_scan_algorithmE0ELj4294967295EEENS1_25partition_config_selectorILNS1_17partition_subalgoE3EjNS0_10empty_typeEbEEZZNS1_14partition_implILS8_3ELb0ES6_jNS0_17counting_iteratorIjlEEPS9_SE_NS0_5tupleIJPjSE_EEENSF_IJSE_SE_EEES9_SG_JZNS1_25segmented_radix_sort_implINS0_14default_configELb1EPK6__halfPSL_PKlPlN2at6native12_GLOBAL__N_18offset_tEEE10hipError_tPvRmT1_PNSt15iterator_traitsISZ_E10value_typeET2_T3_PNS10_IS15_E10value_typeET4_jRbjT5_S1B_jjP12ihipStream_tbEUljE_EEESW_SX_SY_S15_S19_S1B_T6_T7_T9_mT8_S1D_bDpT10_ENKUlT_T0_E_clISt17integral_constantIbLb0EES1Q_EEDaS1L_S1M_EUlS1L_E_NS1_11comp_targetILNS1_3genE9ELNS1_11target_archE1100ELNS1_3gpuE3ELNS1_3repE0EEENS1_30default_config_static_selectorELNS0_4arch9wavefront6targetE0EEEvSZ_.num_named_barrier, 0
	.set _ZN7rocprim17ROCPRIM_400000_NS6detail17trampoline_kernelINS0_13select_configILj256ELj13ELNS0_17block_load_methodE3ELS4_3ELS4_3ELNS0_20block_scan_algorithmE0ELj4294967295EEENS1_25partition_config_selectorILNS1_17partition_subalgoE3EjNS0_10empty_typeEbEEZZNS1_14partition_implILS8_3ELb0ES6_jNS0_17counting_iteratorIjlEEPS9_SE_NS0_5tupleIJPjSE_EEENSF_IJSE_SE_EEES9_SG_JZNS1_25segmented_radix_sort_implINS0_14default_configELb1EPK6__halfPSL_PKlPlN2at6native12_GLOBAL__N_18offset_tEEE10hipError_tPvRmT1_PNSt15iterator_traitsISZ_E10value_typeET2_T3_PNS10_IS15_E10value_typeET4_jRbjT5_S1B_jjP12ihipStream_tbEUljE_EEESW_SX_SY_S15_S19_S1B_T6_T7_T9_mT8_S1D_bDpT10_ENKUlT_T0_E_clISt17integral_constantIbLb0EES1Q_EEDaS1L_S1M_EUlS1L_E_NS1_11comp_targetILNS1_3genE9ELNS1_11target_archE1100ELNS1_3gpuE3ELNS1_3repE0EEENS1_30default_config_static_selectorELNS0_4arch9wavefront6targetE0EEEvSZ_.private_seg_size, 0
	.set _ZN7rocprim17ROCPRIM_400000_NS6detail17trampoline_kernelINS0_13select_configILj256ELj13ELNS0_17block_load_methodE3ELS4_3ELS4_3ELNS0_20block_scan_algorithmE0ELj4294967295EEENS1_25partition_config_selectorILNS1_17partition_subalgoE3EjNS0_10empty_typeEbEEZZNS1_14partition_implILS8_3ELb0ES6_jNS0_17counting_iteratorIjlEEPS9_SE_NS0_5tupleIJPjSE_EEENSF_IJSE_SE_EEES9_SG_JZNS1_25segmented_radix_sort_implINS0_14default_configELb1EPK6__halfPSL_PKlPlN2at6native12_GLOBAL__N_18offset_tEEE10hipError_tPvRmT1_PNSt15iterator_traitsISZ_E10value_typeET2_T3_PNS10_IS15_E10value_typeET4_jRbjT5_S1B_jjP12ihipStream_tbEUljE_EEESW_SX_SY_S15_S19_S1B_T6_T7_T9_mT8_S1D_bDpT10_ENKUlT_T0_E_clISt17integral_constantIbLb0EES1Q_EEDaS1L_S1M_EUlS1L_E_NS1_11comp_targetILNS1_3genE9ELNS1_11target_archE1100ELNS1_3gpuE3ELNS1_3repE0EEENS1_30default_config_static_selectorELNS0_4arch9wavefront6targetE0EEEvSZ_.uses_vcc, 0
	.set _ZN7rocprim17ROCPRIM_400000_NS6detail17trampoline_kernelINS0_13select_configILj256ELj13ELNS0_17block_load_methodE3ELS4_3ELS4_3ELNS0_20block_scan_algorithmE0ELj4294967295EEENS1_25partition_config_selectorILNS1_17partition_subalgoE3EjNS0_10empty_typeEbEEZZNS1_14partition_implILS8_3ELb0ES6_jNS0_17counting_iteratorIjlEEPS9_SE_NS0_5tupleIJPjSE_EEENSF_IJSE_SE_EEES9_SG_JZNS1_25segmented_radix_sort_implINS0_14default_configELb1EPK6__halfPSL_PKlPlN2at6native12_GLOBAL__N_18offset_tEEE10hipError_tPvRmT1_PNSt15iterator_traitsISZ_E10value_typeET2_T3_PNS10_IS15_E10value_typeET4_jRbjT5_S1B_jjP12ihipStream_tbEUljE_EEESW_SX_SY_S15_S19_S1B_T6_T7_T9_mT8_S1D_bDpT10_ENKUlT_T0_E_clISt17integral_constantIbLb0EES1Q_EEDaS1L_S1M_EUlS1L_E_NS1_11comp_targetILNS1_3genE9ELNS1_11target_archE1100ELNS1_3gpuE3ELNS1_3repE0EEENS1_30default_config_static_selectorELNS0_4arch9wavefront6targetE0EEEvSZ_.uses_flat_scratch, 0
	.set _ZN7rocprim17ROCPRIM_400000_NS6detail17trampoline_kernelINS0_13select_configILj256ELj13ELNS0_17block_load_methodE3ELS4_3ELS4_3ELNS0_20block_scan_algorithmE0ELj4294967295EEENS1_25partition_config_selectorILNS1_17partition_subalgoE3EjNS0_10empty_typeEbEEZZNS1_14partition_implILS8_3ELb0ES6_jNS0_17counting_iteratorIjlEEPS9_SE_NS0_5tupleIJPjSE_EEENSF_IJSE_SE_EEES9_SG_JZNS1_25segmented_radix_sort_implINS0_14default_configELb1EPK6__halfPSL_PKlPlN2at6native12_GLOBAL__N_18offset_tEEE10hipError_tPvRmT1_PNSt15iterator_traitsISZ_E10value_typeET2_T3_PNS10_IS15_E10value_typeET4_jRbjT5_S1B_jjP12ihipStream_tbEUljE_EEESW_SX_SY_S15_S19_S1B_T6_T7_T9_mT8_S1D_bDpT10_ENKUlT_T0_E_clISt17integral_constantIbLb0EES1Q_EEDaS1L_S1M_EUlS1L_E_NS1_11comp_targetILNS1_3genE9ELNS1_11target_archE1100ELNS1_3gpuE3ELNS1_3repE0EEENS1_30default_config_static_selectorELNS0_4arch9wavefront6targetE0EEEvSZ_.has_dyn_sized_stack, 0
	.set _ZN7rocprim17ROCPRIM_400000_NS6detail17trampoline_kernelINS0_13select_configILj256ELj13ELNS0_17block_load_methodE3ELS4_3ELS4_3ELNS0_20block_scan_algorithmE0ELj4294967295EEENS1_25partition_config_selectorILNS1_17partition_subalgoE3EjNS0_10empty_typeEbEEZZNS1_14partition_implILS8_3ELb0ES6_jNS0_17counting_iteratorIjlEEPS9_SE_NS0_5tupleIJPjSE_EEENSF_IJSE_SE_EEES9_SG_JZNS1_25segmented_radix_sort_implINS0_14default_configELb1EPK6__halfPSL_PKlPlN2at6native12_GLOBAL__N_18offset_tEEE10hipError_tPvRmT1_PNSt15iterator_traitsISZ_E10value_typeET2_T3_PNS10_IS15_E10value_typeET4_jRbjT5_S1B_jjP12ihipStream_tbEUljE_EEESW_SX_SY_S15_S19_S1B_T6_T7_T9_mT8_S1D_bDpT10_ENKUlT_T0_E_clISt17integral_constantIbLb0EES1Q_EEDaS1L_S1M_EUlS1L_E_NS1_11comp_targetILNS1_3genE9ELNS1_11target_archE1100ELNS1_3gpuE3ELNS1_3repE0EEENS1_30default_config_static_selectorELNS0_4arch9wavefront6targetE0EEEvSZ_.has_recursion, 0
	.set _ZN7rocprim17ROCPRIM_400000_NS6detail17trampoline_kernelINS0_13select_configILj256ELj13ELNS0_17block_load_methodE3ELS4_3ELS4_3ELNS0_20block_scan_algorithmE0ELj4294967295EEENS1_25partition_config_selectorILNS1_17partition_subalgoE3EjNS0_10empty_typeEbEEZZNS1_14partition_implILS8_3ELb0ES6_jNS0_17counting_iteratorIjlEEPS9_SE_NS0_5tupleIJPjSE_EEENSF_IJSE_SE_EEES9_SG_JZNS1_25segmented_radix_sort_implINS0_14default_configELb1EPK6__halfPSL_PKlPlN2at6native12_GLOBAL__N_18offset_tEEE10hipError_tPvRmT1_PNSt15iterator_traitsISZ_E10value_typeET2_T3_PNS10_IS15_E10value_typeET4_jRbjT5_S1B_jjP12ihipStream_tbEUljE_EEESW_SX_SY_S15_S19_S1B_T6_T7_T9_mT8_S1D_bDpT10_ENKUlT_T0_E_clISt17integral_constantIbLb0EES1Q_EEDaS1L_S1M_EUlS1L_E_NS1_11comp_targetILNS1_3genE9ELNS1_11target_archE1100ELNS1_3gpuE3ELNS1_3repE0EEENS1_30default_config_static_selectorELNS0_4arch9wavefront6targetE0EEEvSZ_.has_indirect_call, 0
	.section	.AMDGPU.csdata,"",@progbits
; Kernel info:
; codeLenInByte = 0
; TotalNumSgprs: 0
; NumVgprs: 0
; ScratchSize: 0
; MemoryBound: 0
; FloatMode: 240
; IeeeMode: 1
; LDSByteSize: 0 bytes/workgroup (compile time only)
; SGPRBlocks: 0
; VGPRBlocks: 0
; NumSGPRsForWavesPerEU: 1
; NumVGPRsForWavesPerEU: 1
; Occupancy: 16
; WaveLimiterHint : 0
; COMPUTE_PGM_RSRC2:SCRATCH_EN: 0
; COMPUTE_PGM_RSRC2:USER_SGPR: 6
; COMPUTE_PGM_RSRC2:TRAP_HANDLER: 0
; COMPUTE_PGM_RSRC2:TGID_X_EN: 1
; COMPUTE_PGM_RSRC2:TGID_Y_EN: 0
; COMPUTE_PGM_RSRC2:TGID_Z_EN: 0
; COMPUTE_PGM_RSRC2:TIDIG_COMP_CNT: 0
	.section	.text._ZN7rocprim17ROCPRIM_400000_NS6detail17trampoline_kernelINS0_13select_configILj256ELj13ELNS0_17block_load_methodE3ELS4_3ELS4_3ELNS0_20block_scan_algorithmE0ELj4294967295EEENS1_25partition_config_selectorILNS1_17partition_subalgoE3EjNS0_10empty_typeEbEEZZNS1_14partition_implILS8_3ELb0ES6_jNS0_17counting_iteratorIjlEEPS9_SE_NS0_5tupleIJPjSE_EEENSF_IJSE_SE_EEES9_SG_JZNS1_25segmented_radix_sort_implINS0_14default_configELb1EPK6__halfPSL_PKlPlN2at6native12_GLOBAL__N_18offset_tEEE10hipError_tPvRmT1_PNSt15iterator_traitsISZ_E10value_typeET2_T3_PNS10_IS15_E10value_typeET4_jRbjT5_S1B_jjP12ihipStream_tbEUljE_EEESW_SX_SY_S15_S19_S1B_T6_T7_T9_mT8_S1D_bDpT10_ENKUlT_T0_E_clISt17integral_constantIbLb0EES1Q_EEDaS1L_S1M_EUlS1L_E_NS1_11comp_targetILNS1_3genE8ELNS1_11target_archE1030ELNS1_3gpuE2ELNS1_3repE0EEENS1_30default_config_static_selectorELNS0_4arch9wavefront6targetE0EEEvSZ_,"axG",@progbits,_ZN7rocprim17ROCPRIM_400000_NS6detail17trampoline_kernelINS0_13select_configILj256ELj13ELNS0_17block_load_methodE3ELS4_3ELS4_3ELNS0_20block_scan_algorithmE0ELj4294967295EEENS1_25partition_config_selectorILNS1_17partition_subalgoE3EjNS0_10empty_typeEbEEZZNS1_14partition_implILS8_3ELb0ES6_jNS0_17counting_iteratorIjlEEPS9_SE_NS0_5tupleIJPjSE_EEENSF_IJSE_SE_EEES9_SG_JZNS1_25segmented_radix_sort_implINS0_14default_configELb1EPK6__halfPSL_PKlPlN2at6native12_GLOBAL__N_18offset_tEEE10hipError_tPvRmT1_PNSt15iterator_traitsISZ_E10value_typeET2_T3_PNS10_IS15_E10value_typeET4_jRbjT5_S1B_jjP12ihipStream_tbEUljE_EEESW_SX_SY_S15_S19_S1B_T6_T7_T9_mT8_S1D_bDpT10_ENKUlT_T0_E_clISt17integral_constantIbLb0EES1Q_EEDaS1L_S1M_EUlS1L_E_NS1_11comp_targetILNS1_3genE8ELNS1_11target_archE1030ELNS1_3gpuE2ELNS1_3repE0EEENS1_30default_config_static_selectorELNS0_4arch9wavefront6targetE0EEEvSZ_,comdat
	.globl	_ZN7rocprim17ROCPRIM_400000_NS6detail17trampoline_kernelINS0_13select_configILj256ELj13ELNS0_17block_load_methodE3ELS4_3ELS4_3ELNS0_20block_scan_algorithmE0ELj4294967295EEENS1_25partition_config_selectorILNS1_17partition_subalgoE3EjNS0_10empty_typeEbEEZZNS1_14partition_implILS8_3ELb0ES6_jNS0_17counting_iteratorIjlEEPS9_SE_NS0_5tupleIJPjSE_EEENSF_IJSE_SE_EEES9_SG_JZNS1_25segmented_radix_sort_implINS0_14default_configELb1EPK6__halfPSL_PKlPlN2at6native12_GLOBAL__N_18offset_tEEE10hipError_tPvRmT1_PNSt15iterator_traitsISZ_E10value_typeET2_T3_PNS10_IS15_E10value_typeET4_jRbjT5_S1B_jjP12ihipStream_tbEUljE_EEESW_SX_SY_S15_S19_S1B_T6_T7_T9_mT8_S1D_bDpT10_ENKUlT_T0_E_clISt17integral_constantIbLb0EES1Q_EEDaS1L_S1M_EUlS1L_E_NS1_11comp_targetILNS1_3genE8ELNS1_11target_archE1030ELNS1_3gpuE2ELNS1_3repE0EEENS1_30default_config_static_selectorELNS0_4arch9wavefront6targetE0EEEvSZ_ ; -- Begin function _ZN7rocprim17ROCPRIM_400000_NS6detail17trampoline_kernelINS0_13select_configILj256ELj13ELNS0_17block_load_methodE3ELS4_3ELS4_3ELNS0_20block_scan_algorithmE0ELj4294967295EEENS1_25partition_config_selectorILNS1_17partition_subalgoE3EjNS0_10empty_typeEbEEZZNS1_14partition_implILS8_3ELb0ES6_jNS0_17counting_iteratorIjlEEPS9_SE_NS0_5tupleIJPjSE_EEENSF_IJSE_SE_EEES9_SG_JZNS1_25segmented_radix_sort_implINS0_14default_configELb1EPK6__halfPSL_PKlPlN2at6native12_GLOBAL__N_18offset_tEEE10hipError_tPvRmT1_PNSt15iterator_traitsISZ_E10value_typeET2_T3_PNS10_IS15_E10value_typeET4_jRbjT5_S1B_jjP12ihipStream_tbEUljE_EEESW_SX_SY_S15_S19_S1B_T6_T7_T9_mT8_S1D_bDpT10_ENKUlT_T0_E_clISt17integral_constantIbLb0EES1Q_EEDaS1L_S1M_EUlS1L_E_NS1_11comp_targetILNS1_3genE8ELNS1_11target_archE1030ELNS1_3gpuE2ELNS1_3repE0EEENS1_30default_config_static_selectorELNS0_4arch9wavefront6targetE0EEEvSZ_
	.p2align	8
	.type	_ZN7rocprim17ROCPRIM_400000_NS6detail17trampoline_kernelINS0_13select_configILj256ELj13ELNS0_17block_load_methodE3ELS4_3ELS4_3ELNS0_20block_scan_algorithmE0ELj4294967295EEENS1_25partition_config_selectorILNS1_17partition_subalgoE3EjNS0_10empty_typeEbEEZZNS1_14partition_implILS8_3ELb0ES6_jNS0_17counting_iteratorIjlEEPS9_SE_NS0_5tupleIJPjSE_EEENSF_IJSE_SE_EEES9_SG_JZNS1_25segmented_radix_sort_implINS0_14default_configELb1EPK6__halfPSL_PKlPlN2at6native12_GLOBAL__N_18offset_tEEE10hipError_tPvRmT1_PNSt15iterator_traitsISZ_E10value_typeET2_T3_PNS10_IS15_E10value_typeET4_jRbjT5_S1B_jjP12ihipStream_tbEUljE_EEESW_SX_SY_S15_S19_S1B_T6_T7_T9_mT8_S1D_bDpT10_ENKUlT_T0_E_clISt17integral_constantIbLb0EES1Q_EEDaS1L_S1M_EUlS1L_E_NS1_11comp_targetILNS1_3genE8ELNS1_11target_archE1030ELNS1_3gpuE2ELNS1_3repE0EEENS1_30default_config_static_selectorELNS0_4arch9wavefront6targetE0EEEvSZ_,@function
_ZN7rocprim17ROCPRIM_400000_NS6detail17trampoline_kernelINS0_13select_configILj256ELj13ELNS0_17block_load_methodE3ELS4_3ELS4_3ELNS0_20block_scan_algorithmE0ELj4294967295EEENS1_25partition_config_selectorILNS1_17partition_subalgoE3EjNS0_10empty_typeEbEEZZNS1_14partition_implILS8_3ELb0ES6_jNS0_17counting_iteratorIjlEEPS9_SE_NS0_5tupleIJPjSE_EEENSF_IJSE_SE_EEES9_SG_JZNS1_25segmented_radix_sort_implINS0_14default_configELb1EPK6__halfPSL_PKlPlN2at6native12_GLOBAL__N_18offset_tEEE10hipError_tPvRmT1_PNSt15iterator_traitsISZ_E10value_typeET2_T3_PNS10_IS15_E10value_typeET4_jRbjT5_S1B_jjP12ihipStream_tbEUljE_EEESW_SX_SY_S15_S19_S1B_T6_T7_T9_mT8_S1D_bDpT10_ENKUlT_T0_E_clISt17integral_constantIbLb0EES1Q_EEDaS1L_S1M_EUlS1L_E_NS1_11comp_targetILNS1_3genE8ELNS1_11target_archE1030ELNS1_3gpuE2ELNS1_3repE0EEENS1_30default_config_static_selectorELNS0_4arch9wavefront6targetE0EEEvSZ_: ; @_ZN7rocprim17ROCPRIM_400000_NS6detail17trampoline_kernelINS0_13select_configILj256ELj13ELNS0_17block_load_methodE3ELS4_3ELS4_3ELNS0_20block_scan_algorithmE0ELj4294967295EEENS1_25partition_config_selectorILNS1_17partition_subalgoE3EjNS0_10empty_typeEbEEZZNS1_14partition_implILS8_3ELb0ES6_jNS0_17counting_iteratorIjlEEPS9_SE_NS0_5tupleIJPjSE_EEENSF_IJSE_SE_EEES9_SG_JZNS1_25segmented_radix_sort_implINS0_14default_configELb1EPK6__halfPSL_PKlPlN2at6native12_GLOBAL__N_18offset_tEEE10hipError_tPvRmT1_PNSt15iterator_traitsISZ_E10value_typeET2_T3_PNS10_IS15_E10value_typeET4_jRbjT5_S1B_jjP12ihipStream_tbEUljE_EEESW_SX_SY_S15_S19_S1B_T6_T7_T9_mT8_S1D_bDpT10_ENKUlT_T0_E_clISt17integral_constantIbLb0EES1Q_EEDaS1L_S1M_EUlS1L_E_NS1_11comp_targetILNS1_3genE8ELNS1_11target_archE1030ELNS1_3gpuE2ELNS1_3repE0EEENS1_30default_config_static_selectorELNS0_4arch9wavefront6targetE0EEEvSZ_
; %bb.0:
	s_clause 0x6
	s_load_dword s0, s[4:5], 0x70
	s_load_dwordx2 s[16:17], s[4:5], 0x10
	s_load_dwordx4 s[12:15], s[4:5], 0x48
	s_load_dwordx2 s[18:19], s[4:5], 0x58
	s_load_dword s7, s[4:5], 0x8
	s_load_dwordx4 s[8:11], s[4:5], 0x78
	s_load_dword s1, s[4:5], 0x88
	s_mul_i32 s26, s6, 0xd00
	v_lshlrev_b32_e32 v42, 2, v0
	s_waitcnt lgkmcnt(0)
	s_mul_i32 s2, s0, 0xd00
	s_add_i32 s0, s0, -1
	s_add_i32 s3, s2, s16
	s_load_dwordx2 s[20:21], s[14:15], 0x0
	s_sub_i32 s25, s18, s3
	s_addk_i32 s25, 0xd00
	s_add_u32 s2, s16, s2
	s_addc_u32 s3, s17, 0
	s_cmp_eq_u32 s6, s0
	v_cmp_gt_u64_e64 s2, s[18:19], s[2:3]
	s_cselect_b32 s24, -1, 0
	s_cmp_lg_u32 s6, s0
	s_cselect_b32 s0, -1, 0
	s_add_i32 s3, s7, s26
	s_or_b32 s2, s0, s2
	s_add_i32 s3, s3, s16
	s_and_b32 vcc_lo, exec_lo, s2
	v_add_nc_u32_e32 v1, s3, v0
	s_mov_b32 s7, -1
	s_cbranch_vccz .LBB1704_2
; %bb.1:
	v_add_nc_u32_e32 v2, 0x100, v1
	v_add_nc_u32_e32 v3, 0x200, v1
	;; [unrolled: 1-line block ×12, first 2 shown]
	ds_write2st64_b32 v42, v1, v2 offset1:4
	ds_write2st64_b32 v42, v3, v4 offset0:8 offset1:12
	ds_write2st64_b32 v42, v5, v6 offset0:16 offset1:20
	;; [unrolled: 1-line block ×5, first 2 shown]
	ds_write_b32 v42, v13 offset:12288
	s_waitcnt lgkmcnt(0)
	s_mov_b32 s7, 0
	s_barrier
.LBB1704_2:
	v_cmp_gt_u32_e64 s0, s25, v0
	v_or_b32_e32 v41, 0x100, v0
	v_or_b32_e32 v40, 0x200, v0
	;; [unrolled: 1-line block ×12, first 2 shown]
	s_andn2_b32 vcc_lo, exec_lo, s7
	s_cbranch_vccnz .LBB1704_4
; %bb.3:
	v_add_nc_u32_e32 v2, s3, v41
	v_cmp_gt_u32_e32 vcc_lo, s25, v41
	v_add_nc_u32_e32 v3, s3, v40
	v_add_nc_u32_e32 v4, s3, v39
	;; [unrolled: 1-line block ×4, first 2 shown]
	v_cndmask_b32_e32 v2, 0, v2, vcc_lo
	v_cmp_gt_u32_e32 vcc_lo, s25, v40
	v_add_nc_u32_e32 v7, s3, v36
	v_add_nc_u32_e32 v8, s3, v35
	;; [unrolled: 1-line block ×4, first 2 shown]
	v_cndmask_b32_e32 v3, 0, v3, vcc_lo
	v_cmp_gt_u32_e32 vcc_lo, s25, v39
	v_add_nc_u32_e32 v11, s3, v32
	v_add_nc_u32_e32 v12, s3, v31
	v_cndmask_b32_e64 v1, 0, v1, s0
	v_add_nc_u32_e32 v13, s3, v30
	v_cndmask_b32_e32 v4, 0, v4, vcc_lo
	v_cmp_gt_u32_e32 vcc_lo, s25, v38
	v_cndmask_b32_e32 v5, 0, v5, vcc_lo
	v_cmp_gt_u32_e32 vcc_lo, s25, v37
	;; [unrolled: 2-line block ×9, first 2 shown]
	v_cndmask_b32_e32 v13, 0, v13, vcc_lo
	ds_write2st64_b32 v42, v1, v2 offset1:4
	ds_write2st64_b32 v42, v3, v4 offset0:8 offset1:12
	ds_write2st64_b32 v42, v5, v6 offset0:16 offset1:20
	;; [unrolled: 1-line block ×5, first 2 shown]
	ds_write_b32 v42, v13 offset:12288
	s_waitcnt lgkmcnt(0)
	s_barrier
.LBB1704_4:
	v_mul_u32_u24_e32 v45, 13, v0
	s_waitcnt lgkmcnt(0)
	buffer_gl0_inv
	v_cndmask_b32_e64 v43, 0, 1, s2
	s_andn2_b32 vcc_lo, exec_lo, s2
	v_lshlrev_b32_e32 v1, 2, v45
	ds_read2_b32 v[26:27], v1 offset0:2 offset1:3
	ds_read2_b32 v[22:23], v1 offset0:6 offset1:7
	;; [unrolled: 1-line block ×3, first 2 shown]
	ds_read2_b32 v[28:29], v1 offset1:1
	ds_read2_b32 v[18:19], v1 offset0:10 offset1:11
	ds_read_b32 v44, v1 offset:48
	ds_read2_b32 v[20:21], v1 offset0:8 offset1:9
	s_waitcnt lgkmcnt(0)
	s_barrier
	buffer_gl0_inv
	s_cbranch_vccnz .LBB1704_6
; %bb.5:
	v_add_nc_u32_e32 v1, s9, v27
	v_add_nc_u32_e32 v4, s9, v26
	;; [unrolled: 1-line block ×6, first 2 shown]
	v_mul_lo_u32 v4, v4, s8
	v_mul_lo_u32 v1, v1, s8
	;; [unrolled: 1-line block ×4, first 2 shown]
	v_add_nc_u32_e32 v3, s9, v28
	v_add_nc_u32_e32 v7, s11, v28
	v_mul_lo_u32 v2, v2, s8
	v_mul_lo_u32 v6, v6, s10
	v_add_nc_u32_e32 v10, s11, v25
	v_mul_lo_u32 v3, v3, s8
	v_mul_lo_u32 v7, v7, s10
	v_sub_nc_u32_e32 v1, v1, v5
	v_sub_nc_u32_e32 v4, v4, v8
	v_add_nc_u32_e32 v5, s9, v23
	v_add_nc_u32_e32 v8, s11, v23
	v_sub_nc_u32_e32 v2, v2, v6
	v_add_nc_u32_e32 v6, s9, v25
	v_add_nc_u32_e32 v9, s9, v22
	v_mul_lo_u32 v5, v5, s8
	v_mul_lo_u32 v8, v8, s10
	v_sub_nc_u32_e32 v3, v3, v7
	v_add_nc_u32_e32 v7, s9, v24
	v_add_nc_u32_e32 v11, s11, v22
	v_mul_lo_u32 v6, v6, s8
	v_mul_lo_u32 v10, v10, s10
	v_add_nc_u32_e32 v12, s11, v24
	v_mul_lo_u32 v9, v9, s8
	v_mul_lo_u32 v7, v7, s8
	;; [unrolled: 1-line block ×3, first 2 shown]
	v_sub_nc_u32_e32 v5, v5, v8
	v_mul_lo_u32 v8, v12, s10
	v_cmp_lt_u32_e32 vcc_lo, s1, v1
	v_sub_nc_u32_e32 v6, v6, v10
	v_add_nc_u32_e32 v10, s9, v19
	v_add_nc_u32_e32 v14, s11, v19
	;; [unrolled: 1-line block ×3, first 2 shown]
	v_cndmask_b32_e64 v1, 0, 1, vcc_lo
	v_cmp_lt_u32_e32 vcc_lo, s1, v2
	v_sub_nc_u32_e32 v7, v7, v8
	v_sub_nc_u32_e32 v8, v9, v11
	v_add_nc_u32_e32 v11, s9, v21
	v_mul_lo_u32 v10, v10, s8
	v_mul_lo_u32 v14, v14, s10
	v_cndmask_b32_e64 v2, 0, 1, vcc_lo
	v_cmp_lt_u32_e32 vcc_lo, s1, v5
	v_mul_lo_u32 v11, v11, s8
	v_mul_lo_u32 v15, v15, s10
	v_mov_b32_e32 v9, 8
	v_lshlrev_b16 v2, 8, v2
	v_cndmask_b32_e64 v5, 0, 1, vcc_lo
	v_cmp_lt_u32_e32 vcc_lo, s1, v6
	v_sub_nc_u32_e32 v10, v10, v14
	v_add_nc_u32_e32 v12, s9, v20
	v_add_nc_u32_e32 v16, s11, v20
	v_sub_nc_u32_e32 v11, v11, v15
	v_cndmask_b32_e64 v6, 0, 1, vcc_lo
	v_cmp_lt_u32_e32 vcc_lo, s1, v10
	v_lshrrev_b32_sdwa v2, v9, v2 dst_sel:BYTE_1 dst_unused:UNUSED_PAD src0_sel:DWORD src1_sel:DWORD
	v_add_nc_u32_e32 v13, s9, v18
	v_add_nc_u32_e32 v17, s11, v18
	v_mul_lo_u32 v12, v12, s8
	v_cndmask_b32_e64 v10, 0, 1, vcc_lo
	v_cmp_lt_u32_e32 vcc_lo, s1, v11
	v_mul_lo_u32 v16, v16, s10
	v_mul_lo_u32 v13, v13, s8
	;; [unrolled: 1-line block ×3, first 2 shown]
	v_add_nc_u32_e32 v14, s9, v44
	v_cndmask_b32_e64 v11, 0, 1, vcc_lo
	v_cmp_lt_u32_e32 vcc_lo, s1, v3
	v_add_nc_u32_e32 v15, s11, v44
	v_lshlrev_b16 v1, 8, v1
	v_sub_nc_u32_e32 v12, v12, v16
	v_lshlrev_b16 v11, 8, v11
	v_cndmask_b32_e64 v3, 0, 1, vcc_lo
	v_cmp_lt_u32_e32 vcc_lo, s1, v4
	v_sub_nc_u32_e32 v13, v13, v17
	v_mul_lo_u32 v14, v14, s8
	v_mul_lo_u32 v15, v15, s10
	v_or_b32_e32 v2, v3, v2
	v_cndmask_b32_e64 v3, 0, 1, vcc_lo
	v_cmp_lt_u32_e32 vcc_lo, s1, v7
	v_lshlrev_b16 v6, 8, v6
	v_lshlrev_b16 v10, 8, v10
	;; [unrolled: 1-line block ×3, first 2 shown]
	v_lshrrev_b32_sdwa v1, v9, v1 dst_sel:BYTE_1 dst_unused:UNUSED_PAD src0_sel:DWORD src1_sel:DWORD
	v_cndmask_b32_e64 v4, 0, 1, vcc_lo
	v_cmp_lt_u32_e32 vcc_lo, s1, v8
	v_lshrrev_b32_sdwa v8, v9, v11 dst_sel:BYTE_1 dst_unused:UNUSED_PAD src0_sel:DWORD src1_sel:DWORD
	v_lshrrev_b32_sdwa v6, v9, v6 dst_sel:BYTE_1 dst_unused:UNUSED_PAD src0_sel:DWORD src1_sel:DWORD
	v_sub_nc_u32_e32 v14, v14, v15
	v_lshrrev_b32_sdwa v9, v9, v10 dst_sel:BYTE_1 dst_unused:UNUSED_PAD src0_sel:DWORD src1_sel:DWORD
	v_cndmask_b32_e64 v7, 0, 1, vcc_lo
	v_cmp_lt_u32_e32 vcc_lo, s1, v12
	v_or_b32_sdwa v1, v3, v1 dst_sel:WORD_1 dst_unused:UNUSED_PAD src0_sel:DWORD src1_sel:DWORD
	v_or_b32_e32 v3, v4, v6
	v_or_b32_sdwa v4, v7, v5 dst_sel:WORD_1 dst_unused:UNUSED_PAD src0_sel:DWORD src1_sel:DWORD
	v_cndmask_b32_e64 v11, 0, 1, vcc_lo
	v_cmp_lt_u32_e32 vcc_lo, s1, v13
	v_or_b32_sdwa v50, v2, v1 dst_sel:DWORD dst_unused:UNUSED_PAD src0_sel:WORD_0 src1_sel:DWORD
	v_or_b32_sdwa v48, v3, v4 dst_sel:DWORD dst_unused:UNUSED_PAD src0_sel:WORD_0 src1_sel:DWORD
	v_or_b32_e32 v5, v11, v8
	v_cndmask_b32_e64 v10, 0, 1, vcc_lo
	v_cmp_lt_u32_e32 vcc_lo, s1, v14
	v_or_b32_sdwa v6, v10, v9 dst_sel:WORD_1 dst_unused:UNUSED_PAD src0_sel:DWORD src1_sel:DWORD
	v_cndmask_b32_e64 v46, 0, 1, vcc_lo
	v_or_b32_sdwa v47, v5, v6 dst_sel:DWORD dst_unused:UNUSED_PAD src0_sel:WORD_0 src1_sel:DWORD
	s_clause 0x1
	s_load_dwordx2 s[14:15], s[4:5], 0x28
	s_load_dwordx2 s[22:23], s[4:5], 0x68
	s_cbranch_execz .LBB1704_7
	s_branch .LBB1704_34
.LBB1704_6:
                                        ; implicit-def: $vgpr46
                                        ; implicit-def: $vgpr47
                                        ; implicit-def: $vgpr48
                                        ; implicit-def: $vgpr50
	s_clause 0x1
	s_load_dwordx2 s[14:15], s[4:5], 0x28
	s_load_dwordx2 s[22:23], s[4:5], 0x68
.LBB1704_7:
	v_mov_b32_e32 v2, 0
	v_mov_b32_e32 v1, 0
	s_mov_b32 s0, exec_lo
	v_cmpx_gt_u32_e64 s25, v45
	s_cbranch_execz .LBB1704_9
; %bb.8:
	v_add_nc_u32_e32 v1, s9, v28
	v_add_nc_u32_e32 v3, s11, v28
	v_mul_lo_u32 v1, v1, s8
	v_mul_lo_u32 v3, v3, s10
	v_sub_nc_u32_e32 v1, v1, v3
	v_cmp_lt_u32_e32 vcc_lo, s1, v1
	v_cndmask_b32_e64 v1, 0, 1, vcc_lo
.LBB1704_9:
	s_or_b32 exec_lo, exec_lo, s0
	v_add_nc_u32_e32 v3, 1, v45
	s_mov_b32 s0, exec_lo
	v_cmpx_gt_u32_e64 s25, v3
	s_cbranch_execz .LBB1704_11
; %bb.10:
	v_add_nc_u32_e32 v2, s9, v29
	v_add_nc_u32_e32 v3, s11, v29
	v_mul_lo_u32 v2, v2, s8
	v_mul_lo_u32 v3, v3, s10
	v_sub_nc_u32_e32 v2, v2, v3
	v_cmp_lt_u32_e32 vcc_lo, s1, v2
	v_cndmask_b32_e64 v2, 0, 1, vcc_lo
.LBB1704_11:
	s_or_b32 exec_lo, exec_lo, s0
	v_add_nc_u32_e32 v3, 2, v45
	v_mov_b32_e32 v4, 0
	v_cmp_gt_u32_e32 vcc_lo, s25, v3
	v_mov_b32_e32 v3, 0
	s_and_saveexec_b32 s0, vcc_lo
	s_cbranch_execz .LBB1704_13
; %bb.12:
	v_add_nc_u32_e32 v3, s9, v26
	v_add_nc_u32_e32 v5, s11, v26
	v_mul_lo_u32 v3, v3, s8
	v_mul_lo_u32 v5, v5, s10
	v_sub_nc_u32_e32 v3, v3, v5
	v_cmp_lt_u32_e32 vcc_lo, s1, v3
	v_cndmask_b32_e64 v3, 0, 1, vcc_lo
.LBB1704_13:
	s_or_b32 exec_lo, exec_lo, s0
	v_add_nc_u32_e32 v5, 3, v45
	s_mov_b32 s0, exec_lo
	v_cmpx_gt_u32_e64 s25, v5
	s_cbranch_execz .LBB1704_15
; %bb.14:
	v_add_nc_u32_e32 v4, s9, v27
	v_add_nc_u32_e32 v5, s11, v27
	v_mul_lo_u32 v4, v4, s8
	v_mul_lo_u32 v5, v5, s10
	v_sub_nc_u32_e32 v4, v4, v5
	v_cmp_lt_u32_e32 vcc_lo, s1, v4
	v_cndmask_b32_e64 v4, 0, 1, vcc_lo
.LBB1704_15:
	s_or_b32 exec_lo, exec_lo, s0
	v_add_nc_u32_e32 v5, 4, v45
	v_mov_b32_e32 v6, 0
	v_cmp_gt_u32_e32 vcc_lo, s25, v5
	v_mov_b32_e32 v5, 0
	s_and_saveexec_b32 s0, vcc_lo
	;; [unrolled: 30-line block ×5, first 2 shown]
	s_cbranch_execz .LBB1704_29
; %bb.28:
	v_add_nc_u32_e32 v11, s9, v18
	v_add_nc_u32_e32 v13, s11, v18
	v_mul_lo_u32 v11, v11, s8
	v_mul_lo_u32 v13, v13, s10
	v_sub_nc_u32_e32 v11, v11, v13
	v_cmp_lt_u32_e32 vcc_lo, s1, v11
	v_cndmask_b32_e64 v11, 0, 1, vcc_lo
.LBB1704_29:
	s_or_b32 exec_lo, exec_lo, s0
	v_add_nc_u32_e32 v13, 11, v45
	s_mov_b32 s0, exec_lo
	v_cmpx_gt_u32_e64 s25, v13
	s_cbranch_execz .LBB1704_31
; %bb.30:
	v_add_nc_u32_e32 v12, s9, v19
	v_add_nc_u32_e32 v13, s11, v19
	v_mul_lo_u32 v12, v12, s8
	v_mul_lo_u32 v13, v13, s10
	v_sub_nc_u32_e32 v12, v12, v13
	v_cmp_lt_u32_e32 vcc_lo, s1, v12
	v_cndmask_b32_e64 v12, 0, 1, vcc_lo
.LBB1704_31:
	s_or_b32 exec_lo, exec_lo, s0
	v_add_nc_u32_e32 v13, 12, v45
	v_mov_b32_e32 v46, 0
	s_mov_b32 s0, exec_lo
	v_cmpx_gt_u32_e64 s25, v13
	s_cbranch_execz .LBB1704_33
; %bb.32:
	v_add_nc_u32_e32 v13, s9, v44
	v_add_nc_u32_e32 v14, s11, v44
	v_mul_lo_u32 v13, v13, s8
	v_mul_lo_u32 v14, v14, s10
	v_sub_nc_u32_e32 v13, v13, v14
	v_cmp_lt_u32_e32 vcc_lo, s1, v13
	v_cndmask_b32_e64 v46, 0, 1, vcc_lo
.LBB1704_33:
	s_or_b32 exec_lo, exec_lo, s0
	v_lshlrev_b16 v2, 8, v2
	v_lshlrev_b16 v4, 8, v4
	;; [unrolled: 1-line block ×5, first 2 shown]
	v_or_b32_e32 v1, v1, v2
	v_lshlrev_b16 v2, 8, v12
	v_or_b32_sdwa v3, v3, v4 dst_sel:WORD_1 dst_unused:UNUSED_PAD src0_sel:DWORD src1_sel:DWORD
	v_or_b32_e32 v4, v5, v6
	v_or_b32_sdwa v5, v7, v8 dst_sel:WORD_1 dst_unused:UNUSED_PAD src0_sel:DWORD src1_sel:DWORD
	v_or_b32_e32 v6, v9, v10
	v_or_b32_sdwa v2, v11, v2 dst_sel:WORD_1 dst_unused:UNUSED_PAD src0_sel:DWORD src1_sel:DWORD
	v_or_b32_sdwa v50, v1, v3 dst_sel:DWORD dst_unused:UNUSED_PAD src0_sel:WORD_0 src1_sel:DWORD
	v_or_b32_sdwa v48, v4, v5 dst_sel:DWORD dst_unused:UNUSED_PAD src0_sel:WORD_0 src1_sel:DWORD
	;; [unrolled: 1-line block ×3, first 2 shown]
.LBB1704_34:
	v_and_b32_e32 v53, 0xff, v50
	v_bfe_u32 v54, v50, 8, 8
	v_bfe_u32 v55, v50, 16, 8
	v_lshrrev_b32_e32 v52, 24, v50
	v_and_b32_e32 v56, 0xff, v48
	v_bfe_u32 v57, v48, 8, 8
	v_bfe_u32 v58, v48, 16, 8
	v_add3_u32 v1, v54, v53, v55
	v_lshrrev_b32_e32 v51, 24, v48
	v_and_b32_e32 v59, 0xff, v47
	v_bfe_u32 v60, v47, 8, 8
	v_mbcnt_lo_u32_b32 v62, -1, 0
	v_add3_u32 v1, v1, v52, v56
	v_bfe_u32 v61, v47, 16, 8
	v_lshrrev_b32_e32 v49, 24, v47
	v_and_b32_e32 v2, 0xff, v46
	v_and_b32_e32 v3, 15, v62
	v_add3_u32 v1, v1, v57, v58
	v_or_b32_e32 v4, 31, v0
	v_and_b32_e32 v5, 16, v62
	v_lshrrev_b32_e32 v63, 5, v0
	v_cmp_eq_u32_e64 s5, 0, v3
	v_add3_u32 v1, v1, v51, v59
	v_cmp_lt_u32_e64 s4, 1, v3
	v_cmp_lt_u32_e64 s3, 3, v3
	;; [unrolled: 1-line block ×3, first 2 shown]
	v_cmp_eq_u32_e64 s1, 0, v5
	v_add3_u32 v1, v1, v60, v61
	v_cmp_eq_u32_e64 s0, v0, v4
	s_cmp_lg_u32 s6, 0
	s_mov_b32 s7, -1
	v_add3_u32 v64, v1, v49, v2
	s_cbranch_scc0 .LBB1704_56
; %bb.35:
	v_mov_b32_dpp v1, v64 row_shr:1 row_mask:0xf bank_mask:0xf
	v_cndmask_b32_e64 v1, v1, 0, s5
	v_add_nc_u32_e32 v1, v1, v64
	v_mov_b32_dpp v2, v1 row_shr:2 row_mask:0xf bank_mask:0xf
	v_cndmask_b32_e64 v2, 0, v2, s4
	v_add_nc_u32_e32 v1, v1, v2
	;; [unrolled: 3-line block ×4, first 2 shown]
	ds_swizzle_b32 v2, v1 offset:swizzle(BROADCAST,32,15)
	s_waitcnt lgkmcnt(0)
	v_cndmask_b32_e64 v2, v2, 0, s1
	v_add_nc_u32_e32 v1, v1, v2
	s_and_saveexec_b32 s7, s0
; %bb.36:
	v_lshlrev_b32_e32 v2, 2, v63
	ds_write_b32 v2, v1
; %bb.37:
	s_or_b32 exec_lo, exec_lo, s7
	s_mov_b32 s7, exec_lo
	s_waitcnt lgkmcnt(0)
	s_barrier
	buffer_gl0_inv
	v_cmpx_gt_u32_e32 8, v0
	s_cbranch_execz .LBB1704_39
; %bb.38:
	ds_read_b32 v2, v42
	v_and_b32_e32 v3, 7, v62
	v_cmp_ne_u32_e32 vcc_lo, 0, v3
	s_waitcnt lgkmcnt(0)
	v_mov_b32_dpp v4, v2 row_shr:1 row_mask:0xf bank_mask:0xf
	v_cndmask_b32_e32 v4, 0, v4, vcc_lo
	v_cmp_lt_u32_e32 vcc_lo, 1, v3
	v_add_nc_u32_e32 v2, v4, v2
	v_mov_b32_dpp v4, v2 row_shr:2 row_mask:0xf bank_mask:0xf
	v_cndmask_b32_e32 v4, 0, v4, vcc_lo
	v_cmp_lt_u32_e32 vcc_lo, 3, v3
	v_add_nc_u32_e32 v2, v2, v4
	v_mov_b32_dpp v4, v2 row_shr:4 row_mask:0xf bank_mask:0xf
	v_cndmask_b32_e32 v3, 0, v4, vcc_lo
	v_add_nc_u32_e32 v2, v2, v3
	ds_write_b32 v42, v2
.LBB1704_39:
	s_or_b32 exec_lo, exec_lo, s7
	s_mov_b32 s8, exec_lo
	v_cmp_gt_u32_e32 vcc_lo, 32, v0
	s_waitcnt lgkmcnt(0)
	s_barrier
	buffer_gl0_inv
                                        ; implicit-def: $vgpr10
	v_cmpx_lt_u32_e32 31, v0
	s_cbranch_execz .LBB1704_41
; %bb.40:
	v_lshl_add_u32 v2, v63, 2, -4
	ds_read_b32 v10, v2
	s_waitcnt lgkmcnt(0)
	v_add_nc_u32_e32 v1, v10, v1
.LBB1704_41:
	s_or_b32 exec_lo, exec_lo, s8
	v_sub_co_u32 v2, s7, v62, 1
	v_cmp_gt_i32_e64 s8, 0, v2
	v_cndmask_b32_e64 v2, v2, v62, s8
	v_lshlrev_b32_e32 v2, 2, v2
	ds_bpermute_b32 v11, v2, v1
	s_and_saveexec_b32 s8, vcc_lo
	s_cbranch_execz .LBB1704_61
; %bb.42:
	v_mov_b32_e32 v7, 0
	ds_read_b32 v1, v7 offset:28
	s_and_saveexec_b32 s9, s7
	s_cbranch_execz .LBB1704_44
; %bb.43:
	s_add_i32 s10, s6, 32
	s_mov_b32 s11, 0
	v_mov_b32_e32 v2, 1
	s_lshl_b64 s[10:11], s[10:11], 3
	s_add_u32 s10, s22, s10
	s_addc_u32 s11, s23, s11
	s_waitcnt lgkmcnt(0)
	global_store_dwordx2 v7, v[1:2], s[10:11]
.LBB1704_44:
	s_or_b32 exec_lo, exec_lo, s9
	v_xad_u32 v3, v62, -1, s6
	s_mov_b32 s10, 0
	v_add_nc_u32_e32 v6, 32, v3
	v_lshlrev_b64 v[4:5], 3, v[6:7]
	v_add_co_u32 v8, vcc_lo, s22, v4
	v_add_co_ci_u32_e64 v9, null, s23, v5, vcc_lo
	global_load_dwordx2 v[5:6], v[8:9], off glc dlc
	s_waitcnt vmcnt(0)
	v_cmp_eq_u16_sdwa s11, v6, v7 src0_sel:BYTE_0 src1_sel:DWORD
	s_and_saveexec_b32 s9, s11
	s_cbranch_execz .LBB1704_48
; %bb.45:
	v_mov_b32_e32 v2, 0
.LBB1704_46:                            ; =>This Inner Loop Header: Depth=1
	global_load_dwordx2 v[5:6], v[8:9], off glc dlc
	s_waitcnt vmcnt(0)
	v_cmp_ne_u16_sdwa s11, v6, v2 src0_sel:BYTE_0 src1_sel:DWORD
	s_or_b32 s10, s11, s10
	s_andn2_b32 exec_lo, exec_lo, s10
	s_cbranch_execnz .LBB1704_46
; %bb.47:
	s_or_b32 exec_lo, exec_lo, s10
.LBB1704_48:
	s_or_b32 exec_lo, exec_lo, s9
	v_cmp_ne_u32_e32 vcc_lo, 31, v62
	v_mov_b32_e32 v12, 2
	v_lshlrev_b32_e64 v13, v62, -1
	v_add_nc_u32_e32 v15, 2, v62
	v_add_nc_u32_e32 v17, 4, v62
	v_add_co_ci_u32_e64 v2, null, 0, v62, vcc_lo
	v_cmp_eq_u16_sdwa s9, v6, v12 src0_sel:BYTE_0 src1_sel:DWORD
	v_cmp_gt_u32_e32 vcc_lo, 30, v62
	v_add_nc_u32_e32 v66, 8, v62
	v_lshlrev_b32_e32 v9, 2, v2
	v_lshl_or_b32 v67, v62, 2, 64
	v_and_or_b32 v4, s9, v13, 0x80000000
	v_cndmask_b32_e64 v7, 0, 2, vcc_lo
	v_add_nc_u32_e32 v68, 16, v62
	ds_bpermute_b32 v2, v9, v5
	v_ffbl_b32_e32 v4, v4
	v_add_lshl_u32 v14, v7, v62, 2
	v_cmp_lt_u32_e32 vcc_lo, v62, v4
	s_waitcnt lgkmcnt(0)
	v_cndmask_b32_e32 v2, 0, v2, vcc_lo
	v_cmp_gt_u32_e32 vcc_lo, 28, v62
	v_add_nc_u32_e32 v2, v2, v5
	v_cndmask_b32_e64 v7, 0, 4, vcc_lo
	v_cmp_le_u32_e32 vcc_lo, v15, v4
	ds_bpermute_b32 v5, v14, v2
	v_add_lshl_u32 v16, v7, v62, 2
	s_waitcnt lgkmcnt(0)
	v_cndmask_b32_e32 v5, 0, v5, vcc_lo
	v_cmp_gt_u32_e32 vcc_lo, 24, v62
	v_add_nc_u32_e32 v2, v2, v5
	v_cndmask_b32_e64 v7, 0, 8, vcc_lo
	v_cmp_le_u32_e32 vcc_lo, v17, v4
	ds_bpermute_b32 v5, v16, v2
	v_add_lshl_u32 v65, v7, v62, 2
	s_waitcnt lgkmcnt(0)
	v_cndmask_b32_e32 v5, 0, v5, vcc_lo
	v_cmp_le_u32_e32 vcc_lo, v66, v4
	v_add_nc_u32_e32 v2, v2, v5
	ds_bpermute_b32 v5, v65, v2
	s_waitcnt lgkmcnt(0)
	v_cndmask_b32_e32 v5, 0, v5, vcc_lo
	v_cmp_le_u32_e32 vcc_lo, v68, v4
	v_add_nc_u32_e32 v2, v2, v5
	ds_bpermute_b32 v5, v67, v2
	s_waitcnt lgkmcnt(0)
	v_cndmask_b32_e32 v4, 0, v5, vcc_lo
	v_add_nc_u32_e32 v5, v2, v4
	v_mov_b32_e32 v4, 0
	s_branch .LBB1704_52
.LBB1704_49:                            ;   in Loop: Header=BB1704_52 Depth=1
	s_or_b32 exec_lo, exec_lo, s10
.LBB1704_50:                            ;   in Loop: Header=BB1704_52 Depth=1
	s_or_b32 exec_lo, exec_lo, s9
	ds_bpermute_b32 v7, v9, v5
	v_cmp_eq_u16_sdwa s9, v6, v12 src0_sel:BYTE_0 src1_sel:DWORD
	v_subrev_nc_u32_e32 v3, 32, v3
	v_and_or_b32 v8, s9, v13, 0x80000000
	s_mov_b32 s9, 0
	v_ffbl_b32_e32 v8, v8
	v_cmp_lt_u32_e32 vcc_lo, v62, v8
	s_waitcnt lgkmcnt(0)
	v_cndmask_b32_e32 v7, 0, v7, vcc_lo
	v_cmp_le_u32_e32 vcc_lo, v15, v8
	v_add_nc_u32_e32 v5, v7, v5
	ds_bpermute_b32 v7, v14, v5
	s_waitcnt lgkmcnt(0)
	v_cndmask_b32_e32 v7, 0, v7, vcc_lo
	v_cmp_le_u32_e32 vcc_lo, v17, v8
	v_add_nc_u32_e32 v5, v5, v7
	ds_bpermute_b32 v7, v16, v5
	;; [unrolled: 5-line block ×4, first 2 shown]
	s_waitcnt lgkmcnt(0)
	v_cndmask_b32_e32 v7, 0, v7, vcc_lo
	v_add3_u32 v5, v7, v2, v5
.LBB1704_51:                            ;   in Loop: Header=BB1704_52 Depth=1
	s_and_b32 vcc_lo, exec_lo, s9
	s_cbranch_vccnz .LBB1704_57
.LBB1704_52:                            ; =>This Loop Header: Depth=1
                                        ;     Child Loop BB1704_55 Depth 2
	v_cmp_ne_u16_sdwa s9, v6, v12 src0_sel:BYTE_0 src1_sel:DWORD
	v_mov_b32_e32 v2, v5
                                        ; implicit-def: $vgpr5
                                        ; implicit-def: $vgpr6
	s_cmp_lg_u32 s9, exec_lo
	s_mov_b32 s9, -1
	s_cbranch_scc1 .LBB1704_51
; %bb.53:                               ;   in Loop: Header=BB1704_52 Depth=1
	v_lshlrev_b64 v[5:6], 3, v[3:4]
	v_add_co_u32 v7, vcc_lo, s22, v5
	v_add_co_ci_u32_e64 v8, null, s23, v6, vcc_lo
	global_load_dwordx2 v[5:6], v[7:8], off glc dlc
	s_waitcnt vmcnt(0)
	v_cmp_eq_u16_sdwa s10, v6, v4 src0_sel:BYTE_0 src1_sel:DWORD
	s_and_saveexec_b32 s9, s10
	s_cbranch_execz .LBB1704_50
; %bb.54:                               ;   in Loop: Header=BB1704_52 Depth=1
	s_mov_b32 s10, 0
.LBB1704_55:                            ;   Parent Loop BB1704_52 Depth=1
                                        ; =>  This Inner Loop Header: Depth=2
	global_load_dwordx2 v[5:6], v[7:8], off glc dlc
	s_waitcnt vmcnt(0)
	v_cmp_ne_u16_sdwa s11, v6, v4 src0_sel:BYTE_0 src1_sel:DWORD
	s_or_b32 s10, s11, s10
	s_andn2_b32 exec_lo, exec_lo, s10
	s_cbranch_execnz .LBB1704_55
	s_branch .LBB1704_49
.LBB1704_56:
                                        ; implicit-def: $vgpr17
                                        ; implicit-def: $vgpr1_vgpr2_vgpr3_vgpr4_vgpr5_vgpr6_vgpr7_vgpr8_vgpr9_vgpr10_vgpr11_vgpr12_vgpr13_vgpr14_vgpr15_vgpr16
	s_and_b32 vcc_lo, exec_lo, s7
	s_cbranch_vccnz .LBB1704_62
	s_branch .LBB1704_71
.LBB1704_57:
	s_and_saveexec_b32 s9, s7
	s_cbranch_execz .LBB1704_59
; %bb.58:
	s_add_i32 s10, s6, 32
	s_mov_b32 s11, 0
	v_add_nc_u32_e32 v3, v2, v1
	v_mov_b32_e32 v4, 2
	s_lshl_b64 s[10:11], s[10:11], 3
	v_mov_b32_e32 v5, 0
	s_add_u32 s10, s22, s10
	s_addc_u32 s11, s23, s11
	global_store_dwordx2 v5, v[3:4], s[10:11]
	ds_write_b64 v5, v[1:2] offset:13312
.LBB1704_59:
	s_or_b32 exec_lo, exec_lo, s9
	v_cmp_eq_u32_e32 vcc_lo, 0, v0
	s_and_b32 exec_lo, exec_lo, vcc_lo
; %bb.60:
	v_mov_b32_e32 v1, 0
	ds_write_b32 v1, v2 offset:28
.LBB1704_61:
	s_or_b32 exec_lo, exec_lo, s8
	v_mov_b32_e32 v12, 0
	s_waitcnt lgkmcnt(0)
	s_waitcnt_vscnt null, 0x0
	s_barrier
	buffer_gl0_inv
	v_cndmask_b32_e64 v2, v11, v10, s7
	ds_read_b32 v1, v12 offset:28
	v_cmp_ne_u32_e32 vcc_lo, 0, v0
	s_waitcnt lgkmcnt(0)
	s_barrier
	buffer_gl0_inv
	ds_read_b64 v[16:17], v12 offset:13312
	v_cndmask_b32_e32 v2, 0, v2, vcc_lo
	v_add_nc_u32_e32 v1, v1, v2
	v_add_nc_u32_e32 v2, v1, v53
	;; [unrolled: 1-line block ×13, first 2 shown]
	s_branch .LBB1704_71
.LBB1704_62:
	v_mov_b32_dpp v1, v64 row_shr:1 row_mask:0xf bank_mask:0xf
	v_cndmask_b32_e64 v1, v1, 0, s5
	v_add_nc_u32_e32 v1, v1, v64
	v_mov_b32_dpp v2, v1 row_shr:2 row_mask:0xf bank_mask:0xf
	v_cndmask_b32_e64 v2, 0, v2, s4
	v_add_nc_u32_e32 v1, v1, v2
	;; [unrolled: 3-line block ×4, first 2 shown]
	ds_swizzle_b32 v2, v1 offset:swizzle(BROADCAST,32,15)
	s_waitcnt lgkmcnt(0)
	v_cndmask_b32_e64 v2, v2, 0, s1
	v_add_nc_u32_e32 v1, v1, v2
	s_and_saveexec_b32 s1, s0
; %bb.63:
	v_lshlrev_b32_e32 v2, 2, v63
	ds_write_b32 v2, v1
; %bb.64:
	s_or_b32 exec_lo, exec_lo, s1
	s_mov_b32 s0, exec_lo
	s_waitcnt lgkmcnt(0)
	s_barrier
	buffer_gl0_inv
	v_cmpx_gt_u32_e32 8, v0
	s_cbranch_execz .LBB1704_66
; %bb.65:
	ds_read_b32 v2, v42
	v_and_b32_e32 v3, 7, v62
	v_cmp_ne_u32_e32 vcc_lo, 0, v3
	s_waitcnt lgkmcnt(0)
	v_mov_b32_dpp v4, v2 row_shr:1 row_mask:0xf bank_mask:0xf
	v_cndmask_b32_e32 v4, 0, v4, vcc_lo
	v_cmp_lt_u32_e32 vcc_lo, 1, v3
	v_add_nc_u32_e32 v2, v4, v2
	v_mov_b32_dpp v4, v2 row_shr:2 row_mask:0xf bank_mask:0xf
	v_cndmask_b32_e32 v4, 0, v4, vcc_lo
	v_cmp_lt_u32_e32 vcc_lo, 3, v3
	v_add_nc_u32_e32 v2, v2, v4
	v_mov_b32_dpp v4, v2 row_shr:4 row_mask:0xf bank_mask:0xf
	v_cndmask_b32_e32 v3, 0, v4, vcc_lo
	v_add_nc_u32_e32 v2, v2, v3
	ds_write_b32 v42, v2
.LBB1704_66:
	s_or_b32 exec_lo, exec_lo, s0
	v_mov_b32_e32 v3, 0
	v_mov_b32_e32 v2, 0
	s_mov_b32 s0, exec_lo
	s_waitcnt lgkmcnt(0)
	s_barrier
	buffer_gl0_inv
	v_cmpx_lt_u32_e32 31, v0
; %bb.67:
	v_lshl_add_u32 v2, v63, 2, -4
	ds_read_b32 v2, v2
; %bb.68:
	s_or_b32 exec_lo, exec_lo, s0
	v_sub_co_u32 v4, vcc_lo, v62, 1
	s_waitcnt lgkmcnt(0)
	v_add_nc_u32_e32 v1, v2, v1
	ds_read_b32 v16, v3 offset:28
	v_cmp_gt_i32_e64 s0, 0, v4
	v_cndmask_b32_e64 v4, v4, v62, s0
	v_cmp_eq_u32_e64 s0, 0, v0
	v_lshlrev_b32_e32 v4, 2, v4
	ds_bpermute_b32 v1, v4, v1
	s_and_saveexec_b32 s1, s0
	s_cbranch_execz .LBB1704_70
; %bb.69:
	v_mov_b32_e32 v3, 0
	v_mov_b32_e32 v17, 2
	s_waitcnt lgkmcnt(1)
	global_store_dwordx2 v3, v[16:17], s[22:23] offset:256
.LBB1704_70:
	s_or_b32 exec_lo, exec_lo, s1
	s_waitcnt lgkmcnt(0)
	v_cndmask_b32_e32 v1, v1, v2, vcc_lo
	v_mov_b32_e32 v17, 0
	s_waitcnt_vscnt null, 0x0
	s_barrier
	buffer_gl0_inv
	v_cndmask_b32_e64 v1, v1, 0, s0
	v_add_nc_u32_e32 v2, v1, v53
	v_add_nc_u32_e32 v3, v2, v54
	;; [unrolled: 1-line block ×12, first 2 shown]
.LBB1704_71:
	s_waitcnt lgkmcnt(0)
	v_add_nc_u32_e32 v45, v16, v45
	v_sub_nc_u32_e32 v1, v1, v17
	v_and_b32_e32 v54, 1, v50
	v_lshrrev_b32_e32 v53, 8, v50
	v_sub_nc_u32_e32 v2, v2, v17
	v_sub_nc_u32_e32 v3, v3, v17
	;; [unrolled: 1-line block ×3, first 2 shown]
	v_cmp_eq_u32_e32 vcc_lo, 1, v54
	v_and_b32_e32 v53, 1, v53
	v_mov_b32_e32 v56, 1
	v_sub_nc_u32_e32 v54, v45, v2
	v_sub_nc_u32_e32 v4, v4, v17
	v_cndmask_b32_e32 v1, v55, v1, vcc_lo
	v_sub_nc_u32_e32 v55, v45, v3
	v_and_b32_sdwa v50, v56, v50 dst_sel:DWORD dst_unused:UNUSED_PAD src0_sel:DWORD src1_sel:WORD_1
	v_add_nc_u32_e32 v54, 1, v54
	v_cmp_eq_u32_e32 vcc_lo, 1, v53
	v_lshlrev_b32_e32 v1, 2, v1
	v_and_b32_e32 v52, 1, v52
	v_sub_nc_u32_e32 v57, v45, v4
	v_add_nc_u32_e32 v55, 2, v55
	v_lshrrev_b32_e32 v15, 8, v48
	ds_write_b32 v1, v28
	v_cndmask_b32_e32 v1, v54, v2, vcc_lo
	v_cmp_eq_u32_e32 vcc_lo, 1, v50
	v_add_nc_u32_e32 v57, 3, v57
	v_lshrrev_b32_e32 v14, 8, v47
	v_lshlrev_b32_e32 v1, 2, v1
	v_cndmask_b32_e32 v2, v55, v3, vcc_lo
	v_cmp_eq_u32_e32 vcc_lo, 1, v52
	ds_write_b32 v1, v29
	v_lshlrev_b32_e32 v2, 2, v2
	v_cndmask_b32_e32 v3, v57, v4, vcc_lo
	v_sub_nc_u32_e32 v4, v5, v17
	v_sub_nc_u32_e32 v5, v6, v17
	v_lshlrev_b32_e32 v3, 2, v3
	v_sub_nc_u32_e32 v1, v45, v4
	v_sub_nc_u32_e32 v6, v45, v5
	ds_write_b32 v2, v26
	ds_write_b32 v3, v27
	v_and_b32_e32 v2, 1, v48
	v_add_nc_u32_e32 v1, 4, v1
	v_add_nc_u32_e32 v3, 5, v6
	v_sub_nc_u32_e32 v6, v7, v17
	v_and_b32_e32 v7, 1, v15
	v_cmp_eq_u32_e32 vcc_lo, 1, v2
	v_sub_nc_u32_e32 v2, v8, v17
	v_and_b32_e32 v8, 1, v51
	v_add_co_u32 v15, s0, s20, v17
	v_cndmask_b32_e32 v1, v1, v4, vcc_lo
	v_sub_nc_u32_e32 v4, v45, v6
	v_cmp_eq_u32_e32 vcc_lo, 1, v7
	v_and_b32_sdwa v7, v56, v48 dst_sel:DWORD dst_unused:UNUSED_PAD src0_sel:DWORD src1_sel:WORD_1
	v_lshlrev_b32_e32 v1, 2, v1
	v_add_nc_u32_e32 v4, 6, v4
	v_cndmask_b32_e32 v3, v3, v5, vcc_lo
	v_sub_nc_u32_e32 v5, v45, v2
	v_cmp_eq_u32_e32 vcc_lo, 1, v7
	v_sub_nc_u32_e32 v7, v13, v17
	v_lshlrev_b32_e32 v3, 2, v3
	v_add_nc_u32_e32 v5, 7, v5
	v_cndmask_b32_e32 v4, v4, v6, vcc_lo
	v_cmp_eq_u32_e32 vcc_lo, 1, v8
	v_sub_nc_u32_e32 v6, v9, v17
	ds_write_b32 v1, v24
	ds_write_b32 v3, v25
	v_lshlrev_b32_e32 v3, 2, v4
	v_cndmask_b32_e32 v2, v5, v2, vcc_lo
	v_sub_nc_u32_e32 v1, v45, v6
	v_and_b32_e32 v5, 1, v47
	v_sub_nc_u32_e32 v4, v10, v17
	v_and_b32_e32 v10, 1, v49
	v_lshlrev_b32_e32 v2, 2, v2
	v_add_nc_u32_e32 v1, 8, v1
	ds_write_b32 v3, v22
	ds_write_b32 v2, v23
	v_cmp_eq_u32_e32 vcc_lo, 1, v5
	v_sub_nc_u32_e32 v3, v11, v17
	v_sub_nc_u32_e32 v2, v45, v4
	;; [unrolled: 1-line block ×3, first 2 shown]
	v_and_b32_e32 v11, 1, v46
	v_cndmask_b32_e32 v1, v1, v6, vcc_lo
	v_and_b32_e32 v6, 1, v14
	v_sub_nc_u32_e32 v8, v45, v3
	v_add_nc_u32_e32 v2, 9, v2
	v_sub_nc_u32_e32 v9, v45, v5
	v_lshlrev_b32_e32 v1, 2, v1
	v_cmp_eq_u32_e32 vcc_lo, 1, v6
	v_add_nc_u32_e32 v6, 10, v8
	v_and_b32_sdwa v8, v56, v47 dst_sel:DWORD dst_unused:UNUSED_PAD src0_sel:DWORD src1_sel:WORD_1
	v_add_nc_u32_e32 v9, 11, v9
	v_add_co_ci_u32_e64 v17, null, s21, 0, s0
	v_cndmask_b32_e32 v2, v2, v4, vcc_lo
	v_cmp_eq_u32_e32 vcc_lo, 1, v8
	v_sub_nc_u32_e32 v4, v45, v7
	v_lshlrev_b32_e32 v2, 2, v2
	v_cndmask_b32_e32 v3, v6, v3, vcc_lo
	v_cmp_eq_u32_e32 vcc_lo, 1, v10
	v_add_nc_u32_e32 v4, 12, v4
	v_lshlrev_b32_e32 v3, 2, v3
	v_cndmask_b32_e32 v5, v9, v5, vcc_lo
	v_cmp_eq_u32_e32 vcc_lo, 1, v11
	v_lshlrev_b32_e32 v5, 2, v5
	v_cndmask_b32_e32 v4, v4, v7, vcc_lo
	v_cmp_ne_u32_e32 vcc_lo, 1, v43
	v_lshlrev_b32_e32 v4, 2, v4
	ds_write_b32 v1, v20
	ds_write_b32 v2, v21
	;; [unrolled: 1-line block ×5, first 2 shown]
	s_waitcnt lgkmcnt(0)
	s_barrier
	buffer_gl0_inv
	ds_read2st64_b32 v[11:12], v42 offset1:4
	ds_read2st64_b32 v[9:10], v42 offset0:8 offset1:12
	ds_read2st64_b32 v[7:8], v42 offset0:16 offset1:20
	ds_read2st64_b32 v[5:6], v42 offset0:24 offset1:28
	ds_read2st64_b32 v[3:4], v42 offset0:32 offset1:36
	ds_read2st64_b32 v[1:2], v42 offset0:40 offset1:44
	ds_read_b32 v18, v42 offset:12288
	s_cbranch_vccnz .LBB1704_125
; %bb.72:
	s_sub_u32 s0, s18, s26
	v_sub_co_u32 v13, vcc_lo, v15, s16
	s_subb_u32 s1, s19, 0
	v_add_co_u32 v19, s0, s0, v16
	v_subrev_co_ci_u32_e64 v14, null, s17, v17, vcc_lo
	v_add_co_ci_u32_e64 v20, null, s1, 0, s0
	v_add_co_u32 v19, vcc_lo, v19, v13
	s_mov_b32 s0, exec_lo
	v_add_co_ci_u32_e64 v20, null, v20, v14, vcc_lo
                                        ; implicit-def: $vgpr13_vgpr14
	v_cmpx_ge_u32_e64 v0, v16
	s_xor_b32 s0, exec_lo, s0
; %bb.73:
	v_not_b32_e32 v13, v0
	v_ashrrev_i32_e32 v14, 31, v13
	v_add_co_u32 v13, vcc_lo, v19, v13
	v_add_co_ci_u32_e64 v14, null, v20, v14, vcc_lo
; %bb.74:
	s_andn2_saveexec_b32 s0, s0
; %bb.75:
	v_add_co_u32 v13, vcc_lo, v15, v0
	v_add_co_ci_u32_e64 v14, null, 0, v17, vcc_lo
; %bb.76:
	s_or_b32 exec_lo, exec_lo, s0
	v_lshlrev_b64 v[13:14], 2, v[13:14]
	s_mov_b32 s0, exec_lo
	v_add_co_u32 v13, vcc_lo, s14, v13
	v_add_co_ci_u32_e64 v14, null, s15, v14, vcc_lo
	s_waitcnt lgkmcnt(6)
	global_store_dword v[13:14], v11, off
                                        ; implicit-def: $vgpr13_vgpr14
	v_cmpx_ge_u32_e64 v41, v16
	s_xor_b32 s0, exec_lo, s0
; %bb.77:
	v_xor_b32_e32 v13, 0xfffffeff, v0
	v_ashrrev_i32_e32 v14, 31, v13
	v_add_co_u32 v13, vcc_lo, v19, v13
	v_add_co_ci_u32_e64 v14, null, v20, v14, vcc_lo
; %bb.78:
	s_andn2_saveexec_b32 s0, s0
; %bb.79:
	v_add_co_u32 v13, vcc_lo, v15, v41
	v_add_co_ci_u32_e64 v14, null, 0, v17, vcc_lo
; %bb.80:
	s_or_b32 exec_lo, exec_lo, s0
	v_lshlrev_b64 v[13:14], 2, v[13:14]
	s_mov_b32 s0, exec_lo
	v_add_co_u32 v13, vcc_lo, s14, v13
	v_add_co_ci_u32_e64 v14, null, s15, v14, vcc_lo
	global_store_dword v[13:14], v12, off
                                        ; implicit-def: $vgpr13_vgpr14
	v_cmpx_ge_u32_e64 v40, v16
	s_xor_b32 s0, exec_lo, s0
; %bb.81:
	v_xor_b32_e32 v13, 0xfffffdff, v0
	v_ashrrev_i32_e32 v14, 31, v13
	v_add_co_u32 v13, vcc_lo, v19, v13
	v_add_co_ci_u32_e64 v14, null, v20, v14, vcc_lo
; %bb.82:
	s_andn2_saveexec_b32 s0, s0
; %bb.83:
	v_add_co_u32 v13, vcc_lo, v15, v40
	v_add_co_ci_u32_e64 v14, null, 0, v17, vcc_lo
; %bb.84:
	s_or_b32 exec_lo, exec_lo, s0
	v_lshlrev_b64 v[13:14], 2, v[13:14]
	s_mov_b32 s0, exec_lo
	v_add_co_u32 v13, vcc_lo, s14, v13
	v_add_co_ci_u32_e64 v14, null, s15, v14, vcc_lo
	s_waitcnt lgkmcnt(5)
	global_store_dword v[13:14], v9, off
                                        ; implicit-def: $vgpr13_vgpr14
	v_cmpx_ge_u32_e64 v39, v16
	s_xor_b32 s0, exec_lo, s0
; %bb.85:
	v_xor_b32_e32 v13, 0xfffffcff, v0
	v_ashrrev_i32_e32 v14, 31, v13
	v_add_co_u32 v13, vcc_lo, v19, v13
	v_add_co_ci_u32_e64 v14, null, v20, v14, vcc_lo
; %bb.86:
	s_andn2_saveexec_b32 s0, s0
; %bb.87:
	v_add_co_u32 v13, vcc_lo, v15, v39
	v_add_co_ci_u32_e64 v14, null, 0, v17, vcc_lo
; %bb.88:
	s_or_b32 exec_lo, exec_lo, s0
	v_lshlrev_b64 v[13:14], 2, v[13:14]
	s_mov_b32 s0, exec_lo
	v_add_co_u32 v13, vcc_lo, s14, v13
	v_add_co_ci_u32_e64 v14, null, s15, v14, vcc_lo
	global_store_dword v[13:14], v10, off
                                        ; implicit-def: $vgpr13_vgpr14
	v_cmpx_ge_u32_e64 v38, v16
	s_xor_b32 s0, exec_lo, s0
; %bb.89:
	v_xor_b32_e32 v13, 0xfffffbff, v0
	;; [unrolled: 41-line block ×6, first 2 shown]
	v_ashrrev_i32_e32 v14, 31, v13
	v_add_co_u32 v13, vcc_lo, v19, v13
	v_add_co_ci_u32_e64 v14, null, v20, v14, vcc_lo
; %bb.122:
	s_andn2_saveexec_b32 s0, s0
; %bb.123:
	v_add_co_u32 v13, vcc_lo, v15, v30
	v_add_co_ci_u32_e64 v14, null, 0, v17, vcc_lo
; %bb.124:
	s_or_b32 exec_lo, exec_lo, s0
	s_mov_b32 s0, -1
	s_branch .LBB1704_205
.LBB1704_125:
	s_mov_b32 s0, 0
                                        ; implicit-def: $vgpr13_vgpr14
	s_cbranch_execz .LBB1704_205
; %bb.126:
	s_add_u32 s1, s16, s26
	s_addc_u32 s2, s17, 0
	s_sub_u32 s1, s18, s1
	s_subb_u32 s2, s19, s2
	v_add_co_u32 v13, s1, s1, v16
	v_add_co_ci_u32_e64 v14, null, s2, 0, s1
	s_mov_b32 s1, exec_lo
	v_add_co_u32 v19, vcc_lo, v13, v15
	v_add_co_ci_u32_e64 v20, null, v14, v17, vcc_lo
	v_cmpx_gt_u32_e64 s25, v0
	s_cbranch_execz .LBB1704_162
; %bb.127:
	s_mov_b32 s2, exec_lo
                                        ; implicit-def: $vgpr13_vgpr14
	v_cmpx_ge_u32_e64 v0, v16
	s_xor_b32 s2, exec_lo, s2
; %bb.128:
	v_not_b32_e32 v13, v0
	v_ashrrev_i32_e32 v14, 31, v13
	v_add_co_u32 v13, vcc_lo, v19, v13
	v_add_co_ci_u32_e64 v14, null, v20, v14, vcc_lo
; %bb.129:
	s_andn2_saveexec_b32 s2, s2
; %bb.130:
	v_add_co_u32 v13, vcc_lo, v15, v0
	v_add_co_ci_u32_e64 v14, null, 0, v17, vcc_lo
; %bb.131:
	s_or_b32 exec_lo, exec_lo, s2
	v_lshlrev_b64 v[13:14], 2, v[13:14]
	v_add_co_u32 v13, vcc_lo, s14, v13
	v_add_co_ci_u32_e64 v14, null, s15, v14, vcc_lo
	s_waitcnt lgkmcnt(6)
	global_store_dword v[13:14], v11, off
	s_or_b32 exec_lo, exec_lo, s1
	s_mov_b32 s1, exec_lo
	v_cmpx_gt_u32_e64 s25, v41
	s_cbranch_execnz .LBB1704_163
.LBB1704_132:
	s_or_b32 exec_lo, exec_lo, s1
	s_mov_b32 s1, exec_lo
	v_cmpx_gt_u32_e64 s25, v40
	s_cbranch_execz .LBB1704_168
.LBB1704_133:
	s_mov_b32 s2, exec_lo
                                        ; implicit-def: $vgpr11_vgpr12
	v_cmpx_ge_u32_e64 v40, v16
	s_xor_b32 s2, exec_lo, s2
	s_cbranch_execz .LBB1704_135
; %bb.134:
	s_waitcnt lgkmcnt(6)
	v_xor_b32_e32 v11, 0xfffffdff, v0
                                        ; implicit-def: $vgpr40
	v_ashrrev_i32_e32 v12, 31, v11
	v_add_co_u32 v11, vcc_lo, v19, v11
	v_add_co_ci_u32_e64 v12, null, v20, v12, vcc_lo
.LBB1704_135:
	s_andn2_saveexec_b32 s2, s2
	s_cbranch_execz .LBB1704_137
; %bb.136:
	s_waitcnt lgkmcnt(6)
	v_add_co_u32 v11, vcc_lo, v15, v40
	v_add_co_ci_u32_e64 v12, null, 0, v17, vcc_lo
.LBB1704_137:
	s_or_b32 exec_lo, exec_lo, s2
	s_waitcnt lgkmcnt(6)
	v_lshlrev_b64 v[11:12], 2, v[11:12]
	v_add_co_u32 v11, vcc_lo, s14, v11
	v_add_co_ci_u32_e64 v12, null, s15, v12, vcc_lo
	s_waitcnt lgkmcnt(5)
	global_store_dword v[11:12], v9, off
	s_or_b32 exec_lo, exec_lo, s1
	s_mov_b32 s1, exec_lo
	v_cmpx_gt_u32_e64 s25, v39
	s_cbranch_execnz .LBB1704_169
.LBB1704_138:
	s_or_b32 exec_lo, exec_lo, s1
	s_mov_b32 s1, exec_lo
	v_cmpx_gt_u32_e64 s25, v38
	s_cbranch_execz .LBB1704_174
.LBB1704_139:
	s_mov_b32 s2, exec_lo
                                        ; implicit-def: $vgpr9_vgpr10
	v_cmpx_ge_u32_e64 v38, v16
	s_xor_b32 s2, exec_lo, s2
	s_cbranch_execz .LBB1704_141
; %bb.140:
	s_waitcnt lgkmcnt(5)
	v_xor_b32_e32 v9, 0xfffffbff, v0
                                        ; implicit-def: $vgpr38
	v_ashrrev_i32_e32 v10, 31, v9
	v_add_co_u32 v9, vcc_lo, v19, v9
	v_add_co_ci_u32_e64 v10, null, v20, v10, vcc_lo
.LBB1704_141:
	s_andn2_saveexec_b32 s2, s2
	s_cbranch_execz .LBB1704_143
; %bb.142:
	s_waitcnt lgkmcnt(5)
	v_add_co_u32 v9, vcc_lo, v15, v38
	v_add_co_ci_u32_e64 v10, null, 0, v17, vcc_lo
.LBB1704_143:
	s_or_b32 exec_lo, exec_lo, s2
	s_waitcnt lgkmcnt(5)
	v_lshlrev_b64 v[9:10], 2, v[9:10]
	v_add_co_u32 v9, vcc_lo, s14, v9
	v_add_co_ci_u32_e64 v10, null, s15, v10, vcc_lo
	s_waitcnt lgkmcnt(4)
	global_store_dword v[9:10], v7, off
	s_or_b32 exec_lo, exec_lo, s1
	s_mov_b32 s1, exec_lo
	v_cmpx_gt_u32_e64 s25, v37
	s_cbranch_execnz .LBB1704_175
.LBB1704_144:
	s_or_b32 exec_lo, exec_lo, s1
	s_mov_b32 s1, exec_lo
	v_cmpx_gt_u32_e64 s25, v36
	s_cbranch_execz .LBB1704_180
.LBB1704_145:
	s_mov_b32 s2, exec_lo
                                        ; implicit-def: $vgpr7_vgpr8
	v_cmpx_ge_u32_e64 v36, v16
	s_xor_b32 s2, exec_lo, s2
	s_cbranch_execz .LBB1704_147
; %bb.146:
	s_waitcnt lgkmcnt(4)
	v_xor_b32_e32 v7, 0xfffff9ff, v0
                                        ; implicit-def: $vgpr36
	v_ashrrev_i32_e32 v8, 31, v7
	v_add_co_u32 v7, vcc_lo, v19, v7
	v_add_co_ci_u32_e64 v8, null, v20, v8, vcc_lo
.LBB1704_147:
	s_andn2_saveexec_b32 s2, s2
	s_cbranch_execz .LBB1704_149
; %bb.148:
	s_waitcnt lgkmcnt(4)
	v_add_co_u32 v7, vcc_lo, v15, v36
	v_add_co_ci_u32_e64 v8, null, 0, v17, vcc_lo
.LBB1704_149:
	s_or_b32 exec_lo, exec_lo, s2
	s_waitcnt lgkmcnt(4)
	v_lshlrev_b64 v[7:8], 2, v[7:8]
	v_add_co_u32 v7, vcc_lo, s14, v7
	v_add_co_ci_u32_e64 v8, null, s15, v8, vcc_lo
	s_waitcnt lgkmcnt(3)
	global_store_dword v[7:8], v5, off
	s_or_b32 exec_lo, exec_lo, s1
	s_mov_b32 s1, exec_lo
	v_cmpx_gt_u32_e64 s25, v35
	s_cbranch_execnz .LBB1704_181
.LBB1704_150:
	s_or_b32 exec_lo, exec_lo, s1
	s_mov_b32 s1, exec_lo
	v_cmpx_gt_u32_e64 s25, v34
	s_cbranch_execz .LBB1704_186
.LBB1704_151:
	s_mov_b32 s2, exec_lo
                                        ; implicit-def: $vgpr5_vgpr6
	v_cmpx_ge_u32_e64 v34, v16
	s_xor_b32 s2, exec_lo, s2
	s_cbranch_execz .LBB1704_153
; %bb.152:
	s_waitcnt lgkmcnt(3)
	v_xor_b32_e32 v5, 0xfffff7ff, v0
                                        ; implicit-def: $vgpr34
	v_ashrrev_i32_e32 v6, 31, v5
	v_add_co_u32 v5, vcc_lo, v19, v5
	v_add_co_ci_u32_e64 v6, null, v20, v6, vcc_lo
.LBB1704_153:
	s_andn2_saveexec_b32 s2, s2
	s_cbranch_execz .LBB1704_155
; %bb.154:
	s_waitcnt lgkmcnt(3)
	v_add_co_u32 v5, vcc_lo, v15, v34
	v_add_co_ci_u32_e64 v6, null, 0, v17, vcc_lo
.LBB1704_155:
	s_or_b32 exec_lo, exec_lo, s2
	s_waitcnt lgkmcnt(3)
	v_lshlrev_b64 v[5:6], 2, v[5:6]
	v_add_co_u32 v5, vcc_lo, s14, v5
	v_add_co_ci_u32_e64 v6, null, s15, v6, vcc_lo
	s_waitcnt lgkmcnt(2)
	global_store_dword v[5:6], v3, off
	s_or_b32 exec_lo, exec_lo, s1
	s_mov_b32 s1, exec_lo
	v_cmpx_gt_u32_e64 s25, v33
	s_cbranch_execnz .LBB1704_187
.LBB1704_156:
	s_or_b32 exec_lo, exec_lo, s1
	s_mov_b32 s1, exec_lo
	v_cmpx_gt_u32_e64 s25, v32
	s_cbranch_execz .LBB1704_192
.LBB1704_157:
	s_mov_b32 s2, exec_lo
                                        ; implicit-def: $vgpr3_vgpr4
	v_cmpx_ge_u32_e64 v32, v16
	s_xor_b32 s2, exec_lo, s2
	s_cbranch_execz .LBB1704_159
; %bb.158:
	s_waitcnt lgkmcnt(2)
	v_xor_b32_e32 v3, 0xfffff5ff, v0
                                        ; implicit-def: $vgpr32
	v_ashrrev_i32_e32 v4, 31, v3
	v_add_co_u32 v3, vcc_lo, v19, v3
	v_add_co_ci_u32_e64 v4, null, v20, v4, vcc_lo
.LBB1704_159:
	s_andn2_saveexec_b32 s2, s2
	s_cbranch_execz .LBB1704_161
; %bb.160:
	s_waitcnt lgkmcnt(2)
	v_add_co_u32 v3, vcc_lo, v15, v32
	v_add_co_ci_u32_e64 v4, null, 0, v17, vcc_lo
.LBB1704_161:
	s_or_b32 exec_lo, exec_lo, s2
	s_waitcnt lgkmcnt(2)
	v_lshlrev_b64 v[3:4], 2, v[3:4]
	v_add_co_u32 v3, vcc_lo, s14, v3
	v_add_co_ci_u32_e64 v4, null, s15, v4, vcc_lo
	s_waitcnt lgkmcnt(1)
	global_store_dword v[3:4], v1, off
	s_or_b32 exec_lo, exec_lo, s1
	s_mov_b32 s1, exec_lo
	v_cmpx_gt_u32_e64 s25, v31
	s_cbranch_execz .LBB1704_198
	s_branch .LBB1704_193
.LBB1704_162:
	s_or_b32 exec_lo, exec_lo, s1
	s_mov_b32 s1, exec_lo
	v_cmpx_gt_u32_e64 s25, v41
	s_cbranch_execz .LBB1704_132
.LBB1704_163:
	s_mov_b32 s2, exec_lo
                                        ; implicit-def: $vgpr13_vgpr14
	v_cmpx_ge_u32_e64 v41, v16
	s_xor_b32 s2, exec_lo, s2
	s_cbranch_execz .LBB1704_165
; %bb.164:
	s_waitcnt lgkmcnt(6)
	v_xor_b32_e32 v11, 0xfffffeff, v0
                                        ; implicit-def: $vgpr41
	v_ashrrev_i32_e32 v14, 31, v11
	v_add_co_u32 v13, vcc_lo, v19, v11
	v_add_co_ci_u32_e64 v14, null, v20, v14, vcc_lo
.LBB1704_165:
	s_andn2_saveexec_b32 s2, s2
; %bb.166:
	v_add_co_u32 v13, vcc_lo, v15, v41
	v_add_co_ci_u32_e64 v14, null, 0, v17, vcc_lo
; %bb.167:
	s_or_b32 exec_lo, exec_lo, s2
	v_lshlrev_b64 v[13:14], 2, v[13:14]
	v_add_co_u32 v13, vcc_lo, s14, v13
	v_add_co_ci_u32_e64 v14, null, s15, v14, vcc_lo
	s_waitcnt lgkmcnt(6)
	global_store_dword v[13:14], v12, off
	s_or_b32 exec_lo, exec_lo, s1
	s_mov_b32 s1, exec_lo
	v_cmpx_gt_u32_e64 s25, v40
	s_cbranch_execnz .LBB1704_133
.LBB1704_168:
	s_or_b32 exec_lo, exec_lo, s1
	s_mov_b32 s1, exec_lo
	v_cmpx_gt_u32_e64 s25, v39
	s_cbranch_execz .LBB1704_138
.LBB1704_169:
	s_mov_b32 s2, exec_lo
                                        ; implicit-def: $vgpr11_vgpr12
	v_cmpx_ge_u32_e64 v39, v16
	s_xor_b32 s2, exec_lo, s2
	s_cbranch_execz .LBB1704_171
; %bb.170:
	s_waitcnt lgkmcnt(5)
	v_xor_b32_e32 v9, 0xfffffcff, v0
                                        ; implicit-def: $vgpr39
	v_ashrrev_i32_e32 v12, 31, v9
	v_add_co_u32 v11, vcc_lo, v19, v9
	v_add_co_ci_u32_e64 v12, null, v20, v12, vcc_lo
.LBB1704_171:
	s_andn2_saveexec_b32 s2, s2
	s_cbranch_execz .LBB1704_173
; %bb.172:
	s_waitcnt lgkmcnt(6)
	v_add_co_u32 v11, vcc_lo, v15, v39
	v_add_co_ci_u32_e64 v12, null, 0, v17, vcc_lo
.LBB1704_173:
	s_or_b32 exec_lo, exec_lo, s2
	s_waitcnt lgkmcnt(6)
	v_lshlrev_b64 v[11:12], 2, v[11:12]
	v_add_co_u32 v11, vcc_lo, s14, v11
	v_add_co_ci_u32_e64 v12, null, s15, v12, vcc_lo
	s_waitcnt lgkmcnt(5)
	global_store_dword v[11:12], v10, off
	s_or_b32 exec_lo, exec_lo, s1
	s_mov_b32 s1, exec_lo
	v_cmpx_gt_u32_e64 s25, v38
	s_cbranch_execnz .LBB1704_139
.LBB1704_174:
	s_or_b32 exec_lo, exec_lo, s1
	s_mov_b32 s1, exec_lo
	v_cmpx_gt_u32_e64 s25, v37
	s_cbranch_execz .LBB1704_144
.LBB1704_175:
	s_mov_b32 s2, exec_lo
                                        ; implicit-def: $vgpr9_vgpr10
	v_cmpx_ge_u32_e64 v37, v16
	s_xor_b32 s2, exec_lo, s2
	s_cbranch_execz .LBB1704_177
; %bb.176:
	s_waitcnt lgkmcnt(4)
	v_xor_b32_e32 v7, 0xfffffaff, v0
                                        ; implicit-def: $vgpr37
	v_ashrrev_i32_e32 v10, 31, v7
	v_add_co_u32 v9, vcc_lo, v19, v7
	v_add_co_ci_u32_e64 v10, null, v20, v10, vcc_lo
.LBB1704_177:
	s_andn2_saveexec_b32 s2, s2
	s_cbranch_execz .LBB1704_179
; %bb.178:
	s_waitcnt lgkmcnt(5)
	v_add_co_u32 v9, vcc_lo, v15, v37
	v_add_co_ci_u32_e64 v10, null, 0, v17, vcc_lo
.LBB1704_179:
	s_or_b32 exec_lo, exec_lo, s2
	s_waitcnt lgkmcnt(5)
	v_lshlrev_b64 v[9:10], 2, v[9:10]
	v_add_co_u32 v9, vcc_lo, s14, v9
	v_add_co_ci_u32_e64 v10, null, s15, v10, vcc_lo
	s_waitcnt lgkmcnt(4)
	global_store_dword v[9:10], v8, off
	s_or_b32 exec_lo, exec_lo, s1
	s_mov_b32 s1, exec_lo
	v_cmpx_gt_u32_e64 s25, v36
	s_cbranch_execnz .LBB1704_145
.LBB1704_180:
	s_or_b32 exec_lo, exec_lo, s1
	s_mov_b32 s1, exec_lo
	v_cmpx_gt_u32_e64 s25, v35
	s_cbranch_execz .LBB1704_150
.LBB1704_181:
	s_mov_b32 s2, exec_lo
                                        ; implicit-def: $vgpr7_vgpr8
	v_cmpx_ge_u32_e64 v35, v16
	s_xor_b32 s2, exec_lo, s2
	s_cbranch_execz .LBB1704_183
; %bb.182:
	s_waitcnt lgkmcnt(3)
	v_xor_b32_e32 v5, 0xfffff8ff, v0
                                        ; implicit-def: $vgpr35
	v_ashrrev_i32_e32 v8, 31, v5
	v_add_co_u32 v7, vcc_lo, v19, v5
	v_add_co_ci_u32_e64 v8, null, v20, v8, vcc_lo
.LBB1704_183:
	s_andn2_saveexec_b32 s2, s2
	s_cbranch_execz .LBB1704_185
; %bb.184:
	s_waitcnt lgkmcnt(4)
	v_add_co_u32 v7, vcc_lo, v15, v35
	v_add_co_ci_u32_e64 v8, null, 0, v17, vcc_lo
.LBB1704_185:
	s_or_b32 exec_lo, exec_lo, s2
	s_waitcnt lgkmcnt(4)
	v_lshlrev_b64 v[7:8], 2, v[7:8]
	v_add_co_u32 v7, vcc_lo, s14, v7
	v_add_co_ci_u32_e64 v8, null, s15, v8, vcc_lo
	s_waitcnt lgkmcnt(3)
	global_store_dword v[7:8], v6, off
	s_or_b32 exec_lo, exec_lo, s1
	s_mov_b32 s1, exec_lo
	v_cmpx_gt_u32_e64 s25, v34
	s_cbranch_execnz .LBB1704_151
.LBB1704_186:
	s_or_b32 exec_lo, exec_lo, s1
	s_mov_b32 s1, exec_lo
	v_cmpx_gt_u32_e64 s25, v33
	s_cbranch_execz .LBB1704_156
.LBB1704_187:
	s_mov_b32 s2, exec_lo
                                        ; implicit-def: $vgpr5_vgpr6
	v_cmpx_ge_u32_e64 v33, v16
	s_xor_b32 s2, exec_lo, s2
	s_cbranch_execz .LBB1704_189
; %bb.188:
	s_waitcnt lgkmcnt(2)
	v_xor_b32_e32 v3, 0xfffff6ff, v0
                                        ; implicit-def: $vgpr33
	v_ashrrev_i32_e32 v6, 31, v3
	v_add_co_u32 v5, vcc_lo, v19, v3
	v_add_co_ci_u32_e64 v6, null, v20, v6, vcc_lo
.LBB1704_189:
	s_andn2_saveexec_b32 s2, s2
	s_cbranch_execz .LBB1704_191
; %bb.190:
	s_waitcnt lgkmcnt(3)
	v_add_co_u32 v5, vcc_lo, v15, v33
	v_add_co_ci_u32_e64 v6, null, 0, v17, vcc_lo
.LBB1704_191:
	s_or_b32 exec_lo, exec_lo, s2
	s_waitcnt lgkmcnt(3)
	v_lshlrev_b64 v[5:6], 2, v[5:6]
	v_add_co_u32 v5, vcc_lo, s14, v5
	v_add_co_ci_u32_e64 v6, null, s15, v6, vcc_lo
	s_waitcnt lgkmcnt(2)
	global_store_dword v[5:6], v4, off
	s_or_b32 exec_lo, exec_lo, s1
	s_mov_b32 s1, exec_lo
	v_cmpx_gt_u32_e64 s25, v32
	s_cbranch_execnz .LBB1704_157
.LBB1704_192:
	s_or_b32 exec_lo, exec_lo, s1
	s_mov_b32 s1, exec_lo
	v_cmpx_gt_u32_e64 s25, v31
	s_cbranch_execz .LBB1704_198
.LBB1704_193:
	s_mov_b32 s2, exec_lo
                                        ; implicit-def: $vgpr3_vgpr4
	v_cmpx_ge_u32_e64 v31, v16
	s_xor_b32 s2, exec_lo, s2
	s_cbranch_execz .LBB1704_195
; %bb.194:
	s_waitcnt lgkmcnt(1)
	v_xor_b32_e32 v1, 0xfffff4ff, v0
                                        ; implicit-def: $vgpr31
	v_ashrrev_i32_e32 v4, 31, v1
	v_add_co_u32 v3, vcc_lo, v19, v1
	v_add_co_ci_u32_e64 v4, null, v20, v4, vcc_lo
.LBB1704_195:
	s_andn2_saveexec_b32 s2, s2
	s_cbranch_execz .LBB1704_197
; %bb.196:
	s_waitcnt lgkmcnt(2)
	v_add_co_u32 v3, vcc_lo, v15, v31
	v_add_co_ci_u32_e64 v4, null, 0, v17, vcc_lo
.LBB1704_197:
	s_or_b32 exec_lo, exec_lo, s2
	s_waitcnt lgkmcnt(2)
	v_lshlrev_b64 v[3:4], 2, v[3:4]
	v_add_co_u32 v3, vcc_lo, s14, v3
	v_add_co_ci_u32_e64 v4, null, s15, v4, vcc_lo
	s_waitcnt lgkmcnt(1)
	global_store_dword v[3:4], v2, off
.LBB1704_198:
	s_or_b32 exec_lo, exec_lo, s1
	s_mov_b32 s1, exec_lo
                                        ; implicit-def: $vgpr13_vgpr14
	v_cmpx_gt_u32_e64 s25, v30
	s_cbranch_execz .LBB1704_204
; %bb.199:
	s_mov_b32 s2, exec_lo
                                        ; implicit-def: $vgpr13_vgpr14
	v_cmpx_ge_u32_e64 v30, v16
	s_xor_b32 s2, exec_lo, s2
	s_cbranch_execz .LBB1704_201
; %bb.200:
	s_waitcnt lgkmcnt(1)
	v_xor_b32_e32 v1, 0xfffff3ff, v0
                                        ; implicit-def: $vgpr30
	v_ashrrev_i32_e32 v2, 31, v1
	v_add_co_u32 v13, vcc_lo, v19, v1
	v_add_co_ci_u32_e64 v14, null, v20, v2, vcc_lo
.LBB1704_201:
	s_andn2_saveexec_b32 s2, s2
; %bb.202:
	v_add_co_u32 v13, vcc_lo, v15, v30
	v_add_co_ci_u32_e64 v14, null, 0, v17, vcc_lo
; %bb.203:
	s_or_b32 exec_lo, exec_lo, s2
	s_or_b32 s0, s0, exec_lo
.LBB1704_204:
	s_or_b32 exec_lo, exec_lo, s1
.LBB1704_205:
	s_and_saveexec_b32 s1, s0
	s_cbranch_execz .LBB1704_207
; %bb.206:
	s_waitcnt lgkmcnt(1)
	v_lshlrev_b64 v[1:2], 2, v[13:14]
	v_add_co_u32 v1, vcc_lo, s14, v1
	v_add_co_ci_u32_e64 v2, null, s15, v2, vcc_lo
	s_waitcnt lgkmcnt(0)
	global_store_dword v[1:2], v18, off
.LBB1704_207:
	s_or_b32 exec_lo, exec_lo, s1
	v_cmp_eq_u32_e32 vcc_lo, 0, v0
	s_and_b32 s0, vcc_lo, s24
	s_and_saveexec_b32 s1, s0
	s_cbranch_execz .LBB1704_209
; %bb.208:
	v_add_co_u32 v0, vcc_lo, v15, v16
	s_waitcnt lgkmcnt(1)
	v_mov_b32_e32 v2, 0
	v_add_co_ci_u32_e64 v1, null, 0, v17, vcc_lo
	global_store_dwordx2 v2, v[0:1], s[12:13]
.LBB1704_209:
	s_endpgm
	.section	.rodata,"a",@progbits
	.p2align	6, 0x0
	.amdhsa_kernel _ZN7rocprim17ROCPRIM_400000_NS6detail17trampoline_kernelINS0_13select_configILj256ELj13ELNS0_17block_load_methodE3ELS4_3ELS4_3ELNS0_20block_scan_algorithmE0ELj4294967295EEENS1_25partition_config_selectorILNS1_17partition_subalgoE3EjNS0_10empty_typeEbEEZZNS1_14partition_implILS8_3ELb0ES6_jNS0_17counting_iteratorIjlEEPS9_SE_NS0_5tupleIJPjSE_EEENSF_IJSE_SE_EEES9_SG_JZNS1_25segmented_radix_sort_implINS0_14default_configELb1EPK6__halfPSL_PKlPlN2at6native12_GLOBAL__N_18offset_tEEE10hipError_tPvRmT1_PNSt15iterator_traitsISZ_E10value_typeET2_T3_PNS10_IS15_E10value_typeET4_jRbjT5_S1B_jjP12ihipStream_tbEUljE_EEESW_SX_SY_S15_S19_S1B_T6_T7_T9_mT8_S1D_bDpT10_ENKUlT_T0_E_clISt17integral_constantIbLb0EES1Q_EEDaS1L_S1M_EUlS1L_E_NS1_11comp_targetILNS1_3genE8ELNS1_11target_archE1030ELNS1_3gpuE2ELNS1_3repE0EEENS1_30default_config_static_selectorELNS0_4arch9wavefront6targetE0EEEvSZ_
		.amdhsa_group_segment_fixed_size 13320
		.amdhsa_private_segment_fixed_size 0
		.amdhsa_kernarg_size 144
		.amdhsa_user_sgpr_count 6
		.amdhsa_user_sgpr_private_segment_buffer 1
		.amdhsa_user_sgpr_dispatch_ptr 0
		.amdhsa_user_sgpr_queue_ptr 0
		.amdhsa_user_sgpr_kernarg_segment_ptr 1
		.amdhsa_user_sgpr_dispatch_id 0
		.amdhsa_user_sgpr_flat_scratch_init 0
		.amdhsa_user_sgpr_private_segment_size 0
		.amdhsa_wavefront_size32 1
		.amdhsa_uses_dynamic_stack 0
		.amdhsa_system_sgpr_private_segment_wavefront_offset 0
		.amdhsa_system_sgpr_workgroup_id_x 1
		.amdhsa_system_sgpr_workgroup_id_y 0
		.amdhsa_system_sgpr_workgroup_id_z 0
		.amdhsa_system_sgpr_workgroup_info 0
		.amdhsa_system_vgpr_workitem_id 0
		.amdhsa_next_free_vgpr 69
		.amdhsa_next_free_sgpr 27
		.amdhsa_reserve_vcc 1
		.amdhsa_reserve_flat_scratch 0
		.amdhsa_float_round_mode_32 0
		.amdhsa_float_round_mode_16_64 0
		.amdhsa_float_denorm_mode_32 3
		.amdhsa_float_denorm_mode_16_64 3
		.amdhsa_dx10_clamp 1
		.amdhsa_ieee_mode 1
		.amdhsa_fp16_overflow 0
		.amdhsa_workgroup_processor_mode 1
		.amdhsa_memory_ordered 1
		.amdhsa_forward_progress 1
		.amdhsa_shared_vgpr_count 0
		.amdhsa_exception_fp_ieee_invalid_op 0
		.amdhsa_exception_fp_denorm_src 0
		.amdhsa_exception_fp_ieee_div_zero 0
		.amdhsa_exception_fp_ieee_overflow 0
		.amdhsa_exception_fp_ieee_underflow 0
		.amdhsa_exception_fp_ieee_inexact 0
		.amdhsa_exception_int_div_zero 0
	.end_amdhsa_kernel
	.section	.text._ZN7rocprim17ROCPRIM_400000_NS6detail17trampoline_kernelINS0_13select_configILj256ELj13ELNS0_17block_load_methodE3ELS4_3ELS4_3ELNS0_20block_scan_algorithmE0ELj4294967295EEENS1_25partition_config_selectorILNS1_17partition_subalgoE3EjNS0_10empty_typeEbEEZZNS1_14partition_implILS8_3ELb0ES6_jNS0_17counting_iteratorIjlEEPS9_SE_NS0_5tupleIJPjSE_EEENSF_IJSE_SE_EEES9_SG_JZNS1_25segmented_radix_sort_implINS0_14default_configELb1EPK6__halfPSL_PKlPlN2at6native12_GLOBAL__N_18offset_tEEE10hipError_tPvRmT1_PNSt15iterator_traitsISZ_E10value_typeET2_T3_PNS10_IS15_E10value_typeET4_jRbjT5_S1B_jjP12ihipStream_tbEUljE_EEESW_SX_SY_S15_S19_S1B_T6_T7_T9_mT8_S1D_bDpT10_ENKUlT_T0_E_clISt17integral_constantIbLb0EES1Q_EEDaS1L_S1M_EUlS1L_E_NS1_11comp_targetILNS1_3genE8ELNS1_11target_archE1030ELNS1_3gpuE2ELNS1_3repE0EEENS1_30default_config_static_selectorELNS0_4arch9wavefront6targetE0EEEvSZ_,"axG",@progbits,_ZN7rocprim17ROCPRIM_400000_NS6detail17trampoline_kernelINS0_13select_configILj256ELj13ELNS0_17block_load_methodE3ELS4_3ELS4_3ELNS0_20block_scan_algorithmE0ELj4294967295EEENS1_25partition_config_selectorILNS1_17partition_subalgoE3EjNS0_10empty_typeEbEEZZNS1_14partition_implILS8_3ELb0ES6_jNS0_17counting_iteratorIjlEEPS9_SE_NS0_5tupleIJPjSE_EEENSF_IJSE_SE_EEES9_SG_JZNS1_25segmented_radix_sort_implINS0_14default_configELb1EPK6__halfPSL_PKlPlN2at6native12_GLOBAL__N_18offset_tEEE10hipError_tPvRmT1_PNSt15iterator_traitsISZ_E10value_typeET2_T3_PNS10_IS15_E10value_typeET4_jRbjT5_S1B_jjP12ihipStream_tbEUljE_EEESW_SX_SY_S15_S19_S1B_T6_T7_T9_mT8_S1D_bDpT10_ENKUlT_T0_E_clISt17integral_constantIbLb0EES1Q_EEDaS1L_S1M_EUlS1L_E_NS1_11comp_targetILNS1_3genE8ELNS1_11target_archE1030ELNS1_3gpuE2ELNS1_3repE0EEENS1_30default_config_static_selectorELNS0_4arch9wavefront6targetE0EEEvSZ_,comdat
.Lfunc_end1704:
	.size	_ZN7rocprim17ROCPRIM_400000_NS6detail17trampoline_kernelINS0_13select_configILj256ELj13ELNS0_17block_load_methodE3ELS4_3ELS4_3ELNS0_20block_scan_algorithmE0ELj4294967295EEENS1_25partition_config_selectorILNS1_17partition_subalgoE3EjNS0_10empty_typeEbEEZZNS1_14partition_implILS8_3ELb0ES6_jNS0_17counting_iteratorIjlEEPS9_SE_NS0_5tupleIJPjSE_EEENSF_IJSE_SE_EEES9_SG_JZNS1_25segmented_radix_sort_implINS0_14default_configELb1EPK6__halfPSL_PKlPlN2at6native12_GLOBAL__N_18offset_tEEE10hipError_tPvRmT1_PNSt15iterator_traitsISZ_E10value_typeET2_T3_PNS10_IS15_E10value_typeET4_jRbjT5_S1B_jjP12ihipStream_tbEUljE_EEESW_SX_SY_S15_S19_S1B_T6_T7_T9_mT8_S1D_bDpT10_ENKUlT_T0_E_clISt17integral_constantIbLb0EES1Q_EEDaS1L_S1M_EUlS1L_E_NS1_11comp_targetILNS1_3genE8ELNS1_11target_archE1030ELNS1_3gpuE2ELNS1_3repE0EEENS1_30default_config_static_selectorELNS0_4arch9wavefront6targetE0EEEvSZ_, .Lfunc_end1704-_ZN7rocprim17ROCPRIM_400000_NS6detail17trampoline_kernelINS0_13select_configILj256ELj13ELNS0_17block_load_methodE3ELS4_3ELS4_3ELNS0_20block_scan_algorithmE0ELj4294967295EEENS1_25partition_config_selectorILNS1_17partition_subalgoE3EjNS0_10empty_typeEbEEZZNS1_14partition_implILS8_3ELb0ES6_jNS0_17counting_iteratorIjlEEPS9_SE_NS0_5tupleIJPjSE_EEENSF_IJSE_SE_EEES9_SG_JZNS1_25segmented_radix_sort_implINS0_14default_configELb1EPK6__halfPSL_PKlPlN2at6native12_GLOBAL__N_18offset_tEEE10hipError_tPvRmT1_PNSt15iterator_traitsISZ_E10value_typeET2_T3_PNS10_IS15_E10value_typeET4_jRbjT5_S1B_jjP12ihipStream_tbEUljE_EEESW_SX_SY_S15_S19_S1B_T6_T7_T9_mT8_S1D_bDpT10_ENKUlT_T0_E_clISt17integral_constantIbLb0EES1Q_EEDaS1L_S1M_EUlS1L_E_NS1_11comp_targetILNS1_3genE8ELNS1_11target_archE1030ELNS1_3gpuE2ELNS1_3repE0EEENS1_30default_config_static_selectorELNS0_4arch9wavefront6targetE0EEEvSZ_
                                        ; -- End function
	.set _ZN7rocprim17ROCPRIM_400000_NS6detail17trampoline_kernelINS0_13select_configILj256ELj13ELNS0_17block_load_methodE3ELS4_3ELS4_3ELNS0_20block_scan_algorithmE0ELj4294967295EEENS1_25partition_config_selectorILNS1_17partition_subalgoE3EjNS0_10empty_typeEbEEZZNS1_14partition_implILS8_3ELb0ES6_jNS0_17counting_iteratorIjlEEPS9_SE_NS0_5tupleIJPjSE_EEENSF_IJSE_SE_EEES9_SG_JZNS1_25segmented_radix_sort_implINS0_14default_configELb1EPK6__halfPSL_PKlPlN2at6native12_GLOBAL__N_18offset_tEEE10hipError_tPvRmT1_PNSt15iterator_traitsISZ_E10value_typeET2_T3_PNS10_IS15_E10value_typeET4_jRbjT5_S1B_jjP12ihipStream_tbEUljE_EEESW_SX_SY_S15_S19_S1B_T6_T7_T9_mT8_S1D_bDpT10_ENKUlT_T0_E_clISt17integral_constantIbLb0EES1Q_EEDaS1L_S1M_EUlS1L_E_NS1_11comp_targetILNS1_3genE8ELNS1_11target_archE1030ELNS1_3gpuE2ELNS1_3repE0EEENS1_30default_config_static_selectorELNS0_4arch9wavefront6targetE0EEEvSZ_.num_vgpr, 69
	.set _ZN7rocprim17ROCPRIM_400000_NS6detail17trampoline_kernelINS0_13select_configILj256ELj13ELNS0_17block_load_methodE3ELS4_3ELS4_3ELNS0_20block_scan_algorithmE0ELj4294967295EEENS1_25partition_config_selectorILNS1_17partition_subalgoE3EjNS0_10empty_typeEbEEZZNS1_14partition_implILS8_3ELb0ES6_jNS0_17counting_iteratorIjlEEPS9_SE_NS0_5tupleIJPjSE_EEENSF_IJSE_SE_EEES9_SG_JZNS1_25segmented_radix_sort_implINS0_14default_configELb1EPK6__halfPSL_PKlPlN2at6native12_GLOBAL__N_18offset_tEEE10hipError_tPvRmT1_PNSt15iterator_traitsISZ_E10value_typeET2_T3_PNS10_IS15_E10value_typeET4_jRbjT5_S1B_jjP12ihipStream_tbEUljE_EEESW_SX_SY_S15_S19_S1B_T6_T7_T9_mT8_S1D_bDpT10_ENKUlT_T0_E_clISt17integral_constantIbLb0EES1Q_EEDaS1L_S1M_EUlS1L_E_NS1_11comp_targetILNS1_3genE8ELNS1_11target_archE1030ELNS1_3gpuE2ELNS1_3repE0EEENS1_30default_config_static_selectorELNS0_4arch9wavefront6targetE0EEEvSZ_.num_agpr, 0
	.set _ZN7rocprim17ROCPRIM_400000_NS6detail17trampoline_kernelINS0_13select_configILj256ELj13ELNS0_17block_load_methodE3ELS4_3ELS4_3ELNS0_20block_scan_algorithmE0ELj4294967295EEENS1_25partition_config_selectorILNS1_17partition_subalgoE3EjNS0_10empty_typeEbEEZZNS1_14partition_implILS8_3ELb0ES6_jNS0_17counting_iteratorIjlEEPS9_SE_NS0_5tupleIJPjSE_EEENSF_IJSE_SE_EEES9_SG_JZNS1_25segmented_radix_sort_implINS0_14default_configELb1EPK6__halfPSL_PKlPlN2at6native12_GLOBAL__N_18offset_tEEE10hipError_tPvRmT1_PNSt15iterator_traitsISZ_E10value_typeET2_T3_PNS10_IS15_E10value_typeET4_jRbjT5_S1B_jjP12ihipStream_tbEUljE_EEESW_SX_SY_S15_S19_S1B_T6_T7_T9_mT8_S1D_bDpT10_ENKUlT_T0_E_clISt17integral_constantIbLb0EES1Q_EEDaS1L_S1M_EUlS1L_E_NS1_11comp_targetILNS1_3genE8ELNS1_11target_archE1030ELNS1_3gpuE2ELNS1_3repE0EEENS1_30default_config_static_selectorELNS0_4arch9wavefront6targetE0EEEvSZ_.numbered_sgpr, 27
	.set _ZN7rocprim17ROCPRIM_400000_NS6detail17trampoline_kernelINS0_13select_configILj256ELj13ELNS0_17block_load_methodE3ELS4_3ELS4_3ELNS0_20block_scan_algorithmE0ELj4294967295EEENS1_25partition_config_selectorILNS1_17partition_subalgoE3EjNS0_10empty_typeEbEEZZNS1_14partition_implILS8_3ELb0ES6_jNS0_17counting_iteratorIjlEEPS9_SE_NS0_5tupleIJPjSE_EEENSF_IJSE_SE_EEES9_SG_JZNS1_25segmented_radix_sort_implINS0_14default_configELb1EPK6__halfPSL_PKlPlN2at6native12_GLOBAL__N_18offset_tEEE10hipError_tPvRmT1_PNSt15iterator_traitsISZ_E10value_typeET2_T3_PNS10_IS15_E10value_typeET4_jRbjT5_S1B_jjP12ihipStream_tbEUljE_EEESW_SX_SY_S15_S19_S1B_T6_T7_T9_mT8_S1D_bDpT10_ENKUlT_T0_E_clISt17integral_constantIbLb0EES1Q_EEDaS1L_S1M_EUlS1L_E_NS1_11comp_targetILNS1_3genE8ELNS1_11target_archE1030ELNS1_3gpuE2ELNS1_3repE0EEENS1_30default_config_static_selectorELNS0_4arch9wavefront6targetE0EEEvSZ_.num_named_barrier, 0
	.set _ZN7rocprim17ROCPRIM_400000_NS6detail17trampoline_kernelINS0_13select_configILj256ELj13ELNS0_17block_load_methodE3ELS4_3ELS4_3ELNS0_20block_scan_algorithmE0ELj4294967295EEENS1_25partition_config_selectorILNS1_17partition_subalgoE3EjNS0_10empty_typeEbEEZZNS1_14partition_implILS8_3ELb0ES6_jNS0_17counting_iteratorIjlEEPS9_SE_NS0_5tupleIJPjSE_EEENSF_IJSE_SE_EEES9_SG_JZNS1_25segmented_radix_sort_implINS0_14default_configELb1EPK6__halfPSL_PKlPlN2at6native12_GLOBAL__N_18offset_tEEE10hipError_tPvRmT1_PNSt15iterator_traitsISZ_E10value_typeET2_T3_PNS10_IS15_E10value_typeET4_jRbjT5_S1B_jjP12ihipStream_tbEUljE_EEESW_SX_SY_S15_S19_S1B_T6_T7_T9_mT8_S1D_bDpT10_ENKUlT_T0_E_clISt17integral_constantIbLb0EES1Q_EEDaS1L_S1M_EUlS1L_E_NS1_11comp_targetILNS1_3genE8ELNS1_11target_archE1030ELNS1_3gpuE2ELNS1_3repE0EEENS1_30default_config_static_selectorELNS0_4arch9wavefront6targetE0EEEvSZ_.private_seg_size, 0
	.set _ZN7rocprim17ROCPRIM_400000_NS6detail17trampoline_kernelINS0_13select_configILj256ELj13ELNS0_17block_load_methodE3ELS4_3ELS4_3ELNS0_20block_scan_algorithmE0ELj4294967295EEENS1_25partition_config_selectorILNS1_17partition_subalgoE3EjNS0_10empty_typeEbEEZZNS1_14partition_implILS8_3ELb0ES6_jNS0_17counting_iteratorIjlEEPS9_SE_NS0_5tupleIJPjSE_EEENSF_IJSE_SE_EEES9_SG_JZNS1_25segmented_radix_sort_implINS0_14default_configELb1EPK6__halfPSL_PKlPlN2at6native12_GLOBAL__N_18offset_tEEE10hipError_tPvRmT1_PNSt15iterator_traitsISZ_E10value_typeET2_T3_PNS10_IS15_E10value_typeET4_jRbjT5_S1B_jjP12ihipStream_tbEUljE_EEESW_SX_SY_S15_S19_S1B_T6_T7_T9_mT8_S1D_bDpT10_ENKUlT_T0_E_clISt17integral_constantIbLb0EES1Q_EEDaS1L_S1M_EUlS1L_E_NS1_11comp_targetILNS1_3genE8ELNS1_11target_archE1030ELNS1_3gpuE2ELNS1_3repE0EEENS1_30default_config_static_selectorELNS0_4arch9wavefront6targetE0EEEvSZ_.uses_vcc, 1
	.set _ZN7rocprim17ROCPRIM_400000_NS6detail17trampoline_kernelINS0_13select_configILj256ELj13ELNS0_17block_load_methodE3ELS4_3ELS4_3ELNS0_20block_scan_algorithmE0ELj4294967295EEENS1_25partition_config_selectorILNS1_17partition_subalgoE3EjNS0_10empty_typeEbEEZZNS1_14partition_implILS8_3ELb0ES6_jNS0_17counting_iteratorIjlEEPS9_SE_NS0_5tupleIJPjSE_EEENSF_IJSE_SE_EEES9_SG_JZNS1_25segmented_radix_sort_implINS0_14default_configELb1EPK6__halfPSL_PKlPlN2at6native12_GLOBAL__N_18offset_tEEE10hipError_tPvRmT1_PNSt15iterator_traitsISZ_E10value_typeET2_T3_PNS10_IS15_E10value_typeET4_jRbjT5_S1B_jjP12ihipStream_tbEUljE_EEESW_SX_SY_S15_S19_S1B_T6_T7_T9_mT8_S1D_bDpT10_ENKUlT_T0_E_clISt17integral_constantIbLb0EES1Q_EEDaS1L_S1M_EUlS1L_E_NS1_11comp_targetILNS1_3genE8ELNS1_11target_archE1030ELNS1_3gpuE2ELNS1_3repE0EEENS1_30default_config_static_selectorELNS0_4arch9wavefront6targetE0EEEvSZ_.uses_flat_scratch, 0
	.set _ZN7rocprim17ROCPRIM_400000_NS6detail17trampoline_kernelINS0_13select_configILj256ELj13ELNS0_17block_load_methodE3ELS4_3ELS4_3ELNS0_20block_scan_algorithmE0ELj4294967295EEENS1_25partition_config_selectorILNS1_17partition_subalgoE3EjNS0_10empty_typeEbEEZZNS1_14partition_implILS8_3ELb0ES6_jNS0_17counting_iteratorIjlEEPS9_SE_NS0_5tupleIJPjSE_EEENSF_IJSE_SE_EEES9_SG_JZNS1_25segmented_radix_sort_implINS0_14default_configELb1EPK6__halfPSL_PKlPlN2at6native12_GLOBAL__N_18offset_tEEE10hipError_tPvRmT1_PNSt15iterator_traitsISZ_E10value_typeET2_T3_PNS10_IS15_E10value_typeET4_jRbjT5_S1B_jjP12ihipStream_tbEUljE_EEESW_SX_SY_S15_S19_S1B_T6_T7_T9_mT8_S1D_bDpT10_ENKUlT_T0_E_clISt17integral_constantIbLb0EES1Q_EEDaS1L_S1M_EUlS1L_E_NS1_11comp_targetILNS1_3genE8ELNS1_11target_archE1030ELNS1_3gpuE2ELNS1_3repE0EEENS1_30default_config_static_selectorELNS0_4arch9wavefront6targetE0EEEvSZ_.has_dyn_sized_stack, 0
	.set _ZN7rocprim17ROCPRIM_400000_NS6detail17trampoline_kernelINS0_13select_configILj256ELj13ELNS0_17block_load_methodE3ELS4_3ELS4_3ELNS0_20block_scan_algorithmE0ELj4294967295EEENS1_25partition_config_selectorILNS1_17partition_subalgoE3EjNS0_10empty_typeEbEEZZNS1_14partition_implILS8_3ELb0ES6_jNS0_17counting_iteratorIjlEEPS9_SE_NS0_5tupleIJPjSE_EEENSF_IJSE_SE_EEES9_SG_JZNS1_25segmented_radix_sort_implINS0_14default_configELb1EPK6__halfPSL_PKlPlN2at6native12_GLOBAL__N_18offset_tEEE10hipError_tPvRmT1_PNSt15iterator_traitsISZ_E10value_typeET2_T3_PNS10_IS15_E10value_typeET4_jRbjT5_S1B_jjP12ihipStream_tbEUljE_EEESW_SX_SY_S15_S19_S1B_T6_T7_T9_mT8_S1D_bDpT10_ENKUlT_T0_E_clISt17integral_constantIbLb0EES1Q_EEDaS1L_S1M_EUlS1L_E_NS1_11comp_targetILNS1_3genE8ELNS1_11target_archE1030ELNS1_3gpuE2ELNS1_3repE0EEENS1_30default_config_static_selectorELNS0_4arch9wavefront6targetE0EEEvSZ_.has_recursion, 0
	.set _ZN7rocprim17ROCPRIM_400000_NS6detail17trampoline_kernelINS0_13select_configILj256ELj13ELNS0_17block_load_methodE3ELS4_3ELS4_3ELNS0_20block_scan_algorithmE0ELj4294967295EEENS1_25partition_config_selectorILNS1_17partition_subalgoE3EjNS0_10empty_typeEbEEZZNS1_14partition_implILS8_3ELb0ES6_jNS0_17counting_iteratorIjlEEPS9_SE_NS0_5tupleIJPjSE_EEENSF_IJSE_SE_EEES9_SG_JZNS1_25segmented_radix_sort_implINS0_14default_configELb1EPK6__halfPSL_PKlPlN2at6native12_GLOBAL__N_18offset_tEEE10hipError_tPvRmT1_PNSt15iterator_traitsISZ_E10value_typeET2_T3_PNS10_IS15_E10value_typeET4_jRbjT5_S1B_jjP12ihipStream_tbEUljE_EEESW_SX_SY_S15_S19_S1B_T6_T7_T9_mT8_S1D_bDpT10_ENKUlT_T0_E_clISt17integral_constantIbLb0EES1Q_EEDaS1L_S1M_EUlS1L_E_NS1_11comp_targetILNS1_3genE8ELNS1_11target_archE1030ELNS1_3gpuE2ELNS1_3repE0EEENS1_30default_config_static_selectorELNS0_4arch9wavefront6targetE0EEEvSZ_.has_indirect_call, 0
	.section	.AMDGPU.csdata,"",@progbits
; Kernel info:
; codeLenInByte = 8564
; TotalNumSgprs: 29
; NumVgprs: 69
; ScratchSize: 0
; MemoryBound: 0
; FloatMode: 240
; IeeeMode: 1
; LDSByteSize: 13320 bytes/workgroup (compile time only)
; SGPRBlocks: 0
; VGPRBlocks: 8
; NumSGPRsForWavesPerEU: 29
; NumVGPRsForWavesPerEU: 69
; Occupancy: 12
; WaveLimiterHint : 0
; COMPUTE_PGM_RSRC2:SCRATCH_EN: 0
; COMPUTE_PGM_RSRC2:USER_SGPR: 6
; COMPUTE_PGM_RSRC2:TRAP_HANDLER: 0
; COMPUTE_PGM_RSRC2:TGID_X_EN: 1
; COMPUTE_PGM_RSRC2:TGID_Y_EN: 0
; COMPUTE_PGM_RSRC2:TGID_Z_EN: 0
; COMPUTE_PGM_RSRC2:TIDIG_COMP_CNT: 0
	.section	.text._ZN7rocprim17ROCPRIM_400000_NS6detail17trampoline_kernelINS0_13select_configILj256ELj13ELNS0_17block_load_methodE3ELS4_3ELS4_3ELNS0_20block_scan_algorithmE0ELj4294967295EEENS1_25partition_config_selectorILNS1_17partition_subalgoE3EjNS0_10empty_typeEbEEZZNS1_14partition_implILS8_3ELb0ES6_jNS0_17counting_iteratorIjlEEPS9_SE_NS0_5tupleIJPjSE_EEENSF_IJSE_SE_EEES9_SG_JZNS1_25segmented_radix_sort_implINS0_14default_configELb1EPK6__halfPSL_PKlPlN2at6native12_GLOBAL__N_18offset_tEEE10hipError_tPvRmT1_PNSt15iterator_traitsISZ_E10value_typeET2_T3_PNS10_IS15_E10value_typeET4_jRbjT5_S1B_jjP12ihipStream_tbEUljE_EEESW_SX_SY_S15_S19_S1B_T6_T7_T9_mT8_S1D_bDpT10_ENKUlT_T0_E_clISt17integral_constantIbLb1EES1Q_EEDaS1L_S1M_EUlS1L_E_NS1_11comp_targetILNS1_3genE0ELNS1_11target_archE4294967295ELNS1_3gpuE0ELNS1_3repE0EEENS1_30default_config_static_selectorELNS0_4arch9wavefront6targetE0EEEvSZ_,"axG",@progbits,_ZN7rocprim17ROCPRIM_400000_NS6detail17trampoline_kernelINS0_13select_configILj256ELj13ELNS0_17block_load_methodE3ELS4_3ELS4_3ELNS0_20block_scan_algorithmE0ELj4294967295EEENS1_25partition_config_selectorILNS1_17partition_subalgoE3EjNS0_10empty_typeEbEEZZNS1_14partition_implILS8_3ELb0ES6_jNS0_17counting_iteratorIjlEEPS9_SE_NS0_5tupleIJPjSE_EEENSF_IJSE_SE_EEES9_SG_JZNS1_25segmented_radix_sort_implINS0_14default_configELb1EPK6__halfPSL_PKlPlN2at6native12_GLOBAL__N_18offset_tEEE10hipError_tPvRmT1_PNSt15iterator_traitsISZ_E10value_typeET2_T3_PNS10_IS15_E10value_typeET4_jRbjT5_S1B_jjP12ihipStream_tbEUljE_EEESW_SX_SY_S15_S19_S1B_T6_T7_T9_mT8_S1D_bDpT10_ENKUlT_T0_E_clISt17integral_constantIbLb1EES1Q_EEDaS1L_S1M_EUlS1L_E_NS1_11comp_targetILNS1_3genE0ELNS1_11target_archE4294967295ELNS1_3gpuE0ELNS1_3repE0EEENS1_30default_config_static_selectorELNS0_4arch9wavefront6targetE0EEEvSZ_,comdat
	.globl	_ZN7rocprim17ROCPRIM_400000_NS6detail17trampoline_kernelINS0_13select_configILj256ELj13ELNS0_17block_load_methodE3ELS4_3ELS4_3ELNS0_20block_scan_algorithmE0ELj4294967295EEENS1_25partition_config_selectorILNS1_17partition_subalgoE3EjNS0_10empty_typeEbEEZZNS1_14partition_implILS8_3ELb0ES6_jNS0_17counting_iteratorIjlEEPS9_SE_NS0_5tupleIJPjSE_EEENSF_IJSE_SE_EEES9_SG_JZNS1_25segmented_radix_sort_implINS0_14default_configELb1EPK6__halfPSL_PKlPlN2at6native12_GLOBAL__N_18offset_tEEE10hipError_tPvRmT1_PNSt15iterator_traitsISZ_E10value_typeET2_T3_PNS10_IS15_E10value_typeET4_jRbjT5_S1B_jjP12ihipStream_tbEUljE_EEESW_SX_SY_S15_S19_S1B_T6_T7_T9_mT8_S1D_bDpT10_ENKUlT_T0_E_clISt17integral_constantIbLb1EES1Q_EEDaS1L_S1M_EUlS1L_E_NS1_11comp_targetILNS1_3genE0ELNS1_11target_archE4294967295ELNS1_3gpuE0ELNS1_3repE0EEENS1_30default_config_static_selectorELNS0_4arch9wavefront6targetE0EEEvSZ_ ; -- Begin function _ZN7rocprim17ROCPRIM_400000_NS6detail17trampoline_kernelINS0_13select_configILj256ELj13ELNS0_17block_load_methodE3ELS4_3ELS4_3ELNS0_20block_scan_algorithmE0ELj4294967295EEENS1_25partition_config_selectorILNS1_17partition_subalgoE3EjNS0_10empty_typeEbEEZZNS1_14partition_implILS8_3ELb0ES6_jNS0_17counting_iteratorIjlEEPS9_SE_NS0_5tupleIJPjSE_EEENSF_IJSE_SE_EEES9_SG_JZNS1_25segmented_radix_sort_implINS0_14default_configELb1EPK6__halfPSL_PKlPlN2at6native12_GLOBAL__N_18offset_tEEE10hipError_tPvRmT1_PNSt15iterator_traitsISZ_E10value_typeET2_T3_PNS10_IS15_E10value_typeET4_jRbjT5_S1B_jjP12ihipStream_tbEUljE_EEESW_SX_SY_S15_S19_S1B_T6_T7_T9_mT8_S1D_bDpT10_ENKUlT_T0_E_clISt17integral_constantIbLb1EES1Q_EEDaS1L_S1M_EUlS1L_E_NS1_11comp_targetILNS1_3genE0ELNS1_11target_archE4294967295ELNS1_3gpuE0ELNS1_3repE0EEENS1_30default_config_static_selectorELNS0_4arch9wavefront6targetE0EEEvSZ_
	.p2align	8
	.type	_ZN7rocprim17ROCPRIM_400000_NS6detail17trampoline_kernelINS0_13select_configILj256ELj13ELNS0_17block_load_methodE3ELS4_3ELS4_3ELNS0_20block_scan_algorithmE0ELj4294967295EEENS1_25partition_config_selectorILNS1_17partition_subalgoE3EjNS0_10empty_typeEbEEZZNS1_14partition_implILS8_3ELb0ES6_jNS0_17counting_iteratorIjlEEPS9_SE_NS0_5tupleIJPjSE_EEENSF_IJSE_SE_EEES9_SG_JZNS1_25segmented_radix_sort_implINS0_14default_configELb1EPK6__halfPSL_PKlPlN2at6native12_GLOBAL__N_18offset_tEEE10hipError_tPvRmT1_PNSt15iterator_traitsISZ_E10value_typeET2_T3_PNS10_IS15_E10value_typeET4_jRbjT5_S1B_jjP12ihipStream_tbEUljE_EEESW_SX_SY_S15_S19_S1B_T6_T7_T9_mT8_S1D_bDpT10_ENKUlT_T0_E_clISt17integral_constantIbLb1EES1Q_EEDaS1L_S1M_EUlS1L_E_NS1_11comp_targetILNS1_3genE0ELNS1_11target_archE4294967295ELNS1_3gpuE0ELNS1_3repE0EEENS1_30default_config_static_selectorELNS0_4arch9wavefront6targetE0EEEvSZ_,@function
_ZN7rocprim17ROCPRIM_400000_NS6detail17trampoline_kernelINS0_13select_configILj256ELj13ELNS0_17block_load_methodE3ELS4_3ELS4_3ELNS0_20block_scan_algorithmE0ELj4294967295EEENS1_25partition_config_selectorILNS1_17partition_subalgoE3EjNS0_10empty_typeEbEEZZNS1_14partition_implILS8_3ELb0ES6_jNS0_17counting_iteratorIjlEEPS9_SE_NS0_5tupleIJPjSE_EEENSF_IJSE_SE_EEES9_SG_JZNS1_25segmented_radix_sort_implINS0_14default_configELb1EPK6__halfPSL_PKlPlN2at6native12_GLOBAL__N_18offset_tEEE10hipError_tPvRmT1_PNSt15iterator_traitsISZ_E10value_typeET2_T3_PNS10_IS15_E10value_typeET4_jRbjT5_S1B_jjP12ihipStream_tbEUljE_EEESW_SX_SY_S15_S19_S1B_T6_T7_T9_mT8_S1D_bDpT10_ENKUlT_T0_E_clISt17integral_constantIbLb1EES1Q_EEDaS1L_S1M_EUlS1L_E_NS1_11comp_targetILNS1_3genE0ELNS1_11target_archE4294967295ELNS1_3gpuE0ELNS1_3repE0EEENS1_30default_config_static_selectorELNS0_4arch9wavefront6targetE0EEEvSZ_: ; @_ZN7rocprim17ROCPRIM_400000_NS6detail17trampoline_kernelINS0_13select_configILj256ELj13ELNS0_17block_load_methodE3ELS4_3ELS4_3ELNS0_20block_scan_algorithmE0ELj4294967295EEENS1_25partition_config_selectorILNS1_17partition_subalgoE3EjNS0_10empty_typeEbEEZZNS1_14partition_implILS8_3ELb0ES6_jNS0_17counting_iteratorIjlEEPS9_SE_NS0_5tupleIJPjSE_EEENSF_IJSE_SE_EEES9_SG_JZNS1_25segmented_radix_sort_implINS0_14default_configELb1EPK6__halfPSL_PKlPlN2at6native12_GLOBAL__N_18offset_tEEE10hipError_tPvRmT1_PNSt15iterator_traitsISZ_E10value_typeET2_T3_PNS10_IS15_E10value_typeET4_jRbjT5_S1B_jjP12ihipStream_tbEUljE_EEESW_SX_SY_S15_S19_S1B_T6_T7_T9_mT8_S1D_bDpT10_ENKUlT_T0_E_clISt17integral_constantIbLb1EES1Q_EEDaS1L_S1M_EUlS1L_E_NS1_11comp_targetILNS1_3genE0ELNS1_11target_archE4294967295ELNS1_3gpuE0ELNS1_3repE0EEENS1_30default_config_static_selectorELNS0_4arch9wavefront6targetE0EEEvSZ_
; %bb.0:
	.section	.rodata,"a",@progbits
	.p2align	6, 0x0
	.amdhsa_kernel _ZN7rocprim17ROCPRIM_400000_NS6detail17trampoline_kernelINS0_13select_configILj256ELj13ELNS0_17block_load_methodE3ELS4_3ELS4_3ELNS0_20block_scan_algorithmE0ELj4294967295EEENS1_25partition_config_selectorILNS1_17partition_subalgoE3EjNS0_10empty_typeEbEEZZNS1_14partition_implILS8_3ELb0ES6_jNS0_17counting_iteratorIjlEEPS9_SE_NS0_5tupleIJPjSE_EEENSF_IJSE_SE_EEES9_SG_JZNS1_25segmented_radix_sort_implINS0_14default_configELb1EPK6__halfPSL_PKlPlN2at6native12_GLOBAL__N_18offset_tEEE10hipError_tPvRmT1_PNSt15iterator_traitsISZ_E10value_typeET2_T3_PNS10_IS15_E10value_typeET4_jRbjT5_S1B_jjP12ihipStream_tbEUljE_EEESW_SX_SY_S15_S19_S1B_T6_T7_T9_mT8_S1D_bDpT10_ENKUlT_T0_E_clISt17integral_constantIbLb1EES1Q_EEDaS1L_S1M_EUlS1L_E_NS1_11comp_targetILNS1_3genE0ELNS1_11target_archE4294967295ELNS1_3gpuE0ELNS1_3repE0EEENS1_30default_config_static_selectorELNS0_4arch9wavefront6targetE0EEEvSZ_
		.amdhsa_group_segment_fixed_size 0
		.amdhsa_private_segment_fixed_size 0
		.amdhsa_kernarg_size 152
		.amdhsa_user_sgpr_count 6
		.amdhsa_user_sgpr_private_segment_buffer 1
		.amdhsa_user_sgpr_dispatch_ptr 0
		.amdhsa_user_sgpr_queue_ptr 0
		.amdhsa_user_sgpr_kernarg_segment_ptr 1
		.amdhsa_user_sgpr_dispatch_id 0
		.amdhsa_user_sgpr_flat_scratch_init 0
		.amdhsa_user_sgpr_private_segment_size 0
		.amdhsa_wavefront_size32 1
		.amdhsa_uses_dynamic_stack 0
		.amdhsa_system_sgpr_private_segment_wavefront_offset 0
		.amdhsa_system_sgpr_workgroup_id_x 1
		.amdhsa_system_sgpr_workgroup_id_y 0
		.amdhsa_system_sgpr_workgroup_id_z 0
		.amdhsa_system_sgpr_workgroup_info 0
		.amdhsa_system_vgpr_workitem_id 0
		.amdhsa_next_free_vgpr 1
		.amdhsa_next_free_sgpr 1
		.amdhsa_reserve_vcc 0
		.amdhsa_reserve_flat_scratch 0
		.amdhsa_float_round_mode_32 0
		.amdhsa_float_round_mode_16_64 0
		.amdhsa_float_denorm_mode_32 3
		.amdhsa_float_denorm_mode_16_64 3
		.amdhsa_dx10_clamp 1
		.amdhsa_ieee_mode 1
		.amdhsa_fp16_overflow 0
		.amdhsa_workgroup_processor_mode 1
		.amdhsa_memory_ordered 1
		.amdhsa_forward_progress 1
		.amdhsa_shared_vgpr_count 0
		.amdhsa_exception_fp_ieee_invalid_op 0
		.amdhsa_exception_fp_denorm_src 0
		.amdhsa_exception_fp_ieee_div_zero 0
		.amdhsa_exception_fp_ieee_overflow 0
		.amdhsa_exception_fp_ieee_underflow 0
		.amdhsa_exception_fp_ieee_inexact 0
		.amdhsa_exception_int_div_zero 0
	.end_amdhsa_kernel
	.section	.text._ZN7rocprim17ROCPRIM_400000_NS6detail17trampoline_kernelINS0_13select_configILj256ELj13ELNS0_17block_load_methodE3ELS4_3ELS4_3ELNS0_20block_scan_algorithmE0ELj4294967295EEENS1_25partition_config_selectorILNS1_17partition_subalgoE3EjNS0_10empty_typeEbEEZZNS1_14partition_implILS8_3ELb0ES6_jNS0_17counting_iteratorIjlEEPS9_SE_NS0_5tupleIJPjSE_EEENSF_IJSE_SE_EEES9_SG_JZNS1_25segmented_radix_sort_implINS0_14default_configELb1EPK6__halfPSL_PKlPlN2at6native12_GLOBAL__N_18offset_tEEE10hipError_tPvRmT1_PNSt15iterator_traitsISZ_E10value_typeET2_T3_PNS10_IS15_E10value_typeET4_jRbjT5_S1B_jjP12ihipStream_tbEUljE_EEESW_SX_SY_S15_S19_S1B_T6_T7_T9_mT8_S1D_bDpT10_ENKUlT_T0_E_clISt17integral_constantIbLb1EES1Q_EEDaS1L_S1M_EUlS1L_E_NS1_11comp_targetILNS1_3genE0ELNS1_11target_archE4294967295ELNS1_3gpuE0ELNS1_3repE0EEENS1_30default_config_static_selectorELNS0_4arch9wavefront6targetE0EEEvSZ_,"axG",@progbits,_ZN7rocprim17ROCPRIM_400000_NS6detail17trampoline_kernelINS0_13select_configILj256ELj13ELNS0_17block_load_methodE3ELS4_3ELS4_3ELNS0_20block_scan_algorithmE0ELj4294967295EEENS1_25partition_config_selectorILNS1_17partition_subalgoE3EjNS0_10empty_typeEbEEZZNS1_14partition_implILS8_3ELb0ES6_jNS0_17counting_iteratorIjlEEPS9_SE_NS0_5tupleIJPjSE_EEENSF_IJSE_SE_EEES9_SG_JZNS1_25segmented_radix_sort_implINS0_14default_configELb1EPK6__halfPSL_PKlPlN2at6native12_GLOBAL__N_18offset_tEEE10hipError_tPvRmT1_PNSt15iterator_traitsISZ_E10value_typeET2_T3_PNS10_IS15_E10value_typeET4_jRbjT5_S1B_jjP12ihipStream_tbEUljE_EEESW_SX_SY_S15_S19_S1B_T6_T7_T9_mT8_S1D_bDpT10_ENKUlT_T0_E_clISt17integral_constantIbLb1EES1Q_EEDaS1L_S1M_EUlS1L_E_NS1_11comp_targetILNS1_3genE0ELNS1_11target_archE4294967295ELNS1_3gpuE0ELNS1_3repE0EEENS1_30default_config_static_selectorELNS0_4arch9wavefront6targetE0EEEvSZ_,comdat
.Lfunc_end1705:
	.size	_ZN7rocprim17ROCPRIM_400000_NS6detail17trampoline_kernelINS0_13select_configILj256ELj13ELNS0_17block_load_methodE3ELS4_3ELS4_3ELNS0_20block_scan_algorithmE0ELj4294967295EEENS1_25partition_config_selectorILNS1_17partition_subalgoE3EjNS0_10empty_typeEbEEZZNS1_14partition_implILS8_3ELb0ES6_jNS0_17counting_iteratorIjlEEPS9_SE_NS0_5tupleIJPjSE_EEENSF_IJSE_SE_EEES9_SG_JZNS1_25segmented_radix_sort_implINS0_14default_configELb1EPK6__halfPSL_PKlPlN2at6native12_GLOBAL__N_18offset_tEEE10hipError_tPvRmT1_PNSt15iterator_traitsISZ_E10value_typeET2_T3_PNS10_IS15_E10value_typeET4_jRbjT5_S1B_jjP12ihipStream_tbEUljE_EEESW_SX_SY_S15_S19_S1B_T6_T7_T9_mT8_S1D_bDpT10_ENKUlT_T0_E_clISt17integral_constantIbLb1EES1Q_EEDaS1L_S1M_EUlS1L_E_NS1_11comp_targetILNS1_3genE0ELNS1_11target_archE4294967295ELNS1_3gpuE0ELNS1_3repE0EEENS1_30default_config_static_selectorELNS0_4arch9wavefront6targetE0EEEvSZ_, .Lfunc_end1705-_ZN7rocprim17ROCPRIM_400000_NS6detail17trampoline_kernelINS0_13select_configILj256ELj13ELNS0_17block_load_methodE3ELS4_3ELS4_3ELNS0_20block_scan_algorithmE0ELj4294967295EEENS1_25partition_config_selectorILNS1_17partition_subalgoE3EjNS0_10empty_typeEbEEZZNS1_14partition_implILS8_3ELb0ES6_jNS0_17counting_iteratorIjlEEPS9_SE_NS0_5tupleIJPjSE_EEENSF_IJSE_SE_EEES9_SG_JZNS1_25segmented_radix_sort_implINS0_14default_configELb1EPK6__halfPSL_PKlPlN2at6native12_GLOBAL__N_18offset_tEEE10hipError_tPvRmT1_PNSt15iterator_traitsISZ_E10value_typeET2_T3_PNS10_IS15_E10value_typeET4_jRbjT5_S1B_jjP12ihipStream_tbEUljE_EEESW_SX_SY_S15_S19_S1B_T6_T7_T9_mT8_S1D_bDpT10_ENKUlT_T0_E_clISt17integral_constantIbLb1EES1Q_EEDaS1L_S1M_EUlS1L_E_NS1_11comp_targetILNS1_3genE0ELNS1_11target_archE4294967295ELNS1_3gpuE0ELNS1_3repE0EEENS1_30default_config_static_selectorELNS0_4arch9wavefront6targetE0EEEvSZ_
                                        ; -- End function
	.set _ZN7rocprim17ROCPRIM_400000_NS6detail17trampoline_kernelINS0_13select_configILj256ELj13ELNS0_17block_load_methodE3ELS4_3ELS4_3ELNS0_20block_scan_algorithmE0ELj4294967295EEENS1_25partition_config_selectorILNS1_17partition_subalgoE3EjNS0_10empty_typeEbEEZZNS1_14partition_implILS8_3ELb0ES6_jNS0_17counting_iteratorIjlEEPS9_SE_NS0_5tupleIJPjSE_EEENSF_IJSE_SE_EEES9_SG_JZNS1_25segmented_radix_sort_implINS0_14default_configELb1EPK6__halfPSL_PKlPlN2at6native12_GLOBAL__N_18offset_tEEE10hipError_tPvRmT1_PNSt15iterator_traitsISZ_E10value_typeET2_T3_PNS10_IS15_E10value_typeET4_jRbjT5_S1B_jjP12ihipStream_tbEUljE_EEESW_SX_SY_S15_S19_S1B_T6_T7_T9_mT8_S1D_bDpT10_ENKUlT_T0_E_clISt17integral_constantIbLb1EES1Q_EEDaS1L_S1M_EUlS1L_E_NS1_11comp_targetILNS1_3genE0ELNS1_11target_archE4294967295ELNS1_3gpuE0ELNS1_3repE0EEENS1_30default_config_static_selectorELNS0_4arch9wavefront6targetE0EEEvSZ_.num_vgpr, 0
	.set _ZN7rocprim17ROCPRIM_400000_NS6detail17trampoline_kernelINS0_13select_configILj256ELj13ELNS0_17block_load_methodE3ELS4_3ELS4_3ELNS0_20block_scan_algorithmE0ELj4294967295EEENS1_25partition_config_selectorILNS1_17partition_subalgoE3EjNS0_10empty_typeEbEEZZNS1_14partition_implILS8_3ELb0ES6_jNS0_17counting_iteratorIjlEEPS9_SE_NS0_5tupleIJPjSE_EEENSF_IJSE_SE_EEES9_SG_JZNS1_25segmented_radix_sort_implINS0_14default_configELb1EPK6__halfPSL_PKlPlN2at6native12_GLOBAL__N_18offset_tEEE10hipError_tPvRmT1_PNSt15iterator_traitsISZ_E10value_typeET2_T3_PNS10_IS15_E10value_typeET4_jRbjT5_S1B_jjP12ihipStream_tbEUljE_EEESW_SX_SY_S15_S19_S1B_T6_T7_T9_mT8_S1D_bDpT10_ENKUlT_T0_E_clISt17integral_constantIbLb1EES1Q_EEDaS1L_S1M_EUlS1L_E_NS1_11comp_targetILNS1_3genE0ELNS1_11target_archE4294967295ELNS1_3gpuE0ELNS1_3repE0EEENS1_30default_config_static_selectorELNS0_4arch9wavefront6targetE0EEEvSZ_.num_agpr, 0
	.set _ZN7rocprim17ROCPRIM_400000_NS6detail17trampoline_kernelINS0_13select_configILj256ELj13ELNS0_17block_load_methodE3ELS4_3ELS4_3ELNS0_20block_scan_algorithmE0ELj4294967295EEENS1_25partition_config_selectorILNS1_17partition_subalgoE3EjNS0_10empty_typeEbEEZZNS1_14partition_implILS8_3ELb0ES6_jNS0_17counting_iteratorIjlEEPS9_SE_NS0_5tupleIJPjSE_EEENSF_IJSE_SE_EEES9_SG_JZNS1_25segmented_radix_sort_implINS0_14default_configELb1EPK6__halfPSL_PKlPlN2at6native12_GLOBAL__N_18offset_tEEE10hipError_tPvRmT1_PNSt15iterator_traitsISZ_E10value_typeET2_T3_PNS10_IS15_E10value_typeET4_jRbjT5_S1B_jjP12ihipStream_tbEUljE_EEESW_SX_SY_S15_S19_S1B_T6_T7_T9_mT8_S1D_bDpT10_ENKUlT_T0_E_clISt17integral_constantIbLb1EES1Q_EEDaS1L_S1M_EUlS1L_E_NS1_11comp_targetILNS1_3genE0ELNS1_11target_archE4294967295ELNS1_3gpuE0ELNS1_3repE0EEENS1_30default_config_static_selectorELNS0_4arch9wavefront6targetE0EEEvSZ_.numbered_sgpr, 0
	.set _ZN7rocprim17ROCPRIM_400000_NS6detail17trampoline_kernelINS0_13select_configILj256ELj13ELNS0_17block_load_methodE3ELS4_3ELS4_3ELNS0_20block_scan_algorithmE0ELj4294967295EEENS1_25partition_config_selectorILNS1_17partition_subalgoE3EjNS0_10empty_typeEbEEZZNS1_14partition_implILS8_3ELb0ES6_jNS0_17counting_iteratorIjlEEPS9_SE_NS0_5tupleIJPjSE_EEENSF_IJSE_SE_EEES9_SG_JZNS1_25segmented_radix_sort_implINS0_14default_configELb1EPK6__halfPSL_PKlPlN2at6native12_GLOBAL__N_18offset_tEEE10hipError_tPvRmT1_PNSt15iterator_traitsISZ_E10value_typeET2_T3_PNS10_IS15_E10value_typeET4_jRbjT5_S1B_jjP12ihipStream_tbEUljE_EEESW_SX_SY_S15_S19_S1B_T6_T7_T9_mT8_S1D_bDpT10_ENKUlT_T0_E_clISt17integral_constantIbLb1EES1Q_EEDaS1L_S1M_EUlS1L_E_NS1_11comp_targetILNS1_3genE0ELNS1_11target_archE4294967295ELNS1_3gpuE0ELNS1_3repE0EEENS1_30default_config_static_selectorELNS0_4arch9wavefront6targetE0EEEvSZ_.num_named_barrier, 0
	.set _ZN7rocprim17ROCPRIM_400000_NS6detail17trampoline_kernelINS0_13select_configILj256ELj13ELNS0_17block_load_methodE3ELS4_3ELS4_3ELNS0_20block_scan_algorithmE0ELj4294967295EEENS1_25partition_config_selectorILNS1_17partition_subalgoE3EjNS0_10empty_typeEbEEZZNS1_14partition_implILS8_3ELb0ES6_jNS0_17counting_iteratorIjlEEPS9_SE_NS0_5tupleIJPjSE_EEENSF_IJSE_SE_EEES9_SG_JZNS1_25segmented_radix_sort_implINS0_14default_configELb1EPK6__halfPSL_PKlPlN2at6native12_GLOBAL__N_18offset_tEEE10hipError_tPvRmT1_PNSt15iterator_traitsISZ_E10value_typeET2_T3_PNS10_IS15_E10value_typeET4_jRbjT5_S1B_jjP12ihipStream_tbEUljE_EEESW_SX_SY_S15_S19_S1B_T6_T7_T9_mT8_S1D_bDpT10_ENKUlT_T0_E_clISt17integral_constantIbLb1EES1Q_EEDaS1L_S1M_EUlS1L_E_NS1_11comp_targetILNS1_3genE0ELNS1_11target_archE4294967295ELNS1_3gpuE0ELNS1_3repE0EEENS1_30default_config_static_selectorELNS0_4arch9wavefront6targetE0EEEvSZ_.private_seg_size, 0
	.set _ZN7rocprim17ROCPRIM_400000_NS6detail17trampoline_kernelINS0_13select_configILj256ELj13ELNS0_17block_load_methodE3ELS4_3ELS4_3ELNS0_20block_scan_algorithmE0ELj4294967295EEENS1_25partition_config_selectorILNS1_17partition_subalgoE3EjNS0_10empty_typeEbEEZZNS1_14partition_implILS8_3ELb0ES6_jNS0_17counting_iteratorIjlEEPS9_SE_NS0_5tupleIJPjSE_EEENSF_IJSE_SE_EEES9_SG_JZNS1_25segmented_radix_sort_implINS0_14default_configELb1EPK6__halfPSL_PKlPlN2at6native12_GLOBAL__N_18offset_tEEE10hipError_tPvRmT1_PNSt15iterator_traitsISZ_E10value_typeET2_T3_PNS10_IS15_E10value_typeET4_jRbjT5_S1B_jjP12ihipStream_tbEUljE_EEESW_SX_SY_S15_S19_S1B_T6_T7_T9_mT8_S1D_bDpT10_ENKUlT_T0_E_clISt17integral_constantIbLb1EES1Q_EEDaS1L_S1M_EUlS1L_E_NS1_11comp_targetILNS1_3genE0ELNS1_11target_archE4294967295ELNS1_3gpuE0ELNS1_3repE0EEENS1_30default_config_static_selectorELNS0_4arch9wavefront6targetE0EEEvSZ_.uses_vcc, 0
	.set _ZN7rocprim17ROCPRIM_400000_NS6detail17trampoline_kernelINS0_13select_configILj256ELj13ELNS0_17block_load_methodE3ELS4_3ELS4_3ELNS0_20block_scan_algorithmE0ELj4294967295EEENS1_25partition_config_selectorILNS1_17partition_subalgoE3EjNS0_10empty_typeEbEEZZNS1_14partition_implILS8_3ELb0ES6_jNS0_17counting_iteratorIjlEEPS9_SE_NS0_5tupleIJPjSE_EEENSF_IJSE_SE_EEES9_SG_JZNS1_25segmented_radix_sort_implINS0_14default_configELb1EPK6__halfPSL_PKlPlN2at6native12_GLOBAL__N_18offset_tEEE10hipError_tPvRmT1_PNSt15iterator_traitsISZ_E10value_typeET2_T3_PNS10_IS15_E10value_typeET4_jRbjT5_S1B_jjP12ihipStream_tbEUljE_EEESW_SX_SY_S15_S19_S1B_T6_T7_T9_mT8_S1D_bDpT10_ENKUlT_T0_E_clISt17integral_constantIbLb1EES1Q_EEDaS1L_S1M_EUlS1L_E_NS1_11comp_targetILNS1_3genE0ELNS1_11target_archE4294967295ELNS1_3gpuE0ELNS1_3repE0EEENS1_30default_config_static_selectorELNS0_4arch9wavefront6targetE0EEEvSZ_.uses_flat_scratch, 0
	.set _ZN7rocprim17ROCPRIM_400000_NS6detail17trampoline_kernelINS0_13select_configILj256ELj13ELNS0_17block_load_methodE3ELS4_3ELS4_3ELNS0_20block_scan_algorithmE0ELj4294967295EEENS1_25partition_config_selectorILNS1_17partition_subalgoE3EjNS0_10empty_typeEbEEZZNS1_14partition_implILS8_3ELb0ES6_jNS0_17counting_iteratorIjlEEPS9_SE_NS0_5tupleIJPjSE_EEENSF_IJSE_SE_EEES9_SG_JZNS1_25segmented_radix_sort_implINS0_14default_configELb1EPK6__halfPSL_PKlPlN2at6native12_GLOBAL__N_18offset_tEEE10hipError_tPvRmT1_PNSt15iterator_traitsISZ_E10value_typeET2_T3_PNS10_IS15_E10value_typeET4_jRbjT5_S1B_jjP12ihipStream_tbEUljE_EEESW_SX_SY_S15_S19_S1B_T6_T7_T9_mT8_S1D_bDpT10_ENKUlT_T0_E_clISt17integral_constantIbLb1EES1Q_EEDaS1L_S1M_EUlS1L_E_NS1_11comp_targetILNS1_3genE0ELNS1_11target_archE4294967295ELNS1_3gpuE0ELNS1_3repE0EEENS1_30default_config_static_selectorELNS0_4arch9wavefront6targetE0EEEvSZ_.has_dyn_sized_stack, 0
	.set _ZN7rocprim17ROCPRIM_400000_NS6detail17trampoline_kernelINS0_13select_configILj256ELj13ELNS0_17block_load_methodE3ELS4_3ELS4_3ELNS0_20block_scan_algorithmE0ELj4294967295EEENS1_25partition_config_selectorILNS1_17partition_subalgoE3EjNS0_10empty_typeEbEEZZNS1_14partition_implILS8_3ELb0ES6_jNS0_17counting_iteratorIjlEEPS9_SE_NS0_5tupleIJPjSE_EEENSF_IJSE_SE_EEES9_SG_JZNS1_25segmented_radix_sort_implINS0_14default_configELb1EPK6__halfPSL_PKlPlN2at6native12_GLOBAL__N_18offset_tEEE10hipError_tPvRmT1_PNSt15iterator_traitsISZ_E10value_typeET2_T3_PNS10_IS15_E10value_typeET4_jRbjT5_S1B_jjP12ihipStream_tbEUljE_EEESW_SX_SY_S15_S19_S1B_T6_T7_T9_mT8_S1D_bDpT10_ENKUlT_T0_E_clISt17integral_constantIbLb1EES1Q_EEDaS1L_S1M_EUlS1L_E_NS1_11comp_targetILNS1_3genE0ELNS1_11target_archE4294967295ELNS1_3gpuE0ELNS1_3repE0EEENS1_30default_config_static_selectorELNS0_4arch9wavefront6targetE0EEEvSZ_.has_recursion, 0
	.set _ZN7rocprim17ROCPRIM_400000_NS6detail17trampoline_kernelINS0_13select_configILj256ELj13ELNS0_17block_load_methodE3ELS4_3ELS4_3ELNS0_20block_scan_algorithmE0ELj4294967295EEENS1_25partition_config_selectorILNS1_17partition_subalgoE3EjNS0_10empty_typeEbEEZZNS1_14partition_implILS8_3ELb0ES6_jNS0_17counting_iteratorIjlEEPS9_SE_NS0_5tupleIJPjSE_EEENSF_IJSE_SE_EEES9_SG_JZNS1_25segmented_radix_sort_implINS0_14default_configELb1EPK6__halfPSL_PKlPlN2at6native12_GLOBAL__N_18offset_tEEE10hipError_tPvRmT1_PNSt15iterator_traitsISZ_E10value_typeET2_T3_PNS10_IS15_E10value_typeET4_jRbjT5_S1B_jjP12ihipStream_tbEUljE_EEESW_SX_SY_S15_S19_S1B_T6_T7_T9_mT8_S1D_bDpT10_ENKUlT_T0_E_clISt17integral_constantIbLb1EES1Q_EEDaS1L_S1M_EUlS1L_E_NS1_11comp_targetILNS1_3genE0ELNS1_11target_archE4294967295ELNS1_3gpuE0ELNS1_3repE0EEENS1_30default_config_static_selectorELNS0_4arch9wavefront6targetE0EEEvSZ_.has_indirect_call, 0
	.section	.AMDGPU.csdata,"",@progbits
; Kernel info:
; codeLenInByte = 0
; TotalNumSgprs: 0
; NumVgprs: 0
; ScratchSize: 0
; MemoryBound: 0
; FloatMode: 240
; IeeeMode: 1
; LDSByteSize: 0 bytes/workgroup (compile time only)
; SGPRBlocks: 0
; VGPRBlocks: 0
; NumSGPRsForWavesPerEU: 1
; NumVGPRsForWavesPerEU: 1
; Occupancy: 16
; WaveLimiterHint : 0
; COMPUTE_PGM_RSRC2:SCRATCH_EN: 0
; COMPUTE_PGM_RSRC2:USER_SGPR: 6
; COMPUTE_PGM_RSRC2:TRAP_HANDLER: 0
; COMPUTE_PGM_RSRC2:TGID_X_EN: 1
; COMPUTE_PGM_RSRC2:TGID_Y_EN: 0
; COMPUTE_PGM_RSRC2:TGID_Z_EN: 0
; COMPUTE_PGM_RSRC2:TIDIG_COMP_CNT: 0
	.section	.text._ZN7rocprim17ROCPRIM_400000_NS6detail17trampoline_kernelINS0_13select_configILj256ELj13ELNS0_17block_load_methodE3ELS4_3ELS4_3ELNS0_20block_scan_algorithmE0ELj4294967295EEENS1_25partition_config_selectorILNS1_17partition_subalgoE3EjNS0_10empty_typeEbEEZZNS1_14partition_implILS8_3ELb0ES6_jNS0_17counting_iteratorIjlEEPS9_SE_NS0_5tupleIJPjSE_EEENSF_IJSE_SE_EEES9_SG_JZNS1_25segmented_radix_sort_implINS0_14default_configELb1EPK6__halfPSL_PKlPlN2at6native12_GLOBAL__N_18offset_tEEE10hipError_tPvRmT1_PNSt15iterator_traitsISZ_E10value_typeET2_T3_PNS10_IS15_E10value_typeET4_jRbjT5_S1B_jjP12ihipStream_tbEUljE_EEESW_SX_SY_S15_S19_S1B_T6_T7_T9_mT8_S1D_bDpT10_ENKUlT_T0_E_clISt17integral_constantIbLb1EES1Q_EEDaS1L_S1M_EUlS1L_E_NS1_11comp_targetILNS1_3genE5ELNS1_11target_archE942ELNS1_3gpuE9ELNS1_3repE0EEENS1_30default_config_static_selectorELNS0_4arch9wavefront6targetE0EEEvSZ_,"axG",@progbits,_ZN7rocprim17ROCPRIM_400000_NS6detail17trampoline_kernelINS0_13select_configILj256ELj13ELNS0_17block_load_methodE3ELS4_3ELS4_3ELNS0_20block_scan_algorithmE0ELj4294967295EEENS1_25partition_config_selectorILNS1_17partition_subalgoE3EjNS0_10empty_typeEbEEZZNS1_14partition_implILS8_3ELb0ES6_jNS0_17counting_iteratorIjlEEPS9_SE_NS0_5tupleIJPjSE_EEENSF_IJSE_SE_EEES9_SG_JZNS1_25segmented_radix_sort_implINS0_14default_configELb1EPK6__halfPSL_PKlPlN2at6native12_GLOBAL__N_18offset_tEEE10hipError_tPvRmT1_PNSt15iterator_traitsISZ_E10value_typeET2_T3_PNS10_IS15_E10value_typeET4_jRbjT5_S1B_jjP12ihipStream_tbEUljE_EEESW_SX_SY_S15_S19_S1B_T6_T7_T9_mT8_S1D_bDpT10_ENKUlT_T0_E_clISt17integral_constantIbLb1EES1Q_EEDaS1L_S1M_EUlS1L_E_NS1_11comp_targetILNS1_3genE5ELNS1_11target_archE942ELNS1_3gpuE9ELNS1_3repE0EEENS1_30default_config_static_selectorELNS0_4arch9wavefront6targetE0EEEvSZ_,comdat
	.globl	_ZN7rocprim17ROCPRIM_400000_NS6detail17trampoline_kernelINS0_13select_configILj256ELj13ELNS0_17block_load_methodE3ELS4_3ELS4_3ELNS0_20block_scan_algorithmE0ELj4294967295EEENS1_25partition_config_selectorILNS1_17partition_subalgoE3EjNS0_10empty_typeEbEEZZNS1_14partition_implILS8_3ELb0ES6_jNS0_17counting_iteratorIjlEEPS9_SE_NS0_5tupleIJPjSE_EEENSF_IJSE_SE_EEES9_SG_JZNS1_25segmented_radix_sort_implINS0_14default_configELb1EPK6__halfPSL_PKlPlN2at6native12_GLOBAL__N_18offset_tEEE10hipError_tPvRmT1_PNSt15iterator_traitsISZ_E10value_typeET2_T3_PNS10_IS15_E10value_typeET4_jRbjT5_S1B_jjP12ihipStream_tbEUljE_EEESW_SX_SY_S15_S19_S1B_T6_T7_T9_mT8_S1D_bDpT10_ENKUlT_T0_E_clISt17integral_constantIbLb1EES1Q_EEDaS1L_S1M_EUlS1L_E_NS1_11comp_targetILNS1_3genE5ELNS1_11target_archE942ELNS1_3gpuE9ELNS1_3repE0EEENS1_30default_config_static_selectorELNS0_4arch9wavefront6targetE0EEEvSZ_ ; -- Begin function _ZN7rocprim17ROCPRIM_400000_NS6detail17trampoline_kernelINS0_13select_configILj256ELj13ELNS0_17block_load_methodE3ELS4_3ELS4_3ELNS0_20block_scan_algorithmE0ELj4294967295EEENS1_25partition_config_selectorILNS1_17partition_subalgoE3EjNS0_10empty_typeEbEEZZNS1_14partition_implILS8_3ELb0ES6_jNS0_17counting_iteratorIjlEEPS9_SE_NS0_5tupleIJPjSE_EEENSF_IJSE_SE_EEES9_SG_JZNS1_25segmented_radix_sort_implINS0_14default_configELb1EPK6__halfPSL_PKlPlN2at6native12_GLOBAL__N_18offset_tEEE10hipError_tPvRmT1_PNSt15iterator_traitsISZ_E10value_typeET2_T3_PNS10_IS15_E10value_typeET4_jRbjT5_S1B_jjP12ihipStream_tbEUljE_EEESW_SX_SY_S15_S19_S1B_T6_T7_T9_mT8_S1D_bDpT10_ENKUlT_T0_E_clISt17integral_constantIbLb1EES1Q_EEDaS1L_S1M_EUlS1L_E_NS1_11comp_targetILNS1_3genE5ELNS1_11target_archE942ELNS1_3gpuE9ELNS1_3repE0EEENS1_30default_config_static_selectorELNS0_4arch9wavefront6targetE0EEEvSZ_
	.p2align	8
	.type	_ZN7rocprim17ROCPRIM_400000_NS6detail17trampoline_kernelINS0_13select_configILj256ELj13ELNS0_17block_load_methodE3ELS4_3ELS4_3ELNS0_20block_scan_algorithmE0ELj4294967295EEENS1_25partition_config_selectorILNS1_17partition_subalgoE3EjNS0_10empty_typeEbEEZZNS1_14partition_implILS8_3ELb0ES6_jNS0_17counting_iteratorIjlEEPS9_SE_NS0_5tupleIJPjSE_EEENSF_IJSE_SE_EEES9_SG_JZNS1_25segmented_radix_sort_implINS0_14default_configELb1EPK6__halfPSL_PKlPlN2at6native12_GLOBAL__N_18offset_tEEE10hipError_tPvRmT1_PNSt15iterator_traitsISZ_E10value_typeET2_T3_PNS10_IS15_E10value_typeET4_jRbjT5_S1B_jjP12ihipStream_tbEUljE_EEESW_SX_SY_S15_S19_S1B_T6_T7_T9_mT8_S1D_bDpT10_ENKUlT_T0_E_clISt17integral_constantIbLb1EES1Q_EEDaS1L_S1M_EUlS1L_E_NS1_11comp_targetILNS1_3genE5ELNS1_11target_archE942ELNS1_3gpuE9ELNS1_3repE0EEENS1_30default_config_static_selectorELNS0_4arch9wavefront6targetE0EEEvSZ_,@function
_ZN7rocprim17ROCPRIM_400000_NS6detail17trampoline_kernelINS0_13select_configILj256ELj13ELNS0_17block_load_methodE3ELS4_3ELS4_3ELNS0_20block_scan_algorithmE0ELj4294967295EEENS1_25partition_config_selectorILNS1_17partition_subalgoE3EjNS0_10empty_typeEbEEZZNS1_14partition_implILS8_3ELb0ES6_jNS0_17counting_iteratorIjlEEPS9_SE_NS0_5tupleIJPjSE_EEENSF_IJSE_SE_EEES9_SG_JZNS1_25segmented_radix_sort_implINS0_14default_configELb1EPK6__halfPSL_PKlPlN2at6native12_GLOBAL__N_18offset_tEEE10hipError_tPvRmT1_PNSt15iterator_traitsISZ_E10value_typeET2_T3_PNS10_IS15_E10value_typeET4_jRbjT5_S1B_jjP12ihipStream_tbEUljE_EEESW_SX_SY_S15_S19_S1B_T6_T7_T9_mT8_S1D_bDpT10_ENKUlT_T0_E_clISt17integral_constantIbLb1EES1Q_EEDaS1L_S1M_EUlS1L_E_NS1_11comp_targetILNS1_3genE5ELNS1_11target_archE942ELNS1_3gpuE9ELNS1_3repE0EEENS1_30default_config_static_selectorELNS0_4arch9wavefront6targetE0EEEvSZ_: ; @_ZN7rocprim17ROCPRIM_400000_NS6detail17trampoline_kernelINS0_13select_configILj256ELj13ELNS0_17block_load_methodE3ELS4_3ELS4_3ELNS0_20block_scan_algorithmE0ELj4294967295EEENS1_25partition_config_selectorILNS1_17partition_subalgoE3EjNS0_10empty_typeEbEEZZNS1_14partition_implILS8_3ELb0ES6_jNS0_17counting_iteratorIjlEEPS9_SE_NS0_5tupleIJPjSE_EEENSF_IJSE_SE_EEES9_SG_JZNS1_25segmented_radix_sort_implINS0_14default_configELb1EPK6__halfPSL_PKlPlN2at6native12_GLOBAL__N_18offset_tEEE10hipError_tPvRmT1_PNSt15iterator_traitsISZ_E10value_typeET2_T3_PNS10_IS15_E10value_typeET4_jRbjT5_S1B_jjP12ihipStream_tbEUljE_EEESW_SX_SY_S15_S19_S1B_T6_T7_T9_mT8_S1D_bDpT10_ENKUlT_T0_E_clISt17integral_constantIbLb1EES1Q_EEDaS1L_S1M_EUlS1L_E_NS1_11comp_targetILNS1_3genE5ELNS1_11target_archE942ELNS1_3gpuE9ELNS1_3repE0EEENS1_30default_config_static_selectorELNS0_4arch9wavefront6targetE0EEEvSZ_
; %bb.0:
	.section	.rodata,"a",@progbits
	.p2align	6, 0x0
	.amdhsa_kernel _ZN7rocprim17ROCPRIM_400000_NS6detail17trampoline_kernelINS0_13select_configILj256ELj13ELNS0_17block_load_methodE3ELS4_3ELS4_3ELNS0_20block_scan_algorithmE0ELj4294967295EEENS1_25partition_config_selectorILNS1_17partition_subalgoE3EjNS0_10empty_typeEbEEZZNS1_14partition_implILS8_3ELb0ES6_jNS0_17counting_iteratorIjlEEPS9_SE_NS0_5tupleIJPjSE_EEENSF_IJSE_SE_EEES9_SG_JZNS1_25segmented_radix_sort_implINS0_14default_configELb1EPK6__halfPSL_PKlPlN2at6native12_GLOBAL__N_18offset_tEEE10hipError_tPvRmT1_PNSt15iterator_traitsISZ_E10value_typeET2_T3_PNS10_IS15_E10value_typeET4_jRbjT5_S1B_jjP12ihipStream_tbEUljE_EEESW_SX_SY_S15_S19_S1B_T6_T7_T9_mT8_S1D_bDpT10_ENKUlT_T0_E_clISt17integral_constantIbLb1EES1Q_EEDaS1L_S1M_EUlS1L_E_NS1_11comp_targetILNS1_3genE5ELNS1_11target_archE942ELNS1_3gpuE9ELNS1_3repE0EEENS1_30default_config_static_selectorELNS0_4arch9wavefront6targetE0EEEvSZ_
		.amdhsa_group_segment_fixed_size 0
		.amdhsa_private_segment_fixed_size 0
		.amdhsa_kernarg_size 152
		.amdhsa_user_sgpr_count 6
		.amdhsa_user_sgpr_private_segment_buffer 1
		.amdhsa_user_sgpr_dispatch_ptr 0
		.amdhsa_user_sgpr_queue_ptr 0
		.amdhsa_user_sgpr_kernarg_segment_ptr 1
		.amdhsa_user_sgpr_dispatch_id 0
		.amdhsa_user_sgpr_flat_scratch_init 0
		.amdhsa_user_sgpr_private_segment_size 0
		.amdhsa_wavefront_size32 1
		.amdhsa_uses_dynamic_stack 0
		.amdhsa_system_sgpr_private_segment_wavefront_offset 0
		.amdhsa_system_sgpr_workgroup_id_x 1
		.amdhsa_system_sgpr_workgroup_id_y 0
		.amdhsa_system_sgpr_workgroup_id_z 0
		.amdhsa_system_sgpr_workgroup_info 0
		.amdhsa_system_vgpr_workitem_id 0
		.amdhsa_next_free_vgpr 1
		.amdhsa_next_free_sgpr 1
		.amdhsa_reserve_vcc 0
		.amdhsa_reserve_flat_scratch 0
		.amdhsa_float_round_mode_32 0
		.amdhsa_float_round_mode_16_64 0
		.amdhsa_float_denorm_mode_32 3
		.amdhsa_float_denorm_mode_16_64 3
		.amdhsa_dx10_clamp 1
		.amdhsa_ieee_mode 1
		.amdhsa_fp16_overflow 0
		.amdhsa_workgroup_processor_mode 1
		.amdhsa_memory_ordered 1
		.amdhsa_forward_progress 1
		.amdhsa_shared_vgpr_count 0
		.amdhsa_exception_fp_ieee_invalid_op 0
		.amdhsa_exception_fp_denorm_src 0
		.amdhsa_exception_fp_ieee_div_zero 0
		.amdhsa_exception_fp_ieee_overflow 0
		.amdhsa_exception_fp_ieee_underflow 0
		.amdhsa_exception_fp_ieee_inexact 0
		.amdhsa_exception_int_div_zero 0
	.end_amdhsa_kernel
	.section	.text._ZN7rocprim17ROCPRIM_400000_NS6detail17trampoline_kernelINS0_13select_configILj256ELj13ELNS0_17block_load_methodE3ELS4_3ELS4_3ELNS0_20block_scan_algorithmE0ELj4294967295EEENS1_25partition_config_selectorILNS1_17partition_subalgoE3EjNS0_10empty_typeEbEEZZNS1_14partition_implILS8_3ELb0ES6_jNS0_17counting_iteratorIjlEEPS9_SE_NS0_5tupleIJPjSE_EEENSF_IJSE_SE_EEES9_SG_JZNS1_25segmented_radix_sort_implINS0_14default_configELb1EPK6__halfPSL_PKlPlN2at6native12_GLOBAL__N_18offset_tEEE10hipError_tPvRmT1_PNSt15iterator_traitsISZ_E10value_typeET2_T3_PNS10_IS15_E10value_typeET4_jRbjT5_S1B_jjP12ihipStream_tbEUljE_EEESW_SX_SY_S15_S19_S1B_T6_T7_T9_mT8_S1D_bDpT10_ENKUlT_T0_E_clISt17integral_constantIbLb1EES1Q_EEDaS1L_S1M_EUlS1L_E_NS1_11comp_targetILNS1_3genE5ELNS1_11target_archE942ELNS1_3gpuE9ELNS1_3repE0EEENS1_30default_config_static_selectorELNS0_4arch9wavefront6targetE0EEEvSZ_,"axG",@progbits,_ZN7rocprim17ROCPRIM_400000_NS6detail17trampoline_kernelINS0_13select_configILj256ELj13ELNS0_17block_load_methodE3ELS4_3ELS4_3ELNS0_20block_scan_algorithmE0ELj4294967295EEENS1_25partition_config_selectorILNS1_17partition_subalgoE3EjNS0_10empty_typeEbEEZZNS1_14partition_implILS8_3ELb0ES6_jNS0_17counting_iteratorIjlEEPS9_SE_NS0_5tupleIJPjSE_EEENSF_IJSE_SE_EEES9_SG_JZNS1_25segmented_radix_sort_implINS0_14default_configELb1EPK6__halfPSL_PKlPlN2at6native12_GLOBAL__N_18offset_tEEE10hipError_tPvRmT1_PNSt15iterator_traitsISZ_E10value_typeET2_T3_PNS10_IS15_E10value_typeET4_jRbjT5_S1B_jjP12ihipStream_tbEUljE_EEESW_SX_SY_S15_S19_S1B_T6_T7_T9_mT8_S1D_bDpT10_ENKUlT_T0_E_clISt17integral_constantIbLb1EES1Q_EEDaS1L_S1M_EUlS1L_E_NS1_11comp_targetILNS1_3genE5ELNS1_11target_archE942ELNS1_3gpuE9ELNS1_3repE0EEENS1_30default_config_static_selectorELNS0_4arch9wavefront6targetE0EEEvSZ_,comdat
.Lfunc_end1706:
	.size	_ZN7rocprim17ROCPRIM_400000_NS6detail17trampoline_kernelINS0_13select_configILj256ELj13ELNS0_17block_load_methodE3ELS4_3ELS4_3ELNS0_20block_scan_algorithmE0ELj4294967295EEENS1_25partition_config_selectorILNS1_17partition_subalgoE3EjNS0_10empty_typeEbEEZZNS1_14partition_implILS8_3ELb0ES6_jNS0_17counting_iteratorIjlEEPS9_SE_NS0_5tupleIJPjSE_EEENSF_IJSE_SE_EEES9_SG_JZNS1_25segmented_radix_sort_implINS0_14default_configELb1EPK6__halfPSL_PKlPlN2at6native12_GLOBAL__N_18offset_tEEE10hipError_tPvRmT1_PNSt15iterator_traitsISZ_E10value_typeET2_T3_PNS10_IS15_E10value_typeET4_jRbjT5_S1B_jjP12ihipStream_tbEUljE_EEESW_SX_SY_S15_S19_S1B_T6_T7_T9_mT8_S1D_bDpT10_ENKUlT_T0_E_clISt17integral_constantIbLb1EES1Q_EEDaS1L_S1M_EUlS1L_E_NS1_11comp_targetILNS1_3genE5ELNS1_11target_archE942ELNS1_3gpuE9ELNS1_3repE0EEENS1_30default_config_static_selectorELNS0_4arch9wavefront6targetE0EEEvSZ_, .Lfunc_end1706-_ZN7rocprim17ROCPRIM_400000_NS6detail17trampoline_kernelINS0_13select_configILj256ELj13ELNS0_17block_load_methodE3ELS4_3ELS4_3ELNS0_20block_scan_algorithmE0ELj4294967295EEENS1_25partition_config_selectorILNS1_17partition_subalgoE3EjNS0_10empty_typeEbEEZZNS1_14partition_implILS8_3ELb0ES6_jNS0_17counting_iteratorIjlEEPS9_SE_NS0_5tupleIJPjSE_EEENSF_IJSE_SE_EEES9_SG_JZNS1_25segmented_radix_sort_implINS0_14default_configELb1EPK6__halfPSL_PKlPlN2at6native12_GLOBAL__N_18offset_tEEE10hipError_tPvRmT1_PNSt15iterator_traitsISZ_E10value_typeET2_T3_PNS10_IS15_E10value_typeET4_jRbjT5_S1B_jjP12ihipStream_tbEUljE_EEESW_SX_SY_S15_S19_S1B_T6_T7_T9_mT8_S1D_bDpT10_ENKUlT_T0_E_clISt17integral_constantIbLb1EES1Q_EEDaS1L_S1M_EUlS1L_E_NS1_11comp_targetILNS1_3genE5ELNS1_11target_archE942ELNS1_3gpuE9ELNS1_3repE0EEENS1_30default_config_static_selectorELNS0_4arch9wavefront6targetE0EEEvSZ_
                                        ; -- End function
	.set _ZN7rocprim17ROCPRIM_400000_NS6detail17trampoline_kernelINS0_13select_configILj256ELj13ELNS0_17block_load_methodE3ELS4_3ELS4_3ELNS0_20block_scan_algorithmE0ELj4294967295EEENS1_25partition_config_selectorILNS1_17partition_subalgoE3EjNS0_10empty_typeEbEEZZNS1_14partition_implILS8_3ELb0ES6_jNS0_17counting_iteratorIjlEEPS9_SE_NS0_5tupleIJPjSE_EEENSF_IJSE_SE_EEES9_SG_JZNS1_25segmented_radix_sort_implINS0_14default_configELb1EPK6__halfPSL_PKlPlN2at6native12_GLOBAL__N_18offset_tEEE10hipError_tPvRmT1_PNSt15iterator_traitsISZ_E10value_typeET2_T3_PNS10_IS15_E10value_typeET4_jRbjT5_S1B_jjP12ihipStream_tbEUljE_EEESW_SX_SY_S15_S19_S1B_T6_T7_T9_mT8_S1D_bDpT10_ENKUlT_T0_E_clISt17integral_constantIbLb1EES1Q_EEDaS1L_S1M_EUlS1L_E_NS1_11comp_targetILNS1_3genE5ELNS1_11target_archE942ELNS1_3gpuE9ELNS1_3repE0EEENS1_30default_config_static_selectorELNS0_4arch9wavefront6targetE0EEEvSZ_.num_vgpr, 0
	.set _ZN7rocprim17ROCPRIM_400000_NS6detail17trampoline_kernelINS0_13select_configILj256ELj13ELNS0_17block_load_methodE3ELS4_3ELS4_3ELNS0_20block_scan_algorithmE0ELj4294967295EEENS1_25partition_config_selectorILNS1_17partition_subalgoE3EjNS0_10empty_typeEbEEZZNS1_14partition_implILS8_3ELb0ES6_jNS0_17counting_iteratorIjlEEPS9_SE_NS0_5tupleIJPjSE_EEENSF_IJSE_SE_EEES9_SG_JZNS1_25segmented_radix_sort_implINS0_14default_configELb1EPK6__halfPSL_PKlPlN2at6native12_GLOBAL__N_18offset_tEEE10hipError_tPvRmT1_PNSt15iterator_traitsISZ_E10value_typeET2_T3_PNS10_IS15_E10value_typeET4_jRbjT5_S1B_jjP12ihipStream_tbEUljE_EEESW_SX_SY_S15_S19_S1B_T6_T7_T9_mT8_S1D_bDpT10_ENKUlT_T0_E_clISt17integral_constantIbLb1EES1Q_EEDaS1L_S1M_EUlS1L_E_NS1_11comp_targetILNS1_3genE5ELNS1_11target_archE942ELNS1_3gpuE9ELNS1_3repE0EEENS1_30default_config_static_selectorELNS0_4arch9wavefront6targetE0EEEvSZ_.num_agpr, 0
	.set _ZN7rocprim17ROCPRIM_400000_NS6detail17trampoline_kernelINS0_13select_configILj256ELj13ELNS0_17block_load_methodE3ELS4_3ELS4_3ELNS0_20block_scan_algorithmE0ELj4294967295EEENS1_25partition_config_selectorILNS1_17partition_subalgoE3EjNS0_10empty_typeEbEEZZNS1_14partition_implILS8_3ELb0ES6_jNS0_17counting_iteratorIjlEEPS9_SE_NS0_5tupleIJPjSE_EEENSF_IJSE_SE_EEES9_SG_JZNS1_25segmented_radix_sort_implINS0_14default_configELb1EPK6__halfPSL_PKlPlN2at6native12_GLOBAL__N_18offset_tEEE10hipError_tPvRmT1_PNSt15iterator_traitsISZ_E10value_typeET2_T3_PNS10_IS15_E10value_typeET4_jRbjT5_S1B_jjP12ihipStream_tbEUljE_EEESW_SX_SY_S15_S19_S1B_T6_T7_T9_mT8_S1D_bDpT10_ENKUlT_T0_E_clISt17integral_constantIbLb1EES1Q_EEDaS1L_S1M_EUlS1L_E_NS1_11comp_targetILNS1_3genE5ELNS1_11target_archE942ELNS1_3gpuE9ELNS1_3repE0EEENS1_30default_config_static_selectorELNS0_4arch9wavefront6targetE0EEEvSZ_.numbered_sgpr, 0
	.set _ZN7rocprim17ROCPRIM_400000_NS6detail17trampoline_kernelINS0_13select_configILj256ELj13ELNS0_17block_load_methodE3ELS4_3ELS4_3ELNS0_20block_scan_algorithmE0ELj4294967295EEENS1_25partition_config_selectorILNS1_17partition_subalgoE3EjNS0_10empty_typeEbEEZZNS1_14partition_implILS8_3ELb0ES6_jNS0_17counting_iteratorIjlEEPS9_SE_NS0_5tupleIJPjSE_EEENSF_IJSE_SE_EEES9_SG_JZNS1_25segmented_radix_sort_implINS0_14default_configELb1EPK6__halfPSL_PKlPlN2at6native12_GLOBAL__N_18offset_tEEE10hipError_tPvRmT1_PNSt15iterator_traitsISZ_E10value_typeET2_T3_PNS10_IS15_E10value_typeET4_jRbjT5_S1B_jjP12ihipStream_tbEUljE_EEESW_SX_SY_S15_S19_S1B_T6_T7_T9_mT8_S1D_bDpT10_ENKUlT_T0_E_clISt17integral_constantIbLb1EES1Q_EEDaS1L_S1M_EUlS1L_E_NS1_11comp_targetILNS1_3genE5ELNS1_11target_archE942ELNS1_3gpuE9ELNS1_3repE0EEENS1_30default_config_static_selectorELNS0_4arch9wavefront6targetE0EEEvSZ_.num_named_barrier, 0
	.set _ZN7rocprim17ROCPRIM_400000_NS6detail17trampoline_kernelINS0_13select_configILj256ELj13ELNS0_17block_load_methodE3ELS4_3ELS4_3ELNS0_20block_scan_algorithmE0ELj4294967295EEENS1_25partition_config_selectorILNS1_17partition_subalgoE3EjNS0_10empty_typeEbEEZZNS1_14partition_implILS8_3ELb0ES6_jNS0_17counting_iteratorIjlEEPS9_SE_NS0_5tupleIJPjSE_EEENSF_IJSE_SE_EEES9_SG_JZNS1_25segmented_radix_sort_implINS0_14default_configELb1EPK6__halfPSL_PKlPlN2at6native12_GLOBAL__N_18offset_tEEE10hipError_tPvRmT1_PNSt15iterator_traitsISZ_E10value_typeET2_T3_PNS10_IS15_E10value_typeET4_jRbjT5_S1B_jjP12ihipStream_tbEUljE_EEESW_SX_SY_S15_S19_S1B_T6_T7_T9_mT8_S1D_bDpT10_ENKUlT_T0_E_clISt17integral_constantIbLb1EES1Q_EEDaS1L_S1M_EUlS1L_E_NS1_11comp_targetILNS1_3genE5ELNS1_11target_archE942ELNS1_3gpuE9ELNS1_3repE0EEENS1_30default_config_static_selectorELNS0_4arch9wavefront6targetE0EEEvSZ_.private_seg_size, 0
	.set _ZN7rocprim17ROCPRIM_400000_NS6detail17trampoline_kernelINS0_13select_configILj256ELj13ELNS0_17block_load_methodE3ELS4_3ELS4_3ELNS0_20block_scan_algorithmE0ELj4294967295EEENS1_25partition_config_selectorILNS1_17partition_subalgoE3EjNS0_10empty_typeEbEEZZNS1_14partition_implILS8_3ELb0ES6_jNS0_17counting_iteratorIjlEEPS9_SE_NS0_5tupleIJPjSE_EEENSF_IJSE_SE_EEES9_SG_JZNS1_25segmented_radix_sort_implINS0_14default_configELb1EPK6__halfPSL_PKlPlN2at6native12_GLOBAL__N_18offset_tEEE10hipError_tPvRmT1_PNSt15iterator_traitsISZ_E10value_typeET2_T3_PNS10_IS15_E10value_typeET4_jRbjT5_S1B_jjP12ihipStream_tbEUljE_EEESW_SX_SY_S15_S19_S1B_T6_T7_T9_mT8_S1D_bDpT10_ENKUlT_T0_E_clISt17integral_constantIbLb1EES1Q_EEDaS1L_S1M_EUlS1L_E_NS1_11comp_targetILNS1_3genE5ELNS1_11target_archE942ELNS1_3gpuE9ELNS1_3repE0EEENS1_30default_config_static_selectorELNS0_4arch9wavefront6targetE0EEEvSZ_.uses_vcc, 0
	.set _ZN7rocprim17ROCPRIM_400000_NS6detail17trampoline_kernelINS0_13select_configILj256ELj13ELNS0_17block_load_methodE3ELS4_3ELS4_3ELNS0_20block_scan_algorithmE0ELj4294967295EEENS1_25partition_config_selectorILNS1_17partition_subalgoE3EjNS0_10empty_typeEbEEZZNS1_14partition_implILS8_3ELb0ES6_jNS0_17counting_iteratorIjlEEPS9_SE_NS0_5tupleIJPjSE_EEENSF_IJSE_SE_EEES9_SG_JZNS1_25segmented_radix_sort_implINS0_14default_configELb1EPK6__halfPSL_PKlPlN2at6native12_GLOBAL__N_18offset_tEEE10hipError_tPvRmT1_PNSt15iterator_traitsISZ_E10value_typeET2_T3_PNS10_IS15_E10value_typeET4_jRbjT5_S1B_jjP12ihipStream_tbEUljE_EEESW_SX_SY_S15_S19_S1B_T6_T7_T9_mT8_S1D_bDpT10_ENKUlT_T0_E_clISt17integral_constantIbLb1EES1Q_EEDaS1L_S1M_EUlS1L_E_NS1_11comp_targetILNS1_3genE5ELNS1_11target_archE942ELNS1_3gpuE9ELNS1_3repE0EEENS1_30default_config_static_selectorELNS0_4arch9wavefront6targetE0EEEvSZ_.uses_flat_scratch, 0
	.set _ZN7rocprim17ROCPRIM_400000_NS6detail17trampoline_kernelINS0_13select_configILj256ELj13ELNS0_17block_load_methodE3ELS4_3ELS4_3ELNS0_20block_scan_algorithmE0ELj4294967295EEENS1_25partition_config_selectorILNS1_17partition_subalgoE3EjNS0_10empty_typeEbEEZZNS1_14partition_implILS8_3ELb0ES6_jNS0_17counting_iteratorIjlEEPS9_SE_NS0_5tupleIJPjSE_EEENSF_IJSE_SE_EEES9_SG_JZNS1_25segmented_radix_sort_implINS0_14default_configELb1EPK6__halfPSL_PKlPlN2at6native12_GLOBAL__N_18offset_tEEE10hipError_tPvRmT1_PNSt15iterator_traitsISZ_E10value_typeET2_T3_PNS10_IS15_E10value_typeET4_jRbjT5_S1B_jjP12ihipStream_tbEUljE_EEESW_SX_SY_S15_S19_S1B_T6_T7_T9_mT8_S1D_bDpT10_ENKUlT_T0_E_clISt17integral_constantIbLb1EES1Q_EEDaS1L_S1M_EUlS1L_E_NS1_11comp_targetILNS1_3genE5ELNS1_11target_archE942ELNS1_3gpuE9ELNS1_3repE0EEENS1_30default_config_static_selectorELNS0_4arch9wavefront6targetE0EEEvSZ_.has_dyn_sized_stack, 0
	.set _ZN7rocprim17ROCPRIM_400000_NS6detail17trampoline_kernelINS0_13select_configILj256ELj13ELNS0_17block_load_methodE3ELS4_3ELS4_3ELNS0_20block_scan_algorithmE0ELj4294967295EEENS1_25partition_config_selectorILNS1_17partition_subalgoE3EjNS0_10empty_typeEbEEZZNS1_14partition_implILS8_3ELb0ES6_jNS0_17counting_iteratorIjlEEPS9_SE_NS0_5tupleIJPjSE_EEENSF_IJSE_SE_EEES9_SG_JZNS1_25segmented_radix_sort_implINS0_14default_configELb1EPK6__halfPSL_PKlPlN2at6native12_GLOBAL__N_18offset_tEEE10hipError_tPvRmT1_PNSt15iterator_traitsISZ_E10value_typeET2_T3_PNS10_IS15_E10value_typeET4_jRbjT5_S1B_jjP12ihipStream_tbEUljE_EEESW_SX_SY_S15_S19_S1B_T6_T7_T9_mT8_S1D_bDpT10_ENKUlT_T0_E_clISt17integral_constantIbLb1EES1Q_EEDaS1L_S1M_EUlS1L_E_NS1_11comp_targetILNS1_3genE5ELNS1_11target_archE942ELNS1_3gpuE9ELNS1_3repE0EEENS1_30default_config_static_selectorELNS0_4arch9wavefront6targetE0EEEvSZ_.has_recursion, 0
	.set _ZN7rocprim17ROCPRIM_400000_NS6detail17trampoline_kernelINS0_13select_configILj256ELj13ELNS0_17block_load_methodE3ELS4_3ELS4_3ELNS0_20block_scan_algorithmE0ELj4294967295EEENS1_25partition_config_selectorILNS1_17partition_subalgoE3EjNS0_10empty_typeEbEEZZNS1_14partition_implILS8_3ELb0ES6_jNS0_17counting_iteratorIjlEEPS9_SE_NS0_5tupleIJPjSE_EEENSF_IJSE_SE_EEES9_SG_JZNS1_25segmented_radix_sort_implINS0_14default_configELb1EPK6__halfPSL_PKlPlN2at6native12_GLOBAL__N_18offset_tEEE10hipError_tPvRmT1_PNSt15iterator_traitsISZ_E10value_typeET2_T3_PNS10_IS15_E10value_typeET4_jRbjT5_S1B_jjP12ihipStream_tbEUljE_EEESW_SX_SY_S15_S19_S1B_T6_T7_T9_mT8_S1D_bDpT10_ENKUlT_T0_E_clISt17integral_constantIbLb1EES1Q_EEDaS1L_S1M_EUlS1L_E_NS1_11comp_targetILNS1_3genE5ELNS1_11target_archE942ELNS1_3gpuE9ELNS1_3repE0EEENS1_30default_config_static_selectorELNS0_4arch9wavefront6targetE0EEEvSZ_.has_indirect_call, 0
	.section	.AMDGPU.csdata,"",@progbits
; Kernel info:
; codeLenInByte = 0
; TotalNumSgprs: 0
; NumVgprs: 0
; ScratchSize: 0
; MemoryBound: 0
; FloatMode: 240
; IeeeMode: 1
; LDSByteSize: 0 bytes/workgroup (compile time only)
; SGPRBlocks: 0
; VGPRBlocks: 0
; NumSGPRsForWavesPerEU: 1
; NumVGPRsForWavesPerEU: 1
; Occupancy: 16
; WaveLimiterHint : 0
; COMPUTE_PGM_RSRC2:SCRATCH_EN: 0
; COMPUTE_PGM_RSRC2:USER_SGPR: 6
; COMPUTE_PGM_RSRC2:TRAP_HANDLER: 0
; COMPUTE_PGM_RSRC2:TGID_X_EN: 1
; COMPUTE_PGM_RSRC2:TGID_Y_EN: 0
; COMPUTE_PGM_RSRC2:TGID_Z_EN: 0
; COMPUTE_PGM_RSRC2:TIDIG_COMP_CNT: 0
	.section	.text._ZN7rocprim17ROCPRIM_400000_NS6detail17trampoline_kernelINS0_13select_configILj256ELj13ELNS0_17block_load_methodE3ELS4_3ELS4_3ELNS0_20block_scan_algorithmE0ELj4294967295EEENS1_25partition_config_selectorILNS1_17partition_subalgoE3EjNS0_10empty_typeEbEEZZNS1_14partition_implILS8_3ELb0ES6_jNS0_17counting_iteratorIjlEEPS9_SE_NS0_5tupleIJPjSE_EEENSF_IJSE_SE_EEES9_SG_JZNS1_25segmented_radix_sort_implINS0_14default_configELb1EPK6__halfPSL_PKlPlN2at6native12_GLOBAL__N_18offset_tEEE10hipError_tPvRmT1_PNSt15iterator_traitsISZ_E10value_typeET2_T3_PNS10_IS15_E10value_typeET4_jRbjT5_S1B_jjP12ihipStream_tbEUljE_EEESW_SX_SY_S15_S19_S1B_T6_T7_T9_mT8_S1D_bDpT10_ENKUlT_T0_E_clISt17integral_constantIbLb1EES1Q_EEDaS1L_S1M_EUlS1L_E_NS1_11comp_targetILNS1_3genE4ELNS1_11target_archE910ELNS1_3gpuE8ELNS1_3repE0EEENS1_30default_config_static_selectorELNS0_4arch9wavefront6targetE0EEEvSZ_,"axG",@progbits,_ZN7rocprim17ROCPRIM_400000_NS6detail17trampoline_kernelINS0_13select_configILj256ELj13ELNS0_17block_load_methodE3ELS4_3ELS4_3ELNS0_20block_scan_algorithmE0ELj4294967295EEENS1_25partition_config_selectorILNS1_17partition_subalgoE3EjNS0_10empty_typeEbEEZZNS1_14partition_implILS8_3ELb0ES6_jNS0_17counting_iteratorIjlEEPS9_SE_NS0_5tupleIJPjSE_EEENSF_IJSE_SE_EEES9_SG_JZNS1_25segmented_radix_sort_implINS0_14default_configELb1EPK6__halfPSL_PKlPlN2at6native12_GLOBAL__N_18offset_tEEE10hipError_tPvRmT1_PNSt15iterator_traitsISZ_E10value_typeET2_T3_PNS10_IS15_E10value_typeET4_jRbjT5_S1B_jjP12ihipStream_tbEUljE_EEESW_SX_SY_S15_S19_S1B_T6_T7_T9_mT8_S1D_bDpT10_ENKUlT_T0_E_clISt17integral_constantIbLb1EES1Q_EEDaS1L_S1M_EUlS1L_E_NS1_11comp_targetILNS1_3genE4ELNS1_11target_archE910ELNS1_3gpuE8ELNS1_3repE0EEENS1_30default_config_static_selectorELNS0_4arch9wavefront6targetE0EEEvSZ_,comdat
	.globl	_ZN7rocprim17ROCPRIM_400000_NS6detail17trampoline_kernelINS0_13select_configILj256ELj13ELNS0_17block_load_methodE3ELS4_3ELS4_3ELNS0_20block_scan_algorithmE0ELj4294967295EEENS1_25partition_config_selectorILNS1_17partition_subalgoE3EjNS0_10empty_typeEbEEZZNS1_14partition_implILS8_3ELb0ES6_jNS0_17counting_iteratorIjlEEPS9_SE_NS0_5tupleIJPjSE_EEENSF_IJSE_SE_EEES9_SG_JZNS1_25segmented_radix_sort_implINS0_14default_configELb1EPK6__halfPSL_PKlPlN2at6native12_GLOBAL__N_18offset_tEEE10hipError_tPvRmT1_PNSt15iterator_traitsISZ_E10value_typeET2_T3_PNS10_IS15_E10value_typeET4_jRbjT5_S1B_jjP12ihipStream_tbEUljE_EEESW_SX_SY_S15_S19_S1B_T6_T7_T9_mT8_S1D_bDpT10_ENKUlT_T0_E_clISt17integral_constantIbLb1EES1Q_EEDaS1L_S1M_EUlS1L_E_NS1_11comp_targetILNS1_3genE4ELNS1_11target_archE910ELNS1_3gpuE8ELNS1_3repE0EEENS1_30default_config_static_selectorELNS0_4arch9wavefront6targetE0EEEvSZ_ ; -- Begin function _ZN7rocprim17ROCPRIM_400000_NS6detail17trampoline_kernelINS0_13select_configILj256ELj13ELNS0_17block_load_methodE3ELS4_3ELS4_3ELNS0_20block_scan_algorithmE0ELj4294967295EEENS1_25partition_config_selectorILNS1_17partition_subalgoE3EjNS0_10empty_typeEbEEZZNS1_14partition_implILS8_3ELb0ES6_jNS0_17counting_iteratorIjlEEPS9_SE_NS0_5tupleIJPjSE_EEENSF_IJSE_SE_EEES9_SG_JZNS1_25segmented_radix_sort_implINS0_14default_configELb1EPK6__halfPSL_PKlPlN2at6native12_GLOBAL__N_18offset_tEEE10hipError_tPvRmT1_PNSt15iterator_traitsISZ_E10value_typeET2_T3_PNS10_IS15_E10value_typeET4_jRbjT5_S1B_jjP12ihipStream_tbEUljE_EEESW_SX_SY_S15_S19_S1B_T6_T7_T9_mT8_S1D_bDpT10_ENKUlT_T0_E_clISt17integral_constantIbLb1EES1Q_EEDaS1L_S1M_EUlS1L_E_NS1_11comp_targetILNS1_3genE4ELNS1_11target_archE910ELNS1_3gpuE8ELNS1_3repE0EEENS1_30default_config_static_selectorELNS0_4arch9wavefront6targetE0EEEvSZ_
	.p2align	8
	.type	_ZN7rocprim17ROCPRIM_400000_NS6detail17trampoline_kernelINS0_13select_configILj256ELj13ELNS0_17block_load_methodE3ELS4_3ELS4_3ELNS0_20block_scan_algorithmE0ELj4294967295EEENS1_25partition_config_selectorILNS1_17partition_subalgoE3EjNS0_10empty_typeEbEEZZNS1_14partition_implILS8_3ELb0ES6_jNS0_17counting_iteratorIjlEEPS9_SE_NS0_5tupleIJPjSE_EEENSF_IJSE_SE_EEES9_SG_JZNS1_25segmented_radix_sort_implINS0_14default_configELb1EPK6__halfPSL_PKlPlN2at6native12_GLOBAL__N_18offset_tEEE10hipError_tPvRmT1_PNSt15iterator_traitsISZ_E10value_typeET2_T3_PNS10_IS15_E10value_typeET4_jRbjT5_S1B_jjP12ihipStream_tbEUljE_EEESW_SX_SY_S15_S19_S1B_T6_T7_T9_mT8_S1D_bDpT10_ENKUlT_T0_E_clISt17integral_constantIbLb1EES1Q_EEDaS1L_S1M_EUlS1L_E_NS1_11comp_targetILNS1_3genE4ELNS1_11target_archE910ELNS1_3gpuE8ELNS1_3repE0EEENS1_30default_config_static_selectorELNS0_4arch9wavefront6targetE0EEEvSZ_,@function
_ZN7rocprim17ROCPRIM_400000_NS6detail17trampoline_kernelINS0_13select_configILj256ELj13ELNS0_17block_load_methodE3ELS4_3ELS4_3ELNS0_20block_scan_algorithmE0ELj4294967295EEENS1_25partition_config_selectorILNS1_17partition_subalgoE3EjNS0_10empty_typeEbEEZZNS1_14partition_implILS8_3ELb0ES6_jNS0_17counting_iteratorIjlEEPS9_SE_NS0_5tupleIJPjSE_EEENSF_IJSE_SE_EEES9_SG_JZNS1_25segmented_radix_sort_implINS0_14default_configELb1EPK6__halfPSL_PKlPlN2at6native12_GLOBAL__N_18offset_tEEE10hipError_tPvRmT1_PNSt15iterator_traitsISZ_E10value_typeET2_T3_PNS10_IS15_E10value_typeET4_jRbjT5_S1B_jjP12ihipStream_tbEUljE_EEESW_SX_SY_S15_S19_S1B_T6_T7_T9_mT8_S1D_bDpT10_ENKUlT_T0_E_clISt17integral_constantIbLb1EES1Q_EEDaS1L_S1M_EUlS1L_E_NS1_11comp_targetILNS1_3genE4ELNS1_11target_archE910ELNS1_3gpuE8ELNS1_3repE0EEENS1_30default_config_static_selectorELNS0_4arch9wavefront6targetE0EEEvSZ_: ; @_ZN7rocprim17ROCPRIM_400000_NS6detail17trampoline_kernelINS0_13select_configILj256ELj13ELNS0_17block_load_methodE3ELS4_3ELS4_3ELNS0_20block_scan_algorithmE0ELj4294967295EEENS1_25partition_config_selectorILNS1_17partition_subalgoE3EjNS0_10empty_typeEbEEZZNS1_14partition_implILS8_3ELb0ES6_jNS0_17counting_iteratorIjlEEPS9_SE_NS0_5tupleIJPjSE_EEENSF_IJSE_SE_EEES9_SG_JZNS1_25segmented_radix_sort_implINS0_14default_configELb1EPK6__halfPSL_PKlPlN2at6native12_GLOBAL__N_18offset_tEEE10hipError_tPvRmT1_PNSt15iterator_traitsISZ_E10value_typeET2_T3_PNS10_IS15_E10value_typeET4_jRbjT5_S1B_jjP12ihipStream_tbEUljE_EEESW_SX_SY_S15_S19_S1B_T6_T7_T9_mT8_S1D_bDpT10_ENKUlT_T0_E_clISt17integral_constantIbLb1EES1Q_EEDaS1L_S1M_EUlS1L_E_NS1_11comp_targetILNS1_3genE4ELNS1_11target_archE910ELNS1_3gpuE8ELNS1_3repE0EEENS1_30default_config_static_selectorELNS0_4arch9wavefront6targetE0EEEvSZ_
; %bb.0:
	.section	.rodata,"a",@progbits
	.p2align	6, 0x0
	.amdhsa_kernel _ZN7rocprim17ROCPRIM_400000_NS6detail17trampoline_kernelINS0_13select_configILj256ELj13ELNS0_17block_load_methodE3ELS4_3ELS4_3ELNS0_20block_scan_algorithmE0ELj4294967295EEENS1_25partition_config_selectorILNS1_17partition_subalgoE3EjNS0_10empty_typeEbEEZZNS1_14partition_implILS8_3ELb0ES6_jNS0_17counting_iteratorIjlEEPS9_SE_NS0_5tupleIJPjSE_EEENSF_IJSE_SE_EEES9_SG_JZNS1_25segmented_radix_sort_implINS0_14default_configELb1EPK6__halfPSL_PKlPlN2at6native12_GLOBAL__N_18offset_tEEE10hipError_tPvRmT1_PNSt15iterator_traitsISZ_E10value_typeET2_T3_PNS10_IS15_E10value_typeET4_jRbjT5_S1B_jjP12ihipStream_tbEUljE_EEESW_SX_SY_S15_S19_S1B_T6_T7_T9_mT8_S1D_bDpT10_ENKUlT_T0_E_clISt17integral_constantIbLb1EES1Q_EEDaS1L_S1M_EUlS1L_E_NS1_11comp_targetILNS1_3genE4ELNS1_11target_archE910ELNS1_3gpuE8ELNS1_3repE0EEENS1_30default_config_static_selectorELNS0_4arch9wavefront6targetE0EEEvSZ_
		.amdhsa_group_segment_fixed_size 0
		.amdhsa_private_segment_fixed_size 0
		.amdhsa_kernarg_size 152
		.amdhsa_user_sgpr_count 6
		.amdhsa_user_sgpr_private_segment_buffer 1
		.amdhsa_user_sgpr_dispatch_ptr 0
		.amdhsa_user_sgpr_queue_ptr 0
		.amdhsa_user_sgpr_kernarg_segment_ptr 1
		.amdhsa_user_sgpr_dispatch_id 0
		.amdhsa_user_sgpr_flat_scratch_init 0
		.amdhsa_user_sgpr_private_segment_size 0
		.amdhsa_wavefront_size32 1
		.amdhsa_uses_dynamic_stack 0
		.amdhsa_system_sgpr_private_segment_wavefront_offset 0
		.amdhsa_system_sgpr_workgroup_id_x 1
		.amdhsa_system_sgpr_workgroup_id_y 0
		.amdhsa_system_sgpr_workgroup_id_z 0
		.amdhsa_system_sgpr_workgroup_info 0
		.amdhsa_system_vgpr_workitem_id 0
		.amdhsa_next_free_vgpr 1
		.amdhsa_next_free_sgpr 1
		.amdhsa_reserve_vcc 0
		.amdhsa_reserve_flat_scratch 0
		.amdhsa_float_round_mode_32 0
		.amdhsa_float_round_mode_16_64 0
		.amdhsa_float_denorm_mode_32 3
		.amdhsa_float_denorm_mode_16_64 3
		.amdhsa_dx10_clamp 1
		.amdhsa_ieee_mode 1
		.amdhsa_fp16_overflow 0
		.amdhsa_workgroup_processor_mode 1
		.amdhsa_memory_ordered 1
		.amdhsa_forward_progress 1
		.amdhsa_shared_vgpr_count 0
		.amdhsa_exception_fp_ieee_invalid_op 0
		.amdhsa_exception_fp_denorm_src 0
		.amdhsa_exception_fp_ieee_div_zero 0
		.amdhsa_exception_fp_ieee_overflow 0
		.amdhsa_exception_fp_ieee_underflow 0
		.amdhsa_exception_fp_ieee_inexact 0
		.amdhsa_exception_int_div_zero 0
	.end_amdhsa_kernel
	.section	.text._ZN7rocprim17ROCPRIM_400000_NS6detail17trampoline_kernelINS0_13select_configILj256ELj13ELNS0_17block_load_methodE3ELS4_3ELS4_3ELNS0_20block_scan_algorithmE0ELj4294967295EEENS1_25partition_config_selectorILNS1_17partition_subalgoE3EjNS0_10empty_typeEbEEZZNS1_14partition_implILS8_3ELb0ES6_jNS0_17counting_iteratorIjlEEPS9_SE_NS0_5tupleIJPjSE_EEENSF_IJSE_SE_EEES9_SG_JZNS1_25segmented_radix_sort_implINS0_14default_configELb1EPK6__halfPSL_PKlPlN2at6native12_GLOBAL__N_18offset_tEEE10hipError_tPvRmT1_PNSt15iterator_traitsISZ_E10value_typeET2_T3_PNS10_IS15_E10value_typeET4_jRbjT5_S1B_jjP12ihipStream_tbEUljE_EEESW_SX_SY_S15_S19_S1B_T6_T7_T9_mT8_S1D_bDpT10_ENKUlT_T0_E_clISt17integral_constantIbLb1EES1Q_EEDaS1L_S1M_EUlS1L_E_NS1_11comp_targetILNS1_3genE4ELNS1_11target_archE910ELNS1_3gpuE8ELNS1_3repE0EEENS1_30default_config_static_selectorELNS0_4arch9wavefront6targetE0EEEvSZ_,"axG",@progbits,_ZN7rocprim17ROCPRIM_400000_NS6detail17trampoline_kernelINS0_13select_configILj256ELj13ELNS0_17block_load_methodE3ELS4_3ELS4_3ELNS0_20block_scan_algorithmE0ELj4294967295EEENS1_25partition_config_selectorILNS1_17partition_subalgoE3EjNS0_10empty_typeEbEEZZNS1_14partition_implILS8_3ELb0ES6_jNS0_17counting_iteratorIjlEEPS9_SE_NS0_5tupleIJPjSE_EEENSF_IJSE_SE_EEES9_SG_JZNS1_25segmented_radix_sort_implINS0_14default_configELb1EPK6__halfPSL_PKlPlN2at6native12_GLOBAL__N_18offset_tEEE10hipError_tPvRmT1_PNSt15iterator_traitsISZ_E10value_typeET2_T3_PNS10_IS15_E10value_typeET4_jRbjT5_S1B_jjP12ihipStream_tbEUljE_EEESW_SX_SY_S15_S19_S1B_T6_T7_T9_mT8_S1D_bDpT10_ENKUlT_T0_E_clISt17integral_constantIbLb1EES1Q_EEDaS1L_S1M_EUlS1L_E_NS1_11comp_targetILNS1_3genE4ELNS1_11target_archE910ELNS1_3gpuE8ELNS1_3repE0EEENS1_30default_config_static_selectorELNS0_4arch9wavefront6targetE0EEEvSZ_,comdat
.Lfunc_end1707:
	.size	_ZN7rocprim17ROCPRIM_400000_NS6detail17trampoline_kernelINS0_13select_configILj256ELj13ELNS0_17block_load_methodE3ELS4_3ELS4_3ELNS0_20block_scan_algorithmE0ELj4294967295EEENS1_25partition_config_selectorILNS1_17partition_subalgoE3EjNS0_10empty_typeEbEEZZNS1_14partition_implILS8_3ELb0ES6_jNS0_17counting_iteratorIjlEEPS9_SE_NS0_5tupleIJPjSE_EEENSF_IJSE_SE_EEES9_SG_JZNS1_25segmented_radix_sort_implINS0_14default_configELb1EPK6__halfPSL_PKlPlN2at6native12_GLOBAL__N_18offset_tEEE10hipError_tPvRmT1_PNSt15iterator_traitsISZ_E10value_typeET2_T3_PNS10_IS15_E10value_typeET4_jRbjT5_S1B_jjP12ihipStream_tbEUljE_EEESW_SX_SY_S15_S19_S1B_T6_T7_T9_mT8_S1D_bDpT10_ENKUlT_T0_E_clISt17integral_constantIbLb1EES1Q_EEDaS1L_S1M_EUlS1L_E_NS1_11comp_targetILNS1_3genE4ELNS1_11target_archE910ELNS1_3gpuE8ELNS1_3repE0EEENS1_30default_config_static_selectorELNS0_4arch9wavefront6targetE0EEEvSZ_, .Lfunc_end1707-_ZN7rocprim17ROCPRIM_400000_NS6detail17trampoline_kernelINS0_13select_configILj256ELj13ELNS0_17block_load_methodE3ELS4_3ELS4_3ELNS0_20block_scan_algorithmE0ELj4294967295EEENS1_25partition_config_selectorILNS1_17partition_subalgoE3EjNS0_10empty_typeEbEEZZNS1_14partition_implILS8_3ELb0ES6_jNS0_17counting_iteratorIjlEEPS9_SE_NS0_5tupleIJPjSE_EEENSF_IJSE_SE_EEES9_SG_JZNS1_25segmented_radix_sort_implINS0_14default_configELb1EPK6__halfPSL_PKlPlN2at6native12_GLOBAL__N_18offset_tEEE10hipError_tPvRmT1_PNSt15iterator_traitsISZ_E10value_typeET2_T3_PNS10_IS15_E10value_typeET4_jRbjT5_S1B_jjP12ihipStream_tbEUljE_EEESW_SX_SY_S15_S19_S1B_T6_T7_T9_mT8_S1D_bDpT10_ENKUlT_T0_E_clISt17integral_constantIbLb1EES1Q_EEDaS1L_S1M_EUlS1L_E_NS1_11comp_targetILNS1_3genE4ELNS1_11target_archE910ELNS1_3gpuE8ELNS1_3repE0EEENS1_30default_config_static_selectorELNS0_4arch9wavefront6targetE0EEEvSZ_
                                        ; -- End function
	.set _ZN7rocprim17ROCPRIM_400000_NS6detail17trampoline_kernelINS0_13select_configILj256ELj13ELNS0_17block_load_methodE3ELS4_3ELS4_3ELNS0_20block_scan_algorithmE0ELj4294967295EEENS1_25partition_config_selectorILNS1_17partition_subalgoE3EjNS0_10empty_typeEbEEZZNS1_14partition_implILS8_3ELb0ES6_jNS0_17counting_iteratorIjlEEPS9_SE_NS0_5tupleIJPjSE_EEENSF_IJSE_SE_EEES9_SG_JZNS1_25segmented_radix_sort_implINS0_14default_configELb1EPK6__halfPSL_PKlPlN2at6native12_GLOBAL__N_18offset_tEEE10hipError_tPvRmT1_PNSt15iterator_traitsISZ_E10value_typeET2_T3_PNS10_IS15_E10value_typeET4_jRbjT5_S1B_jjP12ihipStream_tbEUljE_EEESW_SX_SY_S15_S19_S1B_T6_T7_T9_mT8_S1D_bDpT10_ENKUlT_T0_E_clISt17integral_constantIbLb1EES1Q_EEDaS1L_S1M_EUlS1L_E_NS1_11comp_targetILNS1_3genE4ELNS1_11target_archE910ELNS1_3gpuE8ELNS1_3repE0EEENS1_30default_config_static_selectorELNS0_4arch9wavefront6targetE0EEEvSZ_.num_vgpr, 0
	.set _ZN7rocprim17ROCPRIM_400000_NS6detail17trampoline_kernelINS0_13select_configILj256ELj13ELNS0_17block_load_methodE3ELS4_3ELS4_3ELNS0_20block_scan_algorithmE0ELj4294967295EEENS1_25partition_config_selectorILNS1_17partition_subalgoE3EjNS0_10empty_typeEbEEZZNS1_14partition_implILS8_3ELb0ES6_jNS0_17counting_iteratorIjlEEPS9_SE_NS0_5tupleIJPjSE_EEENSF_IJSE_SE_EEES9_SG_JZNS1_25segmented_radix_sort_implINS0_14default_configELb1EPK6__halfPSL_PKlPlN2at6native12_GLOBAL__N_18offset_tEEE10hipError_tPvRmT1_PNSt15iterator_traitsISZ_E10value_typeET2_T3_PNS10_IS15_E10value_typeET4_jRbjT5_S1B_jjP12ihipStream_tbEUljE_EEESW_SX_SY_S15_S19_S1B_T6_T7_T9_mT8_S1D_bDpT10_ENKUlT_T0_E_clISt17integral_constantIbLb1EES1Q_EEDaS1L_S1M_EUlS1L_E_NS1_11comp_targetILNS1_3genE4ELNS1_11target_archE910ELNS1_3gpuE8ELNS1_3repE0EEENS1_30default_config_static_selectorELNS0_4arch9wavefront6targetE0EEEvSZ_.num_agpr, 0
	.set _ZN7rocprim17ROCPRIM_400000_NS6detail17trampoline_kernelINS0_13select_configILj256ELj13ELNS0_17block_load_methodE3ELS4_3ELS4_3ELNS0_20block_scan_algorithmE0ELj4294967295EEENS1_25partition_config_selectorILNS1_17partition_subalgoE3EjNS0_10empty_typeEbEEZZNS1_14partition_implILS8_3ELb0ES6_jNS0_17counting_iteratorIjlEEPS9_SE_NS0_5tupleIJPjSE_EEENSF_IJSE_SE_EEES9_SG_JZNS1_25segmented_radix_sort_implINS0_14default_configELb1EPK6__halfPSL_PKlPlN2at6native12_GLOBAL__N_18offset_tEEE10hipError_tPvRmT1_PNSt15iterator_traitsISZ_E10value_typeET2_T3_PNS10_IS15_E10value_typeET4_jRbjT5_S1B_jjP12ihipStream_tbEUljE_EEESW_SX_SY_S15_S19_S1B_T6_T7_T9_mT8_S1D_bDpT10_ENKUlT_T0_E_clISt17integral_constantIbLb1EES1Q_EEDaS1L_S1M_EUlS1L_E_NS1_11comp_targetILNS1_3genE4ELNS1_11target_archE910ELNS1_3gpuE8ELNS1_3repE0EEENS1_30default_config_static_selectorELNS0_4arch9wavefront6targetE0EEEvSZ_.numbered_sgpr, 0
	.set _ZN7rocprim17ROCPRIM_400000_NS6detail17trampoline_kernelINS0_13select_configILj256ELj13ELNS0_17block_load_methodE3ELS4_3ELS4_3ELNS0_20block_scan_algorithmE0ELj4294967295EEENS1_25partition_config_selectorILNS1_17partition_subalgoE3EjNS0_10empty_typeEbEEZZNS1_14partition_implILS8_3ELb0ES6_jNS0_17counting_iteratorIjlEEPS9_SE_NS0_5tupleIJPjSE_EEENSF_IJSE_SE_EEES9_SG_JZNS1_25segmented_radix_sort_implINS0_14default_configELb1EPK6__halfPSL_PKlPlN2at6native12_GLOBAL__N_18offset_tEEE10hipError_tPvRmT1_PNSt15iterator_traitsISZ_E10value_typeET2_T3_PNS10_IS15_E10value_typeET4_jRbjT5_S1B_jjP12ihipStream_tbEUljE_EEESW_SX_SY_S15_S19_S1B_T6_T7_T9_mT8_S1D_bDpT10_ENKUlT_T0_E_clISt17integral_constantIbLb1EES1Q_EEDaS1L_S1M_EUlS1L_E_NS1_11comp_targetILNS1_3genE4ELNS1_11target_archE910ELNS1_3gpuE8ELNS1_3repE0EEENS1_30default_config_static_selectorELNS0_4arch9wavefront6targetE0EEEvSZ_.num_named_barrier, 0
	.set _ZN7rocprim17ROCPRIM_400000_NS6detail17trampoline_kernelINS0_13select_configILj256ELj13ELNS0_17block_load_methodE3ELS4_3ELS4_3ELNS0_20block_scan_algorithmE0ELj4294967295EEENS1_25partition_config_selectorILNS1_17partition_subalgoE3EjNS0_10empty_typeEbEEZZNS1_14partition_implILS8_3ELb0ES6_jNS0_17counting_iteratorIjlEEPS9_SE_NS0_5tupleIJPjSE_EEENSF_IJSE_SE_EEES9_SG_JZNS1_25segmented_radix_sort_implINS0_14default_configELb1EPK6__halfPSL_PKlPlN2at6native12_GLOBAL__N_18offset_tEEE10hipError_tPvRmT1_PNSt15iterator_traitsISZ_E10value_typeET2_T3_PNS10_IS15_E10value_typeET4_jRbjT5_S1B_jjP12ihipStream_tbEUljE_EEESW_SX_SY_S15_S19_S1B_T6_T7_T9_mT8_S1D_bDpT10_ENKUlT_T0_E_clISt17integral_constantIbLb1EES1Q_EEDaS1L_S1M_EUlS1L_E_NS1_11comp_targetILNS1_3genE4ELNS1_11target_archE910ELNS1_3gpuE8ELNS1_3repE0EEENS1_30default_config_static_selectorELNS0_4arch9wavefront6targetE0EEEvSZ_.private_seg_size, 0
	.set _ZN7rocprim17ROCPRIM_400000_NS6detail17trampoline_kernelINS0_13select_configILj256ELj13ELNS0_17block_load_methodE3ELS4_3ELS4_3ELNS0_20block_scan_algorithmE0ELj4294967295EEENS1_25partition_config_selectorILNS1_17partition_subalgoE3EjNS0_10empty_typeEbEEZZNS1_14partition_implILS8_3ELb0ES6_jNS0_17counting_iteratorIjlEEPS9_SE_NS0_5tupleIJPjSE_EEENSF_IJSE_SE_EEES9_SG_JZNS1_25segmented_radix_sort_implINS0_14default_configELb1EPK6__halfPSL_PKlPlN2at6native12_GLOBAL__N_18offset_tEEE10hipError_tPvRmT1_PNSt15iterator_traitsISZ_E10value_typeET2_T3_PNS10_IS15_E10value_typeET4_jRbjT5_S1B_jjP12ihipStream_tbEUljE_EEESW_SX_SY_S15_S19_S1B_T6_T7_T9_mT8_S1D_bDpT10_ENKUlT_T0_E_clISt17integral_constantIbLb1EES1Q_EEDaS1L_S1M_EUlS1L_E_NS1_11comp_targetILNS1_3genE4ELNS1_11target_archE910ELNS1_3gpuE8ELNS1_3repE0EEENS1_30default_config_static_selectorELNS0_4arch9wavefront6targetE0EEEvSZ_.uses_vcc, 0
	.set _ZN7rocprim17ROCPRIM_400000_NS6detail17trampoline_kernelINS0_13select_configILj256ELj13ELNS0_17block_load_methodE3ELS4_3ELS4_3ELNS0_20block_scan_algorithmE0ELj4294967295EEENS1_25partition_config_selectorILNS1_17partition_subalgoE3EjNS0_10empty_typeEbEEZZNS1_14partition_implILS8_3ELb0ES6_jNS0_17counting_iteratorIjlEEPS9_SE_NS0_5tupleIJPjSE_EEENSF_IJSE_SE_EEES9_SG_JZNS1_25segmented_radix_sort_implINS0_14default_configELb1EPK6__halfPSL_PKlPlN2at6native12_GLOBAL__N_18offset_tEEE10hipError_tPvRmT1_PNSt15iterator_traitsISZ_E10value_typeET2_T3_PNS10_IS15_E10value_typeET4_jRbjT5_S1B_jjP12ihipStream_tbEUljE_EEESW_SX_SY_S15_S19_S1B_T6_T7_T9_mT8_S1D_bDpT10_ENKUlT_T0_E_clISt17integral_constantIbLb1EES1Q_EEDaS1L_S1M_EUlS1L_E_NS1_11comp_targetILNS1_3genE4ELNS1_11target_archE910ELNS1_3gpuE8ELNS1_3repE0EEENS1_30default_config_static_selectorELNS0_4arch9wavefront6targetE0EEEvSZ_.uses_flat_scratch, 0
	.set _ZN7rocprim17ROCPRIM_400000_NS6detail17trampoline_kernelINS0_13select_configILj256ELj13ELNS0_17block_load_methodE3ELS4_3ELS4_3ELNS0_20block_scan_algorithmE0ELj4294967295EEENS1_25partition_config_selectorILNS1_17partition_subalgoE3EjNS0_10empty_typeEbEEZZNS1_14partition_implILS8_3ELb0ES6_jNS0_17counting_iteratorIjlEEPS9_SE_NS0_5tupleIJPjSE_EEENSF_IJSE_SE_EEES9_SG_JZNS1_25segmented_radix_sort_implINS0_14default_configELb1EPK6__halfPSL_PKlPlN2at6native12_GLOBAL__N_18offset_tEEE10hipError_tPvRmT1_PNSt15iterator_traitsISZ_E10value_typeET2_T3_PNS10_IS15_E10value_typeET4_jRbjT5_S1B_jjP12ihipStream_tbEUljE_EEESW_SX_SY_S15_S19_S1B_T6_T7_T9_mT8_S1D_bDpT10_ENKUlT_T0_E_clISt17integral_constantIbLb1EES1Q_EEDaS1L_S1M_EUlS1L_E_NS1_11comp_targetILNS1_3genE4ELNS1_11target_archE910ELNS1_3gpuE8ELNS1_3repE0EEENS1_30default_config_static_selectorELNS0_4arch9wavefront6targetE0EEEvSZ_.has_dyn_sized_stack, 0
	.set _ZN7rocprim17ROCPRIM_400000_NS6detail17trampoline_kernelINS0_13select_configILj256ELj13ELNS0_17block_load_methodE3ELS4_3ELS4_3ELNS0_20block_scan_algorithmE0ELj4294967295EEENS1_25partition_config_selectorILNS1_17partition_subalgoE3EjNS0_10empty_typeEbEEZZNS1_14partition_implILS8_3ELb0ES6_jNS0_17counting_iteratorIjlEEPS9_SE_NS0_5tupleIJPjSE_EEENSF_IJSE_SE_EEES9_SG_JZNS1_25segmented_radix_sort_implINS0_14default_configELb1EPK6__halfPSL_PKlPlN2at6native12_GLOBAL__N_18offset_tEEE10hipError_tPvRmT1_PNSt15iterator_traitsISZ_E10value_typeET2_T3_PNS10_IS15_E10value_typeET4_jRbjT5_S1B_jjP12ihipStream_tbEUljE_EEESW_SX_SY_S15_S19_S1B_T6_T7_T9_mT8_S1D_bDpT10_ENKUlT_T0_E_clISt17integral_constantIbLb1EES1Q_EEDaS1L_S1M_EUlS1L_E_NS1_11comp_targetILNS1_3genE4ELNS1_11target_archE910ELNS1_3gpuE8ELNS1_3repE0EEENS1_30default_config_static_selectorELNS0_4arch9wavefront6targetE0EEEvSZ_.has_recursion, 0
	.set _ZN7rocprim17ROCPRIM_400000_NS6detail17trampoline_kernelINS0_13select_configILj256ELj13ELNS0_17block_load_methodE3ELS4_3ELS4_3ELNS0_20block_scan_algorithmE0ELj4294967295EEENS1_25partition_config_selectorILNS1_17partition_subalgoE3EjNS0_10empty_typeEbEEZZNS1_14partition_implILS8_3ELb0ES6_jNS0_17counting_iteratorIjlEEPS9_SE_NS0_5tupleIJPjSE_EEENSF_IJSE_SE_EEES9_SG_JZNS1_25segmented_radix_sort_implINS0_14default_configELb1EPK6__halfPSL_PKlPlN2at6native12_GLOBAL__N_18offset_tEEE10hipError_tPvRmT1_PNSt15iterator_traitsISZ_E10value_typeET2_T3_PNS10_IS15_E10value_typeET4_jRbjT5_S1B_jjP12ihipStream_tbEUljE_EEESW_SX_SY_S15_S19_S1B_T6_T7_T9_mT8_S1D_bDpT10_ENKUlT_T0_E_clISt17integral_constantIbLb1EES1Q_EEDaS1L_S1M_EUlS1L_E_NS1_11comp_targetILNS1_3genE4ELNS1_11target_archE910ELNS1_3gpuE8ELNS1_3repE0EEENS1_30default_config_static_selectorELNS0_4arch9wavefront6targetE0EEEvSZ_.has_indirect_call, 0
	.section	.AMDGPU.csdata,"",@progbits
; Kernel info:
; codeLenInByte = 0
; TotalNumSgprs: 0
; NumVgprs: 0
; ScratchSize: 0
; MemoryBound: 0
; FloatMode: 240
; IeeeMode: 1
; LDSByteSize: 0 bytes/workgroup (compile time only)
; SGPRBlocks: 0
; VGPRBlocks: 0
; NumSGPRsForWavesPerEU: 1
; NumVGPRsForWavesPerEU: 1
; Occupancy: 16
; WaveLimiterHint : 0
; COMPUTE_PGM_RSRC2:SCRATCH_EN: 0
; COMPUTE_PGM_RSRC2:USER_SGPR: 6
; COMPUTE_PGM_RSRC2:TRAP_HANDLER: 0
; COMPUTE_PGM_RSRC2:TGID_X_EN: 1
; COMPUTE_PGM_RSRC2:TGID_Y_EN: 0
; COMPUTE_PGM_RSRC2:TGID_Z_EN: 0
; COMPUTE_PGM_RSRC2:TIDIG_COMP_CNT: 0
	.section	.text._ZN7rocprim17ROCPRIM_400000_NS6detail17trampoline_kernelINS0_13select_configILj256ELj13ELNS0_17block_load_methodE3ELS4_3ELS4_3ELNS0_20block_scan_algorithmE0ELj4294967295EEENS1_25partition_config_selectorILNS1_17partition_subalgoE3EjNS0_10empty_typeEbEEZZNS1_14partition_implILS8_3ELb0ES6_jNS0_17counting_iteratorIjlEEPS9_SE_NS0_5tupleIJPjSE_EEENSF_IJSE_SE_EEES9_SG_JZNS1_25segmented_radix_sort_implINS0_14default_configELb1EPK6__halfPSL_PKlPlN2at6native12_GLOBAL__N_18offset_tEEE10hipError_tPvRmT1_PNSt15iterator_traitsISZ_E10value_typeET2_T3_PNS10_IS15_E10value_typeET4_jRbjT5_S1B_jjP12ihipStream_tbEUljE_EEESW_SX_SY_S15_S19_S1B_T6_T7_T9_mT8_S1D_bDpT10_ENKUlT_T0_E_clISt17integral_constantIbLb1EES1Q_EEDaS1L_S1M_EUlS1L_E_NS1_11comp_targetILNS1_3genE3ELNS1_11target_archE908ELNS1_3gpuE7ELNS1_3repE0EEENS1_30default_config_static_selectorELNS0_4arch9wavefront6targetE0EEEvSZ_,"axG",@progbits,_ZN7rocprim17ROCPRIM_400000_NS6detail17trampoline_kernelINS0_13select_configILj256ELj13ELNS0_17block_load_methodE3ELS4_3ELS4_3ELNS0_20block_scan_algorithmE0ELj4294967295EEENS1_25partition_config_selectorILNS1_17partition_subalgoE3EjNS0_10empty_typeEbEEZZNS1_14partition_implILS8_3ELb0ES6_jNS0_17counting_iteratorIjlEEPS9_SE_NS0_5tupleIJPjSE_EEENSF_IJSE_SE_EEES9_SG_JZNS1_25segmented_radix_sort_implINS0_14default_configELb1EPK6__halfPSL_PKlPlN2at6native12_GLOBAL__N_18offset_tEEE10hipError_tPvRmT1_PNSt15iterator_traitsISZ_E10value_typeET2_T3_PNS10_IS15_E10value_typeET4_jRbjT5_S1B_jjP12ihipStream_tbEUljE_EEESW_SX_SY_S15_S19_S1B_T6_T7_T9_mT8_S1D_bDpT10_ENKUlT_T0_E_clISt17integral_constantIbLb1EES1Q_EEDaS1L_S1M_EUlS1L_E_NS1_11comp_targetILNS1_3genE3ELNS1_11target_archE908ELNS1_3gpuE7ELNS1_3repE0EEENS1_30default_config_static_selectorELNS0_4arch9wavefront6targetE0EEEvSZ_,comdat
	.globl	_ZN7rocprim17ROCPRIM_400000_NS6detail17trampoline_kernelINS0_13select_configILj256ELj13ELNS0_17block_load_methodE3ELS4_3ELS4_3ELNS0_20block_scan_algorithmE0ELj4294967295EEENS1_25partition_config_selectorILNS1_17partition_subalgoE3EjNS0_10empty_typeEbEEZZNS1_14partition_implILS8_3ELb0ES6_jNS0_17counting_iteratorIjlEEPS9_SE_NS0_5tupleIJPjSE_EEENSF_IJSE_SE_EEES9_SG_JZNS1_25segmented_radix_sort_implINS0_14default_configELb1EPK6__halfPSL_PKlPlN2at6native12_GLOBAL__N_18offset_tEEE10hipError_tPvRmT1_PNSt15iterator_traitsISZ_E10value_typeET2_T3_PNS10_IS15_E10value_typeET4_jRbjT5_S1B_jjP12ihipStream_tbEUljE_EEESW_SX_SY_S15_S19_S1B_T6_T7_T9_mT8_S1D_bDpT10_ENKUlT_T0_E_clISt17integral_constantIbLb1EES1Q_EEDaS1L_S1M_EUlS1L_E_NS1_11comp_targetILNS1_3genE3ELNS1_11target_archE908ELNS1_3gpuE7ELNS1_3repE0EEENS1_30default_config_static_selectorELNS0_4arch9wavefront6targetE0EEEvSZ_ ; -- Begin function _ZN7rocprim17ROCPRIM_400000_NS6detail17trampoline_kernelINS0_13select_configILj256ELj13ELNS0_17block_load_methodE3ELS4_3ELS4_3ELNS0_20block_scan_algorithmE0ELj4294967295EEENS1_25partition_config_selectorILNS1_17partition_subalgoE3EjNS0_10empty_typeEbEEZZNS1_14partition_implILS8_3ELb0ES6_jNS0_17counting_iteratorIjlEEPS9_SE_NS0_5tupleIJPjSE_EEENSF_IJSE_SE_EEES9_SG_JZNS1_25segmented_radix_sort_implINS0_14default_configELb1EPK6__halfPSL_PKlPlN2at6native12_GLOBAL__N_18offset_tEEE10hipError_tPvRmT1_PNSt15iterator_traitsISZ_E10value_typeET2_T3_PNS10_IS15_E10value_typeET4_jRbjT5_S1B_jjP12ihipStream_tbEUljE_EEESW_SX_SY_S15_S19_S1B_T6_T7_T9_mT8_S1D_bDpT10_ENKUlT_T0_E_clISt17integral_constantIbLb1EES1Q_EEDaS1L_S1M_EUlS1L_E_NS1_11comp_targetILNS1_3genE3ELNS1_11target_archE908ELNS1_3gpuE7ELNS1_3repE0EEENS1_30default_config_static_selectorELNS0_4arch9wavefront6targetE0EEEvSZ_
	.p2align	8
	.type	_ZN7rocprim17ROCPRIM_400000_NS6detail17trampoline_kernelINS0_13select_configILj256ELj13ELNS0_17block_load_methodE3ELS4_3ELS4_3ELNS0_20block_scan_algorithmE0ELj4294967295EEENS1_25partition_config_selectorILNS1_17partition_subalgoE3EjNS0_10empty_typeEbEEZZNS1_14partition_implILS8_3ELb0ES6_jNS0_17counting_iteratorIjlEEPS9_SE_NS0_5tupleIJPjSE_EEENSF_IJSE_SE_EEES9_SG_JZNS1_25segmented_radix_sort_implINS0_14default_configELb1EPK6__halfPSL_PKlPlN2at6native12_GLOBAL__N_18offset_tEEE10hipError_tPvRmT1_PNSt15iterator_traitsISZ_E10value_typeET2_T3_PNS10_IS15_E10value_typeET4_jRbjT5_S1B_jjP12ihipStream_tbEUljE_EEESW_SX_SY_S15_S19_S1B_T6_T7_T9_mT8_S1D_bDpT10_ENKUlT_T0_E_clISt17integral_constantIbLb1EES1Q_EEDaS1L_S1M_EUlS1L_E_NS1_11comp_targetILNS1_3genE3ELNS1_11target_archE908ELNS1_3gpuE7ELNS1_3repE0EEENS1_30default_config_static_selectorELNS0_4arch9wavefront6targetE0EEEvSZ_,@function
_ZN7rocprim17ROCPRIM_400000_NS6detail17trampoline_kernelINS0_13select_configILj256ELj13ELNS0_17block_load_methodE3ELS4_3ELS4_3ELNS0_20block_scan_algorithmE0ELj4294967295EEENS1_25partition_config_selectorILNS1_17partition_subalgoE3EjNS0_10empty_typeEbEEZZNS1_14partition_implILS8_3ELb0ES6_jNS0_17counting_iteratorIjlEEPS9_SE_NS0_5tupleIJPjSE_EEENSF_IJSE_SE_EEES9_SG_JZNS1_25segmented_radix_sort_implINS0_14default_configELb1EPK6__halfPSL_PKlPlN2at6native12_GLOBAL__N_18offset_tEEE10hipError_tPvRmT1_PNSt15iterator_traitsISZ_E10value_typeET2_T3_PNS10_IS15_E10value_typeET4_jRbjT5_S1B_jjP12ihipStream_tbEUljE_EEESW_SX_SY_S15_S19_S1B_T6_T7_T9_mT8_S1D_bDpT10_ENKUlT_T0_E_clISt17integral_constantIbLb1EES1Q_EEDaS1L_S1M_EUlS1L_E_NS1_11comp_targetILNS1_3genE3ELNS1_11target_archE908ELNS1_3gpuE7ELNS1_3repE0EEENS1_30default_config_static_selectorELNS0_4arch9wavefront6targetE0EEEvSZ_: ; @_ZN7rocprim17ROCPRIM_400000_NS6detail17trampoline_kernelINS0_13select_configILj256ELj13ELNS0_17block_load_methodE3ELS4_3ELS4_3ELNS0_20block_scan_algorithmE0ELj4294967295EEENS1_25partition_config_selectorILNS1_17partition_subalgoE3EjNS0_10empty_typeEbEEZZNS1_14partition_implILS8_3ELb0ES6_jNS0_17counting_iteratorIjlEEPS9_SE_NS0_5tupleIJPjSE_EEENSF_IJSE_SE_EEES9_SG_JZNS1_25segmented_radix_sort_implINS0_14default_configELb1EPK6__halfPSL_PKlPlN2at6native12_GLOBAL__N_18offset_tEEE10hipError_tPvRmT1_PNSt15iterator_traitsISZ_E10value_typeET2_T3_PNS10_IS15_E10value_typeET4_jRbjT5_S1B_jjP12ihipStream_tbEUljE_EEESW_SX_SY_S15_S19_S1B_T6_T7_T9_mT8_S1D_bDpT10_ENKUlT_T0_E_clISt17integral_constantIbLb1EES1Q_EEDaS1L_S1M_EUlS1L_E_NS1_11comp_targetILNS1_3genE3ELNS1_11target_archE908ELNS1_3gpuE7ELNS1_3repE0EEENS1_30default_config_static_selectorELNS0_4arch9wavefront6targetE0EEEvSZ_
; %bb.0:
	.section	.rodata,"a",@progbits
	.p2align	6, 0x0
	.amdhsa_kernel _ZN7rocprim17ROCPRIM_400000_NS6detail17trampoline_kernelINS0_13select_configILj256ELj13ELNS0_17block_load_methodE3ELS4_3ELS4_3ELNS0_20block_scan_algorithmE0ELj4294967295EEENS1_25partition_config_selectorILNS1_17partition_subalgoE3EjNS0_10empty_typeEbEEZZNS1_14partition_implILS8_3ELb0ES6_jNS0_17counting_iteratorIjlEEPS9_SE_NS0_5tupleIJPjSE_EEENSF_IJSE_SE_EEES9_SG_JZNS1_25segmented_radix_sort_implINS0_14default_configELb1EPK6__halfPSL_PKlPlN2at6native12_GLOBAL__N_18offset_tEEE10hipError_tPvRmT1_PNSt15iterator_traitsISZ_E10value_typeET2_T3_PNS10_IS15_E10value_typeET4_jRbjT5_S1B_jjP12ihipStream_tbEUljE_EEESW_SX_SY_S15_S19_S1B_T6_T7_T9_mT8_S1D_bDpT10_ENKUlT_T0_E_clISt17integral_constantIbLb1EES1Q_EEDaS1L_S1M_EUlS1L_E_NS1_11comp_targetILNS1_3genE3ELNS1_11target_archE908ELNS1_3gpuE7ELNS1_3repE0EEENS1_30default_config_static_selectorELNS0_4arch9wavefront6targetE0EEEvSZ_
		.amdhsa_group_segment_fixed_size 0
		.amdhsa_private_segment_fixed_size 0
		.amdhsa_kernarg_size 152
		.amdhsa_user_sgpr_count 6
		.amdhsa_user_sgpr_private_segment_buffer 1
		.amdhsa_user_sgpr_dispatch_ptr 0
		.amdhsa_user_sgpr_queue_ptr 0
		.amdhsa_user_sgpr_kernarg_segment_ptr 1
		.amdhsa_user_sgpr_dispatch_id 0
		.amdhsa_user_sgpr_flat_scratch_init 0
		.amdhsa_user_sgpr_private_segment_size 0
		.amdhsa_wavefront_size32 1
		.amdhsa_uses_dynamic_stack 0
		.amdhsa_system_sgpr_private_segment_wavefront_offset 0
		.amdhsa_system_sgpr_workgroup_id_x 1
		.amdhsa_system_sgpr_workgroup_id_y 0
		.amdhsa_system_sgpr_workgroup_id_z 0
		.amdhsa_system_sgpr_workgroup_info 0
		.amdhsa_system_vgpr_workitem_id 0
		.amdhsa_next_free_vgpr 1
		.amdhsa_next_free_sgpr 1
		.amdhsa_reserve_vcc 0
		.amdhsa_reserve_flat_scratch 0
		.amdhsa_float_round_mode_32 0
		.amdhsa_float_round_mode_16_64 0
		.amdhsa_float_denorm_mode_32 3
		.amdhsa_float_denorm_mode_16_64 3
		.amdhsa_dx10_clamp 1
		.amdhsa_ieee_mode 1
		.amdhsa_fp16_overflow 0
		.amdhsa_workgroup_processor_mode 1
		.amdhsa_memory_ordered 1
		.amdhsa_forward_progress 1
		.amdhsa_shared_vgpr_count 0
		.amdhsa_exception_fp_ieee_invalid_op 0
		.amdhsa_exception_fp_denorm_src 0
		.amdhsa_exception_fp_ieee_div_zero 0
		.amdhsa_exception_fp_ieee_overflow 0
		.amdhsa_exception_fp_ieee_underflow 0
		.amdhsa_exception_fp_ieee_inexact 0
		.amdhsa_exception_int_div_zero 0
	.end_amdhsa_kernel
	.section	.text._ZN7rocprim17ROCPRIM_400000_NS6detail17trampoline_kernelINS0_13select_configILj256ELj13ELNS0_17block_load_methodE3ELS4_3ELS4_3ELNS0_20block_scan_algorithmE0ELj4294967295EEENS1_25partition_config_selectorILNS1_17partition_subalgoE3EjNS0_10empty_typeEbEEZZNS1_14partition_implILS8_3ELb0ES6_jNS0_17counting_iteratorIjlEEPS9_SE_NS0_5tupleIJPjSE_EEENSF_IJSE_SE_EEES9_SG_JZNS1_25segmented_radix_sort_implINS0_14default_configELb1EPK6__halfPSL_PKlPlN2at6native12_GLOBAL__N_18offset_tEEE10hipError_tPvRmT1_PNSt15iterator_traitsISZ_E10value_typeET2_T3_PNS10_IS15_E10value_typeET4_jRbjT5_S1B_jjP12ihipStream_tbEUljE_EEESW_SX_SY_S15_S19_S1B_T6_T7_T9_mT8_S1D_bDpT10_ENKUlT_T0_E_clISt17integral_constantIbLb1EES1Q_EEDaS1L_S1M_EUlS1L_E_NS1_11comp_targetILNS1_3genE3ELNS1_11target_archE908ELNS1_3gpuE7ELNS1_3repE0EEENS1_30default_config_static_selectorELNS0_4arch9wavefront6targetE0EEEvSZ_,"axG",@progbits,_ZN7rocprim17ROCPRIM_400000_NS6detail17trampoline_kernelINS0_13select_configILj256ELj13ELNS0_17block_load_methodE3ELS4_3ELS4_3ELNS0_20block_scan_algorithmE0ELj4294967295EEENS1_25partition_config_selectorILNS1_17partition_subalgoE3EjNS0_10empty_typeEbEEZZNS1_14partition_implILS8_3ELb0ES6_jNS0_17counting_iteratorIjlEEPS9_SE_NS0_5tupleIJPjSE_EEENSF_IJSE_SE_EEES9_SG_JZNS1_25segmented_radix_sort_implINS0_14default_configELb1EPK6__halfPSL_PKlPlN2at6native12_GLOBAL__N_18offset_tEEE10hipError_tPvRmT1_PNSt15iterator_traitsISZ_E10value_typeET2_T3_PNS10_IS15_E10value_typeET4_jRbjT5_S1B_jjP12ihipStream_tbEUljE_EEESW_SX_SY_S15_S19_S1B_T6_T7_T9_mT8_S1D_bDpT10_ENKUlT_T0_E_clISt17integral_constantIbLb1EES1Q_EEDaS1L_S1M_EUlS1L_E_NS1_11comp_targetILNS1_3genE3ELNS1_11target_archE908ELNS1_3gpuE7ELNS1_3repE0EEENS1_30default_config_static_selectorELNS0_4arch9wavefront6targetE0EEEvSZ_,comdat
.Lfunc_end1708:
	.size	_ZN7rocprim17ROCPRIM_400000_NS6detail17trampoline_kernelINS0_13select_configILj256ELj13ELNS0_17block_load_methodE3ELS4_3ELS4_3ELNS0_20block_scan_algorithmE0ELj4294967295EEENS1_25partition_config_selectorILNS1_17partition_subalgoE3EjNS0_10empty_typeEbEEZZNS1_14partition_implILS8_3ELb0ES6_jNS0_17counting_iteratorIjlEEPS9_SE_NS0_5tupleIJPjSE_EEENSF_IJSE_SE_EEES9_SG_JZNS1_25segmented_radix_sort_implINS0_14default_configELb1EPK6__halfPSL_PKlPlN2at6native12_GLOBAL__N_18offset_tEEE10hipError_tPvRmT1_PNSt15iterator_traitsISZ_E10value_typeET2_T3_PNS10_IS15_E10value_typeET4_jRbjT5_S1B_jjP12ihipStream_tbEUljE_EEESW_SX_SY_S15_S19_S1B_T6_T7_T9_mT8_S1D_bDpT10_ENKUlT_T0_E_clISt17integral_constantIbLb1EES1Q_EEDaS1L_S1M_EUlS1L_E_NS1_11comp_targetILNS1_3genE3ELNS1_11target_archE908ELNS1_3gpuE7ELNS1_3repE0EEENS1_30default_config_static_selectorELNS0_4arch9wavefront6targetE0EEEvSZ_, .Lfunc_end1708-_ZN7rocprim17ROCPRIM_400000_NS6detail17trampoline_kernelINS0_13select_configILj256ELj13ELNS0_17block_load_methodE3ELS4_3ELS4_3ELNS0_20block_scan_algorithmE0ELj4294967295EEENS1_25partition_config_selectorILNS1_17partition_subalgoE3EjNS0_10empty_typeEbEEZZNS1_14partition_implILS8_3ELb0ES6_jNS0_17counting_iteratorIjlEEPS9_SE_NS0_5tupleIJPjSE_EEENSF_IJSE_SE_EEES9_SG_JZNS1_25segmented_radix_sort_implINS0_14default_configELb1EPK6__halfPSL_PKlPlN2at6native12_GLOBAL__N_18offset_tEEE10hipError_tPvRmT1_PNSt15iterator_traitsISZ_E10value_typeET2_T3_PNS10_IS15_E10value_typeET4_jRbjT5_S1B_jjP12ihipStream_tbEUljE_EEESW_SX_SY_S15_S19_S1B_T6_T7_T9_mT8_S1D_bDpT10_ENKUlT_T0_E_clISt17integral_constantIbLb1EES1Q_EEDaS1L_S1M_EUlS1L_E_NS1_11comp_targetILNS1_3genE3ELNS1_11target_archE908ELNS1_3gpuE7ELNS1_3repE0EEENS1_30default_config_static_selectorELNS0_4arch9wavefront6targetE0EEEvSZ_
                                        ; -- End function
	.set _ZN7rocprim17ROCPRIM_400000_NS6detail17trampoline_kernelINS0_13select_configILj256ELj13ELNS0_17block_load_methodE3ELS4_3ELS4_3ELNS0_20block_scan_algorithmE0ELj4294967295EEENS1_25partition_config_selectorILNS1_17partition_subalgoE3EjNS0_10empty_typeEbEEZZNS1_14partition_implILS8_3ELb0ES6_jNS0_17counting_iteratorIjlEEPS9_SE_NS0_5tupleIJPjSE_EEENSF_IJSE_SE_EEES9_SG_JZNS1_25segmented_radix_sort_implINS0_14default_configELb1EPK6__halfPSL_PKlPlN2at6native12_GLOBAL__N_18offset_tEEE10hipError_tPvRmT1_PNSt15iterator_traitsISZ_E10value_typeET2_T3_PNS10_IS15_E10value_typeET4_jRbjT5_S1B_jjP12ihipStream_tbEUljE_EEESW_SX_SY_S15_S19_S1B_T6_T7_T9_mT8_S1D_bDpT10_ENKUlT_T0_E_clISt17integral_constantIbLb1EES1Q_EEDaS1L_S1M_EUlS1L_E_NS1_11comp_targetILNS1_3genE3ELNS1_11target_archE908ELNS1_3gpuE7ELNS1_3repE0EEENS1_30default_config_static_selectorELNS0_4arch9wavefront6targetE0EEEvSZ_.num_vgpr, 0
	.set _ZN7rocprim17ROCPRIM_400000_NS6detail17trampoline_kernelINS0_13select_configILj256ELj13ELNS0_17block_load_methodE3ELS4_3ELS4_3ELNS0_20block_scan_algorithmE0ELj4294967295EEENS1_25partition_config_selectorILNS1_17partition_subalgoE3EjNS0_10empty_typeEbEEZZNS1_14partition_implILS8_3ELb0ES6_jNS0_17counting_iteratorIjlEEPS9_SE_NS0_5tupleIJPjSE_EEENSF_IJSE_SE_EEES9_SG_JZNS1_25segmented_radix_sort_implINS0_14default_configELb1EPK6__halfPSL_PKlPlN2at6native12_GLOBAL__N_18offset_tEEE10hipError_tPvRmT1_PNSt15iterator_traitsISZ_E10value_typeET2_T3_PNS10_IS15_E10value_typeET4_jRbjT5_S1B_jjP12ihipStream_tbEUljE_EEESW_SX_SY_S15_S19_S1B_T6_T7_T9_mT8_S1D_bDpT10_ENKUlT_T0_E_clISt17integral_constantIbLb1EES1Q_EEDaS1L_S1M_EUlS1L_E_NS1_11comp_targetILNS1_3genE3ELNS1_11target_archE908ELNS1_3gpuE7ELNS1_3repE0EEENS1_30default_config_static_selectorELNS0_4arch9wavefront6targetE0EEEvSZ_.num_agpr, 0
	.set _ZN7rocprim17ROCPRIM_400000_NS6detail17trampoline_kernelINS0_13select_configILj256ELj13ELNS0_17block_load_methodE3ELS4_3ELS4_3ELNS0_20block_scan_algorithmE0ELj4294967295EEENS1_25partition_config_selectorILNS1_17partition_subalgoE3EjNS0_10empty_typeEbEEZZNS1_14partition_implILS8_3ELb0ES6_jNS0_17counting_iteratorIjlEEPS9_SE_NS0_5tupleIJPjSE_EEENSF_IJSE_SE_EEES9_SG_JZNS1_25segmented_radix_sort_implINS0_14default_configELb1EPK6__halfPSL_PKlPlN2at6native12_GLOBAL__N_18offset_tEEE10hipError_tPvRmT1_PNSt15iterator_traitsISZ_E10value_typeET2_T3_PNS10_IS15_E10value_typeET4_jRbjT5_S1B_jjP12ihipStream_tbEUljE_EEESW_SX_SY_S15_S19_S1B_T6_T7_T9_mT8_S1D_bDpT10_ENKUlT_T0_E_clISt17integral_constantIbLb1EES1Q_EEDaS1L_S1M_EUlS1L_E_NS1_11comp_targetILNS1_3genE3ELNS1_11target_archE908ELNS1_3gpuE7ELNS1_3repE0EEENS1_30default_config_static_selectorELNS0_4arch9wavefront6targetE0EEEvSZ_.numbered_sgpr, 0
	.set _ZN7rocprim17ROCPRIM_400000_NS6detail17trampoline_kernelINS0_13select_configILj256ELj13ELNS0_17block_load_methodE3ELS4_3ELS4_3ELNS0_20block_scan_algorithmE0ELj4294967295EEENS1_25partition_config_selectorILNS1_17partition_subalgoE3EjNS0_10empty_typeEbEEZZNS1_14partition_implILS8_3ELb0ES6_jNS0_17counting_iteratorIjlEEPS9_SE_NS0_5tupleIJPjSE_EEENSF_IJSE_SE_EEES9_SG_JZNS1_25segmented_radix_sort_implINS0_14default_configELb1EPK6__halfPSL_PKlPlN2at6native12_GLOBAL__N_18offset_tEEE10hipError_tPvRmT1_PNSt15iterator_traitsISZ_E10value_typeET2_T3_PNS10_IS15_E10value_typeET4_jRbjT5_S1B_jjP12ihipStream_tbEUljE_EEESW_SX_SY_S15_S19_S1B_T6_T7_T9_mT8_S1D_bDpT10_ENKUlT_T0_E_clISt17integral_constantIbLb1EES1Q_EEDaS1L_S1M_EUlS1L_E_NS1_11comp_targetILNS1_3genE3ELNS1_11target_archE908ELNS1_3gpuE7ELNS1_3repE0EEENS1_30default_config_static_selectorELNS0_4arch9wavefront6targetE0EEEvSZ_.num_named_barrier, 0
	.set _ZN7rocprim17ROCPRIM_400000_NS6detail17trampoline_kernelINS0_13select_configILj256ELj13ELNS0_17block_load_methodE3ELS4_3ELS4_3ELNS0_20block_scan_algorithmE0ELj4294967295EEENS1_25partition_config_selectorILNS1_17partition_subalgoE3EjNS0_10empty_typeEbEEZZNS1_14partition_implILS8_3ELb0ES6_jNS0_17counting_iteratorIjlEEPS9_SE_NS0_5tupleIJPjSE_EEENSF_IJSE_SE_EEES9_SG_JZNS1_25segmented_radix_sort_implINS0_14default_configELb1EPK6__halfPSL_PKlPlN2at6native12_GLOBAL__N_18offset_tEEE10hipError_tPvRmT1_PNSt15iterator_traitsISZ_E10value_typeET2_T3_PNS10_IS15_E10value_typeET4_jRbjT5_S1B_jjP12ihipStream_tbEUljE_EEESW_SX_SY_S15_S19_S1B_T6_T7_T9_mT8_S1D_bDpT10_ENKUlT_T0_E_clISt17integral_constantIbLb1EES1Q_EEDaS1L_S1M_EUlS1L_E_NS1_11comp_targetILNS1_3genE3ELNS1_11target_archE908ELNS1_3gpuE7ELNS1_3repE0EEENS1_30default_config_static_selectorELNS0_4arch9wavefront6targetE0EEEvSZ_.private_seg_size, 0
	.set _ZN7rocprim17ROCPRIM_400000_NS6detail17trampoline_kernelINS0_13select_configILj256ELj13ELNS0_17block_load_methodE3ELS4_3ELS4_3ELNS0_20block_scan_algorithmE0ELj4294967295EEENS1_25partition_config_selectorILNS1_17partition_subalgoE3EjNS0_10empty_typeEbEEZZNS1_14partition_implILS8_3ELb0ES6_jNS0_17counting_iteratorIjlEEPS9_SE_NS0_5tupleIJPjSE_EEENSF_IJSE_SE_EEES9_SG_JZNS1_25segmented_radix_sort_implINS0_14default_configELb1EPK6__halfPSL_PKlPlN2at6native12_GLOBAL__N_18offset_tEEE10hipError_tPvRmT1_PNSt15iterator_traitsISZ_E10value_typeET2_T3_PNS10_IS15_E10value_typeET4_jRbjT5_S1B_jjP12ihipStream_tbEUljE_EEESW_SX_SY_S15_S19_S1B_T6_T7_T9_mT8_S1D_bDpT10_ENKUlT_T0_E_clISt17integral_constantIbLb1EES1Q_EEDaS1L_S1M_EUlS1L_E_NS1_11comp_targetILNS1_3genE3ELNS1_11target_archE908ELNS1_3gpuE7ELNS1_3repE0EEENS1_30default_config_static_selectorELNS0_4arch9wavefront6targetE0EEEvSZ_.uses_vcc, 0
	.set _ZN7rocprim17ROCPRIM_400000_NS6detail17trampoline_kernelINS0_13select_configILj256ELj13ELNS0_17block_load_methodE3ELS4_3ELS4_3ELNS0_20block_scan_algorithmE0ELj4294967295EEENS1_25partition_config_selectorILNS1_17partition_subalgoE3EjNS0_10empty_typeEbEEZZNS1_14partition_implILS8_3ELb0ES6_jNS0_17counting_iteratorIjlEEPS9_SE_NS0_5tupleIJPjSE_EEENSF_IJSE_SE_EEES9_SG_JZNS1_25segmented_radix_sort_implINS0_14default_configELb1EPK6__halfPSL_PKlPlN2at6native12_GLOBAL__N_18offset_tEEE10hipError_tPvRmT1_PNSt15iterator_traitsISZ_E10value_typeET2_T3_PNS10_IS15_E10value_typeET4_jRbjT5_S1B_jjP12ihipStream_tbEUljE_EEESW_SX_SY_S15_S19_S1B_T6_T7_T9_mT8_S1D_bDpT10_ENKUlT_T0_E_clISt17integral_constantIbLb1EES1Q_EEDaS1L_S1M_EUlS1L_E_NS1_11comp_targetILNS1_3genE3ELNS1_11target_archE908ELNS1_3gpuE7ELNS1_3repE0EEENS1_30default_config_static_selectorELNS0_4arch9wavefront6targetE0EEEvSZ_.uses_flat_scratch, 0
	.set _ZN7rocprim17ROCPRIM_400000_NS6detail17trampoline_kernelINS0_13select_configILj256ELj13ELNS0_17block_load_methodE3ELS4_3ELS4_3ELNS0_20block_scan_algorithmE0ELj4294967295EEENS1_25partition_config_selectorILNS1_17partition_subalgoE3EjNS0_10empty_typeEbEEZZNS1_14partition_implILS8_3ELb0ES6_jNS0_17counting_iteratorIjlEEPS9_SE_NS0_5tupleIJPjSE_EEENSF_IJSE_SE_EEES9_SG_JZNS1_25segmented_radix_sort_implINS0_14default_configELb1EPK6__halfPSL_PKlPlN2at6native12_GLOBAL__N_18offset_tEEE10hipError_tPvRmT1_PNSt15iterator_traitsISZ_E10value_typeET2_T3_PNS10_IS15_E10value_typeET4_jRbjT5_S1B_jjP12ihipStream_tbEUljE_EEESW_SX_SY_S15_S19_S1B_T6_T7_T9_mT8_S1D_bDpT10_ENKUlT_T0_E_clISt17integral_constantIbLb1EES1Q_EEDaS1L_S1M_EUlS1L_E_NS1_11comp_targetILNS1_3genE3ELNS1_11target_archE908ELNS1_3gpuE7ELNS1_3repE0EEENS1_30default_config_static_selectorELNS0_4arch9wavefront6targetE0EEEvSZ_.has_dyn_sized_stack, 0
	.set _ZN7rocprim17ROCPRIM_400000_NS6detail17trampoline_kernelINS0_13select_configILj256ELj13ELNS0_17block_load_methodE3ELS4_3ELS4_3ELNS0_20block_scan_algorithmE0ELj4294967295EEENS1_25partition_config_selectorILNS1_17partition_subalgoE3EjNS0_10empty_typeEbEEZZNS1_14partition_implILS8_3ELb0ES6_jNS0_17counting_iteratorIjlEEPS9_SE_NS0_5tupleIJPjSE_EEENSF_IJSE_SE_EEES9_SG_JZNS1_25segmented_radix_sort_implINS0_14default_configELb1EPK6__halfPSL_PKlPlN2at6native12_GLOBAL__N_18offset_tEEE10hipError_tPvRmT1_PNSt15iterator_traitsISZ_E10value_typeET2_T3_PNS10_IS15_E10value_typeET4_jRbjT5_S1B_jjP12ihipStream_tbEUljE_EEESW_SX_SY_S15_S19_S1B_T6_T7_T9_mT8_S1D_bDpT10_ENKUlT_T0_E_clISt17integral_constantIbLb1EES1Q_EEDaS1L_S1M_EUlS1L_E_NS1_11comp_targetILNS1_3genE3ELNS1_11target_archE908ELNS1_3gpuE7ELNS1_3repE0EEENS1_30default_config_static_selectorELNS0_4arch9wavefront6targetE0EEEvSZ_.has_recursion, 0
	.set _ZN7rocprim17ROCPRIM_400000_NS6detail17trampoline_kernelINS0_13select_configILj256ELj13ELNS0_17block_load_methodE3ELS4_3ELS4_3ELNS0_20block_scan_algorithmE0ELj4294967295EEENS1_25partition_config_selectorILNS1_17partition_subalgoE3EjNS0_10empty_typeEbEEZZNS1_14partition_implILS8_3ELb0ES6_jNS0_17counting_iteratorIjlEEPS9_SE_NS0_5tupleIJPjSE_EEENSF_IJSE_SE_EEES9_SG_JZNS1_25segmented_radix_sort_implINS0_14default_configELb1EPK6__halfPSL_PKlPlN2at6native12_GLOBAL__N_18offset_tEEE10hipError_tPvRmT1_PNSt15iterator_traitsISZ_E10value_typeET2_T3_PNS10_IS15_E10value_typeET4_jRbjT5_S1B_jjP12ihipStream_tbEUljE_EEESW_SX_SY_S15_S19_S1B_T6_T7_T9_mT8_S1D_bDpT10_ENKUlT_T0_E_clISt17integral_constantIbLb1EES1Q_EEDaS1L_S1M_EUlS1L_E_NS1_11comp_targetILNS1_3genE3ELNS1_11target_archE908ELNS1_3gpuE7ELNS1_3repE0EEENS1_30default_config_static_selectorELNS0_4arch9wavefront6targetE0EEEvSZ_.has_indirect_call, 0
	.section	.AMDGPU.csdata,"",@progbits
; Kernel info:
; codeLenInByte = 0
; TotalNumSgprs: 0
; NumVgprs: 0
; ScratchSize: 0
; MemoryBound: 0
; FloatMode: 240
; IeeeMode: 1
; LDSByteSize: 0 bytes/workgroup (compile time only)
; SGPRBlocks: 0
; VGPRBlocks: 0
; NumSGPRsForWavesPerEU: 1
; NumVGPRsForWavesPerEU: 1
; Occupancy: 16
; WaveLimiterHint : 0
; COMPUTE_PGM_RSRC2:SCRATCH_EN: 0
; COMPUTE_PGM_RSRC2:USER_SGPR: 6
; COMPUTE_PGM_RSRC2:TRAP_HANDLER: 0
; COMPUTE_PGM_RSRC2:TGID_X_EN: 1
; COMPUTE_PGM_RSRC2:TGID_Y_EN: 0
; COMPUTE_PGM_RSRC2:TGID_Z_EN: 0
; COMPUTE_PGM_RSRC2:TIDIG_COMP_CNT: 0
	.section	.text._ZN7rocprim17ROCPRIM_400000_NS6detail17trampoline_kernelINS0_13select_configILj256ELj13ELNS0_17block_load_methodE3ELS4_3ELS4_3ELNS0_20block_scan_algorithmE0ELj4294967295EEENS1_25partition_config_selectorILNS1_17partition_subalgoE3EjNS0_10empty_typeEbEEZZNS1_14partition_implILS8_3ELb0ES6_jNS0_17counting_iteratorIjlEEPS9_SE_NS0_5tupleIJPjSE_EEENSF_IJSE_SE_EEES9_SG_JZNS1_25segmented_radix_sort_implINS0_14default_configELb1EPK6__halfPSL_PKlPlN2at6native12_GLOBAL__N_18offset_tEEE10hipError_tPvRmT1_PNSt15iterator_traitsISZ_E10value_typeET2_T3_PNS10_IS15_E10value_typeET4_jRbjT5_S1B_jjP12ihipStream_tbEUljE_EEESW_SX_SY_S15_S19_S1B_T6_T7_T9_mT8_S1D_bDpT10_ENKUlT_T0_E_clISt17integral_constantIbLb1EES1Q_EEDaS1L_S1M_EUlS1L_E_NS1_11comp_targetILNS1_3genE2ELNS1_11target_archE906ELNS1_3gpuE6ELNS1_3repE0EEENS1_30default_config_static_selectorELNS0_4arch9wavefront6targetE0EEEvSZ_,"axG",@progbits,_ZN7rocprim17ROCPRIM_400000_NS6detail17trampoline_kernelINS0_13select_configILj256ELj13ELNS0_17block_load_methodE3ELS4_3ELS4_3ELNS0_20block_scan_algorithmE0ELj4294967295EEENS1_25partition_config_selectorILNS1_17partition_subalgoE3EjNS0_10empty_typeEbEEZZNS1_14partition_implILS8_3ELb0ES6_jNS0_17counting_iteratorIjlEEPS9_SE_NS0_5tupleIJPjSE_EEENSF_IJSE_SE_EEES9_SG_JZNS1_25segmented_radix_sort_implINS0_14default_configELb1EPK6__halfPSL_PKlPlN2at6native12_GLOBAL__N_18offset_tEEE10hipError_tPvRmT1_PNSt15iterator_traitsISZ_E10value_typeET2_T3_PNS10_IS15_E10value_typeET4_jRbjT5_S1B_jjP12ihipStream_tbEUljE_EEESW_SX_SY_S15_S19_S1B_T6_T7_T9_mT8_S1D_bDpT10_ENKUlT_T0_E_clISt17integral_constantIbLb1EES1Q_EEDaS1L_S1M_EUlS1L_E_NS1_11comp_targetILNS1_3genE2ELNS1_11target_archE906ELNS1_3gpuE6ELNS1_3repE0EEENS1_30default_config_static_selectorELNS0_4arch9wavefront6targetE0EEEvSZ_,comdat
	.globl	_ZN7rocprim17ROCPRIM_400000_NS6detail17trampoline_kernelINS0_13select_configILj256ELj13ELNS0_17block_load_methodE3ELS4_3ELS4_3ELNS0_20block_scan_algorithmE0ELj4294967295EEENS1_25partition_config_selectorILNS1_17partition_subalgoE3EjNS0_10empty_typeEbEEZZNS1_14partition_implILS8_3ELb0ES6_jNS0_17counting_iteratorIjlEEPS9_SE_NS0_5tupleIJPjSE_EEENSF_IJSE_SE_EEES9_SG_JZNS1_25segmented_radix_sort_implINS0_14default_configELb1EPK6__halfPSL_PKlPlN2at6native12_GLOBAL__N_18offset_tEEE10hipError_tPvRmT1_PNSt15iterator_traitsISZ_E10value_typeET2_T3_PNS10_IS15_E10value_typeET4_jRbjT5_S1B_jjP12ihipStream_tbEUljE_EEESW_SX_SY_S15_S19_S1B_T6_T7_T9_mT8_S1D_bDpT10_ENKUlT_T0_E_clISt17integral_constantIbLb1EES1Q_EEDaS1L_S1M_EUlS1L_E_NS1_11comp_targetILNS1_3genE2ELNS1_11target_archE906ELNS1_3gpuE6ELNS1_3repE0EEENS1_30default_config_static_selectorELNS0_4arch9wavefront6targetE0EEEvSZ_ ; -- Begin function _ZN7rocprim17ROCPRIM_400000_NS6detail17trampoline_kernelINS0_13select_configILj256ELj13ELNS0_17block_load_methodE3ELS4_3ELS4_3ELNS0_20block_scan_algorithmE0ELj4294967295EEENS1_25partition_config_selectorILNS1_17partition_subalgoE3EjNS0_10empty_typeEbEEZZNS1_14partition_implILS8_3ELb0ES6_jNS0_17counting_iteratorIjlEEPS9_SE_NS0_5tupleIJPjSE_EEENSF_IJSE_SE_EEES9_SG_JZNS1_25segmented_radix_sort_implINS0_14default_configELb1EPK6__halfPSL_PKlPlN2at6native12_GLOBAL__N_18offset_tEEE10hipError_tPvRmT1_PNSt15iterator_traitsISZ_E10value_typeET2_T3_PNS10_IS15_E10value_typeET4_jRbjT5_S1B_jjP12ihipStream_tbEUljE_EEESW_SX_SY_S15_S19_S1B_T6_T7_T9_mT8_S1D_bDpT10_ENKUlT_T0_E_clISt17integral_constantIbLb1EES1Q_EEDaS1L_S1M_EUlS1L_E_NS1_11comp_targetILNS1_3genE2ELNS1_11target_archE906ELNS1_3gpuE6ELNS1_3repE0EEENS1_30default_config_static_selectorELNS0_4arch9wavefront6targetE0EEEvSZ_
	.p2align	8
	.type	_ZN7rocprim17ROCPRIM_400000_NS6detail17trampoline_kernelINS0_13select_configILj256ELj13ELNS0_17block_load_methodE3ELS4_3ELS4_3ELNS0_20block_scan_algorithmE0ELj4294967295EEENS1_25partition_config_selectorILNS1_17partition_subalgoE3EjNS0_10empty_typeEbEEZZNS1_14partition_implILS8_3ELb0ES6_jNS0_17counting_iteratorIjlEEPS9_SE_NS0_5tupleIJPjSE_EEENSF_IJSE_SE_EEES9_SG_JZNS1_25segmented_radix_sort_implINS0_14default_configELb1EPK6__halfPSL_PKlPlN2at6native12_GLOBAL__N_18offset_tEEE10hipError_tPvRmT1_PNSt15iterator_traitsISZ_E10value_typeET2_T3_PNS10_IS15_E10value_typeET4_jRbjT5_S1B_jjP12ihipStream_tbEUljE_EEESW_SX_SY_S15_S19_S1B_T6_T7_T9_mT8_S1D_bDpT10_ENKUlT_T0_E_clISt17integral_constantIbLb1EES1Q_EEDaS1L_S1M_EUlS1L_E_NS1_11comp_targetILNS1_3genE2ELNS1_11target_archE906ELNS1_3gpuE6ELNS1_3repE0EEENS1_30default_config_static_selectorELNS0_4arch9wavefront6targetE0EEEvSZ_,@function
_ZN7rocprim17ROCPRIM_400000_NS6detail17trampoline_kernelINS0_13select_configILj256ELj13ELNS0_17block_load_methodE3ELS4_3ELS4_3ELNS0_20block_scan_algorithmE0ELj4294967295EEENS1_25partition_config_selectorILNS1_17partition_subalgoE3EjNS0_10empty_typeEbEEZZNS1_14partition_implILS8_3ELb0ES6_jNS0_17counting_iteratorIjlEEPS9_SE_NS0_5tupleIJPjSE_EEENSF_IJSE_SE_EEES9_SG_JZNS1_25segmented_radix_sort_implINS0_14default_configELb1EPK6__halfPSL_PKlPlN2at6native12_GLOBAL__N_18offset_tEEE10hipError_tPvRmT1_PNSt15iterator_traitsISZ_E10value_typeET2_T3_PNS10_IS15_E10value_typeET4_jRbjT5_S1B_jjP12ihipStream_tbEUljE_EEESW_SX_SY_S15_S19_S1B_T6_T7_T9_mT8_S1D_bDpT10_ENKUlT_T0_E_clISt17integral_constantIbLb1EES1Q_EEDaS1L_S1M_EUlS1L_E_NS1_11comp_targetILNS1_3genE2ELNS1_11target_archE906ELNS1_3gpuE6ELNS1_3repE0EEENS1_30default_config_static_selectorELNS0_4arch9wavefront6targetE0EEEvSZ_: ; @_ZN7rocprim17ROCPRIM_400000_NS6detail17trampoline_kernelINS0_13select_configILj256ELj13ELNS0_17block_load_methodE3ELS4_3ELS4_3ELNS0_20block_scan_algorithmE0ELj4294967295EEENS1_25partition_config_selectorILNS1_17partition_subalgoE3EjNS0_10empty_typeEbEEZZNS1_14partition_implILS8_3ELb0ES6_jNS0_17counting_iteratorIjlEEPS9_SE_NS0_5tupleIJPjSE_EEENSF_IJSE_SE_EEES9_SG_JZNS1_25segmented_radix_sort_implINS0_14default_configELb1EPK6__halfPSL_PKlPlN2at6native12_GLOBAL__N_18offset_tEEE10hipError_tPvRmT1_PNSt15iterator_traitsISZ_E10value_typeET2_T3_PNS10_IS15_E10value_typeET4_jRbjT5_S1B_jjP12ihipStream_tbEUljE_EEESW_SX_SY_S15_S19_S1B_T6_T7_T9_mT8_S1D_bDpT10_ENKUlT_T0_E_clISt17integral_constantIbLb1EES1Q_EEDaS1L_S1M_EUlS1L_E_NS1_11comp_targetILNS1_3genE2ELNS1_11target_archE906ELNS1_3gpuE6ELNS1_3repE0EEENS1_30default_config_static_selectorELNS0_4arch9wavefront6targetE0EEEvSZ_
; %bb.0:
	.section	.rodata,"a",@progbits
	.p2align	6, 0x0
	.amdhsa_kernel _ZN7rocprim17ROCPRIM_400000_NS6detail17trampoline_kernelINS0_13select_configILj256ELj13ELNS0_17block_load_methodE3ELS4_3ELS4_3ELNS0_20block_scan_algorithmE0ELj4294967295EEENS1_25partition_config_selectorILNS1_17partition_subalgoE3EjNS0_10empty_typeEbEEZZNS1_14partition_implILS8_3ELb0ES6_jNS0_17counting_iteratorIjlEEPS9_SE_NS0_5tupleIJPjSE_EEENSF_IJSE_SE_EEES9_SG_JZNS1_25segmented_radix_sort_implINS0_14default_configELb1EPK6__halfPSL_PKlPlN2at6native12_GLOBAL__N_18offset_tEEE10hipError_tPvRmT1_PNSt15iterator_traitsISZ_E10value_typeET2_T3_PNS10_IS15_E10value_typeET4_jRbjT5_S1B_jjP12ihipStream_tbEUljE_EEESW_SX_SY_S15_S19_S1B_T6_T7_T9_mT8_S1D_bDpT10_ENKUlT_T0_E_clISt17integral_constantIbLb1EES1Q_EEDaS1L_S1M_EUlS1L_E_NS1_11comp_targetILNS1_3genE2ELNS1_11target_archE906ELNS1_3gpuE6ELNS1_3repE0EEENS1_30default_config_static_selectorELNS0_4arch9wavefront6targetE0EEEvSZ_
		.amdhsa_group_segment_fixed_size 0
		.amdhsa_private_segment_fixed_size 0
		.amdhsa_kernarg_size 152
		.amdhsa_user_sgpr_count 6
		.amdhsa_user_sgpr_private_segment_buffer 1
		.amdhsa_user_sgpr_dispatch_ptr 0
		.amdhsa_user_sgpr_queue_ptr 0
		.amdhsa_user_sgpr_kernarg_segment_ptr 1
		.amdhsa_user_sgpr_dispatch_id 0
		.amdhsa_user_sgpr_flat_scratch_init 0
		.amdhsa_user_sgpr_private_segment_size 0
		.amdhsa_wavefront_size32 1
		.amdhsa_uses_dynamic_stack 0
		.amdhsa_system_sgpr_private_segment_wavefront_offset 0
		.amdhsa_system_sgpr_workgroup_id_x 1
		.amdhsa_system_sgpr_workgroup_id_y 0
		.amdhsa_system_sgpr_workgroup_id_z 0
		.amdhsa_system_sgpr_workgroup_info 0
		.amdhsa_system_vgpr_workitem_id 0
		.amdhsa_next_free_vgpr 1
		.amdhsa_next_free_sgpr 1
		.amdhsa_reserve_vcc 0
		.amdhsa_reserve_flat_scratch 0
		.amdhsa_float_round_mode_32 0
		.amdhsa_float_round_mode_16_64 0
		.amdhsa_float_denorm_mode_32 3
		.amdhsa_float_denorm_mode_16_64 3
		.amdhsa_dx10_clamp 1
		.amdhsa_ieee_mode 1
		.amdhsa_fp16_overflow 0
		.amdhsa_workgroup_processor_mode 1
		.amdhsa_memory_ordered 1
		.amdhsa_forward_progress 1
		.amdhsa_shared_vgpr_count 0
		.amdhsa_exception_fp_ieee_invalid_op 0
		.amdhsa_exception_fp_denorm_src 0
		.amdhsa_exception_fp_ieee_div_zero 0
		.amdhsa_exception_fp_ieee_overflow 0
		.amdhsa_exception_fp_ieee_underflow 0
		.amdhsa_exception_fp_ieee_inexact 0
		.amdhsa_exception_int_div_zero 0
	.end_amdhsa_kernel
	.section	.text._ZN7rocprim17ROCPRIM_400000_NS6detail17trampoline_kernelINS0_13select_configILj256ELj13ELNS0_17block_load_methodE3ELS4_3ELS4_3ELNS0_20block_scan_algorithmE0ELj4294967295EEENS1_25partition_config_selectorILNS1_17partition_subalgoE3EjNS0_10empty_typeEbEEZZNS1_14partition_implILS8_3ELb0ES6_jNS0_17counting_iteratorIjlEEPS9_SE_NS0_5tupleIJPjSE_EEENSF_IJSE_SE_EEES9_SG_JZNS1_25segmented_radix_sort_implINS0_14default_configELb1EPK6__halfPSL_PKlPlN2at6native12_GLOBAL__N_18offset_tEEE10hipError_tPvRmT1_PNSt15iterator_traitsISZ_E10value_typeET2_T3_PNS10_IS15_E10value_typeET4_jRbjT5_S1B_jjP12ihipStream_tbEUljE_EEESW_SX_SY_S15_S19_S1B_T6_T7_T9_mT8_S1D_bDpT10_ENKUlT_T0_E_clISt17integral_constantIbLb1EES1Q_EEDaS1L_S1M_EUlS1L_E_NS1_11comp_targetILNS1_3genE2ELNS1_11target_archE906ELNS1_3gpuE6ELNS1_3repE0EEENS1_30default_config_static_selectorELNS0_4arch9wavefront6targetE0EEEvSZ_,"axG",@progbits,_ZN7rocprim17ROCPRIM_400000_NS6detail17trampoline_kernelINS0_13select_configILj256ELj13ELNS0_17block_load_methodE3ELS4_3ELS4_3ELNS0_20block_scan_algorithmE0ELj4294967295EEENS1_25partition_config_selectorILNS1_17partition_subalgoE3EjNS0_10empty_typeEbEEZZNS1_14partition_implILS8_3ELb0ES6_jNS0_17counting_iteratorIjlEEPS9_SE_NS0_5tupleIJPjSE_EEENSF_IJSE_SE_EEES9_SG_JZNS1_25segmented_radix_sort_implINS0_14default_configELb1EPK6__halfPSL_PKlPlN2at6native12_GLOBAL__N_18offset_tEEE10hipError_tPvRmT1_PNSt15iterator_traitsISZ_E10value_typeET2_T3_PNS10_IS15_E10value_typeET4_jRbjT5_S1B_jjP12ihipStream_tbEUljE_EEESW_SX_SY_S15_S19_S1B_T6_T7_T9_mT8_S1D_bDpT10_ENKUlT_T0_E_clISt17integral_constantIbLb1EES1Q_EEDaS1L_S1M_EUlS1L_E_NS1_11comp_targetILNS1_3genE2ELNS1_11target_archE906ELNS1_3gpuE6ELNS1_3repE0EEENS1_30default_config_static_selectorELNS0_4arch9wavefront6targetE0EEEvSZ_,comdat
.Lfunc_end1709:
	.size	_ZN7rocprim17ROCPRIM_400000_NS6detail17trampoline_kernelINS0_13select_configILj256ELj13ELNS0_17block_load_methodE3ELS4_3ELS4_3ELNS0_20block_scan_algorithmE0ELj4294967295EEENS1_25partition_config_selectorILNS1_17partition_subalgoE3EjNS0_10empty_typeEbEEZZNS1_14partition_implILS8_3ELb0ES6_jNS0_17counting_iteratorIjlEEPS9_SE_NS0_5tupleIJPjSE_EEENSF_IJSE_SE_EEES9_SG_JZNS1_25segmented_radix_sort_implINS0_14default_configELb1EPK6__halfPSL_PKlPlN2at6native12_GLOBAL__N_18offset_tEEE10hipError_tPvRmT1_PNSt15iterator_traitsISZ_E10value_typeET2_T3_PNS10_IS15_E10value_typeET4_jRbjT5_S1B_jjP12ihipStream_tbEUljE_EEESW_SX_SY_S15_S19_S1B_T6_T7_T9_mT8_S1D_bDpT10_ENKUlT_T0_E_clISt17integral_constantIbLb1EES1Q_EEDaS1L_S1M_EUlS1L_E_NS1_11comp_targetILNS1_3genE2ELNS1_11target_archE906ELNS1_3gpuE6ELNS1_3repE0EEENS1_30default_config_static_selectorELNS0_4arch9wavefront6targetE0EEEvSZ_, .Lfunc_end1709-_ZN7rocprim17ROCPRIM_400000_NS6detail17trampoline_kernelINS0_13select_configILj256ELj13ELNS0_17block_load_methodE3ELS4_3ELS4_3ELNS0_20block_scan_algorithmE0ELj4294967295EEENS1_25partition_config_selectorILNS1_17partition_subalgoE3EjNS0_10empty_typeEbEEZZNS1_14partition_implILS8_3ELb0ES6_jNS0_17counting_iteratorIjlEEPS9_SE_NS0_5tupleIJPjSE_EEENSF_IJSE_SE_EEES9_SG_JZNS1_25segmented_radix_sort_implINS0_14default_configELb1EPK6__halfPSL_PKlPlN2at6native12_GLOBAL__N_18offset_tEEE10hipError_tPvRmT1_PNSt15iterator_traitsISZ_E10value_typeET2_T3_PNS10_IS15_E10value_typeET4_jRbjT5_S1B_jjP12ihipStream_tbEUljE_EEESW_SX_SY_S15_S19_S1B_T6_T7_T9_mT8_S1D_bDpT10_ENKUlT_T0_E_clISt17integral_constantIbLb1EES1Q_EEDaS1L_S1M_EUlS1L_E_NS1_11comp_targetILNS1_3genE2ELNS1_11target_archE906ELNS1_3gpuE6ELNS1_3repE0EEENS1_30default_config_static_selectorELNS0_4arch9wavefront6targetE0EEEvSZ_
                                        ; -- End function
	.set _ZN7rocprim17ROCPRIM_400000_NS6detail17trampoline_kernelINS0_13select_configILj256ELj13ELNS0_17block_load_methodE3ELS4_3ELS4_3ELNS0_20block_scan_algorithmE0ELj4294967295EEENS1_25partition_config_selectorILNS1_17partition_subalgoE3EjNS0_10empty_typeEbEEZZNS1_14partition_implILS8_3ELb0ES6_jNS0_17counting_iteratorIjlEEPS9_SE_NS0_5tupleIJPjSE_EEENSF_IJSE_SE_EEES9_SG_JZNS1_25segmented_radix_sort_implINS0_14default_configELb1EPK6__halfPSL_PKlPlN2at6native12_GLOBAL__N_18offset_tEEE10hipError_tPvRmT1_PNSt15iterator_traitsISZ_E10value_typeET2_T3_PNS10_IS15_E10value_typeET4_jRbjT5_S1B_jjP12ihipStream_tbEUljE_EEESW_SX_SY_S15_S19_S1B_T6_T7_T9_mT8_S1D_bDpT10_ENKUlT_T0_E_clISt17integral_constantIbLb1EES1Q_EEDaS1L_S1M_EUlS1L_E_NS1_11comp_targetILNS1_3genE2ELNS1_11target_archE906ELNS1_3gpuE6ELNS1_3repE0EEENS1_30default_config_static_selectorELNS0_4arch9wavefront6targetE0EEEvSZ_.num_vgpr, 0
	.set _ZN7rocprim17ROCPRIM_400000_NS6detail17trampoline_kernelINS0_13select_configILj256ELj13ELNS0_17block_load_methodE3ELS4_3ELS4_3ELNS0_20block_scan_algorithmE0ELj4294967295EEENS1_25partition_config_selectorILNS1_17partition_subalgoE3EjNS0_10empty_typeEbEEZZNS1_14partition_implILS8_3ELb0ES6_jNS0_17counting_iteratorIjlEEPS9_SE_NS0_5tupleIJPjSE_EEENSF_IJSE_SE_EEES9_SG_JZNS1_25segmented_radix_sort_implINS0_14default_configELb1EPK6__halfPSL_PKlPlN2at6native12_GLOBAL__N_18offset_tEEE10hipError_tPvRmT1_PNSt15iterator_traitsISZ_E10value_typeET2_T3_PNS10_IS15_E10value_typeET4_jRbjT5_S1B_jjP12ihipStream_tbEUljE_EEESW_SX_SY_S15_S19_S1B_T6_T7_T9_mT8_S1D_bDpT10_ENKUlT_T0_E_clISt17integral_constantIbLb1EES1Q_EEDaS1L_S1M_EUlS1L_E_NS1_11comp_targetILNS1_3genE2ELNS1_11target_archE906ELNS1_3gpuE6ELNS1_3repE0EEENS1_30default_config_static_selectorELNS0_4arch9wavefront6targetE0EEEvSZ_.num_agpr, 0
	.set _ZN7rocprim17ROCPRIM_400000_NS6detail17trampoline_kernelINS0_13select_configILj256ELj13ELNS0_17block_load_methodE3ELS4_3ELS4_3ELNS0_20block_scan_algorithmE0ELj4294967295EEENS1_25partition_config_selectorILNS1_17partition_subalgoE3EjNS0_10empty_typeEbEEZZNS1_14partition_implILS8_3ELb0ES6_jNS0_17counting_iteratorIjlEEPS9_SE_NS0_5tupleIJPjSE_EEENSF_IJSE_SE_EEES9_SG_JZNS1_25segmented_radix_sort_implINS0_14default_configELb1EPK6__halfPSL_PKlPlN2at6native12_GLOBAL__N_18offset_tEEE10hipError_tPvRmT1_PNSt15iterator_traitsISZ_E10value_typeET2_T3_PNS10_IS15_E10value_typeET4_jRbjT5_S1B_jjP12ihipStream_tbEUljE_EEESW_SX_SY_S15_S19_S1B_T6_T7_T9_mT8_S1D_bDpT10_ENKUlT_T0_E_clISt17integral_constantIbLb1EES1Q_EEDaS1L_S1M_EUlS1L_E_NS1_11comp_targetILNS1_3genE2ELNS1_11target_archE906ELNS1_3gpuE6ELNS1_3repE0EEENS1_30default_config_static_selectorELNS0_4arch9wavefront6targetE0EEEvSZ_.numbered_sgpr, 0
	.set _ZN7rocprim17ROCPRIM_400000_NS6detail17trampoline_kernelINS0_13select_configILj256ELj13ELNS0_17block_load_methodE3ELS4_3ELS4_3ELNS0_20block_scan_algorithmE0ELj4294967295EEENS1_25partition_config_selectorILNS1_17partition_subalgoE3EjNS0_10empty_typeEbEEZZNS1_14partition_implILS8_3ELb0ES6_jNS0_17counting_iteratorIjlEEPS9_SE_NS0_5tupleIJPjSE_EEENSF_IJSE_SE_EEES9_SG_JZNS1_25segmented_radix_sort_implINS0_14default_configELb1EPK6__halfPSL_PKlPlN2at6native12_GLOBAL__N_18offset_tEEE10hipError_tPvRmT1_PNSt15iterator_traitsISZ_E10value_typeET2_T3_PNS10_IS15_E10value_typeET4_jRbjT5_S1B_jjP12ihipStream_tbEUljE_EEESW_SX_SY_S15_S19_S1B_T6_T7_T9_mT8_S1D_bDpT10_ENKUlT_T0_E_clISt17integral_constantIbLb1EES1Q_EEDaS1L_S1M_EUlS1L_E_NS1_11comp_targetILNS1_3genE2ELNS1_11target_archE906ELNS1_3gpuE6ELNS1_3repE0EEENS1_30default_config_static_selectorELNS0_4arch9wavefront6targetE0EEEvSZ_.num_named_barrier, 0
	.set _ZN7rocprim17ROCPRIM_400000_NS6detail17trampoline_kernelINS0_13select_configILj256ELj13ELNS0_17block_load_methodE3ELS4_3ELS4_3ELNS0_20block_scan_algorithmE0ELj4294967295EEENS1_25partition_config_selectorILNS1_17partition_subalgoE3EjNS0_10empty_typeEbEEZZNS1_14partition_implILS8_3ELb0ES6_jNS0_17counting_iteratorIjlEEPS9_SE_NS0_5tupleIJPjSE_EEENSF_IJSE_SE_EEES9_SG_JZNS1_25segmented_radix_sort_implINS0_14default_configELb1EPK6__halfPSL_PKlPlN2at6native12_GLOBAL__N_18offset_tEEE10hipError_tPvRmT1_PNSt15iterator_traitsISZ_E10value_typeET2_T3_PNS10_IS15_E10value_typeET4_jRbjT5_S1B_jjP12ihipStream_tbEUljE_EEESW_SX_SY_S15_S19_S1B_T6_T7_T9_mT8_S1D_bDpT10_ENKUlT_T0_E_clISt17integral_constantIbLb1EES1Q_EEDaS1L_S1M_EUlS1L_E_NS1_11comp_targetILNS1_3genE2ELNS1_11target_archE906ELNS1_3gpuE6ELNS1_3repE0EEENS1_30default_config_static_selectorELNS0_4arch9wavefront6targetE0EEEvSZ_.private_seg_size, 0
	.set _ZN7rocprim17ROCPRIM_400000_NS6detail17trampoline_kernelINS0_13select_configILj256ELj13ELNS0_17block_load_methodE3ELS4_3ELS4_3ELNS0_20block_scan_algorithmE0ELj4294967295EEENS1_25partition_config_selectorILNS1_17partition_subalgoE3EjNS0_10empty_typeEbEEZZNS1_14partition_implILS8_3ELb0ES6_jNS0_17counting_iteratorIjlEEPS9_SE_NS0_5tupleIJPjSE_EEENSF_IJSE_SE_EEES9_SG_JZNS1_25segmented_radix_sort_implINS0_14default_configELb1EPK6__halfPSL_PKlPlN2at6native12_GLOBAL__N_18offset_tEEE10hipError_tPvRmT1_PNSt15iterator_traitsISZ_E10value_typeET2_T3_PNS10_IS15_E10value_typeET4_jRbjT5_S1B_jjP12ihipStream_tbEUljE_EEESW_SX_SY_S15_S19_S1B_T6_T7_T9_mT8_S1D_bDpT10_ENKUlT_T0_E_clISt17integral_constantIbLb1EES1Q_EEDaS1L_S1M_EUlS1L_E_NS1_11comp_targetILNS1_3genE2ELNS1_11target_archE906ELNS1_3gpuE6ELNS1_3repE0EEENS1_30default_config_static_selectorELNS0_4arch9wavefront6targetE0EEEvSZ_.uses_vcc, 0
	.set _ZN7rocprim17ROCPRIM_400000_NS6detail17trampoline_kernelINS0_13select_configILj256ELj13ELNS0_17block_load_methodE3ELS4_3ELS4_3ELNS0_20block_scan_algorithmE0ELj4294967295EEENS1_25partition_config_selectorILNS1_17partition_subalgoE3EjNS0_10empty_typeEbEEZZNS1_14partition_implILS8_3ELb0ES6_jNS0_17counting_iteratorIjlEEPS9_SE_NS0_5tupleIJPjSE_EEENSF_IJSE_SE_EEES9_SG_JZNS1_25segmented_radix_sort_implINS0_14default_configELb1EPK6__halfPSL_PKlPlN2at6native12_GLOBAL__N_18offset_tEEE10hipError_tPvRmT1_PNSt15iterator_traitsISZ_E10value_typeET2_T3_PNS10_IS15_E10value_typeET4_jRbjT5_S1B_jjP12ihipStream_tbEUljE_EEESW_SX_SY_S15_S19_S1B_T6_T7_T9_mT8_S1D_bDpT10_ENKUlT_T0_E_clISt17integral_constantIbLb1EES1Q_EEDaS1L_S1M_EUlS1L_E_NS1_11comp_targetILNS1_3genE2ELNS1_11target_archE906ELNS1_3gpuE6ELNS1_3repE0EEENS1_30default_config_static_selectorELNS0_4arch9wavefront6targetE0EEEvSZ_.uses_flat_scratch, 0
	.set _ZN7rocprim17ROCPRIM_400000_NS6detail17trampoline_kernelINS0_13select_configILj256ELj13ELNS0_17block_load_methodE3ELS4_3ELS4_3ELNS0_20block_scan_algorithmE0ELj4294967295EEENS1_25partition_config_selectorILNS1_17partition_subalgoE3EjNS0_10empty_typeEbEEZZNS1_14partition_implILS8_3ELb0ES6_jNS0_17counting_iteratorIjlEEPS9_SE_NS0_5tupleIJPjSE_EEENSF_IJSE_SE_EEES9_SG_JZNS1_25segmented_radix_sort_implINS0_14default_configELb1EPK6__halfPSL_PKlPlN2at6native12_GLOBAL__N_18offset_tEEE10hipError_tPvRmT1_PNSt15iterator_traitsISZ_E10value_typeET2_T3_PNS10_IS15_E10value_typeET4_jRbjT5_S1B_jjP12ihipStream_tbEUljE_EEESW_SX_SY_S15_S19_S1B_T6_T7_T9_mT8_S1D_bDpT10_ENKUlT_T0_E_clISt17integral_constantIbLb1EES1Q_EEDaS1L_S1M_EUlS1L_E_NS1_11comp_targetILNS1_3genE2ELNS1_11target_archE906ELNS1_3gpuE6ELNS1_3repE0EEENS1_30default_config_static_selectorELNS0_4arch9wavefront6targetE0EEEvSZ_.has_dyn_sized_stack, 0
	.set _ZN7rocprim17ROCPRIM_400000_NS6detail17trampoline_kernelINS0_13select_configILj256ELj13ELNS0_17block_load_methodE3ELS4_3ELS4_3ELNS0_20block_scan_algorithmE0ELj4294967295EEENS1_25partition_config_selectorILNS1_17partition_subalgoE3EjNS0_10empty_typeEbEEZZNS1_14partition_implILS8_3ELb0ES6_jNS0_17counting_iteratorIjlEEPS9_SE_NS0_5tupleIJPjSE_EEENSF_IJSE_SE_EEES9_SG_JZNS1_25segmented_radix_sort_implINS0_14default_configELb1EPK6__halfPSL_PKlPlN2at6native12_GLOBAL__N_18offset_tEEE10hipError_tPvRmT1_PNSt15iterator_traitsISZ_E10value_typeET2_T3_PNS10_IS15_E10value_typeET4_jRbjT5_S1B_jjP12ihipStream_tbEUljE_EEESW_SX_SY_S15_S19_S1B_T6_T7_T9_mT8_S1D_bDpT10_ENKUlT_T0_E_clISt17integral_constantIbLb1EES1Q_EEDaS1L_S1M_EUlS1L_E_NS1_11comp_targetILNS1_3genE2ELNS1_11target_archE906ELNS1_3gpuE6ELNS1_3repE0EEENS1_30default_config_static_selectorELNS0_4arch9wavefront6targetE0EEEvSZ_.has_recursion, 0
	.set _ZN7rocprim17ROCPRIM_400000_NS6detail17trampoline_kernelINS0_13select_configILj256ELj13ELNS0_17block_load_methodE3ELS4_3ELS4_3ELNS0_20block_scan_algorithmE0ELj4294967295EEENS1_25partition_config_selectorILNS1_17partition_subalgoE3EjNS0_10empty_typeEbEEZZNS1_14partition_implILS8_3ELb0ES6_jNS0_17counting_iteratorIjlEEPS9_SE_NS0_5tupleIJPjSE_EEENSF_IJSE_SE_EEES9_SG_JZNS1_25segmented_radix_sort_implINS0_14default_configELb1EPK6__halfPSL_PKlPlN2at6native12_GLOBAL__N_18offset_tEEE10hipError_tPvRmT1_PNSt15iterator_traitsISZ_E10value_typeET2_T3_PNS10_IS15_E10value_typeET4_jRbjT5_S1B_jjP12ihipStream_tbEUljE_EEESW_SX_SY_S15_S19_S1B_T6_T7_T9_mT8_S1D_bDpT10_ENKUlT_T0_E_clISt17integral_constantIbLb1EES1Q_EEDaS1L_S1M_EUlS1L_E_NS1_11comp_targetILNS1_3genE2ELNS1_11target_archE906ELNS1_3gpuE6ELNS1_3repE0EEENS1_30default_config_static_selectorELNS0_4arch9wavefront6targetE0EEEvSZ_.has_indirect_call, 0
	.section	.AMDGPU.csdata,"",@progbits
; Kernel info:
; codeLenInByte = 0
; TotalNumSgprs: 0
; NumVgprs: 0
; ScratchSize: 0
; MemoryBound: 0
; FloatMode: 240
; IeeeMode: 1
; LDSByteSize: 0 bytes/workgroup (compile time only)
; SGPRBlocks: 0
; VGPRBlocks: 0
; NumSGPRsForWavesPerEU: 1
; NumVGPRsForWavesPerEU: 1
; Occupancy: 16
; WaveLimiterHint : 0
; COMPUTE_PGM_RSRC2:SCRATCH_EN: 0
; COMPUTE_PGM_RSRC2:USER_SGPR: 6
; COMPUTE_PGM_RSRC2:TRAP_HANDLER: 0
; COMPUTE_PGM_RSRC2:TGID_X_EN: 1
; COMPUTE_PGM_RSRC2:TGID_Y_EN: 0
; COMPUTE_PGM_RSRC2:TGID_Z_EN: 0
; COMPUTE_PGM_RSRC2:TIDIG_COMP_CNT: 0
	.section	.text._ZN7rocprim17ROCPRIM_400000_NS6detail17trampoline_kernelINS0_13select_configILj256ELj13ELNS0_17block_load_methodE3ELS4_3ELS4_3ELNS0_20block_scan_algorithmE0ELj4294967295EEENS1_25partition_config_selectorILNS1_17partition_subalgoE3EjNS0_10empty_typeEbEEZZNS1_14partition_implILS8_3ELb0ES6_jNS0_17counting_iteratorIjlEEPS9_SE_NS0_5tupleIJPjSE_EEENSF_IJSE_SE_EEES9_SG_JZNS1_25segmented_radix_sort_implINS0_14default_configELb1EPK6__halfPSL_PKlPlN2at6native12_GLOBAL__N_18offset_tEEE10hipError_tPvRmT1_PNSt15iterator_traitsISZ_E10value_typeET2_T3_PNS10_IS15_E10value_typeET4_jRbjT5_S1B_jjP12ihipStream_tbEUljE_EEESW_SX_SY_S15_S19_S1B_T6_T7_T9_mT8_S1D_bDpT10_ENKUlT_T0_E_clISt17integral_constantIbLb1EES1Q_EEDaS1L_S1M_EUlS1L_E_NS1_11comp_targetILNS1_3genE10ELNS1_11target_archE1200ELNS1_3gpuE4ELNS1_3repE0EEENS1_30default_config_static_selectorELNS0_4arch9wavefront6targetE0EEEvSZ_,"axG",@progbits,_ZN7rocprim17ROCPRIM_400000_NS6detail17trampoline_kernelINS0_13select_configILj256ELj13ELNS0_17block_load_methodE3ELS4_3ELS4_3ELNS0_20block_scan_algorithmE0ELj4294967295EEENS1_25partition_config_selectorILNS1_17partition_subalgoE3EjNS0_10empty_typeEbEEZZNS1_14partition_implILS8_3ELb0ES6_jNS0_17counting_iteratorIjlEEPS9_SE_NS0_5tupleIJPjSE_EEENSF_IJSE_SE_EEES9_SG_JZNS1_25segmented_radix_sort_implINS0_14default_configELb1EPK6__halfPSL_PKlPlN2at6native12_GLOBAL__N_18offset_tEEE10hipError_tPvRmT1_PNSt15iterator_traitsISZ_E10value_typeET2_T3_PNS10_IS15_E10value_typeET4_jRbjT5_S1B_jjP12ihipStream_tbEUljE_EEESW_SX_SY_S15_S19_S1B_T6_T7_T9_mT8_S1D_bDpT10_ENKUlT_T0_E_clISt17integral_constantIbLb1EES1Q_EEDaS1L_S1M_EUlS1L_E_NS1_11comp_targetILNS1_3genE10ELNS1_11target_archE1200ELNS1_3gpuE4ELNS1_3repE0EEENS1_30default_config_static_selectorELNS0_4arch9wavefront6targetE0EEEvSZ_,comdat
	.globl	_ZN7rocprim17ROCPRIM_400000_NS6detail17trampoline_kernelINS0_13select_configILj256ELj13ELNS0_17block_load_methodE3ELS4_3ELS4_3ELNS0_20block_scan_algorithmE0ELj4294967295EEENS1_25partition_config_selectorILNS1_17partition_subalgoE3EjNS0_10empty_typeEbEEZZNS1_14partition_implILS8_3ELb0ES6_jNS0_17counting_iteratorIjlEEPS9_SE_NS0_5tupleIJPjSE_EEENSF_IJSE_SE_EEES9_SG_JZNS1_25segmented_radix_sort_implINS0_14default_configELb1EPK6__halfPSL_PKlPlN2at6native12_GLOBAL__N_18offset_tEEE10hipError_tPvRmT1_PNSt15iterator_traitsISZ_E10value_typeET2_T3_PNS10_IS15_E10value_typeET4_jRbjT5_S1B_jjP12ihipStream_tbEUljE_EEESW_SX_SY_S15_S19_S1B_T6_T7_T9_mT8_S1D_bDpT10_ENKUlT_T0_E_clISt17integral_constantIbLb1EES1Q_EEDaS1L_S1M_EUlS1L_E_NS1_11comp_targetILNS1_3genE10ELNS1_11target_archE1200ELNS1_3gpuE4ELNS1_3repE0EEENS1_30default_config_static_selectorELNS0_4arch9wavefront6targetE0EEEvSZ_ ; -- Begin function _ZN7rocprim17ROCPRIM_400000_NS6detail17trampoline_kernelINS0_13select_configILj256ELj13ELNS0_17block_load_methodE3ELS4_3ELS4_3ELNS0_20block_scan_algorithmE0ELj4294967295EEENS1_25partition_config_selectorILNS1_17partition_subalgoE3EjNS0_10empty_typeEbEEZZNS1_14partition_implILS8_3ELb0ES6_jNS0_17counting_iteratorIjlEEPS9_SE_NS0_5tupleIJPjSE_EEENSF_IJSE_SE_EEES9_SG_JZNS1_25segmented_radix_sort_implINS0_14default_configELb1EPK6__halfPSL_PKlPlN2at6native12_GLOBAL__N_18offset_tEEE10hipError_tPvRmT1_PNSt15iterator_traitsISZ_E10value_typeET2_T3_PNS10_IS15_E10value_typeET4_jRbjT5_S1B_jjP12ihipStream_tbEUljE_EEESW_SX_SY_S15_S19_S1B_T6_T7_T9_mT8_S1D_bDpT10_ENKUlT_T0_E_clISt17integral_constantIbLb1EES1Q_EEDaS1L_S1M_EUlS1L_E_NS1_11comp_targetILNS1_3genE10ELNS1_11target_archE1200ELNS1_3gpuE4ELNS1_3repE0EEENS1_30default_config_static_selectorELNS0_4arch9wavefront6targetE0EEEvSZ_
	.p2align	8
	.type	_ZN7rocprim17ROCPRIM_400000_NS6detail17trampoline_kernelINS0_13select_configILj256ELj13ELNS0_17block_load_methodE3ELS4_3ELS4_3ELNS0_20block_scan_algorithmE0ELj4294967295EEENS1_25partition_config_selectorILNS1_17partition_subalgoE3EjNS0_10empty_typeEbEEZZNS1_14partition_implILS8_3ELb0ES6_jNS0_17counting_iteratorIjlEEPS9_SE_NS0_5tupleIJPjSE_EEENSF_IJSE_SE_EEES9_SG_JZNS1_25segmented_radix_sort_implINS0_14default_configELb1EPK6__halfPSL_PKlPlN2at6native12_GLOBAL__N_18offset_tEEE10hipError_tPvRmT1_PNSt15iterator_traitsISZ_E10value_typeET2_T3_PNS10_IS15_E10value_typeET4_jRbjT5_S1B_jjP12ihipStream_tbEUljE_EEESW_SX_SY_S15_S19_S1B_T6_T7_T9_mT8_S1D_bDpT10_ENKUlT_T0_E_clISt17integral_constantIbLb1EES1Q_EEDaS1L_S1M_EUlS1L_E_NS1_11comp_targetILNS1_3genE10ELNS1_11target_archE1200ELNS1_3gpuE4ELNS1_3repE0EEENS1_30default_config_static_selectorELNS0_4arch9wavefront6targetE0EEEvSZ_,@function
_ZN7rocprim17ROCPRIM_400000_NS6detail17trampoline_kernelINS0_13select_configILj256ELj13ELNS0_17block_load_methodE3ELS4_3ELS4_3ELNS0_20block_scan_algorithmE0ELj4294967295EEENS1_25partition_config_selectorILNS1_17partition_subalgoE3EjNS0_10empty_typeEbEEZZNS1_14partition_implILS8_3ELb0ES6_jNS0_17counting_iteratorIjlEEPS9_SE_NS0_5tupleIJPjSE_EEENSF_IJSE_SE_EEES9_SG_JZNS1_25segmented_radix_sort_implINS0_14default_configELb1EPK6__halfPSL_PKlPlN2at6native12_GLOBAL__N_18offset_tEEE10hipError_tPvRmT1_PNSt15iterator_traitsISZ_E10value_typeET2_T3_PNS10_IS15_E10value_typeET4_jRbjT5_S1B_jjP12ihipStream_tbEUljE_EEESW_SX_SY_S15_S19_S1B_T6_T7_T9_mT8_S1D_bDpT10_ENKUlT_T0_E_clISt17integral_constantIbLb1EES1Q_EEDaS1L_S1M_EUlS1L_E_NS1_11comp_targetILNS1_3genE10ELNS1_11target_archE1200ELNS1_3gpuE4ELNS1_3repE0EEENS1_30default_config_static_selectorELNS0_4arch9wavefront6targetE0EEEvSZ_: ; @_ZN7rocprim17ROCPRIM_400000_NS6detail17trampoline_kernelINS0_13select_configILj256ELj13ELNS0_17block_load_methodE3ELS4_3ELS4_3ELNS0_20block_scan_algorithmE0ELj4294967295EEENS1_25partition_config_selectorILNS1_17partition_subalgoE3EjNS0_10empty_typeEbEEZZNS1_14partition_implILS8_3ELb0ES6_jNS0_17counting_iteratorIjlEEPS9_SE_NS0_5tupleIJPjSE_EEENSF_IJSE_SE_EEES9_SG_JZNS1_25segmented_radix_sort_implINS0_14default_configELb1EPK6__halfPSL_PKlPlN2at6native12_GLOBAL__N_18offset_tEEE10hipError_tPvRmT1_PNSt15iterator_traitsISZ_E10value_typeET2_T3_PNS10_IS15_E10value_typeET4_jRbjT5_S1B_jjP12ihipStream_tbEUljE_EEESW_SX_SY_S15_S19_S1B_T6_T7_T9_mT8_S1D_bDpT10_ENKUlT_T0_E_clISt17integral_constantIbLb1EES1Q_EEDaS1L_S1M_EUlS1L_E_NS1_11comp_targetILNS1_3genE10ELNS1_11target_archE1200ELNS1_3gpuE4ELNS1_3repE0EEENS1_30default_config_static_selectorELNS0_4arch9wavefront6targetE0EEEvSZ_
; %bb.0:
	.section	.rodata,"a",@progbits
	.p2align	6, 0x0
	.amdhsa_kernel _ZN7rocprim17ROCPRIM_400000_NS6detail17trampoline_kernelINS0_13select_configILj256ELj13ELNS0_17block_load_methodE3ELS4_3ELS4_3ELNS0_20block_scan_algorithmE0ELj4294967295EEENS1_25partition_config_selectorILNS1_17partition_subalgoE3EjNS0_10empty_typeEbEEZZNS1_14partition_implILS8_3ELb0ES6_jNS0_17counting_iteratorIjlEEPS9_SE_NS0_5tupleIJPjSE_EEENSF_IJSE_SE_EEES9_SG_JZNS1_25segmented_radix_sort_implINS0_14default_configELb1EPK6__halfPSL_PKlPlN2at6native12_GLOBAL__N_18offset_tEEE10hipError_tPvRmT1_PNSt15iterator_traitsISZ_E10value_typeET2_T3_PNS10_IS15_E10value_typeET4_jRbjT5_S1B_jjP12ihipStream_tbEUljE_EEESW_SX_SY_S15_S19_S1B_T6_T7_T9_mT8_S1D_bDpT10_ENKUlT_T0_E_clISt17integral_constantIbLb1EES1Q_EEDaS1L_S1M_EUlS1L_E_NS1_11comp_targetILNS1_3genE10ELNS1_11target_archE1200ELNS1_3gpuE4ELNS1_3repE0EEENS1_30default_config_static_selectorELNS0_4arch9wavefront6targetE0EEEvSZ_
		.amdhsa_group_segment_fixed_size 0
		.amdhsa_private_segment_fixed_size 0
		.amdhsa_kernarg_size 152
		.amdhsa_user_sgpr_count 6
		.amdhsa_user_sgpr_private_segment_buffer 1
		.amdhsa_user_sgpr_dispatch_ptr 0
		.amdhsa_user_sgpr_queue_ptr 0
		.amdhsa_user_sgpr_kernarg_segment_ptr 1
		.amdhsa_user_sgpr_dispatch_id 0
		.amdhsa_user_sgpr_flat_scratch_init 0
		.amdhsa_user_sgpr_private_segment_size 0
		.amdhsa_wavefront_size32 1
		.amdhsa_uses_dynamic_stack 0
		.amdhsa_system_sgpr_private_segment_wavefront_offset 0
		.amdhsa_system_sgpr_workgroup_id_x 1
		.amdhsa_system_sgpr_workgroup_id_y 0
		.amdhsa_system_sgpr_workgroup_id_z 0
		.amdhsa_system_sgpr_workgroup_info 0
		.amdhsa_system_vgpr_workitem_id 0
		.amdhsa_next_free_vgpr 1
		.amdhsa_next_free_sgpr 1
		.amdhsa_reserve_vcc 0
		.amdhsa_reserve_flat_scratch 0
		.amdhsa_float_round_mode_32 0
		.amdhsa_float_round_mode_16_64 0
		.amdhsa_float_denorm_mode_32 3
		.amdhsa_float_denorm_mode_16_64 3
		.amdhsa_dx10_clamp 1
		.amdhsa_ieee_mode 1
		.amdhsa_fp16_overflow 0
		.amdhsa_workgroup_processor_mode 1
		.amdhsa_memory_ordered 1
		.amdhsa_forward_progress 1
		.amdhsa_shared_vgpr_count 0
		.amdhsa_exception_fp_ieee_invalid_op 0
		.amdhsa_exception_fp_denorm_src 0
		.amdhsa_exception_fp_ieee_div_zero 0
		.amdhsa_exception_fp_ieee_overflow 0
		.amdhsa_exception_fp_ieee_underflow 0
		.amdhsa_exception_fp_ieee_inexact 0
		.amdhsa_exception_int_div_zero 0
	.end_amdhsa_kernel
	.section	.text._ZN7rocprim17ROCPRIM_400000_NS6detail17trampoline_kernelINS0_13select_configILj256ELj13ELNS0_17block_load_methodE3ELS4_3ELS4_3ELNS0_20block_scan_algorithmE0ELj4294967295EEENS1_25partition_config_selectorILNS1_17partition_subalgoE3EjNS0_10empty_typeEbEEZZNS1_14partition_implILS8_3ELb0ES6_jNS0_17counting_iteratorIjlEEPS9_SE_NS0_5tupleIJPjSE_EEENSF_IJSE_SE_EEES9_SG_JZNS1_25segmented_radix_sort_implINS0_14default_configELb1EPK6__halfPSL_PKlPlN2at6native12_GLOBAL__N_18offset_tEEE10hipError_tPvRmT1_PNSt15iterator_traitsISZ_E10value_typeET2_T3_PNS10_IS15_E10value_typeET4_jRbjT5_S1B_jjP12ihipStream_tbEUljE_EEESW_SX_SY_S15_S19_S1B_T6_T7_T9_mT8_S1D_bDpT10_ENKUlT_T0_E_clISt17integral_constantIbLb1EES1Q_EEDaS1L_S1M_EUlS1L_E_NS1_11comp_targetILNS1_3genE10ELNS1_11target_archE1200ELNS1_3gpuE4ELNS1_3repE0EEENS1_30default_config_static_selectorELNS0_4arch9wavefront6targetE0EEEvSZ_,"axG",@progbits,_ZN7rocprim17ROCPRIM_400000_NS6detail17trampoline_kernelINS0_13select_configILj256ELj13ELNS0_17block_load_methodE3ELS4_3ELS4_3ELNS0_20block_scan_algorithmE0ELj4294967295EEENS1_25partition_config_selectorILNS1_17partition_subalgoE3EjNS0_10empty_typeEbEEZZNS1_14partition_implILS8_3ELb0ES6_jNS0_17counting_iteratorIjlEEPS9_SE_NS0_5tupleIJPjSE_EEENSF_IJSE_SE_EEES9_SG_JZNS1_25segmented_radix_sort_implINS0_14default_configELb1EPK6__halfPSL_PKlPlN2at6native12_GLOBAL__N_18offset_tEEE10hipError_tPvRmT1_PNSt15iterator_traitsISZ_E10value_typeET2_T3_PNS10_IS15_E10value_typeET4_jRbjT5_S1B_jjP12ihipStream_tbEUljE_EEESW_SX_SY_S15_S19_S1B_T6_T7_T9_mT8_S1D_bDpT10_ENKUlT_T0_E_clISt17integral_constantIbLb1EES1Q_EEDaS1L_S1M_EUlS1L_E_NS1_11comp_targetILNS1_3genE10ELNS1_11target_archE1200ELNS1_3gpuE4ELNS1_3repE0EEENS1_30default_config_static_selectorELNS0_4arch9wavefront6targetE0EEEvSZ_,comdat
.Lfunc_end1710:
	.size	_ZN7rocprim17ROCPRIM_400000_NS6detail17trampoline_kernelINS0_13select_configILj256ELj13ELNS0_17block_load_methodE3ELS4_3ELS4_3ELNS0_20block_scan_algorithmE0ELj4294967295EEENS1_25partition_config_selectorILNS1_17partition_subalgoE3EjNS0_10empty_typeEbEEZZNS1_14partition_implILS8_3ELb0ES6_jNS0_17counting_iteratorIjlEEPS9_SE_NS0_5tupleIJPjSE_EEENSF_IJSE_SE_EEES9_SG_JZNS1_25segmented_radix_sort_implINS0_14default_configELb1EPK6__halfPSL_PKlPlN2at6native12_GLOBAL__N_18offset_tEEE10hipError_tPvRmT1_PNSt15iterator_traitsISZ_E10value_typeET2_T3_PNS10_IS15_E10value_typeET4_jRbjT5_S1B_jjP12ihipStream_tbEUljE_EEESW_SX_SY_S15_S19_S1B_T6_T7_T9_mT8_S1D_bDpT10_ENKUlT_T0_E_clISt17integral_constantIbLb1EES1Q_EEDaS1L_S1M_EUlS1L_E_NS1_11comp_targetILNS1_3genE10ELNS1_11target_archE1200ELNS1_3gpuE4ELNS1_3repE0EEENS1_30default_config_static_selectorELNS0_4arch9wavefront6targetE0EEEvSZ_, .Lfunc_end1710-_ZN7rocprim17ROCPRIM_400000_NS6detail17trampoline_kernelINS0_13select_configILj256ELj13ELNS0_17block_load_methodE3ELS4_3ELS4_3ELNS0_20block_scan_algorithmE0ELj4294967295EEENS1_25partition_config_selectorILNS1_17partition_subalgoE3EjNS0_10empty_typeEbEEZZNS1_14partition_implILS8_3ELb0ES6_jNS0_17counting_iteratorIjlEEPS9_SE_NS0_5tupleIJPjSE_EEENSF_IJSE_SE_EEES9_SG_JZNS1_25segmented_radix_sort_implINS0_14default_configELb1EPK6__halfPSL_PKlPlN2at6native12_GLOBAL__N_18offset_tEEE10hipError_tPvRmT1_PNSt15iterator_traitsISZ_E10value_typeET2_T3_PNS10_IS15_E10value_typeET4_jRbjT5_S1B_jjP12ihipStream_tbEUljE_EEESW_SX_SY_S15_S19_S1B_T6_T7_T9_mT8_S1D_bDpT10_ENKUlT_T0_E_clISt17integral_constantIbLb1EES1Q_EEDaS1L_S1M_EUlS1L_E_NS1_11comp_targetILNS1_3genE10ELNS1_11target_archE1200ELNS1_3gpuE4ELNS1_3repE0EEENS1_30default_config_static_selectorELNS0_4arch9wavefront6targetE0EEEvSZ_
                                        ; -- End function
	.set _ZN7rocprim17ROCPRIM_400000_NS6detail17trampoline_kernelINS0_13select_configILj256ELj13ELNS0_17block_load_methodE3ELS4_3ELS4_3ELNS0_20block_scan_algorithmE0ELj4294967295EEENS1_25partition_config_selectorILNS1_17partition_subalgoE3EjNS0_10empty_typeEbEEZZNS1_14partition_implILS8_3ELb0ES6_jNS0_17counting_iteratorIjlEEPS9_SE_NS0_5tupleIJPjSE_EEENSF_IJSE_SE_EEES9_SG_JZNS1_25segmented_radix_sort_implINS0_14default_configELb1EPK6__halfPSL_PKlPlN2at6native12_GLOBAL__N_18offset_tEEE10hipError_tPvRmT1_PNSt15iterator_traitsISZ_E10value_typeET2_T3_PNS10_IS15_E10value_typeET4_jRbjT5_S1B_jjP12ihipStream_tbEUljE_EEESW_SX_SY_S15_S19_S1B_T6_T7_T9_mT8_S1D_bDpT10_ENKUlT_T0_E_clISt17integral_constantIbLb1EES1Q_EEDaS1L_S1M_EUlS1L_E_NS1_11comp_targetILNS1_3genE10ELNS1_11target_archE1200ELNS1_3gpuE4ELNS1_3repE0EEENS1_30default_config_static_selectorELNS0_4arch9wavefront6targetE0EEEvSZ_.num_vgpr, 0
	.set _ZN7rocprim17ROCPRIM_400000_NS6detail17trampoline_kernelINS0_13select_configILj256ELj13ELNS0_17block_load_methodE3ELS4_3ELS4_3ELNS0_20block_scan_algorithmE0ELj4294967295EEENS1_25partition_config_selectorILNS1_17partition_subalgoE3EjNS0_10empty_typeEbEEZZNS1_14partition_implILS8_3ELb0ES6_jNS0_17counting_iteratorIjlEEPS9_SE_NS0_5tupleIJPjSE_EEENSF_IJSE_SE_EEES9_SG_JZNS1_25segmented_radix_sort_implINS0_14default_configELb1EPK6__halfPSL_PKlPlN2at6native12_GLOBAL__N_18offset_tEEE10hipError_tPvRmT1_PNSt15iterator_traitsISZ_E10value_typeET2_T3_PNS10_IS15_E10value_typeET4_jRbjT5_S1B_jjP12ihipStream_tbEUljE_EEESW_SX_SY_S15_S19_S1B_T6_T7_T9_mT8_S1D_bDpT10_ENKUlT_T0_E_clISt17integral_constantIbLb1EES1Q_EEDaS1L_S1M_EUlS1L_E_NS1_11comp_targetILNS1_3genE10ELNS1_11target_archE1200ELNS1_3gpuE4ELNS1_3repE0EEENS1_30default_config_static_selectorELNS0_4arch9wavefront6targetE0EEEvSZ_.num_agpr, 0
	.set _ZN7rocprim17ROCPRIM_400000_NS6detail17trampoline_kernelINS0_13select_configILj256ELj13ELNS0_17block_load_methodE3ELS4_3ELS4_3ELNS0_20block_scan_algorithmE0ELj4294967295EEENS1_25partition_config_selectorILNS1_17partition_subalgoE3EjNS0_10empty_typeEbEEZZNS1_14partition_implILS8_3ELb0ES6_jNS0_17counting_iteratorIjlEEPS9_SE_NS0_5tupleIJPjSE_EEENSF_IJSE_SE_EEES9_SG_JZNS1_25segmented_radix_sort_implINS0_14default_configELb1EPK6__halfPSL_PKlPlN2at6native12_GLOBAL__N_18offset_tEEE10hipError_tPvRmT1_PNSt15iterator_traitsISZ_E10value_typeET2_T3_PNS10_IS15_E10value_typeET4_jRbjT5_S1B_jjP12ihipStream_tbEUljE_EEESW_SX_SY_S15_S19_S1B_T6_T7_T9_mT8_S1D_bDpT10_ENKUlT_T0_E_clISt17integral_constantIbLb1EES1Q_EEDaS1L_S1M_EUlS1L_E_NS1_11comp_targetILNS1_3genE10ELNS1_11target_archE1200ELNS1_3gpuE4ELNS1_3repE0EEENS1_30default_config_static_selectorELNS0_4arch9wavefront6targetE0EEEvSZ_.numbered_sgpr, 0
	.set _ZN7rocprim17ROCPRIM_400000_NS6detail17trampoline_kernelINS0_13select_configILj256ELj13ELNS0_17block_load_methodE3ELS4_3ELS4_3ELNS0_20block_scan_algorithmE0ELj4294967295EEENS1_25partition_config_selectorILNS1_17partition_subalgoE3EjNS0_10empty_typeEbEEZZNS1_14partition_implILS8_3ELb0ES6_jNS0_17counting_iteratorIjlEEPS9_SE_NS0_5tupleIJPjSE_EEENSF_IJSE_SE_EEES9_SG_JZNS1_25segmented_radix_sort_implINS0_14default_configELb1EPK6__halfPSL_PKlPlN2at6native12_GLOBAL__N_18offset_tEEE10hipError_tPvRmT1_PNSt15iterator_traitsISZ_E10value_typeET2_T3_PNS10_IS15_E10value_typeET4_jRbjT5_S1B_jjP12ihipStream_tbEUljE_EEESW_SX_SY_S15_S19_S1B_T6_T7_T9_mT8_S1D_bDpT10_ENKUlT_T0_E_clISt17integral_constantIbLb1EES1Q_EEDaS1L_S1M_EUlS1L_E_NS1_11comp_targetILNS1_3genE10ELNS1_11target_archE1200ELNS1_3gpuE4ELNS1_3repE0EEENS1_30default_config_static_selectorELNS0_4arch9wavefront6targetE0EEEvSZ_.num_named_barrier, 0
	.set _ZN7rocprim17ROCPRIM_400000_NS6detail17trampoline_kernelINS0_13select_configILj256ELj13ELNS0_17block_load_methodE3ELS4_3ELS4_3ELNS0_20block_scan_algorithmE0ELj4294967295EEENS1_25partition_config_selectorILNS1_17partition_subalgoE3EjNS0_10empty_typeEbEEZZNS1_14partition_implILS8_3ELb0ES6_jNS0_17counting_iteratorIjlEEPS9_SE_NS0_5tupleIJPjSE_EEENSF_IJSE_SE_EEES9_SG_JZNS1_25segmented_radix_sort_implINS0_14default_configELb1EPK6__halfPSL_PKlPlN2at6native12_GLOBAL__N_18offset_tEEE10hipError_tPvRmT1_PNSt15iterator_traitsISZ_E10value_typeET2_T3_PNS10_IS15_E10value_typeET4_jRbjT5_S1B_jjP12ihipStream_tbEUljE_EEESW_SX_SY_S15_S19_S1B_T6_T7_T9_mT8_S1D_bDpT10_ENKUlT_T0_E_clISt17integral_constantIbLb1EES1Q_EEDaS1L_S1M_EUlS1L_E_NS1_11comp_targetILNS1_3genE10ELNS1_11target_archE1200ELNS1_3gpuE4ELNS1_3repE0EEENS1_30default_config_static_selectorELNS0_4arch9wavefront6targetE0EEEvSZ_.private_seg_size, 0
	.set _ZN7rocprim17ROCPRIM_400000_NS6detail17trampoline_kernelINS0_13select_configILj256ELj13ELNS0_17block_load_methodE3ELS4_3ELS4_3ELNS0_20block_scan_algorithmE0ELj4294967295EEENS1_25partition_config_selectorILNS1_17partition_subalgoE3EjNS0_10empty_typeEbEEZZNS1_14partition_implILS8_3ELb0ES6_jNS0_17counting_iteratorIjlEEPS9_SE_NS0_5tupleIJPjSE_EEENSF_IJSE_SE_EEES9_SG_JZNS1_25segmented_radix_sort_implINS0_14default_configELb1EPK6__halfPSL_PKlPlN2at6native12_GLOBAL__N_18offset_tEEE10hipError_tPvRmT1_PNSt15iterator_traitsISZ_E10value_typeET2_T3_PNS10_IS15_E10value_typeET4_jRbjT5_S1B_jjP12ihipStream_tbEUljE_EEESW_SX_SY_S15_S19_S1B_T6_T7_T9_mT8_S1D_bDpT10_ENKUlT_T0_E_clISt17integral_constantIbLb1EES1Q_EEDaS1L_S1M_EUlS1L_E_NS1_11comp_targetILNS1_3genE10ELNS1_11target_archE1200ELNS1_3gpuE4ELNS1_3repE0EEENS1_30default_config_static_selectorELNS0_4arch9wavefront6targetE0EEEvSZ_.uses_vcc, 0
	.set _ZN7rocprim17ROCPRIM_400000_NS6detail17trampoline_kernelINS0_13select_configILj256ELj13ELNS0_17block_load_methodE3ELS4_3ELS4_3ELNS0_20block_scan_algorithmE0ELj4294967295EEENS1_25partition_config_selectorILNS1_17partition_subalgoE3EjNS0_10empty_typeEbEEZZNS1_14partition_implILS8_3ELb0ES6_jNS0_17counting_iteratorIjlEEPS9_SE_NS0_5tupleIJPjSE_EEENSF_IJSE_SE_EEES9_SG_JZNS1_25segmented_radix_sort_implINS0_14default_configELb1EPK6__halfPSL_PKlPlN2at6native12_GLOBAL__N_18offset_tEEE10hipError_tPvRmT1_PNSt15iterator_traitsISZ_E10value_typeET2_T3_PNS10_IS15_E10value_typeET4_jRbjT5_S1B_jjP12ihipStream_tbEUljE_EEESW_SX_SY_S15_S19_S1B_T6_T7_T9_mT8_S1D_bDpT10_ENKUlT_T0_E_clISt17integral_constantIbLb1EES1Q_EEDaS1L_S1M_EUlS1L_E_NS1_11comp_targetILNS1_3genE10ELNS1_11target_archE1200ELNS1_3gpuE4ELNS1_3repE0EEENS1_30default_config_static_selectorELNS0_4arch9wavefront6targetE0EEEvSZ_.uses_flat_scratch, 0
	.set _ZN7rocprim17ROCPRIM_400000_NS6detail17trampoline_kernelINS0_13select_configILj256ELj13ELNS0_17block_load_methodE3ELS4_3ELS4_3ELNS0_20block_scan_algorithmE0ELj4294967295EEENS1_25partition_config_selectorILNS1_17partition_subalgoE3EjNS0_10empty_typeEbEEZZNS1_14partition_implILS8_3ELb0ES6_jNS0_17counting_iteratorIjlEEPS9_SE_NS0_5tupleIJPjSE_EEENSF_IJSE_SE_EEES9_SG_JZNS1_25segmented_radix_sort_implINS0_14default_configELb1EPK6__halfPSL_PKlPlN2at6native12_GLOBAL__N_18offset_tEEE10hipError_tPvRmT1_PNSt15iterator_traitsISZ_E10value_typeET2_T3_PNS10_IS15_E10value_typeET4_jRbjT5_S1B_jjP12ihipStream_tbEUljE_EEESW_SX_SY_S15_S19_S1B_T6_T7_T9_mT8_S1D_bDpT10_ENKUlT_T0_E_clISt17integral_constantIbLb1EES1Q_EEDaS1L_S1M_EUlS1L_E_NS1_11comp_targetILNS1_3genE10ELNS1_11target_archE1200ELNS1_3gpuE4ELNS1_3repE0EEENS1_30default_config_static_selectorELNS0_4arch9wavefront6targetE0EEEvSZ_.has_dyn_sized_stack, 0
	.set _ZN7rocprim17ROCPRIM_400000_NS6detail17trampoline_kernelINS0_13select_configILj256ELj13ELNS0_17block_load_methodE3ELS4_3ELS4_3ELNS0_20block_scan_algorithmE0ELj4294967295EEENS1_25partition_config_selectorILNS1_17partition_subalgoE3EjNS0_10empty_typeEbEEZZNS1_14partition_implILS8_3ELb0ES6_jNS0_17counting_iteratorIjlEEPS9_SE_NS0_5tupleIJPjSE_EEENSF_IJSE_SE_EEES9_SG_JZNS1_25segmented_radix_sort_implINS0_14default_configELb1EPK6__halfPSL_PKlPlN2at6native12_GLOBAL__N_18offset_tEEE10hipError_tPvRmT1_PNSt15iterator_traitsISZ_E10value_typeET2_T3_PNS10_IS15_E10value_typeET4_jRbjT5_S1B_jjP12ihipStream_tbEUljE_EEESW_SX_SY_S15_S19_S1B_T6_T7_T9_mT8_S1D_bDpT10_ENKUlT_T0_E_clISt17integral_constantIbLb1EES1Q_EEDaS1L_S1M_EUlS1L_E_NS1_11comp_targetILNS1_3genE10ELNS1_11target_archE1200ELNS1_3gpuE4ELNS1_3repE0EEENS1_30default_config_static_selectorELNS0_4arch9wavefront6targetE0EEEvSZ_.has_recursion, 0
	.set _ZN7rocprim17ROCPRIM_400000_NS6detail17trampoline_kernelINS0_13select_configILj256ELj13ELNS0_17block_load_methodE3ELS4_3ELS4_3ELNS0_20block_scan_algorithmE0ELj4294967295EEENS1_25partition_config_selectorILNS1_17partition_subalgoE3EjNS0_10empty_typeEbEEZZNS1_14partition_implILS8_3ELb0ES6_jNS0_17counting_iteratorIjlEEPS9_SE_NS0_5tupleIJPjSE_EEENSF_IJSE_SE_EEES9_SG_JZNS1_25segmented_radix_sort_implINS0_14default_configELb1EPK6__halfPSL_PKlPlN2at6native12_GLOBAL__N_18offset_tEEE10hipError_tPvRmT1_PNSt15iterator_traitsISZ_E10value_typeET2_T3_PNS10_IS15_E10value_typeET4_jRbjT5_S1B_jjP12ihipStream_tbEUljE_EEESW_SX_SY_S15_S19_S1B_T6_T7_T9_mT8_S1D_bDpT10_ENKUlT_T0_E_clISt17integral_constantIbLb1EES1Q_EEDaS1L_S1M_EUlS1L_E_NS1_11comp_targetILNS1_3genE10ELNS1_11target_archE1200ELNS1_3gpuE4ELNS1_3repE0EEENS1_30default_config_static_selectorELNS0_4arch9wavefront6targetE0EEEvSZ_.has_indirect_call, 0
	.section	.AMDGPU.csdata,"",@progbits
; Kernel info:
; codeLenInByte = 0
; TotalNumSgprs: 0
; NumVgprs: 0
; ScratchSize: 0
; MemoryBound: 0
; FloatMode: 240
; IeeeMode: 1
; LDSByteSize: 0 bytes/workgroup (compile time only)
; SGPRBlocks: 0
; VGPRBlocks: 0
; NumSGPRsForWavesPerEU: 1
; NumVGPRsForWavesPerEU: 1
; Occupancy: 16
; WaveLimiterHint : 0
; COMPUTE_PGM_RSRC2:SCRATCH_EN: 0
; COMPUTE_PGM_RSRC2:USER_SGPR: 6
; COMPUTE_PGM_RSRC2:TRAP_HANDLER: 0
; COMPUTE_PGM_RSRC2:TGID_X_EN: 1
; COMPUTE_PGM_RSRC2:TGID_Y_EN: 0
; COMPUTE_PGM_RSRC2:TGID_Z_EN: 0
; COMPUTE_PGM_RSRC2:TIDIG_COMP_CNT: 0
	.section	.text._ZN7rocprim17ROCPRIM_400000_NS6detail17trampoline_kernelINS0_13select_configILj256ELj13ELNS0_17block_load_methodE3ELS4_3ELS4_3ELNS0_20block_scan_algorithmE0ELj4294967295EEENS1_25partition_config_selectorILNS1_17partition_subalgoE3EjNS0_10empty_typeEbEEZZNS1_14partition_implILS8_3ELb0ES6_jNS0_17counting_iteratorIjlEEPS9_SE_NS0_5tupleIJPjSE_EEENSF_IJSE_SE_EEES9_SG_JZNS1_25segmented_radix_sort_implINS0_14default_configELb1EPK6__halfPSL_PKlPlN2at6native12_GLOBAL__N_18offset_tEEE10hipError_tPvRmT1_PNSt15iterator_traitsISZ_E10value_typeET2_T3_PNS10_IS15_E10value_typeET4_jRbjT5_S1B_jjP12ihipStream_tbEUljE_EEESW_SX_SY_S15_S19_S1B_T6_T7_T9_mT8_S1D_bDpT10_ENKUlT_T0_E_clISt17integral_constantIbLb1EES1Q_EEDaS1L_S1M_EUlS1L_E_NS1_11comp_targetILNS1_3genE9ELNS1_11target_archE1100ELNS1_3gpuE3ELNS1_3repE0EEENS1_30default_config_static_selectorELNS0_4arch9wavefront6targetE0EEEvSZ_,"axG",@progbits,_ZN7rocprim17ROCPRIM_400000_NS6detail17trampoline_kernelINS0_13select_configILj256ELj13ELNS0_17block_load_methodE3ELS4_3ELS4_3ELNS0_20block_scan_algorithmE0ELj4294967295EEENS1_25partition_config_selectorILNS1_17partition_subalgoE3EjNS0_10empty_typeEbEEZZNS1_14partition_implILS8_3ELb0ES6_jNS0_17counting_iteratorIjlEEPS9_SE_NS0_5tupleIJPjSE_EEENSF_IJSE_SE_EEES9_SG_JZNS1_25segmented_radix_sort_implINS0_14default_configELb1EPK6__halfPSL_PKlPlN2at6native12_GLOBAL__N_18offset_tEEE10hipError_tPvRmT1_PNSt15iterator_traitsISZ_E10value_typeET2_T3_PNS10_IS15_E10value_typeET4_jRbjT5_S1B_jjP12ihipStream_tbEUljE_EEESW_SX_SY_S15_S19_S1B_T6_T7_T9_mT8_S1D_bDpT10_ENKUlT_T0_E_clISt17integral_constantIbLb1EES1Q_EEDaS1L_S1M_EUlS1L_E_NS1_11comp_targetILNS1_3genE9ELNS1_11target_archE1100ELNS1_3gpuE3ELNS1_3repE0EEENS1_30default_config_static_selectorELNS0_4arch9wavefront6targetE0EEEvSZ_,comdat
	.globl	_ZN7rocprim17ROCPRIM_400000_NS6detail17trampoline_kernelINS0_13select_configILj256ELj13ELNS0_17block_load_methodE3ELS4_3ELS4_3ELNS0_20block_scan_algorithmE0ELj4294967295EEENS1_25partition_config_selectorILNS1_17partition_subalgoE3EjNS0_10empty_typeEbEEZZNS1_14partition_implILS8_3ELb0ES6_jNS0_17counting_iteratorIjlEEPS9_SE_NS0_5tupleIJPjSE_EEENSF_IJSE_SE_EEES9_SG_JZNS1_25segmented_radix_sort_implINS0_14default_configELb1EPK6__halfPSL_PKlPlN2at6native12_GLOBAL__N_18offset_tEEE10hipError_tPvRmT1_PNSt15iterator_traitsISZ_E10value_typeET2_T3_PNS10_IS15_E10value_typeET4_jRbjT5_S1B_jjP12ihipStream_tbEUljE_EEESW_SX_SY_S15_S19_S1B_T6_T7_T9_mT8_S1D_bDpT10_ENKUlT_T0_E_clISt17integral_constantIbLb1EES1Q_EEDaS1L_S1M_EUlS1L_E_NS1_11comp_targetILNS1_3genE9ELNS1_11target_archE1100ELNS1_3gpuE3ELNS1_3repE0EEENS1_30default_config_static_selectorELNS0_4arch9wavefront6targetE0EEEvSZ_ ; -- Begin function _ZN7rocprim17ROCPRIM_400000_NS6detail17trampoline_kernelINS0_13select_configILj256ELj13ELNS0_17block_load_methodE3ELS4_3ELS4_3ELNS0_20block_scan_algorithmE0ELj4294967295EEENS1_25partition_config_selectorILNS1_17partition_subalgoE3EjNS0_10empty_typeEbEEZZNS1_14partition_implILS8_3ELb0ES6_jNS0_17counting_iteratorIjlEEPS9_SE_NS0_5tupleIJPjSE_EEENSF_IJSE_SE_EEES9_SG_JZNS1_25segmented_radix_sort_implINS0_14default_configELb1EPK6__halfPSL_PKlPlN2at6native12_GLOBAL__N_18offset_tEEE10hipError_tPvRmT1_PNSt15iterator_traitsISZ_E10value_typeET2_T3_PNS10_IS15_E10value_typeET4_jRbjT5_S1B_jjP12ihipStream_tbEUljE_EEESW_SX_SY_S15_S19_S1B_T6_T7_T9_mT8_S1D_bDpT10_ENKUlT_T0_E_clISt17integral_constantIbLb1EES1Q_EEDaS1L_S1M_EUlS1L_E_NS1_11comp_targetILNS1_3genE9ELNS1_11target_archE1100ELNS1_3gpuE3ELNS1_3repE0EEENS1_30default_config_static_selectorELNS0_4arch9wavefront6targetE0EEEvSZ_
	.p2align	8
	.type	_ZN7rocprim17ROCPRIM_400000_NS6detail17trampoline_kernelINS0_13select_configILj256ELj13ELNS0_17block_load_methodE3ELS4_3ELS4_3ELNS0_20block_scan_algorithmE0ELj4294967295EEENS1_25partition_config_selectorILNS1_17partition_subalgoE3EjNS0_10empty_typeEbEEZZNS1_14partition_implILS8_3ELb0ES6_jNS0_17counting_iteratorIjlEEPS9_SE_NS0_5tupleIJPjSE_EEENSF_IJSE_SE_EEES9_SG_JZNS1_25segmented_radix_sort_implINS0_14default_configELb1EPK6__halfPSL_PKlPlN2at6native12_GLOBAL__N_18offset_tEEE10hipError_tPvRmT1_PNSt15iterator_traitsISZ_E10value_typeET2_T3_PNS10_IS15_E10value_typeET4_jRbjT5_S1B_jjP12ihipStream_tbEUljE_EEESW_SX_SY_S15_S19_S1B_T6_T7_T9_mT8_S1D_bDpT10_ENKUlT_T0_E_clISt17integral_constantIbLb1EES1Q_EEDaS1L_S1M_EUlS1L_E_NS1_11comp_targetILNS1_3genE9ELNS1_11target_archE1100ELNS1_3gpuE3ELNS1_3repE0EEENS1_30default_config_static_selectorELNS0_4arch9wavefront6targetE0EEEvSZ_,@function
_ZN7rocprim17ROCPRIM_400000_NS6detail17trampoline_kernelINS0_13select_configILj256ELj13ELNS0_17block_load_methodE3ELS4_3ELS4_3ELNS0_20block_scan_algorithmE0ELj4294967295EEENS1_25partition_config_selectorILNS1_17partition_subalgoE3EjNS0_10empty_typeEbEEZZNS1_14partition_implILS8_3ELb0ES6_jNS0_17counting_iteratorIjlEEPS9_SE_NS0_5tupleIJPjSE_EEENSF_IJSE_SE_EEES9_SG_JZNS1_25segmented_radix_sort_implINS0_14default_configELb1EPK6__halfPSL_PKlPlN2at6native12_GLOBAL__N_18offset_tEEE10hipError_tPvRmT1_PNSt15iterator_traitsISZ_E10value_typeET2_T3_PNS10_IS15_E10value_typeET4_jRbjT5_S1B_jjP12ihipStream_tbEUljE_EEESW_SX_SY_S15_S19_S1B_T6_T7_T9_mT8_S1D_bDpT10_ENKUlT_T0_E_clISt17integral_constantIbLb1EES1Q_EEDaS1L_S1M_EUlS1L_E_NS1_11comp_targetILNS1_3genE9ELNS1_11target_archE1100ELNS1_3gpuE3ELNS1_3repE0EEENS1_30default_config_static_selectorELNS0_4arch9wavefront6targetE0EEEvSZ_: ; @_ZN7rocprim17ROCPRIM_400000_NS6detail17trampoline_kernelINS0_13select_configILj256ELj13ELNS0_17block_load_methodE3ELS4_3ELS4_3ELNS0_20block_scan_algorithmE0ELj4294967295EEENS1_25partition_config_selectorILNS1_17partition_subalgoE3EjNS0_10empty_typeEbEEZZNS1_14partition_implILS8_3ELb0ES6_jNS0_17counting_iteratorIjlEEPS9_SE_NS0_5tupleIJPjSE_EEENSF_IJSE_SE_EEES9_SG_JZNS1_25segmented_radix_sort_implINS0_14default_configELb1EPK6__halfPSL_PKlPlN2at6native12_GLOBAL__N_18offset_tEEE10hipError_tPvRmT1_PNSt15iterator_traitsISZ_E10value_typeET2_T3_PNS10_IS15_E10value_typeET4_jRbjT5_S1B_jjP12ihipStream_tbEUljE_EEESW_SX_SY_S15_S19_S1B_T6_T7_T9_mT8_S1D_bDpT10_ENKUlT_T0_E_clISt17integral_constantIbLb1EES1Q_EEDaS1L_S1M_EUlS1L_E_NS1_11comp_targetILNS1_3genE9ELNS1_11target_archE1100ELNS1_3gpuE3ELNS1_3repE0EEENS1_30default_config_static_selectorELNS0_4arch9wavefront6targetE0EEEvSZ_
; %bb.0:
	.section	.rodata,"a",@progbits
	.p2align	6, 0x0
	.amdhsa_kernel _ZN7rocprim17ROCPRIM_400000_NS6detail17trampoline_kernelINS0_13select_configILj256ELj13ELNS0_17block_load_methodE3ELS4_3ELS4_3ELNS0_20block_scan_algorithmE0ELj4294967295EEENS1_25partition_config_selectorILNS1_17partition_subalgoE3EjNS0_10empty_typeEbEEZZNS1_14partition_implILS8_3ELb0ES6_jNS0_17counting_iteratorIjlEEPS9_SE_NS0_5tupleIJPjSE_EEENSF_IJSE_SE_EEES9_SG_JZNS1_25segmented_radix_sort_implINS0_14default_configELb1EPK6__halfPSL_PKlPlN2at6native12_GLOBAL__N_18offset_tEEE10hipError_tPvRmT1_PNSt15iterator_traitsISZ_E10value_typeET2_T3_PNS10_IS15_E10value_typeET4_jRbjT5_S1B_jjP12ihipStream_tbEUljE_EEESW_SX_SY_S15_S19_S1B_T6_T7_T9_mT8_S1D_bDpT10_ENKUlT_T0_E_clISt17integral_constantIbLb1EES1Q_EEDaS1L_S1M_EUlS1L_E_NS1_11comp_targetILNS1_3genE9ELNS1_11target_archE1100ELNS1_3gpuE3ELNS1_3repE0EEENS1_30default_config_static_selectorELNS0_4arch9wavefront6targetE0EEEvSZ_
		.amdhsa_group_segment_fixed_size 0
		.amdhsa_private_segment_fixed_size 0
		.amdhsa_kernarg_size 152
		.amdhsa_user_sgpr_count 6
		.amdhsa_user_sgpr_private_segment_buffer 1
		.amdhsa_user_sgpr_dispatch_ptr 0
		.amdhsa_user_sgpr_queue_ptr 0
		.amdhsa_user_sgpr_kernarg_segment_ptr 1
		.amdhsa_user_sgpr_dispatch_id 0
		.amdhsa_user_sgpr_flat_scratch_init 0
		.amdhsa_user_sgpr_private_segment_size 0
		.amdhsa_wavefront_size32 1
		.amdhsa_uses_dynamic_stack 0
		.amdhsa_system_sgpr_private_segment_wavefront_offset 0
		.amdhsa_system_sgpr_workgroup_id_x 1
		.amdhsa_system_sgpr_workgroup_id_y 0
		.amdhsa_system_sgpr_workgroup_id_z 0
		.amdhsa_system_sgpr_workgroup_info 0
		.amdhsa_system_vgpr_workitem_id 0
		.amdhsa_next_free_vgpr 1
		.amdhsa_next_free_sgpr 1
		.amdhsa_reserve_vcc 0
		.amdhsa_reserve_flat_scratch 0
		.amdhsa_float_round_mode_32 0
		.amdhsa_float_round_mode_16_64 0
		.amdhsa_float_denorm_mode_32 3
		.amdhsa_float_denorm_mode_16_64 3
		.amdhsa_dx10_clamp 1
		.amdhsa_ieee_mode 1
		.amdhsa_fp16_overflow 0
		.amdhsa_workgroup_processor_mode 1
		.amdhsa_memory_ordered 1
		.amdhsa_forward_progress 1
		.amdhsa_shared_vgpr_count 0
		.amdhsa_exception_fp_ieee_invalid_op 0
		.amdhsa_exception_fp_denorm_src 0
		.amdhsa_exception_fp_ieee_div_zero 0
		.amdhsa_exception_fp_ieee_overflow 0
		.amdhsa_exception_fp_ieee_underflow 0
		.amdhsa_exception_fp_ieee_inexact 0
		.amdhsa_exception_int_div_zero 0
	.end_amdhsa_kernel
	.section	.text._ZN7rocprim17ROCPRIM_400000_NS6detail17trampoline_kernelINS0_13select_configILj256ELj13ELNS0_17block_load_methodE3ELS4_3ELS4_3ELNS0_20block_scan_algorithmE0ELj4294967295EEENS1_25partition_config_selectorILNS1_17partition_subalgoE3EjNS0_10empty_typeEbEEZZNS1_14partition_implILS8_3ELb0ES6_jNS0_17counting_iteratorIjlEEPS9_SE_NS0_5tupleIJPjSE_EEENSF_IJSE_SE_EEES9_SG_JZNS1_25segmented_radix_sort_implINS0_14default_configELb1EPK6__halfPSL_PKlPlN2at6native12_GLOBAL__N_18offset_tEEE10hipError_tPvRmT1_PNSt15iterator_traitsISZ_E10value_typeET2_T3_PNS10_IS15_E10value_typeET4_jRbjT5_S1B_jjP12ihipStream_tbEUljE_EEESW_SX_SY_S15_S19_S1B_T6_T7_T9_mT8_S1D_bDpT10_ENKUlT_T0_E_clISt17integral_constantIbLb1EES1Q_EEDaS1L_S1M_EUlS1L_E_NS1_11comp_targetILNS1_3genE9ELNS1_11target_archE1100ELNS1_3gpuE3ELNS1_3repE0EEENS1_30default_config_static_selectorELNS0_4arch9wavefront6targetE0EEEvSZ_,"axG",@progbits,_ZN7rocprim17ROCPRIM_400000_NS6detail17trampoline_kernelINS0_13select_configILj256ELj13ELNS0_17block_load_methodE3ELS4_3ELS4_3ELNS0_20block_scan_algorithmE0ELj4294967295EEENS1_25partition_config_selectorILNS1_17partition_subalgoE3EjNS0_10empty_typeEbEEZZNS1_14partition_implILS8_3ELb0ES6_jNS0_17counting_iteratorIjlEEPS9_SE_NS0_5tupleIJPjSE_EEENSF_IJSE_SE_EEES9_SG_JZNS1_25segmented_radix_sort_implINS0_14default_configELb1EPK6__halfPSL_PKlPlN2at6native12_GLOBAL__N_18offset_tEEE10hipError_tPvRmT1_PNSt15iterator_traitsISZ_E10value_typeET2_T3_PNS10_IS15_E10value_typeET4_jRbjT5_S1B_jjP12ihipStream_tbEUljE_EEESW_SX_SY_S15_S19_S1B_T6_T7_T9_mT8_S1D_bDpT10_ENKUlT_T0_E_clISt17integral_constantIbLb1EES1Q_EEDaS1L_S1M_EUlS1L_E_NS1_11comp_targetILNS1_3genE9ELNS1_11target_archE1100ELNS1_3gpuE3ELNS1_3repE0EEENS1_30default_config_static_selectorELNS0_4arch9wavefront6targetE0EEEvSZ_,comdat
.Lfunc_end1711:
	.size	_ZN7rocprim17ROCPRIM_400000_NS6detail17trampoline_kernelINS0_13select_configILj256ELj13ELNS0_17block_load_methodE3ELS4_3ELS4_3ELNS0_20block_scan_algorithmE0ELj4294967295EEENS1_25partition_config_selectorILNS1_17partition_subalgoE3EjNS0_10empty_typeEbEEZZNS1_14partition_implILS8_3ELb0ES6_jNS0_17counting_iteratorIjlEEPS9_SE_NS0_5tupleIJPjSE_EEENSF_IJSE_SE_EEES9_SG_JZNS1_25segmented_radix_sort_implINS0_14default_configELb1EPK6__halfPSL_PKlPlN2at6native12_GLOBAL__N_18offset_tEEE10hipError_tPvRmT1_PNSt15iterator_traitsISZ_E10value_typeET2_T3_PNS10_IS15_E10value_typeET4_jRbjT5_S1B_jjP12ihipStream_tbEUljE_EEESW_SX_SY_S15_S19_S1B_T6_T7_T9_mT8_S1D_bDpT10_ENKUlT_T0_E_clISt17integral_constantIbLb1EES1Q_EEDaS1L_S1M_EUlS1L_E_NS1_11comp_targetILNS1_3genE9ELNS1_11target_archE1100ELNS1_3gpuE3ELNS1_3repE0EEENS1_30default_config_static_selectorELNS0_4arch9wavefront6targetE0EEEvSZ_, .Lfunc_end1711-_ZN7rocprim17ROCPRIM_400000_NS6detail17trampoline_kernelINS0_13select_configILj256ELj13ELNS0_17block_load_methodE3ELS4_3ELS4_3ELNS0_20block_scan_algorithmE0ELj4294967295EEENS1_25partition_config_selectorILNS1_17partition_subalgoE3EjNS0_10empty_typeEbEEZZNS1_14partition_implILS8_3ELb0ES6_jNS0_17counting_iteratorIjlEEPS9_SE_NS0_5tupleIJPjSE_EEENSF_IJSE_SE_EEES9_SG_JZNS1_25segmented_radix_sort_implINS0_14default_configELb1EPK6__halfPSL_PKlPlN2at6native12_GLOBAL__N_18offset_tEEE10hipError_tPvRmT1_PNSt15iterator_traitsISZ_E10value_typeET2_T3_PNS10_IS15_E10value_typeET4_jRbjT5_S1B_jjP12ihipStream_tbEUljE_EEESW_SX_SY_S15_S19_S1B_T6_T7_T9_mT8_S1D_bDpT10_ENKUlT_T0_E_clISt17integral_constantIbLb1EES1Q_EEDaS1L_S1M_EUlS1L_E_NS1_11comp_targetILNS1_3genE9ELNS1_11target_archE1100ELNS1_3gpuE3ELNS1_3repE0EEENS1_30default_config_static_selectorELNS0_4arch9wavefront6targetE0EEEvSZ_
                                        ; -- End function
	.set _ZN7rocprim17ROCPRIM_400000_NS6detail17trampoline_kernelINS0_13select_configILj256ELj13ELNS0_17block_load_methodE3ELS4_3ELS4_3ELNS0_20block_scan_algorithmE0ELj4294967295EEENS1_25partition_config_selectorILNS1_17partition_subalgoE3EjNS0_10empty_typeEbEEZZNS1_14partition_implILS8_3ELb0ES6_jNS0_17counting_iteratorIjlEEPS9_SE_NS0_5tupleIJPjSE_EEENSF_IJSE_SE_EEES9_SG_JZNS1_25segmented_radix_sort_implINS0_14default_configELb1EPK6__halfPSL_PKlPlN2at6native12_GLOBAL__N_18offset_tEEE10hipError_tPvRmT1_PNSt15iterator_traitsISZ_E10value_typeET2_T3_PNS10_IS15_E10value_typeET4_jRbjT5_S1B_jjP12ihipStream_tbEUljE_EEESW_SX_SY_S15_S19_S1B_T6_T7_T9_mT8_S1D_bDpT10_ENKUlT_T0_E_clISt17integral_constantIbLb1EES1Q_EEDaS1L_S1M_EUlS1L_E_NS1_11comp_targetILNS1_3genE9ELNS1_11target_archE1100ELNS1_3gpuE3ELNS1_3repE0EEENS1_30default_config_static_selectorELNS0_4arch9wavefront6targetE0EEEvSZ_.num_vgpr, 0
	.set _ZN7rocprim17ROCPRIM_400000_NS6detail17trampoline_kernelINS0_13select_configILj256ELj13ELNS0_17block_load_methodE3ELS4_3ELS4_3ELNS0_20block_scan_algorithmE0ELj4294967295EEENS1_25partition_config_selectorILNS1_17partition_subalgoE3EjNS0_10empty_typeEbEEZZNS1_14partition_implILS8_3ELb0ES6_jNS0_17counting_iteratorIjlEEPS9_SE_NS0_5tupleIJPjSE_EEENSF_IJSE_SE_EEES9_SG_JZNS1_25segmented_radix_sort_implINS0_14default_configELb1EPK6__halfPSL_PKlPlN2at6native12_GLOBAL__N_18offset_tEEE10hipError_tPvRmT1_PNSt15iterator_traitsISZ_E10value_typeET2_T3_PNS10_IS15_E10value_typeET4_jRbjT5_S1B_jjP12ihipStream_tbEUljE_EEESW_SX_SY_S15_S19_S1B_T6_T7_T9_mT8_S1D_bDpT10_ENKUlT_T0_E_clISt17integral_constantIbLb1EES1Q_EEDaS1L_S1M_EUlS1L_E_NS1_11comp_targetILNS1_3genE9ELNS1_11target_archE1100ELNS1_3gpuE3ELNS1_3repE0EEENS1_30default_config_static_selectorELNS0_4arch9wavefront6targetE0EEEvSZ_.num_agpr, 0
	.set _ZN7rocprim17ROCPRIM_400000_NS6detail17trampoline_kernelINS0_13select_configILj256ELj13ELNS0_17block_load_methodE3ELS4_3ELS4_3ELNS0_20block_scan_algorithmE0ELj4294967295EEENS1_25partition_config_selectorILNS1_17partition_subalgoE3EjNS0_10empty_typeEbEEZZNS1_14partition_implILS8_3ELb0ES6_jNS0_17counting_iteratorIjlEEPS9_SE_NS0_5tupleIJPjSE_EEENSF_IJSE_SE_EEES9_SG_JZNS1_25segmented_radix_sort_implINS0_14default_configELb1EPK6__halfPSL_PKlPlN2at6native12_GLOBAL__N_18offset_tEEE10hipError_tPvRmT1_PNSt15iterator_traitsISZ_E10value_typeET2_T3_PNS10_IS15_E10value_typeET4_jRbjT5_S1B_jjP12ihipStream_tbEUljE_EEESW_SX_SY_S15_S19_S1B_T6_T7_T9_mT8_S1D_bDpT10_ENKUlT_T0_E_clISt17integral_constantIbLb1EES1Q_EEDaS1L_S1M_EUlS1L_E_NS1_11comp_targetILNS1_3genE9ELNS1_11target_archE1100ELNS1_3gpuE3ELNS1_3repE0EEENS1_30default_config_static_selectorELNS0_4arch9wavefront6targetE0EEEvSZ_.numbered_sgpr, 0
	.set _ZN7rocprim17ROCPRIM_400000_NS6detail17trampoline_kernelINS0_13select_configILj256ELj13ELNS0_17block_load_methodE3ELS4_3ELS4_3ELNS0_20block_scan_algorithmE0ELj4294967295EEENS1_25partition_config_selectorILNS1_17partition_subalgoE3EjNS0_10empty_typeEbEEZZNS1_14partition_implILS8_3ELb0ES6_jNS0_17counting_iteratorIjlEEPS9_SE_NS0_5tupleIJPjSE_EEENSF_IJSE_SE_EEES9_SG_JZNS1_25segmented_radix_sort_implINS0_14default_configELb1EPK6__halfPSL_PKlPlN2at6native12_GLOBAL__N_18offset_tEEE10hipError_tPvRmT1_PNSt15iterator_traitsISZ_E10value_typeET2_T3_PNS10_IS15_E10value_typeET4_jRbjT5_S1B_jjP12ihipStream_tbEUljE_EEESW_SX_SY_S15_S19_S1B_T6_T7_T9_mT8_S1D_bDpT10_ENKUlT_T0_E_clISt17integral_constantIbLb1EES1Q_EEDaS1L_S1M_EUlS1L_E_NS1_11comp_targetILNS1_3genE9ELNS1_11target_archE1100ELNS1_3gpuE3ELNS1_3repE0EEENS1_30default_config_static_selectorELNS0_4arch9wavefront6targetE0EEEvSZ_.num_named_barrier, 0
	.set _ZN7rocprim17ROCPRIM_400000_NS6detail17trampoline_kernelINS0_13select_configILj256ELj13ELNS0_17block_load_methodE3ELS4_3ELS4_3ELNS0_20block_scan_algorithmE0ELj4294967295EEENS1_25partition_config_selectorILNS1_17partition_subalgoE3EjNS0_10empty_typeEbEEZZNS1_14partition_implILS8_3ELb0ES6_jNS0_17counting_iteratorIjlEEPS9_SE_NS0_5tupleIJPjSE_EEENSF_IJSE_SE_EEES9_SG_JZNS1_25segmented_radix_sort_implINS0_14default_configELb1EPK6__halfPSL_PKlPlN2at6native12_GLOBAL__N_18offset_tEEE10hipError_tPvRmT1_PNSt15iterator_traitsISZ_E10value_typeET2_T3_PNS10_IS15_E10value_typeET4_jRbjT5_S1B_jjP12ihipStream_tbEUljE_EEESW_SX_SY_S15_S19_S1B_T6_T7_T9_mT8_S1D_bDpT10_ENKUlT_T0_E_clISt17integral_constantIbLb1EES1Q_EEDaS1L_S1M_EUlS1L_E_NS1_11comp_targetILNS1_3genE9ELNS1_11target_archE1100ELNS1_3gpuE3ELNS1_3repE0EEENS1_30default_config_static_selectorELNS0_4arch9wavefront6targetE0EEEvSZ_.private_seg_size, 0
	.set _ZN7rocprim17ROCPRIM_400000_NS6detail17trampoline_kernelINS0_13select_configILj256ELj13ELNS0_17block_load_methodE3ELS4_3ELS4_3ELNS0_20block_scan_algorithmE0ELj4294967295EEENS1_25partition_config_selectorILNS1_17partition_subalgoE3EjNS0_10empty_typeEbEEZZNS1_14partition_implILS8_3ELb0ES6_jNS0_17counting_iteratorIjlEEPS9_SE_NS0_5tupleIJPjSE_EEENSF_IJSE_SE_EEES9_SG_JZNS1_25segmented_radix_sort_implINS0_14default_configELb1EPK6__halfPSL_PKlPlN2at6native12_GLOBAL__N_18offset_tEEE10hipError_tPvRmT1_PNSt15iterator_traitsISZ_E10value_typeET2_T3_PNS10_IS15_E10value_typeET4_jRbjT5_S1B_jjP12ihipStream_tbEUljE_EEESW_SX_SY_S15_S19_S1B_T6_T7_T9_mT8_S1D_bDpT10_ENKUlT_T0_E_clISt17integral_constantIbLb1EES1Q_EEDaS1L_S1M_EUlS1L_E_NS1_11comp_targetILNS1_3genE9ELNS1_11target_archE1100ELNS1_3gpuE3ELNS1_3repE0EEENS1_30default_config_static_selectorELNS0_4arch9wavefront6targetE0EEEvSZ_.uses_vcc, 0
	.set _ZN7rocprim17ROCPRIM_400000_NS6detail17trampoline_kernelINS0_13select_configILj256ELj13ELNS0_17block_load_methodE3ELS4_3ELS4_3ELNS0_20block_scan_algorithmE0ELj4294967295EEENS1_25partition_config_selectorILNS1_17partition_subalgoE3EjNS0_10empty_typeEbEEZZNS1_14partition_implILS8_3ELb0ES6_jNS0_17counting_iteratorIjlEEPS9_SE_NS0_5tupleIJPjSE_EEENSF_IJSE_SE_EEES9_SG_JZNS1_25segmented_radix_sort_implINS0_14default_configELb1EPK6__halfPSL_PKlPlN2at6native12_GLOBAL__N_18offset_tEEE10hipError_tPvRmT1_PNSt15iterator_traitsISZ_E10value_typeET2_T3_PNS10_IS15_E10value_typeET4_jRbjT5_S1B_jjP12ihipStream_tbEUljE_EEESW_SX_SY_S15_S19_S1B_T6_T7_T9_mT8_S1D_bDpT10_ENKUlT_T0_E_clISt17integral_constantIbLb1EES1Q_EEDaS1L_S1M_EUlS1L_E_NS1_11comp_targetILNS1_3genE9ELNS1_11target_archE1100ELNS1_3gpuE3ELNS1_3repE0EEENS1_30default_config_static_selectorELNS0_4arch9wavefront6targetE0EEEvSZ_.uses_flat_scratch, 0
	.set _ZN7rocprim17ROCPRIM_400000_NS6detail17trampoline_kernelINS0_13select_configILj256ELj13ELNS0_17block_load_methodE3ELS4_3ELS4_3ELNS0_20block_scan_algorithmE0ELj4294967295EEENS1_25partition_config_selectorILNS1_17partition_subalgoE3EjNS0_10empty_typeEbEEZZNS1_14partition_implILS8_3ELb0ES6_jNS0_17counting_iteratorIjlEEPS9_SE_NS0_5tupleIJPjSE_EEENSF_IJSE_SE_EEES9_SG_JZNS1_25segmented_radix_sort_implINS0_14default_configELb1EPK6__halfPSL_PKlPlN2at6native12_GLOBAL__N_18offset_tEEE10hipError_tPvRmT1_PNSt15iterator_traitsISZ_E10value_typeET2_T3_PNS10_IS15_E10value_typeET4_jRbjT5_S1B_jjP12ihipStream_tbEUljE_EEESW_SX_SY_S15_S19_S1B_T6_T7_T9_mT8_S1D_bDpT10_ENKUlT_T0_E_clISt17integral_constantIbLb1EES1Q_EEDaS1L_S1M_EUlS1L_E_NS1_11comp_targetILNS1_3genE9ELNS1_11target_archE1100ELNS1_3gpuE3ELNS1_3repE0EEENS1_30default_config_static_selectorELNS0_4arch9wavefront6targetE0EEEvSZ_.has_dyn_sized_stack, 0
	.set _ZN7rocprim17ROCPRIM_400000_NS6detail17trampoline_kernelINS0_13select_configILj256ELj13ELNS0_17block_load_methodE3ELS4_3ELS4_3ELNS0_20block_scan_algorithmE0ELj4294967295EEENS1_25partition_config_selectorILNS1_17partition_subalgoE3EjNS0_10empty_typeEbEEZZNS1_14partition_implILS8_3ELb0ES6_jNS0_17counting_iteratorIjlEEPS9_SE_NS0_5tupleIJPjSE_EEENSF_IJSE_SE_EEES9_SG_JZNS1_25segmented_radix_sort_implINS0_14default_configELb1EPK6__halfPSL_PKlPlN2at6native12_GLOBAL__N_18offset_tEEE10hipError_tPvRmT1_PNSt15iterator_traitsISZ_E10value_typeET2_T3_PNS10_IS15_E10value_typeET4_jRbjT5_S1B_jjP12ihipStream_tbEUljE_EEESW_SX_SY_S15_S19_S1B_T6_T7_T9_mT8_S1D_bDpT10_ENKUlT_T0_E_clISt17integral_constantIbLb1EES1Q_EEDaS1L_S1M_EUlS1L_E_NS1_11comp_targetILNS1_3genE9ELNS1_11target_archE1100ELNS1_3gpuE3ELNS1_3repE0EEENS1_30default_config_static_selectorELNS0_4arch9wavefront6targetE0EEEvSZ_.has_recursion, 0
	.set _ZN7rocprim17ROCPRIM_400000_NS6detail17trampoline_kernelINS0_13select_configILj256ELj13ELNS0_17block_load_methodE3ELS4_3ELS4_3ELNS0_20block_scan_algorithmE0ELj4294967295EEENS1_25partition_config_selectorILNS1_17partition_subalgoE3EjNS0_10empty_typeEbEEZZNS1_14partition_implILS8_3ELb0ES6_jNS0_17counting_iteratorIjlEEPS9_SE_NS0_5tupleIJPjSE_EEENSF_IJSE_SE_EEES9_SG_JZNS1_25segmented_radix_sort_implINS0_14default_configELb1EPK6__halfPSL_PKlPlN2at6native12_GLOBAL__N_18offset_tEEE10hipError_tPvRmT1_PNSt15iterator_traitsISZ_E10value_typeET2_T3_PNS10_IS15_E10value_typeET4_jRbjT5_S1B_jjP12ihipStream_tbEUljE_EEESW_SX_SY_S15_S19_S1B_T6_T7_T9_mT8_S1D_bDpT10_ENKUlT_T0_E_clISt17integral_constantIbLb1EES1Q_EEDaS1L_S1M_EUlS1L_E_NS1_11comp_targetILNS1_3genE9ELNS1_11target_archE1100ELNS1_3gpuE3ELNS1_3repE0EEENS1_30default_config_static_selectorELNS0_4arch9wavefront6targetE0EEEvSZ_.has_indirect_call, 0
	.section	.AMDGPU.csdata,"",@progbits
; Kernel info:
; codeLenInByte = 0
; TotalNumSgprs: 0
; NumVgprs: 0
; ScratchSize: 0
; MemoryBound: 0
; FloatMode: 240
; IeeeMode: 1
; LDSByteSize: 0 bytes/workgroup (compile time only)
; SGPRBlocks: 0
; VGPRBlocks: 0
; NumSGPRsForWavesPerEU: 1
; NumVGPRsForWavesPerEU: 1
; Occupancy: 16
; WaveLimiterHint : 0
; COMPUTE_PGM_RSRC2:SCRATCH_EN: 0
; COMPUTE_PGM_RSRC2:USER_SGPR: 6
; COMPUTE_PGM_RSRC2:TRAP_HANDLER: 0
; COMPUTE_PGM_RSRC2:TGID_X_EN: 1
; COMPUTE_PGM_RSRC2:TGID_Y_EN: 0
; COMPUTE_PGM_RSRC2:TGID_Z_EN: 0
; COMPUTE_PGM_RSRC2:TIDIG_COMP_CNT: 0
	.section	.text._ZN7rocprim17ROCPRIM_400000_NS6detail17trampoline_kernelINS0_13select_configILj256ELj13ELNS0_17block_load_methodE3ELS4_3ELS4_3ELNS0_20block_scan_algorithmE0ELj4294967295EEENS1_25partition_config_selectorILNS1_17partition_subalgoE3EjNS0_10empty_typeEbEEZZNS1_14partition_implILS8_3ELb0ES6_jNS0_17counting_iteratorIjlEEPS9_SE_NS0_5tupleIJPjSE_EEENSF_IJSE_SE_EEES9_SG_JZNS1_25segmented_radix_sort_implINS0_14default_configELb1EPK6__halfPSL_PKlPlN2at6native12_GLOBAL__N_18offset_tEEE10hipError_tPvRmT1_PNSt15iterator_traitsISZ_E10value_typeET2_T3_PNS10_IS15_E10value_typeET4_jRbjT5_S1B_jjP12ihipStream_tbEUljE_EEESW_SX_SY_S15_S19_S1B_T6_T7_T9_mT8_S1D_bDpT10_ENKUlT_T0_E_clISt17integral_constantIbLb1EES1Q_EEDaS1L_S1M_EUlS1L_E_NS1_11comp_targetILNS1_3genE8ELNS1_11target_archE1030ELNS1_3gpuE2ELNS1_3repE0EEENS1_30default_config_static_selectorELNS0_4arch9wavefront6targetE0EEEvSZ_,"axG",@progbits,_ZN7rocprim17ROCPRIM_400000_NS6detail17trampoline_kernelINS0_13select_configILj256ELj13ELNS0_17block_load_methodE3ELS4_3ELS4_3ELNS0_20block_scan_algorithmE0ELj4294967295EEENS1_25partition_config_selectorILNS1_17partition_subalgoE3EjNS0_10empty_typeEbEEZZNS1_14partition_implILS8_3ELb0ES6_jNS0_17counting_iteratorIjlEEPS9_SE_NS0_5tupleIJPjSE_EEENSF_IJSE_SE_EEES9_SG_JZNS1_25segmented_radix_sort_implINS0_14default_configELb1EPK6__halfPSL_PKlPlN2at6native12_GLOBAL__N_18offset_tEEE10hipError_tPvRmT1_PNSt15iterator_traitsISZ_E10value_typeET2_T3_PNS10_IS15_E10value_typeET4_jRbjT5_S1B_jjP12ihipStream_tbEUljE_EEESW_SX_SY_S15_S19_S1B_T6_T7_T9_mT8_S1D_bDpT10_ENKUlT_T0_E_clISt17integral_constantIbLb1EES1Q_EEDaS1L_S1M_EUlS1L_E_NS1_11comp_targetILNS1_3genE8ELNS1_11target_archE1030ELNS1_3gpuE2ELNS1_3repE0EEENS1_30default_config_static_selectorELNS0_4arch9wavefront6targetE0EEEvSZ_,comdat
	.globl	_ZN7rocprim17ROCPRIM_400000_NS6detail17trampoline_kernelINS0_13select_configILj256ELj13ELNS0_17block_load_methodE3ELS4_3ELS4_3ELNS0_20block_scan_algorithmE0ELj4294967295EEENS1_25partition_config_selectorILNS1_17partition_subalgoE3EjNS0_10empty_typeEbEEZZNS1_14partition_implILS8_3ELb0ES6_jNS0_17counting_iteratorIjlEEPS9_SE_NS0_5tupleIJPjSE_EEENSF_IJSE_SE_EEES9_SG_JZNS1_25segmented_radix_sort_implINS0_14default_configELb1EPK6__halfPSL_PKlPlN2at6native12_GLOBAL__N_18offset_tEEE10hipError_tPvRmT1_PNSt15iterator_traitsISZ_E10value_typeET2_T3_PNS10_IS15_E10value_typeET4_jRbjT5_S1B_jjP12ihipStream_tbEUljE_EEESW_SX_SY_S15_S19_S1B_T6_T7_T9_mT8_S1D_bDpT10_ENKUlT_T0_E_clISt17integral_constantIbLb1EES1Q_EEDaS1L_S1M_EUlS1L_E_NS1_11comp_targetILNS1_3genE8ELNS1_11target_archE1030ELNS1_3gpuE2ELNS1_3repE0EEENS1_30default_config_static_selectorELNS0_4arch9wavefront6targetE0EEEvSZ_ ; -- Begin function _ZN7rocprim17ROCPRIM_400000_NS6detail17trampoline_kernelINS0_13select_configILj256ELj13ELNS0_17block_load_methodE3ELS4_3ELS4_3ELNS0_20block_scan_algorithmE0ELj4294967295EEENS1_25partition_config_selectorILNS1_17partition_subalgoE3EjNS0_10empty_typeEbEEZZNS1_14partition_implILS8_3ELb0ES6_jNS0_17counting_iteratorIjlEEPS9_SE_NS0_5tupleIJPjSE_EEENSF_IJSE_SE_EEES9_SG_JZNS1_25segmented_radix_sort_implINS0_14default_configELb1EPK6__halfPSL_PKlPlN2at6native12_GLOBAL__N_18offset_tEEE10hipError_tPvRmT1_PNSt15iterator_traitsISZ_E10value_typeET2_T3_PNS10_IS15_E10value_typeET4_jRbjT5_S1B_jjP12ihipStream_tbEUljE_EEESW_SX_SY_S15_S19_S1B_T6_T7_T9_mT8_S1D_bDpT10_ENKUlT_T0_E_clISt17integral_constantIbLb1EES1Q_EEDaS1L_S1M_EUlS1L_E_NS1_11comp_targetILNS1_3genE8ELNS1_11target_archE1030ELNS1_3gpuE2ELNS1_3repE0EEENS1_30default_config_static_selectorELNS0_4arch9wavefront6targetE0EEEvSZ_
	.p2align	8
	.type	_ZN7rocprim17ROCPRIM_400000_NS6detail17trampoline_kernelINS0_13select_configILj256ELj13ELNS0_17block_load_methodE3ELS4_3ELS4_3ELNS0_20block_scan_algorithmE0ELj4294967295EEENS1_25partition_config_selectorILNS1_17partition_subalgoE3EjNS0_10empty_typeEbEEZZNS1_14partition_implILS8_3ELb0ES6_jNS0_17counting_iteratorIjlEEPS9_SE_NS0_5tupleIJPjSE_EEENSF_IJSE_SE_EEES9_SG_JZNS1_25segmented_radix_sort_implINS0_14default_configELb1EPK6__halfPSL_PKlPlN2at6native12_GLOBAL__N_18offset_tEEE10hipError_tPvRmT1_PNSt15iterator_traitsISZ_E10value_typeET2_T3_PNS10_IS15_E10value_typeET4_jRbjT5_S1B_jjP12ihipStream_tbEUljE_EEESW_SX_SY_S15_S19_S1B_T6_T7_T9_mT8_S1D_bDpT10_ENKUlT_T0_E_clISt17integral_constantIbLb1EES1Q_EEDaS1L_S1M_EUlS1L_E_NS1_11comp_targetILNS1_3genE8ELNS1_11target_archE1030ELNS1_3gpuE2ELNS1_3repE0EEENS1_30default_config_static_selectorELNS0_4arch9wavefront6targetE0EEEvSZ_,@function
_ZN7rocprim17ROCPRIM_400000_NS6detail17trampoline_kernelINS0_13select_configILj256ELj13ELNS0_17block_load_methodE3ELS4_3ELS4_3ELNS0_20block_scan_algorithmE0ELj4294967295EEENS1_25partition_config_selectorILNS1_17partition_subalgoE3EjNS0_10empty_typeEbEEZZNS1_14partition_implILS8_3ELb0ES6_jNS0_17counting_iteratorIjlEEPS9_SE_NS0_5tupleIJPjSE_EEENSF_IJSE_SE_EEES9_SG_JZNS1_25segmented_radix_sort_implINS0_14default_configELb1EPK6__halfPSL_PKlPlN2at6native12_GLOBAL__N_18offset_tEEE10hipError_tPvRmT1_PNSt15iterator_traitsISZ_E10value_typeET2_T3_PNS10_IS15_E10value_typeET4_jRbjT5_S1B_jjP12ihipStream_tbEUljE_EEESW_SX_SY_S15_S19_S1B_T6_T7_T9_mT8_S1D_bDpT10_ENKUlT_T0_E_clISt17integral_constantIbLb1EES1Q_EEDaS1L_S1M_EUlS1L_E_NS1_11comp_targetILNS1_3genE8ELNS1_11target_archE1030ELNS1_3gpuE2ELNS1_3repE0EEENS1_30default_config_static_selectorELNS0_4arch9wavefront6targetE0EEEvSZ_: ; @_ZN7rocprim17ROCPRIM_400000_NS6detail17trampoline_kernelINS0_13select_configILj256ELj13ELNS0_17block_load_methodE3ELS4_3ELS4_3ELNS0_20block_scan_algorithmE0ELj4294967295EEENS1_25partition_config_selectorILNS1_17partition_subalgoE3EjNS0_10empty_typeEbEEZZNS1_14partition_implILS8_3ELb0ES6_jNS0_17counting_iteratorIjlEEPS9_SE_NS0_5tupleIJPjSE_EEENSF_IJSE_SE_EEES9_SG_JZNS1_25segmented_radix_sort_implINS0_14default_configELb1EPK6__halfPSL_PKlPlN2at6native12_GLOBAL__N_18offset_tEEE10hipError_tPvRmT1_PNSt15iterator_traitsISZ_E10value_typeET2_T3_PNS10_IS15_E10value_typeET4_jRbjT5_S1B_jjP12ihipStream_tbEUljE_EEESW_SX_SY_S15_S19_S1B_T6_T7_T9_mT8_S1D_bDpT10_ENKUlT_T0_E_clISt17integral_constantIbLb1EES1Q_EEDaS1L_S1M_EUlS1L_E_NS1_11comp_targetILNS1_3genE8ELNS1_11target_archE1030ELNS1_3gpuE2ELNS1_3repE0EEENS1_30default_config_static_selectorELNS0_4arch9wavefront6targetE0EEEvSZ_
; %bb.0:
	s_endpgm
	.section	.rodata,"a",@progbits
	.p2align	6, 0x0
	.amdhsa_kernel _ZN7rocprim17ROCPRIM_400000_NS6detail17trampoline_kernelINS0_13select_configILj256ELj13ELNS0_17block_load_methodE3ELS4_3ELS4_3ELNS0_20block_scan_algorithmE0ELj4294967295EEENS1_25partition_config_selectorILNS1_17partition_subalgoE3EjNS0_10empty_typeEbEEZZNS1_14partition_implILS8_3ELb0ES6_jNS0_17counting_iteratorIjlEEPS9_SE_NS0_5tupleIJPjSE_EEENSF_IJSE_SE_EEES9_SG_JZNS1_25segmented_radix_sort_implINS0_14default_configELb1EPK6__halfPSL_PKlPlN2at6native12_GLOBAL__N_18offset_tEEE10hipError_tPvRmT1_PNSt15iterator_traitsISZ_E10value_typeET2_T3_PNS10_IS15_E10value_typeET4_jRbjT5_S1B_jjP12ihipStream_tbEUljE_EEESW_SX_SY_S15_S19_S1B_T6_T7_T9_mT8_S1D_bDpT10_ENKUlT_T0_E_clISt17integral_constantIbLb1EES1Q_EEDaS1L_S1M_EUlS1L_E_NS1_11comp_targetILNS1_3genE8ELNS1_11target_archE1030ELNS1_3gpuE2ELNS1_3repE0EEENS1_30default_config_static_selectorELNS0_4arch9wavefront6targetE0EEEvSZ_
		.amdhsa_group_segment_fixed_size 0
		.amdhsa_private_segment_fixed_size 0
		.amdhsa_kernarg_size 152
		.amdhsa_user_sgpr_count 6
		.amdhsa_user_sgpr_private_segment_buffer 1
		.amdhsa_user_sgpr_dispatch_ptr 0
		.amdhsa_user_sgpr_queue_ptr 0
		.amdhsa_user_sgpr_kernarg_segment_ptr 1
		.amdhsa_user_sgpr_dispatch_id 0
		.amdhsa_user_sgpr_flat_scratch_init 0
		.amdhsa_user_sgpr_private_segment_size 0
		.amdhsa_wavefront_size32 1
		.amdhsa_uses_dynamic_stack 0
		.amdhsa_system_sgpr_private_segment_wavefront_offset 0
		.amdhsa_system_sgpr_workgroup_id_x 1
		.amdhsa_system_sgpr_workgroup_id_y 0
		.amdhsa_system_sgpr_workgroup_id_z 0
		.amdhsa_system_sgpr_workgroup_info 0
		.amdhsa_system_vgpr_workitem_id 0
		.amdhsa_next_free_vgpr 1
		.amdhsa_next_free_sgpr 1
		.amdhsa_reserve_vcc 0
		.amdhsa_reserve_flat_scratch 0
		.amdhsa_float_round_mode_32 0
		.amdhsa_float_round_mode_16_64 0
		.amdhsa_float_denorm_mode_32 3
		.amdhsa_float_denorm_mode_16_64 3
		.amdhsa_dx10_clamp 1
		.amdhsa_ieee_mode 1
		.amdhsa_fp16_overflow 0
		.amdhsa_workgroup_processor_mode 1
		.amdhsa_memory_ordered 1
		.amdhsa_forward_progress 1
		.amdhsa_shared_vgpr_count 0
		.amdhsa_exception_fp_ieee_invalid_op 0
		.amdhsa_exception_fp_denorm_src 0
		.amdhsa_exception_fp_ieee_div_zero 0
		.amdhsa_exception_fp_ieee_overflow 0
		.amdhsa_exception_fp_ieee_underflow 0
		.amdhsa_exception_fp_ieee_inexact 0
		.amdhsa_exception_int_div_zero 0
	.end_amdhsa_kernel
	.section	.text._ZN7rocprim17ROCPRIM_400000_NS6detail17trampoline_kernelINS0_13select_configILj256ELj13ELNS0_17block_load_methodE3ELS4_3ELS4_3ELNS0_20block_scan_algorithmE0ELj4294967295EEENS1_25partition_config_selectorILNS1_17partition_subalgoE3EjNS0_10empty_typeEbEEZZNS1_14partition_implILS8_3ELb0ES6_jNS0_17counting_iteratorIjlEEPS9_SE_NS0_5tupleIJPjSE_EEENSF_IJSE_SE_EEES9_SG_JZNS1_25segmented_radix_sort_implINS0_14default_configELb1EPK6__halfPSL_PKlPlN2at6native12_GLOBAL__N_18offset_tEEE10hipError_tPvRmT1_PNSt15iterator_traitsISZ_E10value_typeET2_T3_PNS10_IS15_E10value_typeET4_jRbjT5_S1B_jjP12ihipStream_tbEUljE_EEESW_SX_SY_S15_S19_S1B_T6_T7_T9_mT8_S1D_bDpT10_ENKUlT_T0_E_clISt17integral_constantIbLb1EES1Q_EEDaS1L_S1M_EUlS1L_E_NS1_11comp_targetILNS1_3genE8ELNS1_11target_archE1030ELNS1_3gpuE2ELNS1_3repE0EEENS1_30default_config_static_selectorELNS0_4arch9wavefront6targetE0EEEvSZ_,"axG",@progbits,_ZN7rocprim17ROCPRIM_400000_NS6detail17trampoline_kernelINS0_13select_configILj256ELj13ELNS0_17block_load_methodE3ELS4_3ELS4_3ELNS0_20block_scan_algorithmE0ELj4294967295EEENS1_25partition_config_selectorILNS1_17partition_subalgoE3EjNS0_10empty_typeEbEEZZNS1_14partition_implILS8_3ELb0ES6_jNS0_17counting_iteratorIjlEEPS9_SE_NS0_5tupleIJPjSE_EEENSF_IJSE_SE_EEES9_SG_JZNS1_25segmented_radix_sort_implINS0_14default_configELb1EPK6__halfPSL_PKlPlN2at6native12_GLOBAL__N_18offset_tEEE10hipError_tPvRmT1_PNSt15iterator_traitsISZ_E10value_typeET2_T3_PNS10_IS15_E10value_typeET4_jRbjT5_S1B_jjP12ihipStream_tbEUljE_EEESW_SX_SY_S15_S19_S1B_T6_T7_T9_mT8_S1D_bDpT10_ENKUlT_T0_E_clISt17integral_constantIbLb1EES1Q_EEDaS1L_S1M_EUlS1L_E_NS1_11comp_targetILNS1_3genE8ELNS1_11target_archE1030ELNS1_3gpuE2ELNS1_3repE0EEENS1_30default_config_static_selectorELNS0_4arch9wavefront6targetE0EEEvSZ_,comdat
.Lfunc_end1712:
	.size	_ZN7rocprim17ROCPRIM_400000_NS6detail17trampoline_kernelINS0_13select_configILj256ELj13ELNS0_17block_load_methodE3ELS4_3ELS4_3ELNS0_20block_scan_algorithmE0ELj4294967295EEENS1_25partition_config_selectorILNS1_17partition_subalgoE3EjNS0_10empty_typeEbEEZZNS1_14partition_implILS8_3ELb0ES6_jNS0_17counting_iteratorIjlEEPS9_SE_NS0_5tupleIJPjSE_EEENSF_IJSE_SE_EEES9_SG_JZNS1_25segmented_radix_sort_implINS0_14default_configELb1EPK6__halfPSL_PKlPlN2at6native12_GLOBAL__N_18offset_tEEE10hipError_tPvRmT1_PNSt15iterator_traitsISZ_E10value_typeET2_T3_PNS10_IS15_E10value_typeET4_jRbjT5_S1B_jjP12ihipStream_tbEUljE_EEESW_SX_SY_S15_S19_S1B_T6_T7_T9_mT8_S1D_bDpT10_ENKUlT_T0_E_clISt17integral_constantIbLb1EES1Q_EEDaS1L_S1M_EUlS1L_E_NS1_11comp_targetILNS1_3genE8ELNS1_11target_archE1030ELNS1_3gpuE2ELNS1_3repE0EEENS1_30default_config_static_selectorELNS0_4arch9wavefront6targetE0EEEvSZ_, .Lfunc_end1712-_ZN7rocprim17ROCPRIM_400000_NS6detail17trampoline_kernelINS0_13select_configILj256ELj13ELNS0_17block_load_methodE3ELS4_3ELS4_3ELNS0_20block_scan_algorithmE0ELj4294967295EEENS1_25partition_config_selectorILNS1_17partition_subalgoE3EjNS0_10empty_typeEbEEZZNS1_14partition_implILS8_3ELb0ES6_jNS0_17counting_iteratorIjlEEPS9_SE_NS0_5tupleIJPjSE_EEENSF_IJSE_SE_EEES9_SG_JZNS1_25segmented_radix_sort_implINS0_14default_configELb1EPK6__halfPSL_PKlPlN2at6native12_GLOBAL__N_18offset_tEEE10hipError_tPvRmT1_PNSt15iterator_traitsISZ_E10value_typeET2_T3_PNS10_IS15_E10value_typeET4_jRbjT5_S1B_jjP12ihipStream_tbEUljE_EEESW_SX_SY_S15_S19_S1B_T6_T7_T9_mT8_S1D_bDpT10_ENKUlT_T0_E_clISt17integral_constantIbLb1EES1Q_EEDaS1L_S1M_EUlS1L_E_NS1_11comp_targetILNS1_3genE8ELNS1_11target_archE1030ELNS1_3gpuE2ELNS1_3repE0EEENS1_30default_config_static_selectorELNS0_4arch9wavefront6targetE0EEEvSZ_
                                        ; -- End function
	.set _ZN7rocprim17ROCPRIM_400000_NS6detail17trampoline_kernelINS0_13select_configILj256ELj13ELNS0_17block_load_methodE3ELS4_3ELS4_3ELNS0_20block_scan_algorithmE0ELj4294967295EEENS1_25partition_config_selectorILNS1_17partition_subalgoE3EjNS0_10empty_typeEbEEZZNS1_14partition_implILS8_3ELb0ES6_jNS0_17counting_iteratorIjlEEPS9_SE_NS0_5tupleIJPjSE_EEENSF_IJSE_SE_EEES9_SG_JZNS1_25segmented_radix_sort_implINS0_14default_configELb1EPK6__halfPSL_PKlPlN2at6native12_GLOBAL__N_18offset_tEEE10hipError_tPvRmT1_PNSt15iterator_traitsISZ_E10value_typeET2_T3_PNS10_IS15_E10value_typeET4_jRbjT5_S1B_jjP12ihipStream_tbEUljE_EEESW_SX_SY_S15_S19_S1B_T6_T7_T9_mT8_S1D_bDpT10_ENKUlT_T0_E_clISt17integral_constantIbLb1EES1Q_EEDaS1L_S1M_EUlS1L_E_NS1_11comp_targetILNS1_3genE8ELNS1_11target_archE1030ELNS1_3gpuE2ELNS1_3repE0EEENS1_30default_config_static_selectorELNS0_4arch9wavefront6targetE0EEEvSZ_.num_vgpr, 0
	.set _ZN7rocprim17ROCPRIM_400000_NS6detail17trampoline_kernelINS0_13select_configILj256ELj13ELNS0_17block_load_methodE3ELS4_3ELS4_3ELNS0_20block_scan_algorithmE0ELj4294967295EEENS1_25partition_config_selectorILNS1_17partition_subalgoE3EjNS0_10empty_typeEbEEZZNS1_14partition_implILS8_3ELb0ES6_jNS0_17counting_iteratorIjlEEPS9_SE_NS0_5tupleIJPjSE_EEENSF_IJSE_SE_EEES9_SG_JZNS1_25segmented_radix_sort_implINS0_14default_configELb1EPK6__halfPSL_PKlPlN2at6native12_GLOBAL__N_18offset_tEEE10hipError_tPvRmT1_PNSt15iterator_traitsISZ_E10value_typeET2_T3_PNS10_IS15_E10value_typeET4_jRbjT5_S1B_jjP12ihipStream_tbEUljE_EEESW_SX_SY_S15_S19_S1B_T6_T7_T9_mT8_S1D_bDpT10_ENKUlT_T0_E_clISt17integral_constantIbLb1EES1Q_EEDaS1L_S1M_EUlS1L_E_NS1_11comp_targetILNS1_3genE8ELNS1_11target_archE1030ELNS1_3gpuE2ELNS1_3repE0EEENS1_30default_config_static_selectorELNS0_4arch9wavefront6targetE0EEEvSZ_.num_agpr, 0
	.set _ZN7rocprim17ROCPRIM_400000_NS6detail17trampoline_kernelINS0_13select_configILj256ELj13ELNS0_17block_load_methodE3ELS4_3ELS4_3ELNS0_20block_scan_algorithmE0ELj4294967295EEENS1_25partition_config_selectorILNS1_17partition_subalgoE3EjNS0_10empty_typeEbEEZZNS1_14partition_implILS8_3ELb0ES6_jNS0_17counting_iteratorIjlEEPS9_SE_NS0_5tupleIJPjSE_EEENSF_IJSE_SE_EEES9_SG_JZNS1_25segmented_radix_sort_implINS0_14default_configELb1EPK6__halfPSL_PKlPlN2at6native12_GLOBAL__N_18offset_tEEE10hipError_tPvRmT1_PNSt15iterator_traitsISZ_E10value_typeET2_T3_PNS10_IS15_E10value_typeET4_jRbjT5_S1B_jjP12ihipStream_tbEUljE_EEESW_SX_SY_S15_S19_S1B_T6_T7_T9_mT8_S1D_bDpT10_ENKUlT_T0_E_clISt17integral_constantIbLb1EES1Q_EEDaS1L_S1M_EUlS1L_E_NS1_11comp_targetILNS1_3genE8ELNS1_11target_archE1030ELNS1_3gpuE2ELNS1_3repE0EEENS1_30default_config_static_selectorELNS0_4arch9wavefront6targetE0EEEvSZ_.numbered_sgpr, 0
	.set _ZN7rocprim17ROCPRIM_400000_NS6detail17trampoline_kernelINS0_13select_configILj256ELj13ELNS0_17block_load_methodE3ELS4_3ELS4_3ELNS0_20block_scan_algorithmE0ELj4294967295EEENS1_25partition_config_selectorILNS1_17partition_subalgoE3EjNS0_10empty_typeEbEEZZNS1_14partition_implILS8_3ELb0ES6_jNS0_17counting_iteratorIjlEEPS9_SE_NS0_5tupleIJPjSE_EEENSF_IJSE_SE_EEES9_SG_JZNS1_25segmented_radix_sort_implINS0_14default_configELb1EPK6__halfPSL_PKlPlN2at6native12_GLOBAL__N_18offset_tEEE10hipError_tPvRmT1_PNSt15iterator_traitsISZ_E10value_typeET2_T3_PNS10_IS15_E10value_typeET4_jRbjT5_S1B_jjP12ihipStream_tbEUljE_EEESW_SX_SY_S15_S19_S1B_T6_T7_T9_mT8_S1D_bDpT10_ENKUlT_T0_E_clISt17integral_constantIbLb1EES1Q_EEDaS1L_S1M_EUlS1L_E_NS1_11comp_targetILNS1_3genE8ELNS1_11target_archE1030ELNS1_3gpuE2ELNS1_3repE0EEENS1_30default_config_static_selectorELNS0_4arch9wavefront6targetE0EEEvSZ_.num_named_barrier, 0
	.set _ZN7rocprim17ROCPRIM_400000_NS6detail17trampoline_kernelINS0_13select_configILj256ELj13ELNS0_17block_load_methodE3ELS4_3ELS4_3ELNS0_20block_scan_algorithmE0ELj4294967295EEENS1_25partition_config_selectorILNS1_17partition_subalgoE3EjNS0_10empty_typeEbEEZZNS1_14partition_implILS8_3ELb0ES6_jNS0_17counting_iteratorIjlEEPS9_SE_NS0_5tupleIJPjSE_EEENSF_IJSE_SE_EEES9_SG_JZNS1_25segmented_radix_sort_implINS0_14default_configELb1EPK6__halfPSL_PKlPlN2at6native12_GLOBAL__N_18offset_tEEE10hipError_tPvRmT1_PNSt15iterator_traitsISZ_E10value_typeET2_T3_PNS10_IS15_E10value_typeET4_jRbjT5_S1B_jjP12ihipStream_tbEUljE_EEESW_SX_SY_S15_S19_S1B_T6_T7_T9_mT8_S1D_bDpT10_ENKUlT_T0_E_clISt17integral_constantIbLb1EES1Q_EEDaS1L_S1M_EUlS1L_E_NS1_11comp_targetILNS1_3genE8ELNS1_11target_archE1030ELNS1_3gpuE2ELNS1_3repE0EEENS1_30default_config_static_selectorELNS0_4arch9wavefront6targetE0EEEvSZ_.private_seg_size, 0
	.set _ZN7rocprim17ROCPRIM_400000_NS6detail17trampoline_kernelINS0_13select_configILj256ELj13ELNS0_17block_load_methodE3ELS4_3ELS4_3ELNS0_20block_scan_algorithmE0ELj4294967295EEENS1_25partition_config_selectorILNS1_17partition_subalgoE3EjNS0_10empty_typeEbEEZZNS1_14partition_implILS8_3ELb0ES6_jNS0_17counting_iteratorIjlEEPS9_SE_NS0_5tupleIJPjSE_EEENSF_IJSE_SE_EEES9_SG_JZNS1_25segmented_radix_sort_implINS0_14default_configELb1EPK6__halfPSL_PKlPlN2at6native12_GLOBAL__N_18offset_tEEE10hipError_tPvRmT1_PNSt15iterator_traitsISZ_E10value_typeET2_T3_PNS10_IS15_E10value_typeET4_jRbjT5_S1B_jjP12ihipStream_tbEUljE_EEESW_SX_SY_S15_S19_S1B_T6_T7_T9_mT8_S1D_bDpT10_ENKUlT_T0_E_clISt17integral_constantIbLb1EES1Q_EEDaS1L_S1M_EUlS1L_E_NS1_11comp_targetILNS1_3genE8ELNS1_11target_archE1030ELNS1_3gpuE2ELNS1_3repE0EEENS1_30default_config_static_selectorELNS0_4arch9wavefront6targetE0EEEvSZ_.uses_vcc, 0
	.set _ZN7rocprim17ROCPRIM_400000_NS6detail17trampoline_kernelINS0_13select_configILj256ELj13ELNS0_17block_load_methodE3ELS4_3ELS4_3ELNS0_20block_scan_algorithmE0ELj4294967295EEENS1_25partition_config_selectorILNS1_17partition_subalgoE3EjNS0_10empty_typeEbEEZZNS1_14partition_implILS8_3ELb0ES6_jNS0_17counting_iteratorIjlEEPS9_SE_NS0_5tupleIJPjSE_EEENSF_IJSE_SE_EEES9_SG_JZNS1_25segmented_radix_sort_implINS0_14default_configELb1EPK6__halfPSL_PKlPlN2at6native12_GLOBAL__N_18offset_tEEE10hipError_tPvRmT1_PNSt15iterator_traitsISZ_E10value_typeET2_T3_PNS10_IS15_E10value_typeET4_jRbjT5_S1B_jjP12ihipStream_tbEUljE_EEESW_SX_SY_S15_S19_S1B_T6_T7_T9_mT8_S1D_bDpT10_ENKUlT_T0_E_clISt17integral_constantIbLb1EES1Q_EEDaS1L_S1M_EUlS1L_E_NS1_11comp_targetILNS1_3genE8ELNS1_11target_archE1030ELNS1_3gpuE2ELNS1_3repE0EEENS1_30default_config_static_selectorELNS0_4arch9wavefront6targetE0EEEvSZ_.uses_flat_scratch, 0
	.set _ZN7rocprim17ROCPRIM_400000_NS6detail17trampoline_kernelINS0_13select_configILj256ELj13ELNS0_17block_load_methodE3ELS4_3ELS4_3ELNS0_20block_scan_algorithmE0ELj4294967295EEENS1_25partition_config_selectorILNS1_17partition_subalgoE3EjNS0_10empty_typeEbEEZZNS1_14partition_implILS8_3ELb0ES6_jNS0_17counting_iteratorIjlEEPS9_SE_NS0_5tupleIJPjSE_EEENSF_IJSE_SE_EEES9_SG_JZNS1_25segmented_radix_sort_implINS0_14default_configELb1EPK6__halfPSL_PKlPlN2at6native12_GLOBAL__N_18offset_tEEE10hipError_tPvRmT1_PNSt15iterator_traitsISZ_E10value_typeET2_T3_PNS10_IS15_E10value_typeET4_jRbjT5_S1B_jjP12ihipStream_tbEUljE_EEESW_SX_SY_S15_S19_S1B_T6_T7_T9_mT8_S1D_bDpT10_ENKUlT_T0_E_clISt17integral_constantIbLb1EES1Q_EEDaS1L_S1M_EUlS1L_E_NS1_11comp_targetILNS1_3genE8ELNS1_11target_archE1030ELNS1_3gpuE2ELNS1_3repE0EEENS1_30default_config_static_selectorELNS0_4arch9wavefront6targetE0EEEvSZ_.has_dyn_sized_stack, 0
	.set _ZN7rocprim17ROCPRIM_400000_NS6detail17trampoline_kernelINS0_13select_configILj256ELj13ELNS0_17block_load_methodE3ELS4_3ELS4_3ELNS0_20block_scan_algorithmE0ELj4294967295EEENS1_25partition_config_selectorILNS1_17partition_subalgoE3EjNS0_10empty_typeEbEEZZNS1_14partition_implILS8_3ELb0ES6_jNS0_17counting_iteratorIjlEEPS9_SE_NS0_5tupleIJPjSE_EEENSF_IJSE_SE_EEES9_SG_JZNS1_25segmented_radix_sort_implINS0_14default_configELb1EPK6__halfPSL_PKlPlN2at6native12_GLOBAL__N_18offset_tEEE10hipError_tPvRmT1_PNSt15iterator_traitsISZ_E10value_typeET2_T3_PNS10_IS15_E10value_typeET4_jRbjT5_S1B_jjP12ihipStream_tbEUljE_EEESW_SX_SY_S15_S19_S1B_T6_T7_T9_mT8_S1D_bDpT10_ENKUlT_T0_E_clISt17integral_constantIbLb1EES1Q_EEDaS1L_S1M_EUlS1L_E_NS1_11comp_targetILNS1_3genE8ELNS1_11target_archE1030ELNS1_3gpuE2ELNS1_3repE0EEENS1_30default_config_static_selectorELNS0_4arch9wavefront6targetE0EEEvSZ_.has_recursion, 0
	.set _ZN7rocprim17ROCPRIM_400000_NS6detail17trampoline_kernelINS0_13select_configILj256ELj13ELNS0_17block_load_methodE3ELS4_3ELS4_3ELNS0_20block_scan_algorithmE0ELj4294967295EEENS1_25partition_config_selectorILNS1_17partition_subalgoE3EjNS0_10empty_typeEbEEZZNS1_14partition_implILS8_3ELb0ES6_jNS0_17counting_iteratorIjlEEPS9_SE_NS0_5tupleIJPjSE_EEENSF_IJSE_SE_EEES9_SG_JZNS1_25segmented_radix_sort_implINS0_14default_configELb1EPK6__halfPSL_PKlPlN2at6native12_GLOBAL__N_18offset_tEEE10hipError_tPvRmT1_PNSt15iterator_traitsISZ_E10value_typeET2_T3_PNS10_IS15_E10value_typeET4_jRbjT5_S1B_jjP12ihipStream_tbEUljE_EEESW_SX_SY_S15_S19_S1B_T6_T7_T9_mT8_S1D_bDpT10_ENKUlT_T0_E_clISt17integral_constantIbLb1EES1Q_EEDaS1L_S1M_EUlS1L_E_NS1_11comp_targetILNS1_3genE8ELNS1_11target_archE1030ELNS1_3gpuE2ELNS1_3repE0EEENS1_30default_config_static_selectorELNS0_4arch9wavefront6targetE0EEEvSZ_.has_indirect_call, 0
	.section	.AMDGPU.csdata,"",@progbits
; Kernel info:
; codeLenInByte = 4
; TotalNumSgprs: 0
; NumVgprs: 0
; ScratchSize: 0
; MemoryBound: 0
; FloatMode: 240
; IeeeMode: 1
; LDSByteSize: 0 bytes/workgroup (compile time only)
; SGPRBlocks: 0
; VGPRBlocks: 0
; NumSGPRsForWavesPerEU: 1
; NumVGPRsForWavesPerEU: 1
; Occupancy: 16
; WaveLimiterHint : 0
; COMPUTE_PGM_RSRC2:SCRATCH_EN: 0
; COMPUTE_PGM_RSRC2:USER_SGPR: 6
; COMPUTE_PGM_RSRC2:TRAP_HANDLER: 0
; COMPUTE_PGM_RSRC2:TGID_X_EN: 1
; COMPUTE_PGM_RSRC2:TGID_Y_EN: 0
; COMPUTE_PGM_RSRC2:TGID_Z_EN: 0
; COMPUTE_PGM_RSRC2:TIDIG_COMP_CNT: 0
	.section	.text._ZN7rocprim17ROCPRIM_400000_NS6detail17trampoline_kernelINS0_13select_configILj256ELj13ELNS0_17block_load_methodE3ELS4_3ELS4_3ELNS0_20block_scan_algorithmE0ELj4294967295EEENS1_25partition_config_selectorILNS1_17partition_subalgoE3EjNS0_10empty_typeEbEEZZNS1_14partition_implILS8_3ELb0ES6_jNS0_17counting_iteratorIjlEEPS9_SE_NS0_5tupleIJPjSE_EEENSF_IJSE_SE_EEES9_SG_JZNS1_25segmented_radix_sort_implINS0_14default_configELb1EPK6__halfPSL_PKlPlN2at6native12_GLOBAL__N_18offset_tEEE10hipError_tPvRmT1_PNSt15iterator_traitsISZ_E10value_typeET2_T3_PNS10_IS15_E10value_typeET4_jRbjT5_S1B_jjP12ihipStream_tbEUljE_EEESW_SX_SY_S15_S19_S1B_T6_T7_T9_mT8_S1D_bDpT10_ENKUlT_T0_E_clISt17integral_constantIbLb1EES1P_IbLb0EEEEDaS1L_S1M_EUlS1L_E_NS1_11comp_targetILNS1_3genE0ELNS1_11target_archE4294967295ELNS1_3gpuE0ELNS1_3repE0EEENS1_30default_config_static_selectorELNS0_4arch9wavefront6targetE0EEEvSZ_,"axG",@progbits,_ZN7rocprim17ROCPRIM_400000_NS6detail17trampoline_kernelINS0_13select_configILj256ELj13ELNS0_17block_load_methodE3ELS4_3ELS4_3ELNS0_20block_scan_algorithmE0ELj4294967295EEENS1_25partition_config_selectorILNS1_17partition_subalgoE3EjNS0_10empty_typeEbEEZZNS1_14partition_implILS8_3ELb0ES6_jNS0_17counting_iteratorIjlEEPS9_SE_NS0_5tupleIJPjSE_EEENSF_IJSE_SE_EEES9_SG_JZNS1_25segmented_radix_sort_implINS0_14default_configELb1EPK6__halfPSL_PKlPlN2at6native12_GLOBAL__N_18offset_tEEE10hipError_tPvRmT1_PNSt15iterator_traitsISZ_E10value_typeET2_T3_PNS10_IS15_E10value_typeET4_jRbjT5_S1B_jjP12ihipStream_tbEUljE_EEESW_SX_SY_S15_S19_S1B_T6_T7_T9_mT8_S1D_bDpT10_ENKUlT_T0_E_clISt17integral_constantIbLb1EES1P_IbLb0EEEEDaS1L_S1M_EUlS1L_E_NS1_11comp_targetILNS1_3genE0ELNS1_11target_archE4294967295ELNS1_3gpuE0ELNS1_3repE0EEENS1_30default_config_static_selectorELNS0_4arch9wavefront6targetE0EEEvSZ_,comdat
	.globl	_ZN7rocprim17ROCPRIM_400000_NS6detail17trampoline_kernelINS0_13select_configILj256ELj13ELNS0_17block_load_methodE3ELS4_3ELS4_3ELNS0_20block_scan_algorithmE0ELj4294967295EEENS1_25partition_config_selectorILNS1_17partition_subalgoE3EjNS0_10empty_typeEbEEZZNS1_14partition_implILS8_3ELb0ES6_jNS0_17counting_iteratorIjlEEPS9_SE_NS0_5tupleIJPjSE_EEENSF_IJSE_SE_EEES9_SG_JZNS1_25segmented_radix_sort_implINS0_14default_configELb1EPK6__halfPSL_PKlPlN2at6native12_GLOBAL__N_18offset_tEEE10hipError_tPvRmT1_PNSt15iterator_traitsISZ_E10value_typeET2_T3_PNS10_IS15_E10value_typeET4_jRbjT5_S1B_jjP12ihipStream_tbEUljE_EEESW_SX_SY_S15_S19_S1B_T6_T7_T9_mT8_S1D_bDpT10_ENKUlT_T0_E_clISt17integral_constantIbLb1EES1P_IbLb0EEEEDaS1L_S1M_EUlS1L_E_NS1_11comp_targetILNS1_3genE0ELNS1_11target_archE4294967295ELNS1_3gpuE0ELNS1_3repE0EEENS1_30default_config_static_selectorELNS0_4arch9wavefront6targetE0EEEvSZ_ ; -- Begin function _ZN7rocprim17ROCPRIM_400000_NS6detail17trampoline_kernelINS0_13select_configILj256ELj13ELNS0_17block_load_methodE3ELS4_3ELS4_3ELNS0_20block_scan_algorithmE0ELj4294967295EEENS1_25partition_config_selectorILNS1_17partition_subalgoE3EjNS0_10empty_typeEbEEZZNS1_14partition_implILS8_3ELb0ES6_jNS0_17counting_iteratorIjlEEPS9_SE_NS0_5tupleIJPjSE_EEENSF_IJSE_SE_EEES9_SG_JZNS1_25segmented_radix_sort_implINS0_14default_configELb1EPK6__halfPSL_PKlPlN2at6native12_GLOBAL__N_18offset_tEEE10hipError_tPvRmT1_PNSt15iterator_traitsISZ_E10value_typeET2_T3_PNS10_IS15_E10value_typeET4_jRbjT5_S1B_jjP12ihipStream_tbEUljE_EEESW_SX_SY_S15_S19_S1B_T6_T7_T9_mT8_S1D_bDpT10_ENKUlT_T0_E_clISt17integral_constantIbLb1EES1P_IbLb0EEEEDaS1L_S1M_EUlS1L_E_NS1_11comp_targetILNS1_3genE0ELNS1_11target_archE4294967295ELNS1_3gpuE0ELNS1_3repE0EEENS1_30default_config_static_selectorELNS0_4arch9wavefront6targetE0EEEvSZ_
	.p2align	8
	.type	_ZN7rocprim17ROCPRIM_400000_NS6detail17trampoline_kernelINS0_13select_configILj256ELj13ELNS0_17block_load_methodE3ELS4_3ELS4_3ELNS0_20block_scan_algorithmE0ELj4294967295EEENS1_25partition_config_selectorILNS1_17partition_subalgoE3EjNS0_10empty_typeEbEEZZNS1_14partition_implILS8_3ELb0ES6_jNS0_17counting_iteratorIjlEEPS9_SE_NS0_5tupleIJPjSE_EEENSF_IJSE_SE_EEES9_SG_JZNS1_25segmented_radix_sort_implINS0_14default_configELb1EPK6__halfPSL_PKlPlN2at6native12_GLOBAL__N_18offset_tEEE10hipError_tPvRmT1_PNSt15iterator_traitsISZ_E10value_typeET2_T3_PNS10_IS15_E10value_typeET4_jRbjT5_S1B_jjP12ihipStream_tbEUljE_EEESW_SX_SY_S15_S19_S1B_T6_T7_T9_mT8_S1D_bDpT10_ENKUlT_T0_E_clISt17integral_constantIbLb1EES1P_IbLb0EEEEDaS1L_S1M_EUlS1L_E_NS1_11comp_targetILNS1_3genE0ELNS1_11target_archE4294967295ELNS1_3gpuE0ELNS1_3repE0EEENS1_30default_config_static_selectorELNS0_4arch9wavefront6targetE0EEEvSZ_,@function
_ZN7rocprim17ROCPRIM_400000_NS6detail17trampoline_kernelINS0_13select_configILj256ELj13ELNS0_17block_load_methodE3ELS4_3ELS4_3ELNS0_20block_scan_algorithmE0ELj4294967295EEENS1_25partition_config_selectorILNS1_17partition_subalgoE3EjNS0_10empty_typeEbEEZZNS1_14partition_implILS8_3ELb0ES6_jNS0_17counting_iteratorIjlEEPS9_SE_NS0_5tupleIJPjSE_EEENSF_IJSE_SE_EEES9_SG_JZNS1_25segmented_radix_sort_implINS0_14default_configELb1EPK6__halfPSL_PKlPlN2at6native12_GLOBAL__N_18offset_tEEE10hipError_tPvRmT1_PNSt15iterator_traitsISZ_E10value_typeET2_T3_PNS10_IS15_E10value_typeET4_jRbjT5_S1B_jjP12ihipStream_tbEUljE_EEESW_SX_SY_S15_S19_S1B_T6_T7_T9_mT8_S1D_bDpT10_ENKUlT_T0_E_clISt17integral_constantIbLb1EES1P_IbLb0EEEEDaS1L_S1M_EUlS1L_E_NS1_11comp_targetILNS1_3genE0ELNS1_11target_archE4294967295ELNS1_3gpuE0ELNS1_3repE0EEENS1_30default_config_static_selectorELNS0_4arch9wavefront6targetE0EEEvSZ_: ; @_ZN7rocprim17ROCPRIM_400000_NS6detail17trampoline_kernelINS0_13select_configILj256ELj13ELNS0_17block_load_methodE3ELS4_3ELS4_3ELNS0_20block_scan_algorithmE0ELj4294967295EEENS1_25partition_config_selectorILNS1_17partition_subalgoE3EjNS0_10empty_typeEbEEZZNS1_14partition_implILS8_3ELb0ES6_jNS0_17counting_iteratorIjlEEPS9_SE_NS0_5tupleIJPjSE_EEENSF_IJSE_SE_EEES9_SG_JZNS1_25segmented_radix_sort_implINS0_14default_configELb1EPK6__halfPSL_PKlPlN2at6native12_GLOBAL__N_18offset_tEEE10hipError_tPvRmT1_PNSt15iterator_traitsISZ_E10value_typeET2_T3_PNS10_IS15_E10value_typeET4_jRbjT5_S1B_jjP12ihipStream_tbEUljE_EEESW_SX_SY_S15_S19_S1B_T6_T7_T9_mT8_S1D_bDpT10_ENKUlT_T0_E_clISt17integral_constantIbLb1EES1P_IbLb0EEEEDaS1L_S1M_EUlS1L_E_NS1_11comp_targetILNS1_3genE0ELNS1_11target_archE4294967295ELNS1_3gpuE0ELNS1_3repE0EEENS1_30default_config_static_selectorELNS0_4arch9wavefront6targetE0EEEvSZ_
; %bb.0:
	.section	.rodata,"a",@progbits
	.p2align	6, 0x0
	.amdhsa_kernel _ZN7rocprim17ROCPRIM_400000_NS6detail17trampoline_kernelINS0_13select_configILj256ELj13ELNS0_17block_load_methodE3ELS4_3ELS4_3ELNS0_20block_scan_algorithmE0ELj4294967295EEENS1_25partition_config_selectorILNS1_17partition_subalgoE3EjNS0_10empty_typeEbEEZZNS1_14partition_implILS8_3ELb0ES6_jNS0_17counting_iteratorIjlEEPS9_SE_NS0_5tupleIJPjSE_EEENSF_IJSE_SE_EEES9_SG_JZNS1_25segmented_radix_sort_implINS0_14default_configELb1EPK6__halfPSL_PKlPlN2at6native12_GLOBAL__N_18offset_tEEE10hipError_tPvRmT1_PNSt15iterator_traitsISZ_E10value_typeET2_T3_PNS10_IS15_E10value_typeET4_jRbjT5_S1B_jjP12ihipStream_tbEUljE_EEESW_SX_SY_S15_S19_S1B_T6_T7_T9_mT8_S1D_bDpT10_ENKUlT_T0_E_clISt17integral_constantIbLb1EES1P_IbLb0EEEEDaS1L_S1M_EUlS1L_E_NS1_11comp_targetILNS1_3genE0ELNS1_11target_archE4294967295ELNS1_3gpuE0ELNS1_3repE0EEENS1_30default_config_static_selectorELNS0_4arch9wavefront6targetE0EEEvSZ_
		.amdhsa_group_segment_fixed_size 0
		.amdhsa_private_segment_fixed_size 0
		.amdhsa_kernarg_size 144
		.amdhsa_user_sgpr_count 6
		.amdhsa_user_sgpr_private_segment_buffer 1
		.amdhsa_user_sgpr_dispatch_ptr 0
		.amdhsa_user_sgpr_queue_ptr 0
		.amdhsa_user_sgpr_kernarg_segment_ptr 1
		.amdhsa_user_sgpr_dispatch_id 0
		.amdhsa_user_sgpr_flat_scratch_init 0
		.amdhsa_user_sgpr_private_segment_size 0
		.amdhsa_wavefront_size32 1
		.amdhsa_uses_dynamic_stack 0
		.amdhsa_system_sgpr_private_segment_wavefront_offset 0
		.amdhsa_system_sgpr_workgroup_id_x 1
		.amdhsa_system_sgpr_workgroup_id_y 0
		.amdhsa_system_sgpr_workgroup_id_z 0
		.amdhsa_system_sgpr_workgroup_info 0
		.amdhsa_system_vgpr_workitem_id 0
		.amdhsa_next_free_vgpr 1
		.amdhsa_next_free_sgpr 1
		.amdhsa_reserve_vcc 0
		.amdhsa_reserve_flat_scratch 0
		.amdhsa_float_round_mode_32 0
		.amdhsa_float_round_mode_16_64 0
		.amdhsa_float_denorm_mode_32 3
		.amdhsa_float_denorm_mode_16_64 3
		.amdhsa_dx10_clamp 1
		.amdhsa_ieee_mode 1
		.amdhsa_fp16_overflow 0
		.amdhsa_workgroup_processor_mode 1
		.amdhsa_memory_ordered 1
		.amdhsa_forward_progress 1
		.amdhsa_shared_vgpr_count 0
		.amdhsa_exception_fp_ieee_invalid_op 0
		.amdhsa_exception_fp_denorm_src 0
		.amdhsa_exception_fp_ieee_div_zero 0
		.amdhsa_exception_fp_ieee_overflow 0
		.amdhsa_exception_fp_ieee_underflow 0
		.amdhsa_exception_fp_ieee_inexact 0
		.amdhsa_exception_int_div_zero 0
	.end_amdhsa_kernel
	.section	.text._ZN7rocprim17ROCPRIM_400000_NS6detail17trampoline_kernelINS0_13select_configILj256ELj13ELNS0_17block_load_methodE3ELS4_3ELS4_3ELNS0_20block_scan_algorithmE0ELj4294967295EEENS1_25partition_config_selectorILNS1_17partition_subalgoE3EjNS0_10empty_typeEbEEZZNS1_14partition_implILS8_3ELb0ES6_jNS0_17counting_iteratorIjlEEPS9_SE_NS0_5tupleIJPjSE_EEENSF_IJSE_SE_EEES9_SG_JZNS1_25segmented_radix_sort_implINS0_14default_configELb1EPK6__halfPSL_PKlPlN2at6native12_GLOBAL__N_18offset_tEEE10hipError_tPvRmT1_PNSt15iterator_traitsISZ_E10value_typeET2_T3_PNS10_IS15_E10value_typeET4_jRbjT5_S1B_jjP12ihipStream_tbEUljE_EEESW_SX_SY_S15_S19_S1B_T6_T7_T9_mT8_S1D_bDpT10_ENKUlT_T0_E_clISt17integral_constantIbLb1EES1P_IbLb0EEEEDaS1L_S1M_EUlS1L_E_NS1_11comp_targetILNS1_3genE0ELNS1_11target_archE4294967295ELNS1_3gpuE0ELNS1_3repE0EEENS1_30default_config_static_selectorELNS0_4arch9wavefront6targetE0EEEvSZ_,"axG",@progbits,_ZN7rocprim17ROCPRIM_400000_NS6detail17trampoline_kernelINS0_13select_configILj256ELj13ELNS0_17block_load_methodE3ELS4_3ELS4_3ELNS0_20block_scan_algorithmE0ELj4294967295EEENS1_25partition_config_selectorILNS1_17partition_subalgoE3EjNS0_10empty_typeEbEEZZNS1_14partition_implILS8_3ELb0ES6_jNS0_17counting_iteratorIjlEEPS9_SE_NS0_5tupleIJPjSE_EEENSF_IJSE_SE_EEES9_SG_JZNS1_25segmented_radix_sort_implINS0_14default_configELb1EPK6__halfPSL_PKlPlN2at6native12_GLOBAL__N_18offset_tEEE10hipError_tPvRmT1_PNSt15iterator_traitsISZ_E10value_typeET2_T3_PNS10_IS15_E10value_typeET4_jRbjT5_S1B_jjP12ihipStream_tbEUljE_EEESW_SX_SY_S15_S19_S1B_T6_T7_T9_mT8_S1D_bDpT10_ENKUlT_T0_E_clISt17integral_constantIbLb1EES1P_IbLb0EEEEDaS1L_S1M_EUlS1L_E_NS1_11comp_targetILNS1_3genE0ELNS1_11target_archE4294967295ELNS1_3gpuE0ELNS1_3repE0EEENS1_30default_config_static_selectorELNS0_4arch9wavefront6targetE0EEEvSZ_,comdat
.Lfunc_end1713:
	.size	_ZN7rocprim17ROCPRIM_400000_NS6detail17trampoline_kernelINS0_13select_configILj256ELj13ELNS0_17block_load_methodE3ELS4_3ELS4_3ELNS0_20block_scan_algorithmE0ELj4294967295EEENS1_25partition_config_selectorILNS1_17partition_subalgoE3EjNS0_10empty_typeEbEEZZNS1_14partition_implILS8_3ELb0ES6_jNS0_17counting_iteratorIjlEEPS9_SE_NS0_5tupleIJPjSE_EEENSF_IJSE_SE_EEES9_SG_JZNS1_25segmented_radix_sort_implINS0_14default_configELb1EPK6__halfPSL_PKlPlN2at6native12_GLOBAL__N_18offset_tEEE10hipError_tPvRmT1_PNSt15iterator_traitsISZ_E10value_typeET2_T3_PNS10_IS15_E10value_typeET4_jRbjT5_S1B_jjP12ihipStream_tbEUljE_EEESW_SX_SY_S15_S19_S1B_T6_T7_T9_mT8_S1D_bDpT10_ENKUlT_T0_E_clISt17integral_constantIbLb1EES1P_IbLb0EEEEDaS1L_S1M_EUlS1L_E_NS1_11comp_targetILNS1_3genE0ELNS1_11target_archE4294967295ELNS1_3gpuE0ELNS1_3repE0EEENS1_30default_config_static_selectorELNS0_4arch9wavefront6targetE0EEEvSZ_, .Lfunc_end1713-_ZN7rocprim17ROCPRIM_400000_NS6detail17trampoline_kernelINS0_13select_configILj256ELj13ELNS0_17block_load_methodE3ELS4_3ELS4_3ELNS0_20block_scan_algorithmE0ELj4294967295EEENS1_25partition_config_selectorILNS1_17partition_subalgoE3EjNS0_10empty_typeEbEEZZNS1_14partition_implILS8_3ELb0ES6_jNS0_17counting_iteratorIjlEEPS9_SE_NS0_5tupleIJPjSE_EEENSF_IJSE_SE_EEES9_SG_JZNS1_25segmented_radix_sort_implINS0_14default_configELb1EPK6__halfPSL_PKlPlN2at6native12_GLOBAL__N_18offset_tEEE10hipError_tPvRmT1_PNSt15iterator_traitsISZ_E10value_typeET2_T3_PNS10_IS15_E10value_typeET4_jRbjT5_S1B_jjP12ihipStream_tbEUljE_EEESW_SX_SY_S15_S19_S1B_T6_T7_T9_mT8_S1D_bDpT10_ENKUlT_T0_E_clISt17integral_constantIbLb1EES1P_IbLb0EEEEDaS1L_S1M_EUlS1L_E_NS1_11comp_targetILNS1_3genE0ELNS1_11target_archE4294967295ELNS1_3gpuE0ELNS1_3repE0EEENS1_30default_config_static_selectorELNS0_4arch9wavefront6targetE0EEEvSZ_
                                        ; -- End function
	.set _ZN7rocprim17ROCPRIM_400000_NS6detail17trampoline_kernelINS0_13select_configILj256ELj13ELNS0_17block_load_methodE3ELS4_3ELS4_3ELNS0_20block_scan_algorithmE0ELj4294967295EEENS1_25partition_config_selectorILNS1_17partition_subalgoE3EjNS0_10empty_typeEbEEZZNS1_14partition_implILS8_3ELb0ES6_jNS0_17counting_iteratorIjlEEPS9_SE_NS0_5tupleIJPjSE_EEENSF_IJSE_SE_EEES9_SG_JZNS1_25segmented_radix_sort_implINS0_14default_configELb1EPK6__halfPSL_PKlPlN2at6native12_GLOBAL__N_18offset_tEEE10hipError_tPvRmT1_PNSt15iterator_traitsISZ_E10value_typeET2_T3_PNS10_IS15_E10value_typeET4_jRbjT5_S1B_jjP12ihipStream_tbEUljE_EEESW_SX_SY_S15_S19_S1B_T6_T7_T9_mT8_S1D_bDpT10_ENKUlT_T0_E_clISt17integral_constantIbLb1EES1P_IbLb0EEEEDaS1L_S1M_EUlS1L_E_NS1_11comp_targetILNS1_3genE0ELNS1_11target_archE4294967295ELNS1_3gpuE0ELNS1_3repE0EEENS1_30default_config_static_selectorELNS0_4arch9wavefront6targetE0EEEvSZ_.num_vgpr, 0
	.set _ZN7rocprim17ROCPRIM_400000_NS6detail17trampoline_kernelINS0_13select_configILj256ELj13ELNS0_17block_load_methodE3ELS4_3ELS4_3ELNS0_20block_scan_algorithmE0ELj4294967295EEENS1_25partition_config_selectorILNS1_17partition_subalgoE3EjNS0_10empty_typeEbEEZZNS1_14partition_implILS8_3ELb0ES6_jNS0_17counting_iteratorIjlEEPS9_SE_NS0_5tupleIJPjSE_EEENSF_IJSE_SE_EEES9_SG_JZNS1_25segmented_radix_sort_implINS0_14default_configELb1EPK6__halfPSL_PKlPlN2at6native12_GLOBAL__N_18offset_tEEE10hipError_tPvRmT1_PNSt15iterator_traitsISZ_E10value_typeET2_T3_PNS10_IS15_E10value_typeET4_jRbjT5_S1B_jjP12ihipStream_tbEUljE_EEESW_SX_SY_S15_S19_S1B_T6_T7_T9_mT8_S1D_bDpT10_ENKUlT_T0_E_clISt17integral_constantIbLb1EES1P_IbLb0EEEEDaS1L_S1M_EUlS1L_E_NS1_11comp_targetILNS1_3genE0ELNS1_11target_archE4294967295ELNS1_3gpuE0ELNS1_3repE0EEENS1_30default_config_static_selectorELNS0_4arch9wavefront6targetE0EEEvSZ_.num_agpr, 0
	.set _ZN7rocprim17ROCPRIM_400000_NS6detail17trampoline_kernelINS0_13select_configILj256ELj13ELNS0_17block_load_methodE3ELS4_3ELS4_3ELNS0_20block_scan_algorithmE0ELj4294967295EEENS1_25partition_config_selectorILNS1_17partition_subalgoE3EjNS0_10empty_typeEbEEZZNS1_14partition_implILS8_3ELb0ES6_jNS0_17counting_iteratorIjlEEPS9_SE_NS0_5tupleIJPjSE_EEENSF_IJSE_SE_EEES9_SG_JZNS1_25segmented_radix_sort_implINS0_14default_configELb1EPK6__halfPSL_PKlPlN2at6native12_GLOBAL__N_18offset_tEEE10hipError_tPvRmT1_PNSt15iterator_traitsISZ_E10value_typeET2_T3_PNS10_IS15_E10value_typeET4_jRbjT5_S1B_jjP12ihipStream_tbEUljE_EEESW_SX_SY_S15_S19_S1B_T6_T7_T9_mT8_S1D_bDpT10_ENKUlT_T0_E_clISt17integral_constantIbLb1EES1P_IbLb0EEEEDaS1L_S1M_EUlS1L_E_NS1_11comp_targetILNS1_3genE0ELNS1_11target_archE4294967295ELNS1_3gpuE0ELNS1_3repE0EEENS1_30default_config_static_selectorELNS0_4arch9wavefront6targetE0EEEvSZ_.numbered_sgpr, 0
	.set _ZN7rocprim17ROCPRIM_400000_NS6detail17trampoline_kernelINS0_13select_configILj256ELj13ELNS0_17block_load_methodE3ELS4_3ELS4_3ELNS0_20block_scan_algorithmE0ELj4294967295EEENS1_25partition_config_selectorILNS1_17partition_subalgoE3EjNS0_10empty_typeEbEEZZNS1_14partition_implILS8_3ELb0ES6_jNS0_17counting_iteratorIjlEEPS9_SE_NS0_5tupleIJPjSE_EEENSF_IJSE_SE_EEES9_SG_JZNS1_25segmented_radix_sort_implINS0_14default_configELb1EPK6__halfPSL_PKlPlN2at6native12_GLOBAL__N_18offset_tEEE10hipError_tPvRmT1_PNSt15iterator_traitsISZ_E10value_typeET2_T3_PNS10_IS15_E10value_typeET4_jRbjT5_S1B_jjP12ihipStream_tbEUljE_EEESW_SX_SY_S15_S19_S1B_T6_T7_T9_mT8_S1D_bDpT10_ENKUlT_T0_E_clISt17integral_constantIbLb1EES1P_IbLb0EEEEDaS1L_S1M_EUlS1L_E_NS1_11comp_targetILNS1_3genE0ELNS1_11target_archE4294967295ELNS1_3gpuE0ELNS1_3repE0EEENS1_30default_config_static_selectorELNS0_4arch9wavefront6targetE0EEEvSZ_.num_named_barrier, 0
	.set _ZN7rocprim17ROCPRIM_400000_NS6detail17trampoline_kernelINS0_13select_configILj256ELj13ELNS0_17block_load_methodE3ELS4_3ELS4_3ELNS0_20block_scan_algorithmE0ELj4294967295EEENS1_25partition_config_selectorILNS1_17partition_subalgoE3EjNS0_10empty_typeEbEEZZNS1_14partition_implILS8_3ELb0ES6_jNS0_17counting_iteratorIjlEEPS9_SE_NS0_5tupleIJPjSE_EEENSF_IJSE_SE_EEES9_SG_JZNS1_25segmented_radix_sort_implINS0_14default_configELb1EPK6__halfPSL_PKlPlN2at6native12_GLOBAL__N_18offset_tEEE10hipError_tPvRmT1_PNSt15iterator_traitsISZ_E10value_typeET2_T3_PNS10_IS15_E10value_typeET4_jRbjT5_S1B_jjP12ihipStream_tbEUljE_EEESW_SX_SY_S15_S19_S1B_T6_T7_T9_mT8_S1D_bDpT10_ENKUlT_T0_E_clISt17integral_constantIbLb1EES1P_IbLb0EEEEDaS1L_S1M_EUlS1L_E_NS1_11comp_targetILNS1_3genE0ELNS1_11target_archE4294967295ELNS1_3gpuE0ELNS1_3repE0EEENS1_30default_config_static_selectorELNS0_4arch9wavefront6targetE0EEEvSZ_.private_seg_size, 0
	.set _ZN7rocprim17ROCPRIM_400000_NS6detail17trampoline_kernelINS0_13select_configILj256ELj13ELNS0_17block_load_methodE3ELS4_3ELS4_3ELNS0_20block_scan_algorithmE0ELj4294967295EEENS1_25partition_config_selectorILNS1_17partition_subalgoE3EjNS0_10empty_typeEbEEZZNS1_14partition_implILS8_3ELb0ES6_jNS0_17counting_iteratorIjlEEPS9_SE_NS0_5tupleIJPjSE_EEENSF_IJSE_SE_EEES9_SG_JZNS1_25segmented_radix_sort_implINS0_14default_configELb1EPK6__halfPSL_PKlPlN2at6native12_GLOBAL__N_18offset_tEEE10hipError_tPvRmT1_PNSt15iterator_traitsISZ_E10value_typeET2_T3_PNS10_IS15_E10value_typeET4_jRbjT5_S1B_jjP12ihipStream_tbEUljE_EEESW_SX_SY_S15_S19_S1B_T6_T7_T9_mT8_S1D_bDpT10_ENKUlT_T0_E_clISt17integral_constantIbLb1EES1P_IbLb0EEEEDaS1L_S1M_EUlS1L_E_NS1_11comp_targetILNS1_3genE0ELNS1_11target_archE4294967295ELNS1_3gpuE0ELNS1_3repE0EEENS1_30default_config_static_selectorELNS0_4arch9wavefront6targetE0EEEvSZ_.uses_vcc, 0
	.set _ZN7rocprim17ROCPRIM_400000_NS6detail17trampoline_kernelINS0_13select_configILj256ELj13ELNS0_17block_load_methodE3ELS4_3ELS4_3ELNS0_20block_scan_algorithmE0ELj4294967295EEENS1_25partition_config_selectorILNS1_17partition_subalgoE3EjNS0_10empty_typeEbEEZZNS1_14partition_implILS8_3ELb0ES6_jNS0_17counting_iteratorIjlEEPS9_SE_NS0_5tupleIJPjSE_EEENSF_IJSE_SE_EEES9_SG_JZNS1_25segmented_radix_sort_implINS0_14default_configELb1EPK6__halfPSL_PKlPlN2at6native12_GLOBAL__N_18offset_tEEE10hipError_tPvRmT1_PNSt15iterator_traitsISZ_E10value_typeET2_T3_PNS10_IS15_E10value_typeET4_jRbjT5_S1B_jjP12ihipStream_tbEUljE_EEESW_SX_SY_S15_S19_S1B_T6_T7_T9_mT8_S1D_bDpT10_ENKUlT_T0_E_clISt17integral_constantIbLb1EES1P_IbLb0EEEEDaS1L_S1M_EUlS1L_E_NS1_11comp_targetILNS1_3genE0ELNS1_11target_archE4294967295ELNS1_3gpuE0ELNS1_3repE0EEENS1_30default_config_static_selectorELNS0_4arch9wavefront6targetE0EEEvSZ_.uses_flat_scratch, 0
	.set _ZN7rocprim17ROCPRIM_400000_NS6detail17trampoline_kernelINS0_13select_configILj256ELj13ELNS0_17block_load_methodE3ELS4_3ELS4_3ELNS0_20block_scan_algorithmE0ELj4294967295EEENS1_25partition_config_selectorILNS1_17partition_subalgoE3EjNS0_10empty_typeEbEEZZNS1_14partition_implILS8_3ELb0ES6_jNS0_17counting_iteratorIjlEEPS9_SE_NS0_5tupleIJPjSE_EEENSF_IJSE_SE_EEES9_SG_JZNS1_25segmented_radix_sort_implINS0_14default_configELb1EPK6__halfPSL_PKlPlN2at6native12_GLOBAL__N_18offset_tEEE10hipError_tPvRmT1_PNSt15iterator_traitsISZ_E10value_typeET2_T3_PNS10_IS15_E10value_typeET4_jRbjT5_S1B_jjP12ihipStream_tbEUljE_EEESW_SX_SY_S15_S19_S1B_T6_T7_T9_mT8_S1D_bDpT10_ENKUlT_T0_E_clISt17integral_constantIbLb1EES1P_IbLb0EEEEDaS1L_S1M_EUlS1L_E_NS1_11comp_targetILNS1_3genE0ELNS1_11target_archE4294967295ELNS1_3gpuE0ELNS1_3repE0EEENS1_30default_config_static_selectorELNS0_4arch9wavefront6targetE0EEEvSZ_.has_dyn_sized_stack, 0
	.set _ZN7rocprim17ROCPRIM_400000_NS6detail17trampoline_kernelINS0_13select_configILj256ELj13ELNS0_17block_load_methodE3ELS4_3ELS4_3ELNS0_20block_scan_algorithmE0ELj4294967295EEENS1_25partition_config_selectorILNS1_17partition_subalgoE3EjNS0_10empty_typeEbEEZZNS1_14partition_implILS8_3ELb0ES6_jNS0_17counting_iteratorIjlEEPS9_SE_NS0_5tupleIJPjSE_EEENSF_IJSE_SE_EEES9_SG_JZNS1_25segmented_radix_sort_implINS0_14default_configELb1EPK6__halfPSL_PKlPlN2at6native12_GLOBAL__N_18offset_tEEE10hipError_tPvRmT1_PNSt15iterator_traitsISZ_E10value_typeET2_T3_PNS10_IS15_E10value_typeET4_jRbjT5_S1B_jjP12ihipStream_tbEUljE_EEESW_SX_SY_S15_S19_S1B_T6_T7_T9_mT8_S1D_bDpT10_ENKUlT_T0_E_clISt17integral_constantIbLb1EES1P_IbLb0EEEEDaS1L_S1M_EUlS1L_E_NS1_11comp_targetILNS1_3genE0ELNS1_11target_archE4294967295ELNS1_3gpuE0ELNS1_3repE0EEENS1_30default_config_static_selectorELNS0_4arch9wavefront6targetE0EEEvSZ_.has_recursion, 0
	.set _ZN7rocprim17ROCPRIM_400000_NS6detail17trampoline_kernelINS0_13select_configILj256ELj13ELNS0_17block_load_methodE3ELS4_3ELS4_3ELNS0_20block_scan_algorithmE0ELj4294967295EEENS1_25partition_config_selectorILNS1_17partition_subalgoE3EjNS0_10empty_typeEbEEZZNS1_14partition_implILS8_3ELb0ES6_jNS0_17counting_iteratorIjlEEPS9_SE_NS0_5tupleIJPjSE_EEENSF_IJSE_SE_EEES9_SG_JZNS1_25segmented_radix_sort_implINS0_14default_configELb1EPK6__halfPSL_PKlPlN2at6native12_GLOBAL__N_18offset_tEEE10hipError_tPvRmT1_PNSt15iterator_traitsISZ_E10value_typeET2_T3_PNS10_IS15_E10value_typeET4_jRbjT5_S1B_jjP12ihipStream_tbEUljE_EEESW_SX_SY_S15_S19_S1B_T6_T7_T9_mT8_S1D_bDpT10_ENKUlT_T0_E_clISt17integral_constantIbLb1EES1P_IbLb0EEEEDaS1L_S1M_EUlS1L_E_NS1_11comp_targetILNS1_3genE0ELNS1_11target_archE4294967295ELNS1_3gpuE0ELNS1_3repE0EEENS1_30default_config_static_selectorELNS0_4arch9wavefront6targetE0EEEvSZ_.has_indirect_call, 0
	.section	.AMDGPU.csdata,"",@progbits
; Kernel info:
; codeLenInByte = 0
; TotalNumSgprs: 0
; NumVgprs: 0
; ScratchSize: 0
; MemoryBound: 0
; FloatMode: 240
; IeeeMode: 1
; LDSByteSize: 0 bytes/workgroup (compile time only)
; SGPRBlocks: 0
; VGPRBlocks: 0
; NumSGPRsForWavesPerEU: 1
; NumVGPRsForWavesPerEU: 1
; Occupancy: 16
; WaveLimiterHint : 0
; COMPUTE_PGM_RSRC2:SCRATCH_EN: 0
; COMPUTE_PGM_RSRC2:USER_SGPR: 6
; COMPUTE_PGM_RSRC2:TRAP_HANDLER: 0
; COMPUTE_PGM_RSRC2:TGID_X_EN: 1
; COMPUTE_PGM_RSRC2:TGID_Y_EN: 0
; COMPUTE_PGM_RSRC2:TGID_Z_EN: 0
; COMPUTE_PGM_RSRC2:TIDIG_COMP_CNT: 0
	.section	.text._ZN7rocprim17ROCPRIM_400000_NS6detail17trampoline_kernelINS0_13select_configILj256ELj13ELNS0_17block_load_methodE3ELS4_3ELS4_3ELNS0_20block_scan_algorithmE0ELj4294967295EEENS1_25partition_config_selectorILNS1_17partition_subalgoE3EjNS0_10empty_typeEbEEZZNS1_14partition_implILS8_3ELb0ES6_jNS0_17counting_iteratorIjlEEPS9_SE_NS0_5tupleIJPjSE_EEENSF_IJSE_SE_EEES9_SG_JZNS1_25segmented_radix_sort_implINS0_14default_configELb1EPK6__halfPSL_PKlPlN2at6native12_GLOBAL__N_18offset_tEEE10hipError_tPvRmT1_PNSt15iterator_traitsISZ_E10value_typeET2_T3_PNS10_IS15_E10value_typeET4_jRbjT5_S1B_jjP12ihipStream_tbEUljE_EEESW_SX_SY_S15_S19_S1B_T6_T7_T9_mT8_S1D_bDpT10_ENKUlT_T0_E_clISt17integral_constantIbLb1EES1P_IbLb0EEEEDaS1L_S1M_EUlS1L_E_NS1_11comp_targetILNS1_3genE5ELNS1_11target_archE942ELNS1_3gpuE9ELNS1_3repE0EEENS1_30default_config_static_selectorELNS0_4arch9wavefront6targetE0EEEvSZ_,"axG",@progbits,_ZN7rocprim17ROCPRIM_400000_NS6detail17trampoline_kernelINS0_13select_configILj256ELj13ELNS0_17block_load_methodE3ELS4_3ELS4_3ELNS0_20block_scan_algorithmE0ELj4294967295EEENS1_25partition_config_selectorILNS1_17partition_subalgoE3EjNS0_10empty_typeEbEEZZNS1_14partition_implILS8_3ELb0ES6_jNS0_17counting_iteratorIjlEEPS9_SE_NS0_5tupleIJPjSE_EEENSF_IJSE_SE_EEES9_SG_JZNS1_25segmented_radix_sort_implINS0_14default_configELb1EPK6__halfPSL_PKlPlN2at6native12_GLOBAL__N_18offset_tEEE10hipError_tPvRmT1_PNSt15iterator_traitsISZ_E10value_typeET2_T3_PNS10_IS15_E10value_typeET4_jRbjT5_S1B_jjP12ihipStream_tbEUljE_EEESW_SX_SY_S15_S19_S1B_T6_T7_T9_mT8_S1D_bDpT10_ENKUlT_T0_E_clISt17integral_constantIbLb1EES1P_IbLb0EEEEDaS1L_S1M_EUlS1L_E_NS1_11comp_targetILNS1_3genE5ELNS1_11target_archE942ELNS1_3gpuE9ELNS1_3repE0EEENS1_30default_config_static_selectorELNS0_4arch9wavefront6targetE0EEEvSZ_,comdat
	.globl	_ZN7rocprim17ROCPRIM_400000_NS6detail17trampoline_kernelINS0_13select_configILj256ELj13ELNS0_17block_load_methodE3ELS4_3ELS4_3ELNS0_20block_scan_algorithmE0ELj4294967295EEENS1_25partition_config_selectorILNS1_17partition_subalgoE3EjNS0_10empty_typeEbEEZZNS1_14partition_implILS8_3ELb0ES6_jNS0_17counting_iteratorIjlEEPS9_SE_NS0_5tupleIJPjSE_EEENSF_IJSE_SE_EEES9_SG_JZNS1_25segmented_radix_sort_implINS0_14default_configELb1EPK6__halfPSL_PKlPlN2at6native12_GLOBAL__N_18offset_tEEE10hipError_tPvRmT1_PNSt15iterator_traitsISZ_E10value_typeET2_T3_PNS10_IS15_E10value_typeET4_jRbjT5_S1B_jjP12ihipStream_tbEUljE_EEESW_SX_SY_S15_S19_S1B_T6_T7_T9_mT8_S1D_bDpT10_ENKUlT_T0_E_clISt17integral_constantIbLb1EES1P_IbLb0EEEEDaS1L_S1M_EUlS1L_E_NS1_11comp_targetILNS1_3genE5ELNS1_11target_archE942ELNS1_3gpuE9ELNS1_3repE0EEENS1_30default_config_static_selectorELNS0_4arch9wavefront6targetE0EEEvSZ_ ; -- Begin function _ZN7rocprim17ROCPRIM_400000_NS6detail17trampoline_kernelINS0_13select_configILj256ELj13ELNS0_17block_load_methodE3ELS4_3ELS4_3ELNS0_20block_scan_algorithmE0ELj4294967295EEENS1_25partition_config_selectorILNS1_17partition_subalgoE3EjNS0_10empty_typeEbEEZZNS1_14partition_implILS8_3ELb0ES6_jNS0_17counting_iteratorIjlEEPS9_SE_NS0_5tupleIJPjSE_EEENSF_IJSE_SE_EEES9_SG_JZNS1_25segmented_radix_sort_implINS0_14default_configELb1EPK6__halfPSL_PKlPlN2at6native12_GLOBAL__N_18offset_tEEE10hipError_tPvRmT1_PNSt15iterator_traitsISZ_E10value_typeET2_T3_PNS10_IS15_E10value_typeET4_jRbjT5_S1B_jjP12ihipStream_tbEUljE_EEESW_SX_SY_S15_S19_S1B_T6_T7_T9_mT8_S1D_bDpT10_ENKUlT_T0_E_clISt17integral_constantIbLb1EES1P_IbLb0EEEEDaS1L_S1M_EUlS1L_E_NS1_11comp_targetILNS1_3genE5ELNS1_11target_archE942ELNS1_3gpuE9ELNS1_3repE0EEENS1_30default_config_static_selectorELNS0_4arch9wavefront6targetE0EEEvSZ_
	.p2align	8
	.type	_ZN7rocprim17ROCPRIM_400000_NS6detail17trampoline_kernelINS0_13select_configILj256ELj13ELNS0_17block_load_methodE3ELS4_3ELS4_3ELNS0_20block_scan_algorithmE0ELj4294967295EEENS1_25partition_config_selectorILNS1_17partition_subalgoE3EjNS0_10empty_typeEbEEZZNS1_14partition_implILS8_3ELb0ES6_jNS0_17counting_iteratorIjlEEPS9_SE_NS0_5tupleIJPjSE_EEENSF_IJSE_SE_EEES9_SG_JZNS1_25segmented_radix_sort_implINS0_14default_configELb1EPK6__halfPSL_PKlPlN2at6native12_GLOBAL__N_18offset_tEEE10hipError_tPvRmT1_PNSt15iterator_traitsISZ_E10value_typeET2_T3_PNS10_IS15_E10value_typeET4_jRbjT5_S1B_jjP12ihipStream_tbEUljE_EEESW_SX_SY_S15_S19_S1B_T6_T7_T9_mT8_S1D_bDpT10_ENKUlT_T0_E_clISt17integral_constantIbLb1EES1P_IbLb0EEEEDaS1L_S1M_EUlS1L_E_NS1_11comp_targetILNS1_3genE5ELNS1_11target_archE942ELNS1_3gpuE9ELNS1_3repE0EEENS1_30default_config_static_selectorELNS0_4arch9wavefront6targetE0EEEvSZ_,@function
_ZN7rocprim17ROCPRIM_400000_NS6detail17trampoline_kernelINS0_13select_configILj256ELj13ELNS0_17block_load_methodE3ELS4_3ELS4_3ELNS0_20block_scan_algorithmE0ELj4294967295EEENS1_25partition_config_selectorILNS1_17partition_subalgoE3EjNS0_10empty_typeEbEEZZNS1_14partition_implILS8_3ELb0ES6_jNS0_17counting_iteratorIjlEEPS9_SE_NS0_5tupleIJPjSE_EEENSF_IJSE_SE_EEES9_SG_JZNS1_25segmented_radix_sort_implINS0_14default_configELb1EPK6__halfPSL_PKlPlN2at6native12_GLOBAL__N_18offset_tEEE10hipError_tPvRmT1_PNSt15iterator_traitsISZ_E10value_typeET2_T3_PNS10_IS15_E10value_typeET4_jRbjT5_S1B_jjP12ihipStream_tbEUljE_EEESW_SX_SY_S15_S19_S1B_T6_T7_T9_mT8_S1D_bDpT10_ENKUlT_T0_E_clISt17integral_constantIbLb1EES1P_IbLb0EEEEDaS1L_S1M_EUlS1L_E_NS1_11comp_targetILNS1_3genE5ELNS1_11target_archE942ELNS1_3gpuE9ELNS1_3repE0EEENS1_30default_config_static_selectorELNS0_4arch9wavefront6targetE0EEEvSZ_: ; @_ZN7rocprim17ROCPRIM_400000_NS6detail17trampoline_kernelINS0_13select_configILj256ELj13ELNS0_17block_load_methodE3ELS4_3ELS4_3ELNS0_20block_scan_algorithmE0ELj4294967295EEENS1_25partition_config_selectorILNS1_17partition_subalgoE3EjNS0_10empty_typeEbEEZZNS1_14partition_implILS8_3ELb0ES6_jNS0_17counting_iteratorIjlEEPS9_SE_NS0_5tupleIJPjSE_EEENSF_IJSE_SE_EEES9_SG_JZNS1_25segmented_radix_sort_implINS0_14default_configELb1EPK6__halfPSL_PKlPlN2at6native12_GLOBAL__N_18offset_tEEE10hipError_tPvRmT1_PNSt15iterator_traitsISZ_E10value_typeET2_T3_PNS10_IS15_E10value_typeET4_jRbjT5_S1B_jjP12ihipStream_tbEUljE_EEESW_SX_SY_S15_S19_S1B_T6_T7_T9_mT8_S1D_bDpT10_ENKUlT_T0_E_clISt17integral_constantIbLb1EES1P_IbLb0EEEEDaS1L_S1M_EUlS1L_E_NS1_11comp_targetILNS1_3genE5ELNS1_11target_archE942ELNS1_3gpuE9ELNS1_3repE0EEENS1_30default_config_static_selectorELNS0_4arch9wavefront6targetE0EEEvSZ_
; %bb.0:
	.section	.rodata,"a",@progbits
	.p2align	6, 0x0
	.amdhsa_kernel _ZN7rocprim17ROCPRIM_400000_NS6detail17trampoline_kernelINS0_13select_configILj256ELj13ELNS0_17block_load_methodE3ELS4_3ELS4_3ELNS0_20block_scan_algorithmE0ELj4294967295EEENS1_25partition_config_selectorILNS1_17partition_subalgoE3EjNS0_10empty_typeEbEEZZNS1_14partition_implILS8_3ELb0ES6_jNS0_17counting_iteratorIjlEEPS9_SE_NS0_5tupleIJPjSE_EEENSF_IJSE_SE_EEES9_SG_JZNS1_25segmented_radix_sort_implINS0_14default_configELb1EPK6__halfPSL_PKlPlN2at6native12_GLOBAL__N_18offset_tEEE10hipError_tPvRmT1_PNSt15iterator_traitsISZ_E10value_typeET2_T3_PNS10_IS15_E10value_typeET4_jRbjT5_S1B_jjP12ihipStream_tbEUljE_EEESW_SX_SY_S15_S19_S1B_T6_T7_T9_mT8_S1D_bDpT10_ENKUlT_T0_E_clISt17integral_constantIbLb1EES1P_IbLb0EEEEDaS1L_S1M_EUlS1L_E_NS1_11comp_targetILNS1_3genE5ELNS1_11target_archE942ELNS1_3gpuE9ELNS1_3repE0EEENS1_30default_config_static_selectorELNS0_4arch9wavefront6targetE0EEEvSZ_
		.amdhsa_group_segment_fixed_size 0
		.amdhsa_private_segment_fixed_size 0
		.amdhsa_kernarg_size 144
		.amdhsa_user_sgpr_count 6
		.amdhsa_user_sgpr_private_segment_buffer 1
		.amdhsa_user_sgpr_dispatch_ptr 0
		.amdhsa_user_sgpr_queue_ptr 0
		.amdhsa_user_sgpr_kernarg_segment_ptr 1
		.amdhsa_user_sgpr_dispatch_id 0
		.amdhsa_user_sgpr_flat_scratch_init 0
		.amdhsa_user_sgpr_private_segment_size 0
		.amdhsa_wavefront_size32 1
		.amdhsa_uses_dynamic_stack 0
		.amdhsa_system_sgpr_private_segment_wavefront_offset 0
		.amdhsa_system_sgpr_workgroup_id_x 1
		.amdhsa_system_sgpr_workgroup_id_y 0
		.amdhsa_system_sgpr_workgroup_id_z 0
		.amdhsa_system_sgpr_workgroup_info 0
		.amdhsa_system_vgpr_workitem_id 0
		.amdhsa_next_free_vgpr 1
		.amdhsa_next_free_sgpr 1
		.amdhsa_reserve_vcc 0
		.amdhsa_reserve_flat_scratch 0
		.amdhsa_float_round_mode_32 0
		.amdhsa_float_round_mode_16_64 0
		.amdhsa_float_denorm_mode_32 3
		.amdhsa_float_denorm_mode_16_64 3
		.amdhsa_dx10_clamp 1
		.amdhsa_ieee_mode 1
		.amdhsa_fp16_overflow 0
		.amdhsa_workgroup_processor_mode 1
		.amdhsa_memory_ordered 1
		.amdhsa_forward_progress 1
		.amdhsa_shared_vgpr_count 0
		.amdhsa_exception_fp_ieee_invalid_op 0
		.amdhsa_exception_fp_denorm_src 0
		.amdhsa_exception_fp_ieee_div_zero 0
		.amdhsa_exception_fp_ieee_overflow 0
		.amdhsa_exception_fp_ieee_underflow 0
		.amdhsa_exception_fp_ieee_inexact 0
		.amdhsa_exception_int_div_zero 0
	.end_amdhsa_kernel
	.section	.text._ZN7rocprim17ROCPRIM_400000_NS6detail17trampoline_kernelINS0_13select_configILj256ELj13ELNS0_17block_load_methodE3ELS4_3ELS4_3ELNS0_20block_scan_algorithmE0ELj4294967295EEENS1_25partition_config_selectorILNS1_17partition_subalgoE3EjNS0_10empty_typeEbEEZZNS1_14partition_implILS8_3ELb0ES6_jNS0_17counting_iteratorIjlEEPS9_SE_NS0_5tupleIJPjSE_EEENSF_IJSE_SE_EEES9_SG_JZNS1_25segmented_radix_sort_implINS0_14default_configELb1EPK6__halfPSL_PKlPlN2at6native12_GLOBAL__N_18offset_tEEE10hipError_tPvRmT1_PNSt15iterator_traitsISZ_E10value_typeET2_T3_PNS10_IS15_E10value_typeET4_jRbjT5_S1B_jjP12ihipStream_tbEUljE_EEESW_SX_SY_S15_S19_S1B_T6_T7_T9_mT8_S1D_bDpT10_ENKUlT_T0_E_clISt17integral_constantIbLb1EES1P_IbLb0EEEEDaS1L_S1M_EUlS1L_E_NS1_11comp_targetILNS1_3genE5ELNS1_11target_archE942ELNS1_3gpuE9ELNS1_3repE0EEENS1_30default_config_static_selectorELNS0_4arch9wavefront6targetE0EEEvSZ_,"axG",@progbits,_ZN7rocprim17ROCPRIM_400000_NS6detail17trampoline_kernelINS0_13select_configILj256ELj13ELNS0_17block_load_methodE3ELS4_3ELS4_3ELNS0_20block_scan_algorithmE0ELj4294967295EEENS1_25partition_config_selectorILNS1_17partition_subalgoE3EjNS0_10empty_typeEbEEZZNS1_14partition_implILS8_3ELb0ES6_jNS0_17counting_iteratorIjlEEPS9_SE_NS0_5tupleIJPjSE_EEENSF_IJSE_SE_EEES9_SG_JZNS1_25segmented_radix_sort_implINS0_14default_configELb1EPK6__halfPSL_PKlPlN2at6native12_GLOBAL__N_18offset_tEEE10hipError_tPvRmT1_PNSt15iterator_traitsISZ_E10value_typeET2_T3_PNS10_IS15_E10value_typeET4_jRbjT5_S1B_jjP12ihipStream_tbEUljE_EEESW_SX_SY_S15_S19_S1B_T6_T7_T9_mT8_S1D_bDpT10_ENKUlT_T0_E_clISt17integral_constantIbLb1EES1P_IbLb0EEEEDaS1L_S1M_EUlS1L_E_NS1_11comp_targetILNS1_3genE5ELNS1_11target_archE942ELNS1_3gpuE9ELNS1_3repE0EEENS1_30default_config_static_selectorELNS0_4arch9wavefront6targetE0EEEvSZ_,comdat
.Lfunc_end1714:
	.size	_ZN7rocprim17ROCPRIM_400000_NS6detail17trampoline_kernelINS0_13select_configILj256ELj13ELNS0_17block_load_methodE3ELS4_3ELS4_3ELNS0_20block_scan_algorithmE0ELj4294967295EEENS1_25partition_config_selectorILNS1_17partition_subalgoE3EjNS0_10empty_typeEbEEZZNS1_14partition_implILS8_3ELb0ES6_jNS0_17counting_iteratorIjlEEPS9_SE_NS0_5tupleIJPjSE_EEENSF_IJSE_SE_EEES9_SG_JZNS1_25segmented_radix_sort_implINS0_14default_configELb1EPK6__halfPSL_PKlPlN2at6native12_GLOBAL__N_18offset_tEEE10hipError_tPvRmT1_PNSt15iterator_traitsISZ_E10value_typeET2_T3_PNS10_IS15_E10value_typeET4_jRbjT5_S1B_jjP12ihipStream_tbEUljE_EEESW_SX_SY_S15_S19_S1B_T6_T7_T9_mT8_S1D_bDpT10_ENKUlT_T0_E_clISt17integral_constantIbLb1EES1P_IbLb0EEEEDaS1L_S1M_EUlS1L_E_NS1_11comp_targetILNS1_3genE5ELNS1_11target_archE942ELNS1_3gpuE9ELNS1_3repE0EEENS1_30default_config_static_selectorELNS0_4arch9wavefront6targetE0EEEvSZ_, .Lfunc_end1714-_ZN7rocprim17ROCPRIM_400000_NS6detail17trampoline_kernelINS0_13select_configILj256ELj13ELNS0_17block_load_methodE3ELS4_3ELS4_3ELNS0_20block_scan_algorithmE0ELj4294967295EEENS1_25partition_config_selectorILNS1_17partition_subalgoE3EjNS0_10empty_typeEbEEZZNS1_14partition_implILS8_3ELb0ES6_jNS0_17counting_iteratorIjlEEPS9_SE_NS0_5tupleIJPjSE_EEENSF_IJSE_SE_EEES9_SG_JZNS1_25segmented_radix_sort_implINS0_14default_configELb1EPK6__halfPSL_PKlPlN2at6native12_GLOBAL__N_18offset_tEEE10hipError_tPvRmT1_PNSt15iterator_traitsISZ_E10value_typeET2_T3_PNS10_IS15_E10value_typeET4_jRbjT5_S1B_jjP12ihipStream_tbEUljE_EEESW_SX_SY_S15_S19_S1B_T6_T7_T9_mT8_S1D_bDpT10_ENKUlT_T0_E_clISt17integral_constantIbLb1EES1P_IbLb0EEEEDaS1L_S1M_EUlS1L_E_NS1_11comp_targetILNS1_3genE5ELNS1_11target_archE942ELNS1_3gpuE9ELNS1_3repE0EEENS1_30default_config_static_selectorELNS0_4arch9wavefront6targetE0EEEvSZ_
                                        ; -- End function
	.set _ZN7rocprim17ROCPRIM_400000_NS6detail17trampoline_kernelINS0_13select_configILj256ELj13ELNS0_17block_load_methodE3ELS4_3ELS4_3ELNS0_20block_scan_algorithmE0ELj4294967295EEENS1_25partition_config_selectorILNS1_17partition_subalgoE3EjNS0_10empty_typeEbEEZZNS1_14partition_implILS8_3ELb0ES6_jNS0_17counting_iteratorIjlEEPS9_SE_NS0_5tupleIJPjSE_EEENSF_IJSE_SE_EEES9_SG_JZNS1_25segmented_radix_sort_implINS0_14default_configELb1EPK6__halfPSL_PKlPlN2at6native12_GLOBAL__N_18offset_tEEE10hipError_tPvRmT1_PNSt15iterator_traitsISZ_E10value_typeET2_T3_PNS10_IS15_E10value_typeET4_jRbjT5_S1B_jjP12ihipStream_tbEUljE_EEESW_SX_SY_S15_S19_S1B_T6_T7_T9_mT8_S1D_bDpT10_ENKUlT_T0_E_clISt17integral_constantIbLb1EES1P_IbLb0EEEEDaS1L_S1M_EUlS1L_E_NS1_11comp_targetILNS1_3genE5ELNS1_11target_archE942ELNS1_3gpuE9ELNS1_3repE0EEENS1_30default_config_static_selectorELNS0_4arch9wavefront6targetE0EEEvSZ_.num_vgpr, 0
	.set _ZN7rocprim17ROCPRIM_400000_NS6detail17trampoline_kernelINS0_13select_configILj256ELj13ELNS0_17block_load_methodE3ELS4_3ELS4_3ELNS0_20block_scan_algorithmE0ELj4294967295EEENS1_25partition_config_selectorILNS1_17partition_subalgoE3EjNS0_10empty_typeEbEEZZNS1_14partition_implILS8_3ELb0ES6_jNS0_17counting_iteratorIjlEEPS9_SE_NS0_5tupleIJPjSE_EEENSF_IJSE_SE_EEES9_SG_JZNS1_25segmented_radix_sort_implINS0_14default_configELb1EPK6__halfPSL_PKlPlN2at6native12_GLOBAL__N_18offset_tEEE10hipError_tPvRmT1_PNSt15iterator_traitsISZ_E10value_typeET2_T3_PNS10_IS15_E10value_typeET4_jRbjT5_S1B_jjP12ihipStream_tbEUljE_EEESW_SX_SY_S15_S19_S1B_T6_T7_T9_mT8_S1D_bDpT10_ENKUlT_T0_E_clISt17integral_constantIbLb1EES1P_IbLb0EEEEDaS1L_S1M_EUlS1L_E_NS1_11comp_targetILNS1_3genE5ELNS1_11target_archE942ELNS1_3gpuE9ELNS1_3repE0EEENS1_30default_config_static_selectorELNS0_4arch9wavefront6targetE0EEEvSZ_.num_agpr, 0
	.set _ZN7rocprim17ROCPRIM_400000_NS6detail17trampoline_kernelINS0_13select_configILj256ELj13ELNS0_17block_load_methodE3ELS4_3ELS4_3ELNS0_20block_scan_algorithmE0ELj4294967295EEENS1_25partition_config_selectorILNS1_17partition_subalgoE3EjNS0_10empty_typeEbEEZZNS1_14partition_implILS8_3ELb0ES6_jNS0_17counting_iteratorIjlEEPS9_SE_NS0_5tupleIJPjSE_EEENSF_IJSE_SE_EEES9_SG_JZNS1_25segmented_radix_sort_implINS0_14default_configELb1EPK6__halfPSL_PKlPlN2at6native12_GLOBAL__N_18offset_tEEE10hipError_tPvRmT1_PNSt15iterator_traitsISZ_E10value_typeET2_T3_PNS10_IS15_E10value_typeET4_jRbjT5_S1B_jjP12ihipStream_tbEUljE_EEESW_SX_SY_S15_S19_S1B_T6_T7_T9_mT8_S1D_bDpT10_ENKUlT_T0_E_clISt17integral_constantIbLb1EES1P_IbLb0EEEEDaS1L_S1M_EUlS1L_E_NS1_11comp_targetILNS1_3genE5ELNS1_11target_archE942ELNS1_3gpuE9ELNS1_3repE0EEENS1_30default_config_static_selectorELNS0_4arch9wavefront6targetE0EEEvSZ_.numbered_sgpr, 0
	.set _ZN7rocprim17ROCPRIM_400000_NS6detail17trampoline_kernelINS0_13select_configILj256ELj13ELNS0_17block_load_methodE3ELS4_3ELS4_3ELNS0_20block_scan_algorithmE0ELj4294967295EEENS1_25partition_config_selectorILNS1_17partition_subalgoE3EjNS0_10empty_typeEbEEZZNS1_14partition_implILS8_3ELb0ES6_jNS0_17counting_iteratorIjlEEPS9_SE_NS0_5tupleIJPjSE_EEENSF_IJSE_SE_EEES9_SG_JZNS1_25segmented_radix_sort_implINS0_14default_configELb1EPK6__halfPSL_PKlPlN2at6native12_GLOBAL__N_18offset_tEEE10hipError_tPvRmT1_PNSt15iterator_traitsISZ_E10value_typeET2_T3_PNS10_IS15_E10value_typeET4_jRbjT5_S1B_jjP12ihipStream_tbEUljE_EEESW_SX_SY_S15_S19_S1B_T6_T7_T9_mT8_S1D_bDpT10_ENKUlT_T0_E_clISt17integral_constantIbLb1EES1P_IbLb0EEEEDaS1L_S1M_EUlS1L_E_NS1_11comp_targetILNS1_3genE5ELNS1_11target_archE942ELNS1_3gpuE9ELNS1_3repE0EEENS1_30default_config_static_selectorELNS0_4arch9wavefront6targetE0EEEvSZ_.num_named_barrier, 0
	.set _ZN7rocprim17ROCPRIM_400000_NS6detail17trampoline_kernelINS0_13select_configILj256ELj13ELNS0_17block_load_methodE3ELS4_3ELS4_3ELNS0_20block_scan_algorithmE0ELj4294967295EEENS1_25partition_config_selectorILNS1_17partition_subalgoE3EjNS0_10empty_typeEbEEZZNS1_14partition_implILS8_3ELb0ES6_jNS0_17counting_iteratorIjlEEPS9_SE_NS0_5tupleIJPjSE_EEENSF_IJSE_SE_EEES9_SG_JZNS1_25segmented_radix_sort_implINS0_14default_configELb1EPK6__halfPSL_PKlPlN2at6native12_GLOBAL__N_18offset_tEEE10hipError_tPvRmT1_PNSt15iterator_traitsISZ_E10value_typeET2_T3_PNS10_IS15_E10value_typeET4_jRbjT5_S1B_jjP12ihipStream_tbEUljE_EEESW_SX_SY_S15_S19_S1B_T6_T7_T9_mT8_S1D_bDpT10_ENKUlT_T0_E_clISt17integral_constantIbLb1EES1P_IbLb0EEEEDaS1L_S1M_EUlS1L_E_NS1_11comp_targetILNS1_3genE5ELNS1_11target_archE942ELNS1_3gpuE9ELNS1_3repE0EEENS1_30default_config_static_selectorELNS0_4arch9wavefront6targetE0EEEvSZ_.private_seg_size, 0
	.set _ZN7rocprim17ROCPRIM_400000_NS6detail17trampoline_kernelINS0_13select_configILj256ELj13ELNS0_17block_load_methodE3ELS4_3ELS4_3ELNS0_20block_scan_algorithmE0ELj4294967295EEENS1_25partition_config_selectorILNS1_17partition_subalgoE3EjNS0_10empty_typeEbEEZZNS1_14partition_implILS8_3ELb0ES6_jNS0_17counting_iteratorIjlEEPS9_SE_NS0_5tupleIJPjSE_EEENSF_IJSE_SE_EEES9_SG_JZNS1_25segmented_radix_sort_implINS0_14default_configELb1EPK6__halfPSL_PKlPlN2at6native12_GLOBAL__N_18offset_tEEE10hipError_tPvRmT1_PNSt15iterator_traitsISZ_E10value_typeET2_T3_PNS10_IS15_E10value_typeET4_jRbjT5_S1B_jjP12ihipStream_tbEUljE_EEESW_SX_SY_S15_S19_S1B_T6_T7_T9_mT8_S1D_bDpT10_ENKUlT_T0_E_clISt17integral_constantIbLb1EES1P_IbLb0EEEEDaS1L_S1M_EUlS1L_E_NS1_11comp_targetILNS1_3genE5ELNS1_11target_archE942ELNS1_3gpuE9ELNS1_3repE0EEENS1_30default_config_static_selectorELNS0_4arch9wavefront6targetE0EEEvSZ_.uses_vcc, 0
	.set _ZN7rocprim17ROCPRIM_400000_NS6detail17trampoline_kernelINS0_13select_configILj256ELj13ELNS0_17block_load_methodE3ELS4_3ELS4_3ELNS0_20block_scan_algorithmE0ELj4294967295EEENS1_25partition_config_selectorILNS1_17partition_subalgoE3EjNS0_10empty_typeEbEEZZNS1_14partition_implILS8_3ELb0ES6_jNS0_17counting_iteratorIjlEEPS9_SE_NS0_5tupleIJPjSE_EEENSF_IJSE_SE_EEES9_SG_JZNS1_25segmented_radix_sort_implINS0_14default_configELb1EPK6__halfPSL_PKlPlN2at6native12_GLOBAL__N_18offset_tEEE10hipError_tPvRmT1_PNSt15iterator_traitsISZ_E10value_typeET2_T3_PNS10_IS15_E10value_typeET4_jRbjT5_S1B_jjP12ihipStream_tbEUljE_EEESW_SX_SY_S15_S19_S1B_T6_T7_T9_mT8_S1D_bDpT10_ENKUlT_T0_E_clISt17integral_constantIbLb1EES1P_IbLb0EEEEDaS1L_S1M_EUlS1L_E_NS1_11comp_targetILNS1_3genE5ELNS1_11target_archE942ELNS1_3gpuE9ELNS1_3repE0EEENS1_30default_config_static_selectorELNS0_4arch9wavefront6targetE0EEEvSZ_.uses_flat_scratch, 0
	.set _ZN7rocprim17ROCPRIM_400000_NS6detail17trampoline_kernelINS0_13select_configILj256ELj13ELNS0_17block_load_methodE3ELS4_3ELS4_3ELNS0_20block_scan_algorithmE0ELj4294967295EEENS1_25partition_config_selectorILNS1_17partition_subalgoE3EjNS0_10empty_typeEbEEZZNS1_14partition_implILS8_3ELb0ES6_jNS0_17counting_iteratorIjlEEPS9_SE_NS0_5tupleIJPjSE_EEENSF_IJSE_SE_EEES9_SG_JZNS1_25segmented_radix_sort_implINS0_14default_configELb1EPK6__halfPSL_PKlPlN2at6native12_GLOBAL__N_18offset_tEEE10hipError_tPvRmT1_PNSt15iterator_traitsISZ_E10value_typeET2_T3_PNS10_IS15_E10value_typeET4_jRbjT5_S1B_jjP12ihipStream_tbEUljE_EEESW_SX_SY_S15_S19_S1B_T6_T7_T9_mT8_S1D_bDpT10_ENKUlT_T0_E_clISt17integral_constantIbLb1EES1P_IbLb0EEEEDaS1L_S1M_EUlS1L_E_NS1_11comp_targetILNS1_3genE5ELNS1_11target_archE942ELNS1_3gpuE9ELNS1_3repE0EEENS1_30default_config_static_selectorELNS0_4arch9wavefront6targetE0EEEvSZ_.has_dyn_sized_stack, 0
	.set _ZN7rocprim17ROCPRIM_400000_NS6detail17trampoline_kernelINS0_13select_configILj256ELj13ELNS0_17block_load_methodE3ELS4_3ELS4_3ELNS0_20block_scan_algorithmE0ELj4294967295EEENS1_25partition_config_selectorILNS1_17partition_subalgoE3EjNS0_10empty_typeEbEEZZNS1_14partition_implILS8_3ELb0ES6_jNS0_17counting_iteratorIjlEEPS9_SE_NS0_5tupleIJPjSE_EEENSF_IJSE_SE_EEES9_SG_JZNS1_25segmented_radix_sort_implINS0_14default_configELb1EPK6__halfPSL_PKlPlN2at6native12_GLOBAL__N_18offset_tEEE10hipError_tPvRmT1_PNSt15iterator_traitsISZ_E10value_typeET2_T3_PNS10_IS15_E10value_typeET4_jRbjT5_S1B_jjP12ihipStream_tbEUljE_EEESW_SX_SY_S15_S19_S1B_T6_T7_T9_mT8_S1D_bDpT10_ENKUlT_T0_E_clISt17integral_constantIbLb1EES1P_IbLb0EEEEDaS1L_S1M_EUlS1L_E_NS1_11comp_targetILNS1_3genE5ELNS1_11target_archE942ELNS1_3gpuE9ELNS1_3repE0EEENS1_30default_config_static_selectorELNS0_4arch9wavefront6targetE0EEEvSZ_.has_recursion, 0
	.set _ZN7rocprim17ROCPRIM_400000_NS6detail17trampoline_kernelINS0_13select_configILj256ELj13ELNS0_17block_load_methodE3ELS4_3ELS4_3ELNS0_20block_scan_algorithmE0ELj4294967295EEENS1_25partition_config_selectorILNS1_17partition_subalgoE3EjNS0_10empty_typeEbEEZZNS1_14partition_implILS8_3ELb0ES6_jNS0_17counting_iteratorIjlEEPS9_SE_NS0_5tupleIJPjSE_EEENSF_IJSE_SE_EEES9_SG_JZNS1_25segmented_radix_sort_implINS0_14default_configELb1EPK6__halfPSL_PKlPlN2at6native12_GLOBAL__N_18offset_tEEE10hipError_tPvRmT1_PNSt15iterator_traitsISZ_E10value_typeET2_T3_PNS10_IS15_E10value_typeET4_jRbjT5_S1B_jjP12ihipStream_tbEUljE_EEESW_SX_SY_S15_S19_S1B_T6_T7_T9_mT8_S1D_bDpT10_ENKUlT_T0_E_clISt17integral_constantIbLb1EES1P_IbLb0EEEEDaS1L_S1M_EUlS1L_E_NS1_11comp_targetILNS1_3genE5ELNS1_11target_archE942ELNS1_3gpuE9ELNS1_3repE0EEENS1_30default_config_static_selectorELNS0_4arch9wavefront6targetE0EEEvSZ_.has_indirect_call, 0
	.section	.AMDGPU.csdata,"",@progbits
; Kernel info:
; codeLenInByte = 0
; TotalNumSgprs: 0
; NumVgprs: 0
; ScratchSize: 0
; MemoryBound: 0
; FloatMode: 240
; IeeeMode: 1
; LDSByteSize: 0 bytes/workgroup (compile time only)
; SGPRBlocks: 0
; VGPRBlocks: 0
; NumSGPRsForWavesPerEU: 1
; NumVGPRsForWavesPerEU: 1
; Occupancy: 16
; WaveLimiterHint : 0
; COMPUTE_PGM_RSRC2:SCRATCH_EN: 0
; COMPUTE_PGM_RSRC2:USER_SGPR: 6
; COMPUTE_PGM_RSRC2:TRAP_HANDLER: 0
; COMPUTE_PGM_RSRC2:TGID_X_EN: 1
; COMPUTE_PGM_RSRC2:TGID_Y_EN: 0
; COMPUTE_PGM_RSRC2:TGID_Z_EN: 0
; COMPUTE_PGM_RSRC2:TIDIG_COMP_CNT: 0
	.section	.text._ZN7rocprim17ROCPRIM_400000_NS6detail17trampoline_kernelINS0_13select_configILj256ELj13ELNS0_17block_load_methodE3ELS4_3ELS4_3ELNS0_20block_scan_algorithmE0ELj4294967295EEENS1_25partition_config_selectorILNS1_17partition_subalgoE3EjNS0_10empty_typeEbEEZZNS1_14partition_implILS8_3ELb0ES6_jNS0_17counting_iteratorIjlEEPS9_SE_NS0_5tupleIJPjSE_EEENSF_IJSE_SE_EEES9_SG_JZNS1_25segmented_radix_sort_implINS0_14default_configELb1EPK6__halfPSL_PKlPlN2at6native12_GLOBAL__N_18offset_tEEE10hipError_tPvRmT1_PNSt15iterator_traitsISZ_E10value_typeET2_T3_PNS10_IS15_E10value_typeET4_jRbjT5_S1B_jjP12ihipStream_tbEUljE_EEESW_SX_SY_S15_S19_S1B_T6_T7_T9_mT8_S1D_bDpT10_ENKUlT_T0_E_clISt17integral_constantIbLb1EES1P_IbLb0EEEEDaS1L_S1M_EUlS1L_E_NS1_11comp_targetILNS1_3genE4ELNS1_11target_archE910ELNS1_3gpuE8ELNS1_3repE0EEENS1_30default_config_static_selectorELNS0_4arch9wavefront6targetE0EEEvSZ_,"axG",@progbits,_ZN7rocprim17ROCPRIM_400000_NS6detail17trampoline_kernelINS0_13select_configILj256ELj13ELNS0_17block_load_methodE3ELS4_3ELS4_3ELNS0_20block_scan_algorithmE0ELj4294967295EEENS1_25partition_config_selectorILNS1_17partition_subalgoE3EjNS0_10empty_typeEbEEZZNS1_14partition_implILS8_3ELb0ES6_jNS0_17counting_iteratorIjlEEPS9_SE_NS0_5tupleIJPjSE_EEENSF_IJSE_SE_EEES9_SG_JZNS1_25segmented_radix_sort_implINS0_14default_configELb1EPK6__halfPSL_PKlPlN2at6native12_GLOBAL__N_18offset_tEEE10hipError_tPvRmT1_PNSt15iterator_traitsISZ_E10value_typeET2_T3_PNS10_IS15_E10value_typeET4_jRbjT5_S1B_jjP12ihipStream_tbEUljE_EEESW_SX_SY_S15_S19_S1B_T6_T7_T9_mT8_S1D_bDpT10_ENKUlT_T0_E_clISt17integral_constantIbLb1EES1P_IbLb0EEEEDaS1L_S1M_EUlS1L_E_NS1_11comp_targetILNS1_3genE4ELNS1_11target_archE910ELNS1_3gpuE8ELNS1_3repE0EEENS1_30default_config_static_selectorELNS0_4arch9wavefront6targetE0EEEvSZ_,comdat
	.globl	_ZN7rocprim17ROCPRIM_400000_NS6detail17trampoline_kernelINS0_13select_configILj256ELj13ELNS0_17block_load_methodE3ELS4_3ELS4_3ELNS0_20block_scan_algorithmE0ELj4294967295EEENS1_25partition_config_selectorILNS1_17partition_subalgoE3EjNS0_10empty_typeEbEEZZNS1_14partition_implILS8_3ELb0ES6_jNS0_17counting_iteratorIjlEEPS9_SE_NS0_5tupleIJPjSE_EEENSF_IJSE_SE_EEES9_SG_JZNS1_25segmented_radix_sort_implINS0_14default_configELb1EPK6__halfPSL_PKlPlN2at6native12_GLOBAL__N_18offset_tEEE10hipError_tPvRmT1_PNSt15iterator_traitsISZ_E10value_typeET2_T3_PNS10_IS15_E10value_typeET4_jRbjT5_S1B_jjP12ihipStream_tbEUljE_EEESW_SX_SY_S15_S19_S1B_T6_T7_T9_mT8_S1D_bDpT10_ENKUlT_T0_E_clISt17integral_constantIbLb1EES1P_IbLb0EEEEDaS1L_S1M_EUlS1L_E_NS1_11comp_targetILNS1_3genE4ELNS1_11target_archE910ELNS1_3gpuE8ELNS1_3repE0EEENS1_30default_config_static_selectorELNS0_4arch9wavefront6targetE0EEEvSZ_ ; -- Begin function _ZN7rocprim17ROCPRIM_400000_NS6detail17trampoline_kernelINS0_13select_configILj256ELj13ELNS0_17block_load_methodE3ELS4_3ELS4_3ELNS0_20block_scan_algorithmE0ELj4294967295EEENS1_25partition_config_selectorILNS1_17partition_subalgoE3EjNS0_10empty_typeEbEEZZNS1_14partition_implILS8_3ELb0ES6_jNS0_17counting_iteratorIjlEEPS9_SE_NS0_5tupleIJPjSE_EEENSF_IJSE_SE_EEES9_SG_JZNS1_25segmented_radix_sort_implINS0_14default_configELb1EPK6__halfPSL_PKlPlN2at6native12_GLOBAL__N_18offset_tEEE10hipError_tPvRmT1_PNSt15iterator_traitsISZ_E10value_typeET2_T3_PNS10_IS15_E10value_typeET4_jRbjT5_S1B_jjP12ihipStream_tbEUljE_EEESW_SX_SY_S15_S19_S1B_T6_T7_T9_mT8_S1D_bDpT10_ENKUlT_T0_E_clISt17integral_constantIbLb1EES1P_IbLb0EEEEDaS1L_S1M_EUlS1L_E_NS1_11comp_targetILNS1_3genE4ELNS1_11target_archE910ELNS1_3gpuE8ELNS1_3repE0EEENS1_30default_config_static_selectorELNS0_4arch9wavefront6targetE0EEEvSZ_
	.p2align	8
	.type	_ZN7rocprim17ROCPRIM_400000_NS6detail17trampoline_kernelINS0_13select_configILj256ELj13ELNS0_17block_load_methodE3ELS4_3ELS4_3ELNS0_20block_scan_algorithmE0ELj4294967295EEENS1_25partition_config_selectorILNS1_17partition_subalgoE3EjNS0_10empty_typeEbEEZZNS1_14partition_implILS8_3ELb0ES6_jNS0_17counting_iteratorIjlEEPS9_SE_NS0_5tupleIJPjSE_EEENSF_IJSE_SE_EEES9_SG_JZNS1_25segmented_radix_sort_implINS0_14default_configELb1EPK6__halfPSL_PKlPlN2at6native12_GLOBAL__N_18offset_tEEE10hipError_tPvRmT1_PNSt15iterator_traitsISZ_E10value_typeET2_T3_PNS10_IS15_E10value_typeET4_jRbjT5_S1B_jjP12ihipStream_tbEUljE_EEESW_SX_SY_S15_S19_S1B_T6_T7_T9_mT8_S1D_bDpT10_ENKUlT_T0_E_clISt17integral_constantIbLb1EES1P_IbLb0EEEEDaS1L_S1M_EUlS1L_E_NS1_11comp_targetILNS1_3genE4ELNS1_11target_archE910ELNS1_3gpuE8ELNS1_3repE0EEENS1_30default_config_static_selectorELNS0_4arch9wavefront6targetE0EEEvSZ_,@function
_ZN7rocprim17ROCPRIM_400000_NS6detail17trampoline_kernelINS0_13select_configILj256ELj13ELNS0_17block_load_methodE3ELS4_3ELS4_3ELNS0_20block_scan_algorithmE0ELj4294967295EEENS1_25partition_config_selectorILNS1_17partition_subalgoE3EjNS0_10empty_typeEbEEZZNS1_14partition_implILS8_3ELb0ES6_jNS0_17counting_iteratorIjlEEPS9_SE_NS0_5tupleIJPjSE_EEENSF_IJSE_SE_EEES9_SG_JZNS1_25segmented_radix_sort_implINS0_14default_configELb1EPK6__halfPSL_PKlPlN2at6native12_GLOBAL__N_18offset_tEEE10hipError_tPvRmT1_PNSt15iterator_traitsISZ_E10value_typeET2_T3_PNS10_IS15_E10value_typeET4_jRbjT5_S1B_jjP12ihipStream_tbEUljE_EEESW_SX_SY_S15_S19_S1B_T6_T7_T9_mT8_S1D_bDpT10_ENKUlT_T0_E_clISt17integral_constantIbLb1EES1P_IbLb0EEEEDaS1L_S1M_EUlS1L_E_NS1_11comp_targetILNS1_3genE4ELNS1_11target_archE910ELNS1_3gpuE8ELNS1_3repE0EEENS1_30default_config_static_selectorELNS0_4arch9wavefront6targetE0EEEvSZ_: ; @_ZN7rocprim17ROCPRIM_400000_NS6detail17trampoline_kernelINS0_13select_configILj256ELj13ELNS0_17block_load_methodE3ELS4_3ELS4_3ELNS0_20block_scan_algorithmE0ELj4294967295EEENS1_25partition_config_selectorILNS1_17partition_subalgoE3EjNS0_10empty_typeEbEEZZNS1_14partition_implILS8_3ELb0ES6_jNS0_17counting_iteratorIjlEEPS9_SE_NS0_5tupleIJPjSE_EEENSF_IJSE_SE_EEES9_SG_JZNS1_25segmented_radix_sort_implINS0_14default_configELb1EPK6__halfPSL_PKlPlN2at6native12_GLOBAL__N_18offset_tEEE10hipError_tPvRmT1_PNSt15iterator_traitsISZ_E10value_typeET2_T3_PNS10_IS15_E10value_typeET4_jRbjT5_S1B_jjP12ihipStream_tbEUljE_EEESW_SX_SY_S15_S19_S1B_T6_T7_T9_mT8_S1D_bDpT10_ENKUlT_T0_E_clISt17integral_constantIbLb1EES1P_IbLb0EEEEDaS1L_S1M_EUlS1L_E_NS1_11comp_targetILNS1_3genE4ELNS1_11target_archE910ELNS1_3gpuE8ELNS1_3repE0EEENS1_30default_config_static_selectorELNS0_4arch9wavefront6targetE0EEEvSZ_
; %bb.0:
	.section	.rodata,"a",@progbits
	.p2align	6, 0x0
	.amdhsa_kernel _ZN7rocprim17ROCPRIM_400000_NS6detail17trampoline_kernelINS0_13select_configILj256ELj13ELNS0_17block_load_methodE3ELS4_3ELS4_3ELNS0_20block_scan_algorithmE0ELj4294967295EEENS1_25partition_config_selectorILNS1_17partition_subalgoE3EjNS0_10empty_typeEbEEZZNS1_14partition_implILS8_3ELb0ES6_jNS0_17counting_iteratorIjlEEPS9_SE_NS0_5tupleIJPjSE_EEENSF_IJSE_SE_EEES9_SG_JZNS1_25segmented_radix_sort_implINS0_14default_configELb1EPK6__halfPSL_PKlPlN2at6native12_GLOBAL__N_18offset_tEEE10hipError_tPvRmT1_PNSt15iterator_traitsISZ_E10value_typeET2_T3_PNS10_IS15_E10value_typeET4_jRbjT5_S1B_jjP12ihipStream_tbEUljE_EEESW_SX_SY_S15_S19_S1B_T6_T7_T9_mT8_S1D_bDpT10_ENKUlT_T0_E_clISt17integral_constantIbLb1EES1P_IbLb0EEEEDaS1L_S1M_EUlS1L_E_NS1_11comp_targetILNS1_3genE4ELNS1_11target_archE910ELNS1_3gpuE8ELNS1_3repE0EEENS1_30default_config_static_selectorELNS0_4arch9wavefront6targetE0EEEvSZ_
		.amdhsa_group_segment_fixed_size 0
		.amdhsa_private_segment_fixed_size 0
		.amdhsa_kernarg_size 144
		.amdhsa_user_sgpr_count 6
		.amdhsa_user_sgpr_private_segment_buffer 1
		.amdhsa_user_sgpr_dispatch_ptr 0
		.amdhsa_user_sgpr_queue_ptr 0
		.amdhsa_user_sgpr_kernarg_segment_ptr 1
		.amdhsa_user_sgpr_dispatch_id 0
		.amdhsa_user_sgpr_flat_scratch_init 0
		.amdhsa_user_sgpr_private_segment_size 0
		.amdhsa_wavefront_size32 1
		.amdhsa_uses_dynamic_stack 0
		.amdhsa_system_sgpr_private_segment_wavefront_offset 0
		.amdhsa_system_sgpr_workgroup_id_x 1
		.amdhsa_system_sgpr_workgroup_id_y 0
		.amdhsa_system_sgpr_workgroup_id_z 0
		.amdhsa_system_sgpr_workgroup_info 0
		.amdhsa_system_vgpr_workitem_id 0
		.amdhsa_next_free_vgpr 1
		.amdhsa_next_free_sgpr 1
		.amdhsa_reserve_vcc 0
		.amdhsa_reserve_flat_scratch 0
		.amdhsa_float_round_mode_32 0
		.amdhsa_float_round_mode_16_64 0
		.amdhsa_float_denorm_mode_32 3
		.amdhsa_float_denorm_mode_16_64 3
		.amdhsa_dx10_clamp 1
		.amdhsa_ieee_mode 1
		.amdhsa_fp16_overflow 0
		.amdhsa_workgroup_processor_mode 1
		.amdhsa_memory_ordered 1
		.amdhsa_forward_progress 1
		.amdhsa_shared_vgpr_count 0
		.amdhsa_exception_fp_ieee_invalid_op 0
		.amdhsa_exception_fp_denorm_src 0
		.amdhsa_exception_fp_ieee_div_zero 0
		.amdhsa_exception_fp_ieee_overflow 0
		.amdhsa_exception_fp_ieee_underflow 0
		.amdhsa_exception_fp_ieee_inexact 0
		.amdhsa_exception_int_div_zero 0
	.end_amdhsa_kernel
	.section	.text._ZN7rocprim17ROCPRIM_400000_NS6detail17trampoline_kernelINS0_13select_configILj256ELj13ELNS0_17block_load_methodE3ELS4_3ELS4_3ELNS0_20block_scan_algorithmE0ELj4294967295EEENS1_25partition_config_selectorILNS1_17partition_subalgoE3EjNS0_10empty_typeEbEEZZNS1_14partition_implILS8_3ELb0ES6_jNS0_17counting_iteratorIjlEEPS9_SE_NS0_5tupleIJPjSE_EEENSF_IJSE_SE_EEES9_SG_JZNS1_25segmented_radix_sort_implINS0_14default_configELb1EPK6__halfPSL_PKlPlN2at6native12_GLOBAL__N_18offset_tEEE10hipError_tPvRmT1_PNSt15iterator_traitsISZ_E10value_typeET2_T3_PNS10_IS15_E10value_typeET4_jRbjT5_S1B_jjP12ihipStream_tbEUljE_EEESW_SX_SY_S15_S19_S1B_T6_T7_T9_mT8_S1D_bDpT10_ENKUlT_T0_E_clISt17integral_constantIbLb1EES1P_IbLb0EEEEDaS1L_S1M_EUlS1L_E_NS1_11comp_targetILNS1_3genE4ELNS1_11target_archE910ELNS1_3gpuE8ELNS1_3repE0EEENS1_30default_config_static_selectorELNS0_4arch9wavefront6targetE0EEEvSZ_,"axG",@progbits,_ZN7rocprim17ROCPRIM_400000_NS6detail17trampoline_kernelINS0_13select_configILj256ELj13ELNS0_17block_load_methodE3ELS4_3ELS4_3ELNS0_20block_scan_algorithmE0ELj4294967295EEENS1_25partition_config_selectorILNS1_17partition_subalgoE3EjNS0_10empty_typeEbEEZZNS1_14partition_implILS8_3ELb0ES6_jNS0_17counting_iteratorIjlEEPS9_SE_NS0_5tupleIJPjSE_EEENSF_IJSE_SE_EEES9_SG_JZNS1_25segmented_radix_sort_implINS0_14default_configELb1EPK6__halfPSL_PKlPlN2at6native12_GLOBAL__N_18offset_tEEE10hipError_tPvRmT1_PNSt15iterator_traitsISZ_E10value_typeET2_T3_PNS10_IS15_E10value_typeET4_jRbjT5_S1B_jjP12ihipStream_tbEUljE_EEESW_SX_SY_S15_S19_S1B_T6_T7_T9_mT8_S1D_bDpT10_ENKUlT_T0_E_clISt17integral_constantIbLb1EES1P_IbLb0EEEEDaS1L_S1M_EUlS1L_E_NS1_11comp_targetILNS1_3genE4ELNS1_11target_archE910ELNS1_3gpuE8ELNS1_3repE0EEENS1_30default_config_static_selectorELNS0_4arch9wavefront6targetE0EEEvSZ_,comdat
.Lfunc_end1715:
	.size	_ZN7rocprim17ROCPRIM_400000_NS6detail17trampoline_kernelINS0_13select_configILj256ELj13ELNS0_17block_load_methodE3ELS4_3ELS4_3ELNS0_20block_scan_algorithmE0ELj4294967295EEENS1_25partition_config_selectorILNS1_17partition_subalgoE3EjNS0_10empty_typeEbEEZZNS1_14partition_implILS8_3ELb0ES6_jNS0_17counting_iteratorIjlEEPS9_SE_NS0_5tupleIJPjSE_EEENSF_IJSE_SE_EEES9_SG_JZNS1_25segmented_radix_sort_implINS0_14default_configELb1EPK6__halfPSL_PKlPlN2at6native12_GLOBAL__N_18offset_tEEE10hipError_tPvRmT1_PNSt15iterator_traitsISZ_E10value_typeET2_T3_PNS10_IS15_E10value_typeET4_jRbjT5_S1B_jjP12ihipStream_tbEUljE_EEESW_SX_SY_S15_S19_S1B_T6_T7_T9_mT8_S1D_bDpT10_ENKUlT_T0_E_clISt17integral_constantIbLb1EES1P_IbLb0EEEEDaS1L_S1M_EUlS1L_E_NS1_11comp_targetILNS1_3genE4ELNS1_11target_archE910ELNS1_3gpuE8ELNS1_3repE0EEENS1_30default_config_static_selectorELNS0_4arch9wavefront6targetE0EEEvSZ_, .Lfunc_end1715-_ZN7rocprim17ROCPRIM_400000_NS6detail17trampoline_kernelINS0_13select_configILj256ELj13ELNS0_17block_load_methodE3ELS4_3ELS4_3ELNS0_20block_scan_algorithmE0ELj4294967295EEENS1_25partition_config_selectorILNS1_17partition_subalgoE3EjNS0_10empty_typeEbEEZZNS1_14partition_implILS8_3ELb0ES6_jNS0_17counting_iteratorIjlEEPS9_SE_NS0_5tupleIJPjSE_EEENSF_IJSE_SE_EEES9_SG_JZNS1_25segmented_radix_sort_implINS0_14default_configELb1EPK6__halfPSL_PKlPlN2at6native12_GLOBAL__N_18offset_tEEE10hipError_tPvRmT1_PNSt15iterator_traitsISZ_E10value_typeET2_T3_PNS10_IS15_E10value_typeET4_jRbjT5_S1B_jjP12ihipStream_tbEUljE_EEESW_SX_SY_S15_S19_S1B_T6_T7_T9_mT8_S1D_bDpT10_ENKUlT_T0_E_clISt17integral_constantIbLb1EES1P_IbLb0EEEEDaS1L_S1M_EUlS1L_E_NS1_11comp_targetILNS1_3genE4ELNS1_11target_archE910ELNS1_3gpuE8ELNS1_3repE0EEENS1_30default_config_static_selectorELNS0_4arch9wavefront6targetE0EEEvSZ_
                                        ; -- End function
	.set _ZN7rocprim17ROCPRIM_400000_NS6detail17trampoline_kernelINS0_13select_configILj256ELj13ELNS0_17block_load_methodE3ELS4_3ELS4_3ELNS0_20block_scan_algorithmE0ELj4294967295EEENS1_25partition_config_selectorILNS1_17partition_subalgoE3EjNS0_10empty_typeEbEEZZNS1_14partition_implILS8_3ELb0ES6_jNS0_17counting_iteratorIjlEEPS9_SE_NS0_5tupleIJPjSE_EEENSF_IJSE_SE_EEES9_SG_JZNS1_25segmented_radix_sort_implINS0_14default_configELb1EPK6__halfPSL_PKlPlN2at6native12_GLOBAL__N_18offset_tEEE10hipError_tPvRmT1_PNSt15iterator_traitsISZ_E10value_typeET2_T3_PNS10_IS15_E10value_typeET4_jRbjT5_S1B_jjP12ihipStream_tbEUljE_EEESW_SX_SY_S15_S19_S1B_T6_T7_T9_mT8_S1D_bDpT10_ENKUlT_T0_E_clISt17integral_constantIbLb1EES1P_IbLb0EEEEDaS1L_S1M_EUlS1L_E_NS1_11comp_targetILNS1_3genE4ELNS1_11target_archE910ELNS1_3gpuE8ELNS1_3repE0EEENS1_30default_config_static_selectorELNS0_4arch9wavefront6targetE0EEEvSZ_.num_vgpr, 0
	.set _ZN7rocprim17ROCPRIM_400000_NS6detail17trampoline_kernelINS0_13select_configILj256ELj13ELNS0_17block_load_methodE3ELS4_3ELS4_3ELNS0_20block_scan_algorithmE0ELj4294967295EEENS1_25partition_config_selectorILNS1_17partition_subalgoE3EjNS0_10empty_typeEbEEZZNS1_14partition_implILS8_3ELb0ES6_jNS0_17counting_iteratorIjlEEPS9_SE_NS0_5tupleIJPjSE_EEENSF_IJSE_SE_EEES9_SG_JZNS1_25segmented_radix_sort_implINS0_14default_configELb1EPK6__halfPSL_PKlPlN2at6native12_GLOBAL__N_18offset_tEEE10hipError_tPvRmT1_PNSt15iterator_traitsISZ_E10value_typeET2_T3_PNS10_IS15_E10value_typeET4_jRbjT5_S1B_jjP12ihipStream_tbEUljE_EEESW_SX_SY_S15_S19_S1B_T6_T7_T9_mT8_S1D_bDpT10_ENKUlT_T0_E_clISt17integral_constantIbLb1EES1P_IbLb0EEEEDaS1L_S1M_EUlS1L_E_NS1_11comp_targetILNS1_3genE4ELNS1_11target_archE910ELNS1_3gpuE8ELNS1_3repE0EEENS1_30default_config_static_selectorELNS0_4arch9wavefront6targetE0EEEvSZ_.num_agpr, 0
	.set _ZN7rocprim17ROCPRIM_400000_NS6detail17trampoline_kernelINS0_13select_configILj256ELj13ELNS0_17block_load_methodE3ELS4_3ELS4_3ELNS0_20block_scan_algorithmE0ELj4294967295EEENS1_25partition_config_selectorILNS1_17partition_subalgoE3EjNS0_10empty_typeEbEEZZNS1_14partition_implILS8_3ELb0ES6_jNS0_17counting_iteratorIjlEEPS9_SE_NS0_5tupleIJPjSE_EEENSF_IJSE_SE_EEES9_SG_JZNS1_25segmented_radix_sort_implINS0_14default_configELb1EPK6__halfPSL_PKlPlN2at6native12_GLOBAL__N_18offset_tEEE10hipError_tPvRmT1_PNSt15iterator_traitsISZ_E10value_typeET2_T3_PNS10_IS15_E10value_typeET4_jRbjT5_S1B_jjP12ihipStream_tbEUljE_EEESW_SX_SY_S15_S19_S1B_T6_T7_T9_mT8_S1D_bDpT10_ENKUlT_T0_E_clISt17integral_constantIbLb1EES1P_IbLb0EEEEDaS1L_S1M_EUlS1L_E_NS1_11comp_targetILNS1_3genE4ELNS1_11target_archE910ELNS1_3gpuE8ELNS1_3repE0EEENS1_30default_config_static_selectorELNS0_4arch9wavefront6targetE0EEEvSZ_.numbered_sgpr, 0
	.set _ZN7rocprim17ROCPRIM_400000_NS6detail17trampoline_kernelINS0_13select_configILj256ELj13ELNS0_17block_load_methodE3ELS4_3ELS4_3ELNS0_20block_scan_algorithmE0ELj4294967295EEENS1_25partition_config_selectorILNS1_17partition_subalgoE3EjNS0_10empty_typeEbEEZZNS1_14partition_implILS8_3ELb0ES6_jNS0_17counting_iteratorIjlEEPS9_SE_NS0_5tupleIJPjSE_EEENSF_IJSE_SE_EEES9_SG_JZNS1_25segmented_radix_sort_implINS0_14default_configELb1EPK6__halfPSL_PKlPlN2at6native12_GLOBAL__N_18offset_tEEE10hipError_tPvRmT1_PNSt15iterator_traitsISZ_E10value_typeET2_T3_PNS10_IS15_E10value_typeET4_jRbjT5_S1B_jjP12ihipStream_tbEUljE_EEESW_SX_SY_S15_S19_S1B_T6_T7_T9_mT8_S1D_bDpT10_ENKUlT_T0_E_clISt17integral_constantIbLb1EES1P_IbLb0EEEEDaS1L_S1M_EUlS1L_E_NS1_11comp_targetILNS1_3genE4ELNS1_11target_archE910ELNS1_3gpuE8ELNS1_3repE0EEENS1_30default_config_static_selectorELNS0_4arch9wavefront6targetE0EEEvSZ_.num_named_barrier, 0
	.set _ZN7rocprim17ROCPRIM_400000_NS6detail17trampoline_kernelINS0_13select_configILj256ELj13ELNS0_17block_load_methodE3ELS4_3ELS4_3ELNS0_20block_scan_algorithmE0ELj4294967295EEENS1_25partition_config_selectorILNS1_17partition_subalgoE3EjNS0_10empty_typeEbEEZZNS1_14partition_implILS8_3ELb0ES6_jNS0_17counting_iteratorIjlEEPS9_SE_NS0_5tupleIJPjSE_EEENSF_IJSE_SE_EEES9_SG_JZNS1_25segmented_radix_sort_implINS0_14default_configELb1EPK6__halfPSL_PKlPlN2at6native12_GLOBAL__N_18offset_tEEE10hipError_tPvRmT1_PNSt15iterator_traitsISZ_E10value_typeET2_T3_PNS10_IS15_E10value_typeET4_jRbjT5_S1B_jjP12ihipStream_tbEUljE_EEESW_SX_SY_S15_S19_S1B_T6_T7_T9_mT8_S1D_bDpT10_ENKUlT_T0_E_clISt17integral_constantIbLb1EES1P_IbLb0EEEEDaS1L_S1M_EUlS1L_E_NS1_11comp_targetILNS1_3genE4ELNS1_11target_archE910ELNS1_3gpuE8ELNS1_3repE0EEENS1_30default_config_static_selectorELNS0_4arch9wavefront6targetE0EEEvSZ_.private_seg_size, 0
	.set _ZN7rocprim17ROCPRIM_400000_NS6detail17trampoline_kernelINS0_13select_configILj256ELj13ELNS0_17block_load_methodE3ELS4_3ELS4_3ELNS0_20block_scan_algorithmE0ELj4294967295EEENS1_25partition_config_selectorILNS1_17partition_subalgoE3EjNS0_10empty_typeEbEEZZNS1_14partition_implILS8_3ELb0ES6_jNS0_17counting_iteratorIjlEEPS9_SE_NS0_5tupleIJPjSE_EEENSF_IJSE_SE_EEES9_SG_JZNS1_25segmented_radix_sort_implINS0_14default_configELb1EPK6__halfPSL_PKlPlN2at6native12_GLOBAL__N_18offset_tEEE10hipError_tPvRmT1_PNSt15iterator_traitsISZ_E10value_typeET2_T3_PNS10_IS15_E10value_typeET4_jRbjT5_S1B_jjP12ihipStream_tbEUljE_EEESW_SX_SY_S15_S19_S1B_T6_T7_T9_mT8_S1D_bDpT10_ENKUlT_T0_E_clISt17integral_constantIbLb1EES1P_IbLb0EEEEDaS1L_S1M_EUlS1L_E_NS1_11comp_targetILNS1_3genE4ELNS1_11target_archE910ELNS1_3gpuE8ELNS1_3repE0EEENS1_30default_config_static_selectorELNS0_4arch9wavefront6targetE0EEEvSZ_.uses_vcc, 0
	.set _ZN7rocprim17ROCPRIM_400000_NS6detail17trampoline_kernelINS0_13select_configILj256ELj13ELNS0_17block_load_methodE3ELS4_3ELS4_3ELNS0_20block_scan_algorithmE0ELj4294967295EEENS1_25partition_config_selectorILNS1_17partition_subalgoE3EjNS0_10empty_typeEbEEZZNS1_14partition_implILS8_3ELb0ES6_jNS0_17counting_iteratorIjlEEPS9_SE_NS0_5tupleIJPjSE_EEENSF_IJSE_SE_EEES9_SG_JZNS1_25segmented_radix_sort_implINS0_14default_configELb1EPK6__halfPSL_PKlPlN2at6native12_GLOBAL__N_18offset_tEEE10hipError_tPvRmT1_PNSt15iterator_traitsISZ_E10value_typeET2_T3_PNS10_IS15_E10value_typeET4_jRbjT5_S1B_jjP12ihipStream_tbEUljE_EEESW_SX_SY_S15_S19_S1B_T6_T7_T9_mT8_S1D_bDpT10_ENKUlT_T0_E_clISt17integral_constantIbLb1EES1P_IbLb0EEEEDaS1L_S1M_EUlS1L_E_NS1_11comp_targetILNS1_3genE4ELNS1_11target_archE910ELNS1_3gpuE8ELNS1_3repE0EEENS1_30default_config_static_selectorELNS0_4arch9wavefront6targetE0EEEvSZ_.uses_flat_scratch, 0
	.set _ZN7rocprim17ROCPRIM_400000_NS6detail17trampoline_kernelINS0_13select_configILj256ELj13ELNS0_17block_load_methodE3ELS4_3ELS4_3ELNS0_20block_scan_algorithmE0ELj4294967295EEENS1_25partition_config_selectorILNS1_17partition_subalgoE3EjNS0_10empty_typeEbEEZZNS1_14partition_implILS8_3ELb0ES6_jNS0_17counting_iteratorIjlEEPS9_SE_NS0_5tupleIJPjSE_EEENSF_IJSE_SE_EEES9_SG_JZNS1_25segmented_radix_sort_implINS0_14default_configELb1EPK6__halfPSL_PKlPlN2at6native12_GLOBAL__N_18offset_tEEE10hipError_tPvRmT1_PNSt15iterator_traitsISZ_E10value_typeET2_T3_PNS10_IS15_E10value_typeET4_jRbjT5_S1B_jjP12ihipStream_tbEUljE_EEESW_SX_SY_S15_S19_S1B_T6_T7_T9_mT8_S1D_bDpT10_ENKUlT_T0_E_clISt17integral_constantIbLb1EES1P_IbLb0EEEEDaS1L_S1M_EUlS1L_E_NS1_11comp_targetILNS1_3genE4ELNS1_11target_archE910ELNS1_3gpuE8ELNS1_3repE0EEENS1_30default_config_static_selectorELNS0_4arch9wavefront6targetE0EEEvSZ_.has_dyn_sized_stack, 0
	.set _ZN7rocprim17ROCPRIM_400000_NS6detail17trampoline_kernelINS0_13select_configILj256ELj13ELNS0_17block_load_methodE3ELS4_3ELS4_3ELNS0_20block_scan_algorithmE0ELj4294967295EEENS1_25partition_config_selectorILNS1_17partition_subalgoE3EjNS0_10empty_typeEbEEZZNS1_14partition_implILS8_3ELb0ES6_jNS0_17counting_iteratorIjlEEPS9_SE_NS0_5tupleIJPjSE_EEENSF_IJSE_SE_EEES9_SG_JZNS1_25segmented_radix_sort_implINS0_14default_configELb1EPK6__halfPSL_PKlPlN2at6native12_GLOBAL__N_18offset_tEEE10hipError_tPvRmT1_PNSt15iterator_traitsISZ_E10value_typeET2_T3_PNS10_IS15_E10value_typeET4_jRbjT5_S1B_jjP12ihipStream_tbEUljE_EEESW_SX_SY_S15_S19_S1B_T6_T7_T9_mT8_S1D_bDpT10_ENKUlT_T0_E_clISt17integral_constantIbLb1EES1P_IbLb0EEEEDaS1L_S1M_EUlS1L_E_NS1_11comp_targetILNS1_3genE4ELNS1_11target_archE910ELNS1_3gpuE8ELNS1_3repE0EEENS1_30default_config_static_selectorELNS0_4arch9wavefront6targetE0EEEvSZ_.has_recursion, 0
	.set _ZN7rocprim17ROCPRIM_400000_NS6detail17trampoline_kernelINS0_13select_configILj256ELj13ELNS0_17block_load_methodE3ELS4_3ELS4_3ELNS0_20block_scan_algorithmE0ELj4294967295EEENS1_25partition_config_selectorILNS1_17partition_subalgoE3EjNS0_10empty_typeEbEEZZNS1_14partition_implILS8_3ELb0ES6_jNS0_17counting_iteratorIjlEEPS9_SE_NS0_5tupleIJPjSE_EEENSF_IJSE_SE_EEES9_SG_JZNS1_25segmented_radix_sort_implINS0_14default_configELb1EPK6__halfPSL_PKlPlN2at6native12_GLOBAL__N_18offset_tEEE10hipError_tPvRmT1_PNSt15iterator_traitsISZ_E10value_typeET2_T3_PNS10_IS15_E10value_typeET4_jRbjT5_S1B_jjP12ihipStream_tbEUljE_EEESW_SX_SY_S15_S19_S1B_T6_T7_T9_mT8_S1D_bDpT10_ENKUlT_T0_E_clISt17integral_constantIbLb1EES1P_IbLb0EEEEDaS1L_S1M_EUlS1L_E_NS1_11comp_targetILNS1_3genE4ELNS1_11target_archE910ELNS1_3gpuE8ELNS1_3repE0EEENS1_30default_config_static_selectorELNS0_4arch9wavefront6targetE0EEEvSZ_.has_indirect_call, 0
	.section	.AMDGPU.csdata,"",@progbits
; Kernel info:
; codeLenInByte = 0
; TotalNumSgprs: 0
; NumVgprs: 0
; ScratchSize: 0
; MemoryBound: 0
; FloatMode: 240
; IeeeMode: 1
; LDSByteSize: 0 bytes/workgroup (compile time only)
; SGPRBlocks: 0
; VGPRBlocks: 0
; NumSGPRsForWavesPerEU: 1
; NumVGPRsForWavesPerEU: 1
; Occupancy: 16
; WaveLimiterHint : 0
; COMPUTE_PGM_RSRC2:SCRATCH_EN: 0
; COMPUTE_PGM_RSRC2:USER_SGPR: 6
; COMPUTE_PGM_RSRC2:TRAP_HANDLER: 0
; COMPUTE_PGM_RSRC2:TGID_X_EN: 1
; COMPUTE_PGM_RSRC2:TGID_Y_EN: 0
; COMPUTE_PGM_RSRC2:TGID_Z_EN: 0
; COMPUTE_PGM_RSRC2:TIDIG_COMP_CNT: 0
	.section	.text._ZN7rocprim17ROCPRIM_400000_NS6detail17trampoline_kernelINS0_13select_configILj256ELj13ELNS0_17block_load_methodE3ELS4_3ELS4_3ELNS0_20block_scan_algorithmE0ELj4294967295EEENS1_25partition_config_selectorILNS1_17partition_subalgoE3EjNS0_10empty_typeEbEEZZNS1_14partition_implILS8_3ELb0ES6_jNS0_17counting_iteratorIjlEEPS9_SE_NS0_5tupleIJPjSE_EEENSF_IJSE_SE_EEES9_SG_JZNS1_25segmented_radix_sort_implINS0_14default_configELb1EPK6__halfPSL_PKlPlN2at6native12_GLOBAL__N_18offset_tEEE10hipError_tPvRmT1_PNSt15iterator_traitsISZ_E10value_typeET2_T3_PNS10_IS15_E10value_typeET4_jRbjT5_S1B_jjP12ihipStream_tbEUljE_EEESW_SX_SY_S15_S19_S1B_T6_T7_T9_mT8_S1D_bDpT10_ENKUlT_T0_E_clISt17integral_constantIbLb1EES1P_IbLb0EEEEDaS1L_S1M_EUlS1L_E_NS1_11comp_targetILNS1_3genE3ELNS1_11target_archE908ELNS1_3gpuE7ELNS1_3repE0EEENS1_30default_config_static_selectorELNS0_4arch9wavefront6targetE0EEEvSZ_,"axG",@progbits,_ZN7rocprim17ROCPRIM_400000_NS6detail17trampoline_kernelINS0_13select_configILj256ELj13ELNS0_17block_load_methodE3ELS4_3ELS4_3ELNS0_20block_scan_algorithmE0ELj4294967295EEENS1_25partition_config_selectorILNS1_17partition_subalgoE3EjNS0_10empty_typeEbEEZZNS1_14partition_implILS8_3ELb0ES6_jNS0_17counting_iteratorIjlEEPS9_SE_NS0_5tupleIJPjSE_EEENSF_IJSE_SE_EEES9_SG_JZNS1_25segmented_radix_sort_implINS0_14default_configELb1EPK6__halfPSL_PKlPlN2at6native12_GLOBAL__N_18offset_tEEE10hipError_tPvRmT1_PNSt15iterator_traitsISZ_E10value_typeET2_T3_PNS10_IS15_E10value_typeET4_jRbjT5_S1B_jjP12ihipStream_tbEUljE_EEESW_SX_SY_S15_S19_S1B_T6_T7_T9_mT8_S1D_bDpT10_ENKUlT_T0_E_clISt17integral_constantIbLb1EES1P_IbLb0EEEEDaS1L_S1M_EUlS1L_E_NS1_11comp_targetILNS1_3genE3ELNS1_11target_archE908ELNS1_3gpuE7ELNS1_3repE0EEENS1_30default_config_static_selectorELNS0_4arch9wavefront6targetE0EEEvSZ_,comdat
	.globl	_ZN7rocprim17ROCPRIM_400000_NS6detail17trampoline_kernelINS0_13select_configILj256ELj13ELNS0_17block_load_methodE3ELS4_3ELS4_3ELNS0_20block_scan_algorithmE0ELj4294967295EEENS1_25partition_config_selectorILNS1_17partition_subalgoE3EjNS0_10empty_typeEbEEZZNS1_14partition_implILS8_3ELb0ES6_jNS0_17counting_iteratorIjlEEPS9_SE_NS0_5tupleIJPjSE_EEENSF_IJSE_SE_EEES9_SG_JZNS1_25segmented_radix_sort_implINS0_14default_configELb1EPK6__halfPSL_PKlPlN2at6native12_GLOBAL__N_18offset_tEEE10hipError_tPvRmT1_PNSt15iterator_traitsISZ_E10value_typeET2_T3_PNS10_IS15_E10value_typeET4_jRbjT5_S1B_jjP12ihipStream_tbEUljE_EEESW_SX_SY_S15_S19_S1B_T6_T7_T9_mT8_S1D_bDpT10_ENKUlT_T0_E_clISt17integral_constantIbLb1EES1P_IbLb0EEEEDaS1L_S1M_EUlS1L_E_NS1_11comp_targetILNS1_3genE3ELNS1_11target_archE908ELNS1_3gpuE7ELNS1_3repE0EEENS1_30default_config_static_selectorELNS0_4arch9wavefront6targetE0EEEvSZ_ ; -- Begin function _ZN7rocprim17ROCPRIM_400000_NS6detail17trampoline_kernelINS0_13select_configILj256ELj13ELNS0_17block_load_methodE3ELS4_3ELS4_3ELNS0_20block_scan_algorithmE0ELj4294967295EEENS1_25partition_config_selectorILNS1_17partition_subalgoE3EjNS0_10empty_typeEbEEZZNS1_14partition_implILS8_3ELb0ES6_jNS0_17counting_iteratorIjlEEPS9_SE_NS0_5tupleIJPjSE_EEENSF_IJSE_SE_EEES9_SG_JZNS1_25segmented_radix_sort_implINS0_14default_configELb1EPK6__halfPSL_PKlPlN2at6native12_GLOBAL__N_18offset_tEEE10hipError_tPvRmT1_PNSt15iterator_traitsISZ_E10value_typeET2_T3_PNS10_IS15_E10value_typeET4_jRbjT5_S1B_jjP12ihipStream_tbEUljE_EEESW_SX_SY_S15_S19_S1B_T6_T7_T9_mT8_S1D_bDpT10_ENKUlT_T0_E_clISt17integral_constantIbLb1EES1P_IbLb0EEEEDaS1L_S1M_EUlS1L_E_NS1_11comp_targetILNS1_3genE3ELNS1_11target_archE908ELNS1_3gpuE7ELNS1_3repE0EEENS1_30default_config_static_selectorELNS0_4arch9wavefront6targetE0EEEvSZ_
	.p2align	8
	.type	_ZN7rocprim17ROCPRIM_400000_NS6detail17trampoline_kernelINS0_13select_configILj256ELj13ELNS0_17block_load_methodE3ELS4_3ELS4_3ELNS0_20block_scan_algorithmE0ELj4294967295EEENS1_25partition_config_selectorILNS1_17partition_subalgoE3EjNS0_10empty_typeEbEEZZNS1_14partition_implILS8_3ELb0ES6_jNS0_17counting_iteratorIjlEEPS9_SE_NS0_5tupleIJPjSE_EEENSF_IJSE_SE_EEES9_SG_JZNS1_25segmented_radix_sort_implINS0_14default_configELb1EPK6__halfPSL_PKlPlN2at6native12_GLOBAL__N_18offset_tEEE10hipError_tPvRmT1_PNSt15iterator_traitsISZ_E10value_typeET2_T3_PNS10_IS15_E10value_typeET4_jRbjT5_S1B_jjP12ihipStream_tbEUljE_EEESW_SX_SY_S15_S19_S1B_T6_T7_T9_mT8_S1D_bDpT10_ENKUlT_T0_E_clISt17integral_constantIbLb1EES1P_IbLb0EEEEDaS1L_S1M_EUlS1L_E_NS1_11comp_targetILNS1_3genE3ELNS1_11target_archE908ELNS1_3gpuE7ELNS1_3repE0EEENS1_30default_config_static_selectorELNS0_4arch9wavefront6targetE0EEEvSZ_,@function
_ZN7rocprim17ROCPRIM_400000_NS6detail17trampoline_kernelINS0_13select_configILj256ELj13ELNS0_17block_load_methodE3ELS4_3ELS4_3ELNS0_20block_scan_algorithmE0ELj4294967295EEENS1_25partition_config_selectorILNS1_17partition_subalgoE3EjNS0_10empty_typeEbEEZZNS1_14partition_implILS8_3ELb0ES6_jNS0_17counting_iteratorIjlEEPS9_SE_NS0_5tupleIJPjSE_EEENSF_IJSE_SE_EEES9_SG_JZNS1_25segmented_radix_sort_implINS0_14default_configELb1EPK6__halfPSL_PKlPlN2at6native12_GLOBAL__N_18offset_tEEE10hipError_tPvRmT1_PNSt15iterator_traitsISZ_E10value_typeET2_T3_PNS10_IS15_E10value_typeET4_jRbjT5_S1B_jjP12ihipStream_tbEUljE_EEESW_SX_SY_S15_S19_S1B_T6_T7_T9_mT8_S1D_bDpT10_ENKUlT_T0_E_clISt17integral_constantIbLb1EES1P_IbLb0EEEEDaS1L_S1M_EUlS1L_E_NS1_11comp_targetILNS1_3genE3ELNS1_11target_archE908ELNS1_3gpuE7ELNS1_3repE0EEENS1_30default_config_static_selectorELNS0_4arch9wavefront6targetE0EEEvSZ_: ; @_ZN7rocprim17ROCPRIM_400000_NS6detail17trampoline_kernelINS0_13select_configILj256ELj13ELNS0_17block_load_methodE3ELS4_3ELS4_3ELNS0_20block_scan_algorithmE0ELj4294967295EEENS1_25partition_config_selectorILNS1_17partition_subalgoE3EjNS0_10empty_typeEbEEZZNS1_14partition_implILS8_3ELb0ES6_jNS0_17counting_iteratorIjlEEPS9_SE_NS0_5tupleIJPjSE_EEENSF_IJSE_SE_EEES9_SG_JZNS1_25segmented_radix_sort_implINS0_14default_configELb1EPK6__halfPSL_PKlPlN2at6native12_GLOBAL__N_18offset_tEEE10hipError_tPvRmT1_PNSt15iterator_traitsISZ_E10value_typeET2_T3_PNS10_IS15_E10value_typeET4_jRbjT5_S1B_jjP12ihipStream_tbEUljE_EEESW_SX_SY_S15_S19_S1B_T6_T7_T9_mT8_S1D_bDpT10_ENKUlT_T0_E_clISt17integral_constantIbLb1EES1P_IbLb0EEEEDaS1L_S1M_EUlS1L_E_NS1_11comp_targetILNS1_3genE3ELNS1_11target_archE908ELNS1_3gpuE7ELNS1_3repE0EEENS1_30default_config_static_selectorELNS0_4arch9wavefront6targetE0EEEvSZ_
; %bb.0:
	.section	.rodata,"a",@progbits
	.p2align	6, 0x0
	.amdhsa_kernel _ZN7rocprim17ROCPRIM_400000_NS6detail17trampoline_kernelINS0_13select_configILj256ELj13ELNS0_17block_load_methodE3ELS4_3ELS4_3ELNS0_20block_scan_algorithmE0ELj4294967295EEENS1_25partition_config_selectorILNS1_17partition_subalgoE3EjNS0_10empty_typeEbEEZZNS1_14partition_implILS8_3ELb0ES6_jNS0_17counting_iteratorIjlEEPS9_SE_NS0_5tupleIJPjSE_EEENSF_IJSE_SE_EEES9_SG_JZNS1_25segmented_radix_sort_implINS0_14default_configELb1EPK6__halfPSL_PKlPlN2at6native12_GLOBAL__N_18offset_tEEE10hipError_tPvRmT1_PNSt15iterator_traitsISZ_E10value_typeET2_T3_PNS10_IS15_E10value_typeET4_jRbjT5_S1B_jjP12ihipStream_tbEUljE_EEESW_SX_SY_S15_S19_S1B_T6_T7_T9_mT8_S1D_bDpT10_ENKUlT_T0_E_clISt17integral_constantIbLb1EES1P_IbLb0EEEEDaS1L_S1M_EUlS1L_E_NS1_11comp_targetILNS1_3genE3ELNS1_11target_archE908ELNS1_3gpuE7ELNS1_3repE0EEENS1_30default_config_static_selectorELNS0_4arch9wavefront6targetE0EEEvSZ_
		.amdhsa_group_segment_fixed_size 0
		.amdhsa_private_segment_fixed_size 0
		.amdhsa_kernarg_size 144
		.amdhsa_user_sgpr_count 6
		.amdhsa_user_sgpr_private_segment_buffer 1
		.amdhsa_user_sgpr_dispatch_ptr 0
		.amdhsa_user_sgpr_queue_ptr 0
		.amdhsa_user_sgpr_kernarg_segment_ptr 1
		.amdhsa_user_sgpr_dispatch_id 0
		.amdhsa_user_sgpr_flat_scratch_init 0
		.amdhsa_user_sgpr_private_segment_size 0
		.amdhsa_wavefront_size32 1
		.amdhsa_uses_dynamic_stack 0
		.amdhsa_system_sgpr_private_segment_wavefront_offset 0
		.amdhsa_system_sgpr_workgroup_id_x 1
		.amdhsa_system_sgpr_workgroup_id_y 0
		.amdhsa_system_sgpr_workgroup_id_z 0
		.amdhsa_system_sgpr_workgroup_info 0
		.amdhsa_system_vgpr_workitem_id 0
		.amdhsa_next_free_vgpr 1
		.amdhsa_next_free_sgpr 1
		.amdhsa_reserve_vcc 0
		.amdhsa_reserve_flat_scratch 0
		.amdhsa_float_round_mode_32 0
		.amdhsa_float_round_mode_16_64 0
		.amdhsa_float_denorm_mode_32 3
		.amdhsa_float_denorm_mode_16_64 3
		.amdhsa_dx10_clamp 1
		.amdhsa_ieee_mode 1
		.amdhsa_fp16_overflow 0
		.amdhsa_workgroup_processor_mode 1
		.amdhsa_memory_ordered 1
		.amdhsa_forward_progress 1
		.amdhsa_shared_vgpr_count 0
		.amdhsa_exception_fp_ieee_invalid_op 0
		.amdhsa_exception_fp_denorm_src 0
		.amdhsa_exception_fp_ieee_div_zero 0
		.amdhsa_exception_fp_ieee_overflow 0
		.amdhsa_exception_fp_ieee_underflow 0
		.amdhsa_exception_fp_ieee_inexact 0
		.amdhsa_exception_int_div_zero 0
	.end_amdhsa_kernel
	.section	.text._ZN7rocprim17ROCPRIM_400000_NS6detail17trampoline_kernelINS0_13select_configILj256ELj13ELNS0_17block_load_methodE3ELS4_3ELS4_3ELNS0_20block_scan_algorithmE0ELj4294967295EEENS1_25partition_config_selectorILNS1_17partition_subalgoE3EjNS0_10empty_typeEbEEZZNS1_14partition_implILS8_3ELb0ES6_jNS0_17counting_iteratorIjlEEPS9_SE_NS0_5tupleIJPjSE_EEENSF_IJSE_SE_EEES9_SG_JZNS1_25segmented_radix_sort_implINS0_14default_configELb1EPK6__halfPSL_PKlPlN2at6native12_GLOBAL__N_18offset_tEEE10hipError_tPvRmT1_PNSt15iterator_traitsISZ_E10value_typeET2_T3_PNS10_IS15_E10value_typeET4_jRbjT5_S1B_jjP12ihipStream_tbEUljE_EEESW_SX_SY_S15_S19_S1B_T6_T7_T9_mT8_S1D_bDpT10_ENKUlT_T0_E_clISt17integral_constantIbLb1EES1P_IbLb0EEEEDaS1L_S1M_EUlS1L_E_NS1_11comp_targetILNS1_3genE3ELNS1_11target_archE908ELNS1_3gpuE7ELNS1_3repE0EEENS1_30default_config_static_selectorELNS0_4arch9wavefront6targetE0EEEvSZ_,"axG",@progbits,_ZN7rocprim17ROCPRIM_400000_NS6detail17trampoline_kernelINS0_13select_configILj256ELj13ELNS0_17block_load_methodE3ELS4_3ELS4_3ELNS0_20block_scan_algorithmE0ELj4294967295EEENS1_25partition_config_selectorILNS1_17partition_subalgoE3EjNS0_10empty_typeEbEEZZNS1_14partition_implILS8_3ELb0ES6_jNS0_17counting_iteratorIjlEEPS9_SE_NS0_5tupleIJPjSE_EEENSF_IJSE_SE_EEES9_SG_JZNS1_25segmented_radix_sort_implINS0_14default_configELb1EPK6__halfPSL_PKlPlN2at6native12_GLOBAL__N_18offset_tEEE10hipError_tPvRmT1_PNSt15iterator_traitsISZ_E10value_typeET2_T3_PNS10_IS15_E10value_typeET4_jRbjT5_S1B_jjP12ihipStream_tbEUljE_EEESW_SX_SY_S15_S19_S1B_T6_T7_T9_mT8_S1D_bDpT10_ENKUlT_T0_E_clISt17integral_constantIbLb1EES1P_IbLb0EEEEDaS1L_S1M_EUlS1L_E_NS1_11comp_targetILNS1_3genE3ELNS1_11target_archE908ELNS1_3gpuE7ELNS1_3repE0EEENS1_30default_config_static_selectorELNS0_4arch9wavefront6targetE0EEEvSZ_,comdat
.Lfunc_end1716:
	.size	_ZN7rocprim17ROCPRIM_400000_NS6detail17trampoline_kernelINS0_13select_configILj256ELj13ELNS0_17block_load_methodE3ELS4_3ELS4_3ELNS0_20block_scan_algorithmE0ELj4294967295EEENS1_25partition_config_selectorILNS1_17partition_subalgoE3EjNS0_10empty_typeEbEEZZNS1_14partition_implILS8_3ELb0ES6_jNS0_17counting_iteratorIjlEEPS9_SE_NS0_5tupleIJPjSE_EEENSF_IJSE_SE_EEES9_SG_JZNS1_25segmented_radix_sort_implINS0_14default_configELb1EPK6__halfPSL_PKlPlN2at6native12_GLOBAL__N_18offset_tEEE10hipError_tPvRmT1_PNSt15iterator_traitsISZ_E10value_typeET2_T3_PNS10_IS15_E10value_typeET4_jRbjT5_S1B_jjP12ihipStream_tbEUljE_EEESW_SX_SY_S15_S19_S1B_T6_T7_T9_mT8_S1D_bDpT10_ENKUlT_T0_E_clISt17integral_constantIbLb1EES1P_IbLb0EEEEDaS1L_S1M_EUlS1L_E_NS1_11comp_targetILNS1_3genE3ELNS1_11target_archE908ELNS1_3gpuE7ELNS1_3repE0EEENS1_30default_config_static_selectorELNS0_4arch9wavefront6targetE0EEEvSZ_, .Lfunc_end1716-_ZN7rocprim17ROCPRIM_400000_NS6detail17trampoline_kernelINS0_13select_configILj256ELj13ELNS0_17block_load_methodE3ELS4_3ELS4_3ELNS0_20block_scan_algorithmE0ELj4294967295EEENS1_25partition_config_selectorILNS1_17partition_subalgoE3EjNS0_10empty_typeEbEEZZNS1_14partition_implILS8_3ELb0ES6_jNS0_17counting_iteratorIjlEEPS9_SE_NS0_5tupleIJPjSE_EEENSF_IJSE_SE_EEES9_SG_JZNS1_25segmented_radix_sort_implINS0_14default_configELb1EPK6__halfPSL_PKlPlN2at6native12_GLOBAL__N_18offset_tEEE10hipError_tPvRmT1_PNSt15iterator_traitsISZ_E10value_typeET2_T3_PNS10_IS15_E10value_typeET4_jRbjT5_S1B_jjP12ihipStream_tbEUljE_EEESW_SX_SY_S15_S19_S1B_T6_T7_T9_mT8_S1D_bDpT10_ENKUlT_T0_E_clISt17integral_constantIbLb1EES1P_IbLb0EEEEDaS1L_S1M_EUlS1L_E_NS1_11comp_targetILNS1_3genE3ELNS1_11target_archE908ELNS1_3gpuE7ELNS1_3repE0EEENS1_30default_config_static_selectorELNS0_4arch9wavefront6targetE0EEEvSZ_
                                        ; -- End function
	.set _ZN7rocprim17ROCPRIM_400000_NS6detail17trampoline_kernelINS0_13select_configILj256ELj13ELNS0_17block_load_methodE3ELS4_3ELS4_3ELNS0_20block_scan_algorithmE0ELj4294967295EEENS1_25partition_config_selectorILNS1_17partition_subalgoE3EjNS0_10empty_typeEbEEZZNS1_14partition_implILS8_3ELb0ES6_jNS0_17counting_iteratorIjlEEPS9_SE_NS0_5tupleIJPjSE_EEENSF_IJSE_SE_EEES9_SG_JZNS1_25segmented_radix_sort_implINS0_14default_configELb1EPK6__halfPSL_PKlPlN2at6native12_GLOBAL__N_18offset_tEEE10hipError_tPvRmT1_PNSt15iterator_traitsISZ_E10value_typeET2_T3_PNS10_IS15_E10value_typeET4_jRbjT5_S1B_jjP12ihipStream_tbEUljE_EEESW_SX_SY_S15_S19_S1B_T6_T7_T9_mT8_S1D_bDpT10_ENKUlT_T0_E_clISt17integral_constantIbLb1EES1P_IbLb0EEEEDaS1L_S1M_EUlS1L_E_NS1_11comp_targetILNS1_3genE3ELNS1_11target_archE908ELNS1_3gpuE7ELNS1_3repE0EEENS1_30default_config_static_selectorELNS0_4arch9wavefront6targetE0EEEvSZ_.num_vgpr, 0
	.set _ZN7rocprim17ROCPRIM_400000_NS6detail17trampoline_kernelINS0_13select_configILj256ELj13ELNS0_17block_load_methodE3ELS4_3ELS4_3ELNS0_20block_scan_algorithmE0ELj4294967295EEENS1_25partition_config_selectorILNS1_17partition_subalgoE3EjNS0_10empty_typeEbEEZZNS1_14partition_implILS8_3ELb0ES6_jNS0_17counting_iteratorIjlEEPS9_SE_NS0_5tupleIJPjSE_EEENSF_IJSE_SE_EEES9_SG_JZNS1_25segmented_radix_sort_implINS0_14default_configELb1EPK6__halfPSL_PKlPlN2at6native12_GLOBAL__N_18offset_tEEE10hipError_tPvRmT1_PNSt15iterator_traitsISZ_E10value_typeET2_T3_PNS10_IS15_E10value_typeET4_jRbjT5_S1B_jjP12ihipStream_tbEUljE_EEESW_SX_SY_S15_S19_S1B_T6_T7_T9_mT8_S1D_bDpT10_ENKUlT_T0_E_clISt17integral_constantIbLb1EES1P_IbLb0EEEEDaS1L_S1M_EUlS1L_E_NS1_11comp_targetILNS1_3genE3ELNS1_11target_archE908ELNS1_3gpuE7ELNS1_3repE0EEENS1_30default_config_static_selectorELNS0_4arch9wavefront6targetE0EEEvSZ_.num_agpr, 0
	.set _ZN7rocprim17ROCPRIM_400000_NS6detail17trampoline_kernelINS0_13select_configILj256ELj13ELNS0_17block_load_methodE3ELS4_3ELS4_3ELNS0_20block_scan_algorithmE0ELj4294967295EEENS1_25partition_config_selectorILNS1_17partition_subalgoE3EjNS0_10empty_typeEbEEZZNS1_14partition_implILS8_3ELb0ES6_jNS0_17counting_iteratorIjlEEPS9_SE_NS0_5tupleIJPjSE_EEENSF_IJSE_SE_EEES9_SG_JZNS1_25segmented_radix_sort_implINS0_14default_configELb1EPK6__halfPSL_PKlPlN2at6native12_GLOBAL__N_18offset_tEEE10hipError_tPvRmT1_PNSt15iterator_traitsISZ_E10value_typeET2_T3_PNS10_IS15_E10value_typeET4_jRbjT5_S1B_jjP12ihipStream_tbEUljE_EEESW_SX_SY_S15_S19_S1B_T6_T7_T9_mT8_S1D_bDpT10_ENKUlT_T0_E_clISt17integral_constantIbLb1EES1P_IbLb0EEEEDaS1L_S1M_EUlS1L_E_NS1_11comp_targetILNS1_3genE3ELNS1_11target_archE908ELNS1_3gpuE7ELNS1_3repE0EEENS1_30default_config_static_selectorELNS0_4arch9wavefront6targetE0EEEvSZ_.numbered_sgpr, 0
	.set _ZN7rocprim17ROCPRIM_400000_NS6detail17trampoline_kernelINS0_13select_configILj256ELj13ELNS0_17block_load_methodE3ELS4_3ELS4_3ELNS0_20block_scan_algorithmE0ELj4294967295EEENS1_25partition_config_selectorILNS1_17partition_subalgoE3EjNS0_10empty_typeEbEEZZNS1_14partition_implILS8_3ELb0ES6_jNS0_17counting_iteratorIjlEEPS9_SE_NS0_5tupleIJPjSE_EEENSF_IJSE_SE_EEES9_SG_JZNS1_25segmented_radix_sort_implINS0_14default_configELb1EPK6__halfPSL_PKlPlN2at6native12_GLOBAL__N_18offset_tEEE10hipError_tPvRmT1_PNSt15iterator_traitsISZ_E10value_typeET2_T3_PNS10_IS15_E10value_typeET4_jRbjT5_S1B_jjP12ihipStream_tbEUljE_EEESW_SX_SY_S15_S19_S1B_T6_T7_T9_mT8_S1D_bDpT10_ENKUlT_T0_E_clISt17integral_constantIbLb1EES1P_IbLb0EEEEDaS1L_S1M_EUlS1L_E_NS1_11comp_targetILNS1_3genE3ELNS1_11target_archE908ELNS1_3gpuE7ELNS1_3repE0EEENS1_30default_config_static_selectorELNS0_4arch9wavefront6targetE0EEEvSZ_.num_named_barrier, 0
	.set _ZN7rocprim17ROCPRIM_400000_NS6detail17trampoline_kernelINS0_13select_configILj256ELj13ELNS0_17block_load_methodE3ELS4_3ELS4_3ELNS0_20block_scan_algorithmE0ELj4294967295EEENS1_25partition_config_selectorILNS1_17partition_subalgoE3EjNS0_10empty_typeEbEEZZNS1_14partition_implILS8_3ELb0ES6_jNS0_17counting_iteratorIjlEEPS9_SE_NS0_5tupleIJPjSE_EEENSF_IJSE_SE_EEES9_SG_JZNS1_25segmented_radix_sort_implINS0_14default_configELb1EPK6__halfPSL_PKlPlN2at6native12_GLOBAL__N_18offset_tEEE10hipError_tPvRmT1_PNSt15iterator_traitsISZ_E10value_typeET2_T3_PNS10_IS15_E10value_typeET4_jRbjT5_S1B_jjP12ihipStream_tbEUljE_EEESW_SX_SY_S15_S19_S1B_T6_T7_T9_mT8_S1D_bDpT10_ENKUlT_T0_E_clISt17integral_constantIbLb1EES1P_IbLb0EEEEDaS1L_S1M_EUlS1L_E_NS1_11comp_targetILNS1_3genE3ELNS1_11target_archE908ELNS1_3gpuE7ELNS1_3repE0EEENS1_30default_config_static_selectorELNS0_4arch9wavefront6targetE0EEEvSZ_.private_seg_size, 0
	.set _ZN7rocprim17ROCPRIM_400000_NS6detail17trampoline_kernelINS0_13select_configILj256ELj13ELNS0_17block_load_methodE3ELS4_3ELS4_3ELNS0_20block_scan_algorithmE0ELj4294967295EEENS1_25partition_config_selectorILNS1_17partition_subalgoE3EjNS0_10empty_typeEbEEZZNS1_14partition_implILS8_3ELb0ES6_jNS0_17counting_iteratorIjlEEPS9_SE_NS0_5tupleIJPjSE_EEENSF_IJSE_SE_EEES9_SG_JZNS1_25segmented_radix_sort_implINS0_14default_configELb1EPK6__halfPSL_PKlPlN2at6native12_GLOBAL__N_18offset_tEEE10hipError_tPvRmT1_PNSt15iterator_traitsISZ_E10value_typeET2_T3_PNS10_IS15_E10value_typeET4_jRbjT5_S1B_jjP12ihipStream_tbEUljE_EEESW_SX_SY_S15_S19_S1B_T6_T7_T9_mT8_S1D_bDpT10_ENKUlT_T0_E_clISt17integral_constantIbLb1EES1P_IbLb0EEEEDaS1L_S1M_EUlS1L_E_NS1_11comp_targetILNS1_3genE3ELNS1_11target_archE908ELNS1_3gpuE7ELNS1_3repE0EEENS1_30default_config_static_selectorELNS0_4arch9wavefront6targetE0EEEvSZ_.uses_vcc, 0
	.set _ZN7rocprim17ROCPRIM_400000_NS6detail17trampoline_kernelINS0_13select_configILj256ELj13ELNS0_17block_load_methodE3ELS4_3ELS4_3ELNS0_20block_scan_algorithmE0ELj4294967295EEENS1_25partition_config_selectorILNS1_17partition_subalgoE3EjNS0_10empty_typeEbEEZZNS1_14partition_implILS8_3ELb0ES6_jNS0_17counting_iteratorIjlEEPS9_SE_NS0_5tupleIJPjSE_EEENSF_IJSE_SE_EEES9_SG_JZNS1_25segmented_radix_sort_implINS0_14default_configELb1EPK6__halfPSL_PKlPlN2at6native12_GLOBAL__N_18offset_tEEE10hipError_tPvRmT1_PNSt15iterator_traitsISZ_E10value_typeET2_T3_PNS10_IS15_E10value_typeET4_jRbjT5_S1B_jjP12ihipStream_tbEUljE_EEESW_SX_SY_S15_S19_S1B_T6_T7_T9_mT8_S1D_bDpT10_ENKUlT_T0_E_clISt17integral_constantIbLb1EES1P_IbLb0EEEEDaS1L_S1M_EUlS1L_E_NS1_11comp_targetILNS1_3genE3ELNS1_11target_archE908ELNS1_3gpuE7ELNS1_3repE0EEENS1_30default_config_static_selectorELNS0_4arch9wavefront6targetE0EEEvSZ_.uses_flat_scratch, 0
	.set _ZN7rocprim17ROCPRIM_400000_NS6detail17trampoline_kernelINS0_13select_configILj256ELj13ELNS0_17block_load_methodE3ELS4_3ELS4_3ELNS0_20block_scan_algorithmE0ELj4294967295EEENS1_25partition_config_selectorILNS1_17partition_subalgoE3EjNS0_10empty_typeEbEEZZNS1_14partition_implILS8_3ELb0ES6_jNS0_17counting_iteratorIjlEEPS9_SE_NS0_5tupleIJPjSE_EEENSF_IJSE_SE_EEES9_SG_JZNS1_25segmented_radix_sort_implINS0_14default_configELb1EPK6__halfPSL_PKlPlN2at6native12_GLOBAL__N_18offset_tEEE10hipError_tPvRmT1_PNSt15iterator_traitsISZ_E10value_typeET2_T3_PNS10_IS15_E10value_typeET4_jRbjT5_S1B_jjP12ihipStream_tbEUljE_EEESW_SX_SY_S15_S19_S1B_T6_T7_T9_mT8_S1D_bDpT10_ENKUlT_T0_E_clISt17integral_constantIbLb1EES1P_IbLb0EEEEDaS1L_S1M_EUlS1L_E_NS1_11comp_targetILNS1_3genE3ELNS1_11target_archE908ELNS1_3gpuE7ELNS1_3repE0EEENS1_30default_config_static_selectorELNS0_4arch9wavefront6targetE0EEEvSZ_.has_dyn_sized_stack, 0
	.set _ZN7rocprim17ROCPRIM_400000_NS6detail17trampoline_kernelINS0_13select_configILj256ELj13ELNS0_17block_load_methodE3ELS4_3ELS4_3ELNS0_20block_scan_algorithmE0ELj4294967295EEENS1_25partition_config_selectorILNS1_17partition_subalgoE3EjNS0_10empty_typeEbEEZZNS1_14partition_implILS8_3ELb0ES6_jNS0_17counting_iteratorIjlEEPS9_SE_NS0_5tupleIJPjSE_EEENSF_IJSE_SE_EEES9_SG_JZNS1_25segmented_radix_sort_implINS0_14default_configELb1EPK6__halfPSL_PKlPlN2at6native12_GLOBAL__N_18offset_tEEE10hipError_tPvRmT1_PNSt15iterator_traitsISZ_E10value_typeET2_T3_PNS10_IS15_E10value_typeET4_jRbjT5_S1B_jjP12ihipStream_tbEUljE_EEESW_SX_SY_S15_S19_S1B_T6_T7_T9_mT8_S1D_bDpT10_ENKUlT_T0_E_clISt17integral_constantIbLb1EES1P_IbLb0EEEEDaS1L_S1M_EUlS1L_E_NS1_11comp_targetILNS1_3genE3ELNS1_11target_archE908ELNS1_3gpuE7ELNS1_3repE0EEENS1_30default_config_static_selectorELNS0_4arch9wavefront6targetE0EEEvSZ_.has_recursion, 0
	.set _ZN7rocprim17ROCPRIM_400000_NS6detail17trampoline_kernelINS0_13select_configILj256ELj13ELNS0_17block_load_methodE3ELS4_3ELS4_3ELNS0_20block_scan_algorithmE0ELj4294967295EEENS1_25partition_config_selectorILNS1_17partition_subalgoE3EjNS0_10empty_typeEbEEZZNS1_14partition_implILS8_3ELb0ES6_jNS0_17counting_iteratorIjlEEPS9_SE_NS0_5tupleIJPjSE_EEENSF_IJSE_SE_EEES9_SG_JZNS1_25segmented_radix_sort_implINS0_14default_configELb1EPK6__halfPSL_PKlPlN2at6native12_GLOBAL__N_18offset_tEEE10hipError_tPvRmT1_PNSt15iterator_traitsISZ_E10value_typeET2_T3_PNS10_IS15_E10value_typeET4_jRbjT5_S1B_jjP12ihipStream_tbEUljE_EEESW_SX_SY_S15_S19_S1B_T6_T7_T9_mT8_S1D_bDpT10_ENKUlT_T0_E_clISt17integral_constantIbLb1EES1P_IbLb0EEEEDaS1L_S1M_EUlS1L_E_NS1_11comp_targetILNS1_3genE3ELNS1_11target_archE908ELNS1_3gpuE7ELNS1_3repE0EEENS1_30default_config_static_selectorELNS0_4arch9wavefront6targetE0EEEvSZ_.has_indirect_call, 0
	.section	.AMDGPU.csdata,"",@progbits
; Kernel info:
; codeLenInByte = 0
; TotalNumSgprs: 0
; NumVgprs: 0
; ScratchSize: 0
; MemoryBound: 0
; FloatMode: 240
; IeeeMode: 1
; LDSByteSize: 0 bytes/workgroup (compile time only)
; SGPRBlocks: 0
; VGPRBlocks: 0
; NumSGPRsForWavesPerEU: 1
; NumVGPRsForWavesPerEU: 1
; Occupancy: 16
; WaveLimiterHint : 0
; COMPUTE_PGM_RSRC2:SCRATCH_EN: 0
; COMPUTE_PGM_RSRC2:USER_SGPR: 6
; COMPUTE_PGM_RSRC2:TRAP_HANDLER: 0
; COMPUTE_PGM_RSRC2:TGID_X_EN: 1
; COMPUTE_PGM_RSRC2:TGID_Y_EN: 0
; COMPUTE_PGM_RSRC2:TGID_Z_EN: 0
; COMPUTE_PGM_RSRC2:TIDIG_COMP_CNT: 0
	.section	.text._ZN7rocprim17ROCPRIM_400000_NS6detail17trampoline_kernelINS0_13select_configILj256ELj13ELNS0_17block_load_methodE3ELS4_3ELS4_3ELNS0_20block_scan_algorithmE0ELj4294967295EEENS1_25partition_config_selectorILNS1_17partition_subalgoE3EjNS0_10empty_typeEbEEZZNS1_14partition_implILS8_3ELb0ES6_jNS0_17counting_iteratorIjlEEPS9_SE_NS0_5tupleIJPjSE_EEENSF_IJSE_SE_EEES9_SG_JZNS1_25segmented_radix_sort_implINS0_14default_configELb1EPK6__halfPSL_PKlPlN2at6native12_GLOBAL__N_18offset_tEEE10hipError_tPvRmT1_PNSt15iterator_traitsISZ_E10value_typeET2_T3_PNS10_IS15_E10value_typeET4_jRbjT5_S1B_jjP12ihipStream_tbEUljE_EEESW_SX_SY_S15_S19_S1B_T6_T7_T9_mT8_S1D_bDpT10_ENKUlT_T0_E_clISt17integral_constantIbLb1EES1P_IbLb0EEEEDaS1L_S1M_EUlS1L_E_NS1_11comp_targetILNS1_3genE2ELNS1_11target_archE906ELNS1_3gpuE6ELNS1_3repE0EEENS1_30default_config_static_selectorELNS0_4arch9wavefront6targetE0EEEvSZ_,"axG",@progbits,_ZN7rocprim17ROCPRIM_400000_NS6detail17trampoline_kernelINS0_13select_configILj256ELj13ELNS0_17block_load_methodE3ELS4_3ELS4_3ELNS0_20block_scan_algorithmE0ELj4294967295EEENS1_25partition_config_selectorILNS1_17partition_subalgoE3EjNS0_10empty_typeEbEEZZNS1_14partition_implILS8_3ELb0ES6_jNS0_17counting_iteratorIjlEEPS9_SE_NS0_5tupleIJPjSE_EEENSF_IJSE_SE_EEES9_SG_JZNS1_25segmented_radix_sort_implINS0_14default_configELb1EPK6__halfPSL_PKlPlN2at6native12_GLOBAL__N_18offset_tEEE10hipError_tPvRmT1_PNSt15iterator_traitsISZ_E10value_typeET2_T3_PNS10_IS15_E10value_typeET4_jRbjT5_S1B_jjP12ihipStream_tbEUljE_EEESW_SX_SY_S15_S19_S1B_T6_T7_T9_mT8_S1D_bDpT10_ENKUlT_T0_E_clISt17integral_constantIbLb1EES1P_IbLb0EEEEDaS1L_S1M_EUlS1L_E_NS1_11comp_targetILNS1_3genE2ELNS1_11target_archE906ELNS1_3gpuE6ELNS1_3repE0EEENS1_30default_config_static_selectorELNS0_4arch9wavefront6targetE0EEEvSZ_,comdat
	.globl	_ZN7rocprim17ROCPRIM_400000_NS6detail17trampoline_kernelINS0_13select_configILj256ELj13ELNS0_17block_load_methodE3ELS4_3ELS4_3ELNS0_20block_scan_algorithmE0ELj4294967295EEENS1_25partition_config_selectorILNS1_17partition_subalgoE3EjNS0_10empty_typeEbEEZZNS1_14partition_implILS8_3ELb0ES6_jNS0_17counting_iteratorIjlEEPS9_SE_NS0_5tupleIJPjSE_EEENSF_IJSE_SE_EEES9_SG_JZNS1_25segmented_radix_sort_implINS0_14default_configELb1EPK6__halfPSL_PKlPlN2at6native12_GLOBAL__N_18offset_tEEE10hipError_tPvRmT1_PNSt15iterator_traitsISZ_E10value_typeET2_T3_PNS10_IS15_E10value_typeET4_jRbjT5_S1B_jjP12ihipStream_tbEUljE_EEESW_SX_SY_S15_S19_S1B_T6_T7_T9_mT8_S1D_bDpT10_ENKUlT_T0_E_clISt17integral_constantIbLb1EES1P_IbLb0EEEEDaS1L_S1M_EUlS1L_E_NS1_11comp_targetILNS1_3genE2ELNS1_11target_archE906ELNS1_3gpuE6ELNS1_3repE0EEENS1_30default_config_static_selectorELNS0_4arch9wavefront6targetE0EEEvSZ_ ; -- Begin function _ZN7rocprim17ROCPRIM_400000_NS6detail17trampoline_kernelINS0_13select_configILj256ELj13ELNS0_17block_load_methodE3ELS4_3ELS4_3ELNS0_20block_scan_algorithmE0ELj4294967295EEENS1_25partition_config_selectorILNS1_17partition_subalgoE3EjNS0_10empty_typeEbEEZZNS1_14partition_implILS8_3ELb0ES6_jNS0_17counting_iteratorIjlEEPS9_SE_NS0_5tupleIJPjSE_EEENSF_IJSE_SE_EEES9_SG_JZNS1_25segmented_radix_sort_implINS0_14default_configELb1EPK6__halfPSL_PKlPlN2at6native12_GLOBAL__N_18offset_tEEE10hipError_tPvRmT1_PNSt15iterator_traitsISZ_E10value_typeET2_T3_PNS10_IS15_E10value_typeET4_jRbjT5_S1B_jjP12ihipStream_tbEUljE_EEESW_SX_SY_S15_S19_S1B_T6_T7_T9_mT8_S1D_bDpT10_ENKUlT_T0_E_clISt17integral_constantIbLb1EES1P_IbLb0EEEEDaS1L_S1M_EUlS1L_E_NS1_11comp_targetILNS1_3genE2ELNS1_11target_archE906ELNS1_3gpuE6ELNS1_3repE0EEENS1_30default_config_static_selectorELNS0_4arch9wavefront6targetE0EEEvSZ_
	.p2align	8
	.type	_ZN7rocprim17ROCPRIM_400000_NS6detail17trampoline_kernelINS0_13select_configILj256ELj13ELNS0_17block_load_methodE3ELS4_3ELS4_3ELNS0_20block_scan_algorithmE0ELj4294967295EEENS1_25partition_config_selectorILNS1_17partition_subalgoE3EjNS0_10empty_typeEbEEZZNS1_14partition_implILS8_3ELb0ES6_jNS0_17counting_iteratorIjlEEPS9_SE_NS0_5tupleIJPjSE_EEENSF_IJSE_SE_EEES9_SG_JZNS1_25segmented_radix_sort_implINS0_14default_configELb1EPK6__halfPSL_PKlPlN2at6native12_GLOBAL__N_18offset_tEEE10hipError_tPvRmT1_PNSt15iterator_traitsISZ_E10value_typeET2_T3_PNS10_IS15_E10value_typeET4_jRbjT5_S1B_jjP12ihipStream_tbEUljE_EEESW_SX_SY_S15_S19_S1B_T6_T7_T9_mT8_S1D_bDpT10_ENKUlT_T0_E_clISt17integral_constantIbLb1EES1P_IbLb0EEEEDaS1L_S1M_EUlS1L_E_NS1_11comp_targetILNS1_3genE2ELNS1_11target_archE906ELNS1_3gpuE6ELNS1_3repE0EEENS1_30default_config_static_selectorELNS0_4arch9wavefront6targetE0EEEvSZ_,@function
_ZN7rocprim17ROCPRIM_400000_NS6detail17trampoline_kernelINS0_13select_configILj256ELj13ELNS0_17block_load_methodE3ELS4_3ELS4_3ELNS0_20block_scan_algorithmE0ELj4294967295EEENS1_25partition_config_selectorILNS1_17partition_subalgoE3EjNS0_10empty_typeEbEEZZNS1_14partition_implILS8_3ELb0ES6_jNS0_17counting_iteratorIjlEEPS9_SE_NS0_5tupleIJPjSE_EEENSF_IJSE_SE_EEES9_SG_JZNS1_25segmented_radix_sort_implINS0_14default_configELb1EPK6__halfPSL_PKlPlN2at6native12_GLOBAL__N_18offset_tEEE10hipError_tPvRmT1_PNSt15iterator_traitsISZ_E10value_typeET2_T3_PNS10_IS15_E10value_typeET4_jRbjT5_S1B_jjP12ihipStream_tbEUljE_EEESW_SX_SY_S15_S19_S1B_T6_T7_T9_mT8_S1D_bDpT10_ENKUlT_T0_E_clISt17integral_constantIbLb1EES1P_IbLb0EEEEDaS1L_S1M_EUlS1L_E_NS1_11comp_targetILNS1_3genE2ELNS1_11target_archE906ELNS1_3gpuE6ELNS1_3repE0EEENS1_30default_config_static_selectorELNS0_4arch9wavefront6targetE0EEEvSZ_: ; @_ZN7rocprim17ROCPRIM_400000_NS6detail17trampoline_kernelINS0_13select_configILj256ELj13ELNS0_17block_load_methodE3ELS4_3ELS4_3ELNS0_20block_scan_algorithmE0ELj4294967295EEENS1_25partition_config_selectorILNS1_17partition_subalgoE3EjNS0_10empty_typeEbEEZZNS1_14partition_implILS8_3ELb0ES6_jNS0_17counting_iteratorIjlEEPS9_SE_NS0_5tupleIJPjSE_EEENSF_IJSE_SE_EEES9_SG_JZNS1_25segmented_radix_sort_implINS0_14default_configELb1EPK6__halfPSL_PKlPlN2at6native12_GLOBAL__N_18offset_tEEE10hipError_tPvRmT1_PNSt15iterator_traitsISZ_E10value_typeET2_T3_PNS10_IS15_E10value_typeET4_jRbjT5_S1B_jjP12ihipStream_tbEUljE_EEESW_SX_SY_S15_S19_S1B_T6_T7_T9_mT8_S1D_bDpT10_ENKUlT_T0_E_clISt17integral_constantIbLb1EES1P_IbLb0EEEEDaS1L_S1M_EUlS1L_E_NS1_11comp_targetILNS1_3genE2ELNS1_11target_archE906ELNS1_3gpuE6ELNS1_3repE0EEENS1_30default_config_static_selectorELNS0_4arch9wavefront6targetE0EEEvSZ_
; %bb.0:
	.section	.rodata,"a",@progbits
	.p2align	6, 0x0
	.amdhsa_kernel _ZN7rocprim17ROCPRIM_400000_NS6detail17trampoline_kernelINS0_13select_configILj256ELj13ELNS0_17block_load_methodE3ELS4_3ELS4_3ELNS0_20block_scan_algorithmE0ELj4294967295EEENS1_25partition_config_selectorILNS1_17partition_subalgoE3EjNS0_10empty_typeEbEEZZNS1_14partition_implILS8_3ELb0ES6_jNS0_17counting_iteratorIjlEEPS9_SE_NS0_5tupleIJPjSE_EEENSF_IJSE_SE_EEES9_SG_JZNS1_25segmented_radix_sort_implINS0_14default_configELb1EPK6__halfPSL_PKlPlN2at6native12_GLOBAL__N_18offset_tEEE10hipError_tPvRmT1_PNSt15iterator_traitsISZ_E10value_typeET2_T3_PNS10_IS15_E10value_typeET4_jRbjT5_S1B_jjP12ihipStream_tbEUljE_EEESW_SX_SY_S15_S19_S1B_T6_T7_T9_mT8_S1D_bDpT10_ENKUlT_T0_E_clISt17integral_constantIbLb1EES1P_IbLb0EEEEDaS1L_S1M_EUlS1L_E_NS1_11comp_targetILNS1_3genE2ELNS1_11target_archE906ELNS1_3gpuE6ELNS1_3repE0EEENS1_30default_config_static_selectorELNS0_4arch9wavefront6targetE0EEEvSZ_
		.amdhsa_group_segment_fixed_size 0
		.amdhsa_private_segment_fixed_size 0
		.amdhsa_kernarg_size 144
		.amdhsa_user_sgpr_count 6
		.amdhsa_user_sgpr_private_segment_buffer 1
		.amdhsa_user_sgpr_dispatch_ptr 0
		.amdhsa_user_sgpr_queue_ptr 0
		.amdhsa_user_sgpr_kernarg_segment_ptr 1
		.amdhsa_user_sgpr_dispatch_id 0
		.amdhsa_user_sgpr_flat_scratch_init 0
		.amdhsa_user_sgpr_private_segment_size 0
		.amdhsa_wavefront_size32 1
		.amdhsa_uses_dynamic_stack 0
		.amdhsa_system_sgpr_private_segment_wavefront_offset 0
		.amdhsa_system_sgpr_workgroup_id_x 1
		.amdhsa_system_sgpr_workgroup_id_y 0
		.amdhsa_system_sgpr_workgroup_id_z 0
		.amdhsa_system_sgpr_workgroup_info 0
		.amdhsa_system_vgpr_workitem_id 0
		.amdhsa_next_free_vgpr 1
		.amdhsa_next_free_sgpr 1
		.amdhsa_reserve_vcc 0
		.amdhsa_reserve_flat_scratch 0
		.amdhsa_float_round_mode_32 0
		.amdhsa_float_round_mode_16_64 0
		.amdhsa_float_denorm_mode_32 3
		.amdhsa_float_denorm_mode_16_64 3
		.amdhsa_dx10_clamp 1
		.amdhsa_ieee_mode 1
		.amdhsa_fp16_overflow 0
		.amdhsa_workgroup_processor_mode 1
		.amdhsa_memory_ordered 1
		.amdhsa_forward_progress 1
		.amdhsa_shared_vgpr_count 0
		.amdhsa_exception_fp_ieee_invalid_op 0
		.amdhsa_exception_fp_denorm_src 0
		.amdhsa_exception_fp_ieee_div_zero 0
		.amdhsa_exception_fp_ieee_overflow 0
		.amdhsa_exception_fp_ieee_underflow 0
		.amdhsa_exception_fp_ieee_inexact 0
		.amdhsa_exception_int_div_zero 0
	.end_amdhsa_kernel
	.section	.text._ZN7rocprim17ROCPRIM_400000_NS6detail17trampoline_kernelINS0_13select_configILj256ELj13ELNS0_17block_load_methodE3ELS4_3ELS4_3ELNS0_20block_scan_algorithmE0ELj4294967295EEENS1_25partition_config_selectorILNS1_17partition_subalgoE3EjNS0_10empty_typeEbEEZZNS1_14partition_implILS8_3ELb0ES6_jNS0_17counting_iteratorIjlEEPS9_SE_NS0_5tupleIJPjSE_EEENSF_IJSE_SE_EEES9_SG_JZNS1_25segmented_radix_sort_implINS0_14default_configELb1EPK6__halfPSL_PKlPlN2at6native12_GLOBAL__N_18offset_tEEE10hipError_tPvRmT1_PNSt15iterator_traitsISZ_E10value_typeET2_T3_PNS10_IS15_E10value_typeET4_jRbjT5_S1B_jjP12ihipStream_tbEUljE_EEESW_SX_SY_S15_S19_S1B_T6_T7_T9_mT8_S1D_bDpT10_ENKUlT_T0_E_clISt17integral_constantIbLb1EES1P_IbLb0EEEEDaS1L_S1M_EUlS1L_E_NS1_11comp_targetILNS1_3genE2ELNS1_11target_archE906ELNS1_3gpuE6ELNS1_3repE0EEENS1_30default_config_static_selectorELNS0_4arch9wavefront6targetE0EEEvSZ_,"axG",@progbits,_ZN7rocprim17ROCPRIM_400000_NS6detail17trampoline_kernelINS0_13select_configILj256ELj13ELNS0_17block_load_methodE3ELS4_3ELS4_3ELNS0_20block_scan_algorithmE0ELj4294967295EEENS1_25partition_config_selectorILNS1_17partition_subalgoE3EjNS0_10empty_typeEbEEZZNS1_14partition_implILS8_3ELb0ES6_jNS0_17counting_iteratorIjlEEPS9_SE_NS0_5tupleIJPjSE_EEENSF_IJSE_SE_EEES9_SG_JZNS1_25segmented_radix_sort_implINS0_14default_configELb1EPK6__halfPSL_PKlPlN2at6native12_GLOBAL__N_18offset_tEEE10hipError_tPvRmT1_PNSt15iterator_traitsISZ_E10value_typeET2_T3_PNS10_IS15_E10value_typeET4_jRbjT5_S1B_jjP12ihipStream_tbEUljE_EEESW_SX_SY_S15_S19_S1B_T6_T7_T9_mT8_S1D_bDpT10_ENKUlT_T0_E_clISt17integral_constantIbLb1EES1P_IbLb0EEEEDaS1L_S1M_EUlS1L_E_NS1_11comp_targetILNS1_3genE2ELNS1_11target_archE906ELNS1_3gpuE6ELNS1_3repE0EEENS1_30default_config_static_selectorELNS0_4arch9wavefront6targetE0EEEvSZ_,comdat
.Lfunc_end1717:
	.size	_ZN7rocprim17ROCPRIM_400000_NS6detail17trampoline_kernelINS0_13select_configILj256ELj13ELNS0_17block_load_methodE3ELS4_3ELS4_3ELNS0_20block_scan_algorithmE0ELj4294967295EEENS1_25partition_config_selectorILNS1_17partition_subalgoE3EjNS0_10empty_typeEbEEZZNS1_14partition_implILS8_3ELb0ES6_jNS0_17counting_iteratorIjlEEPS9_SE_NS0_5tupleIJPjSE_EEENSF_IJSE_SE_EEES9_SG_JZNS1_25segmented_radix_sort_implINS0_14default_configELb1EPK6__halfPSL_PKlPlN2at6native12_GLOBAL__N_18offset_tEEE10hipError_tPvRmT1_PNSt15iterator_traitsISZ_E10value_typeET2_T3_PNS10_IS15_E10value_typeET4_jRbjT5_S1B_jjP12ihipStream_tbEUljE_EEESW_SX_SY_S15_S19_S1B_T6_T7_T9_mT8_S1D_bDpT10_ENKUlT_T0_E_clISt17integral_constantIbLb1EES1P_IbLb0EEEEDaS1L_S1M_EUlS1L_E_NS1_11comp_targetILNS1_3genE2ELNS1_11target_archE906ELNS1_3gpuE6ELNS1_3repE0EEENS1_30default_config_static_selectorELNS0_4arch9wavefront6targetE0EEEvSZ_, .Lfunc_end1717-_ZN7rocprim17ROCPRIM_400000_NS6detail17trampoline_kernelINS0_13select_configILj256ELj13ELNS0_17block_load_methodE3ELS4_3ELS4_3ELNS0_20block_scan_algorithmE0ELj4294967295EEENS1_25partition_config_selectorILNS1_17partition_subalgoE3EjNS0_10empty_typeEbEEZZNS1_14partition_implILS8_3ELb0ES6_jNS0_17counting_iteratorIjlEEPS9_SE_NS0_5tupleIJPjSE_EEENSF_IJSE_SE_EEES9_SG_JZNS1_25segmented_radix_sort_implINS0_14default_configELb1EPK6__halfPSL_PKlPlN2at6native12_GLOBAL__N_18offset_tEEE10hipError_tPvRmT1_PNSt15iterator_traitsISZ_E10value_typeET2_T3_PNS10_IS15_E10value_typeET4_jRbjT5_S1B_jjP12ihipStream_tbEUljE_EEESW_SX_SY_S15_S19_S1B_T6_T7_T9_mT8_S1D_bDpT10_ENKUlT_T0_E_clISt17integral_constantIbLb1EES1P_IbLb0EEEEDaS1L_S1M_EUlS1L_E_NS1_11comp_targetILNS1_3genE2ELNS1_11target_archE906ELNS1_3gpuE6ELNS1_3repE0EEENS1_30default_config_static_selectorELNS0_4arch9wavefront6targetE0EEEvSZ_
                                        ; -- End function
	.set _ZN7rocprim17ROCPRIM_400000_NS6detail17trampoline_kernelINS0_13select_configILj256ELj13ELNS0_17block_load_methodE3ELS4_3ELS4_3ELNS0_20block_scan_algorithmE0ELj4294967295EEENS1_25partition_config_selectorILNS1_17partition_subalgoE3EjNS0_10empty_typeEbEEZZNS1_14partition_implILS8_3ELb0ES6_jNS0_17counting_iteratorIjlEEPS9_SE_NS0_5tupleIJPjSE_EEENSF_IJSE_SE_EEES9_SG_JZNS1_25segmented_radix_sort_implINS0_14default_configELb1EPK6__halfPSL_PKlPlN2at6native12_GLOBAL__N_18offset_tEEE10hipError_tPvRmT1_PNSt15iterator_traitsISZ_E10value_typeET2_T3_PNS10_IS15_E10value_typeET4_jRbjT5_S1B_jjP12ihipStream_tbEUljE_EEESW_SX_SY_S15_S19_S1B_T6_T7_T9_mT8_S1D_bDpT10_ENKUlT_T0_E_clISt17integral_constantIbLb1EES1P_IbLb0EEEEDaS1L_S1M_EUlS1L_E_NS1_11comp_targetILNS1_3genE2ELNS1_11target_archE906ELNS1_3gpuE6ELNS1_3repE0EEENS1_30default_config_static_selectorELNS0_4arch9wavefront6targetE0EEEvSZ_.num_vgpr, 0
	.set _ZN7rocprim17ROCPRIM_400000_NS6detail17trampoline_kernelINS0_13select_configILj256ELj13ELNS0_17block_load_methodE3ELS4_3ELS4_3ELNS0_20block_scan_algorithmE0ELj4294967295EEENS1_25partition_config_selectorILNS1_17partition_subalgoE3EjNS0_10empty_typeEbEEZZNS1_14partition_implILS8_3ELb0ES6_jNS0_17counting_iteratorIjlEEPS9_SE_NS0_5tupleIJPjSE_EEENSF_IJSE_SE_EEES9_SG_JZNS1_25segmented_radix_sort_implINS0_14default_configELb1EPK6__halfPSL_PKlPlN2at6native12_GLOBAL__N_18offset_tEEE10hipError_tPvRmT1_PNSt15iterator_traitsISZ_E10value_typeET2_T3_PNS10_IS15_E10value_typeET4_jRbjT5_S1B_jjP12ihipStream_tbEUljE_EEESW_SX_SY_S15_S19_S1B_T6_T7_T9_mT8_S1D_bDpT10_ENKUlT_T0_E_clISt17integral_constantIbLb1EES1P_IbLb0EEEEDaS1L_S1M_EUlS1L_E_NS1_11comp_targetILNS1_3genE2ELNS1_11target_archE906ELNS1_3gpuE6ELNS1_3repE0EEENS1_30default_config_static_selectorELNS0_4arch9wavefront6targetE0EEEvSZ_.num_agpr, 0
	.set _ZN7rocprim17ROCPRIM_400000_NS6detail17trampoline_kernelINS0_13select_configILj256ELj13ELNS0_17block_load_methodE3ELS4_3ELS4_3ELNS0_20block_scan_algorithmE0ELj4294967295EEENS1_25partition_config_selectorILNS1_17partition_subalgoE3EjNS0_10empty_typeEbEEZZNS1_14partition_implILS8_3ELb0ES6_jNS0_17counting_iteratorIjlEEPS9_SE_NS0_5tupleIJPjSE_EEENSF_IJSE_SE_EEES9_SG_JZNS1_25segmented_radix_sort_implINS0_14default_configELb1EPK6__halfPSL_PKlPlN2at6native12_GLOBAL__N_18offset_tEEE10hipError_tPvRmT1_PNSt15iterator_traitsISZ_E10value_typeET2_T3_PNS10_IS15_E10value_typeET4_jRbjT5_S1B_jjP12ihipStream_tbEUljE_EEESW_SX_SY_S15_S19_S1B_T6_T7_T9_mT8_S1D_bDpT10_ENKUlT_T0_E_clISt17integral_constantIbLb1EES1P_IbLb0EEEEDaS1L_S1M_EUlS1L_E_NS1_11comp_targetILNS1_3genE2ELNS1_11target_archE906ELNS1_3gpuE6ELNS1_3repE0EEENS1_30default_config_static_selectorELNS0_4arch9wavefront6targetE0EEEvSZ_.numbered_sgpr, 0
	.set _ZN7rocprim17ROCPRIM_400000_NS6detail17trampoline_kernelINS0_13select_configILj256ELj13ELNS0_17block_load_methodE3ELS4_3ELS4_3ELNS0_20block_scan_algorithmE0ELj4294967295EEENS1_25partition_config_selectorILNS1_17partition_subalgoE3EjNS0_10empty_typeEbEEZZNS1_14partition_implILS8_3ELb0ES6_jNS0_17counting_iteratorIjlEEPS9_SE_NS0_5tupleIJPjSE_EEENSF_IJSE_SE_EEES9_SG_JZNS1_25segmented_radix_sort_implINS0_14default_configELb1EPK6__halfPSL_PKlPlN2at6native12_GLOBAL__N_18offset_tEEE10hipError_tPvRmT1_PNSt15iterator_traitsISZ_E10value_typeET2_T3_PNS10_IS15_E10value_typeET4_jRbjT5_S1B_jjP12ihipStream_tbEUljE_EEESW_SX_SY_S15_S19_S1B_T6_T7_T9_mT8_S1D_bDpT10_ENKUlT_T0_E_clISt17integral_constantIbLb1EES1P_IbLb0EEEEDaS1L_S1M_EUlS1L_E_NS1_11comp_targetILNS1_3genE2ELNS1_11target_archE906ELNS1_3gpuE6ELNS1_3repE0EEENS1_30default_config_static_selectorELNS0_4arch9wavefront6targetE0EEEvSZ_.num_named_barrier, 0
	.set _ZN7rocprim17ROCPRIM_400000_NS6detail17trampoline_kernelINS0_13select_configILj256ELj13ELNS0_17block_load_methodE3ELS4_3ELS4_3ELNS0_20block_scan_algorithmE0ELj4294967295EEENS1_25partition_config_selectorILNS1_17partition_subalgoE3EjNS0_10empty_typeEbEEZZNS1_14partition_implILS8_3ELb0ES6_jNS0_17counting_iteratorIjlEEPS9_SE_NS0_5tupleIJPjSE_EEENSF_IJSE_SE_EEES9_SG_JZNS1_25segmented_radix_sort_implINS0_14default_configELb1EPK6__halfPSL_PKlPlN2at6native12_GLOBAL__N_18offset_tEEE10hipError_tPvRmT1_PNSt15iterator_traitsISZ_E10value_typeET2_T3_PNS10_IS15_E10value_typeET4_jRbjT5_S1B_jjP12ihipStream_tbEUljE_EEESW_SX_SY_S15_S19_S1B_T6_T7_T9_mT8_S1D_bDpT10_ENKUlT_T0_E_clISt17integral_constantIbLb1EES1P_IbLb0EEEEDaS1L_S1M_EUlS1L_E_NS1_11comp_targetILNS1_3genE2ELNS1_11target_archE906ELNS1_3gpuE6ELNS1_3repE0EEENS1_30default_config_static_selectorELNS0_4arch9wavefront6targetE0EEEvSZ_.private_seg_size, 0
	.set _ZN7rocprim17ROCPRIM_400000_NS6detail17trampoline_kernelINS0_13select_configILj256ELj13ELNS0_17block_load_methodE3ELS4_3ELS4_3ELNS0_20block_scan_algorithmE0ELj4294967295EEENS1_25partition_config_selectorILNS1_17partition_subalgoE3EjNS0_10empty_typeEbEEZZNS1_14partition_implILS8_3ELb0ES6_jNS0_17counting_iteratorIjlEEPS9_SE_NS0_5tupleIJPjSE_EEENSF_IJSE_SE_EEES9_SG_JZNS1_25segmented_radix_sort_implINS0_14default_configELb1EPK6__halfPSL_PKlPlN2at6native12_GLOBAL__N_18offset_tEEE10hipError_tPvRmT1_PNSt15iterator_traitsISZ_E10value_typeET2_T3_PNS10_IS15_E10value_typeET4_jRbjT5_S1B_jjP12ihipStream_tbEUljE_EEESW_SX_SY_S15_S19_S1B_T6_T7_T9_mT8_S1D_bDpT10_ENKUlT_T0_E_clISt17integral_constantIbLb1EES1P_IbLb0EEEEDaS1L_S1M_EUlS1L_E_NS1_11comp_targetILNS1_3genE2ELNS1_11target_archE906ELNS1_3gpuE6ELNS1_3repE0EEENS1_30default_config_static_selectorELNS0_4arch9wavefront6targetE0EEEvSZ_.uses_vcc, 0
	.set _ZN7rocprim17ROCPRIM_400000_NS6detail17trampoline_kernelINS0_13select_configILj256ELj13ELNS0_17block_load_methodE3ELS4_3ELS4_3ELNS0_20block_scan_algorithmE0ELj4294967295EEENS1_25partition_config_selectorILNS1_17partition_subalgoE3EjNS0_10empty_typeEbEEZZNS1_14partition_implILS8_3ELb0ES6_jNS0_17counting_iteratorIjlEEPS9_SE_NS0_5tupleIJPjSE_EEENSF_IJSE_SE_EEES9_SG_JZNS1_25segmented_radix_sort_implINS0_14default_configELb1EPK6__halfPSL_PKlPlN2at6native12_GLOBAL__N_18offset_tEEE10hipError_tPvRmT1_PNSt15iterator_traitsISZ_E10value_typeET2_T3_PNS10_IS15_E10value_typeET4_jRbjT5_S1B_jjP12ihipStream_tbEUljE_EEESW_SX_SY_S15_S19_S1B_T6_T7_T9_mT8_S1D_bDpT10_ENKUlT_T0_E_clISt17integral_constantIbLb1EES1P_IbLb0EEEEDaS1L_S1M_EUlS1L_E_NS1_11comp_targetILNS1_3genE2ELNS1_11target_archE906ELNS1_3gpuE6ELNS1_3repE0EEENS1_30default_config_static_selectorELNS0_4arch9wavefront6targetE0EEEvSZ_.uses_flat_scratch, 0
	.set _ZN7rocprim17ROCPRIM_400000_NS6detail17trampoline_kernelINS0_13select_configILj256ELj13ELNS0_17block_load_methodE3ELS4_3ELS4_3ELNS0_20block_scan_algorithmE0ELj4294967295EEENS1_25partition_config_selectorILNS1_17partition_subalgoE3EjNS0_10empty_typeEbEEZZNS1_14partition_implILS8_3ELb0ES6_jNS0_17counting_iteratorIjlEEPS9_SE_NS0_5tupleIJPjSE_EEENSF_IJSE_SE_EEES9_SG_JZNS1_25segmented_radix_sort_implINS0_14default_configELb1EPK6__halfPSL_PKlPlN2at6native12_GLOBAL__N_18offset_tEEE10hipError_tPvRmT1_PNSt15iterator_traitsISZ_E10value_typeET2_T3_PNS10_IS15_E10value_typeET4_jRbjT5_S1B_jjP12ihipStream_tbEUljE_EEESW_SX_SY_S15_S19_S1B_T6_T7_T9_mT8_S1D_bDpT10_ENKUlT_T0_E_clISt17integral_constantIbLb1EES1P_IbLb0EEEEDaS1L_S1M_EUlS1L_E_NS1_11comp_targetILNS1_3genE2ELNS1_11target_archE906ELNS1_3gpuE6ELNS1_3repE0EEENS1_30default_config_static_selectorELNS0_4arch9wavefront6targetE0EEEvSZ_.has_dyn_sized_stack, 0
	.set _ZN7rocprim17ROCPRIM_400000_NS6detail17trampoline_kernelINS0_13select_configILj256ELj13ELNS0_17block_load_methodE3ELS4_3ELS4_3ELNS0_20block_scan_algorithmE0ELj4294967295EEENS1_25partition_config_selectorILNS1_17partition_subalgoE3EjNS0_10empty_typeEbEEZZNS1_14partition_implILS8_3ELb0ES6_jNS0_17counting_iteratorIjlEEPS9_SE_NS0_5tupleIJPjSE_EEENSF_IJSE_SE_EEES9_SG_JZNS1_25segmented_radix_sort_implINS0_14default_configELb1EPK6__halfPSL_PKlPlN2at6native12_GLOBAL__N_18offset_tEEE10hipError_tPvRmT1_PNSt15iterator_traitsISZ_E10value_typeET2_T3_PNS10_IS15_E10value_typeET4_jRbjT5_S1B_jjP12ihipStream_tbEUljE_EEESW_SX_SY_S15_S19_S1B_T6_T7_T9_mT8_S1D_bDpT10_ENKUlT_T0_E_clISt17integral_constantIbLb1EES1P_IbLb0EEEEDaS1L_S1M_EUlS1L_E_NS1_11comp_targetILNS1_3genE2ELNS1_11target_archE906ELNS1_3gpuE6ELNS1_3repE0EEENS1_30default_config_static_selectorELNS0_4arch9wavefront6targetE0EEEvSZ_.has_recursion, 0
	.set _ZN7rocprim17ROCPRIM_400000_NS6detail17trampoline_kernelINS0_13select_configILj256ELj13ELNS0_17block_load_methodE3ELS4_3ELS4_3ELNS0_20block_scan_algorithmE0ELj4294967295EEENS1_25partition_config_selectorILNS1_17partition_subalgoE3EjNS0_10empty_typeEbEEZZNS1_14partition_implILS8_3ELb0ES6_jNS0_17counting_iteratorIjlEEPS9_SE_NS0_5tupleIJPjSE_EEENSF_IJSE_SE_EEES9_SG_JZNS1_25segmented_radix_sort_implINS0_14default_configELb1EPK6__halfPSL_PKlPlN2at6native12_GLOBAL__N_18offset_tEEE10hipError_tPvRmT1_PNSt15iterator_traitsISZ_E10value_typeET2_T3_PNS10_IS15_E10value_typeET4_jRbjT5_S1B_jjP12ihipStream_tbEUljE_EEESW_SX_SY_S15_S19_S1B_T6_T7_T9_mT8_S1D_bDpT10_ENKUlT_T0_E_clISt17integral_constantIbLb1EES1P_IbLb0EEEEDaS1L_S1M_EUlS1L_E_NS1_11comp_targetILNS1_3genE2ELNS1_11target_archE906ELNS1_3gpuE6ELNS1_3repE0EEENS1_30default_config_static_selectorELNS0_4arch9wavefront6targetE0EEEvSZ_.has_indirect_call, 0
	.section	.AMDGPU.csdata,"",@progbits
; Kernel info:
; codeLenInByte = 0
; TotalNumSgprs: 0
; NumVgprs: 0
; ScratchSize: 0
; MemoryBound: 0
; FloatMode: 240
; IeeeMode: 1
; LDSByteSize: 0 bytes/workgroup (compile time only)
; SGPRBlocks: 0
; VGPRBlocks: 0
; NumSGPRsForWavesPerEU: 1
; NumVGPRsForWavesPerEU: 1
; Occupancy: 16
; WaveLimiterHint : 0
; COMPUTE_PGM_RSRC2:SCRATCH_EN: 0
; COMPUTE_PGM_RSRC2:USER_SGPR: 6
; COMPUTE_PGM_RSRC2:TRAP_HANDLER: 0
; COMPUTE_PGM_RSRC2:TGID_X_EN: 1
; COMPUTE_PGM_RSRC2:TGID_Y_EN: 0
; COMPUTE_PGM_RSRC2:TGID_Z_EN: 0
; COMPUTE_PGM_RSRC2:TIDIG_COMP_CNT: 0
	.section	.text._ZN7rocprim17ROCPRIM_400000_NS6detail17trampoline_kernelINS0_13select_configILj256ELj13ELNS0_17block_load_methodE3ELS4_3ELS4_3ELNS0_20block_scan_algorithmE0ELj4294967295EEENS1_25partition_config_selectorILNS1_17partition_subalgoE3EjNS0_10empty_typeEbEEZZNS1_14partition_implILS8_3ELb0ES6_jNS0_17counting_iteratorIjlEEPS9_SE_NS0_5tupleIJPjSE_EEENSF_IJSE_SE_EEES9_SG_JZNS1_25segmented_radix_sort_implINS0_14default_configELb1EPK6__halfPSL_PKlPlN2at6native12_GLOBAL__N_18offset_tEEE10hipError_tPvRmT1_PNSt15iterator_traitsISZ_E10value_typeET2_T3_PNS10_IS15_E10value_typeET4_jRbjT5_S1B_jjP12ihipStream_tbEUljE_EEESW_SX_SY_S15_S19_S1B_T6_T7_T9_mT8_S1D_bDpT10_ENKUlT_T0_E_clISt17integral_constantIbLb1EES1P_IbLb0EEEEDaS1L_S1M_EUlS1L_E_NS1_11comp_targetILNS1_3genE10ELNS1_11target_archE1200ELNS1_3gpuE4ELNS1_3repE0EEENS1_30default_config_static_selectorELNS0_4arch9wavefront6targetE0EEEvSZ_,"axG",@progbits,_ZN7rocprim17ROCPRIM_400000_NS6detail17trampoline_kernelINS0_13select_configILj256ELj13ELNS0_17block_load_methodE3ELS4_3ELS4_3ELNS0_20block_scan_algorithmE0ELj4294967295EEENS1_25partition_config_selectorILNS1_17partition_subalgoE3EjNS0_10empty_typeEbEEZZNS1_14partition_implILS8_3ELb0ES6_jNS0_17counting_iteratorIjlEEPS9_SE_NS0_5tupleIJPjSE_EEENSF_IJSE_SE_EEES9_SG_JZNS1_25segmented_radix_sort_implINS0_14default_configELb1EPK6__halfPSL_PKlPlN2at6native12_GLOBAL__N_18offset_tEEE10hipError_tPvRmT1_PNSt15iterator_traitsISZ_E10value_typeET2_T3_PNS10_IS15_E10value_typeET4_jRbjT5_S1B_jjP12ihipStream_tbEUljE_EEESW_SX_SY_S15_S19_S1B_T6_T7_T9_mT8_S1D_bDpT10_ENKUlT_T0_E_clISt17integral_constantIbLb1EES1P_IbLb0EEEEDaS1L_S1M_EUlS1L_E_NS1_11comp_targetILNS1_3genE10ELNS1_11target_archE1200ELNS1_3gpuE4ELNS1_3repE0EEENS1_30default_config_static_selectorELNS0_4arch9wavefront6targetE0EEEvSZ_,comdat
	.globl	_ZN7rocprim17ROCPRIM_400000_NS6detail17trampoline_kernelINS0_13select_configILj256ELj13ELNS0_17block_load_methodE3ELS4_3ELS4_3ELNS0_20block_scan_algorithmE0ELj4294967295EEENS1_25partition_config_selectorILNS1_17partition_subalgoE3EjNS0_10empty_typeEbEEZZNS1_14partition_implILS8_3ELb0ES6_jNS0_17counting_iteratorIjlEEPS9_SE_NS0_5tupleIJPjSE_EEENSF_IJSE_SE_EEES9_SG_JZNS1_25segmented_radix_sort_implINS0_14default_configELb1EPK6__halfPSL_PKlPlN2at6native12_GLOBAL__N_18offset_tEEE10hipError_tPvRmT1_PNSt15iterator_traitsISZ_E10value_typeET2_T3_PNS10_IS15_E10value_typeET4_jRbjT5_S1B_jjP12ihipStream_tbEUljE_EEESW_SX_SY_S15_S19_S1B_T6_T7_T9_mT8_S1D_bDpT10_ENKUlT_T0_E_clISt17integral_constantIbLb1EES1P_IbLb0EEEEDaS1L_S1M_EUlS1L_E_NS1_11comp_targetILNS1_3genE10ELNS1_11target_archE1200ELNS1_3gpuE4ELNS1_3repE0EEENS1_30default_config_static_selectorELNS0_4arch9wavefront6targetE0EEEvSZ_ ; -- Begin function _ZN7rocprim17ROCPRIM_400000_NS6detail17trampoline_kernelINS0_13select_configILj256ELj13ELNS0_17block_load_methodE3ELS4_3ELS4_3ELNS0_20block_scan_algorithmE0ELj4294967295EEENS1_25partition_config_selectorILNS1_17partition_subalgoE3EjNS0_10empty_typeEbEEZZNS1_14partition_implILS8_3ELb0ES6_jNS0_17counting_iteratorIjlEEPS9_SE_NS0_5tupleIJPjSE_EEENSF_IJSE_SE_EEES9_SG_JZNS1_25segmented_radix_sort_implINS0_14default_configELb1EPK6__halfPSL_PKlPlN2at6native12_GLOBAL__N_18offset_tEEE10hipError_tPvRmT1_PNSt15iterator_traitsISZ_E10value_typeET2_T3_PNS10_IS15_E10value_typeET4_jRbjT5_S1B_jjP12ihipStream_tbEUljE_EEESW_SX_SY_S15_S19_S1B_T6_T7_T9_mT8_S1D_bDpT10_ENKUlT_T0_E_clISt17integral_constantIbLb1EES1P_IbLb0EEEEDaS1L_S1M_EUlS1L_E_NS1_11comp_targetILNS1_3genE10ELNS1_11target_archE1200ELNS1_3gpuE4ELNS1_3repE0EEENS1_30default_config_static_selectorELNS0_4arch9wavefront6targetE0EEEvSZ_
	.p2align	8
	.type	_ZN7rocprim17ROCPRIM_400000_NS6detail17trampoline_kernelINS0_13select_configILj256ELj13ELNS0_17block_load_methodE3ELS4_3ELS4_3ELNS0_20block_scan_algorithmE0ELj4294967295EEENS1_25partition_config_selectorILNS1_17partition_subalgoE3EjNS0_10empty_typeEbEEZZNS1_14partition_implILS8_3ELb0ES6_jNS0_17counting_iteratorIjlEEPS9_SE_NS0_5tupleIJPjSE_EEENSF_IJSE_SE_EEES9_SG_JZNS1_25segmented_radix_sort_implINS0_14default_configELb1EPK6__halfPSL_PKlPlN2at6native12_GLOBAL__N_18offset_tEEE10hipError_tPvRmT1_PNSt15iterator_traitsISZ_E10value_typeET2_T3_PNS10_IS15_E10value_typeET4_jRbjT5_S1B_jjP12ihipStream_tbEUljE_EEESW_SX_SY_S15_S19_S1B_T6_T7_T9_mT8_S1D_bDpT10_ENKUlT_T0_E_clISt17integral_constantIbLb1EES1P_IbLb0EEEEDaS1L_S1M_EUlS1L_E_NS1_11comp_targetILNS1_3genE10ELNS1_11target_archE1200ELNS1_3gpuE4ELNS1_3repE0EEENS1_30default_config_static_selectorELNS0_4arch9wavefront6targetE0EEEvSZ_,@function
_ZN7rocprim17ROCPRIM_400000_NS6detail17trampoline_kernelINS0_13select_configILj256ELj13ELNS0_17block_load_methodE3ELS4_3ELS4_3ELNS0_20block_scan_algorithmE0ELj4294967295EEENS1_25partition_config_selectorILNS1_17partition_subalgoE3EjNS0_10empty_typeEbEEZZNS1_14partition_implILS8_3ELb0ES6_jNS0_17counting_iteratorIjlEEPS9_SE_NS0_5tupleIJPjSE_EEENSF_IJSE_SE_EEES9_SG_JZNS1_25segmented_radix_sort_implINS0_14default_configELb1EPK6__halfPSL_PKlPlN2at6native12_GLOBAL__N_18offset_tEEE10hipError_tPvRmT1_PNSt15iterator_traitsISZ_E10value_typeET2_T3_PNS10_IS15_E10value_typeET4_jRbjT5_S1B_jjP12ihipStream_tbEUljE_EEESW_SX_SY_S15_S19_S1B_T6_T7_T9_mT8_S1D_bDpT10_ENKUlT_T0_E_clISt17integral_constantIbLb1EES1P_IbLb0EEEEDaS1L_S1M_EUlS1L_E_NS1_11comp_targetILNS1_3genE10ELNS1_11target_archE1200ELNS1_3gpuE4ELNS1_3repE0EEENS1_30default_config_static_selectorELNS0_4arch9wavefront6targetE0EEEvSZ_: ; @_ZN7rocprim17ROCPRIM_400000_NS6detail17trampoline_kernelINS0_13select_configILj256ELj13ELNS0_17block_load_methodE3ELS4_3ELS4_3ELNS0_20block_scan_algorithmE0ELj4294967295EEENS1_25partition_config_selectorILNS1_17partition_subalgoE3EjNS0_10empty_typeEbEEZZNS1_14partition_implILS8_3ELb0ES6_jNS0_17counting_iteratorIjlEEPS9_SE_NS0_5tupleIJPjSE_EEENSF_IJSE_SE_EEES9_SG_JZNS1_25segmented_radix_sort_implINS0_14default_configELb1EPK6__halfPSL_PKlPlN2at6native12_GLOBAL__N_18offset_tEEE10hipError_tPvRmT1_PNSt15iterator_traitsISZ_E10value_typeET2_T3_PNS10_IS15_E10value_typeET4_jRbjT5_S1B_jjP12ihipStream_tbEUljE_EEESW_SX_SY_S15_S19_S1B_T6_T7_T9_mT8_S1D_bDpT10_ENKUlT_T0_E_clISt17integral_constantIbLb1EES1P_IbLb0EEEEDaS1L_S1M_EUlS1L_E_NS1_11comp_targetILNS1_3genE10ELNS1_11target_archE1200ELNS1_3gpuE4ELNS1_3repE0EEENS1_30default_config_static_selectorELNS0_4arch9wavefront6targetE0EEEvSZ_
; %bb.0:
	.section	.rodata,"a",@progbits
	.p2align	6, 0x0
	.amdhsa_kernel _ZN7rocprim17ROCPRIM_400000_NS6detail17trampoline_kernelINS0_13select_configILj256ELj13ELNS0_17block_load_methodE3ELS4_3ELS4_3ELNS0_20block_scan_algorithmE0ELj4294967295EEENS1_25partition_config_selectorILNS1_17partition_subalgoE3EjNS0_10empty_typeEbEEZZNS1_14partition_implILS8_3ELb0ES6_jNS0_17counting_iteratorIjlEEPS9_SE_NS0_5tupleIJPjSE_EEENSF_IJSE_SE_EEES9_SG_JZNS1_25segmented_radix_sort_implINS0_14default_configELb1EPK6__halfPSL_PKlPlN2at6native12_GLOBAL__N_18offset_tEEE10hipError_tPvRmT1_PNSt15iterator_traitsISZ_E10value_typeET2_T3_PNS10_IS15_E10value_typeET4_jRbjT5_S1B_jjP12ihipStream_tbEUljE_EEESW_SX_SY_S15_S19_S1B_T6_T7_T9_mT8_S1D_bDpT10_ENKUlT_T0_E_clISt17integral_constantIbLb1EES1P_IbLb0EEEEDaS1L_S1M_EUlS1L_E_NS1_11comp_targetILNS1_3genE10ELNS1_11target_archE1200ELNS1_3gpuE4ELNS1_3repE0EEENS1_30default_config_static_selectorELNS0_4arch9wavefront6targetE0EEEvSZ_
		.amdhsa_group_segment_fixed_size 0
		.amdhsa_private_segment_fixed_size 0
		.amdhsa_kernarg_size 144
		.amdhsa_user_sgpr_count 6
		.amdhsa_user_sgpr_private_segment_buffer 1
		.amdhsa_user_sgpr_dispatch_ptr 0
		.amdhsa_user_sgpr_queue_ptr 0
		.amdhsa_user_sgpr_kernarg_segment_ptr 1
		.amdhsa_user_sgpr_dispatch_id 0
		.amdhsa_user_sgpr_flat_scratch_init 0
		.amdhsa_user_sgpr_private_segment_size 0
		.amdhsa_wavefront_size32 1
		.amdhsa_uses_dynamic_stack 0
		.amdhsa_system_sgpr_private_segment_wavefront_offset 0
		.amdhsa_system_sgpr_workgroup_id_x 1
		.amdhsa_system_sgpr_workgroup_id_y 0
		.amdhsa_system_sgpr_workgroup_id_z 0
		.amdhsa_system_sgpr_workgroup_info 0
		.amdhsa_system_vgpr_workitem_id 0
		.amdhsa_next_free_vgpr 1
		.amdhsa_next_free_sgpr 1
		.amdhsa_reserve_vcc 0
		.amdhsa_reserve_flat_scratch 0
		.amdhsa_float_round_mode_32 0
		.amdhsa_float_round_mode_16_64 0
		.amdhsa_float_denorm_mode_32 3
		.amdhsa_float_denorm_mode_16_64 3
		.amdhsa_dx10_clamp 1
		.amdhsa_ieee_mode 1
		.amdhsa_fp16_overflow 0
		.amdhsa_workgroup_processor_mode 1
		.amdhsa_memory_ordered 1
		.amdhsa_forward_progress 1
		.amdhsa_shared_vgpr_count 0
		.amdhsa_exception_fp_ieee_invalid_op 0
		.amdhsa_exception_fp_denorm_src 0
		.amdhsa_exception_fp_ieee_div_zero 0
		.amdhsa_exception_fp_ieee_overflow 0
		.amdhsa_exception_fp_ieee_underflow 0
		.amdhsa_exception_fp_ieee_inexact 0
		.amdhsa_exception_int_div_zero 0
	.end_amdhsa_kernel
	.section	.text._ZN7rocprim17ROCPRIM_400000_NS6detail17trampoline_kernelINS0_13select_configILj256ELj13ELNS0_17block_load_methodE3ELS4_3ELS4_3ELNS0_20block_scan_algorithmE0ELj4294967295EEENS1_25partition_config_selectorILNS1_17partition_subalgoE3EjNS0_10empty_typeEbEEZZNS1_14partition_implILS8_3ELb0ES6_jNS0_17counting_iteratorIjlEEPS9_SE_NS0_5tupleIJPjSE_EEENSF_IJSE_SE_EEES9_SG_JZNS1_25segmented_radix_sort_implINS0_14default_configELb1EPK6__halfPSL_PKlPlN2at6native12_GLOBAL__N_18offset_tEEE10hipError_tPvRmT1_PNSt15iterator_traitsISZ_E10value_typeET2_T3_PNS10_IS15_E10value_typeET4_jRbjT5_S1B_jjP12ihipStream_tbEUljE_EEESW_SX_SY_S15_S19_S1B_T6_T7_T9_mT8_S1D_bDpT10_ENKUlT_T0_E_clISt17integral_constantIbLb1EES1P_IbLb0EEEEDaS1L_S1M_EUlS1L_E_NS1_11comp_targetILNS1_3genE10ELNS1_11target_archE1200ELNS1_3gpuE4ELNS1_3repE0EEENS1_30default_config_static_selectorELNS0_4arch9wavefront6targetE0EEEvSZ_,"axG",@progbits,_ZN7rocprim17ROCPRIM_400000_NS6detail17trampoline_kernelINS0_13select_configILj256ELj13ELNS0_17block_load_methodE3ELS4_3ELS4_3ELNS0_20block_scan_algorithmE0ELj4294967295EEENS1_25partition_config_selectorILNS1_17partition_subalgoE3EjNS0_10empty_typeEbEEZZNS1_14partition_implILS8_3ELb0ES6_jNS0_17counting_iteratorIjlEEPS9_SE_NS0_5tupleIJPjSE_EEENSF_IJSE_SE_EEES9_SG_JZNS1_25segmented_radix_sort_implINS0_14default_configELb1EPK6__halfPSL_PKlPlN2at6native12_GLOBAL__N_18offset_tEEE10hipError_tPvRmT1_PNSt15iterator_traitsISZ_E10value_typeET2_T3_PNS10_IS15_E10value_typeET4_jRbjT5_S1B_jjP12ihipStream_tbEUljE_EEESW_SX_SY_S15_S19_S1B_T6_T7_T9_mT8_S1D_bDpT10_ENKUlT_T0_E_clISt17integral_constantIbLb1EES1P_IbLb0EEEEDaS1L_S1M_EUlS1L_E_NS1_11comp_targetILNS1_3genE10ELNS1_11target_archE1200ELNS1_3gpuE4ELNS1_3repE0EEENS1_30default_config_static_selectorELNS0_4arch9wavefront6targetE0EEEvSZ_,comdat
.Lfunc_end1718:
	.size	_ZN7rocprim17ROCPRIM_400000_NS6detail17trampoline_kernelINS0_13select_configILj256ELj13ELNS0_17block_load_methodE3ELS4_3ELS4_3ELNS0_20block_scan_algorithmE0ELj4294967295EEENS1_25partition_config_selectorILNS1_17partition_subalgoE3EjNS0_10empty_typeEbEEZZNS1_14partition_implILS8_3ELb0ES6_jNS0_17counting_iteratorIjlEEPS9_SE_NS0_5tupleIJPjSE_EEENSF_IJSE_SE_EEES9_SG_JZNS1_25segmented_radix_sort_implINS0_14default_configELb1EPK6__halfPSL_PKlPlN2at6native12_GLOBAL__N_18offset_tEEE10hipError_tPvRmT1_PNSt15iterator_traitsISZ_E10value_typeET2_T3_PNS10_IS15_E10value_typeET4_jRbjT5_S1B_jjP12ihipStream_tbEUljE_EEESW_SX_SY_S15_S19_S1B_T6_T7_T9_mT8_S1D_bDpT10_ENKUlT_T0_E_clISt17integral_constantIbLb1EES1P_IbLb0EEEEDaS1L_S1M_EUlS1L_E_NS1_11comp_targetILNS1_3genE10ELNS1_11target_archE1200ELNS1_3gpuE4ELNS1_3repE0EEENS1_30default_config_static_selectorELNS0_4arch9wavefront6targetE0EEEvSZ_, .Lfunc_end1718-_ZN7rocprim17ROCPRIM_400000_NS6detail17trampoline_kernelINS0_13select_configILj256ELj13ELNS0_17block_load_methodE3ELS4_3ELS4_3ELNS0_20block_scan_algorithmE0ELj4294967295EEENS1_25partition_config_selectorILNS1_17partition_subalgoE3EjNS0_10empty_typeEbEEZZNS1_14partition_implILS8_3ELb0ES6_jNS0_17counting_iteratorIjlEEPS9_SE_NS0_5tupleIJPjSE_EEENSF_IJSE_SE_EEES9_SG_JZNS1_25segmented_radix_sort_implINS0_14default_configELb1EPK6__halfPSL_PKlPlN2at6native12_GLOBAL__N_18offset_tEEE10hipError_tPvRmT1_PNSt15iterator_traitsISZ_E10value_typeET2_T3_PNS10_IS15_E10value_typeET4_jRbjT5_S1B_jjP12ihipStream_tbEUljE_EEESW_SX_SY_S15_S19_S1B_T6_T7_T9_mT8_S1D_bDpT10_ENKUlT_T0_E_clISt17integral_constantIbLb1EES1P_IbLb0EEEEDaS1L_S1M_EUlS1L_E_NS1_11comp_targetILNS1_3genE10ELNS1_11target_archE1200ELNS1_3gpuE4ELNS1_3repE0EEENS1_30default_config_static_selectorELNS0_4arch9wavefront6targetE0EEEvSZ_
                                        ; -- End function
	.set _ZN7rocprim17ROCPRIM_400000_NS6detail17trampoline_kernelINS0_13select_configILj256ELj13ELNS0_17block_load_methodE3ELS4_3ELS4_3ELNS0_20block_scan_algorithmE0ELj4294967295EEENS1_25partition_config_selectorILNS1_17partition_subalgoE3EjNS0_10empty_typeEbEEZZNS1_14partition_implILS8_3ELb0ES6_jNS0_17counting_iteratorIjlEEPS9_SE_NS0_5tupleIJPjSE_EEENSF_IJSE_SE_EEES9_SG_JZNS1_25segmented_radix_sort_implINS0_14default_configELb1EPK6__halfPSL_PKlPlN2at6native12_GLOBAL__N_18offset_tEEE10hipError_tPvRmT1_PNSt15iterator_traitsISZ_E10value_typeET2_T3_PNS10_IS15_E10value_typeET4_jRbjT5_S1B_jjP12ihipStream_tbEUljE_EEESW_SX_SY_S15_S19_S1B_T6_T7_T9_mT8_S1D_bDpT10_ENKUlT_T0_E_clISt17integral_constantIbLb1EES1P_IbLb0EEEEDaS1L_S1M_EUlS1L_E_NS1_11comp_targetILNS1_3genE10ELNS1_11target_archE1200ELNS1_3gpuE4ELNS1_3repE0EEENS1_30default_config_static_selectorELNS0_4arch9wavefront6targetE0EEEvSZ_.num_vgpr, 0
	.set _ZN7rocprim17ROCPRIM_400000_NS6detail17trampoline_kernelINS0_13select_configILj256ELj13ELNS0_17block_load_methodE3ELS4_3ELS4_3ELNS0_20block_scan_algorithmE0ELj4294967295EEENS1_25partition_config_selectorILNS1_17partition_subalgoE3EjNS0_10empty_typeEbEEZZNS1_14partition_implILS8_3ELb0ES6_jNS0_17counting_iteratorIjlEEPS9_SE_NS0_5tupleIJPjSE_EEENSF_IJSE_SE_EEES9_SG_JZNS1_25segmented_radix_sort_implINS0_14default_configELb1EPK6__halfPSL_PKlPlN2at6native12_GLOBAL__N_18offset_tEEE10hipError_tPvRmT1_PNSt15iterator_traitsISZ_E10value_typeET2_T3_PNS10_IS15_E10value_typeET4_jRbjT5_S1B_jjP12ihipStream_tbEUljE_EEESW_SX_SY_S15_S19_S1B_T6_T7_T9_mT8_S1D_bDpT10_ENKUlT_T0_E_clISt17integral_constantIbLb1EES1P_IbLb0EEEEDaS1L_S1M_EUlS1L_E_NS1_11comp_targetILNS1_3genE10ELNS1_11target_archE1200ELNS1_3gpuE4ELNS1_3repE0EEENS1_30default_config_static_selectorELNS0_4arch9wavefront6targetE0EEEvSZ_.num_agpr, 0
	.set _ZN7rocprim17ROCPRIM_400000_NS6detail17trampoline_kernelINS0_13select_configILj256ELj13ELNS0_17block_load_methodE3ELS4_3ELS4_3ELNS0_20block_scan_algorithmE0ELj4294967295EEENS1_25partition_config_selectorILNS1_17partition_subalgoE3EjNS0_10empty_typeEbEEZZNS1_14partition_implILS8_3ELb0ES6_jNS0_17counting_iteratorIjlEEPS9_SE_NS0_5tupleIJPjSE_EEENSF_IJSE_SE_EEES9_SG_JZNS1_25segmented_radix_sort_implINS0_14default_configELb1EPK6__halfPSL_PKlPlN2at6native12_GLOBAL__N_18offset_tEEE10hipError_tPvRmT1_PNSt15iterator_traitsISZ_E10value_typeET2_T3_PNS10_IS15_E10value_typeET4_jRbjT5_S1B_jjP12ihipStream_tbEUljE_EEESW_SX_SY_S15_S19_S1B_T6_T7_T9_mT8_S1D_bDpT10_ENKUlT_T0_E_clISt17integral_constantIbLb1EES1P_IbLb0EEEEDaS1L_S1M_EUlS1L_E_NS1_11comp_targetILNS1_3genE10ELNS1_11target_archE1200ELNS1_3gpuE4ELNS1_3repE0EEENS1_30default_config_static_selectorELNS0_4arch9wavefront6targetE0EEEvSZ_.numbered_sgpr, 0
	.set _ZN7rocprim17ROCPRIM_400000_NS6detail17trampoline_kernelINS0_13select_configILj256ELj13ELNS0_17block_load_methodE3ELS4_3ELS4_3ELNS0_20block_scan_algorithmE0ELj4294967295EEENS1_25partition_config_selectorILNS1_17partition_subalgoE3EjNS0_10empty_typeEbEEZZNS1_14partition_implILS8_3ELb0ES6_jNS0_17counting_iteratorIjlEEPS9_SE_NS0_5tupleIJPjSE_EEENSF_IJSE_SE_EEES9_SG_JZNS1_25segmented_radix_sort_implINS0_14default_configELb1EPK6__halfPSL_PKlPlN2at6native12_GLOBAL__N_18offset_tEEE10hipError_tPvRmT1_PNSt15iterator_traitsISZ_E10value_typeET2_T3_PNS10_IS15_E10value_typeET4_jRbjT5_S1B_jjP12ihipStream_tbEUljE_EEESW_SX_SY_S15_S19_S1B_T6_T7_T9_mT8_S1D_bDpT10_ENKUlT_T0_E_clISt17integral_constantIbLb1EES1P_IbLb0EEEEDaS1L_S1M_EUlS1L_E_NS1_11comp_targetILNS1_3genE10ELNS1_11target_archE1200ELNS1_3gpuE4ELNS1_3repE0EEENS1_30default_config_static_selectorELNS0_4arch9wavefront6targetE0EEEvSZ_.num_named_barrier, 0
	.set _ZN7rocprim17ROCPRIM_400000_NS6detail17trampoline_kernelINS0_13select_configILj256ELj13ELNS0_17block_load_methodE3ELS4_3ELS4_3ELNS0_20block_scan_algorithmE0ELj4294967295EEENS1_25partition_config_selectorILNS1_17partition_subalgoE3EjNS0_10empty_typeEbEEZZNS1_14partition_implILS8_3ELb0ES6_jNS0_17counting_iteratorIjlEEPS9_SE_NS0_5tupleIJPjSE_EEENSF_IJSE_SE_EEES9_SG_JZNS1_25segmented_radix_sort_implINS0_14default_configELb1EPK6__halfPSL_PKlPlN2at6native12_GLOBAL__N_18offset_tEEE10hipError_tPvRmT1_PNSt15iterator_traitsISZ_E10value_typeET2_T3_PNS10_IS15_E10value_typeET4_jRbjT5_S1B_jjP12ihipStream_tbEUljE_EEESW_SX_SY_S15_S19_S1B_T6_T7_T9_mT8_S1D_bDpT10_ENKUlT_T0_E_clISt17integral_constantIbLb1EES1P_IbLb0EEEEDaS1L_S1M_EUlS1L_E_NS1_11comp_targetILNS1_3genE10ELNS1_11target_archE1200ELNS1_3gpuE4ELNS1_3repE0EEENS1_30default_config_static_selectorELNS0_4arch9wavefront6targetE0EEEvSZ_.private_seg_size, 0
	.set _ZN7rocprim17ROCPRIM_400000_NS6detail17trampoline_kernelINS0_13select_configILj256ELj13ELNS0_17block_load_methodE3ELS4_3ELS4_3ELNS0_20block_scan_algorithmE0ELj4294967295EEENS1_25partition_config_selectorILNS1_17partition_subalgoE3EjNS0_10empty_typeEbEEZZNS1_14partition_implILS8_3ELb0ES6_jNS0_17counting_iteratorIjlEEPS9_SE_NS0_5tupleIJPjSE_EEENSF_IJSE_SE_EEES9_SG_JZNS1_25segmented_radix_sort_implINS0_14default_configELb1EPK6__halfPSL_PKlPlN2at6native12_GLOBAL__N_18offset_tEEE10hipError_tPvRmT1_PNSt15iterator_traitsISZ_E10value_typeET2_T3_PNS10_IS15_E10value_typeET4_jRbjT5_S1B_jjP12ihipStream_tbEUljE_EEESW_SX_SY_S15_S19_S1B_T6_T7_T9_mT8_S1D_bDpT10_ENKUlT_T0_E_clISt17integral_constantIbLb1EES1P_IbLb0EEEEDaS1L_S1M_EUlS1L_E_NS1_11comp_targetILNS1_3genE10ELNS1_11target_archE1200ELNS1_3gpuE4ELNS1_3repE0EEENS1_30default_config_static_selectorELNS0_4arch9wavefront6targetE0EEEvSZ_.uses_vcc, 0
	.set _ZN7rocprim17ROCPRIM_400000_NS6detail17trampoline_kernelINS0_13select_configILj256ELj13ELNS0_17block_load_methodE3ELS4_3ELS4_3ELNS0_20block_scan_algorithmE0ELj4294967295EEENS1_25partition_config_selectorILNS1_17partition_subalgoE3EjNS0_10empty_typeEbEEZZNS1_14partition_implILS8_3ELb0ES6_jNS0_17counting_iteratorIjlEEPS9_SE_NS0_5tupleIJPjSE_EEENSF_IJSE_SE_EEES9_SG_JZNS1_25segmented_radix_sort_implINS0_14default_configELb1EPK6__halfPSL_PKlPlN2at6native12_GLOBAL__N_18offset_tEEE10hipError_tPvRmT1_PNSt15iterator_traitsISZ_E10value_typeET2_T3_PNS10_IS15_E10value_typeET4_jRbjT5_S1B_jjP12ihipStream_tbEUljE_EEESW_SX_SY_S15_S19_S1B_T6_T7_T9_mT8_S1D_bDpT10_ENKUlT_T0_E_clISt17integral_constantIbLb1EES1P_IbLb0EEEEDaS1L_S1M_EUlS1L_E_NS1_11comp_targetILNS1_3genE10ELNS1_11target_archE1200ELNS1_3gpuE4ELNS1_3repE0EEENS1_30default_config_static_selectorELNS0_4arch9wavefront6targetE0EEEvSZ_.uses_flat_scratch, 0
	.set _ZN7rocprim17ROCPRIM_400000_NS6detail17trampoline_kernelINS0_13select_configILj256ELj13ELNS0_17block_load_methodE3ELS4_3ELS4_3ELNS0_20block_scan_algorithmE0ELj4294967295EEENS1_25partition_config_selectorILNS1_17partition_subalgoE3EjNS0_10empty_typeEbEEZZNS1_14partition_implILS8_3ELb0ES6_jNS0_17counting_iteratorIjlEEPS9_SE_NS0_5tupleIJPjSE_EEENSF_IJSE_SE_EEES9_SG_JZNS1_25segmented_radix_sort_implINS0_14default_configELb1EPK6__halfPSL_PKlPlN2at6native12_GLOBAL__N_18offset_tEEE10hipError_tPvRmT1_PNSt15iterator_traitsISZ_E10value_typeET2_T3_PNS10_IS15_E10value_typeET4_jRbjT5_S1B_jjP12ihipStream_tbEUljE_EEESW_SX_SY_S15_S19_S1B_T6_T7_T9_mT8_S1D_bDpT10_ENKUlT_T0_E_clISt17integral_constantIbLb1EES1P_IbLb0EEEEDaS1L_S1M_EUlS1L_E_NS1_11comp_targetILNS1_3genE10ELNS1_11target_archE1200ELNS1_3gpuE4ELNS1_3repE0EEENS1_30default_config_static_selectorELNS0_4arch9wavefront6targetE0EEEvSZ_.has_dyn_sized_stack, 0
	.set _ZN7rocprim17ROCPRIM_400000_NS6detail17trampoline_kernelINS0_13select_configILj256ELj13ELNS0_17block_load_methodE3ELS4_3ELS4_3ELNS0_20block_scan_algorithmE0ELj4294967295EEENS1_25partition_config_selectorILNS1_17partition_subalgoE3EjNS0_10empty_typeEbEEZZNS1_14partition_implILS8_3ELb0ES6_jNS0_17counting_iteratorIjlEEPS9_SE_NS0_5tupleIJPjSE_EEENSF_IJSE_SE_EEES9_SG_JZNS1_25segmented_radix_sort_implINS0_14default_configELb1EPK6__halfPSL_PKlPlN2at6native12_GLOBAL__N_18offset_tEEE10hipError_tPvRmT1_PNSt15iterator_traitsISZ_E10value_typeET2_T3_PNS10_IS15_E10value_typeET4_jRbjT5_S1B_jjP12ihipStream_tbEUljE_EEESW_SX_SY_S15_S19_S1B_T6_T7_T9_mT8_S1D_bDpT10_ENKUlT_T0_E_clISt17integral_constantIbLb1EES1P_IbLb0EEEEDaS1L_S1M_EUlS1L_E_NS1_11comp_targetILNS1_3genE10ELNS1_11target_archE1200ELNS1_3gpuE4ELNS1_3repE0EEENS1_30default_config_static_selectorELNS0_4arch9wavefront6targetE0EEEvSZ_.has_recursion, 0
	.set _ZN7rocprim17ROCPRIM_400000_NS6detail17trampoline_kernelINS0_13select_configILj256ELj13ELNS0_17block_load_methodE3ELS4_3ELS4_3ELNS0_20block_scan_algorithmE0ELj4294967295EEENS1_25partition_config_selectorILNS1_17partition_subalgoE3EjNS0_10empty_typeEbEEZZNS1_14partition_implILS8_3ELb0ES6_jNS0_17counting_iteratorIjlEEPS9_SE_NS0_5tupleIJPjSE_EEENSF_IJSE_SE_EEES9_SG_JZNS1_25segmented_radix_sort_implINS0_14default_configELb1EPK6__halfPSL_PKlPlN2at6native12_GLOBAL__N_18offset_tEEE10hipError_tPvRmT1_PNSt15iterator_traitsISZ_E10value_typeET2_T3_PNS10_IS15_E10value_typeET4_jRbjT5_S1B_jjP12ihipStream_tbEUljE_EEESW_SX_SY_S15_S19_S1B_T6_T7_T9_mT8_S1D_bDpT10_ENKUlT_T0_E_clISt17integral_constantIbLb1EES1P_IbLb0EEEEDaS1L_S1M_EUlS1L_E_NS1_11comp_targetILNS1_3genE10ELNS1_11target_archE1200ELNS1_3gpuE4ELNS1_3repE0EEENS1_30default_config_static_selectorELNS0_4arch9wavefront6targetE0EEEvSZ_.has_indirect_call, 0
	.section	.AMDGPU.csdata,"",@progbits
; Kernel info:
; codeLenInByte = 0
; TotalNumSgprs: 0
; NumVgprs: 0
; ScratchSize: 0
; MemoryBound: 0
; FloatMode: 240
; IeeeMode: 1
; LDSByteSize: 0 bytes/workgroup (compile time only)
; SGPRBlocks: 0
; VGPRBlocks: 0
; NumSGPRsForWavesPerEU: 1
; NumVGPRsForWavesPerEU: 1
; Occupancy: 16
; WaveLimiterHint : 0
; COMPUTE_PGM_RSRC2:SCRATCH_EN: 0
; COMPUTE_PGM_RSRC2:USER_SGPR: 6
; COMPUTE_PGM_RSRC2:TRAP_HANDLER: 0
; COMPUTE_PGM_RSRC2:TGID_X_EN: 1
; COMPUTE_PGM_RSRC2:TGID_Y_EN: 0
; COMPUTE_PGM_RSRC2:TGID_Z_EN: 0
; COMPUTE_PGM_RSRC2:TIDIG_COMP_CNT: 0
	.section	.text._ZN7rocprim17ROCPRIM_400000_NS6detail17trampoline_kernelINS0_13select_configILj256ELj13ELNS0_17block_load_methodE3ELS4_3ELS4_3ELNS0_20block_scan_algorithmE0ELj4294967295EEENS1_25partition_config_selectorILNS1_17partition_subalgoE3EjNS0_10empty_typeEbEEZZNS1_14partition_implILS8_3ELb0ES6_jNS0_17counting_iteratorIjlEEPS9_SE_NS0_5tupleIJPjSE_EEENSF_IJSE_SE_EEES9_SG_JZNS1_25segmented_radix_sort_implINS0_14default_configELb1EPK6__halfPSL_PKlPlN2at6native12_GLOBAL__N_18offset_tEEE10hipError_tPvRmT1_PNSt15iterator_traitsISZ_E10value_typeET2_T3_PNS10_IS15_E10value_typeET4_jRbjT5_S1B_jjP12ihipStream_tbEUljE_EEESW_SX_SY_S15_S19_S1B_T6_T7_T9_mT8_S1D_bDpT10_ENKUlT_T0_E_clISt17integral_constantIbLb1EES1P_IbLb0EEEEDaS1L_S1M_EUlS1L_E_NS1_11comp_targetILNS1_3genE9ELNS1_11target_archE1100ELNS1_3gpuE3ELNS1_3repE0EEENS1_30default_config_static_selectorELNS0_4arch9wavefront6targetE0EEEvSZ_,"axG",@progbits,_ZN7rocprim17ROCPRIM_400000_NS6detail17trampoline_kernelINS0_13select_configILj256ELj13ELNS0_17block_load_methodE3ELS4_3ELS4_3ELNS0_20block_scan_algorithmE0ELj4294967295EEENS1_25partition_config_selectorILNS1_17partition_subalgoE3EjNS0_10empty_typeEbEEZZNS1_14partition_implILS8_3ELb0ES6_jNS0_17counting_iteratorIjlEEPS9_SE_NS0_5tupleIJPjSE_EEENSF_IJSE_SE_EEES9_SG_JZNS1_25segmented_radix_sort_implINS0_14default_configELb1EPK6__halfPSL_PKlPlN2at6native12_GLOBAL__N_18offset_tEEE10hipError_tPvRmT1_PNSt15iterator_traitsISZ_E10value_typeET2_T3_PNS10_IS15_E10value_typeET4_jRbjT5_S1B_jjP12ihipStream_tbEUljE_EEESW_SX_SY_S15_S19_S1B_T6_T7_T9_mT8_S1D_bDpT10_ENKUlT_T0_E_clISt17integral_constantIbLb1EES1P_IbLb0EEEEDaS1L_S1M_EUlS1L_E_NS1_11comp_targetILNS1_3genE9ELNS1_11target_archE1100ELNS1_3gpuE3ELNS1_3repE0EEENS1_30default_config_static_selectorELNS0_4arch9wavefront6targetE0EEEvSZ_,comdat
	.globl	_ZN7rocprim17ROCPRIM_400000_NS6detail17trampoline_kernelINS0_13select_configILj256ELj13ELNS0_17block_load_methodE3ELS4_3ELS4_3ELNS0_20block_scan_algorithmE0ELj4294967295EEENS1_25partition_config_selectorILNS1_17partition_subalgoE3EjNS0_10empty_typeEbEEZZNS1_14partition_implILS8_3ELb0ES6_jNS0_17counting_iteratorIjlEEPS9_SE_NS0_5tupleIJPjSE_EEENSF_IJSE_SE_EEES9_SG_JZNS1_25segmented_radix_sort_implINS0_14default_configELb1EPK6__halfPSL_PKlPlN2at6native12_GLOBAL__N_18offset_tEEE10hipError_tPvRmT1_PNSt15iterator_traitsISZ_E10value_typeET2_T3_PNS10_IS15_E10value_typeET4_jRbjT5_S1B_jjP12ihipStream_tbEUljE_EEESW_SX_SY_S15_S19_S1B_T6_T7_T9_mT8_S1D_bDpT10_ENKUlT_T0_E_clISt17integral_constantIbLb1EES1P_IbLb0EEEEDaS1L_S1M_EUlS1L_E_NS1_11comp_targetILNS1_3genE9ELNS1_11target_archE1100ELNS1_3gpuE3ELNS1_3repE0EEENS1_30default_config_static_selectorELNS0_4arch9wavefront6targetE0EEEvSZ_ ; -- Begin function _ZN7rocprim17ROCPRIM_400000_NS6detail17trampoline_kernelINS0_13select_configILj256ELj13ELNS0_17block_load_methodE3ELS4_3ELS4_3ELNS0_20block_scan_algorithmE0ELj4294967295EEENS1_25partition_config_selectorILNS1_17partition_subalgoE3EjNS0_10empty_typeEbEEZZNS1_14partition_implILS8_3ELb0ES6_jNS0_17counting_iteratorIjlEEPS9_SE_NS0_5tupleIJPjSE_EEENSF_IJSE_SE_EEES9_SG_JZNS1_25segmented_radix_sort_implINS0_14default_configELb1EPK6__halfPSL_PKlPlN2at6native12_GLOBAL__N_18offset_tEEE10hipError_tPvRmT1_PNSt15iterator_traitsISZ_E10value_typeET2_T3_PNS10_IS15_E10value_typeET4_jRbjT5_S1B_jjP12ihipStream_tbEUljE_EEESW_SX_SY_S15_S19_S1B_T6_T7_T9_mT8_S1D_bDpT10_ENKUlT_T0_E_clISt17integral_constantIbLb1EES1P_IbLb0EEEEDaS1L_S1M_EUlS1L_E_NS1_11comp_targetILNS1_3genE9ELNS1_11target_archE1100ELNS1_3gpuE3ELNS1_3repE0EEENS1_30default_config_static_selectorELNS0_4arch9wavefront6targetE0EEEvSZ_
	.p2align	8
	.type	_ZN7rocprim17ROCPRIM_400000_NS6detail17trampoline_kernelINS0_13select_configILj256ELj13ELNS0_17block_load_methodE3ELS4_3ELS4_3ELNS0_20block_scan_algorithmE0ELj4294967295EEENS1_25partition_config_selectorILNS1_17partition_subalgoE3EjNS0_10empty_typeEbEEZZNS1_14partition_implILS8_3ELb0ES6_jNS0_17counting_iteratorIjlEEPS9_SE_NS0_5tupleIJPjSE_EEENSF_IJSE_SE_EEES9_SG_JZNS1_25segmented_radix_sort_implINS0_14default_configELb1EPK6__halfPSL_PKlPlN2at6native12_GLOBAL__N_18offset_tEEE10hipError_tPvRmT1_PNSt15iterator_traitsISZ_E10value_typeET2_T3_PNS10_IS15_E10value_typeET4_jRbjT5_S1B_jjP12ihipStream_tbEUljE_EEESW_SX_SY_S15_S19_S1B_T6_T7_T9_mT8_S1D_bDpT10_ENKUlT_T0_E_clISt17integral_constantIbLb1EES1P_IbLb0EEEEDaS1L_S1M_EUlS1L_E_NS1_11comp_targetILNS1_3genE9ELNS1_11target_archE1100ELNS1_3gpuE3ELNS1_3repE0EEENS1_30default_config_static_selectorELNS0_4arch9wavefront6targetE0EEEvSZ_,@function
_ZN7rocprim17ROCPRIM_400000_NS6detail17trampoline_kernelINS0_13select_configILj256ELj13ELNS0_17block_load_methodE3ELS4_3ELS4_3ELNS0_20block_scan_algorithmE0ELj4294967295EEENS1_25partition_config_selectorILNS1_17partition_subalgoE3EjNS0_10empty_typeEbEEZZNS1_14partition_implILS8_3ELb0ES6_jNS0_17counting_iteratorIjlEEPS9_SE_NS0_5tupleIJPjSE_EEENSF_IJSE_SE_EEES9_SG_JZNS1_25segmented_radix_sort_implINS0_14default_configELb1EPK6__halfPSL_PKlPlN2at6native12_GLOBAL__N_18offset_tEEE10hipError_tPvRmT1_PNSt15iterator_traitsISZ_E10value_typeET2_T3_PNS10_IS15_E10value_typeET4_jRbjT5_S1B_jjP12ihipStream_tbEUljE_EEESW_SX_SY_S15_S19_S1B_T6_T7_T9_mT8_S1D_bDpT10_ENKUlT_T0_E_clISt17integral_constantIbLb1EES1P_IbLb0EEEEDaS1L_S1M_EUlS1L_E_NS1_11comp_targetILNS1_3genE9ELNS1_11target_archE1100ELNS1_3gpuE3ELNS1_3repE0EEENS1_30default_config_static_selectorELNS0_4arch9wavefront6targetE0EEEvSZ_: ; @_ZN7rocprim17ROCPRIM_400000_NS6detail17trampoline_kernelINS0_13select_configILj256ELj13ELNS0_17block_load_methodE3ELS4_3ELS4_3ELNS0_20block_scan_algorithmE0ELj4294967295EEENS1_25partition_config_selectorILNS1_17partition_subalgoE3EjNS0_10empty_typeEbEEZZNS1_14partition_implILS8_3ELb0ES6_jNS0_17counting_iteratorIjlEEPS9_SE_NS0_5tupleIJPjSE_EEENSF_IJSE_SE_EEES9_SG_JZNS1_25segmented_radix_sort_implINS0_14default_configELb1EPK6__halfPSL_PKlPlN2at6native12_GLOBAL__N_18offset_tEEE10hipError_tPvRmT1_PNSt15iterator_traitsISZ_E10value_typeET2_T3_PNS10_IS15_E10value_typeET4_jRbjT5_S1B_jjP12ihipStream_tbEUljE_EEESW_SX_SY_S15_S19_S1B_T6_T7_T9_mT8_S1D_bDpT10_ENKUlT_T0_E_clISt17integral_constantIbLb1EES1P_IbLb0EEEEDaS1L_S1M_EUlS1L_E_NS1_11comp_targetILNS1_3genE9ELNS1_11target_archE1100ELNS1_3gpuE3ELNS1_3repE0EEENS1_30default_config_static_selectorELNS0_4arch9wavefront6targetE0EEEvSZ_
; %bb.0:
	.section	.rodata,"a",@progbits
	.p2align	6, 0x0
	.amdhsa_kernel _ZN7rocprim17ROCPRIM_400000_NS6detail17trampoline_kernelINS0_13select_configILj256ELj13ELNS0_17block_load_methodE3ELS4_3ELS4_3ELNS0_20block_scan_algorithmE0ELj4294967295EEENS1_25partition_config_selectorILNS1_17partition_subalgoE3EjNS0_10empty_typeEbEEZZNS1_14partition_implILS8_3ELb0ES6_jNS0_17counting_iteratorIjlEEPS9_SE_NS0_5tupleIJPjSE_EEENSF_IJSE_SE_EEES9_SG_JZNS1_25segmented_radix_sort_implINS0_14default_configELb1EPK6__halfPSL_PKlPlN2at6native12_GLOBAL__N_18offset_tEEE10hipError_tPvRmT1_PNSt15iterator_traitsISZ_E10value_typeET2_T3_PNS10_IS15_E10value_typeET4_jRbjT5_S1B_jjP12ihipStream_tbEUljE_EEESW_SX_SY_S15_S19_S1B_T6_T7_T9_mT8_S1D_bDpT10_ENKUlT_T0_E_clISt17integral_constantIbLb1EES1P_IbLb0EEEEDaS1L_S1M_EUlS1L_E_NS1_11comp_targetILNS1_3genE9ELNS1_11target_archE1100ELNS1_3gpuE3ELNS1_3repE0EEENS1_30default_config_static_selectorELNS0_4arch9wavefront6targetE0EEEvSZ_
		.amdhsa_group_segment_fixed_size 0
		.amdhsa_private_segment_fixed_size 0
		.amdhsa_kernarg_size 144
		.amdhsa_user_sgpr_count 6
		.amdhsa_user_sgpr_private_segment_buffer 1
		.amdhsa_user_sgpr_dispatch_ptr 0
		.amdhsa_user_sgpr_queue_ptr 0
		.amdhsa_user_sgpr_kernarg_segment_ptr 1
		.amdhsa_user_sgpr_dispatch_id 0
		.amdhsa_user_sgpr_flat_scratch_init 0
		.amdhsa_user_sgpr_private_segment_size 0
		.amdhsa_wavefront_size32 1
		.amdhsa_uses_dynamic_stack 0
		.amdhsa_system_sgpr_private_segment_wavefront_offset 0
		.amdhsa_system_sgpr_workgroup_id_x 1
		.amdhsa_system_sgpr_workgroup_id_y 0
		.amdhsa_system_sgpr_workgroup_id_z 0
		.amdhsa_system_sgpr_workgroup_info 0
		.amdhsa_system_vgpr_workitem_id 0
		.amdhsa_next_free_vgpr 1
		.amdhsa_next_free_sgpr 1
		.amdhsa_reserve_vcc 0
		.amdhsa_reserve_flat_scratch 0
		.amdhsa_float_round_mode_32 0
		.amdhsa_float_round_mode_16_64 0
		.amdhsa_float_denorm_mode_32 3
		.amdhsa_float_denorm_mode_16_64 3
		.amdhsa_dx10_clamp 1
		.amdhsa_ieee_mode 1
		.amdhsa_fp16_overflow 0
		.amdhsa_workgroup_processor_mode 1
		.amdhsa_memory_ordered 1
		.amdhsa_forward_progress 1
		.amdhsa_shared_vgpr_count 0
		.amdhsa_exception_fp_ieee_invalid_op 0
		.amdhsa_exception_fp_denorm_src 0
		.amdhsa_exception_fp_ieee_div_zero 0
		.amdhsa_exception_fp_ieee_overflow 0
		.amdhsa_exception_fp_ieee_underflow 0
		.amdhsa_exception_fp_ieee_inexact 0
		.amdhsa_exception_int_div_zero 0
	.end_amdhsa_kernel
	.section	.text._ZN7rocprim17ROCPRIM_400000_NS6detail17trampoline_kernelINS0_13select_configILj256ELj13ELNS0_17block_load_methodE3ELS4_3ELS4_3ELNS0_20block_scan_algorithmE0ELj4294967295EEENS1_25partition_config_selectorILNS1_17partition_subalgoE3EjNS0_10empty_typeEbEEZZNS1_14partition_implILS8_3ELb0ES6_jNS0_17counting_iteratorIjlEEPS9_SE_NS0_5tupleIJPjSE_EEENSF_IJSE_SE_EEES9_SG_JZNS1_25segmented_radix_sort_implINS0_14default_configELb1EPK6__halfPSL_PKlPlN2at6native12_GLOBAL__N_18offset_tEEE10hipError_tPvRmT1_PNSt15iterator_traitsISZ_E10value_typeET2_T3_PNS10_IS15_E10value_typeET4_jRbjT5_S1B_jjP12ihipStream_tbEUljE_EEESW_SX_SY_S15_S19_S1B_T6_T7_T9_mT8_S1D_bDpT10_ENKUlT_T0_E_clISt17integral_constantIbLb1EES1P_IbLb0EEEEDaS1L_S1M_EUlS1L_E_NS1_11comp_targetILNS1_3genE9ELNS1_11target_archE1100ELNS1_3gpuE3ELNS1_3repE0EEENS1_30default_config_static_selectorELNS0_4arch9wavefront6targetE0EEEvSZ_,"axG",@progbits,_ZN7rocprim17ROCPRIM_400000_NS6detail17trampoline_kernelINS0_13select_configILj256ELj13ELNS0_17block_load_methodE3ELS4_3ELS4_3ELNS0_20block_scan_algorithmE0ELj4294967295EEENS1_25partition_config_selectorILNS1_17partition_subalgoE3EjNS0_10empty_typeEbEEZZNS1_14partition_implILS8_3ELb0ES6_jNS0_17counting_iteratorIjlEEPS9_SE_NS0_5tupleIJPjSE_EEENSF_IJSE_SE_EEES9_SG_JZNS1_25segmented_radix_sort_implINS0_14default_configELb1EPK6__halfPSL_PKlPlN2at6native12_GLOBAL__N_18offset_tEEE10hipError_tPvRmT1_PNSt15iterator_traitsISZ_E10value_typeET2_T3_PNS10_IS15_E10value_typeET4_jRbjT5_S1B_jjP12ihipStream_tbEUljE_EEESW_SX_SY_S15_S19_S1B_T6_T7_T9_mT8_S1D_bDpT10_ENKUlT_T0_E_clISt17integral_constantIbLb1EES1P_IbLb0EEEEDaS1L_S1M_EUlS1L_E_NS1_11comp_targetILNS1_3genE9ELNS1_11target_archE1100ELNS1_3gpuE3ELNS1_3repE0EEENS1_30default_config_static_selectorELNS0_4arch9wavefront6targetE0EEEvSZ_,comdat
.Lfunc_end1719:
	.size	_ZN7rocprim17ROCPRIM_400000_NS6detail17trampoline_kernelINS0_13select_configILj256ELj13ELNS0_17block_load_methodE3ELS4_3ELS4_3ELNS0_20block_scan_algorithmE0ELj4294967295EEENS1_25partition_config_selectorILNS1_17partition_subalgoE3EjNS0_10empty_typeEbEEZZNS1_14partition_implILS8_3ELb0ES6_jNS0_17counting_iteratorIjlEEPS9_SE_NS0_5tupleIJPjSE_EEENSF_IJSE_SE_EEES9_SG_JZNS1_25segmented_radix_sort_implINS0_14default_configELb1EPK6__halfPSL_PKlPlN2at6native12_GLOBAL__N_18offset_tEEE10hipError_tPvRmT1_PNSt15iterator_traitsISZ_E10value_typeET2_T3_PNS10_IS15_E10value_typeET4_jRbjT5_S1B_jjP12ihipStream_tbEUljE_EEESW_SX_SY_S15_S19_S1B_T6_T7_T9_mT8_S1D_bDpT10_ENKUlT_T0_E_clISt17integral_constantIbLb1EES1P_IbLb0EEEEDaS1L_S1M_EUlS1L_E_NS1_11comp_targetILNS1_3genE9ELNS1_11target_archE1100ELNS1_3gpuE3ELNS1_3repE0EEENS1_30default_config_static_selectorELNS0_4arch9wavefront6targetE0EEEvSZ_, .Lfunc_end1719-_ZN7rocprim17ROCPRIM_400000_NS6detail17trampoline_kernelINS0_13select_configILj256ELj13ELNS0_17block_load_methodE3ELS4_3ELS4_3ELNS0_20block_scan_algorithmE0ELj4294967295EEENS1_25partition_config_selectorILNS1_17partition_subalgoE3EjNS0_10empty_typeEbEEZZNS1_14partition_implILS8_3ELb0ES6_jNS0_17counting_iteratorIjlEEPS9_SE_NS0_5tupleIJPjSE_EEENSF_IJSE_SE_EEES9_SG_JZNS1_25segmented_radix_sort_implINS0_14default_configELb1EPK6__halfPSL_PKlPlN2at6native12_GLOBAL__N_18offset_tEEE10hipError_tPvRmT1_PNSt15iterator_traitsISZ_E10value_typeET2_T3_PNS10_IS15_E10value_typeET4_jRbjT5_S1B_jjP12ihipStream_tbEUljE_EEESW_SX_SY_S15_S19_S1B_T6_T7_T9_mT8_S1D_bDpT10_ENKUlT_T0_E_clISt17integral_constantIbLb1EES1P_IbLb0EEEEDaS1L_S1M_EUlS1L_E_NS1_11comp_targetILNS1_3genE9ELNS1_11target_archE1100ELNS1_3gpuE3ELNS1_3repE0EEENS1_30default_config_static_selectorELNS0_4arch9wavefront6targetE0EEEvSZ_
                                        ; -- End function
	.set _ZN7rocprim17ROCPRIM_400000_NS6detail17trampoline_kernelINS0_13select_configILj256ELj13ELNS0_17block_load_methodE3ELS4_3ELS4_3ELNS0_20block_scan_algorithmE0ELj4294967295EEENS1_25partition_config_selectorILNS1_17partition_subalgoE3EjNS0_10empty_typeEbEEZZNS1_14partition_implILS8_3ELb0ES6_jNS0_17counting_iteratorIjlEEPS9_SE_NS0_5tupleIJPjSE_EEENSF_IJSE_SE_EEES9_SG_JZNS1_25segmented_radix_sort_implINS0_14default_configELb1EPK6__halfPSL_PKlPlN2at6native12_GLOBAL__N_18offset_tEEE10hipError_tPvRmT1_PNSt15iterator_traitsISZ_E10value_typeET2_T3_PNS10_IS15_E10value_typeET4_jRbjT5_S1B_jjP12ihipStream_tbEUljE_EEESW_SX_SY_S15_S19_S1B_T6_T7_T9_mT8_S1D_bDpT10_ENKUlT_T0_E_clISt17integral_constantIbLb1EES1P_IbLb0EEEEDaS1L_S1M_EUlS1L_E_NS1_11comp_targetILNS1_3genE9ELNS1_11target_archE1100ELNS1_3gpuE3ELNS1_3repE0EEENS1_30default_config_static_selectorELNS0_4arch9wavefront6targetE0EEEvSZ_.num_vgpr, 0
	.set _ZN7rocprim17ROCPRIM_400000_NS6detail17trampoline_kernelINS0_13select_configILj256ELj13ELNS0_17block_load_methodE3ELS4_3ELS4_3ELNS0_20block_scan_algorithmE0ELj4294967295EEENS1_25partition_config_selectorILNS1_17partition_subalgoE3EjNS0_10empty_typeEbEEZZNS1_14partition_implILS8_3ELb0ES6_jNS0_17counting_iteratorIjlEEPS9_SE_NS0_5tupleIJPjSE_EEENSF_IJSE_SE_EEES9_SG_JZNS1_25segmented_radix_sort_implINS0_14default_configELb1EPK6__halfPSL_PKlPlN2at6native12_GLOBAL__N_18offset_tEEE10hipError_tPvRmT1_PNSt15iterator_traitsISZ_E10value_typeET2_T3_PNS10_IS15_E10value_typeET4_jRbjT5_S1B_jjP12ihipStream_tbEUljE_EEESW_SX_SY_S15_S19_S1B_T6_T7_T9_mT8_S1D_bDpT10_ENKUlT_T0_E_clISt17integral_constantIbLb1EES1P_IbLb0EEEEDaS1L_S1M_EUlS1L_E_NS1_11comp_targetILNS1_3genE9ELNS1_11target_archE1100ELNS1_3gpuE3ELNS1_3repE0EEENS1_30default_config_static_selectorELNS0_4arch9wavefront6targetE0EEEvSZ_.num_agpr, 0
	.set _ZN7rocprim17ROCPRIM_400000_NS6detail17trampoline_kernelINS0_13select_configILj256ELj13ELNS0_17block_load_methodE3ELS4_3ELS4_3ELNS0_20block_scan_algorithmE0ELj4294967295EEENS1_25partition_config_selectorILNS1_17partition_subalgoE3EjNS0_10empty_typeEbEEZZNS1_14partition_implILS8_3ELb0ES6_jNS0_17counting_iteratorIjlEEPS9_SE_NS0_5tupleIJPjSE_EEENSF_IJSE_SE_EEES9_SG_JZNS1_25segmented_radix_sort_implINS0_14default_configELb1EPK6__halfPSL_PKlPlN2at6native12_GLOBAL__N_18offset_tEEE10hipError_tPvRmT1_PNSt15iterator_traitsISZ_E10value_typeET2_T3_PNS10_IS15_E10value_typeET4_jRbjT5_S1B_jjP12ihipStream_tbEUljE_EEESW_SX_SY_S15_S19_S1B_T6_T7_T9_mT8_S1D_bDpT10_ENKUlT_T0_E_clISt17integral_constantIbLb1EES1P_IbLb0EEEEDaS1L_S1M_EUlS1L_E_NS1_11comp_targetILNS1_3genE9ELNS1_11target_archE1100ELNS1_3gpuE3ELNS1_3repE0EEENS1_30default_config_static_selectorELNS0_4arch9wavefront6targetE0EEEvSZ_.numbered_sgpr, 0
	.set _ZN7rocprim17ROCPRIM_400000_NS6detail17trampoline_kernelINS0_13select_configILj256ELj13ELNS0_17block_load_methodE3ELS4_3ELS4_3ELNS0_20block_scan_algorithmE0ELj4294967295EEENS1_25partition_config_selectorILNS1_17partition_subalgoE3EjNS0_10empty_typeEbEEZZNS1_14partition_implILS8_3ELb0ES6_jNS0_17counting_iteratorIjlEEPS9_SE_NS0_5tupleIJPjSE_EEENSF_IJSE_SE_EEES9_SG_JZNS1_25segmented_radix_sort_implINS0_14default_configELb1EPK6__halfPSL_PKlPlN2at6native12_GLOBAL__N_18offset_tEEE10hipError_tPvRmT1_PNSt15iterator_traitsISZ_E10value_typeET2_T3_PNS10_IS15_E10value_typeET4_jRbjT5_S1B_jjP12ihipStream_tbEUljE_EEESW_SX_SY_S15_S19_S1B_T6_T7_T9_mT8_S1D_bDpT10_ENKUlT_T0_E_clISt17integral_constantIbLb1EES1P_IbLb0EEEEDaS1L_S1M_EUlS1L_E_NS1_11comp_targetILNS1_3genE9ELNS1_11target_archE1100ELNS1_3gpuE3ELNS1_3repE0EEENS1_30default_config_static_selectorELNS0_4arch9wavefront6targetE0EEEvSZ_.num_named_barrier, 0
	.set _ZN7rocprim17ROCPRIM_400000_NS6detail17trampoline_kernelINS0_13select_configILj256ELj13ELNS0_17block_load_methodE3ELS4_3ELS4_3ELNS0_20block_scan_algorithmE0ELj4294967295EEENS1_25partition_config_selectorILNS1_17partition_subalgoE3EjNS0_10empty_typeEbEEZZNS1_14partition_implILS8_3ELb0ES6_jNS0_17counting_iteratorIjlEEPS9_SE_NS0_5tupleIJPjSE_EEENSF_IJSE_SE_EEES9_SG_JZNS1_25segmented_radix_sort_implINS0_14default_configELb1EPK6__halfPSL_PKlPlN2at6native12_GLOBAL__N_18offset_tEEE10hipError_tPvRmT1_PNSt15iterator_traitsISZ_E10value_typeET2_T3_PNS10_IS15_E10value_typeET4_jRbjT5_S1B_jjP12ihipStream_tbEUljE_EEESW_SX_SY_S15_S19_S1B_T6_T7_T9_mT8_S1D_bDpT10_ENKUlT_T0_E_clISt17integral_constantIbLb1EES1P_IbLb0EEEEDaS1L_S1M_EUlS1L_E_NS1_11comp_targetILNS1_3genE9ELNS1_11target_archE1100ELNS1_3gpuE3ELNS1_3repE0EEENS1_30default_config_static_selectorELNS0_4arch9wavefront6targetE0EEEvSZ_.private_seg_size, 0
	.set _ZN7rocprim17ROCPRIM_400000_NS6detail17trampoline_kernelINS0_13select_configILj256ELj13ELNS0_17block_load_methodE3ELS4_3ELS4_3ELNS0_20block_scan_algorithmE0ELj4294967295EEENS1_25partition_config_selectorILNS1_17partition_subalgoE3EjNS0_10empty_typeEbEEZZNS1_14partition_implILS8_3ELb0ES6_jNS0_17counting_iteratorIjlEEPS9_SE_NS0_5tupleIJPjSE_EEENSF_IJSE_SE_EEES9_SG_JZNS1_25segmented_radix_sort_implINS0_14default_configELb1EPK6__halfPSL_PKlPlN2at6native12_GLOBAL__N_18offset_tEEE10hipError_tPvRmT1_PNSt15iterator_traitsISZ_E10value_typeET2_T3_PNS10_IS15_E10value_typeET4_jRbjT5_S1B_jjP12ihipStream_tbEUljE_EEESW_SX_SY_S15_S19_S1B_T6_T7_T9_mT8_S1D_bDpT10_ENKUlT_T0_E_clISt17integral_constantIbLb1EES1P_IbLb0EEEEDaS1L_S1M_EUlS1L_E_NS1_11comp_targetILNS1_3genE9ELNS1_11target_archE1100ELNS1_3gpuE3ELNS1_3repE0EEENS1_30default_config_static_selectorELNS0_4arch9wavefront6targetE0EEEvSZ_.uses_vcc, 0
	.set _ZN7rocprim17ROCPRIM_400000_NS6detail17trampoline_kernelINS0_13select_configILj256ELj13ELNS0_17block_load_methodE3ELS4_3ELS4_3ELNS0_20block_scan_algorithmE0ELj4294967295EEENS1_25partition_config_selectorILNS1_17partition_subalgoE3EjNS0_10empty_typeEbEEZZNS1_14partition_implILS8_3ELb0ES6_jNS0_17counting_iteratorIjlEEPS9_SE_NS0_5tupleIJPjSE_EEENSF_IJSE_SE_EEES9_SG_JZNS1_25segmented_radix_sort_implINS0_14default_configELb1EPK6__halfPSL_PKlPlN2at6native12_GLOBAL__N_18offset_tEEE10hipError_tPvRmT1_PNSt15iterator_traitsISZ_E10value_typeET2_T3_PNS10_IS15_E10value_typeET4_jRbjT5_S1B_jjP12ihipStream_tbEUljE_EEESW_SX_SY_S15_S19_S1B_T6_T7_T9_mT8_S1D_bDpT10_ENKUlT_T0_E_clISt17integral_constantIbLb1EES1P_IbLb0EEEEDaS1L_S1M_EUlS1L_E_NS1_11comp_targetILNS1_3genE9ELNS1_11target_archE1100ELNS1_3gpuE3ELNS1_3repE0EEENS1_30default_config_static_selectorELNS0_4arch9wavefront6targetE0EEEvSZ_.uses_flat_scratch, 0
	.set _ZN7rocprim17ROCPRIM_400000_NS6detail17trampoline_kernelINS0_13select_configILj256ELj13ELNS0_17block_load_methodE3ELS4_3ELS4_3ELNS0_20block_scan_algorithmE0ELj4294967295EEENS1_25partition_config_selectorILNS1_17partition_subalgoE3EjNS0_10empty_typeEbEEZZNS1_14partition_implILS8_3ELb0ES6_jNS0_17counting_iteratorIjlEEPS9_SE_NS0_5tupleIJPjSE_EEENSF_IJSE_SE_EEES9_SG_JZNS1_25segmented_radix_sort_implINS0_14default_configELb1EPK6__halfPSL_PKlPlN2at6native12_GLOBAL__N_18offset_tEEE10hipError_tPvRmT1_PNSt15iterator_traitsISZ_E10value_typeET2_T3_PNS10_IS15_E10value_typeET4_jRbjT5_S1B_jjP12ihipStream_tbEUljE_EEESW_SX_SY_S15_S19_S1B_T6_T7_T9_mT8_S1D_bDpT10_ENKUlT_T0_E_clISt17integral_constantIbLb1EES1P_IbLb0EEEEDaS1L_S1M_EUlS1L_E_NS1_11comp_targetILNS1_3genE9ELNS1_11target_archE1100ELNS1_3gpuE3ELNS1_3repE0EEENS1_30default_config_static_selectorELNS0_4arch9wavefront6targetE0EEEvSZ_.has_dyn_sized_stack, 0
	.set _ZN7rocprim17ROCPRIM_400000_NS6detail17trampoline_kernelINS0_13select_configILj256ELj13ELNS0_17block_load_methodE3ELS4_3ELS4_3ELNS0_20block_scan_algorithmE0ELj4294967295EEENS1_25partition_config_selectorILNS1_17partition_subalgoE3EjNS0_10empty_typeEbEEZZNS1_14partition_implILS8_3ELb0ES6_jNS0_17counting_iteratorIjlEEPS9_SE_NS0_5tupleIJPjSE_EEENSF_IJSE_SE_EEES9_SG_JZNS1_25segmented_radix_sort_implINS0_14default_configELb1EPK6__halfPSL_PKlPlN2at6native12_GLOBAL__N_18offset_tEEE10hipError_tPvRmT1_PNSt15iterator_traitsISZ_E10value_typeET2_T3_PNS10_IS15_E10value_typeET4_jRbjT5_S1B_jjP12ihipStream_tbEUljE_EEESW_SX_SY_S15_S19_S1B_T6_T7_T9_mT8_S1D_bDpT10_ENKUlT_T0_E_clISt17integral_constantIbLb1EES1P_IbLb0EEEEDaS1L_S1M_EUlS1L_E_NS1_11comp_targetILNS1_3genE9ELNS1_11target_archE1100ELNS1_3gpuE3ELNS1_3repE0EEENS1_30default_config_static_selectorELNS0_4arch9wavefront6targetE0EEEvSZ_.has_recursion, 0
	.set _ZN7rocprim17ROCPRIM_400000_NS6detail17trampoline_kernelINS0_13select_configILj256ELj13ELNS0_17block_load_methodE3ELS4_3ELS4_3ELNS0_20block_scan_algorithmE0ELj4294967295EEENS1_25partition_config_selectorILNS1_17partition_subalgoE3EjNS0_10empty_typeEbEEZZNS1_14partition_implILS8_3ELb0ES6_jNS0_17counting_iteratorIjlEEPS9_SE_NS0_5tupleIJPjSE_EEENSF_IJSE_SE_EEES9_SG_JZNS1_25segmented_radix_sort_implINS0_14default_configELb1EPK6__halfPSL_PKlPlN2at6native12_GLOBAL__N_18offset_tEEE10hipError_tPvRmT1_PNSt15iterator_traitsISZ_E10value_typeET2_T3_PNS10_IS15_E10value_typeET4_jRbjT5_S1B_jjP12ihipStream_tbEUljE_EEESW_SX_SY_S15_S19_S1B_T6_T7_T9_mT8_S1D_bDpT10_ENKUlT_T0_E_clISt17integral_constantIbLb1EES1P_IbLb0EEEEDaS1L_S1M_EUlS1L_E_NS1_11comp_targetILNS1_3genE9ELNS1_11target_archE1100ELNS1_3gpuE3ELNS1_3repE0EEENS1_30default_config_static_selectorELNS0_4arch9wavefront6targetE0EEEvSZ_.has_indirect_call, 0
	.section	.AMDGPU.csdata,"",@progbits
; Kernel info:
; codeLenInByte = 0
; TotalNumSgprs: 0
; NumVgprs: 0
; ScratchSize: 0
; MemoryBound: 0
; FloatMode: 240
; IeeeMode: 1
; LDSByteSize: 0 bytes/workgroup (compile time only)
; SGPRBlocks: 0
; VGPRBlocks: 0
; NumSGPRsForWavesPerEU: 1
; NumVGPRsForWavesPerEU: 1
; Occupancy: 16
; WaveLimiterHint : 0
; COMPUTE_PGM_RSRC2:SCRATCH_EN: 0
; COMPUTE_PGM_RSRC2:USER_SGPR: 6
; COMPUTE_PGM_RSRC2:TRAP_HANDLER: 0
; COMPUTE_PGM_RSRC2:TGID_X_EN: 1
; COMPUTE_PGM_RSRC2:TGID_Y_EN: 0
; COMPUTE_PGM_RSRC2:TGID_Z_EN: 0
; COMPUTE_PGM_RSRC2:TIDIG_COMP_CNT: 0
	.section	.text._ZN7rocprim17ROCPRIM_400000_NS6detail17trampoline_kernelINS0_13select_configILj256ELj13ELNS0_17block_load_methodE3ELS4_3ELS4_3ELNS0_20block_scan_algorithmE0ELj4294967295EEENS1_25partition_config_selectorILNS1_17partition_subalgoE3EjNS0_10empty_typeEbEEZZNS1_14partition_implILS8_3ELb0ES6_jNS0_17counting_iteratorIjlEEPS9_SE_NS0_5tupleIJPjSE_EEENSF_IJSE_SE_EEES9_SG_JZNS1_25segmented_radix_sort_implINS0_14default_configELb1EPK6__halfPSL_PKlPlN2at6native12_GLOBAL__N_18offset_tEEE10hipError_tPvRmT1_PNSt15iterator_traitsISZ_E10value_typeET2_T3_PNS10_IS15_E10value_typeET4_jRbjT5_S1B_jjP12ihipStream_tbEUljE_EEESW_SX_SY_S15_S19_S1B_T6_T7_T9_mT8_S1D_bDpT10_ENKUlT_T0_E_clISt17integral_constantIbLb1EES1P_IbLb0EEEEDaS1L_S1M_EUlS1L_E_NS1_11comp_targetILNS1_3genE8ELNS1_11target_archE1030ELNS1_3gpuE2ELNS1_3repE0EEENS1_30default_config_static_selectorELNS0_4arch9wavefront6targetE0EEEvSZ_,"axG",@progbits,_ZN7rocprim17ROCPRIM_400000_NS6detail17trampoline_kernelINS0_13select_configILj256ELj13ELNS0_17block_load_methodE3ELS4_3ELS4_3ELNS0_20block_scan_algorithmE0ELj4294967295EEENS1_25partition_config_selectorILNS1_17partition_subalgoE3EjNS0_10empty_typeEbEEZZNS1_14partition_implILS8_3ELb0ES6_jNS0_17counting_iteratorIjlEEPS9_SE_NS0_5tupleIJPjSE_EEENSF_IJSE_SE_EEES9_SG_JZNS1_25segmented_radix_sort_implINS0_14default_configELb1EPK6__halfPSL_PKlPlN2at6native12_GLOBAL__N_18offset_tEEE10hipError_tPvRmT1_PNSt15iterator_traitsISZ_E10value_typeET2_T3_PNS10_IS15_E10value_typeET4_jRbjT5_S1B_jjP12ihipStream_tbEUljE_EEESW_SX_SY_S15_S19_S1B_T6_T7_T9_mT8_S1D_bDpT10_ENKUlT_T0_E_clISt17integral_constantIbLb1EES1P_IbLb0EEEEDaS1L_S1M_EUlS1L_E_NS1_11comp_targetILNS1_3genE8ELNS1_11target_archE1030ELNS1_3gpuE2ELNS1_3repE0EEENS1_30default_config_static_selectorELNS0_4arch9wavefront6targetE0EEEvSZ_,comdat
	.globl	_ZN7rocprim17ROCPRIM_400000_NS6detail17trampoline_kernelINS0_13select_configILj256ELj13ELNS0_17block_load_methodE3ELS4_3ELS4_3ELNS0_20block_scan_algorithmE0ELj4294967295EEENS1_25partition_config_selectorILNS1_17partition_subalgoE3EjNS0_10empty_typeEbEEZZNS1_14partition_implILS8_3ELb0ES6_jNS0_17counting_iteratorIjlEEPS9_SE_NS0_5tupleIJPjSE_EEENSF_IJSE_SE_EEES9_SG_JZNS1_25segmented_radix_sort_implINS0_14default_configELb1EPK6__halfPSL_PKlPlN2at6native12_GLOBAL__N_18offset_tEEE10hipError_tPvRmT1_PNSt15iterator_traitsISZ_E10value_typeET2_T3_PNS10_IS15_E10value_typeET4_jRbjT5_S1B_jjP12ihipStream_tbEUljE_EEESW_SX_SY_S15_S19_S1B_T6_T7_T9_mT8_S1D_bDpT10_ENKUlT_T0_E_clISt17integral_constantIbLb1EES1P_IbLb0EEEEDaS1L_S1M_EUlS1L_E_NS1_11comp_targetILNS1_3genE8ELNS1_11target_archE1030ELNS1_3gpuE2ELNS1_3repE0EEENS1_30default_config_static_selectorELNS0_4arch9wavefront6targetE0EEEvSZ_ ; -- Begin function _ZN7rocprim17ROCPRIM_400000_NS6detail17trampoline_kernelINS0_13select_configILj256ELj13ELNS0_17block_load_methodE3ELS4_3ELS4_3ELNS0_20block_scan_algorithmE0ELj4294967295EEENS1_25partition_config_selectorILNS1_17partition_subalgoE3EjNS0_10empty_typeEbEEZZNS1_14partition_implILS8_3ELb0ES6_jNS0_17counting_iteratorIjlEEPS9_SE_NS0_5tupleIJPjSE_EEENSF_IJSE_SE_EEES9_SG_JZNS1_25segmented_radix_sort_implINS0_14default_configELb1EPK6__halfPSL_PKlPlN2at6native12_GLOBAL__N_18offset_tEEE10hipError_tPvRmT1_PNSt15iterator_traitsISZ_E10value_typeET2_T3_PNS10_IS15_E10value_typeET4_jRbjT5_S1B_jjP12ihipStream_tbEUljE_EEESW_SX_SY_S15_S19_S1B_T6_T7_T9_mT8_S1D_bDpT10_ENKUlT_T0_E_clISt17integral_constantIbLb1EES1P_IbLb0EEEEDaS1L_S1M_EUlS1L_E_NS1_11comp_targetILNS1_3genE8ELNS1_11target_archE1030ELNS1_3gpuE2ELNS1_3repE0EEENS1_30default_config_static_selectorELNS0_4arch9wavefront6targetE0EEEvSZ_
	.p2align	8
	.type	_ZN7rocprim17ROCPRIM_400000_NS6detail17trampoline_kernelINS0_13select_configILj256ELj13ELNS0_17block_load_methodE3ELS4_3ELS4_3ELNS0_20block_scan_algorithmE0ELj4294967295EEENS1_25partition_config_selectorILNS1_17partition_subalgoE3EjNS0_10empty_typeEbEEZZNS1_14partition_implILS8_3ELb0ES6_jNS0_17counting_iteratorIjlEEPS9_SE_NS0_5tupleIJPjSE_EEENSF_IJSE_SE_EEES9_SG_JZNS1_25segmented_radix_sort_implINS0_14default_configELb1EPK6__halfPSL_PKlPlN2at6native12_GLOBAL__N_18offset_tEEE10hipError_tPvRmT1_PNSt15iterator_traitsISZ_E10value_typeET2_T3_PNS10_IS15_E10value_typeET4_jRbjT5_S1B_jjP12ihipStream_tbEUljE_EEESW_SX_SY_S15_S19_S1B_T6_T7_T9_mT8_S1D_bDpT10_ENKUlT_T0_E_clISt17integral_constantIbLb1EES1P_IbLb0EEEEDaS1L_S1M_EUlS1L_E_NS1_11comp_targetILNS1_3genE8ELNS1_11target_archE1030ELNS1_3gpuE2ELNS1_3repE0EEENS1_30default_config_static_selectorELNS0_4arch9wavefront6targetE0EEEvSZ_,@function
_ZN7rocprim17ROCPRIM_400000_NS6detail17trampoline_kernelINS0_13select_configILj256ELj13ELNS0_17block_load_methodE3ELS4_3ELS4_3ELNS0_20block_scan_algorithmE0ELj4294967295EEENS1_25partition_config_selectorILNS1_17partition_subalgoE3EjNS0_10empty_typeEbEEZZNS1_14partition_implILS8_3ELb0ES6_jNS0_17counting_iteratorIjlEEPS9_SE_NS0_5tupleIJPjSE_EEENSF_IJSE_SE_EEES9_SG_JZNS1_25segmented_radix_sort_implINS0_14default_configELb1EPK6__halfPSL_PKlPlN2at6native12_GLOBAL__N_18offset_tEEE10hipError_tPvRmT1_PNSt15iterator_traitsISZ_E10value_typeET2_T3_PNS10_IS15_E10value_typeET4_jRbjT5_S1B_jjP12ihipStream_tbEUljE_EEESW_SX_SY_S15_S19_S1B_T6_T7_T9_mT8_S1D_bDpT10_ENKUlT_T0_E_clISt17integral_constantIbLb1EES1P_IbLb0EEEEDaS1L_S1M_EUlS1L_E_NS1_11comp_targetILNS1_3genE8ELNS1_11target_archE1030ELNS1_3gpuE2ELNS1_3repE0EEENS1_30default_config_static_selectorELNS0_4arch9wavefront6targetE0EEEvSZ_: ; @_ZN7rocprim17ROCPRIM_400000_NS6detail17trampoline_kernelINS0_13select_configILj256ELj13ELNS0_17block_load_methodE3ELS4_3ELS4_3ELNS0_20block_scan_algorithmE0ELj4294967295EEENS1_25partition_config_selectorILNS1_17partition_subalgoE3EjNS0_10empty_typeEbEEZZNS1_14partition_implILS8_3ELb0ES6_jNS0_17counting_iteratorIjlEEPS9_SE_NS0_5tupleIJPjSE_EEENSF_IJSE_SE_EEES9_SG_JZNS1_25segmented_radix_sort_implINS0_14default_configELb1EPK6__halfPSL_PKlPlN2at6native12_GLOBAL__N_18offset_tEEE10hipError_tPvRmT1_PNSt15iterator_traitsISZ_E10value_typeET2_T3_PNS10_IS15_E10value_typeET4_jRbjT5_S1B_jjP12ihipStream_tbEUljE_EEESW_SX_SY_S15_S19_S1B_T6_T7_T9_mT8_S1D_bDpT10_ENKUlT_T0_E_clISt17integral_constantIbLb1EES1P_IbLb0EEEEDaS1L_S1M_EUlS1L_E_NS1_11comp_targetILNS1_3genE8ELNS1_11target_archE1030ELNS1_3gpuE2ELNS1_3repE0EEENS1_30default_config_static_selectorELNS0_4arch9wavefront6targetE0EEEvSZ_
; %bb.0:
	s_endpgm
	.section	.rodata,"a",@progbits
	.p2align	6, 0x0
	.amdhsa_kernel _ZN7rocprim17ROCPRIM_400000_NS6detail17trampoline_kernelINS0_13select_configILj256ELj13ELNS0_17block_load_methodE3ELS4_3ELS4_3ELNS0_20block_scan_algorithmE0ELj4294967295EEENS1_25partition_config_selectorILNS1_17partition_subalgoE3EjNS0_10empty_typeEbEEZZNS1_14partition_implILS8_3ELb0ES6_jNS0_17counting_iteratorIjlEEPS9_SE_NS0_5tupleIJPjSE_EEENSF_IJSE_SE_EEES9_SG_JZNS1_25segmented_radix_sort_implINS0_14default_configELb1EPK6__halfPSL_PKlPlN2at6native12_GLOBAL__N_18offset_tEEE10hipError_tPvRmT1_PNSt15iterator_traitsISZ_E10value_typeET2_T3_PNS10_IS15_E10value_typeET4_jRbjT5_S1B_jjP12ihipStream_tbEUljE_EEESW_SX_SY_S15_S19_S1B_T6_T7_T9_mT8_S1D_bDpT10_ENKUlT_T0_E_clISt17integral_constantIbLb1EES1P_IbLb0EEEEDaS1L_S1M_EUlS1L_E_NS1_11comp_targetILNS1_3genE8ELNS1_11target_archE1030ELNS1_3gpuE2ELNS1_3repE0EEENS1_30default_config_static_selectorELNS0_4arch9wavefront6targetE0EEEvSZ_
		.amdhsa_group_segment_fixed_size 0
		.amdhsa_private_segment_fixed_size 0
		.amdhsa_kernarg_size 144
		.amdhsa_user_sgpr_count 6
		.amdhsa_user_sgpr_private_segment_buffer 1
		.amdhsa_user_sgpr_dispatch_ptr 0
		.amdhsa_user_sgpr_queue_ptr 0
		.amdhsa_user_sgpr_kernarg_segment_ptr 1
		.amdhsa_user_sgpr_dispatch_id 0
		.amdhsa_user_sgpr_flat_scratch_init 0
		.amdhsa_user_sgpr_private_segment_size 0
		.amdhsa_wavefront_size32 1
		.amdhsa_uses_dynamic_stack 0
		.amdhsa_system_sgpr_private_segment_wavefront_offset 0
		.amdhsa_system_sgpr_workgroup_id_x 1
		.amdhsa_system_sgpr_workgroup_id_y 0
		.amdhsa_system_sgpr_workgroup_id_z 0
		.amdhsa_system_sgpr_workgroup_info 0
		.amdhsa_system_vgpr_workitem_id 0
		.amdhsa_next_free_vgpr 1
		.amdhsa_next_free_sgpr 1
		.amdhsa_reserve_vcc 0
		.amdhsa_reserve_flat_scratch 0
		.amdhsa_float_round_mode_32 0
		.amdhsa_float_round_mode_16_64 0
		.amdhsa_float_denorm_mode_32 3
		.amdhsa_float_denorm_mode_16_64 3
		.amdhsa_dx10_clamp 1
		.amdhsa_ieee_mode 1
		.amdhsa_fp16_overflow 0
		.amdhsa_workgroup_processor_mode 1
		.amdhsa_memory_ordered 1
		.amdhsa_forward_progress 1
		.amdhsa_shared_vgpr_count 0
		.amdhsa_exception_fp_ieee_invalid_op 0
		.amdhsa_exception_fp_denorm_src 0
		.amdhsa_exception_fp_ieee_div_zero 0
		.amdhsa_exception_fp_ieee_overflow 0
		.amdhsa_exception_fp_ieee_underflow 0
		.amdhsa_exception_fp_ieee_inexact 0
		.amdhsa_exception_int_div_zero 0
	.end_amdhsa_kernel
	.section	.text._ZN7rocprim17ROCPRIM_400000_NS6detail17trampoline_kernelINS0_13select_configILj256ELj13ELNS0_17block_load_methodE3ELS4_3ELS4_3ELNS0_20block_scan_algorithmE0ELj4294967295EEENS1_25partition_config_selectorILNS1_17partition_subalgoE3EjNS0_10empty_typeEbEEZZNS1_14partition_implILS8_3ELb0ES6_jNS0_17counting_iteratorIjlEEPS9_SE_NS0_5tupleIJPjSE_EEENSF_IJSE_SE_EEES9_SG_JZNS1_25segmented_radix_sort_implINS0_14default_configELb1EPK6__halfPSL_PKlPlN2at6native12_GLOBAL__N_18offset_tEEE10hipError_tPvRmT1_PNSt15iterator_traitsISZ_E10value_typeET2_T3_PNS10_IS15_E10value_typeET4_jRbjT5_S1B_jjP12ihipStream_tbEUljE_EEESW_SX_SY_S15_S19_S1B_T6_T7_T9_mT8_S1D_bDpT10_ENKUlT_T0_E_clISt17integral_constantIbLb1EES1P_IbLb0EEEEDaS1L_S1M_EUlS1L_E_NS1_11comp_targetILNS1_3genE8ELNS1_11target_archE1030ELNS1_3gpuE2ELNS1_3repE0EEENS1_30default_config_static_selectorELNS0_4arch9wavefront6targetE0EEEvSZ_,"axG",@progbits,_ZN7rocprim17ROCPRIM_400000_NS6detail17trampoline_kernelINS0_13select_configILj256ELj13ELNS0_17block_load_methodE3ELS4_3ELS4_3ELNS0_20block_scan_algorithmE0ELj4294967295EEENS1_25partition_config_selectorILNS1_17partition_subalgoE3EjNS0_10empty_typeEbEEZZNS1_14partition_implILS8_3ELb0ES6_jNS0_17counting_iteratorIjlEEPS9_SE_NS0_5tupleIJPjSE_EEENSF_IJSE_SE_EEES9_SG_JZNS1_25segmented_radix_sort_implINS0_14default_configELb1EPK6__halfPSL_PKlPlN2at6native12_GLOBAL__N_18offset_tEEE10hipError_tPvRmT1_PNSt15iterator_traitsISZ_E10value_typeET2_T3_PNS10_IS15_E10value_typeET4_jRbjT5_S1B_jjP12ihipStream_tbEUljE_EEESW_SX_SY_S15_S19_S1B_T6_T7_T9_mT8_S1D_bDpT10_ENKUlT_T0_E_clISt17integral_constantIbLb1EES1P_IbLb0EEEEDaS1L_S1M_EUlS1L_E_NS1_11comp_targetILNS1_3genE8ELNS1_11target_archE1030ELNS1_3gpuE2ELNS1_3repE0EEENS1_30default_config_static_selectorELNS0_4arch9wavefront6targetE0EEEvSZ_,comdat
.Lfunc_end1720:
	.size	_ZN7rocprim17ROCPRIM_400000_NS6detail17trampoline_kernelINS0_13select_configILj256ELj13ELNS0_17block_load_methodE3ELS4_3ELS4_3ELNS0_20block_scan_algorithmE0ELj4294967295EEENS1_25partition_config_selectorILNS1_17partition_subalgoE3EjNS0_10empty_typeEbEEZZNS1_14partition_implILS8_3ELb0ES6_jNS0_17counting_iteratorIjlEEPS9_SE_NS0_5tupleIJPjSE_EEENSF_IJSE_SE_EEES9_SG_JZNS1_25segmented_radix_sort_implINS0_14default_configELb1EPK6__halfPSL_PKlPlN2at6native12_GLOBAL__N_18offset_tEEE10hipError_tPvRmT1_PNSt15iterator_traitsISZ_E10value_typeET2_T3_PNS10_IS15_E10value_typeET4_jRbjT5_S1B_jjP12ihipStream_tbEUljE_EEESW_SX_SY_S15_S19_S1B_T6_T7_T9_mT8_S1D_bDpT10_ENKUlT_T0_E_clISt17integral_constantIbLb1EES1P_IbLb0EEEEDaS1L_S1M_EUlS1L_E_NS1_11comp_targetILNS1_3genE8ELNS1_11target_archE1030ELNS1_3gpuE2ELNS1_3repE0EEENS1_30default_config_static_selectorELNS0_4arch9wavefront6targetE0EEEvSZ_, .Lfunc_end1720-_ZN7rocprim17ROCPRIM_400000_NS6detail17trampoline_kernelINS0_13select_configILj256ELj13ELNS0_17block_load_methodE3ELS4_3ELS4_3ELNS0_20block_scan_algorithmE0ELj4294967295EEENS1_25partition_config_selectorILNS1_17partition_subalgoE3EjNS0_10empty_typeEbEEZZNS1_14partition_implILS8_3ELb0ES6_jNS0_17counting_iteratorIjlEEPS9_SE_NS0_5tupleIJPjSE_EEENSF_IJSE_SE_EEES9_SG_JZNS1_25segmented_radix_sort_implINS0_14default_configELb1EPK6__halfPSL_PKlPlN2at6native12_GLOBAL__N_18offset_tEEE10hipError_tPvRmT1_PNSt15iterator_traitsISZ_E10value_typeET2_T3_PNS10_IS15_E10value_typeET4_jRbjT5_S1B_jjP12ihipStream_tbEUljE_EEESW_SX_SY_S15_S19_S1B_T6_T7_T9_mT8_S1D_bDpT10_ENKUlT_T0_E_clISt17integral_constantIbLb1EES1P_IbLb0EEEEDaS1L_S1M_EUlS1L_E_NS1_11comp_targetILNS1_3genE8ELNS1_11target_archE1030ELNS1_3gpuE2ELNS1_3repE0EEENS1_30default_config_static_selectorELNS0_4arch9wavefront6targetE0EEEvSZ_
                                        ; -- End function
	.set _ZN7rocprim17ROCPRIM_400000_NS6detail17trampoline_kernelINS0_13select_configILj256ELj13ELNS0_17block_load_methodE3ELS4_3ELS4_3ELNS0_20block_scan_algorithmE0ELj4294967295EEENS1_25partition_config_selectorILNS1_17partition_subalgoE3EjNS0_10empty_typeEbEEZZNS1_14partition_implILS8_3ELb0ES6_jNS0_17counting_iteratorIjlEEPS9_SE_NS0_5tupleIJPjSE_EEENSF_IJSE_SE_EEES9_SG_JZNS1_25segmented_radix_sort_implINS0_14default_configELb1EPK6__halfPSL_PKlPlN2at6native12_GLOBAL__N_18offset_tEEE10hipError_tPvRmT1_PNSt15iterator_traitsISZ_E10value_typeET2_T3_PNS10_IS15_E10value_typeET4_jRbjT5_S1B_jjP12ihipStream_tbEUljE_EEESW_SX_SY_S15_S19_S1B_T6_T7_T9_mT8_S1D_bDpT10_ENKUlT_T0_E_clISt17integral_constantIbLb1EES1P_IbLb0EEEEDaS1L_S1M_EUlS1L_E_NS1_11comp_targetILNS1_3genE8ELNS1_11target_archE1030ELNS1_3gpuE2ELNS1_3repE0EEENS1_30default_config_static_selectorELNS0_4arch9wavefront6targetE0EEEvSZ_.num_vgpr, 0
	.set _ZN7rocprim17ROCPRIM_400000_NS6detail17trampoline_kernelINS0_13select_configILj256ELj13ELNS0_17block_load_methodE3ELS4_3ELS4_3ELNS0_20block_scan_algorithmE0ELj4294967295EEENS1_25partition_config_selectorILNS1_17partition_subalgoE3EjNS0_10empty_typeEbEEZZNS1_14partition_implILS8_3ELb0ES6_jNS0_17counting_iteratorIjlEEPS9_SE_NS0_5tupleIJPjSE_EEENSF_IJSE_SE_EEES9_SG_JZNS1_25segmented_radix_sort_implINS0_14default_configELb1EPK6__halfPSL_PKlPlN2at6native12_GLOBAL__N_18offset_tEEE10hipError_tPvRmT1_PNSt15iterator_traitsISZ_E10value_typeET2_T3_PNS10_IS15_E10value_typeET4_jRbjT5_S1B_jjP12ihipStream_tbEUljE_EEESW_SX_SY_S15_S19_S1B_T6_T7_T9_mT8_S1D_bDpT10_ENKUlT_T0_E_clISt17integral_constantIbLb1EES1P_IbLb0EEEEDaS1L_S1M_EUlS1L_E_NS1_11comp_targetILNS1_3genE8ELNS1_11target_archE1030ELNS1_3gpuE2ELNS1_3repE0EEENS1_30default_config_static_selectorELNS0_4arch9wavefront6targetE0EEEvSZ_.num_agpr, 0
	.set _ZN7rocprim17ROCPRIM_400000_NS6detail17trampoline_kernelINS0_13select_configILj256ELj13ELNS0_17block_load_methodE3ELS4_3ELS4_3ELNS0_20block_scan_algorithmE0ELj4294967295EEENS1_25partition_config_selectorILNS1_17partition_subalgoE3EjNS0_10empty_typeEbEEZZNS1_14partition_implILS8_3ELb0ES6_jNS0_17counting_iteratorIjlEEPS9_SE_NS0_5tupleIJPjSE_EEENSF_IJSE_SE_EEES9_SG_JZNS1_25segmented_radix_sort_implINS0_14default_configELb1EPK6__halfPSL_PKlPlN2at6native12_GLOBAL__N_18offset_tEEE10hipError_tPvRmT1_PNSt15iterator_traitsISZ_E10value_typeET2_T3_PNS10_IS15_E10value_typeET4_jRbjT5_S1B_jjP12ihipStream_tbEUljE_EEESW_SX_SY_S15_S19_S1B_T6_T7_T9_mT8_S1D_bDpT10_ENKUlT_T0_E_clISt17integral_constantIbLb1EES1P_IbLb0EEEEDaS1L_S1M_EUlS1L_E_NS1_11comp_targetILNS1_3genE8ELNS1_11target_archE1030ELNS1_3gpuE2ELNS1_3repE0EEENS1_30default_config_static_selectorELNS0_4arch9wavefront6targetE0EEEvSZ_.numbered_sgpr, 0
	.set _ZN7rocprim17ROCPRIM_400000_NS6detail17trampoline_kernelINS0_13select_configILj256ELj13ELNS0_17block_load_methodE3ELS4_3ELS4_3ELNS0_20block_scan_algorithmE0ELj4294967295EEENS1_25partition_config_selectorILNS1_17partition_subalgoE3EjNS0_10empty_typeEbEEZZNS1_14partition_implILS8_3ELb0ES6_jNS0_17counting_iteratorIjlEEPS9_SE_NS0_5tupleIJPjSE_EEENSF_IJSE_SE_EEES9_SG_JZNS1_25segmented_radix_sort_implINS0_14default_configELb1EPK6__halfPSL_PKlPlN2at6native12_GLOBAL__N_18offset_tEEE10hipError_tPvRmT1_PNSt15iterator_traitsISZ_E10value_typeET2_T3_PNS10_IS15_E10value_typeET4_jRbjT5_S1B_jjP12ihipStream_tbEUljE_EEESW_SX_SY_S15_S19_S1B_T6_T7_T9_mT8_S1D_bDpT10_ENKUlT_T0_E_clISt17integral_constantIbLb1EES1P_IbLb0EEEEDaS1L_S1M_EUlS1L_E_NS1_11comp_targetILNS1_3genE8ELNS1_11target_archE1030ELNS1_3gpuE2ELNS1_3repE0EEENS1_30default_config_static_selectorELNS0_4arch9wavefront6targetE0EEEvSZ_.num_named_barrier, 0
	.set _ZN7rocprim17ROCPRIM_400000_NS6detail17trampoline_kernelINS0_13select_configILj256ELj13ELNS0_17block_load_methodE3ELS4_3ELS4_3ELNS0_20block_scan_algorithmE0ELj4294967295EEENS1_25partition_config_selectorILNS1_17partition_subalgoE3EjNS0_10empty_typeEbEEZZNS1_14partition_implILS8_3ELb0ES6_jNS0_17counting_iteratorIjlEEPS9_SE_NS0_5tupleIJPjSE_EEENSF_IJSE_SE_EEES9_SG_JZNS1_25segmented_radix_sort_implINS0_14default_configELb1EPK6__halfPSL_PKlPlN2at6native12_GLOBAL__N_18offset_tEEE10hipError_tPvRmT1_PNSt15iterator_traitsISZ_E10value_typeET2_T3_PNS10_IS15_E10value_typeET4_jRbjT5_S1B_jjP12ihipStream_tbEUljE_EEESW_SX_SY_S15_S19_S1B_T6_T7_T9_mT8_S1D_bDpT10_ENKUlT_T0_E_clISt17integral_constantIbLb1EES1P_IbLb0EEEEDaS1L_S1M_EUlS1L_E_NS1_11comp_targetILNS1_3genE8ELNS1_11target_archE1030ELNS1_3gpuE2ELNS1_3repE0EEENS1_30default_config_static_selectorELNS0_4arch9wavefront6targetE0EEEvSZ_.private_seg_size, 0
	.set _ZN7rocprim17ROCPRIM_400000_NS6detail17trampoline_kernelINS0_13select_configILj256ELj13ELNS0_17block_load_methodE3ELS4_3ELS4_3ELNS0_20block_scan_algorithmE0ELj4294967295EEENS1_25partition_config_selectorILNS1_17partition_subalgoE3EjNS0_10empty_typeEbEEZZNS1_14partition_implILS8_3ELb0ES6_jNS0_17counting_iteratorIjlEEPS9_SE_NS0_5tupleIJPjSE_EEENSF_IJSE_SE_EEES9_SG_JZNS1_25segmented_radix_sort_implINS0_14default_configELb1EPK6__halfPSL_PKlPlN2at6native12_GLOBAL__N_18offset_tEEE10hipError_tPvRmT1_PNSt15iterator_traitsISZ_E10value_typeET2_T3_PNS10_IS15_E10value_typeET4_jRbjT5_S1B_jjP12ihipStream_tbEUljE_EEESW_SX_SY_S15_S19_S1B_T6_T7_T9_mT8_S1D_bDpT10_ENKUlT_T0_E_clISt17integral_constantIbLb1EES1P_IbLb0EEEEDaS1L_S1M_EUlS1L_E_NS1_11comp_targetILNS1_3genE8ELNS1_11target_archE1030ELNS1_3gpuE2ELNS1_3repE0EEENS1_30default_config_static_selectorELNS0_4arch9wavefront6targetE0EEEvSZ_.uses_vcc, 0
	.set _ZN7rocprim17ROCPRIM_400000_NS6detail17trampoline_kernelINS0_13select_configILj256ELj13ELNS0_17block_load_methodE3ELS4_3ELS4_3ELNS0_20block_scan_algorithmE0ELj4294967295EEENS1_25partition_config_selectorILNS1_17partition_subalgoE3EjNS0_10empty_typeEbEEZZNS1_14partition_implILS8_3ELb0ES6_jNS0_17counting_iteratorIjlEEPS9_SE_NS0_5tupleIJPjSE_EEENSF_IJSE_SE_EEES9_SG_JZNS1_25segmented_radix_sort_implINS0_14default_configELb1EPK6__halfPSL_PKlPlN2at6native12_GLOBAL__N_18offset_tEEE10hipError_tPvRmT1_PNSt15iterator_traitsISZ_E10value_typeET2_T3_PNS10_IS15_E10value_typeET4_jRbjT5_S1B_jjP12ihipStream_tbEUljE_EEESW_SX_SY_S15_S19_S1B_T6_T7_T9_mT8_S1D_bDpT10_ENKUlT_T0_E_clISt17integral_constantIbLb1EES1P_IbLb0EEEEDaS1L_S1M_EUlS1L_E_NS1_11comp_targetILNS1_3genE8ELNS1_11target_archE1030ELNS1_3gpuE2ELNS1_3repE0EEENS1_30default_config_static_selectorELNS0_4arch9wavefront6targetE0EEEvSZ_.uses_flat_scratch, 0
	.set _ZN7rocprim17ROCPRIM_400000_NS6detail17trampoline_kernelINS0_13select_configILj256ELj13ELNS0_17block_load_methodE3ELS4_3ELS4_3ELNS0_20block_scan_algorithmE0ELj4294967295EEENS1_25partition_config_selectorILNS1_17partition_subalgoE3EjNS0_10empty_typeEbEEZZNS1_14partition_implILS8_3ELb0ES6_jNS0_17counting_iteratorIjlEEPS9_SE_NS0_5tupleIJPjSE_EEENSF_IJSE_SE_EEES9_SG_JZNS1_25segmented_radix_sort_implINS0_14default_configELb1EPK6__halfPSL_PKlPlN2at6native12_GLOBAL__N_18offset_tEEE10hipError_tPvRmT1_PNSt15iterator_traitsISZ_E10value_typeET2_T3_PNS10_IS15_E10value_typeET4_jRbjT5_S1B_jjP12ihipStream_tbEUljE_EEESW_SX_SY_S15_S19_S1B_T6_T7_T9_mT8_S1D_bDpT10_ENKUlT_T0_E_clISt17integral_constantIbLb1EES1P_IbLb0EEEEDaS1L_S1M_EUlS1L_E_NS1_11comp_targetILNS1_3genE8ELNS1_11target_archE1030ELNS1_3gpuE2ELNS1_3repE0EEENS1_30default_config_static_selectorELNS0_4arch9wavefront6targetE0EEEvSZ_.has_dyn_sized_stack, 0
	.set _ZN7rocprim17ROCPRIM_400000_NS6detail17trampoline_kernelINS0_13select_configILj256ELj13ELNS0_17block_load_methodE3ELS4_3ELS4_3ELNS0_20block_scan_algorithmE0ELj4294967295EEENS1_25partition_config_selectorILNS1_17partition_subalgoE3EjNS0_10empty_typeEbEEZZNS1_14partition_implILS8_3ELb0ES6_jNS0_17counting_iteratorIjlEEPS9_SE_NS0_5tupleIJPjSE_EEENSF_IJSE_SE_EEES9_SG_JZNS1_25segmented_radix_sort_implINS0_14default_configELb1EPK6__halfPSL_PKlPlN2at6native12_GLOBAL__N_18offset_tEEE10hipError_tPvRmT1_PNSt15iterator_traitsISZ_E10value_typeET2_T3_PNS10_IS15_E10value_typeET4_jRbjT5_S1B_jjP12ihipStream_tbEUljE_EEESW_SX_SY_S15_S19_S1B_T6_T7_T9_mT8_S1D_bDpT10_ENKUlT_T0_E_clISt17integral_constantIbLb1EES1P_IbLb0EEEEDaS1L_S1M_EUlS1L_E_NS1_11comp_targetILNS1_3genE8ELNS1_11target_archE1030ELNS1_3gpuE2ELNS1_3repE0EEENS1_30default_config_static_selectorELNS0_4arch9wavefront6targetE0EEEvSZ_.has_recursion, 0
	.set _ZN7rocprim17ROCPRIM_400000_NS6detail17trampoline_kernelINS0_13select_configILj256ELj13ELNS0_17block_load_methodE3ELS4_3ELS4_3ELNS0_20block_scan_algorithmE0ELj4294967295EEENS1_25partition_config_selectorILNS1_17partition_subalgoE3EjNS0_10empty_typeEbEEZZNS1_14partition_implILS8_3ELb0ES6_jNS0_17counting_iteratorIjlEEPS9_SE_NS0_5tupleIJPjSE_EEENSF_IJSE_SE_EEES9_SG_JZNS1_25segmented_radix_sort_implINS0_14default_configELb1EPK6__halfPSL_PKlPlN2at6native12_GLOBAL__N_18offset_tEEE10hipError_tPvRmT1_PNSt15iterator_traitsISZ_E10value_typeET2_T3_PNS10_IS15_E10value_typeET4_jRbjT5_S1B_jjP12ihipStream_tbEUljE_EEESW_SX_SY_S15_S19_S1B_T6_T7_T9_mT8_S1D_bDpT10_ENKUlT_T0_E_clISt17integral_constantIbLb1EES1P_IbLb0EEEEDaS1L_S1M_EUlS1L_E_NS1_11comp_targetILNS1_3genE8ELNS1_11target_archE1030ELNS1_3gpuE2ELNS1_3repE0EEENS1_30default_config_static_selectorELNS0_4arch9wavefront6targetE0EEEvSZ_.has_indirect_call, 0
	.section	.AMDGPU.csdata,"",@progbits
; Kernel info:
; codeLenInByte = 4
; TotalNumSgprs: 0
; NumVgprs: 0
; ScratchSize: 0
; MemoryBound: 0
; FloatMode: 240
; IeeeMode: 1
; LDSByteSize: 0 bytes/workgroup (compile time only)
; SGPRBlocks: 0
; VGPRBlocks: 0
; NumSGPRsForWavesPerEU: 1
; NumVGPRsForWavesPerEU: 1
; Occupancy: 16
; WaveLimiterHint : 0
; COMPUTE_PGM_RSRC2:SCRATCH_EN: 0
; COMPUTE_PGM_RSRC2:USER_SGPR: 6
; COMPUTE_PGM_RSRC2:TRAP_HANDLER: 0
; COMPUTE_PGM_RSRC2:TGID_X_EN: 1
; COMPUTE_PGM_RSRC2:TGID_Y_EN: 0
; COMPUTE_PGM_RSRC2:TGID_Z_EN: 0
; COMPUTE_PGM_RSRC2:TIDIG_COMP_CNT: 0
	.section	.text._ZN7rocprim17ROCPRIM_400000_NS6detail17trampoline_kernelINS0_13select_configILj256ELj13ELNS0_17block_load_methodE3ELS4_3ELS4_3ELNS0_20block_scan_algorithmE0ELj4294967295EEENS1_25partition_config_selectorILNS1_17partition_subalgoE3EjNS0_10empty_typeEbEEZZNS1_14partition_implILS8_3ELb0ES6_jNS0_17counting_iteratorIjlEEPS9_SE_NS0_5tupleIJPjSE_EEENSF_IJSE_SE_EEES9_SG_JZNS1_25segmented_radix_sort_implINS0_14default_configELb1EPK6__halfPSL_PKlPlN2at6native12_GLOBAL__N_18offset_tEEE10hipError_tPvRmT1_PNSt15iterator_traitsISZ_E10value_typeET2_T3_PNS10_IS15_E10value_typeET4_jRbjT5_S1B_jjP12ihipStream_tbEUljE_EEESW_SX_SY_S15_S19_S1B_T6_T7_T9_mT8_S1D_bDpT10_ENKUlT_T0_E_clISt17integral_constantIbLb0EES1P_IbLb1EEEEDaS1L_S1M_EUlS1L_E_NS1_11comp_targetILNS1_3genE0ELNS1_11target_archE4294967295ELNS1_3gpuE0ELNS1_3repE0EEENS1_30default_config_static_selectorELNS0_4arch9wavefront6targetE0EEEvSZ_,"axG",@progbits,_ZN7rocprim17ROCPRIM_400000_NS6detail17trampoline_kernelINS0_13select_configILj256ELj13ELNS0_17block_load_methodE3ELS4_3ELS4_3ELNS0_20block_scan_algorithmE0ELj4294967295EEENS1_25partition_config_selectorILNS1_17partition_subalgoE3EjNS0_10empty_typeEbEEZZNS1_14partition_implILS8_3ELb0ES6_jNS0_17counting_iteratorIjlEEPS9_SE_NS0_5tupleIJPjSE_EEENSF_IJSE_SE_EEES9_SG_JZNS1_25segmented_radix_sort_implINS0_14default_configELb1EPK6__halfPSL_PKlPlN2at6native12_GLOBAL__N_18offset_tEEE10hipError_tPvRmT1_PNSt15iterator_traitsISZ_E10value_typeET2_T3_PNS10_IS15_E10value_typeET4_jRbjT5_S1B_jjP12ihipStream_tbEUljE_EEESW_SX_SY_S15_S19_S1B_T6_T7_T9_mT8_S1D_bDpT10_ENKUlT_T0_E_clISt17integral_constantIbLb0EES1P_IbLb1EEEEDaS1L_S1M_EUlS1L_E_NS1_11comp_targetILNS1_3genE0ELNS1_11target_archE4294967295ELNS1_3gpuE0ELNS1_3repE0EEENS1_30default_config_static_selectorELNS0_4arch9wavefront6targetE0EEEvSZ_,comdat
	.globl	_ZN7rocprim17ROCPRIM_400000_NS6detail17trampoline_kernelINS0_13select_configILj256ELj13ELNS0_17block_load_methodE3ELS4_3ELS4_3ELNS0_20block_scan_algorithmE0ELj4294967295EEENS1_25partition_config_selectorILNS1_17partition_subalgoE3EjNS0_10empty_typeEbEEZZNS1_14partition_implILS8_3ELb0ES6_jNS0_17counting_iteratorIjlEEPS9_SE_NS0_5tupleIJPjSE_EEENSF_IJSE_SE_EEES9_SG_JZNS1_25segmented_radix_sort_implINS0_14default_configELb1EPK6__halfPSL_PKlPlN2at6native12_GLOBAL__N_18offset_tEEE10hipError_tPvRmT1_PNSt15iterator_traitsISZ_E10value_typeET2_T3_PNS10_IS15_E10value_typeET4_jRbjT5_S1B_jjP12ihipStream_tbEUljE_EEESW_SX_SY_S15_S19_S1B_T6_T7_T9_mT8_S1D_bDpT10_ENKUlT_T0_E_clISt17integral_constantIbLb0EES1P_IbLb1EEEEDaS1L_S1M_EUlS1L_E_NS1_11comp_targetILNS1_3genE0ELNS1_11target_archE4294967295ELNS1_3gpuE0ELNS1_3repE0EEENS1_30default_config_static_selectorELNS0_4arch9wavefront6targetE0EEEvSZ_ ; -- Begin function _ZN7rocprim17ROCPRIM_400000_NS6detail17trampoline_kernelINS0_13select_configILj256ELj13ELNS0_17block_load_methodE3ELS4_3ELS4_3ELNS0_20block_scan_algorithmE0ELj4294967295EEENS1_25partition_config_selectorILNS1_17partition_subalgoE3EjNS0_10empty_typeEbEEZZNS1_14partition_implILS8_3ELb0ES6_jNS0_17counting_iteratorIjlEEPS9_SE_NS0_5tupleIJPjSE_EEENSF_IJSE_SE_EEES9_SG_JZNS1_25segmented_radix_sort_implINS0_14default_configELb1EPK6__halfPSL_PKlPlN2at6native12_GLOBAL__N_18offset_tEEE10hipError_tPvRmT1_PNSt15iterator_traitsISZ_E10value_typeET2_T3_PNS10_IS15_E10value_typeET4_jRbjT5_S1B_jjP12ihipStream_tbEUljE_EEESW_SX_SY_S15_S19_S1B_T6_T7_T9_mT8_S1D_bDpT10_ENKUlT_T0_E_clISt17integral_constantIbLb0EES1P_IbLb1EEEEDaS1L_S1M_EUlS1L_E_NS1_11comp_targetILNS1_3genE0ELNS1_11target_archE4294967295ELNS1_3gpuE0ELNS1_3repE0EEENS1_30default_config_static_selectorELNS0_4arch9wavefront6targetE0EEEvSZ_
	.p2align	8
	.type	_ZN7rocprim17ROCPRIM_400000_NS6detail17trampoline_kernelINS0_13select_configILj256ELj13ELNS0_17block_load_methodE3ELS4_3ELS4_3ELNS0_20block_scan_algorithmE0ELj4294967295EEENS1_25partition_config_selectorILNS1_17partition_subalgoE3EjNS0_10empty_typeEbEEZZNS1_14partition_implILS8_3ELb0ES6_jNS0_17counting_iteratorIjlEEPS9_SE_NS0_5tupleIJPjSE_EEENSF_IJSE_SE_EEES9_SG_JZNS1_25segmented_radix_sort_implINS0_14default_configELb1EPK6__halfPSL_PKlPlN2at6native12_GLOBAL__N_18offset_tEEE10hipError_tPvRmT1_PNSt15iterator_traitsISZ_E10value_typeET2_T3_PNS10_IS15_E10value_typeET4_jRbjT5_S1B_jjP12ihipStream_tbEUljE_EEESW_SX_SY_S15_S19_S1B_T6_T7_T9_mT8_S1D_bDpT10_ENKUlT_T0_E_clISt17integral_constantIbLb0EES1P_IbLb1EEEEDaS1L_S1M_EUlS1L_E_NS1_11comp_targetILNS1_3genE0ELNS1_11target_archE4294967295ELNS1_3gpuE0ELNS1_3repE0EEENS1_30default_config_static_selectorELNS0_4arch9wavefront6targetE0EEEvSZ_,@function
_ZN7rocprim17ROCPRIM_400000_NS6detail17trampoline_kernelINS0_13select_configILj256ELj13ELNS0_17block_load_methodE3ELS4_3ELS4_3ELNS0_20block_scan_algorithmE0ELj4294967295EEENS1_25partition_config_selectorILNS1_17partition_subalgoE3EjNS0_10empty_typeEbEEZZNS1_14partition_implILS8_3ELb0ES6_jNS0_17counting_iteratorIjlEEPS9_SE_NS0_5tupleIJPjSE_EEENSF_IJSE_SE_EEES9_SG_JZNS1_25segmented_radix_sort_implINS0_14default_configELb1EPK6__halfPSL_PKlPlN2at6native12_GLOBAL__N_18offset_tEEE10hipError_tPvRmT1_PNSt15iterator_traitsISZ_E10value_typeET2_T3_PNS10_IS15_E10value_typeET4_jRbjT5_S1B_jjP12ihipStream_tbEUljE_EEESW_SX_SY_S15_S19_S1B_T6_T7_T9_mT8_S1D_bDpT10_ENKUlT_T0_E_clISt17integral_constantIbLb0EES1P_IbLb1EEEEDaS1L_S1M_EUlS1L_E_NS1_11comp_targetILNS1_3genE0ELNS1_11target_archE4294967295ELNS1_3gpuE0ELNS1_3repE0EEENS1_30default_config_static_selectorELNS0_4arch9wavefront6targetE0EEEvSZ_: ; @_ZN7rocprim17ROCPRIM_400000_NS6detail17trampoline_kernelINS0_13select_configILj256ELj13ELNS0_17block_load_methodE3ELS4_3ELS4_3ELNS0_20block_scan_algorithmE0ELj4294967295EEENS1_25partition_config_selectorILNS1_17partition_subalgoE3EjNS0_10empty_typeEbEEZZNS1_14partition_implILS8_3ELb0ES6_jNS0_17counting_iteratorIjlEEPS9_SE_NS0_5tupleIJPjSE_EEENSF_IJSE_SE_EEES9_SG_JZNS1_25segmented_radix_sort_implINS0_14default_configELb1EPK6__halfPSL_PKlPlN2at6native12_GLOBAL__N_18offset_tEEE10hipError_tPvRmT1_PNSt15iterator_traitsISZ_E10value_typeET2_T3_PNS10_IS15_E10value_typeET4_jRbjT5_S1B_jjP12ihipStream_tbEUljE_EEESW_SX_SY_S15_S19_S1B_T6_T7_T9_mT8_S1D_bDpT10_ENKUlT_T0_E_clISt17integral_constantIbLb0EES1P_IbLb1EEEEDaS1L_S1M_EUlS1L_E_NS1_11comp_targetILNS1_3genE0ELNS1_11target_archE4294967295ELNS1_3gpuE0ELNS1_3repE0EEENS1_30default_config_static_selectorELNS0_4arch9wavefront6targetE0EEEvSZ_
; %bb.0:
	.section	.rodata,"a",@progbits
	.p2align	6, 0x0
	.amdhsa_kernel _ZN7rocprim17ROCPRIM_400000_NS6detail17trampoline_kernelINS0_13select_configILj256ELj13ELNS0_17block_load_methodE3ELS4_3ELS4_3ELNS0_20block_scan_algorithmE0ELj4294967295EEENS1_25partition_config_selectorILNS1_17partition_subalgoE3EjNS0_10empty_typeEbEEZZNS1_14partition_implILS8_3ELb0ES6_jNS0_17counting_iteratorIjlEEPS9_SE_NS0_5tupleIJPjSE_EEENSF_IJSE_SE_EEES9_SG_JZNS1_25segmented_radix_sort_implINS0_14default_configELb1EPK6__halfPSL_PKlPlN2at6native12_GLOBAL__N_18offset_tEEE10hipError_tPvRmT1_PNSt15iterator_traitsISZ_E10value_typeET2_T3_PNS10_IS15_E10value_typeET4_jRbjT5_S1B_jjP12ihipStream_tbEUljE_EEESW_SX_SY_S15_S19_S1B_T6_T7_T9_mT8_S1D_bDpT10_ENKUlT_T0_E_clISt17integral_constantIbLb0EES1P_IbLb1EEEEDaS1L_S1M_EUlS1L_E_NS1_11comp_targetILNS1_3genE0ELNS1_11target_archE4294967295ELNS1_3gpuE0ELNS1_3repE0EEENS1_30default_config_static_selectorELNS0_4arch9wavefront6targetE0EEEvSZ_
		.amdhsa_group_segment_fixed_size 0
		.amdhsa_private_segment_fixed_size 0
		.amdhsa_kernarg_size 152
		.amdhsa_user_sgpr_count 6
		.amdhsa_user_sgpr_private_segment_buffer 1
		.amdhsa_user_sgpr_dispatch_ptr 0
		.amdhsa_user_sgpr_queue_ptr 0
		.amdhsa_user_sgpr_kernarg_segment_ptr 1
		.amdhsa_user_sgpr_dispatch_id 0
		.amdhsa_user_sgpr_flat_scratch_init 0
		.amdhsa_user_sgpr_private_segment_size 0
		.amdhsa_wavefront_size32 1
		.amdhsa_uses_dynamic_stack 0
		.amdhsa_system_sgpr_private_segment_wavefront_offset 0
		.amdhsa_system_sgpr_workgroup_id_x 1
		.amdhsa_system_sgpr_workgroup_id_y 0
		.amdhsa_system_sgpr_workgroup_id_z 0
		.amdhsa_system_sgpr_workgroup_info 0
		.amdhsa_system_vgpr_workitem_id 0
		.amdhsa_next_free_vgpr 1
		.amdhsa_next_free_sgpr 1
		.amdhsa_reserve_vcc 0
		.amdhsa_reserve_flat_scratch 0
		.amdhsa_float_round_mode_32 0
		.amdhsa_float_round_mode_16_64 0
		.amdhsa_float_denorm_mode_32 3
		.amdhsa_float_denorm_mode_16_64 3
		.amdhsa_dx10_clamp 1
		.amdhsa_ieee_mode 1
		.amdhsa_fp16_overflow 0
		.amdhsa_workgroup_processor_mode 1
		.amdhsa_memory_ordered 1
		.amdhsa_forward_progress 1
		.amdhsa_shared_vgpr_count 0
		.amdhsa_exception_fp_ieee_invalid_op 0
		.amdhsa_exception_fp_denorm_src 0
		.amdhsa_exception_fp_ieee_div_zero 0
		.amdhsa_exception_fp_ieee_overflow 0
		.amdhsa_exception_fp_ieee_underflow 0
		.amdhsa_exception_fp_ieee_inexact 0
		.amdhsa_exception_int_div_zero 0
	.end_amdhsa_kernel
	.section	.text._ZN7rocprim17ROCPRIM_400000_NS6detail17trampoline_kernelINS0_13select_configILj256ELj13ELNS0_17block_load_methodE3ELS4_3ELS4_3ELNS0_20block_scan_algorithmE0ELj4294967295EEENS1_25partition_config_selectorILNS1_17partition_subalgoE3EjNS0_10empty_typeEbEEZZNS1_14partition_implILS8_3ELb0ES6_jNS0_17counting_iteratorIjlEEPS9_SE_NS0_5tupleIJPjSE_EEENSF_IJSE_SE_EEES9_SG_JZNS1_25segmented_radix_sort_implINS0_14default_configELb1EPK6__halfPSL_PKlPlN2at6native12_GLOBAL__N_18offset_tEEE10hipError_tPvRmT1_PNSt15iterator_traitsISZ_E10value_typeET2_T3_PNS10_IS15_E10value_typeET4_jRbjT5_S1B_jjP12ihipStream_tbEUljE_EEESW_SX_SY_S15_S19_S1B_T6_T7_T9_mT8_S1D_bDpT10_ENKUlT_T0_E_clISt17integral_constantIbLb0EES1P_IbLb1EEEEDaS1L_S1M_EUlS1L_E_NS1_11comp_targetILNS1_3genE0ELNS1_11target_archE4294967295ELNS1_3gpuE0ELNS1_3repE0EEENS1_30default_config_static_selectorELNS0_4arch9wavefront6targetE0EEEvSZ_,"axG",@progbits,_ZN7rocprim17ROCPRIM_400000_NS6detail17trampoline_kernelINS0_13select_configILj256ELj13ELNS0_17block_load_methodE3ELS4_3ELS4_3ELNS0_20block_scan_algorithmE0ELj4294967295EEENS1_25partition_config_selectorILNS1_17partition_subalgoE3EjNS0_10empty_typeEbEEZZNS1_14partition_implILS8_3ELb0ES6_jNS0_17counting_iteratorIjlEEPS9_SE_NS0_5tupleIJPjSE_EEENSF_IJSE_SE_EEES9_SG_JZNS1_25segmented_radix_sort_implINS0_14default_configELb1EPK6__halfPSL_PKlPlN2at6native12_GLOBAL__N_18offset_tEEE10hipError_tPvRmT1_PNSt15iterator_traitsISZ_E10value_typeET2_T3_PNS10_IS15_E10value_typeET4_jRbjT5_S1B_jjP12ihipStream_tbEUljE_EEESW_SX_SY_S15_S19_S1B_T6_T7_T9_mT8_S1D_bDpT10_ENKUlT_T0_E_clISt17integral_constantIbLb0EES1P_IbLb1EEEEDaS1L_S1M_EUlS1L_E_NS1_11comp_targetILNS1_3genE0ELNS1_11target_archE4294967295ELNS1_3gpuE0ELNS1_3repE0EEENS1_30default_config_static_selectorELNS0_4arch9wavefront6targetE0EEEvSZ_,comdat
.Lfunc_end1721:
	.size	_ZN7rocprim17ROCPRIM_400000_NS6detail17trampoline_kernelINS0_13select_configILj256ELj13ELNS0_17block_load_methodE3ELS4_3ELS4_3ELNS0_20block_scan_algorithmE0ELj4294967295EEENS1_25partition_config_selectorILNS1_17partition_subalgoE3EjNS0_10empty_typeEbEEZZNS1_14partition_implILS8_3ELb0ES6_jNS0_17counting_iteratorIjlEEPS9_SE_NS0_5tupleIJPjSE_EEENSF_IJSE_SE_EEES9_SG_JZNS1_25segmented_radix_sort_implINS0_14default_configELb1EPK6__halfPSL_PKlPlN2at6native12_GLOBAL__N_18offset_tEEE10hipError_tPvRmT1_PNSt15iterator_traitsISZ_E10value_typeET2_T3_PNS10_IS15_E10value_typeET4_jRbjT5_S1B_jjP12ihipStream_tbEUljE_EEESW_SX_SY_S15_S19_S1B_T6_T7_T9_mT8_S1D_bDpT10_ENKUlT_T0_E_clISt17integral_constantIbLb0EES1P_IbLb1EEEEDaS1L_S1M_EUlS1L_E_NS1_11comp_targetILNS1_3genE0ELNS1_11target_archE4294967295ELNS1_3gpuE0ELNS1_3repE0EEENS1_30default_config_static_selectorELNS0_4arch9wavefront6targetE0EEEvSZ_, .Lfunc_end1721-_ZN7rocprim17ROCPRIM_400000_NS6detail17trampoline_kernelINS0_13select_configILj256ELj13ELNS0_17block_load_methodE3ELS4_3ELS4_3ELNS0_20block_scan_algorithmE0ELj4294967295EEENS1_25partition_config_selectorILNS1_17partition_subalgoE3EjNS0_10empty_typeEbEEZZNS1_14partition_implILS8_3ELb0ES6_jNS0_17counting_iteratorIjlEEPS9_SE_NS0_5tupleIJPjSE_EEENSF_IJSE_SE_EEES9_SG_JZNS1_25segmented_radix_sort_implINS0_14default_configELb1EPK6__halfPSL_PKlPlN2at6native12_GLOBAL__N_18offset_tEEE10hipError_tPvRmT1_PNSt15iterator_traitsISZ_E10value_typeET2_T3_PNS10_IS15_E10value_typeET4_jRbjT5_S1B_jjP12ihipStream_tbEUljE_EEESW_SX_SY_S15_S19_S1B_T6_T7_T9_mT8_S1D_bDpT10_ENKUlT_T0_E_clISt17integral_constantIbLb0EES1P_IbLb1EEEEDaS1L_S1M_EUlS1L_E_NS1_11comp_targetILNS1_3genE0ELNS1_11target_archE4294967295ELNS1_3gpuE0ELNS1_3repE0EEENS1_30default_config_static_selectorELNS0_4arch9wavefront6targetE0EEEvSZ_
                                        ; -- End function
	.set _ZN7rocprim17ROCPRIM_400000_NS6detail17trampoline_kernelINS0_13select_configILj256ELj13ELNS0_17block_load_methodE3ELS4_3ELS4_3ELNS0_20block_scan_algorithmE0ELj4294967295EEENS1_25partition_config_selectorILNS1_17partition_subalgoE3EjNS0_10empty_typeEbEEZZNS1_14partition_implILS8_3ELb0ES6_jNS0_17counting_iteratorIjlEEPS9_SE_NS0_5tupleIJPjSE_EEENSF_IJSE_SE_EEES9_SG_JZNS1_25segmented_radix_sort_implINS0_14default_configELb1EPK6__halfPSL_PKlPlN2at6native12_GLOBAL__N_18offset_tEEE10hipError_tPvRmT1_PNSt15iterator_traitsISZ_E10value_typeET2_T3_PNS10_IS15_E10value_typeET4_jRbjT5_S1B_jjP12ihipStream_tbEUljE_EEESW_SX_SY_S15_S19_S1B_T6_T7_T9_mT8_S1D_bDpT10_ENKUlT_T0_E_clISt17integral_constantIbLb0EES1P_IbLb1EEEEDaS1L_S1M_EUlS1L_E_NS1_11comp_targetILNS1_3genE0ELNS1_11target_archE4294967295ELNS1_3gpuE0ELNS1_3repE0EEENS1_30default_config_static_selectorELNS0_4arch9wavefront6targetE0EEEvSZ_.num_vgpr, 0
	.set _ZN7rocprim17ROCPRIM_400000_NS6detail17trampoline_kernelINS0_13select_configILj256ELj13ELNS0_17block_load_methodE3ELS4_3ELS4_3ELNS0_20block_scan_algorithmE0ELj4294967295EEENS1_25partition_config_selectorILNS1_17partition_subalgoE3EjNS0_10empty_typeEbEEZZNS1_14partition_implILS8_3ELb0ES6_jNS0_17counting_iteratorIjlEEPS9_SE_NS0_5tupleIJPjSE_EEENSF_IJSE_SE_EEES9_SG_JZNS1_25segmented_radix_sort_implINS0_14default_configELb1EPK6__halfPSL_PKlPlN2at6native12_GLOBAL__N_18offset_tEEE10hipError_tPvRmT1_PNSt15iterator_traitsISZ_E10value_typeET2_T3_PNS10_IS15_E10value_typeET4_jRbjT5_S1B_jjP12ihipStream_tbEUljE_EEESW_SX_SY_S15_S19_S1B_T6_T7_T9_mT8_S1D_bDpT10_ENKUlT_T0_E_clISt17integral_constantIbLb0EES1P_IbLb1EEEEDaS1L_S1M_EUlS1L_E_NS1_11comp_targetILNS1_3genE0ELNS1_11target_archE4294967295ELNS1_3gpuE0ELNS1_3repE0EEENS1_30default_config_static_selectorELNS0_4arch9wavefront6targetE0EEEvSZ_.num_agpr, 0
	.set _ZN7rocprim17ROCPRIM_400000_NS6detail17trampoline_kernelINS0_13select_configILj256ELj13ELNS0_17block_load_methodE3ELS4_3ELS4_3ELNS0_20block_scan_algorithmE0ELj4294967295EEENS1_25partition_config_selectorILNS1_17partition_subalgoE3EjNS0_10empty_typeEbEEZZNS1_14partition_implILS8_3ELb0ES6_jNS0_17counting_iteratorIjlEEPS9_SE_NS0_5tupleIJPjSE_EEENSF_IJSE_SE_EEES9_SG_JZNS1_25segmented_radix_sort_implINS0_14default_configELb1EPK6__halfPSL_PKlPlN2at6native12_GLOBAL__N_18offset_tEEE10hipError_tPvRmT1_PNSt15iterator_traitsISZ_E10value_typeET2_T3_PNS10_IS15_E10value_typeET4_jRbjT5_S1B_jjP12ihipStream_tbEUljE_EEESW_SX_SY_S15_S19_S1B_T6_T7_T9_mT8_S1D_bDpT10_ENKUlT_T0_E_clISt17integral_constantIbLb0EES1P_IbLb1EEEEDaS1L_S1M_EUlS1L_E_NS1_11comp_targetILNS1_3genE0ELNS1_11target_archE4294967295ELNS1_3gpuE0ELNS1_3repE0EEENS1_30default_config_static_selectorELNS0_4arch9wavefront6targetE0EEEvSZ_.numbered_sgpr, 0
	.set _ZN7rocprim17ROCPRIM_400000_NS6detail17trampoline_kernelINS0_13select_configILj256ELj13ELNS0_17block_load_methodE3ELS4_3ELS4_3ELNS0_20block_scan_algorithmE0ELj4294967295EEENS1_25partition_config_selectorILNS1_17partition_subalgoE3EjNS0_10empty_typeEbEEZZNS1_14partition_implILS8_3ELb0ES6_jNS0_17counting_iteratorIjlEEPS9_SE_NS0_5tupleIJPjSE_EEENSF_IJSE_SE_EEES9_SG_JZNS1_25segmented_radix_sort_implINS0_14default_configELb1EPK6__halfPSL_PKlPlN2at6native12_GLOBAL__N_18offset_tEEE10hipError_tPvRmT1_PNSt15iterator_traitsISZ_E10value_typeET2_T3_PNS10_IS15_E10value_typeET4_jRbjT5_S1B_jjP12ihipStream_tbEUljE_EEESW_SX_SY_S15_S19_S1B_T6_T7_T9_mT8_S1D_bDpT10_ENKUlT_T0_E_clISt17integral_constantIbLb0EES1P_IbLb1EEEEDaS1L_S1M_EUlS1L_E_NS1_11comp_targetILNS1_3genE0ELNS1_11target_archE4294967295ELNS1_3gpuE0ELNS1_3repE0EEENS1_30default_config_static_selectorELNS0_4arch9wavefront6targetE0EEEvSZ_.num_named_barrier, 0
	.set _ZN7rocprim17ROCPRIM_400000_NS6detail17trampoline_kernelINS0_13select_configILj256ELj13ELNS0_17block_load_methodE3ELS4_3ELS4_3ELNS0_20block_scan_algorithmE0ELj4294967295EEENS1_25partition_config_selectorILNS1_17partition_subalgoE3EjNS0_10empty_typeEbEEZZNS1_14partition_implILS8_3ELb0ES6_jNS0_17counting_iteratorIjlEEPS9_SE_NS0_5tupleIJPjSE_EEENSF_IJSE_SE_EEES9_SG_JZNS1_25segmented_radix_sort_implINS0_14default_configELb1EPK6__halfPSL_PKlPlN2at6native12_GLOBAL__N_18offset_tEEE10hipError_tPvRmT1_PNSt15iterator_traitsISZ_E10value_typeET2_T3_PNS10_IS15_E10value_typeET4_jRbjT5_S1B_jjP12ihipStream_tbEUljE_EEESW_SX_SY_S15_S19_S1B_T6_T7_T9_mT8_S1D_bDpT10_ENKUlT_T0_E_clISt17integral_constantIbLb0EES1P_IbLb1EEEEDaS1L_S1M_EUlS1L_E_NS1_11comp_targetILNS1_3genE0ELNS1_11target_archE4294967295ELNS1_3gpuE0ELNS1_3repE0EEENS1_30default_config_static_selectorELNS0_4arch9wavefront6targetE0EEEvSZ_.private_seg_size, 0
	.set _ZN7rocprim17ROCPRIM_400000_NS6detail17trampoline_kernelINS0_13select_configILj256ELj13ELNS0_17block_load_methodE3ELS4_3ELS4_3ELNS0_20block_scan_algorithmE0ELj4294967295EEENS1_25partition_config_selectorILNS1_17partition_subalgoE3EjNS0_10empty_typeEbEEZZNS1_14partition_implILS8_3ELb0ES6_jNS0_17counting_iteratorIjlEEPS9_SE_NS0_5tupleIJPjSE_EEENSF_IJSE_SE_EEES9_SG_JZNS1_25segmented_radix_sort_implINS0_14default_configELb1EPK6__halfPSL_PKlPlN2at6native12_GLOBAL__N_18offset_tEEE10hipError_tPvRmT1_PNSt15iterator_traitsISZ_E10value_typeET2_T3_PNS10_IS15_E10value_typeET4_jRbjT5_S1B_jjP12ihipStream_tbEUljE_EEESW_SX_SY_S15_S19_S1B_T6_T7_T9_mT8_S1D_bDpT10_ENKUlT_T0_E_clISt17integral_constantIbLb0EES1P_IbLb1EEEEDaS1L_S1M_EUlS1L_E_NS1_11comp_targetILNS1_3genE0ELNS1_11target_archE4294967295ELNS1_3gpuE0ELNS1_3repE0EEENS1_30default_config_static_selectorELNS0_4arch9wavefront6targetE0EEEvSZ_.uses_vcc, 0
	.set _ZN7rocprim17ROCPRIM_400000_NS6detail17trampoline_kernelINS0_13select_configILj256ELj13ELNS0_17block_load_methodE3ELS4_3ELS4_3ELNS0_20block_scan_algorithmE0ELj4294967295EEENS1_25partition_config_selectorILNS1_17partition_subalgoE3EjNS0_10empty_typeEbEEZZNS1_14partition_implILS8_3ELb0ES6_jNS0_17counting_iteratorIjlEEPS9_SE_NS0_5tupleIJPjSE_EEENSF_IJSE_SE_EEES9_SG_JZNS1_25segmented_radix_sort_implINS0_14default_configELb1EPK6__halfPSL_PKlPlN2at6native12_GLOBAL__N_18offset_tEEE10hipError_tPvRmT1_PNSt15iterator_traitsISZ_E10value_typeET2_T3_PNS10_IS15_E10value_typeET4_jRbjT5_S1B_jjP12ihipStream_tbEUljE_EEESW_SX_SY_S15_S19_S1B_T6_T7_T9_mT8_S1D_bDpT10_ENKUlT_T0_E_clISt17integral_constantIbLb0EES1P_IbLb1EEEEDaS1L_S1M_EUlS1L_E_NS1_11comp_targetILNS1_3genE0ELNS1_11target_archE4294967295ELNS1_3gpuE0ELNS1_3repE0EEENS1_30default_config_static_selectorELNS0_4arch9wavefront6targetE0EEEvSZ_.uses_flat_scratch, 0
	.set _ZN7rocprim17ROCPRIM_400000_NS6detail17trampoline_kernelINS0_13select_configILj256ELj13ELNS0_17block_load_methodE3ELS4_3ELS4_3ELNS0_20block_scan_algorithmE0ELj4294967295EEENS1_25partition_config_selectorILNS1_17partition_subalgoE3EjNS0_10empty_typeEbEEZZNS1_14partition_implILS8_3ELb0ES6_jNS0_17counting_iteratorIjlEEPS9_SE_NS0_5tupleIJPjSE_EEENSF_IJSE_SE_EEES9_SG_JZNS1_25segmented_radix_sort_implINS0_14default_configELb1EPK6__halfPSL_PKlPlN2at6native12_GLOBAL__N_18offset_tEEE10hipError_tPvRmT1_PNSt15iterator_traitsISZ_E10value_typeET2_T3_PNS10_IS15_E10value_typeET4_jRbjT5_S1B_jjP12ihipStream_tbEUljE_EEESW_SX_SY_S15_S19_S1B_T6_T7_T9_mT8_S1D_bDpT10_ENKUlT_T0_E_clISt17integral_constantIbLb0EES1P_IbLb1EEEEDaS1L_S1M_EUlS1L_E_NS1_11comp_targetILNS1_3genE0ELNS1_11target_archE4294967295ELNS1_3gpuE0ELNS1_3repE0EEENS1_30default_config_static_selectorELNS0_4arch9wavefront6targetE0EEEvSZ_.has_dyn_sized_stack, 0
	.set _ZN7rocprim17ROCPRIM_400000_NS6detail17trampoline_kernelINS0_13select_configILj256ELj13ELNS0_17block_load_methodE3ELS4_3ELS4_3ELNS0_20block_scan_algorithmE0ELj4294967295EEENS1_25partition_config_selectorILNS1_17partition_subalgoE3EjNS0_10empty_typeEbEEZZNS1_14partition_implILS8_3ELb0ES6_jNS0_17counting_iteratorIjlEEPS9_SE_NS0_5tupleIJPjSE_EEENSF_IJSE_SE_EEES9_SG_JZNS1_25segmented_radix_sort_implINS0_14default_configELb1EPK6__halfPSL_PKlPlN2at6native12_GLOBAL__N_18offset_tEEE10hipError_tPvRmT1_PNSt15iterator_traitsISZ_E10value_typeET2_T3_PNS10_IS15_E10value_typeET4_jRbjT5_S1B_jjP12ihipStream_tbEUljE_EEESW_SX_SY_S15_S19_S1B_T6_T7_T9_mT8_S1D_bDpT10_ENKUlT_T0_E_clISt17integral_constantIbLb0EES1P_IbLb1EEEEDaS1L_S1M_EUlS1L_E_NS1_11comp_targetILNS1_3genE0ELNS1_11target_archE4294967295ELNS1_3gpuE0ELNS1_3repE0EEENS1_30default_config_static_selectorELNS0_4arch9wavefront6targetE0EEEvSZ_.has_recursion, 0
	.set _ZN7rocprim17ROCPRIM_400000_NS6detail17trampoline_kernelINS0_13select_configILj256ELj13ELNS0_17block_load_methodE3ELS4_3ELS4_3ELNS0_20block_scan_algorithmE0ELj4294967295EEENS1_25partition_config_selectorILNS1_17partition_subalgoE3EjNS0_10empty_typeEbEEZZNS1_14partition_implILS8_3ELb0ES6_jNS0_17counting_iteratorIjlEEPS9_SE_NS0_5tupleIJPjSE_EEENSF_IJSE_SE_EEES9_SG_JZNS1_25segmented_radix_sort_implINS0_14default_configELb1EPK6__halfPSL_PKlPlN2at6native12_GLOBAL__N_18offset_tEEE10hipError_tPvRmT1_PNSt15iterator_traitsISZ_E10value_typeET2_T3_PNS10_IS15_E10value_typeET4_jRbjT5_S1B_jjP12ihipStream_tbEUljE_EEESW_SX_SY_S15_S19_S1B_T6_T7_T9_mT8_S1D_bDpT10_ENKUlT_T0_E_clISt17integral_constantIbLb0EES1P_IbLb1EEEEDaS1L_S1M_EUlS1L_E_NS1_11comp_targetILNS1_3genE0ELNS1_11target_archE4294967295ELNS1_3gpuE0ELNS1_3repE0EEENS1_30default_config_static_selectorELNS0_4arch9wavefront6targetE0EEEvSZ_.has_indirect_call, 0
	.section	.AMDGPU.csdata,"",@progbits
; Kernel info:
; codeLenInByte = 0
; TotalNumSgprs: 0
; NumVgprs: 0
; ScratchSize: 0
; MemoryBound: 0
; FloatMode: 240
; IeeeMode: 1
; LDSByteSize: 0 bytes/workgroup (compile time only)
; SGPRBlocks: 0
; VGPRBlocks: 0
; NumSGPRsForWavesPerEU: 1
; NumVGPRsForWavesPerEU: 1
; Occupancy: 16
; WaveLimiterHint : 0
; COMPUTE_PGM_RSRC2:SCRATCH_EN: 0
; COMPUTE_PGM_RSRC2:USER_SGPR: 6
; COMPUTE_PGM_RSRC2:TRAP_HANDLER: 0
; COMPUTE_PGM_RSRC2:TGID_X_EN: 1
; COMPUTE_PGM_RSRC2:TGID_Y_EN: 0
; COMPUTE_PGM_RSRC2:TGID_Z_EN: 0
; COMPUTE_PGM_RSRC2:TIDIG_COMP_CNT: 0
	.section	.text._ZN7rocprim17ROCPRIM_400000_NS6detail17trampoline_kernelINS0_13select_configILj256ELj13ELNS0_17block_load_methodE3ELS4_3ELS4_3ELNS0_20block_scan_algorithmE0ELj4294967295EEENS1_25partition_config_selectorILNS1_17partition_subalgoE3EjNS0_10empty_typeEbEEZZNS1_14partition_implILS8_3ELb0ES6_jNS0_17counting_iteratorIjlEEPS9_SE_NS0_5tupleIJPjSE_EEENSF_IJSE_SE_EEES9_SG_JZNS1_25segmented_radix_sort_implINS0_14default_configELb1EPK6__halfPSL_PKlPlN2at6native12_GLOBAL__N_18offset_tEEE10hipError_tPvRmT1_PNSt15iterator_traitsISZ_E10value_typeET2_T3_PNS10_IS15_E10value_typeET4_jRbjT5_S1B_jjP12ihipStream_tbEUljE_EEESW_SX_SY_S15_S19_S1B_T6_T7_T9_mT8_S1D_bDpT10_ENKUlT_T0_E_clISt17integral_constantIbLb0EES1P_IbLb1EEEEDaS1L_S1M_EUlS1L_E_NS1_11comp_targetILNS1_3genE5ELNS1_11target_archE942ELNS1_3gpuE9ELNS1_3repE0EEENS1_30default_config_static_selectorELNS0_4arch9wavefront6targetE0EEEvSZ_,"axG",@progbits,_ZN7rocprim17ROCPRIM_400000_NS6detail17trampoline_kernelINS0_13select_configILj256ELj13ELNS0_17block_load_methodE3ELS4_3ELS4_3ELNS0_20block_scan_algorithmE0ELj4294967295EEENS1_25partition_config_selectorILNS1_17partition_subalgoE3EjNS0_10empty_typeEbEEZZNS1_14partition_implILS8_3ELb0ES6_jNS0_17counting_iteratorIjlEEPS9_SE_NS0_5tupleIJPjSE_EEENSF_IJSE_SE_EEES9_SG_JZNS1_25segmented_radix_sort_implINS0_14default_configELb1EPK6__halfPSL_PKlPlN2at6native12_GLOBAL__N_18offset_tEEE10hipError_tPvRmT1_PNSt15iterator_traitsISZ_E10value_typeET2_T3_PNS10_IS15_E10value_typeET4_jRbjT5_S1B_jjP12ihipStream_tbEUljE_EEESW_SX_SY_S15_S19_S1B_T6_T7_T9_mT8_S1D_bDpT10_ENKUlT_T0_E_clISt17integral_constantIbLb0EES1P_IbLb1EEEEDaS1L_S1M_EUlS1L_E_NS1_11comp_targetILNS1_3genE5ELNS1_11target_archE942ELNS1_3gpuE9ELNS1_3repE0EEENS1_30default_config_static_selectorELNS0_4arch9wavefront6targetE0EEEvSZ_,comdat
	.globl	_ZN7rocprim17ROCPRIM_400000_NS6detail17trampoline_kernelINS0_13select_configILj256ELj13ELNS0_17block_load_methodE3ELS4_3ELS4_3ELNS0_20block_scan_algorithmE0ELj4294967295EEENS1_25partition_config_selectorILNS1_17partition_subalgoE3EjNS0_10empty_typeEbEEZZNS1_14partition_implILS8_3ELb0ES6_jNS0_17counting_iteratorIjlEEPS9_SE_NS0_5tupleIJPjSE_EEENSF_IJSE_SE_EEES9_SG_JZNS1_25segmented_radix_sort_implINS0_14default_configELb1EPK6__halfPSL_PKlPlN2at6native12_GLOBAL__N_18offset_tEEE10hipError_tPvRmT1_PNSt15iterator_traitsISZ_E10value_typeET2_T3_PNS10_IS15_E10value_typeET4_jRbjT5_S1B_jjP12ihipStream_tbEUljE_EEESW_SX_SY_S15_S19_S1B_T6_T7_T9_mT8_S1D_bDpT10_ENKUlT_T0_E_clISt17integral_constantIbLb0EES1P_IbLb1EEEEDaS1L_S1M_EUlS1L_E_NS1_11comp_targetILNS1_3genE5ELNS1_11target_archE942ELNS1_3gpuE9ELNS1_3repE0EEENS1_30default_config_static_selectorELNS0_4arch9wavefront6targetE0EEEvSZ_ ; -- Begin function _ZN7rocprim17ROCPRIM_400000_NS6detail17trampoline_kernelINS0_13select_configILj256ELj13ELNS0_17block_load_methodE3ELS4_3ELS4_3ELNS0_20block_scan_algorithmE0ELj4294967295EEENS1_25partition_config_selectorILNS1_17partition_subalgoE3EjNS0_10empty_typeEbEEZZNS1_14partition_implILS8_3ELb0ES6_jNS0_17counting_iteratorIjlEEPS9_SE_NS0_5tupleIJPjSE_EEENSF_IJSE_SE_EEES9_SG_JZNS1_25segmented_radix_sort_implINS0_14default_configELb1EPK6__halfPSL_PKlPlN2at6native12_GLOBAL__N_18offset_tEEE10hipError_tPvRmT1_PNSt15iterator_traitsISZ_E10value_typeET2_T3_PNS10_IS15_E10value_typeET4_jRbjT5_S1B_jjP12ihipStream_tbEUljE_EEESW_SX_SY_S15_S19_S1B_T6_T7_T9_mT8_S1D_bDpT10_ENKUlT_T0_E_clISt17integral_constantIbLb0EES1P_IbLb1EEEEDaS1L_S1M_EUlS1L_E_NS1_11comp_targetILNS1_3genE5ELNS1_11target_archE942ELNS1_3gpuE9ELNS1_3repE0EEENS1_30default_config_static_selectorELNS0_4arch9wavefront6targetE0EEEvSZ_
	.p2align	8
	.type	_ZN7rocprim17ROCPRIM_400000_NS6detail17trampoline_kernelINS0_13select_configILj256ELj13ELNS0_17block_load_methodE3ELS4_3ELS4_3ELNS0_20block_scan_algorithmE0ELj4294967295EEENS1_25partition_config_selectorILNS1_17partition_subalgoE3EjNS0_10empty_typeEbEEZZNS1_14partition_implILS8_3ELb0ES6_jNS0_17counting_iteratorIjlEEPS9_SE_NS0_5tupleIJPjSE_EEENSF_IJSE_SE_EEES9_SG_JZNS1_25segmented_radix_sort_implINS0_14default_configELb1EPK6__halfPSL_PKlPlN2at6native12_GLOBAL__N_18offset_tEEE10hipError_tPvRmT1_PNSt15iterator_traitsISZ_E10value_typeET2_T3_PNS10_IS15_E10value_typeET4_jRbjT5_S1B_jjP12ihipStream_tbEUljE_EEESW_SX_SY_S15_S19_S1B_T6_T7_T9_mT8_S1D_bDpT10_ENKUlT_T0_E_clISt17integral_constantIbLb0EES1P_IbLb1EEEEDaS1L_S1M_EUlS1L_E_NS1_11comp_targetILNS1_3genE5ELNS1_11target_archE942ELNS1_3gpuE9ELNS1_3repE0EEENS1_30default_config_static_selectorELNS0_4arch9wavefront6targetE0EEEvSZ_,@function
_ZN7rocprim17ROCPRIM_400000_NS6detail17trampoline_kernelINS0_13select_configILj256ELj13ELNS0_17block_load_methodE3ELS4_3ELS4_3ELNS0_20block_scan_algorithmE0ELj4294967295EEENS1_25partition_config_selectorILNS1_17partition_subalgoE3EjNS0_10empty_typeEbEEZZNS1_14partition_implILS8_3ELb0ES6_jNS0_17counting_iteratorIjlEEPS9_SE_NS0_5tupleIJPjSE_EEENSF_IJSE_SE_EEES9_SG_JZNS1_25segmented_radix_sort_implINS0_14default_configELb1EPK6__halfPSL_PKlPlN2at6native12_GLOBAL__N_18offset_tEEE10hipError_tPvRmT1_PNSt15iterator_traitsISZ_E10value_typeET2_T3_PNS10_IS15_E10value_typeET4_jRbjT5_S1B_jjP12ihipStream_tbEUljE_EEESW_SX_SY_S15_S19_S1B_T6_T7_T9_mT8_S1D_bDpT10_ENKUlT_T0_E_clISt17integral_constantIbLb0EES1P_IbLb1EEEEDaS1L_S1M_EUlS1L_E_NS1_11comp_targetILNS1_3genE5ELNS1_11target_archE942ELNS1_3gpuE9ELNS1_3repE0EEENS1_30default_config_static_selectorELNS0_4arch9wavefront6targetE0EEEvSZ_: ; @_ZN7rocprim17ROCPRIM_400000_NS6detail17trampoline_kernelINS0_13select_configILj256ELj13ELNS0_17block_load_methodE3ELS4_3ELS4_3ELNS0_20block_scan_algorithmE0ELj4294967295EEENS1_25partition_config_selectorILNS1_17partition_subalgoE3EjNS0_10empty_typeEbEEZZNS1_14partition_implILS8_3ELb0ES6_jNS0_17counting_iteratorIjlEEPS9_SE_NS0_5tupleIJPjSE_EEENSF_IJSE_SE_EEES9_SG_JZNS1_25segmented_radix_sort_implINS0_14default_configELb1EPK6__halfPSL_PKlPlN2at6native12_GLOBAL__N_18offset_tEEE10hipError_tPvRmT1_PNSt15iterator_traitsISZ_E10value_typeET2_T3_PNS10_IS15_E10value_typeET4_jRbjT5_S1B_jjP12ihipStream_tbEUljE_EEESW_SX_SY_S15_S19_S1B_T6_T7_T9_mT8_S1D_bDpT10_ENKUlT_T0_E_clISt17integral_constantIbLb0EES1P_IbLb1EEEEDaS1L_S1M_EUlS1L_E_NS1_11comp_targetILNS1_3genE5ELNS1_11target_archE942ELNS1_3gpuE9ELNS1_3repE0EEENS1_30default_config_static_selectorELNS0_4arch9wavefront6targetE0EEEvSZ_
; %bb.0:
	.section	.rodata,"a",@progbits
	.p2align	6, 0x0
	.amdhsa_kernel _ZN7rocprim17ROCPRIM_400000_NS6detail17trampoline_kernelINS0_13select_configILj256ELj13ELNS0_17block_load_methodE3ELS4_3ELS4_3ELNS0_20block_scan_algorithmE0ELj4294967295EEENS1_25partition_config_selectorILNS1_17partition_subalgoE3EjNS0_10empty_typeEbEEZZNS1_14partition_implILS8_3ELb0ES6_jNS0_17counting_iteratorIjlEEPS9_SE_NS0_5tupleIJPjSE_EEENSF_IJSE_SE_EEES9_SG_JZNS1_25segmented_radix_sort_implINS0_14default_configELb1EPK6__halfPSL_PKlPlN2at6native12_GLOBAL__N_18offset_tEEE10hipError_tPvRmT1_PNSt15iterator_traitsISZ_E10value_typeET2_T3_PNS10_IS15_E10value_typeET4_jRbjT5_S1B_jjP12ihipStream_tbEUljE_EEESW_SX_SY_S15_S19_S1B_T6_T7_T9_mT8_S1D_bDpT10_ENKUlT_T0_E_clISt17integral_constantIbLb0EES1P_IbLb1EEEEDaS1L_S1M_EUlS1L_E_NS1_11comp_targetILNS1_3genE5ELNS1_11target_archE942ELNS1_3gpuE9ELNS1_3repE0EEENS1_30default_config_static_selectorELNS0_4arch9wavefront6targetE0EEEvSZ_
		.amdhsa_group_segment_fixed_size 0
		.amdhsa_private_segment_fixed_size 0
		.amdhsa_kernarg_size 152
		.amdhsa_user_sgpr_count 6
		.amdhsa_user_sgpr_private_segment_buffer 1
		.amdhsa_user_sgpr_dispatch_ptr 0
		.amdhsa_user_sgpr_queue_ptr 0
		.amdhsa_user_sgpr_kernarg_segment_ptr 1
		.amdhsa_user_sgpr_dispatch_id 0
		.amdhsa_user_sgpr_flat_scratch_init 0
		.amdhsa_user_sgpr_private_segment_size 0
		.amdhsa_wavefront_size32 1
		.amdhsa_uses_dynamic_stack 0
		.amdhsa_system_sgpr_private_segment_wavefront_offset 0
		.amdhsa_system_sgpr_workgroup_id_x 1
		.amdhsa_system_sgpr_workgroup_id_y 0
		.amdhsa_system_sgpr_workgroup_id_z 0
		.amdhsa_system_sgpr_workgroup_info 0
		.amdhsa_system_vgpr_workitem_id 0
		.amdhsa_next_free_vgpr 1
		.amdhsa_next_free_sgpr 1
		.amdhsa_reserve_vcc 0
		.amdhsa_reserve_flat_scratch 0
		.amdhsa_float_round_mode_32 0
		.amdhsa_float_round_mode_16_64 0
		.amdhsa_float_denorm_mode_32 3
		.amdhsa_float_denorm_mode_16_64 3
		.amdhsa_dx10_clamp 1
		.amdhsa_ieee_mode 1
		.amdhsa_fp16_overflow 0
		.amdhsa_workgroup_processor_mode 1
		.amdhsa_memory_ordered 1
		.amdhsa_forward_progress 1
		.amdhsa_shared_vgpr_count 0
		.amdhsa_exception_fp_ieee_invalid_op 0
		.amdhsa_exception_fp_denorm_src 0
		.amdhsa_exception_fp_ieee_div_zero 0
		.amdhsa_exception_fp_ieee_overflow 0
		.amdhsa_exception_fp_ieee_underflow 0
		.amdhsa_exception_fp_ieee_inexact 0
		.amdhsa_exception_int_div_zero 0
	.end_amdhsa_kernel
	.section	.text._ZN7rocprim17ROCPRIM_400000_NS6detail17trampoline_kernelINS0_13select_configILj256ELj13ELNS0_17block_load_methodE3ELS4_3ELS4_3ELNS0_20block_scan_algorithmE0ELj4294967295EEENS1_25partition_config_selectorILNS1_17partition_subalgoE3EjNS0_10empty_typeEbEEZZNS1_14partition_implILS8_3ELb0ES6_jNS0_17counting_iteratorIjlEEPS9_SE_NS0_5tupleIJPjSE_EEENSF_IJSE_SE_EEES9_SG_JZNS1_25segmented_radix_sort_implINS0_14default_configELb1EPK6__halfPSL_PKlPlN2at6native12_GLOBAL__N_18offset_tEEE10hipError_tPvRmT1_PNSt15iterator_traitsISZ_E10value_typeET2_T3_PNS10_IS15_E10value_typeET4_jRbjT5_S1B_jjP12ihipStream_tbEUljE_EEESW_SX_SY_S15_S19_S1B_T6_T7_T9_mT8_S1D_bDpT10_ENKUlT_T0_E_clISt17integral_constantIbLb0EES1P_IbLb1EEEEDaS1L_S1M_EUlS1L_E_NS1_11comp_targetILNS1_3genE5ELNS1_11target_archE942ELNS1_3gpuE9ELNS1_3repE0EEENS1_30default_config_static_selectorELNS0_4arch9wavefront6targetE0EEEvSZ_,"axG",@progbits,_ZN7rocprim17ROCPRIM_400000_NS6detail17trampoline_kernelINS0_13select_configILj256ELj13ELNS0_17block_load_methodE3ELS4_3ELS4_3ELNS0_20block_scan_algorithmE0ELj4294967295EEENS1_25partition_config_selectorILNS1_17partition_subalgoE3EjNS0_10empty_typeEbEEZZNS1_14partition_implILS8_3ELb0ES6_jNS0_17counting_iteratorIjlEEPS9_SE_NS0_5tupleIJPjSE_EEENSF_IJSE_SE_EEES9_SG_JZNS1_25segmented_radix_sort_implINS0_14default_configELb1EPK6__halfPSL_PKlPlN2at6native12_GLOBAL__N_18offset_tEEE10hipError_tPvRmT1_PNSt15iterator_traitsISZ_E10value_typeET2_T3_PNS10_IS15_E10value_typeET4_jRbjT5_S1B_jjP12ihipStream_tbEUljE_EEESW_SX_SY_S15_S19_S1B_T6_T7_T9_mT8_S1D_bDpT10_ENKUlT_T0_E_clISt17integral_constantIbLb0EES1P_IbLb1EEEEDaS1L_S1M_EUlS1L_E_NS1_11comp_targetILNS1_3genE5ELNS1_11target_archE942ELNS1_3gpuE9ELNS1_3repE0EEENS1_30default_config_static_selectorELNS0_4arch9wavefront6targetE0EEEvSZ_,comdat
.Lfunc_end1722:
	.size	_ZN7rocprim17ROCPRIM_400000_NS6detail17trampoline_kernelINS0_13select_configILj256ELj13ELNS0_17block_load_methodE3ELS4_3ELS4_3ELNS0_20block_scan_algorithmE0ELj4294967295EEENS1_25partition_config_selectorILNS1_17partition_subalgoE3EjNS0_10empty_typeEbEEZZNS1_14partition_implILS8_3ELb0ES6_jNS0_17counting_iteratorIjlEEPS9_SE_NS0_5tupleIJPjSE_EEENSF_IJSE_SE_EEES9_SG_JZNS1_25segmented_radix_sort_implINS0_14default_configELb1EPK6__halfPSL_PKlPlN2at6native12_GLOBAL__N_18offset_tEEE10hipError_tPvRmT1_PNSt15iterator_traitsISZ_E10value_typeET2_T3_PNS10_IS15_E10value_typeET4_jRbjT5_S1B_jjP12ihipStream_tbEUljE_EEESW_SX_SY_S15_S19_S1B_T6_T7_T9_mT8_S1D_bDpT10_ENKUlT_T0_E_clISt17integral_constantIbLb0EES1P_IbLb1EEEEDaS1L_S1M_EUlS1L_E_NS1_11comp_targetILNS1_3genE5ELNS1_11target_archE942ELNS1_3gpuE9ELNS1_3repE0EEENS1_30default_config_static_selectorELNS0_4arch9wavefront6targetE0EEEvSZ_, .Lfunc_end1722-_ZN7rocprim17ROCPRIM_400000_NS6detail17trampoline_kernelINS0_13select_configILj256ELj13ELNS0_17block_load_methodE3ELS4_3ELS4_3ELNS0_20block_scan_algorithmE0ELj4294967295EEENS1_25partition_config_selectorILNS1_17partition_subalgoE3EjNS0_10empty_typeEbEEZZNS1_14partition_implILS8_3ELb0ES6_jNS0_17counting_iteratorIjlEEPS9_SE_NS0_5tupleIJPjSE_EEENSF_IJSE_SE_EEES9_SG_JZNS1_25segmented_radix_sort_implINS0_14default_configELb1EPK6__halfPSL_PKlPlN2at6native12_GLOBAL__N_18offset_tEEE10hipError_tPvRmT1_PNSt15iterator_traitsISZ_E10value_typeET2_T3_PNS10_IS15_E10value_typeET4_jRbjT5_S1B_jjP12ihipStream_tbEUljE_EEESW_SX_SY_S15_S19_S1B_T6_T7_T9_mT8_S1D_bDpT10_ENKUlT_T0_E_clISt17integral_constantIbLb0EES1P_IbLb1EEEEDaS1L_S1M_EUlS1L_E_NS1_11comp_targetILNS1_3genE5ELNS1_11target_archE942ELNS1_3gpuE9ELNS1_3repE0EEENS1_30default_config_static_selectorELNS0_4arch9wavefront6targetE0EEEvSZ_
                                        ; -- End function
	.set _ZN7rocprim17ROCPRIM_400000_NS6detail17trampoline_kernelINS0_13select_configILj256ELj13ELNS0_17block_load_methodE3ELS4_3ELS4_3ELNS0_20block_scan_algorithmE0ELj4294967295EEENS1_25partition_config_selectorILNS1_17partition_subalgoE3EjNS0_10empty_typeEbEEZZNS1_14partition_implILS8_3ELb0ES6_jNS0_17counting_iteratorIjlEEPS9_SE_NS0_5tupleIJPjSE_EEENSF_IJSE_SE_EEES9_SG_JZNS1_25segmented_radix_sort_implINS0_14default_configELb1EPK6__halfPSL_PKlPlN2at6native12_GLOBAL__N_18offset_tEEE10hipError_tPvRmT1_PNSt15iterator_traitsISZ_E10value_typeET2_T3_PNS10_IS15_E10value_typeET4_jRbjT5_S1B_jjP12ihipStream_tbEUljE_EEESW_SX_SY_S15_S19_S1B_T6_T7_T9_mT8_S1D_bDpT10_ENKUlT_T0_E_clISt17integral_constantIbLb0EES1P_IbLb1EEEEDaS1L_S1M_EUlS1L_E_NS1_11comp_targetILNS1_3genE5ELNS1_11target_archE942ELNS1_3gpuE9ELNS1_3repE0EEENS1_30default_config_static_selectorELNS0_4arch9wavefront6targetE0EEEvSZ_.num_vgpr, 0
	.set _ZN7rocprim17ROCPRIM_400000_NS6detail17trampoline_kernelINS0_13select_configILj256ELj13ELNS0_17block_load_methodE3ELS4_3ELS4_3ELNS0_20block_scan_algorithmE0ELj4294967295EEENS1_25partition_config_selectorILNS1_17partition_subalgoE3EjNS0_10empty_typeEbEEZZNS1_14partition_implILS8_3ELb0ES6_jNS0_17counting_iteratorIjlEEPS9_SE_NS0_5tupleIJPjSE_EEENSF_IJSE_SE_EEES9_SG_JZNS1_25segmented_radix_sort_implINS0_14default_configELb1EPK6__halfPSL_PKlPlN2at6native12_GLOBAL__N_18offset_tEEE10hipError_tPvRmT1_PNSt15iterator_traitsISZ_E10value_typeET2_T3_PNS10_IS15_E10value_typeET4_jRbjT5_S1B_jjP12ihipStream_tbEUljE_EEESW_SX_SY_S15_S19_S1B_T6_T7_T9_mT8_S1D_bDpT10_ENKUlT_T0_E_clISt17integral_constantIbLb0EES1P_IbLb1EEEEDaS1L_S1M_EUlS1L_E_NS1_11comp_targetILNS1_3genE5ELNS1_11target_archE942ELNS1_3gpuE9ELNS1_3repE0EEENS1_30default_config_static_selectorELNS0_4arch9wavefront6targetE0EEEvSZ_.num_agpr, 0
	.set _ZN7rocprim17ROCPRIM_400000_NS6detail17trampoline_kernelINS0_13select_configILj256ELj13ELNS0_17block_load_methodE3ELS4_3ELS4_3ELNS0_20block_scan_algorithmE0ELj4294967295EEENS1_25partition_config_selectorILNS1_17partition_subalgoE3EjNS0_10empty_typeEbEEZZNS1_14partition_implILS8_3ELb0ES6_jNS0_17counting_iteratorIjlEEPS9_SE_NS0_5tupleIJPjSE_EEENSF_IJSE_SE_EEES9_SG_JZNS1_25segmented_radix_sort_implINS0_14default_configELb1EPK6__halfPSL_PKlPlN2at6native12_GLOBAL__N_18offset_tEEE10hipError_tPvRmT1_PNSt15iterator_traitsISZ_E10value_typeET2_T3_PNS10_IS15_E10value_typeET4_jRbjT5_S1B_jjP12ihipStream_tbEUljE_EEESW_SX_SY_S15_S19_S1B_T6_T7_T9_mT8_S1D_bDpT10_ENKUlT_T0_E_clISt17integral_constantIbLb0EES1P_IbLb1EEEEDaS1L_S1M_EUlS1L_E_NS1_11comp_targetILNS1_3genE5ELNS1_11target_archE942ELNS1_3gpuE9ELNS1_3repE0EEENS1_30default_config_static_selectorELNS0_4arch9wavefront6targetE0EEEvSZ_.numbered_sgpr, 0
	.set _ZN7rocprim17ROCPRIM_400000_NS6detail17trampoline_kernelINS0_13select_configILj256ELj13ELNS0_17block_load_methodE3ELS4_3ELS4_3ELNS0_20block_scan_algorithmE0ELj4294967295EEENS1_25partition_config_selectorILNS1_17partition_subalgoE3EjNS0_10empty_typeEbEEZZNS1_14partition_implILS8_3ELb0ES6_jNS0_17counting_iteratorIjlEEPS9_SE_NS0_5tupleIJPjSE_EEENSF_IJSE_SE_EEES9_SG_JZNS1_25segmented_radix_sort_implINS0_14default_configELb1EPK6__halfPSL_PKlPlN2at6native12_GLOBAL__N_18offset_tEEE10hipError_tPvRmT1_PNSt15iterator_traitsISZ_E10value_typeET2_T3_PNS10_IS15_E10value_typeET4_jRbjT5_S1B_jjP12ihipStream_tbEUljE_EEESW_SX_SY_S15_S19_S1B_T6_T7_T9_mT8_S1D_bDpT10_ENKUlT_T0_E_clISt17integral_constantIbLb0EES1P_IbLb1EEEEDaS1L_S1M_EUlS1L_E_NS1_11comp_targetILNS1_3genE5ELNS1_11target_archE942ELNS1_3gpuE9ELNS1_3repE0EEENS1_30default_config_static_selectorELNS0_4arch9wavefront6targetE0EEEvSZ_.num_named_barrier, 0
	.set _ZN7rocprim17ROCPRIM_400000_NS6detail17trampoline_kernelINS0_13select_configILj256ELj13ELNS0_17block_load_methodE3ELS4_3ELS4_3ELNS0_20block_scan_algorithmE0ELj4294967295EEENS1_25partition_config_selectorILNS1_17partition_subalgoE3EjNS0_10empty_typeEbEEZZNS1_14partition_implILS8_3ELb0ES6_jNS0_17counting_iteratorIjlEEPS9_SE_NS0_5tupleIJPjSE_EEENSF_IJSE_SE_EEES9_SG_JZNS1_25segmented_radix_sort_implINS0_14default_configELb1EPK6__halfPSL_PKlPlN2at6native12_GLOBAL__N_18offset_tEEE10hipError_tPvRmT1_PNSt15iterator_traitsISZ_E10value_typeET2_T3_PNS10_IS15_E10value_typeET4_jRbjT5_S1B_jjP12ihipStream_tbEUljE_EEESW_SX_SY_S15_S19_S1B_T6_T7_T9_mT8_S1D_bDpT10_ENKUlT_T0_E_clISt17integral_constantIbLb0EES1P_IbLb1EEEEDaS1L_S1M_EUlS1L_E_NS1_11comp_targetILNS1_3genE5ELNS1_11target_archE942ELNS1_3gpuE9ELNS1_3repE0EEENS1_30default_config_static_selectorELNS0_4arch9wavefront6targetE0EEEvSZ_.private_seg_size, 0
	.set _ZN7rocprim17ROCPRIM_400000_NS6detail17trampoline_kernelINS0_13select_configILj256ELj13ELNS0_17block_load_methodE3ELS4_3ELS4_3ELNS0_20block_scan_algorithmE0ELj4294967295EEENS1_25partition_config_selectorILNS1_17partition_subalgoE3EjNS0_10empty_typeEbEEZZNS1_14partition_implILS8_3ELb0ES6_jNS0_17counting_iteratorIjlEEPS9_SE_NS0_5tupleIJPjSE_EEENSF_IJSE_SE_EEES9_SG_JZNS1_25segmented_radix_sort_implINS0_14default_configELb1EPK6__halfPSL_PKlPlN2at6native12_GLOBAL__N_18offset_tEEE10hipError_tPvRmT1_PNSt15iterator_traitsISZ_E10value_typeET2_T3_PNS10_IS15_E10value_typeET4_jRbjT5_S1B_jjP12ihipStream_tbEUljE_EEESW_SX_SY_S15_S19_S1B_T6_T7_T9_mT8_S1D_bDpT10_ENKUlT_T0_E_clISt17integral_constantIbLb0EES1P_IbLb1EEEEDaS1L_S1M_EUlS1L_E_NS1_11comp_targetILNS1_3genE5ELNS1_11target_archE942ELNS1_3gpuE9ELNS1_3repE0EEENS1_30default_config_static_selectorELNS0_4arch9wavefront6targetE0EEEvSZ_.uses_vcc, 0
	.set _ZN7rocprim17ROCPRIM_400000_NS6detail17trampoline_kernelINS0_13select_configILj256ELj13ELNS0_17block_load_methodE3ELS4_3ELS4_3ELNS0_20block_scan_algorithmE0ELj4294967295EEENS1_25partition_config_selectorILNS1_17partition_subalgoE3EjNS0_10empty_typeEbEEZZNS1_14partition_implILS8_3ELb0ES6_jNS0_17counting_iteratorIjlEEPS9_SE_NS0_5tupleIJPjSE_EEENSF_IJSE_SE_EEES9_SG_JZNS1_25segmented_radix_sort_implINS0_14default_configELb1EPK6__halfPSL_PKlPlN2at6native12_GLOBAL__N_18offset_tEEE10hipError_tPvRmT1_PNSt15iterator_traitsISZ_E10value_typeET2_T3_PNS10_IS15_E10value_typeET4_jRbjT5_S1B_jjP12ihipStream_tbEUljE_EEESW_SX_SY_S15_S19_S1B_T6_T7_T9_mT8_S1D_bDpT10_ENKUlT_T0_E_clISt17integral_constantIbLb0EES1P_IbLb1EEEEDaS1L_S1M_EUlS1L_E_NS1_11comp_targetILNS1_3genE5ELNS1_11target_archE942ELNS1_3gpuE9ELNS1_3repE0EEENS1_30default_config_static_selectorELNS0_4arch9wavefront6targetE0EEEvSZ_.uses_flat_scratch, 0
	.set _ZN7rocprim17ROCPRIM_400000_NS6detail17trampoline_kernelINS0_13select_configILj256ELj13ELNS0_17block_load_methodE3ELS4_3ELS4_3ELNS0_20block_scan_algorithmE0ELj4294967295EEENS1_25partition_config_selectorILNS1_17partition_subalgoE3EjNS0_10empty_typeEbEEZZNS1_14partition_implILS8_3ELb0ES6_jNS0_17counting_iteratorIjlEEPS9_SE_NS0_5tupleIJPjSE_EEENSF_IJSE_SE_EEES9_SG_JZNS1_25segmented_radix_sort_implINS0_14default_configELb1EPK6__halfPSL_PKlPlN2at6native12_GLOBAL__N_18offset_tEEE10hipError_tPvRmT1_PNSt15iterator_traitsISZ_E10value_typeET2_T3_PNS10_IS15_E10value_typeET4_jRbjT5_S1B_jjP12ihipStream_tbEUljE_EEESW_SX_SY_S15_S19_S1B_T6_T7_T9_mT8_S1D_bDpT10_ENKUlT_T0_E_clISt17integral_constantIbLb0EES1P_IbLb1EEEEDaS1L_S1M_EUlS1L_E_NS1_11comp_targetILNS1_3genE5ELNS1_11target_archE942ELNS1_3gpuE9ELNS1_3repE0EEENS1_30default_config_static_selectorELNS0_4arch9wavefront6targetE0EEEvSZ_.has_dyn_sized_stack, 0
	.set _ZN7rocprim17ROCPRIM_400000_NS6detail17trampoline_kernelINS0_13select_configILj256ELj13ELNS0_17block_load_methodE3ELS4_3ELS4_3ELNS0_20block_scan_algorithmE0ELj4294967295EEENS1_25partition_config_selectorILNS1_17partition_subalgoE3EjNS0_10empty_typeEbEEZZNS1_14partition_implILS8_3ELb0ES6_jNS0_17counting_iteratorIjlEEPS9_SE_NS0_5tupleIJPjSE_EEENSF_IJSE_SE_EEES9_SG_JZNS1_25segmented_radix_sort_implINS0_14default_configELb1EPK6__halfPSL_PKlPlN2at6native12_GLOBAL__N_18offset_tEEE10hipError_tPvRmT1_PNSt15iterator_traitsISZ_E10value_typeET2_T3_PNS10_IS15_E10value_typeET4_jRbjT5_S1B_jjP12ihipStream_tbEUljE_EEESW_SX_SY_S15_S19_S1B_T6_T7_T9_mT8_S1D_bDpT10_ENKUlT_T0_E_clISt17integral_constantIbLb0EES1P_IbLb1EEEEDaS1L_S1M_EUlS1L_E_NS1_11comp_targetILNS1_3genE5ELNS1_11target_archE942ELNS1_3gpuE9ELNS1_3repE0EEENS1_30default_config_static_selectorELNS0_4arch9wavefront6targetE0EEEvSZ_.has_recursion, 0
	.set _ZN7rocprim17ROCPRIM_400000_NS6detail17trampoline_kernelINS0_13select_configILj256ELj13ELNS0_17block_load_methodE3ELS4_3ELS4_3ELNS0_20block_scan_algorithmE0ELj4294967295EEENS1_25partition_config_selectorILNS1_17partition_subalgoE3EjNS0_10empty_typeEbEEZZNS1_14partition_implILS8_3ELb0ES6_jNS0_17counting_iteratorIjlEEPS9_SE_NS0_5tupleIJPjSE_EEENSF_IJSE_SE_EEES9_SG_JZNS1_25segmented_radix_sort_implINS0_14default_configELb1EPK6__halfPSL_PKlPlN2at6native12_GLOBAL__N_18offset_tEEE10hipError_tPvRmT1_PNSt15iterator_traitsISZ_E10value_typeET2_T3_PNS10_IS15_E10value_typeET4_jRbjT5_S1B_jjP12ihipStream_tbEUljE_EEESW_SX_SY_S15_S19_S1B_T6_T7_T9_mT8_S1D_bDpT10_ENKUlT_T0_E_clISt17integral_constantIbLb0EES1P_IbLb1EEEEDaS1L_S1M_EUlS1L_E_NS1_11comp_targetILNS1_3genE5ELNS1_11target_archE942ELNS1_3gpuE9ELNS1_3repE0EEENS1_30default_config_static_selectorELNS0_4arch9wavefront6targetE0EEEvSZ_.has_indirect_call, 0
	.section	.AMDGPU.csdata,"",@progbits
; Kernel info:
; codeLenInByte = 0
; TotalNumSgprs: 0
; NumVgprs: 0
; ScratchSize: 0
; MemoryBound: 0
; FloatMode: 240
; IeeeMode: 1
; LDSByteSize: 0 bytes/workgroup (compile time only)
; SGPRBlocks: 0
; VGPRBlocks: 0
; NumSGPRsForWavesPerEU: 1
; NumVGPRsForWavesPerEU: 1
; Occupancy: 16
; WaveLimiterHint : 0
; COMPUTE_PGM_RSRC2:SCRATCH_EN: 0
; COMPUTE_PGM_RSRC2:USER_SGPR: 6
; COMPUTE_PGM_RSRC2:TRAP_HANDLER: 0
; COMPUTE_PGM_RSRC2:TGID_X_EN: 1
; COMPUTE_PGM_RSRC2:TGID_Y_EN: 0
; COMPUTE_PGM_RSRC2:TGID_Z_EN: 0
; COMPUTE_PGM_RSRC2:TIDIG_COMP_CNT: 0
	.section	.text._ZN7rocprim17ROCPRIM_400000_NS6detail17trampoline_kernelINS0_13select_configILj256ELj13ELNS0_17block_load_methodE3ELS4_3ELS4_3ELNS0_20block_scan_algorithmE0ELj4294967295EEENS1_25partition_config_selectorILNS1_17partition_subalgoE3EjNS0_10empty_typeEbEEZZNS1_14partition_implILS8_3ELb0ES6_jNS0_17counting_iteratorIjlEEPS9_SE_NS0_5tupleIJPjSE_EEENSF_IJSE_SE_EEES9_SG_JZNS1_25segmented_radix_sort_implINS0_14default_configELb1EPK6__halfPSL_PKlPlN2at6native12_GLOBAL__N_18offset_tEEE10hipError_tPvRmT1_PNSt15iterator_traitsISZ_E10value_typeET2_T3_PNS10_IS15_E10value_typeET4_jRbjT5_S1B_jjP12ihipStream_tbEUljE_EEESW_SX_SY_S15_S19_S1B_T6_T7_T9_mT8_S1D_bDpT10_ENKUlT_T0_E_clISt17integral_constantIbLb0EES1P_IbLb1EEEEDaS1L_S1M_EUlS1L_E_NS1_11comp_targetILNS1_3genE4ELNS1_11target_archE910ELNS1_3gpuE8ELNS1_3repE0EEENS1_30default_config_static_selectorELNS0_4arch9wavefront6targetE0EEEvSZ_,"axG",@progbits,_ZN7rocprim17ROCPRIM_400000_NS6detail17trampoline_kernelINS0_13select_configILj256ELj13ELNS0_17block_load_methodE3ELS4_3ELS4_3ELNS0_20block_scan_algorithmE0ELj4294967295EEENS1_25partition_config_selectorILNS1_17partition_subalgoE3EjNS0_10empty_typeEbEEZZNS1_14partition_implILS8_3ELb0ES6_jNS0_17counting_iteratorIjlEEPS9_SE_NS0_5tupleIJPjSE_EEENSF_IJSE_SE_EEES9_SG_JZNS1_25segmented_radix_sort_implINS0_14default_configELb1EPK6__halfPSL_PKlPlN2at6native12_GLOBAL__N_18offset_tEEE10hipError_tPvRmT1_PNSt15iterator_traitsISZ_E10value_typeET2_T3_PNS10_IS15_E10value_typeET4_jRbjT5_S1B_jjP12ihipStream_tbEUljE_EEESW_SX_SY_S15_S19_S1B_T6_T7_T9_mT8_S1D_bDpT10_ENKUlT_T0_E_clISt17integral_constantIbLb0EES1P_IbLb1EEEEDaS1L_S1M_EUlS1L_E_NS1_11comp_targetILNS1_3genE4ELNS1_11target_archE910ELNS1_3gpuE8ELNS1_3repE0EEENS1_30default_config_static_selectorELNS0_4arch9wavefront6targetE0EEEvSZ_,comdat
	.globl	_ZN7rocprim17ROCPRIM_400000_NS6detail17trampoline_kernelINS0_13select_configILj256ELj13ELNS0_17block_load_methodE3ELS4_3ELS4_3ELNS0_20block_scan_algorithmE0ELj4294967295EEENS1_25partition_config_selectorILNS1_17partition_subalgoE3EjNS0_10empty_typeEbEEZZNS1_14partition_implILS8_3ELb0ES6_jNS0_17counting_iteratorIjlEEPS9_SE_NS0_5tupleIJPjSE_EEENSF_IJSE_SE_EEES9_SG_JZNS1_25segmented_radix_sort_implINS0_14default_configELb1EPK6__halfPSL_PKlPlN2at6native12_GLOBAL__N_18offset_tEEE10hipError_tPvRmT1_PNSt15iterator_traitsISZ_E10value_typeET2_T3_PNS10_IS15_E10value_typeET4_jRbjT5_S1B_jjP12ihipStream_tbEUljE_EEESW_SX_SY_S15_S19_S1B_T6_T7_T9_mT8_S1D_bDpT10_ENKUlT_T0_E_clISt17integral_constantIbLb0EES1P_IbLb1EEEEDaS1L_S1M_EUlS1L_E_NS1_11comp_targetILNS1_3genE4ELNS1_11target_archE910ELNS1_3gpuE8ELNS1_3repE0EEENS1_30default_config_static_selectorELNS0_4arch9wavefront6targetE0EEEvSZ_ ; -- Begin function _ZN7rocprim17ROCPRIM_400000_NS6detail17trampoline_kernelINS0_13select_configILj256ELj13ELNS0_17block_load_methodE3ELS4_3ELS4_3ELNS0_20block_scan_algorithmE0ELj4294967295EEENS1_25partition_config_selectorILNS1_17partition_subalgoE3EjNS0_10empty_typeEbEEZZNS1_14partition_implILS8_3ELb0ES6_jNS0_17counting_iteratorIjlEEPS9_SE_NS0_5tupleIJPjSE_EEENSF_IJSE_SE_EEES9_SG_JZNS1_25segmented_radix_sort_implINS0_14default_configELb1EPK6__halfPSL_PKlPlN2at6native12_GLOBAL__N_18offset_tEEE10hipError_tPvRmT1_PNSt15iterator_traitsISZ_E10value_typeET2_T3_PNS10_IS15_E10value_typeET4_jRbjT5_S1B_jjP12ihipStream_tbEUljE_EEESW_SX_SY_S15_S19_S1B_T6_T7_T9_mT8_S1D_bDpT10_ENKUlT_T0_E_clISt17integral_constantIbLb0EES1P_IbLb1EEEEDaS1L_S1M_EUlS1L_E_NS1_11comp_targetILNS1_3genE4ELNS1_11target_archE910ELNS1_3gpuE8ELNS1_3repE0EEENS1_30default_config_static_selectorELNS0_4arch9wavefront6targetE0EEEvSZ_
	.p2align	8
	.type	_ZN7rocprim17ROCPRIM_400000_NS6detail17trampoline_kernelINS0_13select_configILj256ELj13ELNS0_17block_load_methodE3ELS4_3ELS4_3ELNS0_20block_scan_algorithmE0ELj4294967295EEENS1_25partition_config_selectorILNS1_17partition_subalgoE3EjNS0_10empty_typeEbEEZZNS1_14partition_implILS8_3ELb0ES6_jNS0_17counting_iteratorIjlEEPS9_SE_NS0_5tupleIJPjSE_EEENSF_IJSE_SE_EEES9_SG_JZNS1_25segmented_radix_sort_implINS0_14default_configELb1EPK6__halfPSL_PKlPlN2at6native12_GLOBAL__N_18offset_tEEE10hipError_tPvRmT1_PNSt15iterator_traitsISZ_E10value_typeET2_T3_PNS10_IS15_E10value_typeET4_jRbjT5_S1B_jjP12ihipStream_tbEUljE_EEESW_SX_SY_S15_S19_S1B_T6_T7_T9_mT8_S1D_bDpT10_ENKUlT_T0_E_clISt17integral_constantIbLb0EES1P_IbLb1EEEEDaS1L_S1M_EUlS1L_E_NS1_11comp_targetILNS1_3genE4ELNS1_11target_archE910ELNS1_3gpuE8ELNS1_3repE0EEENS1_30default_config_static_selectorELNS0_4arch9wavefront6targetE0EEEvSZ_,@function
_ZN7rocprim17ROCPRIM_400000_NS6detail17trampoline_kernelINS0_13select_configILj256ELj13ELNS0_17block_load_methodE3ELS4_3ELS4_3ELNS0_20block_scan_algorithmE0ELj4294967295EEENS1_25partition_config_selectorILNS1_17partition_subalgoE3EjNS0_10empty_typeEbEEZZNS1_14partition_implILS8_3ELb0ES6_jNS0_17counting_iteratorIjlEEPS9_SE_NS0_5tupleIJPjSE_EEENSF_IJSE_SE_EEES9_SG_JZNS1_25segmented_radix_sort_implINS0_14default_configELb1EPK6__halfPSL_PKlPlN2at6native12_GLOBAL__N_18offset_tEEE10hipError_tPvRmT1_PNSt15iterator_traitsISZ_E10value_typeET2_T3_PNS10_IS15_E10value_typeET4_jRbjT5_S1B_jjP12ihipStream_tbEUljE_EEESW_SX_SY_S15_S19_S1B_T6_T7_T9_mT8_S1D_bDpT10_ENKUlT_T0_E_clISt17integral_constantIbLb0EES1P_IbLb1EEEEDaS1L_S1M_EUlS1L_E_NS1_11comp_targetILNS1_3genE4ELNS1_11target_archE910ELNS1_3gpuE8ELNS1_3repE0EEENS1_30default_config_static_selectorELNS0_4arch9wavefront6targetE0EEEvSZ_: ; @_ZN7rocprim17ROCPRIM_400000_NS6detail17trampoline_kernelINS0_13select_configILj256ELj13ELNS0_17block_load_methodE3ELS4_3ELS4_3ELNS0_20block_scan_algorithmE0ELj4294967295EEENS1_25partition_config_selectorILNS1_17partition_subalgoE3EjNS0_10empty_typeEbEEZZNS1_14partition_implILS8_3ELb0ES6_jNS0_17counting_iteratorIjlEEPS9_SE_NS0_5tupleIJPjSE_EEENSF_IJSE_SE_EEES9_SG_JZNS1_25segmented_radix_sort_implINS0_14default_configELb1EPK6__halfPSL_PKlPlN2at6native12_GLOBAL__N_18offset_tEEE10hipError_tPvRmT1_PNSt15iterator_traitsISZ_E10value_typeET2_T3_PNS10_IS15_E10value_typeET4_jRbjT5_S1B_jjP12ihipStream_tbEUljE_EEESW_SX_SY_S15_S19_S1B_T6_T7_T9_mT8_S1D_bDpT10_ENKUlT_T0_E_clISt17integral_constantIbLb0EES1P_IbLb1EEEEDaS1L_S1M_EUlS1L_E_NS1_11comp_targetILNS1_3genE4ELNS1_11target_archE910ELNS1_3gpuE8ELNS1_3repE0EEENS1_30default_config_static_selectorELNS0_4arch9wavefront6targetE0EEEvSZ_
; %bb.0:
	.section	.rodata,"a",@progbits
	.p2align	6, 0x0
	.amdhsa_kernel _ZN7rocprim17ROCPRIM_400000_NS6detail17trampoline_kernelINS0_13select_configILj256ELj13ELNS0_17block_load_methodE3ELS4_3ELS4_3ELNS0_20block_scan_algorithmE0ELj4294967295EEENS1_25partition_config_selectorILNS1_17partition_subalgoE3EjNS0_10empty_typeEbEEZZNS1_14partition_implILS8_3ELb0ES6_jNS0_17counting_iteratorIjlEEPS9_SE_NS0_5tupleIJPjSE_EEENSF_IJSE_SE_EEES9_SG_JZNS1_25segmented_radix_sort_implINS0_14default_configELb1EPK6__halfPSL_PKlPlN2at6native12_GLOBAL__N_18offset_tEEE10hipError_tPvRmT1_PNSt15iterator_traitsISZ_E10value_typeET2_T3_PNS10_IS15_E10value_typeET4_jRbjT5_S1B_jjP12ihipStream_tbEUljE_EEESW_SX_SY_S15_S19_S1B_T6_T7_T9_mT8_S1D_bDpT10_ENKUlT_T0_E_clISt17integral_constantIbLb0EES1P_IbLb1EEEEDaS1L_S1M_EUlS1L_E_NS1_11comp_targetILNS1_3genE4ELNS1_11target_archE910ELNS1_3gpuE8ELNS1_3repE0EEENS1_30default_config_static_selectorELNS0_4arch9wavefront6targetE0EEEvSZ_
		.amdhsa_group_segment_fixed_size 0
		.amdhsa_private_segment_fixed_size 0
		.amdhsa_kernarg_size 152
		.amdhsa_user_sgpr_count 6
		.amdhsa_user_sgpr_private_segment_buffer 1
		.amdhsa_user_sgpr_dispatch_ptr 0
		.amdhsa_user_sgpr_queue_ptr 0
		.amdhsa_user_sgpr_kernarg_segment_ptr 1
		.amdhsa_user_sgpr_dispatch_id 0
		.amdhsa_user_sgpr_flat_scratch_init 0
		.amdhsa_user_sgpr_private_segment_size 0
		.amdhsa_wavefront_size32 1
		.amdhsa_uses_dynamic_stack 0
		.amdhsa_system_sgpr_private_segment_wavefront_offset 0
		.amdhsa_system_sgpr_workgroup_id_x 1
		.amdhsa_system_sgpr_workgroup_id_y 0
		.amdhsa_system_sgpr_workgroup_id_z 0
		.amdhsa_system_sgpr_workgroup_info 0
		.amdhsa_system_vgpr_workitem_id 0
		.amdhsa_next_free_vgpr 1
		.amdhsa_next_free_sgpr 1
		.amdhsa_reserve_vcc 0
		.amdhsa_reserve_flat_scratch 0
		.amdhsa_float_round_mode_32 0
		.amdhsa_float_round_mode_16_64 0
		.amdhsa_float_denorm_mode_32 3
		.amdhsa_float_denorm_mode_16_64 3
		.amdhsa_dx10_clamp 1
		.amdhsa_ieee_mode 1
		.amdhsa_fp16_overflow 0
		.amdhsa_workgroup_processor_mode 1
		.amdhsa_memory_ordered 1
		.amdhsa_forward_progress 1
		.amdhsa_shared_vgpr_count 0
		.amdhsa_exception_fp_ieee_invalid_op 0
		.amdhsa_exception_fp_denorm_src 0
		.amdhsa_exception_fp_ieee_div_zero 0
		.amdhsa_exception_fp_ieee_overflow 0
		.amdhsa_exception_fp_ieee_underflow 0
		.amdhsa_exception_fp_ieee_inexact 0
		.amdhsa_exception_int_div_zero 0
	.end_amdhsa_kernel
	.section	.text._ZN7rocprim17ROCPRIM_400000_NS6detail17trampoline_kernelINS0_13select_configILj256ELj13ELNS0_17block_load_methodE3ELS4_3ELS4_3ELNS0_20block_scan_algorithmE0ELj4294967295EEENS1_25partition_config_selectorILNS1_17partition_subalgoE3EjNS0_10empty_typeEbEEZZNS1_14partition_implILS8_3ELb0ES6_jNS0_17counting_iteratorIjlEEPS9_SE_NS0_5tupleIJPjSE_EEENSF_IJSE_SE_EEES9_SG_JZNS1_25segmented_radix_sort_implINS0_14default_configELb1EPK6__halfPSL_PKlPlN2at6native12_GLOBAL__N_18offset_tEEE10hipError_tPvRmT1_PNSt15iterator_traitsISZ_E10value_typeET2_T3_PNS10_IS15_E10value_typeET4_jRbjT5_S1B_jjP12ihipStream_tbEUljE_EEESW_SX_SY_S15_S19_S1B_T6_T7_T9_mT8_S1D_bDpT10_ENKUlT_T0_E_clISt17integral_constantIbLb0EES1P_IbLb1EEEEDaS1L_S1M_EUlS1L_E_NS1_11comp_targetILNS1_3genE4ELNS1_11target_archE910ELNS1_3gpuE8ELNS1_3repE0EEENS1_30default_config_static_selectorELNS0_4arch9wavefront6targetE0EEEvSZ_,"axG",@progbits,_ZN7rocprim17ROCPRIM_400000_NS6detail17trampoline_kernelINS0_13select_configILj256ELj13ELNS0_17block_load_methodE3ELS4_3ELS4_3ELNS0_20block_scan_algorithmE0ELj4294967295EEENS1_25partition_config_selectorILNS1_17partition_subalgoE3EjNS0_10empty_typeEbEEZZNS1_14partition_implILS8_3ELb0ES6_jNS0_17counting_iteratorIjlEEPS9_SE_NS0_5tupleIJPjSE_EEENSF_IJSE_SE_EEES9_SG_JZNS1_25segmented_radix_sort_implINS0_14default_configELb1EPK6__halfPSL_PKlPlN2at6native12_GLOBAL__N_18offset_tEEE10hipError_tPvRmT1_PNSt15iterator_traitsISZ_E10value_typeET2_T3_PNS10_IS15_E10value_typeET4_jRbjT5_S1B_jjP12ihipStream_tbEUljE_EEESW_SX_SY_S15_S19_S1B_T6_T7_T9_mT8_S1D_bDpT10_ENKUlT_T0_E_clISt17integral_constantIbLb0EES1P_IbLb1EEEEDaS1L_S1M_EUlS1L_E_NS1_11comp_targetILNS1_3genE4ELNS1_11target_archE910ELNS1_3gpuE8ELNS1_3repE0EEENS1_30default_config_static_selectorELNS0_4arch9wavefront6targetE0EEEvSZ_,comdat
.Lfunc_end1723:
	.size	_ZN7rocprim17ROCPRIM_400000_NS6detail17trampoline_kernelINS0_13select_configILj256ELj13ELNS0_17block_load_methodE3ELS4_3ELS4_3ELNS0_20block_scan_algorithmE0ELj4294967295EEENS1_25partition_config_selectorILNS1_17partition_subalgoE3EjNS0_10empty_typeEbEEZZNS1_14partition_implILS8_3ELb0ES6_jNS0_17counting_iteratorIjlEEPS9_SE_NS0_5tupleIJPjSE_EEENSF_IJSE_SE_EEES9_SG_JZNS1_25segmented_radix_sort_implINS0_14default_configELb1EPK6__halfPSL_PKlPlN2at6native12_GLOBAL__N_18offset_tEEE10hipError_tPvRmT1_PNSt15iterator_traitsISZ_E10value_typeET2_T3_PNS10_IS15_E10value_typeET4_jRbjT5_S1B_jjP12ihipStream_tbEUljE_EEESW_SX_SY_S15_S19_S1B_T6_T7_T9_mT8_S1D_bDpT10_ENKUlT_T0_E_clISt17integral_constantIbLb0EES1P_IbLb1EEEEDaS1L_S1M_EUlS1L_E_NS1_11comp_targetILNS1_3genE4ELNS1_11target_archE910ELNS1_3gpuE8ELNS1_3repE0EEENS1_30default_config_static_selectorELNS0_4arch9wavefront6targetE0EEEvSZ_, .Lfunc_end1723-_ZN7rocprim17ROCPRIM_400000_NS6detail17trampoline_kernelINS0_13select_configILj256ELj13ELNS0_17block_load_methodE3ELS4_3ELS4_3ELNS0_20block_scan_algorithmE0ELj4294967295EEENS1_25partition_config_selectorILNS1_17partition_subalgoE3EjNS0_10empty_typeEbEEZZNS1_14partition_implILS8_3ELb0ES6_jNS0_17counting_iteratorIjlEEPS9_SE_NS0_5tupleIJPjSE_EEENSF_IJSE_SE_EEES9_SG_JZNS1_25segmented_radix_sort_implINS0_14default_configELb1EPK6__halfPSL_PKlPlN2at6native12_GLOBAL__N_18offset_tEEE10hipError_tPvRmT1_PNSt15iterator_traitsISZ_E10value_typeET2_T3_PNS10_IS15_E10value_typeET4_jRbjT5_S1B_jjP12ihipStream_tbEUljE_EEESW_SX_SY_S15_S19_S1B_T6_T7_T9_mT8_S1D_bDpT10_ENKUlT_T0_E_clISt17integral_constantIbLb0EES1P_IbLb1EEEEDaS1L_S1M_EUlS1L_E_NS1_11comp_targetILNS1_3genE4ELNS1_11target_archE910ELNS1_3gpuE8ELNS1_3repE0EEENS1_30default_config_static_selectorELNS0_4arch9wavefront6targetE0EEEvSZ_
                                        ; -- End function
	.set _ZN7rocprim17ROCPRIM_400000_NS6detail17trampoline_kernelINS0_13select_configILj256ELj13ELNS0_17block_load_methodE3ELS4_3ELS4_3ELNS0_20block_scan_algorithmE0ELj4294967295EEENS1_25partition_config_selectorILNS1_17partition_subalgoE3EjNS0_10empty_typeEbEEZZNS1_14partition_implILS8_3ELb0ES6_jNS0_17counting_iteratorIjlEEPS9_SE_NS0_5tupleIJPjSE_EEENSF_IJSE_SE_EEES9_SG_JZNS1_25segmented_radix_sort_implINS0_14default_configELb1EPK6__halfPSL_PKlPlN2at6native12_GLOBAL__N_18offset_tEEE10hipError_tPvRmT1_PNSt15iterator_traitsISZ_E10value_typeET2_T3_PNS10_IS15_E10value_typeET4_jRbjT5_S1B_jjP12ihipStream_tbEUljE_EEESW_SX_SY_S15_S19_S1B_T6_T7_T9_mT8_S1D_bDpT10_ENKUlT_T0_E_clISt17integral_constantIbLb0EES1P_IbLb1EEEEDaS1L_S1M_EUlS1L_E_NS1_11comp_targetILNS1_3genE4ELNS1_11target_archE910ELNS1_3gpuE8ELNS1_3repE0EEENS1_30default_config_static_selectorELNS0_4arch9wavefront6targetE0EEEvSZ_.num_vgpr, 0
	.set _ZN7rocprim17ROCPRIM_400000_NS6detail17trampoline_kernelINS0_13select_configILj256ELj13ELNS0_17block_load_methodE3ELS4_3ELS4_3ELNS0_20block_scan_algorithmE0ELj4294967295EEENS1_25partition_config_selectorILNS1_17partition_subalgoE3EjNS0_10empty_typeEbEEZZNS1_14partition_implILS8_3ELb0ES6_jNS0_17counting_iteratorIjlEEPS9_SE_NS0_5tupleIJPjSE_EEENSF_IJSE_SE_EEES9_SG_JZNS1_25segmented_radix_sort_implINS0_14default_configELb1EPK6__halfPSL_PKlPlN2at6native12_GLOBAL__N_18offset_tEEE10hipError_tPvRmT1_PNSt15iterator_traitsISZ_E10value_typeET2_T3_PNS10_IS15_E10value_typeET4_jRbjT5_S1B_jjP12ihipStream_tbEUljE_EEESW_SX_SY_S15_S19_S1B_T6_T7_T9_mT8_S1D_bDpT10_ENKUlT_T0_E_clISt17integral_constantIbLb0EES1P_IbLb1EEEEDaS1L_S1M_EUlS1L_E_NS1_11comp_targetILNS1_3genE4ELNS1_11target_archE910ELNS1_3gpuE8ELNS1_3repE0EEENS1_30default_config_static_selectorELNS0_4arch9wavefront6targetE0EEEvSZ_.num_agpr, 0
	.set _ZN7rocprim17ROCPRIM_400000_NS6detail17trampoline_kernelINS0_13select_configILj256ELj13ELNS0_17block_load_methodE3ELS4_3ELS4_3ELNS0_20block_scan_algorithmE0ELj4294967295EEENS1_25partition_config_selectorILNS1_17partition_subalgoE3EjNS0_10empty_typeEbEEZZNS1_14partition_implILS8_3ELb0ES6_jNS0_17counting_iteratorIjlEEPS9_SE_NS0_5tupleIJPjSE_EEENSF_IJSE_SE_EEES9_SG_JZNS1_25segmented_radix_sort_implINS0_14default_configELb1EPK6__halfPSL_PKlPlN2at6native12_GLOBAL__N_18offset_tEEE10hipError_tPvRmT1_PNSt15iterator_traitsISZ_E10value_typeET2_T3_PNS10_IS15_E10value_typeET4_jRbjT5_S1B_jjP12ihipStream_tbEUljE_EEESW_SX_SY_S15_S19_S1B_T6_T7_T9_mT8_S1D_bDpT10_ENKUlT_T0_E_clISt17integral_constantIbLb0EES1P_IbLb1EEEEDaS1L_S1M_EUlS1L_E_NS1_11comp_targetILNS1_3genE4ELNS1_11target_archE910ELNS1_3gpuE8ELNS1_3repE0EEENS1_30default_config_static_selectorELNS0_4arch9wavefront6targetE0EEEvSZ_.numbered_sgpr, 0
	.set _ZN7rocprim17ROCPRIM_400000_NS6detail17trampoline_kernelINS0_13select_configILj256ELj13ELNS0_17block_load_methodE3ELS4_3ELS4_3ELNS0_20block_scan_algorithmE0ELj4294967295EEENS1_25partition_config_selectorILNS1_17partition_subalgoE3EjNS0_10empty_typeEbEEZZNS1_14partition_implILS8_3ELb0ES6_jNS0_17counting_iteratorIjlEEPS9_SE_NS0_5tupleIJPjSE_EEENSF_IJSE_SE_EEES9_SG_JZNS1_25segmented_radix_sort_implINS0_14default_configELb1EPK6__halfPSL_PKlPlN2at6native12_GLOBAL__N_18offset_tEEE10hipError_tPvRmT1_PNSt15iterator_traitsISZ_E10value_typeET2_T3_PNS10_IS15_E10value_typeET4_jRbjT5_S1B_jjP12ihipStream_tbEUljE_EEESW_SX_SY_S15_S19_S1B_T6_T7_T9_mT8_S1D_bDpT10_ENKUlT_T0_E_clISt17integral_constantIbLb0EES1P_IbLb1EEEEDaS1L_S1M_EUlS1L_E_NS1_11comp_targetILNS1_3genE4ELNS1_11target_archE910ELNS1_3gpuE8ELNS1_3repE0EEENS1_30default_config_static_selectorELNS0_4arch9wavefront6targetE0EEEvSZ_.num_named_barrier, 0
	.set _ZN7rocprim17ROCPRIM_400000_NS6detail17trampoline_kernelINS0_13select_configILj256ELj13ELNS0_17block_load_methodE3ELS4_3ELS4_3ELNS0_20block_scan_algorithmE0ELj4294967295EEENS1_25partition_config_selectorILNS1_17partition_subalgoE3EjNS0_10empty_typeEbEEZZNS1_14partition_implILS8_3ELb0ES6_jNS0_17counting_iteratorIjlEEPS9_SE_NS0_5tupleIJPjSE_EEENSF_IJSE_SE_EEES9_SG_JZNS1_25segmented_radix_sort_implINS0_14default_configELb1EPK6__halfPSL_PKlPlN2at6native12_GLOBAL__N_18offset_tEEE10hipError_tPvRmT1_PNSt15iterator_traitsISZ_E10value_typeET2_T3_PNS10_IS15_E10value_typeET4_jRbjT5_S1B_jjP12ihipStream_tbEUljE_EEESW_SX_SY_S15_S19_S1B_T6_T7_T9_mT8_S1D_bDpT10_ENKUlT_T0_E_clISt17integral_constantIbLb0EES1P_IbLb1EEEEDaS1L_S1M_EUlS1L_E_NS1_11comp_targetILNS1_3genE4ELNS1_11target_archE910ELNS1_3gpuE8ELNS1_3repE0EEENS1_30default_config_static_selectorELNS0_4arch9wavefront6targetE0EEEvSZ_.private_seg_size, 0
	.set _ZN7rocprim17ROCPRIM_400000_NS6detail17trampoline_kernelINS0_13select_configILj256ELj13ELNS0_17block_load_methodE3ELS4_3ELS4_3ELNS0_20block_scan_algorithmE0ELj4294967295EEENS1_25partition_config_selectorILNS1_17partition_subalgoE3EjNS0_10empty_typeEbEEZZNS1_14partition_implILS8_3ELb0ES6_jNS0_17counting_iteratorIjlEEPS9_SE_NS0_5tupleIJPjSE_EEENSF_IJSE_SE_EEES9_SG_JZNS1_25segmented_radix_sort_implINS0_14default_configELb1EPK6__halfPSL_PKlPlN2at6native12_GLOBAL__N_18offset_tEEE10hipError_tPvRmT1_PNSt15iterator_traitsISZ_E10value_typeET2_T3_PNS10_IS15_E10value_typeET4_jRbjT5_S1B_jjP12ihipStream_tbEUljE_EEESW_SX_SY_S15_S19_S1B_T6_T7_T9_mT8_S1D_bDpT10_ENKUlT_T0_E_clISt17integral_constantIbLb0EES1P_IbLb1EEEEDaS1L_S1M_EUlS1L_E_NS1_11comp_targetILNS1_3genE4ELNS1_11target_archE910ELNS1_3gpuE8ELNS1_3repE0EEENS1_30default_config_static_selectorELNS0_4arch9wavefront6targetE0EEEvSZ_.uses_vcc, 0
	.set _ZN7rocprim17ROCPRIM_400000_NS6detail17trampoline_kernelINS0_13select_configILj256ELj13ELNS0_17block_load_methodE3ELS4_3ELS4_3ELNS0_20block_scan_algorithmE0ELj4294967295EEENS1_25partition_config_selectorILNS1_17partition_subalgoE3EjNS0_10empty_typeEbEEZZNS1_14partition_implILS8_3ELb0ES6_jNS0_17counting_iteratorIjlEEPS9_SE_NS0_5tupleIJPjSE_EEENSF_IJSE_SE_EEES9_SG_JZNS1_25segmented_radix_sort_implINS0_14default_configELb1EPK6__halfPSL_PKlPlN2at6native12_GLOBAL__N_18offset_tEEE10hipError_tPvRmT1_PNSt15iterator_traitsISZ_E10value_typeET2_T3_PNS10_IS15_E10value_typeET4_jRbjT5_S1B_jjP12ihipStream_tbEUljE_EEESW_SX_SY_S15_S19_S1B_T6_T7_T9_mT8_S1D_bDpT10_ENKUlT_T0_E_clISt17integral_constantIbLb0EES1P_IbLb1EEEEDaS1L_S1M_EUlS1L_E_NS1_11comp_targetILNS1_3genE4ELNS1_11target_archE910ELNS1_3gpuE8ELNS1_3repE0EEENS1_30default_config_static_selectorELNS0_4arch9wavefront6targetE0EEEvSZ_.uses_flat_scratch, 0
	.set _ZN7rocprim17ROCPRIM_400000_NS6detail17trampoline_kernelINS0_13select_configILj256ELj13ELNS0_17block_load_methodE3ELS4_3ELS4_3ELNS0_20block_scan_algorithmE0ELj4294967295EEENS1_25partition_config_selectorILNS1_17partition_subalgoE3EjNS0_10empty_typeEbEEZZNS1_14partition_implILS8_3ELb0ES6_jNS0_17counting_iteratorIjlEEPS9_SE_NS0_5tupleIJPjSE_EEENSF_IJSE_SE_EEES9_SG_JZNS1_25segmented_radix_sort_implINS0_14default_configELb1EPK6__halfPSL_PKlPlN2at6native12_GLOBAL__N_18offset_tEEE10hipError_tPvRmT1_PNSt15iterator_traitsISZ_E10value_typeET2_T3_PNS10_IS15_E10value_typeET4_jRbjT5_S1B_jjP12ihipStream_tbEUljE_EEESW_SX_SY_S15_S19_S1B_T6_T7_T9_mT8_S1D_bDpT10_ENKUlT_T0_E_clISt17integral_constantIbLb0EES1P_IbLb1EEEEDaS1L_S1M_EUlS1L_E_NS1_11comp_targetILNS1_3genE4ELNS1_11target_archE910ELNS1_3gpuE8ELNS1_3repE0EEENS1_30default_config_static_selectorELNS0_4arch9wavefront6targetE0EEEvSZ_.has_dyn_sized_stack, 0
	.set _ZN7rocprim17ROCPRIM_400000_NS6detail17trampoline_kernelINS0_13select_configILj256ELj13ELNS0_17block_load_methodE3ELS4_3ELS4_3ELNS0_20block_scan_algorithmE0ELj4294967295EEENS1_25partition_config_selectorILNS1_17partition_subalgoE3EjNS0_10empty_typeEbEEZZNS1_14partition_implILS8_3ELb0ES6_jNS0_17counting_iteratorIjlEEPS9_SE_NS0_5tupleIJPjSE_EEENSF_IJSE_SE_EEES9_SG_JZNS1_25segmented_radix_sort_implINS0_14default_configELb1EPK6__halfPSL_PKlPlN2at6native12_GLOBAL__N_18offset_tEEE10hipError_tPvRmT1_PNSt15iterator_traitsISZ_E10value_typeET2_T3_PNS10_IS15_E10value_typeET4_jRbjT5_S1B_jjP12ihipStream_tbEUljE_EEESW_SX_SY_S15_S19_S1B_T6_T7_T9_mT8_S1D_bDpT10_ENKUlT_T0_E_clISt17integral_constantIbLb0EES1P_IbLb1EEEEDaS1L_S1M_EUlS1L_E_NS1_11comp_targetILNS1_3genE4ELNS1_11target_archE910ELNS1_3gpuE8ELNS1_3repE0EEENS1_30default_config_static_selectorELNS0_4arch9wavefront6targetE0EEEvSZ_.has_recursion, 0
	.set _ZN7rocprim17ROCPRIM_400000_NS6detail17trampoline_kernelINS0_13select_configILj256ELj13ELNS0_17block_load_methodE3ELS4_3ELS4_3ELNS0_20block_scan_algorithmE0ELj4294967295EEENS1_25partition_config_selectorILNS1_17partition_subalgoE3EjNS0_10empty_typeEbEEZZNS1_14partition_implILS8_3ELb0ES6_jNS0_17counting_iteratorIjlEEPS9_SE_NS0_5tupleIJPjSE_EEENSF_IJSE_SE_EEES9_SG_JZNS1_25segmented_radix_sort_implINS0_14default_configELb1EPK6__halfPSL_PKlPlN2at6native12_GLOBAL__N_18offset_tEEE10hipError_tPvRmT1_PNSt15iterator_traitsISZ_E10value_typeET2_T3_PNS10_IS15_E10value_typeET4_jRbjT5_S1B_jjP12ihipStream_tbEUljE_EEESW_SX_SY_S15_S19_S1B_T6_T7_T9_mT8_S1D_bDpT10_ENKUlT_T0_E_clISt17integral_constantIbLb0EES1P_IbLb1EEEEDaS1L_S1M_EUlS1L_E_NS1_11comp_targetILNS1_3genE4ELNS1_11target_archE910ELNS1_3gpuE8ELNS1_3repE0EEENS1_30default_config_static_selectorELNS0_4arch9wavefront6targetE0EEEvSZ_.has_indirect_call, 0
	.section	.AMDGPU.csdata,"",@progbits
; Kernel info:
; codeLenInByte = 0
; TotalNumSgprs: 0
; NumVgprs: 0
; ScratchSize: 0
; MemoryBound: 0
; FloatMode: 240
; IeeeMode: 1
; LDSByteSize: 0 bytes/workgroup (compile time only)
; SGPRBlocks: 0
; VGPRBlocks: 0
; NumSGPRsForWavesPerEU: 1
; NumVGPRsForWavesPerEU: 1
; Occupancy: 16
; WaveLimiterHint : 0
; COMPUTE_PGM_RSRC2:SCRATCH_EN: 0
; COMPUTE_PGM_RSRC2:USER_SGPR: 6
; COMPUTE_PGM_RSRC2:TRAP_HANDLER: 0
; COMPUTE_PGM_RSRC2:TGID_X_EN: 1
; COMPUTE_PGM_RSRC2:TGID_Y_EN: 0
; COMPUTE_PGM_RSRC2:TGID_Z_EN: 0
; COMPUTE_PGM_RSRC2:TIDIG_COMP_CNT: 0
	.section	.text._ZN7rocprim17ROCPRIM_400000_NS6detail17trampoline_kernelINS0_13select_configILj256ELj13ELNS0_17block_load_methodE3ELS4_3ELS4_3ELNS0_20block_scan_algorithmE0ELj4294967295EEENS1_25partition_config_selectorILNS1_17partition_subalgoE3EjNS0_10empty_typeEbEEZZNS1_14partition_implILS8_3ELb0ES6_jNS0_17counting_iteratorIjlEEPS9_SE_NS0_5tupleIJPjSE_EEENSF_IJSE_SE_EEES9_SG_JZNS1_25segmented_radix_sort_implINS0_14default_configELb1EPK6__halfPSL_PKlPlN2at6native12_GLOBAL__N_18offset_tEEE10hipError_tPvRmT1_PNSt15iterator_traitsISZ_E10value_typeET2_T3_PNS10_IS15_E10value_typeET4_jRbjT5_S1B_jjP12ihipStream_tbEUljE_EEESW_SX_SY_S15_S19_S1B_T6_T7_T9_mT8_S1D_bDpT10_ENKUlT_T0_E_clISt17integral_constantIbLb0EES1P_IbLb1EEEEDaS1L_S1M_EUlS1L_E_NS1_11comp_targetILNS1_3genE3ELNS1_11target_archE908ELNS1_3gpuE7ELNS1_3repE0EEENS1_30default_config_static_selectorELNS0_4arch9wavefront6targetE0EEEvSZ_,"axG",@progbits,_ZN7rocprim17ROCPRIM_400000_NS6detail17trampoline_kernelINS0_13select_configILj256ELj13ELNS0_17block_load_methodE3ELS4_3ELS4_3ELNS0_20block_scan_algorithmE0ELj4294967295EEENS1_25partition_config_selectorILNS1_17partition_subalgoE3EjNS0_10empty_typeEbEEZZNS1_14partition_implILS8_3ELb0ES6_jNS0_17counting_iteratorIjlEEPS9_SE_NS0_5tupleIJPjSE_EEENSF_IJSE_SE_EEES9_SG_JZNS1_25segmented_radix_sort_implINS0_14default_configELb1EPK6__halfPSL_PKlPlN2at6native12_GLOBAL__N_18offset_tEEE10hipError_tPvRmT1_PNSt15iterator_traitsISZ_E10value_typeET2_T3_PNS10_IS15_E10value_typeET4_jRbjT5_S1B_jjP12ihipStream_tbEUljE_EEESW_SX_SY_S15_S19_S1B_T6_T7_T9_mT8_S1D_bDpT10_ENKUlT_T0_E_clISt17integral_constantIbLb0EES1P_IbLb1EEEEDaS1L_S1M_EUlS1L_E_NS1_11comp_targetILNS1_3genE3ELNS1_11target_archE908ELNS1_3gpuE7ELNS1_3repE0EEENS1_30default_config_static_selectorELNS0_4arch9wavefront6targetE0EEEvSZ_,comdat
	.globl	_ZN7rocprim17ROCPRIM_400000_NS6detail17trampoline_kernelINS0_13select_configILj256ELj13ELNS0_17block_load_methodE3ELS4_3ELS4_3ELNS0_20block_scan_algorithmE0ELj4294967295EEENS1_25partition_config_selectorILNS1_17partition_subalgoE3EjNS0_10empty_typeEbEEZZNS1_14partition_implILS8_3ELb0ES6_jNS0_17counting_iteratorIjlEEPS9_SE_NS0_5tupleIJPjSE_EEENSF_IJSE_SE_EEES9_SG_JZNS1_25segmented_radix_sort_implINS0_14default_configELb1EPK6__halfPSL_PKlPlN2at6native12_GLOBAL__N_18offset_tEEE10hipError_tPvRmT1_PNSt15iterator_traitsISZ_E10value_typeET2_T3_PNS10_IS15_E10value_typeET4_jRbjT5_S1B_jjP12ihipStream_tbEUljE_EEESW_SX_SY_S15_S19_S1B_T6_T7_T9_mT8_S1D_bDpT10_ENKUlT_T0_E_clISt17integral_constantIbLb0EES1P_IbLb1EEEEDaS1L_S1M_EUlS1L_E_NS1_11comp_targetILNS1_3genE3ELNS1_11target_archE908ELNS1_3gpuE7ELNS1_3repE0EEENS1_30default_config_static_selectorELNS0_4arch9wavefront6targetE0EEEvSZ_ ; -- Begin function _ZN7rocprim17ROCPRIM_400000_NS6detail17trampoline_kernelINS0_13select_configILj256ELj13ELNS0_17block_load_methodE3ELS4_3ELS4_3ELNS0_20block_scan_algorithmE0ELj4294967295EEENS1_25partition_config_selectorILNS1_17partition_subalgoE3EjNS0_10empty_typeEbEEZZNS1_14partition_implILS8_3ELb0ES6_jNS0_17counting_iteratorIjlEEPS9_SE_NS0_5tupleIJPjSE_EEENSF_IJSE_SE_EEES9_SG_JZNS1_25segmented_radix_sort_implINS0_14default_configELb1EPK6__halfPSL_PKlPlN2at6native12_GLOBAL__N_18offset_tEEE10hipError_tPvRmT1_PNSt15iterator_traitsISZ_E10value_typeET2_T3_PNS10_IS15_E10value_typeET4_jRbjT5_S1B_jjP12ihipStream_tbEUljE_EEESW_SX_SY_S15_S19_S1B_T6_T7_T9_mT8_S1D_bDpT10_ENKUlT_T0_E_clISt17integral_constantIbLb0EES1P_IbLb1EEEEDaS1L_S1M_EUlS1L_E_NS1_11comp_targetILNS1_3genE3ELNS1_11target_archE908ELNS1_3gpuE7ELNS1_3repE0EEENS1_30default_config_static_selectorELNS0_4arch9wavefront6targetE0EEEvSZ_
	.p2align	8
	.type	_ZN7rocprim17ROCPRIM_400000_NS6detail17trampoline_kernelINS0_13select_configILj256ELj13ELNS0_17block_load_methodE3ELS4_3ELS4_3ELNS0_20block_scan_algorithmE0ELj4294967295EEENS1_25partition_config_selectorILNS1_17partition_subalgoE3EjNS0_10empty_typeEbEEZZNS1_14partition_implILS8_3ELb0ES6_jNS0_17counting_iteratorIjlEEPS9_SE_NS0_5tupleIJPjSE_EEENSF_IJSE_SE_EEES9_SG_JZNS1_25segmented_radix_sort_implINS0_14default_configELb1EPK6__halfPSL_PKlPlN2at6native12_GLOBAL__N_18offset_tEEE10hipError_tPvRmT1_PNSt15iterator_traitsISZ_E10value_typeET2_T3_PNS10_IS15_E10value_typeET4_jRbjT5_S1B_jjP12ihipStream_tbEUljE_EEESW_SX_SY_S15_S19_S1B_T6_T7_T9_mT8_S1D_bDpT10_ENKUlT_T0_E_clISt17integral_constantIbLb0EES1P_IbLb1EEEEDaS1L_S1M_EUlS1L_E_NS1_11comp_targetILNS1_3genE3ELNS1_11target_archE908ELNS1_3gpuE7ELNS1_3repE0EEENS1_30default_config_static_selectorELNS0_4arch9wavefront6targetE0EEEvSZ_,@function
_ZN7rocprim17ROCPRIM_400000_NS6detail17trampoline_kernelINS0_13select_configILj256ELj13ELNS0_17block_load_methodE3ELS4_3ELS4_3ELNS0_20block_scan_algorithmE0ELj4294967295EEENS1_25partition_config_selectorILNS1_17partition_subalgoE3EjNS0_10empty_typeEbEEZZNS1_14partition_implILS8_3ELb0ES6_jNS0_17counting_iteratorIjlEEPS9_SE_NS0_5tupleIJPjSE_EEENSF_IJSE_SE_EEES9_SG_JZNS1_25segmented_radix_sort_implINS0_14default_configELb1EPK6__halfPSL_PKlPlN2at6native12_GLOBAL__N_18offset_tEEE10hipError_tPvRmT1_PNSt15iterator_traitsISZ_E10value_typeET2_T3_PNS10_IS15_E10value_typeET4_jRbjT5_S1B_jjP12ihipStream_tbEUljE_EEESW_SX_SY_S15_S19_S1B_T6_T7_T9_mT8_S1D_bDpT10_ENKUlT_T0_E_clISt17integral_constantIbLb0EES1P_IbLb1EEEEDaS1L_S1M_EUlS1L_E_NS1_11comp_targetILNS1_3genE3ELNS1_11target_archE908ELNS1_3gpuE7ELNS1_3repE0EEENS1_30default_config_static_selectorELNS0_4arch9wavefront6targetE0EEEvSZ_: ; @_ZN7rocprim17ROCPRIM_400000_NS6detail17trampoline_kernelINS0_13select_configILj256ELj13ELNS0_17block_load_methodE3ELS4_3ELS4_3ELNS0_20block_scan_algorithmE0ELj4294967295EEENS1_25partition_config_selectorILNS1_17partition_subalgoE3EjNS0_10empty_typeEbEEZZNS1_14partition_implILS8_3ELb0ES6_jNS0_17counting_iteratorIjlEEPS9_SE_NS0_5tupleIJPjSE_EEENSF_IJSE_SE_EEES9_SG_JZNS1_25segmented_radix_sort_implINS0_14default_configELb1EPK6__halfPSL_PKlPlN2at6native12_GLOBAL__N_18offset_tEEE10hipError_tPvRmT1_PNSt15iterator_traitsISZ_E10value_typeET2_T3_PNS10_IS15_E10value_typeET4_jRbjT5_S1B_jjP12ihipStream_tbEUljE_EEESW_SX_SY_S15_S19_S1B_T6_T7_T9_mT8_S1D_bDpT10_ENKUlT_T0_E_clISt17integral_constantIbLb0EES1P_IbLb1EEEEDaS1L_S1M_EUlS1L_E_NS1_11comp_targetILNS1_3genE3ELNS1_11target_archE908ELNS1_3gpuE7ELNS1_3repE0EEENS1_30default_config_static_selectorELNS0_4arch9wavefront6targetE0EEEvSZ_
; %bb.0:
	.section	.rodata,"a",@progbits
	.p2align	6, 0x0
	.amdhsa_kernel _ZN7rocprim17ROCPRIM_400000_NS6detail17trampoline_kernelINS0_13select_configILj256ELj13ELNS0_17block_load_methodE3ELS4_3ELS4_3ELNS0_20block_scan_algorithmE0ELj4294967295EEENS1_25partition_config_selectorILNS1_17partition_subalgoE3EjNS0_10empty_typeEbEEZZNS1_14partition_implILS8_3ELb0ES6_jNS0_17counting_iteratorIjlEEPS9_SE_NS0_5tupleIJPjSE_EEENSF_IJSE_SE_EEES9_SG_JZNS1_25segmented_radix_sort_implINS0_14default_configELb1EPK6__halfPSL_PKlPlN2at6native12_GLOBAL__N_18offset_tEEE10hipError_tPvRmT1_PNSt15iterator_traitsISZ_E10value_typeET2_T3_PNS10_IS15_E10value_typeET4_jRbjT5_S1B_jjP12ihipStream_tbEUljE_EEESW_SX_SY_S15_S19_S1B_T6_T7_T9_mT8_S1D_bDpT10_ENKUlT_T0_E_clISt17integral_constantIbLb0EES1P_IbLb1EEEEDaS1L_S1M_EUlS1L_E_NS1_11comp_targetILNS1_3genE3ELNS1_11target_archE908ELNS1_3gpuE7ELNS1_3repE0EEENS1_30default_config_static_selectorELNS0_4arch9wavefront6targetE0EEEvSZ_
		.amdhsa_group_segment_fixed_size 0
		.amdhsa_private_segment_fixed_size 0
		.amdhsa_kernarg_size 152
		.amdhsa_user_sgpr_count 6
		.amdhsa_user_sgpr_private_segment_buffer 1
		.amdhsa_user_sgpr_dispatch_ptr 0
		.amdhsa_user_sgpr_queue_ptr 0
		.amdhsa_user_sgpr_kernarg_segment_ptr 1
		.amdhsa_user_sgpr_dispatch_id 0
		.amdhsa_user_sgpr_flat_scratch_init 0
		.amdhsa_user_sgpr_private_segment_size 0
		.amdhsa_wavefront_size32 1
		.amdhsa_uses_dynamic_stack 0
		.amdhsa_system_sgpr_private_segment_wavefront_offset 0
		.amdhsa_system_sgpr_workgroup_id_x 1
		.amdhsa_system_sgpr_workgroup_id_y 0
		.amdhsa_system_sgpr_workgroup_id_z 0
		.amdhsa_system_sgpr_workgroup_info 0
		.amdhsa_system_vgpr_workitem_id 0
		.amdhsa_next_free_vgpr 1
		.amdhsa_next_free_sgpr 1
		.amdhsa_reserve_vcc 0
		.amdhsa_reserve_flat_scratch 0
		.amdhsa_float_round_mode_32 0
		.amdhsa_float_round_mode_16_64 0
		.amdhsa_float_denorm_mode_32 3
		.amdhsa_float_denorm_mode_16_64 3
		.amdhsa_dx10_clamp 1
		.amdhsa_ieee_mode 1
		.amdhsa_fp16_overflow 0
		.amdhsa_workgroup_processor_mode 1
		.amdhsa_memory_ordered 1
		.amdhsa_forward_progress 1
		.amdhsa_shared_vgpr_count 0
		.amdhsa_exception_fp_ieee_invalid_op 0
		.amdhsa_exception_fp_denorm_src 0
		.amdhsa_exception_fp_ieee_div_zero 0
		.amdhsa_exception_fp_ieee_overflow 0
		.amdhsa_exception_fp_ieee_underflow 0
		.amdhsa_exception_fp_ieee_inexact 0
		.amdhsa_exception_int_div_zero 0
	.end_amdhsa_kernel
	.section	.text._ZN7rocprim17ROCPRIM_400000_NS6detail17trampoline_kernelINS0_13select_configILj256ELj13ELNS0_17block_load_methodE3ELS4_3ELS4_3ELNS0_20block_scan_algorithmE0ELj4294967295EEENS1_25partition_config_selectorILNS1_17partition_subalgoE3EjNS0_10empty_typeEbEEZZNS1_14partition_implILS8_3ELb0ES6_jNS0_17counting_iteratorIjlEEPS9_SE_NS0_5tupleIJPjSE_EEENSF_IJSE_SE_EEES9_SG_JZNS1_25segmented_radix_sort_implINS0_14default_configELb1EPK6__halfPSL_PKlPlN2at6native12_GLOBAL__N_18offset_tEEE10hipError_tPvRmT1_PNSt15iterator_traitsISZ_E10value_typeET2_T3_PNS10_IS15_E10value_typeET4_jRbjT5_S1B_jjP12ihipStream_tbEUljE_EEESW_SX_SY_S15_S19_S1B_T6_T7_T9_mT8_S1D_bDpT10_ENKUlT_T0_E_clISt17integral_constantIbLb0EES1P_IbLb1EEEEDaS1L_S1M_EUlS1L_E_NS1_11comp_targetILNS1_3genE3ELNS1_11target_archE908ELNS1_3gpuE7ELNS1_3repE0EEENS1_30default_config_static_selectorELNS0_4arch9wavefront6targetE0EEEvSZ_,"axG",@progbits,_ZN7rocprim17ROCPRIM_400000_NS6detail17trampoline_kernelINS0_13select_configILj256ELj13ELNS0_17block_load_methodE3ELS4_3ELS4_3ELNS0_20block_scan_algorithmE0ELj4294967295EEENS1_25partition_config_selectorILNS1_17partition_subalgoE3EjNS0_10empty_typeEbEEZZNS1_14partition_implILS8_3ELb0ES6_jNS0_17counting_iteratorIjlEEPS9_SE_NS0_5tupleIJPjSE_EEENSF_IJSE_SE_EEES9_SG_JZNS1_25segmented_radix_sort_implINS0_14default_configELb1EPK6__halfPSL_PKlPlN2at6native12_GLOBAL__N_18offset_tEEE10hipError_tPvRmT1_PNSt15iterator_traitsISZ_E10value_typeET2_T3_PNS10_IS15_E10value_typeET4_jRbjT5_S1B_jjP12ihipStream_tbEUljE_EEESW_SX_SY_S15_S19_S1B_T6_T7_T9_mT8_S1D_bDpT10_ENKUlT_T0_E_clISt17integral_constantIbLb0EES1P_IbLb1EEEEDaS1L_S1M_EUlS1L_E_NS1_11comp_targetILNS1_3genE3ELNS1_11target_archE908ELNS1_3gpuE7ELNS1_3repE0EEENS1_30default_config_static_selectorELNS0_4arch9wavefront6targetE0EEEvSZ_,comdat
.Lfunc_end1724:
	.size	_ZN7rocprim17ROCPRIM_400000_NS6detail17trampoline_kernelINS0_13select_configILj256ELj13ELNS0_17block_load_methodE3ELS4_3ELS4_3ELNS0_20block_scan_algorithmE0ELj4294967295EEENS1_25partition_config_selectorILNS1_17partition_subalgoE3EjNS0_10empty_typeEbEEZZNS1_14partition_implILS8_3ELb0ES6_jNS0_17counting_iteratorIjlEEPS9_SE_NS0_5tupleIJPjSE_EEENSF_IJSE_SE_EEES9_SG_JZNS1_25segmented_radix_sort_implINS0_14default_configELb1EPK6__halfPSL_PKlPlN2at6native12_GLOBAL__N_18offset_tEEE10hipError_tPvRmT1_PNSt15iterator_traitsISZ_E10value_typeET2_T3_PNS10_IS15_E10value_typeET4_jRbjT5_S1B_jjP12ihipStream_tbEUljE_EEESW_SX_SY_S15_S19_S1B_T6_T7_T9_mT8_S1D_bDpT10_ENKUlT_T0_E_clISt17integral_constantIbLb0EES1P_IbLb1EEEEDaS1L_S1M_EUlS1L_E_NS1_11comp_targetILNS1_3genE3ELNS1_11target_archE908ELNS1_3gpuE7ELNS1_3repE0EEENS1_30default_config_static_selectorELNS0_4arch9wavefront6targetE0EEEvSZ_, .Lfunc_end1724-_ZN7rocprim17ROCPRIM_400000_NS6detail17trampoline_kernelINS0_13select_configILj256ELj13ELNS0_17block_load_methodE3ELS4_3ELS4_3ELNS0_20block_scan_algorithmE0ELj4294967295EEENS1_25partition_config_selectorILNS1_17partition_subalgoE3EjNS0_10empty_typeEbEEZZNS1_14partition_implILS8_3ELb0ES6_jNS0_17counting_iteratorIjlEEPS9_SE_NS0_5tupleIJPjSE_EEENSF_IJSE_SE_EEES9_SG_JZNS1_25segmented_radix_sort_implINS0_14default_configELb1EPK6__halfPSL_PKlPlN2at6native12_GLOBAL__N_18offset_tEEE10hipError_tPvRmT1_PNSt15iterator_traitsISZ_E10value_typeET2_T3_PNS10_IS15_E10value_typeET4_jRbjT5_S1B_jjP12ihipStream_tbEUljE_EEESW_SX_SY_S15_S19_S1B_T6_T7_T9_mT8_S1D_bDpT10_ENKUlT_T0_E_clISt17integral_constantIbLb0EES1P_IbLb1EEEEDaS1L_S1M_EUlS1L_E_NS1_11comp_targetILNS1_3genE3ELNS1_11target_archE908ELNS1_3gpuE7ELNS1_3repE0EEENS1_30default_config_static_selectorELNS0_4arch9wavefront6targetE0EEEvSZ_
                                        ; -- End function
	.set _ZN7rocprim17ROCPRIM_400000_NS6detail17trampoline_kernelINS0_13select_configILj256ELj13ELNS0_17block_load_methodE3ELS4_3ELS4_3ELNS0_20block_scan_algorithmE0ELj4294967295EEENS1_25partition_config_selectorILNS1_17partition_subalgoE3EjNS0_10empty_typeEbEEZZNS1_14partition_implILS8_3ELb0ES6_jNS0_17counting_iteratorIjlEEPS9_SE_NS0_5tupleIJPjSE_EEENSF_IJSE_SE_EEES9_SG_JZNS1_25segmented_radix_sort_implINS0_14default_configELb1EPK6__halfPSL_PKlPlN2at6native12_GLOBAL__N_18offset_tEEE10hipError_tPvRmT1_PNSt15iterator_traitsISZ_E10value_typeET2_T3_PNS10_IS15_E10value_typeET4_jRbjT5_S1B_jjP12ihipStream_tbEUljE_EEESW_SX_SY_S15_S19_S1B_T6_T7_T9_mT8_S1D_bDpT10_ENKUlT_T0_E_clISt17integral_constantIbLb0EES1P_IbLb1EEEEDaS1L_S1M_EUlS1L_E_NS1_11comp_targetILNS1_3genE3ELNS1_11target_archE908ELNS1_3gpuE7ELNS1_3repE0EEENS1_30default_config_static_selectorELNS0_4arch9wavefront6targetE0EEEvSZ_.num_vgpr, 0
	.set _ZN7rocprim17ROCPRIM_400000_NS6detail17trampoline_kernelINS0_13select_configILj256ELj13ELNS0_17block_load_methodE3ELS4_3ELS4_3ELNS0_20block_scan_algorithmE0ELj4294967295EEENS1_25partition_config_selectorILNS1_17partition_subalgoE3EjNS0_10empty_typeEbEEZZNS1_14partition_implILS8_3ELb0ES6_jNS0_17counting_iteratorIjlEEPS9_SE_NS0_5tupleIJPjSE_EEENSF_IJSE_SE_EEES9_SG_JZNS1_25segmented_radix_sort_implINS0_14default_configELb1EPK6__halfPSL_PKlPlN2at6native12_GLOBAL__N_18offset_tEEE10hipError_tPvRmT1_PNSt15iterator_traitsISZ_E10value_typeET2_T3_PNS10_IS15_E10value_typeET4_jRbjT5_S1B_jjP12ihipStream_tbEUljE_EEESW_SX_SY_S15_S19_S1B_T6_T7_T9_mT8_S1D_bDpT10_ENKUlT_T0_E_clISt17integral_constantIbLb0EES1P_IbLb1EEEEDaS1L_S1M_EUlS1L_E_NS1_11comp_targetILNS1_3genE3ELNS1_11target_archE908ELNS1_3gpuE7ELNS1_3repE0EEENS1_30default_config_static_selectorELNS0_4arch9wavefront6targetE0EEEvSZ_.num_agpr, 0
	.set _ZN7rocprim17ROCPRIM_400000_NS6detail17trampoline_kernelINS0_13select_configILj256ELj13ELNS0_17block_load_methodE3ELS4_3ELS4_3ELNS0_20block_scan_algorithmE0ELj4294967295EEENS1_25partition_config_selectorILNS1_17partition_subalgoE3EjNS0_10empty_typeEbEEZZNS1_14partition_implILS8_3ELb0ES6_jNS0_17counting_iteratorIjlEEPS9_SE_NS0_5tupleIJPjSE_EEENSF_IJSE_SE_EEES9_SG_JZNS1_25segmented_radix_sort_implINS0_14default_configELb1EPK6__halfPSL_PKlPlN2at6native12_GLOBAL__N_18offset_tEEE10hipError_tPvRmT1_PNSt15iterator_traitsISZ_E10value_typeET2_T3_PNS10_IS15_E10value_typeET4_jRbjT5_S1B_jjP12ihipStream_tbEUljE_EEESW_SX_SY_S15_S19_S1B_T6_T7_T9_mT8_S1D_bDpT10_ENKUlT_T0_E_clISt17integral_constantIbLb0EES1P_IbLb1EEEEDaS1L_S1M_EUlS1L_E_NS1_11comp_targetILNS1_3genE3ELNS1_11target_archE908ELNS1_3gpuE7ELNS1_3repE0EEENS1_30default_config_static_selectorELNS0_4arch9wavefront6targetE0EEEvSZ_.numbered_sgpr, 0
	.set _ZN7rocprim17ROCPRIM_400000_NS6detail17trampoline_kernelINS0_13select_configILj256ELj13ELNS0_17block_load_methodE3ELS4_3ELS4_3ELNS0_20block_scan_algorithmE0ELj4294967295EEENS1_25partition_config_selectorILNS1_17partition_subalgoE3EjNS0_10empty_typeEbEEZZNS1_14partition_implILS8_3ELb0ES6_jNS0_17counting_iteratorIjlEEPS9_SE_NS0_5tupleIJPjSE_EEENSF_IJSE_SE_EEES9_SG_JZNS1_25segmented_radix_sort_implINS0_14default_configELb1EPK6__halfPSL_PKlPlN2at6native12_GLOBAL__N_18offset_tEEE10hipError_tPvRmT1_PNSt15iterator_traitsISZ_E10value_typeET2_T3_PNS10_IS15_E10value_typeET4_jRbjT5_S1B_jjP12ihipStream_tbEUljE_EEESW_SX_SY_S15_S19_S1B_T6_T7_T9_mT8_S1D_bDpT10_ENKUlT_T0_E_clISt17integral_constantIbLb0EES1P_IbLb1EEEEDaS1L_S1M_EUlS1L_E_NS1_11comp_targetILNS1_3genE3ELNS1_11target_archE908ELNS1_3gpuE7ELNS1_3repE0EEENS1_30default_config_static_selectorELNS0_4arch9wavefront6targetE0EEEvSZ_.num_named_barrier, 0
	.set _ZN7rocprim17ROCPRIM_400000_NS6detail17trampoline_kernelINS0_13select_configILj256ELj13ELNS0_17block_load_methodE3ELS4_3ELS4_3ELNS0_20block_scan_algorithmE0ELj4294967295EEENS1_25partition_config_selectorILNS1_17partition_subalgoE3EjNS0_10empty_typeEbEEZZNS1_14partition_implILS8_3ELb0ES6_jNS0_17counting_iteratorIjlEEPS9_SE_NS0_5tupleIJPjSE_EEENSF_IJSE_SE_EEES9_SG_JZNS1_25segmented_radix_sort_implINS0_14default_configELb1EPK6__halfPSL_PKlPlN2at6native12_GLOBAL__N_18offset_tEEE10hipError_tPvRmT1_PNSt15iterator_traitsISZ_E10value_typeET2_T3_PNS10_IS15_E10value_typeET4_jRbjT5_S1B_jjP12ihipStream_tbEUljE_EEESW_SX_SY_S15_S19_S1B_T6_T7_T9_mT8_S1D_bDpT10_ENKUlT_T0_E_clISt17integral_constantIbLb0EES1P_IbLb1EEEEDaS1L_S1M_EUlS1L_E_NS1_11comp_targetILNS1_3genE3ELNS1_11target_archE908ELNS1_3gpuE7ELNS1_3repE0EEENS1_30default_config_static_selectorELNS0_4arch9wavefront6targetE0EEEvSZ_.private_seg_size, 0
	.set _ZN7rocprim17ROCPRIM_400000_NS6detail17trampoline_kernelINS0_13select_configILj256ELj13ELNS0_17block_load_methodE3ELS4_3ELS4_3ELNS0_20block_scan_algorithmE0ELj4294967295EEENS1_25partition_config_selectorILNS1_17partition_subalgoE3EjNS0_10empty_typeEbEEZZNS1_14partition_implILS8_3ELb0ES6_jNS0_17counting_iteratorIjlEEPS9_SE_NS0_5tupleIJPjSE_EEENSF_IJSE_SE_EEES9_SG_JZNS1_25segmented_radix_sort_implINS0_14default_configELb1EPK6__halfPSL_PKlPlN2at6native12_GLOBAL__N_18offset_tEEE10hipError_tPvRmT1_PNSt15iterator_traitsISZ_E10value_typeET2_T3_PNS10_IS15_E10value_typeET4_jRbjT5_S1B_jjP12ihipStream_tbEUljE_EEESW_SX_SY_S15_S19_S1B_T6_T7_T9_mT8_S1D_bDpT10_ENKUlT_T0_E_clISt17integral_constantIbLb0EES1P_IbLb1EEEEDaS1L_S1M_EUlS1L_E_NS1_11comp_targetILNS1_3genE3ELNS1_11target_archE908ELNS1_3gpuE7ELNS1_3repE0EEENS1_30default_config_static_selectorELNS0_4arch9wavefront6targetE0EEEvSZ_.uses_vcc, 0
	.set _ZN7rocprim17ROCPRIM_400000_NS6detail17trampoline_kernelINS0_13select_configILj256ELj13ELNS0_17block_load_methodE3ELS4_3ELS4_3ELNS0_20block_scan_algorithmE0ELj4294967295EEENS1_25partition_config_selectorILNS1_17partition_subalgoE3EjNS0_10empty_typeEbEEZZNS1_14partition_implILS8_3ELb0ES6_jNS0_17counting_iteratorIjlEEPS9_SE_NS0_5tupleIJPjSE_EEENSF_IJSE_SE_EEES9_SG_JZNS1_25segmented_radix_sort_implINS0_14default_configELb1EPK6__halfPSL_PKlPlN2at6native12_GLOBAL__N_18offset_tEEE10hipError_tPvRmT1_PNSt15iterator_traitsISZ_E10value_typeET2_T3_PNS10_IS15_E10value_typeET4_jRbjT5_S1B_jjP12ihipStream_tbEUljE_EEESW_SX_SY_S15_S19_S1B_T6_T7_T9_mT8_S1D_bDpT10_ENKUlT_T0_E_clISt17integral_constantIbLb0EES1P_IbLb1EEEEDaS1L_S1M_EUlS1L_E_NS1_11comp_targetILNS1_3genE3ELNS1_11target_archE908ELNS1_3gpuE7ELNS1_3repE0EEENS1_30default_config_static_selectorELNS0_4arch9wavefront6targetE0EEEvSZ_.uses_flat_scratch, 0
	.set _ZN7rocprim17ROCPRIM_400000_NS6detail17trampoline_kernelINS0_13select_configILj256ELj13ELNS0_17block_load_methodE3ELS4_3ELS4_3ELNS0_20block_scan_algorithmE0ELj4294967295EEENS1_25partition_config_selectorILNS1_17partition_subalgoE3EjNS0_10empty_typeEbEEZZNS1_14partition_implILS8_3ELb0ES6_jNS0_17counting_iteratorIjlEEPS9_SE_NS0_5tupleIJPjSE_EEENSF_IJSE_SE_EEES9_SG_JZNS1_25segmented_radix_sort_implINS0_14default_configELb1EPK6__halfPSL_PKlPlN2at6native12_GLOBAL__N_18offset_tEEE10hipError_tPvRmT1_PNSt15iterator_traitsISZ_E10value_typeET2_T3_PNS10_IS15_E10value_typeET4_jRbjT5_S1B_jjP12ihipStream_tbEUljE_EEESW_SX_SY_S15_S19_S1B_T6_T7_T9_mT8_S1D_bDpT10_ENKUlT_T0_E_clISt17integral_constantIbLb0EES1P_IbLb1EEEEDaS1L_S1M_EUlS1L_E_NS1_11comp_targetILNS1_3genE3ELNS1_11target_archE908ELNS1_3gpuE7ELNS1_3repE0EEENS1_30default_config_static_selectorELNS0_4arch9wavefront6targetE0EEEvSZ_.has_dyn_sized_stack, 0
	.set _ZN7rocprim17ROCPRIM_400000_NS6detail17trampoline_kernelINS0_13select_configILj256ELj13ELNS0_17block_load_methodE3ELS4_3ELS4_3ELNS0_20block_scan_algorithmE0ELj4294967295EEENS1_25partition_config_selectorILNS1_17partition_subalgoE3EjNS0_10empty_typeEbEEZZNS1_14partition_implILS8_3ELb0ES6_jNS0_17counting_iteratorIjlEEPS9_SE_NS0_5tupleIJPjSE_EEENSF_IJSE_SE_EEES9_SG_JZNS1_25segmented_radix_sort_implINS0_14default_configELb1EPK6__halfPSL_PKlPlN2at6native12_GLOBAL__N_18offset_tEEE10hipError_tPvRmT1_PNSt15iterator_traitsISZ_E10value_typeET2_T3_PNS10_IS15_E10value_typeET4_jRbjT5_S1B_jjP12ihipStream_tbEUljE_EEESW_SX_SY_S15_S19_S1B_T6_T7_T9_mT8_S1D_bDpT10_ENKUlT_T0_E_clISt17integral_constantIbLb0EES1P_IbLb1EEEEDaS1L_S1M_EUlS1L_E_NS1_11comp_targetILNS1_3genE3ELNS1_11target_archE908ELNS1_3gpuE7ELNS1_3repE0EEENS1_30default_config_static_selectorELNS0_4arch9wavefront6targetE0EEEvSZ_.has_recursion, 0
	.set _ZN7rocprim17ROCPRIM_400000_NS6detail17trampoline_kernelINS0_13select_configILj256ELj13ELNS0_17block_load_methodE3ELS4_3ELS4_3ELNS0_20block_scan_algorithmE0ELj4294967295EEENS1_25partition_config_selectorILNS1_17partition_subalgoE3EjNS0_10empty_typeEbEEZZNS1_14partition_implILS8_3ELb0ES6_jNS0_17counting_iteratorIjlEEPS9_SE_NS0_5tupleIJPjSE_EEENSF_IJSE_SE_EEES9_SG_JZNS1_25segmented_radix_sort_implINS0_14default_configELb1EPK6__halfPSL_PKlPlN2at6native12_GLOBAL__N_18offset_tEEE10hipError_tPvRmT1_PNSt15iterator_traitsISZ_E10value_typeET2_T3_PNS10_IS15_E10value_typeET4_jRbjT5_S1B_jjP12ihipStream_tbEUljE_EEESW_SX_SY_S15_S19_S1B_T6_T7_T9_mT8_S1D_bDpT10_ENKUlT_T0_E_clISt17integral_constantIbLb0EES1P_IbLb1EEEEDaS1L_S1M_EUlS1L_E_NS1_11comp_targetILNS1_3genE3ELNS1_11target_archE908ELNS1_3gpuE7ELNS1_3repE0EEENS1_30default_config_static_selectorELNS0_4arch9wavefront6targetE0EEEvSZ_.has_indirect_call, 0
	.section	.AMDGPU.csdata,"",@progbits
; Kernel info:
; codeLenInByte = 0
; TotalNumSgprs: 0
; NumVgprs: 0
; ScratchSize: 0
; MemoryBound: 0
; FloatMode: 240
; IeeeMode: 1
; LDSByteSize: 0 bytes/workgroup (compile time only)
; SGPRBlocks: 0
; VGPRBlocks: 0
; NumSGPRsForWavesPerEU: 1
; NumVGPRsForWavesPerEU: 1
; Occupancy: 16
; WaveLimiterHint : 0
; COMPUTE_PGM_RSRC2:SCRATCH_EN: 0
; COMPUTE_PGM_RSRC2:USER_SGPR: 6
; COMPUTE_PGM_RSRC2:TRAP_HANDLER: 0
; COMPUTE_PGM_RSRC2:TGID_X_EN: 1
; COMPUTE_PGM_RSRC2:TGID_Y_EN: 0
; COMPUTE_PGM_RSRC2:TGID_Z_EN: 0
; COMPUTE_PGM_RSRC2:TIDIG_COMP_CNT: 0
	.section	.text._ZN7rocprim17ROCPRIM_400000_NS6detail17trampoline_kernelINS0_13select_configILj256ELj13ELNS0_17block_load_methodE3ELS4_3ELS4_3ELNS0_20block_scan_algorithmE0ELj4294967295EEENS1_25partition_config_selectorILNS1_17partition_subalgoE3EjNS0_10empty_typeEbEEZZNS1_14partition_implILS8_3ELb0ES6_jNS0_17counting_iteratorIjlEEPS9_SE_NS0_5tupleIJPjSE_EEENSF_IJSE_SE_EEES9_SG_JZNS1_25segmented_radix_sort_implINS0_14default_configELb1EPK6__halfPSL_PKlPlN2at6native12_GLOBAL__N_18offset_tEEE10hipError_tPvRmT1_PNSt15iterator_traitsISZ_E10value_typeET2_T3_PNS10_IS15_E10value_typeET4_jRbjT5_S1B_jjP12ihipStream_tbEUljE_EEESW_SX_SY_S15_S19_S1B_T6_T7_T9_mT8_S1D_bDpT10_ENKUlT_T0_E_clISt17integral_constantIbLb0EES1P_IbLb1EEEEDaS1L_S1M_EUlS1L_E_NS1_11comp_targetILNS1_3genE2ELNS1_11target_archE906ELNS1_3gpuE6ELNS1_3repE0EEENS1_30default_config_static_selectorELNS0_4arch9wavefront6targetE0EEEvSZ_,"axG",@progbits,_ZN7rocprim17ROCPRIM_400000_NS6detail17trampoline_kernelINS0_13select_configILj256ELj13ELNS0_17block_load_methodE3ELS4_3ELS4_3ELNS0_20block_scan_algorithmE0ELj4294967295EEENS1_25partition_config_selectorILNS1_17partition_subalgoE3EjNS0_10empty_typeEbEEZZNS1_14partition_implILS8_3ELb0ES6_jNS0_17counting_iteratorIjlEEPS9_SE_NS0_5tupleIJPjSE_EEENSF_IJSE_SE_EEES9_SG_JZNS1_25segmented_radix_sort_implINS0_14default_configELb1EPK6__halfPSL_PKlPlN2at6native12_GLOBAL__N_18offset_tEEE10hipError_tPvRmT1_PNSt15iterator_traitsISZ_E10value_typeET2_T3_PNS10_IS15_E10value_typeET4_jRbjT5_S1B_jjP12ihipStream_tbEUljE_EEESW_SX_SY_S15_S19_S1B_T6_T7_T9_mT8_S1D_bDpT10_ENKUlT_T0_E_clISt17integral_constantIbLb0EES1P_IbLb1EEEEDaS1L_S1M_EUlS1L_E_NS1_11comp_targetILNS1_3genE2ELNS1_11target_archE906ELNS1_3gpuE6ELNS1_3repE0EEENS1_30default_config_static_selectorELNS0_4arch9wavefront6targetE0EEEvSZ_,comdat
	.globl	_ZN7rocprim17ROCPRIM_400000_NS6detail17trampoline_kernelINS0_13select_configILj256ELj13ELNS0_17block_load_methodE3ELS4_3ELS4_3ELNS0_20block_scan_algorithmE0ELj4294967295EEENS1_25partition_config_selectorILNS1_17partition_subalgoE3EjNS0_10empty_typeEbEEZZNS1_14partition_implILS8_3ELb0ES6_jNS0_17counting_iteratorIjlEEPS9_SE_NS0_5tupleIJPjSE_EEENSF_IJSE_SE_EEES9_SG_JZNS1_25segmented_radix_sort_implINS0_14default_configELb1EPK6__halfPSL_PKlPlN2at6native12_GLOBAL__N_18offset_tEEE10hipError_tPvRmT1_PNSt15iterator_traitsISZ_E10value_typeET2_T3_PNS10_IS15_E10value_typeET4_jRbjT5_S1B_jjP12ihipStream_tbEUljE_EEESW_SX_SY_S15_S19_S1B_T6_T7_T9_mT8_S1D_bDpT10_ENKUlT_T0_E_clISt17integral_constantIbLb0EES1P_IbLb1EEEEDaS1L_S1M_EUlS1L_E_NS1_11comp_targetILNS1_3genE2ELNS1_11target_archE906ELNS1_3gpuE6ELNS1_3repE0EEENS1_30default_config_static_selectorELNS0_4arch9wavefront6targetE0EEEvSZ_ ; -- Begin function _ZN7rocprim17ROCPRIM_400000_NS6detail17trampoline_kernelINS0_13select_configILj256ELj13ELNS0_17block_load_methodE3ELS4_3ELS4_3ELNS0_20block_scan_algorithmE0ELj4294967295EEENS1_25partition_config_selectorILNS1_17partition_subalgoE3EjNS0_10empty_typeEbEEZZNS1_14partition_implILS8_3ELb0ES6_jNS0_17counting_iteratorIjlEEPS9_SE_NS0_5tupleIJPjSE_EEENSF_IJSE_SE_EEES9_SG_JZNS1_25segmented_radix_sort_implINS0_14default_configELb1EPK6__halfPSL_PKlPlN2at6native12_GLOBAL__N_18offset_tEEE10hipError_tPvRmT1_PNSt15iterator_traitsISZ_E10value_typeET2_T3_PNS10_IS15_E10value_typeET4_jRbjT5_S1B_jjP12ihipStream_tbEUljE_EEESW_SX_SY_S15_S19_S1B_T6_T7_T9_mT8_S1D_bDpT10_ENKUlT_T0_E_clISt17integral_constantIbLb0EES1P_IbLb1EEEEDaS1L_S1M_EUlS1L_E_NS1_11comp_targetILNS1_3genE2ELNS1_11target_archE906ELNS1_3gpuE6ELNS1_3repE0EEENS1_30default_config_static_selectorELNS0_4arch9wavefront6targetE0EEEvSZ_
	.p2align	8
	.type	_ZN7rocprim17ROCPRIM_400000_NS6detail17trampoline_kernelINS0_13select_configILj256ELj13ELNS0_17block_load_methodE3ELS4_3ELS4_3ELNS0_20block_scan_algorithmE0ELj4294967295EEENS1_25partition_config_selectorILNS1_17partition_subalgoE3EjNS0_10empty_typeEbEEZZNS1_14partition_implILS8_3ELb0ES6_jNS0_17counting_iteratorIjlEEPS9_SE_NS0_5tupleIJPjSE_EEENSF_IJSE_SE_EEES9_SG_JZNS1_25segmented_radix_sort_implINS0_14default_configELb1EPK6__halfPSL_PKlPlN2at6native12_GLOBAL__N_18offset_tEEE10hipError_tPvRmT1_PNSt15iterator_traitsISZ_E10value_typeET2_T3_PNS10_IS15_E10value_typeET4_jRbjT5_S1B_jjP12ihipStream_tbEUljE_EEESW_SX_SY_S15_S19_S1B_T6_T7_T9_mT8_S1D_bDpT10_ENKUlT_T0_E_clISt17integral_constantIbLb0EES1P_IbLb1EEEEDaS1L_S1M_EUlS1L_E_NS1_11comp_targetILNS1_3genE2ELNS1_11target_archE906ELNS1_3gpuE6ELNS1_3repE0EEENS1_30default_config_static_selectorELNS0_4arch9wavefront6targetE0EEEvSZ_,@function
_ZN7rocprim17ROCPRIM_400000_NS6detail17trampoline_kernelINS0_13select_configILj256ELj13ELNS0_17block_load_methodE3ELS4_3ELS4_3ELNS0_20block_scan_algorithmE0ELj4294967295EEENS1_25partition_config_selectorILNS1_17partition_subalgoE3EjNS0_10empty_typeEbEEZZNS1_14partition_implILS8_3ELb0ES6_jNS0_17counting_iteratorIjlEEPS9_SE_NS0_5tupleIJPjSE_EEENSF_IJSE_SE_EEES9_SG_JZNS1_25segmented_radix_sort_implINS0_14default_configELb1EPK6__halfPSL_PKlPlN2at6native12_GLOBAL__N_18offset_tEEE10hipError_tPvRmT1_PNSt15iterator_traitsISZ_E10value_typeET2_T3_PNS10_IS15_E10value_typeET4_jRbjT5_S1B_jjP12ihipStream_tbEUljE_EEESW_SX_SY_S15_S19_S1B_T6_T7_T9_mT8_S1D_bDpT10_ENKUlT_T0_E_clISt17integral_constantIbLb0EES1P_IbLb1EEEEDaS1L_S1M_EUlS1L_E_NS1_11comp_targetILNS1_3genE2ELNS1_11target_archE906ELNS1_3gpuE6ELNS1_3repE0EEENS1_30default_config_static_selectorELNS0_4arch9wavefront6targetE0EEEvSZ_: ; @_ZN7rocprim17ROCPRIM_400000_NS6detail17trampoline_kernelINS0_13select_configILj256ELj13ELNS0_17block_load_methodE3ELS4_3ELS4_3ELNS0_20block_scan_algorithmE0ELj4294967295EEENS1_25partition_config_selectorILNS1_17partition_subalgoE3EjNS0_10empty_typeEbEEZZNS1_14partition_implILS8_3ELb0ES6_jNS0_17counting_iteratorIjlEEPS9_SE_NS0_5tupleIJPjSE_EEENSF_IJSE_SE_EEES9_SG_JZNS1_25segmented_radix_sort_implINS0_14default_configELb1EPK6__halfPSL_PKlPlN2at6native12_GLOBAL__N_18offset_tEEE10hipError_tPvRmT1_PNSt15iterator_traitsISZ_E10value_typeET2_T3_PNS10_IS15_E10value_typeET4_jRbjT5_S1B_jjP12ihipStream_tbEUljE_EEESW_SX_SY_S15_S19_S1B_T6_T7_T9_mT8_S1D_bDpT10_ENKUlT_T0_E_clISt17integral_constantIbLb0EES1P_IbLb1EEEEDaS1L_S1M_EUlS1L_E_NS1_11comp_targetILNS1_3genE2ELNS1_11target_archE906ELNS1_3gpuE6ELNS1_3repE0EEENS1_30default_config_static_selectorELNS0_4arch9wavefront6targetE0EEEvSZ_
; %bb.0:
	.section	.rodata,"a",@progbits
	.p2align	6, 0x0
	.amdhsa_kernel _ZN7rocprim17ROCPRIM_400000_NS6detail17trampoline_kernelINS0_13select_configILj256ELj13ELNS0_17block_load_methodE3ELS4_3ELS4_3ELNS0_20block_scan_algorithmE0ELj4294967295EEENS1_25partition_config_selectorILNS1_17partition_subalgoE3EjNS0_10empty_typeEbEEZZNS1_14partition_implILS8_3ELb0ES6_jNS0_17counting_iteratorIjlEEPS9_SE_NS0_5tupleIJPjSE_EEENSF_IJSE_SE_EEES9_SG_JZNS1_25segmented_radix_sort_implINS0_14default_configELb1EPK6__halfPSL_PKlPlN2at6native12_GLOBAL__N_18offset_tEEE10hipError_tPvRmT1_PNSt15iterator_traitsISZ_E10value_typeET2_T3_PNS10_IS15_E10value_typeET4_jRbjT5_S1B_jjP12ihipStream_tbEUljE_EEESW_SX_SY_S15_S19_S1B_T6_T7_T9_mT8_S1D_bDpT10_ENKUlT_T0_E_clISt17integral_constantIbLb0EES1P_IbLb1EEEEDaS1L_S1M_EUlS1L_E_NS1_11comp_targetILNS1_3genE2ELNS1_11target_archE906ELNS1_3gpuE6ELNS1_3repE0EEENS1_30default_config_static_selectorELNS0_4arch9wavefront6targetE0EEEvSZ_
		.amdhsa_group_segment_fixed_size 0
		.amdhsa_private_segment_fixed_size 0
		.amdhsa_kernarg_size 152
		.amdhsa_user_sgpr_count 6
		.amdhsa_user_sgpr_private_segment_buffer 1
		.amdhsa_user_sgpr_dispatch_ptr 0
		.amdhsa_user_sgpr_queue_ptr 0
		.amdhsa_user_sgpr_kernarg_segment_ptr 1
		.amdhsa_user_sgpr_dispatch_id 0
		.amdhsa_user_sgpr_flat_scratch_init 0
		.amdhsa_user_sgpr_private_segment_size 0
		.amdhsa_wavefront_size32 1
		.amdhsa_uses_dynamic_stack 0
		.amdhsa_system_sgpr_private_segment_wavefront_offset 0
		.amdhsa_system_sgpr_workgroup_id_x 1
		.amdhsa_system_sgpr_workgroup_id_y 0
		.amdhsa_system_sgpr_workgroup_id_z 0
		.amdhsa_system_sgpr_workgroup_info 0
		.amdhsa_system_vgpr_workitem_id 0
		.amdhsa_next_free_vgpr 1
		.amdhsa_next_free_sgpr 1
		.amdhsa_reserve_vcc 0
		.amdhsa_reserve_flat_scratch 0
		.amdhsa_float_round_mode_32 0
		.amdhsa_float_round_mode_16_64 0
		.amdhsa_float_denorm_mode_32 3
		.amdhsa_float_denorm_mode_16_64 3
		.amdhsa_dx10_clamp 1
		.amdhsa_ieee_mode 1
		.amdhsa_fp16_overflow 0
		.amdhsa_workgroup_processor_mode 1
		.amdhsa_memory_ordered 1
		.amdhsa_forward_progress 1
		.amdhsa_shared_vgpr_count 0
		.amdhsa_exception_fp_ieee_invalid_op 0
		.amdhsa_exception_fp_denorm_src 0
		.amdhsa_exception_fp_ieee_div_zero 0
		.amdhsa_exception_fp_ieee_overflow 0
		.amdhsa_exception_fp_ieee_underflow 0
		.amdhsa_exception_fp_ieee_inexact 0
		.amdhsa_exception_int_div_zero 0
	.end_amdhsa_kernel
	.section	.text._ZN7rocprim17ROCPRIM_400000_NS6detail17trampoline_kernelINS0_13select_configILj256ELj13ELNS0_17block_load_methodE3ELS4_3ELS4_3ELNS0_20block_scan_algorithmE0ELj4294967295EEENS1_25partition_config_selectorILNS1_17partition_subalgoE3EjNS0_10empty_typeEbEEZZNS1_14partition_implILS8_3ELb0ES6_jNS0_17counting_iteratorIjlEEPS9_SE_NS0_5tupleIJPjSE_EEENSF_IJSE_SE_EEES9_SG_JZNS1_25segmented_radix_sort_implINS0_14default_configELb1EPK6__halfPSL_PKlPlN2at6native12_GLOBAL__N_18offset_tEEE10hipError_tPvRmT1_PNSt15iterator_traitsISZ_E10value_typeET2_T3_PNS10_IS15_E10value_typeET4_jRbjT5_S1B_jjP12ihipStream_tbEUljE_EEESW_SX_SY_S15_S19_S1B_T6_T7_T9_mT8_S1D_bDpT10_ENKUlT_T0_E_clISt17integral_constantIbLb0EES1P_IbLb1EEEEDaS1L_S1M_EUlS1L_E_NS1_11comp_targetILNS1_3genE2ELNS1_11target_archE906ELNS1_3gpuE6ELNS1_3repE0EEENS1_30default_config_static_selectorELNS0_4arch9wavefront6targetE0EEEvSZ_,"axG",@progbits,_ZN7rocprim17ROCPRIM_400000_NS6detail17trampoline_kernelINS0_13select_configILj256ELj13ELNS0_17block_load_methodE3ELS4_3ELS4_3ELNS0_20block_scan_algorithmE0ELj4294967295EEENS1_25partition_config_selectorILNS1_17partition_subalgoE3EjNS0_10empty_typeEbEEZZNS1_14partition_implILS8_3ELb0ES6_jNS0_17counting_iteratorIjlEEPS9_SE_NS0_5tupleIJPjSE_EEENSF_IJSE_SE_EEES9_SG_JZNS1_25segmented_radix_sort_implINS0_14default_configELb1EPK6__halfPSL_PKlPlN2at6native12_GLOBAL__N_18offset_tEEE10hipError_tPvRmT1_PNSt15iterator_traitsISZ_E10value_typeET2_T3_PNS10_IS15_E10value_typeET4_jRbjT5_S1B_jjP12ihipStream_tbEUljE_EEESW_SX_SY_S15_S19_S1B_T6_T7_T9_mT8_S1D_bDpT10_ENKUlT_T0_E_clISt17integral_constantIbLb0EES1P_IbLb1EEEEDaS1L_S1M_EUlS1L_E_NS1_11comp_targetILNS1_3genE2ELNS1_11target_archE906ELNS1_3gpuE6ELNS1_3repE0EEENS1_30default_config_static_selectorELNS0_4arch9wavefront6targetE0EEEvSZ_,comdat
.Lfunc_end1725:
	.size	_ZN7rocprim17ROCPRIM_400000_NS6detail17trampoline_kernelINS0_13select_configILj256ELj13ELNS0_17block_load_methodE3ELS4_3ELS4_3ELNS0_20block_scan_algorithmE0ELj4294967295EEENS1_25partition_config_selectorILNS1_17partition_subalgoE3EjNS0_10empty_typeEbEEZZNS1_14partition_implILS8_3ELb0ES6_jNS0_17counting_iteratorIjlEEPS9_SE_NS0_5tupleIJPjSE_EEENSF_IJSE_SE_EEES9_SG_JZNS1_25segmented_radix_sort_implINS0_14default_configELb1EPK6__halfPSL_PKlPlN2at6native12_GLOBAL__N_18offset_tEEE10hipError_tPvRmT1_PNSt15iterator_traitsISZ_E10value_typeET2_T3_PNS10_IS15_E10value_typeET4_jRbjT5_S1B_jjP12ihipStream_tbEUljE_EEESW_SX_SY_S15_S19_S1B_T6_T7_T9_mT8_S1D_bDpT10_ENKUlT_T0_E_clISt17integral_constantIbLb0EES1P_IbLb1EEEEDaS1L_S1M_EUlS1L_E_NS1_11comp_targetILNS1_3genE2ELNS1_11target_archE906ELNS1_3gpuE6ELNS1_3repE0EEENS1_30default_config_static_selectorELNS0_4arch9wavefront6targetE0EEEvSZ_, .Lfunc_end1725-_ZN7rocprim17ROCPRIM_400000_NS6detail17trampoline_kernelINS0_13select_configILj256ELj13ELNS0_17block_load_methodE3ELS4_3ELS4_3ELNS0_20block_scan_algorithmE0ELj4294967295EEENS1_25partition_config_selectorILNS1_17partition_subalgoE3EjNS0_10empty_typeEbEEZZNS1_14partition_implILS8_3ELb0ES6_jNS0_17counting_iteratorIjlEEPS9_SE_NS0_5tupleIJPjSE_EEENSF_IJSE_SE_EEES9_SG_JZNS1_25segmented_radix_sort_implINS0_14default_configELb1EPK6__halfPSL_PKlPlN2at6native12_GLOBAL__N_18offset_tEEE10hipError_tPvRmT1_PNSt15iterator_traitsISZ_E10value_typeET2_T3_PNS10_IS15_E10value_typeET4_jRbjT5_S1B_jjP12ihipStream_tbEUljE_EEESW_SX_SY_S15_S19_S1B_T6_T7_T9_mT8_S1D_bDpT10_ENKUlT_T0_E_clISt17integral_constantIbLb0EES1P_IbLb1EEEEDaS1L_S1M_EUlS1L_E_NS1_11comp_targetILNS1_3genE2ELNS1_11target_archE906ELNS1_3gpuE6ELNS1_3repE0EEENS1_30default_config_static_selectorELNS0_4arch9wavefront6targetE0EEEvSZ_
                                        ; -- End function
	.set _ZN7rocprim17ROCPRIM_400000_NS6detail17trampoline_kernelINS0_13select_configILj256ELj13ELNS0_17block_load_methodE3ELS4_3ELS4_3ELNS0_20block_scan_algorithmE0ELj4294967295EEENS1_25partition_config_selectorILNS1_17partition_subalgoE3EjNS0_10empty_typeEbEEZZNS1_14partition_implILS8_3ELb0ES6_jNS0_17counting_iteratorIjlEEPS9_SE_NS0_5tupleIJPjSE_EEENSF_IJSE_SE_EEES9_SG_JZNS1_25segmented_radix_sort_implINS0_14default_configELb1EPK6__halfPSL_PKlPlN2at6native12_GLOBAL__N_18offset_tEEE10hipError_tPvRmT1_PNSt15iterator_traitsISZ_E10value_typeET2_T3_PNS10_IS15_E10value_typeET4_jRbjT5_S1B_jjP12ihipStream_tbEUljE_EEESW_SX_SY_S15_S19_S1B_T6_T7_T9_mT8_S1D_bDpT10_ENKUlT_T0_E_clISt17integral_constantIbLb0EES1P_IbLb1EEEEDaS1L_S1M_EUlS1L_E_NS1_11comp_targetILNS1_3genE2ELNS1_11target_archE906ELNS1_3gpuE6ELNS1_3repE0EEENS1_30default_config_static_selectorELNS0_4arch9wavefront6targetE0EEEvSZ_.num_vgpr, 0
	.set _ZN7rocprim17ROCPRIM_400000_NS6detail17trampoline_kernelINS0_13select_configILj256ELj13ELNS0_17block_load_methodE3ELS4_3ELS4_3ELNS0_20block_scan_algorithmE0ELj4294967295EEENS1_25partition_config_selectorILNS1_17partition_subalgoE3EjNS0_10empty_typeEbEEZZNS1_14partition_implILS8_3ELb0ES6_jNS0_17counting_iteratorIjlEEPS9_SE_NS0_5tupleIJPjSE_EEENSF_IJSE_SE_EEES9_SG_JZNS1_25segmented_radix_sort_implINS0_14default_configELb1EPK6__halfPSL_PKlPlN2at6native12_GLOBAL__N_18offset_tEEE10hipError_tPvRmT1_PNSt15iterator_traitsISZ_E10value_typeET2_T3_PNS10_IS15_E10value_typeET4_jRbjT5_S1B_jjP12ihipStream_tbEUljE_EEESW_SX_SY_S15_S19_S1B_T6_T7_T9_mT8_S1D_bDpT10_ENKUlT_T0_E_clISt17integral_constantIbLb0EES1P_IbLb1EEEEDaS1L_S1M_EUlS1L_E_NS1_11comp_targetILNS1_3genE2ELNS1_11target_archE906ELNS1_3gpuE6ELNS1_3repE0EEENS1_30default_config_static_selectorELNS0_4arch9wavefront6targetE0EEEvSZ_.num_agpr, 0
	.set _ZN7rocprim17ROCPRIM_400000_NS6detail17trampoline_kernelINS0_13select_configILj256ELj13ELNS0_17block_load_methodE3ELS4_3ELS4_3ELNS0_20block_scan_algorithmE0ELj4294967295EEENS1_25partition_config_selectorILNS1_17partition_subalgoE3EjNS0_10empty_typeEbEEZZNS1_14partition_implILS8_3ELb0ES6_jNS0_17counting_iteratorIjlEEPS9_SE_NS0_5tupleIJPjSE_EEENSF_IJSE_SE_EEES9_SG_JZNS1_25segmented_radix_sort_implINS0_14default_configELb1EPK6__halfPSL_PKlPlN2at6native12_GLOBAL__N_18offset_tEEE10hipError_tPvRmT1_PNSt15iterator_traitsISZ_E10value_typeET2_T3_PNS10_IS15_E10value_typeET4_jRbjT5_S1B_jjP12ihipStream_tbEUljE_EEESW_SX_SY_S15_S19_S1B_T6_T7_T9_mT8_S1D_bDpT10_ENKUlT_T0_E_clISt17integral_constantIbLb0EES1P_IbLb1EEEEDaS1L_S1M_EUlS1L_E_NS1_11comp_targetILNS1_3genE2ELNS1_11target_archE906ELNS1_3gpuE6ELNS1_3repE0EEENS1_30default_config_static_selectorELNS0_4arch9wavefront6targetE0EEEvSZ_.numbered_sgpr, 0
	.set _ZN7rocprim17ROCPRIM_400000_NS6detail17trampoline_kernelINS0_13select_configILj256ELj13ELNS0_17block_load_methodE3ELS4_3ELS4_3ELNS0_20block_scan_algorithmE0ELj4294967295EEENS1_25partition_config_selectorILNS1_17partition_subalgoE3EjNS0_10empty_typeEbEEZZNS1_14partition_implILS8_3ELb0ES6_jNS0_17counting_iteratorIjlEEPS9_SE_NS0_5tupleIJPjSE_EEENSF_IJSE_SE_EEES9_SG_JZNS1_25segmented_radix_sort_implINS0_14default_configELb1EPK6__halfPSL_PKlPlN2at6native12_GLOBAL__N_18offset_tEEE10hipError_tPvRmT1_PNSt15iterator_traitsISZ_E10value_typeET2_T3_PNS10_IS15_E10value_typeET4_jRbjT5_S1B_jjP12ihipStream_tbEUljE_EEESW_SX_SY_S15_S19_S1B_T6_T7_T9_mT8_S1D_bDpT10_ENKUlT_T0_E_clISt17integral_constantIbLb0EES1P_IbLb1EEEEDaS1L_S1M_EUlS1L_E_NS1_11comp_targetILNS1_3genE2ELNS1_11target_archE906ELNS1_3gpuE6ELNS1_3repE0EEENS1_30default_config_static_selectorELNS0_4arch9wavefront6targetE0EEEvSZ_.num_named_barrier, 0
	.set _ZN7rocprim17ROCPRIM_400000_NS6detail17trampoline_kernelINS0_13select_configILj256ELj13ELNS0_17block_load_methodE3ELS4_3ELS4_3ELNS0_20block_scan_algorithmE0ELj4294967295EEENS1_25partition_config_selectorILNS1_17partition_subalgoE3EjNS0_10empty_typeEbEEZZNS1_14partition_implILS8_3ELb0ES6_jNS0_17counting_iteratorIjlEEPS9_SE_NS0_5tupleIJPjSE_EEENSF_IJSE_SE_EEES9_SG_JZNS1_25segmented_radix_sort_implINS0_14default_configELb1EPK6__halfPSL_PKlPlN2at6native12_GLOBAL__N_18offset_tEEE10hipError_tPvRmT1_PNSt15iterator_traitsISZ_E10value_typeET2_T3_PNS10_IS15_E10value_typeET4_jRbjT5_S1B_jjP12ihipStream_tbEUljE_EEESW_SX_SY_S15_S19_S1B_T6_T7_T9_mT8_S1D_bDpT10_ENKUlT_T0_E_clISt17integral_constantIbLb0EES1P_IbLb1EEEEDaS1L_S1M_EUlS1L_E_NS1_11comp_targetILNS1_3genE2ELNS1_11target_archE906ELNS1_3gpuE6ELNS1_3repE0EEENS1_30default_config_static_selectorELNS0_4arch9wavefront6targetE0EEEvSZ_.private_seg_size, 0
	.set _ZN7rocprim17ROCPRIM_400000_NS6detail17trampoline_kernelINS0_13select_configILj256ELj13ELNS0_17block_load_methodE3ELS4_3ELS4_3ELNS0_20block_scan_algorithmE0ELj4294967295EEENS1_25partition_config_selectorILNS1_17partition_subalgoE3EjNS0_10empty_typeEbEEZZNS1_14partition_implILS8_3ELb0ES6_jNS0_17counting_iteratorIjlEEPS9_SE_NS0_5tupleIJPjSE_EEENSF_IJSE_SE_EEES9_SG_JZNS1_25segmented_radix_sort_implINS0_14default_configELb1EPK6__halfPSL_PKlPlN2at6native12_GLOBAL__N_18offset_tEEE10hipError_tPvRmT1_PNSt15iterator_traitsISZ_E10value_typeET2_T3_PNS10_IS15_E10value_typeET4_jRbjT5_S1B_jjP12ihipStream_tbEUljE_EEESW_SX_SY_S15_S19_S1B_T6_T7_T9_mT8_S1D_bDpT10_ENKUlT_T0_E_clISt17integral_constantIbLb0EES1P_IbLb1EEEEDaS1L_S1M_EUlS1L_E_NS1_11comp_targetILNS1_3genE2ELNS1_11target_archE906ELNS1_3gpuE6ELNS1_3repE0EEENS1_30default_config_static_selectorELNS0_4arch9wavefront6targetE0EEEvSZ_.uses_vcc, 0
	.set _ZN7rocprim17ROCPRIM_400000_NS6detail17trampoline_kernelINS0_13select_configILj256ELj13ELNS0_17block_load_methodE3ELS4_3ELS4_3ELNS0_20block_scan_algorithmE0ELj4294967295EEENS1_25partition_config_selectorILNS1_17partition_subalgoE3EjNS0_10empty_typeEbEEZZNS1_14partition_implILS8_3ELb0ES6_jNS0_17counting_iteratorIjlEEPS9_SE_NS0_5tupleIJPjSE_EEENSF_IJSE_SE_EEES9_SG_JZNS1_25segmented_radix_sort_implINS0_14default_configELb1EPK6__halfPSL_PKlPlN2at6native12_GLOBAL__N_18offset_tEEE10hipError_tPvRmT1_PNSt15iterator_traitsISZ_E10value_typeET2_T3_PNS10_IS15_E10value_typeET4_jRbjT5_S1B_jjP12ihipStream_tbEUljE_EEESW_SX_SY_S15_S19_S1B_T6_T7_T9_mT8_S1D_bDpT10_ENKUlT_T0_E_clISt17integral_constantIbLb0EES1P_IbLb1EEEEDaS1L_S1M_EUlS1L_E_NS1_11comp_targetILNS1_3genE2ELNS1_11target_archE906ELNS1_3gpuE6ELNS1_3repE0EEENS1_30default_config_static_selectorELNS0_4arch9wavefront6targetE0EEEvSZ_.uses_flat_scratch, 0
	.set _ZN7rocprim17ROCPRIM_400000_NS6detail17trampoline_kernelINS0_13select_configILj256ELj13ELNS0_17block_load_methodE3ELS4_3ELS4_3ELNS0_20block_scan_algorithmE0ELj4294967295EEENS1_25partition_config_selectorILNS1_17partition_subalgoE3EjNS0_10empty_typeEbEEZZNS1_14partition_implILS8_3ELb0ES6_jNS0_17counting_iteratorIjlEEPS9_SE_NS0_5tupleIJPjSE_EEENSF_IJSE_SE_EEES9_SG_JZNS1_25segmented_radix_sort_implINS0_14default_configELb1EPK6__halfPSL_PKlPlN2at6native12_GLOBAL__N_18offset_tEEE10hipError_tPvRmT1_PNSt15iterator_traitsISZ_E10value_typeET2_T3_PNS10_IS15_E10value_typeET4_jRbjT5_S1B_jjP12ihipStream_tbEUljE_EEESW_SX_SY_S15_S19_S1B_T6_T7_T9_mT8_S1D_bDpT10_ENKUlT_T0_E_clISt17integral_constantIbLb0EES1P_IbLb1EEEEDaS1L_S1M_EUlS1L_E_NS1_11comp_targetILNS1_3genE2ELNS1_11target_archE906ELNS1_3gpuE6ELNS1_3repE0EEENS1_30default_config_static_selectorELNS0_4arch9wavefront6targetE0EEEvSZ_.has_dyn_sized_stack, 0
	.set _ZN7rocprim17ROCPRIM_400000_NS6detail17trampoline_kernelINS0_13select_configILj256ELj13ELNS0_17block_load_methodE3ELS4_3ELS4_3ELNS0_20block_scan_algorithmE0ELj4294967295EEENS1_25partition_config_selectorILNS1_17partition_subalgoE3EjNS0_10empty_typeEbEEZZNS1_14partition_implILS8_3ELb0ES6_jNS0_17counting_iteratorIjlEEPS9_SE_NS0_5tupleIJPjSE_EEENSF_IJSE_SE_EEES9_SG_JZNS1_25segmented_radix_sort_implINS0_14default_configELb1EPK6__halfPSL_PKlPlN2at6native12_GLOBAL__N_18offset_tEEE10hipError_tPvRmT1_PNSt15iterator_traitsISZ_E10value_typeET2_T3_PNS10_IS15_E10value_typeET4_jRbjT5_S1B_jjP12ihipStream_tbEUljE_EEESW_SX_SY_S15_S19_S1B_T6_T7_T9_mT8_S1D_bDpT10_ENKUlT_T0_E_clISt17integral_constantIbLb0EES1P_IbLb1EEEEDaS1L_S1M_EUlS1L_E_NS1_11comp_targetILNS1_3genE2ELNS1_11target_archE906ELNS1_3gpuE6ELNS1_3repE0EEENS1_30default_config_static_selectorELNS0_4arch9wavefront6targetE0EEEvSZ_.has_recursion, 0
	.set _ZN7rocprim17ROCPRIM_400000_NS6detail17trampoline_kernelINS0_13select_configILj256ELj13ELNS0_17block_load_methodE3ELS4_3ELS4_3ELNS0_20block_scan_algorithmE0ELj4294967295EEENS1_25partition_config_selectorILNS1_17partition_subalgoE3EjNS0_10empty_typeEbEEZZNS1_14partition_implILS8_3ELb0ES6_jNS0_17counting_iteratorIjlEEPS9_SE_NS0_5tupleIJPjSE_EEENSF_IJSE_SE_EEES9_SG_JZNS1_25segmented_radix_sort_implINS0_14default_configELb1EPK6__halfPSL_PKlPlN2at6native12_GLOBAL__N_18offset_tEEE10hipError_tPvRmT1_PNSt15iterator_traitsISZ_E10value_typeET2_T3_PNS10_IS15_E10value_typeET4_jRbjT5_S1B_jjP12ihipStream_tbEUljE_EEESW_SX_SY_S15_S19_S1B_T6_T7_T9_mT8_S1D_bDpT10_ENKUlT_T0_E_clISt17integral_constantIbLb0EES1P_IbLb1EEEEDaS1L_S1M_EUlS1L_E_NS1_11comp_targetILNS1_3genE2ELNS1_11target_archE906ELNS1_3gpuE6ELNS1_3repE0EEENS1_30default_config_static_selectorELNS0_4arch9wavefront6targetE0EEEvSZ_.has_indirect_call, 0
	.section	.AMDGPU.csdata,"",@progbits
; Kernel info:
; codeLenInByte = 0
; TotalNumSgprs: 0
; NumVgprs: 0
; ScratchSize: 0
; MemoryBound: 0
; FloatMode: 240
; IeeeMode: 1
; LDSByteSize: 0 bytes/workgroup (compile time only)
; SGPRBlocks: 0
; VGPRBlocks: 0
; NumSGPRsForWavesPerEU: 1
; NumVGPRsForWavesPerEU: 1
; Occupancy: 16
; WaveLimiterHint : 0
; COMPUTE_PGM_RSRC2:SCRATCH_EN: 0
; COMPUTE_PGM_RSRC2:USER_SGPR: 6
; COMPUTE_PGM_RSRC2:TRAP_HANDLER: 0
; COMPUTE_PGM_RSRC2:TGID_X_EN: 1
; COMPUTE_PGM_RSRC2:TGID_Y_EN: 0
; COMPUTE_PGM_RSRC2:TGID_Z_EN: 0
; COMPUTE_PGM_RSRC2:TIDIG_COMP_CNT: 0
	.section	.text._ZN7rocprim17ROCPRIM_400000_NS6detail17trampoline_kernelINS0_13select_configILj256ELj13ELNS0_17block_load_methodE3ELS4_3ELS4_3ELNS0_20block_scan_algorithmE0ELj4294967295EEENS1_25partition_config_selectorILNS1_17partition_subalgoE3EjNS0_10empty_typeEbEEZZNS1_14partition_implILS8_3ELb0ES6_jNS0_17counting_iteratorIjlEEPS9_SE_NS0_5tupleIJPjSE_EEENSF_IJSE_SE_EEES9_SG_JZNS1_25segmented_radix_sort_implINS0_14default_configELb1EPK6__halfPSL_PKlPlN2at6native12_GLOBAL__N_18offset_tEEE10hipError_tPvRmT1_PNSt15iterator_traitsISZ_E10value_typeET2_T3_PNS10_IS15_E10value_typeET4_jRbjT5_S1B_jjP12ihipStream_tbEUljE_EEESW_SX_SY_S15_S19_S1B_T6_T7_T9_mT8_S1D_bDpT10_ENKUlT_T0_E_clISt17integral_constantIbLb0EES1P_IbLb1EEEEDaS1L_S1M_EUlS1L_E_NS1_11comp_targetILNS1_3genE10ELNS1_11target_archE1200ELNS1_3gpuE4ELNS1_3repE0EEENS1_30default_config_static_selectorELNS0_4arch9wavefront6targetE0EEEvSZ_,"axG",@progbits,_ZN7rocprim17ROCPRIM_400000_NS6detail17trampoline_kernelINS0_13select_configILj256ELj13ELNS0_17block_load_methodE3ELS4_3ELS4_3ELNS0_20block_scan_algorithmE0ELj4294967295EEENS1_25partition_config_selectorILNS1_17partition_subalgoE3EjNS0_10empty_typeEbEEZZNS1_14partition_implILS8_3ELb0ES6_jNS0_17counting_iteratorIjlEEPS9_SE_NS0_5tupleIJPjSE_EEENSF_IJSE_SE_EEES9_SG_JZNS1_25segmented_radix_sort_implINS0_14default_configELb1EPK6__halfPSL_PKlPlN2at6native12_GLOBAL__N_18offset_tEEE10hipError_tPvRmT1_PNSt15iterator_traitsISZ_E10value_typeET2_T3_PNS10_IS15_E10value_typeET4_jRbjT5_S1B_jjP12ihipStream_tbEUljE_EEESW_SX_SY_S15_S19_S1B_T6_T7_T9_mT8_S1D_bDpT10_ENKUlT_T0_E_clISt17integral_constantIbLb0EES1P_IbLb1EEEEDaS1L_S1M_EUlS1L_E_NS1_11comp_targetILNS1_3genE10ELNS1_11target_archE1200ELNS1_3gpuE4ELNS1_3repE0EEENS1_30default_config_static_selectorELNS0_4arch9wavefront6targetE0EEEvSZ_,comdat
	.globl	_ZN7rocprim17ROCPRIM_400000_NS6detail17trampoline_kernelINS0_13select_configILj256ELj13ELNS0_17block_load_methodE3ELS4_3ELS4_3ELNS0_20block_scan_algorithmE0ELj4294967295EEENS1_25partition_config_selectorILNS1_17partition_subalgoE3EjNS0_10empty_typeEbEEZZNS1_14partition_implILS8_3ELb0ES6_jNS0_17counting_iteratorIjlEEPS9_SE_NS0_5tupleIJPjSE_EEENSF_IJSE_SE_EEES9_SG_JZNS1_25segmented_radix_sort_implINS0_14default_configELb1EPK6__halfPSL_PKlPlN2at6native12_GLOBAL__N_18offset_tEEE10hipError_tPvRmT1_PNSt15iterator_traitsISZ_E10value_typeET2_T3_PNS10_IS15_E10value_typeET4_jRbjT5_S1B_jjP12ihipStream_tbEUljE_EEESW_SX_SY_S15_S19_S1B_T6_T7_T9_mT8_S1D_bDpT10_ENKUlT_T0_E_clISt17integral_constantIbLb0EES1P_IbLb1EEEEDaS1L_S1M_EUlS1L_E_NS1_11comp_targetILNS1_3genE10ELNS1_11target_archE1200ELNS1_3gpuE4ELNS1_3repE0EEENS1_30default_config_static_selectorELNS0_4arch9wavefront6targetE0EEEvSZ_ ; -- Begin function _ZN7rocprim17ROCPRIM_400000_NS6detail17trampoline_kernelINS0_13select_configILj256ELj13ELNS0_17block_load_methodE3ELS4_3ELS4_3ELNS0_20block_scan_algorithmE0ELj4294967295EEENS1_25partition_config_selectorILNS1_17partition_subalgoE3EjNS0_10empty_typeEbEEZZNS1_14partition_implILS8_3ELb0ES6_jNS0_17counting_iteratorIjlEEPS9_SE_NS0_5tupleIJPjSE_EEENSF_IJSE_SE_EEES9_SG_JZNS1_25segmented_radix_sort_implINS0_14default_configELb1EPK6__halfPSL_PKlPlN2at6native12_GLOBAL__N_18offset_tEEE10hipError_tPvRmT1_PNSt15iterator_traitsISZ_E10value_typeET2_T3_PNS10_IS15_E10value_typeET4_jRbjT5_S1B_jjP12ihipStream_tbEUljE_EEESW_SX_SY_S15_S19_S1B_T6_T7_T9_mT8_S1D_bDpT10_ENKUlT_T0_E_clISt17integral_constantIbLb0EES1P_IbLb1EEEEDaS1L_S1M_EUlS1L_E_NS1_11comp_targetILNS1_3genE10ELNS1_11target_archE1200ELNS1_3gpuE4ELNS1_3repE0EEENS1_30default_config_static_selectorELNS0_4arch9wavefront6targetE0EEEvSZ_
	.p2align	8
	.type	_ZN7rocprim17ROCPRIM_400000_NS6detail17trampoline_kernelINS0_13select_configILj256ELj13ELNS0_17block_load_methodE3ELS4_3ELS4_3ELNS0_20block_scan_algorithmE0ELj4294967295EEENS1_25partition_config_selectorILNS1_17partition_subalgoE3EjNS0_10empty_typeEbEEZZNS1_14partition_implILS8_3ELb0ES6_jNS0_17counting_iteratorIjlEEPS9_SE_NS0_5tupleIJPjSE_EEENSF_IJSE_SE_EEES9_SG_JZNS1_25segmented_radix_sort_implINS0_14default_configELb1EPK6__halfPSL_PKlPlN2at6native12_GLOBAL__N_18offset_tEEE10hipError_tPvRmT1_PNSt15iterator_traitsISZ_E10value_typeET2_T3_PNS10_IS15_E10value_typeET4_jRbjT5_S1B_jjP12ihipStream_tbEUljE_EEESW_SX_SY_S15_S19_S1B_T6_T7_T9_mT8_S1D_bDpT10_ENKUlT_T0_E_clISt17integral_constantIbLb0EES1P_IbLb1EEEEDaS1L_S1M_EUlS1L_E_NS1_11comp_targetILNS1_3genE10ELNS1_11target_archE1200ELNS1_3gpuE4ELNS1_3repE0EEENS1_30default_config_static_selectorELNS0_4arch9wavefront6targetE0EEEvSZ_,@function
_ZN7rocprim17ROCPRIM_400000_NS6detail17trampoline_kernelINS0_13select_configILj256ELj13ELNS0_17block_load_methodE3ELS4_3ELS4_3ELNS0_20block_scan_algorithmE0ELj4294967295EEENS1_25partition_config_selectorILNS1_17partition_subalgoE3EjNS0_10empty_typeEbEEZZNS1_14partition_implILS8_3ELb0ES6_jNS0_17counting_iteratorIjlEEPS9_SE_NS0_5tupleIJPjSE_EEENSF_IJSE_SE_EEES9_SG_JZNS1_25segmented_radix_sort_implINS0_14default_configELb1EPK6__halfPSL_PKlPlN2at6native12_GLOBAL__N_18offset_tEEE10hipError_tPvRmT1_PNSt15iterator_traitsISZ_E10value_typeET2_T3_PNS10_IS15_E10value_typeET4_jRbjT5_S1B_jjP12ihipStream_tbEUljE_EEESW_SX_SY_S15_S19_S1B_T6_T7_T9_mT8_S1D_bDpT10_ENKUlT_T0_E_clISt17integral_constantIbLb0EES1P_IbLb1EEEEDaS1L_S1M_EUlS1L_E_NS1_11comp_targetILNS1_3genE10ELNS1_11target_archE1200ELNS1_3gpuE4ELNS1_3repE0EEENS1_30default_config_static_selectorELNS0_4arch9wavefront6targetE0EEEvSZ_: ; @_ZN7rocprim17ROCPRIM_400000_NS6detail17trampoline_kernelINS0_13select_configILj256ELj13ELNS0_17block_load_methodE3ELS4_3ELS4_3ELNS0_20block_scan_algorithmE0ELj4294967295EEENS1_25partition_config_selectorILNS1_17partition_subalgoE3EjNS0_10empty_typeEbEEZZNS1_14partition_implILS8_3ELb0ES6_jNS0_17counting_iteratorIjlEEPS9_SE_NS0_5tupleIJPjSE_EEENSF_IJSE_SE_EEES9_SG_JZNS1_25segmented_radix_sort_implINS0_14default_configELb1EPK6__halfPSL_PKlPlN2at6native12_GLOBAL__N_18offset_tEEE10hipError_tPvRmT1_PNSt15iterator_traitsISZ_E10value_typeET2_T3_PNS10_IS15_E10value_typeET4_jRbjT5_S1B_jjP12ihipStream_tbEUljE_EEESW_SX_SY_S15_S19_S1B_T6_T7_T9_mT8_S1D_bDpT10_ENKUlT_T0_E_clISt17integral_constantIbLb0EES1P_IbLb1EEEEDaS1L_S1M_EUlS1L_E_NS1_11comp_targetILNS1_3genE10ELNS1_11target_archE1200ELNS1_3gpuE4ELNS1_3repE0EEENS1_30default_config_static_selectorELNS0_4arch9wavefront6targetE0EEEvSZ_
; %bb.0:
	.section	.rodata,"a",@progbits
	.p2align	6, 0x0
	.amdhsa_kernel _ZN7rocprim17ROCPRIM_400000_NS6detail17trampoline_kernelINS0_13select_configILj256ELj13ELNS0_17block_load_methodE3ELS4_3ELS4_3ELNS0_20block_scan_algorithmE0ELj4294967295EEENS1_25partition_config_selectorILNS1_17partition_subalgoE3EjNS0_10empty_typeEbEEZZNS1_14partition_implILS8_3ELb0ES6_jNS0_17counting_iteratorIjlEEPS9_SE_NS0_5tupleIJPjSE_EEENSF_IJSE_SE_EEES9_SG_JZNS1_25segmented_radix_sort_implINS0_14default_configELb1EPK6__halfPSL_PKlPlN2at6native12_GLOBAL__N_18offset_tEEE10hipError_tPvRmT1_PNSt15iterator_traitsISZ_E10value_typeET2_T3_PNS10_IS15_E10value_typeET4_jRbjT5_S1B_jjP12ihipStream_tbEUljE_EEESW_SX_SY_S15_S19_S1B_T6_T7_T9_mT8_S1D_bDpT10_ENKUlT_T0_E_clISt17integral_constantIbLb0EES1P_IbLb1EEEEDaS1L_S1M_EUlS1L_E_NS1_11comp_targetILNS1_3genE10ELNS1_11target_archE1200ELNS1_3gpuE4ELNS1_3repE0EEENS1_30default_config_static_selectorELNS0_4arch9wavefront6targetE0EEEvSZ_
		.amdhsa_group_segment_fixed_size 0
		.amdhsa_private_segment_fixed_size 0
		.amdhsa_kernarg_size 152
		.amdhsa_user_sgpr_count 6
		.amdhsa_user_sgpr_private_segment_buffer 1
		.amdhsa_user_sgpr_dispatch_ptr 0
		.amdhsa_user_sgpr_queue_ptr 0
		.amdhsa_user_sgpr_kernarg_segment_ptr 1
		.amdhsa_user_sgpr_dispatch_id 0
		.amdhsa_user_sgpr_flat_scratch_init 0
		.amdhsa_user_sgpr_private_segment_size 0
		.amdhsa_wavefront_size32 1
		.amdhsa_uses_dynamic_stack 0
		.amdhsa_system_sgpr_private_segment_wavefront_offset 0
		.amdhsa_system_sgpr_workgroup_id_x 1
		.amdhsa_system_sgpr_workgroup_id_y 0
		.amdhsa_system_sgpr_workgroup_id_z 0
		.amdhsa_system_sgpr_workgroup_info 0
		.amdhsa_system_vgpr_workitem_id 0
		.amdhsa_next_free_vgpr 1
		.amdhsa_next_free_sgpr 1
		.amdhsa_reserve_vcc 0
		.amdhsa_reserve_flat_scratch 0
		.amdhsa_float_round_mode_32 0
		.amdhsa_float_round_mode_16_64 0
		.amdhsa_float_denorm_mode_32 3
		.amdhsa_float_denorm_mode_16_64 3
		.amdhsa_dx10_clamp 1
		.amdhsa_ieee_mode 1
		.amdhsa_fp16_overflow 0
		.amdhsa_workgroup_processor_mode 1
		.amdhsa_memory_ordered 1
		.amdhsa_forward_progress 1
		.amdhsa_shared_vgpr_count 0
		.amdhsa_exception_fp_ieee_invalid_op 0
		.amdhsa_exception_fp_denorm_src 0
		.amdhsa_exception_fp_ieee_div_zero 0
		.amdhsa_exception_fp_ieee_overflow 0
		.amdhsa_exception_fp_ieee_underflow 0
		.amdhsa_exception_fp_ieee_inexact 0
		.amdhsa_exception_int_div_zero 0
	.end_amdhsa_kernel
	.section	.text._ZN7rocprim17ROCPRIM_400000_NS6detail17trampoline_kernelINS0_13select_configILj256ELj13ELNS0_17block_load_methodE3ELS4_3ELS4_3ELNS0_20block_scan_algorithmE0ELj4294967295EEENS1_25partition_config_selectorILNS1_17partition_subalgoE3EjNS0_10empty_typeEbEEZZNS1_14partition_implILS8_3ELb0ES6_jNS0_17counting_iteratorIjlEEPS9_SE_NS0_5tupleIJPjSE_EEENSF_IJSE_SE_EEES9_SG_JZNS1_25segmented_radix_sort_implINS0_14default_configELb1EPK6__halfPSL_PKlPlN2at6native12_GLOBAL__N_18offset_tEEE10hipError_tPvRmT1_PNSt15iterator_traitsISZ_E10value_typeET2_T3_PNS10_IS15_E10value_typeET4_jRbjT5_S1B_jjP12ihipStream_tbEUljE_EEESW_SX_SY_S15_S19_S1B_T6_T7_T9_mT8_S1D_bDpT10_ENKUlT_T0_E_clISt17integral_constantIbLb0EES1P_IbLb1EEEEDaS1L_S1M_EUlS1L_E_NS1_11comp_targetILNS1_3genE10ELNS1_11target_archE1200ELNS1_3gpuE4ELNS1_3repE0EEENS1_30default_config_static_selectorELNS0_4arch9wavefront6targetE0EEEvSZ_,"axG",@progbits,_ZN7rocprim17ROCPRIM_400000_NS6detail17trampoline_kernelINS0_13select_configILj256ELj13ELNS0_17block_load_methodE3ELS4_3ELS4_3ELNS0_20block_scan_algorithmE0ELj4294967295EEENS1_25partition_config_selectorILNS1_17partition_subalgoE3EjNS0_10empty_typeEbEEZZNS1_14partition_implILS8_3ELb0ES6_jNS0_17counting_iteratorIjlEEPS9_SE_NS0_5tupleIJPjSE_EEENSF_IJSE_SE_EEES9_SG_JZNS1_25segmented_radix_sort_implINS0_14default_configELb1EPK6__halfPSL_PKlPlN2at6native12_GLOBAL__N_18offset_tEEE10hipError_tPvRmT1_PNSt15iterator_traitsISZ_E10value_typeET2_T3_PNS10_IS15_E10value_typeET4_jRbjT5_S1B_jjP12ihipStream_tbEUljE_EEESW_SX_SY_S15_S19_S1B_T6_T7_T9_mT8_S1D_bDpT10_ENKUlT_T0_E_clISt17integral_constantIbLb0EES1P_IbLb1EEEEDaS1L_S1M_EUlS1L_E_NS1_11comp_targetILNS1_3genE10ELNS1_11target_archE1200ELNS1_3gpuE4ELNS1_3repE0EEENS1_30default_config_static_selectorELNS0_4arch9wavefront6targetE0EEEvSZ_,comdat
.Lfunc_end1726:
	.size	_ZN7rocprim17ROCPRIM_400000_NS6detail17trampoline_kernelINS0_13select_configILj256ELj13ELNS0_17block_load_methodE3ELS4_3ELS4_3ELNS0_20block_scan_algorithmE0ELj4294967295EEENS1_25partition_config_selectorILNS1_17partition_subalgoE3EjNS0_10empty_typeEbEEZZNS1_14partition_implILS8_3ELb0ES6_jNS0_17counting_iteratorIjlEEPS9_SE_NS0_5tupleIJPjSE_EEENSF_IJSE_SE_EEES9_SG_JZNS1_25segmented_radix_sort_implINS0_14default_configELb1EPK6__halfPSL_PKlPlN2at6native12_GLOBAL__N_18offset_tEEE10hipError_tPvRmT1_PNSt15iterator_traitsISZ_E10value_typeET2_T3_PNS10_IS15_E10value_typeET4_jRbjT5_S1B_jjP12ihipStream_tbEUljE_EEESW_SX_SY_S15_S19_S1B_T6_T7_T9_mT8_S1D_bDpT10_ENKUlT_T0_E_clISt17integral_constantIbLb0EES1P_IbLb1EEEEDaS1L_S1M_EUlS1L_E_NS1_11comp_targetILNS1_3genE10ELNS1_11target_archE1200ELNS1_3gpuE4ELNS1_3repE0EEENS1_30default_config_static_selectorELNS0_4arch9wavefront6targetE0EEEvSZ_, .Lfunc_end1726-_ZN7rocprim17ROCPRIM_400000_NS6detail17trampoline_kernelINS0_13select_configILj256ELj13ELNS0_17block_load_methodE3ELS4_3ELS4_3ELNS0_20block_scan_algorithmE0ELj4294967295EEENS1_25partition_config_selectorILNS1_17partition_subalgoE3EjNS0_10empty_typeEbEEZZNS1_14partition_implILS8_3ELb0ES6_jNS0_17counting_iteratorIjlEEPS9_SE_NS0_5tupleIJPjSE_EEENSF_IJSE_SE_EEES9_SG_JZNS1_25segmented_radix_sort_implINS0_14default_configELb1EPK6__halfPSL_PKlPlN2at6native12_GLOBAL__N_18offset_tEEE10hipError_tPvRmT1_PNSt15iterator_traitsISZ_E10value_typeET2_T3_PNS10_IS15_E10value_typeET4_jRbjT5_S1B_jjP12ihipStream_tbEUljE_EEESW_SX_SY_S15_S19_S1B_T6_T7_T9_mT8_S1D_bDpT10_ENKUlT_T0_E_clISt17integral_constantIbLb0EES1P_IbLb1EEEEDaS1L_S1M_EUlS1L_E_NS1_11comp_targetILNS1_3genE10ELNS1_11target_archE1200ELNS1_3gpuE4ELNS1_3repE0EEENS1_30default_config_static_selectorELNS0_4arch9wavefront6targetE0EEEvSZ_
                                        ; -- End function
	.set _ZN7rocprim17ROCPRIM_400000_NS6detail17trampoline_kernelINS0_13select_configILj256ELj13ELNS0_17block_load_methodE3ELS4_3ELS4_3ELNS0_20block_scan_algorithmE0ELj4294967295EEENS1_25partition_config_selectorILNS1_17partition_subalgoE3EjNS0_10empty_typeEbEEZZNS1_14partition_implILS8_3ELb0ES6_jNS0_17counting_iteratorIjlEEPS9_SE_NS0_5tupleIJPjSE_EEENSF_IJSE_SE_EEES9_SG_JZNS1_25segmented_radix_sort_implINS0_14default_configELb1EPK6__halfPSL_PKlPlN2at6native12_GLOBAL__N_18offset_tEEE10hipError_tPvRmT1_PNSt15iterator_traitsISZ_E10value_typeET2_T3_PNS10_IS15_E10value_typeET4_jRbjT5_S1B_jjP12ihipStream_tbEUljE_EEESW_SX_SY_S15_S19_S1B_T6_T7_T9_mT8_S1D_bDpT10_ENKUlT_T0_E_clISt17integral_constantIbLb0EES1P_IbLb1EEEEDaS1L_S1M_EUlS1L_E_NS1_11comp_targetILNS1_3genE10ELNS1_11target_archE1200ELNS1_3gpuE4ELNS1_3repE0EEENS1_30default_config_static_selectorELNS0_4arch9wavefront6targetE0EEEvSZ_.num_vgpr, 0
	.set _ZN7rocprim17ROCPRIM_400000_NS6detail17trampoline_kernelINS0_13select_configILj256ELj13ELNS0_17block_load_methodE3ELS4_3ELS4_3ELNS0_20block_scan_algorithmE0ELj4294967295EEENS1_25partition_config_selectorILNS1_17partition_subalgoE3EjNS0_10empty_typeEbEEZZNS1_14partition_implILS8_3ELb0ES6_jNS0_17counting_iteratorIjlEEPS9_SE_NS0_5tupleIJPjSE_EEENSF_IJSE_SE_EEES9_SG_JZNS1_25segmented_radix_sort_implINS0_14default_configELb1EPK6__halfPSL_PKlPlN2at6native12_GLOBAL__N_18offset_tEEE10hipError_tPvRmT1_PNSt15iterator_traitsISZ_E10value_typeET2_T3_PNS10_IS15_E10value_typeET4_jRbjT5_S1B_jjP12ihipStream_tbEUljE_EEESW_SX_SY_S15_S19_S1B_T6_T7_T9_mT8_S1D_bDpT10_ENKUlT_T0_E_clISt17integral_constantIbLb0EES1P_IbLb1EEEEDaS1L_S1M_EUlS1L_E_NS1_11comp_targetILNS1_3genE10ELNS1_11target_archE1200ELNS1_3gpuE4ELNS1_3repE0EEENS1_30default_config_static_selectorELNS0_4arch9wavefront6targetE0EEEvSZ_.num_agpr, 0
	.set _ZN7rocprim17ROCPRIM_400000_NS6detail17trampoline_kernelINS0_13select_configILj256ELj13ELNS0_17block_load_methodE3ELS4_3ELS4_3ELNS0_20block_scan_algorithmE0ELj4294967295EEENS1_25partition_config_selectorILNS1_17partition_subalgoE3EjNS0_10empty_typeEbEEZZNS1_14partition_implILS8_3ELb0ES6_jNS0_17counting_iteratorIjlEEPS9_SE_NS0_5tupleIJPjSE_EEENSF_IJSE_SE_EEES9_SG_JZNS1_25segmented_radix_sort_implINS0_14default_configELb1EPK6__halfPSL_PKlPlN2at6native12_GLOBAL__N_18offset_tEEE10hipError_tPvRmT1_PNSt15iterator_traitsISZ_E10value_typeET2_T3_PNS10_IS15_E10value_typeET4_jRbjT5_S1B_jjP12ihipStream_tbEUljE_EEESW_SX_SY_S15_S19_S1B_T6_T7_T9_mT8_S1D_bDpT10_ENKUlT_T0_E_clISt17integral_constantIbLb0EES1P_IbLb1EEEEDaS1L_S1M_EUlS1L_E_NS1_11comp_targetILNS1_3genE10ELNS1_11target_archE1200ELNS1_3gpuE4ELNS1_3repE0EEENS1_30default_config_static_selectorELNS0_4arch9wavefront6targetE0EEEvSZ_.numbered_sgpr, 0
	.set _ZN7rocprim17ROCPRIM_400000_NS6detail17trampoline_kernelINS0_13select_configILj256ELj13ELNS0_17block_load_methodE3ELS4_3ELS4_3ELNS0_20block_scan_algorithmE0ELj4294967295EEENS1_25partition_config_selectorILNS1_17partition_subalgoE3EjNS0_10empty_typeEbEEZZNS1_14partition_implILS8_3ELb0ES6_jNS0_17counting_iteratorIjlEEPS9_SE_NS0_5tupleIJPjSE_EEENSF_IJSE_SE_EEES9_SG_JZNS1_25segmented_radix_sort_implINS0_14default_configELb1EPK6__halfPSL_PKlPlN2at6native12_GLOBAL__N_18offset_tEEE10hipError_tPvRmT1_PNSt15iterator_traitsISZ_E10value_typeET2_T3_PNS10_IS15_E10value_typeET4_jRbjT5_S1B_jjP12ihipStream_tbEUljE_EEESW_SX_SY_S15_S19_S1B_T6_T7_T9_mT8_S1D_bDpT10_ENKUlT_T0_E_clISt17integral_constantIbLb0EES1P_IbLb1EEEEDaS1L_S1M_EUlS1L_E_NS1_11comp_targetILNS1_3genE10ELNS1_11target_archE1200ELNS1_3gpuE4ELNS1_3repE0EEENS1_30default_config_static_selectorELNS0_4arch9wavefront6targetE0EEEvSZ_.num_named_barrier, 0
	.set _ZN7rocprim17ROCPRIM_400000_NS6detail17trampoline_kernelINS0_13select_configILj256ELj13ELNS0_17block_load_methodE3ELS4_3ELS4_3ELNS0_20block_scan_algorithmE0ELj4294967295EEENS1_25partition_config_selectorILNS1_17partition_subalgoE3EjNS0_10empty_typeEbEEZZNS1_14partition_implILS8_3ELb0ES6_jNS0_17counting_iteratorIjlEEPS9_SE_NS0_5tupleIJPjSE_EEENSF_IJSE_SE_EEES9_SG_JZNS1_25segmented_radix_sort_implINS0_14default_configELb1EPK6__halfPSL_PKlPlN2at6native12_GLOBAL__N_18offset_tEEE10hipError_tPvRmT1_PNSt15iterator_traitsISZ_E10value_typeET2_T3_PNS10_IS15_E10value_typeET4_jRbjT5_S1B_jjP12ihipStream_tbEUljE_EEESW_SX_SY_S15_S19_S1B_T6_T7_T9_mT8_S1D_bDpT10_ENKUlT_T0_E_clISt17integral_constantIbLb0EES1P_IbLb1EEEEDaS1L_S1M_EUlS1L_E_NS1_11comp_targetILNS1_3genE10ELNS1_11target_archE1200ELNS1_3gpuE4ELNS1_3repE0EEENS1_30default_config_static_selectorELNS0_4arch9wavefront6targetE0EEEvSZ_.private_seg_size, 0
	.set _ZN7rocprim17ROCPRIM_400000_NS6detail17trampoline_kernelINS0_13select_configILj256ELj13ELNS0_17block_load_methodE3ELS4_3ELS4_3ELNS0_20block_scan_algorithmE0ELj4294967295EEENS1_25partition_config_selectorILNS1_17partition_subalgoE3EjNS0_10empty_typeEbEEZZNS1_14partition_implILS8_3ELb0ES6_jNS0_17counting_iteratorIjlEEPS9_SE_NS0_5tupleIJPjSE_EEENSF_IJSE_SE_EEES9_SG_JZNS1_25segmented_radix_sort_implINS0_14default_configELb1EPK6__halfPSL_PKlPlN2at6native12_GLOBAL__N_18offset_tEEE10hipError_tPvRmT1_PNSt15iterator_traitsISZ_E10value_typeET2_T3_PNS10_IS15_E10value_typeET4_jRbjT5_S1B_jjP12ihipStream_tbEUljE_EEESW_SX_SY_S15_S19_S1B_T6_T7_T9_mT8_S1D_bDpT10_ENKUlT_T0_E_clISt17integral_constantIbLb0EES1P_IbLb1EEEEDaS1L_S1M_EUlS1L_E_NS1_11comp_targetILNS1_3genE10ELNS1_11target_archE1200ELNS1_3gpuE4ELNS1_3repE0EEENS1_30default_config_static_selectorELNS0_4arch9wavefront6targetE0EEEvSZ_.uses_vcc, 0
	.set _ZN7rocprim17ROCPRIM_400000_NS6detail17trampoline_kernelINS0_13select_configILj256ELj13ELNS0_17block_load_methodE3ELS4_3ELS4_3ELNS0_20block_scan_algorithmE0ELj4294967295EEENS1_25partition_config_selectorILNS1_17partition_subalgoE3EjNS0_10empty_typeEbEEZZNS1_14partition_implILS8_3ELb0ES6_jNS0_17counting_iteratorIjlEEPS9_SE_NS0_5tupleIJPjSE_EEENSF_IJSE_SE_EEES9_SG_JZNS1_25segmented_radix_sort_implINS0_14default_configELb1EPK6__halfPSL_PKlPlN2at6native12_GLOBAL__N_18offset_tEEE10hipError_tPvRmT1_PNSt15iterator_traitsISZ_E10value_typeET2_T3_PNS10_IS15_E10value_typeET4_jRbjT5_S1B_jjP12ihipStream_tbEUljE_EEESW_SX_SY_S15_S19_S1B_T6_T7_T9_mT8_S1D_bDpT10_ENKUlT_T0_E_clISt17integral_constantIbLb0EES1P_IbLb1EEEEDaS1L_S1M_EUlS1L_E_NS1_11comp_targetILNS1_3genE10ELNS1_11target_archE1200ELNS1_3gpuE4ELNS1_3repE0EEENS1_30default_config_static_selectorELNS0_4arch9wavefront6targetE0EEEvSZ_.uses_flat_scratch, 0
	.set _ZN7rocprim17ROCPRIM_400000_NS6detail17trampoline_kernelINS0_13select_configILj256ELj13ELNS0_17block_load_methodE3ELS4_3ELS4_3ELNS0_20block_scan_algorithmE0ELj4294967295EEENS1_25partition_config_selectorILNS1_17partition_subalgoE3EjNS0_10empty_typeEbEEZZNS1_14partition_implILS8_3ELb0ES6_jNS0_17counting_iteratorIjlEEPS9_SE_NS0_5tupleIJPjSE_EEENSF_IJSE_SE_EEES9_SG_JZNS1_25segmented_radix_sort_implINS0_14default_configELb1EPK6__halfPSL_PKlPlN2at6native12_GLOBAL__N_18offset_tEEE10hipError_tPvRmT1_PNSt15iterator_traitsISZ_E10value_typeET2_T3_PNS10_IS15_E10value_typeET4_jRbjT5_S1B_jjP12ihipStream_tbEUljE_EEESW_SX_SY_S15_S19_S1B_T6_T7_T9_mT8_S1D_bDpT10_ENKUlT_T0_E_clISt17integral_constantIbLb0EES1P_IbLb1EEEEDaS1L_S1M_EUlS1L_E_NS1_11comp_targetILNS1_3genE10ELNS1_11target_archE1200ELNS1_3gpuE4ELNS1_3repE0EEENS1_30default_config_static_selectorELNS0_4arch9wavefront6targetE0EEEvSZ_.has_dyn_sized_stack, 0
	.set _ZN7rocprim17ROCPRIM_400000_NS6detail17trampoline_kernelINS0_13select_configILj256ELj13ELNS0_17block_load_methodE3ELS4_3ELS4_3ELNS0_20block_scan_algorithmE0ELj4294967295EEENS1_25partition_config_selectorILNS1_17partition_subalgoE3EjNS0_10empty_typeEbEEZZNS1_14partition_implILS8_3ELb0ES6_jNS0_17counting_iteratorIjlEEPS9_SE_NS0_5tupleIJPjSE_EEENSF_IJSE_SE_EEES9_SG_JZNS1_25segmented_radix_sort_implINS0_14default_configELb1EPK6__halfPSL_PKlPlN2at6native12_GLOBAL__N_18offset_tEEE10hipError_tPvRmT1_PNSt15iterator_traitsISZ_E10value_typeET2_T3_PNS10_IS15_E10value_typeET4_jRbjT5_S1B_jjP12ihipStream_tbEUljE_EEESW_SX_SY_S15_S19_S1B_T6_T7_T9_mT8_S1D_bDpT10_ENKUlT_T0_E_clISt17integral_constantIbLb0EES1P_IbLb1EEEEDaS1L_S1M_EUlS1L_E_NS1_11comp_targetILNS1_3genE10ELNS1_11target_archE1200ELNS1_3gpuE4ELNS1_3repE0EEENS1_30default_config_static_selectorELNS0_4arch9wavefront6targetE0EEEvSZ_.has_recursion, 0
	.set _ZN7rocprim17ROCPRIM_400000_NS6detail17trampoline_kernelINS0_13select_configILj256ELj13ELNS0_17block_load_methodE3ELS4_3ELS4_3ELNS0_20block_scan_algorithmE0ELj4294967295EEENS1_25partition_config_selectorILNS1_17partition_subalgoE3EjNS0_10empty_typeEbEEZZNS1_14partition_implILS8_3ELb0ES6_jNS0_17counting_iteratorIjlEEPS9_SE_NS0_5tupleIJPjSE_EEENSF_IJSE_SE_EEES9_SG_JZNS1_25segmented_radix_sort_implINS0_14default_configELb1EPK6__halfPSL_PKlPlN2at6native12_GLOBAL__N_18offset_tEEE10hipError_tPvRmT1_PNSt15iterator_traitsISZ_E10value_typeET2_T3_PNS10_IS15_E10value_typeET4_jRbjT5_S1B_jjP12ihipStream_tbEUljE_EEESW_SX_SY_S15_S19_S1B_T6_T7_T9_mT8_S1D_bDpT10_ENKUlT_T0_E_clISt17integral_constantIbLb0EES1P_IbLb1EEEEDaS1L_S1M_EUlS1L_E_NS1_11comp_targetILNS1_3genE10ELNS1_11target_archE1200ELNS1_3gpuE4ELNS1_3repE0EEENS1_30default_config_static_selectorELNS0_4arch9wavefront6targetE0EEEvSZ_.has_indirect_call, 0
	.section	.AMDGPU.csdata,"",@progbits
; Kernel info:
; codeLenInByte = 0
; TotalNumSgprs: 0
; NumVgprs: 0
; ScratchSize: 0
; MemoryBound: 0
; FloatMode: 240
; IeeeMode: 1
; LDSByteSize: 0 bytes/workgroup (compile time only)
; SGPRBlocks: 0
; VGPRBlocks: 0
; NumSGPRsForWavesPerEU: 1
; NumVGPRsForWavesPerEU: 1
; Occupancy: 16
; WaveLimiterHint : 0
; COMPUTE_PGM_RSRC2:SCRATCH_EN: 0
; COMPUTE_PGM_RSRC2:USER_SGPR: 6
; COMPUTE_PGM_RSRC2:TRAP_HANDLER: 0
; COMPUTE_PGM_RSRC2:TGID_X_EN: 1
; COMPUTE_PGM_RSRC2:TGID_Y_EN: 0
; COMPUTE_PGM_RSRC2:TGID_Z_EN: 0
; COMPUTE_PGM_RSRC2:TIDIG_COMP_CNT: 0
	.section	.text._ZN7rocprim17ROCPRIM_400000_NS6detail17trampoline_kernelINS0_13select_configILj256ELj13ELNS0_17block_load_methodE3ELS4_3ELS4_3ELNS0_20block_scan_algorithmE0ELj4294967295EEENS1_25partition_config_selectorILNS1_17partition_subalgoE3EjNS0_10empty_typeEbEEZZNS1_14partition_implILS8_3ELb0ES6_jNS0_17counting_iteratorIjlEEPS9_SE_NS0_5tupleIJPjSE_EEENSF_IJSE_SE_EEES9_SG_JZNS1_25segmented_radix_sort_implINS0_14default_configELb1EPK6__halfPSL_PKlPlN2at6native12_GLOBAL__N_18offset_tEEE10hipError_tPvRmT1_PNSt15iterator_traitsISZ_E10value_typeET2_T3_PNS10_IS15_E10value_typeET4_jRbjT5_S1B_jjP12ihipStream_tbEUljE_EEESW_SX_SY_S15_S19_S1B_T6_T7_T9_mT8_S1D_bDpT10_ENKUlT_T0_E_clISt17integral_constantIbLb0EES1P_IbLb1EEEEDaS1L_S1M_EUlS1L_E_NS1_11comp_targetILNS1_3genE9ELNS1_11target_archE1100ELNS1_3gpuE3ELNS1_3repE0EEENS1_30default_config_static_selectorELNS0_4arch9wavefront6targetE0EEEvSZ_,"axG",@progbits,_ZN7rocprim17ROCPRIM_400000_NS6detail17trampoline_kernelINS0_13select_configILj256ELj13ELNS0_17block_load_methodE3ELS4_3ELS4_3ELNS0_20block_scan_algorithmE0ELj4294967295EEENS1_25partition_config_selectorILNS1_17partition_subalgoE3EjNS0_10empty_typeEbEEZZNS1_14partition_implILS8_3ELb0ES6_jNS0_17counting_iteratorIjlEEPS9_SE_NS0_5tupleIJPjSE_EEENSF_IJSE_SE_EEES9_SG_JZNS1_25segmented_radix_sort_implINS0_14default_configELb1EPK6__halfPSL_PKlPlN2at6native12_GLOBAL__N_18offset_tEEE10hipError_tPvRmT1_PNSt15iterator_traitsISZ_E10value_typeET2_T3_PNS10_IS15_E10value_typeET4_jRbjT5_S1B_jjP12ihipStream_tbEUljE_EEESW_SX_SY_S15_S19_S1B_T6_T7_T9_mT8_S1D_bDpT10_ENKUlT_T0_E_clISt17integral_constantIbLb0EES1P_IbLb1EEEEDaS1L_S1M_EUlS1L_E_NS1_11comp_targetILNS1_3genE9ELNS1_11target_archE1100ELNS1_3gpuE3ELNS1_3repE0EEENS1_30default_config_static_selectorELNS0_4arch9wavefront6targetE0EEEvSZ_,comdat
	.globl	_ZN7rocprim17ROCPRIM_400000_NS6detail17trampoline_kernelINS0_13select_configILj256ELj13ELNS0_17block_load_methodE3ELS4_3ELS4_3ELNS0_20block_scan_algorithmE0ELj4294967295EEENS1_25partition_config_selectorILNS1_17partition_subalgoE3EjNS0_10empty_typeEbEEZZNS1_14partition_implILS8_3ELb0ES6_jNS0_17counting_iteratorIjlEEPS9_SE_NS0_5tupleIJPjSE_EEENSF_IJSE_SE_EEES9_SG_JZNS1_25segmented_radix_sort_implINS0_14default_configELb1EPK6__halfPSL_PKlPlN2at6native12_GLOBAL__N_18offset_tEEE10hipError_tPvRmT1_PNSt15iterator_traitsISZ_E10value_typeET2_T3_PNS10_IS15_E10value_typeET4_jRbjT5_S1B_jjP12ihipStream_tbEUljE_EEESW_SX_SY_S15_S19_S1B_T6_T7_T9_mT8_S1D_bDpT10_ENKUlT_T0_E_clISt17integral_constantIbLb0EES1P_IbLb1EEEEDaS1L_S1M_EUlS1L_E_NS1_11comp_targetILNS1_3genE9ELNS1_11target_archE1100ELNS1_3gpuE3ELNS1_3repE0EEENS1_30default_config_static_selectorELNS0_4arch9wavefront6targetE0EEEvSZ_ ; -- Begin function _ZN7rocprim17ROCPRIM_400000_NS6detail17trampoline_kernelINS0_13select_configILj256ELj13ELNS0_17block_load_methodE3ELS4_3ELS4_3ELNS0_20block_scan_algorithmE0ELj4294967295EEENS1_25partition_config_selectorILNS1_17partition_subalgoE3EjNS0_10empty_typeEbEEZZNS1_14partition_implILS8_3ELb0ES6_jNS0_17counting_iteratorIjlEEPS9_SE_NS0_5tupleIJPjSE_EEENSF_IJSE_SE_EEES9_SG_JZNS1_25segmented_radix_sort_implINS0_14default_configELb1EPK6__halfPSL_PKlPlN2at6native12_GLOBAL__N_18offset_tEEE10hipError_tPvRmT1_PNSt15iterator_traitsISZ_E10value_typeET2_T3_PNS10_IS15_E10value_typeET4_jRbjT5_S1B_jjP12ihipStream_tbEUljE_EEESW_SX_SY_S15_S19_S1B_T6_T7_T9_mT8_S1D_bDpT10_ENKUlT_T0_E_clISt17integral_constantIbLb0EES1P_IbLb1EEEEDaS1L_S1M_EUlS1L_E_NS1_11comp_targetILNS1_3genE9ELNS1_11target_archE1100ELNS1_3gpuE3ELNS1_3repE0EEENS1_30default_config_static_selectorELNS0_4arch9wavefront6targetE0EEEvSZ_
	.p2align	8
	.type	_ZN7rocprim17ROCPRIM_400000_NS6detail17trampoline_kernelINS0_13select_configILj256ELj13ELNS0_17block_load_methodE3ELS4_3ELS4_3ELNS0_20block_scan_algorithmE0ELj4294967295EEENS1_25partition_config_selectorILNS1_17partition_subalgoE3EjNS0_10empty_typeEbEEZZNS1_14partition_implILS8_3ELb0ES6_jNS0_17counting_iteratorIjlEEPS9_SE_NS0_5tupleIJPjSE_EEENSF_IJSE_SE_EEES9_SG_JZNS1_25segmented_radix_sort_implINS0_14default_configELb1EPK6__halfPSL_PKlPlN2at6native12_GLOBAL__N_18offset_tEEE10hipError_tPvRmT1_PNSt15iterator_traitsISZ_E10value_typeET2_T3_PNS10_IS15_E10value_typeET4_jRbjT5_S1B_jjP12ihipStream_tbEUljE_EEESW_SX_SY_S15_S19_S1B_T6_T7_T9_mT8_S1D_bDpT10_ENKUlT_T0_E_clISt17integral_constantIbLb0EES1P_IbLb1EEEEDaS1L_S1M_EUlS1L_E_NS1_11comp_targetILNS1_3genE9ELNS1_11target_archE1100ELNS1_3gpuE3ELNS1_3repE0EEENS1_30default_config_static_selectorELNS0_4arch9wavefront6targetE0EEEvSZ_,@function
_ZN7rocprim17ROCPRIM_400000_NS6detail17trampoline_kernelINS0_13select_configILj256ELj13ELNS0_17block_load_methodE3ELS4_3ELS4_3ELNS0_20block_scan_algorithmE0ELj4294967295EEENS1_25partition_config_selectorILNS1_17partition_subalgoE3EjNS0_10empty_typeEbEEZZNS1_14partition_implILS8_3ELb0ES6_jNS0_17counting_iteratorIjlEEPS9_SE_NS0_5tupleIJPjSE_EEENSF_IJSE_SE_EEES9_SG_JZNS1_25segmented_radix_sort_implINS0_14default_configELb1EPK6__halfPSL_PKlPlN2at6native12_GLOBAL__N_18offset_tEEE10hipError_tPvRmT1_PNSt15iterator_traitsISZ_E10value_typeET2_T3_PNS10_IS15_E10value_typeET4_jRbjT5_S1B_jjP12ihipStream_tbEUljE_EEESW_SX_SY_S15_S19_S1B_T6_T7_T9_mT8_S1D_bDpT10_ENKUlT_T0_E_clISt17integral_constantIbLb0EES1P_IbLb1EEEEDaS1L_S1M_EUlS1L_E_NS1_11comp_targetILNS1_3genE9ELNS1_11target_archE1100ELNS1_3gpuE3ELNS1_3repE0EEENS1_30default_config_static_selectorELNS0_4arch9wavefront6targetE0EEEvSZ_: ; @_ZN7rocprim17ROCPRIM_400000_NS6detail17trampoline_kernelINS0_13select_configILj256ELj13ELNS0_17block_load_methodE3ELS4_3ELS4_3ELNS0_20block_scan_algorithmE0ELj4294967295EEENS1_25partition_config_selectorILNS1_17partition_subalgoE3EjNS0_10empty_typeEbEEZZNS1_14partition_implILS8_3ELb0ES6_jNS0_17counting_iteratorIjlEEPS9_SE_NS0_5tupleIJPjSE_EEENSF_IJSE_SE_EEES9_SG_JZNS1_25segmented_radix_sort_implINS0_14default_configELb1EPK6__halfPSL_PKlPlN2at6native12_GLOBAL__N_18offset_tEEE10hipError_tPvRmT1_PNSt15iterator_traitsISZ_E10value_typeET2_T3_PNS10_IS15_E10value_typeET4_jRbjT5_S1B_jjP12ihipStream_tbEUljE_EEESW_SX_SY_S15_S19_S1B_T6_T7_T9_mT8_S1D_bDpT10_ENKUlT_T0_E_clISt17integral_constantIbLb0EES1P_IbLb1EEEEDaS1L_S1M_EUlS1L_E_NS1_11comp_targetILNS1_3genE9ELNS1_11target_archE1100ELNS1_3gpuE3ELNS1_3repE0EEENS1_30default_config_static_selectorELNS0_4arch9wavefront6targetE0EEEvSZ_
; %bb.0:
	.section	.rodata,"a",@progbits
	.p2align	6, 0x0
	.amdhsa_kernel _ZN7rocprim17ROCPRIM_400000_NS6detail17trampoline_kernelINS0_13select_configILj256ELj13ELNS0_17block_load_methodE3ELS4_3ELS4_3ELNS0_20block_scan_algorithmE0ELj4294967295EEENS1_25partition_config_selectorILNS1_17partition_subalgoE3EjNS0_10empty_typeEbEEZZNS1_14partition_implILS8_3ELb0ES6_jNS0_17counting_iteratorIjlEEPS9_SE_NS0_5tupleIJPjSE_EEENSF_IJSE_SE_EEES9_SG_JZNS1_25segmented_radix_sort_implINS0_14default_configELb1EPK6__halfPSL_PKlPlN2at6native12_GLOBAL__N_18offset_tEEE10hipError_tPvRmT1_PNSt15iterator_traitsISZ_E10value_typeET2_T3_PNS10_IS15_E10value_typeET4_jRbjT5_S1B_jjP12ihipStream_tbEUljE_EEESW_SX_SY_S15_S19_S1B_T6_T7_T9_mT8_S1D_bDpT10_ENKUlT_T0_E_clISt17integral_constantIbLb0EES1P_IbLb1EEEEDaS1L_S1M_EUlS1L_E_NS1_11comp_targetILNS1_3genE9ELNS1_11target_archE1100ELNS1_3gpuE3ELNS1_3repE0EEENS1_30default_config_static_selectorELNS0_4arch9wavefront6targetE0EEEvSZ_
		.amdhsa_group_segment_fixed_size 0
		.amdhsa_private_segment_fixed_size 0
		.amdhsa_kernarg_size 152
		.amdhsa_user_sgpr_count 6
		.amdhsa_user_sgpr_private_segment_buffer 1
		.amdhsa_user_sgpr_dispatch_ptr 0
		.amdhsa_user_sgpr_queue_ptr 0
		.amdhsa_user_sgpr_kernarg_segment_ptr 1
		.amdhsa_user_sgpr_dispatch_id 0
		.amdhsa_user_sgpr_flat_scratch_init 0
		.amdhsa_user_sgpr_private_segment_size 0
		.amdhsa_wavefront_size32 1
		.amdhsa_uses_dynamic_stack 0
		.amdhsa_system_sgpr_private_segment_wavefront_offset 0
		.amdhsa_system_sgpr_workgroup_id_x 1
		.amdhsa_system_sgpr_workgroup_id_y 0
		.amdhsa_system_sgpr_workgroup_id_z 0
		.amdhsa_system_sgpr_workgroup_info 0
		.amdhsa_system_vgpr_workitem_id 0
		.amdhsa_next_free_vgpr 1
		.amdhsa_next_free_sgpr 1
		.amdhsa_reserve_vcc 0
		.amdhsa_reserve_flat_scratch 0
		.amdhsa_float_round_mode_32 0
		.amdhsa_float_round_mode_16_64 0
		.amdhsa_float_denorm_mode_32 3
		.amdhsa_float_denorm_mode_16_64 3
		.amdhsa_dx10_clamp 1
		.amdhsa_ieee_mode 1
		.amdhsa_fp16_overflow 0
		.amdhsa_workgroup_processor_mode 1
		.amdhsa_memory_ordered 1
		.amdhsa_forward_progress 1
		.amdhsa_shared_vgpr_count 0
		.amdhsa_exception_fp_ieee_invalid_op 0
		.amdhsa_exception_fp_denorm_src 0
		.amdhsa_exception_fp_ieee_div_zero 0
		.amdhsa_exception_fp_ieee_overflow 0
		.amdhsa_exception_fp_ieee_underflow 0
		.amdhsa_exception_fp_ieee_inexact 0
		.amdhsa_exception_int_div_zero 0
	.end_amdhsa_kernel
	.section	.text._ZN7rocprim17ROCPRIM_400000_NS6detail17trampoline_kernelINS0_13select_configILj256ELj13ELNS0_17block_load_methodE3ELS4_3ELS4_3ELNS0_20block_scan_algorithmE0ELj4294967295EEENS1_25partition_config_selectorILNS1_17partition_subalgoE3EjNS0_10empty_typeEbEEZZNS1_14partition_implILS8_3ELb0ES6_jNS0_17counting_iteratorIjlEEPS9_SE_NS0_5tupleIJPjSE_EEENSF_IJSE_SE_EEES9_SG_JZNS1_25segmented_radix_sort_implINS0_14default_configELb1EPK6__halfPSL_PKlPlN2at6native12_GLOBAL__N_18offset_tEEE10hipError_tPvRmT1_PNSt15iterator_traitsISZ_E10value_typeET2_T3_PNS10_IS15_E10value_typeET4_jRbjT5_S1B_jjP12ihipStream_tbEUljE_EEESW_SX_SY_S15_S19_S1B_T6_T7_T9_mT8_S1D_bDpT10_ENKUlT_T0_E_clISt17integral_constantIbLb0EES1P_IbLb1EEEEDaS1L_S1M_EUlS1L_E_NS1_11comp_targetILNS1_3genE9ELNS1_11target_archE1100ELNS1_3gpuE3ELNS1_3repE0EEENS1_30default_config_static_selectorELNS0_4arch9wavefront6targetE0EEEvSZ_,"axG",@progbits,_ZN7rocprim17ROCPRIM_400000_NS6detail17trampoline_kernelINS0_13select_configILj256ELj13ELNS0_17block_load_methodE3ELS4_3ELS4_3ELNS0_20block_scan_algorithmE0ELj4294967295EEENS1_25partition_config_selectorILNS1_17partition_subalgoE3EjNS0_10empty_typeEbEEZZNS1_14partition_implILS8_3ELb0ES6_jNS0_17counting_iteratorIjlEEPS9_SE_NS0_5tupleIJPjSE_EEENSF_IJSE_SE_EEES9_SG_JZNS1_25segmented_radix_sort_implINS0_14default_configELb1EPK6__halfPSL_PKlPlN2at6native12_GLOBAL__N_18offset_tEEE10hipError_tPvRmT1_PNSt15iterator_traitsISZ_E10value_typeET2_T3_PNS10_IS15_E10value_typeET4_jRbjT5_S1B_jjP12ihipStream_tbEUljE_EEESW_SX_SY_S15_S19_S1B_T6_T7_T9_mT8_S1D_bDpT10_ENKUlT_T0_E_clISt17integral_constantIbLb0EES1P_IbLb1EEEEDaS1L_S1M_EUlS1L_E_NS1_11comp_targetILNS1_3genE9ELNS1_11target_archE1100ELNS1_3gpuE3ELNS1_3repE0EEENS1_30default_config_static_selectorELNS0_4arch9wavefront6targetE0EEEvSZ_,comdat
.Lfunc_end1727:
	.size	_ZN7rocprim17ROCPRIM_400000_NS6detail17trampoline_kernelINS0_13select_configILj256ELj13ELNS0_17block_load_methodE3ELS4_3ELS4_3ELNS0_20block_scan_algorithmE0ELj4294967295EEENS1_25partition_config_selectorILNS1_17partition_subalgoE3EjNS0_10empty_typeEbEEZZNS1_14partition_implILS8_3ELb0ES6_jNS0_17counting_iteratorIjlEEPS9_SE_NS0_5tupleIJPjSE_EEENSF_IJSE_SE_EEES9_SG_JZNS1_25segmented_radix_sort_implINS0_14default_configELb1EPK6__halfPSL_PKlPlN2at6native12_GLOBAL__N_18offset_tEEE10hipError_tPvRmT1_PNSt15iterator_traitsISZ_E10value_typeET2_T3_PNS10_IS15_E10value_typeET4_jRbjT5_S1B_jjP12ihipStream_tbEUljE_EEESW_SX_SY_S15_S19_S1B_T6_T7_T9_mT8_S1D_bDpT10_ENKUlT_T0_E_clISt17integral_constantIbLb0EES1P_IbLb1EEEEDaS1L_S1M_EUlS1L_E_NS1_11comp_targetILNS1_3genE9ELNS1_11target_archE1100ELNS1_3gpuE3ELNS1_3repE0EEENS1_30default_config_static_selectorELNS0_4arch9wavefront6targetE0EEEvSZ_, .Lfunc_end1727-_ZN7rocprim17ROCPRIM_400000_NS6detail17trampoline_kernelINS0_13select_configILj256ELj13ELNS0_17block_load_methodE3ELS4_3ELS4_3ELNS0_20block_scan_algorithmE0ELj4294967295EEENS1_25partition_config_selectorILNS1_17partition_subalgoE3EjNS0_10empty_typeEbEEZZNS1_14partition_implILS8_3ELb0ES6_jNS0_17counting_iteratorIjlEEPS9_SE_NS0_5tupleIJPjSE_EEENSF_IJSE_SE_EEES9_SG_JZNS1_25segmented_radix_sort_implINS0_14default_configELb1EPK6__halfPSL_PKlPlN2at6native12_GLOBAL__N_18offset_tEEE10hipError_tPvRmT1_PNSt15iterator_traitsISZ_E10value_typeET2_T3_PNS10_IS15_E10value_typeET4_jRbjT5_S1B_jjP12ihipStream_tbEUljE_EEESW_SX_SY_S15_S19_S1B_T6_T7_T9_mT8_S1D_bDpT10_ENKUlT_T0_E_clISt17integral_constantIbLb0EES1P_IbLb1EEEEDaS1L_S1M_EUlS1L_E_NS1_11comp_targetILNS1_3genE9ELNS1_11target_archE1100ELNS1_3gpuE3ELNS1_3repE0EEENS1_30default_config_static_selectorELNS0_4arch9wavefront6targetE0EEEvSZ_
                                        ; -- End function
	.set _ZN7rocprim17ROCPRIM_400000_NS6detail17trampoline_kernelINS0_13select_configILj256ELj13ELNS0_17block_load_methodE3ELS4_3ELS4_3ELNS0_20block_scan_algorithmE0ELj4294967295EEENS1_25partition_config_selectorILNS1_17partition_subalgoE3EjNS0_10empty_typeEbEEZZNS1_14partition_implILS8_3ELb0ES6_jNS0_17counting_iteratorIjlEEPS9_SE_NS0_5tupleIJPjSE_EEENSF_IJSE_SE_EEES9_SG_JZNS1_25segmented_radix_sort_implINS0_14default_configELb1EPK6__halfPSL_PKlPlN2at6native12_GLOBAL__N_18offset_tEEE10hipError_tPvRmT1_PNSt15iterator_traitsISZ_E10value_typeET2_T3_PNS10_IS15_E10value_typeET4_jRbjT5_S1B_jjP12ihipStream_tbEUljE_EEESW_SX_SY_S15_S19_S1B_T6_T7_T9_mT8_S1D_bDpT10_ENKUlT_T0_E_clISt17integral_constantIbLb0EES1P_IbLb1EEEEDaS1L_S1M_EUlS1L_E_NS1_11comp_targetILNS1_3genE9ELNS1_11target_archE1100ELNS1_3gpuE3ELNS1_3repE0EEENS1_30default_config_static_selectorELNS0_4arch9wavefront6targetE0EEEvSZ_.num_vgpr, 0
	.set _ZN7rocprim17ROCPRIM_400000_NS6detail17trampoline_kernelINS0_13select_configILj256ELj13ELNS0_17block_load_methodE3ELS4_3ELS4_3ELNS0_20block_scan_algorithmE0ELj4294967295EEENS1_25partition_config_selectorILNS1_17partition_subalgoE3EjNS0_10empty_typeEbEEZZNS1_14partition_implILS8_3ELb0ES6_jNS0_17counting_iteratorIjlEEPS9_SE_NS0_5tupleIJPjSE_EEENSF_IJSE_SE_EEES9_SG_JZNS1_25segmented_radix_sort_implINS0_14default_configELb1EPK6__halfPSL_PKlPlN2at6native12_GLOBAL__N_18offset_tEEE10hipError_tPvRmT1_PNSt15iterator_traitsISZ_E10value_typeET2_T3_PNS10_IS15_E10value_typeET4_jRbjT5_S1B_jjP12ihipStream_tbEUljE_EEESW_SX_SY_S15_S19_S1B_T6_T7_T9_mT8_S1D_bDpT10_ENKUlT_T0_E_clISt17integral_constantIbLb0EES1P_IbLb1EEEEDaS1L_S1M_EUlS1L_E_NS1_11comp_targetILNS1_3genE9ELNS1_11target_archE1100ELNS1_3gpuE3ELNS1_3repE0EEENS1_30default_config_static_selectorELNS0_4arch9wavefront6targetE0EEEvSZ_.num_agpr, 0
	.set _ZN7rocprim17ROCPRIM_400000_NS6detail17trampoline_kernelINS0_13select_configILj256ELj13ELNS0_17block_load_methodE3ELS4_3ELS4_3ELNS0_20block_scan_algorithmE0ELj4294967295EEENS1_25partition_config_selectorILNS1_17partition_subalgoE3EjNS0_10empty_typeEbEEZZNS1_14partition_implILS8_3ELb0ES6_jNS0_17counting_iteratorIjlEEPS9_SE_NS0_5tupleIJPjSE_EEENSF_IJSE_SE_EEES9_SG_JZNS1_25segmented_radix_sort_implINS0_14default_configELb1EPK6__halfPSL_PKlPlN2at6native12_GLOBAL__N_18offset_tEEE10hipError_tPvRmT1_PNSt15iterator_traitsISZ_E10value_typeET2_T3_PNS10_IS15_E10value_typeET4_jRbjT5_S1B_jjP12ihipStream_tbEUljE_EEESW_SX_SY_S15_S19_S1B_T6_T7_T9_mT8_S1D_bDpT10_ENKUlT_T0_E_clISt17integral_constantIbLb0EES1P_IbLb1EEEEDaS1L_S1M_EUlS1L_E_NS1_11comp_targetILNS1_3genE9ELNS1_11target_archE1100ELNS1_3gpuE3ELNS1_3repE0EEENS1_30default_config_static_selectorELNS0_4arch9wavefront6targetE0EEEvSZ_.numbered_sgpr, 0
	.set _ZN7rocprim17ROCPRIM_400000_NS6detail17trampoline_kernelINS0_13select_configILj256ELj13ELNS0_17block_load_methodE3ELS4_3ELS4_3ELNS0_20block_scan_algorithmE0ELj4294967295EEENS1_25partition_config_selectorILNS1_17partition_subalgoE3EjNS0_10empty_typeEbEEZZNS1_14partition_implILS8_3ELb0ES6_jNS0_17counting_iteratorIjlEEPS9_SE_NS0_5tupleIJPjSE_EEENSF_IJSE_SE_EEES9_SG_JZNS1_25segmented_radix_sort_implINS0_14default_configELb1EPK6__halfPSL_PKlPlN2at6native12_GLOBAL__N_18offset_tEEE10hipError_tPvRmT1_PNSt15iterator_traitsISZ_E10value_typeET2_T3_PNS10_IS15_E10value_typeET4_jRbjT5_S1B_jjP12ihipStream_tbEUljE_EEESW_SX_SY_S15_S19_S1B_T6_T7_T9_mT8_S1D_bDpT10_ENKUlT_T0_E_clISt17integral_constantIbLb0EES1P_IbLb1EEEEDaS1L_S1M_EUlS1L_E_NS1_11comp_targetILNS1_3genE9ELNS1_11target_archE1100ELNS1_3gpuE3ELNS1_3repE0EEENS1_30default_config_static_selectorELNS0_4arch9wavefront6targetE0EEEvSZ_.num_named_barrier, 0
	.set _ZN7rocprim17ROCPRIM_400000_NS6detail17trampoline_kernelINS0_13select_configILj256ELj13ELNS0_17block_load_methodE3ELS4_3ELS4_3ELNS0_20block_scan_algorithmE0ELj4294967295EEENS1_25partition_config_selectorILNS1_17partition_subalgoE3EjNS0_10empty_typeEbEEZZNS1_14partition_implILS8_3ELb0ES6_jNS0_17counting_iteratorIjlEEPS9_SE_NS0_5tupleIJPjSE_EEENSF_IJSE_SE_EEES9_SG_JZNS1_25segmented_radix_sort_implINS0_14default_configELb1EPK6__halfPSL_PKlPlN2at6native12_GLOBAL__N_18offset_tEEE10hipError_tPvRmT1_PNSt15iterator_traitsISZ_E10value_typeET2_T3_PNS10_IS15_E10value_typeET4_jRbjT5_S1B_jjP12ihipStream_tbEUljE_EEESW_SX_SY_S15_S19_S1B_T6_T7_T9_mT8_S1D_bDpT10_ENKUlT_T0_E_clISt17integral_constantIbLb0EES1P_IbLb1EEEEDaS1L_S1M_EUlS1L_E_NS1_11comp_targetILNS1_3genE9ELNS1_11target_archE1100ELNS1_3gpuE3ELNS1_3repE0EEENS1_30default_config_static_selectorELNS0_4arch9wavefront6targetE0EEEvSZ_.private_seg_size, 0
	.set _ZN7rocprim17ROCPRIM_400000_NS6detail17trampoline_kernelINS0_13select_configILj256ELj13ELNS0_17block_load_methodE3ELS4_3ELS4_3ELNS0_20block_scan_algorithmE0ELj4294967295EEENS1_25partition_config_selectorILNS1_17partition_subalgoE3EjNS0_10empty_typeEbEEZZNS1_14partition_implILS8_3ELb0ES6_jNS0_17counting_iteratorIjlEEPS9_SE_NS0_5tupleIJPjSE_EEENSF_IJSE_SE_EEES9_SG_JZNS1_25segmented_radix_sort_implINS0_14default_configELb1EPK6__halfPSL_PKlPlN2at6native12_GLOBAL__N_18offset_tEEE10hipError_tPvRmT1_PNSt15iterator_traitsISZ_E10value_typeET2_T3_PNS10_IS15_E10value_typeET4_jRbjT5_S1B_jjP12ihipStream_tbEUljE_EEESW_SX_SY_S15_S19_S1B_T6_T7_T9_mT8_S1D_bDpT10_ENKUlT_T0_E_clISt17integral_constantIbLb0EES1P_IbLb1EEEEDaS1L_S1M_EUlS1L_E_NS1_11comp_targetILNS1_3genE9ELNS1_11target_archE1100ELNS1_3gpuE3ELNS1_3repE0EEENS1_30default_config_static_selectorELNS0_4arch9wavefront6targetE0EEEvSZ_.uses_vcc, 0
	.set _ZN7rocprim17ROCPRIM_400000_NS6detail17trampoline_kernelINS0_13select_configILj256ELj13ELNS0_17block_load_methodE3ELS4_3ELS4_3ELNS0_20block_scan_algorithmE0ELj4294967295EEENS1_25partition_config_selectorILNS1_17partition_subalgoE3EjNS0_10empty_typeEbEEZZNS1_14partition_implILS8_3ELb0ES6_jNS0_17counting_iteratorIjlEEPS9_SE_NS0_5tupleIJPjSE_EEENSF_IJSE_SE_EEES9_SG_JZNS1_25segmented_radix_sort_implINS0_14default_configELb1EPK6__halfPSL_PKlPlN2at6native12_GLOBAL__N_18offset_tEEE10hipError_tPvRmT1_PNSt15iterator_traitsISZ_E10value_typeET2_T3_PNS10_IS15_E10value_typeET4_jRbjT5_S1B_jjP12ihipStream_tbEUljE_EEESW_SX_SY_S15_S19_S1B_T6_T7_T9_mT8_S1D_bDpT10_ENKUlT_T0_E_clISt17integral_constantIbLb0EES1P_IbLb1EEEEDaS1L_S1M_EUlS1L_E_NS1_11comp_targetILNS1_3genE9ELNS1_11target_archE1100ELNS1_3gpuE3ELNS1_3repE0EEENS1_30default_config_static_selectorELNS0_4arch9wavefront6targetE0EEEvSZ_.uses_flat_scratch, 0
	.set _ZN7rocprim17ROCPRIM_400000_NS6detail17trampoline_kernelINS0_13select_configILj256ELj13ELNS0_17block_load_methodE3ELS4_3ELS4_3ELNS0_20block_scan_algorithmE0ELj4294967295EEENS1_25partition_config_selectorILNS1_17partition_subalgoE3EjNS0_10empty_typeEbEEZZNS1_14partition_implILS8_3ELb0ES6_jNS0_17counting_iteratorIjlEEPS9_SE_NS0_5tupleIJPjSE_EEENSF_IJSE_SE_EEES9_SG_JZNS1_25segmented_radix_sort_implINS0_14default_configELb1EPK6__halfPSL_PKlPlN2at6native12_GLOBAL__N_18offset_tEEE10hipError_tPvRmT1_PNSt15iterator_traitsISZ_E10value_typeET2_T3_PNS10_IS15_E10value_typeET4_jRbjT5_S1B_jjP12ihipStream_tbEUljE_EEESW_SX_SY_S15_S19_S1B_T6_T7_T9_mT8_S1D_bDpT10_ENKUlT_T0_E_clISt17integral_constantIbLb0EES1P_IbLb1EEEEDaS1L_S1M_EUlS1L_E_NS1_11comp_targetILNS1_3genE9ELNS1_11target_archE1100ELNS1_3gpuE3ELNS1_3repE0EEENS1_30default_config_static_selectorELNS0_4arch9wavefront6targetE0EEEvSZ_.has_dyn_sized_stack, 0
	.set _ZN7rocprim17ROCPRIM_400000_NS6detail17trampoline_kernelINS0_13select_configILj256ELj13ELNS0_17block_load_methodE3ELS4_3ELS4_3ELNS0_20block_scan_algorithmE0ELj4294967295EEENS1_25partition_config_selectorILNS1_17partition_subalgoE3EjNS0_10empty_typeEbEEZZNS1_14partition_implILS8_3ELb0ES6_jNS0_17counting_iteratorIjlEEPS9_SE_NS0_5tupleIJPjSE_EEENSF_IJSE_SE_EEES9_SG_JZNS1_25segmented_radix_sort_implINS0_14default_configELb1EPK6__halfPSL_PKlPlN2at6native12_GLOBAL__N_18offset_tEEE10hipError_tPvRmT1_PNSt15iterator_traitsISZ_E10value_typeET2_T3_PNS10_IS15_E10value_typeET4_jRbjT5_S1B_jjP12ihipStream_tbEUljE_EEESW_SX_SY_S15_S19_S1B_T6_T7_T9_mT8_S1D_bDpT10_ENKUlT_T0_E_clISt17integral_constantIbLb0EES1P_IbLb1EEEEDaS1L_S1M_EUlS1L_E_NS1_11comp_targetILNS1_3genE9ELNS1_11target_archE1100ELNS1_3gpuE3ELNS1_3repE0EEENS1_30default_config_static_selectorELNS0_4arch9wavefront6targetE0EEEvSZ_.has_recursion, 0
	.set _ZN7rocprim17ROCPRIM_400000_NS6detail17trampoline_kernelINS0_13select_configILj256ELj13ELNS0_17block_load_methodE3ELS4_3ELS4_3ELNS0_20block_scan_algorithmE0ELj4294967295EEENS1_25partition_config_selectorILNS1_17partition_subalgoE3EjNS0_10empty_typeEbEEZZNS1_14partition_implILS8_3ELb0ES6_jNS0_17counting_iteratorIjlEEPS9_SE_NS0_5tupleIJPjSE_EEENSF_IJSE_SE_EEES9_SG_JZNS1_25segmented_radix_sort_implINS0_14default_configELb1EPK6__halfPSL_PKlPlN2at6native12_GLOBAL__N_18offset_tEEE10hipError_tPvRmT1_PNSt15iterator_traitsISZ_E10value_typeET2_T3_PNS10_IS15_E10value_typeET4_jRbjT5_S1B_jjP12ihipStream_tbEUljE_EEESW_SX_SY_S15_S19_S1B_T6_T7_T9_mT8_S1D_bDpT10_ENKUlT_T0_E_clISt17integral_constantIbLb0EES1P_IbLb1EEEEDaS1L_S1M_EUlS1L_E_NS1_11comp_targetILNS1_3genE9ELNS1_11target_archE1100ELNS1_3gpuE3ELNS1_3repE0EEENS1_30default_config_static_selectorELNS0_4arch9wavefront6targetE0EEEvSZ_.has_indirect_call, 0
	.section	.AMDGPU.csdata,"",@progbits
; Kernel info:
; codeLenInByte = 0
; TotalNumSgprs: 0
; NumVgprs: 0
; ScratchSize: 0
; MemoryBound: 0
; FloatMode: 240
; IeeeMode: 1
; LDSByteSize: 0 bytes/workgroup (compile time only)
; SGPRBlocks: 0
; VGPRBlocks: 0
; NumSGPRsForWavesPerEU: 1
; NumVGPRsForWavesPerEU: 1
; Occupancy: 16
; WaveLimiterHint : 0
; COMPUTE_PGM_RSRC2:SCRATCH_EN: 0
; COMPUTE_PGM_RSRC2:USER_SGPR: 6
; COMPUTE_PGM_RSRC2:TRAP_HANDLER: 0
; COMPUTE_PGM_RSRC2:TGID_X_EN: 1
; COMPUTE_PGM_RSRC2:TGID_Y_EN: 0
; COMPUTE_PGM_RSRC2:TGID_Z_EN: 0
; COMPUTE_PGM_RSRC2:TIDIG_COMP_CNT: 0
	.section	.text._ZN7rocprim17ROCPRIM_400000_NS6detail17trampoline_kernelINS0_13select_configILj256ELj13ELNS0_17block_load_methodE3ELS4_3ELS4_3ELNS0_20block_scan_algorithmE0ELj4294967295EEENS1_25partition_config_selectorILNS1_17partition_subalgoE3EjNS0_10empty_typeEbEEZZNS1_14partition_implILS8_3ELb0ES6_jNS0_17counting_iteratorIjlEEPS9_SE_NS0_5tupleIJPjSE_EEENSF_IJSE_SE_EEES9_SG_JZNS1_25segmented_radix_sort_implINS0_14default_configELb1EPK6__halfPSL_PKlPlN2at6native12_GLOBAL__N_18offset_tEEE10hipError_tPvRmT1_PNSt15iterator_traitsISZ_E10value_typeET2_T3_PNS10_IS15_E10value_typeET4_jRbjT5_S1B_jjP12ihipStream_tbEUljE_EEESW_SX_SY_S15_S19_S1B_T6_T7_T9_mT8_S1D_bDpT10_ENKUlT_T0_E_clISt17integral_constantIbLb0EES1P_IbLb1EEEEDaS1L_S1M_EUlS1L_E_NS1_11comp_targetILNS1_3genE8ELNS1_11target_archE1030ELNS1_3gpuE2ELNS1_3repE0EEENS1_30default_config_static_selectorELNS0_4arch9wavefront6targetE0EEEvSZ_,"axG",@progbits,_ZN7rocprim17ROCPRIM_400000_NS6detail17trampoline_kernelINS0_13select_configILj256ELj13ELNS0_17block_load_methodE3ELS4_3ELS4_3ELNS0_20block_scan_algorithmE0ELj4294967295EEENS1_25partition_config_selectorILNS1_17partition_subalgoE3EjNS0_10empty_typeEbEEZZNS1_14partition_implILS8_3ELb0ES6_jNS0_17counting_iteratorIjlEEPS9_SE_NS0_5tupleIJPjSE_EEENSF_IJSE_SE_EEES9_SG_JZNS1_25segmented_radix_sort_implINS0_14default_configELb1EPK6__halfPSL_PKlPlN2at6native12_GLOBAL__N_18offset_tEEE10hipError_tPvRmT1_PNSt15iterator_traitsISZ_E10value_typeET2_T3_PNS10_IS15_E10value_typeET4_jRbjT5_S1B_jjP12ihipStream_tbEUljE_EEESW_SX_SY_S15_S19_S1B_T6_T7_T9_mT8_S1D_bDpT10_ENKUlT_T0_E_clISt17integral_constantIbLb0EES1P_IbLb1EEEEDaS1L_S1M_EUlS1L_E_NS1_11comp_targetILNS1_3genE8ELNS1_11target_archE1030ELNS1_3gpuE2ELNS1_3repE0EEENS1_30default_config_static_selectorELNS0_4arch9wavefront6targetE0EEEvSZ_,comdat
	.globl	_ZN7rocprim17ROCPRIM_400000_NS6detail17trampoline_kernelINS0_13select_configILj256ELj13ELNS0_17block_load_methodE3ELS4_3ELS4_3ELNS0_20block_scan_algorithmE0ELj4294967295EEENS1_25partition_config_selectorILNS1_17partition_subalgoE3EjNS0_10empty_typeEbEEZZNS1_14partition_implILS8_3ELb0ES6_jNS0_17counting_iteratorIjlEEPS9_SE_NS0_5tupleIJPjSE_EEENSF_IJSE_SE_EEES9_SG_JZNS1_25segmented_radix_sort_implINS0_14default_configELb1EPK6__halfPSL_PKlPlN2at6native12_GLOBAL__N_18offset_tEEE10hipError_tPvRmT1_PNSt15iterator_traitsISZ_E10value_typeET2_T3_PNS10_IS15_E10value_typeET4_jRbjT5_S1B_jjP12ihipStream_tbEUljE_EEESW_SX_SY_S15_S19_S1B_T6_T7_T9_mT8_S1D_bDpT10_ENKUlT_T0_E_clISt17integral_constantIbLb0EES1P_IbLb1EEEEDaS1L_S1M_EUlS1L_E_NS1_11comp_targetILNS1_3genE8ELNS1_11target_archE1030ELNS1_3gpuE2ELNS1_3repE0EEENS1_30default_config_static_selectorELNS0_4arch9wavefront6targetE0EEEvSZ_ ; -- Begin function _ZN7rocprim17ROCPRIM_400000_NS6detail17trampoline_kernelINS0_13select_configILj256ELj13ELNS0_17block_load_methodE3ELS4_3ELS4_3ELNS0_20block_scan_algorithmE0ELj4294967295EEENS1_25partition_config_selectorILNS1_17partition_subalgoE3EjNS0_10empty_typeEbEEZZNS1_14partition_implILS8_3ELb0ES6_jNS0_17counting_iteratorIjlEEPS9_SE_NS0_5tupleIJPjSE_EEENSF_IJSE_SE_EEES9_SG_JZNS1_25segmented_radix_sort_implINS0_14default_configELb1EPK6__halfPSL_PKlPlN2at6native12_GLOBAL__N_18offset_tEEE10hipError_tPvRmT1_PNSt15iterator_traitsISZ_E10value_typeET2_T3_PNS10_IS15_E10value_typeET4_jRbjT5_S1B_jjP12ihipStream_tbEUljE_EEESW_SX_SY_S15_S19_S1B_T6_T7_T9_mT8_S1D_bDpT10_ENKUlT_T0_E_clISt17integral_constantIbLb0EES1P_IbLb1EEEEDaS1L_S1M_EUlS1L_E_NS1_11comp_targetILNS1_3genE8ELNS1_11target_archE1030ELNS1_3gpuE2ELNS1_3repE0EEENS1_30default_config_static_selectorELNS0_4arch9wavefront6targetE0EEEvSZ_
	.p2align	8
	.type	_ZN7rocprim17ROCPRIM_400000_NS6detail17trampoline_kernelINS0_13select_configILj256ELj13ELNS0_17block_load_methodE3ELS4_3ELS4_3ELNS0_20block_scan_algorithmE0ELj4294967295EEENS1_25partition_config_selectorILNS1_17partition_subalgoE3EjNS0_10empty_typeEbEEZZNS1_14partition_implILS8_3ELb0ES6_jNS0_17counting_iteratorIjlEEPS9_SE_NS0_5tupleIJPjSE_EEENSF_IJSE_SE_EEES9_SG_JZNS1_25segmented_radix_sort_implINS0_14default_configELb1EPK6__halfPSL_PKlPlN2at6native12_GLOBAL__N_18offset_tEEE10hipError_tPvRmT1_PNSt15iterator_traitsISZ_E10value_typeET2_T3_PNS10_IS15_E10value_typeET4_jRbjT5_S1B_jjP12ihipStream_tbEUljE_EEESW_SX_SY_S15_S19_S1B_T6_T7_T9_mT8_S1D_bDpT10_ENKUlT_T0_E_clISt17integral_constantIbLb0EES1P_IbLb1EEEEDaS1L_S1M_EUlS1L_E_NS1_11comp_targetILNS1_3genE8ELNS1_11target_archE1030ELNS1_3gpuE2ELNS1_3repE0EEENS1_30default_config_static_selectorELNS0_4arch9wavefront6targetE0EEEvSZ_,@function
_ZN7rocprim17ROCPRIM_400000_NS6detail17trampoline_kernelINS0_13select_configILj256ELj13ELNS0_17block_load_methodE3ELS4_3ELS4_3ELNS0_20block_scan_algorithmE0ELj4294967295EEENS1_25partition_config_selectorILNS1_17partition_subalgoE3EjNS0_10empty_typeEbEEZZNS1_14partition_implILS8_3ELb0ES6_jNS0_17counting_iteratorIjlEEPS9_SE_NS0_5tupleIJPjSE_EEENSF_IJSE_SE_EEES9_SG_JZNS1_25segmented_radix_sort_implINS0_14default_configELb1EPK6__halfPSL_PKlPlN2at6native12_GLOBAL__N_18offset_tEEE10hipError_tPvRmT1_PNSt15iterator_traitsISZ_E10value_typeET2_T3_PNS10_IS15_E10value_typeET4_jRbjT5_S1B_jjP12ihipStream_tbEUljE_EEESW_SX_SY_S15_S19_S1B_T6_T7_T9_mT8_S1D_bDpT10_ENKUlT_T0_E_clISt17integral_constantIbLb0EES1P_IbLb1EEEEDaS1L_S1M_EUlS1L_E_NS1_11comp_targetILNS1_3genE8ELNS1_11target_archE1030ELNS1_3gpuE2ELNS1_3repE0EEENS1_30default_config_static_selectorELNS0_4arch9wavefront6targetE0EEEvSZ_: ; @_ZN7rocprim17ROCPRIM_400000_NS6detail17trampoline_kernelINS0_13select_configILj256ELj13ELNS0_17block_load_methodE3ELS4_3ELS4_3ELNS0_20block_scan_algorithmE0ELj4294967295EEENS1_25partition_config_selectorILNS1_17partition_subalgoE3EjNS0_10empty_typeEbEEZZNS1_14partition_implILS8_3ELb0ES6_jNS0_17counting_iteratorIjlEEPS9_SE_NS0_5tupleIJPjSE_EEENSF_IJSE_SE_EEES9_SG_JZNS1_25segmented_radix_sort_implINS0_14default_configELb1EPK6__halfPSL_PKlPlN2at6native12_GLOBAL__N_18offset_tEEE10hipError_tPvRmT1_PNSt15iterator_traitsISZ_E10value_typeET2_T3_PNS10_IS15_E10value_typeET4_jRbjT5_S1B_jjP12ihipStream_tbEUljE_EEESW_SX_SY_S15_S19_S1B_T6_T7_T9_mT8_S1D_bDpT10_ENKUlT_T0_E_clISt17integral_constantIbLb0EES1P_IbLb1EEEEDaS1L_S1M_EUlS1L_E_NS1_11comp_targetILNS1_3genE8ELNS1_11target_archE1030ELNS1_3gpuE2ELNS1_3repE0EEENS1_30default_config_static_selectorELNS0_4arch9wavefront6targetE0EEEvSZ_
; %bb.0:
	s_clause 0x6
	s_load_dwordx2 s[18:19], s[4:5], 0x10
	s_load_dwordx2 s[16:17], s[4:5], 0x28
	;; [unrolled: 1-line block ×3, first 2 shown]
	s_load_dwordx4 s[12:15], s[4:5], 0x48
	s_load_dword s2, s[4:5], 0x90
	s_load_dwordx2 s[22:23], s[4:5], 0x68
	s_load_dwordx4 s[8:11], s[4:5], 0x80
	v_cmp_eq_u32_e64 s0, 0, v0
	s_and_saveexec_b32 s1, s0
	s_cbranch_execz .LBB1728_4
; %bb.1:
	s_mov_b32 s6, exec_lo
	s_mov_b32 s3, exec_lo
	v_mbcnt_lo_u32_b32 v1, s6, 0
                                        ; implicit-def: $vgpr2
	v_cmpx_eq_u32_e32 0, v1
	s_cbranch_execz .LBB1728_3
; %bb.2:
	s_load_dwordx2 s[24:25], s[4:5], 0x78
	s_bcnt1_i32_b32 s6, s6
	v_mov_b32_e32 v2, 0
	v_mov_b32_e32 v3, s6
	s_waitcnt lgkmcnt(0)
	global_atomic_add v2, v2, v3, s[24:25] glc
.LBB1728_3:
	s_or_b32 exec_lo, exec_lo, s3
	s_waitcnt vmcnt(0)
	v_readfirstlane_b32 s3, v2
	v_mov_b32_e32 v2, 0
	v_add_nc_u32_e32 v1, s3, v1
	ds_write_b32 v2, v1
.LBB1728_4:
	s_or_b32 exec_lo, exec_lo, s1
	v_mov_b32_e32 v1, 0
	s_clause 0x1
	s_load_dword s3, s[4:5], 0x8
	s_load_dword s1, s[4:5], 0x70
	s_waitcnt lgkmcnt(0)
	s_barrier
	buffer_gl0_inv
	ds_read_b32 v2, v1
	s_waitcnt lgkmcnt(0)
	s_barrier
	buffer_gl0_inv
	global_load_dwordx2 v[18:19], v1, s[14:15]
	v_lshlrev_b32_e32 v44, 2, v0
	s_add_i32 s4, s3, s18
	s_mul_i32 s5, s1, 0xd00
	s_add_i32 s1, s1, -1
	s_add_i32 s3, s5, s18
	s_sub_i32 s15, s20, s3
	v_readfirstlane_b32 s25, v2
	s_addk_i32 s15, 0xd00
	s_add_u32 s6, s18, s5
	s_addc_u32 s7, s19, 0
	v_cmp_ne_u32_e32 vcc_lo, s1, v2
	v_cmp_gt_u64_e64 s3, s[20:21], s[6:7]
	s_cmp_eq_u32 s25, s1
	s_mul_i32 s24, s25, 0xd00
	s_cselect_b32 s14, -1, 0
	s_mov_b32 s5, -1
	s_or_b32 s3, s3, vcc_lo
	s_and_b32 vcc_lo, exec_lo, s3
	s_cbranch_vccz .LBB1728_6
; %bb.5:
	v_add3_u32 v1, s24, s4, v0
	s_mov_b32 s5, 0
	v_add_nc_u32_e32 v2, 0x100, v1
	v_add_nc_u32_e32 v3, 0x200, v1
	;; [unrolled: 1-line block ×12, first 2 shown]
	ds_write2st64_b32 v44, v1, v2 offset1:4
	ds_write2st64_b32 v44, v3, v4 offset0:8 offset1:12
	ds_write2st64_b32 v44, v5, v6 offset0:16 offset1:20
	;; [unrolled: 1-line block ×5, first 2 shown]
	ds_write_b32 v44, v13 offset:12288
	s_waitcnt vmcnt(0) lgkmcnt(0)
	s_barrier
.LBB1728_6:
	v_cmp_gt_u32_e64 s1, s15, v0
	v_or_b32_e32 v43, 0x100, v0
	v_or_b32_e32 v42, 0x200, v0
	;; [unrolled: 1-line block ×12, first 2 shown]
	s_andn2_b32 vcc_lo, exec_lo, s5
	s_cbranch_vccnz .LBB1728_8
; %bb.7:
	s_add_i32 s4, s24, s4
	v_cmp_gt_u32_e32 vcc_lo, s15, v43
	v_add_nc_u32_e32 v2, s4, v43
	v_add_nc_u32_e32 v3, s4, v42
	v_add_nc_u32_e32 v4, s4, v41
	v_add_nc_u32_e32 v5, s4, v40
	v_add_nc_u32_e32 v6, s4, v39
	v_cndmask_b32_e32 v2, 0, v2, vcc_lo
	v_cmp_gt_u32_e32 vcc_lo, s15, v42
	v_add_nc_u32_e32 v7, s4, v38
	v_add_nc_u32_e32 v8, s4, v37
	;; [unrolled: 1-line block ×4, first 2 shown]
	v_cndmask_b32_e32 v3, 0, v3, vcc_lo
	v_cmp_gt_u32_e32 vcc_lo, s15, v41
	v_add_nc_u32_e32 v11, s4, v34
	v_add_nc_u32_e32 v1, s4, v0
	;; [unrolled: 1-line block ×4, first 2 shown]
	v_cndmask_b32_e32 v4, 0, v4, vcc_lo
	v_cmp_gt_u32_e32 vcc_lo, s15, v40
	v_cndmask_b32_e64 v1, 0, v1, s1
	v_cndmask_b32_e32 v5, 0, v5, vcc_lo
	v_cmp_gt_u32_e32 vcc_lo, s15, v39
	v_cndmask_b32_e32 v6, 0, v6, vcc_lo
	v_cmp_gt_u32_e32 vcc_lo, s15, v38
	;; [unrolled: 2-line block ×8, first 2 shown]
	v_cndmask_b32_e32 v13, 0, v13, vcc_lo
	ds_write2st64_b32 v44, v1, v2 offset1:4
	ds_write2st64_b32 v44, v3, v4 offset0:8 offset1:12
	ds_write2st64_b32 v44, v5, v6 offset0:16 offset1:20
	;; [unrolled: 1-line block ×5, first 2 shown]
	ds_write_b32 v44, v13 offset:12288
	s_waitcnt vmcnt(0) lgkmcnt(0)
	s_barrier
.LBB1728_8:
	v_mul_u32_u24_e32 v47, 13, v0
	s_waitcnt vmcnt(0)
	buffer_gl0_inv
	v_cndmask_b32_e64 v45, 0, 1, s3
	s_andn2_b32 vcc_lo, exec_lo, s3
	v_lshlrev_b32_e32 v1, 2, v47
	ds_read2_b32 v[28:29], v1 offset0:2 offset1:3
	ds_read2_b32 v[24:25], v1 offset0:6 offset1:7
	;; [unrolled: 1-line block ×3, first 2 shown]
	ds_read2_b32 v[30:31], v1 offset1:1
	ds_read2_b32 v[20:21], v1 offset0:10 offset1:11
	ds_read_b32 v46, v1 offset:48
	ds_read2_b32 v[22:23], v1 offset0:8 offset1:9
	s_waitcnt lgkmcnt(0)
	s_barrier
	buffer_gl0_inv
	s_cbranch_vccnz .LBB1728_10
; %bb.9:
	v_add_nc_u32_e32 v1, s9, v29
	v_add_nc_u32_e32 v4, s9, v28
	;; [unrolled: 1-line block ×6, first 2 shown]
	v_mul_lo_u32 v4, v4, s8
	v_mul_lo_u32 v1, v1, s8
	;; [unrolled: 1-line block ×4, first 2 shown]
	v_add_nc_u32_e32 v3, s9, v30
	v_add_nc_u32_e32 v7, s11, v30
	v_mul_lo_u32 v2, v2, s8
	v_mul_lo_u32 v6, v6, s10
	v_add_nc_u32_e32 v10, s11, v27
	v_mul_lo_u32 v3, v3, s8
	v_mul_lo_u32 v7, v7, s10
	v_sub_nc_u32_e32 v1, v1, v5
	v_sub_nc_u32_e32 v4, v4, v8
	v_add_nc_u32_e32 v5, s9, v25
	v_add_nc_u32_e32 v8, s11, v25
	v_sub_nc_u32_e32 v2, v2, v6
	v_add_nc_u32_e32 v6, s9, v27
	v_add_nc_u32_e32 v9, s9, v24
	v_mul_lo_u32 v5, v5, s8
	v_mul_lo_u32 v8, v8, s10
	v_sub_nc_u32_e32 v3, v3, v7
	v_add_nc_u32_e32 v7, s9, v26
	v_add_nc_u32_e32 v11, s11, v24
	v_mul_lo_u32 v6, v6, s8
	v_mul_lo_u32 v10, v10, s10
	v_add_nc_u32_e32 v12, s11, v26
	v_mul_lo_u32 v9, v9, s8
	v_mul_lo_u32 v7, v7, s8
	;; [unrolled: 1-line block ×3, first 2 shown]
	v_sub_nc_u32_e32 v5, v5, v8
	v_mul_lo_u32 v8, v12, s10
	v_cmp_lt_u32_e32 vcc_lo, s2, v1
	v_sub_nc_u32_e32 v6, v6, v10
	v_add_nc_u32_e32 v10, s9, v21
	v_add_nc_u32_e32 v14, s11, v21
	;; [unrolled: 1-line block ×3, first 2 shown]
	v_cndmask_b32_e64 v1, 0, 1, vcc_lo
	v_cmp_lt_u32_e32 vcc_lo, s2, v2
	v_sub_nc_u32_e32 v7, v7, v8
	v_sub_nc_u32_e32 v8, v9, v11
	v_add_nc_u32_e32 v11, s9, v23
	v_mul_lo_u32 v10, v10, s8
	v_mul_lo_u32 v14, v14, s10
	v_cndmask_b32_e64 v2, 0, 1, vcc_lo
	v_cmp_lt_u32_e32 vcc_lo, s2, v5
	v_mul_lo_u32 v11, v11, s8
	v_mul_lo_u32 v15, v15, s10
	v_mov_b32_e32 v9, 8
	v_lshlrev_b16 v2, 8, v2
	v_cndmask_b32_e64 v5, 0, 1, vcc_lo
	v_cmp_lt_u32_e32 vcc_lo, s2, v6
	v_sub_nc_u32_e32 v10, v10, v14
	v_add_nc_u32_e32 v12, s9, v22
	v_add_nc_u32_e32 v16, s11, v22
	v_sub_nc_u32_e32 v11, v11, v15
	v_cndmask_b32_e64 v6, 0, 1, vcc_lo
	v_cmp_lt_u32_e32 vcc_lo, s2, v10
	v_lshrrev_b32_sdwa v2, v9, v2 dst_sel:BYTE_1 dst_unused:UNUSED_PAD src0_sel:DWORD src1_sel:DWORD
	v_add_nc_u32_e32 v13, s9, v20
	v_add_nc_u32_e32 v17, s11, v20
	v_mul_lo_u32 v12, v12, s8
	v_cndmask_b32_e64 v10, 0, 1, vcc_lo
	v_cmp_lt_u32_e32 vcc_lo, s2, v11
	v_mul_lo_u32 v16, v16, s10
	v_mul_lo_u32 v13, v13, s8
	;; [unrolled: 1-line block ×3, first 2 shown]
	v_add_nc_u32_e32 v14, s9, v46
	v_cndmask_b32_e64 v11, 0, 1, vcc_lo
	v_cmp_lt_u32_e32 vcc_lo, s2, v3
	v_add_nc_u32_e32 v15, s11, v46
	v_lshlrev_b16 v1, 8, v1
	v_sub_nc_u32_e32 v12, v12, v16
	v_lshlrev_b16 v11, 8, v11
	v_cndmask_b32_e64 v3, 0, 1, vcc_lo
	v_cmp_lt_u32_e32 vcc_lo, s2, v4
	v_sub_nc_u32_e32 v13, v13, v17
	v_mul_lo_u32 v14, v14, s8
	v_mul_lo_u32 v15, v15, s10
	v_or_b32_e32 v2, v3, v2
	v_cndmask_b32_e64 v3, 0, 1, vcc_lo
	v_cmp_lt_u32_e32 vcc_lo, s2, v7
	v_lshlrev_b16 v6, 8, v6
	v_lshlrev_b16 v10, 8, v10
	;; [unrolled: 1-line block ×3, first 2 shown]
	v_lshrrev_b32_sdwa v1, v9, v1 dst_sel:BYTE_1 dst_unused:UNUSED_PAD src0_sel:DWORD src1_sel:DWORD
	v_cndmask_b32_e64 v4, 0, 1, vcc_lo
	v_cmp_lt_u32_e32 vcc_lo, s2, v8
	v_lshrrev_b32_sdwa v8, v9, v11 dst_sel:BYTE_1 dst_unused:UNUSED_PAD src0_sel:DWORD src1_sel:DWORD
	v_lshrrev_b32_sdwa v6, v9, v6 dst_sel:BYTE_1 dst_unused:UNUSED_PAD src0_sel:DWORD src1_sel:DWORD
	v_sub_nc_u32_e32 v14, v14, v15
	v_lshrrev_b32_sdwa v9, v9, v10 dst_sel:BYTE_1 dst_unused:UNUSED_PAD src0_sel:DWORD src1_sel:DWORD
	v_cndmask_b32_e64 v7, 0, 1, vcc_lo
	v_cmp_lt_u32_e32 vcc_lo, s2, v12
	v_or_b32_sdwa v1, v3, v1 dst_sel:WORD_1 dst_unused:UNUSED_PAD src0_sel:DWORD src1_sel:DWORD
	v_or_b32_e32 v3, v4, v6
	v_or_b32_sdwa v4, v7, v5 dst_sel:WORD_1 dst_unused:UNUSED_PAD src0_sel:DWORD src1_sel:DWORD
	v_cndmask_b32_e64 v11, 0, 1, vcc_lo
	v_cmp_lt_u32_e32 vcc_lo, s2, v13
	v_or_b32_sdwa v52, v2, v1 dst_sel:DWORD dst_unused:UNUSED_PAD src0_sel:WORD_0 src1_sel:DWORD
	v_or_b32_sdwa v50, v3, v4 dst_sel:DWORD dst_unused:UNUSED_PAD src0_sel:WORD_0 src1_sel:DWORD
	v_or_b32_e32 v5, v11, v8
	v_cndmask_b32_e64 v10, 0, 1, vcc_lo
	v_cmp_lt_u32_e32 vcc_lo, s2, v14
	v_or_b32_sdwa v6, v10, v9 dst_sel:WORD_1 dst_unused:UNUSED_PAD src0_sel:DWORD src1_sel:DWORD
	v_cndmask_b32_e64 v48, 0, 1, vcc_lo
	v_or_b32_sdwa v49, v5, v6 dst_sel:DWORD dst_unused:UNUSED_PAD src0_sel:WORD_0 src1_sel:DWORD
	s_cbranch_execz .LBB1728_11
	s_branch .LBB1728_38
.LBB1728_10:
                                        ; implicit-def: $vgpr48
                                        ; implicit-def: $vgpr49
                                        ; implicit-def: $vgpr50
                                        ; implicit-def: $vgpr52
.LBB1728_11:
	v_mov_b32_e32 v2, 0
	v_mov_b32_e32 v1, 0
	s_mov_b32 s1, exec_lo
	v_cmpx_gt_u32_e64 s15, v47
	s_cbranch_execz .LBB1728_13
; %bb.12:
	v_add_nc_u32_e32 v1, s9, v30
	v_add_nc_u32_e32 v3, s11, v30
	v_mul_lo_u32 v1, v1, s8
	v_mul_lo_u32 v3, v3, s10
	v_sub_nc_u32_e32 v1, v1, v3
	v_cmp_lt_u32_e32 vcc_lo, s2, v1
	v_cndmask_b32_e64 v1, 0, 1, vcc_lo
.LBB1728_13:
	s_or_b32 exec_lo, exec_lo, s1
	v_add_nc_u32_e32 v3, 1, v47
	s_mov_b32 s1, exec_lo
	v_cmpx_gt_u32_e64 s15, v3
	s_cbranch_execz .LBB1728_15
; %bb.14:
	v_add_nc_u32_e32 v2, s9, v31
	v_add_nc_u32_e32 v3, s11, v31
	v_mul_lo_u32 v2, v2, s8
	v_mul_lo_u32 v3, v3, s10
	v_sub_nc_u32_e32 v2, v2, v3
	v_cmp_lt_u32_e32 vcc_lo, s2, v2
	v_cndmask_b32_e64 v2, 0, 1, vcc_lo
.LBB1728_15:
	s_or_b32 exec_lo, exec_lo, s1
	v_add_nc_u32_e32 v3, 2, v47
	v_mov_b32_e32 v4, 0
	v_cmp_gt_u32_e32 vcc_lo, s15, v3
	v_mov_b32_e32 v3, 0
	s_and_saveexec_b32 s1, vcc_lo
	s_cbranch_execz .LBB1728_17
; %bb.16:
	v_add_nc_u32_e32 v3, s9, v28
	v_add_nc_u32_e32 v5, s11, v28
	v_mul_lo_u32 v3, v3, s8
	v_mul_lo_u32 v5, v5, s10
	v_sub_nc_u32_e32 v3, v3, v5
	v_cmp_lt_u32_e32 vcc_lo, s2, v3
	v_cndmask_b32_e64 v3, 0, 1, vcc_lo
.LBB1728_17:
	s_or_b32 exec_lo, exec_lo, s1
	v_add_nc_u32_e32 v5, 3, v47
	s_mov_b32 s1, exec_lo
	v_cmpx_gt_u32_e64 s15, v5
	s_cbranch_execz .LBB1728_19
; %bb.18:
	v_add_nc_u32_e32 v4, s9, v29
	v_add_nc_u32_e32 v5, s11, v29
	v_mul_lo_u32 v4, v4, s8
	v_mul_lo_u32 v5, v5, s10
	v_sub_nc_u32_e32 v4, v4, v5
	v_cmp_lt_u32_e32 vcc_lo, s2, v4
	v_cndmask_b32_e64 v4, 0, 1, vcc_lo
.LBB1728_19:
	s_or_b32 exec_lo, exec_lo, s1
	v_add_nc_u32_e32 v5, 4, v47
	v_mov_b32_e32 v6, 0
	v_cmp_gt_u32_e32 vcc_lo, s15, v5
	v_mov_b32_e32 v5, 0
	s_and_saveexec_b32 s1, vcc_lo
	;; [unrolled: 30-line block ×5, first 2 shown]
	s_cbranch_execz .LBB1728_33
; %bb.32:
	v_add_nc_u32_e32 v11, s9, v20
	v_add_nc_u32_e32 v13, s11, v20
	v_mul_lo_u32 v11, v11, s8
	v_mul_lo_u32 v13, v13, s10
	v_sub_nc_u32_e32 v11, v11, v13
	v_cmp_lt_u32_e32 vcc_lo, s2, v11
	v_cndmask_b32_e64 v11, 0, 1, vcc_lo
.LBB1728_33:
	s_or_b32 exec_lo, exec_lo, s1
	v_add_nc_u32_e32 v13, 11, v47
	s_mov_b32 s1, exec_lo
	v_cmpx_gt_u32_e64 s15, v13
	s_cbranch_execz .LBB1728_35
; %bb.34:
	v_add_nc_u32_e32 v12, s9, v21
	v_add_nc_u32_e32 v13, s11, v21
	v_mul_lo_u32 v12, v12, s8
	v_mul_lo_u32 v13, v13, s10
	v_sub_nc_u32_e32 v12, v12, v13
	v_cmp_lt_u32_e32 vcc_lo, s2, v12
	v_cndmask_b32_e64 v12, 0, 1, vcc_lo
.LBB1728_35:
	s_or_b32 exec_lo, exec_lo, s1
	v_add_nc_u32_e32 v13, 12, v47
	v_mov_b32_e32 v48, 0
	s_mov_b32 s1, exec_lo
	v_cmpx_gt_u32_e64 s15, v13
	s_cbranch_execz .LBB1728_37
; %bb.36:
	v_add_nc_u32_e32 v13, s9, v46
	v_add_nc_u32_e32 v14, s11, v46
	v_mul_lo_u32 v13, v13, s8
	v_mul_lo_u32 v14, v14, s10
	v_sub_nc_u32_e32 v13, v13, v14
	v_cmp_lt_u32_e32 vcc_lo, s2, v13
	v_cndmask_b32_e64 v48, 0, 1, vcc_lo
.LBB1728_37:
	s_or_b32 exec_lo, exec_lo, s1
	v_lshlrev_b16 v2, 8, v2
	v_lshlrev_b16 v4, 8, v4
	;; [unrolled: 1-line block ×5, first 2 shown]
	v_or_b32_e32 v1, v1, v2
	v_lshlrev_b16 v2, 8, v12
	v_or_b32_sdwa v3, v3, v4 dst_sel:WORD_1 dst_unused:UNUSED_PAD src0_sel:DWORD src1_sel:DWORD
	v_or_b32_e32 v4, v5, v6
	v_or_b32_sdwa v5, v7, v8 dst_sel:WORD_1 dst_unused:UNUSED_PAD src0_sel:DWORD src1_sel:DWORD
	v_or_b32_e32 v6, v9, v10
	v_or_b32_sdwa v2, v11, v2 dst_sel:WORD_1 dst_unused:UNUSED_PAD src0_sel:DWORD src1_sel:DWORD
	v_or_b32_sdwa v52, v1, v3 dst_sel:DWORD dst_unused:UNUSED_PAD src0_sel:WORD_0 src1_sel:DWORD
	v_or_b32_sdwa v50, v4, v5 dst_sel:DWORD dst_unused:UNUSED_PAD src0_sel:WORD_0 src1_sel:DWORD
	;; [unrolled: 1-line block ×3, first 2 shown]
.LBB1728_38:
	v_and_b32_e32 v55, 0xff, v52
	v_bfe_u32 v56, v52, 8, 8
	v_bfe_u32 v57, v52, 16, 8
	v_lshrrev_b32_e32 v54, 24, v52
	v_and_b32_e32 v58, 0xff, v50
	v_bfe_u32 v59, v50, 8, 8
	v_bfe_u32 v60, v50, 16, 8
	v_add3_u32 v1, v56, v55, v57
	v_lshrrev_b32_e32 v53, 24, v50
	v_and_b32_e32 v61, 0xff, v49
	v_bfe_u32 v62, v49, 8, 8
	v_mbcnt_lo_u32_b32 v64, -1, 0
	v_add3_u32 v1, v1, v54, v58
	v_bfe_u32 v63, v49, 16, 8
	v_lshrrev_b32_e32 v51, 24, v49
	v_and_b32_e32 v2, 0xff, v48
	v_and_b32_e32 v3, 15, v64
	v_add3_u32 v1, v1, v59, v60
	v_or_b32_e32 v4, 31, v0
	v_and_b32_e32 v5, 16, v64
	v_lshrrev_b32_e32 v65, 5, v0
	v_cmp_eq_u32_e64 s6, 0, v3
	v_add3_u32 v1, v1, v53, v61
	v_cmp_lt_u32_e64 s5, 1, v3
	v_cmp_lt_u32_e64 s4, 3, v3
	v_cmp_lt_u32_e64 s3, 7, v3
	v_cmp_eq_u32_e64 s2, 0, v5
	v_add3_u32 v1, v1, v62, v63
	v_cmp_eq_u32_e64 s1, v0, v4
	s_cmp_lg_u32 s25, 0
	s_mov_b32 s7, -1
	v_add3_u32 v66, v1, v51, v2
	s_cbranch_scc0 .LBB1728_60
; %bb.39:
	v_mov_b32_dpp v1, v66 row_shr:1 row_mask:0xf bank_mask:0xf
	v_cndmask_b32_e64 v1, v1, 0, s6
	v_add_nc_u32_e32 v1, v1, v66
	v_mov_b32_dpp v2, v1 row_shr:2 row_mask:0xf bank_mask:0xf
	v_cndmask_b32_e64 v2, 0, v2, s5
	v_add_nc_u32_e32 v1, v1, v2
	;; [unrolled: 3-line block ×4, first 2 shown]
	ds_swizzle_b32 v2, v1 offset:swizzle(BROADCAST,32,15)
	s_waitcnt lgkmcnt(0)
	v_cndmask_b32_e64 v2, v2, 0, s2
	v_add_nc_u32_e32 v1, v1, v2
	s_and_saveexec_b32 s7, s1
; %bb.40:
	v_lshlrev_b32_e32 v2, 2, v65
	ds_write_b32 v2, v1
; %bb.41:
	s_or_b32 exec_lo, exec_lo, s7
	s_mov_b32 s7, exec_lo
	s_waitcnt lgkmcnt(0)
	s_barrier
	buffer_gl0_inv
	v_cmpx_gt_u32_e32 8, v0
	s_cbranch_execz .LBB1728_43
; %bb.42:
	ds_read_b32 v2, v44
	v_and_b32_e32 v3, 7, v64
	v_cmp_ne_u32_e32 vcc_lo, 0, v3
	s_waitcnt lgkmcnt(0)
	v_mov_b32_dpp v4, v2 row_shr:1 row_mask:0xf bank_mask:0xf
	v_cndmask_b32_e32 v4, 0, v4, vcc_lo
	v_cmp_lt_u32_e32 vcc_lo, 1, v3
	v_add_nc_u32_e32 v2, v4, v2
	v_mov_b32_dpp v4, v2 row_shr:2 row_mask:0xf bank_mask:0xf
	v_cndmask_b32_e32 v4, 0, v4, vcc_lo
	v_cmp_lt_u32_e32 vcc_lo, 3, v3
	v_add_nc_u32_e32 v2, v2, v4
	v_mov_b32_dpp v4, v2 row_shr:4 row_mask:0xf bank_mask:0xf
	v_cndmask_b32_e32 v3, 0, v4, vcc_lo
	v_add_nc_u32_e32 v2, v2, v3
	ds_write_b32 v44, v2
.LBB1728_43:
	s_or_b32 exec_lo, exec_lo, s7
	s_mov_b32 s8, exec_lo
	v_cmp_gt_u32_e32 vcc_lo, 32, v0
	s_waitcnt lgkmcnt(0)
	s_barrier
	buffer_gl0_inv
                                        ; implicit-def: $vgpr10
	v_cmpx_lt_u32_e32 31, v0
	s_cbranch_execz .LBB1728_45
; %bb.44:
	v_lshl_add_u32 v2, v65, 2, -4
	ds_read_b32 v10, v2
	s_waitcnt lgkmcnt(0)
	v_add_nc_u32_e32 v1, v10, v1
.LBB1728_45:
	s_or_b32 exec_lo, exec_lo, s8
	v_sub_co_u32 v2, s7, v64, 1
	v_cmp_gt_i32_e64 s8, 0, v2
	v_cndmask_b32_e64 v2, v2, v64, s8
	v_lshlrev_b32_e32 v2, 2, v2
	ds_bpermute_b32 v11, v2, v1
	s_and_saveexec_b32 s8, vcc_lo
	s_cbranch_execz .LBB1728_65
; %bb.46:
	v_mov_b32_e32 v7, 0
	ds_read_b32 v1, v7 offset:28
	s_and_saveexec_b32 s9, s7
	s_cbranch_execz .LBB1728_48
; %bb.47:
	s_add_i32 s10, s25, 32
	s_mov_b32 s11, 0
	v_mov_b32_e32 v2, 1
	s_lshl_b64 s[10:11], s[10:11], 3
	s_add_u32 s10, s22, s10
	s_addc_u32 s11, s23, s11
	s_waitcnt lgkmcnt(0)
	global_store_dwordx2 v7, v[1:2], s[10:11]
.LBB1728_48:
	s_or_b32 exec_lo, exec_lo, s9
	v_xad_u32 v3, v64, -1, s25
	s_mov_b32 s10, 0
	v_add_nc_u32_e32 v6, 32, v3
	v_lshlrev_b64 v[4:5], 3, v[6:7]
	v_add_co_u32 v8, vcc_lo, s22, v4
	v_add_co_ci_u32_e64 v9, null, s23, v5, vcc_lo
	global_load_dwordx2 v[5:6], v[8:9], off glc dlc
	s_waitcnt vmcnt(0)
	v_cmp_eq_u16_sdwa s11, v6, v7 src0_sel:BYTE_0 src1_sel:DWORD
	s_and_saveexec_b32 s9, s11
	s_cbranch_execz .LBB1728_52
; %bb.49:
	v_mov_b32_e32 v2, 0
.LBB1728_50:                            ; =>This Inner Loop Header: Depth=1
	global_load_dwordx2 v[5:6], v[8:9], off glc dlc
	s_waitcnt vmcnt(0)
	v_cmp_ne_u16_sdwa s11, v6, v2 src0_sel:BYTE_0 src1_sel:DWORD
	s_or_b32 s10, s11, s10
	s_andn2_b32 exec_lo, exec_lo, s10
	s_cbranch_execnz .LBB1728_50
; %bb.51:
	s_or_b32 exec_lo, exec_lo, s10
.LBB1728_52:
	s_or_b32 exec_lo, exec_lo, s9
	v_cmp_ne_u32_e32 vcc_lo, 31, v64
	v_mov_b32_e32 v12, 2
	v_lshlrev_b32_e64 v13, v64, -1
	v_add_nc_u32_e32 v15, 2, v64
	v_add_nc_u32_e32 v17, 4, v64
	v_add_co_ci_u32_e64 v2, null, 0, v64, vcc_lo
	v_cmp_eq_u16_sdwa s9, v6, v12 src0_sel:BYTE_0 src1_sel:DWORD
	v_cmp_gt_u32_e32 vcc_lo, 30, v64
	v_add_nc_u32_e32 v68, 8, v64
	v_lshlrev_b32_e32 v9, 2, v2
	v_lshl_or_b32 v69, v64, 2, 64
	v_and_or_b32 v4, s9, v13, 0x80000000
	v_cndmask_b32_e64 v7, 0, 2, vcc_lo
	v_add_nc_u32_e32 v70, 16, v64
	ds_bpermute_b32 v2, v9, v5
	v_ffbl_b32_e32 v4, v4
	v_add_lshl_u32 v14, v7, v64, 2
	v_cmp_lt_u32_e32 vcc_lo, v64, v4
	s_waitcnt lgkmcnt(0)
	v_cndmask_b32_e32 v2, 0, v2, vcc_lo
	v_cmp_gt_u32_e32 vcc_lo, 28, v64
	v_add_nc_u32_e32 v2, v2, v5
	v_cndmask_b32_e64 v7, 0, 4, vcc_lo
	v_cmp_le_u32_e32 vcc_lo, v15, v4
	ds_bpermute_b32 v5, v14, v2
	v_add_lshl_u32 v16, v7, v64, 2
	s_waitcnt lgkmcnt(0)
	v_cndmask_b32_e32 v5, 0, v5, vcc_lo
	v_cmp_gt_u32_e32 vcc_lo, 24, v64
	v_add_nc_u32_e32 v2, v2, v5
	v_cndmask_b32_e64 v7, 0, 8, vcc_lo
	v_cmp_le_u32_e32 vcc_lo, v17, v4
	ds_bpermute_b32 v5, v16, v2
	v_add_lshl_u32 v67, v7, v64, 2
	s_waitcnt lgkmcnt(0)
	v_cndmask_b32_e32 v5, 0, v5, vcc_lo
	v_cmp_le_u32_e32 vcc_lo, v68, v4
	v_add_nc_u32_e32 v2, v2, v5
	ds_bpermute_b32 v5, v67, v2
	s_waitcnt lgkmcnt(0)
	v_cndmask_b32_e32 v5, 0, v5, vcc_lo
	v_cmp_le_u32_e32 vcc_lo, v70, v4
	v_add_nc_u32_e32 v2, v2, v5
	ds_bpermute_b32 v5, v69, v2
	s_waitcnt lgkmcnt(0)
	v_cndmask_b32_e32 v4, 0, v5, vcc_lo
	v_add_nc_u32_e32 v5, v2, v4
	v_mov_b32_e32 v4, 0
	s_branch .LBB1728_56
.LBB1728_53:                            ;   in Loop: Header=BB1728_56 Depth=1
	s_or_b32 exec_lo, exec_lo, s10
.LBB1728_54:                            ;   in Loop: Header=BB1728_56 Depth=1
	s_or_b32 exec_lo, exec_lo, s9
	ds_bpermute_b32 v7, v9, v5
	v_cmp_eq_u16_sdwa s9, v6, v12 src0_sel:BYTE_0 src1_sel:DWORD
	v_subrev_nc_u32_e32 v3, 32, v3
	v_and_or_b32 v8, s9, v13, 0x80000000
	s_mov_b32 s9, 0
	v_ffbl_b32_e32 v8, v8
	v_cmp_lt_u32_e32 vcc_lo, v64, v8
	s_waitcnt lgkmcnt(0)
	v_cndmask_b32_e32 v7, 0, v7, vcc_lo
	v_cmp_le_u32_e32 vcc_lo, v15, v8
	v_add_nc_u32_e32 v5, v7, v5
	ds_bpermute_b32 v7, v14, v5
	s_waitcnt lgkmcnt(0)
	v_cndmask_b32_e32 v7, 0, v7, vcc_lo
	v_cmp_le_u32_e32 vcc_lo, v17, v8
	v_add_nc_u32_e32 v5, v5, v7
	ds_bpermute_b32 v7, v16, v5
	;; [unrolled: 5-line block ×4, first 2 shown]
	s_waitcnt lgkmcnt(0)
	v_cndmask_b32_e32 v7, 0, v7, vcc_lo
	v_add3_u32 v5, v7, v2, v5
.LBB1728_55:                            ;   in Loop: Header=BB1728_56 Depth=1
	s_and_b32 vcc_lo, exec_lo, s9
	s_cbranch_vccnz .LBB1728_61
.LBB1728_56:                            ; =>This Loop Header: Depth=1
                                        ;     Child Loop BB1728_59 Depth 2
	v_cmp_ne_u16_sdwa s9, v6, v12 src0_sel:BYTE_0 src1_sel:DWORD
	v_mov_b32_e32 v2, v5
                                        ; implicit-def: $vgpr5
                                        ; implicit-def: $vgpr6
	s_cmp_lg_u32 s9, exec_lo
	s_mov_b32 s9, -1
	s_cbranch_scc1 .LBB1728_55
; %bb.57:                               ;   in Loop: Header=BB1728_56 Depth=1
	v_lshlrev_b64 v[5:6], 3, v[3:4]
	v_add_co_u32 v7, vcc_lo, s22, v5
	v_add_co_ci_u32_e64 v8, null, s23, v6, vcc_lo
	global_load_dwordx2 v[5:6], v[7:8], off glc dlc
	s_waitcnt vmcnt(0)
	v_cmp_eq_u16_sdwa s10, v6, v4 src0_sel:BYTE_0 src1_sel:DWORD
	s_and_saveexec_b32 s9, s10
	s_cbranch_execz .LBB1728_54
; %bb.58:                               ;   in Loop: Header=BB1728_56 Depth=1
	s_mov_b32 s10, 0
.LBB1728_59:                            ;   Parent Loop BB1728_56 Depth=1
                                        ; =>  This Inner Loop Header: Depth=2
	global_load_dwordx2 v[5:6], v[7:8], off glc dlc
	s_waitcnt vmcnt(0)
	v_cmp_ne_u16_sdwa s11, v6, v4 src0_sel:BYTE_0 src1_sel:DWORD
	s_or_b32 s10, s11, s10
	s_andn2_b32 exec_lo, exec_lo, s10
	s_cbranch_execnz .LBB1728_59
	s_branch .LBB1728_53
.LBB1728_60:
                                        ; implicit-def: $vgpr17
                                        ; implicit-def: $vgpr1_vgpr2_vgpr3_vgpr4_vgpr5_vgpr6_vgpr7_vgpr8_vgpr9_vgpr10_vgpr11_vgpr12_vgpr13_vgpr14_vgpr15_vgpr16
	s_and_b32 vcc_lo, exec_lo, s7
	s_cbranch_vccnz .LBB1728_66
	s_branch .LBB1728_75
.LBB1728_61:
	s_and_saveexec_b32 s9, s7
	s_cbranch_execz .LBB1728_63
; %bb.62:
	s_add_i32 s10, s25, 32
	s_mov_b32 s11, 0
	v_add_nc_u32_e32 v3, v2, v1
	v_mov_b32_e32 v4, 2
	s_lshl_b64 s[10:11], s[10:11], 3
	v_mov_b32_e32 v5, 0
	s_add_u32 s10, s22, s10
	s_addc_u32 s11, s23, s11
	global_store_dwordx2 v5, v[3:4], s[10:11]
	ds_write_b64 v5, v[1:2] offset:13312
.LBB1728_63:
	s_or_b32 exec_lo, exec_lo, s9
	s_and_b32 exec_lo, exec_lo, s0
; %bb.64:
	v_mov_b32_e32 v1, 0
	ds_write_b32 v1, v2 offset:28
.LBB1728_65:
	s_or_b32 exec_lo, exec_lo, s8
	v_mov_b32_e32 v12, 0
	s_waitcnt lgkmcnt(0)
	s_waitcnt_vscnt null, 0x0
	s_barrier
	buffer_gl0_inv
	v_cndmask_b32_e64 v2, v11, v10, s7
	ds_read_b32 v1, v12 offset:28
	s_waitcnt lgkmcnt(0)
	s_barrier
	buffer_gl0_inv
	v_cndmask_b32_e64 v2, v2, 0, s0
	ds_read_b64 v[16:17], v12 offset:13312
	v_add_nc_u32_e32 v1, v1, v2
	v_add_nc_u32_e32 v2, v1, v55
	;; [unrolled: 1-line block ×13, first 2 shown]
	s_branch .LBB1728_75
.LBB1728_66:
	v_mov_b32_dpp v1, v66 row_shr:1 row_mask:0xf bank_mask:0xf
	v_cndmask_b32_e64 v1, v1, 0, s6
	v_add_nc_u32_e32 v1, v1, v66
	v_mov_b32_dpp v2, v1 row_shr:2 row_mask:0xf bank_mask:0xf
	v_cndmask_b32_e64 v2, 0, v2, s5
	v_add_nc_u32_e32 v1, v1, v2
	;; [unrolled: 3-line block ×4, first 2 shown]
	ds_swizzle_b32 v2, v1 offset:swizzle(BROADCAST,32,15)
	s_waitcnt lgkmcnt(0)
	v_cndmask_b32_e64 v2, v2, 0, s2
	v_add_nc_u32_e32 v1, v1, v2
	s_and_saveexec_b32 s2, s1
; %bb.67:
	v_lshlrev_b32_e32 v2, 2, v65
	ds_write_b32 v2, v1
; %bb.68:
	s_or_b32 exec_lo, exec_lo, s2
	s_mov_b32 s1, exec_lo
	s_waitcnt lgkmcnt(0)
	s_barrier
	buffer_gl0_inv
	v_cmpx_gt_u32_e32 8, v0
	s_cbranch_execz .LBB1728_70
; %bb.69:
	ds_read_b32 v2, v44
	v_and_b32_e32 v3, 7, v64
	v_cmp_ne_u32_e32 vcc_lo, 0, v3
	s_waitcnt lgkmcnt(0)
	v_mov_b32_dpp v4, v2 row_shr:1 row_mask:0xf bank_mask:0xf
	v_cndmask_b32_e32 v4, 0, v4, vcc_lo
	v_cmp_lt_u32_e32 vcc_lo, 1, v3
	v_add_nc_u32_e32 v2, v4, v2
	v_mov_b32_dpp v4, v2 row_shr:2 row_mask:0xf bank_mask:0xf
	v_cndmask_b32_e32 v4, 0, v4, vcc_lo
	v_cmp_lt_u32_e32 vcc_lo, 3, v3
	v_add_nc_u32_e32 v2, v2, v4
	v_mov_b32_dpp v4, v2 row_shr:4 row_mask:0xf bank_mask:0xf
	v_cndmask_b32_e32 v3, 0, v4, vcc_lo
	v_add_nc_u32_e32 v2, v2, v3
	ds_write_b32 v44, v2
.LBB1728_70:
	s_or_b32 exec_lo, exec_lo, s1
	v_mov_b32_e32 v3, 0
	v_mov_b32_e32 v2, 0
	s_mov_b32 s1, exec_lo
	s_waitcnt lgkmcnt(0)
	s_barrier
	buffer_gl0_inv
	v_cmpx_lt_u32_e32 31, v0
; %bb.71:
	v_lshl_add_u32 v2, v65, 2, -4
	ds_read_b32 v2, v2
; %bb.72:
	s_or_b32 exec_lo, exec_lo, s1
	v_sub_co_u32 v4, vcc_lo, v64, 1
	s_waitcnt lgkmcnt(0)
	v_add_nc_u32_e32 v1, v2, v1
	ds_read_b32 v16, v3 offset:28
	v_cmp_gt_i32_e64 s1, 0, v4
	v_cndmask_b32_e64 v4, v4, v64, s1
	v_lshlrev_b32_e32 v4, 2, v4
	ds_bpermute_b32 v1, v4, v1
	s_and_saveexec_b32 s1, s0
	s_cbranch_execz .LBB1728_74
; %bb.73:
	v_mov_b32_e32 v3, 0
	v_mov_b32_e32 v17, 2
	s_waitcnt lgkmcnt(1)
	global_store_dwordx2 v3, v[16:17], s[22:23] offset:256
.LBB1728_74:
	s_or_b32 exec_lo, exec_lo, s1
	s_waitcnt lgkmcnt(0)
	v_cndmask_b32_e32 v1, v1, v2, vcc_lo
	v_mov_b32_e32 v17, 0
	s_waitcnt_vscnt null, 0x0
	s_barrier
	buffer_gl0_inv
	v_cndmask_b32_e64 v1, v1, 0, s0
	v_add_nc_u32_e32 v2, v1, v55
	v_add_nc_u32_e32 v3, v2, v56
	;; [unrolled: 1-line block ×12, first 2 shown]
.LBB1728_75:
	s_waitcnt lgkmcnt(0)
	v_add_nc_u32_e32 v47, v16, v47
	v_sub_nc_u32_e32 v1, v1, v17
	v_and_b32_e32 v56, 1, v52
	v_lshrrev_b32_e32 v55, 8, v52
	v_sub_nc_u32_e32 v2, v2, v17
	v_sub_nc_u32_e32 v3, v3, v17
	;; [unrolled: 1-line block ×3, first 2 shown]
	v_cmp_eq_u32_e32 vcc_lo, 1, v56
	v_and_b32_e32 v55, 1, v55
	v_mov_b32_e32 v58, 1
	v_sub_nc_u32_e32 v56, v47, v2
	v_sub_nc_u32_e32 v4, v4, v17
	v_cndmask_b32_e32 v1, v57, v1, vcc_lo
	v_sub_nc_u32_e32 v57, v47, v3
	v_and_b32_sdwa v52, v58, v52 dst_sel:DWORD dst_unused:UNUSED_PAD src0_sel:DWORD src1_sel:WORD_1
	v_add_nc_u32_e32 v56, 1, v56
	v_cmp_eq_u32_e32 vcc_lo, 1, v55
	v_lshlrev_b32_e32 v1, 2, v1
	v_and_b32_e32 v54, 1, v54
	v_sub_nc_u32_e32 v59, v47, v4
	v_add_nc_u32_e32 v57, 2, v57
	v_lshrrev_b32_e32 v15, 8, v50
	ds_write_b32 v1, v30
	v_cndmask_b32_e32 v1, v56, v2, vcc_lo
	v_cmp_eq_u32_e32 vcc_lo, 1, v52
	v_add_nc_u32_e32 v59, 3, v59
	v_lshrrev_b32_e32 v14, 8, v49
	v_lshlrev_b32_e32 v1, 2, v1
	v_cndmask_b32_e32 v2, v57, v3, vcc_lo
	v_cmp_eq_u32_e32 vcc_lo, 1, v54
	ds_write_b32 v1, v31
	v_lshlrev_b32_e32 v2, 2, v2
	v_cndmask_b32_e32 v3, v59, v4, vcc_lo
	v_sub_nc_u32_e32 v4, v5, v17
	v_sub_nc_u32_e32 v5, v6, v17
	v_lshlrev_b32_e32 v3, 2, v3
	v_sub_nc_u32_e32 v1, v47, v4
	v_sub_nc_u32_e32 v6, v47, v5
	ds_write_b32 v2, v28
	ds_write_b32 v3, v29
	v_and_b32_e32 v2, 1, v50
	v_add_nc_u32_e32 v1, 4, v1
	v_add_nc_u32_e32 v3, 5, v6
	v_sub_nc_u32_e32 v6, v7, v17
	v_and_b32_e32 v7, 1, v15
	v_cmp_eq_u32_e32 vcc_lo, 1, v2
	v_sub_nc_u32_e32 v2, v8, v17
	v_and_b32_e32 v8, 1, v53
	v_add_co_u32 v15, s1, v18, v17
	v_cndmask_b32_e32 v1, v1, v4, vcc_lo
	v_sub_nc_u32_e32 v4, v47, v6
	v_cmp_eq_u32_e32 vcc_lo, 1, v7
	v_and_b32_sdwa v7, v58, v50 dst_sel:DWORD dst_unused:UNUSED_PAD src0_sel:DWORD src1_sel:WORD_1
	v_lshlrev_b32_e32 v1, 2, v1
	v_add_nc_u32_e32 v4, 6, v4
	v_cndmask_b32_e32 v3, v3, v5, vcc_lo
	v_sub_nc_u32_e32 v5, v47, v2
	v_cmp_eq_u32_e32 vcc_lo, 1, v7
	v_sub_nc_u32_e32 v7, v13, v17
	v_lshlrev_b32_e32 v3, 2, v3
	v_add_nc_u32_e32 v5, 7, v5
	v_cndmask_b32_e32 v4, v4, v6, vcc_lo
	v_cmp_eq_u32_e32 vcc_lo, 1, v8
	v_sub_nc_u32_e32 v6, v9, v17
	ds_write_b32 v1, v26
	ds_write_b32 v3, v27
	v_lshlrev_b32_e32 v3, 2, v4
	v_cndmask_b32_e32 v2, v5, v2, vcc_lo
	v_sub_nc_u32_e32 v1, v47, v6
	v_and_b32_e32 v5, 1, v49
	v_sub_nc_u32_e32 v4, v10, v17
	v_and_b32_e32 v10, 1, v51
	v_lshlrev_b32_e32 v2, 2, v2
	v_add_nc_u32_e32 v1, 8, v1
	ds_write_b32 v3, v24
	ds_write_b32 v2, v25
	v_cmp_eq_u32_e32 vcc_lo, 1, v5
	v_sub_nc_u32_e32 v3, v11, v17
	v_sub_nc_u32_e32 v2, v47, v4
	;; [unrolled: 1-line block ×3, first 2 shown]
	v_and_b32_e32 v11, 1, v48
	v_cndmask_b32_e32 v1, v1, v6, vcc_lo
	v_and_b32_e32 v6, 1, v14
	v_sub_nc_u32_e32 v8, v47, v3
	v_add_nc_u32_e32 v2, 9, v2
	v_sub_nc_u32_e32 v9, v47, v5
	v_lshlrev_b32_e32 v1, 2, v1
	v_cmp_eq_u32_e32 vcc_lo, 1, v6
	v_add_nc_u32_e32 v6, 10, v8
	v_and_b32_sdwa v8, v58, v49 dst_sel:DWORD dst_unused:UNUSED_PAD src0_sel:DWORD src1_sel:WORD_1
	v_add_nc_u32_e32 v9, 11, v9
	v_add_co_ci_u32_e64 v17, null, 0, v19, s1
	v_cndmask_b32_e32 v2, v2, v4, vcc_lo
	v_cmp_eq_u32_e32 vcc_lo, 1, v8
	v_sub_nc_u32_e32 v4, v47, v7
	v_lshlrev_b32_e32 v2, 2, v2
	v_cndmask_b32_e32 v3, v6, v3, vcc_lo
	v_cmp_eq_u32_e32 vcc_lo, 1, v10
	v_add_nc_u32_e32 v4, 12, v4
	v_lshlrev_b32_e32 v3, 2, v3
	v_cndmask_b32_e32 v5, v9, v5, vcc_lo
	v_cmp_eq_u32_e32 vcc_lo, 1, v11
	v_lshlrev_b32_e32 v5, 2, v5
	v_cndmask_b32_e32 v4, v4, v7, vcc_lo
	v_cmp_ne_u32_e32 vcc_lo, 1, v45
	v_lshlrev_b32_e32 v4, 2, v4
	ds_write_b32 v1, v22
	ds_write_b32 v2, v23
	;; [unrolled: 1-line block ×5, first 2 shown]
	s_waitcnt lgkmcnt(0)
	s_barrier
	buffer_gl0_inv
	ds_read2st64_b32 v[11:12], v44 offset1:4
	ds_read2st64_b32 v[9:10], v44 offset0:8 offset1:12
	ds_read2st64_b32 v[7:8], v44 offset0:16 offset1:20
	;; [unrolled: 1-line block ×5, first 2 shown]
	ds_read_b32 v20, v44 offset:12288
	s_cbranch_vccnz .LBB1728_132
; %bb.76:
	s_sub_u32 s1, s20, s24
	v_sub_co_u32 v13, vcc_lo, v15, s18
	s_subb_u32 s2, s21, 0
	v_add_co_u32 v18, s1, s1, v16
	v_subrev_co_ci_u32_e64 v14, null, s19, v17, vcc_lo
	v_add_co_ci_u32_e64 v19, null, s2, 0, s1
	v_add_co_u32 v18, vcc_lo, v18, v13
	s_mov_b32 s1, exec_lo
	v_add_co_ci_u32_e64 v19, null, v19, v14, vcc_lo
                                        ; implicit-def: $vgpr13_vgpr14
	v_cmpx_ge_u32_e64 v0, v16
	s_xor_b32 s1, exec_lo, s1
; %bb.77:
	v_not_b32_e32 v13, v0
	v_ashrrev_i32_e32 v14, 31, v13
	v_add_co_u32 v13, vcc_lo, v18, v13
	v_add_co_ci_u32_e64 v14, null, v19, v14, vcc_lo
; %bb.78:
	s_andn2_saveexec_b32 s1, s1
; %bb.79:
	v_add_co_u32 v13, vcc_lo, v15, v0
	v_add_co_ci_u32_e64 v14, null, 0, v17, vcc_lo
; %bb.80:
	s_or_b32 exec_lo, exec_lo, s1
	v_lshlrev_b64 v[13:14], 2, v[13:14]
	s_mov_b32 s1, exec_lo
	v_add_co_u32 v13, vcc_lo, s16, v13
	v_add_co_ci_u32_e64 v14, null, s17, v14, vcc_lo
	s_waitcnt lgkmcnt(6)
	global_store_dword v[13:14], v11, off
                                        ; implicit-def: $vgpr13_vgpr14
	v_cmpx_ge_u32_e64 v43, v16
	s_xor_b32 s1, exec_lo, s1
; %bb.81:
	v_xor_b32_e32 v13, 0xfffffeff, v0
	v_ashrrev_i32_e32 v14, 31, v13
	v_add_co_u32 v13, vcc_lo, v18, v13
	v_add_co_ci_u32_e64 v14, null, v19, v14, vcc_lo
; %bb.82:
	s_andn2_saveexec_b32 s1, s1
; %bb.83:
	v_add_co_u32 v13, vcc_lo, v15, v43
	v_add_co_ci_u32_e64 v14, null, 0, v17, vcc_lo
; %bb.84:
	s_or_b32 exec_lo, exec_lo, s1
	v_lshlrev_b64 v[13:14], 2, v[13:14]
	s_mov_b32 s1, exec_lo
	v_add_co_u32 v13, vcc_lo, s16, v13
	v_add_co_ci_u32_e64 v14, null, s17, v14, vcc_lo
	global_store_dword v[13:14], v12, off
                                        ; implicit-def: $vgpr13_vgpr14
	v_cmpx_ge_u32_e64 v42, v16
	s_xor_b32 s1, exec_lo, s1
; %bb.85:
	v_xor_b32_e32 v13, 0xfffffdff, v0
	v_ashrrev_i32_e32 v14, 31, v13
	v_add_co_u32 v13, vcc_lo, v18, v13
	v_add_co_ci_u32_e64 v14, null, v19, v14, vcc_lo
; %bb.86:
	s_andn2_saveexec_b32 s1, s1
; %bb.87:
	v_add_co_u32 v13, vcc_lo, v15, v42
	v_add_co_ci_u32_e64 v14, null, 0, v17, vcc_lo
; %bb.88:
	s_or_b32 exec_lo, exec_lo, s1
	v_lshlrev_b64 v[13:14], 2, v[13:14]
	s_mov_b32 s1, exec_lo
	v_add_co_u32 v13, vcc_lo, s16, v13
	v_add_co_ci_u32_e64 v14, null, s17, v14, vcc_lo
	s_waitcnt lgkmcnt(5)
	global_store_dword v[13:14], v9, off
                                        ; implicit-def: $vgpr13_vgpr14
	v_cmpx_ge_u32_e64 v41, v16
	s_xor_b32 s1, exec_lo, s1
; %bb.89:
	v_xor_b32_e32 v13, 0xfffffcff, v0
	v_ashrrev_i32_e32 v14, 31, v13
	v_add_co_u32 v13, vcc_lo, v18, v13
	v_add_co_ci_u32_e64 v14, null, v19, v14, vcc_lo
; %bb.90:
	s_andn2_saveexec_b32 s1, s1
; %bb.91:
	v_add_co_u32 v13, vcc_lo, v15, v41
	v_add_co_ci_u32_e64 v14, null, 0, v17, vcc_lo
; %bb.92:
	s_or_b32 exec_lo, exec_lo, s1
	v_lshlrev_b64 v[13:14], 2, v[13:14]
	s_mov_b32 s1, exec_lo
	v_add_co_u32 v13, vcc_lo, s16, v13
	v_add_co_ci_u32_e64 v14, null, s17, v14, vcc_lo
	global_store_dword v[13:14], v10, off
                                        ; implicit-def: $vgpr13_vgpr14
	v_cmpx_ge_u32_e64 v40, v16
	s_xor_b32 s1, exec_lo, s1
; %bb.93:
	v_xor_b32_e32 v13, 0xfffffbff, v0
	;; [unrolled: 41-line block ×6, first 2 shown]
	v_ashrrev_i32_e32 v14, 31, v13
	v_add_co_u32 v13, vcc_lo, v18, v13
	v_add_co_ci_u32_e64 v14, null, v19, v14, vcc_lo
; %bb.126:
	s_andn2_saveexec_b32 s1, s1
; %bb.127:
	v_add_co_u32 v13, vcc_lo, v15, v32
	v_add_co_ci_u32_e64 v14, null, 0, v17, vcc_lo
; %bb.128:
	s_or_b32 exec_lo, exec_lo, s1
	s_mov_b32 s1, -1
.LBB1728_129:
	s_and_saveexec_b32 s2, s1
	s_cbranch_execz .LBB1728_212
.LBB1728_130:
	s_waitcnt lgkmcnt(1)
	v_lshlrev_b64 v[0:1], 2, v[13:14]
	v_add_co_u32 v0, vcc_lo, s16, v0
	v_add_co_ci_u32_e64 v1, null, s17, v1, vcc_lo
	s_waitcnt lgkmcnt(0)
	global_store_dword v[0:1], v20, off
	s_or_b32 exec_lo, exec_lo, s2
	s_and_b32 s0, s0, s14
	s_and_saveexec_b32 s1, s0
	s_cbranch_execnz .LBB1728_213
.LBB1728_131:
	s_endpgm
.LBB1728_132:
	s_mov_b32 s1, 0
                                        ; implicit-def: $vgpr13_vgpr14
	s_cbranch_execz .LBB1728_129
; %bb.133:
	s_add_u32 s2, s18, s24
	s_addc_u32 s3, s19, 0
	s_sub_u32 s2, s20, s2
	s_subb_u32 s3, s21, s3
	v_add_co_u32 v13, s2, s2, v16
	v_add_co_ci_u32_e64 v14, null, s3, 0, s2
	s_mov_b32 s2, exec_lo
	v_add_co_u32 v18, vcc_lo, v13, v15
	v_add_co_ci_u32_e64 v19, null, v14, v17, vcc_lo
	v_cmpx_gt_u32_e64 s15, v0
	s_cbranch_execz .LBB1728_169
; %bb.134:
	s_mov_b32 s3, exec_lo
                                        ; implicit-def: $vgpr13_vgpr14
	v_cmpx_ge_u32_e64 v0, v16
	s_xor_b32 s3, exec_lo, s3
; %bb.135:
	v_not_b32_e32 v13, v0
	v_ashrrev_i32_e32 v14, 31, v13
	v_add_co_u32 v13, vcc_lo, v18, v13
	v_add_co_ci_u32_e64 v14, null, v19, v14, vcc_lo
; %bb.136:
	s_andn2_saveexec_b32 s3, s3
; %bb.137:
	v_add_co_u32 v13, vcc_lo, v15, v0
	v_add_co_ci_u32_e64 v14, null, 0, v17, vcc_lo
; %bb.138:
	s_or_b32 exec_lo, exec_lo, s3
	v_lshlrev_b64 v[13:14], 2, v[13:14]
	v_add_co_u32 v13, vcc_lo, s16, v13
	v_add_co_ci_u32_e64 v14, null, s17, v14, vcc_lo
	s_waitcnt lgkmcnt(6)
	global_store_dword v[13:14], v11, off
	s_or_b32 exec_lo, exec_lo, s2
	s_mov_b32 s2, exec_lo
	v_cmpx_gt_u32_e64 s15, v43
	s_cbranch_execnz .LBB1728_170
.LBB1728_139:
	s_or_b32 exec_lo, exec_lo, s2
	s_mov_b32 s2, exec_lo
	v_cmpx_gt_u32_e64 s15, v42
	s_cbranch_execz .LBB1728_175
.LBB1728_140:
	s_mov_b32 s3, exec_lo
                                        ; implicit-def: $vgpr11_vgpr12
	v_cmpx_ge_u32_e64 v42, v16
	s_xor_b32 s3, exec_lo, s3
	s_cbranch_execz .LBB1728_142
; %bb.141:
	s_waitcnt lgkmcnt(6)
	v_xor_b32_e32 v11, 0xfffffdff, v0
                                        ; implicit-def: $vgpr42
	v_ashrrev_i32_e32 v12, 31, v11
	v_add_co_u32 v11, vcc_lo, v18, v11
	v_add_co_ci_u32_e64 v12, null, v19, v12, vcc_lo
.LBB1728_142:
	s_andn2_saveexec_b32 s3, s3
	s_cbranch_execz .LBB1728_144
; %bb.143:
	s_waitcnt lgkmcnt(6)
	v_add_co_u32 v11, vcc_lo, v15, v42
	v_add_co_ci_u32_e64 v12, null, 0, v17, vcc_lo
.LBB1728_144:
	s_or_b32 exec_lo, exec_lo, s3
	s_waitcnt lgkmcnt(6)
	v_lshlrev_b64 v[11:12], 2, v[11:12]
	v_add_co_u32 v11, vcc_lo, s16, v11
	v_add_co_ci_u32_e64 v12, null, s17, v12, vcc_lo
	s_waitcnt lgkmcnt(5)
	global_store_dword v[11:12], v9, off
	s_or_b32 exec_lo, exec_lo, s2
	s_mov_b32 s2, exec_lo
	v_cmpx_gt_u32_e64 s15, v41
	s_cbranch_execnz .LBB1728_176
.LBB1728_145:
	s_or_b32 exec_lo, exec_lo, s2
	s_mov_b32 s2, exec_lo
	v_cmpx_gt_u32_e64 s15, v40
	s_cbranch_execz .LBB1728_181
.LBB1728_146:
	s_mov_b32 s3, exec_lo
                                        ; implicit-def: $vgpr9_vgpr10
	v_cmpx_ge_u32_e64 v40, v16
	s_xor_b32 s3, exec_lo, s3
	s_cbranch_execz .LBB1728_148
; %bb.147:
	s_waitcnt lgkmcnt(5)
	v_xor_b32_e32 v9, 0xfffffbff, v0
                                        ; implicit-def: $vgpr40
	v_ashrrev_i32_e32 v10, 31, v9
	v_add_co_u32 v9, vcc_lo, v18, v9
	v_add_co_ci_u32_e64 v10, null, v19, v10, vcc_lo
.LBB1728_148:
	s_andn2_saveexec_b32 s3, s3
	s_cbranch_execz .LBB1728_150
; %bb.149:
	s_waitcnt lgkmcnt(5)
	v_add_co_u32 v9, vcc_lo, v15, v40
	v_add_co_ci_u32_e64 v10, null, 0, v17, vcc_lo
.LBB1728_150:
	s_or_b32 exec_lo, exec_lo, s3
	s_waitcnt lgkmcnt(5)
	v_lshlrev_b64 v[9:10], 2, v[9:10]
	v_add_co_u32 v9, vcc_lo, s16, v9
	v_add_co_ci_u32_e64 v10, null, s17, v10, vcc_lo
	s_waitcnt lgkmcnt(4)
	global_store_dword v[9:10], v7, off
	s_or_b32 exec_lo, exec_lo, s2
	s_mov_b32 s2, exec_lo
	v_cmpx_gt_u32_e64 s15, v39
	s_cbranch_execnz .LBB1728_182
.LBB1728_151:
	s_or_b32 exec_lo, exec_lo, s2
	s_mov_b32 s2, exec_lo
	v_cmpx_gt_u32_e64 s15, v38
	s_cbranch_execz .LBB1728_187
.LBB1728_152:
	s_mov_b32 s3, exec_lo
                                        ; implicit-def: $vgpr7_vgpr8
	v_cmpx_ge_u32_e64 v38, v16
	s_xor_b32 s3, exec_lo, s3
	s_cbranch_execz .LBB1728_154
; %bb.153:
	s_waitcnt lgkmcnt(4)
	v_xor_b32_e32 v7, 0xfffff9ff, v0
                                        ; implicit-def: $vgpr38
	v_ashrrev_i32_e32 v8, 31, v7
	v_add_co_u32 v7, vcc_lo, v18, v7
	v_add_co_ci_u32_e64 v8, null, v19, v8, vcc_lo
.LBB1728_154:
	s_andn2_saveexec_b32 s3, s3
	s_cbranch_execz .LBB1728_156
; %bb.155:
	s_waitcnt lgkmcnt(4)
	v_add_co_u32 v7, vcc_lo, v15, v38
	v_add_co_ci_u32_e64 v8, null, 0, v17, vcc_lo
.LBB1728_156:
	s_or_b32 exec_lo, exec_lo, s3
	s_waitcnt lgkmcnt(4)
	v_lshlrev_b64 v[7:8], 2, v[7:8]
	v_add_co_u32 v7, vcc_lo, s16, v7
	v_add_co_ci_u32_e64 v8, null, s17, v8, vcc_lo
	s_waitcnt lgkmcnt(3)
	global_store_dword v[7:8], v5, off
	s_or_b32 exec_lo, exec_lo, s2
	s_mov_b32 s2, exec_lo
	v_cmpx_gt_u32_e64 s15, v37
	s_cbranch_execnz .LBB1728_188
.LBB1728_157:
	s_or_b32 exec_lo, exec_lo, s2
	s_mov_b32 s2, exec_lo
	v_cmpx_gt_u32_e64 s15, v36
	s_cbranch_execz .LBB1728_193
.LBB1728_158:
	s_mov_b32 s3, exec_lo
                                        ; implicit-def: $vgpr5_vgpr6
	v_cmpx_ge_u32_e64 v36, v16
	s_xor_b32 s3, exec_lo, s3
	s_cbranch_execz .LBB1728_160
; %bb.159:
	s_waitcnt lgkmcnt(3)
	v_xor_b32_e32 v5, 0xfffff7ff, v0
                                        ; implicit-def: $vgpr36
	v_ashrrev_i32_e32 v6, 31, v5
	v_add_co_u32 v5, vcc_lo, v18, v5
	v_add_co_ci_u32_e64 v6, null, v19, v6, vcc_lo
.LBB1728_160:
	s_andn2_saveexec_b32 s3, s3
	s_cbranch_execz .LBB1728_162
; %bb.161:
	s_waitcnt lgkmcnt(3)
	v_add_co_u32 v5, vcc_lo, v15, v36
	v_add_co_ci_u32_e64 v6, null, 0, v17, vcc_lo
.LBB1728_162:
	s_or_b32 exec_lo, exec_lo, s3
	s_waitcnt lgkmcnt(3)
	v_lshlrev_b64 v[5:6], 2, v[5:6]
	v_add_co_u32 v5, vcc_lo, s16, v5
	v_add_co_ci_u32_e64 v6, null, s17, v6, vcc_lo
	s_waitcnt lgkmcnt(2)
	global_store_dword v[5:6], v3, off
	s_or_b32 exec_lo, exec_lo, s2
	s_mov_b32 s2, exec_lo
	v_cmpx_gt_u32_e64 s15, v35
	s_cbranch_execnz .LBB1728_194
.LBB1728_163:
	s_or_b32 exec_lo, exec_lo, s2
	s_mov_b32 s2, exec_lo
	v_cmpx_gt_u32_e64 s15, v34
	s_cbranch_execz .LBB1728_199
.LBB1728_164:
	s_mov_b32 s3, exec_lo
                                        ; implicit-def: $vgpr3_vgpr4
	v_cmpx_ge_u32_e64 v34, v16
	s_xor_b32 s3, exec_lo, s3
	s_cbranch_execz .LBB1728_166
; %bb.165:
	s_waitcnt lgkmcnt(2)
	v_xor_b32_e32 v3, 0xfffff5ff, v0
                                        ; implicit-def: $vgpr34
	v_ashrrev_i32_e32 v4, 31, v3
	v_add_co_u32 v3, vcc_lo, v18, v3
	v_add_co_ci_u32_e64 v4, null, v19, v4, vcc_lo
.LBB1728_166:
	s_andn2_saveexec_b32 s3, s3
	s_cbranch_execz .LBB1728_168
; %bb.167:
	s_waitcnt lgkmcnt(2)
	v_add_co_u32 v3, vcc_lo, v15, v34
	v_add_co_ci_u32_e64 v4, null, 0, v17, vcc_lo
.LBB1728_168:
	s_or_b32 exec_lo, exec_lo, s3
	s_waitcnt lgkmcnt(2)
	v_lshlrev_b64 v[3:4], 2, v[3:4]
	v_add_co_u32 v3, vcc_lo, s16, v3
	v_add_co_ci_u32_e64 v4, null, s17, v4, vcc_lo
	s_waitcnt lgkmcnt(1)
	global_store_dword v[3:4], v1, off
	s_or_b32 exec_lo, exec_lo, s2
	s_mov_b32 s2, exec_lo
	v_cmpx_gt_u32_e64 s15, v33
	s_cbranch_execz .LBB1728_205
	s_branch .LBB1728_200
.LBB1728_169:
	s_or_b32 exec_lo, exec_lo, s2
	s_mov_b32 s2, exec_lo
	v_cmpx_gt_u32_e64 s15, v43
	s_cbranch_execz .LBB1728_139
.LBB1728_170:
	s_mov_b32 s3, exec_lo
                                        ; implicit-def: $vgpr13_vgpr14
	v_cmpx_ge_u32_e64 v43, v16
	s_xor_b32 s3, exec_lo, s3
	s_cbranch_execz .LBB1728_172
; %bb.171:
	s_waitcnt lgkmcnt(6)
	v_xor_b32_e32 v11, 0xfffffeff, v0
                                        ; implicit-def: $vgpr43
	v_ashrrev_i32_e32 v14, 31, v11
	v_add_co_u32 v13, vcc_lo, v18, v11
	v_add_co_ci_u32_e64 v14, null, v19, v14, vcc_lo
.LBB1728_172:
	s_andn2_saveexec_b32 s3, s3
; %bb.173:
	v_add_co_u32 v13, vcc_lo, v15, v43
	v_add_co_ci_u32_e64 v14, null, 0, v17, vcc_lo
; %bb.174:
	s_or_b32 exec_lo, exec_lo, s3
	v_lshlrev_b64 v[13:14], 2, v[13:14]
	v_add_co_u32 v13, vcc_lo, s16, v13
	v_add_co_ci_u32_e64 v14, null, s17, v14, vcc_lo
	s_waitcnt lgkmcnt(6)
	global_store_dword v[13:14], v12, off
	s_or_b32 exec_lo, exec_lo, s2
	s_mov_b32 s2, exec_lo
	v_cmpx_gt_u32_e64 s15, v42
	s_cbranch_execnz .LBB1728_140
.LBB1728_175:
	s_or_b32 exec_lo, exec_lo, s2
	s_mov_b32 s2, exec_lo
	v_cmpx_gt_u32_e64 s15, v41
	s_cbranch_execz .LBB1728_145
.LBB1728_176:
	s_mov_b32 s3, exec_lo
                                        ; implicit-def: $vgpr11_vgpr12
	v_cmpx_ge_u32_e64 v41, v16
	s_xor_b32 s3, exec_lo, s3
	s_cbranch_execz .LBB1728_178
; %bb.177:
	s_waitcnt lgkmcnt(5)
	v_xor_b32_e32 v9, 0xfffffcff, v0
                                        ; implicit-def: $vgpr41
	v_ashrrev_i32_e32 v12, 31, v9
	v_add_co_u32 v11, vcc_lo, v18, v9
	v_add_co_ci_u32_e64 v12, null, v19, v12, vcc_lo
.LBB1728_178:
	s_andn2_saveexec_b32 s3, s3
	s_cbranch_execz .LBB1728_180
; %bb.179:
	s_waitcnt lgkmcnt(6)
	v_add_co_u32 v11, vcc_lo, v15, v41
	v_add_co_ci_u32_e64 v12, null, 0, v17, vcc_lo
.LBB1728_180:
	s_or_b32 exec_lo, exec_lo, s3
	s_waitcnt lgkmcnt(6)
	v_lshlrev_b64 v[11:12], 2, v[11:12]
	v_add_co_u32 v11, vcc_lo, s16, v11
	v_add_co_ci_u32_e64 v12, null, s17, v12, vcc_lo
	s_waitcnt lgkmcnt(5)
	global_store_dword v[11:12], v10, off
	s_or_b32 exec_lo, exec_lo, s2
	s_mov_b32 s2, exec_lo
	v_cmpx_gt_u32_e64 s15, v40
	s_cbranch_execnz .LBB1728_146
.LBB1728_181:
	s_or_b32 exec_lo, exec_lo, s2
	s_mov_b32 s2, exec_lo
	v_cmpx_gt_u32_e64 s15, v39
	s_cbranch_execz .LBB1728_151
.LBB1728_182:
	s_mov_b32 s3, exec_lo
                                        ; implicit-def: $vgpr9_vgpr10
	v_cmpx_ge_u32_e64 v39, v16
	s_xor_b32 s3, exec_lo, s3
	s_cbranch_execz .LBB1728_184
; %bb.183:
	s_waitcnt lgkmcnt(4)
	v_xor_b32_e32 v7, 0xfffffaff, v0
                                        ; implicit-def: $vgpr39
	v_ashrrev_i32_e32 v10, 31, v7
	v_add_co_u32 v9, vcc_lo, v18, v7
	v_add_co_ci_u32_e64 v10, null, v19, v10, vcc_lo
.LBB1728_184:
	s_andn2_saveexec_b32 s3, s3
	s_cbranch_execz .LBB1728_186
; %bb.185:
	s_waitcnt lgkmcnt(5)
	v_add_co_u32 v9, vcc_lo, v15, v39
	v_add_co_ci_u32_e64 v10, null, 0, v17, vcc_lo
.LBB1728_186:
	s_or_b32 exec_lo, exec_lo, s3
	s_waitcnt lgkmcnt(5)
	v_lshlrev_b64 v[9:10], 2, v[9:10]
	v_add_co_u32 v9, vcc_lo, s16, v9
	v_add_co_ci_u32_e64 v10, null, s17, v10, vcc_lo
	s_waitcnt lgkmcnt(4)
	global_store_dword v[9:10], v8, off
	s_or_b32 exec_lo, exec_lo, s2
	s_mov_b32 s2, exec_lo
	v_cmpx_gt_u32_e64 s15, v38
	s_cbranch_execnz .LBB1728_152
.LBB1728_187:
	s_or_b32 exec_lo, exec_lo, s2
	s_mov_b32 s2, exec_lo
	v_cmpx_gt_u32_e64 s15, v37
	s_cbranch_execz .LBB1728_157
.LBB1728_188:
	s_mov_b32 s3, exec_lo
                                        ; implicit-def: $vgpr7_vgpr8
	v_cmpx_ge_u32_e64 v37, v16
	s_xor_b32 s3, exec_lo, s3
	s_cbranch_execz .LBB1728_190
; %bb.189:
	s_waitcnt lgkmcnt(3)
	v_xor_b32_e32 v5, 0xfffff8ff, v0
                                        ; implicit-def: $vgpr37
	v_ashrrev_i32_e32 v8, 31, v5
	v_add_co_u32 v7, vcc_lo, v18, v5
	v_add_co_ci_u32_e64 v8, null, v19, v8, vcc_lo
.LBB1728_190:
	s_andn2_saveexec_b32 s3, s3
	s_cbranch_execz .LBB1728_192
; %bb.191:
	s_waitcnt lgkmcnt(4)
	v_add_co_u32 v7, vcc_lo, v15, v37
	v_add_co_ci_u32_e64 v8, null, 0, v17, vcc_lo
.LBB1728_192:
	s_or_b32 exec_lo, exec_lo, s3
	s_waitcnt lgkmcnt(4)
	v_lshlrev_b64 v[7:8], 2, v[7:8]
	v_add_co_u32 v7, vcc_lo, s16, v7
	v_add_co_ci_u32_e64 v8, null, s17, v8, vcc_lo
	s_waitcnt lgkmcnt(3)
	global_store_dword v[7:8], v6, off
	s_or_b32 exec_lo, exec_lo, s2
	s_mov_b32 s2, exec_lo
	v_cmpx_gt_u32_e64 s15, v36
	s_cbranch_execnz .LBB1728_158
.LBB1728_193:
	s_or_b32 exec_lo, exec_lo, s2
	s_mov_b32 s2, exec_lo
	v_cmpx_gt_u32_e64 s15, v35
	s_cbranch_execz .LBB1728_163
.LBB1728_194:
	s_mov_b32 s3, exec_lo
                                        ; implicit-def: $vgpr5_vgpr6
	v_cmpx_ge_u32_e64 v35, v16
	s_xor_b32 s3, exec_lo, s3
	s_cbranch_execz .LBB1728_196
; %bb.195:
	s_waitcnt lgkmcnt(2)
	v_xor_b32_e32 v3, 0xfffff6ff, v0
                                        ; implicit-def: $vgpr35
	v_ashrrev_i32_e32 v6, 31, v3
	v_add_co_u32 v5, vcc_lo, v18, v3
	v_add_co_ci_u32_e64 v6, null, v19, v6, vcc_lo
.LBB1728_196:
	s_andn2_saveexec_b32 s3, s3
	s_cbranch_execz .LBB1728_198
; %bb.197:
	s_waitcnt lgkmcnt(3)
	v_add_co_u32 v5, vcc_lo, v15, v35
	v_add_co_ci_u32_e64 v6, null, 0, v17, vcc_lo
.LBB1728_198:
	s_or_b32 exec_lo, exec_lo, s3
	s_waitcnt lgkmcnt(3)
	v_lshlrev_b64 v[5:6], 2, v[5:6]
	v_add_co_u32 v5, vcc_lo, s16, v5
	v_add_co_ci_u32_e64 v6, null, s17, v6, vcc_lo
	s_waitcnt lgkmcnt(2)
	global_store_dword v[5:6], v4, off
	s_or_b32 exec_lo, exec_lo, s2
	s_mov_b32 s2, exec_lo
	v_cmpx_gt_u32_e64 s15, v34
	s_cbranch_execnz .LBB1728_164
.LBB1728_199:
	s_or_b32 exec_lo, exec_lo, s2
	s_mov_b32 s2, exec_lo
	v_cmpx_gt_u32_e64 s15, v33
	s_cbranch_execz .LBB1728_205
.LBB1728_200:
	s_mov_b32 s3, exec_lo
                                        ; implicit-def: $vgpr3_vgpr4
	v_cmpx_ge_u32_e64 v33, v16
	s_xor_b32 s3, exec_lo, s3
	s_cbranch_execz .LBB1728_202
; %bb.201:
	s_waitcnt lgkmcnt(1)
	v_xor_b32_e32 v1, 0xfffff4ff, v0
                                        ; implicit-def: $vgpr33
	v_ashrrev_i32_e32 v4, 31, v1
	v_add_co_u32 v3, vcc_lo, v18, v1
	v_add_co_ci_u32_e64 v4, null, v19, v4, vcc_lo
.LBB1728_202:
	s_andn2_saveexec_b32 s3, s3
	s_cbranch_execz .LBB1728_204
; %bb.203:
	s_waitcnt lgkmcnt(2)
	v_add_co_u32 v3, vcc_lo, v15, v33
	v_add_co_ci_u32_e64 v4, null, 0, v17, vcc_lo
.LBB1728_204:
	s_or_b32 exec_lo, exec_lo, s3
	s_waitcnt lgkmcnt(2)
	v_lshlrev_b64 v[3:4], 2, v[3:4]
	v_add_co_u32 v3, vcc_lo, s16, v3
	v_add_co_ci_u32_e64 v4, null, s17, v4, vcc_lo
	s_waitcnt lgkmcnt(1)
	global_store_dword v[3:4], v2, off
.LBB1728_205:
	s_or_b32 exec_lo, exec_lo, s2
	s_mov_b32 s2, exec_lo
                                        ; implicit-def: $vgpr13_vgpr14
	v_cmpx_gt_u32_e64 s15, v32
	s_cbranch_execz .LBB1728_211
; %bb.206:
	s_mov_b32 s3, exec_lo
                                        ; implicit-def: $vgpr13_vgpr14
	v_cmpx_ge_u32_e64 v32, v16
	s_xor_b32 s3, exec_lo, s3
	s_cbranch_execz .LBB1728_208
; %bb.207:
	v_xor_b32_e32 v0, 0xfffff3ff, v0
                                        ; implicit-def: $vgpr32
	s_waitcnt lgkmcnt(1)
	v_ashrrev_i32_e32 v1, 31, v0
	v_add_co_u32 v13, vcc_lo, v18, v0
	v_add_co_ci_u32_e64 v14, null, v19, v1, vcc_lo
.LBB1728_208:
	s_andn2_saveexec_b32 s3, s3
; %bb.209:
	v_add_co_u32 v13, vcc_lo, v15, v32
	v_add_co_ci_u32_e64 v14, null, 0, v17, vcc_lo
; %bb.210:
	s_or_b32 exec_lo, exec_lo, s3
	s_or_b32 s1, s1, exec_lo
.LBB1728_211:
	s_or_b32 exec_lo, exec_lo, s2
	s_and_saveexec_b32 s2, s1
	s_cbranch_execnz .LBB1728_130
.LBB1728_212:
	s_or_b32 exec_lo, exec_lo, s2
	s_and_b32 s0, s0, s14
	s_and_saveexec_b32 s1, s0
	s_cbranch_execz .LBB1728_131
.LBB1728_213:
	v_add_co_u32 v0, vcc_lo, v15, v16
	s_waitcnt lgkmcnt(1)
	v_mov_b32_e32 v2, 0
	v_add_co_ci_u32_e64 v1, null, 0, v17, vcc_lo
	global_store_dwordx2 v2, v[0:1], s[12:13]
	s_endpgm
	.section	.rodata,"a",@progbits
	.p2align	6, 0x0
	.amdhsa_kernel _ZN7rocprim17ROCPRIM_400000_NS6detail17trampoline_kernelINS0_13select_configILj256ELj13ELNS0_17block_load_methodE3ELS4_3ELS4_3ELNS0_20block_scan_algorithmE0ELj4294967295EEENS1_25partition_config_selectorILNS1_17partition_subalgoE3EjNS0_10empty_typeEbEEZZNS1_14partition_implILS8_3ELb0ES6_jNS0_17counting_iteratorIjlEEPS9_SE_NS0_5tupleIJPjSE_EEENSF_IJSE_SE_EEES9_SG_JZNS1_25segmented_radix_sort_implINS0_14default_configELb1EPK6__halfPSL_PKlPlN2at6native12_GLOBAL__N_18offset_tEEE10hipError_tPvRmT1_PNSt15iterator_traitsISZ_E10value_typeET2_T3_PNS10_IS15_E10value_typeET4_jRbjT5_S1B_jjP12ihipStream_tbEUljE_EEESW_SX_SY_S15_S19_S1B_T6_T7_T9_mT8_S1D_bDpT10_ENKUlT_T0_E_clISt17integral_constantIbLb0EES1P_IbLb1EEEEDaS1L_S1M_EUlS1L_E_NS1_11comp_targetILNS1_3genE8ELNS1_11target_archE1030ELNS1_3gpuE2ELNS1_3repE0EEENS1_30default_config_static_selectorELNS0_4arch9wavefront6targetE0EEEvSZ_
		.amdhsa_group_segment_fixed_size 13320
		.amdhsa_private_segment_fixed_size 0
		.amdhsa_kernarg_size 152
		.amdhsa_user_sgpr_count 6
		.amdhsa_user_sgpr_private_segment_buffer 1
		.amdhsa_user_sgpr_dispatch_ptr 0
		.amdhsa_user_sgpr_queue_ptr 0
		.amdhsa_user_sgpr_kernarg_segment_ptr 1
		.amdhsa_user_sgpr_dispatch_id 0
		.amdhsa_user_sgpr_flat_scratch_init 0
		.amdhsa_user_sgpr_private_segment_size 0
		.amdhsa_wavefront_size32 1
		.amdhsa_uses_dynamic_stack 0
		.amdhsa_system_sgpr_private_segment_wavefront_offset 0
		.amdhsa_system_sgpr_workgroup_id_x 1
		.amdhsa_system_sgpr_workgroup_id_y 0
		.amdhsa_system_sgpr_workgroup_id_z 0
		.amdhsa_system_sgpr_workgroup_info 0
		.amdhsa_system_vgpr_workitem_id 0
		.amdhsa_next_free_vgpr 71
		.amdhsa_next_free_sgpr 26
		.amdhsa_reserve_vcc 1
		.amdhsa_reserve_flat_scratch 0
		.amdhsa_float_round_mode_32 0
		.amdhsa_float_round_mode_16_64 0
		.amdhsa_float_denorm_mode_32 3
		.amdhsa_float_denorm_mode_16_64 3
		.amdhsa_dx10_clamp 1
		.amdhsa_ieee_mode 1
		.amdhsa_fp16_overflow 0
		.amdhsa_workgroup_processor_mode 1
		.amdhsa_memory_ordered 1
		.amdhsa_forward_progress 1
		.amdhsa_shared_vgpr_count 0
		.amdhsa_exception_fp_ieee_invalid_op 0
		.amdhsa_exception_fp_denorm_src 0
		.amdhsa_exception_fp_ieee_div_zero 0
		.amdhsa_exception_fp_ieee_overflow 0
		.amdhsa_exception_fp_ieee_underflow 0
		.amdhsa_exception_fp_ieee_inexact 0
		.amdhsa_exception_int_div_zero 0
	.end_amdhsa_kernel
	.section	.text._ZN7rocprim17ROCPRIM_400000_NS6detail17trampoline_kernelINS0_13select_configILj256ELj13ELNS0_17block_load_methodE3ELS4_3ELS4_3ELNS0_20block_scan_algorithmE0ELj4294967295EEENS1_25partition_config_selectorILNS1_17partition_subalgoE3EjNS0_10empty_typeEbEEZZNS1_14partition_implILS8_3ELb0ES6_jNS0_17counting_iteratorIjlEEPS9_SE_NS0_5tupleIJPjSE_EEENSF_IJSE_SE_EEES9_SG_JZNS1_25segmented_radix_sort_implINS0_14default_configELb1EPK6__halfPSL_PKlPlN2at6native12_GLOBAL__N_18offset_tEEE10hipError_tPvRmT1_PNSt15iterator_traitsISZ_E10value_typeET2_T3_PNS10_IS15_E10value_typeET4_jRbjT5_S1B_jjP12ihipStream_tbEUljE_EEESW_SX_SY_S15_S19_S1B_T6_T7_T9_mT8_S1D_bDpT10_ENKUlT_T0_E_clISt17integral_constantIbLb0EES1P_IbLb1EEEEDaS1L_S1M_EUlS1L_E_NS1_11comp_targetILNS1_3genE8ELNS1_11target_archE1030ELNS1_3gpuE2ELNS1_3repE0EEENS1_30default_config_static_selectorELNS0_4arch9wavefront6targetE0EEEvSZ_,"axG",@progbits,_ZN7rocprim17ROCPRIM_400000_NS6detail17trampoline_kernelINS0_13select_configILj256ELj13ELNS0_17block_load_methodE3ELS4_3ELS4_3ELNS0_20block_scan_algorithmE0ELj4294967295EEENS1_25partition_config_selectorILNS1_17partition_subalgoE3EjNS0_10empty_typeEbEEZZNS1_14partition_implILS8_3ELb0ES6_jNS0_17counting_iteratorIjlEEPS9_SE_NS0_5tupleIJPjSE_EEENSF_IJSE_SE_EEES9_SG_JZNS1_25segmented_radix_sort_implINS0_14default_configELb1EPK6__halfPSL_PKlPlN2at6native12_GLOBAL__N_18offset_tEEE10hipError_tPvRmT1_PNSt15iterator_traitsISZ_E10value_typeET2_T3_PNS10_IS15_E10value_typeET4_jRbjT5_S1B_jjP12ihipStream_tbEUljE_EEESW_SX_SY_S15_S19_S1B_T6_T7_T9_mT8_S1D_bDpT10_ENKUlT_T0_E_clISt17integral_constantIbLb0EES1P_IbLb1EEEEDaS1L_S1M_EUlS1L_E_NS1_11comp_targetILNS1_3genE8ELNS1_11target_archE1030ELNS1_3gpuE2ELNS1_3repE0EEENS1_30default_config_static_selectorELNS0_4arch9wavefront6targetE0EEEvSZ_,comdat
.Lfunc_end1728:
	.size	_ZN7rocprim17ROCPRIM_400000_NS6detail17trampoline_kernelINS0_13select_configILj256ELj13ELNS0_17block_load_methodE3ELS4_3ELS4_3ELNS0_20block_scan_algorithmE0ELj4294967295EEENS1_25partition_config_selectorILNS1_17partition_subalgoE3EjNS0_10empty_typeEbEEZZNS1_14partition_implILS8_3ELb0ES6_jNS0_17counting_iteratorIjlEEPS9_SE_NS0_5tupleIJPjSE_EEENSF_IJSE_SE_EEES9_SG_JZNS1_25segmented_radix_sort_implINS0_14default_configELb1EPK6__halfPSL_PKlPlN2at6native12_GLOBAL__N_18offset_tEEE10hipError_tPvRmT1_PNSt15iterator_traitsISZ_E10value_typeET2_T3_PNS10_IS15_E10value_typeET4_jRbjT5_S1B_jjP12ihipStream_tbEUljE_EEESW_SX_SY_S15_S19_S1B_T6_T7_T9_mT8_S1D_bDpT10_ENKUlT_T0_E_clISt17integral_constantIbLb0EES1P_IbLb1EEEEDaS1L_S1M_EUlS1L_E_NS1_11comp_targetILNS1_3genE8ELNS1_11target_archE1030ELNS1_3gpuE2ELNS1_3repE0EEENS1_30default_config_static_selectorELNS0_4arch9wavefront6targetE0EEEvSZ_, .Lfunc_end1728-_ZN7rocprim17ROCPRIM_400000_NS6detail17trampoline_kernelINS0_13select_configILj256ELj13ELNS0_17block_load_methodE3ELS4_3ELS4_3ELNS0_20block_scan_algorithmE0ELj4294967295EEENS1_25partition_config_selectorILNS1_17partition_subalgoE3EjNS0_10empty_typeEbEEZZNS1_14partition_implILS8_3ELb0ES6_jNS0_17counting_iteratorIjlEEPS9_SE_NS0_5tupleIJPjSE_EEENSF_IJSE_SE_EEES9_SG_JZNS1_25segmented_radix_sort_implINS0_14default_configELb1EPK6__halfPSL_PKlPlN2at6native12_GLOBAL__N_18offset_tEEE10hipError_tPvRmT1_PNSt15iterator_traitsISZ_E10value_typeET2_T3_PNS10_IS15_E10value_typeET4_jRbjT5_S1B_jjP12ihipStream_tbEUljE_EEESW_SX_SY_S15_S19_S1B_T6_T7_T9_mT8_S1D_bDpT10_ENKUlT_T0_E_clISt17integral_constantIbLb0EES1P_IbLb1EEEEDaS1L_S1M_EUlS1L_E_NS1_11comp_targetILNS1_3genE8ELNS1_11target_archE1030ELNS1_3gpuE2ELNS1_3repE0EEENS1_30default_config_static_selectorELNS0_4arch9wavefront6targetE0EEEvSZ_
                                        ; -- End function
	.set _ZN7rocprim17ROCPRIM_400000_NS6detail17trampoline_kernelINS0_13select_configILj256ELj13ELNS0_17block_load_methodE3ELS4_3ELS4_3ELNS0_20block_scan_algorithmE0ELj4294967295EEENS1_25partition_config_selectorILNS1_17partition_subalgoE3EjNS0_10empty_typeEbEEZZNS1_14partition_implILS8_3ELb0ES6_jNS0_17counting_iteratorIjlEEPS9_SE_NS0_5tupleIJPjSE_EEENSF_IJSE_SE_EEES9_SG_JZNS1_25segmented_radix_sort_implINS0_14default_configELb1EPK6__halfPSL_PKlPlN2at6native12_GLOBAL__N_18offset_tEEE10hipError_tPvRmT1_PNSt15iterator_traitsISZ_E10value_typeET2_T3_PNS10_IS15_E10value_typeET4_jRbjT5_S1B_jjP12ihipStream_tbEUljE_EEESW_SX_SY_S15_S19_S1B_T6_T7_T9_mT8_S1D_bDpT10_ENKUlT_T0_E_clISt17integral_constantIbLb0EES1P_IbLb1EEEEDaS1L_S1M_EUlS1L_E_NS1_11comp_targetILNS1_3genE8ELNS1_11target_archE1030ELNS1_3gpuE2ELNS1_3repE0EEENS1_30default_config_static_selectorELNS0_4arch9wavefront6targetE0EEEvSZ_.num_vgpr, 71
	.set _ZN7rocprim17ROCPRIM_400000_NS6detail17trampoline_kernelINS0_13select_configILj256ELj13ELNS0_17block_load_methodE3ELS4_3ELS4_3ELNS0_20block_scan_algorithmE0ELj4294967295EEENS1_25partition_config_selectorILNS1_17partition_subalgoE3EjNS0_10empty_typeEbEEZZNS1_14partition_implILS8_3ELb0ES6_jNS0_17counting_iteratorIjlEEPS9_SE_NS0_5tupleIJPjSE_EEENSF_IJSE_SE_EEES9_SG_JZNS1_25segmented_radix_sort_implINS0_14default_configELb1EPK6__halfPSL_PKlPlN2at6native12_GLOBAL__N_18offset_tEEE10hipError_tPvRmT1_PNSt15iterator_traitsISZ_E10value_typeET2_T3_PNS10_IS15_E10value_typeET4_jRbjT5_S1B_jjP12ihipStream_tbEUljE_EEESW_SX_SY_S15_S19_S1B_T6_T7_T9_mT8_S1D_bDpT10_ENKUlT_T0_E_clISt17integral_constantIbLb0EES1P_IbLb1EEEEDaS1L_S1M_EUlS1L_E_NS1_11comp_targetILNS1_3genE8ELNS1_11target_archE1030ELNS1_3gpuE2ELNS1_3repE0EEENS1_30default_config_static_selectorELNS0_4arch9wavefront6targetE0EEEvSZ_.num_agpr, 0
	.set _ZN7rocprim17ROCPRIM_400000_NS6detail17trampoline_kernelINS0_13select_configILj256ELj13ELNS0_17block_load_methodE3ELS4_3ELS4_3ELNS0_20block_scan_algorithmE0ELj4294967295EEENS1_25partition_config_selectorILNS1_17partition_subalgoE3EjNS0_10empty_typeEbEEZZNS1_14partition_implILS8_3ELb0ES6_jNS0_17counting_iteratorIjlEEPS9_SE_NS0_5tupleIJPjSE_EEENSF_IJSE_SE_EEES9_SG_JZNS1_25segmented_radix_sort_implINS0_14default_configELb1EPK6__halfPSL_PKlPlN2at6native12_GLOBAL__N_18offset_tEEE10hipError_tPvRmT1_PNSt15iterator_traitsISZ_E10value_typeET2_T3_PNS10_IS15_E10value_typeET4_jRbjT5_S1B_jjP12ihipStream_tbEUljE_EEESW_SX_SY_S15_S19_S1B_T6_T7_T9_mT8_S1D_bDpT10_ENKUlT_T0_E_clISt17integral_constantIbLb0EES1P_IbLb1EEEEDaS1L_S1M_EUlS1L_E_NS1_11comp_targetILNS1_3genE8ELNS1_11target_archE1030ELNS1_3gpuE2ELNS1_3repE0EEENS1_30default_config_static_selectorELNS0_4arch9wavefront6targetE0EEEvSZ_.numbered_sgpr, 26
	.set _ZN7rocprim17ROCPRIM_400000_NS6detail17trampoline_kernelINS0_13select_configILj256ELj13ELNS0_17block_load_methodE3ELS4_3ELS4_3ELNS0_20block_scan_algorithmE0ELj4294967295EEENS1_25partition_config_selectorILNS1_17partition_subalgoE3EjNS0_10empty_typeEbEEZZNS1_14partition_implILS8_3ELb0ES6_jNS0_17counting_iteratorIjlEEPS9_SE_NS0_5tupleIJPjSE_EEENSF_IJSE_SE_EEES9_SG_JZNS1_25segmented_radix_sort_implINS0_14default_configELb1EPK6__halfPSL_PKlPlN2at6native12_GLOBAL__N_18offset_tEEE10hipError_tPvRmT1_PNSt15iterator_traitsISZ_E10value_typeET2_T3_PNS10_IS15_E10value_typeET4_jRbjT5_S1B_jjP12ihipStream_tbEUljE_EEESW_SX_SY_S15_S19_S1B_T6_T7_T9_mT8_S1D_bDpT10_ENKUlT_T0_E_clISt17integral_constantIbLb0EES1P_IbLb1EEEEDaS1L_S1M_EUlS1L_E_NS1_11comp_targetILNS1_3genE8ELNS1_11target_archE1030ELNS1_3gpuE2ELNS1_3repE0EEENS1_30default_config_static_selectorELNS0_4arch9wavefront6targetE0EEEvSZ_.num_named_barrier, 0
	.set _ZN7rocprim17ROCPRIM_400000_NS6detail17trampoline_kernelINS0_13select_configILj256ELj13ELNS0_17block_load_methodE3ELS4_3ELS4_3ELNS0_20block_scan_algorithmE0ELj4294967295EEENS1_25partition_config_selectorILNS1_17partition_subalgoE3EjNS0_10empty_typeEbEEZZNS1_14partition_implILS8_3ELb0ES6_jNS0_17counting_iteratorIjlEEPS9_SE_NS0_5tupleIJPjSE_EEENSF_IJSE_SE_EEES9_SG_JZNS1_25segmented_radix_sort_implINS0_14default_configELb1EPK6__halfPSL_PKlPlN2at6native12_GLOBAL__N_18offset_tEEE10hipError_tPvRmT1_PNSt15iterator_traitsISZ_E10value_typeET2_T3_PNS10_IS15_E10value_typeET4_jRbjT5_S1B_jjP12ihipStream_tbEUljE_EEESW_SX_SY_S15_S19_S1B_T6_T7_T9_mT8_S1D_bDpT10_ENKUlT_T0_E_clISt17integral_constantIbLb0EES1P_IbLb1EEEEDaS1L_S1M_EUlS1L_E_NS1_11comp_targetILNS1_3genE8ELNS1_11target_archE1030ELNS1_3gpuE2ELNS1_3repE0EEENS1_30default_config_static_selectorELNS0_4arch9wavefront6targetE0EEEvSZ_.private_seg_size, 0
	.set _ZN7rocprim17ROCPRIM_400000_NS6detail17trampoline_kernelINS0_13select_configILj256ELj13ELNS0_17block_load_methodE3ELS4_3ELS4_3ELNS0_20block_scan_algorithmE0ELj4294967295EEENS1_25partition_config_selectorILNS1_17partition_subalgoE3EjNS0_10empty_typeEbEEZZNS1_14partition_implILS8_3ELb0ES6_jNS0_17counting_iteratorIjlEEPS9_SE_NS0_5tupleIJPjSE_EEENSF_IJSE_SE_EEES9_SG_JZNS1_25segmented_radix_sort_implINS0_14default_configELb1EPK6__halfPSL_PKlPlN2at6native12_GLOBAL__N_18offset_tEEE10hipError_tPvRmT1_PNSt15iterator_traitsISZ_E10value_typeET2_T3_PNS10_IS15_E10value_typeET4_jRbjT5_S1B_jjP12ihipStream_tbEUljE_EEESW_SX_SY_S15_S19_S1B_T6_T7_T9_mT8_S1D_bDpT10_ENKUlT_T0_E_clISt17integral_constantIbLb0EES1P_IbLb1EEEEDaS1L_S1M_EUlS1L_E_NS1_11comp_targetILNS1_3genE8ELNS1_11target_archE1030ELNS1_3gpuE2ELNS1_3repE0EEENS1_30default_config_static_selectorELNS0_4arch9wavefront6targetE0EEEvSZ_.uses_vcc, 1
	.set _ZN7rocprim17ROCPRIM_400000_NS6detail17trampoline_kernelINS0_13select_configILj256ELj13ELNS0_17block_load_methodE3ELS4_3ELS4_3ELNS0_20block_scan_algorithmE0ELj4294967295EEENS1_25partition_config_selectorILNS1_17partition_subalgoE3EjNS0_10empty_typeEbEEZZNS1_14partition_implILS8_3ELb0ES6_jNS0_17counting_iteratorIjlEEPS9_SE_NS0_5tupleIJPjSE_EEENSF_IJSE_SE_EEES9_SG_JZNS1_25segmented_radix_sort_implINS0_14default_configELb1EPK6__halfPSL_PKlPlN2at6native12_GLOBAL__N_18offset_tEEE10hipError_tPvRmT1_PNSt15iterator_traitsISZ_E10value_typeET2_T3_PNS10_IS15_E10value_typeET4_jRbjT5_S1B_jjP12ihipStream_tbEUljE_EEESW_SX_SY_S15_S19_S1B_T6_T7_T9_mT8_S1D_bDpT10_ENKUlT_T0_E_clISt17integral_constantIbLb0EES1P_IbLb1EEEEDaS1L_S1M_EUlS1L_E_NS1_11comp_targetILNS1_3genE8ELNS1_11target_archE1030ELNS1_3gpuE2ELNS1_3repE0EEENS1_30default_config_static_selectorELNS0_4arch9wavefront6targetE0EEEvSZ_.uses_flat_scratch, 0
	.set _ZN7rocprim17ROCPRIM_400000_NS6detail17trampoline_kernelINS0_13select_configILj256ELj13ELNS0_17block_load_methodE3ELS4_3ELS4_3ELNS0_20block_scan_algorithmE0ELj4294967295EEENS1_25partition_config_selectorILNS1_17partition_subalgoE3EjNS0_10empty_typeEbEEZZNS1_14partition_implILS8_3ELb0ES6_jNS0_17counting_iteratorIjlEEPS9_SE_NS0_5tupleIJPjSE_EEENSF_IJSE_SE_EEES9_SG_JZNS1_25segmented_radix_sort_implINS0_14default_configELb1EPK6__halfPSL_PKlPlN2at6native12_GLOBAL__N_18offset_tEEE10hipError_tPvRmT1_PNSt15iterator_traitsISZ_E10value_typeET2_T3_PNS10_IS15_E10value_typeET4_jRbjT5_S1B_jjP12ihipStream_tbEUljE_EEESW_SX_SY_S15_S19_S1B_T6_T7_T9_mT8_S1D_bDpT10_ENKUlT_T0_E_clISt17integral_constantIbLb0EES1P_IbLb1EEEEDaS1L_S1M_EUlS1L_E_NS1_11comp_targetILNS1_3genE8ELNS1_11target_archE1030ELNS1_3gpuE2ELNS1_3repE0EEENS1_30default_config_static_selectorELNS0_4arch9wavefront6targetE0EEEvSZ_.has_dyn_sized_stack, 0
	.set _ZN7rocprim17ROCPRIM_400000_NS6detail17trampoline_kernelINS0_13select_configILj256ELj13ELNS0_17block_load_methodE3ELS4_3ELS4_3ELNS0_20block_scan_algorithmE0ELj4294967295EEENS1_25partition_config_selectorILNS1_17partition_subalgoE3EjNS0_10empty_typeEbEEZZNS1_14partition_implILS8_3ELb0ES6_jNS0_17counting_iteratorIjlEEPS9_SE_NS0_5tupleIJPjSE_EEENSF_IJSE_SE_EEES9_SG_JZNS1_25segmented_radix_sort_implINS0_14default_configELb1EPK6__halfPSL_PKlPlN2at6native12_GLOBAL__N_18offset_tEEE10hipError_tPvRmT1_PNSt15iterator_traitsISZ_E10value_typeET2_T3_PNS10_IS15_E10value_typeET4_jRbjT5_S1B_jjP12ihipStream_tbEUljE_EEESW_SX_SY_S15_S19_S1B_T6_T7_T9_mT8_S1D_bDpT10_ENKUlT_T0_E_clISt17integral_constantIbLb0EES1P_IbLb1EEEEDaS1L_S1M_EUlS1L_E_NS1_11comp_targetILNS1_3genE8ELNS1_11target_archE1030ELNS1_3gpuE2ELNS1_3repE0EEENS1_30default_config_static_selectorELNS0_4arch9wavefront6targetE0EEEvSZ_.has_recursion, 0
	.set _ZN7rocprim17ROCPRIM_400000_NS6detail17trampoline_kernelINS0_13select_configILj256ELj13ELNS0_17block_load_methodE3ELS4_3ELS4_3ELNS0_20block_scan_algorithmE0ELj4294967295EEENS1_25partition_config_selectorILNS1_17partition_subalgoE3EjNS0_10empty_typeEbEEZZNS1_14partition_implILS8_3ELb0ES6_jNS0_17counting_iteratorIjlEEPS9_SE_NS0_5tupleIJPjSE_EEENSF_IJSE_SE_EEES9_SG_JZNS1_25segmented_radix_sort_implINS0_14default_configELb1EPK6__halfPSL_PKlPlN2at6native12_GLOBAL__N_18offset_tEEE10hipError_tPvRmT1_PNSt15iterator_traitsISZ_E10value_typeET2_T3_PNS10_IS15_E10value_typeET4_jRbjT5_S1B_jjP12ihipStream_tbEUljE_EEESW_SX_SY_S15_S19_S1B_T6_T7_T9_mT8_S1D_bDpT10_ENKUlT_T0_E_clISt17integral_constantIbLb0EES1P_IbLb1EEEEDaS1L_S1M_EUlS1L_E_NS1_11comp_targetILNS1_3genE8ELNS1_11target_archE1030ELNS1_3gpuE2ELNS1_3repE0EEENS1_30default_config_static_selectorELNS0_4arch9wavefront6targetE0EEEvSZ_.has_indirect_call, 0
	.section	.AMDGPU.csdata,"",@progbits
; Kernel info:
; codeLenInByte = 8704
; TotalNumSgprs: 28
; NumVgprs: 71
; ScratchSize: 0
; MemoryBound: 0
; FloatMode: 240
; IeeeMode: 1
; LDSByteSize: 13320 bytes/workgroup (compile time only)
; SGPRBlocks: 0
; VGPRBlocks: 8
; NumSGPRsForWavesPerEU: 28
; NumVGPRsForWavesPerEU: 71
; Occupancy: 12
; WaveLimiterHint : 0
; COMPUTE_PGM_RSRC2:SCRATCH_EN: 0
; COMPUTE_PGM_RSRC2:USER_SGPR: 6
; COMPUTE_PGM_RSRC2:TRAP_HANDLER: 0
; COMPUTE_PGM_RSRC2:TGID_X_EN: 1
; COMPUTE_PGM_RSRC2:TGID_Y_EN: 0
; COMPUTE_PGM_RSRC2:TGID_Z_EN: 0
; COMPUTE_PGM_RSRC2:TIDIG_COMP_CNT: 0
	.section	.text._ZN7rocprim17ROCPRIM_400000_NS6detail17trampoline_kernelINS0_14default_configENS1_36segmented_radix_sort_config_selectorI6__halflEEZNS1_25segmented_radix_sort_implIS3_Lb1EPKS5_PS5_PKlPlN2at6native12_GLOBAL__N_18offset_tEEE10hipError_tPvRmT1_PNSt15iterator_traitsISL_E10value_typeET2_T3_PNSM_ISR_E10value_typeET4_jRbjT5_SX_jjP12ihipStream_tbEUlT_E_NS1_11comp_targetILNS1_3genE0ELNS1_11target_archE4294967295ELNS1_3gpuE0ELNS1_3repE0EEENS1_30default_config_static_selectorELNS0_4arch9wavefront6targetE0EEEvSL_,"axG",@progbits,_ZN7rocprim17ROCPRIM_400000_NS6detail17trampoline_kernelINS0_14default_configENS1_36segmented_radix_sort_config_selectorI6__halflEEZNS1_25segmented_radix_sort_implIS3_Lb1EPKS5_PS5_PKlPlN2at6native12_GLOBAL__N_18offset_tEEE10hipError_tPvRmT1_PNSt15iterator_traitsISL_E10value_typeET2_T3_PNSM_ISR_E10value_typeET4_jRbjT5_SX_jjP12ihipStream_tbEUlT_E_NS1_11comp_targetILNS1_3genE0ELNS1_11target_archE4294967295ELNS1_3gpuE0ELNS1_3repE0EEENS1_30default_config_static_selectorELNS0_4arch9wavefront6targetE0EEEvSL_,comdat
	.globl	_ZN7rocprim17ROCPRIM_400000_NS6detail17trampoline_kernelINS0_14default_configENS1_36segmented_radix_sort_config_selectorI6__halflEEZNS1_25segmented_radix_sort_implIS3_Lb1EPKS5_PS5_PKlPlN2at6native12_GLOBAL__N_18offset_tEEE10hipError_tPvRmT1_PNSt15iterator_traitsISL_E10value_typeET2_T3_PNSM_ISR_E10value_typeET4_jRbjT5_SX_jjP12ihipStream_tbEUlT_E_NS1_11comp_targetILNS1_3genE0ELNS1_11target_archE4294967295ELNS1_3gpuE0ELNS1_3repE0EEENS1_30default_config_static_selectorELNS0_4arch9wavefront6targetE0EEEvSL_ ; -- Begin function _ZN7rocprim17ROCPRIM_400000_NS6detail17trampoline_kernelINS0_14default_configENS1_36segmented_radix_sort_config_selectorI6__halflEEZNS1_25segmented_radix_sort_implIS3_Lb1EPKS5_PS5_PKlPlN2at6native12_GLOBAL__N_18offset_tEEE10hipError_tPvRmT1_PNSt15iterator_traitsISL_E10value_typeET2_T3_PNSM_ISR_E10value_typeET4_jRbjT5_SX_jjP12ihipStream_tbEUlT_E_NS1_11comp_targetILNS1_3genE0ELNS1_11target_archE4294967295ELNS1_3gpuE0ELNS1_3repE0EEENS1_30default_config_static_selectorELNS0_4arch9wavefront6targetE0EEEvSL_
	.p2align	8
	.type	_ZN7rocprim17ROCPRIM_400000_NS6detail17trampoline_kernelINS0_14default_configENS1_36segmented_radix_sort_config_selectorI6__halflEEZNS1_25segmented_radix_sort_implIS3_Lb1EPKS5_PS5_PKlPlN2at6native12_GLOBAL__N_18offset_tEEE10hipError_tPvRmT1_PNSt15iterator_traitsISL_E10value_typeET2_T3_PNSM_ISR_E10value_typeET4_jRbjT5_SX_jjP12ihipStream_tbEUlT_E_NS1_11comp_targetILNS1_3genE0ELNS1_11target_archE4294967295ELNS1_3gpuE0ELNS1_3repE0EEENS1_30default_config_static_selectorELNS0_4arch9wavefront6targetE0EEEvSL_,@function
_ZN7rocprim17ROCPRIM_400000_NS6detail17trampoline_kernelINS0_14default_configENS1_36segmented_radix_sort_config_selectorI6__halflEEZNS1_25segmented_radix_sort_implIS3_Lb1EPKS5_PS5_PKlPlN2at6native12_GLOBAL__N_18offset_tEEE10hipError_tPvRmT1_PNSt15iterator_traitsISL_E10value_typeET2_T3_PNSM_ISR_E10value_typeET4_jRbjT5_SX_jjP12ihipStream_tbEUlT_E_NS1_11comp_targetILNS1_3genE0ELNS1_11target_archE4294967295ELNS1_3gpuE0ELNS1_3repE0EEENS1_30default_config_static_selectorELNS0_4arch9wavefront6targetE0EEEvSL_: ; @_ZN7rocprim17ROCPRIM_400000_NS6detail17trampoline_kernelINS0_14default_configENS1_36segmented_radix_sort_config_selectorI6__halflEEZNS1_25segmented_radix_sort_implIS3_Lb1EPKS5_PS5_PKlPlN2at6native12_GLOBAL__N_18offset_tEEE10hipError_tPvRmT1_PNSt15iterator_traitsISL_E10value_typeET2_T3_PNSM_ISR_E10value_typeET4_jRbjT5_SX_jjP12ihipStream_tbEUlT_E_NS1_11comp_targetILNS1_3genE0ELNS1_11target_archE4294967295ELNS1_3gpuE0ELNS1_3repE0EEENS1_30default_config_static_selectorELNS0_4arch9wavefront6targetE0EEEvSL_
; %bb.0:
	.section	.rodata,"a",@progbits
	.p2align	6, 0x0
	.amdhsa_kernel _ZN7rocprim17ROCPRIM_400000_NS6detail17trampoline_kernelINS0_14default_configENS1_36segmented_radix_sort_config_selectorI6__halflEEZNS1_25segmented_radix_sort_implIS3_Lb1EPKS5_PS5_PKlPlN2at6native12_GLOBAL__N_18offset_tEEE10hipError_tPvRmT1_PNSt15iterator_traitsISL_E10value_typeET2_T3_PNSM_ISR_E10value_typeET4_jRbjT5_SX_jjP12ihipStream_tbEUlT_E_NS1_11comp_targetILNS1_3genE0ELNS1_11target_archE4294967295ELNS1_3gpuE0ELNS1_3repE0EEENS1_30default_config_static_selectorELNS0_4arch9wavefront6targetE0EEEvSL_
		.amdhsa_group_segment_fixed_size 0
		.amdhsa_private_segment_fixed_size 0
		.amdhsa_kernarg_size 96
		.amdhsa_user_sgpr_count 6
		.amdhsa_user_sgpr_private_segment_buffer 1
		.amdhsa_user_sgpr_dispatch_ptr 0
		.amdhsa_user_sgpr_queue_ptr 0
		.amdhsa_user_sgpr_kernarg_segment_ptr 1
		.amdhsa_user_sgpr_dispatch_id 0
		.amdhsa_user_sgpr_flat_scratch_init 0
		.amdhsa_user_sgpr_private_segment_size 0
		.amdhsa_wavefront_size32 1
		.amdhsa_uses_dynamic_stack 0
		.amdhsa_system_sgpr_private_segment_wavefront_offset 0
		.amdhsa_system_sgpr_workgroup_id_x 1
		.amdhsa_system_sgpr_workgroup_id_y 0
		.amdhsa_system_sgpr_workgroup_id_z 0
		.amdhsa_system_sgpr_workgroup_info 0
		.amdhsa_system_vgpr_workitem_id 0
		.amdhsa_next_free_vgpr 1
		.amdhsa_next_free_sgpr 1
		.amdhsa_reserve_vcc 0
		.amdhsa_reserve_flat_scratch 0
		.amdhsa_float_round_mode_32 0
		.amdhsa_float_round_mode_16_64 0
		.amdhsa_float_denorm_mode_32 3
		.amdhsa_float_denorm_mode_16_64 3
		.amdhsa_dx10_clamp 1
		.amdhsa_ieee_mode 1
		.amdhsa_fp16_overflow 0
		.amdhsa_workgroup_processor_mode 1
		.amdhsa_memory_ordered 1
		.amdhsa_forward_progress 1
		.amdhsa_shared_vgpr_count 0
		.amdhsa_exception_fp_ieee_invalid_op 0
		.amdhsa_exception_fp_denorm_src 0
		.amdhsa_exception_fp_ieee_div_zero 0
		.amdhsa_exception_fp_ieee_overflow 0
		.amdhsa_exception_fp_ieee_underflow 0
		.amdhsa_exception_fp_ieee_inexact 0
		.amdhsa_exception_int_div_zero 0
	.end_amdhsa_kernel
	.section	.text._ZN7rocprim17ROCPRIM_400000_NS6detail17trampoline_kernelINS0_14default_configENS1_36segmented_radix_sort_config_selectorI6__halflEEZNS1_25segmented_radix_sort_implIS3_Lb1EPKS5_PS5_PKlPlN2at6native12_GLOBAL__N_18offset_tEEE10hipError_tPvRmT1_PNSt15iterator_traitsISL_E10value_typeET2_T3_PNSM_ISR_E10value_typeET4_jRbjT5_SX_jjP12ihipStream_tbEUlT_E_NS1_11comp_targetILNS1_3genE0ELNS1_11target_archE4294967295ELNS1_3gpuE0ELNS1_3repE0EEENS1_30default_config_static_selectorELNS0_4arch9wavefront6targetE0EEEvSL_,"axG",@progbits,_ZN7rocprim17ROCPRIM_400000_NS6detail17trampoline_kernelINS0_14default_configENS1_36segmented_radix_sort_config_selectorI6__halflEEZNS1_25segmented_radix_sort_implIS3_Lb1EPKS5_PS5_PKlPlN2at6native12_GLOBAL__N_18offset_tEEE10hipError_tPvRmT1_PNSt15iterator_traitsISL_E10value_typeET2_T3_PNSM_ISR_E10value_typeET4_jRbjT5_SX_jjP12ihipStream_tbEUlT_E_NS1_11comp_targetILNS1_3genE0ELNS1_11target_archE4294967295ELNS1_3gpuE0ELNS1_3repE0EEENS1_30default_config_static_selectorELNS0_4arch9wavefront6targetE0EEEvSL_,comdat
.Lfunc_end1729:
	.size	_ZN7rocprim17ROCPRIM_400000_NS6detail17trampoline_kernelINS0_14default_configENS1_36segmented_radix_sort_config_selectorI6__halflEEZNS1_25segmented_radix_sort_implIS3_Lb1EPKS5_PS5_PKlPlN2at6native12_GLOBAL__N_18offset_tEEE10hipError_tPvRmT1_PNSt15iterator_traitsISL_E10value_typeET2_T3_PNSM_ISR_E10value_typeET4_jRbjT5_SX_jjP12ihipStream_tbEUlT_E_NS1_11comp_targetILNS1_3genE0ELNS1_11target_archE4294967295ELNS1_3gpuE0ELNS1_3repE0EEENS1_30default_config_static_selectorELNS0_4arch9wavefront6targetE0EEEvSL_, .Lfunc_end1729-_ZN7rocprim17ROCPRIM_400000_NS6detail17trampoline_kernelINS0_14default_configENS1_36segmented_radix_sort_config_selectorI6__halflEEZNS1_25segmented_radix_sort_implIS3_Lb1EPKS5_PS5_PKlPlN2at6native12_GLOBAL__N_18offset_tEEE10hipError_tPvRmT1_PNSt15iterator_traitsISL_E10value_typeET2_T3_PNSM_ISR_E10value_typeET4_jRbjT5_SX_jjP12ihipStream_tbEUlT_E_NS1_11comp_targetILNS1_3genE0ELNS1_11target_archE4294967295ELNS1_3gpuE0ELNS1_3repE0EEENS1_30default_config_static_selectorELNS0_4arch9wavefront6targetE0EEEvSL_
                                        ; -- End function
	.set _ZN7rocprim17ROCPRIM_400000_NS6detail17trampoline_kernelINS0_14default_configENS1_36segmented_radix_sort_config_selectorI6__halflEEZNS1_25segmented_radix_sort_implIS3_Lb1EPKS5_PS5_PKlPlN2at6native12_GLOBAL__N_18offset_tEEE10hipError_tPvRmT1_PNSt15iterator_traitsISL_E10value_typeET2_T3_PNSM_ISR_E10value_typeET4_jRbjT5_SX_jjP12ihipStream_tbEUlT_E_NS1_11comp_targetILNS1_3genE0ELNS1_11target_archE4294967295ELNS1_3gpuE0ELNS1_3repE0EEENS1_30default_config_static_selectorELNS0_4arch9wavefront6targetE0EEEvSL_.num_vgpr, 0
	.set _ZN7rocprim17ROCPRIM_400000_NS6detail17trampoline_kernelINS0_14default_configENS1_36segmented_radix_sort_config_selectorI6__halflEEZNS1_25segmented_radix_sort_implIS3_Lb1EPKS5_PS5_PKlPlN2at6native12_GLOBAL__N_18offset_tEEE10hipError_tPvRmT1_PNSt15iterator_traitsISL_E10value_typeET2_T3_PNSM_ISR_E10value_typeET4_jRbjT5_SX_jjP12ihipStream_tbEUlT_E_NS1_11comp_targetILNS1_3genE0ELNS1_11target_archE4294967295ELNS1_3gpuE0ELNS1_3repE0EEENS1_30default_config_static_selectorELNS0_4arch9wavefront6targetE0EEEvSL_.num_agpr, 0
	.set _ZN7rocprim17ROCPRIM_400000_NS6detail17trampoline_kernelINS0_14default_configENS1_36segmented_radix_sort_config_selectorI6__halflEEZNS1_25segmented_radix_sort_implIS3_Lb1EPKS5_PS5_PKlPlN2at6native12_GLOBAL__N_18offset_tEEE10hipError_tPvRmT1_PNSt15iterator_traitsISL_E10value_typeET2_T3_PNSM_ISR_E10value_typeET4_jRbjT5_SX_jjP12ihipStream_tbEUlT_E_NS1_11comp_targetILNS1_3genE0ELNS1_11target_archE4294967295ELNS1_3gpuE0ELNS1_3repE0EEENS1_30default_config_static_selectorELNS0_4arch9wavefront6targetE0EEEvSL_.numbered_sgpr, 0
	.set _ZN7rocprim17ROCPRIM_400000_NS6detail17trampoline_kernelINS0_14default_configENS1_36segmented_radix_sort_config_selectorI6__halflEEZNS1_25segmented_radix_sort_implIS3_Lb1EPKS5_PS5_PKlPlN2at6native12_GLOBAL__N_18offset_tEEE10hipError_tPvRmT1_PNSt15iterator_traitsISL_E10value_typeET2_T3_PNSM_ISR_E10value_typeET4_jRbjT5_SX_jjP12ihipStream_tbEUlT_E_NS1_11comp_targetILNS1_3genE0ELNS1_11target_archE4294967295ELNS1_3gpuE0ELNS1_3repE0EEENS1_30default_config_static_selectorELNS0_4arch9wavefront6targetE0EEEvSL_.num_named_barrier, 0
	.set _ZN7rocprim17ROCPRIM_400000_NS6detail17trampoline_kernelINS0_14default_configENS1_36segmented_radix_sort_config_selectorI6__halflEEZNS1_25segmented_radix_sort_implIS3_Lb1EPKS5_PS5_PKlPlN2at6native12_GLOBAL__N_18offset_tEEE10hipError_tPvRmT1_PNSt15iterator_traitsISL_E10value_typeET2_T3_PNSM_ISR_E10value_typeET4_jRbjT5_SX_jjP12ihipStream_tbEUlT_E_NS1_11comp_targetILNS1_3genE0ELNS1_11target_archE4294967295ELNS1_3gpuE0ELNS1_3repE0EEENS1_30default_config_static_selectorELNS0_4arch9wavefront6targetE0EEEvSL_.private_seg_size, 0
	.set _ZN7rocprim17ROCPRIM_400000_NS6detail17trampoline_kernelINS0_14default_configENS1_36segmented_radix_sort_config_selectorI6__halflEEZNS1_25segmented_radix_sort_implIS3_Lb1EPKS5_PS5_PKlPlN2at6native12_GLOBAL__N_18offset_tEEE10hipError_tPvRmT1_PNSt15iterator_traitsISL_E10value_typeET2_T3_PNSM_ISR_E10value_typeET4_jRbjT5_SX_jjP12ihipStream_tbEUlT_E_NS1_11comp_targetILNS1_3genE0ELNS1_11target_archE4294967295ELNS1_3gpuE0ELNS1_3repE0EEENS1_30default_config_static_selectorELNS0_4arch9wavefront6targetE0EEEvSL_.uses_vcc, 0
	.set _ZN7rocprim17ROCPRIM_400000_NS6detail17trampoline_kernelINS0_14default_configENS1_36segmented_radix_sort_config_selectorI6__halflEEZNS1_25segmented_radix_sort_implIS3_Lb1EPKS5_PS5_PKlPlN2at6native12_GLOBAL__N_18offset_tEEE10hipError_tPvRmT1_PNSt15iterator_traitsISL_E10value_typeET2_T3_PNSM_ISR_E10value_typeET4_jRbjT5_SX_jjP12ihipStream_tbEUlT_E_NS1_11comp_targetILNS1_3genE0ELNS1_11target_archE4294967295ELNS1_3gpuE0ELNS1_3repE0EEENS1_30default_config_static_selectorELNS0_4arch9wavefront6targetE0EEEvSL_.uses_flat_scratch, 0
	.set _ZN7rocprim17ROCPRIM_400000_NS6detail17trampoline_kernelINS0_14default_configENS1_36segmented_radix_sort_config_selectorI6__halflEEZNS1_25segmented_radix_sort_implIS3_Lb1EPKS5_PS5_PKlPlN2at6native12_GLOBAL__N_18offset_tEEE10hipError_tPvRmT1_PNSt15iterator_traitsISL_E10value_typeET2_T3_PNSM_ISR_E10value_typeET4_jRbjT5_SX_jjP12ihipStream_tbEUlT_E_NS1_11comp_targetILNS1_3genE0ELNS1_11target_archE4294967295ELNS1_3gpuE0ELNS1_3repE0EEENS1_30default_config_static_selectorELNS0_4arch9wavefront6targetE0EEEvSL_.has_dyn_sized_stack, 0
	.set _ZN7rocprim17ROCPRIM_400000_NS6detail17trampoline_kernelINS0_14default_configENS1_36segmented_radix_sort_config_selectorI6__halflEEZNS1_25segmented_radix_sort_implIS3_Lb1EPKS5_PS5_PKlPlN2at6native12_GLOBAL__N_18offset_tEEE10hipError_tPvRmT1_PNSt15iterator_traitsISL_E10value_typeET2_T3_PNSM_ISR_E10value_typeET4_jRbjT5_SX_jjP12ihipStream_tbEUlT_E_NS1_11comp_targetILNS1_3genE0ELNS1_11target_archE4294967295ELNS1_3gpuE0ELNS1_3repE0EEENS1_30default_config_static_selectorELNS0_4arch9wavefront6targetE0EEEvSL_.has_recursion, 0
	.set _ZN7rocprim17ROCPRIM_400000_NS6detail17trampoline_kernelINS0_14default_configENS1_36segmented_radix_sort_config_selectorI6__halflEEZNS1_25segmented_radix_sort_implIS3_Lb1EPKS5_PS5_PKlPlN2at6native12_GLOBAL__N_18offset_tEEE10hipError_tPvRmT1_PNSt15iterator_traitsISL_E10value_typeET2_T3_PNSM_ISR_E10value_typeET4_jRbjT5_SX_jjP12ihipStream_tbEUlT_E_NS1_11comp_targetILNS1_3genE0ELNS1_11target_archE4294967295ELNS1_3gpuE0ELNS1_3repE0EEENS1_30default_config_static_selectorELNS0_4arch9wavefront6targetE0EEEvSL_.has_indirect_call, 0
	.section	.AMDGPU.csdata,"",@progbits
; Kernel info:
; codeLenInByte = 0
; TotalNumSgprs: 0
; NumVgprs: 0
; ScratchSize: 0
; MemoryBound: 0
; FloatMode: 240
; IeeeMode: 1
; LDSByteSize: 0 bytes/workgroup (compile time only)
; SGPRBlocks: 0
; VGPRBlocks: 0
; NumSGPRsForWavesPerEU: 1
; NumVGPRsForWavesPerEU: 1
; Occupancy: 16
; WaveLimiterHint : 0
; COMPUTE_PGM_RSRC2:SCRATCH_EN: 0
; COMPUTE_PGM_RSRC2:USER_SGPR: 6
; COMPUTE_PGM_RSRC2:TRAP_HANDLER: 0
; COMPUTE_PGM_RSRC2:TGID_X_EN: 1
; COMPUTE_PGM_RSRC2:TGID_Y_EN: 0
; COMPUTE_PGM_RSRC2:TGID_Z_EN: 0
; COMPUTE_PGM_RSRC2:TIDIG_COMP_CNT: 0
	.section	.text._ZN7rocprim17ROCPRIM_400000_NS6detail17trampoline_kernelINS0_14default_configENS1_36segmented_radix_sort_config_selectorI6__halflEEZNS1_25segmented_radix_sort_implIS3_Lb1EPKS5_PS5_PKlPlN2at6native12_GLOBAL__N_18offset_tEEE10hipError_tPvRmT1_PNSt15iterator_traitsISL_E10value_typeET2_T3_PNSM_ISR_E10value_typeET4_jRbjT5_SX_jjP12ihipStream_tbEUlT_E_NS1_11comp_targetILNS1_3genE5ELNS1_11target_archE942ELNS1_3gpuE9ELNS1_3repE0EEENS1_30default_config_static_selectorELNS0_4arch9wavefront6targetE0EEEvSL_,"axG",@progbits,_ZN7rocprim17ROCPRIM_400000_NS6detail17trampoline_kernelINS0_14default_configENS1_36segmented_radix_sort_config_selectorI6__halflEEZNS1_25segmented_radix_sort_implIS3_Lb1EPKS5_PS5_PKlPlN2at6native12_GLOBAL__N_18offset_tEEE10hipError_tPvRmT1_PNSt15iterator_traitsISL_E10value_typeET2_T3_PNSM_ISR_E10value_typeET4_jRbjT5_SX_jjP12ihipStream_tbEUlT_E_NS1_11comp_targetILNS1_3genE5ELNS1_11target_archE942ELNS1_3gpuE9ELNS1_3repE0EEENS1_30default_config_static_selectorELNS0_4arch9wavefront6targetE0EEEvSL_,comdat
	.globl	_ZN7rocprim17ROCPRIM_400000_NS6detail17trampoline_kernelINS0_14default_configENS1_36segmented_radix_sort_config_selectorI6__halflEEZNS1_25segmented_radix_sort_implIS3_Lb1EPKS5_PS5_PKlPlN2at6native12_GLOBAL__N_18offset_tEEE10hipError_tPvRmT1_PNSt15iterator_traitsISL_E10value_typeET2_T3_PNSM_ISR_E10value_typeET4_jRbjT5_SX_jjP12ihipStream_tbEUlT_E_NS1_11comp_targetILNS1_3genE5ELNS1_11target_archE942ELNS1_3gpuE9ELNS1_3repE0EEENS1_30default_config_static_selectorELNS0_4arch9wavefront6targetE0EEEvSL_ ; -- Begin function _ZN7rocprim17ROCPRIM_400000_NS6detail17trampoline_kernelINS0_14default_configENS1_36segmented_radix_sort_config_selectorI6__halflEEZNS1_25segmented_radix_sort_implIS3_Lb1EPKS5_PS5_PKlPlN2at6native12_GLOBAL__N_18offset_tEEE10hipError_tPvRmT1_PNSt15iterator_traitsISL_E10value_typeET2_T3_PNSM_ISR_E10value_typeET4_jRbjT5_SX_jjP12ihipStream_tbEUlT_E_NS1_11comp_targetILNS1_3genE5ELNS1_11target_archE942ELNS1_3gpuE9ELNS1_3repE0EEENS1_30default_config_static_selectorELNS0_4arch9wavefront6targetE0EEEvSL_
	.p2align	8
	.type	_ZN7rocprim17ROCPRIM_400000_NS6detail17trampoline_kernelINS0_14default_configENS1_36segmented_radix_sort_config_selectorI6__halflEEZNS1_25segmented_radix_sort_implIS3_Lb1EPKS5_PS5_PKlPlN2at6native12_GLOBAL__N_18offset_tEEE10hipError_tPvRmT1_PNSt15iterator_traitsISL_E10value_typeET2_T3_PNSM_ISR_E10value_typeET4_jRbjT5_SX_jjP12ihipStream_tbEUlT_E_NS1_11comp_targetILNS1_3genE5ELNS1_11target_archE942ELNS1_3gpuE9ELNS1_3repE0EEENS1_30default_config_static_selectorELNS0_4arch9wavefront6targetE0EEEvSL_,@function
_ZN7rocprim17ROCPRIM_400000_NS6detail17trampoline_kernelINS0_14default_configENS1_36segmented_radix_sort_config_selectorI6__halflEEZNS1_25segmented_radix_sort_implIS3_Lb1EPKS5_PS5_PKlPlN2at6native12_GLOBAL__N_18offset_tEEE10hipError_tPvRmT1_PNSt15iterator_traitsISL_E10value_typeET2_T3_PNSM_ISR_E10value_typeET4_jRbjT5_SX_jjP12ihipStream_tbEUlT_E_NS1_11comp_targetILNS1_3genE5ELNS1_11target_archE942ELNS1_3gpuE9ELNS1_3repE0EEENS1_30default_config_static_selectorELNS0_4arch9wavefront6targetE0EEEvSL_: ; @_ZN7rocprim17ROCPRIM_400000_NS6detail17trampoline_kernelINS0_14default_configENS1_36segmented_radix_sort_config_selectorI6__halflEEZNS1_25segmented_radix_sort_implIS3_Lb1EPKS5_PS5_PKlPlN2at6native12_GLOBAL__N_18offset_tEEE10hipError_tPvRmT1_PNSt15iterator_traitsISL_E10value_typeET2_T3_PNSM_ISR_E10value_typeET4_jRbjT5_SX_jjP12ihipStream_tbEUlT_E_NS1_11comp_targetILNS1_3genE5ELNS1_11target_archE942ELNS1_3gpuE9ELNS1_3repE0EEENS1_30default_config_static_selectorELNS0_4arch9wavefront6targetE0EEEvSL_
; %bb.0:
	.section	.rodata,"a",@progbits
	.p2align	6, 0x0
	.amdhsa_kernel _ZN7rocprim17ROCPRIM_400000_NS6detail17trampoline_kernelINS0_14default_configENS1_36segmented_radix_sort_config_selectorI6__halflEEZNS1_25segmented_radix_sort_implIS3_Lb1EPKS5_PS5_PKlPlN2at6native12_GLOBAL__N_18offset_tEEE10hipError_tPvRmT1_PNSt15iterator_traitsISL_E10value_typeET2_T3_PNSM_ISR_E10value_typeET4_jRbjT5_SX_jjP12ihipStream_tbEUlT_E_NS1_11comp_targetILNS1_3genE5ELNS1_11target_archE942ELNS1_3gpuE9ELNS1_3repE0EEENS1_30default_config_static_selectorELNS0_4arch9wavefront6targetE0EEEvSL_
		.amdhsa_group_segment_fixed_size 0
		.amdhsa_private_segment_fixed_size 0
		.amdhsa_kernarg_size 96
		.amdhsa_user_sgpr_count 6
		.amdhsa_user_sgpr_private_segment_buffer 1
		.amdhsa_user_sgpr_dispatch_ptr 0
		.amdhsa_user_sgpr_queue_ptr 0
		.amdhsa_user_sgpr_kernarg_segment_ptr 1
		.amdhsa_user_sgpr_dispatch_id 0
		.amdhsa_user_sgpr_flat_scratch_init 0
		.amdhsa_user_sgpr_private_segment_size 0
		.amdhsa_wavefront_size32 1
		.amdhsa_uses_dynamic_stack 0
		.amdhsa_system_sgpr_private_segment_wavefront_offset 0
		.amdhsa_system_sgpr_workgroup_id_x 1
		.amdhsa_system_sgpr_workgroup_id_y 0
		.amdhsa_system_sgpr_workgroup_id_z 0
		.amdhsa_system_sgpr_workgroup_info 0
		.amdhsa_system_vgpr_workitem_id 0
		.amdhsa_next_free_vgpr 1
		.amdhsa_next_free_sgpr 1
		.amdhsa_reserve_vcc 0
		.amdhsa_reserve_flat_scratch 0
		.amdhsa_float_round_mode_32 0
		.amdhsa_float_round_mode_16_64 0
		.amdhsa_float_denorm_mode_32 3
		.amdhsa_float_denorm_mode_16_64 3
		.amdhsa_dx10_clamp 1
		.amdhsa_ieee_mode 1
		.amdhsa_fp16_overflow 0
		.amdhsa_workgroup_processor_mode 1
		.amdhsa_memory_ordered 1
		.amdhsa_forward_progress 1
		.amdhsa_shared_vgpr_count 0
		.amdhsa_exception_fp_ieee_invalid_op 0
		.amdhsa_exception_fp_denorm_src 0
		.amdhsa_exception_fp_ieee_div_zero 0
		.amdhsa_exception_fp_ieee_overflow 0
		.amdhsa_exception_fp_ieee_underflow 0
		.amdhsa_exception_fp_ieee_inexact 0
		.amdhsa_exception_int_div_zero 0
	.end_amdhsa_kernel
	.section	.text._ZN7rocprim17ROCPRIM_400000_NS6detail17trampoline_kernelINS0_14default_configENS1_36segmented_radix_sort_config_selectorI6__halflEEZNS1_25segmented_radix_sort_implIS3_Lb1EPKS5_PS5_PKlPlN2at6native12_GLOBAL__N_18offset_tEEE10hipError_tPvRmT1_PNSt15iterator_traitsISL_E10value_typeET2_T3_PNSM_ISR_E10value_typeET4_jRbjT5_SX_jjP12ihipStream_tbEUlT_E_NS1_11comp_targetILNS1_3genE5ELNS1_11target_archE942ELNS1_3gpuE9ELNS1_3repE0EEENS1_30default_config_static_selectorELNS0_4arch9wavefront6targetE0EEEvSL_,"axG",@progbits,_ZN7rocprim17ROCPRIM_400000_NS6detail17trampoline_kernelINS0_14default_configENS1_36segmented_radix_sort_config_selectorI6__halflEEZNS1_25segmented_radix_sort_implIS3_Lb1EPKS5_PS5_PKlPlN2at6native12_GLOBAL__N_18offset_tEEE10hipError_tPvRmT1_PNSt15iterator_traitsISL_E10value_typeET2_T3_PNSM_ISR_E10value_typeET4_jRbjT5_SX_jjP12ihipStream_tbEUlT_E_NS1_11comp_targetILNS1_3genE5ELNS1_11target_archE942ELNS1_3gpuE9ELNS1_3repE0EEENS1_30default_config_static_selectorELNS0_4arch9wavefront6targetE0EEEvSL_,comdat
.Lfunc_end1730:
	.size	_ZN7rocprim17ROCPRIM_400000_NS6detail17trampoline_kernelINS0_14default_configENS1_36segmented_radix_sort_config_selectorI6__halflEEZNS1_25segmented_radix_sort_implIS3_Lb1EPKS5_PS5_PKlPlN2at6native12_GLOBAL__N_18offset_tEEE10hipError_tPvRmT1_PNSt15iterator_traitsISL_E10value_typeET2_T3_PNSM_ISR_E10value_typeET4_jRbjT5_SX_jjP12ihipStream_tbEUlT_E_NS1_11comp_targetILNS1_3genE5ELNS1_11target_archE942ELNS1_3gpuE9ELNS1_3repE0EEENS1_30default_config_static_selectorELNS0_4arch9wavefront6targetE0EEEvSL_, .Lfunc_end1730-_ZN7rocprim17ROCPRIM_400000_NS6detail17trampoline_kernelINS0_14default_configENS1_36segmented_radix_sort_config_selectorI6__halflEEZNS1_25segmented_radix_sort_implIS3_Lb1EPKS5_PS5_PKlPlN2at6native12_GLOBAL__N_18offset_tEEE10hipError_tPvRmT1_PNSt15iterator_traitsISL_E10value_typeET2_T3_PNSM_ISR_E10value_typeET4_jRbjT5_SX_jjP12ihipStream_tbEUlT_E_NS1_11comp_targetILNS1_3genE5ELNS1_11target_archE942ELNS1_3gpuE9ELNS1_3repE0EEENS1_30default_config_static_selectorELNS0_4arch9wavefront6targetE0EEEvSL_
                                        ; -- End function
	.set _ZN7rocprim17ROCPRIM_400000_NS6detail17trampoline_kernelINS0_14default_configENS1_36segmented_radix_sort_config_selectorI6__halflEEZNS1_25segmented_radix_sort_implIS3_Lb1EPKS5_PS5_PKlPlN2at6native12_GLOBAL__N_18offset_tEEE10hipError_tPvRmT1_PNSt15iterator_traitsISL_E10value_typeET2_T3_PNSM_ISR_E10value_typeET4_jRbjT5_SX_jjP12ihipStream_tbEUlT_E_NS1_11comp_targetILNS1_3genE5ELNS1_11target_archE942ELNS1_3gpuE9ELNS1_3repE0EEENS1_30default_config_static_selectorELNS0_4arch9wavefront6targetE0EEEvSL_.num_vgpr, 0
	.set _ZN7rocprim17ROCPRIM_400000_NS6detail17trampoline_kernelINS0_14default_configENS1_36segmented_radix_sort_config_selectorI6__halflEEZNS1_25segmented_radix_sort_implIS3_Lb1EPKS5_PS5_PKlPlN2at6native12_GLOBAL__N_18offset_tEEE10hipError_tPvRmT1_PNSt15iterator_traitsISL_E10value_typeET2_T3_PNSM_ISR_E10value_typeET4_jRbjT5_SX_jjP12ihipStream_tbEUlT_E_NS1_11comp_targetILNS1_3genE5ELNS1_11target_archE942ELNS1_3gpuE9ELNS1_3repE0EEENS1_30default_config_static_selectorELNS0_4arch9wavefront6targetE0EEEvSL_.num_agpr, 0
	.set _ZN7rocprim17ROCPRIM_400000_NS6detail17trampoline_kernelINS0_14default_configENS1_36segmented_radix_sort_config_selectorI6__halflEEZNS1_25segmented_radix_sort_implIS3_Lb1EPKS5_PS5_PKlPlN2at6native12_GLOBAL__N_18offset_tEEE10hipError_tPvRmT1_PNSt15iterator_traitsISL_E10value_typeET2_T3_PNSM_ISR_E10value_typeET4_jRbjT5_SX_jjP12ihipStream_tbEUlT_E_NS1_11comp_targetILNS1_3genE5ELNS1_11target_archE942ELNS1_3gpuE9ELNS1_3repE0EEENS1_30default_config_static_selectorELNS0_4arch9wavefront6targetE0EEEvSL_.numbered_sgpr, 0
	.set _ZN7rocprim17ROCPRIM_400000_NS6detail17trampoline_kernelINS0_14default_configENS1_36segmented_radix_sort_config_selectorI6__halflEEZNS1_25segmented_radix_sort_implIS3_Lb1EPKS5_PS5_PKlPlN2at6native12_GLOBAL__N_18offset_tEEE10hipError_tPvRmT1_PNSt15iterator_traitsISL_E10value_typeET2_T3_PNSM_ISR_E10value_typeET4_jRbjT5_SX_jjP12ihipStream_tbEUlT_E_NS1_11comp_targetILNS1_3genE5ELNS1_11target_archE942ELNS1_3gpuE9ELNS1_3repE0EEENS1_30default_config_static_selectorELNS0_4arch9wavefront6targetE0EEEvSL_.num_named_barrier, 0
	.set _ZN7rocprim17ROCPRIM_400000_NS6detail17trampoline_kernelINS0_14default_configENS1_36segmented_radix_sort_config_selectorI6__halflEEZNS1_25segmented_radix_sort_implIS3_Lb1EPKS5_PS5_PKlPlN2at6native12_GLOBAL__N_18offset_tEEE10hipError_tPvRmT1_PNSt15iterator_traitsISL_E10value_typeET2_T3_PNSM_ISR_E10value_typeET4_jRbjT5_SX_jjP12ihipStream_tbEUlT_E_NS1_11comp_targetILNS1_3genE5ELNS1_11target_archE942ELNS1_3gpuE9ELNS1_3repE0EEENS1_30default_config_static_selectorELNS0_4arch9wavefront6targetE0EEEvSL_.private_seg_size, 0
	.set _ZN7rocprim17ROCPRIM_400000_NS6detail17trampoline_kernelINS0_14default_configENS1_36segmented_radix_sort_config_selectorI6__halflEEZNS1_25segmented_radix_sort_implIS3_Lb1EPKS5_PS5_PKlPlN2at6native12_GLOBAL__N_18offset_tEEE10hipError_tPvRmT1_PNSt15iterator_traitsISL_E10value_typeET2_T3_PNSM_ISR_E10value_typeET4_jRbjT5_SX_jjP12ihipStream_tbEUlT_E_NS1_11comp_targetILNS1_3genE5ELNS1_11target_archE942ELNS1_3gpuE9ELNS1_3repE0EEENS1_30default_config_static_selectorELNS0_4arch9wavefront6targetE0EEEvSL_.uses_vcc, 0
	.set _ZN7rocprim17ROCPRIM_400000_NS6detail17trampoline_kernelINS0_14default_configENS1_36segmented_radix_sort_config_selectorI6__halflEEZNS1_25segmented_radix_sort_implIS3_Lb1EPKS5_PS5_PKlPlN2at6native12_GLOBAL__N_18offset_tEEE10hipError_tPvRmT1_PNSt15iterator_traitsISL_E10value_typeET2_T3_PNSM_ISR_E10value_typeET4_jRbjT5_SX_jjP12ihipStream_tbEUlT_E_NS1_11comp_targetILNS1_3genE5ELNS1_11target_archE942ELNS1_3gpuE9ELNS1_3repE0EEENS1_30default_config_static_selectorELNS0_4arch9wavefront6targetE0EEEvSL_.uses_flat_scratch, 0
	.set _ZN7rocprim17ROCPRIM_400000_NS6detail17trampoline_kernelINS0_14default_configENS1_36segmented_radix_sort_config_selectorI6__halflEEZNS1_25segmented_radix_sort_implIS3_Lb1EPKS5_PS5_PKlPlN2at6native12_GLOBAL__N_18offset_tEEE10hipError_tPvRmT1_PNSt15iterator_traitsISL_E10value_typeET2_T3_PNSM_ISR_E10value_typeET4_jRbjT5_SX_jjP12ihipStream_tbEUlT_E_NS1_11comp_targetILNS1_3genE5ELNS1_11target_archE942ELNS1_3gpuE9ELNS1_3repE0EEENS1_30default_config_static_selectorELNS0_4arch9wavefront6targetE0EEEvSL_.has_dyn_sized_stack, 0
	.set _ZN7rocprim17ROCPRIM_400000_NS6detail17trampoline_kernelINS0_14default_configENS1_36segmented_radix_sort_config_selectorI6__halflEEZNS1_25segmented_radix_sort_implIS3_Lb1EPKS5_PS5_PKlPlN2at6native12_GLOBAL__N_18offset_tEEE10hipError_tPvRmT1_PNSt15iterator_traitsISL_E10value_typeET2_T3_PNSM_ISR_E10value_typeET4_jRbjT5_SX_jjP12ihipStream_tbEUlT_E_NS1_11comp_targetILNS1_3genE5ELNS1_11target_archE942ELNS1_3gpuE9ELNS1_3repE0EEENS1_30default_config_static_selectorELNS0_4arch9wavefront6targetE0EEEvSL_.has_recursion, 0
	.set _ZN7rocprim17ROCPRIM_400000_NS6detail17trampoline_kernelINS0_14default_configENS1_36segmented_radix_sort_config_selectorI6__halflEEZNS1_25segmented_radix_sort_implIS3_Lb1EPKS5_PS5_PKlPlN2at6native12_GLOBAL__N_18offset_tEEE10hipError_tPvRmT1_PNSt15iterator_traitsISL_E10value_typeET2_T3_PNSM_ISR_E10value_typeET4_jRbjT5_SX_jjP12ihipStream_tbEUlT_E_NS1_11comp_targetILNS1_3genE5ELNS1_11target_archE942ELNS1_3gpuE9ELNS1_3repE0EEENS1_30default_config_static_selectorELNS0_4arch9wavefront6targetE0EEEvSL_.has_indirect_call, 0
	.section	.AMDGPU.csdata,"",@progbits
; Kernel info:
; codeLenInByte = 0
; TotalNumSgprs: 0
; NumVgprs: 0
; ScratchSize: 0
; MemoryBound: 0
; FloatMode: 240
; IeeeMode: 1
; LDSByteSize: 0 bytes/workgroup (compile time only)
; SGPRBlocks: 0
; VGPRBlocks: 0
; NumSGPRsForWavesPerEU: 1
; NumVGPRsForWavesPerEU: 1
; Occupancy: 16
; WaveLimiterHint : 0
; COMPUTE_PGM_RSRC2:SCRATCH_EN: 0
; COMPUTE_PGM_RSRC2:USER_SGPR: 6
; COMPUTE_PGM_RSRC2:TRAP_HANDLER: 0
; COMPUTE_PGM_RSRC2:TGID_X_EN: 1
; COMPUTE_PGM_RSRC2:TGID_Y_EN: 0
; COMPUTE_PGM_RSRC2:TGID_Z_EN: 0
; COMPUTE_PGM_RSRC2:TIDIG_COMP_CNT: 0
	.section	.text._ZN7rocprim17ROCPRIM_400000_NS6detail17trampoline_kernelINS0_14default_configENS1_36segmented_radix_sort_config_selectorI6__halflEEZNS1_25segmented_radix_sort_implIS3_Lb1EPKS5_PS5_PKlPlN2at6native12_GLOBAL__N_18offset_tEEE10hipError_tPvRmT1_PNSt15iterator_traitsISL_E10value_typeET2_T3_PNSM_ISR_E10value_typeET4_jRbjT5_SX_jjP12ihipStream_tbEUlT_E_NS1_11comp_targetILNS1_3genE4ELNS1_11target_archE910ELNS1_3gpuE8ELNS1_3repE0EEENS1_30default_config_static_selectorELNS0_4arch9wavefront6targetE0EEEvSL_,"axG",@progbits,_ZN7rocprim17ROCPRIM_400000_NS6detail17trampoline_kernelINS0_14default_configENS1_36segmented_radix_sort_config_selectorI6__halflEEZNS1_25segmented_radix_sort_implIS3_Lb1EPKS5_PS5_PKlPlN2at6native12_GLOBAL__N_18offset_tEEE10hipError_tPvRmT1_PNSt15iterator_traitsISL_E10value_typeET2_T3_PNSM_ISR_E10value_typeET4_jRbjT5_SX_jjP12ihipStream_tbEUlT_E_NS1_11comp_targetILNS1_3genE4ELNS1_11target_archE910ELNS1_3gpuE8ELNS1_3repE0EEENS1_30default_config_static_selectorELNS0_4arch9wavefront6targetE0EEEvSL_,comdat
	.globl	_ZN7rocprim17ROCPRIM_400000_NS6detail17trampoline_kernelINS0_14default_configENS1_36segmented_radix_sort_config_selectorI6__halflEEZNS1_25segmented_radix_sort_implIS3_Lb1EPKS5_PS5_PKlPlN2at6native12_GLOBAL__N_18offset_tEEE10hipError_tPvRmT1_PNSt15iterator_traitsISL_E10value_typeET2_T3_PNSM_ISR_E10value_typeET4_jRbjT5_SX_jjP12ihipStream_tbEUlT_E_NS1_11comp_targetILNS1_3genE4ELNS1_11target_archE910ELNS1_3gpuE8ELNS1_3repE0EEENS1_30default_config_static_selectorELNS0_4arch9wavefront6targetE0EEEvSL_ ; -- Begin function _ZN7rocprim17ROCPRIM_400000_NS6detail17trampoline_kernelINS0_14default_configENS1_36segmented_radix_sort_config_selectorI6__halflEEZNS1_25segmented_radix_sort_implIS3_Lb1EPKS5_PS5_PKlPlN2at6native12_GLOBAL__N_18offset_tEEE10hipError_tPvRmT1_PNSt15iterator_traitsISL_E10value_typeET2_T3_PNSM_ISR_E10value_typeET4_jRbjT5_SX_jjP12ihipStream_tbEUlT_E_NS1_11comp_targetILNS1_3genE4ELNS1_11target_archE910ELNS1_3gpuE8ELNS1_3repE0EEENS1_30default_config_static_selectorELNS0_4arch9wavefront6targetE0EEEvSL_
	.p2align	8
	.type	_ZN7rocprim17ROCPRIM_400000_NS6detail17trampoline_kernelINS0_14default_configENS1_36segmented_radix_sort_config_selectorI6__halflEEZNS1_25segmented_radix_sort_implIS3_Lb1EPKS5_PS5_PKlPlN2at6native12_GLOBAL__N_18offset_tEEE10hipError_tPvRmT1_PNSt15iterator_traitsISL_E10value_typeET2_T3_PNSM_ISR_E10value_typeET4_jRbjT5_SX_jjP12ihipStream_tbEUlT_E_NS1_11comp_targetILNS1_3genE4ELNS1_11target_archE910ELNS1_3gpuE8ELNS1_3repE0EEENS1_30default_config_static_selectorELNS0_4arch9wavefront6targetE0EEEvSL_,@function
_ZN7rocprim17ROCPRIM_400000_NS6detail17trampoline_kernelINS0_14default_configENS1_36segmented_radix_sort_config_selectorI6__halflEEZNS1_25segmented_radix_sort_implIS3_Lb1EPKS5_PS5_PKlPlN2at6native12_GLOBAL__N_18offset_tEEE10hipError_tPvRmT1_PNSt15iterator_traitsISL_E10value_typeET2_T3_PNSM_ISR_E10value_typeET4_jRbjT5_SX_jjP12ihipStream_tbEUlT_E_NS1_11comp_targetILNS1_3genE4ELNS1_11target_archE910ELNS1_3gpuE8ELNS1_3repE0EEENS1_30default_config_static_selectorELNS0_4arch9wavefront6targetE0EEEvSL_: ; @_ZN7rocprim17ROCPRIM_400000_NS6detail17trampoline_kernelINS0_14default_configENS1_36segmented_radix_sort_config_selectorI6__halflEEZNS1_25segmented_radix_sort_implIS3_Lb1EPKS5_PS5_PKlPlN2at6native12_GLOBAL__N_18offset_tEEE10hipError_tPvRmT1_PNSt15iterator_traitsISL_E10value_typeET2_T3_PNSM_ISR_E10value_typeET4_jRbjT5_SX_jjP12ihipStream_tbEUlT_E_NS1_11comp_targetILNS1_3genE4ELNS1_11target_archE910ELNS1_3gpuE8ELNS1_3repE0EEENS1_30default_config_static_selectorELNS0_4arch9wavefront6targetE0EEEvSL_
; %bb.0:
	.section	.rodata,"a",@progbits
	.p2align	6, 0x0
	.amdhsa_kernel _ZN7rocprim17ROCPRIM_400000_NS6detail17trampoline_kernelINS0_14default_configENS1_36segmented_radix_sort_config_selectorI6__halflEEZNS1_25segmented_radix_sort_implIS3_Lb1EPKS5_PS5_PKlPlN2at6native12_GLOBAL__N_18offset_tEEE10hipError_tPvRmT1_PNSt15iterator_traitsISL_E10value_typeET2_T3_PNSM_ISR_E10value_typeET4_jRbjT5_SX_jjP12ihipStream_tbEUlT_E_NS1_11comp_targetILNS1_3genE4ELNS1_11target_archE910ELNS1_3gpuE8ELNS1_3repE0EEENS1_30default_config_static_selectorELNS0_4arch9wavefront6targetE0EEEvSL_
		.amdhsa_group_segment_fixed_size 0
		.amdhsa_private_segment_fixed_size 0
		.amdhsa_kernarg_size 96
		.amdhsa_user_sgpr_count 6
		.amdhsa_user_sgpr_private_segment_buffer 1
		.amdhsa_user_sgpr_dispatch_ptr 0
		.amdhsa_user_sgpr_queue_ptr 0
		.amdhsa_user_sgpr_kernarg_segment_ptr 1
		.amdhsa_user_sgpr_dispatch_id 0
		.amdhsa_user_sgpr_flat_scratch_init 0
		.amdhsa_user_sgpr_private_segment_size 0
		.amdhsa_wavefront_size32 1
		.amdhsa_uses_dynamic_stack 0
		.amdhsa_system_sgpr_private_segment_wavefront_offset 0
		.amdhsa_system_sgpr_workgroup_id_x 1
		.amdhsa_system_sgpr_workgroup_id_y 0
		.amdhsa_system_sgpr_workgroup_id_z 0
		.amdhsa_system_sgpr_workgroup_info 0
		.amdhsa_system_vgpr_workitem_id 0
		.amdhsa_next_free_vgpr 1
		.amdhsa_next_free_sgpr 1
		.amdhsa_reserve_vcc 0
		.amdhsa_reserve_flat_scratch 0
		.amdhsa_float_round_mode_32 0
		.amdhsa_float_round_mode_16_64 0
		.amdhsa_float_denorm_mode_32 3
		.amdhsa_float_denorm_mode_16_64 3
		.amdhsa_dx10_clamp 1
		.amdhsa_ieee_mode 1
		.amdhsa_fp16_overflow 0
		.amdhsa_workgroup_processor_mode 1
		.amdhsa_memory_ordered 1
		.amdhsa_forward_progress 1
		.amdhsa_shared_vgpr_count 0
		.amdhsa_exception_fp_ieee_invalid_op 0
		.amdhsa_exception_fp_denorm_src 0
		.amdhsa_exception_fp_ieee_div_zero 0
		.amdhsa_exception_fp_ieee_overflow 0
		.amdhsa_exception_fp_ieee_underflow 0
		.amdhsa_exception_fp_ieee_inexact 0
		.amdhsa_exception_int_div_zero 0
	.end_amdhsa_kernel
	.section	.text._ZN7rocprim17ROCPRIM_400000_NS6detail17trampoline_kernelINS0_14default_configENS1_36segmented_radix_sort_config_selectorI6__halflEEZNS1_25segmented_radix_sort_implIS3_Lb1EPKS5_PS5_PKlPlN2at6native12_GLOBAL__N_18offset_tEEE10hipError_tPvRmT1_PNSt15iterator_traitsISL_E10value_typeET2_T3_PNSM_ISR_E10value_typeET4_jRbjT5_SX_jjP12ihipStream_tbEUlT_E_NS1_11comp_targetILNS1_3genE4ELNS1_11target_archE910ELNS1_3gpuE8ELNS1_3repE0EEENS1_30default_config_static_selectorELNS0_4arch9wavefront6targetE0EEEvSL_,"axG",@progbits,_ZN7rocprim17ROCPRIM_400000_NS6detail17trampoline_kernelINS0_14default_configENS1_36segmented_radix_sort_config_selectorI6__halflEEZNS1_25segmented_radix_sort_implIS3_Lb1EPKS5_PS5_PKlPlN2at6native12_GLOBAL__N_18offset_tEEE10hipError_tPvRmT1_PNSt15iterator_traitsISL_E10value_typeET2_T3_PNSM_ISR_E10value_typeET4_jRbjT5_SX_jjP12ihipStream_tbEUlT_E_NS1_11comp_targetILNS1_3genE4ELNS1_11target_archE910ELNS1_3gpuE8ELNS1_3repE0EEENS1_30default_config_static_selectorELNS0_4arch9wavefront6targetE0EEEvSL_,comdat
.Lfunc_end1731:
	.size	_ZN7rocprim17ROCPRIM_400000_NS6detail17trampoline_kernelINS0_14default_configENS1_36segmented_radix_sort_config_selectorI6__halflEEZNS1_25segmented_radix_sort_implIS3_Lb1EPKS5_PS5_PKlPlN2at6native12_GLOBAL__N_18offset_tEEE10hipError_tPvRmT1_PNSt15iterator_traitsISL_E10value_typeET2_T3_PNSM_ISR_E10value_typeET4_jRbjT5_SX_jjP12ihipStream_tbEUlT_E_NS1_11comp_targetILNS1_3genE4ELNS1_11target_archE910ELNS1_3gpuE8ELNS1_3repE0EEENS1_30default_config_static_selectorELNS0_4arch9wavefront6targetE0EEEvSL_, .Lfunc_end1731-_ZN7rocprim17ROCPRIM_400000_NS6detail17trampoline_kernelINS0_14default_configENS1_36segmented_radix_sort_config_selectorI6__halflEEZNS1_25segmented_radix_sort_implIS3_Lb1EPKS5_PS5_PKlPlN2at6native12_GLOBAL__N_18offset_tEEE10hipError_tPvRmT1_PNSt15iterator_traitsISL_E10value_typeET2_T3_PNSM_ISR_E10value_typeET4_jRbjT5_SX_jjP12ihipStream_tbEUlT_E_NS1_11comp_targetILNS1_3genE4ELNS1_11target_archE910ELNS1_3gpuE8ELNS1_3repE0EEENS1_30default_config_static_selectorELNS0_4arch9wavefront6targetE0EEEvSL_
                                        ; -- End function
	.set _ZN7rocprim17ROCPRIM_400000_NS6detail17trampoline_kernelINS0_14default_configENS1_36segmented_radix_sort_config_selectorI6__halflEEZNS1_25segmented_radix_sort_implIS3_Lb1EPKS5_PS5_PKlPlN2at6native12_GLOBAL__N_18offset_tEEE10hipError_tPvRmT1_PNSt15iterator_traitsISL_E10value_typeET2_T3_PNSM_ISR_E10value_typeET4_jRbjT5_SX_jjP12ihipStream_tbEUlT_E_NS1_11comp_targetILNS1_3genE4ELNS1_11target_archE910ELNS1_3gpuE8ELNS1_3repE0EEENS1_30default_config_static_selectorELNS0_4arch9wavefront6targetE0EEEvSL_.num_vgpr, 0
	.set _ZN7rocprim17ROCPRIM_400000_NS6detail17trampoline_kernelINS0_14default_configENS1_36segmented_radix_sort_config_selectorI6__halflEEZNS1_25segmented_radix_sort_implIS3_Lb1EPKS5_PS5_PKlPlN2at6native12_GLOBAL__N_18offset_tEEE10hipError_tPvRmT1_PNSt15iterator_traitsISL_E10value_typeET2_T3_PNSM_ISR_E10value_typeET4_jRbjT5_SX_jjP12ihipStream_tbEUlT_E_NS1_11comp_targetILNS1_3genE4ELNS1_11target_archE910ELNS1_3gpuE8ELNS1_3repE0EEENS1_30default_config_static_selectorELNS0_4arch9wavefront6targetE0EEEvSL_.num_agpr, 0
	.set _ZN7rocprim17ROCPRIM_400000_NS6detail17trampoline_kernelINS0_14default_configENS1_36segmented_radix_sort_config_selectorI6__halflEEZNS1_25segmented_radix_sort_implIS3_Lb1EPKS5_PS5_PKlPlN2at6native12_GLOBAL__N_18offset_tEEE10hipError_tPvRmT1_PNSt15iterator_traitsISL_E10value_typeET2_T3_PNSM_ISR_E10value_typeET4_jRbjT5_SX_jjP12ihipStream_tbEUlT_E_NS1_11comp_targetILNS1_3genE4ELNS1_11target_archE910ELNS1_3gpuE8ELNS1_3repE0EEENS1_30default_config_static_selectorELNS0_4arch9wavefront6targetE0EEEvSL_.numbered_sgpr, 0
	.set _ZN7rocprim17ROCPRIM_400000_NS6detail17trampoline_kernelINS0_14default_configENS1_36segmented_radix_sort_config_selectorI6__halflEEZNS1_25segmented_radix_sort_implIS3_Lb1EPKS5_PS5_PKlPlN2at6native12_GLOBAL__N_18offset_tEEE10hipError_tPvRmT1_PNSt15iterator_traitsISL_E10value_typeET2_T3_PNSM_ISR_E10value_typeET4_jRbjT5_SX_jjP12ihipStream_tbEUlT_E_NS1_11comp_targetILNS1_3genE4ELNS1_11target_archE910ELNS1_3gpuE8ELNS1_3repE0EEENS1_30default_config_static_selectorELNS0_4arch9wavefront6targetE0EEEvSL_.num_named_barrier, 0
	.set _ZN7rocprim17ROCPRIM_400000_NS6detail17trampoline_kernelINS0_14default_configENS1_36segmented_radix_sort_config_selectorI6__halflEEZNS1_25segmented_radix_sort_implIS3_Lb1EPKS5_PS5_PKlPlN2at6native12_GLOBAL__N_18offset_tEEE10hipError_tPvRmT1_PNSt15iterator_traitsISL_E10value_typeET2_T3_PNSM_ISR_E10value_typeET4_jRbjT5_SX_jjP12ihipStream_tbEUlT_E_NS1_11comp_targetILNS1_3genE4ELNS1_11target_archE910ELNS1_3gpuE8ELNS1_3repE0EEENS1_30default_config_static_selectorELNS0_4arch9wavefront6targetE0EEEvSL_.private_seg_size, 0
	.set _ZN7rocprim17ROCPRIM_400000_NS6detail17trampoline_kernelINS0_14default_configENS1_36segmented_radix_sort_config_selectorI6__halflEEZNS1_25segmented_radix_sort_implIS3_Lb1EPKS5_PS5_PKlPlN2at6native12_GLOBAL__N_18offset_tEEE10hipError_tPvRmT1_PNSt15iterator_traitsISL_E10value_typeET2_T3_PNSM_ISR_E10value_typeET4_jRbjT5_SX_jjP12ihipStream_tbEUlT_E_NS1_11comp_targetILNS1_3genE4ELNS1_11target_archE910ELNS1_3gpuE8ELNS1_3repE0EEENS1_30default_config_static_selectorELNS0_4arch9wavefront6targetE0EEEvSL_.uses_vcc, 0
	.set _ZN7rocprim17ROCPRIM_400000_NS6detail17trampoline_kernelINS0_14default_configENS1_36segmented_radix_sort_config_selectorI6__halflEEZNS1_25segmented_radix_sort_implIS3_Lb1EPKS5_PS5_PKlPlN2at6native12_GLOBAL__N_18offset_tEEE10hipError_tPvRmT1_PNSt15iterator_traitsISL_E10value_typeET2_T3_PNSM_ISR_E10value_typeET4_jRbjT5_SX_jjP12ihipStream_tbEUlT_E_NS1_11comp_targetILNS1_3genE4ELNS1_11target_archE910ELNS1_3gpuE8ELNS1_3repE0EEENS1_30default_config_static_selectorELNS0_4arch9wavefront6targetE0EEEvSL_.uses_flat_scratch, 0
	.set _ZN7rocprim17ROCPRIM_400000_NS6detail17trampoline_kernelINS0_14default_configENS1_36segmented_radix_sort_config_selectorI6__halflEEZNS1_25segmented_radix_sort_implIS3_Lb1EPKS5_PS5_PKlPlN2at6native12_GLOBAL__N_18offset_tEEE10hipError_tPvRmT1_PNSt15iterator_traitsISL_E10value_typeET2_T3_PNSM_ISR_E10value_typeET4_jRbjT5_SX_jjP12ihipStream_tbEUlT_E_NS1_11comp_targetILNS1_3genE4ELNS1_11target_archE910ELNS1_3gpuE8ELNS1_3repE0EEENS1_30default_config_static_selectorELNS0_4arch9wavefront6targetE0EEEvSL_.has_dyn_sized_stack, 0
	.set _ZN7rocprim17ROCPRIM_400000_NS6detail17trampoline_kernelINS0_14default_configENS1_36segmented_radix_sort_config_selectorI6__halflEEZNS1_25segmented_radix_sort_implIS3_Lb1EPKS5_PS5_PKlPlN2at6native12_GLOBAL__N_18offset_tEEE10hipError_tPvRmT1_PNSt15iterator_traitsISL_E10value_typeET2_T3_PNSM_ISR_E10value_typeET4_jRbjT5_SX_jjP12ihipStream_tbEUlT_E_NS1_11comp_targetILNS1_3genE4ELNS1_11target_archE910ELNS1_3gpuE8ELNS1_3repE0EEENS1_30default_config_static_selectorELNS0_4arch9wavefront6targetE0EEEvSL_.has_recursion, 0
	.set _ZN7rocprim17ROCPRIM_400000_NS6detail17trampoline_kernelINS0_14default_configENS1_36segmented_radix_sort_config_selectorI6__halflEEZNS1_25segmented_radix_sort_implIS3_Lb1EPKS5_PS5_PKlPlN2at6native12_GLOBAL__N_18offset_tEEE10hipError_tPvRmT1_PNSt15iterator_traitsISL_E10value_typeET2_T3_PNSM_ISR_E10value_typeET4_jRbjT5_SX_jjP12ihipStream_tbEUlT_E_NS1_11comp_targetILNS1_3genE4ELNS1_11target_archE910ELNS1_3gpuE8ELNS1_3repE0EEENS1_30default_config_static_selectorELNS0_4arch9wavefront6targetE0EEEvSL_.has_indirect_call, 0
	.section	.AMDGPU.csdata,"",@progbits
; Kernel info:
; codeLenInByte = 0
; TotalNumSgprs: 0
; NumVgprs: 0
; ScratchSize: 0
; MemoryBound: 0
; FloatMode: 240
; IeeeMode: 1
; LDSByteSize: 0 bytes/workgroup (compile time only)
; SGPRBlocks: 0
; VGPRBlocks: 0
; NumSGPRsForWavesPerEU: 1
; NumVGPRsForWavesPerEU: 1
; Occupancy: 16
; WaveLimiterHint : 0
; COMPUTE_PGM_RSRC2:SCRATCH_EN: 0
; COMPUTE_PGM_RSRC2:USER_SGPR: 6
; COMPUTE_PGM_RSRC2:TRAP_HANDLER: 0
; COMPUTE_PGM_RSRC2:TGID_X_EN: 1
; COMPUTE_PGM_RSRC2:TGID_Y_EN: 0
; COMPUTE_PGM_RSRC2:TGID_Z_EN: 0
; COMPUTE_PGM_RSRC2:TIDIG_COMP_CNT: 0
	.section	.text._ZN7rocprim17ROCPRIM_400000_NS6detail17trampoline_kernelINS0_14default_configENS1_36segmented_radix_sort_config_selectorI6__halflEEZNS1_25segmented_radix_sort_implIS3_Lb1EPKS5_PS5_PKlPlN2at6native12_GLOBAL__N_18offset_tEEE10hipError_tPvRmT1_PNSt15iterator_traitsISL_E10value_typeET2_T3_PNSM_ISR_E10value_typeET4_jRbjT5_SX_jjP12ihipStream_tbEUlT_E_NS1_11comp_targetILNS1_3genE3ELNS1_11target_archE908ELNS1_3gpuE7ELNS1_3repE0EEENS1_30default_config_static_selectorELNS0_4arch9wavefront6targetE0EEEvSL_,"axG",@progbits,_ZN7rocprim17ROCPRIM_400000_NS6detail17trampoline_kernelINS0_14default_configENS1_36segmented_radix_sort_config_selectorI6__halflEEZNS1_25segmented_radix_sort_implIS3_Lb1EPKS5_PS5_PKlPlN2at6native12_GLOBAL__N_18offset_tEEE10hipError_tPvRmT1_PNSt15iterator_traitsISL_E10value_typeET2_T3_PNSM_ISR_E10value_typeET4_jRbjT5_SX_jjP12ihipStream_tbEUlT_E_NS1_11comp_targetILNS1_3genE3ELNS1_11target_archE908ELNS1_3gpuE7ELNS1_3repE0EEENS1_30default_config_static_selectorELNS0_4arch9wavefront6targetE0EEEvSL_,comdat
	.globl	_ZN7rocprim17ROCPRIM_400000_NS6detail17trampoline_kernelINS0_14default_configENS1_36segmented_radix_sort_config_selectorI6__halflEEZNS1_25segmented_radix_sort_implIS3_Lb1EPKS5_PS5_PKlPlN2at6native12_GLOBAL__N_18offset_tEEE10hipError_tPvRmT1_PNSt15iterator_traitsISL_E10value_typeET2_T3_PNSM_ISR_E10value_typeET4_jRbjT5_SX_jjP12ihipStream_tbEUlT_E_NS1_11comp_targetILNS1_3genE3ELNS1_11target_archE908ELNS1_3gpuE7ELNS1_3repE0EEENS1_30default_config_static_selectorELNS0_4arch9wavefront6targetE0EEEvSL_ ; -- Begin function _ZN7rocprim17ROCPRIM_400000_NS6detail17trampoline_kernelINS0_14default_configENS1_36segmented_radix_sort_config_selectorI6__halflEEZNS1_25segmented_radix_sort_implIS3_Lb1EPKS5_PS5_PKlPlN2at6native12_GLOBAL__N_18offset_tEEE10hipError_tPvRmT1_PNSt15iterator_traitsISL_E10value_typeET2_T3_PNSM_ISR_E10value_typeET4_jRbjT5_SX_jjP12ihipStream_tbEUlT_E_NS1_11comp_targetILNS1_3genE3ELNS1_11target_archE908ELNS1_3gpuE7ELNS1_3repE0EEENS1_30default_config_static_selectorELNS0_4arch9wavefront6targetE0EEEvSL_
	.p2align	8
	.type	_ZN7rocprim17ROCPRIM_400000_NS6detail17trampoline_kernelINS0_14default_configENS1_36segmented_radix_sort_config_selectorI6__halflEEZNS1_25segmented_radix_sort_implIS3_Lb1EPKS5_PS5_PKlPlN2at6native12_GLOBAL__N_18offset_tEEE10hipError_tPvRmT1_PNSt15iterator_traitsISL_E10value_typeET2_T3_PNSM_ISR_E10value_typeET4_jRbjT5_SX_jjP12ihipStream_tbEUlT_E_NS1_11comp_targetILNS1_3genE3ELNS1_11target_archE908ELNS1_3gpuE7ELNS1_3repE0EEENS1_30default_config_static_selectorELNS0_4arch9wavefront6targetE0EEEvSL_,@function
_ZN7rocprim17ROCPRIM_400000_NS6detail17trampoline_kernelINS0_14default_configENS1_36segmented_radix_sort_config_selectorI6__halflEEZNS1_25segmented_radix_sort_implIS3_Lb1EPKS5_PS5_PKlPlN2at6native12_GLOBAL__N_18offset_tEEE10hipError_tPvRmT1_PNSt15iterator_traitsISL_E10value_typeET2_T3_PNSM_ISR_E10value_typeET4_jRbjT5_SX_jjP12ihipStream_tbEUlT_E_NS1_11comp_targetILNS1_3genE3ELNS1_11target_archE908ELNS1_3gpuE7ELNS1_3repE0EEENS1_30default_config_static_selectorELNS0_4arch9wavefront6targetE0EEEvSL_: ; @_ZN7rocprim17ROCPRIM_400000_NS6detail17trampoline_kernelINS0_14default_configENS1_36segmented_radix_sort_config_selectorI6__halflEEZNS1_25segmented_radix_sort_implIS3_Lb1EPKS5_PS5_PKlPlN2at6native12_GLOBAL__N_18offset_tEEE10hipError_tPvRmT1_PNSt15iterator_traitsISL_E10value_typeET2_T3_PNSM_ISR_E10value_typeET4_jRbjT5_SX_jjP12ihipStream_tbEUlT_E_NS1_11comp_targetILNS1_3genE3ELNS1_11target_archE908ELNS1_3gpuE7ELNS1_3repE0EEENS1_30default_config_static_selectorELNS0_4arch9wavefront6targetE0EEEvSL_
; %bb.0:
	.section	.rodata,"a",@progbits
	.p2align	6, 0x0
	.amdhsa_kernel _ZN7rocprim17ROCPRIM_400000_NS6detail17trampoline_kernelINS0_14default_configENS1_36segmented_radix_sort_config_selectorI6__halflEEZNS1_25segmented_radix_sort_implIS3_Lb1EPKS5_PS5_PKlPlN2at6native12_GLOBAL__N_18offset_tEEE10hipError_tPvRmT1_PNSt15iterator_traitsISL_E10value_typeET2_T3_PNSM_ISR_E10value_typeET4_jRbjT5_SX_jjP12ihipStream_tbEUlT_E_NS1_11comp_targetILNS1_3genE3ELNS1_11target_archE908ELNS1_3gpuE7ELNS1_3repE0EEENS1_30default_config_static_selectorELNS0_4arch9wavefront6targetE0EEEvSL_
		.amdhsa_group_segment_fixed_size 0
		.amdhsa_private_segment_fixed_size 0
		.amdhsa_kernarg_size 96
		.amdhsa_user_sgpr_count 6
		.amdhsa_user_sgpr_private_segment_buffer 1
		.amdhsa_user_sgpr_dispatch_ptr 0
		.amdhsa_user_sgpr_queue_ptr 0
		.amdhsa_user_sgpr_kernarg_segment_ptr 1
		.amdhsa_user_sgpr_dispatch_id 0
		.amdhsa_user_sgpr_flat_scratch_init 0
		.amdhsa_user_sgpr_private_segment_size 0
		.amdhsa_wavefront_size32 1
		.amdhsa_uses_dynamic_stack 0
		.amdhsa_system_sgpr_private_segment_wavefront_offset 0
		.amdhsa_system_sgpr_workgroup_id_x 1
		.amdhsa_system_sgpr_workgroup_id_y 0
		.amdhsa_system_sgpr_workgroup_id_z 0
		.amdhsa_system_sgpr_workgroup_info 0
		.amdhsa_system_vgpr_workitem_id 0
		.amdhsa_next_free_vgpr 1
		.amdhsa_next_free_sgpr 1
		.amdhsa_reserve_vcc 0
		.amdhsa_reserve_flat_scratch 0
		.amdhsa_float_round_mode_32 0
		.amdhsa_float_round_mode_16_64 0
		.amdhsa_float_denorm_mode_32 3
		.amdhsa_float_denorm_mode_16_64 3
		.amdhsa_dx10_clamp 1
		.amdhsa_ieee_mode 1
		.amdhsa_fp16_overflow 0
		.amdhsa_workgroup_processor_mode 1
		.amdhsa_memory_ordered 1
		.amdhsa_forward_progress 1
		.amdhsa_shared_vgpr_count 0
		.amdhsa_exception_fp_ieee_invalid_op 0
		.amdhsa_exception_fp_denorm_src 0
		.amdhsa_exception_fp_ieee_div_zero 0
		.amdhsa_exception_fp_ieee_overflow 0
		.amdhsa_exception_fp_ieee_underflow 0
		.amdhsa_exception_fp_ieee_inexact 0
		.amdhsa_exception_int_div_zero 0
	.end_amdhsa_kernel
	.section	.text._ZN7rocprim17ROCPRIM_400000_NS6detail17trampoline_kernelINS0_14default_configENS1_36segmented_radix_sort_config_selectorI6__halflEEZNS1_25segmented_radix_sort_implIS3_Lb1EPKS5_PS5_PKlPlN2at6native12_GLOBAL__N_18offset_tEEE10hipError_tPvRmT1_PNSt15iterator_traitsISL_E10value_typeET2_T3_PNSM_ISR_E10value_typeET4_jRbjT5_SX_jjP12ihipStream_tbEUlT_E_NS1_11comp_targetILNS1_3genE3ELNS1_11target_archE908ELNS1_3gpuE7ELNS1_3repE0EEENS1_30default_config_static_selectorELNS0_4arch9wavefront6targetE0EEEvSL_,"axG",@progbits,_ZN7rocprim17ROCPRIM_400000_NS6detail17trampoline_kernelINS0_14default_configENS1_36segmented_radix_sort_config_selectorI6__halflEEZNS1_25segmented_radix_sort_implIS3_Lb1EPKS5_PS5_PKlPlN2at6native12_GLOBAL__N_18offset_tEEE10hipError_tPvRmT1_PNSt15iterator_traitsISL_E10value_typeET2_T3_PNSM_ISR_E10value_typeET4_jRbjT5_SX_jjP12ihipStream_tbEUlT_E_NS1_11comp_targetILNS1_3genE3ELNS1_11target_archE908ELNS1_3gpuE7ELNS1_3repE0EEENS1_30default_config_static_selectorELNS0_4arch9wavefront6targetE0EEEvSL_,comdat
.Lfunc_end1732:
	.size	_ZN7rocprim17ROCPRIM_400000_NS6detail17trampoline_kernelINS0_14default_configENS1_36segmented_radix_sort_config_selectorI6__halflEEZNS1_25segmented_radix_sort_implIS3_Lb1EPKS5_PS5_PKlPlN2at6native12_GLOBAL__N_18offset_tEEE10hipError_tPvRmT1_PNSt15iterator_traitsISL_E10value_typeET2_T3_PNSM_ISR_E10value_typeET4_jRbjT5_SX_jjP12ihipStream_tbEUlT_E_NS1_11comp_targetILNS1_3genE3ELNS1_11target_archE908ELNS1_3gpuE7ELNS1_3repE0EEENS1_30default_config_static_selectorELNS0_4arch9wavefront6targetE0EEEvSL_, .Lfunc_end1732-_ZN7rocprim17ROCPRIM_400000_NS6detail17trampoline_kernelINS0_14default_configENS1_36segmented_radix_sort_config_selectorI6__halflEEZNS1_25segmented_radix_sort_implIS3_Lb1EPKS5_PS5_PKlPlN2at6native12_GLOBAL__N_18offset_tEEE10hipError_tPvRmT1_PNSt15iterator_traitsISL_E10value_typeET2_T3_PNSM_ISR_E10value_typeET4_jRbjT5_SX_jjP12ihipStream_tbEUlT_E_NS1_11comp_targetILNS1_3genE3ELNS1_11target_archE908ELNS1_3gpuE7ELNS1_3repE0EEENS1_30default_config_static_selectorELNS0_4arch9wavefront6targetE0EEEvSL_
                                        ; -- End function
	.set _ZN7rocprim17ROCPRIM_400000_NS6detail17trampoline_kernelINS0_14default_configENS1_36segmented_radix_sort_config_selectorI6__halflEEZNS1_25segmented_radix_sort_implIS3_Lb1EPKS5_PS5_PKlPlN2at6native12_GLOBAL__N_18offset_tEEE10hipError_tPvRmT1_PNSt15iterator_traitsISL_E10value_typeET2_T3_PNSM_ISR_E10value_typeET4_jRbjT5_SX_jjP12ihipStream_tbEUlT_E_NS1_11comp_targetILNS1_3genE3ELNS1_11target_archE908ELNS1_3gpuE7ELNS1_3repE0EEENS1_30default_config_static_selectorELNS0_4arch9wavefront6targetE0EEEvSL_.num_vgpr, 0
	.set _ZN7rocprim17ROCPRIM_400000_NS6detail17trampoline_kernelINS0_14default_configENS1_36segmented_radix_sort_config_selectorI6__halflEEZNS1_25segmented_radix_sort_implIS3_Lb1EPKS5_PS5_PKlPlN2at6native12_GLOBAL__N_18offset_tEEE10hipError_tPvRmT1_PNSt15iterator_traitsISL_E10value_typeET2_T3_PNSM_ISR_E10value_typeET4_jRbjT5_SX_jjP12ihipStream_tbEUlT_E_NS1_11comp_targetILNS1_3genE3ELNS1_11target_archE908ELNS1_3gpuE7ELNS1_3repE0EEENS1_30default_config_static_selectorELNS0_4arch9wavefront6targetE0EEEvSL_.num_agpr, 0
	.set _ZN7rocprim17ROCPRIM_400000_NS6detail17trampoline_kernelINS0_14default_configENS1_36segmented_radix_sort_config_selectorI6__halflEEZNS1_25segmented_radix_sort_implIS3_Lb1EPKS5_PS5_PKlPlN2at6native12_GLOBAL__N_18offset_tEEE10hipError_tPvRmT1_PNSt15iterator_traitsISL_E10value_typeET2_T3_PNSM_ISR_E10value_typeET4_jRbjT5_SX_jjP12ihipStream_tbEUlT_E_NS1_11comp_targetILNS1_3genE3ELNS1_11target_archE908ELNS1_3gpuE7ELNS1_3repE0EEENS1_30default_config_static_selectorELNS0_4arch9wavefront6targetE0EEEvSL_.numbered_sgpr, 0
	.set _ZN7rocprim17ROCPRIM_400000_NS6detail17trampoline_kernelINS0_14default_configENS1_36segmented_radix_sort_config_selectorI6__halflEEZNS1_25segmented_radix_sort_implIS3_Lb1EPKS5_PS5_PKlPlN2at6native12_GLOBAL__N_18offset_tEEE10hipError_tPvRmT1_PNSt15iterator_traitsISL_E10value_typeET2_T3_PNSM_ISR_E10value_typeET4_jRbjT5_SX_jjP12ihipStream_tbEUlT_E_NS1_11comp_targetILNS1_3genE3ELNS1_11target_archE908ELNS1_3gpuE7ELNS1_3repE0EEENS1_30default_config_static_selectorELNS0_4arch9wavefront6targetE0EEEvSL_.num_named_barrier, 0
	.set _ZN7rocprim17ROCPRIM_400000_NS6detail17trampoline_kernelINS0_14default_configENS1_36segmented_radix_sort_config_selectorI6__halflEEZNS1_25segmented_radix_sort_implIS3_Lb1EPKS5_PS5_PKlPlN2at6native12_GLOBAL__N_18offset_tEEE10hipError_tPvRmT1_PNSt15iterator_traitsISL_E10value_typeET2_T3_PNSM_ISR_E10value_typeET4_jRbjT5_SX_jjP12ihipStream_tbEUlT_E_NS1_11comp_targetILNS1_3genE3ELNS1_11target_archE908ELNS1_3gpuE7ELNS1_3repE0EEENS1_30default_config_static_selectorELNS0_4arch9wavefront6targetE0EEEvSL_.private_seg_size, 0
	.set _ZN7rocprim17ROCPRIM_400000_NS6detail17trampoline_kernelINS0_14default_configENS1_36segmented_radix_sort_config_selectorI6__halflEEZNS1_25segmented_radix_sort_implIS3_Lb1EPKS5_PS5_PKlPlN2at6native12_GLOBAL__N_18offset_tEEE10hipError_tPvRmT1_PNSt15iterator_traitsISL_E10value_typeET2_T3_PNSM_ISR_E10value_typeET4_jRbjT5_SX_jjP12ihipStream_tbEUlT_E_NS1_11comp_targetILNS1_3genE3ELNS1_11target_archE908ELNS1_3gpuE7ELNS1_3repE0EEENS1_30default_config_static_selectorELNS0_4arch9wavefront6targetE0EEEvSL_.uses_vcc, 0
	.set _ZN7rocprim17ROCPRIM_400000_NS6detail17trampoline_kernelINS0_14default_configENS1_36segmented_radix_sort_config_selectorI6__halflEEZNS1_25segmented_radix_sort_implIS3_Lb1EPKS5_PS5_PKlPlN2at6native12_GLOBAL__N_18offset_tEEE10hipError_tPvRmT1_PNSt15iterator_traitsISL_E10value_typeET2_T3_PNSM_ISR_E10value_typeET4_jRbjT5_SX_jjP12ihipStream_tbEUlT_E_NS1_11comp_targetILNS1_3genE3ELNS1_11target_archE908ELNS1_3gpuE7ELNS1_3repE0EEENS1_30default_config_static_selectorELNS0_4arch9wavefront6targetE0EEEvSL_.uses_flat_scratch, 0
	.set _ZN7rocprim17ROCPRIM_400000_NS6detail17trampoline_kernelINS0_14default_configENS1_36segmented_radix_sort_config_selectorI6__halflEEZNS1_25segmented_radix_sort_implIS3_Lb1EPKS5_PS5_PKlPlN2at6native12_GLOBAL__N_18offset_tEEE10hipError_tPvRmT1_PNSt15iterator_traitsISL_E10value_typeET2_T3_PNSM_ISR_E10value_typeET4_jRbjT5_SX_jjP12ihipStream_tbEUlT_E_NS1_11comp_targetILNS1_3genE3ELNS1_11target_archE908ELNS1_3gpuE7ELNS1_3repE0EEENS1_30default_config_static_selectorELNS0_4arch9wavefront6targetE0EEEvSL_.has_dyn_sized_stack, 0
	.set _ZN7rocprim17ROCPRIM_400000_NS6detail17trampoline_kernelINS0_14default_configENS1_36segmented_radix_sort_config_selectorI6__halflEEZNS1_25segmented_radix_sort_implIS3_Lb1EPKS5_PS5_PKlPlN2at6native12_GLOBAL__N_18offset_tEEE10hipError_tPvRmT1_PNSt15iterator_traitsISL_E10value_typeET2_T3_PNSM_ISR_E10value_typeET4_jRbjT5_SX_jjP12ihipStream_tbEUlT_E_NS1_11comp_targetILNS1_3genE3ELNS1_11target_archE908ELNS1_3gpuE7ELNS1_3repE0EEENS1_30default_config_static_selectorELNS0_4arch9wavefront6targetE0EEEvSL_.has_recursion, 0
	.set _ZN7rocprim17ROCPRIM_400000_NS6detail17trampoline_kernelINS0_14default_configENS1_36segmented_radix_sort_config_selectorI6__halflEEZNS1_25segmented_radix_sort_implIS3_Lb1EPKS5_PS5_PKlPlN2at6native12_GLOBAL__N_18offset_tEEE10hipError_tPvRmT1_PNSt15iterator_traitsISL_E10value_typeET2_T3_PNSM_ISR_E10value_typeET4_jRbjT5_SX_jjP12ihipStream_tbEUlT_E_NS1_11comp_targetILNS1_3genE3ELNS1_11target_archE908ELNS1_3gpuE7ELNS1_3repE0EEENS1_30default_config_static_selectorELNS0_4arch9wavefront6targetE0EEEvSL_.has_indirect_call, 0
	.section	.AMDGPU.csdata,"",@progbits
; Kernel info:
; codeLenInByte = 0
; TotalNumSgprs: 0
; NumVgprs: 0
; ScratchSize: 0
; MemoryBound: 0
; FloatMode: 240
; IeeeMode: 1
; LDSByteSize: 0 bytes/workgroup (compile time only)
; SGPRBlocks: 0
; VGPRBlocks: 0
; NumSGPRsForWavesPerEU: 1
; NumVGPRsForWavesPerEU: 1
; Occupancy: 16
; WaveLimiterHint : 0
; COMPUTE_PGM_RSRC2:SCRATCH_EN: 0
; COMPUTE_PGM_RSRC2:USER_SGPR: 6
; COMPUTE_PGM_RSRC2:TRAP_HANDLER: 0
; COMPUTE_PGM_RSRC2:TGID_X_EN: 1
; COMPUTE_PGM_RSRC2:TGID_Y_EN: 0
; COMPUTE_PGM_RSRC2:TGID_Z_EN: 0
; COMPUTE_PGM_RSRC2:TIDIG_COMP_CNT: 0
	.section	.text._ZN7rocprim17ROCPRIM_400000_NS6detail17trampoline_kernelINS0_14default_configENS1_36segmented_radix_sort_config_selectorI6__halflEEZNS1_25segmented_radix_sort_implIS3_Lb1EPKS5_PS5_PKlPlN2at6native12_GLOBAL__N_18offset_tEEE10hipError_tPvRmT1_PNSt15iterator_traitsISL_E10value_typeET2_T3_PNSM_ISR_E10value_typeET4_jRbjT5_SX_jjP12ihipStream_tbEUlT_E_NS1_11comp_targetILNS1_3genE2ELNS1_11target_archE906ELNS1_3gpuE6ELNS1_3repE0EEENS1_30default_config_static_selectorELNS0_4arch9wavefront6targetE0EEEvSL_,"axG",@progbits,_ZN7rocprim17ROCPRIM_400000_NS6detail17trampoline_kernelINS0_14default_configENS1_36segmented_radix_sort_config_selectorI6__halflEEZNS1_25segmented_radix_sort_implIS3_Lb1EPKS5_PS5_PKlPlN2at6native12_GLOBAL__N_18offset_tEEE10hipError_tPvRmT1_PNSt15iterator_traitsISL_E10value_typeET2_T3_PNSM_ISR_E10value_typeET4_jRbjT5_SX_jjP12ihipStream_tbEUlT_E_NS1_11comp_targetILNS1_3genE2ELNS1_11target_archE906ELNS1_3gpuE6ELNS1_3repE0EEENS1_30default_config_static_selectorELNS0_4arch9wavefront6targetE0EEEvSL_,comdat
	.globl	_ZN7rocprim17ROCPRIM_400000_NS6detail17trampoline_kernelINS0_14default_configENS1_36segmented_radix_sort_config_selectorI6__halflEEZNS1_25segmented_radix_sort_implIS3_Lb1EPKS5_PS5_PKlPlN2at6native12_GLOBAL__N_18offset_tEEE10hipError_tPvRmT1_PNSt15iterator_traitsISL_E10value_typeET2_T3_PNSM_ISR_E10value_typeET4_jRbjT5_SX_jjP12ihipStream_tbEUlT_E_NS1_11comp_targetILNS1_3genE2ELNS1_11target_archE906ELNS1_3gpuE6ELNS1_3repE0EEENS1_30default_config_static_selectorELNS0_4arch9wavefront6targetE0EEEvSL_ ; -- Begin function _ZN7rocprim17ROCPRIM_400000_NS6detail17trampoline_kernelINS0_14default_configENS1_36segmented_radix_sort_config_selectorI6__halflEEZNS1_25segmented_radix_sort_implIS3_Lb1EPKS5_PS5_PKlPlN2at6native12_GLOBAL__N_18offset_tEEE10hipError_tPvRmT1_PNSt15iterator_traitsISL_E10value_typeET2_T3_PNSM_ISR_E10value_typeET4_jRbjT5_SX_jjP12ihipStream_tbEUlT_E_NS1_11comp_targetILNS1_3genE2ELNS1_11target_archE906ELNS1_3gpuE6ELNS1_3repE0EEENS1_30default_config_static_selectorELNS0_4arch9wavefront6targetE0EEEvSL_
	.p2align	8
	.type	_ZN7rocprim17ROCPRIM_400000_NS6detail17trampoline_kernelINS0_14default_configENS1_36segmented_radix_sort_config_selectorI6__halflEEZNS1_25segmented_radix_sort_implIS3_Lb1EPKS5_PS5_PKlPlN2at6native12_GLOBAL__N_18offset_tEEE10hipError_tPvRmT1_PNSt15iterator_traitsISL_E10value_typeET2_T3_PNSM_ISR_E10value_typeET4_jRbjT5_SX_jjP12ihipStream_tbEUlT_E_NS1_11comp_targetILNS1_3genE2ELNS1_11target_archE906ELNS1_3gpuE6ELNS1_3repE0EEENS1_30default_config_static_selectorELNS0_4arch9wavefront6targetE0EEEvSL_,@function
_ZN7rocprim17ROCPRIM_400000_NS6detail17trampoline_kernelINS0_14default_configENS1_36segmented_radix_sort_config_selectorI6__halflEEZNS1_25segmented_radix_sort_implIS3_Lb1EPKS5_PS5_PKlPlN2at6native12_GLOBAL__N_18offset_tEEE10hipError_tPvRmT1_PNSt15iterator_traitsISL_E10value_typeET2_T3_PNSM_ISR_E10value_typeET4_jRbjT5_SX_jjP12ihipStream_tbEUlT_E_NS1_11comp_targetILNS1_3genE2ELNS1_11target_archE906ELNS1_3gpuE6ELNS1_3repE0EEENS1_30default_config_static_selectorELNS0_4arch9wavefront6targetE0EEEvSL_: ; @_ZN7rocprim17ROCPRIM_400000_NS6detail17trampoline_kernelINS0_14default_configENS1_36segmented_radix_sort_config_selectorI6__halflEEZNS1_25segmented_radix_sort_implIS3_Lb1EPKS5_PS5_PKlPlN2at6native12_GLOBAL__N_18offset_tEEE10hipError_tPvRmT1_PNSt15iterator_traitsISL_E10value_typeET2_T3_PNSM_ISR_E10value_typeET4_jRbjT5_SX_jjP12ihipStream_tbEUlT_E_NS1_11comp_targetILNS1_3genE2ELNS1_11target_archE906ELNS1_3gpuE6ELNS1_3repE0EEENS1_30default_config_static_selectorELNS0_4arch9wavefront6targetE0EEEvSL_
; %bb.0:
	.section	.rodata,"a",@progbits
	.p2align	6, 0x0
	.amdhsa_kernel _ZN7rocprim17ROCPRIM_400000_NS6detail17trampoline_kernelINS0_14default_configENS1_36segmented_radix_sort_config_selectorI6__halflEEZNS1_25segmented_radix_sort_implIS3_Lb1EPKS5_PS5_PKlPlN2at6native12_GLOBAL__N_18offset_tEEE10hipError_tPvRmT1_PNSt15iterator_traitsISL_E10value_typeET2_T3_PNSM_ISR_E10value_typeET4_jRbjT5_SX_jjP12ihipStream_tbEUlT_E_NS1_11comp_targetILNS1_3genE2ELNS1_11target_archE906ELNS1_3gpuE6ELNS1_3repE0EEENS1_30default_config_static_selectorELNS0_4arch9wavefront6targetE0EEEvSL_
		.amdhsa_group_segment_fixed_size 0
		.amdhsa_private_segment_fixed_size 0
		.amdhsa_kernarg_size 96
		.amdhsa_user_sgpr_count 6
		.amdhsa_user_sgpr_private_segment_buffer 1
		.amdhsa_user_sgpr_dispatch_ptr 0
		.amdhsa_user_sgpr_queue_ptr 0
		.amdhsa_user_sgpr_kernarg_segment_ptr 1
		.amdhsa_user_sgpr_dispatch_id 0
		.amdhsa_user_sgpr_flat_scratch_init 0
		.amdhsa_user_sgpr_private_segment_size 0
		.amdhsa_wavefront_size32 1
		.amdhsa_uses_dynamic_stack 0
		.amdhsa_system_sgpr_private_segment_wavefront_offset 0
		.amdhsa_system_sgpr_workgroup_id_x 1
		.amdhsa_system_sgpr_workgroup_id_y 0
		.amdhsa_system_sgpr_workgroup_id_z 0
		.amdhsa_system_sgpr_workgroup_info 0
		.amdhsa_system_vgpr_workitem_id 0
		.amdhsa_next_free_vgpr 1
		.amdhsa_next_free_sgpr 1
		.amdhsa_reserve_vcc 0
		.amdhsa_reserve_flat_scratch 0
		.amdhsa_float_round_mode_32 0
		.amdhsa_float_round_mode_16_64 0
		.amdhsa_float_denorm_mode_32 3
		.amdhsa_float_denorm_mode_16_64 3
		.amdhsa_dx10_clamp 1
		.amdhsa_ieee_mode 1
		.amdhsa_fp16_overflow 0
		.amdhsa_workgroup_processor_mode 1
		.amdhsa_memory_ordered 1
		.amdhsa_forward_progress 1
		.amdhsa_shared_vgpr_count 0
		.amdhsa_exception_fp_ieee_invalid_op 0
		.amdhsa_exception_fp_denorm_src 0
		.amdhsa_exception_fp_ieee_div_zero 0
		.amdhsa_exception_fp_ieee_overflow 0
		.amdhsa_exception_fp_ieee_underflow 0
		.amdhsa_exception_fp_ieee_inexact 0
		.amdhsa_exception_int_div_zero 0
	.end_amdhsa_kernel
	.section	.text._ZN7rocprim17ROCPRIM_400000_NS6detail17trampoline_kernelINS0_14default_configENS1_36segmented_radix_sort_config_selectorI6__halflEEZNS1_25segmented_radix_sort_implIS3_Lb1EPKS5_PS5_PKlPlN2at6native12_GLOBAL__N_18offset_tEEE10hipError_tPvRmT1_PNSt15iterator_traitsISL_E10value_typeET2_T3_PNSM_ISR_E10value_typeET4_jRbjT5_SX_jjP12ihipStream_tbEUlT_E_NS1_11comp_targetILNS1_3genE2ELNS1_11target_archE906ELNS1_3gpuE6ELNS1_3repE0EEENS1_30default_config_static_selectorELNS0_4arch9wavefront6targetE0EEEvSL_,"axG",@progbits,_ZN7rocprim17ROCPRIM_400000_NS6detail17trampoline_kernelINS0_14default_configENS1_36segmented_radix_sort_config_selectorI6__halflEEZNS1_25segmented_radix_sort_implIS3_Lb1EPKS5_PS5_PKlPlN2at6native12_GLOBAL__N_18offset_tEEE10hipError_tPvRmT1_PNSt15iterator_traitsISL_E10value_typeET2_T3_PNSM_ISR_E10value_typeET4_jRbjT5_SX_jjP12ihipStream_tbEUlT_E_NS1_11comp_targetILNS1_3genE2ELNS1_11target_archE906ELNS1_3gpuE6ELNS1_3repE0EEENS1_30default_config_static_selectorELNS0_4arch9wavefront6targetE0EEEvSL_,comdat
.Lfunc_end1733:
	.size	_ZN7rocprim17ROCPRIM_400000_NS6detail17trampoline_kernelINS0_14default_configENS1_36segmented_radix_sort_config_selectorI6__halflEEZNS1_25segmented_radix_sort_implIS3_Lb1EPKS5_PS5_PKlPlN2at6native12_GLOBAL__N_18offset_tEEE10hipError_tPvRmT1_PNSt15iterator_traitsISL_E10value_typeET2_T3_PNSM_ISR_E10value_typeET4_jRbjT5_SX_jjP12ihipStream_tbEUlT_E_NS1_11comp_targetILNS1_3genE2ELNS1_11target_archE906ELNS1_3gpuE6ELNS1_3repE0EEENS1_30default_config_static_selectorELNS0_4arch9wavefront6targetE0EEEvSL_, .Lfunc_end1733-_ZN7rocprim17ROCPRIM_400000_NS6detail17trampoline_kernelINS0_14default_configENS1_36segmented_radix_sort_config_selectorI6__halflEEZNS1_25segmented_radix_sort_implIS3_Lb1EPKS5_PS5_PKlPlN2at6native12_GLOBAL__N_18offset_tEEE10hipError_tPvRmT1_PNSt15iterator_traitsISL_E10value_typeET2_T3_PNSM_ISR_E10value_typeET4_jRbjT5_SX_jjP12ihipStream_tbEUlT_E_NS1_11comp_targetILNS1_3genE2ELNS1_11target_archE906ELNS1_3gpuE6ELNS1_3repE0EEENS1_30default_config_static_selectorELNS0_4arch9wavefront6targetE0EEEvSL_
                                        ; -- End function
	.set _ZN7rocprim17ROCPRIM_400000_NS6detail17trampoline_kernelINS0_14default_configENS1_36segmented_radix_sort_config_selectorI6__halflEEZNS1_25segmented_radix_sort_implIS3_Lb1EPKS5_PS5_PKlPlN2at6native12_GLOBAL__N_18offset_tEEE10hipError_tPvRmT1_PNSt15iterator_traitsISL_E10value_typeET2_T3_PNSM_ISR_E10value_typeET4_jRbjT5_SX_jjP12ihipStream_tbEUlT_E_NS1_11comp_targetILNS1_3genE2ELNS1_11target_archE906ELNS1_3gpuE6ELNS1_3repE0EEENS1_30default_config_static_selectorELNS0_4arch9wavefront6targetE0EEEvSL_.num_vgpr, 0
	.set _ZN7rocprim17ROCPRIM_400000_NS6detail17trampoline_kernelINS0_14default_configENS1_36segmented_radix_sort_config_selectorI6__halflEEZNS1_25segmented_radix_sort_implIS3_Lb1EPKS5_PS5_PKlPlN2at6native12_GLOBAL__N_18offset_tEEE10hipError_tPvRmT1_PNSt15iterator_traitsISL_E10value_typeET2_T3_PNSM_ISR_E10value_typeET4_jRbjT5_SX_jjP12ihipStream_tbEUlT_E_NS1_11comp_targetILNS1_3genE2ELNS1_11target_archE906ELNS1_3gpuE6ELNS1_3repE0EEENS1_30default_config_static_selectorELNS0_4arch9wavefront6targetE0EEEvSL_.num_agpr, 0
	.set _ZN7rocprim17ROCPRIM_400000_NS6detail17trampoline_kernelINS0_14default_configENS1_36segmented_radix_sort_config_selectorI6__halflEEZNS1_25segmented_radix_sort_implIS3_Lb1EPKS5_PS5_PKlPlN2at6native12_GLOBAL__N_18offset_tEEE10hipError_tPvRmT1_PNSt15iterator_traitsISL_E10value_typeET2_T3_PNSM_ISR_E10value_typeET4_jRbjT5_SX_jjP12ihipStream_tbEUlT_E_NS1_11comp_targetILNS1_3genE2ELNS1_11target_archE906ELNS1_3gpuE6ELNS1_3repE0EEENS1_30default_config_static_selectorELNS0_4arch9wavefront6targetE0EEEvSL_.numbered_sgpr, 0
	.set _ZN7rocprim17ROCPRIM_400000_NS6detail17trampoline_kernelINS0_14default_configENS1_36segmented_radix_sort_config_selectorI6__halflEEZNS1_25segmented_radix_sort_implIS3_Lb1EPKS5_PS5_PKlPlN2at6native12_GLOBAL__N_18offset_tEEE10hipError_tPvRmT1_PNSt15iterator_traitsISL_E10value_typeET2_T3_PNSM_ISR_E10value_typeET4_jRbjT5_SX_jjP12ihipStream_tbEUlT_E_NS1_11comp_targetILNS1_3genE2ELNS1_11target_archE906ELNS1_3gpuE6ELNS1_3repE0EEENS1_30default_config_static_selectorELNS0_4arch9wavefront6targetE0EEEvSL_.num_named_barrier, 0
	.set _ZN7rocprim17ROCPRIM_400000_NS6detail17trampoline_kernelINS0_14default_configENS1_36segmented_radix_sort_config_selectorI6__halflEEZNS1_25segmented_radix_sort_implIS3_Lb1EPKS5_PS5_PKlPlN2at6native12_GLOBAL__N_18offset_tEEE10hipError_tPvRmT1_PNSt15iterator_traitsISL_E10value_typeET2_T3_PNSM_ISR_E10value_typeET4_jRbjT5_SX_jjP12ihipStream_tbEUlT_E_NS1_11comp_targetILNS1_3genE2ELNS1_11target_archE906ELNS1_3gpuE6ELNS1_3repE0EEENS1_30default_config_static_selectorELNS0_4arch9wavefront6targetE0EEEvSL_.private_seg_size, 0
	.set _ZN7rocprim17ROCPRIM_400000_NS6detail17trampoline_kernelINS0_14default_configENS1_36segmented_radix_sort_config_selectorI6__halflEEZNS1_25segmented_radix_sort_implIS3_Lb1EPKS5_PS5_PKlPlN2at6native12_GLOBAL__N_18offset_tEEE10hipError_tPvRmT1_PNSt15iterator_traitsISL_E10value_typeET2_T3_PNSM_ISR_E10value_typeET4_jRbjT5_SX_jjP12ihipStream_tbEUlT_E_NS1_11comp_targetILNS1_3genE2ELNS1_11target_archE906ELNS1_3gpuE6ELNS1_3repE0EEENS1_30default_config_static_selectorELNS0_4arch9wavefront6targetE0EEEvSL_.uses_vcc, 0
	.set _ZN7rocprim17ROCPRIM_400000_NS6detail17trampoline_kernelINS0_14default_configENS1_36segmented_radix_sort_config_selectorI6__halflEEZNS1_25segmented_radix_sort_implIS3_Lb1EPKS5_PS5_PKlPlN2at6native12_GLOBAL__N_18offset_tEEE10hipError_tPvRmT1_PNSt15iterator_traitsISL_E10value_typeET2_T3_PNSM_ISR_E10value_typeET4_jRbjT5_SX_jjP12ihipStream_tbEUlT_E_NS1_11comp_targetILNS1_3genE2ELNS1_11target_archE906ELNS1_3gpuE6ELNS1_3repE0EEENS1_30default_config_static_selectorELNS0_4arch9wavefront6targetE0EEEvSL_.uses_flat_scratch, 0
	.set _ZN7rocprim17ROCPRIM_400000_NS6detail17trampoline_kernelINS0_14default_configENS1_36segmented_radix_sort_config_selectorI6__halflEEZNS1_25segmented_radix_sort_implIS3_Lb1EPKS5_PS5_PKlPlN2at6native12_GLOBAL__N_18offset_tEEE10hipError_tPvRmT1_PNSt15iterator_traitsISL_E10value_typeET2_T3_PNSM_ISR_E10value_typeET4_jRbjT5_SX_jjP12ihipStream_tbEUlT_E_NS1_11comp_targetILNS1_3genE2ELNS1_11target_archE906ELNS1_3gpuE6ELNS1_3repE0EEENS1_30default_config_static_selectorELNS0_4arch9wavefront6targetE0EEEvSL_.has_dyn_sized_stack, 0
	.set _ZN7rocprim17ROCPRIM_400000_NS6detail17trampoline_kernelINS0_14default_configENS1_36segmented_radix_sort_config_selectorI6__halflEEZNS1_25segmented_radix_sort_implIS3_Lb1EPKS5_PS5_PKlPlN2at6native12_GLOBAL__N_18offset_tEEE10hipError_tPvRmT1_PNSt15iterator_traitsISL_E10value_typeET2_T3_PNSM_ISR_E10value_typeET4_jRbjT5_SX_jjP12ihipStream_tbEUlT_E_NS1_11comp_targetILNS1_3genE2ELNS1_11target_archE906ELNS1_3gpuE6ELNS1_3repE0EEENS1_30default_config_static_selectorELNS0_4arch9wavefront6targetE0EEEvSL_.has_recursion, 0
	.set _ZN7rocprim17ROCPRIM_400000_NS6detail17trampoline_kernelINS0_14default_configENS1_36segmented_radix_sort_config_selectorI6__halflEEZNS1_25segmented_radix_sort_implIS3_Lb1EPKS5_PS5_PKlPlN2at6native12_GLOBAL__N_18offset_tEEE10hipError_tPvRmT1_PNSt15iterator_traitsISL_E10value_typeET2_T3_PNSM_ISR_E10value_typeET4_jRbjT5_SX_jjP12ihipStream_tbEUlT_E_NS1_11comp_targetILNS1_3genE2ELNS1_11target_archE906ELNS1_3gpuE6ELNS1_3repE0EEENS1_30default_config_static_selectorELNS0_4arch9wavefront6targetE0EEEvSL_.has_indirect_call, 0
	.section	.AMDGPU.csdata,"",@progbits
; Kernel info:
; codeLenInByte = 0
; TotalNumSgprs: 0
; NumVgprs: 0
; ScratchSize: 0
; MemoryBound: 0
; FloatMode: 240
; IeeeMode: 1
; LDSByteSize: 0 bytes/workgroup (compile time only)
; SGPRBlocks: 0
; VGPRBlocks: 0
; NumSGPRsForWavesPerEU: 1
; NumVGPRsForWavesPerEU: 1
; Occupancy: 16
; WaveLimiterHint : 0
; COMPUTE_PGM_RSRC2:SCRATCH_EN: 0
; COMPUTE_PGM_RSRC2:USER_SGPR: 6
; COMPUTE_PGM_RSRC2:TRAP_HANDLER: 0
; COMPUTE_PGM_RSRC2:TGID_X_EN: 1
; COMPUTE_PGM_RSRC2:TGID_Y_EN: 0
; COMPUTE_PGM_RSRC2:TGID_Z_EN: 0
; COMPUTE_PGM_RSRC2:TIDIG_COMP_CNT: 0
	.section	.text._ZN7rocprim17ROCPRIM_400000_NS6detail17trampoline_kernelINS0_14default_configENS1_36segmented_radix_sort_config_selectorI6__halflEEZNS1_25segmented_radix_sort_implIS3_Lb1EPKS5_PS5_PKlPlN2at6native12_GLOBAL__N_18offset_tEEE10hipError_tPvRmT1_PNSt15iterator_traitsISL_E10value_typeET2_T3_PNSM_ISR_E10value_typeET4_jRbjT5_SX_jjP12ihipStream_tbEUlT_E_NS1_11comp_targetILNS1_3genE10ELNS1_11target_archE1201ELNS1_3gpuE5ELNS1_3repE0EEENS1_30default_config_static_selectorELNS0_4arch9wavefront6targetE0EEEvSL_,"axG",@progbits,_ZN7rocprim17ROCPRIM_400000_NS6detail17trampoline_kernelINS0_14default_configENS1_36segmented_radix_sort_config_selectorI6__halflEEZNS1_25segmented_radix_sort_implIS3_Lb1EPKS5_PS5_PKlPlN2at6native12_GLOBAL__N_18offset_tEEE10hipError_tPvRmT1_PNSt15iterator_traitsISL_E10value_typeET2_T3_PNSM_ISR_E10value_typeET4_jRbjT5_SX_jjP12ihipStream_tbEUlT_E_NS1_11comp_targetILNS1_3genE10ELNS1_11target_archE1201ELNS1_3gpuE5ELNS1_3repE0EEENS1_30default_config_static_selectorELNS0_4arch9wavefront6targetE0EEEvSL_,comdat
	.globl	_ZN7rocprim17ROCPRIM_400000_NS6detail17trampoline_kernelINS0_14default_configENS1_36segmented_radix_sort_config_selectorI6__halflEEZNS1_25segmented_radix_sort_implIS3_Lb1EPKS5_PS5_PKlPlN2at6native12_GLOBAL__N_18offset_tEEE10hipError_tPvRmT1_PNSt15iterator_traitsISL_E10value_typeET2_T3_PNSM_ISR_E10value_typeET4_jRbjT5_SX_jjP12ihipStream_tbEUlT_E_NS1_11comp_targetILNS1_3genE10ELNS1_11target_archE1201ELNS1_3gpuE5ELNS1_3repE0EEENS1_30default_config_static_selectorELNS0_4arch9wavefront6targetE0EEEvSL_ ; -- Begin function _ZN7rocprim17ROCPRIM_400000_NS6detail17trampoline_kernelINS0_14default_configENS1_36segmented_radix_sort_config_selectorI6__halflEEZNS1_25segmented_radix_sort_implIS3_Lb1EPKS5_PS5_PKlPlN2at6native12_GLOBAL__N_18offset_tEEE10hipError_tPvRmT1_PNSt15iterator_traitsISL_E10value_typeET2_T3_PNSM_ISR_E10value_typeET4_jRbjT5_SX_jjP12ihipStream_tbEUlT_E_NS1_11comp_targetILNS1_3genE10ELNS1_11target_archE1201ELNS1_3gpuE5ELNS1_3repE0EEENS1_30default_config_static_selectorELNS0_4arch9wavefront6targetE0EEEvSL_
	.p2align	8
	.type	_ZN7rocprim17ROCPRIM_400000_NS6detail17trampoline_kernelINS0_14default_configENS1_36segmented_radix_sort_config_selectorI6__halflEEZNS1_25segmented_radix_sort_implIS3_Lb1EPKS5_PS5_PKlPlN2at6native12_GLOBAL__N_18offset_tEEE10hipError_tPvRmT1_PNSt15iterator_traitsISL_E10value_typeET2_T3_PNSM_ISR_E10value_typeET4_jRbjT5_SX_jjP12ihipStream_tbEUlT_E_NS1_11comp_targetILNS1_3genE10ELNS1_11target_archE1201ELNS1_3gpuE5ELNS1_3repE0EEENS1_30default_config_static_selectorELNS0_4arch9wavefront6targetE0EEEvSL_,@function
_ZN7rocprim17ROCPRIM_400000_NS6detail17trampoline_kernelINS0_14default_configENS1_36segmented_radix_sort_config_selectorI6__halflEEZNS1_25segmented_radix_sort_implIS3_Lb1EPKS5_PS5_PKlPlN2at6native12_GLOBAL__N_18offset_tEEE10hipError_tPvRmT1_PNSt15iterator_traitsISL_E10value_typeET2_T3_PNSM_ISR_E10value_typeET4_jRbjT5_SX_jjP12ihipStream_tbEUlT_E_NS1_11comp_targetILNS1_3genE10ELNS1_11target_archE1201ELNS1_3gpuE5ELNS1_3repE0EEENS1_30default_config_static_selectorELNS0_4arch9wavefront6targetE0EEEvSL_: ; @_ZN7rocprim17ROCPRIM_400000_NS6detail17trampoline_kernelINS0_14default_configENS1_36segmented_radix_sort_config_selectorI6__halflEEZNS1_25segmented_radix_sort_implIS3_Lb1EPKS5_PS5_PKlPlN2at6native12_GLOBAL__N_18offset_tEEE10hipError_tPvRmT1_PNSt15iterator_traitsISL_E10value_typeET2_T3_PNSM_ISR_E10value_typeET4_jRbjT5_SX_jjP12ihipStream_tbEUlT_E_NS1_11comp_targetILNS1_3genE10ELNS1_11target_archE1201ELNS1_3gpuE5ELNS1_3repE0EEENS1_30default_config_static_selectorELNS0_4arch9wavefront6targetE0EEEvSL_
; %bb.0:
	.section	.rodata,"a",@progbits
	.p2align	6, 0x0
	.amdhsa_kernel _ZN7rocprim17ROCPRIM_400000_NS6detail17trampoline_kernelINS0_14default_configENS1_36segmented_radix_sort_config_selectorI6__halflEEZNS1_25segmented_radix_sort_implIS3_Lb1EPKS5_PS5_PKlPlN2at6native12_GLOBAL__N_18offset_tEEE10hipError_tPvRmT1_PNSt15iterator_traitsISL_E10value_typeET2_T3_PNSM_ISR_E10value_typeET4_jRbjT5_SX_jjP12ihipStream_tbEUlT_E_NS1_11comp_targetILNS1_3genE10ELNS1_11target_archE1201ELNS1_3gpuE5ELNS1_3repE0EEENS1_30default_config_static_selectorELNS0_4arch9wavefront6targetE0EEEvSL_
		.amdhsa_group_segment_fixed_size 0
		.amdhsa_private_segment_fixed_size 0
		.amdhsa_kernarg_size 96
		.amdhsa_user_sgpr_count 6
		.amdhsa_user_sgpr_private_segment_buffer 1
		.amdhsa_user_sgpr_dispatch_ptr 0
		.amdhsa_user_sgpr_queue_ptr 0
		.amdhsa_user_sgpr_kernarg_segment_ptr 1
		.amdhsa_user_sgpr_dispatch_id 0
		.amdhsa_user_sgpr_flat_scratch_init 0
		.amdhsa_user_sgpr_private_segment_size 0
		.amdhsa_wavefront_size32 1
		.amdhsa_uses_dynamic_stack 0
		.amdhsa_system_sgpr_private_segment_wavefront_offset 0
		.amdhsa_system_sgpr_workgroup_id_x 1
		.amdhsa_system_sgpr_workgroup_id_y 0
		.amdhsa_system_sgpr_workgroup_id_z 0
		.amdhsa_system_sgpr_workgroup_info 0
		.amdhsa_system_vgpr_workitem_id 0
		.amdhsa_next_free_vgpr 1
		.amdhsa_next_free_sgpr 1
		.amdhsa_reserve_vcc 0
		.amdhsa_reserve_flat_scratch 0
		.amdhsa_float_round_mode_32 0
		.amdhsa_float_round_mode_16_64 0
		.amdhsa_float_denorm_mode_32 3
		.amdhsa_float_denorm_mode_16_64 3
		.amdhsa_dx10_clamp 1
		.amdhsa_ieee_mode 1
		.amdhsa_fp16_overflow 0
		.amdhsa_workgroup_processor_mode 1
		.amdhsa_memory_ordered 1
		.amdhsa_forward_progress 1
		.amdhsa_shared_vgpr_count 0
		.amdhsa_exception_fp_ieee_invalid_op 0
		.amdhsa_exception_fp_denorm_src 0
		.amdhsa_exception_fp_ieee_div_zero 0
		.amdhsa_exception_fp_ieee_overflow 0
		.amdhsa_exception_fp_ieee_underflow 0
		.amdhsa_exception_fp_ieee_inexact 0
		.amdhsa_exception_int_div_zero 0
	.end_amdhsa_kernel
	.section	.text._ZN7rocprim17ROCPRIM_400000_NS6detail17trampoline_kernelINS0_14default_configENS1_36segmented_radix_sort_config_selectorI6__halflEEZNS1_25segmented_radix_sort_implIS3_Lb1EPKS5_PS5_PKlPlN2at6native12_GLOBAL__N_18offset_tEEE10hipError_tPvRmT1_PNSt15iterator_traitsISL_E10value_typeET2_T3_PNSM_ISR_E10value_typeET4_jRbjT5_SX_jjP12ihipStream_tbEUlT_E_NS1_11comp_targetILNS1_3genE10ELNS1_11target_archE1201ELNS1_3gpuE5ELNS1_3repE0EEENS1_30default_config_static_selectorELNS0_4arch9wavefront6targetE0EEEvSL_,"axG",@progbits,_ZN7rocprim17ROCPRIM_400000_NS6detail17trampoline_kernelINS0_14default_configENS1_36segmented_radix_sort_config_selectorI6__halflEEZNS1_25segmented_radix_sort_implIS3_Lb1EPKS5_PS5_PKlPlN2at6native12_GLOBAL__N_18offset_tEEE10hipError_tPvRmT1_PNSt15iterator_traitsISL_E10value_typeET2_T3_PNSM_ISR_E10value_typeET4_jRbjT5_SX_jjP12ihipStream_tbEUlT_E_NS1_11comp_targetILNS1_3genE10ELNS1_11target_archE1201ELNS1_3gpuE5ELNS1_3repE0EEENS1_30default_config_static_selectorELNS0_4arch9wavefront6targetE0EEEvSL_,comdat
.Lfunc_end1734:
	.size	_ZN7rocprim17ROCPRIM_400000_NS6detail17trampoline_kernelINS0_14default_configENS1_36segmented_radix_sort_config_selectorI6__halflEEZNS1_25segmented_radix_sort_implIS3_Lb1EPKS5_PS5_PKlPlN2at6native12_GLOBAL__N_18offset_tEEE10hipError_tPvRmT1_PNSt15iterator_traitsISL_E10value_typeET2_T3_PNSM_ISR_E10value_typeET4_jRbjT5_SX_jjP12ihipStream_tbEUlT_E_NS1_11comp_targetILNS1_3genE10ELNS1_11target_archE1201ELNS1_3gpuE5ELNS1_3repE0EEENS1_30default_config_static_selectorELNS0_4arch9wavefront6targetE0EEEvSL_, .Lfunc_end1734-_ZN7rocprim17ROCPRIM_400000_NS6detail17trampoline_kernelINS0_14default_configENS1_36segmented_radix_sort_config_selectorI6__halflEEZNS1_25segmented_radix_sort_implIS3_Lb1EPKS5_PS5_PKlPlN2at6native12_GLOBAL__N_18offset_tEEE10hipError_tPvRmT1_PNSt15iterator_traitsISL_E10value_typeET2_T3_PNSM_ISR_E10value_typeET4_jRbjT5_SX_jjP12ihipStream_tbEUlT_E_NS1_11comp_targetILNS1_3genE10ELNS1_11target_archE1201ELNS1_3gpuE5ELNS1_3repE0EEENS1_30default_config_static_selectorELNS0_4arch9wavefront6targetE0EEEvSL_
                                        ; -- End function
	.set _ZN7rocprim17ROCPRIM_400000_NS6detail17trampoline_kernelINS0_14default_configENS1_36segmented_radix_sort_config_selectorI6__halflEEZNS1_25segmented_radix_sort_implIS3_Lb1EPKS5_PS5_PKlPlN2at6native12_GLOBAL__N_18offset_tEEE10hipError_tPvRmT1_PNSt15iterator_traitsISL_E10value_typeET2_T3_PNSM_ISR_E10value_typeET4_jRbjT5_SX_jjP12ihipStream_tbEUlT_E_NS1_11comp_targetILNS1_3genE10ELNS1_11target_archE1201ELNS1_3gpuE5ELNS1_3repE0EEENS1_30default_config_static_selectorELNS0_4arch9wavefront6targetE0EEEvSL_.num_vgpr, 0
	.set _ZN7rocprim17ROCPRIM_400000_NS6detail17trampoline_kernelINS0_14default_configENS1_36segmented_radix_sort_config_selectorI6__halflEEZNS1_25segmented_radix_sort_implIS3_Lb1EPKS5_PS5_PKlPlN2at6native12_GLOBAL__N_18offset_tEEE10hipError_tPvRmT1_PNSt15iterator_traitsISL_E10value_typeET2_T3_PNSM_ISR_E10value_typeET4_jRbjT5_SX_jjP12ihipStream_tbEUlT_E_NS1_11comp_targetILNS1_3genE10ELNS1_11target_archE1201ELNS1_3gpuE5ELNS1_3repE0EEENS1_30default_config_static_selectorELNS0_4arch9wavefront6targetE0EEEvSL_.num_agpr, 0
	.set _ZN7rocprim17ROCPRIM_400000_NS6detail17trampoline_kernelINS0_14default_configENS1_36segmented_radix_sort_config_selectorI6__halflEEZNS1_25segmented_radix_sort_implIS3_Lb1EPKS5_PS5_PKlPlN2at6native12_GLOBAL__N_18offset_tEEE10hipError_tPvRmT1_PNSt15iterator_traitsISL_E10value_typeET2_T3_PNSM_ISR_E10value_typeET4_jRbjT5_SX_jjP12ihipStream_tbEUlT_E_NS1_11comp_targetILNS1_3genE10ELNS1_11target_archE1201ELNS1_3gpuE5ELNS1_3repE0EEENS1_30default_config_static_selectorELNS0_4arch9wavefront6targetE0EEEvSL_.numbered_sgpr, 0
	.set _ZN7rocprim17ROCPRIM_400000_NS6detail17trampoline_kernelINS0_14default_configENS1_36segmented_radix_sort_config_selectorI6__halflEEZNS1_25segmented_radix_sort_implIS3_Lb1EPKS5_PS5_PKlPlN2at6native12_GLOBAL__N_18offset_tEEE10hipError_tPvRmT1_PNSt15iterator_traitsISL_E10value_typeET2_T3_PNSM_ISR_E10value_typeET4_jRbjT5_SX_jjP12ihipStream_tbEUlT_E_NS1_11comp_targetILNS1_3genE10ELNS1_11target_archE1201ELNS1_3gpuE5ELNS1_3repE0EEENS1_30default_config_static_selectorELNS0_4arch9wavefront6targetE0EEEvSL_.num_named_barrier, 0
	.set _ZN7rocprim17ROCPRIM_400000_NS6detail17trampoline_kernelINS0_14default_configENS1_36segmented_radix_sort_config_selectorI6__halflEEZNS1_25segmented_radix_sort_implIS3_Lb1EPKS5_PS5_PKlPlN2at6native12_GLOBAL__N_18offset_tEEE10hipError_tPvRmT1_PNSt15iterator_traitsISL_E10value_typeET2_T3_PNSM_ISR_E10value_typeET4_jRbjT5_SX_jjP12ihipStream_tbEUlT_E_NS1_11comp_targetILNS1_3genE10ELNS1_11target_archE1201ELNS1_3gpuE5ELNS1_3repE0EEENS1_30default_config_static_selectorELNS0_4arch9wavefront6targetE0EEEvSL_.private_seg_size, 0
	.set _ZN7rocprim17ROCPRIM_400000_NS6detail17trampoline_kernelINS0_14default_configENS1_36segmented_radix_sort_config_selectorI6__halflEEZNS1_25segmented_radix_sort_implIS3_Lb1EPKS5_PS5_PKlPlN2at6native12_GLOBAL__N_18offset_tEEE10hipError_tPvRmT1_PNSt15iterator_traitsISL_E10value_typeET2_T3_PNSM_ISR_E10value_typeET4_jRbjT5_SX_jjP12ihipStream_tbEUlT_E_NS1_11comp_targetILNS1_3genE10ELNS1_11target_archE1201ELNS1_3gpuE5ELNS1_3repE0EEENS1_30default_config_static_selectorELNS0_4arch9wavefront6targetE0EEEvSL_.uses_vcc, 0
	.set _ZN7rocprim17ROCPRIM_400000_NS6detail17trampoline_kernelINS0_14default_configENS1_36segmented_radix_sort_config_selectorI6__halflEEZNS1_25segmented_radix_sort_implIS3_Lb1EPKS5_PS5_PKlPlN2at6native12_GLOBAL__N_18offset_tEEE10hipError_tPvRmT1_PNSt15iterator_traitsISL_E10value_typeET2_T3_PNSM_ISR_E10value_typeET4_jRbjT5_SX_jjP12ihipStream_tbEUlT_E_NS1_11comp_targetILNS1_3genE10ELNS1_11target_archE1201ELNS1_3gpuE5ELNS1_3repE0EEENS1_30default_config_static_selectorELNS0_4arch9wavefront6targetE0EEEvSL_.uses_flat_scratch, 0
	.set _ZN7rocprim17ROCPRIM_400000_NS6detail17trampoline_kernelINS0_14default_configENS1_36segmented_radix_sort_config_selectorI6__halflEEZNS1_25segmented_radix_sort_implIS3_Lb1EPKS5_PS5_PKlPlN2at6native12_GLOBAL__N_18offset_tEEE10hipError_tPvRmT1_PNSt15iterator_traitsISL_E10value_typeET2_T3_PNSM_ISR_E10value_typeET4_jRbjT5_SX_jjP12ihipStream_tbEUlT_E_NS1_11comp_targetILNS1_3genE10ELNS1_11target_archE1201ELNS1_3gpuE5ELNS1_3repE0EEENS1_30default_config_static_selectorELNS0_4arch9wavefront6targetE0EEEvSL_.has_dyn_sized_stack, 0
	.set _ZN7rocprim17ROCPRIM_400000_NS6detail17trampoline_kernelINS0_14default_configENS1_36segmented_radix_sort_config_selectorI6__halflEEZNS1_25segmented_radix_sort_implIS3_Lb1EPKS5_PS5_PKlPlN2at6native12_GLOBAL__N_18offset_tEEE10hipError_tPvRmT1_PNSt15iterator_traitsISL_E10value_typeET2_T3_PNSM_ISR_E10value_typeET4_jRbjT5_SX_jjP12ihipStream_tbEUlT_E_NS1_11comp_targetILNS1_3genE10ELNS1_11target_archE1201ELNS1_3gpuE5ELNS1_3repE0EEENS1_30default_config_static_selectorELNS0_4arch9wavefront6targetE0EEEvSL_.has_recursion, 0
	.set _ZN7rocprim17ROCPRIM_400000_NS6detail17trampoline_kernelINS0_14default_configENS1_36segmented_radix_sort_config_selectorI6__halflEEZNS1_25segmented_radix_sort_implIS3_Lb1EPKS5_PS5_PKlPlN2at6native12_GLOBAL__N_18offset_tEEE10hipError_tPvRmT1_PNSt15iterator_traitsISL_E10value_typeET2_T3_PNSM_ISR_E10value_typeET4_jRbjT5_SX_jjP12ihipStream_tbEUlT_E_NS1_11comp_targetILNS1_3genE10ELNS1_11target_archE1201ELNS1_3gpuE5ELNS1_3repE0EEENS1_30default_config_static_selectorELNS0_4arch9wavefront6targetE0EEEvSL_.has_indirect_call, 0
	.section	.AMDGPU.csdata,"",@progbits
; Kernel info:
; codeLenInByte = 0
; TotalNumSgprs: 0
; NumVgprs: 0
; ScratchSize: 0
; MemoryBound: 0
; FloatMode: 240
; IeeeMode: 1
; LDSByteSize: 0 bytes/workgroup (compile time only)
; SGPRBlocks: 0
; VGPRBlocks: 0
; NumSGPRsForWavesPerEU: 1
; NumVGPRsForWavesPerEU: 1
; Occupancy: 16
; WaveLimiterHint : 0
; COMPUTE_PGM_RSRC2:SCRATCH_EN: 0
; COMPUTE_PGM_RSRC2:USER_SGPR: 6
; COMPUTE_PGM_RSRC2:TRAP_HANDLER: 0
; COMPUTE_PGM_RSRC2:TGID_X_EN: 1
; COMPUTE_PGM_RSRC2:TGID_Y_EN: 0
; COMPUTE_PGM_RSRC2:TGID_Z_EN: 0
; COMPUTE_PGM_RSRC2:TIDIG_COMP_CNT: 0
	.section	.text._ZN7rocprim17ROCPRIM_400000_NS6detail17trampoline_kernelINS0_14default_configENS1_36segmented_radix_sort_config_selectorI6__halflEEZNS1_25segmented_radix_sort_implIS3_Lb1EPKS5_PS5_PKlPlN2at6native12_GLOBAL__N_18offset_tEEE10hipError_tPvRmT1_PNSt15iterator_traitsISL_E10value_typeET2_T3_PNSM_ISR_E10value_typeET4_jRbjT5_SX_jjP12ihipStream_tbEUlT_E_NS1_11comp_targetILNS1_3genE10ELNS1_11target_archE1200ELNS1_3gpuE4ELNS1_3repE0EEENS1_30default_config_static_selectorELNS0_4arch9wavefront6targetE0EEEvSL_,"axG",@progbits,_ZN7rocprim17ROCPRIM_400000_NS6detail17trampoline_kernelINS0_14default_configENS1_36segmented_radix_sort_config_selectorI6__halflEEZNS1_25segmented_radix_sort_implIS3_Lb1EPKS5_PS5_PKlPlN2at6native12_GLOBAL__N_18offset_tEEE10hipError_tPvRmT1_PNSt15iterator_traitsISL_E10value_typeET2_T3_PNSM_ISR_E10value_typeET4_jRbjT5_SX_jjP12ihipStream_tbEUlT_E_NS1_11comp_targetILNS1_3genE10ELNS1_11target_archE1200ELNS1_3gpuE4ELNS1_3repE0EEENS1_30default_config_static_selectorELNS0_4arch9wavefront6targetE0EEEvSL_,comdat
	.globl	_ZN7rocprim17ROCPRIM_400000_NS6detail17trampoline_kernelINS0_14default_configENS1_36segmented_radix_sort_config_selectorI6__halflEEZNS1_25segmented_radix_sort_implIS3_Lb1EPKS5_PS5_PKlPlN2at6native12_GLOBAL__N_18offset_tEEE10hipError_tPvRmT1_PNSt15iterator_traitsISL_E10value_typeET2_T3_PNSM_ISR_E10value_typeET4_jRbjT5_SX_jjP12ihipStream_tbEUlT_E_NS1_11comp_targetILNS1_3genE10ELNS1_11target_archE1200ELNS1_3gpuE4ELNS1_3repE0EEENS1_30default_config_static_selectorELNS0_4arch9wavefront6targetE0EEEvSL_ ; -- Begin function _ZN7rocprim17ROCPRIM_400000_NS6detail17trampoline_kernelINS0_14default_configENS1_36segmented_radix_sort_config_selectorI6__halflEEZNS1_25segmented_radix_sort_implIS3_Lb1EPKS5_PS5_PKlPlN2at6native12_GLOBAL__N_18offset_tEEE10hipError_tPvRmT1_PNSt15iterator_traitsISL_E10value_typeET2_T3_PNSM_ISR_E10value_typeET4_jRbjT5_SX_jjP12ihipStream_tbEUlT_E_NS1_11comp_targetILNS1_3genE10ELNS1_11target_archE1200ELNS1_3gpuE4ELNS1_3repE0EEENS1_30default_config_static_selectorELNS0_4arch9wavefront6targetE0EEEvSL_
	.p2align	8
	.type	_ZN7rocprim17ROCPRIM_400000_NS6detail17trampoline_kernelINS0_14default_configENS1_36segmented_radix_sort_config_selectorI6__halflEEZNS1_25segmented_radix_sort_implIS3_Lb1EPKS5_PS5_PKlPlN2at6native12_GLOBAL__N_18offset_tEEE10hipError_tPvRmT1_PNSt15iterator_traitsISL_E10value_typeET2_T3_PNSM_ISR_E10value_typeET4_jRbjT5_SX_jjP12ihipStream_tbEUlT_E_NS1_11comp_targetILNS1_3genE10ELNS1_11target_archE1200ELNS1_3gpuE4ELNS1_3repE0EEENS1_30default_config_static_selectorELNS0_4arch9wavefront6targetE0EEEvSL_,@function
_ZN7rocprim17ROCPRIM_400000_NS6detail17trampoline_kernelINS0_14default_configENS1_36segmented_radix_sort_config_selectorI6__halflEEZNS1_25segmented_radix_sort_implIS3_Lb1EPKS5_PS5_PKlPlN2at6native12_GLOBAL__N_18offset_tEEE10hipError_tPvRmT1_PNSt15iterator_traitsISL_E10value_typeET2_T3_PNSM_ISR_E10value_typeET4_jRbjT5_SX_jjP12ihipStream_tbEUlT_E_NS1_11comp_targetILNS1_3genE10ELNS1_11target_archE1200ELNS1_3gpuE4ELNS1_3repE0EEENS1_30default_config_static_selectorELNS0_4arch9wavefront6targetE0EEEvSL_: ; @_ZN7rocprim17ROCPRIM_400000_NS6detail17trampoline_kernelINS0_14default_configENS1_36segmented_radix_sort_config_selectorI6__halflEEZNS1_25segmented_radix_sort_implIS3_Lb1EPKS5_PS5_PKlPlN2at6native12_GLOBAL__N_18offset_tEEE10hipError_tPvRmT1_PNSt15iterator_traitsISL_E10value_typeET2_T3_PNSM_ISR_E10value_typeET4_jRbjT5_SX_jjP12ihipStream_tbEUlT_E_NS1_11comp_targetILNS1_3genE10ELNS1_11target_archE1200ELNS1_3gpuE4ELNS1_3repE0EEENS1_30default_config_static_selectorELNS0_4arch9wavefront6targetE0EEEvSL_
; %bb.0:
	.section	.rodata,"a",@progbits
	.p2align	6, 0x0
	.amdhsa_kernel _ZN7rocprim17ROCPRIM_400000_NS6detail17trampoline_kernelINS0_14default_configENS1_36segmented_radix_sort_config_selectorI6__halflEEZNS1_25segmented_radix_sort_implIS3_Lb1EPKS5_PS5_PKlPlN2at6native12_GLOBAL__N_18offset_tEEE10hipError_tPvRmT1_PNSt15iterator_traitsISL_E10value_typeET2_T3_PNSM_ISR_E10value_typeET4_jRbjT5_SX_jjP12ihipStream_tbEUlT_E_NS1_11comp_targetILNS1_3genE10ELNS1_11target_archE1200ELNS1_3gpuE4ELNS1_3repE0EEENS1_30default_config_static_selectorELNS0_4arch9wavefront6targetE0EEEvSL_
		.amdhsa_group_segment_fixed_size 0
		.amdhsa_private_segment_fixed_size 0
		.amdhsa_kernarg_size 96
		.amdhsa_user_sgpr_count 6
		.amdhsa_user_sgpr_private_segment_buffer 1
		.amdhsa_user_sgpr_dispatch_ptr 0
		.amdhsa_user_sgpr_queue_ptr 0
		.amdhsa_user_sgpr_kernarg_segment_ptr 1
		.amdhsa_user_sgpr_dispatch_id 0
		.amdhsa_user_sgpr_flat_scratch_init 0
		.amdhsa_user_sgpr_private_segment_size 0
		.amdhsa_wavefront_size32 1
		.amdhsa_uses_dynamic_stack 0
		.amdhsa_system_sgpr_private_segment_wavefront_offset 0
		.amdhsa_system_sgpr_workgroup_id_x 1
		.amdhsa_system_sgpr_workgroup_id_y 0
		.amdhsa_system_sgpr_workgroup_id_z 0
		.amdhsa_system_sgpr_workgroup_info 0
		.amdhsa_system_vgpr_workitem_id 0
		.amdhsa_next_free_vgpr 1
		.amdhsa_next_free_sgpr 1
		.amdhsa_reserve_vcc 0
		.amdhsa_reserve_flat_scratch 0
		.amdhsa_float_round_mode_32 0
		.amdhsa_float_round_mode_16_64 0
		.amdhsa_float_denorm_mode_32 3
		.amdhsa_float_denorm_mode_16_64 3
		.amdhsa_dx10_clamp 1
		.amdhsa_ieee_mode 1
		.amdhsa_fp16_overflow 0
		.amdhsa_workgroup_processor_mode 1
		.amdhsa_memory_ordered 1
		.amdhsa_forward_progress 1
		.amdhsa_shared_vgpr_count 0
		.amdhsa_exception_fp_ieee_invalid_op 0
		.amdhsa_exception_fp_denorm_src 0
		.amdhsa_exception_fp_ieee_div_zero 0
		.amdhsa_exception_fp_ieee_overflow 0
		.amdhsa_exception_fp_ieee_underflow 0
		.amdhsa_exception_fp_ieee_inexact 0
		.amdhsa_exception_int_div_zero 0
	.end_amdhsa_kernel
	.section	.text._ZN7rocprim17ROCPRIM_400000_NS6detail17trampoline_kernelINS0_14default_configENS1_36segmented_radix_sort_config_selectorI6__halflEEZNS1_25segmented_radix_sort_implIS3_Lb1EPKS5_PS5_PKlPlN2at6native12_GLOBAL__N_18offset_tEEE10hipError_tPvRmT1_PNSt15iterator_traitsISL_E10value_typeET2_T3_PNSM_ISR_E10value_typeET4_jRbjT5_SX_jjP12ihipStream_tbEUlT_E_NS1_11comp_targetILNS1_3genE10ELNS1_11target_archE1200ELNS1_3gpuE4ELNS1_3repE0EEENS1_30default_config_static_selectorELNS0_4arch9wavefront6targetE0EEEvSL_,"axG",@progbits,_ZN7rocprim17ROCPRIM_400000_NS6detail17trampoline_kernelINS0_14default_configENS1_36segmented_radix_sort_config_selectorI6__halflEEZNS1_25segmented_radix_sort_implIS3_Lb1EPKS5_PS5_PKlPlN2at6native12_GLOBAL__N_18offset_tEEE10hipError_tPvRmT1_PNSt15iterator_traitsISL_E10value_typeET2_T3_PNSM_ISR_E10value_typeET4_jRbjT5_SX_jjP12ihipStream_tbEUlT_E_NS1_11comp_targetILNS1_3genE10ELNS1_11target_archE1200ELNS1_3gpuE4ELNS1_3repE0EEENS1_30default_config_static_selectorELNS0_4arch9wavefront6targetE0EEEvSL_,comdat
.Lfunc_end1735:
	.size	_ZN7rocprim17ROCPRIM_400000_NS6detail17trampoline_kernelINS0_14default_configENS1_36segmented_radix_sort_config_selectorI6__halflEEZNS1_25segmented_radix_sort_implIS3_Lb1EPKS5_PS5_PKlPlN2at6native12_GLOBAL__N_18offset_tEEE10hipError_tPvRmT1_PNSt15iterator_traitsISL_E10value_typeET2_T3_PNSM_ISR_E10value_typeET4_jRbjT5_SX_jjP12ihipStream_tbEUlT_E_NS1_11comp_targetILNS1_3genE10ELNS1_11target_archE1200ELNS1_3gpuE4ELNS1_3repE0EEENS1_30default_config_static_selectorELNS0_4arch9wavefront6targetE0EEEvSL_, .Lfunc_end1735-_ZN7rocprim17ROCPRIM_400000_NS6detail17trampoline_kernelINS0_14default_configENS1_36segmented_radix_sort_config_selectorI6__halflEEZNS1_25segmented_radix_sort_implIS3_Lb1EPKS5_PS5_PKlPlN2at6native12_GLOBAL__N_18offset_tEEE10hipError_tPvRmT1_PNSt15iterator_traitsISL_E10value_typeET2_T3_PNSM_ISR_E10value_typeET4_jRbjT5_SX_jjP12ihipStream_tbEUlT_E_NS1_11comp_targetILNS1_3genE10ELNS1_11target_archE1200ELNS1_3gpuE4ELNS1_3repE0EEENS1_30default_config_static_selectorELNS0_4arch9wavefront6targetE0EEEvSL_
                                        ; -- End function
	.set _ZN7rocprim17ROCPRIM_400000_NS6detail17trampoline_kernelINS0_14default_configENS1_36segmented_radix_sort_config_selectorI6__halflEEZNS1_25segmented_radix_sort_implIS3_Lb1EPKS5_PS5_PKlPlN2at6native12_GLOBAL__N_18offset_tEEE10hipError_tPvRmT1_PNSt15iterator_traitsISL_E10value_typeET2_T3_PNSM_ISR_E10value_typeET4_jRbjT5_SX_jjP12ihipStream_tbEUlT_E_NS1_11comp_targetILNS1_3genE10ELNS1_11target_archE1200ELNS1_3gpuE4ELNS1_3repE0EEENS1_30default_config_static_selectorELNS0_4arch9wavefront6targetE0EEEvSL_.num_vgpr, 0
	.set _ZN7rocprim17ROCPRIM_400000_NS6detail17trampoline_kernelINS0_14default_configENS1_36segmented_radix_sort_config_selectorI6__halflEEZNS1_25segmented_radix_sort_implIS3_Lb1EPKS5_PS5_PKlPlN2at6native12_GLOBAL__N_18offset_tEEE10hipError_tPvRmT1_PNSt15iterator_traitsISL_E10value_typeET2_T3_PNSM_ISR_E10value_typeET4_jRbjT5_SX_jjP12ihipStream_tbEUlT_E_NS1_11comp_targetILNS1_3genE10ELNS1_11target_archE1200ELNS1_3gpuE4ELNS1_3repE0EEENS1_30default_config_static_selectorELNS0_4arch9wavefront6targetE0EEEvSL_.num_agpr, 0
	.set _ZN7rocprim17ROCPRIM_400000_NS6detail17trampoline_kernelINS0_14default_configENS1_36segmented_radix_sort_config_selectorI6__halflEEZNS1_25segmented_radix_sort_implIS3_Lb1EPKS5_PS5_PKlPlN2at6native12_GLOBAL__N_18offset_tEEE10hipError_tPvRmT1_PNSt15iterator_traitsISL_E10value_typeET2_T3_PNSM_ISR_E10value_typeET4_jRbjT5_SX_jjP12ihipStream_tbEUlT_E_NS1_11comp_targetILNS1_3genE10ELNS1_11target_archE1200ELNS1_3gpuE4ELNS1_3repE0EEENS1_30default_config_static_selectorELNS0_4arch9wavefront6targetE0EEEvSL_.numbered_sgpr, 0
	.set _ZN7rocprim17ROCPRIM_400000_NS6detail17trampoline_kernelINS0_14default_configENS1_36segmented_radix_sort_config_selectorI6__halflEEZNS1_25segmented_radix_sort_implIS3_Lb1EPKS5_PS5_PKlPlN2at6native12_GLOBAL__N_18offset_tEEE10hipError_tPvRmT1_PNSt15iterator_traitsISL_E10value_typeET2_T3_PNSM_ISR_E10value_typeET4_jRbjT5_SX_jjP12ihipStream_tbEUlT_E_NS1_11comp_targetILNS1_3genE10ELNS1_11target_archE1200ELNS1_3gpuE4ELNS1_3repE0EEENS1_30default_config_static_selectorELNS0_4arch9wavefront6targetE0EEEvSL_.num_named_barrier, 0
	.set _ZN7rocprim17ROCPRIM_400000_NS6detail17trampoline_kernelINS0_14default_configENS1_36segmented_radix_sort_config_selectorI6__halflEEZNS1_25segmented_radix_sort_implIS3_Lb1EPKS5_PS5_PKlPlN2at6native12_GLOBAL__N_18offset_tEEE10hipError_tPvRmT1_PNSt15iterator_traitsISL_E10value_typeET2_T3_PNSM_ISR_E10value_typeET4_jRbjT5_SX_jjP12ihipStream_tbEUlT_E_NS1_11comp_targetILNS1_3genE10ELNS1_11target_archE1200ELNS1_3gpuE4ELNS1_3repE0EEENS1_30default_config_static_selectorELNS0_4arch9wavefront6targetE0EEEvSL_.private_seg_size, 0
	.set _ZN7rocprim17ROCPRIM_400000_NS6detail17trampoline_kernelINS0_14default_configENS1_36segmented_radix_sort_config_selectorI6__halflEEZNS1_25segmented_radix_sort_implIS3_Lb1EPKS5_PS5_PKlPlN2at6native12_GLOBAL__N_18offset_tEEE10hipError_tPvRmT1_PNSt15iterator_traitsISL_E10value_typeET2_T3_PNSM_ISR_E10value_typeET4_jRbjT5_SX_jjP12ihipStream_tbEUlT_E_NS1_11comp_targetILNS1_3genE10ELNS1_11target_archE1200ELNS1_3gpuE4ELNS1_3repE0EEENS1_30default_config_static_selectorELNS0_4arch9wavefront6targetE0EEEvSL_.uses_vcc, 0
	.set _ZN7rocprim17ROCPRIM_400000_NS6detail17trampoline_kernelINS0_14default_configENS1_36segmented_radix_sort_config_selectorI6__halflEEZNS1_25segmented_radix_sort_implIS3_Lb1EPKS5_PS5_PKlPlN2at6native12_GLOBAL__N_18offset_tEEE10hipError_tPvRmT1_PNSt15iterator_traitsISL_E10value_typeET2_T3_PNSM_ISR_E10value_typeET4_jRbjT5_SX_jjP12ihipStream_tbEUlT_E_NS1_11comp_targetILNS1_3genE10ELNS1_11target_archE1200ELNS1_3gpuE4ELNS1_3repE0EEENS1_30default_config_static_selectorELNS0_4arch9wavefront6targetE0EEEvSL_.uses_flat_scratch, 0
	.set _ZN7rocprim17ROCPRIM_400000_NS6detail17trampoline_kernelINS0_14default_configENS1_36segmented_radix_sort_config_selectorI6__halflEEZNS1_25segmented_radix_sort_implIS3_Lb1EPKS5_PS5_PKlPlN2at6native12_GLOBAL__N_18offset_tEEE10hipError_tPvRmT1_PNSt15iterator_traitsISL_E10value_typeET2_T3_PNSM_ISR_E10value_typeET4_jRbjT5_SX_jjP12ihipStream_tbEUlT_E_NS1_11comp_targetILNS1_3genE10ELNS1_11target_archE1200ELNS1_3gpuE4ELNS1_3repE0EEENS1_30default_config_static_selectorELNS0_4arch9wavefront6targetE0EEEvSL_.has_dyn_sized_stack, 0
	.set _ZN7rocprim17ROCPRIM_400000_NS6detail17trampoline_kernelINS0_14default_configENS1_36segmented_radix_sort_config_selectorI6__halflEEZNS1_25segmented_radix_sort_implIS3_Lb1EPKS5_PS5_PKlPlN2at6native12_GLOBAL__N_18offset_tEEE10hipError_tPvRmT1_PNSt15iterator_traitsISL_E10value_typeET2_T3_PNSM_ISR_E10value_typeET4_jRbjT5_SX_jjP12ihipStream_tbEUlT_E_NS1_11comp_targetILNS1_3genE10ELNS1_11target_archE1200ELNS1_3gpuE4ELNS1_3repE0EEENS1_30default_config_static_selectorELNS0_4arch9wavefront6targetE0EEEvSL_.has_recursion, 0
	.set _ZN7rocprim17ROCPRIM_400000_NS6detail17trampoline_kernelINS0_14default_configENS1_36segmented_radix_sort_config_selectorI6__halflEEZNS1_25segmented_radix_sort_implIS3_Lb1EPKS5_PS5_PKlPlN2at6native12_GLOBAL__N_18offset_tEEE10hipError_tPvRmT1_PNSt15iterator_traitsISL_E10value_typeET2_T3_PNSM_ISR_E10value_typeET4_jRbjT5_SX_jjP12ihipStream_tbEUlT_E_NS1_11comp_targetILNS1_3genE10ELNS1_11target_archE1200ELNS1_3gpuE4ELNS1_3repE0EEENS1_30default_config_static_selectorELNS0_4arch9wavefront6targetE0EEEvSL_.has_indirect_call, 0
	.section	.AMDGPU.csdata,"",@progbits
; Kernel info:
; codeLenInByte = 0
; TotalNumSgprs: 0
; NumVgprs: 0
; ScratchSize: 0
; MemoryBound: 0
; FloatMode: 240
; IeeeMode: 1
; LDSByteSize: 0 bytes/workgroup (compile time only)
; SGPRBlocks: 0
; VGPRBlocks: 0
; NumSGPRsForWavesPerEU: 1
; NumVGPRsForWavesPerEU: 1
; Occupancy: 16
; WaveLimiterHint : 0
; COMPUTE_PGM_RSRC2:SCRATCH_EN: 0
; COMPUTE_PGM_RSRC2:USER_SGPR: 6
; COMPUTE_PGM_RSRC2:TRAP_HANDLER: 0
; COMPUTE_PGM_RSRC2:TGID_X_EN: 1
; COMPUTE_PGM_RSRC2:TGID_Y_EN: 0
; COMPUTE_PGM_RSRC2:TGID_Z_EN: 0
; COMPUTE_PGM_RSRC2:TIDIG_COMP_CNT: 0
	.section	.text._ZN7rocprim17ROCPRIM_400000_NS6detail17trampoline_kernelINS0_14default_configENS1_36segmented_radix_sort_config_selectorI6__halflEEZNS1_25segmented_radix_sort_implIS3_Lb1EPKS5_PS5_PKlPlN2at6native12_GLOBAL__N_18offset_tEEE10hipError_tPvRmT1_PNSt15iterator_traitsISL_E10value_typeET2_T3_PNSM_ISR_E10value_typeET4_jRbjT5_SX_jjP12ihipStream_tbEUlT_E_NS1_11comp_targetILNS1_3genE9ELNS1_11target_archE1100ELNS1_3gpuE3ELNS1_3repE0EEENS1_30default_config_static_selectorELNS0_4arch9wavefront6targetE0EEEvSL_,"axG",@progbits,_ZN7rocprim17ROCPRIM_400000_NS6detail17trampoline_kernelINS0_14default_configENS1_36segmented_radix_sort_config_selectorI6__halflEEZNS1_25segmented_radix_sort_implIS3_Lb1EPKS5_PS5_PKlPlN2at6native12_GLOBAL__N_18offset_tEEE10hipError_tPvRmT1_PNSt15iterator_traitsISL_E10value_typeET2_T3_PNSM_ISR_E10value_typeET4_jRbjT5_SX_jjP12ihipStream_tbEUlT_E_NS1_11comp_targetILNS1_3genE9ELNS1_11target_archE1100ELNS1_3gpuE3ELNS1_3repE0EEENS1_30default_config_static_selectorELNS0_4arch9wavefront6targetE0EEEvSL_,comdat
	.globl	_ZN7rocprim17ROCPRIM_400000_NS6detail17trampoline_kernelINS0_14default_configENS1_36segmented_radix_sort_config_selectorI6__halflEEZNS1_25segmented_radix_sort_implIS3_Lb1EPKS5_PS5_PKlPlN2at6native12_GLOBAL__N_18offset_tEEE10hipError_tPvRmT1_PNSt15iterator_traitsISL_E10value_typeET2_T3_PNSM_ISR_E10value_typeET4_jRbjT5_SX_jjP12ihipStream_tbEUlT_E_NS1_11comp_targetILNS1_3genE9ELNS1_11target_archE1100ELNS1_3gpuE3ELNS1_3repE0EEENS1_30default_config_static_selectorELNS0_4arch9wavefront6targetE0EEEvSL_ ; -- Begin function _ZN7rocprim17ROCPRIM_400000_NS6detail17trampoline_kernelINS0_14default_configENS1_36segmented_radix_sort_config_selectorI6__halflEEZNS1_25segmented_radix_sort_implIS3_Lb1EPKS5_PS5_PKlPlN2at6native12_GLOBAL__N_18offset_tEEE10hipError_tPvRmT1_PNSt15iterator_traitsISL_E10value_typeET2_T3_PNSM_ISR_E10value_typeET4_jRbjT5_SX_jjP12ihipStream_tbEUlT_E_NS1_11comp_targetILNS1_3genE9ELNS1_11target_archE1100ELNS1_3gpuE3ELNS1_3repE0EEENS1_30default_config_static_selectorELNS0_4arch9wavefront6targetE0EEEvSL_
	.p2align	8
	.type	_ZN7rocprim17ROCPRIM_400000_NS6detail17trampoline_kernelINS0_14default_configENS1_36segmented_radix_sort_config_selectorI6__halflEEZNS1_25segmented_radix_sort_implIS3_Lb1EPKS5_PS5_PKlPlN2at6native12_GLOBAL__N_18offset_tEEE10hipError_tPvRmT1_PNSt15iterator_traitsISL_E10value_typeET2_T3_PNSM_ISR_E10value_typeET4_jRbjT5_SX_jjP12ihipStream_tbEUlT_E_NS1_11comp_targetILNS1_3genE9ELNS1_11target_archE1100ELNS1_3gpuE3ELNS1_3repE0EEENS1_30default_config_static_selectorELNS0_4arch9wavefront6targetE0EEEvSL_,@function
_ZN7rocprim17ROCPRIM_400000_NS6detail17trampoline_kernelINS0_14default_configENS1_36segmented_radix_sort_config_selectorI6__halflEEZNS1_25segmented_radix_sort_implIS3_Lb1EPKS5_PS5_PKlPlN2at6native12_GLOBAL__N_18offset_tEEE10hipError_tPvRmT1_PNSt15iterator_traitsISL_E10value_typeET2_T3_PNSM_ISR_E10value_typeET4_jRbjT5_SX_jjP12ihipStream_tbEUlT_E_NS1_11comp_targetILNS1_3genE9ELNS1_11target_archE1100ELNS1_3gpuE3ELNS1_3repE0EEENS1_30default_config_static_selectorELNS0_4arch9wavefront6targetE0EEEvSL_: ; @_ZN7rocprim17ROCPRIM_400000_NS6detail17trampoline_kernelINS0_14default_configENS1_36segmented_radix_sort_config_selectorI6__halflEEZNS1_25segmented_radix_sort_implIS3_Lb1EPKS5_PS5_PKlPlN2at6native12_GLOBAL__N_18offset_tEEE10hipError_tPvRmT1_PNSt15iterator_traitsISL_E10value_typeET2_T3_PNSM_ISR_E10value_typeET4_jRbjT5_SX_jjP12ihipStream_tbEUlT_E_NS1_11comp_targetILNS1_3genE9ELNS1_11target_archE1100ELNS1_3gpuE3ELNS1_3repE0EEENS1_30default_config_static_selectorELNS0_4arch9wavefront6targetE0EEEvSL_
; %bb.0:
	.section	.rodata,"a",@progbits
	.p2align	6, 0x0
	.amdhsa_kernel _ZN7rocprim17ROCPRIM_400000_NS6detail17trampoline_kernelINS0_14default_configENS1_36segmented_radix_sort_config_selectorI6__halflEEZNS1_25segmented_radix_sort_implIS3_Lb1EPKS5_PS5_PKlPlN2at6native12_GLOBAL__N_18offset_tEEE10hipError_tPvRmT1_PNSt15iterator_traitsISL_E10value_typeET2_T3_PNSM_ISR_E10value_typeET4_jRbjT5_SX_jjP12ihipStream_tbEUlT_E_NS1_11comp_targetILNS1_3genE9ELNS1_11target_archE1100ELNS1_3gpuE3ELNS1_3repE0EEENS1_30default_config_static_selectorELNS0_4arch9wavefront6targetE0EEEvSL_
		.amdhsa_group_segment_fixed_size 0
		.amdhsa_private_segment_fixed_size 0
		.amdhsa_kernarg_size 96
		.amdhsa_user_sgpr_count 6
		.amdhsa_user_sgpr_private_segment_buffer 1
		.amdhsa_user_sgpr_dispatch_ptr 0
		.amdhsa_user_sgpr_queue_ptr 0
		.amdhsa_user_sgpr_kernarg_segment_ptr 1
		.amdhsa_user_sgpr_dispatch_id 0
		.amdhsa_user_sgpr_flat_scratch_init 0
		.amdhsa_user_sgpr_private_segment_size 0
		.amdhsa_wavefront_size32 1
		.amdhsa_uses_dynamic_stack 0
		.amdhsa_system_sgpr_private_segment_wavefront_offset 0
		.amdhsa_system_sgpr_workgroup_id_x 1
		.amdhsa_system_sgpr_workgroup_id_y 0
		.amdhsa_system_sgpr_workgroup_id_z 0
		.amdhsa_system_sgpr_workgroup_info 0
		.amdhsa_system_vgpr_workitem_id 0
		.amdhsa_next_free_vgpr 1
		.amdhsa_next_free_sgpr 1
		.amdhsa_reserve_vcc 0
		.amdhsa_reserve_flat_scratch 0
		.amdhsa_float_round_mode_32 0
		.amdhsa_float_round_mode_16_64 0
		.amdhsa_float_denorm_mode_32 3
		.amdhsa_float_denorm_mode_16_64 3
		.amdhsa_dx10_clamp 1
		.amdhsa_ieee_mode 1
		.amdhsa_fp16_overflow 0
		.amdhsa_workgroup_processor_mode 1
		.amdhsa_memory_ordered 1
		.amdhsa_forward_progress 1
		.amdhsa_shared_vgpr_count 0
		.amdhsa_exception_fp_ieee_invalid_op 0
		.amdhsa_exception_fp_denorm_src 0
		.amdhsa_exception_fp_ieee_div_zero 0
		.amdhsa_exception_fp_ieee_overflow 0
		.amdhsa_exception_fp_ieee_underflow 0
		.amdhsa_exception_fp_ieee_inexact 0
		.amdhsa_exception_int_div_zero 0
	.end_amdhsa_kernel
	.section	.text._ZN7rocprim17ROCPRIM_400000_NS6detail17trampoline_kernelINS0_14default_configENS1_36segmented_radix_sort_config_selectorI6__halflEEZNS1_25segmented_radix_sort_implIS3_Lb1EPKS5_PS5_PKlPlN2at6native12_GLOBAL__N_18offset_tEEE10hipError_tPvRmT1_PNSt15iterator_traitsISL_E10value_typeET2_T3_PNSM_ISR_E10value_typeET4_jRbjT5_SX_jjP12ihipStream_tbEUlT_E_NS1_11comp_targetILNS1_3genE9ELNS1_11target_archE1100ELNS1_3gpuE3ELNS1_3repE0EEENS1_30default_config_static_selectorELNS0_4arch9wavefront6targetE0EEEvSL_,"axG",@progbits,_ZN7rocprim17ROCPRIM_400000_NS6detail17trampoline_kernelINS0_14default_configENS1_36segmented_radix_sort_config_selectorI6__halflEEZNS1_25segmented_radix_sort_implIS3_Lb1EPKS5_PS5_PKlPlN2at6native12_GLOBAL__N_18offset_tEEE10hipError_tPvRmT1_PNSt15iterator_traitsISL_E10value_typeET2_T3_PNSM_ISR_E10value_typeET4_jRbjT5_SX_jjP12ihipStream_tbEUlT_E_NS1_11comp_targetILNS1_3genE9ELNS1_11target_archE1100ELNS1_3gpuE3ELNS1_3repE0EEENS1_30default_config_static_selectorELNS0_4arch9wavefront6targetE0EEEvSL_,comdat
.Lfunc_end1736:
	.size	_ZN7rocprim17ROCPRIM_400000_NS6detail17trampoline_kernelINS0_14default_configENS1_36segmented_radix_sort_config_selectorI6__halflEEZNS1_25segmented_radix_sort_implIS3_Lb1EPKS5_PS5_PKlPlN2at6native12_GLOBAL__N_18offset_tEEE10hipError_tPvRmT1_PNSt15iterator_traitsISL_E10value_typeET2_T3_PNSM_ISR_E10value_typeET4_jRbjT5_SX_jjP12ihipStream_tbEUlT_E_NS1_11comp_targetILNS1_3genE9ELNS1_11target_archE1100ELNS1_3gpuE3ELNS1_3repE0EEENS1_30default_config_static_selectorELNS0_4arch9wavefront6targetE0EEEvSL_, .Lfunc_end1736-_ZN7rocprim17ROCPRIM_400000_NS6detail17trampoline_kernelINS0_14default_configENS1_36segmented_radix_sort_config_selectorI6__halflEEZNS1_25segmented_radix_sort_implIS3_Lb1EPKS5_PS5_PKlPlN2at6native12_GLOBAL__N_18offset_tEEE10hipError_tPvRmT1_PNSt15iterator_traitsISL_E10value_typeET2_T3_PNSM_ISR_E10value_typeET4_jRbjT5_SX_jjP12ihipStream_tbEUlT_E_NS1_11comp_targetILNS1_3genE9ELNS1_11target_archE1100ELNS1_3gpuE3ELNS1_3repE0EEENS1_30default_config_static_selectorELNS0_4arch9wavefront6targetE0EEEvSL_
                                        ; -- End function
	.set _ZN7rocprim17ROCPRIM_400000_NS6detail17trampoline_kernelINS0_14default_configENS1_36segmented_radix_sort_config_selectorI6__halflEEZNS1_25segmented_radix_sort_implIS3_Lb1EPKS5_PS5_PKlPlN2at6native12_GLOBAL__N_18offset_tEEE10hipError_tPvRmT1_PNSt15iterator_traitsISL_E10value_typeET2_T3_PNSM_ISR_E10value_typeET4_jRbjT5_SX_jjP12ihipStream_tbEUlT_E_NS1_11comp_targetILNS1_3genE9ELNS1_11target_archE1100ELNS1_3gpuE3ELNS1_3repE0EEENS1_30default_config_static_selectorELNS0_4arch9wavefront6targetE0EEEvSL_.num_vgpr, 0
	.set _ZN7rocprim17ROCPRIM_400000_NS6detail17trampoline_kernelINS0_14default_configENS1_36segmented_radix_sort_config_selectorI6__halflEEZNS1_25segmented_radix_sort_implIS3_Lb1EPKS5_PS5_PKlPlN2at6native12_GLOBAL__N_18offset_tEEE10hipError_tPvRmT1_PNSt15iterator_traitsISL_E10value_typeET2_T3_PNSM_ISR_E10value_typeET4_jRbjT5_SX_jjP12ihipStream_tbEUlT_E_NS1_11comp_targetILNS1_3genE9ELNS1_11target_archE1100ELNS1_3gpuE3ELNS1_3repE0EEENS1_30default_config_static_selectorELNS0_4arch9wavefront6targetE0EEEvSL_.num_agpr, 0
	.set _ZN7rocprim17ROCPRIM_400000_NS6detail17trampoline_kernelINS0_14default_configENS1_36segmented_radix_sort_config_selectorI6__halflEEZNS1_25segmented_radix_sort_implIS3_Lb1EPKS5_PS5_PKlPlN2at6native12_GLOBAL__N_18offset_tEEE10hipError_tPvRmT1_PNSt15iterator_traitsISL_E10value_typeET2_T3_PNSM_ISR_E10value_typeET4_jRbjT5_SX_jjP12ihipStream_tbEUlT_E_NS1_11comp_targetILNS1_3genE9ELNS1_11target_archE1100ELNS1_3gpuE3ELNS1_3repE0EEENS1_30default_config_static_selectorELNS0_4arch9wavefront6targetE0EEEvSL_.numbered_sgpr, 0
	.set _ZN7rocprim17ROCPRIM_400000_NS6detail17trampoline_kernelINS0_14default_configENS1_36segmented_radix_sort_config_selectorI6__halflEEZNS1_25segmented_radix_sort_implIS3_Lb1EPKS5_PS5_PKlPlN2at6native12_GLOBAL__N_18offset_tEEE10hipError_tPvRmT1_PNSt15iterator_traitsISL_E10value_typeET2_T3_PNSM_ISR_E10value_typeET4_jRbjT5_SX_jjP12ihipStream_tbEUlT_E_NS1_11comp_targetILNS1_3genE9ELNS1_11target_archE1100ELNS1_3gpuE3ELNS1_3repE0EEENS1_30default_config_static_selectorELNS0_4arch9wavefront6targetE0EEEvSL_.num_named_barrier, 0
	.set _ZN7rocprim17ROCPRIM_400000_NS6detail17trampoline_kernelINS0_14default_configENS1_36segmented_radix_sort_config_selectorI6__halflEEZNS1_25segmented_radix_sort_implIS3_Lb1EPKS5_PS5_PKlPlN2at6native12_GLOBAL__N_18offset_tEEE10hipError_tPvRmT1_PNSt15iterator_traitsISL_E10value_typeET2_T3_PNSM_ISR_E10value_typeET4_jRbjT5_SX_jjP12ihipStream_tbEUlT_E_NS1_11comp_targetILNS1_3genE9ELNS1_11target_archE1100ELNS1_3gpuE3ELNS1_3repE0EEENS1_30default_config_static_selectorELNS0_4arch9wavefront6targetE0EEEvSL_.private_seg_size, 0
	.set _ZN7rocprim17ROCPRIM_400000_NS6detail17trampoline_kernelINS0_14default_configENS1_36segmented_radix_sort_config_selectorI6__halflEEZNS1_25segmented_radix_sort_implIS3_Lb1EPKS5_PS5_PKlPlN2at6native12_GLOBAL__N_18offset_tEEE10hipError_tPvRmT1_PNSt15iterator_traitsISL_E10value_typeET2_T3_PNSM_ISR_E10value_typeET4_jRbjT5_SX_jjP12ihipStream_tbEUlT_E_NS1_11comp_targetILNS1_3genE9ELNS1_11target_archE1100ELNS1_3gpuE3ELNS1_3repE0EEENS1_30default_config_static_selectorELNS0_4arch9wavefront6targetE0EEEvSL_.uses_vcc, 0
	.set _ZN7rocprim17ROCPRIM_400000_NS6detail17trampoline_kernelINS0_14default_configENS1_36segmented_radix_sort_config_selectorI6__halflEEZNS1_25segmented_radix_sort_implIS3_Lb1EPKS5_PS5_PKlPlN2at6native12_GLOBAL__N_18offset_tEEE10hipError_tPvRmT1_PNSt15iterator_traitsISL_E10value_typeET2_T3_PNSM_ISR_E10value_typeET4_jRbjT5_SX_jjP12ihipStream_tbEUlT_E_NS1_11comp_targetILNS1_3genE9ELNS1_11target_archE1100ELNS1_3gpuE3ELNS1_3repE0EEENS1_30default_config_static_selectorELNS0_4arch9wavefront6targetE0EEEvSL_.uses_flat_scratch, 0
	.set _ZN7rocprim17ROCPRIM_400000_NS6detail17trampoline_kernelINS0_14default_configENS1_36segmented_radix_sort_config_selectorI6__halflEEZNS1_25segmented_radix_sort_implIS3_Lb1EPKS5_PS5_PKlPlN2at6native12_GLOBAL__N_18offset_tEEE10hipError_tPvRmT1_PNSt15iterator_traitsISL_E10value_typeET2_T3_PNSM_ISR_E10value_typeET4_jRbjT5_SX_jjP12ihipStream_tbEUlT_E_NS1_11comp_targetILNS1_3genE9ELNS1_11target_archE1100ELNS1_3gpuE3ELNS1_3repE0EEENS1_30default_config_static_selectorELNS0_4arch9wavefront6targetE0EEEvSL_.has_dyn_sized_stack, 0
	.set _ZN7rocprim17ROCPRIM_400000_NS6detail17trampoline_kernelINS0_14default_configENS1_36segmented_radix_sort_config_selectorI6__halflEEZNS1_25segmented_radix_sort_implIS3_Lb1EPKS5_PS5_PKlPlN2at6native12_GLOBAL__N_18offset_tEEE10hipError_tPvRmT1_PNSt15iterator_traitsISL_E10value_typeET2_T3_PNSM_ISR_E10value_typeET4_jRbjT5_SX_jjP12ihipStream_tbEUlT_E_NS1_11comp_targetILNS1_3genE9ELNS1_11target_archE1100ELNS1_3gpuE3ELNS1_3repE0EEENS1_30default_config_static_selectorELNS0_4arch9wavefront6targetE0EEEvSL_.has_recursion, 0
	.set _ZN7rocprim17ROCPRIM_400000_NS6detail17trampoline_kernelINS0_14default_configENS1_36segmented_radix_sort_config_selectorI6__halflEEZNS1_25segmented_radix_sort_implIS3_Lb1EPKS5_PS5_PKlPlN2at6native12_GLOBAL__N_18offset_tEEE10hipError_tPvRmT1_PNSt15iterator_traitsISL_E10value_typeET2_T3_PNSM_ISR_E10value_typeET4_jRbjT5_SX_jjP12ihipStream_tbEUlT_E_NS1_11comp_targetILNS1_3genE9ELNS1_11target_archE1100ELNS1_3gpuE3ELNS1_3repE0EEENS1_30default_config_static_selectorELNS0_4arch9wavefront6targetE0EEEvSL_.has_indirect_call, 0
	.section	.AMDGPU.csdata,"",@progbits
; Kernel info:
; codeLenInByte = 0
; TotalNumSgprs: 0
; NumVgprs: 0
; ScratchSize: 0
; MemoryBound: 0
; FloatMode: 240
; IeeeMode: 1
; LDSByteSize: 0 bytes/workgroup (compile time only)
; SGPRBlocks: 0
; VGPRBlocks: 0
; NumSGPRsForWavesPerEU: 1
; NumVGPRsForWavesPerEU: 1
; Occupancy: 16
; WaveLimiterHint : 0
; COMPUTE_PGM_RSRC2:SCRATCH_EN: 0
; COMPUTE_PGM_RSRC2:USER_SGPR: 6
; COMPUTE_PGM_RSRC2:TRAP_HANDLER: 0
; COMPUTE_PGM_RSRC2:TGID_X_EN: 1
; COMPUTE_PGM_RSRC2:TGID_Y_EN: 0
; COMPUTE_PGM_RSRC2:TGID_Z_EN: 0
; COMPUTE_PGM_RSRC2:TIDIG_COMP_CNT: 0
	.text
	.p2align	2                               ; -- Begin function _ZN7rocprim17ROCPRIM_400000_NS6detail40segmented_radix_sort_single_block_helperI6__halflLj256ELj8ELb1EE4sortIPKS3_PS3_PKlPlEEbT_T0_T1_T2_jjjjRNS4_12storage_typeE
	.type	_ZN7rocprim17ROCPRIM_400000_NS6detail40segmented_radix_sort_single_block_helperI6__halflLj256ELj8ELb1EE4sortIPKS3_PS3_PKlPlEEbT_T0_T1_T2_jjjjRNS4_12storage_typeE,@function
_ZN7rocprim17ROCPRIM_400000_NS6detail40segmented_radix_sort_single_block_helperI6__halflLj256ELj8ELb1EE4sortIPKS3_PS3_PKlPlEEbT_T0_T1_T2_jjjjRNS4_12storage_typeE: ; @_ZN7rocprim17ROCPRIM_400000_NS6detail40segmented_radix_sort_single_block_helperI6__halflLj256ELj8ELb1EE4sortIPKS3_PS3_PKlPlEEbT_T0_T1_T2_jjjjRNS4_12storage_typeE
; %bb.0:
	s_waitcnt vmcnt(0) expcnt(0) lgkmcnt(0)
	v_sub_nc_u32_e32 v128, v9, v8
	s_mov_b32 s22, exec_lo
	v_cmpx_gt_u32_e32 0x801, v128
	s_cbranch_execz .LBB1737_199
; %bb.1:
	v_bfe_u32 v14, v31, 10, 10
	v_bfe_u32 v15, v31, 20, 10
	v_and_b32_e32 v30, 0x3ff, v31
	v_mbcnt_lo_u32_b32 v66, -1, 0
	s_mov_b32 s4, exec_lo
	v_cmpx_lt_u32_e32 0x400, v128
	s_xor_b32 s23, exec_lo, s4
	s_cbranch_execz .LBB1737_79
; %bb.2:
	s_load_dwordx2 s[4:5], s[8:9], 0x0
	v_mov_b32_e32 v9, 0
	v_lshlrev_b64 v[26:27], 1, v[8:9]
	v_add_co_u32 v18, vcc_lo, v0, v26
	v_add_co_ci_u32_e64 v19, null, v1, v27, vcc_lo
	s_waitcnt lgkmcnt(0)
	s_cmp_lt_u32 s13, s5
	s_cselect_b32 s5, 14, 20
	s_add_u32 s6, s8, s5
	s_addc_u32 s7, s9, 0
	s_cmp_lt_u32 s12, s4
	global_load_ushort v16, v9, s[6:7]
	s_cselect_b32 s4, 12, 18
	s_add_u32 s4, s8, s4
	s_addc_u32 s5, s9, 0
	global_load_ushort v17, v9, s[4:5]
	s_waitcnt vmcnt(1)
	v_mad_u32_u24 v14, v15, v16, v14
	v_mov_b32_e32 v15, v9
	v_mov_b32_e32 v16, -1
	s_waitcnt vmcnt(0)
	v_mad_u64_u32 v[24:25], null, v14, v17, v[30:31]
	v_lshlrev_b32_e32 v17, 1, v66
	v_add_co_u32 v17, vcc_lo, v18, v17
	v_lshlrev_b32_e32 v14, 3, v24
	v_add_co_ci_u32_e64 v18, null, 0, v19, vcc_lo
	v_and_b32_e32 v14, 0xffffff00, v14
	v_lshlrev_b64 v[0:1], 1, v[14:15]
	v_or_b32_e32 v25, v14, v66
	v_cmp_lt_u32_e32 vcc_lo, v25, v128
	v_add_co_u32 v0, s4, v17, v0
	v_add_co_ci_u32_e64 v1, null, v18, v1, s4
	v_mov_b32_e32 v17, -1
	s_and_saveexec_b32 s4, vcc_lo
	s_cbranch_execz .LBB1737_4
; %bb.3:
	flat_load_ushort v17, v[0:1]
.LBB1737_4:
	s_or_b32 exec_lo, exec_lo, s4
	v_or_b32_e32 v18, 32, v25
	v_cmp_lt_u32_e64 s4, v18, v128
	s_and_saveexec_b32 s5, s4
	s_cbranch_execz .LBB1737_6
; %bb.5:
	flat_load_ushort v16, v[0:1] offset:64
.LBB1737_6:
	s_or_b32 exec_lo, exec_lo, s5
	v_or_b32_e32 v19, 64, v25
	v_mov_b32_e32 v18, -1
	v_cmp_lt_u32_e64 s5, v19, v128
	v_mov_b32_e32 v19, -1
	s_and_saveexec_b32 s6, s5
	s_cbranch_execz .LBB1737_8
; %bb.7:
	flat_load_ushort v19, v[0:1] offset:128
.LBB1737_8:
	s_or_b32 exec_lo, exec_lo, s6
	v_or_b32_e32 v20, 0x60, v25
	v_cmp_lt_u32_e64 s6, v20, v128
	s_and_saveexec_b32 s7, s6
	s_cbranch_execz .LBB1737_10
; %bb.9:
	flat_load_ushort v18, v[0:1] offset:192
.LBB1737_10:
	s_or_b32 exec_lo, exec_lo, s7
	v_or_b32_e32 v21, 0x80, v25
	v_mov_b32_e32 v20, -1
	v_cmp_lt_u32_e64 s7, v21, v128
	v_mov_b32_e32 v21, -1
	s_and_saveexec_b32 s10, s7
	s_cbranch_execz .LBB1737_12
; %bb.11:
	flat_load_ushort v21, v[0:1] offset:256
.LBB1737_12:
	s_or_b32 exec_lo, exec_lo, s10
	v_or_b32_e32 v22, 0xa0, v25
	v_cmp_lt_u32_e64 s10, v22, v128
	s_and_saveexec_b32 s11, s10
	s_cbranch_execz .LBB1737_14
; %bb.13:
	flat_load_ushort v20, v[0:1] offset:320
.LBB1737_14:
	s_or_b32 exec_lo, exec_lo, s11
	v_or_b32_e32 v23, 0xc0, v25
	v_mov_b32_e32 v22, -1
	v_cmp_lt_u32_e64 s11, v23, v128
	v_mov_b32_e32 v23, -1
	s_and_saveexec_b32 s14, s11
	s_cbranch_execz .LBB1737_16
; %bb.15:
	flat_load_ushort v23, v[0:1] offset:384
.LBB1737_16:
	s_or_b32 exec_lo, exec_lo, s14
	v_or_b32_e32 v25, 0xe0, v25
	v_cmp_lt_u32_e64 s14, v25, v128
	s_and_saveexec_b32 s15, s14
	s_cbranch_execz .LBB1737_18
; %bb.17:
	flat_load_ushort v22, v[0:1] offset:448
.LBB1737_18:
	s_or_b32 exec_lo, exec_lo, s15
	v_lshlrev_b64 v[0:1], 3, v[8:9]
	v_lshlrev_b32_e32 v8, 3, v66
                                        ; implicit-def: $vgpr33_vgpr34
	v_add_co_u32 v9, s15, v4, v0
	v_add_co_ci_u32_e64 v25, null, v5, v1, s15
	v_lshlrev_b64 v[4:5], 3, v[14:15]
	v_add_co_u32 v8, s15, v9, v8
	v_add_co_ci_u32_e64 v9, null, 0, v25, s15
	v_add_co_u32 v4, s15, v8, v4
	v_add_co_ci_u32_e64 v5, null, v9, v5, s15
	s_and_saveexec_b32 s15, vcc_lo
	s_cbranch_execnz .LBB1737_112
; %bb.19:
	s_or_b32 exec_lo, exec_lo, s15
                                        ; implicit-def: $vgpr35_vgpr36
	s_and_saveexec_b32 s15, s4
	s_cbranch_execnz .LBB1737_113
.LBB1737_20:
	s_or_b32 exec_lo, exec_lo, s15
                                        ; implicit-def: $vgpr37_vgpr38
	s_and_saveexec_b32 s4, s5
	s_cbranch_execnz .LBB1737_114
.LBB1737_21:
	s_or_b32 exec_lo, exec_lo, s4
                                        ; implicit-def: $vgpr48_vgpr49
	s_and_saveexec_b32 s4, s6
	s_cbranch_execnz .LBB1737_115
.LBB1737_22:
	s_or_b32 exec_lo, exec_lo, s4
                                        ; implicit-def: $vgpr50_vgpr51
	s_and_saveexec_b32 s4, s7
	s_cbranch_execnz .LBB1737_116
.LBB1737_23:
	s_or_b32 exec_lo, exec_lo, s4
                                        ; implicit-def: $vgpr52_vgpr53
	s_and_saveexec_b32 s4, s10
	s_cbranch_execnz .LBB1737_117
.LBB1737_24:
	s_or_b32 exec_lo, exec_lo, s4
                                        ; implicit-def: $vgpr54_vgpr55
	s_and_saveexec_b32 s4, s11
	s_cbranch_execnz .LBB1737_118
.LBB1737_25:
	s_or_b32 exec_lo, exec_lo, s4
                                        ; implicit-def: $vgpr64_vgpr65
	s_and_saveexec_b32 s4, s14
	s_cbranch_execz .LBB1737_27
.LBB1737_26:
	flat_load_dwordx2 v[64:65], v[4:5] offset:1792
.LBB1737_27:
	s_or_b32 exec_lo, exec_lo, s4
	s_waitcnt vmcnt(0) lgkmcnt(0)
	v_cmp_gt_i16_e32 vcc_lo, 0, v17
	s_getpc_b64 s[4:5]
	s_add_u32 s4, s4, _ZN7rocprim17ROCPRIM_400000_NS16block_radix_sortI6__halfLj256ELj8ElLj1ELj1ELj8ELNS0_26block_radix_rank_algorithmE2ELNS0_18block_padding_hintE2ELNS0_4arch9wavefront6targetE0EE19radix_bits_per_passE@rel32@lo+4
	s_addc_u32 s5, s5, _ZN7rocprim17ROCPRIM_400000_NS16block_radix_sortI6__halfLj256ELj8ElLj1ELj1ELj8ELNS0_26block_radix_rank_algorithmE2ELNS0_18block_padding_hintE2ELNS0_4arch9wavefront6targetE0EE19radix_bits_per_passE@rel32@hi+12
	v_lshrrev_b32_e32 v135, 5, v24
	s_load_dword s24, s[4:5], 0x0
	v_cmp_gt_u32_e64 s14, 8, v30
	v_cndmask_b32_e64 v4, 0x7fff, 0, vcc_lo
	v_cmp_gt_i16_e32 vcc_lo, 0, v16
	v_cmp_lt_u32_e64 s15, 31, v30
	v_cmp_eq_u32_e64 s16, 0, v30
	v_lshl_add_u32 v147, v30, 2, v12
	v_xor_b32_e32 v183, v4, v17
	v_cndmask_b32_e64 v5, 0x7fff, 0, vcc_lo
	v_cmp_gt_i16_e32 vcc_lo, 0, v19
	v_sub_nc_u32_e32 v166, v11, v10
	s_mov_b32 s25, 0
	s_waitcnt lgkmcnt(0)
	s_waitcnt_vscnt null, 0x0
	v_xor_b32_e32 v83, v5, v16
	v_cndmask_b32_e64 v8, 0x7fff, 0, vcc_lo
	v_cmp_gt_i16_e32 vcc_lo, 0, v18
	s_barrier
	buffer_gl0_inv
	v_xor_b32_e32 v85, v8, v19
	v_cndmask_b32_e64 v9, 0x7fff, 0, vcc_lo
	v_cmp_gt_i16_e32 vcc_lo, 0, v21
	v_xor_b32_e32 v87, v9, v18
	v_cndmask_b32_e64 v14, 0x7fff, 0, vcc_lo
	v_cmp_gt_i16_e32 vcc_lo, 0, v20
	v_and_b32_e32 v9, 16, v66
	v_xor_b32_e32 v81, v14, v21
	v_cndmask_b32_e64 v4, 0x7fff, 0, vcc_lo
	v_cmp_gt_i16_e32 vcc_lo, 0, v23
	v_sub_co_u32 v14, s6, v66, 1
	v_cmp_eq_u32_e64 s10, 0, v9
	v_xor_b32_e32 v67, v4, v20
	v_lshl_add_u32 v4, v30, 5, v12
	v_cndmask_b32_e64 v5, 0x7fff, 0, vcc_lo
	v_cmp_gt_i16_e32 vcc_lo, 0, v22
	v_cmp_gt_i32_e64 s11, 0, v14
	v_add_nc_u32_e32 v25, 32, v4
	v_add_nc_u32_e32 v39, 36, v4
	;; [unrolled: 1-line block ×8, first 2 shown]
	v_and_b32_e32 v4, 0x3e0, v30
	v_cndmask_b32_e64 v8, 0x7fff, 0, vcc_lo
	v_xor_b32_e32 v71, v5, v23
	v_lshlrev_b32_e32 v5, 3, v30
	v_cndmask_b32_e64 v9, v14, v66, s11
	v_min_u32_e32 v4, 0xe0, v4
	v_xor_b32_e32 v69, v8, v22
	v_and_b32_e32 v8, 15, v66
	v_lshlrev_b32_e32 v144, 2, v9
	v_or_b32_e32 v4, 31, v4
	v_cmp_eq_u32_e32 vcc_lo, 0, v8
	v_cmp_lt_u32_e64 s4, 1, v8
	v_cmp_lt_u32_e64 s5, 3, v8
	v_cmp_eq_u32_e64 s11, v30, v4
	v_and_or_b32 v4, 0x1f00, v5, v66
	v_cmp_lt_u32_e64 s7, 7, v8
	v_lshrrev_b32_e32 v8, 3, v30
	v_lshl_add_u32 v145, v4, 1, v12
	v_mul_u32_u24_e32 v4, 6, v4
	v_and_b32_e32 v5, 0x7c, v8
	v_and_b32_e32 v8, 7, v66
	v_add_nc_u32_e32 v149, 0x180, v145
	v_add_nc_u32_e32 v148, v145, v4
	;; [unrolled: 1-line block ×3, first 2 shown]
	v_mov_b32_e32 v5, 0
	v_cmp_eq_u32_e64 s17, 0, v8
	v_cmp_lt_u32_e64 s18, 1, v8
	v_cmp_lt_u32_e64 s19, 3, v8
	v_add_nc_u32_e32 v150, 0x1c0, v145
	v_add_nc_u32_e32 v151, 0x100, v148
	;; [unrolled: 1-line block ×8, first 2 shown]
	s_branch .LBB1737_29
.LBB1737_28:                            ;   in Loop: Header=BB1737_29 Depth=1
	s_or_b32 exec_lo, exec_lo, s21
	s_and_b32 s20, exec_lo, s26
	s_or_b32 s25, s20, s25
	s_andn2_b32 exec_lo, exec_lo, s25
	s_cbranch_execz .LBB1737_53
.LBB1737_29:                            ; =>This Inner Loop Header: Depth=1
	v_mov_b32_e32 v167, v183
	v_min_u32_e32 v4, s24, v166
	v_mov_b32_e32 v28, v35
	v_mov_b32_e32 v29, v36
	;; [unrolled: 1-line block ×3, first 2 shown]
	v_cmp_ne_u16_e64 s20, 0x8000, v167
	v_lshlrev_b32_e64 v4, v4, -1
	v_mov_b32_e32 v32, v34
	v_mov_b32_e32 v22, v37
	;; [unrolled: 1-line block ×3, first 2 shown]
	v_cndmask_b32_e64 v8, 0x7fff, v167, s20
	v_not_b32_e32 v36, v4
	v_mov_b32_e32 v18, v50
	v_mov_b32_e32 v19, v51
	;; [unrolled: 1-line block ×3, first 2 shown]
	v_lshrrev_b32_sdwa v4, v10, v8 dst_sel:DWORD dst_unused:UNUSED_PAD src0_sel:DWORD src1_sel:WORD_0
	v_mov_b32_e32 v21, v49
	v_mov_b32_e32 v16, v52
	;; [unrolled: 1-line block ×4, first 2 shown]
	v_and_b32_e32 v4, v4, v36
	v_mov_b32_e32 v17, v53
	v_mov_b32_e32 v15, v55
	;; [unrolled: 1-line block ×4, first 2 shown]
	v_and_b32_e32 v33, 1, v4
	v_lshlrev_b32_e32 v34, 30, v4
	v_lshlrev_b32_e32 v35, 29, v4
	v_lshlrev_b32_e32 v38, 28, v4
	v_lshlrev_b32_e32 v48, 27, v4
	v_add_co_u32 v33, s20, v33, -1
	v_cndmask_b32_e64 v37, 0, 1, s20
	v_not_b32_e32 v50, v34
	v_cmp_gt_i32_e64 s21, 0, v34
	v_not_b32_e32 v34, v35
	v_lshlrev_b32_e32 v49, 26, v4
	v_cmp_ne_u32_e64 s20, 0, v37
	v_ashrrev_i32_e32 v50, 31, v50
	v_lshlrev_b32_e32 v37, 25, v4
	v_ashrrev_i32_e32 v34, 31, v34
	v_mov_b32_e32 v177, v85
	v_xor_b32_e32 v33, s20, v33
	v_cmp_gt_i32_e64 s20, 0, v35
	v_not_b32_e32 v35, v38
	v_xor_b32_e32 v50, s21, v50
	v_cmp_gt_i32_e64 s21, 0, v38
	v_and_b32_e32 v33, exec_lo, v33
	v_not_b32_e32 v38, v48
	v_ashrrev_i32_e32 v35, 31, v35
	v_xor_b32_e32 v34, s20, v34
	v_cmp_gt_i32_e64 s20, 0, v48
	v_and_b32_e32 v33, v33, v50
	v_not_b32_e32 v48, v49
	v_ashrrev_i32_e32 v38, 31, v38
	v_xor_b32_e32 v35, s21, v35
	v_cmp_gt_i32_e64 s21, 0, v49
	v_and_b32_e32 v33, v33, v34
	v_not_b32_e32 v34, v37
	v_ashrrev_i32_e32 v48, 31, v48
	v_xor_b32_e32 v38, s20, v38
	v_cmp_gt_i32_e64 s20, 0, v37
	v_and_b32_e32 v33, v33, v35
	v_lshlrev_b32_e32 v35, 24, v4
	v_ashrrev_i32_e32 v34, 31, v34
	v_xor_b32_e32 v37, s21, v48
	v_lshlrev_b32_e32 v4, 3, v4
	v_and_b32_e32 v33, v33, v38
	v_not_b32_e32 v38, v35
	v_xor_b32_e32 v34, s20, v34
	v_cmp_gt_i32_e64 s20, 0, v35
	v_mov_b32_e32 v176, v87
	v_and_b32_e32 v33, v33, v37
	v_ashrrev_i32_e32 v35, 31, v38
	v_mov_b32_e32 v179, v81
	v_mov_b32_e32 v180, v67
	;; [unrolled: 1-line block ×3, first 2 shown]
	v_and_b32_e32 v33, v33, v34
	v_xor_b32_e32 v34, s20, v35
	v_mov_b32_e32 v182, v69
	ds_write_b32 v25, v5
	ds_write_b32 v39, v5
	;; [unrolled: 1-line block ×5, first 2 shown]
	v_and_b32_e32 v34, v33, v34
	v_add_lshl_u32 v33, v4, v135, 2
	ds_write_b32 v132, v5
	ds_write_b32 v133, v5
	ds_write_b32 v134, v5
	s_waitcnt lgkmcnt(0)
	v_mbcnt_lo_u32_b32 v4, v34, 0
	v_add_co_u32 v33, null, v12, v33
	v_cmp_ne_u32_e64 s21, 0, v34
	s_barrier
	v_cmp_eq_u32_e64 s20, 0, v4
	v_add_co_u32 v33, null, v33, 32
	buffer_gl0_inv
	s_and_b32 s21, s21, s20
	; wave barrier
	s_and_saveexec_b32 s20, s21
; %bb.30:                               ;   in Loop: Header=BB1737_29 Depth=1
	v_bcnt_u32_b32 v34, v34, 0
	ds_write_b32 v33, v34
; %bb.31:                               ;   in Loop: Header=BB1737_29 Depth=1
	s_or_b32 exec_lo, exec_lo, s20
	v_cmp_ne_u16_e64 s20, 0x8000, v178
	; wave barrier
	v_cndmask_b32_e64 v34, 0x7fff, v178, s20
	v_lshrrev_b32_sdwa v34, v10, v34 dst_sel:DWORD dst_unused:UNUSED_PAD src0_sel:DWORD src1_sel:WORD_0
	v_and_b32_e32 v34, v34, v36
	v_and_b32_e32 v35, 1, v34
	v_lshlrev_b32_e32 v37, 30, v34
	v_lshlrev_b32_e32 v38, 29, v34
	;; [unrolled: 1-line block ×4, first 2 shown]
	v_add_co_u32 v35, s20, v35, -1
	v_cndmask_b32_e64 v49, 0, 1, s20
	v_not_b32_e32 v53, v37
	v_cmp_gt_i32_e64 s21, 0, v37
	v_not_b32_e32 v37, v38
	v_lshlrev_b32_e32 v51, 26, v34
	v_cmp_ne_u32_e64 s20, 0, v49
	v_ashrrev_i32_e32 v53, 31, v53
	v_lshlrev_b32_e32 v52, 25, v34
	v_ashrrev_i32_e32 v37, 31, v37
	v_lshlrev_b32_e32 v49, 24, v34
	v_xor_b32_e32 v35, s20, v35
	v_cmp_gt_i32_e64 s20, 0, v38
	v_not_b32_e32 v38, v48
	v_xor_b32_e32 v53, s21, v53
	v_cmp_gt_i32_e64 s21, 0, v48
	v_and_b32_e32 v35, exec_lo, v35
	v_not_b32_e32 v48, v50
	v_ashrrev_i32_e32 v38, 31, v38
	v_xor_b32_e32 v37, s20, v37
	v_cmp_gt_i32_e64 s20, 0, v50
	v_and_b32_e32 v35, v35, v53
	v_not_b32_e32 v50, v51
	v_ashrrev_i32_e32 v48, 31, v48
	v_xor_b32_e32 v38, s21, v38
	v_cmp_gt_i32_e64 s21, 0, v51
	v_and_b32_e32 v35, v35, v37
	;; [unrolled: 5-line block ×3, first 2 shown]
	v_not_b32_e32 v38, v49
	v_ashrrev_i32_e32 v37, 31, v37
	v_xor_b32_e32 v50, s21, v50
	v_lshl_add_u32 v34, v34, 3, v135
	v_and_b32_e32 v35, v35, v48
	v_cmp_gt_i32_e64 s21, 0, v49
	v_ashrrev_i32_e32 v38, 31, v38
	v_xor_b32_e32 v37, s20, v37
	v_lshl_add_u32 v48, v34, 2, v12
	v_and_b32_e32 v35, v35, v50
	v_xor_b32_e32 v38, s21, v38
	ds_read_b32 v34, v48 offset:32
	v_and_b32_e32 v35, v35, v37
	v_add_nc_u32_e32 v37, 32, v48
	; wave barrier
	v_and_b32_e32 v38, v35, v38
	v_mbcnt_lo_u32_b32 v35, v38, 0
	v_cmp_ne_u32_e64 s21, 0, v38
	v_cmp_eq_u32_e64 s20, 0, v35
	s_and_b32 s21, s21, s20
	s_and_saveexec_b32 s20, s21
	s_cbranch_execz .LBB1737_33
; %bb.32:                               ;   in Loop: Header=BB1737_29 Depth=1
	s_waitcnt lgkmcnt(0)
	v_bcnt_u32_b32 v38, v38, v34
	ds_write_b32 v37, v38
.LBB1737_33:                            ;   in Loop: Header=BB1737_29 Depth=1
	s_or_b32 exec_lo, exec_lo, s20
	v_cmp_ne_u16_e64 s20, 0x8000, v177
	; wave barrier
	v_cndmask_b32_e64 v38, 0x7fff, v177, s20
	v_lshrrev_b32_sdwa v38, v10, v38 dst_sel:DWORD dst_unused:UNUSED_PAD src0_sel:DWORD src1_sel:WORD_0
	v_and_b32_e32 v38, v38, v36
	v_and_b32_e32 v48, 1, v38
	v_lshlrev_b32_e32 v49, 30, v38
	v_lshlrev_b32_e32 v50, 29, v38
	;; [unrolled: 1-line block ×4, first 2 shown]
	v_add_co_u32 v48, s20, v48, -1
	v_cndmask_b32_e64 v52, 0, 1, s20
	v_not_b32_e32 v64, v49
	v_cmp_gt_i32_e64 s21, 0, v49
	v_not_b32_e32 v49, v50
	v_lshlrev_b32_e32 v54, 26, v38
	v_cmp_ne_u32_e64 s20, 0, v52
	v_ashrrev_i32_e32 v64, 31, v64
	v_lshlrev_b32_e32 v55, 25, v38
	v_ashrrev_i32_e32 v49, 31, v49
	v_lshlrev_b32_e32 v52, 24, v38
	v_xor_b32_e32 v48, s20, v48
	v_cmp_gt_i32_e64 s20, 0, v50
	v_not_b32_e32 v50, v51
	v_xor_b32_e32 v64, s21, v64
	v_cmp_gt_i32_e64 s21, 0, v51
	v_and_b32_e32 v48, exec_lo, v48
	v_not_b32_e32 v51, v53
	v_ashrrev_i32_e32 v50, 31, v50
	v_xor_b32_e32 v49, s20, v49
	v_cmp_gt_i32_e64 s20, 0, v53
	v_and_b32_e32 v48, v48, v64
	v_not_b32_e32 v53, v54
	v_ashrrev_i32_e32 v51, 31, v51
	v_xor_b32_e32 v50, s21, v50
	v_cmp_gt_i32_e64 s21, 0, v54
	v_and_b32_e32 v48, v48, v49
	;; [unrolled: 5-line block ×3, first 2 shown]
	v_not_b32_e32 v50, v52
	v_ashrrev_i32_e32 v49, 31, v49
	v_xor_b32_e32 v53, s21, v53
	v_lshl_add_u32 v38, v38, 3, v135
	v_and_b32_e32 v48, v48, v51
	v_cmp_gt_i32_e64 s21, 0, v52
	v_ashrrev_i32_e32 v50, 31, v50
	v_xor_b32_e32 v49, s20, v49
	v_lshl_add_u32 v51, v38, 2, v12
	v_and_b32_e32 v48, v48, v53
	v_xor_b32_e32 v50, s21, v50
	ds_read_b32 v38, v51 offset:32
	v_and_b32_e32 v48, v48, v49
	v_add_nc_u32_e32 v49, 32, v51
	; wave barrier
	v_and_b32_e32 v50, v48, v50
	v_mbcnt_lo_u32_b32 v48, v50, 0
	v_cmp_ne_u32_e64 s21, 0, v50
	v_cmp_eq_u32_e64 s20, 0, v48
	s_and_b32 s21, s21, s20
	s_and_saveexec_b32 s20, s21
	s_cbranch_execz .LBB1737_35
; %bb.34:                               ;   in Loop: Header=BB1737_29 Depth=1
	s_waitcnt lgkmcnt(0)
	v_bcnt_u32_b32 v50, v50, v38
	ds_write_b32 v49, v50
.LBB1737_35:                            ;   in Loop: Header=BB1737_29 Depth=1
	s_or_b32 exec_lo, exec_lo, s20
	v_cmp_ne_u16_e64 s20, 0x8000, v176
	; wave barrier
	v_cndmask_b32_e64 v50, 0x7fff, v176, s20
	v_lshrrev_b32_sdwa v50, v10, v50 dst_sel:DWORD dst_unused:UNUSED_PAD src0_sel:DWORD src1_sel:WORD_0
	v_and_b32_e32 v50, v50, v36
	v_and_b32_e32 v51, 1, v50
	v_lshlrev_b32_e32 v52, 30, v50
	v_lshlrev_b32_e32 v53, 29, v50
	;; [unrolled: 1-line block ×4, first 2 shown]
	v_add_co_u32 v51, s20, v51, -1
	v_cndmask_b32_e64 v55, 0, 1, s20
	v_not_b32_e32 v67, v52
	v_cmp_gt_i32_e64 s21, 0, v52
	v_not_b32_e32 v52, v53
	v_lshlrev_b32_e32 v65, 26, v50
	v_cmp_ne_u32_e64 s20, 0, v55
	v_ashrrev_i32_e32 v67, 31, v67
	v_lshlrev_b32_e32 v66, 25, v50
	v_ashrrev_i32_e32 v52, 31, v52
	v_lshlrev_b32_e32 v55, 24, v50
	v_xor_b32_e32 v51, s20, v51
	v_cmp_gt_i32_e64 s20, 0, v53
	v_not_b32_e32 v53, v54
	v_xor_b32_e32 v67, s21, v67
	v_cmp_gt_i32_e64 s21, 0, v54
	v_and_b32_e32 v51, exec_lo, v51
	v_not_b32_e32 v54, v64
	v_ashrrev_i32_e32 v53, 31, v53
	v_xor_b32_e32 v52, s20, v52
	v_cmp_gt_i32_e64 s20, 0, v64
	v_and_b32_e32 v51, v51, v67
	v_not_b32_e32 v64, v65
	v_ashrrev_i32_e32 v54, 31, v54
	v_xor_b32_e32 v53, s21, v53
	v_cmp_gt_i32_e64 s21, 0, v65
	v_and_b32_e32 v51, v51, v52
	;; [unrolled: 5-line block ×3, first 2 shown]
	v_not_b32_e32 v53, v55
	v_ashrrev_i32_e32 v52, 31, v52
	v_xor_b32_e32 v64, s21, v64
	v_lshl_add_u32 v50, v50, 3, v135
	v_and_b32_e32 v51, v51, v54
	v_cmp_gt_i32_e64 s21, 0, v55
	v_ashrrev_i32_e32 v53, 31, v53
	v_xor_b32_e32 v52, s20, v52
	v_lshl_add_u32 v54, v50, 2, v12
	v_and_b32_e32 v51, v51, v64
	v_xor_b32_e32 v53, s21, v53
	ds_read_b32 v50, v54 offset:32
	v_and_b32_e32 v51, v51, v52
	v_add_nc_u32_e32 v52, 32, v54
	; wave barrier
	v_and_b32_e32 v53, v51, v53
	v_mbcnt_lo_u32_b32 v51, v53, 0
	v_cmp_ne_u32_e64 s21, 0, v53
	v_cmp_eq_u32_e64 s20, 0, v51
	s_and_b32 s21, s21, s20
	s_and_saveexec_b32 s20, s21
	s_cbranch_execz .LBB1737_37
; %bb.36:                               ;   in Loop: Header=BB1737_29 Depth=1
	s_waitcnt lgkmcnt(0)
	v_bcnt_u32_b32 v53, v53, v50
	ds_write_b32 v52, v53
.LBB1737_37:                            ;   in Loop: Header=BB1737_29 Depth=1
	s_or_b32 exec_lo, exec_lo, s20
	v_cmp_ne_u16_e64 s20, 0x8000, v179
	; wave barrier
	v_cndmask_b32_e64 v53, 0x7fff, v179, s20
	v_lshrrev_b32_sdwa v53, v10, v53 dst_sel:DWORD dst_unused:UNUSED_PAD src0_sel:DWORD src1_sel:WORD_0
	v_and_b32_e32 v53, v53, v36
	v_and_b32_e32 v54, 1, v53
	v_lshlrev_b32_e32 v55, 30, v53
	v_lshlrev_b32_e32 v64, 29, v53
	;; [unrolled: 1-line block ×4, first 2 shown]
	v_add_co_u32 v54, s20, v54, -1
	v_cndmask_b32_e64 v66, 0, 1, s20
	v_not_b32_e32 v70, v55
	v_cmp_gt_i32_e64 s21, 0, v55
	v_not_b32_e32 v55, v64
	v_lshlrev_b32_e32 v68, 26, v53
	v_cmp_ne_u32_e64 s20, 0, v66
	v_ashrrev_i32_e32 v70, 31, v70
	v_lshlrev_b32_e32 v69, 25, v53
	v_ashrrev_i32_e32 v55, 31, v55
	v_lshlrev_b32_e32 v66, 24, v53
	v_xor_b32_e32 v54, s20, v54
	v_cmp_gt_i32_e64 s20, 0, v64
	v_not_b32_e32 v64, v65
	v_xor_b32_e32 v70, s21, v70
	v_cmp_gt_i32_e64 s21, 0, v65
	v_and_b32_e32 v54, exec_lo, v54
	v_not_b32_e32 v65, v67
	v_ashrrev_i32_e32 v64, 31, v64
	v_xor_b32_e32 v55, s20, v55
	v_cmp_gt_i32_e64 s20, 0, v67
	v_and_b32_e32 v54, v54, v70
	v_not_b32_e32 v67, v68
	v_ashrrev_i32_e32 v65, 31, v65
	v_xor_b32_e32 v64, s21, v64
	v_cmp_gt_i32_e64 s21, 0, v68
	v_and_b32_e32 v54, v54, v55
	;; [unrolled: 5-line block ×3, first 2 shown]
	v_not_b32_e32 v64, v66
	v_ashrrev_i32_e32 v55, 31, v55
	v_xor_b32_e32 v67, s21, v67
	v_lshl_add_u32 v53, v53, 3, v135
	v_and_b32_e32 v54, v54, v65
	v_cmp_gt_i32_e64 s21, 0, v66
	v_ashrrev_i32_e32 v64, 31, v64
	v_xor_b32_e32 v55, s20, v55
	v_lshl_add_u32 v65, v53, 2, v12
	v_and_b32_e32 v54, v54, v67
	v_xor_b32_e32 v64, s21, v64
	ds_read_b32 v53, v65 offset:32
	v_and_b32_e32 v54, v54, v55
	v_add_nc_u32_e32 v55, 32, v65
	; wave barrier
	v_and_b32_e32 v64, v54, v64
	v_mbcnt_lo_u32_b32 v54, v64, 0
	v_cmp_ne_u32_e64 s21, 0, v64
	v_cmp_eq_u32_e64 s20, 0, v54
	s_and_b32 s21, s21, s20
	s_and_saveexec_b32 s20, s21
	s_cbranch_execz .LBB1737_39
; %bb.38:                               ;   in Loop: Header=BB1737_29 Depth=1
	s_waitcnt lgkmcnt(0)
	v_bcnt_u32_b32 v64, v64, v53
	ds_write_b32 v55, v64
.LBB1737_39:                            ;   in Loop: Header=BB1737_29 Depth=1
	s_or_b32 exec_lo, exec_lo, s20
	v_cmp_ne_u16_e64 s20, 0x8000, v180
	; wave barrier
	v_cndmask_b32_e64 v64, 0x7fff, v180, s20
	v_lshrrev_b32_sdwa v64, v10, v64 dst_sel:DWORD dst_unused:UNUSED_PAD src0_sel:DWORD src1_sel:WORD_0
	v_and_b32_e32 v64, v64, v36
	v_and_b32_e32 v65, 1, v64
	v_lshlrev_b32_e32 v66, 30, v64
	v_lshlrev_b32_e32 v67, 29, v64
	;; [unrolled: 1-line block ×4, first 2 shown]
	v_add_co_u32 v65, s20, v65, -1
	v_cndmask_b32_e64 v69, 0, 1, s20
	v_not_b32_e32 v81, v66
	v_cmp_gt_i32_e64 s21, 0, v66
	v_not_b32_e32 v66, v67
	v_lshlrev_b32_e32 v71, 26, v64
	v_cmp_ne_u32_e64 s20, 0, v69
	v_ashrrev_i32_e32 v81, 31, v81
	v_lshlrev_b32_e32 v80, 25, v64
	v_ashrrev_i32_e32 v66, 31, v66
	v_lshlrev_b32_e32 v69, 24, v64
	v_xor_b32_e32 v65, s20, v65
	v_cmp_gt_i32_e64 s20, 0, v67
	v_not_b32_e32 v67, v68
	v_xor_b32_e32 v81, s21, v81
	v_cmp_gt_i32_e64 s21, 0, v68
	v_and_b32_e32 v65, exec_lo, v65
	v_not_b32_e32 v68, v70
	v_ashrrev_i32_e32 v67, 31, v67
	v_xor_b32_e32 v66, s20, v66
	v_cmp_gt_i32_e64 s20, 0, v70
	v_and_b32_e32 v65, v65, v81
	v_not_b32_e32 v70, v71
	v_ashrrev_i32_e32 v68, 31, v68
	v_xor_b32_e32 v67, s21, v67
	v_cmp_gt_i32_e64 s21, 0, v71
	v_and_b32_e32 v65, v65, v66
	;; [unrolled: 5-line block ×3, first 2 shown]
	v_not_b32_e32 v67, v69
	v_ashrrev_i32_e32 v66, 31, v66
	v_xor_b32_e32 v70, s21, v70
	v_lshl_add_u32 v64, v64, 3, v135
	v_and_b32_e32 v65, v65, v68
	v_cmp_gt_i32_e64 s21, 0, v69
	v_ashrrev_i32_e32 v67, 31, v67
	v_xor_b32_e32 v66, s20, v66
	v_lshl_add_u32 v68, v64, 2, v12
	v_and_b32_e32 v65, v65, v70
	v_xor_b32_e32 v67, s21, v67
	ds_read_b32 v64, v68 offset:32
	v_and_b32_e32 v65, v65, v66
	v_add_nc_u32_e32 v66, 32, v68
	; wave barrier
	v_and_b32_e32 v67, v65, v67
	v_mbcnt_lo_u32_b32 v65, v67, 0
	v_cmp_ne_u32_e64 s21, 0, v67
	v_cmp_eq_u32_e64 s20, 0, v65
	s_and_b32 s21, s21, s20
	s_and_saveexec_b32 s20, s21
	s_cbranch_execz .LBB1737_41
; %bb.40:                               ;   in Loop: Header=BB1737_29 Depth=1
	s_waitcnt lgkmcnt(0)
	v_bcnt_u32_b32 v67, v67, v64
	ds_write_b32 v66, v67
.LBB1737_41:                            ;   in Loop: Header=BB1737_29 Depth=1
	s_or_b32 exec_lo, exec_lo, s20
	v_cmp_ne_u16_e64 s20, 0x8000, v181
	; wave barrier
	v_cndmask_b32_e64 v67, 0x7fff, v181, s20
	v_lshrrev_b32_sdwa v67, v10, v67 dst_sel:DWORD dst_unused:UNUSED_PAD src0_sel:DWORD src1_sel:WORD_0
	v_and_b32_e32 v67, v67, v36
	v_and_b32_e32 v68, 1, v67
	v_lshlrev_b32_e32 v69, 30, v67
	v_lshlrev_b32_e32 v70, 29, v67
	;; [unrolled: 1-line block ×4, first 2 shown]
	v_add_co_u32 v68, s20, v68, -1
	v_cndmask_b32_e64 v80, 0, 1, s20
	v_not_b32_e32 v84, v69
	v_cmp_gt_i32_e64 s21, 0, v69
	v_not_b32_e32 v69, v70
	v_lshlrev_b32_e32 v82, 26, v67
	v_cmp_ne_u32_e64 s20, 0, v80
	v_ashrrev_i32_e32 v84, 31, v84
	v_lshlrev_b32_e32 v83, 25, v67
	v_ashrrev_i32_e32 v69, 31, v69
	v_lshlrev_b32_e32 v80, 24, v67
	v_xor_b32_e32 v68, s20, v68
	v_cmp_gt_i32_e64 s20, 0, v70
	v_not_b32_e32 v70, v71
	v_xor_b32_e32 v84, s21, v84
	v_cmp_gt_i32_e64 s21, 0, v71
	v_and_b32_e32 v68, exec_lo, v68
	v_not_b32_e32 v71, v81
	v_ashrrev_i32_e32 v70, 31, v70
	v_xor_b32_e32 v69, s20, v69
	v_cmp_gt_i32_e64 s20, 0, v81
	v_and_b32_e32 v68, v68, v84
	v_not_b32_e32 v81, v82
	v_ashrrev_i32_e32 v71, 31, v71
	v_xor_b32_e32 v70, s21, v70
	v_cmp_gt_i32_e64 s21, 0, v82
	v_and_b32_e32 v68, v68, v69
	;; [unrolled: 5-line block ×3, first 2 shown]
	v_not_b32_e32 v70, v80
	v_ashrrev_i32_e32 v69, 31, v69
	v_xor_b32_e32 v81, s21, v81
	v_lshl_add_u32 v67, v67, 3, v135
	v_and_b32_e32 v68, v68, v71
	v_cmp_gt_i32_e64 s21, 0, v80
	v_ashrrev_i32_e32 v70, 31, v70
	v_xor_b32_e32 v69, s20, v69
	v_lshl_add_u32 v67, v67, 2, v12
	v_and_b32_e32 v68, v68, v81
	v_xor_b32_e32 v70, s21, v70
	ds_read_b32 v84, v67 offset:32
	v_and_b32_e32 v68, v68, v69
	v_add_nc_u32_e32 v67, 32, v67
	; wave barrier
	v_and_b32_e32 v68, v68, v70
	v_mbcnt_lo_u32_b32 v86, v68, 0
	v_cmp_ne_u32_e64 s21, 0, v68
	v_cmp_eq_u32_e64 s20, 0, v86
	s_and_b32 s21, s21, s20
	s_and_saveexec_b32 s20, s21
	s_cbranch_execz .LBB1737_43
; %bb.42:                               ;   in Loop: Header=BB1737_29 Depth=1
	s_waitcnt lgkmcnt(0)
	v_bcnt_u32_b32 v68, v68, v84
	ds_write_b32 v67, v68
.LBB1737_43:                            ;   in Loop: Header=BB1737_29 Depth=1
	s_or_b32 exec_lo, exec_lo, s20
	v_cmp_ne_u16_e64 s20, 0x8000, v182
	; wave barrier
	v_cndmask_b32_e64 v68, 0x7fff, v182, s20
	v_lshrrev_b32_sdwa v68, v10, v68 dst_sel:DWORD dst_unused:UNUSED_PAD src0_sel:DWORD src1_sel:WORD_0
	v_and_b32_e32 v36, v68, v36
	v_and_b32_e32 v68, 1, v36
	v_lshlrev_b32_e32 v69, 30, v36
	v_lshlrev_b32_e32 v70, 29, v36
	;; [unrolled: 1-line block ×4, first 2 shown]
	v_add_co_u32 v68, s20, v68, -1
	v_cndmask_b32_e64 v80, 0, 1, s20
	v_not_b32_e32 v85, v69
	v_cmp_gt_i32_e64 s21, 0, v69
	v_not_b32_e32 v69, v70
	v_lshlrev_b32_e32 v82, 26, v36
	v_cmp_ne_u32_e64 s20, 0, v80
	v_ashrrev_i32_e32 v85, 31, v85
	v_lshlrev_b32_e32 v83, 25, v36
	v_ashrrev_i32_e32 v69, 31, v69
	v_lshlrev_b32_e32 v80, 24, v36
	v_xor_b32_e32 v68, s20, v68
	v_cmp_gt_i32_e64 s20, 0, v70
	v_not_b32_e32 v70, v71
	v_xor_b32_e32 v85, s21, v85
	v_cmp_gt_i32_e64 s21, 0, v71
	v_and_b32_e32 v68, exec_lo, v68
	v_not_b32_e32 v71, v81
	v_ashrrev_i32_e32 v70, 31, v70
	v_xor_b32_e32 v69, s20, v69
	v_cmp_gt_i32_e64 s20, 0, v81
	v_and_b32_e32 v68, v68, v85
	v_not_b32_e32 v81, v82
	v_ashrrev_i32_e32 v71, 31, v71
	v_xor_b32_e32 v70, s21, v70
	v_cmp_gt_i32_e64 s21, 0, v82
	v_and_b32_e32 v68, v68, v69
	;; [unrolled: 5-line block ×3, first 2 shown]
	v_not_b32_e32 v70, v80
	v_ashrrev_i32_e32 v69, 31, v69
	v_xor_b32_e32 v81, s21, v81
	v_lshl_add_u32 v36, v36, 3, v135
	v_and_b32_e32 v68, v68, v71
	v_cmp_gt_i32_e64 s21, 0, v80
	v_ashrrev_i32_e32 v70, 31, v70
	v_xor_b32_e32 v69, s20, v69
	v_lshl_add_u32 v71, v36, 2, v12
	v_and_b32_e32 v68, v68, v81
	v_xor_b32_e32 v70, s21, v70
	ds_read_b32 v36, v71 offset:32
	v_and_b32_e32 v68, v68, v69
	; wave barrier
	v_and_b32_e32 v69, v68, v70
	v_add_nc_u32_e32 v68, 32, v71
	v_mbcnt_lo_u32_b32 v96, v69, 0
	v_cmp_ne_u32_e64 s21, 0, v69
	v_cmp_eq_u32_e64 s20, 0, v96
	s_and_b32 s21, s21, s20
	s_and_saveexec_b32 s20, s21
	s_cbranch_execz .LBB1737_45
; %bb.44:                               ;   in Loop: Header=BB1737_29 Depth=1
	s_waitcnt lgkmcnt(0)
	v_bcnt_u32_b32 v69, v69, v36
	ds_write_b32 v68, v69
.LBB1737_45:                            ;   in Loop: Header=BB1737_29 Depth=1
	s_or_b32 exec_lo, exec_lo, s20
	; wave barrier
	s_waitcnt lgkmcnt(0)
	s_barrier
	buffer_gl0_inv
	ds_read_b32 v70, v25
	ds_read_b32 v71, v39
	ds_read_b32 v80, v129
	ds_read_b32 v81, v130
	ds_read_b32 v82, v131
	ds_read_b32 v83, v132
	ds_read_b32 v69, v133
	ds_read_b32 v85, v134
	s_waitcnt lgkmcnt(6)
	v_add_nc_u32_e32 v87, v71, v70
	s_waitcnt lgkmcnt(4)
	v_add3_u32 v87, v87, v80, v81
	s_waitcnt lgkmcnt(2)
	v_add3_u32 v87, v87, v82, v83
	;; [unrolled: 2-line block ×3, first 2 shown]
	v_mov_b32_dpp v87, v85 row_shr:1 row_mask:0xf bank_mask:0xf
	v_cndmask_b32_e64 v87, v87, 0, vcc_lo
	v_add_nc_u32_e32 v85, v87, v85
	v_mov_b32_dpp v87, v85 row_shr:2 row_mask:0xf bank_mask:0xf
	v_cndmask_b32_e64 v87, 0, v87, s4
	v_add_nc_u32_e32 v85, v85, v87
	v_mov_b32_dpp v87, v85 row_shr:4 row_mask:0xf bank_mask:0xf
	v_cndmask_b32_e64 v87, 0, v87, s5
	;; [unrolled: 3-line block ×3, first 2 shown]
	v_add_nc_u32_e32 v85, v85, v87
	ds_swizzle_b32 v87, v85 offset:swizzle(BROADCAST,32,15)
	s_waitcnt lgkmcnt(0)
	v_cndmask_b32_e64 v87, v87, 0, s10
	v_add_nc_u32_e32 v85, v85, v87
	s_and_saveexec_b32 s20, s11
; %bb.46:                               ;   in Loop: Header=BB1737_29 Depth=1
	ds_write_b32 v146, v85
; %bb.47:                               ;   in Loop: Header=BB1737_29 Depth=1
	s_or_b32 exec_lo, exec_lo, s20
	s_waitcnt lgkmcnt(0)
	s_barrier
	buffer_gl0_inv
	s_and_saveexec_b32 s20, s14
	s_cbranch_execz .LBB1737_49
; %bb.48:                               ;   in Loop: Header=BB1737_29 Depth=1
	ds_read_b32 v87, v147
	s_waitcnt lgkmcnt(0)
	v_mov_b32_dpp v97, v87 row_shr:1 row_mask:0xf bank_mask:0xf
	v_cndmask_b32_e64 v97, v97, 0, s17
	v_add_nc_u32_e32 v87, v97, v87
	v_mov_b32_dpp v97, v87 row_shr:2 row_mask:0xf bank_mask:0xf
	v_cndmask_b32_e64 v97, 0, v97, s18
	v_add_nc_u32_e32 v87, v87, v97
	v_mov_b32_dpp v97, v87 row_shr:4 row_mask:0xf bank_mask:0xf
	v_cndmask_b32_e64 v97, 0, v97, s19
	v_add_nc_u32_e32 v87, v87, v97
	ds_write_b32 v147, v87
.LBB1737_49:                            ;   in Loop: Header=BB1737_29 Depth=1
	s_or_b32 exec_lo, exec_lo, s20
	v_mov_b32_e32 v87, 0
	s_waitcnt lgkmcnt(0)
	s_barrier
	buffer_gl0_inv
	s_and_saveexec_b32 s20, s15
; %bb.50:                               ;   in Loop: Header=BB1737_29 Depth=1
	v_add_nc_u32_e32 v87, -4, v146
	ds_read_b32 v87, v87
; %bb.51:                               ;   in Loop: Header=BB1737_29 Depth=1
	s_or_b32 exec_lo, exec_lo, s20
	s_waitcnt lgkmcnt(0)
	v_add_nc_u32_e32 v85, v87, v85
	v_add_nc_u32_e32 v10, 8, v10
	s_mov_b32 s26, -1
                                        ; implicit-def: $vgpr183
	ds_bpermute_b32 v85, v144, v85
	v_cmp_lt_u32_e64 s20, v10, v11
	s_waitcnt lgkmcnt(0)
	v_cndmask_b32_e64 v85, v85, v87, s6
	v_mov_b32_e32 v87, v5
	v_cndmask_b32_e64 v85, v85, 0, s16
	v_add_nc_u32_e32 v70, v85, v70
	v_add_nc_u32_e32 v71, v70, v71
	ds_write_b32 v25, v85
	ds_write_b32 v39, v70
	;; [unrolled: 1-line block ×3, first 2 shown]
	v_mov_b32_e32 v85, v5
	v_add_nc_u32_e32 v80, v71, v80
	v_mov_b32_e32 v71, v5
	v_add_nc_u32_e32 v81, v80, v81
	v_add_nc_u32_e32 v82, v81, v82
	;; [unrolled: 1-line block ×4, first 2 shown]
	ds_write_b32 v130, v80
	ds_write_b32 v131, v81
	ds_write_b32 v132, v82
	ds_write_b32 v133, v83
	ds_write_b32 v134, v69
	s_waitcnt lgkmcnt(0)
	s_barrier
	buffer_gl0_inv
	ds_read_b32 v33, v33
	ds_read_b32 v37, v37
	;; [unrolled: 1-line block ×8, first 2 shown]
	v_mov_b32_e32 v67, v5
	v_mov_b32_e32 v69, v5
	;; [unrolled: 1-line block ×4, first 2 shown]
	s_waitcnt lgkmcnt(0)
	v_add_nc_u32_e32 v4, v33, v4
	v_add3_u32 v70, v35, v34, v37
	v_add3_u32 v66, v48, v38, v49
	;; [unrolled: 1-line block ×4, first 2 shown]
	v_lshlrev_b64 v[33:34], 1, v[4:5]
	v_add3_u32 v84, v86, v84, v97
	v_add3_u32 v86, v96, v36, v98
	v_lshlrev_b64 v[35:36], 1, v[70:71]
	v_lshlrev_b64 v[37:38], 1, v[66:67]
	v_add3_u32 v82, v65, v64, v82
	v_lshlrev_b64 v[48:49], 1, v[68:69]
	v_add_co_u32 v116, s21, v12, v33
	v_lshlrev_b64 v[50:51], 1, v[80:81]
	v_add_co_ci_u32_e64 v117, null, v13, v34, s21
	v_add_co_u32 v118, s21, v12, v35
	v_lshlrev_b64 v[52:53], 1, v[82:83]
	v_add_co_ci_u32_e64 v119, null, v13, v36, s21
	;; [unrolled: 3-line block ×4, first 2 shown]
	v_add_co_u32 v100, s21, v12, v50
	v_add_co_ci_u32_e64 v101, null, v13, v51, s21
	v_add_co_u32 v102, s21, v12, v52
	v_add_co_ci_u32_e64 v103, null, v13, v53, s21
	;; [unrolled: 2-line block ×4, first 2 shown]
                                        ; implicit-def: $vgpr33_vgpr34
                                        ; implicit-def: $vgpr35_vgpr36
                                        ; implicit-def: $vgpr37_vgpr38
                                        ; implicit-def: $vgpr48_vgpr49
                                        ; implicit-def: $vgpr50_vgpr51
                                        ; implicit-def: $vgpr52_vgpr53
                                        ; implicit-def: $vgpr54_vgpr55
                                        ; implicit-def: $vgpr64_vgpr65
                                        ; implicit-def: $vgpr83
                                        ; implicit-def: $vgpr85
                                        ; implicit-def: $vgpr87
                                        ; implicit-def: $vgpr81
                                        ; implicit-def: $vgpr67
                                        ; implicit-def: $vgpr71
                                        ; implicit-def: $vgpr69
	s_and_saveexec_b32 s21, s20
	s_cbranch_execz .LBB1737_28
; %bb.52:                               ;   in Loop: Header=BB1737_29 Depth=1
	v_add_nc_u32_e32 v33, 64, v145
	v_add_nc_u32_e32 v34, 0x80, v145
	;; [unrolled: 1-line block ×5, first 2 shown]
	s_barrier
	buffer_gl0_inv
	ds_write_b16 v116, v167
	ds_write_b16 v118, v178
	;; [unrolled: 1-line block ×8, first 2 shown]
	s_waitcnt lgkmcnt(0)
	s_barrier
	buffer_gl0_inv
	ds_read_u16 v183, v145
	ds_read_u16 v83, v33
	;; [unrolled: 1-line block ×8, first 2 shown]
	v_mad_u64_u32 v[33:34], null, v4, 6, v[116:117]
	v_mad_u64_u32 v[34:35], null, v70, 6, v[118:119]
	;; [unrolled: 1-line block ×8, first 2 shown]
	s_waitcnt lgkmcnt(0)
	s_barrier
	buffer_gl0_inv
	ds_write_b64 v33, v[31:32]
	ds_write_b64 v34, v[28:29]
	;; [unrolled: 1-line block ×8, first 2 shown]
	s_waitcnt lgkmcnt(0)
	s_barrier
	buffer_gl0_inv
	ds_read_b64 v[33:34], v148
	ds_read_b64 v[35:36], v151
	;; [unrolled: 1-line block ×8, first 2 shown]
	v_add_nc_u32_e32 v166, -8, v166
	s_xor_b32 s26, exec_lo, -1
	s_waitcnt lgkmcnt(0)
	s_barrier
	buffer_gl0_inv
	s_branch .LBB1737_28
.LBB1737_53:
	s_or_b32 exec_lo, exec_lo, s25
	v_mad_u64_u32 v[10:11], null, v4, 6, v[116:117]
	v_lshl_add_u32 v25, v30, 1, v12
	v_mad_u64_u32 v[11:12], null, v70, 6, v[118:119]
	s_barrier
	buffer_gl0_inv
	ds_write_b16 v116, v167
	ds_write_b16 v118, v178
	;; [unrolled: 1-line block ×8, first 2 shown]
	s_waitcnt lgkmcnt(0)
	s_barrier
	buffer_gl0_inv
	ds_read_u16 v38, v25
	ds_read_u16 v37, v25 offset:512
	ds_read_u16 v36, v25 offset:1024
	;; [unrolled: 1-line block ×7, first 2 shown]
	s_waitcnt lgkmcnt(0)
	s_barrier
	buffer_gl0_inv
	ds_write_b64 v10, v[31:32]
	ds_write_b64 v11, v[28:29]
	v_mad_u64_u32 v[10:11], null, v66, 6, v[96:97]
	v_mad_u64_u32 v[11:12], null, v68, 6, v[98:99]
	;; [unrolled: 1-line block ×4, first 2 shown]
	ds_write_b64 v10, v[22:23]
	v_mul_u32_u24_e32 v10, 6, v30
	v_mad_u64_u32 v[28:29], null, v82, 6, v[102:103]
	v_mad_u64_u32 v[31:32], null, v84, 6, v[112:113]
	v_add_nc_u32_e32 v10, v25, v10
	ds_write_b64 v11, v[20:21]
	ds_write_b64 v12, v[18:19]
	;; [unrolled: 1-line block ×5, first 2 shown]
	s_waitcnt lgkmcnt(0)
	s_barrier
	buffer_gl0_inv
	ds_read2st64_b64 v[20:23], v10 offset1:4
	ds_read2st64_b64 v[16:19], v10 offset0:8 offset1:12
	ds_read2st64_b64 v[12:15], v10 offset0:16 offset1:20
	ds_read2st64_b64 v[8:11], v10 offset0:24 offset1:28
	v_mov_b32_e32 v25, 0
	v_add_co_u32 v2, vcc_lo, v2, v26
	v_add_co_ci_u32_e64 v3, null, v3, v27, vcc_lo
	v_lshlrev_b64 v[28:29], 1, v[24:25]
	s_waitcnt lgkmcnt(0)
	s_barrier
	buffer_gl0_inv
	v_add_co_u32 v2, vcc_lo, v2, v28
	v_add_co_ci_u32_e64 v3, null, v3, v29, vcc_lo
	v_cmp_lt_u32_e32 vcc_lo, v24, v128
	s_and_saveexec_b32 s5, vcc_lo
	s_cbranch_execz .LBB1737_55
; %bb.54:
	v_cmp_gt_i16_e64 s4, 0, v38
	v_cndmask_b32_e64 v26, 0x7fff, 0, s4
	v_xor_b32_e32 v26, v26, v38
	flat_store_short v[2:3], v26
.LBB1737_55:
	s_or_b32 exec_lo, exec_lo, s5
	v_add_nc_u32_e32 v26, 0x100, v24
	v_cmp_lt_u32_e64 s4, v26, v128
	s_and_saveexec_b32 s6, s4
	s_cbranch_execz .LBB1737_57
; %bb.56:
	v_cmp_gt_i16_e64 s5, 0, v37
	v_cndmask_b32_e64 v26, 0x7fff, 0, s5
	v_xor_b32_e32 v26, v26, v37
	flat_store_short v[2:3], v26 offset:512
.LBB1737_57:
	s_or_b32 exec_lo, exec_lo, s6
	v_add_nc_u32_e32 v26, 0x200, v24
	v_cmp_lt_u32_e64 s5, v26, v128
	s_and_saveexec_b32 s7, s5
	s_cbranch_execz .LBB1737_59
; %bb.58:
	v_cmp_gt_i16_e64 s6, 0, v36
	v_cndmask_b32_e64 v26, 0x7fff, 0, s6
	v_xor_b32_e32 v26, v26, v36
	flat_store_short v[2:3], v26 offset:1024
.LBB1737_59:
	;; [unrolled: 11-line block ×3, first 2 shown]
	s_or_b32 exec_lo, exec_lo, s10
	v_add_nc_u32_e32 v26, 0x400, v24
	v_cmp_lt_u32_e64 s7, v26, v128
	s_and_saveexec_b32 s11, s7
	s_cbranch_execz .LBB1737_63
; %bb.62:
	v_cmp_gt_i16_e64 s10, 0, v34
	v_cndmask_b32_e64 v26, 0x7fff, 0, s10
	v_xor_b32_e32 v28, v26, v34
	v_add_co_u32 v26, s10, 0x800, v2
	v_add_co_ci_u32_e64 v27, null, 0, v3, s10
	flat_store_short v[26:27], v28
.LBB1737_63:
	s_or_b32 exec_lo, exec_lo, s11
	v_add_nc_u32_e32 v26, 0x500, v24
	v_cmp_lt_u32_e64 s10, v26, v128
	s_and_saveexec_b32 s14, s10
	s_cbranch_execz .LBB1737_65
; %bb.64:
	v_cmp_gt_i16_e64 s11, 0, v33
	v_cndmask_b32_e64 v26, 0x7fff, 0, s11
	v_xor_b32_e32 v28, v26, v33
	v_add_co_u32 v26, s11, 0x800, v2
	v_add_co_ci_u32_e64 v27, null, 0, v3, s11
	flat_store_short v[26:27], v28 offset:512
.LBB1737_65:
	s_or_b32 exec_lo, exec_lo, s14
	v_add_nc_u32_e32 v26, 0x600, v24
	v_cmp_lt_u32_e64 s11, v26, v128
	s_and_saveexec_b32 s15, s11
	s_cbranch_execz .LBB1737_67
; %bb.66:
	v_cmp_gt_i16_e64 s14, 0, v5
	v_cndmask_b32_e64 v26, 0x7fff, 0, s14
	v_xor_b32_e32 v5, v26, v5
	v_add_co_u32 v26, s14, 0x800, v2
	v_add_co_ci_u32_e64 v27, null, 0, v3, s14
	flat_store_short v[26:27], v5 offset:1024
.LBB1737_67:
	s_or_b32 exec_lo, exec_lo, s15
	v_add_nc_u32_e32 v5, 0x700, v24
	v_cmp_lt_u32_e64 s14, v5, v128
	s_and_saveexec_b32 s16, s14
	s_cbranch_execz .LBB1737_69
; %bb.68:
	v_cmp_gt_i16_e64 s15, 0, v4
	v_cndmask_b32_e64 v5, 0x7fff, 0, s15
	v_add_co_u32 v2, s15, 0x800, v2
	v_add_co_ci_u32_e64 v3, null, 0, v3, s15
	v_xor_b32_e32 v4, v5, v4
	flat_store_short v[2:3], v4 offset:1536
.LBB1737_69:
	s_or_b32 exec_lo, exec_lo, s16
	v_lshlrev_b64 v[2:3], 3, v[24:25]
	v_add_co_u32 v0, s15, v6, v0
	v_add_co_ci_u32_e64 v1, null, v7, v1, s15
	v_add_co_u32 v0, s15, v0, v2
	v_add_co_ci_u32_e64 v1, null, v1, v3, s15
	s_and_saveexec_b32 s15, vcc_lo
	s_cbranch_execnz .LBB1737_119
; %bb.70:
	s_or_b32 exec_lo, exec_lo, s15
	s_and_saveexec_b32 s15, s4
	s_cbranch_execnz .LBB1737_120
.LBB1737_71:
	s_or_b32 exec_lo, exec_lo, s15
	s_and_saveexec_b32 s4, s5
	s_cbranch_execnz .LBB1737_121
.LBB1737_72:
	s_or_b32 exec_lo, exec_lo, s4
	s_and_saveexec_b32 s4, s6
	s_cbranch_execnz .LBB1737_122
.LBB1737_73:
	s_or_b32 exec_lo, exec_lo, s4
	s_and_saveexec_b32 s4, s7
	s_cbranch_execnz .LBB1737_123
.LBB1737_74:
	s_or_b32 exec_lo, exec_lo, s4
	s_and_saveexec_b32 s4, s10
	s_cbranch_execnz .LBB1737_124
.LBB1737_75:
	s_or_b32 exec_lo, exec_lo, s4
	s_and_saveexec_b32 s4, s11
	s_cbranch_execnz .LBB1737_125
.LBB1737_76:
	s_or_b32 exec_lo, exec_lo, s4
	s_and_saveexec_b32 s4, s14
	s_cbranch_execz .LBB1737_78
.LBB1737_77:
	v_add_co_u32 v0, vcc_lo, 0x3800, v0
	v_add_co_ci_u32_e64 v1, null, 0, v1, vcc_lo
	flat_store_dwordx2 v[0:1], v[10:11]
.LBB1737_78:
	s_or_b32 exec_lo, exec_lo, s4
                                        ; implicit-def: $vgpr128
                                        ; implicit-def: $vgpr0
                                        ; implicit-def: $vgpr1
                                        ; implicit-def: $vgpr2
                                        ; implicit-def: $vgpr3
                                        ; implicit-def: $vgpr4
                                        ; implicit-def: $vgpr5
                                        ; implicit-def: $vgpr6
                                        ; implicit-def: $vgpr7
                                        ; implicit-def: $vgpr8
                                        ; implicit-def: $vgpr10
                                        ; implicit-def: $vgpr11
                                        ; implicit-def: $vgpr12
                                        ; implicit-def: $vgpr13
                                        ; implicit-def: $vgpr14
                                        ; implicit-def: $vgpr15
                                        ; implicit-def: $vgpr30
                                        ; implicit-def: $vgpr66
.LBB1737_79:
	s_andn2_saveexec_b32 s4, s23
	s_cbranch_execz .LBB1737_199
; %bb.80:
	s_mov_b32 s4, exec_lo
	v_cmpx_lt_u32_e32 0x200, v128
	s_xor_b32 s23, exec_lo, s4
	s_cbranch_execz .LBB1737_140
; %bb.81:
	s_load_dwordx2 s[4:5], s[8:9], 0x0
	v_mov_b32_e32 v9, 0
	v_lshlrev_b64 v[33:34], 1, v[8:9]
	v_add_co_u32 v18, vcc_lo, v0, v33
	v_add_co_ci_u32_e64 v19, null, v1, v34, vcc_lo
	s_waitcnt lgkmcnt(0)
	s_cmp_lt_u32 s13, s5
	s_cselect_b32 s5, 14, 20
	s_add_u32 s6, s8, s5
	s_addc_u32 s7, s9, 0
	s_cmp_lt_u32 s12, s4
	global_load_ushort v16, v9, s[6:7]
	s_cselect_b32 s4, 12, 18
	s_add_u32 s4, s8, s4
	s_addc_u32 s5, s9, 0
	global_load_ushort v17, v9, s[4:5]
	s_waitcnt vmcnt(1)
	v_mad_u32_u24 v14, v15, v16, v14
	v_mov_b32_e32 v15, v9
	v_mov_b32_e32 v16, -1
	s_waitcnt vmcnt(0)
	v_mad_u64_u32 v[31:32], null, v14, v17, v[30:31]
	v_lshlrev_b32_e32 v17, 1, v66
	v_add_co_u32 v17, vcc_lo, v18, v17
	v_lshlrev_b32_e32 v14, 2, v31
	v_add_co_ci_u32_e64 v18, null, 0, v19, vcc_lo
	v_and_b32_e32 v14, 0xffffff80, v14
	v_lshlrev_b64 v[0:1], 1, v[14:15]
	v_or_b32_e32 v20, v14, v66
	v_cmp_lt_u32_e64 s6, v20, v128
	v_add_co_u32 v0, vcc_lo, v17, v0
	v_add_co_ci_u32_e64 v1, null, v18, v1, vcc_lo
	v_mov_b32_e32 v17, -1
	s_and_saveexec_b32 s4, s6
	s_cbranch_execz .LBB1737_83
; %bb.82:
	flat_load_ushort v17, v[0:1]
.LBB1737_83:
	s_or_b32 exec_lo, exec_lo, s4
	v_or_b32_e32 v18, 32, v20
	v_cmp_lt_u32_e64 s4, v18, v128
	s_and_saveexec_b32 s5, s4
	s_cbranch_execz .LBB1737_85
; %bb.84:
	flat_load_ushort v16, v[0:1] offset:64
.LBB1737_85:
	s_or_b32 exec_lo, exec_lo, s5
	v_or_b32_e32 v19, 64, v20
	v_mov_b32_e32 v18, -1
	v_cmp_lt_u32_e64 s5, v19, v128
	v_mov_b32_e32 v19, -1
	s_and_saveexec_b32 s7, s5
	s_cbranch_execz .LBB1737_87
; %bb.86:
	flat_load_ushort v19, v[0:1] offset:128
.LBB1737_87:
	s_or_b32 exec_lo, exec_lo, s7
	v_or_b32_e32 v20, 0x60, v20
	v_cmp_lt_u32_e32 vcc_lo, v20, v128
	s_and_saveexec_b32 s7, vcc_lo
	s_cbranch_execz .LBB1737_89
; %bb.88:
	flat_load_ushort v18, v[0:1] offset:192
.LBB1737_89:
	s_or_b32 exec_lo, exec_lo, s7
	v_lshlrev_b64 v[0:1], 3, v[8:9]
	v_lshlrev_b32_e32 v8, 3, v66
	v_mov_b32_e32 v22, 0
	v_add_co_u32 v9, s7, v4, v0
	v_add_co_ci_u32_e64 v20, null, v5, v1, s7
	v_lshlrev_b64 v[4:5], 3, v[14:15]
	v_add_co_u32 v8, s7, v9, v8
	v_add_co_ci_u32_e64 v9, null, 0, v20, s7
	v_mov_b32_e32 v23, v22
	v_add_co_u32 v4, s7, v8, v4
	v_add_co_ci_u32_e64 v5, null, v9, v5, s7
	v_mov_b32_e32 v24, v22
	v_mov_b32_e32 v25, v22
	;; [unrolled: 1-line block ×6, first 2 shown]
	s_and_saveexec_b32 s7, s6
	s_cbranch_execnz .LBB1737_164
; %bb.90:
	s_or_b32 exec_lo, exec_lo, s7
	s_and_saveexec_b32 s6, s4
	s_cbranch_execnz .LBB1737_165
.LBB1737_91:
	s_or_b32 exec_lo, exec_lo, s6
	s_and_saveexec_b32 s4, s5
	s_cbranch_execnz .LBB1737_166
.LBB1737_92:
	s_or_b32 exec_lo, exec_lo, s4
	s_and_saveexec_b32 s4, vcc_lo
	s_cbranch_execz .LBB1737_94
.LBB1737_93:
	flat_load_dwordx2 v[28:29], v[4:5] offset:768
.LBB1737_94:
	s_or_b32 exec_lo, exec_lo, s4
	s_waitcnt vmcnt(0) lgkmcnt(0)
	v_cmp_gt_i16_e32 vcc_lo, 0, v17
	v_lshl_add_u32 v14, v30, 5, v12
	s_getpc_b64 s[4:5]
	s_add_u32 s4, s4, _ZN7rocprim17ROCPRIM_400000_NS16block_radix_sortI6__halfLj256ELj4ElLj1ELj1ELj8ELNS0_26block_radix_rank_algorithmE2ELNS0_18block_padding_hintE2ELNS0_4arch9wavefront6targetE0EE19radix_bits_per_passE@rel32@lo+4
	s_addc_u32 s5, s5, _ZN7rocprim17ROCPRIM_400000_NS16block_radix_sortI6__halfLj256ELj4ElLj1ELj1ELj8ELNS0_26block_radix_rank_algorithmE2ELNS0_18block_padding_hintE2ELNS0_4arch9wavefront6targetE0EE19radix_bits_per_passE@rel32@hi+12
	v_lshrrev_b32_e32 v70, 5, v31
	s_load_dword s24, s[4:5], 0x0
	v_cndmask_b32_e64 v4, 0x7fff, 0, vcc_lo
	v_cmp_gt_i16_e32 vcc_lo, 0, v16
	v_add_nc_u32_e32 v32, 32, v14
	v_add_nc_u32_e32 v54, 36, v14
	;; [unrolled: 1-line block ×3, first 2 shown]
	v_xor_b32_e32 v9, v4, v17
	v_cndmask_b32_e64 v5, 0x7fff, 0, vcc_lo
	v_cmp_gt_i16_e32 vcc_lo, 0, v19
	v_add_nc_u32_e32 v64, 44, v14
	v_add_nc_u32_e32 v65, 48, v14
	;; [unrolled: 1-line block ×4, first 2 shown]
	v_cndmask_b32_e64 v4, 0x7fff, 0, vcc_lo
	v_cmp_gt_i16_e32 vcc_lo, 0, v18
	v_add_nc_u32_e32 v69, 60, v14
	v_sub_co_u32 v14, s6, v66, 1
	v_xor_b32_e32 v36, v4, v19
	v_and_b32_e32 v4, 0x3e0, v30
	v_cndmask_b32_e64 v8, 0x7fff, 0, vcc_lo
	v_xor_b32_e32 v112, v5, v16
	v_and_b32_e32 v5, 15, v66
	v_cmp_gt_i32_e64 s14, 0, v14
	v_min_u32_e32 v4, 0xe0, v4
	v_xor_b32_e32 v103, v8, v18
	v_and_b32_e32 v8, 16, v66
	v_cmp_eq_u32_e32 vcc_lo, 0, v5
	v_cmp_lt_u32_e64 s4, 1, v5
	v_or_b32_e32 v4, 31, v4
	v_cmp_lt_u32_e64 s5, 3, v5
	v_cmp_eq_u32_e64 s10, 0, v8
	v_lshlrev_b32_e32 v8, 2, v30
	v_cmp_lt_u32_e64 s7, 7, v5
	v_cmp_eq_u32_e64 s11, v30, v4
	v_lshrrev_b32_e32 v4, 3, v30
	v_cndmask_b32_e64 v5, v14, v66, s14
	v_and_or_b32 v14, 0xf80, v8, v66
	v_cmp_gt_u32_e64 s14, 8, v30
	v_cmp_lt_u32_e64 s15, 31, v30
	v_and_b32_e32 v4, 0x7c, v4
	v_lshlrev_b32_e32 v71, 2, v5
	v_cmp_eq_u32_e64 s16, 0, v30
	v_mov_b32_e32 v5, 0
	v_add_nc_u32_e32 v81, v12, v8
	v_add_nc_u32_e32 v80, v12, v4
	v_and_b32_e32 v4, 7, v66
	v_lshl_add_u32 v66, v14, 1, v12
	v_mul_u32_u24_e32 v14, 6, v14
	v_sub_nc_u32_e32 v98, v11, v10
	v_add_nc_u32_e32 v83, -4, v80
	v_cmp_eq_u32_e64 s17, 0, v4
	v_cmp_lt_u32_e64 s18, 1, v4
	v_add_nc_u32_e32 v82, v66, v14
	v_cmp_lt_u32_e64 s19, 3, v4
	v_add_nc_u32_e32 v84, 64, v66
	v_add_nc_u32_e32 v85, 0x80, v66
	;; [unrolled: 1-line block ×6, first 2 shown]
	s_mov_b32 s25, 0
	s_waitcnt lgkmcnt(0)
	s_waitcnt_vscnt null, 0x0
	s_barrier
	buffer_gl0_inv
	s_branch .LBB1737_96
.LBB1737_95:                            ;   in Loop: Header=BB1737_96 Depth=1
	s_or_b32 exec_lo, exec_lo, s21
	s_and_b32 s20, exec_lo, s26
	s_or_b32 s25, s20, s25
	s_andn2_b32 exec_lo, exec_lo, s25
	s_cbranch_execz .LBB1737_126
.LBB1737_96:                            ; =>This Inner Loop Header: Depth=1
	v_mov_b32_e32 v99, v9
	v_min_u32_e32 v4, s24, v98
	v_mov_b32_e32 v14, v22
	v_mov_b32_e32 v15, v23
	;; [unrolled: 1-line block ×3, first 2 shown]
	v_cmp_ne_u16_e64 s20, 0x8000, v99
	v_lshlrev_b32_e64 v4, v4, -1
	v_mov_b32_e32 v17, v25
	v_mov_b32_e32 v18, v26
	;; [unrolled: 1-line block ×3, first 2 shown]
	v_cndmask_b32_e64 v8, 0x7fff, v99, s20
	v_not_b32_e32 v9, v4
	v_mov_b32_e32 v20, v28
	v_mov_b32_e32 v21, v29
	;; [unrolled: 1-line block ×3, first 2 shown]
	v_lshrrev_b32_sdwa v4, v10, v8 dst_sel:DWORD dst_unused:UNUSED_PAD src0_sel:DWORD src1_sel:WORD_0
	v_mov_b32_e32 v102, v36
	v_mov_b32_e32 v101, v103
	ds_write_b32 v32, v5
	ds_write_b32 v54, v5
	;; [unrolled: 1-line block ×4, first 2 shown]
	v_and_b32_e32 v4, v4, v9
	ds_write_b32 v65, v5
	ds_write_b32 v67, v5
	;; [unrolled: 1-line block ×4, first 2 shown]
	s_waitcnt lgkmcnt(0)
	v_and_b32_e32 v8, 1, v4
	v_lshlrev_b32_e32 v22, 30, v4
	v_lshlrev_b32_e32 v23, 29, v4
	;; [unrolled: 1-line block ×4, first 2 shown]
	v_add_co_u32 v8, s20, v8, -1
	v_cndmask_b32_e64 v25, 0, 1, s20
	v_not_b32_e32 v29, v22
	v_cmp_gt_i32_e64 s21, 0, v22
	v_not_b32_e32 v22, v23
	v_lshlrev_b32_e32 v27, 26, v4
	v_cmp_ne_u32_e64 s20, 0, v25
	v_ashrrev_i32_e32 v29, 31, v29
	v_lshlrev_b32_e32 v28, 25, v4
	v_ashrrev_i32_e32 v22, 31, v22
	v_lshlrev_b32_e32 v25, 24, v4
	v_xor_b32_e32 v8, s20, v8
	v_cmp_gt_i32_e64 s20, 0, v23
	v_not_b32_e32 v23, v24
	v_xor_b32_e32 v29, s21, v29
	v_cmp_gt_i32_e64 s21, 0, v24
	v_and_b32_e32 v8, exec_lo, v8
	v_not_b32_e32 v24, v26
	v_ashrrev_i32_e32 v23, 31, v23
	v_xor_b32_e32 v22, s20, v22
	v_cmp_gt_i32_e64 s20, 0, v26
	v_and_b32_e32 v8, v8, v29
	v_not_b32_e32 v26, v27
	v_ashrrev_i32_e32 v24, 31, v24
	v_xor_b32_e32 v23, s21, v23
	v_cmp_gt_i32_e64 s21, 0, v27
	v_and_b32_e32 v8, v8, v22
	;; [unrolled: 5-line block ×4, first 2 shown]
	v_ashrrev_i32_e32 v23, 31, v23
	v_xor_b32_e32 v22, s20, v22
	v_lshlrev_b32_e32 v4, 3, v4
	s_barrier
	v_and_b32_e32 v8, v8, v26
	v_xor_b32_e32 v23, s21, v23
	buffer_gl0_inv
	; wave barrier
	v_and_b32_e32 v8, v8, v22
	v_and_b32_e32 v22, v8, v23
	v_add_lshl_u32 v8, v4, v70, 2
	v_mbcnt_lo_u32_b32 v4, v22, 0
	v_add_co_u32 v8, null, v12, v8
	v_cmp_ne_u32_e64 s21, 0, v22
	v_cmp_eq_u32_e64 s20, 0, v4
	v_add_co_u32 v8, null, v8, 32
	s_and_b32 s21, s21, s20
	s_and_saveexec_b32 s20, s21
; %bb.97:                               ;   in Loop: Header=BB1737_96 Depth=1
	v_bcnt_u32_b32 v22, v22, 0
	ds_write_b32 v8, v22
; %bb.98:                               ;   in Loop: Header=BB1737_96 Depth=1
	s_or_b32 exec_lo, exec_lo, s20
	v_cmp_ne_u16_e64 s20, 0x8000, v100
	; wave barrier
	v_cndmask_b32_e64 v22, 0x7fff, v100, s20
	v_lshrrev_b32_sdwa v22, v10, v22 dst_sel:DWORD dst_unused:UNUSED_PAD src0_sel:DWORD src1_sel:WORD_0
	v_and_b32_e32 v22, v22, v9
	v_and_b32_e32 v23, 1, v22
	v_lshlrev_b32_e32 v24, 30, v22
	v_lshlrev_b32_e32 v25, 29, v22
	;; [unrolled: 1-line block ×4, first 2 shown]
	v_add_co_u32 v23, s20, v23, -1
	v_cndmask_b32_e64 v27, 0, 1, s20
	v_not_b32_e32 v36, v24
	v_cmp_gt_i32_e64 s21, 0, v24
	v_not_b32_e32 v24, v25
	v_lshlrev_b32_e32 v29, 26, v22
	v_cmp_ne_u32_e64 s20, 0, v27
	v_ashrrev_i32_e32 v36, 31, v36
	v_lshlrev_b32_e32 v35, 25, v22
	v_ashrrev_i32_e32 v24, 31, v24
	v_lshlrev_b32_e32 v27, 24, v22
	v_xor_b32_e32 v23, s20, v23
	v_cmp_gt_i32_e64 s20, 0, v25
	v_not_b32_e32 v25, v26
	v_xor_b32_e32 v36, s21, v36
	v_cmp_gt_i32_e64 s21, 0, v26
	v_and_b32_e32 v23, exec_lo, v23
	v_not_b32_e32 v26, v28
	v_ashrrev_i32_e32 v25, 31, v25
	v_xor_b32_e32 v24, s20, v24
	v_cmp_gt_i32_e64 s20, 0, v28
	v_and_b32_e32 v23, v23, v36
	v_not_b32_e32 v28, v29
	v_ashrrev_i32_e32 v26, 31, v26
	v_xor_b32_e32 v25, s21, v25
	v_cmp_gt_i32_e64 s21, 0, v29
	v_and_b32_e32 v23, v23, v24
	;; [unrolled: 5-line block ×3, first 2 shown]
	v_not_b32_e32 v25, v27
	v_ashrrev_i32_e32 v24, 31, v24
	v_xor_b32_e32 v28, s21, v28
	v_lshl_add_u32 v22, v22, 3, v70
	v_and_b32_e32 v23, v23, v26
	v_cmp_gt_i32_e64 s21, 0, v27
	v_ashrrev_i32_e32 v25, 31, v25
	v_xor_b32_e32 v24, s20, v24
	v_lshl_add_u32 v26, v22, 2, v12
	v_and_b32_e32 v23, v23, v28
	v_xor_b32_e32 v25, s21, v25
	ds_read_b32 v22, v26 offset:32
	v_and_b32_e32 v23, v23, v24
	v_add_nc_u32_e32 v24, 32, v26
	; wave barrier
	v_and_b32_e32 v25, v23, v25
	v_mbcnt_lo_u32_b32 v23, v25, 0
	v_cmp_ne_u32_e64 s21, 0, v25
	v_cmp_eq_u32_e64 s20, 0, v23
	s_and_b32 s21, s21, s20
	s_and_saveexec_b32 s20, s21
	s_cbranch_execz .LBB1737_100
; %bb.99:                               ;   in Loop: Header=BB1737_96 Depth=1
	s_waitcnt lgkmcnt(0)
	v_bcnt_u32_b32 v25, v25, v22
	ds_write_b32 v24, v25
.LBB1737_100:                           ;   in Loop: Header=BB1737_96 Depth=1
	s_or_b32 exec_lo, exec_lo, s20
	v_cmp_ne_u16_e64 s20, 0x8000, v102
	; wave barrier
	v_cndmask_b32_e64 v25, 0x7fff, v102, s20
	v_lshrrev_b32_sdwa v25, v10, v25 dst_sel:DWORD dst_unused:UNUSED_PAD src0_sel:DWORD src1_sel:WORD_0
	v_and_b32_e32 v25, v25, v9
	v_and_b32_e32 v26, 1, v25
	v_lshlrev_b32_e32 v27, 30, v25
	v_lshlrev_b32_e32 v28, 29, v25
	;; [unrolled: 1-line block ×4, first 2 shown]
	v_add_co_u32 v26, s20, v26, -1
	v_cndmask_b32_e64 v35, 0, 1, s20
	v_not_b32_e32 v39, v27
	v_cmp_gt_i32_e64 s21, 0, v27
	v_not_b32_e32 v27, v28
	v_lshlrev_b32_e32 v37, 26, v25
	v_cmp_ne_u32_e64 s20, 0, v35
	v_ashrrev_i32_e32 v39, 31, v39
	v_lshlrev_b32_e32 v38, 25, v25
	v_ashrrev_i32_e32 v27, 31, v27
	v_lshlrev_b32_e32 v35, 24, v25
	v_xor_b32_e32 v26, s20, v26
	v_cmp_gt_i32_e64 s20, 0, v28
	v_not_b32_e32 v28, v29
	v_xor_b32_e32 v39, s21, v39
	v_cmp_gt_i32_e64 s21, 0, v29
	v_and_b32_e32 v26, exec_lo, v26
	v_not_b32_e32 v29, v36
	v_ashrrev_i32_e32 v28, 31, v28
	v_xor_b32_e32 v27, s20, v27
	v_cmp_gt_i32_e64 s20, 0, v36
	v_and_b32_e32 v26, v26, v39
	v_not_b32_e32 v36, v37
	v_ashrrev_i32_e32 v29, 31, v29
	v_xor_b32_e32 v28, s21, v28
	v_cmp_gt_i32_e64 s21, 0, v37
	v_and_b32_e32 v26, v26, v27
	;; [unrolled: 5-line block ×3, first 2 shown]
	v_not_b32_e32 v28, v35
	v_ashrrev_i32_e32 v27, 31, v27
	v_xor_b32_e32 v36, s21, v36
	v_lshl_add_u32 v25, v25, 3, v70
	v_and_b32_e32 v26, v26, v29
	v_cmp_gt_i32_e64 s21, 0, v35
	v_ashrrev_i32_e32 v28, 31, v28
	v_xor_b32_e32 v27, s20, v27
	v_lshl_add_u32 v29, v25, 2, v12
	v_and_b32_e32 v26, v26, v36
	v_xor_b32_e32 v28, s21, v28
	ds_read_b32 v25, v29 offset:32
	v_and_b32_e32 v26, v26, v27
	v_add_nc_u32_e32 v27, 32, v29
	; wave barrier
	v_and_b32_e32 v28, v26, v28
	v_mbcnt_lo_u32_b32 v26, v28, 0
	v_cmp_ne_u32_e64 s21, 0, v28
	v_cmp_eq_u32_e64 s20, 0, v26
	s_and_b32 s21, s21, s20
	s_and_saveexec_b32 s20, s21
	s_cbranch_execz .LBB1737_102
; %bb.101:                              ;   in Loop: Header=BB1737_96 Depth=1
	s_waitcnt lgkmcnt(0)
	v_bcnt_u32_b32 v28, v28, v25
	ds_write_b32 v27, v28
.LBB1737_102:                           ;   in Loop: Header=BB1737_96 Depth=1
	s_or_b32 exec_lo, exec_lo, s20
	v_cmp_ne_u16_e64 s20, 0x8000, v101
	; wave barrier
	v_cndmask_b32_e64 v28, 0x7fff, v101, s20
	v_lshrrev_b32_sdwa v28, v10, v28 dst_sel:DWORD dst_unused:UNUSED_PAD src0_sel:DWORD src1_sel:WORD_0
	v_and_b32_e32 v9, v28, v9
	v_and_b32_e32 v28, 1, v9
	v_lshlrev_b32_e32 v29, 30, v9
	v_lshlrev_b32_e32 v35, 29, v9
	;; [unrolled: 1-line block ×4, first 2 shown]
	v_add_co_u32 v28, s20, v28, -1
	v_cndmask_b32_e64 v37, 0, 1, s20
	v_not_b32_e32 v49, v29
	v_cmp_gt_i32_e64 s21, 0, v29
	v_not_b32_e32 v29, v35
	v_lshlrev_b32_e32 v39, 26, v9
	v_cmp_ne_u32_e64 s20, 0, v37
	v_ashrrev_i32_e32 v49, 31, v49
	v_lshlrev_b32_e32 v48, 25, v9
	v_ashrrev_i32_e32 v29, 31, v29
	v_lshlrev_b32_e32 v37, 24, v9
	v_xor_b32_e32 v28, s20, v28
	v_cmp_gt_i32_e64 s20, 0, v35
	v_not_b32_e32 v35, v36
	v_xor_b32_e32 v49, s21, v49
	v_cmp_gt_i32_e64 s21, 0, v36
	v_and_b32_e32 v28, exec_lo, v28
	v_not_b32_e32 v36, v38
	v_ashrrev_i32_e32 v35, 31, v35
	v_xor_b32_e32 v29, s20, v29
	v_cmp_gt_i32_e64 s20, 0, v38
	v_and_b32_e32 v28, v28, v49
	v_not_b32_e32 v38, v39
	v_ashrrev_i32_e32 v36, 31, v36
	v_xor_b32_e32 v35, s21, v35
	v_cmp_gt_i32_e64 s21, 0, v39
	v_and_b32_e32 v28, v28, v29
	;; [unrolled: 5-line block ×3, first 2 shown]
	v_not_b32_e32 v35, v37
	v_ashrrev_i32_e32 v29, 31, v29
	v_xor_b32_e32 v38, s21, v38
	v_lshl_add_u32 v9, v9, 3, v70
	v_and_b32_e32 v28, v28, v36
	v_cmp_gt_i32_e64 s21, 0, v37
	v_ashrrev_i32_e32 v35, 31, v35
	v_xor_b32_e32 v29, s20, v29
	v_lshl_add_u32 v9, v9, 2, v12
	v_and_b32_e32 v28, v28, v38
	v_xor_b32_e32 v35, s21, v35
	v_and_b32_e32 v29, v28, v29
	ds_read_b32 v28, v9 offset:32
	v_add_nc_u32_e32 v9, 32, v9
	; wave barrier
	v_and_b32_e32 v35, v29, v35
	v_mbcnt_lo_u32_b32 v29, v35, 0
	v_cmp_ne_u32_e64 s21, 0, v35
	v_cmp_eq_u32_e64 s20, 0, v29
	s_and_b32 s21, s21, s20
	s_and_saveexec_b32 s20, s21
	s_cbranch_execz .LBB1737_104
; %bb.103:                              ;   in Loop: Header=BB1737_96 Depth=1
	s_waitcnt lgkmcnt(0)
	v_bcnt_u32_b32 v35, v35, v28
	ds_write_b32 v9, v35
.LBB1737_104:                           ;   in Loop: Header=BB1737_96 Depth=1
	s_or_b32 exec_lo, exec_lo, s20
	; wave barrier
	s_waitcnt lgkmcnt(0)
	s_barrier
	buffer_gl0_inv
	ds_read_b32 v36, v32
	ds_read_b32 v37, v54
	;; [unrolled: 1-line block ×8, first 2 shown]
	s_waitcnt lgkmcnt(6)
	v_add_nc_u32_e32 v51, v37, v36
	s_waitcnt lgkmcnt(4)
	v_add3_u32 v51, v51, v38, v39
	s_waitcnt lgkmcnt(2)
	v_add3_u32 v51, v51, v48, v49
	;; [unrolled: 2-line block ×3, first 2 shown]
	v_mov_b32_dpp v51, v50 row_shr:1 row_mask:0xf bank_mask:0xf
	v_cndmask_b32_e64 v51, v51, 0, vcc_lo
	v_add_nc_u32_e32 v50, v51, v50
	v_mov_b32_dpp v51, v50 row_shr:2 row_mask:0xf bank_mask:0xf
	v_cndmask_b32_e64 v51, 0, v51, s4
	v_add_nc_u32_e32 v50, v50, v51
	v_mov_b32_dpp v51, v50 row_shr:4 row_mask:0xf bank_mask:0xf
	v_cndmask_b32_e64 v51, 0, v51, s5
	;; [unrolled: 3-line block ×3, first 2 shown]
	v_add_nc_u32_e32 v50, v50, v51
	ds_swizzle_b32 v51, v50 offset:swizzle(BROADCAST,32,15)
	s_waitcnt lgkmcnt(0)
	v_cndmask_b32_e64 v51, v51, 0, s10
	v_add_nc_u32_e32 v50, v50, v51
	s_and_saveexec_b32 s20, s11
; %bb.105:                              ;   in Loop: Header=BB1737_96 Depth=1
	ds_write_b32 v80, v50
; %bb.106:                              ;   in Loop: Header=BB1737_96 Depth=1
	s_or_b32 exec_lo, exec_lo, s20
	s_waitcnt lgkmcnt(0)
	s_barrier
	buffer_gl0_inv
	s_and_saveexec_b32 s20, s14
	s_cbranch_execz .LBB1737_108
; %bb.107:                              ;   in Loop: Header=BB1737_96 Depth=1
	ds_read_b32 v51, v81
	s_waitcnt lgkmcnt(0)
	v_mov_b32_dpp v52, v51 row_shr:1 row_mask:0xf bank_mask:0xf
	v_cndmask_b32_e64 v52, v52, 0, s17
	v_add_nc_u32_e32 v51, v52, v51
	v_mov_b32_dpp v52, v51 row_shr:2 row_mask:0xf bank_mask:0xf
	v_cndmask_b32_e64 v52, 0, v52, s18
	v_add_nc_u32_e32 v51, v51, v52
	;; [unrolled: 3-line block ×3, first 2 shown]
	ds_write_b32 v81, v51
.LBB1737_108:                           ;   in Loop: Header=BB1737_96 Depth=1
	s_or_b32 exec_lo, exec_lo, s20
	v_mov_b32_e32 v51, 0
	s_waitcnt lgkmcnt(0)
	s_barrier
	buffer_gl0_inv
	s_and_saveexec_b32 s20, s15
; %bb.109:                              ;   in Loop: Header=BB1737_96 Depth=1
	ds_read_b32 v51, v83
; %bb.110:                              ;   in Loop: Header=BB1737_96 Depth=1
	s_or_b32 exec_lo, exec_lo, s20
	s_waitcnt lgkmcnt(0)
	v_add_nc_u32_e32 v50, v51, v50
	v_add_nc_u32_e32 v10, 8, v10
	s_mov_b32 s26, -1
                                        ; implicit-def: $vgpr112
                                        ; implicit-def: $vgpr103
	ds_bpermute_b32 v50, v71, v50
	s_waitcnt lgkmcnt(0)
	v_cndmask_b32_e64 v50, v50, v51, s6
	v_cndmask_b32_e64 v50, v50, 0, s16
	v_add_nc_u32_e32 v36, v50, v36
	v_add_nc_u32_e32 v37, v36, v37
	ds_write_b32 v32, v50
	ds_write_b32 v54, v36
	;; [unrolled: 1-line block ×3, first 2 shown]
	v_mov_b32_e32 v36, v5
	v_add_nc_u32_e32 v38, v37, v38
	v_add_nc_u32_e32 v39, v38, v39
	;; [unrolled: 1-line block ×5, first 2 shown]
	ds_write_b32 v64, v38
	ds_write_b32 v65, v39
	ds_write_b32 v67, v48
	ds_write_b32 v68, v49
	ds_write_b32 v69, v35
	s_waitcnt lgkmcnt(0)
	s_barrier
	buffer_gl0_inv
	ds_read_b32 v8, v8
	ds_read_b32 v24, v24
	;; [unrolled: 1-line block ×4, first 2 shown]
	v_mov_b32_e32 v9, v5
	v_mov_b32_e32 v38, v5
	s_waitcnt lgkmcnt(0)
	v_add_nc_u32_e32 v4, v8, v4
	v_add3_u32 v8, v23, v22, v24
	v_add3_u32 v35, v26, v25, v27
	;; [unrolled: 1-line block ×3, first 2 shown]
	v_lshlrev_b64 v[22:23], 1, v[4:5]
	v_lshlrev_b64 v[24:25], 1, v[8:9]
	;; [unrolled: 1-line block ×4, first 2 shown]
                                        ; implicit-def: $vgpr9
                                        ; implicit-def: $vgpr36
	v_add_co_u32 v52, s21, v12, v22
	v_add_co_ci_u32_e64 v53, null, v13, v23, s21
	v_add_co_u32 v50, s21, v12, v24
	v_add_co_ci_u32_e64 v51, null, v13, v25, s21
	;; [unrolled: 2-line block ×4, first 2 shown]
	s_mov_b32 s21, exec_lo
                                        ; implicit-def: $vgpr22_vgpr23_vgpr24_vgpr25_vgpr26_vgpr27_vgpr28_vgpr29
	v_cmpx_lt_u32_e64 v10, v11
	s_cbranch_execz .LBB1737_95
; %bb.111:                              ;   in Loop: Header=BB1737_96 Depth=1
	v_mad_u64_u32 v[22:23], null, v4, 6, v[52:53]
	v_mad_u64_u32 v[23:24], null, v8, 6, v[50:51]
	;; [unrolled: 1-line block ×4, first 2 shown]
	s_barrier
	buffer_gl0_inv
	ds_write_b16 v52, v99
	ds_write_b16 v50, v100
	;; [unrolled: 1-line block ×4, first 2 shown]
	s_waitcnt lgkmcnt(0)
	s_barrier
	buffer_gl0_inv
	ds_read_u16 v9, v66
	ds_read_u16 v112, v84
	;; [unrolled: 1-line block ×4, first 2 shown]
	s_waitcnt lgkmcnt(0)
	s_barrier
	buffer_gl0_inv
	ds_write_b64 v22, v[14:15]
	ds_write_b64 v23, v[16:17]
	;; [unrolled: 1-line block ×4, first 2 shown]
	s_waitcnt lgkmcnt(0)
	s_barrier
	buffer_gl0_inv
	ds_read_b64 v[22:23], v82
	ds_read_b64 v[24:25], v87
	;; [unrolled: 1-line block ×4, first 2 shown]
	v_add_nc_u32_e32 v98, -8, v98
	s_xor_b32 s26, exec_lo, -1
	s_waitcnt lgkmcnt(0)
	s_barrier
	buffer_gl0_inv
	s_branch .LBB1737_95
.LBB1737_112:
	flat_load_dwordx2 v[33:34], v[4:5]
	s_or_b32 exec_lo, exec_lo, s15
                                        ; implicit-def: $vgpr35_vgpr36
	s_and_saveexec_b32 s15, s4
	s_cbranch_execz .LBB1737_20
.LBB1737_113:
	flat_load_dwordx2 v[35:36], v[4:5] offset:256
	s_or_b32 exec_lo, exec_lo, s15
                                        ; implicit-def: $vgpr37_vgpr38
	s_and_saveexec_b32 s4, s5
	s_cbranch_execz .LBB1737_21
.LBB1737_114:
	flat_load_dwordx2 v[37:38], v[4:5] offset:512
	s_or_b32 exec_lo, exec_lo, s4
                                        ; implicit-def: $vgpr48_vgpr49
	s_and_saveexec_b32 s4, s6
	s_cbranch_execz .LBB1737_22
.LBB1737_115:
	flat_load_dwordx2 v[48:49], v[4:5] offset:768
	s_or_b32 exec_lo, exec_lo, s4
                                        ; implicit-def: $vgpr50_vgpr51
	s_and_saveexec_b32 s4, s7
	s_cbranch_execz .LBB1737_23
.LBB1737_116:
	flat_load_dwordx2 v[50:51], v[4:5] offset:1024
	s_or_b32 exec_lo, exec_lo, s4
                                        ; implicit-def: $vgpr52_vgpr53
	s_and_saveexec_b32 s4, s10
	s_cbranch_execz .LBB1737_24
.LBB1737_117:
	flat_load_dwordx2 v[52:53], v[4:5] offset:1280
	s_or_b32 exec_lo, exec_lo, s4
                                        ; implicit-def: $vgpr54_vgpr55
	s_and_saveexec_b32 s4, s11
	s_cbranch_execz .LBB1737_25
.LBB1737_118:
	flat_load_dwordx2 v[54:55], v[4:5] offset:1536
	s_or_b32 exec_lo, exec_lo, s4
                                        ; implicit-def: $vgpr64_vgpr65
	s_and_saveexec_b32 s4, s14
	s_cbranch_execnz .LBB1737_26
	s_branch .LBB1737_27
.LBB1737_119:
	flat_store_dwordx2 v[0:1], v[20:21]
	s_or_b32 exec_lo, exec_lo, s15
	s_and_saveexec_b32 s15, s4
	s_cbranch_execz .LBB1737_71
.LBB1737_120:
	v_add_co_u32 v2, vcc_lo, 0x800, v0
	v_add_co_ci_u32_e64 v3, null, 0, v1, vcc_lo
	flat_store_dwordx2 v[2:3], v[22:23]
	s_or_b32 exec_lo, exec_lo, s15
	s_and_saveexec_b32 s4, s5
	s_cbranch_execz .LBB1737_72
.LBB1737_121:
	v_add_co_u32 v2, vcc_lo, 0x1000, v0
	v_add_co_ci_u32_e64 v3, null, 0, v1, vcc_lo
	flat_store_dwordx2 v[2:3], v[16:17]
	s_or_b32 exec_lo, exec_lo, s4
	s_and_saveexec_b32 s4, s6
	s_cbranch_execz .LBB1737_73
.LBB1737_122:
	v_add_co_u32 v2, vcc_lo, 0x1800, v0
	v_add_co_ci_u32_e64 v3, null, 0, v1, vcc_lo
	flat_store_dwordx2 v[2:3], v[18:19]
	s_or_b32 exec_lo, exec_lo, s4
	s_and_saveexec_b32 s4, s7
	s_cbranch_execz .LBB1737_74
.LBB1737_123:
	v_add_co_u32 v2, vcc_lo, 0x2000, v0
	v_add_co_ci_u32_e64 v3, null, 0, v1, vcc_lo
	flat_store_dwordx2 v[2:3], v[12:13]
	s_or_b32 exec_lo, exec_lo, s4
	s_and_saveexec_b32 s4, s10
	s_cbranch_execz .LBB1737_75
.LBB1737_124:
	v_add_co_u32 v2, vcc_lo, 0x2800, v0
	v_add_co_ci_u32_e64 v3, null, 0, v1, vcc_lo
	flat_store_dwordx2 v[2:3], v[14:15]
	s_or_b32 exec_lo, exec_lo, s4
	s_and_saveexec_b32 s4, s11
	s_cbranch_execz .LBB1737_76
.LBB1737_125:
	v_add_co_u32 v2, vcc_lo, 0x3000, v0
	v_add_co_ci_u32_e64 v3, null, 0, v1, vcc_lo
	flat_store_dwordx2 v[2:3], v[8:9]
	s_or_b32 exec_lo, exec_lo, s4
	s_and_saveexec_b32 s4, s14
	s_cbranch_execnz .LBB1737_77
	s_branch .LBB1737_78
.LBB1737_126:
	s_or_b32 exec_lo, exec_lo, s25
	v_mad_u64_u32 v[9:10], null, v4, 6, v[52:53]
	v_lshl_add_u32 v25, v30, 1, v12
	v_mad_u64_u32 v[10:11], null, v8, 6, v[50:51]
	v_mul_u32_u24_e32 v4, 6, v30
	v_mad_u64_u32 v[11:12], null, v35, 6, v[48:49]
	v_mad_u64_u32 v[12:13], null, v37, 6, v[38:39]
	v_add_nc_u32_e32 v4, v25, v4
	s_barrier
	buffer_gl0_inv
	ds_write_b16 v52, v99
	ds_write_b16 v50, v100
	;; [unrolled: 1-line block ×4, first 2 shown]
	s_waitcnt lgkmcnt(0)
	s_barrier
	buffer_gl0_inv
	ds_read_u16 v24, v25
	ds_read_u16 v23, v25 offset:512
	ds_read_u16 v22, v25 offset:1024
	;; [unrolled: 1-line block ×3, first 2 shown]
	s_waitcnt lgkmcnt(0)
	s_barrier
	buffer_gl0_inv
	ds_write_b64 v9, v[14:15]
	ds_write_b64 v10, v[16:17]
	;; [unrolled: 1-line block ×4, first 2 shown]
	s_waitcnt lgkmcnt(0)
	s_barrier
	buffer_gl0_inv
	ds_read2st64_b64 v[12:15], v4 offset1:4
	ds_read2st64_b64 v[8:11], v4 offset0:8 offset1:12
	v_mov_b32_e32 v32, 0
	v_add_co_u32 v2, vcc_lo, v2, v33
	v_add_co_ci_u32_e64 v3, null, v3, v34, vcc_lo
	v_lshlrev_b64 v[16:17], 1, v[31:32]
	s_waitcnt lgkmcnt(0)
	s_barrier
	buffer_gl0_inv
	v_add_co_u32 v2, vcc_lo, v2, v16
	v_add_co_ci_u32_e64 v3, null, v3, v17, vcc_lo
	v_cmp_lt_u32_e32 vcc_lo, v31, v128
	s_and_saveexec_b32 s5, vcc_lo
	s_cbranch_execz .LBB1737_128
; %bb.127:
	v_cmp_gt_i16_e64 s4, 0, v24
	v_cndmask_b32_e64 v4, 0x7fff, 0, s4
	v_xor_b32_e32 v4, v4, v24
	flat_store_short v[2:3], v4
.LBB1737_128:
	s_or_b32 exec_lo, exec_lo, s5
	v_add_nc_u32_e32 v4, 0x100, v31
	v_cmp_lt_u32_e64 s4, v4, v128
	s_and_saveexec_b32 s6, s4
	s_cbranch_execz .LBB1737_130
; %bb.129:
	v_cmp_gt_i16_e64 s5, 0, v23
	v_cndmask_b32_e64 v4, 0x7fff, 0, s5
	v_xor_b32_e32 v4, v4, v23
	flat_store_short v[2:3], v4 offset:512
.LBB1737_130:
	s_or_b32 exec_lo, exec_lo, s6
	v_add_nc_u32_e32 v4, 0x200, v31
	v_cmp_lt_u32_e64 s5, v4, v128
	s_and_saveexec_b32 s7, s5
	s_cbranch_execz .LBB1737_132
; %bb.131:
	v_cmp_gt_i16_e64 s6, 0, v22
	v_cndmask_b32_e64 v4, 0x7fff, 0, s6
	v_xor_b32_e32 v4, v4, v22
	flat_store_short v[2:3], v4 offset:1024
.LBB1737_132:
	;; [unrolled: 11-line block ×3, first 2 shown]
	s_or_b32 exec_lo, exec_lo, s10
	v_lshlrev_b64 v[2:3], 3, v[31:32]
	v_add_co_u32 v0, s7, v6, v0
	v_add_co_ci_u32_e64 v1, null, v7, v1, s7
	v_add_co_u32 v0, s7, v0, v2
	v_add_co_ci_u32_e64 v1, null, v1, v3, s7
	s_and_saveexec_b32 s7, vcc_lo
	s_cbranch_execnz .LBB1737_167
; %bb.135:
	s_or_b32 exec_lo, exec_lo, s7
	s_and_saveexec_b32 s7, s4
	s_cbranch_execnz .LBB1737_168
.LBB1737_136:
	s_or_b32 exec_lo, exec_lo, s7
	s_and_saveexec_b32 s4, s5
	s_cbranch_execnz .LBB1737_169
.LBB1737_137:
	s_or_b32 exec_lo, exec_lo, s4
	s_and_saveexec_b32 s4, s6
	s_cbranch_execz .LBB1737_139
.LBB1737_138:
	v_add_co_u32 v0, vcc_lo, 0x1800, v0
	v_add_co_ci_u32_e64 v1, null, 0, v1, vcc_lo
	flat_store_dwordx2 v[0:1], v[10:11]
.LBB1737_139:
	s_or_b32 exec_lo, exec_lo, s4
                                        ; implicit-def: $vgpr128
                                        ; implicit-def: $vgpr0
                                        ; implicit-def: $vgpr1
                                        ; implicit-def: $vgpr2
                                        ; implicit-def: $vgpr3
                                        ; implicit-def: $vgpr4
                                        ; implicit-def: $vgpr5
                                        ; implicit-def: $vgpr6
                                        ; implicit-def: $vgpr7
                                        ; implicit-def: $vgpr8
                                        ; implicit-def: $vgpr10
                                        ; implicit-def: $vgpr11
                                        ; implicit-def: $vgpr12
                                        ; implicit-def: $vgpr13
                                        ; implicit-def: $vgpr14
                                        ; implicit-def: $vgpr15
                                        ; implicit-def: $vgpr30
                                        ; implicit-def: $vgpr66
.LBB1737_140:
	s_andn2_saveexec_b32 s4, s23
	s_cbranch_execz .LBB1737_199
; %bb.141:
	s_load_dwordx2 s[4:5], s[8:9], 0x0
	v_mov_b32_e32 v9, 0
	s_waitcnt lgkmcnt(0)
	s_cmp_lt_u32 s13, s5
	s_cselect_b32 s5, 14, 20
	s_add_u32 s6, s8, s5
	s_addc_u32 s7, s9, 0
	s_cmp_lt_u32 s12, s4
	global_load_ushort v16, v9, s[6:7]
	s_cselect_b32 s4, 12, 18
	s_add_u32 s4, s8, s4
	s_addc_u32 s5, s9, 0
	global_load_ushort v17, v9, s[4:5]
	s_mov_b32 s4, exec_lo
	s_waitcnt vmcnt(1)
	v_mad_u32_u24 v14, v15, v16, v14
	s_waitcnt vmcnt(0)
	v_mad_u64_u32 v[14:15], null, v14, v17, v[30:31]
	v_lshlrev_b64 v[16:17], 1, v[8:9]
	v_cmpx_lt_u32_e32 0x100, v128
	s_xor_b32 s18, exec_lo, s4
	s_cbranch_execz .LBB1737_179
; %bb.142:
	v_lshlrev_b32_e32 v15, 1, v14
	v_mov_b32_e32 v19, v9
	v_lshlrev_b32_e32 v20, 1, v66
	v_mov_b32_e32 v24, -1
	v_and_b32_e32 v18, 0xffffffc0, v15
	v_add_co_u32 v15, vcc_lo, v0, v16
	v_add_co_ci_u32_e64 v21, null, v1, v17, vcc_lo
	v_lshlrev_b64 v[0:1], 1, v[18:19]
	v_add_co_u32 v15, vcc_lo, v15, v20
	v_add_co_ci_u32_e64 v21, null, 0, v21, vcc_lo
	v_or_b32_e32 v20, v66, v18
	v_add_co_u32 v0, vcc_lo, v15, v0
	v_add_co_ci_u32_e64 v1, null, v21, v1, vcc_lo
	v_cmp_lt_u32_e32 vcc_lo, v20, v128
	v_mov_b32_e32 v15, -1
	s_and_saveexec_b32 s4, vcc_lo
	s_cbranch_execz .LBB1737_144
; %bb.143:
	flat_load_ushort v24, v[0:1]
.LBB1737_144:
	s_or_b32 exec_lo, exec_lo, s4
	v_or_b32_e32 v20, 32, v20
	v_cmp_lt_u32_e64 s4, v20, v128
	s_and_saveexec_b32 s5, s4
	s_cbranch_execz .LBB1737_146
; %bb.145:
	flat_load_ushort v15, v[0:1] offset:64
.LBB1737_146:
	s_or_b32 exec_lo, exec_lo, s5
	v_lshlrev_b64 v[0:1], 3, v[8:9]
	v_lshlrev_b32_e32 v20, 3, v66
	v_lshlrev_b64 v[8:9], 3, v[18:19]
	v_mov_b32_e32 v22, 0
	v_mov_b32_e32 v23, 0
	v_add_co_u32 v4, s5, v4, v0
	v_add_co_ci_u32_e64 v5, null, v5, v1, s5
	v_add_co_u32 v4, s5, v4, v20
	v_add_co_ci_u32_e64 v5, null, 0, v5, s5
	v_mov_b32_e32 v20, 0
	v_add_co_u32 v4, s5, v4, v8
	v_mov_b32_e32 v21, 0
	v_add_co_ci_u32_e64 v5, null, v5, v9, s5
	s_and_saveexec_b32 s5, vcc_lo
	s_cbranch_execz .LBB1737_148
; %bb.147:
	flat_load_dwordx2 v[20:21], v[4:5]
.LBB1737_148:
	s_or_b32 exec_lo, exec_lo, s5
	s_and_saveexec_b32 s5, s4
	s_cbranch_execz .LBB1737_150
; %bb.149:
	flat_load_dwordx2 v[22:23], v[4:5] offset:256
.LBB1737_150:
	s_or_b32 exec_lo, exec_lo, s5
	s_waitcnt vmcnt(0) lgkmcnt(0)
	v_cmp_gt_i16_e32 vcc_lo, 0, v24
	v_lshl_add_u32 v8, v30, 5, v12
	v_sub_co_u32 v9, s6, v66, 1
	s_getpc_b64 s[4:5]
	s_add_u32 s4, s4, _ZN7rocprim17ROCPRIM_400000_NS16block_radix_sortI6__halfLj256ELj2ElLj1ELj1ELj8ELNS0_26block_radix_rank_algorithmE2ELNS0_18block_padding_hintE2ELNS0_4arch9wavefront6targetE0EE19radix_bits_per_passE@rel32@lo+4
	s_addc_u32 s5, s5, _ZN7rocprim17ROCPRIM_400000_NS16block_radix_sortI6__halfLj256ELj2ElLj1ELj1ELj8ELNS0_26block_radix_rank_algorithmE2ELNS0_18block_padding_hintE2ELNS0_4arch9wavefront6targetE0EE19radix_bits_per_passE@rel32@hi+12
	v_cndmask_b32_e64 v4, 0x7fff, 0, vcc_lo
	v_cmp_gt_i16_e32 vcc_lo, 0, v15
	v_add_nc_u32_e32 v29, 36, v8
	v_add_nc_u32_e32 v31, 40, v8
	v_add_nc_u32_e32 v32, 44, v8
	v_xor_b32_e32 v67, v4, v24
	v_and_b32_e32 v4, 0x3e0, v30
	v_cndmask_b32_e64 v5, 0x7fff, 0, vcc_lo
	v_add_nc_u32_e32 v33, 48, v8
	v_add_nc_u32_e32 v34, 52, v8
	;; [unrolled: 1-line block ×3, first 2 shown]
	v_min_u32_e32 v4, 0xe0, v4
	v_xor_b32_e32 v65, v5, v15
	v_add_nc_u32_e32 v15, 32, v8
	v_and_b32_e32 v5, 15, v66
	v_add_nc_u32_e32 v36, 60, v8
	v_or_b32_e32 v4, 31, v4
	v_and_b32_e32 v8, 16, v66
	v_cmp_gt_i32_e64 s10, 0, v9
	s_load_dword s19, s[4:5], 0x0
	v_cmp_eq_u32_e32 vcc_lo, 0, v5
	v_cmp_eq_u32_e64 s9, v30, v4
	v_lshlrev_b32_e32 v4, 1, v30
	v_cmp_lt_u32_e64 s4, 1, v5
	v_cmp_lt_u32_e64 s5, 3, v5
	;; [unrolled: 1-line block ×3, first 2 shown]
	v_cmp_eq_u32_e64 s8, 0, v8
	v_cndmask_b32_e64 v5, v9, v66, s10
	v_lshrrev_b32_e32 v8, 3, v30
	v_and_or_b32 v4, 0x7c0, v4, v66
	v_lshrrev_b32_e32 v37, 5, v14
	v_cmp_gt_u32_e64 s10, 8, v30
	v_lshlrev_b32_e32 v38, 2, v5
	v_and_b32_e32 v5, 0x7c, v8
	v_lshl_add_u32 v39, v4, 1, v12
	v_mul_u32_u24_e32 v4, 6, v4
	v_and_b32_e32 v8, 7, v66
	v_cmp_lt_u32_e64 s11, 31, v30
	v_add_nc_u32_e32 v48, v12, v5
	v_cmp_eq_u32_e64 s12, 0, v30
	v_add_nc_u32_e32 v50, v39, v4
	v_mov_b32_e32 v5, 0
	v_lshl_add_u32 v49, v30, 2, v12
	v_cmp_eq_u32_e64 s13, 0, v8
	v_cmp_lt_u32_e64 s14, 1, v8
	v_cmp_lt_u32_e64 s15, 3, v8
	v_add_nc_u32_e32 v51, -4, v48
	v_add_nc_u32_e32 v52, 64, v39
	v_add_nc_u32_e32 v53, 0x100, v50
	v_sub_nc_u32_e32 v54, v11, v10
	s_mov_b32 s20, 0
	s_waitcnt lgkmcnt(0)
	s_waitcnt_vscnt null, 0x0
	s_barrier
	buffer_gl0_inv
	s_branch .LBB1737_152
.LBB1737_151:                           ;   in Loop: Header=BB1737_152 Depth=1
	s_or_b32 exec_lo, exec_lo, s17
	s_and_b32 s16, exec_lo, s21
	s_or_b32 s20, s16, s20
	s_andn2_b32 exec_lo, exec_lo, s20
	s_cbranch_execz .LBB1737_170
.LBB1737_152:                           ; =>This Inner Loop Header: Depth=1
	v_mov_b32_e32 v55, v67
	v_min_u32_e32 v4, s19, v54
	ds_write_b32 v15, v5
	ds_write_b32 v29, v5
	;; [unrolled: 1-line block ×5, first 2 shown]
	v_cmp_ne_u16_e64 s16, 0x8000, v55
	v_lshlrev_b32_e64 v4, v4, -1
	ds_write_b32 v34, v5
	ds_write_b32 v35, v5
	;; [unrolled: 1-line block ×3, first 2 shown]
	s_waitcnt lgkmcnt(0)
	v_cndmask_b32_e64 v8, 0x7fff, v55, s16
	v_not_b32_e32 v24, v4
	s_barrier
	buffer_gl0_inv
	v_lshrrev_b32_sdwa v4, v10, v8 dst_sel:DWORD dst_unused:UNUSED_PAD src0_sel:DWORD src1_sel:WORD_0
	v_mov_b32_e32 v8, v22
	v_mov_b32_e32 v9, v23
	; wave barrier
	v_and_b32_e32 v4, v4, v24
	v_and_b32_e32 v18, 1, v4
	v_lshlrev_b32_e32 v19, 30, v4
	v_lshlrev_b32_e32 v22, 29, v4
	;; [unrolled: 1-line block ×4, first 2 shown]
	v_add_co_u32 v18, s16, v18, -1
	v_cndmask_b32_e64 v25, 0, 1, s16
	v_not_b32_e32 v64, v19
	v_cmp_gt_i32_e64 s17, 0, v19
	v_not_b32_e32 v19, v22
	v_lshlrev_b32_e32 v27, 26, v4
	v_cmp_ne_u32_e64 s16, 0, v25
	v_ashrrev_i32_e32 v64, 31, v64
	v_lshlrev_b32_e32 v28, 25, v4
	v_ashrrev_i32_e32 v19, 31, v19
	v_lshlrev_b32_e32 v25, 24, v4
	v_xor_b32_e32 v18, s16, v18
	v_cmp_gt_i32_e64 s16, 0, v22
	v_not_b32_e32 v22, v23
	v_xor_b32_e32 v64, s17, v64
	v_cmp_gt_i32_e64 s17, 0, v23
	v_and_b32_e32 v18, exec_lo, v18
	v_not_b32_e32 v23, v26
	v_ashrrev_i32_e32 v22, 31, v22
	v_xor_b32_e32 v19, s16, v19
	v_cmp_gt_i32_e64 s16, 0, v26
	v_and_b32_e32 v18, v18, v64
	v_not_b32_e32 v26, v27
	v_ashrrev_i32_e32 v23, 31, v23
	v_xor_b32_e32 v22, s17, v22
	v_cmp_gt_i32_e64 s17, 0, v27
	v_and_b32_e32 v18, v18, v19
	v_not_b32_e32 v19, v28
	v_ashrrev_i32_e32 v26, 31, v26
	v_xor_b32_e32 v23, s16, v23
	v_cmp_gt_i32_e64 s16, 0, v28
	v_and_b32_e32 v18, v18, v22
	v_not_b32_e32 v22, v25
	v_ashrrev_i32_e32 v27, 31, v19
	v_xor_b32_e32 v26, s17, v26
	v_cmp_gt_i32_e64 s17, 0, v25
	v_and_b32_e32 v23, v18, v23
	v_mov_b32_e32 v18, v20
	v_mov_b32_e32 v19, v21
	v_ashrrev_i32_e32 v20, 31, v22
	v_xor_b32_e32 v21, s16, v27
	v_and_b32_e32 v22, v23, v26
	v_lshlrev_b32_e32 v4, 3, v4
	v_mov_b32_e32 v64, v65
	v_xor_b32_e32 v20, s17, v20
	v_and_b32_e32 v21, v22, v21
	v_and_b32_e32 v21, v21, v20
	v_add_lshl_u32 v20, v4, v37, 2
	v_mbcnt_lo_u32_b32 v4, v21, 0
	v_add_co_u32 v20, null, v12, v20
	v_cmp_ne_u32_e64 s17, 0, v21
	v_cmp_eq_u32_e64 s16, 0, v4
	v_add_co_u32 v20, null, v20, 32
	s_and_b32 s17, s17, s16
	s_and_saveexec_b32 s16, s17
; %bb.153:                              ;   in Loop: Header=BB1737_152 Depth=1
	v_bcnt_u32_b32 v21, v21, 0
	ds_write_b32 v20, v21
; %bb.154:                              ;   in Loop: Header=BB1737_152 Depth=1
	s_or_b32 exec_lo, exec_lo, s16
	v_cmp_ne_u16_e64 s16, 0x8000, v64
	; wave barrier
	v_cndmask_b32_e64 v21, 0x7fff, v64, s16
	v_lshrrev_b32_sdwa v21, v10, v21 dst_sel:DWORD dst_unused:UNUSED_PAD src0_sel:DWORD src1_sel:WORD_0
	v_and_b32_e32 v21, v21, v24
	v_and_b32_e32 v22, 1, v21
	v_lshlrev_b32_e32 v23, 30, v21
	v_lshlrev_b32_e32 v24, 29, v21
	;; [unrolled: 1-line block ×4, first 2 shown]
	v_add_co_u32 v22, s16, v22, -1
	v_cndmask_b32_e64 v26, 0, 1, s16
	v_not_b32_e32 v66, v23
	v_cmp_gt_i32_e64 s17, 0, v23
	v_not_b32_e32 v23, v24
	v_lshlrev_b32_e32 v28, 26, v21
	v_cmp_ne_u32_e64 s16, 0, v26
	v_ashrrev_i32_e32 v66, 31, v66
	v_lshlrev_b32_e32 v65, 25, v21
	v_ashrrev_i32_e32 v23, 31, v23
	v_lshlrev_b32_e32 v26, 24, v21
	v_xor_b32_e32 v22, s16, v22
	v_cmp_gt_i32_e64 s16, 0, v24
	v_not_b32_e32 v24, v25
	v_xor_b32_e32 v66, s17, v66
	v_cmp_gt_i32_e64 s17, 0, v25
	v_and_b32_e32 v22, exec_lo, v22
	v_not_b32_e32 v25, v27
	v_ashrrev_i32_e32 v24, 31, v24
	v_xor_b32_e32 v23, s16, v23
	v_cmp_gt_i32_e64 s16, 0, v27
	v_and_b32_e32 v22, v22, v66
	v_not_b32_e32 v27, v28
	v_ashrrev_i32_e32 v25, 31, v25
	v_xor_b32_e32 v24, s17, v24
	v_cmp_gt_i32_e64 s17, 0, v28
	v_and_b32_e32 v22, v22, v23
	;; [unrolled: 5-line block ×3, first 2 shown]
	v_not_b32_e32 v24, v26
	v_ashrrev_i32_e32 v23, 31, v23
	v_xor_b32_e32 v27, s17, v27
	v_lshl_add_u32 v21, v21, 3, v37
	v_and_b32_e32 v22, v22, v25
	v_cmp_gt_i32_e64 s17, 0, v26
	v_ashrrev_i32_e32 v24, 31, v24
	v_xor_b32_e32 v23, s16, v23
	v_lshl_add_u32 v25, v21, 2, v12
	v_and_b32_e32 v22, v22, v27
	v_xor_b32_e32 v24, s17, v24
	ds_read_b32 v21, v25 offset:32
	v_and_b32_e32 v22, v22, v23
	v_add_nc_u32_e32 v23, 32, v25
	; wave barrier
	v_and_b32_e32 v24, v22, v24
	v_mbcnt_lo_u32_b32 v22, v24, 0
	v_cmp_ne_u32_e64 s17, 0, v24
	v_cmp_eq_u32_e64 s16, 0, v22
	s_and_b32 s17, s17, s16
	s_and_saveexec_b32 s16, s17
	s_cbranch_execz .LBB1737_156
; %bb.155:                              ;   in Loop: Header=BB1737_152 Depth=1
	s_waitcnt lgkmcnt(0)
	v_bcnt_u32_b32 v24, v24, v21
	ds_write_b32 v23, v24
.LBB1737_156:                           ;   in Loop: Header=BB1737_152 Depth=1
	s_or_b32 exec_lo, exec_lo, s16
	; wave barrier
	s_waitcnt lgkmcnt(0)
	s_barrier
	buffer_gl0_inv
	ds_read_b32 v25, v15
	ds_read_b32 v26, v29
	;; [unrolled: 1-line block ×8, first 2 shown]
	s_waitcnt lgkmcnt(6)
	v_add_nc_u32_e32 v68, v26, v25
	s_waitcnt lgkmcnt(4)
	v_add3_u32 v68, v68, v27, v28
	s_waitcnt lgkmcnt(2)
	v_add3_u32 v68, v68, v65, v66
	s_waitcnt lgkmcnt(0)
	v_add3_u32 v67, v68, v24, v67
	v_mov_b32_dpp v68, v67 row_shr:1 row_mask:0xf bank_mask:0xf
	v_cndmask_b32_e64 v68, v68, 0, vcc_lo
	v_add_nc_u32_e32 v67, v68, v67
	v_mov_b32_dpp v68, v67 row_shr:2 row_mask:0xf bank_mask:0xf
	v_cndmask_b32_e64 v68, 0, v68, s4
	v_add_nc_u32_e32 v67, v67, v68
	v_mov_b32_dpp v68, v67 row_shr:4 row_mask:0xf bank_mask:0xf
	v_cndmask_b32_e64 v68, 0, v68, s5
	v_add_nc_u32_e32 v67, v67, v68
	v_mov_b32_dpp v68, v67 row_shr:8 row_mask:0xf bank_mask:0xf
	v_cndmask_b32_e64 v68, 0, v68, s7
	v_add_nc_u32_e32 v67, v67, v68
	ds_swizzle_b32 v68, v67 offset:swizzle(BROADCAST,32,15)
	s_waitcnt lgkmcnt(0)
	v_cndmask_b32_e64 v68, v68, 0, s8
	v_add_nc_u32_e32 v67, v67, v68
	s_and_saveexec_b32 s16, s9
; %bb.157:                              ;   in Loop: Header=BB1737_152 Depth=1
	ds_write_b32 v48, v67
; %bb.158:                              ;   in Loop: Header=BB1737_152 Depth=1
	s_or_b32 exec_lo, exec_lo, s16
	s_waitcnt lgkmcnt(0)
	s_barrier
	buffer_gl0_inv
	s_and_saveexec_b32 s16, s10
	s_cbranch_execz .LBB1737_160
; %bb.159:                              ;   in Loop: Header=BB1737_152 Depth=1
	ds_read_b32 v68, v49
	s_waitcnt lgkmcnt(0)
	v_mov_b32_dpp v69, v68 row_shr:1 row_mask:0xf bank_mask:0xf
	v_cndmask_b32_e64 v69, v69, 0, s13
	v_add_nc_u32_e32 v68, v69, v68
	v_mov_b32_dpp v69, v68 row_shr:2 row_mask:0xf bank_mask:0xf
	v_cndmask_b32_e64 v69, 0, v69, s14
	v_add_nc_u32_e32 v68, v68, v69
	;; [unrolled: 3-line block ×3, first 2 shown]
	ds_write_b32 v49, v68
.LBB1737_160:                           ;   in Loop: Header=BB1737_152 Depth=1
	s_or_b32 exec_lo, exec_lo, s16
	v_mov_b32_e32 v68, 0
	s_waitcnt lgkmcnt(0)
	s_barrier
	buffer_gl0_inv
	s_and_saveexec_b32 s16, s11
; %bb.161:                              ;   in Loop: Header=BB1737_152 Depth=1
	ds_read_b32 v68, v51
; %bb.162:                              ;   in Loop: Header=BB1737_152 Depth=1
	s_or_b32 exec_lo, exec_lo, s16
	s_waitcnt lgkmcnt(0)
	v_add_nc_u32_e32 v67, v68, v67
	v_add_nc_u32_e32 v10, 8, v10
	s_mov_b32 s21, -1
	ds_bpermute_b32 v67, v38, v67
	s_waitcnt lgkmcnt(0)
	v_cndmask_b32_e64 v67, v67, v68, s6
	v_cndmask_b32_e64 v67, v67, 0, s12
	v_add_nc_u32_e32 v25, v67, v25
	v_add_nc_u32_e32 v26, v25, v26
	ds_write_b32 v15, v67
	ds_write_b32 v29, v25
	;; [unrolled: 1-line block ×3, first 2 shown]
	v_mov_b32_e32 v25, v5
	v_add_nc_u32_e32 v27, v26, v27
                                        ; implicit-def: $vgpr67
	v_add_nc_u32_e32 v28, v27, v28
	v_add_nc_u32_e32 v65, v28, v65
	;; [unrolled: 1-line block ×4, first 2 shown]
	ds_write_b32 v32, v27
	ds_write_b32 v33, v28
	;; [unrolled: 1-line block ×5, first 2 shown]
	s_waitcnt lgkmcnt(0)
	s_barrier
	buffer_gl0_inv
	ds_read_b32 v20, v20
	ds_read_b32 v23, v23
	s_waitcnt lgkmcnt(0)
                                        ; implicit-def: $vgpr65
	v_add_nc_u32_e32 v4, v20, v4
	v_add3_u32 v24, v22, v21, v23
	v_lshlrev_b64 v[20:21], 1, v[4:5]
	v_lshlrev_b64 v[22:23], 1, v[24:25]
	v_add_co_u32 v25, s17, v12, v20
	v_add_co_ci_u32_e64 v26, null, v13, v21, s17
	v_add_co_u32 v27, s17, v12, v22
	v_add_co_ci_u32_e64 v28, null, v13, v23, s17
	s_mov_b32 s17, exec_lo
                                        ; implicit-def: $vgpr22_vgpr23
                                        ; implicit-def: $vgpr20_vgpr21
	v_cmpx_lt_u32_e64 v10, v11
	s_cbranch_execz .LBB1737_151
; %bb.163:                              ;   in Loop: Header=BB1737_152 Depth=1
	v_mad_u64_u32 v[20:21], null, v4, 6, v[25:26]
	v_mad_u64_u32 v[21:22], null, v24, 6, v[27:28]
	s_barrier
	buffer_gl0_inv
	ds_write_b16 v25, v55
	ds_write_b16 v27, v64
	s_waitcnt lgkmcnt(0)
	s_barrier
	buffer_gl0_inv
	ds_read_u16 v67, v39
	ds_read_u16 v65, v52
	s_waitcnt lgkmcnt(0)
	s_barrier
	buffer_gl0_inv
	ds_write_b64 v20, v[18:19]
	ds_write_b64 v21, v[8:9]
	s_waitcnt lgkmcnt(0)
	s_barrier
	buffer_gl0_inv
	ds_read_b64 v[20:21], v50
	ds_read_b64 v[22:23], v53
	v_add_nc_u32_e32 v54, -8, v54
	s_xor_b32 s21, exec_lo, -1
	s_waitcnt lgkmcnt(0)
	s_barrier
	buffer_gl0_inv
	s_branch .LBB1737_151
.LBB1737_164:
	flat_load_dwordx2 v[48:49], v[4:5]
	v_mov_b32_e32 v50, v22
	v_mov_b32_e32 v51, v22
	;; [unrolled: 1-line block ×6, first 2 shown]
	s_waitcnt vmcnt(0) lgkmcnt(0)
	v_mov_b32_e32 v22, v48
	v_mov_b32_e32 v23, v49
	;; [unrolled: 1-line block ×8, first 2 shown]
	s_or_b32 exec_lo, exec_lo, s7
	s_and_saveexec_b32 s6, s4
	s_cbranch_execz .LBB1737_91
.LBB1737_165:
	flat_load_dwordx2 v[24:25], v[4:5] offset:256
	s_or_b32 exec_lo, exec_lo, s6
	s_and_saveexec_b32 s4, s5
	s_cbranch_execz .LBB1737_92
.LBB1737_166:
	flat_load_dwordx2 v[26:27], v[4:5] offset:512
	s_or_b32 exec_lo, exec_lo, s4
	s_and_saveexec_b32 s4, vcc_lo
	s_cbranch_execnz .LBB1737_93
	s_branch .LBB1737_94
.LBB1737_167:
	flat_store_dwordx2 v[0:1], v[12:13]
	s_or_b32 exec_lo, exec_lo, s7
	s_and_saveexec_b32 s7, s4
	s_cbranch_execz .LBB1737_136
.LBB1737_168:
	v_add_co_u32 v2, vcc_lo, 0x800, v0
	v_add_co_ci_u32_e64 v3, null, 0, v1, vcc_lo
	flat_store_dwordx2 v[2:3], v[14:15]
	s_or_b32 exec_lo, exec_lo, s7
	s_and_saveexec_b32 s4, s5
	s_cbranch_execz .LBB1737_137
.LBB1737_169:
	v_add_co_u32 v2, vcc_lo, 0x1000, v0
	v_add_co_ci_u32_e64 v3, null, 0, v1, vcc_lo
	flat_store_dwordx2 v[2:3], v[8:9]
	s_or_b32 exec_lo, exec_lo, s4
	s_and_saveexec_b32 s4, s6
	s_cbranch_execnz .LBB1737_138
	s_branch .LBB1737_139
.LBB1737_170:
	s_or_b32 exec_lo, exec_lo, s20
	v_mad_u64_u32 v[10:11], null, v4, 6, v[25:26]
	v_lshl_add_u32 v13, v30, 1, v12
	v_mad_u64_u32 v[11:12], null, v24, 6, v[27:28]
	v_mul_u32_u24_e32 v12, 6, v30
	s_barrier
	buffer_gl0_inv
	ds_write_b16 v25, v55
	ds_write_b16 v27, v64
	s_waitcnt lgkmcnt(0)
	s_barrier
	buffer_gl0_inv
	ds_read_u16 v5, v13
	ds_read_u16 v4, v13 offset:512
	s_waitcnt lgkmcnt(0)
	s_barrier
	buffer_gl0_inv
	ds_write_b64 v10, v[18:19]
	v_add_nc_u32_e32 v10, v13, v12
	ds_write_b64 v11, v[8:9]
	s_waitcnt lgkmcnt(0)
	s_barrier
	buffer_gl0_inv
	ds_read2st64_b64 v[8:11], v10 offset1:4
	v_mov_b32_e32 v15, 0
	v_add_co_u32 v2, vcc_lo, v2, v16
	v_add_co_ci_u32_e64 v3, null, v3, v17, vcc_lo
	v_lshlrev_b64 v[12:13], 1, v[14:15]
	s_waitcnt lgkmcnt(0)
	s_barrier
	buffer_gl0_inv
	v_add_co_u32 v2, vcc_lo, v2, v12
	v_add_co_ci_u32_e64 v3, null, v3, v13, vcc_lo
	v_cmp_lt_u32_e32 vcc_lo, v14, v128
	s_and_saveexec_b32 s5, vcc_lo
	s_cbranch_execz .LBB1737_172
; %bb.171:
	v_cmp_gt_i16_e64 s4, 0, v5
	v_cndmask_b32_e64 v12, 0x7fff, 0, s4
	v_xor_b32_e32 v5, v12, v5
	flat_store_short v[2:3], v5
.LBB1737_172:
	s_or_b32 exec_lo, exec_lo, s5
	v_add_nc_u32_e32 v5, 0x100, v14
	v_cmp_lt_u32_e64 s4, v5, v128
	s_and_saveexec_b32 s6, s4
	s_cbranch_execz .LBB1737_174
; %bb.173:
	v_cmp_gt_i16_e64 s5, 0, v4
	v_cndmask_b32_e64 v5, 0x7fff, 0, s5
	v_xor_b32_e32 v4, v5, v4
	flat_store_short v[2:3], v4 offset:512
.LBB1737_174:
	s_or_b32 exec_lo, exec_lo, s6
	v_lshlrev_b64 v[2:3], 3, v[14:15]
	v_add_co_u32 v0, s5, v6, v0
	v_add_co_ci_u32_e64 v1, null, v7, v1, s5
	v_add_co_u32 v0, s5, v0, v2
	v_add_co_ci_u32_e64 v1, null, v1, v3, s5
	s_and_saveexec_b32 s5, vcc_lo
	s_cbranch_execz .LBB1737_176
; %bb.175:
	flat_store_dwordx2 v[0:1], v[8:9]
.LBB1737_176:
	s_or_b32 exec_lo, exec_lo, s5
	s_and_saveexec_b32 s5, s4
	s_cbranch_execz .LBB1737_178
; %bb.177:
	v_add_co_u32 v0, vcc_lo, 0x800, v0
	v_add_co_ci_u32_e64 v1, null, 0, v1, vcc_lo
	flat_store_dwordx2 v[0:1], v[10:11]
.LBB1737_178:
	s_or_b32 exec_lo, exec_lo, s5
                                        ; implicit-def: $vgpr14_vgpr15
                                        ; implicit-def: $vgpr8_vgpr9
                                        ; implicit-def: $vgpr16_vgpr17
                                        ; implicit-def: $vgpr128
                                        ; implicit-def: $vgpr0
                                        ; implicit-def: $vgpr1
                                        ; implicit-def: $vgpr2
                                        ; implicit-def: $vgpr3
                                        ; implicit-def: $vgpr4
                                        ; implicit-def: $vgpr5
                                        ; implicit-def: $vgpr6
                                        ; implicit-def: $vgpr7
                                        ; implicit-def: $vgpr10
                                        ; implicit-def: $vgpr11
                                        ; implicit-def: $vgpr12
                                        ; implicit-def: $vgpr13
                                        ; implicit-def: $vgpr30
                                        ; implicit-def: $vgpr66
.LBB1737_179:
	s_andn2_saveexec_b32 s4, s18
	s_cbranch_execz .LBB1737_199
; %bb.180:
	v_and_b32_e32 v20, 0xffffffe0, v14
	v_or_b32_e32 v15, v66, v20
	v_cmp_lt_u32_e32 vcc_lo, v15, v128
	v_mov_b32_e32 v15, -1
	s_and_saveexec_b32 s5, vcc_lo
	s_cbranch_execz .LBB1737_182
; %bb.181:
	v_mov_b32_e32 v21, 0
	v_lshlrev_b32_e32 v15, 1, v66
	v_add_co_u32 v18, s4, v0, v16
	v_add_co_ci_u32_e64 v19, null, v1, v17, s4
	v_lshlrev_b64 v[0:1], 1, v[20:21]
	v_add_co_u32 v15, s4, v18, v15
	v_add_co_ci_u32_e64 v18, null, 0, v19, s4
	v_add_co_u32 v0, s4, v15, v0
	v_add_co_ci_u32_e64 v1, null, v18, v1, s4
	flat_load_ushort v15, v[0:1]
.LBB1737_182:
	s_or_b32 exec_lo, exec_lo, s5
	v_lshlrev_b64 v[0:1], 3, v[8:9]
                                        ; implicit-def: $vgpr18_vgpr19
	s_and_saveexec_b32 s4, vcc_lo
	s_cbranch_execz .LBB1737_184
; %bb.183:
	v_mov_b32_e32 v21, 0
	v_lshlrev_b32_e32 v8, 3, v66
	v_add_co_u32 v9, vcc_lo, v4, v0
	v_add_co_ci_u32_e64 v18, null, v5, v1, vcc_lo
	v_lshlrev_b64 v[4:5], 3, v[20:21]
	v_add_co_u32 v8, vcc_lo, v9, v8
	v_add_co_ci_u32_e64 v9, null, 0, v18, vcc_lo
	v_add_co_u32 v4, vcc_lo, v8, v4
	v_add_co_ci_u32_e64 v5, null, v9, v5, vcc_lo
	flat_load_dwordx2 v[18:19], v[4:5]
.LBB1737_184:
	s_or_b32 exec_lo, exec_lo, s4
	s_waitcnt vmcnt(0) lgkmcnt(0)
	v_cmp_gt_i16_e32 vcc_lo, 0, v15
	v_lshl_add_u32 v5, v30, 5, v12
	v_sub_co_u32 v20, s6, v66, 1
	s_getpc_b64 s[4:5]
	s_add_u32 s4, s4, _ZN7rocprim17ROCPRIM_400000_NS16block_radix_sortI6__halfLj256ELj1ElLj1ELj1ELj8ELNS0_26block_radix_rank_algorithmE2ELNS0_18block_padding_hintE2ELNS0_4arch9wavefront6targetE0EE19radix_bits_per_passE@rel32@lo+4
	s_addc_u32 s5, s5, _ZN7rocprim17ROCPRIM_400000_NS16block_radix_sortI6__halfLj256ELj1ElLj1ELj1ELj8ELNS0_26block_radix_rank_algorithmE2ELNS0_18block_padding_hintE2ELNS0_4arch9wavefront6targetE0EE19radix_bits_per_passE@rel32@hi+12
	v_cndmask_b32_e64 v4, 0x7fff, 0, vcc_lo
	v_add_nc_u32_e32 v22, 36, v5
	v_add_nc_u32_e32 v23, 40, v5
	;; [unrolled: 1-line block ×4, first 2 shown]
	v_xor_b32_e32 v39, v4, v15
	v_add_nc_u32_e32 v15, 32, v5
	v_add_nc_u32_e32 v26, 52, v5
	;; [unrolled: 1-line block ×4, first 2 shown]
	v_and_b32_e32 v5, 0x3e0, v30
	v_and_b32_e32 v4, 15, v66
	s_load_dword s18, s[4:5], 0x0
	v_and_b32_e32 v9, 16, v66
	v_cmp_gt_i32_e64 s9, 0, v20
	v_min_u32_e32 v8, 0xe0, v5
	v_cmp_eq_u32_e32 vcc_lo, 0, v4
	v_cmp_lt_u32_e64 s4, 1, v4
	v_cmp_lt_u32_e64 s5, 3, v4
	;; [unrolled: 1-line block ×3, first 2 shown]
	v_or_b32_e32 v4, 31, v8
	v_lshrrev_b32_e32 v8, 3, v30
	v_cmp_eq_u32_e64 s8, 0, v9
	v_cndmask_b32_e64 v9, v20, v66, s9
	v_lshrrev_b32_e32 v29, 5, v14
	v_cmp_eq_u32_e64 s9, v30, v4
	v_and_b32_e32 v4, 0x7c, v8
	v_or_b32_e32 v8, v66, v5
	v_cmp_gt_u32_e64 s10, 8, v30
	v_cmp_lt_u32_e64 s11, 31, v30
	v_lshlrev_b32_e32 v31, 2, v9
	v_add_nc_u32_e32 v32, v12, v4
	v_and_b32_e32 v4, 7, v66
	v_lshl_add_u32 v34, v8, 1, v12
	v_mul_u32_u24_e32 v8, 6, v8
	v_cmp_eq_u32_e64 s12, 0, v30
	v_mov_b32_e32 v5, 0
	v_lshl_add_u32 v33, v30, 2, v12
	v_cmp_eq_u32_e64 s13, 0, v4
	v_cmp_lt_u32_e64 s14, 1, v4
	v_cmp_lt_u32_e64 s15, 3, v4
	v_add_nc_u32_e32 v35, -4, v32
	v_add_nc_u32_e32 v36, v34, v8
	v_sub_nc_u32_e32 v37, v11, v10
	s_mov_b32 s19, 0
	s_waitcnt lgkmcnt(0)
	s_waitcnt_vscnt null, 0x0
	s_barrier
	buffer_gl0_inv
	s_branch .LBB1737_186
.LBB1737_185:                           ;   in Loop: Header=BB1737_186 Depth=1
	s_or_b32 exec_lo, exec_lo, s17
	s_and_b32 s16, exec_lo, s20
	s_or_b32 s19, s16, s19
	s_andn2_b32 exec_lo, exec_lo, s19
	s_cbranch_execz .LBB1737_196
.LBB1737_186:                           ; =>This Inner Loop Header: Depth=1
	v_mov_b32_e32 v38, v39
	v_min_u32_e32 v8, s18, v37
	ds_write_b32 v15, v5
	ds_write_b32 v22, v5
	;; [unrolled: 1-line block ×5, first 2 shown]
	v_cmp_ne_u16_e64 s16, 0x8000, v38
	ds_write_b32 v26, v5
	ds_write_b32 v27, v5
	;; [unrolled: 1-line block ×3, first 2 shown]
	s_waitcnt lgkmcnt(0)
	s_barrier
	v_cndmask_b32_e64 v4, 0x7fff, v38, s16
	buffer_gl0_inv
	; wave barrier
	v_lshrrev_b32_sdwa v4, v10, v4 dst_sel:DWORD dst_unused:UNUSED_PAD src0_sel:DWORD src1_sel:WORD_0
	v_bfe_u32 v4, v4, 0, v8
	v_and_b32_e32 v8, 1, v4
	v_lshlrev_b32_e32 v9, 30, v4
	v_lshlrev_b32_e32 v20, 29, v4
	;; [unrolled: 1-line block ×4, first 2 shown]
	v_add_co_u32 v8, s16, v8, -1
	v_cndmask_b32_e64 v39, 0, 1, s16
	v_not_b32_e32 v51, v9
	v_cmp_gt_i32_e64 s17, 0, v9
	v_not_b32_e32 v9, v20
	v_lshlrev_b32_e32 v49, 26, v4
	v_cmp_ne_u32_e64 s16, 0, v39
	v_ashrrev_i32_e32 v51, 31, v51
	v_lshlrev_b32_e32 v50, 25, v4
	v_ashrrev_i32_e32 v9, 31, v9
	v_lshlrev_b32_e32 v39, 24, v4
	v_xor_b32_e32 v8, s16, v8
	v_cmp_gt_i32_e64 s16, 0, v20
	v_not_b32_e32 v20, v21
	v_xor_b32_e32 v51, s17, v51
	v_cmp_gt_i32_e64 s17, 0, v21
	v_and_b32_e32 v8, exec_lo, v8
	v_not_b32_e32 v21, v48
	v_ashrrev_i32_e32 v20, 31, v20
	v_xor_b32_e32 v9, s16, v9
	v_cmp_gt_i32_e64 s16, 0, v48
	v_and_b32_e32 v8, v8, v51
	v_not_b32_e32 v48, v49
	v_ashrrev_i32_e32 v21, 31, v21
	v_xor_b32_e32 v20, s17, v20
	v_cmp_gt_i32_e64 s17, 0, v49
	v_and_b32_e32 v8, v8, v9
	;; [unrolled: 5-line block ×4, first 2 shown]
	v_ashrrev_i32_e32 v20, 31, v20
	v_xor_b32_e32 v21, s16, v9
	v_lshlrev_b32_e32 v4, 3, v4
	v_and_b32_e32 v39, v8, v48
	v_mov_b32_e32 v8, v18
	v_mov_b32_e32 v9, v19
	v_xor_b32_e32 v18, s17, v20
	v_and_b32_e32 v19, v39, v21
	v_and_b32_e32 v19, v19, v18
	v_add_lshl_u32 v18, v4, v29, 2
	v_mbcnt_lo_u32_b32 v4, v19, 0
	v_add_co_u32 v18, null, v12, v18
	v_cmp_ne_u32_e64 s17, 0, v19
	v_cmp_eq_u32_e64 s16, 0, v4
	v_add_co_u32 v18, null, v18, 32
	s_and_b32 s17, s17, s16
	s_and_saveexec_b32 s16, s17
; %bb.187:                              ;   in Loop: Header=BB1737_186 Depth=1
	v_bcnt_u32_b32 v19, v19, 0
	ds_write_b32 v18, v19
; %bb.188:                              ;   in Loop: Header=BB1737_186 Depth=1
	s_or_b32 exec_lo, exec_lo, s16
	; wave barrier
	s_waitcnt lgkmcnt(0)
	s_barrier
	buffer_gl0_inv
	ds_read_b32 v20, v15
	ds_read_b32 v21, v22
	;; [unrolled: 1-line block ×8, first 2 shown]
	s_waitcnt lgkmcnt(6)
	v_add_nc_u32_e32 v52, v21, v20
	s_waitcnt lgkmcnt(4)
	v_add3_u32 v52, v52, v39, v48
	s_waitcnt lgkmcnt(2)
	v_add3_u32 v52, v52, v49, v50
	s_waitcnt lgkmcnt(0)
	v_add3_u32 v51, v52, v19, v51
	v_mov_b32_dpp v52, v51 row_shr:1 row_mask:0xf bank_mask:0xf
	v_cndmask_b32_e64 v52, v52, 0, vcc_lo
	v_add_nc_u32_e32 v51, v52, v51
	v_mov_b32_dpp v52, v51 row_shr:2 row_mask:0xf bank_mask:0xf
	v_cndmask_b32_e64 v52, 0, v52, s4
	v_add_nc_u32_e32 v51, v51, v52
	v_mov_b32_dpp v52, v51 row_shr:4 row_mask:0xf bank_mask:0xf
	v_cndmask_b32_e64 v52, 0, v52, s5
	;; [unrolled: 3-line block ×3, first 2 shown]
	v_add_nc_u32_e32 v51, v51, v52
	ds_swizzle_b32 v52, v51 offset:swizzle(BROADCAST,32,15)
	s_waitcnt lgkmcnt(0)
	v_cndmask_b32_e64 v52, v52, 0, s8
	v_add_nc_u32_e32 v51, v51, v52
	s_and_saveexec_b32 s16, s9
; %bb.189:                              ;   in Loop: Header=BB1737_186 Depth=1
	ds_write_b32 v32, v51
; %bb.190:                              ;   in Loop: Header=BB1737_186 Depth=1
	s_or_b32 exec_lo, exec_lo, s16
	s_waitcnt lgkmcnt(0)
	s_barrier
	buffer_gl0_inv
	s_and_saveexec_b32 s16, s10
	s_cbranch_execz .LBB1737_192
; %bb.191:                              ;   in Loop: Header=BB1737_186 Depth=1
	ds_read_b32 v52, v33
	s_waitcnt lgkmcnt(0)
	v_mov_b32_dpp v53, v52 row_shr:1 row_mask:0xf bank_mask:0xf
	v_cndmask_b32_e64 v53, v53, 0, s13
	v_add_nc_u32_e32 v52, v53, v52
	v_mov_b32_dpp v53, v52 row_shr:2 row_mask:0xf bank_mask:0xf
	v_cndmask_b32_e64 v53, 0, v53, s14
	v_add_nc_u32_e32 v52, v52, v53
	;; [unrolled: 3-line block ×3, first 2 shown]
	ds_write_b32 v33, v52
.LBB1737_192:                           ;   in Loop: Header=BB1737_186 Depth=1
	s_or_b32 exec_lo, exec_lo, s16
	v_mov_b32_e32 v52, 0
	s_waitcnt lgkmcnt(0)
	s_barrier
	buffer_gl0_inv
	s_and_saveexec_b32 s16, s11
; %bb.193:                              ;   in Loop: Header=BB1737_186 Depth=1
	ds_read_b32 v52, v35
; %bb.194:                              ;   in Loop: Header=BB1737_186 Depth=1
	s_or_b32 exec_lo, exec_lo, s16
	s_waitcnt lgkmcnt(0)
	v_add_nc_u32_e32 v51, v52, v51
	v_add_nc_u32_e32 v10, 8, v10
	s_mov_b32 s20, -1
	ds_bpermute_b32 v51, v31, v51
	s_waitcnt lgkmcnt(0)
	v_cndmask_b32_e64 v51, v51, v52, s6
	v_cndmask_b32_e64 v51, v51, 0, s12
	v_add_nc_u32_e32 v20, v51, v20
	v_add_nc_u32_e32 v21, v20, v21
	ds_write_b32 v15, v51
	ds_write_b32 v22, v20
	;; [unrolled: 1-line block ×3, first 2 shown]
	v_add_nc_u32_e32 v39, v21, v39
	v_add_nc_u32_e32 v48, v39, v48
	v_add_nc_u32_e32 v49, v48, v49
	v_add_nc_u32_e32 v50, v49, v50
	v_add_nc_u32_e32 v19, v50, v19
	ds_write_b32 v24, v39
	ds_write_b32 v25, v48
	;; [unrolled: 1-line block ×5, first 2 shown]
	s_waitcnt lgkmcnt(0)
	s_barrier
	buffer_gl0_inv
	ds_read_b32 v18, v18
	s_waitcnt lgkmcnt(0)
                                        ; implicit-def: $vgpr39
	v_add_nc_u32_e32 v4, v18, v4
	v_lshlrev_b64 v[18:19], 1, v[4:5]
	v_add_co_u32 v20, s17, v12, v18
	v_add_co_ci_u32_e64 v21, null, v13, v19, s17
	s_mov_b32 s17, exec_lo
                                        ; implicit-def: $vgpr18_vgpr19
	v_cmpx_lt_u32_e64 v10, v11
	s_cbranch_execz .LBB1737_185
; %bb.195:                              ;   in Loop: Header=BB1737_186 Depth=1
	v_mad_u64_u32 v[18:19], null, v4, 6, v[20:21]
	s_barrier
	buffer_gl0_inv
	ds_write_b16 v20, v38
	s_waitcnt lgkmcnt(0)
	s_barrier
	buffer_gl0_inv
	ds_read_u16 v39, v34
	s_waitcnt lgkmcnt(0)
	s_barrier
	buffer_gl0_inv
	ds_write_b64 v18, v[8:9]
	s_waitcnt lgkmcnt(0)
	s_barrier
	buffer_gl0_inv
	ds_read_b64 v[18:19], v36
	v_add_nc_u32_e32 v37, -8, v37
	s_xor_b32 s20, exec_lo, -1
	s_waitcnt lgkmcnt(0)
	s_barrier
	buffer_gl0_inv
	s_branch .LBB1737_185
.LBB1737_196:
	s_or_b32 exec_lo, exec_lo, s19
	v_mad_u64_u32 v[4:5], null, v4, 6, v[20:21]
	v_lshl_add_u32 v11, v30, 1, v12
	v_mul_u32_u24_e32 v5, 6, v30
	s_barrier
	buffer_gl0_inv
	ds_write_b16 v20, v38
	s_waitcnt lgkmcnt(0)
	v_add_nc_u32_e32 v5, v11, v5
	s_barrier
	buffer_gl0_inv
	ds_read_u16 v10, v11
	s_waitcnt lgkmcnt(0)
	s_barrier
	buffer_gl0_inv
	ds_write_b64 v4, v[8:9]
	s_waitcnt lgkmcnt(0)
	s_barrier
	buffer_gl0_inv
	ds_read_b64 v[4:5], v5
	s_mov_b32 s4, exec_lo
	s_waitcnt lgkmcnt(0)
	s_barrier
	buffer_gl0_inv
	v_cmpx_lt_u32_e64 v14, v128
	s_cbranch_execz .LBB1737_198
; %bb.197:
	v_add_co_u32 v8, vcc_lo, v6, v0
	v_mov_b32_e32 v15, 0
	v_add_co_ci_u32_e64 v9, null, v7, v1, vcc_lo
	v_cmp_gt_i16_e32 vcc_lo, 0, v10
	v_lshlrev_b64 v[6:7], 1, v[14:15]
	v_lshlrev_b64 v[0:1], 3, v[14:15]
	v_cndmask_b32_e64 v11, 0x7fff, 0, vcc_lo
	v_add_co_u32 v2, vcc_lo, v2, v16
	v_add_co_ci_u32_e64 v3, null, v3, v17, vcc_lo
	v_xor_b32_e32 v10, v11, v10
	v_add_co_u32 v2, vcc_lo, v2, v6
	v_add_co_ci_u32_e64 v3, null, v3, v7, vcc_lo
	v_add_co_u32 v0, vcc_lo, v8, v0
	v_add_co_ci_u32_e64 v1, null, v9, v1, vcc_lo
	flat_store_short v[2:3], v10
	flat_store_dwordx2 v[0:1], v[4:5]
.LBB1737_198:
	s_or_b32 exec_lo, exec_lo, s4
.LBB1737_199:
	s_or_b32 exec_lo, exec_lo, s22
	s_waitcnt lgkmcnt(0)
	s_setpc_b64 s[30:31]
.Lfunc_end1737:
	.size	_ZN7rocprim17ROCPRIM_400000_NS6detail40segmented_radix_sort_single_block_helperI6__halflLj256ELj8ELb1EE4sortIPKS3_PS3_PKlPlEEbT_T0_T1_T2_jjjjRNS4_12storage_typeE, .Lfunc_end1737-_ZN7rocprim17ROCPRIM_400000_NS6detail40segmented_radix_sort_single_block_helperI6__halflLj256ELj8ELb1EE4sortIPKS3_PS3_PKlPlEEbT_T0_T1_T2_jjjjRNS4_12storage_typeE
                                        ; -- End function
	.set .L_ZN7rocprim17ROCPRIM_400000_NS6detail40segmented_radix_sort_single_block_helperI6__halflLj256ELj8ELb1EE4sortIPKS3_PS3_PKlPlEEbT_T0_T1_T2_jjjjRNS4_12storage_typeE.num_vgpr, 184
	.set .L_ZN7rocprim17ROCPRIM_400000_NS6detail40segmented_radix_sort_single_block_helperI6__halflLj256ELj8ELb1EE4sortIPKS3_PS3_PKlPlEEbT_T0_T1_T2_jjjjRNS4_12storage_typeE.num_agpr, 0
	.set .L_ZN7rocprim17ROCPRIM_400000_NS6detail40segmented_radix_sort_single_block_helperI6__halflLj256ELj8ELb1EE4sortIPKS3_PS3_PKlPlEEbT_T0_T1_T2_jjjjRNS4_12storage_typeE.numbered_sgpr, 32
	.set .L_ZN7rocprim17ROCPRIM_400000_NS6detail40segmented_radix_sort_single_block_helperI6__halflLj256ELj8ELb1EE4sortIPKS3_PS3_PKlPlEEbT_T0_T1_T2_jjjjRNS4_12storage_typeE.num_named_barrier, 0
	.set .L_ZN7rocprim17ROCPRIM_400000_NS6detail40segmented_radix_sort_single_block_helperI6__halflLj256ELj8ELb1EE4sortIPKS3_PS3_PKlPlEEbT_T0_T1_T2_jjjjRNS4_12storage_typeE.private_seg_size, 0
	.set .L_ZN7rocprim17ROCPRIM_400000_NS6detail40segmented_radix_sort_single_block_helperI6__halflLj256ELj8ELb1EE4sortIPKS3_PS3_PKlPlEEbT_T0_T1_T2_jjjjRNS4_12storage_typeE.uses_vcc, 1
	.set .L_ZN7rocprim17ROCPRIM_400000_NS6detail40segmented_radix_sort_single_block_helperI6__halflLj256ELj8ELb1EE4sortIPKS3_PS3_PKlPlEEbT_T0_T1_T2_jjjjRNS4_12storage_typeE.uses_flat_scratch, 0
	.set .L_ZN7rocprim17ROCPRIM_400000_NS6detail40segmented_radix_sort_single_block_helperI6__halflLj256ELj8ELb1EE4sortIPKS3_PS3_PKlPlEEbT_T0_T1_T2_jjjjRNS4_12storage_typeE.has_dyn_sized_stack, 0
	.set .L_ZN7rocprim17ROCPRIM_400000_NS6detail40segmented_radix_sort_single_block_helperI6__halflLj256ELj8ELb1EE4sortIPKS3_PS3_PKlPlEEbT_T0_T1_T2_jjjjRNS4_12storage_typeE.has_recursion, 0
	.set .L_ZN7rocprim17ROCPRIM_400000_NS6detail40segmented_radix_sort_single_block_helperI6__halflLj256ELj8ELb1EE4sortIPKS3_PS3_PKlPlEEbT_T0_T1_T2_jjjjRNS4_12storage_typeE.has_indirect_call, 0
	.section	.AMDGPU.csdata,"",@progbits
; Function info:
; codeLenInByte = 16440
; TotalNumSgprs: 34
; NumVgprs: 184
; ScratchSize: 0
; MemoryBound: 1
	.section	.text._ZN7rocprim17ROCPRIM_400000_NS6detail17trampoline_kernelINS0_14default_configENS1_36segmented_radix_sort_config_selectorI6__halflEEZNS1_25segmented_radix_sort_implIS3_Lb1EPKS5_PS5_PKlPlN2at6native12_GLOBAL__N_18offset_tEEE10hipError_tPvRmT1_PNSt15iterator_traitsISL_E10value_typeET2_T3_PNSM_ISR_E10value_typeET4_jRbjT5_SX_jjP12ihipStream_tbEUlT_E_NS1_11comp_targetILNS1_3genE8ELNS1_11target_archE1030ELNS1_3gpuE2ELNS1_3repE0EEENS1_30default_config_static_selectorELNS0_4arch9wavefront6targetE0EEEvSL_,"axG",@progbits,_ZN7rocprim17ROCPRIM_400000_NS6detail17trampoline_kernelINS0_14default_configENS1_36segmented_radix_sort_config_selectorI6__halflEEZNS1_25segmented_radix_sort_implIS3_Lb1EPKS5_PS5_PKlPlN2at6native12_GLOBAL__N_18offset_tEEE10hipError_tPvRmT1_PNSt15iterator_traitsISL_E10value_typeET2_T3_PNSM_ISR_E10value_typeET4_jRbjT5_SX_jjP12ihipStream_tbEUlT_E_NS1_11comp_targetILNS1_3genE8ELNS1_11target_archE1030ELNS1_3gpuE2ELNS1_3repE0EEENS1_30default_config_static_selectorELNS0_4arch9wavefront6targetE0EEEvSL_,comdat
	.globl	_ZN7rocprim17ROCPRIM_400000_NS6detail17trampoline_kernelINS0_14default_configENS1_36segmented_radix_sort_config_selectorI6__halflEEZNS1_25segmented_radix_sort_implIS3_Lb1EPKS5_PS5_PKlPlN2at6native12_GLOBAL__N_18offset_tEEE10hipError_tPvRmT1_PNSt15iterator_traitsISL_E10value_typeET2_T3_PNSM_ISR_E10value_typeET4_jRbjT5_SX_jjP12ihipStream_tbEUlT_E_NS1_11comp_targetILNS1_3genE8ELNS1_11target_archE1030ELNS1_3gpuE2ELNS1_3repE0EEENS1_30default_config_static_selectorELNS0_4arch9wavefront6targetE0EEEvSL_ ; -- Begin function _ZN7rocprim17ROCPRIM_400000_NS6detail17trampoline_kernelINS0_14default_configENS1_36segmented_radix_sort_config_selectorI6__halflEEZNS1_25segmented_radix_sort_implIS3_Lb1EPKS5_PS5_PKlPlN2at6native12_GLOBAL__N_18offset_tEEE10hipError_tPvRmT1_PNSt15iterator_traitsISL_E10value_typeET2_T3_PNSM_ISR_E10value_typeET4_jRbjT5_SX_jjP12ihipStream_tbEUlT_E_NS1_11comp_targetILNS1_3genE8ELNS1_11target_archE1030ELNS1_3gpuE2ELNS1_3repE0EEENS1_30default_config_static_selectorELNS0_4arch9wavefront6targetE0EEEvSL_
	.p2align	8
	.type	_ZN7rocprim17ROCPRIM_400000_NS6detail17trampoline_kernelINS0_14default_configENS1_36segmented_radix_sort_config_selectorI6__halflEEZNS1_25segmented_radix_sort_implIS3_Lb1EPKS5_PS5_PKlPlN2at6native12_GLOBAL__N_18offset_tEEE10hipError_tPvRmT1_PNSt15iterator_traitsISL_E10value_typeET2_T3_PNSM_ISR_E10value_typeET4_jRbjT5_SX_jjP12ihipStream_tbEUlT_E_NS1_11comp_targetILNS1_3genE8ELNS1_11target_archE1030ELNS1_3gpuE2ELNS1_3repE0EEENS1_30default_config_static_selectorELNS0_4arch9wavefront6targetE0EEEvSL_,@function
_ZN7rocprim17ROCPRIM_400000_NS6detail17trampoline_kernelINS0_14default_configENS1_36segmented_radix_sort_config_selectorI6__halflEEZNS1_25segmented_radix_sort_implIS3_Lb1EPKS5_PS5_PKlPlN2at6native12_GLOBAL__N_18offset_tEEE10hipError_tPvRmT1_PNSt15iterator_traitsISL_E10value_typeET2_T3_PNSM_ISR_E10value_typeET4_jRbjT5_SX_jjP12ihipStream_tbEUlT_E_NS1_11comp_targetILNS1_3genE8ELNS1_11target_archE1030ELNS1_3gpuE2ELNS1_3repE0EEENS1_30default_config_static_selectorELNS0_4arch9wavefront6targetE0EEEvSL_: ; @_ZN7rocprim17ROCPRIM_400000_NS6detail17trampoline_kernelINS0_14default_configENS1_36segmented_radix_sort_config_selectorI6__halflEEZNS1_25segmented_radix_sort_implIS3_Lb1EPKS5_PS5_PKlPlN2at6native12_GLOBAL__N_18offset_tEEE10hipError_tPvRmT1_PNSt15iterator_traitsISL_E10value_typeET2_T3_PNSM_ISR_E10value_typeET4_jRbjT5_SX_jjP12ihipStream_tbEUlT_E_NS1_11comp_targetILNS1_3genE8ELNS1_11target_archE1030ELNS1_3gpuE2ELNS1_3repE0EEENS1_30default_config_static_selectorELNS0_4arch9wavefront6targetE0EEEvSL_
; %bb.0:
	s_load_dwordx2 s[12:13], s[4:5], 0x38
	s_mov_b32 s27, s7
	s_mov_b32 s7, 0
	s_add_u32 s0, s0, s8
	s_addc_u32 s1, s1, 0
	s_lshl_b64 s[14:15], s[6:7], 2
	s_load_dwordx4 s[8:11], s[4:5], 0x40
	s_mov_b32 s32, 0
	s_waitcnt lgkmcnt(0)
	s_add_u32 s12, s12, s14
	s_addc_u32 s13, s13, s15
	s_load_dword s7, s[12:13], 0x0
	s_waitcnt lgkmcnt(0)
	s_add_i32 s29, s7, s9
	s_add_i32 s33, s7, s11
	s_mul_i32 s29, s29, s8
	s_mul_i32 s33, s33, s10
	s_cmp_le_u32 s33, s29
	s_cbranch_scc1 .LBB1738_670
; %bb.1:
	s_clause 0x3
	s_load_dword s7, s[4:5], 0x30
	s_load_dwordx4 s[44:47], s[4:5], 0x20
	s_load_dwordx4 s[48:51], s[4:5], 0x50
	s_load_dwordx8 s[36:43], s[4:5], 0x0
	s_waitcnt lgkmcnt(0)
	s_bitcmp1_b32 s7, 0
	s_mov_b32 s7, -1
	s_cselect_b32 s51, -1, 0
	s_sub_i32 s52, s33, s29
	s_cmpk_lt_u32 s52, 0x801
	s_cbranch_scc0 .LBB1738_7
; %bb.2:
	v_cndmask_b32_e64 v3, 0, 1, s51
	s_and_b32 s7, s48, 1
	v_lshlrev_b32_e32 v41, 20, v2
	v_lshlrev_b32_e32 v42, 10, v1
	v_cmp_ne_u32_e32 vcc_lo, s7, v3
	s_mov_b32 s7, -1
	s_cbranch_vccnz .LBB1738_4
; %bb.3:
	s_mov_b64 s[10:11], src_shared_base
	v_or3_b32 v31, v0, v42, v41
	v_mov_b32_e32 v40, v0
	v_mov_b32_e32 v0, s36
	;; [unrolled: 1-line block ×17, first 2 shown]
	s_add_u32 s8, s4, 0x60
	s_addc_u32 s9, s5, 0
	s_getpc_b64 s[14:15]
	s_add_u32 s14, s14, _ZN7rocprim17ROCPRIM_400000_NS6detail40segmented_radix_sort_single_block_helperI6__halflLj256ELj8ELb1EE4sortIPKS3_PS3_PKlPlEEbT_T0_T1_T2_jjjjRNS4_12storage_typeE@rel32@lo+4
	s_addc_u32 s15, s15, _ZN7rocprim17ROCPRIM_400000_NS6detail40segmented_radix_sort_single_block_helperI6__halflLj256ELj8ELb1EE4sortIPKS3_PS3_PKlPlEEbT_T0_T1_T2_jjjjRNS4_12storage_typeE@rel32@hi+12
	s_mov_b32 s12, s6
	s_mov_b32 s13, s27
	;; [unrolled: 1-line block ×3, first 2 shown]
	s_mov_b64 s[34:35], s[4:5]
	s_swappc_b64 s[30:31], s[14:15]
	v_mov_b32_e32 v1, v43
	v_mov_b32_e32 v2, v44
	;; [unrolled: 1-line block ×3, first 2 shown]
	s_mov_b64 s[4:5], s[34:35]
	s_mov_b32 s6, s28
	s_mov_b32 s7, 0
.LBB1738_4:
	s_andn2_b32 vcc_lo, exec_lo, s7
	s_cbranch_vccnz .LBB1738_6
; %bb.5:
	s_mov_b64 s[10:11], src_shared_base
	v_or3_b32 v31, v0, v42, v41
	v_mov_b32_e32 v40, v0
	v_mov_b32_e32 v0, s36
	;; [unrolled: 1-line block ×17, first 2 shown]
	s_add_u32 s8, s4, 0x60
	s_addc_u32 s9, s5, 0
	s_getpc_b64 s[14:15]
	s_add_u32 s14, s14, _ZN7rocprim17ROCPRIM_400000_NS6detail40segmented_radix_sort_single_block_helperI6__halflLj256ELj8ELb1EE4sortIPKS3_PS3_PKlPlEEbT_T0_T1_T2_jjjjRNS4_12storage_typeE@rel32@lo+4
	s_addc_u32 s15, s15, _ZN7rocprim17ROCPRIM_400000_NS6detail40segmented_radix_sort_single_block_helperI6__halflLj256ELj8ELb1EE4sortIPKS3_PS3_PKlPlEEbT_T0_T1_T2_jjjjRNS4_12storage_typeE@rel32@hi+12
	s_mov_b32 s12, s6
	s_mov_b32 s13, s27
	;; [unrolled: 1-line block ×3, first 2 shown]
	s_mov_b64 s[34:35], s[4:5]
	s_swappc_b64 s[30:31], s[14:15]
	v_mov_b32_e32 v1, v41
	v_mov_b32_e32 v2, v42
	;; [unrolled: 1-line block ×3, first 2 shown]
	s_mov_b64 s[4:5], s[34:35]
	s_mov_b32 s6, s28
.LBB1738_6:
	s_mov_b32 s7, 0
.LBB1738_7:
	s_andn2_b32 vcc_lo, exec_lo, s7
	s_cbranch_vccnz .LBB1738_670
; %bb.8:
	s_cmp_ge_u32 s49, s50
	s_cbranch_scc1 .LBB1738_670
; %bb.9:
	v_lshlrev_b32_e32 v29, 2, v0
	v_and_b32_e32 v4, 3, v0
	v_lshrrev_b32_e32 v5, 3, v0
	v_or_b32_e32 v6, 31, v0
	v_lshlrev_b32_e32 v3, 1, v0
	v_mad_u32_u24 v41, v0, 12, v29
	v_lshlrev_b32_e32 v40, 2, v4
	v_lshlrev_b32_e32 v4, 3, v0
	v_and_b32_e32 v39, 28, v5
	v_lshlrev_b32_e32 v5, 5, v0
	v_mad_u32_u24 v44, v0, 20, v41
	v_cmp_eq_u32_e64 s8, v0, v6
	v_and_b32_e32 v4, 0x700, v4
	v_mbcnt_lo_u32_b32 v59, -1, 0
	v_or_b32_e32 v35, 0x400, v0
	v_sub_nc_u32_e32 v46, v44, v5
	v_or_b32_e32 v36, 0x500, v0
	v_lshlrev_b32_e32 v5, 3, v4
	v_lshlrev_b32_e32 v6, 1, v4
	v_lshlrev_b32_e32 v69, 3, v59
	v_lshlrev_b32_e32 v77, 1, v59
	v_or_b32_e32 v37, 0x600, v0
	v_add_co_u32 v7, s12, s46, v5
	v_add_co_ci_u32_e64 v8, null, s47, 0, s12
	v_add_co_u32 v9, s12, s40, v6
	v_add_co_ci_u32_e64 v10, null, s41, 0, s12
	;; [unrolled: 2-line block ×5, first 2 shown]
	v_add_co_u32 v55, s12, s36, v3
	v_or_b32_e32 v38, 0x700, v0
	v_or_b32_e32 v66, v59, v4
	v_add_co_ci_u32_e64 v56, null, s37, 0, s12
	v_add_co_u32 v57, s12, s42, v5
	v_add_co_u32 v83, vcc_lo, v7, v69
	v_add_co_u32 v33, s7, s40, v3
	v_add_co_ci_u32_e64 v58, null, s43, 0, s12
	v_add_co_u32 v60, s12, s36, v6
	v_add_co_ci_u32_e64 v84, null, 0, v8, vcc_lo
	v_add_co_u32 v85, vcc_lo, v9, v77
	v_or_b32_e32 v30, 0x100, v0
	v_or_b32_e32 v31, 0x200, v0
	;; [unrolled: 1-line block ×3, first 2 shown]
	v_add_co_ci_u32_e64 v34, null, s41, 0, s7
	v_cmp_gt_u32_e64 s7, 0x100, v0
	v_or_b32_e32 v42, 0x4400, v39
	v_cmp_gt_u32_e64 s9, 8, v0
	v_or_b32_e32 v43, 0x4400, v29
	v_cmp_lt_u32_e64 s10, 31, v0
	v_add_nc_u32_e32 v45, 0x43fc, v39
	s_add_u32 s30, s4, 0x60
	v_cmp_eq_u32_e64 s4, 0, v0
	v_cmp_ne_u32_e64 s11, 0xff, v0
	v_sub_nc_u32_e32 v47, v46, v3
	v_mul_u32_u24_e32 v48, 6, v0
	v_add_co_ci_u32_e64 v61, null, s37, 0, s12
	v_mov_b32_e32 v62, 1
	v_and_b32_e32 v63, 15, v59
	v_bfe_i32 v64, v59, 4, 1
	v_and_b32_e32 v65, 16, v59
	v_and_b32_e32 v67, 7, v59
	v_sub_co_u32 v68, s12, v59, 1
	v_or_b32_e32 v70, 32, v66
	v_or_b32_e32 v71, 64, v66
	;; [unrolled: 1-line block ×7, first 2 shown]
	v_add_nc_u32_e32 v78, 0x420, v44
	v_lshlrev_b32_e32 v79, 1, v0
	v_lshlrev_b32_e32 v80, 1, v35
	;; [unrolled: 1-line block ×4, first 2 shown]
	v_add_co_ci_u32_e64 v86, null, 0, v10, vcc_lo
	v_lshlrev_b32_e32 v87, 1, v38
	v_add_nc_u32_e32 v88, 0x428, v44
	v_add_nc_u32_e32 v89, 0x430, v44
	;; [unrolled: 1-line block ×3, first 2 shown]
	v_mov_b32_e32 v4, 0
	s_addc_u32 s31, s5, 0
	s_mov_b32 s35, 0
	s_mov_b32 s42, s49
	s_branch .LBB1738_12
.LBB1738_10:                            ;   in Loop: Header=BB1738_12 Depth=1
	s_waitcnt lgkmcnt(0)
	s_barrier
.LBB1738_11:                            ;   in Loop: Header=BB1738_12 Depth=1
	s_add_i32 s42, s42, 8
	buffer_gl0_inv
	s_cmp_ge_u32 s42, s50
	s_cbranch_scc1 .LBB1738_670
.LBB1738_12:                            ; =>This Loop Header: Depth=1
                                        ;     Child Loop BB1738_16 Depth 2
                                        ;     Child Loop BB1738_64 Depth 2
	;; [unrolled: 1-line block ×8, first 2 shown]
	s_sub_i32 s5, s50, s42
	s_xor_b32 s51, s51, -1
	s_min_u32 s5, s5, 8
	ds_write2st64_b32 v29, v4, v4 offset1:4
	s_lshl_b32 s5, -1, s5
	ds_write2st64_b32 v29, v4, v4 offset0:8 offset1:12
	s_not_b32 s43, s5
	s_cmp_lg_u32 s42, s49
	s_mov_b32 s5, -1
	s_waitcnt lgkmcnt(0)
	s_waitcnt_vscnt null, 0x0
	s_cbranch_scc0 .LBB1738_342
; %bb.13:                               ;   in Loop: Header=BB1738_12 Depth=1
	s_and_b32 vcc_lo, exec_lo, s51
	s_cbranch_vccz .LBB1738_177
; %bb.14:                               ;   in Loop: Header=BB1738_12 Depth=1
	s_mov_b32 s5, s52
	s_mov_b32 s34, s29
	s_barrier
	buffer_gl0_inv
                                        ; implicit-def: $vgpr3
                                        ; implicit-def: $vgpr5
                                        ; implicit-def: $vgpr6
                                        ; implicit-def: $vgpr7
                                        ; implicit-def: $vgpr8
                                        ; implicit-def: $vgpr9
                                        ; implicit-def: $vgpr10
                                        ; implicit-def: $vgpr11
	s_branch .LBB1738_16
.LBB1738_15:                            ;   in Loop: Header=BB1738_16 Depth=2
	s_or_b32 exec_lo, exec_lo, s14
	s_addk_i32 s5, 0xf800
	s_cmp_ge_u32 s13, s33
	s_mov_b32 s34, s13
	s_cbranch_scc1 .LBB1738_52
.LBB1738_16:                            ;   Parent Loop BB1738_12 Depth=1
                                        ; =>  This Inner Loop Header: Depth=2
	s_add_i32 s13, s34, 0x800
	s_mov_b32 s14, -1
	s_cmp_gt_u32 s13, s33
                                        ; implicit-def: $vgpr12
                                        ; implicit-def: $vgpr13
                                        ; implicit-def: $vgpr14
                                        ; implicit-def: $vgpr15
                                        ; implicit-def: $vgpr16
                                        ; implicit-def: $vgpr17
                                        ; implicit-def: $vgpr18
                                        ; implicit-def: $vgpr19
	s_cbranch_scc1 .LBB1738_18
; %bb.17:                               ;   in Loop: Header=BB1738_16 Depth=2
	s_lshl_b64 s[14:15], s[34:35], 1
	v_add_co_u32 v15, vcc_lo, v33, s14
	v_add_co_ci_u32_e64 v16, null, s15, v34, vcc_lo
	s_mov_b32 s14, 0
	v_add_co_u32 v19, vcc_lo, 0x800, v15
	v_add_co_ci_u32_e64 v20, null, 0, v16, vcc_lo
	s_clause 0x7
	global_load_ushort v12, v[15:16], off
	global_load_ushort v13, v[15:16], off offset:512
	global_load_ushort v14, v[15:16], off offset:1024
	;; [unrolled: 1-line block ×3, first 2 shown]
	global_load_ushort v16, v[19:20], off
	global_load_ushort v17, v[19:20], off offset:512
	global_load_ushort v18, v[19:20], off offset:1024
	;; [unrolled: 1-line block ×3, first 2 shown]
.LBB1738_18:                            ;   in Loop: Header=BB1738_16 Depth=2
	s_andn2_b32 vcc_lo, exec_lo, s14
	s_movk_i32 s14, 0x800
	s_cbranch_vccnz .LBB1738_29
; %bb.19:                               ;   in Loop: Header=BB1738_16 Depth=2
	s_lshl_b64 s[14:15], s[34:35], 1
	s_mov_b32 s16, exec_lo
	s_add_u32 s14, s40, s14
	s_addc_u32 s15, s41, s15
	v_cmpx_gt_u32_e64 s5, v0
	s_cbranch_execnz .LBB1738_45
; %bb.20:                               ;   in Loop: Header=BB1738_16 Depth=2
	s_or_b32 exec_lo, exec_lo, s16
	s_mov_b32 s16, exec_lo
	v_cmpx_gt_u32_e64 s5, v30
	s_cbranch_execnz .LBB1738_46
.LBB1738_21:                            ;   in Loop: Header=BB1738_16 Depth=2
	s_or_b32 exec_lo, exec_lo, s16
	s_mov_b32 s16, exec_lo
	v_cmpx_gt_u32_e64 s5, v31
	s_cbranch_execnz .LBB1738_47
.LBB1738_22:                            ;   in Loop: Header=BB1738_16 Depth=2
	s_or_b32 exec_lo, exec_lo, s16
	s_mov_b32 s16, exec_lo
	v_cmpx_gt_u32_e64 s5, v32
	s_cbranch_execnz .LBB1738_48
.LBB1738_23:                            ;   in Loop: Header=BB1738_16 Depth=2
	s_or_b32 exec_lo, exec_lo, s16
	s_mov_b32 s16, exec_lo
	v_cmpx_gt_u32_e64 s5, v35
	s_cbranch_execnz .LBB1738_49
.LBB1738_24:                            ;   in Loop: Header=BB1738_16 Depth=2
	s_or_b32 exec_lo, exec_lo, s16
	s_mov_b32 s16, exec_lo
	v_cmpx_gt_u32_e64 s5, v36
	s_cbranch_execnz .LBB1738_50
.LBB1738_25:                            ;   in Loop: Header=BB1738_16 Depth=2
	s_or_b32 exec_lo, exec_lo, s16
	s_mov_b32 s16, exec_lo
	v_cmpx_gt_u32_e64 s5, v37
	s_cbranch_execnz .LBB1738_51
.LBB1738_26:                            ;   in Loop: Header=BB1738_16 Depth=2
	s_or_b32 exec_lo, exec_lo, s16
	s_mov_b32 s16, exec_lo
	v_cmpx_gt_u32_e64 s5, v38
	s_cbranch_execz .LBB1738_28
.LBB1738_27:                            ;   in Loop: Header=BB1738_16 Depth=2
	global_load_ushort v3, v87, s[14:15]
.LBB1738_28:                            ;   in Loop: Header=BB1738_16 Depth=2
	s_or_b32 exec_lo, exec_lo, s16
	s_waitcnt vmcnt(0)
	v_mov_b32_e32 v12, v11
	v_mov_b32_e32 v13, v10
	;; [unrolled: 1-line block ×8, first 2 shown]
	s_mov_b32 s14, s5
.LBB1738_29:                            ;   in Loop: Header=BB1738_16 Depth=2
	s_waitcnt vmcnt(0)
	v_mov_b32_e32 v3, v19
	v_mov_b32_e32 v5, v18
	;; [unrolled: 1-line block ×8, first 2 shown]
	s_mov_b32 s15, exec_lo
	v_cmpx_gt_u32_e64 s14, v0
	s_cbranch_execnz .LBB1738_37
; %bb.30:                               ;   in Loop: Header=BB1738_16 Depth=2
	s_or_b32 exec_lo, exec_lo, s15
	s_mov_b32 s15, exec_lo
	v_cmpx_gt_u32_e64 s14, v30
	s_cbranch_execnz .LBB1738_38
.LBB1738_31:                            ;   in Loop: Header=BB1738_16 Depth=2
	s_or_b32 exec_lo, exec_lo, s15
	s_mov_b32 s15, exec_lo
	v_cmpx_gt_u32_e64 s14, v31
	s_cbranch_execnz .LBB1738_39
.LBB1738_32:                            ;   in Loop: Header=BB1738_16 Depth=2
	s_or_b32 exec_lo, exec_lo, s15
	s_mov_b32 s15, exec_lo
	v_cmpx_gt_u32_e64 s14, v32
	s_cbranch_execnz .LBB1738_40
.LBB1738_33:                            ;   in Loop: Header=BB1738_16 Depth=2
	s_or_b32 exec_lo, exec_lo, s15
	s_mov_b32 s15, exec_lo
	v_cmpx_gt_u32_e64 s14, v35
	s_cbranch_execnz .LBB1738_41
.LBB1738_34:                            ;   in Loop: Header=BB1738_16 Depth=2
	s_or_b32 exec_lo, exec_lo, s15
	s_mov_b32 s15, exec_lo
	v_cmpx_gt_u32_e64 s14, v36
	s_cbranch_execnz .LBB1738_42
.LBB1738_35:                            ;   in Loop: Header=BB1738_16 Depth=2
	s_or_b32 exec_lo, exec_lo, s15
	s_mov_b32 s15, exec_lo
	v_cmpx_gt_u32_e64 s14, v37
	s_cbranch_execnz .LBB1738_43
.LBB1738_36:                            ;   in Loop: Header=BB1738_16 Depth=2
	s_or_b32 exec_lo, exec_lo, s15
	v_cmp_gt_u32_e32 vcc_lo, s14, v38
	s_and_saveexec_b32 s14, vcc_lo
	s_cbranch_execz .LBB1738_15
	s_branch .LBB1738_44
.LBB1738_37:                            ;   in Loop: Header=BB1738_16 Depth=2
	v_cmp_gt_i16_e32 vcc_lo, 0, v11
	v_cndmask_b32_e64 v12, 0x7fff, 0, vcc_lo
	v_xor_b32_e32 v12, v12, v11
	v_cmp_ne_u16_e32 vcc_lo, 0x8000, v12
	v_cndmask_b32_e32 v12, 0x7fff, v12, vcc_lo
	v_lshrrev_b32_sdwa v12, s42, v12 dst_sel:DWORD dst_unused:UNUSED_PAD src0_sel:DWORD src1_sel:WORD_0
	v_and_b32_e32 v12, s43, v12
	v_lshl_or_b32 v12, v12, 4, v40
	ds_add_u32 v12, v62
	s_or_b32 exec_lo, exec_lo, s15
	s_mov_b32 s15, exec_lo
	v_cmpx_gt_u32_e64 s14, v30
	s_cbranch_execz .LBB1738_31
.LBB1738_38:                            ;   in Loop: Header=BB1738_16 Depth=2
	v_cmp_gt_i16_e32 vcc_lo, 0, v10
	v_cndmask_b32_e64 v12, 0x7fff, 0, vcc_lo
	v_xor_b32_e32 v12, v12, v10
	v_cmp_ne_u16_e32 vcc_lo, 0x8000, v12
	v_cndmask_b32_e32 v12, 0x7fff, v12, vcc_lo
	v_lshrrev_b32_sdwa v12, s42, v12 dst_sel:DWORD dst_unused:UNUSED_PAD src0_sel:DWORD src1_sel:WORD_0
	v_and_b32_e32 v12, s43, v12
	v_lshl_or_b32 v12, v12, 4, v40
	ds_add_u32 v12, v62
	s_or_b32 exec_lo, exec_lo, s15
	s_mov_b32 s15, exec_lo
	v_cmpx_gt_u32_e64 s14, v31
	s_cbranch_execz .LBB1738_32
.LBB1738_39:                            ;   in Loop: Header=BB1738_16 Depth=2
	v_cmp_gt_i16_e32 vcc_lo, 0, v9
	v_cndmask_b32_e64 v12, 0x7fff, 0, vcc_lo
	v_xor_b32_e32 v12, v12, v9
	v_cmp_ne_u16_e32 vcc_lo, 0x8000, v12
	v_cndmask_b32_e32 v12, 0x7fff, v12, vcc_lo
	v_lshrrev_b32_sdwa v12, s42, v12 dst_sel:DWORD dst_unused:UNUSED_PAD src0_sel:DWORD src1_sel:WORD_0
	v_and_b32_e32 v12, s43, v12
	v_lshl_or_b32 v12, v12, 4, v40
	ds_add_u32 v12, v62
	s_or_b32 exec_lo, exec_lo, s15
	s_mov_b32 s15, exec_lo
	v_cmpx_gt_u32_e64 s14, v32
	s_cbranch_execz .LBB1738_33
.LBB1738_40:                            ;   in Loop: Header=BB1738_16 Depth=2
	v_cmp_gt_i16_e32 vcc_lo, 0, v8
	v_cndmask_b32_e64 v12, 0x7fff, 0, vcc_lo
	v_xor_b32_e32 v12, v12, v8
	v_cmp_ne_u16_e32 vcc_lo, 0x8000, v12
	v_cndmask_b32_e32 v12, 0x7fff, v12, vcc_lo
	v_lshrrev_b32_sdwa v12, s42, v12 dst_sel:DWORD dst_unused:UNUSED_PAD src0_sel:DWORD src1_sel:WORD_0
	v_and_b32_e32 v12, s43, v12
	v_lshl_or_b32 v12, v12, 4, v40
	ds_add_u32 v12, v62
	s_or_b32 exec_lo, exec_lo, s15
	s_mov_b32 s15, exec_lo
	v_cmpx_gt_u32_e64 s14, v35
	s_cbranch_execz .LBB1738_34
.LBB1738_41:                            ;   in Loop: Header=BB1738_16 Depth=2
	v_cmp_gt_i16_e32 vcc_lo, 0, v7
	v_cndmask_b32_e64 v12, 0x7fff, 0, vcc_lo
	v_xor_b32_e32 v12, v12, v7
	v_cmp_ne_u16_e32 vcc_lo, 0x8000, v12
	v_cndmask_b32_e32 v12, 0x7fff, v12, vcc_lo
	v_lshrrev_b32_sdwa v12, s42, v12 dst_sel:DWORD dst_unused:UNUSED_PAD src0_sel:DWORD src1_sel:WORD_0
	v_and_b32_e32 v12, s43, v12
	v_lshl_or_b32 v12, v12, 4, v40
	ds_add_u32 v12, v62
	s_or_b32 exec_lo, exec_lo, s15
	s_mov_b32 s15, exec_lo
	v_cmpx_gt_u32_e64 s14, v36
	s_cbranch_execz .LBB1738_35
.LBB1738_42:                            ;   in Loop: Header=BB1738_16 Depth=2
	v_cmp_gt_i16_e32 vcc_lo, 0, v6
	v_cndmask_b32_e64 v12, 0x7fff, 0, vcc_lo
	v_xor_b32_e32 v12, v12, v6
	v_cmp_ne_u16_e32 vcc_lo, 0x8000, v12
	v_cndmask_b32_e32 v12, 0x7fff, v12, vcc_lo
	v_lshrrev_b32_sdwa v12, s42, v12 dst_sel:DWORD dst_unused:UNUSED_PAD src0_sel:DWORD src1_sel:WORD_0
	v_and_b32_e32 v12, s43, v12
	v_lshl_or_b32 v12, v12, 4, v40
	ds_add_u32 v12, v62
	s_or_b32 exec_lo, exec_lo, s15
	s_mov_b32 s15, exec_lo
	v_cmpx_gt_u32_e64 s14, v37
	s_cbranch_execz .LBB1738_36
.LBB1738_43:                            ;   in Loop: Header=BB1738_16 Depth=2
	v_cmp_gt_i16_e32 vcc_lo, 0, v5
	v_cndmask_b32_e64 v12, 0x7fff, 0, vcc_lo
	v_xor_b32_e32 v12, v12, v5
	v_cmp_ne_u16_e32 vcc_lo, 0x8000, v12
	v_cndmask_b32_e32 v12, 0x7fff, v12, vcc_lo
	v_lshrrev_b32_sdwa v12, s42, v12 dst_sel:DWORD dst_unused:UNUSED_PAD src0_sel:DWORD src1_sel:WORD_0
	v_and_b32_e32 v12, s43, v12
	v_lshl_or_b32 v12, v12, 4, v40
	ds_add_u32 v12, v62
	s_or_b32 exec_lo, exec_lo, s15
	v_cmp_gt_u32_e32 vcc_lo, s14, v38
	s_and_saveexec_b32 s14, vcc_lo
	s_cbranch_execz .LBB1738_15
.LBB1738_44:                            ;   in Loop: Header=BB1738_16 Depth=2
	v_cmp_gt_i16_e32 vcc_lo, 0, v3
	v_cndmask_b32_e64 v12, 0x7fff, 0, vcc_lo
	v_xor_b32_e32 v12, v12, v3
	v_cmp_ne_u16_e32 vcc_lo, 0x8000, v12
	v_cndmask_b32_e32 v12, 0x7fff, v12, vcc_lo
	v_lshrrev_b32_sdwa v12, s42, v12 dst_sel:DWORD dst_unused:UNUSED_PAD src0_sel:DWORD src1_sel:WORD_0
	v_and_b32_e32 v12, s43, v12
	v_lshl_or_b32 v12, v12, 4, v40
	ds_add_u32 v12, v62
	s_branch .LBB1738_15
.LBB1738_45:                            ;   in Loop: Header=BB1738_16 Depth=2
	global_load_ushort v11, v79, s[14:15]
	s_or_b32 exec_lo, exec_lo, s16
	s_mov_b32 s16, exec_lo
	v_cmpx_gt_u32_e64 s5, v30
	s_cbranch_execz .LBB1738_21
.LBB1738_46:                            ;   in Loop: Header=BB1738_16 Depth=2
	global_load_ushort v10, v79, s[14:15] offset:512
	s_or_b32 exec_lo, exec_lo, s16
	s_mov_b32 s16, exec_lo
	v_cmpx_gt_u32_e64 s5, v31
	s_cbranch_execz .LBB1738_22
.LBB1738_47:                            ;   in Loop: Header=BB1738_16 Depth=2
	global_load_ushort v9, v79, s[14:15] offset:1024
	s_or_b32 exec_lo, exec_lo, s16
	s_mov_b32 s16, exec_lo
	v_cmpx_gt_u32_e64 s5, v32
	s_cbranch_execz .LBB1738_23
.LBB1738_48:                            ;   in Loop: Header=BB1738_16 Depth=2
	global_load_ushort v8, v79, s[14:15] offset:1536
	s_or_b32 exec_lo, exec_lo, s16
	s_mov_b32 s16, exec_lo
	v_cmpx_gt_u32_e64 s5, v35
	s_cbranch_execz .LBB1738_24
.LBB1738_49:                            ;   in Loop: Header=BB1738_16 Depth=2
	global_load_ushort v7, v80, s[14:15]
	s_or_b32 exec_lo, exec_lo, s16
	s_mov_b32 s16, exec_lo
	v_cmpx_gt_u32_e64 s5, v36
	s_cbranch_execz .LBB1738_25
.LBB1738_50:                            ;   in Loop: Header=BB1738_16 Depth=2
	global_load_ushort v6, v81, s[14:15]
	s_or_b32 exec_lo, exec_lo, s16
	s_mov_b32 s16, exec_lo
	v_cmpx_gt_u32_e64 s5, v37
	s_cbranch_execz .LBB1738_26
.LBB1738_51:                            ;   in Loop: Header=BB1738_16 Depth=2
	global_load_ushort v5, v82, s[14:15]
	s_or_b32 exec_lo, exec_lo, s16
	s_mov_b32 s16, exec_lo
	v_cmpx_gt_u32_e64 s5, v38
	s_cbranch_execnz .LBB1738_27
	s_branch .LBB1738_28
.LBB1738_52:                            ;   in Loop: Header=BB1738_12 Depth=1
	v_mov_b32_e32 v3, 0
	s_waitcnt lgkmcnt(0)
	s_barrier
	buffer_gl0_inv
	s_and_saveexec_b32 s5, s7
	s_cbranch_execz .LBB1738_54
; %bb.53:                               ;   in Loop: Header=BB1738_12 Depth=1
	ds_read2_b64 v[5:8], v41 offset1:1
	s_waitcnt lgkmcnt(0)
	v_add_nc_u32_e32 v3, v6, v5
	v_add3_u32 v3, v3, v7, v8
.LBB1738_54:                            ;   in Loop: Header=BB1738_12 Depth=1
	s_or_b32 exec_lo, exec_lo, s5
	v_mov_b32_dpp v5, v3 row_shr:1 row_mask:0xf bank_mask:0xf
	v_cmp_eq_u32_e64 s5, 0, v63
	v_cmp_lt_u32_e64 s13, 1, v63
	v_cmp_lt_u32_e64 s14, 3, v63
	;; [unrolled: 1-line block ×3, first 2 shown]
	v_cmp_eq_u32_e64 s16, 0, v65
	v_cndmask_b32_e64 v5, v5, 0, s5
	v_add_nc_u32_e32 v3, v5, v3
	v_mov_b32_dpp v5, v3 row_shr:2 row_mask:0xf bank_mask:0xf
	v_cndmask_b32_e64 v5, 0, v5, s13
	v_add_nc_u32_e32 v3, v3, v5
	v_mov_b32_dpp v5, v3 row_shr:4 row_mask:0xf bank_mask:0xf
	;; [unrolled: 3-line block ×3, first 2 shown]
	v_cndmask_b32_e64 v5, 0, v5, s15
	v_add_nc_u32_e32 v3, v3, v5
	ds_swizzle_b32 v5, v3 offset:swizzle(BROADCAST,32,15)
	s_waitcnt lgkmcnt(0)
	v_and_b32_e32 v5, v64, v5
	v_add_nc_u32_e32 v3, v3, v5
	s_and_saveexec_b32 s17, s8
; %bb.55:                               ;   in Loop: Header=BB1738_12 Depth=1
	ds_write_b32 v42, v3
; %bb.56:                               ;   in Loop: Header=BB1738_12 Depth=1
	s_or_b32 exec_lo, exec_lo, s17
	s_waitcnt lgkmcnt(0)
	s_barrier
	buffer_gl0_inv
	s_and_saveexec_b32 s17, s9
	s_cbranch_execz .LBB1738_58
; %bb.57:                               ;   in Loop: Header=BB1738_12 Depth=1
	ds_read_b32 v5, v43
	v_cmp_ne_u32_e32 vcc_lo, 0, v67
	s_waitcnt lgkmcnt(0)
	v_mov_b32_dpp v6, v5 row_shr:1 row_mask:0xf bank_mask:0xf
	v_cndmask_b32_e32 v6, 0, v6, vcc_lo
	v_cmp_lt_u32_e32 vcc_lo, 1, v67
	v_add_nc_u32_e32 v5, v6, v5
	v_mov_b32_dpp v6, v5 row_shr:2 row_mask:0xf bank_mask:0xf
	v_cndmask_b32_e32 v6, 0, v6, vcc_lo
	v_cmp_lt_u32_e32 vcc_lo, 3, v67
	v_add_nc_u32_e32 v5, v5, v6
	v_mov_b32_dpp v6, v5 row_shr:4 row_mask:0xf bank_mask:0xf
	v_cndmask_b32_e32 v6, 0, v6, vcc_lo
	v_add_nc_u32_e32 v5, v5, v6
	ds_write_b32 v43, v5
.LBB1738_58:                            ;   in Loop: Header=BB1738_12 Depth=1
	s_or_b32 exec_lo, exec_lo, s17
	v_mov_b32_e32 v5, 0
	s_waitcnt lgkmcnt(0)
	s_barrier
	buffer_gl0_inv
	s_and_saveexec_b32 s17, s10
; %bb.59:                               ;   in Loop: Header=BB1738_12 Depth=1
	ds_read_b32 v5, v45
; %bb.60:                               ;   in Loop: Header=BB1738_12 Depth=1
	s_or_b32 exec_lo, exec_lo, s17
	v_cmp_gt_i32_e32 vcc_lo, 0, v68
	s_waitcnt lgkmcnt(0)
	v_add_nc_u32_e32 v3, v5, v3
	s_barrier
	buffer_gl0_inv
	v_cndmask_b32_e32 v6, v68, v59, vcc_lo
	v_lshlrev_b32_e32 v91, 2, v6
	ds_bpermute_b32 v3, v91, v3
	s_and_saveexec_b32 s17, s7
	s_cbranch_execz .LBB1738_62
; %bb.61:                               ;   in Loop: Header=BB1738_12 Depth=1
	s_waitcnt lgkmcnt(0)
	v_cndmask_b32_e64 v3, v3, v5, s12
	v_add_nc_u32_e32 v3, s29, v3
	ds_write_b32 v29, v3
.LBB1738_62:                            ;   in Loop: Header=BB1738_12 Depth=1
	s_or_b32 exec_lo, exec_lo, s17
	s_clause 0x1
	s_load_dword s17, s[30:31], 0x4
	s_load_dword s20, s[30:31], 0xc
	s_mov_b32 s48, s52
	s_mov_b32 s34, s29
                                        ; implicit-def: $vgpr7_vgpr8
                                        ; implicit-def: $vgpr9_vgpr10
                                        ; implicit-def: $vgpr11_vgpr12
                                        ; implicit-def: $vgpr13_vgpr14
                                        ; implicit-def: $vgpr15_vgpr16
                                        ; implicit-def: $vgpr17_vgpr18
                                        ; implicit-def: $vgpr19_vgpr20
                                        ; implicit-def: $vgpr93
                                        ; implicit-def: $vgpr94
                                        ; implicit-def: $vgpr95
                                        ; implicit-def: $vgpr96
                                        ; implicit-def: $vgpr97
                                        ; implicit-def: $vgpr98
                                        ; implicit-def: $vgpr99
                                        ; implicit-def: $vgpr100
	s_waitcnt lgkmcnt(0)
	s_cmp_lt_u32 s27, s17
	s_cselect_b32 s17, 14, 20
	s_add_u32 s18, s30, s17
	s_addc_u32 s19, s31, 0
	s_and_b32 s17, s20, 0xffff
	global_load_ushort v3, v4, s[18:19]
	v_cmp_lt_u32_e64 s18, 1, v67
	v_cmp_lt_u32_e64 s19, 3, v67
	s_waitcnt vmcnt(0)
	v_mad_u32_u24 v3, v2, v3, v1
	v_mad_u64_u32 v[5:6], null, v3, s17, v[0:1]
	v_cmp_eq_u32_e64 s17, 0, v67
	v_lshrrev_b32_e32 v3, 3, v5
                                        ; implicit-def: $vgpr5_vgpr6
	v_and_b32_e32 v92, 0x1ffffffc, v3
	s_branch .LBB1738_64
.LBB1738_63:                            ;   in Loop: Header=BB1738_64 Depth=2
	s_or_b32 exec_lo, exec_lo, s20
	s_addk_i32 s48, 0xf800
	s_cmp_lt_u32 s53, s33
	s_mov_b32 s34, s53
	s_cbranch_scc0 .LBB1738_176
.LBB1738_64:                            ;   Parent Loop BB1738_12 Depth=1
                                        ; =>  This Inner Loop Header: Depth=2
	s_add_i32 s53, s34, 0x800
	s_cmp_gt_u32 s53, s33
	s_cbranch_scc1 .LBB1738_66
; %bb.65:                               ;   in Loop: Header=BB1738_64 Depth=2
	s_lshl_b64 s[20:21], s[34:35], 1
	v_add_co_u32 v21, vcc_lo, v85, s20
	v_add_co_ci_u32_e64 v22, null, s21, v86, vcc_lo
	s_mov_b32 s20, -1
	s_clause 0x6
	global_load_ushort v3, v[21:22], off
	global_load_ushort v28, v[21:22], off offset:64
	global_load_ushort v27, v[21:22], off offset:128
	;; [unrolled: 1-line block ×6, first 2 shown]
	s_movk_i32 s21, 0x800
	s_cbranch_execz .LBB1738_67
	s_branch .LBB1738_82
.LBB1738_66:                            ;   in Loop: Header=BB1738_64 Depth=2
	s_mov_b32 s20, 0
                                        ; implicit-def: $vgpr3
                                        ; implicit-def: $vgpr28
                                        ; implicit-def: $vgpr27
                                        ; implicit-def: $vgpr26
                                        ; implicit-def: $vgpr25
                                        ; implicit-def: $vgpr24
                                        ; implicit-def: $vgpr23
	s_movk_i32 s21, 0x800
.LBB1738_67:                            ;   in Loop: Header=BB1738_64 Depth=2
	s_lshl_b64 s[20:21], s[34:35], 1
	s_waitcnt vmcnt(5)
	v_mov_b32_e32 v28, -1
	v_add_co_u32 v21, vcc_lo, v85, s20
	v_add_co_ci_u32_e64 v22, null, s21, v86, vcc_lo
	v_mov_b32_e32 v3, -1
	s_mov_b32 s20, exec_lo
	v_cmpx_gt_u32_e64 s48, v66
	s_cbranch_execz .LBB1738_69
; %bb.68:                               ;   in Loop: Header=BB1738_64 Depth=2
	global_load_ushort v3, v[21:22], off
.LBB1738_69:                            ;   in Loop: Header=BB1738_64 Depth=2
	s_or_b32 exec_lo, exec_lo, s20
	s_mov_b32 s20, exec_lo
	v_cmpx_gt_u32_e64 s48, v70
	s_cbranch_execz .LBB1738_71
; %bb.70:                               ;   in Loop: Header=BB1738_64 Depth=2
	global_load_ushort v28, v[21:22], off offset:64
.LBB1738_71:                            ;   in Loop: Header=BB1738_64 Depth=2
	s_or_b32 exec_lo, exec_lo, s20
	s_waitcnt vmcnt(3)
	v_mov_b32_e32 v26, -1
	v_mov_b32_e32 v27, -1
	s_mov_b32 s20, exec_lo
	v_cmpx_gt_u32_e64 s48, v71
	s_cbranch_execz .LBB1738_73
; %bb.72:                               ;   in Loop: Header=BB1738_64 Depth=2
	global_load_ushort v27, v[21:22], off offset:128
.LBB1738_73:                            ;   in Loop: Header=BB1738_64 Depth=2
	s_or_b32 exec_lo, exec_lo, s20
	s_mov_b32 s20, exec_lo
	v_cmpx_gt_u32_e64 s48, v72
	s_cbranch_execz .LBB1738_75
; %bb.74:                               ;   in Loop: Header=BB1738_64 Depth=2
	global_load_ushort v26, v[21:22], off offset:192
.LBB1738_75:                            ;   in Loop: Header=BB1738_64 Depth=2
	s_or_b32 exec_lo, exec_lo, s20
	s_waitcnt vmcnt(1)
	v_mov_b32_e32 v24, -1
	v_mov_b32_e32 v25, -1
	s_mov_b32 s20, exec_lo
	v_cmpx_gt_u32_e64 s48, v73
	s_cbranch_execz .LBB1738_77
; %bb.76:                               ;   in Loop: Header=BB1738_64 Depth=2
	global_load_ushort v25, v[21:22], off offset:256
.LBB1738_77:                            ;   in Loop: Header=BB1738_64 Depth=2
	s_or_b32 exec_lo, exec_lo, s20
	s_mov_b32 s20, exec_lo
	v_cmpx_gt_u32_e64 s48, v74
	s_cbranch_execz .LBB1738_79
; %bb.78:                               ;   in Loop: Header=BB1738_64 Depth=2
	global_load_ushort v24, v[21:22], off offset:320
.LBB1738_79:                            ;   in Loop: Header=BB1738_64 Depth=2
	s_or_b32 exec_lo, exec_lo, s20
	s_waitcnt vmcnt(0)
	v_mov_b32_e32 v23, -1
	s_mov_b32 s20, exec_lo
	v_cmpx_gt_u32_e64 s48, v75
	s_cbranch_execz .LBB1738_81
; %bb.80:                               ;   in Loop: Header=BB1738_64 Depth=2
	global_load_ushort v23, v[21:22], off offset:384
.LBB1738_81:                            ;   in Loop: Header=BB1738_64 Depth=2
	s_or_b32 exec_lo, exec_lo, s20
	v_cmp_gt_u32_e64 s20, s48, v76
	s_sub_i32 s21, s33, s34
.LBB1738_82:                            ;   in Loop: Header=BB1738_64 Depth=2
	v_mov_b32_e32 v21, -1
	v_mov_b32_e32 v101, s48
	s_and_saveexec_b32 s22, s20
	s_cbranch_execz .LBB1738_84
; %bb.83:                               ;   in Loop: Header=BB1738_64 Depth=2
	s_lshl_b64 s[24:25], s[34:35], 1
	v_mov_b32_e32 v101, s21
	v_add_co_u32 v21, vcc_lo, v85, s24
	v_add_co_ci_u32_e64 v22, null, s25, v86, vcc_lo
	global_load_ushort v21, v[21:22], off offset:448
.LBB1738_84:                            ;   in Loop: Header=BB1738_64 Depth=2
	s_or_b32 exec_lo, exec_lo, s22
	s_waitcnt vmcnt(6)
	v_cmp_gt_i16_e32 vcc_lo, 0, v3
	ds_write2_b32 v78, v4, v4 offset1:1
	ds_write2_b32 v88, v4, v4 offset1:1
	;; [unrolled: 1-line block ×4, first 2 shown]
	ds_write_b32 v44, v4 offset:1088
	s_waitcnt vmcnt(0) lgkmcnt(0)
	s_barrier
	v_cndmask_b32_e64 v22, 0x7fff, 0, vcc_lo
	buffer_gl0_inv
	; wave barrier
	v_xor_b32_e32 v3, v22, v3
	v_cmp_ne_u16_e32 vcc_lo, 0x8000, v3
	v_cndmask_b32_e32 v22, 0x7fff, v3, vcc_lo
	v_lshrrev_b32_sdwa v22, s42, v22 dst_sel:DWORD dst_unused:UNUSED_PAD src0_sel:DWORD src1_sel:WORD_0
	v_and_b32_e32 v103, s43, v22
	v_and_b32_e32 v22, 1, v103
	v_lshlrev_b32_e32 v102, 30, v103
	v_lshlrev_b32_e32 v104, 29, v103
	;; [unrolled: 1-line block ×4, first 2 shown]
	v_add_co_u32 v22, s20, v22, -1
	v_cndmask_b32_e64 v106, 0, 1, s20
	v_not_b32_e32 v110, v102
	v_cmp_gt_i32_e64 s20, 0, v102
	v_not_b32_e32 v102, v104
	v_lshlrev_b32_e32 v108, 26, v103
	v_cmp_ne_u32_e32 vcc_lo, 0, v106
	v_ashrrev_i32_e32 v110, 31, v110
	v_lshlrev_b32_e32 v109, 25, v103
	v_ashrrev_i32_e32 v102, 31, v102
	v_lshlrev_b32_e32 v106, 24, v103
	v_xor_b32_e32 v22, vcc_lo, v22
	v_cmp_gt_i32_e32 vcc_lo, 0, v104
	v_not_b32_e32 v104, v105
	v_xor_b32_e32 v110, s20, v110
	v_cmp_gt_i32_e64 s20, 0, v105
	v_and_b32_e32 v22, exec_lo, v22
	v_not_b32_e32 v105, v107
	v_ashrrev_i32_e32 v104, 31, v104
	v_xor_b32_e32 v102, vcc_lo, v102
	v_cmp_gt_i32_e32 vcc_lo, 0, v107
	v_and_b32_e32 v22, v22, v110
	v_not_b32_e32 v107, v108
	v_ashrrev_i32_e32 v105, 31, v105
	v_xor_b32_e32 v104, s20, v104
	v_cmp_gt_i32_e64 s20, 0, v108
	v_and_b32_e32 v22, v22, v102
	v_not_b32_e32 v102, v109
	v_ashrrev_i32_e32 v107, 31, v107
	v_xor_b32_e32 v105, vcc_lo, v105
	v_cmp_gt_i32_e32 vcc_lo, 0, v109
	v_and_b32_e32 v22, v22, v104
	v_not_b32_e32 v104, v106
	v_ashrrev_i32_e32 v102, 31, v102
	v_xor_b32_e32 v107, s20, v107
	v_cmp_gt_i32_e64 s20, 0, v106
	v_and_b32_e32 v22, v22, v105
	v_ashrrev_i32_e32 v104, 31, v104
	v_xor_b32_e32 v102, vcc_lo, v102
	v_mul_u32_u24_e32 v103, 36, v103
	v_and_b32_e32 v22, v22, v107
	v_xor_b32_e32 v104, s20, v104
	v_and_b32_e32 v22, v22, v102
	v_and_b32_e32 v22, v22, v104
	v_add_nc_u32_e32 v104, v92, v103
	v_mbcnt_lo_u32_b32 v102, v22, 0
	v_cmp_ne_u32_e64 s20, 0, v22
	v_cmp_eq_u32_e32 vcc_lo, 0, v102
	s_and_b32 s21, s20, vcc_lo
	s_and_saveexec_b32 s20, s21
; %bb.85:                               ;   in Loop: Header=BB1738_64 Depth=2
	v_bcnt_u32_b32 v22, v22, 0
	ds_write_b32 v104, v22 offset:1056
; %bb.86:                               ;   in Loop: Header=BB1738_64 Depth=2
	s_or_b32 exec_lo, exec_lo, s20
	v_cmp_gt_i16_e32 vcc_lo, 0, v28
	; wave barrier
	v_cndmask_b32_e64 v22, 0x7fff, 0, vcc_lo
	v_xor_b32_e32 v103, v22, v28
	v_cmp_ne_u16_e32 vcc_lo, 0x8000, v103
	v_cndmask_b32_e32 v22, 0x7fff, v103, vcc_lo
	v_lshrrev_b32_sdwa v22, s42, v22 dst_sel:DWORD dst_unused:UNUSED_PAD src0_sel:DWORD src1_sel:WORD_0
	v_and_b32_e32 v28, s43, v22
	v_and_b32_e32 v22, 1, v28
	v_lshlrev_b32_e32 v105, 30, v28
	v_lshlrev_b32_e32 v106, 29, v28
	;; [unrolled: 1-line block ×4, first 2 shown]
	v_add_co_u32 v22, s20, v22, -1
	v_cndmask_b32_e64 v108, 0, 1, s20
	v_not_b32_e32 v112, v105
	v_cmp_gt_i32_e64 s20, 0, v105
	v_not_b32_e32 v105, v106
	v_lshlrev_b32_e32 v110, 26, v28
	v_cmp_ne_u32_e32 vcc_lo, 0, v108
	v_ashrrev_i32_e32 v112, 31, v112
	v_lshlrev_b32_e32 v111, 25, v28
	v_ashrrev_i32_e32 v105, 31, v105
	v_lshlrev_b32_e32 v108, 24, v28
	v_xor_b32_e32 v22, vcc_lo, v22
	v_cmp_gt_i32_e32 vcc_lo, 0, v106
	v_not_b32_e32 v106, v107
	v_xor_b32_e32 v112, s20, v112
	v_cmp_gt_i32_e64 s20, 0, v107
	v_and_b32_e32 v22, exec_lo, v22
	v_not_b32_e32 v107, v109
	v_ashrrev_i32_e32 v106, 31, v106
	v_xor_b32_e32 v105, vcc_lo, v105
	v_cmp_gt_i32_e32 vcc_lo, 0, v109
	v_and_b32_e32 v22, v22, v112
	v_not_b32_e32 v109, v110
	v_ashrrev_i32_e32 v107, 31, v107
	v_xor_b32_e32 v106, s20, v106
	v_cmp_gt_i32_e64 s20, 0, v110
	v_and_b32_e32 v22, v22, v105
	v_not_b32_e32 v105, v111
	v_ashrrev_i32_e32 v109, 31, v109
	v_xor_b32_e32 v107, vcc_lo, v107
	v_cmp_gt_i32_e32 vcc_lo, 0, v111
	v_and_b32_e32 v22, v22, v106
	v_not_b32_e32 v106, v108
	v_ashrrev_i32_e32 v105, 31, v105
	v_xor_b32_e32 v109, s20, v109
	v_cmp_gt_i32_e64 s20, 0, v108
	v_and_b32_e32 v22, v22, v107
	v_ashrrev_i32_e32 v106, 31, v106
	v_xor_b32_e32 v105, vcc_lo, v105
	v_mad_u32_u24 v107, v28, 36, v92
	v_mul_u32_u24_e32 v28, 36, v28
	v_and_b32_e32 v22, v22, v109
	v_xor_b32_e32 v106, s20, v106
	v_add_nc_u32_e32 v108, v92, v28
	v_and_b32_e32 v22, v22, v105
	ds_read_b32 v105, v107 offset:1056
	; wave barrier
	v_and_b32_e32 v22, v22, v106
	v_mbcnt_lo_u32_b32 v106, v22, 0
	v_cmp_ne_u32_e64 s20, 0, v22
	v_cmp_eq_u32_e32 vcc_lo, 0, v106
	s_and_b32 s21, s20, vcc_lo
	s_and_saveexec_b32 s20, s21
	s_cbranch_execz .LBB1738_88
; %bb.87:                               ;   in Loop: Header=BB1738_64 Depth=2
	s_waitcnt lgkmcnt(0)
	v_bcnt_u32_b32 v22, v22, v105
	ds_write_b32 v108, v22 offset:1056
.LBB1738_88:                            ;   in Loop: Header=BB1738_64 Depth=2
	s_or_b32 exec_lo, exec_lo, s20
	v_cmp_gt_i16_e32 vcc_lo, 0, v27
	; wave barrier
	v_cndmask_b32_e64 v22, 0x7fff, 0, vcc_lo
	v_xor_b32_e32 v107, v22, v27
	v_cmp_ne_u16_e32 vcc_lo, 0x8000, v107
	v_cndmask_b32_e32 v22, 0x7fff, v107, vcc_lo
	v_lshrrev_b32_sdwa v22, s42, v22 dst_sel:DWORD dst_unused:UNUSED_PAD src0_sel:DWORD src1_sel:WORD_0
	v_and_b32_e32 v27, s43, v22
	v_and_b32_e32 v22, 1, v27
	v_lshlrev_b32_e32 v28, 30, v27
	v_lshlrev_b32_e32 v109, 29, v27
	v_lshlrev_b32_e32 v110, 28, v27
	v_lshlrev_b32_e32 v112, 27, v27
	v_add_co_u32 v22, s20, v22, -1
	v_cndmask_b32_e64 v111, 0, 1, s20
	v_not_b32_e32 v115, v28
	v_cmp_gt_i32_e64 s20, 0, v28
	v_not_b32_e32 v28, v109
	v_lshlrev_b32_e32 v113, 26, v27
	v_cmp_ne_u32_e32 vcc_lo, 0, v111
	v_ashrrev_i32_e32 v115, 31, v115
	v_lshlrev_b32_e32 v114, 25, v27
	v_ashrrev_i32_e32 v28, 31, v28
	v_lshlrev_b32_e32 v111, 24, v27
	v_xor_b32_e32 v22, vcc_lo, v22
	v_cmp_gt_i32_e32 vcc_lo, 0, v109
	v_not_b32_e32 v109, v110
	v_xor_b32_e32 v115, s20, v115
	v_cmp_gt_i32_e64 s20, 0, v110
	v_and_b32_e32 v22, exec_lo, v22
	v_not_b32_e32 v110, v112
	v_ashrrev_i32_e32 v109, 31, v109
	v_xor_b32_e32 v28, vcc_lo, v28
	v_cmp_gt_i32_e32 vcc_lo, 0, v112
	v_and_b32_e32 v22, v22, v115
	v_not_b32_e32 v112, v113
	v_ashrrev_i32_e32 v110, 31, v110
	v_xor_b32_e32 v109, s20, v109
	v_cmp_gt_i32_e64 s20, 0, v113
	v_and_b32_e32 v22, v22, v28
	v_not_b32_e32 v28, v114
	v_ashrrev_i32_e32 v112, 31, v112
	v_xor_b32_e32 v110, vcc_lo, v110
	v_cmp_gt_i32_e32 vcc_lo, 0, v114
	v_and_b32_e32 v22, v22, v109
	v_not_b32_e32 v109, v111
	v_ashrrev_i32_e32 v28, 31, v28
	v_xor_b32_e32 v112, s20, v112
	v_cmp_gt_i32_e64 s20, 0, v111
	v_and_b32_e32 v22, v22, v110
	v_ashrrev_i32_e32 v109, 31, v109
	v_xor_b32_e32 v28, vcc_lo, v28
	v_mad_u32_u24 v110, v27, 36, v92
	v_mul_u32_u24_e32 v27, 36, v27
	v_and_b32_e32 v22, v22, v112
	v_xor_b32_e32 v111, s20, v109
	ds_read_b32 v109, v110 offset:1056
	v_add_nc_u32_e32 v112, v92, v27
	v_and_b32_e32 v22, v22, v28
	; wave barrier
	v_and_b32_e32 v22, v22, v111
	v_mbcnt_lo_u32_b32 v111, v22, 0
	v_cmp_ne_u32_e64 s20, 0, v22
	v_cmp_eq_u32_e32 vcc_lo, 0, v111
	s_and_b32 s21, s20, vcc_lo
	s_and_saveexec_b32 s20, s21
	s_cbranch_execz .LBB1738_90
; %bb.89:                               ;   in Loop: Header=BB1738_64 Depth=2
	s_waitcnt lgkmcnt(0)
	v_bcnt_u32_b32 v22, v22, v109
	ds_write_b32 v112, v22 offset:1056
.LBB1738_90:                            ;   in Loop: Header=BB1738_64 Depth=2
	s_or_b32 exec_lo, exec_lo, s20
	v_cmp_gt_i16_e32 vcc_lo, 0, v26
	; wave barrier
	v_cndmask_b32_e64 v22, 0x7fff, 0, vcc_lo
	v_xor_b32_e32 v110, v22, v26
	v_cmp_ne_u16_e32 vcc_lo, 0x8000, v110
	v_cndmask_b32_e32 v22, 0x7fff, v110, vcc_lo
	v_lshrrev_b32_sdwa v22, s42, v22 dst_sel:DWORD dst_unused:UNUSED_PAD src0_sel:DWORD src1_sel:WORD_0
	v_and_b32_e32 v26, s43, v22
	v_and_b32_e32 v22, 1, v26
	v_lshlrev_b32_e32 v27, 30, v26
	v_lshlrev_b32_e32 v28, 29, v26
	;; [unrolled: 1-line block ×4, first 2 shown]
	v_add_co_u32 v22, s20, v22, -1
	v_cndmask_b32_e64 v114, 0, 1, s20
	v_not_b32_e32 v118, v27
	v_cmp_gt_i32_e64 s20, 0, v27
	v_not_b32_e32 v27, v28
	v_lshlrev_b32_e32 v116, 26, v26
	v_cmp_ne_u32_e32 vcc_lo, 0, v114
	v_ashrrev_i32_e32 v118, 31, v118
	v_lshlrev_b32_e32 v117, 25, v26
	v_ashrrev_i32_e32 v27, 31, v27
	v_lshlrev_b32_e32 v114, 24, v26
	v_xor_b32_e32 v22, vcc_lo, v22
	v_cmp_gt_i32_e32 vcc_lo, 0, v28
	v_not_b32_e32 v28, v113
	v_xor_b32_e32 v118, s20, v118
	v_cmp_gt_i32_e64 s20, 0, v113
	v_and_b32_e32 v22, exec_lo, v22
	v_not_b32_e32 v113, v115
	v_ashrrev_i32_e32 v28, 31, v28
	v_xor_b32_e32 v27, vcc_lo, v27
	v_cmp_gt_i32_e32 vcc_lo, 0, v115
	v_and_b32_e32 v22, v22, v118
	v_not_b32_e32 v115, v116
	v_ashrrev_i32_e32 v113, 31, v113
	v_xor_b32_e32 v28, s20, v28
	v_cmp_gt_i32_e64 s20, 0, v116
	v_and_b32_e32 v22, v22, v27
	v_not_b32_e32 v27, v117
	v_ashrrev_i32_e32 v115, 31, v115
	v_xor_b32_e32 v113, vcc_lo, v113
	v_cmp_gt_i32_e32 vcc_lo, 0, v117
	v_and_b32_e32 v22, v22, v28
	v_not_b32_e32 v28, v114
	v_ashrrev_i32_e32 v27, 31, v27
	v_xor_b32_e32 v115, s20, v115
	v_cmp_gt_i32_e64 s20, 0, v114
	v_and_b32_e32 v22, v22, v113
	v_ashrrev_i32_e32 v28, 31, v28
	v_xor_b32_e32 v27, vcc_lo, v27
	v_mad_u32_u24 v113, v26, 36, v92
	v_mul_u32_u24_e32 v26, 36, v26
	v_and_b32_e32 v22, v22, v115
	v_xor_b32_e32 v28, s20, v28
	ds_read_b32 v113, v113 offset:1056
	v_add_nc_u32_e32 v116, v92, v26
	v_and_b32_e32 v22, v22, v27
	; wave barrier
	v_and_b32_e32 v22, v22, v28
	v_mbcnt_lo_u32_b32 v115, v22, 0
	v_cmp_ne_u32_e64 s20, 0, v22
	v_cmp_eq_u32_e32 vcc_lo, 0, v115
	s_and_b32 s21, s20, vcc_lo
	s_and_saveexec_b32 s20, s21
	s_cbranch_execz .LBB1738_92
; %bb.91:                               ;   in Loop: Header=BB1738_64 Depth=2
	s_waitcnt lgkmcnt(0)
	v_bcnt_u32_b32 v22, v22, v113
	ds_write_b32 v116, v22 offset:1056
.LBB1738_92:                            ;   in Loop: Header=BB1738_64 Depth=2
	s_or_b32 exec_lo, exec_lo, s20
	v_cmp_gt_i16_e32 vcc_lo, 0, v25
	; wave barrier
	v_cndmask_b32_e64 v22, 0x7fff, 0, vcc_lo
	v_xor_b32_e32 v114, v22, v25
	v_cmp_ne_u16_e32 vcc_lo, 0x8000, v114
	v_cndmask_b32_e32 v22, 0x7fff, v114, vcc_lo
	v_lshrrev_b32_sdwa v22, s42, v22 dst_sel:DWORD dst_unused:UNUSED_PAD src0_sel:DWORD src1_sel:WORD_0
	v_and_b32_e32 v25, s43, v22
	v_and_b32_e32 v22, 1, v25
	v_lshlrev_b32_e32 v26, 30, v25
	v_lshlrev_b32_e32 v27, 29, v25
	;; [unrolled: 1-line block ×4, first 2 shown]
	v_add_co_u32 v22, s20, v22, -1
	v_cndmask_b32_e64 v117, 0, 1, s20
	v_not_b32_e32 v121, v26
	v_cmp_gt_i32_e64 s20, 0, v26
	v_not_b32_e32 v26, v27
	v_lshlrev_b32_e32 v119, 26, v25
	v_cmp_ne_u32_e32 vcc_lo, 0, v117
	v_ashrrev_i32_e32 v121, 31, v121
	v_lshlrev_b32_e32 v120, 25, v25
	v_ashrrev_i32_e32 v26, 31, v26
	v_lshlrev_b32_e32 v117, 24, v25
	v_xor_b32_e32 v22, vcc_lo, v22
	v_cmp_gt_i32_e32 vcc_lo, 0, v27
	v_not_b32_e32 v27, v28
	v_xor_b32_e32 v121, s20, v121
	v_cmp_gt_i32_e64 s20, 0, v28
	v_and_b32_e32 v22, exec_lo, v22
	v_not_b32_e32 v28, v118
	v_ashrrev_i32_e32 v27, 31, v27
	v_xor_b32_e32 v26, vcc_lo, v26
	v_cmp_gt_i32_e32 vcc_lo, 0, v118
	v_and_b32_e32 v22, v22, v121
	v_not_b32_e32 v118, v119
	v_ashrrev_i32_e32 v28, 31, v28
	v_xor_b32_e32 v27, s20, v27
	v_cmp_gt_i32_e64 s20, 0, v119
	v_and_b32_e32 v22, v22, v26
	v_not_b32_e32 v26, v120
	v_ashrrev_i32_e32 v118, 31, v118
	v_xor_b32_e32 v28, vcc_lo, v28
	v_cmp_gt_i32_e32 vcc_lo, 0, v120
	v_and_b32_e32 v22, v22, v27
	v_not_b32_e32 v27, v117
	v_ashrrev_i32_e32 v26, 31, v26
	v_xor_b32_e32 v118, s20, v118
	v_cmp_gt_i32_e64 s20, 0, v117
	v_and_b32_e32 v22, v22, v28
	v_ashrrev_i32_e32 v27, 31, v27
	v_xor_b32_e32 v26, vcc_lo, v26
	v_mad_u32_u24 v28, v25, 36, v92
	v_mul_u32_u24_e32 v25, 36, v25
	v_and_b32_e32 v22, v22, v118
	v_xor_b32_e32 v27, s20, v27
	ds_read_b32 v117, v28 offset:1056
	v_add_nc_u32_e32 v120, v92, v25
	v_and_b32_e32 v22, v22, v26
	; wave barrier
	v_and_b32_e32 v22, v22, v27
	v_mbcnt_lo_u32_b32 v119, v22, 0
	v_cmp_ne_u32_e64 s20, 0, v22
	v_cmp_eq_u32_e32 vcc_lo, 0, v119
	s_and_b32 s21, s20, vcc_lo
	s_and_saveexec_b32 s20, s21
	s_cbranch_execz .LBB1738_94
; %bb.93:                               ;   in Loop: Header=BB1738_64 Depth=2
	s_waitcnt lgkmcnt(0)
	v_bcnt_u32_b32 v22, v22, v117
	ds_write_b32 v120, v22 offset:1056
.LBB1738_94:                            ;   in Loop: Header=BB1738_64 Depth=2
	s_or_b32 exec_lo, exec_lo, s20
	v_cmp_gt_i16_e32 vcc_lo, 0, v24
	; wave barrier
	v_cndmask_b32_e64 v22, 0x7fff, 0, vcc_lo
	v_xor_b32_e32 v118, v22, v24
	v_cmp_ne_u16_e32 vcc_lo, 0x8000, v118
	v_cndmask_b32_e32 v22, 0x7fff, v118, vcc_lo
	v_lshrrev_b32_sdwa v22, s42, v22 dst_sel:DWORD dst_unused:UNUSED_PAD src0_sel:DWORD src1_sel:WORD_0
	v_and_b32_e32 v24, s43, v22
	v_and_b32_e32 v22, 1, v24
	v_lshlrev_b32_e32 v25, 30, v24
	v_lshlrev_b32_e32 v26, 29, v24
	;; [unrolled: 1-line block ×4, first 2 shown]
	v_add_co_u32 v22, s20, v22, -1
	v_cndmask_b32_e64 v28, 0, 1, s20
	v_not_b32_e32 v124, v25
	v_cmp_gt_i32_e64 s20, 0, v25
	v_not_b32_e32 v25, v26
	v_lshlrev_b32_e32 v122, 26, v24
	v_cmp_ne_u32_e32 vcc_lo, 0, v28
	v_ashrrev_i32_e32 v124, 31, v124
	v_lshlrev_b32_e32 v123, 25, v24
	v_ashrrev_i32_e32 v25, 31, v25
	v_lshlrev_b32_e32 v28, 24, v24
	v_xor_b32_e32 v22, vcc_lo, v22
	v_cmp_gt_i32_e32 vcc_lo, 0, v26
	v_not_b32_e32 v26, v27
	v_xor_b32_e32 v124, s20, v124
	v_cmp_gt_i32_e64 s20, 0, v27
	v_and_b32_e32 v22, exec_lo, v22
	v_not_b32_e32 v27, v121
	v_ashrrev_i32_e32 v26, 31, v26
	v_xor_b32_e32 v25, vcc_lo, v25
	v_cmp_gt_i32_e32 vcc_lo, 0, v121
	v_and_b32_e32 v22, v22, v124
	v_not_b32_e32 v121, v122
	v_ashrrev_i32_e32 v27, 31, v27
	v_xor_b32_e32 v26, s20, v26
	v_cmp_gt_i32_e64 s20, 0, v122
	v_and_b32_e32 v22, v22, v25
	v_not_b32_e32 v25, v123
	v_ashrrev_i32_e32 v121, 31, v121
	v_xor_b32_e32 v27, vcc_lo, v27
	v_cmp_gt_i32_e32 vcc_lo, 0, v123
	v_and_b32_e32 v22, v22, v26
	v_not_b32_e32 v26, v28
	v_ashrrev_i32_e32 v25, 31, v25
	v_xor_b32_e32 v121, s20, v121
	v_cmp_gt_i32_e64 s20, 0, v28
	v_and_b32_e32 v22, v22, v27
	v_ashrrev_i32_e32 v26, 31, v26
	v_xor_b32_e32 v25, vcc_lo, v25
	v_mad_u32_u24 v27, v24, 36, v92
	v_mul_u32_u24_e32 v24, 36, v24
	v_and_b32_e32 v22, v22, v121
	v_xor_b32_e32 v26, s20, v26
	ds_read_b32 v121, v27 offset:1056
	v_add_nc_u32_e32 v124, v92, v24
	v_and_b32_e32 v22, v22, v25
	; wave barrier
	v_and_b32_e32 v22, v22, v26
	v_mbcnt_lo_u32_b32 v123, v22, 0
	v_cmp_ne_u32_e64 s20, 0, v22
	v_cmp_eq_u32_e32 vcc_lo, 0, v123
	s_and_b32 s21, s20, vcc_lo
	s_and_saveexec_b32 s20, s21
	s_cbranch_execz .LBB1738_96
; %bb.95:                               ;   in Loop: Header=BB1738_64 Depth=2
	s_waitcnt lgkmcnt(0)
	v_bcnt_u32_b32 v22, v22, v121
	ds_write_b32 v124, v22 offset:1056
.LBB1738_96:                            ;   in Loop: Header=BB1738_64 Depth=2
	s_or_b32 exec_lo, exec_lo, s20
	v_cmp_gt_i16_e32 vcc_lo, 0, v23
	; wave barrier
	v_cndmask_b32_e64 v22, 0x7fff, 0, vcc_lo
	v_xor_b32_e32 v122, v22, v23
	v_cmp_ne_u16_e32 vcc_lo, 0x8000, v122
	v_cndmask_b32_e32 v22, 0x7fff, v122, vcc_lo
	v_lshrrev_b32_sdwa v22, s42, v22 dst_sel:DWORD dst_unused:UNUSED_PAD src0_sel:DWORD src1_sel:WORD_0
	v_and_b32_e32 v23, s43, v22
	v_and_b32_e32 v22, 1, v23
	v_lshlrev_b32_e32 v24, 30, v23
	v_lshlrev_b32_e32 v25, 29, v23
	;; [unrolled: 1-line block ×4, first 2 shown]
	v_add_co_u32 v22, s20, v22, -1
	v_cndmask_b32_e64 v27, 0, 1, s20
	v_not_b32_e32 v127, v24
	v_cmp_gt_i32_e64 s20, 0, v24
	v_not_b32_e32 v24, v25
	v_lshlrev_b32_e32 v125, 26, v23
	v_cmp_ne_u32_e32 vcc_lo, 0, v27
	v_ashrrev_i32_e32 v127, 31, v127
	v_lshlrev_b32_e32 v126, 25, v23
	v_ashrrev_i32_e32 v24, 31, v24
	v_lshlrev_b32_e32 v27, 24, v23
	v_xor_b32_e32 v22, vcc_lo, v22
	v_cmp_gt_i32_e32 vcc_lo, 0, v25
	v_not_b32_e32 v25, v26
	v_xor_b32_e32 v127, s20, v127
	v_cmp_gt_i32_e64 s20, 0, v26
	v_and_b32_e32 v22, exec_lo, v22
	v_not_b32_e32 v26, v28
	v_ashrrev_i32_e32 v25, 31, v25
	v_xor_b32_e32 v24, vcc_lo, v24
	v_cmp_gt_i32_e32 vcc_lo, 0, v28
	v_and_b32_e32 v22, v22, v127
	v_not_b32_e32 v28, v125
	v_ashrrev_i32_e32 v26, 31, v26
	v_xor_b32_e32 v25, s20, v25
	v_cmp_gt_i32_e64 s20, 0, v125
	v_and_b32_e32 v22, v22, v24
	v_not_b32_e32 v24, v126
	v_ashrrev_i32_e32 v28, 31, v28
	v_xor_b32_e32 v26, vcc_lo, v26
	v_cmp_gt_i32_e32 vcc_lo, 0, v126
	v_and_b32_e32 v22, v22, v25
	v_not_b32_e32 v25, v27
	v_ashrrev_i32_e32 v24, 31, v24
	v_xor_b32_e32 v28, s20, v28
	v_cmp_gt_i32_e64 s20, 0, v27
	v_and_b32_e32 v22, v22, v26
	v_ashrrev_i32_e32 v25, 31, v25
	v_xor_b32_e32 v24, vcc_lo, v24
	v_mad_u32_u24 v26, v23, 36, v92
	v_mul_u32_u24_e32 v23, 36, v23
	v_and_b32_e32 v22, v22, v28
	v_xor_b32_e32 v25, s20, v25
	ds_read_b32 v125, v26 offset:1056
	v_add_nc_u32_e32 v128, v92, v23
	v_and_b32_e32 v22, v22, v24
	; wave barrier
	v_and_b32_e32 v22, v22, v25
	v_mbcnt_lo_u32_b32 v127, v22, 0
	v_cmp_ne_u32_e64 s20, 0, v22
	v_cmp_eq_u32_e32 vcc_lo, 0, v127
	s_and_b32 s21, s20, vcc_lo
	s_and_saveexec_b32 s20, s21
	s_cbranch_execz .LBB1738_98
; %bb.97:                               ;   in Loop: Header=BB1738_64 Depth=2
	s_waitcnt lgkmcnt(0)
	v_bcnt_u32_b32 v22, v22, v125
	ds_write_b32 v128, v22 offset:1056
.LBB1738_98:                            ;   in Loop: Header=BB1738_64 Depth=2
	s_or_b32 exec_lo, exec_lo, s20
	v_cmp_gt_i16_e32 vcc_lo, 0, v21
	; wave barrier
	v_cndmask_b32_e64 v22, 0x7fff, 0, vcc_lo
	v_xor_b32_e32 v126, v22, v21
	v_cmp_ne_u16_e32 vcc_lo, 0x8000, v126
	v_cndmask_b32_e32 v21, 0x7fff, v126, vcc_lo
	v_lshrrev_b32_sdwa v21, s42, v21 dst_sel:DWORD dst_unused:UNUSED_PAD src0_sel:DWORD src1_sel:WORD_0
	v_and_b32_e32 v22, s43, v21
	v_and_b32_e32 v21, 1, v22
	v_lshlrev_b32_e32 v23, 30, v22
	v_lshlrev_b32_e32 v24, 29, v22
	;; [unrolled: 1-line block ×4, first 2 shown]
	v_add_co_u32 v21, s20, v21, -1
	v_cndmask_b32_e64 v26, 0, 1, s20
	v_not_b32_e32 v130, v23
	v_cmp_gt_i32_e64 s20, 0, v23
	v_not_b32_e32 v23, v24
	v_lshlrev_b32_e32 v28, 26, v22
	v_cmp_ne_u32_e32 vcc_lo, 0, v26
	v_ashrrev_i32_e32 v130, 31, v130
	v_lshlrev_b32_e32 v129, 25, v22
	v_ashrrev_i32_e32 v23, 31, v23
	v_lshlrev_b32_e32 v26, 24, v22
	v_xor_b32_e32 v21, vcc_lo, v21
	v_cmp_gt_i32_e32 vcc_lo, 0, v24
	v_not_b32_e32 v24, v25
	v_xor_b32_e32 v130, s20, v130
	v_cmp_gt_i32_e64 s20, 0, v25
	v_and_b32_e32 v21, exec_lo, v21
	v_not_b32_e32 v25, v27
	v_ashrrev_i32_e32 v24, 31, v24
	v_xor_b32_e32 v23, vcc_lo, v23
	v_cmp_gt_i32_e32 vcc_lo, 0, v27
	v_and_b32_e32 v21, v21, v130
	v_not_b32_e32 v27, v28
	v_ashrrev_i32_e32 v25, 31, v25
	v_xor_b32_e32 v24, s20, v24
	v_cmp_gt_i32_e64 s20, 0, v28
	v_and_b32_e32 v21, v21, v23
	v_not_b32_e32 v23, v129
	v_ashrrev_i32_e32 v27, 31, v27
	v_xor_b32_e32 v25, vcc_lo, v25
	v_cmp_gt_i32_e32 vcc_lo, 0, v129
	v_and_b32_e32 v21, v21, v24
	v_not_b32_e32 v24, v26
	v_ashrrev_i32_e32 v23, 31, v23
	v_xor_b32_e32 v27, s20, v27
	v_cmp_gt_i32_e64 s20, 0, v26
	v_and_b32_e32 v21, v21, v25
	v_ashrrev_i32_e32 v24, 31, v24
	v_xor_b32_e32 v23, vcc_lo, v23
	v_mad_u32_u24 v25, v22, 36, v92
	v_mul_u32_u24_e32 v22, 36, v22
	v_and_b32_e32 v21, v21, v27
	v_xor_b32_e32 v24, s20, v24
	ds_read_b32 v129, v25 offset:1056
	v_add_nc_u32_e32 v131, v92, v22
	v_and_b32_e32 v21, v21, v23
	; wave barrier
	v_and_b32_e32 v21, v21, v24
	v_mbcnt_lo_u32_b32 v130, v21, 0
	v_cmp_ne_u32_e64 s20, 0, v21
	v_cmp_eq_u32_e32 vcc_lo, 0, v130
	s_and_b32 s21, s20, vcc_lo
	s_and_saveexec_b32 s20, s21
	s_cbranch_execz .LBB1738_100
; %bb.99:                               ;   in Loop: Header=BB1738_64 Depth=2
	s_waitcnt lgkmcnt(0)
	v_bcnt_u32_b32 v21, v21, v129
	ds_write_b32 v131, v21 offset:1056
.LBB1738_100:                           ;   in Loop: Header=BB1738_64 Depth=2
	s_or_b32 exec_lo, exec_lo, s20
	; wave barrier
	s_waitcnt lgkmcnt(0)
	s_barrier
	buffer_gl0_inv
	ds_read2_b32 v[27:28], v78 offset1:1
	ds_read2_b32 v[25:26], v88 offset1:1
	ds_read2_b32 v[23:24], v89 offset1:1
	ds_read2_b32 v[21:22], v90 offset1:1
	ds_read_b32 v132, v44 offset:1088
	s_waitcnt lgkmcnt(3)
	v_add3_u32 v133, v28, v27, v25
	s_waitcnt lgkmcnt(2)
	v_add3_u32 v133, v133, v26, v23
	;; [unrolled: 2-line block ×4, first 2 shown]
	v_mov_b32_dpp v133, v132 row_shr:1 row_mask:0xf bank_mask:0xf
	v_cndmask_b32_e64 v133, v133, 0, s5
	v_add_nc_u32_e32 v132, v133, v132
	v_mov_b32_dpp v133, v132 row_shr:2 row_mask:0xf bank_mask:0xf
	v_cndmask_b32_e64 v133, 0, v133, s13
	v_add_nc_u32_e32 v132, v132, v133
	v_mov_b32_dpp v133, v132 row_shr:4 row_mask:0xf bank_mask:0xf
	v_cndmask_b32_e64 v133, 0, v133, s14
	v_add_nc_u32_e32 v132, v132, v133
	v_mov_b32_dpp v133, v132 row_shr:8 row_mask:0xf bank_mask:0xf
	v_cndmask_b32_e64 v133, 0, v133, s15
	v_add_nc_u32_e32 v132, v132, v133
	ds_swizzle_b32 v133, v132 offset:swizzle(BROADCAST,32,15)
	s_waitcnt lgkmcnt(0)
	v_cndmask_b32_e64 v133, v133, 0, s16
	v_add_nc_u32_e32 v132, v132, v133
	s_and_saveexec_b32 s20, s8
; %bb.101:                              ;   in Loop: Header=BB1738_64 Depth=2
	ds_write_b32 v39, v132 offset:1024
; %bb.102:                              ;   in Loop: Header=BB1738_64 Depth=2
	s_or_b32 exec_lo, exec_lo, s20
	s_waitcnt lgkmcnt(0)
	s_barrier
	buffer_gl0_inv
	s_and_saveexec_b32 s20, s9
	s_cbranch_execz .LBB1738_104
; %bb.103:                              ;   in Loop: Header=BB1738_64 Depth=2
	ds_read_b32 v133, v46 offset:1024
	s_waitcnt lgkmcnt(0)
	v_mov_b32_dpp v134, v133 row_shr:1 row_mask:0xf bank_mask:0xf
	v_cndmask_b32_e64 v134, v134, 0, s17
	v_add_nc_u32_e32 v133, v134, v133
	v_mov_b32_dpp v134, v133 row_shr:2 row_mask:0xf bank_mask:0xf
	v_cndmask_b32_e64 v134, 0, v134, s18
	v_add_nc_u32_e32 v133, v133, v134
	;; [unrolled: 3-line block ×3, first 2 shown]
	ds_write_b32 v46, v133 offset:1024
.LBB1738_104:                           ;   in Loop: Header=BB1738_64 Depth=2
	s_or_b32 exec_lo, exec_lo, s20
	v_mov_b32_e32 v133, 0
	s_waitcnt lgkmcnt(0)
	s_barrier
	buffer_gl0_inv
	s_and_saveexec_b32 s20, s10
; %bb.105:                              ;   in Loop: Header=BB1738_64 Depth=2
	ds_read_b32 v133, v39 offset:1020
; %bb.106:                              ;   in Loop: Header=BB1738_64 Depth=2
	s_or_b32 exec_lo, exec_lo, s20
	s_waitcnt lgkmcnt(0)
	v_add_nc_u32_e32 v132, v133, v132
	ds_bpermute_b32 v132, v91, v132
	s_waitcnt lgkmcnt(0)
	v_cndmask_b32_e64 v132, v132, v133, s12
	v_cndmask_b32_e64 v132, v132, 0, s4
	v_add_nc_u32_e32 v27, v132, v27
	v_add_nc_u32_e32 v28, v27, v28
	;; [unrolled: 1-line block ×8, first 2 shown]
	ds_write2_b32 v78, v132, v27 offset1:1
	ds_write2_b32 v88, v28, v25 offset1:1
	ds_write2_b32 v89, v26, v23 offset1:1
	ds_write2_b32 v90, v24, v21 offset1:1
	ds_write_b32 v44, v22 offset:1088
	s_waitcnt lgkmcnt(0)
	s_barrier
	buffer_gl0_inv
	ds_read_b32 v24, v104 offset:1056
	ds_read_b32 v25, v108 offset:1056
	;; [unrolled: 1-line block ×9, first 2 shown]
	v_mov_b32_e32 v23, 0x800
	s_and_saveexec_b32 s20, s11
; %bb.107:                              ;   in Loop: Header=BB1738_64 Depth=2
	ds_read_b32 v23, v44 offset:1092
; %bb.108:                              ;   in Loop: Header=BB1738_64 Depth=2
	s_or_b32 exec_lo, exec_lo, s20
	s_waitcnt lgkmcnt(0)
	s_barrier
	buffer_gl0_inv
	s_and_saveexec_b32 s20, s7
	s_cbranch_execz .LBB1738_110
; %bb.109:                              ;   in Loop: Header=BB1738_64 Depth=2
	ds_read_b32 v108, v29
	s_waitcnt lgkmcnt(0)
	v_sub_nc_u32_e32 v104, v108, v104
	ds_write_b32 v29, v104
.LBB1738_110:                           ;   in Loop: Header=BB1738_64 Depth=2
	s_or_b32 exec_lo, exec_lo, s20
	v_add_nc_u32_e32 v108, v24, v102
	v_add3_u32 v104, v106, v105, v25
	v_add3_u32 v102, v111, v109, v26
	v_add3_u32 v26, v115, v113, v27
	v_add3_u32 v25, v119, v117, v28
	v_lshlrev_b32_e32 v105, 1, v108
	v_lshlrev_b32_e32 v106, 1, v104
	v_add3_u32 v27, v127, v125, v22
	v_lshlrev_b32_e32 v22, 1, v102
	v_add3_u32 v28, v130, v129, v21
	ds_write_b16 v105, v3 offset:1024
	ds_write_b16 v106, v103 offset:1024
	v_lshlrev_b32_e32 v3, 1, v26
	v_add3_u32 v24, v123, v121, v112
	ds_write_b16 v22, v107 offset:1024
	v_lshlrev_b32_e32 v21, 1, v25
	v_cmp_lt_u32_e32 vcc_lo, v0, v101
	ds_write_b16 v3, v110 offset:1024
	v_lshlrev_b32_e32 v3, 1, v28
	v_lshlrev_b32_e32 v22, 1, v24
	;; [unrolled: 1-line block ×3, first 2 shown]
	ds_write_b16 v21, v114 offset:1024
	ds_write_b16 v22, v118 offset:1024
	;; [unrolled: 1-line block ×4, first 2 shown]
	s_waitcnt lgkmcnt(0)
	s_barrier
	buffer_gl0_inv
	s_and_saveexec_b32 s21, vcc_lo
	s_cbranch_execnz .LBB1738_147
; %bb.111:                              ;   in Loop: Header=BB1738_64 Depth=2
	s_or_b32 exec_lo, exec_lo, s21
	v_cmp_lt_u32_e64 s20, v30, v101
	s_and_saveexec_b32 s22, s20
	s_cbranch_execnz .LBB1738_148
.LBB1738_112:                           ;   in Loop: Header=BB1738_64 Depth=2
	s_or_b32 exec_lo, exec_lo, s22
	v_cmp_lt_u32_e64 s21, v31, v101
	s_and_saveexec_b32 s23, s21
	s_cbranch_execnz .LBB1738_149
.LBB1738_113:                           ;   in Loop: Header=BB1738_64 Depth=2
	s_or_b32 exec_lo, exec_lo, s23
	v_cmp_lt_u32_e64 s22, v32, v101
	s_and_saveexec_b32 s24, s22
	s_cbranch_execnz .LBB1738_150
.LBB1738_114:                           ;   in Loop: Header=BB1738_64 Depth=2
	s_or_b32 exec_lo, exec_lo, s24
	v_cmp_lt_u32_e64 s23, v35, v101
	s_and_saveexec_b32 s25, s23
	s_cbranch_execnz .LBB1738_151
.LBB1738_115:                           ;   in Loop: Header=BB1738_64 Depth=2
	s_or_b32 exec_lo, exec_lo, s25
	v_cmp_lt_u32_e64 s24, v36, v101
	s_and_saveexec_b32 s26, s24
	s_cbranch_execnz .LBB1738_152
.LBB1738_116:                           ;   in Loop: Header=BB1738_64 Depth=2
	s_or_b32 exec_lo, exec_lo, s26
	v_cmp_lt_u32_e64 s25, v37, v101
	s_and_saveexec_b32 s28, s25
	s_cbranch_execnz .LBB1738_153
.LBB1738_117:                           ;   in Loop: Header=BB1738_64 Depth=2
	s_or_b32 exec_lo, exec_lo, s28
	v_cmp_lt_u32_e64 s26, v38, v101
	s_and_saveexec_b32 s54, s26
	s_cbranch_execz .LBB1738_119
.LBB1738_118:                           ;   in Loop: Header=BB1738_64 Depth=2
	ds_read_u16 v103, v47 offset:4608
	s_waitcnt lgkmcnt(0)
	v_cmp_ne_u16_e64 s28, 0x8000, v103
	v_cndmask_b32_e64 v3, 0x7fff, v103, s28
	v_cmp_gt_i16_e64 s28, 0, v103
	v_lshrrev_b32_sdwa v3, s42, v3 dst_sel:DWORD dst_unused:UNUSED_PAD src0_sel:DWORD src1_sel:WORD_0
	v_cndmask_b32_e64 v105, 0x7fff, 0, s28
	v_and_b32_e32 v3, s43, v3
	v_lshlrev_b32_e32 v3, 2, v3
	ds_read_b32 v3, v3
	s_waitcnt lgkmcnt(0)
	v_add_nc_u32_e32 v3, v3, v38
	v_lshlrev_b64 v[21:22], 1, v[3:4]
	v_xor_b32_e32 v3, v105, v103
	v_add_co_u32 v21, s28, s38, v21
	v_add_co_ci_u32_e64 v22, null, s39, v22, s28
	global_store_short v[21:22], v3, off
.LBB1738_119:                           ;   in Loop: Header=BB1738_64 Depth=2
	s_or_b32 exec_lo, exec_lo, s54
	s_lshl_b64 s[54:55], s[34:35], 3
	v_add_co_u32 v21, s28, v83, s54
	v_add_co_ci_u32_e64 v22, null, s55, v84, s28
	v_cmp_lt_u32_e64 s28, v66, v101
	s_and_saveexec_b32 s34, s28
	s_xor_b32 s28, exec_lo, s34
	s_cbranch_execnz .LBB1738_154
; %bb.120:                              ;   in Loop: Header=BB1738_64 Depth=2
	s_or_b32 exec_lo, exec_lo, s28
	s_mov_b32 s34, exec_lo
	v_cmpx_lt_u32_e64 v70, v101
	s_cbranch_execnz .LBB1738_155
.LBB1738_121:                           ;   in Loop: Header=BB1738_64 Depth=2
	s_or_b32 exec_lo, exec_lo, s34
	s_mov_b32 s34, exec_lo
	v_cmpx_lt_u32_e64 v71, v101
	s_cbranch_execnz .LBB1738_156
.LBB1738_122:                           ;   in Loop: Header=BB1738_64 Depth=2
	s_or_b32 exec_lo, exec_lo, s34
	s_mov_b32 s34, exec_lo
	v_cmpx_lt_u32_e64 v72, v101
	s_cbranch_execnz .LBB1738_157
.LBB1738_123:                           ;   in Loop: Header=BB1738_64 Depth=2
	s_or_b32 exec_lo, exec_lo, s34
	s_mov_b32 s34, exec_lo
	v_cmpx_lt_u32_e64 v73, v101
	s_cbranch_execnz .LBB1738_158
.LBB1738_124:                           ;   in Loop: Header=BB1738_64 Depth=2
	s_or_b32 exec_lo, exec_lo, s34
	s_mov_b32 s34, exec_lo
	v_cmpx_lt_u32_e64 v74, v101
	s_cbranch_execnz .LBB1738_159
.LBB1738_125:                           ;   in Loop: Header=BB1738_64 Depth=2
	s_or_b32 exec_lo, exec_lo, s34
	s_mov_b32 s34, exec_lo
	v_cmpx_lt_u32_e64 v75, v101
	s_cbranch_execnz .LBB1738_160
.LBB1738_126:                           ;   in Loop: Header=BB1738_64 Depth=2
	s_or_b32 exec_lo, exec_lo, s34
	s_mov_b32 s34, exec_lo
	v_cmpx_lt_u32_e64 v76, v101
	s_cbranch_execnz .LBB1738_161
.LBB1738_127:                           ;   in Loop: Header=BB1738_64 Depth=2
	s_or_b32 exec_lo, exec_lo, s34
	s_and_saveexec_b32 s34, vcc_lo
	s_cbranch_execnz .LBB1738_162
.LBB1738_128:                           ;   in Loop: Header=BB1738_64 Depth=2
	s_or_b32 exec_lo, exec_lo, s34
	s_and_saveexec_b32 s34, s20
	s_cbranch_execnz .LBB1738_163
.LBB1738_129:                           ;   in Loop: Header=BB1738_64 Depth=2
	s_or_b32 exec_lo, exec_lo, s34
	s_and_saveexec_b32 s34, s21
	s_cbranch_execnz .LBB1738_164
.LBB1738_130:                           ;   in Loop: Header=BB1738_64 Depth=2
	s_or_b32 exec_lo, exec_lo, s34
	s_and_saveexec_b32 s34, s22
	s_cbranch_execnz .LBB1738_165
.LBB1738_131:                           ;   in Loop: Header=BB1738_64 Depth=2
	s_or_b32 exec_lo, exec_lo, s34
	s_and_saveexec_b32 s34, s23
	s_cbranch_execnz .LBB1738_166
.LBB1738_132:                           ;   in Loop: Header=BB1738_64 Depth=2
	s_or_b32 exec_lo, exec_lo, s34
	s_and_saveexec_b32 s34, s24
	s_cbranch_execnz .LBB1738_167
.LBB1738_133:                           ;   in Loop: Header=BB1738_64 Depth=2
	s_or_b32 exec_lo, exec_lo, s34
	s_and_saveexec_b32 s34, s25
	s_cbranch_execnz .LBB1738_168
.LBB1738_134:                           ;   in Loop: Header=BB1738_64 Depth=2
	s_or_b32 exec_lo, exec_lo, s34
	s_and_saveexec_b32 s34, s26
	s_cbranch_execz .LBB1738_136
.LBB1738_135:                           ;   in Loop: Header=BB1738_64 Depth=2
	ds_read_u16 v3, v47 offset:4608
	s_waitcnt lgkmcnt(0)
	v_cmp_ne_u16_e64 s28, 0x8000, v3
	v_cndmask_b32_e64 v3, 0x7fff, v3, s28
	v_lshrrev_b32_sdwa v3, s42, v3 dst_sel:DWORD dst_unused:UNUSED_PAD src0_sel:DWORD src1_sel:WORD_0
	v_and_b32_e32 v93, s43, v3
.LBB1738_136:                           ;   in Loop: Header=BB1738_64 Depth=2
	s_or_b32 exec_lo, exec_lo, s34
	v_lshlrev_b32_e32 v3, 3, v108
	v_lshlrev_b32_e32 v21, 3, v104
	;; [unrolled: 1-line block ×3, first 2 shown]
	s_waitcnt vmcnt(0)
	s_waitcnt_vscnt null, 0x0
	s_barrier
	buffer_gl0_inv
	ds_write_b64 v3, v[19:20] offset:1024
	ds_write_b64 v21, v[17:18] offset:1024
	;; [unrolled: 1-line block ×3, first 2 shown]
	v_lshlrev_b32_e32 v3, 3, v26
	v_lshlrev_b32_e32 v21, 3, v25
	;; [unrolled: 1-line block ×5, first 2 shown]
	ds_write_b64 v3, v[13:14] offset:1024
	ds_write_b64 v21, v[11:12] offset:1024
	;; [unrolled: 1-line block ×5, first 2 shown]
	s_waitcnt lgkmcnt(0)
	s_barrier
	buffer_gl0_inv
	s_and_saveexec_b32 s28, vcc_lo
	s_cbranch_execnz .LBB1738_169
; %bb.137:                              ;   in Loop: Header=BB1738_64 Depth=2
	s_or_b32 exec_lo, exec_lo, s28
	s_and_saveexec_b32 s28, s20
	s_cbranch_execnz .LBB1738_170
.LBB1738_138:                           ;   in Loop: Header=BB1738_64 Depth=2
	s_or_b32 exec_lo, exec_lo, s28
	s_and_saveexec_b32 s20, s21
	s_cbranch_execnz .LBB1738_171
.LBB1738_139:                           ;   in Loop: Header=BB1738_64 Depth=2
	s_or_b32 exec_lo, exec_lo, s20
	s_and_saveexec_b32 s20, s22
	s_cbranch_execnz .LBB1738_172
.LBB1738_140:                           ;   in Loop: Header=BB1738_64 Depth=2
	s_or_b32 exec_lo, exec_lo, s20
	s_and_saveexec_b32 s20, s23
	s_cbranch_execnz .LBB1738_173
.LBB1738_141:                           ;   in Loop: Header=BB1738_64 Depth=2
	s_or_b32 exec_lo, exec_lo, s20
	s_and_saveexec_b32 s20, s24
	s_cbranch_execnz .LBB1738_174
.LBB1738_142:                           ;   in Loop: Header=BB1738_64 Depth=2
	s_or_b32 exec_lo, exec_lo, s20
	s_and_saveexec_b32 s20, s25
	s_cbranch_execnz .LBB1738_175
.LBB1738_143:                           ;   in Loop: Header=BB1738_64 Depth=2
	s_or_b32 exec_lo, exec_lo, s20
	s_and_saveexec_b32 s20, s26
	s_cbranch_execz .LBB1738_145
.LBB1738_144:                           ;   in Loop: Header=BB1738_64 Depth=2
	v_lshlrev_b32_e32 v3, 2, v93
	v_add_nc_u32_e32 v21, v47, v48
	ds_read_b32 v3, v3
	ds_read_b64 v[21:22], v21 offset:15360
	s_waitcnt lgkmcnt(1)
	v_add_nc_u32_e32 v3, v3, v38
	v_lshlrev_b64 v[24:25], 3, v[3:4]
	v_add_co_u32 v24, vcc_lo, s44, v24
	v_add_co_ci_u32_e64 v25, null, s45, v25, vcc_lo
	s_waitcnt lgkmcnt(0)
	global_store_dwordx2 v[24:25], v[21:22], off
.LBB1738_145:                           ;   in Loop: Header=BB1738_64 Depth=2
	s_or_b32 exec_lo, exec_lo, s20
	s_waitcnt_vscnt null, 0x0
	s_barrier
	buffer_gl0_inv
	s_and_saveexec_b32 s20, s7
	s_cbranch_execz .LBB1738_63
; %bb.146:                              ;   in Loop: Header=BB1738_64 Depth=2
	ds_read_b32 v3, v29
	s_waitcnt lgkmcnt(0)
	v_add_nc_u32_e32 v3, v3, v23
	ds_write_b32 v29, v3
	s_branch .LBB1738_63
.LBB1738_147:                           ;   in Loop: Header=BB1738_64 Depth=2
	ds_read_u16 v103, v47 offset:1024
	s_waitcnt lgkmcnt(0)
	v_cmp_ne_u16_e64 s20, 0x8000, v103
	v_cndmask_b32_e64 v3, 0x7fff, v103, s20
	v_cmp_gt_i16_e64 s20, 0, v103
	v_lshrrev_b32_sdwa v3, s42, v3 dst_sel:DWORD dst_unused:UNUSED_PAD src0_sel:DWORD src1_sel:WORD_0
	v_cndmask_b32_e64 v105, 0x7fff, 0, s20
	v_and_b32_e32 v3, s43, v3
	v_lshlrev_b32_e32 v3, 2, v3
	ds_read_b32 v3, v3
	s_waitcnt lgkmcnt(0)
	v_add_nc_u32_e32 v3, v3, v0
	v_lshlrev_b64 v[21:22], 1, v[3:4]
	v_xor_b32_e32 v3, v105, v103
	v_add_co_u32 v21, s20, s38, v21
	v_add_co_ci_u32_e64 v22, null, s39, v22, s20
	global_store_short v[21:22], v3, off
	s_or_b32 exec_lo, exec_lo, s21
	v_cmp_lt_u32_e64 s20, v30, v101
	s_and_saveexec_b32 s22, s20
	s_cbranch_execz .LBB1738_112
.LBB1738_148:                           ;   in Loop: Header=BB1738_64 Depth=2
	ds_read_u16 v103, v47 offset:1536
	s_waitcnt lgkmcnt(0)
	v_cmp_ne_u16_e64 s21, 0x8000, v103
	v_cndmask_b32_e64 v3, 0x7fff, v103, s21
	v_cmp_gt_i16_e64 s21, 0, v103
	v_lshrrev_b32_sdwa v3, s42, v3 dst_sel:DWORD dst_unused:UNUSED_PAD src0_sel:DWORD src1_sel:WORD_0
	v_cndmask_b32_e64 v105, 0x7fff, 0, s21
	v_and_b32_e32 v3, s43, v3
	v_lshlrev_b32_e32 v3, 2, v3
	ds_read_b32 v3, v3
	s_waitcnt lgkmcnt(0)
	v_add_nc_u32_e32 v3, v3, v30
	v_lshlrev_b64 v[21:22], 1, v[3:4]
	v_xor_b32_e32 v3, v105, v103
	v_add_co_u32 v21, s21, s38, v21
	v_add_co_ci_u32_e64 v22, null, s39, v22, s21
	global_store_short v[21:22], v3, off
	s_or_b32 exec_lo, exec_lo, s22
	v_cmp_lt_u32_e64 s21, v31, v101
	s_and_saveexec_b32 s23, s21
	s_cbranch_execz .LBB1738_113
.LBB1738_149:                           ;   in Loop: Header=BB1738_64 Depth=2
	ds_read_u16 v103, v47 offset:2048
	s_waitcnt lgkmcnt(0)
	v_cmp_ne_u16_e64 s22, 0x8000, v103
	v_cndmask_b32_e64 v3, 0x7fff, v103, s22
	v_cmp_gt_i16_e64 s22, 0, v103
	v_lshrrev_b32_sdwa v3, s42, v3 dst_sel:DWORD dst_unused:UNUSED_PAD src0_sel:DWORD src1_sel:WORD_0
	v_cndmask_b32_e64 v105, 0x7fff, 0, s22
	v_and_b32_e32 v3, s43, v3
	v_lshlrev_b32_e32 v3, 2, v3
	ds_read_b32 v3, v3
	s_waitcnt lgkmcnt(0)
	v_add_nc_u32_e32 v3, v3, v31
	v_lshlrev_b64 v[21:22], 1, v[3:4]
	v_xor_b32_e32 v3, v105, v103
	v_add_co_u32 v21, s22, s38, v21
	v_add_co_ci_u32_e64 v22, null, s39, v22, s22
	global_store_short v[21:22], v3, off
	s_or_b32 exec_lo, exec_lo, s23
	v_cmp_lt_u32_e64 s22, v32, v101
	s_and_saveexec_b32 s24, s22
	s_cbranch_execz .LBB1738_114
.LBB1738_150:                           ;   in Loop: Header=BB1738_64 Depth=2
	ds_read_u16 v103, v47 offset:2560
	s_waitcnt lgkmcnt(0)
	v_cmp_ne_u16_e64 s23, 0x8000, v103
	v_cndmask_b32_e64 v3, 0x7fff, v103, s23
	v_cmp_gt_i16_e64 s23, 0, v103
	v_lshrrev_b32_sdwa v3, s42, v3 dst_sel:DWORD dst_unused:UNUSED_PAD src0_sel:DWORD src1_sel:WORD_0
	v_cndmask_b32_e64 v105, 0x7fff, 0, s23
	v_and_b32_e32 v3, s43, v3
	v_lshlrev_b32_e32 v3, 2, v3
	ds_read_b32 v3, v3
	s_waitcnt lgkmcnt(0)
	v_add_nc_u32_e32 v3, v3, v32
	v_lshlrev_b64 v[21:22], 1, v[3:4]
	v_xor_b32_e32 v3, v105, v103
	v_add_co_u32 v21, s23, s38, v21
	v_add_co_ci_u32_e64 v22, null, s39, v22, s23
	global_store_short v[21:22], v3, off
	s_or_b32 exec_lo, exec_lo, s24
	v_cmp_lt_u32_e64 s23, v35, v101
	s_and_saveexec_b32 s25, s23
	s_cbranch_execz .LBB1738_115
.LBB1738_151:                           ;   in Loop: Header=BB1738_64 Depth=2
	ds_read_u16 v103, v47 offset:3072
	s_waitcnt lgkmcnt(0)
	v_cmp_ne_u16_e64 s24, 0x8000, v103
	v_cndmask_b32_e64 v3, 0x7fff, v103, s24
	v_cmp_gt_i16_e64 s24, 0, v103
	v_lshrrev_b32_sdwa v3, s42, v3 dst_sel:DWORD dst_unused:UNUSED_PAD src0_sel:DWORD src1_sel:WORD_0
	v_cndmask_b32_e64 v105, 0x7fff, 0, s24
	v_and_b32_e32 v3, s43, v3
	v_lshlrev_b32_e32 v3, 2, v3
	ds_read_b32 v3, v3
	s_waitcnt lgkmcnt(0)
	v_add_nc_u32_e32 v3, v3, v35
	v_lshlrev_b64 v[21:22], 1, v[3:4]
	v_xor_b32_e32 v3, v105, v103
	v_add_co_u32 v21, s24, s38, v21
	v_add_co_ci_u32_e64 v22, null, s39, v22, s24
	global_store_short v[21:22], v3, off
	s_or_b32 exec_lo, exec_lo, s25
	v_cmp_lt_u32_e64 s24, v36, v101
	s_and_saveexec_b32 s26, s24
	s_cbranch_execz .LBB1738_116
.LBB1738_152:                           ;   in Loop: Header=BB1738_64 Depth=2
	ds_read_u16 v103, v47 offset:3584
	s_waitcnt lgkmcnt(0)
	v_cmp_ne_u16_e64 s25, 0x8000, v103
	v_cndmask_b32_e64 v3, 0x7fff, v103, s25
	v_cmp_gt_i16_e64 s25, 0, v103
	v_lshrrev_b32_sdwa v3, s42, v3 dst_sel:DWORD dst_unused:UNUSED_PAD src0_sel:DWORD src1_sel:WORD_0
	v_cndmask_b32_e64 v105, 0x7fff, 0, s25
	v_and_b32_e32 v3, s43, v3
	v_lshlrev_b32_e32 v3, 2, v3
	ds_read_b32 v3, v3
	s_waitcnt lgkmcnt(0)
	v_add_nc_u32_e32 v3, v3, v36
	v_lshlrev_b64 v[21:22], 1, v[3:4]
	v_xor_b32_e32 v3, v105, v103
	v_add_co_u32 v21, s25, s38, v21
	v_add_co_ci_u32_e64 v22, null, s39, v22, s25
	global_store_short v[21:22], v3, off
	s_or_b32 exec_lo, exec_lo, s26
	v_cmp_lt_u32_e64 s25, v37, v101
	s_and_saveexec_b32 s28, s25
	s_cbranch_execz .LBB1738_117
.LBB1738_153:                           ;   in Loop: Header=BB1738_64 Depth=2
	ds_read_u16 v103, v47 offset:4096
	s_waitcnt lgkmcnt(0)
	v_cmp_ne_u16_e64 s26, 0x8000, v103
	v_cndmask_b32_e64 v3, 0x7fff, v103, s26
	v_cmp_gt_i16_e64 s26, 0, v103
	v_lshrrev_b32_sdwa v3, s42, v3 dst_sel:DWORD dst_unused:UNUSED_PAD src0_sel:DWORD src1_sel:WORD_0
	v_cndmask_b32_e64 v105, 0x7fff, 0, s26
	v_and_b32_e32 v3, s43, v3
	v_lshlrev_b32_e32 v3, 2, v3
	ds_read_b32 v3, v3
	s_waitcnt lgkmcnt(0)
	v_add_nc_u32_e32 v3, v3, v37
	v_lshlrev_b64 v[21:22], 1, v[3:4]
	v_xor_b32_e32 v3, v105, v103
	v_add_co_u32 v21, s26, s38, v21
	v_add_co_ci_u32_e64 v22, null, s39, v22, s26
	global_store_short v[21:22], v3, off
	s_or_b32 exec_lo, exec_lo, s28
	v_cmp_lt_u32_e64 s26, v38, v101
	s_and_saveexec_b32 s54, s26
	s_cbranch_execnz .LBB1738_118
	s_branch .LBB1738_119
.LBB1738_154:                           ;   in Loop: Header=BB1738_64 Depth=2
	global_load_dwordx2 v[19:20], v[21:22], off
	s_or_b32 exec_lo, exec_lo, s28
	s_mov_b32 s34, exec_lo
	v_cmpx_lt_u32_e64 v70, v101
	s_cbranch_execz .LBB1738_121
.LBB1738_155:                           ;   in Loop: Header=BB1738_64 Depth=2
	global_load_dwordx2 v[17:18], v[21:22], off offset:256
	s_or_b32 exec_lo, exec_lo, s34
	s_mov_b32 s34, exec_lo
	v_cmpx_lt_u32_e64 v71, v101
	s_cbranch_execz .LBB1738_122
.LBB1738_156:                           ;   in Loop: Header=BB1738_64 Depth=2
	global_load_dwordx2 v[15:16], v[21:22], off offset:512
	s_or_b32 exec_lo, exec_lo, s34
	s_mov_b32 s34, exec_lo
	v_cmpx_lt_u32_e64 v72, v101
	s_cbranch_execz .LBB1738_123
.LBB1738_157:                           ;   in Loop: Header=BB1738_64 Depth=2
	global_load_dwordx2 v[13:14], v[21:22], off offset:768
	s_or_b32 exec_lo, exec_lo, s34
	s_mov_b32 s34, exec_lo
	v_cmpx_lt_u32_e64 v73, v101
	s_cbranch_execz .LBB1738_124
.LBB1738_158:                           ;   in Loop: Header=BB1738_64 Depth=2
	global_load_dwordx2 v[11:12], v[21:22], off offset:1024
	s_or_b32 exec_lo, exec_lo, s34
	s_mov_b32 s34, exec_lo
	v_cmpx_lt_u32_e64 v74, v101
	s_cbranch_execz .LBB1738_125
.LBB1738_159:                           ;   in Loop: Header=BB1738_64 Depth=2
	global_load_dwordx2 v[9:10], v[21:22], off offset:1280
	s_or_b32 exec_lo, exec_lo, s34
	s_mov_b32 s34, exec_lo
	v_cmpx_lt_u32_e64 v75, v101
	s_cbranch_execz .LBB1738_126
.LBB1738_160:                           ;   in Loop: Header=BB1738_64 Depth=2
	global_load_dwordx2 v[7:8], v[21:22], off offset:1536
	s_or_b32 exec_lo, exec_lo, s34
	s_mov_b32 s34, exec_lo
	v_cmpx_lt_u32_e64 v76, v101
	s_cbranch_execz .LBB1738_127
.LBB1738_161:                           ;   in Loop: Header=BB1738_64 Depth=2
	global_load_dwordx2 v[5:6], v[21:22], off offset:1792
	s_or_b32 exec_lo, exec_lo, s34
	s_and_saveexec_b32 s34, vcc_lo
	s_cbranch_execz .LBB1738_128
.LBB1738_162:                           ;   in Loop: Header=BB1738_64 Depth=2
	ds_read_u16 v3, v47 offset:1024
	s_waitcnt lgkmcnt(0)
	v_cmp_ne_u16_e64 s28, 0x8000, v3
	v_cndmask_b32_e64 v3, 0x7fff, v3, s28
	v_lshrrev_b32_sdwa v3, s42, v3 dst_sel:DWORD dst_unused:UNUSED_PAD src0_sel:DWORD src1_sel:WORD_0
	v_and_b32_e32 v100, s43, v3
	s_or_b32 exec_lo, exec_lo, s34
	s_and_saveexec_b32 s34, s20
	s_cbranch_execz .LBB1738_129
.LBB1738_163:                           ;   in Loop: Header=BB1738_64 Depth=2
	ds_read_u16 v3, v47 offset:1536
	s_waitcnt lgkmcnt(0)
	v_cmp_ne_u16_e64 s28, 0x8000, v3
	v_cndmask_b32_e64 v3, 0x7fff, v3, s28
	v_lshrrev_b32_sdwa v3, s42, v3 dst_sel:DWORD dst_unused:UNUSED_PAD src0_sel:DWORD src1_sel:WORD_0
	v_and_b32_e32 v99, s43, v3
	s_or_b32 exec_lo, exec_lo, s34
	s_and_saveexec_b32 s34, s21
	s_cbranch_execz .LBB1738_130
.LBB1738_164:                           ;   in Loop: Header=BB1738_64 Depth=2
	ds_read_u16 v3, v47 offset:2048
	s_waitcnt lgkmcnt(0)
	v_cmp_ne_u16_e64 s28, 0x8000, v3
	v_cndmask_b32_e64 v3, 0x7fff, v3, s28
	v_lshrrev_b32_sdwa v3, s42, v3 dst_sel:DWORD dst_unused:UNUSED_PAD src0_sel:DWORD src1_sel:WORD_0
	v_and_b32_e32 v98, s43, v3
	s_or_b32 exec_lo, exec_lo, s34
	s_and_saveexec_b32 s34, s22
	s_cbranch_execz .LBB1738_131
.LBB1738_165:                           ;   in Loop: Header=BB1738_64 Depth=2
	ds_read_u16 v3, v47 offset:2560
	s_waitcnt lgkmcnt(0)
	v_cmp_ne_u16_e64 s28, 0x8000, v3
	v_cndmask_b32_e64 v3, 0x7fff, v3, s28
	v_lshrrev_b32_sdwa v3, s42, v3 dst_sel:DWORD dst_unused:UNUSED_PAD src0_sel:DWORD src1_sel:WORD_0
	v_and_b32_e32 v97, s43, v3
	s_or_b32 exec_lo, exec_lo, s34
	s_and_saveexec_b32 s34, s23
	s_cbranch_execz .LBB1738_132
.LBB1738_166:                           ;   in Loop: Header=BB1738_64 Depth=2
	ds_read_u16 v3, v47 offset:3072
	s_waitcnt lgkmcnt(0)
	v_cmp_ne_u16_e64 s28, 0x8000, v3
	v_cndmask_b32_e64 v3, 0x7fff, v3, s28
	v_lshrrev_b32_sdwa v3, s42, v3 dst_sel:DWORD dst_unused:UNUSED_PAD src0_sel:DWORD src1_sel:WORD_0
	v_and_b32_e32 v96, s43, v3
	s_or_b32 exec_lo, exec_lo, s34
	s_and_saveexec_b32 s34, s24
	s_cbranch_execz .LBB1738_133
.LBB1738_167:                           ;   in Loop: Header=BB1738_64 Depth=2
	ds_read_u16 v3, v47 offset:3584
	s_waitcnt lgkmcnt(0)
	v_cmp_ne_u16_e64 s28, 0x8000, v3
	v_cndmask_b32_e64 v3, 0x7fff, v3, s28
	v_lshrrev_b32_sdwa v3, s42, v3 dst_sel:DWORD dst_unused:UNUSED_PAD src0_sel:DWORD src1_sel:WORD_0
	v_and_b32_e32 v95, s43, v3
	s_or_b32 exec_lo, exec_lo, s34
	s_and_saveexec_b32 s34, s25
	s_cbranch_execz .LBB1738_134
.LBB1738_168:                           ;   in Loop: Header=BB1738_64 Depth=2
	ds_read_u16 v3, v47 offset:4096
	s_waitcnt lgkmcnt(0)
	v_cmp_ne_u16_e64 s28, 0x8000, v3
	v_cndmask_b32_e64 v3, 0x7fff, v3, s28
	v_lshrrev_b32_sdwa v3, s42, v3 dst_sel:DWORD dst_unused:UNUSED_PAD src0_sel:DWORD src1_sel:WORD_0
	v_and_b32_e32 v94, s43, v3
	s_or_b32 exec_lo, exec_lo, s34
	s_and_saveexec_b32 s34, s26
	s_cbranch_execnz .LBB1738_135
	s_branch .LBB1738_136
.LBB1738_169:                           ;   in Loop: Header=BB1738_64 Depth=2
	v_lshlrev_b32_e32 v3, 2, v100
	v_add_nc_u32_e32 v21, v47, v48
	ds_read_b32 v3, v3
	ds_read_b64 v[21:22], v21 offset:1024
	s_waitcnt lgkmcnt(1)
	v_add_nc_u32_e32 v3, v3, v0
	v_lshlrev_b64 v[24:25], 3, v[3:4]
	v_add_co_u32 v24, vcc_lo, s44, v24
	v_add_co_ci_u32_e64 v25, null, s45, v25, vcc_lo
	s_waitcnt lgkmcnt(0)
	global_store_dwordx2 v[24:25], v[21:22], off
	s_or_b32 exec_lo, exec_lo, s28
	s_and_saveexec_b32 s28, s20
	s_cbranch_execz .LBB1738_138
.LBB1738_170:                           ;   in Loop: Header=BB1738_64 Depth=2
	v_lshlrev_b32_e32 v3, 2, v99
	v_add_nc_u32_e32 v21, v47, v48
	ds_read_b32 v3, v3
	ds_read_b64 v[21:22], v21 offset:3072
	s_waitcnt lgkmcnt(1)
	v_add_nc_u32_e32 v3, v3, v30
	v_lshlrev_b64 v[24:25], 3, v[3:4]
	v_add_co_u32 v24, vcc_lo, s44, v24
	v_add_co_ci_u32_e64 v25, null, s45, v25, vcc_lo
	s_waitcnt lgkmcnt(0)
	global_store_dwordx2 v[24:25], v[21:22], off
	s_or_b32 exec_lo, exec_lo, s28
	s_and_saveexec_b32 s20, s21
	s_cbranch_execz .LBB1738_139
.LBB1738_171:                           ;   in Loop: Header=BB1738_64 Depth=2
	v_lshlrev_b32_e32 v3, 2, v98
	v_add_nc_u32_e32 v21, v47, v48
	ds_read_b32 v3, v3
	ds_read_b64 v[21:22], v21 offset:5120
	s_waitcnt lgkmcnt(1)
	v_add_nc_u32_e32 v3, v3, v31
	v_lshlrev_b64 v[24:25], 3, v[3:4]
	v_add_co_u32 v24, vcc_lo, s44, v24
	v_add_co_ci_u32_e64 v25, null, s45, v25, vcc_lo
	s_waitcnt lgkmcnt(0)
	global_store_dwordx2 v[24:25], v[21:22], off
	s_or_b32 exec_lo, exec_lo, s20
	s_and_saveexec_b32 s20, s22
	s_cbranch_execz .LBB1738_140
.LBB1738_172:                           ;   in Loop: Header=BB1738_64 Depth=2
	v_lshlrev_b32_e32 v3, 2, v97
	v_add_nc_u32_e32 v21, v47, v48
	ds_read_b32 v3, v3
	ds_read_b64 v[21:22], v21 offset:7168
	s_waitcnt lgkmcnt(1)
	v_add_nc_u32_e32 v3, v3, v32
	v_lshlrev_b64 v[24:25], 3, v[3:4]
	v_add_co_u32 v24, vcc_lo, s44, v24
	v_add_co_ci_u32_e64 v25, null, s45, v25, vcc_lo
	s_waitcnt lgkmcnt(0)
	global_store_dwordx2 v[24:25], v[21:22], off
	s_or_b32 exec_lo, exec_lo, s20
	s_and_saveexec_b32 s20, s23
	s_cbranch_execz .LBB1738_141
.LBB1738_173:                           ;   in Loop: Header=BB1738_64 Depth=2
	v_lshlrev_b32_e32 v3, 2, v96
	v_add_nc_u32_e32 v21, v47, v48
	ds_read_b32 v3, v3
	ds_read_b64 v[21:22], v21 offset:9216
	s_waitcnt lgkmcnt(1)
	v_add_nc_u32_e32 v3, v3, v35
	v_lshlrev_b64 v[24:25], 3, v[3:4]
	v_add_co_u32 v24, vcc_lo, s44, v24
	v_add_co_ci_u32_e64 v25, null, s45, v25, vcc_lo
	s_waitcnt lgkmcnt(0)
	global_store_dwordx2 v[24:25], v[21:22], off
	s_or_b32 exec_lo, exec_lo, s20
	s_and_saveexec_b32 s20, s24
	s_cbranch_execz .LBB1738_142
.LBB1738_174:                           ;   in Loop: Header=BB1738_64 Depth=2
	v_lshlrev_b32_e32 v3, 2, v95
	v_add_nc_u32_e32 v21, v47, v48
	ds_read_b32 v3, v3
	ds_read_b64 v[21:22], v21 offset:11264
	s_waitcnt lgkmcnt(1)
	v_add_nc_u32_e32 v3, v3, v36
	v_lshlrev_b64 v[24:25], 3, v[3:4]
	v_add_co_u32 v24, vcc_lo, s44, v24
	v_add_co_ci_u32_e64 v25, null, s45, v25, vcc_lo
	s_waitcnt lgkmcnt(0)
	global_store_dwordx2 v[24:25], v[21:22], off
	s_or_b32 exec_lo, exec_lo, s20
	s_and_saveexec_b32 s20, s25
	s_cbranch_execz .LBB1738_143
.LBB1738_175:                           ;   in Loop: Header=BB1738_64 Depth=2
	v_lshlrev_b32_e32 v3, 2, v94
	v_add_nc_u32_e32 v21, v47, v48
	ds_read_b32 v3, v3
	ds_read_b64 v[21:22], v21 offset:13312
	s_waitcnt lgkmcnt(1)
	v_add_nc_u32_e32 v3, v3, v37
	v_lshlrev_b64 v[24:25], 3, v[3:4]
	v_add_co_u32 v24, vcc_lo, s44, v24
	v_add_co_ci_u32_e64 v25, null, s45, v25, vcc_lo
	s_waitcnt lgkmcnt(0)
	global_store_dwordx2 v[24:25], v[21:22], off
	s_or_b32 exec_lo, exec_lo, s20
	s_and_saveexec_b32 s20, s26
	s_cbranch_execnz .LBB1738_144
	s_branch .LBB1738_145
.LBB1738_176:                           ;   in Loop: Header=BB1738_12 Depth=1
	s_waitcnt lgkmcnt(0)
	s_mov_b32 s5, 0
	s_barrier
.LBB1738_177:                           ;   in Loop: Header=BB1738_12 Depth=1
	s_and_b32 vcc_lo, exec_lo, s5
	s_cbranch_vccz .LBB1738_341
; %bb.178:                              ;   in Loop: Header=BB1738_12 Depth=1
	s_mov_b32 s5, s52
	s_mov_b32 s34, s29
	s_barrier
	buffer_gl0_inv
                                        ; implicit-def: $vgpr3
                                        ; implicit-def: $vgpr5
                                        ; implicit-def: $vgpr6
                                        ; implicit-def: $vgpr7
                                        ; implicit-def: $vgpr8
                                        ; implicit-def: $vgpr9
                                        ; implicit-def: $vgpr10
                                        ; implicit-def: $vgpr11
	s_branch .LBB1738_180
.LBB1738_179:                           ;   in Loop: Header=BB1738_180 Depth=2
	s_or_b32 exec_lo, exec_lo, s14
	s_addk_i32 s5, 0xf800
	s_cmp_ge_u32 s13, s33
	s_mov_b32 s34, s13
	s_cbranch_scc1 .LBB1738_216
.LBB1738_180:                           ;   Parent Loop BB1738_12 Depth=1
                                        ; =>  This Inner Loop Header: Depth=2
	s_add_i32 s13, s34, 0x800
	s_mov_b32 s14, -1
	s_cmp_gt_u32 s13, s33
                                        ; implicit-def: $vgpr12
                                        ; implicit-def: $vgpr13
                                        ; implicit-def: $vgpr14
                                        ; implicit-def: $vgpr15
                                        ; implicit-def: $vgpr16
                                        ; implicit-def: $vgpr17
                                        ; implicit-def: $vgpr18
                                        ; implicit-def: $vgpr19
	s_cbranch_scc1 .LBB1738_182
; %bb.181:                              ;   in Loop: Header=BB1738_180 Depth=2
	s_lshl_b64 s[14:15], s[34:35], 1
	v_add_co_u32 v15, vcc_lo, v49, s14
	v_add_co_ci_u32_e64 v16, null, s15, v50, vcc_lo
	s_mov_b32 s14, 0
	v_add_co_u32 v19, vcc_lo, 0x800, v15
	v_add_co_ci_u32_e64 v20, null, 0, v16, vcc_lo
	s_clause 0x7
	global_load_ushort v12, v[15:16], off
	global_load_ushort v13, v[15:16], off offset:512
	global_load_ushort v14, v[15:16], off offset:1024
	;; [unrolled: 1-line block ×3, first 2 shown]
	global_load_ushort v16, v[19:20], off
	global_load_ushort v17, v[19:20], off offset:512
	global_load_ushort v18, v[19:20], off offset:1024
	;; [unrolled: 1-line block ×3, first 2 shown]
.LBB1738_182:                           ;   in Loop: Header=BB1738_180 Depth=2
	s_andn2_b32 vcc_lo, exec_lo, s14
	s_movk_i32 s14, 0x800
	s_cbranch_vccnz .LBB1738_193
; %bb.183:                              ;   in Loop: Header=BB1738_180 Depth=2
	s_lshl_b64 s[14:15], s[34:35], 1
	s_mov_b32 s16, exec_lo
	s_add_u32 s14, s38, s14
	s_addc_u32 s15, s39, s15
	v_cmpx_gt_u32_e64 s5, v0
	s_cbranch_execnz .LBB1738_209
; %bb.184:                              ;   in Loop: Header=BB1738_180 Depth=2
	s_or_b32 exec_lo, exec_lo, s16
	s_mov_b32 s16, exec_lo
	v_cmpx_gt_u32_e64 s5, v30
	s_cbranch_execnz .LBB1738_210
.LBB1738_185:                           ;   in Loop: Header=BB1738_180 Depth=2
	s_or_b32 exec_lo, exec_lo, s16
	s_mov_b32 s16, exec_lo
	v_cmpx_gt_u32_e64 s5, v31
	s_cbranch_execnz .LBB1738_211
.LBB1738_186:                           ;   in Loop: Header=BB1738_180 Depth=2
	s_or_b32 exec_lo, exec_lo, s16
	s_mov_b32 s16, exec_lo
	v_cmpx_gt_u32_e64 s5, v32
	s_cbranch_execnz .LBB1738_212
.LBB1738_187:                           ;   in Loop: Header=BB1738_180 Depth=2
	s_or_b32 exec_lo, exec_lo, s16
	s_mov_b32 s16, exec_lo
	v_cmpx_gt_u32_e64 s5, v35
	s_cbranch_execnz .LBB1738_213
.LBB1738_188:                           ;   in Loop: Header=BB1738_180 Depth=2
	s_or_b32 exec_lo, exec_lo, s16
	s_mov_b32 s16, exec_lo
	v_cmpx_gt_u32_e64 s5, v36
	s_cbranch_execnz .LBB1738_214
.LBB1738_189:                           ;   in Loop: Header=BB1738_180 Depth=2
	s_or_b32 exec_lo, exec_lo, s16
	s_mov_b32 s16, exec_lo
	v_cmpx_gt_u32_e64 s5, v37
	s_cbranch_execnz .LBB1738_215
.LBB1738_190:                           ;   in Loop: Header=BB1738_180 Depth=2
	s_or_b32 exec_lo, exec_lo, s16
	s_mov_b32 s16, exec_lo
	v_cmpx_gt_u32_e64 s5, v38
	s_cbranch_execz .LBB1738_192
.LBB1738_191:                           ;   in Loop: Header=BB1738_180 Depth=2
	global_load_ushort v3, v87, s[14:15]
.LBB1738_192:                           ;   in Loop: Header=BB1738_180 Depth=2
	s_or_b32 exec_lo, exec_lo, s16
	s_waitcnt vmcnt(0)
	v_mov_b32_e32 v12, v11
	v_mov_b32_e32 v13, v10
	;; [unrolled: 1-line block ×8, first 2 shown]
	s_mov_b32 s14, s5
.LBB1738_193:                           ;   in Loop: Header=BB1738_180 Depth=2
	s_waitcnt vmcnt(0)
	v_mov_b32_e32 v3, v19
	v_mov_b32_e32 v5, v18
	;; [unrolled: 1-line block ×8, first 2 shown]
	s_mov_b32 s15, exec_lo
	v_cmpx_gt_u32_e64 s14, v0
	s_cbranch_execnz .LBB1738_201
; %bb.194:                              ;   in Loop: Header=BB1738_180 Depth=2
	s_or_b32 exec_lo, exec_lo, s15
	s_mov_b32 s15, exec_lo
	v_cmpx_gt_u32_e64 s14, v30
	s_cbranch_execnz .LBB1738_202
.LBB1738_195:                           ;   in Loop: Header=BB1738_180 Depth=2
	s_or_b32 exec_lo, exec_lo, s15
	s_mov_b32 s15, exec_lo
	v_cmpx_gt_u32_e64 s14, v31
	s_cbranch_execnz .LBB1738_203
.LBB1738_196:                           ;   in Loop: Header=BB1738_180 Depth=2
	s_or_b32 exec_lo, exec_lo, s15
	s_mov_b32 s15, exec_lo
	v_cmpx_gt_u32_e64 s14, v32
	s_cbranch_execnz .LBB1738_204
.LBB1738_197:                           ;   in Loop: Header=BB1738_180 Depth=2
	s_or_b32 exec_lo, exec_lo, s15
	s_mov_b32 s15, exec_lo
	v_cmpx_gt_u32_e64 s14, v35
	s_cbranch_execnz .LBB1738_205
.LBB1738_198:                           ;   in Loop: Header=BB1738_180 Depth=2
	s_or_b32 exec_lo, exec_lo, s15
	s_mov_b32 s15, exec_lo
	v_cmpx_gt_u32_e64 s14, v36
	s_cbranch_execnz .LBB1738_206
.LBB1738_199:                           ;   in Loop: Header=BB1738_180 Depth=2
	s_or_b32 exec_lo, exec_lo, s15
	s_mov_b32 s15, exec_lo
	v_cmpx_gt_u32_e64 s14, v37
	s_cbranch_execnz .LBB1738_207
.LBB1738_200:                           ;   in Loop: Header=BB1738_180 Depth=2
	s_or_b32 exec_lo, exec_lo, s15
	v_cmp_gt_u32_e32 vcc_lo, s14, v38
	s_and_saveexec_b32 s14, vcc_lo
	s_cbranch_execz .LBB1738_179
	s_branch .LBB1738_208
.LBB1738_201:                           ;   in Loop: Header=BB1738_180 Depth=2
	v_cmp_gt_i16_e32 vcc_lo, 0, v11
	v_cndmask_b32_e64 v12, 0x7fff, 0, vcc_lo
	v_xor_b32_e32 v12, v12, v11
	v_cmp_ne_u16_e32 vcc_lo, 0x8000, v12
	v_cndmask_b32_e32 v12, 0x7fff, v12, vcc_lo
	v_lshrrev_b32_sdwa v12, s42, v12 dst_sel:DWORD dst_unused:UNUSED_PAD src0_sel:DWORD src1_sel:WORD_0
	v_and_b32_e32 v12, s43, v12
	v_lshl_or_b32 v12, v12, 4, v40
	ds_add_u32 v12, v62
	s_or_b32 exec_lo, exec_lo, s15
	s_mov_b32 s15, exec_lo
	v_cmpx_gt_u32_e64 s14, v30
	s_cbranch_execz .LBB1738_195
.LBB1738_202:                           ;   in Loop: Header=BB1738_180 Depth=2
	v_cmp_gt_i16_e32 vcc_lo, 0, v10
	v_cndmask_b32_e64 v12, 0x7fff, 0, vcc_lo
	v_xor_b32_e32 v12, v12, v10
	v_cmp_ne_u16_e32 vcc_lo, 0x8000, v12
	v_cndmask_b32_e32 v12, 0x7fff, v12, vcc_lo
	v_lshrrev_b32_sdwa v12, s42, v12 dst_sel:DWORD dst_unused:UNUSED_PAD src0_sel:DWORD src1_sel:WORD_0
	v_and_b32_e32 v12, s43, v12
	v_lshl_or_b32 v12, v12, 4, v40
	ds_add_u32 v12, v62
	s_or_b32 exec_lo, exec_lo, s15
	s_mov_b32 s15, exec_lo
	v_cmpx_gt_u32_e64 s14, v31
	s_cbranch_execz .LBB1738_196
.LBB1738_203:                           ;   in Loop: Header=BB1738_180 Depth=2
	v_cmp_gt_i16_e32 vcc_lo, 0, v9
	v_cndmask_b32_e64 v12, 0x7fff, 0, vcc_lo
	v_xor_b32_e32 v12, v12, v9
	v_cmp_ne_u16_e32 vcc_lo, 0x8000, v12
	v_cndmask_b32_e32 v12, 0x7fff, v12, vcc_lo
	v_lshrrev_b32_sdwa v12, s42, v12 dst_sel:DWORD dst_unused:UNUSED_PAD src0_sel:DWORD src1_sel:WORD_0
	v_and_b32_e32 v12, s43, v12
	v_lshl_or_b32 v12, v12, 4, v40
	ds_add_u32 v12, v62
	s_or_b32 exec_lo, exec_lo, s15
	s_mov_b32 s15, exec_lo
	v_cmpx_gt_u32_e64 s14, v32
	s_cbranch_execz .LBB1738_197
.LBB1738_204:                           ;   in Loop: Header=BB1738_180 Depth=2
	v_cmp_gt_i16_e32 vcc_lo, 0, v8
	v_cndmask_b32_e64 v12, 0x7fff, 0, vcc_lo
	v_xor_b32_e32 v12, v12, v8
	v_cmp_ne_u16_e32 vcc_lo, 0x8000, v12
	v_cndmask_b32_e32 v12, 0x7fff, v12, vcc_lo
	v_lshrrev_b32_sdwa v12, s42, v12 dst_sel:DWORD dst_unused:UNUSED_PAD src0_sel:DWORD src1_sel:WORD_0
	v_and_b32_e32 v12, s43, v12
	v_lshl_or_b32 v12, v12, 4, v40
	ds_add_u32 v12, v62
	s_or_b32 exec_lo, exec_lo, s15
	s_mov_b32 s15, exec_lo
	v_cmpx_gt_u32_e64 s14, v35
	s_cbranch_execz .LBB1738_198
.LBB1738_205:                           ;   in Loop: Header=BB1738_180 Depth=2
	v_cmp_gt_i16_e32 vcc_lo, 0, v7
	v_cndmask_b32_e64 v12, 0x7fff, 0, vcc_lo
	v_xor_b32_e32 v12, v12, v7
	v_cmp_ne_u16_e32 vcc_lo, 0x8000, v12
	v_cndmask_b32_e32 v12, 0x7fff, v12, vcc_lo
	v_lshrrev_b32_sdwa v12, s42, v12 dst_sel:DWORD dst_unused:UNUSED_PAD src0_sel:DWORD src1_sel:WORD_0
	v_and_b32_e32 v12, s43, v12
	v_lshl_or_b32 v12, v12, 4, v40
	ds_add_u32 v12, v62
	s_or_b32 exec_lo, exec_lo, s15
	s_mov_b32 s15, exec_lo
	v_cmpx_gt_u32_e64 s14, v36
	s_cbranch_execz .LBB1738_199
.LBB1738_206:                           ;   in Loop: Header=BB1738_180 Depth=2
	v_cmp_gt_i16_e32 vcc_lo, 0, v6
	v_cndmask_b32_e64 v12, 0x7fff, 0, vcc_lo
	v_xor_b32_e32 v12, v12, v6
	v_cmp_ne_u16_e32 vcc_lo, 0x8000, v12
	v_cndmask_b32_e32 v12, 0x7fff, v12, vcc_lo
	v_lshrrev_b32_sdwa v12, s42, v12 dst_sel:DWORD dst_unused:UNUSED_PAD src0_sel:DWORD src1_sel:WORD_0
	v_and_b32_e32 v12, s43, v12
	v_lshl_or_b32 v12, v12, 4, v40
	ds_add_u32 v12, v62
	s_or_b32 exec_lo, exec_lo, s15
	s_mov_b32 s15, exec_lo
	v_cmpx_gt_u32_e64 s14, v37
	s_cbranch_execz .LBB1738_200
.LBB1738_207:                           ;   in Loop: Header=BB1738_180 Depth=2
	v_cmp_gt_i16_e32 vcc_lo, 0, v5
	v_cndmask_b32_e64 v12, 0x7fff, 0, vcc_lo
	v_xor_b32_e32 v12, v12, v5
	v_cmp_ne_u16_e32 vcc_lo, 0x8000, v12
	v_cndmask_b32_e32 v12, 0x7fff, v12, vcc_lo
	v_lshrrev_b32_sdwa v12, s42, v12 dst_sel:DWORD dst_unused:UNUSED_PAD src0_sel:DWORD src1_sel:WORD_0
	v_and_b32_e32 v12, s43, v12
	v_lshl_or_b32 v12, v12, 4, v40
	ds_add_u32 v12, v62
	s_or_b32 exec_lo, exec_lo, s15
	v_cmp_gt_u32_e32 vcc_lo, s14, v38
	s_and_saveexec_b32 s14, vcc_lo
	s_cbranch_execz .LBB1738_179
.LBB1738_208:                           ;   in Loop: Header=BB1738_180 Depth=2
	v_cmp_gt_i16_e32 vcc_lo, 0, v3
	v_cndmask_b32_e64 v12, 0x7fff, 0, vcc_lo
	v_xor_b32_e32 v12, v12, v3
	v_cmp_ne_u16_e32 vcc_lo, 0x8000, v12
	v_cndmask_b32_e32 v12, 0x7fff, v12, vcc_lo
	v_lshrrev_b32_sdwa v12, s42, v12 dst_sel:DWORD dst_unused:UNUSED_PAD src0_sel:DWORD src1_sel:WORD_0
	v_and_b32_e32 v12, s43, v12
	v_lshl_or_b32 v12, v12, 4, v40
	ds_add_u32 v12, v62
	s_branch .LBB1738_179
.LBB1738_209:                           ;   in Loop: Header=BB1738_180 Depth=2
	global_load_ushort v11, v79, s[14:15]
	s_or_b32 exec_lo, exec_lo, s16
	s_mov_b32 s16, exec_lo
	v_cmpx_gt_u32_e64 s5, v30
	s_cbranch_execz .LBB1738_185
.LBB1738_210:                           ;   in Loop: Header=BB1738_180 Depth=2
	global_load_ushort v10, v79, s[14:15] offset:512
	s_or_b32 exec_lo, exec_lo, s16
	s_mov_b32 s16, exec_lo
	v_cmpx_gt_u32_e64 s5, v31
	s_cbranch_execz .LBB1738_186
.LBB1738_211:                           ;   in Loop: Header=BB1738_180 Depth=2
	global_load_ushort v9, v79, s[14:15] offset:1024
	s_or_b32 exec_lo, exec_lo, s16
	s_mov_b32 s16, exec_lo
	v_cmpx_gt_u32_e64 s5, v32
	s_cbranch_execz .LBB1738_187
.LBB1738_212:                           ;   in Loop: Header=BB1738_180 Depth=2
	global_load_ushort v8, v79, s[14:15] offset:1536
	s_or_b32 exec_lo, exec_lo, s16
	s_mov_b32 s16, exec_lo
	v_cmpx_gt_u32_e64 s5, v35
	s_cbranch_execz .LBB1738_188
.LBB1738_213:                           ;   in Loop: Header=BB1738_180 Depth=2
	global_load_ushort v7, v80, s[14:15]
	s_or_b32 exec_lo, exec_lo, s16
	s_mov_b32 s16, exec_lo
	v_cmpx_gt_u32_e64 s5, v36
	s_cbranch_execz .LBB1738_189
.LBB1738_214:                           ;   in Loop: Header=BB1738_180 Depth=2
	global_load_ushort v6, v81, s[14:15]
	s_or_b32 exec_lo, exec_lo, s16
	s_mov_b32 s16, exec_lo
	v_cmpx_gt_u32_e64 s5, v37
	s_cbranch_execz .LBB1738_190
.LBB1738_215:                           ;   in Loop: Header=BB1738_180 Depth=2
	global_load_ushort v5, v82, s[14:15]
	s_or_b32 exec_lo, exec_lo, s16
	s_mov_b32 s16, exec_lo
	v_cmpx_gt_u32_e64 s5, v38
	s_cbranch_execnz .LBB1738_191
	s_branch .LBB1738_192
.LBB1738_216:                           ;   in Loop: Header=BB1738_12 Depth=1
	v_mov_b32_e32 v3, 0
	s_waitcnt lgkmcnt(0)
	s_barrier
	buffer_gl0_inv
	s_and_saveexec_b32 s5, s7
	s_cbranch_execz .LBB1738_218
; %bb.217:                              ;   in Loop: Header=BB1738_12 Depth=1
	ds_read2_b64 v[5:8], v41 offset1:1
	s_waitcnt lgkmcnt(0)
	v_add_nc_u32_e32 v3, v6, v5
	v_add3_u32 v3, v3, v7, v8
.LBB1738_218:                           ;   in Loop: Header=BB1738_12 Depth=1
	s_or_b32 exec_lo, exec_lo, s5
	v_mov_b32_dpp v5, v3 row_shr:1 row_mask:0xf bank_mask:0xf
	v_cmp_eq_u32_e64 s5, 0, v63
	v_cmp_lt_u32_e64 s13, 1, v63
	v_cmp_lt_u32_e64 s14, 3, v63
	;; [unrolled: 1-line block ×3, first 2 shown]
	v_cmp_eq_u32_e64 s16, 0, v65
	v_cndmask_b32_e64 v5, v5, 0, s5
	v_add_nc_u32_e32 v3, v5, v3
	v_mov_b32_dpp v5, v3 row_shr:2 row_mask:0xf bank_mask:0xf
	v_cndmask_b32_e64 v5, 0, v5, s13
	v_add_nc_u32_e32 v3, v3, v5
	v_mov_b32_dpp v5, v3 row_shr:4 row_mask:0xf bank_mask:0xf
	;; [unrolled: 3-line block ×3, first 2 shown]
	v_cndmask_b32_e64 v5, 0, v5, s15
	v_add_nc_u32_e32 v3, v3, v5
	ds_swizzle_b32 v5, v3 offset:swizzle(BROADCAST,32,15)
	s_waitcnt lgkmcnt(0)
	v_and_b32_e32 v5, v64, v5
	v_add_nc_u32_e32 v3, v3, v5
	s_and_saveexec_b32 s17, s8
; %bb.219:                              ;   in Loop: Header=BB1738_12 Depth=1
	ds_write_b32 v42, v3
; %bb.220:                              ;   in Loop: Header=BB1738_12 Depth=1
	s_or_b32 exec_lo, exec_lo, s17
	s_waitcnt lgkmcnt(0)
	s_barrier
	buffer_gl0_inv
	s_and_saveexec_b32 s17, s9
	s_cbranch_execz .LBB1738_222
; %bb.221:                              ;   in Loop: Header=BB1738_12 Depth=1
	ds_read_b32 v5, v43
	v_cmp_ne_u32_e32 vcc_lo, 0, v67
	s_waitcnt lgkmcnt(0)
	v_mov_b32_dpp v6, v5 row_shr:1 row_mask:0xf bank_mask:0xf
	v_cndmask_b32_e32 v6, 0, v6, vcc_lo
	v_cmp_lt_u32_e32 vcc_lo, 1, v67
	v_add_nc_u32_e32 v5, v6, v5
	v_mov_b32_dpp v6, v5 row_shr:2 row_mask:0xf bank_mask:0xf
	v_cndmask_b32_e32 v6, 0, v6, vcc_lo
	v_cmp_lt_u32_e32 vcc_lo, 3, v67
	v_add_nc_u32_e32 v5, v5, v6
	v_mov_b32_dpp v6, v5 row_shr:4 row_mask:0xf bank_mask:0xf
	v_cndmask_b32_e32 v6, 0, v6, vcc_lo
	v_add_nc_u32_e32 v5, v5, v6
	ds_write_b32 v43, v5
.LBB1738_222:                           ;   in Loop: Header=BB1738_12 Depth=1
	s_or_b32 exec_lo, exec_lo, s17
	v_mov_b32_e32 v5, 0
	s_waitcnt lgkmcnt(0)
	s_barrier
	buffer_gl0_inv
	s_and_saveexec_b32 s17, s10
; %bb.223:                              ;   in Loop: Header=BB1738_12 Depth=1
	ds_read_b32 v5, v45
; %bb.224:                              ;   in Loop: Header=BB1738_12 Depth=1
	s_or_b32 exec_lo, exec_lo, s17
	v_cmp_gt_i32_e32 vcc_lo, 0, v68
	s_waitcnt lgkmcnt(0)
	v_add_nc_u32_e32 v3, v5, v3
	s_barrier
	buffer_gl0_inv
	v_cndmask_b32_e32 v6, v68, v59, vcc_lo
	v_lshlrev_b32_e32 v91, 2, v6
	ds_bpermute_b32 v3, v91, v3
	s_and_saveexec_b32 s17, s7
	s_cbranch_execz .LBB1738_226
; %bb.225:                              ;   in Loop: Header=BB1738_12 Depth=1
	s_waitcnt lgkmcnt(0)
	v_cndmask_b32_e64 v3, v3, v5, s12
	v_add_nc_u32_e32 v3, s29, v3
	ds_write_b32 v29, v3
.LBB1738_226:                           ;   in Loop: Header=BB1738_12 Depth=1
	s_or_b32 exec_lo, exec_lo, s17
	s_load_dwordx2 s[18:19], s[30:31], 0x0
	v_add_co_u32 v92, vcc_lo, v51, v69
	v_add_co_ci_u32_e64 v93, null, 0, v52, vcc_lo
	v_add_co_u32 v94, vcc_lo, v53, v77
	v_add_co_ci_u32_e64 v95, null, 0, v54, vcc_lo
	s_mov_b32 s48, s52
	s_mov_b32 s34, s29
                                        ; implicit-def: $vgpr7_vgpr8
                                        ; implicit-def: $vgpr9_vgpr10
                                        ; implicit-def: $vgpr11_vgpr12
                                        ; implicit-def: $vgpr13_vgpr14
                                        ; implicit-def: $vgpr15_vgpr16
                                        ; implicit-def: $vgpr17_vgpr18
                                        ; implicit-def: $vgpr19_vgpr20
                                        ; implicit-def: $vgpr97
                                        ; implicit-def: $vgpr98
                                        ; implicit-def: $vgpr99
                                        ; implicit-def: $vgpr100
                                        ; implicit-def: $vgpr101
                                        ; implicit-def: $vgpr102
                                        ; implicit-def: $vgpr103
                                        ; implicit-def: $vgpr104
	s_waitcnt lgkmcnt(0)
	s_cmp_lt_u32 s27, s19
	s_cselect_b32 s17, 14, 20
	s_add_u32 s20, s30, s17
	s_addc_u32 s21, s31, 0
	s_cmp_lt_u32 s6, s18
	global_load_ushort v3, v4, s[20:21]
	s_cselect_b32 s17, 12, 18
	s_add_u32 s18, s30, s17
	s_addc_u32 s19, s31, 0
	v_cmp_eq_u32_e64 s17, 0, v67
	global_load_ushort v5, v4, s[18:19]
	v_cmp_lt_u32_e64 s18, 1, v67
	v_cmp_lt_u32_e64 s19, 3, v67
	s_waitcnt vmcnt(1)
	v_mad_u32_u24 v3, v2, v3, v1
	s_waitcnt vmcnt(0)
	v_mad_u64_u32 v[5:6], null, v3, v5, v[0:1]
	v_lshrrev_b32_e32 v3, 3, v5
                                        ; implicit-def: $vgpr5_vgpr6
	v_and_b32_e32 v96, 0x1ffffffc, v3
	s_branch .LBB1738_228
.LBB1738_227:                           ;   in Loop: Header=BB1738_228 Depth=2
	s_or_b32 exec_lo, exec_lo, s20
	s_addk_i32 s48, 0xf800
	s_cmp_lt_u32 s53, s33
	s_mov_b32 s34, s53
	s_cbranch_scc0 .LBB1738_340
.LBB1738_228:                           ;   Parent Loop BB1738_12 Depth=1
                                        ; =>  This Inner Loop Header: Depth=2
	s_add_i32 s53, s34, 0x800
	s_cmp_gt_u32 s53, s33
	s_cbranch_scc1 .LBB1738_230
; %bb.229:                              ;   in Loop: Header=BB1738_228 Depth=2
	s_lshl_b64 s[20:21], s[34:35], 1
	v_add_co_u32 v21, vcc_lo, v94, s20
	v_add_co_ci_u32_e64 v22, null, s21, v95, vcc_lo
	s_mov_b32 s20, -1
	s_clause 0x6
	global_load_ushort v3, v[21:22], off
	global_load_ushort v28, v[21:22], off offset:64
	global_load_ushort v27, v[21:22], off offset:128
	;; [unrolled: 1-line block ×6, first 2 shown]
	s_movk_i32 s21, 0x800
	s_cbranch_execz .LBB1738_231
	s_branch .LBB1738_246
.LBB1738_230:                           ;   in Loop: Header=BB1738_228 Depth=2
	s_mov_b32 s20, 0
                                        ; implicit-def: $vgpr3
                                        ; implicit-def: $vgpr28
                                        ; implicit-def: $vgpr27
                                        ; implicit-def: $vgpr26
                                        ; implicit-def: $vgpr25
                                        ; implicit-def: $vgpr24
                                        ; implicit-def: $vgpr23
	s_movk_i32 s21, 0x800
.LBB1738_231:                           ;   in Loop: Header=BB1738_228 Depth=2
	s_lshl_b64 s[20:21], s[34:35], 1
	s_waitcnt vmcnt(5)
	v_mov_b32_e32 v28, -1
	v_add_co_u32 v21, vcc_lo, v94, s20
	v_add_co_ci_u32_e64 v22, null, s21, v95, vcc_lo
	v_mov_b32_e32 v3, -1
	s_mov_b32 s20, exec_lo
	v_cmpx_gt_u32_e64 s48, v66
	s_cbranch_execz .LBB1738_233
; %bb.232:                              ;   in Loop: Header=BB1738_228 Depth=2
	global_load_ushort v3, v[21:22], off
.LBB1738_233:                           ;   in Loop: Header=BB1738_228 Depth=2
	s_or_b32 exec_lo, exec_lo, s20
	s_mov_b32 s20, exec_lo
	v_cmpx_gt_u32_e64 s48, v70
	s_cbranch_execz .LBB1738_235
; %bb.234:                              ;   in Loop: Header=BB1738_228 Depth=2
	global_load_ushort v28, v[21:22], off offset:64
.LBB1738_235:                           ;   in Loop: Header=BB1738_228 Depth=2
	s_or_b32 exec_lo, exec_lo, s20
	s_waitcnt vmcnt(3)
	v_mov_b32_e32 v26, -1
	v_mov_b32_e32 v27, -1
	s_mov_b32 s20, exec_lo
	v_cmpx_gt_u32_e64 s48, v71
	s_cbranch_execz .LBB1738_237
; %bb.236:                              ;   in Loop: Header=BB1738_228 Depth=2
	global_load_ushort v27, v[21:22], off offset:128
.LBB1738_237:                           ;   in Loop: Header=BB1738_228 Depth=2
	s_or_b32 exec_lo, exec_lo, s20
	s_mov_b32 s20, exec_lo
	v_cmpx_gt_u32_e64 s48, v72
	s_cbranch_execz .LBB1738_239
; %bb.238:                              ;   in Loop: Header=BB1738_228 Depth=2
	global_load_ushort v26, v[21:22], off offset:192
.LBB1738_239:                           ;   in Loop: Header=BB1738_228 Depth=2
	s_or_b32 exec_lo, exec_lo, s20
	s_waitcnt vmcnt(1)
	v_mov_b32_e32 v24, -1
	v_mov_b32_e32 v25, -1
	s_mov_b32 s20, exec_lo
	v_cmpx_gt_u32_e64 s48, v73
	s_cbranch_execz .LBB1738_241
; %bb.240:                              ;   in Loop: Header=BB1738_228 Depth=2
	global_load_ushort v25, v[21:22], off offset:256
.LBB1738_241:                           ;   in Loop: Header=BB1738_228 Depth=2
	s_or_b32 exec_lo, exec_lo, s20
	s_mov_b32 s20, exec_lo
	v_cmpx_gt_u32_e64 s48, v74
	s_cbranch_execz .LBB1738_243
; %bb.242:                              ;   in Loop: Header=BB1738_228 Depth=2
	global_load_ushort v24, v[21:22], off offset:320
.LBB1738_243:                           ;   in Loop: Header=BB1738_228 Depth=2
	s_or_b32 exec_lo, exec_lo, s20
	s_waitcnt vmcnt(0)
	v_mov_b32_e32 v23, -1
	s_mov_b32 s20, exec_lo
	v_cmpx_gt_u32_e64 s48, v75
	s_cbranch_execz .LBB1738_245
; %bb.244:                              ;   in Loop: Header=BB1738_228 Depth=2
	global_load_ushort v23, v[21:22], off offset:384
.LBB1738_245:                           ;   in Loop: Header=BB1738_228 Depth=2
	s_or_b32 exec_lo, exec_lo, s20
	v_cmp_gt_u32_e64 s20, s48, v76
	s_sub_i32 s21, s33, s34
.LBB1738_246:                           ;   in Loop: Header=BB1738_228 Depth=2
	v_mov_b32_e32 v21, -1
	v_mov_b32_e32 v105, s48
	s_and_saveexec_b32 s22, s20
	s_cbranch_execz .LBB1738_248
; %bb.247:                              ;   in Loop: Header=BB1738_228 Depth=2
	s_lshl_b64 s[24:25], s[34:35], 1
	v_mov_b32_e32 v105, s21
	v_add_co_u32 v21, vcc_lo, v94, s24
	v_add_co_ci_u32_e64 v22, null, s25, v95, vcc_lo
	global_load_ushort v21, v[21:22], off offset:448
.LBB1738_248:                           ;   in Loop: Header=BB1738_228 Depth=2
	s_or_b32 exec_lo, exec_lo, s22
	s_waitcnt vmcnt(6)
	v_cmp_gt_i16_e32 vcc_lo, 0, v3
	ds_write2_b32 v78, v4, v4 offset1:1
	ds_write2_b32 v88, v4, v4 offset1:1
	;; [unrolled: 1-line block ×4, first 2 shown]
	ds_write_b32 v44, v4 offset:1088
	s_waitcnt vmcnt(0) lgkmcnt(0)
	s_barrier
	v_cndmask_b32_e64 v22, 0x7fff, 0, vcc_lo
	buffer_gl0_inv
	; wave barrier
	v_xor_b32_e32 v3, v22, v3
	v_cmp_ne_u16_e32 vcc_lo, 0x8000, v3
	v_cndmask_b32_e32 v22, 0x7fff, v3, vcc_lo
	v_lshrrev_b32_sdwa v22, s42, v22 dst_sel:DWORD dst_unused:UNUSED_PAD src0_sel:DWORD src1_sel:WORD_0
	v_and_b32_e32 v107, s43, v22
	v_and_b32_e32 v22, 1, v107
	v_lshlrev_b32_e32 v106, 30, v107
	v_lshlrev_b32_e32 v108, 29, v107
	;; [unrolled: 1-line block ×4, first 2 shown]
	v_add_co_u32 v22, s20, v22, -1
	v_cndmask_b32_e64 v110, 0, 1, s20
	v_not_b32_e32 v114, v106
	v_cmp_gt_i32_e64 s20, 0, v106
	v_not_b32_e32 v106, v108
	v_lshlrev_b32_e32 v112, 26, v107
	v_cmp_ne_u32_e32 vcc_lo, 0, v110
	v_ashrrev_i32_e32 v114, 31, v114
	v_lshlrev_b32_e32 v113, 25, v107
	v_ashrrev_i32_e32 v106, 31, v106
	v_lshlrev_b32_e32 v110, 24, v107
	v_xor_b32_e32 v22, vcc_lo, v22
	v_cmp_gt_i32_e32 vcc_lo, 0, v108
	v_not_b32_e32 v108, v109
	v_xor_b32_e32 v114, s20, v114
	v_cmp_gt_i32_e64 s20, 0, v109
	v_and_b32_e32 v22, exec_lo, v22
	v_not_b32_e32 v109, v111
	v_ashrrev_i32_e32 v108, 31, v108
	v_xor_b32_e32 v106, vcc_lo, v106
	v_cmp_gt_i32_e32 vcc_lo, 0, v111
	v_and_b32_e32 v22, v22, v114
	v_not_b32_e32 v111, v112
	v_ashrrev_i32_e32 v109, 31, v109
	v_xor_b32_e32 v108, s20, v108
	v_cmp_gt_i32_e64 s20, 0, v112
	v_and_b32_e32 v22, v22, v106
	v_not_b32_e32 v106, v113
	v_ashrrev_i32_e32 v111, 31, v111
	v_xor_b32_e32 v109, vcc_lo, v109
	v_cmp_gt_i32_e32 vcc_lo, 0, v113
	v_and_b32_e32 v22, v22, v108
	v_not_b32_e32 v108, v110
	v_ashrrev_i32_e32 v106, 31, v106
	v_xor_b32_e32 v111, s20, v111
	v_cmp_gt_i32_e64 s20, 0, v110
	v_and_b32_e32 v22, v22, v109
	v_ashrrev_i32_e32 v108, 31, v108
	v_xor_b32_e32 v106, vcc_lo, v106
	v_mul_u32_u24_e32 v107, 36, v107
	v_and_b32_e32 v22, v22, v111
	v_xor_b32_e32 v108, s20, v108
	v_and_b32_e32 v22, v22, v106
	v_and_b32_e32 v22, v22, v108
	v_add_nc_u32_e32 v108, v96, v107
	v_mbcnt_lo_u32_b32 v106, v22, 0
	v_cmp_ne_u32_e64 s20, 0, v22
	v_cmp_eq_u32_e32 vcc_lo, 0, v106
	s_and_b32 s21, s20, vcc_lo
	s_and_saveexec_b32 s20, s21
; %bb.249:                              ;   in Loop: Header=BB1738_228 Depth=2
	v_bcnt_u32_b32 v22, v22, 0
	ds_write_b32 v108, v22 offset:1056
; %bb.250:                              ;   in Loop: Header=BB1738_228 Depth=2
	s_or_b32 exec_lo, exec_lo, s20
	v_cmp_gt_i16_e32 vcc_lo, 0, v28
	; wave barrier
	v_cndmask_b32_e64 v22, 0x7fff, 0, vcc_lo
	v_xor_b32_e32 v107, v22, v28
	v_cmp_ne_u16_e32 vcc_lo, 0x8000, v107
	v_cndmask_b32_e32 v22, 0x7fff, v107, vcc_lo
	v_lshrrev_b32_sdwa v22, s42, v22 dst_sel:DWORD dst_unused:UNUSED_PAD src0_sel:DWORD src1_sel:WORD_0
	v_and_b32_e32 v28, s43, v22
	v_and_b32_e32 v22, 1, v28
	v_lshlrev_b32_e32 v109, 30, v28
	v_lshlrev_b32_e32 v110, 29, v28
	;; [unrolled: 1-line block ×4, first 2 shown]
	v_add_co_u32 v22, s20, v22, -1
	v_cndmask_b32_e64 v112, 0, 1, s20
	v_not_b32_e32 v116, v109
	v_cmp_gt_i32_e64 s20, 0, v109
	v_not_b32_e32 v109, v110
	v_lshlrev_b32_e32 v114, 26, v28
	v_cmp_ne_u32_e32 vcc_lo, 0, v112
	v_ashrrev_i32_e32 v116, 31, v116
	v_lshlrev_b32_e32 v115, 25, v28
	v_ashrrev_i32_e32 v109, 31, v109
	v_lshlrev_b32_e32 v112, 24, v28
	v_xor_b32_e32 v22, vcc_lo, v22
	v_cmp_gt_i32_e32 vcc_lo, 0, v110
	v_not_b32_e32 v110, v111
	v_xor_b32_e32 v116, s20, v116
	v_cmp_gt_i32_e64 s20, 0, v111
	v_and_b32_e32 v22, exec_lo, v22
	v_not_b32_e32 v111, v113
	v_ashrrev_i32_e32 v110, 31, v110
	v_xor_b32_e32 v109, vcc_lo, v109
	v_cmp_gt_i32_e32 vcc_lo, 0, v113
	v_and_b32_e32 v22, v22, v116
	v_not_b32_e32 v113, v114
	v_ashrrev_i32_e32 v111, 31, v111
	v_xor_b32_e32 v110, s20, v110
	v_cmp_gt_i32_e64 s20, 0, v114
	v_and_b32_e32 v22, v22, v109
	v_not_b32_e32 v109, v115
	v_ashrrev_i32_e32 v113, 31, v113
	v_xor_b32_e32 v111, vcc_lo, v111
	v_cmp_gt_i32_e32 vcc_lo, 0, v115
	v_and_b32_e32 v22, v22, v110
	v_not_b32_e32 v110, v112
	v_ashrrev_i32_e32 v109, 31, v109
	v_xor_b32_e32 v113, s20, v113
	v_cmp_gt_i32_e64 s20, 0, v112
	v_and_b32_e32 v22, v22, v111
	v_ashrrev_i32_e32 v110, 31, v110
	v_xor_b32_e32 v109, vcc_lo, v109
	v_mad_u32_u24 v111, v28, 36, v96
	v_mul_u32_u24_e32 v28, 36, v28
	v_and_b32_e32 v22, v22, v113
	v_xor_b32_e32 v110, s20, v110
	v_add_nc_u32_e32 v112, v96, v28
	v_and_b32_e32 v22, v22, v109
	ds_read_b32 v109, v111 offset:1056
	; wave barrier
	v_and_b32_e32 v22, v22, v110
	v_mbcnt_lo_u32_b32 v110, v22, 0
	v_cmp_ne_u32_e64 s20, 0, v22
	v_cmp_eq_u32_e32 vcc_lo, 0, v110
	s_and_b32 s21, s20, vcc_lo
	s_and_saveexec_b32 s20, s21
	s_cbranch_execz .LBB1738_252
; %bb.251:                              ;   in Loop: Header=BB1738_228 Depth=2
	s_waitcnt lgkmcnt(0)
	v_bcnt_u32_b32 v22, v22, v109
	ds_write_b32 v112, v22 offset:1056
.LBB1738_252:                           ;   in Loop: Header=BB1738_228 Depth=2
	s_or_b32 exec_lo, exec_lo, s20
	v_cmp_gt_i16_e32 vcc_lo, 0, v27
	; wave barrier
	v_cndmask_b32_e64 v22, 0x7fff, 0, vcc_lo
	v_xor_b32_e32 v111, v22, v27
	v_cmp_ne_u16_e32 vcc_lo, 0x8000, v111
	v_cndmask_b32_e32 v22, 0x7fff, v111, vcc_lo
	v_lshrrev_b32_sdwa v22, s42, v22 dst_sel:DWORD dst_unused:UNUSED_PAD src0_sel:DWORD src1_sel:WORD_0
	v_and_b32_e32 v27, s43, v22
	v_and_b32_e32 v22, 1, v27
	v_lshlrev_b32_e32 v28, 30, v27
	v_lshlrev_b32_e32 v113, 29, v27
	;; [unrolled: 1-line block ×4, first 2 shown]
	v_add_co_u32 v22, s20, v22, -1
	v_cndmask_b32_e64 v115, 0, 1, s20
	v_not_b32_e32 v119, v28
	v_cmp_gt_i32_e64 s20, 0, v28
	v_not_b32_e32 v28, v113
	v_lshlrev_b32_e32 v117, 26, v27
	v_cmp_ne_u32_e32 vcc_lo, 0, v115
	v_ashrrev_i32_e32 v119, 31, v119
	v_lshlrev_b32_e32 v118, 25, v27
	v_ashrrev_i32_e32 v28, 31, v28
	v_lshlrev_b32_e32 v115, 24, v27
	v_xor_b32_e32 v22, vcc_lo, v22
	v_cmp_gt_i32_e32 vcc_lo, 0, v113
	v_not_b32_e32 v113, v114
	v_xor_b32_e32 v119, s20, v119
	v_cmp_gt_i32_e64 s20, 0, v114
	v_and_b32_e32 v22, exec_lo, v22
	v_not_b32_e32 v114, v116
	v_ashrrev_i32_e32 v113, 31, v113
	v_xor_b32_e32 v28, vcc_lo, v28
	v_cmp_gt_i32_e32 vcc_lo, 0, v116
	v_and_b32_e32 v22, v22, v119
	v_not_b32_e32 v116, v117
	v_ashrrev_i32_e32 v114, 31, v114
	v_xor_b32_e32 v113, s20, v113
	v_cmp_gt_i32_e64 s20, 0, v117
	v_and_b32_e32 v22, v22, v28
	v_not_b32_e32 v28, v118
	v_ashrrev_i32_e32 v116, 31, v116
	v_xor_b32_e32 v114, vcc_lo, v114
	v_cmp_gt_i32_e32 vcc_lo, 0, v118
	v_and_b32_e32 v22, v22, v113
	v_not_b32_e32 v113, v115
	v_ashrrev_i32_e32 v28, 31, v28
	v_xor_b32_e32 v116, s20, v116
	v_cmp_gt_i32_e64 s20, 0, v115
	v_and_b32_e32 v22, v22, v114
	v_ashrrev_i32_e32 v113, 31, v113
	v_xor_b32_e32 v28, vcc_lo, v28
	v_mad_u32_u24 v114, v27, 36, v96
	v_mul_u32_u24_e32 v27, 36, v27
	v_and_b32_e32 v22, v22, v116
	v_xor_b32_e32 v115, s20, v113
	ds_read_b32 v113, v114 offset:1056
	v_add_nc_u32_e32 v116, v96, v27
	v_and_b32_e32 v22, v22, v28
	; wave barrier
	v_and_b32_e32 v22, v22, v115
	v_mbcnt_lo_u32_b32 v115, v22, 0
	v_cmp_ne_u32_e64 s20, 0, v22
	v_cmp_eq_u32_e32 vcc_lo, 0, v115
	s_and_b32 s21, s20, vcc_lo
	s_and_saveexec_b32 s20, s21
	s_cbranch_execz .LBB1738_254
; %bb.253:                              ;   in Loop: Header=BB1738_228 Depth=2
	s_waitcnt lgkmcnt(0)
	v_bcnt_u32_b32 v22, v22, v113
	ds_write_b32 v116, v22 offset:1056
.LBB1738_254:                           ;   in Loop: Header=BB1738_228 Depth=2
	s_or_b32 exec_lo, exec_lo, s20
	v_cmp_gt_i16_e32 vcc_lo, 0, v26
	; wave barrier
	v_cndmask_b32_e64 v22, 0x7fff, 0, vcc_lo
	v_xor_b32_e32 v114, v22, v26
	v_cmp_ne_u16_e32 vcc_lo, 0x8000, v114
	v_cndmask_b32_e32 v22, 0x7fff, v114, vcc_lo
	v_lshrrev_b32_sdwa v22, s42, v22 dst_sel:DWORD dst_unused:UNUSED_PAD src0_sel:DWORD src1_sel:WORD_0
	v_and_b32_e32 v26, s43, v22
	v_and_b32_e32 v22, 1, v26
	v_lshlrev_b32_e32 v27, 30, v26
	v_lshlrev_b32_e32 v28, 29, v26
	;; [unrolled: 1-line block ×4, first 2 shown]
	v_add_co_u32 v22, s20, v22, -1
	v_cndmask_b32_e64 v118, 0, 1, s20
	v_not_b32_e32 v122, v27
	v_cmp_gt_i32_e64 s20, 0, v27
	v_not_b32_e32 v27, v28
	v_lshlrev_b32_e32 v120, 26, v26
	v_cmp_ne_u32_e32 vcc_lo, 0, v118
	v_ashrrev_i32_e32 v122, 31, v122
	v_lshlrev_b32_e32 v121, 25, v26
	v_ashrrev_i32_e32 v27, 31, v27
	v_lshlrev_b32_e32 v118, 24, v26
	v_xor_b32_e32 v22, vcc_lo, v22
	v_cmp_gt_i32_e32 vcc_lo, 0, v28
	v_not_b32_e32 v28, v117
	v_xor_b32_e32 v122, s20, v122
	v_cmp_gt_i32_e64 s20, 0, v117
	v_and_b32_e32 v22, exec_lo, v22
	v_not_b32_e32 v117, v119
	v_ashrrev_i32_e32 v28, 31, v28
	v_xor_b32_e32 v27, vcc_lo, v27
	v_cmp_gt_i32_e32 vcc_lo, 0, v119
	v_and_b32_e32 v22, v22, v122
	v_not_b32_e32 v119, v120
	v_ashrrev_i32_e32 v117, 31, v117
	v_xor_b32_e32 v28, s20, v28
	v_cmp_gt_i32_e64 s20, 0, v120
	v_and_b32_e32 v22, v22, v27
	v_not_b32_e32 v27, v121
	v_ashrrev_i32_e32 v119, 31, v119
	v_xor_b32_e32 v117, vcc_lo, v117
	v_cmp_gt_i32_e32 vcc_lo, 0, v121
	v_and_b32_e32 v22, v22, v28
	v_not_b32_e32 v28, v118
	v_ashrrev_i32_e32 v27, 31, v27
	v_xor_b32_e32 v119, s20, v119
	v_cmp_gt_i32_e64 s20, 0, v118
	v_and_b32_e32 v22, v22, v117
	v_ashrrev_i32_e32 v28, 31, v28
	v_xor_b32_e32 v27, vcc_lo, v27
	v_mad_u32_u24 v117, v26, 36, v96
	v_mul_u32_u24_e32 v26, 36, v26
	v_and_b32_e32 v22, v22, v119
	v_xor_b32_e32 v28, s20, v28
	ds_read_b32 v117, v117 offset:1056
	v_add_nc_u32_e32 v120, v96, v26
	v_and_b32_e32 v22, v22, v27
	; wave barrier
	v_and_b32_e32 v22, v22, v28
	v_mbcnt_lo_u32_b32 v119, v22, 0
	v_cmp_ne_u32_e64 s20, 0, v22
	v_cmp_eq_u32_e32 vcc_lo, 0, v119
	s_and_b32 s21, s20, vcc_lo
	s_and_saveexec_b32 s20, s21
	s_cbranch_execz .LBB1738_256
; %bb.255:                              ;   in Loop: Header=BB1738_228 Depth=2
	s_waitcnt lgkmcnt(0)
	v_bcnt_u32_b32 v22, v22, v117
	ds_write_b32 v120, v22 offset:1056
.LBB1738_256:                           ;   in Loop: Header=BB1738_228 Depth=2
	s_or_b32 exec_lo, exec_lo, s20
	v_cmp_gt_i16_e32 vcc_lo, 0, v25
	; wave barrier
	v_cndmask_b32_e64 v22, 0x7fff, 0, vcc_lo
	v_xor_b32_e32 v118, v22, v25
	v_cmp_ne_u16_e32 vcc_lo, 0x8000, v118
	v_cndmask_b32_e32 v22, 0x7fff, v118, vcc_lo
	v_lshrrev_b32_sdwa v22, s42, v22 dst_sel:DWORD dst_unused:UNUSED_PAD src0_sel:DWORD src1_sel:WORD_0
	v_and_b32_e32 v25, s43, v22
	v_and_b32_e32 v22, 1, v25
	v_lshlrev_b32_e32 v26, 30, v25
	v_lshlrev_b32_e32 v27, 29, v25
	v_lshlrev_b32_e32 v28, 28, v25
	v_lshlrev_b32_e32 v122, 27, v25
	v_add_co_u32 v22, s20, v22, -1
	v_cndmask_b32_e64 v121, 0, 1, s20
	v_not_b32_e32 v125, v26
	v_cmp_gt_i32_e64 s20, 0, v26
	v_not_b32_e32 v26, v27
	v_lshlrev_b32_e32 v123, 26, v25
	v_cmp_ne_u32_e32 vcc_lo, 0, v121
	v_ashrrev_i32_e32 v125, 31, v125
	v_lshlrev_b32_e32 v124, 25, v25
	v_ashrrev_i32_e32 v26, 31, v26
	v_lshlrev_b32_e32 v121, 24, v25
	v_xor_b32_e32 v22, vcc_lo, v22
	v_cmp_gt_i32_e32 vcc_lo, 0, v27
	v_not_b32_e32 v27, v28
	v_xor_b32_e32 v125, s20, v125
	v_cmp_gt_i32_e64 s20, 0, v28
	v_and_b32_e32 v22, exec_lo, v22
	v_not_b32_e32 v28, v122
	v_ashrrev_i32_e32 v27, 31, v27
	v_xor_b32_e32 v26, vcc_lo, v26
	v_cmp_gt_i32_e32 vcc_lo, 0, v122
	v_and_b32_e32 v22, v22, v125
	v_not_b32_e32 v122, v123
	v_ashrrev_i32_e32 v28, 31, v28
	v_xor_b32_e32 v27, s20, v27
	v_cmp_gt_i32_e64 s20, 0, v123
	v_and_b32_e32 v22, v22, v26
	v_not_b32_e32 v26, v124
	v_ashrrev_i32_e32 v122, 31, v122
	v_xor_b32_e32 v28, vcc_lo, v28
	v_cmp_gt_i32_e32 vcc_lo, 0, v124
	v_and_b32_e32 v22, v22, v27
	v_not_b32_e32 v27, v121
	v_ashrrev_i32_e32 v26, 31, v26
	v_xor_b32_e32 v122, s20, v122
	v_cmp_gt_i32_e64 s20, 0, v121
	v_and_b32_e32 v22, v22, v28
	v_ashrrev_i32_e32 v27, 31, v27
	v_xor_b32_e32 v26, vcc_lo, v26
	v_mad_u32_u24 v28, v25, 36, v96
	v_mul_u32_u24_e32 v25, 36, v25
	v_and_b32_e32 v22, v22, v122
	v_xor_b32_e32 v27, s20, v27
	ds_read_b32 v121, v28 offset:1056
	v_add_nc_u32_e32 v124, v96, v25
	v_and_b32_e32 v22, v22, v26
	; wave barrier
	v_and_b32_e32 v22, v22, v27
	v_mbcnt_lo_u32_b32 v123, v22, 0
	v_cmp_ne_u32_e64 s20, 0, v22
	v_cmp_eq_u32_e32 vcc_lo, 0, v123
	s_and_b32 s21, s20, vcc_lo
	s_and_saveexec_b32 s20, s21
	s_cbranch_execz .LBB1738_258
; %bb.257:                              ;   in Loop: Header=BB1738_228 Depth=2
	s_waitcnt lgkmcnt(0)
	v_bcnt_u32_b32 v22, v22, v121
	ds_write_b32 v124, v22 offset:1056
.LBB1738_258:                           ;   in Loop: Header=BB1738_228 Depth=2
	s_or_b32 exec_lo, exec_lo, s20
	v_cmp_gt_i16_e32 vcc_lo, 0, v24
	; wave barrier
	v_cndmask_b32_e64 v22, 0x7fff, 0, vcc_lo
	v_xor_b32_e32 v122, v22, v24
	v_cmp_ne_u16_e32 vcc_lo, 0x8000, v122
	v_cndmask_b32_e32 v22, 0x7fff, v122, vcc_lo
	v_lshrrev_b32_sdwa v22, s42, v22 dst_sel:DWORD dst_unused:UNUSED_PAD src0_sel:DWORD src1_sel:WORD_0
	v_and_b32_e32 v24, s43, v22
	v_and_b32_e32 v22, 1, v24
	v_lshlrev_b32_e32 v25, 30, v24
	v_lshlrev_b32_e32 v26, 29, v24
	;; [unrolled: 1-line block ×4, first 2 shown]
	v_add_co_u32 v22, s20, v22, -1
	v_cndmask_b32_e64 v28, 0, 1, s20
	v_not_b32_e32 v128, v25
	v_cmp_gt_i32_e64 s20, 0, v25
	v_not_b32_e32 v25, v26
	v_lshlrev_b32_e32 v126, 26, v24
	v_cmp_ne_u32_e32 vcc_lo, 0, v28
	v_ashrrev_i32_e32 v128, 31, v128
	v_lshlrev_b32_e32 v127, 25, v24
	v_ashrrev_i32_e32 v25, 31, v25
	v_lshlrev_b32_e32 v28, 24, v24
	v_xor_b32_e32 v22, vcc_lo, v22
	v_cmp_gt_i32_e32 vcc_lo, 0, v26
	v_not_b32_e32 v26, v27
	v_xor_b32_e32 v128, s20, v128
	v_cmp_gt_i32_e64 s20, 0, v27
	v_and_b32_e32 v22, exec_lo, v22
	v_not_b32_e32 v27, v125
	v_ashrrev_i32_e32 v26, 31, v26
	v_xor_b32_e32 v25, vcc_lo, v25
	v_cmp_gt_i32_e32 vcc_lo, 0, v125
	v_and_b32_e32 v22, v22, v128
	v_not_b32_e32 v125, v126
	v_ashrrev_i32_e32 v27, 31, v27
	v_xor_b32_e32 v26, s20, v26
	v_cmp_gt_i32_e64 s20, 0, v126
	v_and_b32_e32 v22, v22, v25
	v_not_b32_e32 v25, v127
	v_ashrrev_i32_e32 v125, 31, v125
	v_xor_b32_e32 v27, vcc_lo, v27
	v_cmp_gt_i32_e32 vcc_lo, 0, v127
	v_and_b32_e32 v22, v22, v26
	v_not_b32_e32 v26, v28
	v_ashrrev_i32_e32 v25, 31, v25
	v_xor_b32_e32 v125, s20, v125
	v_cmp_gt_i32_e64 s20, 0, v28
	v_and_b32_e32 v22, v22, v27
	v_ashrrev_i32_e32 v26, 31, v26
	v_xor_b32_e32 v25, vcc_lo, v25
	v_mad_u32_u24 v27, v24, 36, v96
	v_mul_u32_u24_e32 v24, 36, v24
	v_and_b32_e32 v22, v22, v125
	v_xor_b32_e32 v26, s20, v26
	ds_read_b32 v125, v27 offset:1056
	v_add_nc_u32_e32 v128, v96, v24
	v_and_b32_e32 v22, v22, v25
	; wave barrier
	v_and_b32_e32 v22, v22, v26
	v_mbcnt_lo_u32_b32 v127, v22, 0
	v_cmp_ne_u32_e64 s20, 0, v22
	v_cmp_eq_u32_e32 vcc_lo, 0, v127
	s_and_b32 s21, s20, vcc_lo
	s_and_saveexec_b32 s20, s21
	s_cbranch_execz .LBB1738_260
; %bb.259:                              ;   in Loop: Header=BB1738_228 Depth=2
	s_waitcnt lgkmcnt(0)
	v_bcnt_u32_b32 v22, v22, v125
	ds_write_b32 v128, v22 offset:1056
.LBB1738_260:                           ;   in Loop: Header=BB1738_228 Depth=2
	s_or_b32 exec_lo, exec_lo, s20
	v_cmp_gt_i16_e32 vcc_lo, 0, v23
	; wave barrier
	v_cndmask_b32_e64 v22, 0x7fff, 0, vcc_lo
	v_xor_b32_e32 v126, v22, v23
	v_cmp_ne_u16_e32 vcc_lo, 0x8000, v126
	v_cndmask_b32_e32 v22, 0x7fff, v126, vcc_lo
	v_lshrrev_b32_sdwa v22, s42, v22 dst_sel:DWORD dst_unused:UNUSED_PAD src0_sel:DWORD src1_sel:WORD_0
	v_and_b32_e32 v23, s43, v22
	v_and_b32_e32 v22, 1, v23
	v_lshlrev_b32_e32 v24, 30, v23
	v_lshlrev_b32_e32 v25, 29, v23
	;; [unrolled: 1-line block ×4, first 2 shown]
	v_add_co_u32 v22, s20, v22, -1
	v_cndmask_b32_e64 v27, 0, 1, s20
	v_not_b32_e32 v131, v24
	v_cmp_gt_i32_e64 s20, 0, v24
	v_not_b32_e32 v24, v25
	v_lshlrev_b32_e32 v129, 26, v23
	v_cmp_ne_u32_e32 vcc_lo, 0, v27
	v_ashrrev_i32_e32 v131, 31, v131
	v_lshlrev_b32_e32 v130, 25, v23
	v_ashrrev_i32_e32 v24, 31, v24
	v_lshlrev_b32_e32 v27, 24, v23
	v_xor_b32_e32 v22, vcc_lo, v22
	v_cmp_gt_i32_e32 vcc_lo, 0, v25
	v_not_b32_e32 v25, v26
	v_xor_b32_e32 v131, s20, v131
	v_cmp_gt_i32_e64 s20, 0, v26
	v_and_b32_e32 v22, exec_lo, v22
	v_not_b32_e32 v26, v28
	v_ashrrev_i32_e32 v25, 31, v25
	v_xor_b32_e32 v24, vcc_lo, v24
	v_cmp_gt_i32_e32 vcc_lo, 0, v28
	v_and_b32_e32 v22, v22, v131
	v_not_b32_e32 v28, v129
	v_ashrrev_i32_e32 v26, 31, v26
	v_xor_b32_e32 v25, s20, v25
	v_cmp_gt_i32_e64 s20, 0, v129
	v_and_b32_e32 v22, v22, v24
	v_not_b32_e32 v24, v130
	v_ashrrev_i32_e32 v28, 31, v28
	v_xor_b32_e32 v26, vcc_lo, v26
	v_cmp_gt_i32_e32 vcc_lo, 0, v130
	v_and_b32_e32 v22, v22, v25
	v_not_b32_e32 v25, v27
	v_ashrrev_i32_e32 v24, 31, v24
	v_xor_b32_e32 v28, s20, v28
	v_cmp_gt_i32_e64 s20, 0, v27
	v_and_b32_e32 v22, v22, v26
	v_ashrrev_i32_e32 v25, 31, v25
	v_xor_b32_e32 v24, vcc_lo, v24
	v_mad_u32_u24 v26, v23, 36, v96
	v_mul_u32_u24_e32 v23, 36, v23
	v_and_b32_e32 v22, v22, v28
	v_xor_b32_e32 v25, s20, v25
	ds_read_b32 v129, v26 offset:1056
	v_add_nc_u32_e32 v132, v96, v23
	v_and_b32_e32 v22, v22, v24
	; wave barrier
	v_and_b32_e32 v22, v22, v25
	v_mbcnt_lo_u32_b32 v131, v22, 0
	v_cmp_ne_u32_e64 s20, 0, v22
	v_cmp_eq_u32_e32 vcc_lo, 0, v131
	s_and_b32 s21, s20, vcc_lo
	s_and_saveexec_b32 s20, s21
	s_cbranch_execz .LBB1738_262
; %bb.261:                              ;   in Loop: Header=BB1738_228 Depth=2
	s_waitcnt lgkmcnt(0)
	v_bcnt_u32_b32 v22, v22, v129
	ds_write_b32 v132, v22 offset:1056
.LBB1738_262:                           ;   in Loop: Header=BB1738_228 Depth=2
	s_or_b32 exec_lo, exec_lo, s20
	v_cmp_gt_i16_e32 vcc_lo, 0, v21
	; wave barrier
	v_cndmask_b32_e64 v22, 0x7fff, 0, vcc_lo
	v_xor_b32_e32 v130, v22, v21
	v_cmp_ne_u16_e32 vcc_lo, 0x8000, v130
	v_cndmask_b32_e32 v21, 0x7fff, v130, vcc_lo
	v_lshrrev_b32_sdwa v21, s42, v21 dst_sel:DWORD dst_unused:UNUSED_PAD src0_sel:DWORD src1_sel:WORD_0
	v_and_b32_e32 v22, s43, v21
	v_and_b32_e32 v21, 1, v22
	v_lshlrev_b32_e32 v23, 30, v22
	v_lshlrev_b32_e32 v24, 29, v22
	;; [unrolled: 1-line block ×4, first 2 shown]
	v_add_co_u32 v21, s20, v21, -1
	v_cndmask_b32_e64 v26, 0, 1, s20
	v_not_b32_e32 v134, v23
	v_cmp_gt_i32_e64 s20, 0, v23
	v_not_b32_e32 v23, v24
	v_lshlrev_b32_e32 v28, 26, v22
	v_cmp_ne_u32_e32 vcc_lo, 0, v26
	v_ashrrev_i32_e32 v134, 31, v134
	v_lshlrev_b32_e32 v133, 25, v22
	v_ashrrev_i32_e32 v23, 31, v23
	v_lshlrev_b32_e32 v26, 24, v22
	v_xor_b32_e32 v21, vcc_lo, v21
	v_cmp_gt_i32_e32 vcc_lo, 0, v24
	v_not_b32_e32 v24, v25
	v_xor_b32_e32 v134, s20, v134
	v_cmp_gt_i32_e64 s20, 0, v25
	v_and_b32_e32 v21, exec_lo, v21
	v_not_b32_e32 v25, v27
	v_ashrrev_i32_e32 v24, 31, v24
	v_xor_b32_e32 v23, vcc_lo, v23
	v_cmp_gt_i32_e32 vcc_lo, 0, v27
	v_and_b32_e32 v21, v21, v134
	v_not_b32_e32 v27, v28
	v_ashrrev_i32_e32 v25, 31, v25
	v_xor_b32_e32 v24, s20, v24
	v_cmp_gt_i32_e64 s20, 0, v28
	v_and_b32_e32 v21, v21, v23
	v_not_b32_e32 v23, v133
	v_ashrrev_i32_e32 v27, 31, v27
	v_xor_b32_e32 v25, vcc_lo, v25
	v_cmp_gt_i32_e32 vcc_lo, 0, v133
	v_and_b32_e32 v21, v21, v24
	v_not_b32_e32 v24, v26
	v_ashrrev_i32_e32 v23, 31, v23
	v_xor_b32_e32 v27, s20, v27
	v_cmp_gt_i32_e64 s20, 0, v26
	v_and_b32_e32 v21, v21, v25
	v_ashrrev_i32_e32 v24, 31, v24
	v_xor_b32_e32 v23, vcc_lo, v23
	v_mad_u32_u24 v25, v22, 36, v96
	v_mul_u32_u24_e32 v22, 36, v22
	v_and_b32_e32 v21, v21, v27
	v_xor_b32_e32 v24, s20, v24
	ds_read_b32 v133, v25 offset:1056
	v_add_nc_u32_e32 v135, v96, v22
	v_and_b32_e32 v21, v21, v23
	; wave barrier
	v_and_b32_e32 v21, v21, v24
	v_mbcnt_lo_u32_b32 v134, v21, 0
	v_cmp_ne_u32_e64 s20, 0, v21
	v_cmp_eq_u32_e32 vcc_lo, 0, v134
	s_and_b32 s21, s20, vcc_lo
	s_and_saveexec_b32 s20, s21
	s_cbranch_execz .LBB1738_264
; %bb.263:                              ;   in Loop: Header=BB1738_228 Depth=2
	s_waitcnt lgkmcnt(0)
	v_bcnt_u32_b32 v21, v21, v133
	ds_write_b32 v135, v21 offset:1056
.LBB1738_264:                           ;   in Loop: Header=BB1738_228 Depth=2
	s_or_b32 exec_lo, exec_lo, s20
	; wave barrier
	s_waitcnt lgkmcnt(0)
	s_barrier
	buffer_gl0_inv
	ds_read2_b32 v[27:28], v78 offset1:1
	ds_read2_b32 v[25:26], v88 offset1:1
	;; [unrolled: 1-line block ×4, first 2 shown]
	ds_read_b32 v136, v44 offset:1088
	s_waitcnt lgkmcnt(3)
	v_add3_u32 v137, v28, v27, v25
	s_waitcnt lgkmcnt(2)
	v_add3_u32 v137, v137, v26, v23
	;; [unrolled: 2-line block ×4, first 2 shown]
	v_mov_b32_dpp v137, v136 row_shr:1 row_mask:0xf bank_mask:0xf
	v_cndmask_b32_e64 v137, v137, 0, s5
	v_add_nc_u32_e32 v136, v137, v136
	v_mov_b32_dpp v137, v136 row_shr:2 row_mask:0xf bank_mask:0xf
	v_cndmask_b32_e64 v137, 0, v137, s13
	v_add_nc_u32_e32 v136, v136, v137
	;; [unrolled: 3-line block ×4, first 2 shown]
	ds_swizzle_b32 v137, v136 offset:swizzle(BROADCAST,32,15)
	s_waitcnt lgkmcnt(0)
	v_cndmask_b32_e64 v137, v137, 0, s16
	v_add_nc_u32_e32 v136, v136, v137
	s_and_saveexec_b32 s20, s8
; %bb.265:                              ;   in Loop: Header=BB1738_228 Depth=2
	ds_write_b32 v39, v136 offset:1024
; %bb.266:                              ;   in Loop: Header=BB1738_228 Depth=2
	s_or_b32 exec_lo, exec_lo, s20
	s_waitcnt lgkmcnt(0)
	s_barrier
	buffer_gl0_inv
	s_and_saveexec_b32 s20, s9
	s_cbranch_execz .LBB1738_268
; %bb.267:                              ;   in Loop: Header=BB1738_228 Depth=2
	ds_read_b32 v137, v46 offset:1024
	s_waitcnt lgkmcnt(0)
	v_mov_b32_dpp v138, v137 row_shr:1 row_mask:0xf bank_mask:0xf
	v_cndmask_b32_e64 v138, v138, 0, s17
	v_add_nc_u32_e32 v137, v138, v137
	v_mov_b32_dpp v138, v137 row_shr:2 row_mask:0xf bank_mask:0xf
	v_cndmask_b32_e64 v138, 0, v138, s18
	v_add_nc_u32_e32 v137, v137, v138
	v_mov_b32_dpp v138, v137 row_shr:4 row_mask:0xf bank_mask:0xf
	v_cndmask_b32_e64 v138, 0, v138, s19
	v_add_nc_u32_e32 v137, v137, v138
	ds_write_b32 v46, v137 offset:1024
.LBB1738_268:                           ;   in Loop: Header=BB1738_228 Depth=2
	s_or_b32 exec_lo, exec_lo, s20
	v_mov_b32_e32 v137, 0
	s_waitcnt lgkmcnt(0)
	s_barrier
	buffer_gl0_inv
	s_and_saveexec_b32 s20, s10
; %bb.269:                              ;   in Loop: Header=BB1738_228 Depth=2
	ds_read_b32 v137, v39 offset:1020
; %bb.270:                              ;   in Loop: Header=BB1738_228 Depth=2
	s_or_b32 exec_lo, exec_lo, s20
	s_waitcnt lgkmcnt(0)
	v_add_nc_u32_e32 v136, v137, v136
	ds_bpermute_b32 v136, v91, v136
	s_waitcnt lgkmcnt(0)
	v_cndmask_b32_e64 v136, v136, v137, s12
	v_cndmask_b32_e64 v136, v136, 0, s4
	v_add_nc_u32_e32 v27, v136, v27
	v_add_nc_u32_e32 v28, v27, v28
	;; [unrolled: 1-line block ×8, first 2 shown]
	ds_write2_b32 v78, v136, v27 offset1:1
	ds_write2_b32 v88, v28, v25 offset1:1
	;; [unrolled: 1-line block ×4, first 2 shown]
	ds_write_b32 v44, v22 offset:1088
	s_waitcnt lgkmcnt(0)
	s_barrier
	buffer_gl0_inv
	ds_read_b32 v24, v108 offset:1056
	ds_read_b32 v25, v112 offset:1056
	;; [unrolled: 1-line block ×9, first 2 shown]
	v_mov_b32_e32 v23, 0x800
	s_and_saveexec_b32 s20, s11
; %bb.271:                              ;   in Loop: Header=BB1738_228 Depth=2
	ds_read_b32 v23, v44 offset:1092
; %bb.272:                              ;   in Loop: Header=BB1738_228 Depth=2
	s_or_b32 exec_lo, exec_lo, s20
	s_waitcnt lgkmcnt(0)
	s_barrier
	buffer_gl0_inv
	s_and_saveexec_b32 s20, s7
	s_cbranch_execz .LBB1738_274
; %bb.273:                              ;   in Loop: Header=BB1738_228 Depth=2
	ds_read_b32 v112, v29
	s_waitcnt lgkmcnt(0)
	v_sub_nc_u32_e32 v108, v112, v108
	ds_write_b32 v29, v108
.LBB1738_274:                           ;   in Loop: Header=BB1738_228 Depth=2
	s_or_b32 exec_lo, exec_lo, s20
	v_add_nc_u32_e32 v112, v24, v106
	v_add3_u32 v108, v110, v109, v25
	v_add3_u32 v106, v115, v113, v26
	;; [unrolled: 1-line block ×4, first 2 shown]
	v_lshlrev_b32_e32 v109, 1, v112
	v_lshlrev_b32_e32 v110, 1, v108
	v_add3_u32 v27, v131, v129, v22
	v_lshlrev_b32_e32 v22, 1, v106
	v_add3_u32 v28, v134, v133, v21
	ds_write_b16 v109, v3 offset:1024
	ds_write_b16 v110, v107 offset:1024
	v_lshlrev_b32_e32 v3, 1, v26
	v_add3_u32 v24, v127, v125, v116
	ds_write_b16 v22, v111 offset:1024
	v_lshlrev_b32_e32 v21, 1, v25
	v_cmp_lt_u32_e32 vcc_lo, v0, v105
	ds_write_b16 v3, v114 offset:1024
	v_lshlrev_b32_e32 v3, 1, v28
	v_lshlrev_b32_e32 v22, 1, v24
	;; [unrolled: 1-line block ×3, first 2 shown]
	ds_write_b16 v21, v118 offset:1024
	ds_write_b16 v22, v122 offset:1024
	ds_write_b16 v107, v126 offset:1024
	ds_write_b16 v3, v130 offset:1024
	s_waitcnt lgkmcnt(0)
	s_barrier
	buffer_gl0_inv
	s_and_saveexec_b32 s21, vcc_lo
	s_cbranch_execnz .LBB1738_311
; %bb.275:                              ;   in Loop: Header=BB1738_228 Depth=2
	s_or_b32 exec_lo, exec_lo, s21
	v_cmp_lt_u32_e64 s20, v30, v105
	s_and_saveexec_b32 s22, s20
	s_cbranch_execnz .LBB1738_312
.LBB1738_276:                           ;   in Loop: Header=BB1738_228 Depth=2
	s_or_b32 exec_lo, exec_lo, s22
	v_cmp_lt_u32_e64 s21, v31, v105
	s_and_saveexec_b32 s23, s21
	s_cbranch_execnz .LBB1738_313
.LBB1738_277:                           ;   in Loop: Header=BB1738_228 Depth=2
	s_or_b32 exec_lo, exec_lo, s23
	v_cmp_lt_u32_e64 s22, v32, v105
	s_and_saveexec_b32 s24, s22
	s_cbranch_execnz .LBB1738_314
.LBB1738_278:                           ;   in Loop: Header=BB1738_228 Depth=2
	s_or_b32 exec_lo, exec_lo, s24
	v_cmp_lt_u32_e64 s23, v35, v105
	s_and_saveexec_b32 s25, s23
	s_cbranch_execnz .LBB1738_315
.LBB1738_279:                           ;   in Loop: Header=BB1738_228 Depth=2
	s_or_b32 exec_lo, exec_lo, s25
	v_cmp_lt_u32_e64 s24, v36, v105
	s_and_saveexec_b32 s26, s24
	s_cbranch_execnz .LBB1738_316
.LBB1738_280:                           ;   in Loop: Header=BB1738_228 Depth=2
	s_or_b32 exec_lo, exec_lo, s26
	v_cmp_lt_u32_e64 s25, v37, v105
	s_and_saveexec_b32 s28, s25
	s_cbranch_execnz .LBB1738_317
.LBB1738_281:                           ;   in Loop: Header=BB1738_228 Depth=2
	s_or_b32 exec_lo, exec_lo, s28
	v_cmp_lt_u32_e64 s26, v38, v105
	s_and_saveexec_b32 s54, s26
	s_cbranch_execz .LBB1738_283
.LBB1738_282:                           ;   in Loop: Header=BB1738_228 Depth=2
	ds_read_u16 v107, v47 offset:4608
	s_waitcnt lgkmcnt(0)
	v_cmp_ne_u16_e64 s28, 0x8000, v107
	v_cndmask_b32_e64 v3, 0x7fff, v107, s28
	v_cmp_gt_i16_e64 s28, 0, v107
	v_lshrrev_b32_sdwa v3, s42, v3 dst_sel:DWORD dst_unused:UNUSED_PAD src0_sel:DWORD src1_sel:WORD_0
	v_cndmask_b32_e64 v109, 0x7fff, 0, s28
	v_and_b32_e32 v3, s43, v3
	v_lshlrev_b32_e32 v3, 2, v3
	ds_read_b32 v3, v3
	s_waitcnt lgkmcnt(0)
	v_add_nc_u32_e32 v3, v3, v38
	v_lshlrev_b64 v[21:22], 1, v[3:4]
	v_xor_b32_e32 v3, v109, v107
	v_add_co_u32 v21, s28, s40, v21
	v_add_co_ci_u32_e64 v22, null, s41, v22, s28
	global_store_short v[21:22], v3, off
.LBB1738_283:                           ;   in Loop: Header=BB1738_228 Depth=2
	s_or_b32 exec_lo, exec_lo, s54
	s_lshl_b64 s[54:55], s[34:35], 3
	v_add_co_u32 v21, s28, v92, s54
	v_add_co_ci_u32_e64 v22, null, s55, v93, s28
	v_cmp_lt_u32_e64 s28, v66, v105
	s_and_saveexec_b32 s34, s28
	s_xor_b32 s28, exec_lo, s34
	s_cbranch_execnz .LBB1738_318
; %bb.284:                              ;   in Loop: Header=BB1738_228 Depth=2
	s_or_b32 exec_lo, exec_lo, s28
	s_mov_b32 s34, exec_lo
	v_cmpx_lt_u32_e64 v70, v105
	s_cbranch_execnz .LBB1738_319
.LBB1738_285:                           ;   in Loop: Header=BB1738_228 Depth=2
	s_or_b32 exec_lo, exec_lo, s34
	s_mov_b32 s34, exec_lo
	v_cmpx_lt_u32_e64 v71, v105
	s_cbranch_execnz .LBB1738_320
.LBB1738_286:                           ;   in Loop: Header=BB1738_228 Depth=2
	s_or_b32 exec_lo, exec_lo, s34
	s_mov_b32 s34, exec_lo
	v_cmpx_lt_u32_e64 v72, v105
	s_cbranch_execnz .LBB1738_321
.LBB1738_287:                           ;   in Loop: Header=BB1738_228 Depth=2
	s_or_b32 exec_lo, exec_lo, s34
	s_mov_b32 s34, exec_lo
	v_cmpx_lt_u32_e64 v73, v105
	s_cbranch_execnz .LBB1738_322
.LBB1738_288:                           ;   in Loop: Header=BB1738_228 Depth=2
	s_or_b32 exec_lo, exec_lo, s34
	s_mov_b32 s34, exec_lo
	v_cmpx_lt_u32_e64 v74, v105
	s_cbranch_execnz .LBB1738_323
.LBB1738_289:                           ;   in Loop: Header=BB1738_228 Depth=2
	s_or_b32 exec_lo, exec_lo, s34
	s_mov_b32 s34, exec_lo
	v_cmpx_lt_u32_e64 v75, v105
	s_cbranch_execnz .LBB1738_324
.LBB1738_290:                           ;   in Loop: Header=BB1738_228 Depth=2
	s_or_b32 exec_lo, exec_lo, s34
	s_mov_b32 s34, exec_lo
	v_cmpx_lt_u32_e64 v76, v105
	s_cbranch_execnz .LBB1738_325
.LBB1738_291:                           ;   in Loop: Header=BB1738_228 Depth=2
	s_or_b32 exec_lo, exec_lo, s34
	s_and_saveexec_b32 s34, vcc_lo
	s_cbranch_execnz .LBB1738_326
.LBB1738_292:                           ;   in Loop: Header=BB1738_228 Depth=2
	s_or_b32 exec_lo, exec_lo, s34
	s_and_saveexec_b32 s34, s20
	s_cbranch_execnz .LBB1738_327
.LBB1738_293:                           ;   in Loop: Header=BB1738_228 Depth=2
	s_or_b32 exec_lo, exec_lo, s34
	s_and_saveexec_b32 s34, s21
	s_cbranch_execnz .LBB1738_328
.LBB1738_294:                           ;   in Loop: Header=BB1738_228 Depth=2
	s_or_b32 exec_lo, exec_lo, s34
	s_and_saveexec_b32 s34, s22
	s_cbranch_execnz .LBB1738_329
.LBB1738_295:                           ;   in Loop: Header=BB1738_228 Depth=2
	s_or_b32 exec_lo, exec_lo, s34
	s_and_saveexec_b32 s34, s23
	s_cbranch_execnz .LBB1738_330
.LBB1738_296:                           ;   in Loop: Header=BB1738_228 Depth=2
	s_or_b32 exec_lo, exec_lo, s34
	s_and_saveexec_b32 s34, s24
	s_cbranch_execnz .LBB1738_331
.LBB1738_297:                           ;   in Loop: Header=BB1738_228 Depth=2
	s_or_b32 exec_lo, exec_lo, s34
	s_and_saveexec_b32 s34, s25
	s_cbranch_execnz .LBB1738_332
.LBB1738_298:                           ;   in Loop: Header=BB1738_228 Depth=2
	s_or_b32 exec_lo, exec_lo, s34
	s_and_saveexec_b32 s34, s26
	s_cbranch_execz .LBB1738_300
.LBB1738_299:                           ;   in Loop: Header=BB1738_228 Depth=2
	ds_read_u16 v3, v47 offset:4608
	s_waitcnt lgkmcnt(0)
	v_cmp_ne_u16_e64 s28, 0x8000, v3
	v_cndmask_b32_e64 v3, 0x7fff, v3, s28
	v_lshrrev_b32_sdwa v3, s42, v3 dst_sel:DWORD dst_unused:UNUSED_PAD src0_sel:DWORD src1_sel:WORD_0
	v_and_b32_e32 v97, s43, v3
.LBB1738_300:                           ;   in Loop: Header=BB1738_228 Depth=2
	s_or_b32 exec_lo, exec_lo, s34
	v_lshlrev_b32_e32 v3, 3, v112
	v_lshlrev_b32_e32 v21, 3, v108
	;; [unrolled: 1-line block ×3, first 2 shown]
	s_waitcnt vmcnt(0)
	s_waitcnt_vscnt null, 0x0
	s_barrier
	buffer_gl0_inv
	ds_write_b64 v3, v[19:20] offset:1024
	ds_write_b64 v21, v[17:18] offset:1024
	;; [unrolled: 1-line block ×3, first 2 shown]
	v_lshlrev_b32_e32 v3, 3, v26
	v_lshlrev_b32_e32 v21, 3, v25
	;; [unrolled: 1-line block ×5, first 2 shown]
	ds_write_b64 v3, v[13:14] offset:1024
	ds_write_b64 v21, v[11:12] offset:1024
	;; [unrolled: 1-line block ×5, first 2 shown]
	s_waitcnt lgkmcnt(0)
	s_barrier
	buffer_gl0_inv
	s_and_saveexec_b32 s28, vcc_lo
	s_cbranch_execnz .LBB1738_333
; %bb.301:                              ;   in Loop: Header=BB1738_228 Depth=2
	s_or_b32 exec_lo, exec_lo, s28
	s_and_saveexec_b32 s28, s20
	s_cbranch_execnz .LBB1738_334
.LBB1738_302:                           ;   in Loop: Header=BB1738_228 Depth=2
	s_or_b32 exec_lo, exec_lo, s28
	s_and_saveexec_b32 s20, s21
	s_cbranch_execnz .LBB1738_335
.LBB1738_303:                           ;   in Loop: Header=BB1738_228 Depth=2
	s_or_b32 exec_lo, exec_lo, s20
	s_and_saveexec_b32 s20, s22
	s_cbranch_execnz .LBB1738_336
.LBB1738_304:                           ;   in Loop: Header=BB1738_228 Depth=2
	s_or_b32 exec_lo, exec_lo, s20
	s_and_saveexec_b32 s20, s23
	s_cbranch_execnz .LBB1738_337
.LBB1738_305:                           ;   in Loop: Header=BB1738_228 Depth=2
	s_or_b32 exec_lo, exec_lo, s20
	s_and_saveexec_b32 s20, s24
	s_cbranch_execnz .LBB1738_338
.LBB1738_306:                           ;   in Loop: Header=BB1738_228 Depth=2
	s_or_b32 exec_lo, exec_lo, s20
	s_and_saveexec_b32 s20, s25
	s_cbranch_execnz .LBB1738_339
.LBB1738_307:                           ;   in Loop: Header=BB1738_228 Depth=2
	s_or_b32 exec_lo, exec_lo, s20
	s_and_saveexec_b32 s20, s26
	s_cbranch_execz .LBB1738_309
.LBB1738_308:                           ;   in Loop: Header=BB1738_228 Depth=2
	v_lshlrev_b32_e32 v3, 2, v97
	v_add_nc_u32_e32 v21, v47, v48
	ds_read_b32 v3, v3
	ds_read_b64 v[21:22], v21 offset:15360
	s_waitcnt lgkmcnt(1)
	v_add_nc_u32_e32 v3, v3, v38
	v_lshlrev_b64 v[24:25], 3, v[3:4]
	v_add_co_u32 v24, vcc_lo, s46, v24
	v_add_co_ci_u32_e64 v25, null, s47, v25, vcc_lo
	s_waitcnt lgkmcnt(0)
	global_store_dwordx2 v[24:25], v[21:22], off
.LBB1738_309:                           ;   in Loop: Header=BB1738_228 Depth=2
	s_or_b32 exec_lo, exec_lo, s20
	s_waitcnt_vscnt null, 0x0
	s_barrier
	buffer_gl0_inv
	s_and_saveexec_b32 s20, s7
	s_cbranch_execz .LBB1738_227
; %bb.310:                              ;   in Loop: Header=BB1738_228 Depth=2
	ds_read_b32 v3, v29
	s_waitcnt lgkmcnt(0)
	v_add_nc_u32_e32 v3, v3, v23
	ds_write_b32 v29, v3
	s_branch .LBB1738_227
.LBB1738_311:                           ;   in Loop: Header=BB1738_228 Depth=2
	ds_read_u16 v107, v47 offset:1024
	s_waitcnt lgkmcnt(0)
	v_cmp_ne_u16_e64 s20, 0x8000, v107
	v_cndmask_b32_e64 v3, 0x7fff, v107, s20
	v_cmp_gt_i16_e64 s20, 0, v107
	v_lshrrev_b32_sdwa v3, s42, v3 dst_sel:DWORD dst_unused:UNUSED_PAD src0_sel:DWORD src1_sel:WORD_0
	v_cndmask_b32_e64 v109, 0x7fff, 0, s20
	v_and_b32_e32 v3, s43, v3
	v_lshlrev_b32_e32 v3, 2, v3
	ds_read_b32 v3, v3
	s_waitcnt lgkmcnt(0)
	v_add_nc_u32_e32 v3, v3, v0
	v_lshlrev_b64 v[21:22], 1, v[3:4]
	v_xor_b32_e32 v3, v109, v107
	v_add_co_u32 v21, s20, s40, v21
	v_add_co_ci_u32_e64 v22, null, s41, v22, s20
	global_store_short v[21:22], v3, off
	s_or_b32 exec_lo, exec_lo, s21
	v_cmp_lt_u32_e64 s20, v30, v105
	s_and_saveexec_b32 s22, s20
	s_cbranch_execz .LBB1738_276
.LBB1738_312:                           ;   in Loop: Header=BB1738_228 Depth=2
	ds_read_u16 v107, v47 offset:1536
	s_waitcnt lgkmcnt(0)
	v_cmp_ne_u16_e64 s21, 0x8000, v107
	v_cndmask_b32_e64 v3, 0x7fff, v107, s21
	v_cmp_gt_i16_e64 s21, 0, v107
	v_lshrrev_b32_sdwa v3, s42, v3 dst_sel:DWORD dst_unused:UNUSED_PAD src0_sel:DWORD src1_sel:WORD_0
	v_cndmask_b32_e64 v109, 0x7fff, 0, s21
	v_and_b32_e32 v3, s43, v3
	v_lshlrev_b32_e32 v3, 2, v3
	ds_read_b32 v3, v3
	s_waitcnt lgkmcnt(0)
	v_add_nc_u32_e32 v3, v3, v30
	v_lshlrev_b64 v[21:22], 1, v[3:4]
	v_xor_b32_e32 v3, v109, v107
	v_add_co_u32 v21, s21, s40, v21
	v_add_co_ci_u32_e64 v22, null, s41, v22, s21
	global_store_short v[21:22], v3, off
	s_or_b32 exec_lo, exec_lo, s22
	v_cmp_lt_u32_e64 s21, v31, v105
	s_and_saveexec_b32 s23, s21
	s_cbranch_execz .LBB1738_277
.LBB1738_313:                           ;   in Loop: Header=BB1738_228 Depth=2
	ds_read_u16 v107, v47 offset:2048
	s_waitcnt lgkmcnt(0)
	v_cmp_ne_u16_e64 s22, 0x8000, v107
	v_cndmask_b32_e64 v3, 0x7fff, v107, s22
	v_cmp_gt_i16_e64 s22, 0, v107
	v_lshrrev_b32_sdwa v3, s42, v3 dst_sel:DWORD dst_unused:UNUSED_PAD src0_sel:DWORD src1_sel:WORD_0
	v_cndmask_b32_e64 v109, 0x7fff, 0, s22
	v_and_b32_e32 v3, s43, v3
	v_lshlrev_b32_e32 v3, 2, v3
	ds_read_b32 v3, v3
	s_waitcnt lgkmcnt(0)
	v_add_nc_u32_e32 v3, v3, v31
	v_lshlrev_b64 v[21:22], 1, v[3:4]
	v_xor_b32_e32 v3, v109, v107
	v_add_co_u32 v21, s22, s40, v21
	v_add_co_ci_u32_e64 v22, null, s41, v22, s22
	global_store_short v[21:22], v3, off
	s_or_b32 exec_lo, exec_lo, s23
	v_cmp_lt_u32_e64 s22, v32, v105
	s_and_saveexec_b32 s24, s22
	s_cbranch_execz .LBB1738_278
.LBB1738_314:                           ;   in Loop: Header=BB1738_228 Depth=2
	ds_read_u16 v107, v47 offset:2560
	s_waitcnt lgkmcnt(0)
	v_cmp_ne_u16_e64 s23, 0x8000, v107
	v_cndmask_b32_e64 v3, 0x7fff, v107, s23
	v_cmp_gt_i16_e64 s23, 0, v107
	v_lshrrev_b32_sdwa v3, s42, v3 dst_sel:DWORD dst_unused:UNUSED_PAD src0_sel:DWORD src1_sel:WORD_0
	v_cndmask_b32_e64 v109, 0x7fff, 0, s23
	v_and_b32_e32 v3, s43, v3
	v_lshlrev_b32_e32 v3, 2, v3
	ds_read_b32 v3, v3
	s_waitcnt lgkmcnt(0)
	v_add_nc_u32_e32 v3, v3, v32
	v_lshlrev_b64 v[21:22], 1, v[3:4]
	v_xor_b32_e32 v3, v109, v107
	v_add_co_u32 v21, s23, s40, v21
	v_add_co_ci_u32_e64 v22, null, s41, v22, s23
	global_store_short v[21:22], v3, off
	s_or_b32 exec_lo, exec_lo, s24
	v_cmp_lt_u32_e64 s23, v35, v105
	s_and_saveexec_b32 s25, s23
	s_cbranch_execz .LBB1738_279
.LBB1738_315:                           ;   in Loop: Header=BB1738_228 Depth=2
	ds_read_u16 v107, v47 offset:3072
	s_waitcnt lgkmcnt(0)
	v_cmp_ne_u16_e64 s24, 0x8000, v107
	v_cndmask_b32_e64 v3, 0x7fff, v107, s24
	v_cmp_gt_i16_e64 s24, 0, v107
	v_lshrrev_b32_sdwa v3, s42, v3 dst_sel:DWORD dst_unused:UNUSED_PAD src0_sel:DWORD src1_sel:WORD_0
	v_cndmask_b32_e64 v109, 0x7fff, 0, s24
	v_and_b32_e32 v3, s43, v3
	v_lshlrev_b32_e32 v3, 2, v3
	ds_read_b32 v3, v3
	s_waitcnt lgkmcnt(0)
	v_add_nc_u32_e32 v3, v3, v35
	v_lshlrev_b64 v[21:22], 1, v[3:4]
	v_xor_b32_e32 v3, v109, v107
	v_add_co_u32 v21, s24, s40, v21
	v_add_co_ci_u32_e64 v22, null, s41, v22, s24
	global_store_short v[21:22], v3, off
	s_or_b32 exec_lo, exec_lo, s25
	v_cmp_lt_u32_e64 s24, v36, v105
	s_and_saveexec_b32 s26, s24
	s_cbranch_execz .LBB1738_280
.LBB1738_316:                           ;   in Loop: Header=BB1738_228 Depth=2
	ds_read_u16 v107, v47 offset:3584
	s_waitcnt lgkmcnt(0)
	v_cmp_ne_u16_e64 s25, 0x8000, v107
	v_cndmask_b32_e64 v3, 0x7fff, v107, s25
	v_cmp_gt_i16_e64 s25, 0, v107
	v_lshrrev_b32_sdwa v3, s42, v3 dst_sel:DWORD dst_unused:UNUSED_PAD src0_sel:DWORD src1_sel:WORD_0
	v_cndmask_b32_e64 v109, 0x7fff, 0, s25
	v_and_b32_e32 v3, s43, v3
	v_lshlrev_b32_e32 v3, 2, v3
	ds_read_b32 v3, v3
	s_waitcnt lgkmcnt(0)
	v_add_nc_u32_e32 v3, v3, v36
	v_lshlrev_b64 v[21:22], 1, v[3:4]
	v_xor_b32_e32 v3, v109, v107
	v_add_co_u32 v21, s25, s40, v21
	v_add_co_ci_u32_e64 v22, null, s41, v22, s25
	global_store_short v[21:22], v3, off
	s_or_b32 exec_lo, exec_lo, s26
	v_cmp_lt_u32_e64 s25, v37, v105
	s_and_saveexec_b32 s28, s25
	s_cbranch_execz .LBB1738_281
.LBB1738_317:                           ;   in Loop: Header=BB1738_228 Depth=2
	ds_read_u16 v107, v47 offset:4096
	s_waitcnt lgkmcnt(0)
	v_cmp_ne_u16_e64 s26, 0x8000, v107
	v_cndmask_b32_e64 v3, 0x7fff, v107, s26
	v_cmp_gt_i16_e64 s26, 0, v107
	v_lshrrev_b32_sdwa v3, s42, v3 dst_sel:DWORD dst_unused:UNUSED_PAD src0_sel:DWORD src1_sel:WORD_0
	v_cndmask_b32_e64 v109, 0x7fff, 0, s26
	v_and_b32_e32 v3, s43, v3
	v_lshlrev_b32_e32 v3, 2, v3
	ds_read_b32 v3, v3
	s_waitcnt lgkmcnt(0)
	v_add_nc_u32_e32 v3, v3, v37
	v_lshlrev_b64 v[21:22], 1, v[3:4]
	v_xor_b32_e32 v3, v109, v107
	v_add_co_u32 v21, s26, s40, v21
	v_add_co_ci_u32_e64 v22, null, s41, v22, s26
	global_store_short v[21:22], v3, off
	s_or_b32 exec_lo, exec_lo, s28
	v_cmp_lt_u32_e64 s26, v38, v105
	s_and_saveexec_b32 s54, s26
	s_cbranch_execnz .LBB1738_282
	s_branch .LBB1738_283
.LBB1738_318:                           ;   in Loop: Header=BB1738_228 Depth=2
	global_load_dwordx2 v[19:20], v[21:22], off
	s_or_b32 exec_lo, exec_lo, s28
	s_mov_b32 s34, exec_lo
	v_cmpx_lt_u32_e64 v70, v105
	s_cbranch_execz .LBB1738_285
.LBB1738_319:                           ;   in Loop: Header=BB1738_228 Depth=2
	global_load_dwordx2 v[17:18], v[21:22], off offset:256
	s_or_b32 exec_lo, exec_lo, s34
	s_mov_b32 s34, exec_lo
	v_cmpx_lt_u32_e64 v71, v105
	s_cbranch_execz .LBB1738_286
.LBB1738_320:                           ;   in Loop: Header=BB1738_228 Depth=2
	global_load_dwordx2 v[15:16], v[21:22], off offset:512
	s_or_b32 exec_lo, exec_lo, s34
	s_mov_b32 s34, exec_lo
	v_cmpx_lt_u32_e64 v72, v105
	s_cbranch_execz .LBB1738_287
.LBB1738_321:                           ;   in Loop: Header=BB1738_228 Depth=2
	global_load_dwordx2 v[13:14], v[21:22], off offset:768
	s_or_b32 exec_lo, exec_lo, s34
	s_mov_b32 s34, exec_lo
	v_cmpx_lt_u32_e64 v73, v105
	s_cbranch_execz .LBB1738_288
.LBB1738_322:                           ;   in Loop: Header=BB1738_228 Depth=2
	global_load_dwordx2 v[11:12], v[21:22], off offset:1024
	s_or_b32 exec_lo, exec_lo, s34
	s_mov_b32 s34, exec_lo
	v_cmpx_lt_u32_e64 v74, v105
	s_cbranch_execz .LBB1738_289
.LBB1738_323:                           ;   in Loop: Header=BB1738_228 Depth=2
	global_load_dwordx2 v[9:10], v[21:22], off offset:1280
	s_or_b32 exec_lo, exec_lo, s34
	s_mov_b32 s34, exec_lo
	v_cmpx_lt_u32_e64 v75, v105
	s_cbranch_execz .LBB1738_290
.LBB1738_324:                           ;   in Loop: Header=BB1738_228 Depth=2
	global_load_dwordx2 v[7:8], v[21:22], off offset:1536
	s_or_b32 exec_lo, exec_lo, s34
	s_mov_b32 s34, exec_lo
	v_cmpx_lt_u32_e64 v76, v105
	s_cbranch_execz .LBB1738_291
.LBB1738_325:                           ;   in Loop: Header=BB1738_228 Depth=2
	global_load_dwordx2 v[5:6], v[21:22], off offset:1792
	s_or_b32 exec_lo, exec_lo, s34
	s_and_saveexec_b32 s34, vcc_lo
	s_cbranch_execz .LBB1738_292
.LBB1738_326:                           ;   in Loop: Header=BB1738_228 Depth=2
	ds_read_u16 v3, v47 offset:1024
	s_waitcnt lgkmcnt(0)
	v_cmp_ne_u16_e64 s28, 0x8000, v3
	v_cndmask_b32_e64 v3, 0x7fff, v3, s28
	v_lshrrev_b32_sdwa v3, s42, v3 dst_sel:DWORD dst_unused:UNUSED_PAD src0_sel:DWORD src1_sel:WORD_0
	v_and_b32_e32 v104, s43, v3
	s_or_b32 exec_lo, exec_lo, s34
	s_and_saveexec_b32 s34, s20
	s_cbranch_execz .LBB1738_293
.LBB1738_327:                           ;   in Loop: Header=BB1738_228 Depth=2
	ds_read_u16 v3, v47 offset:1536
	s_waitcnt lgkmcnt(0)
	v_cmp_ne_u16_e64 s28, 0x8000, v3
	v_cndmask_b32_e64 v3, 0x7fff, v3, s28
	v_lshrrev_b32_sdwa v3, s42, v3 dst_sel:DWORD dst_unused:UNUSED_PAD src0_sel:DWORD src1_sel:WORD_0
	v_and_b32_e32 v103, s43, v3
	s_or_b32 exec_lo, exec_lo, s34
	s_and_saveexec_b32 s34, s21
	s_cbranch_execz .LBB1738_294
.LBB1738_328:                           ;   in Loop: Header=BB1738_228 Depth=2
	ds_read_u16 v3, v47 offset:2048
	s_waitcnt lgkmcnt(0)
	v_cmp_ne_u16_e64 s28, 0x8000, v3
	v_cndmask_b32_e64 v3, 0x7fff, v3, s28
	v_lshrrev_b32_sdwa v3, s42, v3 dst_sel:DWORD dst_unused:UNUSED_PAD src0_sel:DWORD src1_sel:WORD_0
	v_and_b32_e32 v102, s43, v3
	s_or_b32 exec_lo, exec_lo, s34
	s_and_saveexec_b32 s34, s22
	s_cbranch_execz .LBB1738_295
.LBB1738_329:                           ;   in Loop: Header=BB1738_228 Depth=2
	ds_read_u16 v3, v47 offset:2560
	s_waitcnt lgkmcnt(0)
	v_cmp_ne_u16_e64 s28, 0x8000, v3
	v_cndmask_b32_e64 v3, 0x7fff, v3, s28
	v_lshrrev_b32_sdwa v3, s42, v3 dst_sel:DWORD dst_unused:UNUSED_PAD src0_sel:DWORD src1_sel:WORD_0
	v_and_b32_e32 v101, s43, v3
	s_or_b32 exec_lo, exec_lo, s34
	s_and_saveexec_b32 s34, s23
	s_cbranch_execz .LBB1738_296
.LBB1738_330:                           ;   in Loop: Header=BB1738_228 Depth=2
	ds_read_u16 v3, v47 offset:3072
	s_waitcnt lgkmcnt(0)
	v_cmp_ne_u16_e64 s28, 0x8000, v3
	v_cndmask_b32_e64 v3, 0x7fff, v3, s28
	v_lshrrev_b32_sdwa v3, s42, v3 dst_sel:DWORD dst_unused:UNUSED_PAD src0_sel:DWORD src1_sel:WORD_0
	v_and_b32_e32 v100, s43, v3
	s_or_b32 exec_lo, exec_lo, s34
	s_and_saveexec_b32 s34, s24
	s_cbranch_execz .LBB1738_297
.LBB1738_331:                           ;   in Loop: Header=BB1738_228 Depth=2
	ds_read_u16 v3, v47 offset:3584
	s_waitcnt lgkmcnt(0)
	v_cmp_ne_u16_e64 s28, 0x8000, v3
	v_cndmask_b32_e64 v3, 0x7fff, v3, s28
	v_lshrrev_b32_sdwa v3, s42, v3 dst_sel:DWORD dst_unused:UNUSED_PAD src0_sel:DWORD src1_sel:WORD_0
	v_and_b32_e32 v99, s43, v3
	s_or_b32 exec_lo, exec_lo, s34
	s_and_saveexec_b32 s34, s25
	s_cbranch_execz .LBB1738_298
.LBB1738_332:                           ;   in Loop: Header=BB1738_228 Depth=2
	ds_read_u16 v3, v47 offset:4096
	s_waitcnt lgkmcnt(0)
	v_cmp_ne_u16_e64 s28, 0x8000, v3
	v_cndmask_b32_e64 v3, 0x7fff, v3, s28
	v_lshrrev_b32_sdwa v3, s42, v3 dst_sel:DWORD dst_unused:UNUSED_PAD src0_sel:DWORD src1_sel:WORD_0
	v_and_b32_e32 v98, s43, v3
	s_or_b32 exec_lo, exec_lo, s34
	s_and_saveexec_b32 s34, s26
	s_cbranch_execnz .LBB1738_299
	s_branch .LBB1738_300
.LBB1738_333:                           ;   in Loop: Header=BB1738_228 Depth=2
	v_lshlrev_b32_e32 v3, 2, v104
	v_add_nc_u32_e32 v21, v47, v48
	ds_read_b32 v3, v3
	ds_read_b64 v[21:22], v21 offset:1024
	s_waitcnt lgkmcnt(1)
	v_add_nc_u32_e32 v3, v3, v0
	v_lshlrev_b64 v[24:25], 3, v[3:4]
	v_add_co_u32 v24, vcc_lo, s46, v24
	v_add_co_ci_u32_e64 v25, null, s47, v25, vcc_lo
	s_waitcnt lgkmcnt(0)
	global_store_dwordx2 v[24:25], v[21:22], off
	s_or_b32 exec_lo, exec_lo, s28
	s_and_saveexec_b32 s28, s20
	s_cbranch_execz .LBB1738_302
.LBB1738_334:                           ;   in Loop: Header=BB1738_228 Depth=2
	v_lshlrev_b32_e32 v3, 2, v103
	v_add_nc_u32_e32 v21, v47, v48
	ds_read_b32 v3, v3
	ds_read_b64 v[21:22], v21 offset:3072
	s_waitcnt lgkmcnt(1)
	v_add_nc_u32_e32 v3, v3, v30
	v_lshlrev_b64 v[24:25], 3, v[3:4]
	v_add_co_u32 v24, vcc_lo, s46, v24
	v_add_co_ci_u32_e64 v25, null, s47, v25, vcc_lo
	s_waitcnt lgkmcnt(0)
	global_store_dwordx2 v[24:25], v[21:22], off
	s_or_b32 exec_lo, exec_lo, s28
	s_and_saveexec_b32 s20, s21
	s_cbranch_execz .LBB1738_303
.LBB1738_335:                           ;   in Loop: Header=BB1738_228 Depth=2
	v_lshlrev_b32_e32 v3, 2, v102
	v_add_nc_u32_e32 v21, v47, v48
	ds_read_b32 v3, v3
	ds_read_b64 v[21:22], v21 offset:5120
	s_waitcnt lgkmcnt(1)
	v_add_nc_u32_e32 v3, v3, v31
	v_lshlrev_b64 v[24:25], 3, v[3:4]
	v_add_co_u32 v24, vcc_lo, s46, v24
	v_add_co_ci_u32_e64 v25, null, s47, v25, vcc_lo
	s_waitcnt lgkmcnt(0)
	global_store_dwordx2 v[24:25], v[21:22], off
	s_or_b32 exec_lo, exec_lo, s20
	s_and_saveexec_b32 s20, s22
	s_cbranch_execz .LBB1738_304
.LBB1738_336:                           ;   in Loop: Header=BB1738_228 Depth=2
	v_lshlrev_b32_e32 v3, 2, v101
	v_add_nc_u32_e32 v21, v47, v48
	ds_read_b32 v3, v3
	ds_read_b64 v[21:22], v21 offset:7168
	s_waitcnt lgkmcnt(1)
	v_add_nc_u32_e32 v3, v3, v32
	v_lshlrev_b64 v[24:25], 3, v[3:4]
	v_add_co_u32 v24, vcc_lo, s46, v24
	v_add_co_ci_u32_e64 v25, null, s47, v25, vcc_lo
	s_waitcnt lgkmcnt(0)
	global_store_dwordx2 v[24:25], v[21:22], off
	s_or_b32 exec_lo, exec_lo, s20
	s_and_saveexec_b32 s20, s23
	s_cbranch_execz .LBB1738_305
.LBB1738_337:                           ;   in Loop: Header=BB1738_228 Depth=2
	v_lshlrev_b32_e32 v3, 2, v100
	v_add_nc_u32_e32 v21, v47, v48
	ds_read_b32 v3, v3
	ds_read_b64 v[21:22], v21 offset:9216
	s_waitcnt lgkmcnt(1)
	v_add_nc_u32_e32 v3, v3, v35
	v_lshlrev_b64 v[24:25], 3, v[3:4]
	v_add_co_u32 v24, vcc_lo, s46, v24
	v_add_co_ci_u32_e64 v25, null, s47, v25, vcc_lo
	s_waitcnt lgkmcnt(0)
	global_store_dwordx2 v[24:25], v[21:22], off
	s_or_b32 exec_lo, exec_lo, s20
	s_and_saveexec_b32 s20, s24
	s_cbranch_execz .LBB1738_306
.LBB1738_338:                           ;   in Loop: Header=BB1738_228 Depth=2
	v_lshlrev_b32_e32 v3, 2, v99
	v_add_nc_u32_e32 v21, v47, v48
	ds_read_b32 v3, v3
	ds_read_b64 v[21:22], v21 offset:11264
	s_waitcnt lgkmcnt(1)
	v_add_nc_u32_e32 v3, v3, v36
	v_lshlrev_b64 v[24:25], 3, v[3:4]
	v_add_co_u32 v24, vcc_lo, s46, v24
	v_add_co_ci_u32_e64 v25, null, s47, v25, vcc_lo
	s_waitcnt lgkmcnt(0)
	global_store_dwordx2 v[24:25], v[21:22], off
	s_or_b32 exec_lo, exec_lo, s20
	s_and_saveexec_b32 s20, s25
	s_cbranch_execz .LBB1738_307
.LBB1738_339:                           ;   in Loop: Header=BB1738_228 Depth=2
	v_lshlrev_b32_e32 v3, 2, v98
	v_add_nc_u32_e32 v21, v47, v48
	ds_read_b32 v3, v3
	ds_read_b64 v[21:22], v21 offset:13312
	s_waitcnt lgkmcnt(1)
	v_add_nc_u32_e32 v3, v3, v37
	v_lshlrev_b64 v[24:25], 3, v[3:4]
	v_add_co_u32 v24, vcc_lo, s46, v24
	v_add_co_ci_u32_e64 v25, null, s47, v25, vcc_lo
	s_waitcnt lgkmcnt(0)
	global_store_dwordx2 v[24:25], v[21:22], off
	s_or_b32 exec_lo, exec_lo, s20
	s_and_saveexec_b32 s20, s26
	s_cbranch_execnz .LBB1738_308
	s_branch .LBB1738_309
.LBB1738_340:                           ;   in Loop: Header=BB1738_12 Depth=1
	s_waitcnt lgkmcnt(0)
	s_barrier
.LBB1738_341:                           ;   in Loop: Header=BB1738_12 Depth=1
	s_mov_b32 s5, 0
.LBB1738_342:                           ;   in Loop: Header=BB1738_12 Depth=1
	s_andn2_b32 vcc_lo, exec_lo, s5
	s_cbranch_vccnz .LBB1738_11
; %bb.343:                              ;   in Loop: Header=BB1738_12 Depth=1
	s_and_b32 vcc_lo, exec_lo, s51
	s_mov_b32 s5, -1
	s_cbranch_vccz .LBB1738_507
; %bb.344:                              ;   in Loop: Header=BB1738_12 Depth=1
	s_mov_b32 s5, s52
	s_mov_b32 s34, s29
	s_barrier
	buffer_gl0_inv
                                        ; implicit-def: $vgpr3
                                        ; implicit-def: $vgpr5
                                        ; implicit-def: $vgpr6
                                        ; implicit-def: $vgpr7
                                        ; implicit-def: $vgpr8
                                        ; implicit-def: $vgpr9
                                        ; implicit-def: $vgpr10
                                        ; implicit-def: $vgpr11
	s_branch .LBB1738_346
.LBB1738_345:                           ;   in Loop: Header=BB1738_346 Depth=2
	s_or_b32 exec_lo, exec_lo, s14
	s_addk_i32 s5, 0xf800
	s_cmp_ge_u32 s13, s33
	s_mov_b32 s34, s13
	s_cbranch_scc1 .LBB1738_382
.LBB1738_346:                           ;   Parent Loop BB1738_12 Depth=1
                                        ; =>  This Inner Loop Header: Depth=2
	s_add_i32 s13, s34, 0x800
	s_mov_b32 s14, -1
	s_cmp_gt_u32 s13, s33
                                        ; implicit-def: $vgpr12
                                        ; implicit-def: $vgpr13
                                        ; implicit-def: $vgpr14
                                        ; implicit-def: $vgpr15
                                        ; implicit-def: $vgpr16
                                        ; implicit-def: $vgpr17
                                        ; implicit-def: $vgpr18
                                        ; implicit-def: $vgpr19
	s_cbranch_scc1 .LBB1738_348
; %bb.347:                              ;   in Loop: Header=BB1738_346 Depth=2
	s_lshl_b64 s[14:15], s[34:35], 1
	v_add_co_u32 v15, vcc_lo, v55, s14
	v_add_co_ci_u32_e64 v16, null, s15, v56, vcc_lo
	s_mov_b32 s14, 0
	v_add_co_u32 v19, vcc_lo, 0x800, v15
	v_add_co_ci_u32_e64 v20, null, 0, v16, vcc_lo
	s_clause 0x7
	global_load_ushort v12, v[15:16], off
	global_load_ushort v13, v[15:16], off offset:512
	global_load_ushort v14, v[15:16], off offset:1024
	;; [unrolled: 1-line block ×3, first 2 shown]
	global_load_ushort v16, v[19:20], off
	global_load_ushort v17, v[19:20], off offset:512
	global_load_ushort v18, v[19:20], off offset:1024
	;; [unrolled: 1-line block ×3, first 2 shown]
.LBB1738_348:                           ;   in Loop: Header=BB1738_346 Depth=2
	s_andn2_b32 vcc_lo, exec_lo, s14
	s_movk_i32 s14, 0x800
	s_cbranch_vccnz .LBB1738_359
; %bb.349:                              ;   in Loop: Header=BB1738_346 Depth=2
	s_lshl_b64 s[14:15], s[34:35], 1
	s_mov_b32 s16, exec_lo
	s_add_u32 s14, s36, s14
	s_addc_u32 s15, s37, s15
	v_cmpx_gt_u32_e64 s5, v0
	s_cbranch_execnz .LBB1738_375
; %bb.350:                              ;   in Loop: Header=BB1738_346 Depth=2
	s_or_b32 exec_lo, exec_lo, s16
	s_mov_b32 s16, exec_lo
	v_cmpx_gt_u32_e64 s5, v30
	s_cbranch_execnz .LBB1738_376
.LBB1738_351:                           ;   in Loop: Header=BB1738_346 Depth=2
	s_or_b32 exec_lo, exec_lo, s16
	s_mov_b32 s16, exec_lo
	v_cmpx_gt_u32_e64 s5, v31
	s_cbranch_execnz .LBB1738_377
.LBB1738_352:                           ;   in Loop: Header=BB1738_346 Depth=2
	s_or_b32 exec_lo, exec_lo, s16
	s_mov_b32 s16, exec_lo
	v_cmpx_gt_u32_e64 s5, v32
	s_cbranch_execnz .LBB1738_378
.LBB1738_353:                           ;   in Loop: Header=BB1738_346 Depth=2
	s_or_b32 exec_lo, exec_lo, s16
	s_mov_b32 s16, exec_lo
	v_cmpx_gt_u32_e64 s5, v35
	s_cbranch_execnz .LBB1738_379
.LBB1738_354:                           ;   in Loop: Header=BB1738_346 Depth=2
	s_or_b32 exec_lo, exec_lo, s16
	s_mov_b32 s16, exec_lo
	v_cmpx_gt_u32_e64 s5, v36
	s_cbranch_execnz .LBB1738_380
.LBB1738_355:                           ;   in Loop: Header=BB1738_346 Depth=2
	s_or_b32 exec_lo, exec_lo, s16
	s_mov_b32 s16, exec_lo
	v_cmpx_gt_u32_e64 s5, v37
	s_cbranch_execnz .LBB1738_381
.LBB1738_356:                           ;   in Loop: Header=BB1738_346 Depth=2
	s_or_b32 exec_lo, exec_lo, s16
	s_mov_b32 s16, exec_lo
	v_cmpx_gt_u32_e64 s5, v38
	s_cbranch_execz .LBB1738_358
.LBB1738_357:                           ;   in Loop: Header=BB1738_346 Depth=2
	global_load_ushort v3, v87, s[14:15]
.LBB1738_358:                           ;   in Loop: Header=BB1738_346 Depth=2
	s_or_b32 exec_lo, exec_lo, s16
	s_waitcnt vmcnt(0)
	v_mov_b32_e32 v12, v11
	v_mov_b32_e32 v13, v10
	;; [unrolled: 1-line block ×8, first 2 shown]
	s_mov_b32 s14, s5
.LBB1738_359:                           ;   in Loop: Header=BB1738_346 Depth=2
	s_waitcnt vmcnt(0)
	v_mov_b32_e32 v3, v19
	v_mov_b32_e32 v5, v18
	;; [unrolled: 1-line block ×8, first 2 shown]
	s_mov_b32 s15, exec_lo
	v_cmpx_gt_u32_e64 s14, v0
	s_cbranch_execnz .LBB1738_367
; %bb.360:                              ;   in Loop: Header=BB1738_346 Depth=2
	s_or_b32 exec_lo, exec_lo, s15
	s_mov_b32 s15, exec_lo
	v_cmpx_gt_u32_e64 s14, v30
	s_cbranch_execnz .LBB1738_368
.LBB1738_361:                           ;   in Loop: Header=BB1738_346 Depth=2
	s_or_b32 exec_lo, exec_lo, s15
	s_mov_b32 s15, exec_lo
	v_cmpx_gt_u32_e64 s14, v31
	s_cbranch_execnz .LBB1738_369
.LBB1738_362:                           ;   in Loop: Header=BB1738_346 Depth=2
	s_or_b32 exec_lo, exec_lo, s15
	s_mov_b32 s15, exec_lo
	v_cmpx_gt_u32_e64 s14, v32
	s_cbranch_execnz .LBB1738_370
.LBB1738_363:                           ;   in Loop: Header=BB1738_346 Depth=2
	s_or_b32 exec_lo, exec_lo, s15
	s_mov_b32 s15, exec_lo
	v_cmpx_gt_u32_e64 s14, v35
	s_cbranch_execnz .LBB1738_371
.LBB1738_364:                           ;   in Loop: Header=BB1738_346 Depth=2
	s_or_b32 exec_lo, exec_lo, s15
	s_mov_b32 s15, exec_lo
	v_cmpx_gt_u32_e64 s14, v36
	s_cbranch_execnz .LBB1738_372
.LBB1738_365:                           ;   in Loop: Header=BB1738_346 Depth=2
	s_or_b32 exec_lo, exec_lo, s15
	s_mov_b32 s15, exec_lo
	v_cmpx_gt_u32_e64 s14, v37
	s_cbranch_execnz .LBB1738_373
.LBB1738_366:                           ;   in Loop: Header=BB1738_346 Depth=2
	s_or_b32 exec_lo, exec_lo, s15
	v_cmp_gt_u32_e32 vcc_lo, s14, v38
	s_and_saveexec_b32 s14, vcc_lo
	s_cbranch_execz .LBB1738_345
	s_branch .LBB1738_374
.LBB1738_367:                           ;   in Loop: Header=BB1738_346 Depth=2
	v_cmp_gt_i16_e32 vcc_lo, 0, v11
	v_cndmask_b32_e64 v12, 0x7fff, 0, vcc_lo
	v_xor_b32_e32 v12, v12, v11
	v_cmp_ne_u16_e32 vcc_lo, 0x8000, v12
	v_cndmask_b32_e32 v12, 0x7fff, v12, vcc_lo
	v_lshrrev_b32_sdwa v12, s49, v12 dst_sel:DWORD dst_unused:UNUSED_PAD src0_sel:DWORD src1_sel:WORD_0
	v_and_b32_e32 v12, s43, v12
	v_lshl_or_b32 v12, v12, 4, v40
	ds_add_u32 v12, v62
	s_or_b32 exec_lo, exec_lo, s15
	s_mov_b32 s15, exec_lo
	v_cmpx_gt_u32_e64 s14, v30
	s_cbranch_execz .LBB1738_361
.LBB1738_368:                           ;   in Loop: Header=BB1738_346 Depth=2
	v_cmp_gt_i16_e32 vcc_lo, 0, v10
	v_cndmask_b32_e64 v12, 0x7fff, 0, vcc_lo
	v_xor_b32_e32 v12, v12, v10
	v_cmp_ne_u16_e32 vcc_lo, 0x8000, v12
	v_cndmask_b32_e32 v12, 0x7fff, v12, vcc_lo
	v_lshrrev_b32_sdwa v12, s49, v12 dst_sel:DWORD dst_unused:UNUSED_PAD src0_sel:DWORD src1_sel:WORD_0
	v_and_b32_e32 v12, s43, v12
	v_lshl_or_b32 v12, v12, 4, v40
	ds_add_u32 v12, v62
	s_or_b32 exec_lo, exec_lo, s15
	s_mov_b32 s15, exec_lo
	v_cmpx_gt_u32_e64 s14, v31
	s_cbranch_execz .LBB1738_362
.LBB1738_369:                           ;   in Loop: Header=BB1738_346 Depth=2
	v_cmp_gt_i16_e32 vcc_lo, 0, v9
	v_cndmask_b32_e64 v12, 0x7fff, 0, vcc_lo
	v_xor_b32_e32 v12, v12, v9
	v_cmp_ne_u16_e32 vcc_lo, 0x8000, v12
	v_cndmask_b32_e32 v12, 0x7fff, v12, vcc_lo
	v_lshrrev_b32_sdwa v12, s49, v12 dst_sel:DWORD dst_unused:UNUSED_PAD src0_sel:DWORD src1_sel:WORD_0
	v_and_b32_e32 v12, s43, v12
	v_lshl_or_b32 v12, v12, 4, v40
	ds_add_u32 v12, v62
	s_or_b32 exec_lo, exec_lo, s15
	s_mov_b32 s15, exec_lo
	v_cmpx_gt_u32_e64 s14, v32
	s_cbranch_execz .LBB1738_363
.LBB1738_370:                           ;   in Loop: Header=BB1738_346 Depth=2
	v_cmp_gt_i16_e32 vcc_lo, 0, v8
	v_cndmask_b32_e64 v12, 0x7fff, 0, vcc_lo
	v_xor_b32_e32 v12, v12, v8
	v_cmp_ne_u16_e32 vcc_lo, 0x8000, v12
	v_cndmask_b32_e32 v12, 0x7fff, v12, vcc_lo
	v_lshrrev_b32_sdwa v12, s49, v12 dst_sel:DWORD dst_unused:UNUSED_PAD src0_sel:DWORD src1_sel:WORD_0
	v_and_b32_e32 v12, s43, v12
	v_lshl_or_b32 v12, v12, 4, v40
	ds_add_u32 v12, v62
	s_or_b32 exec_lo, exec_lo, s15
	s_mov_b32 s15, exec_lo
	v_cmpx_gt_u32_e64 s14, v35
	s_cbranch_execz .LBB1738_364
.LBB1738_371:                           ;   in Loop: Header=BB1738_346 Depth=2
	v_cmp_gt_i16_e32 vcc_lo, 0, v7
	v_cndmask_b32_e64 v12, 0x7fff, 0, vcc_lo
	v_xor_b32_e32 v12, v12, v7
	v_cmp_ne_u16_e32 vcc_lo, 0x8000, v12
	v_cndmask_b32_e32 v12, 0x7fff, v12, vcc_lo
	v_lshrrev_b32_sdwa v12, s49, v12 dst_sel:DWORD dst_unused:UNUSED_PAD src0_sel:DWORD src1_sel:WORD_0
	v_and_b32_e32 v12, s43, v12
	v_lshl_or_b32 v12, v12, 4, v40
	ds_add_u32 v12, v62
	s_or_b32 exec_lo, exec_lo, s15
	s_mov_b32 s15, exec_lo
	v_cmpx_gt_u32_e64 s14, v36
	s_cbranch_execz .LBB1738_365
.LBB1738_372:                           ;   in Loop: Header=BB1738_346 Depth=2
	v_cmp_gt_i16_e32 vcc_lo, 0, v6
	v_cndmask_b32_e64 v12, 0x7fff, 0, vcc_lo
	v_xor_b32_e32 v12, v12, v6
	v_cmp_ne_u16_e32 vcc_lo, 0x8000, v12
	v_cndmask_b32_e32 v12, 0x7fff, v12, vcc_lo
	v_lshrrev_b32_sdwa v12, s49, v12 dst_sel:DWORD dst_unused:UNUSED_PAD src0_sel:DWORD src1_sel:WORD_0
	v_and_b32_e32 v12, s43, v12
	v_lshl_or_b32 v12, v12, 4, v40
	ds_add_u32 v12, v62
	s_or_b32 exec_lo, exec_lo, s15
	s_mov_b32 s15, exec_lo
	v_cmpx_gt_u32_e64 s14, v37
	s_cbranch_execz .LBB1738_366
.LBB1738_373:                           ;   in Loop: Header=BB1738_346 Depth=2
	v_cmp_gt_i16_e32 vcc_lo, 0, v5
	v_cndmask_b32_e64 v12, 0x7fff, 0, vcc_lo
	v_xor_b32_e32 v12, v12, v5
	v_cmp_ne_u16_e32 vcc_lo, 0x8000, v12
	v_cndmask_b32_e32 v12, 0x7fff, v12, vcc_lo
	v_lshrrev_b32_sdwa v12, s49, v12 dst_sel:DWORD dst_unused:UNUSED_PAD src0_sel:DWORD src1_sel:WORD_0
	v_and_b32_e32 v12, s43, v12
	v_lshl_or_b32 v12, v12, 4, v40
	ds_add_u32 v12, v62
	s_or_b32 exec_lo, exec_lo, s15
	v_cmp_gt_u32_e32 vcc_lo, s14, v38
	s_and_saveexec_b32 s14, vcc_lo
	s_cbranch_execz .LBB1738_345
.LBB1738_374:                           ;   in Loop: Header=BB1738_346 Depth=2
	v_cmp_gt_i16_e32 vcc_lo, 0, v3
	v_cndmask_b32_e64 v12, 0x7fff, 0, vcc_lo
	v_xor_b32_e32 v12, v12, v3
	v_cmp_ne_u16_e32 vcc_lo, 0x8000, v12
	v_cndmask_b32_e32 v12, 0x7fff, v12, vcc_lo
	v_lshrrev_b32_sdwa v12, s49, v12 dst_sel:DWORD dst_unused:UNUSED_PAD src0_sel:DWORD src1_sel:WORD_0
	v_and_b32_e32 v12, s43, v12
	v_lshl_or_b32 v12, v12, 4, v40
	ds_add_u32 v12, v62
	s_branch .LBB1738_345
.LBB1738_375:                           ;   in Loop: Header=BB1738_346 Depth=2
	global_load_ushort v11, v79, s[14:15]
	s_or_b32 exec_lo, exec_lo, s16
	s_mov_b32 s16, exec_lo
	v_cmpx_gt_u32_e64 s5, v30
	s_cbranch_execz .LBB1738_351
.LBB1738_376:                           ;   in Loop: Header=BB1738_346 Depth=2
	global_load_ushort v10, v79, s[14:15] offset:512
	s_or_b32 exec_lo, exec_lo, s16
	s_mov_b32 s16, exec_lo
	v_cmpx_gt_u32_e64 s5, v31
	s_cbranch_execz .LBB1738_352
.LBB1738_377:                           ;   in Loop: Header=BB1738_346 Depth=2
	global_load_ushort v9, v79, s[14:15] offset:1024
	s_or_b32 exec_lo, exec_lo, s16
	s_mov_b32 s16, exec_lo
	v_cmpx_gt_u32_e64 s5, v32
	s_cbranch_execz .LBB1738_353
.LBB1738_378:                           ;   in Loop: Header=BB1738_346 Depth=2
	global_load_ushort v8, v79, s[14:15] offset:1536
	s_or_b32 exec_lo, exec_lo, s16
	s_mov_b32 s16, exec_lo
	v_cmpx_gt_u32_e64 s5, v35
	s_cbranch_execz .LBB1738_354
.LBB1738_379:                           ;   in Loop: Header=BB1738_346 Depth=2
	global_load_ushort v7, v80, s[14:15]
	s_or_b32 exec_lo, exec_lo, s16
	s_mov_b32 s16, exec_lo
	v_cmpx_gt_u32_e64 s5, v36
	s_cbranch_execz .LBB1738_355
.LBB1738_380:                           ;   in Loop: Header=BB1738_346 Depth=2
	global_load_ushort v6, v81, s[14:15]
	s_or_b32 exec_lo, exec_lo, s16
	s_mov_b32 s16, exec_lo
	v_cmpx_gt_u32_e64 s5, v37
	s_cbranch_execz .LBB1738_356
.LBB1738_381:                           ;   in Loop: Header=BB1738_346 Depth=2
	global_load_ushort v5, v82, s[14:15]
	s_or_b32 exec_lo, exec_lo, s16
	s_mov_b32 s16, exec_lo
	v_cmpx_gt_u32_e64 s5, v38
	s_cbranch_execnz .LBB1738_357
	s_branch .LBB1738_358
.LBB1738_382:                           ;   in Loop: Header=BB1738_12 Depth=1
	v_mov_b32_e32 v3, 0
	s_waitcnt lgkmcnt(0)
	s_barrier
	buffer_gl0_inv
	s_and_saveexec_b32 s5, s7
	s_cbranch_execz .LBB1738_384
; %bb.383:                              ;   in Loop: Header=BB1738_12 Depth=1
	ds_read2_b64 v[5:8], v41 offset1:1
	s_waitcnt lgkmcnt(0)
	v_add_nc_u32_e32 v3, v6, v5
	v_add3_u32 v3, v3, v7, v8
.LBB1738_384:                           ;   in Loop: Header=BB1738_12 Depth=1
	s_or_b32 exec_lo, exec_lo, s5
	v_mov_b32_dpp v5, v3 row_shr:1 row_mask:0xf bank_mask:0xf
	v_cmp_eq_u32_e64 s5, 0, v63
	v_cmp_lt_u32_e64 s13, 1, v63
	v_cmp_lt_u32_e64 s14, 3, v63
	;; [unrolled: 1-line block ×3, first 2 shown]
	v_cmp_eq_u32_e64 s16, 0, v65
	v_cndmask_b32_e64 v5, v5, 0, s5
	v_add_nc_u32_e32 v3, v5, v3
	v_mov_b32_dpp v5, v3 row_shr:2 row_mask:0xf bank_mask:0xf
	v_cndmask_b32_e64 v5, 0, v5, s13
	v_add_nc_u32_e32 v3, v3, v5
	v_mov_b32_dpp v5, v3 row_shr:4 row_mask:0xf bank_mask:0xf
	;; [unrolled: 3-line block ×3, first 2 shown]
	v_cndmask_b32_e64 v5, 0, v5, s15
	v_add_nc_u32_e32 v3, v3, v5
	ds_swizzle_b32 v5, v3 offset:swizzle(BROADCAST,32,15)
	s_waitcnt lgkmcnt(0)
	v_and_b32_e32 v5, v64, v5
	v_add_nc_u32_e32 v3, v3, v5
	s_and_saveexec_b32 s17, s8
; %bb.385:                              ;   in Loop: Header=BB1738_12 Depth=1
	ds_write_b32 v42, v3
; %bb.386:                              ;   in Loop: Header=BB1738_12 Depth=1
	s_or_b32 exec_lo, exec_lo, s17
	s_waitcnt lgkmcnt(0)
	s_barrier
	buffer_gl0_inv
	s_and_saveexec_b32 s17, s9
	s_cbranch_execz .LBB1738_388
; %bb.387:                              ;   in Loop: Header=BB1738_12 Depth=1
	ds_read_b32 v5, v43
	v_cmp_ne_u32_e32 vcc_lo, 0, v67
	s_waitcnt lgkmcnt(0)
	v_mov_b32_dpp v6, v5 row_shr:1 row_mask:0xf bank_mask:0xf
	v_cndmask_b32_e32 v6, 0, v6, vcc_lo
	v_cmp_lt_u32_e32 vcc_lo, 1, v67
	v_add_nc_u32_e32 v5, v6, v5
	v_mov_b32_dpp v6, v5 row_shr:2 row_mask:0xf bank_mask:0xf
	v_cndmask_b32_e32 v6, 0, v6, vcc_lo
	v_cmp_lt_u32_e32 vcc_lo, 3, v67
	v_add_nc_u32_e32 v5, v5, v6
	v_mov_b32_dpp v6, v5 row_shr:4 row_mask:0xf bank_mask:0xf
	v_cndmask_b32_e32 v6, 0, v6, vcc_lo
	v_add_nc_u32_e32 v5, v5, v6
	ds_write_b32 v43, v5
.LBB1738_388:                           ;   in Loop: Header=BB1738_12 Depth=1
	s_or_b32 exec_lo, exec_lo, s17
	v_mov_b32_e32 v5, 0
	s_waitcnt lgkmcnt(0)
	s_barrier
	buffer_gl0_inv
	s_and_saveexec_b32 s17, s10
; %bb.389:                              ;   in Loop: Header=BB1738_12 Depth=1
	ds_read_b32 v5, v45
; %bb.390:                              ;   in Loop: Header=BB1738_12 Depth=1
	s_or_b32 exec_lo, exec_lo, s17
	v_cmp_gt_i32_e32 vcc_lo, 0, v68
	s_waitcnt lgkmcnt(0)
	v_add_nc_u32_e32 v3, v5, v3
	s_barrier
	buffer_gl0_inv
	v_cndmask_b32_e32 v6, v68, v59, vcc_lo
	v_lshlrev_b32_e32 v91, 2, v6
	ds_bpermute_b32 v3, v91, v3
	s_and_saveexec_b32 s17, s7
	s_cbranch_execz .LBB1738_392
; %bb.391:                              ;   in Loop: Header=BB1738_12 Depth=1
	s_waitcnt lgkmcnt(0)
	v_cndmask_b32_e64 v3, v3, v5, s12
	v_add_nc_u32_e32 v3, s29, v3
	ds_write_b32 v29, v3
.LBB1738_392:                           ;   in Loop: Header=BB1738_12 Depth=1
	s_or_b32 exec_lo, exec_lo, s17
	s_load_dwordx2 s[18:19], s[30:31], 0x0
	v_add_co_u32 v92, vcc_lo, v57, v69
	v_add_co_ci_u32_e64 v93, null, 0, v58, vcc_lo
	v_add_co_u32 v94, vcc_lo, v60, v77
	v_add_co_ci_u32_e64 v95, null, 0, v61, vcc_lo
	s_mov_b32 s48, s52
	s_mov_b32 s34, s29
                                        ; implicit-def: $vgpr7_vgpr8
                                        ; implicit-def: $vgpr9_vgpr10
                                        ; implicit-def: $vgpr11_vgpr12
                                        ; implicit-def: $vgpr13_vgpr14
                                        ; implicit-def: $vgpr15_vgpr16
                                        ; implicit-def: $vgpr17_vgpr18
                                        ; implicit-def: $vgpr19_vgpr20
                                        ; implicit-def: $vgpr97
                                        ; implicit-def: $vgpr98
                                        ; implicit-def: $vgpr99
                                        ; implicit-def: $vgpr100
                                        ; implicit-def: $vgpr101
                                        ; implicit-def: $vgpr102
                                        ; implicit-def: $vgpr103
                                        ; implicit-def: $vgpr104
	s_waitcnt lgkmcnt(0)
	s_cmp_lt_u32 s27, s19
	s_cselect_b32 s17, 14, 20
	s_add_u32 s20, s30, s17
	s_addc_u32 s21, s31, 0
	s_cmp_lt_u32 s6, s18
	global_load_ushort v3, v4, s[20:21]
	s_cselect_b32 s17, 12, 18
	s_add_u32 s18, s30, s17
	s_addc_u32 s19, s31, 0
	v_cmp_eq_u32_e64 s17, 0, v67
	global_load_ushort v5, v4, s[18:19]
	v_cmp_lt_u32_e64 s18, 1, v67
	v_cmp_lt_u32_e64 s19, 3, v67
	s_waitcnt vmcnt(1)
	v_mad_u32_u24 v3, v2, v3, v1
	s_waitcnt vmcnt(0)
	v_mad_u64_u32 v[5:6], null, v3, v5, v[0:1]
	v_lshrrev_b32_e32 v3, 3, v5
                                        ; implicit-def: $vgpr5_vgpr6
	v_and_b32_e32 v96, 0x1ffffffc, v3
	s_branch .LBB1738_394
.LBB1738_393:                           ;   in Loop: Header=BB1738_394 Depth=2
	s_or_b32 exec_lo, exec_lo, s20
	s_addk_i32 s48, 0xf800
	s_cmp_lt_u32 s53, s33
	s_mov_b32 s34, s53
	s_cbranch_scc0 .LBB1738_506
.LBB1738_394:                           ;   Parent Loop BB1738_12 Depth=1
                                        ; =>  This Inner Loop Header: Depth=2
	s_add_i32 s53, s34, 0x800
	s_cmp_gt_u32 s53, s33
	s_cbranch_scc1 .LBB1738_396
; %bb.395:                              ;   in Loop: Header=BB1738_394 Depth=2
	s_lshl_b64 s[20:21], s[34:35], 1
	v_add_co_u32 v21, vcc_lo, v94, s20
	v_add_co_ci_u32_e64 v22, null, s21, v95, vcc_lo
	s_mov_b32 s20, -1
	s_clause 0x6
	global_load_ushort v3, v[21:22], off
	global_load_ushort v28, v[21:22], off offset:64
	global_load_ushort v27, v[21:22], off offset:128
	;; [unrolled: 1-line block ×6, first 2 shown]
	s_movk_i32 s21, 0x800
	s_cbranch_execz .LBB1738_397
	s_branch .LBB1738_412
.LBB1738_396:                           ;   in Loop: Header=BB1738_394 Depth=2
	s_mov_b32 s20, 0
                                        ; implicit-def: $vgpr3
                                        ; implicit-def: $vgpr28
                                        ; implicit-def: $vgpr27
                                        ; implicit-def: $vgpr26
                                        ; implicit-def: $vgpr25
                                        ; implicit-def: $vgpr24
                                        ; implicit-def: $vgpr23
	s_movk_i32 s21, 0x800
.LBB1738_397:                           ;   in Loop: Header=BB1738_394 Depth=2
	s_lshl_b64 s[20:21], s[34:35], 1
	s_waitcnt vmcnt(5)
	v_mov_b32_e32 v28, -1
	v_add_co_u32 v21, vcc_lo, v94, s20
	v_add_co_ci_u32_e64 v22, null, s21, v95, vcc_lo
	v_mov_b32_e32 v3, -1
	s_mov_b32 s20, exec_lo
	v_cmpx_gt_u32_e64 s48, v66
	s_cbranch_execz .LBB1738_399
; %bb.398:                              ;   in Loop: Header=BB1738_394 Depth=2
	global_load_ushort v3, v[21:22], off
.LBB1738_399:                           ;   in Loop: Header=BB1738_394 Depth=2
	s_or_b32 exec_lo, exec_lo, s20
	s_mov_b32 s20, exec_lo
	v_cmpx_gt_u32_e64 s48, v70
	s_cbranch_execz .LBB1738_401
; %bb.400:                              ;   in Loop: Header=BB1738_394 Depth=2
	global_load_ushort v28, v[21:22], off offset:64
.LBB1738_401:                           ;   in Loop: Header=BB1738_394 Depth=2
	s_or_b32 exec_lo, exec_lo, s20
	s_waitcnt vmcnt(3)
	v_mov_b32_e32 v26, -1
	v_mov_b32_e32 v27, -1
	s_mov_b32 s20, exec_lo
	v_cmpx_gt_u32_e64 s48, v71
	s_cbranch_execz .LBB1738_403
; %bb.402:                              ;   in Loop: Header=BB1738_394 Depth=2
	global_load_ushort v27, v[21:22], off offset:128
.LBB1738_403:                           ;   in Loop: Header=BB1738_394 Depth=2
	s_or_b32 exec_lo, exec_lo, s20
	s_mov_b32 s20, exec_lo
	v_cmpx_gt_u32_e64 s48, v72
	s_cbranch_execz .LBB1738_405
; %bb.404:                              ;   in Loop: Header=BB1738_394 Depth=2
	global_load_ushort v26, v[21:22], off offset:192
.LBB1738_405:                           ;   in Loop: Header=BB1738_394 Depth=2
	s_or_b32 exec_lo, exec_lo, s20
	s_waitcnt vmcnt(1)
	v_mov_b32_e32 v24, -1
	v_mov_b32_e32 v25, -1
	s_mov_b32 s20, exec_lo
	v_cmpx_gt_u32_e64 s48, v73
	s_cbranch_execz .LBB1738_407
; %bb.406:                              ;   in Loop: Header=BB1738_394 Depth=2
	global_load_ushort v25, v[21:22], off offset:256
.LBB1738_407:                           ;   in Loop: Header=BB1738_394 Depth=2
	s_or_b32 exec_lo, exec_lo, s20
	s_mov_b32 s20, exec_lo
	v_cmpx_gt_u32_e64 s48, v74
	s_cbranch_execz .LBB1738_409
; %bb.408:                              ;   in Loop: Header=BB1738_394 Depth=2
	global_load_ushort v24, v[21:22], off offset:320
.LBB1738_409:                           ;   in Loop: Header=BB1738_394 Depth=2
	s_or_b32 exec_lo, exec_lo, s20
	s_waitcnt vmcnt(0)
	v_mov_b32_e32 v23, -1
	s_mov_b32 s20, exec_lo
	v_cmpx_gt_u32_e64 s48, v75
	s_cbranch_execz .LBB1738_411
; %bb.410:                              ;   in Loop: Header=BB1738_394 Depth=2
	global_load_ushort v23, v[21:22], off offset:384
.LBB1738_411:                           ;   in Loop: Header=BB1738_394 Depth=2
	s_or_b32 exec_lo, exec_lo, s20
	v_cmp_gt_u32_e64 s20, s48, v76
	s_sub_i32 s21, s33, s34
.LBB1738_412:                           ;   in Loop: Header=BB1738_394 Depth=2
	v_mov_b32_e32 v21, -1
	v_mov_b32_e32 v105, s48
	s_and_saveexec_b32 s22, s20
	s_cbranch_execz .LBB1738_414
; %bb.413:                              ;   in Loop: Header=BB1738_394 Depth=2
	s_lshl_b64 s[24:25], s[34:35], 1
	v_mov_b32_e32 v105, s21
	v_add_co_u32 v21, vcc_lo, v94, s24
	v_add_co_ci_u32_e64 v22, null, s25, v95, vcc_lo
	global_load_ushort v21, v[21:22], off offset:448
.LBB1738_414:                           ;   in Loop: Header=BB1738_394 Depth=2
	s_or_b32 exec_lo, exec_lo, s22
	s_waitcnt vmcnt(6)
	v_cmp_gt_i16_e32 vcc_lo, 0, v3
	ds_write2_b32 v78, v4, v4 offset1:1
	ds_write2_b32 v88, v4, v4 offset1:1
	;; [unrolled: 1-line block ×4, first 2 shown]
	ds_write_b32 v44, v4 offset:1088
	s_waitcnt vmcnt(0) lgkmcnt(0)
	s_barrier
	v_cndmask_b32_e64 v22, 0x7fff, 0, vcc_lo
	buffer_gl0_inv
	; wave barrier
	v_xor_b32_e32 v3, v22, v3
	v_cmp_ne_u16_e32 vcc_lo, 0x8000, v3
	v_cndmask_b32_e32 v22, 0x7fff, v3, vcc_lo
	v_lshrrev_b32_sdwa v22, s49, v22 dst_sel:DWORD dst_unused:UNUSED_PAD src0_sel:DWORD src1_sel:WORD_0
	v_and_b32_e32 v107, s43, v22
	v_and_b32_e32 v22, 1, v107
	v_lshlrev_b32_e32 v106, 30, v107
	v_lshlrev_b32_e32 v108, 29, v107
	;; [unrolled: 1-line block ×4, first 2 shown]
	v_add_co_u32 v22, s20, v22, -1
	v_cndmask_b32_e64 v110, 0, 1, s20
	v_not_b32_e32 v114, v106
	v_cmp_gt_i32_e64 s20, 0, v106
	v_not_b32_e32 v106, v108
	v_lshlrev_b32_e32 v112, 26, v107
	v_cmp_ne_u32_e32 vcc_lo, 0, v110
	v_ashrrev_i32_e32 v114, 31, v114
	v_lshlrev_b32_e32 v113, 25, v107
	v_ashrrev_i32_e32 v106, 31, v106
	v_lshlrev_b32_e32 v110, 24, v107
	v_xor_b32_e32 v22, vcc_lo, v22
	v_cmp_gt_i32_e32 vcc_lo, 0, v108
	v_not_b32_e32 v108, v109
	v_xor_b32_e32 v114, s20, v114
	v_cmp_gt_i32_e64 s20, 0, v109
	v_and_b32_e32 v22, exec_lo, v22
	v_not_b32_e32 v109, v111
	v_ashrrev_i32_e32 v108, 31, v108
	v_xor_b32_e32 v106, vcc_lo, v106
	v_cmp_gt_i32_e32 vcc_lo, 0, v111
	v_and_b32_e32 v22, v22, v114
	v_not_b32_e32 v111, v112
	v_ashrrev_i32_e32 v109, 31, v109
	v_xor_b32_e32 v108, s20, v108
	v_cmp_gt_i32_e64 s20, 0, v112
	v_and_b32_e32 v22, v22, v106
	v_not_b32_e32 v106, v113
	v_ashrrev_i32_e32 v111, 31, v111
	v_xor_b32_e32 v109, vcc_lo, v109
	v_cmp_gt_i32_e32 vcc_lo, 0, v113
	v_and_b32_e32 v22, v22, v108
	v_not_b32_e32 v108, v110
	v_ashrrev_i32_e32 v106, 31, v106
	v_xor_b32_e32 v111, s20, v111
	v_cmp_gt_i32_e64 s20, 0, v110
	v_and_b32_e32 v22, v22, v109
	v_ashrrev_i32_e32 v108, 31, v108
	v_xor_b32_e32 v106, vcc_lo, v106
	v_mul_u32_u24_e32 v107, 36, v107
	v_and_b32_e32 v22, v22, v111
	v_xor_b32_e32 v108, s20, v108
	v_and_b32_e32 v22, v22, v106
	v_and_b32_e32 v22, v22, v108
	v_add_nc_u32_e32 v108, v96, v107
	v_mbcnt_lo_u32_b32 v106, v22, 0
	v_cmp_ne_u32_e64 s20, 0, v22
	v_cmp_eq_u32_e32 vcc_lo, 0, v106
	s_and_b32 s21, s20, vcc_lo
	s_and_saveexec_b32 s20, s21
; %bb.415:                              ;   in Loop: Header=BB1738_394 Depth=2
	v_bcnt_u32_b32 v22, v22, 0
	ds_write_b32 v108, v22 offset:1056
; %bb.416:                              ;   in Loop: Header=BB1738_394 Depth=2
	s_or_b32 exec_lo, exec_lo, s20
	v_cmp_gt_i16_e32 vcc_lo, 0, v28
	; wave barrier
	v_cndmask_b32_e64 v22, 0x7fff, 0, vcc_lo
	v_xor_b32_e32 v107, v22, v28
	v_cmp_ne_u16_e32 vcc_lo, 0x8000, v107
	v_cndmask_b32_e32 v22, 0x7fff, v107, vcc_lo
	v_lshrrev_b32_sdwa v22, s49, v22 dst_sel:DWORD dst_unused:UNUSED_PAD src0_sel:DWORD src1_sel:WORD_0
	v_and_b32_e32 v28, s43, v22
	v_and_b32_e32 v22, 1, v28
	v_lshlrev_b32_e32 v109, 30, v28
	v_lshlrev_b32_e32 v110, 29, v28
	;; [unrolled: 1-line block ×4, first 2 shown]
	v_add_co_u32 v22, s20, v22, -1
	v_cndmask_b32_e64 v112, 0, 1, s20
	v_not_b32_e32 v116, v109
	v_cmp_gt_i32_e64 s20, 0, v109
	v_not_b32_e32 v109, v110
	v_lshlrev_b32_e32 v114, 26, v28
	v_cmp_ne_u32_e32 vcc_lo, 0, v112
	v_ashrrev_i32_e32 v116, 31, v116
	v_lshlrev_b32_e32 v115, 25, v28
	v_ashrrev_i32_e32 v109, 31, v109
	v_lshlrev_b32_e32 v112, 24, v28
	v_xor_b32_e32 v22, vcc_lo, v22
	v_cmp_gt_i32_e32 vcc_lo, 0, v110
	v_not_b32_e32 v110, v111
	v_xor_b32_e32 v116, s20, v116
	v_cmp_gt_i32_e64 s20, 0, v111
	v_and_b32_e32 v22, exec_lo, v22
	v_not_b32_e32 v111, v113
	v_ashrrev_i32_e32 v110, 31, v110
	v_xor_b32_e32 v109, vcc_lo, v109
	v_cmp_gt_i32_e32 vcc_lo, 0, v113
	v_and_b32_e32 v22, v22, v116
	v_not_b32_e32 v113, v114
	v_ashrrev_i32_e32 v111, 31, v111
	v_xor_b32_e32 v110, s20, v110
	v_cmp_gt_i32_e64 s20, 0, v114
	v_and_b32_e32 v22, v22, v109
	v_not_b32_e32 v109, v115
	v_ashrrev_i32_e32 v113, 31, v113
	v_xor_b32_e32 v111, vcc_lo, v111
	v_cmp_gt_i32_e32 vcc_lo, 0, v115
	v_and_b32_e32 v22, v22, v110
	v_not_b32_e32 v110, v112
	v_ashrrev_i32_e32 v109, 31, v109
	v_xor_b32_e32 v113, s20, v113
	v_cmp_gt_i32_e64 s20, 0, v112
	v_and_b32_e32 v22, v22, v111
	v_ashrrev_i32_e32 v110, 31, v110
	v_xor_b32_e32 v109, vcc_lo, v109
	v_mad_u32_u24 v111, v28, 36, v96
	v_mul_u32_u24_e32 v28, 36, v28
	v_and_b32_e32 v22, v22, v113
	v_xor_b32_e32 v110, s20, v110
	v_add_nc_u32_e32 v112, v96, v28
	v_and_b32_e32 v22, v22, v109
	ds_read_b32 v109, v111 offset:1056
	; wave barrier
	v_and_b32_e32 v22, v22, v110
	v_mbcnt_lo_u32_b32 v110, v22, 0
	v_cmp_ne_u32_e64 s20, 0, v22
	v_cmp_eq_u32_e32 vcc_lo, 0, v110
	s_and_b32 s21, s20, vcc_lo
	s_and_saveexec_b32 s20, s21
	s_cbranch_execz .LBB1738_418
; %bb.417:                              ;   in Loop: Header=BB1738_394 Depth=2
	s_waitcnt lgkmcnt(0)
	v_bcnt_u32_b32 v22, v22, v109
	ds_write_b32 v112, v22 offset:1056
.LBB1738_418:                           ;   in Loop: Header=BB1738_394 Depth=2
	s_or_b32 exec_lo, exec_lo, s20
	v_cmp_gt_i16_e32 vcc_lo, 0, v27
	; wave barrier
	v_cndmask_b32_e64 v22, 0x7fff, 0, vcc_lo
	v_xor_b32_e32 v111, v22, v27
	v_cmp_ne_u16_e32 vcc_lo, 0x8000, v111
	v_cndmask_b32_e32 v22, 0x7fff, v111, vcc_lo
	v_lshrrev_b32_sdwa v22, s49, v22 dst_sel:DWORD dst_unused:UNUSED_PAD src0_sel:DWORD src1_sel:WORD_0
	v_and_b32_e32 v27, s43, v22
	v_and_b32_e32 v22, 1, v27
	v_lshlrev_b32_e32 v28, 30, v27
	v_lshlrev_b32_e32 v113, 29, v27
	;; [unrolled: 1-line block ×4, first 2 shown]
	v_add_co_u32 v22, s20, v22, -1
	v_cndmask_b32_e64 v115, 0, 1, s20
	v_not_b32_e32 v119, v28
	v_cmp_gt_i32_e64 s20, 0, v28
	v_not_b32_e32 v28, v113
	v_lshlrev_b32_e32 v117, 26, v27
	v_cmp_ne_u32_e32 vcc_lo, 0, v115
	v_ashrrev_i32_e32 v119, 31, v119
	v_lshlrev_b32_e32 v118, 25, v27
	v_ashrrev_i32_e32 v28, 31, v28
	v_lshlrev_b32_e32 v115, 24, v27
	v_xor_b32_e32 v22, vcc_lo, v22
	v_cmp_gt_i32_e32 vcc_lo, 0, v113
	v_not_b32_e32 v113, v114
	v_xor_b32_e32 v119, s20, v119
	v_cmp_gt_i32_e64 s20, 0, v114
	v_and_b32_e32 v22, exec_lo, v22
	v_not_b32_e32 v114, v116
	v_ashrrev_i32_e32 v113, 31, v113
	v_xor_b32_e32 v28, vcc_lo, v28
	v_cmp_gt_i32_e32 vcc_lo, 0, v116
	v_and_b32_e32 v22, v22, v119
	v_not_b32_e32 v116, v117
	v_ashrrev_i32_e32 v114, 31, v114
	v_xor_b32_e32 v113, s20, v113
	v_cmp_gt_i32_e64 s20, 0, v117
	v_and_b32_e32 v22, v22, v28
	v_not_b32_e32 v28, v118
	v_ashrrev_i32_e32 v116, 31, v116
	v_xor_b32_e32 v114, vcc_lo, v114
	v_cmp_gt_i32_e32 vcc_lo, 0, v118
	v_and_b32_e32 v22, v22, v113
	v_not_b32_e32 v113, v115
	v_ashrrev_i32_e32 v28, 31, v28
	v_xor_b32_e32 v116, s20, v116
	v_cmp_gt_i32_e64 s20, 0, v115
	v_and_b32_e32 v22, v22, v114
	v_ashrrev_i32_e32 v113, 31, v113
	v_xor_b32_e32 v28, vcc_lo, v28
	v_mad_u32_u24 v114, v27, 36, v96
	v_mul_u32_u24_e32 v27, 36, v27
	v_and_b32_e32 v22, v22, v116
	v_xor_b32_e32 v115, s20, v113
	ds_read_b32 v113, v114 offset:1056
	v_add_nc_u32_e32 v116, v96, v27
	v_and_b32_e32 v22, v22, v28
	; wave barrier
	v_and_b32_e32 v22, v22, v115
	v_mbcnt_lo_u32_b32 v115, v22, 0
	v_cmp_ne_u32_e64 s20, 0, v22
	v_cmp_eq_u32_e32 vcc_lo, 0, v115
	s_and_b32 s21, s20, vcc_lo
	s_and_saveexec_b32 s20, s21
	s_cbranch_execz .LBB1738_420
; %bb.419:                              ;   in Loop: Header=BB1738_394 Depth=2
	s_waitcnt lgkmcnt(0)
	v_bcnt_u32_b32 v22, v22, v113
	ds_write_b32 v116, v22 offset:1056
.LBB1738_420:                           ;   in Loop: Header=BB1738_394 Depth=2
	s_or_b32 exec_lo, exec_lo, s20
	v_cmp_gt_i16_e32 vcc_lo, 0, v26
	; wave barrier
	v_cndmask_b32_e64 v22, 0x7fff, 0, vcc_lo
	v_xor_b32_e32 v114, v22, v26
	v_cmp_ne_u16_e32 vcc_lo, 0x8000, v114
	v_cndmask_b32_e32 v22, 0x7fff, v114, vcc_lo
	v_lshrrev_b32_sdwa v22, s49, v22 dst_sel:DWORD dst_unused:UNUSED_PAD src0_sel:DWORD src1_sel:WORD_0
	v_and_b32_e32 v26, s43, v22
	v_and_b32_e32 v22, 1, v26
	v_lshlrev_b32_e32 v27, 30, v26
	v_lshlrev_b32_e32 v28, 29, v26
	;; [unrolled: 1-line block ×4, first 2 shown]
	v_add_co_u32 v22, s20, v22, -1
	v_cndmask_b32_e64 v118, 0, 1, s20
	v_not_b32_e32 v122, v27
	v_cmp_gt_i32_e64 s20, 0, v27
	v_not_b32_e32 v27, v28
	v_lshlrev_b32_e32 v120, 26, v26
	v_cmp_ne_u32_e32 vcc_lo, 0, v118
	v_ashrrev_i32_e32 v122, 31, v122
	v_lshlrev_b32_e32 v121, 25, v26
	v_ashrrev_i32_e32 v27, 31, v27
	v_lshlrev_b32_e32 v118, 24, v26
	v_xor_b32_e32 v22, vcc_lo, v22
	v_cmp_gt_i32_e32 vcc_lo, 0, v28
	v_not_b32_e32 v28, v117
	v_xor_b32_e32 v122, s20, v122
	v_cmp_gt_i32_e64 s20, 0, v117
	v_and_b32_e32 v22, exec_lo, v22
	v_not_b32_e32 v117, v119
	v_ashrrev_i32_e32 v28, 31, v28
	v_xor_b32_e32 v27, vcc_lo, v27
	v_cmp_gt_i32_e32 vcc_lo, 0, v119
	v_and_b32_e32 v22, v22, v122
	v_not_b32_e32 v119, v120
	v_ashrrev_i32_e32 v117, 31, v117
	v_xor_b32_e32 v28, s20, v28
	v_cmp_gt_i32_e64 s20, 0, v120
	v_and_b32_e32 v22, v22, v27
	v_not_b32_e32 v27, v121
	v_ashrrev_i32_e32 v119, 31, v119
	v_xor_b32_e32 v117, vcc_lo, v117
	v_cmp_gt_i32_e32 vcc_lo, 0, v121
	v_and_b32_e32 v22, v22, v28
	v_not_b32_e32 v28, v118
	v_ashrrev_i32_e32 v27, 31, v27
	v_xor_b32_e32 v119, s20, v119
	v_cmp_gt_i32_e64 s20, 0, v118
	v_and_b32_e32 v22, v22, v117
	v_ashrrev_i32_e32 v28, 31, v28
	v_xor_b32_e32 v27, vcc_lo, v27
	v_mad_u32_u24 v117, v26, 36, v96
	v_mul_u32_u24_e32 v26, 36, v26
	v_and_b32_e32 v22, v22, v119
	v_xor_b32_e32 v28, s20, v28
	ds_read_b32 v117, v117 offset:1056
	v_add_nc_u32_e32 v120, v96, v26
	v_and_b32_e32 v22, v22, v27
	; wave barrier
	v_and_b32_e32 v22, v22, v28
	v_mbcnt_lo_u32_b32 v119, v22, 0
	v_cmp_ne_u32_e64 s20, 0, v22
	v_cmp_eq_u32_e32 vcc_lo, 0, v119
	s_and_b32 s21, s20, vcc_lo
	s_and_saveexec_b32 s20, s21
	s_cbranch_execz .LBB1738_422
; %bb.421:                              ;   in Loop: Header=BB1738_394 Depth=2
	s_waitcnt lgkmcnt(0)
	v_bcnt_u32_b32 v22, v22, v117
	ds_write_b32 v120, v22 offset:1056
.LBB1738_422:                           ;   in Loop: Header=BB1738_394 Depth=2
	s_or_b32 exec_lo, exec_lo, s20
	v_cmp_gt_i16_e32 vcc_lo, 0, v25
	; wave barrier
	v_cndmask_b32_e64 v22, 0x7fff, 0, vcc_lo
	v_xor_b32_e32 v118, v22, v25
	v_cmp_ne_u16_e32 vcc_lo, 0x8000, v118
	v_cndmask_b32_e32 v22, 0x7fff, v118, vcc_lo
	v_lshrrev_b32_sdwa v22, s49, v22 dst_sel:DWORD dst_unused:UNUSED_PAD src0_sel:DWORD src1_sel:WORD_0
	v_and_b32_e32 v25, s43, v22
	v_and_b32_e32 v22, 1, v25
	v_lshlrev_b32_e32 v26, 30, v25
	v_lshlrev_b32_e32 v27, 29, v25
	;; [unrolled: 1-line block ×4, first 2 shown]
	v_add_co_u32 v22, s20, v22, -1
	v_cndmask_b32_e64 v121, 0, 1, s20
	v_not_b32_e32 v125, v26
	v_cmp_gt_i32_e64 s20, 0, v26
	v_not_b32_e32 v26, v27
	v_lshlrev_b32_e32 v123, 26, v25
	v_cmp_ne_u32_e32 vcc_lo, 0, v121
	v_ashrrev_i32_e32 v125, 31, v125
	v_lshlrev_b32_e32 v124, 25, v25
	v_ashrrev_i32_e32 v26, 31, v26
	v_lshlrev_b32_e32 v121, 24, v25
	v_xor_b32_e32 v22, vcc_lo, v22
	v_cmp_gt_i32_e32 vcc_lo, 0, v27
	v_not_b32_e32 v27, v28
	v_xor_b32_e32 v125, s20, v125
	v_cmp_gt_i32_e64 s20, 0, v28
	v_and_b32_e32 v22, exec_lo, v22
	v_not_b32_e32 v28, v122
	v_ashrrev_i32_e32 v27, 31, v27
	v_xor_b32_e32 v26, vcc_lo, v26
	v_cmp_gt_i32_e32 vcc_lo, 0, v122
	v_and_b32_e32 v22, v22, v125
	v_not_b32_e32 v122, v123
	v_ashrrev_i32_e32 v28, 31, v28
	v_xor_b32_e32 v27, s20, v27
	v_cmp_gt_i32_e64 s20, 0, v123
	v_and_b32_e32 v22, v22, v26
	v_not_b32_e32 v26, v124
	v_ashrrev_i32_e32 v122, 31, v122
	v_xor_b32_e32 v28, vcc_lo, v28
	v_cmp_gt_i32_e32 vcc_lo, 0, v124
	v_and_b32_e32 v22, v22, v27
	v_not_b32_e32 v27, v121
	v_ashrrev_i32_e32 v26, 31, v26
	v_xor_b32_e32 v122, s20, v122
	v_cmp_gt_i32_e64 s20, 0, v121
	v_and_b32_e32 v22, v22, v28
	v_ashrrev_i32_e32 v27, 31, v27
	v_xor_b32_e32 v26, vcc_lo, v26
	v_mad_u32_u24 v28, v25, 36, v96
	v_mul_u32_u24_e32 v25, 36, v25
	v_and_b32_e32 v22, v22, v122
	v_xor_b32_e32 v27, s20, v27
	ds_read_b32 v121, v28 offset:1056
	v_add_nc_u32_e32 v124, v96, v25
	v_and_b32_e32 v22, v22, v26
	; wave barrier
	v_and_b32_e32 v22, v22, v27
	v_mbcnt_lo_u32_b32 v123, v22, 0
	v_cmp_ne_u32_e64 s20, 0, v22
	v_cmp_eq_u32_e32 vcc_lo, 0, v123
	s_and_b32 s21, s20, vcc_lo
	s_and_saveexec_b32 s20, s21
	s_cbranch_execz .LBB1738_424
; %bb.423:                              ;   in Loop: Header=BB1738_394 Depth=2
	s_waitcnt lgkmcnt(0)
	v_bcnt_u32_b32 v22, v22, v121
	ds_write_b32 v124, v22 offset:1056
.LBB1738_424:                           ;   in Loop: Header=BB1738_394 Depth=2
	s_or_b32 exec_lo, exec_lo, s20
	v_cmp_gt_i16_e32 vcc_lo, 0, v24
	; wave barrier
	v_cndmask_b32_e64 v22, 0x7fff, 0, vcc_lo
	v_xor_b32_e32 v122, v22, v24
	v_cmp_ne_u16_e32 vcc_lo, 0x8000, v122
	v_cndmask_b32_e32 v22, 0x7fff, v122, vcc_lo
	v_lshrrev_b32_sdwa v22, s49, v22 dst_sel:DWORD dst_unused:UNUSED_PAD src0_sel:DWORD src1_sel:WORD_0
	v_and_b32_e32 v24, s43, v22
	v_and_b32_e32 v22, 1, v24
	v_lshlrev_b32_e32 v25, 30, v24
	v_lshlrev_b32_e32 v26, 29, v24
	;; [unrolled: 1-line block ×4, first 2 shown]
	v_add_co_u32 v22, s20, v22, -1
	v_cndmask_b32_e64 v28, 0, 1, s20
	v_not_b32_e32 v128, v25
	v_cmp_gt_i32_e64 s20, 0, v25
	v_not_b32_e32 v25, v26
	v_lshlrev_b32_e32 v126, 26, v24
	v_cmp_ne_u32_e32 vcc_lo, 0, v28
	v_ashrrev_i32_e32 v128, 31, v128
	v_lshlrev_b32_e32 v127, 25, v24
	v_ashrrev_i32_e32 v25, 31, v25
	v_lshlrev_b32_e32 v28, 24, v24
	v_xor_b32_e32 v22, vcc_lo, v22
	v_cmp_gt_i32_e32 vcc_lo, 0, v26
	v_not_b32_e32 v26, v27
	v_xor_b32_e32 v128, s20, v128
	v_cmp_gt_i32_e64 s20, 0, v27
	v_and_b32_e32 v22, exec_lo, v22
	v_not_b32_e32 v27, v125
	v_ashrrev_i32_e32 v26, 31, v26
	v_xor_b32_e32 v25, vcc_lo, v25
	v_cmp_gt_i32_e32 vcc_lo, 0, v125
	v_and_b32_e32 v22, v22, v128
	v_not_b32_e32 v125, v126
	v_ashrrev_i32_e32 v27, 31, v27
	v_xor_b32_e32 v26, s20, v26
	v_cmp_gt_i32_e64 s20, 0, v126
	v_and_b32_e32 v22, v22, v25
	v_not_b32_e32 v25, v127
	v_ashrrev_i32_e32 v125, 31, v125
	v_xor_b32_e32 v27, vcc_lo, v27
	v_cmp_gt_i32_e32 vcc_lo, 0, v127
	v_and_b32_e32 v22, v22, v26
	v_not_b32_e32 v26, v28
	v_ashrrev_i32_e32 v25, 31, v25
	v_xor_b32_e32 v125, s20, v125
	v_cmp_gt_i32_e64 s20, 0, v28
	v_and_b32_e32 v22, v22, v27
	v_ashrrev_i32_e32 v26, 31, v26
	v_xor_b32_e32 v25, vcc_lo, v25
	v_mad_u32_u24 v27, v24, 36, v96
	v_mul_u32_u24_e32 v24, 36, v24
	v_and_b32_e32 v22, v22, v125
	v_xor_b32_e32 v26, s20, v26
	ds_read_b32 v125, v27 offset:1056
	v_add_nc_u32_e32 v128, v96, v24
	v_and_b32_e32 v22, v22, v25
	; wave barrier
	v_and_b32_e32 v22, v22, v26
	v_mbcnt_lo_u32_b32 v127, v22, 0
	v_cmp_ne_u32_e64 s20, 0, v22
	v_cmp_eq_u32_e32 vcc_lo, 0, v127
	s_and_b32 s21, s20, vcc_lo
	s_and_saveexec_b32 s20, s21
	s_cbranch_execz .LBB1738_426
; %bb.425:                              ;   in Loop: Header=BB1738_394 Depth=2
	s_waitcnt lgkmcnt(0)
	v_bcnt_u32_b32 v22, v22, v125
	ds_write_b32 v128, v22 offset:1056
.LBB1738_426:                           ;   in Loop: Header=BB1738_394 Depth=2
	s_or_b32 exec_lo, exec_lo, s20
	v_cmp_gt_i16_e32 vcc_lo, 0, v23
	; wave barrier
	v_cndmask_b32_e64 v22, 0x7fff, 0, vcc_lo
	v_xor_b32_e32 v126, v22, v23
	v_cmp_ne_u16_e32 vcc_lo, 0x8000, v126
	v_cndmask_b32_e32 v22, 0x7fff, v126, vcc_lo
	v_lshrrev_b32_sdwa v22, s49, v22 dst_sel:DWORD dst_unused:UNUSED_PAD src0_sel:DWORD src1_sel:WORD_0
	v_and_b32_e32 v23, s43, v22
	v_and_b32_e32 v22, 1, v23
	v_lshlrev_b32_e32 v24, 30, v23
	v_lshlrev_b32_e32 v25, 29, v23
	;; [unrolled: 1-line block ×4, first 2 shown]
	v_add_co_u32 v22, s20, v22, -1
	v_cndmask_b32_e64 v27, 0, 1, s20
	v_not_b32_e32 v131, v24
	v_cmp_gt_i32_e64 s20, 0, v24
	v_not_b32_e32 v24, v25
	v_lshlrev_b32_e32 v129, 26, v23
	v_cmp_ne_u32_e32 vcc_lo, 0, v27
	v_ashrrev_i32_e32 v131, 31, v131
	v_lshlrev_b32_e32 v130, 25, v23
	v_ashrrev_i32_e32 v24, 31, v24
	v_lshlrev_b32_e32 v27, 24, v23
	v_xor_b32_e32 v22, vcc_lo, v22
	v_cmp_gt_i32_e32 vcc_lo, 0, v25
	v_not_b32_e32 v25, v26
	v_xor_b32_e32 v131, s20, v131
	v_cmp_gt_i32_e64 s20, 0, v26
	v_and_b32_e32 v22, exec_lo, v22
	v_not_b32_e32 v26, v28
	v_ashrrev_i32_e32 v25, 31, v25
	v_xor_b32_e32 v24, vcc_lo, v24
	v_cmp_gt_i32_e32 vcc_lo, 0, v28
	v_and_b32_e32 v22, v22, v131
	v_not_b32_e32 v28, v129
	v_ashrrev_i32_e32 v26, 31, v26
	v_xor_b32_e32 v25, s20, v25
	v_cmp_gt_i32_e64 s20, 0, v129
	v_and_b32_e32 v22, v22, v24
	v_not_b32_e32 v24, v130
	v_ashrrev_i32_e32 v28, 31, v28
	v_xor_b32_e32 v26, vcc_lo, v26
	v_cmp_gt_i32_e32 vcc_lo, 0, v130
	v_and_b32_e32 v22, v22, v25
	v_not_b32_e32 v25, v27
	v_ashrrev_i32_e32 v24, 31, v24
	v_xor_b32_e32 v28, s20, v28
	v_cmp_gt_i32_e64 s20, 0, v27
	v_and_b32_e32 v22, v22, v26
	v_ashrrev_i32_e32 v25, 31, v25
	v_xor_b32_e32 v24, vcc_lo, v24
	v_mad_u32_u24 v26, v23, 36, v96
	v_mul_u32_u24_e32 v23, 36, v23
	v_and_b32_e32 v22, v22, v28
	v_xor_b32_e32 v25, s20, v25
	ds_read_b32 v129, v26 offset:1056
	v_add_nc_u32_e32 v132, v96, v23
	v_and_b32_e32 v22, v22, v24
	; wave barrier
	v_and_b32_e32 v22, v22, v25
	v_mbcnt_lo_u32_b32 v131, v22, 0
	v_cmp_ne_u32_e64 s20, 0, v22
	v_cmp_eq_u32_e32 vcc_lo, 0, v131
	s_and_b32 s21, s20, vcc_lo
	s_and_saveexec_b32 s20, s21
	s_cbranch_execz .LBB1738_428
; %bb.427:                              ;   in Loop: Header=BB1738_394 Depth=2
	s_waitcnt lgkmcnt(0)
	v_bcnt_u32_b32 v22, v22, v129
	ds_write_b32 v132, v22 offset:1056
.LBB1738_428:                           ;   in Loop: Header=BB1738_394 Depth=2
	s_or_b32 exec_lo, exec_lo, s20
	v_cmp_gt_i16_e32 vcc_lo, 0, v21
	; wave barrier
	v_cndmask_b32_e64 v22, 0x7fff, 0, vcc_lo
	v_xor_b32_e32 v130, v22, v21
	v_cmp_ne_u16_e32 vcc_lo, 0x8000, v130
	v_cndmask_b32_e32 v21, 0x7fff, v130, vcc_lo
	v_lshrrev_b32_sdwa v21, s49, v21 dst_sel:DWORD dst_unused:UNUSED_PAD src0_sel:DWORD src1_sel:WORD_0
	v_and_b32_e32 v22, s43, v21
	v_and_b32_e32 v21, 1, v22
	v_lshlrev_b32_e32 v23, 30, v22
	v_lshlrev_b32_e32 v24, 29, v22
	;; [unrolled: 1-line block ×4, first 2 shown]
	v_add_co_u32 v21, s20, v21, -1
	v_cndmask_b32_e64 v26, 0, 1, s20
	v_not_b32_e32 v134, v23
	v_cmp_gt_i32_e64 s20, 0, v23
	v_not_b32_e32 v23, v24
	v_lshlrev_b32_e32 v28, 26, v22
	v_cmp_ne_u32_e32 vcc_lo, 0, v26
	v_ashrrev_i32_e32 v134, 31, v134
	v_lshlrev_b32_e32 v133, 25, v22
	v_ashrrev_i32_e32 v23, 31, v23
	v_lshlrev_b32_e32 v26, 24, v22
	v_xor_b32_e32 v21, vcc_lo, v21
	v_cmp_gt_i32_e32 vcc_lo, 0, v24
	v_not_b32_e32 v24, v25
	v_xor_b32_e32 v134, s20, v134
	v_cmp_gt_i32_e64 s20, 0, v25
	v_and_b32_e32 v21, exec_lo, v21
	v_not_b32_e32 v25, v27
	v_ashrrev_i32_e32 v24, 31, v24
	v_xor_b32_e32 v23, vcc_lo, v23
	v_cmp_gt_i32_e32 vcc_lo, 0, v27
	v_and_b32_e32 v21, v21, v134
	v_not_b32_e32 v27, v28
	v_ashrrev_i32_e32 v25, 31, v25
	v_xor_b32_e32 v24, s20, v24
	v_cmp_gt_i32_e64 s20, 0, v28
	v_and_b32_e32 v21, v21, v23
	v_not_b32_e32 v23, v133
	v_ashrrev_i32_e32 v27, 31, v27
	v_xor_b32_e32 v25, vcc_lo, v25
	v_cmp_gt_i32_e32 vcc_lo, 0, v133
	v_and_b32_e32 v21, v21, v24
	v_not_b32_e32 v24, v26
	v_ashrrev_i32_e32 v23, 31, v23
	v_xor_b32_e32 v27, s20, v27
	v_cmp_gt_i32_e64 s20, 0, v26
	v_and_b32_e32 v21, v21, v25
	v_ashrrev_i32_e32 v24, 31, v24
	v_xor_b32_e32 v23, vcc_lo, v23
	v_mad_u32_u24 v25, v22, 36, v96
	v_mul_u32_u24_e32 v22, 36, v22
	v_and_b32_e32 v21, v21, v27
	v_xor_b32_e32 v24, s20, v24
	ds_read_b32 v133, v25 offset:1056
	v_add_nc_u32_e32 v135, v96, v22
	v_and_b32_e32 v21, v21, v23
	; wave barrier
	v_and_b32_e32 v21, v21, v24
	v_mbcnt_lo_u32_b32 v134, v21, 0
	v_cmp_ne_u32_e64 s20, 0, v21
	v_cmp_eq_u32_e32 vcc_lo, 0, v134
	s_and_b32 s21, s20, vcc_lo
	s_and_saveexec_b32 s20, s21
	s_cbranch_execz .LBB1738_430
; %bb.429:                              ;   in Loop: Header=BB1738_394 Depth=2
	s_waitcnt lgkmcnt(0)
	v_bcnt_u32_b32 v21, v21, v133
	ds_write_b32 v135, v21 offset:1056
.LBB1738_430:                           ;   in Loop: Header=BB1738_394 Depth=2
	s_or_b32 exec_lo, exec_lo, s20
	; wave barrier
	s_waitcnt lgkmcnt(0)
	s_barrier
	buffer_gl0_inv
	ds_read2_b32 v[27:28], v78 offset1:1
	ds_read2_b32 v[25:26], v88 offset1:1
	;; [unrolled: 1-line block ×4, first 2 shown]
	ds_read_b32 v136, v44 offset:1088
	s_waitcnt lgkmcnt(3)
	v_add3_u32 v137, v28, v27, v25
	s_waitcnt lgkmcnt(2)
	v_add3_u32 v137, v137, v26, v23
	;; [unrolled: 2-line block ×4, first 2 shown]
	v_mov_b32_dpp v137, v136 row_shr:1 row_mask:0xf bank_mask:0xf
	v_cndmask_b32_e64 v137, v137, 0, s5
	v_add_nc_u32_e32 v136, v137, v136
	v_mov_b32_dpp v137, v136 row_shr:2 row_mask:0xf bank_mask:0xf
	v_cndmask_b32_e64 v137, 0, v137, s13
	v_add_nc_u32_e32 v136, v136, v137
	;; [unrolled: 3-line block ×4, first 2 shown]
	ds_swizzle_b32 v137, v136 offset:swizzle(BROADCAST,32,15)
	s_waitcnt lgkmcnt(0)
	v_cndmask_b32_e64 v137, v137, 0, s16
	v_add_nc_u32_e32 v136, v136, v137
	s_and_saveexec_b32 s20, s8
; %bb.431:                              ;   in Loop: Header=BB1738_394 Depth=2
	ds_write_b32 v39, v136 offset:1024
; %bb.432:                              ;   in Loop: Header=BB1738_394 Depth=2
	s_or_b32 exec_lo, exec_lo, s20
	s_waitcnt lgkmcnt(0)
	s_barrier
	buffer_gl0_inv
	s_and_saveexec_b32 s20, s9
	s_cbranch_execz .LBB1738_434
; %bb.433:                              ;   in Loop: Header=BB1738_394 Depth=2
	ds_read_b32 v137, v46 offset:1024
	s_waitcnt lgkmcnt(0)
	v_mov_b32_dpp v138, v137 row_shr:1 row_mask:0xf bank_mask:0xf
	v_cndmask_b32_e64 v138, v138, 0, s17
	v_add_nc_u32_e32 v137, v138, v137
	v_mov_b32_dpp v138, v137 row_shr:2 row_mask:0xf bank_mask:0xf
	v_cndmask_b32_e64 v138, 0, v138, s18
	v_add_nc_u32_e32 v137, v137, v138
	v_mov_b32_dpp v138, v137 row_shr:4 row_mask:0xf bank_mask:0xf
	v_cndmask_b32_e64 v138, 0, v138, s19
	v_add_nc_u32_e32 v137, v137, v138
	ds_write_b32 v46, v137 offset:1024
.LBB1738_434:                           ;   in Loop: Header=BB1738_394 Depth=2
	s_or_b32 exec_lo, exec_lo, s20
	v_mov_b32_e32 v137, 0
	s_waitcnt lgkmcnt(0)
	s_barrier
	buffer_gl0_inv
	s_and_saveexec_b32 s20, s10
; %bb.435:                              ;   in Loop: Header=BB1738_394 Depth=2
	ds_read_b32 v137, v39 offset:1020
; %bb.436:                              ;   in Loop: Header=BB1738_394 Depth=2
	s_or_b32 exec_lo, exec_lo, s20
	s_waitcnt lgkmcnt(0)
	v_add_nc_u32_e32 v136, v137, v136
	ds_bpermute_b32 v136, v91, v136
	s_waitcnt lgkmcnt(0)
	v_cndmask_b32_e64 v136, v136, v137, s12
	v_cndmask_b32_e64 v136, v136, 0, s4
	v_add_nc_u32_e32 v27, v136, v27
	v_add_nc_u32_e32 v28, v27, v28
	;; [unrolled: 1-line block ×8, first 2 shown]
	ds_write2_b32 v78, v136, v27 offset1:1
	ds_write2_b32 v88, v28, v25 offset1:1
	;; [unrolled: 1-line block ×4, first 2 shown]
	ds_write_b32 v44, v22 offset:1088
	s_waitcnt lgkmcnt(0)
	s_barrier
	buffer_gl0_inv
	ds_read_b32 v24, v108 offset:1056
	ds_read_b32 v25, v112 offset:1056
	;; [unrolled: 1-line block ×9, first 2 shown]
	v_mov_b32_e32 v23, 0x800
	s_and_saveexec_b32 s20, s11
; %bb.437:                              ;   in Loop: Header=BB1738_394 Depth=2
	ds_read_b32 v23, v44 offset:1092
; %bb.438:                              ;   in Loop: Header=BB1738_394 Depth=2
	s_or_b32 exec_lo, exec_lo, s20
	s_waitcnt lgkmcnt(0)
	s_barrier
	buffer_gl0_inv
	s_and_saveexec_b32 s20, s7
	s_cbranch_execz .LBB1738_440
; %bb.439:                              ;   in Loop: Header=BB1738_394 Depth=2
	ds_read_b32 v112, v29
	s_waitcnt lgkmcnt(0)
	v_sub_nc_u32_e32 v108, v112, v108
	ds_write_b32 v29, v108
.LBB1738_440:                           ;   in Loop: Header=BB1738_394 Depth=2
	s_or_b32 exec_lo, exec_lo, s20
	v_add_nc_u32_e32 v112, v24, v106
	v_add3_u32 v108, v110, v109, v25
	v_add3_u32 v106, v115, v113, v26
	;; [unrolled: 1-line block ×4, first 2 shown]
	v_lshlrev_b32_e32 v109, 1, v112
	v_lshlrev_b32_e32 v110, 1, v108
	v_add3_u32 v27, v131, v129, v22
	v_lshlrev_b32_e32 v22, 1, v106
	v_add3_u32 v28, v134, v133, v21
	ds_write_b16 v109, v3 offset:1024
	ds_write_b16 v110, v107 offset:1024
	v_lshlrev_b32_e32 v3, 1, v26
	v_add3_u32 v24, v127, v125, v116
	ds_write_b16 v22, v111 offset:1024
	v_lshlrev_b32_e32 v21, 1, v25
	v_cmp_lt_u32_e32 vcc_lo, v0, v105
	ds_write_b16 v3, v114 offset:1024
	v_lshlrev_b32_e32 v3, 1, v28
	v_lshlrev_b32_e32 v22, 1, v24
	;; [unrolled: 1-line block ×3, first 2 shown]
	ds_write_b16 v21, v118 offset:1024
	ds_write_b16 v22, v122 offset:1024
	;; [unrolled: 1-line block ×4, first 2 shown]
	s_waitcnt lgkmcnt(0)
	s_barrier
	buffer_gl0_inv
	s_and_saveexec_b32 s21, vcc_lo
	s_cbranch_execnz .LBB1738_477
; %bb.441:                              ;   in Loop: Header=BB1738_394 Depth=2
	s_or_b32 exec_lo, exec_lo, s21
	v_cmp_lt_u32_e64 s20, v30, v105
	s_and_saveexec_b32 s22, s20
	s_cbranch_execnz .LBB1738_478
.LBB1738_442:                           ;   in Loop: Header=BB1738_394 Depth=2
	s_or_b32 exec_lo, exec_lo, s22
	v_cmp_lt_u32_e64 s21, v31, v105
	s_and_saveexec_b32 s23, s21
	s_cbranch_execnz .LBB1738_479
.LBB1738_443:                           ;   in Loop: Header=BB1738_394 Depth=2
	s_or_b32 exec_lo, exec_lo, s23
	v_cmp_lt_u32_e64 s22, v32, v105
	s_and_saveexec_b32 s24, s22
	s_cbranch_execnz .LBB1738_480
.LBB1738_444:                           ;   in Loop: Header=BB1738_394 Depth=2
	s_or_b32 exec_lo, exec_lo, s24
	v_cmp_lt_u32_e64 s23, v35, v105
	s_and_saveexec_b32 s25, s23
	s_cbranch_execnz .LBB1738_481
.LBB1738_445:                           ;   in Loop: Header=BB1738_394 Depth=2
	s_or_b32 exec_lo, exec_lo, s25
	v_cmp_lt_u32_e64 s24, v36, v105
	s_and_saveexec_b32 s26, s24
	s_cbranch_execnz .LBB1738_482
.LBB1738_446:                           ;   in Loop: Header=BB1738_394 Depth=2
	s_or_b32 exec_lo, exec_lo, s26
	v_cmp_lt_u32_e64 s25, v37, v105
	s_and_saveexec_b32 s28, s25
	s_cbranch_execnz .LBB1738_483
.LBB1738_447:                           ;   in Loop: Header=BB1738_394 Depth=2
	s_or_b32 exec_lo, exec_lo, s28
	v_cmp_lt_u32_e64 s26, v38, v105
	s_and_saveexec_b32 s54, s26
	s_cbranch_execz .LBB1738_449
.LBB1738_448:                           ;   in Loop: Header=BB1738_394 Depth=2
	ds_read_u16 v107, v47 offset:4608
	s_waitcnt lgkmcnt(0)
	v_cmp_ne_u16_e64 s28, 0x8000, v107
	v_cndmask_b32_e64 v3, 0x7fff, v107, s28
	v_cmp_gt_i16_e64 s28, 0, v107
	v_lshrrev_b32_sdwa v3, s49, v3 dst_sel:DWORD dst_unused:UNUSED_PAD src0_sel:DWORD src1_sel:WORD_0
	v_cndmask_b32_e64 v109, 0x7fff, 0, s28
	v_and_b32_e32 v3, s43, v3
	v_lshlrev_b32_e32 v3, 2, v3
	ds_read_b32 v3, v3
	s_waitcnt lgkmcnt(0)
	v_add_nc_u32_e32 v3, v3, v38
	v_lshlrev_b64 v[21:22], 1, v[3:4]
	v_xor_b32_e32 v3, v109, v107
	v_add_co_u32 v21, s28, s38, v21
	v_add_co_ci_u32_e64 v22, null, s39, v22, s28
	global_store_short v[21:22], v3, off
.LBB1738_449:                           ;   in Loop: Header=BB1738_394 Depth=2
	s_or_b32 exec_lo, exec_lo, s54
	s_lshl_b64 s[54:55], s[34:35], 3
	v_add_co_u32 v21, s28, v92, s54
	v_add_co_ci_u32_e64 v22, null, s55, v93, s28
	v_cmp_lt_u32_e64 s28, v66, v105
	s_and_saveexec_b32 s34, s28
	s_xor_b32 s28, exec_lo, s34
	s_cbranch_execnz .LBB1738_484
; %bb.450:                              ;   in Loop: Header=BB1738_394 Depth=2
	s_or_b32 exec_lo, exec_lo, s28
	s_mov_b32 s34, exec_lo
	v_cmpx_lt_u32_e64 v70, v105
	s_cbranch_execnz .LBB1738_485
.LBB1738_451:                           ;   in Loop: Header=BB1738_394 Depth=2
	s_or_b32 exec_lo, exec_lo, s34
	s_mov_b32 s34, exec_lo
	v_cmpx_lt_u32_e64 v71, v105
	s_cbranch_execnz .LBB1738_486
.LBB1738_452:                           ;   in Loop: Header=BB1738_394 Depth=2
	s_or_b32 exec_lo, exec_lo, s34
	s_mov_b32 s34, exec_lo
	v_cmpx_lt_u32_e64 v72, v105
	s_cbranch_execnz .LBB1738_487
.LBB1738_453:                           ;   in Loop: Header=BB1738_394 Depth=2
	s_or_b32 exec_lo, exec_lo, s34
	s_mov_b32 s34, exec_lo
	v_cmpx_lt_u32_e64 v73, v105
	s_cbranch_execnz .LBB1738_488
.LBB1738_454:                           ;   in Loop: Header=BB1738_394 Depth=2
	s_or_b32 exec_lo, exec_lo, s34
	s_mov_b32 s34, exec_lo
	v_cmpx_lt_u32_e64 v74, v105
	s_cbranch_execnz .LBB1738_489
.LBB1738_455:                           ;   in Loop: Header=BB1738_394 Depth=2
	s_or_b32 exec_lo, exec_lo, s34
	s_mov_b32 s34, exec_lo
	v_cmpx_lt_u32_e64 v75, v105
	s_cbranch_execnz .LBB1738_490
.LBB1738_456:                           ;   in Loop: Header=BB1738_394 Depth=2
	s_or_b32 exec_lo, exec_lo, s34
	s_mov_b32 s34, exec_lo
	v_cmpx_lt_u32_e64 v76, v105
	s_cbranch_execnz .LBB1738_491
.LBB1738_457:                           ;   in Loop: Header=BB1738_394 Depth=2
	s_or_b32 exec_lo, exec_lo, s34
	s_and_saveexec_b32 s34, vcc_lo
	s_cbranch_execnz .LBB1738_492
.LBB1738_458:                           ;   in Loop: Header=BB1738_394 Depth=2
	s_or_b32 exec_lo, exec_lo, s34
	s_and_saveexec_b32 s34, s20
	s_cbranch_execnz .LBB1738_493
.LBB1738_459:                           ;   in Loop: Header=BB1738_394 Depth=2
	s_or_b32 exec_lo, exec_lo, s34
	s_and_saveexec_b32 s34, s21
	s_cbranch_execnz .LBB1738_494
.LBB1738_460:                           ;   in Loop: Header=BB1738_394 Depth=2
	s_or_b32 exec_lo, exec_lo, s34
	s_and_saveexec_b32 s34, s22
	s_cbranch_execnz .LBB1738_495
.LBB1738_461:                           ;   in Loop: Header=BB1738_394 Depth=2
	s_or_b32 exec_lo, exec_lo, s34
	s_and_saveexec_b32 s34, s23
	s_cbranch_execnz .LBB1738_496
.LBB1738_462:                           ;   in Loop: Header=BB1738_394 Depth=2
	s_or_b32 exec_lo, exec_lo, s34
	s_and_saveexec_b32 s34, s24
	s_cbranch_execnz .LBB1738_497
.LBB1738_463:                           ;   in Loop: Header=BB1738_394 Depth=2
	s_or_b32 exec_lo, exec_lo, s34
	s_and_saveexec_b32 s34, s25
	s_cbranch_execnz .LBB1738_498
.LBB1738_464:                           ;   in Loop: Header=BB1738_394 Depth=2
	s_or_b32 exec_lo, exec_lo, s34
	s_and_saveexec_b32 s34, s26
	s_cbranch_execz .LBB1738_466
.LBB1738_465:                           ;   in Loop: Header=BB1738_394 Depth=2
	ds_read_u16 v3, v47 offset:4608
	s_waitcnt lgkmcnt(0)
	v_cmp_ne_u16_e64 s28, 0x8000, v3
	v_cndmask_b32_e64 v3, 0x7fff, v3, s28
	v_lshrrev_b32_sdwa v3, s49, v3 dst_sel:DWORD dst_unused:UNUSED_PAD src0_sel:DWORD src1_sel:WORD_0
	v_and_b32_e32 v97, s43, v3
.LBB1738_466:                           ;   in Loop: Header=BB1738_394 Depth=2
	s_or_b32 exec_lo, exec_lo, s34
	v_lshlrev_b32_e32 v3, 3, v112
	v_lshlrev_b32_e32 v21, 3, v108
	;; [unrolled: 1-line block ×3, first 2 shown]
	s_waitcnt vmcnt(0)
	s_waitcnt_vscnt null, 0x0
	s_barrier
	buffer_gl0_inv
	ds_write_b64 v3, v[19:20] offset:1024
	ds_write_b64 v21, v[17:18] offset:1024
	ds_write_b64 v22, v[15:16] offset:1024
	v_lshlrev_b32_e32 v3, 3, v26
	v_lshlrev_b32_e32 v21, 3, v25
	;; [unrolled: 1-line block ×5, first 2 shown]
	ds_write_b64 v3, v[13:14] offset:1024
	ds_write_b64 v21, v[11:12] offset:1024
	;; [unrolled: 1-line block ×5, first 2 shown]
	s_waitcnt lgkmcnt(0)
	s_barrier
	buffer_gl0_inv
	s_and_saveexec_b32 s28, vcc_lo
	s_cbranch_execnz .LBB1738_499
; %bb.467:                              ;   in Loop: Header=BB1738_394 Depth=2
	s_or_b32 exec_lo, exec_lo, s28
	s_and_saveexec_b32 s28, s20
	s_cbranch_execnz .LBB1738_500
.LBB1738_468:                           ;   in Loop: Header=BB1738_394 Depth=2
	s_or_b32 exec_lo, exec_lo, s28
	s_and_saveexec_b32 s20, s21
	s_cbranch_execnz .LBB1738_501
.LBB1738_469:                           ;   in Loop: Header=BB1738_394 Depth=2
	s_or_b32 exec_lo, exec_lo, s20
	s_and_saveexec_b32 s20, s22
	s_cbranch_execnz .LBB1738_502
.LBB1738_470:                           ;   in Loop: Header=BB1738_394 Depth=2
	s_or_b32 exec_lo, exec_lo, s20
	s_and_saveexec_b32 s20, s23
	s_cbranch_execnz .LBB1738_503
.LBB1738_471:                           ;   in Loop: Header=BB1738_394 Depth=2
	s_or_b32 exec_lo, exec_lo, s20
	s_and_saveexec_b32 s20, s24
	s_cbranch_execnz .LBB1738_504
.LBB1738_472:                           ;   in Loop: Header=BB1738_394 Depth=2
	s_or_b32 exec_lo, exec_lo, s20
	s_and_saveexec_b32 s20, s25
	s_cbranch_execnz .LBB1738_505
.LBB1738_473:                           ;   in Loop: Header=BB1738_394 Depth=2
	s_or_b32 exec_lo, exec_lo, s20
	s_and_saveexec_b32 s20, s26
	s_cbranch_execz .LBB1738_475
.LBB1738_474:                           ;   in Loop: Header=BB1738_394 Depth=2
	v_lshlrev_b32_e32 v3, 2, v97
	v_add_nc_u32_e32 v21, v47, v48
	ds_read_b32 v3, v3
	ds_read_b64 v[21:22], v21 offset:15360
	s_waitcnt lgkmcnt(1)
	v_add_nc_u32_e32 v3, v3, v38
	v_lshlrev_b64 v[24:25], 3, v[3:4]
	v_add_co_u32 v24, vcc_lo, s44, v24
	v_add_co_ci_u32_e64 v25, null, s45, v25, vcc_lo
	s_waitcnt lgkmcnt(0)
	global_store_dwordx2 v[24:25], v[21:22], off
.LBB1738_475:                           ;   in Loop: Header=BB1738_394 Depth=2
	s_or_b32 exec_lo, exec_lo, s20
	s_waitcnt_vscnt null, 0x0
	s_barrier
	buffer_gl0_inv
	s_and_saveexec_b32 s20, s7
	s_cbranch_execz .LBB1738_393
; %bb.476:                              ;   in Loop: Header=BB1738_394 Depth=2
	ds_read_b32 v3, v29
	s_waitcnt lgkmcnt(0)
	v_add_nc_u32_e32 v3, v3, v23
	ds_write_b32 v29, v3
	s_branch .LBB1738_393
.LBB1738_477:                           ;   in Loop: Header=BB1738_394 Depth=2
	ds_read_u16 v107, v47 offset:1024
	s_waitcnt lgkmcnt(0)
	v_cmp_ne_u16_e64 s20, 0x8000, v107
	v_cndmask_b32_e64 v3, 0x7fff, v107, s20
	v_cmp_gt_i16_e64 s20, 0, v107
	v_lshrrev_b32_sdwa v3, s49, v3 dst_sel:DWORD dst_unused:UNUSED_PAD src0_sel:DWORD src1_sel:WORD_0
	v_cndmask_b32_e64 v109, 0x7fff, 0, s20
	v_and_b32_e32 v3, s43, v3
	v_lshlrev_b32_e32 v3, 2, v3
	ds_read_b32 v3, v3
	s_waitcnt lgkmcnt(0)
	v_add_nc_u32_e32 v3, v3, v0
	v_lshlrev_b64 v[21:22], 1, v[3:4]
	v_xor_b32_e32 v3, v109, v107
	v_add_co_u32 v21, s20, s38, v21
	v_add_co_ci_u32_e64 v22, null, s39, v22, s20
	global_store_short v[21:22], v3, off
	s_or_b32 exec_lo, exec_lo, s21
	v_cmp_lt_u32_e64 s20, v30, v105
	s_and_saveexec_b32 s22, s20
	s_cbranch_execz .LBB1738_442
.LBB1738_478:                           ;   in Loop: Header=BB1738_394 Depth=2
	ds_read_u16 v107, v47 offset:1536
	s_waitcnt lgkmcnt(0)
	v_cmp_ne_u16_e64 s21, 0x8000, v107
	v_cndmask_b32_e64 v3, 0x7fff, v107, s21
	v_cmp_gt_i16_e64 s21, 0, v107
	v_lshrrev_b32_sdwa v3, s49, v3 dst_sel:DWORD dst_unused:UNUSED_PAD src0_sel:DWORD src1_sel:WORD_0
	v_cndmask_b32_e64 v109, 0x7fff, 0, s21
	v_and_b32_e32 v3, s43, v3
	v_lshlrev_b32_e32 v3, 2, v3
	ds_read_b32 v3, v3
	s_waitcnt lgkmcnt(0)
	v_add_nc_u32_e32 v3, v3, v30
	v_lshlrev_b64 v[21:22], 1, v[3:4]
	v_xor_b32_e32 v3, v109, v107
	v_add_co_u32 v21, s21, s38, v21
	v_add_co_ci_u32_e64 v22, null, s39, v22, s21
	global_store_short v[21:22], v3, off
	s_or_b32 exec_lo, exec_lo, s22
	v_cmp_lt_u32_e64 s21, v31, v105
	s_and_saveexec_b32 s23, s21
	s_cbranch_execz .LBB1738_443
.LBB1738_479:                           ;   in Loop: Header=BB1738_394 Depth=2
	ds_read_u16 v107, v47 offset:2048
	s_waitcnt lgkmcnt(0)
	v_cmp_ne_u16_e64 s22, 0x8000, v107
	v_cndmask_b32_e64 v3, 0x7fff, v107, s22
	v_cmp_gt_i16_e64 s22, 0, v107
	v_lshrrev_b32_sdwa v3, s49, v3 dst_sel:DWORD dst_unused:UNUSED_PAD src0_sel:DWORD src1_sel:WORD_0
	v_cndmask_b32_e64 v109, 0x7fff, 0, s22
	v_and_b32_e32 v3, s43, v3
	v_lshlrev_b32_e32 v3, 2, v3
	ds_read_b32 v3, v3
	s_waitcnt lgkmcnt(0)
	v_add_nc_u32_e32 v3, v3, v31
	v_lshlrev_b64 v[21:22], 1, v[3:4]
	v_xor_b32_e32 v3, v109, v107
	v_add_co_u32 v21, s22, s38, v21
	v_add_co_ci_u32_e64 v22, null, s39, v22, s22
	global_store_short v[21:22], v3, off
	s_or_b32 exec_lo, exec_lo, s23
	v_cmp_lt_u32_e64 s22, v32, v105
	s_and_saveexec_b32 s24, s22
	s_cbranch_execz .LBB1738_444
.LBB1738_480:                           ;   in Loop: Header=BB1738_394 Depth=2
	ds_read_u16 v107, v47 offset:2560
	s_waitcnt lgkmcnt(0)
	v_cmp_ne_u16_e64 s23, 0x8000, v107
	v_cndmask_b32_e64 v3, 0x7fff, v107, s23
	v_cmp_gt_i16_e64 s23, 0, v107
	v_lshrrev_b32_sdwa v3, s49, v3 dst_sel:DWORD dst_unused:UNUSED_PAD src0_sel:DWORD src1_sel:WORD_0
	v_cndmask_b32_e64 v109, 0x7fff, 0, s23
	v_and_b32_e32 v3, s43, v3
	v_lshlrev_b32_e32 v3, 2, v3
	ds_read_b32 v3, v3
	s_waitcnt lgkmcnt(0)
	v_add_nc_u32_e32 v3, v3, v32
	v_lshlrev_b64 v[21:22], 1, v[3:4]
	v_xor_b32_e32 v3, v109, v107
	v_add_co_u32 v21, s23, s38, v21
	v_add_co_ci_u32_e64 v22, null, s39, v22, s23
	global_store_short v[21:22], v3, off
	s_or_b32 exec_lo, exec_lo, s24
	v_cmp_lt_u32_e64 s23, v35, v105
	s_and_saveexec_b32 s25, s23
	s_cbranch_execz .LBB1738_445
.LBB1738_481:                           ;   in Loop: Header=BB1738_394 Depth=2
	ds_read_u16 v107, v47 offset:3072
	s_waitcnt lgkmcnt(0)
	v_cmp_ne_u16_e64 s24, 0x8000, v107
	v_cndmask_b32_e64 v3, 0x7fff, v107, s24
	v_cmp_gt_i16_e64 s24, 0, v107
	v_lshrrev_b32_sdwa v3, s49, v3 dst_sel:DWORD dst_unused:UNUSED_PAD src0_sel:DWORD src1_sel:WORD_0
	v_cndmask_b32_e64 v109, 0x7fff, 0, s24
	v_and_b32_e32 v3, s43, v3
	v_lshlrev_b32_e32 v3, 2, v3
	ds_read_b32 v3, v3
	s_waitcnt lgkmcnt(0)
	v_add_nc_u32_e32 v3, v3, v35
	v_lshlrev_b64 v[21:22], 1, v[3:4]
	v_xor_b32_e32 v3, v109, v107
	v_add_co_u32 v21, s24, s38, v21
	v_add_co_ci_u32_e64 v22, null, s39, v22, s24
	global_store_short v[21:22], v3, off
	s_or_b32 exec_lo, exec_lo, s25
	v_cmp_lt_u32_e64 s24, v36, v105
	s_and_saveexec_b32 s26, s24
	s_cbranch_execz .LBB1738_446
.LBB1738_482:                           ;   in Loop: Header=BB1738_394 Depth=2
	ds_read_u16 v107, v47 offset:3584
	s_waitcnt lgkmcnt(0)
	v_cmp_ne_u16_e64 s25, 0x8000, v107
	v_cndmask_b32_e64 v3, 0x7fff, v107, s25
	v_cmp_gt_i16_e64 s25, 0, v107
	v_lshrrev_b32_sdwa v3, s49, v3 dst_sel:DWORD dst_unused:UNUSED_PAD src0_sel:DWORD src1_sel:WORD_0
	v_cndmask_b32_e64 v109, 0x7fff, 0, s25
	v_and_b32_e32 v3, s43, v3
	v_lshlrev_b32_e32 v3, 2, v3
	ds_read_b32 v3, v3
	s_waitcnt lgkmcnt(0)
	v_add_nc_u32_e32 v3, v3, v36
	v_lshlrev_b64 v[21:22], 1, v[3:4]
	v_xor_b32_e32 v3, v109, v107
	v_add_co_u32 v21, s25, s38, v21
	v_add_co_ci_u32_e64 v22, null, s39, v22, s25
	global_store_short v[21:22], v3, off
	s_or_b32 exec_lo, exec_lo, s26
	v_cmp_lt_u32_e64 s25, v37, v105
	s_and_saveexec_b32 s28, s25
	s_cbranch_execz .LBB1738_447
.LBB1738_483:                           ;   in Loop: Header=BB1738_394 Depth=2
	ds_read_u16 v107, v47 offset:4096
	s_waitcnt lgkmcnt(0)
	v_cmp_ne_u16_e64 s26, 0x8000, v107
	v_cndmask_b32_e64 v3, 0x7fff, v107, s26
	v_cmp_gt_i16_e64 s26, 0, v107
	v_lshrrev_b32_sdwa v3, s49, v3 dst_sel:DWORD dst_unused:UNUSED_PAD src0_sel:DWORD src1_sel:WORD_0
	v_cndmask_b32_e64 v109, 0x7fff, 0, s26
	v_and_b32_e32 v3, s43, v3
	v_lshlrev_b32_e32 v3, 2, v3
	ds_read_b32 v3, v3
	s_waitcnt lgkmcnt(0)
	v_add_nc_u32_e32 v3, v3, v37
	v_lshlrev_b64 v[21:22], 1, v[3:4]
	v_xor_b32_e32 v3, v109, v107
	v_add_co_u32 v21, s26, s38, v21
	v_add_co_ci_u32_e64 v22, null, s39, v22, s26
	global_store_short v[21:22], v3, off
	s_or_b32 exec_lo, exec_lo, s28
	v_cmp_lt_u32_e64 s26, v38, v105
	s_and_saveexec_b32 s54, s26
	s_cbranch_execnz .LBB1738_448
	s_branch .LBB1738_449
.LBB1738_484:                           ;   in Loop: Header=BB1738_394 Depth=2
	global_load_dwordx2 v[19:20], v[21:22], off
	s_or_b32 exec_lo, exec_lo, s28
	s_mov_b32 s34, exec_lo
	v_cmpx_lt_u32_e64 v70, v105
	s_cbranch_execz .LBB1738_451
.LBB1738_485:                           ;   in Loop: Header=BB1738_394 Depth=2
	global_load_dwordx2 v[17:18], v[21:22], off offset:256
	s_or_b32 exec_lo, exec_lo, s34
	s_mov_b32 s34, exec_lo
	v_cmpx_lt_u32_e64 v71, v105
	s_cbranch_execz .LBB1738_452
.LBB1738_486:                           ;   in Loop: Header=BB1738_394 Depth=2
	global_load_dwordx2 v[15:16], v[21:22], off offset:512
	s_or_b32 exec_lo, exec_lo, s34
	s_mov_b32 s34, exec_lo
	v_cmpx_lt_u32_e64 v72, v105
	s_cbranch_execz .LBB1738_453
.LBB1738_487:                           ;   in Loop: Header=BB1738_394 Depth=2
	global_load_dwordx2 v[13:14], v[21:22], off offset:768
	s_or_b32 exec_lo, exec_lo, s34
	s_mov_b32 s34, exec_lo
	v_cmpx_lt_u32_e64 v73, v105
	s_cbranch_execz .LBB1738_454
.LBB1738_488:                           ;   in Loop: Header=BB1738_394 Depth=2
	global_load_dwordx2 v[11:12], v[21:22], off offset:1024
	s_or_b32 exec_lo, exec_lo, s34
	s_mov_b32 s34, exec_lo
	v_cmpx_lt_u32_e64 v74, v105
	s_cbranch_execz .LBB1738_455
.LBB1738_489:                           ;   in Loop: Header=BB1738_394 Depth=2
	global_load_dwordx2 v[9:10], v[21:22], off offset:1280
	s_or_b32 exec_lo, exec_lo, s34
	s_mov_b32 s34, exec_lo
	v_cmpx_lt_u32_e64 v75, v105
	s_cbranch_execz .LBB1738_456
.LBB1738_490:                           ;   in Loop: Header=BB1738_394 Depth=2
	global_load_dwordx2 v[7:8], v[21:22], off offset:1536
	s_or_b32 exec_lo, exec_lo, s34
	s_mov_b32 s34, exec_lo
	v_cmpx_lt_u32_e64 v76, v105
	s_cbranch_execz .LBB1738_457
.LBB1738_491:                           ;   in Loop: Header=BB1738_394 Depth=2
	global_load_dwordx2 v[5:6], v[21:22], off offset:1792
	s_or_b32 exec_lo, exec_lo, s34
	s_and_saveexec_b32 s34, vcc_lo
	s_cbranch_execz .LBB1738_458
.LBB1738_492:                           ;   in Loop: Header=BB1738_394 Depth=2
	ds_read_u16 v3, v47 offset:1024
	s_waitcnt lgkmcnt(0)
	v_cmp_ne_u16_e64 s28, 0x8000, v3
	v_cndmask_b32_e64 v3, 0x7fff, v3, s28
	v_lshrrev_b32_sdwa v3, s49, v3 dst_sel:DWORD dst_unused:UNUSED_PAD src0_sel:DWORD src1_sel:WORD_0
	v_and_b32_e32 v104, s43, v3
	s_or_b32 exec_lo, exec_lo, s34
	s_and_saveexec_b32 s34, s20
	s_cbranch_execz .LBB1738_459
.LBB1738_493:                           ;   in Loop: Header=BB1738_394 Depth=2
	ds_read_u16 v3, v47 offset:1536
	s_waitcnt lgkmcnt(0)
	v_cmp_ne_u16_e64 s28, 0x8000, v3
	v_cndmask_b32_e64 v3, 0x7fff, v3, s28
	v_lshrrev_b32_sdwa v3, s49, v3 dst_sel:DWORD dst_unused:UNUSED_PAD src0_sel:DWORD src1_sel:WORD_0
	v_and_b32_e32 v103, s43, v3
	s_or_b32 exec_lo, exec_lo, s34
	s_and_saveexec_b32 s34, s21
	s_cbranch_execz .LBB1738_460
.LBB1738_494:                           ;   in Loop: Header=BB1738_394 Depth=2
	ds_read_u16 v3, v47 offset:2048
	s_waitcnt lgkmcnt(0)
	v_cmp_ne_u16_e64 s28, 0x8000, v3
	v_cndmask_b32_e64 v3, 0x7fff, v3, s28
	v_lshrrev_b32_sdwa v3, s49, v3 dst_sel:DWORD dst_unused:UNUSED_PAD src0_sel:DWORD src1_sel:WORD_0
	v_and_b32_e32 v102, s43, v3
	s_or_b32 exec_lo, exec_lo, s34
	s_and_saveexec_b32 s34, s22
	s_cbranch_execz .LBB1738_461
.LBB1738_495:                           ;   in Loop: Header=BB1738_394 Depth=2
	ds_read_u16 v3, v47 offset:2560
	s_waitcnt lgkmcnt(0)
	v_cmp_ne_u16_e64 s28, 0x8000, v3
	v_cndmask_b32_e64 v3, 0x7fff, v3, s28
	v_lshrrev_b32_sdwa v3, s49, v3 dst_sel:DWORD dst_unused:UNUSED_PAD src0_sel:DWORD src1_sel:WORD_0
	v_and_b32_e32 v101, s43, v3
	s_or_b32 exec_lo, exec_lo, s34
	s_and_saveexec_b32 s34, s23
	s_cbranch_execz .LBB1738_462
.LBB1738_496:                           ;   in Loop: Header=BB1738_394 Depth=2
	ds_read_u16 v3, v47 offset:3072
	s_waitcnt lgkmcnt(0)
	v_cmp_ne_u16_e64 s28, 0x8000, v3
	v_cndmask_b32_e64 v3, 0x7fff, v3, s28
	v_lshrrev_b32_sdwa v3, s49, v3 dst_sel:DWORD dst_unused:UNUSED_PAD src0_sel:DWORD src1_sel:WORD_0
	v_and_b32_e32 v100, s43, v3
	s_or_b32 exec_lo, exec_lo, s34
	s_and_saveexec_b32 s34, s24
	s_cbranch_execz .LBB1738_463
.LBB1738_497:                           ;   in Loop: Header=BB1738_394 Depth=2
	ds_read_u16 v3, v47 offset:3584
	s_waitcnt lgkmcnt(0)
	v_cmp_ne_u16_e64 s28, 0x8000, v3
	v_cndmask_b32_e64 v3, 0x7fff, v3, s28
	v_lshrrev_b32_sdwa v3, s49, v3 dst_sel:DWORD dst_unused:UNUSED_PAD src0_sel:DWORD src1_sel:WORD_0
	v_and_b32_e32 v99, s43, v3
	s_or_b32 exec_lo, exec_lo, s34
	s_and_saveexec_b32 s34, s25
	s_cbranch_execz .LBB1738_464
.LBB1738_498:                           ;   in Loop: Header=BB1738_394 Depth=2
	ds_read_u16 v3, v47 offset:4096
	s_waitcnt lgkmcnt(0)
	v_cmp_ne_u16_e64 s28, 0x8000, v3
	v_cndmask_b32_e64 v3, 0x7fff, v3, s28
	v_lshrrev_b32_sdwa v3, s49, v3 dst_sel:DWORD dst_unused:UNUSED_PAD src0_sel:DWORD src1_sel:WORD_0
	v_and_b32_e32 v98, s43, v3
	s_or_b32 exec_lo, exec_lo, s34
	s_and_saveexec_b32 s34, s26
	s_cbranch_execnz .LBB1738_465
	s_branch .LBB1738_466
.LBB1738_499:                           ;   in Loop: Header=BB1738_394 Depth=2
	v_lshlrev_b32_e32 v3, 2, v104
	v_add_nc_u32_e32 v21, v47, v48
	ds_read_b32 v3, v3
	ds_read_b64 v[21:22], v21 offset:1024
	s_waitcnt lgkmcnt(1)
	v_add_nc_u32_e32 v3, v3, v0
	v_lshlrev_b64 v[24:25], 3, v[3:4]
	v_add_co_u32 v24, vcc_lo, s44, v24
	v_add_co_ci_u32_e64 v25, null, s45, v25, vcc_lo
	s_waitcnt lgkmcnt(0)
	global_store_dwordx2 v[24:25], v[21:22], off
	s_or_b32 exec_lo, exec_lo, s28
	s_and_saveexec_b32 s28, s20
	s_cbranch_execz .LBB1738_468
.LBB1738_500:                           ;   in Loop: Header=BB1738_394 Depth=2
	v_lshlrev_b32_e32 v3, 2, v103
	v_add_nc_u32_e32 v21, v47, v48
	ds_read_b32 v3, v3
	ds_read_b64 v[21:22], v21 offset:3072
	s_waitcnt lgkmcnt(1)
	v_add_nc_u32_e32 v3, v3, v30
	v_lshlrev_b64 v[24:25], 3, v[3:4]
	v_add_co_u32 v24, vcc_lo, s44, v24
	v_add_co_ci_u32_e64 v25, null, s45, v25, vcc_lo
	s_waitcnt lgkmcnt(0)
	global_store_dwordx2 v[24:25], v[21:22], off
	s_or_b32 exec_lo, exec_lo, s28
	s_and_saveexec_b32 s20, s21
	s_cbranch_execz .LBB1738_469
.LBB1738_501:                           ;   in Loop: Header=BB1738_394 Depth=2
	v_lshlrev_b32_e32 v3, 2, v102
	v_add_nc_u32_e32 v21, v47, v48
	ds_read_b32 v3, v3
	ds_read_b64 v[21:22], v21 offset:5120
	s_waitcnt lgkmcnt(1)
	v_add_nc_u32_e32 v3, v3, v31
	v_lshlrev_b64 v[24:25], 3, v[3:4]
	v_add_co_u32 v24, vcc_lo, s44, v24
	v_add_co_ci_u32_e64 v25, null, s45, v25, vcc_lo
	s_waitcnt lgkmcnt(0)
	global_store_dwordx2 v[24:25], v[21:22], off
	s_or_b32 exec_lo, exec_lo, s20
	s_and_saveexec_b32 s20, s22
	s_cbranch_execz .LBB1738_470
.LBB1738_502:                           ;   in Loop: Header=BB1738_394 Depth=2
	v_lshlrev_b32_e32 v3, 2, v101
	v_add_nc_u32_e32 v21, v47, v48
	ds_read_b32 v3, v3
	ds_read_b64 v[21:22], v21 offset:7168
	s_waitcnt lgkmcnt(1)
	v_add_nc_u32_e32 v3, v3, v32
	v_lshlrev_b64 v[24:25], 3, v[3:4]
	v_add_co_u32 v24, vcc_lo, s44, v24
	v_add_co_ci_u32_e64 v25, null, s45, v25, vcc_lo
	s_waitcnt lgkmcnt(0)
	global_store_dwordx2 v[24:25], v[21:22], off
	s_or_b32 exec_lo, exec_lo, s20
	s_and_saveexec_b32 s20, s23
	s_cbranch_execz .LBB1738_471
.LBB1738_503:                           ;   in Loop: Header=BB1738_394 Depth=2
	v_lshlrev_b32_e32 v3, 2, v100
	v_add_nc_u32_e32 v21, v47, v48
	ds_read_b32 v3, v3
	ds_read_b64 v[21:22], v21 offset:9216
	s_waitcnt lgkmcnt(1)
	v_add_nc_u32_e32 v3, v3, v35
	v_lshlrev_b64 v[24:25], 3, v[3:4]
	v_add_co_u32 v24, vcc_lo, s44, v24
	v_add_co_ci_u32_e64 v25, null, s45, v25, vcc_lo
	s_waitcnt lgkmcnt(0)
	global_store_dwordx2 v[24:25], v[21:22], off
	s_or_b32 exec_lo, exec_lo, s20
	s_and_saveexec_b32 s20, s24
	s_cbranch_execz .LBB1738_472
.LBB1738_504:                           ;   in Loop: Header=BB1738_394 Depth=2
	v_lshlrev_b32_e32 v3, 2, v99
	v_add_nc_u32_e32 v21, v47, v48
	ds_read_b32 v3, v3
	ds_read_b64 v[21:22], v21 offset:11264
	s_waitcnt lgkmcnt(1)
	v_add_nc_u32_e32 v3, v3, v36
	v_lshlrev_b64 v[24:25], 3, v[3:4]
	v_add_co_u32 v24, vcc_lo, s44, v24
	v_add_co_ci_u32_e64 v25, null, s45, v25, vcc_lo
	s_waitcnt lgkmcnt(0)
	global_store_dwordx2 v[24:25], v[21:22], off
	s_or_b32 exec_lo, exec_lo, s20
	s_and_saveexec_b32 s20, s25
	s_cbranch_execz .LBB1738_473
.LBB1738_505:                           ;   in Loop: Header=BB1738_394 Depth=2
	v_lshlrev_b32_e32 v3, 2, v98
	v_add_nc_u32_e32 v21, v47, v48
	ds_read_b32 v3, v3
	ds_read_b64 v[21:22], v21 offset:13312
	s_waitcnt lgkmcnt(1)
	v_add_nc_u32_e32 v3, v3, v37
	v_lshlrev_b64 v[24:25], 3, v[3:4]
	v_add_co_u32 v24, vcc_lo, s44, v24
	v_add_co_ci_u32_e64 v25, null, s45, v25, vcc_lo
	s_waitcnt lgkmcnt(0)
	global_store_dwordx2 v[24:25], v[21:22], off
	s_or_b32 exec_lo, exec_lo, s20
	s_and_saveexec_b32 s20, s26
	s_cbranch_execnz .LBB1738_474
	s_branch .LBB1738_475
.LBB1738_506:                           ;   in Loop: Header=BB1738_12 Depth=1
	s_waitcnt lgkmcnt(0)
	s_mov_b32 s5, 0
	s_barrier
.LBB1738_507:                           ;   in Loop: Header=BB1738_12 Depth=1
	s_and_b32 vcc_lo, exec_lo, s5
	s_cbranch_vccz .LBB1738_11
; %bb.508:                              ;   in Loop: Header=BB1738_12 Depth=1
	s_mov_b32 s5, s52
	s_mov_b32 s34, s29
	s_barrier
	buffer_gl0_inv
                                        ; implicit-def: $vgpr3
                                        ; implicit-def: $vgpr5
                                        ; implicit-def: $vgpr6
                                        ; implicit-def: $vgpr7
                                        ; implicit-def: $vgpr8
                                        ; implicit-def: $vgpr9
                                        ; implicit-def: $vgpr10
                                        ; implicit-def: $vgpr11
	s_branch .LBB1738_510
.LBB1738_509:                           ;   in Loop: Header=BB1738_510 Depth=2
	s_or_b32 exec_lo, exec_lo, s14
	s_addk_i32 s5, 0xf800
	s_cmp_ge_u32 s13, s33
	s_mov_b32 s34, s13
	s_cbranch_scc1 .LBB1738_546
.LBB1738_510:                           ;   Parent Loop BB1738_12 Depth=1
                                        ; =>  This Inner Loop Header: Depth=2
	s_add_i32 s13, s34, 0x800
	s_mov_b32 s14, -1
	s_cmp_gt_u32 s13, s33
                                        ; implicit-def: $vgpr12
                                        ; implicit-def: $vgpr13
                                        ; implicit-def: $vgpr14
                                        ; implicit-def: $vgpr15
                                        ; implicit-def: $vgpr16
                                        ; implicit-def: $vgpr17
                                        ; implicit-def: $vgpr18
                                        ; implicit-def: $vgpr19
	s_cbranch_scc1 .LBB1738_512
; %bb.511:                              ;   in Loop: Header=BB1738_510 Depth=2
	s_lshl_b64 s[14:15], s[34:35], 1
	v_add_co_u32 v15, vcc_lo, v55, s14
	v_add_co_ci_u32_e64 v16, null, s15, v56, vcc_lo
	s_mov_b32 s14, 0
	v_add_co_u32 v19, vcc_lo, 0x800, v15
	v_add_co_ci_u32_e64 v20, null, 0, v16, vcc_lo
	s_clause 0x7
	global_load_ushort v12, v[15:16], off
	global_load_ushort v13, v[15:16], off offset:512
	global_load_ushort v14, v[15:16], off offset:1024
	global_load_ushort v15, v[15:16], off offset:1536
	global_load_ushort v16, v[19:20], off
	global_load_ushort v17, v[19:20], off offset:512
	global_load_ushort v18, v[19:20], off offset:1024
	;; [unrolled: 1-line block ×3, first 2 shown]
.LBB1738_512:                           ;   in Loop: Header=BB1738_510 Depth=2
	s_andn2_b32 vcc_lo, exec_lo, s14
	s_movk_i32 s14, 0x800
	s_cbranch_vccnz .LBB1738_523
; %bb.513:                              ;   in Loop: Header=BB1738_510 Depth=2
	s_lshl_b64 s[14:15], s[34:35], 1
	s_mov_b32 s16, exec_lo
	s_add_u32 s14, s36, s14
	s_addc_u32 s15, s37, s15
	v_cmpx_gt_u32_e64 s5, v0
	s_cbranch_execnz .LBB1738_539
; %bb.514:                              ;   in Loop: Header=BB1738_510 Depth=2
	s_or_b32 exec_lo, exec_lo, s16
	s_mov_b32 s16, exec_lo
	v_cmpx_gt_u32_e64 s5, v30
	s_cbranch_execnz .LBB1738_540
.LBB1738_515:                           ;   in Loop: Header=BB1738_510 Depth=2
	s_or_b32 exec_lo, exec_lo, s16
	s_mov_b32 s16, exec_lo
	v_cmpx_gt_u32_e64 s5, v31
	s_cbranch_execnz .LBB1738_541
.LBB1738_516:                           ;   in Loop: Header=BB1738_510 Depth=2
	s_or_b32 exec_lo, exec_lo, s16
	s_mov_b32 s16, exec_lo
	v_cmpx_gt_u32_e64 s5, v32
	s_cbranch_execnz .LBB1738_542
.LBB1738_517:                           ;   in Loop: Header=BB1738_510 Depth=2
	s_or_b32 exec_lo, exec_lo, s16
	s_mov_b32 s16, exec_lo
	v_cmpx_gt_u32_e64 s5, v35
	s_cbranch_execnz .LBB1738_543
.LBB1738_518:                           ;   in Loop: Header=BB1738_510 Depth=2
	s_or_b32 exec_lo, exec_lo, s16
	s_mov_b32 s16, exec_lo
	v_cmpx_gt_u32_e64 s5, v36
	s_cbranch_execnz .LBB1738_544
.LBB1738_519:                           ;   in Loop: Header=BB1738_510 Depth=2
	s_or_b32 exec_lo, exec_lo, s16
	s_mov_b32 s16, exec_lo
	v_cmpx_gt_u32_e64 s5, v37
	s_cbranch_execnz .LBB1738_545
.LBB1738_520:                           ;   in Loop: Header=BB1738_510 Depth=2
	s_or_b32 exec_lo, exec_lo, s16
	s_mov_b32 s16, exec_lo
	v_cmpx_gt_u32_e64 s5, v38
	s_cbranch_execz .LBB1738_522
.LBB1738_521:                           ;   in Loop: Header=BB1738_510 Depth=2
	global_load_ushort v3, v87, s[14:15]
.LBB1738_522:                           ;   in Loop: Header=BB1738_510 Depth=2
	s_or_b32 exec_lo, exec_lo, s16
	s_waitcnt vmcnt(0)
	v_mov_b32_e32 v12, v11
	v_mov_b32_e32 v13, v10
	;; [unrolled: 1-line block ×8, first 2 shown]
	s_mov_b32 s14, s5
.LBB1738_523:                           ;   in Loop: Header=BB1738_510 Depth=2
	s_waitcnt vmcnt(0)
	v_mov_b32_e32 v3, v19
	v_mov_b32_e32 v5, v18
	v_mov_b32_e32 v6, v17
	v_mov_b32_e32 v7, v16
	v_mov_b32_e32 v8, v15
	v_mov_b32_e32 v9, v14
	v_mov_b32_e32 v10, v13
	v_mov_b32_e32 v11, v12
	s_mov_b32 s15, exec_lo
	v_cmpx_gt_u32_e64 s14, v0
	s_cbranch_execnz .LBB1738_531
; %bb.524:                              ;   in Loop: Header=BB1738_510 Depth=2
	s_or_b32 exec_lo, exec_lo, s15
	s_mov_b32 s15, exec_lo
	v_cmpx_gt_u32_e64 s14, v30
	s_cbranch_execnz .LBB1738_532
.LBB1738_525:                           ;   in Loop: Header=BB1738_510 Depth=2
	s_or_b32 exec_lo, exec_lo, s15
	s_mov_b32 s15, exec_lo
	v_cmpx_gt_u32_e64 s14, v31
	s_cbranch_execnz .LBB1738_533
.LBB1738_526:                           ;   in Loop: Header=BB1738_510 Depth=2
	s_or_b32 exec_lo, exec_lo, s15
	s_mov_b32 s15, exec_lo
	v_cmpx_gt_u32_e64 s14, v32
	s_cbranch_execnz .LBB1738_534
.LBB1738_527:                           ;   in Loop: Header=BB1738_510 Depth=2
	s_or_b32 exec_lo, exec_lo, s15
	s_mov_b32 s15, exec_lo
	v_cmpx_gt_u32_e64 s14, v35
	s_cbranch_execnz .LBB1738_535
.LBB1738_528:                           ;   in Loop: Header=BB1738_510 Depth=2
	s_or_b32 exec_lo, exec_lo, s15
	s_mov_b32 s15, exec_lo
	v_cmpx_gt_u32_e64 s14, v36
	s_cbranch_execnz .LBB1738_536
.LBB1738_529:                           ;   in Loop: Header=BB1738_510 Depth=2
	s_or_b32 exec_lo, exec_lo, s15
	s_mov_b32 s15, exec_lo
	v_cmpx_gt_u32_e64 s14, v37
	s_cbranch_execnz .LBB1738_537
.LBB1738_530:                           ;   in Loop: Header=BB1738_510 Depth=2
	s_or_b32 exec_lo, exec_lo, s15
	v_cmp_gt_u32_e32 vcc_lo, s14, v38
	s_and_saveexec_b32 s14, vcc_lo
	s_cbranch_execz .LBB1738_509
	s_branch .LBB1738_538
.LBB1738_531:                           ;   in Loop: Header=BB1738_510 Depth=2
	v_cmp_gt_i16_e32 vcc_lo, 0, v11
	v_cndmask_b32_e64 v12, 0x7fff, 0, vcc_lo
	v_xor_b32_e32 v12, v12, v11
	v_cmp_ne_u16_e32 vcc_lo, 0x8000, v12
	v_cndmask_b32_e32 v12, 0x7fff, v12, vcc_lo
	v_lshrrev_b32_sdwa v12, s49, v12 dst_sel:DWORD dst_unused:UNUSED_PAD src0_sel:DWORD src1_sel:WORD_0
	v_and_b32_e32 v12, s43, v12
	v_lshl_or_b32 v12, v12, 4, v40
	ds_add_u32 v12, v62
	s_or_b32 exec_lo, exec_lo, s15
	s_mov_b32 s15, exec_lo
	v_cmpx_gt_u32_e64 s14, v30
	s_cbranch_execz .LBB1738_525
.LBB1738_532:                           ;   in Loop: Header=BB1738_510 Depth=2
	v_cmp_gt_i16_e32 vcc_lo, 0, v10
	v_cndmask_b32_e64 v12, 0x7fff, 0, vcc_lo
	v_xor_b32_e32 v12, v12, v10
	v_cmp_ne_u16_e32 vcc_lo, 0x8000, v12
	v_cndmask_b32_e32 v12, 0x7fff, v12, vcc_lo
	v_lshrrev_b32_sdwa v12, s49, v12 dst_sel:DWORD dst_unused:UNUSED_PAD src0_sel:DWORD src1_sel:WORD_0
	v_and_b32_e32 v12, s43, v12
	v_lshl_or_b32 v12, v12, 4, v40
	ds_add_u32 v12, v62
	s_or_b32 exec_lo, exec_lo, s15
	s_mov_b32 s15, exec_lo
	v_cmpx_gt_u32_e64 s14, v31
	s_cbranch_execz .LBB1738_526
.LBB1738_533:                           ;   in Loop: Header=BB1738_510 Depth=2
	v_cmp_gt_i16_e32 vcc_lo, 0, v9
	v_cndmask_b32_e64 v12, 0x7fff, 0, vcc_lo
	v_xor_b32_e32 v12, v12, v9
	v_cmp_ne_u16_e32 vcc_lo, 0x8000, v12
	v_cndmask_b32_e32 v12, 0x7fff, v12, vcc_lo
	v_lshrrev_b32_sdwa v12, s49, v12 dst_sel:DWORD dst_unused:UNUSED_PAD src0_sel:DWORD src1_sel:WORD_0
	v_and_b32_e32 v12, s43, v12
	v_lshl_or_b32 v12, v12, 4, v40
	ds_add_u32 v12, v62
	s_or_b32 exec_lo, exec_lo, s15
	s_mov_b32 s15, exec_lo
	v_cmpx_gt_u32_e64 s14, v32
	s_cbranch_execz .LBB1738_527
.LBB1738_534:                           ;   in Loop: Header=BB1738_510 Depth=2
	v_cmp_gt_i16_e32 vcc_lo, 0, v8
	v_cndmask_b32_e64 v12, 0x7fff, 0, vcc_lo
	v_xor_b32_e32 v12, v12, v8
	v_cmp_ne_u16_e32 vcc_lo, 0x8000, v12
	v_cndmask_b32_e32 v12, 0x7fff, v12, vcc_lo
	v_lshrrev_b32_sdwa v12, s49, v12 dst_sel:DWORD dst_unused:UNUSED_PAD src0_sel:DWORD src1_sel:WORD_0
	v_and_b32_e32 v12, s43, v12
	v_lshl_or_b32 v12, v12, 4, v40
	ds_add_u32 v12, v62
	s_or_b32 exec_lo, exec_lo, s15
	s_mov_b32 s15, exec_lo
	v_cmpx_gt_u32_e64 s14, v35
	s_cbranch_execz .LBB1738_528
.LBB1738_535:                           ;   in Loop: Header=BB1738_510 Depth=2
	v_cmp_gt_i16_e32 vcc_lo, 0, v7
	v_cndmask_b32_e64 v12, 0x7fff, 0, vcc_lo
	v_xor_b32_e32 v12, v12, v7
	v_cmp_ne_u16_e32 vcc_lo, 0x8000, v12
	v_cndmask_b32_e32 v12, 0x7fff, v12, vcc_lo
	v_lshrrev_b32_sdwa v12, s49, v12 dst_sel:DWORD dst_unused:UNUSED_PAD src0_sel:DWORD src1_sel:WORD_0
	v_and_b32_e32 v12, s43, v12
	v_lshl_or_b32 v12, v12, 4, v40
	ds_add_u32 v12, v62
	s_or_b32 exec_lo, exec_lo, s15
	s_mov_b32 s15, exec_lo
	v_cmpx_gt_u32_e64 s14, v36
	s_cbranch_execz .LBB1738_529
.LBB1738_536:                           ;   in Loop: Header=BB1738_510 Depth=2
	v_cmp_gt_i16_e32 vcc_lo, 0, v6
	v_cndmask_b32_e64 v12, 0x7fff, 0, vcc_lo
	v_xor_b32_e32 v12, v12, v6
	v_cmp_ne_u16_e32 vcc_lo, 0x8000, v12
	v_cndmask_b32_e32 v12, 0x7fff, v12, vcc_lo
	v_lshrrev_b32_sdwa v12, s49, v12 dst_sel:DWORD dst_unused:UNUSED_PAD src0_sel:DWORD src1_sel:WORD_0
	v_and_b32_e32 v12, s43, v12
	v_lshl_or_b32 v12, v12, 4, v40
	ds_add_u32 v12, v62
	s_or_b32 exec_lo, exec_lo, s15
	s_mov_b32 s15, exec_lo
	v_cmpx_gt_u32_e64 s14, v37
	s_cbranch_execz .LBB1738_530
.LBB1738_537:                           ;   in Loop: Header=BB1738_510 Depth=2
	v_cmp_gt_i16_e32 vcc_lo, 0, v5
	v_cndmask_b32_e64 v12, 0x7fff, 0, vcc_lo
	v_xor_b32_e32 v12, v12, v5
	v_cmp_ne_u16_e32 vcc_lo, 0x8000, v12
	v_cndmask_b32_e32 v12, 0x7fff, v12, vcc_lo
	v_lshrrev_b32_sdwa v12, s49, v12 dst_sel:DWORD dst_unused:UNUSED_PAD src0_sel:DWORD src1_sel:WORD_0
	v_and_b32_e32 v12, s43, v12
	v_lshl_or_b32 v12, v12, 4, v40
	ds_add_u32 v12, v62
	s_or_b32 exec_lo, exec_lo, s15
	v_cmp_gt_u32_e32 vcc_lo, s14, v38
	s_and_saveexec_b32 s14, vcc_lo
	s_cbranch_execz .LBB1738_509
.LBB1738_538:                           ;   in Loop: Header=BB1738_510 Depth=2
	v_cmp_gt_i16_e32 vcc_lo, 0, v3
	v_cndmask_b32_e64 v12, 0x7fff, 0, vcc_lo
	v_xor_b32_e32 v12, v12, v3
	v_cmp_ne_u16_e32 vcc_lo, 0x8000, v12
	v_cndmask_b32_e32 v12, 0x7fff, v12, vcc_lo
	v_lshrrev_b32_sdwa v12, s49, v12 dst_sel:DWORD dst_unused:UNUSED_PAD src0_sel:DWORD src1_sel:WORD_0
	v_and_b32_e32 v12, s43, v12
	v_lshl_or_b32 v12, v12, 4, v40
	ds_add_u32 v12, v62
	s_branch .LBB1738_509
.LBB1738_539:                           ;   in Loop: Header=BB1738_510 Depth=2
	global_load_ushort v11, v79, s[14:15]
	s_or_b32 exec_lo, exec_lo, s16
	s_mov_b32 s16, exec_lo
	v_cmpx_gt_u32_e64 s5, v30
	s_cbranch_execz .LBB1738_515
.LBB1738_540:                           ;   in Loop: Header=BB1738_510 Depth=2
	global_load_ushort v10, v79, s[14:15] offset:512
	s_or_b32 exec_lo, exec_lo, s16
	s_mov_b32 s16, exec_lo
	v_cmpx_gt_u32_e64 s5, v31
	s_cbranch_execz .LBB1738_516
.LBB1738_541:                           ;   in Loop: Header=BB1738_510 Depth=2
	global_load_ushort v9, v79, s[14:15] offset:1024
	s_or_b32 exec_lo, exec_lo, s16
	s_mov_b32 s16, exec_lo
	v_cmpx_gt_u32_e64 s5, v32
	s_cbranch_execz .LBB1738_517
.LBB1738_542:                           ;   in Loop: Header=BB1738_510 Depth=2
	global_load_ushort v8, v79, s[14:15] offset:1536
	s_or_b32 exec_lo, exec_lo, s16
	s_mov_b32 s16, exec_lo
	v_cmpx_gt_u32_e64 s5, v35
	s_cbranch_execz .LBB1738_518
.LBB1738_543:                           ;   in Loop: Header=BB1738_510 Depth=2
	global_load_ushort v7, v80, s[14:15]
	s_or_b32 exec_lo, exec_lo, s16
	s_mov_b32 s16, exec_lo
	v_cmpx_gt_u32_e64 s5, v36
	s_cbranch_execz .LBB1738_519
.LBB1738_544:                           ;   in Loop: Header=BB1738_510 Depth=2
	global_load_ushort v6, v81, s[14:15]
	s_or_b32 exec_lo, exec_lo, s16
	s_mov_b32 s16, exec_lo
	v_cmpx_gt_u32_e64 s5, v37
	s_cbranch_execz .LBB1738_520
.LBB1738_545:                           ;   in Loop: Header=BB1738_510 Depth=2
	global_load_ushort v5, v82, s[14:15]
	s_or_b32 exec_lo, exec_lo, s16
	s_mov_b32 s16, exec_lo
	v_cmpx_gt_u32_e64 s5, v38
	s_cbranch_execnz .LBB1738_521
	s_branch .LBB1738_522
.LBB1738_546:                           ;   in Loop: Header=BB1738_12 Depth=1
	v_mov_b32_e32 v3, 0
	s_waitcnt lgkmcnt(0)
	s_barrier
	buffer_gl0_inv
	s_and_saveexec_b32 s5, s7
	s_cbranch_execz .LBB1738_548
; %bb.547:                              ;   in Loop: Header=BB1738_12 Depth=1
	ds_read2_b64 v[5:8], v41 offset1:1
	s_waitcnt lgkmcnt(0)
	v_add_nc_u32_e32 v3, v6, v5
	v_add3_u32 v3, v3, v7, v8
.LBB1738_548:                           ;   in Loop: Header=BB1738_12 Depth=1
	s_or_b32 exec_lo, exec_lo, s5
	v_mov_b32_dpp v5, v3 row_shr:1 row_mask:0xf bank_mask:0xf
	v_cmp_eq_u32_e64 s5, 0, v63
	v_cmp_lt_u32_e64 s13, 1, v63
	v_cmp_lt_u32_e64 s14, 3, v63
	;; [unrolled: 1-line block ×3, first 2 shown]
	v_cmp_eq_u32_e64 s16, 0, v65
	v_cndmask_b32_e64 v5, v5, 0, s5
	v_add_nc_u32_e32 v3, v5, v3
	v_mov_b32_dpp v5, v3 row_shr:2 row_mask:0xf bank_mask:0xf
	v_cndmask_b32_e64 v5, 0, v5, s13
	v_add_nc_u32_e32 v3, v3, v5
	v_mov_b32_dpp v5, v3 row_shr:4 row_mask:0xf bank_mask:0xf
	v_cndmask_b32_e64 v5, 0, v5, s14
	v_add_nc_u32_e32 v3, v3, v5
	v_mov_b32_dpp v5, v3 row_shr:8 row_mask:0xf bank_mask:0xf
	v_cndmask_b32_e64 v5, 0, v5, s15
	v_add_nc_u32_e32 v3, v3, v5
	ds_swizzle_b32 v5, v3 offset:swizzle(BROADCAST,32,15)
	s_waitcnt lgkmcnt(0)
	v_and_b32_e32 v5, v64, v5
	v_add_nc_u32_e32 v3, v3, v5
	s_and_saveexec_b32 s17, s8
; %bb.549:                              ;   in Loop: Header=BB1738_12 Depth=1
	ds_write_b32 v42, v3
; %bb.550:                              ;   in Loop: Header=BB1738_12 Depth=1
	s_or_b32 exec_lo, exec_lo, s17
	s_waitcnt lgkmcnt(0)
	s_barrier
	buffer_gl0_inv
	s_and_saveexec_b32 s17, s9
	s_cbranch_execz .LBB1738_552
; %bb.551:                              ;   in Loop: Header=BB1738_12 Depth=1
	ds_read_b32 v5, v43
	v_cmp_ne_u32_e32 vcc_lo, 0, v67
	s_waitcnt lgkmcnt(0)
	v_mov_b32_dpp v6, v5 row_shr:1 row_mask:0xf bank_mask:0xf
	v_cndmask_b32_e32 v6, 0, v6, vcc_lo
	v_cmp_lt_u32_e32 vcc_lo, 1, v67
	v_add_nc_u32_e32 v5, v6, v5
	v_mov_b32_dpp v6, v5 row_shr:2 row_mask:0xf bank_mask:0xf
	v_cndmask_b32_e32 v6, 0, v6, vcc_lo
	v_cmp_lt_u32_e32 vcc_lo, 3, v67
	v_add_nc_u32_e32 v5, v5, v6
	v_mov_b32_dpp v6, v5 row_shr:4 row_mask:0xf bank_mask:0xf
	v_cndmask_b32_e32 v6, 0, v6, vcc_lo
	v_add_nc_u32_e32 v5, v5, v6
	ds_write_b32 v43, v5
.LBB1738_552:                           ;   in Loop: Header=BB1738_12 Depth=1
	s_or_b32 exec_lo, exec_lo, s17
	v_mov_b32_e32 v5, 0
	s_waitcnt lgkmcnt(0)
	s_barrier
	buffer_gl0_inv
	s_and_saveexec_b32 s17, s10
; %bb.553:                              ;   in Loop: Header=BB1738_12 Depth=1
	ds_read_b32 v5, v45
; %bb.554:                              ;   in Loop: Header=BB1738_12 Depth=1
	s_or_b32 exec_lo, exec_lo, s17
	v_cmp_gt_i32_e32 vcc_lo, 0, v68
	s_waitcnt lgkmcnt(0)
	v_add_nc_u32_e32 v3, v5, v3
	s_barrier
	buffer_gl0_inv
	v_cndmask_b32_e32 v6, v68, v59, vcc_lo
	v_lshlrev_b32_e32 v91, 2, v6
	ds_bpermute_b32 v3, v91, v3
	s_and_saveexec_b32 s17, s7
	s_cbranch_execz .LBB1738_556
; %bb.555:                              ;   in Loop: Header=BB1738_12 Depth=1
	s_waitcnt lgkmcnt(0)
	v_cndmask_b32_e64 v3, v3, v5, s12
	v_add_nc_u32_e32 v3, s29, v3
	ds_write_b32 v29, v3
.LBB1738_556:                           ;   in Loop: Header=BB1738_12 Depth=1
	s_or_b32 exec_lo, exec_lo, s17
	s_load_dwordx2 s[18:19], s[30:31], 0x0
	v_add_co_u32 v92, vcc_lo, v57, v69
	v_add_co_ci_u32_e64 v93, null, 0, v58, vcc_lo
	v_add_co_u32 v94, vcc_lo, v60, v77
	v_add_co_ci_u32_e64 v95, null, 0, v61, vcc_lo
	s_mov_b32 s48, s52
	s_mov_b32 s34, s29
                                        ; implicit-def: $vgpr7_vgpr8
                                        ; implicit-def: $vgpr9_vgpr10
                                        ; implicit-def: $vgpr11_vgpr12
                                        ; implicit-def: $vgpr13_vgpr14
                                        ; implicit-def: $vgpr15_vgpr16
                                        ; implicit-def: $vgpr17_vgpr18
                                        ; implicit-def: $vgpr19_vgpr20
                                        ; implicit-def: $vgpr97
                                        ; implicit-def: $vgpr98
                                        ; implicit-def: $vgpr99
                                        ; implicit-def: $vgpr100
                                        ; implicit-def: $vgpr101
                                        ; implicit-def: $vgpr102
                                        ; implicit-def: $vgpr103
                                        ; implicit-def: $vgpr104
	s_waitcnt lgkmcnt(0)
	s_cmp_lt_u32 s27, s19
	s_cselect_b32 s17, 14, 20
	s_add_u32 s20, s30, s17
	s_addc_u32 s21, s31, 0
	s_cmp_lt_u32 s6, s18
	global_load_ushort v3, v4, s[20:21]
	s_cselect_b32 s17, 12, 18
	s_add_u32 s18, s30, s17
	s_addc_u32 s19, s31, 0
	v_cmp_eq_u32_e64 s17, 0, v67
	global_load_ushort v5, v4, s[18:19]
	v_cmp_lt_u32_e64 s18, 1, v67
	v_cmp_lt_u32_e64 s19, 3, v67
	s_waitcnt vmcnt(1)
	v_mad_u32_u24 v3, v2, v3, v1
	s_waitcnt vmcnt(0)
	v_mad_u64_u32 v[5:6], null, v3, v5, v[0:1]
	v_lshrrev_b32_e32 v3, 3, v5
                                        ; implicit-def: $vgpr5_vgpr6
	v_and_b32_e32 v96, 0x1ffffffc, v3
	s_branch .LBB1738_558
.LBB1738_557:                           ;   in Loop: Header=BB1738_558 Depth=2
	s_or_b32 exec_lo, exec_lo, s20
	s_addk_i32 s48, 0xf800
	s_cmp_lt_u32 s53, s33
	s_mov_b32 s34, s53
	s_cbranch_scc0 .LBB1738_10
.LBB1738_558:                           ;   Parent Loop BB1738_12 Depth=1
                                        ; =>  This Inner Loop Header: Depth=2
	s_add_i32 s53, s34, 0x800
	s_cmp_gt_u32 s53, s33
	s_cbranch_scc1 .LBB1738_560
; %bb.559:                              ;   in Loop: Header=BB1738_558 Depth=2
	s_lshl_b64 s[20:21], s[34:35], 1
	v_add_co_u32 v21, vcc_lo, v94, s20
	v_add_co_ci_u32_e64 v22, null, s21, v95, vcc_lo
	s_mov_b32 s20, -1
	s_clause 0x6
	global_load_ushort v3, v[21:22], off
	global_load_ushort v28, v[21:22], off offset:64
	global_load_ushort v27, v[21:22], off offset:128
	;; [unrolled: 1-line block ×6, first 2 shown]
	s_movk_i32 s21, 0x800
	s_cbranch_execz .LBB1738_561
	s_branch .LBB1738_576
.LBB1738_560:                           ;   in Loop: Header=BB1738_558 Depth=2
	s_mov_b32 s20, 0
                                        ; implicit-def: $vgpr3
                                        ; implicit-def: $vgpr28
                                        ; implicit-def: $vgpr27
                                        ; implicit-def: $vgpr26
                                        ; implicit-def: $vgpr25
                                        ; implicit-def: $vgpr24
                                        ; implicit-def: $vgpr23
	s_movk_i32 s21, 0x800
.LBB1738_561:                           ;   in Loop: Header=BB1738_558 Depth=2
	s_lshl_b64 s[20:21], s[34:35], 1
	s_waitcnt vmcnt(5)
	v_mov_b32_e32 v28, -1
	v_add_co_u32 v21, vcc_lo, v94, s20
	v_add_co_ci_u32_e64 v22, null, s21, v95, vcc_lo
	v_mov_b32_e32 v3, -1
	s_mov_b32 s20, exec_lo
	v_cmpx_gt_u32_e64 s48, v66
	s_cbranch_execz .LBB1738_563
; %bb.562:                              ;   in Loop: Header=BB1738_558 Depth=2
	global_load_ushort v3, v[21:22], off
.LBB1738_563:                           ;   in Loop: Header=BB1738_558 Depth=2
	s_or_b32 exec_lo, exec_lo, s20
	s_mov_b32 s20, exec_lo
	v_cmpx_gt_u32_e64 s48, v70
	s_cbranch_execz .LBB1738_565
; %bb.564:                              ;   in Loop: Header=BB1738_558 Depth=2
	global_load_ushort v28, v[21:22], off offset:64
.LBB1738_565:                           ;   in Loop: Header=BB1738_558 Depth=2
	s_or_b32 exec_lo, exec_lo, s20
	s_waitcnt vmcnt(3)
	v_mov_b32_e32 v26, -1
	v_mov_b32_e32 v27, -1
	s_mov_b32 s20, exec_lo
	v_cmpx_gt_u32_e64 s48, v71
	s_cbranch_execz .LBB1738_567
; %bb.566:                              ;   in Loop: Header=BB1738_558 Depth=2
	global_load_ushort v27, v[21:22], off offset:128
.LBB1738_567:                           ;   in Loop: Header=BB1738_558 Depth=2
	s_or_b32 exec_lo, exec_lo, s20
	s_mov_b32 s20, exec_lo
	v_cmpx_gt_u32_e64 s48, v72
	s_cbranch_execz .LBB1738_569
; %bb.568:                              ;   in Loop: Header=BB1738_558 Depth=2
	global_load_ushort v26, v[21:22], off offset:192
.LBB1738_569:                           ;   in Loop: Header=BB1738_558 Depth=2
	s_or_b32 exec_lo, exec_lo, s20
	s_waitcnt vmcnt(1)
	v_mov_b32_e32 v24, -1
	v_mov_b32_e32 v25, -1
	s_mov_b32 s20, exec_lo
	v_cmpx_gt_u32_e64 s48, v73
	s_cbranch_execz .LBB1738_571
; %bb.570:                              ;   in Loop: Header=BB1738_558 Depth=2
	global_load_ushort v25, v[21:22], off offset:256
.LBB1738_571:                           ;   in Loop: Header=BB1738_558 Depth=2
	s_or_b32 exec_lo, exec_lo, s20
	s_mov_b32 s20, exec_lo
	v_cmpx_gt_u32_e64 s48, v74
	s_cbranch_execz .LBB1738_573
; %bb.572:                              ;   in Loop: Header=BB1738_558 Depth=2
	global_load_ushort v24, v[21:22], off offset:320
.LBB1738_573:                           ;   in Loop: Header=BB1738_558 Depth=2
	s_or_b32 exec_lo, exec_lo, s20
	s_waitcnt vmcnt(0)
	v_mov_b32_e32 v23, -1
	s_mov_b32 s20, exec_lo
	v_cmpx_gt_u32_e64 s48, v75
	s_cbranch_execz .LBB1738_575
; %bb.574:                              ;   in Loop: Header=BB1738_558 Depth=2
	global_load_ushort v23, v[21:22], off offset:384
.LBB1738_575:                           ;   in Loop: Header=BB1738_558 Depth=2
	s_or_b32 exec_lo, exec_lo, s20
	v_cmp_gt_u32_e64 s20, s48, v76
	s_sub_i32 s21, s33, s34
.LBB1738_576:                           ;   in Loop: Header=BB1738_558 Depth=2
	v_mov_b32_e32 v21, -1
	v_mov_b32_e32 v105, s48
	s_and_saveexec_b32 s22, s20
	s_cbranch_execz .LBB1738_578
; %bb.577:                              ;   in Loop: Header=BB1738_558 Depth=2
	s_lshl_b64 s[24:25], s[34:35], 1
	v_mov_b32_e32 v105, s21
	v_add_co_u32 v21, vcc_lo, v94, s24
	v_add_co_ci_u32_e64 v22, null, s25, v95, vcc_lo
	global_load_ushort v21, v[21:22], off offset:448
.LBB1738_578:                           ;   in Loop: Header=BB1738_558 Depth=2
	s_or_b32 exec_lo, exec_lo, s22
	s_waitcnt vmcnt(6)
	v_cmp_gt_i16_e32 vcc_lo, 0, v3
	ds_write2_b32 v78, v4, v4 offset1:1
	ds_write2_b32 v88, v4, v4 offset1:1
	;; [unrolled: 1-line block ×4, first 2 shown]
	ds_write_b32 v44, v4 offset:1088
	s_waitcnt vmcnt(0) lgkmcnt(0)
	s_barrier
	v_cndmask_b32_e64 v22, 0x7fff, 0, vcc_lo
	buffer_gl0_inv
	; wave barrier
	v_xor_b32_e32 v3, v22, v3
	v_cmp_ne_u16_e32 vcc_lo, 0x8000, v3
	v_cndmask_b32_e32 v22, 0x7fff, v3, vcc_lo
	v_lshrrev_b32_sdwa v22, s49, v22 dst_sel:DWORD dst_unused:UNUSED_PAD src0_sel:DWORD src1_sel:WORD_0
	v_and_b32_e32 v107, s43, v22
	v_and_b32_e32 v22, 1, v107
	v_lshlrev_b32_e32 v106, 30, v107
	v_lshlrev_b32_e32 v108, 29, v107
	;; [unrolled: 1-line block ×4, first 2 shown]
	v_add_co_u32 v22, s20, v22, -1
	v_cndmask_b32_e64 v110, 0, 1, s20
	v_not_b32_e32 v114, v106
	v_cmp_gt_i32_e64 s20, 0, v106
	v_not_b32_e32 v106, v108
	v_lshlrev_b32_e32 v112, 26, v107
	v_cmp_ne_u32_e32 vcc_lo, 0, v110
	v_ashrrev_i32_e32 v114, 31, v114
	v_lshlrev_b32_e32 v113, 25, v107
	v_ashrrev_i32_e32 v106, 31, v106
	v_lshlrev_b32_e32 v110, 24, v107
	v_xor_b32_e32 v22, vcc_lo, v22
	v_cmp_gt_i32_e32 vcc_lo, 0, v108
	v_not_b32_e32 v108, v109
	v_xor_b32_e32 v114, s20, v114
	v_cmp_gt_i32_e64 s20, 0, v109
	v_and_b32_e32 v22, exec_lo, v22
	v_not_b32_e32 v109, v111
	v_ashrrev_i32_e32 v108, 31, v108
	v_xor_b32_e32 v106, vcc_lo, v106
	v_cmp_gt_i32_e32 vcc_lo, 0, v111
	v_and_b32_e32 v22, v22, v114
	v_not_b32_e32 v111, v112
	v_ashrrev_i32_e32 v109, 31, v109
	v_xor_b32_e32 v108, s20, v108
	v_cmp_gt_i32_e64 s20, 0, v112
	v_and_b32_e32 v22, v22, v106
	v_not_b32_e32 v106, v113
	v_ashrrev_i32_e32 v111, 31, v111
	v_xor_b32_e32 v109, vcc_lo, v109
	v_cmp_gt_i32_e32 vcc_lo, 0, v113
	v_and_b32_e32 v22, v22, v108
	v_not_b32_e32 v108, v110
	v_ashrrev_i32_e32 v106, 31, v106
	v_xor_b32_e32 v111, s20, v111
	v_cmp_gt_i32_e64 s20, 0, v110
	v_and_b32_e32 v22, v22, v109
	v_ashrrev_i32_e32 v108, 31, v108
	v_xor_b32_e32 v106, vcc_lo, v106
	v_mul_u32_u24_e32 v107, 36, v107
	v_and_b32_e32 v22, v22, v111
	v_xor_b32_e32 v108, s20, v108
	v_and_b32_e32 v22, v22, v106
	v_and_b32_e32 v22, v22, v108
	v_add_nc_u32_e32 v108, v96, v107
	v_mbcnt_lo_u32_b32 v106, v22, 0
	v_cmp_ne_u32_e64 s20, 0, v22
	v_cmp_eq_u32_e32 vcc_lo, 0, v106
	s_and_b32 s21, s20, vcc_lo
	s_and_saveexec_b32 s20, s21
; %bb.579:                              ;   in Loop: Header=BB1738_558 Depth=2
	v_bcnt_u32_b32 v22, v22, 0
	ds_write_b32 v108, v22 offset:1056
; %bb.580:                              ;   in Loop: Header=BB1738_558 Depth=2
	s_or_b32 exec_lo, exec_lo, s20
	v_cmp_gt_i16_e32 vcc_lo, 0, v28
	; wave barrier
	v_cndmask_b32_e64 v22, 0x7fff, 0, vcc_lo
	v_xor_b32_e32 v107, v22, v28
	v_cmp_ne_u16_e32 vcc_lo, 0x8000, v107
	v_cndmask_b32_e32 v22, 0x7fff, v107, vcc_lo
	v_lshrrev_b32_sdwa v22, s49, v22 dst_sel:DWORD dst_unused:UNUSED_PAD src0_sel:DWORD src1_sel:WORD_0
	v_and_b32_e32 v28, s43, v22
	v_and_b32_e32 v22, 1, v28
	v_lshlrev_b32_e32 v109, 30, v28
	v_lshlrev_b32_e32 v110, 29, v28
	;; [unrolled: 1-line block ×4, first 2 shown]
	v_add_co_u32 v22, s20, v22, -1
	v_cndmask_b32_e64 v112, 0, 1, s20
	v_not_b32_e32 v116, v109
	v_cmp_gt_i32_e64 s20, 0, v109
	v_not_b32_e32 v109, v110
	v_lshlrev_b32_e32 v114, 26, v28
	v_cmp_ne_u32_e32 vcc_lo, 0, v112
	v_ashrrev_i32_e32 v116, 31, v116
	v_lshlrev_b32_e32 v115, 25, v28
	v_ashrrev_i32_e32 v109, 31, v109
	v_lshlrev_b32_e32 v112, 24, v28
	v_xor_b32_e32 v22, vcc_lo, v22
	v_cmp_gt_i32_e32 vcc_lo, 0, v110
	v_not_b32_e32 v110, v111
	v_xor_b32_e32 v116, s20, v116
	v_cmp_gt_i32_e64 s20, 0, v111
	v_and_b32_e32 v22, exec_lo, v22
	v_not_b32_e32 v111, v113
	v_ashrrev_i32_e32 v110, 31, v110
	v_xor_b32_e32 v109, vcc_lo, v109
	v_cmp_gt_i32_e32 vcc_lo, 0, v113
	v_and_b32_e32 v22, v22, v116
	v_not_b32_e32 v113, v114
	v_ashrrev_i32_e32 v111, 31, v111
	v_xor_b32_e32 v110, s20, v110
	v_cmp_gt_i32_e64 s20, 0, v114
	v_and_b32_e32 v22, v22, v109
	v_not_b32_e32 v109, v115
	v_ashrrev_i32_e32 v113, 31, v113
	v_xor_b32_e32 v111, vcc_lo, v111
	v_cmp_gt_i32_e32 vcc_lo, 0, v115
	v_and_b32_e32 v22, v22, v110
	v_not_b32_e32 v110, v112
	v_ashrrev_i32_e32 v109, 31, v109
	v_xor_b32_e32 v113, s20, v113
	v_cmp_gt_i32_e64 s20, 0, v112
	v_and_b32_e32 v22, v22, v111
	v_ashrrev_i32_e32 v110, 31, v110
	v_xor_b32_e32 v109, vcc_lo, v109
	v_mad_u32_u24 v111, v28, 36, v96
	v_mul_u32_u24_e32 v28, 36, v28
	v_and_b32_e32 v22, v22, v113
	v_xor_b32_e32 v110, s20, v110
	v_add_nc_u32_e32 v112, v96, v28
	v_and_b32_e32 v22, v22, v109
	ds_read_b32 v109, v111 offset:1056
	; wave barrier
	v_and_b32_e32 v22, v22, v110
	v_mbcnt_lo_u32_b32 v110, v22, 0
	v_cmp_ne_u32_e64 s20, 0, v22
	v_cmp_eq_u32_e32 vcc_lo, 0, v110
	s_and_b32 s21, s20, vcc_lo
	s_and_saveexec_b32 s20, s21
	s_cbranch_execz .LBB1738_582
; %bb.581:                              ;   in Loop: Header=BB1738_558 Depth=2
	s_waitcnt lgkmcnt(0)
	v_bcnt_u32_b32 v22, v22, v109
	ds_write_b32 v112, v22 offset:1056
.LBB1738_582:                           ;   in Loop: Header=BB1738_558 Depth=2
	s_or_b32 exec_lo, exec_lo, s20
	v_cmp_gt_i16_e32 vcc_lo, 0, v27
	; wave barrier
	v_cndmask_b32_e64 v22, 0x7fff, 0, vcc_lo
	v_xor_b32_e32 v111, v22, v27
	v_cmp_ne_u16_e32 vcc_lo, 0x8000, v111
	v_cndmask_b32_e32 v22, 0x7fff, v111, vcc_lo
	v_lshrrev_b32_sdwa v22, s49, v22 dst_sel:DWORD dst_unused:UNUSED_PAD src0_sel:DWORD src1_sel:WORD_0
	v_and_b32_e32 v27, s43, v22
	v_and_b32_e32 v22, 1, v27
	v_lshlrev_b32_e32 v28, 30, v27
	v_lshlrev_b32_e32 v113, 29, v27
	;; [unrolled: 1-line block ×4, first 2 shown]
	v_add_co_u32 v22, s20, v22, -1
	v_cndmask_b32_e64 v115, 0, 1, s20
	v_not_b32_e32 v119, v28
	v_cmp_gt_i32_e64 s20, 0, v28
	v_not_b32_e32 v28, v113
	v_lshlrev_b32_e32 v117, 26, v27
	v_cmp_ne_u32_e32 vcc_lo, 0, v115
	v_ashrrev_i32_e32 v119, 31, v119
	v_lshlrev_b32_e32 v118, 25, v27
	v_ashrrev_i32_e32 v28, 31, v28
	v_lshlrev_b32_e32 v115, 24, v27
	v_xor_b32_e32 v22, vcc_lo, v22
	v_cmp_gt_i32_e32 vcc_lo, 0, v113
	v_not_b32_e32 v113, v114
	v_xor_b32_e32 v119, s20, v119
	v_cmp_gt_i32_e64 s20, 0, v114
	v_and_b32_e32 v22, exec_lo, v22
	v_not_b32_e32 v114, v116
	v_ashrrev_i32_e32 v113, 31, v113
	v_xor_b32_e32 v28, vcc_lo, v28
	v_cmp_gt_i32_e32 vcc_lo, 0, v116
	v_and_b32_e32 v22, v22, v119
	v_not_b32_e32 v116, v117
	v_ashrrev_i32_e32 v114, 31, v114
	v_xor_b32_e32 v113, s20, v113
	v_cmp_gt_i32_e64 s20, 0, v117
	v_and_b32_e32 v22, v22, v28
	v_not_b32_e32 v28, v118
	v_ashrrev_i32_e32 v116, 31, v116
	v_xor_b32_e32 v114, vcc_lo, v114
	v_cmp_gt_i32_e32 vcc_lo, 0, v118
	v_and_b32_e32 v22, v22, v113
	v_not_b32_e32 v113, v115
	v_ashrrev_i32_e32 v28, 31, v28
	v_xor_b32_e32 v116, s20, v116
	v_cmp_gt_i32_e64 s20, 0, v115
	v_and_b32_e32 v22, v22, v114
	v_ashrrev_i32_e32 v113, 31, v113
	v_xor_b32_e32 v28, vcc_lo, v28
	v_mad_u32_u24 v114, v27, 36, v96
	v_mul_u32_u24_e32 v27, 36, v27
	v_and_b32_e32 v22, v22, v116
	v_xor_b32_e32 v115, s20, v113
	ds_read_b32 v113, v114 offset:1056
	v_add_nc_u32_e32 v116, v96, v27
	v_and_b32_e32 v22, v22, v28
	; wave barrier
	v_and_b32_e32 v22, v22, v115
	v_mbcnt_lo_u32_b32 v115, v22, 0
	v_cmp_ne_u32_e64 s20, 0, v22
	v_cmp_eq_u32_e32 vcc_lo, 0, v115
	s_and_b32 s21, s20, vcc_lo
	s_and_saveexec_b32 s20, s21
	s_cbranch_execz .LBB1738_584
; %bb.583:                              ;   in Loop: Header=BB1738_558 Depth=2
	s_waitcnt lgkmcnt(0)
	v_bcnt_u32_b32 v22, v22, v113
	ds_write_b32 v116, v22 offset:1056
.LBB1738_584:                           ;   in Loop: Header=BB1738_558 Depth=2
	s_or_b32 exec_lo, exec_lo, s20
	v_cmp_gt_i16_e32 vcc_lo, 0, v26
	; wave barrier
	v_cndmask_b32_e64 v22, 0x7fff, 0, vcc_lo
	v_xor_b32_e32 v114, v22, v26
	v_cmp_ne_u16_e32 vcc_lo, 0x8000, v114
	v_cndmask_b32_e32 v22, 0x7fff, v114, vcc_lo
	v_lshrrev_b32_sdwa v22, s49, v22 dst_sel:DWORD dst_unused:UNUSED_PAD src0_sel:DWORD src1_sel:WORD_0
	v_and_b32_e32 v26, s43, v22
	v_and_b32_e32 v22, 1, v26
	v_lshlrev_b32_e32 v27, 30, v26
	v_lshlrev_b32_e32 v28, 29, v26
	;; [unrolled: 1-line block ×4, first 2 shown]
	v_add_co_u32 v22, s20, v22, -1
	v_cndmask_b32_e64 v118, 0, 1, s20
	v_not_b32_e32 v122, v27
	v_cmp_gt_i32_e64 s20, 0, v27
	v_not_b32_e32 v27, v28
	v_lshlrev_b32_e32 v120, 26, v26
	v_cmp_ne_u32_e32 vcc_lo, 0, v118
	v_ashrrev_i32_e32 v122, 31, v122
	v_lshlrev_b32_e32 v121, 25, v26
	v_ashrrev_i32_e32 v27, 31, v27
	v_lshlrev_b32_e32 v118, 24, v26
	v_xor_b32_e32 v22, vcc_lo, v22
	v_cmp_gt_i32_e32 vcc_lo, 0, v28
	v_not_b32_e32 v28, v117
	v_xor_b32_e32 v122, s20, v122
	v_cmp_gt_i32_e64 s20, 0, v117
	v_and_b32_e32 v22, exec_lo, v22
	v_not_b32_e32 v117, v119
	v_ashrrev_i32_e32 v28, 31, v28
	v_xor_b32_e32 v27, vcc_lo, v27
	v_cmp_gt_i32_e32 vcc_lo, 0, v119
	v_and_b32_e32 v22, v22, v122
	v_not_b32_e32 v119, v120
	v_ashrrev_i32_e32 v117, 31, v117
	v_xor_b32_e32 v28, s20, v28
	v_cmp_gt_i32_e64 s20, 0, v120
	v_and_b32_e32 v22, v22, v27
	v_not_b32_e32 v27, v121
	v_ashrrev_i32_e32 v119, 31, v119
	v_xor_b32_e32 v117, vcc_lo, v117
	v_cmp_gt_i32_e32 vcc_lo, 0, v121
	v_and_b32_e32 v22, v22, v28
	v_not_b32_e32 v28, v118
	v_ashrrev_i32_e32 v27, 31, v27
	v_xor_b32_e32 v119, s20, v119
	v_cmp_gt_i32_e64 s20, 0, v118
	v_and_b32_e32 v22, v22, v117
	v_ashrrev_i32_e32 v28, 31, v28
	v_xor_b32_e32 v27, vcc_lo, v27
	v_mad_u32_u24 v117, v26, 36, v96
	v_mul_u32_u24_e32 v26, 36, v26
	v_and_b32_e32 v22, v22, v119
	v_xor_b32_e32 v28, s20, v28
	ds_read_b32 v117, v117 offset:1056
	v_add_nc_u32_e32 v120, v96, v26
	v_and_b32_e32 v22, v22, v27
	; wave barrier
	v_and_b32_e32 v22, v22, v28
	v_mbcnt_lo_u32_b32 v119, v22, 0
	v_cmp_ne_u32_e64 s20, 0, v22
	v_cmp_eq_u32_e32 vcc_lo, 0, v119
	s_and_b32 s21, s20, vcc_lo
	s_and_saveexec_b32 s20, s21
	s_cbranch_execz .LBB1738_586
; %bb.585:                              ;   in Loop: Header=BB1738_558 Depth=2
	s_waitcnt lgkmcnt(0)
	v_bcnt_u32_b32 v22, v22, v117
	ds_write_b32 v120, v22 offset:1056
.LBB1738_586:                           ;   in Loop: Header=BB1738_558 Depth=2
	s_or_b32 exec_lo, exec_lo, s20
	v_cmp_gt_i16_e32 vcc_lo, 0, v25
	; wave barrier
	v_cndmask_b32_e64 v22, 0x7fff, 0, vcc_lo
	v_xor_b32_e32 v118, v22, v25
	v_cmp_ne_u16_e32 vcc_lo, 0x8000, v118
	v_cndmask_b32_e32 v22, 0x7fff, v118, vcc_lo
	v_lshrrev_b32_sdwa v22, s49, v22 dst_sel:DWORD dst_unused:UNUSED_PAD src0_sel:DWORD src1_sel:WORD_0
	v_and_b32_e32 v25, s43, v22
	v_and_b32_e32 v22, 1, v25
	v_lshlrev_b32_e32 v26, 30, v25
	v_lshlrev_b32_e32 v27, 29, v25
	;; [unrolled: 1-line block ×4, first 2 shown]
	v_add_co_u32 v22, s20, v22, -1
	v_cndmask_b32_e64 v121, 0, 1, s20
	v_not_b32_e32 v125, v26
	v_cmp_gt_i32_e64 s20, 0, v26
	v_not_b32_e32 v26, v27
	v_lshlrev_b32_e32 v123, 26, v25
	v_cmp_ne_u32_e32 vcc_lo, 0, v121
	v_ashrrev_i32_e32 v125, 31, v125
	v_lshlrev_b32_e32 v124, 25, v25
	v_ashrrev_i32_e32 v26, 31, v26
	v_lshlrev_b32_e32 v121, 24, v25
	v_xor_b32_e32 v22, vcc_lo, v22
	v_cmp_gt_i32_e32 vcc_lo, 0, v27
	v_not_b32_e32 v27, v28
	v_xor_b32_e32 v125, s20, v125
	v_cmp_gt_i32_e64 s20, 0, v28
	v_and_b32_e32 v22, exec_lo, v22
	v_not_b32_e32 v28, v122
	v_ashrrev_i32_e32 v27, 31, v27
	v_xor_b32_e32 v26, vcc_lo, v26
	v_cmp_gt_i32_e32 vcc_lo, 0, v122
	v_and_b32_e32 v22, v22, v125
	v_not_b32_e32 v122, v123
	v_ashrrev_i32_e32 v28, 31, v28
	v_xor_b32_e32 v27, s20, v27
	v_cmp_gt_i32_e64 s20, 0, v123
	v_and_b32_e32 v22, v22, v26
	v_not_b32_e32 v26, v124
	v_ashrrev_i32_e32 v122, 31, v122
	v_xor_b32_e32 v28, vcc_lo, v28
	v_cmp_gt_i32_e32 vcc_lo, 0, v124
	v_and_b32_e32 v22, v22, v27
	v_not_b32_e32 v27, v121
	v_ashrrev_i32_e32 v26, 31, v26
	v_xor_b32_e32 v122, s20, v122
	v_cmp_gt_i32_e64 s20, 0, v121
	v_and_b32_e32 v22, v22, v28
	v_ashrrev_i32_e32 v27, 31, v27
	v_xor_b32_e32 v26, vcc_lo, v26
	v_mad_u32_u24 v28, v25, 36, v96
	v_mul_u32_u24_e32 v25, 36, v25
	v_and_b32_e32 v22, v22, v122
	v_xor_b32_e32 v27, s20, v27
	ds_read_b32 v121, v28 offset:1056
	v_add_nc_u32_e32 v124, v96, v25
	v_and_b32_e32 v22, v22, v26
	; wave barrier
	v_and_b32_e32 v22, v22, v27
	v_mbcnt_lo_u32_b32 v123, v22, 0
	v_cmp_ne_u32_e64 s20, 0, v22
	v_cmp_eq_u32_e32 vcc_lo, 0, v123
	s_and_b32 s21, s20, vcc_lo
	s_and_saveexec_b32 s20, s21
	s_cbranch_execz .LBB1738_588
; %bb.587:                              ;   in Loop: Header=BB1738_558 Depth=2
	s_waitcnt lgkmcnt(0)
	v_bcnt_u32_b32 v22, v22, v121
	ds_write_b32 v124, v22 offset:1056
.LBB1738_588:                           ;   in Loop: Header=BB1738_558 Depth=2
	s_or_b32 exec_lo, exec_lo, s20
	v_cmp_gt_i16_e32 vcc_lo, 0, v24
	; wave barrier
	v_cndmask_b32_e64 v22, 0x7fff, 0, vcc_lo
	v_xor_b32_e32 v122, v22, v24
	v_cmp_ne_u16_e32 vcc_lo, 0x8000, v122
	v_cndmask_b32_e32 v22, 0x7fff, v122, vcc_lo
	v_lshrrev_b32_sdwa v22, s49, v22 dst_sel:DWORD dst_unused:UNUSED_PAD src0_sel:DWORD src1_sel:WORD_0
	v_and_b32_e32 v24, s43, v22
	v_and_b32_e32 v22, 1, v24
	v_lshlrev_b32_e32 v25, 30, v24
	v_lshlrev_b32_e32 v26, 29, v24
	;; [unrolled: 1-line block ×4, first 2 shown]
	v_add_co_u32 v22, s20, v22, -1
	v_cndmask_b32_e64 v28, 0, 1, s20
	v_not_b32_e32 v128, v25
	v_cmp_gt_i32_e64 s20, 0, v25
	v_not_b32_e32 v25, v26
	v_lshlrev_b32_e32 v126, 26, v24
	v_cmp_ne_u32_e32 vcc_lo, 0, v28
	v_ashrrev_i32_e32 v128, 31, v128
	v_lshlrev_b32_e32 v127, 25, v24
	v_ashrrev_i32_e32 v25, 31, v25
	v_lshlrev_b32_e32 v28, 24, v24
	v_xor_b32_e32 v22, vcc_lo, v22
	v_cmp_gt_i32_e32 vcc_lo, 0, v26
	v_not_b32_e32 v26, v27
	v_xor_b32_e32 v128, s20, v128
	v_cmp_gt_i32_e64 s20, 0, v27
	v_and_b32_e32 v22, exec_lo, v22
	v_not_b32_e32 v27, v125
	v_ashrrev_i32_e32 v26, 31, v26
	v_xor_b32_e32 v25, vcc_lo, v25
	v_cmp_gt_i32_e32 vcc_lo, 0, v125
	v_and_b32_e32 v22, v22, v128
	v_not_b32_e32 v125, v126
	v_ashrrev_i32_e32 v27, 31, v27
	v_xor_b32_e32 v26, s20, v26
	v_cmp_gt_i32_e64 s20, 0, v126
	v_and_b32_e32 v22, v22, v25
	v_not_b32_e32 v25, v127
	v_ashrrev_i32_e32 v125, 31, v125
	v_xor_b32_e32 v27, vcc_lo, v27
	v_cmp_gt_i32_e32 vcc_lo, 0, v127
	v_and_b32_e32 v22, v22, v26
	v_not_b32_e32 v26, v28
	v_ashrrev_i32_e32 v25, 31, v25
	v_xor_b32_e32 v125, s20, v125
	v_cmp_gt_i32_e64 s20, 0, v28
	v_and_b32_e32 v22, v22, v27
	v_ashrrev_i32_e32 v26, 31, v26
	v_xor_b32_e32 v25, vcc_lo, v25
	v_mad_u32_u24 v27, v24, 36, v96
	v_mul_u32_u24_e32 v24, 36, v24
	v_and_b32_e32 v22, v22, v125
	v_xor_b32_e32 v26, s20, v26
	ds_read_b32 v125, v27 offset:1056
	v_add_nc_u32_e32 v128, v96, v24
	v_and_b32_e32 v22, v22, v25
	; wave barrier
	v_and_b32_e32 v22, v22, v26
	v_mbcnt_lo_u32_b32 v127, v22, 0
	v_cmp_ne_u32_e64 s20, 0, v22
	v_cmp_eq_u32_e32 vcc_lo, 0, v127
	s_and_b32 s21, s20, vcc_lo
	s_and_saveexec_b32 s20, s21
	s_cbranch_execz .LBB1738_590
; %bb.589:                              ;   in Loop: Header=BB1738_558 Depth=2
	s_waitcnt lgkmcnt(0)
	v_bcnt_u32_b32 v22, v22, v125
	ds_write_b32 v128, v22 offset:1056
.LBB1738_590:                           ;   in Loop: Header=BB1738_558 Depth=2
	s_or_b32 exec_lo, exec_lo, s20
	v_cmp_gt_i16_e32 vcc_lo, 0, v23
	; wave barrier
	v_cndmask_b32_e64 v22, 0x7fff, 0, vcc_lo
	v_xor_b32_e32 v126, v22, v23
	v_cmp_ne_u16_e32 vcc_lo, 0x8000, v126
	v_cndmask_b32_e32 v22, 0x7fff, v126, vcc_lo
	v_lshrrev_b32_sdwa v22, s49, v22 dst_sel:DWORD dst_unused:UNUSED_PAD src0_sel:DWORD src1_sel:WORD_0
	v_and_b32_e32 v23, s43, v22
	v_and_b32_e32 v22, 1, v23
	v_lshlrev_b32_e32 v24, 30, v23
	v_lshlrev_b32_e32 v25, 29, v23
	;; [unrolled: 1-line block ×4, first 2 shown]
	v_add_co_u32 v22, s20, v22, -1
	v_cndmask_b32_e64 v27, 0, 1, s20
	v_not_b32_e32 v131, v24
	v_cmp_gt_i32_e64 s20, 0, v24
	v_not_b32_e32 v24, v25
	v_lshlrev_b32_e32 v129, 26, v23
	v_cmp_ne_u32_e32 vcc_lo, 0, v27
	v_ashrrev_i32_e32 v131, 31, v131
	v_lshlrev_b32_e32 v130, 25, v23
	v_ashrrev_i32_e32 v24, 31, v24
	v_lshlrev_b32_e32 v27, 24, v23
	v_xor_b32_e32 v22, vcc_lo, v22
	v_cmp_gt_i32_e32 vcc_lo, 0, v25
	v_not_b32_e32 v25, v26
	v_xor_b32_e32 v131, s20, v131
	v_cmp_gt_i32_e64 s20, 0, v26
	v_and_b32_e32 v22, exec_lo, v22
	v_not_b32_e32 v26, v28
	v_ashrrev_i32_e32 v25, 31, v25
	v_xor_b32_e32 v24, vcc_lo, v24
	v_cmp_gt_i32_e32 vcc_lo, 0, v28
	v_and_b32_e32 v22, v22, v131
	v_not_b32_e32 v28, v129
	v_ashrrev_i32_e32 v26, 31, v26
	v_xor_b32_e32 v25, s20, v25
	v_cmp_gt_i32_e64 s20, 0, v129
	v_and_b32_e32 v22, v22, v24
	v_not_b32_e32 v24, v130
	v_ashrrev_i32_e32 v28, 31, v28
	v_xor_b32_e32 v26, vcc_lo, v26
	v_cmp_gt_i32_e32 vcc_lo, 0, v130
	v_and_b32_e32 v22, v22, v25
	v_not_b32_e32 v25, v27
	v_ashrrev_i32_e32 v24, 31, v24
	v_xor_b32_e32 v28, s20, v28
	v_cmp_gt_i32_e64 s20, 0, v27
	v_and_b32_e32 v22, v22, v26
	v_ashrrev_i32_e32 v25, 31, v25
	v_xor_b32_e32 v24, vcc_lo, v24
	v_mad_u32_u24 v26, v23, 36, v96
	v_mul_u32_u24_e32 v23, 36, v23
	v_and_b32_e32 v22, v22, v28
	v_xor_b32_e32 v25, s20, v25
	ds_read_b32 v129, v26 offset:1056
	v_add_nc_u32_e32 v132, v96, v23
	v_and_b32_e32 v22, v22, v24
	; wave barrier
	v_and_b32_e32 v22, v22, v25
	v_mbcnt_lo_u32_b32 v131, v22, 0
	v_cmp_ne_u32_e64 s20, 0, v22
	v_cmp_eq_u32_e32 vcc_lo, 0, v131
	s_and_b32 s21, s20, vcc_lo
	s_and_saveexec_b32 s20, s21
	s_cbranch_execz .LBB1738_592
; %bb.591:                              ;   in Loop: Header=BB1738_558 Depth=2
	s_waitcnt lgkmcnt(0)
	v_bcnt_u32_b32 v22, v22, v129
	ds_write_b32 v132, v22 offset:1056
.LBB1738_592:                           ;   in Loop: Header=BB1738_558 Depth=2
	s_or_b32 exec_lo, exec_lo, s20
	v_cmp_gt_i16_e32 vcc_lo, 0, v21
	; wave barrier
	v_cndmask_b32_e64 v22, 0x7fff, 0, vcc_lo
	v_xor_b32_e32 v130, v22, v21
	v_cmp_ne_u16_e32 vcc_lo, 0x8000, v130
	v_cndmask_b32_e32 v21, 0x7fff, v130, vcc_lo
	v_lshrrev_b32_sdwa v21, s49, v21 dst_sel:DWORD dst_unused:UNUSED_PAD src0_sel:DWORD src1_sel:WORD_0
	v_and_b32_e32 v22, s43, v21
	v_and_b32_e32 v21, 1, v22
	v_lshlrev_b32_e32 v23, 30, v22
	v_lshlrev_b32_e32 v24, 29, v22
	;; [unrolled: 1-line block ×4, first 2 shown]
	v_add_co_u32 v21, s20, v21, -1
	v_cndmask_b32_e64 v26, 0, 1, s20
	v_not_b32_e32 v134, v23
	v_cmp_gt_i32_e64 s20, 0, v23
	v_not_b32_e32 v23, v24
	v_lshlrev_b32_e32 v28, 26, v22
	v_cmp_ne_u32_e32 vcc_lo, 0, v26
	v_ashrrev_i32_e32 v134, 31, v134
	v_lshlrev_b32_e32 v133, 25, v22
	v_ashrrev_i32_e32 v23, 31, v23
	v_lshlrev_b32_e32 v26, 24, v22
	v_xor_b32_e32 v21, vcc_lo, v21
	v_cmp_gt_i32_e32 vcc_lo, 0, v24
	v_not_b32_e32 v24, v25
	v_xor_b32_e32 v134, s20, v134
	v_cmp_gt_i32_e64 s20, 0, v25
	v_and_b32_e32 v21, exec_lo, v21
	v_not_b32_e32 v25, v27
	v_ashrrev_i32_e32 v24, 31, v24
	v_xor_b32_e32 v23, vcc_lo, v23
	v_cmp_gt_i32_e32 vcc_lo, 0, v27
	v_and_b32_e32 v21, v21, v134
	v_not_b32_e32 v27, v28
	v_ashrrev_i32_e32 v25, 31, v25
	v_xor_b32_e32 v24, s20, v24
	v_cmp_gt_i32_e64 s20, 0, v28
	v_and_b32_e32 v21, v21, v23
	v_not_b32_e32 v23, v133
	v_ashrrev_i32_e32 v27, 31, v27
	v_xor_b32_e32 v25, vcc_lo, v25
	v_cmp_gt_i32_e32 vcc_lo, 0, v133
	v_and_b32_e32 v21, v21, v24
	v_not_b32_e32 v24, v26
	v_ashrrev_i32_e32 v23, 31, v23
	v_xor_b32_e32 v27, s20, v27
	v_cmp_gt_i32_e64 s20, 0, v26
	v_and_b32_e32 v21, v21, v25
	v_ashrrev_i32_e32 v24, 31, v24
	v_xor_b32_e32 v23, vcc_lo, v23
	v_mad_u32_u24 v25, v22, 36, v96
	v_mul_u32_u24_e32 v22, 36, v22
	v_and_b32_e32 v21, v21, v27
	v_xor_b32_e32 v24, s20, v24
	ds_read_b32 v133, v25 offset:1056
	v_add_nc_u32_e32 v135, v96, v22
	v_and_b32_e32 v21, v21, v23
	; wave barrier
	v_and_b32_e32 v21, v21, v24
	v_mbcnt_lo_u32_b32 v134, v21, 0
	v_cmp_ne_u32_e64 s20, 0, v21
	v_cmp_eq_u32_e32 vcc_lo, 0, v134
	s_and_b32 s21, s20, vcc_lo
	s_and_saveexec_b32 s20, s21
	s_cbranch_execz .LBB1738_594
; %bb.593:                              ;   in Loop: Header=BB1738_558 Depth=2
	s_waitcnt lgkmcnt(0)
	v_bcnt_u32_b32 v21, v21, v133
	ds_write_b32 v135, v21 offset:1056
.LBB1738_594:                           ;   in Loop: Header=BB1738_558 Depth=2
	s_or_b32 exec_lo, exec_lo, s20
	; wave barrier
	s_waitcnt lgkmcnt(0)
	s_barrier
	buffer_gl0_inv
	ds_read2_b32 v[27:28], v78 offset1:1
	ds_read2_b32 v[25:26], v88 offset1:1
	;; [unrolled: 1-line block ×4, first 2 shown]
	ds_read_b32 v136, v44 offset:1088
	s_waitcnt lgkmcnt(3)
	v_add3_u32 v137, v28, v27, v25
	s_waitcnt lgkmcnt(2)
	v_add3_u32 v137, v137, v26, v23
	;; [unrolled: 2-line block ×4, first 2 shown]
	v_mov_b32_dpp v137, v136 row_shr:1 row_mask:0xf bank_mask:0xf
	v_cndmask_b32_e64 v137, v137, 0, s5
	v_add_nc_u32_e32 v136, v137, v136
	v_mov_b32_dpp v137, v136 row_shr:2 row_mask:0xf bank_mask:0xf
	v_cndmask_b32_e64 v137, 0, v137, s13
	v_add_nc_u32_e32 v136, v136, v137
	;; [unrolled: 3-line block ×4, first 2 shown]
	ds_swizzle_b32 v137, v136 offset:swizzle(BROADCAST,32,15)
	s_waitcnt lgkmcnt(0)
	v_cndmask_b32_e64 v137, v137, 0, s16
	v_add_nc_u32_e32 v136, v136, v137
	s_and_saveexec_b32 s20, s8
; %bb.595:                              ;   in Loop: Header=BB1738_558 Depth=2
	ds_write_b32 v39, v136 offset:1024
; %bb.596:                              ;   in Loop: Header=BB1738_558 Depth=2
	s_or_b32 exec_lo, exec_lo, s20
	s_waitcnt lgkmcnt(0)
	s_barrier
	buffer_gl0_inv
	s_and_saveexec_b32 s20, s9
	s_cbranch_execz .LBB1738_598
; %bb.597:                              ;   in Loop: Header=BB1738_558 Depth=2
	ds_read_b32 v137, v46 offset:1024
	s_waitcnt lgkmcnt(0)
	v_mov_b32_dpp v138, v137 row_shr:1 row_mask:0xf bank_mask:0xf
	v_cndmask_b32_e64 v138, v138, 0, s17
	v_add_nc_u32_e32 v137, v138, v137
	v_mov_b32_dpp v138, v137 row_shr:2 row_mask:0xf bank_mask:0xf
	v_cndmask_b32_e64 v138, 0, v138, s18
	v_add_nc_u32_e32 v137, v137, v138
	;; [unrolled: 3-line block ×3, first 2 shown]
	ds_write_b32 v46, v137 offset:1024
.LBB1738_598:                           ;   in Loop: Header=BB1738_558 Depth=2
	s_or_b32 exec_lo, exec_lo, s20
	v_mov_b32_e32 v137, 0
	s_waitcnt lgkmcnt(0)
	s_barrier
	buffer_gl0_inv
	s_and_saveexec_b32 s20, s10
; %bb.599:                              ;   in Loop: Header=BB1738_558 Depth=2
	ds_read_b32 v137, v39 offset:1020
; %bb.600:                              ;   in Loop: Header=BB1738_558 Depth=2
	s_or_b32 exec_lo, exec_lo, s20
	s_waitcnt lgkmcnt(0)
	v_add_nc_u32_e32 v136, v137, v136
	ds_bpermute_b32 v136, v91, v136
	s_waitcnt lgkmcnt(0)
	v_cndmask_b32_e64 v136, v136, v137, s12
	v_cndmask_b32_e64 v136, v136, 0, s4
	v_add_nc_u32_e32 v27, v136, v27
	v_add_nc_u32_e32 v28, v27, v28
	;; [unrolled: 1-line block ×8, first 2 shown]
	ds_write2_b32 v78, v136, v27 offset1:1
	ds_write2_b32 v88, v28, v25 offset1:1
	;; [unrolled: 1-line block ×4, first 2 shown]
	ds_write_b32 v44, v22 offset:1088
	s_waitcnt lgkmcnt(0)
	s_barrier
	buffer_gl0_inv
	ds_read_b32 v24, v108 offset:1056
	ds_read_b32 v25, v112 offset:1056
	;; [unrolled: 1-line block ×9, first 2 shown]
	v_mov_b32_e32 v23, 0x800
	s_and_saveexec_b32 s20, s11
; %bb.601:                              ;   in Loop: Header=BB1738_558 Depth=2
	ds_read_b32 v23, v44 offset:1092
; %bb.602:                              ;   in Loop: Header=BB1738_558 Depth=2
	s_or_b32 exec_lo, exec_lo, s20
	s_waitcnt lgkmcnt(0)
	s_barrier
	buffer_gl0_inv
	s_and_saveexec_b32 s20, s7
	s_cbranch_execz .LBB1738_604
; %bb.603:                              ;   in Loop: Header=BB1738_558 Depth=2
	ds_read_b32 v112, v29
	s_waitcnt lgkmcnt(0)
	v_sub_nc_u32_e32 v108, v112, v108
	ds_write_b32 v29, v108
.LBB1738_604:                           ;   in Loop: Header=BB1738_558 Depth=2
	s_or_b32 exec_lo, exec_lo, s20
	v_add_nc_u32_e32 v112, v24, v106
	v_add3_u32 v108, v110, v109, v25
	v_add3_u32 v106, v115, v113, v26
	;; [unrolled: 1-line block ×4, first 2 shown]
	v_lshlrev_b32_e32 v109, 1, v112
	v_lshlrev_b32_e32 v110, 1, v108
	v_add3_u32 v27, v131, v129, v22
	v_lshlrev_b32_e32 v22, 1, v106
	v_add3_u32 v28, v134, v133, v21
	ds_write_b16 v109, v3 offset:1024
	ds_write_b16 v110, v107 offset:1024
	v_lshlrev_b32_e32 v3, 1, v26
	v_add3_u32 v24, v127, v125, v116
	ds_write_b16 v22, v111 offset:1024
	v_lshlrev_b32_e32 v21, 1, v25
	v_cmp_lt_u32_e32 vcc_lo, v0, v105
	ds_write_b16 v3, v114 offset:1024
	v_lshlrev_b32_e32 v3, 1, v28
	v_lshlrev_b32_e32 v22, 1, v24
	;; [unrolled: 1-line block ×3, first 2 shown]
	ds_write_b16 v21, v118 offset:1024
	ds_write_b16 v22, v122 offset:1024
	;; [unrolled: 1-line block ×4, first 2 shown]
	s_waitcnt lgkmcnt(0)
	s_barrier
	buffer_gl0_inv
	s_and_saveexec_b32 s21, vcc_lo
	s_cbranch_execnz .LBB1738_641
; %bb.605:                              ;   in Loop: Header=BB1738_558 Depth=2
	s_or_b32 exec_lo, exec_lo, s21
	v_cmp_lt_u32_e64 s20, v30, v105
	s_and_saveexec_b32 s22, s20
	s_cbranch_execnz .LBB1738_642
.LBB1738_606:                           ;   in Loop: Header=BB1738_558 Depth=2
	s_or_b32 exec_lo, exec_lo, s22
	v_cmp_lt_u32_e64 s21, v31, v105
	s_and_saveexec_b32 s23, s21
	s_cbranch_execnz .LBB1738_643
.LBB1738_607:                           ;   in Loop: Header=BB1738_558 Depth=2
	s_or_b32 exec_lo, exec_lo, s23
	v_cmp_lt_u32_e64 s22, v32, v105
	s_and_saveexec_b32 s24, s22
	s_cbranch_execnz .LBB1738_644
.LBB1738_608:                           ;   in Loop: Header=BB1738_558 Depth=2
	s_or_b32 exec_lo, exec_lo, s24
	v_cmp_lt_u32_e64 s23, v35, v105
	s_and_saveexec_b32 s25, s23
	s_cbranch_execnz .LBB1738_645
.LBB1738_609:                           ;   in Loop: Header=BB1738_558 Depth=2
	s_or_b32 exec_lo, exec_lo, s25
	v_cmp_lt_u32_e64 s24, v36, v105
	s_and_saveexec_b32 s26, s24
	s_cbranch_execnz .LBB1738_646
.LBB1738_610:                           ;   in Loop: Header=BB1738_558 Depth=2
	s_or_b32 exec_lo, exec_lo, s26
	v_cmp_lt_u32_e64 s25, v37, v105
	s_and_saveexec_b32 s28, s25
	s_cbranch_execnz .LBB1738_647
.LBB1738_611:                           ;   in Loop: Header=BB1738_558 Depth=2
	s_or_b32 exec_lo, exec_lo, s28
	v_cmp_lt_u32_e64 s26, v38, v105
	s_and_saveexec_b32 s54, s26
	s_cbranch_execz .LBB1738_613
.LBB1738_612:                           ;   in Loop: Header=BB1738_558 Depth=2
	ds_read_u16 v107, v47 offset:4608
	s_waitcnt lgkmcnt(0)
	v_cmp_ne_u16_e64 s28, 0x8000, v107
	v_cndmask_b32_e64 v3, 0x7fff, v107, s28
	v_cmp_gt_i16_e64 s28, 0, v107
	v_lshrrev_b32_sdwa v3, s49, v3 dst_sel:DWORD dst_unused:UNUSED_PAD src0_sel:DWORD src1_sel:WORD_0
	v_cndmask_b32_e64 v109, 0x7fff, 0, s28
	v_and_b32_e32 v3, s43, v3
	v_lshlrev_b32_e32 v3, 2, v3
	ds_read_b32 v3, v3
	s_waitcnt lgkmcnt(0)
	v_add_nc_u32_e32 v3, v3, v38
	v_lshlrev_b64 v[21:22], 1, v[3:4]
	v_xor_b32_e32 v3, v109, v107
	v_add_co_u32 v21, s28, s40, v21
	v_add_co_ci_u32_e64 v22, null, s41, v22, s28
	global_store_short v[21:22], v3, off
.LBB1738_613:                           ;   in Loop: Header=BB1738_558 Depth=2
	s_or_b32 exec_lo, exec_lo, s54
	s_lshl_b64 s[54:55], s[34:35], 3
	v_add_co_u32 v21, s28, v92, s54
	v_add_co_ci_u32_e64 v22, null, s55, v93, s28
	v_cmp_lt_u32_e64 s28, v66, v105
	s_and_saveexec_b32 s34, s28
	s_xor_b32 s28, exec_lo, s34
	s_cbranch_execnz .LBB1738_648
; %bb.614:                              ;   in Loop: Header=BB1738_558 Depth=2
	s_or_b32 exec_lo, exec_lo, s28
	s_mov_b32 s34, exec_lo
	v_cmpx_lt_u32_e64 v70, v105
	s_cbranch_execnz .LBB1738_649
.LBB1738_615:                           ;   in Loop: Header=BB1738_558 Depth=2
	s_or_b32 exec_lo, exec_lo, s34
	s_mov_b32 s34, exec_lo
	v_cmpx_lt_u32_e64 v71, v105
	s_cbranch_execnz .LBB1738_650
.LBB1738_616:                           ;   in Loop: Header=BB1738_558 Depth=2
	s_or_b32 exec_lo, exec_lo, s34
	s_mov_b32 s34, exec_lo
	v_cmpx_lt_u32_e64 v72, v105
	s_cbranch_execnz .LBB1738_651
.LBB1738_617:                           ;   in Loop: Header=BB1738_558 Depth=2
	s_or_b32 exec_lo, exec_lo, s34
	s_mov_b32 s34, exec_lo
	v_cmpx_lt_u32_e64 v73, v105
	s_cbranch_execnz .LBB1738_652
.LBB1738_618:                           ;   in Loop: Header=BB1738_558 Depth=2
	s_or_b32 exec_lo, exec_lo, s34
	s_mov_b32 s34, exec_lo
	v_cmpx_lt_u32_e64 v74, v105
	s_cbranch_execnz .LBB1738_653
.LBB1738_619:                           ;   in Loop: Header=BB1738_558 Depth=2
	s_or_b32 exec_lo, exec_lo, s34
	s_mov_b32 s34, exec_lo
	v_cmpx_lt_u32_e64 v75, v105
	s_cbranch_execnz .LBB1738_654
.LBB1738_620:                           ;   in Loop: Header=BB1738_558 Depth=2
	s_or_b32 exec_lo, exec_lo, s34
	s_mov_b32 s34, exec_lo
	v_cmpx_lt_u32_e64 v76, v105
	s_cbranch_execnz .LBB1738_655
.LBB1738_621:                           ;   in Loop: Header=BB1738_558 Depth=2
	s_or_b32 exec_lo, exec_lo, s34
	s_and_saveexec_b32 s34, vcc_lo
	s_cbranch_execnz .LBB1738_656
.LBB1738_622:                           ;   in Loop: Header=BB1738_558 Depth=2
	s_or_b32 exec_lo, exec_lo, s34
	s_and_saveexec_b32 s34, s20
	s_cbranch_execnz .LBB1738_657
.LBB1738_623:                           ;   in Loop: Header=BB1738_558 Depth=2
	s_or_b32 exec_lo, exec_lo, s34
	s_and_saveexec_b32 s34, s21
	s_cbranch_execnz .LBB1738_658
.LBB1738_624:                           ;   in Loop: Header=BB1738_558 Depth=2
	s_or_b32 exec_lo, exec_lo, s34
	s_and_saveexec_b32 s34, s22
	s_cbranch_execnz .LBB1738_659
.LBB1738_625:                           ;   in Loop: Header=BB1738_558 Depth=2
	s_or_b32 exec_lo, exec_lo, s34
	s_and_saveexec_b32 s34, s23
	s_cbranch_execnz .LBB1738_660
.LBB1738_626:                           ;   in Loop: Header=BB1738_558 Depth=2
	s_or_b32 exec_lo, exec_lo, s34
	s_and_saveexec_b32 s34, s24
	s_cbranch_execnz .LBB1738_661
.LBB1738_627:                           ;   in Loop: Header=BB1738_558 Depth=2
	s_or_b32 exec_lo, exec_lo, s34
	s_and_saveexec_b32 s34, s25
	s_cbranch_execnz .LBB1738_662
.LBB1738_628:                           ;   in Loop: Header=BB1738_558 Depth=2
	s_or_b32 exec_lo, exec_lo, s34
	s_and_saveexec_b32 s34, s26
	s_cbranch_execz .LBB1738_630
.LBB1738_629:                           ;   in Loop: Header=BB1738_558 Depth=2
	ds_read_u16 v3, v47 offset:4608
	s_waitcnt lgkmcnt(0)
	v_cmp_ne_u16_e64 s28, 0x8000, v3
	v_cndmask_b32_e64 v3, 0x7fff, v3, s28
	v_lshrrev_b32_sdwa v3, s49, v3 dst_sel:DWORD dst_unused:UNUSED_PAD src0_sel:DWORD src1_sel:WORD_0
	v_and_b32_e32 v97, s43, v3
.LBB1738_630:                           ;   in Loop: Header=BB1738_558 Depth=2
	s_or_b32 exec_lo, exec_lo, s34
	v_lshlrev_b32_e32 v3, 3, v112
	v_lshlrev_b32_e32 v21, 3, v108
	;; [unrolled: 1-line block ×3, first 2 shown]
	s_waitcnt vmcnt(0)
	s_waitcnt_vscnt null, 0x0
	s_barrier
	buffer_gl0_inv
	ds_write_b64 v3, v[19:20] offset:1024
	ds_write_b64 v21, v[17:18] offset:1024
	v_lshlrev_b32_e32 v3, 3, v26
	v_lshlrev_b32_e32 v21, 3, v25
	ds_write_b64 v22, v[15:16] offset:1024
	v_lshlrev_b32_e32 v22, 3, v24
	v_lshlrev_b32_e32 v24, 3, v27
	ds_write_b64 v3, v[13:14] offset:1024
	v_lshlrev_b32_e32 v3, 3, v28
	ds_write_b64 v21, v[11:12] offset:1024
	ds_write_b64 v22, v[9:10] offset:1024
	ds_write_b64 v24, v[7:8] offset:1024
	v_add_nc_u32_e32 v21, v47, v48
	ds_write_b64 v3, v[5:6] offset:1024
	s_waitcnt lgkmcnt(0)
	s_barrier
	buffer_gl0_inv
	s_and_saveexec_b32 s28, vcc_lo
	s_cbranch_execnz .LBB1738_663
; %bb.631:                              ;   in Loop: Header=BB1738_558 Depth=2
	s_or_b32 exec_lo, exec_lo, s28
	s_and_saveexec_b32 s28, s20
	s_cbranch_execnz .LBB1738_664
.LBB1738_632:                           ;   in Loop: Header=BB1738_558 Depth=2
	s_or_b32 exec_lo, exec_lo, s28
	s_and_saveexec_b32 s20, s21
	s_cbranch_execnz .LBB1738_665
.LBB1738_633:                           ;   in Loop: Header=BB1738_558 Depth=2
	s_or_b32 exec_lo, exec_lo, s20
	s_and_saveexec_b32 s20, s22
	s_cbranch_execnz .LBB1738_666
.LBB1738_634:                           ;   in Loop: Header=BB1738_558 Depth=2
	s_or_b32 exec_lo, exec_lo, s20
	s_and_saveexec_b32 s20, s23
	s_cbranch_execnz .LBB1738_667
.LBB1738_635:                           ;   in Loop: Header=BB1738_558 Depth=2
	s_or_b32 exec_lo, exec_lo, s20
	s_and_saveexec_b32 s20, s24
	s_cbranch_execnz .LBB1738_668
.LBB1738_636:                           ;   in Loop: Header=BB1738_558 Depth=2
	s_or_b32 exec_lo, exec_lo, s20
	s_and_saveexec_b32 s20, s25
	s_cbranch_execnz .LBB1738_669
.LBB1738_637:                           ;   in Loop: Header=BB1738_558 Depth=2
	s_or_b32 exec_lo, exec_lo, s20
	s_and_saveexec_b32 s20, s26
	s_cbranch_execz .LBB1738_639
.LBB1738_638:                           ;   in Loop: Header=BB1738_558 Depth=2
	v_lshlrev_b32_e32 v3, 2, v97
	ds_read_b32 v3, v3
	ds_read_b64 v[21:22], v21 offset:15360
	s_waitcnt lgkmcnt(1)
	v_add_nc_u32_e32 v3, v3, v38
	v_lshlrev_b64 v[24:25], 3, v[3:4]
	v_add_co_u32 v24, vcc_lo, s46, v24
	v_add_co_ci_u32_e64 v25, null, s47, v25, vcc_lo
	s_waitcnt lgkmcnt(0)
	global_store_dwordx2 v[24:25], v[21:22], off
.LBB1738_639:                           ;   in Loop: Header=BB1738_558 Depth=2
	s_or_b32 exec_lo, exec_lo, s20
	s_waitcnt_vscnt null, 0x0
	s_barrier
	buffer_gl0_inv
	s_and_saveexec_b32 s20, s7
	s_cbranch_execz .LBB1738_557
; %bb.640:                              ;   in Loop: Header=BB1738_558 Depth=2
	ds_read_b32 v3, v29
	s_waitcnt lgkmcnt(0)
	v_add_nc_u32_e32 v3, v3, v23
	ds_write_b32 v29, v3
	s_branch .LBB1738_557
.LBB1738_641:                           ;   in Loop: Header=BB1738_558 Depth=2
	ds_read_u16 v107, v47 offset:1024
	s_waitcnt lgkmcnt(0)
	v_cmp_ne_u16_e64 s20, 0x8000, v107
	v_cndmask_b32_e64 v3, 0x7fff, v107, s20
	v_cmp_gt_i16_e64 s20, 0, v107
	v_lshrrev_b32_sdwa v3, s49, v3 dst_sel:DWORD dst_unused:UNUSED_PAD src0_sel:DWORD src1_sel:WORD_0
	v_cndmask_b32_e64 v109, 0x7fff, 0, s20
	v_and_b32_e32 v3, s43, v3
	v_lshlrev_b32_e32 v3, 2, v3
	ds_read_b32 v3, v3
	s_waitcnt lgkmcnt(0)
	v_add_nc_u32_e32 v3, v3, v0
	v_lshlrev_b64 v[21:22], 1, v[3:4]
	v_xor_b32_e32 v3, v109, v107
	v_add_co_u32 v21, s20, s40, v21
	v_add_co_ci_u32_e64 v22, null, s41, v22, s20
	global_store_short v[21:22], v3, off
	s_or_b32 exec_lo, exec_lo, s21
	v_cmp_lt_u32_e64 s20, v30, v105
	s_and_saveexec_b32 s22, s20
	s_cbranch_execz .LBB1738_606
.LBB1738_642:                           ;   in Loop: Header=BB1738_558 Depth=2
	ds_read_u16 v107, v47 offset:1536
	s_waitcnt lgkmcnt(0)
	v_cmp_ne_u16_e64 s21, 0x8000, v107
	v_cndmask_b32_e64 v3, 0x7fff, v107, s21
	v_cmp_gt_i16_e64 s21, 0, v107
	v_lshrrev_b32_sdwa v3, s49, v3 dst_sel:DWORD dst_unused:UNUSED_PAD src0_sel:DWORD src1_sel:WORD_0
	v_cndmask_b32_e64 v109, 0x7fff, 0, s21
	v_and_b32_e32 v3, s43, v3
	v_lshlrev_b32_e32 v3, 2, v3
	ds_read_b32 v3, v3
	s_waitcnt lgkmcnt(0)
	v_add_nc_u32_e32 v3, v3, v30
	v_lshlrev_b64 v[21:22], 1, v[3:4]
	v_xor_b32_e32 v3, v109, v107
	v_add_co_u32 v21, s21, s40, v21
	v_add_co_ci_u32_e64 v22, null, s41, v22, s21
	global_store_short v[21:22], v3, off
	s_or_b32 exec_lo, exec_lo, s22
	v_cmp_lt_u32_e64 s21, v31, v105
	s_and_saveexec_b32 s23, s21
	s_cbranch_execz .LBB1738_607
.LBB1738_643:                           ;   in Loop: Header=BB1738_558 Depth=2
	ds_read_u16 v107, v47 offset:2048
	s_waitcnt lgkmcnt(0)
	v_cmp_ne_u16_e64 s22, 0x8000, v107
	v_cndmask_b32_e64 v3, 0x7fff, v107, s22
	v_cmp_gt_i16_e64 s22, 0, v107
	v_lshrrev_b32_sdwa v3, s49, v3 dst_sel:DWORD dst_unused:UNUSED_PAD src0_sel:DWORD src1_sel:WORD_0
	v_cndmask_b32_e64 v109, 0x7fff, 0, s22
	v_and_b32_e32 v3, s43, v3
	v_lshlrev_b32_e32 v3, 2, v3
	ds_read_b32 v3, v3
	s_waitcnt lgkmcnt(0)
	v_add_nc_u32_e32 v3, v3, v31
	v_lshlrev_b64 v[21:22], 1, v[3:4]
	v_xor_b32_e32 v3, v109, v107
	v_add_co_u32 v21, s22, s40, v21
	v_add_co_ci_u32_e64 v22, null, s41, v22, s22
	global_store_short v[21:22], v3, off
	s_or_b32 exec_lo, exec_lo, s23
	v_cmp_lt_u32_e64 s22, v32, v105
	s_and_saveexec_b32 s24, s22
	s_cbranch_execz .LBB1738_608
.LBB1738_644:                           ;   in Loop: Header=BB1738_558 Depth=2
	ds_read_u16 v107, v47 offset:2560
	s_waitcnt lgkmcnt(0)
	v_cmp_ne_u16_e64 s23, 0x8000, v107
	v_cndmask_b32_e64 v3, 0x7fff, v107, s23
	v_cmp_gt_i16_e64 s23, 0, v107
	v_lshrrev_b32_sdwa v3, s49, v3 dst_sel:DWORD dst_unused:UNUSED_PAD src0_sel:DWORD src1_sel:WORD_0
	v_cndmask_b32_e64 v109, 0x7fff, 0, s23
	v_and_b32_e32 v3, s43, v3
	v_lshlrev_b32_e32 v3, 2, v3
	ds_read_b32 v3, v3
	s_waitcnt lgkmcnt(0)
	v_add_nc_u32_e32 v3, v3, v32
	v_lshlrev_b64 v[21:22], 1, v[3:4]
	v_xor_b32_e32 v3, v109, v107
	v_add_co_u32 v21, s23, s40, v21
	v_add_co_ci_u32_e64 v22, null, s41, v22, s23
	global_store_short v[21:22], v3, off
	s_or_b32 exec_lo, exec_lo, s24
	v_cmp_lt_u32_e64 s23, v35, v105
	s_and_saveexec_b32 s25, s23
	s_cbranch_execz .LBB1738_609
.LBB1738_645:                           ;   in Loop: Header=BB1738_558 Depth=2
	ds_read_u16 v107, v47 offset:3072
	s_waitcnt lgkmcnt(0)
	v_cmp_ne_u16_e64 s24, 0x8000, v107
	v_cndmask_b32_e64 v3, 0x7fff, v107, s24
	v_cmp_gt_i16_e64 s24, 0, v107
	v_lshrrev_b32_sdwa v3, s49, v3 dst_sel:DWORD dst_unused:UNUSED_PAD src0_sel:DWORD src1_sel:WORD_0
	v_cndmask_b32_e64 v109, 0x7fff, 0, s24
	v_and_b32_e32 v3, s43, v3
	v_lshlrev_b32_e32 v3, 2, v3
	ds_read_b32 v3, v3
	s_waitcnt lgkmcnt(0)
	v_add_nc_u32_e32 v3, v3, v35
	v_lshlrev_b64 v[21:22], 1, v[3:4]
	v_xor_b32_e32 v3, v109, v107
	v_add_co_u32 v21, s24, s40, v21
	v_add_co_ci_u32_e64 v22, null, s41, v22, s24
	global_store_short v[21:22], v3, off
	s_or_b32 exec_lo, exec_lo, s25
	v_cmp_lt_u32_e64 s24, v36, v105
	s_and_saveexec_b32 s26, s24
	s_cbranch_execz .LBB1738_610
.LBB1738_646:                           ;   in Loop: Header=BB1738_558 Depth=2
	ds_read_u16 v107, v47 offset:3584
	s_waitcnt lgkmcnt(0)
	v_cmp_ne_u16_e64 s25, 0x8000, v107
	v_cndmask_b32_e64 v3, 0x7fff, v107, s25
	v_cmp_gt_i16_e64 s25, 0, v107
	v_lshrrev_b32_sdwa v3, s49, v3 dst_sel:DWORD dst_unused:UNUSED_PAD src0_sel:DWORD src1_sel:WORD_0
	v_cndmask_b32_e64 v109, 0x7fff, 0, s25
	v_and_b32_e32 v3, s43, v3
	v_lshlrev_b32_e32 v3, 2, v3
	ds_read_b32 v3, v3
	s_waitcnt lgkmcnt(0)
	v_add_nc_u32_e32 v3, v3, v36
	v_lshlrev_b64 v[21:22], 1, v[3:4]
	v_xor_b32_e32 v3, v109, v107
	v_add_co_u32 v21, s25, s40, v21
	v_add_co_ci_u32_e64 v22, null, s41, v22, s25
	global_store_short v[21:22], v3, off
	s_or_b32 exec_lo, exec_lo, s26
	v_cmp_lt_u32_e64 s25, v37, v105
	s_and_saveexec_b32 s28, s25
	s_cbranch_execz .LBB1738_611
.LBB1738_647:                           ;   in Loop: Header=BB1738_558 Depth=2
	ds_read_u16 v107, v47 offset:4096
	s_waitcnt lgkmcnt(0)
	v_cmp_ne_u16_e64 s26, 0x8000, v107
	v_cndmask_b32_e64 v3, 0x7fff, v107, s26
	v_cmp_gt_i16_e64 s26, 0, v107
	v_lshrrev_b32_sdwa v3, s49, v3 dst_sel:DWORD dst_unused:UNUSED_PAD src0_sel:DWORD src1_sel:WORD_0
	v_cndmask_b32_e64 v109, 0x7fff, 0, s26
	v_and_b32_e32 v3, s43, v3
	v_lshlrev_b32_e32 v3, 2, v3
	ds_read_b32 v3, v3
	s_waitcnt lgkmcnt(0)
	v_add_nc_u32_e32 v3, v3, v37
	v_lshlrev_b64 v[21:22], 1, v[3:4]
	v_xor_b32_e32 v3, v109, v107
	v_add_co_u32 v21, s26, s40, v21
	v_add_co_ci_u32_e64 v22, null, s41, v22, s26
	global_store_short v[21:22], v3, off
	s_or_b32 exec_lo, exec_lo, s28
	v_cmp_lt_u32_e64 s26, v38, v105
	s_and_saveexec_b32 s54, s26
	s_cbranch_execnz .LBB1738_612
	s_branch .LBB1738_613
.LBB1738_648:                           ;   in Loop: Header=BB1738_558 Depth=2
	global_load_dwordx2 v[19:20], v[21:22], off
	s_or_b32 exec_lo, exec_lo, s28
	s_mov_b32 s34, exec_lo
	v_cmpx_lt_u32_e64 v70, v105
	s_cbranch_execz .LBB1738_615
.LBB1738_649:                           ;   in Loop: Header=BB1738_558 Depth=2
	global_load_dwordx2 v[17:18], v[21:22], off offset:256
	s_or_b32 exec_lo, exec_lo, s34
	s_mov_b32 s34, exec_lo
	v_cmpx_lt_u32_e64 v71, v105
	s_cbranch_execz .LBB1738_616
.LBB1738_650:                           ;   in Loop: Header=BB1738_558 Depth=2
	global_load_dwordx2 v[15:16], v[21:22], off offset:512
	s_or_b32 exec_lo, exec_lo, s34
	s_mov_b32 s34, exec_lo
	v_cmpx_lt_u32_e64 v72, v105
	s_cbranch_execz .LBB1738_617
.LBB1738_651:                           ;   in Loop: Header=BB1738_558 Depth=2
	global_load_dwordx2 v[13:14], v[21:22], off offset:768
	s_or_b32 exec_lo, exec_lo, s34
	s_mov_b32 s34, exec_lo
	v_cmpx_lt_u32_e64 v73, v105
	s_cbranch_execz .LBB1738_618
.LBB1738_652:                           ;   in Loop: Header=BB1738_558 Depth=2
	global_load_dwordx2 v[11:12], v[21:22], off offset:1024
	s_or_b32 exec_lo, exec_lo, s34
	s_mov_b32 s34, exec_lo
	v_cmpx_lt_u32_e64 v74, v105
	s_cbranch_execz .LBB1738_619
.LBB1738_653:                           ;   in Loop: Header=BB1738_558 Depth=2
	global_load_dwordx2 v[9:10], v[21:22], off offset:1280
	s_or_b32 exec_lo, exec_lo, s34
	s_mov_b32 s34, exec_lo
	v_cmpx_lt_u32_e64 v75, v105
	s_cbranch_execz .LBB1738_620
.LBB1738_654:                           ;   in Loop: Header=BB1738_558 Depth=2
	global_load_dwordx2 v[7:8], v[21:22], off offset:1536
	s_or_b32 exec_lo, exec_lo, s34
	s_mov_b32 s34, exec_lo
	v_cmpx_lt_u32_e64 v76, v105
	s_cbranch_execz .LBB1738_621
.LBB1738_655:                           ;   in Loop: Header=BB1738_558 Depth=2
	global_load_dwordx2 v[5:6], v[21:22], off offset:1792
	s_or_b32 exec_lo, exec_lo, s34
	s_and_saveexec_b32 s34, vcc_lo
	s_cbranch_execz .LBB1738_622
.LBB1738_656:                           ;   in Loop: Header=BB1738_558 Depth=2
	ds_read_u16 v3, v47 offset:1024
	s_waitcnt lgkmcnt(0)
	v_cmp_ne_u16_e64 s28, 0x8000, v3
	v_cndmask_b32_e64 v3, 0x7fff, v3, s28
	v_lshrrev_b32_sdwa v3, s49, v3 dst_sel:DWORD dst_unused:UNUSED_PAD src0_sel:DWORD src1_sel:WORD_0
	v_and_b32_e32 v104, s43, v3
	s_or_b32 exec_lo, exec_lo, s34
	s_and_saveexec_b32 s34, s20
	s_cbranch_execz .LBB1738_623
.LBB1738_657:                           ;   in Loop: Header=BB1738_558 Depth=2
	ds_read_u16 v3, v47 offset:1536
	s_waitcnt lgkmcnt(0)
	v_cmp_ne_u16_e64 s28, 0x8000, v3
	v_cndmask_b32_e64 v3, 0x7fff, v3, s28
	v_lshrrev_b32_sdwa v3, s49, v3 dst_sel:DWORD dst_unused:UNUSED_PAD src0_sel:DWORD src1_sel:WORD_0
	v_and_b32_e32 v103, s43, v3
	s_or_b32 exec_lo, exec_lo, s34
	s_and_saveexec_b32 s34, s21
	s_cbranch_execz .LBB1738_624
.LBB1738_658:                           ;   in Loop: Header=BB1738_558 Depth=2
	ds_read_u16 v3, v47 offset:2048
	s_waitcnt lgkmcnt(0)
	v_cmp_ne_u16_e64 s28, 0x8000, v3
	v_cndmask_b32_e64 v3, 0x7fff, v3, s28
	v_lshrrev_b32_sdwa v3, s49, v3 dst_sel:DWORD dst_unused:UNUSED_PAD src0_sel:DWORD src1_sel:WORD_0
	v_and_b32_e32 v102, s43, v3
	s_or_b32 exec_lo, exec_lo, s34
	s_and_saveexec_b32 s34, s22
	s_cbranch_execz .LBB1738_625
.LBB1738_659:                           ;   in Loop: Header=BB1738_558 Depth=2
	ds_read_u16 v3, v47 offset:2560
	s_waitcnt lgkmcnt(0)
	v_cmp_ne_u16_e64 s28, 0x8000, v3
	v_cndmask_b32_e64 v3, 0x7fff, v3, s28
	v_lshrrev_b32_sdwa v3, s49, v3 dst_sel:DWORD dst_unused:UNUSED_PAD src0_sel:DWORD src1_sel:WORD_0
	v_and_b32_e32 v101, s43, v3
	s_or_b32 exec_lo, exec_lo, s34
	s_and_saveexec_b32 s34, s23
	s_cbranch_execz .LBB1738_626
.LBB1738_660:                           ;   in Loop: Header=BB1738_558 Depth=2
	ds_read_u16 v3, v47 offset:3072
	s_waitcnt lgkmcnt(0)
	v_cmp_ne_u16_e64 s28, 0x8000, v3
	v_cndmask_b32_e64 v3, 0x7fff, v3, s28
	v_lshrrev_b32_sdwa v3, s49, v3 dst_sel:DWORD dst_unused:UNUSED_PAD src0_sel:DWORD src1_sel:WORD_0
	v_and_b32_e32 v100, s43, v3
	s_or_b32 exec_lo, exec_lo, s34
	s_and_saveexec_b32 s34, s24
	s_cbranch_execz .LBB1738_627
.LBB1738_661:                           ;   in Loop: Header=BB1738_558 Depth=2
	ds_read_u16 v3, v47 offset:3584
	s_waitcnt lgkmcnt(0)
	v_cmp_ne_u16_e64 s28, 0x8000, v3
	v_cndmask_b32_e64 v3, 0x7fff, v3, s28
	v_lshrrev_b32_sdwa v3, s49, v3 dst_sel:DWORD dst_unused:UNUSED_PAD src0_sel:DWORD src1_sel:WORD_0
	v_and_b32_e32 v99, s43, v3
	s_or_b32 exec_lo, exec_lo, s34
	s_and_saveexec_b32 s34, s25
	s_cbranch_execz .LBB1738_628
.LBB1738_662:                           ;   in Loop: Header=BB1738_558 Depth=2
	ds_read_u16 v3, v47 offset:4096
	s_waitcnt lgkmcnt(0)
	v_cmp_ne_u16_e64 s28, 0x8000, v3
	v_cndmask_b32_e64 v3, 0x7fff, v3, s28
	v_lshrrev_b32_sdwa v3, s49, v3 dst_sel:DWORD dst_unused:UNUSED_PAD src0_sel:DWORD src1_sel:WORD_0
	v_and_b32_e32 v98, s43, v3
	s_or_b32 exec_lo, exec_lo, s34
	s_and_saveexec_b32 s34, s26
	s_cbranch_execnz .LBB1738_629
	s_branch .LBB1738_630
.LBB1738_663:                           ;   in Loop: Header=BB1738_558 Depth=2
	v_lshlrev_b32_e32 v3, 2, v104
	ds_read_b32 v3, v3
	ds_read_b64 v[24:25], v21 offset:1024
	s_waitcnt lgkmcnt(1)
	v_add_nc_u32_e32 v3, v3, v0
	v_lshlrev_b64 v[26:27], 3, v[3:4]
	v_add_co_u32 v26, vcc_lo, s46, v26
	v_add_co_ci_u32_e64 v27, null, s47, v27, vcc_lo
	s_waitcnt lgkmcnt(0)
	global_store_dwordx2 v[26:27], v[24:25], off
	s_or_b32 exec_lo, exec_lo, s28
	s_and_saveexec_b32 s28, s20
	s_cbranch_execz .LBB1738_632
.LBB1738_664:                           ;   in Loop: Header=BB1738_558 Depth=2
	v_lshlrev_b32_e32 v3, 2, v103
	ds_read_b32 v3, v3
	ds_read_b64 v[24:25], v21 offset:3072
	s_waitcnt lgkmcnt(1)
	v_add_nc_u32_e32 v3, v3, v30
	v_lshlrev_b64 v[26:27], 3, v[3:4]
	v_add_co_u32 v26, vcc_lo, s46, v26
	v_add_co_ci_u32_e64 v27, null, s47, v27, vcc_lo
	s_waitcnt lgkmcnt(0)
	global_store_dwordx2 v[26:27], v[24:25], off
	s_or_b32 exec_lo, exec_lo, s28
	s_and_saveexec_b32 s20, s21
	s_cbranch_execz .LBB1738_633
.LBB1738_665:                           ;   in Loop: Header=BB1738_558 Depth=2
	v_lshlrev_b32_e32 v3, 2, v102
	ds_read_b32 v3, v3
	ds_read_b64 v[24:25], v21 offset:5120
	s_waitcnt lgkmcnt(1)
	v_add_nc_u32_e32 v3, v3, v31
	v_lshlrev_b64 v[26:27], 3, v[3:4]
	v_add_co_u32 v26, vcc_lo, s46, v26
	v_add_co_ci_u32_e64 v27, null, s47, v27, vcc_lo
	s_waitcnt lgkmcnt(0)
	global_store_dwordx2 v[26:27], v[24:25], off
	s_or_b32 exec_lo, exec_lo, s20
	s_and_saveexec_b32 s20, s22
	s_cbranch_execz .LBB1738_634
.LBB1738_666:                           ;   in Loop: Header=BB1738_558 Depth=2
	v_lshlrev_b32_e32 v3, 2, v101
	ds_read_b32 v3, v3
	ds_read_b64 v[24:25], v21 offset:7168
	s_waitcnt lgkmcnt(1)
	v_add_nc_u32_e32 v3, v3, v32
	v_lshlrev_b64 v[26:27], 3, v[3:4]
	v_add_co_u32 v26, vcc_lo, s46, v26
	v_add_co_ci_u32_e64 v27, null, s47, v27, vcc_lo
	s_waitcnt lgkmcnt(0)
	global_store_dwordx2 v[26:27], v[24:25], off
	s_or_b32 exec_lo, exec_lo, s20
	s_and_saveexec_b32 s20, s23
	s_cbranch_execz .LBB1738_635
.LBB1738_667:                           ;   in Loop: Header=BB1738_558 Depth=2
	v_lshlrev_b32_e32 v3, 2, v100
	ds_read_b32 v3, v3
	ds_read_b64 v[24:25], v21 offset:9216
	s_waitcnt lgkmcnt(1)
	v_add_nc_u32_e32 v3, v3, v35
	v_lshlrev_b64 v[26:27], 3, v[3:4]
	v_add_co_u32 v26, vcc_lo, s46, v26
	v_add_co_ci_u32_e64 v27, null, s47, v27, vcc_lo
	s_waitcnt lgkmcnt(0)
	global_store_dwordx2 v[26:27], v[24:25], off
	s_or_b32 exec_lo, exec_lo, s20
	s_and_saveexec_b32 s20, s24
	s_cbranch_execz .LBB1738_636
.LBB1738_668:                           ;   in Loop: Header=BB1738_558 Depth=2
	v_lshlrev_b32_e32 v3, 2, v99
	ds_read_b32 v3, v3
	ds_read_b64 v[24:25], v21 offset:11264
	s_waitcnt lgkmcnt(1)
	v_add_nc_u32_e32 v3, v3, v36
	v_lshlrev_b64 v[26:27], 3, v[3:4]
	v_add_co_u32 v26, vcc_lo, s46, v26
	v_add_co_ci_u32_e64 v27, null, s47, v27, vcc_lo
	s_waitcnt lgkmcnt(0)
	global_store_dwordx2 v[26:27], v[24:25], off
	s_or_b32 exec_lo, exec_lo, s20
	s_and_saveexec_b32 s20, s25
	s_cbranch_execz .LBB1738_637
.LBB1738_669:                           ;   in Loop: Header=BB1738_558 Depth=2
	v_lshlrev_b32_e32 v3, 2, v98
	ds_read_b32 v3, v3
	ds_read_b64 v[24:25], v21 offset:13312
	s_waitcnt lgkmcnt(1)
	v_add_nc_u32_e32 v3, v3, v37
	v_lshlrev_b64 v[26:27], 3, v[3:4]
	v_add_co_u32 v26, vcc_lo, s46, v26
	v_add_co_ci_u32_e64 v27, null, s47, v27, vcc_lo
	s_waitcnt lgkmcnt(0)
	global_store_dwordx2 v[26:27], v[24:25], off
	s_or_b32 exec_lo, exec_lo, s20
	s_and_saveexec_b32 s20, s26
	s_cbranch_execnz .LBB1738_638
	s_branch .LBB1738_639
.LBB1738_670:
	s_endpgm
	.section	.rodata,"a",@progbits
	.p2align	6, 0x0
	.amdhsa_kernel _ZN7rocprim17ROCPRIM_400000_NS6detail17trampoline_kernelINS0_14default_configENS1_36segmented_radix_sort_config_selectorI6__halflEEZNS1_25segmented_radix_sort_implIS3_Lb1EPKS5_PS5_PKlPlN2at6native12_GLOBAL__N_18offset_tEEE10hipError_tPvRmT1_PNSt15iterator_traitsISL_E10value_typeET2_T3_PNSM_ISR_E10value_typeET4_jRbjT5_SX_jjP12ihipStream_tbEUlT_E_NS1_11comp_targetILNS1_3genE8ELNS1_11target_archE1030ELNS1_3gpuE2ELNS1_3repE0EEENS1_30default_config_static_selectorELNS0_4arch9wavefront6targetE0EEEvSL_
		.amdhsa_group_segment_fixed_size 17440
		.amdhsa_private_segment_fixed_size 0
		.amdhsa_kernarg_size 352
		.amdhsa_user_sgpr_count 6
		.amdhsa_user_sgpr_private_segment_buffer 1
		.amdhsa_user_sgpr_dispatch_ptr 0
		.amdhsa_user_sgpr_queue_ptr 0
		.amdhsa_user_sgpr_kernarg_segment_ptr 1
		.amdhsa_user_sgpr_dispatch_id 0
		.amdhsa_user_sgpr_flat_scratch_init 0
		.amdhsa_user_sgpr_private_segment_size 0
		.amdhsa_wavefront_size32 1
		.amdhsa_uses_dynamic_stack 0
		.amdhsa_system_sgpr_private_segment_wavefront_offset 0
		.amdhsa_system_sgpr_workgroup_id_x 1
		.amdhsa_system_sgpr_workgroup_id_y 1
		.amdhsa_system_sgpr_workgroup_id_z 0
		.amdhsa_system_sgpr_workgroup_info 0
		.amdhsa_system_vgpr_workitem_id 2
		.amdhsa_next_free_vgpr 184
		.amdhsa_next_free_sgpr 56
		.amdhsa_reserve_vcc 1
		.amdhsa_reserve_flat_scratch 0
		.amdhsa_float_round_mode_32 0
		.amdhsa_float_round_mode_16_64 0
		.amdhsa_float_denorm_mode_32 3
		.amdhsa_float_denorm_mode_16_64 3
		.amdhsa_dx10_clamp 1
		.amdhsa_ieee_mode 1
		.amdhsa_fp16_overflow 0
		.amdhsa_workgroup_processor_mode 1
		.amdhsa_memory_ordered 1
		.amdhsa_forward_progress 1
		.amdhsa_shared_vgpr_count 0
		.amdhsa_exception_fp_ieee_invalid_op 0
		.amdhsa_exception_fp_denorm_src 0
		.amdhsa_exception_fp_ieee_div_zero 0
		.amdhsa_exception_fp_ieee_overflow 0
		.amdhsa_exception_fp_ieee_underflow 0
		.amdhsa_exception_fp_ieee_inexact 0
		.amdhsa_exception_int_div_zero 0
	.end_amdhsa_kernel
	.section	.text._ZN7rocprim17ROCPRIM_400000_NS6detail17trampoline_kernelINS0_14default_configENS1_36segmented_radix_sort_config_selectorI6__halflEEZNS1_25segmented_radix_sort_implIS3_Lb1EPKS5_PS5_PKlPlN2at6native12_GLOBAL__N_18offset_tEEE10hipError_tPvRmT1_PNSt15iterator_traitsISL_E10value_typeET2_T3_PNSM_ISR_E10value_typeET4_jRbjT5_SX_jjP12ihipStream_tbEUlT_E_NS1_11comp_targetILNS1_3genE8ELNS1_11target_archE1030ELNS1_3gpuE2ELNS1_3repE0EEENS1_30default_config_static_selectorELNS0_4arch9wavefront6targetE0EEEvSL_,"axG",@progbits,_ZN7rocprim17ROCPRIM_400000_NS6detail17trampoline_kernelINS0_14default_configENS1_36segmented_radix_sort_config_selectorI6__halflEEZNS1_25segmented_radix_sort_implIS3_Lb1EPKS5_PS5_PKlPlN2at6native12_GLOBAL__N_18offset_tEEE10hipError_tPvRmT1_PNSt15iterator_traitsISL_E10value_typeET2_T3_PNSM_ISR_E10value_typeET4_jRbjT5_SX_jjP12ihipStream_tbEUlT_E_NS1_11comp_targetILNS1_3genE8ELNS1_11target_archE1030ELNS1_3gpuE2ELNS1_3repE0EEENS1_30default_config_static_selectorELNS0_4arch9wavefront6targetE0EEEvSL_,comdat
.Lfunc_end1738:
	.size	_ZN7rocprim17ROCPRIM_400000_NS6detail17trampoline_kernelINS0_14default_configENS1_36segmented_radix_sort_config_selectorI6__halflEEZNS1_25segmented_radix_sort_implIS3_Lb1EPKS5_PS5_PKlPlN2at6native12_GLOBAL__N_18offset_tEEE10hipError_tPvRmT1_PNSt15iterator_traitsISL_E10value_typeET2_T3_PNSM_ISR_E10value_typeET4_jRbjT5_SX_jjP12ihipStream_tbEUlT_E_NS1_11comp_targetILNS1_3genE8ELNS1_11target_archE1030ELNS1_3gpuE2ELNS1_3repE0EEENS1_30default_config_static_selectorELNS0_4arch9wavefront6targetE0EEEvSL_, .Lfunc_end1738-_ZN7rocprim17ROCPRIM_400000_NS6detail17trampoline_kernelINS0_14default_configENS1_36segmented_radix_sort_config_selectorI6__halflEEZNS1_25segmented_radix_sort_implIS3_Lb1EPKS5_PS5_PKlPlN2at6native12_GLOBAL__N_18offset_tEEE10hipError_tPvRmT1_PNSt15iterator_traitsISL_E10value_typeET2_T3_PNSM_ISR_E10value_typeET4_jRbjT5_SX_jjP12ihipStream_tbEUlT_E_NS1_11comp_targetILNS1_3genE8ELNS1_11target_archE1030ELNS1_3gpuE2ELNS1_3repE0EEENS1_30default_config_static_selectorELNS0_4arch9wavefront6targetE0EEEvSL_
                                        ; -- End function
	.set _ZN7rocprim17ROCPRIM_400000_NS6detail17trampoline_kernelINS0_14default_configENS1_36segmented_radix_sort_config_selectorI6__halflEEZNS1_25segmented_radix_sort_implIS3_Lb1EPKS5_PS5_PKlPlN2at6native12_GLOBAL__N_18offset_tEEE10hipError_tPvRmT1_PNSt15iterator_traitsISL_E10value_typeET2_T3_PNSM_ISR_E10value_typeET4_jRbjT5_SX_jjP12ihipStream_tbEUlT_E_NS1_11comp_targetILNS1_3genE8ELNS1_11target_archE1030ELNS1_3gpuE2ELNS1_3repE0EEENS1_30default_config_static_selectorELNS0_4arch9wavefront6targetE0EEEvSL_.num_vgpr, max(139, .L_ZN7rocprim17ROCPRIM_400000_NS6detail40segmented_radix_sort_single_block_helperI6__halflLj256ELj8ELb1EE4sortIPKS3_PS3_PKlPlEEbT_T0_T1_T2_jjjjRNS4_12storage_typeE.num_vgpr)
	.set _ZN7rocprim17ROCPRIM_400000_NS6detail17trampoline_kernelINS0_14default_configENS1_36segmented_radix_sort_config_selectorI6__halflEEZNS1_25segmented_radix_sort_implIS3_Lb1EPKS5_PS5_PKlPlN2at6native12_GLOBAL__N_18offset_tEEE10hipError_tPvRmT1_PNSt15iterator_traitsISL_E10value_typeET2_T3_PNSM_ISR_E10value_typeET4_jRbjT5_SX_jjP12ihipStream_tbEUlT_E_NS1_11comp_targetILNS1_3genE8ELNS1_11target_archE1030ELNS1_3gpuE2ELNS1_3repE0EEENS1_30default_config_static_selectorELNS0_4arch9wavefront6targetE0EEEvSL_.num_agpr, max(0, .L_ZN7rocprim17ROCPRIM_400000_NS6detail40segmented_radix_sort_single_block_helperI6__halflLj256ELj8ELb1EE4sortIPKS3_PS3_PKlPlEEbT_T0_T1_T2_jjjjRNS4_12storage_typeE.num_agpr)
	.set _ZN7rocprim17ROCPRIM_400000_NS6detail17trampoline_kernelINS0_14default_configENS1_36segmented_radix_sort_config_selectorI6__halflEEZNS1_25segmented_radix_sort_implIS3_Lb1EPKS5_PS5_PKlPlN2at6native12_GLOBAL__N_18offset_tEEE10hipError_tPvRmT1_PNSt15iterator_traitsISL_E10value_typeET2_T3_PNSM_ISR_E10value_typeET4_jRbjT5_SX_jjP12ihipStream_tbEUlT_E_NS1_11comp_targetILNS1_3genE8ELNS1_11target_archE1030ELNS1_3gpuE2ELNS1_3repE0EEENS1_30default_config_static_selectorELNS0_4arch9wavefront6targetE0EEEvSL_.numbered_sgpr, max(56, .L_ZN7rocprim17ROCPRIM_400000_NS6detail40segmented_radix_sort_single_block_helperI6__halflLj256ELj8ELb1EE4sortIPKS3_PS3_PKlPlEEbT_T0_T1_T2_jjjjRNS4_12storage_typeE.numbered_sgpr)
	.set _ZN7rocprim17ROCPRIM_400000_NS6detail17trampoline_kernelINS0_14default_configENS1_36segmented_radix_sort_config_selectorI6__halflEEZNS1_25segmented_radix_sort_implIS3_Lb1EPKS5_PS5_PKlPlN2at6native12_GLOBAL__N_18offset_tEEE10hipError_tPvRmT1_PNSt15iterator_traitsISL_E10value_typeET2_T3_PNSM_ISR_E10value_typeET4_jRbjT5_SX_jjP12ihipStream_tbEUlT_E_NS1_11comp_targetILNS1_3genE8ELNS1_11target_archE1030ELNS1_3gpuE2ELNS1_3repE0EEENS1_30default_config_static_selectorELNS0_4arch9wavefront6targetE0EEEvSL_.num_named_barrier, max(0, .L_ZN7rocprim17ROCPRIM_400000_NS6detail40segmented_radix_sort_single_block_helperI6__halflLj256ELj8ELb1EE4sortIPKS3_PS3_PKlPlEEbT_T0_T1_T2_jjjjRNS4_12storage_typeE.num_named_barrier)
	.set _ZN7rocprim17ROCPRIM_400000_NS6detail17trampoline_kernelINS0_14default_configENS1_36segmented_radix_sort_config_selectorI6__halflEEZNS1_25segmented_radix_sort_implIS3_Lb1EPKS5_PS5_PKlPlN2at6native12_GLOBAL__N_18offset_tEEE10hipError_tPvRmT1_PNSt15iterator_traitsISL_E10value_typeET2_T3_PNSM_ISR_E10value_typeET4_jRbjT5_SX_jjP12ihipStream_tbEUlT_E_NS1_11comp_targetILNS1_3genE8ELNS1_11target_archE1030ELNS1_3gpuE2ELNS1_3repE0EEENS1_30default_config_static_selectorELNS0_4arch9wavefront6targetE0EEEvSL_.private_seg_size, 0+max(.L_ZN7rocprim17ROCPRIM_400000_NS6detail40segmented_radix_sort_single_block_helperI6__halflLj256ELj8ELb1EE4sortIPKS3_PS3_PKlPlEEbT_T0_T1_T2_jjjjRNS4_12storage_typeE.private_seg_size)
	.set _ZN7rocprim17ROCPRIM_400000_NS6detail17trampoline_kernelINS0_14default_configENS1_36segmented_radix_sort_config_selectorI6__halflEEZNS1_25segmented_radix_sort_implIS3_Lb1EPKS5_PS5_PKlPlN2at6native12_GLOBAL__N_18offset_tEEE10hipError_tPvRmT1_PNSt15iterator_traitsISL_E10value_typeET2_T3_PNSM_ISR_E10value_typeET4_jRbjT5_SX_jjP12ihipStream_tbEUlT_E_NS1_11comp_targetILNS1_3genE8ELNS1_11target_archE1030ELNS1_3gpuE2ELNS1_3repE0EEENS1_30default_config_static_selectorELNS0_4arch9wavefront6targetE0EEEvSL_.uses_vcc, or(1, .L_ZN7rocprim17ROCPRIM_400000_NS6detail40segmented_radix_sort_single_block_helperI6__halflLj256ELj8ELb1EE4sortIPKS3_PS3_PKlPlEEbT_T0_T1_T2_jjjjRNS4_12storage_typeE.uses_vcc)
	.set _ZN7rocprim17ROCPRIM_400000_NS6detail17trampoline_kernelINS0_14default_configENS1_36segmented_radix_sort_config_selectorI6__halflEEZNS1_25segmented_radix_sort_implIS3_Lb1EPKS5_PS5_PKlPlN2at6native12_GLOBAL__N_18offset_tEEE10hipError_tPvRmT1_PNSt15iterator_traitsISL_E10value_typeET2_T3_PNSM_ISR_E10value_typeET4_jRbjT5_SX_jjP12ihipStream_tbEUlT_E_NS1_11comp_targetILNS1_3genE8ELNS1_11target_archE1030ELNS1_3gpuE2ELNS1_3repE0EEENS1_30default_config_static_selectorELNS0_4arch9wavefront6targetE0EEEvSL_.uses_flat_scratch, or(0, .L_ZN7rocprim17ROCPRIM_400000_NS6detail40segmented_radix_sort_single_block_helperI6__halflLj256ELj8ELb1EE4sortIPKS3_PS3_PKlPlEEbT_T0_T1_T2_jjjjRNS4_12storage_typeE.uses_flat_scratch)
	.set _ZN7rocprim17ROCPRIM_400000_NS6detail17trampoline_kernelINS0_14default_configENS1_36segmented_radix_sort_config_selectorI6__halflEEZNS1_25segmented_radix_sort_implIS3_Lb1EPKS5_PS5_PKlPlN2at6native12_GLOBAL__N_18offset_tEEE10hipError_tPvRmT1_PNSt15iterator_traitsISL_E10value_typeET2_T3_PNSM_ISR_E10value_typeET4_jRbjT5_SX_jjP12ihipStream_tbEUlT_E_NS1_11comp_targetILNS1_3genE8ELNS1_11target_archE1030ELNS1_3gpuE2ELNS1_3repE0EEENS1_30default_config_static_selectorELNS0_4arch9wavefront6targetE0EEEvSL_.has_dyn_sized_stack, or(0, .L_ZN7rocprim17ROCPRIM_400000_NS6detail40segmented_radix_sort_single_block_helperI6__halflLj256ELj8ELb1EE4sortIPKS3_PS3_PKlPlEEbT_T0_T1_T2_jjjjRNS4_12storage_typeE.has_dyn_sized_stack)
	.set _ZN7rocprim17ROCPRIM_400000_NS6detail17trampoline_kernelINS0_14default_configENS1_36segmented_radix_sort_config_selectorI6__halflEEZNS1_25segmented_radix_sort_implIS3_Lb1EPKS5_PS5_PKlPlN2at6native12_GLOBAL__N_18offset_tEEE10hipError_tPvRmT1_PNSt15iterator_traitsISL_E10value_typeET2_T3_PNSM_ISR_E10value_typeET4_jRbjT5_SX_jjP12ihipStream_tbEUlT_E_NS1_11comp_targetILNS1_3genE8ELNS1_11target_archE1030ELNS1_3gpuE2ELNS1_3repE0EEENS1_30default_config_static_selectorELNS0_4arch9wavefront6targetE0EEEvSL_.has_recursion, or(0, .L_ZN7rocprim17ROCPRIM_400000_NS6detail40segmented_radix_sort_single_block_helperI6__halflLj256ELj8ELb1EE4sortIPKS3_PS3_PKlPlEEbT_T0_T1_T2_jjjjRNS4_12storage_typeE.has_recursion)
	.set _ZN7rocprim17ROCPRIM_400000_NS6detail17trampoline_kernelINS0_14default_configENS1_36segmented_radix_sort_config_selectorI6__halflEEZNS1_25segmented_radix_sort_implIS3_Lb1EPKS5_PS5_PKlPlN2at6native12_GLOBAL__N_18offset_tEEE10hipError_tPvRmT1_PNSt15iterator_traitsISL_E10value_typeET2_T3_PNSM_ISR_E10value_typeET4_jRbjT5_SX_jjP12ihipStream_tbEUlT_E_NS1_11comp_targetILNS1_3genE8ELNS1_11target_archE1030ELNS1_3gpuE2ELNS1_3repE0EEENS1_30default_config_static_selectorELNS0_4arch9wavefront6targetE0EEEvSL_.has_indirect_call, or(0, .L_ZN7rocprim17ROCPRIM_400000_NS6detail40segmented_radix_sort_single_block_helperI6__halflLj256ELj8ELb1EE4sortIPKS3_PS3_PKlPlEEbT_T0_T1_T2_jjjjRNS4_12storage_typeE.has_indirect_call)
	.section	.AMDGPU.csdata,"",@progbits
; Kernel info:
; codeLenInByte = 38328
; TotalNumSgprs: 58
; NumVgprs: 184
; ScratchSize: 0
; MemoryBound: 0
; FloatMode: 240
; IeeeMode: 1
; LDSByteSize: 17440 bytes/workgroup (compile time only)
; SGPRBlocks: 0
; VGPRBlocks: 22
; NumSGPRsForWavesPerEU: 58
; NumVGPRsForWavesPerEU: 184
; Occupancy: 5
; WaveLimiterHint : 1
; COMPUTE_PGM_RSRC2:SCRATCH_EN: 0
; COMPUTE_PGM_RSRC2:USER_SGPR: 6
; COMPUTE_PGM_RSRC2:TRAP_HANDLER: 0
; COMPUTE_PGM_RSRC2:TGID_X_EN: 1
; COMPUTE_PGM_RSRC2:TGID_Y_EN: 1
; COMPUTE_PGM_RSRC2:TGID_Z_EN: 0
; COMPUTE_PGM_RSRC2:TIDIG_COMP_CNT: 2
	.section	.text._ZN7rocprim17ROCPRIM_400000_NS6detail17trampoline_kernelINS0_14default_configENS1_36segmented_radix_sort_config_selectorI6__halflEEZNS1_25segmented_radix_sort_implIS3_Lb1EPKS5_PS5_PKlPlN2at6native12_GLOBAL__N_18offset_tEEE10hipError_tPvRmT1_PNSt15iterator_traitsISL_E10value_typeET2_T3_PNSM_ISR_E10value_typeET4_jRbjT5_SX_jjP12ihipStream_tbEUlT_E0_NS1_11comp_targetILNS1_3genE0ELNS1_11target_archE4294967295ELNS1_3gpuE0ELNS1_3repE0EEENS1_60segmented_radix_sort_warp_sort_medium_config_static_selectorELNS0_4arch9wavefront6targetE0EEEvSL_,"axG",@progbits,_ZN7rocprim17ROCPRIM_400000_NS6detail17trampoline_kernelINS0_14default_configENS1_36segmented_radix_sort_config_selectorI6__halflEEZNS1_25segmented_radix_sort_implIS3_Lb1EPKS5_PS5_PKlPlN2at6native12_GLOBAL__N_18offset_tEEE10hipError_tPvRmT1_PNSt15iterator_traitsISL_E10value_typeET2_T3_PNSM_ISR_E10value_typeET4_jRbjT5_SX_jjP12ihipStream_tbEUlT_E0_NS1_11comp_targetILNS1_3genE0ELNS1_11target_archE4294967295ELNS1_3gpuE0ELNS1_3repE0EEENS1_60segmented_radix_sort_warp_sort_medium_config_static_selectorELNS0_4arch9wavefront6targetE0EEEvSL_,comdat
	.globl	_ZN7rocprim17ROCPRIM_400000_NS6detail17trampoline_kernelINS0_14default_configENS1_36segmented_radix_sort_config_selectorI6__halflEEZNS1_25segmented_radix_sort_implIS3_Lb1EPKS5_PS5_PKlPlN2at6native12_GLOBAL__N_18offset_tEEE10hipError_tPvRmT1_PNSt15iterator_traitsISL_E10value_typeET2_T3_PNSM_ISR_E10value_typeET4_jRbjT5_SX_jjP12ihipStream_tbEUlT_E0_NS1_11comp_targetILNS1_3genE0ELNS1_11target_archE4294967295ELNS1_3gpuE0ELNS1_3repE0EEENS1_60segmented_radix_sort_warp_sort_medium_config_static_selectorELNS0_4arch9wavefront6targetE0EEEvSL_ ; -- Begin function _ZN7rocprim17ROCPRIM_400000_NS6detail17trampoline_kernelINS0_14default_configENS1_36segmented_radix_sort_config_selectorI6__halflEEZNS1_25segmented_radix_sort_implIS3_Lb1EPKS5_PS5_PKlPlN2at6native12_GLOBAL__N_18offset_tEEE10hipError_tPvRmT1_PNSt15iterator_traitsISL_E10value_typeET2_T3_PNSM_ISR_E10value_typeET4_jRbjT5_SX_jjP12ihipStream_tbEUlT_E0_NS1_11comp_targetILNS1_3genE0ELNS1_11target_archE4294967295ELNS1_3gpuE0ELNS1_3repE0EEENS1_60segmented_radix_sort_warp_sort_medium_config_static_selectorELNS0_4arch9wavefront6targetE0EEEvSL_
	.p2align	8
	.type	_ZN7rocprim17ROCPRIM_400000_NS6detail17trampoline_kernelINS0_14default_configENS1_36segmented_radix_sort_config_selectorI6__halflEEZNS1_25segmented_radix_sort_implIS3_Lb1EPKS5_PS5_PKlPlN2at6native12_GLOBAL__N_18offset_tEEE10hipError_tPvRmT1_PNSt15iterator_traitsISL_E10value_typeET2_T3_PNSM_ISR_E10value_typeET4_jRbjT5_SX_jjP12ihipStream_tbEUlT_E0_NS1_11comp_targetILNS1_3genE0ELNS1_11target_archE4294967295ELNS1_3gpuE0ELNS1_3repE0EEENS1_60segmented_radix_sort_warp_sort_medium_config_static_selectorELNS0_4arch9wavefront6targetE0EEEvSL_,@function
_ZN7rocprim17ROCPRIM_400000_NS6detail17trampoline_kernelINS0_14default_configENS1_36segmented_radix_sort_config_selectorI6__halflEEZNS1_25segmented_radix_sort_implIS3_Lb1EPKS5_PS5_PKlPlN2at6native12_GLOBAL__N_18offset_tEEE10hipError_tPvRmT1_PNSt15iterator_traitsISL_E10value_typeET2_T3_PNSM_ISR_E10value_typeET4_jRbjT5_SX_jjP12ihipStream_tbEUlT_E0_NS1_11comp_targetILNS1_3genE0ELNS1_11target_archE4294967295ELNS1_3gpuE0ELNS1_3repE0EEENS1_60segmented_radix_sort_warp_sort_medium_config_static_selectorELNS0_4arch9wavefront6targetE0EEEvSL_: ; @_ZN7rocprim17ROCPRIM_400000_NS6detail17trampoline_kernelINS0_14default_configENS1_36segmented_radix_sort_config_selectorI6__halflEEZNS1_25segmented_radix_sort_implIS3_Lb1EPKS5_PS5_PKlPlN2at6native12_GLOBAL__N_18offset_tEEE10hipError_tPvRmT1_PNSt15iterator_traitsISL_E10value_typeET2_T3_PNSM_ISR_E10value_typeET4_jRbjT5_SX_jjP12ihipStream_tbEUlT_E0_NS1_11comp_targetILNS1_3genE0ELNS1_11target_archE4294967295ELNS1_3gpuE0ELNS1_3repE0EEENS1_60segmented_radix_sort_warp_sort_medium_config_static_selectorELNS0_4arch9wavefront6targetE0EEEvSL_
; %bb.0:
	.section	.rodata,"a",@progbits
	.p2align	6, 0x0
	.amdhsa_kernel _ZN7rocprim17ROCPRIM_400000_NS6detail17trampoline_kernelINS0_14default_configENS1_36segmented_radix_sort_config_selectorI6__halflEEZNS1_25segmented_radix_sort_implIS3_Lb1EPKS5_PS5_PKlPlN2at6native12_GLOBAL__N_18offset_tEEE10hipError_tPvRmT1_PNSt15iterator_traitsISL_E10value_typeET2_T3_PNSM_ISR_E10value_typeET4_jRbjT5_SX_jjP12ihipStream_tbEUlT_E0_NS1_11comp_targetILNS1_3genE0ELNS1_11target_archE4294967295ELNS1_3gpuE0ELNS1_3repE0EEENS1_60segmented_radix_sort_warp_sort_medium_config_static_selectorELNS0_4arch9wavefront6targetE0EEEvSL_
		.amdhsa_group_segment_fixed_size 0
		.amdhsa_private_segment_fixed_size 0
		.amdhsa_kernarg_size 88
		.amdhsa_user_sgpr_count 6
		.amdhsa_user_sgpr_private_segment_buffer 1
		.amdhsa_user_sgpr_dispatch_ptr 0
		.amdhsa_user_sgpr_queue_ptr 0
		.amdhsa_user_sgpr_kernarg_segment_ptr 1
		.amdhsa_user_sgpr_dispatch_id 0
		.amdhsa_user_sgpr_flat_scratch_init 0
		.amdhsa_user_sgpr_private_segment_size 0
		.amdhsa_wavefront_size32 1
		.amdhsa_uses_dynamic_stack 0
		.amdhsa_system_sgpr_private_segment_wavefront_offset 0
		.amdhsa_system_sgpr_workgroup_id_x 1
		.amdhsa_system_sgpr_workgroup_id_y 0
		.amdhsa_system_sgpr_workgroup_id_z 0
		.amdhsa_system_sgpr_workgroup_info 0
		.amdhsa_system_vgpr_workitem_id 0
		.amdhsa_next_free_vgpr 1
		.amdhsa_next_free_sgpr 1
		.amdhsa_reserve_vcc 0
		.amdhsa_reserve_flat_scratch 0
		.amdhsa_float_round_mode_32 0
		.amdhsa_float_round_mode_16_64 0
		.amdhsa_float_denorm_mode_32 3
		.amdhsa_float_denorm_mode_16_64 3
		.amdhsa_dx10_clamp 1
		.amdhsa_ieee_mode 1
		.amdhsa_fp16_overflow 0
		.amdhsa_workgroup_processor_mode 1
		.amdhsa_memory_ordered 1
		.amdhsa_forward_progress 1
		.amdhsa_shared_vgpr_count 0
		.amdhsa_exception_fp_ieee_invalid_op 0
		.amdhsa_exception_fp_denorm_src 0
		.amdhsa_exception_fp_ieee_div_zero 0
		.amdhsa_exception_fp_ieee_overflow 0
		.amdhsa_exception_fp_ieee_underflow 0
		.amdhsa_exception_fp_ieee_inexact 0
		.amdhsa_exception_int_div_zero 0
	.end_amdhsa_kernel
	.section	.text._ZN7rocprim17ROCPRIM_400000_NS6detail17trampoline_kernelINS0_14default_configENS1_36segmented_radix_sort_config_selectorI6__halflEEZNS1_25segmented_radix_sort_implIS3_Lb1EPKS5_PS5_PKlPlN2at6native12_GLOBAL__N_18offset_tEEE10hipError_tPvRmT1_PNSt15iterator_traitsISL_E10value_typeET2_T3_PNSM_ISR_E10value_typeET4_jRbjT5_SX_jjP12ihipStream_tbEUlT_E0_NS1_11comp_targetILNS1_3genE0ELNS1_11target_archE4294967295ELNS1_3gpuE0ELNS1_3repE0EEENS1_60segmented_radix_sort_warp_sort_medium_config_static_selectorELNS0_4arch9wavefront6targetE0EEEvSL_,"axG",@progbits,_ZN7rocprim17ROCPRIM_400000_NS6detail17trampoline_kernelINS0_14default_configENS1_36segmented_radix_sort_config_selectorI6__halflEEZNS1_25segmented_radix_sort_implIS3_Lb1EPKS5_PS5_PKlPlN2at6native12_GLOBAL__N_18offset_tEEE10hipError_tPvRmT1_PNSt15iterator_traitsISL_E10value_typeET2_T3_PNSM_ISR_E10value_typeET4_jRbjT5_SX_jjP12ihipStream_tbEUlT_E0_NS1_11comp_targetILNS1_3genE0ELNS1_11target_archE4294967295ELNS1_3gpuE0ELNS1_3repE0EEENS1_60segmented_radix_sort_warp_sort_medium_config_static_selectorELNS0_4arch9wavefront6targetE0EEEvSL_,comdat
.Lfunc_end1739:
	.size	_ZN7rocprim17ROCPRIM_400000_NS6detail17trampoline_kernelINS0_14default_configENS1_36segmented_radix_sort_config_selectorI6__halflEEZNS1_25segmented_radix_sort_implIS3_Lb1EPKS5_PS5_PKlPlN2at6native12_GLOBAL__N_18offset_tEEE10hipError_tPvRmT1_PNSt15iterator_traitsISL_E10value_typeET2_T3_PNSM_ISR_E10value_typeET4_jRbjT5_SX_jjP12ihipStream_tbEUlT_E0_NS1_11comp_targetILNS1_3genE0ELNS1_11target_archE4294967295ELNS1_3gpuE0ELNS1_3repE0EEENS1_60segmented_radix_sort_warp_sort_medium_config_static_selectorELNS0_4arch9wavefront6targetE0EEEvSL_, .Lfunc_end1739-_ZN7rocprim17ROCPRIM_400000_NS6detail17trampoline_kernelINS0_14default_configENS1_36segmented_radix_sort_config_selectorI6__halflEEZNS1_25segmented_radix_sort_implIS3_Lb1EPKS5_PS5_PKlPlN2at6native12_GLOBAL__N_18offset_tEEE10hipError_tPvRmT1_PNSt15iterator_traitsISL_E10value_typeET2_T3_PNSM_ISR_E10value_typeET4_jRbjT5_SX_jjP12ihipStream_tbEUlT_E0_NS1_11comp_targetILNS1_3genE0ELNS1_11target_archE4294967295ELNS1_3gpuE0ELNS1_3repE0EEENS1_60segmented_radix_sort_warp_sort_medium_config_static_selectorELNS0_4arch9wavefront6targetE0EEEvSL_
                                        ; -- End function
	.set _ZN7rocprim17ROCPRIM_400000_NS6detail17trampoline_kernelINS0_14default_configENS1_36segmented_radix_sort_config_selectorI6__halflEEZNS1_25segmented_radix_sort_implIS3_Lb1EPKS5_PS5_PKlPlN2at6native12_GLOBAL__N_18offset_tEEE10hipError_tPvRmT1_PNSt15iterator_traitsISL_E10value_typeET2_T3_PNSM_ISR_E10value_typeET4_jRbjT5_SX_jjP12ihipStream_tbEUlT_E0_NS1_11comp_targetILNS1_3genE0ELNS1_11target_archE4294967295ELNS1_3gpuE0ELNS1_3repE0EEENS1_60segmented_radix_sort_warp_sort_medium_config_static_selectorELNS0_4arch9wavefront6targetE0EEEvSL_.num_vgpr, 0
	.set _ZN7rocprim17ROCPRIM_400000_NS6detail17trampoline_kernelINS0_14default_configENS1_36segmented_radix_sort_config_selectorI6__halflEEZNS1_25segmented_radix_sort_implIS3_Lb1EPKS5_PS5_PKlPlN2at6native12_GLOBAL__N_18offset_tEEE10hipError_tPvRmT1_PNSt15iterator_traitsISL_E10value_typeET2_T3_PNSM_ISR_E10value_typeET4_jRbjT5_SX_jjP12ihipStream_tbEUlT_E0_NS1_11comp_targetILNS1_3genE0ELNS1_11target_archE4294967295ELNS1_3gpuE0ELNS1_3repE0EEENS1_60segmented_radix_sort_warp_sort_medium_config_static_selectorELNS0_4arch9wavefront6targetE0EEEvSL_.num_agpr, 0
	.set _ZN7rocprim17ROCPRIM_400000_NS6detail17trampoline_kernelINS0_14default_configENS1_36segmented_radix_sort_config_selectorI6__halflEEZNS1_25segmented_radix_sort_implIS3_Lb1EPKS5_PS5_PKlPlN2at6native12_GLOBAL__N_18offset_tEEE10hipError_tPvRmT1_PNSt15iterator_traitsISL_E10value_typeET2_T3_PNSM_ISR_E10value_typeET4_jRbjT5_SX_jjP12ihipStream_tbEUlT_E0_NS1_11comp_targetILNS1_3genE0ELNS1_11target_archE4294967295ELNS1_3gpuE0ELNS1_3repE0EEENS1_60segmented_radix_sort_warp_sort_medium_config_static_selectorELNS0_4arch9wavefront6targetE0EEEvSL_.numbered_sgpr, 0
	.set _ZN7rocprim17ROCPRIM_400000_NS6detail17trampoline_kernelINS0_14default_configENS1_36segmented_radix_sort_config_selectorI6__halflEEZNS1_25segmented_radix_sort_implIS3_Lb1EPKS5_PS5_PKlPlN2at6native12_GLOBAL__N_18offset_tEEE10hipError_tPvRmT1_PNSt15iterator_traitsISL_E10value_typeET2_T3_PNSM_ISR_E10value_typeET4_jRbjT5_SX_jjP12ihipStream_tbEUlT_E0_NS1_11comp_targetILNS1_3genE0ELNS1_11target_archE4294967295ELNS1_3gpuE0ELNS1_3repE0EEENS1_60segmented_radix_sort_warp_sort_medium_config_static_selectorELNS0_4arch9wavefront6targetE0EEEvSL_.num_named_barrier, 0
	.set _ZN7rocprim17ROCPRIM_400000_NS6detail17trampoline_kernelINS0_14default_configENS1_36segmented_radix_sort_config_selectorI6__halflEEZNS1_25segmented_radix_sort_implIS3_Lb1EPKS5_PS5_PKlPlN2at6native12_GLOBAL__N_18offset_tEEE10hipError_tPvRmT1_PNSt15iterator_traitsISL_E10value_typeET2_T3_PNSM_ISR_E10value_typeET4_jRbjT5_SX_jjP12ihipStream_tbEUlT_E0_NS1_11comp_targetILNS1_3genE0ELNS1_11target_archE4294967295ELNS1_3gpuE0ELNS1_3repE0EEENS1_60segmented_radix_sort_warp_sort_medium_config_static_selectorELNS0_4arch9wavefront6targetE0EEEvSL_.private_seg_size, 0
	.set _ZN7rocprim17ROCPRIM_400000_NS6detail17trampoline_kernelINS0_14default_configENS1_36segmented_radix_sort_config_selectorI6__halflEEZNS1_25segmented_radix_sort_implIS3_Lb1EPKS5_PS5_PKlPlN2at6native12_GLOBAL__N_18offset_tEEE10hipError_tPvRmT1_PNSt15iterator_traitsISL_E10value_typeET2_T3_PNSM_ISR_E10value_typeET4_jRbjT5_SX_jjP12ihipStream_tbEUlT_E0_NS1_11comp_targetILNS1_3genE0ELNS1_11target_archE4294967295ELNS1_3gpuE0ELNS1_3repE0EEENS1_60segmented_radix_sort_warp_sort_medium_config_static_selectorELNS0_4arch9wavefront6targetE0EEEvSL_.uses_vcc, 0
	.set _ZN7rocprim17ROCPRIM_400000_NS6detail17trampoline_kernelINS0_14default_configENS1_36segmented_radix_sort_config_selectorI6__halflEEZNS1_25segmented_radix_sort_implIS3_Lb1EPKS5_PS5_PKlPlN2at6native12_GLOBAL__N_18offset_tEEE10hipError_tPvRmT1_PNSt15iterator_traitsISL_E10value_typeET2_T3_PNSM_ISR_E10value_typeET4_jRbjT5_SX_jjP12ihipStream_tbEUlT_E0_NS1_11comp_targetILNS1_3genE0ELNS1_11target_archE4294967295ELNS1_3gpuE0ELNS1_3repE0EEENS1_60segmented_radix_sort_warp_sort_medium_config_static_selectorELNS0_4arch9wavefront6targetE0EEEvSL_.uses_flat_scratch, 0
	.set _ZN7rocprim17ROCPRIM_400000_NS6detail17trampoline_kernelINS0_14default_configENS1_36segmented_radix_sort_config_selectorI6__halflEEZNS1_25segmented_radix_sort_implIS3_Lb1EPKS5_PS5_PKlPlN2at6native12_GLOBAL__N_18offset_tEEE10hipError_tPvRmT1_PNSt15iterator_traitsISL_E10value_typeET2_T3_PNSM_ISR_E10value_typeET4_jRbjT5_SX_jjP12ihipStream_tbEUlT_E0_NS1_11comp_targetILNS1_3genE0ELNS1_11target_archE4294967295ELNS1_3gpuE0ELNS1_3repE0EEENS1_60segmented_radix_sort_warp_sort_medium_config_static_selectorELNS0_4arch9wavefront6targetE0EEEvSL_.has_dyn_sized_stack, 0
	.set _ZN7rocprim17ROCPRIM_400000_NS6detail17trampoline_kernelINS0_14default_configENS1_36segmented_radix_sort_config_selectorI6__halflEEZNS1_25segmented_radix_sort_implIS3_Lb1EPKS5_PS5_PKlPlN2at6native12_GLOBAL__N_18offset_tEEE10hipError_tPvRmT1_PNSt15iterator_traitsISL_E10value_typeET2_T3_PNSM_ISR_E10value_typeET4_jRbjT5_SX_jjP12ihipStream_tbEUlT_E0_NS1_11comp_targetILNS1_3genE0ELNS1_11target_archE4294967295ELNS1_3gpuE0ELNS1_3repE0EEENS1_60segmented_radix_sort_warp_sort_medium_config_static_selectorELNS0_4arch9wavefront6targetE0EEEvSL_.has_recursion, 0
	.set _ZN7rocprim17ROCPRIM_400000_NS6detail17trampoline_kernelINS0_14default_configENS1_36segmented_radix_sort_config_selectorI6__halflEEZNS1_25segmented_radix_sort_implIS3_Lb1EPKS5_PS5_PKlPlN2at6native12_GLOBAL__N_18offset_tEEE10hipError_tPvRmT1_PNSt15iterator_traitsISL_E10value_typeET2_T3_PNSM_ISR_E10value_typeET4_jRbjT5_SX_jjP12ihipStream_tbEUlT_E0_NS1_11comp_targetILNS1_3genE0ELNS1_11target_archE4294967295ELNS1_3gpuE0ELNS1_3repE0EEENS1_60segmented_radix_sort_warp_sort_medium_config_static_selectorELNS0_4arch9wavefront6targetE0EEEvSL_.has_indirect_call, 0
	.section	.AMDGPU.csdata,"",@progbits
; Kernel info:
; codeLenInByte = 0
; TotalNumSgprs: 0
; NumVgprs: 0
; ScratchSize: 0
; MemoryBound: 0
; FloatMode: 240
; IeeeMode: 1
; LDSByteSize: 0 bytes/workgroup (compile time only)
; SGPRBlocks: 0
; VGPRBlocks: 0
; NumSGPRsForWavesPerEU: 1
; NumVGPRsForWavesPerEU: 1
; Occupancy: 16
; WaveLimiterHint : 0
; COMPUTE_PGM_RSRC2:SCRATCH_EN: 0
; COMPUTE_PGM_RSRC2:USER_SGPR: 6
; COMPUTE_PGM_RSRC2:TRAP_HANDLER: 0
; COMPUTE_PGM_RSRC2:TGID_X_EN: 1
; COMPUTE_PGM_RSRC2:TGID_Y_EN: 0
; COMPUTE_PGM_RSRC2:TGID_Z_EN: 0
; COMPUTE_PGM_RSRC2:TIDIG_COMP_CNT: 0
	.section	.text._ZN7rocprim17ROCPRIM_400000_NS6detail17trampoline_kernelINS0_14default_configENS1_36segmented_radix_sort_config_selectorI6__halflEEZNS1_25segmented_radix_sort_implIS3_Lb1EPKS5_PS5_PKlPlN2at6native12_GLOBAL__N_18offset_tEEE10hipError_tPvRmT1_PNSt15iterator_traitsISL_E10value_typeET2_T3_PNSM_ISR_E10value_typeET4_jRbjT5_SX_jjP12ihipStream_tbEUlT_E0_NS1_11comp_targetILNS1_3genE5ELNS1_11target_archE942ELNS1_3gpuE9ELNS1_3repE0EEENS1_60segmented_radix_sort_warp_sort_medium_config_static_selectorELNS0_4arch9wavefront6targetE0EEEvSL_,"axG",@progbits,_ZN7rocprim17ROCPRIM_400000_NS6detail17trampoline_kernelINS0_14default_configENS1_36segmented_radix_sort_config_selectorI6__halflEEZNS1_25segmented_radix_sort_implIS3_Lb1EPKS5_PS5_PKlPlN2at6native12_GLOBAL__N_18offset_tEEE10hipError_tPvRmT1_PNSt15iterator_traitsISL_E10value_typeET2_T3_PNSM_ISR_E10value_typeET4_jRbjT5_SX_jjP12ihipStream_tbEUlT_E0_NS1_11comp_targetILNS1_3genE5ELNS1_11target_archE942ELNS1_3gpuE9ELNS1_3repE0EEENS1_60segmented_radix_sort_warp_sort_medium_config_static_selectorELNS0_4arch9wavefront6targetE0EEEvSL_,comdat
	.globl	_ZN7rocprim17ROCPRIM_400000_NS6detail17trampoline_kernelINS0_14default_configENS1_36segmented_radix_sort_config_selectorI6__halflEEZNS1_25segmented_radix_sort_implIS3_Lb1EPKS5_PS5_PKlPlN2at6native12_GLOBAL__N_18offset_tEEE10hipError_tPvRmT1_PNSt15iterator_traitsISL_E10value_typeET2_T3_PNSM_ISR_E10value_typeET4_jRbjT5_SX_jjP12ihipStream_tbEUlT_E0_NS1_11comp_targetILNS1_3genE5ELNS1_11target_archE942ELNS1_3gpuE9ELNS1_3repE0EEENS1_60segmented_radix_sort_warp_sort_medium_config_static_selectorELNS0_4arch9wavefront6targetE0EEEvSL_ ; -- Begin function _ZN7rocprim17ROCPRIM_400000_NS6detail17trampoline_kernelINS0_14default_configENS1_36segmented_radix_sort_config_selectorI6__halflEEZNS1_25segmented_radix_sort_implIS3_Lb1EPKS5_PS5_PKlPlN2at6native12_GLOBAL__N_18offset_tEEE10hipError_tPvRmT1_PNSt15iterator_traitsISL_E10value_typeET2_T3_PNSM_ISR_E10value_typeET4_jRbjT5_SX_jjP12ihipStream_tbEUlT_E0_NS1_11comp_targetILNS1_3genE5ELNS1_11target_archE942ELNS1_3gpuE9ELNS1_3repE0EEENS1_60segmented_radix_sort_warp_sort_medium_config_static_selectorELNS0_4arch9wavefront6targetE0EEEvSL_
	.p2align	8
	.type	_ZN7rocprim17ROCPRIM_400000_NS6detail17trampoline_kernelINS0_14default_configENS1_36segmented_radix_sort_config_selectorI6__halflEEZNS1_25segmented_radix_sort_implIS3_Lb1EPKS5_PS5_PKlPlN2at6native12_GLOBAL__N_18offset_tEEE10hipError_tPvRmT1_PNSt15iterator_traitsISL_E10value_typeET2_T3_PNSM_ISR_E10value_typeET4_jRbjT5_SX_jjP12ihipStream_tbEUlT_E0_NS1_11comp_targetILNS1_3genE5ELNS1_11target_archE942ELNS1_3gpuE9ELNS1_3repE0EEENS1_60segmented_radix_sort_warp_sort_medium_config_static_selectorELNS0_4arch9wavefront6targetE0EEEvSL_,@function
_ZN7rocprim17ROCPRIM_400000_NS6detail17trampoline_kernelINS0_14default_configENS1_36segmented_radix_sort_config_selectorI6__halflEEZNS1_25segmented_radix_sort_implIS3_Lb1EPKS5_PS5_PKlPlN2at6native12_GLOBAL__N_18offset_tEEE10hipError_tPvRmT1_PNSt15iterator_traitsISL_E10value_typeET2_T3_PNSM_ISR_E10value_typeET4_jRbjT5_SX_jjP12ihipStream_tbEUlT_E0_NS1_11comp_targetILNS1_3genE5ELNS1_11target_archE942ELNS1_3gpuE9ELNS1_3repE0EEENS1_60segmented_radix_sort_warp_sort_medium_config_static_selectorELNS0_4arch9wavefront6targetE0EEEvSL_: ; @_ZN7rocprim17ROCPRIM_400000_NS6detail17trampoline_kernelINS0_14default_configENS1_36segmented_radix_sort_config_selectorI6__halflEEZNS1_25segmented_radix_sort_implIS3_Lb1EPKS5_PS5_PKlPlN2at6native12_GLOBAL__N_18offset_tEEE10hipError_tPvRmT1_PNSt15iterator_traitsISL_E10value_typeET2_T3_PNSM_ISR_E10value_typeET4_jRbjT5_SX_jjP12ihipStream_tbEUlT_E0_NS1_11comp_targetILNS1_3genE5ELNS1_11target_archE942ELNS1_3gpuE9ELNS1_3repE0EEENS1_60segmented_radix_sort_warp_sort_medium_config_static_selectorELNS0_4arch9wavefront6targetE0EEEvSL_
; %bb.0:
	.section	.rodata,"a",@progbits
	.p2align	6, 0x0
	.amdhsa_kernel _ZN7rocprim17ROCPRIM_400000_NS6detail17trampoline_kernelINS0_14default_configENS1_36segmented_radix_sort_config_selectorI6__halflEEZNS1_25segmented_radix_sort_implIS3_Lb1EPKS5_PS5_PKlPlN2at6native12_GLOBAL__N_18offset_tEEE10hipError_tPvRmT1_PNSt15iterator_traitsISL_E10value_typeET2_T3_PNSM_ISR_E10value_typeET4_jRbjT5_SX_jjP12ihipStream_tbEUlT_E0_NS1_11comp_targetILNS1_3genE5ELNS1_11target_archE942ELNS1_3gpuE9ELNS1_3repE0EEENS1_60segmented_radix_sort_warp_sort_medium_config_static_selectorELNS0_4arch9wavefront6targetE0EEEvSL_
		.amdhsa_group_segment_fixed_size 0
		.amdhsa_private_segment_fixed_size 0
		.amdhsa_kernarg_size 88
		.amdhsa_user_sgpr_count 6
		.amdhsa_user_sgpr_private_segment_buffer 1
		.amdhsa_user_sgpr_dispatch_ptr 0
		.amdhsa_user_sgpr_queue_ptr 0
		.amdhsa_user_sgpr_kernarg_segment_ptr 1
		.amdhsa_user_sgpr_dispatch_id 0
		.amdhsa_user_sgpr_flat_scratch_init 0
		.amdhsa_user_sgpr_private_segment_size 0
		.amdhsa_wavefront_size32 1
		.amdhsa_uses_dynamic_stack 0
		.amdhsa_system_sgpr_private_segment_wavefront_offset 0
		.amdhsa_system_sgpr_workgroup_id_x 1
		.amdhsa_system_sgpr_workgroup_id_y 0
		.amdhsa_system_sgpr_workgroup_id_z 0
		.amdhsa_system_sgpr_workgroup_info 0
		.amdhsa_system_vgpr_workitem_id 0
		.amdhsa_next_free_vgpr 1
		.amdhsa_next_free_sgpr 1
		.amdhsa_reserve_vcc 0
		.amdhsa_reserve_flat_scratch 0
		.amdhsa_float_round_mode_32 0
		.amdhsa_float_round_mode_16_64 0
		.amdhsa_float_denorm_mode_32 3
		.amdhsa_float_denorm_mode_16_64 3
		.amdhsa_dx10_clamp 1
		.amdhsa_ieee_mode 1
		.amdhsa_fp16_overflow 0
		.amdhsa_workgroup_processor_mode 1
		.amdhsa_memory_ordered 1
		.amdhsa_forward_progress 1
		.amdhsa_shared_vgpr_count 0
		.amdhsa_exception_fp_ieee_invalid_op 0
		.amdhsa_exception_fp_denorm_src 0
		.amdhsa_exception_fp_ieee_div_zero 0
		.amdhsa_exception_fp_ieee_overflow 0
		.amdhsa_exception_fp_ieee_underflow 0
		.amdhsa_exception_fp_ieee_inexact 0
		.amdhsa_exception_int_div_zero 0
	.end_amdhsa_kernel
	.section	.text._ZN7rocprim17ROCPRIM_400000_NS6detail17trampoline_kernelINS0_14default_configENS1_36segmented_radix_sort_config_selectorI6__halflEEZNS1_25segmented_radix_sort_implIS3_Lb1EPKS5_PS5_PKlPlN2at6native12_GLOBAL__N_18offset_tEEE10hipError_tPvRmT1_PNSt15iterator_traitsISL_E10value_typeET2_T3_PNSM_ISR_E10value_typeET4_jRbjT5_SX_jjP12ihipStream_tbEUlT_E0_NS1_11comp_targetILNS1_3genE5ELNS1_11target_archE942ELNS1_3gpuE9ELNS1_3repE0EEENS1_60segmented_radix_sort_warp_sort_medium_config_static_selectorELNS0_4arch9wavefront6targetE0EEEvSL_,"axG",@progbits,_ZN7rocprim17ROCPRIM_400000_NS6detail17trampoline_kernelINS0_14default_configENS1_36segmented_radix_sort_config_selectorI6__halflEEZNS1_25segmented_radix_sort_implIS3_Lb1EPKS5_PS5_PKlPlN2at6native12_GLOBAL__N_18offset_tEEE10hipError_tPvRmT1_PNSt15iterator_traitsISL_E10value_typeET2_T3_PNSM_ISR_E10value_typeET4_jRbjT5_SX_jjP12ihipStream_tbEUlT_E0_NS1_11comp_targetILNS1_3genE5ELNS1_11target_archE942ELNS1_3gpuE9ELNS1_3repE0EEENS1_60segmented_radix_sort_warp_sort_medium_config_static_selectorELNS0_4arch9wavefront6targetE0EEEvSL_,comdat
.Lfunc_end1740:
	.size	_ZN7rocprim17ROCPRIM_400000_NS6detail17trampoline_kernelINS0_14default_configENS1_36segmented_radix_sort_config_selectorI6__halflEEZNS1_25segmented_radix_sort_implIS3_Lb1EPKS5_PS5_PKlPlN2at6native12_GLOBAL__N_18offset_tEEE10hipError_tPvRmT1_PNSt15iterator_traitsISL_E10value_typeET2_T3_PNSM_ISR_E10value_typeET4_jRbjT5_SX_jjP12ihipStream_tbEUlT_E0_NS1_11comp_targetILNS1_3genE5ELNS1_11target_archE942ELNS1_3gpuE9ELNS1_3repE0EEENS1_60segmented_radix_sort_warp_sort_medium_config_static_selectorELNS0_4arch9wavefront6targetE0EEEvSL_, .Lfunc_end1740-_ZN7rocprim17ROCPRIM_400000_NS6detail17trampoline_kernelINS0_14default_configENS1_36segmented_radix_sort_config_selectorI6__halflEEZNS1_25segmented_radix_sort_implIS3_Lb1EPKS5_PS5_PKlPlN2at6native12_GLOBAL__N_18offset_tEEE10hipError_tPvRmT1_PNSt15iterator_traitsISL_E10value_typeET2_T3_PNSM_ISR_E10value_typeET4_jRbjT5_SX_jjP12ihipStream_tbEUlT_E0_NS1_11comp_targetILNS1_3genE5ELNS1_11target_archE942ELNS1_3gpuE9ELNS1_3repE0EEENS1_60segmented_radix_sort_warp_sort_medium_config_static_selectorELNS0_4arch9wavefront6targetE0EEEvSL_
                                        ; -- End function
	.set _ZN7rocprim17ROCPRIM_400000_NS6detail17trampoline_kernelINS0_14default_configENS1_36segmented_radix_sort_config_selectorI6__halflEEZNS1_25segmented_radix_sort_implIS3_Lb1EPKS5_PS5_PKlPlN2at6native12_GLOBAL__N_18offset_tEEE10hipError_tPvRmT1_PNSt15iterator_traitsISL_E10value_typeET2_T3_PNSM_ISR_E10value_typeET4_jRbjT5_SX_jjP12ihipStream_tbEUlT_E0_NS1_11comp_targetILNS1_3genE5ELNS1_11target_archE942ELNS1_3gpuE9ELNS1_3repE0EEENS1_60segmented_radix_sort_warp_sort_medium_config_static_selectorELNS0_4arch9wavefront6targetE0EEEvSL_.num_vgpr, 0
	.set _ZN7rocprim17ROCPRIM_400000_NS6detail17trampoline_kernelINS0_14default_configENS1_36segmented_radix_sort_config_selectorI6__halflEEZNS1_25segmented_radix_sort_implIS3_Lb1EPKS5_PS5_PKlPlN2at6native12_GLOBAL__N_18offset_tEEE10hipError_tPvRmT1_PNSt15iterator_traitsISL_E10value_typeET2_T3_PNSM_ISR_E10value_typeET4_jRbjT5_SX_jjP12ihipStream_tbEUlT_E0_NS1_11comp_targetILNS1_3genE5ELNS1_11target_archE942ELNS1_3gpuE9ELNS1_3repE0EEENS1_60segmented_radix_sort_warp_sort_medium_config_static_selectorELNS0_4arch9wavefront6targetE0EEEvSL_.num_agpr, 0
	.set _ZN7rocprim17ROCPRIM_400000_NS6detail17trampoline_kernelINS0_14default_configENS1_36segmented_radix_sort_config_selectorI6__halflEEZNS1_25segmented_radix_sort_implIS3_Lb1EPKS5_PS5_PKlPlN2at6native12_GLOBAL__N_18offset_tEEE10hipError_tPvRmT1_PNSt15iterator_traitsISL_E10value_typeET2_T3_PNSM_ISR_E10value_typeET4_jRbjT5_SX_jjP12ihipStream_tbEUlT_E0_NS1_11comp_targetILNS1_3genE5ELNS1_11target_archE942ELNS1_3gpuE9ELNS1_3repE0EEENS1_60segmented_radix_sort_warp_sort_medium_config_static_selectorELNS0_4arch9wavefront6targetE0EEEvSL_.numbered_sgpr, 0
	.set _ZN7rocprim17ROCPRIM_400000_NS6detail17trampoline_kernelINS0_14default_configENS1_36segmented_radix_sort_config_selectorI6__halflEEZNS1_25segmented_radix_sort_implIS3_Lb1EPKS5_PS5_PKlPlN2at6native12_GLOBAL__N_18offset_tEEE10hipError_tPvRmT1_PNSt15iterator_traitsISL_E10value_typeET2_T3_PNSM_ISR_E10value_typeET4_jRbjT5_SX_jjP12ihipStream_tbEUlT_E0_NS1_11comp_targetILNS1_3genE5ELNS1_11target_archE942ELNS1_3gpuE9ELNS1_3repE0EEENS1_60segmented_radix_sort_warp_sort_medium_config_static_selectorELNS0_4arch9wavefront6targetE0EEEvSL_.num_named_barrier, 0
	.set _ZN7rocprim17ROCPRIM_400000_NS6detail17trampoline_kernelINS0_14default_configENS1_36segmented_radix_sort_config_selectorI6__halflEEZNS1_25segmented_radix_sort_implIS3_Lb1EPKS5_PS5_PKlPlN2at6native12_GLOBAL__N_18offset_tEEE10hipError_tPvRmT1_PNSt15iterator_traitsISL_E10value_typeET2_T3_PNSM_ISR_E10value_typeET4_jRbjT5_SX_jjP12ihipStream_tbEUlT_E0_NS1_11comp_targetILNS1_3genE5ELNS1_11target_archE942ELNS1_3gpuE9ELNS1_3repE0EEENS1_60segmented_radix_sort_warp_sort_medium_config_static_selectorELNS0_4arch9wavefront6targetE0EEEvSL_.private_seg_size, 0
	.set _ZN7rocprim17ROCPRIM_400000_NS6detail17trampoline_kernelINS0_14default_configENS1_36segmented_radix_sort_config_selectorI6__halflEEZNS1_25segmented_radix_sort_implIS3_Lb1EPKS5_PS5_PKlPlN2at6native12_GLOBAL__N_18offset_tEEE10hipError_tPvRmT1_PNSt15iterator_traitsISL_E10value_typeET2_T3_PNSM_ISR_E10value_typeET4_jRbjT5_SX_jjP12ihipStream_tbEUlT_E0_NS1_11comp_targetILNS1_3genE5ELNS1_11target_archE942ELNS1_3gpuE9ELNS1_3repE0EEENS1_60segmented_radix_sort_warp_sort_medium_config_static_selectorELNS0_4arch9wavefront6targetE0EEEvSL_.uses_vcc, 0
	.set _ZN7rocprim17ROCPRIM_400000_NS6detail17trampoline_kernelINS0_14default_configENS1_36segmented_radix_sort_config_selectorI6__halflEEZNS1_25segmented_radix_sort_implIS3_Lb1EPKS5_PS5_PKlPlN2at6native12_GLOBAL__N_18offset_tEEE10hipError_tPvRmT1_PNSt15iterator_traitsISL_E10value_typeET2_T3_PNSM_ISR_E10value_typeET4_jRbjT5_SX_jjP12ihipStream_tbEUlT_E0_NS1_11comp_targetILNS1_3genE5ELNS1_11target_archE942ELNS1_3gpuE9ELNS1_3repE0EEENS1_60segmented_radix_sort_warp_sort_medium_config_static_selectorELNS0_4arch9wavefront6targetE0EEEvSL_.uses_flat_scratch, 0
	.set _ZN7rocprim17ROCPRIM_400000_NS6detail17trampoline_kernelINS0_14default_configENS1_36segmented_radix_sort_config_selectorI6__halflEEZNS1_25segmented_radix_sort_implIS3_Lb1EPKS5_PS5_PKlPlN2at6native12_GLOBAL__N_18offset_tEEE10hipError_tPvRmT1_PNSt15iterator_traitsISL_E10value_typeET2_T3_PNSM_ISR_E10value_typeET4_jRbjT5_SX_jjP12ihipStream_tbEUlT_E0_NS1_11comp_targetILNS1_3genE5ELNS1_11target_archE942ELNS1_3gpuE9ELNS1_3repE0EEENS1_60segmented_radix_sort_warp_sort_medium_config_static_selectorELNS0_4arch9wavefront6targetE0EEEvSL_.has_dyn_sized_stack, 0
	.set _ZN7rocprim17ROCPRIM_400000_NS6detail17trampoline_kernelINS0_14default_configENS1_36segmented_radix_sort_config_selectorI6__halflEEZNS1_25segmented_radix_sort_implIS3_Lb1EPKS5_PS5_PKlPlN2at6native12_GLOBAL__N_18offset_tEEE10hipError_tPvRmT1_PNSt15iterator_traitsISL_E10value_typeET2_T3_PNSM_ISR_E10value_typeET4_jRbjT5_SX_jjP12ihipStream_tbEUlT_E0_NS1_11comp_targetILNS1_3genE5ELNS1_11target_archE942ELNS1_3gpuE9ELNS1_3repE0EEENS1_60segmented_radix_sort_warp_sort_medium_config_static_selectorELNS0_4arch9wavefront6targetE0EEEvSL_.has_recursion, 0
	.set _ZN7rocprim17ROCPRIM_400000_NS6detail17trampoline_kernelINS0_14default_configENS1_36segmented_radix_sort_config_selectorI6__halflEEZNS1_25segmented_radix_sort_implIS3_Lb1EPKS5_PS5_PKlPlN2at6native12_GLOBAL__N_18offset_tEEE10hipError_tPvRmT1_PNSt15iterator_traitsISL_E10value_typeET2_T3_PNSM_ISR_E10value_typeET4_jRbjT5_SX_jjP12ihipStream_tbEUlT_E0_NS1_11comp_targetILNS1_3genE5ELNS1_11target_archE942ELNS1_3gpuE9ELNS1_3repE0EEENS1_60segmented_radix_sort_warp_sort_medium_config_static_selectorELNS0_4arch9wavefront6targetE0EEEvSL_.has_indirect_call, 0
	.section	.AMDGPU.csdata,"",@progbits
; Kernel info:
; codeLenInByte = 0
; TotalNumSgprs: 0
; NumVgprs: 0
; ScratchSize: 0
; MemoryBound: 0
; FloatMode: 240
; IeeeMode: 1
; LDSByteSize: 0 bytes/workgroup (compile time only)
; SGPRBlocks: 0
; VGPRBlocks: 0
; NumSGPRsForWavesPerEU: 1
; NumVGPRsForWavesPerEU: 1
; Occupancy: 16
; WaveLimiterHint : 0
; COMPUTE_PGM_RSRC2:SCRATCH_EN: 0
; COMPUTE_PGM_RSRC2:USER_SGPR: 6
; COMPUTE_PGM_RSRC2:TRAP_HANDLER: 0
; COMPUTE_PGM_RSRC2:TGID_X_EN: 1
; COMPUTE_PGM_RSRC2:TGID_Y_EN: 0
; COMPUTE_PGM_RSRC2:TGID_Z_EN: 0
; COMPUTE_PGM_RSRC2:TIDIG_COMP_CNT: 0
	.section	.text._ZN7rocprim17ROCPRIM_400000_NS6detail17trampoline_kernelINS0_14default_configENS1_36segmented_radix_sort_config_selectorI6__halflEEZNS1_25segmented_radix_sort_implIS3_Lb1EPKS5_PS5_PKlPlN2at6native12_GLOBAL__N_18offset_tEEE10hipError_tPvRmT1_PNSt15iterator_traitsISL_E10value_typeET2_T3_PNSM_ISR_E10value_typeET4_jRbjT5_SX_jjP12ihipStream_tbEUlT_E0_NS1_11comp_targetILNS1_3genE4ELNS1_11target_archE910ELNS1_3gpuE8ELNS1_3repE0EEENS1_60segmented_radix_sort_warp_sort_medium_config_static_selectorELNS0_4arch9wavefront6targetE0EEEvSL_,"axG",@progbits,_ZN7rocprim17ROCPRIM_400000_NS6detail17trampoline_kernelINS0_14default_configENS1_36segmented_radix_sort_config_selectorI6__halflEEZNS1_25segmented_radix_sort_implIS3_Lb1EPKS5_PS5_PKlPlN2at6native12_GLOBAL__N_18offset_tEEE10hipError_tPvRmT1_PNSt15iterator_traitsISL_E10value_typeET2_T3_PNSM_ISR_E10value_typeET4_jRbjT5_SX_jjP12ihipStream_tbEUlT_E0_NS1_11comp_targetILNS1_3genE4ELNS1_11target_archE910ELNS1_3gpuE8ELNS1_3repE0EEENS1_60segmented_radix_sort_warp_sort_medium_config_static_selectorELNS0_4arch9wavefront6targetE0EEEvSL_,comdat
	.globl	_ZN7rocprim17ROCPRIM_400000_NS6detail17trampoline_kernelINS0_14default_configENS1_36segmented_radix_sort_config_selectorI6__halflEEZNS1_25segmented_radix_sort_implIS3_Lb1EPKS5_PS5_PKlPlN2at6native12_GLOBAL__N_18offset_tEEE10hipError_tPvRmT1_PNSt15iterator_traitsISL_E10value_typeET2_T3_PNSM_ISR_E10value_typeET4_jRbjT5_SX_jjP12ihipStream_tbEUlT_E0_NS1_11comp_targetILNS1_3genE4ELNS1_11target_archE910ELNS1_3gpuE8ELNS1_3repE0EEENS1_60segmented_radix_sort_warp_sort_medium_config_static_selectorELNS0_4arch9wavefront6targetE0EEEvSL_ ; -- Begin function _ZN7rocprim17ROCPRIM_400000_NS6detail17trampoline_kernelINS0_14default_configENS1_36segmented_radix_sort_config_selectorI6__halflEEZNS1_25segmented_radix_sort_implIS3_Lb1EPKS5_PS5_PKlPlN2at6native12_GLOBAL__N_18offset_tEEE10hipError_tPvRmT1_PNSt15iterator_traitsISL_E10value_typeET2_T3_PNSM_ISR_E10value_typeET4_jRbjT5_SX_jjP12ihipStream_tbEUlT_E0_NS1_11comp_targetILNS1_3genE4ELNS1_11target_archE910ELNS1_3gpuE8ELNS1_3repE0EEENS1_60segmented_radix_sort_warp_sort_medium_config_static_selectorELNS0_4arch9wavefront6targetE0EEEvSL_
	.p2align	8
	.type	_ZN7rocprim17ROCPRIM_400000_NS6detail17trampoline_kernelINS0_14default_configENS1_36segmented_radix_sort_config_selectorI6__halflEEZNS1_25segmented_radix_sort_implIS3_Lb1EPKS5_PS5_PKlPlN2at6native12_GLOBAL__N_18offset_tEEE10hipError_tPvRmT1_PNSt15iterator_traitsISL_E10value_typeET2_T3_PNSM_ISR_E10value_typeET4_jRbjT5_SX_jjP12ihipStream_tbEUlT_E0_NS1_11comp_targetILNS1_3genE4ELNS1_11target_archE910ELNS1_3gpuE8ELNS1_3repE0EEENS1_60segmented_radix_sort_warp_sort_medium_config_static_selectorELNS0_4arch9wavefront6targetE0EEEvSL_,@function
_ZN7rocprim17ROCPRIM_400000_NS6detail17trampoline_kernelINS0_14default_configENS1_36segmented_radix_sort_config_selectorI6__halflEEZNS1_25segmented_radix_sort_implIS3_Lb1EPKS5_PS5_PKlPlN2at6native12_GLOBAL__N_18offset_tEEE10hipError_tPvRmT1_PNSt15iterator_traitsISL_E10value_typeET2_T3_PNSM_ISR_E10value_typeET4_jRbjT5_SX_jjP12ihipStream_tbEUlT_E0_NS1_11comp_targetILNS1_3genE4ELNS1_11target_archE910ELNS1_3gpuE8ELNS1_3repE0EEENS1_60segmented_radix_sort_warp_sort_medium_config_static_selectorELNS0_4arch9wavefront6targetE0EEEvSL_: ; @_ZN7rocprim17ROCPRIM_400000_NS6detail17trampoline_kernelINS0_14default_configENS1_36segmented_radix_sort_config_selectorI6__halflEEZNS1_25segmented_radix_sort_implIS3_Lb1EPKS5_PS5_PKlPlN2at6native12_GLOBAL__N_18offset_tEEE10hipError_tPvRmT1_PNSt15iterator_traitsISL_E10value_typeET2_T3_PNSM_ISR_E10value_typeET4_jRbjT5_SX_jjP12ihipStream_tbEUlT_E0_NS1_11comp_targetILNS1_3genE4ELNS1_11target_archE910ELNS1_3gpuE8ELNS1_3repE0EEENS1_60segmented_radix_sort_warp_sort_medium_config_static_selectorELNS0_4arch9wavefront6targetE0EEEvSL_
; %bb.0:
	.section	.rodata,"a",@progbits
	.p2align	6, 0x0
	.amdhsa_kernel _ZN7rocprim17ROCPRIM_400000_NS6detail17trampoline_kernelINS0_14default_configENS1_36segmented_radix_sort_config_selectorI6__halflEEZNS1_25segmented_radix_sort_implIS3_Lb1EPKS5_PS5_PKlPlN2at6native12_GLOBAL__N_18offset_tEEE10hipError_tPvRmT1_PNSt15iterator_traitsISL_E10value_typeET2_T3_PNSM_ISR_E10value_typeET4_jRbjT5_SX_jjP12ihipStream_tbEUlT_E0_NS1_11comp_targetILNS1_3genE4ELNS1_11target_archE910ELNS1_3gpuE8ELNS1_3repE0EEENS1_60segmented_radix_sort_warp_sort_medium_config_static_selectorELNS0_4arch9wavefront6targetE0EEEvSL_
		.amdhsa_group_segment_fixed_size 0
		.amdhsa_private_segment_fixed_size 0
		.amdhsa_kernarg_size 88
		.amdhsa_user_sgpr_count 6
		.amdhsa_user_sgpr_private_segment_buffer 1
		.amdhsa_user_sgpr_dispatch_ptr 0
		.amdhsa_user_sgpr_queue_ptr 0
		.amdhsa_user_sgpr_kernarg_segment_ptr 1
		.amdhsa_user_sgpr_dispatch_id 0
		.amdhsa_user_sgpr_flat_scratch_init 0
		.amdhsa_user_sgpr_private_segment_size 0
		.amdhsa_wavefront_size32 1
		.amdhsa_uses_dynamic_stack 0
		.amdhsa_system_sgpr_private_segment_wavefront_offset 0
		.amdhsa_system_sgpr_workgroup_id_x 1
		.amdhsa_system_sgpr_workgroup_id_y 0
		.amdhsa_system_sgpr_workgroup_id_z 0
		.amdhsa_system_sgpr_workgroup_info 0
		.amdhsa_system_vgpr_workitem_id 0
		.amdhsa_next_free_vgpr 1
		.amdhsa_next_free_sgpr 1
		.amdhsa_reserve_vcc 0
		.amdhsa_reserve_flat_scratch 0
		.amdhsa_float_round_mode_32 0
		.amdhsa_float_round_mode_16_64 0
		.amdhsa_float_denorm_mode_32 3
		.amdhsa_float_denorm_mode_16_64 3
		.amdhsa_dx10_clamp 1
		.amdhsa_ieee_mode 1
		.amdhsa_fp16_overflow 0
		.amdhsa_workgroup_processor_mode 1
		.amdhsa_memory_ordered 1
		.amdhsa_forward_progress 1
		.amdhsa_shared_vgpr_count 0
		.amdhsa_exception_fp_ieee_invalid_op 0
		.amdhsa_exception_fp_denorm_src 0
		.amdhsa_exception_fp_ieee_div_zero 0
		.amdhsa_exception_fp_ieee_overflow 0
		.amdhsa_exception_fp_ieee_underflow 0
		.amdhsa_exception_fp_ieee_inexact 0
		.amdhsa_exception_int_div_zero 0
	.end_amdhsa_kernel
	.section	.text._ZN7rocprim17ROCPRIM_400000_NS6detail17trampoline_kernelINS0_14default_configENS1_36segmented_radix_sort_config_selectorI6__halflEEZNS1_25segmented_radix_sort_implIS3_Lb1EPKS5_PS5_PKlPlN2at6native12_GLOBAL__N_18offset_tEEE10hipError_tPvRmT1_PNSt15iterator_traitsISL_E10value_typeET2_T3_PNSM_ISR_E10value_typeET4_jRbjT5_SX_jjP12ihipStream_tbEUlT_E0_NS1_11comp_targetILNS1_3genE4ELNS1_11target_archE910ELNS1_3gpuE8ELNS1_3repE0EEENS1_60segmented_radix_sort_warp_sort_medium_config_static_selectorELNS0_4arch9wavefront6targetE0EEEvSL_,"axG",@progbits,_ZN7rocprim17ROCPRIM_400000_NS6detail17trampoline_kernelINS0_14default_configENS1_36segmented_radix_sort_config_selectorI6__halflEEZNS1_25segmented_radix_sort_implIS3_Lb1EPKS5_PS5_PKlPlN2at6native12_GLOBAL__N_18offset_tEEE10hipError_tPvRmT1_PNSt15iterator_traitsISL_E10value_typeET2_T3_PNSM_ISR_E10value_typeET4_jRbjT5_SX_jjP12ihipStream_tbEUlT_E0_NS1_11comp_targetILNS1_3genE4ELNS1_11target_archE910ELNS1_3gpuE8ELNS1_3repE0EEENS1_60segmented_radix_sort_warp_sort_medium_config_static_selectorELNS0_4arch9wavefront6targetE0EEEvSL_,comdat
.Lfunc_end1741:
	.size	_ZN7rocprim17ROCPRIM_400000_NS6detail17trampoline_kernelINS0_14default_configENS1_36segmented_radix_sort_config_selectorI6__halflEEZNS1_25segmented_radix_sort_implIS3_Lb1EPKS5_PS5_PKlPlN2at6native12_GLOBAL__N_18offset_tEEE10hipError_tPvRmT1_PNSt15iterator_traitsISL_E10value_typeET2_T3_PNSM_ISR_E10value_typeET4_jRbjT5_SX_jjP12ihipStream_tbEUlT_E0_NS1_11comp_targetILNS1_3genE4ELNS1_11target_archE910ELNS1_3gpuE8ELNS1_3repE0EEENS1_60segmented_radix_sort_warp_sort_medium_config_static_selectorELNS0_4arch9wavefront6targetE0EEEvSL_, .Lfunc_end1741-_ZN7rocprim17ROCPRIM_400000_NS6detail17trampoline_kernelINS0_14default_configENS1_36segmented_radix_sort_config_selectorI6__halflEEZNS1_25segmented_radix_sort_implIS3_Lb1EPKS5_PS5_PKlPlN2at6native12_GLOBAL__N_18offset_tEEE10hipError_tPvRmT1_PNSt15iterator_traitsISL_E10value_typeET2_T3_PNSM_ISR_E10value_typeET4_jRbjT5_SX_jjP12ihipStream_tbEUlT_E0_NS1_11comp_targetILNS1_3genE4ELNS1_11target_archE910ELNS1_3gpuE8ELNS1_3repE0EEENS1_60segmented_radix_sort_warp_sort_medium_config_static_selectorELNS0_4arch9wavefront6targetE0EEEvSL_
                                        ; -- End function
	.set _ZN7rocprim17ROCPRIM_400000_NS6detail17trampoline_kernelINS0_14default_configENS1_36segmented_radix_sort_config_selectorI6__halflEEZNS1_25segmented_radix_sort_implIS3_Lb1EPKS5_PS5_PKlPlN2at6native12_GLOBAL__N_18offset_tEEE10hipError_tPvRmT1_PNSt15iterator_traitsISL_E10value_typeET2_T3_PNSM_ISR_E10value_typeET4_jRbjT5_SX_jjP12ihipStream_tbEUlT_E0_NS1_11comp_targetILNS1_3genE4ELNS1_11target_archE910ELNS1_3gpuE8ELNS1_3repE0EEENS1_60segmented_radix_sort_warp_sort_medium_config_static_selectorELNS0_4arch9wavefront6targetE0EEEvSL_.num_vgpr, 0
	.set _ZN7rocprim17ROCPRIM_400000_NS6detail17trampoline_kernelINS0_14default_configENS1_36segmented_radix_sort_config_selectorI6__halflEEZNS1_25segmented_radix_sort_implIS3_Lb1EPKS5_PS5_PKlPlN2at6native12_GLOBAL__N_18offset_tEEE10hipError_tPvRmT1_PNSt15iterator_traitsISL_E10value_typeET2_T3_PNSM_ISR_E10value_typeET4_jRbjT5_SX_jjP12ihipStream_tbEUlT_E0_NS1_11comp_targetILNS1_3genE4ELNS1_11target_archE910ELNS1_3gpuE8ELNS1_3repE0EEENS1_60segmented_radix_sort_warp_sort_medium_config_static_selectorELNS0_4arch9wavefront6targetE0EEEvSL_.num_agpr, 0
	.set _ZN7rocprim17ROCPRIM_400000_NS6detail17trampoline_kernelINS0_14default_configENS1_36segmented_radix_sort_config_selectorI6__halflEEZNS1_25segmented_radix_sort_implIS3_Lb1EPKS5_PS5_PKlPlN2at6native12_GLOBAL__N_18offset_tEEE10hipError_tPvRmT1_PNSt15iterator_traitsISL_E10value_typeET2_T3_PNSM_ISR_E10value_typeET4_jRbjT5_SX_jjP12ihipStream_tbEUlT_E0_NS1_11comp_targetILNS1_3genE4ELNS1_11target_archE910ELNS1_3gpuE8ELNS1_3repE0EEENS1_60segmented_radix_sort_warp_sort_medium_config_static_selectorELNS0_4arch9wavefront6targetE0EEEvSL_.numbered_sgpr, 0
	.set _ZN7rocprim17ROCPRIM_400000_NS6detail17trampoline_kernelINS0_14default_configENS1_36segmented_radix_sort_config_selectorI6__halflEEZNS1_25segmented_radix_sort_implIS3_Lb1EPKS5_PS5_PKlPlN2at6native12_GLOBAL__N_18offset_tEEE10hipError_tPvRmT1_PNSt15iterator_traitsISL_E10value_typeET2_T3_PNSM_ISR_E10value_typeET4_jRbjT5_SX_jjP12ihipStream_tbEUlT_E0_NS1_11comp_targetILNS1_3genE4ELNS1_11target_archE910ELNS1_3gpuE8ELNS1_3repE0EEENS1_60segmented_radix_sort_warp_sort_medium_config_static_selectorELNS0_4arch9wavefront6targetE0EEEvSL_.num_named_barrier, 0
	.set _ZN7rocprim17ROCPRIM_400000_NS6detail17trampoline_kernelINS0_14default_configENS1_36segmented_radix_sort_config_selectorI6__halflEEZNS1_25segmented_radix_sort_implIS3_Lb1EPKS5_PS5_PKlPlN2at6native12_GLOBAL__N_18offset_tEEE10hipError_tPvRmT1_PNSt15iterator_traitsISL_E10value_typeET2_T3_PNSM_ISR_E10value_typeET4_jRbjT5_SX_jjP12ihipStream_tbEUlT_E0_NS1_11comp_targetILNS1_3genE4ELNS1_11target_archE910ELNS1_3gpuE8ELNS1_3repE0EEENS1_60segmented_radix_sort_warp_sort_medium_config_static_selectorELNS0_4arch9wavefront6targetE0EEEvSL_.private_seg_size, 0
	.set _ZN7rocprim17ROCPRIM_400000_NS6detail17trampoline_kernelINS0_14default_configENS1_36segmented_radix_sort_config_selectorI6__halflEEZNS1_25segmented_radix_sort_implIS3_Lb1EPKS5_PS5_PKlPlN2at6native12_GLOBAL__N_18offset_tEEE10hipError_tPvRmT1_PNSt15iterator_traitsISL_E10value_typeET2_T3_PNSM_ISR_E10value_typeET4_jRbjT5_SX_jjP12ihipStream_tbEUlT_E0_NS1_11comp_targetILNS1_3genE4ELNS1_11target_archE910ELNS1_3gpuE8ELNS1_3repE0EEENS1_60segmented_radix_sort_warp_sort_medium_config_static_selectorELNS0_4arch9wavefront6targetE0EEEvSL_.uses_vcc, 0
	.set _ZN7rocprim17ROCPRIM_400000_NS6detail17trampoline_kernelINS0_14default_configENS1_36segmented_radix_sort_config_selectorI6__halflEEZNS1_25segmented_radix_sort_implIS3_Lb1EPKS5_PS5_PKlPlN2at6native12_GLOBAL__N_18offset_tEEE10hipError_tPvRmT1_PNSt15iterator_traitsISL_E10value_typeET2_T3_PNSM_ISR_E10value_typeET4_jRbjT5_SX_jjP12ihipStream_tbEUlT_E0_NS1_11comp_targetILNS1_3genE4ELNS1_11target_archE910ELNS1_3gpuE8ELNS1_3repE0EEENS1_60segmented_radix_sort_warp_sort_medium_config_static_selectorELNS0_4arch9wavefront6targetE0EEEvSL_.uses_flat_scratch, 0
	.set _ZN7rocprim17ROCPRIM_400000_NS6detail17trampoline_kernelINS0_14default_configENS1_36segmented_radix_sort_config_selectorI6__halflEEZNS1_25segmented_radix_sort_implIS3_Lb1EPKS5_PS5_PKlPlN2at6native12_GLOBAL__N_18offset_tEEE10hipError_tPvRmT1_PNSt15iterator_traitsISL_E10value_typeET2_T3_PNSM_ISR_E10value_typeET4_jRbjT5_SX_jjP12ihipStream_tbEUlT_E0_NS1_11comp_targetILNS1_3genE4ELNS1_11target_archE910ELNS1_3gpuE8ELNS1_3repE0EEENS1_60segmented_radix_sort_warp_sort_medium_config_static_selectorELNS0_4arch9wavefront6targetE0EEEvSL_.has_dyn_sized_stack, 0
	.set _ZN7rocprim17ROCPRIM_400000_NS6detail17trampoline_kernelINS0_14default_configENS1_36segmented_radix_sort_config_selectorI6__halflEEZNS1_25segmented_radix_sort_implIS3_Lb1EPKS5_PS5_PKlPlN2at6native12_GLOBAL__N_18offset_tEEE10hipError_tPvRmT1_PNSt15iterator_traitsISL_E10value_typeET2_T3_PNSM_ISR_E10value_typeET4_jRbjT5_SX_jjP12ihipStream_tbEUlT_E0_NS1_11comp_targetILNS1_3genE4ELNS1_11target_archE910ELNS1_3gpuE8ELNS1_3repE0EEENS1_60segmented_radix_sort_warp_sort_medium_config_static_selectorELNS0_4arch9wavefront6targetE0EEEvSL_.has_recursion, 0
	.set _ZN7rocprim17ROCPRIM_400000_NS6detail17trampoline_kernelINS0_14default_configENS1_36segmented_radix_sort_config_selectorI6__halflEEZNS1_25segmented_radix_sort_implIS3_Lb1EPKS5_PS5_PKlPlN2at6native12_GLOBAL__N_18offset_tEEE10hipError_tPvRmT1_PNSt15iterator_traitsISL_E10value_typeET2_T3_PNSM_ISR_E10value_typeET4_jRbjT5_SX_jjP12ihipStream_tbEUlT_E0_NS1_11comp_targetILNS1_3genE4ELNS1_11target_archE910ELNS1_3gpuE8ELNS1_3repE0EEENS1_60segmented_radix_sort_warp_sort_medium_config_static_selectorELNS0_4arch9wavefront6targetE0EEEvSL_.has_indirect_call, 0
	.section	.AMDGPU.csdata,"",@progbits
; Kernel info:
; codeLenInByte = 0
; TotalNumSgprs: 0
; NumVgprs: 0
; ScratchSize: 0
; MemoryBound: 0
; FloatMode: 240
; IeeeMode: 1
; LDSByteSize: 0 bytes/workgroup (compile time only)
; SGPRBlocks: 0
; VGPRBlocks: 0
; NumSGPRsForWavesPerEU: 1
; NumVGPRsForWavesPerEU: 1
; Occupancy: 16
; WaveLimiterHint : 0
; COMPUTE_PGM_RSRC2:SCRATCH_EN: 0
; COMPUTE_PGM_RSRC2:USER_SGPR: 6
; COMPUTE_PGM_RSRC2:TRAP_HANDLER: 0
; COMPUTE_PGM_RSRC2:TGID_X_EN: 1
; COMPUTE_PGM_RSRC2:TGID_Y_EN: 0
; COMPUTE_PGM_RSRC2:TGID_Z_EN: 0
; COMPUTE_PGM_RSRC2:TIDIG_COMP_CNT: 0
	.section	.text._ZN7rocprim17ROCPRIM_400000_NS6detail17trampoline_kernelINS0_14default_configENS1_36segmented_radix_sort_config_selectorI6__halflEEZNS1_25segmented_radix_sort_implIS3_Lb1EPKS5_PS5_PKlPlN2at6native12_GLOBAL__N_18offset_tEEE10hipError_tPvRmT1_PNSt15iterator_traitsISL_E10value_typeET2_T3_PNSM_ISR_E10value_typeET4_jRbjT5_SX_jjP12ihipStream_tbEUlT_E0_NS1_11comp_targetILNS1_3genE3ELNS1_11target_archE908ELNS1_3gpuE7ELNS1_3repE0EEENS1_60segmented_radix_sort_warp_sort_medium_config_static_selectorELNS0_4arch9wavefront6targetE0EEEvSL_,"axG",@progbits,_ZN7rocprim17ROCPRIM_400000_NS6detail17trampoline_kernelINS0_14default_configENS1_36segmented_radix_sort_config_selectorI6__halflEEZNS1_25segmented_radix_sort_implIS3_Lb1EPKS5_PS5_PKlPlN2at6native12_GLOBAL__N_18offset_tEEE10hipError_tPvRmT1_PNSt15iterator_traitsISL_E10value_typeET2_T3_PNSM_ISR_E10value_typeET4_jRbjT5_SX_jjP12ihipStream_tbEUlT_E0_NS1_11comp_targetILNS1_3genE3ELNS1_11target_archE908ELNS1_3gpuE7ELNS1_3repE0EEENS1_60segmented_radix_sort_warp_sort_medium_config_static_selectorELNS0_4arch9wavefront6targetE0EEEvSL_,comdat
	.globl	_ZN7rocprim17ROCPRIM_400000_NS6detail17trampoline_kernelINS0_14default_configENS1_36segmented_radix_sort_config_selectorI6__halflEEZNS1_25segmented_radix_sort_implIS3_Lb1EPKS5_PS5_PKlPlN2at6native12_GLOBAL__N_18offset_tEEE10hipError_tPvRmT1_PNSt15iterator_traitsISL_E10value_typeET2_T3_PNSM_ISR_E10value_typeET4_jRbjT5_SX_jjP12ihipStream_tbEUlT_E0_NS1_11comp_targetILNS1_3genE3ELNS1_11target_archE908ELNS1_3gpuE7ELNS1_3repE0EEENS1_60segmented_radix_sort_warp_sort_medium_config_static_selectorELNS0_4arch9wavefront6targetE0EEEvSL_ ; -- Begin function _ZN7rocprim17ROCPRIM_400000_NS6detail17trampoline_kernelINS0_14default_configENS1_36segmented_radix_sort_config_selectorI6__halflEEZNS1_25segmented_radix_sort_implIS3_Lb1EPKS5_PS5_PKlPlN2at6native12_GLOBAL__N_18offset_tEEE10hipError_tPvRmT1_PNSt15iterator_traitsISL_E10value_typeET2_T3_PNSM_ISR_E10value_typeET4_jRbjT5_SX_jjP12ihipStream_tbEUlT_E0_NS1_11comp_targetILNS1_3genE3ELNS1_11target_archE908ELNS1_3gpuE7ELNS1_3repE0EEENS1_60segmented_radix_sort_warp_sort_medium_config_static_selectorELNS0_4arch9wavefront6targetE0EEEvSL_
	.p2align	8
	.type	_ZN7rocprim17ROCPRIM_400000_NS6detail17trampoline_kernelINS0_14default_configENS1_36segmented_radix_sort_config_selectorI6__halflEEZNS1_25segmented_radix_sort_implIS3_Lb1EPKS5_PS5_PKlPlN2at6native12_GLOBAL__N_18offset_tEEE10hipError_tPvRmT1_PNSt15iterator_traitsISL_E10value_typeET2_T3_PNSM_ISR_E10value_typeET4_jRbjT5_SX_jjP12ihipStream_tbEUlT_E0_NS1_11comp_targetILNS1_3genE3ELNS1_11target_archE908ELNS1_3gpuE7ELNS1_3repE0EEENS1_60segmented_radix_sort_warp_sort_medium_config_static_selectorELNS0_4arch9wavefront6targetE0EEEvSL_,@function
_ZN7rocprim17ROCPRIM_400000_NS6detail17trampoline_kernelINS0_14default_configENS1_36segmented_radix_sort_config_selectorI6__halflEEZNS1_25segmented_radix_sort_implIS3_Lb1EPKS5_PS5_PKlPlN2at6native12_GLOBAL__N_18offset_tEEE10hipError_tPvRmT1_PNSt15iterator_traitsISL_E10value_typeET2_T3_PNSM_ISR_E10value_typeET4_jRbjT5_SX_jjP12ihipStream_tbEUlT_E0_NS1_11comp_targetILNS1_3genE3ELNS1_11target_archE908ELNS1_3gpuE7ELNS1_3repE0EEENS1_60segmented_radix_sort_warp_sort_medium_config_static_selectorELNS0_4arch9wavefront6targetE0EEEvSL_: ; @_ZN7rocprim17ROCPRIM_400000_NS6detail17trampoline_kernelINS0_14default_configENS1_36segmented_radix_sort_config_selectorI6__halflEEZNS1_25segmented_radix_sort_implIS3_Lb1EPKS5_PS5_PKlPlN2at6native12_GLOBAL__N_18offset_tEEE10hipError_tPvRmT1_PNSt15iterator_traitsISL_E10value_typeET2_T3_PNSM_ISR_E10value_typeET4_jRbjT5_SX_jjP12ihipStream_tbEUlT_E0_NS1_11comp_targetILNS1_3genE3ELNS1_11target_archE908ELNS1_3gpuE7ELNS1_3repE0EEENS1_60segmented_radix_sort_warp_sort_medium_config_static_selectorELNS0_4arch9wavefront6targetE0EEEvSL_
; %bb.0:
	.section	.rodata,"a",@progbits
	.p2align	6, 0x0
	.amdhsa_kernel _ZN7rocprim17ROCPRIM_400000_NS6detail17trampoline_kernelINS0_14default_configENS1_36segmented_radix_sort_config_selectorI6__halflEEZNS1_25segmented_radix_sort_implIS3_Lb1EPKS5_PS5_PKlPlN2at6native12_GLOBAL__N_18offset_tEEE10hipError_tPvRmT1_PNSt15iterator_traitsISL_E10value_typeET2_T3_PNSM_ISR_E10value_typeET4_jRbjT5_SX_jjP12ihipStream_tbEUlT_E0_NS1_11comp_targetILNS1_3genE3ELNS1_11target_archE908ELNS1_3gpuE7ELNS1_3repE0EEENS1_60segmented_radix_sort_warp_sort_medium_config_static_selectorELNS0_4arch9wavefront6targetE0EEEvSL_
		.amdhsa_group_segment_fixed_size 0
		.amdhsa_private_segment_fixed_size 0
		.amdhsa_kernarg_size 88
		.amdhsa_user_sgpr_count 6
		.amdhsa_user_sgpr_private_segment_buffer 1
		.amdhsa_user_sgpr_dispatch_ptr 0
		.amdhsa_user_sgpr_queue_ptr 0
		.amdhsa_user_sgpr_kernarg_segment_ptr 1
		.amdhsa_user_sgpr_dispatch_id 0
		.amdhsa_user_sgpr_flat_scratch_init 0
		.amdhsa_user_sgpr_private_segment_size 0
		.amdhsa_wavefront_size32 1
		.amdhsa_uses_dynamic_stack 0
		.amdhsa_system_sgpr_private_segment_wavefront_offset 0
		.amdhsa_system_sgpr_workgroup_id_x 1
		.amdhsa_system_sgpr_workgroup_id_y 0
		.amdhsa_system_sgpr_workgroup_id_z 0
		.amdhsa_system_sgpr_workgroup_info 0
		.amdhsa_system_vgpr_workitem_id 0
		.amdhsa_next_free_vgpr 1
		.amdhsa_next_free_sgpr 1
		.amdhsa_reserve_vcc 0
		.amdhsa_reserve_flat_scratch 0
		.amdhsa_float_round_mode_32 0
		.amdhsa_float_round_mode_16_64 0
		.amdhsa_float_denorm_mode_32 3
		.amdhsa_float_denorm_mode_16_64 3
		.amdhsa_dx10_clamp 1
		.amdhsa_ieee_mode 1
		.amdhsa_fp16_overflow 0
		.amdhsa_workgroup_processor_mode 1
		.amdhsa_memory_ordered 1
		.amdhsa_forward_progress 1
		.amdhsa_shared_vgpr_count 0
		.amdhsa_exception_fp_ieee_invalid_op 0
		.amdhsa_exception_fp_denorm_src 0
		.amdhsa_exception_fp_ieee_div_zero 0
		.amdhsa_exception_fp_ieee_overflow 0
		.amdhsa_exception_fp_ieee_underflow 0
		.amdhsa_exception_fp_ieee_inexact 0
		.amdhsa_exception_int_div_zero 0
	.end_amdhsa_kernel
	.section	.text._ZN7rocprim17ROCPRIM_400000_NS6detail17trampoline_kernelINS0_14default_configENS1_36segmented_radix_sort_config_selectorI6__halflEEZNS1_25segmented_radix_sort_implIS3_Lb1EPKS5_PS5_PKlPlN2at6native12_GLOBAL__N_18offset_tEEE10hipError_tPvRmT1_PNSt15iterator_traitsISL_E10value_typeET2_T3_PNSM_ISR_E10value_typeET4_jRbjT5_SX_jjP12ihipStream_tbEUlT_E0_NS1_11comp_targetILNS1_3genE3ELNS1_11target_archE908ELNS1_3gpuE7ELNS1_3repE0EEENS1_60segmented_radix_sort_warp_sort_medium_config_static_selectorELNS0_4arch9wavefront6targetE0EEEvSL_,"axG",@progbits,_ZN7rocprim17ROCPRIM_400000_NS6detail17trampoline_kernelINS0_14default_configENS1_36segmented_radix_sort_config_selectorI6__halflEEZNS1_25segmented_radix_sort_implIS3_Lb1EPKS5_PS5_PKlPlN2at6native12_GLOBAL__N_18offset_tEEE10hipError_tPvRmT1_PNSt15iterator_traitsISL_E10value_typeET2_T3_PNSM_ISR_E10value_typeET4_jRbjT5_SX_jjP12ihipStream_tbEUlT_E0_NS1_11comp_targetILNS1_3genE3ELNS1_11target_archE908ELNS1_3gpuE7ELNS1_3repE0EEENS1_60segmented_radix_sort_warp_sort_medium_config_static_selectorELNS0_4arch9wavefront6targetE0EEEvSL_,comdat
.Lfunc_end1742:
	.size	_ZN7rocprim17ROCPRIM_400000_NS6detail17trampoline_kernelINS0_14default_configENS1_36segmented_radix_sort_config_selectorI6__halflEEZNS1_25segmented_radix_sort_implIS3_Lb1EPKS5_PS5_PKlPlN2at6native12_GLOBAL__N_18offset_tEEE10hipError_tPvRmT1_PNSt15iterator_traitsISL_E10value_typeET2_T3_PNSM_ISR_E10value_typeET4_jRbjT5_SX_jjP12ihipStream_tbEUlT_E0_NS1_11comp_targetILNS1_3genE3ELNS1_11target_archE908ELNS1_3gpuE7ELNS1_3repE0EEENS1_60segmented_radix_sort_warp_sort_medium_config_static_selectorELNS0_4arch9wavefront6targetE0EEEvSL_, .Lfunc_end1742-_ZN7rocprim17ROCPRIM_400000_NS6detail17trampoline_kernelINS0_14default_configENS1_36segmented_radix_sort_config_selectorI6__halflEEZNS1_25segmented_radix_sort_implIS3_Lb1EPKS5_PS5_PKlPlN2at6native12_GLOBAL__N_18offset_tEEE10hipError_tPvRmT1_PNSt15iterator_traitsISL_E10value_typeET2_T3_PNSM_ISR_E10value_typeET4_jRbjT5_SX_jjP12ihipStream_tbEUlT_E0_NS1_11comp_targetILNS1_3genE3ELNS1_11target_archE908ELNS1_3gpuE7ELNS1_3repE0EEENS1_60segmented_radix_sort_warp_sort_medium_config_static_selectorELNS0_4arch9wavefront6targetE0EEEvSL_
                                        ; -- End function
	.set _ZN7rocprim17ROCPRIM_400000_NS6detail17trampoline_kernelINS0_14default_configENS1_36segmented_radix_sort_config_selectorI6__halflEEZNS1_25segmented_radix_sort_implIS3_Lb1EPKS5_PS5_PKlPlN2at6native12_GLOBAL__N_18offset_tEEE10hipError_tPvRmT1_PNSt15iterator_traitsISL_E10value_typeET2_T3_PNSM_ISR_E10value_typeET4_jRbjT5_SX_jjP12ihipStream_tbEUlT_E0_NS1_11comp_targetILNS1_3genE3ELNS1_11target_archE908ELNS1_3gpuE7ELNS1_3repE0EEENS1_60segmented_radix_sort_warp_sort_medium_config_static_selectorELNS0_4arch9wavefront6targetE0EEEvSL_.num_vgpr, 0
	.set _ZN7rocprim17ROCPRIM_400000_NS6detail17trampoline_kernelINS0_14default_configENS1_36segmented_radix_sort_config_selectorI6__halflEEZNS1_25segmented_radix_sort_implIS3_Lb1EPKS5_PS5_PKlPlN2at6native12_GLOBAL__N_18offset_tEEE10hipError_tPvRmT1_PNSt15iterator_traitsISL_E10value_typeET2_T3_PNSM_ISR_E10value_typeET4_jRbjT5_SX_jjP12ihipStream_tbEUlT_E0_NS1_11comp_targetILNS1_3genE3ELNS1_11target_archE908ELNS1_3gpuE7ELNS1_3repE0EEENS1_60segmented_radix_sort_warp_sort_medium_config_static_selectorELNS0_4arch9wavefront6targetE0EEEvSL_.num_agpr, 0
	.set _ZN7rocprim17ROCPRIM_400000_NS6detail17trampoline_kernelINS0_14default_configENS1_36segmented_radix_sort_config_selectorI6__halflEEZNS1_25segmented_radix_sort_implIS3_Lb1EPKS5_PS5_PKlPlN2at6native12_GLOBAL__N_18offset_tEEE10hipError_tPvRmT1_PNSt15iterator_traitsISL_E10value_typeET2_T3_PNSM_ISR_E10value_typeET4_jRbjT5_SX_jjP12ihipStream_tbEUlT_E0_NS1_11comp_targetILNS1_3genE3ELNS1_11target_archE908ELNS1_3gpuE7ELNS1_3repE0EEENS1_60segmented_radix_sort_warp_sort_medium_config_static_selectorELNS0_4arch9wavefront6targetE0EEEvSL_.numbered_sgpr, 0
	.set _ZN7rocprim17ROCPRIM_400000_NS6detail17trampoline_kernelINS0_14default_configENS1_36segmented_radix_sort_config_selectorI6__halflEEZNS1_25segmented_radix_sort_implIS3_Lb1EPKS5_PS5_PKlPlN2at6native12_GLOBAL__N_18offset_tEEE10hipError_tPvRmT1_PNSt15iterator_traitsISL_E10value_typeET2_T3_PNSM_ISR_E10value_typeET4_jRbjT5_SX_jjP12ihipStream_tbEUlT_E0_NS1_11comp_targetILNS1_3genE3ELNS1_11target_archE908ELNS1_3gpuE7ELNS1_3repE0EEENS1_60segmented_radix_sort_warp_sort_medium_config_static_selectorELNS0_4arch9wavefront6targetE0EEEvSL_.num_named_barrier, 0
	.set _ZN7rocprim17ROCPRIM_400000_NS6detail17trampoline_kernelINS0_14default_configENS1_36segmented_radix_sort_config_selectorI6__halflEEZNS1_25segmented_radix_sort_implIS3_Lb1EPKS5_PS5_PKlPlN2at6native12_GLOBAL__N_18offset_tEEE10hipError_tPvRmT1_PNSt15iterator_traitsISL_E10value_typeET2_T3_PNSM_ISR_E10value_typeET4_jRbjT5_SX_jjP12ihipStream_tbEUlT_E0_NS1_11comp_targetILNS1_3genE3ELNS1_11target_archE908ELNS1_3gpuE7ELNS1_3repE0EEENS1_60segmented_radix_sort_warp_sort_medium_config_static_selectorELNS0_4arch9wavefront6targetE0EEEvSL_.private_seg_size, 0
	.set _ZN7rocprim17ROCPRIM_400000_NS6detail17trampoline_kernelINS0_14default_configENS1_36segmented_radix_sort_config_selectorI6__halflEEZNS1_25segmented_radix_sort_implIS3_Lb1EPKS5_PS5_PKlPlN2at6native12_GLOBAL__N_18offset_tEEE10hipError_tPvRmT1_PNSt15iterator_traitsISL_E10value_typeET2_T3_PNSM_ISR_E10value_typeET4_jRbjT5_SX_jjP12ihipStream_tbEUlT_E0_NS1_11comp_targetILNS1_3genE3ELNS1_11target_archE908ELNS1_3gpuE7ELNS1_3repE0EEENS1_60segmented_radix_sort_warp_sort_medium_config_static_selectorELNS0_4arch9wavefront6targetE0EEEvSL_.uses_vcc, 0
	.set _ZN7rocprim17ROCPRIM_400000_NS6detail17trampoline_kernelINS0_14default_configENS1_36segmented_radix_sort_config_selectorI6__halflEEZNS1_25segmented_radix_sort_implIS3_Lb1EPKS5_PS5_PKlPlN2at6native12_GLOBAL__N_18offset_tEEE10hipError_tPvRmT1_PNSt15iterator_traitsISL_E10value_typeET2_T3_PNSM_ISR_E10value_typeET4_jRbjT5_SX_jjP12ihipStream_tbEUlT_E0_NS1_11comp_targetILNS1_3genE3ELNS1_11target_archE908ELNS1_3gpuE7ELNS1_3repE0EEENS1_60segmented_radix_sort_warp_sort_medium_config_static_selectorELNS0_4arch9wavefront6targetE0EEEvSL_.uses_flat_scratch, 0
	.set _ZN7rocprim17ROCPRIM_400000_NS6detail17trampoline_kernelINS0_14default_configENS1_36segmented_radix_sort_config_selectorI6__halflEEZNS1_25segmented_radix_sort_implIS3_Lb1EPKS5_PS5_PKlPlN2at6native12_GLOBAL__N_18offset_tEEE10hipError_tPvRmT1_PNSt15iterator_traitsISL_E10value_typeET2_T3_PNSM_ISR_E10value_typeET4_jRbjT5_SX_jjP12ihipStream_tbEUlT_E0_NS1_11comp_targetILNS1_3genE3ELNS1_11target_archE908ELNS1_3gpuE7ELNS1_3repE0EEENS1_60segmented_radix_sort_warp_sort_medium_config_static_selectorELNS0_4arch9wavefront6targetE0EEEvSL_.has_dyn_sized_stack, 0
	.set _ZN7rocprim17ROCPRIM_400000_NS6detail17trampoline_kernelINS0_14default_configENS1_36segmented_radix_sort_config_selectorI6__halflEEZNS1_25segmented_radix_sort_implIS3_Lb1EPKS5_PS5_PKlPlN2at6native12_GLOBAL__N_18offset_tEEE10hipError_tPvRmT1_PNSt15iterator_traitsISL_E10value_typeET2_T3_PNSM_ISR_E10value_typeET4_jRbjT5_SX_jjP12ihipStream_tbEUlT_E0_NS1_11comp_targetILNS1_3genE3ELNS1_11target_archE908ELNS1_3gpuE7ELNS1_3repE0EEENS1_60segmented_radix_sort_warp_sort_medium_config_static_selectorELNS0_4arch9wavefront6targetE0EEEvSL_.has_recursion, 0
	.set _ZN7rocprim17ROCPRIM_400000_NS6detail17trampoline_kernelINS0_14default_configENS1_36segmented_radix_sort_config_selectorI6__halflEEZNS1_25segmented_radix_sort_implIS3_Lb1EPKS5_PS5_PKlPlN2at6native12_GLOBAL__N_18offset_tEEE10hipError_tPvRmT1_PNSt15iterator_traitsISL_E10value_typeET2_T3_PNSM_ISR_E10value_typeET4_jRbjT5_SX_jjP12ihipStream_tbEUlT_E0_NS1_11comp_targetILNS1_3genE3ELNS1_11target_archE908ELNS1_3gpuE7ELNS1_3repE0EEENS1_60segmented_radix_sort_warp_sort_medium_config_static_selectorELNS0_4arch9wavefront6targetE0EEEvSL_.has_indirect_call, 0
	.section	.AMDGPU.csdata,"",@progbits
; Kernel info:
; codeLenInByte = 0
; TotalNumSgprs: 0
; NumVgprs: 0
; ScratchSize: 0
; MemoryBound: 0
; FloatMode: 240
; IeeeMode: 1
; LDSByteSize: 0 bytes/workgroup (compile time only)
; SGPRBlocks: 0
; VGPRBlocks: 0
; NumSGPRsForWavesPerEU: 1
; NumVGPRsForWavesPerEU: 1
; Occupancy: 16
; WaveLimiterHint : 0
; COMPUTE_PGM_RSRC2:SCRATCH_EN: 0
; COMPUTE_PGM_RSRC2:USER_SGPR: 6
; COMPUTE_PGM_RSRC2:TRAP_HANDLER: 0
; COMPUTE_PGM_RSRC2:TGID_X_EN: 1
; COMPUTE_PGM_RSRC2:TGID_Y_EN: 0
; COMPUTE_PGM_RSRC2:TGID_Z_EN: 0
; COMPUTE_PGM_RSRC2:TIDIG_COMP_CNT: 0
	.section	.text._ZN7rocprim17ROCPRIM_400000_NS6detail17trampoline_kernelINS0_14default_configENS1_36segmented_radix_sort_config_selectorI6__halflEEZNS1_25segmented_radix_sort_implIS3_Lb1EPKS5_PS5_PKlPlN2at6native12_GLOBAL__N_18offset_tEEE10hipError_tPvRmT1_PNSt15iterator_traitsISL_E10value_typeET2_T3_PNSM_ISR_E10value_typeET4_jRbjT5_SX_jjP12ihipStream_tbEUlT_E0_NS1_11comp_targetILNS1_3genE2ELNS1_11target_archE906ELNS1_3gpuE6ELNS1_3repE0EEENS1_60segmented_radix_sort_warp_sort_medium_config_static_selectorELNS0_4arch9wavefront6targetE0EEEvSL_,"axG",@progbits,_ZN7rocprim17ROCPRIM_400000_NS6detail17trampoline_kernelINS0_14default_configENS1_36segmented_radix_sort_config_selectorI6__halflEEZNS1_25segmented_radix_sort_implIS3_Lb1EPKS5_PS5_PKlPlN2at6native12_GLOBAL__N_18offset_tEEE10hipError_tPvRmT1_PNSt15iterator_traitsISL_E10value_typeET2_T3_PNSM_ISR_E10value_typeET4_jRbjT5_SX_jjP12ihipStream_tbEUlT_E0_NS1_11comp_targetILNS1_3genE2ELNS1_11target_archE906ELNS1_3gpuE6ELNS1_3repE0EEENS1_60segmented_radix_sort_warp_sort_medium_config_static_selectorELNS0_4arch9wavefront6targetE0EEEvSL_,comdat
	.globl	_ZN7rocprim17ROCPRIM_400000_NS6detail17trampoline_kernelINS0_14default_configENS1_36segmented_radix_sort_config_selectorI6__halflEEZNS1_25segmented_radix_sort_implIS3_Lb1EPKS5_PS5_PKlPlN2at6native12_GLOBAL__N_18offset_tEEE10hipError_tPvRmT1_PNSt15iterator_traitsISL_E10value_typeET2_T3_PNSM_ISR_E10value_typeET4_jRbjT5_SX_jjP12ihipStream_tbEUlT_E0_NS1_11comp_targetILNS1_3genE2ELNS1_11target_archE906ELNS1_3gpuE6ELNS1_3repE0EEENS1_60segmented_radix_sort_warp_sort_medium_config_static_selectorELNS0_4arch9wavefront6targetE0EEEvSL_ ; -- Begin function _ZN7rocprim17ROCPRIM_400000_NS6detail17trampoline_kernelINS0_14default_configENS1_36segmented_radix_sort_config_selectorI6__halflEEZNS1_25segmented_radix_sort_implIS3_Lb1EPKS5_PS5_PKlPlN2at6native12_GLOBAL__N_18offset_tEEE10hipError_tPvRmT1_PNSt15iterator_traitsISL_E10value_typeET2_T3_PNSM_ISR_E10value_typeET4_jRbjT5_SX_jjP12ihipStream_tbEUlT_E0_NS1_11comp_targetILNS1_3genE2ELNS1_11target_archE906ELNS1_3gpuE6ELNS1_3repE0EEENS1_60segmented_radix_sort_warp_sort_medium_config_static_selectorELNS0_4arch9wavefront6targetE0EEEvSL_
	.p2align	8
	.type	_ZN7rocprim17ROCPRIM_400000_NS6detail17trampoline_kernelINS0_14default_configENS1_36segmented_radix_sort_config_selectorI6__halflEEZNS1_25segmented_radix_sort_implIS3_Lb1EPKS5_PS5_PKlPlN2at6native12_GLOBAL__N_18offset_tEEE10hipError_tPvRmT1_PNSt15iterator_traitsISL_E10value_typeET2_T3_PNSM_ISR_E10value_typeET4_jRbjT5_SX_jjP12ihipStream_tbEUlT_E0_NS1_11comp_targetILNS1_3genE2ELNS1_11target_archE906ELNS1_3gpuE6ELNS1_3repE0EEENS1_60segmented_radix_sort_warp_sort_medium_config_static_selectorELNS0_4arch9wavefront6targetE0EEEvSL_,@function
_ZN7rocprim17ROCPRIM_400000_NS6detail17trampoline_kernelINS0_14default_configENS1_36segmented_radix_sort_config_selectorI6__halflEEZNS1_25segmented_radix_sort_implIS3_Lb1EPKS5_PS5_PKlPlN2at6native12_GLOBAL__N_18offset_tEEE10hipError_tPvRmT1_PNSt15iterator_traitsISL_E10value_typeET2_T3_PNSM_ISR_E10value_typeET4_jRbjT5_SX_jjP12ihipStream_tbEUlT_E0_NS1_11comp_targetILNS1_3genE2ELNS1_11target_archE906ELNS1_3gpuE6ELNS1_3repE0EEENS1_60segmented_radix_sort_warp_sort_medium_config_static_selectorELNS0_4arch9wavefront6targetE0EEEvSL_: ; @_ZN7rocprim17ROCPRIM_400000_NS6detail17trampoline_kernelINS0_14default_configENS1_36segmented_radix_sort_config_selectorI6__halflEEZNS1_25segmented_radix_sort_implIS3_Lb1EPKS5_PS5_PKlPlN2at6native12_GLOBAL__N_18offset_tEEE10hipError_tPvRmT1_PNSt15iterator_traitsISL_E10value_typeET2_T3_PNSM_ISR_E10value_typeET4_jRbjT5_SX_jjP12ihipStream_tbEUlT_E0_NS1_11comp_targetILNS1_3genE2ELNS1_11target_archE906ELNS1_3gpuE6ELNS1_3repE0EEENS1_60segmented_radix_sort_warp_sort_medium_config_static_selectorELNS0_4arch9wavefront6targetE0EEEvSL_
; %bb.0:
	.section	.rodata,"a",@progbits
	.p2align	6, 0x0
	.amdhsa_kernel _ZN7rocprim17ROCPRIM_400000_NS6detail17trampoline_kernelINS0_14default_configENS1_36segmented_radix_sort_config_selectorI6__halflEEZNS1_25segmented_radix_sort_implIS3_Lb1EPKS5_PS5_PKlPlN2at6native12_GLOBAL__N_18offset_tEEE10hipError_tPvRmT1_PNSt15iterator_traitsISL_E10value_typeET2_T3_PNSM_ISR_E10value_typeET4_jRbjT5_SX_jjP12ihipStream_tbEUlT_E0_NS1_11comp_targetILNS1_3genE2ELNS1_11target_archE906ELNS1_3gpuE6ELNS1_3repE0EEENS1_60segmented_radix_sort_warp_sort_medium_config_static_selectorELNS0_4arch9wavefront6targetE0EEEvSL_
		.amdhsa_group_segment_fixed_size 0
		.amdhsa_private_segment_fixed_size 0
		.amdhsa_kernarg_size 88
		.amdhsa_user_sgpr_count 6
		.amdhsa_user_sgpr_private_segment_buffer 1
		.amdhsa_user_sgpr_dispatch_ptr 0
		.amdhsa_user_sgpr_queue_ptr 0
		.amdhsa_user_sgpr_kernarg_segment_ptr 1
		.amdhsa_user_sgpr_dispatch_id 0
		.amdhsa_user_sgpr_flat_scratch_init 0
		.amdhsa_user_sgpr_private_segment_size 0
		.amdhsa_wavefront_size32 1
		.amdhsa_uses_dynamic_stack 0
		.amdhsa_system_sgpr_private_segment_wavefront_offset 0
		.amdhsa_system_sgpr_workgroup_id_x 1
		.amdhsa_system_sgpr_workgroup_id_y 0
		.amdhsa_system_sgpr_workgroup_id_z 0
		.amdhsa_system_sgpr_workgroup_info 0
		.amdhsa_system_vgpr_workitem_id 0
		.amdhsa_next_free_vgpr 1
		.amdhsa_next_free_sgpr 1
		.amdhsa_reserve_vcc 0
		.amdhsa_reserve_flat_scratch 0
		.amdhsa_float_round_mode_32 0
		.amdhsa_float_round_mode_16_64 0
		.amdhsa_float_denorm_mode_32 3
		.amdhsa_float_denorm_mode_16_64 3
		.amdhsa_dx10_clamp 1
		.amdhsa_ieee_mode 1
		.amdhsa_fp16_overflow 0
		.amdhsa_workgroup_processor_mode 1
		.amdhsa_memory_ordered 1
		.amdhsa_forward_progress 1
		.amdhsa_shared_vgpr_count 0
		.amdhsa_exception_fp_ieee_invalid_op 0
		.amdhsa_exception_fp_denorm_src 0
		.amdhsa_exception_fp_ieee_div_zero 0
		.amdhsa_exception_fp_ieee_overflow 0
		.amdhsa_exception_fp_ieee_underflow 0
		.amdhsa_exception_fp_ieee_inexact 0
		.amdhsa_exception_int_div_zero 0
	.end_amdhsa_kernel
	.section	.text._ZN7rocprim17ROCPRIM_400000_NS6detail17trampoline_kernelINS0_14default_configENS1_36segmented_radix_sort_config_selectorI6__halflEEZNS1_25segmented_radix_sort_implIS3_Lb1EPKS5_PS5_PKlPlN2at6native12_GLOBAL__N_18offset_tEEE10hipError_tPvRmT1_PNSt15iterator_traitsISL_E10value_typeET2_T3_PNSM_ISR_E10value_typeET4_jRbjT5_SX_jjP12ihipStream_tbEUlT_E0_NS1_11comp_targetILNS1_3genE2ELNS1_11target_archE906ELNS1_3gpuE6ELNS1_3repE0EEENS1_60segmented_radix_sort_warp_sort_medium_config_static_selectorELNS0_4arch9wavefront6targetE0EEEvSL_,"axG",@progbits,_ZN7rocprim17ROCPRIM_400000_NS6detail17trampoline_kernelINS0_14default_configENS1_36segmented_radix_sort_config_selectorI6__halflEEZNS1_25segmented_radix_sort_implIS3_Lb1EPKS5_PS5_PKlPlN2at6native12_GLOBAL__N_18offset_tEEE10hipError_tPvRmT1_PNSt15iterator_traitsISL_E10value_typeET2_T3_PNSM_ISR_E10value_typeET4_jRbjT5_SX_jjP12ihipStream_tbEUlT_E0_NS1_11comp_targetILNS1_3genE2ELNS1_11target_archE906ELNS1_3gpuE6ELNS1_3repE0EEENS1_60segmented_radix_sort_warp_sort_medium_config_static_selectorELNS0_4arch9wavefront6targetE0EEEvSL_,comdat
.Lfunc_end1743:
	.size	_ZN7rocprim17ROCPRIM_400000_NS6detail17trampoline_kernelINS0_14default_configENS1_36segmented_radix_sort_config_selectorI6__halflEEZNS1_25segmented_radix_sort_implIS3_Lb1EPKS5_PS5_PKlPlN2at6native12_GLOBAL__N_18offset_tEEE10hipError_tPvRmT1_PNSt15iterator_traitsISL_E10value_typeET2_T3_PNSM_ISR_E10value_typeET4_jRbjT5_SX_jjP12ihipStream_tbEUlT_E0_NS1_11comp_targetILNS1_3genE2ELNS1_11target_archE906ELNS1_3gpuE6ELNS1_3repE0EEENS1_60segmented_radix_sort_warp_sort_medium_config_static_selectorELNS0_4arch9wavefront6targetE0EEEvSL_, .Lfunc_end1743-_ZN7rocprim17ROCPRIM_400000_NS6detail17trampoline_kernelINS0_14default_configENS1_36segmented_radix_sort_config_selectorI6__halflEEZNS1_25segmented_radix_sort_implIS3_Lb1EPKS5_PS5_PKlPlN2at6native12_GLOBAL__N_18offset_tEEE10hipError_tPvRmT1_PNSt15iterator_traitsISL_E10value_typeET2_T3_PNSM_ISR_E10value_typeET4_jRbjT5_SX_jjP12ihipStream_tbEUlT_E0_NS1_11comp_targetILNS1_3genE2ELNS1_11target_archE906ELNS1_3gpuE6ELNS1_3repE0EEENS1_60segmented_radix_sort_warp_sort_medium_config_static_selectorELNS0_4arch9wavefront6targetE0EEEvSL_
                                        ; -- End function
	.set _ZN7rocprim17ROCPRIM_400000_NS6detail17trampoline_kernelINS0_14default_configENS1_36segmented_radix_sort_config_selectorI6__halflEEZNS1_25segmented_radix_sort_implIS3_Lb1EPKS5_PS5_PKlPlN2at6native12_GLOBAL__N_18offset_tEEE10hipError_tPvRmT1_PNSt15iterator_traitsISL_E10value_typeET2_T3_PNSM_ISR_E10value_typeET4_jRbjT5_SX_jjP12ihipStream_tbEUlT_E0_NS1_11comp_targetILNS1_3genE2ELNS1_11target_archE906ELNS1_3gpuE6ELNS1_3repE0EEENS1_60segmented_radix_sort_warp_sort_medium_config_static_selectorELNS0_4arch9wavefront6targetE0EEEvSL_.num_vgpr, 0
	.set _ZN7rocprim17ROCPRIM_400000_NS6detail17trampoline_kernelINS0_14default_configENS1_36segmented_radix_sort_config_selectorI6__halflEEZNS1_25segmented_radix_sort_implIS3_Lb1EPKS5_PS5_PKlPlN2at6native12_GLOBAL__N_18offset_tEEE10hipError_tPvRmT1_PNSt15iterator_traitsISL_E10value_typeET2_T3_PNSM_ISR_E10value_typeET4_jRbjT5_SX_jjP12ihipStream_tbEUlT_E0_NS1_11comp_targetILNS1_3genE2ELNS1_11target_archE906ELNS1_3gpuE6ELNS1_3repE0EEENS1_60segmented_radix_sort_warp_sort_medium_config_static_selectorELNS0_4arch9wavefront6targetE0EEEvSL_.num_agpr, 0
	.set _ZN7rocprim17ROCPRIM_400000_NS6detail17trampoline_kernelINS0_14default_configENS1_36segmented_radix_sort_config_selectorI6__halflEEZNS1_25segmented_radix_sort_implIS3_Lb1EPKS5_PS5_PKlPlN2at6native12_GLOBAL__N_18offset_tEEE10hipError_tPvRmT1_PNSt15iterator_traitsISL_E10value_typeET2_T3_PNSM_ISR_E10value_typeET4_jRbjT5_SX_jjP12ihipStream_tbEUlT_E0_NS1_11comp_targetILNS1_3genE2ELNS1_11target_archE906ELNS1_3gpuE6ELNS1_3repE0EEENS1_60segmented_radix_sort_warp_sort_medium_config_static_selectorELNS0_4arch9wavefront6targetE0EEEvSL_.numbered_sgpr, 0
	.set _ZN7rocprim17ROCPRIM_400000_NS6detail17trampoline_kernelINS0_14default_configENS1_36segmented_radix_sort_config_selectorI6__halflEEZNS1_25segmented_radix_sort_implIS3_Lb1EPKS5_PS5_PKlPlN2at6native12_GLOBAL__N_18offset_tEEE10hipError_tPvRmT1_PNSt15iterator_traitsISL_E10value_typeET2_T3_PNSM_ISR_E10value_typeET4_jRbjT5_SX_jjP12ihipStream_tbEUlT_E0_NS1_11comp_targetILNS1_3genE2ELNS1_11target_archE906ELNS1_3gpuE6ELNS1_3repE0EEENS1_60segmented_radix_sort_warp_sort_medium_config_static_selectorELNS0_4arch9wavefront6targetE0EEEvSL_.num_named_barrier, 0
	.set _ZN7rocprim17ROCPRIM_400000_NS6detail17trampoline_kernelINS0_14default_configENS1_36segmented_radix_sort_config_selectorI6__halflEEZNS1_25segmented_radix_sort_implIS3_Lb1EPKS5_PS5_PKlPlN2at6native12_GLOBAL__N_18offset_tEEE10hipError_tPvRmT1_PNSt15iterator_traitsISL_E10value_typeET2_T3_PNSM_ISR_E10value_typeET4_jRbjT5_SX_jjP12ihipStream_tbEUlT_E0_NS1_11comp_targetILNS1_3genE2ELNS1_11target_archE906ELNS1_3gpuE6ELNS1_3repE0EEENS1_60segmented_radix_sort_warp_sort_medium_config_static_selectorELNS0_4arch9wavefront6targetE0EEEvSL_.private_seg_size, 0
	.set _ZN7rocprim17ROCPRIM_400000_NS6detail17trampoline_kernelINS0_14default_configENS1_36segmented_radix_sort_config_selectorI6__halflEEZNS1_25segmented_radix_sort_implIS3_Lb1EPKS5_PS5_PKlPlN2at6native12_GLOBAL__N_18offset_tEEE10hipError_tPvRmT1_PNSt15iterator_traitsISL_E10value_typeET2_T3_PNSM_ISR_E10value_typeET4_jRbjT5_SX_jjP12ihipStream_tbEUlT_E0_NS1_11comp_targetILNS1_3genE2ELNS1_11target_archE906ELNS1_3gpuE6ELNS1_3repE0EEENS1_60segmented_radix_sort_warp_sort_medium_config_static_selectorELNS0_4arch9wavefront6targetE0EEEvSL_.uses_vcc, 0
	.set _ZN7rocprim17ROCPRIM_400000_NS6detail17trampoline_kernelINS0_14default_configENS1_36segmented_radix_sort_config_selectorI6__halflEEZNS1_25segmented_radix_sort_implIS3_Lb1EPKS5_PS5_PKlPlN2at6native12_GLOBAL__N_18offset_tEEE10hipError_tPvRmT1_PNSt15iterator_traitsISL_E10value_typeET2_T3_PNSM_ISR_E10value_typeET4_jRbjT5_SX_jjP12ihipStream_tbEUlT_E0_NS1_11comp_targetILNS1_3genE2ELNS1_11target_archE906ELNS1_3gpuE6ELNS1_3repE0EEENS1_60segmented_radix_sort_warp_sort_medium_config_static_selectorELNS0_4arch9wavefront6targetE0EEEvSL_.uses_flat_scratch, 0
	.set _ZN7rocprim17ROCPRIM_400000_NS6detail17trampoline_kernelINS0_14default_configENS1_36segmented_radix_sort_config_selectorI6__halflEEZNS1_25segmented_radix_sort_implIS3_Lb1EPKS5_PS5_PKlPlN2at6native12_GLOBAL__N_18offset_tEEE10hipError_tPvRmT1_PNSt15iterator_traitsISL_E10value_typeET2_T3_PNSM_ISR_E10value_typeET4_jRbjT5_SX_jjP12ihipStream_tbEUlT_E0_NS1_11comp_targetILNS1_3genE2ELNS1_11target_archE906ELNS1_3gpuE6ELNS1_3repE0EEENS1_60segmented_radix_sort_warp_sort_medium_config_static_selectorELNS0_4arch9wavefront6targetE0EEEvSL_.has_dyn_sized_stack, 0
	.set _ZN7rocprim17ROCPRIM_400000_NS6detail17trampoline_kernelINS0_14default_configENS1_36segmented_radix_sort_config_selectorI6__halflEEZNS1_25segmented_radix_sort_implIS3_Lb1EPKS5_PS5_PKlPlN2at6native12_GLOBAL__N_18offset_tEEE10hipError_tPvRmT1_PNSt15iterator_traitsISL_E10value_typeET2_T3_PNSM_ISR_E10value_typeET4_jRbjT5_SX_jjP12ihipStream_tbEUlT_E0_NS1_11comp_targetILNS1_3genE2ELNS1_11target_archE906ELNS1_3gpuE6ELNS1_3repE0EEENS1_60segmented_radix_sort_warp_sort_medium_config_static_selectorELNS0_4arch9wavefront6targetE0EEEvSL_.has_recursion, 0
	.set _ZN7rocprim17ROCPRIM_400000_NS6detail17trampoline_kernelINS0_14default_configENS1_36segmented_radix_sort_config_selectorI6__halflEEZNS1_25segmented_radix_sort_implIS3_Lb1EPKS5_PS5_PKlPlN2at6native12_GLOBAL__N_18offset_tEEE10hipError_tPvRmT1_PNSt15iterator_traitsISL_E10value_typeET2_T3_PNSM_ISR_E10value_typeET4_jRbjT5_SX_jjP12ihipStream_tbEUlT_E0_NS1_11comp_targetILNS1_3genE2ELNS1_11target_archE906ELNS1_3gpuE6ELNS1_3repE0EEENS1_60segmented_radix_sort_warp_sort_medium_config_static_selectorELNS0_4arch9wavefront6targetE0EEEvSL_.has_indirect_call, 0
	.section	.AMDGPU.csdata,"",@progbits
; Kernel info:
; codeLenInByte = 0
; TotalNumSgprs: 0
; NumVgprs: 0
; ScratchSize: 0
; MemoryBound: 0
; FloatMode: 240
; IeeeMode: 1
; LDSByteSize: 0 bytes/workgroup (compile time only)
; SGPRBlocks: 0
; VGPRBlocks: 0
; NumSGPRsForWavesPerEU: 1
; NumVGPRsForWavesPerEU: 1
; Occupancy: 16
; WaveLimiterHint : 0
; COMPUTE_PGM_RSRC2:SCRATCH_EN: 0
; COMPUTE_PGM_RSRC2:USER_SGPR: 6
; COMPUTE_PGM_RSRC2:TRAP_HANDLER: 0
; COMPUTE_PGM_RSRC2:TGID_X_EN: 1
; COMPUTE_PGM_RSRC2:TGID_Y_EN: 0
; COMPUTE_PGM_RSRC2:TGID_Z_EN: 0
; COMPUTE_PGM_RSRC2:TIDIG_COMP_CNT: 0
	.section	.text._ZN7rocprim17ROCPRIM_400000_NS6detail17trampoline_kernelINS0_14default_configENS1_36segmented_radix_sort_config_selectorI6__halflEEZNS1_25segmented_radix_sort_implIS3_Lb1EPKS5_PS5_PKlPlN2at6native12_GLOBAL__N_18offset_tEEE10hipError_tPvRmT1_PNSt15iterator_traitsISL_E10value_typeET2_T3_PNSM_ISR_E10value_typeET4_jRbjT5_SX_jjP12ihipStream_tbEUlT_E0_NS1_11comp_targetILNS1_3genE10ELNS1_11target_archE1201ELNS1_3gpuE5ELNS1_3repE0EEENS1_60segmented_radix_sort_warp_sort_medium_config_static_selectorELNS0_4arch9wavefront6targetE0EEEvSL_,"axG",@progbits,_ZN7rocprim17ROCPRIM_400000_NS6detail17trampoline_kernelINS0_14default_configENS1_36segmented_radix_sort_config_selectorI6__halflEEZNS1_25segmented_radix_sort_implIS3_Lb1EPKS5_PS5_PKlPlN2at6native12_GLOBAL__N_18offset_tEEE10hipError_tPvRmT1_PNSt15iterator_traitsISL_E10value_typeET2_T3_PNSM_ISR_E10value_typeET4_jRbjT5_SX_jjP12ihipStream_tbEUlT_E0_NS1_11comp_targetILNS1_3genE10ELNS1_11target_archE1201ELNS1_3gpuE5ELNS1_3repE0EEENS1_60segmented_radix_sort_warp_sort_medium_config_static_selectorELNS0_4arch9wavefront6targetE0EEEvSL_,comdat
	.globl	_ZN7rocprim17ROCPRIM_400000_NS6detail17trampoline_kernelINS0_14default_configENS1_36segmented_radix_sort_config_selectorI6__halflEEZNS1_25segmented_radix_sort_implIS3_Lb1EPKS5_PS5_PKlPlN2at6native12_GLOBAL__N_18offset_tEEE10hipError_tPvRmT1_PNSt15iterator_traitsISL_E10value_typeET2_T3_PNSM_ISR_E10value_typeET4_jRbjT5_SX_jjP12ihipStream_tbEUlT_E0_NS1_11comp_targetILNS1_3genE10ELNS1_11target_archE1201ELNS1_3gpuE5ELNS1_3repE0EEENS1_60segmented_radix_sort_warp_sort_medium_config_static_selectorELNS0_4arch9wavefront6targetE0EEEvSL_ ; -- Begin function _ZN7rocprim17ROCPRIM_400000_NS6detail17trampoline_kernelINS0_14default_configENS1_36segmented_radix_sort_config_selectorI6__halflEEZNS1_25segmented_radix_sort_implIS3_Lb1EPKS5_PS5_PKlPlN2at6native12_GLOBAL__N_18offset_tEEE10hipError_tPvRmT1_PNSt15iterator_traitsISL_E10value_typeET2_T3_PNSM_ISR_E10value_typeET4_jRbjT5_SX_jjP12ihipStream_tbEUlT_E0_NS1_11comp_targetILNS1_3genE10ELNS1_11target_archE1201ELNS1_3gpuE5ELNS1_3repE0EEENS1_60segmented_radix_sort_warp_sort_medium_config_static_selectorELNS0_4arch9wavefront6targetE0EEEvSL_
	.p2align	8
	.type	_ZN7rocprim17ROCPRIM_400000_NS6detail17trampoline_kernelINS0_14default_configENS1_36segmented_radix_sort_config_selectorI6__halflEEZNS1_25segmented_radix_sort_implIS3_Lb1EPKS5_PS5_PKlPlN2at6native12_GLOBAL__N_18offset_tEEE10hipError_tPvRmT1_PNSt15iterator_traitsISL_E10value_typeET2_T3_PNSM_ISR_E10value_typeET4_jRbjT5_SX_jjP12ihipStream_tbEUlT_E0_NS1_11comp_targetILNS1_3genE10ELNS1_11target_archE1201ELNS1_3gpuE5ELNS1_3repE0EEENS1_60segmented_radix_sort_warp_sort_medium_config_static_selectorELNS0_4arch9wavefront6targetE0EEEvSL_,@function
_ZN7rocprim17ROCPRIM_400000_NS6detail17trampoline_kernelINS0_14default_configENS1_36segmented_radix_sort_config_selectorI6__halflEEZNS1_25segmented_radix_sort_implIS3_Lb1EPKS5_PS5_PKlPlN2at6native12_GLOBAL__N_18offset_tEEE10hipError_tPvRmT1_PNSt15iterator_traitsISL_E10value_typeET2_T3_PNSM_ISR_E10value_typeET4_jRbjT5_SX_jjP12ihipStream_tbEUlT_E0_NS1_11comp_targetILNS1_3genE10ELNS1_11target_archE1201ELNS1_3gpuE5ELNS1_3repE0EEENS1_60segmented_radix_sort_warp_sort_medium_config_static_selectorELNS0_4arch9wavefront6targetE0EEEvSL_: ; @_ZN7rocprim17ROCPRIM_400000_NS6detail17trampoline_kernelINS0_14default_configENS1_36segmented_radix_sort_config_selectorI6__halflEEZNS1_25segmented_radix_sort_implIS3_Lb1EPKS5_PS5_PKlPlN2at6native12_GLOBAL__N_18offset_tEEE10hipError_tPvRmT1_PNSt15iterator_traitsISL_E10value_typeET2_T3_PNSM_ISR_E10value_typeET4_jRbjT5_SX_jjP12ihipStream_tbEUlT_E0_NS1_11comp_targetILNS1_3genE10ELNS1_11target_archE1201ELNS1_3gpuE5ELNS1_3repE0EEENS1_60segmented_radix_sort_warp_sort_medium_config_static_selectorELNS0_4arch9wavefront6targetE0EEEvSL_
; %bb.0:
	.section	.rodata,"a",@progbits
	.p2align	6, 0x0
	.amdhsa_kernel _ZN7rocprim17ROCPRIM_400000_NS6detail17trampoline_kernelINS0_14default_configENS1_36segmented_radix_sort_config_selectorI6__halflEEZNS1_25segmented_radix_sort_implIS3_Lb1EPKS5_PS5_PKlPlN2at6native12_GLOBAL__N_18offset_tEEE10hipError_tPvRmT1_PNSt15iterator_traitsISL_E10value_typeET2_T3_PNSM_ISR_E10value_typeET4_jRbjT5_SX_jjP12ihipStream_tbEUlT_E0_NS1_11comp_targetILNS1_3genE10ELNS1_11target_archE1201ELNS1_3gpuE5ELNS1_3repE0EEENS1_60segmented_radix_sort_warp_sort_medium_config_static_selectorELNS0_4arch9wavefront6targetE0EEEvSL_
		.amdhsa_group_segment_fixed_size 0
		.amdhsa_private_segment_fixed_size 0
		.amdhsa_kernarg_size 88
		.amdhsa_user_sgpr_count 6
		.amdhsa_user_sgpr_private_segment_buffer 1
		.amdhsa_user_sgpr_dispatch_ptr 0
		.amdhsa_user_sgpr_queue_ptr 0
		.amdhsa_user_sgpr_kernarg_segment_ptr 1
		.amdhsa_user_sgpr_dispatch_id 0
		.amdhsa_user_sgpr_flat_scratch_init 0
		.amdhsa_user_sgpr_private_segment_size 0
		.amdhsa_wavefront_size32 1
		.amdhsa_uses_dynamic_stack 0
		.amdhsa_system_sgpr_private_segment_wavefront_offset 0
		.amdhsa_system_sgpr_workgroup_id_x 1
		.amdhsa_system_sgpr_workgroup_id_y 0
		.amdhsa_system_sgpr_workgroup_id_z 0
		.amdhsa_system_sgpr_workgroup_info 0
		.amdhsa_system_vgpr_workitem_id 0
		.amdhsa_next_free_vgpr 1
		.amdhsa_next_free_sgpr 1
		.amdhsa_reserve_vcc 0
		.amdhsa_reserve_flat_scratch 0
		.amdhsa_float_round_mode_32 0
		.amdhsa_float_round_mode_16_64 0
		.amdhsa_float_denorm_mode_32 3
		.amdhsa_float_denorm_mode_16_64 3
		.amdhsa_dx10_clamp 1
		.amdhsa_ieee_mode 1
		.amdhsa_fp16_overflow 0
		.amdhsa_workgroup_processor_mode 1
		.amdhsa_memory_ordered 1
		.amdhsa_forward_progress 1
		.amdhsa_shared_vgpr_count 0
		.amdhsa_exception_fp_ieee_invalid_op 0
		.amdhsa_exception_fp_denorm_src 0
		.amdhsa_exception_fp_ieee_div_zero 0
		.amdhsa_exception_fp_ieee_overflow 0
		.amdhsa_exception_fp_ieee_underflow 0
		.amdhsa_exception_fp_ieee_inexact 0
		.amdhsa_exception_int_div_zero 0
	.end_amdhsa_kernel
	.section	.text._ZN7rocprim17ROCPRIM_400000_NS6detail17trampoline_kernelINS0_14default_configENS1_36segmented_radix_sort_config_selectorI6__halflEEZNS1_25segmented_radix_sort_implIS3_Lb1EPKS5_PS5_PKlPlN2at6native12_GLOBAL__N_18offset_tEEE10hipError_tPvRmT1_PNSt15iterator_traitsISL_E10value_typeET2_T3_PNSM_ISR_E10value_typeET4_jRbjT5_SX_jjP12ihipStream_tbEUlT_E0_NS1_11comp_targetILNS1_3genE10ELNS1_11target_archE1201ELNS1_3gpuE5ELNS1_3repE0EEENS1_60segmented_radix_sort_warp_sort_medium_config_static_selectorELNS0_4arch9wavefront6targetE0EEEvSL_,"axG",@progbits,_ZN7rocprim17ROCPRIM_400000_NS6detail17trampoline_kernelINS0_14default_configENS1_36segmented_radix_sort_config_selectorI6__halflEEZNS1_25segmented_radix_sort_implIS3_Lb1EPKS5_PS5_PKlPlN2at6native12_GLOBAL__N_18offset_tEEE10hipError_tPvRmT1_PNSt15iterator_traitsISL_E10value_typeET2_T3_PNSM_ISR_E10value_typeET4_jRbjT5_SX_jjP12ihipStream_tbEUlT_E0_NS1_11comp_targetILNS1_3genE10ELNS1_11target_archE1201ELNS1_3gpuE5ELNS1_3repE0EEENS1_60segmented_radix_sort_warp_sort_medium_config_static_selectorELNS0_4arch9wavefront6targetE0EEEvSL_,comdat
.Lfunc_end1744:
	.size	_ZN7rocprim17ROCPRIM_400000_NS6detail17trampoline_kernelINS0_14default_configENS1_36segmented_radix_sort_config_selectorI6__halflEEZNS1_25segmented_radix_sort_implIS3_Lb1EPKS5_PS5_PKlPlN2at6native12_GLOBAL__N_18offset_tEEE10hipError_tPvRmT1_PNSt15iterator_traitsISL_E10value_typeET2_T3_PNSM_ISR_E10value_typeET4_jRbjT5_SX_jjP12ihipStream_tbEUlT_E0_NS1_11comp_targetILNS1_3genE10ELNS1_11target_archE1201ELNS1_3gpuE5ELNS1_3repE0EEENS1_60segmented_radix_sort_warp_sort_medium_config_static_selectorELNS0_4arch9wavefront6targetE0EEEvSL_, .Lfunc_end1744-_ZN7rocprim17ROCPRIM_400000_NS6detail17trampoline_kernelINS0_14default_configENS1_36segmented_radix_sort_config_selectorI6__halflEEZNS1_25segmented_radix_sort_implIS3_Lb1EPKS5_PS5_PKlPlN2at6native12_GLOBAL__N_18offset_tEEE10hipError_tPvRmT1_PNSt15iterator_traitsISL_E10value_typeET2_T3_PNSM_ISR_E10value_typeET4_jRbjT5_SX_jjP12ihipStream_tbEUlT_E0_NS1_11comp_targetILNS1_3genE10ELNS1_11target_archE1201ELNS1_3gpuE5ELNS1_3repE0EEENS1_60segmented_radix_sort_warp_sort_medium_config_static_selectorELNS0_4arch9wavefront6targetE0EEEvSL_
                                        ; -- End function
	.set _ZN7rocprim17ROCPRIM_400000_NS6detail17trampoline_kernelINS0_14default_configENS1_36segmented_radix_sort_config_selectorI6__halflEEZNS1_25segmented_radix_sort_implIS3_Lb1EPKS5_PS5_PKlPlN2at6native12_GLOBAL__N_18offset_tEEE10hipError_tPvRmT1_PNSt15iterator_traitsISL_E10value_typeET2_T3_PNSM_ISR_E10value_typeET4_jRbjT5_SX_jjP12ihipStream_tbEUlT_E0_NS1_11comp_targetILNS1_3genE10ELNS1_11target_archE1201ELNS1_3gpuE5ELNS1_3repE0EEENS1_60segmented_radix_sort_warp_sort_medium_config_static_selectorELNS0_4arch9wavefront6targetE0EEEvSL_.num_vgpr, 0
	.set _ZN7rocprim17ROCPRIM_400000_NS6detail17trampoline_kernelINS0_14default_configENS1_36segmented_radix_sort_config_selectorI6__halflEEZNS1_25segmented_radix_sort_implIS3_Lb1EPKS5_PS5_PKlPlN2at6native12_GLOBAL__N_18offset_tEEE10hipError_tPvRmT1_PNSt15iterator_traitsISL_E10value_typeET2_T3_PNSM_ISR_E10value_typeET4_jRbjT5_SX_jjP12ihipStream_tbEUlT_E0_NS1_11comp_targetILNS1_3genE10ELNS1_11target_archE1201ELNS1_3gpuE5ELNS1_3repE0EEENS1_60segmented_radix_sort_warp_sort_medium_config_static_selectorELNS0_4arch9wavefront6targetE0EEEvSL_.num_agpr, 0
	.set _ZN7rocprim17ROCPRIM_400000_NS6detail17trampoline_kernelINS0_14default_configENS1_36segmented_radix_sort_config_selectorI6__halflEEZNS1_25segmented_radix_sort_implIS3_Lb1EPKS5_PS5_PKlPlN2at6native12_GLOBAL__N_18offset_tEEE10hipError_tPvRmT1_PNSt15iterator_traitsISL_E10value_typeET2_T3_PNSM_ISR_E10value_typeET4_jRbjT5_SX_jjP12ihipStream_tbEUlT_E0_NS1_11comp_targetILNS1_3genE10ELNS1_11target_archE1201ELNS1_3gpuE5ELNS1_3repE0EEENS1_60segmented_radix_sort_warp_sort_medium_config_static_selectorELNS0_4arch9wavefront6targetE0EEEvSL_.numbered_sgpr, 0
	.set _ZN7rocprim17ROCPRIM_400000_NS6detail17trampoline_kernelINS0_14default_configENS1_36segmented_radix_sort_config_selectorI6__halflEEZNS1_25segmented_radix_sort_implIS3_Lb1EPKS5_PS5_PKlPlN2at6native12_GLOBAL__N_18offset_tEEE10hipError_tPvRmT1_PNSt15iterator_traitsISL_E10value_typeET2_T3_PNSM_ISR_E10value_typeET4_jRbjT5_SX_jjP12ihipStream_tbEUlT_E0_NS1_11comp_targetILNS1_3genE10ELNS1_11target_archE1201ELNS1_3gpuE5ELNS1_3repE0EEENS1_60segmented_radix_sort_warp_sort_medium_config_static_selectorELNS0_4arch9wavefront6targetE0EEEvSL_.num_named_barrier, 0
	.set _ZN7rocprim17ROCPRIM_400000_NS6detail17trampoline_kernelINS0_14default_configENS1_36segmented_radix_sort_config_selectorI6__halflEEZNS1_25segmented_radix_sort_implIS3_Lb1EPKS5_PS5_PKlPlN2at6native12_GLOBAL__N_18offset_tEEE10hipError_tPvRmT1_PNSt15iterator_traitsISL_E10value_typeET2_T3_PNSM_ISR_E10value_typeET4_jRbjT5_SX_jjP12ihipStream_tbEUlT_E0_NS1_11comp_targetILNS1_3genE10ELNS1_11target_archE1201ELNS1_3gpuE5ELNS1_3repE0EEENS1_60segmented_radix_sort_warp_sort_medium_config_static_selectorELNS0_4arch9wavefront6targetE0EEEvSL_.private_seg_size, 0
	.set _ZN7rocprim17ROCPRIM_400000_NS6detail17trampoline_kernelINS0_14default_configENS1_36segmented_radix_sort_config_selectorI6__halflEEZNS1_25segmented_radix_sort_implIS3_Lb1EPKS5_PS5_PKlPlN2at6native12_GLOBAL__N_18offset_tEEE10hipError_tPvRmT1_PNSt15iterator_traitsISL_E10value_typeET2_T3_PNSM_ISR_E10value_typeET4_jRbjT5_SX_jjP12ihipStream_tbEUlT_E0_NS1_11comp_targetILNS1_3genE10ELNS1_11target_archE1201ELNS1_3gpuE5ELNS1_3repE0EEENS1_60segmented_radix_sort_warp_sort_medium_config_static_selectorELNS0_4arch9wavefront6targetE0EEEvSL_.uses_vcc, 0
	.set _ZN7rocprim17ROCPRIM_400000_NS6detail17trampoline_kernelINS0_14default_configENS1_36segmented_radix_sort_config_selectorI6__halflEEZNS1_25segmented_radix_sort_implIS3_Lb1EPKS5_PS5_PKlPlN2at6native12_GLOBAL__N_18offset_tEEE10hipError_tPvRmT1_PNSt15iterator_traitsISL_E10value_typeET2_T3_PNSM_ISR_E10value_typeET4_jRbjT5_SX_jjP12ihipStream_tbEUlT_E0_NS1_11comp_targetILNS1_3genE10ELNS1_11target_archE1201ELNS1_3gpuE5ELNS1_3repE0EEENS1_60segmented_radix_sort_warp_sort_medium_config_static_selectorELNS0_4arch9wavefront6targetE0EEEvSL_.uses_flat_scratch, 0
	.set _ZN7rocprim17ROCPRIM_400000_NS6detail17trampoline_kernelINS0_14default_configENS1_36segmented_radix_sort_config_selectorI6__halflEEZNS1_25segmented_radix_sort_implIS3_Lb1EPKS5_PS5_PKlPlN2at6native12_GLOBAL__N_18offset_tEEE10hipError_tPvRmT1_PNSt15iterator_traitsISL_E10value_typeET2_T3_PNSM_ISR_E10value_typeET4_jRbjT5_SX_jjP12ihipStream_tbEUlT_E0_NS1_11comp_targetILNS1_3genE10ELNS1_11target_archE1201ELNS1_3gpuE5ELNS1_3repE0EEENS1_60segmented_radix_sort_warp_sort_medium_config_static_selectorELNS0_4arch9wavefront6targetE0EEEvSL_.has_dyn_sized_stack, 0
	.set _ZN7rocprim17ROCPRIM_400000_NS6detail17trampoline_kernelINS0_14default_configENS1_36segmented_radix_sort_config_selectorI6__halflEEZNS1_25segmented_radix_sort_implIS3_Lb1EPKS5_PS5_PKlPlN2at6native12_GLOBAL__N_18offset_tEEE10hipError_tPvRmT1_PNSt15iterator_traitsISL_E10value_typeET2_T3_PNSM_ISR_E10value_typeET4_jRbjT5_SX_jjP12ihipStream_tbEUlT_E0_NS1_11comp_targetILNS1_3genE10ELNS1_11target_archE1201ELNS1_3gpuE5ELNS1_3repE0EEENS1_60segmented_radix_sort_warp_sort_medium_config_static_selectorELNS0_4arch9wavefront6targetE0EEEvSL_.has_recursion, 0
	.set _ZN7rocprim17ROCPRIM_400000_NS6detail17trampoline_kernelINS0_14default_configENS1_36segmented_radix_sort_config_selectorI6__halflEEZNS1_25segmented_radix_sort_implIS3_Lb1EPKS5_PS5_PKlPlN2at6native12_GLOBAL__N_18offset_tEEE10hipError_tPvRmT1_PNSt15iterator_traitsISL_E10value_typeET2_T3_PNSM_ISR_E10value_typeET4_jRbjT5_SX_jjP12ihipStream_tbEUlT_E0_NS1_11comp_targetILNS1_3genE10ELNS1_11target_archE1201ELNS1_3gpuE5ELNS1_3repE0EEENS1_60segmented_radix_sort_warp_sort_medium_config_static_selectorELNS0_4arch9wavefront6targetE0EEEvSL_.has_indirect_call, 0
	.section	.AMDGPU.csdata,"",@progbits
; Kernel info:
; codeLenInByte = 0
; TotalNumSgprs: 0
; NumVgprs: 0
; ScratchSize: 0
; MemoryBound: 0
; FloatMode: 240
; IeeeMode: 1
; LDSByteSize: 0 bytes/workgroup (compile time only)
; SGPRBlocks: 0
; VGPRBlocks: 0
; NumSGPRsForWavesPerEU: 1
; NumVGPRsForWavesPerEU: 1
; Occupancy: 16
; WaveLimiterHint : 0
; COMPUTE_PGM_RSRC2:SCRATCH_EN: 0
; COMPUTE_PGM_RSRC2:USER_SGPR: 6
; COMPUTE_PGM_RSRC2:TRAP_HANDLER: 0
; COMPUTE_PGM_RSRC2:TGID_X_EN: 1
; COMPUTE_PGM_RSRC2:TGID_Y_EN: 0
; COMPUTE_PGM_RSRC2:TGID_Z_EN: 0
; COMPUTE_PGM_RSRC2:TIDIG_COMP_CNT: 0
	.section	.text._ZN7rocprim17ROCPRIM_400000_NS6detail17trampoline_kernelINS0_14default_configENS1_36segmented_radix_sort_config_selectorI6__halflEEZNS1_25segmented_radix_sort_implIS3_Lb1EPKS5_PS5_PKlPlN2at6native12_GLOBAL__N_18offset_tEEE10hipError_tPvRmT1_PNSt15iterator_traitsISL_E10value_typeET2_T3_PNSM_ISR_E10value_typeET4_jRbjT5_SX_jjP12ihipStream_tbEUlT_E0_NS1_11comp_targetILNS1_3genE10ELNS1_11target_archE1200ELNS1_3gpuE4ELNS1_3repE0EEENS1_60segmented_radix_sort_warp_sort_medium_config_static_selectorELNS0_4arch9wavefront6targetE0EEEvSL_,"axG",@progbits,_ZN7rocprim17ROCPRIM_400000_NS6detail17trampoline_kernelINS0_14default_configENS1_36segmented_radix_sort_config_selectorI6__halflEEZNS1_25segmented_radix_sort_implIS3_Lb1EPKS5_PS5_PKlPlN2at6native12_GLOBAL__N_18offset_tEEE10hipError_tPvRmT1_PNSt15iterator_traitsISL_E10value_typeET2_T3_PNSM_ISR_E10value_typeET4_jRbjT5_SX_jjP12ihipStream_tbEUlT_E0_NS1_11comp_targetILNS1_3genE10ELNS1_11target_archE1200ELNS1_3gpuE4ELNS1_3repE0EEENS1_60segmented_radix_sort_warp_sort_medium_config_static_selectorELNS0_4arch9wavefront6targetE0EEEvSL_,comdat
	.globl	_ZN7rocprim17ROCPRIM_400000_NS6detail17trampoline_kernelINS0_14default_configENS1_36segmented_radix_sort_config_selectorI6__halflEEZNS1_25segmented_radix_sort_implIS3_Lb1EPKS5_PS5_PKlPlN2at6native12_GLOBAL__N_18offset_tEEE10hipError_tPvRmT1_PNSt15iterator_traitsISL_E10value_typeET2_T3_PNSM_ISR_E10value_typeET4_jRbjT5_SX_jjP12ihipStream_tbEUlT_E0_NS1_11comp_targetILNS1_3genE10ELNS1_11target_archE1200ELNS1_3gpuE4ELNS1_3repE0EEENS1_60segmented_radix_sort_warp_sort_medium_config_static_selectorELNS0_4arch9wavefront6targetE0EEEvSL_ ; -- Begin function _ZN7rocprim17ROCPRIM_400000_NS6detail17trampoline_kernelINS0_14default_configENS1_36segmented_radix_sort_config_selectorI6__halflEEZNS1_25segmented_radix_sort_implIS3_Lb1EPKS5_PS5_PKlPlN2at6native12_GLOBAL__N_18offset_tEEE10hipError_tPvRmT1_PNSt15iterator_traitsISL_E10value_typeET2_T3_PNSM_ISR_E10value_typeET4_jRbjT5_SX_jjP12ihipStream_tbEUlT_E0_NS1_11comp_targetILNS1_3genE10ELNS1_11target_archE1200ELNS1_3gpuE4ELNS1_3repE0EEENS1_60segmented_radix_sort_warp_sort_medium_config_static_selectorELNS0_4arch9wavefront6targetE0EEEvSL_
	.p2align	8
	.type	_ZN7rocprim17ROCPRIM_400000_NS6detail17trampoline_kernelINS0_14default_configENS1_36segmented_radix_sort_config_selectorI6__halflEEZNS1_25segmented_radix_sort_implIS3_Lb1EPKS5_PS5_PKlPlN2at6native12_GLOBAL__N_18offset_tEEE10hipError_tPvRmT1_PNSt15iterator_traitsISL_E10value_typeET2_T3_PNSM_ISR_E10value_typeET4_jRbjT5_SX_jjP12ihipStream_tbEUlT_E0_NS1_11comp_targetILNS1_3genE10ELNS1_11target_archE1200ELNS1_3gpuE4ELNS1_3repE0EEENS1_60segmented_radix_sort_warp_sort_medium_config_static_selectorELNS0_4arch9wavefront6targetE0EEEvSL_,@function
_ZN7rocprim17ROCPRIM_400000_NS6detail17trampoline_kernelINS0_14default_configENS1_36segmented_radix_sort_config_selectorI6__halflEEZNS1_25segmented_radix_sort_implIS3_Lb1EPKS5_PS5_PKlPlN2at6native12_GLOBAL__N_18offset_tEEE10hipError_tPvRmT1_PNSt15iterator_traitsISL_E10value_typeET2_T3_PNSM_ISR_E10value_typeET4_jRbjT5_SX_jjP12ihipStream_tbEUlT_E0_NS1_11comp_targetILNS1_3genE10ELNS1_11target_archE1200ELNS1_3gpuE4ELNS1_3repE0EEENS1_60segmented_radix_sort_warp_sort_medium_config_static_selectorELNS0_4arch9wavefront6targetE0EEEvSL_: ; @_ZN7rocprim17ROCPRIM_400000_NS6detail17trampoline_kernelINS0_14default_configENS1_36segmented_radix_sort_config_selectorI6__halflEEZNS1_25segmented_radix_sort_implIS3_Lb1EPKS5_PS5_PKlPlN2at6native12_GLOBAL__N_18offset_tEEE10hipError_tPvRmT1_PNSt15iterator_traitsISL_E10value_typeET2_T3_PNSM_ISR_E10value_typeET4_jRbjT5_SX_jjP12ihipStream_tbEUlT_E0_NS1_11comp_targetILNS1_3genE10ELNS1_11target_archE1200ELNS1_3gpuE4ELNS1_3repE0EEENS1_60segmented_radix_sort_warp_sort_medium_config_static_selectorELNS0_4arch9wavefront6targetE0EEEvSL_
; %bb.0:
	.section	.rodata,"a",@progbits
	.p2align	6, 0x0
	.amdhsa_kernel _ZN7rocprim17ROCPRIM_400000_NS6detail17trampoline_kernelINS0_14default_configENS1_36segmented_radix_sort_config_selectorI6__halflEEZNS1_25segmented_radix_sort_implIS3_Lb1EPKS5_PS5_PKlPlN2at6native12_GLOBAL__N_18offset_tEEE10hipError_tPvRmT1_PNSt15iterator_traitsISL_E10value_typeET2_T3_PNSM_ISR_E10value_typeET4_jRbjT5_SX_jjP12ihipStream_tbEUlT_E0_NS1_11comp_targetILNS1_3genE10ELNS1_11target_archE1200ELNS1_3gpuE4ELNS1_3repE0EEENS1_60segmented_radix_sort_warp_sort_medium_config_static_selectorELNS0_4arch9wavefront6targetE0EEEvSL_
		.amdhsa_group_segment_fixed_size 0
		.amdhsa_private_segment_fixed_size 0
		.amdhsa_kernarg_size 88
		.amdhsa_user_sgpr_count 6
		.amdhsa_user_sgpr_private_segment_buffer 1
		.amdhsa_user_sgpr_dispatch_ptr 0
		.amdhsa_user_sgpr_queue_ptr 0
		.amdhsa_user_sgpr_kernarg_segment_ptr 1
		.amdhsa_user_sgpr_dispatch_id 0
		.amdhsa_user_sgpr_flat_scratch_init 0
		.amdhsa_user_sgpr_private_segment_size 0
		.amdhsa_wavefront_size32 1
		.amdhsa_uses_dynamic_stack 0
		.amdhsa_system_sgpr_private_segment_wavefront_offset 0
		.amdhsa_system_sgpr_workgroup_id_x 1
		.amdhsa_system_sgpr_workgroup_id_y 0
		.amdhsa_system_sgpr_workgroup_id_z 0
		.amdhsa_system_sgpr_workgroup_info 0
		.amdhsa_system_vgpr_workitem_id 0
		.amdhsa_next_free_vgpr 1
		.amdhsa_next_free_sgpr 1
		.amdhsa_reserve_vcc 0
		.amdhsa_reserve_flat_scratch 0
		.amdhsa_float_round_mode_32 0
		.amdhsa_float_round_mode_16_64 0
		.amdhsa_float_denorm_mode_32 3
		.amdhsa_float_denorm_mode_16_64 3
		.amdhsa_dx10_clamp 1
		.amdhsa_ieee_mode 1
		.amdhsa_fp16_overflow 0
		.amdhsa_workgroup_processor_mode 1
		.amdhsa_memory_ordered 1
		.amdhsa_forward_progress 1
		.amdhsa_shared_vgpr_count 0
		.amdhsa_exception_fp_ieee_invalid_op 0
		.amdhsa_exception_fp_denorm_src 0
		.amdhsa_exception_fp_ieee_div_zero 0
		.amdhsa_exception_fp_ieee_overflow 0
		.amdhsa_exception_fp_ieee_underflow 0
		.amdhsa_exception_fp_ieee_inexact 0
		.amdhsa_exception_int_div_zero 0
	.end_amdhsa_kernel
	.section	.text._ZN7rocprim17ROCPRIM_400000_NS6detail17trampoline_kernelINS0_14default_configENS1_36segmented_radix_sort_config_selectorI6__halflEEZNS1_25segmented_radix_sort_implIS3_Lb1EPKS5_PS5_PKlPlN2at6native12_GLOBAL__N_18offset_tEEE10hipError_tPvRmT1_PNSt15iterator_traitsISL_E10value_typeET2_T3_PNSM_ISR_E10value_typeET4_jRbjT5_SX_jjP12ihipStream_tbEUlT_E0_NS1_11comp_targetILNS1_3genE10ELNS1_11target_archE1200ELNS1_3gpuE4ELNS1_3repE0EEENS1_60segmented_radix_sort_warp_sort_medium_config_static_selectorELNS0_4arch9wavefront6targetE0EEEvSL_,"axG",@progbits,_ZN7rocprim17ROCPRIM_400000_NS6detail17trampoline_kernelINS0_14default_configENS1_36segmented_radix_sort_config_selectorI6__halflEEZNS1_25segmented_radix_sort_implIS3_Lb1EPKS5_PS5_PKlPlN2at6native12_GLOBAL__N_18offset_tEEE10hipError_tPvRmT1_PNSt15iterator_traitsISL_E10value_typeET2_T3_PNSM_ISR_E10value_typeET4_jRbjT5_SX_jjP12ihipStream_tbEUlT_E0_NS1_11comp_targetILNS1_3genE10ELNS1_11target_archE1200ELNS1_3gpuE4ELNS1_3repE0EEENS1_60segmented_radix_sort_warp_sort_medium_config_static_selectorELNS0_4arch9wavefront6targetE0EEEvSL_,comdat
.Lfunc_end1745:
	.size	_ZN7rocprim17ROCPRIM_400000_NS6detail17trampoline_kernelINS0_14default_configENS1_36segmented_radix_sort_config_selectorI6__halflEEZNS1_25segmented_radix_sort_implIS3_Lb1EPKS5_PS5_PKlPlN2at6native12_GLOBAL__N_18offset_tEEE10hipError_tPvRmT1_PNSt15iterator_traitsISL_E10value_typeET2_T3_PNSM_ISR_E10value_typeET4_jRbjT5_SX_jjP12ihipStream_tbEUlT_E0_NS1_11comp_targetILNS1_3genE10ELNS1_11target_archE1200ELNS1_3gpuE4ELNS1_3repE0EEENS1_60segmented_radix_sort_warp_sort_medium_config_static_selectorELNS0_4arch9wavefront6targetE0EEEvSL_, .Lfunc_end1745-_ZN7rocprim17ROCPRIM_400000_NS6detail17trampoline_kernelINS0_14default_configENS1_36segmented_radix_sort_config_selectorI6__halflEEZNS1_25segmented_radix_sort_implIS3_Lb1EPKS5_PS5_PKlPlN2at6native12_GLOBAL__N_18offset_tEEE10hipError_tPvRmT1_PNSt15iterator_traitsISL_E10value_typeET2_T3_PNSM_ISR_E10value_typeET4_jRbjT5_SX_jjP12ihipStream_tbEUlT_E0_NS1_11comp_targetILNS1_3genE10ELNS1_11target_archE1200ELNS1_3gpuE4ELNS1_3repE0EEENS1_60segmented_radix_sort_warp_sort_medium_config_static_selectorELNS0_4arch9wavefront6targetE0EEEvSL_
                                        ; -- End function
	.set _ZN7rocprim17ROCPRIM_400000_NS6detail17trampoline_kernelINS0_14default_configENS1_36segmented_radix_sort_config_selectorI6__halflEEZNS1_25segmented_radix_sort_implIS3_Lb1EPKS5_PS5_PKlPlN2at6native12_GLOBAL__N_18offset_tEEE10hipError_tPvRmT1_PNSt15iterator_traitsISL_E10value_typeET2_T3_PNSM_ISR_E10value_typeET4_jRbjT5_SX_jjP12ihipStream_tbEUlT_E0_NS1_11comp_targetILNS1_3genE10ELNS1_11target_archE1200ELNS1_3gpuE4ELNS1_3repE0EEENS1_60segmented_radix_sort_warp_sort_medium_config_static_selectorELNS0_4arch9wavefront6targetE0EEEvSL_.num_vgpr, 0
	.set _ZN7rocprim17ROCPRIM_400000_NS6detail17trampoline_kernelINS0_14default_configENS1_36segmented_radix_sort_config_selectorI6__halflEEZNS1_25segmented_radix_sort_implIS3_Lb1EPKS5_PS5_PKlPlN2at6native12_GLOBAL__N_18offset_tEEE10hipError_tPvRmT1_PNSt15iterator_traitsISL_E10value_typeET2_T3_PNSM_ISR_E10value_typeET4_jRbjT5_SX_jjP12ihipStream_tbEUlT_E0_NS1_11comp_targetILNS1_3genE10ELNS1_11target_archE1200ELNS1_3gpuE4ELNS1_3repE0EEENS1_60segmented_radix_sort_warp_sort_medium_config_static_selectorELNS0_4arch9wavefront6targetE0EEEvSL_.num_agpr, 0
	.set _ZN7rocprim17ROCPRIM_400000_NS6detail17trampoline_kernelINS0_14default_configENS1_36segmented_radix_sort_config_selectorI6__halflEEZNS1_25segmented_radix_sort_implIS3_Lb1EPKS5_PS5_PKlPlN2at6native12_GLOBAL__N_18offset_tEEE10hipError_tPvRmT1_PNSt15iterator_traitsISL_E10value_typeET2_T3_PNSM_ISR_E10value_typeET4_jRbjT5_SX_jjP12ihipStream_tbEUlT_E0_NS1_11comp_targetILNS1_3genE10ELNS1_11target_archE1200ELNS1_3gpuE4ELNS1_3repE0EEENS1_60segmented_radix_sort_warp_sort_medium_config_static_selectorELNS0_4arch9wavefront6targetE0EEEvSL_.numbered_sgpr, 0
	.set _ZN7rocprim17ROCPRIM_400000_NS6detail17trampoline_kernelINS0_14default_configENS1_36segmented_radix_sort_config_selectorI6__halflEEZNS1_25segmented_radix_sort_implIS3_Lb1EPKS5_PS5_PKlPlN2at6native12_GLOBAL__N_18offset_tEEE10hipError_tPvRmT1_PNSt15iterator_traitsISL_E10value_typeET2_T3_PNSM_ISR_E10value_typeET4_jRbjT5_SX_jjP12ihipStream_tbEUlT_E0_NS1_11comp_targetILNS1_3genE10ELNS1_11target_archE1200ELNS1_3gpuE4ELNS1_3repE0EEENS1_60segmented_radix_sort_warp_sort_medium_config_static_selectorELNS0_4arch9wavefront6targetE0EEEvSL_.num_named_barrier, 0
	.set _ZN7rocprim17ROCPRIM_400000_NS6detail17trampoline_kernelINS0_14default_configENS1_36segmented_radix_sort_config_selectorI6__halflEEZNS1_25segmented_radix_sort_implIS3_Lb1EPKS5_PS5_PKlPlN2at6native12_GLOBAL__N_18offset_tEEE10hipError_tPvRmT1_PNSt15iterator_traitsISL_E10value_typeET2_T3_PNSM_ISR_E10value_typeET4_jRbjT5_SX_jjP12ihipStream_tbEUlT_E0_NS1_11comp_targetILNS1_3genE10ELNS1_11target_archE1200ELNS1_3gpuE4ELNS1_3repE0EEENS1_60segmented_radix_sort_warp_sort_medium_config_static_selectorELNS0_4arch9wavefront6targetE0EEEvSL_.private_seg_size, 0
	.set _ZN7rocprim17ROCPRIM_400000_NS6detail17trampoline_kernelINS0_14default_configENS1_36segmented_radix_sort_config_selectorI6__halflEEZNS1_25segmented_radix_sort_implIS3_Lb1EPKS5_PS5_PKlPlN2at6native12_GLOBAL__N_18offset_tEEE10hipError_tPvRmT1_PNSt15iterator_traitsISL_E10value_typeET2_T3_PNSM_ISR_E10value_typeET4_jRbjT5_SX_jjP12ihipStream_tbEUlT_E0_NS1_11comp_targetILNS1_3genE10ELNS1_11target_archE1200ELNS1_3gpuE4ELNS1_3repE0EEENS1_60segmented_radix_sort_warp_sort_medium_config_static_selectorELNS0_4arch9wavefront6targetE0EEEvSL_.uses_vcc, 0
	.set _ZN7rocprim17ROCPRIM_400000_NS6detail17trampoline_kernelINS0_14default_configENS1_36segmented_radix_sort_config_selectorI6__halflEEZNS1_25segmented_radix_sort_implIS3_Lb1EPKS5_PS5_PKlPlN2at6native12_GLOBAL__N_18offset_tEEE10hipError_tPvRmT1_PNSt15iterator_traitsISL_E10value_typeET2_T3_PNSM_ISR_E10value_typeET4_jRbjT5_SX_jjP12ihipStream_tbEUlT_E0_NS1_11comp_targetILNS1_3genE10ELNS1_11target_archE1200ELNS1_3gpuE4ELNS1_3repE0EEENS1_60segmented_radix_sort_warp_sort_medium_config_static_selectorELNS0_4arch9wavefront6targetE0EEEvSL_.uses_flat_scratch, 0
	.set _ZN7rocprim17ROCPRIM_400000_NS6detail17trampoline_kernelINS0_14default_configENS1_36segmented_radix_sort_config_selectorI6__halflEEZNS1_25segmented_radix_sort_implIS3_Lb1EPKS5_PS5_PKlPlN2at6native12_GLOBAL__N_18offset_tEEE10hipError_tPvRmT1_PNSt15iterator_traitsISL_E10value_typeET2_T3_PNSM_ISR_E10value_typeET4_jRbjT5_SX_jjP12ihipStream_tbEUlT_E0_NS1_11comp_targetILNS1_3genE10ELNS1_11target_archE1200ELNS1_3gpuE4ELNS1_3repE0EEENS1_60segmented_radix_sort_warp_sort_medium_config_static_selectorELNS0_4arch9wavefront6targetE0EEEvSL_.has_dyn_sized_stack, 0
	.set _ZN7rocprim17ROCPRIM_400000_NS6detail17trampoline_kernelINS0_14default_configENS1_36segmented_radix_sort_config_selectorI6__halflEEZNS1_25segmented_radix_sort_implIS3_Lb1EPKS5_PS5_PKlPlN2at6native12_GLOBAL__N_18offset_tEEE10hipError_tPvRmT1_PNSt15iterator_traitsISL_E10value_typeET2_T3_PNSM_ISR_E10value_typeET4_jRbjT5_SX_jjP12ihipStream_tbEUlT_E0_NS1_11comp_targetILNS1_3genE10ELNS1_11target_archE1200ELNS1_3gpuE4ELNS1_3repE0EEENS1_60segmented_radix_sort_warp_sort_medium_config_static_selectorELNS0_4arch9wavefront6targetE0EEEvSL_.has_recursion, 0
	.set _ZN7rocprim17ROCPRIM_400000_NS6detail17trampoline_kernelINS0_14default_configENS1_36segmented_radix_sort_config_selectorI6__halflEEZNS1_25segmented_radix_sort_implIS3_Lb1EPKS5_PS5_PKlPlN2at6native12_GLOBAL__N_18offset_tEEE10hipError_tPvRmT1_PNSt15iterator_traitsISL_E10value_typeET2_T3_PNSM_ISR_E10value_typeET4_jRbjT5_SX_jjP12ihipStream_tbEUlT_E0_NS1_11comp_targetILNS1_3genE10ELNS1_11target_archE1200ELNS1_3gpuE4ELNS1_3repE0EEENS1_60segmented_radix_sort_warp_sort_medium_config_static_selectorELNS0_4arch9wavefront6targetE0EEEvSL_.has_indirect_call, 0
	.section	.AMDGPU.csdata,"",@progbits
; Kernel info:
; codeLenInByte = 0
; TotalNumSgprs: 0
; NumVgprs: 0
; ScratchSize: 0
; MemoryBound: 0
; FloatMode: 240
; IeeeMode: 1
; LDSByteSize: 0 bytes/workgroup (compile time only)
; SGPRBlocks: 0
; VGPRBlocks: 0
; NumSGPRsForWavesPerEU: 1
; NumVGPRsForWavesPerEU: 1
; Occupancy: 16
; WaveLimiterHint : 0
; COMPUTE_PGM_RSRC2:SCRATCH_EN: 0
; COMPUTE_PGM_RSRC2:USER_SGPR: 6
; COMPUTE_PGM_RSRC2:TRAP_HANDLER: 0
; COMPUTE_PGM_RSRC2:TGID_X_EN: 1
; COMPUTE_PGM_RSRC2:TGID_Y_EN: 0
; COMPUTE_PGM_RSRC2:TGID_Z_EN: 0
; COMPUTE_PGM_RSRC2:TIDIG_COMP_CNT: 0
	.section	.text._ZN7rocprim17ROCPRIM_400000_NS6detail17trampoline_kernelINS0_14default_configENS1_36segmented_radix_sort_config_selectorI6__halflEEZNS1_25segmented_radix_sort_implIS3_Lb1EPKS5_PS5_PKlPlN2at6native12_GLOBAL__N_18offset_tEEE10hipError_tPvRmT1_PNSt15iterator_traitsISL_E10value_typeET2_T3_PNSM_ISR_E10value_typeET4_jRbjT5_SX_jjP12ihipStream_tbEUlT_E0_NS1_11comp_targetILNS1_3genE9ELNS1_11target_archE1100ELNS1_3gpuE3ELNS1_3repE0EEENS1_60segmented_radix_sort_warp_sort_medium_config_static_selectorELNS0_4arch9wavefront6targetE0EEEvSL_,"axG",@progbits,_ZN7rocprim17ROCPRIM_400000_NS6detail17trampoline_kernelINS0_14default_configENS1_36segmented_radix_sort_config_selectorI6__halflEEZNS1_25segmented_radix_sort_implIS3_Lb1EPKS5_PS5_PKlPlN2at6native12_GLOBAL__N_18offset_tEEE10hipError_tPvRmT1_PNSt15iterator_traitsISL_E10value_typeET2_T3_PNSM_ISR_E10value_typeET4_jRbjT5_SX_jjP12ihipStream_tbEUlT_E0_NS1_11comp_targetILNS1_3genE9ELNS1_11target_archE1100ELNS1_3gpuE3ELNS1_3repE0EEENS1_60segmented_radix_sort_warp_sort_medium_config_static_selectorELNS0_4arch9wavefront6targetE0EEEvSL_,comdat
	.globl	_ZN7rocprim17ROCPRIM_400000_NS6detail17trampoline_kernelINS0_14default_configENS1_36segmented_radix_sort_config_selectorI6__halflEEZNS1_25segmented_radix_sort_implIS3_Lb1EPKS5_PS5_PKlPlN2at6native12_GLOBAL__N_18offset_tEEE10hipError_tPvRmT1_PNSt15iterator_traitsISL_E10value_typeET2_T3_PNSM_ISR_E10value_typeET4_jRbjT5_SX_jjP12ihipStream_tbEUlT_E0_NS1_11comp_targetILNS1_3genE9ELNS1_11target_archE1100ELNS1_3gpuE3ELNS1_3repE0EEENS1_60segmented_radix_sort_warp_sort_medium_config_static_selectorELNS0_4arch9wavefront6targetE0EEEvSL_ ; -- Begin function _ZN7rocprim17ROCPRIM_400000_NS6detail17trampoline_kernelINS0_14default_configENS1_36segmented_radix_sort_config_selectorI6__halflEEZNS1_25segmented_radix_sort_implIS3_Lb1EPKS5_PS5_PKlPlN2at6native12_GLOBAL__N_18offset_tEEE10hipError_tPvRmT1_PNSt15iterator_traitsISL_E10value_typeET2_T3_PNSM_ISR_E10value_typeET4_jRbjT5_SX_jjP12ihipStream_tbEUlT_E0_NS1_11comp_targetILNS1_3genE9ELNS1_11target_archE1100ELNS1_3gpuE3ELNS1_3repE0EEENS1_60segmented_radix_sort_warp_sort_medium_config_static_selectorELNS0_4arch9wavefront6targetE0EEEvSL_
	.p2align	8
	.type	_ZN7rocprim17ROCPRIM_400000_NS6detail17trampoline_kernelINS0_14default_configENS1_36segmented_radix_sort_config_selectorI6__halflEEZNS1_25segmented_radix_sort_implIS3_Lb1EPKS5_PS5_PKlPlN2at6native12_GLOBAL__N_18offset_tEEE10hipError_tPvRmT1_PNSt15iterator_traitsISL_E10value_typeET2_T3_PNSM_ISR_E10value_typeET4_jRbjT5_SX_jjP12ihipStream_tbEUlT_E0_NS1_11comp_targetILNS1_3genE9ELNS1_11target_archE1100ELNS1_3gpuE3ELNS1_3repE0EEENS1_60segmented_radix_sort_warp_sort_medium_config_static_selectorELNS0_4arch9wavefront6targetE0EEEvSL_,@function
_ZN7rocprim17ROCPRIM_400000_NS6detail17trampoline_kernelINS0_14default_configENS1_36segmented_radix_sort_config_selectorI6__halflEEZNS1_25segmented_radix_sort_implIS3_Lb1EPKS5_PS5_PKlPlN2at6native12_GLOBAL__N_18offset_tEEE10hipError_tPvRmT1_PNSt15iterator_traitsISL_E10value_typeET2_T3_PNSM_ISR_E10value_typeET4_jRbjT5_SX_jjP12ihipStream_tbEUlT_E0_NS1_11comp_targetILNS1_3genE9ELNS1_11target_archE1100ELNS1_3gpuE3ELNS1_3repE0EEENS1_60segmented_radix_sort_warp_sort_medium_config_static_selectorELNS0_4arch9wavefront6targetE0EEEvSL_: ; @_ZN7rocprim17ROCPRIM_400000_NS6detail17trampoline_kernelINS0_14default_configENS1_36segmented_radix_sort_config_selectorI6__halflEEZNS1_25segmented_radix_sort_implIS3_Lb1EPKS5_PS5_PKlPlN2at6native12_GLOBAL__N_18offset_tEEE10hipError_tPvRmT1_PNSt15iterator_traitsISL_E10value_typeET2_T3_PNSM_ISR_E10value_typeET4_jRbjT5_SX_jjP12ihipStream_tbEUlT_E0_NS1_11comp_targetILNS1_3genE9ELNS1_11target_archE1100ELNS1_3gpuE3ELNS1_3repE0EEENS1_60segmented_radix_sort_warp_sort_medium_config_static_selectorELNS0_4arch9wavefront6targetE0EEEvSL_
; %bb.0:
	.section	.rodata,"a",@progbits
	.p2align	6, 0x0
	.amdhsa_kernel _ZN7rocprim17ROCPRIM_400000_NS6detail17trampoline_kernelINS0_14default_configENS1_36segmented_radix_sort_config_selectorI6__halflEEZNS1_25segmented_radix_sort_implIS3_Lb1EPKS5_PS5_PKlPlN2at6native12_GLOBAL__N_18offset_tEEE10hipError_tPvRmT1_PNSt15iterator_traitsISL_E10value_typeET2_T3_PNSM_ISR_E10value_typeET4_jRbjT5_SX_jjP12ihipStream_tbEUlT_E0_NS1_11comp_targetILNS1_3genE9ELNS1_11target_archE1100ELNS1_3gpuE3ELNS1_3repE0EEENS1_60segmented_radix_sort_warp_sort_medium_config_static_selectorELNS0_4arch9wavefront6targetE0EEEvSL_
		.amdhsa_group_segment_fixed_size 0
		.amdhsa_private_segment_fixed_size 0
		.amdhsa_kernarg_size 88
		.amdhsa_user_sgpr_count 6
		.amdhsa_user_sgpr_private_segment_buffer 1
		.amdhsa_user_sgpr_dispatch_ptr 0
		.amdhsa_user_sgpr_queue_ptr 0
		.amdhsa_user_sgpr_kernarg_segment_ptr 1
		.amdhsa_user_sgpr_dispatch_id 0
		.amdhsa_user_sgpr_flat_scratch_init 0
		.amdhsa_user_sgpr_private_segment_size 0
		.amdhsa_wavefront_size32 1
		.amdhsa_uses_dynamic_stack 0
		.amdhsa_system_sgpr_private_segment_wavefront_offset 0
		.amdhsa_system_sgpr_workgroup_id_x 1
		.amdhsa_system_sgpr_workgroup_id_y 0
		.amdhsa_system_sgpr_workgroup_id_z 0
		.amdhsa_system_sgpr_workgroup_info 0
		.amdhsa_system_vgpr_workitem_id 0
		.amdhsa_next_free_vgpr 1
		.amdhsa_next_free_sgpr 1
		.amdhsa_reserve_vcc 0
		.amdhsa_reserve_flat_scratch 0
		.amdhsa_float_round_mode_32 0
		.amdhsa_float_round_mode_16_64 0
		.amdhsa_float_denorm_mode_32 3
		.amdhsa_float_denorm_mode_16_64 3
		.amdhsa_dx10_clamp 1
		.amdhsa_ieee_mode 1
		.amdhsa_fp16_overflow 0
		.amdhsa_workgroup_processor_mode 1
		.amdhsa_memory_ordered 1
		.amdhsa_forward_progress 1
		.amdhsa_shared_vgpr_count 0
		.amdhsa_exception_fp_ieee_invalid_op 0
		.amdhsa_exception_fp_denorm_src 0
		.amdhsa_exception_fp_ieee_div_zero 0
		.amdhsa_exception_fp_ieee_overflow 0
		.amdhsa_exception_fp_ieee_underflow 0
		.amdhsa_exception_fp_ieee_inexact 0
		.amdhsa_exception_int_div_zero 0
	.end_amdhsa_kernel
	.section	.text._ZN7rocprim17ROCPRIM_400000_NS6detail17trampoline_kernelINS0_14default_configENS1_36segmented_radix_sort_config_selectorI6__halflEEZNS1_25segmented_radix_sort_implIS3_Lb1EPKS5_PS5_PKlPlN2at6native12_GLOBAL__N_18offset_tEEE10hipError_tPvRmT1_PNSt15iterator_traitsISL_E10value_typeET2_T3_PNSM_ISR_E10value_typeET4_jRbjT5_SX_jjP12ihipStream_tbEUlT_E0_NS1_11comp_targetILNS1_3genE9ELNS1_11target_archE1100ELNS1_3gpuE3ELNS1_3repE0EEENS1_60segmented_radix_sort_warp_sort_medium_config_static_selectorELNS0_4arch9wavefront6targetE0EEEvSL_,"axG",@progbits,_ZN7rocprim17ROCPRIM_400000_NS6detail17trampoline_kernelINS0_14default_configENS1_36segmented_radix_sort_config_selectorI6__halflEEZNS1_25segmented_radix_sort_implIS3_Lb1EPKS5_PS5_PKlPlN2at6native12_GLOBAL__N_18offset_tEEE10hipError_tPvRmT1_PNSt15iterator_traitsISL_E10value_typeET2_T3_PNSM_ISR_E10value_typeET4_jRbjT5_SX_jjP12ihipStream_tbEUlT_E0_NS1_11comp_targetILNS1_3genE9ELNS1_11target_archE1100ELNS1_3gpuE3ELNS1_3repE0EEENS1_60segmented_radix_sort_warp_sort_medium_config_static_selectorELNS0_4arch9wavefront6targetE0EEEvSL_,comdat
.Lfunc_end1746:
	.size	_ZN7rocprim17ROCPRIM_400000_NS6detail17trampoline_kernelINS0_14default_configENS1_36segmented_radix_sort_config_selectorI6__halflEEZNS1_25segmented_radix_sort_implIS3_Lb1EPKS5_PS5_PKlPlN2at6native12_GLOBAL__N_18offset_tEEE10hipError_tPvRmT1_PNSt15iterator_traitsISL_E10value_typeET2_T3_PNSM_ISR_E10value_typeET4_jRbjT5_SX_jjP12ihipStream_tbEUlT_E0_NS1_11comp_targetILNS1_3genE9ELNS1_11target_archE1100ELNS1_3gpuE3ELNS1_3repE0EEENS1_60segmented_radix_sort_warp_sort_medium_config_static_selectorELNS0_4arch9wavefront6targetE0EEEvSL_, .Lfunc_end1746-_ZN7rocprim17ROCPRIM_400000_NS6detail17trampoline_kernelINS0_14default_configENS1_36segmented_radix_sort_config_selectorI6__halflEEZNS1_25segmented_radix_sort_implIS3_Lb1EPKS5_PS5_PKlPlN2at6native12_GLOBAL__N_18offset_tEEE10hipError_tPvRmT1_PNSt15iterator_traitsISL_E10value_typeET2_T3_PNSM_ISR_E10value_typeET4_jRbjT5_SX_jjP12ihipStream_tbEUlT_E0_NS1_11comp_targetILNS1_3genE9ELNS1_11target_archE1100ELNS1_3gpuE3ELNS1_3repE0EEENS1_60segmented_radix_sort_warp_sort_medium_config_static_selectorELNS0_4arch9wavefront6targetE0EEEvSL_
                                        ; -- End function
	.set _ZN7rocprim17ROCPRIM_400000_NS6detail17trampoline_kernelINS0_14default_configENS1_36segmented_radix_sort_config_selectorI6__halflEEZNS1_25segmented_radix_sort_implIS3_Lb1EPKS5_PS5_PKlPlN2at6native12_GLOBAL__N_18offset_tEEE10hipError_tPvRmT1_PNSt15iterator_traitsISL_E10value_typeET2_T3_PNSM_ISR_E10value_typeET4_jRbjT5_SX_jjP12ihipStream_tbEUlT_E0_NS1_11comp_targetILNS1_3genE9ELNS1_11target_archE1100ELNS1_3gpuE3ELNS1_3repE0EEENS1_60segmented_radix_sort_warp_sort_medium_config_static_selectorELNS0_4arch9wavefront6targetE0EEEvSL_.num_vgpr, 0
	.set _ZN7rocprim17ROCPRIM_400000_NS6detail17trampoline_kernelINS0_14default_configENS1_36segmented_radix_sort_config_selectorI6__halflEEZNS1_25segmented_radix_sort_implIS3_Lb1EPKS5_PS5_PKlPlN2at6native12_GLOBAL__N_18offset_tEEE10hipError_tPvRmT1_PNSt15iterator_traitsISL_E10value_typeET2_T3_PNSM_ISR_E10value_typeET4_jRbjT5_SX_jjP12ihipStream_tbEUlT_E0_NS1_11comp_targetILNS1_3genE9ELNS1_11target_archE1100ELNS1_3gpuE3ELNS1_3repE0EEENS1_60segmented_radix_sort_warp_sort_medium_config_static_selectorELNS0_4arch9wavefront6targetE0EEEvSL_.num_agpr, 0
	.set _ZN7rocprim17ROCPRIM_400000_NS6detail17trampoline_kernelINS0_14default_configENS1_36segmented_radix_sort_config_selectorI6__halflEEZNS1_25segmented_radix_sort_implIS3_Lb1EPKS5_PS5_PKlPlN2at6native12_GLOBAL__N_18offset_tEEE10hipError_tPvRmT1_PNSt15iterator_traitsISL_E10value_typeET2_T3_PNSM_ISR_E10value_typeET4_jRbjT5_SX_jjP12ihipStream_tbEUlT_E0_NS1_11comp_targetILNS1_3genE9ELNS1_11target_archE1100ELNS1_3gpuE3ELNS1_3repE0EEENS1_60segmented_radix_sort_warp_sort_medium_config_static_selectorELNS0_4arch9wavefront6targetE0EEEvSL_.numbered_sgpr, 0
	.set _ZN7rocprim17ROCPRIM_400000_NS6detail17trampoline_kernelINS0_14default_configENS1_36segmented_radix_sort_config_selectorI6__halflEEZNS1_25segmented_radix_sort_implIS3_Lb1EPKS5_PS5_PKlPlN2at6native12_GLOBAL__N_18offset_tEEE10hipError_tPvRmT1_PNSt15iterator_traitsISL_E10value_typeET2_T3_PNSM_ISR_E10value_typeET4_jRbjT5_SX_jjP12ihipStream_tbEUlT_E0_NS1_11comp_targetILNS1_3genE9ELNS1_11target_archE1100ELNS1_3gpuE3ELNS1_3repE0EEENS1_60segmented_radix_sort_warp_sort_medium_config_static_selectorELNS0_4arch9wavefront6targetE0EEEvSL_.num_named_barrier, 0
	.set _ZN7rocprim17ROCPRIM_400000_NS6detail17trampoline_kernelINS0_14default_configENS1_36segmented_radix_sort_config_selectorI6__halflEEZNS1_25segmented_radix_sort_implIS3_Lb1EPKS5_PS5_PKlPlN2at6native12_GLOBAL__N_18offset_tEEE10hipError_tPvRmT1_PNSt15iterator_traitsISL_E10value_typeET2_T3_PNSM_ISR_E10value_typeET4_jRbjT5_SX_jjP12ihipStream_tbEUlT_E0_NS1_11comp_targetILNS1_3genE9ELNS1_11target_archE1100ELNS1_3gpuE3ELNS1_3repE0EEENS1_60segmented_radix_sort_warp_sort_medium_config_static_selectorELNS0_4arch9wavefront6targetE0EEEvSL_.private_seg_size, 0
	.set _ZN7rocprim17ROCPRIM_400000_NS6detail17trampoline_kernelINS0_14default_configENS1_36segmented_radix_sort_config_selectorI6__halflEEZNS1_25segmented_radix_sort_implIS3_Lb1EPKS5_PS5_PKlPlN2at6native12_GLOBAL__N_18offset_tEEE10hipError_tPvRmT1_PNSt15iterator_traitsISL_E10value_typeET2_T3_PNSM_ISR_E10value_typeET4_jRbjT5_SX_jjP12ihipStream_tbEUlT_E0_NS1_11comp_targetILNS1_3genE9ELNS1_11target_archE1100ELNS1_3gpuE3ELNS1_3repE0EEENS1_60segmented_radix_sort_warp_sort_medium_config_static_selectorELNS0_4arch9wavefront6targetE0EEEvSL_.uses_vcc, 0
	.set _ZN7rocprim17ROCPRIM_400000_NS6detail17trampoline_kernelINS0_14default_configENS1_36segmented_radix_sort_config_selectorI6__halflEEZNS1_25segmented_radix_sort_implIS3_Lb1EPKS5_PS5_PKlPlN2at6native12_GLOBAL__N_18offset_tEEE10hipError_tPvRmT1_PNSt15iterator_traitsISL_E10value_typeET2_T3_PNSM_ISR_E10value_typeET4_jRbjT5_SX_jjP12ihipStream_tbEUlT_E0_NS1_11comp_targetILNS1_3genE9ELNS1_11target_archE1100ELNS1_3gpuE3ELNS1_3repE0EEENS1_60segmented_radix_sort_warp_sort_medium_config_static_selectorELNS0_4arch9wavefront6targetE0EEEvSL_.uses_flat_scratch, 0
	.set _ZN7rocprim17ROCPRIM_400000_NS6detail17trampoline_kernelINS0_14default_configENS1_36segmented_radix_sort_config_selectorI6__halflEEZNS1_25segmented_radix_sort_implIS3_Lb1EPKS5_PS5_PKlPlN2at6native12_GLOBAL__N_18offset_tEEE10hipError_tPvRmT1_PNSt15iterator_traitsISL_E10value_typeET2_T3_PNSM_ISR_E10value_typeET4_jRbjT5_SX_jjP12ihipStream_tbEUlT_E0_NS1_11comp_targetILNS1_3genE9ELNS1_11target_archE1100ELNS1_3gpuE3ELNS1_3repE0EEENS1_60segmented_radix_sort_warp_sort_medium_config_static_selectorELNS0_4arch9wavefront6targetE0EEEvSL_.has_dyn_sized_stack, 0
	.set _ZN7rocprim17ROCPRIM_400000_NS6detail17trampoline_kernelINS0_14default_configENS1_36segmented_radix_sort_config_selectorI6__halflEEZNS1_25segmented_radix_sort_implIS3_Lb1EPKS5_PS5_PKlPlN2at6native12_GLOBAL__N_18offset_tEEE10hipError_tPvRmT1_PNSt15iterator_traitsISL_E10value_typeET2_T3_PNSM_ISR_E10value_typeET4_jRbjT5_SX_jjP12ihipStream_tbEUlT_E0_NS1_11comp_targetILNS1_3genE9ELNS1_11target_archE1100ELNS1_3gpuE3ELNS1_3repE0EEENS1_60segmented_radix_sort_warp_sort_medium_config_static_selectorELNS0_4arch9wavefront6targetE0EEEvSL_.has_recursion, 0
	.set _ZN7rocprim17ROCPRIM_400000_NS6detail17trampoline_kernelINS0_14default_configENS1_36segmented_radix_sort_config_selectorI6__halflEEZNS1_25segmented_radix_sort_implIS3_Lb1EPKS5_PS5_PKlPlN2at6native12_GLOBAL__N_18offset_tEEE10hipError_tPvRmT1_PNSt15iterator_traitsISL_E10value_typeET2_T3_PNSM_ISR_E10value_typeET4_jRbjT5_SX_jjP12ihipStream_tbEUlT_E0_NS1_11comp_targetILNS1_3genE9ELNS1_11target_archE1100ELNS1_3gpuE3ELNS1_3repE0EEENS1_60segmented_radix_sort_warp_sort_medium_config_static_selectorELNS0_4arch9wavefront6targetE0EEEvSL_.has_indirect_call, 0
	.section	.AMDGPU.csdata,"",@progbits
; Kernel info:
; codeLenInByte = 0
; TotalNumSgprs: 0
; NumVgprs: 0
; ScratchSize: 0
; MemoryBound: 0
; FloatMode: 240
; IeeeMode: 1
; LDSByteSize: 0 bytes/workgroup (compile time only)
; SGPRBlocks: 0
; VGPRBlocks: 0
; NumSGPRsForWavesPerEU: 1
; NumVGPRsForWavesPerEU: 1
; Occupancy: 16
; WaveLimiterHint : 0
; COMPUTE_PGM_RSRC2:SCRATCH_EN: 0
; COMPUTE_PGM_RSRC2:USER_SGPR: 6
; COMPUTE_PGM_RSRC2:TRAP_HANDLER: 0
; COMPUTE_PGM_RSRC2:TGID_X_EN: 1
; COMPUTE_PGM_RSRC2:TGID_Y_EN: 0
; COMPUTE_PGM_RSRC2:TGID_Z_EN: 0
; COMPUTE_PGM_RSRC2:TIDIG_COMP_CNT: 0
	.text
	.p2align	2                               ; -- Begin function _ZN7rocprim17ROCPRIM_400000_NS6detail26segmented_warp_sort_helperINS1_20WarpSortHelperConfigILj16ELj8ELj256EEE6__halflLi256ELb1EvE4sortIPKS5_PS5_PKlPlEEvT_T0_T1_T2_jjjjRNS6_12storage_typeE
	.type	_ZN7rocprim17ROCPRIM_400000_NS6detail26segmented_warp_sort_helperINS1_20WarpSortHelperConfigILj16ELj8ELj256EEE6__halflLi256ELb1EvE4sortIPKS5_PS5_PKlPlEEvT_T0_T1_T2_jjjjRNS6_12storage_typeE,@function
_ZN7rocprim17ROCPRIM_400000_NS6detail26segmented_warp_sort_helperINS1_20WarpSortHelperConfigILj16ELj8ELj256EEE6__halflLi256ELb1EvE4sortIPKS5_PS5_PKlPlEEvT_T0_T1_T2_jjjjRNS6_12storage_typeE: ; @_ZN7rocprim17ROCPRIM_400000_NS6detail26segmented_warp_sort_helperINS1_20WarpSortHelperConfigILj16ELj8ELj256EEE6__halflLi256ELb1EvE4sortIPKS5_PS5_PKlPlEEvT_T0_T1_T2_jjjjRNS6_12storage_typeE
; %bb.0:
	s_waitcnt vmcnt(0) expcnt(0) lgkmcnt(0)
	v_mov_b32_e32 v10, v9
	v_mbcnt_lo_u32_b32 v9, -1, 0
	v_mov_b32_e32 v39, 0xffff
	v_mov_b32_e32 v36, 0xffff
	v_sub_nc_u32_e32 v10, v10, v8
	v_lshlrev_b32_e32 v35, 3, v9
	v_mov_b32_e32 v9, 0
	v_and_b32_e32 v34, 0x78, v35
	v_lshlrev_b64 v[11:12], 1, v[8:9]
	v_lshlrev_b32_e32 v32, 1, v34
	v_add_co_u32 v0, vcc_lo, v0, v11
	v_add_co_ci_u32_e64 v1, null, v1, v12, vcc_lo
	v_add_co_u32 v0, vcc_lo, v0, v32
	v_add_co_ci_u32_e64 v1, null, 0, v1, vcc_lo
	v_cmp_lt_u32_e32 vcc_lo, v34, v10
	s_and_saveexec_b32 s4, vcc_lo
	s_cbranch_execz .LBB1747_2
; %bb.1:
	flat_load_ushort v36, v[0:1]
.LBB1747_2:
	s_or_b32 exec_lo, exec_lo, s4
	v_or_b32_e32 v13, 1, v34
	v_cmp_lt_u32_e64 s4, v13, v10
	s_and_saveexec_b32 s5, s4
	s_cbranch_execz .LBB1747_4
; %bb.3:
	flat_load_ushort v39, v[0:1] offset:2
.LBB1747_4:
	s_or_b32 exec_lo, exec_lo, s5
	v_or_b32_e32 v13, 2, v34
	v_mov_b32_e32 v51, 0xffff
	v_mov_b32_e32 v48, 0xffff
	v_cmp_lt_u32_e64 s5, v13, v10
	s_and_saveexec_b32 s6, s5
	s_cbranch_execz .LBB1747_6
; %bb.5:
	flat_load_ushort v48, v[0:1] offset:4
.LBB1747_6:
	s_or_b32 exec_lo, exec_lo, s6
	v_or_b32_e32 v13, 3, v34
	v_cmp_lt_u32_e64 s6, v13, v10
	s_and_saveexec_b32 s7, s6
	s_cbranch_execz .LBB1747_8
; %bb.7:
	flat_load_ushort v51, v[0:1] offset:6
.LBB1747_8:
	s_or_b32 exec_lo, exec_lo, s7
	v_or_b32_e32 v13, 4, v34
	v_mov_b32_e32 v38, 0xffff
	v_mov_b32_e32 v49, 0xffff
	v_cmp_lt_u32_e64 s7, v13, v10
	s_and_saveexec_b32 s10, s7
	s_cbranch_execz .LBB1747_10
; %bb.9:
	flat_load_ushort v49, v[0:1] offset:8
.LBB1747_10:
	;; [unrolled: 18-line block ×3, first 2 shown]
	s_or_b32 exec_lo, exec_lo, s14
	v_or_b32_e32 v13, 7, v34
	v_cmp_lt_u32_e64 s14, v13, v10
	s_and_saveexec_b32 s15, s14
	s_cbranch_execz .LBB1747_16
; %bb.15:
	flat_load_ushort v37, v[0:1] offset:14
.LBB1747_16:
	s_or_b32 exec_lo, exec_lo, s15
	v_lshlrev_b64 v[0:1], 3, v[8:9]
	v_lshlrev_b32_e32 v33, 3, v34
	; wave barrier
	v_add_co_u32 v4, s15, v4, v0
	v_add_co_ci_u32_e64 v5, null, v5, v1, s15
	v_add_co_u32 v13, s15, v4, v33
	v_add_co_ci_u32_e64 v14, null, 0, v5, s15
                                        ; implicit-def: $vgpr4_vgpr5
	s_and_saveexec_b32 s15, vcc_lo
	s_cbranch_execnz .LBB1747_261
; %bb.17:
	s_or_b32 exec_lo, exec_lo, s15
                                        ; implicit-def: $vgpr8_vgpr9
	s_and_saveexec_b32 s15, s4
	s_cbranch_execnz .LBB1747_262
.LBB1747_18:
	s_or_b32 exec_lo, exec_lo, s15
                                        ; implicit-def: $vgpr15_vgpr16
	s_and_saveexec_b32 s15, s5
	s_cbranch_execnz .LBB1747_263
.LBB1747_19:
	s_or_b32 exec_lo, exec_lo, s15
                                        ; implicit-def: $vgpr17_vgpr18
	s_and_saveexec_b32 s15, s6
	s_cbranch_execnz .LBB1747_264
.LBB1747_20:
	s_or_b32 exec_lo, exec_lo, s15
                                        ; implicit-def: $vgpr19_vgpr20
	s_and_saveexec_b32 s15, s7
	s_cbranch_execnz .LBB1747_265
.LBB1747_21:
	s_or_b32 exec_lo, exec_lo, s15
                                        ; implicit-def: $vgpr23_vgpr24
	s_and_saveexec_b32 s15, s10
	s_cbranch_execnz .LBB1747_266
.LBB1747_22:
	s_or_b32 exec_lo, exec_lo, s15
                                        ; implicit-def: $vgpr21_vgpr22
	s_and_saveexec_b32 s15, s11
	s_cbranch_execnz .LBB1747_267
.LBB1747_23:
	s_or_b32 exec_lo, exec_lo, s15
                                        ; implicit-def: $vgpr25_vgpr26
	s_and_saveexec_b32 s15, s14
	s_cbranch_execz .LBB1747_25
.LBB1747_24:
	flat_load_dwordx2 v[25:26], v[13:14] offset:56
.LBB1747_25:
	s_or_b32 exec_lo, exec_lo, s15
	; wave barrier
	s_load_dwordx2 s[16:17], s[8:9], 0x0
	v_mov_b32_e32 v10, 0
	v_bfe_u32 v14, v31, 10, 10
	v_bfe_u32 v27, v31, 20, 10
	s_waitcnt lgkmcnt(0)
	s_cmp_lt_u32 s13, s17
	s_cselect_b32 s13, 14, 20
	s_add_u32 s18, s8, s13
	s_addc_u32 s19, s9, 0
	s_cmp_lt_u32 s12, s16
	global_load_ushort v13, v10, s[18:19]
	s_cselect_b32 s12, 12, 18
	s_add_u32 s8, s8, s12
	s_addc_u32 s9, s9, 0
	global_load_ushort v10, v10, s[8:9]
	s_mov_b32 s9, exec_lo
	s_waitcnt vmcnt(1)
	v_mad_u32_u24 v13, v27, v13, v14
	s_waitcnt vmcnt(0)
	v_mul_lo_u32 v10, v13, v10
	v_and_b32_e32 v13, 0x3ff, v31
	v_add_lshl_u32 v10, v10, v13, 3
	v_cmpx_gt_u32_e32 0x800, v10
	s_cbranch_execz .LBB1747_83
; %bb.26:
	v_add_f16_e32 v13, 0, v39
	v_add_f16_e32 v14, 0, v36
	v_mov_b32_e32 v31, v39
	s_mov_b32 s12, exec_lo
	v_cmp_lt_i16_e64 s8, -1, v13
	v_cndmask_b32_e64 v27, -1, 0xffff8000, s8
	v_cmp_lt_i16_e64 s8, -1, v14
	v_xor_b32_e32 v13, v27, v13
	v_cndmask_b32_e64 v28, -1, 0xffff8000, s8
	v_xor_b32_e32 v14, v28, v14
	v_mov_b32_e32 v28, v9
	v_mov_b32_e32 v27, v8
	v_cmpx_gt_u16_e64 v13, v14
; %bb.27:
	v_mov_b32_e32 v28, v5
	v_mov_b32_e32 v27, v4
	;; [unrolled: 1-line block ×6, first 2 shown]
; %bb.28:
	s_or_b32 exec_lo, exec_lo, s12
	v_add_f16_e32 v8, 0, v51
	v_add_f16_e32 v9, 0, v48
	v_mov_b32_e32 v30, v18
	v_mov_b32_e32 v52, v51
	;; [unrolled: 1-line block ×3, first 2 shown]
	v_cmp_lt_i16_e64 s8, -1, v8
	s_mov_b32 s12, exec_lo
	v_cndmask_b32_e64 v13, -1, 0xffff8000, s8
	v_cmp_lt_i16_e64 s8, -1, v9
	v_xor_b32_e32 v8, v13, v8
	v_cndmask_b32_e64 v14, -1, 0xffff8000, s8
	v_xor_b32_e32 v9, v14, v9
	v_cmpx_gt_u16_e64 v8, v9
; %bb.29:
	v_mov_b32_e32 v30, v16
	v_mov_b32_e32 v29, v15
	;; [unrolled: 1-line block ×6, first 2 shown]
; %bb.30:
	s_or_b32 exec_lo, exec_lo, s12
	v_add_f16_e32 v8, 0, v38
	v_add_f16_e32 v9, 0, v49
	v_mov_b32_e32 v51, v49
	s_mov_b32 s12, exec_lo
	v_cmp_lt_i16_e64 s8, -1, v8
	v_cndmask_b32_e64 v13, -1, 0xffff8000, s8
	v_cmp_lt_i16_e64 s8, -1, v9
	v_xor_b32_e32 v8, v13, v8
	v_cndmask_b32_e64 v14, -1, 0xffff8000, s8
	v_xor_b32_e32 v9, v14, v9
	v_mov_b32_e32 v13, v23
	v_mov_b32_e32 v14, v24
	v_cmpx_gt_u16_e64 v8, v9
; %bb.31:
	v_mov_b32_e32 v13, v19
	v_mov_b32_e32 v14, v20
	;; [unrolled: 1-line block ×6, first 2 shown]
; %bb.32:
	s_or_b32 exec_lo, exec_lo, s12
	v_add_f16_e32 v8, 0, v37
	v_add_f16_e32 v9, 0, v50
	v_mov_b32_e32 v49, v50
	s_mov_b32 s12, exec_lo
	v_cmp_lt_i16_e64 s8, -1, v8
	v_cndmask_b32_e64 v17, -1, 0xffff8000, s8
	v_cmp_lt_i16_e64 s8, -1, v9
	v_xor_b32_e32 v17, v17, v8
	v_cndmask_b32_e64 v18, -1, 0xffff8000, s8
	v_xor_b32_e32 v18, v18, v9
	v_mov_b32_e32 v8, v25
	v_mov_b32_e32 v9, v26
	v_cmpx_gt_u16_e64 v17, v18
; %bb.33:
	v_mov_b32_e32 v8, v21
	v_mov_b32_e32 v9, v22
	;; [unrolled: 1-line block ×6, first 2 shown]
; %bb.34:
	s_or_b32 exec_lo, exec_lo, s12
	v_add_f16_e32 v17, 0, v48
	v_add_f16_e32 v18, 0, v31
	v_mov_b32_e32 v39, v48
	v_cmp_lt_i16_e64 s8, -1, v17
	v_cndmask_b32_e64 v23, -1, 0xffff8000, s8
	v_cmp_lt_i16_e64 s8, -1, v18
	v_xor_b32_e32 v17, v23, v17
	v_cndmask_b32_e64 v24, -1, 0xffff8000, s8
	v_xor_b32_e32 v18, v24, v18
	v_mov_b32_e32 v24, v16
	v_mov_b32_e32 v23, v15
	v_cmp_gt_u16_e64 s8, v17, v18
	s_and_saveexec_b32 s12, s8
	s_xor_b32 s8, exec_lo, s12
; %bb.35:
	v_mov_b32_e32 v23, v27
	v_mov_b32_e32 v24, v28
	v_mov_b32_e32 v28, v16
	v_mov_b32_e32 v39, v31
	v_mov_b32_e32 v31, v48
	v_mov_b32_e32 v27, v15
; %bb.36:
	s_or_b32 exec_lo, exec_lo, s8
	v_add_f16_e32 v15, 0, v51
	v_add_f16_e32 v16, 0, v52
	v_mov_b32_e32 v26, v20
	v_mov_b32_e32 v25, v19
	s_mov_b32 s12, exec_lo
	v_cmp_lt_i16_e64 s8, -1, v15
	v_cndmask_b32_e64 v17, -1, 0xffff8000, s8
	v_cmp_lt_i16_e64 s8, -1, v16
	v_xor_b32_e32 v15, v17, v15
	v_cndmask_b32_e64 v18, -1, 0xffff8000, s8
	v_mov_b32_e32 v17, v52
	v_xor_b32_e32 v16, v18, v16
	v_cmpx_gt_u16_e64 v15, v16
; %bb.37:
	v_mov_b32_e32 v25, v29
	v_mov_b32_e32 v26, v30
	;; [unrolled: 1-line block ×6, first 2 shown]
; %bb.38:
	s_or_b32 exec_lo, exec_lo, s12
	v_add_f16_e32 v15, 0, v49
	v_add_f16_e32 v16, 0, v38
	v_mov_b32_e32 v48, v38
	s_mov_b32 s12, exec_lo
	v_cmp_lt_i16_e64 s8, -1, v15
	v_cndmask_b32_e64 v18, -1, 0xffff8000, s8
	v_cmp_lt_i16_e64 s8, -1, v16
	v_xor_b32_e32 v18, v18, v15
	v_cndmask_b32_e64 v19, -1, 0xffff8000, s8
	v_xor_b32_e32 v19, v19, v16
	v_mov_b32_e32 v15, v21
	v_mov_b32_e32 v16, v22
	v_cmpx_gt_u16_e64 v18, v19
; %bb.39:
	v_mov_b32_e32 v16, v14
	v_mov_b32_e32 v15, v13
	v_mov_b32_e32 v13, v21
	v_mov_b32_e32 v14, v22
	v_mov_b32_e32 v48, v49
	v_mov_b32_e32 v49, v38
; %bb.40:
	s_or_b32 exec_lo, exec_lo, s12
	v_add_f16_e32 v18, 0, v31
	v_add_f16_e32 v19, 0, v36
	v_mov_b32_e32 v38, v31
	v_cmp_lt_i16_e64 s8, -1, v18
	v_cndmask_b32_e64 v20, -1, 0xffff8000, s8
	v_cmp_lt_i16_e64 s8, -1, v19
	v_xor_b32_e32 v18, v20, v18
	v_cndmask_b32_e64 v21, -1, 0xffff8000, s8
	v_xor_b32_e32 v19, v21, v19
	v_cmp_gt_u16_e64 s8, v18, v19
	v_mov_b32_e32 v19, v27
	v_mov_b32_e32 v20, v28
	s_and_saveexec_b32 s12, s8
; %bb.41:
	v_mov_b32_e32 v20, v5
	v_mov_b32_e32 v19, v4
	v_mov_b32_e32 v4, v27
	v_mov_b32_e32 v38, v36
	v_mov_b32_e32 v36, v31
	v_mov_b32_e32 v5, v28
; %bb.42:
	s_or_b32 exec_lo, exec_lo, s12
	v_add_f16_e32 v18, 0, v17
	v_add_f16_e32 v21, 0, v39
	v_mov_b32_e32 v53, v17
	s_mov_b32 s12, exec_lo
	v_cmp_lt_i16_e64 s8, -1, v18
	v_cndmask_b32_e64 v22, -1, 0xffff8000, s8
	v_cmp_lt_i16_e64 s8, -1, v21
	v_xor_b32_e32 v18, v22, v18
	v_cndmask_b32_e64 v27, -1, 0xffff8000, s8
	v_xor_b32_e32 v21, v27, v21
	v_mov_b32_e32 v27, v29
	v_mov_b32_e32 v28, v30
	v_cmpx_gt_u16_e64 v18, v21
; %bb.43:
	v_mov_b32_e32 v28, v24
	v_mov_b32_e32 v27, v23
	v_mov_b32_e32 v23, v29
	v_mov_b32_e32 v53, v39
	v_mov_b32_e32 v39, v17
	v_mov_b32_e32 v24, v30
; %bb.44:
	s_or_b32 exec_lo, exec_lo, s12
	v_add_f16_e32 v17, 0, v48
	v_add_f16_e32 v18, 0, v51
	v_mov_b32_e32 v52, v51
	s_mov_b32 s12, exec_lo
	v_cmp_lt_i16_e64 s8, -1, v17
	v_cndmask_b32_e64 v21, -1, 0xffff8000, s8
	v_cmp_lt_i16_e64 s8, -1, v18
	v_xor_b32_e32 v21, v21, v17
	v_cndmask_b32_e64 v22, -1, 0xffff8000, s8
	v_xor_b32_e32 v22, v22, v18
	v_mov_b32_e32 v18, v14
	v_mov_b32_e32 v17, v13
	v_cmpx_gt_u16_e64 v21, v22
	;; [unrolled: 22-line block ×3, first 2 shown]
; %bb.47:
	v_mov_b32_e32 v13, v15
	v_mov_b32_e32 v14, v16
	;; [unrolled: 1-line block ×6, first 2 shown]
; %bb.48:
	s_or_b32 exec_lo, exec_lo, s12
	v_add_f16_e32 v8, 0, v39
	v_add_f16_e32 v9, 0, v38
	v_mov_b32_e32 v30, v24
	v_mov_b32_e32 v31, v39
	;; [unrolled: 1-line block ×3, first 2 shown]
	v_cmp_lt_i16_e64 s8, -1, v8
	s_mov_b32 s12, exec_lo
	v_cndmask_b32_e64 v21, -1, 0xffff8000, s8
	v_cmp_lt_i16_e64 s8, -1, v9
	v_xor_b32_e32 v8, v21, v8
	v_cndmask_b32_e64 v22, -1, 0xffff8000, s8
	v_xor_b32_e32 v9, v22, v9
	v_cmpx_gt_u16_e64 v8, v9
; %bb.49:
	v_mov_b32_e32 v30, v20
	v_mov_b32_e32 v29, v19
	v_mov_b32_e32 v19, v23
	v_mov_b32_e32 v31, v38
	v_mov_b32_e32 v38, v39
	v_mov_b32_e32 v20, v24
; %bb.50:
	s_or_b32 exec_lo, exec_lo, s12
	v_add_f16_e32 v8, 0, v52
	v_add_f16_e32 v9, 0, v53
	v_mov_b32_e32 v49, v53
	s_mov_b32 s12, exec_lo
	v_cmp_lt_i16_e64 s8, -1, v8
	v_cndmask_b32_e64 v21, -1, 0xffff8000, s8
	v_cmp_lt_i16_e64 s8, -1, v9
	v_xor_b32_e32 v8, v21, v8
	v_cndmask_b32_e64 v22, -1, 0xffff8000, s8
	v_xor_b32_e32 v9, v22, v9
	v_mov_b32_e32 v21, v25
	v_mov_b32_e32 v22, v26
	v_cmpx_gt_u16_e64 v8, v9
; %bb.51:
	v_mov_b32_e32 v21, v27
	v_mov_b32_e32 v22, v28
	v_mov_b32_e32 v28, v26
	v_mov_b32_e32 v49, v52
	v_mov_b32_e32 v27, v25
	v_mov_b32_e32 v52, v53
; %bb.52:
	s_or_b32 exec_lo, exec_lo, s12
	v_add_f16_e32 v8, 0, v50
	v_add_f16_e32 v9, 0, v48
	v_mov_b32_e32 v39, v48
	s_mov_b32 s12, exec_lo
	v_cmp_lt_i16_e64 s8, -1, v8
	v_cndmask_b32_e64 v23, -1, 0xffff8000, s8
	v_cmp_lt_i16_e64 s8, -1, v9
	v_xor_b32_e32 v23, v23, v8
	v_cndmask_b32_e64 v24, -1, 0xffff8000, s8
	v_xor_b32_e32 v24, v24, v9
	v_mov_b32_e32 v8, v15
	v_mov_b32_e32 v9, v16
	;; [unrolled: 22-line block ×3, first 2 shown]
	v_cmpx_gt_u16_e64 v15, v16
; %bb.55:
	v_mov_b32_e32 v24, v5
	v_mov_b32_e32 v23, v4
	;; [unrolled: 1-line block ×6, first 2 shown]
; %bb.56:
	s_or_b32 exec_lo, exec_lo, s12
	v_add_f16_e32 v15, 0, v49
	v_add_f16_e32 v16, 0, v31
	v_mov_b32_e32 v25, v27
	v_mov_b32_e32 v38, v49
	;; [unrolled: 1-line block ×3, first 2 shown]
	v_cmp_lt_i16_e64 s8, -1, v15
	s_mov_b32 s12, exec_lo
	v_cndmask_b32_e64 v19, -1, 0xffff8000, s8
	v_cmp_lt_i16_e64 s8, -1, v16
	v_xor_b32_e32 v15, v19, v15
	v_cndmask_b32_e64 v20, -1, 0xffff8000, s8
	v_xor_b32_e32 v16, v20, v16
	v_cmpx_gt_u16_e64 v15, v16
; %bb.57:
	v_mov_b32_e32 v25, v29
	v_mov_b32_e32 v26, v30
	;; [unrolled: 1-line block ×6, first 2 shown]
; %bb.58:
	s_or_b32 exec_lo, exec_lo, s12
	v_add_f16_e32 v15, 0, v39
	v_add_f16_e32 v16, 0, v52
	v_mov_b32_e32 v53, v52
	s_mov_b32 s12, exec_lo
	v_cmp_lt_i16_e64 s8, -1, v15
	v_cndmask_b32_e64 v19, -1, 0xffff8000, s8
	v_cmp_lt_i16_e64 s8, -1, v16
	v_xor_b32_e32 v15, v19, v15
	v_cndmask_b32_e64 v20, -1, 0xffff8000, s8
	v_xor_b32_e32 v16, v20, v16
	v_mov_b32_e32 v20, v18
	v_mov_b32_e32 v19, v17
	v_cmpx_gt_u16_e64 v15, v16
; %bb.59:
	v_mov_b32_e32 v19, v21
	v_mov_b32_e32 v20, v22
	;; [unrolled: 1-line block ×6, first 2 shown]
; %bb.60:
	s_or_b32 exec_lo, exec_lo, s12
	v_add_f16_e32 v15, 0, v37
	v_add_f16_e32 v16, 0, v50
	v_mov_b32_e32 v51, v50
	s_mov_b32 s12, exec_lo
	v_cmp_lt_i16_e64 s8, -1, v15
	v_cndmask_b32_e64 v17, -1, 0xffff8000, s8
	v_cmp_lt_i16_e64 s8, -1, v16
	v_xor_b32_e32 v17, v17, v15
	v_cndmask_b32_e64 v18, -1, 0xffff8000, s8
	v_xor_b32_e32 v18, v18, v16
	v_mov_b32_e32 v16, v14
	v_mov_b32_e32 v15, v13
	v_cmpx_gt_u16_e64 v17, v18
; %bb.61:
	v_mov_b32_e32 v16, v9
	v_mov_b32_e32 v15, v8
	;; [unrolled: 1-line block ×6, first 2 shown]
; %bb.62:
	s_or_b32 exec_lo, exec_lo, s12
	v_add_f16_e32 v13, 0, v31
	v_add_f16_e32 v14, 0, v48
	v_mov_b32_e32 v27, v29
	v_mov_b32_e32 v50, v31
	;; [unrolled: 1-line block ×3, first 2 shown]
	v_cmp_lt_i16_e64 s8, -1, v13
	s_mov_b32 s12, exec_lo
	v_cndmask_b32_e64 v17, -1, 0xffff8000, s8
	v_cmp_lt_i16_e64 s8, -1, v14
	v_xor_b32_e32 v13, v17, v13
	v_cndmask_b32_e64 v18, -1, 0xffff8000, s8
	v_xor_b32_e32 v14, v18, v14
	v_cmpx_gt_u16_e64 v13, v14
; %bb.63:
	v_mov_b32_e32 v28, v24
	v_mov_b32_e32 v27, v23
	;; [unrolled: 1-line block ×6, first 2 shown]
; %bb.64:
	s_or_b32 exec_lo, exec_lo, s12
	v_add_f16_e32 v13, 0, v53
	v_add_f16_e32 v14, 0, v38
	v_mov_b32_e32 v29, v38
	v_cmp_lt_i16_e64 s8, -1, v13
	v_cndmask_b32_e64 v17, -1, 0xffff8000, s8
	v_cmp_lt_i16_e64 s8, -1, v14
	v_xor_b32_e32 v13, v17, v13
	v_cndmask_b32_e64 v18, -1, 0xffff8000, s8
	v_xor_b32_e32 v14, v18, v14
	v_cmp_gt_u16_e64 s8, v13, v14
	v_mov_b32_e32 v13, v21
	v_mov_b32_e32 v14, v22
	s_and_saveexec_b32 s12, s8
; %bb.65:
	v_mov_b32_e32 v13, v25
	v_mov_b32_e32 v14, v26
	;; [unrolled: 1-line block ×6, first 2 shown]
; %bb.66:
	s_or_b32 exec_lo, exec_lo, s12
	v_add_f16_e32 v17, 0, v51
	v_add_f16_e32 v18, 0, v39
	v_mov_b32_e32 v38, v39
	s_mov_b32 s12, exec_lo
	v_cmp_lt_i16_e64 s8, -1, v17
	v_cndmask_b32_e64 v21, -1, 0xffff8000, s8
	v_cmp_lt_i16_e64 s8, -1, v18
	v_xor_b32_e32 v17, v21, v17
	v_cndmask_b32_e64 v22, -1, 0xffff8000, s8
	v_xor_b32_e32 v18, v22, v18
	v_mov_b32_e32 v22, v9
	v_mov_b32_e32 v21, v8
	v_cmpx_gt_u16_e64 v17, v18
; %bb.67:
	v_mov_b32_e32 v22, v20
	v_mov_b32_e32 v21, v19
	;; [unrolled: 1-line block ×6, first 2 shown]
; %bb.68:
	s_or_b32 exec_lo, exec_lo, s12
	v_add_f16_e32 v8, 0, v48
	v_add_f16_e32 v9, 0, v36
	v_mov_b32_e32 v39, v48
	v_cmp_lt_i16_e64 s8, -1, v8
	v_cndmask_b32_e64 v17, -1, 0xffff8000, s8
	v_cmp_lt_i16_e64 s8, -1, v9
	v_xor_b32_e32 v8, v17, v8
	v_cndmask_b32_e64 v18, -1, 0xffff8000, s8
	v_xor_b32_e32 v9, v18, v9
	v_cmp_gt_u16_e64 s8, v8, v9
	v_mov_b32_e32 v8, v23
	v_mov_b32_e32 v9, v24
	s_and_saveexec_b32 s12, s8
; %bb.69:
	v_mov_b32_e32 v9, v5
	v_mov_b32_e32 v8, v4
	;; [unrolled: 1-line block ×6, first 2 shown]
; %bb.70:
	s_or_b32 exec_lo, exec_lo, s12
	v_add_f16_e32 v17, 0, v29
	v_add_f16_e32 v18, 0, v50
	v_cmp_lt_i16_e64 s8, -1, v17
	v_cndmask_b32_e64 v23, -1, 0xffff8000, s8
	v_cmp_lt_i16_e64 s8, -1, v18
	v_xor_b32_e32 v17, v23, v17
	v_cndmask_b32_e64 v24, -1, 0xffff8000, s8
	v_mov_b32_e32 v23, v29
	v_xor_b32_e32 v18, v24, v18
	v_cmp_gt_u16_e64 s8, v17, v18
	v_mov_b32_e32 v17, v25
	v_mov_b32_e32 v18, v26
	s_and_saveexec_b32 s12, s8
; %bb.71:
	v_mov_b32_e32 v17, v27
	v_mov_b32_e32 v18, v28
	;; [unrolled: 1-line block ×6, first 2 shown]
; %bb.72:
	s_or_b32 exec_lo, exec_lo, s12
	v_add_f16_e32 v24, 0, v38
	v_add_f16_e32 v25, 0, v53
	v_mov_b32_e32 v49, v53
	s_mov_b32 s12, exec_lo
	v_cmp_lt_i16_e64 s8, -1, v24
	v_cndmask_b32_e64 v26, -1, 0xffff8000, s8
	v_cmp_lt_i16_e64 s8, -1, v25
	v_xor_b32_e32 v24, v26, v24
	v_cndmask_b32_e64 v29, -1, 0xffff8000, s8
	v_xor_b32_e32 v25, v29, v25
	v_mov_b32_e32 v30, v20
	v_mov_b32_e32 v29, v19
	v_cmpx_gt_u16_e64 v24, v25
; %bb.73:
	v_mov_b32_e32 v30, v14
	v_mov_b32_e32 v29, v13
	;; [unrolled: 1-line block ×6, first 2 shown]
; %bb.74:
	s_or_b32 exec_lo, exec_lo, s12
	v_add_f16_e32 v19, 0, v37
	v_add_f16_e32 v20, 0, v51
	v_mov_b32_e32 v31, v51
	s_mov_b32 s12, exec_lo
	v_cmp_lt_i16_e64 s8, -1, v19
	v_cndmask_b32_e64 v24, -1, 0xffff8000, s8
	v_cmp_lt_i16_e64 s8, -1, v20
	v_xor_b32_e32 v19, v24, v19
	v_cndmask_b32_e64 v25, -1, 0xffff8000, s8
	v_xor_b32_e32 v20, v25, v20
	v_mov_b32_e32 v26, v16
	v_mov_b32_e32 v25, v15
	v_cmpx_gt_u16_e64 v19, v20
; %bb.75:
	v_mov_b32_e32 v26, v22
	v_mov_b32_e32 v25, v21
	;; [unrolled: 1-line block ×6, first 2 shown]
; %bb.76:
	s_or_b32 exec_lo, exec_lo, s12
	v_add_f16_e32 v15, 0, v50
	v_add_f16_e32 v16, 0, v39
	v_mov_b32_e32 v48, v50
	v_cmp_lt_i16_e64 s8, -1, v15
	v_cndmask_b32_e64 v19, -1, 0xffff8000, s8
	v_cmp_lt_i16_e64 s8, -1, v16
	v_xor_b32_e32 v15, v19, v15
	v_cndmask_b32_e64 v20, -1, 0xffff8000, s8
	v_xor_b32_e32 v16, v20, v16
	v_cmp_gt_u16_e64 s8, v15, v16
	v_mov_b32_e32 v15, v27
	v_mov_b32_e32 v16, v28
	s_and_saveexec_b32 s12, s8
; %bb.77:
	v_mov_b32_e32 v16, v9
	v_mov_b32_e32 v15, v8
	;; [unrolled: 1-line block ×6, first 2 shown]
; %bb.78:
	s_or_b32 exec_lo, exec_lo, s12
	v_add_f16_e32 v19, 0, v49
	v_add_f16_e32 v20, 0, v23
	v_mov_b32_e32 v51, v23
	v_cmp_lt_i16_e64 s8, -1, v19
	v_cndmask_b32_e64 v24, -1, 0xffff8000, s8
	v_cmp_lt_i16_e64 s8, -1, v20
	v_xor_b32_e32 v19, v24, v19
	v_cndmask_b32_e64 v27, -1, 0xffff8000, s8
	v_xor_b32_e32 v20, v27, v20
	v_cmp_gt_u16_e64 s8, v19, v20
	v_mov_b32_e32 v20, v14
	v_mov_b32_e32 v19, v13
	s_and_saveexec_b32 s12, s8
; %bb.79:
	v_mov_b32_e32 v20, v18
	v_mov_b32_e32 v19, v17
	;; [unrolled: 1-line block ×6, first 2 shown]
; %bb.80:
	s_or_b32 exec_lo, exec_lo, s12
	v_add_f16_e32 v13, 0, v31
	v_add_f16_e32 v14, 0, v38
	v_mov_b32_e32 v50, v31
	s_mov_b32 s12, exec_lo
	v_cmp_lt_i16_e64 s8, -1, v13
	v_cndmask_b32_e64 v23, -1, 0xffff8000, s8
	v_cmp_lt_i16_e64 s8, -1, v14
	v_xor_b32_e32 v13, v23, v13
	v_cndmask_b32_e64 v24, -1, 0xffff8000, s8
	v_xor_b32_e32 v14, v24, v14
	v_mov_b32_e32 v23, v29
	v_mov_b32_e32 v24, v30
	v_cmpx_gt_u16_e64 v13, v14
; %bb.81:
	v_mov_b32_e32 v24, v22
	v_mov_b32_e32 v23, v21
	v_mov_b32_e32 v21, v29
	v_mov_b32_e32 v50, v38
	v_mov_b32_e32 v38, v31
	v_mov_b32_e32 v22, v30
; %bb.82:
	s_or_b32 exec_lo, exec_lo, s12
.LBB1747_83:
	s_or_b32 exec_lo, exec_lo, s9
	v_and_b32_e32 v13, 0xffffff00, v10
	v_or_b32_e32 v27, 8, v35
	v_and_b32_e32 v30, 8, v35
	v_and_b32_e32 v31, 0xf0, v35
	s_mov_b32 s9, exec_lo
	v_sub_nc_u32_e64 v28, 0x800, v13 clamp
	v_lshlrev_b32_e32 v10, 1, v13
	v_min_u32_e32 v29, v28, v27
	v_min_u32_e32 v54, v28, v30
	v_mad_u64_u32 v[13:14], null, v13, 6, v[10:11]
	v_lshl_or_b32 v14, v35, 1, v10
	v_add_nc_u32_e32 v52, 8, v29
	v_sub_nc_u32_e32 v53, v29, v31
	ds_write_b16 v14, v36
	v_min_u32_e32 v30, v28, v52
	v_lshl_add_u32 v27, v35, 3, v13
	v_min_u32_e32 v55, v54, v53
	v_lshl_or_b32 v53, v31, 1, v10
	ds_write_b64 v27, v[4:5] offset:4096
	ds_write_b16 v14, v39 offset:2
	ds_write_b64 v27, v[8:9] offset:4104
	ds_write_b16 v14, v48 offset:4
	;; [unrolled: 2-line block ×3, first 2 shown]
	v_sub_nc_u32_e32 v52, v30, v29
	ds_write_b64 v27, v[17:18] offset:4120
	ds_write_b16 v14, v49 offset:8
	ds_write_b64 v27, v[19:20] offset:4128
	ds_write_b16 v14, v38 offset:10
	;; [unrolled: 2-line block ×4, first 2 shown]
	ds_write_b64 v27, v[25:26] offset:4152
	v_sub_nc_u32_e64 v52, v54, v52 clamp
	; wave barrier
	v_cmpx_lt_u32_e64 v52, v55
	s_cbranch_execz .LBB1747_87
; %bb.84:
	v_lshlrev_b32_e32 v64, 1, v29
	v_lshlrev_b32_e32 v65, 1, v54
	s_mov_b32 s12, 0
	v_add3_u32 v64, v10, v64, v65
	s_inst_prefetch 0x1
	.p2align	6
.LBB1747_85:                            ; =>This Inner Loop Header: Depth=1
	v_add_nc_u32_e32 v65, v55, v52
	v_lshrrev_b32_e32 v66, 1, v65
	v_and_b32_e32 v65, -2, v65
	v_not_b32_e32 v67, v66
	v_add_nc_u32_e32 v65, v53, v65
	v_lshl_add_u32 v67, v67, 1, v64
	ds_read_u16 v65, v65
	ds_read_u16 v67, v67
	s_waitcnt lgkmcnt(1)
	v_add_f16_e32 v65, 0, v65
	s_waitcnt lgkmcnt(0)
	v_add_f16_e32 v67, 0, v67
	v_cmp_lt_i16_e64 s8, -1, v65
	v_cndmask_b32_e64 v68, -1, 0xffff8000, s8
	v_cmp_lt_i16_e64 s8, -1, v67
	v_xor_b32_e32 v65, v68, v65
	v_cndmask_b32_e64 v69, -1, 0xffff8000, s8
	v_add_nc_u32_e32 v68, 1, v66
	v_xor_b32_e32 v67, v69, v67
	v_cmp_gt_u16_e64 s8, v67, v65
	v_cndmask_b32_e64 v55, v55, v66, s8
	v_cndmask_b32_e64 v52, v68, v52, s8
	v_cmp_ge_u32_e64 s8, v52, v55
	s_or_b32 s12, s8, s12
	s_andn2_b32 exec_lo, exec_lo, s12
	s_cbranch_execnz .LBB1747_85
; %bb.86:
	s_inst_prefetch 0x2
	s_or_b32 exec_lo, exec_lo, s12
.LBB1747_87:
	s_or_b32 exec_lo, exec_lo, s9
	v_add_nc_u32_e32 v55, v29, v54
	v_add_nc_u32_e32 v54, v52, v31
	v_sub_nc_u32_e32 v55, v55, v52
	v_cmp_le_u32_e64 s8, v54, v29
	v_cmp_le_u32_e64 s9, v55, v30
	s_or_b32 s8, s8, s9
	s_and_saveexec_b32 s12, s8
	s_cbranch_execz .LBB1747_123
; %bb.88:
	v_cmp_ge_u32_e64 s8, v54, v29
	s_mov_b32 s13, exec_lo
                                        ; implicit-def: $vgpr31
	v_cmpx_lt_u32_e64 v54, v29
; %bb.89:
	v_lshl_add_u32 v4, v52, 1, v53
	ds_read_u16 v31, v4
; %bb.90:
	s_or_b32 exec_lo, exec_lo, s13
	v_cmp_ge_u32_e64 s13, v55, v30
	s_mov_b32 s15, exec_lo
                                        ; implicit-def: $vgpr36
	v_cmpx_lt_u32_e64 v55, v30
; %bb.91:
	v_lshl_add_u32 v4, v55, 1, v10
	ds_read_u16 v36, v4
; %bb.92:
	s_or_b32 exec_lo, exec_lo, s15
	s_nor_b32 s8, s8, s13
	s_and_saveexec_b32 s9, s8
	s_cbranch_execz .LBB1747_94
; %bb.93:
	s_waitcnt lgkmcnt(0)
	v_add_f16_e32 v4, 0, v36
	v_add_f16_e32 v5, 0, v31
	s_andn2_b32 s13, s13, exec_lo
	v_cmp_lt_i16_e64 s8, -1, v4
	v_cndmask_b32_e64 v8, -1, 0xffff8000, s8
	v_cmp_lt_i16_e64 s8, -1, v5
	v_xor_b32_e32 v4, v8, v4
	v_cndmask_b32_e64 v9, -1, 0xffff8000, s8
	v_xor_b32_e32 v5, v9, v5
	v_cmp_le_u16_e64 s8, v4, v5
	s_and_b32 s8, s8, exec_lo
	s_or_b32 s13, s13, s8
.LBB1747_94:
	s_or_b32 exec_lo, exec_lo, s9
	v_cndmask_b32_e64 v4, v55, v54, s13
	v_cndmask_b32_e64 v5, v30, v29, s13
	s_mov_b32 s15, -1
	s_mov_b32 s9, -1
	s_mov_b32 s16, exec_lo
	v_add_nc_u32_e32 v8, 1, v4
	v_add_nc_u32_e32 v5, -1, v5
	v_lshl_add_u32 v4, v4, 3, v13
	v_cndmask_b32_e64 v15, v8, v55, s13
	v_min_u32_e32 v5, v8, v5
	v_cndmask_b32_e64 v16, v54, v8, s13
	v_lshl_add_u32 v5, v5, 1, v10
	ds_read_u16 v9, v5
	ds_read_b64 v[4:5], v4 offset:4096
	s_waitcnt lgkmcnt(1)
	v_cndmask_b32_e64 v37, v9, v36, s13
	v_cndmask_b32_e64 v39, v31, v9, s13
	v_cmpx_lt_u32_e64 v15, v30
	s_cbranch_execz .LBB1747_98
; %bb.95:
	s_mov_b32 s17, 0
	s_mov_b32 s9, exec_lo
	v_cmpx_lt_u32_e64 v16, v29
	s_cbranch_execz .LBB1747_97
; %bb.96:
	v_add_f16_e32 v8, 0, v37
	v_add_f16_e32 v9, 0, v39
	v_cmp_lt_i16_e64 s8, -1, v8
	v_cndmask_b32_e64 v17, -1, 0xffff8000, s8
	v_cmp_lt_i16_e64 s8, -1, v9
	v_xor_b32_e32 v8, v17, v8
	v_cndmask_b32_e64 v18, -1, 0xffff8000, s8
	v_xor_b32_e32 v9, v18, v9
	v_cmp_le_u16_e64 s8, v8, v9
	s_and_b32 s17, s8, exec_lo
.LBB1747_97:
	s_or_b32 exec_lo, exec_lo, s9
	s_orn2_b32 s9, s17, exec_lo
.LBB1747_98:
	s_or_b32 exec_lo, exec_lo, s16
	v_cndmask_b32_e64 v8, v15, v16, s9
	v_cndmask_b32_e64 v9, v30, v29, s9
	s_mov_b32 s16, exec_lo
	v_add_nc_u32_e32 v18, 1, v8
	v_add_nc_u32_e32 v9, -1, v9
	v_lshl_add_u32 v8, v8, 3, v13
	v_cndmask_b32_e64 v17, v18, v15, s9
	v_min_u32_e32 v9, v18, v9
	v_cndmask_b32_e64 v18, v16, v18, s9
	v_lshl_add_u32 v9, v9, 1, v10
	ds_read_u16 v19, v9
	ds_read_b64 v[8:9], v8 offset:4096
	s_waitcnt lgkmcnt(1)
	v_cndmask_b32_e64 v48, v19, v37, s9
	v_cndmask_b32_e64 v52, v39, v19, s9
	v_cmpx_lt_u32_e64 v17, v30
	s_cbranch_execz .LBB1747_102
; %bb.99:
	s_mov_b32 s17, 0
	s_mov_b32 s15, exec_lo
	v_cmpx_lt_u32_e64 v18, v29
	s_cbranch_execz .LBB1747_101
; %bb.100:
	v_add_f16_e32 v15, 0, v48
	v_add_f16_e32 v16, 0, v52
	v_cmp_lt_i16_e64 s8, -1, v15
	v_cndmask_b32_e64 v19, -1, 0xffff8000, s8
	v_cmp_lt_i16_e64 s8, -1, v16
	v_xor_b32_e32 v15, v19, v15
	v_cndmask_b32_e64 v20, -1, 0xffff8000, s8
	v_xor_b32_e32 v16, v20, v16
	v_cmp_le_u16_e64 s8, v15, v16
	s_and_b32 s17, s8, exec_lo
.LBB1747_101:
	s_or_b32 exec_lo, exec_lo, s15
	s_orn2_b32 s15, s17, exec_lo
.LBB1747_102:
	s_or_b32 exec_lo, exec_lo, s16
	v_cndmask_b32_e64 v15, v17, v18, s15
	v_cndmask_b32_e64 v16, v30, v29, s15
	s_mov_b32 s17, -1
	s_mov_b32 s16, -1
	s_mov_b32 s18, exec_lo
	v_add_nc_u32_e32 v20, 1, v15
	v_add_nc_u32_e32 v16, -1, v16
	v_lshl_add_u32 v15, v15, 3, v13
	v_cndmask_b32_e64 v19, v20, v17, s15
	v_min_u32_e32 v16, v20, v16
	v_cndmask_b32_e64 v20, v18, v20, s15
	v_lshl_add_u32 v16, v16, 1, v10
	ds_read_u16 v21, v16
	ds_read_b64 v[15:16], v15 offset:4096
	s_waitcnt lgkmcnt(1)
	v_cndmask_b32_e64 v51, v21, v48, s15
	v_cndmask_b32_e64 v53, v52, v21, s15
	v_cmpx_lt_u32_e64 v19, v30
	s_cbranch_execz .LBB1747_106
; %bb.103:
	s_mov_b32 s19, 0
	s_mov_b32 s16, exec_lo
	v_cmpx_lt_u32_e64 v20, v29
	s_cbranch_execz .LBB1747_105
; %bb.104:
	v_add_f16_e32 v17, 0, v51
	v_add_f16_e32 v18, 0, v53
	v_cmp_lt_i16_e64 s8, -1, v17
	v_cndmask_b32_e64 v21, -1, 0xffff8000, s8
	v_cmp_lt_i16_e64 s8, -1, v18
	v_xor_b32_e32 v17, v21, v17
	v_cndmask_b32_e64 v22, -1, 0xffff8000, s8
	v_xor_b32_e32 v18, v22, v18
	v_cmp_le_u16_e64 s8, v17, v18
	s_and_b32 s19, s8, exec_lo
.LBB1747_105:
	s_or_b32 exec_lo, exec_lo, s16
	s_orn2_b32 s16, s19, exec_lo
.LBB1747_106:
	s_or_b32 exec_lo, exec_lo, s18
	v_cndmask_b32_e64 v17, v19, v20, s16
	v_cndmask_b32_e64 v18, v30, v29, s16
	s_mov_b32 s18, exec_lo
	v_add_nc_u32_e32 v22, 1, v17
	v_add_nc_u32_e32 v18, -1, v18
	v_lshl_add_u32 v17, v17, 3, v13
	v_cndmask_b32_e64 v21, v22, v19, s16
	v_min_u32_e32 v18, v22, v18
	v_cndmask_b32_e64 v22, v20, v22, s16
	v_lshl_add_u32 v18, v18, 1, v10
	ds_read_u16 v23, v18
	ds_read_b64 v[17:18], v17 offset:4096
	s_waitcnt lgkmcnt(1)
	v_cndmask_b32_e64 v49, v23, v51, s16
	v_cndmask_b32_e64 v54, v53, v23, s16
	v_cmpx_lt_u32_e64 v21, v30
	s_cbranch_execz .LBB1747_110
; %bb.107:
	s_mov_b32 s19, 0
	s_mov_b32 s17, exec_lo
	v_cmpx_lt_u32_e64 v22, v29
	s_cbranch_execz .LBB1747_109
; %bb.108:
	v_add_f16_e32 v19, 0, v49
	v_add_f16_e32 v20, 0, v54
	v_cmp_lt_i16_e64 s8, -1, v19
	v_cndmask_b32_e64 v23, -1, 0xffff8000, s8
	v_cmp_lt_i16_e64 s8, -1, v20
	v_xor_b32_e32 v19, v23, v19
	v_cndmask_b32_e64 v24, -1, 0xffff8000, s8
	v_xor_b32_e32 v20, v24, v20
	v_cmp_le_u16_e64 s8, v19, v20
	s_and_b32 s19, s8, exec_lo
.LBB1747_109:
	s_or_b32 exec_lo, exec_lo, s17
	s_orn2_b32 s17, s19, exec_lo
.LBB1747_110:
	s_or_b32 exec_lo, exec_lo, s18
	v_cndmask_b32_e64 v19, v21, v22, s17
	v_cndmask_b32_e64 v20, v30, v29, s17
	s_mov_b32 s19, -1
	s_mov_b32 s18, -1
	s_mov_b32 s20, exec_lo
	v_add_nc_u32_e32 v23, 1, v19
	v_add_nc_u32_e32 v20, -1, v20
	v_lshl_add_u32 v19, v19, 3, v13
	v_cndmask_b32_e64 v21, v23, v21, s17
	v_min_u32_e32 v20, v23, v20
	v_cndmask_b32_e64 v22, v22, v23, s17
	v_lshl_add_u32 v20, v20, 1, v10
	ds_read_u16 v24, v20
	ds_read_b64 v[19:20], v19 offset:4096
	s_waitcnt lgkmcnt(1)
	v_cndmask_b32_e64 v38, v24, v49, s17
	v_cndmask_b32_e64 v55, v54, v24, s17
	v_cmpx_lt_u32_e64 v21, v30
	s_cbranch_execz .LBB1747_114
; %bb.111:
	s_mov_b32 s21, 0
	s_mov_b32 s18, exec_lo
	v_cmpx_lt_u32_e64 v22, v29
	s_cbranch_execz .LBB1747_113
; %bb.112:
	v_add_f16_e32 v23, 0, v38
	v_add_f16_e32 v24, 0, v55
	v_cmp_lt_i16_e64 s8, -1, v23
	v_cndmask_b32_e64 v25, -1, 0xffff8000, s8
	v_cmp_lt_i16_e64 s8, -1, v24
	v_xor_b32_e32 v23, v25, v23
	v_cndmask_b32_e64 v26, -1, 0xffff8000, s8
	v_xor_b32_e32 v24, v26, v24
	v_cmp_le_u16_e64 s8, v23, v24
	s_and_b32 s21, s8, exec_lo
.LBB1747_113:
	s_or_b32 exec_lo, exec_lo, s18
	s_orn2_b32 s18, s21, exec_lo
.LBB1747_114:
	s_or_b32 exec_lo, exec_lo, s20
	v_cndmask_b32_e64 v23, v21, v22, s18
	v_cndmask_b32_e64 v24, v30, v29, s18
	s_mov_b32 s20, exec_lo
	v_add_nc_u32_e32 v26, 1, v23
	v_add_nc_u32_e32 v24, -1, v24
	v_lshl_add_u32 v23, v23, 3, v13
	v_cndmask_b32_e64 v25, v26, v21, s18
	v_min_u32_e32 v24, v26, v24
	v_cndmask_b32_e64 v26, v22, v26, s18
	v_lshl_add_u32 v24, v24, 1, v10
	ds_read_u16 v64, v24
	ds_read_b64 v[23:24], v23 offset:4096
	s_waitcnt lgkmcnt(1)
	v_cndmask_b32_e64 v50, v64, v38, s18
	v_cndmask_b32_e64 v64, v55, v64, s18
	v_cmpx_lt_u32_e64 v25, v30
	s_cbranch_execz .LBB1747_118
; %bb.115:
	s_mov_b32 s21, 0
	s_mov_b32 s19, exec_lo
	v_cmpx_lt_u32_e64 v26, v29
	s_cbranch_execz .LBB1747_117
; %bb.116:
	v_add_f16_e32 v21, 0, v50
	v_add_f16_e32 v22, 0, v64
	v_cmp_lt_i16_e64 s8, -1, v21
	v_cndmask_b32_e64 v65, -1, 0xffff8000, s8
	v_cmp_lt_i16_e64 s8, -1, v22
	v_xor_b32_e32 v21, v65, v21
	v_cndmask_b32_e64 v66, -1, 0xffff8000, s8
	v_xor_b32_e32 v22, v66, v22
	v_cmp_le_u16_e64 s8, v21, v22
	s_and_b32 s21, s8, exec_lo
.LBB1747_117:
	s_or_b32 exec_lo, exec_lo, s19
	s_orn2_b32 s19, s21, exec_lo
.LBB1747_118:
	s_or_b32 exec_lo, exec_lo, s20
	v_cndmask_b32_e64 v21, v25, v26, s19
	v_cndmask_b32_e64 v22, v30, v29, s19
	s_mov_b32 s21, -1
	s_mov_b32 s20, exec_lo
	v_add_nc_u32_e32 v65, 1, v21
	v_add_nc_u32_e32 v22, -1, v22
	v_lshl_add_u32 v21, v21, 3, v13
	v_cndmask_b32_e64 v25, v65, v25, s19
	v_min_u32_e32 v22, v65, v22
	v_cndmask_b32_e64 v26, v26, v65, s19
	v_lshl_add_u32 v22, v22, 1, v10
	ds_read_u16 v66, v22
	ds_read_b64 v[21:22], v21 offset:4096
	s_waitcnt lgkmcnt(1)
	v_cndmask_b32_e64 v65, v66, v50, s19
	v_cndmask_b32_e64 v66, v64, v66, s19
	v_cmpx_lt_u32_e64 v25, v30
	s_cbranch_execz .LBB1747_122
; %bb.119:
	s_mov_b32 s22, 0
	s_mov_b32 s21, exec_lo
	v_cmpx_lt_u32_e64 v26, v29
	s_cbranch_execz .LBB1747_121
; %bb.120:
	v_add_f16_e32 v29, 0, v65
	v_add_f16_e32 v30, 0, v66
	v_cmp_lt_i16_e64 s8, -1, v29
	v_cndmask_b32_e64 v67, -1, 0xffff8000, s8
	v_cmp_lt_i16_e64 s8, -1, v30
	v_xor_b32_e32 v29, v67, v29
	v_cndmask_b32_e64 v68, -1, 0xffff8000, s8
	v_xor_b32_e32 v30, v68, v30
	v_cmp_le_u16_e64 s8, v29, v30
	s_and_b32 s22, s8, exec_lo
.LBB1747_121:
	s_or_b32 exec_lo, exec_lo, s21
	s_orn2_b32 s21, s22, exec_lo
.LBB1747_122:
	s_or_b32 exec_lo, exec_lo, s20
	v_cndmask_b32_e64 v25, v25, v26, s21
	v_cndmask_b32_e64 v50, v50, v64, s19
	;; [unrolled: 1-line block ×5, first 2 shown]
	v_lshl_add_u32 v25, v25, 3, v13
	v_cndmask_b32_e64 v48, v48, v52, s15
	v_cndmask_b32_e64 v39, v37, v39, s9
	;; [unrolled: 1-line block ×4, first 2 shown]
	ds_read_b64 v[25:26], v25 offset:4096
.LBB1747_123:
	s_or_b32 exec_lo, exec_lo, s12
	v_and_b32_e32 v31, 0xe0, v35
	v_and_b32_e32 v52, 24, v35
	s_mov_b32 s9, exec_lo
	; wave barrier
	v_or_b32_e32 v29, 16, v31
	v_min_u32_e32 v54, v28, v52
	ds_write_b16 v14, v36
	ds_write_b64 v27, v[4:5] offset:4096
	ds_write_b16 v14, v39 offset:2
	ds_write_b64 v27, v[8:9] offset:4104
	ds_write_b16 v14, v48 offset:4
	;; [unrolled: 2-line block ×3, first 2 shown]
	ds_write_b64 v27, v[17:18] offset:4120
	v_min_u32_e32 v29, v28, v29
	ds_write_b16 v14, v49 offset:8
	ds_write_b64 v27, v[19:20] offset:4128
	ds_write_b16 v14, v38 offset:10
	ds_write_b64 v27, v[23:24] offset:4136
	ds_write_b16 v14, v50 offset:12
	s_waitcnt lgkmcnt(14)
	ds_write_b64 v27, v[21:22] offset:4144
	ds_write_b16 v14, v37 offset:14
	s_waitcnt lgkmcnt(15)
	ds_write_b64 v27, v[25:26] offset:4152
	v_add_nc_u32_e32 v30, 16, v29
	v_sub_nc_u32_e32 v53, v29, v31
	; wave barrier
	v_min_u32_e32 v30, v28, v30
	v_min_u32_e32 v55, v54, v53
	v_lshl_add_u32 v53, v31, 1, v10
	v_sub_nc_u32_e32 v52, v30, v29
	v_sub_nc_u32_e64 v52, v54, v52 clamp
	v_cmpx_lt_u32_e64 v52, v55
	s_cbranch_execz .LBB1747_127
; %bb.124:
	v_lshlrev_b32_e32 v64, 1, v29
	v_lshlrev_b32_e32 v65, 1, v54
	s_mov_b32 s12, 0
	v_add3_u32 v64, v10, v64, v65
	s_inst_prefetch 0x1
	.p2align	6
.LBB1747_125:                           ; =>This Inner Loop Header: Depth=1
	v_add_nc_u32_e32 v65, v55, v52
	v_lshrrev_b32_e32 v66, 1, v65
	v_and_b32_e32 v65, -2, v65
	v_not_b32_e32 v67, v66
	v_add_nc_u32_e32 v65, v53, v65
	v_lshl_add_u32 v67, v67, 1, v64
	ds_read_u16 v65, v65
	ds_read_u16 v67, v67
	s_waitcnt lgkmcnt(1)
	v_add_f16_e32 v65, 0, v65
	s_waitcnt lgkmcnt(0)
	v_add_f16_e32 v67, 0, v67
	v_cmp_lt_i16_e64 s8, -1, v65
	v_cndmask_b32_e64 v68, -1, 0xffff8000, s8
	v_cmp_lt_i16_e64 s8, -1, v67
	v_xor_b32_e32 v65, v68, v65
	v_cndmask_b32_e64 v69, -1, 0xffff8000, s8
	v_add_nc_u32_e32 v68, 1, v66
	v_xor_b32_e32 v67, v69, v67
	v_cmp_gt_u16_e64 s8, v67, v65
	v_cndmask_b32_e64 v55, v55, v66, s8
	v_cndmask_b32_e64 v52, v68, v52, s8
	v_cmp_ge_u32_e64 s8, v52, v55
	s_or_b32 s12, s8, s12
	s_andn2_b32 exec_lo, exec_lo, s12
	s_cbranch_execnz .LBB1747_125
; %bb.126:
	s_inst_prefetch 0x2
	s_or_b32 exec_lo, exec_lo, s12
.LBB1747_127:
	s_or_b32 exec_lo, exec_lo, s9
	v_add_nc_u32_e32 v55, v29, v54
	v_add_nc_u32_e32 v54, v52, v31
	v_sub_nc_u32_e32 v55, v55, v52
	v_cmp_le_u32_e64 s8, v54, v29
	v_cmp_le_u32_e64 s9, v55, v30
	s_or_b32 s8, s8, s9
	s_and_saveexec_b32 s12, s8
	s_cbranch_execz .LBB1747_163
; %bb.128:
	v_cmp_ge_u32_e64 s8, v54, v29
	s_mov_b32 s13, exec_lo
                                        ; implicit-def: $vgpr31
	v_cmpx_lt_u32_e64 v54, v29
; %bb.129:
	v_lshl_add_u32 v4, v52, 1, v53
	ds_read_u16 v31, v4
; %bb.130:
	s_or_b32 exec_lo, exec_lo, s13
	v_cmp_ge_u32_e64 s13, v55, v30
	s_mov_b32 s15, exec_lo
                                        ; implicit-def: $vgpr36
	v_cmpx_lt_u32_e64 v55, v30
; %bb.131:
	v_lshl_add_u32 v4, v55, 1, v10
	ds_read_u16 v36, v4
; %bb.132:
	s_or_b32 exec_lo, exec_lo, s15
	s_nor_b32 s8, s8, s13
	s_and_saveexec_b32 s9, s8
	s_cbranch_execz .LBB1747_134
; %bb.133:
	s_waitcnt lgkmcnt(0)
	v_add_f16_e32 v4, 0, v36
	v_add_f16_e32 v5, 0, v31
	s_andn2_b32 s13, s13, exec_lo
	v_cmp_lt_i16_e64 s8, -1, v4
	v_cndmask_b32_e64 v8, -1, 0xffff8000, s8
	v_cmp_lt_i16_e64 s8, -1, v5
	v_xor_b32_e32 v4, v8, v4
	v_cndmask_b32_e64 v9, -1, 0xffff8000, s8
	v_xor_b32_e32 v5, v9, v5
	v_cmp_le_u16_e64 s8, v4, v5
	s_and_b32 s8, s8, exec_lo
	s_or_b32 s13, s13, s8
.LBB1747_134:
	s_or_b32 exec_lo, exec_lo, s9
	v_cndmask_b32_e64 v4, v55, v54, s13
	v_cndmask_b32_e64 v5, v30, v29, s13
	s_mov_b32 s15, -1
	s_mov_b32 s9, -1
	s_mov_b32 s16, exec_lo
	v_add_nc_u32_e32 v8, 1, v4
	v_add_nc_u32_e32 v5, -1, v5
	v_lshl_add_u32 v4, v4, 3, v13
	v_cndmask_b32_e64 v15, v8, v55, s13
	v_min_u32_e32 v5, v8, v5
	v_cndmask_b32_e64 v16, v54, v8, s13
	v_lshl_add_u32 v5, v5, 1, v10
	ds_read_u16 v9, v5
	ds_read_b64 v[4:5], v4 offset:4096
	s_waitcnt lgkmcnt(1)
	v_cndmask_b32_e64 v37, v9, v36, s13
	v_cndmask_b32_e64 v39, v31, v9, s13
	v_cmpx_lt_u32_e64 v15, v30
	s_cbranch_execz .LBB1747_138
; %bb.135:
	s_mov_b32 s17, 0
	s_mov_b32 s9, exec_lo
	v_cmpx_lt_u32_e64 v16, v29
	s_cbranch_execz .LBB1747_137
; %bb.136:
	v_add_f16_e32 v8, 0, v37
	v_add_f16_e32 v9, 0, v39
	v_cmp_lt_i16_e64 s8, -1, v8
	v_cndmask_b32_e64 v17, -1, 0xffff8000, s8
	v_cmp_lt_i16_e64 s8, -1, v9
	v_xor_b32_e32 v8, v17, v8
	v_cndmask_b32_e64 v18, -1, 0xffff8000, s8
	v_xor_b32_e32 v9, v18, v9
	v_cmp_le_u16_e64 s8, v8, v9
	s_and_b32 s17, s8, exec_lo
.LBB1747_137:
	s_or_b32 exec_lo, exec_lo, s9
	s_orn2_b32 s9, s17, exec_lo
.LBB1747_138:
	s_or_b32 exec_lo, exec_lo, s16
	v_cndmask_b32_e64 v8, v15, v16, s9
	v_cndmask_b32_e64 v9, v30, v29, s9
	s_mov_b32 s16, exec_lo
	v_add_nc_u32_e32 v18, 1, v8
	v_add_nc_u32_e32 v9, -1, v9
	v_lshl_add_u32 v8, v8, 3, v13
	v_cndmask_b32_e64 v17, v18, v15, s9
	v_min_u32_e32 v9, v18, v9
	v_cndmask_b32_e64 v18, v16, v18, s9
	v_lshl_add_u32 v9, v9, 1, v10
	ds_read_u16 v19, v9
	ds_read_b64 v[8:9], v8 offset:4096
	s_waitcnt lgkmcnt(1)
	v_cndmask_b32_e64 v48, v19, v37, s9
	v_cndmask_b32_e64 v52, v39, v19, s9
	v_cmpx_lt_u32_e64 v17, v30
	s_cbranch_execz .LBB1747_142
; %bb.139:
	s_mov_b32 s17, 0
	s_mov_b32 s15, exec_lo
	v_cmpx_lt_u32_e64 v18, v29
	s_cbranch_execz .LBB1747_141
; %bb.140:
	v_add_f16_e32 v15, 0, v48
	v_add_f16_e32 v16, 0, v52
	v_cmp_lt_i16_e64 s8, -1, v15
	v_cndmask_b32_e64 v19, -1, 0xffff8000, s8
	v_cmp_lt_i16_e64 s8, -1, v16
	v_xor_b32_e32 v15, v19, v15
	v_cndmask_b32_e64 v20, -1, 0xffff8000, s8
	v_xor_b32_e32 v16, v20, v16
	v_cmp_le_u16_e64 s8, v15, v16
	s_and_b32 s17, s8, exec_lo
.LBB1747_141:
	s_or_b32 exec_lo, exec_lo, s15
	s_orn2_b32 s15, s17, exec_lo
.LBB1747_142:
	s_or_b32 exec_lo, exec_lo, s16
	v_cndmask_b32_e64 v15, v17, v18, s15
	v_cndmask_b32_e64 v16, v30, v29, s15
	s_mov_b32 s17, -1
	s_mov_b32 s16, -1
	s_mov_b32 s18, exec_lo
	v_add_nc_u32_e32 v20, 1, v15
	v_add_nc_u32_e32 v16, -1, v16
	v_lshl_add_u32 v15, v15, 3, v13
	v_cndmask_b32_e64 v19, v20, v17, s15
	v_min_u32_e32 v16, v20, v16
	v_cndmask_b32_e64 v20, v18, v20, s15
	v_lshl_add_u32 v16, v16, 1, v10
	ds_read_u16 v21, v16
	ds_read_b64 v[15:16], v15 offset:4096
	s_waitcnt lgkmcnt(1)
	v_cndmask_b32_e64 v51, v21, v48, s15
	v_cndmask_b32_e64 v53, v52, v21, s15
	v_cmpx_lt_u32_e64 v19, v30
	s_cbranch_execz .LBB1747_146
; %bb.143:
	s_mov_b32 s19, 0
	s_mov_b32 s16, exec_lo
	v_cmpx_lt_u32_e64 v20, v29
	s_cbranch_execz .LBB1747_145
; %bb.144:
	v_add_f16_e32 v17, 0, v51
	v_add_f16_e32 v18, 0, v53
	v_cmp_lt_i16_e64 s8, -1, v17
	v_cndmask_b32_e64 v21, -1, 0xffff8000, s8
	v_cmp_lt_i16_e64 s8, -1, v18
	v_xor_b32_e32 v17, v21, v17
	v_cndmask_b32_e64 v22, -1, 0xffff8000, s8
	v_xor_b32_e32 v18, v22, v18
	v_cmp_le_u16_e64 s8, v17, v18
	s_and_b32 s19, s8, exec_lo
.LBB1747_145:
	s_or_b32 exec_lo, exec_lo, s16
	s_orn2_b32 s16, s19, exec_lo
.LBB1747_146:
	s_or_b32 exec_lo, exec_lo, s18
	v_cndmask_b32_e64 v17, v19, v20, s16
	v_cndmask_b32_e64 v18, v30, v29, s16
	s_mov_b32 s18, exec_lo
	v_add_nc_u32_e32 v22, 1, v17
	v_add_nc_u32_e32 v18, -1, v18
	v_lshl_add_u32 v17, v17, 3, v13
	v_cndmask_b32_e64 v21, v22, v19, s16
	v_min_u32_e32 v18, v22, v18
	v_cndmask_b32_e64 v22, v20, v22, s16
	v_lshl_add_u32 v18, v18, 1, v10
	ds_read_u16 v23, v18
	ds_read_b64 v[17:18], v17 offset:4096
	s_waitcnt lgkmcnt(1)
	v_cndmask_b32_e64 v49, v23, v51, s16
	v_cndmask_b32_e64 v54, v53, v23, s16
	v_cmpx_lt_u32_e64 v21, v30
	s_cbranch_execz .LBB1747_150
; %bb.147:
	s_mov_b32 s19, 0
	s_mov_b32 s17, exec_lo
	v_cmpx_lt_u32_e64 v22, v29
	s_cbranch_execz .LBB1747_149
; %bb.148:
	v_add_f16_e32 v19, 0, v49
	v_add_f16_e32 v20, 0, v54
	v_cmp_lt_i16_e64 s8, -1, v19
	v_cndmask_b32_e64 v23, -1, 0xffff8000, s8
	v_cmp_lt_i16_e64 s8, -1, v20
	v_xor_b32_e32 v19, v23, v19
	v_cndmask_b32_e64 v24, -1, 0xffff8000, s8
	v_xor_b32_e32 v20, v24, v20
	v_cmp_le_u16_e64 s8, v19, v20
	s_and_b32 s19, s8, exec_lo
.LBB1747_149:
	s_or_b32 exec_lo, exec_lo, s17
	s_orn2_b32 s17, s19, exec_lo
.LBB1747_150:
	s_or_b32 exec_lo, exec_lo, s18
	v_cndmask_b32_e64 v19, v21, v22, s17
	v_cndmask_b32_e64 v20, v30, v29, s17
	s_mov_b32 s19, -1
	s_mov_b32 s18, -1
	s_mov_b32 s20, exec_lo
	v_add_nc_u32_e32 v23, 1, v19
	v_add_nc_u32_e32 v20, -1, v20
	v_lshl_add_u32 v19, v19, 3, v13
	v_cndmask_b32_e64 v21, v23, v21, s17
	v_min_u32_e32 v20, v23, v20
	v_cndmask_b32_e64 v22, v22, v23, s17
	v_lshl_add_u32 v20, v20, 1, v10
	ds_read_u16 v24, v20
	ds_read_b64 v[19:20], v19 offset:4096
	s_waitcnt lgkmcnt(1)
	v_cndmask_b32_e64 v38, v24, v49, s17
	v_cndmask_b32_e64 v55, v54, v24, s17
	v_cmpx_lt_u32_e64 v21, v30
	s_cbranch_execz .LBB1747_154
; %bb.151:
	s_mov_b32 s21, 0
	s_mov_b32 s18, exec_lo
	v_cmpx_lt_u32_e64 v22, v29
	s_cbranch_execz .LBB1747_153
; %bb.152:
	v_add_f16_e32 v23, 0, v38
	v_add_f16_e32 v24, 0, v55
	v_cmp_lt_i16_e64 s8, -1, v23
	v_cndmask_b32_e64 v25, -1, 0xffff8000, s8
	v_cmp_lt_i16_e64 s8, -1, v24
	v_xor_b32_e32 v23, v25, v23
	v_cndmask_b32_e64 v26, -1, 0xffff8000, s8
	v_xor_b32_e32 v24, v26, v24
	v_cmp_le_u16_e64 s8, v23, v24
	s_and_b32 s21, s8, exec_lo
.LBB1747_153:
	s_or_b32 exec_lo, exec_lo, s18
	s_orn2_b32 s18, s21, exec_lo
.LBB1747_154:
	s_or_b32 exec_lo, exec_lo, s20
	v_cndmask_b32_e64 v23, v21, v22, s18
	v_cndmask_b32_e64 v24, v30, v29, s18
	s_mov_b32 s20, exec_lo
	v_add_nc_u32_e32 v26, 1, v23
	v_add_nc_u32_e32 v24, -1, v24
	v_lshl_add_u32 v23, v23, 3, v13
	v_cndmask_b32_e64 v25, v26, v21, s18
	v_min_u32_e32 v24, v26, v24
	v_cndmask_b32_e64 v26, v22, v26, s18
	v_lshl_add_u32 v24, v24, 1, v10
	ds_read_u16 v64, v24
	ds_read_b64 v[23:24], v23 offset:4096
	s_waitcnt lgkmcnt(1)
	v_cndmask_b32_e64 v50, v64, v38, s18
	v_cndmask_b32_e64 v64, v55, v64, s18
	v_cmpx_lt_u32_e64 v25, v30
	s_cbranch_execz .LBB1747_158
; %bb.155:
	s_mov_b32 s21, 0
	s_mov_b32 s19, exec_lo
	v_cmpx_lt_u32_e64 v26, v29
	s_cbranch_execz .LBB1747_157
; %bb.156:
	v_add_f16_e32 v21, 0, v50
	v_add_f16_e32 v22, 0, v64
	v_cmp_lt_i16_e64 s8, -1, v21
	v_cndmask_b32_e64 v65, -1, 0xffff8000, s8
	v_cmp_lt_i16_e64 s8, -1, v22
	v_xor_b32_e32 v21, v65, v21
	v_cndmask_b32_e64 v66, -1, 0xffff8000, s8
	v_xor_b32_e32 v22, v66, v22
	v_cmp_le_u16_e64 s8, v21, v22
	s_and_b32 s21, s8, exec_lo
.LBB1747_157:
	s_or_b32 exec_lo, exec_lo, s19
	s_orn2_b32 s19, s21, exec_lo
.LBB1747_158:
	s_or_b32 exec_lo, exec_lo, s20
	v_cndmask_b32_e64 v21, v25, v26, s19
	v_cndmask_b32_e64 v22, v30, v29, s19
	s_mov_b32 s21, -1
	s_mov_b32 s20, exec_lo
	v_add_nc_u32_e32 v65, 1, v21
	v_add_nc_u32_e32 v22, -1, v22
	v_lshl_add_u32 v21, v21, 3, v13
	v_cndmask_b32_e64 v25, v65, v25, s19
	v_min_u32_e32 v22, v65, v22
	v_cndmask_b32_e64 v26, v26, v65, s19
	v_lshl_add_u32 v22, v22, 1, v10
	ds_read_u16 v66, v22
	ds_read_b64 v[21:22], v21 offset:4096
	s_waitcnt lgkmcnt(1)
	v_cndmask_b32_e64 v65, v66, v50, s19
	v_cndmask_b32_e64 v66, v64, v66, s19
	v_cmpx_lt_u32_e64 v25, v30
	s_cbranch_execz .LBB1747_162
; %bb.159:
	s_mov_b32 s22, 0
	s_mov_b32 s21, exec_lo
	v_cmpx_lt_u32_e64 v26, v29
	s_cbranch_execz .LBB1747_161
; %bb.160:
	v_add_f16_e32 v29, 0, v65
	v_add_f16_e32 v30, 0, v66
	v_cmp_lt_i16_e64 s8, -1, v29
	v_cndmask_b32_e64 v67, -1, 0xffff8000, s8
	v_cmp_lt_i16_e64 s8, -1, v30
	v_xor_b32_e32 v29, v67, v29
	v_cndmask_b32_e64 v68, -1, 0xffff8000, s8
	v_xor_b32_e32 v30, v68, v30
	v_cmp_le_u16_e64 s8, v29, v30
	s_and_b32 s22, s8, exec_lo
.LBB1747_161:
	s_or_b32 exec_lo, exec_lo, s21
	s_orn2_b32 s21, s22, exec_lo
.LBB1747_162:
	s_or_b32 exec_lo, exec_lo, s20
	v_cndmask_b32_e64 v25, v25, v26, s21
	v_cndmask_b32_e64 v50, v50, v64, s19
	;; [unrolled: 1-line block ×5, first 2 shown]
	v_lshl_add_u32 v25, v25, 3, v13
	v_cndmask_b32_e64 v48, v48, v52, s15
	v_cndmask_b32_e64 v39, v37, v39, s9
	;; [unrolled: 1-line block ×4, first 2 shown]
	ds_read_b64 v[25:26], v25 offset:4096
.LBB1747_163:
	s_or_b32 exec_lo, exec_lo, s12
	v_and_b32_e32 v31, 0xc0, v35
	v_and_b32_e32 v52, 56, v35
	s_mov_b32 s9, exec_lo
	; wave barrier
	v_or_b32_e32 v29, 32, v31
	v_min_u32_e32 v54, v28, v52
	ds_write_b16 v14, v36
	ds_write_b64 v27, v[4:5] offset:4096
	ds_write_b16 v14, v39 offset:2
	ds_write_b64 v27, v[8:9] offset:4104
	ds_write_b16 v14, v48 offset:4
	;; [unrolled: 2-line block ×3, first 2 shown]
	ds_write_b64 v27, v[17:18] offset:4120
	v_min_u32_e32 v29, v28, v29
	ds_write_b16 v14, v49 offset:8
	ds_write_b64 v27, v[19:20] offset:4128
	ds_write_b16 v14, v38 offset:10
	ds_write_b64 v27, v[23:24] offset:4136
	ds_write_b16 v14, v50 offset:12
	s_waitcnt lgkmcnt(14)
	ds_write_b64 v27, v[21:22] offset:4144
	ds_write_b16 v14, v37 offset:14
	s_waitcnt lgkmcnt(15)
	ds_write_b64 v27, v[25:26] offset:4152
	v_add_nc_u32_e32 v30, 32, v29
	v_sub_nc_u32_e32 v53, v29, v31
	; wave barrier
	v_min_u32_e32 v30, v28, v30
	v_min_u32_e32 v55, v54, v53
	v_lshl_add_u32 v53, v31, 1, v10
	v_sub_nc_u32_e32 v52, v30, v29
	v_sub_nc_u32_e64 v52, v54, v52 clamp
	v_cmpx_lt_u32_e64 v52, v55
	s_cbranch_execz .LBB1747_167
; %bb.164:
	v_lshlrev_b32_e32 v64, 1, v29
	v_lshlrev_b32_e32 v65, 1, v54
	s_mov_b32 s12, 0
	v_add3_u32 v64, v10, v64, v65
	s_inst_prefetch 0x1
	.p2align	6
.LBB1747_165:                           ; =>This Inner Loop Header: Depth=1
	v_add_nc_u32_e32 v65, v55, v52
	v_lshrrev_b32_e32 v66, 1, v65
	v_and_b32_e32 v65, -2, v65
	v_not_b32_e32 v67, v66
	v_add_nc_u32_e32 v65, v53, v65
	v_lshl_add_u32 v67, v67, 1, v64
	ds_read_u16 v65, v65
	ds_read_u16 v67, v67
	s_waitcnt lgkmcnt(1)
	v_add_f16_e32 v65, 0, v65
	s_waitcnt lgkmcnt(0)
	v_add_f16_e32 v67, 0, v67
	v_cmp_lt_i16_e64 s8, -1, v65
	v_cndmask_b32_e64 v68, -1, 0xffff8000, s8
	v_cmp_lt_i16_e64 s8, -1, v67
	v_xor_b32_e32 v65, v68, v65
	v_cndmask_b32_e64 v69, -1, 0xffff8000, s8
	v_add_nc_u32_e32 v68, 1, v66
	v_xor_b32_e32 v67, v69, v67
	v_cmp_gt_u16_e64 s8, v67, v65
	v_cndmask_b32_e64 v55, v55, v66, s8
	v_cndmask_b32_e64 v52, v68, v52, s8
	v_cmp_ge_u32_e64 s8, v52, v55
	s_or_b32 s12, s8, s12
	s_andn2_b32 exec_lo, exec_lo, s12
	s_cbranch_execnz .LBB1747_165
; %bb.166:
	s_inst_prefetch 0x2
	s_or_b32 exec_lo, exec_lo, s12
.LBB1747_167:
	s_or_b32 exec_lo, exec_lo, s9
	v_add_nc_u32_e32 v55, v29, v54
	v_add_nc_u32_e32 v54, v52, v31
	v_sub_nc_u32_e32 v55, v55, v52
	v_cmp_le_u32_e64 s8, v54, v29
	v_cmp_le_u32_e64 s9, v55, v30
	s_or_b32 s8, s8, s9
	s_and_saveexec_b32 s12, s8
	s_cbranch_execz .LBB1747_203
; %bb.168:
	v_cmp_ge_u32_e64 s8, v54, v29
	s_mov_b32 s13, exec_lo
                                        ; implicit-def: $vgpr31
	v_cmpx_lt_u32_e64 v54, v29
; %bb.169:
	v_lshl_add_u32 v4, v52, 1, v53
	ds_read_u16 v31, v4
; %bb.170:
	s_or_b32 exec_lo, exec_lo, s13
	v_cmp_ge_u32_e64 s13, v55, v30
	s_mov_b32 s15, exec_lo
                                        ; implicit-def: $vgpr36
	v_cmpx_lt_u32_e64 v55, v30
; %bb.171:
	v_lshl_add_u32 v4, v55, 1, v10
	ds_read_u16 v36, v4
; %bb.172:
	s_or_b32 exec_lo, exec_lo, s15
	s_nor_b32 s8, s8, s13
	s_and_saveexec_b32 s9, s8
	s_cbranch_execz .LBB1747_174
; %bb.173:
	s_waitcnt lgkmcnt(0)
	v_add_f16_e32 v4, 0, v36
	v_add_f16_e32 v5, 0, v31
	s_andn2_b32 s13, s13, exec_lo
	v_cmp_lt_i16_e64 s8, -1, v4
	v_cndmask_b32_e64 v8, -1, 0xffff8000, s8
	v_cmp_lt_i16_e64 s8, -1, v5
	v_xor_b32_e32 v4, v8, v4
	v_cndmask_b32_e64 v9, -1, 0xffff8000, s8
	v_xor_b32_e32 v5, v9, v5
	v_cmp_le_u16_e64 s8, v4, v5
	s_and_b32 s8, s8, exec_lo
	s_or_b32 s13, s13, s8
.LBB1747_174:
	s_or_b32 exec_lo, exec_lo, s9
	v_cndmask_b32_e64 v4, v55, v54, s13
	v_cndmask_b32_e64 v5, v30, v29, s13
	s_mov_b32 s15, -1
	s_mov_b32 s9, -1
	s_mov_b32 s16, exec_lo
	v_add_nc_u32_e32 v8, 1, v4
	v_add_nc_u32_e32 v5, -1, v5
	v_lshl_add_u32 v4, v4, 3, v13
	v_cndmask_b32_e64 v15, v8, v55, s13
	v_min_u32_e32 v5, v8, v5
	v_cndmask_b32_e64 v16, v54, v8, s13
	v_lshl_add_u32 v5, v5, 1, v10
	ds_read_u16 v9, v5
	ds_read_b64 v[4:5], v4 offset:4096
	s_waitcnt lgkmcnt(1)
	v_cndmask_b32_e64 v37, v9, v36, s13
	v_cndmask_b32_e64 v39, v31, v9, s13
	v_cmpx_lt_u32_e64 v15, v30
	s_cbranch_execz .LBB1747_178
; %bb.175:
	s_mov_b32 s17, 0
	s_mov_b32 s9, exec_lo
	v_cmpx_lt_u32_e64 v16, v29
	s_cbranch_execz .LBB1747_177
; %bb.176:
	v_add_f16_e32 v8, 0, v37
	v_add_f16_e32 v9, 0, v39
	v_cmp_lt_i16_e64 s8, -1, v8
	v_cndmask_b32_e64 v17, -1, 0xffff8000, s8
	v_cmp_lt_i16_e64 s8, -1, v9
	v_xor_b32_e32 v8, v17, v8
	v_cndmask_b32_e64 v18, -1, 0xffff8000, s8
	v_xor_b32_e32 v9, v18, v9
	v_cmp_le_u16_e64 s8, v8, v9
	s_and_b32 s17, s8, exec_lo
.LBB1747_177:
	s_or_b32 exec_lo, exec_lo, s9
	s_orn2_b32 s9, s17, exec_lo
.LBB1747_178:
	s_or_b32 exec_lo, exec_lo, s16
	v_cndmask_b32_e64 v8, v15, v16, s9
	v_cndmask_b32_e64 v9, v30, v29, s9
	s_mov_b32 s16, exec_lo
	v_add_nc_u32_e32 v18, 1, v8
	v_add_nc_u32_e32 v9, -1, v9
	v_lshl_add_u32 v8, v8, 3, v13
	v_cndmask_b32_e64 v17, v18, v15, s9
	v_min_u32_e32 v9, v18, v9
	v_cndmask_b32_e64 v18, v16, v18, s9
	v_lshl_add_u32 v9, v9, 1, v10
	ds_read_u16 v19, v9
	ds_read_b64 v[8:9], v8 offset:4096
	s_waitcnt lgkmcnt(1)
	v_cndmask_b32_e64 v48, v19, v37, s9
	v_cndmask_b32_e64 v52, v39, v19, s9
	v_cmpx_lt_u32_e64 v17, v30
	s_cbranch_execz .LBB1747_182
; %bb.179:
	s_mov_b32 s17, 0
	s_mov_b32 s15, exec_lo
	v_cmpx_lt_u32_e64 v18, v29
	s_cbranch_execz .LBB1747_181
; %bb.180:
	v_add_f16_e32 v15, 0, v48
	v_add_f16_e32 v16, 0, v52
	v_cmp_lt_i16_e64 s8, -1, v15
	v_cndmask_b32_e64 v19, -1, 0xffff8000, s8
	v_cmp_lt_i16_e64 s8, -1, v16
	v_xor_b32_e32 v15, v19, v15
	v_cndmask_b32_e64 v20, -1, 0xffff8000, s8
	v_xor_b32_e32 v16, v20, v16
	v_cmp_le_u16_e64 s8, v15, v16
	s_and_b32 s17, s8, exec_lo
.LBB1747_181:
	s_or_b32 exec_lo, exec_lo, s15
	s_orn2_b32 s15, s17, exec_lo
.LBB1747_182:
	s_or_b32 exec_lo, exec_lo, s16
	v_cndmask_b32_e64 v15, v17, v18, s15
	v_cndmask_b32_e64 v16, v30, v29, s15
	s_mov_b32 s17, -1
	s_mov_b32 s16, -1
	s_mov_b32 s18, exec_lo
	v_add_nc_u32_e32 v20, 1, v15
	v_add_nc_u32_e32 v16, -1, v16
	v_lshl_add_u32 v15, v15, 3, v13
	v_cndmask_b32_e64 v19, v20, v17, s15
	v_min_u32_e32 v16, v20, v16
	v_cndmask_b32_e64 v20, v18, v20, s15
	v_lshl_add_u32 v16, v16, 1, v10
	ds_read_u16 v21, v16
	ds_read_b64 v[15:16], v15 offset:4096
	s_waitcnt lgkmcnt(1)
	v_cndmask_b32_e64 v51, v21, v48, s15
	v_cndmask_b32_e64 v53, v52, v21, s15
	v_cmpx_lt_u32_e64 v19, v30
	s_cbranch_execz .LBB1747_186
; %bb.183:
	s_mov_b32 s19, 0
	s_mov_b32 s16, exec_lo
	v_cmpx_lt_u32_e64 v20, v29
	s_cbranch_execz .LBB1747_185
; %bb.184:
	v_add_f16_e32 v17, 0, v51
	v_add_f16_e32 v18, 0, v53
	v_cmp_lt_i16_e64 s8, -1, v17
	v_cndmask_b32_e64 v21, -1, 0xffff8000, s8
	v_cmp_lt_i16_e64 s8, -1, v18
	v_xor_b32_e32 v17, v21, v17
	v_cndmask_b32_e64 v22, -1, 0xffff8000, s8
	v_xor_b32_e32 v18, v22, v18
	v_cmp_le_u16_e64 s8, v17, v18
	s_and_b32 s19, s8, exec_lo
.LBB1747_185:
	s_or_b32 exec_lo, exec_lo, s16
	s_orn2_b32 s16, s19, exec_lo
.LBB1747_186:
	s_or_b32 exec_lo, exec_lo, s18
	v_cndmask_b32_e64 v17, v19, v20, s16
	v_cndmask_b32_e64 v18, v30, v29, s16
	s_mov_b32 s18, exec_lo
	v_add_nc_u32_e32 v22, 1, v17
	v_add_nc_u32_e32 v18, -1, v18
	v_lshl_add_u32 v17, v17, 3, v13
	v_cndmask_b32_e64 v21, v22, v19, s16
	v_min_u32_e32 v18, v22, v18
	v_cndmask_b32_e64 v22, v20, v22, s16
	v_lshl_add_u32 v18, v18, 1, v10
	ds_read_u16 v23, v18
	ds_read_b64 v[17:18], v17 offset:4096
	s_waitcnt lgkmcnt(1)
	v_cndmask_b32_e64 v49, v23, v51, s16
	v_cndmask_b32_e64 v54, v53, v23, s16
	v_cmpx_lt_u32_e64 v21, v30
	s_cbranch_execz .LBB1747_190
; %bb.187:
	s_mov_b32 s19, 0
	s_mov_b32 s17, exec_lo
	v_cmpx_lt_u32_e64 v22, v29
	s_cbranch_execz .LBB1747_189
; %bb.188:
	v_add_f16_e32 v19, 0, v49
	v_add_f16_e32 v20, 0, v54
	v_cmp_lt_i16_e64 s8, -1, v19
	v_cndmask_b32_e64 v23, -1, 0xffff8000, s8
	v_cmp_lt_i16_e64 s8, -1, v20
	v_xor_b32_e32 v19, v23, v19
	v_cndmask_b32_e64 v24, -1, 0xffff8000, s8
	v_xor_b32_e32 v20, v24, v20
	v_cmp_le_u16_e64 s8, v19, v20
	s_and_b32 s19, s8, exec_lo
.LBB1747_189:
	s_or_b32 exec_lo, exec_lo, s17
	s_orn2_b32 s17, s19, exec_lo
.LBB1747_190:
	s_or_b32 exec_lo, exec_lo, s18
	v_cndmask_b32_e64 v19, v21, v22, s17
	v_cndmask_b32_e64 v20, v30, v29, s17
	s_mov_b32 s19, -1
	s_mov_b32 s18, -1
	s_mov_b32 s20, exec_lo
	v_add_nc_u32_e32 v23, 1, v19
	v_add_nc_u32_e32 v20, -1, v20
	v_lshl_add_u32 v19, v19, 3, v13
	v_cndmask_b32_e64 v21, v23, v21, s17
	v_min_u32_e32 v20, v23, v20
	v_cndmask_b32_e64 v22, v22, v23, s17
	v_lshl_add_u32 v20, v20, 1, v10
	ds_read_u16 v24, v20
	ds_read_b64 v[19:20], v19 offset:4096
	s_waitcnt lgkmcnt(1)
	v_cndmask_b32_e64 v38, v24, v49, s17
	v_cndmask_b32_e64 v55, v54, v24, s17
	v_cmpx_lt_u32_e64 v21, v30
	s_cbranch_execz .LBB1747_194
; %bb.191:
	s_mov_b32 s21, 0
	s_mov_b32 s18, exec_lo
	v_cmpx_lt_u32_e64 v22, v29
	s_cbranch_execz .LBB1747_193
; %bb.192:
	v_add_f16_e32 v23, 0, v38
	v_add_f16_e32 v24, 0, v55
	v_cmp_lt_i16_e64 s8, -1, v23
	v_cndmask_b32_e64 v25, -1, 0xffff8000, s8
	v_cmp_lt_i16_e64 s8, -1, v24
	v_xor_b32_e32 v23, v25, v23
	v_cndmask_b32_e64 v26, -1, 0xffff8000, s8
	v_xor_b32_e32 v24, v26, v24
	v_cmp_le_u16_e64 s8, v23, v24
	s_and_b32 s21, s8, exec_lo
.LBB1747_193:
	s_or_b32 exec_lo, exec_lo, s18
	s_orn2_b32 s18, s21, exec_lo
.LBB1747_194:
	s_or_b32 exec_lo, exec_lo, s20
	v_cndmask_b32_e64 v23, v21, v22, s18
	v_cndmask_b32_e64 v24, v30, v29, s18
	s_mov_b32 s20, exec_lo
	v_add_nc_u32_e32 v26, 1, v23
	v_add_nc_u32_e32 v24, -1, v24
	v_lshl_add_u32 v23, v23, 3, v13
	v_cndmask_b32_e64 v25, v26, v21, s18
	v_min_u32_e32 v24, v26, v24
	v_cndmask_b32_e64 v26, v22, v26, s18
	v_lshl_add_u32 v24, v24, 1, v10
	ds_read_u16 v64, v24
	ds_read_b64 v[23:24], v23 offset:4096
	s_waitcnt lgkmcnt(1)
	v_cndmask_b32_e64 v50, v64, v38, s18
	v_cndmask_b32_e64 v64, v55, v64, s18
	v_cmpx_lt_u32_e64 v25, v30
	s_cbranch_execz .LBB1747_198
; %bb.195:
	s_mov_b32 s21, 0
	s_mov_b32 s19, exec_lo
	v_cmpx_lt_u32_e64 v26, v29
	s_cbranch_execz .LBB1747_197
; %bb.196:
	v_add_f16_e32 v21, 0, v50
	v_add_f16_e32 v22, 0, v64
	v_cmp_lt_i16_e64 s8, -1, v21
	v_cndmask_b32_e64 v65, -1, 0xffff8000, s8
	v_cmp_lt_i16_e64 s8, -1, v22
	v_xor_b32_e32 v21, v65, v21
	v_cndmask_b32_e64 v66, -1, 0xffff8000, s8
	v_xor_b32_e32 v22, v66, v22
	v_cmp_le_u16_e64 s8, v21, v22
	s_and_b32 s21, s8, exec_lo
.LBB1747_197:
	s_or_b32 exec_lo, exec_lo, s19
	s_orn2_b32 s19, s21, exec_lo
.LBB1747_198:
	s_or_b32 exec_lo, exec_lo, s20
	v_cndmask_b32_e64 v21, v25, v26, s19
	v_cndmask_b32_e64 v22, v30, v29, s19
	s_mov_b32 s21, -1
	s_mov_b32 s20, exec_lo
	v_add_nc_u32_e32 v65, 1, v21
	v_add_nc_u32_e32 v22, -1, v22
	v_lshl_add_u32 v21, v21, 3, v13
	v_cndmask_b32_e64 v25, v65, v25, s19
	v_min_u32_e32 v22, v65, v22
	v_cndmask_b32_e64 v26, v26, v65, s19
	v_lshl_add_u32 v22, v22, 1, v10
	ds_read_u16 v66, v22
	ds_read_b64 v[21:22], v21 offset:4096
	s_waitcnt lgkmcnt(1)
	v_cndmask_b32_e64 v65, v66, v50, s19
	v_cndmask_b32_e64 v66, v64, v66, s19
	v_cmpx_lt_u32_e64 v25, v30
	s_cbranch_execz .LBB1747_202
; %bb.199:
	s_mov_b32 s22, 0
	s_mov_b32 s21, exec_lo
	v_cmpx_lt_u32_e64 v26, v29
	s_cbranch_execz .LBB1747_201
; %bb.200:
	v_add_f16_e32 v29, 0, v65
	v_add_f16_e32 v30, 0, v66
	v_cmp_lt_i16_e64 s8, -1, v29
	v_cndmask_b32_e64 v67, -1, 0xffff8000, s8
	v_cmp_lt_i16_e64 s8, -1, v30
	v_xor_b32_e32 v29, v67, v29
	v_cndmask_b32_e64 v68, -1, 0xffff8000, s8
	v_xor_b32_e32 v30, v68, v30
	v_cmp_le_u16_e64 s8, v29, v30
	s_and_b32 s22, s8, exec_lo
.LBB1747_201:
	s_or_b32 exec_lo, exec_lo, s21
	s_orn2_b32 s21, s22, exec_lo
.LBB1747_202:
	s_or_b32 exec_lo, exec_lo, s20
	v_cndmask_b32_e64 v25, v25, v26, s21
	v_cndmask_b32_e64 v50, v50, v64, s19
	v_cndmask_b32_e64 v38, v38, v55, s18
	v_cndmask_b32_e64 v49, v49, v54, s17
	v_cndmask_b32_e64 v51, v51, v53, s16
	v_lshl_add_u32 v25, v25, 3, v13
	v_cndmask_b32_e64 v48, v48, v52, s15
	v_cndmask_b32_e64 v39, v37, v39, s9
	;; [unrolled: 1-line block ×4, first 2 shown]
	ds_read_b64 v[25:26], v25 offset:4096
.LBB1747_203:
	s_or_b32 exec_lo, exec_lo, s12
	v_and_b32_e32 v35, 0x80, v35
	v_min_u32_e32 v34, v28, v34
	s_mov_b32 s9, exec_lo
	; wave barrier
	v_or_b32_e32 v29, 64, v35
	ds_write_b16 v14, v36
	ds_write_b64 v27, v[4:5] offset:4096
	ds_write_b16 v14, v39 offset:2
	ds_write_b64 v27, v[8:9] offset:4104
	ds_write_b16 v14, v48 offset:4
	;; [unrolled: 2-line block ×5, first 2 shown]
	v_min_u32_e32 v29, v28, v29
	ds_write_b64 v27, v[23:24] offset:4136
	ds_write_b16 v14, v50 offset:12
	s_waitcnt lgkmcnt(14)
	ds_write_b64 v27, v[21:22] offset:4144
	ds_write_b16 v14, v37 offset:14
	s_waitcnt lgkmcnt(15)
	ds_write_b64 v27, v[25:26] offset:4152
	; wave barrier
	v_add_nc_u32_e32 v30, 64, v29
	v_sub_nc_u32_e32 v31, v29, v35
	v_min_u32_e32 v30, v28, v30
	v_min_u32_e32 v52, v34, v31
	v_lshl_add_u32 v31, v35, 1, v10
	v_sub_nc_u32_e32 v28, v30, v29
	v_sub_nc_u32_e64 v28, v34, v28 clamp
	v_cmpx_lt_u32_e64 v28, v52
	s_cbranch_execz .LBB1747_207
; %bb.204:
	v_lshlrev_b32_e32 v14, 1, v29
	v_lshlrev_b32_e32 v27, 1, v34
	s_mov_b32 s12, 0
	v_add3_u32 v14, v10, v14, v27
	s_inst_prefetch 0x1
	.p2align	6
.LBB1747_205:                           ; =>This Inner Loop Header: Depth=1
	v_add_nc_u32_e32 v27, v52, v28
	v_lshrrev_b32_e32 v53, 1, v27
	v_and_b32_e32 v27, -2, v27
	v_not_b32_e32 v54, v53
	v_add_nc_u32_e32 v27, v31, v27
	v_lshl_add_u32 v54, v54, 1, v14
	ds_read_u16 v27, v27
	ds_read_u16 v54, v54
	s_waitcnt lgkmcnt(1)
	v_add_f16_e32 v27, 0, v27
	s_waitcnt lgkmcnt(0)
	v_add_f16_e32 v54, 0, v54
	v_cmp_lt_i16_e64 s8, -1, v27
	v_cndmask_b32_e64 v55, -1, 0xffff8000, s8
	v_cmp_lt_i16_e64 s8, -1, v54
	v_xor_b32_e32 v27, v55, v27
	v_cndmask_b32_e64 v64, -1, 0xffff8000, s8
	v_add_nc_u32_e32 v55, 1, v53
	v_xor_b32_e32 v54, v64, v54
	v_cmp_gt_u16_e64 s8, v54, v27
	v_cndmask_b32_e64 v52, v52, v53, s8
	v_cndmask_b32_e64 v28, v55, v28, s8
	v_cmp_ge_u32_e64 s8, v28, v52
	s_or_b32 s12, s8, s12
	s_andn2_b32 exec_lo, exec_lo, s12
	s_cbranch_execnz .LBB1747_205
; %bb.206:
	s_inst_prefetch 0x2
	s_or_b32 exec_lo, exec_lo, s12
.LBB1747_207:
	s_or_b32 exec_lo, exec_lo, s9
	v_add_nc_u32_e32 v14, v29, v34
	v_add_nc_u32_e32 v34, v28, v35
	v_sub_nc_u32_e32 v35, v14, v28
	v_cmp_le_u32_e64 s8, v34, v29
	v_cmp_le_u32_e64 s9, v35, v30
	s_or_b32 s8, s8, s9
	s_and_saveexec_b32 s12, s8
	s_cbranch_execz .LBB1747_243
; %bb.208:
	v_cmp_ge_u32_e64 s8, v34, v29
	s_mov_b32 s13, exec_lo
                                        ; implicit-def: $vgpr14
	v_cmpx_lt_u32_e64 v34, v29
; %bb.209:
	v_lshl_add_u32 v4, v28, 1, v31
	ds_read_u16 v14, v4
; %bb.210:
	s_or_b32 exec_lo, exec_lo, s13
	v_cmp_ge_u32_e64 s13, v35, v30
	s_mov_b32 s15, exec_lo
                                        ; implicit-def: $vgpr27
	v_cmpx_lt_u32_e64 v35, v30
; %bb.211:
	v_lshl_add_u32 v4, v35, 1, v10
	ds_read_u16 v27, v4
; %bb.212:
	s_or_b32 exec_lo, exec_lo, s15
	s_nor_b32 s8, s8, s13
	s_and_saveexec_b32 s9, s8
	s_cbranch_execz .LBB1747_214
; %bb.213:
	s_waitcnt lgkmcnt(0)
	v_add_f16_e32 v4, 0, v27
	v_add_f16_e32 v5, 0, v14
	s_andn2_b32 s13, s13, exec_lo
	v_cmp_lt_i16_e64 s8, -1, v4
	v_cndmask_b32_e64 v8, -1, 0xffff8000, s8
	v_cmp_lt_i16_e64 s8, -1, v5
	v_xor_b32_e32 v4, v8, v4
	v_cndmask_b32_e64 v9, -1, 0xffff8000, s8
	v_xor_b32_e32 v5, v9, v5
	v_cmp_le_u16_e64 s8, v4, v5
	s_and_b32 s8, s8, exec_lo
	s_or_b32 s13, s13, s8
.LBB1747_214:
	s_or_b32 exec_lo, exec_lo, s9
	v_cndmask_b32_e64 v4, v35, v34, s13
	v_cndmask_b32_e64 v5, v30, v29, s13
	s_mov_b32 s15, -1
	s_mov_b32 s9, -1
	s_mov_b32 s16, exec_lo
	v_add_nc_u32_e32 v8, 1, v4
	v_add_nc_u32_e32 v5, -1, v5
	v_lshl_add_u32 v4, v4, 3, v13
	v_cndmask_b32_e64 v15, v8, v35, s13
	v_min_u32_e32 v5, v8, v5
	v_cndmask_b32_e64 v16, v34, v8, s13
	v_lshl_add_u32 v5, v5, 1, v10
	ds_read_u16 v9, v5
	ds_read_b64 v[4:5], v4 offset:4096
	s_waitcnt lgkmcnt(1)
	v_cndmask_b32_e64 v28, v9, v27, s13
	v_cndmask_b32_e64 v31, v14, v9, s13
	v_cmpx_lt_u32_e64 v15, v30
	s_cbranch_execz .LBB1747_218
; %bb.215:
	s_mov_b32 s17, 0
	s_mov_b32 s9, exec_lo
	v_cmpx_lt_u32_e64 v16, v29
	s_cbranch_execz .LBB1747_217
; %bb.216:
	v_add_f16_e32 v8, 0, v28
	v_add_f16_e32 v9, 0, v31
	v_cmp_lt_i16_e64 s8, -1, v8
	v_cndmask_b32_e64 v17, -1, 0xffff8000, s8
	v_cmp_lt_i16_e64 s8, -1, v9
	v_xor_b32_e32 v8, v17, v8
	v_cndmask_b32_e64 v18, -1, 0xffff8000, s8
	v_xor_b32_e32 v9, v18, v9
	v_cmp_le_u16_e64 s8, v8, v9
	s_and_b32 s17, s8, exec_lo
.LBB1747_217:
	s_or_b32 exec_lo, exec_lo, s9
	s_orn2_b32 s9, s17, exec_lo
.LBB1747_218:
	s_or_b32 exec_lo, exec_lo, s16
	v_cndmask_b32_e64 v8, v15, v16, s9
	v_cndmask_b32_e64 v9, v30, v29, s9
	s_mov_b32 s16, exec_lo
	v_add_nc_u32_e32 v18, 1, v8
	v_add_nc_u32_e32 v9, -1, v9
	v_lshl_add_u32 v8, v8, 3, v13
	v_cndmask_b32_e64 v17, v18, v15, s9
	v_min_u32_e32 v9, v18, v9
	v_cndmask_b32_e64 v18, v16, v18, s9
	v_lshl_add_u32 v9, v9, 1, v10
	ds_read_u16 v19, v9
	ds_read_b64 v[8:9], v8 offset:4096
	s_waitcnt lgkmcnt(1)
	v_cndmask_b32_e64 v34, v19, v28, s9
	v_cndmask_b32_e64 v35, v31, v19, s9
	v_cmpx_lt_u32_e64 v17, v30
	s_cbranch_execz .LBB1747_222
; %bb.219:
	s_mov_b32 s17, 0
	s_mov_b32 s15, exec_lo
	v_cmpx_lt_u32_e64 v18, v29
	s_cbranch_execz .LBB1747_221
; %bb.220:
	v_add_f16_e32 v15, 0, v34
	v_add_f16_e32 v16, 0, v35
	v_cmp_lt_i16_e64 s8, -1, v15
	v_cndmask_b32_e64 v19, -1, 0xffff8000, s8
	v_cmp_lt_i16_e64 s8, -1, v16
	v_xor_b32_e32 v15, v19, v15
	v_cndmask_b32_e64 v20, -1, 0xffff8000, s8
	v_xor_b32_e32 v16, v20, v16
	v_cmp_le_u16_e64 s8, v15, v16
	s_and_b32 s17, s8, exec_lo
.LBB1747_221:
	s_or_b32 exec_lo, exec_lo, s15
	s_orn2_b32 s15, s17, exec_lo
.LBB1747_222:
	s_or_b32 exec_lo, exec_lo, s16
	v_cndmask_b32_e64 v15, v17, v18, s15
	v_cndmask_b32_e64 v16, v30, v29, s15
	s_mov_b32 s17, -1
	s_mov_b32 s16, -1
	s_mov_b32 s18, exec_lo
	v_add_nc_u32_e32 v20, 1, v15
	v_add_nc_u32_e32 v16, -1, v16
	v_lshl_add_u32 v15, v15, 3, v13
	v_cndmask_b32_e64 v19, v20, v17, s15
	v_min_u32_e32 v16, v20, v16
	v_cndmask_b32_e64 v20, v18, v20, s15
	v_lshl_add_u32 v16, v16, 1, v10
	ds_read_u16 v21, v16
	ds_read_b64 v[15:16], v15 offset:4096
	s_waitcnt lgkmcnt(1)
	v_cndmask_b32_e64 v36, v21, v34, s15
	v_cndmask_b32_e64 v37, v35, v21, s15
	v_cmpx_lt_u32_e64 v19, v30
	s_cbranch_execz .LBB1747_226
; %bb.223:
	s_mov_b32 s19, 0
	s_mov_b32 s16, exec_lo
	v_cmpx_lt_u32_e64 v20, v29
	s_cbranch_execz .LBB1747_225
; %bb.224:
	v_add_f16_e32 v17, 0, v36
	v_add_f16_e32 v18, 0, v37
	v_cmp_lt_i16_e64 s8, -1, v17
	v_cndmask_b32_e64 v21, -1, 0xffff8000, s8
	v_cmp_lt_i16_e64 s8, -1, v18
	v_xor_b32_e32 v17, v21, v17
	v_cndmask_b32_e64 v22, -1, 0xffff8000, s8
	v_xor_b32_e32 v18, v22, v18
	v_cmp_le_u16_e64 s8, v17, v18
	s_and_b32 s19, s8, exec_lo
.LBB1747_225:
	s_or_b32 exec_lo, exec_lo, s16
	s_orn2_b32 s16, s19, exec_lo
.LBB1747_226:
	s_or_b32 exec_lo, exec_lo, s18
	v_cndmask_b32_e64 v17, v19, v20, s16
	v_cndmask_b32_e64 v18, v30, v29, s16
	s_mov_b32 s18, exec_lo
	v_add_nc_u32_e32 v22, 1, v17
	v_add_nc_u32_e32 v18, -1, v18
	v_lshl_add_u32 v17, v17, 3, v13
	v_cndmask_b32_e64 v21, v22, v19, s16
	v_min_u32_e32 v18, v22, v18
	v_cndmask_b32_e64 v22, v20, v22, s16
	v_lshl_add_u32 v18, v18, 1, v10
	ds_read_u16 v23, v18
	ds_read_b64 v[17:18], v17 offset:4096
	s_waitcnt lgkmcnt(1)
	v_cndmask_b32_e64 v39, v23, v36, s16
	v_cndmask_b32_e64 v48, v37, v23, s16
	v_cmpx_lt_u32_e64 v21, v30
	s_cbranch_execz .LBB1747_230
; %bb.227:
	s_mov_b32 s19, 0
	s_mov_b32 s17, exec_lo
	v_cmpx_lt_u32_e64 v22, v29
	s_cbranch_execz .LBB1747_229
; %bb.228:
	v_add_f16_e32 v19, 0, v39
	v_add_f16_e32 v20, 0, v48
	v_cmp_lt_i16_e64 s8, -1, v19
	v_cndmask_b32_e64 v23, -1, 0xffff8000, s8
	v_cmp_lt_i16_e64 s8, -1, v20
	v_xor_b32_e32 v19, v23, v19
	v_cndmask_b32_e64 v24, -1, 0xffff8000, s8
	v_xor_b32_e32 v20, v24, v20
	v_cmp_le_u16_e64 s8, v19, v20
	s_and_b32 s19, s8, exec_lo
.LBB1747_229:
	s_or_b32 exec_lo, exec_lo, s17
	s_orn2_b32 s17, s19, exec_lo
.LBB1747_230:
	s_or_b32 exec_lo, exec_lo, s18
	v_cndmask_b32_e64 v19, v21, v22, s17
	v_cndmask_b32_e64 v20, v30, v29, s17
	s_mov_b32 s19, -1
	s_mov_b32 s18, -1
	s_mov_b32 s20, exec_lo
	v_add_nc_u32_e32 v23, 1, v19
	v_add_nc_u32_e32 v20, -1, v20
	v_lshl_add_u32 v19, v19, 3, v13
	v_cndmask_b32_e64 v21, v23, v21, s17
	v_min_u32_e32 v20, v23, v20
	v_cndmask_b32_e64 v22, v22, v23, s17
	v_lshl_add_u32 v20, v20, 1, v10
	ds_read_u16 v24, v20
	ds_read_b64 v[19:20], v19 offset:4096
	s_waitcnt lgkmcnt(1)
	v_cndmask_b32_e64 v38, v24, v39, s17
	v_cndmask_b32_e64 v49, v48, v24, s17
	v_cmpx_lt_u32_e64 v21, v30
	s_cbranch_execz .LBB1747_234
; %bb.231:
	s_mov_b32 s21, 0
	s_mov_b32 s18, exec_lo
	v_cmpx_lt_u32_e64 v22, v29
	s_cbranch_execz .LBB1747_233
; %bb.232:
	v_add_f16_e32 v23, 0, v38
	v_add_f16_e32 v24, 0, v49
	v_cmp_lt_i16_e64 s8, -1, v23
	v_cndmask_b32_e64 v25, -1, 0xffff8000, s8
	v_cmp_lt_i16_e64 s8, -1, v24
	v_xor_b32_e32 v23, v25, v23
	v_cndmask_b32_e64 v26, -1, 0xffff8000, s8
	v_xor_b32_e32 v24, v26, v24
	v_cmp_le_u16_e64 s8, v23, v24
	s_and_b32 s21, s8, exec_lo
.LBB1747_233:
	s_or_b32 exec_lo, exec_lo, s18
	s_orn2_b32 s18, s21, exec_lo
.LBB1747_234:
	s_or_b32 exec_lo, exec_lo, s20
	v_cndmask_b32_e64 v23, v21, v22, s18
	v_cndmask_b32_e64 v24, v30, v29, s18
	s_mov_b32 s20, exec_lo
	v_add_nc_u32_e32 v26, 1, v23
	v_add_nc_u32_e32 v24, -1, v24
	v_lshl_add_u32 v23, v23, 3, v13
	v_cndmask_b32_e64 v25, v26, v21, s18
	v_min_u32_e32 v24, v26, v24
	v_cndmask_b32_e64 v26, v22, v26, s18
	v_lshl_add_u32 v24, v24, 1, v10
	ds_read_u16 v51, v24
	ds_read_b64 v[23:24], v23 offset:4096
	s_waitcnt lgkmcnt(1)
	v_cndmask_b32_e64 v50, v51, v38, s18
	v_cndmask_b32_e64 v51, v49, v51, s18
	v_cmpx_lt_u32_e64 v25, v30
	s_cbranch_execz .LBB1747_238
; %bb.235:
	s_mov_b32 s21, 0
	s_mov_b32 s19, exec_lo
	v_cmpx_lt_u32_e64 v26, v29
	s_cbranch_execz .LBB1747_237
; %bb.236:
	v_add_f16_e32 v21, 0, v50
	v_add_f16_e32 v22, 0, v51
	v_cmp_lt_i16_e64 s8, -1, v21
	v_cndmask_b32_e64 v52, -1, 0xffff8000, s8
	v_cmp_lt_i16_e64 s8, -1, v22
	v_xor_b32_e32 v21, v52, v21
	v_cndmask_b32_e64 v53, -1, 0xffff8000, s8
	v_xor_b32_e32 v22, v53, v22
	v_cmp_le_u16_e64 s8, v21, v22
	s_and_b32 s21, s8, exec_lo
.LBB1747_237:
	s_or_b32 exec_lo, exec_lo, s19
	s_orn2_b32 s19, s21, exec_lo
.LBB1747_238:
	s_or_b32 exec_lo, exec_lo, s20
	v_cndmask_b32_e64 v21, v25, v26, s19
	v_cndmask_b32_e64 v22, v30, v29, s19
	s_mov_b32 s21, -1
	s_mov_b32 s20, exec_lo
	v_add_nc_u32_e32 v52, 1, v21
	v_add_nc_u32_e32 v22, -1, v22
	v_cndmask_b32_e64 v25, v52, v25, s19
	v_min_u32_e32 v22, v52, v22
	v_cndmask_b32_e64 v26, v26, v52, s19
	v_lshl_add_u32 v10, v22, 1, v10
	ds_read_u16 v53, v10
	v_lshl_add_u32 v10, v21, 3, v13
	ds_read_b64 v[21:22], v10 offset:4096
	s_waitcnt lgkmcnt(1)
	v_cndmask_b32_e64 v10, v53, v50, s19
	v_cndmask_b32_e64 v52, v51, v53, s19
	v_cmpx_lt_u32_e64 v25, v30
	s_cbranch_execz .LBB1747_242
; %bb.239:
	s_mov_b32 s22, 0
	s_mov_b32 s21, exec_lo
	v_cmpx_lt_u32_e64 v26, v29
	s_cbranch_execz .LBB1747_241
; %bb.240:
	v_add_f16_e32 v29, 0, v10
	v_add_f16_e32 v30, 0, v52
	v_cmp_lt_i16_e64 s8, -1, v29
	v_cndmask_b32_e64 v53, -1, 0xffff8000, s8
	v_cmp_lt_i16_e64 s8, -1, v30
	v_xor_b32_e32 v29, v53, v29
	v_cndmask_b32_e64 v54, -1, 0xffff8000, s8
	v_xor_b32_e32 v30, v54, v30
	v_cmp_le_u16_e64 s8, v29, v30
	s_and_b32 s22, s8, exec_lo
.LBB1747_241:
	s_or_b32 exec_lo, exec_lo, s21
	s_orn2_b32 s21, s22, exec_lo
.LBB1747_242:
	s_or_b32 exec_lo, exec_lo, s20
	v_cndmask_b32_e64 v25, v25, v26, s21
	v_cndmask_b32_e64 v50, v50, v51, s19
	;; [unrolled: 1-line block ×5, first 2 shown]
	v_lshl_add_u32 v13, v25, 3, v13
	v_cndmask_b32_e64 v48, v34, v35, s15
	v_cndmask_b32_e64 v39, v28, v31, s9
	;; [unrolled: 1-line block ×4, first 2 shown]
	ds_read_b64 v[25:26], v13 offset:4096
.LBB1747_243:
	s_or_b32 exec_lo, exec_lo, s12
	v_add_co_u32 v2, s8, v2, v11
	v_add_co_ci_u32_e64 v3, null, v3, v12, s8
	v_add_co_u32 v2, s8, v2, v32
	v_add_co_ci_u32_e64 v3, null, 0, v3, s8
	; wave barrier
	s_waitcnt lgkmcnt(0)
	s_waitcnt_vscnt null, 0x0
	s_barrier
	buffer_gl0_inv
	; wave barrier
	s_and_saveexec_b32 s8, vcc_lo
	s_cbranch_execnz .LBB1747_268
; %bb.244:
	s_or_b32 exec_lo, exec_lo, s8
	s_and_saveexec_b32 s8, s4
	s_cbranch_execnz .LBB1747_269
.LBB1747_245:
	s_or_b32 exec_lo, exec_lo, s8
	s_and_saveexec_b32 s8, s5
	s_cbranch_execnz .LBB1747_270
.LBB1747_246:
	s_or_b32 exec_lo, exec_lo, s8
	s_and_saveexec_b32 s8, s6
	s_cbranch_execnz .LBB1747_271
.LBB1747_247:
	s_or_b32 exec_lo, exec_lo, s8
	s_and_saveexec_b32 s8, s7
	s_cbranch_execnz .LBB1747_272
.LBB1747_248:
	s_or_b32 exec_lo, exec_lo, s8
	s_and_saveexec_b32 s8, s10
	s_cbranch_execnz .LBB1747_273
.LBB1747_249:
	s_or_b32 exec_lo, exec_lo, s8
	s_and_saveexec_b32 s8, s11
	s_cbranch_execnz .LBB1747_274
.LBB1747_250:
	s_or_b32 exec_lo, exec_lo, s8
	s_and_saveexec_b32 s8, s14
	s_cbranch_execz .LBB1747_252
.LBB1747_251:
	flat_store_short v[2:3], v37 offset:14
.LBB1747_252:
	s_or_b32 exec_lo, exec_lo, s8
	v_add_co_u32 v0, s8, v6, v0
	v_add_co_ci_u32_e64 v1, null, v7, v1, s8
	v_add_co_u32 v0, s8, v0, v33
	v_add_co_ci_u32_e64 v1, null, 0, v1, s8
	; wave barrier
	s_and_saveexec_b32 s8, vcc_lo
	s_cbranch_execnz .LBB1747_275
; %bb.253:
	s_or_b32 exec_lo, exec_lo, s8
	s_and_saveexec_b32 s8, s4
	s_cbranch_execnz .LBB1747_276
.LBB1747_254:
	s_or_b32 exec_lo, exec_lo, s8
	s_and_saveexec_b32 s4, s5
	s_cbranch_execnz .LBB1747_277
.LBB1747_255:
	s_or_b32 exec_lo, exec_lo, s4
	s_and_saveexec_b32 s4, s6
	s_cbranch_execnz .LBB1747_278
.LBB1747_256:
	s_or_b32 exec_lo, exec_lo, s4
	s_and_saveexec_b32 s4, s7
	s_cbranch_execnz .LBB1747_279
.LBB1747_257:
	s_or_b32 exec_lo, exec_lo, s4
	s_and_saveexec_b32 s4, s10
	s_cbranch_execnz .LBB1747_280
.LBB1747_258:
	s_or_b32 exec_lo, exec_lo, s4
	s_and_saveexec_b32 s4, s11
	s_cbranch_execnz .LBB1747_281
.LBB1747_259:
	s_or_b32 exec_lo, exec_lo, s4
	s_and_saveexec_b32 s4, s14
	s_cbranch_execnz .LBB1747_282
.LBB1747_260:
	s_or_b32 exec_lo, exec_lo, s4
	s_waitcnt lgkmcnt(0)
	s_setpc_b64 s[30:31]
.LBB1747_261:
	flat_load_dwordx2 v[4:5], v[13:14]
	s_or_b32 exec_lo, exec_lo, s15
                                        ; implicit-def: $vgpr8_vgpr9
	s_and_saveexec_b32 s15, s4
	s_cbranch_execz .LBB1747_18
.LBB1747_262:
	flat_load_dwordx2 v[8:9], v[13:14] offset:8
	s_or_b32 exec_lo, exec_lo, s15
                                        ; implicit-def: $vgpr15_vgpr16
	s_and_saveexec_b32 s15, s5
	s_cbranch_execz .LBB1747_19
.LBB1747_263:
	flat_load_dwordx2 v[15:16], v[13:14] offset:16
	s_or_b32 exec_lo, exec_lo, s15
                                        ; implicit-def: $vgpr17_vgpr18
	s_and_saveexec_b32 s15, s6
	s_cbranch_execz .LBB1747_20
.LBB1747_264:
	flat_load_dwordx2 v[17:18], v[13:14] offset:24
	s_or_b32 exec_lo, exec_lo, s15
                                        ; implicit-def: $vgpr19_vgpr20
	s_and_saveexec_b32 s15, s7
	s_cbranch_execz .LBB1747_21
.LBB1747_265:
	flat_load_dwordx2 v[19:20], v[13:14] offset:32
	s_or_b32 exec_lo, exec_lo, s15
                                        ; implicit-def: $vgpr23_vgpr24
	s_and_saveexec_b32 s15, s10
	s_cbranch_execz .LBB1747_22
.LBB1747_266:
	flat_load_dwordx2 v[23:24], v[13:14] offset:40
	s_or_b32 exec_lo, exec_lo, s15
                                        ; implicit-def: $vgpr21_vgpr22
	s_and_saveexec_b32 s15, s11
	s_cbranch_execz .LBB1747_23
.LBB1747_267:
	flat_load_dwordx2 v[21:22], v[13:14] offset:48
	s_or_b32 exec_lo, exec_lo, s15
                                        ; implicit-def: $vgpr25_vgpr26
	s_and_saveexec_b32 s15, s14
	s_cbranch_execnz .LBB1747_24
	s_branch .LBB1747_25
.LBB1747_268:
	flat_store_short v[2:3], v36
	s_or_b32 exec_lo, exec_lo, s8
	s_and_saveexec_b32 s8, s4
	s_cbranch_execz .LBB1747_245
.LBB1747_269:
	flat_store_short v[2:3], v39 offset:2
	s_or_b32 exec_lo, exec_lo, s8
	s_and_saveexec_b32 s8, s5
	s_cbranch_execz .LBB1747_246
.LBB1747_270:
	flat_store_short v[2:3], v48 offset:4
	s_or_b32 exec_lo, exec_lo, s8
	s_and_saveexec_b32 s8, s6
	s_cbranch_execz .LBB1747_247
.LBB1747_271:
	flat_store_short v[2:3], v51 offset:6
	s_or_b32 exec_lo, exec_lo, s8
	s_and_saveexec_b32 s8, s7
	s_cbranch_execz .LBB1747_248
.LBB1747_272:
	flat_store_short v[2:3], v49 offset:8
	s_or_b32 exec_lo, exec_lo, s8
	s_and_saveexec_b32 s8, s10
	s_cbranch_execz .LBB1747_249
.LBB1747_273:
	flat_store_short v[2:3], v38 offset:10
	s_or_b32 exec_lo, exec_lo, s8
	s_and_saveexec_b32 s8, s11
	s_cbranch_execz .LBB1747_250
.LBB1747_274:
	flat_store_short v[2:3], v50 offset:12
	s_or_b32 exec_lo, exec_lo, s8
	s_and_saveexec_b32 s8, s14
	s_cbranch_execnz .LBB1747_251
	s_branch .LBB1747_252
.LBB1747_275:
	flat_store_dwordx2 v[0:1], v[4:5]
	s_or_b32 exec_lo, exec_lo, s8
	s_and_saveexec_b32 s8, s4
	s_cbranch_execz .LBB1747_254
.LBB1747_276:
	flat_store_dwordx2 v[0:1], v[8:9] offset:8
	s_or_b32 exec_lo, exec_lo, s8
	s_and_saveexec_b32 s4, s5
	s_cbranch_execz .LBB1747_255
.LBB1747_277:
	flat_store_dwordx2 v[0:1], v[15:16] offset:16
	s_or_b32 exec_lo, exec_lo, s4
	s_and_saveexec_b32 s4, s6
	s_cbranch_execz .LBB1747_256
.LBB1747_278:
	flat_store_dwordx2 v[0:1], v[17:18] offset:24
	s_or_b32 exec_lo, exec_lo, s4
	s_and_saveexec_b32 s4, s7
	s_cbranch_execz .LBB1747_257
.LBB1747_279:
	flat_store_dwordx2 v[0:1], v[19:20] offset:32
	s_or_b32 exec_lo, exec_lo, s4
	s_and_saveexec_b32 s4, s10
	s_cbranch_execz .LBB1747_258
.LBB1747_280:
	flat_store_dwordx2 v[0:1], v[23:24] offset:40
	s_or_b32 exec_lo, exec_lo, s4
	s_and_saveexec_b32 s4, s11
	s_cbranch_execz .LBB1747_259
.LBB1747_281:
	flat_store_dwordx2 v[0:1], v[21:22] offset:48
	s_or_b32 exec_lo, exec_lo, s4
	s_and_saveexec_b32 s4, s14
	s_cbranch_execz .LBB1747_260
.LBB1747_282:
	flat_store_dwordx2 v[0:1], v[25:26] offset:56
	s_or_b32 exec_lo, exec_lo, s4
	s_waitcnt lgkmcnt(0)
	s_setpc_b64 s[30:31]
.Lfunc_end1747:
	.size	_ZN7rocprim17ROCPRIM_400000_NS6detail26segmented_warp_sort_helperINS1_20WarpSortHelperConfigILj16ELj8ELj256EEE6__halflLi256ELb1EvE4sortIPKS5_PS5_PKlPlEEvT_T0_T1_T2_jjjjRNS6_12storage_typeE, .Lfunc_end1747-_ZN7rocprim17ROCPRIM_400000_NS6detail26segmented_warp_sort_helperINS1_20WarpSortHelperConfigILj16ELj8ELj256EEE6__halflLi256ELb1EvE4sortIPKS5_PS5_PKlPlEEvT_T0_T1_T2_jjjjRNS6_12storage_typeE
                                        ; -- End function
	.set .L_ZN7rocprim17ROCPRIM_400000_NS6detail26segmented_warp_sort_helperINS1_20WarpSortHelperConfigILj16ELj8ELj256EEE6__halflLi256ELb1EvE4sortIPKS5_PS5_PKlPlEEvT_T0_T1_T2_jjjjRNS6_12storage_typeE.num_vgpr, 70
	.set .L_ZN7rocprim17ROCPRIM_400000_NS6detail26segmented_warp_sort_helperINS1_20WarpSortHelperConfigILj16ELj8ELj256EEE6__halflLi256ELb1EvE4sortIPKS5_PS5_PKlPlEEvT_T0_T1_T2_jjjjRNS6_12storage_typeE.num_agpr, 0
	.set .L_ZN7rocprim17ROCPRIM_400000_NS6detail26segmented_warp_sort_helperINS1_20WarpSortHelperConfigILj16ELj8ELj256EEE6__halflLi256ELb1EvE4sortIPKS5_PS5_PKlPlEEvT_T0_T1_T2_jjjjRNS6_12storage_typeE.numbered_sgpr, 32
	.set .L_ZN7rocprim17ROCPRIM_400000_NS6detail26segmented_warp_sort_helperINS1_20WarpSortHelperConfigILj16ELj8ELj256EEE6__halflLi256ELb1EvE4sortIPKS5_PS5_PKlPlEEvT_T0_T1_T2_jjjjRNS6_12storage_typeE.num_named_barrier, 0
	.set .L_ZN7rocprim17ROCPRIM_400000_NS6detail26segmented_warp_sort_helperINS1_20WarpSortHelperConfigILj16ELj8ELj256EEE6__halflLi256ELb1EvE4sortIPKS5_PS5_PKlPlEEvT_T0_T1_T2_jjjjRNS6_12storage_typeE.private_seg_size, 0
	.set .L_ZN7rocprim17ROCPRIM_400000_NS6detail26segmented_warp_sort_helperINS1_20WarpSortHelperConfigILj16ELj8ELj256EEE6__halflLi256ELb1EvE4sortIPKS5_PS5_PKlPlEEvT_T0_T1_T2_jjjjRNS6_12storage_typeE.uses_vcc, 1
	.set .L_ZN7rocprim17ROCPRIM_400000_NS6detail26segmented_warp_sort_helperINS1_20WarpSortHelperConfigILj16ELj8ELj256EEE6__halflLi256ELb1EvE4sortIPKS5_PS5_PKlPlEEvT_T0_T1_T2_jjjjRNS6_12storage_typeE.uses_flat_scratch, 0
	.set .L_ZN7rocprim17ROCPRIM_400000_NS6detail26segmented_warp_sort_helperINS1_20WarpSortHelperConfigILj16ELj8ELj256EEE6__halflLi256ELb1EvE4sortIPKS5_PS5_PKlPlEEvT_T0_T1_T2_jjjjRNS6_12storage_typeE.has_dyn_sized_stack, 0
	.set .L_ZN7rocprim17ROCPRIM_400000_NS6detail26segmented_warp_sort_helperINS1_20WarpSortHelperConfigILj16ELj8ELj256EEE6__halflLi256ELb1EvE4sortIPKS5_PS5_PKlPlEEvT_T0_T1_T2_jjjjRNS6_12storage_typeE.has_recursion, 0
	.set .L_ZN7rocprim17ROCPRIM_400000_NS6detail26segmented_warp_sort_helperINS1_20WarpSortHelperConfigILj16ELj8ELj256EEE6__halflLi256ELb1EvE4sortIPKS5_PS5_PKlPlEEvT_T0_T1_T2_jjjjRNS6_12storage_typeE.has_indirect_call, 0
	.section	.AMDGPU.csdata,"",@progbits
; Function info:
; codeLenInByte = 13480
; TotalNumSgprs: 34
; NumVgprs: 70
; ScratchSize: 0
; MemoryBound: 0
	.section	.text._ZN7rocprim17ROCPRIM_400000_NS6detail17trampoline_kernelINS0_14default_configENS1_36segmented_radix_sort_config_selectorI6__halflEEZNS1_25segmented_radix_sort_implIS3_Lb1EPKS5_PS5_PKlPlN2at6native12_GLOBAL__N_18offset_tEEE10hipError_tPvRmT1_PNSt15iterator_traitsISL_E10value_typeET2_T3_PNSM_ISR_E10value_typeET4_jRbjT5_SX_jjP12ihipStream_tbEUlT_E0_NS1_11comp_targetILNS1_3genE8ELNS1_11target_archE1030ELNS1_3gpuE2ELNS1_3repE0EEENS1_60segmented_radix_sort_warp_sort_medium_config_static_selectorELNS0_4arch9wavefront6targetE0EEEvSL_,"axG",@progbits,_ZN7rocprim17ROCPRIM_400000_NS6detail17trampoline_kernelINS0_14default_configENS1_36segmented_radix_sort_config_selectorI6__halflEEZNS1_25segmented_radix_sort_implIS3_Lb1EPKS5_PS5_PKlPlN2at6native12_GLOBAL__N_18offset_tEEE10hipError_tPvRmT1_PNSt15iterator_traitsISL_E10value_typeET2_T3_PNSM_ISR_E10value_typeET4_jRbjT5_SX_jjP12ihipStream_tbEUlT_E0_NS1_11comp_targetILNS1_3genE8ELNS1_11target_archE1030ELNS1_3gpuE2ELNS1_3repE0EEENS1_60segmented_radix_sort_warp_sort_medium_config_static_selectorELNS0_4arch9wavefront6targetE0EEEvSL_,comdat
	.globl	_ZN7rocprim17ROCPRIM_400000_NS6detail17trampoline_kernelINS0_14default_configENS1_36segmented_radix_sort_config_selectorI6__halflEEZNS1_25segmented_radix_sort_implIS3_Lb1EPKS5_PS5_PKlPlN2at6native12_GLOBAL__N_18offset_tEEE10hipError_tPvRmT1_PNSt15iterator_traitsISL_E10value_typeET2_T3_PNSM_ISR_E10value_typeET4_jRbjT5_SX_jjP12ihipStream_tbEUlT_E0_NS1_11comp_targetILNS1_3genE8ELNS1_11target_archE1030ELNS1_3gpuE2ELNS1_3repE0EEENS1_60segmented_radix_sort_warp_sort_medium_config_static_selectorELNS0_4arch9wavefront6targetE0EEEvSL_ ; -- Begin function _ZN7rocprim17ROCPRIM_400000_NS6detail17trampoline_kernelINS0_14default_configENS1_36segmented_radix_sort_config_selectorI6__halflEEZNS1_25segmented_radix_sort_implIS3_Lb1EPKS5_PS5_PKlPlN2at6native12_GLOBAL__N_18offset_tEEE10hipError_tPvRmT1_PNSt15iterator_traitsISL_E10value_typeET2_T3_PNSM_ISR_E10value_typeET4_jRbjT5_SX_jjP12ihipStream_tbEUlT_E0_NS1_11comp_targetILNS1_3genE8ELNS1_11target_archE1030ELNS1_3gpuE2ELNS1_3repE0EEENS1_60segmented_radix_sort_warp_sort_medium_config_static_selectorELNS0_4arch9wavefront6targetE0EEEvSL_
	.p2align	8
	.type	_ZN7rocprim17ROCPRIM_400000_NS6detail17trampoline_kernelINS0_14default_configENS1_36segmented_radix_sort_config_selectorI6__halflEEZNS1_25segmented_radix_sort_implIS3_Lb1EPKS5_PS5_PKlPlN2at6native12_GLOBAL__N_18offset_tEEE10hipError_tPvRmT1_PNSt15iterator_traitsISL_E10value_typeET2_T3_PNSM_ISR_E10value_typeET4_jRbjT5_SX_jjP12ihipStream_tbEUlT_E0_NS1_11comp_targetILNS1_3genE8ELNS1_11target_archE1030ELNS1_3gpuE2ELNS1_3repE0EEENS1_60segmented_radix_sort_warp_sort_medium_config_static_selectorELNS0_4arch9wavefront6targetE0EEEvSL_,@function
_ZN7rocprim17ROCPRIM_400000_NS6detail17trampoline_kernelINS0_14default_configENS1_36segmented_radix_sort_config_selectorI6__halflEEZNS1_25segmented_radix_sort_implIS3_Lb1EPKS5_PS5_PKlPlN2at6native12_GLOBAL__N_18offset_tEEE10hipError_tPvRmT1_PNSt15iterator_traitsISL_E10value_typeET2_T3_PNSM_ISR_E10value_typeET4_jRbjT5_SX_jjP12ihipStream_tbEUlT_E0_NS1_11comp_targetILNS1_3genE8ELNS1_11target_archE1030ELNS1_3gpuE2ELNS1_3repE0EEENS1_60segmented_radix_sort_warp_sort_medium_config_static_selectorELNS0_4arch9wavefront6targetE0EEEvSL_: ; @_ZN7rocprim17ROCPRIM_400000_NS6detail17trampoline_kernelINS0_14default_configENS1_36segmented_radix_sort_config_selectorI6__halflEEZNS1_25segmented_radix_sort_implIS3_Lb1EPKS5_PS5_PKlPlN2at6native12_GLOBAL__N_18offset_tEEE10hipError_tPvRmT1_PNSt15iterator_traitsISL_E10value_typeET2_T3_PNSM_ISR_E10value_typeET4_jRbjT5_SX_jjP12ihipStream_tbEUlT_E0_NS1_11comp_targetILNS1_3genE8ELNS1_11target_archE1030ELNS1_3gpuE2ELNS1_3repE0EEENS1_60segmented_radix_sort_warp_sort_medium_config_static_selectorELNS0_4arch9wavefront6targetE0EEEvSL_
; %bb.0:
	s_add_u32 s0, s0, s8
	s_load_dword s8, s[4:5], 0x64
	s_addc_u32 s1, s1, 0
	s_mov_b32 s32, 0
	s_waitcnt lgkmcnt(0)
	s_lshr_b32 s9, s8, 16
	s_and_b32 s8, s8, 0xffff
	v_mad_u32_u24 v3, v2, s9, v1
	s_load_dword s9, s[4:5], 0x34
	v_mad_u64_u32 v[3:4], null, v3, s8, v[0:1]
	s_mov_b32 s8, exec_lo
	v_lshrrev_b32_e32 v3, 4, v3
	v_lshl_add_u32 v3, s6, 4, v3
	s_waitcnt lgkmcnt(0)
	v_cmpx_gt_u32_e64 s9, v3
	s_cbranch_execz .LBB1748_6
; %bb.1:
	s_clause 0x1
	s_load_dwordx2 s[12:13], s[4:5], 0x38
	s_load_dwordx4 s[8:11], s[4:5], 0x40
	v_mov_b32_e32 v4, 0
	v_lshlrev_b64 v[3:4], 2, v[3:4]
	s_waitcnt lgkmcnt(0)
	v_add_co_u32 v3, vcc_lo, s12, v3
	v_add_co_ci_u32_e64 v4, null, s13, v4, vcc_lo
	global_load_dword v3, v[3:4], off
	s_waitcnt vmcnt(0)
	v_add_nc_u32_e32 v4, s9, v3
	v_add_nc_u32_e32 v3, s11, v3
	v_mul_lo_u32 v40, v4, s8
	v_mul_lo_u32 v41, v3, s10
	v_cmp_gt_u32_e32 vcc_lo, v41, v40
	s_and_b32 exec_lo, exec_lo, vcc_lo
	s_cbranch_execz .LBB1748_6
; %bb.2:
	s_clause 0x2
	s_load_dword s8, s[4:5], 0x30
	s_load_dwordx4 s[24:27], s[4:5], 0x20
	s_load_dwordx8 s[36:43], s[4:5], 0x0
	v_lshlrev_b32_e32 v43, 20, v2
	v_lshlrev_b32_e32 v44, 10, v1
	s_waitcnt lgkmcnt(0)
	s_bitcmp0_b32 s8, 0
	s_mov_b32 s8, -1
	s_cbranch_scc0 .LBB1748_4
; %bb.3:
	v_or3_b32 v31, v0, v44, v43
	v_mov_b32_e32 v42, v0
	v_mov_b32_e32 v0, s36
	;; [unrolled: 1-line block ×11, first 2 shown]
	s_add_u32 s8, s4, 0x58
	s_addc_u32 s9, s5, 0
	s_getpc_b64 s[10:11]
	s_add_u32 s10, s10, _ZN7rocprim17ROCPRIM_400000_NS6detail26segmented_warp_sort_helperINS1_20WarpSortHelperConfigILj16ELj8ELj256EEE6__halflLi256ELb1EvE4sortIPKS5_PS5_PKlPlEEvT_T0_T1_T2_jjjjRNS6_12storage_typeE@rel32@lo+4
	s_addc_u32 s11, s11, _ZN7rocprim17ROCPRIM_400000_NS6detail26segmented_warp_sort_helperINS1_20WarpSortHelperConfigILj16ELj8ELj256EEE6__halflLi256ELb1EvE4sortIPKS5_PS5_PKlPlEEvT_T0_T1_T2_jjjjRNS6_12storage_typeE@rel32@hi+12
	s_mov_b32 s12, s6
	s_mov_b32 s13, s7
	s_mov_b64 s[24:25], s[4:5]
	s_mov_b32 s23, s7
	s_mov_b32 s28, s6
	s_swappc_b64 s[30:31], s[10:11]
	v_mov_b32_e32 v0, v42
	s_mov_b32 s6, s28
	s_mov_b32 s7, s23
	s_mov_b64 s[4:5], s[24:25]
	s_mov_b32 s8, 0
.LBB1748_4:
	s_andn2_b32 vcc_lo, exec_lo, s8
	s_cbranch_vccnz .LBB1748_6
; %bb.5:
	v_or3_b32 v31, v0, v44, v43
	v_mov_b32_e32 v0, s36
	v_mov_b32_e32 v1, s37
	;; [unrolled: 1-line block ×10, first 2 shown]
	s_add_u32 s8, s4, 0x58
	s_addc_u32 s9, s5, 0
	s_getpc_b64 s[4:5]
	s_add_u32 s4, s4, _ZN7rocprim17ROCPRIM_400000_NS6detail26segmented_warp_sort_helperINS1_20WarpSortHelperConfigILj16ELj8ELj256EEE6__halflLi256ELb1EvE4sortIPKS5_PS5_PKlPlEEvT_T0_T1_T2_jjjjRNS6_12storage_typeE@rel32@lo+4
	s_addc_u32 s5, s5, _ZN7rocprim17ROCPRIM_400000_NS6detail26segmented_warp_sort_helperINS1_20WarpSortHelperConfigILj16ELj8ELj256EEE6__halflLi256ELb1EvE4sortIPKS5_PS5_PKlPlEEvT_T0_T1_T2_jjjjRNS6_12storage_typeE@rel32@hi+12
	s_mov_b32 s12, s6
	s_mov_b32 s13, s7
	s_swappc_b64 s[30:31], s[4:5]
.LBB1748_6:
	s_endpgm
	.section	.rodata,"a",@progbits
	.p2align	6, 0x0
	.amdhsa_kernel _ZN7rocprim17ROCPRIM_400000_NS6detail17trampoline_kernelINS0_14default_configENS1_36segmented_radix_sort_config_selectorI6__halflEEZNS1_25segmented_radix_sort_implIS3_Lb1EPKS5_PS5_PKlPlN2at6native12_GLOBAL__N_18offset_tEEE10hipError_tPvRmT1_PNSt15iterator_traitsISL_E10value_typeET2_T3_PNSM_ISR_E10value_typeET4_jRbjT5_SX_jjP12ihipStream_tbEUlT_E0_NS1_11comp_targetILNS1_3genE8ELNS1_11target_archE1030ELNS1_3gpuE2ELNS1_3repE0EEENS1_60segmented_radix_sort_warp_sort_medium_config_static_selectorELNS0_4arch9wavefront6targetE0EEEvSL_
		.amdhsa_group_segment_fixed_size 20480
		.amdhsa_private_segment_fixed_size 0
		.amdhsa_kernarg_size 344
		.amdhsa_user_sgpr_count 6
		.amdhsa_user_sgpr_private_segment_buffer 1
		.amdhsa_user_sgpr_dispatch_ptr 0
		.amdhsa_user_sgpr_queue_ptr 0
		.amdhsa_user_sgpr_kernarg_segment_ptr 1
		.amdhsa_user_sgpr_dispatch_id 0
		.amdhsa_user_sgpr_flat_scratch_init 0
		.amdhsa_user_sgpr_private_segment_size 0
		.amdhsa_wavefront_size32 1
		.amdhsa_uses_dynamic_stack 0
		.amdhsa_system_sgpr_private_segment_wavefront_offset 0
		.amdhsa_system_sgpr_workgroup_id_x 1
		.amdhsa_system_sgpr_workgroup_id_y 1
		.amdhsa_system_sgpr_workgroup_id_z 0
		.amdhsa_system_sgpr_workgroup_info 0
		.amdhsa_system_vgpr_workitem_id 2
		.amdhsa_next_free_vgpr 70
		.amdhsa_next_free_sgpr 44
		.amdhsa_reserve_vcc 1
		.amdhsa_reserve_flat_scratch 0
		.amdhsa_float_round_mode_32 0
		.amdhsa_float_round_mode_16_64 0
		.amdhsa_float_denorm_mode_32 3
		.amdhsa_float_denorm_mode_16_64 3
		.amdhsa_dx10_clamp 1
		.amdhsa_ieee_mode 1
		.amdhsa_fp16_overflow 0
		.amdhsa_workgroup_processor_mode 1
		.amdhsa_memory_ordered 1
		.amdhsa_forward_progress 1
		.amdhsa_shared_vgpr_count 0
		.amdhsa_exception_fp_ieee_invalid_op 0
		.amdhsa_exception_fp_denorm_src 0
		.amdhsa_exception_fp_ieee_div_zero 0
		.amdhsa_exception_fp_ieee_overflow 0
		.amdhsa_exception_fp_ieee_underflow 0
		.amdhsa_exception_fp_ieee_inexact 0
		.amdhsa_exception_int_div_zero 0
	.end_amdhsa_kernel
	.section	.text._ZN7rocprim17ROCPRIM_400000_NS6detail17trampoline_kernelINS0_14default_configENS1_36segmented_radix_sort_config_selectorI6__halflEEZNS1_25segmented_radix_sort_implIS3_Lb1EPKS5_PS5_PKlPlN2at6native12_GLOBAL__N_18offset_tEEE10hipError_tPvRmT1_PNSt15iterator_traitsISL_E10value_typeET2_T3_PNSM_ISR_E10value_typeET4_jRbjT5_SX_jjP12ihipStream_tbEUlT_E0_NS1_11comp_targetILNS1_3genE8ELNS1_11target_archE1030ELNS1_3gpuE2ELNS1_3repE0EEENS1_60segmented_radix_sort_warp_sort_medium_config_static_selectorELNS0_4arch9wavefront6targetE0EEEvSL_,"axG",@progbits,_ZN7rocprim17ROCPRIM_400000_NS6detail17trampoline_kernelINS0_14default_configENS1_36segmented_radix_sort_config_selectorI6__halflEEZNS1_25segmented_radix_sort_implIS3_Lb1EPKS5_PS5_PKlPlN2at6native12_GLOBAL__N_18offset_tEEE10hipError_tPvRmT1_PNSt15iterator_traitsISL_E10value_typeET2_T3_PNSM_ISR_E10value_typeET4_jRbjT5_SX_jjP12ihipStream_tbEUlT_E0_NS1_11comp_targetILNS1_3genE8ELNS1_11target_archE1030ELNS1_3gpuE2ELNS1_3repE0EEENS1_60segmented_radix_sort_warp_sort_medium_config_static_selectorELNS0_4arch9wavefront6targetE0EEEvSL_,comdat
.Lfunc_end1748:
	.size	_ZN7rocprim17ROCPRIM_400000_NS6detail17trampoline_kernelINS0_14default_configENS1_36segmented_radix_sort_config_selectorI6__halflEEZNS1_25segmented_radix_sort_implIS3_Lb1EPKS5_PS5_PKlPlN2at6native12_GLOBAL__N_18offset_tEEE10hipError_tPvRmT1_PNSt15iterator_traitsISL_E10value_typeET2_T3_PNSM_ISR_E10value_typeET4_jRbjT5_SX_jjP12ihipStream_tbEUlT_E0_NS1_11comp_targetILNS1_3genE8ELNS1_11target_archE1030ELNS1_3gpuE2ELNS1_3repE0EEENS1_60segmented_radix_sort_warp_sort_medium_config_static_selectorELNS0_4arch9wavefront6targetE0EEEvSL_, .Lfunc_end1748-_ZN7rocprim17ROCPRIM_400000_NS6detail17trampoline_kernelINS0_14default_configENS1_36segmented_radix_sort_config_selectorI6__halflEEZNS1_25segmented_radix_sort_implIS3_Lb1EPKS5_PS5_PKlPlN2at6native12_GLOBAL__N_18offset_tEEE10hipError_tPvRmT1_PNSt15iterator_traitsISL_E10value_typeET2_T3_PNSM_ISR_E10value_typeET4_jRbjT5_SX_jjP12ihipStream_tbEUlT_E0_NS1_11comp_targetILNS1_3genE8ELNS1_11target_archE1030ELNS1_3gpuE2ELNS1_3repE0EEENS1_60segmented_radix_sort_warp_sort_medium_config_static_selectorELNS0_4arch9wavefront6targetE0EEEvSL_
                                        ; -- End function
	.set _ZN7rocprim17ROCPRIM_400000_NS6detail17trampoline_kernelINS0_14default_configENS1_36segmented_radix_sort_config_selectorI6__halflEEZNS1_25segmented_radix_sort_implIS3_Lb1EPKS5_PS5_PKlPlN2at6native12_GLOBAL__N_18offset_tEEE10hipError_tPvRmT1_PNSt15iterator_traitsISL_E10value_typeET2_T3_PNSM_ISR_E10value_typeET4_jRbjT5_SX_jjP12ihipStream_tbEUlT_E0_NS1_11comp_targetILNS1_3genE8ELNS1_11target_archE1030ELNS1_3gpuE2ELNS1_3repE0EEENS1_60segmented_radix_sort_warp_sort_medium_config_static_selectorELNS0_4arch9wavefront6targetE0EEEvSL_.num_vgpr, max(45, .L_ZN7rocprim17ROCPRIM_400000_NS6detail26segmented_warp_sort_helperINS1_20WarpSortHelperConfigILj16ELj8ELj256EEE6__halflLi256ELb1EvE4sortIPKS5_PS5_PKlPlEEvT_T0_T1_T2_jjjjRNS6_12storage_typeE.num_vgpr)
	.set _ZN7rocprim17ROCPRIM_400000_NS6detail17trampoline_kernelINS0_14default_configENS1_36segmented_radix_sort_config_selectorI6__halflEEZNS1_25segmented_radix_sort_implIS3_Lb1EPKS5_PS5_PKlPlN2at6native12_GLOBAL__N_18offset_tEEE10hipError_tPvRmT1_PNSt15iterator_traitsISL_E10value_typeET2_T3_PNSM_ISR_E10value_typeET4_jRbjT5_SX_jjP12ihipStream_tbEUlT_E0_NS1_11comp_targetILNS1_3genE8ELNS1_11target_archE1030ELNS1_3gpuE2ELNS1_3repE0EEENS1_60segmented_radix_sort_warp_sort_medium_config_static_selectorELNS0_4arch9wavefront6targetE0EEEvSL_.num_agpr, max(0, .L_ZN7rocprim17ROCPRIM_400000_NS6detail26segmented_warp_sort_helperINS1_20WarpSortHelperConfigILj16ELj8ELj256EEE6__halflLi256ELb1EvE4sortIPKS5_PS5_PKlPlEEvT_T0_T1_T2_jjjjRNS6_12storage_typeE.num_agpr)
	.set _ZN7rocprim17ROCPRIM_400000_NS6detail17trampoline_kernelINS0_14default_configENS1_36segmented_radix_sort_config_selectorI6__halflEEZNS1_25segmented_radix_sort_implIS3_Lb1EPKS5_PS5_PKlPlN2at6native12_GLOBAL__N_18offset_tEEE10hipError_tPvRmT1_PNSt15iterator_traitsISL_E10value_typeET2_T3_PNSM_ISR_E10value_typeET4_jRbjT5_SX_jjP12ihipStream_tbEUlT_E0_NS1_11comp_targetILNS1_3genE8ELNS1_11target_archE1030ELNS1_3gpuE2ELNS1_3repE0EEENS1_60segmented_radix_sort_warp_sort_medium_config_static_selectorELNS0_4arch9wavefront6targetE0EEEvSL_.numbered_sgpr, max(44, .L_ZN7rocprim17ROCPRIM_400000_NS6detail26segmented_warp_sort_helperINS1_20WarpSortHelperConfigILj16ELj8ELj256EEE6__halflLi256ELb1EvE4sortIPKS5_PS5_PKlPlEEvT_T0_T1_T2_jjjjRNS6_12storage_typeE.numbered_sgpr)
	.set _ZN7rocprim17ROCPRIM_400000_NS6detail17trampoline_kernelINS0_14default_configENS1_36segmented_radix_sort_config_selectorI6__halflEEZNS1_25segmented_radix_sort_implIS3_Lb1EPKS5_PS5_PKlPlN2at6native12_GLOBAL__N_18offset_tEEE10hipError_tPvRmT1_PNSt15iterator_traitsISL_E10value_typeET2_T3_PNSM_ISR_E10value_typeET4_jRbjT5_SX_jjP12ihipStream_tbEUlT_E0_NS1_11comp_targetILNS1_3genE8ELNS1_11target_archE1030ELNS1_3gpuE2ELNS1_3repE0EEENS1_60segmented_radix_sort_warp_sort_medium_config_static_selectorELNS0_4arch9wavefront6targetE0EEEvSL_.num_named_barrier, max(0, .L_ZN7rocprim17ROCPRIM_400000_NS6detail26segmented_warp_sort_helperINS1_20WarpSortHelperConfigILj16ELj8ELj256EEE6__halflLi256ELb1EvE4sortIPKS5_PS5_PKlPlEEvT_T0_T1_T2_jjjjRNS6_12storage_typeE.num_named_barrier)
	.set _ZN7rocprim17ROCPRIM_400000_NS6detail17trampoline_kernelINS0_14default_configENS1_36segmented_radix_sort_config_selectorI6__halflEEZNS1_25segmented_radix_sort_implIS3_Lb1EPKS5_PS5_PKlPlN2at6native12_GLOBAL__N_18offset_tEEE10hipError_tPvRmT1_PNSt15iterator_traitsISL_E10value_typeET2_T3_PNSM_ISR_E10value_typeET4_jRbjT5_SX_jjP12ihipStream_tbEUlT_E0_NS1_11comp_targetILNS1_3genE8ELNS1_11target_archE1030ELNS1_3gpuE2ELNS1_3repE0EEENS1_60segmented_radix_sort_warp_sort_medium_config_static_selectorELNS0_4arch9wavefront6targetE0EEEvSL_.private_seg_size, 0+max(.L_ZN7rocprim17ROCPRIM_400000_NS6detail26segmented_warp_sort_helperINS1_20WarpSortHelperConfigILj16ELj8ELj256EEE6__halflLi256ELb1EvE4sortIPKS5_PS5_PKlPlEEvT_T0_T1_T2_jjjjRNS6_12storage_typeE.private_seg_size)
	.set _ZN7rocprim17ROCPRIM_400000_NS6detail17trampoline_kernelINS0_14default_configENS1_36segmented_radix_sort_config_selectorI6__halflEEZNS1_25segmented_radix_sort_implIS3_Lb1EPKS5_PS5_PKlPlN2at6native12_GLOBAL__N_18offset_tEEE10hipError_tPvRmT1_PNSt15iterator_traitsISL_E10value_typeET2_T3_PNSM_ISR_E10value_typeET4_jRbjT5_SX_jjP12ihipStream_tbEUlT_E0_NS1_11comp_targetILNS1_3genE8ELNS1_11target_archE1030ELNS1_3gpuE2ELNS1_3repE0EEENS1_60segmented_radix_sort_warp_sort_medium_config_static_selectorELNS0_4arch9wavefront6targetE0EEEvSL_.uses_vcc, or(1, .L_ZN7rocprim17ROCPRIM_400000_NS6detail26segmented_warp_sort_helperINS1_20WarpSortHelperConfigILj16ELj8ELj256EEE6__halflLi256ELb1EvE4sortIPKS5_PS5_PKlPlEEvT_T0_T1_T2_jjjjRNS6_12storage_typeE.uses_vcc)
	.set _ZN7rocprim17ROCPRIM_400000_NS6detail17trampoline_kernelINS0_14default_configENS1_36segmented_radix_sort_config_selectorI6__halflEEZNS1_25segmented_radix_sort_implIS3_Lb1EPKS5_PS5_PKlPlN2at6native12_GLOBAL__N_18offset_tEEE10hipError_tPvRmT1_PNSt15iterator_traitsISL_E10value_typeET2_T3_PNSM_ISR_E10value_typeET4_jRbjT5_SX_jjP12ihipStream_tbEUlT_E0_NS1_11comp_targetILNS1_3genE8ELNS1_11target_archE1030ELNS1_3gpuE2ELNS1_3repE0EEENS1_60segmented_radix_sort_warp_sort_medium_config_static_selectorELNS0_4arch9wavefront6targetE0EEEvSL_.uses_flat_scratch, or(0, .L_ZN7rocprim17ROCPRIM_400000_NS6detail26segmented_warp_sort_helperINS1_20WarpSortHelperConfigILj16ELj8ELj256EEE6__halflLi256ELb1EvE4sortIPKS5_PS5_PKlPlEEvT_T0_T1_T2_jjjjRNS6_12storage_typeE.uses_flat_scratch)
	.set _ZN7rocprim17ROCPRIM_400000_NS6detail17trampoline_kernelINS0_14default_configENS1_36segmented_radix_sort_config_selectorI6__halflEEZNS1_25segmented_radix_sort_implIS3_Lb1EPKS5_PS5_PKlPlN2at6native12_GLOBAL__N_18offset_tEEE10hipError_tPvRmT1_PNSt15iterator_traitsISL_E10value_typeET2_T3_PNSM_ISR_E10value_typeET4_jRbjT5_SX_jjP12ihipStream_tbEUlT_E0_NS1_11comp_targetILNS1_3genE8ELNS1_11target_archE1030ELNS1_3gpuE2ELNS1_3repE0EEENS1_60segmented_radix_sort_warp_sort_medium_config_static_selectorELNS0_4arch9wavefront6targetE0EEEvSL_.has_dyn_sized_stack, or(0, .L_ZN7rocprim17ROCPRIM_400000_NS6detail26segmented_warp_sort_helperINS1_20WarpSortHelperConfigILj16ELj8ELj256EEE6__halflLi256ELb1EvE4sortIPKS5_PS5_PKlPlEEvT_T0_T1_T2_jjjjRNS6_12storage_typeE.has_dyn_sized_stack)
	.set _ZN7rocprim17ROCPRIM_400000_NS6detail17trampoline_kernelINS0_14default_configENS1_36segmented_radix_sort_config_selectorI6__halflEEZNS1_25segmented_radix_sort_implIS3_Lb1EPKS5_PS5_PKlPlN2at6native12_GLOBAL__N_18offset_tEEE10hipError_tPvRmT1_PNSt15iterator_traitsISL_E10value_typeET2_T3_PNSM_ISR_E10value_typeET4_jRbjT5_SX_jjP12ihipStream_tbEUlT_E0_NS1_11comp_targetILNS1_3genE8ELNS1_11target_archE1030ELNS1_3gpuE2ELNS1_3repE0EEENS1_60segmented_radix_sort_warp_sort_medium_config_static_selectorELNS0_4arch9wavefront6targetE0EEEvSL_.has_recursion, or(0, .L_ZN7rocprim17ROCPRIM_400000_NS6detail26segmented_warp_sort_helperINS1_20WarpSortHelperConfigILj16ELj8ELj256EEE6__halflLi256ELb1EvE4sortIPKS5_PS5_PKlPlEEvT_T0_T1_T2_jjjjRNS6_12storage_typeE.has_recursion)
	.set _ZN7rocprim17ROCPRIM_400000_NS6detail17trampoline_kernelINS0_14default_configENS1_36segmented_radix_sort_config_selectorI6__halflEEZNS1_25segmented_radix_sort_implIS3_Lb1EPKS5_PS5_PKlPlN2at6native12_GLOBAL__N_18offset_tEEE10hipError_tPvRmT1_PNSt15iterator_traitsISL_E10value_typeET2_T3_PNSM_ISR_E10value_typeET4_jRbjT5_SX_jjP12ihipStream_tbEUlT_E0_NS1_11comp_targetILNS1_3genE8ELNS1_11target_archE1030ELNS1_3gpuE2ELNS1_3repE0EEENS1_60segmented_radix_sort_warp_sort_medium_config_static_selectorELNS0_4arch9wavefront6targetE0EEEvSL_.has_indirect_call, or(0, .L_ZN7rocprim17ROCPRIM_400000_NS6detail26segmented_warp_sort_helperINS1_20WarpSortHelperConfigILj16ELj8ELj256EEE6__halflLi256ELb1EvE4sortIPKS5_PS5_PKlPlEEvT_T0_T1_T2_jjjjRNS6_12storage_typeE.has_indirect_call)
	.section	.AMDGPU.csdata,"",@progbits
; Kernel info:
; codeLenInByte = 476
; TotalNumSgprs: 46
; NumVgprs: 70
; ScratchSize: 0
; MemoryBound: 0
; FloatMode: 240
; IeeeMode: 1
; LDSByteSize: 20480 bytes/workgroup (compile time only)
; SGPRBlocks: 0
; VGPRBlocks: 8
; NumSGPRsForWavesPerEU: 46
; NumVGPRsForWavesPerEU: 70
; Occupancy: 12
; WaveLimiterHint : 0
; COMPUTE_PGM_RSRC2:SCRATCH_EN: 0
; COMPUTE_PGM_RSRC2:USER_SGPR: 6
; COMPUTE_PGM_RSRC2:TRAP_HANDLER: 0
; COMPUTE_PGM_RSRC2:TGID_X_EN: 1
; COMPUTE_PGM_RSRC2:TGID_Y_EN: 1
; COMPUTE_PGM_RSRC2:TGID_Z_EN: 0
; COMPUTE_PGM_RSRC2:TIDIG_COMP_CNT: 2
	.section	.text._ZN7rocprim17ROCPRIM_400000_NS6detail17trampoline_kernelINS0_14default_configENS1_36segmented_radix_sort_config_selectorI6__halflEEZNS1_25segmented_radix_sort_implIS3_Lb1EPKS5_PS5_PKlPlN2at6native12_GLOBAL__N_18offset_tEEE10hipError_tPvRmT1_PNSt15iterator_traitsISL_E10value_typeET2_T3_PNSM_ISR_E10value_typeET4_jRbjT5_SX_jjP12ihipStream_tbEUlT_E1_NS1_11comp_targetILNS1_3genE0ELNS1_11target_archE4294967295ELNS1_3gpuE0ELNS1_3repE0EEENS1_59segmented_radix_sort_warp_sort_small_config_static_selectorELNS0_4arch9wavefront6targetE0EEEvSL_,"axG",@progbits,_ZN7rocprim17ROCPRIM_400000_NS6detail17trampoline_kernelINS0_14default_configENS1_36segmented_radix_sort_config_selectorI6__halflEEZNS1_25segmented_radix_sort_implIS3_Lb1EPKS5_PS5_PKlPlN2at6native12_GLOBAL__N_18offset_tEEE10hipError_tPvRmT1_PNSt15iterator_traitsISL_E10value_typeET2_T3_PNSM_ISR_E10value_typeET4_jRbjT5_SX_jjP12ihipStream_tbEUlT_E1_NS1_11comp_targetILNS1_3genE0ELNS1_11target_archE4294967295ELNS1_3gpuE0ELNS1_3repE0EEENS1_59segmented_radix_sort_warp_sort_small_config_static_selectorELNS0_4arch9wavefront6targetE0EEEvSL_,comdat
	.globl	_ZN7rocprim17ROCPRIM_400000_NS6detail17trampoline_kernelINS0_14default_configENS1_36segmented_radix_sort_config_selectorI6__halflEEZNS1_25segmented_radix_sort_implIS3_Lb1EPKS5_PS5_PKlPlN2at6native12_GLOBAL__N_18offset_tEEE10hipError_tPvRmT1_PNSt15iterator_traitsISL_E10value_typeET2_T3_PNSM_ISR_E10value_typeET4_jRbjT5_SX_jjP12ihipStream_tbEUlT_E1_NS1_11comp_targetILNS1_3genE0ELNS1_11target_archE4294967295ELNS1_3gpuE0ELNS1_3repE0EEENS1_59segmented_radix_sort_warp_sort_small_config_static_selectorELNS0_4arch9wavefront6targetE0EEEvSL_ ; -- Begin function _ZN7rocprim17ROCPRIM_400000_NS6detail17trampoline_kernelINS0_14default_configENS1_36segmented_radix_sort_config_selectorI6__halflEEZNS1_25segmented_radix_sort_implIS3_Lb1EPKS5_PS5_PKlPlN2at6native12_GLOBAL__N_18offset_tEEE10hipError_tPvRmT1_PNSt15iterator_traitsISL_E10value_typeET2_T3_PNSM_ISR_E10value_typeET4_jRbjT5_SX_jjP12ihipStream_tbEUlT_E1_NS1_11comp_targetILNS1_3genE0ELNS1_11target_archE4294967295ELNS1_3gpuE0ELNS1_3repE0EEENS1_59segmented_radix_sort_warp_sort_small_config_static_selectorELNS0_4arch9wavefront6targetE0EEEvSL_
	.p2align	8
	.type	_ZN7rocprim17ROCPRIM_400000_NS6detail17trampoline_kernelINS0_14default_configENS1_36segmented_radix_sort_config_selectorI6__halflEEZNS1_25segmented_radix_sort_implIS3_Lb1EPKS5_PS5_PKlPlN2at6native12_GLOBAL__N_18offset_tEEE10hipError_tPvRmT1_PNSt15iterator_traitsISL_E10value_typeET2_T3_PNSM_ISR_E10value_typeET4_jRbjT5_SX_jjP12ihipStream_tbEUlT_E1_NS1_11comp_targetILNS1_3genE0ELNS1_11target_archE4294967295ELNS1_3gpuE0ELNS1_3repE0EEENS1_59segmented_radix_sort_warp_sort_small_config_static_selectorELNS0_4arch9wavefront6targetE0EEEvSL_,@function
_ZN7rocprim17ROCPRIM_400000_NS6detail17trampoline_kernelINS0_14default_configENS1_36segmented_radix_sort_config_selectorI6__halflEEZNS1_25segmented_radix_sort_implIS3_Lb1EPKS5_PS5_PKlPlN2at6native12_GLOBAL__N_18offset_tEEE10hipError_tPvRmT1_PNSt15iterator_traitsISL_E10value_typeET2_T3_PNSM_ISR_E10value_typeET4_jRbjT5_SX_jjP12ihipStream_tbEUlT_E1_NS1_11comp_targetILNS1_3genE0ELNS1_11target_archE4294967295ELNS1_3gpuE0ELNS1_3repE0EEENS1_59segmented_radix_sort_warp_sort_small_config_static_selectorELNS0_4arch9wavefront6targetE0EEEvSL_: ; @_ZN7rocprim17ROCPRIM_400000_NS6detail17trampoline_kernelINS0_14default_configENS1_36segmented_radix_sort_config_selectorI6__halflEEZNS1_25segmented_radix_sort_implIS3_Lb1EPKS5_PS5_PKlPlN2at6native12_GLOBAL__N_18offset_tEEE10hipError_tPvRmT1_PNSt15iterator_traitsISL_E10value_typeET2_T3_PNSM_ISR_E10value_typeET4_jRbjT5_SX_jjP12ihipStream_tbEUlT_E1_NS1_11comp_targetILNS1_3genE0ELNS1_11target_archE4294967295ELNS1_3gpuE0ELNS1_3repE0EEENS1_59segmented_radix_sort_warp_sort_small_config_static_selectorELNS0_4arch9wavefront6targetE0EEEvSL_
; %bb.0:
	.section	.rodata,"a",@progbits
	.p2align	6, 0x0
	.amdhsa_kernel _ZN7rocprim17ROCPRIM_400000_NS6detail17trampoline_kernelINS0_14default_configENS1_36segmented_radix_sort_config_selectorI6__halflEEZNS1_25segmented_radix_sort_implIS3_Lb1EPKS5_PS5_PKlPlN2at6native12_GLOBAL__N_18offset_tEEE10hipError_tPvRmT1_PNSt15iterator_traitsISL_E10value_typeET2_T3_PNSM_ISR_E10value_typeET4_jRbjT5_SX_jjP12ihipStream_tbEUlT_E1_NS1_11comp_targetILNS1_3genE0ELNS1_11target_archE4294967295ELNS1_3gpuE0ELNS1_3repE0EEENS1_59segmented_radix_sort_warp_sort_small_config_static_selectorELNS0_4arch9wavefront6targetE0EEEvSL_
		.amdhsa_group_segment_fixed_size 0
		.amdhsa_private_segment_fixed_size 0
		.amdhsa_kernarg_size 88
		.amdhsa_user_sgpr_count 6
		.amdhsa_user_sgpr_private_segment_buffer 1
		.amdhsa_user_sgpr_dispatch_ptr 0
		.amdhsa_user_sgpr_queue_ptr 0
		.amdhsa_user_sgpr_kernarg_segment_ptr 1
		.amdhsa_user_sgpr_dispatch_id 0
		.amdhsa_user_sgpr_flat_scratch_init 0
		.amdhsa_user_sgpr_private_segment_size 0
		.amdhsa_wavefront_size32 1
		.amdhsa_uses_dynamic_stack 0
		.amdhsa_system_sgpr_private_segment_wavefront_offset 0
		.amdhsa_system_sgpr_workgroup_id_x 1
		.amdhsa_system_sgpr_workgroup_id_y 0
		.amdhsa_system_sgpr_workgroup_id_z 0
		.amdhsa_system_sgpr_workgroup_info 0
		.amdhsa_system_vgpr_workitem_id 0
		.amdhsa_next_free_vgpr 1
		.amdhsa_next_free_sgpr 1
		.amdhsa_reserve_vcc 0
		.amdhsa_reserve_flat_scratch 0
		.amdhsa_float_round_mode_32 0
		.amdhsa_float_round_mode_16_64 0
		.amdhsa_float_denorm_mode_32 3
		.amdhsa_float_denorm_mode_16_64 3
		.amdhsa_dx10_clamp 1
		.amdhsa_ieee_mode 1
		.amdhsa_fp16_overflow 0
		.amdhsa_workgroup_processor_mode 1
		.amdhsa_memory_ordered 1
		.amdhsa_forward_progress 1
		.amdhsa_shared_vgpr_count 0
		.amdhsa_exception_fp_ieee_invalid_op 0
		.amdhsa_exception_fp_denorm_src 0
		.amdhsa_exception_fp_ieee_div_zero 0
		.amdhsa_exception_fp_ieee_overflow 0
		.amdhsa_exception_fp_ieee_underflow 0
		.amdhsa_exception_fp_ieee_inexact 0
		.amdhsa_exception_int_div_zero 0
	.end_amdhsa_kernel
	.section	.text._ZN7rocprim17ROCPRIM_400000_NS6detail17trampoline_kernelINS0_14default_configENS1_36segmented_radix_sort_config_selectorI6__halflEEZNS1_25segmented_radix_sort_implIS3_Lb1EPKS5_PS5_PKlPlN2at6native12_GLOBAL__N_18offset_tEEE10hipError_tPvRmT1_PNSt15iterator_traitsISL_E10value_typeET2_T3_PNSM_ISR_E10value_typeET4_jRbjT5_SX_jjP12ihipStream_tbEUlT_E1_NS1_11comp_targetILNS1_3genE0ELNS1_11target_archE4294967295ELNS1_3gpuE0ELNS1_3repE0EEENS1_59segmented_radix_sort_warp_sort_small_config_static_selectorELNS0_4arch9wavefront6targetE0EEEvSL_,"axG",@progbits,_ZN7rocprim17ROCPRIM_400000_NS6detail17trampoline_kernelINS0_14default_configENS1_36segmented_radix_sort_config_selectorI6__halflEEZNS1_25segmented_radix_sort_implIS3_Lb1EPKS5_PS5_PKlPlN2at6native12_GLOBAL__N_18offset_tEEE10hipError_tPvRmT1_PNSt15iterator_traitsISL_E10value_typeET2_T3_PNSM_ISR_E10value_typeET4_jRbjT5_SX_jjP12ihipStream_tbEUlT_E1_NS1_11comp_targetILNS1_3genE0ELNS1_11target_archE4294967295ELNS1_3gpuE0ELNS1_3repE0EEENS1_59segmented_radix_sort_warp_sort_small_config_static_selectorELNS0_4arch9wavefront6targetE0EEEvSL_,comdat
.Lfunc_end1749:
	.size	_ZN7rocprim17ROCPRIM_400000_NS6detail17trampoline_kernelINS0_14default_configENS1_36segmented_radix_sort_config_selectorI6__halflEEZNS1_25segmented_radix_sort_implIS3_Lb1EPKS5_PS5_PKlPlN2at6native12_GLOBAL__N_18offset_tEEE10hipError_tPvRmT1_PNSt15iterator_traitsISL_E10value_typeET2_T3_PNSM_ISR_E10value_typeET4_jRbjT5_SX_jjP12ihipStream_tbEUlT_E1_NS1_11comp_targetILNS1_3genE0ELNS1_11target_archE4294967295ELNS1_3gpuE0ELNS1_3repE0EEENS1_59segmented_radix_sort_warp_sort_small_config_static_selectorELNS0_4arch9wavefront6targetE0EEEvSL_, .Lfunc_end1749-_ZN7rocprim17ROCPRIM_400000_NS6detail17trampoline_kernelINS0_14default_configENS1_36segmented_radix_sort_config_selectorI6__halflEEZNS1_25segmented_radix_sort_implIS3_Lb1EPKS5_PS5_PKlPlN2at6native12_GLOBAL__N_18offset_tEEE10hipError_tPvRmT1_PNSt15iterator_traitsISL_E10value_typeET2_T3_PNSM_ISR_E10value_typeET4_jRbjT5_SX_jjP12ihipStream_tbEUlT_E1_NS1_11comp_targetILNS1_3genE0ELNS1_11target_archE4294967295ELNS1_3gpuE0ELNS1_3repE0EEENS1_59segmented_radix_sort_warp_sort_small_config_static_selectorELNS0_4arch9wavefront6targetE0EEEvSL_
                                        ; -- End function
	.set _ZN7rocprim17ROCPRIM_400000_NS6detail17trampoline_kernelINS0_14default_configENS1_36segmented_radix_sort_config_selectorI6__halflEEZNS1_25segmented_radix_sort_implIS3_Lb1EPKS5_PS5_PKlPlN2at6native12_GLOBAL__N_18offset_tEEE10hipError_tPvRmT1_PNSt15iterator_traitsISL_E10value_typeET2_T3_PNSM_ISR_E10value_typeET4_jRbjT5_SX_jjP12ihipStream_tbEUlT_E1_NS1_11comp_targetILNS1_3genE0ELNS1_11target_archE4294967295ELNS1_3gpuE0ELNS1_3repE0EEENS1_59segmented_radix_sort_warp_sort_small_config_static_selectorELNS0_4arch9wavefront6targetE0EEEvSL_.num_vgpr, 0
	.set _ZN7rocprim17ROCPRIM_400000_NS6detail17trampoline_kernelINS0_14default_configENS1_36segmented_radix_sort_config_selectorI6__halflEEZNS1_25segmented_radix_sort_implIS3_Lb1EPKS5_PS5_PKlPlN2at6native12_GLOBAL__N_18offset_tEEE10hipError_tPvRmT1_PNSt15iterator_traitsISL_E10value_typeET2_T3_PNSM_ISR_E10value_typeET4_jRbjT5_SX_jjP12ihipStream_tbEUlT_E1_NS1_11comp_targetILNS1_3genE0ELNS1_11target_archE4294967295ELNS1_3gpuE0ELNS1_3repE0EEENS1_59segmented_radix_sort_warp_sort_small_config_static_selectorELNS0_4arch9wavefront6targetE0EEEvSL_.num_agpr, 0
	.set _ZN7rocprim17ROCPRIM_400000_NS6detail17trampoline_kernelINS0_14default_configENS1_36segmented_radix_sort_config_selectorI6__halflEEZNS1_25segmented_radix_sort_implIS3_Lb1EPKS5_PS5_PKlPlN2at6native12_GLOBAL__N_18offset_tEEE10hipError_tPvRmT1_PNSt15iterator_traitsISL_E10value_typeET2_T3_PNSM_ISR_E10value_typeET4_jRbjT5_SX_jjP12ihipStream_tbEUlT_E1_NS1_11comp_targetILNS1_3genE0ELNS1_11target_archE4294967295ELNS1_3gpuE0ELNS1_3repE0EEENS1_59segmented_radix_sort_warp_sort_small_config_static_selectorELNS0_4arch9wavefront6targetE0EEEvSL_.numbered_sgpr, 0
	.set _ZN7rocprim17ROCPRIM_400000_NS6detail17trampoline_kernelINS0_14default_configENS1_36segmented_radix_sort_config_selectorI6__halflEEZNS1_25segmented_radix_sort_implIS3_Lb1EPKS5_PS5_PKlPlN2at6native12_GLOBAL__N_18offset_tEEE10hipError_tPvRmT1_PNSt15iterator_traitsISL_E10value_typeET2_T3_PNSM_ISR_E10value_typeET4_jRbjT5_SX_jjP12ihipStream_tbEUlT_E1_NS1_11comp_targetILNS1_3genE0ELNS1_11target_archE4294967295ELNS1_3gpuE0ELNS1_3repE0EEENS1_59segmented_radix_sort_warp_sort_small_config_static_selectorELNS0_4arch9wavefront6targetE0EEEvSL_.num_named_barrier, 0
	.set _ZN7rocprim17ROCPRIM_400000_NS6detail17trampoline_kernelINS0_14default_configENS1_36segmented_radix_sort_config_selectorI6__halflEEZNS1_25segmented_radix_sort_implIS3_Lb1EPKS5_PS5_PKlPlN2at6native12_GLOBAL__N_18offset_tEEE10hipError_tPvRmT1_PNSt15iterator_traitsISL_E10value_typeET2_T3_PNSM_ISR_E10value_typeET4_jRbjT5_SX_jjP12ihipStream_tbEUlT_E1_NS1_11comp_targetILNS1_3genE0ELNS1_11target_archE4294967295ELNS1_3gpuE0ELNS1_3repE0EEENS1_59segmented_radix_sort_warp_sort_small_config_static_selectorELNS0_4arch9wavefront6targetE0EEEvSL_.private_seg_size, 0
	.set _ZN7rocprim17ROCPRIM_400000_NS6detail17trampoline_kernelINS0_14default_configENS1_36segmented_radix_sort_config_selectorI6__halflEEZNS1_25segmented_radix_sort_implIS3_Lb1EPKS5_PS5_PKlPlN2at6native12_GLOBAL__N_18offset_tEEE10hipError_tPvRmT1_PNSt15iterator_traitsISL_E10value_typeET2_T3_PNSM_ISR_E10value_typeET4_jRbjT5_SX_jjP12ihipStream_tbEUlT_E1_NS1_11comp_targetILNS1_3genE0ELNS1_11target_archE4294967295ELNS1_3gpuE0ELNS1_3repE0EEENS1_59segmented_radix_sort_warp_sort_small_config_static_selectorELNS0_4arch9wavefront6targetE0EEEvSL_.uses_vcc, 0
	.set _ZN7rocprim17ROCPRIM_400000_NS6detail17trampoline_kernelINS0_14default_configENS1_36segmented_radix_sort_config_selectorI6__halflEEZNS1_25segmented_radix_sort_implIS3_Lb1EPKS5_PS5_PKlPlN2at6native12_GLOBAL__N_18offset_tEEE10hipError_tPvRmT1_PNSt15iterator_traitsISL_E10value_typeET2_T3_PNSM_ISR_E10value_typeET4_jRbjT5_SX_jjP12ihipStream_tbEUlT_E1_NS1_11comp_targetILNS1_3genE0ELNS1_11target_archE4294967295ELNS1_3gpuE0ELNS1_3repE0EEENS1_59segmented_radix_sort_warp_sort_small_config_static_selectorELNS0_4arch9wavefront6targetE0EEEvSL_.uses_flat_scratch, 0
	.set _ZN7rocprim17ROCPRIM_400000_NS6detail17trampoline_kernelINS0_14default_configENS1_36segmented_radix_sort_config_selectorI6__halflEEZNS1_25segmented_radix_sort_implIS3_Lb1EPKS5_PS5_PKlPlN2at6native12_GLOBAL__N_18offset_tEEE10hipError_tPvRmT1_PNSt15iterator_traitsISL_E10value_typeET2_T3_PNSM_ISR_E10value_typeET4_jRbjT5_SX_jjP12ihipStream_tbEUlT_E1_NS1_11comp_targetILNS1_3genE0ELNS1_11target_archE4294967295ELNS1_3gpuE0ELNS1_3repE0EEENS1_59segmented_radix_sort_warp_sort_small_config_static_selectorELNS0_4arch9wavefront6targetE0EEEvSL_.has_dyn_sized_stack, 0
	.set _ZN7rocprim17ROCPRIM_400000_NS6detail17trampoline_kernelINS0_14default_configENS1_36segmented_radix_sort_config_selectorI6__halflEEZNS1_25segmented_radix_sort_implIS3_Lb1EPKS5_PS5_PKlPlN2at6native12_GLOBAL__N_18offset_tEEE10hipError_tPvRmT1_PNSt15iterator_traitsISL_E10value_typeET2_T3_PNSM_ISR_E10value_typeET4_jRbjT5_SX_jjP12ihipStream_tbEUlT_E1_NS1_11comp_targetILNS1_3genE0ELNS1_11target_archE4294967295ELNS1_3gpuE0ELNS1_3repE0EEENS1_59segmented_radix_sort_warp_sort_small_config_static_selectorELNS0_4arch9wavefront6targetE0EEEvSL_.has_recursion, 0
	.set _ZN7rocprim17ROCPRIM_400000_NS6detail17trampoline_kernelINS0_14default_configENS1_36segmented_radix_sort_config_selectorI6__halflEEZNS1_25segmented_radix_sort_implIS3_Lb1EPKS5_PS5_PKlPlN2at6native12_GLOBAL__N_18offset_tEEE10hipError_tPvRmT1_PNSt15iterator_traitsISL_E10value_typeET2_T3_PNSM_ISR_E10value_typeET4_jRbjT5_SX_jjP12ihipStream_tbEUlT_E1_NS1_11comp_targetILNS1_3genE0ELNS1_11target_archE4294967295ELNS1_3gpuE0ELNS1_3repE0EEENS1_59segmented_radix_sort_warp_sort_small_config_static_selectorELNS0_4arch9wavefront6targetE0EEEvSL_.has_indirect_call, 0
	.section	.AMDGPU.csdata,"",@progbits
; Kernel info:
; codeLenInByte = 0
; TotalNumSgprs: 0
; NumVgprs: 0
; ScratchSize: 0
; MemoryBound: 0
; FloatMode: 240
; IeeeMode: 1
; LDSByteSize: 0 bytes/workgroup (compile time only)
; SGPRBlocks: 0
; VGPRBlocks: 0
; NumSGPRsForWavesPerEU: 1
; NumVGPRsForWavesPerEU: 1
; Occupancy: 16
; WaveLimiterHint : 0
; COMPUTE_PGM_RSRC2:SCRATCH_EN: 0
; COMPUTE_PGM_RSRC2:USER_SGPR: 6
; COMPUTE_PGM_RSRC2:TRAP_HANDLER: 0
; COMPUTE_PGM_RSRC2:TGID_X_EN: 1
; COMPUTE_PGM_RSRC2:TGID_Y_EN: 0
; COMPUTE_PGM_RSRC2:TGID_Z_EN: 0
; COMPUTE_PGM_RSRC2:TIDIG_COMP_CNT: 0
	.section	.text._ZN7rocprim17ROCPRIM_400000_NS6detail17trampoline_kernelINS0_14default_configENS1_36segmented_radix_sort_config_selectorI6__halflEEZNS1_25segmented_radix_sort_implIS3_Lb1EPKS5_PS5_PKlPlN2at6native12_GLOBAL__N_18offset_tEEE10hipError_tPvRmT1_PNSt15iterator_traitsISL_E10value_typeET2_T3_PNSM_ISR_E10value_typeET4_jRbjT5_SX_jjP12ihipStream_tbEUlT_E1_NS1_11comp_targetILNS1_3genE5ELNS1_11target_archE942ELNS1_3gpuE9ELNS1_3repE0EEENS1_59segmented_radix_sort_warp_sort_small_config_static_selectorELNS0_4arch9wavefront6targetE0EEEvSL_,"axG",@progbits,_ZN7rocprim17ROCPRIM_400000_NS6detail17trampoline_kernelINS0_14default_configENS1_36segmented_radix_sort_config_selectorI6__halflEEZNS1_25segmented_radix_sort_implIS3_Lb1EPKS5_PS5_PKlPlN2at6native12_GLOBAL__N_18offset_tEEE10hipError_tPvRmT1_PNSt15iterator_traitsISL_E10value_typeET2_T3_PNSM_ISR_E10value_typeET4_jRbjT5_SX_jjP12ihipStream_tbEUlT_E1_NS1_11comp_targetILNS1_3genE5ELNS1_11target_archE942ELNS1_3gpuE9ELNS1_3repE0EEENS1_59segmented_radix_sort_warp_sort_small_config_static_selectorELNS0_4arch9wavefront6targetE0EEEvSL_,comdat
	.globl	_ZN7rocprim17ROCPRIM_400000_NS6detail17trampoline_kernelINS0_14default_configENS1_36segmented_radix_sort_config_selectorI6__halflEEZNS1_25segmented_radix_sort_implIS3_Lb1EPKS5_PS5_PKlPlN2at6native12_GLOBAL__N_18offset_tEEE10hipError_tPvRmT1_PNSt15iterator_traitsISL_E10value_typeET2_T3_PNSM_ISR_E10value_typeET4_jRbjT5_SX_jjP12ihipStream_tbEUlT_E1_NS1_11comp_targetILNS1_3genE5ELNS1_11target_archE942ELNS1_3gpuE9ELNS1_3repE0EEENS1_59segmented_radix_sort_warp_sort_small_config_static_selectorELNS0_4arch9wavefront6targetE0EEEvSL_ ; -- Begin function _ZN7rocprim17ROCPRIM_400000_NS6detail17trampoline_kernelINS0_14default_configENS1_36segmented_radix_sort_config_selectorI6__halflEEZNS1_25segmented_radix_sort_implIS3_Lb1EPKS5_PS5_PKlPlN2at6native12_GLOBAL__N_18offset_tEEE10hipError_tPvRmT1_PNSt15iterator_traitsISL_E10value_typeET2_T3_PNSM_ISR_E10value_typeET4_jRbjT5_SX_jjP12ihipStream_tbEUlT_E1_NS1_11comp_targetILNS1_3genE5ELNS1_11target_archE942ELNS1_3gpuE9ELNS1_3repE0EEENS1_59segmented_radix_sort_warp_sort_small_config_static_selectorELNS0_4arch9wavefront6targetE0EEEvSL_
	.p2align	8
	.type	_ZN7rocprim17ROCPRIM_400000_NS6detail17trampoline_kernelINS0_14default_configENS1_36segmented_radix_sort_config_selectorI6__halflEEZNS1_25segmented_radix_sort_implIS3_Lb1EPKS5_PS5_PKlPlN2at6native12_GLOBAL__N_18offset_tEEE10hipError_tPvRmT1_PNSt15iterator_traitsISL_E10value_typeET2_T3_PNSM_ISR_E10value_typeET4_jRbjT5_SX_jjP12ihipStream_tbEUlT_E1_NS1_11comp_targetILNS1_3genE5ELNS1_11target_archE942ELNS1_3gpuE9ELNS1_3repE0EEENS1_59segmented_radix_sort_warp_sort_small_config_static_selectorELNS0_4arch9wavefront6targetE0EEEvSL_,@function
_ZN7rocprim17ROCPRIM_400000_NS6detail17trampoline_kernelINS0_14default_configENS1_36segmented_radix_sort_config_selectorI6__halflEEZNS1_25segmented_radix_sort_implIS3_Lb1EPKS5_PS5_PKlPlN2at6native12_GLOBAL__N_18offset_tEEE10hipError_tPvRmT1_PNSt15iterator_traitsISL_E10value_typeET2_T3_PNSM_ISR_E10value_typeET4_jRbjT5_SX_jjP12ihipStream_tbEUlT_E1_NS1_11comp_targetILNS1_3genE5ELNS1_11target_archE942ELNS1_3gpuE9ELNS1_3repE0EEENS1_59segmented_radix_sort_warp_sort_small_config_static_selectorELNS0_4arch9wavefront6targetE0EEEvSL_: ; @_ZN7rocprim17ROCPRIM_400000_NS6detail17trampoline_kernelINS0_14default_configENS1_36segmented_radix_sort_config_selectorI6__halflEEZNS1_25segmented_radix_sort_implIS3_Lb1EPKS5_PS5_PKlPlN2at6native12_GLOBAL__N_18offset_tEEE10hipError_tPvRmT1_PNSt15iterator_traitsISL_E10value_typeET2_T3_PNSM_ISR_E10value_typeET4_jRbjT5_SX_jjP12ihipStream_tbEUlT_E1_NS1_11comp_targetILNS1_3genE5ELNS1_11target_archE942ELNS1_3gpuE9ELNS1_3repE0EEENS1_59segmented_radix_sort_warp_sort_small_config_static_selectorELNS0_4arch9wavefront6targetE0EEEvSL_
; %bb.0:
	.section	.rodata,"a",@progbits
	.p2align	6, 0x0
	.amdhsa_kernel _ZN7rocprim17ROCPRIM_400000_NS6detail17trampoline_kernelINS0_14default_configENS1_36segmented_radix_sort_config_selectorI6__halflEEZNS1_25segmented_radix_sort_implIS3_Lb1EPKS5_PS5_PKlPlN2at6native12_GLOBAL__N_18offset_tEEE10hipError_tPvRmT1_PNSt15iterator_traitsISL_E10value_typeET2_T3_PNSM_ISR_E10value_typeET4_jRbjT5_SX_jjP12ihipStream_tbEUlT_E1_NS1_11comp_targetILNS1_3genE5ELNS1_11target_archE942ELNS1_3gpuE9ELNS1_3repE0EEENS1_59segmented_radix_sort_warp_sort_small_config_static_selectorELNS0_4arch9wavefront6targetE0EEEvSL_
		.amdhsa_group_segment_fixed_size 0
		.amdhsa_private_segment_fixed_size 0
		.amdhsa_kernarg_size 88
		.amdhsa_user_sgpr_count 6
		.amdhsa_user_sgpr_private_segment_buffer 1
		.amdhsa_user_sgpr_dispatch_ptr 0
		.amdhsa_user_sgpr_queue_ptr 0
		.amdhsa_user_sgpr_kernarg_segment_ptr 1
		.amdhsa_user_sgpr_dispatch_id 0
		.amdhsa_user_sgpr_flat_scratch_init 0
		.amdhsa_user_sgpr_private_segment_size 0
		.amdhsa_wavefront_size32 1
		.amdhsa_uses_dynamic_stack 0
		.amdhsa_system_sgpr_private_segment_wavefront_offset 0
		.amdhsa_system_sgpr_workgroup_id_x 1
		.amdhsa_system_sgpr_workgroup_id_y 0
		.amdhsa_system_sgpr_workgroup_id_z 0
		.amdhsa_system_sgpr_workgroup_info 0
		.amdhsa_system_vgpr_workitem_id 0
		.amdhsa_next_free_vgpr 1
		.amdhsa_next_free_sgpr 1
		.amdhsa_reserve_vcc 0
		.amdhsa_reserve_flat_scratch 0
		.amdhsa_float_round_mode_32 0
		.amdhsa_float_round_mode_16_64 0
		.amdhsa_float_denorm_mode_32 3
		.amdhsa_float_denorm_mode_16_64 3
		.amdhsa_dx10_clamp 1
		.amdhsa_ieee_mode 1
		.amdhsa_fp16_overflow 0
		.amdhsa_workgroup_processor_mode 1
		.amdhsa_memory_ordered 1
		.amdhsa_forward_progress 1
		.amdhsa_shared_vgpr_count 0
		.amdhsa_exception_fp_ieee_invalid_op 0
		.amdhsa_exception_fp_denorm_src 0
		.amdhsa_exception_fp_ieee_div_zero 0
		.amdhsa_exception_fp_ieee_overflow 0
		.amdhsa_exception_fp_ieee_underflow 0
		.amdhsa_exception_fp_ieee_inexact 0
		.amdhsa_exception_int_div_zero 0
	.end_amdhsa_kernel
	.section	.text._ZN7rocprim17ROCPRIM_400000_NS6detail17trampoline_kernelINS0_14default_configENS1_36segmented_radix_sort_config_selectorI6__halflEEZNS1_25segmented_radix_sort_implIS3_Lb1EPKS5_PS5_PKlPlN2at6native12_GLOBAL__N_18offset_tEEE10hipError_tPvRmT1_PNSt15iterator_traitsISL_E10value_typeET2_T3_PNSM_ISR_E10value_typeET4_jRbjT5_SX_jjP12ihipStream_tbEUlT_E1_NS1_11comp_targetILNS1_3genE5ELNS1_11target_archE942ELNS1_3gpuE9ELNS1_3repE0EEENS1_59segmented_radix_sort_warp_sort_small_config_static_selectorELNS0_4arch9wavefront6targetE0EEEvSL_,"axG",@progbits,_ZN7rocprim17ROCPRIM_400000_NS6detail17trampoline_kernelINS0_14default_configENS1_36segmented_radix_sort_config_selectorI6__halflEEZNS1_25segmented_radix_sort_implIS3_Lb1EPKS5_PS5_PKlPlN2at6native12_GLOBAL__N_18offset_tEEE10hipError_tPvRmT1_PNSt15iterator_traitsISL_E10value_typeET2_T3_PNSM_ISR_E10value_typeET4_jRbjT5_SX_jjP12ihipStream_tbEUlT_E1_NS1_11comp_targetILNS1_3genE5ELNS1_11target_archE942ELNS1_3gpuE9ELNS1_3repE0EEENS1_59segmented_radix_sort_warp_sort_small_config_static_selectorELNS0_4arch9wavefront6targetE0EEEvSL_,comdat
.Lfunc_end1750:
	.size	_ZN7rocprim17ROCPRIM_400000_NS6detail17trampoline_kernelINS0_14default_configENS1_36segmented_radix_sort_config_selectorI6__halflEEZNS1_25segmented_radix_sort_implIS3_Lb1EPKS5_PS5_PKlPlN2at6native12_GLOBAL__N_18offset_tEEE10hipError_tPvRmT1_PNSt15iterator_traitsISL_E10value_typeET2_T3_PNSM_ISR_E10value_typeET4_jRbjT5_SX_jjP12ihipStream_tbEUlT_E1_NS1_11comp_targetILNS1_3genE5ELNS1_11target_archE942ELNS1_3gpuE9ELNS1_3repE0EEENS1_59segmented_radix_sort_warp_sort_small_config_static_selectorELNS0_4arch9wavefront6targetE0EEEvSL_, .Lfunc_end1750-_ZN7rocprim17ROCPRIM_400000_NS6detail17trampoline_kernelINS0_14default_configENS1_36segmented_radix_sort_config_selectorI6__halflEEZNS1_25segmented_radix_sort_implIS3_Lb1EPKS5_PS5_PKlPlN2at6native12_GLOBAL__N_18offset_tEEE10hipError_tPvRmT1_PNSt15iterator_traitsISL_E10value_typeET2_T3_PNSM_ISR_E10value_typeET4_jRbjT5_SX_jjP12ihipStream_tbEUlT_E1_NS1_11comp_targetILNS1_3genE5ELNS1_11target_archE942ELNS1_3gpuE9ELNS1_3repE0EEENS1_59segmented_radix_sort_warp_sort_small_config_static_selectorELNS0_4arch9wavefront6targetE0EEEvSL_
                                        ; -- End function
	.set _ZN7rocprim17ROCPRIM_400000_NS6detail17trampoline_kernelINS0_14default_configENS1_36segmented_radix_sort_config_selectorI6__halflEEZNS1_25segmented_radix_sort_implIS3_Lb1EPKS5_PS5_PKlPlN2at6native12_GLOBAL__N_18offset_tEEE10hipError_tPvRmT1_PNSt15iterator_traitsISL_E10value_typeET2_T3_PNSM_ISR_E10value_typeET4_jRbjT5_SX_jjP12ihipStream_tbEUlT_E1_NS1_11comp_targetILNS1_3genE5ELNS1_11target_archE942ELNS1_3gpuE9ELNS1_3repE0EEENS1_59segmented_radix_sort_warp_sort_small_config_static_selectorELNS0_4arch9wavefront6targetE0EEEvSL_.num_vgpr, 0
	.set _ZN7rocprim17ROCPRIM_400000_NS6detail17trampoline_kernelINS0_14default_configENS1_36segmented_radix_sort_config_selectorI6__halflEEZNS1_25segmented_radix_sort_implIS3_Lb1EPKS5_PS5_PKlPlN2at6native12_GLOBAL__N_18offset_tEEE10hipError_tPvRmT1_PNSt15iterator_traitsISL_E10value_typeET2_T3_PNSM_ISR_E10value_typeET4_jRbjT5_SX_jjP12ihipStream_tbEUlT_E1_NS1_11comp_targetILNS1_3genE5ELNS1_11target_archE942ELNS1_3gpuE9ELNS1_3repE0EEENS1_59segmented_radix_sort_warp_sort_small_config_static_selectorELNS0_4arch9wavefront6targetE0EEEvSL_.num_agpr, 0
	.set _ZN7rocprim17ROCPRIM_400000_NS6detail17trampoline_kernelINS0_14default_configENS1_36segmented_radix_sort_config_selectorI6__halflEEZNS1_25segmented_radix_sort_implIS3_Lb1EPKS5_PS5_PKlPlN2at6native12_GLOBAL__N_18offset_tEEE10hipError_tPvRmT1_PNSt15iterator_traitsISL_E10value_typeET2_T3_PNSM_ISR_E10value_typeET4_jRbjT5_SX_jjP12ihipStream_tbEUlT_E1_NS1_11comp_targetILNS1_3genE5ELNS1_11target_archE942ELNS1_3gpuE9ELNS1_3repE0EEENS1_59segmented_radix_sort_warp_sort_small_config_static_selectorELNS0_4arch9wavefront6targetE0EEEvSL_.numbered_sgpr, 0
	.set _ZN7rocprim17ROCPRIM_400000_NS6detail17trampoline_kernelINS0_14default_configENS1_36segmented_radix_sort_config_selectorI6__halflEEZNS1_25segmented_radix_sort_implIS3_Lb1EPKS5_PS5_PKlPlN2at6native12_GLOBAL__N_18offset_tEEE10hipError_tPvRmT1_PNSt15iterator_traitsISL_E10value_typeET2_T3_PNSM_ISR_E10value_typeET4_jRbjT5_SX_jjP12ihipStream_tbEUlT_E1_NS1_11comp_targetILNS1_3genE5ELNS1_11target_archE942ELNS1_3gpuE9ELNS1_3repE0EEENS1_59segmented_radix_sort_warp_sort_small_config_static_selectorELNS0_4arch9wavefront6targetE0EEEvSL_.num_named_barrier, 0
	.set _ZN7rocprim17ROCPRIM_400000_NS6detail17trampoline_kernelINS0_14default_configENS1_36segmented_radix_sort_config_selectorI6__halflEEZNS1_25segmented_radix_sort_implIS3_Lb1EPKS5_PS5_PKlPlN2at6native12_GLOBAL__N_18offset_tEEE10hipError_tPvRmT1_PNSt15iterator_traitsISL_E10value_typeET2_T3_PNSM_ISR_E10value_typeET4_jRbjT5_SX_jjP12ihipStream_tbEUlT_E1_NS1_11comp_targetILNS1_3genE5ELNS1_11target_archE942ELNS1_3gpuE9ELNS1_3repE0EEENS1_59segmented_radix_sort_warp_sort_small_config_static_selectorELNS0_4arch9wavefront6targetE0EEEvSL_.private_seg_size, 0
	.set _ZN7rocprim17ROCPRIM_400000_NS6detail17trampoline_kernelINS0_14default_configENS1_36segmented_radix_sort_config_selectorI6__halflEEZNS1_25segmented_radix_sort_implIS3_Lb1EPKS5_PS5_PKlPlN2at6native12_GLOBAL__N_18offset_tEEE10hipError_tPvRmT1_PNSt15iterator_traitsISL_E10value_typeET2_T3_PNSM_ISR_E10value_typeET4_jRbjT5_SX_jjP12ihipStream_tbEUlT_E1_NS1_11comp_targetILNS1_3genE5ELNS1_11target_archE942ELNS1_3gpuE9ELNS1_3repE0EEENS1_59segmented_radix_sort_warp_sort_small_config_static_selectorELNS0_4arch9wavefront6targetE0EEEvSL_.uses_vcc, 0
	.set _ZN7rocprim17ROCPRIM_400000_NS6detail17trampoline_kernelINS0_14default_configENS1_36segmented_radix_sort_config_selectorI6__halflEEZNS1_25segmented_radix_sort_implIS3_Lb1EPKS5_PS5_PKlPlN2at6native12_GLOBAL__N_18offset_tEEE10hipError_tPvRmT1_PNSt15iterator_traitsISL_E10value_typeET2_T3_PNSM_ISR_E10value_typeET4_jRbjT5_SX_jjP12ihipStream_tbEUlT_E1_NS1_11comp_targetILNS1_3genE5ELNS1_11target_archE942ELNS1_3gpuE9ELNS1_3repE0EEENS1_59segmented_radix_sort_warp_sort_small_config_static_selectorELNS0_4arch9wavefront6targetE0EEEvSL_.uses_flat_scratch, 0
	.set _ZN7rocprim17ROCPRIM_400000_NS6detail17trampoline_kernelINS0_14default_configENS1_36segmented_radix_sort_config_selectorI6__halflEEZNS1_25segmented_radix_sort_implIS3_Lb1EPKS5_PS5_PKlPlN2at6native12_GLOBAL__N_18offset_tEEE10hipError_tPvRmT1_PNSt15iterator_traitsISL_E10value_typeET2_T3_PNSM_ISR_E10value_typeET4_jRbjT5_SX_jjP12ihipStream_tbEUlT_E1_NS1_11comp_targetILNS1_3genE5ELNS1_11target_archE942ELNS1_3gpuE9ELNS1_3repE0EEENS1_59segmented_radix_sort_warp_sort_small_config_static_selectorELNS0_4arch9wavefront6targetE0EEEvSL_.has_dyn_sized_stack, 0
	.set _ZN7rocprim17ROCPRIM_400000_NS6detail17trampoline_kernelINS0_14default_configENS1_36segmented_radix_sort_config_selectorI6__halflEEZNS1_25segmented_radix_sort_implIS3_Lb1EPKS5_PS5_PKlPlN2at6native12_GLOBAL__N_18offset_tEEE10hipError_tPvRmT1_PNSt15iterator_traitsISL_E10value_typeET2_T3_PNSM_ISR_E10value_typeET4_jRbjT5_SX_jjP12ihipStream_tbEUlT_E1_NS1_11comp_targetILNS1_3genE5ELNS1_11target_archE942ELNS1_3gpuE9ELNS1_3repE0EEENS1_59segmented_radix_sort_warp_sort_small_config_static_selectorELNS0_4arch9wavefront6targetE0EEEvSL_.has_recursion, 0
	.set _ZN7rocprim17ROCPRIM_400000_NS6detail17trampoline_kernelINS0_14default_configENS1_36segmented_radix_sort_config_selectorI6__halflEEZNS1_25segmented_radix_sort_implIS3_Lb1EPKS5_PS5_PKlPlN2at6native12_GLOBAL__N_18offset_tEEE10hipError_tPvRmT1_PNSt15iterator_traitsISL_E10value_typeET2_T3_PNSM_ISR_E10value_typeET4_jRbjT5_SX_jjP12ihipStream_tbEUlT_E1_NS1_11comp_targetILNS1_3genE5ELNS1_11target_archE942ELNS1_3gpuE9ELNS1_3repE0EEENS1_59segmented_radix_sort_warp_sort_small_config_static_selectorELNS0_4arch9wavefront6targetE0EEEvSL_.has_indirect_call, 0
	.section	.AMDGPU.csdata,"",@progbits
; Kernel info:
; codeLenInByte = 0
; TotalNumSgprs: 0
; NumVgprs: 0
; ScratchSize: 0
; MemoryBound: 0
; FloatMode: 240
; IeeeMode: 1
; LDSByteSize: 0 bytes/workgroup (compile time only)
; SGPRBlocks: 0
; VGPRBlocks: 0
; NumSGPRsForWavesPerEU: 1
; NumVGPRsForWavesPerEU: 1
; Occupancy: 16
; WaveLimiterHint : 0
; COMPUTE_PGM_RSRC2:SCRATCH_EN: 0
; COMPUTE_PGM_RSRC2:USER_SGPR: 6
; COMPUTE_PGM_RSRC2:TRAP_HANDLER: 0
; COMPUTE_PGM_RSRC2:TGID_X_EN: 1
; COMPUTE_PGM_RSRC2:TGID_Y_EN: 0
; COMPUTE_PGM_RSRC2:TGID_Z_EN: 0
; COMPUTE_PGM_RSRC2:TIDIG_COMP_CNT: 0
	.section	.text._ZN7rocprim17ROCPRIM_400000_NS6detail17trampoline_kernelINS0_14default_configENS1_36segmented_radix_sort_config_selectorI6__halflEEZNS1_25segmented_radix_sort_implIS3_Lb1EPKS5_PS5_PKlPlN2at6native12_GLOBAL__N_18offset_tEEE10hipError_tPvRmT1_PNSt15iterator_traitsISL_E10value_typeET2_T3_PNSM_ISR_E10value_typeET4_jRbjT5_SX_jjP12ihipStream_tbEUlT_E1_NS1_11comp_targetILNS1_3genE4ELNS1_11target_archE910ELNS1_3gpuE8ELNS1_3repE0EEENS1_59segmented_radix_sort_warp_sort_small_config_static_selectorELNS0_4arch9wavefront6targetE0EEEvSL_,"axG",@progbits,_ZN7rocprim17ROCPRIM_400000_NS6detail17trampoline_kernelINS0_14default_configENS1_36segmented_radix_sort_config_selectorI6__halflEEZNS1_25segmented_radix_sort_implIS3_Lb1EPKS5_PS5_PKlPlN2at6native12_GLOBAL__N_18offset_tEEE10hipError_tPvRmT1_PNSt15iterator_traitsISL_E10value_typeET2_T3_PNSM_ISR_E10value_typeET4_jRbjT5_SX_jjP12ihipStream_tbEUlT_E1_NS1_11comp_targetILNS1_3genE4ELNS1_11target_archE910ELNS1_3gpuE8ELNS1_3repE0EEENS1_59segmented_radix_sort_warp_sort_small_config_static_selectorELNS0_4arch9wavefront6targetE0EEEvSL_,comdat
	.globl	_ZN7rocprim17ROCPRIM_400000_NS6detail17trampoline_kernelINS0_14default_configENS1_36segmented_radix_sort_config_selectorI6__halflEEZNS1_25segmented_radix_sort_implIS3_Lb1EPKS5_PS5_PKlPlN2at6native12_GLOBAL__N_18offset_tEEE10hipError_tPvRmT1_PNSt15iterator_traitsISL_E10value_typeET2_T3_PNSM_ISR_E10value_typeET4_jRbjT5_SX_jjP12ihipStream_tbEUlT_E1_NS1_11comp_targetILNS1_3genE4ELNS1_11target_archE910ELNS1_3gpuE8ELNS1_3repE0EEENS1_59segmented_radix_sort_warp_sort_small_config_static_selectorELNS0_4arch9wavefront6targetE0EEEvSL_ ; -- Begin function _ZN7rocprim17ROCPRIM_400000_NS6detail17trampoline_kernelINS0_14default_configENS1_36segmented_radix_sort_config_selectorI6__halflEEZNS1_25segmented_radix_sort_implIS3_Lb1EPKS5_PS5_PKlPlN2at6native12_GLOBAL__N_18offset_tEEE10hipError_tPvRmT1_PNSt15iterator_traitsISL_E10value_typeET2_T3_PNSM_ISR_E10value_typeET4_jRbjT5_SX_jjP12ihipStream_tbEUlT_E1_NS1_11comp_targetILNS1_3genE4ELNS1_11target_archE910ELNS1_3gpuE8ELNS1_3repE0EEENS1_59segmented_radix_sort_warp_sort_small_config_static_selectorELNS0_4arch9wavefront6targetE0EEEvSL_
	.p2align	8
	.type	_ZN7rocprim17ROCPRIM_400000_NS6detail17trampoline_kernelINS0_14default_configENS1_36segmented_radix_sort_config_selectorI6__halflEEZNS1_25segmented_radix_sort_implIS3_Lb1EPKS5_PS5_PKlPlN2at6native12_GLOBAL__N_18offset_tEEE10hipError_tPvRmT1_PNSt15iterator_traitsISL_E10value_typeET2_T3_PNSM_ISR_E10value_typeET4_jRbjT5_SX_jjP12ihipStream_tbEUlT_E1_NS1_11comp_targetILNS1_3genE4ELNS1_11target_archE910ELNS1_3gpuE8ELNS1_3repE0EEENS1_59segmented_radix_sort_warp_sort_small_config_static_selectorELNS0_4arch9wavefront6targetE0EEEvSL_,@function
_ZN7rocprim17ROCPRIM_400000_NS6detail17trampoline_kernelINS0_14default_configENS1_36segmented_radix_sort_config_selectorI6__halflEEZNS1_25segmented_radix_sort_implIS3_Lb1EPKS5_PS5_PKlPlN2at6native12_GLOBAL__N_18offset_tEEE10hipError_tPvRmT1_PNSt15iterator_traitsISL_E10value_typeET2_T3_PNSM_ISR_E10value_typeET4_jRbjT5_SX_jjP12ihipStream_tbEUlT_E1_NS1_11comp_targetILNS1_3genE4ELNS1_11target_archE910ELNS1_3gpuE8ELNS1_3repE0EEENS1_59segmented_radix_sort_warp_sort_small_config_static_selectorELNS0_4arch9wavefront6targetE0EEEvSL_: ; @_ZN7rocprim17ROCPRIM_400000_NS6detail17trampoline_kernelINS0_14default_configENS1_36segmented_radix_sort_config_selectorI6__halflEEZNS1_25segmented_radix_sort_implIS3_Lb1EPKS5_PS5_PKlPlN2at6native12_GLOBAL__N_18offset_tEEE10hipError_tPvRmT1_PNSt15iterator_traitsISL_E10value_typeET2_T3_PNSM_ISR_E10value_typeET4_jRbjT5_SX_jjP12ihipStream_tbEUlT_E1_NS1_11comp_targetILNS1_3genE4ELNS1_11target_archE910ELNS1_3gpuE8ELNS1_3repE0EEENS1_59segmented_radix_sort_warp_sort_small_config_static_selectorELNS0_4arch9wavefront6targetE0EEEvSL_
; %bb.0:
	.section	.rodata,"a",@progbits
	.p2align	6, 0x0
	.amdhsa_kernel _ZN7rocprim17ROCPRIM_400000_NS6detail17trampoline_kernelINS0_14default_configENS1_36segmented_radix_sort_config_selectorI6__halflEEZNS1_25segmented_radix_sort_implIS3_Lb1EPKS5_PS5_PKlPlN2at6native12_GLOBAL__N_18offset_tEEE10hipError_tPvRmT1_PNSt15iterator_traitsISL_E10value_typeET2_T3_PNSM_ISR_E10value_typeET4_jRbjT5_SX_jjP12ihipStream_tbEUlT_E1_NS1_11comp_targetILNS1_3genE4ELNS1_11target_archE910ELNS1_3gpuE8ELNS1_3repE0EEENS1_59segmented_radix_sort_warp_sort_small_config_static_selectorELNS0_4arch9wavefront6targetE0EEEvSL_
		.amdhsa_group_segment_fixed_size 0
		.amdhsa_private_segment_fixed_size 0
		.amdhsa_kernarg_size 88
		.amdhsa_user_sgpr_count 6
		.amdhsa_user_sgpr_private_segment_buffer 1
		.amdhsa_user_sgpr_dispatch_ptr 0
		.amdhsa_user_sgpr_queue_ptr 0
		.amdhsa_user_sgpr_kernarg_segment_ptr 1
		.amdhsa_user_sgpr_dispatch_id 0
		.amdhsa_user_sgpr_flat_scratch_init 0
		.amdhsa_user_sgpr_private_segment_size 0
		.amdhsa_wavefront_size32 1
		.amdhsa_uses_dynamic_stack 0
		.amdhsa_system_sgpr_private_segment_wavefront_offset 0
		.amdhsa_system_sgpr_workgroup_id_x 1
		.amdhsa_system_sgpr_workgroup_id_y 0
		.amdhsa_system_sgpr_workgroup_id_z 0
		.amdhsa_system_sgpr_workgroup_info 0
		.amdhsa_system_vgpr_workitem_id 0
		.amdhsa_next_free_vgpr 1
		.amdhsa_next_free_sgpr 1
		.amdhsa_reserve_vcc 0
		.amdhsa_reserve_flat_scratch 0
		.amdhsa_float_round_mode_32 0
		.amdhsa_float_round_mode_16_64 0
		.amdhsa_float_denorm_mode_32 3
		.amdhsa_float_denorm_mode_16_64 3
		.amdhsa_dx10_clamp 1
		.amdhsa_ieee_mode 1
		.amdhsa_fp16_overflow 0
		.amdhsa_workgroup_processor_mode 1
		.amdhsa_memory_ordered 1
		.amdhsa_forward_progress 1
		.amdhsa_shared_vgpr_count 0
		.amdhsa_exception_fp_ieee_invalid_op 0
		.amdhsa_exception_fp_denorm_src 0
		.amdhsa_exception_fp_ieee_div_zero 0
		.amdhsa_exception_fp_ieee_overflow 0
		.amdhsa_exception_fp_ieee_underflow 0
		.amdhsa_exception_fp_ieee_inexact 0
		.amdhsa_exception_int_div_zero 0
	.end_amdhsa_kernel
	.section	.text._ZN7rocprim17ROCPRIM_400000_NS6detail17trampoline_kernelINS0_14default_configENS1_36segmented_radix_sort_config_selectorI6__halflEEZNS1_25segmented_radix_sort_implIS3_Lb1EPKS5_PS5_PKlPlN2at6native12_GLOBAL__N_18offset_tEEE10hipError_tPvRmT1_PNSt15iterator_traitsISL_E10value_typeET2_T3_PNSM_ISR_E10value_typeET4_jRbjT5_SX_jjP12ihipStream_tbEUlT_E1_NS1_11comp_targetILNS1_3genE4ELNS1_11target_archE910ELNS1_3gpuE8ELNS1_3repE0EEENS1_59segmented_radix_sort_warp_sort_small_config_static_selectorELNS0_4arch9wavefront6targetE0EEEvSL_,"axG",@progbits,_ZN7rocprim17ROCPRIM_400000_NS6detail17trampoline_kernelINS0_14default_configENS1_36segmented_radix_sort_config_selectorI6__halflEEZNS1_25segmented_radix_sort_implIS3_Lb1EPKS5_PS5_PKlPlN2at6native12_GLOBAL__N_18offset_tEEE10hipError_tPvRmT1_PNSt15iterator_traitsISL_E10value_typeET2_T3_PNSM_ISR_E10value_typeET4_jRbjT5_SX_jjP12ihipStream_tbEUlT_E1_NS1_11comp_targetILNS1_3genE4ELNS1_11target_archE910ELNS1_3gpuE8ELNS1_3repE0EEENS1_59segmented_radix_sort_warp_sort_small_config_static_selectorELNS0_4arch9wavefront6targetE0EEEvSL_,comdat
.Lfunc_end1751:
	.size	_ZN7rocprim17ROCPRIM_400000_NS6detail17trampoline_kernelINS0_14default_configENS1_36segmented_radix_sort_config_selectorI6__halflEEZNS1_25segmented_radix_sort_implIS3_Lb1EPKS5_PS5_PKlPlN2at6native12_GLOBAL__N_18offset_tEEE10hipError_tPvRmT1_PNSt15iterator_traitsISL_E10value_typeET2_T3_PNSM_ISR_E10value_typeET4_jRbjT5_SX_jjP12ihipStream_tbEUlT_E1_NS1_11comp_targetILNS1_3genE4ELNS1_11target_archE910ELNS1_3gpuE8ELNS1_3repE0EEENS1_59segmented_radix_sort_warp_sort_small_config_static_selectorELNS0_4arch9wavefront6targetE0EEEvSL_, .Lfunc_end1751-_ZN7rocprim17ROCPRIM_400000_NS6detail17trampoline_kernelINS0_14default_configENS1_36segmented_radix_sort_config_selectorI6__halflEEZNS1_25segmented_radix_sort_implIS3_Lb1EPKS5_PS5_PKlPlN2at6native12_GLOBAL__N_18offset_tEEE10hipError_tPvRmT1_PNSt15iterator_traitsISL_E10value_typeET2_T3_PNSM_ISR_E10value_typeET4_jRbjT5_SX_jjP12ihipStream_tbEUlT_E1_NS1_11comp_targetILNS1_3genE4ELNS1_11target_archE910ELNS1_3gpuE8ELNS1_3repE0EEENS1_59segmented_radix_sort_warp_sort_small_config_static_selectorELNS0_4arch9wavefront6targetE0EEEvSL_
                                        ; -- End function
	.set _ZN7rocprim17ROCPRIM_400000_NS6detail17trampoline_kernelINS0_14default_configENS1_36segmented_radix_sort_config_selectorI6__halflEEZNS1_25segmented_radix_sort_implIS3_Lb1EPKS5_PS5_PKlPlN2at6native12_GLOBAL__N_18offset_tEEE10hipError_tPvRmT1_PNSt15iterator_traitsISL_E10value_typeET2_T3_PNSM_ISR_E10value_typeET4_jRbjT5_SX_jjP12ihipStream_tbEUlT_E1_NS1_11comp_targetILNS1_3genE4ELNS1_11target_archE910ELNS1_3gpuE8ELNS1_3repE0EEENS1_59segmented_radix_sort_warp_sort_small_config_static_selectorELNS0_4arch9wavefront6targetE0EEEvSL_.num_vgpr, 0
	.set _ZN7rocprim17ROCPRIM_400000_NS6detail17trampoline_kernelINS0_14default_configENS1_36segmented_radix_sort_config_selectorI6__halflEEZNS1_25segmented_radix_sort_implIS3_Lb1EPKS5_PS5_PKlPlN2at6native12_GLOBAL__N_18offset_tEEE10hipError_tPvRmT1_PNSt15iterator_traitsISL_E10value_typeET2_T3_PNSM_ISR_E10value_typeET4_jRbjT5_SX_jjP12ihipStream_tbEUlT_E1_NS1_11comp_targetILNS1_3genE4ELNS1_11target_archE910ELNS1_3gpuE8ELNS1_3repE0EEENS1_59segmented_radix_sort_warp_sort_small_config_static_selectorELNS0_4arch9wavefront6targetE0EEEvSL_.num_agpr, 0
	.set _ZN7rocprim17ROCPRIM_400000_NS6detail17trampoline_kernelINS0_14default_configENS1_36segmented_radix_sort_config_selectorI6__halflEEZNS1_25segmented_radix_sort_implIS3_Lb1EPKS5_PS5_PKlPlN2at6native12_GLOBAL__N_18offset_tEEE10hipError_tPvRmT1_PNSt15iterator_traitsISL_E10value_typeET2_T3_PNSM_ISR_E10value_typeET4_jRbjT5_SX_jjP12ihipStream_tbEUlT_E1_NS1_11comp_targetILNS1_3genE4ELNS1_11target_archE910ELNS1_3gpuE8ELNS1_3repE0EEENS1_59segmented_radix_sort_warp_sort_small_config_static_selectorELNS0_4arch9wavefront6targetE0EEEvSL_.numbered_sgpr, 0
	.set _ZN7rocprim17ROCPRIM_400000_NS6detail17trampoline_kernelINS0_14default_configENS1_36segmented_radix_sort_config_selectorI6__halflEEZNS1_25segmented_radix_sort_implIS3_Lb1EPKS5_PS5_PKlPlN2at6native12_GLOBAL__N_18offset_tEEE10hipError_tPvRmT1_PNSt15iterator_traitsISL_E10value_typeET2_T3_PNSM_ISR_E10value_typeET4_jRbjT5_SX_jjP12ihipStream_tbEUlT_E1_NS1_11comp_targetILNS1_3genE4ELNS1_11target_archE910ELNS1_3gpuE8ELNS1_3repE0EEENS1_59segmented_radix_sort_warp_sort_small_config_static_selectorELNS0_4arch9wavefront6targetE0EEEvSL_.num_named_barrier, 0
	.set _ZN7rocprim17ROCPRIM_400000_NS6detail17trampoline_kernelINS0_14default_configENS1_36segmented_radix_sort_config_selectorI6__halflEEZNS1_25segmented_radix_sort_implIS3_Lb1EPKS5_PS5_PKlPlN2at6native12_GLOBAL__N_18offset_tEEE10hipError_tPvRmT1_PNSt15iterator_traitsISL_E10value_typeET2_T3_PNSM_ISR_E10value_typeET4_jRbjT5_SX_jjP12ihipStream_tbEUlT_E1_NS1_11comp_targetILNS1_3genE4ELNS1_11target_archE910ELNS1_3gpuE8ELNS1_3repE0EEENS1_59segmented_radix_sort_warp_sort_small_config_static_selectorELNS0_4arch9wavefront6targetE0EEEvSL_.private_seg_size, 0
	.set _ZN7rocprim17ROCPRIM_400000_NS6detail17trampoline_kernelINS0_14default_configENS1_36segmented_radix_sort_config_selectorI6__halflEEZNS1_25segmented_radix_sort_implIS3_Lb1EPKS5_PS5_PKlPlN2at6native12_GLOBAL__N_18offset_tEEE10hipError_tPvRmT1_PNSt15iterator_traitsISL_E10value_typeET2_T3_PNSM_ISR_E10value_typeET4_jRbjT5_SX_jjP12ihipStream_tbEUlT_E1_NS1_11comp_targetILNS1_3genE4ELNS1_11target_archE910ELNS1_3gpuE8ELNS1_3repE0EEENS1_59segmented_radix_sort_warp_sort_small_config_static_selectorELNS0_4arch9wavefront6targetE0EEEvSL_.uses_vcc, 0
	.set _ZN7rocprim17ROCPRIM_400000_NS6detail17trampoline_kernelINS0_14default_configENS1_36segmented_radix_sort_config_selectorI6__halflEEZNS1_25segmented_radix_sort_implIS3_Lb1EPKS5_PS5_PKlPlN2at6native12_GLOBAL__N_18offset_tEEE10hipError_tPvRmT1_PNSt15iterator_traitsISL_E10value_typeET2_T3_PNSM_ISR_E10value_typeET4_jRbjT5_SX_jjP12ihipStream_tbEUlT_E1_NS1_11comp_targetILNS1_3genE4ELNS1_11target_archE910ELNS1_3gpuE8ELNS1_3repE0EEENS1_59segmented_radix_sort_warp_sort_small_config_static_selectorELNS0_4arch9wavefront6targetE0EEEvSL_.uses_flat_scratch, 0
	.set _ZN7rocprim17ROCPRIM_400000_NS6detail17trampoline_kernelINS0_14default_configENS1_36segmented_radix_sort_config_selectorI6__halflEEZNS1_25segmented_radix_sort_implIS3_Lb1EPKS5_PS5_PKlPlN2at6native12_GLOBAL__N_18offset_tEEE10hipError_tPvRmT1_PNSt15iterator_traitsISL_E10value_typeET2_T3_PNSM_ISR_E10value_typeET4_jRbjT5_SX_jjP12ihipStream_tbEUlT_E1_NS1_11comp_targetILNS1_3genE4ELNS1_11target_archE910ELNS1_3gpuE8ELNS1_3repE0EEENS1_59segmented_radix_sort_warp_sort_small_config_static_selectorELNS0_4arch9wavefront6targetE0EEEvSL_.has_dyn_sized_stack, 0
	.set _ZN7rocprim17ROCPRIM_400000_NS6detail17trampoline_kernelINS0_14default_configENS1_36segmented_radix_sort_config_selectorI6__halflEEZNS1_25segmented_radix_sort_implIS3_Lb1EPKS5_PS5_PKlPlN2at6native12_GLOBAL__N_18offset_tEEE10hipError_tPvRmT1_PNSt15iterator_traitsISL_E10value_typeET2_T3_PNSM_ISR_E10value_typeET4_jRbjT5_SX_jjP12ihipStream_tbEUlT_E1_NS1_11comp_targetILNS1_3genE4ELNS1_11target_archE910ELNS1_3gpuE8ELNS1_3repE0EEENS1_59segmented_radix_sort_warp_sort_small_config_static_selectorELNS0_4arch9wavefront6targetE0EEEvSL_.has_recursion, 0
	.set _ZN7rocprim17ROCPRIM_400000_NS6detail17trampoline_kernelINS0_14default_configENS1_36segmented_radix_sort_config_selectorI6__halflEEZNS1_25segmented_radix_sort_implIS3_Lb1EPKS5_PS5_PKlPlN2at6native12_GLOBAL__N_18offset_tEEE10hipError_tPvRmT1_PNSt15iterator_traitsISL_E10value_typeET2_T3_PNSM_ISR_E10value_typeET4_jRbjT5_SX_jjP12ihipStream_tbEUlT_E1_NS1_11comp_targetILNS1_3genE4ELNS1_11target_archE910ELNS1_3gpuE8ELNS1_3repE0EEENS1_59segmented_radix_sort_warp_sort_small_config_static_selectorELNS0_4arch9wavefront6targetE0EEEvSL_.has_indirect_call, 0
	.section	.AMDGPU.csdata,"",@progbits
; Kernel info:
; codeLenInByte = 0
; TotalNumSgprs: 0
; NumVgprs: 0
; ScratchSize: 0
; MemoryBound: 0
; FloatMode: 240
; IeeeMode: 1
; LDSByteSize: 0 bytes/workgroup (compile time only)
; SGPRBlocks: 0
; VGPRBlocks: 0
; NumSGPRsForWavesPerEU: 1
; NumVGPRsForWavesPerEU: 1
; Occupancy: 16
; WaveLimiterHint : 0
; COMPUTE_PGM_RSRC2:SCRATCH_EN: 0
; COMPUTE_PGM_RSRC2:USER_SGPR: 6
; COMPUTE_PGM_RSRC2:TRAP_HANDLER: 0
; COMPUTE_PGM_RSRC2:TGID_X_EN: 1
; COMPUTE_PGM_RSRC2:TGID_Y_EN: 0
; COMPUTE_PGM_RSRC2:TGID_Z_EN: 0
; COMPUTE_PGM_RSRC2:TIDIG_COMP_CNT: 0
	.section	.text._ZN7rocprim17ROCPRIM_400000_NS6detail17trampoline_kernelINS0_14default_configENS1_36segmented_radix_sort_config_selectorI6__halflEEZNS1_25segmented_radix_sort_implIS3_Lb1EPKS5_PS5_PKlPlN2at6native12_GLOBAL__N_18offset_tEEE10hipError_tPvRmT1_PNSt15iterator_traitsISL_E10value_typeET2_T3_PNSM_ISR_E10value_typeET4_jRbjT5_SX_jjP12ihipStream_tbEUlT_E1_NS1_11comp_targetILNS1_3genE3ELNS1_11target_archE908ELNS1_3gpuE7ELNS1_3repE0EEENS1_59segmented_radix_sort_warp_sort_small_config_static_selectorELNS0_4arch9wavefront6targetE0EEEvSL_,"axG",@progbits,_ZN7rocprim17ROCPRIM_400000_NS6detail17trampoline_kernelINS0_14default_configENS1_36segmented_radix_sort_config_selectorI6__halflEEZNS1_25segmented_radix_sort_implIS3_Lb1EPKS5_PS5_PKlPlN2at6native12_GLOBAL__N_18offset_tEEE10hipError_tPvRmT1_PNSt15iterator_traitsISL_E10value_typeET2_T3_PNSM_ISR_E10value_typeET4_jRbjT5_SX_jjP12ihipStream_tbEUlT_E1_NS1_11comp_targetILNS1_3genE3ELNS1_11target_archE908ELNS1_3gpuE7ELNS1_3repE0EEENS1_59segmented_radix_sort_warp_sort_small_config_static_selectorELNS0_4arch9wavefront6targetE0EEEvSL_,comdat
	.globl	_ZN7rocprim17ROCPRIM_400000_NS6detail17trampoline_kernelINS0_14default_configENS1_36segmented_radix_sort_config_selectorI6__halflEEZNS1_25segmented_radix_sort_implIS3_Lb1EPKS5_PS5_PKlPlN2at6native12_GLOBAL__N_18offset_tEEE10hipError_tPvRmT1_PNSt15iterator_traitsISL_E10value_typeET2_T3_PNSM_ISR_E10value_typeET4_jRbjT5_SX_jjP12ihipStream_tbEUlT_E1_NS1_11comp_targetILNS1_3genE3ELNS1_11target_archE908ELNS1_3gpuE7ELNS1_3repE0EEENS1_59segmented_radix_sort_warp_sort_small_config_static_selectorELNS0_4arch9wavefront6targetE0EEEvSL_ ; -- Begin function _ZN7rocprim17ROCPRIM_400000_NS6detail17trampoline_kernelINS0_14default_configENS1_36segmented_radix_sort_config_selectorI6__halflEEZNS1_25segmented_radix_sort_implIS3_Lb1EPKS5_PS5_PKlPlN2at6native12_GLOBAL__N_18offset_tEEE10hipError_tPvRmT1_PNSt15iterator_traitsISL_E10value_typeET2_T3_PNSM_ISR_E10value_typeET4_jRbjT5_SX_jjP12ihipStream_tbEUlT_E1_NS1_11comp_targetILNS1_3genE3ELNS1_11target_archE908ELNS1_3gpuE7ELNS1_3repE0EEENS1_59segmented_radix_sort_warp_sort_small_config_static_selectorELNS0_4arch9wavefront6targetE0EEEvSL_
	.p2align	8
	.type	_ZN7rocprim17ROCPRIM_400000_NS6detail17trampoline_kernelINS0_14default_configENS1_36segmented_radix_sort_config_selectorI6__halflEEZNS1_25segmented_radix_sort_implIS3_Lb1EPKS5_PS5_PKlPlN2at6native12_GLOBAL__N_18offset_tEEE10hipError_tPvRmT1_PNSt15iterator_traitsISL_E10value_typeET2_T3_PNSM_ISR_E10value_typeET4_jRbjT5_SX_jjP12ihipStream_tbEUlT_E1_NS1_11comp_targetILNS1_3genE3ELNS1_11target_archE908ELNS1_3gpuE7ELNS1_3repE0EEENS1_59segmented_radix_sort_warp_sort_small_config_static_selectorELNS0_4arch9wavefront6targetE0EEEvSL_,@function
_ZN7rocprim17ROCPRIM_400000_NS6detail17trampoline_kernelINS0_14default_configENS1_36segmented_radix_sort_config_selectorI6__halflEEZNS1_25segmented_radix_sort_implIS3_Lb1EPKS5_PS5_PKlPlN2at6native12_GLOBAL__N_18offset_tEEE10hipError_tPvRmT1_PNSt15iterator_traitsISL_E10value_typeET2_T3_PNSM_ISR_E10value_typeET4_jRbjT5_SX_jjP12ihipStream_tbEUlT_E1_NS1_11comp_targetILNS1_3genE3ELNS1_11target_archE908ELNS1_3gpuE7ELNS1_3repE0EEENS1_59segmented_radix_sort_warp_sort_small_config_static_selectorELNS0_4arch9wavefront6targetE0EEEvSL_: ; @_ZN7rocprim17ROCPRIM_400000_NS6detail17trampoline_kernelINS0_14default_configENS1_36segmented_radix_sort_config_selectorI6__halflEEZNS1_25segmented_radix_sort_implIS3_Lb1EPKS5_PS5_PKlPlN2at6native12_GLOBAL__N_18offset_tEEE10hipError_tPvRmT1_PNSt15iterator_traitsISL_E10value_typeET2_T3_PNSM_ISR_E10value_typeET4_jRbjT5_SX_jjP12ihipStream_tbEUlT_E1_NS1_11comp_targetILNS1_3genE3ELNS1_11target_archE908ELNS1_3gpuE7ELNS1_3repE0EEENS1_59segmented_radix_sort_warp_sort_small_config_static_selectorELNS0_4arch9wavefront6targetE0EEEvSL_
; %bb.0:
	.section	.rodata,"a",@progbits
	.p2align	6, 0x0
	.amdhsa_kernel _ZN7rocprim17ROCPRIM_400000_NS6detail17trampoline_kernelINS0_14default_configENS1_36segmented_radix_sort_config_selectorI6__halflEEZNS1_25segmented_radix_sort_implIS3_Lb1EPKS5_PS5_PKlPlN2at6native12_GLOBAL__N_18offset_tEEE10hipError_tPvRmT1_PNSt15iterator_traitsISL_E10value_typeET2_T3_PNSM_ISR_E10value_typeET4_jRbjT5_SX_jjP12ihipStream_tbEUlT_E1_NS1_11comp_targetILNS1_3genE3ELNS1_11target_archE908ELNS1_3gpuE7ELNS1_3repE0EEENS1_59segmented_radix_sort_warp_sort_small_config_static_selectorELNS0_4arch9wavefront6targetE0EEEvSL_
		.amdhsa_group_segment_fixed_size 0
		.amdhsa_private_segment_fixed_size 0
		.amdhsa_kernarg_size 88
		.amdhsa_user_sgpr_count 6
		.amdhsa_user_sgpr_private_segment_buffer 1
		.amdhsa_user_sgpr_dispatch_ptr 0
		.amdhsa_user_sgpr_queue_ptr 0
		.amdhsa_user_sgpr_kernarg_segment_ptr 1
		.amdhsa_user_sgpr_dispatch_id 0
		.amdhsa_user_sgpr_flat_scratch_init 0
		.amdhsa_user_sgpr_private_segment_size 0
		.amdhsa_wavefront_size32 1
		.amdhsa_uses_dynamic_stack 0
		.amdhsa_system_sgpr_private_segment_wavefront_offset 0
		.amdhsa_system_sgpr_workgroup_id_x 1
		.amdhsa_system_sgpr_workgroup_id_y 0
		.amdhsa_system_sgpr_workgroup_id_z 0
		.amdhsa_system_sgpr_workgroup_info 0
		.amdhsa_system_vgpr_workitem_id 0
		.amdhsa_next_free_vgpr 1
		.amdhsa_next_free_sgpr 1
		.amdhsa_reserve_vcc 0
		.amdhsa_reserve_flat_scratch 0
		.amdhsa_float_round_mode_32 0
		.amdhsa_float_round_mode_16_64 0
		.amdhsa_float_denorm_mode_32 3
		.amdhsa_float_denorm_mode_16_64 3
		.amdhsa_dx10_clamp 1
		.amdhsa_ieee_mode 1
		.amdhsa_fp16_overflow 0
		.amdhsa_workgroup_processor_mode 1
		.amdhsa_memory_ordered 1
		.amdhsa_forward_progress 1
		.amdhsa_shared_vgpr_count 0
		.amdhsa_exception_fp_ieee_invalid_op 0
		.amdhsa_exception_fp_denorm_src 0
		.amdhsa_exception_fp_ieee_div_zero 0
		.amdhsa_exception_fp_ieee_overflow 0
		.amdhsa_exception_fp_ieee_underflow 0
		.amdhsa_exception_fp_ieee_inexact 0
		.amdhsa_exception_int_div_zero 0
	.end_amdhsa_kernel
	.section	.text._ZN7rocprim17ROCPRIM_400000_NS6detail17trampoline_kernelINS0_14default_configENS1_36segmented_radix_sort_config_selectorI6__halflEEZNS1_25segmented_radix_sort_implIS3_Lb1EPKS5_PS5_PKlPlN2at6native12_GLOBAL__N_18offset_tEEE10hipError_tPvRmT1_PNSt15iterator_traitsISL_E10value_typeET2_T3_PNSM_ISR_E10value_typeET4_jRbjT5_SX_jjP12ihipStream_tbEUlT_E1_NS1_11comp_targetILNS1_3genE3ELNS1_11target_archE908ELNS1_3gpuE7ELNS1_3repE0EEENS1_59segmented_radix_sort_warp_sort_small_config_static_selectorELNS0_4arch9wavefront6targetE0EEEvSL_,"axG",@progbits,_ZN7rocprim17ROCPRIM_400000_NS6detail17trampoline_kernelINS0_14default_configENS1_36segmented_radix_sort_config_selectorI6__halflEEZNS1_25segmented_radix_sort_implIS3_Lb1EPKS5_PS5_PKlPlN2at6native12_GLOBAL__N_18offset_tEEE10hipError_tPvRmT1_PNSt15iterator_traitsISL_E10value_typeET2_T3_PNSM_ISR_E10value_typeET4_jRbjT5_SX_jjP12ihipStream_tbEUlT_E1_NS1_11comp_targetILNS1_3genE3ELNS1_11target_archE908ELNS1_3gpuE7ELNS1_3repE0EEENS1_59segmented_radix_sort_warp_sort_small_config_static_selectorELNS0_4arch9wavefront6targetE0EEEvSL_,comdat
.Lfunc_end1752:
	.size	_ZN7rocprim17ROCPRIM_400000_NS6detail17trampoline_kernelINS0_14default_configENS1_36segmented_radix_sort_config_selectorI6__halflEEZNS1_25segmented_radix_sort_implIS3_Lb1EPKS5_PS5_PKlPlN2at6native12_GLOBAL__N_18offset_tEEE10hipError_tPvRmT1_PNSt15iterator_traitsISL_E10value_typeET2_T3_PNSM_ISR_E10value_typeET4_jRbjT5_SX_jjP12ihipStream_tbEUlT_E1_NS1_11comp_targetILNS1_3genE3ELNS1_11target_archE908ELNS1_3gpuE7ELNS1_3repE0EEENS1_59segmented_radix_sort_warp_sort_small_config_static_selectorELNS0_4arch9wavefront6targetE0EEEvSL_, .Lfunc_end1752-_ZN7rocprim17ROCPRIM_400000_NS6detail17trampoline_kernelINS0_14default_configENS1_36segmented_radix_sort_config_selectorI6__halflEEZNS1_25segmented_radix_sort_implIS3_Lb1EPKS5_PS5_PKlPlN2at6native12_GLOBAL__N_18offset_tEEE10hipError_tPvRmT1_PNSt15iterator_traitsISL_E10value_typeET2_T3_PNSM_ISR_E10value_typeET4_jRbjT5_SX_jjP12ihipStream_tbEUlT_E1_NS1_11comp_targetILNS1_3genE3ELNS1_11target_archE908ELNS1_3gpuE7ELNS1_3repE0EEENS1_59segmented_radix_sort_warp_sort_small_config_static_selectorELNS0_4arch9wavefront6targetE0EEEvSL_
                                        ; -- End function
	.set _ZN7rocprim17ROCPRIM_400000_NS6detail17trampoline_kernelINS0_14default_configENS1_36segmented_radix_sort_config_selectorI6__halflEEZNS1_25segmented_radix_sort_implIS3_Lb1EPKS5_PS5_PKlPlN2at6native12_GLOBAL__N_18offset_tEEE10hipError_tPvRmT1_PNSt15iterator_traitsISL_E10value_typeET2_T3_PNSM_ISR_E10value_typeET4_jRbjT5_SX_jjP12ihipStream_tbEUlT_E1_NS1_11comp_targetILNS1_3genE3ELNS1_11target_archE908ELNS1_3gpuE7ELNS1_3repE0EEENS1_59segmented_radix_sort_warp_sort_small_config_static_selectorELNS0_4arch9wavefront6targetE0EEEvSL_.num_vgpr, 0
	.set _ZN7rocprim17ROCPRIM_400000_NS6detail17trampoline_kernelINS0_14default_configENS1_36segmented_radix_sort_config_selectorI6__halflEEZNS1_25segmented_radix_sort_implIS3_Lb1EPKS5_PS5_PKlPlN2at6native12_GLOBAL__N_18offset_tEEE10hipError_tPvRmT1_PNSt15iterator_traitsISL_E10value_typeET2_T3_PNSM_ISR_E10value_typeET4_jRbjT5_SX_jjP12ihipStream_tbEUlT_E1_NS1_11comp_targetILNS1_3genE3ELNS1_11target_archE908ELNS1_3gpuE7ELNS1_3repE0EEENS1_59segmented_radix_sort_warp_sort_small_config_static_selectorELNS0_4arch9wavefront6targetE0EEEvSL_.num_agpr, 0
	.set _ZN7rocprim17ROCPRIM_400000_NS6detail17trampoline_kernelINS0_14default_configENS1_36segmented_radix_sort_config_selectorI6__halflEEZNS1_25segmented_radix_sort_implIS3_Lb1EPKS5_PS5_PKlPlN2at6native12_GLOBAL__N_18offset_tEEE10hipError_tPvRmT1_PNSt15iterator_traitsISL_E10value_typeET2_T3_PNSM_ISR_E10value_typeET4_jRbjT5_SX_jjP12ihipStream_tbEUlT_E1_NS1_11comp_targetILNS1_3genE3ELNS1_11target_archE908ELNS1_3gpuE7ELNS1_3repE0EEENS1_59segmented_radix_sort_warp_sort_small_config_static_selectorELNS0_4arch9wavefront6targetE0EEEvSL_.numbered_sgpr, 0
	.set _ZN7rocprim17ROCPRIM_400000_NS6detail17trampoline_kernelINS0_14default_configENS1_36segmented_radix_sort_config_selectorI6__halflEEZNS1_25segmented_radix_sort_implIS3_Lb1EPKS5_PS5_PKlPlN2at6native12_GLOBAL__N_18offset_tEEE10hipError_tPvRmT1_PNSt15iterator_traitsISL_E10value_typeET2_T3_PNSM_ISR_E10value_typeET4_jRbjT5_SX_jjP12ihipStream_tbEUlT_E1_NS1_11comp_targetILNS1_3genE3ELNS1_11target_archE908ELNS1_3gpuE7ELNS1_3repE0EEENS1_59segmented_radix_sort_warp_sort_small_config_static_selectorELNS0_4arch9wavefront6targetE0EEEvSL_.num_named_barrier, 0
	.set _ZN7rocprim17ROCPRIM_400000_NS6detail17trampoline_kernelINS0_14default_configENS1_36segmented_radix_sort_config_selectorI6__halflEEZNS1_25segmented_radix_sort_implIS3_Lb1EPKS5_PS5_PKlPlN2at6native12_GLOBAL__N_18offset_tEEE10hipError_tPvRmT1_PNSt15iterator_traitsISL_E10value_typeET2_T3_PNSM_ISR_E10value_typeET4_jRbjT5_SX_jjP12ihipStream_tbEUlT_E1_NS1_11comp_targetILNS1_3genE3ELNS1_11target_archE908ELNS1_3gpuE7ELNS1_3repE0EEENS1_59segmented_radix_sort_warp_sort_small_config_static_selectorELNS0_4arch9wavefront6targetE0EEEvSL_.private_seg_size, 0
	.set _ZN7rocprim17ROCPRIM_400000_NS6detail17trampoline_kernelINS0_14default_configENS1_36segmented_radix_sort_config_selectorI6__halflEEZNS1_25segmented_radix_sort_implIS3_Lb1EPKS5_PS5_PKlPlN2at6native12_GLOBAL__N_18offset_tEEE10hipError_tPvRmT1_PNSt15iterator_traitsISL_E10value_typeET2_T3_PNSM_ISR_E10value_typeET4_jRbjT5_SX_jjP12ihipStream_tbEUlT_E1_NS1_11comp_targetILNS1_3genE3ELNS1_11target_archE908ELNS1_3gpuE7ELNS1_3repE0EEENS1_59segmented_radix_sort_warp_sort_small_config_static_selectorELNS0_4arch9wavefront6targetE0EEEvSL_.uses_vcc, 0
	.set _ZN7rocprim17ROCPRIM_400000_NS6detail17trampoline_kernelINS0_14default_configENS1_36segmented_radix_sort_config_selectorI6__halflEEZNS1_25segmented_radix_sort_implIS3_Lb1EPKS5_PS5_PKlPlN2at6native12_GLOBAL__N_18offset_tEEE10hipError_tPvRmT1_PNSt15iterator_traitsISL_E10value_typeET2_T3_PNSM_ISR_E10value_typeET4_jRbjT5_SX_jjP12ihipStream_tbEUlT_E1_NS1_11comp_targetILNS1_3genE3ELNS1_11target_archE908ELNS1_3gpuE7ELNS1_3repE0EEENS1_59segmented_radix_sort_warp_sort_small_config_static_selectorELNS0_4arch9wavefront6targetE0EEEvSL_.uses_flat_scratch, 0
	.set _ZN7rocprim17ROCPRIM_400000_NS6detail17trampoline_kernelINS0_14default_configENS1_36segmented_radix_sort_config_selectorI6__halflEEZNS1_25segmented_radix_sort_implIS3_Lb1EPKS5_PS5_PKlPlN2at6native12_GLOBAL__N_18offset_tEEE10hipError_tPvRmT1_PNSt15iterator_traitsISL_E10value_typeET2_T3_PNSM_ISR_E10value_typeET4_jRbjT5_SX_jjP12ihipStream_tbEUlT_E1_NS1_11comp_targetILNS1_3genE3ELNS1_11target_archE908ELNS1_3gpuE7ELNS1_3repE0EEENS1_59segmented_radix_sort_warp_sort_small_config_static_selectorELNS0_4arch9wavefront6targetE0EEEvSL_.has_dyn_sized_stack, 0
	.set _ZN7rocprim17ROCPRIM_400000_NS6detail17trampoline_kernelINS0_14default_configENS1_36segmented_radix_sort_config_selectorI6__halflEEZNS1_25segmented_radix_sort_implIS3_Lb1EPKS5_PS5_PKlPlN2at6native12_GLOBAL__N_18offset_tEEE10hipError_tPvRmT1_PNSt15iterator_traitsISL_E10value_typeET2_T3_PNSM_ISR_E10value_typeET4_jRbjT5_SX_jjP12ihipStream_tbEUlT_E1_NS1_11comp_targetILNS1_3genE3ELNS1_11target_archE908ELNS1_3gpuE7ELNS1_3repE0EEENS1_59segmented_radix_sort_warp_sort_small_config_static_selectorELNS0_4arch9wavefront6targetE0EEEvSL_.has_recursion, 0
	.set _ZN7rocprim17ROCPRIM_400000_NS6detail17trampoline_kernelINS0_14default_configENS1_36segmented_radix_sort_config_selectorI6__halflEEZNS1_25segmented_radix_sort_implIS3_Lb1EPKS5_PS5_PKlPlN2at6native12_GLOBAL__N_18offset_tEEE10hipError_tPvRmT1_PNSt15iterator_traitsISL_E10value_typeET2_T3_PNSM_ISR_E10value_typeET4_jRbjT5_SX_jjP12ihipStream_tbEUlT_E1_NS1_11comp_targetILNS1_3genE3ELNS1_11target_archE908ELNS1_3gpuE7ELNS1_3repE0EEENS1_59segmented_radix_sort_warp_sort_small_config_static_selectorELNS0_4arch9wavefront6targetE0EEEvSL_.has_indirect_call, 0
	.section	.AMDGPU.csdata,"",@progbits
; Kernel info:
; codeLenInByte = 0
; TotalNumSgprs: 0
; NumVgprs: 0
; ScratchSize: 0
; MemoryBound: 0
; FloatMode: 240
; IeeeMode: 1
; LDSByteSize: 0 bytes/workgroup (compile time only)
; SGPRBlocks: 0
; VGPRBlocks: 0
; NumSGPRsForWavesPerEU: 1
; NumVGPRsForWavesPerEU: 1
; Occupancy: 16
; WaveLimiterHint : 0
; COMPUTE_PGM_RSRC2:SCRATCH_EN: 0
; COMPUTE_PGM_RSRC2:USER_SGPR: 6
; COMPUTE_PGM_RSRC2:TRAP_HANDLER: 0
; COMPUTE_PGM_RSRC2:TGID_X_EN: 1
; COMPUTE_PGM_RSRC2:TGID_Y_EN: 0
; COMPUTE_PGM_RSRC2:TGID_Z_EN: 0
; COMPUTE_PGM_RSRC2:TIDIG_COMP_CNT: 0
	.section	.text._ZN7rocprim17ROCPRIM_400000_NS6detail17trampoline_kernelINS0_14default_configENS1_36segmented_radix_sort_config_selectorI6__halflEEZNS1_25segmented_radix_sort_implIS3_Lb1EPKS5_PS5_PKlPlN2at6native12_GLOBAL__N_18offset_tEEE10hipError_tPvRmT1_PNSt15iterator_traitsISL_E10value_typeET2_T3_PNSM_ISR_E10value_typeET4_jRbjT5_SX_jjP12ihipStream_tbEUlT_E1_NS1_11comp_targetILNS1_3genE2ELNS1_11target_archE906ELNS1_3gpuE6ELNS1_3repE0EEENS1_59segmented_radix_sort_warp_sort_small_config_static_selectorELNS0_4arch9wavefront6targetE0EEEvSL_,"axG",@progbits,_ZN7rocprim17ROCPRIM_400000_NS6detail17trampoline_kernelINS0_14default_configENS1_36segmented_radix_sort_config_selectorI6__halflEEZNS1_25segmented_radix_sort_implIS3_Lb1EPKS5_PS5_PKlPlN2at6native12_GLOBAL__N_18offset_tEEE10hipError_tPvRmT1_PNSt15iterator_traitsISL_E10value_typeET2_T3_PNSM_ISR_E10value_typeET4_jRbjT5_SX_jjP12ihipStream_tbEUlT_E1_NS1_11comp_targetILNS1_3genE2ELNS1_11target_archE906ELNS1_3gpuE6ELNS1_3repE0EEENS1_59segmented_radix_sort_warp_sort_small_config_static_selectorELNS0_4arch9wavefront6targetE0EEEvSL_,comdat
	.globl	_ZN7rocprim17ROCPRIM_400000_NS6detail17trampoline_kernelINS0_14default_configENS1_36segmented_radix_sort_config_selectorI6__halflEEZNS1_25segmented_radix_sort_implIS3_Lb1EPKS5_PS5_PKlPlN2at6native12_GLOBAL__N_18offset_tEEE10hipError_tPvRmT1_PNSt15iterator_traitsISL_E10value_typeET2_T3_PNSM_ISR_E10value_typeET4_jRbjT5_SX_jjP12ihipStream_tbEUlT_E1_NS1_11comp_targetILNS1_3genE2ELNS1_11target_archE906ELNS1_3gpuE6ELNS1_3repE0EEENS1_59segmented_radix_sort_warp_sort_small_config_static_selectorELNS0_4arch9wavefront6targetE0EEEvSL_ ; -- Begin function _ZN7rocprim17ROCPRIM_400000_NS6detail17trampoline_kernelINS0_14default_configENS1_36segmented_radix_sort_config_selectorI6__halflEEZNS1_25segmented_radix_sort_implIS3_Lb1EPKS5_PS5_PKlPlN2at6native12_GLOBAL__N_18offset_tEEE10hipError_tPvRmT1_PNSt15iterator_traitsISL_E10value_typeET2_T3_PNSM_ISR_E10value_typeET4_jRbjT5_SX_jjP12ihipStream_tbEUlT_E1_NS1_11comp_targetILNS1_3genE2ELNS1_11target_archE906ELNS1_3gpuE6ELNS1_3repE0EEENS1_59segmented_radix_sort_warp_sort_small_config_static_selectorELNS0_4arch9wavefront6targetE0EEEvSL_
	.p2align	8
	.type	_ZN7rocprim17ROCPRIM_400000_NS6detail17trampoline_kernelINS0_14default_configENS1_36segmented_radix_sort_config_selectorI6__halflEEZNS1_25segmented_radix_sort_implIS3_Lb1EPKS5_PS5_PKlPlN2at6native12_GLOBAL__N_18offset_tEEE10hipError_tPvRmT1_PNSt15iterator_traitsISL_E10value_typeET2_T3_PNSM_ISR_E10value_typeET4_jRbjT5_SX_jjP12ihipStream_tbEUlT_E1_NS1_11comp_targetILNS1_3genE2ELNS1_11target_archE906ELNS1_3gpuE6ELNS1_3repE0EEENS1_59segmented_radix_sort_warp_sort_small_config_static_selectorELNS0_4arch9wavefront6targetE0EEEvSL_,@function
_ZN7rocprim17ROCPRIM_400000_NS6detail17trampoline_kernelINS0_14default_configENS1_36segmented_radix_sort_config_selectorI6__halflEEZNS1_25segmented_radix_sort_implIS3_Lb1EPKS5_PS5_PKlPlN2at6native12_GLOBAL__N_18offset_tEEE10hipError_tPvRmT1_PNSt15iterator_traitsISL_E10value_typeET2_T3_PNSM_ISR_E10value_typeET4_jRbjT5_SX_jjP12ihipStream_tbEUlT_E1_NS1_11comp_targetILNS1_3genE2ELNS1_11target_archE906ELNS1_3gpuE6ELNS1_3repE0EEENS1_59segmented_radix_sort_warp_sort_small_config_static_selectorELNS0_4arch9wavefront6targetE0EEEvSL_: ; @_ZN7rocprim17ROCPRIM_400000_NS6detail17trampoline_kernelINS0_14default_configENS1_36segmented_radix_sort_config_selectorI6__halflEEZNS1_25segmented_radix_sort_implIS3_Lb1EPKS5_PS5_PKlPlN2at6native12_GLOBAL__N_18offset_tEEE10hipError_tPvRmT1_PNSt15iterator_traitsISL_E10value_typeET2_T3_PNSM_ISR_E10value_typeET4_jRbjT5_SX_jjP12ihipStream_tbEUlT_E1_NS1_11comp_targetILNS1_3genE2ELNS1_11target_archE906ELNS1_3gpuE6ELNS1_3repE0EEENS1_59segmented_radix_sort_warp_sort_small_config_static_selectorELNS0_4arch9wavefront6targetE0EEEvSL_
; %bb.0:
	.section	.rodata,"a",@progbits
	.p2align	6, 0x0
	.amdhsa_kernel _ZN7rocprim17ROCPRIM_400000_NS6detail17trampoline_kernelINS0_14default_configENS1_36segmented_radix_sort_config_selectorI6__halflEEZNS1_25segmented_radix_sort_implIS3_Lb1EPKS5_PS5_PKlPlN2at6native12_GLOBAL__N_18offset_tEEE10hipError_tPvRmT1_PNSt15iterator_traitsISL_E10value_typeET2_T3_PNSM_ISR_E10value_typeET4_jRbjT5_SX_jjP12ihipStream_tbEUlT_E1_NS1_11comp_targetILNS1_3genE2ELNS1_11target_archE906ELNS1_3gpuE6ELNS1_3repE0EEENS1_59segmented_radix_sort_warp_sort_small_config_static_selectorELNS0_4arch9wavefront6targetE0EEEvSL_
		.amdhsa_group_segment_fixed_size 0
		.amdhsa_private_segment_fixed_size 0
		.amdhsa_kernarg_size 88
		.amdhsa_user_sgpr_count 6
		.amdhsa_user_sgpr_private_segment_buffer 1
		.amdhsa_user_sgpr_dispatch_ptr 0
		.amdhsa_user_sgpr_queue_ptr 0
		.amdhsa_user_sgpr_kernarg_segment_ptr 1
		.amdhsa_user_sgpr_dispatch_id 0
		.amdhsa_user_sgpr_flat_scratch_init 0
		.amdhsa_user_sgpr_private_segment_size 0
		.amdhsa_wavefront_size32 1
		.amdhsa_uses_dynamic_stack 0
		.amdhsa_system_sgpr_private_segment_wavefront_offset 0
		.amdhsa_system_sgpr_workgroup_id_x 1
		.amdhsa_system_sgpr_workgroup_id_y 0
		.amdhsa_system_sgpr_workgroup_id_z 0
		.amdhsa_system_sgpr_workgroup_info 0
		.amdhsa_system_vgpr_workitem_id 0
		.amdhsa_next_free_vgpr 1
		.amdhsa_next_free_sgpr 1
		.amdhsa_reserve_vcc 0
		.amdhsa_reserve_flat_scratch 0
		.amdhsa_float_round_mode_32 0
		.amdhsa_float_round_mode_16_64 0
		.amdhsa_float_denorm_mode_32 3
		.amdhsa_float_denorm_mode_16_64 3
		.amdhsa_dx10_clamp 1
		.amdhsa_ieee_mode 1
		.amdhsa_fp16_overflow 0
		.amdhsa_workgroup_processor_mode 1
		.amdhsa_memory_ordered 1
		.amdhsa_forward_progress 1
		.amdhsa_shared_vgpr_count 0
		.amdhsa_exception_fp_ieee_invalid_op 0
		.amdhsa_exception_fp_denorm_src 0
		.amdhsa_exception_fp_ieee_div_zero 0
		.amdhsa_exception_fp_ieee_overflow 0
		.amdhsa_exception_fp_ieee_underflow 0
		.amdhsa_exception_fp_ieee_inexact 0
		.amdhsa_exception_int_div_zero 0
	.end_amdhsa_kernel
	.section	.text._ZN7rocprim17ROCPRIM_400000_NS6detail17trampoline_kernelINS0_14default_configENS1_36segmented_radix_sort_config_selectorI6__halflEEZNS1_25segmented_radix_sort_implIS3_Lb1EPKS5_PS5_PKlPlN2at6native12_GLOBAL__N_18offset_tEEE10hipError_tPvRmT1_PNSt15iterator_traitsISL_E10value_typeET2_T3_PNSM_ISR_E10value_typeET4_jRbjT5_SX_jjP12ihipStream_tbEUlT_E1_NS1_11comp_targetILNS1_3genE2ELNS1_11target_archE906ELNS1_3gpuE6ELNS1_3repE0EEENS1_59segmented_radix_sort_warp_sort_small_config_static_selectorELNS0_4arch9wavefront6targetE0EEEvSL_,"axG",@progbits,_ZN7rocprim17ROCPRIM_400000_NS6detail17trampoline_kernelINS0_14default_configENS1_36segmented_radix_sort_config_selectorI6__halflEEZNS1_25segmented_radix_sort_implIS3_Lb1EPKS5_PS5_PKlPlN2at6native12_GLOBAL__N_18offset_tEEE10hipError_tPvRmT1_PNSt15iterator_traitsISL_E10value_typeET2_T3_PNSM_ISR_E10value_typeET4_jRbjT5_SX_jjP12ihipStream_tbEUlT_E1_NS1_11comp_targetILNS1_3genE2ELNS1_11target_archE906ELNS1_3gpuE6ELNS1_3repE0EEENS1_59segmented_radix_sort_warp_sort_small_config_static_selectorELNS0_4arch9wavefront6targetE0EEEvSL_,comdat
.Lfunc_end1753:
	.size	_ZN7rocprim17ROCPRIM_400000_NS6detail17trampoline_kernelINS0_14default_configENS1_36segmented_radix_sort_config_selectorI6__halflEEZNS1_25segmented_radix_sort_implIS3_Lb1EPKS5_PS5_PKlPlN2at6native12_GLOBAL__N_18offset_tEEE10hipError_tPvRmT1_PNSt15iterator_traitsISL_E10value_typeET2_T3_PNSM_ISR_E10value_typeET4_jRbjT5_SX_jjP12ihipStream_tbEUlT_E1_NS1_11comp_targetILNS1_3genE2ELNS1_11target_archE906ELNS1_3gpuE6ELNS1_3repE0EEENS1_59segmented_radix_sort_warp_sort_small_config_static_selectorELNS0_4arch9wavefront6targetE0EEEvSL_, .Lfunc_end1753-_ZN7rocprim17ROCPRIM_400000_NS6detail17trampoline_kernelINS0_14default_configENS1_36segmented_radix_sort_config_selectorI6__halflEEZNS1_25segmented_radix_sort_implIS3_Lb1EPKS5_PS5_PKlPlN2at6native12_GLOBAL__N_18offset_tEEE10hipError_tPvRmT1_PNSt15iterator_traitsISL_E10value_typeET2_T3_PNSM_ISR_E10value_typeET4_jRbjT5_SX_jjP12ihipStream_tbEUlT_E1_NS1_11comp_targetILNS1_3genE2ELNS1_11target_archE906ELNS1_3gpuE6ELNS1_3repE0EEENS1_59segmented_radix_sort_warp_sort_small_config_static_selectorELNS0_4arch9wavefront6targetE0EEEvSL_
                                        ; -- End function
	.set _ZN7rocprim17ROCPRIM_400000_NS6detail17trampoline_kernelINS0_14default_configENS1_36segmented_radix_sort_config_selectorI6__halflEEZNS1_25segmented_radix_sort_implIS3_Lb1EPKS5_PS5_PKlPlN2at6native12_GLOBAL__N_18offset_tEEE10hipError_tPvRmT1_PNSt15iterator_traitsISL_E10value_typeET2_T3_PNSM_ISR_E10value_typeET4_jRbjT5_SX_jjP12ihipStream_tbEUlT_E1_NS1_11comp_targetILNS1_3genE2ELNS1_11target_archE906ELNS1_3gpuE6ELNS1_3repE0EEENS1_59segmented_radix_sort_warp_sort_small_config_static_selectorELNS0_4arch9wavefront6targetE0EEEvSL_.num_vgpr, 0
	.set _ZN7rocprim17ROCPRIM_400000_NS6detail17trampoline_kernelINS0_14default_configENS1_36segmented_radix_sort_config_selectorI6__halflEEZNS1_25segmented_radix_sort_implIS3_Lb1EPKS5_PS5_PKlPlN2at6native12_GLOBAL__N_18offset_tEEE10hipError_tPvRmT1_PNSt15iterator_traitsISL_E10value_typeET2_T3_PNSM_ISR_E10value_typeET4_jRbjT5_SX_jjP12ihipStream_tbEUlT_E1_NS1_11comp_targetILNS1_3genE2ELNS1_11target_archE906ELNS1_3gpuE6ELNS1_3repE0EEENS1_59segmented_radix_sort_warp_sort_small_config_static_selectorELNS0_4arch9wavefront6targetE0EEEvSL_.num_agpr, 0
	.set _ZN7rocprim17ROCPRIM_400000_NS6detail17trampoline_kernelINS0_14default_configENS1_36segmented_radix_sort_config_selectorI6__halflEEZNS1_25segmented_radix_sort_implIS3_Lb1EPKS5_PS5_PKlPlN2at6native12_GLOBAL__N_18offset_tEEE10hipError_tPvRmT1_PNSt15iterator_traitsISL_E10value_typeET2_T3_PNSM_ISR_E10value_typeET4_jRbjT5_SX_jjP12ihipStream_tbEUlT_E1_NS1_11comp_targetILNS1_3genE2ELNS1_11target_archE906ELNS1_3gpuE6ELNS1_3repE0EEENS1_59segmented_radix_sort_warp_sort_small_config_static_selectorELNS0_4arch9wavefront6targetE0EEEvSL_.numbered_sgpr, 0
	.set _ZN7rocprim17ROCPRIM_400000_NS6detail17trampoline_kernelINS0_14default_configENS1_36segmented_radix_sort_config_selectorI6__halflEEZNS1_25segmented_radix_sort_implIS3_Lb1EPKS5_PS5_PKlPlN2at6native12_GLOBAL__N_18offset_tEEE10hipError_tPvRmT1_PNSt15iterator_traitsISL_E10value_typeET2_T3_PNSM_ISR_E10value_typeET4_jRbjT5_SX_jjP12ihipStream_tbEUlT_E1_NS1_11comp_targetILNS1_3genE2ELNS1_11target_archE906ELNS1_3gpuE6ELNS1_3repE0EEENS1_59segmented_radix_sort_warp_sort_small_config_static_selectorELNS0_4arch9wavefront6targetE0EEEvSL_.num_named_barrier, 0
	.set _ZN7rocprim17ROCPRIM_400000_NS6detail17trampoline_kernelINS0_14default_configENS1_36segmented_radix_sort_config_selectorI6__halflEEZNS1_25segmented_radix_sort_implIS3_Lb1EPKS5_PS5_PKlPlN2at6native12_GLOBAL__N_18offset_tEEE10hipError_tPvRmT1_PNSt15iterator_traitsISL_E10value_typeET2_T3_PNSM_ISR_E10value_typeET4_jRbjT5_SX_jjP12ihipStream_tbEUlT_E1_NS1_11comp_targetILNS1_3genE2ELNS1_11target_archE906ELNS1_3gpuE6ELNS1_3repE0EEENS1_59segmented_radix_sort_warp_sort_small_config_static_selectorELNS0_4arch9wavefront6targetE0EEEvSL_.private_seg_size, 0
	.set _ZN7rocprim17ROCPRIM_400000_NS6detail17trampoline_kernelINS0_14default_configENS1_36segmented_radix_sort_config_selectorI6__halflEEZNS1_25segmented_radix_sort_implIS3_Lb1EPKS5_PS5_PKlPlN2at6native12_GLOBAL__N_18offset_tEEE10hipError_tPvRmT1_PNSt15iterator_traitsISL_E10value_typeET2_T3_PNSM_ISR_E10value_typeET4_jRbjT5_SX_jjP12ihipStream_tbEUlT_E1_NS1_11comp_targetILNS1_3genE2ELNS1_11target_archE906ELNS1_3gpuE6ELNS1_3repE0EEENS1_59segmented_radix_sort_warp_sort_small_config_static_selectorELNS0_4arch9wavefront6targetE0EEEvSL_.uses_vcc, 0
	.set _ZN7rocprim17ROCPRIM_400000_NS6detail17trampoline_kernelINS0_14default_configENS1_36segmented_radix_sort_config_selectorI6__halflEEZNS1_25segmented_radix_sort_implIS3_Lb1EPKS5_PS5_PKlPlN2at6native12_GLOBAL__N_18offset_tEEE10hipError_tPvRmT1_PNSt15iterator_traitsISL_E10value_typeET2_T3_PNSM_ISR_E10value_typeET4_jRbjT5_SX_jjP12ihipStream_tbEUlT_E1_NS1_11comp_targetILNS1_3genE2ELNS1_11target_archE906ELNS1_3gpuE6ELNS1_3repE0EEENS1_59segmented_radix_sort_warp_sort_small_config_static_selectorELNS0_4arch9wavefront6targetE0EEEvSL_.uses_flat_scratch, 0
	.set _ZN7rocprim17ROCPRIM_400000_NS6detail17trampoline_kernelINS0_14default_configENS1_36segmented_radix_sort_config_selectorI6__halflEEZNS1_25segmented_radix_sort_implIS3_Lb1EPKS5_PS5_PKlPlN2at6native12_GLOBAL__N_18offset_tEEE10hipError_tPvRmT1_PNSt15iterator_traitsISL_E10value_typeET2_T3_PNSM_ISR_E10value_typeET4_jRbjT5_SX_jjP12ihipStream_tbEUlT_E1_NS1_11comp_targetILNS1_3genE2ELNS1_11target_archE906ELNS1_3gpuE6ELNS1_3repE0EEENS1_59segmented_radix_sort_warp_sort_small_config_static_selectorELNS0_4arch9wavefront6targetE0EEEvSL_.has_dyn_sized_stack, 0
	.set _ZN7rocprim17ROCPRIM_400000_NS6detail17trampoline_kernelINS0_14default_configENS1_36segmented_radix_sort_config_selectorI6__halflEEZNS1_25segmented_radix_sort_implIS3_Lb1EPKS5_PS5_PKlPlN2at6native12_GLOBAL__N_18offset_tEEE10hipError_tPvRmT1_PNSt15iterator_traitsISL_E10value_typeET2_T3_PNSM_ISR_E10value_typeET4_jRbjT5_SX_jjP12ihipStream_tbEUlT_E1_NS1_11comp_targetILNS1_3genE2ELNS1_11target_archE906ELNS1_3gpuE6ELNS1_3repE0EEENS1_59segmented_radix_sort_warp_sort_small_config_static_selectorELNS0_4arch9wavefront6targetE0EEEvSL_.has_recursion, 0
	.set _ZN7rocprim17ROCPRIM_400000_NS6detail17trampoline_kernelINS0_14default_configENS1_36segmented_radix_sort_config_selectorI6__halflEEZNS1_25segmented_radix_sort_implIS3_Lb1EPKS5_PS5_PKlPlN2at6native12_GLOBAL__N_18offset_tEEE10hipError_tPvRmT1_PNSt15iterator_traitsISL_E10value_typeET2_T3_PNSM_ISR_E10value_typeET4_jRbjT5_SX_jjP12ihipStream_tbEUlT_E1_NS1_11comp_targetILNS1_3genE2ELNS1_11target_archE906ELNS1_3gpuE6ELNS1_3repE0EEENS1_59segmented_radix_sort_warp_sort_small_config_static_selectorELNS0_4arch9wavefront6targetE0EEEvSL_.has_indirect_call, 0
	.section	.AMDGPU.csdata,"",@progbits
; Kernel info:
; codeLenInByte = 0
; TotalNumSgprs: 0
; NumVgprs: 0
; ScratchSize: 0
; MemoryBound: 0
; FloatMode: 240
; IeeeMode: 1
; LDSByteSize: 0 bytes/workgroup (compile time only)
; SGPRBlocks: 0
; VGPRBlocks: 0
; NumSGPRsForWavesPerEU: 1
; NumVGPRsForWavesPerEU: 1
; Occupancy: 16
; WaveLimiterHint : 0
; COMPUTE_PGM_RSRC2:SCRATCH_EN: 0
; COMPUTE_PGM_RSRC2:USER_SGPR: 6
; COMPUTE_PGM_RSRC2:TRAP_HANDLER: 0
; COMPUTE_PGM_RSRC2:TGID_X_EN: 1
; COMPUTE_PGM_RSRC2:TGID_Y_EN: 0
; COMPUTE_PGM_RSRC2:TGID_Z_EN: 0
; COMPUTE_PGM_RSRC2:TIDIG_COMP_CNT: 0
	.section	.text._ZN7rocprim17ROCPRIM_400000_NS6detail17trampoline_kernelINS0_14default_configENS1_36segmented_radix_sort_config_selectorI6__halflEEZNS1_25segmented_radix_sort_implIS3_Lb1EPKS5_PS5_PKlPlN2at6native12_GLOBAL__N_18offset_tEEE10hipError_tPvRmT1_PNSt15iterator_traitsISL_E10value_typeET2_T3_PNSM_ISR_E10value_typeET4_jRbjT5_SX_jjP12ihipStream_tbEUlT_E1_NS1_11comp_targetILNS1_3genE10ELNS1_11target_archE1201ELNS1_3gpuE5ELNS1_3repE0EEENS1_59segmented_radix_sort_warp_sort_small_config_static_selectorELNS0_4arch9wavefront6targetE0EEEvSL_,"axG",@progbits,_ZN7rocprim17ROCPRIM_400000_NS6detail17trampoline_kernelINS0_14default_configENS1_36segmented_radix_sort_config_selectorI6__halflEEZNS1_25segmented_radix_sort_implIS3_Lb1EPKS5_PS5_PKlPlN2at6native12_GLOBAL__N_18offset_tEEE10hipError_tPvRmT1_PNSt15iterator_traitsISL_E10value_typeET2_T3_PNSM_ISR_E10value_typeET4_jRbjT5_SX_jjP12ihipStream_tbEUlT_E1_NS1_11comp_targetILNS1_3genE10ELNS1_11target_archE1201ELNS1_3gpuE5ELNS1_3repE0EEENS1_59segmented_radix_sort_warp_sort_small_config_static_selectorELNS0_4arch9wavefront6targetE0EEEvSL_,comdat
	.globl	_ZN7rocprim17ROCPRIM_400000_NS6detail17trampoline_kernelINS0_14default_configENS1_36segmented_radix_sort_config_selectorI6__halflEEZNS1_25segmented_radix_sort_implIS3_Lb1EPKS5_PS5_PKlPlN2at6native12_GLOBAL__N_18offset_tEEE10hipError_tPvRmT1_PNSt15iterator_traitsISL_E10value_typeET2_T3_PNSM_ISR_E10value_typeET4_jRbjT5_SX_jjP12ihipStream_tbEUlT_E1_NS1_11comp_targetILNS1_3genE10ELNS1_11target_archE1201ELNS1_3gpuE5ELNS1_3repE0EEENS1_59segmented_radix_sort_warp_sort_small_config_static_selectorELNS0_4arch9wavefront6targetE0EEEvSL_ ; -- Begin function _ZN7rocprim17ROCPRIM_400000_NS6detail17trampoline_kernelINS0_14default_configENS1_36segmented_radix_sort_config_selectorI6__halflEEZNS1_25segmented_radix_sort_implIS3_Lb1EPKS5_PS5_PKlPlN2at6native12_GLOBAL__N_18offset_tEEE10hipError_tPvRmT1_PNSt15iterator_traitsISL_E10value_typeET2_T3_PNSM_ISR_E10value_typeET4_jRbjT5_SX_jjP12ihipStream_tbEUlT_E1_NS1_11comp_targetILNS1_3genE10ELNS1_11target_archE1201ELNS1_3gpuE5ELNS1_3repE0EEENS1_59segmented_radix_sort_warp_sort_small_config_static_selectorELNS0_4arch9wavefront6targetE0EEEvSL_
	.p2align	8
	.type	_ZN7rocprim17ROCPRIM_400000_NS6detail17trampoline_kernelINS0_14default_configENS1_36segmented_radix_sort_config_selectorI6__halflEEZNS1_25segmented_radix_sort_implIS3_Lb1EPKS5_PS5_PKlPlN2at6native12_GLOBAL__N_18offset_tEEE10hipError_tPvRmT1_PNSt15iterator_traitsISL_E10value_typeET2_T3_PNSM_ISR_E10value_typeET4_jRbjT5_SX_jjP12ihipStream_tbEUlT_E1_NS1_11comp_targetILNS1_3genE10ELNS1_11target_archE1201ELNS1_3gpuE5ELNS1_3repE0EEENS1_59segmented_radix_sort_warp_sort_small_config_static_selectorELNS0_4arch9wavefront6targetE0EEEvSL_,@function
_ZN7rocprim17ROCPRIM_400000_NS6detail17trampoline_kernelINS0_14default_configENS1_36segmented_radix_sort_config_selectorI6__halflEEZNS1_25segmented_radix_sort_implIS3_Lb1EPKS5_PS5_PKlPlN2at6native12_GLOBAL__N_18offset_tEEE10hipError_tPvRmT1_PNSt15iterator_traitsISL_E10value_typeET2_T3_PNSM_ISR_E10value_typeET4_jRbjT5_SX_jjP12ihipStream_tbEUlT_E1_NS1_11comp_targetILNS1_3genE10ELNS1_11target_archE1201ELNS1_3gpuE5ELNS1_3repE0EEENS1_59segmented_radix_sort_warp_sort_small_config_static_selectorELNS0_4arch9wavefront6targetE0EEEvSL_: ; @_ZN7rocprim17ROCPRIM_400000_NS6detail17trampoline_kernelINS0_14default_configENS1_36segmented_radix_sort_config_selectorI6__halflEEZNS1_25segmented_radix_sort_implIS3_Lb1EPKS5_PS5_PKlPlN2at6native12_GLOBAL__N_18offset_tEEE10hipError_tPvRmT1_PNSt15iterator_traitsISL_E10value_typeET2_T3_PNSM_ISR_E10value_typeET4_jRbjT5_SX_jjP12ihipStream_tbEUlT_E1_NS1_11comp_targetILNS1_3genE10ELNS1_11target_archE1201ELNS1_3gpuE5ELNS1_3repE0EEENS1_59segmented_radix_sort_warp_sort_small_config_static_selectorELNS0_4arch9wavefront6targetE0EEEvSL_
; %bb.0:
	.section	.rodata,"a",@progbits
	.p2align	6, 0x0
	.amdhsa_kernel _ZN7rocprim17ROCPRIM_400000_NS6detail17trampoline_kernelINS0_14default_configENS1_36segmented_radix_sort_config_selectorI6__halflEEZNS1_25segmented_radix_sort_implIS3_Lb1EPKS5_PS5_PKlPlN2at6native12_GLOBAL__N_18offset_tEEE10hipError_tPvRmT1_PNSt15iterator_traitsISL_E10value_typeET2_T3_PNSM_ISR_E10value_typeET4_jRbjT5_SX_jjP12ihipStream_tbEUlT_E1_NS1_11comp_targetILNS1_3genE10ELNS1_11target_archE1201ELNS1_3gpuE5ELNS1_3repE0EEENS1_59segmented_radix_sort_warp_sort_small_config_static_selectorELNS0_4arch9wavefront6targetE0EEEvSL_
		.amdhsa_group_segment_fixed_size 0
		.amdhsa_private_segment_fixed_size 0
		.amdhsa_kernarg_size 88
		.amdhsa_user_sgpr_count 6
		.amdhsa_user_sgpr_private_segment_buffer 1
		.amdhsa_user_sgpr_dispatch_ptr 0
		.amdhsa_user_sgpr_queue_ptr 0
		.amdhsa_user_sgpr_kernarg_segment_ptr 1
		.amdhsa_user_sgpr_dispatch_id 0
		.amdhsa_user_sgpr_flat_scratch_init 0
		.amdhsa_user_sgpr_private_segment_size 0
		.amdhsa_wavefront_size32 1
		.amdhsa_uses_dynamic_stack 0
		.amdhsa_system_sgpr_private_segment_wavefront_offset 0
		.amdhsa_system_sgpr_workgroup_id_x 1
		.amdhsa_system_sgpr_workgroup_id_y 0
		.amdhsa_system_sgpr_workgroup_id_z 0
		.amdhsa_system_sgpr_workgroup_info 0
		.amdhsa_system_vgpr_workitem_id 0
		.amdhsa_next_free_vgpr 1
		.amdhsa_next_free_sgpr 1
		.amdhsa_reserve_vcc 0
		.amdhsa_reserve_flat_scratch 0
		.amdhsa_float_round_mode_32 0
		.amdhsa_float_round_mode_16_64 0
		.amdhsa_float_denorm_mode_32 3
		.amdhsa_float_denorm_mode_16_64 3
		.amdhsa_dx10_clamp 1
		.amdhsa_ieee_mode 1
		.amdhsa_fp16_overflow 0
		.amdhsa_workgroup_processor_mode 1
		.amdhsa_memory_ordered 1
		.amdhsa_forward_progress 1
		.amdhsa_shared_vgpr_count 0
		.amdhsa_exception_fp_ieee_invalid_op 0
		.amdhsa_exception_fp_denorm_src 0
		.amdhsa_exception_fp_ieee_div_zero 0
		.amdhsa_exception_fp_ieee_overflow 0
		.amdhsa_exception_fp_ieee_underflow 0
		.amdhsa_exception_fp_ieee_inexact 0
		.amdhsa_exception_int_div_zero 0
	.end_amdhsa_kernel
	.section	.text._ZN7rocprim17ROCPRIM_400000_NS6detail17trampoline_kernelINS0_14default_configENS1_36segmented_radix_sort_config_selectorI6__halflEEZNS1_25segmented_radix_sort_implIS3_Lb1EPKS5_PS5_PKlPlN2at6native12_GLOBAL__N_18offset_tEEE10hipError_tPvRmT1_PNSt15iterator_traitsISL_E10value_typeET2_T3_PNSM_ISR_E10value_typeET4_jRbjT5_SX_jjP12ihipStream_tbEUlT_E1_NS1_11comp_targetILNS1_3genE10ELNS1_11target_archE1201ELNS1_3gpuE5ELNS1_3repE0EEENS1_59segmented_radix_sort_warp_sort_small_config_static_selectorELNS0_4arch9wavefront6targetE0EEEvSL_,"axG",@progbits,_ZN7rocprim17ROCPRIM_400000_NS6detail17trampoline_kernelINS0_14default_configENS1_36segmented_radix_sort_config_selectorI6__halflEEZNS1_25segmented_radix_sort_implIS3_Lb1EPKS5_PS5_PKlPlN2at6native12_GLOBAL__N_18offset_tEEE10hipError_tPvRmT1_PNSt15iterator_traitsISL_E10value_typeET2_T3_PNSM_ISR_E10value_typeET4_jRbjT5_SX_jjP12ihipStream_tbEUlT_E1_NS1_11comp_targetILNS1_3genE10ELNS1_11target_archE1201ELNS1_3gpuE5ELNS1_3repE0EEENS1_59segmented_radix_sort_warp_sort_small_config_static_selectorELNS0_4arch9wavefront6targetE0EEEvSL_,comdat
.Lfunc_end1754:
	.size	_ZN7rocprim17ROCPRIM_400000_NS6detail17trampoline_kernelINS0_14default_configENS1_36segmented_radix_sort_config_selectorI6__halflEEZNS1_25segmented_radix_sort_implIS3_Lb1EPKS5_PS5_PKlPlN2at6native12_GLOBAL__N_18offset_tEEE10hipError_tPvRmT1_PNSt15iterator_traitsISL_E10value_typeET2_T3_PNSM_ISR_E10value_typeET4_jRbjT5_SX_jjP12ihipStream_tbEUlT_E1_NS1_11comp_targetILNS1_3genE10ELNS1_11target_archE1201ELNS1_3gpuE5ELNS1_3repE0EEENS1_59segmented_radix_sort_warp_sort_small_config_static_selectorELNS0_4arch9wavefront6targetE0EEEvSL_, .Lfunc_end1754-_ZN7rocprim17ROCPRIM_400000_NS6detail17trampoline_kernelINS0_14default_configENS1_36segmented_radix_sort_config_selectorI6__halflEEZNS1_25segmented_radix_sort_implIS3_Lb1EPKS5_PS5_PKlPlN2at6native12_GLOBAL__N_18offset_tEEE10hipError_tPvRmT1_PNSt15iterator_traitsISL_E10value_typeET2_T3_PNSM_ISR_E10value_typeET4_jRbjT5_SX_jjP12ihipStream_tbEUlT_E1_NS1_11comp_targetILNS1_3genE10ELNS1_11target_archE1201ELNS1_3gpuE5ELNS1_3repE0EEENS1_59segmented_radix_sort_warp_sort_small_config_static_selectorELNS0_4arch9wavefront6targetE0EEEvSL_
                                        ; -- End function
	.set _ZN7rocprim17ROCPRIM_400000_NS6detail17trampoline_kernelINS0_14default_configENS1_36segmented_radix_sort_config_selectorI6__halflEEZNS1_25segmented_radix_sort_implIS3_Lb1EPKS5_PS5_PKlPlN2at6native12_GLOBAL__N_18offset_tEEE10hipError_tPvRmT1_PNSt15iterator_traitsISL_E10value_typeET2_T3_PNSM_ISR_E10value_typeET4_jRbjT5_SX_jjP12ihipStream_tbEUlT_E1_NS1_11comp_targetILNS1_3genE10ELNS1_11target_archE1201ELNS1_3gpuE5ELNS1_3repE0EEENS1_59segmented_radix_sort_warp_sort_small_config_static_selectorELNS0_4arch9wavefront6targetE0EEEvSL_.num_vgpr, 0
	.set _ZN7rocprim17ROCPRIM_400000_NS6detail17trampoline_kernelINS0_14default_configENS1_36segmented_radix_sort_config_selectorI6__halflEEZNS1_25segmented_radix_sort_implIS3_Lb1EPKS5_PS5_PKlPlN2at6native12_GLOBAL__N_18offset_tEEE10hipError_tPvRmT1_PNSt15iterator_traitsISL_E10value_typeET2_T3_PNSM_ISR_E10value_typeET4_jRbjT5_SX_jjP12ihipStream_tbEUlT_E1_NS1_11comp_targetILNS1_3genE10ELNS1_11target_archE1201ELNS1_3gpuE5ELNS1_3repE0EEENS1_59segmented_radix_sort_warp_sort_small_config_static_selectorELNS0_4arch9wavefront6targetE0EEEvSL_.num_agpr, 0
	.set _ZN7rocprim17ROCPRIM_400000_NS6detail17trampoline_kernelINS0_14default_configENS1_36segmented_radix_sort_config_selectorI6__halflEEZNS1_25segmented_radix_sort_implIS3_Lb1EPKS5_PS5_PKlPlN2at6native12_GLOBAL__N_18offset_tEEE10hipError_tPvRmT1_PNSt15iterator_traitsISL_E10value_typeET2_T3_PNSM_ISR_E10value_typeET4_jRbjT5_SX_jjP12ihipStream_tbEUlT_E1_NS1_11comp_targetILNS1_3genE10ELNS1_11target_archE1201ELNS1_3gpuE5ELNS1_3repE0EEENS1_59segmented_radix_sort_warp_sort_small_config_static_selectorELNS0_4arch9wavefront6targetE0EEEvSL_.numbered_sgpr, 0
	.set _ZN7rocprim17ROCPRIM_400000_NS6detail17trampoline_kernelINS0_14default_configENS1_36segmented_radix_sort_config_selectorI6__halflEEZNS1_25segmented_radix_sort_implIS3_Lb1EPKS5_PS5_PKlPlN2at6native12_GLOBAL__N_18offset_tEEE10hipError_tPvRmT1_PNSt15iterator_traitsISL_E10value_typeET2_T3_PNSM_ISR_E10value_typeET4_jRbjT5_SX_jjP12ihipStream_tbEUlT_E1_NS1_11comp_targetILNS1_3genE10ELNS1_11target_archE1201ELNS1_3gpuE5ELNS1_3repE0EEENS1_59segmented_radix_sort_warp_sort_small_config_static_selectorELNS0_4arch9wavefront6targetE0EEEvSL_.num_named_barrier, 0
	.set _ZN7rocprim17ROCPRIM_400000_NS6detail17trampoline_kernelINS0_14default_configENS1_36segmented_radix_sort_config_selectorI6__halflEEZNS1_25segmented_radix_sort_implIS3_Lb1EPKS5_PS5_PKlPlN2at6native12_GLOBAL__N_18offset_tEEE10hipError_tPvRmT1_PNSt15iterator_traitsISL_E10value_typeET2_T3_PNSM_ISR_E10value_typeET4_jRbjT5_SX_jjP12ihipStream_tbEUlT_E1_NS1_11comp_targetILNS1_3genE10ELNS1_11target_archE1201ELNS1_3gpuE5ELNS1_3repE0EEENS1_59segmented_radix_sort_warp_sort_small_config_static_selectorELNS0_4arch9wavefront6targetE0EEEvSL_.private_seg_size, 0
	.set _ZN7rocprim17ROCPRIM_400000_NS6detail17trampoline_kernelINS0_14default_configENS1_36segmented_radix_sort_config_selectorI6__halflEEZNS1_25segmented_radix_sort_implIS3_Lb1EPKS5_PS5_PKlPlN2at6native12_GLOBAL__N_18offset_tEEE10hipError_tPvRmT1_PNSt15iterator_traitsISL_E10value_typeET2_T3_PNSM_ISR_E10value_typeET4_jRbjT5_SX_jjP12ihipStream_tbEUlT_E1_NS1_11comp_targetILNS1_3genE10ELNS1_11target_archE1201ELNS1_3gpuE5ELNS1_3repE0EEENS1_59segmented_radix_sort_warp_sort_small_config_static_selectorELNS0_4arch9wavefront6targetE0EEEvSL_.uses_vcc, 0
	.set _ZN7rocprim17ROCPRIM_400000_NS6detail17trampoline_kernelINS0_14default_configENS1_36segmented_radix_sort_config_selectorI6__halflEEZNS1_25segmented_radix_sort_implIS3_Lb1EPKS5_PS5_PKlPlN2at6native12_GLOBAL__N_18offset_tEEE10hipError_tPvRmT1_PNSt15iterator_traitsISL_E10value_typeET2_T3_PNSM_ISR_E10value_typeET4_jRbjT5_SX_jjP12ihipStream_tbEUlT_E1_NS1_11comp_targetILNS1_3genE10ELNS1_11target_archE1201ELNS1_3gpuE5ELNS1_3repE0EEENS1_59segmented_radix_sort_warp_sort_small_config_static_selectorELNS0_4arch9wavefront6targetE0EEEvSL_.uses_flat_scratch, 0
	.set _ZN7rocprim17ROCPRIM_400000_NS6detail17trampoline_kernelINS0_14default_configENS1_36segmented_radix_sort_config_selectorI6__halflEEZNS1_25segmented_radix_sort_implIS3_Lb1EPKS5_PS5_PKlPlN2at6native12_GLOBAL__N_18offset_tEEE10hipError_tPvRmT1_PNSt15iterator_traitsISL_E10value_typeET2_T3_PNSM_ISR_E10value_typeET4_jRbjT5_SX_jjP12ihipStream_tbEUlT_E1_NS1_11comp_targetILNS1_3genE10ELNS1_11target_archE1201ELNS1_3gpuE5ELNS1_3repE0EEENS1_59segmented_radix_sort_warp_sort_small_config_static_selectorELNS0_4arch9wavefront6targetE0EEEvSL_.has_dyn_sized_stack, 0
	.set _ZN7rocprim17ROCPRIM_400000_NS6detail17trampoline_kernelINS0_14default_configENS1_36segmented_radix_sort_config_selectorI6__halflEEZNS1_25segmented_radix_sort_implIS3_Lb1EPKS5_PS5_PKlPlN2at6native12_GLOBAL__N_18offset_tEEE10hipError_tPvRmT1_PNSt15iterator_traitsISL_E10value_typeET2_T3_PNSM_ISR_E10value_typeET4_jRbjT5_SX_jjP12ihipStream_tbEUlT_E1_NS1_11comp_targetILNS1_3genE10ELNS1_11target_archE1201ELNS1_3gpuE5ELNS1_3repE0EEENS1_59segmented_radix_sort_warp_sort_small_config_static_selectorELNS0_4arch9wavefront6targetE0EEEvSL_.has_recursion, 0
	.set _ZN7rocprim17ROCPRIM_400000_NS6detail17trampoline_kernelINS0_14default_configENS1_36segmented_radix_sort_config_selectorI6__halflEEZNS1_25segmented_radix_sort_implIS3_Lb1EPKS5_PS5_PKlPlN2at6native12_GLOBAL__N_18offset_tEEE10hipError_tPvRmT1_PNSt15iterator_traitsISL_E10value_typeET2_T3_PNSM_ISR_E10value_typeET4_jRbjT5_SX_jjP12ihipStream_tbEUlT_E1_NS1_11comp_targetILNS1_3genE10ELNS1_11target_archE1201ELNS1_3gpuE5ELNS1_3repE0EEENS1_59segmented_radix_sort_warp_sort_small_config_static_selectorELNS0_4arch9wavefront6targetE0EEEvSL_.has_indirect_call, 0
	.section	.AMDGPU.csdata,"",@progbits
; Kernel info:
; codeLenInByte = 0
; TotalNumSgprs: 0
; NumVgprs: 0
; ScratchSize: 0
; MemoryBound: 0
; FloatMode: 240
; IeeeMode: 1
; LDSByteSize: 0 bytes/workgroup (compile time only)
; SGPRBlocks: 0
; VGPRBlocks: 0
; NumSGPRsForWavesPerEU: 1
; NumVGPRsForWavesPerEU: 1
; Occupancy: 16
; WaveLimiterHint : 0
; COMPUTE_PGM_RSRC2:SCRATCH_EN: 0
; COMPUTE_PGM_RSRC2:USER_SGPR: 6
; COMPUTE_PGM_RSRC2:TRAP_HANDLER: 0
; COMPUTE_PGM_RSRC2:TGID_X_EN: 1
; COMPUTE_PGM_RSRC2:TGID_Y_EN: 0
; COMPUTE_PGM_RSRC2:TGID_Z_EN: 0
; COMPUTE_PGM_RSRC2:TIDIG_COMP_CNT: 0
	.section	.text._ZN7rocprim17ROCPRIM_400000_NS6detail17trampoline_kernelINS0_14default_configENS1_36segmented_radix_sort_config_selectorI6__halflEEZNS1_25segmented_radix_sort_implIS3_Lb1EPKS5_PS5_PKlPlN2at6native12_GLOBAL__N_18offset_tEEE10hipError_tPvRmT1_PNSt15iterator_traitsISL_E10value_typeET2_T3_PNSM_ISR_E10value_typeET4_jRbjT5_SX_jjP12ihipStream_tbEUlT_E1_NS1_11comp_targetILNS1_3genE10ELNS1_11target_archE1200ELNS1_3gpuE4ELNS1_3repE0EEENS1_59segmented_radix_sort_warp_sort_small_config_static_selectorELNS0_4arch9wavefront6targetE0EEEvSL_,"axG",@progbits,_ZN7rocprim17ROCPRIM_400000_NS6detail17trampoline_kernelINS0_14default_configENS1_36segmented_radix_sort_config_selectorI6__halflEEZNS1_25segmented_radix_sort_implIS3_Lb1EPKS5_PS5_PKlPlN2at6native12_GLOBAL__N_18offset_tEEE10hipError_tPvRmT1_PNSt15iterator_traitsISL_E10value_typeET2_T3_PNSM_ISR_E10value_typeET4_jRbjT5_SX_jjP12ihipStream_tbEUlT_E1_NS1_11comp_targetILNS1_3genE10ELNS1_11target_archE1200ELNS1_3gpuE4ELNS1_3repE0EEENS1_59segmented_radix_sort_warp_sort_small_config_static_selectorELNS0_4arch9wavefront6targetE0EEEvSL_,comdat
	.globl	_ZN7rocprim17ROCPRIM_400000_NS6detail17trampoline_kernelINS0_14default_configENS1_36segmented_radix_sort_config_selectorI6__halflEEZNS1_25segmented_radix_sort_implIS3_Lb1EPKS5_PS5_PKlPlN2at6native12_GLOBAL__N_18offset_tEEE10hipError_tPvRmT1_PNSt15iterator_traitsISL_E10value_typeET2_T3_PNSM_ISR_E10value_typeET4_jRbjT5_SX_jjP12ihipStream_tbEUlT_E1_NS1_11comp_targetILNS1_3genE10ELNS1_11target_archE1200ELNS1_3gpuE4ELNS1_3repE0EEENS1_59segmented_radix_sort_warp_sort_small_config_static_selectorELNS0_4arch9wavefront6targetE0EEEvSL_ ; -- Begin function _ZN7rocprim17ROCPRIM_400000_NS6detail17trampoline_kernelINS0_14default_configENS1_36segmented_radix_sort_config_selectorI6__halflEEZNS1_25segmented_radix_sort_implIS3_Lb1EPKS5_PS5_PKlPlN2at6native12_GLOBAL__N_18offset_tEEE10hipError_tPvRmT1_PNSt15iterator_traitsISL_E10value_typeET2_T3_PNSM_ISR_E10value_typeET4_jRbjT5_SX_jjP12ihipStream_tbEUlT_E1_NS1_11comp_targetILNS1_3genE10ELNS1_11target_archE1200ELNS1_3gpuE4ELNS1_3repE0EEENS1_59segmented_radix_sort_warp_sort_small_config_static_selectorELNS0_4arch9wavefront6targetE0EEEvSL_
	.p2align	8
	.type	_ZN7rocprim17ROCPRIM_400000_NS6detail17trampoline_kernelINS0_14default_configENS1_36segmented_radix_sort_config_selectorI6__halflEEZNS1_25segmented_radix_sort_implIS3_Lb1EPKS5_PS5_PKlPlN2at6native12_GLOBAL__N_18offset_tEEE10hipError_tPvRmT1_PNSt15iterator_traitsISL_E10value_typeET2_T3_PNSM_ISR_E10value_typeET4_jRbjT5_SX_jjP12ihipStream_tbEUlT_E1_NS1_11comp_targetILNS1_3genE10ELNS1_11target_archE1200ELNS1_3gpuE4ELNS1_3repE0EEENS1_59segmented_radix_sort_warp_sort_small_config_static_selectorELNS0_4arch9wavefront6targetE0EEEvSL_,@function
_ZN7rocprim17ROCPRIM_400000_NS6detail17trampoline_kernelINS0_14default_configENS1_36segmented_radix_sort_config_selectorI6__halflEEZNS1_25segmented_radix_sort_implIS3_Lb1EPKS5_PS5_PKlPlN2at6native12_GLOBAL__N_18offset_tEEE10hipError_tPvRmT1_PNSt15iterator_traitsISL_E10value_typeET2_T3_PNSM_ISR_E10value_typeET4_jRbjT5_SX_jjP12ihipStream_tbEUlT_E1_NS1_11comp_targetILNS1_3genE10ELNS1_11target_archE1200ELNS1_3gpuE4ELNS1_3repE0EEENS1_59segmented_radix_sort_warp_sort_small_config_static_selectorELNS0_4arch9wavefront6targetE0EEEvSL_: ; @_ZN7rocprim17ROCPRIM_400000_NS6detail17trampoline_kernelINS0_14default_configENS1_36segmented_radix_sort_config_selectorI6__halflEEZNS1_25segmented_radix_sort_implIS3_Lb1EPKS5_PS5_PKlPlN2at6native12_GLOBAL__N_18offset_tEEE10hipError_tPvRmT1_PNSt15iterator_traitsISL_E10value_typeET2_T3_PNSM_ISR_E10value_typeET4_jRbjT5_SX_jjP12ihipStream_tbEUlT_E1_NS1_11comp_targetILNS1_3genE10ELNS1_11target_archE1200ELNS1_3gpuE4ELNS1_3repE0EEENS1_59segmented_radix_sort_warp_sort_small_config_static_selectorELNS0_4arch9wavefront6targetE0EEEvSL_
; %bb.0:
	.section	.rodata,"a",@progbits
	.p2align	6, 0x0
	.amdhsa_kernel _ZN7rocprim17ROCPRIM_400000_NS6detail17trampoline_kernelINS0_14default_configENS1_36segmented_radix_sort_config_selectorI6__halflEEZNS1_25segmented_radix_sort_implIS3_Lb1EPKS5_PS5_PKlPlN2at6native12_GLOBAL__N_18offset_tEEE10hipError_tPvRmT1_PNSt15iterator_traitsISL_E10value_typeET2_T3_PNSM_ISR_E10value_typeET4_jRbjT5_SX_jjP12ihipStream_tbEUlT_E1_NS1_11comp_targetILNS1_3genE10ELNS1_11target_archE1200ELNS1_3gpuE4ELNS1_3repE0EEENS1_59segmented_radix_sort_warp_sort_small_config_static_selectorELNS0_4arch9wavefront6targetE0EEEvSL_
		.amdhsa_group_segment_fixed_size 0
		.amdhsa_private_segment_fixed_size 0
		.amdhsa_kernarg_size 88
		.amdhsa_user_sgpr_count 6
		.amdhsa_user_sgpr_private_segment_buffer 1
		.amdhsa_user_sgpr_dispatch_ptr 0
		.amdhsa_user_sgpr_queue_ptr 0
		.amdhsa_user_sgpr_kernarg_segment_ptr 1
		.amdhsa_user_sgpr_dispatch_id 0
		.amdhsa_user_sgpr_flat_scratch_init 0
		.amdhsa_user_sgpr_private_segment_size 0
		.amdhsa_wavefront_size32 1
		.amdhsa_uses_dynamic_stack 0
		.amdhsa_system_sgpr_private_segment_wavefront_offset 0
		.amdhsa_system_sgpr_workgroup_id_x 1
		.amdhsa_system_sgpr_workgroup_id_y 0
		.amdhsa_system_sgpr_workgroup_id_z 0
		.amdhsa_system_sgpr_workgroup_info 0
		.amdhsa_system_vgpr_workitem_id 0
		.amdhsa_next_free_vgpr 1
		.amdhsa_next_free_sgpr 1
		.amdhsa_reserve_vcc 0
		.amdhsa_reserve_flat_scratch 0
		.amdhsa_float_round_mode_32 0
		.amdhsa_float_round_mode_16_64 0
		.amdhsa_float_denorm_mode_32 3
		.amdhsa_float_denorm_mode_16_64 3
		.amdhsa_dx10_clamp 1
		.amdhsa_ieee_mode 1
		.amdhsa_fp16_overflow 0
		.amdhsa_workgroup_processor_mode 1
		.amdhsa_memory_ordered 1
		.amdhsa_forward_progress 1
		.amdhsa_shared_vgpr_count 0
		.amdhsa_exception_fp_ieee_invalid_op 0
		.amdhsa_exception_fp_denorm_src 0
		.amdhsa_exception_fp_ieee_div_zero 0
		.amdhsa_exception_fp_ieee_overflow 0
		.amdhsa_exception_fp_ieee_underflow 0
		.amdhsa_exception_fp_ieee_inexact 0
		.amdhsa_exception_int_div_zero 0
	.end_amdhsa_kernel
	.section	.text._ZN7rocprim17ROCPRIM_400000_NS6detail17trampoline_kernelINS0_14default_configENS1_36segmented_radix_sort_config_selectorI6__halflEEZNS1_25segmented_radix_sort_implIS3_Lb1EPKS5_PS5_PKlPlN2at6native12_GLOBAL__N_18offset_tEEE10hipError_tPvRmT1_PNSt15iterator_traitsISL_E10value_typeET2_T3_PNSM_ISR_E10value_typeET4_jRbjT5_SX_jjP12ihipStream_tbEUlT_E1_NS1_11comp_targetILNS1_3genE10ELNS1_11target_archE1200ELNS1_3gpuE4ELNS1_3repE0EEENS1_59segmented_radix_sort_warp_sort_small_config_static_selectorELNS0_4arch9wavefront6targetE0EEEvSL_,"axG",@progbits,_ZN7rocprim17ROCPRIM_400000_NS6detail17trampoline_kernelINS0_14default_configENS1_36segmented_radix_sort_config_selectorI6__halflEEZNS1_25segmented_radix_sort_implIS3_Lb1EPKS5_PS5_PKlPlN2at6native12_GLOBAL__N_18offset_tEEE10hipError_tPvRmT1_PNSt15iterator_traitsISL_E10value_typeET2_T3_PNSM_ISR_E10value_typeET4_jRbjT5_SX_jjP12ihipStream_tbEUlT_E1_NS1_11comp_targetILNS1_3genE10ELNS1_11target_archE1200ELNS1_3gpuE4ELNS1_3repE0EEENS1_59segmented_radix_sort_warp_sort_small_config_static_selectorELNS0_4arch9wavefront6targetE0EEEvSL_,comdat
.Lfunc_end1755:
	.size	_ZN7rocprim17ROCPRIM_400000_NS6detail17trampoline_kernelINS0_14default_configENS1_36segmented_radix_sort_config_selectorI6__halflEEZNS1_25segmented_radix_sort_implIS3_Lb1EPKS5_PS5_PKlPlN2at6native12_GLOBAL__N_18offset_tEEE10hipError_tPvRmT1_PNSt15iterator_traitsISL_E10value_typeET2_T3_PNSM_ISR_E10value_typeET4_jRbjT5_SX_jjP12ihipStream_tbEUlT_E1_NS1_11comp_targetILNS1_3genE10ELNS1_11target_archE1200ELNS1_3gpuE4ELNS1_3repE0EEENS1_59segmented_radix_sort_warp_sort_small_config_static_selectorELNS0_4arch9wavefront6targetE0EEEvSL_, .Lfunc_end1755-_ZN7rocprim17ROCPRIM_400000_NS6detail17trampoline_kernelINS0_14default_configENS1_36segmented_radix_sort_config_selectorI6__halflEEZNS1_25segmented_radix_sort_implIS3_Lb1EPKS5_PS5_PKlPlN2at6native12_GLOBAL__N_18offset_tEEE10hipError_tPvRmT1_PNSt15iterator_traitsISL_E10value_typeET2_T3_PNSM_ISR_E10value_typeET4_jRbjT5_SX_jjP12ihipStream_tbEUlT_E1_NS1_11comp_targetILNS1_3genE10ELNS1_11target_archE1200ELNS1_3gpuE4ELNS1_3repE0EEENS1_59segmented_radix_sort_warp_sort_small_config_static_selectorELNS0_4arch9wavefront6targetE0EEEvSL_
                                        ; -- End function
	.set _ZN7rocprim17ROCPRIM_400000_NS6detail17trampoline_kernelINS0_14default_configENS1_36segmented_radix_sort_config_selectorI6__halflEEZNS1_25segmented_radix_sort_implIS3_Lb1EPKS5_PS5_PKlPlN2at6native12_GLOBAL__N_18offset_tEEE10hipError_tPvRmT1_PNSt15iterator_traitsISL_E10value_typeET2_T3_PNSM_ISR_E10value_typeET4_jRbjT5_SX_jjP12ihipStream_tbEUlT_E1_NS1_11comp_targetILNS1_3genE10ELNS1_11target_archE1200ELNS1_3gpuE4ELNS1_3repE0EEENS1_59segmented_radix_sort_warp_sort_small_config_static_selectorELNS0_4arch9wavefront6targetE0EEEvSL_.num_vgpr, 0
	.set _ZN7rocprim17ROCPRIM_400000_NS6detail17trampoline_kernelINS0_14default_configENS1_36segmented_radix_sort_config_selectorI6__halflEEZNS1_25segmented_radix_sort_implIS3_Lb1EPKS5_PS5_PKlPlN2at6native12_GLOBAL__N_18offset_tEEE10hipError_tPvRmT1_PNSt15iterator_traitsISL_E10value_typeET2_T3_PNSM_ISR_E10value_typeET4_jRbjT5_SX_jjP12ihipStream_tbEUlT_E1_NS1_11comp_targetILNS1_3genE10ELNS1_11target_archE1200ELNS1_3gpuE4ELNS1_3repE0EEENS1_59segmented_radix_sort_warp_sort_small_config_static_selectorELNS0_4arch9wavefront6targetE0EEEvSL_.num_agpr, 0
	.set _ZN7rocprim17ROCPRIM_400000_NS6detail17trampoline_kernelINS0_14default_configENS1_36segmented_radix_sort_config_selectorI6__halflEEZNS1_25segmented_radix_sort_implIS3_Lb1EPKS5_PS5_PKlPlN2at6native12_GLOBAL__N_18offset_tEEE10hipError_tPvRmT1_PNSt15iterator_traitsISL_E10value_typeET2_T3_PNSM_ISR_E10value_typeET4_jRbjT5_SX_jjP12ihipStream_tbEUlT_E1_NS1_11comp_targetILNS1_3genE10ELNS1_11target_archE1200ELNS1_3gpuE4ELNS1_3repE0EEENS1_59segmented_radix_sort_warp_sort_small_config_static_selectorELNS0_4arch9wavefront6targetE0EEEvSL_.numbered_sgpr, 0
	.set _ZN7rocprim17ROCPRIM_400000_NS6detail17trampoline_kernelINS0_14default_configENS1_36segmented_radix_sort_config_selectorI6__halflEEZNS1_25segmented_radix_sort_implIS3_Lb1EPKS5_PS5_PKlPlN2at6native12_GLOBAL__N_18offset_tEEE10hipError_tPvRmT1_PNSt15iterator_traitsISL_E10value_typeET2_T3_PNSM_ISR_E10value_typeET4_jRbjT5_SX_jjP12ihipStream_tbEUlT_E1_NS1_11comp_targetILNS1_3genE10ELNS1_11target_archE1200ELNS1_3gpuE4ELNS1_3repE0EEENS1_59segmented_radix_sort_warp_sort_small_config_static_selectorELNS0_4arch9wavefront6targetE0EEEvSL_.num_named_barrier, 0
	.set _ZN7rocprim17ROCPRIM_400000_NS6detail17trampoline_kernelINS0_14default_configENS1_36segmented_radix_sort_config_selectorI6__halflEEZNS1_25segmented_radix_sort_implIS3_Lb1EPKS5_PS5_PKlPlN2at6native12_GLOBAL__N_18offset_tEEE10hipError_tPvRmT1_PNSt15iterator_traitsISL_E10value_typeET2_T3_PNSM_ISR_E10value_typeET4_jRbjT5_SX_jjP12ihipStream_tbEUlT_E1_NS1_11comp_targetILNS1_3genE10ELNS1_11target_archE1200ELNS1_3gpuE4ELNS1_3repE0EEENS1_59segmented_radix_sort_warp_sort_small_config_static_selectorELNS0_4arch9wavefront6targetE0EEEvSL_.private_seg_size, 0
	.set _ZN7rocprim17ROCPRIM_400000_NS6detail17trampoline_kernelINS0_14default_configENS1_36segmented_radix_sort_config_selectorI6__halflEEZNS1_25segmented_radix_sort_implIS3_Lb1EPKS5_PS5_PKlPlN2at6native12_GLOBAL__N_18offset_tEEE10hipError_tPvRmT1_PNSt15iterator_traitsISL_E10value_typeET2_T3_PNSM_ISR_E10value_typeET4_jRbjT5_SX_jjP12ihipStream_tbEUlT_E1_NS1_11comp_targetILNS1_3genE10ELNS1_11target_archE1200ELNS1_3gpuE4ELNS1_3repE0EEENS1_59segmented_radix_sort_warp_sort_small_config_static_selectorELNS0_4arch9wavefront6targetE0EEEvSL_.uses_vcc, 0
	.set _ZN7rocprim17ROCPRIM_400000_NS6detail17trampoline_kernelINS0_14default_configENS1_36segmented_radix_sort_config_selectorI6__halflEEZNS1_25segmented_radix_sort_implIS3_Lb1EPKS5_PS5_PKlPlN2at6native12_GLOBAL__N_18offset_tEEE10hipError_tPvRmT1_PNSt15iterator_traitsISL_E10value_typeET2_T3_PNSM_ISR_E10value_typeET4_jRbjT5_SX_jjP12ihipStream_tbEUlT_E1_NS1_11comp_targetILNS1_3genE10ELNS1_11target_archE1200ELNS1_3gpuE4ELNS1_3repE0EEENS1_59segmented_radix_sort_warp_sort_small_config_static_selectorELNS0_4arch9wavefront6targetE0EEEvSL_.uses_flat_scratch, 0
	.set _ZN7rocprim17ROCPRIM_400000_NS6detail17trampoline_kernelINS0_14default_configENS1_36segmented_radix_sort_config_selectorI6__halflEEZNS1_25segmented_radix_sort_implIS3_Lb1EPKS5_PS5_PKlPlN2at6native12_GLOBAL__N_18offset_tEEE10hipError_tPvRmT1_PNSt15iterator_traitsISL_E10value_typeET2_T3_PNSM_ISR_E10value_typeET4_jRbjT5_SX_jjP12ihipStream_tbEUlT_E1_NS1_11comp_targetILNS1_3genE10ELNS1_11target_archE1200ELNS1_3gpuE4ELNS1_3repE0EEENS1_59segmented_radix_sort_warp_sort_small_config_static_selectorELNS0_4arch9wavefront6targetE0EEEvSL_.has_dyn_sized_stack, 0
	.set _ZN7rocprim17ROCPRIM_400000_NS6detail17trampoline_kernelINS0_14default_configENS1_36segmented_radix_sort_config_selectorI6__halflEEZNS1_25segmented_radix_sort_implIS3_Lb1EPKS5_PS5_PKlPlN2at6native12_GLOBAL__N_18offset_tEEE10hipError_tPvRmT1_PNSt15iterator_traitsISL_E10value_typeET2_T3_PNSM_ISR_E10value_typeET4_jRbjT5_SX_jjP12ihipStream_tbEUlT_E1_NS1_11comp_targetILNS1_3genE10ELNS1_11target_archE1200ELNS1_3gpuE4ELNS1_3repE0EEENS1_59segmented_radix_sort_warp_sort_small_config_static_selectorELNS0_4arch9wavefront6targetE0EEEvSL_.has_recursion, 0
	.set _ZN7rocprim17ROCPRIM_400000_NS6detail17trampoline_kernelINS0_14default_configENS1_36segmented_radix_sort_config_selectorI6__halflEEZNS1_25segmented_radix_sort_implIS3_Lb1EPKS5_PS5_PKlPlN2at6native12_GLOBAL__N_18offset_tEEE10hipError_tPvRmT1_PNSt15iterator_traitsISL_E10value_typeET2_T3_PNSM_ISR_E10value_typeET4_jRbjT5_SX_jjP12ihipStream_tbEUlT_E1_NS1_11comp_targetILNS1_3genE10ELNS1_11target_archE1200ELNS1_3gpuE4ELNS1_3repE0EEENS1_59segmented_radix_sort_warp_sort_small_config_static_selectorELNS0_4arch9wavefront6targetE0EEEvSL_.has_indirect_call, 0
	.section	.AMDGPU.csdata,"",@progbits
; Kernel info:
; codeLenInByte = 0
; TotalNumSgprs: 0
; NumVgprs: 0
; ScratchSize: 0
; MemoryBound: 0
; FloatMode: 240
; IeeeMode: 1
; LDSByteSize: 0 bytes/workgroup (compile time only)
; SGPRBlocks: 0
; VGPRBlocks: 0
; NumSGPRsForWavesPerEU: 1
; NumVGPRsForWavesPerEU: 1
; Occupancy: 16
; WaveLimiterHint : 0
; COMPUTE_PGM_RSRC2:SCRATCH_EN: 0
; COMPUTE_PGM_RSRC2:USER_SGPR: 6
; COMPUTE_PGM_RSRC2:TRAP_HANDLER: 0
; COMPUTE_PGM_RSRC2:TGID_X_EN: 1
; COMPUTE_PGM_RSRC2:TGID_Y_EN: 0
; COMPUTE_PGM_RSRC2:TGID_Z_EN: 0
; COMPUTE_PGM_RSRC2:TIDIG_COMP_CNT: 0
	.section	.text._ZN7rocprim17ROCPRIM_400000_NS6detail17trampoline_kernelINS0_14default_configENS1_36segmented_radix_sort_config_selectorI6__halflEEZNS1_25segmented_radix_sort_implIS3_Lb1EPKS5_PS5_PKlPlN2at6native12_GLOBAL__N_18offset_tEEE10hipError_tPvRmT1_PNSt15iterator_traitsISL_E10value_typeET2_T3_PNSM_ISR_E10value_typeET4_jRbjT5_SX_jjP12ihipStream_tbEUlT_E1_NS1_11comp_targetILNS1_3genE9ELNS1_11target_archE1100ELNS1_3gpuE3ELNS1_3repE0EEENS1_59segmented_radix_sort_warp_sort_small_config_static_selectorELNS0_4arch9wavefront6targetE0EEEvSL_,"axG",@progbits,_ZN7rocprim17ROCPRIM_400000_NS6detail17trampoline_kernelINS0_14default_configENS1_36segmented_radix_sort_config_selectorI6__halflEEZNS1_25segmented_radix_sort_implIS3_Lb1EPKS5_PS5_PKlPlN2at6native12_GLOBAL__N_18offset_tEEE10hipError_tPvRmT1_PNSt15iterator_traitsISL_E10value_typeET2_T3_PNSM_ISR_E10value_typeET4_jRbjT5_SX_jjP12ihipStream_tbEUlT_E1_NS1_11comp_targetILNS1_3genE9ELNS1_11target_archE1100ELNS1_3gpuE3ELNS1_3repE0EEENS1_59segmented_radix_sort_warp_sort_small_config_static_selectorELNS0_4arch9wavefront6targetE0EEEvSL_,comdat
	.globl	_ZN7rocprim17ROCPRIM_400000_NS6detail17trampoline_kernelINS0_14default_configENS1_36segmented_radix_sort_config_selectorI6__halflEEZNS1_25segmented_radix_sort_implIS3_Lb1EPKS5_PS5_PKlPlN2at6native12_GLOBAL__N_18offset_tEEE10hipError_tPvRmT1_PNSt15iterator_traitsISL_E10value_typeET2_T3_PNSM_ISR_E10value_typeET4_jRbjT5_SX_jjP12ihipStream_tbEUlT_E1_NS1_11comp_targetILNS1_3genE9ELNS1_11target_archE1100ELNS1_3gpuE3ELNS1_3repE0EEENS1_59segmented_radix_sort_warp_sort_small_config_static_selectorELNS0_4arch9wavefront6targetE0EEEvSL_ ; -- Begin function _ZN7rocprim17ROCPRIM_400000_NS6detail17trampoline_kernelINS0_14default_configENS1_36segmented_radix_sort_config_selectorI6__halflEEZNS1_25segmented_radix_sort_implIS3_Lb1EPKS5_PS5_PKlPlN2at6native12_GLOBAL__N_18offset_tEEE10hipError_tPvRmT1_PNSt15iterator_traitsISL_E10value_typeET2_T3_PNSM_ISR_E10value_typeET4_jRbjT5_SX_jjP12ihipStream_tbEUlT_E1_NS1_11comp_targetILNS1_3genE9ELNS1_11target_archE1100ELNS1_3gpuE3ELNS1_3repE0EEENS1_59segmented_radix_sort_warp_sort_small_config_static_selectorELNS0_4arch9wavefront6targetE0EEEvSL_
	.p2align	8
	.type	_ZN7rocprim17ROCPRIM_400000_NS6detail17trampoline_kernelINS0_14default_configENS1_36segmented_radix_sort_config_selectorI6__halflEEZNS1_25segmented_radix_sort_implIS3_Lb1EPKS5_PS5_PKlPlN2at6native12_GLOBAL__N_18offset_tEEE10hipError_tPvRmT1_PNSt15iterator_traitsISL_E10value_typeET2_T3_PNSM_ISR_E10value_typeET4_jRbjT5_SX_jjP12ihipStream_tbEUlT_E1_NS1_11comp_targetILNS1_3genE9ELNS1_11target_archE1100ELNS1_3gpuE3ELNS1_3repE0EEENS1_59segmented_radix_sort_warp_sort_small_config_static_selectorELNS0_4arch9wavefront6targetE0EEEvSL_,@function
_ZN7rocprim17ROCPRIM_400000_NS6detail17trampoline_kernelINS0_14default_configENS1_36segmented_radix_sort_config_selectorI6__halflEEZNS1_25segmented_radix_sort_implIS3_Lb1EPKS5_PS5_PKlPlN2at6native12_GLOBAL__N_18offset_tEEE10hipError_tPvRmT1_PNSt15iterator_traitsISL_E10value_typeET2_T3_PNSM_ISR_E10value_typeET4_jRbjT5_SX_jjP12ihipStream_tbEUlT_E1_NS1_11comp_targetILNS1_3genE9ELNS1_11target_archE1100ELNS1_3gpuE3ELNS1_3repE0EEENS1_59segmented_radix_sort_warp_sort_small_config_static_selectorELNS0_4arch9wavefront6targetE0EEEvSL_: ; @_ZN7rocprim17ROCPRIM_400000_NS6detail17trampoline_kernelINS0_14default_configENS1_36segmented_radix_sort_config_selectorI6__halflEEZNS1_25segmented_radix_sort_implIS3_Lb1EPKS5_PS5_PKlPlN2at6native12_GLOBAL__N_18offset_tEEE10hipError_tPvRmT1_PNSt15iterator_traitsISL_E10value_typeET2_T3_PNSM_ISR_E10value_typeET4_jRbjT5_SX_jjP12ihipStream_tbEUlT_E1_NS1_11comp_targetILNS1_3genE9ELNS1_11target_archE1100ELNS1_3gpuE3ELNS1_3repE0EEENS1_59segmented_radix_sort_warp_sort_small_config_static_selectorELNS0_4arch9wavefront6targetE0EEEvSL_
; %bb.0:
	.section	.rodata,"a",@progbits
	.p2align	6, 0x0
	.amdhsa_kernel _ZN7rocprim17ROCPRIM_400000_NS6detail17trampoline_kernelINS0_14default_configENS1_36segmented_radix_sort_config_selectorI6__halflEEZNS1_25segmented_radix_sort_implIS3_Lb1EPKS5_PS5_PKlPlN2at6native12_GLOBAL__N_18offset_tEEE10hipError_tPvRmT1_PNSt15iterator_traitsISL_E10value_typeET2_T3_PNSM_ISR_E10value_typeET4_jRbjT5_SX_jjP12ihipStream_tbEUlT_E1_NS1_11comp_targetILNS1_3genE9ELNS1_11target_archE1100ELNS1_3gpuE3ELNS1_3repE0EEENS1_59segmented_radix_sort_warp_sort_small_config_static_selectorELNS0_4arch9wavefront6targetE0EEEvSL_
		.amdhsa_group_segment_fixed_size 0
		.amdhsa_private_segment_fixed_size 0
		.amdhsa_kernarg_size 88
		.amdhsa_user_sgpr_count 6
		.amdhsa_user_sgpr_private_segment_buffer 1
		.amdhsa_user_sgpr_dispatch_ptr 0
		.amdhsa_user_sgpr_queue_ptr 0
		.amdhsa_user_sgpr_kernarg_segment_ptr 1
		.amdhsa_user_sgpr_dispatch_id 0
		.amdhsa_user_sgpr_flat_scratch_init 0
		.amdhsa_user_sgpr_private_segment_size 0
		.amdhsa_wavefront_size32 1
		.amdhsa_uses_dynamic_stack 0
		.amdhsa_system_sgpr_private_segment_wavefront_offset 0
		.amdhsa_system_sgpr_workgroup_id_x 1
		.amdhsa_system_sgpr_workgroup_id_y 0
		.amdhsa_system_sgpr_workgroup_id_z 0
		.amdhsa_system_sgpr_workgroup_info 0
		.amdhsa_system_vgpr_workitem_id 0
		.amdhsa_next_free_vgpr 1
		.amdhsa_next_free_sgpr 1
		.amdhsa_reserve_vcc 0
		.amdhsa_reserve_flat_scratch 0
		.amdhsa_float_round_mode_32 0
		.amdhsa_float_round_mode_16_64 0
		.amdhsa_float_denorm_mode_32 3
		.amdhsa_float_denorm_mode_16_64 3
		.amdhsa_dx10_clamp 1
		.amdhsa_ieee_mode 1
		.amdhsa_fp16_overflow 0
		.amdhsa_workgroup_processor_mode 1
		.amdhsa_memory_ordered 1
		.amdhsa_forward_progress 1
		.amdhsa_shared_vgpr_count 0
		.amdhsa_exception_fp_ieee_invalid_op 0
		.amdhsa_exception_fp_denorm_src 0
		.amdhsa_exception_fp_ieee_div_zero 0
		.amdhsa_exception_fp_ieee_overflow 0
		.amdhsa_exception_fp_ieee_underflow 0
		.amdhsa_exception_fp_ieee_inexact 0
		.amdhsa_exception_int_div_zero 0
	.end_amdhsa_kernel
	.section	.text._ZN7rocprim17ROCPRIM_400000_NS6detail17trampoline_kernelINS0_14default_configENS1_36segmented_radix_sort_config_selectorI6__halflEEZNS1_25segmented_radix_sort_implIS3_Lb1EPKS5_PS5_PKlPlN2at6native12_GLOBAL__N_18offset_tEEE10hipError_tPvRmT1_PNSt15iterator_traitsISL_E10value_typeET2_T3_PNSM_ISR_E10value_typeET4_jRbjT5_SX_jjP12ihipStream_tbEUlT_E1_NS1_11comp_targetILNS1_3genE9ELNS1_11target_archE1100ELNS1_3gpuE3ELNS1_3repE0EEENS1_59segmented_radix_sort_warp_sort_small_config_static_selectorELNS0_4arch9wavefront6targetE0EEEvSL_,"axG",@progbits,_ZN7rocprim17ROCPRIM_400000_NS6detail17trampoline_kernelINS0_14default_configENS1_36segmented_radix_sort_config_selectorI6__halflEEZNS1_25segmented_radix_sort_implIS3_Lb1EPKS5_PS5_PKlPlN2at6native12_GLOBAL__N_18offset_tEEE10hipError_tPvRmT1_PNSt15iterator_traitsISL_E10value_typeET2_T3_PNSM_ISR_E10value_typeET4_jRbjT5_SX_jjP12ihipStream_tbEUlT_E1_NS1_11comp_targetILNS1_3genE9ELNS1_11target_archE1100ELNS1_3gpuE3ELNS1_3repE0EEENS1_59segmented_radix_sort_warp_sort_small_config_static_selectorELNS0_4arch9wavefront6targetE0EEEvSL_,comdat
.Lfunc_end1756:
	.size	_ZN7rocprim17ROCPRIM_400000_NS6detail17trampoline_kernelINS0_14default_configENS1_36segmented_radix_sort_config_selectorI6__halflEEZNS1_25segmented_radix_sort_implIS3_Lb1EPKS5_PS5_PKlPlN2at6native12_GLOBAL__N_18offset_tEEE10hipError_tPvRmT1_PNSt15iterator_traitsISL_E10value_typeET2_T3_PNSM_ISR_E10value_typeET4_jRbjT5_SX_jjP12ihipStream_tbEUlT_E1_NS1_11comp_targetILNS1_3genE9ELNS1_11target_archE1100ELNS1_3gpuE3ELNS1_3repE0EEENS1_59segmented_radix_sort_warp_sort_small_config_static_selectorELNS0_4arch9wavefront6targetE0EEEvSL_, .Lfunc_end1756-_ZN7rocprim17ROCPRIM_400000_NS6detail17trampoline_kernelINS0_14default_configENS1_36segmented_radix_sort_config_selectorI6__halflEEZNS1_25segmented_radix_sort_implIS3_Lb1EPKS5_PS5_PKlPlN2at6native12_GLOBAL__N_18offset_tEEE10hipError_tPvRmT1_PNSt15iterator_traitsISL_E10value_typeET2_T3_PNSM_ISR_E10value_typeET4_jRbjT5_SX_jjP12ihipStream_tbEUlT_E1_NS1_11comp_targetILNS1_3genE9ELNS1_11target_archE1100ELNS1_3gpuE3ELNS1_3repE0EEENS1_59segmented_radix_sort_warp_sort_small_config_static_selectorELNS0_4arch9wavefront6targetE0EEEvSL_
                                        ; -- End function
	.set _ZN7rocprim17ROCPRIM_400000_NS6detail17trampoline_kernelINS0_14default_configENS1_36segmented_radix_sort_config_selectorI6__halflEEZNS1_25segmented_radix_sort_implIS3_Lb1EPKS5_PS5_PKlPlN2at6native12_GLOBAL__N_18offset_tEEE10hipError_tPvRmT1_PNSt15iterator_traitsISL_E10value_typeET2_T3_PNSM_ISR_E10value_typeET4_jRbjT5_SX_jjP12ihipStream_tbEUlT_E1_NS1_11comp_targetILNS1_3genE9ELNS1_11target_archE1100ELNS1_3gpuE3ELNS1_3repE0EEENS1_59segmented_radix_sort_warp_sort_small_config_static_selectorELNS0_4arch9wavefront6targetE0EEEvSL_.num_vgpr, 0
	.set _ZN7rocprim17ROCPRIM_400000_NS6detail17trampoline_kernelINS0_14default_configENS1_36segmented_radix_sort_config_selectorI6__halflEEZNS1_25segmented_radix_sort_implIS3_Lb1EPKS5_PS5_PKlPlN2at6native12_GLOBAL__N_18offset_tEEE10hipError_tPvRmT1_PNSt15iterator_traitsISL_E10value_typeET2_T3_PNSM_ISR_E10value_typeET4_jRbjT5_SX_jjP12ihipStream_tbEUlT_E1_NS1_11comp_targetILNS1_3genE9ELNS1_11target_archE1100ELNS1_3gpuE3ELNS1_3repE0EEENS1_59segmented_radix_sort_warp_sort_small_config_static_selectorELNS0_4arch9wavefront6targetE0EEEvSL_.num_agpr, 0
	.set _ZN7rocprim17ROCPRIM_400000_NS6detail17trampoline_kernelINS0_14default_configENS1_36segmented_radix_sort_config_selectorI6__halflEEZNS1_25segmented_radix_sort_implIS3_Lb1EPKS5_PS5_PKlPlN2at6native12_GLOBAL__N_18offset_tEEE10hipError_tPvRmT1_PNSt15iterator_traitsISL_E10value_typeET2_T3_PNSM_ISR_E10value_typeET4_jRbjT5_SX_jjP12ihipStream_tbEUlT_E1_NS1_11comp_targetILNS1_3genE9ELNS1_11target_archE1100ELNS1_3gpuE3ELNS1_3repE0EEENS1_59segmented_radix_sort_warp_sort_small_config_static_selectorELNS0_4arch9wavefront6targetE0EEEvSL_.numbered_sgpr, 0
	.set _ZN7rocprim17ROCPRIM_400000_NS6detail17trampoline_kernelINS0_14default_configENS1_36segmented_radix_sort_config_selectorI6__halflEEZNS1_25segmented_radix_sort_implIS3_Lb1EPKS5_PS5_PKlPlN2at6native12_GLOBAL__N_18offset_tEEE10hipError_tPvRmT1_PNSt15iterator_traitsISL_E10value_typeET2_T3_PNSM_ISR_E10value_typeET4_jRbjT5_SX_jjP12ihipStream_tbEUlT_E1_NS1_11comp_targetILNS1_3genE9ELNS1_11target_archE1100ELNS1_3gpuE3ELNS1_3repE0EEENS1_59segmented_radix_sort_warp_sort_small_config_static_selectorELNS0_4arch9wavefront6targetE0EEEvSL_.num_named_barrier, 0
	.set _ZN7rocprim17ROCPRIM_400000_NS6detail17trampoline_kernelINS0_14default_configENS1_36segmented_radix_sort_config_selectorI6__halflEEZNS1_25segmented_radix_sort_implIS3_Lb1EPKS5_PS5_PKlPlN2at6native12_GLOBAL__N_18offset_tEEE10hipError_tPvRmT1_PNSt15iterator_traitsISL_E10value_typeET2_T3_PNSM_ISR_E10value_typeET4_jRbjT5_SX_jjP12ihipStream_tbEUlT_E1_NS1_11comp_targetILNS1_3genE9ELNS1_11target_archE1100ELNS1_3gpuE3ELNS1_3repE0EEENS1_59segmented_radix_sort_warp_sort_small_config_static_selectorELNS0_4arch9wavefront6targetE0EEEvSL_.private_seg_size, 0
	.set _ZN7rocprim17ROCPRIM_400000_NS6detail17trampoline_kernelINS0_14default_configENS1_36segmented_radix_sort_config_selectorI6__halflEEZNS1_25segmented_radix_sort_implIS3_Lb1EPKS5_PS5_PKlPlN2at6native12_GLOBAL__N_18offset_tEEE10hipError_tPvRmT1_PNSt15iterator_traitsISL_E10value_typeET2_T3_PNSM_ISR_E10value_typeET4_jRbjT5_SX_jjP12ihipStream_tbEUlT_E1_NS1_11comp_targetILNS1_3genE9ELNS1_11target_archE1100ELNS1_3gpuE3ELNS1_3repE0EEENS1_59segmented_radix_sort_warp_sort_small_config_static_selectorELNS0_4arch9wavefront6targetE0EEEvSL_.uses_vcc, 0
	.set _ZN7rocprim17ROCPRIM_400000_NS6detail17trampoline_kernelINS0_14default_configENS1_36segmented_radix_sort_config_selectorI6__halflEEZNS1_25segmented_radix_sort_implIS3_Lb1EPKS5_PS5_PKlPlN2at6native12_GLOBAL__N_18offset_tEEE10hipError_tPvRmT1_PNSt15iterator_traitsISL_E10value_typeET2_T3_PNSM_ISR_E10value_typeET4_jRbjT5_SX_jjP12ihipStream_tbEUlT_E1_NS1_11comp_targetILNS1_3genE9ELNS1_11target_archE1100ELNS1_3gpuE3ELNS1_3repE0EEENS1_59segmented_radix_sort_warp_sort_small_config_static_selectorELNS0_4arch9wavefront6targetE0EEEvSL_.uses_flat_scratch, 0
	.set _ZN7rocprim17ROCPRIM_400000_NS6detail17trampoline_kernelINS0_14default_configENS1_36segmented_radix_sort_config_selectorI6__halflEEZNS1_25segmented_radix_sort_implIS3_Lb1EPKS5_PS5_PKlPlN2at6native12_GLOBAL__N_18offset_tEEE10hipError_tPvRmT1_PNSt15iterator_traitsISL_E10value_typeET2_T3_PNSM_ISR_E10value_typeET4_jRbjT5_SX_jjP12ihipStream_tbEUlT_E1_NS1_11comp_targetILNS1_3genE9ELNS1_11target_archE1100ELNS1_3gpuE3ELNS1_3repE0EEENS1_59segmented_radix_sort_warp_sort_small_config_static_selectorELNS0_4arch9wavefront6targetE0EEEvSL_.has_dyn_sized_stack, 0
	.set _ZN7rocprim17ROCPRIM_400000_NS6detail17trampoline_kernelINS0_14default_configENS1_36segmented_radix_sort_config_selectorI6__halflEEZNS1_25segmented_radix_sort_implIS3_Lb1EPKS5_PS5_PKlPlN2at6native12_GLOBAL__N_18offset_tEEE10hipError_tPvRmT1_PNSt15iterator_traitsISL_E10value_typeET2_T3_PNSM_ISR_E10value_typeET4_jRbjT5_SX_jjP12ihipStream_tbEUlT_E1_NS1_11comp_targetILNS1_3genE9ELNS1_11target_archE1100ELNS1_3gpuE3ELNS1_3repE0EEENS1_59segmented_radix_sort_warp_sort_small_config_static_selectorELNS0_4arch9wavefront6targetE0EEEvSL_.has_recursion, 0
	.set _ZN7rocprim17ROCPRIM_400000_NS6detail17trampoline_kernelINS0_14default_configENS1_36segmented_radix_sort_config_selectorI6__halflEEZNS1_25segmented_radix_sort_implIS3_Lb1EPKS5_PS5_PKlPlN2at6native12_GLOBAL__N_18offset_tEEE10hipError_tPvRmT1_PNSt15iterator_traitsISL_E10value_typeET2_T3_PNSM_ISR_E10value_typeET4_jRbjT5_SX_jjP12ihipStream_tbEUlT_E1_NS1_11comp_targetILNS1_3genE9ELNS1_11target_archE1100ELNS1_3gpuE3ELNS1_3repE0EEENS1_59segmented_radix_sort_warp_sort_small_config_static_selectorELNS0_4arch9wavefront6targetE0EEEvSL_.has_indirect_call, 0
	.section	.AMDGPU.csdata,"",@progbits
; Kernel info:
; codeLenInByte = 0
; TotalNumSgprs: 0
; NumVgprs: 0
; ScratchSize: 0
; MemoryBound: 0
; FloatMode: 240
; IeeeMode: 1
; LDSByteSize: 0 bytes/workgroup (compile time only)
; SGPRBlocks: 0
; VGPRBlocks: 0
; NumSGPRsForWavesPerEU: 1
; NumVGPRsForWavesPerEU: 1
; Occupancy: 16
; WaveLimiterHint : 0
; COMPUTE_PGM_RSRC2:SCRATCH_EN: 0
; COMPUTE_PGM_RSRC2:USER_SGPR: 6
; COMPUTE_PGM_RSRC2:TRAP_HANDLER: 0
; COMPUTE_PGM_RSRC2:TGID_X_EN: 1
; COMPUTE_PGM_RSRC2:TGID_Y_EN: 0
; COMPUTE_PGM_RSRC2:TGID_Z_EN: 0
; COMPUTE_PGM_RSRC2:TIDIG_COMP_CNT: 0
	.text
	.p2align	2                               ; -- Begin function _ZN7rocprim17ROCPRIM_400000_NS6detail26segmented_warp_sort_helperINS1_20WarpSortHelperConfigILj8ELj4ELj256EEE6__halflLi256ELb1EvE4sortIPKS5_PS5_PKlPlEEvT_SA_T0_T1_SD_T2_bjjjjRNS6_12storage_typeE
	.type	_ZN7rocprim17ROCPRIM_400000_NS6detail26segmented_warp_sort_helperINS1_20WarpSortHelperConfigILj8ELj4ELj256EEE6__halflLi256ELb1EvE4sortIPKS5_PS5_PKlPlEEvT_SA_T0_T1_SD_T2_bjjjjRNS6_12storage_typeE,@function
_ZN7rocprim17ROCPRIM_400000_NS6detail26segmented_warp_sort_helperINS1_20WarpSortHelperConfigILj8ELj4ELj256EEE6__halflLi256ELb1EvE4sortIPKS5_PS5_PKlPlEEvT_SA_T0_T1_SD_T2_bjjjjRNS6_12storage_typeE: ; @_ZN7rocprim17ROCPRIM_400000_NS6detail26segmented_warp_sort_helperINS1_20WarpSortHelperConfigILj8ELj4ELj256EEE6__halflLi256ELb1EvE4sortIPKS5_PS5_PKlPlEEvT_SA_T0_T1_SD_T2_bjjjjRNS6_12storage_typeE
; %bb.0:
	s_waitcnt vmcnt(0) expcnt(0) lgkmcnt(0)
	v_mov_b32_e32 v16, v14
	v_mbcnt_lo_u32_b32 v14, -1, 0
	v_and_b32_e32 v17, 1, v12
	s_mov_b32 s10, 0
	v_sub_nc_u32_e32 v24, v16, v13
	v_lshlrev_b32_e32 v35, 2, v14
	v_mov_b32_e32 v14, 0
	v_cmp_ne_u32_e64 s4, 1, v17
                                        ; implicit-def: $vgpr16_vgpr17_vgpr18_vgpr19_vgpr20_vgpr21_vgpr22_vgpr23
	v_and_b32_e32 v12, 28, v35
	v_lshlrev_b64 v[32:33], 1, v[13:14]
	v_lshlrev_b32_e32 v34, 1, v12
	v_add_co_u32 v0, vcc_lo, v0, v32
	v_add_co_ci_u32_e64 v1, null, v1, v33, vcc_lo
	v_add_co_u32 v0, vcc_lo, v0, v34
	v_add_co_ci_u32_e64 v1, null, 0, v1, vcc_lo
	v_cmp_lt_u32_e32 vcc_lo, v12, v24
	s_and_saveexec_b32 s5, s4
	s_xor_b32 s11, exec_lo, s5
	s_cbranch_execnz .LBB1757_4
; %bb.1:
	s_andn2_saveexec_b32 s11, s11
	s_cbranch_execnz .LBB1757_109
.LBB1757_2:
	s_or_b32 exec_lo, exec_lo, s11
	s_and_saveexec_b32 s4, s10
	s_cbranch_execnz .LBB1757_214
.LBB1757_3:
	s_or_b32 exec_lo, exec_lo, s4
	s_waitcnt lgkmcnt(0)
	s_setpc_b64 s[30:31]
.LBB1757_4:
	v_mov_b32_e32 v36, 0xffff
	v_mov_b32_e32 v37, 0xffff
	s_and_saveexec_b32 s4, vcc_lo
	s_cbranch_execz .LBB1757_6
; %bb.5:
	flat_load_ushort v37, v[0:1]
.LBB1757_6:
	s_or_b32 exec_lo, exec_lo, s4
	v_or_b32_e32 v4, 1, v12
	v_cmp_lt_u32_e64 s4, v4, v24
	s_and_saveexec_b32 s5, s4
	s_cbranch_execz .LBB1757_8
; %bb.7:
	flat_load_ushort v36, v[0:1] offset:2
.LBB1757_8:
	s_or_b32 exec_lo, exec_lo, s5
	v_or_b32_e32 v4, 2, v12
	v_mov_b32_e32 v11, 0xffff
	v_mov_b32_e32 v38, 0xffff
	v_cmp_lt_u32_e64 s5, v4, v24
	s_and_saveexec_b32 s6, s5
	s_cbranch_execz .LBB1757_10
; %bb.9:
	flat_load_ushort v38, v[0:1] offset:4
.LBB1757_10:
	s_or_b32 exec_lo, exec_lo, s6
	v_or_b32_e32 v4, 3, v12
	v_cmp_lt_u32_e64 s6, v4, v24
	s_and_saveexec_b32 s7, s6
	s_cbranch_execz .LBB1757_12
; %bb.11:
	flat_load_ushort v11, v[0:1] offset:6
.LBB1757_12:
	s_or_b32 exec_lo, exec_lo, s7
	v_lshlrev_b64 v[0:1], 3, v[13:14]
	v_lshlrev_b32_e32 v10, 3, v12
	v_mov_b32_e32 v16, 0
	; wave barrier
	v_add_co_u32 v4, s7, v6, v0
	v_add_co_ci_u32_e64 v5, null, v7, v1, s7
	v_mov_b32_e32 v17, v16
	v_add_co_u32 v4, s7, v4, v10
	v_add_co_ci_u32_e64 v5, null, 0, v5, s7
	v_mov_b32_e32 v18, v16
	v_mov_b32_e32 v19, v16
	;; [unrolled: 1-line block ×6, first 2 shown]
	s_and_saveexec_b32 s7, vcc_lo
	s_cbranch_execnz .LBB1757_215
; %bb.13:
	s_or_b32 exec_lo, exec_lo, s7
	s_and_saveexec_b32 s7, s4
	s_cbranch_execnz .LBB1757_216
.LBB1757_14:
	s_or_b32 exec_lo, exec_lo, s7
	s_and_saveexec_b32 s7, s5
	s_cbranch_execnz .LBB1757_217
.LBB1757_15:
	s_or_b32 exec_lo, exec_lo, s7
	s_and_saveexec_b32 s7, s6
	s_cbranch_execz .LBB1757_17
.LBB1757_16:
	flat_load_dwordx2 v[22:23], v[4:5] offset:24
.LBB1757_17:
	s_or_b32 exec_lo, exec_lo, s7
	; wave barrier
	s_load_dwordx2 s[14:15], s[8:9], 0x0
	v_mov_b32_e32 v4, 0
	v_bfe_u32 v6, v31, 10, 10
	v_bfe_u32 v7, v31, 20, 10
	s_waitcnt lgkmcnt(0)
	s_cmp_lt_u32 s13, s15
	s_cselect_b32 s7, 14, 20
	s_add_u32 s16, s8, s7
	s_addc_u32 s17, s9, 0
	s_cmp_lt_u32 s12, s14
	global_load_ushort v5, v4, s[16:17]
	s_cselect_b32 s7, 12, 18
	s_add_u32 s14, s8, s7
	s_addc_u32 s15, s9, 0
	global_load_ushort v4, v4, s[14:15]
	s_mov_b32 s14, exec_lo
	s_waitcnt vmcnt(1)
	v_mad_u32_u24 v5, v7, v5, v6
	s_waitcnt vmcnt(0)
	v_mul_lo_u32 v4, v5, v4
	v_and_b32_e32 v5, 0x3ff, v31
	v_add_lshl_u32 v4, v4, v5, 2
	v_cmpx_gt_u32_e32 0x400, v4
	s_cbranch_execz .LBB1757_27
; %bb.18:
	v_add_f16_e32 v5, 0, v36
	v_add_f16_e32 v6, 0, v37
	;; [unrolled: 1-line block ×4, first 2 shown]
	v_mov_b32_e32 v29, v21
	v_cmp_lt_i16_e64 s7, -1, v5
	v_mov_b32_e32 v31, v23
	v_mov_b32_e32 v28, v20
	;; [unrolled: 1-line block ×3, first 2 shown]
	s_mov_b32 s15, exec_lo
	v_cndmask_b32_e64 v24, -1, 0xffff8000, s7
	v_cmp_lt_i16_e64 s7, -1, v6
	v_xor_b32_e32 v5, v24, v5
	v_cndmask_b32_e64 v25, -1, 0xffff8000, s7
	v_cmp_lt_i16_e64 s7, -1, v39
	v_xor_b32_e32 v6, v25, v6
	;; [unrolled: 3-line block ×3, first 2 shown]
	v_cndmask_b32_e64 v25, -1, 0xffff8000, s7
	v_cmp_gt_u16_e64 s7, v5, v6
	v_mov_b32_e32 v5, v38
	v_xor_b32_e32 v6, v25, v7
	v_cndmask_b32_e64 v27, v19, v17, s7
	v_cndmask_b32_e64 v26, v18, v16, s7
	v_cndmask_b32_e64 v25, v17, v19, s7
	v_cndmask_b32_e64 v24, v16, v18, s7
	v_cmpx_gt_u16_e64 v48, v6
	s_cbranch_execz .LBB1757_20
; %bb.19:
	v_mov_b32_e32 v29, v23
	v_mov_b32_e32 v31, v21
	;; [unrolled: 1-line block ×8, first 2 shown]
.LBB1757_20:
	s_or_b32 exec_lo, exec_lo, s15
	v_cndmask_b32_e64 v18, v36, v37, s7
	v_add_f16_e32 v16, 0, v18
	v_cmp_lt_i16_e64 s10, -1, v16
	v_cndmask_b32_e64 v17, -1, 0xffff8000, s10
	v_xor_b32_e32 v19, v17, v16
	v_mov_b32_e32 v17, v7
	v_cmp_gt_u16_e64 s10, v6, v19
	v_mov_b32_e32 v6, v18
	s_and_saveexec_b32 s15, s10
	s_xor_b32 s10, exec_lo, s15
	s_cbranch_execz .LBB1757_22
; %bb.21:
	v_mov_b32_e32 v55, v31
	v_mov_b32_e32 v54, v30
	;; [unrolled: 1-line block ×26, first 2 shown]
.LBB1757_22:
	s_or_b32 exec_lo, exec_lo, s10
	v_cndmask_b32_e64 v7, v37, v36, s7
	v_cmp_lt_i16_e64 s7, -1, v16
	v_add_f16_e32 v21, 0, v11
	s_mov_b32 s15, exec_lo
	v_add_f16_e32 v18, 0, v7
	v_cndmask_b32_e64 v19, -1, 0xffff8000, s7
	v_cmp_lt_i16_e64 s7, -1, v18
	v_xor_b32_e32 v16, v19, v16
	v_cndmask_b32_e64 v20, -1, 0xffff8000, s7
	v_cmp_lt_i16_e64 s7, -1, v17
	v_xor_b32_e32 v18, v20, v18
	v_cndmask_b32_e64 v22, -1, 0xffff8000, s7
	v_cmp_lt_i16_e64 s7, -1, v21
	v_mov_b32_e32 v20, v28
	v_xor_b32_e32 v37, v22, v17
	v_cndmask_b32_e64 v23, -1, 0xffff8000, s7
	v_cmp_gt_u16_e64 s7, v16, v18
	v_mov_b32_e32 v22, v30
	v_xor_b32_e32 v36, v23, v21
	v_mov_b32_e32 v21, v29
	v_mov_b32_e32 v23, v31
	v_cndmask_b32_e64 v19, v27, v25, s7
	v_cndmask_b32_e64 v18, v26, v24, s7
	;; [unrolled: 1-line block ×4, first 2 shown]
	v_mov_b32_e32 v24, v5
	v_cmpx_gt_u16_e64 v36, v37
	s_cbranch_execz .LBB1757_24
; %bb.23:
	v_mov_b32_e32 v20, v30
	v_mov_b32_e32 v21, v31
	;; [unrolled: 1-line block ×7, first 2 shown]
.LBB1757_24:
	s_or_b32 exec_lo, exec_lo, s15
	v_cndmask_b32_e64 v36, v6, v7, s7
	v_mov_b32_e32 v38, v24
	s_mov_b32 s15, exec_lo
	v_add_f16_e32 v5, 0, v36
	v_cmp_lt_i16_e64 s10, -1, v5
	v_cndmask_b32_e64 v25, -1, 0xffff8000, s10
	v_xor_b32_e32 v5, v25, v5
	v_cmpx_gt_u16_e64 v37, v5
	s_cbranch_execz .LBB1757_26
; %bb.25:
	v_mov_b32_e32 v48, v16
	v_mov_b32_e32 v49, v17
	;; [unrolled: 1-line block ×18, first 2 shown]
.LBB1757_26:
	s_or_b32 exec_lo, exec_lo, s15
	v_cndmask_b32_e64 v37, v7, v6, s7
.LBB1757_27:
	s_or_b32 exec_lo, exec_lo, s14
	v_and_b32_e32 v4, 0xffffff80, v4
	v_or_b32_e32 v7, 4, v35
	v_mov_b32_e32 v5, 0
	v_and_b32_e32 v39, 0x78, v35
	s_mov_b32 s10, exec_lo
	v_sub_nc_u32_e64 v6, 0x400, v4 clamp
	v_lshlrev_b64 v[24:25], 3, v[4:5]
	v_lshlrev_b64 v[4:5], 1, v[4:5]
	v_min_u32_e32 v30, v6, v7
	v_and_b32_e32 v7, 4, v35
	v_add_co_u32 v24, null, v15, v24
	v_add_nc_u32_e32 v25, 4, v30
	v_add_co_u32 v5, null, v15, v4
	v_add_co_u32 v4, null, 0x800, v24
	v_min_u32_e32 v31, v6, v25
	v_min_u32_e32 v48, v6, v7
	v_sub_nc_u32_e32 v25, v30, v39
	v_lshl_add_u32 v7, v35, 1, v5
	v_lshl_add_u32 v15, v35, 3, v4
	v_sub_nc_u32_e32 v24, v31, v30
	ds_write_b16 v7, v37
	ds_write_b64 v15, v[16:17]
	ds_write_b16 v7, v36 offset:2
	ds_write_b64 v15, v[18:19] offset:8
	ds_write_b16 v7, v38 offset:4
	ds_write_b64 v15, v[20:21] offset:16
	;; [unrolled: 2-line block ×3, first 2 shown]
	v_sub_nc_u32_e64 v49, v48, v24 clamp
	v_min_u32_e32 v24, v48, v25
	; wave barrier
	v_cmpx_lt_u32_e64 v49, v24
	s_cbranch_execz .LBB1757_31
; %bb.28:
	v_lshlrev_b32_e32 v25, 1, v39
	v_lshlrev_b32_e32 v26, 1, v30
	s_mov_b32 s14, 0
	v_add_co_u32 v25, null, v5, v25
	v_add_co_u32 v26, null, v5, v26
	s_inst_prefetch 0x1
	.p2align	6
.LBB1757_29:                            ; =>This Inner Loop Header: Depth=1
	v_add_nc_u32_e32 v27, v24, v49
	v_lshrrev_b32_e32 v28, 1, v27
	v_and_b32_e32 v27, -2, v27
	v_xad_u32 v29, v28, -1, v48
	v_add_nc_u32_e32 v27, v25, v27
	v_lshl_add_u32 v29, v29, 1, v26
	ds_read_u16 v27, v27
	ds_read_u16 v29, v29
	s_waitcnt lgkmcnt(1)
	v_add_f16_e32 v27, 0, v27
	s_waitcnt lgkmcnt(0)
	v_add_f16_e32 v29, 0, v29
	v_cmp_lt_i16_e64 s7, -1, v27
	v_cndmask_b32_e64 v50, -1, 0xffff8000, s7
	v_cmp_lt_i16_e64 s7, -1, v29
	v_xor_b32_e32 v27, v50, v27
	v_cndmask_b32_e64 v51, -1, 0xffff8000, s7
	v_add_nc_u32_e32 v50, 1, v28
	v_xor_b32_e32 v29, v51, v29
	v_cmp_gt_u16_e64 s7, v29, v27
	v_cndmask_b32_e64 v24, v24, v28, s7
	v_cndmask_b32_e64 v49, v50, v49, s7
	v_cmp_ge_u32_e64 s7, v49, v24
	s_or_b32 s14, s7, s14
	s_andn2_b32 exec_lo, exec_lo, s14
	s_cbranch_execnz .LBB1757_29
; %bb.30:
	s_inst_prefetch 0x2
	s_or_b32 exec_lo, exec_lo, s14
.LBB1757_31:
	s_or_b32 exec_lo, exec_lo, s10
	v_add_nc_u32_e32 v48, v30, v48
	v_add_nc_u32_e32 v39, v49, v39
	;; [unrolled: 1-line block ×5, first 2 shown]
	v_sub_nc_u32_e32 v48, v48, v49
	v_cmp_le_u32_e64 s7, v39, v30
	v_add_nc_u32_e32 v28, 16, v15
	v_add_nc_u32_e32 v27, 6, v7
	;; [unrolled: 1-line block ×3, first 2 shown]
	v_cmp_le_u32_e64 s10, v48, v31
	s_or_b32 s7, s7, s10
	s_and_saveexec_b32 s14, s7
	s_cbranch_execz .LBB1757_51
; %bb.32:
	v_cmp_ge_u32_e64 s7, v39, v30
	s_mov_b32 s15, exec_lo
                                        ; implicit-def: $vgpr11
	v_cmpx_lt_u32_e64 v39, v30
; %bb.33:
	v_lshl_add_u32 v11, v39, 1, v5
	ds_read_u16 v11, v11
; %bb.34:
	s_or_b32 exec_lo, exec_lo, s15
	v_cmp_ge_u32_e64 s15, v48, v31
	s_mov_b32 s16, exec_lo
                                        ; implicit-def: $vgpr37
	v_cmpx_lt_u32_e64 v48, v31
; %bb.35:
	v_lshl_add_u32 v16, v48, 1, v5
	ds_read_u16 v37, v16
; %bb.36:
	s_or_b32 exec_lo, exec_lo, s16
	s_nor_b32 s7, s7, s15
	s_and_saveexec_b32 s10, s7
	s_cbranch_execz .LBB1757_38
; %bb.37:
	s_waitcnt lgkmcnt(0)
	v_add_f16_e32 v16, 0, v37
	v_add_f16_e32 v17, 0, v11
	s_andn2_b32 s15, s15, exec_lo
	v_cmp_lt_i16_e64 s7, -1, v16
	v_cndmask_b32_e64 v18, -1, 0xffff8000, s7
	v_cmp_lt_i16_e64 s7, -1, v17
	v_xor_b32_e32 v16, v18, v16
	v_cndmask_b32_e64 v19, -1, 0xffff8000, s7
	v_xor_b32_e32 v17, v19, v17
	v_cmp_le_u16_e64 s7, v16, v17
	s_and_b32 s7, s7, exec_lo
	s_or_b32 s15, s15, s7
.LBB1757_38:
	s_or_b32 exec_lo, exec_lo, s10
	v_cndmask_b32_e64 v16, v48, v39, s15
	v_cndmask_b32_e64 v17, v31, v30, s15
	s_mov_b32 s16, -1
	s_mov_b32 s10, -1
	s_mov_b32 s17, exec_lo
	v_add_nc_u32_e32 v18, 1, v16
	v_add_nc_u32_e32 v17, -1, v17
	v_lshl_add_u32 v16, v16, 3, v4
	v_cndmask_b32_e64 v20, v18, v48, s15
	v_min_u32_e32 v17, v18, v17
	v_cndmask_b32_e64 v21, v39, v18, s15
	v_lshl_add_u32 v17, v17, 1, v5
	ds_read_u16 v19, v17
	ds_read_b64 v[16:17], v16
	s_waitcnt lgkmcnt(1)
	v_cndmask_b32_e64 v36, v19, v37, s15
	v_cndmask_b32_e64 v39, v11, v19, s15
	v_cmpx_lt_u32_e64 v20, v31
	s_cbranch_execz .LBB1757_42
; %bb.39:
	s_mov_b32 s18, 0
	s_mov_b32 s10, exec_lo
	v_cmpx_lt_u32_e64 v21, v30
	s_cbranch_execz .LBB1757_41
; %bb.40:
	v_add_f16_e32 v18, 0, v36
	v_add_f16_e32 v19, 0, v39
	v_cmp_lt_i16_e64 s7, -1, v18
	v_cndmask_b32_e64 v22, -1, 0xffff8000, s7
	v_cmp_lt_i16_e64 s7, -1, v19
	v_xor_b32_e32 v18, v22, v18
	v_cndmask_b32_e64 v23, -1, 0xffff8000, s7
	v_xor_b32_e32 v19, v23, v19
	v_cmp_le_u16_e64 s7, v18, v19
	s_and_b32 s18, s7, exec_lo
.LBB1757_41:
	s_or_b32 exec_lo, exec_lo, s10
	s_orn2_b32 s10, s18, exec_lo
.LBB1757_42:
	s_or_b32 exec_lo, exec_lo, s17
	v_cndmask_b32_e64 v18, v20, v21, s10
	v_cndmask_b32_e64 v19, v31, v30, s10
	s_mov_b32 s17, exec_lo
	v_add_nc_u32_e32 v23, 1, v18
	v_add_nc_u32_e32 v19, -1, v19
	v_lshl_add_u32 v18, v18, 3, v4
	v_cndmask_b32_e64 v22, v23, v20, s10
	v_min_u32_e32 v19, v23, v19
	v_cndmask_b32_e64 v23, v21, v23, s10
	v_lshl_add_u32 v19, v19, 1, v5
	ds_read_u16 v48, v19
	ds_read_b64 v[18:19], v18
	s_waitcnt lgkmcnt(1)
	v_cndmask_b32_e64 v38, v48, v36, s10
	v_cndmask_b32_e64 v48, v39, v48, s10
	v_cmpx_lt_u32_e64 v22, v31
	s_cbranch_execz .LBB1757_46
; %bb.43:
	s_mov_b32 s18, 0
	s_mov_b32 s16, exec_lo
	v_cmpx_lt_u32_e64 v23, v30
	s_cbranch_execz .LBB1757_45
; %bb.44:
	v_add_f16_e32 v20, 0, v38
	v_add_f16_e32 v21, 0, v48
	v_cmp_lt_i16_e64 s7, -1, v20
	v_cndmask_b32_e64 v49, -1, 0xffff8000, s7
	v_cmp_lt_i16_e64 s7, -1, v21
	v_xor_b32_e32 v20, v49, v20
	v_cndmask_b32_e64 v50, -1, 0xffff8000, s7
	v_xor_b32_e32 v21, v50, v21
	v_cmp_le_u16_e64 s7, v20, v21
	s_and_b32 s18, s7, exec_lo
.LBB1757_45:
	s_or_b32 exec_lo, exec_lo, s16
	s_orn2_b32 s16, s18, exec_lo
.LBB1757_46:
	s_or_b32 exec_lo, exec_lo, s17
	v_cndmask_b32_e64 v20, v22, v23, s16
	v_cndmask_b32_e64 v21, v31, v30, s16
	s_mov_b32 s18, -1
	s_mov_b32 s17, exec_lo
	v_add_nc_u32_e32 v49, 1, v20
	v_add_nc_u32_e32 v21, -1, v21
	v_lshl_add_u32 v20, v20, 3, v4
	v_cndmask_b32_e64 v22, v49, v22, s16
	v_min_u32_e32 v21, v49, v21
	v_cndmask_b32_e64 v23, v23, v49, s16
	v_lshl_add_u32 v21, v21, 1, v5
	ds_read_u16 v50, v21
	ds_read_b64 v[20:21], v20
	s_waitcnt lgkmcnt(1)
	v_cndmask_b32_e64 v49, v50, v38, s16
	v_cndmask_b32_e64 v50, v48, v50, s16
	v_cmpx_lt_u32_e64 v22, v31
	s_cbranch_execz .LBB1757_50
; %bb.47:
	s_mov_b32 s19, 0
	s_mov_b32 s18, exec_lo
	v_cmpx_lt_u32_e64 v23, v30
	s_cbranch_execz .LBB1757_49
; %bb.48:
	v_add_f16_e32 v30, 0, v49
	v_add_f16_e32 v31, 0, v50
	v_cmp_lt_i16_e64 s7, -1, v30
	v_cndmask_b32_e64 v51, -1, 0xffff8000, s7
	v_cmp_lt_i16_e64 s7, -1, v31
	v_xor_b32_e32 v30, v51, v30
	v_cndmask_b32_e64 v52, -1, 0xffff8000, s7
	v_xor_b32_e32 v31, v52, v31
	v_cmp_le_u16_e64 s7, v30, v31
	s_and_b32 s19, s7, exec_lo
.LBB1757_49:
	s_or_b32 exec_lo, exec_lo, s18
	s_orn2_b32 s18, s19, exec_lo
.LBB1757_50:
	s_or_b32 exec_lo, exec_lo, s17
	v_cndmask_b32_e64 v22, v22, v23, s18
	v_cndmask_b32_e64 v38, v38, v48, s16
	;; [unrolled: 1-line block ×5, first 2 shown]
	v_lshl_add_u32 v22, v22, 3, v4
	ds_read_b64 v[22:23], v22
.LBB1757_51:
	s_or_b32 exec_lo, exec_lo, s14
	v_and_b32_e32 v39, 0x70, v35
	v_and_b32_e32 v48, 12, v35
	s_mov_b32 s10, exec_lo
	; wave barrier
	v_or_b32_e32 v30, 8, v39
	v_min_u32_e32 v48, v6, v48
	ds_write_b16 v7, v37
	ds_write_b64 v15, v[16:17]
	ds_write_b16 v24, v36
	ds_write_b64 v25, v[18:19]
	ds_write_b16 v26, v38
	s_waitcnt lgkmcnt(6)
	ds_write_b64 v28, v[20:21]
	ds_write_b16 v27, v11
	s_waitcnt lgkmcnt(7)
	ds_write_b64 v29, v[22:23]
	v_min_u32_e32 v30, v6, v30
	; wave barrier
	v_add_nc_u32_e32 v31, 8, v30
	v_sub_nc_u32_e32 v50, v30, v39
	v_min_u32_e32 v31, v6, v31
	v_min_u32_e32 v50, v48, v50
	v_sub_nc_u32_e32 v49, v31, v30
	v_sub_nc_u32_e64 v49, v48, v49 clamp
	v_cmpx_lt_u32_e64 v49, v50
	s_cbranch_execz .LBB1757_55
; %bb.52:
	v_lshlrev_b32_e32 v51, 1, v39
	v_lshlrev_b32_e32 v52, 1, v30
	s_mov_b32 s14, 0
	v_add_co_u32 v51, null, v5, v51
	v_add_co_u32 v52, null, v5, v52
	s_inst_prefetch 0x1
	.p2align	6
.LBB1757_53:                            ; =>This Inner Loop Header: Depth=1
	v_add_nc_u32_e32 v53, v50, v49
	v_lshrrev_b32_e32 v54, 1, v53
	v_and_b32_e32 v53, -2, v53
	v_xad_u32 v55, v54, -1, v48
	v_add_nc_u32_e32 v53, v51, v53
	v_lshl_add_u32 v55, v55, 1, v52
	ds_read_u16 v53, v53
	ds_read_u16 v55, v55
	s_waitcnt lgkmcnt(1)
	v_add_f16_e32 v53, 0, v53
	s_waitcnt lgkmcnt(0)
	v_add_f16_e32 v55, 0, v55
	v_cmp_lt_i16_e64 s7, -1, v53
	v_cndmask_b32_e64 v64, -1, 0xffff8000, s7
	v_cmp_lt_i16_e64 s7, -1, v55
	v_xor_b32_e32 v53, v64, v53
	v_cndmask_b32_e64 v65, -1, 0xffff8000, s7
	v_add_nc_u32_e32 v64, 1, v54
	v_xor_b32_e32 v55, v65, v55
	v_cmp_gt_u16_e64 s7, v55, v53
	v_cndmask_b32_e64 v50, v50, v54, s7
	v_cndmask_b32_e64 v49, v64, v49, s7
	v_cmp_ge_u32_e64 s7, v49, v50
	s_or_b32 s14, s7, s14
	s_andn2_b32 exec_lo, exec_lo, s14
	s_cbranch_execnz .LBB1757_53
; %bb.54:
	s_inst_prefetch 0x2
	s_or_b32 exec_lo, exec_lo, s14
.LBB1757_55:
	s_or_b32 exec_lo, exec_lo, s10
	v_add_nc_u32_e32 v48, v30, v48
	v_add_nc_u32_e32 v39, v49, v39
	v_sub_nc_u32_e32 v48, v48, v49
	v_cmp_le_u32_e64 s7, v39, v30
	v_cmp_le_u32_e64 s10, v48, v31
	s_or_b32 s7, s7, s10
	s_and_saveexec_b32 s14, s7
	s_cbranch_execz .LBB1757_75
; %bb.56:
	v_cmp_ge_u32_e64 s7, v39, v30
	s_mov_b32 s15, exec_lo
                                        ; implicit-def: $vgpr11
	v_cmpx_lt_u32_e64 v39, v30
; %bb.57:
	v_lshl_add_u32 v11, v39, 1, v5
	ds_read_u16 v11, v11
; %bb.58:
	s_or_b32 exec_lo, exec_lo, s15
	v_cmp_ge_u32_e64 s15, v48, v31
	s_mov_b32 s16, exec_lo
                                        ; implicit-def: $vgpr37
	v_cmpx_lt_u32_e64 v48, v31
; %bb.59:
	v_lshl_add_u32 v16, v48, 1, v5
	ds_read_u16 v37, v16
; %bb.60:
	s_or_b32 exec_lo, exec_lo, s16
	s_nor_b32 s7, s7, s15
	s_and_saveexec_b32 s10, s7
	s_cbranch_execz .LBB1757_62
; %bb.61:
	s_waitcnt lgkmcnt(0)
	v_add_f16_e32 v16, 0, v37
	v_add_f16_e32 v17, 0, v11
	s_andn2_b32 s15, s15, exec_lo
	v_cmp_lt_i16_e64 s7, -1, v16
	v_cndmask_b32_e64 v18, -1, 0xffff8000, s7
	v_cmp_lt_i16_e64 s7, -1, v17
	v_xor_b32_e32 v16, v18, v16
	v_cndmask_b32_e64 v19, -1, 0xffff8000, s7
	v_xor_b32_e32 v17, v19, v17
	v_cmp_le_u16_e64 s7, v16, v17
	s_and_b32 s7, s7, exec_lo
	s_or_b32 s15, s15, s7
.LBB1757_62:
	s_or_b32 exec_lo, exec_lo, s10
	v_cndmask_b32_e64 v16, v48, v39, s15
	v_cndmask_b32_e64 v17, v31, v30, s15
	s_mov_b32 s16, -1
	s_mov_b32 s10, -1
	s_mov_b32 s17, exec_lo
	v_add_nc_u32_e32 v18, 1, v16
	v_add_nc_u32_e32 v17, -1, v17
	v_lshl_add_u32 v16, v16, 3, v4
	v_cndmask_b32_e64 v20, v18, v48, s15
	v_min_u32_e32 v17, v18, v17
	v_cndmask_b32_e64 v21, v39, v18, s15
	v_lshl_add_u32 v17, v17, 1, v5
	ds_read_u16 v19, v17
	ds_read_b64 v[16:17], v16
	s_waitcnt lgkmcnt(1)
	v_cndmask_b32_e64 v36, v19, v37, s15
	v_cndmask_b32_e64 v39, v11, v19, s15
	v_cmpx_lt_u32_e64 v20, v31
	s_cbranch_execz .LBB1757_66
; %bb.63:
	s_mov_b32 s18, 0
	s_mov_b32 s10, exec_lo
	v_cmpx_lt_u32_e64 v21, v30
	s_cbranch_execz .LBB1757_65
; %bb.64:
	v_add_f16_e32 v18, 0, v36
	v_add_f16_e32 v19, 0, v39
	v_cmp_lt_i16_e64 s7, -1, v18
	v_cndmask_b32_e64 v22, -1, 0xffff8000, s7
	v_cmp_lt_i16_e64 s7, -1, v19
	v_xor_b32_e32 v18, v22, v18
	v_cndmask_b32_e64 v23, -1, 0xffff8000, s7
	v_xor_b32_e32 v19, v23, v19
	v_cmp_le_u16_e64 s7, v18, v19
	s_and_b32 s18, s7, exec_lo
.LBB1757_65:
	s_or_b32 exec_lo, exec_lo, s10
	s_orn2_b32 s10, s18, exec_lo
.LBB1757_66:
	s_or_b32 exec_lo, exec_lo, s17
	v_cndmask_b32_e64 v18, v20, v21, s10
	v_cndmask_b32_e64 v19, v31, v30, s10
	s_mov_b32 s17, exec_lo
	v_add_nc_u32_e32 v23, 1, v18
	v_add_nc_u32_e32 v19, -1, v19
	v_lshl_add_u32 v18, v18, 3, v4
	v_cndmask_b32_e64 v22, v23, v20, s10
	v_min_u32_e32 v19, v23, v19
	v_cndmask_b32_e64 v23, v21, v23, s10
	v_lshl_add_u32 v19, v19, 1, v5
	ds_read_u16 v48, v19
	ds_read_b64 v[18:19], v18
	s_waitcnt lgkmcnt(1)
	v_cndmask_b32_e64 v38, v48, v36, s10
	v_cndmask_b32_e64 v48, v39, v48, s10
	v_cmpx_lt_u32_e64 v22, v31
	s_cbranch_execz .LBB1757_70
; %bb.67:
	s_mov_b32 s18, 0
	s_mov_b32 s16, exec_lo
	v_cmpx_lt_u32_e64 v23, v30
	s_cbranch_execz .LBB1757_69
; %bb.68:
	v_add_f16_e32 v20, 0, v38
	v_add_f16_e32 v21, 0, v48
	v_cmp_lt_i16_e64 s7, -1, v20
	v_cndmask_b32_e64 v49, -1, 0xffff8000, s7
	v_cmp_lt_i16_e64 s7, -1, v21
	v_xor_b32_e32 v20, v49, v20
	v_cndmask_b32_e64 v50, -1, 0xffff8000, s7
	v_xor_b32_e32 v21, v50, v21
	v_cmp_le_u16_e64 s7, v20, v21
	s_and_b32 s18, s7, exec_lo
.LBB1757_69:
	s_or_b32 exec_lo, exec_lo, s16
	s_orn2_b32 s16, s18, exec_lo
.LBB1757_70:
	s_or_b32 exec_lo, exec_lo, s17
	v_cndmask_b32_e64 v20, v22, v23, s16
	v_cndmask_b32_e64 v21, v31, v30, s16
	s_mov_b32 s18, -1
	s_mov_b32 s17, exec_lo
	v_add_nc_u32_e32 v49, 1, v20
	v_add_nc_u32_e32 v21, -1, v21
	v_lshl_add_u32 v20, v20, 3, v4
	v_cndmask_b32_e64 v22, v49, v22, s16
	v_min_u32_e32 v21, v49, v21
	v_cndmask_b32_e64 v23, v23, v49, s16
	v_lshl_add_u32 v21, v21, 1, v5
	ds_read_u16 v50, v21
	ds_read_b64 v[20:21], v20
	s_waitcnt lgkmcnt(1)
	v_cndmask_b32_e64 v49, v50, v38, s16
	v_cndmask_b32_e64 v50, v48, v50, s16
	v_cmpx_lt_u32_e64 v22, v31
	s_cbranch_execz .LBB1757_74
; %bb.71:
	s_mov_b32 s19, 0
	s_mov_b32 s18, exec_lo
	v_cmpx_lt_u32_e64 v23, v30
	s_cbranch_execz .LBB1757_73
; %bb.72:
	v_add_f16_e32 v30, 0, v49
	v_add_f16_e32 v31, 0, v50
	v_cmp_lt_i16_e64 s7, -1, v30
	v_cndmask_b32_e64 v51, -1, 0xffff8000, s7
	v_cmp_lt_i16_e64 s7, -1, v31
	v_xor_b32_e32 v30, v51, v30
	v_cndmask_b32_e64 v52, -1, 0xffff8000, s7
	v_xor_b32_e32 v31, v52, v31
	v_cmp_le_u16_e64 s7, v30, v31
	s_and_b32 s19, s7, exec_lo
.LBB1757_73:
	s_or_b32 exec_lo, exec_lo, s18
	s_orn2_b32 s18, s19, exec_lo
.LBB1757_74:
	s_or_b32 exec_lo, exec_lo, s17
	v_cndmask_b32_e64 v22, v22, v23, s18
	v_cndmask_b32_e64 v38, v38, v48, s16
	;; [unrolled: 1-line block ×5, first 2 shown]
	v_lshl_add_u32 v22, v22, 3, v4
	ds_read_b64 v[22:23], v22
.LBB1757_75:
	s_or_b32 exec_lo, exec_lo, s14
	v_and_b32_e32 v35, 0x60, v35
	; wave barrier
	ds_write_b16 v7, v37
	ds_write_b64 v15, v[16:17]
	s_mov_b32 s10, exec_lo
	v_or_b32_e32 v30, 16, v35
	ds_write_b16 v24, v36
	ds_write_b64 v25, v[18:19]
	ds_write_b16 v26, v38
	s_waitcnt lgkmcnt(6)
	ds_write_b64 v28, v[20:21]
	ds_write_b16 v27, v11
	s_waitcnt lgkmcnt(7)
	ds_write_b64 v29, v[22:23]
	; wave barrier
	v_min_u32_e32 v30, v6, v30
	v_add_nc_u32_e32 v31, 16, v30
	v_sub_nc_u32_e32 v48, v30, v35
	v_min_u32_e32 v31, v6, v31
	v_min_u32_e32 v6, v6, v12
	v_sub_nc_u32_e32 v39, v31, v30
	v_min_u32_e32 v15, v6, v48
	v_sub_nc_u32_e64 v7, v6, v39 clamp
	v_cmpx_lt_u32_e64 v7, v15
	s_cbranch_execz .LBB1757_79
; %bb.76:
	v_lshlrev_b32_e32 v24, 1, v35
	v_lshlrev_b32_e32 v25, 1, v30
	s_mov_b32 s14, 0
	v_add_co_u32 v24, null, v5, v24
	v_add_co_u32 v25, null, v5, v25
	s_inst_prefetch 0x1
	.p2align	6
.LBB1757_77:                            ; =>This Inner Loop Header: Depth=1
	v_add_nc_u32_e32 v26, v15, v7
	v_lshrrev_b32_e32 v27, 1, v26
	v_and_b32_e32 v26, -2, v26
	v_xad_u32 v28, v27, -1, v6
	v_add_nc_u32_e32 v26, v24, v26
	v_lshl_add_u32 v28, v28, 1, v25
	ds_read_u16 v26, v26
	ds_read_u16 v28, v28
	s_waitcnt lgkmcnt(1)
	v_add_f16_e32 v26, 0, v26
	s_waitcnt lgkmcnt(0)
	v_add_f16_e32 v28, 0, v28
	v_cmp_lt_i16_e64 s7, -1, v26
	v_cndmask_b32_e64 v29, -1, 0xffff8000, s7
	v_cmp_lt_i16_e64 s7, -1, v28
	v_xor_b32_e32 v26, v29, v26
	v_cndmask_b32_e64 v39, -1, 0xffff8000, s7
	v_add_nc_u32_e32 v29, 1, v27
	v_xor_b32_e32 v28, v39, v28
	v_cmp_gt_u16_e64 s7, v28, v26
	v_cndmask_b32_e64 v15, v15, v27, s7
	v_cndmask_b32_e64 v7, v29, v7, s7
	v_cmp_ge_u32_e64 s7, v7, v15
	s_or_b32 s14, s7, s14
	s_andn2_b32 exec_lo, exec_lo, s14
	s_cbranch_execnz .LBB1757_77
; %bb.78:
	s_inst_prefetch 0x2
	s_or_b32 exec_lo, exec_lo, s14
.LBB1757_79:
	s_or_b32 exec_lo, exec_lo, s10
	v_add_nc_u32_e32 v6, v30, v6
	v_add_nc_u32_e32 v15, v7, v35
	v_sub_nc_u32_e32 v24, v6, v7
	v_cmp_le_u32_e64 s7, v15, v30
	v_cmp_le_u32_e64 s10, v24, v31
	s_or_b32 s7, s7, s10
	s_and_saveexec_b32 s14, s7
	s_cbranch_execz .LBB1757_99
; %bb.80:
	v_cmp_ge_u32_e64 s7, v15, v30
	s_mov_b32 s15, exec_lo
                                        ; implicit-def: $vgpr6
	v_cmpx_lt_u32_e64 v15, v30
; %bb.81:
	v_lshl_add_u32 v6, v15, 1, v5
	ds_read_u16 v6, v6
; %bb.82:
	s_or_b32 exec_lo, exec_lo, s15
	v_cmp_ge_u32_e64 s15, v24, v31
	s_mov_b32 s16, exec_lo
                                        ; implicit-def: $vgpr7
	v_cmpx_lt_u32_e64 v24, v31
; %bb.83:
	v_lshl_add_u32 v7, v24, 1, v5
	ds_read_u16 v7, v7
; %bb.84:
	s_or_b32 exec_lo, exec_lo, s16
	s_nor_b32 s7, s7, s15
	s_and_saveexec_b32 s10, s7
	s_cbranch_execz .LBB1757_86
; %bb.85:
	s_waitcnt lgkmcnt(0)
	v_add_f16_e32 v11, 0, v7
	v_add_f16_e32 v16, 0, v6
	s_andn2_b32 s15, s15, exec_lo
	v_cmp_lt_i16_e64 s7, -1, v11
	v_cndmask_b32_e64 v17, -1, 0xffff8000, s7
	v_cmp_lt_i16_e64 s7, -1, v16
	v_xor_b32_e32 v11, v17, v11
	v_cndmask_b32_e64 v18, -1, 0xffff8000, s7
	v_xor_b32_e32 v16, v18, v16
	v_cmp_le_u16_e64 s7, v11, v16
	s_and_b32 s7, s7, exec_lo
	s_or_b32 s15, s15, s7
.LBB1757_86:
	s_or_b32 exec_lo, exec_lo, s10
	v_cndmask_b32_e64 v11, v24, v15, s15
	v_cndmask_b32_e64 v16, v31, v30, s15
	s_mov_b32 s16, -1
	s_mov_b32 s10, -1
	s_mov_b32 s17, exec_lo
	v_add_nc_u32_e32 v18, 1, v11
	v_add_nc_u32_e32 v16, -1, v16
	v_lshl_add_u32 v11, v11, 3, v4
	v_cndmask_b32_e64 v20, v18, v24, s15
	v_min_u32_e32 v16, v18, v16
	v_cndmask_b32_e64 v21, v15, v18, s15
	v_lshl_add_u32 v16, v16, 1, v5
	ds_read_u16 v19, v16
	ds_read_b64 v[16:17], v11
	s_waitcnt lgkmcnt(1)
	v_cndmask_b32_e64 v11, v19, v7, s15
	v_cndmask_b32_e64 v15, v6, v19, s15
	v_cmpx_lt_u32_e64 v20, v31
	s_cbranch_execz .LBB1757_90
; %bb.87:
	s_mov_b32 s18, 0
	s_mov_b32 s10, exec_lo
	v_cmpx_lt_u32_e64 v21, v30
	s_cbranch_execz .LBB1757_89
; %bb.88:
	v_add_f16_e32 v18, 0, v11
	v_add_f16_e32 v19, 0, v15
	v_cmp_lt_i16_e64 s7, -1, v18
	v_cndmask_b32_e64 v22, -1, 0xffff8000, s7
	v_cmp_lt_i16_e64 s7, -1, v19
	v_xor_b32_e32 v18, v22, v18
	v_cndmask_b32_e64 v23, -1, 0xffff8000, s7
	v_xor_b32_e32 v19, v23, v19
	v_cmp_le_u16_e64 s7, v18, v19
	s_and_b32 s18, s7, exec_lo
.LBB1757_89:
	s_or_b32 exec_lo, exec_lo, s10
	s_orn2_b32 s10, s18, exec_lo
.LBB1757_90:
	s_or_b32 exec_lo, exec_lo, s17
	v_cndmask_b32_e64 v18, v20, v21, s10
	v_cndmask_b32_e64 v19, v31, v30, s10
	s_mov_b32 s17, exec_lo
	v_add_nc_u32_e32 v23, 1, v18
	v_add_nc_u32_e32 v19, -1, v19
	v_lshl_add_u32 v18, v18, 3, v4
	v_cndmask_b32_e64 v22, v23, v20, s10
	v_min_u32_e32 v19, v23, v19
	v_cndmask_b32_e64 v23, v21, v23, s10
	v_lshl_add_u32 v19, v19, 1, v5
	ds_read_u16 v25, v19
	ds_read_b64 v[18:19], v18
	s_waitcnt lgkmcnt(1)
	v_cndmask_b32_e64 v24, v25, v11, s10
	v_cndmask_b32_e64 v25, v15, v25, s10
	v_cmpx_lt_u32_e64 v22, v31
	s_cbranch_execz .LBB1757_94
; %bb.91:
	s_mov_b32 s18, 0
	s_mov_b32 s16, exec_lo
	v_cmpx_lt_u32_e64 v23, v30
	s_cbranch_execz .LBB1757_93
; %bb.92:
	v_add_f16_e32 v20, 0, v24
	v_add_f16_e32 v21, 0, v25
	v_cmp_lt_i16_e64 s7, -1, v20
	v_cndmask_b32_e64 v26, -1, 0xffff8000, s7
	v_cmp_lt_i16_e64 s7, -1, v21
	v_xor_b32_e32 v20, v26, v20
	v_cndmask_b32_e64 v27, -1, 0xffff8000, s7
	v_xor_b32_e32 v21, v27, v21
	v_cmp_le_u16_e64 s7, v20, v21
	s_and_b32 s18, s7, exec_lo
.LBB1757_93:
	s_or_b32 exec_lo, exec_lo, s16
	s_orn2_b32 s16, s18, exec_lo
.LBB1757_94:
	s_or_b32 exec_lo, exec_lo, s17
	v_cndmask_b32_e64 v20, v22, v23, s16
	v_cndmask_b32_e64 v21, v31, v30, s16
	s_mov_b32 s18, -1
	s_mov_b32 s17, exec_lo
	v_add_nc_u32_e32 v26, 1, v20
	v_add_nc_u32_e32 v21, -1, v21
	v_cndmask_b32_e64 v22, v26, v22, s16
	v_min_u32_e32 v21, v26, v21
	v_cndmask_b32_e64 v23, v23, v26, s16
	v_lshl_add_u32 v5, v21, 1, v5
	ds_read_u16 v27, v5
	v_lshl_add_u32 v5, v20, 3, v4
	ds_read_b64 v[20:21], v5
	s_waitcnt lgkmcnt(1)
	v_cndmask_b32_e64 v5, v27, v24, s16
	v_cndmask_b32_e64 v26, v25, v27, s16
	v_cmpx_lt_u32_e64 v22, v31
	s_cbranch_execz .LBB1757_98
; %bb.95:
	s_mov_b32 s19, 0
	s_mov_b32 s18, exec_lo
	v_cmpx_lt_u32_e64 v23, v30
	s_cbranch_execz .LBB1757_97
; %bb.96:
	v_add_f16_e32 v27, 0, v5
	v_add_f16_e32 v28, 0, v26
	v_cmp_lt_i16_e64 s7, -1, v27
	v_cndmask_b32_e64 v29, -1, 0xffff8000, s7
	v_cmp_lt_i16_e64 s7, -1, v28
	v_xor_b32_e32 v27, v29, v27
	v_cndmask_b32_e64 v30, -1, 0xffff8000, s7
	v_xor_b32_e32 v28, v30, v28
	v_cmp_le_u16_e64 s7, v27, v28
	s_and_b32 s19, s7, exec_lo
.LBB1757_97:
	s_or_b32 exec_lo, exec_lo, s18
	s_orn2_b32 s18, s19, exec_lo
.LBB1757_98:
	s_or_b32 exec_lo, exec_lo, s17
	v_cndmask_b32_e64 v22, v22, v23, s18
	v_cndmask_b32_e64 v38, v24, v25, s16
	v_cndmask_b32_e64 v36, v11, v15, s10
	v_cndmask_b32_e64 v37, v7, v6, s15
	v_cndmask_b32_e64 v11, v5, v26, s18
	v_lshl_add_u32 v4, v22, 3, v4
	ds_read_b64 v[22:23], v4
.LBB1757_99:
	s_or_b32 exec_lo, exec_lo, s14
	v_add_co_u32 v2, s7, v2, v32
	v_add_co_ci_u32_e64 v3, null, v3, v33, s7
	v_add_co_u32 v2, s7, v2, v34
	v_add_co_ci_u32_e64 v3, null, 0, v3, s7
	; wave barrier
	s_waitcnt lgkmcnt(0)
	s_waitcnt_vscnt null, 0x0
	s_barrier
	buffer_gl0_inv
	; wave barrier
	s_and_saveexec_b32 s7, vcc_lo
	s_cbranch_execnz .LBB1757_218
; %bb.100:
	s_or_b32 exec_lo, exec_lo, s7
	s_and_saveexec_b32 s7, s4
	s_cbranch_execnz .LBB1757_219
.LBB1757_101:
	s_or_b32 exec_lo, exec_lo, s7
	s_and_saveexec_b32 s7, s5
	s_cbranch_execnz .LBB1757_220
.LBB1757_102:
	s_or_b32 exec_lo, exec_lo, s7
	s_and_saveexec_b32 s7, s6
	s_cbranch_execz .LBB1757_104
.LBB1757_103:
	flat_store_short v[2:3], v11 offset:6
.LBB1757_104:
	s_or_b32 exec_lo, exec_lo, s7
	v_add_co_u32 v0, s7, v8, v0
	v_add_co_ci_u32_e64 v1, null, v9, v1, s7
	v_add_co_u32 v0, s7, v0, v10
	v_add_co_ci_u32_e64 v1, null, 0, v1, s7
	; wave barrier
	s_and_saveexec_b32 s7, vcc_lo
	s_cbranch_execnz .LBB1757_221
; %bb.105:
	s_or_b32 exec_lo, exec_lo, s7
	s_and_saveexec_b32 s7, s4
	s_cbranch_execnz .LBB1757_222
.LBB1757_106:
	s_or_b32 exec_lo, exec_lo, s7
	s_and_saveexec_b32 s4, s5
	s_cbranch_execz .LBB1757_108
.LBB1757_107:
	flat_store_dwordx2 v[0:1], v[20:21] offset:16
.LBB1757_108:
	s_or_b32 exec_lo, exec_lo, s4
	s_and_b32 s10, s6, exec_lo
                                        ; implicit-def: $vgpr24
                                        ; implicit-def: $vgpr35
                                        ; implicit-def: $vgpr0_vgpr1
                                        ; implicit-def: $vgpr4
                                        ; implicit-def: $vgpr5
                                        ; implicit-def: $vgpr6
                                        ; implicit-def: $vgpr7
                                        ; implicit-def: $vgpr10
                                        ; implicit-def: $vgpr15
                                        ; implicit-def: $vgpr32_vgpr33
                                        ; implicit-def: $vgpr34
                                        ; implicit-def: $vgpr31
	s_andn2_saveexec_b32 s11, s11
	s_cbranch_execz .LBB1757_2
.LBB1757_109:
	v_mov_b32_e32 v36, 0xffff
	v_mov_b32_e32 v37, 0xffff
	s_and_saveexec_b32 s4, vcc_lo
	s_cbranch_execz .LBB1757_111
; %bb.110:
	flat_load_ushort v37, v[0:1]
.LBB1757_111:
	s_or_b32 exec_lo, exec_lo, s4
	v_or_b32_e32 v2, 1, v12
	v_cmp_lt_u32_e64 s4, v2, v24
	s_and_saveexec_b32 s5, s4
	s_cbranch_execz .LBB1757_113
; %bb.112:
	flat_load_ushort v36, v[0:1] offset:2
.LBB1757_113:
	s_or_b32 exec_lo, exec_lo, s5
	v_or_b32_e32 v2, 2, v12
	v_mov_b32_e32 v9, 0xffff
	v_mov_b32_e32 v38, 0xffff
	v_cmp_lt_u32_e64 s6, v2, v24
	s_and_saveexec_b32 s5, s6
	s_cbranch_execz .LBB1757_115
; %bb.114:
	flat_load_ushort v38, v[0:1] offset:4
.LBB1757_115:
	s_or_b32 exec_lo, exec_lo, s5
	v_or_b32_e32 v2, 3, v12
	v_cmp_lt_u32_e64 s5, v2, v24
	s_and_saveexec_b32 s7, s5
	s_cbranch_execz .LBB1757_117
; %bb.116:
	flat_load_ushort v9, v[0:1] offset:6
.LBB1757_117:
	s_or_b32 exec_lo, exec_lo, s7
	v_lshlrev_b64 v[0:1], 3, v[13:14]
	v_lshlrev_b32_e32 v8, 3, v12
	v_mov_b32_e32 v16, 0
	; wave barrier
	v_add_co_u32 v2, s7, v6, v0
	v_add_co_ci_u32_e64 v3, null, v7, v1, s7
	v_mov_b32_e32 v17, v16
	v_add_co_u32 v2, s7, v2, v8
	v_add_co_ci_u32_e64 v3, null, 0, v3, s7
	v_mov_b32_e32 v18, v16
	v_mov_b32_e32 v19, v16
	;; [unrolled: 1-line block ×6, first 2 shown]
	s_and_saveexec_b32 s7, vcc_lo
	s_cbranch_execnz .LBB1757_223
; %bb.118:
	s_or_b32 exec_lo, exec_lo, s7
	s_and_saveexec_b32 s7, s4
	s_cbranch_execnz .LBB1757_224
.LBB1757_119:
	s_or_b32 exec_lo, exec_lo, s7
	s_and_saveexec_b32 s7, s6
	s_cbranch_execnz .LBB1757_225
.LBB1757_120:
	s_or_b32 exec_lo, exec_lo, s7
	s_and_saveexec_b32 s7, s5
	s_cbranch_execz .LBB1757_122
.LBB1757_121:
	flat_load_dwordx2 v[22:23], v[2:3] offset:24
.LBB1757_122:
	s_or_b32 exec_lo, exec_lo, s7
	; wave barrier
	s_load_dwordx2 s[14:15], s[8:9], 0x0
	v_mov_b32_e32 v2, 0
	v_bfe_u32 v6, v31, 10, 10
	v_bfe_u32 v7, v31, 20, 10
	s_waitcnt lgkmcnt(0)
	s_cmp_lt_u32 s13, s15
	s_cselect_b32 s7, 14, 20
	s_add_u32 s16, s8, s7
	s_addc_u32 s17, s9, 0
	s_cmp_lt_u32 s12, s14
	global_load_ushort v3, v2, s[16:17]
	s_cselect_b32 s7, 12, 18
	s_add_u32 s8, s8, s7
	s_addc_u32 s9, s9, 0
	global_load_ushort v2, v2, s[8:9]
	s_mov_b32 s9, exec_lo
	s_waitcnt vmcnt(1)
	v_mad_u32_u24 v3, v7, v3, v6
	s_waitcnt vmcnt(0)
	v_mul_lo_u32 v2, v3, v2
	v_and_b32_e32 v3, 0x3ff, v31
	v_add_lshl_u32 v2, v2, v3, 2
	v_cmpx_gt_u32_e32 0x400, v2
	s_cbranch_execz .LBB1757_132
; %bb.123:
	v_add_f16_e32 v3, 0, v36
	v_add_f16_e32 v6, 0, v37
	;; [unrolled: 1-line block ×4, first 2 shown]
	v_mov_b32_e32 v29, v21
	v_cmp_lt_i16_e64 s7, -1, v3
	v_mov_b32_e32 v31, v23
	v_mov_b32_e32 v28, v20
	;; [unrolled: 1-line block ×3, first 2 shown]
	s_mov_b32 s12, exec_lo
	v_cndmask_b32_e64 v24, -1, 0xffff8000, s7
	v_cmp_lt_i16_e64 s7, -1, v6
	v_xor_b32_e32 v3, v24, v3
	v_cndmask_b32_e64 v25, -1, 0xffff8000, s7
	v_cmp_lt_i16_e64 s7, -1, v39
	v_xor_b32_e32 v6, v25, v6
	;; [unrolled: 3-line block ×3, first 2 shown]
	v_cndmask_b32_e64 v25, -1, 0xffff8000, s7
	v_cmp_gt_u16_e64 s7, v3, v6
	v_mov_b32_e32 v3, v38
	v_xor_b32_e32 v6, v25, v7
	v_cndmask_b32_e64 v27, v19, v17, s7
	v_cndmask_b32_e64 v26, v18, v16, s7
	;; [unrolled: 1-line block ×4, first 2 shown]
	v_cmpx_gt_u16_e64 v48, v6
	s_cbranch_execz .LBB1757_125
; %bb.124:
	v_mov_b32_e32 v29, v23
	v_mov_b32_e32 v31, v21
	;; [unrolled: 1-line block ×8, first 2 shown]
.LBB1757_125:
	s_or_b32 exec_lo, exec_lo, s12
	v_cndmask_b32_e64 v18, v36, v37, s7
	v_add_f16_e32 v16, 0, v18
	v_cmp_lt_i16_e64 s8, -1, v16
	v_cndmask_b32_e64 v17, -1, 0xffff8000, s8
	v_xor_b32_e32 v19, v17, v16
	v_mov_b32_e32 v17, v7
	v_cmp_gt_u16_e64 s8, v6, v19
	v_mov_b32_e32 v6, v18
	s_and_saveexec_b32 s12, s8
	s_xor_b32 s8, exec_lo, s12
	s_cbranch_execz .LBB1757_127
; %bb.126:
	v_mov_b32_e32 v55, v31
	v_mov_b32_e32 v54, v30
	;; [unrolled: 1-line block ×26, first 2 shown]
.LBB1757_127:
	s_or_b32 exec_lo, exec_lo, s8
	v_cndmask_b32_e64 v7, v37, v36, s7
	v_cmp_lt_i16_e64 s7, -1, v16
	v_add_f16_e32 v21, 0, v9
	s_mov_b32 s12, exec_lo
	v_add_f16_e32 v18, 0, v7
	v_cndmask_b32_e64 v19, -1, 0xffff8000, s7
	v_cmp_lt_i16_e64 s7, -1, v18
	v_xor_b32_e32 v16, v19, v16
	v_cndmask_b32_e64 v20, -1, 0xffff8000, s7
	v_cmp_lt_i16_e64 s7, -1, v17
	v_xor_b32_e32 v18, v20, v18
	v_cndmask_b32_e64 v22, -1, 0xffff8000, s7
	v_cmp_lt_i16_e64 s7, -1, v21
	v_mov_b32_e32 v20, v28
	v_xor_b32_e32 v37, v22, v17
	v_cndmask_b32_e64 v23, -1, 0xffff8000, s7
	v_cmp_gt_u16_e64 s7, v16, v18
	v_mov_b32_e32 v22, v30
	v_xor_b32_e32 v36, v23, v21
	v_mov_b32_e32 v21, v29
	v_mov_b32_e32 v23, v31
	v_cndmask_b32_e64 v19, v27, v25, s7
	v_cndmask_b32_e64 v18, v26, v24, s7
	;; [unrolled: 1-line block ×4, first 2 shown]
	v_mov_b32_e32 v24, v3
	v_cmpx_gt_u16_e64 v36, v37
	s_cbranch_execz .LBB1757_129
; %bb.128:
	v_mov_b32_e32 v20, v30
	v_mov_b32_e32 v21, v31
	;; [unrolled: 1-line block ×7, first 2 shown]
.LBB1757_129:
	s_or_b32 exec_lo, exec_lo, s12
	v_cndmask_b32_e64 v36, v6, v7, s7
	v_mov_b32_e32 v38, v24
	s_mov_b32 s12, exec_lo
	v_add_f16_e32 v3, 0, v36
	v_cmp_lt_i16_e64 s8, -1, v3
	v_cndmask_b32_e64 v25, -1, 0xffff8000, s8
	v_xor_b32_e32 v3, v25, v3
	v_cmpx_gt_u16_e64 v37, v3
	s_cbranch_execz .LBB1757_131
; %bb.130:
	v_mov_b32_e32 v48, v16
	v_mov_b32_e32 v49, v17
	;; [unrolled: 1-line block ×18, first 2 shown]
.LBB1757_131:
	s_or_b32 exec_lo, exec_lo, s12
	v_cndmask_b32_e64 v37, v7, v6, s7
.LBB1757_132:
	s_or_b32 exec_lo, exec_lo, s9
	v_and_b32_e32 v2, 0xffffff80, v2
	v_or_b32_e32 v7, 4, v35
	v_mov_b32_e32 v3, 0
	v_and_b32_e32 v39, 0x78, v35
	s_mov_b32 s8, exec_lo
	v_sub_nc_u32_e64 v6, 0x400, v2 clamp
	v_lshlrev_b64 v[24:25], 3, v[2:3]
	v_lshlrev_b64 v[2:3], 1, v[2:3]
	v_min_u32_e32 v30, v6, v7
	v_and_b32_e32 v7, 4, v35
	v_add_co_u32 v24, null, v15, v24
	v_add_nc_u32_e32 v25, 4, v30
	v_add_co_u32 v3, null, v15, v2
	v_add_co_u32 v2, null, 0x800, v24
	v_min_u32_e32 v31, v6, v25
	v_min_u32_e32 v48, v6, v7
	v_sub_nc_u32_e32 v25, v30, v39
	v_lshl_add_u32 v7, v35, 1, v3
	v_lshl_add_u32 v15, v35, 3, v2
	v_sub_nc_u32_e32 v24, v31, v30
	ds_write_b16 v7, v37
	ds_write_b64 v15, v[16:17]
	ds_write_b16 v7, v36 offset:2
	ds_write_b64 v15, v[18:19] offset:8
	ds_write_b16 v7, v38 offset:4
	ds_write_b64 v15, v[20:21] offset:16
	;; [unrolled: 2-line block ×3, first 2 shown]
	v_sub_nc_u32_e64 v49, v48, v24 clamp
	v_min_u32_e32 v24, v48, v25
	; wave barrier
	v_cmpx_lt_u32_e64 v49, v24
	s_cbranch_execz .LBB1757_136
; %bb.133:
	v_lshlrev_b32_e32 v25, 1, v39
	v_lshlrev_b32_e32 v26, 1, v30
	s_mov_b32 s9, 0
	v_add_co_u32 v25, null, v3, v25
	v_add_co_u32 v26, null, v3, v26
	s_inst_prefetch 0x1
	.p2align	6
.LBB1757_134:                           ; =>This Inner Loop Header: Depth=1
	v_add_nc_u32_e32 v27, v24, v49
	v_lshrrev_b32_e32 v28, 1, v27
	v_and_b32_e32 v27, -2, v27
	v_xad_u32 v29, v28, -1, v48
	v_add_nc_u32_e32 v27, v25, v27
	v_lshl_add_u32 v29, v29, 1, v26
	ds_read_u16 v27, v27
	ds_read_u16 v29, v29
	s_waitcnt lgkmcnt(1)
	v_add_f16_e32 v27, 0, v27
	s_waitcnt lgkmcnt(0)
	v_add_f16_e32 v29, 0, v29
	v_cmp_lt_i16_e64 s7, -1, v27
	v_cndmask_b32_e64 v50, -1, 0xffff8000, s7
	v_cmp_lt_i16_e64 s7, -1, v29
	v_xor_b32_e32 v27, v50, v27
	v_cndmask_b32_e64 v51, -1, 0xffff8000, s7
	v_add_nc_u32_e32 v50, 1, v28
	v_xor_b32_e32 v29, v51, v29
	v_cmp_gt_u16_e64 s7, v29, v27
	v_cndmask_b32_e64 v24, v24, v28, s7
	v_cndmask_b32_e64 v49, v50, v49, s7
	v_cmp_ge_u32_e64 s7, v49, v24
	s_or_b32 s9, s7, s9
	s_andn2_b32 exec_lo, exec_lo, s9
	s_cbranch_execnz .LBB1757_134
; %bb.135:
	s_inst_prefetch 0x2
	s_or_b32 exec_lo, exec_lo, s9
.LBB1757_136:
	s_or_b32 exec_lo, exec_lo, s8
	v_add_nc_u32_e32 v48, v30, v48
	v_add_nc_u32_e32 v39, v49, v39
	;; [unrolled: 1-line block ×5, first 2 shown]
	v_sub_nc_u32_e32 v48, v48, v49
	v_cmp_le_u32_e64 s7, v39, v30
	v_add_nc_u32_e32 v28, 16, v15
	v_add_nc_u32_e32 v27, 6, v7
	;; [unrolled: 1-line block ×3, first 2 shown]
	v_cmp_le_u32_e64 s8, v48, v31
	s_or_b32 s7, s7, s8
	s_and_saveexec_b32 s9, s7
	s_cbranch_execz .LBB1757_156
; %bb.137:
	v_cmp_ge_u32_e64 s7, v39, v30
	s_mov_b32 s12, exec_lo
                                        ; implicit-def: $vgpr9
	v_cmpx_lt_u32_e64 v39, v30
; %bb.138:
	v_lshl_add_u32 v9, v39, 1, v3
	ds_read_u16 v9, v9
; %bb.139:
	s_or_b32 exec_lo, exec_lo, s12
	v_cmp_ge_u32_e64 s12, v48, v31
	s_mov_b32 s13, exec_lo
                                        ; implicit-def: $vgpr37
	v_cmpx_lt_u32_e64 v48, v31
; %bb.140:
	v_lshl_add_u32 v16, v48, 1, v3
	ds_read_u16 v37, v16
; %bb.141:
	s_or_b32 exec_lo, exec_lo, s13
	s_nor_b32 s7, s7, s12
	s_and_saveexec_b32 s8, s7
	s_cbranch_execz .LBB1757_143
; %bb.142:
	s_waitcnt lgkmcnt(0)
	v_add_f16_e32 v16, 0, v37
	v_add_f16_e32 v17, 0, v9
	s_andn2_b32 s12, s12, exec_lo
	v_cmp_lt_i16_e64 s7, -1, v16
	v_cndmask_b32_e64 v18, -1, 0xffff8000, s7
	v_cmp_lt_i16_e64 s7, -1, v17
	v_xor_b32_e32 v16, v18, v16
	v_cndmask_b32_e64 v19, -1, 0xffff8000, s7
	v_xor_b32_e32 v17, v19, v17
	v_cmp_le_u16_e64 s7, v16, v17
	s_and_b32 s7, s7, exec_lo
	s_or_b32 s12, s12, s7
.LBB1757_143:
	s_or_b32 exec_lo, exec_lo, s8
	v_cndmask_b32_e64 v16, v48, v39, s12
	v_cndmask_b32_e64 v17, v31, v30, s12
	s_mov_b32 s13, -1
	s_mov_b32 s8, -1
	s_mov_b32 s14, exec_lo
	v_add_nc_u32_e32 v18, 1, v16
	v_add_nc_u32_e32 v17, -1, v17
	v_lshl_add_u32 v16, v16, 3, v2
	v_cndmask_b32_e64 v20, v18, v48, s12
	v_min_u32_e32 v17, v18, v17
	v_cndmask_b32_e64 v21, v39, v18, s12
	v_lshl_add_u32 v17, v17, 1, v3
	ds_read_u16 v19, v17
	ds_read_b64 v[16:17], v16
	s_waitcnt lgkmcnt(1)
	v_cndmask_b32_e64 v36, v19, v37, s12
	v_cndmask_b32_e64 v39, v9, v19, s12
	v_cmpx_lt_u32_e64 v20, v31
	s_cbranch_execz .LBB1757_147
; %bb.144:
	s_mov_b32 s15, 0
	s_mov_b32 s8, exec_lo
	v_cmpx_lt_u32_e64 v21, v30
	s_cbranch_execz .LBB1757_146
; %bb.145:
	v_add_f16_e32 v18, 0, v36
	v_add_f16_e32 v19, 0, v39
	v_cmp_lt_i16_e64 s7, -1, v18
	v_cndmask_b32_e64 v22, -1, 0xffff8000, s7
	v_cmp_lt_i16_e64 s7, -1, v19
	v_xor_b32_e32 v18, v22, v18
	v_cndmask_b32_e64 v23, -1, 0xffff8000, s7
	v_xor_b32_e32 v19, v23, v19
	v_cmp_le_u16_e64 s7, v18, v19
	s_and_b32 s15, s7, exec_lo
.LBB1757_146:
	s_or_b32 exec_lo, exec_lo, s8
	s_orn2_b32 s8, s15, exec_lo
.LBB1757_147:
	s_or_b32 exec_lo, exec_lo, s14
	v_cndmask_b32_e64 v18, v20, v21, s8
	v_cndmask_b32_e64 v19, v31, v30, s8
	s_mov_b32 s14, exec_lo
	v_add_nc_u32_e32 v23, 1, v18
	v_add_nc_u32_e32 v19, -1, v19
	v_lshl_add_u32 v18, v18, 3, v2
	v_cndmask_b32_e64 v22, v23, v20, s8
	v_min_u32_e32 v19, v23, v19
	v_cndmask_b32_e64 v23, v21, v23, s8
	v_lshl_add_u32 v19, v19, 1, v3
	ds_read_u16 v48, v19
	ds_read_b64 v[18:19], v18
	s_waitcnt lgkmcnt(1)
	v_cndmask_b32_e64 v38, v48, v36, s8
	v_cndmask_b32_e64 v48, v39, v48, s8
	v_cmpx_lt_u32_e64 v22, v31
	s_cbranch_execz .LBB1757_151
; %bb.148:
	s_mov_b32 s15, 0
	s_mov_b32 s13, exec_lo
	v_cmpx_lt_u32_e64 v23, v30
	s_cbranch_execz .LBB1757_150
; %bb.149:
	v_add_f16_e32 v20, 0, v38
	v_add_f16_e32 v21, 0, v48
	v_cmp_lt_i16_e64 s7, -1, v20
	v_cndmask_b32_e64 v49, -1, 0xffff8000, s7
	v_cmp_lt_i16_e64 s7, -1, v21
	v_xor_b32_e32 v20, v49, v20
	v_cndmask_b32_e64 v50, -1, 0xffff8000, s7
	v_xor_b32_e32 v21, v50, v21
	v_cmp_le_u16_e64 s7, v20, v21
	s_and_b32 s15, s7, exec_lo
.LBB1757_150:
	s_or_b32 exec_lo, exec_lo, s13
	s_orn2_b32 s13, s15, exec_lo
.LBB1757_151:
	s_or_b32 exec_lo, exec_lo, s14
	v_cndmask_b32_e64 v20, v22, v23, s13
	v_cndmask_b32_e64 v21, v31, v30, s13
	s_mov_b32 s15, -1
	s_mov_b32 s14, exec_lo
	v_add_nc_u32_e32 v49, 1, v20
	v_add_nc_u32_e32 v21, -1, v21
	v_lshl_add_u32 v20, v20, 3, v2
	v_cndmask_b32_e64 v22, v49, v22, s13
	v_min_u32_e32 v21, v49, v21
	v_cndmask_b32_e64 v23, v23, v49, s13
	v_lshl_add_u32 v21, v21, 1, v3
	ds_read_u16 v50, v21
	ds_read_b64 v[20:21], v20
	s_waitcnt lgkmcnt(1)
	v_cndmask_b32_e64 v49, v50, v38, s13
	v_cndmask_b32_e64 v50, v48, v50, s13
	v_cmpx_lt_u32_e64 v22, v31
	s_cbranch_execz .LBB1757_155
; %bb.152:
	s_mov_b32 s16, 0
	s_mov_b32 s15, exec_lo
	v_cmpx_lt_u32_e64 v23, v30
	s_cbranch_execz .LBB1757_154
; %bb.153:
	v_add_f16_e32 v30, 0, v49
	v_add_f16_e32 v31, 0, v50
	v_cmp_lt_i16_e64 s7, -1, v30
	v_cndmask_b32_e64 v51, -1, 0xffff8000, s7
	v_cmp_lt_i16_e64 s7, -1, v31
	v_xor_b32_e32 v30, v51, v30
	v_cndmask_b32_e64 v52, -1, 0xffff8000, s7
	v_xor_b32_e32 v31, v52, v31
	v_cmp_le_u16_e64 s7, v30, v31
	s_and_b32 s16, s7, exec_lo
.LBB1757_154:
	s_or_b32 exec_lo, exec_lo, s15
	s_orn2_b32 s15, s16, exec_lo
.LBB1757_155:
	s_or_b32 exec_lo, exec_lo, s14
	v_cndmask_b32_e64 v22, v22, v23, s15
	v_cndmask_b32_e64 v38, v38, v48, s13
	;; [unrolled: 1-line block ×5, first 2 shown]
	v_lshl_add_u32 v22, v22, 3, v2
	ds_read_b64 v[22:23], v22
.LBB1757_156:
	s_or_b32 exec_lo, exec_lo, s9
	v_and_b32_e32 v39, 0x70, v35
	v_and_b32_e32 v48, 12, v35
	s_mov_b32 s8, exec_lo
	; wave barrier
	v_or_b32_e32 v30, 8, v39
	v_min_u32_e32 v48, v6, v48
	ds_write_b16 v7, v37
	ds_write_b64 v15, v[16:17]
	ds_write_b16 v24, v36
	ds_write_b64 v25, v[18:19]
	ds_write_b16 v26, v38
	s_waitcnt lgkmcnt(6)
	ds_write_b64 v28, v[20:21]
	ds_write_b16 v27, v9
	s_waitcnt lgkmcnt(7)
	ds_write_b64 v29, v[22:23]
	v_min_u32_e32 v30, v6, v30
	; wave barrier
	v_add_nc_u32_e32 v31, 8, v30
	v_sub_nc_u32_e32 v50, v30, v39
	v_min_u32_e32 v31, v6, v31
	v_min_u32_e32 v50, v48, v50
	v_sub_nc_u32_e32 v49, v31, v30
	v_sub_nc_u32_e64 v49, v48, v49 clamp
	v_cmpx_lt_u32_e64 v49, v50
	s_cbranch_execz .LBB1757_160
; %bb.157:
	v_lshlrev_b32_e32 v51, 1, v39
	v_lshlrev_b32_e32 v52, 1, v30
	s_mov_b32 s9, 0
	v_add_co_u32 v51, null, v3, v51
	v_add_co_u32 v52, null, v3, v52
	s_inst_prefetch 0x1
	.p2align	6
.LBB1757_158:                           ; =>This Inner Loop Header: Depth=1
	v_add_nc_u32_e32 v53, v50, v49
	v_lshrrev_b32_e32 v54, 1, v53
	v_and_b32_e32 v53, -2, v53
	v_xad_u32 v55, v54, -1, v48
	v_add_nc_u32_e32 v53, v51, v53
	v_lshl_add_u32 v55, v55, 1, v52
	ds_read_u16 v53, v53
	ds_read_u16 v55, v55
	s_waitcnt lgkmcnt(1)
	v_add_f16_e32 v53, 0, v53
	s_waitcnt lgkmcnt(0)
	v_add_f16_e32 v55, 0, v55
	v_cmp_lt_i16_e64 s7, -1, v53
	v_cndmask_b32_e64 v64, -1, 0xffff8000, s7
	v_cmp_lt_i16_e64 s7, -1, v55
	v_xor_b32_e32 v53, v64, v53
	v_cndmask_b32_e64 v65, -1, 0xffff8000, s7
	v_add_nc_u32_e32 v64, 1, v54
	v_xor_b32_e32 v55, v65, v55
	v_cmp_gt_u16_e64 s7, v55, v53
	v_cndmask_b32_e64 v50, v50, v54, s7
	v_cndmask_b32_e64 v49, v64, v49, s7
	v_cmp_ge_u32_e64 s7, v49, v50
	s_or_b32 s9, s7, s9
	s_andn2_b32 exec_lo, exec_lo, s9
	s_cbranch_execnz .LBB1757_158
; %bb.159:
	s_inst_prefetch 0x2
	s_or_b32 exec_lo, exec_lo, s9
.LBB1757_160:
	s_or_b32 exec_lo, exec_lo, s8
	v_add_nc_u32_e32 v48, v30, v48
	v_add_nc_u32_e32 v39, v49, v39
	v_sub_nc_u32_e32 v48, v48, v49
	v_cmp_le_u32_e64 s7, v39, v30
	v_cmp_le_u32_e64 s8, v48, v31
	s_or_b32 s7, s7, s8
	s_and_saveexec_b32 s9, s7
	s_cbranch_execz .LBB1757_180
; %bb.161:
	v_cmp_ge_u32_e64 s7, v39, v30
	s_mov_b32 s12, exec_lo
                                        ; implicit-def: $vgpr9
	v_cmpx_lt_u32_e64 v39, v30
; %bb.162:
	v_lshl_add_u32 v9, v39, 1, v3
	ds_read_u16 v9, v9
; %bb.163:
	s_or_b32 exec_lo, exec_lo, s12
	v_cmp_ge_u32_e64 s12, v48, v31
	s_mov_b32 s13, exec_lo
                                        ; implicit-def: $vgpr37
	v_cmpx_lt_u32_e64 v48, v31
; %bb.164:
	v_lshl_add_u32 v16, v48, 1, v3
	ds_read_u16 v37, v16
; %bb.165:
	s_or_b32 exec_lo, exec_lo, s13
	s_nor_b32 s7, s7, s12
	s_and_saveexec_b32 s8, s7
	s_cbranch_execz .LBB1757_167
; %bb.166:
	s_waitcnt lgkmcnt(0)
	v_add_f16_e32 v16, 0, v37
	v_add_f16_e32 v17, 0, v9
	s_andn2_b32 s12, s12, exec_lo
	v_cmp_lt_i16_e64 s7, -1, v16
	v_cndmask_b32_e64 v18, -1, 0xffff8000, s7
	v_cmp_lt_i16_e64 s7, -1, v17
	v_xor_b32_e32 v16, v18, v16
	v_cndmask_b32_e64 v19, -1, 0xffff8000, s7
	v_xor_b32_e32 v17, v19, v17
	v_cmp_le_u16_e64 s7, v16, v17
	s_and_b32 s7, s7, exec_lo
	s_or_b32 s12, s12, s7
.LBB1757_167:
	s_or_b32 exec_lo, exec_lo, s8
	v_cndmask_b32_e64 v16, v48, v39, s12
	v_cndmask_b32_e64 v17, v31, v30, s12
	s_mov_b32 s13, -1
	s_mov_b32 s8, -1
	s_mov_b32 s14, exec_lo
	v_add_nc_u32_e32 v18, 1, v16
	v_add_nc_u32_e32 v17, -1, v17
	v_lshl_add_u32 v16, v16, 3, v2
	v_cndmask_b32_e64 v20, v18, v48, s12
	v_min_u32_e32 v17, v18, v17
	v_cndmask_b32_e64 v21, v39, v18, s12
	v_lshl_add_u32 v17, v17, 1, v3
	ds_read_u16 v19, v17
	ds_read_b64 v[16:17], v16
	s_waitcnt lgkmcnt(1)
	v_cndmask_b32_e64 v36, v19, v37, s12
	v_cndmask_b32_e64 v39, v9, v19, s12
	v_cmpx_lt_u32_e64 v20, v31
	s_cbranch_execz .LBB1757_171
; %bb.168:
	s_mov_b32 s15, 0
	s_mov_b32 s8, exec_lo
	v_cmpx_lt_u32_e64 v21, v30
	s_cbranch_execz .LBB1757_170
; %bb.169:
	v_add_f16_e32 v18, 0, v36
	v_add_f16_e32 v19, 0, v39
	v_cmp_lt_i16_e64 s7, -1, v18
	v_cndmask_b32_e64 v22, -1, 0xffff8000, s7
	v_cmp_lt_i16_e64 s7, -1, v19
	v_xor_b32_e32 v18, v22, v18
	v_cndmask_b32_e64 v23, -1, 0xffff8000, s7
	v_xor_b32_e32 v19, v23, v19
	v_cmp_le_u16_e64 s7, v18, v19
	s_and_b32 s15, s7, exec_lo
.LBB1757_170:
	s_or_b32 exec_lo, exec_lo, s8
	s_orn2_b32 s8, s15, exec_lo
.LBB1757_171:
	s_or_b32 exec_lo, exec_lo, s14
	v_cndmask_b32_e64 v18, v20, v21, s8
	v_cndmask_b32_e64 v19, v31, v30, s8
	s_mov_b32 s14, exec_lo
	v_add_nc_u32_e32 v23, 1, v18
	v_add_nc_u32_e32 v19, -1, v19
	v_lshl_add_u32 v18, v18, 3, v2
	v_cndmask_b32_e64 v22, v23, v20, s8
	v_min_u32_e32 v19, v23, v19
	v_cndmask_b32_e64 v23, v21, v23, s8
	v_lshl_add_u32 v19, v19, 1, v3
	ds_read_u16 v48, v19
	ds_read_b64 v[18:19], v18
	s_waitcnt lgkmcnt(1)
	v_cndmask_b32_e64 v38, v48, v36, s8
	v_cndmask_b32_e64 v48, v39, v48, s8
	v_cmpx_lt_u32_e64 v22, v31
	s_cbranch_execz .LBB1757_175
; %bb.172:
	s_mov_b32 s15, 0
	s_mov_b32 s13, exec_lo
	v_cmpx_lt_u32_e64 v23, v30
	s_cbranch_execz .LBB1757_174
; %bb.173:
	v_add_f16_e32 v20, 0, v38
	v_add_f16_e32 v21, 0, v48
	v_cmp_lt_i16_e64 s7, -1, v20
	v_cndmask_b32_e64 v49, -1, 0xffff8000, s7
	v_cmp_lt_i16_e64 s7, -1, v21
	v_xor_b32_e32 v20, v49, v20
	v_cndmask_b32_e64 v50, -1, 0xffff8000, s7
	v_xor_b32_e32 v21, v50, v21
	v_cmp_le_u16_e64 s7, v20, v21
	s_and_b32 s15, s7, exec_lo
.LBB1757_174:
	s_or_b32 exec_lo, exec_lo, s13
	s_orn2_b32 s13, s15, exec_lo
.LBB1757_175:
	s_or_b32 exec_lo, exec_lo, s14
	v_cndmask_b32_e64 v20, v22, v23, s13
	v_cndmask_b32_e64 v21, v31, v30, s13
	s_mov_b32 s15, -1
	s_mov_b32 s14, exec_lo
	v_add_nc_u32_e32 v49, 1, v20
	v_add_nc_u32_e32 v21, -1, v21
	v_lshl_add_u32 v20, v20, 3, v2
	v_cndmask_b32_e64 v22, v49, v22, s13
	v_min_u32_e32 v21, v49, v21
	v_cndmask_b32_e64 v23, v23, v49, s13
	v_lshl_add_u32 v21, v21, 1, v3
	ds_read_u16 v50, v21
	ds_read_b64 v[20:21], v20
	s_waitcnt lgkmcnt(1)
	v_cndmask_b32_e64 v49, v50, v38, s13
	v_cndmask_b32_e64 v50, v48, v50, s13
	v_cmpx_lt_u32_e64 v22, v31
	s_cbranch_execz .LBB1757_179
; %bb.176:
	s_mov_b32 s16, 0
	s_mov_b32 s15, exec_lo
	v_cmpx_lt_u32_e64 v23, v30
	s_cbranch_execz .LBB1757_178
; %bb.177:
	v_add_f16_e32 v30, 0, v49
	v_add_f16_e32 v31, 0, v50
	v_cmp_lt_i16_e64 s7, -1, v30
	v_cndmask_b32_e64 v51, -1, 0xffff8000, s7
	v_cmp_lt_i16_e64 s7, -1, v31
	v_xor_b32_e32 v30, v51, v30
	v_cndmask_b32_e64 v52, -1, 0xffff8000, s7
	v_xor_b32_e32 v31, v52, v31
	v_cmp_le_u16_e64 s7, v30, v31
	s_and_b32 s16, s7, exec_lo
.LBB1757_178:
	s_or_b32 exec_lo, exec_lo, s15
	s_orn2_b32 s15, s16, exec_lo
.LBB1757_179:
	s_or_b32 exec_lo, exec_lo, s14
	v_cndmask_b32_e64 v22, v22, v23, s15
	v_cndmask_b32_e64 v38, v38, v48, s13
	;; [unrolled: 1-line block ×5, first 2 shown]
	v_lshl_add_u32 v22, v22, 3, v2
	ds_read_b64 v[22:23], v22
.LBB1757_180:
	s_or_b32 exec_lo, exec_lo, s9
	v_and_b32_e32 v35, 0x60, v35
	; wave barrier
	ds_write_b16 v7, v37
	ds_write_b64 v15, v[16:17]
	s_mov_b32 s8, exec_lo
	v_or_b32_e32 v30, 16, v35
	ds_write_b16 v24, v36
	ds_write_b64 v25, v[18:19]
	ds_write_b16 v26, v38
	s_waitcnt lgkmcnt(6)
	ds_write_b64 v28, v[20:21]
	ds_write_b16 v27, v9
	s_waitcnt lgkmcnt(7)
	ds_write_b64 v29, v[22:23]
	; wave barrier
	v_min_u32_e32 v30, v6, v30
	v_add_nc_u32_e32 v31, 16, v30
	v_sub_nc_u32_e32 v48, v30, v35
	v_min_u32_e32 v31, v6, v31
	v_min_u32_e32 v6, v6, v12
	v_sub_nc_u32_e32 v39, v31, v30
	v_min_u32_e32 v15, v6, v48
	v_sub_nc_u32_e64 v7, v6, v39 clamp
	v_cmpx_lt_u32_e64 v7, v15
	s_cbranch_execz .LBB1757_184
; %bb.181:
	v_lshlrev_b32_e32 v24, 1, v35
	v_lshlrev_b32_e32 v25, 1, v30
	s_mov_b32 s9, 0
	v_add_co_u32 v24, null, v3, v24
	v_add_co_u32 v25, null, v3, v25
	s_inst_prefetch 0x1
	.p2align	6
.LBB1757_182:                           ; =>This Inner Loop Header: Depth=1
	v_add_nc_u32_e32 v26, v15, v7
	v_lshrrev_b32_e32 v27, 1, v26
	v_and_b32_e32 v26, -2, v26
	v_xad_u32 v28, v27, -1, v6
	v_add_nc_u32_e32 v26, v24, v26
	v_lshl_add_u32 v28, v28, 1, v25
	ds_read_u16 v26, v26
	ds_read_u16 v28, v28
	s_waitcnt lgkmcnt(1)
	v_add_f16_e32 v26, 0, v26
	s_waitcnt lgkmcnt(0)
	v_add_f16_e32 v28, 0, v28
	v_cmp_lt_i16_e64 s7, -1, v26
	v_cndmask_b32_e64 v29, -1, 0xffff8000, s7
	v_cmp_lt_i16_e64 s7, -1, v28
	v_xor_b32_e32 v26, v29, v26
	v_cndmask_b32_e64 v39, -1, 0xffff8000, s7
	v_add_nc_u32_e32 v29, 1, v27
	v_xor_b32_e32 v28, v39, v28
	v_cmp_gt_u16_e64 s7, v28, v26
	v_cndmask_b32_e64 v15, v15, v27, s7
	v_cndmask_b32_e64 v7, v29, v7, s7
	v_cmp_ge_u32_e64 s7, v7, v15
	s_or_b32 s9, s7, s9
	s_andn2_b32 exec_lo, exec_lo, s9
	s_cbranch_execnz .LBB1757_182
; %bb.183:
	s_inst_prefetch 0x2
	s_or_b32 exec_lo, exec_lo, s9
.LBB1757_184:
	s_or_b32 exec_lo, exec_lo, s8
	v_add_nc_u32_e32 v6, v30, v6
	v_add_nc_u32_e32 v15, v7, v35
	v_sub_nc_u32_e32 v24, v6, v7
	v_cmp_le_u32_e64 s7, v15, v30
	v_cmp_le_u32_e64 s8, v24, v31
	s_or_b32 s7, s7, s8
	s_and_saveexec_b32 s9, s7
	s_cbranch_execz .LBB1757_204
; %bb.185:
	v_cmp_ge_u32_e64 s7, v15, v30
	s_mov_b32 s12, exec_lo
                                        ; implicit-def: $vgpr6
	v_cmpx_lt_u32_e64 v15, v30
; %bb.186:
	v_lshl_add_u32 v6, v15, 1, v3
	ds_read_u16 v6, v6
; %bb.187:
	s_or_b32 exec_lo, exec_lo, s12
	v_cmp_ge_u32_e64 s12, v24, v31
	s_mov_b32 s13, exec_lo
                                        ; implicit-def: $vgpr7
	v_cmpx_lt_u32_e64 v24, v31
; %bb.188:
	v_lshl_add_u32 v7, v24, 1, v3
	ds_read_u16 v7, v7
; %bb.189:
	s_or_b32 exec_lo, exec_lo, s13
	s_nor_b32 s7, s7, s12
	s_and_saveexec_b32 s8, s7
	s_cbranch_execz .LBB1757_191
; %bb.190:
	s_waitcnt lgkmcnt(0)
	v_add_f16_e32 v9, 0, v7
	v_add_f16_e32 v16, 0, v6
	s_andn2_b32 s12, s12, exec_lo
	v_cmp_lt_i16_e64 s7, -1, v9
	v_cndmask_b32_e64 v17, -1, 0xffff8000, s7
	v_cmp_lt_i16_e64 s7, -1, v16
	v_xor_b32_e32 v9, v17, v9
	v_cndmask_b32_e64 v18, -1, 0xffff8000, s7
	v_xor_b32_e32 v16, v18, v16
	v_cmp_le_u16_e64 s7, v9, v16
	s_and_b32 s7, s7, exec_lo
	s_or_b32 s12, s12, s7
.LBB1757_191:
	s_or_b32 exec_lo, exec_lo, s8
	v_cndmask_b32_e64 v9, v24, v15, s12
	v_cndmask_b32_e64 v16, v31, v30, s12
	s_mov_b32 s13, -1
	s_mov_b32 s8, -1
	s_mov_b32 s14, exec_lo
	v_add_nc_u32_e32 v18, 1, v9
	v_add_nc_u32_e32 v16, -1, v16
	v_lshl_add_u32 v9, v9, 3, v2
	v_cndmask_b32_e64 v20, v18, v24, s12
	v_min_u32_e32 v16, v18, v16
	v_cndmask_b32_e64 v21, v15, v18, s12
	v_lshl_add_u32 v16, v16, 1, v3
	ds_read_u16 v19, v16
	ds_read_b64 v[16:17], v9
	s_waitcnt lgkmcnt(1)
	v_cndmask_b32_e64 v9, v19, v7, s12
	v_cndmask_b32_e64 v15, v6, v19, s12
	v_cmpx_lt_u32_e64 v20, v31
	s_cbranch_execz .LBB1757_195
; %bb.192:
	s_mov_b32 s15, 0
	s_mov_b32 s8, exec_lo
	v_cmpx_lt_u32_e64 v21, v30
	s_cbranch_execz .LBB1757_194
; %bb.193:
	v_add_f16_e32 v18, 0, v9
	v_add_f16_e32 v19, 0, v15
	v_cmp_lt_i16_e64 s7, -1, v18
	v_cndmask_b32_e64 v22, -1, 0xffff8000, s7
	v_cmp_lt_i16_e64 s7, -1, v19
	v_xor_b32_e32 v18, v22, v18
	v_cndmask_b32_e64 v23, -1, 0xffff8000, s7
	v_xor_b32_e32 v19, v23, v19
	v_cmp_le_u16_e64 s7, v18, v19
	s_and_b32 s15, s7, exec_lo
.LBB1757_194:
	s_or_b32 exec_lo, exec_lo, s8
	s_orn2_b32 s8, s15, exec_lo
.LBB1757_195:
	s_or_b32 exec_lo, exec_lo, s14
	v_cndmask_b32_e64 v18, v20, v21, s8
	v_cndmask_b32_e64 v19, v31, v30, s8
	s_mov_b32 s14, exec_lo
	v_add_nc_u32_e32 v23, 1, v18
	v_add_nc_u32_e32 v19, -1, v19
	v_lshl_add_u32 v18, v18, 3, v2
	v_cndmask_b32_e64 v22, v23, v20, s8
	v_min_u32_e32 v19, v23, v19
	v_cndmask_b32_e64 v23, v21, v23, s8
	v_lshl_add_u32 v19, v19, 1, v3
	ds_read_u16 v25, v19
	ds_read_b64 v[18:19], v18
	s_waitcnt lgkmcnt(1)
	v_cndmask_b32_e64 v24, v25, v9, s8
	v_cndmask_b32_e64 v25, v15, v25, s8
	v_cmpx_lt_u32_e64 v22, v31
	s_cbranch_execz .LBB1757_199
; %bb.196:
	s_mov_b32 s15, 0
	s_mov_b32 s13, exec_lo
	v_cmpx_lt_u32_e64 v23, v30
	s_cbranch_execz .LBB1757_198
; %bb.197:
	v_add_f16_e32 v20, 0, v24
	v_add_f16_e32 v21, 0, v25
	v_cmp_lt_i16_e64 s7, -1, v20
	v_cndmask_b32_e64 v26, -1, 0xffff8000, s7
	v_cmp_lt_i16_e64 s7, -1, v21
	v_xor_b32_e32 v20, v26, v20
	v_cndmask_b32_e64 v27, -1, 0xffff8000, s7
	v_xor_b32_e32 v21, v27, v21
	v_cmp_le_u16_e64 s7, v20, v21
	s_and_b32 s15, s7, exec_lo
.LBB1757_198:
	s_or_b32 exec_lo, exec_lo, s13
	s_orn2_b32 s13, s15, exec_lo
.LBB1757_199:
	s_or_b32 exec_lo, exec_lo, s14
	v_cndmask_b32_e64 v20, v22, v23, s13
	v_cndmask_b32_e64 v21, v31, v30, s13
	s_mov_b32 s15, -1
	s_mov_b32 s14, exec_lo
	v_add_nc_u32_e32 v26, 1, v20
	v_add_nc_u32_e32 v21, -1, v21
	v_cndmask_b32_e64 v22, v26, v22, s13
	v_min_u32_e32 v21, v26, v21
	v_cndmask_b32_e64 v23, v23, v26, s13
	v_lshl_add_u32 v3, v21, 1, v3
	ds_read_u16 v27, v3
	v_lshl_add_u32 v3, v20, 3, v2
	ds_read_b64 v[20:21], v3
	s_waitcnt lgkmcnt(1)
	v_cndmask_b32_e64 v3, v27, v24, s13
	v_cndmask_b32_e64 v26, v25, v27, s13
	v_cmpx_lt_u32_e64 v22, v31
	s_cbranch_execz .LBB1757_203
; %bb.200:
	s_mov_b32 s16, 0
	s_mov_b32 s15, exec_lo
	v_cmpx_lt_u32_e64 v23, v30
	s_cbranch_execz .LBB1757_202
; %bb.201:
	v_add_f16_e32 v27, 0, v3
	v_add_f16_e32 v28, 0, v26
	v_cmp_lt_i16_e64 s7, -1, v27
	v_cndmask_b32_e64 v29, -1, 0xffff8000, s7
	v_cmp_lt_i16_e64 s7, -1, v28
	v_xor_b32_e32 v27, v29, v27
	v_cndmask_b32_e64 v30, -1, 0xffff8000, s7
	v_xor_b32_e32 v28, v30, v28
	v_cmp_le_u16_e64 s7, v27, v28
	s_and_b32 s16, s7, exec_lo
.LBB1757_202:
	s_or_b32 exec_lo, exec_lo, s15
	s_orn2_b32 s15, s16, exec_lo
.LBB1757_203:
	s_or_b32 exec_lo, exec_lo, s14
	v_cndmask_b32_e64 v22, v22, v23, s15
	v_cndmask_b32_e64 v38, v24, v25, s13
	;; [unrolled: 1-line block ×5, first 2 shown]
	v_lshl_add_u32 v2, v22, 3, v2
	ds_read_b64 v[22:23], v2
.LBB1757_204:
	s_or_b32 exec_lo, exec_lo, s9
	v_add_co_u32 v2, s7, v4, v32
	v_add_co_ci_u32_e64 v3, null, v5, v33, s7
	v_add_co_u32 v2, s7, v2, v34
	v_add_co_ci_u32_e64 v3, null, 0, v3, s7
	; wave barrier
	s_waitcnt lgkmcnt(0)
	s_waitcnt_vscnt null, 0x0
	s_barrier
	buffer_gl0_inv
	; wave barrier
	s_and_saveexec_b32 s7, vcc_lo
	s_cbranch_execnz .LBB1757_226
; %bb.205:
	s_or_b32 exec_lo, exec_lo, s7
	s_and_saveexec_b32 s7, s4
	s_cbranch_execnz .LBB1757_227
.LBB1757_206:
	s_or_b32 exec_lo, exec_lo, s7
	s_and_saveexec_b32 s7, s6
	s_cbranch_execnz .LBB1757_228
.LBB1757_207:
	s_or_b32 exec_lo, exec_lo, s7
	s_and_saveexec_b32 s7, s5
	s_cbranch_execz .LBB1757_209
.LBB1757_208:
	flat_store_short v[2:3], v9 offset:6
.LBB1757_209:
	s_or_b32 exec_lo, exec_lo, s7
	v_add_co_u32 v0, s7, v10, v0
	v_add_co_ci_u32_e64 v1, null, v11, v1, s7
	v_add_co_u32 v0, s7, v0, v8
	v_add_co_ci_u32_e64 v1, null, 0, v1, s7
	; wave barrier
	s_and_saveexec_b32 s7, vcc_lo
	s_cbranch_execnz .LBB1757_229
; %bb.210:
	s_or_b32 exec_lo, exec_lo, s7
	s_and_saveexec_b32 s7, s4
	s_cbranch_execnz .LBB1757_230
.LBB1757_211:
	s_or_b32 exec_lo, exec_lo, s7
	s_and_saveexec_b32 s4, s6
	s_cbranch_execz .LBB1757_213
.LBB1757_212:
	flat_store_dwordx2 v[0:1], v[20:21] offset:16
.LBB1757_213:
	s_or_b32 exec_lo, exec_lo, s4
	v_mov_b32_e32 v8, v10
	v_mov_b32_e32 v9, v11
	s_andn2_b32 s4, s10, exec_lo
	s_and_b32 s5, s5, exec_lo
	s_or_b32 s10, s4, s5
	s_or_b32 exec_lo, exec_lo, s11
	s_and_saveexec_b32 s4, s10
	s_cbranch_execz .LBB1757_3
.LBB1757_214:
	v_lshlrev_b64 v[0:1], 3, v[13:14]
	v_lshlrev_b32_e32 v2, 3, v12
	v_add_co_u32 v0, vcc_lo, v8, v0
	v_add_co_ci_u32_e64 v1, null, v9, v1, vcc_lo
	v_add_co_u32 v0, vcc_lo, v0, v2
	v_add_co_ci_u32_e64 v1, null, 0, v1, vcc_lo
	flat_store_dwordx2 v[0:1], v[22:23] offset:24
	s_or_b32 exec_lo, exec_lo, s4
	s_waitcnt lgkmcnt(0)
	s_setpc_b64 s[30:31]
.LBB1757_215:
	flat_load_dwordx2 v[17:18], v[4:5]
	v_mov_b32_e32 v24, v16
	v_mov_b32_e32 v19, v16
	;; [unrolled: 1-line block ×6, first 2 shown]
	s_waitcnt vmcnt(0) lgkmcnt(0)
	v_mov_b32_e32 v16, v17
	v_mov_b32_e32 v17, v18
	;; [unrolled: 1-line block ×8, first 2 shown]
	s_or_b32 exec_lo, exec_lo, s7
	s_and_saveexec_b32 s7, s4
	s_cbranch_execz .LBB1757_14
.LBB1757_216:
	flat_load_dwordx2 v[18:19], v[4:5] offset:8
	s_or_b32 exec_lo, exec_lo, s7
	s_and_saveexec_b32 s7, s5
	s_cbranch_execz .LBB1757_15
.LBB1757_217:
	flat_load_dwordx2 v[20:21], v[4:5] offset:16
	s_or_b32 exec_lo, exec_lo, s7
	s_and_saveexec_b32 s7, s6
	s_cbranch_execnz .LBB1757_16
	s_branch .LBB1757_17
.LBB1757_218:
	flat_store_short v[2:3], v37
	s_or_b32 exec_lo, exec_lo, s7
	s_and_saveexec_b32 s7, s4
	s_cbranch_execz .LBB1757_101
.LBB1757_219:
	flat_store_short v[2:3], v36 offset:2
	s_or_b32 exec_lo, exec_lo, s7
	s_and_saveexec_b32 s7, s5
	s_cbranch_execz .LBB1757_102
.LBB1757_220:
	flat_store_short v[2:3], v38 offset:4
	s_or_b32 exec_lo, exec_lo, s7
	s_and_saveexec_b32 s7, s6
	s_cbranch_execnz .LBB1757_103
	s_branch .LBB1757_104
.LBB1757_221:
	flat_store_dwordx2 v[0:1], v[16:17]
	s_or_b32 exec_lo, exec_lo, s7
	s_and_saveexec_b32 s7, s4
	s_cbranch_execz .LBB1757_106
.LBB1757_222:
	flat_store_dwordx2 v[0:1], v[18:19] offset:8
	s_or_b32 exec_lo, exec_lo, s7
	s_and_saveexec_b32 s4, s5
	s_cbranch_execnz .LBB1757_107
	s_branch .LBB1757_108
.LBB1757_223:
	flat_load_dwordx2 v[17:18], v[2:3]
	v_mov_b32_e32 v24, v16
	v_mov_b32_e32 v19, v16
	;; [unrolled: 1-line block ×6, first 2 shown]
	s_waitcnt vmcnt(0) lgkmcnt(0)
	v_mov_b32_e32 v16, v17
	v_mov_b32_e32 v17, v18
	;; [unrolled: 1-line block ×8, first 2 shown]
	s_or_b32 exec_lo, exec_lo, s7
	s_and_saveexec_b32 s7, s4
	s_cbranch_execz .LBB1757_119
.LBB1757_224:
	flat_load_dwordx2 v[18:19], v[2:3] offset:8
	s_or_b32 exec_lo, exec_lo, s7
	s_and_saveexec_b32 s7, s6
	s_cbranch_execz .LBB1757_120
.LBB1757_225:
	flat_load_dwordx2 v[20:21], v[2:3] offset:16
	s_or_b32 exec_lo, exec_lo, s7
	s_and_saveexec_b32 s7, s5
	s_cbranch_execnz .LBB1757_121
	s_branch .LBB1757_122
.LBB1757_226:
	flat_store_short v[2:3], v37
	s_or_b32 exec_lo, exec_lo, s7
	s_and_saveexec_b32 s7, s4
	s_cbranch_execz .LBB1757_206
.LBB1757_227:
	flat_store_short v[2:3], v36 offset:2
	s_or_b32 exec_lo, exec_lo, s7
	s_and_saveexec_b32 s7, s6
	s_cbranch_execz .LBB1757_207
.LBB1757_228:
	flat_store_short v[2:3], v38 offset:4
	s_or_b32 exec_lo, exec_lo, s7
	s_and_saveexec_b32 s7, s5
	s_cbranch_execnz .LBB1757_208
	s_branch .LBB1757_209
.LBB1757_229:
	flat_store_dwordx2 v[0:1], v[16:17]
	s_or_b32 exec_lo, exec_lo, s7
	s_and_saveexec_b32 s7, s4
	s_cbranch_execz .LBB1757_211
.LBB1757_230:
	flat_store_dwordx2 v[0:1], v[18:19] offset:8
	s_or_b32 exec_lo, exec_lo, s7
	s_and_saveexec_b32 s4, s6
	s_cbranch_execnz .LBB1757_212
	s_branch .LBB1757_213
.Lfunc_end1757:
	.size	_ZN7rocprim17ROCPRIM_400000_NS6detail26segmented_warp_sort_helperINS1_20WarpSortHelperConfigILj8ELj4ELj256EEE6__halflLi256ELb1EvE4sortIPKS5_PS5_PKlPlEEvT_SA_T0_T1_SD_T2_bjjjjRNS6_12storage_typeE, .Lfunc_end1757-_ZN7rocprim17ROCPRIM_400000_NS6detail26segmented_warp_sort_helperINS1_20WarpSortHelperConfigILj8ELj4ELj256EEE6__halflLi256ELb1EvE4sortIPKS5_PS5_PKlPlEEvT_SA_T0_T1_SD_T2_bjjjjRNS6_12storage_typeE
                                        ; -- End function
	.set .L_ZN7rocprim17ROCPRIM_400000_NS6detail26segmented_warp_sort_helperINS1_20WarpSortHelperConfigILj8ELj4ELj256EEE6__halflLi256ELb1EvE4sortIPKS5_PS5_PKlPlEEvT_SA_T0_T1_SD_T2_bjjjjRNS6_12storage_typeE.num_vgpr, 66
	.set .L_ZN7rocprim17ROCPRIM_400000_NS6detail26segmented_warp_sort_helperINS1_20WarpSortHelperConfigILj8ELj4ELj256EEE6__halflLi256ELb1EvE4sortIPKS5_PS5_PKlPlEEvT_SA_T0_T1_SD_T2_bjjjjRNS6_12storage_typeE.num_agpr, 0
	.set .L_ZN7rocprim17ROCPRIM_400000_NS6detail26segmented_warp_sort_helperINS1_20WarpSortHelperConfigILj8ELj4ELj256EEE6__halflLi256ELb1EvE4sortIPKS5_PS5_PKlPlEEvT_SA_T0_T1_SD_T2_bjjjjRNS6_12storage_typeE.numbered_sgpr, 32
	.set .L_ZN7rocprim17ROCPRIM_400000_NS6detail26segmented_warp_sort_helperINS1_20WarpSortHelperConfigILj8ELj4ELj256EEE6__halflLi256ELb1EvE4sortIPKS5_PS5_PKlPlEEvT_SA_T0_T1_SD_T2_bjjjjRNS6_12storage_typeE.num_named_barrier, 0
	.set .L_ZN7rocprim17ROCPRIM_400000_NS6detail26segmented_warp_sort_helperINS1_20WarpSortHelperConfigILj8ELj4ELj256EEE6__halflLi256ELb1EvE4sortIPKS5_PS5_PKlPlEEvT_SA_T0_T1_SD_T2_bjjjjRNS6_12storage_typeE.private_seg_size, 0
	.set .L_ZN7rocprim17ROCPRIM_400000_NS6detail26segmented_warp_sort_helperINS1_20WarpSortHelperConfigILj8ELj4ELj256EEE6__halflLi256ELb1EvE4sortIPKS5_PS5_PKlPlEEvT_SA_T0_T1_SD_T2_bjjjjRNS6_12storage_typeE.uses_vcc, 1
	.set .L_ZN7rocprim17ROCPRIM_400000_NS6detail26segmented_warp_sort_helperINS1_20WarpSortHelperConfigILj8ELj4ELj256EEE6__halflLi256ELb1EvE4sortIPKS5_PS5_PKlPlEEvT_SA_T0_T1_SD_T2_bjjjjRNS6_12storage_typeE.uses_flat_scratch, 0
	.set .L_ZN7rocprim17ROCPRIM_400000_NS6detail26segmented_warp_sort_helperINS1_20WarpSortHelperConfigILj8ELj4ELj256EEE6__halflLi256ELb1EvE4sortIPKS5_PS5_PKlPlEEvT_SA_T0_T1_SD_T2_bjjjjRNS6_12storage_typeE.has_dyn_sized_stack, 0
	.set .L_ZN7rocprim17ROCPRIM_400000_NS6detail26segmented_warp_sort_helperINS1_20WarpSortHelperConfigILj8ELj4ELj256EEE6__halflLi256ELb1EvE4sortIPKS5_PS5_PKlPlEEvT_SA_T0_T1_SD_T2_bjjjjRNS6_12storage_typeE.has_recursion, 0
	.set .L_ZN7rocprim17ROCPRIM_400000_NS6detail26segmented_warp_sort_helperINS1_20WarpSortHelperConfigILj8ELj4ELj256EEE6__halflLi256ELb1EvE4sortIPKS5_PS5_PKlPlEEvT_SA_T0_T1_SD_T2_bjjjjRNS6_12storage_typeE.has_indirect_call, 0
	.section	.AMDGPU.csdata,"",@progbits
; Function info:
; codeLenInByte = 11440
; TotalNumSgprs: 34
; NumVgprs: 66
; ScratchSize: 0
; MemoryBound: 1
	.section	.text._ZN7rocprim17ROCPRIM_400000_NS6detail17trampoline_kernelINS0_14default_configENS1_36segmented_radix_sort_config_selectorI6__halflEEZNS1_25segmented_radix_sort_implIS3_Lb1EPKS5_PS5_PKlPlN2at6native12_GLOBAL__N_18offset_tEEE10hipError_tPvRmT1_PNSt15iterator_traitsISL_E10value_typeET2_T3_PNSM_ISR_E10value_typeET4_jRbjT5_SX_jjP12ihipStream_tbEUlT_E1_NS1_11comp_targetILNS1_3genE8ELNS1_11target_archE1030ELNS1_3gpuE2ELNS1_3repE0EEENS1_59segmented_radix_sort_warp_sort_small_config_static_selectorELNS0_4arch9wavefront6targetE0EEEvSL_,"axG",@progbits,_ZN7rocprim17ROCPRIM_400000_NS6detail17trampoline_kernelINS0_14default_configENS1_36segmented_radix_sort_config_selectorI6__halflEEZNS1_25segmented_radix_sort_implIS3_Lb1EPKS5_PS5_PKlPlN2at6native12_GLOBAL__N_18offset_tEEE10hipError_tPvRmT1_PNSt15iterator_traitsISL_E10value_typeET2_T3_PNSM_ISR_E10value_typeET4_jRbjT5_SX_jjP12ihipStream_tbEUlT_E1_NS1_11comp_targetILNS1_3genE8ELNS1_11target_archE1030ELNS1_3gpuE2ELNS1_3repE0EEENS1_59segmented_radix_sort_warp_sort_small_config_static_selectorELNS0_4arch9wavefront6targetE0EEEvSL_,comdat
	.globl	_ZN7rocprim17ROCPRIM_400000_NS6detail17trampoline_kernelINS0_14default_configENS1_36segmented_radix_sort_config_selectorI6__halflEEZNS1_25segmented_radix_sort_implIS3_Lb1EPKS5_PS5_PKlPlN2at6native12_GLOBAL__N_18offset_tEEE10hipError_tPvRmT1_PNSt15iterator_traitsISL_E10value_typeET2_T3_PNSM_ISR_E10value_typeET4_jRbjT5_SX_jjP12ihipStream_tbEUlT_E1_NS1_11comp_targetILNS1_3genE8ELNS1_11target_archE1030ELNS1_3gpuE2ELNS1_3repE0EEENS1_59segmented_radix_sort_warp_sort_small_config_static_selectorELNS0_4arch9wavefront6targetE0EEEvSL_ ; -- Begin function _ZN7rocprim17ROCPRIM_400000_NS6detail17trampoline_kernelINS0_14default_configENS1_36segmented_radix_sort_config_selectorI6__halflEEZNS1_25segmented_radix_sort_implIS3_Lb1EPKS5_PS5_PKlPlN2at6native12_GLOBAL__N_18offset_tEEE10hipError_tPvRmT1_PNSt15iterator_traitsISL_E10value_typeET2_T3_PNSM_ISR_E10value_typeET4_jRbjT5_SX_jjP12ihipStream_tbEUlT_E1_NS1_11comp_targetILNS1_3genE8ELNS1_11target_archE1030ELNS1_3gpuE2ELNS1_3repE0EEENS1_59segmented_radix_sort_warp_sort_small_config_static_selectorELNS0_4arch9wavefront6targetE0EEEvSL_
	.p2align	8
	.type	_ZN7rocprim17ROCPRIM_400000_NS6detail17trampoline_kernelINS0_14default_configENS1_36segmented_radix_sort_config_selectorI6__halflEEZNS1_25segmented_radix_sort_implIS3_Lb1EPKS5_PS5_PKlPlN2at6native12_GLOBAL__N_18offset_tEEE10hipError_tPvRmT1_PNSt15iterator_traitsISL_E10value_typeET2_T3_PNSM_ISR_E10value_typeET4_jRbjT5_SX_jjP12ihipStream_tbEUlT_E1_NS1_11comp_targetILNS1_3genE8ELNS1_11target_archE1030ELNS1_3gpuE2ELNS1_3repE0EEENS1_59segmented_radix_sort_warp_sort_small_config_static_selectorELNS0_4arch9wavefront6targetE0EEEvSL_,@function
_ZN7rocprim17ROCPRIM_400000_NS6detail17trampoline_kernelINS0_14default_configENS1_36segmented_radix_sort_config_selectorI6__halflEEZNS1_25segmented_radix_sort_implIS3_Lb1EPKS5_PS5_PKlPlN2at6native12_GLOBAL__N_18offset_tEEE10hipError_tPvRmT1_PNSt15iterator_traitsISL_E10value_typeET2_T3_PNSM_ISR_E10value_typeET4_jRbjT5_SX_jjP12ihipStream_tbEUlT_E1_NS1_11comp_targetILNS1_3genE8ELNS1_11target_archE1030ELNS1_3gpuE2ELNS1_3repE0EEENS1_59segmented_radix_sort_warp_sort_small_config_static_selectorELNS0_4arch9wavefront6targetE0EEEvSL_: ; @_ZN7rocprim17ROCPRIM_400000_NS6detail17trampoline_kernelINS0_14default_configENS1_36segmented_radix_sort_config_selectorI6__halflEEZNS1_25segmented_radix_sort_implIS3_Lb1EPKS5_PS5_PKlPlN2at6native12_GLOBAL__N_18offset_tEEE10hipError_tPvRmT1_PNSt15iterator_traitsISL_E10value_typeET2_T3_PNSM_ISR_E10value_typeET4_jRbjT5_SX_jjP12ihipStream_tbEUlT_E1_NS1_11comp_targetILNS1_3genE8ELNS1_11target_archE1030ELNS1_3gpuE2ELNS1_3repE0EEENS1_59segmented_radix_sort_warp_sort_small_config_static_selectorELNS0_4arch9wavefront6targetE0EEEvSL_
; %bb.0:
	s_add_u32 s0, s0, s8
	s_load_dword s8, s[4:5], 0x64
	s_addc_u32 s1, s1, 0
	s_mov_b32 s32, 0
	s_waitcnt lgkmcnt(0)
	s_lshr_b32 s9, s8, 16
	s_and_b32 s8, s8, 0xffff
	v_mad_u32_u24 v3, v2, s9, v1
	s_load_dword s9, s[4:5], 0x34
	v_mad_u64_u32 v[3:4], null, v3, s8, v[0:1]
	s_mov_b32 s8, exec_lo
	v_lshrrev_b32_e32 v3, 3, v3
	v_lshl_add_u32 v3, s6, 5, v3
	s_waitcnt lgkmcnt(0)
	v_cmpx_gt_u32_e64 s9, v3
	s_cbranch_execz .LBB1758_3
; %bb.1:
	s_clause 0x1
	s_load_dwordx2 s[12:13], s[4:5], 0x38
	s_load_dwordx4 s[8:11], s[4:5], 0x40
	v_mov_b32_e32 v4, 0
	v_lshlrev_b64 v[3:4], 2, v[3:4]
	s_waitcnt lgkmcnt(0)
	v_sub_co_u32 v3, vcc_lo, s12, v3
	v_sub_co_ci_u32_e64 v4, null, s13, v4, vcc_lo
	global_load_dword v3, v[3:4], off offset:-4
	s_waitcnt vmcnt(0)
	v_add_nc_u32_e32 v4, s9, v3
	v_add_nc_u32_e32 v3, s11, v3
	v_mul_lo_u32 v13, v4, s8
	v_mul_lo_u32 v14, v3, s10
	v_cmp_gt_u32_e32 vcc_lo, v14, v13
	s_and_b32 exec_lo, exec_lo, vcc_lo
	s_cbranch_execz .LBB1758_3
; %bb.2:
	s_clause 0x2
	s_load_dword s8, s[4:5], 0x30
	s_load_dwordx8 s[12:19], s[4:5], 0x0
	s_load_dwordx4 s[20:23], s[4:5], 0x20
	v_lshlrev_b32_e32 v2, 20, v2
	v_lshlrev_b32_e32 v1, 10, v1
	s_mov_b64 s[10:11], src_shared_base
	v_mov_b32_e32 v15, 0
	v_mov_b32_e32 v16, s11
	v_or3_b32 v31, v0, v1, v2
	s_waitcnt lgkmcnt(0)
	s_and_b32 s10, s8, 0xff
	v_mov_b32_e32 v0, s12
	v_mov_b32_e32 v1, s13
	v_mov_b32_e32 v2, s14
	v_mov_b32_e32 v3, s15
	v_mov_b32_e32 v4, s16
	v_mov_b32_e32 v5, s17
	v_mov_b32_e32 v6, s18
	v_mov_b32_e32 v7, s19
	v_mov_b32_e32 v8, s20
	v_mov_b32_e32 v9, s21
	v_mov_b32_e32 v10, s22
	v_mov_b32_e32 v11, s23
	v_mov_b32_e32 v12, s10
	s_add_u32 s8, s4, 0x58
	s_addc_u32 s9, s5, 0
	s_getpc_b64 s[4:5]
	s_add_u32 s4, s4, _ZN7rocprim17ROCPRIM_400000_NS6detail26segmented_warp_sort_helperINS1_20WarpSortHelperConfigILj8ELj4ELj256EEE6__halflLi256ELb1EvE4sortIPKS5_PS5_PKlPlEEvT_SA_T0_T1_SD_T2_bjjjjRNS6_12storage_typeE@rel32@lo+4
	s_addc_u32 s5, s5, _ZN7rocprim17ROCPRIM_400000_NS6detail26segmented_warp_sort_helperINS1_20WarpSortHelperConfigILj8ELj4ELj256EEE6__halflLi256ELb1EvE4sortIPKS5_PS5_PKlPlEEvT_SA_T0_T1_SD_T2_bjjjjRNS6_12storage_typeE@rel32@hi+12
	s_mov_b32 s12, s6
	s_mov_b32 s13, s7
	s_swappc_b64 s[30:31], s[4:5]
.LBB1758_3:
	s_endpgm
	.section	.rodata,"a",@progbits
	.p2align	6, 0x0
	.amdhsa_kernel _ZN7rocprim17ROCPRIM_400000_NS6detail17trampoline_kernelINS0_14default_configENS1_36segmented_radix_sort_config_selectorI6__halflEEZNS1_25segmented_radix_sort_implIS3_Lb1EPKS5_PS5_PKlPlN2at6native12_GLOBAL__N_18offset_tEEE10hipError_tPvRmT1_PNSt15iterator_traitsISL_E10value_typeET2_T3_PNSM_ISR_E10value_typeET4_jRbjT5_SX_jjP12ihipStream_tbEUlT_E1_NS1_11comp_targetILNS1_3genE8ELNS1_11target_archE1030ELNS1_3gpuE2ELNS1_3repE0EEENS1_59segmented_radix_sort_warp_sort_small_config_static_selectorELNS0_4arch9wavefront6targetE0EEEvSL_
		.amdhsa_group_segment_fixed_size 10240
		.amdhsa_private_segment_fixed_size 0
		.amdhsa_kernarg_size 344
		.amdhsa_user_sgpr_count 6
		.amdhsa_user_sgpr_private_segment_buffer 1
		.amdhsa_user_sgpr_dispatch_ptr 0
		.amdhsa_user_sgpr_queue_ptr 0
		.amdhsa_user_sgpr_kernarg_segment_ptr 1
		.amdhsa_user_sgpr_dispatch_id 0
		.amdhsa_user_sgpr_flat_scratch_init 0
		.amdhsa_user_sgpr_private_segment_size 0
		.amdhsa_wavefront_size32 1
		.amdhsa_uses_dynamic_stack 0
		.amdhsa_system_sgpr_private_segment_wavefront_offset 0
		.amdhsa_system_sgpr_workgroup_id_x 1
		.amdhsa_system_sgpr_workgroup_id_y 1
		.amdhsa_system_sgpr_workgroup_id_z 0
		.amdhsa_system_sgpr_workgroup_info 0
		.amdhsa_system_vgpr_workitem_id 2
		.amdhsa_next_free_vgpr 66
		.amdhsa_next_free_sgpr 33
		.amdhsa_reserve_vcc 1
		.amdhsa_reserve_flat_scratch 0
		.amdhsa_float_round_mode_32 0
		.amdhsa_float_round_mode_16_64 0
		.amdhsa_float_denorm_mode_32 3
		.amdhsa_float_denorm_mode_16_64 3
		.amdhsa_dx10_clamp 1
		.amdhsa_ieee_mode 1
		.amdhsa_fp16_overflow 0
		.amdhsa_workgroup_processor_mode 1
		.amdhsa_memory_ordered 1
		.amdhsa_forward_progress 1
		.amdhsa_shared_vgpr_count 0
		.amdhsa_exception_fp_ieee_invalid_op 0
		.amdhsa_exception_fp_denorm_src 0
		.amdhsa_exception_fp_ieee_div_zero 0
		.amdhsa_exception_fp_ieee_overflow 0
		.amdhsa_exception_fp_ieee_underflow 0
		.amdhsa_exception_fp_ieee_inexact 0
		.amdhsa_exception_int_div_zero 0
	.end_amdhsa_kernel
	.section	.text._ZN7rocprim17ROCPRIM_400000_NS6detail17trampoline_kernelINS0_14default_configENS1_36segmented_radix_sort_config_selectorI6__halflEEZNS1_25segmented_radix_sort_implIS3_Lb1EPKS5_PS5_PKlPlN2at6native12_GLOBAL__N_18offset_tEEE10hipError_tPvRmT1_PNSt15iterator_traitsISL_E10value_typeET2_T3_PNSM_ISR_E10value_typeET4_jRbjT5_SX_jjP12ihipStream_tbEUlT_E1_NS1_11comp_targetILNS1_3genE8ELNS1_11target_archE1030ELNS1_3gpuE2ELNS1_3repE0EEENS1_59segmented_radix_sort_warp_sort_small_config_static_selectorELNS0_4arch9wavefront6targetE0EEEvSL_,"axG",@progbits,_ZN7rocprim17ROCPRIM_400000_NS6detail17trampoline_kernelINS0_14default_configENS1_36segmented_radix_sort_config_selectorI6__halflEEZNS1_25segmented_radix_sort_implIS3_Lb1EPKS5_PS5_PKlPlN2at6native12_GLOBAL__N_18offset_tEEE10hipError_tPvRmT1_PNSt15iterator_traitsISL_E10value_typeET2_T3_PNSM_ISR_E10value_typeET4_jRbjT5_SX_jjP12ihipStream_tbEUlT_E1_NS1_11comp_targetILNS1_3genE8ELNS1_11target_archE1030ELNS1_3gpuE2ELNS1_3repE0EEENS1_59segmented_radix_sort_warp_sort_small_config_static_selectorELNS0_4arch9wavefront6targetE0EEEvSL_,comdat
.Lfunc_end1758:
	.size	_ZN7rocprim17ROCPRIM_400000_NS6detail17trampoline_kernelINS0_14default_configENS1_36segmented_radix_sort_config_selectorI6__halflEEZNS1_25segmented_radix_sort_implIS3_Lb1EPKS5_PS5_PKlPlN2at6native12_GLOBAL__N_18offset_tEEE10hipError_tPvRmT1_PNSt15iterator_traitsISL_E10value_typeET2_T3_PNSM_ISR_E10value_typeET4_jRbjT5_SX_jjP12ihipStream_tbEUlT_E1_NS1_11comp_targetILNS1_3genE8ELNS1_11target_archE1030ELNS1_3gpuE2ELNS1_3repE0EEENS1_59segmented_radix_sort_warp_sort_small_config_static_selectorELNS0_4arch9wavefront6targetE0EEEvSL_, .Lfunc_end1758-_ZN7rocprim17ROCPRIM_400000_NS6detail17trampoline_kernelINS0_14default_configENS1_36segmented_radix_sort_config_selectorI6__halflEEZNS1_25segmented_radix_sort_implIS3_Lb1EPKS5_PS5_PKlPlN2at6native12_GLOBAL__N_18offset_tEEE10hipError_tPvRmT1_PNSt15iterator_traitsISL_E10value_typeET2_T3_PNSM_ISR_E10value_typeET4_jRbjT5_SX_jjP12ihipStream_tbEUlT_E1_NS1_11comp_targetILNS1_3genE8ELNS1_11target_archE1030ELNS1_3gpuE2ELNS1_3repE0EEENS1_59segmented_radix_sort_warp_sort_small_config_static_selectorELNS0_4arch9wavefront6targetE0EEEvSL_
                                        ; -- End function
	.set _ZN7rocprim17ROCPRIM_400000_NS6detail17trampoline_kernelINS0_14default_configENS1_36segmented_radix_sort_config_selectorI6__halflEEZNS1_25segmented_radix_sort_implIS3_Lb1EPKS5_PS5_PKlPlN2at6native12_GLOBAL__N_18offset_tEEE10hipError_tPvRmT1_PNSt15iterator_traitsISL_E10value_typeET2_T3_PNSM_ISR_E10value_typeET4_jRbjT5_SX_jjP12ihipStream_tbEUlT_E1_NS1_11comp_targetILNS1_3genE8ELNS1_11target_archE1030ELNS1_3gpuE2ELNS1_3repE0EEENS1_59segmented_radix_sort_warp_sort_small_config_static_selectorELNS0_4arch9wavefront6targetE0EEEvSL_.num_vgpr, max(32, .L_ZN7rocprim17ROCPRIM_400000_NS6detail26segmented_warp_sort_helperINS1_20WarpSortHelperConfigILj8ELj4ELj256EEE6__halflLi256ELb1EvE4sortIPKS5_PS5_PKlPlEEvT_SA_T0_T1_SD_T2_bjjjjRNS6_12storage_typeE.num_vgpr)
	.set _ZN7rocprim17ROCPRIM_400000_NS6detail17trampoline_kernelINS0_14default_configENS1_36segmented_radix_sort_config_selectorI6__halflEEZNS1_25segmented_radix_sort_implIS3_Lb1EPKS5_PS5_PKlPlN2at6native12_GLOBAL__N_18offset_tEEE10hipError_tPvRmT1_PNSt15iterator_traitsISL_E10value_typeET2_T3_PNSM_ISR_E10value_typeET4_jRbjT5_SX_jjP12ihipStream_tbEUlT_E1_NS1_11comp_targetILNS1_3genE8ELNS1_11target_archE1030ELNS1_3gpuE2ELNS1_3repE0EEENS1_59segmented_radix_sort_warp_sort_small_config_static_selectorELNS0_4arch9wavefront6targetE0EEEvSL_.num_agpr, max(0, .L_ZN7rocprim17ROCPRIM_400000_NS6detail26segmented_warp_sort_helperINS1_20WarpSortHelperConfigILj8ELj4ELj256EEE6__halflLi256ELb1EvE4sortIPKS5_PS5_PKlPlEEvT_SA_T0_T1_SD_T2_bjjjjRNS6_12storage_typeE.num_agpr)
	.set _ZN7rocprim17ROCPRIM_400000_NS6detail17trampoline_kernelINS0_14default_configENS1_36segmented_radix_sort_config_selectorI6__halflEEZNS1_25segmented_radix_sort_implIS3_Lb1EPKS5_PS5_PKlPlN2at6native12_GLOBAL__N_18offset_tEEE10hipError_tPvRmT1_PNSt15iterator_traitsISL_E10value_typeET2_T3_PNSM_ISR_E10value_typeET4_jRbjT5_SX_jjP12ihipStream_tbEUlT_E1_NS1_11comp_targetILNS1_3genE8ELNS1_11target_archE1030ELNS1_3gpuE2ELNS1_3repE0EEENS1_59segmented_radix_sort_warp_sort_small_config_static_selectorELNS0_4arch9wavefront6targetE0EEEvSL_.numbered_sgpr, max(33, .L_ZN7rocprim17ROCPRIM_400000_NS6detail26segmented_warp_sort_helperINS1_20WarpSortHelperConfigILj8ELj4ELj256EEE6__halflLi256ELb1EvE4sortIPKS5_PS5_PKlPlEEvT_SA_T0_T1_SD_T2_bjjjjRNS6_12storage_typeE.numbered_sgpr)
	.set _ZN7rocprim17ROCPRIM_400000_NS6detail17trampoline_kernelINS0_14default_configENS1_36segmented_radix_sort_config_selectorI6__halflEEZNS1_25segmented_radix_sort_implIS3_Lb1EPKS5_PS5_PKlPlN2at6native12_GLOBAL__N_18offset_tEEE10hipError_tPvRmT1_PNSt15iterator_traitsISL_E10value_typeET2_T3_PNSM_ISR_E10value_typeET4_jRbjT5_SX_jjP12ihipStream_tbEUlT_E1_NS1_11comp_targetILNS1_3genE8ELNS1_11target_archE1030ELNS1_3gpuE2ELNS1_3repE0EEENS1_59segmented_radix_sort_warp_sort_small_config_static_selectorELNS0_4arch9wavefront6targetE0EEEvSL_.num_named_barrier, max(0, .L_ZN7rocprim17ROCPRIM_400000_NS6detail26segmented_warp_sort_helperINS1_20WarpSortHelperConfigILj8ELj4ELj256EEE6__halflLi256ELb1EvE4sortIPKS5_PS5_PKlPlEEvT_SA_T0_T1_SD_T2_bjjjjRNS6_12storage_typeE.num_named_barrier)
	.set _ZN7rocprim17ROCPRIM_400000_NS6detail17trampoline_kernelINS0_14default_configENS1_36segmented_radix_sort_config_selectorI6__halflEEZNS1_25segmented_radix_sort_implIS3_Lb1EPKS5_PS5_PKlPlN2at6native12_GLOBAL__N_18offset_tEEE10hipError_tPvRmT1_PNSt15iterator_traitsISL_E10value_typeET2_T3_PNSM_ISR_E10value_typeET4_jRbjT5_SX_jjP12ihipStream_tbEUlT_E1_NS1_11comp_targetILNS1_3genE8ELNS1_11target_archE1030ELNS1_3gpuE2ELNS1_3repE0EEENS1_59segmented_radix_sort_warp_sort_small_config_static_selectorELNS0_4arch9wavefront6targetE0EEEvSL_.private_seg_size, 0+max(.L_ZN7rocprim17ROCPRIM_400000_NS6detail26segmented_warp_sort_helperINS1_20WarpSortHelperConfigILj8ELj4ELj256EEE6__halflLi256ELb1EvE4sortIPKS5_PS5_PKlPlEEvT_SA_T0_T1_SD_T2_bjjjjRNS6_12storage_typeE.private_seg_size)
	.set _ZN7rocprim17ROCPRIM_400000_NS6detail17trampoline_kernelINS0_14default_configENS1_36segmented_radix_sort_config_selectorI6__halflEEZNS1_25segmented_radix_sort_implIS3_Lb1EPKS5_PS5_PKlPlN2at6native12_GLOBAL__N_18offset_tEEE10hipError_tPvRmT1_PNSt15iterator_traitsISL_E10value_typeET2_T3_PNSM_ISR_E10value_typeET4_jRbjT5_SX_jjP12ihipStream_tbEUlT_E1_NS1_11comp_targetILNS1_3genE8ELNS1_11target_archE1030ELNS1_3gpuE2ELNS1_3repE0EEENS1_59segmented_radix_sort_warp_sort_small_config_static_selectorELNS0_4arch9wavefront6targetE0EEEvSL_.uses_vcc, or(1, .L_ZN7rocprim17ROCPRIM_400000_NS6detail26segmented_warp_sort_helperINS1_20WarpSortHelperConfigILj8ELj4ELj256EEE6__halflLi256ELb1EvE4sortIPKS5_PS5_PKlPlEEvT_SA_T0_T1_SD_T2_bjjjjRNS6_12storage_typeE.uses_vcc)
	.set _ZN7rocprim17ROCPRIM_400000_NS6detail17trampoline_kernelINS0_14default_configENS1_36segmented_radix_sort_config_selectorI6__halflEEZNS1_25segmented_radix_sort_implIS3_Lb1EPKS5_PS5_PKlPlN2at6native12_GLOBAL__N_18offset_tEEE10hipError_tPvRmT1_PNSt15iterator_traitsISL_E10value_typeET2_T3_PNSM_ISR_E10value_typeET4_jRbjT5_SX_jjP12ihipStream_tbEUlT_E1_NS1_11comp_targetILNS1_3genE8ELNS1_11target_archE1030ELNS1_3gpuE2ELNS1_3repE0EEENS1_59segmented_radix_sort_warp_sort_small_config_static_selectorELNS0_4arch9wavefront6targetE0EEEvSL_.uses_flat_scratch, or(0, .L_ZN7rocprim17ROCPRIM_400000_NS6detail26segmented_warp_sort_helperINS1_20WarpSortHelperConfigILj8ELj4ELj256EEE6__halflLi256ELb1EvE4sortIPKS5_PS5_PKlPlEEvT_SA_T0_T1_SD_T2_bjjjjRNS6_12storage_typeE.uses_flat_scratch)
	.set _ZN7rocprim17ROCPRIM_400000_NS6detail17trampoline_kernelINS0_14default_configENS1_36segmented_radix_sort_config_selectorI6__halflEEZNS1_25segmented_radix_sort_implIS3_Lb1EPKS5_PS5_PKlPlN2at6native12_GLOBAL__N_18offset_tEEE10hipError_tPvRmT1_PNSt15iterator_traitsISL_E10value_typeET2_T3_PNSM_ISR_E10value_typeET4_jRbjT5_SX_jjP12ihipStream_tbEUlT_E1_NS1_11comp_targetILNS1_3genE8ELNS1_11target_archE1030ELNS1_3gpuE2ELNS1_3repE0EEENS1_59segmented_radix_sort_warp_sort_small_config_static_selectorELNS0_4arch9wavefront6targetE0EEEvSL_.has_dyn_sized_stack, or(0, .L_ZN7rocprim17ROCPRIM_400000_NS6detail26segmented_warp_sort_helperINS1_20WarpSortHelperConfigILj8ELj4ELj256EEE6__halflLi256ELb1EvE4sortIPKS5_PS5_PKlPlEEvT_SA_T0_T1_SD_T2_bjjjjRNS6_12storage_typeE.has_dyn_sized_stack)
	.set _ZN7rocprim17ROCPRIM_400000_NS6detail17trampoline_kernelINS0_14default_configENS1_36segmented_radix_sort_config_selectorI6__halflEEZNS1_25segmented_radix_sort_implIS3_Lb1EPKS5_PS5_PKlPlN2at6native12_GLOBAL__N_18offset_tEEE10hipError_tPvRmT1_PNSt15iterator_traitsISL_E10value_typeET2_T3_PNSM_ISR_E10value_typeET4_jRbjT5_SX_jjP12ihipStream_tbEUlT_E1_NS1_11comp_targetILNS1_3genE8ELNS1_11target_archE1030ELNS1_3gpuE2ELNS1_3repE0EEENS1_59segmented_radix_sort_warp_sort_small_config_static_selectorELNS0_4arch9wavefront6targetE0EEEvSL_.has_recursion, or(0, .L_ZN7rocprim17ROCPRIM_400000_NS6detail26segmented_warp_sort_helperINS1_20WarpSortHelperConfigILj8ELj4ELj256EEE6__halflLi256ELb1EvE4sortIPKS5_PS5_PKlPlEEvT_SA_T0_T1_SD_T2_bjjjjRNS6_12storage_typeE.has_recursion)
	.set _ZN7rocprim17ROCPRIM_400000_NS6detail17trampoline_kernelINS0_14default_configENS1_36segmented_radix_sort_config_selectorI6__halflEEZNS1_25segmented_radix_sort_implIS3_Lb1EPKS5_PS5_PKlPlN2at6native12_GLOBAL__N_18offset_tEEE10hipError_tPvRmT1_PNSt15iterator_traitsISL_E10value_typeET2_T3_PNSM_ISR_E10value_typeET4_jRbjT5_SX_jjP12ihipStream_tbEUlT_E1_NS1_11comp_targetILNS1_3genE8ELNS1_11target_archE1030ELNS1_3gpuE2ELNS1_3repE0EEENS1_59segmented_radix_sort_warp_sort_small_config_static_selectorELNS0_4arch9wavefront6targetE0EEEvSL_.has_indirect_call, or(0, .L_ZN7rocprim17ROCPRIM_400000_NS6detail26segmented_warp_sort_helperINS1_20WarpSortHelperConfigILj8ELj4ELj256EEE6__halflLi256ELb1EvE4sortIPKS5_PS5_PKlPlEEvT_SA_T0_T1_SD_T2_bjjjjRNS6_12storage_typeE.has_indirect_call)
	.section	.AMDGPU.csdata,"",@progbits
; Kernel info:
; codeLenInByte = 360
; TotalNumSgprs: 35
; NumVgprs: 66
; ScratchSize: 0
; MemoryBound: 0
; FloatMode: 240
; IeeeMode: 1
; LDSByteSize: 10240 bytes/workgroup (compile time only)
; SGPRBlocks: 0
; VGPRBlocks: 8
; NumSGPRsForWavesPerEU: 35
; NumVGPRsForWavesPerEU: 66
; Occupancy: 12
; WaveLimiterHint : 0
; COMPUTE_PGM_RSRC2:SCRATCH_EN: 0
; COMPUTE_PGM_RSRC2:USER_SGPR: 6
; COMPUTE_PGM_RSRC2:TRAP_HANDLER: 0
; COMPUTE_PGM_RSRC2:TGID_X_EN: 1
; COMPUTE_PGM_RSRC2:TGID_Y_EN: 1
; COMPUTE_PGM_RSRC2:TGID_Z_EN: 0
; COMPUTE_PGM_RSRC2:TIDIG_COMP_CNT: 2
	.section	.text._ZN7rocprim17ROCPRIM_400000_NS6detail17trampoline_kernelINS0_14default_configENS1_36segmented_radix_sort_config_selectorI6__halflEEZNS1_25segmented_radix_sort_implIS3_Lb1EPKS5_PS5_PKlPlN2at6native12_GLOBAL__N_18offset_tEEE10hipError_tPvRmT1_PNSt15iterator_traitsISL_E10value_typeET2_T3_PNSM_ISR_E10value_typeET4_jRbjT5_SX_jjP12ihipStream_tbEUlT_E2_NS1_11comp_targetILNS1_3genE0ELNS1_11target_archE4294967295ELNS1_3gpuE0ELNS1_3repE0EEENS1_30default_config_static_selectorELNS0_4arch9wavefront6targetE0EEEvSL_,"axG",@progbits,_ZN7rocprim17ROCPRIM_400000_NS6detail17trampoline_kernelINS0_14default_configENS1_36segmented_radix_sort_config_selectorI6__halflEEZNS1_25segmented_radix_sort_implIS3_Lb1EPKS5_PS5_PKlPlN2at6native12_GLOBAL__N_18offset_tEEE10hipError_tPvRmT1_PNSt15iterator_traitsISL_E10value_typeET2_T3_PNSM_ISR_E10value_typeET4_jRbjT5_SX_jjP12ihipStream_tbEUlT_E2_NS1_11comp_targetILNS1_3genE0ELNS1_11target_archE4294967295ELNS1_3gpuE0ELNS1_3repE0EEENS1_30default_config_static_selectorELNS0_4arch9wavefront6targetE0EEEvSL_,comdat
	.globl	_ZN7rocprim17ROCPRIM_400000_NS6detail17trampoline_kernelINS0_14default_configENS1_36segmented_radix_sort_config_selectorI6__halflEEZNS1_25segmented_radix_sort_implIS3_Lb1EPKS5_PS5_PKlPlN2at6native12_GLOBAL__N_18offset_tEEE10hipError_tPvRmT1_PNSt15iterator_traitsISL_E10value_typeET2_T3_PNSM_ISR_E10value_typeET4_jRbjT5_SX_jjP12ihipStream_tbEUlT_E2_NS1_11comp_targetILNS1_3genE0ELNS1_11target_archE4294967295ELNS1_3gpuE0ELNS1_3repE0EEENS1_30default_config_static_selectorELNS0_4arch9wavefront6targetE0EEEvSL_ ; -- Begin function _ZN7rocprim17ROCPRIM_400000_NS6detail17trampoline_kernelINS0_14default_configENS1_36segmented_radix_sort_config_selectorI6__halflEEZNS1_25segmented_radix_sort_implIS3_Lb1EPKS5_PS5_PKlPlN2at6native12_GLOBAL__N_18offset_tEEE10hipError_tPvRmT1_PNSt15iterator_traitsISL_E10value_typeET2_T3_PNSM_ISR_E10value_typeET4_jRbjT5_SX_jjP12ihipStream_tbEUlT_E2_NS1_11comp_targetILNS1_3genE0ELNS1_11target_archE4294967295ELNS1_3gpuE0ELNS1_3repE0EEENS1_30default_config_static_selectorELNS0_4arch9wavefront6targetE0EEEvSL_
	.p2align	8
	.type	_ZN7rocprim17ROCPRIM_400000_NS6detail17trampoline_kernelINS0_14default_configENS1_36segmented_radix_sort_config_selectorI6__halflEEZNS1_25segmented_radix_sort_implIS3_Lb1EPKS5_PS5_PKlPlN2at6native12_GLOBAL__N_18offset_tEEE10hipError_tPvRmT1_PNSt15iterator_traitsISL_E10value_typeET2_T3_PNSM_ISR_E10value_typeET4_jRbjT5_SX_jjP12ihipStream_tbEUlT_E2_NS1_11comp_targetILNS1_3genE0ELNS1_11target_archE4294967295ELNS1_3gpuE0ELNS1_3repE0EEENS1_30default_config_static_selectorELNS0_4arch9wavefront6targetE0EEEvSL_,@function
_ZN7rocprim17ROCPRIM_400000_NS6detail17trampoline_kernelINS0_14default_configENS1_36segmented_radix_sort_config_selectorI6__halflEEZNS1_25segmented_radix_sort_implIS3_Lb1EPKS5_PS5_PKlPlN2at6native12_GLOBAL__N_18offset_tEEE10hipError_tPvRmT1_PNSt15iterator_traitsISL_E10value_typeET2_T3_PNSM_ISR_E10value_typeET4_jRbjT5_SX_jjP12ihipStream_tbEUlT_E2_NS1_11comp_targetILNS1_3genE0ELNS1_11target_archE4294967295ELNS1_3gpuE0ELNS1_3repE0EEENS1_30default_config_static_selectorELNS0_4arch9wavefront6targetE0EEEvSL_: ; @_ZN7rocprim17ROCPRIM_400000_NS6detail17trampoline_kernelINS0_14default_configENS1_36segmented_radix_sort_config_selectorI6__halflEEZNS1_25segmented_radix_sort_implIS3_Lb1EPKS5_PS5_PKlPlN2at6native12_GLOBAL__N_18offset_tEEE10hipError_tPvRmT1_PNSt15iterator_traitsISL_E10value_typeET2_T3_PNSM_ISR_E10value_typeET4_jRbjT5_SX_jjP12ihipStream_tbEUlT_E2_NS1_11comp_targetILNS1_3genE0ELNS1_11target_archE4294967295ELNS1_3gpuE0ELNS1_3repE0EEENS1_30default_config_static_selectorELNS0_4arch9wavefront6targetE0EEEvSL_
; %bb.0:
	.section	.rodata,"a",@progbits
	.p2align	6, 0x0
	.amdhsa_kernel _ZN7rocprim17ROCPRIM_400000_NS6detail17trampoline_kernelINS0_14default_configENS1_36segmented_radix_sort_config_selectorI6__halflEEZNS1_25segmented_radix_sort_implIS3_Lb1EPKS5_PS5_PKlPlN2at6native12_GLOBAL__N_18offset_tEEE10hipError_tPvRmT1_PNSt15iterator_traitsISL_E10value_typeET2_T3_PNSM_ISR_E10value_typeET4_jRbjT5_SX_jjP12ihipStream_tbEUlT_E2_NS1_11comp_targetILNS1_3genE0ELNS1_11target_archE4294967295ELNS1_3gpuE0ELNS1_3repE0EEENS1_30default_config_static_selectorELNS0_4arch9wavefront6targetE0EEEvSL_
		.amdhsa_group_segment_fixed_size 0
		.amdhsa_private_segment_fixed_size 0
		.amdhsa_kernarg_size 80
		.amdhsa_user_sgpr_count 6
		.amdhsa_user_sgpr_private_segment_buffer 1
		.amdhsa_user_sgpr_dispatch_ptr 0
		.amdhsa_user_sgpr_queue_ptr 0
		.amdhsa_user_sgpr_kernarg_segment_ptr 1
		.amdhsa_user_sgpr_dispatch_id 0
		.amdhsa_user_sgpr_flat_scratch_init 0
		.amdhsa_user_sgpr_private_segment_size 0
		.amdhsa_wavefront_size32 1
		.amdhsa_uses_dynamic_stack 0
		.amdhsa_system_sgpr_private_segment_wavefront_offset 0
		.amdhsa_system_sgpr_workgroup_id_x 1
		.amdhsa_system_sgpr_workgroup_id_y 0
		.amdhsa_system_sgpr_workgroup_id_z 0
		.amdhsa_system_sgpr_workgroup_info 0
		.amdhsa_system_vgpr_workitem_id 0
		.amdhsa_next_free_vgpr 1
		.amdhsa_next_free_sgpr 1
		.amdhsa_reserve_vcc 0
		.amdhsa_reserve_flat_scratch 0
		.amdhsa_float_round_mode_32 0
		.amdhsa_float_round_mode_16_64 0
		.amdhsa_float_denorm_mode_32 3
		.amdhsa_float_denorm_mode_16_64 3
		.amdhsa_dx10_clamp 1
		.amdhsa_ieee_mode 1
		.amdhsa_fp16_overflow 0
		.amdhsa_workgroup_processor_mode 1
		.amdhsa_memory_ordered 1
		.amdhsa_forward_progress 1
		.amdhsa_shared_vgpr_count 0
		.amdhsa_exception_fp_ieee_invalid_op 0
		.amdhsa_exception_fp_denorm_src 0
		.amdhsa_exception_fp_ieee_div_zero 0
		.amdhsa_exception_fp_ieee_overflow 0
		.amdhsa_exception_fp_ieee_underflow 0
		.amdhsa_exception_fp_ieee_inexact 0
		.amdhsa_exception_int_div_zero 0
	.end_amdhsa_kernel
	.section	.text._ZN7rocprim17ROCPRIM_400000_NS6detail17trampoline_kernelINS0_14default_configENS1_36segmented_radix_sort_config_selectorI6__halflEEZNS1_25segmented_radix_sort_implIS3_Lb1EPKS5_PS5_PKlPlN2at6native12_GLOBAL__N_18offset_tEEE10hipError_tPvRmT1_PNSt15iterator_traitsISL_E10value_typeET2_T3_PNSM_ISR_E10value_typeET4_jRbjT5_SX_jjP12ihipStream_tbEUlT_E2_NS1_11comp_targetILNS1_3genE0ELNS1_11target_archE4294967295ELNS1_3gpuE0ELNS1_3repE0EEENS1_30default_config_static_selectorELNS0_4arch9wavefront6targetE0EEEvSL_,"axG",@progbits,_ZN7rocprim17ROCPRIM_400000_NS6detail17trampoline_kernelINS0_14default_configENS1_36segmented_radix_sort_config_selectorI6__halflEEZNS1_25segmented_radix_sort_implIS3_Lb1EPKS5_PS5_PKlPlN2at6native12_GLOBAL__N_18offset_tEEE10hipError_tPvRmT1_PNSt15iterator_traitsISL_E10value_typeET2_T3_PNSM_ISR_E10value_typeET4_jRbjT5_SX_jjP12ihipStream_tbEUlT_E2_NS1_11comp_targetILNS1_3genE0ELNS1_11target_archE4294967295ELNS1_3gpuE0ELNS1_3repE0EEENS1_30default_config_static_selectorELNS0_4arch9wavefront6targetE0EEEvSL_,comdat
.Lfunc_end1759:
	.size	_ZN7rocprim17ROCPRIM_400000_NS6detail17trampoline_kernelINS0_14default_configENS1_36segmented_radix_sort_config_selectorI6__halflEEZNS1_25segmented_radix_sort_implIS3_Lb1EPKS5_PS5_PKlPlN2at6native12_GLOBAL__N_18offset_tEEE10hipError_tPvRmT1_PNSt15iterator_traitsISL_E10value_typeET2_T3_PNSM_ISR_E10value_typeET4_jRbjT5_SX_jjP12ihipStream_tbEUlT_E2_NS1_11comp_targetILNS1_3genE0ELNS1_11target_archE4294967295ELNS1_3gpuE0ELNS1_3repE0EEENS1_30default_config_static_selectorELNS0_4arch9wavefront6targetE0EEEvSL_, .Lfunc_end1759-_ZN7rocprim17ROCPRIM_400000_NS6detail17trampoline_kernelINS0_14default_configENS1_36segmented_radix_sort_config_selectorI6__halflEEZNS1_25segmented_radix_sort_implIS3_Lb1EPKS5_PS5_PKlPlN2at6native12_GLOBAL__N_18offset_tEEE10hipError_tPvRmT1_PNSt15iterator_traitsISL_E10value_typeET2_T3_PNSM_ISR_E10value_typeET4_jRbjT5_SX_jjP12ihipStream_tbEUlT_E2_NS1_11comp_targetILNS1_3genE0ELNS1_11target_archE4294967295ELNS1_3gpuE0ELNS1_3repE0EEENS1_30default_config_static_selectorELNS0_4arch9wavefront6targetE0EEEvSL_
                                        ; -- End function
	.set _ZN7rocprim17ROCPRIM_400000_NS6detail17trampoline_kernelINS0_14default_configENS1_36segmented_radix_sort_config_selectorI6__halflEEZNS1_25segmented_radix_sort_implIS3_Lb1EPKS5_PS5_PKlPlN2at6native12_GLOBAL__N_18offset_tEEE10hipError_tPvRmT1_PNSt15iterator_traitsISL_E10value_typeET2_T3_PNSM_ISR_E10value_typeET4_jRbjT5_SX_jjP12ihipStream_tbEUlT_E2_NS1_11comp_targetILNS1_3genE0ELNS1_11target_archE4294967295ELNS1_3gpuE0ELNS1_3repE0EEENS1_30default_config_static_selectorELNS0_4arch9wavefront6targetE0EEEvSL_.num_vgpr, 0
	.set _ZN7rocprim17ROCPRIM_400000_NS6detail17trampoline_kernelINS0_14default_configENS1_36segmented_radix_sort_config_selectorI6__halflEEZNS1_25segmented_radix_sort_implIS3_Lb1EPKS5_PS5_PKlPlN2at6native12_GLOBAL__N_18offset_tEEE10hipError_tPvRmT1_PNSt15iterator_traitsISL_E10value_typeET2_T3_PNSM_ISR_E10value_typeET4_jRbjT5_SX_jjP12ihipStream_tbEUlT_E2_NS1_11comp_targetILNS1_3genE0ELNS1_11target_archE4294967295ELNS1_3gpuE0ELNS1_3repE0EEENS1_30default_config_static_selectorELNS0_4arch9wavefront6targetE0EEEvSL_.num_agpr, 0
	.set _ZN7rocprim17ROCPRIM_400000_NS6detail17trampoline_kernelINS0_14default_configENS1_36segmented_radix_sort_config_selectorI6__halflEEZNS1_25segmented_radix_sort_implIS3_Lb1EPKS5_PS5_PKlPlN2at6native12_GLOBAL__N_18offset_tEEE10hipError_tPvRmT1_PNSt15iterator_traitsISL_E10value_typeET2_T3_PNSM_ISR_E10value_typeET4_jRbjT5_SX_jjP12ihipStream_tbEUlT_E2_NS1_11comp_targetILNS1_3genE0ELNS1_11target_archE4294967295ELNS1_3gpuE0ELNS1_3repE0EEENS1_30default_config_static_selectorELNS0_4arch9wavefront6targetE0EEEvSL_.numbered_sgpr, 0
	.set _ZN7rocprim17ROCPRIM_400000_NS6detail17trampoline_kernelINS0_14default_configENS1_36segmented_radix_sort_config_selectorI6__halflEEZNS1_25segmented_radix_sort_implIS3_Lb1EPKS5_PS5_PKlPlN2at6native12_GLOBAL__N_18offset_tEEE10hipError_tPvRmT1_PNSt15iterator_traitsISL_E10value_typeET2_T3_PNSM_ISR_E10value_typeET4_jRbjT5_SX_jjP12ihipStream_tbEUlT_E2_NS1_11comp_targetILNS1_3genE0ELNS1_11target_archE4294967295ELNS1_3gpuE0ELNS1_3repE0EEENS1_30default_config_static_selectorELNS0_4arch9wavefront6targetE0EEEvSL_.num_named_barrier, 0
	.set _ZN7rocprim17ROCPRIM_400000_NS6detail17trampoline_kernelINS0_14default_configENS1_36segmented_radix_sort_config_selectorI6__halflEEZNS1_25segmented_radix_sort_implIS3_Lb1EPKS5_PS5_PKlPlN2at6native12_GLOBAL__N_18offset_tEEE10hipError_tPvRmT1_PNSt15iterator_traitsISL_E10value_typeET2_T3_PNSM_ISR_E10value_typeET4_jRbjT5_SX_jjP12ihipStream_tbEUlT_E2_NS1_11comp_targetILNS1_3genE0ELNS1_11target_archE4294967295ELNS1_3gpuE0ELNS1_3repE0EEENS1_30default_config_static_selectorELNS0_4arch9wavefront6targetE0EEEvSL_.private_seg_size, 0
	.set _ZN7rocprim17ROCPRIM_400000_NS6detail17trampoline_kernelINS0_14default_configENS1_36segmented_radix_sort_config_selectorI6__halflEEZNS1_25segmented_radix_sort_implIS3_Lb1EPKS5_PS5_PKlPlN2at6native12_GLOBAL__N_18offset_tEEE10hipError_tPvRmT1_PNSt15iterator_traitsISL_E10value_typeET2_T3_PNSM_ISR_E10value_typeET4_jRbjT5_SX_jjP12ihipStream_tbEUlT_E2_NS1_11comp_targetILNS1_3genE0ELNS1_11target_archE4294967295ELNS1_3gpuE0ELNS1_3repE0EEENS1_30default_config_static_selectorELNS0_4arch9wavefront6targetE0EEEvSL_.uses_vcc, 0
	.set _ZN7rocprim17ROCPRIM_400000_NS6detail17trampoline_kernelINS0_14default_configENS1_36segmented_radix_sort_config_selectorI6__halflEEZNS1_25segmented_radix_sort_implIS3_Lb1EPKS5_PS5_PKlPlN2at6native12_GLOBAL__N_18offset_tEEE10hipError_tPvRmT1_PNSt15iterator_traitsISL_E10value_typeET2_T3_PNSM_ISR_E10value_typeET4_jRbjT5_SX_jjP12ihipStream_tbEUlT_E2_NS1_11comp_targetILNS1_3genE0ELNS1_11target_archE4294967295ELNS1_3gpuE0ELNS1_3repE0EEENS1_30default_config_static_selectorELNS0_4arch9wavefront6targetE0EEEvSL_.uses_flat_scratch, 0
	.set _ZN7rocprim17ROCPRIM_400000_NS6detail17trampoline_kernelINS0_14default_configENS1_36segmented_radix_sort_config_selectorI6__halflEEZNS1_25segmented_radix_sort_implIS3_Lb1EPKS5_PS5_PKlPlN2at6native12_GLOBAL__N_18offset_tEEE10hipError_tPvRmT1_PNSt15iterator_traitsISL_E10value_typeET2_T3_PNSM_ISR_E10value_typeET4_jRbjT5_SX_jjP12ihipStream_tbEUlT_E2_NS1_11comp_targetILNS1_3genE0ELNS1_11target_archE4294967295ELNS1_3gpuE0ELNS1_3repE0EEENS1_30default_config_static_selectorELNS0_4arch9wavefront6targetE0EEEvSL_.has_dyn_sized_stack, 0
	.set _ZN7rocprim17ROCPRIM_400000_NS6detail17trampoline_kernelINS0_14default_configENS1_36segmented_radix_sort_config_selectorI6__halflEEZNS1_25segmented_radix_sort_implIS3_Lb1EPKS5_PS5_PKlPlN2at6native12_GLOBAL__N_18offset_tEEE10hipError_tPvRmT1_PNSt15iterator_traitsISL_E10value_typeET2_T3_PNSM_ISR_E10value_typeET4_jRbjT5_SX_jjP12ihipStream_tbEUlT_E2_NS1_11comp_targetILNS1_3genE0ELNS1_11target_archE4294967295ELNS1_3gpuE0ELNS1_3repE0EEENS1_30default_config_static_selectorELNS0_4arch9wavefront6targetE0EEEvSL_.has_recursion, 0
	.set _ZN7rocprim17ROCPRIM_400000_NS6detail17trampoline_kernelINS0_14default_configENS1_36segmented_radix_sort_config_selectorI6__halflEEZNS1_25segmented_radix_sort_implIS3_Lb1EPKS5_PS5_PKlPlN2at6native12_GLOBAL__N_18offset_tEEE10hipError_tPvRmT1_PNSt15iterator_traitsISL_E10value_typeET2_T3_PNSM_ISR_E10value_typeET4_jRbjT5_SX_jjP12ihipStream_tbEUlT_E2_NS1_11comp_targetILNS1_3genE0ELNS1_11target_archE4294967295ELNS1_3gpuE0ELNS1_3repE0EEENS1_30default_config_static_selectorELNS0_4arch9wavefront6targetE0EEEvSL_.has_indirect_call, 0
	.section	.AMDGPU.csdata,"",@progbits
; Kernel info:
; codeLenInByte = 0
; TotalNumSgprs: 0
; NumVgprs: 0
; ScratchSize: 0
; MemoryBound: 0
; FloatMode: 240
; IeeeMode: 1
; LDSByteSize: 0 bytes/workgroup (compile time only)
; SGPRBlocks: 0
; VGPRBlocks: 0
; NumSGPRsForWavesPerEU: 1
; NumVGPRsForWavesPerEU: 1
; Occupancy: 16
; WaveLimiterHint : 0
; COMPUTE_PGM_RSRC2:SCRATCH_EN: 0
; COMPUTE_PGM_RSRC2:USER_SGPR: 6
; COMPUTE_PGM_RSRC2:TRAP_HANDLER: 0
; COMPUTE_PGM_RSRC2:TGID_X_EN: 1
; COMPUTE_PGM_RSRC2:TGID_Y_EN: 0
; COMPUTE_PGM_RSRC2:TGID_Z_EN: 0
; COMPUTE_PGM_RSRC2:TIDIG_COMP_CNT: 0
	.section	.text._ZN7rocprim17ROCPRIM_400000_NS6detail17trampoline_kernelINS0_14default_configENS1_36segmented_radix_sort_config_selectorI6__halflEEZNS1_25segmented_radix_sort_implIS3_Lb1EPKS5_PS5_PKlPlN2at6native12_GLOBAL__N_18offset_tEEE10hipError_tPvRmT1_PNSt15iterator_traitsISL_E10value_typeET2_T3_PNSM_ISR_E10value_typeET4_jRbjT5_SX_jjP12ihipStream_tbEUlT_E2_NS1_11comp_targetILNS1_3genE5ELNS1_11target_archE942ELNS1_3gpuE9ELNS1_3repE0EEENS1_30default_config_static_selectorELNS0_4arch9wavefront6targetE0EEEvSL_,"axG",@progbits,_ZN7rocprim17ROCPRIM_400000_NS6detail17trampoline_kernelINS0_14default_configENS1_36segmented_radix_sort_config_selectorI6__halflEEZNS1_25segmented_radix_sort_implIS3_Lb1EPKS5_PS5_PKlPlN2at6native12_GLOBAL__N_18offset_tEEE10hipError_tPvRmT1_PNSt15iterator_traitsISL_E10value_typeET2_T3_PNSM_ISR_E10value_typeET4_jRbjT5_SX_jjP12ihipStream_tbEUlT_E2_NS1_11comp_targetILNS1_3genE5ELNS1_11target_archE942ELNS1_3gpuE9ELNS1_3repE0EEENS1_30default_config_static_selectorELNS0_4arch9wavefront6targetE0EEEvSL_,comdat
	.globl	_ZN7rocprim17ROCPRIM_400000_NS6detail17trampoline_kernelINS0_14default_configENS1_36segmented_radix_sort_config_selectorI6__halflEEZNS1_25segmented_radix_sort_implIS3_Lb1EPKS5_PS5_PKlPlN2at6native12_GLOBAL__N_18offset_tEEE10hipError_tPvRmT1_PNSt15iterator_traitsISL_E10value_typeET2_T3_PNSM_ISR_E10value_typeET4_jRbjT5_SX_jjP12ihipStream_tbEUlT_E2_NS1_11comp_targetILNS1_3genE5ELNS1_11target_archE942ELNS1_3gpuE9ELNS1_3repE0EEENS1_30default_config_static_selectorELNS0_4arch9wavefront6targetE0EEEvSL_ ; -- Begin function _ZN7rocprim17ROCPRIM_400000_NS6detail17trampoline_kernelINS0_14default_configENS1_36segmented_radix_sort_config_selectorI6__halflEEZNS1_25segmented_radix_sort_implIS3_Lb1EPKS5_PS5_PKlPlN2at6native12_GLOBAL__N_18offset_tEEE10hipError_tPvRmT1_PNSt15iterator_traitsISL_E10value_typeET2_T3_PNSM_ISR_E10value_typeET4_jRbjT5_SX_jjP12ihipStream_tbEUlT_E2_NS1_11comp_targetILNS1_3genE5ELNS1_11target_archE942ELNS1_3gpuE9ELNS1_3repE0EEENS1_30default_config_static_selectorELNS0_4arch9wavefront6targetE0EEEvSL_
	.p2align	8
	.type	_ZN7rocprim17ROCPRIM_400000_NS6detail17trampoline_kernelINS0_14default_configENS1_36segmented_radix_sort_config_selectorI6__halflEEZNS1_25segmented_radix_sort_implIS3_Lb1EPKS5_PS5_PKlPlN2at6native12_GLOBAL__N_18offset_tEEE10hipError_tPvRmT1_PNSt15iterator_traitsISL_E10value_typeET2_T3_PNSM_ISR_E10value_typeET4_jRbjT5_SX_jjP12ihipStream_tbEUlT_E2_NS1_11comp_targetILNS1_3genE5ELNS1_11target_archE942ELNS1_3gpuE9ELNS1_3repE0EEENS1_30default_config_static_selectorELNS0_4arch9wavefront6targetE0EEEvSL_,@function
_ZN7rocprim17ROCPRIM_400000_NS6detail17trampoline_kernelINS0_14default_configENS1_36segmented_radix_sort_config_selectorI6__halflEEZNS1_25segmented_radix_sort_implIS3_Lb1EPKS5_PS5_PKlPlN2at6native12_GLOBAL__N_18offset_tEEE10hipError_tPvRmT1_PNSt15iterator_traitsISL_E10value_typeET2_T3_PNSM_ISR_E10value_typeET4_jRbjT5_SX_jjP12ihipStream_tbEUlT_E2_NS1_11comp_targetILNS1_3genE5ELNS1_11target_archE942ELNS1_3gpuE9ELNS1_3repE0EEENS1_30default_config_static_selectorELNS0_4arch9wavefront6targetE0EEEvSL_: ; @_ZN7rocprim17ROCPRIM_400000_NS6detail17trampoline_kernelINS0_14default_configENS1_36segmented_radix_sort_config_selectorI6__halflEEZNS1_25segmented_radix_sort_implIS3_Lb1EPKS5_PS5_PKlPlN2at6native12_GLOBAL__N_18offset_tEEE10hipError_tPvRmT1_PNSt15iterator_traitsISL_E10value_typeET2_T3_PNSM_ISR_E10value_typeET4_jRbjT5_SX_jjP12ihipStream_tbEUlT_E2_NS1_11comp_targetILNS1_3genE5ELNS1_11target_archE942ELNS1_3gpuE9ELNS1_3repE0EEENS1_30default_config_static_selectorELNS0_4arch9wavefront6targetE0EEEvSL_
; %bb.0:
	.section	.rodata,"a",@progbits
	.p2align	6, 0x0
	.amdhsa_kernel _ZN7rocprim17ROCPRIM_400000_NS6detail17trampoline_kernelINS0_14default_configENS1_36segmented_radix_sort_config_selectorI6__halflEEZNS1_25segmented_radix_sort_implIS3_Lb1EPKS5_PS5_PKlPlN2at6native12_GLOBAL__N_18offset_tEEE10hipError_tPvRmT1_PNSt15iterator_traitsISL_E10value_typeET2_T3_PNSM_ISR_E10value_typeET4_jRbjT5_SX_jjP12ihipStream_tbEUlT_E2_NS1_11comp_targetILNS1_3genE5ELNS1_11target_archE942ELNS1_3gpuE9ELNS1_3repE0EEENS1_30default_config_static_selectorELNS0_4arch9wavefront6targetE0EEEvSL_
		.amdhsa_group_segment_fixed_size 0
		.amdhsa_private_segment_fixed_size 0
		.amdhsa_kernarg_size 80
		.amdhsa_user_sgpr_count 6
		.amdhsa_user_sgpr_private_segment_buffer 1
		.amdhsa_user_sgpr_dispatch_ptr 0
		.amdhsa_user_sgpr_queue_ptr 0
		.amdhsa_user_sgpr_kernarg_segment_ptr 1
		.amdhsa_user_sgpr_dispatch_id 0
		.amdhsa_user_sgpr_flat_scratch_init 0
		.amdhsa_user_sgpr_private_segment_size 0
		.amdhsa_wavefront_size32 1
		.amdhsa_uses_dynamic_stack 0
		.amdhsa_system_sgpr_private_segment_wavefront_offset 0
		.amdhsa_system_sgpr_workgroup_id_x 1
		.amdhsa_system_sgpr_workgroup_id_y 0
		.amdhsa_system_sgpr_workgroup_id_z 0
		.amdhsa_system_sgpr_workgroup_info 0
		.amdhsa_system_vgpr_workitem_id 0
		.amdhsa_next_free_vgpr 1
		.amdhsa_next_free_sgpr 1
		.amdhsa_reserve_vcc 0
		.amdhsa_reserve_flat_scratch 0
		.amdhsa_float_round_mode_32 0
		.amdhsa_float_round_mode_16_64 0
		.amdhsa_float_denorm_mode_32 3
		.amdhsa_float_denorm_mode_16_64 3
		.amdhsa_dx10_clamp 1
		.amdhsa_ieee_mode 1
		.amdhsa_fp16_overflow 0
		.amdhsa_workgroup_processor_mode 1
		.amdhsa_memory_ordered 1
		.amdhsa_forward_progress 1
		.amdhsa_shared_vgpr_count 0
		.amdhsa_exception_fp_ieee_invalid_op 0
		.amdhsa_exception_fp_denorm_src 0
		.amdhsa_exception_fp_ieee_div_zero 0
		.amdhsa_exception_fp_ieee_overflow 0
		.amdhsa_exception_fp_ieee_underflow 0
		.amdhsa_exception_fp_ieee_inexact 0
		.amdhsa_exception_int_div_zero 0
	.end_amdhsa_kernel
	.section	.text._ZN7rocprim17ROCPRIM_400000_NS6detail17trampoline_kernelINS0_14default_configENS1_36segmented_radix_sort_config_selectorI6__halflEEZNS1_25segmented_radix_sort_implIS3_Lb1EPKS5_PS5_PKlPlN2at6native12_GLOBAL__N_18offset_tEEE10hipError_tPvRmT1_PNSt15iterator_traitsISL_E10value_typeET2_T3_PNSM_ISR_E10value_typeET4_jRbjT5_SX_jjP12ihipStream_tbEUlT_E2_NS1_11comp_targetILNS1_3genE5ELNS1_11target_archE942ELNS1_3gpuE9ELNS1_3repE0EEENS1_30default_config_static_selectorELNS0_4arch9wavefront6targetE0EEEvSL_,"axG",@progbits,_ZN7rocprim17ROCPRIM_400000_NS6detail17trampoline_kernelINS0_14default_configENS1_36segmented_radix_sort_config_selectorI6__halflEEZNS1_25segmented_radix_sort_implIS3_Lb1EPKS5_PS5_PKlPlN2at6native12_GLOBAL__N_18offset_tEEE10hipError_tPvRmT1_PNSt15iterator_traitsISL_E10value_typeET2_T3_PNSM_ISR_E10value_typeET4_jRbjT5_SX_jjP12ihipStream_tbEUlT_E2_NS1_11comp_targetILNS1_3genE5ELNS1_11target_archE942ELNS1_3gpuE9ELNS1_3repE0EEENS1_30default_config_static_selectorELNS0_4arch9wavefront6targetE0EEEvSL_,comdat
.Lfunc_end1760:
	.size	_ZN7rocprim17ROCPRIM_400000_NS6detail17trampoline_kernelINS0_14default_configENS1_36segmented_radix_sort_config_selectorI6__halflEEZNS1_25segmented_radix_sort_implIS3_Lb1EPKS5_PS5_PKlPlN2at6native12_GLOBAL__N_18offset_tEEE10hipError_tPvRmT1_PNSt15iterator_traitsISL_E10value_typeET2_T3_PNSM_ISR_E10value_typeET4_jRbjT5_SX_jjP12ihipStream_tbEUlT_E2_NS1_11comp_targetILNS1_3genE5ELNS1_11target_archE942ELNS1_3gpuE9ELNS1_3repE0EEENS1_30default_config_static_selectorELNS0_4arch9wavefront6targetE0EEEvSL_, .Lfunc_end1760-_ZN7rocprim17ROCPRIM_400000_NS6detail17trampoline_kernelINS0_14default_configENS1_36segmented_radix_sort_config_selectorI6__halflEEZNS1_25segmented_radix_sort_implIS3_Lb1EPKS5_PS5_PKlPlN2at6native12_GLOBAL__N_18offset_tEEE10hipError_tPvRmT1_PNSt15iterator_traitsISL_E10value_typeET2_T3_PNSM_ISR_E10value_typeET4_jRbjT5_SX_jjP12ihipStream_tbEUlT_E2_NS1_11comp_targetILNS1_3genE5ELNS1_11target_archE942ELNS1_3gpuE9ELNS1_3repE0EEENS1_30default_config_static_selectorELNS0_4arch9wavefront6targetE0EEEvSL_
                                        ; -- End function
	.set _ZN7rocprim17ROCPRIM_400000_NS6detail17trampoline_kernelINS0_14default_configENS1_36segmented_radix_sort_config_selectorI6__halflEEZNS1_25segmented_radix_sort_implIS3_Lb1EPKS5_PS5_PKlPlN2at6native12_GLOBAL__N_18offset_tEEE10hipError_tPvRmT1_PNSt15iterator_traitsISL_E10value_typeET2_T3_PNSM_ISR_E10value_typeET4_jRbjT5_SX_jjP12ihipStream_tbEUlT_E2_NS1_11comp_targetILNS1_3genE5ELNS1_11target_archE942ELNS1_3gpuE9ELNS1_3repE0EEENS1_30default_config_static_selectorELNS0_4arch9wavefront6targetE0EEEvSL_.num_vgpr, 0
	.set _ZN7rocprim17ROCPRIM_400000_NS6detail17trampoline_kernelINS0_14default_configENS1_36segmented_radix_sort_config_selectorI6__halflEEZNS1_25segmented_radix_sort_implIS3_Lb1EPKS5_PS5_PKlPlN2at6native12_GLOBAL__N_18offset_tEEE10hipError_tPvRmT1_PNSt15iterator_traitsISL_E10value_typeET2_T3_PNSM_ISR_E10value_typeET4_jRbjT5_SX_jjP12ihipStream_tbEUlT_E2_NS1_11comp_targetILNS1_3genE5ELNS1_11target_archE942ELNS1_3gpuE9ELNS1_3repE0EEENS1_30default_config_static_selectorELNS0_4arch9wavefront6targetE0EEEvSL_.num_agpr, 0
	.set _ZN7rocprim17ROCPRIM_400000_NS6detail17trampoline_kernelINS0_14default_configENS1_36segmented_radix_sort_config_selectorI6__halflEEZNS1_25segmented_radix_sort_implIS3_Lb1EPKS5_PS5_PKlPlN2at6native12_GLOBAL__N_18offset_tEEE10hipError_tPvRmT1_PNSt15iterator_traitsISL_E10value_typeET2_T3_PNSM_ISR_E10value_typeET4_jRbjT5_SX_jjP12ihipStream_tbEUlT_E2_NS1_11comp_targetILNS1_3genE5ELNS1_11target_archE942ELNS1_3gpuE9ELNS1_3repE0EEENS1_30default_config_static_selectorELNS0_4arch9wavefront6targetE0EEEvSL_.numbered_sgpr, 0
	.set _ZN7rocprim17ROCPRIM_400000_NS6detail17trampoline_kernelINS0_14default_configENS1_36segmented_radix_sort_config_selectorI6__halflEEZNS1_25segmented_radix_sort_implIS3_Lb1EPKS5_PS5_PKlPlN2at6native12_GLOBAL__N_18offset_tEEE10hipError_tPvRmT1_PNSt15iterator_traitsISL_E10value_typeET2_T3_PNSM_ISR_E10value_typeET4_jRbjT5_SX_jjP12ihipStream_tbEUlT_E2_NS1_11comp_targetILNS1_3genE5ELNS1_11target_archE942ELNS1_3gpuE9ELNS1_3repE0EEENS1_30default_config_static_selectorELNS0_4arch9wavefront6targetE0EEEvSL_.num_named_barrier, 0
	.set _ZN7rocprim17ROCPRIM_400000_NS6detail17trampoline_kernelINS0_14default_configENS1_36segmented_radix_sort_config_selectorI6__halflEEZNS1_25segmented_radix_sort_implIS3_Lb1EPKS5_PS5_PKlPlN2at6native12_GLOBAL__N_18offset_tEEE10hipError_tPvRmT1_PNSt15iterator_traitsISL_E10value_typeET2_T3_PNSM_ISR_E10value_typeET4_jRbjT5_SX_jjP12ihipStream_tbEUlT_E2_NS1_11comp_targetILNS1_3genE5ELNS1_11target_archE942ELNS1_3gpuE9ELNS1_3repE0EEENS1_30default_config_static_selectorELNS0_4arch9wavefront6targetE0EEEvSL_.private_seg_size, 0
	.set _ZN7rocprim17ROCPRIM_400000_NS6detail17trampoline_kernelINS0_14default_configENS1_36segmented_radix_sort_config_selectorI6__halflEEZNS1_25segmented_radix_sort_implIS3_Lb1EPKS5_PS5_PKlPlN2at6native12_GLOBAL__N_18offset_tEEE10hipError_tPvRmT1_PNSt15iterator_traitsISL_E10value_typeET2_T3_PNSM_ISR_E10value_typeET4_jRbjT5_SX_jjP12ihipStream_tbEUlT_E2_NS1_11comp_targetILNS1_3genE5ELNS1_11target_archE942ELNS1_3gpuE9ELNS1_3repE0EEENS1_30default_config_static_selectorELNS0_4arch9wavefront6targetE0EEEvSL_.uses_vcc, 0
	.set _ZN7rocprim17ROCPRIM_400000_NS6detail17trampoline_kernelINS0_14default_configENS1_36segmented_radix_sort_config_selectorI6__halflEEZNS1_25segmented_radix_sort_implIS3_Lb1EPKS5_PS5_PKlPlN2at6native12_GLOBAL__N_18offset_tEEE10hipError_tPvRmT1_PNSt15iterator_traitsISL_E10value_typeET2_T3_PNSM_ISR_E10value_typeET4_jRbjT5_SX_jjP12ihipStream_tbEUlT_E2_NS1_11comp_targetILNS1_3genE5ELNS1_11target_archE942ELNS1_3gpuE9ELNS1_3repE0EEENS1_30default_config_static_selectorELNS0_4arch9wavefront6targetE0EEEvSL_.uses_flat_scratch, 0
	.set _ZN7rocprim17ROCPRIM_400000_NS6detail17trampoline_kernelINS0_14default_configENS1_36segmented_radix_sort_config_selectorI6__halflEEZNS1_25segmented_radix_sort_implIS3_Lb1EPKS5_PS5_PKlPlN2at6native12_GLOBAL__N_18offset_tEEE10hipError_tPvRmT1_PNSt15iterator_traitsISL_E10value_typeET2_T3_PNSM_ISR_E10value_typeET4_jRbjT5_SX_jjP12ihipStream_tbEUlT_E2_NS1_11comp_targetILNS1_3genE5ELNS1_11target_archE942ELNS1_3gpuE9ELNS1_3repE0EEENS1_30default_config_static_selectorELNS0_4arch9wavefront6targetE0EEEvSL_.has_dyn_sized_stack, 0
	.set _ZN7rocprim17ROCPRIM_400000_NS6detail17trampoline_kernelINS0_14default_configENS1_36segmented_radix_sort_config_selectorI6__halflEEZNS1_25segmented_radix_sort_implIS3_Lb1EPKS5_PS5_PKlPlN2at6native12_GLOBAL__N_18offset_tEEE10hipError_tPvRmT1_PNSt15iterator_traitsISL_E10value_typeET2_T3_PNSM_ISR_E10value_typeET4_jRbjT5_SX_jjP12ihipStream_tbEUlT_E2_NS1_11comp_targetILNS1_3genE5ELNS1_11target_archE942ELNS1_3gpuE9ELNS1_3repE0EEENS1_30default_config_static_selectorELNS0_4arch9wavefront6targetE0EEEvSL_.has_recursion, 0
	.set _ZN7rocprim17ROCPRIM_400000_NS6detail17trampoline_kernelINS0_14default_configENS1_36segmented_radix_sort_config_selectorI6__halflEEZNS1_25segmented_radix_sort_implIS3_Lb1EPKS5_PS5_PKlPlN2at6native12_GLOBAL__N_18offset_tEEE10hipError_tPvRmT1_PNSt15iterator_traitsISL_E10value_typeET2_T3_PNSM_ISR_E10value_typeET4_jRbjT5_SX_jjP12ihipStream_tbEUlT_E2_NS1_11comp_targetILNS1_3genE5ELNS1_11target_archE942ELNS1_3gpuE9ELNS1_3repE0EEENS1_30default_config_static_selectorELNS0_4arch9wavefront6targetE0EEEvSL_.has_indirect_call, 0
	.section	.AMDGPU.csdata,"",@progbits
; Kernel info:
; codeLenInByte = 0
; TotalNumSgprs: 0
; NumVgprs: 0
; ScratchSize: 0
; MemoryBound: 0
; FloatMode: 240
; IeeeMode: 1
; LDSByteSize: 0 bytes/workgroup (compile time only)
; SGPRBlocks: 0
; VGPRBlocks: 0
; NumSGPRsForWavesPerEU: 1
; NumVGPRsForWavesPerEU: 1
; Occupancy: 16
; WaveLimiterHint : 0
; COMPUTE_PGM_RSRC2:SCRATCH_EN: 0
; COMPUTE_PGM_RSRC2:USER_SGPR: 6
; COMPUTE_PGM_RSRC2:TRAP_HANDLER: 0
; COMPUTE_PGM_RSRC2:TGID_X_EN: 1
; COMPUTE_PGM_RSRC2:TGID_Y_EN: 0
; COMPUTE_PGM_RSRC2:TGID_Z_EN: 0
; COMPUTE_PGM_RSRC2:TIDIG_COMP_CNT: 0
	.section	.text._ZN7rocprim17ROCPRIM_400000_NS6detail17trampoline_kernelINS0_14default_configENS1_36segmented_radix_sort_config_selectorI6__halflEEZNS1_25segmented_radix_sort_implIS3_Lb1EPKS5_PS5_PKlPlN2at6native12_GLOBAL__N_18offset_tEEE10hipError_tPvRmT1_PNSt15iterator_traitsISL_E10value_typeET2_T3_PNSM_ISR_E10value_typeET4_jRbjT5_SX_jjP12ihipStream_tbEUlT_E2_NS1_11comp_targetILNS1_3genE4ELNS1_11target_archE910ELNS1_3gpuE8ELNS1_3repE0EEENS1_30default_config_static_selectorELNS0_4arch9wavefront6targetE0EEEvSL_,"axG",@progbits,_ZN7rocprim17ROCPRIM_400000_NS6detail17trampoline_kernelINS0_14default_configENS1_36segmented_radix_sort_config_selectorI6__halflEEZNS1_25segmented_radix_sort_implIS3_Lb1EPKS5_PS5_PKlPlN2at6native12_GLOBAL__N_18offset_tEEE10hipError_tPvRmT1_PNSt15iterator_traitsISL_E10value_typeET2_T3_PNSM_ISR_E10value_typeET4_jRbjT5_SX_jjP12ihipStream_tbEUlT_E2_NS1_11comp_targetILNS1_3genE4ELNS1_11target_archE910ELNS1_3gpuE8ELNS1_3repE0EEENS1_30default_config_static_selectorELNS0_4arch9wavefront6targetE0EEEvSL_,comdat
	.globl	_ZN7rocprim17ROCPRIM_400000_NS6detail17trampoline_kernelINS0_14default_configENS1_36segmented_radix_sort_config_selectorI6__halflEEZNS1_25segmented_radix_sort_implIS3_Lb1EPKS5_PS5_PKlPlN2at6native12_GLOBAL__N_18offset_tEEE10hipError_tPvRmT1_PNSt15iterator_traitsISL_E10value_typeET2_T3_PNSM_ISR_E10value_typeET4_jRbjT5_SX_jjP12ihipStream_tbEUlT_E2_NS1_11comp_targetILNS1_3genE4ELNS1_11target_archE910ELNS1_3gpuE8ELNS1_3repE0EEENS1_30default_config_static_selectorELNS0_4arch9wavefront6targetE0EEEvSL_ ; -- Begin function _ZN7rocprim17ROCPRIM_400000_NS6detail17trampoline_kernelINS0_14default_configENS1_36segmented_radix_sort_config_selectorI6__halflEEZNS1_25segmented_radix_sort_implIS3_Lb1EPKS5_PS5_PKlPlN2at6native12_GLOBAL__N_18offset_tEEE10hipError_tPvRmT1_PNSt15iterator_traitsISL_E10value_typeET2_T3_PNSM_ISR_E10value_typeET4_jRbjT5_SX_jjP12ihipStream_tbEUlT_E2_NS1_11comp_targetILNS1_3genE4ELNS1_11target_archE910ELNS1_3gpuE8ELNS1_3repE0EEENS1_30default_config_static_selectorELNS0_4arch9wavefront6targetE0EEEvSL_
	.p2align	8
	.type	_ZN7rocprim17ROCPRIM_400000_NS6detail17trampoline_kernelINS0_14default_configENS1_36segmented_radix_sort_config_selectorI6__halflEEZNS1_25segmented_radix_sort_implIS3_Lb1EPKS5_PS5_PKlPlN2at6native12_GLOBAL__N_18offset_tEEE10hipError_tPvRmT1_PNSt15iterator_traitsISL_E10value_typeET2_T3_PNSM_ISR_E10value_typeET4_jRbjT5_SX_jjP12ihipStream_tbEUlT_E2_NS1_11comp_targetILNS1_3genE4ELNS1_11target_archE910ELNS1_3gpuE8ELNS1_3repE0EEENS1_30default_config_static_selectorELNS0_4arch9wavefront6targetE0EEEvSL_,@function
_ZN7rocprim17ROCPRIM_400000_NS6detail17trampoline_kernelINS0_14default_configENS1_36segmented_radix_sort_config_selectorI6__halflEEZNS1_25segmented_radix_sort_implIS3_Lb1EPKS5_PS5_PKlPlN2at6native12_GLOBAL__N_18offset_tEEE10hipError_tPvRmT1_PNSt15iterator_traitsISL_E10value_typeET2_T3_PNSM_ISR_E10value_typeET4_jRbjT5_SX_jjP12ihipStream_tbEUlT_E2_NS1_11comp_targetILNS1_3genE4ELNS1_11target_archE910ELNS1_3gpuE8ELNS1_3repE0EEENS1_30default_config_static_selectorELNS0_4arch9wavefront6targetE0EEEvSL_: ; @_ZN7rocprim17ROCPRIM_400000_NS6detail17trampoline_kernelINS0_14default_configENS1_36segmented_radix_sort_config_selectorI6__halflEEZNS1_25segmented_radix_sort_implIS3_Lb1EPKS5_PS5_PKlPlN2at6native12_GLOBAL__N_18offset_tEEE10hipError_tPvRmT1_PNSt15iterator_traitsISL_E10value_typeET2_T3_PNSM_ISR_E10value_typeET4_jRbjT5_SX_jjP12ihipStream_tbEUlT_E2_NS1_11comp_targetILNS1_3genE4ELNS1_11target_archE910ELNS1_3gpuE8ELNS1_3repE0EEENS1_30default_config_static_selectorELNS0_4arch9wavefront6targetE0EEEvSL_
; %bb.0:
	.section	.rodata,"a",@progbits
	.p2align	6, 0x0
	.amdhsa_kernel _ZN7rocprim17ROCPRIM_400000_NS6detail17trampoline_kernelINS0_14default_configENS1_36segmented_radix_sort_config_selectorI6__halflEEZNS1_25segmented_radix_sort_implIS3_Lb1EPKS5_PS5_PKlPlN2at6native12_GLOBAL__N_18offset_tEEE10hipError_tPvRmT1_PNSt15iterator_traitsISL_E10value_typeET2_T3_PNSM_ISR_E10value_typeET4_jRbjT5_SX_jjP12ihipStream_tbEUlT_E2_NS1_11comp_targetILNS1_3genE4ELNS1_11target_archE910ELNS1_3gpuE8ELNS1_3repE0EEENS1_30default_config_static_selectorELNS0_4arch9wavefront6targetE0EEEvSL_
		.amdhsa_group_segment_fixed_size 0
		.amdhsa_private_segment_fixed_size 0
		.amdhsa_kernarg_size 80
		.amdhsa_user_sgpr_count 6
		.amdhsa_user_sgpr_private_segment_buffer 1
		.amdhsa_user_sgpr_dispatch_ptr 0
		.amdhsa_user_sgpr_queue_ptr 0
		.amdhsa_user_sgpr_kernarg_segment_ptr 1
		.amdhsa_user_sgpr_dispatch_id 0
		.amdhsa_user_sgpr_flat_scratch_init 0
		.amdhsa_user_sgpr_private_segment_size 0
		.amdhsa_wavefront_size32 1
		.amdhsa_uses_dynamic_stack 0
		.amdhsa_system_sgpr_private_segment_wavefront_offset 0
		.amdhsa_system_sgpr_workgroup_id_x 1
		.amdhsa_system_sgpr_workgroup_id_y 0
		.amdhsa_system_sgpr_workgroup_id_z 0
		.amdhsa_system_sgpr_workgroup_info 0
		.amdhsa_system_vgpr_workitem_id 0
		.amdhsa_next_free_vgpr 1
		.amdhsa_next_free_sgpr 1
		.amdhsa_reserve_vcc 0
		.amdhsa_reserve_flat_scratch 0
		.amdhsa_float_round_mode_32 0
		.amdhsa_float_round_mode_16_64 0
		.amdhsa_float_denorm_mode_32 3
		.amdhsa_float_denorm_mode_16_64 3
		.amdhsa_dx10_clamp 1
		.amdhsa_ieee_mode 1
		.amdhsa_fp16_overflow 0
		.amdhsa_workgroup_processor_mode 1
		.amdhsa_memory_ordered 1
		.amdhsa_forward_progress 1
		.amdhsa_shared_vgpr_count 0
		.amdhsa_exception_fp_ieee_invalid_op 0
		.amdhsa_exception_fp_denorm_src 0
		.amdhsa_exception_fp_ieee_div_zero 0
		.amdhsa_exception_fp_ieee_overflow 0
		.amdhsa_exception_fp_ieee_underflow 0
		.amdhsa_exception_fp_ieee_inexact 0
		.amdhsa_exception_int_div_zero 0
	.end_amdhsa_kernel
	.section	.text._ZN7rocprim17ROCPRIM_400000_NS6detail17trampoline_kernelINS0_14default_configENS1_36segmented_radix_sort_config_selectorI6__halflEEZNS1_25segmented_radix_sort_implIS3_Lb1EPKS5_PS5_PKlPlN2at6native12_GLOBAL__N_18offset_tEEE10hipError_tPvRmT1_PNSt15iterator_traitsISL_E10value_typeET2_T3_PNSM_ISR_E10value_typeET4_jRbjT5_SX_jjP12ihipStream_tbEUlT_E2_NS1_11comp_targetILNS1_3genE4ELNS1_11target_archE910ELNS1_3gpuE8ELNS1_3repE0EEENS1_30default_config_static_selectorELNS0_4arch9wavefront6targetE0EEEvSL_,"axG",@progbits,_ZN7rocprim17ROCPRIM_400000_NS6detail17trampoline_kernelINS0_14default_configENS1_36segmented_radix_sort_config_selectorI6__halflEEZNS1_25segmented_radix_sort_implIS3_Lb1EPKS5_PS5_PKlPlN2at6native12_GLOBAL__N_18offset_tEEE10hipError_tPvRmT1_PNSt15iterator_traitsISL_E10value_typeET2_T3_PNSM_ISR_E10value_typeET4_jRbjT5_SX_jjP12ihipStream_tbEUlT_E2_NS1_11comp_targetILNS1_3genE4ELNS1_11target_archE910ELNS1_3gpuE8ELNS1_3repE0EEENS1_30default_config_static_selectorELNS0_4arch9wavefront6targetE0EEEvSL_,comdat
.Lfunc_end1761:
	.size	_ZN7rocprim17ROCPRIM_400000_NS6detail17trampoline_kernelINS0_14default_configENS1_36segmented_radix_sort_config_selectorI6__halflEEZNS1_25segmented_radix_sort_implIS3_Lb1EPKS5_PS5_PKlPlN2at6native12_GLOBAL__N_18offset_tEEE10hipError_tPvRmT1_PNSt15iterator_traitsISL_E10value_typeET2_T3_PNSM_ISR_E10value_typeET4_jRbjT5_SX_jjP12ihipStream_tbEUlT_E2_NS1_11comp_targetILNS1_3genE4ELNS1_11target_archE910ELNS1_3gpuE8ELNS1_3repE0EEENS1_30default_config_static_selectorELNS0_4arch9wavefront6targetE0EEEvSL_, .Lfunc_end1761-_ZN7rocprim17ROCPRIM_400000_NS6detail17trampoline_kernelINS0_14default_configENS1_36segmented_radix_sort_config_selectorI6__halflEEZNS1_25segmented_radix_sort_implIS3_Lb1EPKS5_PS5_PKlPlN2at6native12_GLOBAL__N_18offset_tEEE10hipError_tPvRmT1_PNSt15iterator_traitsISL_E10value_typeET2_T3_PNSM_ISR_E10value_typeET4_jRbjT5_SX_jjP12ihipStream_tbEUlT_E2_NS1_11comp_targetILNS1_3genE4ELNS1_11target_archE910ELNS1_3gpuE8ELNS1_3repE0EEENS1_30default_config_static_selectorELNS0_4arch9wavefront6targetE0EEEvSL_
                                        ; -- End function
	.set _ZN7rocprim17ROCPRIM_400000_NS6detail17trampoline_kernelINS0_14default_configENS1_36segmented_radix_sort_config_selectorI6__halflEEZNS1_25segmented_radix_sort_implIS3_Lb1EPKS5_PS5_PKlPlN2at6native12_GLOBAL__N_18offset_tEEE10hipError_tPvRmT1_PNSt15iterator_traitsISL_E10value_typeET2_T3_PNSM_ISR_E10value_typeET4_jRbjT5_SX_jjP12ihipStream_tbEUlT_E2_NS1_11comp_targetILNS1_3genE4ELNS1_11target_archE910ELNS1_3gpuE8ELNS1_3repE0EEENS1_30default_config_static_selectorELNS0_4arch9wavefront6targetE0EEEvSL_.num_vgpr, 0
	.set _ZN7rocprim17ROCPRIM_400000_NS6detail17trampoline_kernelINS0_14default_configENS1_36segmented_radix_sort_config_selectorI6__halflEEZNS1_25segmented_radix_sort_implIS3_Lb1EPKS5_PS5_PKlPlN2at6native12_GLOBAL__N_18offset_tEEE10hipError_tPvRmT1_PNSt15iterator_traitsISL_E10value_typeET2_T3_PNSM_ISR_E10value_typeET4_jRbjT5_SX_jjP12ihipStream_tbEUlT_E2_NS1_11comp_targetILNS1_3genE4ELNS1_11target_archE910ELNS1_3gpuE8ELNS1_3repE0EEENS1_30default_config_static_selectorELNS0_4arch9wavefront6targetE0EEEvSL_.num_agpr, 0
	.set _ZN7rocprim17ROCPRIM_400000_NS6detail17trampoline_kernelINS0_14default_configENS1_36segmented_radix_sort_config_selectorI6__halflEEZNS1_25segmented_radix_sort_implIS3_Lb1EPKS5_PS5_PKlPlN2at6native12_GLOBAL__N_18offset_tEEE10hipError_tPvRmT1_PNSt15iterator_traitsISL_E10value_typeET2_T3_PNSM_ISR_E10value_typeET4_jRbjT5_SX_jjP12ihipStream_tbEUlT_E2_NS1_11comp_targetILNS1_3genE4ELNS1_11target_archE910ELNS1_3gpuE8ELNS1_3repE0EEENS1_30default_config_static_selectorELNS0_4arch9wavefront6targetE0EEEvSL_.numbered_sgpr, 0
	.set _ZN7rocprim17ROCPRIM_400000_NS6detail17trampoline_kernelINS0_14default_configENS1_36segmented_radix_sort_config_selectorI6__halflEEZNS1_25segmented_radix_sort_implIS3_Lb1EPKS5_PS5_PKlPlN2at6native12_GLOBAL__N_18offset_tEEE10hipError_tPvRmT1_PNSt15iterator_traitsISL_E10value_typeET2_T3_PNSM_ISR_E10value_typeET4_jRbjT5_SX_jjP12ihipStream_tbEUlT_E2_NS1_11comp_targetILNS1_3genE4ELNS1_11target_archE910ELNS1_3gpuE8ELNS1_3repE0EEENS1_30default_config_static_selectorELNS0_4arch9wavefront6targetE0EEEvSL_.num_named_barrier, 0
	.set _ZN7rocprim17ROCPRIM_400000_NS6detail17trampoline_kernelINS0_14default_configENS1_36segmented_radix_sort_config_selectorI6__halflEEZNS1_25segmented_radix_sort_implIS3_Lb1EPKS5_PS5_PKlPlN2at6native12_GLOBAL__N_18offset_tEEE10hipError_tPvRmT1_PNSt15iterator_traitsISL_E10value_typeET2_T3_PNSM_ISR_E10value_typeET4_jRbjT5_SX_jjP12ihipStream_tbEUlT_E2_NS1_11comp_targetILNS1_3genE4ELNS1_11target_archE910ELNS1_3gpuE8ELNS1_3repE0EEENS1_30default_config_static_selectorELNS0_4arch9wavefront6targetE0EEEvSL_.private_seg_size, 0
	.set _ZN7rocprim17ROCPRIM_400000_NS6detail17trampoline_kernelINS0_14default_configENS1_36segmented_radix_sort_config_selectorI6__halflEEZNS1_25segmented_radix_sort_implIS3_Lb1EPKS5_PS5_PKlPlN2at6native12_GLOBAL__N_18offset_tEEE10hipError_tPvRmT1_PNSt15iterator_traitsISL_E10value_typeET2_T3_PNSM_ISR_E10value_typeET4_jRbjT5_SX_jjP12ihipStream_tbEUlT_E2_NS1_11comp_targetILNS1_3genE4ELNS1_11target_archE910ELNS1_3gpuE8ELNS1_3repE0EEENS1_30default_config_static_selectorELNS0_4arch9wavefront6targetE0EEEvSL_.uses_vcc, 0
	.set _ZN7rocprim17ROCPRIM_400000_NS6detail17trampoline_kernelINS0_14default_configENS1_36segmented_radix_sort_config_selectorI6__halflEEZNS1_25segmented_radix_sort_implIS3_Lb1EPKS5_PS5_PKlPlN2at6native12_GLOBAL__N_18offset_tEEE10hipError_tPvRmT1_PNSt15iterator_traitsISL_E10value_typeET2_T3_PNSM_ISR_E10value_typeET4_jRbjT5_SX_jjP12ihipStream_tbEUlT_E2_NS1_11comp_targetILNS1_3genE4ELNS1_11target_archE910ELNS1_3gpuE8ELNS1_3repE0EEENS1_30default_config_static_selectorELNS0_4arch9wavefront6targetE0EEEvSL_.uses_flat_scratch, 0
	.set _ZN7rocprim17ROCPRIM_400000_NS6detail17trampoline_kernelINS0_14default_configENS1_36segmented_radix_sort_config_selectorI6__halflEEZNS1_25segmented_radix_sort_implIS3_Lb1EPKS5_PS5_PKlPlN2at6native12_GLOBAL__N_18offset_tEEE10hipError_tPvRmT1_PNSt15iterator_traitsISL_E10value_typeET2_T3_PNSM_ISR_E10value_typeET4_jRbjT5_SX_jjP12ihipStream_tbEUlT_E2_NS1_11comp_targetILNS1_3genE4ELNS1_11target_archE910ELNS1_3gpuE8ELNS1_3repE0EEENS1_30default_config_static_selectorELNS0_4arch9wavefront6targetE0EEEvSL_.has_dyn_sized_stack, 0
	.set _ZN7rocprim17ROCPRIM_400000_NS6detail17trampoline_kernelINS0_14default_configENS1_36segmented_radix_sort_config_selectorI6__halflEEZNS1_25segmented_radix_sort_implIS3_Lb1EPKS5_PS5_PKlPlN2at6native12_GLOBAL__N_18offset_tEEE10hipError_tPvRmT1_PNSt15iterator_traitsISL_E10value_typeET2_T3_PNSM_ISR_E10value_typeET4_jRbjT5_SX_jjP12ihipStream_tbEUlT_E2_NS1_11comp_targetILNS1_3genE4ELNS1_11target_archE910ELNS1_3gpuE8ELNS1_3repE0EEENS1_30default_config_static_selectorELNS0_4arch9wavefront6targetE0EEEvSL_.has_recursion, 0
	.set _ZN7rocprim17ROCPRIM_400000_NS6detail17trampoline_kernelINS0_14default_configENS1_36segmented_radix_sort_config_selectorI6__halflEEZNS1_25segmented_radix_sort_implIS3_Lb1EPKS5_PS5_PKlPlN2at6native12_GLOBAL__N_18offset_tEEE10hipError_tPvRmT1_PNSt15iterator_traitsISL_E10value_typeET2_T3_PNSM_ISR_E10value_typeET4_jRbjT5_SX_jjP12ihipStream_tbEUlT_E2_NS1_11comp_targetILNS1_3genE4ELNS1_11target_archE910ELNS1_3gpuE8ELNS1_3repE0EEENS1_30default_config_static_selectorELNS0_4arch9wavefront6targetE0EEEvSL_.has_indirect_call, 0
	.section	.AMDGPU.csdata,"",@progbits
; Kernel info:
; codeLenInByte = 0
; TotalNumSgprs: 0
; NumVgprs: 0
; ScratchSize: 0
; MemoryBound: 0
; FloatMode: 240
; IeeeMode: 1
; LDSByteSize: 0 bytes/workgroup (compile time only)
; SGPRBlocks: 0
; VGPRBlocks: 0
; NumSGPRsForWavesPerEU: 1
; NumVGPRsForWavesPerEU: 1
; Occupancy: 16
; WaveLimiterHint : 0
; COMPUTE_PGM_RSRC2:SCRATCH_EN: 0
; COMPUTE_PGM_RSRC2:USER_SGPR: 6
; COMPUTE_PGM_RSRC2:TRAP_HANDLER: 0
; COMPUTE_PGM_RSRC2:TGID_X_EN: 1
; COMPUTE_PGM_RSRC2:TGID_Y_EN: 0
; COMPUTE_PGM_RSRC2:TGID_Z_EN: 0
; COMPUTE_PGM_RSRC2:TIDIG_COMP_CNT: 0
	.section	.text._ZN7rocprim17ROCPRIM_400000_NS6detail17trampoline_kernelINS0_14default_configENS1_36segmented_radix_sort_config_selectorI6__halflEEZNS1_25segmented_radix_sort_implIS3_Lb1EPKS5_PS5_PKlPlN2at6native12_GLOBAL__N_18offset_tEEE10hipError_tPvRmT1_PNSt15iterator_traitsISL_E10value_typeET2_T3_PNSM_ISR_E10value_typeET4_jRbjT5_SX_jjP12ihipStream_tbEUlT_E2_NS1_11comp_targetILNS1_3genE3ELNS1_11target_archE908ELNS1_3gpuE7ELNS1_3repE0EEENS1_30default_config_static_selectorELNS0_4arch9wavefront6targetE0EEEvSL_,"axG",@progbits,_ZN7rocprim17ROCPRIM_400000_NS6detail17trampoline_kernelINS0_14default_configENS1_36segmented_radix_sort_config_selectorI6__halflEEZNS1_25segmented_radix_sort_implIS3_Lb1EPKS5_PS5_PKlPlN2at6native12_GLOBAL__N_18offset_tEEE10hipError_tPvRmT1_PNSt15iterator_traitsISL_E10value_typeET2_T3_PNSM_ISR_E10value_typeET4_jRbjT5_SX_jjP12ihipStream_tbEUlT_E2_NS1_11comp_targetILNS1_3genE3ELNS1_11target_archE908ELNS1_3gpuE7ELNS1_3repE0EEENS1_30default_config_static_selectorELNS0_4arch9wavefront6targetE0EEEvSL_,comdat
	.globl	_ZN7rocprim17ROCPRIM_400000_NS6detail17trampoline_kernelINS0_14default_configENS1_36segmented_radix_sort_config_selectorI6__halflEEZNS1_25segmented_radix_sort_implIS3_Lb1EPKS5_PS5_PKlPlN2at6native12_GLOBAL__N_18offset_tEEE10hipError_tPvRmT1_PNSt15iterator_traitsISL_E10value_typeET2_T3_PNSM_ISR_E10value_typeET4_jRbjT5_SX_jjP12ihipStream_tbEUlT_E2_NS1_11comp_targetILNS1_3genE3ELNS1_11target_archE908ELNS1_3gpuE7ELNS1_3repE0EEENS1_30default_config_static_selectorELNS0_4arch9wavefront6targetE0EEEvSL_ ; -- Begin function _ZN7rocprim17ROCPRIM_400000_NS6detail17trampoline_kernelINS0_14default_configENS1_36segmented_radix_sort_config_selectorI6__halflEEZNS1_25segmented_radix_sort_implIS3_Lb1EPKS5_PS5_PKlPlN2at6native12_GLOBAL__N_18offset_tEEE10hipError_tPvRmT1_PNSt15iterator_traitsISL_E10value_typeET2_T3_PNSM_ISR_E10value_typeET4_jRbjT5_SX_jjP12ihipStream_tbEUlT_E2_NS1_11comp_targetILNS1_3genE3ELNS1_11target_archE908ELNS1_3gpuE7ELNS1_3repE0EEENS1_30default_config_static_selectorELNS0_4arch9wavefront6targetE0EEEvSL_
	.p2align	8
	.type	_ZN7rocprim17ROCPRIM_400000_NS6detail17trampoline_kernelINS0_14default_configENS1_36segmented_radix_sort_config_selectorI6__halflEEZNS1_25segmented_radix_sort_implIS3_Lb1EPKS5_PS5_PKlPlN2at6native12_GLOBAL__N_18offset_tEEE10hipError_tPvRmT1_PNSt15iterator_traitsISL_E10value_typeET2_T3_PNSM_ISR_E10value_typeET4_jRbjT5_SX_jjP12ihipStream_tbEUlT_E2_NS1_11comp_targetILNS1_3genE3ELNS1_11target_archE908ELNS1_3gpuE7ELNS1_3repE0EEENS1_30default_config_static_selectorELNS0_4arch9wavefront6targetE0EEEvSL_,@function
_ZN7rocprim17ROCPRIM_400000_NS6detail17trampoline_kernelINS0_14default_configENS1_36segmented_radix_sort_config_selectorI6__halflEEZNS1_25segmented_radix_sort_implIS3_Lb1EPKS5_PS5_PKlPlN2at6native12_GLOBAL__N_18offset_tEEE10hipError_tPvRmT1_PNSt15iterator_traitsISL_E10value_typeET2_T3_PNSM_ISR_E10value_typeET4_jRbjT5_SX_jjP12ihipStream_tbEUlT_E2_NS1_11comp_targetILNS1_3genE3ELNS1_11target_archE908ELNS1_3gpuE7ELNS1_3repE0EEENS1_30default_config_static_selectorELNS0_4arch9wavefront6targetE0EEEvSL_: ; @_ZN7rocprim17ROCPRIM_400000_NS6detail17trampoline_kernelINS0_14default_configENS1_36segmented_radix_sort_config_selectorI6__halflEEZNS1_25segmented_radix_sort_implIS3_Lb1EPKS5_PS5_PKlPlN2at6native12_GLOBAL__N_18offset_tEEE10hipError_tPvRmT1_PNSt15iterator_traitsISL_E10value_typeET2_T3_PNSM_ISR_E10value_typeET4_jRbjT5_SX_jjP12ihipStream_tbEUlT_E2_NS1_11comp_targetILNS1_3genE3ELNS1_11target_archE908ELNS1_3gpuE7ELNS1_3repE0EEENS1_30default_config_static_selectorELNS0_4arch9wavefront6targetE0EEEvSL_
; %bb.0:
	.section	.rodata,"a",@progbits
	.p2align	6, 0x0
	.amdhsa_kernel _ZN7rocprim17ROCPRIM_400000_NS6detail17trampoline_kernelINS0_14default_configENS1_36segmented_radix_sort_config_selectorI6__halflEEZNS1_25segmented_radix_sort_implIS3_Lb1EPKS5_PS5_PKlPlN2at6native12_GLOBAL__N_18offset_tEEE10hipError_tPvRmT1_PNSt15iterator_traitsISL_E10value_typeET2_T3_PNSM_ISR_E10value_typeET4_jRbjT5_SX_jjP12ihipStream_tbEUlT_E2_NS1_11comp_targetILNS1_3genE3ELNS1_11target_archE908ELNS1_3gpuE7ELNS1_3repE0EEENS1_30default_config_static_selectorELNS0_4arch9wavefront6targetE0EEEvSL_
		.amdhsa_group_segment_fixed_size 0
		.amdhsa_private_segment_fixed_size 0
		.amdhsa_kernarg_size 80
		.amdhsa_user_sgpr_count 6
		.amdhsa_user_sgpr_private_segment_buffer 1
		.amdhsa_user_sgpr_dispatch_ptr 0
		.amdhsa_user_sgpr_queue_ptr 0
		.amdhsa_user_sgpr_kernarg_segment_ptr 1
		.amdhsa_user_sgpr_dispatch_id 0
		.amdhsa_user_sgpr_flat_scratch_init 0
		.amdhsa_user_sgpr_private_segment_size 0
		.amdhsa_wavefront_size32 1
		.amdhsa_uses_dynamic_stack 0
		.amdhsa_system_sgpr_private_segment_wavefront_offset 0
		.amdhsa_system_sgpr_workgroup_id_x 1
		.amdhsa_system_sgpr_workgroup_id_y 0
		.amdhsa_system_sgpr_workgroup_id_z 0
		.amdhsa_system_sgpr_workgroup_info 0
		.amdhsa_system_vgpr_workitem_id 0
		.amdhsa_next_free_vgpr 1
		.amdhsa_next_free_sgpr 1
		.amdhsa_reserve_vcc 0
		.amdhsa_reserve_flat_scratch 0
		.amdhsa_float_round_mode_32 0
		.amdhsa_float_round_mode_16_64 0
		.amdhsa_float_denorm_mode_32 3
		.amdhsa_float_denorm_mode_16_64 3
		.amdhsa_dx10_clamp 1
		.amdhsa_ieee_mode 1
		.amdhsa_fp16_overflow 0
		.amdhsa_workgroup_processor_mode 1
		.amdhsa_memory_ordered 1
		.amdhsa_forward_progress 1
		.amdhsa_shared_vgpr_count 0
		.amdhsa_exception_fp_ieee_invalid_op 0
		.amdhsa_exception_fp_denorm_src 0
		.amdhsa_exception_fp_ieee_div_zero 0
		.amdhsa_exception_fp_ieee_overflow 0
		.amdhsa_exception_fp_ieee_underflow 0
		.amdhsa_exception_fp_ieee_inexact 0
		.amdhsa_exception_int_div_zero 0
	.end_amdhsa_kernel
	.section	.text._ZN7rocprim17ROCPRIM_400000_NS6detail17trampoline_kernelINS0_14default_configENS1_36segmented_radix_sort_config_selectorI6__halflEEZNS1_25segmented_radix_sort_implIS3_Lb1EPKS5_PS5_PKlPlN2at6native12_GLOBAL__N_18offset_tEEE10hipError_tPvRmT1_PNSt15iterator_traitsISL_E10value_typeET2_T3_PNSM_ISR_E10value_typeET4_jRbjT5_SX_jjP12ihipStream_tbEUlT_E2_NS1_11comp_targetILNS1_3genE3ELNS1_11target_archE908ELNS1_3gpuE7ELNS1_3repE0EEENS1_30default_config_static_selectorELNS0_4arch9wavefront6targetE0EEEvSL_,"axG",@progbits,_ZN7rocprim17ROCPRIM_400000_NS6detail17trampoline_kernelINS0_14default_configENS1_36segmented_radix_sort_config_selectorI6__halflEEZNS1_25segmented_radix_sort_implIS3_Lb1EPKS5_PS5_PKlPlN2at6native12_GLOBAL__N_18offset_tEEE10hipError_tPvRmT1_PNSt15iterator_traitsISL_E10value_typeET2_T3_PNSM_ISR_E10value_typeET4_jRbjT5_SX_jjP12ihipStream_tbEUlT_E2_NS1_11comp_targetILNS1_3genE3ELNS1_11target_archE908ELNS1_3gpuE7ELNS1_3repE0EEENS1_30default_config_static_selectorELNS0_4arch9wavefront6targetE0EEEvSL_,comdat
.Lfunc_end1762:
	.size	_ZN7rocprim17ROCPRIM_400000_NS6detail17trampoline_kernelINS0_14default_configENS1_36segmented_radix_sort_config_selectorI6__halflEEZNS1_25segmented_radix_sort_implIS3_Lb1EPKS5_PS5_PKlPlN2at6native12_GLOBAL__N_18offset_tEEE10hipError_tPvRmT1_PNSt15iterator_traitsISL_E10value_typeET2_T3_PNSM_ISR_E10value_typeET4_jRbjT5_SX_jjP12ihipStream_tbEUlT_E2_NS1_11comp_targetILNS1_3genE3ELNS1_11target_archE908ELNS1_3gpuE7ELNS1_3repE0EEENS1_30default_config_static_selectorELNS0_4arch9wavefront6targetE0EEEvSL_, .Lfunc_end1762-_ZN7rocprim17ROCPRIM_400000_NS6detail17trampoline_kernelINS0_14default_configENS1_36segmented_radix_sort_config_selectorI6__halflEEZNS1_25segmented_radix_sort_implIS3_Lb1EPKS5_PS5_PKlPlN2at6native12_GLOBAL__N_18offset_tEEE10hipError_tPvRmT1_PNSt15iterator_traitsISL_E10value_typeET2_T3_PNSM_ISR_E10value_typeET4_jRbjT5_SX_jjP12ihipStream_tbEUlT_E2_NS1_11comp_targetILNS1_3genE3ELNS1_11target_archE908ELNS1_3gpuE7ELNS1_3repE0EEENS1_30default_config_static_selectorELNS0_4arch9wavefront6targetE0EEEvSL_
                                        ; -- End function
	.set _ZN7rocprim17ROCPRIM_400000_NS6detail17trampoline_kernelINS0_14default_configENS1_36segmented_radix_sort_config_selectorI6__halflEEZNS1_25segmented_radix_sort_implIS3_Lb1EPKS5_PS5_PKlPlN2at6native12_GLOBAL__N_18offset_tEEE10hipError_tPvRmT1_PNSt15iterator_traitsISL_E10value_typeET2_T3_PNSM_ISR_E10value_typeET4_jRbjT5_SX_jjP12ihipStream_tbEUlT_E2_NS1_11comp_targetILNS1_3genE3ELNS1_11target_archE908ELNS1_3gpuE7ELNS1_3repE0EEENS1_30default_config_static_selectorELNS0_4arch9wavefront6targetE0EEEvSL_.num_vgpr, 0
	.set _ZN7rocprim17ROCPRIM_400000_NS6detail17trampoline_kernelINS0_14default_configENS1_36segmented_radix_sort_config_selectorI6__halflEEZNS1_25segmented_radix_sort_implIS3_Lb1EPKS5_PS5_PKlPlN2at6native12_GLOBAL__N_18offset_tEEE10hipError_tPvRmT1_PNSt15iterator_traitsISL_E10value_typeET2_T3_PNSM_ISR_E10value_typeET4_jRbjT5_SX_jjP12ihipStream_tbEUlT_E2_NS1_11comp_targetILNS1_3genE3ELNS1_11target_archE908ELNS1_3gpuE7ELNS1_3repE0EEENS1_30default_config_static_selectorELNS0_4arch9wavefront6targetE0EEEvSL_.num_agpr, 0
	.set _ZN7rocprim17ROCPRIM_400000_NS6detail17trampoline_kernelINS0_14default_configENS1_36segmented_radix_sort_config_selectorI6__halflEEZNS1_25segmented_radix_sort_implIS3_Lb1EPKS5_PS5_PKlPlN2at6native12_GLOBAL__N_18offset_tEEE10hipError_tPvRmT1_PNSt15iterator_traitsISL_E10value_typeET2_T3_PNSM_ISR_E10value_typeET4_jRbjT5_SX_jjP12ihipStream_tbEUlT_E2_NS1_11comp_targetILNS1_3genE3ELNS1_11target_archE908ELNS1_3gpuE7ELNS1_3repE0EEENS1_30default_config_static_selectorELNS0_4arch9wavefront6targetE0EEEvSL_.numbered_sgpr, 0
	.set _ZN7rocprim17ROCPRIM_400000_NS6detail17trampoline_kernelINS0_14default_configENS1_36segmented_radix_sort_config_selectorI6__halflEEZNS1_25segmented_radix_sort_implIS3_Lb1EPKS5_PS5_PKlPlN2at6native12_GLOBAL__N_18offset_tEEE10hipError_tPvRmT1_PNSt15iterator_traitsISL_E10value_typeET2_T3_PNSM_ISR_E10value_typeET4_jRbjT5_SX_jjP12ihipStream_tbEUlT_E2_NS1_11comp_targetILNS1_3genE3ELNS1_11target_archE908ELNS1_3gpuE7ELNS1_3repE0EEENS1_30default_config_static_selectorELNS0_4arch9wavefront6targetE0EEEvSL_.num_named_barrier, 0
	.set _ZN7rocprim17ROCPRIM_400000_NS6detail17trampoline_kernelINS0_14default_configENS1_36segmented_radix_sort_config_selectorI6__halflEEZNS1_25segmented_radix_sort_implIS3_Lb1EPKS5_PS5_PKlPlN2at6native12_GLOBAL__N_18offset_tEEE10hipError_tPvRmT1_PNSt15iterator_traitsISL_E10value_typeET2_T3_PNSM_ISR_E10value_typeET4_jRbjT5_SX_jjP12ihipStream_tbEUlT_E2_NS1_11comp_targetILNS1_3genE3ELNS1_11target_archE908ELNS1_3gpuE7ELNS1_3repE0EEENS1_30default_config_static_selectorELNS0_4arch9wavefront6targetE0EEEvSL_.private_seg_size, 0
	.set _ZN7rocprim17ROCPRIM_400000_NS6detail17trampoline_kernelINS0_14default_configENS1_36segmented_radix_sort_config_selectorI6__halflEEZNS1_25segmented_radix_sort_implIS3_Lb1EPKS5_PS5_PKlPlN2at6native12_GLOBAL__N_18offset_tEEE10hipError_tPvRmT1_PNSt15iterator_traitsISL_E10value_typeET2_T3_PNSM_ISR_E10value_typeET4_jRbjT5_SX_jjP12ihipStream_tbEUlT_E2_NS1_11comp_targetILNS1_3genE3ELNS1_11target_archE908ELNS1_3gpuE7ELNS1_3repE0EEENS1_30default_config_static_selectorELNS0_4arch9wavefront6targetE0EEEvSL_.uses_vcc, 0
	.set _ZN7rocprim17ROCPRIM_400000_NS6detail17trampoline_kernelINS0_14default_configENS1_36segmented_radix_sort_config_selectorI6__halflEEZNS1_25segmented_radix_sort_implIS3_Lb1EPKS5_PS5_PKlPlN2at6native12_GLOBAL__N_18offset_tEEE10hipError_tPvRmT1_PNSt15iterator_traitsISL_E10value_typeET2_T3_PNSM_ISR_E10value_typeET4_jRbjT5_SX_jjP12ihipStream_tbEUlT_E2_NS1_11comp_targetILNS1_3genE3ELNS1_11target_archE908ELNS1_3gpuE7ELNS1_3repE0EEENS1_30default_config_static_selectorELNS0_4arch9wavefront6targetE0EEEvSL_.uses_flat_scratch, 0
	.set _ZN7rocprim17ROCPRIM_400000_NS6detail17trampoline_kernelINS0_14default_configENS1_36segmented_radix_sort_config_selectorI6__halflEEZNS1_25segmented_radix_sort_implIS3_Lb1EPKS5_PS5_PKlPlN2at6native12_GLOBAL__N_18offset_tEEE10hipError_tPvRmT1_PNSt15iterator_traitsISL_E10value_typeET2_T3_PNSM_ISR_E10value_typeET4_jRbjT5_SX_jjP12ihipStream_tbEUlT_E2_NS1_11comp_targetILNS1_3genE3ELNS1_11target_archE908ELNS1_3gpuE7ELNS1_3repE0EEENS1_30default_config_static_selectorELNS0_4arch9wavefront6targetE0EEEvSL_.has_dyn_sized_stack, 0
	.set _ZN7rocprim17ROCPRIM_400000_NS6detail17trampoline_kernelINS0_14default_configENS1_36segmented_radix_sort_config_selectorI6__halflEEZNS1_25segmented_radix_sort_implIS3_Lb1EPKS5_PS5_PKlPlN2at6native12_GLOBAL__N_18offset_tEEE10hipError_tPvRmT1_PNSt15iterator_traitsISL_E10value_typeET2_T3_PNSM_ISR_E10value_typeET4_jRbjT5_SX_jjP12ihipStream_tbEUlT_E2_NS1_11comp_targetILNS1_3genE3ELNS1_11target_archE908ELNS1_3gpuE7ELNS1_3repE0EEENS1_30default_config_static_selectorELNS0_4arch9wavefront6targetE0EEEvSL_.has_recursion, 0
	.set _ZN7rocprim17ROCPRIM_400000_NS6detail17trampoline_kernelINS0_14default_configENS1_36segmented_radix_sort_config_selectorI6__halflEEZNS1_25segmented_radix_sort_implIS3_Lb1EPKS5_PS5_PKlPlN2at6native12_GLOBAL__N_18offset_tEEE10hipError_tPvRmT1_PNSt15iterator_traitsISL_E10value_typeET2_T3_PNSM_ISR_E10value_typeET4_jRbjT5_SX_jjP12ihipStream_tbEUlT_E2_NS1_11comp_targetILNS1_3genE3ELNS1_11target_archE908ELNS1_3gpuE7ELNS1_3repE0EEENS1_30default_config_static_selectorELNS0_4arch9wavefront6targetE0EEEvSL_.has_indirect_call, 0
	.section	.AMDGPU.csdata,"",@progbits
; Kernel info:
; codeLenInByte = 0
; TotalNumSgprs: 0
; NumVgprs: 0
; ScratchSize: 0
; MemoryBound: 0
; FloatMode: 240
; IeeeMode: 1
; LDSByteSize: 0 bytes/workgroup (compile time only)
; SGPRBlocks: 0
; VGPRBlocks: 0
; NumSGPRsForWavesPerEU: 1
; NumVGPRsForWavesPerEU: 1
; Occupancy: 16
; WaveLimiterHint : 0
; COMPUTE_PGM_RSRC2:SCRATCH_EN: 0
; COMPUTE_PGM_RSRC2:USER_SGPR: 6
; COMPUTE_PGM_RSRC2:TRAP_HANDLER: 0
; COMPUTE_PGM_RSRC2:TGID_X_EN: 1
; COMPUTE_PGM_RSRC2:TGID_Y_EN: 0
; COMPUTE_PGM_RSRC2:TGID_Z_EN: 0
; COMPUTE_PGM_RSRC2:TIDIG_COMP_CNT: 0
	.section	.text._ZN7rocprim17ROCPRIM_400000_NS6detail17trampoline_kernelINS0_14default_configENS1_36segmented_radix_sort_config_selectorI6__halflEEZNS1_25segmented_radix_sort_implIS3_Lb1EPKS5_PS5_PKlPlN2at6native12_GLOBAL__N_18offset_tEEE10hipError_tPvRmT1_PNSt15iterator_traitsISL_E10value_typeET2_T3_PNSM_ISR_E10value_typeET4_jRbjT5_SX_jjP12ihipStream_tbEUlT_E2_NS1_11comp_targetILNS1_3genE2ELNS1_11target_archE906ELNS1_3gpuE6ELNS1_3repE0EEENS1_30default_config_static_selectorELNS0_4arch9wavefront6targetE0EEEvSL_,"axG",@progbits,_ZN7rocprim17ROCPRIM_400000_NS6detail17trampoline_kernelINS0_14default_configENS1_36segmented_radix_sort_config_selectorI6__halflEEZNS1_25segmented_radix_sort_implIS3_Lb1EPKS5_PS5_PKlPlN2at6native12_GLOBAL__N_18offset_tEEE10hipError_tPvRmT1_PNSt15iterator_traitsISL_E10value_typeET2_T3_PNSM_ISR_E10value_typeET4_jRbjT5_SX_jjP12ihipStream_tbEUlT_E2_NS1_11comp_targetILNS1_3genE2ELNS1_11target_archE906ELNS1_3gpuE6ELNS1_3repE0EEENS1_30default_config_static_selectorELNS0_4arch9wavefront6targetE0EEEvSL_,comdat
	.globl	_ZN7rocprim17ROCPRIM_400000_NS6detail17trampoline_kernelINS0_14default_configENS1_36segmented_radix_sort_config_selectorI6__halflEEZNS1_25segmented_radix_sort_implIS3_Lb1EPKS5_PS5_PKlPlN2at6native12_GLOBAL__N_18offset_tEEE10hipError_tPvRmT1_PNSt15iterator_traitsISL_E10value_typeET2_T3_PNSM_ISR_E10value_typeET4_jRbjT5_SX_jjP12ihipStream_tbEUlT_E2_NS1_11comp_targetILNS1_3genE2ELNS1_11target_archE906ELNS1_3gpuE6ELNS1_3repE0EEENS1_30default_config_static_selectorELNS0_4arch9wavefront6targetE0EEEvSL_ ; -- Begin function _ZN7rocprim17ROCPRIM_400000_NS6detail17trampoline_kernelINS0_14default_configENS1_36segmented_radix_sort_config_selectorI6__halflEEZNS1_25segmented_radix_sort_implIS3_Lb1EPKS5_PS5_PKlPlN2at6native12_GLOBAL__N_18offset_tEEE10hipError_tPvRmT1_PNSt15iterator_traitsISL_E10value_typeET2_T3_PNSM_ISR_E10value_typeET4_jRbjT5_SX_jjP12ihipStream_tbEUlT_E2_NS1_11comp_targetILNS1_3genE2ELNS1_11target_archE906ELNS1_3gpuE6ELNS1_3repE0EEENS1_30default_config_static_selectorELNS0_4arch9wavefront6targetE0EEEvSL_
	.p2align	8
	.type	_ZN7rocprim17ROCPRIM_400000_NS6detail17trampoline_kernelINS0_14default_configENS1_36segmented_radix_sort_config_selectorI6__halflEEZNS1_25segmented_radix_sort_implIS3_Lb1EPKS5_PS5_PKlPlN2at6native12_GLOBAL__N_18offset_tEEE10hipError_tPvRmT1_PNSt15iterator_traitsISL_E10value_typeET2_T3_PNSM_ISR_E10value_typeET4_jRbjT5_SX_jjP12ihipStream_tbEUlT_E2_NS1_11comp_targetILNS1_3genE2ELNS1_11target_archE906ELNS1_3gpuE6ELNS1_3repE0EEENS1_30default_config_static_selectorELNS0_4arch9wavefront6targetE0EEEvSL_,@function
_ZN7rocprim17ROCPRIM_400000_NS6detail17trampoline_kernelINS0_14default_configENS1_36segmented_radix_sort_config_selectorI6__halflEEZNS1_25segmented_radix_sort_implIS3_Lb1EPKS5_PS5_PKlPlN2at6native12_GLOBAL__N_18offset_tEEE10hipError_tPvRmT1_PNSt15iterator_traitsISL_E10value_typeET2_T3_PNSM_ISR_E10value_typeET4_jRbjT5_SX_jjP12ihipStream_tbEUlT_E2_NS1_11comp_targetILNS1_3genE2ELNS1_11target_archE906ELNS1_3gpuE6ELNS1_3repE0EEENS1_30default_config_static_selectorELNS0_4arch9wavefront6targetE0EEEvSL_: ; @_ZN7rocprim17ROCPRIM_400000_NS6detail17trampoline_kernelINS0_14default_configENS1_36segmented_radix_sort_config_selectorI6__halflEEZNS1_25segmented_radix_sort_implIS3_Lb1EPKS5_PS5_PKlPlN2at6native12_GLOBAL__N_18offset_tEEE10hipError_tPvRmT1_PNSt15iterator_traitsISL_E10value_typeET2_T3_PNSM_ISR_E10value_typeET4_jRbjT5_SX_jjP12ihipStream_tbEUlT_E2_NS1_11comp_targetILNS1_3genE2ELNS1_11target_archE906ELNS1_3gpuE6ELNS1_3repE0EEENS1_30default_config_static_selectorELNS0_4arch9wavefront6targetE0EEEvSL_
; %bb.0:
	.section	.rodata,"a",@progbits
	.p2align	6, 0x0
	.amdhsa_kernel _ZN7rocprim17ROCPRIM_400000_NS6detail17trampoline_kernelINS0_14default_configENS1_36segmented_radix_sort_config_selectorI6__halflEEZNS1_25segmented_radix_sort_implIS3_Lb1EPKS5_PS5_PKlPlN2at6native12_GLOBAL__N_18offset_tEEE10hipError_tPvRmT1_PNSt15iterator_traitsISL_E10value_typeET2_T3_PNSM_ISR_E10value_typeET4_jRbjT5_SX_jjP12ihipStream_tbEUlT_E2_NS1_11comp_targetILNS1_3genE2ELNS1_11target_archE906ELNS1_3gpuE6ELNS1_3repE0EEENS1_30default_config_static_selectorELNS0_4arch9wavefront6targetE0EEEvSL_
		.amdhsa_group_segment_fixed_size 0
		.amdhsa_private_segment_fixed_size 0
		.amdhsa_kernarg_size 80
		.amdhsa_user_sgpr_count 6
		.amdhsa_user_sgpr_private_segment_buffer 1
		.amdhsa_user_sgpr_dispatch_ptr 0
		.amdhsa_user_sgpr_queue_ptr 0
		.amdhsa_user_sgpr_kernarg_segment_ptr 1
		.amdhsa_user_sgpr_dispatch_id 0
		.amdhsa_user_sgpr_flat_scratch_init 0
		.amdhsa_user_sgpr_private_segment_size 0
		.amdhsa_wavefront_size32 1
		.amdhsa_uses_dynamic_stack 0
		.amdhsa_system_sgpr_private_segment_wavefront_offset 0
		.amdhsa_system_sgpr_workgroup_id_x 1
		.amdhsa_system_sgpr_workgroup_id_y 0
		.amdhsa_system_sgpr_workgroup_id_z 0
		.amdhsa_system_sgpr_workgroup_info 0
		.amdhsa_system_vgpr_workitem_id 0
		.amdhsa_next_free_vgpr 1
		.amdhsa_next_free_sgpr 1
		.amdhsa_reserve_vcc 0
		.amdhsa_reserve_flat_scratch 0
		.amdhsa_float_round_mode_32 0
		.amdhsa_float_round_mode_16_64 0
		.amdhsa_float_denorm_mode_32 3
		.amdhsa_float_denorm_mode_16_64 3
		.amdhsa_dx10_clamp 1
		.amdhsa_ieee_mode 1
		.amdhsa_fp16_overflow 0
		.amdhsa_workgroup_processor_mode 1
		.amdhsa_memory_ordered 1
		.amdhsa_forward_progress 1
		.amdhsa_shared_vgpr_count 0
		.amdhsa_exception_fp_ieee_invalid_op 0
		.amdhsa_exception_fp_denorm_src 0
		.amdhsa_exception_fp_ieee_div_zero 0
		.amdhsa_exception_fp_ieee_overflow 0
		.amdhsa_exception_fp_ieee_underflow 0
		.amdhsa_exception_fp_ieee_inexact 0
		.amdhsa_exception_int_div_zero 0
	.end_amdhsa_kernel
	.section	.text._ZN7rocprim17ROCPRIM_400000_NS6detail17trampoline_kernelINS0_14default_configENS1_36segmented_radix_sort_config_selectorI6__halflEEZNS1_25segmented_radix_sort_implIS3_Lb1EPKS5_PS5_PKlPlN2at6native12_GLOBAL__N_18offset_tEEE10hipError_tPvRmT1_PNSt15iterator_traitsISL_E10value_typeET2_T3_PNSM_ISR_E10value_typeET4_jRbjT5_SX_jjP12ihipStream_tbEUlT_E2_NS1_11comp_targetILNS1_3genE2ELNS1_11target_archE906ELNS1_3gpuE6ELNS1_3repE0EEENS1_30default_config_static_selectorELNS0_4arch9wavefront6targetE0EEEvSL_,"axG",@progbits,_ZN7rocprim17ROCPRIM_400000_NS6detail17trampoline_kernelINS0_14default_configENS1_36segmented_radix_sort_config_selectorI6__halflEEZNS1_25segmented_radix_sort_implIS3_Lb1EPKS5_PS5_PKlPlN2at6native12_GLOBAL__N_18offset_tEEE10hipError_tPvRmT1_PNSt15iterator_traitsISL_E10value_typeET2_T3_PNSM_ISR_E10value_typeET4_jRbjT5_SX_jjP12ihipStream_tbEUlT_E2_NS1_11comp_targetILNS1_3genE2ELNS1_11target_archE906ELNS1_3gpuE6ELNS1_3repE0EEENS1_30default_config_static_selectorELNS0_4arch9wavefront6targetE0EEEvSL_,comdat
.Lfunc_end1763:
	.size	_ZN7rocprim17ROCPRIM_400000_NS6detail17trampoline_kernelINS0_14default_configENS1_36segmented_radix_sort_config_selectorI6__halflEEZNS1_25segmented_radix_sort_implIS3_Lb1EPKS5_PS5_PKlPlN2at6native12_GLOBAL__N_18offset_tEEE10hipError_tPvRmT1_PNSt15iterator_traitsISL_E10value_typeET2_T3_PNSM_ISR_E10value_typeET4_jRbjT5_SX_jjP12ihipStream_tbEUlT_E2_NS1_11comp_targetILNS1_3genE2ELNS1_11target_archE906ELNS1_3gpuE6ELNS1_3repE0EEENS1_30default_config_static_selectorELNS0_4arch9wavefront6targetE0EEEvSL_, .Lfunc_end1763-_ZN7rocprim17ROCPRIM_400000_NS6detail17trampoline_kernelINS0_14default_configENS1_36segmented_radix_sort_config_selectorI6__halflEEZNS1_25segmented_radix_sort_implIS3_Lb1EPKS5_PS5_PKlPlN2at6native12_GLOBAL__N_18offset_tEEE10hipError_tPvRmT1_PNSt15iterator_traitsISL_E10value_typeET2_T3_PNSM_ISR_E10value_typeET4_jRbjT5_SX_jjP12ihipStream_tbEUlT_E2_NS1_11comp_targetILNS1_3genE2ELNS1_11target_archE906ELNS1_3gpuE6ELNS1_3repE0EEENS1_30default_config_static_selectorELNS0_4arch9wavefront6targetE0EEEvSL_
                                        ; -- End function
	.set _ZN7rocprim17ROCPRIM_400000_NS6detail17trampoline_kernelINS0_14default_configENS1_36segmented_radix_sort_config_selectorI6__halflEEZNS1_25segmented_radix_sort_implIS3_Lb1EPKS5_PS5_PKlPlN2at6native12_GLOBAL__N_18offset_tEEE10hipError_tPvRmT1_PNSt15iterator_traitsISL_E10value_typeET2_T3_PNSM_ISR_E10value_typeET4_jRbjT5_SX_jjP12ihipStream_tbEUlT_E2_NS1_11comp_targetILNS1_3genE2ELNS1_11target_archE906ELNS1_3gpuE6ELNS1_3repE0EEENS1_30default_config_static_selectorELNS0_4arch9wavefront6targetE0EEEvSL_.num_vgpr, 0
	.set _ZN7rocprim17ROCPRIM_400000_NS6detail17trampoline_kernelINS0_14default_configENS1_36segmented_radix_sort_config_selectorI6__halflEEZNS1_25segmented_radix_sort_implIS3_Lb1EPKS5_PS5_PKlPlN2at6native12_GLOBAL__N_18offset_tEEE10hipError_tPvRmT1_PNSt15iterator_traitsISL_E10value_typeET2_T3_PNSM_ISR_E10value_typeET4_jRbjT5_SX_jjP12ihipStream_tbEUlT_E2_NS1_11comp_targetILNS1_3genE2ELNS1_11target_archE906ELNS1_3gpuE6ELNS1_3repE0EEENS1_30default_config_static_selectorELNS0_4arch9wavefront6targetE0EEEvSL_.num_agpr, 0
	.set _ZN7rocprim17ROCPRIM_400000_NS6detail17trampoline_kernelINS0_14default_configENS1_36segmented_radix_sort_config_selectorI6__halflEEZNS1_25segmented_radix_sort_implIS3_Lb1EPKS5_PS5_PKlPlN2at6native12_GLOBAL__N_18offset_tEEE10hipError_tPvRmT1_PNSt15iterator_traitsISL_E10value_typeET2_T3_PNSM_ISR_E10value_typeET4_jRbjT5_SX_jjP12ihipStream_tbEUlT_E2_NS1_11comp_targetILNS1_3genE2ELNS1_11target_archE906ELNS1_3gpuE6ELNS1_3repE0EEENS1_30default_config_static_selectorELNS0_4arch9wavefront6targetE0EEEvSL_.numbered_sgpr, 0
	.set _ZN7rocprim17ROCPRIM_400000_NS6detail17trampoline_kernelINS0_14default_configENS1_36segmented_radix_sort_config_selectorI6__halflEEZNS1_25segmented_radix_sort_implIS3_Lb1EPKS5_PS5_PKlPlN2at6native12_GLOBAL__N_18offset_tEEE10hipError_tPvRmT1_PNSt15iterator_traitsISL_E10value_typeET2_T3_PNSM_ISR_E10value_typeET4_jRbjT5_SX_jjP12ihipStream_tbEUlT_E2_NS1_11comp_targetILNS1_3genE2ELNS1_11target_archE906ELNS1_3gpuE6ELNS1_3repE0EEENS1_30default_config_static_selectorELNS0_4arch9wavefront6targetE0EEEvSL_.num_named_barrier, 0
	.set _ZN7rocprim17ROCPRIM_400000_NS6detail17trampoline_kernelINS0_14default_configENS1_36segmented_radix_sort_config_selectorI6__halflEEZNS1_25segmented_radix_sort_implIS3_Lb1EPKS5_PS5_PKlPlN2at6native12_GLOBAL__N_18offset_tEEE10hipError_tPvRmT1_PNSt15iterator_traitsISL_E10value_typeET2_T3_PNSM_ISR_E10value_typeET4_jRbjT5_SX_jjP12ihipStream_tbEUlT_E2_NS1_11comp_targetILNS1_3genE2ELNS1_11target_archE906ELNS1_3gpuE6ELNS1_3repE0EEENS1_30default_config_static_selectorELNS0_4arch9wavefront6targetE0EEEvSL_.private_seg_size, 0
	.set _ZN7rocprim17ROCPRIM_400000_NS6detail17trampoline_kernelINS0_14default_configENS1_36segmented_radix_sort_config_selectorI6__halflEEZNS1_25segmented_radix_sort_implIS3_Lb1EPKS5_PS5_PKlPlN2at6native12_GLOBAL__N_18offset_tEEE10hipError_tPvRmT1_PNSt15iterator_traitsISL_E10value_typeET2_T3_PNSM_ISR_E10value_typeET4_jRbjT5_SX_jjP12ihipStream_tbEUlT_E2_NS1_11comp_targetILNS1_3genE2ELNS1_11target_archE906ELNS1_3gpuE6ELNS1_3repE0EEENS1_30default_config_static_selectorELNS0_4arch9wavefront6targetE0EEEvSL_.uses_vcc, 0
	.set _ZN7rocprim17ROCPRIM_400000_NS6detail17trampoline_kernelINS0_14default_configENS1_36segmented_radix_sort_config_selectorI6__halflEEZNS1_25segmented_radix_sort_implIS3_Lb1EPKS5_PS5_PKlPlN2at6native12_GLOBAL__N_18offset_tEEE10hipError_tPvRmT1_PNSt15iterator_traitsISL_E10value_typeET2_T3_PNSM_ISR_E10value_typeET4_jRbjT5_SX_jjP12ihipStream_tbEUlT_E2_NS1_11comp_targetILNS1_3genE2ELNS1_11target_archE906ELNS1_3gpuE6ELNS1_3repE0EEENS1_30default_config_static_selectorELNS0_4arch9wavefront6targetE0EEEvSL_.uses_flat_scratch, 0
	.set _ZN7rocprim17ROCPRIM_400000_NS6detail17trampoline_kernelINS0_14default_configENS1_36segmented_radix_sort_config_selectorI6__halflEEZNS1_25segmented_radix_sort_implIS3_Lb1EPKS5_PS5_PKlPlN2at6native12_GLOBAL__N_18offset_tEEE10hipError_tPvRmT1_PNSt15iterator_traitsISL_E10value_typeET2_T3_PNSM_ISR_E10value_typeET4_jRbjT5_SX_jjP12ihipStream_tbEUlT_E2_NS1_11comp_targetILNS1_3genE2ELNS1_11target_archE906ELNS1_3gpuE6ELNS1_3repE0EEENS1_30default_config_static_selectorELNS0_4arch9wavefront6targetE0EEEvSL_.has_dyn_sized_stack, 0
	.set _ZN7rocprim17ROCPRIM_400000_NS6detail17trampoline_kernelINS0_14default_configENS1_36segmented_radix_sort_config_selectorI6__halflEEZNS1_25segmented_radix_sort_implIS3_Lb1EPKS5_PS5_PKlPlN2at6native12_GLOBAL__N_18offset_tEEE10hipError_tPvRmT1_PNSt15iterator_traitsISL_E10value_typeET2_T3_PNSM_ISR_E10value_typeET4_jRbjT5_SX_jjP12ihipStream_tbEUlT_E2_NS1_11comp_targetILNS1_3genE2ELNS1_11target_archE906ELNS1_3gpuE6ELNS1_3repE0EEENS1_30default_config_static_selectorELNS0_4arch9wavefront6targetE0EEEvSL_.has_recursion, 0
	.set _ZN7rocprim17ROCPRIM_400000_NS6detail17trampoline_kernelINS0_14default_configENS1_36segmented_radix_sort_config_selectorI6__halflEEZNS1_25segmented_radix_sort_implIS3_Lb1EPKS5_PS5_PKlPlN2at6native12_GLOBAL__N_18offset_tEEE10hipError_tPvRmT1_PNSt15iterator_traitsISL_E10value_typeET2_T3_PNSM_ISR_E10value_typeET4_jRbjT5_SX_jjP12ihipStream_tbEUlT_E2_NS1_11comp_targetILNS1_3genE2ELNS1_11target_archE906ELNS1_3gpuE6ELNS1_3repE0EEENS1_30default_config_static_selectorELNS0_4arch9wavefront6targetE0EEEvSL_.has_indirect_call, 0
	.section	.AMDGPU.csdata,"",@progbits
; Kernel info:
; codeLenInByte = 0
; TotalNumSgprs: 0
; NumVgprs: 0
; ScratchSize: 0
; MemoryBound: 0
; FloatMode: 240
; IeeeMode: 1
; LDSByteSize: 0 bytes/workgroup (compile time only)
; SGPRBlocks: 0
; VGPRBlocks: 0
; NumSGPRsForWavesPerEU: 1
; NumVGPRsForWavesPerEU: 1
; Occupancy: 16
; WaveLimiterHint : 0
; COMPUTE_PGM_RSRC2:SCRATCH_EN: 0
; COMPUTE_PGM_RSRC2:USER_SGPR: 6
; COMPUTE_PGM_RSRC2:TRAP_HANDLER: 0
; COMPUTE_PGM_RSRC2:TGID_X_EN: 1
; COMPUTE_PGM_RSRC2:TGID_Y_EN: 0
; COMPUTE_PGM_RSRC2:TGID_Z_EN: 0
; COMPUTE_PGM_RSRC2:TIDIG_COMP_CNT: 0
	.section	.text._ZN7rocprim17ROCPRIM_400000_NS6detail17trampoline_kernelINS0_14default_configENS1_36segmented_radix_sort_config_selectorI6__halflEEZNS1_25segmented_radix_sort_implIS3_Lb1EPKS5_PS5_PKlPlN2at6native12_GLOBAL__N_18offset_tEEE10hipError_tPvRmT1_PNSt15iterator_traitsISL_E10value_typeET2_T3_PNSM_ISR_E10value_typeET4_jRbjT5_SX_jjP12ihipStream_tbEUlT_E2_NS1_11comp_targetILNS1_3genE10ELNS1_11target_archE1201ELNS1_3gpuE5ELNS1_3repE0EEENS1_30default_config_static_selectorELNS0_4arch9wavefront6targetE0EEEvSL_,"axG",@progbits,_ZN7rocprim17ROCPRIM_400000_NS6detail17trampoline_kernelINS0_14default_configENS1_36segmented_radix_sort_config_selectorI6__halflEEZNS1_25segmented_radix_sort_implIS3_Lb1EPKS5_PS5_PKlPlN2at6native12_GLOBAL__N_18offset_tEEE10hipError_tPvRmT1_PNSt15iterator_traitsISL_E10value_typeET2_T3_PNSM_ISR_E10value_typeET4_jRbjT5_SX_jjP12ihipStream_tbEUlT_E2_NS1_11comp_targetILNS1_3genE10ELNS1_11target_archE1201ELNS1_3gpuE5ELNS1_3repE0EEENS1_30default_config_static_selectorELNS0_4arch9wavefront6targetE0EEEvSL_,comdat
	.globl	_ZN7rocprim17ROCPRIM_400000_NS6detail17trampoline_kernelINS0_14default_configENS1_36segmented_radix_sort_config_selectorI6__halflEEZNS1_25segmented_radix_sort_implIS3_Lb1EPKS5_PS5_PKlPlN2at6native12_GLOBAL__N_18offset_tEEE10hipError_tPvRmT1_PNSt15iterator_traitsISL_E10value_typeET2_T3_PNSM_ISR_E10value_typeET4_jRbjT5_SX_jjP12ihipStream_tbEUlT_E2_NS1_11comp_targetILNS1_3genE10ELNS1_11target_archE1201ELNS1_3gpuE5ELNS1_3repE0EEENS1_30default_config_static_selectorELNS0_4arch9wavefront6targetE0EEEvSL_ ; -- Begin function _ZN7rocprim17ROCPRIM_400000_NS6detail17trampoline_kernelINS0_14default_configENS1_36segmented_radix_sort_config_selectorI6__halflEEZNS1_25segmented_radix_sort_implIS3_Lb1EPKS5_PS5_PKlPlN2at6native12_GLOBAL__N_18offset_tEEE10hipError_tPvRmT1_PNSt15iterator_traitsISL_E10value_typeET2_T3_PNSM_ISR_E10value_typeET4_jRbjT5_SX_jjP12ihipStream_tbEUlT_E2_NS1_11comp_targetILNS1_3genE10ELNS1_11target_archE1201ELNS1_3gpuE5ELNS1_3repE0EEENS1_30default_config_static_selectorELNS0_4arch9wavefront6targetE0EEEvSL_
	.p2align	8
	.type	_ZN7rocprim17ROCPRIM_400000_NS6detail17trampoline_kernelINS0_14default_configENS1_36segmented_radix_sort_config_selectorI6__halflEEZNS1_25segmented_radix_sort_implIS3_Lb1EPKS5_PS5_PKlPlN2at6native12_GLOBAL__N_18offset_tEEE10hipError_tPvRmT1_PNSt15iterator_traitsISL_E10value_typeET2_T3_PNSM_ISR_E10value_typeET4_jRbjT5_SX_jjP12ihipStream_tbEUlT_E2_NS1_11comp_targetILNS1_3genE10ELNS1_11target_archE1201ELNS1_3gpuE5ELNS1_3repE0EEENS1_30default_config_static_selectorELNS0_4arch9wavefront6targetE0EEEvSL_,@function
_ZN7rocprim17ROCPRIM_400000_NS6detail17trampoline_kernelINS0_14default_configENS1_36segmented_radix_sort_config_selectorI6__halflEEZNS1_25segmented_radix_sort_implIS3_Lb1EPKS5_PS5_PKlPlN2at6native12_GLOBAL__N_18offset_tEEE10hipError_tPvRmT1_PNSt15iterator_traitsISL_E10value_typeET2_T3_PNSM_ISR_E10value_typeET4_jRbjT5_SX_jjP12ihipStream_tbEUlT_E2_NS1_11comp_targetILNS1_3genE10ELNS1_11target_archE1201ELNS1_3gpuE5ELNS1_3repE0EEENS1_30default_config_static_selectorELNS0_4arch9wavefront6targetE0EEEvSL_: ; @_ZN7rocprim17ROCPRIM_400000_NS6detail17trampoline_kernelINS0_14default_configENS1_36segmented_radix_sort_config_selectorI6__halflEEZNS1_25segmented_radix_sort_implIS3_Lb1EPKS5_PS5_PKlPlN2at6native12_GLOBAL__N_18offset_tEEE10hipError_tPvRmT1_PNSt15iterator_traitsISL_E10value_typeET2_T3_PNSM_ISR_E10value_typeET4_jRbjT5_SX_jjP12ihipStream_tbEUlT_E2_NS1_11comp_targetILNS1_3genE10ELNS1_11target_archE1201ELNS1_3gpuE5ELNS1_3repE0EEENS1_30default_config_static_selectorELNS0_4arch9wavefront6targetE0EEEvSL_
; %bb.0:
	.section	.rodata,"a",@progbits
	.p2align	6, 0x0
	.amdhsa_kernel _ZN7rocprim17ROCPRIM_400000_NS6detail17trampoline_kernelINS0_14default_configENS1_36segmented_radix_sort_config_selectorI6__halflEEZNS1_25segmented_radix_sort_implIS3_Lb1EPKS5_PS5_PKlPlN2at6native12_GLOBAL__N_18offset_tEEE10hipError_tPvRmT1_PNSt15iterator_traitsISL_E10value_typeET2_T3_PNSM_ISR_E10value_typeET4_jRbjT5_SX_jjP12ihipStream_tbEUlT_E2_NS1_11comp_targetILNS1_3genE10ELNS1_11target_archE1201ELNS1_3gpuE5ELNS1_3repE0EEENS1_30default_config_static_selectorELNS0_4arch9wavefront6targetE0EEEvSL_
		.amdhsa_group_segment_fixed_size 0
		.amdhsa_private_segment_fixed_size 0
		.amdhsa_kernarg_size 80
		.amdhsa_user_sgpr_count 6
		.amdhsa_user_sgpr_private_segment_buffer 1
		.amdhsa_user_sgpr_dispatch_ptr 0
		.amdhsa_user_sgpr_queue_ptr 0
		.amdhsa_user_sgpr_kernarg_segment_ptr 1
		.amdhsa_user_sgpr_dispatch_id 0
		.amdhsa_user_sgpr_flat_scratch_init 0
		.amdhsa_user_sgpr_private_segment_size 0
		.amdhsa_wavefront_size32 1
		.amdhsa_uses_dynamic_stack 0
		.amdhsa_system_sgpr_private_segment_wavefront_offset 0
		.amdhsa_system_sgpr_workgroup_id_x 1
		.amdhsa_system_sgpr_workgroup_id_y 0
		.amdhsa_system_sgpr_workgroup_id_z 0
		.amdhsa_system_sgpr_workgroup_info 0
		.amdhsa_system_vgpr_workitem_id 0
		.amdhsa_next_free_vgpr 1
		.amdhsa_next_free_sgpr 1
		.amdhsa_reserve_vcc 0
		.amdhsa_reserve_flat_scratch 0
		.amdhsa_float_round_mode_32 0
		.amdhsa_float_round_mode_16_64 0
		.amdhsa_float_denorm_mode_32 3
		.amdhsa_float_denorm_mode_16_64 3
		.amdhsa_dx10_clamp 1
		.amdhsa_ieee_mode 1
		.amdhsa_fp16_overflow 0
		.amdhsa_workgroup_processor_mode 1
		.amdhsa_memory_ordered 1
		.amdhsa_forward_progress 1
		.amdhsa_shared_vgpr_count 0
		.amdhsa_exception_fp_ieee_invalid_op 0
		.amdhsa_exception_fp_denorm_src 0
		.amdhsa_exception_fp_ieee_div_zero 0
		.amdhsa_exception_fp_ieee_overflow 0
		.amdhsa_exception_fp_ieee_underflow 0
		.amdhsa_exception_fp_ieee_inexact 0
		.amdhsa_exception_int_div_zero 0
	.end_amdhsa_kernel
	.section	.text._ZN7rocprim17ROCPRIM_400000_NS6detail17trampoline_kernelINS0_14default_configENS1_36segmented_radix_sort_config_selectorI6__halflEEZNS1_25segmented_radix_sort_implIS3_Lb1EPKS5_PS5_PKlPlN2at6native12_GLOBAL__N_18offset_tEEE10hipError_tPvRmT1_PNSt15iterator_traitsISL_E10value_typeET2_T3_PNSM_ISR_E10value_typeET4_jRbjT5_SX_jjP12ihipStream_tbEUlT_E2_NS1_11comp_targetILNS1_3genE10ELNS1_11target_archE1201ELNS1_3gpuE5ELNS1_3repE0EEENS1_30default_config_static_selectorELNS0_4arch9wavefront6targetE0EEEvSL_,"axG",@progbits,_ZN7rocprim17ROCPRIM_400000_NS6detail17trampoline_kernelINS0_14default_configENS1_36segmented_radix_sort_config_selectorI6__halflEEZNS1_25segmented_radix_sort_implIS3_Lb1EPKS5_PS5_PKlPlN2at6native12_GLOBAL__N_18offset_tEEE10hipError_tPvRmT1_PNSt15iterator_traitsISL_E10value_typeET2_T3_PNSM_ISR_E10value_typeET4_jRbjT5_SX_jjP12ihipStream_tbEUlT_E2_NS1_11comp_targetILNS1_3genE10ELNS1_11target_archE1201ELNS1_3gpuE5ELNS1_3repE0EEENS1_30default_config_static_selectorELNS0_4arch9wavefront6targetE0EEEvSL_,comdat
.Lfunc_end1764:
	.size	_ZN7rocprim17ROCPRIM_400000_NS6detail17trampoline_kernelINS0_14default_configENS1_36segmented_radix_sort_config_selectorI6__halflEEZNS1_25segmented_radix_sort_implIS3_Lb1EPKS5_PS5_PKlPlN2at6native12_GLOBAL__N_18offset_tEEE10hipError_tPvRmT1_PNSt15iterator_traitsISL_E10value_typeET2_T3_PNSM_ISR_E10value_typeET4_jRbjT5_SX_jjP12ihipStream_tbEUlT_E2_NS1_11comp_targetILNS1_3genE10ELNS1_11target_archE1201ELNS1_3gpuE5ELNS1_3repE0EEENS1_30default_config_static_selectorELNS0_4arch9wavefront6targetE0EEEvSL_, .Lfunc_end1764-_ZN7rocprim17ROCPRIM_400000_NS6detail17trampoline_kernelINS0_14default_configENS1_36segmented_radix_sort_config_selectorI6__halflEEZNS1_25segmented_radix_sort_implIS3_Lb1EPKS5_PS5_PKlPlN2at6native12_GLOBAL__N_18offset_tEEE10hipError_tPvRmT1_PNSt15iterator_traitsISL_E10value_typeET2_T3_PNSM_ISR_E10value_typeET4_jRbjT5_SX_jjP12ihipStream_tbEUlT_E2_NS1_11comp_targetILNS1_3genE10ELNS1_11target_archE1201ELNS1_3gpuE5ELNS1_3repE0EEENS1_30default_config_static_selectorELNS0_4arch9wavefront6targetE0EEEvSL_
                                        ; -- End function
	.set _ZN7rocprim17ROCPRIM_400000_NS6detail17trampoline_kernelINS0_14default_configENS1_36segmented_radix_sort_config_selectorI6__halflEEZNS1_25segmented_radix_sort_implIS3_Lb1EPKS5_PS5_PKlPlN2at6native12_GLOBAL__N_18offset_tEEE10hipError_tPvRmT1_PNSt15iterator_traitsISL_E10value_typeET2_T3_PNSM_ISR_E10value_typeET4_jRbjT5_SX_jjP12ihipStream_tbEUlT_E2_NS1_11comp_targetILNS1_3genE10ELNS1_11target_archE1201ELNS1_3gpuE5ELNS1_3repE0EEENS1_30default_config_static_selectorELNS0_4arch9wavefront6targetE0EEEvSL_.num_vgpr, 0
	.set _ZN7rocprim17ROCPRIM_400000_NS6detail17trampoline_kernelINS0_14default_configENS1_36segmented_radix_sort_config_selectorI6__halflEEZNS1_25segmented_radix_sort_implIS3_Lb1EPKS5_PS5_PKlPlN2at6native12_GLOBAL__N_18offset_tEEE10hipError_tPvRmT1_PNSt15iterator_traitsISL_E10value_typeET2_T3_PNSM_ISR_E10value_typeET4_jRbjT5_SX_jjP12ihipStream_tbEUlT_E2_NS1_11comp_targetILNS1_3genE10ELNS1_11target_archE1201ELNS1_3gpuE5ELNS1_3repE0EEENS1_30default_config_static_selectorELNS0_4arch9wavefront6targetE0EEEvSL_.num_agpr, 0
	.set _ZN7rocprim17ROCPRIM_400000_NS6detail17trampoline_kernelINS0_14default_configENS1_36segmented_radix_sort_config_selectorI6__halflEEZNS1_25segmented_radix_sort_implIS3_Lb1EPKS5_PS5_PKlPlN2at6native12_GLOBAL__N_18offset_tEEE10hipError_tPvRmT1_PNSt15iterator_traitsISL_E10value_typeET2_T3_PNSM_ISR_E10value_typeET4_jRbjT5_SX_jjP12ihipStream_tbEUlT_E2_NS1_11comp_targetILNS1_3genE10ELNS1_11target_archE1201ELNS1_3gpuE5ELNS1_3repE0EEENS1_30default_config_static_selectorELNS0_4arch9wavefront6targetE0EEEvSL_.numbered_sgpr, 0
	.set _ZN7rocprim17ROCPRIM_400000_NS6detail17trampoline_kernelINS0_14default_configENS1_36segmented_radix_sort_config_selectorI6__halflEEZNS1_25segmented_radix_sort_implIS3_Lb1EPKS5_PS5_PKlPlN2at6native12_GLOBAL__N_18offset_tEEE10hipError_tPvRmT1_PNSt15iterator_traitsISL_E10value_typeET2_T3_PNSM_ISR_E10value_typeET4_jRbjT5_SX_jjP12ihipStream_tbEUlT_E2_NS1_11comp_targetILNS1_3genE10ELNS1_11target_archE1201ELNS1_3gpuE5ELNS1_3repE0EEENS1_30default_config_static_selectorELNS0_4arch9wavefront6targetE0EEEvSL_.num_named_barrier, 0
	.set _ZN7rocprim17ROCPRIM_400000_NS6detail17trampoline_kernelINS0_14default_configENS1_36segmented_radix_sort_config_selectorI6__halflEEZNS1_25segmented_radix_sort_implIS3_Lb1EPKS5_PS5_PKlPlN2at6native12_GLOBAL__N_18offset_tEEE10hipError_tPvRmT1_PNSt15iterator_traitsISL_E10value_typeET2_T3_PNSM_ISR_E10value_typeET4_jRbjT5_SX_jjP12ihipStream_tbEUlT_E2_NS1_11comp_targetILNS1_3genE10ELNS1_11target_archE1201ELNS1_3gpuE5ELNS1_3repE0EEENS1_30default_config_static_selectorELNS0_4arch9wavefront6targetE0EEEvSL_.private_seg_size, 0
	.set _ZN7rocprim17ROCPRIM_400000_NS6detail17trampoline_kernelINS0_14default_configENS1_36segmented_radix_sort_config_selectorI6__halflEEZNS1_25segmented_radix_sort_implIS3_Lb1EPKS5_PS5_PKlPlN2at6native12_GLOBAL__N_18offset_tEEE10hipError_tPvRmT1_PNSt15iterator_traitsISL_E10value_typeET2_T3_PNSM_ISR_E10value_typeET4_jRbjT5_SX_jjP12ihipStream_tbEUlT_E2_NS1_11comp_targetILNS1_3genE10ELNS1_11target_archE1201ELNS1_3gpuE5ELNS1_3repE0EEENS1_30default_config_static_selectorELNS0_4arch9wavefront6targetE0EEEvSL_.uses_vcc, 0
	.set _ZN7rocprim17ROCPRIM_400000_NS6detail17trampoline_kernelINS0_14default_configENS1_36segmented_radix_sort_config_selectorI6__halflEEZNS1_25segmented_radix_sort_implIS3_Lb1EPKS5_PS5_PKlPlN2at6native12_GLOBAL__N_18offset_tEEE10hipError_tPvRmT1_PNSt15iterator_traitsISL_E10value_typeET2_T3_PNSM_ISR_E10value_typeET4_jRbjT5_SX_jjP12ihipStream_tbEUlT_E2_NS1_11comp_targetILNS1_3genE10ELNS1_11target_archE1201ELNS1_3gpuE5ELNS1_3repE0EEENS1_30default_config_static_selectorELNS0_4arch9wavefront6targetE0EEEvSL_.uses_flat_scratch, 0
	.set _ZN7rocprim17ROCPRIM_400000_NS6detail17trampoline_kernelINS0_14default_configENS1_36segmented_radix_sort_config_selectorI6__halflEEZNS1_25segmented_radix_sort_implIS3_Lb1EPKS5_PS5_PKlPlN2at6native12_GLOBAL__N_18offset_tEEE10hipError_tPvRmT1_PNSt15iterator_traitsISL_E10value_typeET2_T3_PNSM_ISR_E10value_typeET4_jRbjT5_SX_jjP12ihipStream_tbEUlT_E2_NS1_11comp_targetILNS1_3genE10ELNS1_11target_archE1201ELNS1_3gpuE5ELNS1_3repE0EEENS1_30default_config_static_selectorELNS0_4arch9wavefront6targetE0EEEvSL_.has_dyn_sized_stack, 0
	.set _ZN7rocprim17ROCPRIM_400000_NS6detail17trampoline_kernelINS0_14default_configENS1_36segmented_radix_sort_config_selectorI6__halflEEZNS1_25segmented_radix_sort_implIS3_Lb1EPKS5_PS5_PKlPlN2at6native12_GLOBAL__N_18offset_tEEE10hipError_tPvRmT1_PNSt15iterator_traitsISL_E10value_typeET2_T3_PNSM_ISR_E10value_typeET4_jRbjT5_SX_jjP12ihipStream_tbEUlT_E2_NS1_11comp_targetILNS1_3genE10ELNS1_11target_archE1201ELNS1_3gpuE5ELNS1_3repE0EEENS1_30default_config_static_selectorELNS0_4arch9wavefront6targetE0EEEvSL_.has_recursion, 0
	.set _ZN7rocprim17ROCPRIM_400000_NS6detail17trampoline_kernelINS0_14default_configENS1_36segmented_radix_sort_config_selectorI6__halflEEZNS1_25segmented_radix_sort_implIS3_Lb1EPKS5_PS5_PKlPlN2at6native12_GLOBAL__N_18offset_tEEE10hipError_tPvRmT1_PNSt15iterator_traitsISL_E10value_typeET2_T3_PNSM_ISR_E10value_typeET4_jRbjT5_SX_jjP12ihipStream_tbEUlT_E2_NS1_11comp_targetILNS1_3genE10ELNS1_11target_archE1201ELNS1_3gpuE5ELNS1_3repE0EEENS1_30default_config_static_selectorELNS0_4arch9wavefront6targetE0EEEvSL_.has_indirect_call, 0
	.section	.AMDGPU.csdata,"",@progbits
; Kernel info:
; codeLenInByte = 0
; TotalNumSgprs: 0
; NumVgprs: 0
; ScratchSize: 0
; MemoryBound: 0
; FloatMode: 240
; IeeeMode: 1
; LDSByteSize: 0 bytes/workgroup (compile time only)
; SGPRBlocks: 0
; VGPRBlocks: 0
; NumSGPRsForWavesPerEU: 1
; NumVGPRsForWavesPerEU: 1
; Occupancy: 16
; WaveLimiterHint : 0
; COMPUTE_PGM_RSRC2:SCRATCH_EN: 0
; COMPUTE_PGM_RSRC2:USER_SGPR: 6
; COMPUTE_PGM_RSRC2:TRAP_HANDLER: 0
; COMPUTE_PGM_RSRC2:TGID_X_EN: 1
; COMPUTE_PGM_RSRC2:TGID_Y_EN: 0
; COMPUTE_PGM_RSRC2:TGID_Z_EN: 0
; COMPUTE_PGM_RSRC2:TIDIG_COMP_CNT: 0
	.section	.text._ZN7rocprim17ROCPRIM_400000_NS6detail17trampoline_kernelINS0_14default_configENS1_36segmented_radix_sort_config_selectorI6__halflEEZNS1_25segmented_radix_sort_implIS3_Lb1EPKS5_PS5_PKlPlN2at6native12_GLOBAL__N_18offset_tEEE10hipError_tPvRmT1_PNSt15iterator_traitsISL_E10value_typeET2_T3_PNSM_ISR_E10value_typeET4_jRbjT5_SX_jjP12ihipStream_tbEUlT_E2_NS1_11comp_targetILNS1_3genE10ELNS1_11target_archE1200ELNS1_3gpuE4ELNS1_3repE0EEENS1_30default_config_static_selectorELNS0_4arch9wavefront6targetE0EEEvSL_,"axG",@progbits,_ZN7rocprim17ROCPRIM_400000_NS6detail17trampoline_kernelINS0_14default_configENS1_36segmented_radix_sort_config_selectorI6__halflEEZNS1_25segmented_radix_sort_implIS3_Lb1EPKS5_PS5_PKlPlN2at6native12_GLOBAL__N_18offset_tEEE10hipError_tPvRmT1_PNSt15iterator_traitsISL_E10value_typeET2_T3_PNSM_ISR_E10value_typeET4_jRbjT5_SX_jjP12ihipStream_tbEUlT_E2_NS1_11comp_targetILNS1_3genE10ELNS1_11target_archE1200ELNS1_3gpuE4ELNS1_3repE0EEENS1_30default_config_static_selectorELNS0_4arch9wavefront6targetE0EEEvSL_,comdat
	.globl	_ZN7rocprim17ROCPRIM_400000_NS6detail17trampoline_kernelINS0_14default_configENS1_36segmented_radix_sort_config_selectorI6__halflEEZNS1_25segmented_radix_sort_implIS3_Lb1EPKS5_PS5_PKlPlN2at6native12_GLOBAL__N_18offset_tEEE10hipError_tPvRmT1_PNSt15iterator_traitsISL_E10value_typeET2_T3_PNSM_ISR_E10value_typeET4_jRbjT5_SX_jjP12ihipStream_tbEUlT_E2_NS1_11comp_targetILNS1_3genE10ELNS1_11target_archE1200ELNS1_3gpuE4ELNS1_3repE0EEENS1_30default_config_static_selectorELNS0_4arch9wavefront6targetE0EEEvSL_ ; -- Begin function _ZN7rocprim17ROCPRIM_400000_NS6detail17trampoline_kernelINS0_14default_configENS1_36segmented_radix_sort_config_selectorI6__halflEEZNS1_25segmented_radix_sort_implIS3_Lb1EPKS5_PS5_PKlPlN2at6native12_GLOBAL__N_18offset_tEEE10hipError_tPvRmT1_PNSt15iterator_traitsISL_E10value_typeET2_T3_PNSM_ISR_E10value_typeET4_jRbjT5_SX_jjP12ihipStream_tbEUlT_E2_NS1_11comp_targetILNS1_3genE10ELNS1_11target_archE1200ELNS1_3gpuE4ELNS1_3repE0EEENS1_30default_config_static_selectorELNS0_4arch9wavefront6targetE0EEEvSL_
	.p2align	8
	.type	_ZN7rocprim17ROCPRIM_400000_NS6detail17trampoline_kernelINS0_14default_configENS1_36segmented_radix_sort_config_selectorI6__halflEEZNS1_25segmented_radix_sort_implIS3_Lb1EPKS5_PS5_PKlPlN2at6native12_GLOBAL__N_18offset_tEEE10hipError_tPvRmT1_PNSt15iterator_traitsISL_E10value_typeET2_T3_PNSM_ISR_E10value_typeET4_jRbjT5_SX_jjP12ihipStream_tbEUlT_E2_NS1_11comp_targetILNS1_3genE10ELNS1_11target_archE1200ELNS1_3gpuE4ELNS1_3repE0EEENS1_30default_config_static_selectorELNS0_4arch9wavefront6targetE0EEEvSL_,@function
_ZN7rocprim17ROCPRIM_400000_NS6detail17trampoline_kernelINS0_14default_configENS1_36segmented_radix_sort_config_selectorI6__halflEEZNS1_25segmented_radix_sort_implIS3_Lb1EPKS5_PS5_PKlPlN2at6native12_GLOBAL__N_18offset_tEEE10hipError_tPvRmT1_PNSt15iterator_traitsISL_E10value_typeET2_T3_PNSM_ISR_E10value_typeET4_jRbjT5_SX_jjP12ihipStream_tbEUlT_E2_NS1_11comp_targetILNS1_3genE10ELNS1_11target_archE1200ELNS1_3gpuE4ELNS1_3repE0EEENS1_30default_config_static_selectorELNS0_4arch9wavefront6targetE0EEEvSL_: ; @_ZN7rocprim17ROCPRIM_400000_NS6detail17trampoline_kernelINS0_14default_configENS1_36segmented_radix_sort_config_selectorI6__halflEEZNS1_25segmented_radix_sort_implIS3_Lb1EPKS5_PS5_PKlPlN2at6native12_GLOBAL__N_18offset_tEEE10hipError_tPvRmT1_PNSt15iterator_traitsISL_E10value_typeET2_T3_PNSM_ISR_E10value_typeET4_jRbjT5_SX_jjP12ihipStream_tbEUlT_E2_NS1_11comp_targetILNS1_3genE10ELNS1_11target_archE1200ELNS1_3gpuE4ELNS1_3repE0EEENS1_30default_config_static_selectorELNS0_4arch9wavefront6targetE0EEEvSL_
; %bb.0:
	.section	.rodata,"a",@progbits
	.p2align	6, 0x0
	.amdhsa_kernel _ZN7rocprim17ROCPRIM_400000_NS6detail17trampoline_kernelINS0_14default_configENS1_36segmented_radix_sort_config_selectorI6__halflEEZNS1_25segmented_radix_sort_implIS3_Lb1EPKS5_PS5_PKlPlN2at6native12_GLOBAL__N_18offset_tEEE10hipError_tPvRmT1_PNSt15iterator_traitsISL_E10value_typeET2_T3_PNSM_ISR_E10value_typeET4_jRbjT5_SX_jjP12ihipStream_tbEUlT_E2_NS1_11comp_targetILNS1_3genE10ELNS1_11target_archE1200ELNS1_3gpuE4ELNS1_3repE0EEENS1_30default_config_static_selectorELNS0_4arch9wavefront6targetE0EEEvSL_
		.amdhsa_group_segment_fixed_size 0
		.amdhsa_private_segment_fixed_size 0
		.amdhsa_kernarg_size 80
		.amdhsa_user_sgpr_count 6
		.amdhsa_user_sgpr_private_segment_buffer 1
		.amdhsa_user_sgpr_dispatch_ptr 0
		.amdhsa_user_sgpr_queue_ptr 0
		.amdhsa_user_sgpr_kernarg_segment_ptr 1
		.amdhsa_user_sgpr_dispatch_id 0
		.amdhsa_user_sgpr_flat_scratch_init 0
		.amdhsa_user_sgpr_private_segment_size 0
		.amdhsa_wavefront_size32 1
		.amdhsa_uses_dynamic_stack 0
		.amdhsa_system_sgpr_private_segment_wavefront_offset 0
		.amdhsa_system_sgpr_workgroup_id_x 1
		.amdhsa_system_sgpr_workgroup_id_y 0
		.amdhsa_system_sgpr_workgroup_id_z 0
		.amdhsa_system_sgpr_workgroup_info 0
		.amdhsa_system_vgpr_workitem_id 0
		.amdhsa_next_free_vgpr 1
		.amdhsa_next_free_sgpr 1
		.amdhsa_reserve_vcc 0
		.amdhsa_reserve_flat_scratch 0
		.amdhsa_float_round_mode_32 0
		.amdhsa_float_round_mode_16_64 0
		.amdhsa_float_denorm_mode_32 3
		.amdhsa_float_denorm_mode_16_64 3
		.amdhsa_dx10_clamp 1
		.amdhsa_ieee_mode 1
		.amdhsa_fp16_overflow 0
		.amdhsa_workgroup_processor_mode 1
		.amdhsa_memory_ordered 1
		.amdhsa_forward_progress 1
		.amdhsa_shared_vgpr_count 0
		.amdhsa_exception_fp_ieee_invalid_op 0
		.amdhsa_exception_fp_denorm_src 0
		.amdhsa_exception_fp_ieee_div_zero 0
		.amdhsa_exception_fp_ieee_overflow 0
		.amdhsa_exception_fp_ieee_underflow 0
		.amdhsa_exception_fp_ieee_inexact 0
		.amdhsa_exception_int_div_zero 0
	.end_amdhsa_kernel
	.section	.text._ZN7rocprim17ROCPRIM_400000_NS6detail17trampoline_kernelINS0_14default_configENS1_36segmented_radix_sort_config_selectorI6__halflEEZNS1_25segmented_radix_sort_implIS3_Lb1EPKS5_PS5_PKlPlN2at6native12_GLOBAL__N_18offset_tEEE10hipError_tPvRmT1_PNSt15iterator_traitsISL_E10value_typeET2_T3_PNSM_ISR_E10value_typeET4_jRbjT5_SX_jjP12ihipStream_tbEUlT_E2_NS1_11comp_targetILNS1_3genE10ELNS1_11target_archE1200ELNS1_3gpuE4ELNS1_3repE0EEENS1_30default_config_static_selectorELNS0_4arch9wavefront6targetE0EEEvSL_,"axG",@progbits,_ZN7rocprim17ROCPRIM_400000_NS6detail17trampoline_kernelINS0_14default_configENS1_36segmented_radix_sort_config_selectorI6__halflEEZNS1_25segmented_radix_sort_implIS3_Lb1EPKS5_PS5_PKlPlN2at6native12_GLOBAL__N_18offset_tEEE10hipError_tPvRmT1_PNSt15iterator_traitsISL_E10value_typeET2_T3_PNSM_ISR_E10value_typeET4_jRbjT5_SX_jjP12ihipStream_tbEUlT_E2_NS1_11comp_targetILNS1_3genE10ELNS1_11target_archE1200ELNS1_3gpuE4ELNS1_3repE0EEENS1_30default_config_static_selectorELNS0_4arch9wavefront6targetE0EEEvSL_,comdat
.Lfunc_end1765:
	.size	_ZN7rocprim17ROCPRIM_400000_NS6detail17trampoline_kernelINS0_14default_configENS1_36segmented_radix_sort_config_selectorI6__halflEEZNS1_25segmented_radix_sort_implIS3_Lb1EPKS5_PS5_PKlPlN2at6native12_GLOBAL__N_18offset_tEEE10hipError_tPvRmT1_PNSt15iterator_traitsISL_E10value_typeET2_T3_PNSM_ISR_E10value_typeET4_jRbjT5_SX_jjP12ihipStream_tbEUlT_E2_NS1_11comp_targetILNS1_3genE10ELNS1_11target_archE1200ELNS1_3gpuE4ELNS1_3repE0EEENS1_30default_config_static_selectorELNS0_4arch9wavefront6targetE0EEEvSL_, .Lfunc_end1765-_ZN7rocprim17ROCPRIM_400000_NS6detail17trampoline_kernelINS0_14default_configENS1_36segmented_radix_sort_config_selectorI6__halflEEZNS1_25segmented_radix_sort_implIS3_Lb1EPKS5_PS5_PKlPlN2at6native12_GLOBAL__N_18offset_tEEE10hipError_tPvRmT1_PNSt15iterator_traitsISL_E10value_typeET2_T3_PNSM_ISR_E10value_typeET4_jRbjT5_SX_jjP12ihipStream_tbEUlT_E2_NS1_11comp_targetILNS1_3genE10ELNS1_11target_archE1200ELNS1_3gpuE4ELNS1_3repE0EEENS1_30default_config_static_selectorELNS0_4arch9wavefront6targetE0EEEvSL_
                                        ; -- End function
	.set _ZN7rocprim17ROCPRIM_400000_NS6detail17trampoline_kernelINS0_14default_configENS1_36segmented_radix_sort_config_selectorI6__halflEEZNS1_25segmented_radix_sort_implIS3_Lb1EPKS5_PS5_PKlPlN2at6native12_GLOBAL__N_18offset_tEEE10hipError_tPvRmT1_PNSt15iterator_traitsISL_E10value_typeET2_T3_PNSM_ISR_E10value_typeET4_jRbjT5_SX_jjP12ihipStream_tbEUlT_E2_NS1_11comp_targetILNS1_3genE10ELNS1_11target_archE1200ELNS1_3gpuE4ELNS1_3repE0EEENS1_30default_config_static_selectorELNS0_4arch9wavefront6targetE0EEEvSL_.num_vgpr, 0
	.set _ZN7rocprim17ROCPRIM_400000_NS6detail17trampoline_kernelINS0_14default_configENS1_36segmented_radix_sort_config_selectorI6__halflEEZNS1_25segmented_radix_sort_implIS3_Lb1EPKS5_PS5_PKlPlN2at6native12_GLOBAL__N_18offset_tEEE10hipError_tPvRmT1_PNSt15iterator_traitsISL_E10value_typeET2_T3_PNSM_ISR_E10value_typeET4_jRbjT5_SX_jjP12ihipStream_tbEUlT_E2_NS1_11comp_targetILNS1_3genE10ELNS1_11target_archE1200ELNS1_3gpuE4ELNS1_3repE0EEENS1_30default_config_static_selectorELNS0_4arch9wavefront6targetE0EEEvSL_.num_agpr, 0
	.set _ZN7rocprim17ROCPRIM_400000_NS6detail17trampoline_kernelINS0_14default_configENS1_36segmented_radix_sort_config_selectorI6__halflEEZNS1_25segmented_radix_sort_implIS3_Lb1EPKS5_PS5_PKlPlN2at6native12_GLOBAL__N_18offset_tEEE10hipError_tPvRmT1_PNSt15iterator_traitsISL_E10value_typeET2_T3_PNSM_ISR_E10value_typeET4_jRbjT5_SX_jjP12ihipStream_tbEUlT_E2_NS1_11comp_targetILNS1_3genE10ELNS1_11target_archE1200ELNS1_3gpuE4ELNS1_3repE0EEENS1_30default_config_static_selectorELNS0_4arch9wavefront6targetE0EEEvSL_.numbered_sgpr, 0
	.set _ZN7rocprim17ROCPRIM_400000_NS6detail17trampoline_kernelINS0_14default_configENS1_36segmented_radix_sort_config_selectorI6__halflEEZNS1_25segmented_radix_sort_implIS3_Lb1EPKS5_PS5_PKlPlN2at6native12_GLOBAL__N_18offset_tEEE10hipError_tPvRmT1_PNSt15iterator_traitsISL_E10value_typeET2_T3_PNSM_ISR_E10value_typeET4_jRbjT5_SX_jjP12ihipStream_tbEUlT_E2_NS1_11comp_targetILNS1_3genE10ELNS1_11target_archE1200ELNS1_3gpuE4ELNS1_3repE0EEENS1_30default_config_static_selectorELNS0_4arch9wavefront6targetE0EEEvSL_.num_named_barrier, 0
	.set _ZN7rocprim17ROCPRIM_400000_NS6detail17trampoline_kernelINS0_14default_configENS1_36segmented_radix_sort_config_selectorI6__halflEEZNS1_25segmented_radix_sort_implIS3_Lb1EPKS5_PS5_PKlPlN2at6native12_GLOBAL__N_18offset_tEEE10hipError_tPvRmT1_PNSt15iterator_traitsISL_E10value_typeET2_T3_PNSM_ISR_E10value_typeET4_jRbjT5_SX_jjP12ihipStream_tbEUlT_E2_NS1_11comp_targetILNS1_3genE10ELNS1_11target_archE1200ELNS1_3gpuE4ELNS1_3repE0EEENS1_30default_config_static_selectorELNS0_4arch9wavefront6targetE0EEEvSL_.private_seg_size, 0
	.set _ZN7rocprim17ROCPRIM_400000_NS6detail17trampoline_kernelINS0_14default_configENS1_36segmented_radix_sort_config_selectorI6__halflEEZNS1_25segmented_radix_sort_implIS3_Lb1EPKS5_PS5_PKlPlN2at6native12_GLOBAL__N_18offset_tEEE10hipError_tPvRmT1_PNSt15iterator_traitsISL_E10value_typeET2_T3_PNSM_ISR_E10value_typeET4_jRbjT5_SX_jjP12ihipStream_tbEUlT_E2_NS1_11comp_targetILNS1_3genE10ELNS1_11target_archE1200ELNS1_3gpuE4ELNS1_3repE0EEENS1_30default_config_static_selectorELNS0_4arch9wavefront6targetE0EEEvSL_.uses_vcc, 0
	.set _ZN7rocprim17ROCPRIM_400000_NS6detail17trampoline_kernelINS0_14default_configENS1_36segmented_radix_sort_config_selectorI6__halflEEZNS1_25segmented_radix_sort_implIS3_Lb1EPKS5_PS5_PKlPlN2at6native12_GLOBAL__N_18offset_tEEE10hipError_tPvRmT1_PNSt15iterator_traitsISL_E10value_typeET2_T3_PNSM_ISR_E10value_typeET4_jRbjT5_SX_jjP12ihipStream_tbEUlT_E2_NS1_11comp_targetILNS1_3genE10ELNS1_11target_archE1200ELNS1_3gpuE4ELNS1_3repE0EEENS1_30default_config_static_selectorELNS0_4arch9wavefront6targetE0EEEvSL_.uses_flat_scratch, 0
	.set _ZN7rocprim17ROCPRIM_400000_NS6detail17trampoline_kernelINS0_14default_configENS1_36segmented_radix_sort_config_selectorI6__halflEEZNS1_25segmented_radix_sort_implIS3_Lb1EPKS5_PS5_PKlPlN2at6native12_GLOBAL__N_18offset_tEEE10hipError_tPvRmT1_PNSt15iterator_traitsISL_E10value_typeET2_T3_PNSM_ISR_E10value_typeET4_jRbjT5_SX_jjP12ihipStream_tbEUlT_E2_NS1_11comp_targetILNS1_3genE10ELNS1_11target_archE1200ELNS1_3gpuE4ELNS1_3repE0EEENS1_30default_config_static_selectorELNS0_4arch9wavefront6targetE0EEEvSL_.has_dyn_sized_stack, 0
	.set _ZN7rocprim17ROCPRIM_400000_NS6detail17trampoline_kernelINS0_14default_configENS1_36segmented_radix_sort_config_selectorI6__halflEEZNS1_25segmented_radix_sort_implIS3_Lb1EPKS5_PS5_PKlPlN2at6native12_GLOBAL__N_18offset_tEEE10hipError_tPvRmT1_PNSt15iterator_traitsISL_E10value_typeET2_T3_PNSM_ISR_E10value_typeET4_jRbjT5_SX_jjP12ihipStream_tbEUlT_E2_NS1_11comp_targetILNS1_3genE10ELNS1_11target_archE1200ELNS1_3gpuE4ELNS1_3repE0EEENS1_30default_config_static_selectorELNS0_4arch9wavefront6targetE0EEEvSL_.has_recursion, 0
	.set _ZN7rocprim17ROCPRIM_400000_NS6detail17trampoline_kernelINS0_14default_configENS1_36segmented_radix_sort_config_selectorI6__halflEEZNS1_25segmented_radix_sort_implIS3_Lb1EPKS5_PS5_PKlPlN2at6native12_GLOBAL__N_18offset_tEEE10hipError_tPvRmT1_PNSt15iterator_traitsISL_E10value_typeET2_T3_PNSM_ISR_E10value_typeET4_jRbjT5_SX_jjP12ihipStream_tbEUlT_E2_NS1_11comp_targetILNS1_3genE10ELNS1_11target_archE1200ELNS1_3gpuE4ELNS1_3repE0EEENS1_30default_config_static_selectorELNS0_4arch9wavefront6targetE0EEEvSL_.has_indirect_call, 0
	.section	.AMDGPU.csdata,"",@progbits
; Kernel info:
; codeLenInByte = 0
; TotalNumSgprs: 0
; NumVgprs: 0
; ScratchSize: 0
; MemoryBound: 0
; FloatMode: 240
; IeeeMode: 1
; LDSByteSize: 0 bytes/workgroup (compile time only)
; SGPRBlocks: 0
; VGPRBlocks: 0
; NumSGPRsForWavesPerEU: 1
; NumVGPRsForWavesPerEU: 1
; Occupancy: 16
; WaveLimiterHint : 0
; COMPUTE_PGM_RSRC2:SCRATCH_EN: 0
; COMPUTE_PGM_RSRC2:USER_SGPR: 6
; COMPUTE_PGM_RSRC2:TRAP_HANDLER: 0
; COMPUTE_PGM_RSRC2:TGID_X_EN: 1
; COMPUTE_PGM_RSRC2:TGID_Y_EN: 0
; COMPUTE_PGM_RSRC2:TGID_Z_EN: 0
; COMPUTE_PGM_RSRC2:TIDIG_COMP_CNT: 0
	.section	.text._ZN7rocprim17ROCPRIM_400000_NS6detail17trampoline_kernelINS0_14default_configENS1_36segmented_radix_sort_config_selectorI6__halflEEZNS1_25segmented_radix_sort_implIS3_Lb1EPKS5_PS5_PKlPlN2at6native12_GLOBAL__N_18offset_tEEE10hipError_tPvRmT1_PNSt15iterator_traitsISL_E10value_typeET2_T3_PNSM_ISR_E10value_typeET4_jRbjT5_SX_jjP12ihipStream_tbEUlT_E2_NS1_11comp_targetILNS1_3genE9ELNS1_11target_archE1100ELNS1_3gpuE3ELNS1_3repE0EEENS1_30default_config_static_selectorELNS0_4arch9wavefront6targetE0EEEvSL_,"axG",@progbits,_ZN7rocprim17ROCPRIM_400000_NS6detail17trampoline_kernelINS0_14default_configENS1_36segmented_radix_sort_config_selectorI6__halflEEZNS1_25segmented_radix_sort_implIS3_Lb1EPKS5_PS5_PKlPlN2at6native12_GLOBAL__N_18offset_tEEE10hipError_tPvRmT1_PNSt15iterator_traitsISL_E10value_typeET2_T3_PNSM_ISR_E10value_typeET4_jRbjT5_SX_jjP12ihipStream_tbEUlT_E2_NS1_11comp_targetILNS1_3genE9ELNS1_11target_archE1100ELNS1_3gpuE3ELNS1_3repE0EEENS1_30default_config_static_selectorELNS0_4arch9wavefront6targetE0EEEvSL_,comdat
	.globl	_ZN7rocprim17ROCPRIM_400000_NS6detail17trampoline_kernelINS0_14default_configENS1_36segmented_radix_sort_config_selectorI6__halflEEZNS1_25segmented_radix_sort_implIS3_Lb1EPKS5_PS5_PKlPlN2at6native12_GLOBAL__N_18offset_tEEE10hipError_tPvRmT1_PNSt15iterator_traitsISL_E10value_typeET2_T3_PNSM_ISR_E10value_typeET4_jRbjT5_SX_jjP12ihipStream_tbEUlT_E2_NS1_11comp_targetILNS1_3genE9ELNS1_11target_archE1100ELNS1_3gpuE3ELNS1_3repE0EEENS1_30default_config_static_selectorELNS0_4arch9wavefront6targetE0EEEvSL_ ; -- Begin function _ZN7rocprim17ROCPRIM_400000_NS6detail17trampoline_kernelINS0_14default_configENS1_36segmented_radix_sort_config_selectorI6__halflEEZNS1_25segmented_radix_sort_implIS3_Lb1EPKS5_PS5_PKlPlN2at6native12_GLOBAL__N_18offset_tEEE10hipError_tPvRmT1_PNSt15iterator_traitsISL_E10value_typeET2_T3_PNSM_ISR_E10value_typeET4_jRbjT5_SX_jjP12ihipStream_tbEUlT_E2_NS1_11comp_targetILNS1_3genE9ELNS1_11target_archE1100ELNS1_3gpuE3ELNS1_3repE0EEENS1_30default_config_static_selectorELNS0_4arch9wavefront6targetE0EEEvSL_
	.p2align	8
	.type	_ZN7rocprim17ROCPRIM_400000_NS6detail17trampoline_kernelINS0_14default_configENS1_36segmented_radix_sort_config_selectorI6__halflEEZNS1_25segmented_radix_sort_implIS3_Lb1EPKS5_PS5_PKlPlN2at6native12_GLOBAL__N_18offset_tEEE10hipError_tPvRmT1_PNSt15iterator_traitsISL_E10value_typeET2_T3_PNSM_ISR_E10value_typeET4_jRbjT5_SX_jjP12ihipStream_tbEUlT_E2_NS1_11comp_targetILNS1_3genE9ELNS1_11target_archE1100ELNS1_3gpuE3ELNS1_3repE0EEENS1_30default_config_static_selectorELNS0_4arch9wavefront6targetE0EEEvSL_,@function
_ZN7rocprim17ROCPRIM_400000_NS6detail17trampoline_kernelINS0_14default_configENS1_36segmented_radix_sort_config_selectorI6__halflEEZNS1_25segmented_radix_sort_implIS3_Lb1EPKS5_PS5_PKlPlN2at6native12_GLOBAL__N_18offset_tEEE10hipError_tPvRmT1_PNSt15iterator_traitsISL_E10value_typeET2_T3_PNSM_ISR_E10value_typeET4_jRbjT5_SX_jjP12ihipStream_tbEUlT_E2_NS1_11comp_targetILNS1_3genE9ELNS1_11target_archE1100ELNS1_3gpuE3ELNS1_3repE0EEENS1_30default_config_static_selectorELNS0_4arch9wavefront6targetE0EEEvSL_: ; @_ZN7rocprim17ROCPRIM_400000_NS6detail17trampoline_kernelINS0_14default_configENS1_36segmented_radix_sort_config_selectorI6__halflEEZNS1_25segmented_radix_sort_implIS3_Lb1EPKS5_PS5_PKlPlN2at6native12_GLOBAL__N_18offset_tEEE10hipError_tPvRmT1_PNSt15iterator_traitsISL_E10value_typeET2_T3_PNSM_ISR_E10value_typeET4_jRbjT5_SX_jjP12ihipStream_tbEUlT_E2_NS1_11comp_targetILNS1_3genE9ELNS1_11target_archE1100ELNS1_3gpuE3ELNS1_3repE0EEENS1_30default_config_static_selectorELNS0_4arch9wavefront6targetE0EEEvSL_
; %bb.0:
	.section	.rodata,"a",@progbits
	.p2align	6, 0x0
	.amdhsa_kernel _ZN7rocprim17ROCPRIM_400000_NS6detail17trampoline_kernelINS0_14default_configENS1_36segmented_radix_sort_config_selectorI6__halflEEZNS1_25segmented_radix_sort_implIS3_Lb1EPKS5_PS5_PKlPlN2at6native12_GLOBAL__N_18offset_tEEE10hipError_tPvRmT1_PNSt15iterator_traitsISL_E10value_typeET2_T3_PNSM_ISR_E10value_typeET4_jRbjT5_SX_jjP12ihipStream_tbEUlT_E2_NS1_11comp_targetILNS1_3genE9ELNS1_11target_archE1100ELNS1_3gpuE3ELNS1_3repE0EEENS1_30default_config_static_selectorELNS0_4arch9wavefront6targetE0EEEvSL_
		.amdhsa_group_segment_fixed_size 0
		.amdhsa_private_segment_fixed_size 0
		.amdhsa_kernarg_size 80
		.amdhsa_user_sgpr_count 6
		.amdhsa_user_sgpr_private_segment_buffer 1
		.amdhsa_user_sgpr_dispatch_ptr 0
		.amdhsa_user_sgpr_queue_ptr 0
		.amdhsa_user_sgpr_kernarg_segment_ptr 1
		.amdhsa_user_sgpr_dispatch_id 0
		.amdhsa_user_sgpr_flat_scratch_init 0
		.amdhsa_user_sgpr_private_segment_size 0
		.amdhsa_wavefront_size32 1
		.amdhsa_uses_dynamic_stack 0
		.amdhsa_system_sgpr_private_segment_wavefront_offset 0
		.amdhsa_system_sgpr_workgroup_id_x 1
		.amdhsa_system_sgpr_workgroup_id_y 0
		.amdhsa_system_sgpr_workgroup_id_z 0
		.amdhsa_system_sgpr_workgroup_info 0
		.amdhsa_system_vgpr_workitem_id 0
		.amdhsa_next_free_vgpr 1
		.amdhsa_next_free_sgpr 1
		.amdhsa_reserve_vcc 0
		.amdhsa_reserve_flat_scratch 0
		.amdhsa_float_round_mode_32 0
		.amdhsa_float_round_mode_16_64 0
		.amdhsa_float_denorm_mode_32 3
		.amdhsa_float_denorm_mode_16_64 3
		.amdhsa_dx10_clamp 1
		.amdhsa_ieee_mode 1
		.amdhsa_fp16_overflow 0
		.amdhsa_workgroup_processor_mode 1
		.amdhsa_memory_ordered 1
		.amdhsa_forward_progress 1
		.amdhsa_shared_vgpr_count 0
		.amdhsa_exception_fp_ieee_invalid_op 0
		.amdhsa_exception_fp_denorm_src 0
		.amdhsa_exception_fp_ieee_div_zero 0
		.amdhsa_exception_fp_ieee_overflow 0
		.amdhsa_exception_fp_ieee_underflow 0
		.amdhsa_exception_fp_ieee_inexact 0
		.amdhsa_exception_int_div_zero 0
	.end_amdhsa_kernel
	.section	.text._ZN7rocprim17ROCPRIM_400000_NS6detail17trampoline_kernelINS0_14default_configENS1_36segmented_radix_sort_config_selectorI6__halflEEZNS1_25segmented_radix_sort_implIS3_Lb1EPKS5_PS5_PKlPlN2at6native12_GLOBAL__N_18offset_tEEE10hipError_tPvRmT1_PNSt15iterator_traitsISL_E10value_typeET2_T3_PNSM_ISR_E10value_typeET4_jRbjT5_SX_jjP12ihipStream_tbEUlT_E2_NS1_11comp_targetILNS1_3genE9ELNS1_11target_archE1100ELNS1_3gpuE3ELNS1_3repE0EEENS1_30default_config_static_selectorELNS0_4arch9wavefront6targetE0EEEvSL_,"axG",@progbits,_ZN7rocprim17ROCPRIM_400000_NS6detail17trampoline_kernelINS0_14default_configENS1_36segmented_radix_sort_config_selectorI6__halflEEZNS1_25segmented_radix_sort_implIS3_Lb1EPKS5_PS5_PKlPlN2at6native12_GLOBAL__N_18offset_tEEE10hipError_tPvRmT1_PNSt15iterator_traitsISL_E10value_typeET2_T3_PNSM_ISR_E10value_typeET4_jRbjT5_SX_jjP12ihipStream_tbEUlT_E2_NS1_11comp_targetILNS1_3genE9ELNS1_11target_archE1100ELNS1_3gpuE3ELNS1_3repE0EEENS1_30default_config_static_selectorELNS0_4arch9wavefront6targetE0EEEvSL_,comdat
.Lfunc_end1766:
	.size	_ZN7rocprim17ROCPRIM_400000_NS6detail17trampoline_kernelINS0_14default_configENS1_36segmented_radix_sort_config_selectorI6__halflEEZNS1_25segmented_radix_sort_implIS3_Lb1EPKS5_PS5_PKlPlN2at6native12_GLOBAL__N_18offset_tEEE10hipError_tPvRmT1_PNSt15iterator_traitsISL_E10value_typeET2_T3_PNSM_ISR_E10value_typeET4_jRbjT5_SX_jjP12ihipStream_tbEUlT_E2_NS1_11comp_targetILNS1_3genE9ELNS1_11target_archE1100ELNS1_3gpuE3ELNS1_3repE0EEENS1_30default_config_static_selectorELNS0_4arch9wavefront6targetE0EEEvSL_, .Lfunc_end1766-_ZN7rocprim17ROCPRIM_400000_NS6detail17trampoline_kernelINS0_14default_configENS1_36segmented_radix_sort_config_selectorI6__halflEEZNS1_25segmented_radix_sort_implIS3_Lb1EPKS5_PS5_PKlPlN2at6native12_GLOBAL__N_18offset_tEEE10hipError_tPvRmT1_PNSt15iterator_traitsISL_E10value_typeET2_T3_PNSM_ISR_E10value_typeET4_jRbjT5_SX_jjP12ihipStream_tbEUlT_E2_NS1_11comp_targetILNS1_3genE9ELNS1_11target_archE1100ELNS1_3gpuE3ELNS1_3repE0EEENS1_30default_config_static_selectorELNS0_4arch9wavefront6targetE0EEEvSL_
                                        ; -- End function
	.set _ZN7rocprim17ROCPRIM_400000_NS6detail17trampoline_kernelINS0_14default_configENS1_36segmented_radix_sort_config_selectorI6__halflEEZNS1_25segmented_radix_sort_implIS3_Lb1EPKS5_PS5_PKlPlN2at6native12_GLOBAL__N_18offset_tEEE10hipError_tPvRmT1_PNSt15iterator_traitsISL_E10value_typeET2_T3_PNSM_ISR_E10value_typeET4_jRbjT5_SX_jjP12ihipStream_tbEUlT_E2_NS1_11comp_targetILNS1_3genE9ELNS1_11target_archE1100ELNS1_3gpuE3ELNS1_3repE0EEENS1_30default_config_static_selectorELNS0_4arch9wavefront6targetE0EEEvSL_.num_vgpr, 0
	.set _ZN7rocprim17ROCPRIM_400000_NS6detail17trampoline_kernelINS0_14default_configENS1_36segmented_radix_sort_config_selectorI6__halflEEZNS1_25segmented_radix_sort_implIS3_Lb1EPKS5_PS5_PKlPlN2at6native12_GLOBAL__N_18offset_tEEE10hipError_tPvRmT1_PNSt15iterator_traitsISL_E10value_typeET2_T3_PNSM_ISR_E10value_typeET4_jRbjT5_SX_jjP12ihipStream_tbEUlT_E2_NS1_11comp_targetILNS1_3genE9ELNS1_11target_archE1100ELNS1_3gpuE3ELNS1_3repE0EEENS1_30default_config_static_selectorELNS0_4arch9wavefront6targetE0EEEvSL_.num_agpr, 0
	.set _ZN7rocprim17ROCPRIM_400000_NS6detail17trampoline_kernelINS0_14default_configENS1_36segmented_radix_sort_config_selectorI6__halflEEZNS1_25segmented_radix_sort_implIS3_Lb1EPKS5_PS5_PKlPlN2at6native12_GLOBAL__N_18offset_tEEE10hipError_tPvRmT1_PNSt15iterator_traitsISL_E10value_typeET2_T3_PNSM_ISR_E10value_typeET4_jRbjT5_SX_jjP12ihipStream_tbEUlT_E2_NS1_11comp_targetILNS1_3genE9ELNS1_11target_archE1100ELNS1_3gpuE3ELNS1_3repE0EEENS1_30default_config_static_selectorELNS0_4arch9wavefront6targetE0EEEvSL_.numbered_sgpr, 0
	.set _ZN7rocprim17ROCPRIM_400000_NS6detail17trampoline_kernelINS0_14default_configENS1_36segmented_radix_sort_config_selectorI6__halflEEZNS1_25segmented_radix_sort_implIS3_Lb1EPKS5_PS5_PKlPlN2at6native12_GLOBAL__N_18offset_tEEE10hipError_tPvRmT1_PNSt15iterator_traitsISL_E10value_typeET2_T3_PNSM_ISR_E10value_typeET4_jRbjT5_SX_jjP12ihipStream_tbEUlT_E2_NS1_11comp_targetILNS1_3genE9ELNS1_11target_archE1100ELNS1_3gpuE3ELNS1_3repE0EEENS1_30default_config_static_selectorELNS0_4arch9wavefront6targetE0EEEvSL_.num_named_barrier, 0
	.set _ZN7rocprim17ROCPRIM_400000_NS6detail17trampoline_kernelINS0_14default_configENS1_36segmented_radix_sort_config_selectorI6__halflEEZNS1_25segmented_radix_sort_implIS3_Lb1EPKS5_PS5_PKlPlN2at6native12_GLOBAL__N_18offset_tEEE10hipError_tPvRmT1_PNSt15iterator_traitsISL_E10value_typeET2_T3_PNSM_ISR_E10value_typeET4_jRbjT5_SX_jjP12ihipStream_tbEUlT_E2_NS1_11comp_targetILNS1_3genE9ELNS1_11target_archE1100ELNS1_3gpuE3ELNS1_3repE0EEENS1_30default_config_static_selectorELNS0_4arch9wavefront6targetE0EEEvSL_.private_seg_size, 0
	.set _ZN7rocprim17ROCPRIM_400000_NS6detail17trampoline_kernelINS0_14default_configENS1_36segmented_radix_sort_config_selectorI6__halflEEZNS1_25segmented_radix_sort_implIS3_Lb1EPKS5_PS5_PKlPlN2at6native12_GLOBAL__N_18offset_tEEE10hipError_tPvRmT1_PNSt15iterator_traitsISL_E10value_typeET2_T3_PNSM_ISR_E10value_typeET4_jRbjT5_SX_jjP12ihipStream_tbEUlT_E2_NS1_11comp_targetILNS1_3genE9ELNS1_11target_archE1100ELNS1_3gpuE3ELNS1_3repE0EEENS1_30default_config_static_selectorELNS0_4arch9wavefront6targetE0EEEvSL_.uses_vcc, 0
	.set _ZN7rocprim17ROCPRIM_400000_NS6detail17trampoline_kernelINS0_14default_configENS1_36segmented_radix_sort_config_selectorI6__halflEEZNS1_25segmented_radix_sort_implIS3_Lb1EPKS5_PS5_PKlPlN2at6native12_GLOBAL__N_18offset_tEEE10hipError_tPvRmT1_PNSt15iterator_traitsISL_E10value_typeET2_T3_PNSM_ISR_E10value_typeET4_jRbjT5_SX_jjP12ihipStream_tbEUlT_E2_NS1_11comp_targetILNS1_3genE9ELNS1_11target_archE1100ELNS1_3gpuE3ELNS1_3repE0EEENS1_30default_config_static_selectorELNS0_4arch9wavefront6targetE0EEEvSL_.uses_flat_scratch, 0
	.set _ZN7rocprim17ROCPRIM_400000_NS6detail17trampoline_kernelINS0_14default_configENS1_36segmented_radix_sort_config_selectorI6__halflEEZNS1_25segmented_radix_sort_implIS3_Lb1EPKS5_PS5_PKlPlN2at6native12_GLOBAL__N_18offset_tEEE10hipError_tPvRmT1_PNSt15iterator_traitsISL_E10value_typeET2_T3_PNSM_ISR_E10value_typeET4_jRbjT5_SX_jjP12ihipStream_tbEUlT_E2_NS1_11comp_targetILNS1_3genE9ELNS1_11target_archE1100ELNS1_3gpuE3ELNS1_3repE0EEENS1_30default_config_static_selectorELNS0_4arch9wavefront6targetE0EEEvSL_.has_dyn_sized_stack, 0
	.set _ZN7rocprim17ROCPRIM_400000_NS6detail17trampoline_kernelINS0_14default_configENS1_36segmented_radix_sort_config_selectorI6__halflEEZNS1_25segmented_radix_sort_implIS3_Lb1EPKS5_PS5_PKlPlN2at6native12_GLOBAL__N_18offset_tEEE10hipError_tPvRmT1_PNSt15iterator_traitsISL_E10value_typeET2_T3_PNSM_ISR_E10value_typeET4_jRbjT5_SX_jjP12ihipStream_tbEUlT_E2_NS1_11comp_targetILNS1_3genE9ELNS1_11target_archE1100ELNS1_3gpuE3ELNS1_3repE0EEENS1_30default_config_static_selectorELNS0_4arch9wavefront6targetE0EEEvSL_.has_recursion, 0
	.set _ZN7rocprim17ROCPRIM_400000_NS6detail17trampoline_kernelINS0_14default_configENS1_36segmented_radix_sort_config_selectorI6__halflEEZNS1_25segmented_radix_sort_implIS3_Lb1EPKS5_PS5_PKlPlN2at6native12_GLOBAL__N_18offset_tEEE10hipError_tPvRmT1_PNSt15iterator_traitsISL_E10value_typeET2_T3_PNSM_ISR_E10value_typeET4_jRbjT5_SX_jjP12ihipStream_tbEUlT_E2_NS1_11comp_targetILNS1_3genE9ELNS1_11target_archE1100ELNS1_3gpuE3ELNS1_3repE0EEENS1_30default_config_static_selectorELNS0_4arch9wavefront6targetE0EEEvSL_.has_indirect_call, 0
	.section	.AMDGPU.csdata,"",@progbits
; Kernel info:
; codeLenInByte = 0
; TotalNumSgprs: 0
; NumVgprs: 0
; ScratchSize: 0
; MemoryBound: 0
; FloatMode: 240
; IeeeMode: 1
; LDSByteSize: 0 bytes/workgroup (compile time only)
; SGPRBlocks: 0
; VGPRBlocks: 0
; NumSGPRsForWavesPerEU: 1
; NumVGPRsForWavesPerEU: 1
; Occupancy: 16
; WaveLimiterHint : 0
; COMPUTE_PGM_RSRC2:SCRATCH_EN: 0
; COMPUTE_PGM_RSRC2:USER_SGPR: 6
; COMPUTE_PGM_RSRC2:TRAP_HANDLER: 0
; COMPUTE_PGM_RSRC2:TGID_X_EN: 1
; COMPUTE_PGM_RSRC2:TGID_Y_EN: 0
; COMPUTE_PGM_RSRC2:TGID_Z_EN: 0
; COMPUTE_PGM_RSRC2:TIDIG_COMP_CNT: 0
	.section	.text._ZN7rocprim17ROCPRIM_400000_NS6detail17trampoline_kernelINS0_14default_configENS1_36segmented_radix_sort_config_selectorI6__halflEEZNS1_25segmented_radix_sort_implIS3_Lb1EPKS5_PS5_PKlPlN2at6native12_GLOBAL__N_18offset_tEEE10hipError_tPvRmT1_PNSt15iterator_traitsISL_E10value_typeET2_T3_PNSM_ISR_E10value_typeET4_jRbjT5_SX_jjP12ihipStream_tbEUlT_E2_NS1_11comp_targetILNS1_3genE8ELNS1_11target_archE1030ELNS1_3gpuE2ELNS1_3repE0EEENS1_30default_config_static_selectorELNS0_4arch9wavefront6targetE0EEEvSL_,"axG",@progbits,_ZN7rocprim17ROCPRIM_400000_NS6detail17trampoline_kernelINS0_14default_configENS1_36segmented_radix_sort_config_selectorI6__halflEEZNS1_25segmented_radix_sort_implIS3_Lb1EPKS5_PS5_PKlPlN2at6native12_GLOBAL__N_18offset_tEEE10hipError_tPvRmT1_PNSt15iterator_traitsISL_E10value_typeET2_T3_PNSM_ISR_E10value_typeET4_jRbjT5_SX_jjP12ihipStream_tbEUlT_E2_NS1_11comp_targetILNS1_3genE8ELNS1_11target_archE1030ELNS1_3gpuE2ELNS1_3repE0EEENS1_30default_config_static_selectorELNS0_4arch9wavefront6targetE0EEEvSL_,comdat
	.globl	_ZN7rocprim17ROCPRIM_400000_NS6detail17trampoline_kernelINS0_14default_configENS1_36segmented_radix_sort_config_selectorI6__halflEEZNS1_25segmented_radix_sort_implIS3_Lb1EPKS5_PS5_PKlPlN2at6native12_GLOBAL__N_18offset_tEEE10hipError_tPvRmT1_PNSt15iterator_traitsISL_E10value_typeET2_T3_PNSM_ISR_E10value_typeET4_jRbjT5_SX_jjP12ihipStream_tbEUlT_E2_NS1_11comp_targetILNS1_3genE8ELNS1_11target_archE1030ELNS1_3gpuE2ELNS1_3repE0EEENS1_30default_config_static_selectorELNS0_4arch9wavefront6targetE0EEEvSL_ ; -- Begin function _ZN7rocprim17ROCPRIM_400000_NS6detail17trampoline_kernelINS0_14default_configENS1_36segmented_radix_sort_config_selectorI6__halflEEZNS1_25segmented_radix_sort_implIS3_Lb1EPKS5_PS5_PKlPlN2at6native12_GLOBAL__N_18offset_tEEE10hipError_tPvRmT1_PNSt15iterator_traitsISL_E10value_typeET2_T3_PNSM_ISR_E10value_typeET4_jRbjT5_SX_jjP12ihipStream_tbEUlT_E2_NS1_11comp_targetILNS1_3genE8ELNS1_11target_archE1030ELNS1_3gpuE2ELNS1_3repE0EEENS1_30default_config_static_selectorELNS0_4arch9wavefront6targetE0EEEvSL_
	.p2align	8
	.type	_ZN7rocprim17ROCPRIM_400000_NS6detail17trampoline_kernelINS0_14default_configENS1_36segmented_radix_sort_config_selectorI6__halflEEZNS1_25segmented_radix_sort_implIS3_Lb1EPKS5_PS5_PKlPlN2at6native12_GLOBAL__N_18offset_tEEE10hipError_tPvRmT1_PNSt15iterator_traitsISL_E10value_typeET2_T3_PNSM_ISR_E10value_typeET4_jRbjT5_SX_jjP12ihipStream_tbEUlT_E2_NS1_11comp_targetILNS1_3genE8ELNS1_11target_archE1030ELNS1_3gpuE2ELNS1_3repE0EEENS1_30default_config_static_selectorELNS0_4arch9wavefront6targetE0EEEvSL_,@function
_ZN7rocprim17ROCPRIM_400000_NS6detail17trampoline_kernelINS0_14default_configENS1_36segmented_radix_sort_config_selectorI6__halflEEZNS1_25segmented_radix_sort_implIS3_Lb1EPKS5_PS5_PKlPlN2at6native12_GLOBAL__N_18offset_tEEE10hipError_tPvRmT1_PNSt15iterator_traitsISL_E10value_typeET2_T3_PNSM_ISR_E10value_typeET4_jRbjT5_SX_jjP12ihipStream_tbEUlT_E2_NS1_11comp_targetILNS1_3genE8ELNS1_11target_archE1030ELNS1_3gpuE2ELNS1_3repE0EEENS1_30default_config_static_selectorELNS0_4arch9wavefront6targetE0EEEvSL_: ; @_ZN7rocprim17ROCPRIM_400000_NS6detail17trampoline_kernelINS0_14default_configENS1_36segmented_radix_sort_config_selectorI6__halflEEZNS1_25segmented_radix_sort_implIS3_Lb1EPKS5_PS5_PKlPlN2at6native12_GLOBAL__N_18offset_tEEE10hipError_tPvRmT1_PNSt15iterator_traitsISL_E10value_typeET2_T3_PNSM_ISR_E10value_typeET4_jRbjT5_SX_jjP12ihipStream_tbEUlT_E2_NS1_11comp_targetILNS1_3genE8ELNS1_11target_archE1030ELNS1_3gpuE2ELNS1_3repE0EEENS1_30default_config_static_selectorELNS0_4arch9wavefront6targetE0EEEvSL_
; %bb.0:
	s_add_u32 s0, s0, s8
	s_load_dwordx4 s[8:11], s[4:5], 0x34
	s_addc_u32 s1, s1, 0
	s_mov_b32 s32, 0
	s_waitcnt lgkmcnt(0)
	s_add_i32 s33, s9, s6
	s_add_i32 s52, s11, s6
	s_mul_i32 s33, s33, s8
	s_mul_i32 s52, s52, s10
	s_cmp_le_u32 s52, s33
	s_cbranch_scc1 .LBB1767_675
; %bb.1:
	s_clause 0x3
	s_load_dword s8, s[4:5], 0x30
	s_load_dwordx4 s[44:47], s[4:5], 0x20
	s_load_dwordx4 s[48:51], s[4:5], 0x44
	s_load_dwordx8 s[36:43], s[4:5], 0x0
	s_waitcnt lgkmcnt(0)
	s_bitcmp1_b32 s8, 0
	s_mov_b32 s8, -1
	s_cselect_b32 s51, -1, 0
	s_sub_i32 s53, s52, s33
	s_cmpk_lt_u32 s53, 0x801
	s_cbranch_scc0 .LBB1767_12
; %bb.2:
	s_cmp_lt_u32 s53, 33
	s_cbranch_scc0 .LBB1767_6
; %bb.3:
	s_load_dword s8, s[4:5], 0x5c
	s_mov_b32 s22, exec_lo
	s_waitcnt lgkmcnt(0)
	s_lshr_b32 s9, s8, 16
	s_and_b32 s8, s8, 0xffff
	v_mad_u32_u24 v3, v2, s9, v1
	v_mad_u64_u32 v[3:4], null, v3, s8, v[0:1]
	v_cmpx_gt_u32_e32 8, v3
	s_cbranch_execz .LBB1767_5
; %bb.4:
	s_bitcmp1_b32 s48, 0
	v_lshlrev_b32_e32 v3, 20, v2
	s_cselect_b32 s8, -1, 0
	v_lshlrev_b32_e32 v4, 10, v1
	s_xor_b32 s8, s51, s8
	s_mov_b64 s[10:11], src_shared_base
	s_xor_b32 s10, s8, -1
	v_mov_b32_e32 v40, v0
	v_or3_b32 v31, v0, v4, v3
	v_cndmask_b32_e64 v12, 0, 1, s10
	v_mov_b32_e32 v0, s36
	v_mov_b32_e32 v41, v1
	v_mov_b32_e32 v1, s37
	v_mov_b32_e32 v42, v2
	v_mov_b32_e32 v2, s38
	v_mov_b32_e32 v3, s39
	v_mov_b32_e32 v4, s40
	v_mov_b32_e32 v5, s41
	v_mov_b32_e32 v6, s42
	v_mov_b32_e32 v7, s43
	v_mov_b32_e32 v8, s44
	v_mov_b32_e32 v9, s45
	v_mov_b32_e32 v10, s46
	v_mov_b32_e32 v11, s47
	v_mov_b32_e32 v13, s33
	v_mov_b32_e32 v14, s52
	v_mov_b32_e32 v15, 0
	v_mov_b32_e32 v16, s11
	s_add_u32 s8, s4, 0x50
	s_addc_u32 s9, s5, 0
	s_getpc_b64 s[14:15]
	s_add_u32 s14, s14, _ZN7rocprim17ROCPRIM_400000_NS6detail26segmented_warp_sort_helperINS1_20WarpSortHelperConfigILj8ELj4ELj256EEE6__halflLi256ELb1EvE4sortIPKS5_PS5_PKlPlEEvT_SA_T0_T1_SD_T2_bjjjjRNS6_12storage_typeE@rel32@lo+4
	s_addc_u32 s15, s15, _ZN7rocprim17ROCPRIM_400000_NS6detail26segmented_warp_sort_helperINS1_20WarpSortHelperConfigILj8ELj4ELj256EEE6__halflLi256ELb1EvE4sortIPKS5_PS5_PKlPlEEvT_SA_T0_T1_SD_T2_bjjjjRNS6_12storage_typeE@rel32@hi+12
	s_mov_b32 s12, s6
	s_mov_b32 s13, s7
	s_mov_b64 s[20:21], s[4:5]
	s_mov_b32 s24, s7
	s_mov_b32 s23, s6
	s_swappc_b64 s[30:31], s[14:15]
	v_mov_b32_e32 v1, v41
	v_mov_b32_e32 v2, v42
	;; [unrolled: 1-line block ×3, first 2 shown]
	s_mov_b32 s6, s23
	s_mov_b32 s7, s24
	s_mov_b64 s[4:5], s[20:21]
.LBB1767_5:
	s_or_b32 exec_lo, exec_lo, s22
	s_mov_b32 s8, 0
.LBB1767_6:
	s_andn2_b32 vcc_lo, exec_lo, s8
	s_cbranch_vccnz .LBB1767_11
; %bb.7:
	v_cndmask_b32_e64 v3, 0, 1, s51
	s_and_b32 s8, s48, 1
	v_lshlrev_b32_e32 v41, 20, v2
	v_lshlrev_b32_e32 v42, 10, v1
	v_cmp_ne_u32_e32 vcc_lo, s8, v3
	s_mov_b32 s8, -1
	s_cbranch_vccnz .LBB1767_9
; %bb.8:
	s_mov_b64 s[10:11], src_shared_base
	v_or3_b32 v31, v0, v42, v41
	v_mov_b32_e32 v40, v0
	v_mov_b32_e32 v0, s36
	;; [unrolled: 1-line block ×17, first 2 shown]
	s_add_u32 s8, s4, 0x50
	s_addc_u32 s9, s5, 0
	s_getpc_b64 s[14:15]
	s_add_u32 s14, s14, _ZN7rocprim17ROCPRIM_400000_NS6detail40segmented_radix_sort_single_block_helperI6__halflLj256ELj8ELb1EE4sortIPKS3_PS3_PKlPlEEbT_T0_T1_T2_jjjjRNS4_12storage_typeE@rel32@lo+4
	s_addc_u32 s15, s15, _ZN7rocprim17ROCPRIM_400000_NS6detail40segmented_radix_sort_single_block_helperI6__halflLj256ELj8ELb1EE4sortIPKS3_PS3_PKlPlEEbT_T0_T1_T2_jjjjRNS4_12storage_typeE@rel32@hi+12
	s_mov_b32 s12, s6
	s_mov_b32 s13, s7
	s_mov_b64 s[28:29], s[4:5]
	s_mov_b32 s27, s7
	s_mov_b32 s34, s6
	s_swappc_b64 s[30:31], s[14:15]
	v_mov_b32_e32 v1, v43
	v_mov_b32_e32 v2, v44
	;; [unrolled: 1-line block ×3, first 2 shown]
	s_mov_b32 s6, s34
	s_mov_b32 s7, s27
	s_mov_b64 s[4:5], s[28:29]
	s_mov_b32 s8, 0
.LBB1767_9:
	s_andn2_b32 vcc_lo, exec_lo, s8
	s_cbranch_vccnz .LBB1767_11
; %bb.10:
	s_mov_b64 s[10:11], src_shared_base
	v_or3_b32 v31, v0, v42, v41
	v_mov_b32_e32 v40, v0
	v_mov_b32_e32 v0, s36
	;; [unrolled: 1-line block ×17, first 2 shown]
	s_add_u32 s8, s4, 0x50
	s_addc_u32 s9, s5, 0
	s_getpc_b64 s[14:15]
	s_add_u32 s14, s14, _ZN7rocprim17ROCPRIM_400000_NS6detail40segmented_radix_sort_single_block_helperI6__halflLj256ELj8ELb1EE4sortIPKS3_PS3_PKlPlEEbT_T0_T1_T2_jjjjRNS4_12storage_typeE@rel32@lo+4
	s_addc_u32 s15, s15, _ZN7rocprim17ROCPRIM_400000_NS6detail40segmented_radix_sort_single_block_helperI6__halflLj256ELj8ELb1EE4sortIPKS3_PS3_PKlPlEEbT_T0_T1_T2_jjjjRNS4_12storage_typeE@rel32@hi+12
	s_mov_b32 s12, s6
	s_mov_b32 s13, s7
	s_mov_b64 s[28:29], s[4:5]
	s_mov_b32 s34, s7
	s_mov_b32 s27, s6
	s_swappc_b64 s[30:31], s[14:15]
	v_mov_b32_e32 v1, v41
	v_mov_b32_e32 v2, v42
	v_mov_b32_e32 v0, v40
	s_mov_b32 s6, s27
	s_mov_b32 s7, s34
	s_mov_b64 s[4:5], s[28:29]
.LBB1767_11:
	s_mov_b32 s8, 0
.LBB1767_12:
	s_andn2_b32 vcc_lo, exec_lo, s8
	s_cbranch_vccnz .LBB1767_675
; %bb.13:
	s_cmp_ge_u32 s49, s50
	s_cbranch_scc1 .LBB1767_675
; %bb.14:
	v_lshlrev_b32_e32 v29, 2, v0
	v_and_b32_e32 v4, 3, v0
	v_lshrrev_b32_e32 v5, 3, v0
	v_or_b32_e32 v6, 31, v0
	v_lshlrev_b32_e32 v3, 1, v0
	v_mad_u32_u24 v41, v0, 12, v29
	v_lshlrev_b32_e32 v40, 2, v4
	v_lshlrev_b32_e32 v4, 3, v0
	v_and_b32_e32 v39, 28, v5
	v_lshlrev_b32_e32 v5, 5, v0
	v_mad_u32_u24 v44, v0, 20, v41
	v_cmp_eq_u32_e64 s9, v0, v6
	v_and_b32_e32 v4, 0x700, v4
	v_mbcnt_lo_u32_b32 v59, -1, 0
	v_or_b32_e32 v35, 0x400, v0
	v_sub_nc_u32_e32 v46, v44, v5
	v_or_b32_e32 v36, 0x500, v0
	v_lshlrev_b32_e32 v5, 3, v4
	v_lshlrev_b32_e32 v6, 1, v4
	;; [unrolled: 1-line block ×4, first 2 shown]
	v_or_b32_e32 v37, 0x600, v0
	v_add_co_u32 v7, s13, s46, v5
	v_add_co_ci_u32_e64 v8, null, s47, 0, s13
	v_add_co_u32 v9, s13, s40, v6
	v_add_co_ci_u32_e64 v10, null, s41, 0, s13
	;; [unrolled: 2-line block ×5, first 2 shown]
	v_add_co_u32 v55, s13, s36, v3
	v_or_b32_e32 v38, 0x700, v0
	v_or_b32_e32 v66, v59, v4
	v_add_co_ci_u32_e64 v56, null, s37, 0, s13
	v_add_co_u32 v57, s13, s42, v5
	v_add_co_u32 v83, vcc_lo, v7, v69
	v_add_co_u32 v33, s8, s40, v3
	v_add_co_ci_u32_e64 v58, null, s43, 0, s13
	v_add_co_u32 v60, s13, s36, v6
	v_add_co_ci_u32_e64 v84, null, 0, v8, vcc_lo
	v_add_co_u32 v85, vcc_lo, v9, v77
	v_or_b32_e32 v30, 0x100, v0
	v_or_b32_e32 v31, 0x200, v0
	;; [unrolled: 1-line block ×3, first 2 shown]
	v_add_co_ci_u32_e64 v34, null, s41, 0, s8
	v_cmp_gt_u32_e64 s8, 0x100, v0
	v_or_b32_e32 v42, 0x4400, v39
	v_cmp_gt_u32_e64 s10, 8, v0
	v_or_b32_e32 v43, 0x4400, v29
	v_cmp_lt_u32_e64 s11, 31, v0
	v_add_nc_u32_e32 v45, 0x43fc, v39
	s_add_u32 s30, s4, 0x50
	v_cmp_eq_u32_e64 s4, 0, v0
	v_cmp_ne_u32_e64 s12, 0xff, v0
	v_sub_nc_u32_e32 v47, v46, v3
	v_mul_u32_u24_e32 v48, 6, v0
	v_add_co_ci_u32_e64 v61, null, s37, 0, s13
	v_mov_b32_e32 v62, 1
	v_and_b32_e32 v63, 15, v59
	v_bfe_i32 v64, v59, 4, 1
	v_and_b32_e32 v65, 16, v59
	v_and_b32_e32 v67, 7, v59
	v_sub_co_u32 v68, s13, v59, 1
	v_or_b32_e32 v70, 32, v66
	v_or_b32_e32 v71, 64, v66
	;; [unrolled: 1-line block ×7, first 2 shown]
	v_add_nc_u32_e32 v78, 0x420, v44
	v_lshlrev_b32_e32 v79, 1, v0
	v_lshlrev_b32_e32 v80, 1, v35
	;; [unrolled: 1-line block ×4, first 2 shown]
	v_add_co_ci_u32_e64 v86, null, 0, v10, vcc_lo
	v_lshlrev_b32_e32 v87, 1, v38
	v_add_nc_u32_e32 v88, 0x428, v44
	v_add_nc_u32_e32 v89, 0x430, v44
	;; [unrolled: 1-line block ×3, first 2 shown]
	v_mov_b32_e32 v4, 0
	s_addc_u32 s31, s5, 0
	s_mov_b32 s35, 0
	s_mov_b32 s29, s49
	s_branch .LBB1767_17
.LBB1767_15:                            ;   in Loop: Header=BB1767_17 Depth=1
	s_waitcnt lgkmcnt(0)
	s_barrier
.LBB1767_16:                            ;   in Loop: Header=BB1767_17 Depth=1
	s_add_i32 s29, s29, 8
	buffer_gl0_inv
	s_cmp_ge_u32 s29, s50
	s_cbranch_scc1 .LBB1767_675
.LBB1767_17:                            ; =>This Loop Header: Depth=1
                                        ;     Child Loop BB1767_21 Depth 2
                                        ;     Child Loop BB1767_69 Depth 2
	;; [unrolled: 1-line block ×8, first 2 shown]
	s_sub_i32 s5, s50, s29
	s_xor_b32 s51, s51, -1
	s_min_u32 s5, s5, 8
	ds_write2st64_b32 v29, v4, v4 offset1:4
	s_lshl_b32 s5, -1, s5
	ds_write2st64_b32 v29, v4, v4 offset0:8 offset1:12
	s_not_b32 s42, s5
	s_cmp_lg_u32 s29, s49
	s_mov_b32 s5, -1
	s_waitcnt lgkmcnt(0)
	s_waitcnt_vscnt null, 0x0
	s_cbranch_scc0 .LBB1767_347
; %bb.18:                               ;   in Loop: Header=BB1767_17 Depth=1
	s_and_b32 vcc_lo, exec_lo, s51
	s_cbranch_vccz .LBB1767_182
; %bb.19:                               ;   in Loop: Header=BB1767_17 Depth=1
	s_mov_b32 s5, s53
	s_mov_b32 s34, s33
	s_barrier
	buffer_gl0_inv
                                        ; implicit-def: $vgpr3
                                        ; implicit-def: $vgpr5
                                        ; implicit-def: $vgpr6
                                        ; implicit-def: $vgpr7
                                        ; implicit-def: $vgpr8
                                        ; implicit-def: $vgpr9
                                        ; implicit-def: $vgpr10
                                        ; implicit-def: $vgpr11
	s_branch .LBB1767_21
.LBB1767_20:                            ;   in Loop: Header=BB1767_21 Depth=2
	s_or_b32 exec_lo, exec_lo, s14
	s_addk_i32 s5, 0xf800
	s_cmp_ge_u32 s16, s52
	s_mov_b32 s34, s16
	s_cbranch_scc1 .LBB1767_57
.LBB1767_21:                            ;   Parent Loop BB1767_17 Depth=1
                                        ; =>  This Inner Loop Header: Depth=2
	s_add_i32 s16, s34, 0x800
	s_mov_b32 s14, -1
	s_cmp_gt_u32 s16, s52
                                        ; implicit-def: $vgpr12
                                        ; implicit-def: $vgpr13
                                        ; implicit-def: $vgpr14
                                        ; implicit-def: $vgpr15
                                        ; implicit-def: $vgpr16
                                        ; implicit-def: $vgpr17
                                        ; implicit-def: $vgpr18
                                        ; implicit-def: $vgpr19
	s_cbranch_scc1 .LBB1767_23
; %bb.22:                               ;   in Loop: Header=BB1767_21 Depth=2
	s_lshl_b64 s[14:15], s[34:35], 1
	v_add_co_u32 v15, vcc_lo, v33, s14
	v_add_co_ci_u32_e64 v16, null, s15, v34, vcc_lo
	s_mov_b32 s14, 0
	v_add_co_u32 v19, vcc_lo, 0x800, v15
	v_add_co_ci_u32_e64 v20, null, 0, v16, vcc_lo
	s_clause 0x7
	global_load_ushort v12, v[15:16], off
	global_load_ushort v13, v[15:16], off offset:512
	global_load_ushort v14, v[15:16], off offset:1024
	;; [unrolled: 1-line block ×3, first 2 shown]
	global_load_ushort v16, v[19:20], off
	global_load_ushort v17, v[19:20], off offset:512
	global_load_ushort v18, v[19:20], off offset:1024
	;; [unrolled: 1-line block ×3, first 2 shown]
.LBB1767_23:                            ;   in Loop: Header=BB1767_21 Depth=2
	s_andn2_b32 vcc_lo, exec_lo, s14
	s_movk_i32 s14, 0x800
	s_cbranch_vccnz .LBB1767_34
; %bb.24:                               ;   in Loop: Header=BB1767_21 Depth=2
	s_lshl_b64 s[14:15], s[34:35], 1
	s_mov_b32 s17, exec_lo
	s_add_u32 s14, s40, s14
	s_addc_u32 s15, s41, s15
	v_cmpx_gt_u32_e64 s5, v0
	s_cbranch_execnz .LBB1767_50
; %bb.25:                               ;   in Loop: Header=BB1767_21 Depth=2
	s_or_b32 exec_lo, exec_lo, s17
	s_mov_b32 s17, exec_lo
	v_cmpx_gt_u32_e64 s5, v30
	s_cbranch_execnz .LBB1767_51
.LBB1767_26:                            ;   in Loop: Header=BB1767_21 Depth=2
	s_or_b32 exec_lo, exec_lo, s17
	s_mov_b32 s17, exec_lo
	v_cmpx_gt_u32_e64 s5, v31
	s_cbranch_execnz .LBB1767_52
.LBB1767_27:                            ;   in Loop: Header=BB1767_21 Depth=2
	s_or_b32 exec_lo, exec_lo, s17
	s_mov_b32 s17, exec_lo
	v_cmpx_gt_u32_e64 s5, v32
	s_cbranch_execnz .LBB1767_53
.LBB1767_28:                            ;   in Loop: Header=BB1767_21 Depth=2
	s_or_b32 exec_lo, exec_lo, s17
	s_mov_b32 s17, exec_lo
	v_cmpx_gt_u32_e64 s5, v35
	s_cbranch_execnz .LBB1767_54
.LBB1767_29:                            ;   in Loop: Header=BB1767_21 Depth=2
	s_or_b32 exec_lo, exec_lo, s17
	s_mov_b32 s17, exec_lo
	v_cmpx_gt_u32_e64 s5, v36
	s_cbranch_execnz .LBB1767_55
.LBB1767_30:                            ;   in Loop: Header=BB1767_21 Depth=2
	s_or_b32 exec_lo, exec_lo, s17
	s_mov_b32 s17, exec_lo
	v_cmpx_gt_u32_e64 s5, v37
	s_cbranch_execnz .LBB1767_56
.LBB1767_31:                            ;   in Loop: Header=BB1767_21 Depth=2
	s_or_b32 exec_lo, exec_lo, s17
	s_mov_b32 s17, exec_lo
	v_cmpx_gt_u32_e64 s5, v38
	s_cbranch_execz .LBB1767_33
.LBB1767_32:                            ;   in Loop: Header=BB1767_21 Depth=2
	global_load_ushort v3, v87, s[14:15]
.LBB1767_33:                            ;   in Loop: Header=BB1767_21 Depth=2
	s_or_b32 exec_lo, exec_lo, s17
	s_waitcnt vmcnt(0)
	v_mov_b32_e32 v12, v11
	v_mov_b32_e32 v13, v10
	;; [unrolled: 1-line block ×8, first 2 shown]
	s_mov_b32 s14, s5
.LBB1767_34:                            ;   in Loop: Header=BB1767_21 Depth=2
	s_waitcnt vmcnt(0)
	v_mov_b32_e32 v3, v19
	v_mov_b32_e32 v5, v18
	;; [unrolled: 1-line block ×8, first 2 shown]
	s_mov_b32 s15, exec_lo
	v_cmpx_gt_u32_e64 s14, v0
	s_cbranch_execnz .LBB1767_42
; %bb.35:                               ;   in Loop: Header=BB1767_21 Depth=2
	s_or_b32 exec_lo, exec_lo, s15
	s_mov_b32 s15, exec_lo
	v_cmpx_gt_u32_e64 s14, v30
	s_cbranch_execnz .LBB1767_43
.LBB1767_36:                            ;   in Loop: Header=BB1767_21 Depth=2
	s_or_b32 exec_lo, exec_lo, s15
	s_mov_b32 s15, exec_lo
	v_cmpx_gt_u32_e64 s14, v31
	s_cbranch_execnz .LBB1767_44
.LBB1767_37:                            ;   in Loop: Header=BB1767_21 Depth=2
	s_or_b32 exec_lo, exec_lo, s15
	s_mov_b32 s15, exec_lo
	v_cmpx_gt_u32_e64 s14, v32
	s_cbranch_execnz .LBB1767_45
.LBB1767_38:                            ;   in Loop: Header=BB1767_21 Depth=2
	s_or_b32 exec_lo, exec_lo, s15
	s_mov_b32 s15, exec_lo
	v_cmpx_gt_u32_e64 s14, v35
	s_cbranch_execnz .LBB1767_46
.LBB1767_39:                            ;   in Loop: Header=BB1767_21 Depth=2
	s_or_b32 exec_lo, exec_lo, s15
	s_mov_b32 s15, exec_lo
	v_cmpx_gt_u32_e64 s14, v36
	s_cbranch_execnz .LBB1767_47
.LBB1767_40:                            ;   in Loop: Header=BB1767_21 Depth=2
	s_or_b32 exec_lo, exec_lo, s15
	s_mov_b32 s15, exec_lo
	v_cmpx_gt_u32_e64 s14, v37
	s_cbranch_execnz .LBB1767_48
.LBB1767_41:                            ;   in Loop: Header=BB1767_21 Depth=2
	s_or_b32 exec_lo, exec_lo, s15
	v_cmp_gt_u32_e32 vcc_lo, s14, v38
	s_and_saveexec_b32 s14, vcc_lo
	s_cbranch_execz .LBB1767_20
	s_branch .LBB1767_49
.LBB1767_42:                            ;   in Loop: Header=BB1767_21 Depth=2
	v_cmp_gt_i16_e32 vcc_lo, 0, v11
	v_cndmask_b32_e64 v12, 0x7fff, 0, vcc_lo
	v_xor_b32_e32 v12, v12, v11
	v_cmp_ne_u16_e32 vcc_lo, 0x8000, v12
	v_cndmask_b32_e32 v12, 0x7fff, v12, vcc_lo
	v_lshrrev_b32_sdwa v12, s29, v12 dst_sel:DWORD dst_unused:UNUSED_PAD src0_sel:DWORD src1_sel:WORD_0
	v_and_b32_e32 v12, s42, v12
	v_lshl_or_b32 v12, v12, 4, v40
	ds_add_u32 v12, v62
	s_or_b32 exec_lo, exec_lo, s15
	s_mov_b32 s15, exec_lo
	v_cmpx_gt_u32_e64 s14, v30
	s_cbranch_execz .LBB1767_36
.LBB1767_43:                            ;   in Loop: Header=BB1767_21 Depth=2
	v_cmp_gt_i16_e32 vcc_lo, 0, v10
	v_cndmask_b32_e64 v12, 0x7fff, 0, vcc_lo
	v_xor_b32_e32 v12, v12, v10
	v_cmp_ne_u16_e32 vcc_lo, 0x8000, v12
	v_cndmask_b32_e32 v12, 0x7fff, v12, vcc_lo
	v_lshrrev_b32_sdwa v12, s29, v12 dst_sel:DWORD dst_unused:UNUSED_PAD src0_sel:DWORD src1_sel:WORD_0
	v_and_b32_e32 v12, s42, v12
	v_lshl_or_b32 v12, v12, 4, v40
	ds_add_u32 v12, v62
	s_or_b32 exec_lo, exec_lo, s15
	s_mov_b32 s15, exec_lo
	v_cmpx_gt_u32_e64 s14, v31
	s_cbranch_execz .LBB1767_37
.LBB1767_44:                            ;   in Loop: Header=BB1767_21 Depth=2
	v_cmp_gt_i16_e32 vcc_lo, 0, v9
	v_cndmask_b32_e64 v12, 0x7fff, 0, vcc_lo
	v_xor_b32_e32 v12, v12, v9
	v_cmp_ne_u16_e32 vcc_lo, 0x8000, v12
	v_cndmask_b32_e32 v12, 0x7fff, v12, vcc_lo
	v_lshrrev_b32_sdwa v12, s29, v12 dst_sel:DWORD dst_unused:UNUSED_PAD src0_sel:DWORD src1_sel:WORD_0
	v_and_b32_e32 v12, s42, v12
	v_lshl_or_b32 v12, v12, 4, v40
	ds_add_u32 v12, v62
	s_or_b32 exec_lo, exec_lo, s15
	s_mov_b32 s15, exec_lo
	v_cmpx_gt_u32_e64 s14, v32
	s_cbranch_execz .LBB1767_38
.LBB1767_45:                            ;   in Loop: Header=BB1767_21 Depth=2
	v_cmp_gt_i16_e32 vcc_lo, 0, v8
	v_cndmask_b32_e64 v12, 0x7fff, 0, vcc_lo
	v_xor_b32_e32 v12, v12, v8
	v_cmp_ne_u16_e32 vcc_lo, 0x8000, v12
	v_cndmask_b32_e32 v12, 0x7fff, v12, vcc_lo
	v_lshrrev_b32_sdwa v12, s29, v12 dst_sel:DWORD dst_unused:UNUSED_PAD src0_sel:DWORD src1_sel:WORD_0
	v_and_b32_e32 v12, s42, v12
	v_lshl_or_b32 v12, v12, 4, v40
	ds_add_u32 v12, v62
	s_or_b32 exec_lo, exec_lo, s15
	s_mov_b32 s15, exec_lo
	v_cmpx_gt_u32_e64 s14, v35
	s_cbranch_execz .LBB1767_39
.LBB1767_46:                            ;   in Loop: Header=BB1767_21 Depth=2
	v_cmp_gt_i16_e32 vcc_lo, 0, v7
	v_cndmask_b32_e64 v12, 0x7fff, 0, vcc_lo
	v_xor_b32_e32 v12, v12, v7
	v_cmp_ne_u16_e32 vcc_lo, 0x8000, v12
	v_cndmask_b32_e32 v12, 0x7fff, v12, vcc_lo
	v_lshrrev_b32_sdwa v12, s29, v12 dst_sel:DWORD dst_unused:UNUSED_PAD src0_sel:DWORD src1_sel:WORD_0
	v_and_b32_e32 v12, s42, v12
	v_lshl_or_b32 v12, v12, 4, v40
	ds_add_u32 v12, v62
	s_or_b32 exec_lo, exec_lo, s15
	s_mov_b32 s15, exec_lo
	v_cmpx_gt_u32_e64 s14, v36
	s_cbranch_execz .LBB1767_40
.LBB1767_47:                            ;   in Loop: Header=BB1767_21 Depth=2
	v_cmp_gt_i16_e32 vcc_lo, 0, v6
	v_cndmask_b32_e64 v12, 0x7fff, 0, vcc_lo
	v_xor_b32_e32 v12, v12, v6
	v_cmp_ne_u16_e32 vcc_lo, 0x8000, v12
	v_cndmask_b32_e32 v12, 0x7fff, v12, vcc_lo
	v_lshrrev_b32_sdwa v12, s29, v12 dst_sel:DWORD dst_unused:UNUSED_PAD src0_sel:DWORD src1_sel:WORD_0
	v_and_b32_e32 v12, s42, v12
	v_lshl_or_b32 v12, v12, 4, v40
	ds_add_u32 v12, v62
	s_or_b32 exec_lo, exec_lo, s15
	s_mov_b32 s15, exec_lo
	v_cmpx_gt_u32_e64 s14, v37
	s_cbranch_execz .LBB1767_41
.LBB1767_48:                            ;   in Loop: Header=BB1767_21 Depth=2
	v_cmp_gt_i16_e32 vcc_lo, 0, v5
	v_cndmask_b32_e64 v12, 0x7fff, 0, vcc_lo
	v_xor_b32_e32 v12, v12, v5
	v_cmp_ne_u16_e32 vcc_lo, 0x8000, v12
	v_cndmask_b32_e32 v12, 0x7fff, v12, vcc_lo
	v_lshrrev_b32_sdwa v12, s29, v12 dst_sel:DWORD dst_unused:UNUSED_PAD src0_sel:DWORD src1_sel:WORD_0
	v_and_b32_e32 v12, s42, v12
	v_lshl_or_b32 v12, v12, 4, v40
	ds_add_u32 v12, v62
	s_or_b32 exec_lo, exec_lo, s15
	v_cmp_gt_u32_e32 vcc_lo, s14, v38
	s_and_saveexec_b32 s14, vcc_lo
	s_cbranch_execz .LBB1767_20
.LBB1767_49:                            ;   in Loop: Header=BB1767_21 Depth=2
	v_cmp_gt_i16_e32 vcc_lo, 0, v3
	v_cndmask_b32_e64 v12, 0x7fff, 0, vcc_lo
	v_xor_b32_e32 v12, v12, v3
	v_cmp_ne_u16_e32 vcc_lo, 0x8000, v12
	v_cndmask_b32_e32 v12, 0x7fff, v12, vcc_lo
	v_lshrrev_b32_sdwa v12, s29, v12 dst_sel:DWORD dst_unused:UNUSED_PAD src0_sel:DWORD src1_sel:WORD_0
	v_and_b32_e32 v12, s42, v12
	v_lshl_or_b32 v12, v12, 4, v40
	ds_add_u32 v12, v62
	s_branch .LBB1767_20
.LBB1767_50:                            ;   in Loop: Header=BB1767_21 Depth=2
	global_load_ushort v11, v79, s[14:15]
	s_or_b32 exec_lo, exec_lo, s17
	s_mov_b32 s17, exec_lo
	v_cmpx_gt_u32_e64 s5, v30
	s_cbranch_execz .LBB1767_26
.LBB1767_51:                            ;   in Loop: Header=BB1767_21 Depth=2
	global_load_ushort v10, v79, s[14:15] offset:512
	s_or_b32 exec_lo, exec_lo, s17
	s_mov_b32 s17, exec_lo
	v_cmpx_gt_u32_e64 s5, v31
	s_cbranch_execz .LBB1767_27
.LBB1767_52:                            ;   in Loop: Header=BB1767_21 Depth=2
	global_load_ushort v9, v79, s[14:15] offset:1024
	s_or_b32 exec_lo, exec_lo, s17
	s_mov_b32 s17, exec_lo
	v_cmpx_gt_u32_e64 s5, v32
	s_cbranch_execz .LBB1767_28
.LBB1767_53:                            ;   in Loop: Header=BB1767_21 Depth=2
	global_load_ushort v8, v79, s[14:15] offset:1536
	s_or_b32 exec_lo, exec_lo, s17
	s_mov_b32 s17, exec_lo
	v_cmpx_gt_u32_e64 s5, v35
	s_cbranch_execz .LBB1767_29
.LBB1767_54:                            ;   in Loop: Header=BB1767_21 Depth=2
	global_load_ushort v7, v80, s[14:15]
	s_or_b32 exec_lo, exec_lo, s17
	s_mov_b32 s17, exec_lo
	v_cmpx_gt_u32_e64 s5, v36
	s_cbranch_execz .LBB1767_30
.LBB1767_55:                            ;   in Loop: Header=BB1767_21 Depth=2
	global_load_ushort v6, v81, s[14:15]
	s_or_b32 exec_lo, exec_lo, s17
	s_mov_b32 s17, exec_lo
	v_cmpx_gt_u32_e64 s5, v37
	s_cbranch_execz .LBB1767_31
.LBB1767_56:                            ;   in Loop: Header=BB1767_21 Depth=2
	global_load_ushort v5, v82, s[14:15]
	s_or_b32 exec_lo, exec_lo, s17
	s_mov_b32 s17, exec_lo
	v_cmpx_gt_u32_e64 s5, v38
	s_cbranch_execnz .LBB1767_32
	s_branch .LBB1767_33
.LBB1767_57:                            ;   in Loop: Header=BB1767_17 Depth=1
	v_mov_b32_e32 v3, 0
	s_waitcnt lgkmcnt(0)
	s_barrier
	buffer_gl0_inv
	s_and_saveexec_b32 s5, s8
	s_cbranch_execz .LBB1767_59
; %bb.58:                               ;   in Loop: Header=BB1767_17 Depth=1
	ds_read2_b64 v[5:8], v41 offset1:1
	s_waitcnt lgkmcnt(0)
	v_add_nc_u32_e32 v3, v6, v5
	v_add3_u32 v3, v3, v7, v8
.LBB1767_59:                            ;   in Loop: Header=BB1767_17 Depth=1
	s_or_b32 exec_lo, exec_lo, s5
	v_mov_b32_dpp v5, v3 row_shr:1 row_mask:0xf bank_mask:0xf
	v_cmp_eq_u32_e64 s5, 0, v63
	v_cmp_lt_u32_e64 s14, 1, v63
	v_cmp_lt_u32_e64 s15, 3, v63
	v_cmp_lt_u32_e64 s16, 7, v63
	v_cmp_eq_u32_e64 s17, 0, v65
	v_cndmask_b32_e64 v5, v5, 0, s5
	v_add_nc_u32_e32 v3, v5, v3
	v_mov_b32_dpp v5, v3 row_shr:2 row_mask:0xf bank_mask:0xf
	v_cndmask_b32_e64 v5, 0, v5, s14
	v_add_nc_u32_e32 v3, v3, v5
	v_mov_b32_dpp v5, v3 row_shr:4 row_mask:0xf bank_mask:0xf
	v_cndmask_b32_e64 v5, 0, v5, s15
	v_add_nc_u32_e32 v3, v3, v5
	v_mov_b32_dpp v5, v3 row_shr:8 row_mask:0xf bank_mask:0xf
	v_cndmask_b32_e64 v5, 0, v5, s16
	v_add_nc_u32_e32 v3, v3, v5
	ds_swizzle_b32 v5, v3 offset:swizzle(BROADCAST,32,15)
	s_waitcnt lgkmcnt(0)
	v_and_b32_e32 v5, v64, v5
	v_add_nc_u32_e32 v3, v3, v5
	s_and_saveexec_b32 s18, s9
; %bb.60:                               ;   in Loop: Header=BB1767_17 Depth=1
	ds_write_b32 v42, v3
; %bb.61:                               ;   in Loop: Header=BB1767_17 Depth=1
	s_or_b32 exec_lo, exec_lo, s18
	s_waitcnt lgkmcnt(0)
	s_barrier
	buffer_gl0_inv
	s_and_saveexec_b32 s18, s10
	s_cbranch_execz .LBB1767_63
; %bb.62:                               ;   in Loop: Header=BB1767_17 Depth=1
	ds_read_b32 v5, v43
	v_cmp_ne_u32_e32 vcc_lo, 0, v67
	s_waitcnt lgkmcnt(0)
	v_mov_b32_dpp v6, v5 row_shr:1 row_mask:0xf bank_mask:0xf
	v_cndmask_b32_e32 v6, 0, v6, vcc_lo
	v_cmp_lt_u32_e32 vcc_lo, 1, v67
	v_add_nc_u32_e32 v5, v6, v5
	v_mov_b32_dpp v6, v5 row_shr:2 row_mask:0xf bank_mask:0xf
	v_cndmask_b32_e32 v6, 0, v6, vcc_lo
	v_cmp_lt_u32_e32 vcc_lo, 3, v67
	v_add_nc_u32_e32 v5, v5, v6
	v_mov_b32_dpp v6, v5 row_shr:4 row_mask:0xf bank_mask:0xf
	v_cndmask_b32_e32 v6, 0, v6, vcc_lo
	v_add_nc_u32_e32 v5, v5, v6
	ds_write_b32 v43, v5
.LBB1767_63:                            ;   in Loop: Header=BB1767_17 Depth=1
	s_or_b32 exec_lo, exec_lo, s18
	v_mov_b32_e32 v5, 0
	s_waitcnt lgkmcnt(0)
	s_barrier
	buffer_gl0_inv
	s_and_saveexec_b32 s18, s11
; %bb.64:                               ;   in Loop: Header=BB1767_17 Depth=1
	ds_read_b32 v5, v45
; %bb.65:                               ;   in Loop: Header=BB1767_17 Depth=1
	s_or_b32 exec_lo, exec_lo, s18
	v_cmp_gt_i32_e32 vcc_lo, 0, v68
	s_waitcnt lgkmcnt(0)
	v_add_nc_u32_e32 v3, v5, v3
	s_barrier
	buffer_gl0_inv
	v_cndmask_b32_e32 v6, v68, v59, vcc_lo
	v_lshlrev_b32_e32 v91, 2, v6
	ds_bpermute_b32 v3, v91, v3
	s_and_saveexec_b32 s18, s8
	s_cbranch_execz .LBB1767_67
; %bb.66:                               ;   in Loop: Header=BB1767_17 Depth=1
	s_waitcnt lgkmcnt(0)
	v_cndmask_b32_e64 v3, v3, v5, s13
	v_add_nc_u32_e32 v3, s33, v3
	ds_write_b32 v29, v3
.LBB1767_67:                            ;   in Loop: Header=BB1767_17 Depth=1
	s_or_b32 exec_lo, exec_lo, s18
	s_clause 0x1
	s_load_dword s18, s[30:31], 0x4
	s_load_dword s20, s[30:31], 0xc
	s_mov_b32 s43, s53
	s_mov_b32 s34, s33
                                        ; implicit-def: $vgpr7_vgpr8
                                        ; implicit-def: $vgpr9_vgpr10
                                        ; implicit-def: $vgpr11_vgpr12
                                        ; implicit-def: $vgpr13_vgpr14
                                        ; implicit-def: $vgpr15_vgpr16
                                        ; implicit-def: $vgpr17_vgpr18
                                        ; implicit-def: $vgpr19_vgpr20
                                        ; implicit-def: $vgpr93
                                        ; implicit-def: $vgpr94
                                        ; implicit-def: $vgpr95
                                        ; implicit-def: $vgpr96
                                        ; implicit-def: $vgpr97
                                        ; implicit-def: $vgpr98
                                        ; implicit-def: $vgpr99
                                        ; implicit-def: $vgpr100
	s_waitcnt lgkmcnt(0)
	s_cmp_lt_u32 s7, s18
	s_cselect_b32 s18, 14, 20
	s_add_u32 s18, s30, s18
	s_addc_u32 s19, s31, 0
	global_load_ushort v3, v4, s[18:19]
	s_and_b32 s18, s20, 0xffff
	v_cmp_lt_u32_e64 s19, 1, v67
	v_cmp_lt_u32_e64 s20, 3, v67
	s_waitcnt vmcnt(0)
	v_mad_u32_u24 v3, v2, v3, v1
	v_mad_u64_u32 v[5:6], null, v3, s18, v[0:1]
	v_cmp_eq_u32_e64 s18, 0, v67
	v_lshrrev_b32_e32 v3, 3, v5
                                        ; implicit-def: $vgpr5_vgpr6
	v_and_b32_e32 v92, 0x1ffffffc, v3
	s_branch .LBB1767_69
.LBB1767_68:                            ;   in Loop: Header=BB1767_69 Depth=2
	s_or_b32 exec_lo, exec_lo, s21
	s_addk_i32 s43, 0xf800
	s_cmp_lt_u32 s48, s52
	s_mov_b32 s34, s48
	s_cbranch_scc0 .LBB1767_181
.LBB1767_69:                            ;   Parent Loop BB1767_17 Depth=1
                                        ; =>  This Inner Loop Header: Depth=2
	s_add_i32 s48, s34, 0x800
	s_cmp_gt_u32 s48, s52
	s_cbranch_scc1 .LBB1767_71
; %bb.70:                               ;   in Loop: Header=BB1767_69 Depth=2
	s_lshl_b64 s[22:23], s[34:35], 1
	s_mov_b32 s21, -1
	v_add_co_u32 v21, vcc_lo, v85, s22
	v_add_co_ci_u32_e64 v22, null, s23, v86, vcc_lo
	s_clause 0x6
	global_load_ushort v3, v[21:22], off
	global_load_ushort v28, v[21:22], off offset:64
	global_load_ushort v27, v[21:22], off offset:128
	;; [unrolled: 1-line block ×6, first 2 shown]
	s_movk_i32 s22, 0x800
	s_cbranch_execz .LBB1767_72
	s_branch .LBB1767_87
.LBB1767_71:                            ;   in Loop: Header=BB1767_69 Depth=2
	s_mov_b32 s21, 0
                                        ; implicit-def: $vgpr3
                                        ; implicit-def: $vgpr28
                                        ; implicit-def: $vgpr27
                                        ; implicit-def: $vgpr26
                                        ; implicit-def: $vgpr25
                                        ; implicit-def: $vgpr24
                                        ; implicit-def: $vgpr23
	s_movk_i32 s22, 0x800
.LBB1767_72:                            ;   in Loop: Header=BB1767_69 Depth=2
	s_lshl_b64 s[22:23], s[34:35], 1
	s_waitcnt vmcnt(5)
	v_mov_b32_e32 v28, -1
	v_add_co_u32 v21, vcc_lo, v85, s22
	v_add_co_ci_u32_e64 v22, null, s23, v86, vcc_lo
	v_mov_b32_e32 v3, -1
	s_mov_b32 s21, exec_lo
	v_cmpx_gt_u32_e64 s43, v66
	s_cbranch_execz .LBB1767_74
; %bb.73:                               ;   in Loop: Header=BB1767_69 Depth=2
	global_load_ushort v3, v[21:22], off
.LBB1767_74:                            ;   in Loop: Header=BB1767_69 Depth=2
	s_or_b32 exec_lo, exec_lo, s21
	s_mov_b32 s21, exec_lo
	v_cmpx_gt_u32_e64 s43, v70
	s_cbranch_execz .LBB1767_76
; %bb.75:                               ;   in Loop: Header=BB1767_69 Depth=2
	global_load_ushort v28, v[21:22], off offset:64
.LBB1767_76:                            ;   in Loop: Header=BB1767_69 Depth=2
	s_or_b32 exec_lo, exec_lo, s21
	s_waitcnt vmcnt(3)
	v_mov_b32_e32 v26, -1
	v_mov_b32_e32 v27, -1
	s_mov_b32 s21, exec_lo
	v_cmpx_gt_u32_e64 s43, v71
	s_cbranch_execz .LBB1767_78
; %bb.77:                               ;   in Loop: Header=BB1767_69 Depth=2
	global_load_ushort v27, v[21:22], off offset:128
.LBB1767_78:                            ;   in Loop: Header=BB1767_69 Depth=2
	s_or_b32 exec_lo, exec_lo, s21
	s_mov_b32 s21, exec_lo
	v_cmpx_gt_u32_e64 s43, v72
	s_cbranch_execz .LBB1767_80
; %bb.79:                               ;   in Loop: Header=BB1767_69 Depth=2
	global_load_ushort v26, v[21:22], off offset:192
.LBB1767_80:                            ;   in Loop: Header=BB1767_69 Depth=2
	s_or_b32 exec_lo, exec_lo, s21
	s_waitcnt vmcnt(1)
	v_mov_b32_e32 v24, -1
	v_mov_b32_e32 v25, -1
	s_mov_b32 s21, exec_lo
	v_cmpx_gt_u32_e64 s43, v73
	s_cbranch_execz .LBB1767_82
; %bb.81:                               ;   in Loop: Header=BB1767_69 Depth=2
	global_load_ushort v25, v[21:22], off offset:256
.LBB1767_82:                            ;   in Loop: Header=BB1767_69 Depth=2
	s_or_b32 exec_lo, exec_lo, s21
	s_mov_b32 s21, exec_lo
	v_cmpx_gt_u32_e64 s43, v74
	s_cbranch_execz .LBB1767_84
; %bb.83:                               ;   in Loop: Header=BB1767_69 Depth=2
	global_load_ushort v24, v[21:22], off offset:320
.LBB1767_84:                            ;   in Loop: Header=BB1767_69 Depth=2
	s_or_b32 exec_lo, exec_lo, s21
	s_waitcnt vmcnt(0)
	v_mov_b32_e32 v23, -1
	s_mov_b32 s21, exec_lo
	v_cmpx_gt_u32_e64 s43, v75
	s_cbranch_execz .LBB1767_86
; %bb.85:                               ;   in Loop: Header=BB1767_69 Depth=2
	global_load_ushort v23, v[21:22], off offset:384
.LBB1767_86:                            ;   in Loop: Header=BB1767_69 Depth=2
	s_or_b32 exec_lo, exec_lo, s21
	v_cmp_gt_u32_e64 s21, s43, v76
	s_sub_i32 s22, s52, s34
.LBB1767_87:                            ;   in Loop: Header=BB1767_69 Depth=2
	v_mov_b32_e32 v21, -1
	v_mov_b32_e32 v101, s43
	s_and_saveexec_b32 s23, s21
	s_cbranch_execz .LBB1767_89
; %bb.88:                               ;   in Loop: Header=BB1767_69 Depth=2
	s_lshl_b64 s[24:25], s[34:35], 1
	v_mov_b32_e32 v101, s22
	v_add_co_u32 v21, vcc_lo, v85, s24
	v_add_co_ci_u32_e64 v22, null, s25, v86, vcc_lo
	global_load_ushort v21, v[21:22], off offset:448
.LBB1767_89:                            ;   in Loop: Header=BB1767_69 Depth=2
	s_or_b32 exec_lo, exec_lo, s23
	s_waitcnt vmcnt(6)
	v_cmp_gt_i16_e32 vcc_lo, 0, v3
	ds_write2_b32 v78, v4, v4 offset1:1
	ds_write2_b32 v88, v4, v4 offset1:1
	ds_write2_b32 v89, v4, v4 offset1:1
	ds_write2_b32 v90, v4, v4 offset1:1
	ds_write_b32 v44, v4 offset:1088
	s_waitcnt vmcnt(0) lgkmcnt(0)
	s_barrier
	v_cndmask_b32_e64 v22, 0x7fff, 0, vcc_lo
	buffer_gl0_inv
	; wave barrier
	v_xor_b32_e32 v3, v22, v3
	v_cmp_ne_u16_e32 vcc_lo, 0x8000, v3
	v_cndmask_b32_e32 v22, 0x7fff, v3, vcc_lo
	v_lshrrev_b32_sdwa v22, s29, v22 dst_sel:DWORD dst_unused:UNUSED_PAD src0_sel:DWORD src1_sel:WORD_0
	v_and_b32_e32 v103, s42, v22
	v_and_b32_e32 v22, 1, v103
	v_lshlrev_b32_e32 v102, 30, v103
	v_lshlrev_b32_e32 v104, 29, v103
	;; [unrolled: 1-line block ×4, first 2 shown]
	v_add_co_u32 v22, s21, v22, -1
	v_cndmask_b32_e64 v106, 0, 1, s21
	v_not_b32_e32 v110, v102
	v_cmp_gt_i32_e64 s21, 0, v102
	v_not_b32_e32 v102, v104
	v_lshlrev_b32_e32 v108, 26, v103
	v_cmp_ne_u32_e32 vcc_lo, 0, v106
	v_ashrrev_i32_e32 v110, 31, v110
	v_lshlrev_b32_e32 v109, 25, v103
	v_ashrrev_i32_e32 v102, 31, v102
	v_lshlrev_b32_e32 v106, 24, v103
	v_xor_b32_e32 v22, vcc_lo, v22
	v_cmp_gt_i32_e32 vcc_lo, 0, v104
	v_not_b32_e32 v104, v105
	v_xor_b32_e32 v110, s21, v110
	v_cmp_gt_i32_e64 s21, 0, v105
	v_and_b32_e32 v22, exec_lo, v22
	v_not_b32_e32 v105, v107
	v_ashrrev_i32_e32 v104, 31, v104
	v_xor_b32_e32 v102, vcc_lo, v102
	v_cmp_gt_i32_e32 vcc_lo, 0, v107
	v_and_b32_e32 v22, v22, v110
	v_not_b32_e32 v107, v108
	v_ashrrev_i32_e32 v105, 31, v105
	v_xor_b32_e32 v104, s21, v104
	v_cmp_gt_i32_e64 s21, 0, v108
	v_and_b32_e32 v22, v22, v102
	v_not_b32_e32 v102, v109
	v_ashrrev_i32_e32 v107, 31, v107
	v_xor_b32_e32 v105, vcc_lo, v105
	v_cmp_gt_i32_e32 vcc_lo, 0, v109
	v_and_b32_e32 v22, v22, v104
	v_not_b32_e32 v104, v106
	v_ashrrev_i32_e32 v102, 31, v102
	v_xor_b32_e32 v107, s21, v107
	v_cmp_gt_i32_e64 s21, 0, v106
	v_and_b32_e32 v22, v22, v105
	v_ashrrev_i32_e32 v104, 31, v104
	v_xor_b32_e32 v102, vcc_lo, v102
	v_mul_u32_u24_e32 v103, 36, v103
	v_and_b32_e32 v22, v22, v107
	v_xor_b32_e32 v104, s21, v104
	v_and_b32_e32 v22, v22, v102
	v_and_b32_e32 v22, v22, v104
	v_add_nc_u32_e32 v104, v92, v103
	v_mbcnt_lo_u32_b32 v102, v22, 0
	v_cmp_ne_u32_e64 s21, 0, v22
	v_cmp_eq_u32_e32 vcc_lo, 0, v102
	s_and_b32 s22, s21, vcc_lo
	s_and_saveexec_b32 s21, s22
; %bb.90:                               ;   in Loop: Header=BB1767_69 Depth=2
	v_bcnt_u32_b32 v22, v22, 0
	ds_write_b32 v104, v22 offset:1056
; %bb.91:                               ;   in Loop: Header=BB1767_69 Depth=2
	s_or_b32 exec_lo, exec_lo, s21
	v_cmp_gt_i16_e32 vcc_lo, 0, v28
	; wave barrier
	v_cndmask_b32_e64 v22, 0x7fff, 0, vcc_lo
	v_xor_b32_e32 v103, v22, v28
	v_cmp_ne_u16_e32 vcc_lo, 0x8000, v103
	v_cndmask_b32_e32 v22, 0x7fff, v103, vcc_lo
	v_lshrrev_b32_sdwa v22, s29, v22 dst_sel:DWORD dst_unused:UNUSED_PAD src0_sel:DWORD src1_sel:WORD_0
	v_and_b32_e32 v28, s42, v22
	v_and_b32_e32 v22, 1, v28
	v_lshlrev_b32_e32 v105, 30, v28
	v_lshlrev_b32_e32 v106, 29, v28
	;; [unrolled: 1-line block ×4, first 2 shown]
	v_add_co_u32 v22, s21, v22, -1
	v_cndmask_b32_e64 v108, 0, 1, s21
	v_not_b32_e32 v112, v105
	v_cmp_gt_i32_e64 s21, 0, v105
	v_not_b32_e32 v105, v106
	v_lshlrev_b32_e32 v110, 26, v28
	v_cmp_ne_u32_e32 vcc_lo, 0, v108
	v_ashrrev_i32_e32 v112, 31, v112
	v_lshlrev_b32_e32 v111, 25, v28
	v_ashrrev_i32_e32 v105, 31, v105
	v_lshlrev_b32_e32 v108, 24, v28
	v_xor_b32_e32 v22, vcc_lo, v22
	v_cmp_gt_i32_e32 vcc_lo, 0, v106
	v_not_b32_e32 v106, v107
	v_xor_b32_e32 v112, s21, v112
	v_cmp_gt_i32_e64 s21, 0, v107
	v_and_b32_e32 v22, exec_lo, v22
	v_not_b32_e32 v107, v109
	v_ashrrev_i32_e32 v106, 31, v106
	v_xor_b32_e32 v105, vcc_lo, v105
	v_cmp_gt_i32_e32 vcc_lo, 0, v109
	v_and_b32_e32 v22, v22, v112
	v_not_b32_e32 v109, v110
	v_ashrrev_i32_e32 v107, 31, v107
	v_xor_b32_e32 v106, s21, v106
	v_cmp_gt_i32_e64 s21, 0, v110
	v_and_b32_e32 v22, v22, v105
	v_not_b32_e32 v105, v111
	v_ashrrev_i32_e32 v109, 31, v109
	v_xor_b32_e32 v107, vcc_lo, v107
	v_cmp_gt_i32_e32 vcc_lo, 0, v111
	v_and_b32_e32 v22, v22, v106
	v_not_b32_e32 v106, v108
	v_ashrrev_i32_e32 v105, 31, v105
	v_xor_b32_e32 v109, s21, v109
	v_cmp_gt_i32_e64 s21, 0, v108
	v_and_b32_e32 v22, v22, v107
	v_ashrrev_i32_e32 v106, 31, v106
	v_xor_b32_e32 v105, vcc_lo, v105
	v_mad_u32_u24 v107, v28, 36, v92
	v_mul_u32_u24_e32 v28, 36, v28
	v_and_b32_e32 v22, v22, v109
	v_xor_b32_e32 v106, s21, v106
	v_add_nc_u32_e32 v108, v92, v28
	v_and_b32_e32 v22, v22, v105
	ds_read_b32 v105, v107 offset:1056
	; wave barrier
	v_and_b32_e32 v22, v22, v106
	v_mbcnt_lo_u32_b32 v106, v22, 0
	v_cmp_ne_u32_e64 s21, 0, v22
	v_cmp_eq_u32_e32 vcc_lo, 0, v106
	s_and_b32 s22, s21, vcc_lo
	s_and_saveexec_b32 s21, s22
	s_cbranch_execz .LBB1767_93
; %bb.92:                               ;   in Loop: Header=BB1767_69 Depth=2
	s_waitcnt lgkmcnt(0)
	v_bcnt_u32_b32 v22, v22, v105
	ds_write_b32 v108, v22 offset:1056
.LBB1767_93:                            ;   in Loop: Header=BB1767_69 Depth=2
	s_or_b32 exec_lo, exec_lo, s21
	v_cmp_gt_i16_e32 vcc_lo, 0, v27
	; wave barrier
	v_cndmask_b32_e64 v22, 0x7fff, 0, vcc_lo
	v_xor_b32_e32 v107, v22, v27
	v_cmp_ne_u16_e32 vcc_lo, 0x8000, v107
	v_cndmask_b32_e32 v22, 0x7fff, v107, vcc_lo
	v_lshrrev_b32_sdwa v22, s29, v22 dst_sel:DWORD dst_unused:UNUSED_PAD src0_sel:DWORD src1_sel:WORD_0
	v_and_b32_e32 v27, s42, v22
	v_and_b32_e32 v22, 1, v27
	v_lshlrev_b32_e32 v28, 30, v27
	v_lshlrev_b32_e32 v109, 29, v27
	v_lshlrev_b32_e32 v110, 28, v27
	v_lshlrev_b32_e32 v112, 27, v27
	v_add_co_u32 v22, s21, v22, -1
	v_cndmask_b32_e64 v111, 0, 1, s21
	v_not_b32_e32 v115, v28
	v_cmp_gt_i32_e64 s21, 0, v28
	v_not_b32_e32 v28, v109
	v_lshlrev_b32_e32 v113, 26, v27
	v_cmp_ne_u32_e32 vcc_lo, 0, v111
	v_ashrrev_i32_e32 v115, 31, v115
	v_lshlrev_b32_e32 v114, 25, v27
	v_ashrrev_i32_e32 v28, 31, v28
	v_lshlrev_b32_e32 v111, 24, v27
	v_xor_b32_e32 v22, vcc_lo, v22
	v_cmp_gt_i32_e32 vcc_lo, 0, v109
	v_not_b32_e32 v109, v110
	v_xor_b32_e32 v115, s21, v115
	v_cmp_gt_i32_e64 s21, 0, v110
	v_and_b32_e32 v22, exec_lo, v22
	v_not_b32_e32 v110, v112
	v_ashrrev_i32_e32 v109, 31, v109
	v_xor_b32_e32 v28, vcc_lo, v28
	v_cmp_gt_i32_e32 vcc_lo, 0, v112
	v_and_b32_e32 v22, v22, v115
	v_not_b32_e32 v112, v113
	v_ashrrev_i32_e32 v110, 31, v110
	v_xor_b32_e32 v109, s21, v109
	v_cmp_gt_i32_e64 s21, 0, v113
	v_and_b32_e32 v22, v22, v28
	v_not_b32_e32 v28, v114
	v_ashrrev_i32_e32 v112, 31, v112
	v_xor_b32_e32 v110, vcc_lo, v110
	v_cmp_gt_i32_e32 vcc_lo, 0, v114
	v_and_b32_e32 v22, v22, v109
	v_not_b32_e32 v109, v111
	v_ashrrev_i32_e32 v28, 31, v28
	v_xor_b32_e32 v112, s21, v112
	v_cmp_gt_i32_e64 s21, 0, v111
	v_and_b32_e32 v22, v22, v110
	v_ashrrev_i32_e32 v109, 31, v109
	v_xor_b32_e32 v28, vcc_lo, v28
	v_mad_u32_u24 v110, v27, 36, v92
	v_mul_u32_u24_e32 v27, 36, v27
	v_and_b32_e32 v22, v22, v112
	v_xor_b32_e32 v111, s21, v109
	ds_read_b32 v109, v110 offset:1056
	v_add_nc_u32_e32 v112, v92, v27
	v_and_b32_e32 v22, v22, v28
	; wave barrier
	v_and_b32_e32 v22, v22, v111
	v_mbcnt_lo_u32_b32 v111, v22, 0
	v_cmp_ne_u32_e64 s21, 0, v22
	v_cmp_eq_u32_e32 vcc_lo, 0, v111
	s_and_b32 s22, s21, vcc_lo
	s_and_saveexec_b32 s21, s22
	s_cbranch_execz .LBB1767_95
; %bb.94:                               ;   in Loop: Header=BB1767_69 Depth=2
	s_waitcnt lgkmcnt(0)
	v_bcnt_u32_b32 v22, v22, v109
	ds_write_b32 v112, v22 offset:1056
.LBB1767_95:                            ;   in Loop: Header=BB1767_69 Depth=2
	s_or_b32 exec_lo, exec_lo, s21
	v_cmp_gt_i16_e32 vcc_lo, 0, v26
	; wave barrier
	v_cndmask_b32_e64 v22, 0x7fff, 0, vcc_lo
	v_xor_b32_e32 v110, v22, v26
	v_cmp_ne_u16_e32 vcc_lo, 0x8000, v110
	v_cndmask_b32_e32 v22, 0x7fff, v110, vcc_lo
	v_lshrrev_b32_sdwa v22, s29, v22 dst_sel:DWORD dst_unused:UNUSED_PAD src0_sel:DWORD src1_sel:WORD_0
	v_and_b32_e32 v26, s42, v22
	v_and_b32_e32 v22, 1, v26
	v_lshlrev_b32_e32 v27, 30, v26
	v_lshlrev_b32_e32 v28, 29, v26
	;; [unrolled: 1-line block ×4, first 2 shown]
	v_add_co_u32 v22, s21, v22, -1
	v_cndmask_b32_e64 v114, 0, 1, s21
	v_not_b32_e32 v118, v27
	v_cmp_gt_i32_e64 s21, 0, v27
	v_not_b32_e32 v27, v28
	v_lshlrev_b32_e32 v116, 26, v26
	v_cmp_ne_u32_e32 vcc_lo, 0, v114
	v_ashrrev_i32_e32 v118, 31, v118
	v_lshlrev_b32_e32 v117, 25, v26
	v_ashrrev_i32_e32 v27, 31, v27
	v_lshlrev_b32_e32 v114, 24, v26
	v_xor_b32_e32 v22, vcc_lo, v22
	v_cmp_gt_i32_e32 vcc_lo, 0, v28
	v_not_b32_e32 v28, v113
	v_xor_b32_e32 v118, s21, v118
	v_cmp_gt_i32_e64 s21, 0, v113
	v_and_b32_e32 v22, exec_lo, v22
	v_not_b32_e32 v113, v115
	v_ashrrev_i32_e32 v28, 31, v28
	v_xor_b32_e32 v27, vcc_lo, v27
	v_cmp_gt_i32_e32 vcc_lo, 0, v115
	v_and_b32_e32 v22, v22, v118
	v_not_b32_e32 v115, v116
	v_ashrrev_i32_e32 v113, 31, v113
	v_xor_b32_e32 v28, s21, v28
	v_cmp_gt_i32_e64 s21, 0, v116
	v_and_b32_e32 v22, v22, v27
	v_not_b32_e32 v27, v117
	v_ashrrev_i32_e32 v115, 31, v115
	v_xor_b32_e32 v113, vcc_lo, v113
	v_cmp_gt_i32_e32 vcc_lo, 0, v117
	v_and_b32_e32 v22, v22, v28
	v_not_b32_e32 v28, v114
	v_ashrrev_i32_e32 v27, 31, v27
	v_xor_b32_e32 v115, s21, v115
	v_cmp_gt_i32_e64 s21, 0, v114
	v_and_b32_e32 v22, v22, v113
	v_ashrrev_i32_e32 v28, 31, v28
	v_xor_b32_e32 v27, vcc_lo, v27
	v_mad_u32_u24 v113, v26, 36, v92
	v_mul_u32_u24_e32 v26, 36, v26
	v_and_b32_e32 v22, v22, v115
	v_xor_b32_e32 v28, s21, v28
	ds_read_b32 v113, v113 offset:1056
	v_add_nc_u32_e32 v116, v92, v26
	v_and_b32_e32 v22, v22, v27
	; wave barrier
	v_and_b32_e32 v22, v22, v28
	v_mbcnt_lo_u32_b32 v115, v22, 0
	v_cmp_ne_u32_e64 s21, 0, v22
	v_cmp_eq_u32_e32 vcc_lo, 0, v115
	s_and_b32 s22, s21, vcc_lo
	s_and_saveexec_b32 s21, s22
	s_cbranch_execz .LBB1767_97
; %bb.96:                               ;   in Loop: Header=BB1767_69 Depth=2
	s_waitcnt lgkmcnt(0)
	v_bcnt_u32_b32 v22, v22, v113
	ds_write_b32 v116, v22 offset:1056
.LBB1767_97:                            ;   in Loop: Header=BB1767_69 Depth=2
	s_or_b32 exec_lo, exec_lo, s21
	v_cmp_gt_i16_e32 vcc_lo, 0, v25
	; wave barrier
	v_cndmask_b32_e64 v22, 0x7fff, 0, vcc_lo
	v_xor_b32_e32 v114, v22, v25
	v_cmp_ne_u16_e32 vcc_lo, 0x8000, v114
	v_cndmask_b32_e32 v22, 0x7fff, v114, vcc_lo
	v_lshrrev_b32_sdwa v22, s29, v22 dst_sel:DWORD dst_unused:UNUSED_PAD src0_sel:DWORD src1_sel:WORD_0
	v_and_b32_e32 v25, s42, v22
	v_and_b32_e32 v22, 1, v25
	v_lshlrev_b32_e32 v26, 30, v25
	v_lshlrev_b32_e32 v27, 29, v25
	;; [unrolled: 1-line block ×4, first 2 shown]
	v_add_co_u32 v22, s21, v22, -1
	v_cndmask_b32_e64 v117, 0, 1, s21
	v_not_b32_e32 v121, v26
	v_cmp_gt_i32_e64 s21, 0, v26
	v_not_b32_e32 v26, v27
	v_lshlrev_b32_e32 v119, 26, v25
	v_cmp_ne_u32_e32 vcc_lo, 0, v117
	v_ashrrev_i32_e32 v121, 31, v121
	v_lshlrev_b32_e32 v120, 25, v25
	v_ashrrev_i32_e32 v26, 31, v26
	v_lshlrev_b32_e32 v117, 24, v25
	v_xor_b32_e32 v22, vcc_lo, v22
	v_cmp_gt_i32_e32 vcc_lo, 0, v27
	v_not_b32_e32 v27, v28
	v_xor_b32_e32 v121, s21, v121
	v_cmp_gt_i32_e64 s21, 0, v28
	v_and_b32_e32 v22, exec_lo, v22
	v_not_b32_e32 v28, v118
	v_ashrrev_i32_e32 v27, 31, v27
	v_xor_b32_e32 v26, vcc_lo, v26
	v_cmp_gt_i32_e32 vcc_lo, 0, v118
	v_and_b32_e32 v22, v22, v121
	v_not_b32_e32 v118, v119
	v_ashrrev_i32_e32 v28, 31, v28
	v_xor_b32_e32 v27, s21, v27
	v_cmp_gt_i32_e64 s21, 0, v119
	v_and_b32_e32 v22, v22, v26
	v_not_b32_e32 v26, v120
	v_ashrrev_i32_e32 v118, 31, v118
	v_xor_b32_e32 v28, vcc_lo, v28
	v_cmp_gt_i32_e32 vcc_lo, 0, v120
	v_and_b32_e32 v22, v22, v27
	v_not_b32_e32 v27, v117
	v_ashrrev_i32_e32 v26, 31, v26
	v_xor_b32_e32 v118, s21, v118
	v_cmp_gt_i32_e64 s21, 0, v117
	v_and_b32_e32 v22, v22, v28
	v_ashrrev_i32_e32 v27, 31, v27
	v_xor_b32_e32 v26, vcc_lo, v26
	v_mad_u32_u24 v28, v25, 36, v92
	v_mul_u32_u24_e32 v25, 36, v25
	v_and_b32_e32 v22, v22, v118
	v_xor_b32_e32 v27, s21, v27
	ds_read_b32 v117, v28 offset:1056
	v_add_nc_u32_e32 v120, v92, v25
	v_and_b32_e32 v22, v22, v26
	; wave barrier
	v_and_b32_e32 v22, v22, v27
	v_mbcnt_lo_u32_b32 v119, v22, 0
	v_cmp_ne_u32_e64 s21, 0, v22
	v_cmp_eq_u32_e32 vcc_lo, 0, v119
	s_and_b32 s22, s21, vcc_lo
	s_and_saveexec_b32 s21, s22
	s_cbranch_execz .LBB1767_99
; %bb.98:                               ;   in Loop: Header=BB1767_69 Depth=2
	s_waitcnt lgkmcnt(0)
	v_bcnt_u32_b32 v22, v22, v117
	ds_write_b32 v120, v22 offset:1056
.LBB1767_99:                            ;   in Loop: Header=BB1767_69 Depth=2
	s_or_b32 exec_lo, exec_lo, s21
	v_cmp_gt_i16_e32 vcc_lo, 0, v24
	; wave barrier
	v_cndmask_b32_e64 v22, 0x7fff, 0, vcc_lo
	v_xor_b32_e32 v118, v22, v24
	v_cmp_ne_u16_e32 vcc_lo, 0x8000, v118
	v_cndmask_b32_e32 v22, 0x7fff, v118, vcc_lo
	v_lshrrev_b32_sdwa v22, s29, v22 dst_sel:DWORD dst_unused:UNUSED_PAD src0_sel:DWORD src1_sel:WORD_0
	v_and_b32_e32 v24, s42, v22
	v_and_b32_e32 v22, 1, v24
	v_lshlrev_b32_e32 v25, 30, v24
	v_lshlrev_b32_e32 v26, 29, v24
	;; [unrolled: 1-line block ×4, first 2 shown]
	v_add_co_u32 v22, s21, v22, -1
	v_cndmask_b32_e64 v28, 0, 1, s21
	v_not_b32_e32 v124, v25
	v_cmp_gt_i32_e64 s21, 0, v25
	v_not_b32_e32 v25, v26
	v_lshlrev_b32_e32 v122, 26, v24
	v_cmp_ne_u32_e32 vcc_lo, 0, v28
	v_ashrrev_i32_e32 v124, 31, v124
	v_lshlrev_b32_e32 v123, 25, v24
	v_ashrrev_i32_e32 v25, 31, v25
	v_lshlrev_b32_e32 v28, 24, v24
	v_xor_b32_e32 v22, vcc_lo, v22
	v_cmp_gt_i32_e32 vcc_lo, 0, v26
	v_not_b32_e32 v26, v27
	v_xor_b32_e32 v124, s21, v124
	v_cmp_gt_i32_e64 s21, 0, v27
	v_and_b32_e32 v22, exec_lo, v22
	v_not_b32_e32 v27, v121
	v_ashrrev_i32_e32 v26, 31, v26
	v_xor_b32_e32 v25, vcc_lo, v25
	v_cmp_gt_i32_e32 vcc_lo, 0, v121
	v_and_b32_e32 v22, v22, v124
	v_not_b32_e32 v121, v122
	v_ashrrev_i32_e32 v27, 31, v27
	v_xor_b32_e32 v26, s21, v26
	v_cmp_gt_i32_e64 s21, 0, v122
	v_and_b32_e32 v22, v22, v25
	v_not_b32_e32 v25, v123
	v_ashrrev_i32_e32 v121, 31, v121
	v_xor_b32_e32 v27, vcc_lo, v27
	v_cmp_gt_i32_e32 vcc_lo, 0, v123
	v_and_b32_e32 v22, v22, v26
	v_not_b32_e32 v26, v28
	v_ashrrev_i32_e32 v25, 31, v25
	v_xor_b32_e32 v121, s21, v121
	v_cmp_gt_i32_e64 s21, 0, v28
	v_and_b32_e32 v22, v22, v27
	v_ashrrev_i32_e32 v26, 31, v26
	v_xor_b32_e32 v25, vcc_lo, v25
	v_mad_u32_u24 v27, v24, 36, v92
	v_mul_u32_u24_e32 v24, 36, v24
	v_and_b32_e32 v22, v22, v121
	v_xor_b32_e32 v26, s21, v26
	ds_read_b32 v121, v27 offset:1056
	v_add_nc_u32_e32 v124, v92, v24
	v_and_b32_e32 v22, v22, v25
	; wave barrier
	v_and_b32_e32 v22, v22, v26
	v_mbcnt_lo_u32_b32 v123, v22, 0
	v_cmp_ne_u32_e64 s21, 0, v22
	v_cmp_eq_u32_e32 vcc_lo, 0, v123
	s_and_b32 s22, s21, vcc_lo
	s_and_saveexec_b32 s21, s22
	s_cbranch_execz .LBB1767_101
; %bb.100:                              ;   in Loop: Header=BB1767_69 Depth=2
	s_waitcnt lgkmcnt(0)
	v_bcnt_u32_b32 v22, v22, v121
	ds_write_b32 v124, v22 offset:1056
.LBB1767_101:                           ;   in Loop: Header=BB1767_69 Depth=2
	s_or_b32 exec_lo, exec_lo, s21
	v_cmp_gt_i16_e32 vcc_lo, 0, v23
	; wave barrier
	v_cndmask_b32_e64 v22, 0x7fff, 0, vcc_lo
	v_xor_b32_e32 v122, v22, v23
	v_cmp_ne_u16_e32 vcc_lo, 0x8000, v122
	v_cndmask_b32_e32 v22, 0x7fff, v122, vcc_lo
	v_lshrrev_b32_sdwa v22, s29, v22 dst_sel:DWORD dst_unused:UNUSED_PAD src0_sel:DWORD src1_sel:WORD_0
	v_and_b32_e32 v23, s42, v22
	v_and_b32_e32 v22, 1, v23
	v_lshlrev_b32_e32 v24, 30, v23
	v_lshlrev_b32_e32 v25, 29, v23
	;; [unrolled: 1-line block ×4, first 2 shown]
	v_add_co_u32 v22, s21, v22, -1
	v_cndmask_b32_e64 v27, 0, 1, s21
	v_not_b32_e32 v127, v24
	v_cmp_gt_i32_e64 s21, 0, v24
	v_not_b32_e32 v24, v25
	v_lshlrev_b32_e32 v125, 26, v23
	v_cmp_ne_u32_e32 vcc_lo, 0, v27
	v_ashrrev_i32_e32 v127, 31, v127
	v_lshlrev_b32_e32 v126, 25, v23
	v_ashrrev_i32_e32 v24, 31, v24
	v_lshlrev_b32_e32 v27, 24, v23
	v_xor_b32_e32 v22, vcc_lo, v22
	v_cmp_gt_i32_e32 vcc_lo, 0, v25
	v_not_b32_e32 v25, v26
	v_xor_b32_e32 v127, s21, v127
	v_cmp_gt_i32_e64 s21, 0, v26
	v_and_b32_e32 v22, exec_lo, v22
	v_not_b32_e32 v26, v28
	v_ashrrev_i32_e32 v25, 31, v25
	v_xor_b32_e32 v24, vcc_lo, v24
	v_cmp_gt_i32_e32 vcc_lo, 0, v28
	v_and_b32_e32 v22, v22, v127
	v_not_b32_e32 v28, v125
	v_ashrrev_i32_e32 v26, 31, v26
	v_xor_b32_e32 v25, s21, v25
	v_cmp_gt_i32_e64 s21, 0, v125
	v_and_b32_e32 v22, v22, v24
	v_not_b32_e32 v24, v126
	v_ashrrev_i32_e32 v28, 31, v28
	v_xor_b32_e32 v26, vcc_lo, v26
	v_cmp_gt_i32_e32 vcc_lo, 0, v126
	v_and_b32_e32 v22, v22, v25
	v_not_b32_e32 v25, v27
	v_ashrrev_i32_e32 v24, 31, v24
	v_xor_b32_e32 v28, s21, v28
	v_cmp_gt_i32_e64 s21, 0, v27
	v_and_b32_e32 v22, v22, v26
	v_ashrrev_i32_e32 v25, 31, v25
	v_xor_b32_e32 v24, vcc_lo, v24
	v_mad_u32_u24 v26, v23, 36, v92
	v_mul_u32_u24_e32 v23, 36, v23
	v_and_b32_e32 v22, v22, v28
	v_xor_b32_e32 v25, s21, v25
	ds_read_b32 v125, v26 offset:1056
	v_add_nc_u32_e32 v128, v92, v23
	v_and_b32_e32 v22, v22, v24
	; wave barrier
	v_and_b32_e32 v22, v22, v25
	v_mbcnt_lo_u32_b32 v127, v22, 0
	v_cmp_ne_u32_e64 s21, 0, v22
	v_cmp_eq_u32_e32 vcc_lo, 0, v127
	s_and_b32 s22, s21, vcc_lo
	s_and_saveexec_b32 s21, s22
	s_cbranch_execz .LBB1767_103
; %bb.102:                              ;   in Loop: Header=BB1767_69 Depth=2
	s_waitcnt lgkmcnt(0)
	v_bcnt_u32_b32 v22, v22, v125
	ds_write_b32 v128, v22 offset:1056
.LBB1767_103:                           ;   in Loop: Header=BB1767_69 Depth=2
	s_or_b32 exec_lo, exec_lo, s21
	v_cmp_gt_i16_e32 vcc_lo, 0, v21
	; wave barrier
	v_cndmask_b32_e64 v22, 0x7fff, 0, vcc_lo
	v_xor_b32_e32 v126, v22, v21
	v_cmp_ne_u16_e32 vcc_lo, 0x8000, v126
	v_cndmask_b32_e32 v21, 0x7fff, v126, vcc_lo
	v_lshrrev_b32_sdwa v21, s29, v21 dst_sel:DWORD dst_unused:UNUSED_PAD src0_sel:DWORD src1_sel:WORD_0
	v_and_b32_e32 v22, s42, v21
	v_and_b32_e32 v21, 1, v22
	v_lshlrev_b32_e32 v23, 30, v22
	v_lshlrev_b32_e32 v24, 29, v22
	v_lshlrev_b32_e32 v25, 28, v22
	v_lshlrev_b32_e32 v27, 27, v22
	v_add_co_u32 v21, s21, v21, -1
	v_cndmask_b32_e64 v26, 0, 1, s21
	v_not_b32_e32 v130, v23
	v_cmp_gt_i32_e64 s21, 0, v23
	v_not_b32_e32 v23, v24
	v_lshlrev_b32_e32 v28, 26, v22
	v_cmp_ne_u32_e32 vcc_lo, 0, v26
	v_ashrrev_i32_e32 v130, 31, v130
	v_lshlrev_b32_e32 v129, 25, v22
	v_ashrrev_i32_e32 v23, 31, v23
	v_lshlrev_b32_e32 v26, 24, v22
	v_xor_b32_e32 v21, vcc_lo, v21
	v_cmp_gt_i32_e32 vcc_lo, 0, v24
	v_not_b32_e32 v24, v25
	v_xor_b32_e32 v130, s21, v130
	v_cmp_gt_i32_e64 s21, 0, v25
	v_and_b32_e32 v21, exec_lo, v21
	v_not_b32_e32 v25, v27
	v_ashrrev_i32_e32 v24, 31, v24
	v_xor_b32_e32 v23, vcc_lo, v23
	v_cmp_gt_i32_e32 vcc_lo, 0, v27
	v_and_b32_e32 v21, v21, v130
	v_not_b32_e32 v27, v28
	v_ashrrev_i32_e32 v25, 31, v25
	v_xor_b32_e32 v24, s21, v24
	v_cmp_gt_i32_e64 s21, 0, v28
	v_and_b32_e32 v21, v21, v23
	v_not_b32_e32 v23, v129
	v_ashrrev_i32_e32 v27, 31, v27
	v_xor_b32_e32 v25, vcc_lo, v25
	v_cmp_gt_i32_e32 vcc_lo, 0, v129
	v_and_b32_e32 v21, v21, v24
	v_not_b32_e32 v24, v26
	v_ashrrev_i32_e32 v23, 31, v23
	v_xor_b32_e32 v27, s21, v27
	v_cmp_gt_i32_e64 s21, 0, v26
	v_and_b32_e32 v21, v21, v25
	v_ashrrev_i32_e32 v24, 31, v24
	v_xor_b32_e32 v23, vcc_lo, v23
	v_mad_u32_u24 v25, v22, 36, v92
	v_mul_u32_u24_e32 v22, 36, v22
	v_and_b32_e32 v21, v21, v27
	v_xor_b32_e32 v24, s21, v24
	ds_read_b32 v129, v25 offset:1056
	v_add_nc_u32_e32 v131, v92, v22
	v_and_b32_e32 v21, v21, v23
	; wave barrier
	v_and_b32_e32 v21, v21, v24
	v_mbcnt_lo_u32_b32 v130, v21, 0
	v_cmp_ne_u32_e64 s21, 0, v21
	v_cmp_eq_u32_e32 vcc_lo, 0, v130
	s_and_b32 s22, s21, vcc_lo
	s_and_saveexec_b32 s21, s22
	s_cbranch_execz .LBB1767_105
; %bb.104:                              ;   in Loop: Header=BB1767_69 Depth=2
	s_waitcnt lgkmcnt(0)
	v_bcnt_u32_b32 v21, v21, v129
	ds_write_b32 v131, v21 offset:1056
.LBB1767_105:                           ;   in Loop: Header=BB1767_69 Depth=2
	s_or_b32 exec_lo, exec_lo, s21
	; wave barrier
	s_waitcnt lgkmcnt(0)
	s_barrier
	buffer_gl0_inv
	ds_read2_b32 v[27:28], v78 offset1:1
	ds_read2_b32 v[25:26], v88 offset1:1
	;; [unrolled: 1-line block ×4, first 2 shown]
	ds_read_b32 v132, v44 offset:1088
	s_waitcnt lgkmcnt(3)
	v_add3_u32 v133, v28, v27, v25
	s_waitcnt lgkmcnt(2)
	v_add3_u32 v133, v133, v26, v23
	;; [unrolled: 2-line block ×4, first 2 shown]
	v_mov_b32_dpp v133, v132 row_shr:1 row_mask:0xf bank_mask:0xf
	v_cndmask_b32_e64 v133, v133, 0, s5
	v_add_nc_u32_e32 v132, v133, v132
	v_mov_b32_dpp v133, v132 row_shr:2 row_mask:0xf bank_mask:0xf
	v_cndmask_b32_e64 v133, 0, v133, s14
	v_add_nc_u32_e32 v132, v132, v133
	v_mov_b32_dpp v133, v132 row_shr:4 row_mask:0xf bank_mask:0xf
	v_cndmask_b32_e64 v133, 0, v133, s15
	v_add_nc_u32_e32 v132, v132, v133
	v_mov_b32_dpp v133, v132 row_shr:8 row_mask:0xf bank_mask:0xf
	v_cndmask_b32_e64 v133, 0, v133, s16
	v_add_nc_u32_e32 v132, v132, v133
	ds_swizzle_b32 v133, v132 offset:swizzle(BROADCAST,32,15)
	s_waitcnt lgkmcnt(0)
	v_cndmask_b32_e64 v133, v133, 0, s17
	v_add_nc_u32_e32 v132, v132, v133
	s_and_saveexec_b32 s21, s9
; %bb.106:                              ;   in Loop: Header=BB1767_69 Depth=2
	ds_write_b32 v39, v132 offset:1024
; %bb.107:                              ;   in Loop: Header=BB1767_69 Depth=2
	s_or_b32 exec_lo, exec_lo, s21
	s_waitcnt lgkmcnt(0)
	s_barrier
	buffer_gl0_inv
	s_and_saveexec_b32 s21, s10
	s_cbranch_execz .LBB1767_109
; %bb.108:                              ;   in Loop: Header=BB1767_69 Depth=2
	ds_read_b32 v133, v46 offset:1024
	s_waitcnt lgkmcnt(0)
	v_mov_b32_dpp v134, v133 row_shr:1 row_mask:0xf bank_mask:0xf
	v_cndmask_b32_e64 v134, v134, 0, s18
	v_add_nc_u32_e32 v133, v134, v133
	v_mov_b32_dpp v134, v133 row_shr:2 row_mask:0xf bank_mask:0xf
	v_cndmask_b32_e64 v134, 0, v134, s19
	v_add_nc_u32_e32 v133, v133, v134
	;; [unrolled: 3-line block ×3, first 2 shown]
	ds_write_b32 v46, v133 offset:1024
.LBB1767_109:                           ;   in Loop: Header=BB1767_69 Depth=2
	s_or_b32 exec_lo, exec_lo, s21
	v_mov_b32_e32 v133, 0
	s_waitcnt lgkmcnt(0)
	s_barrier
	buffer_gl0_inv
	s_and_saveexec_b32 s21, s11
; %bb.110:                              ;   in Loop: Header=BB1767_69 Depth=2
	ds_read_b32 v133, v39 offset:1020
; %bb.111:                              ;   in Loop: Header=BB1767_69 Depth=2
	s_or_b32 exec_lo, exec_lo, s21
	s_waitcnt lgkmcnt(0)
	v_add_nc_u32_e32 v132, v133, v132
	ds_bpermute_b32 v132, v91, v132
	s_waitcnt lgkmcnt(0)
	v_cndmask_b32_e64 v132, v132, v133, s13
	v_cndmask_b32_e64 v132, v132, 0, s4
	v_add_nc_u32_e32 v27, v132, v27
	v_add_nc_u32_e32 v28, v27, v28
	;; [unrolled: 1-line block ×8, first 2 shown]
	ds_write2_b32 v78, v132, v27 offset1:1
	ds_write2_b32 v88, v28, v25 offset1:1
	;; [unrolled: 1-line block ×4, first 2 shown]
	ds_write_b32 v44, v22 offset:1088
	s_waitcnt lgkmcnt(0)
	s_barrier
	buffer_gl0_inv
	ds_read_b32 v24, v104 offset:1056
	ds_read_b32 v25, v108 offset:1056
	ds_read_b32 v26, v112 offset:1056
	ds_read_b32 v27, v116 offset:1056
	ds_read_b32 v28, v120 offset:1056
	ds_read_b32 v112, v124 offset:1056
	ds_read_b32 v22, v128 offset:1056
	ds_read_b32 v21, v131 offset:1056
	ds_read_b32 v104, v44 offset:1056
	v_mov_b32_e32 v23, 0x800
	s_and_saveexec_b32 s21, s12
; %bb.112:                              ;   in Loop: Header=BB1767_69 Depth=2
	ds_read_b32 v23, v44 offset:1092
; %bb.113:                              ;   in Loop: Header=BB1767_69 Depth=2
	s_or_b32 exec_lo, exec_lo, s21
	s_waitcnt lgkmcnt(0)
	s_barrier
	buffer_gl0_inv
	s_and_saveexec_b32 s21, s8
	s_cbranch_execz .LBB1767_115
; %bb.114:                              ;   in Loop: Header=BB1767_69 Depth=2
	ds_read_b32 v108, v29
	s_waitcnt lgkmcnt(0)
	v_sub_nc_u32_e32 v104, v108, v104
	ds_write_b32 v29, v104
.LBB1767_115:                           ;   in Loop: Header=BB1767_69 Depth=2
	s_or_b32 exec_lo, exec_lo, s21
	v_add_nc_u32_e32 v108, v24, v102
	v_add3_u32 v104, v106, v105, v25
	v_add3_u32 v102, v111, v109, v26
	;; [unrolled: 1-line block ×4, first 2 shown]
	v_lshlrev_b32_e32 v105, 1, v108
	v_lshlrev_b32_e32 v106, 1, v104
	v_add3_u32 v27, v127, v125, v22
	v_lshlrev_b32_e32 v22, 1, v102
	v_add3_u32 v28, v130, v129, v21
	ds_write_b16 v105, v3 offset:1024
	ds_write_b16 v106, v103 offset:1024
	v_lshlrev_b32_e32 v3, 1, v26
	v_add3_u32 v24, v123, v121, v112
	ds_write_b16 v22, v107 offset:1024
	v_lshlrev_b32_e32 v21, 1, v25
	v_cmp_lt_u32_e32 vcc_lo, v0, v101
	ds_write_b16 v3, v110 offset:1024
	v_lshlrev_b32_e32 v3, 1, v28
	v_lshlrev_b32_e32 v22, 1, v24
	;; [unrolled: 1-line block ×3, first 2 shown]
	ds_write_b16 v21, v114 offset:1024
	ds_write_b16 v22, v118 offset:1024
	;; [unrolled: 1-line block ×4, first 2 shown]
	s_waitcnt lgkmcnt(0)
	s_barrier
	buffer_gl0_inv
	s_and_saveexec_b32 s22, vcc_lo
	s_cbranch_execnz .LBB1767_152
; %bb.116:                              ;   in Loop: Header=BB1767_69 Depth=2
	s_or_b32 exec_lo, exec_lo, s22
	v_cmp_lt_u32_e64 s21, v30, v101
	s_and_saveexec_b32 s23, s21
	s_cbranch_execnz .LBB1767_153
.LBB1767_117:                           ;   in Loop: Header=BB1767_69 Depth=2
	s_or_b32 exec_lo, exec_lo, s23
	v_cmp_lt_u32_e64 s22, v31, v101
	s_and_saveexec_b32 s24, s22
	s_cbranch_execnz .LBB1767_154
.LBB1767_118:                           ;   in Loop: Header=BB1767_69 Depth=2
	s_or_b32 exec_lo, exec_lo, s24
	v_cmp_lt_u32_e64 s23, v32, v101
	s_and_saveexec_b32 s25, s23
	s_cbranch_execnz .LBB1767_155
.LBB1767_119:                           ;   in Loop: Header=BB1767_69 Depth=2
	s_or_b32 exec_lo, exec_lo, s25
	v_cmp_lt_u32_e64 s24, v35, v101
	s_and_saveexec_b32 s26, s24
	s_cbranch_execnz .LBB1767_156
.LBB1767_120:                           ;   in Loop: Header=BB1767_69 Depth=2
	s_or_b32 exec_lo, exec_lo, s26
	v_cmp_lt_u32_e64 s25, v36, v101
	s_and_saveexec_b32 s27, s25
	s_cbranch_execnz .LBB1767_157
.LBB1767_121:                           ;   in Loop: Header=BB1767_69 Depth=2
	s_or_b32 exec_lo, exec_lo, s27
	v_cmp_lt_u32_e64 s26, v37, v101
	s_and_saveexec_b32 s28, s26
	s_cbranch_execnz .LBB1767_158
.LBB1767_122:                           ;   in Loop: Header=BB1767_69 Depth=2
	s_or_b32 exec_lo, exec_lo, s28
	v_cmp_lt_u32_e64 s27, v38, v101
	s_and_saveexec_b32 s54, s27
	s_cbranch_execz .LBB1767_124
.LBB1767_123:                           ;   in Loop: Header=BB1767_69 Depth=2
	ds_read_u16 v103, v47 offset:4608
	s_waitcnt lgkmcnt(0)
	v_cmp_ne_u16_e64 s28, 0x8000, v103
	v_cndmask_b32_e64 v3, 0x7fff, v103, s28
	v_cmp_gt_i16_e64 s28, 0, v103
	v_lshrrev_b32_sdwa v3, s29, v3 dst_sel:DWORD dst_unused:UNUSED_PAD src0_sel:DWORD src1_sel:WORD_0
	v_cndmask_b32_e64 v105, 0x7fff, 0, s28
	v_and_b32_e32 v3, s42, v3
	v_lshlrev_b32_e32 v3, 2, v3
	ds_read_b32 v3, v3
	s_waitcnt lgkmcnt(0)
	v_add_nc_u32_e32 v3, v3, v38
	v_lshlrev_b64 v[21:22], 1, v[3:4]
	v_xor_b32_e32 v3, v105, v103
	v_add_co_u32 v21, s28, s38, v21
	v_add_co_ci_u32_e64 v22, null, s39, v22, s28
	global_store_short v[21:22], v3, off
.LBB1767_124:                           ;   in Loop: Header=BB1767_69 Depth=2
	s_or_b32 exec_lo, exec_lo, s54
	s_lshl_b64 s[54:55], s[34:35], 3
	v_add_co_u32 v21, s28, v83, s54
	v_add_co_ci_u32_e64 v22, null, s55, v84, s28
	v_cmp_lt_u32_e64 s28, v66, v101
	s_and_saveexec_b32 s34, s28
	s_xor_b32 s28, exec_lo, s34
	s_cbranch_execnz .LBB1767_159
; %bb.125:                              ;   in Loop: Header=BB1767_69 Depth=2
	s_or_b32 exec_lo, exec_lo, s28
	s_mov_b32 s34, exec_lo
	v_cmpx_lt_u32_e64 v70, v101
	s_cbranch_execnz .LBB1767_160
.LBB1767_126:                           ;   in Loop: Header=BB1767_69 Depth=2
	s_or_b32 exec_lo, exec_lo, s34
	s_mov_b32 s34, exec_lo
	v_cmpx_lt_u32_e64 v71, v101
	s_cbranch_execnz .LBB1767_161
.LBB1767_127:                           ;   in Loop: Header=BB1767_69 Depth=2
	s_or_b32 exec_lo, exec_lo, s34
	s_mov_b32 s34, exec_lo
	v_cmpx_lt_u32_e64 v72, v101
	s_cbranch_execnz .LBB1767_162
.LBB1767_128:                           ;   in Loop: Header=BB1767_69 Depth=2
	s_or_b32 exec_lo, exec_lo, s34
	s_mov_b32 s34, exec_lo
	v_cmpx_lt_u32_e64 v73, v101
	s_cbranch_execnz .LBB1767_163
.LBB1767_129:                           ;   in Loop: Header=BB1767_69 Depth=2
	s_or_b32 exec_lo, exec_lo, s34
	s_mov_b32 s34, exec_lo
	v_cmpx_lt_u32_e64 v74, v101
	s_cbranch_execnz .LBB1767_164
.LBB1767_130:                           ;   in Loop: Header=BB1767_69 Depth=2
	s_or_b32 exec_lo, exec_lo, s34
	s_mov_b32 s34, exec_lo
	v_cmpx_lt_u32_e64 v75, v101
	s_cbranch_execnz .LBB1767_165
.LBB1767_131:                           ;   in Loop: Header=BB1767_69 Depth=2
	s_or_b32 exec_lo, exec_lo, s34
	s_mov_b32 s34, exec_lo
	v_cmpx_lt_u32_e64 v76, v101
	s_cbranch_execnz .LBB1767_166
.LBB1767_132:                           ;   in Loop: Header=BB1767_69 Depth=2
	s_or_b32 exec_lo, exec_lo, s34
	s_and_saveexec_b32 s34, vcc_lo
	s_cbranch_execnz .LBB1767_167
.LBB1767_133:                           ;   in Loop: Header=BB1767_69 Depth=2
	s_or_b32 exec_lo, exec_lo, s34
	s_and_saveexec_b32 s34, s21
	s_cbranch_execnz .LBB1767_168
.LBB1767_134:                           ;   in Loop: Header=BB1767_69 Depth=2
	s_or_b32 exec_lo, exec_lo, s34
	s_and_saveexec_b32 s34, s22
	s_cbranch_execnz .LBB1767_169
.LBB1767_135:                           ;   in Loop: Header=BB1767_69 Depth=2
	s_or_b32 exec_lo, exec_lo, s34
	s_and_saveexec_b32 s34, s23
	s_cbranch_execnz .LBB1767_170
.LBB1767_136:                           ;   in Loop: Header=BB1767_69 Depth=2
	s_or_b32 exec_lo, exec_lo, s34
	s_and_saveexec_b32 s34, s24
	s_cbranch_execnz .LBB1767_171
.LBB1767_137:                           ;   in Loop: Header=BB1767_69 Depth=2
	s_or_b32 exec_lo, exec_lo, s34
	s_and_saveexec_b32 s34, s25
	s_cbranch_execnz .LBB1767_172
.LBB1767_138:                           ;   in Loop: Header=BB1767_69 Depth=2
	s_or_b32 exec_lo, exec_lo, s34
	s_and_saveexec_b32 s34, s26
	s_cbranch_execnz .LBB1767_173
.LBB1767_139:                           ;   in Loop: Header=BB1767_69 Depth=2
	s_or_b32 exec_lo, exec_lo, s34
	s_and_saveexec_b32 s34, s27
	s_cbranch_execz .LBB1767_141
.LBB1767_140:                           ;   in Loop: Header=BB1767_69 Depth=2
	ds_read_u16 v3, v47 offset:4608
	s_waitcnt lgkmcnt(0)
	v_cmp_ne_u16_e64 s28, 0x8000, v3
	v_cndmask_b32_e64 v3, 0x7fff, v3, s28
	v_lshrrev_b32_sdwa v3, s29, v3 dst_sel:DWORD dst_unused:UNUSED_PAD src0_sel:DWORD src1_sel:WORD_0
	v_and_b32_e32 v93, s42, v3
.LBB1767_141:                           ;   in Loop: Header=BB1767_69 Depth=2
	s_or_b32 exec_lo, exec_lo, s34
	v_lshlrev_b32_e32 v3, 3, v108
	v_lshlrev_b32_e32 v21, 3, v104
	;; [unrolled: 1-line block ×3, first 2 shown]
	s_waitcnt vmcnt(0)
	s_waitcnt_vscnt null, 0x0
	s_barrier
	buffer_gl0_inv
	ds_write_b64 v3, v[19:20] offset:1024
	ds_write_b64 v21, v[17:18] offset:1024
	;; [unrolled: 1-line block ×3, first 2 shown]
	v_lshlrev_b32_e32 v3, 3, v26
	v_lshlrev_b32_e32 v21, 3, v25
	;; [unrolled: 1-line block ×5, first 2 shown]
	ds_write_b64 v3, v[13:14] offset:1024
	ds_write_b64 v21, v[11:12] offset:1024
	;; [unrolled: 1-line block ×5, first 2 shown]
	s_waitcnt lgkmcnt(0)
	s_barrier
	buffer_gl0_inv
	s_and_saveexec_b32 s28, vcc_lo
	s_cbranch_execnz .LBB1767_174
; %bb.142:                              ;   in Loop: Header=BB1767_69 Depth=2
	s_or_b32 exec_lo, exec_lo, s28
	s_and_saveexec_b32 s28, s21
	s_cbranch_execnz .LBB1767_175
.LBB1767_143:                           ;   in Loop: Header=BB1767_69 Depth=2
	s_or_b32 exec_lo, exec_lo, s28
	s_and_saveexec_b32 s21, s22
	s_cbranch_execnz .LBB1767_176
.LBB1767_144:                           ;   in Loop: Header=BB1767_69 Depth=2
	s_or_b32 exec_lo, exec_lo, s21
	s_and_saveexec_b32 s21, s23
	s_cbranch_execnz .LBB1767_177
.LBB1767_145:                           ;   in Loop: Header=BB1767_69 Depth=2
	s_or_b32 exec_lo, exec_lo, s21
	s_and_saveexec_b32 s21, s24
	s_cbranch_execnz .LBB1767_178
.LBB1767_146:                           ;   in Loop: Header=BB1767_69 Depth=2
	s_or_b32 exec_lo, exec_lo, s21
	s_and_saveexec_b32 s21, s25
	s_cbranch_execnz .LBB1767_179
.LBB1767_147:                           ;   in Loop: Header=BB1767_69 Depth=2
	s_or_b32 exec_lo, exec_lo, s21
	s_and_saveexec_b32 s21, s26
	s_cbranch_execnz .LBB1767_180
.LBB1767_148:                           ;   in Loop: Header=BB1767_69 Depth=2
	s_or_b32 exec_lo, exec_lo, s21
	s_and_saveexec_b32 s21, s27
	s_cbranch_execz .LBB1767_150
.LBB1767_149:                           ;   in Loop: Header=BB1767_69 Depth=2
	v_lshlrev_b32_e32 v3, 2, v93
	v_add_nc_u32_e32 v21, v47, v48
	ds_read_b32 v3, v3
	ds_read_b64 v[21:22], v21 offset:15360
	s_waitcnt lgkmcnt(1)
	v_add_nc_u32_e32 v3, v3, v38
	v_lshlrev_b64 v[24:25], 3, v[3:4]
	v_add_co_u32 v24, vcc_lo, s44, v24
	v_add_co_ci_u32_e64 v25, null, s45, v25, vcc_lo
	s_waitcnt lgkmcnt(0)
	global_store_dwordx2 v[24:25], v[21:22], off
.LBB1767_150:                           ;   in Loop: Header=BB1767_69 Depth=2
	s_or_b32 exec_lo, exec_lo, s21
	s_waitcnt_vscnt null, 0x0
	s_barrier
	buffer_gl0_inv
	s_and_saveexec_b32 s21, s8
	s_cbranch_execz .LBB1767_68
; %bb.151:                              ;   in Loop: Header=BB1767_69 Depth=2
	ds_read_b32 v3, v29
	s_waitcnt lgkmcnt(0)
	v_add_nc_u32_e32 v3, v3, v23
	ds_write_b32 v29, v3
	s_branch .LBB1767_68
.LBB1767_152:                           ;   in Loop: Header=BB1767_69 Depth=2
	ds_read_u16 v103, v47 offset:1024
	s_waitcnt lgkmcnt(0)
	v_cmp_ne_u16_e64 s21, 0x8000, v103
	v_cndmask_b32_e64 v3, 0x7fff, v103, s21
	v_cmp_gt_i16_e64 s21, 0, v103
	v_lshrrev_b32_sdwa v3, s29, v3 dst_sel:DWORD dst_unused:UNUSED_PAD src0_sel:DWORD src1_sel:WORD_0
	v_cndmask_b32_e64 v105, 0x7fff, 0, s21
	v_and_b32_e32 v3, s42, v3
	v_lshlrev_b32_e32 v3, 2, v3
	ds_read_b32 v3, v3
	s_waitcnt lgkmcnt(0)
	v_add_nc_u32_e32 v3, v3, v0
	v_lshlrev_b64 v[21:22], 1, v[3:4]
	v_xor_b32_e32 v3, v105, v103
	v_add_co_u32 v21, s21, s38, v21
	v_add_co_ci_u32_e64 v22, null, s39, v22, s21
	global_store_short v[21:22], v3, off
	s_or_b32 exec_lo, exec_lo, s22
	v_cmp_lt_u32_e64 s21, v30, v101
	s_and_saveexec_b32 s23, s21
	s_cbranch_execz .LBB1767_117
.LBB1767_153:                           ;   in Loop: Header=BB1767_69 Depth=2
	ds_read_u16 v103, v47 offset:1536
	s_waitcnt lgkmcnt(0)
	v_cmp_ne_u16_e64 s22, 0x8000, v103
	v_cndmask_b32_e64 v3, 0x7fff, v103, s22
	v_cmp_gt_i16_e64 s22, 0, v103
	v_lshrrev_b32_sdwa v3, s29, v3 dst_sel:DWORD dst_unused:UNUSED_PAD src0_sel:DWORD src1_sel:WORD_0
	v_cndmask_b32_e64 v105, 0x7fff, 0, s22
	v_and_b32_e32 v3, s42, v3
	v_lshlrev_b32_e32 v3, 2, v3
	ds_read_b32 v3, v3
	s_waitcnt lgkmcnt(0)
	v_add_nc_u32_e32 v3, v3, v30
	v_lshlrev_b64 v[21:22], 1, v[3:4]
	v_xor_b32_e32 v3, v105, v103
	v_add_co_u32 v21, s22, s38, v21
	v_add_co_ci_u32_e64 v22, null, s39, v22, s22
	global_store_short v[21:22], v3, off
	s_or_b32 exec_lo, exec_lo, s23
	v_cmp_lt_u32_e64 s22, v31, v101
	s_and_saveexec_b32 s24, s22
	s_cbranch_execz .LBB1767_118
.LBB1767_154:                           ;   in Loop: Header=BB1767_69 Depth=2
	ds_read_u16 v103, v47 offset:2048
	s_waitcnt lgkmcnt(0)
	v_cmp_ne_u16_e64 s23, 0x8000, v103
	v_cndmask_b32_e64 v3, 0x7fff, v103, s23
	v_cmp_gt_i16_e64 s23, 0, v103
	v_lshrrev_b32_sdwa v3, s29, v3 dst_sel:DWORD dst_unused:UNUSED_PAD src0_sel:DWORD src1_sel:WORD_0
	v_cndmask_b32_e64 v105, 0x7fff, 0, s23
	v_and_b32_e32 v3, s42, v3
	v_lshlrev_b32_e32 v3, 2, v3
	ds_read_b32 v3, v3
	s_waitcnt lgkmcnt(0)
	v_add_nc_u32_e32 v3, v3, v31
	v_lshlrev_b64 v[21:22], 1, v[3:4]
	v_xor_b32_e32 v3, v105, v103
	v_add_co_u32 v21, s23, s38, v21
	v_add_co_ci_u32_e64 v22, null, s39, v22, s23
	global_store_short v[21:22], v3, off
	s_or_b32 exec_lo, exec_lo, s24
	v_cmp_lt_u32_e64 s23, v32, v101
	s_and_saveexec_b32 s25, s23
	s_cbranch_execz .LBB1767_119
.LBB1767_155:                           ;   in Loop: Header=BB1767_69 Depth=2
	ds_read_u16 v103, v47 offset:2560
	s_waitcnt lgkmcnt(0)
	v_cmp_ne_u16_e64 s24, 0x8000, v103
	v_cndmask_b32_e64 v3, 0x7fff, v103, s24
	v_cmp_gt_i16_e64 s24, 0, v103
	v_lshrrev_b32_sdwa v3, s29, v3 dst_sel:DWORD dst_unused:UNUSED_PAD src0_sel:DWORD src1_sel:WORD_0
	v_cndmask_b32_e64 v105, 0x7fff, 0, s24
	v_and_b32_e32 v3, s42, v3
	v_lshlrev_b32_e32 v3, 2, v3
	ds_read_b32 v3, v3
	s_waitcnt lgkmcnt(0)
	v_add_nc_u32_e32 v3, v3, v32
	v_lshlrev_b64 v[21:22], 1, v[3:4]
	v_xor_b32_e32 v3, v105, v103
	v_add_co_u32 v21, s24, s38, v21
	v_add_co_ci_u32_e64 v22, null, s39, v22, s24
	global_store_short v[21:22], v3, off
	s_or_b32 exec_lo, exec_lo, s25
	v_cmp_lt_u32_e64 s24, v35, v101
	s_and_saveexec_b32 s26, s24
	s_cbranch_execz .LBB1767_120
.LBB1767_156:                           ;   in Loop: Header=BB1767_69 Depth=2
	ds_read_u16 v103, v47 offset:3072
	s_waitcnt lgkmcnt(0)
	v_cmp_ne_u16_e64 s25, 0x8000, v103
	v_cndmask_b32_e64 v3, 0x7fff, v103, s25
	v_cmp_gt_i16_e64 s25, 0, v103
	v_lshrrev_b32_sdwa v3, s29, v3 dst_sel:DWORD dst_unused:UNUSED_PAD src0_sel:DWORD src1_sel:WORD_0
	v_cndmask_b32_e64 v105, 0x7fff, 0, s25
	v_and_b32_e32 v3, s42, v3
	v_lshlrev_b32_e32 v3, 2, v3
	ds_read_b32 v3, v3
	s_waitcnt lgkmcnt(0)
	v_add_nc_u32_e32 v3, v3, v35
	v_lshlrev_b64 v[21:22], 1, v[3:4]
	v_xor_b32_e32 v3, v105, v103
	v_add_co_u32 v21, s25, s38, v21
	v_add_co_ci_u32_e64 v22, null, s39, v22, s25
	global_store_short v[21:22], v3, off
	s_or_b32 exec_lo, exec_lo, s26
	v_cmp_lt_u32_e64 s25, v36, v101
	s_and_saveexec_b32 s27, s25
	s_cbranch_execz .LBB1767_121
.LBB1767_157:                           ;   in Loop: Header=BB1767_69 Depth=2
	ds_read_u16 v103, v47 offset:3584
	s_waitcnt lgkmcnt(0)
	v_cmp_ne_u16_e64 s26, 0x8000, v103
	v_cndmask_b32_e64 v3, 0x7fff, v103, s26
	v_cmp_gt_i16_e64 s26, 0, v103
	v_lshrrev_b32_sdwa v3, s29, v3 dst_sel:DWORD dst_unused:UNUSED_PAD src0_sel:DWORD src1_sel:WORD_0
	v_cndmask_b32_e64 v105, 0x7fff, 0, s26
	v_and_b32_e32 v3, s42, v3
	v_lshlrev_b32_e32 v3, 2, v3
	ds_read_b32 v3, v3
	s_waitcnt lgkmcnt(0)
	v_add_nc_u32_e32 v3, v3, v36
	v_lshlrev_b64 v[21:22], 1, v[3:4]
	v_xor_b32_e32 v3, v105, v103
	v_add_co_u32 v21, s26, s38, v21
	v_add_co_ci_u32_e64 v22, null, s39, v22, s26
	global_store_short v[21:22], v3, off
	s_or_b32 exec_lo, exec_lo, s27
	v_cmp_lt_u32_e64 s26, v37, v101
	s_and_saveexec_b32 s28, s26
	s_cbranch_execz .LBB1767_122
.LBB1767_158:                           ;   in Loop: Header=BB1767_69 Depth=2
	ds_read_u16 v103, v47 offset:4096
	s_waitcnt lgkmcnt(0)
	v_cmp_ne_u16_e64 s27, 0x8000, v103
	v_cndmask_b32_e64 v3, 0x7fff, v103, s27
	v_cmp_gt_i16_e64 s27, 0, v103
	v_lshrrev_b32_sdwa v3, s29, v3 dst_sel:DWORD dst_unused:UNUSED_PAD src0_sel:DWORD src1_sel:WORD_0
	v_cndmask_b32_e64 v105, 0x7fff, 0, s27
	v_and_b32_e32 v3, s42, v3
	v_lshlrev_b32_e32 v3, 2, v3
	ds_read_b32 v3, v3
	s_waitcnt lgkmcnt(0)
	v_add_nc_u32_e32 v3, v3, v37
	v_lshlrev_b64 v[21:22], 1, v[3:4]
	v_xor_b32_e32 v3, v105, v103
	v_add_co_u32 v21, s27, s38, v21
	v_add_co_ci_u32_e64 v22, null, s39, v22, s27
	global_store_short v[21:22], v3, off
	s_or_b32 exec_lo, exec_lo, s28
	v_cmp_lt_u32_e64 s27, v38, v101
	s_and_saveexec_b32 s54, s27
	s_cbranch_execnz .LBB1767_123
	s_branch .LBB1767_124
.LBB1767_159:                           ;   in Loop: Header=BB1767_69 Depth=2
	global_load_dwordx2 v[19:20], v[21:22], off
	s_or_b32 exec_lo, exec_lo, s28
	s_mov_b32 s34, exec_lo
	v_cmpx_lt_u32_e64 v70, v101
	s_cbranch_execz .LBB1767_126
.LBB1767_160:                           ;   in Loop: Header=BB1767_69 Depth=2
	global_load_dwordx2 v[17:18], v[21:22], off offset:256
	s_or_b32 exec_lo, exec_lo, s34
	s_mov_b32 s34, exec_lo
	v_cmpx_lt_u32_e64 v71, v101
	s_cbranch_execz .LBB1767_127
.LBB1767_161:                           ;   in Loop: Header=BB1767_69 Depth=2
	global_load_dwordx2 v[15:16], v[21:22], off offset:512
	s_or_b32 exec_lo, exec_lo, s34
	s_mov_b32 s34, exec_lo
	v_cmpx_lt_u32_e64 v72, v101
	s_cbranch_execz .LBB1767_128
.LBB1767_162:                           ;   in Loop: Header=BB1767_69 Depth=2
	global_load_dwordx2 v[13:14], v[21:22], off offset:768
	s_or_b32 exec_lo, exec_lo, s34
	s_mov_b32 s34, exec_lo
	v_cmpx_lt_u32_e64 v73, v101
	s_cbranch_execz .LBB1767_129
.LBB1767_163:                           ;   in Loop: Header=BB1767_69 Depth=2
	global_load_dwordx2 v[11:12], v[21:22], off offset:1024
	s_or_b32 exec_lo, exec_lo, s34
	s_mov_b32 s34, exec_lo
	v_cmpx_lt_u32_e64 v74, v101
	s_cbranch_execz .LBB1767_130
.LBB1767_164:                           ;   in Loop: Header=BB1767_69 Depth=2
	global_load_dwordx2 v[9:10], v[21:22], off offset:1280
	s_or_b32 exec_lo, exec_lo, s34
	s_mov_b32 s34, exec_lo
	v_cmpx_lt_u32_e64 v75, v101
	s_cbranch_execz .LBB1767_131
.LBB1767_165:                           ;   in Loop: Header=BB1767_69 Depth=2
	global_load_dwordx2 v[7:8], v[21:22], off offset:1536
	s_or_b32 exec_lo, exec_lo, s34
	s_mov_b32 s34, exec_lo
	v_cmpx_lt_u32_e64 v76, v101
	s_cbranch_execz .LBB1767_132
.LBB1767_166:                           ;   in Loop: Header=BB1767_69 Depth=2
	global_load_dwordx2 v[5:6], v[21:22], off offset:1792
	s_or_b32 exec_lo, exec_lo, s34
	s_and_saveexec_b32 s34, vcc_lo
	s_cbranch_execz .LBB1767_133
.LBB1767_167:                           ;   in Loop: Header=BB1767_69 Depth=2
	ds_read_u16 v3, v47 offset:1024
	s_waitcnt lgkmcnt(0)
	v_cmp_ne_u16_e64 s28, 0x8000, v3
	v_cndmask_b32_e64 v3, 0x7fff, v3, s28
	v_lshrrev_b32_sdwa v3, s29, v3 dst_sel:DWORD dst_unused:UNUSED_PAD src0_sel:DWORD src1_sel:WORD_0
	v_and_b32_e32 v100, s42, v3
	s_or_b32 exec_lo, exec_lo, s34
	s_and_saveexec_b32 s34, s21
	s_cbranch_execz .LBB1767_134
.LBB1767_168:                           ;   in Loop: Header=BB1767_69 Depth=2
	ds_read_u16 v3, v47 offset:1536
	s_waitcnt lgkmcnt(0)
	v_cmp_ne_u16_e64 s28, 0x8000, v3
	v_cndmask_b32_e64 v3, 0x7fff, v3, s28
	v_lshrrev_b32_sdwa v3, s29, v3 dst_sel:DWORD dst_unused:UNUSED_PAD src0_sel:DWORD src1_sel:WORD_0
	v_and_b32_e32 v99, s42, v3
	s_or_b32 exec_lo, exec_lo, s34
	s_and_saveexec_b32 s34, s22
	s_cbranch_execz .LBB1767_135
.LBB1767_169:                           ;   in Loop: Header=BB1767_69 Depth=2
	ds_read_u16 v3, v47 offset:2048
	s_waitcnt lgkmcnt(0)
	v_cmp_ne_u16_e64 s28, 0x8000, v3
	v_cndmask_b32_e64 v3, 0x7fff, v3, s28
	v_lshrrev_b32_sdwa v3, s29, v3 dst_sel:DWORD dst_unused:UNUSED_PAD src0_sel:DWORD src1_sel:WORD_0
	v_and_b32_e32 v98, s42, v3
	s_or_b32 exec_lo, exec_lo, s34
	s_and_saveexec_b32 s34, s23
	s_cbranch_execz .LBB1767_136
.LBB1767_170:                           ;   in Loop: Header=BB1767_69 Depth=2
	ds_read_u16 v3, v47 offset:2560
	s_waitcnt lgkmcnt(0)
	v_cmp_ne_u16_e64 s28, 0x8000, v3
	v_cndmask_b32_e64 v3, 0x7fff, v3, s28
	v_lshrrev_b32_sdwa v3, s29, v3 dst_sel:DWORD dst_unused:UNUSED_PAD src0_sel:DWORD src1_sel:WORD_0
	v_and_b32_e32 v97, s42, v3
	s_or_b32 exec_lo, exec_lo, s34
	s_and_saveexec_b32 s34, s24
	s_cbranch_execz .LBB1767_137
.LBB1767_171:                           ;   in Loop: Header=BB1767_69 Depth=2
	ds_read_u16 v3, v47 offset:3072
	s_waitcnt lgkmcnt(0)
	v_cmp_ne_u16_e64 s28, 0x8000, v3
	v_cndmask_b32_e64 v3, 0x7fff, v3, s28
	v_lshrrev_b32_sdwa v3, s29, v3 dst_sel:DWORD dst_unused:UNUSED_PAD src0_sel:DWORD src1_sel:WORD_0
	v_and_b32_e32 v96, s42, v3
	s_or_b32 exec_lo, exec_lo, s34
	s_and_saveexec_b32 s34, s25
	s_cbranch_execz .LBB1767_138
.LBB1767_172:                           ;   in Loop: Header=BB1767_69 Depth=2
	ds_read_u16 v3, v47 offset:3584
	s_waitcnt lgkmcnt(0)
	v_cmp_ne_u16_e64 s28, 0x8000, v3
	v_cndmask_b32_e64 v3, 0x7fff, v3, s28
	v_lshrrev_b32_sdwa v3, s29, v3 dst_sel:DWORD dst_unused:UNUSED_PAD src0_sel:DWORD src1_sel:WORD_0
	v_and_b32_e32 v95, s42, v3
	s_or_b32 exec_lo, exec_lo, s34
	s_and_saveexec_b32 s34, s26
	s_cbranch_execz .LBB1767_139
.LBB1767_173:                           ;   in Loop: Header=BB1767_69 Depth=2
	ds_read_u16 v3, v47 offset:4096
	s_waitcnt lgkmcnt(0)
	v_cmp_ne_u16_e64 s28, 0x8000, v3
	v_cndmask_b32_e64 v3, 0x7fff, v3, s28
	v_lshrrev_b32_sdwa v3, s29, v3 dst_sel:DWORD dst_unused:UNUSED_PAD src0_sel:DWORD src1_sel:WORD_0
	v_and_b32_e32 v94, s42, v3
	s_or_b32 exec_lo, exec_lo, s34
	s_and_saveexec_b32 s34, s27
	s_cbranch_execnz .LBB1767_140
	s_branch .LBB1767_141
.LBB1767_174:                           ;   in Loop: Header=BB1767_69 Depth=2
	v_lshlrev_b32_e32 v3, 2, v100
	v_add_nc_u32_e32 v21, v47, v48
	ds_read_b32 v3, v3
	ds_read_b64 v[21:22], v21 offset:1024
	s_waitcnt lgkmcnt(1)
	v_add_nc_u32_e32 v3, v3, v0
	v_lshlrev_b64 v[24:25], 3, v[3:4]
	v_add_co_u32 v24, vcc_lo, s44, v24
	v_add_co_ci_u32_e64 v25, null, s45, v25, vcc_lo
	s_waitcnt lgkmcnt(0)
	global_store_dwordx2 v[24:25], v[21:22], off
	s_or_b32 exec_lo, exec_lo, s28
	s_and_saveexec_b32 s28, s21
	s_cbranch_execz .LBB1767_143
.LBB1767_175:                           ;   in Loop: Header=BB1767_69 Depth=2
	v_lshlrev_b32_e32 v3, 2, v99
	v_add_nc_u32_e32 v21, v47, v48
	ds_read_b32 v3, v3
	ds_read_b64 v[21:22], v21 offset:3072
	s_waitcnt lgkmcnt(1)
	v_add_nc_u32_e32 v3, v3, v30
	v_lshlrev_b64 v[24:25], 3, v[3:4]
	v_add_co_u32 v24, vcc_lo, s44, v24
	v_add_co_ci_u32_e64 v25, null, s45, v25, vcc_lo
	s_waitcnt lgkmcnt(0)
	global_store_dwordx2 v[24:25], v[21:22], off
	s_or_b32 exec_lo, exec_lo, s28
	s_and_saveexec_b32 s21, s22
	s_cbranch_execz .LBB1767_144
.LBB1767_176:                           ;   in Loop: Header=BB1767_69 Depth=2
	v_lshlrev_b32_e32 v3, 2, v98
	v_add_nc_u32_e32 v21, v47, v48
	ds_read_b32 v3, v3
	ds_read_b64 v[21:22], v21 offset:5120
	s_waitcnt lgkmcnt(1)
	v_add_nc_u32_e32 v3, v3, v31
	v_lshlrev_b64 v[24:25], 3, v[3:4]
	v_add_co_u32 v24, vcc_lo, s44, v24
	v_add_co_ci_u32_e64 v25, null, s45, v25, vcc_lo
	s_waitcnt lgkmcnt(0)
	global_store_dwordx2 v[24:25], v[21:22], off
	s_or_b32 exec_lo, exec_lo, s21
	s_and_saveexec_b32 s21, s23
	s_cbranch_execz .LBB1767_145
.LBB1767_177:                           ;   in Loop: Header=BB1767_69 Depth=2
	v_lshlrev_b32_e32 v3, 2, v97
	v_add_nc_u32_e32 v21, v47, v48
	ds_read_b32 v3, v3
	ds_read_b64 v[21:22], v21 offset:7168
	s_waitcnt lgkmcnt(1)
	v_add_nc_u32_e32 v3, v3, v32
	v_lshlrev_b64 v[24:25], 3, v[3:4]
	v_add_co_u32 v24, vcc_lo, s44, v24
	v_add_co_ci_u32_e64 v25, null, s45, v25, vcc_lo
	s_waitcnt lgkmcnt(0)
	global_store_dwordx2 v[24:25], v[21:22], off
	s_or_b32 exec_lo, exec_lo, s21
	s_and_saveexec_b32 s21, s24
	s_cbranch_execz .LBB1767_146
.LBB1767_178:                           ;   in Loop: Header=BB1767_69 Depth=2
	v_lshlrev_b32_e32 v3, 2, v96
	v_add_nc_u32_e32 v21, v47, v48
	ds_read_b32 v3, v3
	ds_read_b64 v[21:22], v21 offset:9216
	s_waitcnt lgkmcnt(1)
	v_add_nc_u32_e32 v3, v3, v35
	v_lshlrev_b64 v[24:25], 3, v[3:4]
	v_add_co_u32 v24, vcc_lo, s44, v24
	v_add_co_ci_u32_e64 v25, null, s45, v25, vcc_lo
	s_waitcnt lgkmcnt(0)
	global_store_dwordx2 v[24:25], v[21:22], off
	s_or_b32 exec_lo, exec_lo, s21
	s_and_saveexec_b32 s21, s25
	s_cbranch_execz .LBB1767_147
.LBB1767_179:                           ;   in Loop: Header=BB1767_69 Depth=2
	v_lshlrev_b32_e32 v3, 2, v95
	v_add_nc_u32_e32 v21, v47, v48
	ds_read_b32 v3, v3
	ds_read_b64 v[21:22], v21 offset:11264
	s_waitcnt lgkmcnt(1)
	v_add_nc_u32_e32 v3, v3, v36
	v_lshlrev_b64 v[24:25], 3, v[3:4]
	v_add_co_u32 v24, vcc_lo, s44, v24
	v_add_co_ci_u32_e64 v25, null, s45, v25, vcc_lo
	s_waitcnt lgkmcnt(0)
	global_store_dwordx2 v[24:25], v[21:22], off
	s_or_b32 exec_lo, exec_lo, s21
	s_and_saveexec_b32 s21, s26
	s_cbranch_execz .LBB1767_148
.LBB1767_180:                           ;   in Loop: Header=BB1767_69 Depth=2
	v_lshlrev_b32_e32 v3, 2, v94
	v_add_nc_u32_e32 v21, v47, v48
	ds_read_b32 v3, v3
	ds_read_b64 v[21:22], v21 offset:13312
	s_waitcnt lgkmcnt(1)
	v_add_nc_u32_e32 v3, v3, v37
	v_lshlrev_b64 v[24:25], 3, v[3:4]
	v_add_co_u32 v24, vcc_lo, s44, v24
	v_add_co_ci_u32_e64 v25, null, s45, v25, vcc_lo
	s_waitcnt lgkmcnt(0)
	global_store_dwordx2 v[24:25], v[21:22], off
	s_or_b32 exec_lo, exec_lo, s21
	s_and_saveexec_b32 s21, s27
	s_cbranch_execnz .LBB1767_149
	s_branch .LBB1767_150
.LBB1767_181:                           ;   in Loop: Header=BB1767_17 Depth=1
	s_waitcnt lgkmcnt(0)
	s_mov_b32 s5, 0
	s_barrier
.LBB1767_182:                           ;   in Loop: Header=BB1767_17 Depth=1
	s_and_b32 vcc_lo, exec_lo, s5
	s_cbranch_vccz .LBB1767_346
; %bb.183:                              ;   in Loop: Header=BB1767_17 Depth=1
	s_mov_b32 s5, s53
	s_mov_b32 s34, s33
	s_barrier
	buffer_gl0_inv
                                        ; implicit-def: $vgpr3
                                        ; implicit-def: $vgpr5
                                        ; implicit-def: $vgpr6
                                        ; implicit-def: $vgpr7
                                        ; implicit-def: $vgpr8
                                        ; implicit-def: $vgpr9
                                        ; implicit-def: $vgpr10
                                        ; implicit-def: $vgpr11
	s_branch .LBB1767_185
.LBB1767_184:                           ;   in Loop: Header=BB1767_185 Depth=2
	s_or_b32 exec_lo, exec_lo, s14
	s_addk_i32 s5, 0xf800
	s_cmp_ge_u32 s16, s52
	s_mov_b32 s34, s16
	s_cbranch_scc1 .LBB1767_221
.LBB1767_185:                           ;   Parent Loop BB1767_17 Depth=1
                                        ; =>  This Inner Loop Header: Depth=2
	s_add_i32 s16, s34, 0x800
	s_mov_b32 s14, -1
	s_cmp_gt_u32 s16, s52
                                        ; implicit-def: $vgpr12
                                        ; implicit-def: $vgpr13
                                        ; implicit-def: $vgpr14
                                        ; implicit-def: $vgpr15
                                        ; implicit-def: $vgpr16
                                        ; implicit-def: $vgpr17
                                        ; implicit-def: $vgpr18
                                        ; implicit-def: $vgpr19
	s_cbranch_scc1 .LBB1767_187
; %bb.186:                              ;   in Loop: Header=BB1767_185 Depth=2
	s_lshl_b64 s[14:15], s[34:35], 1
	v_add_co_u32 v15, vcc_lo, v49, s14
	v_add_co_ci_u32_e64 v16, null, s15, v50, vcc_lo
	s_mov_b32 s14, 0
	v_add_co_u32 v19, vcc_lo, 0x800, v15
	v_add_co_ci_u32_e64 v20, null, 0, v16, vcc_lo
	s_clause 0x7
	global_load_ushort v12, v[15:16], off
	global_load_ushort v13, v[15:16], off offset:512
	global_load_ushort v14, v[15:16], off offset:1024
	;; [unrolled: 1-line block ×3, first 2 shown]
	global_load_ushort v16, v[19:20], off
	global_load_ushort v17, v[19:20], off offset:512
	global_load_ushort v18, v[19:20], off offset:1024
	;; [unrolled: 1-line block ×3, first 2 shown]
.LBB1767_187:                           ;   in Loop: Header=BB1767_185 Depth=2
	s_andn2_b32 vcc_lo, exec_lo, s14
	s_movk_i32 s14, 0x800
	s_cbranch_vccnz .LBB1767_198
; %bb.188:                              ;   in Loop: Header=BB1767_185 Depth=2
	s_lshl_b64 s[14:15], s[34:35], 1
	s_mov_b32 s17, exec_lo
	s_add_u32 s14, s38, s14
	s_addc_u32 s15, s39, s15
	v_cmpx_gt_u32_e64 s5, v0
	s_cbranch_execnz .LBB1767_214
; %bb.189:                              ;   in Loop: Header=BB1767_185 Depth=2
	s_or_b32 exec_lo, exec_lo, s17
	s_mov_b32 s17, exec_lo
	v_cmpx_gt_u32_e64 s5, v30
	s_cbranch_execnz .LBB1767_215
.LBB1767_190:                           ;   in Loop: Header=BB1767_185 Depth=2
	s_or_b32 exec_lo, exec_lo, s17
	s_mov_b32 s17, exec_lo
	v_cmpx_gt_u32_e64 s5, v31
	s_cbranch_execnz .LBB1767_216
.LBB1767_191:                           ;   in Loop: Header=BB1767_185 Depth=2
	s_or_b32 exec_lo, exec_lo, s17
	s_mov_b32 s17, exec_lo
	v_cmpx_gt_u32_e64 s5, v32
	s_cbranch_execnz .LBB1767_217
.LBB1767_192:                           ;   in Loop: Header=BB1767_185 Depth=2
	s_or_b32 exec_lo, exec_lo, s17
	s_mov_b32 s17, exec_lo
	v_cmpx_gt_u32_e64 s5, v35
	s_cbranch_execnz .LBB1767_218
.LBB1767_193:                           ;   in Loop: Header=BB1767_185 Depth=2
	s_or_b32 exec_lo, exec_lo, s17
	s_mov_b32 s17, exec_lo
	v_cmpx_gt_u32_e64 s5, v36
	s_cbranch_execnz .LBB1767_219
.LBB1767_194:                           ;   in Loop: Header=BB1767_185 Depth=2
	s_or_b32 exec_lo, exec_lo, s17
	s_mov_b32 s17, exec_lo
	v_cmpx_gt_u32_e64 s5, v37
	s_cbranch_execnz .LBB1767_220
.LBB1767_195:                           ;   in Loop: Header=BB1767_185 Depth=2
	s_or_b32 exec_lo, exec_lo, s17
	s_mov_b32 s17, exec_lo
	v_cmpx_gt_u32_e64 s5, v38
	s_cbranch_execz .LBB1767_197
.LBB1767_196:                           ;   in Loop: Header=BB1767_185 Depth=2
	global_load_ushort v3, v87, s[14:15]
.LBB1767_197:                           ;   in Loop: Header=BB1767_185 Depth=2
	s_or_b32 exec_lo, exec_lo, s17
	s_waitcnt vmcnt(0)
	v_mov_b32_e32 v12, v11
	v_mov_b32_e32 v13, v10
	v_mov_b32_e32 v14, v9
	v_mov_b32_e32 v15, v8
	v_mov_b32_e32 v16, v7
	v_mov_b32_e32 v17, v6
	v_mov_b32_e32 v18, v5
	v_mov_b32_e32 v19, v3
	s_mov_b32 s14, s5
.LBB1767_198:                           ;   in Loop: Header=BB1767_185 Depth=2
	s_waitcnt vmcnt(0)
	v_mov_b32_e32 v3, v19
	v_mov_b32_e32 v5, v18
	;; [unrolled: 1-line block ×8, first 2 shown]
	s_mov_b32 s15, exec_lo
	v_cmpx_gt_u32_e64 s14, v0
	s_cbranch_execnz .LBB1767_206
; %bb.199:                              ;   in Loop: Header=BB1767_185 Depth=2
	s_or_b32 exec_lo, exec_lo, s15
	s_mov_b32 s15, exec_lo
	v_cmpx_gt_u32_e64 s14, v30
	s_cbranch_execnz .LBB1767_207
.LBB1767_200:                           ;   in Loop: Header=BB1767_185 Depth=2
	s_or_b32 exec_lo, exec_lo, s15
	s_mov_b32 s15, exec_lo
	v_cmpx_gt_u32_e64 s14, v31
	s_cbranch_execnz .LBB1767_208
.LBB1767_201:                           ;   in Loop: Header=BB1767_185 Depth=2
	s_or_b32 exec_lo, exec_lo, s15
	s_mov_b32 s15, exec_lo
	v_cmpx_gt_u32_e64 s14, v32
	s_cbranch_execnz .LBB1767_209
.LBB1767_202:                           ;   in Loop: Header=BB1767_185 Depth=2
	s_or_b32 exec_lo, exec_lo, s15
	s_mov_b32 s15, exec_lo
	v_cmpx_gt_u32_e64 s14, v35
	s_cbranch_execnz .LBB1767_210
.LBB1767_203:                           ;   in Loop: Header=BB1767_185 Depth=2
	s_or_b32 exec_lo, exec_lo, s15
	s_mov_b32 s15, exec_lo
	v_cmpx_gt_u32_e64 s14, v36
	s_cbranch_execnz .LBB1767_211
.LBB1767_204:                           ;   in Loop: Header=BB1767_185 Depth=2
	s_or_b32 exec_lo, exec_lo, s15
	s_mov_b32 s15, exec_lo
	v_cmpx_gt_u32_e64 s14, v37
	s_cbranch_execnz .LBB1767_212
.LBB1767_205:                           ;   in Loop: Header=BB1767_185 Depth=2
	s_or_b32 exec_lo, exec_lo, s15
	v_cmp_gt_u32_e32 vcc_lo, s14, v38
	s_and_saveexec_b32 s14, vcc_lo
	s_cbranch_execz .LBB1767_184
	s_branch .LBB1767_213
.LBB1767_206:                           ;   in Loop: Header=BB1767_185 Depth=2
	v_cmp_gt_i16_e32 vcc_lo, 0, v11
	v_cndmask_b32_e64 v12, 0x7fff, 0, vcc_lo
	v_xor_b32_e32 v12, v12, v11
	v_cmp_ne_u16_e32 vcc_lo, 0x8000, v12
	v_cndmask_b32_e32 v12, 0x7fff, v12, vcc_lo
	v_lshrrev_b32_sdwa v12, s29, v12 dst_sel:DWORD dst_unused:UNUSED_PAD src0_sel:DWORD src1_sel:WORD_0
	v_and_b32_e32 v12, s42, v12
	v_lshl_or_b32 v12, v12, 4, v40
	ds_add_u32 v12, v62
	s_or_b32 exec_lo, exec_lo, s15
	s_mov_b32 s15, exec_lo
	v_cmpx_gt_u32_e64 s14, v30
	s_cbranch_execz .LBB1767_200
.LBB1767_207:                           ;   in Loop: Header=BB1767_185 Depth=2
	v_cmp_gt_i16_e32 vcc_lo, 0, v10
	v_cndmask_b32_e64 v12, 0x7fff, 0, vcc_lo
	v_xor_b32_e32 v12, v12, v10
	v_cmp_ne_u16_e32 vcc_lo, 0x8000, v12
	v_cndmask_b32_e32 v12, 0x7fff, v12, vcc_lo
	v_lshrrev_b32_sdwa v12, s29, v12 dst_sel:DWORD dst_unused:UNUSED_PAD src0_sel:DWORD src1_sel:WORD_0
	v_and_b32_e32 v12, s42, v12
	v_lshl_or_b32 v12, v12, 4, v40
	ds_add_u32 v12, v62
	s_or_b32 exec_lo, exec_lo, s15
	s_mov_b32 s15, exec_lo
	v_cmpx_gt_u32_e64 s14, v31
	s_cbranch_execz .LBB1767_201
.LBB1767_208:                           ;   in Loop: Header=BB1767_185 Depth=2
	v_cmp_gt_i16_e32 vcc_lo, 0, v9
	v_cndmask_b32_e64 v12, 0x7fff, 0, vcc_lo
	v_xor_b32_e32 v12, v12, v9
	v_cmp_ne_u16_e32 vcc_lo, 0x8000, v12
	v_cndmask_b32_e32 v12, 0x7fff, v12, vcc_lo
	v_lshrrev_b32_sdwa v12, s29, v12 dst_sel:DWORD dst_unused:UNUSED_PAD src0_sel:DWORD src1_sel:WORD_0
	v_and_b32_e32 v12, s42, v12
	v_lshl_or_b32 v12, v12, 4, v40
	ds_add_u32 v12, v62
	s_or_b32 exec_lo, exec_lo, s15
	s_mov_b32 s15, exec_lo
	v_cmpx_gt_u32_e64 s14, v32
	s_cbranch_execz .LBB1767_202
.LBB1767_209:                           ;   in Loop: Header=BB1767_185 Depth=2
	v_cmp_gt_i16_e32 vcc_lo, 0, v8
	v_cndmask_b32_e64 v12, 0x7fff, 0, vcc_lo
	v_xor_b32_e32 v12, v12, v8
	v_cmp_ne_u16_e32 vcc_lo, 0x8000, v12
	v_cndmask_b32_e32 v12, 0x7fff, v12, vcc_lo
	v_lshrrev_b32_sdwa v12, s29, v12 dst_sel:DWORD dst_unused:UNUSED_PAD src0_sel:DWORD src1_sel:WORD_0
	v_and_b32_e32 v12, s42, v12
	v_lshl_or_b32 v12, v12, 4, v40
	ds_add_u32 v12, v62
	s_or_b32 exec_lo, exec_lo, s15
	s_mov_b32 s15, exec_lo
	v_cmpx_gt_u32_e64 s14, v35
	s_cbranch_execz .LBB1767_203
.LBB1767_210:                           ;   in Loop: Header=BB1767_185 Depth=2
	v_cmp_gt_i16_e32 vcc_lo, 0, v7
	v_cndmask_b32_e64 v12, 0x7fff, 0, vcc_lo
	v_xor_b32_e32 v12, v12, v7
	v_cmp_ne_u16_e32 vcc_lo, 0x8000, v12
	v_cndmask_b32_e32 v12, 0x7fff, v12, vcc_lo
	v_lshrrev_b32_sdwa v12, s29, v12 dst_sel:DWORD dst_unused:UNUSED_PAD src0_sel:DWORD src1_sel:WORD_0
	v_and_b32_e32 v12, s42, v12
	v_lshl_or_b32 v12, v12, 4, v40
	ds_add_u32 v12, v62
	s_or_b32 exec_lo, exec_lo, s15
	s_mov_b32 s15, exec_lo
	v_cmpx_gt_u32_e64 s14, v36
	s_cbranch_execz .LBB1767_204
.LBB1767_211:                           ;   in Loop: Header=BB1767_185 Depth=2
	v_cmp_gt_i16_e32 vcc_lo, 0, v6
	v_cndmask_b32_e64 v12, 0x7fff, 0, vcc_lo
	v_xor_b32_e32 v12, v12, v6
	v_cmp_ne_u16_e32 vcc_lo, 0x8000, v12
	v_cndmask_b32_e32 v12, 0x7fff, v12, vcc_lo
	v_lshrrev_b32_sdwa v12, s29, v12 dst_sel:DWORD dst_unused:UNUSED_PAD src0_sel:DWORD src1_sel:WORD_0
	v_and_b32_e32 v12, s42, v12
	v_lshl_or_b32 v12, v12, 4, v40
	ds_add_u32 v12, v62
	s_or_b32 exec_lo, exec_lo, s15
	s_mov_b32 s15, exec_lo
	v_cmpx_gt_u32_e64 s14, v37
	s_cbranch_execz .LBB1767_205
.LBB1767_212:                           ;   in Loop: Header=BB1767_185 Depth=2
	v_cmp_gt_i16_e32 vcc_lo, 0, v5
	v_cndmask_b32_e64 v12, 0x7fff, 0, vcc_lo
	v_xor_b32_e32 v12, v12, v5
	v_cmp_ne_u16_e32 vcc_lo, 0x8000, v12
	v_cndmask_b32_e32 v12, 0x7fff, v12, vcc_lo
	v_lshrrev_b32_sdwa v12, s29, v12 dst_sel:DWORD dst_unused:UNUSED_PAD src0_sel:DWORD src1_sel:WORD_0
	v_and_b32_e32 v12, s42, v12
	v_lshl_or_b32 v12, v12, 4, v40
	ds_add_u32 v12, v62
	s_or_b32 exec_lo, exec_lo, s15
	v_cmp_gt_u32_e32 vcc_lo, s14, v38
	s_and_saveexec_b32 s14, vcc_lo
	s_cbranch_execz .LBB1767_184
.LBB1767_213:                           ;   in Loop: Header=BB1767_185 Depth=2
	v_cmp_gt_i16_e32 vcc_lo, 0, v3
	v_cndmask_b32_e64 v12, 0x7fff, 0, vcc_lo
	v_xor_b32_e32 v12, v12, v3
	v_cmp_ne_u16_e32 vcc_lo, 0x8000, v12
	v_cndmask_b32_e32 v12, 0x7fff, v12, vcc_lo
	v_lshrrev_b32_sdwa v12, s29, v12 dst_sel:DWORD dst_unused:UNUSED_PAD src0_sel:DWORD src1_sel:WORD_0
	v_and_b32_e32 v12, s42, v12
	v_lshl_or_b32 v12, v12, 4, v40
	ds_add_u32 v12, v62
	s_branch .LBB1767_184
.LBB1767_214:                           ;   in Loop: Header=BB1767_185 Depth=2
	global_load_ushort v11, v79, s[14:15]
	s_or_b32 exec_lo, exec_lo, s17
	s_mov_b32 s17, exec_lo
	v_cmpx_gt_u32_e64 s5, v30
	s_cbranch_execz .LBB1767_190
.LBB1767_215:                           ;   in Loop: Header=BB1767_185 Depth=2
	global_load_ushort v10, v79, s[14:15] offset:512
	s_or_b32 exec_lo, exec_lo, s17
	s_mov_b32 s17, exec_lo
	v_cmpx_gt_u32_e64 s5, v31
	s_cbranch_execz .LBB1767_191
.LBB1767_216:                           ;   in Loop: Header=BB1767_185 Depth=2
	global_load_ushort v9, v79, s[14:15] offset:1024
	s_or_b32 exec_lo, exec_lo, s17
	s_mov_b32 s17, exec_lo
	v_cmpx_gt_u32_e64 s5, v32
	s_cbranch_execz .LBB1767_192
.LBB1767_217:                           ;   in Loop: Header=BB1767_185 Depth=2
	global_load_ushort v8, v79, s[14:15] offset:1536
	s_or_b32 exec_lo, exec_lo, s17
	s_mov_b32 s17, exec_lo
	v_cmpx_gt_u32_e64 s5, v35
	s_cbranch_execz .LBB1767_193
.LBB1767_218:                           ;   in Loop: Header=BB1767_185 Depth=2
	global_load_ushort v7, v80, s[14:15]
	s_or_b32 exec_lo, exec_lo, s17
	s_mov_b32 s17, exec_lo
	v_cmpx_gt_u32_e64 s5, v36
	s_cbranch_execz .LBB1767_194
.LBB1767_219:                           ;   in Loop: Header=BB1767_185 Depth=2
	global_load_ushort v6, v81, s[14:15]
	s_or_b32 exec_lo, exec_lo, s17
	s_mov_b32 s17, exec_lo
	v_cmpx_gt_u32_e64 s5, v37
	s_cbranch_execz .LBB1767_195
.LBB1767_220:                           ;   in Loop: Header=BB1767_185 Depth=2
	global_load_ushort v5, v82, s[14:15]
	s_or_b32 exec_lo, exec_lo, s17
	s_mov_b32 s17, exec_lo
	v_cmpx_gt_u32_e64 s5, v38
	s_cbranch_execnz .LBB1767_196
	s_branch .LBB1767_197
.LBB1767_221:                           ;   in Loop: Header=BB1767_17 Depth=1
	v_mov_b32_e32 v3, 0
	s_waitcnt lgkmcnt(0)
	s_barrier
	buffer_gl0_inv
	s_and_saveexec_b32 s5, s8
	s_cbranch_execz .LBB1767_223
; %bb.222:                              ;   in Loop: Header=BB1767_17 Depth=1
	ds_read2_b64 v[5:8], v41 offset1:1
	s_waitcnt lgkmcnt(0)
	v_add_nc_u32_e32 v3, v6, v5
	v_add3_u32 v3, v3, v7, v8
.LBB1767_223:                           ;   in Loop: Header=BB1767_17 Depth=1
	s_or_b32 exec_lo, exec_lo, s5
	v_mov_b32_dpp v5, v3 row_shr:1 row_mask:0xf bank_mask:0xf
	v_cmp_eq_u32_e64 s5, 0, v63
	v_cmp_lt_u32_e64 s14, 1, v63
	v_cmp_lt_u32_e64 s15, 3, v63
	;; [unrolled: 1-line block ×3, first 2 shown]
	v_cmp_eq_u32_e64 s17, 0, v65
	v_cndmask_b32_e64 v5, v5, 0, s5
	v_add_nc_u32_e32 v3, v5, v3
	v_mov_b32_dpp v5, v3 row_shr:2 row_mask:0xf bank_mask:0xf
	v_cndmask_b32_e64 v5, 0, v5, s14
	v_add_nc_u32_e32 v3, v3, v5
	v_mov_b32_dpp v5, v3 row_shr:4 row_mask:0xf bank_mask:0xf
	;; [unrolled: 3-line block ×3, first 2 shown]
	v_cndmask_b32_e64 v5, 0, v5, s16
	v_add_nc_u32_e32 v3, v3, v5
	ds_swizzle_b32 v5, v3 offset:swizzle(BROADCAST,32,15)
	s_waitcnt lgkmcnt(0)
	v_and_b32_e32 v5, v64, v5
	v_add_nc_u32_e32 v3, v3, v5
	s_and_saveexec_b32 s18, s9
; %bb.224:                              ;   in Loop: Header=BB1767_17 Depth=1
	ds_write_b32 v42, v3
; %bb.225:                              ;   in Loop: Header=BB1767_17 Depth=1
	s_or_b32 exec_lo, exec_lo, s18
	s_waitcnt lgkmcnt(0)
	s_barrier
	buffer_gl0_inv
	s_and_saveexec_b32 s18, s10
	s_cbranch_execz .LBB1767_227
; %bb.226:                              ;   in Loop: Header=BB1767_17 Depth=1
	ds_read_b32 v5, v43
	v_cmp_ne_u32_e32 vcc_lo, 0, v67
	s_waitcnt lgkmcnt(0)
	v_mov_b32_dpp v6, v5 row_shr:1 row_mask:0xf bank_mask:0xf
	v_cndmask_b32_e32 v6, 0, v6, vcc_lo
	v_cmp_lt_u32_e32 vcc_lo, 1, v67
	v_add_nc_u32_e32 v5, v6, v5
	v_mov_b32_dpp v6, v5 row_shr:2 row_mask:0xf bank_mask:0xf
	v_cndmask_b32_e32 v6, 0, v6, vcc_lo
	v_cmp_lt_u32_e32 vcc_lo, 3, v67
	v_add_nc_u32_e32 v5, v5, v6
	v_mov_b32_dpp v6, v5 row_shr:4 row_mask:0xf bank_mask:0xf
	v_cndmask_b32_e32 v6, 0, v6, vcc_lo
	v_add_nc_u32_e32 v5, v5, v6
	ds_write_b32 v43, v5
.LBB1767_227:                           ;   in Loop: Header=BB1767_17 Depth=1
	s_or_b32 exec_lo, exec_lo, s18
	v_mov_b32_e32 v5, 0
	s_waitcnt lgkmcnt(0)
	s_barrier
	buffer_gl0_inv
	s_and_saveexec_b32 s18, s11
; %bb.228:                              ;   in Loop: Header=BB1767_17 Depth=1
	ds_read_b32 v5, v45
; %bb.229:                              ;   in Loop: Header=BB1767_17 Depth=1
	s_or_b32 exec_lo, exec_lo, s18
	v_cmp_gt_i32_e32 vcc_lo, 0, v68
	s_waitcnt lgkmcnt(0)
	v_add_nc_u32_e32 v3, v5, v3
	s_barrier
	buffer_gl0_inv
	v_cndmask_b32_e32 v6, v68, v59, vcc_lo
	v_lshlrev_b32_e32 v91, 2, v6
	ds_bpermute_b32 v3, v91, v3
	s_and_saveexec_b32 s18, s8
	s_cbranch_execz .LBB1767_231
; %bb.230:                              ;   in Loop: Header=BB1767_17 Depth=1
	s_waitcnt lgkmcnt(0)
	v_cndmask_b32_e64 v3, v3, v5, s13
	v_add_nc_u32_e32 v3, s33, v3
	ds_write_b32 v29, v3
.LBB1767_231:                           ;   in Loop: Header=BB1767_17 Depth=1
	s_or_b32 exec_lo, exec_lo, s18
	s_load_dwordx2 s[18:19], s[30:31], 0x0
	v_add_co_u32 v92, vcc_lo, v51, v69
	v_add_co_ci_u32_e64 v93, null, 0, v52, vcc_lo
	v_add_co_u32 v94, vcc_lo, v53, v77
	v_add_co_ci_u32_e64 v95, null, 0, v54, vcc_lo
	s_mov_b32 s43, s53
	s_mov_b32 s34, s33
                                        ; implicit-def: $vgpr7_vgpr8
                                        ; implicit-def: $vgpr9_vgpr10
                                        ; implicit-def: $vgpr11_vgpr12
                                        ; implicit-def: $vgpr13_vgpr14
                                        ; implicit-def: $vgpr15_vgpr16
                                        ; implicit-def: $vgpr17_vgpr18
                                        ; implicit-def: $vgpr19_vgpr20
                                        ; implicit-def: $vgpr97
                                        ; implicit-def: $vgpr98
                                        ; implicit-def: $vgpr99
                                        ; implicit-def: $vgpr100
                                        ; implicit-def: $vgpr101
                                        ; implicit-def: $vgpr102
                                        ; implicit-def: $vgpr103
                                        ; implicit-def: $vgpr104
	s_waitcnt lgkmcnt(0)
	s_cmp_lt_u32 s7, s19
	s_cselect_b32 s19, 14, 20
	s_add_u32 s20, s30, s19
	s_addc_u32 s21, s31, 0
	s_cmp_lt_u32 s6, s18
	global_load_ushort v3, v4, s[20:21]
	s_cselect_b32 s18, 12, 18
	s_add_u32 s18, s30, s18
	s_addc_u32 s19, s31, 0
	global_load_ushort v5, v4, s[18:19]
	v_cmp_eq_u32_e64 s18, 0, v67
	v_cmp_lt_u32_e64 s19, 1, v67
	v_cmp_lt_u32_e64 s20, 3, v67
	s_waitcnt vmcnt(1)
	v_mad_u32_u24 v3, v2, v3, v1
	s_waitcnt vmcnt(0)
	v_mad_u64_u32 v[5:6], null, v3, v5, v[0:1]
	v_lshrrev_b32_e32 v3, 3, v5
                                        ; implicit-def: $vgpr5_vgpr6
	v_and_b32_e32 v96, 0x1ffffffc, v3
	s_branch .LBB1767_233
.LBB1767_232:                           ;   in Loop: Header=BB1767_233 Depth=2
	s_or_b32 exec_lo, exec_lo, s21
	s_addk_i32 s43, 0xf800
	s_cmp_lt_u32 s48, s52
	s_mov_b32 s34, s48
	s_cbranch_scc0 .LBB1767_345
.LBB1767_233:                           ;   Parent Loop BB1767_17 Depth=1
                                        ; =>  This Inner Loop Header: Depth=2
	s_add_i32 s48, s34, 0x800
	s_cmp_gt_u32 s48, s52
	s_cbranch_scc1 .LBB1767_235
; %bb.234:                              ;   in Loop: Header=BB1767_233 Depth=2
	s_lshl_b64 s[22:23], s[34:35], 1
	s_mov_b32 s21, -1
	v_add_co_u32 v21, vcc_lo, v94, s22
	v_add_co_ci_u32_e64 v22, null, s23, v95, vcc_lo
	s_clause 0x6
	global_load_ushort v3, v[21:22], off
	global_load_ushort v28, v[21:22], off offset:64
	global_load_ushort v27, v[21:22], off offset:128
	;; [unrolled: 1-line block ×6, first 2 shown]
	s_movk_i32 s22, 0x800
	s_cbranch_execz .LBB1767_236
	s_branch .LBB1767_251
.LBB1767_235:                           ;   in Loop: Header=BB1767_233 Depth=2
	s_mov_b32 s21, 0
                                        ; implicit-def: $vgpr3
                                        ; implicit-def: $vgpr28
                                        ; implicit-def: $vgpr27
                                        ; implicit-def: $vgpr26
                                        ; implicit-def: $vgpr25
                                        ; implicit-def: $vgpr24
                                        ; implicit-def: $vgpr23
	s_movk_i32 s22, 0x800
.LBB1767_236:                           ;   in Loop: Header=BB1767_233 Depth=2
	s_lshl_b64 s[22:23], s[34:35], 1
	s_waitcnt vmcnt(5)
	v_mov_b32_e32 v28, -1
	v_add_co_u32 v21, vcc_lo, v94, s22
	v_add_co_ci_u32_e64 v22, null, s23, v95, vcc_lo
	v_mov_b32_e32 v3, -1
	s_mov_b32 s21, exec_lo
	v_cmpx_gt_u32_e64 s43, v66
	s_cbranch_execz .LBB1767_238
; %bb.237:                              ;   in Loop: Header=BB1767_233 Depth=2
	global_load_ushort v3, v[21:22], off
.LBB1767_238:                           ;   in Loop: Header=BB1767_233 Depth=2
	s_or_b32 exec_lo, exec_lo, s21
	s_mov_b32 s21, exec_lo
	v_cmpx_gt_u32_e64 s43, v70
	s_cbranch_execz .LBB1767_240
; %bb.239:                              ;   in Loop: Header=BB1767_233 Depth=2
	global_load_ushort v28, v[21:22], off offset:64
.LBB1767_240:                           ;   in Loop: Header=BB1767_233 Depth=2
	s_or_b32 exec_lo, exec_lo, s21
	s_waitcnt vmcnt(3)
	v_mov_b32_e32 v26, -1
	v_mov_b32_e32 v27, -1
	s_mov_b32 s21, exec_lo
	v_cmpx_gt_u32_e64 s43, v71
	s_cbranch_execz .LBB1767_242
; %bb.241:                              ;   in Loop: Header=BB1767_233 Depth=2
	global_load_ushort v27, v[21:22], off offset:128
.LBB1767_242:                           ;   in Loop: Header=BB1767_233 Depth=2
	s_or_b32 exec_lo, exec_lo, s21
	s_mov_b32 s21, exec_lo
	v_cmpx_gt_u32_e64 s43, v72
	s_cbranch_execz .LBB1767_244
; %bb.243:                              ;   in Loop: Header=BB1767_233 Depth=2
	global_load_ushort v26, v[21:22], off offset:192
.LBB1767_244:                           ;   in Loop: Header=BB1767_233 Depth=2
	s_or_b32 exec_lo, exec_lo, s21
	s_waitcnt vmcnt(1)
	v_mov_b32_e32 v24, -1
	v_mov_b32_e32 v25, -1
	s_mov_b32 s21, exec_lo
	v_cmpx_gt_u32_e64 s43, v73
	s_cbranch_execz .LBB1767_246
; %bb.245:                              ;   in Loop: Header=BB1767_233 Depth=2
	global_load_ushort v25, v[21:22], off offset:256
.LBB1767_246:                           ;   in Loop: Header=BB1767_233 Depth=2
	s_or_b32 exec_lo, exec_lo, s21
	s_mov_b32 s21, exec_lo
	v_cmpx_gt_u32_e64 s43, v74
	s_cbranch_execz .LBB1767_248
; %bb.247:                              ;   in Loop: Header=BB1767_233 Depth=2
	global_load_ushort v24, v[21:22], off offset:320
.LBB1767_248:                           ;   in Loop: Header=BB1767_233 Depth=2
	s_or_b32 exec_lo, exec_lo, s21
	s_waitcnt vmcnt(0)
	v_mov_b32_e32 v23, -1
	s_mov_b32 s21, exec_lo
	v_cmpx_gt_u32_e64 s43, v75
	s_cbranch_execz .LBB1767_250
; %bb.249:                              ;   in Loop: Header=BB1767_233 Depth=2
	global_load_ushort v23, v[21:22], off offset:384
.LBB1767_250:                           ;   in Loop: Header=BB1767_233 Depth=2
	s_or_b32 exec_lo, exec_lo, s21
	v_cmp_gt_u32_e64 s21, s43, v76
	s_sub_i32 s22, s52, s34
.LBB1767_251:                           ;   in Loop: Header=BB1767_233 Depth=2
	v_mov_b32_e32 v21, -1
	v_mov_b32_e32 v105, s43
	s_and_saveexec_b32 s23, s21
	s_cbranch_execz .LBB1767_253
; %bb.252:                              ;   in Loop: Header=BB1767_233 Depth=2
	s_lshl_b64 s[24:25], s[34:35], 1
	v_mov_b32_e32 v105, s22
	v_add_co_u32 v21, vcc_lo, v94, s24
	v_add_co_ci_u32_e64 v22, null, s25, v95, vcc_lo
	global_load_ushort v21, v[21:22], off offset:448
.LBB1767_253:                           ;   in Loop: Header=BB1767_233 Depth=2
	s_or_b32 exec_lo, exec_lo, s23
	s_waitcnt vmcnt(6)
	v_cmp_gt_i16_e32 vcc_lo, 0, v3
	ds_write2_b32 v78, v4, v4 offset1:1
	ds_write2_b32 v88, v4, v4 offset1:1
	;; [unrolled: 1-line block ×4, first 2 shown]
	ds_write_b32 v44, v4 offset:1088
	s_waitcnt vmcnt(0) lgkmcnt(0)
	s_barrier
	v_cndmask_b32_e64 v22, 0x7fff, 0, vcc_lo
	buffer_gl0_inv
	; wave barrier
	v_xor_b32_e32 v3, v22, v3
	v_cmp_ne_u16_e32 vcc_lo, 0x8000, v3
	v_cndmask_b32_e32 v22, 0x7fff, v3, vcc_lo
	v_lshrrev_b32_sdwa v22, s29, v22 dst_sel:DWORD dst_unused:UNUSED_PAD src0_sel:DWORD src1_sel:WORD_0
	v_and_b32_e32 v107, s42, v22
	v_and_b32_e32 v22, 1, v107
	v_lshlrev_b32_e32 v106, 30, v107
	v_lshlrev_b32_e32 v108, 29, v107
	;; [unrolled: 1-line block ×4, first 2 shown]
	v_add_co_u32 v22, s21, v22, -1
	v_cndmask_b32_e64 v110, 0, 1, s21
	v_not_b32_e32 v114, v106
	v_cmp_gt_i32_e64 s21, 0, v106
	v_not_b32_e32 v106, v108
	v_lshlrev_b32_e32 v112, 26, v107
	v_cmp_ne_u32_e32 vcc_lo, 0, v110
	v_ashrrev_i32_e32 v114, 31, v114
	v_lshlrev_b32_e32 v113, 25, v107
	v_ashrrev_i32_e32 v106, 31, v106
	v_lshlrev_b32_e32 v110, 24, v107
	v_xor_b32_e32 v22, vcc_lo, v22
	v_cmp_gt_i32_e32 vcc_lo, 0, v108
	v_not_b32_e32 v108, v109
	v_xor_b32_e32 v114, s21, v114
	v_cmp_gt_i32_e64 s21, 0, v109
	v_and_b32_e32 v22, exec_lo, v22
	v_not_b32_e32 v109, v111
	v_ashrrev_i32_e32 v108, 31, v108
	v_xor_b32_e32 v106, vcc_lo, v106
	v_cmp_gt_i32_e32 vcc_lo, 0, v111
	v_and_b32_e32 v22, v22, v114
	v_not_b32_e32 v111, v112
	v_ashrrev_i32_e32 v109, 31, v109
	v_xor_b32_e32 v108, s21, v108
	v_cmp_gt_i32_e64 s21, 0, v112
	v_and_b32_e32 v22, v22, v106
	v_not_b32_e32 v106, v113
	v_ashrrev_i32_e32 v111, 31, v111
	v_xor_b32_e32 v109, vcc_lo, v109
	v_cmp_gt_i32_e32 vcc_lo, 0, v113
	v_and_b32_e32 v22, v22, v108
	v_not_b32_e32 v108, v110
	v_ashrrev_i32_e32 v106, 31, v106
	v_xor_b32_e32 v111, s21, v111
	v_cmp_gt_i32_e64 s21, 0, v110
	v_and_b32_e32 v22, v22, v109
	v_ashrrev_i32_e32 v108, 31, v108
	v_xor_b32_e32 v106, vcc_lo, v106
	v_mul_u32_u24_e32 v107, 36, v107
	v_and_b32_e32 v22, v22, v111
	v_xor_b32_e32 v108, s21, v108
	v_and_b32_e32 v22, v22, v106
	v_and_b32_e32 v22, v22, v108
	v_add_nc_u32_e32 v108, v96, v107
	v_mbcnt_lo_u32_b32 v106, v22, 0
	v_cmp_ne_u32_e64 s21, 0, v22
	v_cmp_eq_u32_e32 vcc_lo, 0, v106
	s_and_b32 s22, s21, vcc_lo
	s_and_saveexec_b32 s21, s22
; %bb.254:                              ;   in Loop: Header=BB1767_233 Depth=2
	v_bcnt_u32_b32 v22, v22, 0
	ds_write_b32 v108, v22 offset:1056
; %bb.255:                              ;   in Loop: Header=BB1767_233 Depth=2
	s_or_b32 exec_lo, exec_lo, s21
	v_cmp_gt_i16_e32 vcc_lo, 0, v28
	; wave barrier
	v_cndmask_b32_e64 v22, 0x7fff, 0, vcc_lo
	v_xor_b32_e32 v107, v22, v28
	v_cmp_ne_u16_e32 vcc_lo, 0x8000, v107
	v_cndmask_b32_e32 v22, 0x7fff, v107, vcc_lo
	v_lshrrev_b32_sdwa v22, s29, v22 dst_sel:DWORD dst_unused:UNUSED_PAD src0_sel:DWORD src1_sel:WORD_0
	v_and_b32_e32 v28, s42, v22
	v_and_b32_e32 v22, 1, v28
	v_lshlrev_b32_e32 v109, 30, v28
	v_lshlrev_b32_e32 v110, 29, v28
	;; [unrolled: 1-line block ×4, first 2 shown]
	v_add_co_u32 v22, s21, v22, -1
	v_cndmask_b32_e64 v112, 0, 1, s21
	v_not_b32_e32 v116, v109
	v_cmp_gt_i32_e64 s21, 0, v109
	v_not_b32_e32 v109, v110
	v_lshlrev_b32_e32 v114, 26, v28
	v_cmp_ne_u32_e32 vcc_lo, 0, v112
	v_ashrrev_i32_e32 v116, 31, v116
	v_lshlrev_b32_e32 v115, 25, v28
	v_ashrrev_i32_e32 v109, 31, v109
	v_lshlrev_b32_e32 v112, 24, v28
	v_xor_b32_e32 v22, vcc_lo, v22
	v_cmp_gt_i32_e32 vcc_lo, 0, v110
	v_not_b32_e32 v110, v111
	v_xor_b32_e32 v116, s21, v116
	v_cmp_gt_i32_e64 s21, 0, v111
	v_and_b32_e32 v22, exec_lo, v22
	v_not_b32_e32 v111, v113
	v_ashrrev_i32_e32 v110, 31, v110
	v_xor_b32_e32 v109, vcc_lo, v109
	v_cmp_gt_i32_e32 vcc_lo, 0, v113
	v_and_b32_e32 v22, v22, v116
	v_not_b32_e32 v113, v114
	v_ashrrev_i32_e32 v111, 31, v111
	v_xor_b32_e32 v110, s21, v110
	v_cmp_gt_i32_e64 s21, 0, v114
	v_and_b32_e32 v22, v22, v109
	v_not_b32_e32 v109, v115
	v_ashrrev_i32_e32 v113, 31, v113
	v_xor_b32_e32 v111, vcc_lo, v111
	v_cmp_gt_i32_e32 vcc_lo, 0, v115
	v_and_b32_e32 v22, v22, v110
	v_not_b32_e32 v110, v112
	v_ashrrev_i32_e32 v109, 31, v109
	v_xor_b32_e32 v113, s21, v113
	v_cmp_gt_i32_e64 s21, 0, v112
	v_and_b32_e32 v22, v22, v111
	v_ashrrev_i32_e32 v110, 31, v110
	v_xor_b32_e32 v109, vcc_lo, v109
	v_mad_u32_u24 v111, v28, 36, v96
	v_mul_u32_u24_e32 v28, 36, v28
	v_and_b32_e32 v22, v22, v113
	v_xor_b32_e32 v110, s21, v110
	v_add_nc_u32_e32 v112, v96, v28
	v_and_b32_e32 v22, v22, v109
	ds_read_b32 v109, v111 offset:1056
	; wave barrier
	v_and_b32_e32 v22, v22, v110
	v_mbcnt_lo_u32_b32 v110, v22, 0
	v_cmp_ne_u32_e64 s21, 0, v22
	v_cmp_eq_u32_e32 vcc_lo, 0, v110
	s_and_b32 s22, s21, vcc_lo
	s_and_saveexec_b32 s21, s22
	s_cbranch_execz .LBB1767_257
; %bb.256:                              ;   in Loop: Header=BB1767_233 Depth=2
	s_waitcnt lgkmcnt(0)
	v_bcnt_u32_b32 v22, v22, v109
	ds_write_b32 v112, v22 offset:1056
.LBB1767_257:                           ;   in Loop: Header=BB1767_233 Depth=2
	s_or_b32 exec_lo, exec_lo, s21
	v_cmp_gt_i16_e32 vcc_lo, 0, v27
	; wave barrier
	v_cndmask_b32_e64 v22, 0x7fff, 0, vcc_lo
	v_xor_b32_e32 v111, v22, v27
	v_cmp_ne_u16_e32 vcc_lo, 0x8000, v111
	v_cndmask_b32_e32 v22, 0x7fff, v111, vcc_lo
	v_lshrrev_b32_sdwa v22, s29, v22 dst_sel:DWORD dst_unused:UNUSED_PAD src0_sel:DWORD src1_sel:WORD_0
	v_and_b32_e32 v27, s42, v22
	v_and_b32_e32 v22, 1, v27
	v_lshlrev_b32_e32 v28, 30, v27
	v_lshlrev_b32_e32 v113, 29, v27
	;; [unrolled: 1-line block ×4, first 2 shown]
	v_add_co_u32 v22, s21, v22, -1
	v_cndmask_b32_e64 v115, 0, 1, s21
	v_not_b32_e32 v119, v28
	v_cmp_gt_i32_e64 s21, 0, v28
	v_not_b32_e32 v28, v113
	v_lshlrev_b32_e32 v117, 26, v27
	v_cmp_ne_u32_e32 vcc_lo, 0, v115
	v_ashrrev_i32_e32 v119, 31, v119
	v_lshlrev_b32_e32 v118, 25, v27
	v_ashrrev_i32_e32 v28, 31, v28
	v_lshlrev_b32_e32 v115, 24, v27
	v_xor_b32_e32 v22, vcc_lo, v22
	v_cmp_gt_i32_e32 vcc_lo, 0, v113
	v_not_b32_e32 v113, v114
	v_xor_b32_e32 v119, s21, v119
	v_cmp_gt_i32_e64 s21, 0, v114
	v_and_b32_e32 v22, exec_lo, v22
	v_not_b32_e32 v114, v116
	v_ashrrev_i32_e32 v113, 31, v113
	v_xor_b32_e32 v28, vcc_lo, v28
	v_cmp_gt_i32_e32 vcc_lo, 0, v116
	v_and_b32_e32 v22, v22, v119
	v_not_b32_e32 v116, v117
	v_ashrrev_i32_e32 v114, 31, v114
	v_xor_b32_e32 v113, s21, v113
	v_cmp_gt_i32_e64 s21, 0, v117
	v_and_b32_e32 v22, v22, v28
	v_not_b32_e32 v28, v118
	v_ashrrev_i32_e32 v116, 31, v116
	v_xor_b32_e32 v114, vcc_lo, v114
	v_cmp_gt_i32_e32 vcc_lo, 0, v118
	v_and_b32_e32 v22, v22, v113
	v_not_b32_e32 v113, v115
	v_ashrrev_i32_e32 v28, 31, v28
	v_xor_b32_e32 v116, s21, v116
	v_cmp_gt_i32_e64 s21, 0, v115
	v_and_b32_e32 v22, v22, v114
	v_ashrrev_i32_e32 v113, 31, v113
	v_xor_b32_e32 v28, vcc_lo, v28
	v_mad_u32_u24 v114, v27, 36, v96
	v_mul_u32_u24_e32 v27, 36, v27
	v_and_b32_e32 v22, v22, v116
	v_xor_b32_e32 v115, s21, v113
	ds_read_b32 v113, v114 offset:1056
	v_add_nc_u32_e32 v116, v96, v27
	v_and_b32_e32 v22, v22, v28
	; wave barrier
	v_and_b32_e32 v22, v22, v115
	v_mbcnt_lo_u32_b32 v115, v22, 0
	v_cmp_ne_u32_e64 s21, 0, v22
	v_cmp_eq_u32_e32 vcc_lo, 0, v115
	s_and_b32 s22, s21, vcc_lo
	s_and_saveexec_b32 s21, s22
	s_cbranch_execz .LBB1767_259
; %bb.258:                              ;   in Loop: Header=BB1767_233 Depth=2
	s_waitcnt lgkmcnt(0)
	v_bcnt_u32_b32 v22, v22, v113
	ds_write_b32 v116, v22 offset:1056
.LBB1767_259:                           ;   in Loop: Header=BB1767_233 Depth=2
	s_or_b32 exec_lo, exec_lo, s21
	v_cmp_gt_i16_e32 vcc_lo, 0, v26
	; wave barrier
	v_cndmask_b32_e64 v22, 0x7fff, 0, vcc_lo
	v_xor_b32_e32 v114, v22, v26
	v_cmp_ne_u16_e32 vcc_lo, 0x8000, v114
	v_cndmask_b32_e32 v22, 0x7fff, v114, vcc_lo
	v_lshrrev_b32_sdwa v22, s29, v22 dst_sel:DWORD dst_unused:UNUSED_PAD src0_sel:DWORD src1_sel:WORD_0
	v_and_b32_e32 v26, s42, v22
	v_and_b32_e32 v22, 1, v26
	v_lshlrev_b32_e32 v27, 30, v26
	v_lshlrev_b32_e32 v28, 29, v26
	;; [unrolled: 1-line block ×4, first 2 shown]
	v_add_co_u32 v22, s21, v22, -1
	v_cndmask_b32_e64 v118, 0, 1, s21
	v_not_b32_e32 v122, v27
	v_cmp_gt_i32_e64 s21, 0, v27
	v_not_b32_e32 v27, v28
	v_lshlrev_b32_e32 v120, 26, v26
	v_cmp_ne_u32_e32 vcc_lo, 0, v118
	v_ashrrev_i32_e32 v122, 31, v122
	v_lshlrev_b32_e32 v121, 25, v26
	v_ashrrev_i32_e32 v27, 31, v27
	v_lshlrev_b32_e32 v118, 24, v26
	v_xor_b32_e32 v22, vcc_lo, v22
	v_cmp_gt_i32_e32 vcc_lo, 0, v28
	v_not_b32_e32 v28, v117
	v_xor_b32_e32 v122, s21, v122
	v_cmp_gt_i32_e64 s21, 0, v117
	v_and_b32_e32 v22, exec_lo, v22
	v_not_b32_e32 v117, v119
	v_ashrrev_i32_e32 v28, 31, v28
	v_xor_b32_e32 v27, vcc_lo, v27
	v_cmp_gt_i32_e32 vcc_lo, 0, v119
	v_and_b32_e32 v22, v22, v122
	v_not_b32_e32 v119, v120
	v_ashrrev_i32_e32 v117, 31, v117
	v_xor_b32_e32 v28, s21, v28
	v_cmp_gt_i32_e64 s21, 0, v120
	v_and_b32_e32 v22, v22, v27
	v_not_b32_e32 v27, v121
	v_ashrrev_i32_e32 v119, 31, v119
	v_xor_b32_e32 v117, vcc_lo, v117
	v_cmp_gt_i32_e32 vcc_lo, 0, v121
	v_and_b32_e32 v22, v22, v28
	v_not_b32_e32 v28, v118
	v_ashrrev_i32_e32 v27, 31, v27
	v_xor_b32_e32 v119, s21, v119
	v_cmp_gt_i32_e64 s21, 0, v118
	v_and_b32_e32 v22, v22, v117
	v_ashrrev_i32_e32 v28, 31, v28
	v_xor_b32_e32 v27, vcc_lo, v27
	v_mad_u32_u24 v117, v26, 36, v96
	v_mul_u32_u24_e32 v26, 36, v26
	v_and_b32_e32 v22, v22, v119
	v_xor_b32_e32 v28, s21, v28
	ds_read_b32 v117, v117 offset:1056
	v_add_nc_u32_e32 v120, v96, v26
	v_and_b32_e32 v22, v22, v27
	; wave barrier
	v_and_b32_e32 v22, v22, v28
	v_mbcnt_lo_u32_b32 v119, v22, 0
	v_cmp_ne_u32_e64 s21, 0, v22
	v_cmp_eq_u32_e32 vcc_lo, 0, v119
	s_and_b32 s22, s21, vcc_lo
	s_and_saveexec_b32 s21, s22
	s_cbranch_execz .LBB1767_261
; %bb.260:                              ;   in Loop: Header=BB1767_233 Depth=2
	s_waitcnt lgkmcnt(0)
	v_bcnt_u32_b32 v22, v22, v117
	ds_write_b32 v120, v22 offset:1056
.LBB1767_261:                           ;   in Loop: Header=BB1767_233 Depth=2
	s_or_b32 exec_lo, exec_lo, s21
	v_cmp_gt_i16_e32 vcc_lo, 0, v25
	; wave barrier
	v_cndmask_b32_e64 v22, 0x7fff, 0, vcc_lo
	v_xor_b32_e32 v118, v22, v25
	v_cmp_ne_u16_e32 vcc_lo, 0x8000, v118
	v_cndmask_b32_e32 v22, 0x7fff, v118, vcc_lo
	v_lshrrev_b32_sdwa v22, s29, v22 dst_sel:DWORD dst_unused:UNUSED_PAD src0_sel:DWORD src1_sel:WORD_0
	v_and_b32_e32 v25, s42, v22
	v_and_b32_e32 v22, 1, v25
	v_lshlrev_b32_e32 v26, 30, v25
	v_lshlrev_b32_e32 v27, 29, v25
	;; [unrolled: 1-line block ×4, first 2 shown]
	v_add_co_u32 v22, s21, v22, -1
	v_cndmask_b32_e64 v121, 0, 1, s21
	v_not_b32_e32 v125, v26
	v_cmp_gt_i32_e64 s21, 0, v26
	v_not_b32_e32 v26, v27
	v_lshlrev_b32_e32 v123, 26, v25
	v_cmp_ne_u32_e32 vcc_lo, 0, v121
	v_ashrrev_i32_e32 v125, 31, v125
	v_lshlrev_b32_e32 v124, 25, v25
	v_ashrrev_i32_e32 v26, 31, v26
	v_lshlrev_b32_e32 v121, 24, v25
	v_xor_b32_e32 v22, vcc_lo, v22
	v_cmp_gt_i32_e32 vcc_lo, 0, v27
	v_not_b32_e32 v27, v28
	v_xor_b32_e32 v125, s21, v125
	v_cmp_gt_i32_e64 s21, 0, v28
	v_and_b32_e32 v22, exec_lo, v22
	v_not_b32_e32 v28, v122
	v_ashrrev_i32_e32 v27, 31, v27
	v_xor_b32_e32 v26, vcc_lo, v26
	v_cmp_gt_i32_e32 vcc_lo, 0, v122
	v_and_b32_e32 v22, v22, v125
	v_not_b32_e32 v122, v123
	v_ashrrev_i32_e32 v28, 31, v28
	v_xor_b32_e32 v27, s21, v27
	v_cmp_gt_i32_e64 s21, 0, v123
	v_and_b32_e32 v22, v22, v26
	v_not_b32_e32 v26, v124
	v_ashrrev_i32_e32 v122, 31, v122
	v_xor_b32_e32 v28, vcc_lo, v28
	v_cmp_gt_i32_e32 vcc_lo, 0, v124
	v_and_b32_e32 v22, v22, v27
	v_not_b32_e32 v27, v121
	v_ashrrev_i32_e32 v26, 31, v26
	v_xor_b32_e32 v122, s21, v122
	v_cmp_gt_i32_e64 s21, 0, v121
	v_and_b32_e32 v22, v22, v28
	v_ashrrev_i32_e32 v27, 31, v27
	v_xor_b32_e32 v26, vcc_lo, v26
	v_mad_u32_u24 v28, v25, 36, v96
	v_mul_u32_u24_e32 v25, 36, v25
	v_and_b32_e32 v22, v22, v122
	v_xor_b32_e32 v27, s21, v27
	ds_read_b32 v121, v28 offset:1056
	v_add_nc_u32_e32 v124, v96, v25
	v_and_b32_e32 v22, v22, v26
	; wave barrier
	v_and_b32_e32 v22, v22, v27
	v_mbcnt_lo_u32_b32 v123, v22, 0
	v_cmp_ne_u32_e64 s21, 0, v22
	v_cmp_eq_u32_e32 vcc_lo, 0, v123
	s_and_b32 s22, s21, vcc_lo
	s_and_saveexec_b32 s21, s22
	s_cbranch_execz .LBB1767_263
; %bb.262:                              ;   in Loop: Header=BB1767_233 Depth=2
	s_waitcnt lgkmcnt(0)
	v_bcnt_u32_b32 v22, v22, v121
	ds_write_b32 v124, v22 offset:1056
.LBB1767_263:                           ;   in Loop: Header=BB1767_233 Depth=2
	s_or_b32 exec_lo, exec_lo, s21
	v_cmp_gt_i16_e32 vcc_lo, 0, v24
	; wave barrier
	v_cndmask_b32_e64 v22, 0x7fff, 0, vcc_lo
	v_xor_b32_e32 v122, v22, v24
	v_cmp_ne_u16_e32 vcc_lo, 0x8000, v122
	v_cndmask_b32_e32 v22, 0x7fff, v122, vcc_lo
	v_lshrrev_b32_sdwa v22, s29, v22 dst_sel:DWORD dst_unused:UNUSED_PAD src0_sel:DWORD src1_sel:WORD_0
	v_and_b32_e32 v24, s42, v22
	v_and_b32_e32 v22, 1, v24
	v_lshlrev_b32_e32 v25, 30, v24
	v_lshlrev_b32_e32 v26, 29, v24
	;; [unrolled: 1-line block ×4, first 2 shown]
	v_add_co_u32 v22, s21, v22, -1
	v_cndmask_b32_e64 v28, 0, 1, s21
	v_not_b32_e32 v128, v25
	v_cmp_gt_i32_e64 s21, 0, v25
	v_not_b32_e32 v25, v26
	v_lshlrev_b32_e32 v126, 26, v24
	v_cmp_ne_u32_e32 vcc_lo, 0, v28
	v_ashrrev_i32_e32 v128, 31, v128
	v_lshlrev_b32_e32 v127, 25, v24
	v_ashrrev_i32_e32 v25, 31, v25
	v_lshlrev_b32_e32 v28, 24, v24
	v_xor_b32_e32 v22, vcc_lo, v22
	v_cmp_gt_i32_e32 vcc_lo, 0, v26
	v_not_b32_e32 v26, v27
	v_xor_b32_e32 v128, s21, v128
	v_cmp_gt_i32_e64 s21, 0, v27
	v_and_b32_e32 v22, exec_lo, v22
	v_not_b32_e32 v27, v125
	v_ashrrev_i32_e32 v26, 31, v26
	v_xor_b32_e32 v25, vcc_lo, v25
	v_cmp_gt_i32_e32 vcc_lo, 0, v125
	v_and_b32_e32 v22, v22, v128
	v_not_b32_e32 v125, v126
	v_ashrrev_i32_e32 v27, 31, v27
	v_xor_b32_e32 v26, s21, v26
	v_cmp_gt_i32_e64 s21, 0, v126
	v_and_b32_e32 v22, v22, v25
	v_not_b32_e32 v25, v127
	v_ashrrev_i32_e32 v125, 31, v125
	v_xor_b32_e32 v27, vcc_lo, v27
	v_cmp_gt_i32_e32 vcc_lo, 0, v127
	v_and_b32_e32 v22, v22, v26
	v_not_b32_e32 v26, v28
	v_ashrrev_i32_e32 v25, 31, v25
	v_xor_b32_e32 v125, s21, v125
	v_cmp_gt_i32_e64 s21, 0, v28
	v_and_b32_e32 v22, v22, v27
	v_ashrrev_i32_e32 v26, 31, v26
	v_xor_b32_e32 v25, vcc_lo, v25
	v_mad_u32_u24 v27, v24, 36, v96
	v_mul_u32_u24_e32 v24, 36, v24
	v_and_b32_e32 v22, v22, v125
	v_xor_b32_e32 v26, s21, v26
	ds_read_b32 v125, v27 offset:1056
	v_add_nc_u32_e32 v128, v96, v24
	v_and_b32_e32 v22, v22, v25
	; wave barrier
	v_and_b32_e32 v22, v22, v26
	v_mbcnt_lo_u32_b32 v127, v22, 0
	v_cmp_ne_u32_e64 s21, 0, v22
	v_cmp_eq_u32_e32 vcc_lo, 0, v127
	s_and_b32 s22, s21, vcc_lo
	s_and_saveexec_b32 s21, s22
	s_cbranch_execz .LBB1767_265
; %bb.264:                              ;   in Loop: Header=BB1767_233 Depth=2
	s_waitcnt lgkmcnt(0)
	v_bcnt_u32_b32 v22, v22, v125
	ds_write_b32 v128, v22 offset:1056
.LBB1767_265:                           ;   in Loop: Header=BB1767_233 Depth=2
	s_or_b32 exec_lo, exec_lo, s21
	v_cmp_gt_i16_e32 vcc_lo, 0, v23
	; wave barrier
	v_cndmask_b32_e64 v22, 0x7fff, 0, vcc_lo
	v_xor_b32_e32 v126, v22, v23
	v_cmp_ne_u16_e32 vcc_lo, 0x8000, v126
	v_cndmask_b32_e32 v22, 0x7fff, v126, vcc_lo
	v_lshrrev_b32_sdwa v22, s29, v22 dst_sel:DWORD dst_unused:UNUSED_PAD src0_sel:DWORD src1_sel:WORD_0
	v_and_b32_e32 v23, s42, v22
	v_and_b32_e32 v22, 1, v23
	v_lshlrev_b32_e32 v24, 30, v23
	v_lshlrev_b32_e32 v25, 29, v23
	;; [unrolled: 1-line block ×4, first 2 shown]
	v_add_co_u32 v22, s21, v22, -1
	v_cndmask_b32_e64 v27, 0, 1, s21
	v_not_b32_e32 v131, v24
	v_cmp_gt_i32_e64 s21, 0, v24
	v_not_b32_e32 v24, v25
	v_lshlrev_b32_e32 v129, 26, v23
	v_cmp_ne_u32_e32 vcc_lo, 0, v27
	v_ashrrev_i32_e32 v131, 31, v131
	v_lshlrev_b32_e32 v130, 25, v23
	v_ashrrev_i32_e32 v24, 31, v24
	v_lshlrev_b32_e32 v27, 24, v23
	v_xor_b32_e32 v22, vcc_lo, v22
	v_cmp_gt_i32_e32 vcc_lo, 0, v25
	v_not_b32_e32 v25, v26
	v_xor_b32_e32 v131, s21, v131
	v_cmp_gt_i32_e64 s21, 0, v26
	v_and_b32_e32 v22, exec_lo, v22
	v_not_b32_e32 v26, v28
	v_ashrrev_i32_e32 v25, 31, v25
	v_xor_b32_e32 v24, vcc_lo, v24
	v_cmp_gt_i32_e32 vcc_lo, 0, v28
	v_and_b32_e32 v22, v22, v131
	v_not_b32_e32 v28, v129
	v_ashrrev_i32_e32 v26, 31, v26
	v_xor_b32_e32 v25, s21, v25
	v_cmp_gt_i32_e64 s21, 0, v129
	v_and_b32_e32 v22, v22, v24
	v_not_b32_e32 v24, v130
	v_ashrrev_i32_e32 v28, 31, v28
	v_xor_b32_e32 v26, vcc_lo, v26
	v_cmp_gt_i32_e32 vcc_lo, 0, v130
	v_and_b32_e32 v22, v22, v25
	v_not_b32_e32 v25, v27
	v_ashrrev_i32_e32 v24, 31, v24
	v_xor_b32_e32 v28, s21, v28
	v_cmp_gt_i32_e64 s21, 0, v27
	v_and_b32_e32 v22, v22, v26
	v_ashrrev_i32_e32 v25, 31, v25
	v_xor_b32_e32 v24, vcc_lo, v24
	v_mad_u32_u24 v26, v23, 36, v96
	v_mul_u32_u24_e32 v23, 36, v23
	v_and_b32_e32 v22, v22, v28
	v_xor_b32_e32 v25, s21, v25
	ds_read_b32 v129, v26 offset:1056
	v_add_nc_u32_e32 v132, v96, v23
	v_and_b32_e32 v22, v22, v24
	; wave barrier
	v_and_b32_e32 v22, v22, v25
	v_mbcnt_lo_u32_b32 v131, v22, 0
	v_cmp_ne_u32_e64 s21, 0, v22
	v_cmp_eq_u32_e32 vcc_lo, 0, v131
	s_and_b32 s22, s21, vcc_lo
	s_and_saveexec_b32 s21, s22
	s_cbranch_execz .LBB1767_267
; %bb.266:                              ;   in Loop: Header=BB1767_233 Depth=2
	s_waitcnt lgkmcnt(0)
	v_bcnt_u32_b32 v22, v22, v129
	ds_write_b32 v132, v22 offset:1056
.LBB1767_267:                           ;   in Loop: Header=BB1767_233 Depth=2
	s_or_b32 exec_lo, exec_lo, s21
	v_cmp_gt_i16_e32 vcc_lo, 0, v21
	; wave barrier
	v_cndmask_b32_e64 v22, 0x7fff, 0, vcc_lo
	v_xor_b32_e32 v130, v22, v21
	v_cmp_ne_u16_e32 vcc_lo, 0x8000, v130
	v_cndmask_b32_e32 v21, 0x7fff, v130, vcc_lo
	v_lshrrev_b32_sdwa v21, s29, v21 dst_sel:DWORD dst_unused:UNUSED_PAD src0_sel:DWORD src1_sel:WORD_0
	v_and_b32_e32 v22, s42, v21
	v_and_b32_e32 v21, 1, v22
	v_lshlrev_b32_e32 v23, 30, v22
	v_lshlrev_b32_e32 v24, 29, v22
	;; [unrolled: 1-line block ×4, first 2 shown]
	v_add_co_u32 v21, s21, v21, -1
	v_cndmask_b32_e64 v26, 0, 1, s21
	v_not_b32_e32 v134, v23
	v_cmp_gt_i32_e64 s21, 0, v23
	v_not_b32_e32 v23, v24
	v_lshlrev_b32_e32 v28, 26, v22
	v_cmp_ne_u32_e32 vcc_lo, 0, v26
	v_ashrrev_i32_e32 v134, 31, v134
	v_lshlrev_b32_e32 v133, 25, v22
	v_ashrrev_i32_e32 v23, 31, v23
	v_lshlrev_b32_e32 v26, 24, v22
	v_xor_b32_e32 v21, vcc_lo, v21
	v_cmp_gt_i32_e32 vcc_lo, 0, v24
	v_not_b32_e32 v24, v25
	v_xor_b32_e32 v134, s21, v134
	v_cmp_gt_i32_e64 s21, 0, v25
	v_and_b32_e32 v21, exec_lo, v21
	v_not_b32_e32 v25, v27
	v_ashrrev_i32_e32 v24, 31, v24
	v_xor_b32_e32 v23, vcc_lo, v23
	v_cmp_gt_i32_e32 vcc_lo, 0, v27
	v_and_b32_e32 v21, v21, v134
	v_not_b32_e32 v27, v28
	v_ashrrev_i32_e32 v25, 31, v25
	v_xor_b32_e32 v24, s21, v24
	v_cmp_gt_i32_e64 s21, 0, v28
	v_and_b32_e32 v21, v21, v23
	v_not_b32_e32 v23, v133
	v_ashrrev_i32_e32 v27, 31, v27
	v_xor_b32_e32 v25, vcc_lo, v25
	v_cmp_gt_i32_e32 vcc_lo, 0, v133
	v_and_b32_e32 v21, v21, v24
	v_not_b32_e32 v24, v26
	v_ashrrev_i32_e32 v23, 31, v23
	v_xor_b32_e32 v27, s21, v27
	v_cmp_gt_i32_e64 s21, 0, v26
	v_and_b32_e32 v21, v21, v25
	v_ashrrev_i32_e32 v24, 31, v24
	v_xor_b32_e32 v23, vcc_lo, v23
	v_mad_u32_u24 v25, v22, 36, v96
	v_mul_u32_u24_e32 v22, 36, v22
	v_and_b32_e32 v21, v21, v27
	v_xor_b32_e32 v24, s21, v24
	ds_read_b32 v133, v25 offset:1056
	v_add_nc_u32_e32 v135, v96, v22
	v_and_b32_e32 v21, v21, v23
	; wave barrier
	v_and_b32_e32 v21, v21, v24
	v_mbcnt_lo_u32_b32 v134, v21, 0
	v_cmp_ne_u32_e64 s21, 0, v21
	v_cmp_eq_u32_e32 vcc_lo, 0, v134
	s_and_b32 s22, s21, vcc_lo
	s_and_saveexec_b32 s21, s22
	s_cbranch_execz .LBB1767_269
; %bb.268:                              ;   in Loop: Header=BB1767_233 Depth=2
	s_waitcnt lgkmcnt(0)
	v_bcnt_u32_b32 v21, v21, v133
	ds_write_b32 v135, v21 offset:1056
.LBB1767_269:                           ;   in Loop: Header=BB1767_233 Depth=2
	s_or_b32 exec_lo, exec_lo, s21
	; wave barrier
	s_waitcnt lgkmcnt(0)
	s_barrier
	buffer_gl0_inv
	ds_read2_b32 v[27:28], v78 offset1:1
	ds_read2_b32 v[25:26], v88 offset1:1
	;; [unrolled: 1-line block ×4, first 2 shown]
	ds_read_b32 v136, v44 offset:1088
	s_waitcnt lgkmcnt(3)
	v_add3_u32 v137, v28, v27, v25
	s_waitcnt lgkmcnt(2)
	v_add3_u32 v137, v137, v26, v23
	;; [unrolled: 2-line block ×4, first 2 shown]
	v_mov_b32_dpp v137, v136 row_shr:1 row_mask:0xf bank_mask:0xf
	v_cndmask_b32_e64 v137, v137, 0, s5
	v_add_nc_u32_e32 v136, v137, v136
	v_mov_b32_dpp v137, v136 row_shr:2 row_mask:0xf bank_mask:0xf
	v_cndmask_b32_e64 v137, 0, v137, s14
	v_add_nc_u32_e32 v136, v136, v137
	;; [unrolled: 3-line block ×4, first 2 shown]
	ds_swizzle_b32 v137, v136 offset:swizzle(BROADCAST,32,15)
	s_waitcnt lgkmcnt(0)
	v_cndmask_b32_e64 v137, v137, 0, s17
	v_add_nc_u32_e32 v136, v136, v137
	s_and_saveexec_b32 s21, s9
; %bb.270:                              ;   in Loop: Header=BB1767_233 Depth=2
	ds_write_b32 v39, v136 offset:1024
; %bb.271:                              ;   in Loop: Header=BB1767_233 Depth=2
	s_or_b32 exec_lo, exec_lo, s21
	s_waitcnt lgkmcnt(0)
	s_barrier
	buffer_gl0_inv
	s_and_saveexec_b32 s21, s10
	s_cbranch_execz .LBB1767_273
; %bb.272:                              ;   in Loop: Header=BB1767_233 Depth=2
	ds_read_b32 v137, v46 offset:1024
	s_waitcnt lgkmcnt(0)
	v_mov_b32_dpp v138, v137 row_shr:1 row_mask:0xf bank_mask:0xf
	v_cndmask_b32_e64 v138, v138, 0, s18
	v_add_nc_u32_e32 v137, v138, v137
	v_mov_b32_dpp v138, v137 row_shr:2 row_mask:0xf bank_mask:0xf
	v_cndmask_b32_e64 v138, 0, v138, s19
	v_add_nc_u32_e32 v137, v137, v138
	;; [unrolled: 3-line block ×3, first 2 shown]
	ds_write_b32 v46, v137 offset:1024
.LBB1767_273:                           ;   in Loop: Header=BB1767_233 Depth=2
	s_or_b32 exec_lo, exec_lo, s21
	v_mov_b32_e32 v137, 0
	s_waitcnt lgkmcnt(0)
	s_barrier
	buffer_gl0_inv
	s_and_saveexec_b32 s21, s11
; %bb.274:                              ;   in Loop: Header=BB1767_233 Depth=2
	ds_read_b32 v137, v39 offset:1020
; %bb.275:                              ;   in Loop: Header=BB1767_233 Depth=2
	s_or_b32 exec_lo, exec_lo, s21
	s_waitcnt lgkmcnt(0)
	v_add_nc_u32_e32 v136, v137, v136
	ds_bpermute_b32 v136, v91, v136
	s_waitcnt lgkmcnt(0)
	v_cndmask_b32_e64 v136, v136, v137, s13
	v_cndmask_b32_e64 v136, v136, 0, s4
	v_add_nc_u32_e32 v27, v136, v27
	v_add_nc_u32_e32 v28, v27, v28
	;; [unrolled: 1-line block ×8, first 2 shown]
	ds_write2_b32 v78, v136, v27 offset1:1
	ds_write2_b32 v88, v28, v25 offset1:1
	;; [unrolled: 1-line block ×4, first 2 shown]
	ds_write_b32 v44, v22 offset:1088
	s_waitcnt lgkmcnt(0)
	s_barrier
	buffer_gl0_inv
	ds_read_b32 v24, v108 offset:1056
	ds_read_b32 v25, v112 offset:1056
	;; [unrolled: 1-line block ×9, first 2 shown]
	v_mov_b32_e32 v23, 0x800
	s_and_saveexec_b32 s21, s12
; %bb.276:                              ;   in Loop: Header=BB1767_233 Depth=2
	ds_read_b32 v23, v44 offset:1092
; %bb.277:                              ;   in Loop: Header=BB1767_233 Depth=2
	s_or_b32 exec_lo, exec_lo, s21
	s_waitcnt lgkmcnt(0)
	s_barrier
	buffer_gl0_inv
	s_and_saveexec_b32 s21, s8
	s_cbranch_execz .LBB1767_279
; %bb.278:                              ;   in Loop: Header=BB1767_233 Depth=2
	ds_read_b32 v112, v29
	s_waitcnt lgkmcnt(0)
	v_sub_nc_u32_e32 v108, v112, v108
	ds_write_b32 v29, v108
.LBB1767_279:                           ;   in Loop: Header=BB1767_233 Depth=2
	s_or_b32 exec_lo, exec_lo, s21
	v_add_nc_u32_e32 v112, v24, v106
	v_add3_u32 v108, v110, v109, v25
	v_add3_u32 v106, v115, v113, v26
	;; [unrolled: 1-line block ×4, first 2 shown]
	v_lshlrev_b32_e32 v109, 1, v112
	v_lshlrev_b32_e32 v110, 1, v108
	v_add3_u32 v27, v131, v129, v22
	v_lshlrev_b32_e32 v22, 1, v106
	v_add3_u32 v28, v134, v133, v21
	ds_write_b16 v109, v3 offset:1024
	ds_write_b16 v110, v107 offset:1024
	v_lshlrev_b32_e32 v3, 1, v26
	v_add3_u32 v24, v127, v125, v116
	ds_write_b16 v22, v111 offset:1024
	v_lshlrev_b32_e32 v21, 1, v25
	v_cmp_lt_u32_e32 vcc_lo, v0, v105
	ds_write_b16 v3, v114 offset:1024
	v_lshlrev_b32_e32 v3, 1, v28
	v_lshlrev_b32_e32 v22, 1, v24
	;; [unrolled: 1-line block ×3, first 2 shown]
	ds_write_b16 v21, v118 offset:1024
	ds_write_b16 v22, v122 offset:1024
	;; [unrolled: 1-line block ×4, first 2 shown]
	s_waitcnt lgkmcnt(0)
	s_barrier
	buffer_gl0_inv
	s_and_saveexec_b32 s22, vcc_lo
	s_cbranch_execnz .LBB1767_316
; %bb.280:                              ;   in Loop: Header=BB1767_233 Depth=2
	s_or_b32 exec_lo, exec_lo, s22
	v_cmp_lt_u32_e64 s21, v30, v105
	s_and_saveexec_b32 s23, s21
	s_cbranch_execnz .LBB1767_317
.LBB1767_281:                           ;   in Loop: Header=BB1767_233 Depth=2
	s_or_b32 exec_lo, exec_lo, s23
	v_cmp_lt_u32_e64 s22, v31, v105
	s_and_saveexec_b32 s24, s22
	s_cbranch_execnz .LBB1767_318
.LBB1767_282:                           ;   in Loop: Header=BB1767_233 Depth=2
	s_or_b32 exec_lo, exec_lo, s24
	v_cmp_lt_u32_e64 s23, v32, v105
	s_and_saveexec_b32 s25, s23
	s_cbranch_execnz .LBB1767_319
.LBB1767_283:                           ;   in Loop: Header=BB1767_233 Depth=2
	s_or_b32 exec_lo, exec_lo, s25
	v_cmp_lt_u32_e64 s24, v35, v105
	s_and_saveexec_b32 s26, s24
	s_cbranch_execnz .LBB1767_320
.LBB1767_284:                           ;   in Loop: Header=BB1767_233 Depth=2
	s_or_b32 exec_lo, exec_lo, s26
	v_cmp_lt_u32_e64 s25, v36, v105
	s_and_saveexec_b32 s27, s25
	s_cbranch_execnz .LBB1767_321
.LBB1767_285:                           ;   in Loop: Header=BB1767_233 Depth=2
	s_or_b32 exec_lo, exec_lo, s27
	v_cmp_lt_u32_e64 s26, v37, v105
	s_and_saveexec_b32 s28, s26
	s_cbranch_execnz .LBB1767_322
.LBB1767_286:                           ;   in Loop: Header=BB1767_233 Depth=2
	s_or_b32 exec_lo, exec_lo, s28
	v_cmp_lt_u32_e64 s27, v38, v105
	s_and_saveexec_b32 s54, s27
	s_cbranch_execz .LBB1767_288
.LBB1767_287:                           ;   in Loop: Header=BB1767_233 Depth=2
	ds_read_u16 v107, v47 offset:4608
	s_waitcnt lgkmcnt(0)
	v_cmp_ne_u16_e64 s28, 0x8000, v107
	v_cndmask_b32_e64 v3, 0x7fff, v107, s28
	v_cmp_gt_i16_e64 s28, 0, v107
	v_lshrrev_b32_sdwa v3, s29, v3 dst_sel:DWORD dst_unused:UNUSED_PAD src0_sel:DWORD src1_sel:WORD_0
	v_cndmask_b32_e64 v109, 0x7fff, 0, s28
	v_and_b32_e32 v3, s42, v3
	v_lshlrev_b32_e32 v3, 2, v3
	ds_read_b32 v3, v3
	s_waitcnt lgkmcnt(0)
	v_add_nc_u32_e32 v3, v3, v38
	v_lshlrev_b64 v[21:22], 1, v[3:4]
	v_xor_b32_e32 v3, v109, v107
	v_add_co_u32 v21, s28, s40, v21
	v_add_co_ci_u32_e64 v22, null, s41, v22, s28
	global_store_short v[21:22], v3, off
.LBB1767_288:                           ;   in Loop: Header=BB1767_233 Depth=2
	s_or_b32 exec_lo, exec_lo, s54
	s_lshl_b64 s[54:55], s[34:35], 3
	v_add_co_u32 v21, s28, v92, s54
	v_add_co_ci_u32_e64 v22, null, s55, v93, s28
	v_cmp_lt_u32_e64 s28, v66, v105
	s_and_saveexec_b32 s34, s28
	s_xor_b32 s28, exec_lo, s34
	s_cbranch_execnz .LBB1767_323
; %bb.289:                              ;   in Loop: Header=BB1767_233 Depth=2
	s_or_b32 exec_lo, exec_lo, s28
	s_mov_b32 s34, exec_lo
	v_cmpx_lt_u32_e64 v70, v105
	s_cbranch_execnz .LBB1767_324
.LBB1767_290:                           ;   in Loop: Header=BB1767_233 Depth=2
	s_or_b32 exec_lo, exec_lo, s34
	s_mov_b32 s34, exec_lo
	v_cmpx_lt_u32_e64 v71, v105
	s_cbranch_execnz .LBB1767_325
.LBB1767_291:                           ;   in Loop: Header=BB1767_233 Depth=2
	s_or_b32 exec_lo, exec_lo, s34
	s_mov_b32 s34, exec_lo
	v_cmpx_lt_u32_e64 v72, v105
	s_cbranch_execnz .LBB1767_326
.LBB1767_292:                           ;   in Loop: Header=BB1767_233 Depth=2
	s_or_b32 exec_lo, exec_lo, s34
	s_mov_b32 s34, exec_lo
	v_cmpx_lt_u32_e64 v73, v105
	s_cbranch_execnz .LBB1767_327
.LBB1767_293:                           ;   in Loop: Header=BB1767_233 Depth=2
	s_or_b32 exec_lo, exec_lo, s34
	s_mov_b32 s34, exec_lo
	v_cmpx_lt_u32_e64 v74, v105
	s_cbranch_execnz .LBB1767_328
.LBB1767_294:                           ;   in Loop: Header=BB1767_233 Depth=2
	s_or_b32 exec_lo, exec_lo, s34
	s_mov_b32 s34, exec_lo
	v_cmpx_lt_u32_e64 v75, v105
	s_cbranch_execnz .LBB1767_329
.LBB1767_295:                           ;   in Loop: Header=BB1767_233 Depth=2
	s_or_b32 exec_lo, exec_lo, s34
	s_mov_b32 s34, exec_lo
	v_cmpx_lt_u32_e64 v76, v105
	s_cbranch_execnz .LBB1767_330
.LBB1767_296:                           ;   in Loop: Header=BB1767_233 Depth=2
	s_or_b32 exec_lo, exec_lo, s34
	s_and_saveexec_b32 s34, vcc_lo
	s_cbranch_execnz .LBB1767_331
.LBB1767_297:                           ;   in Loop: Header=BB1767_233 Depth=2
	s_or_b32 exec_lo, exec_lo, s34
	s_and_saveexec_b32 s34, s21
	s_cbranch_execnz .LBB1767_332
.LBB1767_298:                           ;   in Loop: Header=BB1767_233 Depth=2
	s_or_b32 exec_lo, exec_lo, s34
	s_and_saveexec_b32 s34, s22
	s_cbranch_execnz .LBB1767_333
.LBB1767_299:                           ;   in Loop: Header=BB1767_233 Depth=2
	s_or_b32 exec_lo, exec_lo, s34
	s_and_saveexec_b32 s34, s23
	s_cbranch_execnz .LBB1767_334
.LBB1767_300:                           ;   in Loop: Header=BB1767_233 Depth=2
	s_or_b32 exec_lo, exec_lo, s34
	s_and_saveexec_b32 s34, s24
	s_cbranch_execnz .LBB1767_335
.LBB1767_301:                           ;   in Loop: Header=BB1767_233 Depth=2
	s_or_b32 exec_lo, exec_lo, s34
	s_and_saveexec_b32 s34, s25
	s_cbranch_execnz .LBB1767_336
.LBB1767_302:                           ;   in Loop: Header=BB1767_233 Depth=2
	s_or_b32 exec_lo, exec_lo, s34
	s_and_saveexec_b32 s34, s26
	s_cbranch_execnz .LBB1767_337
.LBB1767_303:                           ;   in Loop: Header=BB1767_233 Depth=2
	s_or_b32 exec_lo, exec_lo, s34
	s_and_saveexec_b32 s34, s27
	s_cbranch_execz .LBB1767_305
.LBB1767_304:                           ;   in Loop: Header=BB1767_233 Depth=2
	ds_read_u16 v3, v47 offset:4608
	s_waitcnt lgkmcnt(0)
	v_cmp_ne_u16_e64 s28, 0x8000, v3
	v_cndmask_b32_e64 v3, 0x7fff, v3, s28
	v_lshrrev_b32_sdwa v3, s29, v3 dst_sel:DWORD dst_unused:UNUSED_PAD src0_sel:DWORD src1_sel:WORD_0
	v_and_b32_e32 v97, s42, v3
.LBB1767_305:                           ;   in Loop: Header=BB1767_233 Depth=2
	s_or_b32 exec_lo, exec_lo, s34
	v_lshlrev_b32_e32 v3, 3, v112
	v_lshlrev_b32_e32 v21, 3, v108
	;; [unrolled: 1-line block ×3, first 2 shown]
	s_waitcnt vmcnt(0)
	s_waitcnt_vscnt null, 0x0
	s_barrier
	buffer_gl0_inv
	ds_write_b64 v3, v[19:20] offset:1024
	ds_write_b64 v21, v[17:18] offset:1024
	;; [unrolled: 1-line block ×3, first 2 shown]
	v_lshlrev_b32_e32 v3, 3, v26
	v_lshlrev_b32_e32 v21, 3, v25
	;; [unrolled: 1-line block ×5, first 2 shown]
	ds_write_b64 v3, v[13:14] offset:1024
	ds_write_b64 v21, v[11:12] offset:1024
	;; [unrolled: 1-line block ×5, first 2 shown]
	s_waitcnt lgkmcnt(0)
	s_barrier
	buffer_gl0_inv
	s_and_saveexec_b32 s28, vcc_lo
	s_cbranch_execnz .LBB1767_338
; %bb.306:                              ;   in Loop: Header=BB1767_233 Depth=2
	s_or_b32 exec_lo, exec_lo, s28
	s_and_saveexec_b32 s28, s21
	s_cbranch_execnz .LBB1767_339
.LBB1767_307:                           ;   in Loop: Header=BB1767_233 Depth=2
	s_or_b32 exec_lo, exec_lo, s28
	s_and_saveexec_b32 s21, s22
	s_cbranch_execnz .LBB1767_340
.LBB1767_308:                           ;   in Loop: Header=BB1767_233 Depth=2
	s_or_b32 exec_lo, exec_lo, s21
	s_and_saveexec_b32 s21, s23
	s_cbranch_execnz .LBB1767_341
.LBB1767_309:                           ;   in Loop: Header=BB1767_233 Depth=2
	s_or_b32 exec_lo, exec_lo, s21
	s_and_saveexec_b32 s21, s24
	s_cbranch_execnz .LBB1767_342
.LBB1767_310:                           ;   in Loop: Header=BB1767_233 Depth=2
	s_or_b32 exec_lo, exec_lo, s21
	s_and_saveexec_b32 s21, s25
	s_cbranch_execnz .LBB1767_343
.LBB1767_311:                           ;   in Loop: Header=BB1767_233 Depth=2
	s_or_b32 exec_lo, exec_lo, s21
	s_and_saveexec_b32 s21, s26
	s_cbranch_execnz .LBB1767_344
.LBB1767_312:                           ;   in Loop: Header=BB1767_233 Depth=2
	s_or_b32 exec_lo, exec_lo, s21
	s_and_saveexec_b32 s21, s27
	s_cbranch_execz .LBB1767_314
.LBB1767_313:                           ;   in Loop: Header=BB1767_233 Depth=2
	v_lshlrev_b32_e32 v3, 2, v97
	v_add_nc_u32_e32 v21, v47, v48
	ds_read_b32 v3, v3
	ds_read_b64 v[21:22], v21 offset:15360
	s_waitcnt lgkmcnt(1)
	v_add_nc_u32_e32 v3, v3, v38
	v_lshlrev_b64 v[24:25], 3, v[3:4]
	v_add_co_u32 v24, vcc_lo, s46, v24
	v_add_co_ci_u32_e64 v25, null, s47, v25, vcc_lo
	s_waitcnt lgkmcnt(0)
	global_store_dwordx2 v[24:25], v[21:22], off
.LBB1767_314:                           ;   in Loop: Header=BB1767_233 Depth=2
	s_or_b32 exec_lo, exec_lo, s21
	s_waitcnt_vscnt null, 0x0
	s_barrier
	buffer_gl0_inv
	s_and_saveexec_b32 s21, s8
	s_cbranch_execz .LBB1767_232
; %bb.315:                              ;   in Loop: Header=BB1767_233 Depth=2
	ds_read_b32 v3, v29
	s_waitcnt lgkmcnt(0)
	v_add_nc_u32_e32 v3, v3, v23
	ds_write_b32 v29, v3
	s_branch .LBB1767_232
.LBB1767_316:                           ;   in Loop: Header=BB1767_233 Depth=2
	ds_read_u16 v107, v47 offset:1024
	s_waitcnt lgkmcnt(0)
	v_cmp_ne_u16_e64 s21, 0x8000, v107
	v_cndmask_b32_e64 v3, 0x7fff, v107, s21
	v_cmp_gt_i16_e64 s21, 0, v107
	v_lshrrev_b32_sdwa v3, s29, v3 dst_sel:DWORD dst_unused:UNUSED_PAD src0_sel:DWORD src1_sel:WORD_0
	v_cndmask_b32_e64 v109, 0x7fff, 0, s21
	v_and_b32_e32 v3, s42, v3
	v_lshlrev_b32_e32 v3, 2, v3
	ds_read_b32 v3, v3
	s_waitcnt lgkmcnt(0)
	v_add_nc_u32_e32 v3, v3, v0
	v_lshlrev_b64 v[21:22], 1, v[3:4]
	v_xor_b32_e32 v3, v109, v107
	v_add_co_u32 v21, s21, s40, v21
	v_add_co_ci_u32_e64 v22, null, s41, v22, s21
	global_store_short v[21:22], v3, off
	s_or_b32 exec_lo, exec_lo, s22
	v_cmp_lt_u32_e64 s21, v30, v105
	s_and_saveexec_b32 s23, s21
	s_cbranch_execz .LBB1767_281
.LBB1767_317:                           ;   in Loop: Header=BB1767_233 Depth=2
	ds_read_u16 v107, v47 offset:1536
	s_waitcnt lgkmcnt(0)
	v_cmp_ne_u16_e64 s22, 0x8000, v107
	v_cndmask_b32_e64 v3, 0x7fff, v107, s22
	v_cmp_gt_i16_e64 s22, 0, v107
	v_lshrrev_b32_sdwa v3, s29, v3 dst_sel:DWORD dst_unused:UNUSED_PAD src0_sel:DWORD src1_sel:WORD_0
	v_cndmask_b32_e64 v109, 0x7fff, 0, s22
	v_and_b32_e32 v3, s42, v3
	v_lshlrev_b32_e32 v3, 2, v3
	ds_read_b32 v3, v3
	s_waitcnt lgkmcnt(0)
	v_add_nc_u32_e32 v3, v3, v30
	v_lshlrev_b64 v[21:22], 1, v[3:4]
	v_xor_b32_e32 v3, v109, v107
	v_add_co_u32 v21, s22, s40, v21
	v_add_co_ci_u32_e64 v22, null, s41, v22, s22
	global_store_short v[21:22], v3, off
	s_or_b32 exec_lo, exec_lo, s23
	v_cmp_lt_u32_e64 s22, v31, v105
	s_and_saveexec_b32 s24, s22
	s_cbranch_execz .LBB1767_282
.LBB1767_318:                           ;   in Loop: Header=BB1767_233 Depth=2
	ds_read_u16 v107, v47 offset:2048
	s_waitcnt lgkmcnt(0)
	v_cmp_ne_u16_e64 s23, 0x8000, v107
	v_cndmask_b32_e64 v3, 0x7fff, v107, s23
	v_cmp_gt_i16_e64 s23, 0, v107
	v_lshrrev_b32_sdwa v3, s29, v3 dst_sel:DWORD dst_unused:UNUSED_PAD src0_sel:DWORD src1_sel:WORD_0
	v_cndmask_b32_e64 v109, 0x7fff, 0, s23
	v_and_b32_e32 v3, s42, v3
	v_lshlrev_b32_e32 v3, 2, v3
	ds_read_b32 v3, v3
	s_waitcnt lgkmcnt(0)
	v_add_nc_u32_e32 v3, v3, v31
	v_lshlrev_b64 v[21:22], 1, v[3:4]
	v_xor_b32_e32 v3, v109, v107
	v_add_co_u32 v21, s23, s40, v21
	v_add_co_ci_u32_e64 v22, null, s41, v22, s23
	global_store_short v[21:22], v3, off
	s_or_b32 exec_lo, exec_lo, s24
	v_cmp_lt_u32_e64 s23, v32, v105
	s_and_saveexec_b32 s25, s23
	s_cbranch_execz .LBB1767_283
.LBB1767_319:                           ;   in Loop: Header=BB1767_233 Depth=2
	ds_read_u16 v107, v47 offset:2560
	s_waitcnt lgkmcnt(0)
	v_cmp_ne_u16_e64 s24, 0x8000, v107
	v_cndmask_b32_e64 v3, 0x7fff, v107, s24
	v_cmp_gt_i16_e64 s24, 0, v107
	v_lshrrev_b32_sdwa v3, s29, v3 dst_sel:DWORD dst_unused:UNUSED_PAD src0_sel:DWORD src1_sel:WORD_0
	v_cndmask_b32_e64 v109, 0x7fff, 0, s24
	v_and_b32_e32 v3, s42, v3
	v_lshlrev_b32_e32 v3, 2, v3
	ds_read_b32 v3, v3
	s_waitcnt lgkmcnt(0)
	v_add_nc_u32_e32 v3, v3, v32
	v_lshlrev_b64 v[21:22], 1, v[3:4]
	v_xor_b32_e32 v3, v109, v107
	v_add_co_u32 v21, s24, s40, v21
	v_add_co_ci_u32_e64 v22, null, s41, v22, s24
	global_store_short v[21:22], v3, off
	s_or_b32 exec_lo, exec_lo, s25
	v_cmp_lt_u32_e64 s24, v35, v105
	s_and_saveexec_b32 s26, s24
	s_cbranch_execz .LBB1767_284
.LBB1767_320:                           ;   in Loop: Header=BB1767_233 Depth=2
	ds_read_u16 v107, v47 offset:3072
	s_waitcnt lgkmcnt(0)
	v_cmp_ne_u16_e64 s25, 0x8000, v107
	v_cndmask_b32_e64 v3, 0x7fff, v107, s25
	v_cmp_gt_i16_e64 s25, 0, v107
	v_lshrrev_b32_sdwa v3, s29, v3 dst_sel:DWORD dst_unused:UNUSED_PAD src0_sel:DWORD src1_sel:WORD_0
	v_cndmask_b32_e64 v109, 0x7fff, 0, s25
	v_and_b32_e32 v3, s42, v3
	v_lshlrev_b32_e32 v3, 2, v3
	ds_read_b32 v3, v3
	s_waitcnt lgkmcnt(0)
	v_add_nc_u32_e32 v3, v3, v35
	v_lshlrev_b64 v[21:22], 1, v[3:4]
	v_xor_b32_e32 v3, v109, v107
	v_add_co_u32 v21, s25, s40, v21
	v_add_co_ci_u32_e64 v22, null, s41, v22, s25
	global_store_short v[21:22], v3, off
	s_or_b32 exec_lo, exec_lo, s26
	v_cmp_lt_u32_e64 s25, v36, v105
	s_and_saveexec_b32 s27, s25
	s_cbranch_execz .LBB1767_285
.LBB1767_321:                           ;   in Loop: Header=BB1767_233 Depth=2
	ds_read_u16 v107, v47 offset:3584
	s_waitcnt lgkmcnt(0)
	v_cmp_ne_u16_e64 s26, 0x8000, v107
	v_cndmask_b32_e64 v3, 0x7fff, v107, s26
	v_cmp_gt_i16_e64 s26, 0, v107
	v_lshrrev_b32_sdwa v3, s29, v3 dst_sel:DWORD dst_unused:UNUSED_PAD src0_sel:DWORD src1_sel:WORD_0
	v_cndmask_b32_e64 v109, 0x7fff, 0, s26
	v_and_b32_e32 v3, s42, v3
	v_lshlrev_b32_e32 v3, 2, v3
	ds_read_b32 v3, v3
	s_waitcnt lgkmcnt(0)
	v_add_nc_u32_e32 v3, v3, v36
	v_lshlrev_b64 v[21:22], 1, v[3:4]
	v_xor_b32_e32 v3, v109, v107
	v_add_co_u32 v21, s26, s40, v21
	v_add_co_ci_u32_e64 v22, null, s41, v22, s26
	global_store_short v[21:22], v3, off
	s_or_b32 exec_lo, exec_lo, s27
	v_cmp_lt_u32_e64 s26, v37, v105
	s_and_saveexec_b32 s28, s26
	s_cbranch_execz .LBB1767_286
.LBB1767_322:                           ;   in Loop: Header=BB1767_233 Depth=2
	ds_read_u16 v107, v47 offset:4096
	s_waitcnt lgkmcnt(0)
	v_cmp_ne_u16_e64 s27, 0x8000, v107
	v_cndmask_b32_e64 v3, 0x7fff, v107, s27
	v_cmp_gt_i16_e64 s27, 0, v107
	v_lshrrev_b32_sdwa v3, s29, v3 dst_sel:DWORD dst_unused:UNUSED_PAD src0_sel:DWORD src1_sel:WORD_0
	v_cndmask_b32_e64 v109, 0x7fff, 0, s27
	v_and_b32_e32 v3, s42, v3
	v_lshlrev_b32_e32 v3, 2, v3
	ds_read_b32 v3, v3
	s_waitcnt lgkmcnt(0)
	v_add_nc_u32_e32 v3, v3, v37
	v_lshlrev_b64 v[21:22], 1, v[3:4]
	v_xor_b32_e32 v3, v109, v107
	v_add_co_u32 v21, s27, s40, v21
	v_add_co_ci_u32_e64 v22, null, s41, v22, s27
	global_store_short v[21:22], v3, off
	s_or_b32 exec_lo, exec_lo, s28
	v_cmp_lt_u32_e64 s27, v38, v105
	s_and_saveexec_b32 s54, s27
	s_cbranch_execnz .LBB1767_287
	s_branch .LBB1767_288
.LBB1767_323:                           ;   in Loop: Header=BB1767_233 Depth=2
	global_load_dwordx2 v[19:20], v[21:22], off
	s_or_b32 exec_lo, exec_lo, s28
	s_mov_b32 s34, exec_lo
	v_cmpx_lt_u32_e64 v70, v105
	s_cbranch_execz .LBB1767_290
.LBB1767_324:                           ;   in Loop: Header=BB1767_233 Depth=2
	global_load_dwordx2 v[17:18], v[21:22], off offset:256
	s_or_b32 exec_lo, exec_lo, s34
	s_mov_b32 s34, exec_lo
	v_cmpx_lt_u32_e64 v71, v105
	s_cbranch_execz .LBB1767_291
.LBB1767_325:                           ;   in Loop: Header=BB1767_233 Depth=2
	global_load_dwordx2 v[15:16], v[21:22], off offset:512
	s_or_b32 exec_lo, exec_lo, s34
	s_mov_b32 s34, exec_lo
	v_cmpx_lt_u32_e64 v72, v105
	s_cbranch_execz .LBB1767_292
.LBB1767_326:                           ;   in Loop: Header=BB1767_233 Depth=2
	global_load_dwordx2 v[13:14], v[21:22], off offset:768
	s_or_b32 exec_lo, exec_lo, s34
	s_mov_b32 s34, exec_lo
	v_cmpx_lt_u32_e64 v73, v105
	s_cbranch_execz .LBB1767_293
.LBB1767_327:                           ;   in Loop: Header=BB1767_233 Depth=2
	global_load_dwordx2 v[11:12], v[21:22], off offset:1024
	s_or_b32 exec_lo, exec_lo, s34
	s_mov_b32 s34, exec_lo
	v_cmpx_lt_u32_e64 v74, v105
	s_cbranch_execz .LBB1767_294
.LBB1767_328:                           ;   in Loop: Header=BB1767_233 Depth=2
	global_load_dwordx2 v[9:10], v[21:22], off offset:1280
	s_or_b32 exec_lo, exec_lo, s34
	s_mov_b32 s34, exec_lo
	v_cmpx_lt_u32_e64 v75, v105
	s_cbranch_execz .LBB1767_295
.LBB1767_329:                           ;   in Loop: Header=BB1767_233 Depth=2
	global_load_dwordx2 v[7:8], v[21:22], off offset:1536
	s_or_b32 exec_lo, exec_lo, s34
	s_mov_b32 s34, exec_lo
	v_cmpx_lt_u32_e64 v76, v105
	s_cbranch_execz .LBB1767_296
.LBB1767_330:                           ;   in Loop: Header=BB1767_233 Depth=2
	global_load_dwordx2 v[5:6], v[21:22], off offset:1792
	s_or_b32 exec_lo, exec_lo, s34
	s_and_saveexec_b32 s34, vcc_lo
	s_cbranch_execz .LBB1767_297
.LBB1767_331:                           ;   in Loop: Header=BB1767_233 Depth=2
	ds_read_u16 v3, v47 offset:1024
	s_waitcnt lgkmcnt(0)
	v_cmp_ne_u16_e64 s28, 0x8000, v3
	v_cndmask_b32_e64 v3, 0x7fff, v3, s28
	v_lshrrev_b32_sdwa v3, s29, v3 dst_sel:DWORD dst_unused:UNUSED_PAD src0_sel:DWORD src1_sel:WORD_0
	v_and_b32_e32 v104, s42, v3
	s_or_b32 exec_lo, exec_lo, s34
	s_and_saveexec_b32 s34, s21
	s_cbranch_execz .LBB1767_298
.LBB1767_332:                           ;   in Loop: Header=BB1767_233 Depth=2
	ds_read_u16 v3, v47 offset:1536
	s_waitcnt lgkmcnt(0)
	v_cmp_ne_u16_e64 s28, 0x8000, v3
	v_cndmask_b32_e64 v3, 0x7fff, v3, s28
	v_lshrrev_b32_sdwa v3, s29, v3 dst_sel:DWORD dst_unused:UNUSED_PAD src0_sel:DWORD src1_sel:WORD_0
	v_and_b32_e32 v103, s42, v3
	s_or_b32 exec_lo, exec_lo, s34
	s_and_saveexec_b32 s34, s22
	s_cbranch_execz .LBB1767_299
.LBB1767_333:                           ;   in Loop: Header=BB1767_233 Depth=2
	ds_read_u16 v3, v47 offset:2048
	s_waitcnt lgkmcnt(0)
	v_cmp_ne_u16_e64 s28, 0x8000, v3
	v_cndmask_b32_e64 v3, 0x7fff, v3, s28
	v_lshrrev_b32_sdwa v3, s29, v3 dst_sel:DWORD dst_unused:UNUSED_PAD src0_sel:DWORD src1_sel:WORD_0
	v_and_b32_e32 v102, s42, v3
	s_or_b32 exec_lo, exec_lo, s34
	s_and_saveexec_b32 s34, s23
	s_cbranch_execz .LBB1767_300
.LBB1767_334:                           ;   in Loop: Header=BB1767_233 Depth=2
	ds_read_u16 v3, v47 offset:2560
	s_waitcnt lgkmcnt(0)
	v_cmp_ne_u16_e64 s28, 0x8000, v3
	v_cndmask_b32_e64 v3, 0x7fff, v3, s28
	v_lshrrev_b32_sdwa v3, s29, v3 dst_sel:DWORD dst_unused:UNUSED_PAD src0_sel:DWORD src1_sel:WORD_0
	v_and_b32_e32 v101, s42, v3
	s_or_b32 exec_lo, exec_lo, s34
	s_and_saveexec_b32 s34, s24
	s_cbranch_execz .LBB1767_301
.LBB1767_335:                           ;   in Loop: Header=BB1767_233 Depth=2
	ds_read_u16 v3, v47 offset:3072
	s_waitcnt lgkmcnt(0)
	v_cmp_ne_u16_e64 s28, 0x8000, v3
	v_cndmask_b32_e64 v3, 0x7fff, v3, s28
	v_lshrrev_b32_sdwa v3, s29, v3 dst_sel:DWORD dst_unused:UNUSED_PAD src0_sel:DWORD src1_sel:WORD_0
	v_and_b32_e32 v100, s42, v3
	s_or_b32 exec_lo, exec_lo, s34
	s_and_saveexec_b32 s34, s25
	s_cbranch_execz .LBB1767_302
.LBB1767_336:                           ;   in Loop: Header=BB1767_233 Depth=2
	ds_read_u16 v3, v47 offset:3584
	s_waitcnt lgkmcnt(0)
	v_cmp_ne_u16_e64 s28, 0x8000, v3
	v_cndmask_b32_e64 v3, 0x7fff, v3, s28
	v_lshrrev_b32_sdwa v3, s29, v3 dst_sel:DWORD dst_unused:UNUSED_PAD src0_sel:DWORD src1_sel:WORD_0
	v_and_b32_e32 v99, s42, v3
	s_or_b32 exec_lo, exec_lo, s34
	s_and_saveexec_b32 s34, s26
	s_cbranch_execz .LBB1767_303
.LBB1767_337:                           ;   in Loop: Header=BB1767_233 Depth=2
	ds_read_u16 v3, v47 offset:4096
	s_waitcnt lgkmcnt(0)
	v_cmp_ne_u16_e64 s28, 0x8000, v3
	v_cndmask_b32_e64 v3, 0x7fff, v3, s28
	v_lshrrev_b32_sdwa v3, s29, v3 dst_sel:DWORD dst_unused:UNUSED_PAD src0_sel:DWORD src1_sel:WORD_0
	v_and_b32_e32 v98, s42, v3
	s_or_b32 exec_lo, exec_lo, s34
	s_and_saveexec_b32 s34, s27
	s_cbranch_execnz .LBB1767_304
	s_branch .LBB1767_305
.LBB1767_338:                           ;   in Loop: Header=BB1767_233 Depth=2
	v_lshlrev_b32_e32 v3, 2, v104
	v_add_nc_u32_e32 v21, v47, v48
	ds_read_b32 v3, v3
	ds_read_b64 v[21:22], v21 offset:1024
	s_waitcnt lgkmcnt(1)
	v_add_nc_u32_e32 v3, v3, v0
	v_lshlrev_b64 v[24:25], 3, v[3:4]
	v_add_co_u32 v24, vcc_lo, s46, v24
	v_add_co_ci_u32_e64 v25, null, s47, v25, vcc_lo
	s_waitcnt lgkmcnt(0)
	global_store_dwordx2 v[24:25], v[21:22], off
	s_or_b32 exec_lo, exec_lo, s28
	s_and_saveexec_b32 s28, s21
	s_cbranch_execz .LBB1767_307
.LBB1767_339:                           ;   in Loop: Header=BB1767_233 Depth=2
	v_lshlrev_b32_e32 v3, 2, v103
	v_add_nc_u32_e32 v21, v47, v48
	ds_read_b32 v3, v3
	ds_read_b64 v[21:22], v21 offset:3072
	s_waitcnt lgkmcnt(1)
	v_add_nc_u32_e32 v3, v3, v30
	v_lshlrev_b64 v[24:25], 3, v[3:4]
	v_add_co_u32 v24, vcc_lo, s46, v24
	v_add_co_ci_u32_e64 v25, null, s47, v25, vcc_lo
	s_waitcnt lgkmcnt(0)
	global_store_dwordx2 v[24:25], v[21:22], off
	s_or_b32 exec_lo, exec_lo, s28
	s_and_saveexec_b32 s21, s22
	s_cbranch_execz .LBB1767_308
.LBB1767_340:                           ;   in Loop: Header=BB1767_233 Depth=2
	v_lshlrev_b32_e32 v3, 2, v102
	v_add_nc_u32_e32 v21, v47, v48
	ds_read_b32 v3, v3
	ds_read_b64 v[21:22], v21 offset:5120
	s_waitcnt lgkmcnt(1)
	v_add_nc_u32_e32 v3, v3, v31
	v_lshlrev_b64 v[24:25], 3, v[3:4]
	v_add_co_u32 v24, vcc_lo, s46, v24
	v_add_co_ci_u32_e64 v25, null, s47, v25, vcc_lo
	s_waitcnt lgkmcnt(0)
	global_store_dwordx2 v[24:25], v[21:22], off
	s_or_b32 exec_lo, exec_lo, s21
	s_and_saveexec_b32 s21, s23
	s_cbranch_execz .LBB1767_309
.LBB1767_341:                           ;   in Loop: Header=BB1767_233 Depth=2
	v_lshlrev_b32_e32 v3, 2, v101
	v_add_nc_u32_e32 v21, v47, v48
	ds_read_b32 v3, v3
	ds_read_b64 v[21:22], v21 offset:7168
	s_waitcnt lgkmcnt(1)
	v_add_nc_u32_e32 v3, v3, v32
	v_lshlrev_b64 v[24:25], 3, v[3:4]
	v_add_co_u32 v24, vcc_lo, s46, v24
	v_add_co_ci_u32_e64 v25, null, s47, v25, vcc_lo
	s_waitcnt lgkmcnt(0)
	global_store_dwordx2 v[24:25], v[21:22], off
	s_or_b32 exec_lo, exec_lo, s21
	s_and_saveexec_b32 s21, s24
	s_cbranch_execz .LBB1767_310
.LBB1767_342:                           ;   in Loop: Header=BB1767_233 Depth=2
	v_lshlrev_b32_e32 v3, 2, v100
	v_add_nc_u32_e32 v21, v47, v48
	ds_read_b32 v3, v3
	ds_read_b64 v[21:22], v21 offset:9216
	s_waitcnt lgkmcnt(1)
	v_add_nc_u32_e32 v3, v3, v35
	v_lshlrev_b64 v[24:25], 3, v[3:4]
	v_add_co_u32 v24, vcc_lo, s46, v24
	v_add_co_ci_u32_e64 v25, null, s47, v25, vcc_lo
	s_waitcnt lgkmcnt(0)
	global_store_dwordx2 v[24:25], v[21:22], off
	s_or_b32 exec_lo, exec_lo, s21
	s_and_saveexec_b32 s21, s25
	s_cbranch_execz .LBB1767_311
.LBB1767_343:                           ;   in Loop: Header=BB1767_233 Depth=2
	v_lshlrev_b32_e32 v3, 2, v99
	v_add_nc_u32_e32 v21, v47, v48
	ds_read_b32 v3, v3
	ds_read_b64 v[21:22], v21 offset:11264
	s_waitcnt lgkmcnt(1)
	v_add_nc_u32_e32 v3, v3, v36
	v_lshlrev_b64 v[24:25], 3, v[3:4]
	v_add_co_u32 v24, vcc_lo, s46, v24
	v_add_co_ci_u32_e64 v25, null, s47, v25, vcc_lo
	s_waitcnt lgkmcnt(0)
	global_store_dwordx2 v[24:25], v[21:22], off
	s_or_b32 exec_lo, exec_lo, s21
	s_and_saveexec_b32 s21, s26
	s_cbranch_execz .LBB1767_312
.LBB1767_344:                           ;   in Loop: Header=BB1767_233 Depth=2
	v_lshlrev_b32_e32 v3, 2, v98
	v_add_nc_u32_e32 v21, v47, v48
	ds_read_b32 v3, v3
	ds_read_b64 v[21:22], v21 offset:13312
	s_waitcnt lgkmcnt(1)
	v_add_nc_u32_e32 v3, v3, v37
	v_lshlrev_b64 v[24:25], 3, v[3:4]
	v_add_co_u32 v24, vcc_lo, s46, v24
	v_add_co_ci_u32_e64 v25, null, s47, v25, vcc_lo
	s_waitcnt lgkmcnt(0)
	global_store_dwordx2 v[24:25], v[21:22], off
	s_or_b32 exec_lo, exec_lo, s21
	s_and_saveexec_b32 s21, s27
	s_cbranch_execnz .LBB1767_313
	s_branch .LBB1767_314
.LBB1767_345:                           ;   in Loop: Header=BB1767_17 Depth=1
	s_waitcnt lgkmcnt(0)
	s_barrier
.LBB1767_346:                           ;   in Loop: Header=BB1767_17 Depth=1
	s_mov_b32 s5, 0
.LBB1767_347:                           ;   in Loop: Header=BB1767_17 Depth=1
	s_andn2_b32 vcc_lo, exec_lo, s5
	s_cbranch_vccnz .LBB1767_16
; %bb.348:                              ;   in Loop: Header=BB1767_17 Depth=1
	s_and_b32 vcc_lo, exec_lo, s51
	s_mov_b32 s5, -1
	s_cbranch_vccz .LBB1767_512
; %bb.349:                              ;   in Loop: Header=BB1767_17 Depth=1
	s_mov_b32 s5, s53
	s_mov_b32 s34, s33
	s_barrier
	buffer_gl0_inv
                                        ; implicit-def: $vgpr3
                                        ; implicit-def: $vgpr5
                                        ; implicit-def: $vgpr6
                                        ; implicit-def: $vgpr7
                                        ; implicit-def: $vgpr8
                                        ; implicit-def: $vgpr9
                                        ; implicit-def: $vgpr10
                                        ; implicit-def: $vgpr11
	s_branch .LBB1767_351
.LBB1767_350:                           ;   in Loop: Header=BB1767_351 Depth=2
	s_or_b32 exec_lo, exec_lo, s14
	s_addk_i32 s5, 0xf800
	s_cmp_ge_u32 s16, s52
	s_mov_b32 s34, s16
	s_cbranch_scc1 .LBB1767_387
.LBB1767_351:                           ;   Parent Loop BB1767_17 Depth=1
                                        ; =>  This Inner Loop Header: Depth=2
	s_add_i32 s16, s34, 0x800
	s_mov_b32 s14, -1
	s_cmp_gt_u32 s16, s52
                                        ; implicit-def: $vgpr12
                                        ; implicit-def: $vgpr13
                                        ; implicit-def: $vgpr14
                                        ; implicit-def: $vgpr15
                                        ; implicit-def: $vgpr16
                                        ; implicit-def: $vgpr17
                                        ; implicit-def: $vgpr18
                                        ; implicit-def: $vgpr19
	s_cbranch_scc1 .LBB1767_353
; %bb.352:                              ;   in Loop: Header=BB1767_351 Depth=2
	s_lshl_b64 s[14:15], s[34:35], 1
	v_add_co_u32 v15, vcc_lo, v55, s14
	v_add_co_ci_u32_e64 v16, null, s15, v56, vcc_lo
	s_mov_b32 s14, 0
	v_add_co_u32 v19, vcc_lo, 0x800, v15
	v_add_co_ci_u32_e64 v20, null, 0, v16, vcc_lo
	s_clause 0x7
	global_load_ushort v12, v[15:16], off
	global_load_ushort v13, v[15:16], off offset:512
	global_load_ushort v14, v[15:16], off offset:1024
	;; [unrolled: 1-line block ×3, first 2 shown]
	global_load_ushort v16, v[19:20], off
	global_load_ushort v17, v[19:20], off offset:512
	global_load_ushort v18, v[19:20], off offset:1024
	;; [unrolled: 1-line block ×3, first 2 shown]
.LBB1767_353:                           ;   in Loop: Header=BB1767_351 Depth=2
	s_andn2_b32 vcc_lo, exec_lo, s14
	s_movk_i32 s14, 0x800
	s_cbranch_vccnz .LBB1767_364
; %bb.354:                              ;   in Loop: Header=BB1767_351 Depth=2
	s_lshl_b64 s[14:15], s[34:35], 1
	s_mov_b32 s17, exec_lo
	s_add_u32 s14, s36, s14
	s_addc_u32 s15, s37, s15
	v_cmpx_gt_u32_e64 s5, v0
	s_cbranch_execnz .LBB1767_380
; %bb.355:                              ;   in Loop: Header=BB1767_351 Depth=2
	s_or_b32 exec_lo, exec_lo, s17
	s_mov_b32 s17, exec_lo
	v_cmpx_gt_u32_e64 s5, v30
	s_cbranch_execnz .LBB1767_381
.LBB1767_356:                           ;   in Loop: Header=BB1767_351 Depth=2
	s_or_b32 exec_lo, exec_lo, s17
	s_mov_b32 s17, exec_lo
	v_cmpx_gt_u32_e64 s5, v31
	s_cbranch_execnz .LBB1767_382
.LBB1767_357:                           ;   in Loop: Header=BB1767_351 Depth=2
	s_or_b32 exec_lo, exec_lo, s17
	s_mov_b32 s17, exec_lo
	v_cmpx_gt_u32_e64 s5, v32
	s_cbranch_execnz .LBB1767_383
.LBB1767_358:                           ;   in Loop: Header=BB1767_351 Depth=2
	s_or_b32 exec_lo, exec_lo, s17
	s_mov_b32 s17, exec_lo
	v_cmpx_gt_u32_e64 s5, v35
	s_cbranch_execnz .LBB1767_384
.LBB1767_359:                           ;   in Loop: Header=BB1767_351 Depth=2
	s_or_b32 exec_lo, exec_lo, s17
	s_mov_b32 s17, exec_lo
	v_cmpx_gt_u32_e64 s5, v36
	s_cbranch_execnz .LBB1767_385
.LBB1767_360:                           ;   in Loop: Header=BB1767_351 Depth=2
	s_or_b32 exec_lo, exec_lo, s17
	s_mov_b32 s17, exec_lo
	v_cmpx_gt_u32_e64 s5, v37
	s_cbranch_execnz .LBB1767_386
.LBB1767_361:                           ;   in Loop: Header=BB1767_351 Depth=2
	s_or_b32 exec_lo, exec_lo, s17
	s_mov_b32 s17, exec_lo
	v_cmpx_gt_u32_e64 s5, v38
	s_cbranch_execz .LBB1767_363
.LBB1767_362:                           ;   in Loop: Header=BB1767_351 Depth=2
	global_load_ushort v3, v87, s[14:15]
.LBB1767_363:                           ;   in Loop: Header=BB1767_351 Depth=2
	s_or_b32 exec_lo, exec_lo, s17
	s_waitcnt vmcnt(0)
	v_mov_b32_e32 v12, v11
	v_mov_b32_e32 v13, v10
	;; [unrolled: 1-line block ×8, first 2 shown]
	s_mov_b32 s14, s5
.LBB1767_364:                           ;   in Loop: Header=BB1767_351 Depth=2
	s_waitcnt vmcnt(0)
	v_mov_b32_e32 v3, v19
	v_mov_b32_e32 v5, v18
	v_mov_b32_e32 v6, v17
	v_mov_b32_e32 v7, v16
	v_mov_b32_e32 v8, v15
	v_mov_b32_e32 v9, v14
	v_mov_b32_e32 v10, v13
	v_mov_b32_e32 v11, v12
	s_mov_b32 s15, exec_lo
	v_cmpx_gt_u32_e64 s14, v0
	s_cbranch_execnz .LBB1767_372
; %bb.365:                              ;   in Loop: Header=BB1767_351 Depth=2
	s_or_b32 exec_lo, exec_lo, s15
	s_mov_b32 s15, exec_lo
	v_cmpx_gt_u32_e64 s14, v30
	s_cbranch_execnz .LBB1767_373
.LBB1767_366:                           ;   in Loop: Header=BB1767_351 Depth=2
	s_or_b32 exec_lo, exec_lo, s15
	s_mov_b32 s15, exec_lo
	v_cmpx_gt_u32_e64 s14, v31
	s_cbranch_execnz .LBB1767_374
.LBB1767_367:                           ;   in Loop: Header=BB1767_351 Depth=2
	s_or_b32 exec_lo, exec_lo, s15
	s_mov_b32 s15, exec_lo
	v_cmpx_gt_u32_e64 s14, v32
	s_cbranch_execnz .LBB1767_375
.LBB1767_368:                           ;   in Loop: Header=BB1767_351 Depth=2
	s_or_b32 exec_lo, exec_lo, s15
	s_mov_b32 s15, exec_lo
	v_cmpx_gt_u32_e64 s14, v35
	s_cbranch_execnz .LBB1767_376
.LBB1767_369:                           ;   in Loop: Header=BB1767_351 Depth=2
	s_or_b32 exec_lo, exec_lo, s15
	s_mov_b32 s15, exec_lo
	v_cmpx_gt_u32_e64 s14, v36
	s_cbranch_execnz .LBB1767_377
.LBB1767_370:                           ;   in Loop: Header=BB1767_351 Depth=2
	s_or_b32 exec_lo, exec_lo, s15
	s_mov_b32 s15, exec_lo
	v_cmpx_gt_u32_e64 s14, v37
	s_cbranch_execnz .LBB1767_378
.LBB1767_371:                           ;   in Loop: Header=BB1767_351 Depth=2
	s_or_b32 exec_lo, exec_lo, s15
	v_cmp_gt_u32_e32 vcc_lo, s14, v38
	s_and_saveexec_b32 s14, vcc_lo
	s_cbranch_execz .LBB1767_350
	s_branch .LBB1767_379
.LBB1767_372:                           ;   in Loop: Header=BB1767_351 Depth=2
	v_cmp_gt_i16_e32 vcc_lo, 0, v11
	v_cndmask_b32_e64 v12, 0x7fff, 0, vcc_lo
	v_xor_b32_e32 v12, v12, v11
	v_cmp_ne_u16_e32 vcc_lo, 0x8000, v12
	v_cndmask_b32_e32 v12, 0x7fff, v12, vcc_lo
	v_lshrrev_b32_sdwa v12, s49, v12 dst_sel:DWORD dst_unused:UNUSED_PAD src0_sel:DWORD src1_sel:WORD_0
	v_and_b32_e32 v12, s42, v12
	v_lshl_or_b32 v12, v12, 4, v40
	ds_add_u32 v12, v62
	s_or_b32 exec_lo, exec_lo, s15
	s_mov_b32 s15, exec_lo
	v_cmpx_gt_u32_e64 s14, v30
	s_cbranch_execz .LBB1767_366
.LBB1767_373:                           ;   in Loop: Header=BB1767_351 Depth=2
	v_cmp_gt_i16_e32 vcc_lo, 0, v10
	v_cndmask_b32_e64 v12, 0x7fff, 0, vcc_lo
	v_xor_b32_e32 v12, v12, v10
	v_cmp_ne_u16_e32 vcc_lo, 0x8000, v12
	v_cndmask_b32_e32 v12, 0x7fff, v12, vcc_lo
	v_lshrrev_b32_sdwa v12, s49, v12 dst_sel:DWORD dst_unused:UNUSED_PAD src0_sel:DWORD src1_sel:WORD_0
	v_and_b32_e32 v12, s42, v12
	v_lshl_or_b32 v12, v12, 4, v40
	ds_add_u32 v12, v62
	s_or_b32 exec_lo, exec_lo, s15
	s_mov_b32 s15, exec_lo
	v_cmpx_gt_u32_e64 s14, v31
	s_cbranch_execz .LBB1767_367
.LBB1767_374:                           ;   in Loop: Header=BB1767_351 Depth=2
	v_cmp_gt_i16_e32 vcc_lo, 0, v9
	v_cndmask_b32_e64 v12, 0x7fff, 0, vcc_lo
	v_xor_b32_e32 v12, v12, v9
	v_cmp_ne_u16_e32 vcc_lo, 0x8000, v12
	v_cndmask_b32_e32 v12, 0x7fff, v12, vcc_lo
	v_lshrrev_b32_sdwa v12, s49, v12 dst_sel:DWORD dst_unused:UNUSED_PAD src0_sel:DWORD src1_sel:WORD_0
	v_and_b32_e32 v12, s42, v12
	v_lshl_or_b32 v12, v12, 4, v40
	ds_add_u32 v12, v62
	s_or_b32 exec_lo, exec_lo, s15
	s_mov_b32 s15, exec_lo
	v_cmpx_gt_u32_e64 s14, v32
	s_cbranch_execz .LBB1767_368
.LBB1767_375:                           ;   in Loop: Header=BB1767_351 Depth=2
	v_cmp_gt_i16_e32 vcc_lo, 0, v8
	v_cndmask_b32_e64 v12, 0x7fff, 0, vcc_lo
	v_xor_b32_e32 v12, v12, v8
	v_cmp_ne_u16_e32 vcc_lo, 0x8000, v12
	v_cndmask_b32_e32 v12, 0x7fff, v12, vcc_lo
	v_lshrrev_b32_sdwa v12, s49, v12 dst_sel:DWORD dst_unused:UNUSED_PAD src0_sel:DWORD src1_sel:WORD_0
	v_and_b32_e32 v12, s42, v12
	v_lshl_or_b32 v12, v12, 4, v40
	ds_add_u32 v12, v62
	s_or_b32 exec_lo, exec_lo, s15
	s_mov_b32 s15, exec_lo
	v_cmpx_gt_u32_e64 s14, v35
	s_cbranch_execz .LBB1767_369
.LBB1767_376:                           ;   in Loop: Header=BB1767_351 Depth=2
	v_cmp_gt_i16_e32 vcc_lo, 0, v7
	v_cndmask_b32_e64 v12, 0x7fff, 0, vcc_lo
	v_xor_b32_e32 v12, v12, v7
	v_cmp_ne_u16_e32 vcc_lo, 0x8000, v12
	v_cndmask_b32_e32 v12, 0x7fff, v12, vcc_lo
	v_lshrrev_b32_sdwa v12, s49, v12 dst_sel:DWORD dst_unused:UNUSED_PAD src0_sel:DWORD src1_sel:WORD_0
	v_and_b32_e32 v12, s42, v12
	v_lshl_or_b32 v12, v12, 4, v40
	ds_add_u32 v12, v62
	s_or_b32 exec_lo, exec_lo, s15
	s_mov_b32 s15, exec_lo
	v_cmpx_gt_u32_e64 s14, v36
	s_cbranch_execz .LBB1767_370
.LBB1767_377:                           ;   in Loop: Header=BB1767_351 Depth=2
	v_cmp_gt_i16_e32 vcc_lo, 0, v6
	v_cndmask_b32_e64 v12, 0x7fff, 0, vcc_lo
	v_xor_b32_e32 v12, v12, v6
	v_cmp_ne_u16_e32 vcc_lo, 0x8000, v12
	v_cndmask_b32_e32 v12, 0x7fff, v12, vcc_lo
	v_lshrrev_b32_sdwa v12, s49, v12 dst_sel:DWORD dst_unused:UNUSED_PAD src0_sel:DWORD src1_sel:WORD_0
	v_and_b32_e32 v12, s42, v12
	v_lshl_or_b32 v12, v12, 4, v40
	ds_add_u32 v12, v62
	s_or_b32 exec_lo, exec_lo, s15
	s_mov_b32 s15, exec_lo
	v_cmpx_gt_u32_e64 s14, v37
	s_cbranch_execz .LBB1767_371
.LBB1767_378:                           ;   in Loop: Header=BB1767_351 Depth=2
	v_cmp_gt_i16_e32 vcc_lo, 0, v5
	v_cndmask_b32_e64 v12, 0x7fff, 0, vcc_lo
	v_xor_b32_e32 v12, v12, v5
	v_cmp_ne_u16_e32 vcc_lo, 0x8000, v12
	v_cndmask_b32_e32 v12, 0x7fff, v12, vcc_lo
	v_lshrrev_b32_sdwa v12, s49, v12 dst_sel:DWORD dst_unused:UNUSED_PAD src0_sel:DWORD src1_sel:WORD_0
	v_and_b32_e32 v12, s42, v12
	v_lshl_or_b32 v12, v12, 4, v40
	ds_add_u32 v12, v62
	s_or_b32 exec_lo, exec_lo, s15
	v_cmp_gt_u32_e32 vcc_lo, s14, v38
	s_and_saveexec_b32 s14, vcc_lo
	s_cbranch_execz .LBB1767_350
.LBB1767_379:                           ;   in Loop: Header=BB1767_351 Depth=2
	v_cmp_gt_i16_e32 vcc_lo, 0, v3
	v_cndmask_b32_e64 v12, 0x7fff, 0, vcc_lo
	v_xor_b32_e32 v12, v12, v3
	v_cmp_ne_u16_e32 vcc_lo, 0x8000, v12
	v_cndmask_b32_e32 v12, 0x7fff, v12, vcc_lo
	v_lshrrev_b32_sdwa v12, s49, v12 dst_sel:DWORD dst_unused:UNUSED_PAD src0_sel:DWORD src1_sel:WORD_0
	v_and_b32_e32 v12, s42, v12
	v_lshl_or_b32 v12, v12, 4, v40
	ds_add_u32 v12, v62
	s_branch .LBB1767_350
.LBB1767_380:                           ;   in Loop: Header=BB1767_351 Depth=2
	global_load_ushort v11, v79, s[14:15]
	s_or_b32 exec_lo, exec_lo, s17
	s_mov_b32 s17, exec_lo
	v_cmpx_gt_u32_e64 s5, v30
	s_cbranch_execz .LBB1767_356
.LBB1767_381:                           ;   in Loop: Header=BB1767_351 Depth=2
	global_load_ushort v10, v79, s[14:15] offset:512
	s_or_b32 exec_lo, exec_lo, s17
	s_mov_b32 s17, exec_lo
	v_cmpx_gt_u32_e64 s5, v31
	s_cbranch_execz .LBB1767_357
.LBB1767_382:                           ;   in Loop: Header=BB1767_351 Depth=2
	global_load_ushort v9, v79, s[14:15] offset:1024
	s_or_b32 exec_lo, exec_lo, s17
	s_mov_b32 s17, exec_lo
	v_cmpx_gt_u32_e64 s5, v32
	s_cbranch_execz .LBB1767_358
.LBB1767_383:                           ;   in Loop: Header=BB1767_351 Depth=2
	global_load_ushort v8, v79, s[14:15] offset:1536
	s_or_b32 exec_lo, exec_lo, s17
	s_mov_b32 s17, exec_lo
	v_cmpx_gt_u32_e64 s5, v35
	s_cbranch_execz .LBB1767_359
.LBB1767_384:                           ;   in Loop: Header=BB1767_351 Depth=2
	global_load_ushort v7, v80, s[14:15]
	s_or_b32 exec_lo, exec_lo, s17
	s_mov_b32 s17, exec_lo
	v_cmpx_gt_u32_e64 s5, v36
	s_cbranch_execz .LBB1767_360
.LBB1767_385:                           ;   in Loop: Header=BB1767_351 Depth=2
	global_load_ushort v6, v81, s[14:15]
	s_or_b32 exec_lo, exec_lo, s17
	s_mov_b32 s17, exec_lo
	v_cmpx_gt_u32_e64 s5, v37
	s_cbranch_execz .LBB1767_361
.LBB1767_386:                           ;   in Loop: Header=BB1767_351 Depth=2
	global_load_ushort v5, v82, s[14:15]
	s_or_b32 exec_lo, exec_lo, s17
	s_mov_b32 s17, exec_lo
	v_cmpx_gt_u32_e64 s5, v38
	s_cbranch_execnz .LBB1767_362
	s_branch .LBB1767_363
.LBB1767_387:                           ;   in Loop: Header=BB1767_17 Depth=1
	v_mov_b32_e32 v3, 0
	s_waitcnt lgkmcnt(0)
	s_barrier
	buffer_gl0_inv
	s_and_saveexec_b32 s5, s8
	s_cbranch_execz .LBB1767_389
; %bb.388:                              ;   in Loop: Header=BB1767_17 Depth=1
	ds_read2_b64 v[5:8], v41 offset1:1
	s_waitcnt lgkmcnt(0)
	v_add_nc_u32_e32 v3, v6, v5
	v_add3_u32 v3, v3, v7, v8
.LBB1767_389:                           ;   in Loop: Header=BB1767_17 Depth=1
	s_or_b32 exec_lo, exec_lo, s5
	v_mov_b32_dpp v5, v3 row_shr:1 row_mask:0xf bank_mask:0xf
	v_cmp_eq_u32_e64 s5, 0, v63
	v_cmp_lt_u32_e64 s14, 1, v63
	v_cmp_lt_u32_e64 s15, 3, v63
	;; [unrolled: 1-line block ×3, first 2 shown]
	v_cmp_eq_u32_e64 s17, 0, v65
	v_cndmask_b32_e64 v5, v5, 0, s5
	v_add_nc_u32_e32 v3, v5, v3
	v_mov_b32_dpp v5, v3 row_shr:2 row_mask:0xf bank_mask:0xf
	v_cndmask_b32_e64 v5, 0, v5, s14
	v_add_nc_u32_e32 v3, v3, v5
	v_mov_b32_dpp v5, v3 row_shr:4 row_mask:0xf bank_mask:0xf
	;; [unrolled: 3-line block ×3, first 2 shown]
	v_cndmask_b32_e64 v5, 0, v5, s16
	v_add_nc_u32_e32 v3, v3, v5
	ds_swizzle_b32 v5, v3 offset:swizzle(BROADCAST,32,15)
	s_waitcnt lgkmcnt(0)
	v_and_b32_e32 v5, v64, v5
	v_add_nc_u32_e32 v3, v3, v5
	s_and_saveexec_b32 s18, s9
; %bb.390:                              ;   in Loop: Header=BB1767_17 Depth=1
	ds_write_b32 v42, v3
; %bb.391:                              ;   in Loop: Header=BB1767_17 Depth=1
	s_or_b32 exec_lo, exec_lo, s18
	s_waitcnt lgkmcnt(0)
	s_barrier
	buffer_gl0_inv
	s_and_saveexec_b32 s18, s10
	s_cbranch_execz .LBB1767_393
; %bb.392:                              ;   in Loop: Header=BB1767_17 Depth=1
	ds_read_b32 v5, v43
	v_cmp_ne_u32_e32 vcc_lo, 0, v67
	s_waitcnt lgkmcnt(0)
	v_mov_b32_dpp v6, v5 row_shr:1 row_mask:0xf bank_mask:0xf
	v_cndmask_b32_e32 v6, 0, v6, vcc_lo
	v_cmp_lt_u32_e32 vcc_lo, 1, v67
	v_add_nc_u32_e32 v5, v6, v5
	v_mov_b32_dpp v6, v5 row_shr:2 row_mask:0xf bank_mask:0xf
	v_cndmask_b32_e32 v6, 0, v6, vcc_lo
	v_cmp_lt_u32_e32 vcc_lo, 3, v67
	v_add_nc_u32_e32 v5, v5, v6
	v_mov_b32_dpp v6, v5 row_shr:4 row_mask:0xf bank_mask:0xf
	v_cndmask_b32_e32 v6, 0, v6, vcc_lo
	v_add_nc_u32_e32 v5, v5, v6
	ds_write_b32 v43, v5
.LBB1767_393:                           ;   in Loop: Header=BB1767_17 Depth=1
	s_or_b32 exec_lo, exec_lo, s18
	v_mov_b32_e32 v5, 0
	s_waitcnt lgkmcnt(0)
	s_barrier
	buffer_gl0_inv
	s_and_saveexec_b32 s18, s11
; %bb.394:                              ;   in Loop: Header=BB1767_17 Depth=1
	ds_read_b32 v5, v45
; %bb.395:                              ;   in Loop: Header=BB1767_17 Depth=1
	s_or_b32 exec_lo, exec_lo, s18
	v_cmp_gt_i32_e32 vcc_lo, 0, v68
	s_waitcnt lgkmcnt(0)
	v_add_nc_u32_e32 v3, v5, v3
	s_barrier
	buffer_gl0_inv
	v_cndmask_b32_e32 v6, v68, v59, vcc_lo
	v_lshlrev_b32_e32 v91, 2, v6
	ds_bpermute_b32 v3, v91, v3
	s_and_saveexec_b32 s18, s8
	s_cbranch_execz .LBB1767_397
; %bb.396:                              ;   in Loop: Header=BB1767_17 Depth=1
	s_waitcnt lgkmcnt(0)
	v_cndmask_b32_e64 v3, v3, v5, s13
	v_add_nc_u32_e32 v3, s33, v3
	ds_write_b32 v29, v3
.LBB1767_397:                           ;   in Loop: Header=BB1767_17 Depth=1
	s_or_b32 exec_lo, exec_lo, s18
	s_load_dwordx2 s[18:19], s[30:31], 0x0
	v_add_co_u32 v92, vcc_lo, v57, v69
	v_add_co_ci_u32_e64 v93, null, 0, v58, vcc_lo
	v_add_co_u32 v94, vcc_lo, v60, v77
	v_add_co_ci_u32_e64 v95, null, 0, v61, vcc_lo
	s_mov_b32 s43, s53
	s_mov_b32 s34, s33
                                        ; implicit-def: $vgpr7_vgpr8
                                        ; implicit-def: $vgpr9_vgpr10
                                        ; implicit-def: $vgpr11_vgpr12
                                        ; implicit-def: $vgpr13_vgpr14
                                        ; implicit-def: $vgpr15_vgpr16
                                        ; implicit-def: $vgpr17_vgpr18
                                        ; implicit-def: $vgpr19_vgpr20
                                        ; implicit-def: $vgpr97
                                        ; implicit-def: $vgpr98
                                        ; implicit-def: $vgpr99
                                        ; implicit-def: $vgpr100
                                        ; implicit-def: $vgpr101
                                        ; implicit-def: $vgpr102
                                        ; implicit-def: $vgpr103
                                        ; implicit-def: $vgpr104
	s_waitcnt lgkmcnt(0)
	s_cmp_lt_u32 s7, s19
	s_cselect_b32 s19, 14, 20
	s_add_u32 s20, s30, s19
	s_addc_u32 s21, s31, 0
	s_cmp_lt_u32 s6, s18
	global_load_ushort v3, v4, s[20:21]
	s_cselect_b32 s18, 12, 18
	s_add_u32 s18, s30, s18
	s_addc_u32 s19, s31, 0
	global_load_ushort v5, v4, s[18:19]
	v_cmp_eq_u32_e64 s18, 0, v67
	v_cmp_lt_u32_e64 s19, 1, v67
	v_cmp_lt_u32_e64 s20, 3, v67
	s_waitcnt vmcnt(1)
	v_mad_u32_u24 v3, v2, v3, v1
	s_waitcnt vmcnt(0)
	v_mad_u64_u32 v[5:6], null, v3, v5, v[0:1]
	v_lshrrev_b32_e32 v3, 3, v5
                                        ; implicit-def: $vgpr5_vgpr6
	v_and_b32_e32 v96, 0x1ffffffc, v3
	s_branch .LBB1767_399
.LBB1767_398:                           ;   in Loop: Header=BB1767_399 Depth=2
	s_or_b32 exec_lo, exec_lo, s21
	s_addk_i32 s43, 0xf800
	s_cmp_lt_u32 s48, s52
	s_mov_b32 s34, s48
	s_cbranch_scc0 .LBB1767_511
.LBB1767_399:                           ;   Parent Loop BB1767_17 Depth=1
                                        ; =>  This Inner Loop Header: Depth=2
	s_add_i32 s48, s34, 0x800
	s_cmp_gt_u32 s48, s52
	s_cbranch_scc1 .LBB1767_401
; %bb.400:                              ;   in Loop: Header=BB1767_399 Depth=2
	s_lshl_b64 s[22:23], s[34:35], 1
	s_mov_b32 s21, -1
	v_add_co_u32 v21, vcc_lo, v94, s22
	v_add_co_ci_u32_e64 v22, null, s23, v95, vcc_lo
	s_clause 0x6
	global_load_ushort v3, v[21:22], off
	global_load_ushort v28, v[21:22], off offset:64
	global_load_ushort v27, v[21:22], off offset:128
	;; [unrolled: 1-line block ×6, first 2 shown]
	s_movk_i32 s22, 0x800
	s_cbranch_execz .LBB1767_402
	s_branch .LBB1767_417
.LBB1767_401:                           ;   in Loop: Header=BB1767_399 Depth=2
	s_mov_b32 s21, 0
                                        ; implicit-def: $vgpr3
                                        ; implicit-def: $vgpr28
                                        ; implicit-def: $vgpr27
                                        ; implicit-def: $vgpr26
                                        ; implicit-def: $vgpr25
                                        ; implicit-def: $vgpr24
                                        ; implicit-def: $vgpr23
	s_movk_i32 s22, 0x800
.LBB1767_402:                           ;   in Loop: Header=BB1767_399 Depth=2
	s_lshl_b64 s[22:23], s[34:35], 1
	s_waitcnt vmcnt(5)
	v_mov_b32_e32 v28, -1
	v_add_co_u32 v21, vcc_lo, v94, s22
	v_add_co_ci_u32_e64 v22, null, s23, v95, vcc_lo
	v_mov_b32_e32 v3, -1
	s_mov_b32 s21, exec_lo
	v_cmpx_gt_u32_e64 s43, v66
	s_cbranch_execz .LBB1767_404
; %bb.403:                              ;   in Loop: Header=BB1767_399 Depth=2
	global_load_ushort v3, v[21:22], off
.LBB1767_404:                           ;   in Loop: Header=BB1767_399 Depth=2
	s_or_b32 exec_lo, exec_lo, s21
	s_mov_b32 s21, exec_lo
	v_cmpx_gt_u32_e64 s43, v70
	s_cbranch_execz .LBB1767_406
; %bb.405:                              ;   in Loop: Header=BB1767_399 Depth=2
	global_load_ushort v28, v[21:22], off offset:64
.LBB1767_406:                           ;   in Loop: Header=BB1767_399 Depth=2
	s_or_b32 exec_lo, exec_lo, s21
	s_waitcnt vmcnt(3)
	v_mov_b32_e32 v26, -1
	v_mov_b32_e32 v27, -1
	s_mov_b32 s21, exec_lo
	v_cmpx_gt_u32_e64 s43, v71
	s_cbranch_execz .LBB1767_408
; %bb.407:                              ;   in Loop: Header=BB1767_399 Depth=2
	global_load_ushort v27, v[21:22], off offset:128
.LBB1767_408:                           ;   in Loop: Header=BB1767_399 Depth=2
	s_or_b32 exec_lo, exec_lo, s21
	s_mov_b32 s21, exec_lo
	v_cmpx_gt_u32_e64 s43, v72
	s_cbranch_execz .LBB1767_410
; %bb.409:                              ;   in Loop: Header=BB1767_399 Depth=2
	global_load_ushort v26, v[21:22], off offset:192
.LBB1767_410:                           ;   in Loop: Header=BB1767_399 Depth=2
	s_or_b32 exec_lo, exec_lo, s21
	s_waitcnt vmcnt(1)
	v_mov_b32_e32 v24, -1
	v_mov_b32_e32 v25, -1
	s_mov_b32 s21, exec_lo
	v_cmpx_gt_u32_e64 s43, v73
	s_cbranch_execz .LBB1767_412
; %bb.411:                              ;   in Loop: Header=BB1767_399 Depth=2
	global_load_ushort v25, v[21:22], off offset:256
.LBB1767_412:                           ;   in Loop: Header=BB1767_399 Depth=2
	s_or_b32 exec_lo, exec_lo, s21
	s_mov_b32 s21, exec_lo
	v_cmpx_gt_u32_e64 s43, v74
	s_cbranch_execz .LBB1767_414
; %bb.413:                              ;   in Loop: Header=BB1767_399 Depth=2
	global_load_ushort v24, v[21:22], off offset:320
.LBB1767_414:                           ;   in Loop: Header=BB1767_399 Depth=2
	s_or_b32 exec_lo, exec_lo, s21
	s_waitcnt vmcnt(0)
	v_mov_b32_e32 v23, -1
	s_mov_b32 s21, exec_lo
	v_cmpx_gt_u32_e64 s43, v75
	s_cbranch_execz .LBB1767_416
; %bb.415:                              ;   in Loop: Header=BB1767_399 Depth=2
	global_load_ushort v23, v[21:22], off offset:384
.LBB1767_416:                           ;   in Loop: Header=BB1767_399 Depth=2
	s_or_b32 exec_lo, exec_lo, s21
	v_cmp_gt_u32_e64 s21, s43, v76
	s_sub_i32 s22, s52, s34
.LBB1767_417:                           ;   in Loop: Header=BB1767_399 Depth=2
	v_mov_b32_e32 v21, -1
	v_mov_b32_e32 v105, s43
	s_and_saveexec_b32 s23, s21
	s_cbranch_execz .LBB1767_419
; %bb.418:                              ;   in Loop: Header=BB1767_399 Depth=2
	s_lshl_b64 s[24:25], s[34:35], 1
	v_mov_b32_e32 v105, s22
	v_add_co_u32 v21, vcc_lo, v94, s24
	v_add_co_ci_u32_e64 v22, null, s25, v95, vcc_lo
	global_load_ushort v21, v[21:22], off offset:448
.LBB1767_419:                           ;   in Loop: Header=BB1767_399 Depth=2
	s_or_b32 exec_lo, exec_lo, s23
	s_waitcnt vmcnt(6)
	v_cmp_gt_i16_e32 vcc_lo, 0, v3
	ds_write2_b32 v78, v4, v4 offset1:1
	ds_write2_b32 v88, v4, v4 offset1:1
	;; [unrolled: 1-line block ×4, first 2 shown]
	ds_write_b32 v44, v4 offset:1088
	s_waitcnt vmcnt(0) lgkmcnt(0)
	s_barrier
	v_cndmask_b32_e64 v22, 0x7fff, 0, vcc_lo
	buffer_gl0_inv
	; wave barrier
	v_xor_b32_e32 v3, v22, v3
	v_cmp_ne_u16_e32 vcc_lo, 0x8000, v3
	v_cndmask_b32_e32 v22, 0x7fff, v3, vcc_lo
	v_lshrrev_b32_sdwa v22, s49, v22 dst_sel:DWORD dst_unused:UNUSED_PAD src0_sel:DWORD src1_sel:WORD_0
	v_and_b32_e32 v107, s42, v22
	v_and_b32_e32 v22, 1, v107
	v_lshlrev_b32_e32 v106, 30, v107
	v_lshlrev_b32_e32 v108, 29, v107
	;; [unrolled: 1-line block ×4, first 2 shown]
	v_add_co_u32 v22, s21, v22, -1
	v_cndmask_b32_e64 v110, 0, 1, s21
	v_not_b32_e32 v114, v106
	v_cmp_gt_i32_e64 s21, 0, v106
	v_not_b32_e32 v106, v108
	v_lshlrev_b32_e32 v112, 26, v107
	v_cmp_ne_u32_e32 vcc_lo, 0, v110
	v_ashrrev_i32_e32 v114, 31, v114
	v_lshlrev_b32_e32 v113, 25, v107
	v_ashrrev_i32_e32 v106, 31, v106
	v_lshlrev_b32_e32 v110, 24, v107
	v_xor_b32_e32 v22, vcc_lo, v22
	v_cmp_gt_i32_e32 vcc_lo, 0, v108
	v_not_b32_e32 v108, v109
	v_xor_b32_e32 v114, s21, v114
	v_cmp_gt_i32_e64 s21, 0, v109
	v_and_b32_e32 v22, exec_lo, v22
	v_not_b32_e32 v109, v111
	v_ashrrev_i32_e32 v108, 31, v108
	v_xor_b32_e32 v106, vcc_lo, v106
	v_cmp_gt_i32_e32 vcc_lo, 0, v111
	v_and_b32_e32 v22, v22, v114
	v_not_b32_e32 v111, v112
	v_ashrrev_i32_e32 v109, 31, v109
	v_xor_b32_e32 v108, s21, v108
	v_cmp_gt_i32_e64 s21, 0, v112
	v_and_b32_e32 v22, v22, v106
	v_not_b32_e32 v106, v113
	v_ashrrev_i32_e32 v111, 31, v111
	v_xor_b32_e32 v109, vcc_lo, v109
	v_cmp_gt_i32_e32 vcc_lo, 0, v113
	v_and_b32_e32 v22, v22, v108
	v_not_b32_e32 v108, v110
	v_ashrrev_i32_e32 v106, 31, v106
	v_xor_b32_e32 v111, s21, v111
	v_cmp_gt_i32_e64 s21, 0, v110
	v_and_b32_e32 v22, v22, v109
	v_ashrrev_i32_e32 v108, 31, v108
	v_xor_b32_e32 v106, vcc_lo, v106
	v_mul_u32_u24_e32 v107, 36, v107
	v_and_b32_e32 v22, v22, v111
	v_xor_b32_e32 v108, s21, v108
	v_and_b32_e32 v22, v22, v106
	v_and_b32_e32 v22, v22, v108
	v_add_nc_u32_e32 v108, v96, v107
	v_mbcnt_lo_u32_b32 v106, v22, 0
	v_cmp_ne_u32_e64 s21, 0, v22
	v_cmp_eq_u32_e32 vcc_lo, 0, v106
	s_and_b32 s22, s21, vcc_lo
	s_and_saveexec_b32 s21, s22
; %bb.420:                              ;   in Loop: Header=BB1767_399 Depth=2
	v_bcnt_u32_b32 v22, v22, 0
	ds_write_b32 v108, v22 offset:1056
; %bb.421:                              ;   in Loop: Header=BB1767_399 Depth=2
	s_or_b32 exec_lo, exec_lo, s21
	v_cmp_gt_i16_e32 vcc_lo, 0, v28
	; wave barrier
	v_cndmask_b32_e64 v22, 0x7fff, 0, vcc_lo
	v_xor_b32_e32 v107, v22, v28
	v_cmp_ne_u16_e32 vcc_lo, 0x8000, v107
	v_cndmask_b32_e32 v22, 0x7fff, v107, vcc_lo
	v_lshrrev_b32_sdwa v22, s49, v22 dst_sel:DWORD dst_unused:UNUSED_PAD src0_sel:DWORD src1_sel:WORD_0
	v_and_b32_e32 v28, s42, v22
	v_and_b32_e32 v22, 1, v28
	v_lshlrev_b32_e32 v109, 30, v28
	v_lshlrev_b32_e32 v110, 29, v28
	;; [unrolled: 1-line block ×4, first 2 shown]
	v_add_co_u32 v22, s21, v22, -1
	v_cndmask_b32_e64 v112, 0, 1, s21
	v_not_b32_e32 v116, v109
	v_cmp_gt_i32_e64 s21, 0, v109
	v_not_b32_e32 v109, v110
	v_lshlrev_b32_e32 v114, 26, v28
	v_cmp_ne_u32_e32 vcc_lo, 0, v112
	v_ashrrev_i32_e32 v116, 31, v116
	v_lshlrev_b32_e32 v115, 25, v28
	v_ashrrev_i32_e32 v109, 31, v109
	v_lshlrev_b32_e32 v112, 24, v28
	v_xor_b32_e32 v22, vcc_lo, v22
	v_cmp_gt_i32_e32 vcc_lo, 0, v110
	v_not_b32_e32 v110, v111
	v_xor_b32_e32 v116, s21, v116
	v_cmp_gt_i32_e64 s21, 0, v111
	v_and_b32_e32 v22, exec_lo, v22
	v_not_b32_e32 v111, v113
	v_ashrrev_i32_e32 v110, 31, v110
	v_xor_b32_e32 v109, vcc_lo, v109
	v_cmp_gt_i32_e32 vcc_lo, 0, v113
	v_and_b32_e32 v22, v22, v116
	v_not_b32_e32 v113, v114
	v_ashrrev_i32_e32 v111, 31, v111
	v_xor_b32_e32 v110, s21, v110
	v_cmp_gt_i32_e64 s21, 0, v114
	v_and_b32_e32 v22, v22, v109
	v_not_b32_e32 v109, v115
	v_ashrrev_i32_e32 v113, 31, v113
	v_xor_b32_e32 v111, vcc_lo, v111
	v_cmp_gt_i32_e32 vcc_lo, 0, v115
	v_and_b32_e32 v22, v22, v110
	v_not_b32_e32 v110, v112
	v_ashrrev_i32_e32 v109, 31, v109
	v_xor_b32_e32 v113, s21, v113
	v_cmp_gt_i32_e64 s21, 0, v112
	v_and_b32_e32 v22, v22, v111
	v_ashrrev_i32_e32 v110, 31, v110
	v_xor_b32_e32 v109, vcc_lo, v109
	v_mad_u32_u24 v111, v28, 36, v96
	v_mul_u32_u24_e32 v28, 36, v28
	v_and_b32_e32 v22, v22, v113
	v_xor_b32_e32 v110, s21, v110
	v_add_nc_u32_e32 v112, v96, v28
	v_and_b32_e32 v22, v22, v109
	ds_read_b32 v109, v111 offset:1056
	; wave barrier
	v_and_b32_e32 v22, v22, v110
	v_mbcnt_lo_u32_b32 v110, v22, 0
	v_cmp_ne_u32_e64 s21, 0, v22
	v_cmp_eq_u32_e32 vcc_lo, 0, v110
	s_and_b32 s22, s21, vcc_lo
	s_and_saveexec_b32 s21, s22
	s_cbranch_execz .LBB1767_423
; %bb.422:                              ;   in Loop: Header=BB1767_399 Depth=2
	s_waitcnt lgkmcnt(0)
	v_bcnt_u32_b32 v22, v22, v109
	ds_write_b32 v112, v22 offset:1056
.LBB1767_423:                           ;   in Loop: Header=BB1767_399 Depth=2
	s_or_b32 exec_lo, exec_lo, s21
	v_cmp_gt_i16_e32 vcc_lo, 0, v27
	; wave barrier
	v_cndmask_b32_e64 v22, 0x7fff, 0, vcc_lo
	v_xor_b32_e32 v111, v22, v27
	v_cmp_ne_u16_e32 vcc_lo, 0x8000, v111
	v_cndmask_b32_e32 v22, 0x7fff, v111, vcc_lo
	v_lshrrev_b32_sdwa v22, s49, v22 dst_sel:DWORD dst_unused:UNUSED_PAD src0_sel:DWORD src1_sel:WORD_0
	v_and_b32_e32 v27, s42, v22
	v_and_b32_e32 v22, 1, v27
	v_lshlrev_b32_e32 v28, 30, v27
	v_lshlrev_b32_e32 v113, 29, v27
	v_lshlrev_b32_e32 v114, 28, v27
	v_lshlrev_b32_e32 v116, 27, v27
	v_add_co_u32 v22, s21, v22, -1
	v_cndmask_b32_e64 v115, 0, 1, s21
	v_not_b32_e32 v119, v28
	v_cmp_gt_i32_e64 s21, 0, v28
	v_not_b32_e32 v28, v113
	v_lshlrev_b32_e32 v117, 26, v27
	v_cmp_ne_u32_e32 vcc_lo, 0, v115
	v_ashrrev_i32_e32 v119, 31, v119
	v_lshlrev_b32_e32 v118, 25, v27
	v_ashrrev_i32_e32 v28, 31, v28
	v_lshlrev_b32_e32 v115, 24, v27
	v_xor_b32_e32 v22, vcc_lo, v22
	v_cmp_gt_i32_e32 vcc_lo, 0, v113
	v_not_b32_e32 v113, v114
	v_xor_b32_e32 v119, s21, v119
	v_cmp_gt_i32_e64 s21, 0, v114
	v_and_b32_e32 v22, exec_lo, v22
	v_not_b32_e32 v114, v116
	v_ashrrev_i32_e32 v113, 31, v113
	v_xor_b32_e32 v28, vcc_lo, v28
	v_cmp_gt_i32_e32 vcc_lo, 0, v116
	v_and_b32_e32 v22, v22, v119
	v_not_b32_e32 v116, v117
	v_ashrrev_i32_e32 v114, 31, v114
	v_xor_b32_e32 v113, s21, v113
	v_cmp_gt_i32_e64 s21, 0, v117
	v_and_b32_e32 v22, v22, v28
	v_not_b32_e32 v28, v118
	v_ashrrev_i32_e32 v116, 31, v116
	v_xor_b32_e32 v114, vcc_lo, v114
	v_cmp_gt_i32_e32 vcc_lo, 0, v118
	v_and_b32_e32 v22, v22, v113
	v_not_b32_e32 v113, v115
	v_ashrrev_i32_e32 v28, 31, v28
	v_xor_b32_e32 v116, s21, v116
	v_cmp_gt_i32_e64 s21, 0, v115
	v_and_b32_e32 v22, v22, v114
	v_ashrrev_i32_e32 v113, 31, v113
	v_xor_b32_e32 v28, vcc_lo, v28
	v_mad_u32_u24 v114, v27, 36, v96
	v_mul_u32_u24_e32 v27, 36, v27
	v_and_b32_e32 v22, v22, v116
	v_xor_b32_e32 v115, s21, v113
	ds_read_b32 v113, v114 offset:1056
	v_add_nc_u32_e32 v116, v96, v27
	v_and_b32_e32 v22, v22, v28
	; wave barrier
	v_and_b32_e32 v22, v22, v115
	v_mbcnt_lo_u32_b32 v115, v22, 0
	v_cmp_ne_u32_e64 s21, 0, v22
	v_cmp_eq_u32_e32 vcc_lo, 0, v115
	s_and_b32 s22, s21, vcc_lo
	s_and_saveexec_b32 s21, s22
	s_cbranch_execz .LBB1767_425
; %bb.424:                              ;   in Loop: Header=BB1767_399 Depth=2
	s_waitcnt lgkmcnt(0)
	v_bcnt_u32_b32 v22, v22, v113
	ds_write_b32 v116, v22 offset:1056
.LBB1767_425:                           ;   in Loop: Header=BB1767_399 Depth=2
	s_or_b32 exec_lo, exec_lo, s21
	v_cmp_gt_i16_e32 vcc_lo, 0, v26
	; wave barrier
	v_cndmask_b32_e64 v22, 0x7fff, 0, vcc_lo
	v_xor_b32_e32 v114, v22, v26
	v_cmp_ne_u16_e32 vcc_lo, 0x8000, v114
	v_cndmask_b32_e32 v22, 0x7fff, v114, vcc_lo
	v_lshrrev_b32_sdwa v22, s49, v22 dst_sel:DWORD dst_unused:UNUSED_PAD src0_sel:DWORD src1_sel:WORD_0
	v_and_b32_e32 v26, s42, v22
	v_and_b32_e32 v22, 1, v26
	v_lshlrev_b32_e32 v27, 30, v26
	v_lshlrev_b32_e32 v28, 29, v26
	v_lshlrev_b32_e32 v117, 28, v26
	v_lshlrev_b32_e32 v119, 27, v26
	v_add_co_u32 v22, s21, v22, -1
	v_cndmask_b32_e64 v118, 0, 1, s21
	v_not_b32_e32 v122, v27
	v_cmp_gt_i32_e64 s21, 0, v27
	v_not_b32_e32 v27, v28
	v_lshlrev_b32_e32 v120, 26, v26
	v_cmp_ne_u32_e32 vcc_lo, 0, v118
	v_ashrrev_i32_e32 v122, 31, v122
	v_lshlrev_b32_e32 v121, 25, v26
	v_ashrrev_i32_e32 v27, 31, v27
	v_lshlrev_b32_e32 v118, 24, v26
	v_xor_b32_e32 v22, vcc_lo, v22
	v_cmp_gt_i32_e32 vcc_lo, 0, v28
	v_not_b32_e32 v28, v117
	v_xor_b32_e32 v122, s21, v122
	v_cmp_gt_i32_e64 s21, 0, v117
	v_and_b32_e32 v22, exec_lo, v22
	v_not_b32_e32 v117, v119
	v_ashrrev_i32_e32 v28, 31, v28
	v_xor_b32_e32 v27, vcc_lo, v27
	v_cmp_gt_i32_e32 vcc_lo, 0, v119
	v_and_b32_e32 v22, v22, v122
	v_not_b32_e32 v119, v120
	v_ashrrev_i32_e32 v117, 31, v117
	v_xor_b32_e32 v28, s21, v28
	v_cmp_gt_i32_e64 s21, 0, v120
	v_and_b32_e32 v22, v22, v27
	v_not_b32_e32 v27, v121
	v_ashrrev_i32_e32 v119, 31, v119
	v_xor_b32_e32 v117, vcc_lo, v117
	v_cmp_gt_i32_e32 vcc_lo, 0, v121
	v_and_b32_e32 v22, v22, v28
	v_not_b32_e32 v28, v118
	v_ashrrev_i32_e32 v27, 31, v27
	v_xor_b32_e32 v119, s21, v119
	v_cmp_gt_i32_e64 s21, 0, v118
	v_and_b32_e32 v22, v22, v117
	v_ashrrev_i32_e32 v28, 31, v28
	v_xor_b32_e32 v27, vcc_lo, v27
	v_mad_u32_u24 v117, v26, 36, v96
	v_mul_u32_u24_e32 v26, 36, v26
	v_and_b32_e32 v22, v22, v119
	v_xor_b32_e32 v28, s21, v28
	ds_read_b32 v117, v117 offset:1056
	v_add_nc_u32_e32 v120, v96, v26
	v_and_b32_e32 v22, v22, v27
	; wave barrier
	v_and_b32_e32 v22, v22, v28
	v_mbcnt_lo_u32_b32 v119, v22, 0
	v_cmp_ne_u32_e64 s21, 0, v22
	v_cmp_eq_u32_e32 vcc_lo, 0, v119
	s_and_b32 s22, s21, vcc_lo
	s_and_saveexec_b32 s21, s22
	s_cbranch_execz .LBB1767_427
; %bb.426:                              ;   in Loop: Header=BB1767_399 Depth=2
	s_waitcnt lgkmcnt(0)
	v_bcnt_u32_b32 v22, v22, v117
	ds_write_b32 v120, v22 offset:1056
.LBB1767_427:                           ;   in Loop: Header=BB1767_399 Depth=2
	s_or_b32 exec_lo, exec_lo, s21
	v_cmp_gt_i16_e32 vcc_lo, 0, v25
	; wave barrier
	v_cndmask_b32_e64 v22, 0x7fff, 0, vcc_lo
	v_xor_b32_e32 v118, v22, v25
	v_cmp_ne_u16_e32 vcc_lo, 0x8000, v118
	v_cndmask_b32_e32 v22, 0x7fff, v118, vcc_lo
	v_lshrrev_b32_sdwa v22, s49, v22 dst_sel:DWORD dst_unused:UNUSED_PAD src0_sel:DWORD src1_sel:WORD_0
	v_and_b32_e32 v25, s42, v22
	v_and_b32_e32 v22, 1, v25
	v_lshlrev_b32_e32 v26, 30, v25
	v_lshlrev_b32_e32 v27, 29, v25
	;; [unrolled: 1-line block ×4, first 2 shown]
	v_add_co_u32 v22, s21, v22, -1
	v_cndmask_b32_e64 v121, 0, 1, s21
	v_not_b32_e32 v125, v26
	v_cmp_gt_i32_e64 s21, 0, v26
	v_not_b32_e32 v26, v27
	v_lshlrev_b32_e32 v123, 26, v25
	v_cmp_ne_u32_e32 vcc_lo, 0, v121
	v_ashrrev_i32_e32 v125, 31, v125
	v_lshlrev_b32_e32 v124, 25, v25
	v_ashrrev_i32_e32 v26, 31, v26
	v_lshlrev_b32_e32 v121, 24, v25
	v_xor_b32_e32 v22, vcc_lo, v22
	v_cmp_gt_i32_e32 vcc_lo, 0, v27
	v_not_b32_e32 v27, v28
	v_xor_b32_e32 v125, s21, v125
	v_cmp_gt_i32_e64 s21, 0, v28
	v_and_b32_e32 v22, exec_lo, v22
	v_not_b32_e32 v28, v122
	v_ashrrev_i32_e32 v27, 31, v27
	v_xor_b32_e32 v26, vcc_lo, v26
	v_cmp_gt_i32_e32 vcc_lo, 0, v122
	v_and_b32_e32 v22, v22, v125
	v_not_b32_e32 v122, v123
	v_ashrrev_i32_e32 v28, 31, v28
	v_xor_b32_e32 v27, s21, v27
	v_cmp_gt_i32_e64 s21, 0, v123
	v_and_b32_e32 v22, v22, v26
	v_not_b32_e32 v26, v124
	v_ashrrev_i32_e32 v122, 31, v122
	v_xor_b32_e32 v28, vcc_lo, v28
	v_cmp_gt_i32_e32 vcc_lo, 0, v124
	v_and_b32_e32 v22, v22, v27
	v_not_b32_e32 v27, v121
	v_ashrrev_i32_e32 v26, 31, v26
	v_xor_b32_e32 v122, s21, v122
	v_cmp_gt_i32_e64 s21, 0, v121
	v_and_b32_e32 v22, v22, v28
	v_ashrrev_i32_e32 v27, 31, v27
	v_xor_b32_e32 v26, vcc_lo, v26
	v_mad_u32_u24 v28, v25, 36, v96
	v_mul_u32_u24_e32 v25, 36, v25
	v_and_b32_e32 v22, v22, v122
	v_xor_b32_e32 v27, s21, v27
	ds_read_b32 v121, v28 offset:1056
	v_add_nc_u32_e32 v124, v96, v25
	v_and_b32_e32 v22, v22, v26
	; wave barrier
	v_and_b32_e32 v22, v22, v27
	v_mbcnt_lo_u32_b32 v123, v22, 0
	v_cmp_ne_u32_e64 s21, 0, v22
	v_cmp_eq_u32_e32 vcc_lo, 0, v123
	s_and_b32 s22, s21, vcc_lo
	s_and_saveexec_b32 s21, s22
	s_cbranch_execz .LBB1767_429
; %bb.428:                              ;   in Loop: Header=BB1767_399 Depth=2
	s_waitcnt lgkmcnt(0)
	v_bcnt_u32_b32 v22, v22, v121
	ds_write_b32 v124, v22 offset:1056
.LBB1767_429:                           ;   in Loop: Header=BB1767_399 Depth=2
	s_or_b32 exec_lo, exec_lo, s21
	v_cmp_gt_i16_e32 vcc_lo, 0, v24
	; wave barrier
	v_cndmask_b32_e64 v22, 0x7fff, 0, vcc_lo
	v_xor_b32_e32 v122, v22, v24
	v_cmp_ne_u16_e32 vcc_lo, 0x8000, v122
	v_cndmask_b32_e32 v22, 0x7fff, v122, vcc_lo
	v_lshrrev_b32_sdwa v22, s49, v22 dst_sel:DWORD dst_unused:UNUSED_PAD src0_sel:DWORD src1_sel:WORD_0
	v_and_b32_e32 v24, s42, v22
	v_and_b32_e32 v22, 1, v24
	v_lshlrev_b32_e32 v25, 30, v24
	v_lshlrev_b32_e32 v26, 29, v24
	;; [unrolled: 1-line block ×4, first 2 shown]
	v_add_co_u32 v22, s21, v22, -1
	v_cndmask_b32_e64 v28, 0, 1, s21
	v_not_b32_e32 v128, v25
	v_cmp_gt_i32_e64 s21, 0, v25
	v_not_b32_e32 v25, v26
	v_lshlrev_b32_e32 v126, 26, v24
	v_cmp_ne_u32_e32 vcc_lo, 0, v28
	v_ashrrev_i32_e32 v128, 31, v128
	v_lshlrev_b32_e32 v127, 25, v24
	v_ashrrev_i32_e32 v25, 31, v25
	v_lshlrev_b32_e32 v28, 24, v24
	v_xor_b32_e32 v22, vcc_lo, v22
	v_cmp_gt_i32_e32 vcc_lo, 0, v26
	v_not_b32_e32 v26, v27
	v_xor_b32_e32 v128, s21, v128
	v_cmp_gt_i32_e64 s21, 0, v27
	v_and_b32_e32 v22, exec_lo, v22
	v_not_b32_e32 v27, v125
	v_ashrrev_i32_e32 v26, 31, v26
	v_xor_b32_e32 v25, vcc_lo, v25
	v_cmp_gt_i32_e32 vcc_lo, 0, v125
	v_and_b32_e32 v22, v22, v128
	v_not_b32_e32 v125, v126
	v_ashrrev_i32_e32 v27, 31, v27
	v_xor_b32_e32 v26, s21, v26
	v_cmp_gt_i32_e64 s21, 0, v126
	v_and_b32_e32 v22, v22, v25
	v_not_b32_e32 v25, v127
	v_ashrrev_i32_e32 v125, 31, v125
	v_xor_b32_e32 v27, vcc_lo, v27
	v_cmp_gt_i32_e32 vcc_lo, 0, v127
	v_and_b32_e32 v22, v22, v26
	v_not_b32_e32 v26, v28
	v_ashrrev_i32_e32 v25, 31, v25
	v_xor_b32_e32 v125, s21, v125
	v_cmp_gt_i32_e64 s21, 0, v28
	v_and_b32_e32 v22, v22, v27
	v_ashrrev_i32_e32 v26, 31, v26
	v_xor_b32_e32 v25, vcc_lo, v25
	v_mad_u32_u24 v27, v24, 36, v96
	v_mul_u32_u24_e32 v24, 36, v24
	v_and_b32_e32 v22, v22, v125
	v_xor_b32_e32 v26, s21, v26
	ds_read_b32 v125, v27 offset:1056
	v_add_nc_u32_e32 v128, v96, v24
	v_and_b32_e32 v22, v22, v25
	; wave barrier
	v_and_b32_e32 v22, v22, v26
	v_mbcnt_lo_u32_b32 v127, v22, 0
	v_cmp_ne_u32_e64 s21, 0, v22
	v_cmp_eq_u32_e32 vcc_lo, 0, v127
	s_and_b32 s22, s21, vcc_lo
	s_and_saveexec_b32 s21, s22
	s_cbranch_execz .LBB1767_431
; %bb.430:                              ;   in Loop: Header=BB1767_399 Depth=2
	s_waitcnt lgkmcnt(0)
	v_bcnt_u32_b32 v22, v22, v125
	ds_write_b32 v128, v22 offset:1056
.LBB1767_431:                           ;   in Loop: Header=BB1767_399 Depth=2
	s_or_b32 exec_lo, exec_lo, s21
	v_cmp_gt_i16_e32 vcc_lo, 0, v23
	; wave barrier
	v_cndmask_b32_e64 v22, 0x7fff, 0, vcc_lo
	v_xor_b32_e32 v126, v22, v23
	v_cmp_ne_u16_e32 vcc_lo, 0x8000, v126
	v_cndmask_b32_e32 v22, 0x7fff, v126, vcc_lo
	v_lshrrev_b32_sdwa v22, s49, v22 dst_sel:DWORD dst_unused:UNUSED_PAD src0_sel:DWORD src1_sel:WORD_0
	v_and_b32_e32 v23, s42, v22
	v_and_b32_e32 v22, 1, v23
	v_lshlrev_b32_e32 v24, 30, v23
	v_lshlrev_b32_e32 v25, 29, v23
	;; [unrolled: 1-line block ×4, first 2 shown]
	v_add_co_u32 v22, s21, v22, -1
	v_cndmask_b32_e64 v27, 0, 1, s21
	v_not_b32_e32 v131, v24
	v_cmp_gt_i32_e64 s21, 0, v24
	v_not_b32_e32 v24, v25
	v_lshlrev_b32_e32 v129, 26, v23
	v_cmp_ne_u32_e32 vcc_lo, 0, v27
	v_ashrrev_i32_e32 v131, 31, v131
	v_lshlrev_b32_e32 v130, 25, v23
	v_ashrrev_i32_e32 v24, 31, v24
	v_lshlrev_b32_e32 v27, 24, v23
	v_xor_b32_e32 v22, vcc_lo, v22
	v_cmp_gt_i32_e32 vcc_lo, 0, v25
	v_not_b32_e32 v25, v26
	v_xor_b32_e32 v131, s21, v131
	v_cmp_gt_i32_e64 s21, 0, v26
	v_and_b32_e32 v22, exec_lo, v22
	v_not_b32_e32 v26, v28
	v_ashrrev_i32_e32 v25, 31, v25
	v_xor_b32_e32 v24, vcc_lo, v24
	v_cmp_gt_i32_e32 vcc_lo, 0, v28
	v_and_b32_e32 v22, v22, v131
	v_not_b32_e32 v28, v129
	v_ashrrev_i32_e32 v26, 31, v26
	v_xor_b32_e32 v25, s21, v25
	v_cmp_gt_i32_e64 s21, 0, v129
	v_and_b32_e32 v22, v22, v24
	v_not_b32_e32 v24, v130
	v_ashrrev_i32_e32 v28, 31, v28
	v_xor_b32_e32 v26, vcc_lo, v26
	v_cmp_gt_i32_e32 vcc_lo, 0, v130
	v_and_b32_e32 v22, v22, v25
	v_not_b32_e32 v25, v27
	v_ashrrev_i32_e32 v24, 31, v24
	v_xor_b32_e32 v28, s21, v28
	v_cmp_gt_i32_e64 s21, 0, v27
	v_and_b32_e32 v22, v22, v26
	v_ashrrev_i32_e32 v25, 31, v25
	v_xor_b32_e32 v24, vcc_lo, v24
	v_mad_u32_u24 v26, v23, 36, v96
	v_mul_u32_u24_e32 v23, 36, v23
	v_and_b32_e32 v22, v22, v28
	v_xor_b32_e32 v25, s21, v25
	ds_read_b32 v129, v26 offset:1056
	v_add_nc_u32_e32 v132, v96, v23
	v_and_b32_e32 v22, v22, v24
	; wave barrier
	v_and_b32_e32 v22, v22, v25
	v_mbcnt_lo_u32_b32 v131, v22, 0
	v_cmp_ne_u32_e64 s21, 0, v22
	v_cmp_eq_u32_e32 vcc_lo, 0, v131
	s_and_b32 s22, s21, vcc_lo
	s_and_saveexec_b32 s21, s22
	s_cbranch_execz .LBB1767_433
; %bb.432:                              ;   in Loop: Header=BB1767_399 Depth=2
	s_waitcnt lgkmcnt(0)
	v_bcnt_u32_b32 v22, v22, v129
	ds_write_b32 v132, v22 offset:1056
.LBB1767_433:                           ;   in Loop: Header=BB1767_399 Depth=2
	s_or_b32 exec_lo, exec_lo, s21
	v_cmp_gt_i16_e32 vcc_lo, 0, v21
	; wave barrier
	v_cndmask_b32_e64 v22, 0x7fff, 0, vcc_lo
	v_xor_b32_e32 v130, v22, v21
	v_cmp_ne_u16_e32 vcc_lo, 0x8000, v130
	v_cndmask_b32_e32 v21, 0x7fff, v130, vcc_lo
	v_lshrrev_b32_sdwa v21, s49, v21 dst_sel:DWORD dst_unused:UNUSED_PAD src0_sel:DWORD src1_sel:WORD_0
	v_and_b32_e32 v22, s42, v21
	v_and_b32_e32 v21, 1, v22
	v_lshlrev_b32_e32 v23, 30, v22
	v_lshlrev_b32_e32 v24, 29, v22
	v_lshlrev_b32_e32 v25, 28, v22
	v_lshlrev_b32_e32 v27, 27, v22
	v_add_co_u32 v21, s21, v21, -1
	v_cndmask_b32_e64 v26, 0, 1, s21
	v_not_b32_e32 v134, v23
	v_cmp_gt_i32_e64 s21, 0, v23
	v_not_b32_e32 v23, v24
	v_lshlrev_b32_e32 v28, 26, v22
	v_cmp_ne_u32_e32 vcc_lo, 0, v26
	v_ashrrev_i32_e32 v134, 31, v134
	v_lshlrev_b32_e32 v133, 25, v22
	v_ashrrev_i32_e32 v23, 31, v23
	v_lshlrev_b32_e32 v26, 24, v22
	v_xor_b32_e32 v21, vcc_lo, v21
	v_cmp_gt_i32_e32 vcc_lo, 0, v24
	v_not_b32_e32 v24, v25
	v_xor_b32_e32 v134, s21, v134
	v_cmp_gt_i32_e64 s21, 0, v25
	v_and_b32_e32 v21, exec_lo, v21
	v_not_b32_e32 v25, v27
	v_ashrrev_i32_e32 v24, 31, v24
	v_xor_b32_e32 v23, vcc_lo, v23
	v_cmp_gt_i32_e32 vcc_lo, 0, v27
	v_and_b32_e32 v21, v21, v134
	v_not_b32_e32 v27, v28
	v_ashrrev_i32_e32 v25, 31, v25
	v_xor_b32_e32 v24, s21, v24
	v_cmp_gt_i32_e64 s21, 0, v28
	v_and_b32_e32 v21, v21, v23
	v_not_b32_e32 v23, v133
	v_ashrrev_i32_e32 v27, 31, v27
	v_xor_b32_e32 v25, vcc_lo, v25
	v_cmp_gt_i32_e32 vcc_lo, 0, v133
	v_and_b32_e32 v21, v21, v24
	v_not_b32_e32 v24, v26
	v_ashrrev_i32_e32 v23, 31, v23
	v_xor_b32_e32 v27, s21, v27
	v_cmp_gt_i32_e64 s21, 0, v26
	v_and_b32_e32 v21, v21, v25
	v_ashrrev_i32_e32 v24, 31, v24
	v_xor_b32_e32 v23, vcc_lo, v23
	v_mad_u32_u24 v25, v22, 36, v96
	v_mul_u32_u24_e32 v22, 36, v22
	v_and_b32_e32 v21, v21, v27
	v_xor_b32_e32 v24, s21, v24
	ds_read_b32 v133, v25 offset:1056
	v_add_nc_u32_e32 v135, v96, v22
	v_and_b32_e32 v21, v21, v23
	; wave barrier
	v_and_b32_e32 v21, v21, v24
	v_mbcnt_lo_u32_b32 v134, v21, 0
	v_cmp_ne_u32_e64 s21, 0, v21
	v_cmp_eq_u32_e32 vcc_lo, 0, v134
	s_and_b32 s22, s21, vcc_lo
	s_and_saveexec_b32 s21, s22
	s_cbranch_execz .LBB1767_435
; %bb.434:                              ;   in Loop: Header=BB1767_399 Depth=2
	s_waitcnt lgkmcnt(0)
	v_bcnt_u32_b32 v21, v21, v133
	ds_write_b32 v135, v21 offset:1056
.LBB1767_435:                           ;   in Loop: Header=BB1767_399 Depth=2
	s_or_b32 exec_lo, exec_lo, s21
	; wave barrier
	s_waitcnt lgkmcnt(0)
	s_barrier
	buffer_gl0_inv
	ds_read2_b32 v[27:28], v78 offset1:1
	ds_read2_b32 v[25:26], v88 offset1:1
	;; [unrolled: 1-line block ×4, first 2 shown]
	ds_read_b32 v136, v44 offset:1088
	s_waitcnt lgkmcnt(3)
	v_add3_u32 v137, v28, v27, v25
	s_waitcnt lgkmcnt(2)
	v_add3_u32 v137, v137, v26, v23
	;; [unrolled: 2-line block ×4, first 2 shown]
	v_mov_b32_dpp v137, v136 row_shr:1 row_mask:0xf bank_mask:0xf
	v_cndmask_b32_e64 v137, v137, 0, s5
	v_add_nc_u32_e32 v136, v137, v136
	v_mov_b32_dpp v137, v136 row_shr:2 row_mask:0xf bank_mask:0xf
	v_cndmask_b32_e64 v137, 0, v137, s14
	v_add_nc_u32_e32 v136, v136, v137
	;; [unrolled: 3-line block ×4, first 2 shown]
	ds_swizzle_b32 v137, v136 offset:swizzle(BROADCAST,32,15)
	s_waitcnt lgkmcnt(0)
	v_cndmask_b32_e64 v137, v137, 0, s17
	v_add_nc_u32_e32 v136, v136, v137
	s_and_saveexec_b32 s21, s9
; %bb.436:                              ;   in Loop: Header=BB1767_399 Depth=2
	ds_write_b32 v39, v136 offset:1024
; %bb.437:                              ;   in Loop: Header=BB1767_399 Depth=2
	s_or_b32 exec_lo, exec_lo, s21
	s_waitcnt lgkmcnt(0)
	s_barrier
	buffer_gl0_inv
	s_and_saveexec_b32 s21, s10
	s_cbranch_execz .LBB1767_439
; %bb.438:                              ;   in Loop: Header=BB1767_399 Depth=2
	ds_read_b32 v137, v46 offset:1024
	s_waitcnt lgkmcnt(0)
	v_mov_b32_dpp v138, v137 row_shr:1 row_mask:0xf bank_mask:0xf
	v_cndmask_b32_e64 v138, v138, 0, s18
	v_add_nc_u32_e32 v137, v138, v137
	v_mov_b32_dpp v138, v137 row_shr:2 row_mask:0xf bank_mask:0xf
	v_cndmask_b32_e64 v138, 0, v138, s19
	v_add_nc_u32_e32 v137, v137, v138
	;; [unrolled: 3-line block ×3, first 2 shown]
	ds_write_b32 v46, v137 offset:1024
.LBB1767_439:                           ;   in Loop: Header=BB1767_399 Depth=2
	s_or_b32 exec_lo, exec_lo, s21
	v_mov_b32_e32 v137, 0
	s_waitcnt lgkmcnt(0)
	s_barrier
	buffer_gl0_inv
	s_and_saveexec_b32 s21, s11
; %bb.440:                              ;   in Loop: Header=BB1767_399 Depth=2
	ds_read_b32 v137, v39 offset:1020
; %bb.441:                              ;   in Loop: Header=BB1767_399 Depth=2
	s_or_b32 exec_lo, exec_lo, s21
	s_waitcnt lgkmcnt(0)
	v_add_nc_u32_e32 v136, v137, v136
	ds_bpermute_b32 v136, v91, v136
	s_waitcnt lgkmcnt(0)
	v_cndmask_b32_e64 v136, v136, v137, s13
	v_cndmask_b32_e64 v136, v136, 0, s4
	v_add_nc_u32_e32 v27, v136, v27
	v_add_nc_u32_e32 v28, v27, v28
	v_add_nc_u32_e32 v25, v28, v25
	v_add_nc_u32_e32 v26, v25, v26
	v_add_nc_u32_e32 v23, v26, v23
	v_add_nc_u32_e32 v24, v23, v24
	v_add_nc_u32_e32 v21, v24, v21
	v_add_nc_u32_e32 v22, v21, v22
	ds_write2_b32 v78, v136, v27 offset1:1
	ds_write2_b32 v88, v28, v25 offset1:1
	;; [unrolled: 1-line block ×4, first 2 shown]
	ds_write_b32 v44, v22 offset:1088
	s_waitcnt lgkmcnt(0)
	s_barrier
	buffer_gl0_inv
	ds_read_b32 v24, v108 offset:1056
	ds_read_b32 v25, v112 offset:1056
	;; [unrolled: 1-line block ×9, first 2 shown]
	v_mov_b32_e32 v23, 0x800
	s_and_saveexec_b32 s21, s12
; %bb.442:                              ;   in Loop: Header=BB1767_399 Depth=2
	ds_read_b32 v23, v44 offset:1092
; %bb.443:                              ;   in Loop: Header=BB1767_399 Depth=2
	s_or_b32 exec_lo, exec_lo, s21
	s_waitcnt lgkmcnt(0)
	s_barrier
	buffer_gl0_inv
	s_and_saveexec_b32 s21, s8
	s_cbranch_execz .LBB1767_445
; %bb.444:                              ;   in Loop: Header=BB1767_399 Depth=2
	ds_read_b32 v112, v29
	s_waitcnt lgkmcnt(0)
	v_sub_nc_u32_e32 v108, v112, v108
	ds_write_b32 v29, v108
.LBB1767_445:                           ;   in Loop: Header=BB1767_399 Depth=2
	s_or_b32 exec_lo, exec_lo, s21
	v_add_nc_u32_e32 v112, v24, v106
	v_add3_u32 v108, v110, v109, v25
	v_add3_u32 v106, v115, v113, v26
	;; [unrolled: 1-line block ×4, first 2 shown]
	v_lshlrev_b32_e32 v109, 1, v112
	v_lshlrev_b32_e32 v110, 1, v108
	v_add3_u32 v27, v131, v129, v22
	v_lshlrev_b32_e32 v22, 1, v106
	v_add3_u32 v28, v134, v133, v21
	ds_write_b16 v109, v3 offset:1024
	ds_write_b16 v110, v107 offset:1024
	v_lshlrev_b32_e32 v3, 1, v26
	v_add3_u32 v24, v127, v125, v116
	ds_write_b16 v22, v111 offset:1024
	v_lshlrev_b32_e32 v21, 1, v25
	v_cmp_lt_u32_e32 vcc_lo, v0, v105
	ds_write_b16 v3, v114 offset:1024
	v_lshlrev_b32_e32 v3, 1, v28
	v_lshlrev_b32_e32 v22, 1, v24
	;; [unrolled: 1-line block ×3, first 2 shown]
	ds_write_b16 v21, v118 offset:1024
	ds_write_b16 v22, v122 offset:1024
	;; [unrolled: 1-line block ×4, first 2 shown]
	s_waitcnt lgkmcnt(0)
	s_barrier
	buffer_gl0_inv
	s_and_saveexec_b32 s22, vcc_lo
	s_cbranch_execnz .LBB1767_482
; %bb.446:                              ;   in Loop: Header=BB1767_399 Depth=2
	s_or_b32 exec_lo, exec_lo, s22
	v_cmp_lt_u32_e64 s21, v30, v105
	s_and_saveexec_b32 s23, s21
	s_cbranch_execnz .LBB1767_483
.LBB1767_447:                           ;   in Loop: Header=BB1767_399 Depth=2
	s_or_b32 exec_lo, exec_lo, s23
	v_cmp_lt_u32_e64 s22, v31, v105
	s_and_saveexec_b32 s24, s22
	s_cbranch_execnz .LBB1767_484
.LBB1767_448:                           ;   in Loop: Header=BB1767_399 Depth=2
	s_or_b32 exec_lo, exec_lo, s24
	v_cmp_lt_u32_e64 s23, v32, v105
	s_and_saveexec_b32 s25, s23
	s_cbranch_execnz .LBB1767_485
.LBB1767_449:                           ;   in Loop: Header=BB1767_399 Depth=2
	s_or_b32 exec_lo, exec_lo, s25
	v_cmp_lt_u32_e64 s24, v35, v105
	s_and_saveexec_b32 s26, s24
	s_cbranch_execnz .LBB1767_486
.LBB1767_450:                           ;   in Loop: Header=BB1767_399 Depth=2
	s_or_b32 exec_lo, exec_lo, s26
	v_cmp_lt_u32_e64 s25, v36, v105
	s_and_saveexec_b32 s27, s25
	s_cbranch_execnz .LBB1767_487
.LBB1767_451:                           ;   in Loop: Header=BB1767_399 Depth=2
	s_or_b32 exec_lo, exec_lo, s27
	v_cmp_lt_u32_e64 s26, v37, v105
	s_and_saveexec_b32 s28, s26
	s_cbranch_execnz .LBB1767_488
.LBB1767_452:                           ;   in Loop: Header=BB1767_399 Depth=2
	s_or_b32 exec_lo, exec_lo, s28
	v_cmp_lt_u32_e64 s27, v38, v105
	s_and_saveexec_b32 s54, s27
	s_cbranch_execz .LBB1767_454
.LBB1767_453:                           ;   in Loop: Header=BB1767_399 Depth=2
	ds_read_u16 v107, v47 offset:4608
	s_waitcnt lgkmcnt(0)
	v_cmp_ne_u16_e64 s28, 0x8000, v107
	v_cndmask_b32_e64 v3, 0x7fff, v107, s28
	v_cmp_gt_i16_e64 s28, 0, v107
	v_lshrrev_b32_sdwa v3, s49, v3 dst_sel:DWORD dst_unused:UNUSED_PAD src0_sel:DWORD src1_sel:WORD_0
	v_cndmask_b32_e64 v109, 0x7fff, 0, s28
	v_and_b32_e32 v3, s42, v3
	v_lshlrev_b32_e32 v3, 2, v3
	ds_read_b32 v3, v3
	s_waitcnt lgkmcnt(0)
	v_add_nc_u32_e32 v3, v3, v38
	v_lshlrev_b64 v[21:22], 1, v[3:4]
	v_xor_b32_e32 v3, v109, v107
	v_add_co_u32 v21, s28, s38, v21
	v_add_co_ci_u32_e64 v22, null, s39, v22, s28
	global_store_short v[21:22], v3, off
.LBB1767_454:                           ;   in Loop: Header=BB1767_399 Depth=2
	s_or_b32 exec_lo, exec_lo, s54
	s_lshl_b64 s[54:55], s[34:35], 3
	v_add_co_u32 v21, s28, v92, s54
	v_add_co_ci_u32_e64 v22, null, s55, v93, s28
	v_cmp_lt_u32_e64 s28, v66, v105
	s_and_saveexec_b32 s34, s28
	s_xor_b32 s28, exec_lo, s34
	s_cbranch_execnz .LBB1767_489
; %bb.455:                              ;   in Loop: Header=BB1767_399 Depth=2
	s_or_b32 exec_lo, exec_lo, s28
	s_mov_b32 s34, exec_lo
	v_cmpx_lt_u32_e64 v70, v105
	s_cbranch_execnz .LBB1767_490
.LBB1767_456:                           ;   in Loop: Header=BB1767_399 Depth=2
	s_or_b32 exec_lo, exec_lo, s34
	s_mov_b32 s34, exec_lo
	v_cmpx_lt_u32_e64 v71, v105
	s_cbranch_execnz .LBB1767_491
.LBB1767_457:                           ;   in Loop: Header=BB1767_399 Depth=2
	s_or_b32 exec_lo, exec_lo, s34
	s_mov_b32 s34, exec_lo
	v_cmpx_lt_u32_e64 v72, v105
	s_cbranch_execnz .LBB1767_492
.LBB1767_458:                           ;   in Loop: Header=BB1767_399 Depth=2
	s_or_b32 exec_lo, exec_lo, s34
	s_mov_b32 s34, exec_lo
	v_cmpx_lt_u32_e64 v73, v105
	s_cbranch_execnz .LBB1767_493
.LBB1767_459:                           ;   in Loop: Header=BB1767_399 Depth=2
	s_or_b32 exec_lo, exec_lo, s34
	s_mov_b32 s34, exec_lo
	v_cmpx_lt_u32_e64 v74, v105
	s_cbranch_execnz .LBB1767_494
.LBB1767_460:                           ;   in Loop: Header=BB1767_399 Depth=2
	s_or_b32 exec_lo, exec_lo, s34
	s_mov_b32 s34, exec_lo
	v_cmpx_lt_u32_e64 v75, v105
	s_cbranch_execnz .LBB1767_495
.LBB1767_461:                           ;   in Loop: Header=BB1767_399 Depth=2
	s_or_b32 exec_lo, exec_lo, s34
	s_mov_b32 s34, exec_lo
	v_cmpx_lt_u32_e64 v76, v105
	s_cbranch_execnz .LBB1767_496
.LBB1767_462:                           ;   in Loop: Header=BB1767_399 Depth=2
	s_or_b32 exec_lo, exec_lo, s34
	s_and_saveexec_b32 s34, vcc_lo
	s_cbranch_execnz .LBB1767_497
.LBB1767_463:                           ;   in Loop: Header=BB1767_399 Depth=2
	s_or_b32 exec_lo, exec_lo, s34
	s_and_saveexec_b32 s34, s21
	s_cbranch_execnz .LBB1767_498
.LBB1767_464:                           ;   in Loop: Header=BB1767_399 Depth=2
	s_or_b32 exec_lo, exec_lo, s34
	s_and_saveexec_b32 s34, s22
	s_cbranch_execnz .LBB1767_499
.LBB1767_465:                           ;   in Loop: Header=BB1767_399 Depth=2
	s_or_b32 exec_lo, exec_lo, s34
	s_and_saveexec_b32 s34, s23
	s_cbranch_execnz .LBB1767_500
.LBB1767_466:                           ;   in Loop: Header=BB1767_399 Depth=2
	s_or_b32 exec_lo, exec_lo, s34
	s_and_saveexec_b32 s34, s24
	s_cbranch_execnz .LBB1767_501
.LBB1767_467:                           ;   in Loop: Header=BB1767_399 Depth=2
	s_or_b32 exec_lo, exec_lo, s34
	s_and_saveexec_b32 s34, s25
	s_cbranch_execnz .LBB1767_502
.LBB1767_468:                           ;   in Loop: Header=BB1767_399 Depth=2
	s_or_b32 exec_lo, exec_lo, s34
	s_and_saveexec_b32 s34, s26
	s_cbranch_execnz .LBB1767_503
.LBB1767_469:                           ;   in Loop: Header=BB1767_399 Depth=2
	s_or_b32 exec_lo, exec_lo, s34
	s_and_saveexec_b32 s34, s27
	s_cbranch_execz .LBB1767_471
.LBB1767_470:                           ;   in Loop: Header=BB1767_399 Depth=2
	ds_read_u16 v3, v47 offset:4608
	s_waitcnt lgkmcnt(0)
	v_cmp_ne_u16_e64 s28, 0x8000, v3
	v_cndmask_b32_e64 v3, 0x7fff, v3, s28
	v_lshrrev_b32_sdwa v3, s49, v3 dst_sel:DWORD dst_unused:UNUSED_PAD src0_sel:DWORD src1_sel:WORD_0
	v_and_b32_e32 v97, s42, v3
.LBB1767_471:                           ;   in Loop: Header=BB1767_399 Depth=2
	s_or_b32 exec_lo, exec_lo, s34
	v_lshlrev_b32_e32 v3, 3, v112
	v_lshlrev_b32_e32 v21, 3, v108
	;; [unrolled: 1-line block ×3, first 2 shown]
	s_waitcnt vmcnt(0)
	s_waitcnt_vscnt null, 0x0
	s_barrier
	buffer_gl0_inv
	ds_write_b64 v3, v[19:20] offset:1024
	ds_write_b64 v21, v[17:18] offset:1024
	;; [unrolled: 1-line block ×3, first 2 shown]
	v_lshlrev_b32_e32 v3, 3, v26
	v_lshlrev_b32_e32 v21, 3, v25
	;; [unrolled: 1-line block ×5, first 2 shown]
	ds_write_b64 v3, v[13:14] offset:1024
	ds_write_b64 v21, v[11:12] offset:1024
	ds_write_b64 v22, v[9:10] offset:1024
	ds_write_b64 v24, v[7:8] offset:1024
	ds_write_b64 v25, v[5:6] offset:1024
	s_waitcnt lgkmcnt(0)
	s_barrier
	buffer_gl0_inv
	s_and_saveexec_b32 s28, vcc_lo
	s_cbranch_execnz .LBB1767_504
; %bb.472:                              ;   in Loop: Header=BB1767_399 Depth=2
	s_or_b32 exec_lo, exec_lo, s28
	s_and_saveexec_b32 s28, s21
	s_cbranch_execnz .LBB1767_505
.LBB1767_473:                           ;   in Loop: Header=BB1767_399 Depth=2
	s_or_b32 exec_lo, exec_lo, s28
	s_and_saveexec_b32 s21, s22
	s_cbranch_execnz .LBB1767_506
.LBB1767_474:                           ;   in Loop: Header=BB1767_399 Depth=2
	s_or_b32 exec_lo, exec_lo, s21
	s_and_saveexec_b32 s21, s23
	s_cbranch_execnz .LBB1767_507
.LBB1767_475:                           ;   in Loop: Header=BB1767_399 Depth=2
	s_or_b32 exec_lo, exec_lo, s21
	s_and_saveexec_b32 s21, s24
	s_cbranch_execnz .LBB1767_508
.LBB1767_476:                           ;   in Loop: Header=BB1767_399 Depth=2
	s_or_b32 exec_lo, exec_lo, s21
	s_and_saveexec_b32 s21, s25
	s_cbranch_execnz .LBB1767_509
.LBB1767_477:                           ;   in Loop: Header=BB1767_399 Depth=2
	s_or_b32 exec_lo, exec_lo, s21
	s_and_saveexec_b32 s21, s26
	s_cbranch_execnz .LBB1767_510
.LBB1767_478:                           ;   in Loop: Header=BB1767_399 Depth=2
	s_or_b32 exec_lo, exec_lo, s21
	s_and_saveexec_b32 s21, s27
	s_cbranch_execz .LBB1767_480
.LBB1767_479:                           ;   in Loop: Header=BB1767_399 Depth=2
	v_lshlrev_b32_e32 v3, 2, v97
	v_add_nc_u32_e32 v21, v47, v48
	ds_read_b32 v3, v3
	ds_read_b64 v[21:22], v21 offset:15360
	s_waitcnt lgkmcnt(1)
	v_add_nc_u32_e32 v3, v3, v38
	v_lshlrev_b64 v[24:25], 3, v[3:4]
	v_add_co_u32 v24, vcc_lo, s44, v24
	v_add_co_ci_u32_e64 v25, null, s45, v25, vcc_lo
	s_waitcnt lgkmcnt(0)
	global_store_dwordx2 v[24:25], v[21:22], off
.LBB1767_480:                           ;   in Loop: Header=BB1767_399 Depth=2
	s_or_b32 exec_lo, exec_lo, s21
	s_waitcnt_vscnt null, 0x0
	s_barrier
	buffer_gl0_inv
	s_and_saveexec_b32 s21, s8
	s_cbranch_execz .LBB1767_398
; %bb.481:                              ;   in Loop: Header=BB1767_399 Depth=2
	ds_read_b32 v3, v29
	s_waitcnt lgkmcnt(0)
	v_add_nc_u32_e32 v3, v3, v23
	ds_write_b32 v29, v3
	s_branch .LBB1767_398
.LBB1767_482:                           ;   in Loop: Header=BB1767_399 Depth=2
	ds_read_u16 v107, v47 offset:1024
	s_waitcnt lgkmcnt(0)
	v_cmp_ne_u16_e64 s21, 0x8000, v107
	v_cndmask_b32_e64 v3, 0x7fff, v107, s21
	v_cmp_gt_i16_e64 s21, 0, v107
	v_lshrrev_b32_sdwa v3, s49, v3 dst_sel:DWORD dst_unused:UNUSED_PAD src0_sel:DWORD src1_sel:WORD_0
	v_cndmask_b32_e64 v109, 0x7fff, 0, s21
	v_and_b32_e32 v3, s42, v3
	v_lshlrev_b32_e32 v3, 2, v3
	ds_read_b32 v3, v3
	s_waitcnt lgkmcnt(0)
	v_add_nc_u32_e32 v3, v3, v0
	v_lshlrev_b64 v[21:22], 1, v[3:4]
	v_xor_b32_e32 v3, v109, v107
	v_add_co_u32 v21, s21, s38, v21
	v_add_co_ci_u32_e64 v22, null, s39, v22, s21
	global_store_short v[21:22], v3, off
	s_or_b32 exec_lo, exec_lo, s22
	v_cmp_lt_u32_e64 s21, v30, v105
	s_and_saveexec_b32 s23, s21
	s_cbranch_execz .LBB1767_447
.LBB1767_483:                           ;   in Loop: Header=BB1767_399 Depth=2
	ds_read_u16 v107, v47 offset:1536
	s_waitcnt lgkmcnt(0)
	v_cmp_ne_u16_e64 s22, 0x8000, v107
	v_cndmask_b32_e64 v3, 0x7fff, v107, s22
	v_cmp_gt_i16_e64 s22, 0, v107
	v_lshrrev_b32_sdwa v3, s49, v3 dst_sel:DWORD dst_unused:UNUSED_PAD src0_sel:DWORD src1_sel:WORD_0
	v_cndmask_b32_e64 v109, 0x7fff, 0, s22
	v_and_b32_e32 v3, s42, v3
	v_lshlrev_b32_e32 v3, 2, v3
	ds_read_b32 v3, v3
	s_waitcnt lgkmcnt(0)
	v_add_nc_u32_e32 v3, v3, v30
	v_lshlrev_b64 v[21:22], 1, v[3:4]
	v_xor_b32_e32 v3, v109, v107
	v_add_co_u32 v21, s22, s38, v21
	v_add_co_ci_u32_e64 v22, null, s39, v22, s22
	global_store_short v[21:22], v3, off
	s_or_b32 exec_lo, exec_lo, s23
	v_cmp_lt_u32_e64 s22, v31, v105
	s_and_saveexec_b32 s24, s22
	s_cbranch_execz .LBB1767_448
.LBB1767_484:                           ;   in Loop: Header=BB1767_399 Depth=2
	ds_read_u16 v107, v47 offset:2048
	s_waitcnt lgkmcnt(0)
	v_cmp_ne_u16_e64 s23, 0x8000, v107
	v_cndmask_b32_e64 v3, 0x7fff, v107, s23
	v_cmp_gt_i16_e64 s23, 0, v107
	v_lshrrev_b32_sdwa v3, s49, v3 dst_sel:DWORD dst_unused:UNUSED_PAD src0_sel:DWORD src1_sel:WORD_0
	v_cndmask_b32_e64 v109, 0x7fff, 0, s23
	v_and_b32_e32 v3, s42, v3
	v_lshlrev_b32_e32 v3, 2, v3
	ds_read_b32 v3, v3
	s_waitcnt lgkmcnt(0)
	v_add_nc_u32_e32 v3, v3, v31
	v_lshlrev_b64 v[21:22], 1, v[3:4]
	v_xor_b32_e32 v3, v109, v107
	v_add_co_u32 v21, s23, s38, v21
	v_add_co_ci_u32_e64 v22, null, s39, v22, s23
	global_store_short v[21:22], v3, off
	s_or_b32 exec_lo, exec_lo, s24
	v_cmp_lt_u32_e64 s23, v32, v105
	s_and_saveexec_b32 s25, s23
	s_cbranch_execz .LBB1767_449
.LBB1767_485:                           ;   in Loop: Header=BB1767_399 Depth=2
	ds_read_u16 v107, v47 offset:2560
	s_waitcnt lgkmcnt(0)
	v_cmp_ne_u16_e64 s24, 0x8000, v107
	v_cndmask_b32_e64 v3, 0x7fff, v107, s24
	v_cmp_gt_i16_e64 s24, 0, v107
	v_lshrrev_b32_sdwa v3, s49, v3 dst_sel:DWORD dst_unused:UNUSED_PAD src0_sel:DWORD src1_sel:WORD_0
	v_cndmask_b32_e64 v109, 0x7fff, 0, s24
	v_and_b32_e32 v3, s42, v3
	v_lshlrev_b32_e32 v3, 2, v3
	ds_read_b32 v3, v3
	s_waitcnt lgkmcnt(0)
	v_add_nc_u32_e32 v3, v3, v32
	v_lshlrev_b64 v[21:22], 1, v[3:4]
	v_xor_b32_e32 v3, v109, v107
	v_add_co_u32 v21, s24, s38, v21
	v_add_co_ci_u32_e64 v22, null, s39, v22, s24
	global_store_short v[21:22], v3, off
	s_or_b32 exec_lo, exec_lo, s25
	v_cmp_lt_u32_e64 s24, v35, v105
	s_and_saveexec_b32 s26, s24
	s_cbranch_execz .LBB1767_450
.LBB1767_486:                           ;   in Loop: Header=BB1767_399 Depth=2
	ds_read_u16 v107, v47 offset:3072
	s_waitcnt lgkmcnt(0)
	v_cmp_ne_u16_e64 s25, 0x8000, v107
	v_cndmask_b32_e64 v3, 0x7fff, v107, s25
	v_cmp_gt_i16_e64 s25, 0, v107
	v_lshrrev_b32_sdwa v3, s49, v3 dst_sel:DWORD dst_unused:UNUSED_PAD src0_sel:DWORD src1_sel:WORD_0
	v_cndmask_b32_e64 v109, 0x7fff, 0, s25
	v_and_b32_e32 v3, s42, v3
	v_lshlrev_b32_e32 v3, 2, v3
	ds_read_b32 v3, v3
	s_waitcnt lgkmcnt(0)
	v_add_nc_u32_e32 v3, v3, v35
	v_lshlrev_b64 v[21:22], 1, v[3:4]
	v_xor_b32_e32 v3, v109, v107
	v_add_co_u32 v21, s25, s38, v21
	v_add_co_ci_u32_e64 v22, null, s39, v22, s25
	global_store_short v[21:22], v3, off
	s_or_b32 exec_lo, exec_lo, s26
	v_cmp_lt_u32_e64 s25, v36, v105
	s_and_saveexec_b32 s27, s25
	s_cbranch_execz .LBB1767_451
.LBB1767_487:                           ;   in Loop: Header=BB1767_399 Depth=2
	ds_read_u16 v107, v47 offset:3584
	s_waitcnt lgkmcnt(0)
	v_cmp_ne_u16_e64 s26, 0x8000, v107
	v_cndmask_b32_e64 v3, 0x7fff, v107, s26
	v_cmp_gt_i16_e64 s26, 0, v107
	v_lshrrev_b32_sdwa v3, s49, v3 dst_sel:DWORD dst_unused:UNUSED_PAD src0_sel:DWORD src1_sel:WORD_0
	v_cndmask_b32_e64 v109, 0x7fff, 0, s26
	v_and_b32_e32 v3, s42, v3
	v_lshlrev_b32_e32 v3, 2, v3
	ds_read_b32 v3, v3
	s_waitcnt lgkmcnt(0)
	v_add_nc_u32_e32 v3, v3, v36
	v_lshlrev_b64 v[21:22], 1, v[3:4]
	v_xor_b32_e32 v3, v109, v107
	v_add_co_u32 v21, s26, s38, v21
	v_add_co_ci_u32_e64 v22, null, s39, v22, s26
	global_store_short v[21:22], v3, off
	s_or_b32 exec_lo, exec_lo, s27
	v_cmp_lt_u32_e64 s26, v37, v105
	s_and_saveexec_b32 s28, s26
	s_cbranch_execz .LBB1767_452
.LBB1767_488:                           ;   in Loop: Header=BB1767_399 Depth=2
	ds_read_u16 v107, v47 offset:4096
	s_waitcnt lgkmcnt(0)
	v_cmp_ne_u16_e64 s27, 0x8000, v107
	v_cndmask_b32_e64 v3, 0x7fff, v107, s27
	v_cmp_gt_i16_e64 s27, 0, v107
	v_lshrrev_b32_sdwa v3, s49, v3 dst_sel:DWORD dst_unused:UNUSED_PAD src0_sel:DWORD src1_sel:WORD_0
	v_cndmask_b32_e64 v109, 0x7fff, 0, s27
	v_and_b32_e32 v3, s42, v3
	v_lshlrev_b32_e32 v3, 2, v3
	ds_read_b32 v3, v3
	s_waitcnt lgkmcnt(0)
	v_add_nc_u32_e32 v3, v3, v37
	v_lshlrev_b64 v[21:22], 1, v[3:4]
	v_xor_b32_e32 v3, v109, v107
	v_add_co_u32 v21, s27, s38, v21
	v_add_co_ci_u32_e64 v22, null, s39, v22, s27
	global_store_short v[21:22], v3, off
	s_or_b32 exec_lo, exec_lo, s28
	v_cmp_lt_u32_e64 s27, v38, v105
	s_and_saveexec_b32 s54, s27
	s_cbranch_execnz .LBB1767_453
	s_branch .LBB1767_454
.LBB1767_489:                           ;   in Loop: Header=BB1767_399 Depth=2
	global_load_dwordx2 v[19:20], v[21:22], off
	s_or_b32 exec_lo, exec_lo, s28
	s_mov_b32 s34, exec_lo
	v_cmpx_lt_u32_e64 v70, v105
	s_cbranch_execz .LBB1767_456
.LBB1767_490:                           ;   in Loop: Header=BB1767_399 Depth=2
	global_load_dwordx2 v[17:18], v[21:22], off offset:256
	s_or_b32 exec_lo, exec_lo, s34
	s_mov_b32 s34, exec_lo
	v_cmpx_lt_u32_e64 v71, v105
	s_cbranch_execz .LBB1767_457
.LBB1767_491:                           ;   in Loop: Header=BB1767_399 Depth=2
	global_load_dwordx2 v[15:16], v[21:22], off offset:512
	s_or_b32 exec_lo, exec_lo, s34
	s_mov_b32 s34, exec_lo
	v_cmpx_lt_u32_e64 v72, v105
	s_cbranch_execz .LBB1767_458
.LBB1767_492:                           ;   in Loop: Header=BB1767_399 Depth=2
	global_load_dwordx2 v[13:14], v[21:22], off offset:768
	s_or_b32 exec_lo, exec_lo, s34
	s_mov_b32 s34, exec_lo
	v_cmpx_lt_u32_e64 v73, v105
	s_cbranch_execz .LBB1767_459
.LBB1767_493:                           ;   in Loop: Header=BB1767_399 Depth=2
	global_load_dwordx2 v[11:12], v[21:22], off offset:1024
	s_or_b32 exec_lo, exec_lo, s34
	s_mov_b32 s34, exec_lo
	v_cmpx_lt_u32_e64 v74, v105
	s_cbranch_execz .LBB1767_460
.LBB1767_494:                           ;   in Loop: Header=BB1767_399 Depth=2
	global_load_dwordx2 v[9:10], v[21:22], off offset:1280
	s_or_b32 exec_lo, exec_lo, s34
	s_mov_b32 s34, exec_lo
	v_cmpx_lt_u32_e64 v75, v105
	s_cbranch_execz .LBB1767_461
.LBB1767_495:                           ;   in Loop: Header=BB1767_399 Depth=2
	global_load_dwordx2 v[7:8], v[21:22], off offset:1536
	s_or_b32 exec_lo, exec_lo, s34
	s_mov_b32 s34, exec_lo
	v_cmpx_lt_u32_e64 v76, v105
	s_cbranch_execz .LBB1767_462
.LBB1767_496:                           ;   in Loop: Header=BB1767_399 Depth=2
	global_load_dwordx2 v[5:6], v[21:22], off offset:1792
	s_or_b32 exec_lo, exec_lo, s34
	s_and_saveexec_b32 s34, vcc_lo
	s_cbranch_execz .LBB1767_463
.LBB1767_497:                           ;   in Loop: Header=BB1767_399 Depth=2
	ds_read_u16 v3, v47 offset:1024
	s_waitcnt lgkmcnt(0)
	v_cmp_ne_u16_e64 s28, 0x8000, v3
	v_cndmask_b32_e64 v3, 0x7fff, v3, s28
	v_lshrrev_b32_sdwa v3, s49, v3 dst_sel:DWORD dst_unused:UNUSED_PAD src0_sel:DWORD src1_sel:WORD_0
	v_and_b32_e32 v104, s42, v3
	s_or_b32 exec_lo, exec_lo, s34
	s_and_saveexec_b32 s34, s21
	s_cbranch_execz .LBB1767_464
.LBB1767_498:                           ;   in Loop: Header=BB1767_399 Depth=2
	ds_read_u16 v3, v47 offset:1536
	s_waitcnt lgkmcnt(0)
	v_cmp_ne_u16_e64 s28, 0x8000, v3
	v_cndmask_b32_e64 v3, 0x7fff, v3, s28
	v_lshrrev_b32_sdwa v3, s49, v3 dst_sel:DWORD dst_unused:UNUSED_PAD src0_sel:DWORD src1_sel:WORD_0
	v_and_b32_e32 v103, s42, v3
	s_or_b32 exec_lo, exec_lo, s34
	s_and_saveexec_b32 s34, s22
	s_cbranch_execz .LBB1767_465
.LBB1767_499:                           ;   in Loop: Header=BB1767_399 Depth=2
	ds_read_u16 v3, v47 offset:2048
	s_waitcnt lgkmcnt(0)
	v_cmp_ne_u16_e64 s28, 0x8000, v3
	v_cndmask_b32_e64 v3, 0x7fff, v3, s28
	v_lshrrev_b32_sdwa v3, s49, v3 dst_sel:DWORD dst_unused:UNUSED_PAD src0_sel:DWORD src1_sel:WORD_0
	v_and_b32_e32 v102, s42, v3
	s_or_b32 exec_lo, exec_lo, s34
	s_and_saveexec_b32 s34, s23
	s_cbranch_execz .LBB1767_466
.LBB1767_500:                           ;   in Loop: Header=BB1767_399 Depth=2
	ds_read_u16 v3, v47 offset:2560
	s_waitcnt lgkmcnt(0)
	v_cmp_ne_u16_e64 s28, 0x8000, v3
	v_cndmask_b32_e64 v3, 0x7fff, v3, s28
	v_lshrrev_b32_sdwa v3, s49, v3 dst_sel:DWORD dst_unused:UNUSED_PAD src0_sel:DWORD src1_sel:WORD_0
	v_and_b32_e32 v101, s42, v3
	s_or_b32 exec_lo, exec_lo, s34
	s_and_saveexec_b32 s34, s24
	s_cbranch_execz .LBB1767_467
.LBB1767_501:                           ;   in Loop: Header=BB1767_399 Depth=2
	ds_read_u16 v3, v47 offset:3072
	s_waitcnt lgkmcnt(0)
	v_cmp_ne_u16_e64 s28, 0x8000, v3
	v_cndmask_b32_e64 v3, 0x7fff, v3, s28
	v_lshrrev_b32_sdwa v3, s49, v3 dst_sel:DWORD dst_unused:UNUSED_PAD src0_sel:DWORD src1_sel:WORD_0
	v_and_b32_e32 v100, s42, v3
	s_or_b32 exec_lo, exec_lo, s34
	s_and_saveexec_b32 s34, s25
	s_cbranch_execz .LBB1767_468
.LBB1767_502:                           ;   in Loop: Header=BB1767_399 Depth=2
	ds_read_u16 v3, v47 offset:3584
	s_waitcnt lgkmcnt(0)
	v_cmp_ne_u16_e64 s28, 0x8000, v3
	v_cndmask_b32_e64 v3, 0x7fff, v3, s28
	v_lshrrev_b32_sdwa v3, s49, v3 dst_sel:DWORD dst_unused:UNUSED_PAD src0_sel:DWORD src1_sel:WORD_0
	v_and_b32_e32 v99, s42, v3
	s_or_b32 exec_lo, exec_lo, s34
	s_and_saveexec_b32 s34, s26
	s_cbranch_execz .LBB1767_469
.LBB1767_503:                           ;   in Loop: Header=BB1767_399 Depth=2
	ds_read_u16 v3, v47 offset:4096
	s_waitcnt lgkmcnt(0)
	v_cmp_ne_u16_e64 s28, 0x8000, v3
	v_cndmask_b32_e64 v3, 0x7fff, v3, s28
	v_lshrrev_b32_sdwa v3, s49, v3 dst_sel:DWORD dst_unused:UNUSED_PAD src0_sel:DWORD src1_sel:WORD_0
	v_and_b32_e32 v98, s42, v3
	s_or_b32 exec_lo, exec_lo, s34
	s_and_saveexec_b32 s34, s27
	s_cbranch_execnz .LBB1767_470
	s_branch .LBB1767_471
.LBB1767_504:                           ;   in Loop: Header=BB1767_399 Depth=2
	v_lshlrev_b32_e32 v3, 2, v104
	v_add_nc_u32_e32 v21, v47, v48
	ds_read_b32 v3, v3
	ds_read_b64 v[21:22], v21 offset:1024
	s_waitcnt lgkmcnt(1)
	v_add_nc_u32_e32 v3, v3, v0
	v_lshlrev_b64 v[24:25], 3, v[3:4]
	v_add_co_u32 v24, vcc_lo, s44, v24
	v_add_co_ci_u32_e64 v25, null, s45, v25, vcc_lo
	s_waitcnt lgkmcnt(0)
	global_store_dwordx2 v[24:25], v[21:22], off
	s_or_b32 exec_lo, exec_lo, s28
	s_and_saveexec_b32 s28, s21
	s_cbranch_execz .LBB1767_473
.LBB1767_505:                           ;   in Loop: Header=BB1767_399 Depth=2
	v_lshlrev_b32_e32 v3, 2, v103
	v_add_nc_u32_e32 v21, v47, v48
	ds_read_b32 v3, v3
	ds_read_b64 v[21:22], v21 offset:3072
	s_waitcnt lgkmcnt(1)
	v_add_nc_u32_e32 v3, v3, v30
	v_lshlrev_b64 v[24:25], 3, v[3:4]
	v_add_co_u32 v24, vcc_lo, s44, v24
	v_add_co_ci_u32_e64 v25, null, s45, v25, vcc_lo
	s_waitcnt lgkmcnt(0)
	global_store_dwordx2 v[24:25], v[21:22], off
	s_or_b32 exec_lo, exec_lo, s28
	s_and_saveexec_b32 s21, s22
	s_cbranch_execz .LBB1767_474
.LBB1767_506:                           ;   in Loop: Header=BB1767_399 Depth=2
	v_lshlrev_b32_e32 v3, 2, v102
	v_add_nc_u32_e32 v21, v47, v48
	ds_read_b32 v3, v3
	ds_read_b64 v[21:22], v21 offset:5120
	s_waitcnt lgkmcnt(1)
	v_add_nc_u32_e32 v3, v3, v31
	v_lshlrev_b64 v[24:25], 3, v[3:4]
	v_add_co_u32 v24, vcc_lo, s44, v24
	v_add_co_ci_u32_e64 v25, null, s45, v25, vcc_lo
	s_waitcnt lgkmcnt(0)
	global_store_dwordx2 v[24:25], v[21:22], off
	s_or_b32 exec_lo, exec_lo, s21
	s_and_saveexec_b32 s21, s23
	s_cbranch_execz .LBB1767_475
.LBB1767_507:                           ;   in Loop: Header=BB1767_399 Depth=2
	v_lshlrev_b32_e32 v3, 2, v101
	v_add_nc_u32_e32 v21, v47, v48
	ds_read_b32 v3, v3
	ds_read_b64 v[21:22], v21 offset:7168
	s_waitcnt lgkmcnt(1)
	v_add_nc_u32_e32 v3, v3, v32
	v_lshlrev_b64 v[24:25], 3, v[3:4]
	v_add_co_u32 v24, vcc_lo, s44, v24
	v_add_co_ci_u32_e64 v25, null, s45, v25, vcc_lo
	s_waitcnt lgkmcnt(0)
	global_store_dwordx2 v[24:25], v[21:22], off
	s_or_b32 exec_lo, exec_lo, s21
	s_and_saveexec_b32 s21, s24
	s_cbranch_execz .LBB1767_476
.LBB1767_508:                           ;   in Loop: Header=BB1767_399 Depth=2
	v_lshlrev_b32_e32 v3, 2, v100
	v_add_nc_u32_e32 v21, v47, v48
	ds_read_b32 v3, v3
	ds_read_b64 v[21:22], v21 offset:9216
	s_waitcnt lgkmcnt(1)
	v_add_nc_u32_e32 v3, v3, v35
	v_lshlrev_b64 v[24:25], 3, v[3:4]
	v_add_co_u32 v24, vcc_lo, s44, v24
	v_add_co_ci_u32_e64 v25, null, s45, v25, vcc_lo
	s_waitcnt lgkmcnt(0)
	global_store_dwordx2 v[24:25], v[21:22], off
	s_or_b32 exec_lo, exec_lo, s21
	s_and_saveexec_b32 s21, s25
	s_cbranch_execz .LBB1767_477
.LBB1767_509:                           ;   in Loop: Header=BB1767_399 Depth=2
	v_lshlrev_b32_e32 v3, 2, v99
	v_add_nc_u32_e32 v21, v47, v48
	ds_read_b32 v3, v3
	ds_read_b64 v[21:22], v21 offset:11264
	s_waitcnt lgkmcnt(1)
	v_add_nc_u32_e32 v3, v3, v36
	v_lshlrev_b64 v[24:25], 3, v[3:4]
	v_add_co_u32 v24, vcc_lo, s44, v24
	v_add_co_ci_u32_e64 v25, null, s45, v25, vcc_lo
	s_waitcnt lgkmcnt(0)
	global_store_dwordx2 v[24:25], v[21:22], off
	s_or_b32 exec_lo, exec_lo, s21
	s_and_saveexec_b32 s21, s26
	s_cbranch_execz .LBB1767_478
.LBB1767_510:                           ;   in Loop: Header=BB1767_399 Depth=2
	v_lshlrev_b32_e32 v3, 2, v98
	v_add_nc_u32_e32 v21, v47, v48
	ds_read_b32 v3, v3
	ds_read_b64 v[21:22], v21 offset:13312
	s_waitcnt lgkmcnt(1)
	v_add_nc_u32_e32 v3, v3, v37
	v_lshlrev_b64 v[24:25], 3, v[3:4]
	v_add_co_u32 v24, vcc_lo, s44, v24
	v_add_co_ci_u32_e64 v25, null, s45, v25, vcc_lo
	s_waitcnt lgkmcnt(0)
	global_store_dwordx2 v[24:25], v[21:22], off
	s_or_b32 exec_lo, exec_lo, s21
	s_and_saveexec_b32 s21, s27
	s_cbranch_execnz .LBB1767_479
	s_branch .LBB1767_480
.LBB1767_511:                           ;   in Loop: Header=BB1767_17 Depth=1
	s_waitcnt lgkmcnt(0)
	s_mov_b32 s5, 0
	s_barrier
.LBB1767_512:                           ;   in Loop: Header=BB1767_17 Depth=1
	s_and_b32 vcc_lo, exec_lo, s5
	s_cbranch_vccz .LBB1767_16
; %bb.513:                              ;   in Loop: Header=BB1767_17 Depth=1
	s_mov_b32 s5, s53
	s_mov_b32 s34, s33
	s_barrier
	buffer_gl0_inv
                                        ; implicit-def: $vgpr3
                                        ; implicit-def: $vgpr5
                                        ; implicit-def: $vgpr6
                                        ; implicit-def: $vgpr7
                                        ; implicit-def: $vgpr8
                                        ; implicit-def: $vgpr9
                                        ; implicit-def: $vgpr10
                                        ; implicit-def: $vgpr11
	s_branch .LBB1767_515
.LBB1767_514:                           ;   in Loop: Header=BB1767_515 Depth=2
	s_or_b32 exec_lo, exec_lo, s14
	s_addk_i32 s5, 0xf800
	s_cmp_ge_u32 s16, s52
	s_mov_b32 s34, s16
	s_cbranch_scc1 .LBB1767_551
.LBB1767_515:                           ;   Parent Loop BB1767_17 Depth=1
                                        ; =>  This Inner Loop Header: Depth=2
	s_add_i32 s16, s34, 0x800
	s_mov_b32 s14, -1
	s_cmp_gt_u32 s16, s52
                                        ; implicit-def: $vgpr12
                                        ; implicit-def: $vgpr13
                                        ; implicit-def: $vgpr14
                                        ; implicit-def: $vgpr15
                                        ; implicit-def: $vgpr16
                                        ; implicit-def: $vgpr17
                                        ; implicit-def: $vgpr18
                                        ; implicit-def: $vgpr19
	s_cbranch_scc1 .LBB1767_517
; %bb.516:                              ;   in Loop: Header=BB1767_515 Depth=2
	s_lshl_b64 s[14:15], s[34:35], 1
	v_add_co_u32 v15, vcc_lo, v55, s14
	v_add_co_ci_u32_e64 v16, null, s15, v56, vcc_lo
	s_mov_b32 s14, 0
	v_add_co_u32 v19, vcc_lo, 0x800, v15
	v_add_co_ci_u32_e64 v20, null, 0, v16, vcc_lo
	s_clause 0x7
	global_load_ushort v12, v[15:16], off
	global_load_ushort v13, v[15:16], off offset:512
	global_load_ushort v14, v[15:16], off offset:1024
	;; [unrolled: 1-line block ×3, first 2 shown]
	global_load_ushort v16, v[19:20], off
	global_load_ushort v17, v[19:20], off offset:512
	global_load_ushort v18, v[19:20], off offset:1024
	;; [unrolled: 1-line block ×3, first 2 shown]
.LBB1767_517:                           ;   in Loop: Header=BB1767_515 Depth=2
	s_andn2_b32 vcc_lo, exec_lo, s14
	s_movk_i32 s14, 0x800
	s_cbranch_vccnz .LBB1767_528
; %bb.518:                              ;   in Loop: Header=BB1767_515 Depth=2
	s_lshl_b64 s[14:15], s[34:35], 1
	s_mov_b32 s17, exec_lo
	s_add_u32 s14, s36, s14
	s_addc_u32 s15, s37, s15
	v_cmpx_gt_u32_e64 s5, v0
	s_cbranch_execnz .LBB1767_544
; %bb.519:                              ;   in Loop: Header=BB1767_515 Depth=2
	s_or_b32 exec_lo, exec_lo, s17
	s_mov_b32 s17, exec_lo
	v_cmpx_gt_u32_e64 s5, v30
	s_cbranch_execnz .LBB1767_545
.LBB1767_520:                           ;   in Loop: Header=BB1767_515 Depth=2
	s_or_b32 exec_lo, exec_lo, s17
	s_mov_b32 s17, exec_lo
	v_cmpx_gt_u32_e64 s5, v31
	s_cbranch_execnz .LBB1767_546
.LBB1767_521:                           ;   in Loop: Header=BB1767_515 Depth=2
	s_or_b32 exec_lo, exec_lo, s17
	s_mov_b32 s17, exec_lo
	v_cmpx_gt_u32_e64 s5, v32
	s_cbranch_execnz .LBB1767_547
.LBB1767_522:                           ;   in Loop: Header=BB1767_515 Depth=2
	s_or_b32 exec_lo, exec_lo, s17
	s_mov_b32 s17, exec_lo
	v_cmpx_gt_u32_e64 s5, v35
	s_cbranch_execnz .LBB1767_548
.LBB1767_523:                           ;   in Loop: Header=BB1767_515 Depth=2
	s_or_b32 exec_lo, exec_lo, s17
	s_mov_b32 s17, exec_lo
	v_cmpx_gt_u32_e64 s5, v36
	s_cbranch_execnz .LBB1767_549
.LBB1767_524:                           ;   in Loop: Header=BB1767_515 Depth=2
	s_or_b32 exec_lo, exec_lo, s17
	s_mov_b32 s17, exec_lo
	v_cmpx_gt_u32_e64 s5, v37
	s_cbranch_execnz .LBB1767_550
.LBB1767_525:                           ;   in Loop: Header=BB1767_515 Depth=2
	s_or_b32 exec_lo, exec_lo, s17
	s_mov_b32 s17, exec_lo
	v_cmpx_gt_u32_e64 s5, v38
	s_cbranch_execz .LBB1767_527
.LBB1767_526:                           ;   in Loop: Header=BB1767_515 Depth=2
	global_load_ushort v3, v87, s[14:15]
.LBB1767_527:                           ;   in Loop: Header=BB1767_515 Depth=2
	s_or_b32 exec_lo, exec_lo, s17
	s_waitcnt vmcnt(0)
	v_mov_b32_e32 v12, v11
	v_mov_b32_e32 v13, v10
	;; [unrolled: 1-line block ×8, first 2 shown]
	s_mov_b32 s14, s5
.LBB1767_528:                           ;   in Loop: Header=BB1767_515 Depth=2
	s_waitcnt vmcnt(0)
	v_mov_b32_e32 v3, v19
	v_mov_b32_e32 v5, v18
	;; [unrolled: 1-line block ×8, first 2 shown]
	s_mov_b32 s15, exec_lo
	v_cmpx_gt_u32_e64 s14, v0
	s_cbranch_execnz .LBB1767_536
; %bb.529:                              ;   in Loop: Header=BB1767_515 Depth=2
	s_or_b32 exec_lo, exec_lo, s15
	s_mov_b32 s15, exec_lo
	v_cmpx_gt_u32_e64 s14, v30
	s_cbranch_execnz .LBB1767_537
.LBB1767_530:                           ;   in Loop: Header=BB1767_515 Depth=2
	s_or_b32 exec_lo, exec_lo, s15
	s_mov_b32 s15, exec_lo
	v_cmpx_gt_u32_e64 s14, v31
	s_cbranch_execnz .LBB1767_538
.LBB1767_531:                           ;   in Loop: Header=BB1767_515 Depth=2
	s_or_b32 exec_lo, exec_lo, s15
	s_mov_b32 s15, exec_lo
	v_cmpx_gt_u32_e64 s14, v32
	s_cbranch_execnz .LBB1767_539
.LBB1767_532:                           ;   in Loop: Header=BB1767_515 Depth=2
	s_or_b32 exec_lo, exec_lo, s15
	s_mov_b32 s15, exec_lo
	v_cmpx_gt_u32_e64 s14, v35
	s_cbranch_execnz .LBB1767_540
.LBB1767_533:                           ;   in Loop: Header=BB1767_515 Depth=2
	s_or_b32 exec_lo, exec_lo, s15
	s_mov_b32 s15, exec_lo
	v_cmpx_gt_u32_e64 s14, v36
	s_cbranch_execnz .LBB1767_541
.LBB1767_534:                           ;   in Loop: Header=BB1767_515 Depth=2
	s_or_b32 exec_lo, exec_lo, s15
	s_mov_b32 s15, exec_lo
	v_cmpx_gt_u32_e64 s14, v37
	s_cbranch_execnz .LBB1767_542
.LBB1767_535:                           ;   in Loop: Header=BB1767_515 Depth=2
	s_or_b32 exec_lo, exec_lo, s15
	v_cmp_gt_u32_e32 vcc_lo, s14, v38
	s_and_saveexec_b32 s14, vcc_lo
	s_cbranch_execz .LBB1767_514
	s_branch .LBB1767_543
.LBB1767_536:                           ;   in Loop: Header=BB1767_515 Depth=2
	v_cmp_gt_i16_e32 vcc_lo, 0, v11
	v_cndmask_b32_e64 v12, 0x7fff, 0, vcc_lo
	v_xor_b32_e32 v12, v12, v11
	v_cmp_ne_u16_e32 vcc_lo, 0x8000, v12
	v_cndmask_b32_e32 v12, 0x7fff, v12, vcc_lo
	v_lshrrev_b32_sdwa v12, s49, v12 dst_sel:DWORD dst_unused:UNUSED_PAD src0_sel:DWORD src1_sel:WORD_0
	v_and_b32_e32 v12, s42, v12
	v_lshl_or_b32 v12, v12, 4, v40
	ds_add_u32 v12, v62
	s_or_b32 exec_lo, exec_lo, s15
	s_mov_b32 s15, exec_lo
	v_cmpx_gt_u32_e64 s14, v30
	s_cbranch_execz .LBB1767_530
.LBB1767_537:                           ;   in Loop: Header=BB1767_515 Depth=2
	v_cmp_gt_i16_e32 vcc_lo, 0, v10
	v_cndmask_b32_e64 v12, 0x7fff, 0, vcc_lo
	v_xor_b32_e32 v12, v12, v10
	v_cmp_ne_u16_e32 vcc_lo, 0x8000, v12
	v_cndmask_b32_e32 v12, 0x7fff, v12, vcc_lo
	v_lshrrev_b32_sdwa v12, s49, v12 dst_sel:DWORD dst_unused:UNUSED_PAD src0_sel:DWORD src1_sel:WORD_0
	v_and_b32_e32 v12, s42, v12
	v_lshl_or_b32 v12, v12, 4, v40
	ds_add_u32 v12, v62
	s_or_b32 exec_lo, exec_lo, s15
	s_mov_b32 s15, exec_lo
	v_cmpx_gt_u32_e64 s14, v31
	s_cbranch_execz .LBB1767_531
.LBB1767_538:                           ;   in Loop: Header=BB1767_515 Depth=2
	v_cmp_gt_i16_e32 vcc_lo, 0, v9
	v_cndmask_b32_e64 v12, 0x7fff, 0, vcc_lo
	v_xor_b32_e32 v12, v12, v9
	v_cmp_ne_u16_e32 vcc_lo, 0x8000, v12
	v_cndmask_b32_e32 v12, 0x7fff, v12, vcc_lo
	v_lshrrev_b32_sdwa v12, s49, v12 dst_sel:DWORD dst_unused:UNUSED_PAD src0_sel:DWORD src1_sel:WORD_0
	v_and_b32_e32 v12, s42, v12
	v_lshl_or_b32 v12, v12, 4, v40
	ds_add_u32 v12, v62
	s_or_b32 exec_lo, exec_lo, s15
	s_mov_b32 s15, exec_lo
	v_cmpx_gt_u32_e64 s14, v32
	s_cbranch_execz .LBB1767_532
.LBB1767_539:                           ;   in Loop: Header=BB1767_515 Depth=2
	v_cmp_gt_i16_e32 vcc_lo, 0, v8
	v_cndmask_b32_e64 v12, 0x7fff, 0, vcc_lo
	v_xor_b32_e32 v12, v12, v8
	v_cmp_ne_u16_e32 vcc_lo, 0x8000, v12
	v_cndmask_b32_e32 v12, 0x7fff, v12, vcc_lo
	v_lshrrev_b32_sdwa v12, s49, v12 dst_sel:DWORD dst_unused:UNUSED_PAD src0_sel:DWORD src1_sel:WORD_0
	v_and_b32_e32 v12, s42, v12
	v_lshl_or_b32 v12, v12, 4, v40
	ds_add_u32 v12, v62
	s_or_b32 exec_lo, exec_lo, s15
	s_mov_b32 s15, exec_lo
	v_cmpx_gt_u32_e64 s14, v35
	s_cbranch_execz .LBB1767_533
.LBB1767_540:                           ;   in Loop: Header=BB1767_515 Depth=2
	v_cmp_gt_i16_e32 vcc_lo, 0, v7
	v_cndmask_b32_e64 v12, 0x7fff, 0, vcc_lo
	v_xor_b32_e32 v12, v12, v7
	v_cmp_ne_u16_e32 vcc_lo, 0x8000, v12
	v_cndmask_b32_e32 v12, 0x7fff, v12, vcc_lo
	v_lshrrev_b32_sdwa v12, s49, v12 dst_sel:DWORD dst_unused:UNUSED_PAD src0_sel:DWORD src1_sel:WORD_0
	v_and_b32_e32 v12, s42, v12
	v_lshl_or_b32 v12, v12, 4, v40
	ds_add_u32 v12, v62
	s_or_b32 exec_lo, exec_lo, s15
	s_mov_b32 s15, exec_lo
	v_cmpx_gt_u32_e64 s14, v36
	s_cbranch_execz .LBB1767_534
.LBB1767_541:                           ;   in Loop: Header=BB1767_515 Depth=2
	v_cmp_gt_i16_e32 vcc_lo, 0, v6
	v_cndmask_b32_e64 v12, 0x7fff, 0, vcc_lo
	v_xor_b32_e32 v12, v12, v6
	v_cmp_ne_u16_e32 vcc_lo, 0x8000, v12
	v_cndmask_b32_e32 v12, 0x7fff, v12, vcc_lo
	v_lshrrev_b32_sdwa v12, s49, v12 dst_sel:DWORD dst_unused:UNUSED_PAD src0_sel:DWORD src1_sel:WORD_0
	v_and_b32_e32 v12, s42, v12
	v_lshl_or_b32 v12, v12, 4, v40
	ds_add_u32 v12, v62
	s_or_b32 exec_lo, exec_lo, s15
	s_mov_b32 s15, exec_lo
	v_cmpx_gt_u32_e64 s14, v37
	s_cbranch_execz .LBB1767_535
.LBB1767_542:                           ;   in Loop: Header=BB1767_515 Depth=2
	v_cmp_gt_i16_e32 vcc_lo, 0, v5
	v_cndmask_b32_e64 v12, 0x7fff, 0, vcc_lo
	v_xor_b32_e32 v12, v12, v5
	v_cmp_ne_u16_e32 vcc_lo, 0x8000, v12
	v_cndmask_b32_e32 v12, 0x7fff, v12, vcc_lo
	v_lshrrev_b32_sdwa v12, s49, v12 dst_sel:DWORD dst_unused:UNUSED_PAD src0_sel:DWORD src1_sel:WORD_0
	v_and_b32_e32 v12, s42, v12
	v_lshl_or_b32 v12, v12, 4, v40
	ds_add_u32 v12, v62
	s_or_b32 exec_lo, exec_lo, s15
	v_cmp_gt_u32_e32 vcc_lo, s14, v38
	s_and_saveexec_b32 s14, vcc_lo
	s_cbranch_execz .LBB1767_514
.LBB1767_543:                           ;   in Loop: Header=BB1767_515 Depth=2
	v_cmp_gt_i16_e32 vcc_lo, 0, v3
	v_cndmask_b32_e64 v12, 0x7fff, 0, vcc_lo
	v_xor_b32_e32 v12, v12, v3
	v_cmp_ne_u16_e32 vcc_lo, 0x8000, v12
	v_cndmask_b32_e32 v12, 0x7fff, v12, vcc_lo
	v_lshrrev_b32_sdwa v12, s49, v12 dst_sel:DWORD dst_unused:UNUSED_PAD src0_sel:DWORD src1_sel:WORD_0
	v_and_b32_e32 v12, s42, v12
	v_lshl_or_b32 v12, v12, 4, v40
	ds_add_u32 v12, v62
	s_branch .LBB1767_514
.LBB1767_544:                           ;   in Loop: Header=BB1767_515 Depth=2
	global_load_ushort v11, v79, s[14:15]
	s_or_b32 exec_lo, exec_lo, s17
	s_mov_b32 s17, exec_lo
	v_cmpx_gt_u32_e64 s5, v30
	s_cbranch_execz .LBB1767_520
.LBB1767_545:                           ;   in Loop: Header=BB1767_515 Depth=2
	global_load_ushort v10, v79, s[14:15] offset:512
	s_or_b32 exec_lo, exec_lo, s17
	s_mov_b32 s17, exec_lo
	v_cmpx_gt_u32_e64 s5, v31
	s_cbranch_execz .LBB1767_521
.LBB1767_546:                           ;   in Loop: Header=BB1767_515 Depth=2
	global_load_ushort v9, v79, s[14:15] offset:1024
	s_or_b32 exec_lo, exec_lo, s17
	s_mov_b32 s17, exec_lo
	v_cmpx_gt_u32_e64 s5, v32
	s_cbranch_execz .LBB1767_522
.LBB1767_547:                           ;   in Loop: Header=BB1767_515 Depth=2
	global_load_ushort v8, v79, s[14:15] offset:1536
	s_or_b32 exec_lo, exec_lo, s17
	s_mov_b32 s17, exec_lo
	v_cmpx_gt_u32_e64 s5, v35
	s_cbranch_execz .LBB1767_523
.LBB1767_548:                           ;   in Loop: Header=BB1767_515 Depth=2
	global_load_ushort v7, v80, s[14:15]
	s_or_b32 exec_lo, exec_lo, s17
	s_mov_b32 s17, exec_lo
	v_cmpx_gt_u32_e64 s5, v36
	s_cbranch_execz .LBB1767_524
.LBB1767_549:                           ;   in Loop: Header=BB1767_515 Depth=2
	global_load_ushort v6, v81, s[14:15]
	s_or_b32 exec_lo, exec_lo, s17
	s_mov_b32 s17, exec_lo
	v_cmpx_gt_u32_e64 s5, v37
	s_cbranch_execz .LBB1767_525
.LBB1767_550:                           ;   in Loop: Header=BB1767_515 Depth=2
	global_load_ushort v5, v82, s[14:15]
	s_or_b32 exec_lo, exec_lo, s17
	s_mov_b32 s17, exec_lo
	v_cmpx_gt_u32_e64 s5, v38
	s_cbranch_execnz .LBB1767_526
	s_branch .LBB1767_527
.LBB1767_551:                           ;   in Loop: Header=BB1767_17 Depth=1
	v_mov_b32_e32 v3, 0
	s_waitcnt lgkmcnt(0)
	s_barrier
	buffer_gl0_inv
	s_and_saveexec_b32 s5, s8
	s_cbranch_execz .LBB1767_553
; %bb.552:                              ;   in Loop: Header=BB1767_17 Depth=1
	ds_read2_b64 v[5:8], v41 offset1:1
	s_waitcnt lgkmcnt(0)
	v_add_nc_u32_e32 v3, v6, v5
	v_add3_u32 v3, v3, v7, v8
.LBB1767_553:                           ;   in Loop: Header=BB1767_17 Depth=1
	s_or_b32 exec_lo, exec_lo, s5
	v_mov_b32_dpp v5, v3 row_shr:1 row_mask:0xf bank_mask:0xf
	v_cmp_eq_u32_e64 s5, 0, v63
	v_cmp_lt_u32_e64 s14, 1, v63
	v_cmp_lt_u32_e64 s15, 3, v63
	;; [unrolled: 1-line block ×3, first 2 shown]
	v_cmp_eq_u32_e64 s17, 0, v65
	v_cndmask_b32_e64 v5, v5, 0, s5
	v_add_nc_u32_e32 v3, v5, v3
	v_mov_b32_dpp v5, v3 row_shr:2 row_mask:0xf bank_mask:0xf
	v_cndmask_b32_e64 v5, 0, v5, s14
	v_add_nc_u32_e32 v3, v3, v5
	v_mov_b32_dpp v5, v3 row_shr:4 row_mask:0xf bank_mask:0xf
	v_cndmask_b32_e64 v5, 0, v5, s15
	v_add_nc_u32_e32 v3, v3, v5
	v_mov_b32_dpp v5, v3 row_shr:8 row_mask:0xf bank_mask:0xf
	v_cndmask_b32_e64 v5, 0, v5, s16
	v_add_nc_u32_e32 v3, v3, v5
	ds_swizzle_b32 v5, v3 offset:swizzle(BROADCAST,32,15)
	s_waitcnt lgkmcnt(0)
	v_and_b32_e32 v5, v64, v5
	v_add_nc_u32_e32 v3, v3, v5
	s_and_saveexec_b32 s18, s9
; %bb.554:                              ;   in Loop: Header=BB1767_17 Depth=1
	ds_write_b32 v42, v3
; %bb.555:                              ;   in Loop: Header=BB1767_17 Depth=1
	s_or_b32 exec_lo, exec_lo, s18
	s_waitcnt lgkmcnt(0)
	s_barrier
	buffer_gl0_inv
	s_and_saveexec_b32 s18, s10
	s_cbranch_execz .LBB1767_557
; %bb.556:                              ;   in Loop: Header=BB1767_17 Depth=1
	ds_read_b32 v5, v43
	v_cmp_ne_u32_e32 vcc_lo, 0, v67
	s_waitcnt lgkmcnt(0)
	v_mov_b32_dpp v6, v5 row_shr:1 row_mask:0xf bank_mask:0xf
	v_cndmask_b32_e32 v6, 0, v6, vcc_lo
	v_cmp_lt_u32_e32 vcc_lo, 1, v67
	v_add_nc_u32_e32 v5, v6, v5
	v_mov_b32_dpp v6, v5 row_shr:2 row_mask:0xf bank_mask:0xf
	v_cndmask_b32_e32 v6, 0, v6, vcc_lo
	v_cmp_lt_u32_e32 vcc_lo, 3, v67
	v_add_nc_u32_e32 v5, v5, v6
	v_mov_b32_dpp v6, v5 row_shr:4 row_mask:0xf bank_mask:0xf
	v_cndmask_b32_e32 v6, 0, v6, vcc_lo
	v_add_nc_u32_e32 v5, v5, v6
	ds_write_b32 v43, v5
.LBB1767_557:                           ;   in Loop: Header=BB1767_17 Depth=1
	s_or_b32 exec_lo, exec_lo, s18
	v_mov_b32_e32 v5, 0
	s_waitcnt lgkmcnt(0)
	s_barrier
	buffer_gl0_inv
	s_and_saveexec_b32 s18, s11
; %bb.558:                              ;   in Loop: Header=BB1767_17 Depth=1
	ds_read_b32 v5, v45
; %bb.559:                              ;   in Loop: Header=BB1767_17 Depth=1
	s_or_b32 exec_lo, exec_lo, s18
	v_cmp_gt_i32_e32 vcc_lo, 0, v68
	s_waitcnt lgkmcnt(0)
	v_add_nc_u32_e32 v3, v5, v3
	s_barrier
	buffer_gl0_inv
	v_cndmask_b32_e32 v6, v68, v59, vcc_lo
	v_lshlrev_b32_e32 v91, 2, v6
	ds_bpermute_b32 v3, v91, v3
	s_and_saveexec_b32 s18, s8
	s_cbranch_execz .LBB1767_561
; %bb.560:                              ;   in Loop: Header=BB1767_17 Depth=1
	s_waitcnt lgkmcnt(0)
	v_cndmask_b32_e64 v3, v3, v5, s13
	v_add_nc_u32_e32 v3, s33, v3
	ds_write_b32 v29, v3
.LBB1767_561:                           ;   in Loop: Header=BB1767_17 Depth=1
	s_or_b32 exec_lo, exec_lo, s18
	s_load_dwordx2 s[18:19], s[30:31], 0x0
	v_add_co_u32 v92, vcc_lo, v57, v69
	v_add_co_ci_u32_e64 v93, null, 0, v58, vcc_lo
	v_add_co_u32 v94, vcc_lo, v60, v77
	v_add_co_ci_u32_e64 v95, null, 0, v61, vcc_lo
	s_mov_b32 s43, s53
	s_mov_b32 s34, s33
                                        ; implicit-def: $vgpr7_vgpr8
                                        ; implicit-def: $vgpr9_vgpr10
                                        ; implicit-def: $vgpr11_vgpr12
                                        ; implicit-def: $vgpr13_vgpr14
                                        ; implicit-def: $vgpr15_vgpr16
                                        ; implicit-def: $vgpr17_vgpr18
                                        ; implicit-def: $vgpr19_vgpr20
                                        ; implicit-def: $vgpr97
                                        ; implicit-def: $vgpr98
                                        ; implicit-def: $vgpr99
                                        ; implicit-def: $vgpr100
                                        ; implicit-def: $vgpr101
                                        ; implicit-def: $vgpr102
                                        ; implicit-def: $vgpr103
                                        ; implicit-def: $vgpr104
	s_waitcnt lgkmcnt(0)
	s_cmp_lt_u32 s7, s19
	s_cselect_b32 s19, 14, 20
	s_add_u32 s20, s30, s19
	s_addc_u32 s21, s31, 0
	s_cmp_lt_u32 s6, s18
	global_load_ushort v3, v4, s[20:21]
	s_cselect_b32 s18, 12, 18
	s_add_u32 s18, s30, s18
	s_addc_u32 s19, s31, 0
	global_load_ushort v5, v4, s[18:19]
	v_cmp_eq_u32_e64 s18, 0, v67
	v_cmp_lt_u32_e64 s19, 1, v67
	v_cmp_lt_u32_e64 s20, 3, v67
	s_waitcnt vmcnt(1)
	v_mad_u32_u24 v3, v2, v3, v1
	s_waitcnt vmcnt(0)
	v_mad_u64_u32 v[5:6], null, v3, v5, v[0:1]
	v_lshrrev_b32_e32 v3, 3, v5
                                        ; implicit-def: $vgpr5_vgpr6
	v_and_b32_e32 v96, 0x1ffffffc, v3
	s_branch .LBB1767_563
.LBB1767_562:                           ;   in Loop: Header=BB1767_563 Depth=2
	s_or_b32 exec_lo, exec_lo, s21
	s_addk_i32 s43, 0xf800
	s_cmp_lt_u32 s48, s52
	s_mov_b32 s34, s48
	s_cbranch_scc0 .LBB1767_15
.LBB1767_563:                           ;   Parent Loop BB1767_17 Depth=1
                                        ; =>  This Inner Loop Header: Depth=2
	s_add_i32 s48, s34, 0x800
	s_cmp_gt_u32 s48, s52
	s_cbranch_scc1 .LBB1767_565
; %bb.564:                              ;   in Loop: Header=BB1767_563 Depth=2
	s_lshl_b64 s[22:23], s[34:35], 1
	s_mov_b32 s21, -1
	v_add_co_u32 v21, vcc_lo, v94, s22
	v_add_co_ci_u32_e64 v22, null, s23, v95, vcc_lo
	s_clause 0x6
	global_load_ushort v3, v[21:22], off
	global_load_ushort v28, v[21:22], off offset:64
	global_load_ushort v27, v[21:22], off offset:128
	;; [unrolled: 1-line block ×6, first 2 shown]
	s_movk_i32 s22, 0x800
	s_cbranch_execz .LBB1767_566
	s_branch .LBB1767_581
.LBB1767_565:                           ;   in Loop: Header=BB1767_563 Depth=2
	s_mov_b32 s21, 0
                                        ; implicit-def: $vgpr3
                                        ; implicit-def: $vgpr28
                                        ; implicit-def: $vgpr27
                                        ; implicit-def: $vgpr26
                                        ; implicit-def: $vgpr25
                                        ; implicit-def: $vgpr24
                                        ; implicit-def: $vgpr23
	s_movk_i32 s22, 0x800
.LBB1767_566:                           ;   in Loop: Header=BB1767_563 Depth=2
	s_lshl_b64 s[22:23], s[34:35], 1
	s_waitcnt vmcnt(5)
	v_mov_b32_e32 v28, -1
	v_add_co_u32 v21, vcc_lo, v94, s22
	v_add_co_ci_u32_e64 v22, null, s23, v95, vcc_lo
	v_mov_b32_e32 v3, -1
	s_mov_b32 s21, exec_lo
	v_cmpx_gt_u32_e64 s43, v66
	s_cbranch_execz .LBB1767_568
; %bb.567:                              ;   in Loop: Header=BB1767_563 Depth=2
	global_load_ushort v3, v[21:22], off
.LBB1767_568:                           ;   in Loop: Header=BB1767_563 Depth=2
	s_or_b32 exec_lo, exec_lo, s21
	s_mov_b32 s21, exec_lo
	v_cmpx_gt_u32_e64 s43, v70
	s_cbranch_execz .LBB1767_570
; %bb.569:                              ;   in Loop: Header=BB1767_563 Depth=2
	global_load_ushort v28, v[21:22], off offset:64
.LBB1767_570:                           ;   in Loop: Header=BB1767_563 Depth=2
	s_or_b32 exec_lo, exec_lo, s21
	s_waitcnt vmcnt(3)
	v_mov_b32_e32 v26, -1
	v_mov_b32_e32 v27, -1
	s_mov_b32 s21, exec_lo
	v_cmpx_gt_u32_e64 s43, v71
	s_cbranch_execz .LBB1767_572
; %bb.571:                              ;   in Loop: Header=BB1767_563 Depth=2
	global_load_ushort v27, v[21:22], off offset:128
.LBB1767_572:                           ;   in Loop: Header=BB1767_563 Depth=2
	s_or_b32 exec_lo, exec_lo, s21
	s_mov_b32 s21, exec_lo
	v_cmpx_gt_u32_e64 s43, v72
	s_cbranch_execz .LBB1767_574
; %bb.573:                              ;   in Loop: Header=BB1767_563 Depth=2
	global_load_ushort v26, v[21:22], off offset:192
.LBB1767_574:                           ;   in Loop: Header=BB1767_563 Depth=2
	s_or_b32 exec_lo, exec_lo, s21
	s_waitcnt vmcnt(1)
	v_mov_b32_e32 v24, -1
	v_mov_b32_e32 v25, -1
	s_mov_b32 s21, exec_lo
	v_cmpx_gt_u32_e64 s43, v73
	s_cbranch_execz .LBB1767_576
; %bb.575:                              ;   in Loop: Header=BB1767_563 Depth=2
	global_load_ushort v25, v[21:22], off offset:256
.LBB1767_576:                           ;   in Loop: Header=BB1767_563 Depth=2
	s_or_b32 exec_lo, exec_lo, s21
	s_mov_b32 s21, exec_lo
	v_cmpx_gt_u32_e64 s43, v74
	s_cbranch_execz .LBB1767_578
; %bb.577:                              ;   in Loop: Header=BB1767_563 Depth=2
	global_load_ushort v24, v[21:22], off offset:320
.LBB1767_578:                           ;   in Loop: Header=BB1767_563 Depth=2
	s_or_b32 exec_lo, exec_lo, s21
	s_waitcnt vmcnt(0)
	v_mov_b32_e32 v23, -1
	s_mov_b32 s21, exec_lo
	v_cmpx_gt_u32_e64 s43, v75
	s_cbranch_execz .LBB1767_580
; %bb.579:                              ;   in Loop: Header=BB1767_563 Depth=2
	global_load_ushort v23, v[21:22], off offset:384
.LBB1767_580:                           ;   in Loop: Header=BB1767_563 Depth=2
	s_or_b32 exec_lo, exec_lo, s21
	v_cmp_gt_u32_e64 s21, s43, v76
	s_sub_i32 s22, s52, s34
.LBB1767_581:                           ;   in Loop: Header=BB1767_563 Depth=2
	v_mov_b32_e32 v21, -1
	v_mov_b32_e32 v105, s43
	s_and_saveexec_b32 s23, s21
	s_cbranch_execz .LBB1767_583
; %bb.582:                              ;   in Loop: Header=BB1767_563 Depth=2
	s_lshl_b64 s[24:25], s[34:35], 1
	v_mov_b32_e32 v105, s22
	v_add_co_u32 v21, vcc_lo, v94, s24
	v_add_co_ci_u32_e64 v22, null, s25, v95, vcc_lo
	global_load_ushort v21, v[21:22], off offset:448
.LBB1767_583:                           ;   in Loop: Header=BB1767_563 Depth=2
	s_or_b32 exec_lo, exec_lo, s23
	s_waitcnt vmcnt(6)
	v_cmp_gt_i16_e32 vcc_lo, 0, v3
	ds_write2_b32 v78, v4, v4 offset1:1
	ds_write2_b32 v88, v4, v4 offset1:1
	;; [unrolled: 1-line block ×4, first 2 shown]
	ds_write_b32 v44, v4 offset:1088
	s_waitcnt vmcnt(0) lgkmcnt(0)
	s_barrier
	v_cndmask_b32_e64 v22, 0x7fff, 0, vcc_lo
	buffer_gl0_inv
	; wave barrier
	v_xor_b32_e32 v3, v22, v3
	v_cmp_ne_u16_e32 vcc_lo, 0x8000, v3
	v_cndmask_b32_e32 v22, 0x7fff, v3, vcc_lo
	v_lshrrev_b32_sdwa v22, s49, v22 dst_sel:DWORD dst_unused:UNUSED_PAD src0_sel:DWORD src1_sel:WORD_0
	v_and_b32_e32 v107, s42, v22
	v_and_b32_e32 v22, 1, v107
	v_lshlrev_b32_e32 v106, 30, v107
	v_lshlrev_b32_e32 v108, 29, v107
	;; [unrolled: 1-line block ×4, first 2 shown]
	v_add_co_u32 v22, s21, v22, -1
	v_cndmask_b32_e64 v110, 0, 1, s21
	v_not_b32_e32 v114, v106
	v_cmp_gt_i32_e64 s21, 0, v106
	v_not_b32_e32 v106, v108
	v_lshlrev_b32_e32 v112, 26, v107
	v_cmp_ne_u32_e32 vcc_lo, 0, v110
	v_ashrrev_i32_e32 v114, 31, v114
	v_lshlrev_b32_e32 v113, 25, v107
	v_ashrrev_i32_e32 v106, 31, v106
	v_lshlrev_b32_e32 v110, 24, v107
	v_xor_b32_e32 v22, vcc_lo, v22
	v_cmp_gt_i32_e32 vcc_lo, 0, v108
	v_not_b32_e32 v108, v109
	v_xor_b32_e32 v114, s21, v114
	v_cmp_gt_i32_e64 s21, 0, v109
	v_and_b32_e32 v22, exec_lo, v22
	v_not_b32_e32 v109, v111
	v_ashrrev_i32_e32 v108, 31, v108
	v_xor_b32_e32 v106, vcc_lo, v106
	v_cmp_gt_i32_e32 vcc_lo, 0, v111
	v_and_b32_e32 v22, v22, v114
	v_not_b32_e32 v111, v112
	v_ashrrev_i32_e32 v109, 31, v109
	v_xor_b32_e32 v108, s21, v108
	v_cmp_gt_i32_e64 s21, 0, v112
	v_and_b32_e32 v22, v22, v106
	v_not_b32_e32 v106, v113
	v_ashrrev_i32_e32 v111, 31, v111
	v_xor_b32_e32 v109, vcc_lo, v109
	v_cmp_gt_i32_e32 vcc_lo, 0, v113
	v_and_b32_e32 v22, v22, v108
	v_not_b32_e32 v108, v110
	v_ashrrev_i32_e32 v106, 31, v106
	v_xor_b32_e32 v111, s21, v111
	v_cmp_gt_i32_e64 s21, 0, v110
	v_and_b32_e32 v22, v22, v109
	v_ashrrev_i32_e32 v108, 31, v108
	v_xor_b32_e32 v106, vcc_lo, v106
	v_mul_u32_u24_e32 v107, 36, v107
	v_and_b32_e32 v22, v22, v111
	v_xor_b32_e32 v108, s21, v108
	v_and_b32_e32 v22, v22, v106
	v_and_b32_e32 v22, v22, v108
	v_add_nc_u32_e32 v108, v96, v107
	v_mbcnt_lo_u32_b32 v106, v22, 0
	v_cmp_ne_u32_e64 s21, 0, v22
	v_cmp_eq_u32_e32 vcc_lo, 0, v106
	s_and_b32 s22, s21, vcc_lo
	s_and_saveexec_b32 s21, s22
; %bb.584:                              ;   in Loop: Header=BB1767_563 Depth=2
	v_bcnt_u32_b32 v22, v22, 0
	ds_write_b32 v108, v22 offset:1056
; %bb.585:                              ;   in Loop: Header=BB1767_563 Depth=2
	s_or_b32 exec_lo, exec_lo, s21
	v_cmp_gt_i16_e32 vcc_lo, 0, v28
	; wave barrier
	v_cndmask_b32_e64 v22, 0x7fff, 0, vcc_lo
	v_xor_b32_e32 v107, v22, v28
	v_cmp_ne_u16_e32 vcc_lo, 0x8000, v107
	v_cndmask_b32_e32 v22, 0x7fff, v107, vcc_lo
	v_lshrrev_b32_sdwa v22, s49, v22 dst_sel:DWORD dst_unused:UNUSED_PAD src0_sel:DWORD src1_sel:WORD_0
	v_and_b32_e32 v28, s42, v22
	v_and_b32_e32 v22, 1, v28
	v_lshlrev_b32_e32 v109, 30, v28
	v_lshlrev_b32_e32 v110, 29, v28
	;; [unrolled: 1-line block ×4, first 2 shown]
	v_add_co_u32 v22, s21, v22, -1
	v_cndmask_b32_e64 v112, 0, 1, s21
	v_not_b32_e32 v116, v109
	v_cmp_gt_i32_e64 s21, 0, v109
	v_not_b32_e32 v109, v110
	v_lshlrev_b32_e32 v114, 26, v28
	v_cmp_ne_u32_e32 vcc_lo, 0, v112
	v_ashrrev_i32_e32 v116, 31, v116
	v_lshlrev_b32_e32 v115, 25, v28
	v_ashrrev_i32_e32 v109, 31, v109
	v_lshlrev_b32_e32 v112, 24, v28
	v_xor_b32_e32 v22, vcc_lo, v22
	v_cmp_gt_i32_e32 vcc_lo, 0, v110
	v_not_b32_e32 v110, v111
	v_xor_b32_e32 v116, s21, v116
	v_cmp_gt_i32_e64 s21, 0, v111
	v_and_b32_e32 v22, exec_lo, v22
	v_not_b32_e32 v111, v113
	v_ashrrev_i32_e32 v110, 31, v110
	v_xor_b32_e32 v109, vcc_lo, v109
	v_cmp_gt_i32_e32 vcc_lo, 0, v113
	v_and_b32_e32 v22, v22, v116
	v_not_b32_e32 v113, v114
	v_ashrrev_i32_e32 v111, 31, v111
	v_xor_b32_e32 v110, s21, v110
	v_cmp_gt_i32_e64 s21, 0, v114
	v_and_b32_e32 v22, v22, v109
	v_not_b32_e32 v109, v115
	v_ashrrev_i32_e32 v113, 31, v113
	v_xor_b32_e32 v111, vcc_lo, v111
	v_cmp_gt_i32_e32 vcc_lo, 0, v115
	v_and_b32_e32 v22, v22, v110
	v_not_b32_e32 v110, v112
	v_ashrrev_i32_e32 v109, 31, v109
	v_xor_b32_e32 v113, s21, v113
	v_cmp_gt_i32_e64 s21, 0, v112
	v_and_b32_e32 v22, v22, v111
	v_ashrrev_i32_e32 v110, 31, v110
	v_xor_b32_e32 v109, vcc_lo, v109
	v_mad_u32_u24 v111, v28, 36, v96
	v_mul_u32_u24_e32 v28, 36, v28
	v_and_b32_e32 v22, v22, v113
	v_xor_b32_e32 v110, s21, v110
	v_add_nc_u32_e32 v112, v96, v28
	v_and_b32_e32 v22, v22, v109
	ds_read_b32 v109, v111 offset:1056
	; wave barrier
	v_and_b32_e32 v22, v22, v110
	v_mbcnt_lo_u32_b32 v110, v22, 0
	v_cmp_ne_u32_e64 s21, 0, v22
	v_cmp_eq_u32_e32 vcc_lo, 0, v110
	s_and_b32 s22, s21, vcc_lo
	s_and_saveexec_b32 s21, s22
	s_cbranch_execz .LBB1767_587
; %bb.586:                              ;   in Loop: Header=BB1767_563 Depth=2
	s_waitcnt lgkmcnt(0)
	v_bcnt_u32_b32 v22, v22, v109
	ds_write_b32 v112, v22 offset:1056
.LBB1767_587:                           ;   in Loop: Header=BB1767_563 Depth=2
	s_or_b32 exec_lo, exec_lo, s21
	v_cmp_gt_i16_e32 vcc_lo, 0, v27
	; wave barrier
	v_cndmask_b32_e64 v22, 0x7fff, 0, vcc_lo
	v_xor_b32_e32 v111, v22, v27
	v_cmp_ne_u16_e32 vcc_lo, 0x8000, v111
	v_cndmask_b32_e32 v22, 0x7fff, v111, vcc_lo
	v_lshrrev_b32_sdwa v22, s49, v22 dst_sel:DWORD dst_unused:UNUSED_PAD src0_sel:DWORD src1_sel:WORD_0
	v_and_b32_e32 v27, s42, v22
	v_and_b32_e32 v22, 1, v27
	v_lshlrev_b32_e32 v28, 30, v27
	v_lshlrev_b32_e32 v113, 29, v27
	;; [unrolled: 1-line block ×4, first 2 shown]
	v_add_co_u32 v22, s21, v22, -1
	v_cndmask_b32_e64 v115, 0, 1, s21
	v_not_b32_e32 v119, v28
	v_cmp_gt_i32_e64 s21, 0, v28
	v_not_b32_e32 v28, v113
	v_lshlrev_b32_e32 v117, 26, v27
	v_cmp_ne_u32_e32 vcc_lo, 0, v115
	v_ashrrev_i32_e32 v119, 31, v119
	v_lshlrev_b32_e32 v118, 25, v27
	v_ashrrev_i32_e32 v28, 31, v28
	v_lshlrev_b32_e32 v115, 24, v27
	v_xor_b32_e32 v22, vcc_lo, v22
	v_cmp_gt_i32_e32 vcc_lo, 0, v113
	v_not_b32_e32 v113, v114
	v_xor_b32_e32 v119, s21, v119
	v_cmp_gt_i32_e64 s21, 0, v114
	v_and_b32_e32 v22, exec_lo, v22
	v_not_b32_e32 v114, v116
	v_ashrrev_i32_e32 v113, 31, v113
	v_xor_b32_e32 v28, vcc_lo, v28
	v_cmp_gt_i32_e32 vcc_lo, 0, v116
	v_and_b32_e32 v22, v22, v119
	v_not_b32_e32 v116, v117
	v_ashrrev_i32_e32 v114, 31, v114
	v_xor_b32_e32 v113, s21, v113
	v_cmp_gt_i32_e64 s21, 0, v117
	v_and_b32_e32 v22, v22, v28
	v_not_b32_e32 v28, v118
	v_ashrrev_i32_e32 v116, 31, v116
	v_xor_b32_e32 v114, vcc_lo, v114
	v_cmp_gt_i32_e32 vcc_lo, 0, v118
	v_and_b32_e32 v22, v22, v113
	v_not_b32_e32 v113, v115
	v_ashrrev_i32_e32 v28, 31, v28
	v_xor_b32_e32 v116, s21, v116
	v_cmp_gt_i32_e64 s21, 0, v115
	v_and_b32_e32 v22, v22, v114
	v_ashrrev_i32_e32 v113, 31, v113
	v_xor_b32_e32 v28, vcc_lo, v28
	v_mad_u32_u24 v114, v27, 36, v96
	v_mul_u32_u24_e32 v27, 36, v27
	v_and_b32_e32 v22, v22, v116
	v_xor_b32_e32 v115, s21, v113
	ds_read_b32 v113, v114 offset:1056
	v_add_nc_u32_e32 v116, v96, v27
	v_and_b32_e32 v22, v22, v28
	; wave barrier
	v_and_b32_e32 v22, v22, v115
	v_mbcnt_lo_u32_b32 v115, v22, 0
	v_cmp_ne_u32_e64 s21, 0, v22
	v_cmp_eq_u32_e32 vcc_lo, 0, v115
	s_and_b32 s22, s21, vcc_lo
	s_and_saveexec_b32 s21, s22
	s_cbranch_execz .LBB1767_589
; %bb.588:                              ;   in Loop: Header=BB1767_563 Depth=2
	s_waitcnt lgkmcnt(0)
	v_bcnt_u32_b32 v22, v22, v113
	ds_write_b32 v116, v22 offset:1056
.LBB1767_589:                           ;   in Loop: Header=BB1767_563 Depth=2
	s_or_b32 exec_lo, exec_lo, s21
	v_cmp_gt_i16_e32 vcc_lo, 0, v26
	; wave barrier
	v_cndmask_b32_e64 v22, 0x7fff, 0, vcc_lo
	v_xor_b32_e32 v114, v22, v26
	v_cmp_ne_u16_e32 vcc_lo, 0x8000, v114
	v_cndmask_b32_e32 v22, 0x7fff, v114, vcc_lo
	v_lshrrev_b32_sdwa v22, s49, v22 dst_sel:DWORD dst_unused:UNUSED_PAD src0_sel:DWORD src1_sel:WORD_0
	v_and_b32_e32 v26, s42, v22
	v_and_b32_e32 v22, 1, v26
	v_lshlrev_b32_e32 v27, 30, v26
	v_lshlrev_b32_e32 v28, 29, v26
	;; [unrolled: 1-line block ×4, first 2 shown]
	v_add_co_u32 v22, s21, v22, -1
	v_cndmask_b32_e64 v118, 0, 1, s21
	v_not_b32_e32 v122, v27
	v_cmp_gt_i32_e64 s21, 0, v27
	v_not_b32_e32 v27, v28
	v_lshlrev_b32_e32 v120, 26, v26
	v_cmp_ne_u32_e32 vcc_lo, 0, v118
	v_ashrrev_i32_e32 v122, 31, v122
	v_lshlrev_b32_e32 v121, 25, v26
	v_ashrrev_i32_e32 v27, 31, v27
	v_lshlrev_b32_e32 v118, 24, v26
	v_xor_b32_e32 v22, vcc_lo, v22
	v_cmp_gt_i32_e32 vcc_lo, 0, v28
	v_not_b32_e32 v28, v117
	v_xor_b32_e32 v122, s21, v122
	v_cmp_gt_i32_e64 s21, 0, v117
	v_and_b32_e32 v22, exec_lo, v22
	v_not_b32_e32 v117, v119
	v_ashrrev_i32_e32 v28, 31, v28
	v_xor_b32_e32 v27, vcc_lo, v27
	v_cmp_gt_i32_e32 vcc_lo, 0, v119
	v_and_b32_e32 v22, v22, v122
	v_not_b32_e32 v119, v120
	v_ashrrev_i32_e32 v117, 31, v117
	v_xor_b32_e32 v28, s21, v28
	v_cmp_gt_i32_e64 s21, 0, v120
	v_and_b32_e32 v22, v22, v27
	v_not_b32_e32 v27, v121
	v_ashrrev_i32_e32 v119, 31, v119
	v_xor_b32_e32 v117, vcc_lo, v117
	v_cmp_gt_i32_e32 vcc_lo, 0, v121
	v_and_b32_e32 v22, v22, v28
	v_not_b32_e32 v28, v118
	v_ashrrev_i32_e32 v27, 31, v27
	v_xor_b32_e32 v119, s21, v119
	v_cmp_gt_i32_e64 s21, 0, v118
	v_and_b32_e32 v22, v22, v117
	v_ashrrev_i32_e32 v28, 31, v28
	v_xor_b32_e32 v27, vcc_lo, v27
	v_mad_u32_u24 v117, v26, 36, v96
	v_mul_u32_u24_e32 v26, 36, v26
	v_and_b32_e32 v22, v22, v119
	v_xor_b32_e32 v28, s21, v28
	ds_read_b32 v117, v117 offset:1056
	v_add_nc_u32_e32 v120, v96, v26
	v_and_b32_e32 v22, v22, v27
	; wave barrier
	v_and_b32_e32 v22, v22, v28
	v_mbcnt_lo_u32_b32 v119, v22, 0
	v_cmp_ne_u32_e64 s21, 0, v22
	v_cmp_eq_u32_e32 vcc_lo, 0, v119
	s_and_b32 s22, s21, vcc_lo
	s_and_saveexec_b32 s21, s22
	s_cbranch_execz .LBB1767_591
; %bb.590:                              ;   in Loop: Header=BB1767_563 Depth=2
	s_waitcnt lgkmcnt(0)
	v_bcnt_u32_b32 v22, v22, v117
	ds_write_b32 v120, v22 offset:1056
.LBB1767_591:                           ;   in Loop: Header=BB1767_563 Depth=2
	s_or_b32 exec_lo, exec_lo, s21
	v_cmp_gt_i16_e32 vcc_lo, 0, v25
	; wave barrier
	v_cndmask_b32_e64 v22, 0x7fff, 0, vcc_lo
	v_xor_b32_e32 v118, v22, v25
	v_cmp_ne_u16_e32 vcc_lo, 0x8000, v118
	v_cndmask_b32_e32 v22, 0x7fff, v118, vcc_lo
	v_lshrrev_b32_sdwa v22, s49, v22 dst_sel:DWORD dst_unused:UNUSED_PAD src0_sel:DWORD src1_sel:WORD_0
	v_and_b32_e32 v25, s42, v22
	v_and_b32_e32 v22, 1, v25
	v_lshlrev_b32_e32 v26, 30, v25
	v_lshlrev_b32_e32 v27, 29, v25
	;; [unrolled: 1-line block ×4, first 2 shown]
	v_add_co_u32 v22, s21, v22, -1
	v_cndmask_b32_e64 v121, 0, 1, s21
	v_not_b32_e32 v125, v26
	v_cmp_gt_i32_e64 s21, 0, v26
	v_not_b32_e32 v26, v27
	v_lshlrev_b32_e32 v123, 26, v25
	v_cmp_ne_u32_e32 vcc_lo, 0, v121
	v_ashrrev_i32_e32 v125, 31, v125
	v_lshlrev_b32_e32 v124, 25, v25
	v_ashrrev_i32_e32 v26, 31, v26
	v_lshlrev_b32_e32 v121, 24, v25
	v_xor_b32_e32 v22, vcc_lo, v22
	v_cmp_gt_i32_e32 vcc_lo, 0, v27
	v_not_b32_e32 v27, v28
	v_xor_b32_e32 v125, s21, v125
	v_cmp_gt_i32_e64 s21, 0, v28
	v_and_b32_e32 v22, exec_lo, v22
	v_not_b32_e32 v28, v122
	v_ashrrev_i32_e32 v27, 31, v27
	v_xor_b32_e32 v26, vcc_lo, v26
	v_cmp_gt_i32_e32 vcc_lo, 0, v122
	v_and_b32_e32 v22, v22, v125
	v_not_b32_e32 v122, v123
	v_ashrrev_i32_e32 v28, 31, v28
	v_xor_b32_e32 v27, s21, v27
	v_cmp_gt_i32_e64 s21, 0, v123
	v_and_b32_e32 v22, v22, v26
	v_not_b32_e32 v26, v124
	v_ashrrev_i32_e32 v122, 31, v122
	v_xor_b32_e32 v28, vcc_lo, v28
	v_cmp_gt_i32_e32 vcc_lo, 0, v124
	v_and_b32_e32 v22, v22, v27
	v_not_b32_e32 v27, v121
	v_ashrrev_i32_e32 v26, 31, v26
	v_xor_b32_e32 v122, s21, v122
	v_cmp_gt_i32_e64 s21, 0, v121
	v_and_b32_e32 v22, v22, v28
	v_ashrrev_i32_e32 v27, 31, v27
	v_xor_b32_e32 v26, vcc_lo, v26
	v_mad_u32_u24 v28, v25, 36, v96
	v_mul_u32_u24_e32 v25, 36, v25
	v_and_b32_e32 v22, v22, v122
	v_xor_b32_e32 v27, s21, v27
	ds_read_b32 v121, v28 offset:1056
	v_add_nc_u32_e32 v124, v96, v25
	v_and_b32_e32 v22, v22, v26
	; wave barrier
	v_and_b32_e32 v22, v22, v27
	v_mbcnt_lo_u32_b32 v123, v22, 0
	v_cmp_ne_u32_e64 s21, 0, v22
	v_cmp_eq_u32_e32 vcc_lo, 0, v123
	s_and_b32 s22, s21, vcc_lo
	s_and_saveexec_b32 s21, s22
	s_cbranch_execz .LBB1767_593
; %bb.592:                              ;   in Loop: Header=BB1767_563 Depth=2
	s_waitcnt lgkmcnt(0)
	v_bcnt_u32_b32 v22, v22, v121
	ds_write_b32 v124, v22 offset:1056
.LBB1767_593:                           ;   in Loop: Header=BB1767_563 Depth=2
	s_or_b32 exec_lo, exec_lo, s21
	v_cmp_gt_i16_e32 vcc_lo, 0, v24
	; wave barrier
	v_cndmask_b32_e64 v22, 0x7fff, 0, vcc_lo
	v_xor_b32_e32 v122, v22, v24
	v_cmp_ne_u16_e32 vcc_lo, 0x8000, v122
	v_cndmask_b32_e32 v22, 0x7fff, v122, vcc_lo
	v_lshrrev_b32_sdwa v22, s49, v22 dst_sel:DWORD dst_unused:UNUSED_PAD src0_sel:DWORD src1_sel:WORD_0
	v_and_b32_e32 v24, s42, v22
	v_and_b32_e32 v22, 1, v24
	v_lshlrev_b32_e32 v25, 30, v24
	v_lshlrev_b32_e32 v26, 29, v24
	;; [unrolled: 1-line block ×4, first 2 shown]
	v_add_co_u32 v22, s21, v22, -1
	v_cndmask_b32_e64 v28, 0, 1, s21
	v_not_b32_e32 v128, v25
	v_cmp_gt_i32_e64 s21, 0, v25
	v_not_b32_e32 v25, v26
	v_lshlrev_b32_e32 v126, 26, v24
	v_cmp_ne_u32_e32 vcc_lo, 0, v28
	v_ashrrev_i32_e32 v128, 31, v128
	v_lshlrev_b32_e32 v127, 25, v24
	v_ashrrev_i32_e32 v25, 31, v25
	v_lshlrev_b32_e32 v28, 24, v24
	v_xor_b32_e32 v22, vcc_lo, v22
	v_cmp_gt_i32_e32 vcc_lo, 0, v26
	v_not_b32_e32 v26, v27
	v_xor_b32_e32 v128, s21, v128
	v_cmp_gt_i32_e64 s21, 0, v27
	v_and_b32_e32 v22, exec_lo, v22
	v_not_b32_e32 v27, v125
	v_ashrrev_i32_e32 v26, 31, v26
	v_xor_b32_e32 v25, vcc_lo, v25
	v_cmp_gt_i32_e32 vcc_lo, 0, v125
	v_and_b32_e32 v22, v22, v128
	v_not_b32_e32 v125, v126
	v_ashrrev_i32_e32 v27, 31, v27
	v_xor_b32_e32 v26, s21, v26
	v_cmp_gt_i32_e64 s21, 0, v126
	v_and_b32_e32 v22, v22, v25
	v_not_b32_e32 v25, v127
	v_ashrrev_i32_e32 v125, 31, v125
	v_xor_b32_e32 v27, vcc_lo, v27
	v_cmp_gt_i32_e32 vcc_lo, 0, v127
	v_and_b32_e32 v22, v22, v26
	v_not_b32_e32 v26, v28
	v_ashrrev_i32_e32 v25, 31, v25
	v_xor_b32_e32 v125, s21, v125
	v_cmp_gt_i32_e64 s21, 0, v28
	v_and_b32_e32 v22, v22, v27
	v_ashrrev_i32_e32 v26, 31, v26
	v_xor_b32_e32 v25, vcc_lo, v25
	v_mad_u32_u24 v27, v24, 36, v96
	v_mul_u32_u24_e32 v24, 36, v24
	v_and_b32_e32 v22, v22, v125
	v_xor_b32_e32 v26, s21, v26
	ds_read_b32 v125, v27 offset:1056
	v_add_nc_u32_e32 v128, v96, v24
	v_and_b32_e32 v22, v22, v25
	; wave barrier
	v_and_b32_e32 v22, v22, v26
	v_mbcnt_lo_u32_b32 v127, v22, 0
	v_cmp_ne_u32_e64 s21, 0, v22
	v_cmp_eq_u32_e32 vcc_lo, 0, v127
	s_and_b32 s22, s21, vcc_lo
	s_and_saveexec_b32 s21, s22
	s_cbranch_execz .LBB1767_595
; %bb.594:                              ;   in Loop: Header=BB1767_563 Depth=2
	s_waitcnt lgkmcnt(0)
	v_bcnt_u32_b32 v22, v22, v125
	ds_write_b32 v128, v22 offset:1056
.LBB1767_595:                           ;   in Loop: Header=BB1767_563 Depth=2
	s_or_b32 exec_lo, exec_lo, s21
	v_cmp_gt_i16_e32 vcc_lo, 0, v23
	; wave barrier
	v_cndmask_b32_e64 v22, 0x7fff, 0, vcc_lo
	v_xor_b32_e32 v126, v22, v23
	v_cmp_ne_u16_e32 vcc_lo, 0x8000, v126
	v_cndmask_b32_e32 v22, 0x7fff, v126, vcc_lo
	v_lshrrev_b32_sdwa v22, s49, v22 dst_sel:DWORD dst_unused:UNUSED_PAD src0_sel:DWORD src1_sel:WORD_0
	v_and_b32_e32 v23, s42, v22
	v_and_b32_e32 v22, 1, v23
	v_lshlrev_b32_e32 v24, 30, v23
	v_lshlrev_b32_e32 v25, 29, v23
	;; [unrolled: 1-line block ×4, first 2 shown]
	v_add_co_u32 v22, s21, v22, -1
	v_cndmask_b32_e64 v27, 0, 1, s21
	v_not_b32_e32 v131, v24
	v_cmp_gt_i32_e64 s21, 0, v24
	v_not_b32_e32 v24, v25
	v_lshlrev_b32_e32 v129, 26, v23
	v_cmp_ne_u32_e32 vcc_lo, 0, v27
	v_ashrrev_i32_e32 v131, 31, v131
	v_lshlrev_b32_e32 v130, 25, v23
	v_ashrrev_i32_e32 v24, 31, v24
	v_lshlrev_b32_e32 v27, 24, v23
	v_xor_b32_e32 v22, vcc_lo, v22
	v_cmp_gt_i32_e32 vcc_lo, 0, v25
	v_not_b32_e32 v25, v26
	v_xor_b32_e32 v131, s21, v131
	v_cmp_gt_i32_e64 s21, 0, v26
	v_and_b32_e32 v22, exec_lo, v22
	v_not_b32_e32 v26, v28
	v_ashrrev_i32_e32 v25, 31, v25
	v_xor_b32_e32 v24, vcc_lo, v24
	v_cmp_gt_i32_e32 vcc_lo, 0, v28
	v_and_b32_e32 v22, v22, v131
	v_not_b32_e32 v28, v129
	v_ashrrev_i32_e32 v26, 31, v26
	v_xor_b32_e32 v25, s21, v25
	v_cmp_gt_i32_e64 s21, 0, v129
	v_and_b32_e32 v22, v22, v24
	v_not_b32_e32 v24, v130
	v_ashrrev_i32_e32 v28, 31, v28
	v_xor_b32_e32 v26, vcc_lo, v26
	v_cmp_gt_i32_e32 vcc_lo, 0, v130
	v_and_b32_e32 v22, v22, v25
	v_not_b32_e32 v25, v27
	v_ashrrev_i32_e32 v24, 31, v24
	v_xor_b32_e32 v28, s21, v28
	v_cmp_gt_i32_e64 s21, 0, v27
	v_and_b32_e32 v22, v22, v26
	v_ashrrev_i32_e32 v25, 31, v25
	v_xor_b32_e32 v24, vcc_lo, v24
	v_mad_u32_u24 v26, v23, 36, v96
	v_mul_u32_u24_e32 v23, 36, v23
	v_and_b32_e32 v22, v22, v28
	v_xor_b32_e32 v25, s21, v25
	ds_read_b32 v129, v26 offset:1056
	v_add_nc_u32_e32 v132, v96, v23
	v_and_b32_e32 v22, v22, v24
	; wave barrier
	v_and_b32_e32 v22, v22, v25
	v_mbcnt_lo_u32_b32 v131, v22, 0
	v_cmp_ne_u32_e64 s21, 0, v22
	v_cmp_eq_u32_e32 vcc_lo, 0, v131
	s_and_b32 s22, s21, vcc_lo
	s_and_saveexec_b32 s21, s22
	s_cbranch_execz .LBB1767_597
; %bb.596:                              ;   in Loop: Header=BB1767_563 Depth=2
	s_waitcnt lgkmcnt(0)
	v_bcnt_u32_b32 v22, v22, v129
	ds_write_b32 v132, v22 offset:1056
.LBB1767_597:                           ;   in Loop: Header=BB1767_563 Depth=2
	s_or_b32 exec_lo, exec_lo, s21
	v_cmp_gt_i16_e32 vcc_lo, 0, v21
	; wave barrier
	v_cndmask_b32_e64 v22, 0x7fff, 0, vcc_lo
	v_xor_b32_e32 v130, v22, v21
	v_cmp_ne_u16_e32 vcc_lo, 0x8000, v130
	v_cndmask_b32_e32 v21, 0x7fff, v130, vcc_lo
	v_lshrrev_b32_sdwa v21, s49, v21 dst_sel:DWORD dst_unused:UNUSED_PAD src0_sel:DWORD src1_sel:WORD_0
	v_and_b32_e32 v22, s42, v21
	v_and_b32_e32 v21, 1, v22
	v_lshlrev_b32_e32 v23, 30, v22
	v_lshlrev_b32_e32 v24, 29, v22
	;; [unrolled: 1-line block ×4, first 2 shown]
	v_add_co_u32 v21, s21, v21, -1
	v_cndmask_b32_e64 v26, 0, 1, s21
	v_not_b32_e32 v134, v23
	v_cmp_gt_i32_e64 s21, 0, v23
	v_not_b32_e32 v23, v24
	v_lshlrev_b32_e32 v28, 26, v22
	v_cmp_ne_u32_e32 vcc_lo, 0, v26
	v_ashrrev_i32_e32 v134, 31, v134
	v_lshlrev_b32_e32 v133, 25, v22
	v_ashrrev_i32_e32 v23, 31, v23
	v_lshlrev_b32_e32 v26, 24, v22
	v_xor_b32_e32 v21, vcc_lo, v21
	v_cmp_gt_i32_e32 vcc_lo, 0, v24
	v_not_b32_e32 v24, v25
	v_xor_b32_e32 v134, s21, v134
	v_cmp_gt_i32_e64 s21, 0, v25
	v_and_b32_e32 v21, exec_lo, v21
	v_not_b32_e32 v25, v27
	v_ashrrev_i32_e32 v24, 31, v24
	v_xor_b32_e32 v23, vcc_lo, v23
	v_cmp_gt_i32_e32 vcc_lo, 0, v27
	v_and_b32_e32 v21, v21, v134
	v_not_b32_e32 v27, v28
	v_ashrrev_i32_e32 v25, 31, v25
	v_xor_b32_e32 v24, s21, v24
	v_cmp_gt_i32_e64 s21, 0, v28
	v_and_b32_e32 v21, v21, v23
	v_not_b32_e32 v23, v133
	v_ashrrev_i32_e32 v27, 31, v27
	v_xor_b32_e32 v25, vcc_lo, v25
	v_cmp_gt_i32_e32 vcc_lo, 0, v133
	v_and_b32_e32 v21, v21, v24
	v_not_b32_e32 v24, v26
	v_ashrrev_i32_e32 v23, 31, v23
	v_xor_b32_e32 v27, s21, v27
	v_cmp_gt_i32_e64 s21, 0, v26
	v_and_b32_e32 v21, v21, v25
	v_ashrrev_i32_e32 v24, 31, v24
	v_xor_b32_e32 v23, vcc_lo, v23
	v_mad_u32_u24 v25, v22, 36, v96
	v_mul_u32_u24_e32 v22, 36, v22
	v_and_b32_e32 v21, v21, v27
	v_xor_b32_e32 v24, s21, v24
	ds_read_b32 v133, v25 offset:1056
	v_add_nc_u32_e32 v135, v96, v22
	v_and_b32_e32 v21, v21, v23
	; wave barrier
	v_and_b32_e32 v21, v21, v24
	v_mbcnt_lo_u32_b32 v134, v21, 0
	v_cmp_ne_u32_e64 s21, 0, v21
	v_cmp_eq_u32_e32 vcc_lo, 0, v134
	s_and_b32 s22, s21, vcc_lo
	s_and_saveexec_b32 s21, s22
	s_cbranch_execz .LBB1767_599
; %bb.598:                              ;   in Loop: Header=BB1767_563 Depth=2
	s_waitcnt lgkmcnt(0)
	v_bcnt_u32_b32 v21, v21, v133
	ds_write_b32 v135, v21 offset:1056
.LBB1767_599:                           ;   in Loop: Header=BB1767_563 Depth=2
	s_or_b32 exec_lo, exec_lo, s21
	; wave barrier
	s_waitcnt lgkmcnt(0)
	s_barrier
	buffer_gl0_inv
	ds_read2_b32 v[27:28], v78 offset1:1
	ds_read2_b32 v[25:26], v88 offset1:1
	;; [unrolled: 1-line block ×4, first 2 shown]
	ds_read_b32 v136, v44 offset:1088
	s_waitcnt lgkmcnt(3)
	v_add3_u32 v137, v28, v27, v25
	s_waitcnt lgkmcnt(2)
	v_add3_u32 v137, v137, v26, v23
	;; [unrolled: 2-line block ×4, first 2 shown]
	v_mov_b32_dpp v137, v136 row_shr:1 row_mask:0xf bank_mask:0xf
	v_cndmask_b32_e64 v137, v137, 0, s5
	v_add_nc_u32_e32 v136, v137, v136
	v_mov_b32_dpp v137, v136 row_shr:2 row_mask:0xf bank_mask:0xf
	v_cndmask_b32_e64 v137, 0, v137, s14
	v_add_nc_u32_e32 v136, v136, v137
	;; [unrolled: 3-line block ×4, first 2 shown]
	ds_swizzle_b32 v137, v136 offset:swizzle(BROADCAST,32,15)
	s_waitcnt lgkmcnt(0)
	v_cndmask_b32_e64 v137, v137, 0, s17
	v_add_nc_u32_e32 v136, v136, v137
	s_and_saveexec_b32 s21, s9
; %bb.600:                              ;   in Loop: Header=BB1767_563 Depth=2
	ds_write_b32 v39, v136 offset:1024
; %bb.601:                              ;   in Loop: Header=BB1767_563 Depth=2
	s_or_b32 exec_lo, exec_lo, s21
	s_waitcnt lgkmcnt(0)
	s_barrier
	buffer_gl0_inv
	s_and_saveexec_b32 s21, s10
	s_cbranch_execz .LBB1767_603
; %bb.602:                              ;   in Loop: Header=BB1767_563 Depth=2
	ds_read_b32 v137, v46 offset:1024
	s_waitcnt lgkmcnt(0)
	v_mov_b32_dpp v138, v137 row_shr:1 row_mask:0xf bank_mask:0xf
	v_cndmask_b32_e64 v138, v138, 0, s18
	v_add_nc_u32_e32 v137, v138, v137
	v_mov_b32_dpp v138, v137 row_shr:2 row_mask:0xf bank_mask:0xf
	v_cndmask_b32_e64 v138, 0, v138, s19
	v_add_nc_u32_e32 v137, v137, v138
	;; [unrolled: 3-line block ×3, first 2 shown]
	ds_write_b32 v46, v137 offset:1024
.LBB1767_603:                           ;   in Loop: Header=BB1767_563 Depth=2
	s_or_b32 exec_lo, exec_lo, s21
	v_mov_b32_e32 v137, 0
	s_waitcnt lgkmcnt(0)
	s_barrier
	buffer_gl0_inv
	s_and_saveexec_b32 s21, s11
; %bb.604:                              ;   in Loop: Header=BB1767_563 Depth=2
	ds_read_b32 v137, v39 offset:1020
; %bb.605:                              ;   in Loop: Header=BB1767_563 Depth=2
	s_or_b32 exec_lo, exec_lo, s21
	s_waitcnt lgkmcnt(0)
	v_add_nc_u32_e32 v136, v137, v136
	ds_bpermute_b32 v136, v91, v136
	s_waitcnt lgkmcnt(0)
	v_cndmask_b32_e64 v136, v136, v137, s13
	v_cndmask_b32_e64 v136, v136, 0, s4
	v_add_nc_u32_e32 v27, v136, v27
	v_add_nc_u32_e32 v28, v27, v28
	;; [unrolled: 1-line block ×8, first 2 shown]
	ds_write2_b32 v78, v136, v27 offset1:1
	ds_write2_b32 v88, v28, v25 offset1:1
	;; [unrolled: 1-line block ×4, first 2 shown]
	ds_write_b32 v44, v22 offset:1088
	s_waitcnt lgkmcnt(0)
	s_barrier
	buffer_gl0_inv
	ds_read_b32 v24, v108 offset:1056
	ds_read_b32 v25, v112 offset:1056
	;; [unrolled: 1-line block ×9, first 2 shown]
	v_mov_b32_e32 v23, 0x800
	s_and_saveexec_b32 s21, s12
; %bb.606:                              ;   in Loop: Header=BB1767_563 Depth=2
	ds_read_b32 v23, v44 offset:1092
; %bb.607:                              ;   in Loop: Header=BB1767_563 Depth=2
	s_or_b32 exec_lo, exec_lo, s21
	s_waitcnt lgkmcnt(0)
	s_barrier
	buffer_gl0_inv
	s_and_saveexec_b32 s21, s8
	s_cbranch_execz .LBB1767_609
; %bb.608:                              ;   in Loop: Header=BB1767_563 Depth=2
	ds_read_b32 v112, v29
	s_waitcnt lgkmcnt(0)
	v_sub_nc_u32_e32 v108, v112, v108
	ds_write_b32 v29, v108
.LBB1767_609:                           ;   in Loop: Header=BB1767_563 Depth=2
	s_or_b32 exec_lo, exec_lo, s21
	v_add_nc_u32_e32 v112, v24, v106
	v_add3_u32 v108, v110, v109, v25
	v_add3_u32 v106, v115, v113, v26
	;; [unrolled: 1-line block ×4, first 2 shown]
	v_lshlrev_b32_e32 v109, 1, v112
	v_lshlrev_b32_e32 v110, 1, v108
	v_add3_u32 v27, v131, v129, v22
	v_lshlrev_b32_e32 v22, 1, v106
	v_add3_u32 v28, v134, v133, v21
	ds_write_b16 v109, v3 offset:1024
	ds_write_b16 v110, v107 offset:1024
	v_lshlrev_b32_e32 v3, 1, v26
	v_add3_u32 v24, v127, v125, v116
	ds_write_b16 v22, v111 offset:1024
	v_lshlrev_b32_e32 v21, 1, v25
	v_cmp_lt_u32_e32 vcc_lo, v0, v105
	ds_write_b16 v3, v114 offset:1024
	v_lshlrev_b32_e32 v3, 1, v28
	v_lshlrev_b32_e32 v22, 1, v24
	;; [unrolled: 1-line block ×3, first 2 shown]
	ds_write_b16 v21, v118 offset:1024
	ds_write_b16 v22, v122 offset:1024
	;; [unrolled: 1-line block ×4, first 2 shown]
	s_waitcnt lgkmcnt(0)
	s_barrier
	buffer_gl0_inv
	s_and_saveexec_b32 s22, vcc_lo
	s_cbranch_execnz .LBB1767_646
; %bb.610:                              ;   in Loop: Header=BB1767_563 Depth=2
	s_or_b32 exec_lo, exec_lo, s22
	v_cmp_lt_u32_e64 s21, v30, v105
	s_and_saveexec_b32 s23, s21
	s_cbranch_execnz .LBB1767_647
.LBB1767_611:                           ;   in Loop: Header=BB1767_563 Depth=2
	s_or_b32 exec_lo, exec_lo, s23
	v_cmp_lt_u32_e64 s22, v31, v105
	s_and_saveexec_b32 s24, s22
	s_cbranch_execnz .LBB1767_648
.LBB1767_612:                           ;   in Loop: Header=BB1767_563 Depth=2
	s_or_b32 exec_lo, exec_lo, s24
	v_cmp_lt_u32_e64 s23, v32, v105
	s_and_saveexec_b32 s25, s23
	s_cbranch_execnz .LBB1767_649
.LBB1767_613:                           ;   in Loop: Header=BB1767_563 Depth=2
	s_or_b32 exec_lo, exec_lo, s25
	v_cmp_lt_u32_e64 s24, v35, v105
	s_and_saveexec_b32 s26, s24
	s_cbranch_execnz .LBB1767_650
.LBB1767_614:                           ;   in Loop: Header=BB1767_563 Depth=2
	s_or_b32 exec_lo, exec_lo, s26
	v_cmp_lt_u32_e64 s25, v36, v105
	s_and_saveexec_b32 s27, s25
	s_cbranch_execnz .LBB1767_651
.LBB1767_615:                           ;   in Loop: Header=BB1767_563 Depth=2
	s_or_b32 exec_lo, exec_lo, s27
	v_cmp_lt_u32_e64 s26, v37, v105
	s_and_saveexec_b32 s28, s26
	s_cbranch_execnz .LBB1767_652
.LBB1767_616:                           ;   in Loop: Header=BB1767_563 Depth=2
	s_or_b32 exec_lo, exec_lo, s28
	v_cmp_lt_u32_e64 s27, v38, v105
	s_and_saveexec_b32 s54, s27
	s_cbranch_execz .LBB1767_618
.LBB1767_617:                           ;   in Loop: Header=BB1767_563 Depth=2
	ds_read_u16 v107, v47 offset:4608
	s_waitcnt lgkmcnt(0)
	v_cmp_ne_u16_e64 s28, 0x8000, v107
	v_cndmask_b32_e64 v3, 0x7fff, v107, s28
	v_cmp_gt_i16_e64 s28, 0, v107
	v_lshrrev_b32_sdwa v3, s49, v3 dst_sel:DWORD dst_unused:UNUSED_PAD src0_sel:DWORD src1_sel:WORD_0
	v_cndmask_b32_e64 v109, 0x7fff, 0, s28
	v_and_b32_e32 v3, s42, v3
	v_lshlrev_b32_e32 v3, 2, v3
	ds_read_b32 v3, v3
	s_waitcnt lgkmcnt(0)
	v_add_nc_u32_e32 v3, v3, v38
	v_lshlrev_b64 v[21:22], 1, v[3:4]
	v_xor_b32_e32 v3, v109, v107
	v_add_co_u32 v21, s28, s40, v21
	v_add_co_ci_u32_e64 v22, null, s41, v22, s28
	global_store_short v[21:22], v3, off
.LBB1767_618:                           ;   in Loop: Header=BB1767_563 Depth=2
	s_or_b32 exec_lo, exec_lo, s54
	s_lshl_b64 s[54:55], s[34:35], 3
	v_add_co_u32 v21, s28, v92, s54
	v_add_co_ci_u32_e64 v22, null, s55, v93, s28
	v_cmp_lt_u32_e64 s28, v66, v105
	s_and_saveexec_b32 s34, s28
	s_xor_b32 s28, exec_lo, s34
	s_cbranch_execnz .LBB1767_653
; %bb.619:                              ;   in Loop: Header=BB1767_563 Depth=2
	s_or_b32 exec_lo, exec_lo, s28
	s_mov_b32 s34, exec_lo
	v_cmpx_lt_u32_e64 v70, v105
	s_cbranch_execnz .LBB1767_654
.LBB1767_620:                           ;   in Loop: Header=BB1767_563 Depth=2
	s_or_b32 exec_lo, exec_lo, s34
	s_mov_b32 s34, exec_lo
	v_cmpx_lt_u32_e64 v71, v105
	s_cbranch_execnz .LBB1767_655
.LBB1767_621:                           ;   in Loop: Header=BB1767_563 Depth=2
	s_or_b32 exec_lo, exec_lo, s34
	s_mov_b32 s34, exec_lo
	v_cmpx_lt_u32_e64 v72, v105
	s_cbranch_execnz .LBB1767_656
.LBB1767_622:                           ;   in Loop: Header=BB1767_563 Depth=2
	s_or_b32 exec_lo, exec_lo, s34
	s_mov_b32 s34, exec_lo
	v_cmpx_lt_u32_e64 v73, v105
	s_cbranch_execnz .LBB1767_657
.LBB1767_623:                           ;   in Loop: Header=BB1767_563 Depth=2
	s_or_b32 exec_lo, exec_lo, s34
	s_mov_b32 s34, exec_lo
	v_cmpx_lt_u32_e64 v74, v105
	s_cbranch_execnz .LBB1767_658
.LBB1767_624:                           ;   in Loop: Header=BB1767_563 Depth=2
	s_or_b32 exec_lo, exec_lo, s34
	s_mov_b32 s34, exec_lo
	v_cmpx_lt_u32_e64 v75, v105
	s_cbranch_execnz .LBB1767_659
.LBB1767_625:                           ;   in Loop: Header=BB1767_563 Depth=2
	s_or_b32 exec_lo, exec_lo, s34
	s_mov_b32 s34, exec_lo
	v_cmpx_lt_u32_e64 v76, v105
	s_cbranch_execnz .LBB1767_660
.LBB1767_626:                           ;   in Loop: Header=BB1767_563 Depth=2
	s_or_b32 exec_lo, exec_lo, s34
	s_and_saveexec_b32 s34, vcc_lo
	s_cbranch_execnz .LBB1767_661
.LBB1767_627:                           ;   in Loop: Header=BB1767_563 Depth=2
	s_or_b32 exec_lo, exec_lo, s34
	s_and_saveexec_b32 s34, s21
	s_cbranch_execnz .LBB1767_662
.LBB1767_628:                           ;   in Loop: Header=BB1767_563 Depth=2
	s_or_b32 exec_lo, exec_lo, s34
	s_and_saveexec_b32 s34, s22
	s_cbranch_execnz .LBB1767_663
.LBB1767_629:                           ;   in Loop: Header=BB1767_563 Depth=2
	s_or_b32 exec_lo, exec_lo, s34
	s_and_saveexec_b32 s34, s23
	s_cbranch_execnz .LBB1767_664
.LBB1767_630:                           ;   in Loop: Header=BB1767_563 Depth=2
	s_or_b32 exec_lo, exec_lo, s34
	s_and_saveexec_b32 s34, s24
	s_cbranch_execnz .LBB1767_665
.LBB1767_631:                           ;   in Loop: Header=BB1767_563 Depth=2
	s_or_b32 exec_lo, exec_lo, s34
	s_and_saveexec_b32 s34, s25
	s_cbranch_execnz .LBB1767_666
.LBB1767_632:                           ;   in Loop: Header=BB1767_563 Depth=2
	s_or_b32 exec_lo, exec_lo, s34
	s_and_saveexec_b32 s34, s26
	s_cbranch_execnz .LBB1767_667
.LBB1767_633:                           ;   in Loop: Header=BB1767_563 Depth=2
	s_or_b32 exec_lo, exec_lo, s34
	s_and_saveexec_b32 s34, s27
	s_cbranch_execz .LBB1767_635
.LBB1767_634:                           ;   in Loop: Header=BB1767_563 Depth=2
	ds_read_u16 v3, v47 offset:4608
	s_waitcnt lgkmcnt(0)
	v_cmp_ne_u16_e64 s28, 0x8000, v3
	v_cndmask_b32_e64 v3, 0x7fff, v3, s28
	v_lshrrev_b32_sdwa v3, s49, v3 dst_sel:DWORD dst_unused:UNUSED_PAD src0_sel:DWORD src1_sel:WORD_0
	v_and_b32_e32 v97, s42, v3
.LBB1767_635:                           ;   in Loop: Header=BB1767_563 Depth=2
	s_or_b32 exec_lo, exec_lo, s34
	v_lshlrev_b32_e32 v3, 3, v112
	v_lshlrev_b32_e32 v21, 3, v108
	;; [unrolled: 1-line block ×3, first 2 shown]
	s_waitcnt vmcnt(0)
	s_waitcnt_vscnt null, 0x0
	s_barrier
	buffer_gl0_inv
	ds_write_b64 v3, v[19:20] offset:1024
	ds_write_b64 v21, v[17:18] offset:1024
	v_lshlrev_b32_e32 v3, 3, v26
	v_lshlrev_b32_e32 v21, 3, v25
	ds_write_b64 v22, v[15:16] offset:1024
	v_lshlrev_b32_e32 v22, 3, v24
	v_lshlrev_b32_e32 v24, 3, v27
	ds_write_b64 v3, v[13:14] offset:1024
	v_lshlrev_b32_e32 v3, 3, v28
	ds_write_b64 v21, v[11:12] offset:1024
	ds_write_b64 v22, v[9:10] offset:1024
	;; [unrolled: 1-line block ×3, first 2 shown]
	v_add_nc_u32_e32 v21, v47, v48
	ds_write_b64 v3, v[5:6] offset:1024
	s_waitcnt lgkmcnt(0)
	s_barrier
	buffer_gl0_inv
	s_and_saveexec_b32 s28, vcc_lo
	s_cbranch_execnz .LBB1767_668
; %bb.636:                              ;   in Loop: Header=BB1767_563 Depth=2
	s_or_b32 exec_lo, exec_lo, s28
	s_and_saveexec_b32 s28, s21
	s_cbranch_execnz .LBB1767_669
.LBB1767_637:                           ;   in Loop: Header=BB1767_563 Depth=2
	s_or_b32 exec_lo, exec_lo, s28
	s_and_saveexec_b32 s21, s22
	s_cbranch_execnz .LBB1767_670
.LBB1767_638:                           ;   in Loop: Header=BB1767_563 Depth=2
	s_or_b32 exec_lo, exec_lo, s21
	s_and_saveexec_b32 s21, s23
	s_cbranch_execnz .LBB1767_671
.LBB1767_639:                           ;   in Loop: Header=BB1767_563 Depth=2
	s_or_b32 exec_lo, exec_lo, s21
	s_and_saveexec_b32 s21, s24
	s_cbranch_execnz .LBB1767_672
.LBB1767_640:                           ;   in Loop: Header=BB1767_563 Depth=2
	s_or_b32 exec_lo, exec_lo, s21
	s_and_saveexec_b32 s21, s25
	s_cbranch_execnz .LBB1767_673
.LBB1767_641:                           ;   in Loop: Header=BB1767_563 Depth=2
	s_or_b32 exec_lo, exec_lo, s21
	s_and_saveexec_b32 s21, s26
	s_cbranch_execnz .LBB1767_674
.LBB1767_642:                           ;   in Loop: Header=BB1767_563 Depth=2
	s_or_b32 exec_lo, exec_lo, s21
	s_and_saveexec_b32 s21, s27
	s_cbranch_execz .LBB1767_644
.LBB1767_643:                           ;   in Loop: Header=BB1767_563 Depth=2
	v_lshlrev_b32_e32 v3, 2, v97
	ds_read_b32 v3, v3
	ds_read_b64 v[21:22], v21 offset:15360
	s_waitcnt lgkmcnt(1)
	v_add_nc_u32_e32 v3, v3, v38
	v_lshlrev_b64 v[24:25], 3, v[3:4]
	v_add_co_u32 v24, vcc_lo, s46, v24
	v_add_co_ci_u32_e64 v25, null, s47, v25, vcc_lo
	s_waitcnt lgkmcnt(0)
	global_store_dwordx2 v[24:25], v[21:22], off
.LBB1767_644:                           ;   in Loop: Header=BB1767_563 Depth=2
	s_or_b32 exec_lo, exec_lo, s21
	s_waitcnt_vscnt null, 0x0
	s_barrier
	buffer_gl0_inv
	s_and_saveexec_b32 s21, s8
	s_cbranch_execz .LBB1767_562
; %bb.645:                              ;   in Loop: Header=BB1767_563 Depth=2
	ds_read_b32 v3, v29
	s_waitcnt lgkmcnt(0)
	v_add_nc_u32_e32 v3, v3, v23
	ds_write_b32 v29, v3
	s_branch .LBB1767_562
.LBB1767_646:                           ;   in Loop: Header=BB1767_563 Depth=2
	ds_read_u16 v107, v47 offset:1024
	s_waitcnt lgkmcnt(0)
	v_cmp_ne_u16_e64 s21, 0x8000, v107
	v_cndmask_b32_e64 v3, 0x7fff, v107, s21
	v_cmp_gt_i16_e64 s21, 0, v107
	v_lshrrev_b32_sdwa v3, s49, v3 dst_sel:DWORD dst_unused:UNUSED_PAD src0_sel:DWORD src1_sel:WORD_0
	v_cndmask_b32_e64 v109, 0x7fff, 0, s21
	v_and_b32_e32 v3, s42, v3
	v_lshlrev_b32_e32 v3, 2, v3
	ds_read_b32 v3, v3
	s_waitcnt lgkmcnt(0)
	v_add_nc_u32_e32 v3, v3, v0
	v_lshlrev_b64 v[21:22], 1, v[3:4]
	v_xor_b32_e32 v3, v109, v107
	v_add_co_u32 v21, s21, s40, v21
	v_add_co_ci_u32_e64 v22, null, s41, v22, s21
	global_store_short v[21:22], v3, off
	s_or_b32 exec_lo, exec_lo, s22
	v_cmp_lt_u32_e64 s21, v30, v105
	s_and_saveexec_b32 s23, s21
	s_cbranch_execz .LBB1767_611
.LBB1767_647:                           ;   in Loop: Header=BB1767_563 Depth=2
	ds_read_u16 v107, v47 offset:1536
	s_waitcnt lgkmcnt(0)
	v_cmp_ne_u16_e64 s22, 0x8000, v107
	v_cndmask_b32_e64 v3, 0x7fff, v107, s22
	v_cmp_gt_i16_e64 s22, 0, v107
	v_lshrrev_b32_sdwa v3, s49, v3 dst_sel:DWORD dst_unused:UNUSED_PAD src0_sel:DWORD src1_sel:WORD_0
	v_cndmask_b32_e64 v109, 0x7fff, 0, s22
	v_and_b32_e32 v3, s42, v3
	v_lshlrev_b32_e32 v3, 2, v3
	ds_read_b32 v3, v3
	s_waitcnt lgkmcnt(0)
	v_add_nc_u32_e32 v3, v3, v30
	v_lshlrev_b64 v[21:22], 1, v[3:4]
	v_xor_b32_e32 v3, v109, v107
	v_add_co_u32 v21, s22, s40, v21
	v_add_co_ci_u32_e64 v22, null, s41, v22, s22
	global_store_short v[21:22], v3, off
	s_or_b32 exec_lo, exec_lo, s23
	v_cmp_lt_u32_e64 s22, v31, v105
	s_and_saveexec_b32 s24, s22
	s_cbranch_execz .LBB1767_612
.LBB1767_648:                           ;   in Loop: Header=BB1767_563 Depth=2
	ds_read_u16 v107, v47 offset:2048
	s_waitcnt lgkmcnt(0)
	v_cmp_ne_u16_e64 s23, 0x8000, v107
	v_cndmask_b32_e64 v3, 0x7fff, v107, s23
	v_cmp_gt_i16_e64 s23, 0, v107
	v_lshrrev_b32_sdwa v3, s49, v3 dst_sel:DWORD dst_unused:UNUSED_PAD src0_sel:DWORD src1_sel:WORD_0
	v_cndmask_b32_e64 v109, 0x7fff, 0, s23
	v_and_b32_e32 v3, s42, v3
	v_lshlrev_b32_e32 v3, 2, v3
	ds_read_b32 v3, v3
	s_waitcnt lgkmcnt(0)
	v_add_nc_u32_e32 v3, v3, v31
	v_lshlrev_b64 v[21:22], 1, v[3:4]
	v_xor_b32_e32 v3, v109, v107
	v_add_co_u32 v21, s23, s40, v21
	v_add_co_ci_u32_e64 v22, null, s41, v22, s23
	global_store_short v[21:22], v3, off
	s_or_b32 exec_lo, exec_lo, s24
	v_cmp_lt_u32_e64 s23, v32, v105
	s_and_saveexec_b32 s25, s23
	s_cbranch_execz .LBB1767_613
.LBB1767_649:                           ;   in Loop: Header=BB1767_563 Depth=2
	ds_read_u16 v107, v47 offset:2560
	s_waitcnt lgkmcnt(0)
	v_cmp_ne_u16_e64 s24, 0x8000, v107
	v_cndmask_b32_e64 v3, 0x7fff, v107, s24
	v_cmp_gt_i16_e64 s24, 0, v107
	v_lshrrev_b32_sdwa v3, s49, v3 dst_sel:DWORD dst_unused:UNUSED_PAD src0_sel:DWORD src1_sel:WORD_0
	v_cndmask_b32_e64 v109, 0x7fff, 0, s24
	v_and_b32_e32 v3, s42, v3
	v_lshlrev_b32_e32 v3, 2, v3
	ds_read_b32 v3, v3
	s_waitcnt lgkmcnt(0)
	v_add_nc_u32_e32 v3, v3, v32
	v_lshlrev_b64 v[21:22], 1, v[3:4]
	v_xor_b32_e32 v3, v109, v107
	v_add_co_u32 v21, s24, s40, v21
	v_add_co_ci_u32_e64 v22, null, s41, v22, s24
	global_store_short v[21:22], v3, off
	s_or_b32 exec_lo, exec_lo, s25
	v_cmp_lt_u32_e64 s24, v35, v105
	s_and_saveexec_b32 s26, s24
	s_cbranch_execz .LBB1767_614
.LBB1767_650:                           ;   in Loop: Header=BB1767_563 Depth=2
	ds_read_u16 v107, v47 offset:3072
	s_waitcnt lgkmcnt(0)
	v_cmp_ne_u16_e64 s25, 0x8000, v107
	v_cndmask_b32_e64 v3, 0x7fff, v107, s25
	v_cmp_gt_i16_e64 s25, 0, v107
	v_lshrrev_b32_sdwa v3, s49, v3 dst_sel:DWORD dst_unused:UNUSED_PAD src0_sel:DWORD src1_sel:WORD_0
	v_cndmask_b32_e64 v109, 0x7fff, 0, s25
	v_and_b32_e32 v3, s42, v3
	v_lshlrev_b32_e32 v3, 2, v3
	ds_read_b32 v3, v3
	s_waitcnt lgkmcnt(0)
	v_add_nc_u32_e32 v3, v3, v35
	v_lshlrev_b64 v[21:22], 1, v[3:4]
	v_xor_b32_e32 v3, v109, v107
	v_add_co_u32 v21, s25, s40, v21
	v_add_co_ci_u32_e64 v22, null, s41, v22, s25
	global_store_short v[21:22], v3, off
	s_or_b32 exec_lo, exec_lo, s26
	v_cmp_lt_u32_e64 s25, v36, v105
	s_and_saveexec_b32 s27, s25
	s_cbranch_execz .LBB1767_615
.LBB1767_651:                           ;   in Loop: Header=BB1767_563 Depth=2
	ds_read_u16 v107, v47 offset:3584
	s_waitcnt lgkmcnt(0)
	v_cmp_ne_u16_e64 s26, 0x8000, v107
	v_cndmask_b32_e64 v3, 0x7fff, v107, s26
	v_cmp_gt_i16_e64 s26, 0, v107
	v_lshrrev_b32_sdwa v3, s49, v3 dst_sel:DWORD dst_unused:UNUSED_PAD src0_sel:DWORD src1_sel:WORD_0
	v_cndmask_b32_e64 v109, 0x7fff, 0, s26
	v_and_b32_e32 v3, s42, v3
	v_lshlrev_b32_e32 v3, 2, v3
	ds_read_b32 v3, v3
	s_waitcnt lgkmcnt(0)
	v_add_nc_u32_e32 v3, v3, v36
	v_lshlrev_b64 v[21:22], 1, v[3:4]
	v_xor_b32_e32 v3, v109, v107
	v_add_co_u32 v21, s26, s40, v21
	v_add_co_ci_u32_e64 v22, null, s41, v22, s26
	global_store_short v[21:22], v3, off
	s_or_b32 exec_lo, exec_lo, s27
	v_cmp_lt_u32_e64 s26, v37, v105
	s_and_saveexec_b32 s28, s26
	s_cbranch_execz .LBB1767_616
.LBB1767_652:                           ;   in Loop: Header=BB1767_563 Depth=2
	ds_read_u16 v107, v47 offset:4096
	s_waitcnt lgkmcnt(0)
	v_cmp_ne_u16_e64 s27, 0x8000, v107
	v_cndmask_b32_e64 v3, 0x7fff, v107, s27
	v_cmp_gt_i16_e64 s27, 0, v107
	v_lshrrev_b32_sdwa v3, s49, v3 dst_sel:DWORD dst_unused:UNUSED_PAD src0_sel:DWORD src1_sel:WORD_0
	v_cndmask_b32_e64 v109, 0x7fff, 0, s27
	v_and_b32_e32 v3, s42, v3
	v_lshlrev_b32_e32 v3, 2, v3
	ds_read_b32 v3, v3
	s_waitcnt lgkmcnt(0)
	v_add_nc_u32_e32 v3, v3, v37
	v_lshlrev_b64 v[21:22], 1, v[3:4]
	v_xor_b32_e32 v3, v109, v107
	v_add_co_u32 v21, s27, s40, v21
	v_add_co_ci_u32_e64 v22, null, s41, v22, s27
	global_store_short v[21:22], v3, off
	s_or_b32 exec_lo, exec_lo, s28
	v_cmp_lt_u32_e64 s27, v38, v105
	s_and_saveexec_b32 s54, s27
	s_cbranch_execnz .LBB1767_617
	s_branch .LBB1767_618
.LBB1767_653:                           ;   in Loop: Header=BB1767_563 Depth=2
	global_load_dwordx2 v[19:20], v[21:22], off
	s_or_b32 exec_lo, exec_lo, s28
	s_mov_b32 s34, exec_lo
	v_cmpx_lt_u32_e64 v70, v105
	s_cbranch_execz .LBB1767_620
.LBB1767_654:                           ;   in Loop: Header=BB1767_563 Depth=2
	global_load_dwordx2 v[17:18], v[21:22], off offset:256
	s_or_b32 exec_lo, exec_lo, s34
	s_mov_b32 s34, exec_lo
	v_cmpx_lt_u32_e64 v71, v105
	s_cbranch_execz .LBB1767_621
.LBB1767_655:                           ;   in Loop: Header=BB1767_563 Depth=2
	global_load_dwordx2 v[15:16], v[21:22], off offset:512
	s_or_b32 exec_lo, exec_lo, s34
	s_mov_b32 s34, exec_lo
	v_cmpx_lt_u32_e64 v72, v105
	s_cbranch_execz .LBB1767_622
.LBB1767_656:                           ;   in Loop: Header=BB1767_563 Depth=2
	global_load_dwordx2 v[13:14], v[21:22], off offset:768
	s_or_b32 exec_lo, exec_lo, s34
	s_mov_b32 s34, exec_lo
	v_cmpx_lt_u32_e64 v73, v105
	s_cbranch_execz .LBB1767_623
.LBB1767_657:                           ;   in Loop: Header=BB1767_563 Depth=2
	global_load_dwordx2 v[11:12], v[21:22], off offset:1024
	s_or_b32 exec_lo, exec_lo, s34
	s_mov_b32 s34, exec_lo
	v_cmpx_lt_u32_e64 v74, v105
	s_cbranch_execz .LBB1767_624
.LBB1767_658:                           ;   in Loop: Header=BB1767_563 Depth=2
	global_load_dwordx2 v[9:10], v[21:22], off offset:1280
	s_or_b32 exec_lo, exec_lo, s34
	s_mov_b32 s34, exec_lo
	v_cmpx_lt_u32_e64 v75, v105
	s_cbranch_execz .LBB1767_625
.LBB1767_659:                           ;   in Loop: Header=BB1767_563 Depth=2
	global_load_dwordx2 v[7:8], v[21:22], off offset:1536
	s_or_b32 exec_lo, exec_lo, s34
	s_mov_b32 s34, exec_lo
	v_cmpx_lt_u32_e64 v76, v105
	s_cbranch_execz .LBB1767_626
.LBB1767_660:                           ;   in Loop: Header=BB1767_563 Depth=2
	global_load_dwordx2 v[5:6], v[21:22], off offset:1792
	s_or_b32 exec_lo, exec_lo, s34
	s_and_saveexec_b32 s34, vcc_lo
	s_cbranch_execz .LBB1767_627
.LBB1767_661:                           ;   in Loop: Header=BB1767_563 Depth=2
	ds_read_u16 v3, v47 offset:1024
	s_waitcnt lgkmcnt(0)
	v_cmp_ne_u16_e64 s28, 0x8000, v3
	v_cndmask_b32_e64 v3, 0x7fff, v3, s28
	v_lshrrev_b32_sdwa v3, s49, v3 dst_sel:DWORD dst_unused:UNUSED_PAD src0_sel:DWORD src1_sel:WORD_0
	v_and_b32_e32 v104, s42, v3
	s_or_b32 exec_lo, exec_lo, s34
	s_and_saveexec_b32 s34, s21
	s_cbranch_execz .LBB1767_628
.LBB1767_662:                           ;   in Loop: Header=BB1767_563 Depth=2
	ds_read_u16 v3, v47 offset:1536
	s_waitcnt lgkmcnt(0)
	v_cmp_ne_u16_e64 s28, 0x8000, v3
	v_cndmask_b32_e64 v3, 0x7fff, v3, s28
	v_lshrrev_b32_sdwa v3, s49, v3 dst_sel:DWORD dst_unused:UNUSED_PAD src0_sel:DWORD src1_sel:WORD_0
	v_and_b32_e32 v103, s42, v3
	s_or_b32 exec_lo, exec_lo, s34
	s_and_saveexec_b32 s34, s22
	s_cbranch_execz .LBB1767_629
.LBB1767_663:                           ;   in Loop: Header=BB1767_563 Depth=2
	ds_read_u16 v3, v47 offset:2048
	s_waitcnt lgkmcnt(0)
	v_cmp_ne_u16_e64 s28, 0x8000, v3
	v_cndmask_b32_e64 v3, 0x7fff, v3, s28
	v_lshrrev_b32_sdwa v3, s49, v3 dst_sel:DWORD dst_unused:UNUSED_PAD src0_sel:DWORD src1_sel:WORD_0
	v_and_b32_e32 v102, s42, v3
	s_or_b32 exec_lo, exec_lo, s34
	s_and_saveexec_b32 s34, s23
	s_cbranch_execz .LBB1767_630
.LBB1767_664:                           ;   in Loop: Header=BB1767_563 Depth=2
	ds_read_u16 v3, v47 offset:2560
	s_waitcnt lgkmcnt(0)
	v_cmp_ne_u16_e64 s28, 0x8000, v3
	v_cndmask_b32_e64 v3, 0x7fff, v3, s28
	v_lshrrev_b32_sdwa v3, s49, v3 dst_sel:DWORD dst_unused:UNUSED_PAD src0_sel:DWORD src1_sel:WORD_0
	v_and_b32_e32 v101, s42, v3
	s_or_b32 exec_lo, exec_lo, s34
	s_and_saveexec_b32 s34, s24
	s_cbranch_execz .LBB1767_631
.LBB1767_665:                           ;   in Loop: Header=BB1767_563 Depth=2
	ds_read_u16 v3, v47 offset:3072
	s_waitcnt lgkmcnt(0)
	v_cmp_ne_u16_e64 s28, 0x8000, v3
	v_cndmask_b32_e64 v3, 0x7fff, v3, s28
	v_lshrrev_b32_sdwa v3, s49, v3 dst_sel:DWORD dst_unused:UNUSED_PAD src0_sel:DWORD src1_sel:WORD_0
	v_and_b32_e32 v100, s42, v3
	s_or_b32 exec_lo, exec_lo, s34
	s_and_saveexec_b32 s34, s25
	s_cbranch_execz .LBB1767_632
.LBB1767_666:                           ;   in Loop: Header=BB1767_563 Depth=2
	ds_read_u16 v3, v47 offset:3584
	s_waitcnt lgkmcnt(0)
	v_cmp_ne_u16_e64 s28, 0x8000, v3
	v_cndmask_b32_e64 v3, 0x7fff, v3, s28
	v_lshrrev_b32_sdwa v3, s49, v3 dst_sel:DWORD dst_unused:UNUSED_PAD src0_sel:DWORD src1_sel:WORD_0
	v_and_b32_e32 v99, s42, v3
	s_or_b32 exec_lo, exec_lo, s34
	s_and_saveexec_b32 s34, s26
	s_cbranch_execz .LBB1767_633
.LBB1767_667:                           ;   in Loop: Header=BB1767_563 Depth=2
	ds_read_u16 v3, v47 offset:4096
	s_waitcnt lgkmcnt(0)
	v_cmp_ne_u16_e64 s28, 0x8000, v3
	v_cndmask_b32_e64 v3, 0x7fff, v3, s28
	v_lshrrev_b32_sdwa v3, s49, v3 dst_sel:DWORD dst_unused:UNUSED_PAD src0_sel:DWORD src1_sel:WORD_0
	v_and_b32_e32 v98, s42, v3
	s_or_b32 exec_lo, exec_lo, s34
	s_and_saveexec_b32 s34, s27
	s_cbranch_execnz .LBB1767_634
	s_branch .LBB1767_635
.LBB1767_668:                           ;   in Loop: Header=BB1767_563 Depth=2
	v_lshlrev_b32_e32 v3, 2, v104
	ds_read_b32 v3, v3
	ds_read_b64 v[24:25], v21 offset:1024
	s_waitcnt lgkmcnt(1)
	v_add_nc_u32_e32 v3, v3, v0
	v_lshlrev_b64 v[26:27], 3, v[3:4]
	v_add_co_u32 v26, vcc_lo, s46, v26
	v_add_co_ci_u32_e64 v27, null, s47, v27, vcc_lo
	s_waitcnt lgkmcnt(0)
	global_store_dwordx2 v[26:27], v[24:25], off
	s_or_b32 exec_lo, exec_lo, s28
	s_and_saveexec_b32 s28, s21
	s_cbranch_execz .LBB1767_637
.LBB1767_669:                           ;   in Loop: Header=BB1767_563 Depth=2
	v_lshlrev_b32_e32 v3, 2, v103
	ds_read_b32 v3, v3
	ds_read_b64 v[24:25], v21 offset:3072
	s_waitcnt lgkmcnt(1)
	v_add_nc_u32_e32 v3, v3, v30
	v_lshlrev_b64 v[26:27], 3, v[3:4]
	v_add_co_u32 v26, vcc_lo, s46, v26
	v_add_co_ci_u32_e64 v27, null, s47, v27, vcc_lo
	s_waitcnt lgkmcnt(0)
	global_store_dwordx2 v[26:27], v[24:25], off
	s_or_b32 exec_lo, exec_lo, s28
	s_and_saveexec_b32 s21, s22
	s_cbranch_execz .LBB1767_638
.LBB1767_670:                           ;   in Loop: Header=BB1767_563 Depth=2
	v_lshlrev_b32_e32 v3, 2, v102
	ds_read_b32 v3, v3
	ds_read_b64 v[24:25], v21 offset:5120
	s_waitcnt lgkmcnt(1)
	v_add_nc_u32_e32 v3, v3, v31
	v_lshlrev_b64 v[26:27], 3, v[3:4]
	v_add_co_u32 v26, vcc_lo, s46, v26
	v_add_co_ci_u32_e64 v27, null, s47, v27, vcc_lo
	s_waitcnt lgkmcnt(0)
	global_store_dwordx2 v[26:27], v[24:25], off
	s_or_b32 exec_lo, exec_lo, s21
	s_and_saveexec_b32 s21, s23
	s_cbranch_execz .LBB1767_639
.LBB1767_671:                           ;   in Loop: Header=BB1767_563 Depth=2
	v_lshlrev_b32_e32 v3, 2, v101
	ds_read_b32 v3, v3
	ds_read_b64 v[24:25], v21 offset:7168
	s_waitcnt lgkmcnt(1)
	v_add_nc_u32_e32 v3, v3, v32
	v_lshlrev_b64 v[26:27], 3, v[3:4]
	v_add_co_u32 v26, vcc_lo, s46, v26
	v_add_co_ci_u32_e64 v27, null, s47, v27, vcc_lo
	s_waitcnt lgkmcnt(0)
	global_store_dwordx2 v[26:27], v[24:25], off
	s_or_b32 exec_lo, exec_lo, s21
	s_and_saveexec_b32 s21, s24
	s_cbranch_execz .LBB1767_640
.LBB1767_672:                           ;   in Loop: Header=BB1767_563 Depth=2
	v_lshlrev_b32_e32 v3, 2, v100
	ds_read_b32 v3, v3
	ds_read_b64 v[24:25], v21 offset:9216
	s_waitcnt lgkmcnt(1)
	v_add_nc_u32_e32 v3, v3, v35
	v_lshlrev_b64 v[26:27], 3, v[3:4]
	v_add_co_u32 v26, vcc_lo, s46, v26
	v_add_co_ci_u32_e64 v27, null, s47, v27, vcc_lo
	s_waitcnt lgkmcnt(0)
	global_store_dwordx2 v[26:27], v[24:25], off
	s_or_b32 exec_lo, exec_lo, s21
	s_and_saveexec_b32 s21, s25
	s_cbranch_execz .LBB1767_641
.LBB1767_673:                           ;   in Loop: Header=BB1767_563 Depth=2
	v_lshlrev_b32_e32 v3, 2, v99
	ds_read_b32 v3, v3
	ds_read_b64 v[24:25], v21 offset:11264
	s_waitcnt lgkmcnt(1)
	v_add_nc_u32_e32 v3, v3, v36
	v_lshlrev_b64 v[26:27], 3, v[3:4]
	v_add_co_u32 v26, vcc_lo, s46, v26
	v_add_co_ci_u32_e64 v27, null, s47, v27, vcc_lo
	s_waitcnt lgkmcnt(0)
	global_store_dwordx2 v[26:27], v[24:25], off
	s_or_b32 exec_lo, exec_lo, s21
	s_and_saveexec_b32 s21, s26
	s_cbranch_execz .LBB1767_642
.LBB1767_674:                           ;   in Loop: Header=BB1767_563 Depth=2
	v_lshlrev_b32_e32 v3, 2, v98
	ds_read_b32 v3, v3
	ds_read_b64 v[24:25], v21 offset:13312
	s_waitcnt lgkmcnt(1)
	v_add_nc_u32_e32 v3, v3, v37
	v_lshlrev_b64 v[26:27], 3, v[3:4]
	v_add_co_u32 v26, vcc_lo, s46, v26
	v_add_co_ci_u32_e64 v27, null, s47, v27, vcc_lo
	s_waitcnt lgkmcnt(0)
	global_store_dwordx2 v[26:27], v[24:25], off
	s_or_b32 exec_lo, exec_lo, s21
	s_and_saveexec_b32 s21, s27
	s_cbranch_execnz .LBB1767_643
	s_branch .LBB1767_644
.LBB1767_675:
	s_endpgm
	.section	.rodata,"a",@progbits
	.p2align	6, 0x0
	.amdhsa_kernel _ZN7rocprim17ROCPRIM_400000_NS6detail17trampoline_kernelINS0_14default_configENS1_36segmented_radix_sort_config_selectorI6__halflEEZNS1_25segmented_radix_sort_implIS3_Lb1EPKS5_PS5_PKlPlN2at6native12_GLOBAL__N_18offset_tEEE10hipError_tPvRmT1_PNSt15iterator_traitsISL_E10value_typeET2_T3_PNSM_ISR_E10value_typeET4_jRbjT5_SX_jjP12ihipStream_tbEUlT_E2_NS1_11comp_targetILNS1_3genE8ELNS1_11target_archE1030ELNS1_3gpuE2ELNS1_3repE0EEENS1_30default_config_static_selectorELNS0_4arch9wavefront6targetE0EEEvSL_
		.amdhsa_group_segment_fixed_size 17440
		.amdhsa_private_segment_fixed_size 0
		.amdhsa_kernarg_size 336
		.amdhsa_user_sgpr_count 6
		.amdhsa_user_sgpr_private_segment_buffer 1
		.amdhsa_user_sgpr_dispatch_ptr 0
		.amdhsa_user_sgpr_queue_ptr 0
		.amdhsa_user_sgpr_kernarg_segment_ptr 1
		.amdhsa_user_sgpr_dispatch_id 0
		.amdhsa_user_sgpr_flat_scratch_init 0
		.amdhsa_user_sgpr_private_segment_size 0
		.amdhsa_wavefront_size32 1
		.amdhsa_uses_dynamic_stack 0
		.amdhsa_system_sgpr_private_segment_wavefront_offset 0
		.amdhsa_system_sgpr_workgroup_id_x 1
		.amdhsa_system_sgpr_workgroup_id_y 1
		.amdhsa_system_sgpr_workgroup_id_z 0
		.amdhsa_system_sgpr_workgroup_info 0
		.amdhsa_system_vgpr_workitem_id 2
		.amdhsa_next_free_vgpr 184
		.amdhsa_next_free_sgpr 56
		.amdhsa_reserve_vcc 1
		.amdhsa_reserve_flat_scratch 0
		.amdhsa_float_round_mode_32 0
		.amdhsa_float_round_mode_16_64 0
		.amdhsa_float_denorm_mode_32 3
		.amdhsa_float_denorm_mode_16_64 3
		.amdhsa_dx10_clamp 1
		.amdhsa_ieee_mode 1
		.amdhsa_fp16_overflow 0
		.amdhsa_workgroup_processor_mode 1
		.amdhsa_memory_ordered 1
		.amdhsa_forward_progress 1
		.amdhsa_shared_vgpr_count 0
		.amdhsa_exception_fp_ieee_invalid_op 0
		.amdhsa_exception_fp_denorm_src 0
		.amdhsa_exception_fp_ieee_div_zero 0
		.amdhsa_exception_fp_ieee_overflow 0
		.amdhsa_exception_fp_ieee_underflow 0
		.amdhsa_exception_fp_ieee_inexact 0
		.amdhsa_exception_int_div_zero 0
	.end_amdhsa_kernel
	.section	.text._ZN7rocprim17ROCPRIM_400000_NS6detail17trampoline_kernelINS0_14default_configENS1_36segmented_radix_sort_config_selectorI6__halflEEZNS1_25segmented_radix_sort_implIS3_Lb1EPKS5_PS5_PKlPlN2at6native12_GLOBAL__N_18offset_tEEE10hipError_tPvRmT1_PNSt15iterator_traitsISL_E10value_typeET2_T3_PNSM_ISR_E10value_typeET4_jRbjT5_SX_jjP12ihipStream_tbEUlT_E2_NS1_11comp_targetILNS1_3genE8ELNS1_11target_archE1030ELNS1_3gpuE2ELNS1_3repE0EEENS1_30default_config_static_selectorELNS0_4arch9wavefront6targetE0EEEvSL_,"axG",@progbits,_ZN7rocprim17ROCPRIM_400000_NS6detail17trampoline_kernelINS0_14default_configENS1_36segmented_radix_sort_config_selectorI6__halflEEZNS1_25segmented_radix_sort_implIS3_Lb1EPKS5_PS5_PKlPlN2at6native12_GLOBAL__N_18offset_tEEE10hipError_tPvRmT1_PNSt15iterator_traitsISL_E10value_typeET2_T3_PNSM_ISR_E10value_typeET4_jRbjT5_SX_jjP12ihipStream_tbEUlT_E2_NS1_11comp_targetILNS1_3genE8ELNS1_11target_archE1030ELNS1_3gpuE2ELNS1_3repE0EEENS1_30default_config_static_selectorELNS0_4arch9wavefront6targetE0EEEvSL_,comdat
.Lfunc_end1767:
	.size	_ZN7rocprim17ROCPRIM_400000_NS6detail17trampoline_kernelINS0_14default_configENS1_36segmented_radix_sort_config_selectorI6__halflEEZNS1_25segmented_radix_sort_implIS3_Lb1EPKS5_PS5_PKlPlN2at6native12_GLOBAL__N_18offset_tEEE10hipError_tPvRmT1_PNSt15iterator_traitsISL_E10value_typeET2_T3_PNSM_ISR_E10value_typeET4_jRbjT5_SX_jjP12ihipStream_tbEUlT_E2_NS1_11comp_targetILNS1_3genE8ELNS1_11target_archE1030ELNS1_3gpuE2ELNS1_3repE0EEENS1_30default_config_static_selectorELNS0_4arch9wavefront6targetE0EEEvSL_, .Lfunc_end1767-_ZN7rocprim17ROCPRIM_400000_NS6detail17trampoline_kernelINS0_14default_configENS1_36segmented_radix_sort_config_selectorI6__halflEEZNS1_25segmented_radix_sort_implIS3_Lb1EPKS5_PS5_PKlPlN2at6native12_GLOBAL__N_18offset_tEEE10hipError_tPvRmT1_PNSt15iterator_traitsISL_E10value_typeET2_T3_PNSM_ISR_E10value_typeET4_jRbjT5_SX_jjP12ihipStream_tbEUlT_E2_NS1_11comp_targetILNS1_3genE8ELNS1_11target_archE1030ELNS1_3gpuE2ELNS1_3repE0EEENS1_30default_config_static_selectorELNS0_4arch9wavefront6targetE0EEEvSL_
                                        ; -- End function
	.set _ZN7rocprim17ROCPRIM_400000_NS6detail17trampoline_kernelINS0_14default_configENS1_36segmented_radix_sort_config_selectorI6__halflEEZNS1_25segmented_radix_sort_implIS3_Lb1EPKS5_PS5_PKlPlN2at6native12_GLOBAL__N_18offset_tEEE10hipError_tPvRmT1_PNSt15iterator_traitsISL_E10value_typeET2_T3_PNSM_ISR_E10value_typeET4_jRbjT5_SX_jjP12ihipStream_tbEUlT_E2_NS1_11comp_targetILNS1_3genE8ELNS1_11target_archE1030ELNS1_3gpuE2ELNS1_3repE0EEENS1_30default_config_static_selectorELNS0_4arch9wavefront6targetE0EEEvSL_.num_vgpr, max(139, .L_ZN7rocprim17ROCPRIM_400000_NS6detail26segmented_warp_sort_helperINS1_20WarpSortHelperConfigILj8ELj4ELj256EEE6__halflLi256ELb1EvE4sortIPKS5_PS5_PKlPlEEvT_SA_T0_T1_SD_T2_bjjjjRNS6_12storage_typeE.num_vgpr, .L_ZN7rocprim17ROCPRIM_400000_NS6detail40segmented_radix_sort_single_block_helperI6__halflLj256ELj8ELb1EE4sortIPKS3_PS3_PKlPlEEbT_T0_T1_T2_jjjjRNS4_12storage_typeE.num_vgpr)
	.set _ZN7rocprim17ROCPRIM_400000_NS6detail17trampoline_kernelINS0_14default_configENS1_36segmented_radix_sort_config_selectorI6__halflEEZNS1_25segmented_radix_sort_implIS3_Lb1EPKS5_PS5_PKlPlN2at6native12_GLOBAL__N_18offset_tEEE10hipError_tPvRmT1_PNSt15iterator_traitsISL_E10value_typeET2_T3_PNSM_ISR_E10value_typeET4_jRbjT5_SX_jjP12ihipStream_tbEUlT_E2_NS1_11comp_targetILNS1_3genE8ELNS1_11target_archE1030ELNS1_3gpuE2ELNS1_3repE0EEENS1_30default_config_static_selectorELNS0_4arch9wavefront6targetE0EEEvSL_.num_agpr, max(0, .L_ZN7rocprim17ROCPRIM_400000_NS6detail26segmented_warp_sort_helperINS1_20WarpSortHelperConfigILj8ELj4ELj256EEE6__halflLi256ELb1EvE4sortIPKS5_PS5_PKlPlEEvT_SA_T0_T1_SD_T2_bjjjjRNS6_12storage_typeE.num_agpr, .L_ZN7rocprim17ROCPRIM_400000_NS6detail40segmented_radix_sort_single_block_helperI6__halflLj256ELj8ELb1EE4sortIPKS3_PS3_PKlPlEEbT_T0_T1_T2_jjjjRNS4_12storage_typeE.num_agpr)
	.set _ZN7rocprim17ROCPRIM_400000_NS6detail17trampoline_kernelINS0_14default_configENS1_36segmented_radix_sort_config_selectorI6__halflEEZNS1_25segmented_radix_sort_implIS3_Lb1EPKS5_PS5_PKlPlN2at6native12_GLOBAL__N_18offset_tEEE10hipError_tPvRmT1_PNSt15iterator_traitsISL_E10value_typeET2_T3_PNSM_ISR_E10value_typeET4_jRbjT5_SX_jjP12ihipStream_tbEUlT_E2_NS1_11comp_targetILNS1_3genE8ELNS1_11target_archE1030ELNS1_3gpuE2ELNS1_3repE0EEENS1_30default_config_static_selectorELNS0_4arch9wavefront6targetE0EEEvSL_.numbered_sgpr, max(56, .L_ZN7rocprim17ROCPRIM_400000_NS6detail26segmented_warp_sort_helperINS1_20WarpSortHelperConfigILj8ELj4ELj256EEE6__halflLi256ELb1EvE4sortIPKS5_PS5_PKlPlEEvT_SA_T0_T1_SD_T2_bjjjjRNS6_12storage_typeE.numbered_sgpr, .L_ZN7rocprim17ROCPRIM_400000_NS6detail40segmented_radix_sort_single_block_helperI6__halflLj256ELj8ELb1EE4sortIPKS3_PS3_PKlPlEEbT_T0_T1_T2_jjjjRNS4_12storage_typeE.numbered_sgpr)
	.set _ZN7rocprim17ROCPRIM_400000_NS6detail17trampoline_kernelINS0_14default_configENS1_36segmented_radix_sort_config_selectorI6__halflEEZNS1_25segmented_radix_sort_implIS3_Lb1EPKS5_PS5_PKlPlN2at6native12_GLOBAL__N_18offset_tEEE10hipError_tPvRmT1_PNSt15iterator_traitsISL_E10value_typeET2_T3_PNSM_ISR_E10value_typeET4_jRbjT5_SX_jjP12ihipStream_tbEUlT_E2_NS1_11comp_targetILNS1_3genE8ELNS1_11target_archE1030ELNS1_3gpuE2ELNS1_3repE0EEENS1_30default_config_static_selectorELNS0_4arch9wavefront6targetE0EEEvSL_.num_named_barrier, max(0, .L_ZN7rocprim17ROCPRIM_400000_NS6detail26segmented_warp_sort_helperINS1_20WarpSortHelperConfigILj8ELj4ELj256EEE6__halflLi256ELb1EvE4sortIPKS5_PS5_PKlPlEEvT_SA_T0_T1_SD_T2_bjjjjRNS6_12storage_typeE.num_named_barrier, .L_ZN7rocprim17ROCPRIM_400000_NS6detail40segmented_radix_sort_single_block_helperI6__halflLj256ELj8ELb1EE4sortIPKS3_PS3_PKlPlEEbT_T0_T1_T2_jjjjRNS4_12storage_typeE.num_named_barrier)
	.set _ZN7rocprim17ROCPRIM_400000_NS6detail17trampoline_kernelINS0_14default_configENS1_36segmented_radix_sort_config_selectorI6__halflEEZNS1_25segmented_radix_sort_implIS3_Lb1EPKS5_PS5_PKlPlN2at6native12_GLOBAL__N_18offset_tEEE10hipError_tPvRmT1_PNSt15iterator_traitsISL_E10value_typeET2_T3_PNSM_ISR_E10value_typeET4_jRbjT5_SX_jjP12ihipStream_tbEUlT_E2_NS1_11comp_targetILNS1_3genE8ELNS1_11target_archE1030ELNS1_3gpuE2ELNS1_3repE0EEENS1_30default_config_static_selectorELNS0_4arch9wavefront6targetE0EEEvSL_.private_seg_size, 0+max(.L_ZN7rocprim17ROCPRIM_400000_NS6detail26segmented_warp_sort_helperINS1_20WarpSortHelperConfigILj8ELj4ELj256EEE6__halflLi256ELb1EvE4sortIPKS5_PS5_PKlPlEEvT_SA_T0_T1_SD_T2_bjjjjRNS6_12storage_typeE.private_seg_size, .L_ZN7rocprim17ROCPRIM_400000_NS6detail40segmented_radix_sort_single_block_helperI6__halflLj256ELj8ELb1EE4sortIPKS3_PS3_PKlPlEEbT_T0_T1_T2_jjjjRNS4_12storage_typeE.private_seg_size)
	.set _ZN7rocprim17ROCPRIM_400000_NS6detail17trampoline_kernelINS0_14default_configENS1_36segmented_radix_sort_config_selectorI6__halflEEZNS1_25segmented_radix_sort_implIS3_Lb1EPKS5_PS5_PKlPlN2at6native12_GLOBAL__N_18offset_tEEE10hipError_tPvRmT1_PNSt15iterator_traitsISL_E10value_typeET2_T3_PNSM_ISR_E10value_typeET4_jRbjT5_SX_jjP12ihipStream_tbEUlT_E2_NS1_11comp_targetILNS1_3genE8ELNS1_11target_archE1030ELNS1_3gpuE2ELNS1_3repE0EEENS1_30default_config_static_selectorELNS0_4arch9wavefront6targetE0EEEvSL_.uses_vcc, or(1, .L_ZN7rocprim17ROCPRIM_400000_NS6detail26segmented_warp_sort_helperINS1_20WarpSortHelperConfigILj8ELj4ELj256EEE6__halflLi256ELb1EvE4sortIPKS5_PS5_PKlPlEEvT_SA_T0_T1_SD_T2_bjjjjRNS6_12storage_typeE.uses_vcc, .L_ZN7rocprim17ROCPRIM_400000_NS6detail40segmented_radix_sort_single_block_helperI6__halflLj256ELj8ELb1EE4sortIPKS3_PS3_PKlPlEEbT_T0_T1_T2_jjjjRNS4_12storage_typeE.uses_vcc)
	.set _ZN7rocprim17ROCPRIM_400000_NS6detail17trampoline_kernelINS0_14default_configENS1_36segmented_radix_sort_config_selectorI6__halflEEZNS1_25segmented_radix_sort_implIS3_Lb1EPKS5_PS5_PKlPlN2at6native12_GLOBAL__N_18offset_tEEE10hipError_tPvRmT1_PNSt15iterator_traitsISL_E10value_typeET2_T3_PNSM_ISR_E10value_typeET4_jRbjT5_SX_jjP12ihipStream_tbEUlT_E2_NS1_11comp_targetILNS1_3genE8ELNS1_11target_archE1030ELNS1_3gpuE2ELNS1_3repE0EEENS1_30default_config_static_selectorELNS0_4arch9wavefront6targetE0EEEvSL_.uses_flat_scratch, or(0, .L_ZN7rocprim17ROCPRIM_400000_NS6detail26segmented_warp_sort_helperINS1_20WarpSortHelperConfigILj8ELj4ELj256EEE6__halflLi256ELb1EvE4sortIPKS5_PS5_PKlPlEEvT_SA_T0_T1_SD_T2_bjjjjRNS6_12storage_typeE.uses_flat_scratch, .L_ZN7rocprim17ROCPRIM_400000_NS6detail40segmented_radix_sort_single_block_helperI6__halflLj256ELj8ELb1EE4sortIPKS3_PS3_PKlPlEEbT_T0_T1_T2_jjjjRNS4_12storage_typeE.uses_flat_scratch)
	.set _ZN7rocprim17ROCPRIM_400000_NS6detail17trampoline_kernelINS0_14default_configENS1_36segmented_radix_sort_config_selectorI6__halflEEZNS1_25segmented_radix_sort_implIS3_Lb1EPKS5_PS5_PKlPlN2at6native12_GLOBAL__N_18offset_tEEE10hipError_tPvRmT1_PNSt15iterator_traitsISL_E10value_typeET2_T3_PNSM_ISR_E10value_typeET4_jRbjT5_SX_jjP12ihipStream_tbEUlT_E2_NS1_11comp_targetILNS1_3genE8ELNS1_11target_archE1030ELNS1_3gpuE2ELNS1_3repE0EEENS1_30default_config_static_selectorELNS0_4arch9wavefront6targetE0EEEvSL_.has_dyn_sized_stack, or(0, .L_ZN7rocprim17ROCPRIM_400000_NS6detail26segmented_warp_sort_helperINS1_20WarpSortHelperConfigILj8ELj4ELj256EEE6__halflLi256ELb1EvE4sortIPKS5_PS5_PKlPlEEvT_SA_T0_T1_SD_T2_bjjjjRNS6_12storage_typeE.has_dyn_sized_stack, .L_ZN7rocprim17ROCPRIM_400000_NS6detail40segmented_radix_sort_single_block_helperI6__halflLj256ELj8ELb1EE4sortIPKS3_PS3_PKlPlEEbT_T0_T1_T2_jjjjRNS4_12storage_typeE.has_dyn_sized_stack)
	.set _ZN7rocprim17ROCPRIM_400000_NS6detail17trampoline_kernelINS0_14default_configENS1_36segmented_radix_sort_config_selectorI6__halflEEZNS1_25segmented_radix_sort_implIS3_Lb1EPKS5_PS5_PKlPlN2at6native12_GLOBAL__N_18offset_tEEE10hipError_tPvRmT1_PNSt15iterator_traitsISL_E10value_typeET2_T3_PNSM_ISR_E10value_typeET4_jRbjT5_SX_jjP12ihipStream_tbEUlT_E2_NS1_11comp_targetILNS1_3genE8ELNS1_11target_archE1030ELNS1_3gpuE2ELNS1_3repE0EEENS1_30default_config_static_selectorELNS0_4arch9wavefront6targetE0EEEvSL_.has_recursion, or(0, .L_ZN7rocprim17ROCPRIM_400000_NS6detail26segmented_warp_sort_helperINS1_20WarpSortHelperConfigILj8ELj4ELj256EEE6__halflLi256ELb1EvE4sortIPKS5_PS5_PKlPlEEvT_SA_T0_T1_SD_T2_bjjjjRNS6_12storage_typeE.has_recursion, .L_ZN7rocprim17ROCPRIM_400000_NS6detail40segmented_radix_sort_single_block_helperI6__halflLj256ELj8ELb1EE4sortIPKS3_PS3_PKlPlEEbT_T0_T1_T2_jjjjRNS4_12storage_typeE.has_recursion)
	.set _ZN7rocprim17ROCPRIM_400000_NS6detail17trampoline_kernelINS0_14default_configENS1_36segmented_radix_sort_config_selectorI6__halflEEZNS1_25segmented_radix_sort_implIS3_Lb1EPKS5_PS5_PKlPlN2at6native12_GLOBAL__N_18offset_tEEE10hipError_tPvRmT1_PNSt15iterator_traitsISL_E10value_typeET2_T3_PNSM_ISR_E10value_typeET4_jRbjT5_SX_jjP12ihipStream_tbEUlT_E2_NS1_11comp_targetILNS1_3genE8ELNS1_11target_archE1030ELNS1_3gpuE2ELNS1_3repE0EEENS1_30default_config_static_selectorELNS0_4arch9wavefront6targetE0EEEvSL_.has_indirect_call, or(0, .L_ZN7rocprim17ROCPRIM_400000_NS6detail26segmented_warp_sort_helperINS1_20WarpSortHelperConfigILj8ELj4ELj256EEE6__halflLi256ELb1EvE4sortIPKS5_PS5_PKlPlEEvT_SA_T0_T1_SD_T2_bjjjjRNS6_12storage_typeE.has_indirect_call, .L_ZN7rocprim17ROCPRIM_400000_NS6detail40segmented_radix_sort_single_block_helperI6__halflLj256ELj8ELb1EE4sortIPKS3_PS3_PKlPlEEbT_T0_T1_T2_jjjjRNS4_12storage_typeE.has_indirect_call)
	.section	.AMDGPU.csdata,"",@progbits
; Kernel info:
; codeLenInByte = 38580
; TotalNumSgprs: 58
; NumVgprs: 184
; ScratchSize: 0
; MemoryBound: 0
; FloatMode: 240
; IeeeMode: 1
; LDSByteSize: 17440 bytes/workgroup (compile time only)
; SGPRBlocks: 0
; VGPRBlocks: 22
; NumSGPRsForWavesPerEU: 58
; NumVGPRsForWavesPerEU: 184
; Occupancy: 5
; WaveLimiterHint : 1
; COMPUTE_PGM_RSRC2:SCRATCH_EN: 0
; COMPUTE_PGM_RSRC2:USER_SGPR: 6
; COMPUTE_PGM_RSRC2:TRAP_HANDLER: 0
; COMPUTE_PGM_RSRC2:TGID_X_EN: 1
; COMPUTE_PGM_RSRC2:TGID_Y_EN: 1
; COMPUTE_PGM_RSRC2:TGID_Z_EN: 0
; COMPUTE_PGM_RSRC2:TIDIG_COMP_CNT: 2
	.section	.text._ZN7rocprim17ROCPRIM_400000_NS6detail17trampoline_kernelINS0_13select_configILj256ELj13ELNS0_17block_load_methodE3ELS4_3ELS4_3ELNS0_20block_scan_algorithmE0ELj4294967295EEENS1_25partition_config_selectorILNS1_17partition_subalgoE4EjNS0_10empty_typeEbEEZZNS1_14partition_implILS8_4ELb0ES6_15HIP_vector_typeIjLj2EENS0_17counting_iteratorIjlEEPS9_SG_NS0_5tupleIJPjSI_NS0_16reverse_iteratorISI_EEEEENSH_IJSG_SG_SG_EEES9_SI_JZNS1_25segmented_radix_sort_implINS0_14default_configELb0EPK6__halfPSP_PKlPlN2at6native12_GLOBAL__N_18offset_tEEE10hipError_tPvRmT1_PNSt15iterator_traitsIS13_E10value_typeET2_T3_PNS14_IS19_E10value_typeET4_jRbjT5_S1F_jjP12ihipStream_tbEUljE_ZNSN_ISO_Lb0ESR_SS_SU_SV_SZ_EES10_S11_S12_S13_S17_S18_S19_S1C_S1D_jS1E_jS1F_S1F_jjS1H_bEUljE0_EEES10_S11_S12_S19_S1D_S1F_T6_T7_T9_mT8_S1H_bDpT10_ENKUlT_T0_E_clISt17integral_constantIbLb0EES1V_EEDaS1Q_S1R_EUlS1Q_E_NS1_11comp_targetILNS1_3genE0ELNS1_11target_archE4294967295ELNS1_3gpuE0ELNS1_3repE0EEENS1_30default_config_static_selectorELNS0_4arch9wavefront6targetE0EEEvS13_,"axG",@progbits,_ZN7rocprim17ROCPRIM_400000_NS6detail17trampoline_kernelINS0_13select_configILj256ELj13ELNS0_17block_load_methodE3ELS4_3ELS4_3ELNS0_20block_scan_algorithmE0ELj4294967295EEENS1_25partition_config_selectorILNS1_17partition_subalgoE4EjNS0_10empty_typeEbEEZZNS1_14partition_implILS8_4ELb0ES6_15HIP_vector_typeIjLj2EENS0_17counting_iteratorIjlEEPS9_SG_NS0_5tupleIJPjSI_NS0_16reverse_iteratorISI_EEEEENSH_IJSG_SG_SG_EEES9_SI_JZNS1_25segmented_radix_sort_implINS0_14default_configELb0EPK6__halfPSP_PKlPlN2at6native12_GLOBAL__N_18offset_tEEE10hipError_tPvRmT1_PNSt15iterator_traitsIS13_E10value_typeET2_T3_PNS14_IS19_E10value_typeET4_jRbjT5_S1F_jjP12ihipStream_tbEUljE_ZNSN_ISO_Lb0ESR_SS_SU_SV_SZ_EES10_S11_S12_S13_S17_S18_S19_S1C_S1D_jS1E_jS1F_S1F_jjS1H_bEUljE0_EEES10_S11_S12_S19_S1D_S1F_T6_T7_T9_mT8_S1H_bDpT10_ENKUlT_T0_E_clISt17integral_constantIbLb0EES1V_EEDaS1Q_S1R_EUlS1Q_E_NS1_11comp_targetILNS1_3genE0ELNS1_11target_archE4294967295ELNS1_3gpuE0ELNS1_3repE0EEENS1_30default_config_static_selectorELNS0_4arch9wavefront6targetE0EEEvS13_,comdat
	.globl	_ZN7rocprim17ROCPRIM_400000_NS6detail17trampoline_kernelINS0_13select_configILj256ELj13ELNS0_17block_load_methodE3ELS4_3ELS4_3ELNS0_20block_scan_algorithmE0ELj4294967295EEENS1_25partition_config_selectorILNS1_17partition_subalgoE4EjNS0_10empty_typeEbEEZZNS1_14partition_implILS8_4ELb0ES6_15HIP_vector_typeIjLj2EENS0_17counting_iteratorIjlEEPS9_SG_NS0_5tupleIJPjSI_NS0_16reverse_iteratorISI_EEEEENSH_IJSG_SG_SG_EEES9_SI_JZNS1_25segmented_radix_sort_implINS0_14default_configELb0EPK6__halfPSP_PKlPlN2at6native12_GLOBAL__N_18offset_tEEE10hipError_tPvRmT1_PNSt15iterator_traitsIS13_E10value_typeET2_T3_PNS14_IS19_E10value_typeET4_jRbjT5_S1F_jjP12ihipStream_tbEUljE_ZNSN_ISO_Lb0ESR_SS_SU_SV_SZ_EES10_S11_S12_S13_S17_S18_S19_S1C_S1D_jS1E_jS1F_S1F_jjS1H_bEUljE0_EEES10_S11_S12_S19_S1D_S1F_T6_T7_T9_mT8_S1H_bDpT10_ENKUlT_T0_E_clISt17integral_constantIbLb0EES1V_EEDaS1Q_S1R_EUlS1Q_E_NS1_11comp_targetILNS1_3genE0ELNS1_11target_archE4294967295ELNS1_3gpuE0ELNS1_3repE0EEENS1_30default_config_static_selectorELNS0_4arch9wavefront6targetE0EEEvS13_ ; -- Begin function _ZN7rocprim17ROCPRIM_400000_NS6detail17trampoline_kernelINS0_13select_configILj256ELj13ELNS0_17block_load_methodE3ELS4_3ELS4_3ELNS0_20block_scan_algorithmE0ELj4294967295EEENS1_25partition_config_selectorILNS1_17partition_subalgoE4EjNS0_10empty_typeEbEEZZNS1_14partition_implILS8_4ELb0ES6_15HIP_vector_typeIjLj2EENS0_17counting_iteratorIjlEEPS9_SG_NS0_5tupleIJPjSI_NS0_16reverse_iteratorISI_EEEEENSH_IJSG_SG_SG_EEES9_SI_JZNS1_25segmented_radix_sort_implINS0_14default_configELb0EPK6__halfPSP_PKlPlN2at6native12_GLOBAL__N_18offset_tEEE10hipError_tPvRmT1_PNSt15iterator_traitsIS13_E10value_typeET2_T3_PNS14_IS19_E10value_typeET4_jRbjT5_S1F_jjP12ihipStream_tbEUljE_ZNSN_ISO_Lb0ESR_SS_SU_SV_SZ_EES10_S11_S12_S13_S17_S18_S19_S1C_S1D_jS1E_jS1F_S1F_jjS1H_bEUljE0_EEES10_S11_S12_S19_S1D_S1F_T6_T7_T9_mT8_S1H_bDpT10_ENKUlT_T0_E_clISt17integral_constantIbLb0EES1V_EEDaS1Q_S1R_EUlS1Q_E_NS1_11comp_targetILNS1_3genE0ELNS1_11target_archE4294967295ELNS1_3gpuE0ELNS1_3repE0EEENS1_30default_config_static_selectorELNS0_4arch9wavefront6targetE0EEEvS13_
	.p2align	8
	.type	_ZN7rocprim17ROCPRIM_400000_NS6detail17trampoline_kernelINS0_13select_configILj256ELj13ELNS0_17block_load_methodE3ELS4_3ELS4_3ELNS0_20block_scan_algorithmE0ELj4294967295EEENS1_25partition_config_selectorILNS1_17partition_subalgoE4EjNS0_10empty_typeEbEEZZNS1_14partition_implILS8_4ELb0ES6_15HIP_vector_typeIjLj2EENS0_17counting_iteratorIjlEEPS9_SG_NS0_5tupleIJPjSI_NS0_16reverse_iteratorISI_EEEEENSH_IJSG_SG_SG_EEES9_SI_JZNS1_25segmented_radix_sort_implINS0_14default_configELb0EPK6__halfPSP_PKlPlN2at6native12_GLOBAL__N_18offset_tEEE10hipError_tPvRmT1_PNSt15iterator_traitsIS13_E10value_typeET2_T3_PNS14_IS19_E10value_typeET4_jRbjT5_S1F_jjP12ihipStream_tbEUljE_ZNSN_ISO_Lb0ESR_SS_SU_SV_SZ_EES10_S11_S12_S13_S17_S18_S19_S1C_S1D_jS1E_jS1F_S1F_jjS1H_bEUljE0_EEES10_S11_S12_S19_S1D_S1F_T6_T7_T9_mT8_S1H_bDpT10_ENKUlT_T0_E_clISt17integral_constantIbLb0EES1V_EEDaS1Q_S1R_EUlS1Q_E_NS1_11comp_targetILNS1_3genE0ELNS1_11target_archE4294967295ELNS1_3gpuE0ELNS1_3repE0EEENS1_30default_config_static_selectorELNS0_4arch9wavefront6targetE0EEEvS13_,@function
_ZN7rocprim17ROCPRIM_400000_NS6detail17trampoline_kernelINS0_13select_configILj256ELj13ELNS0_17block_load_methodE3ELS4_3ELS4_3ELNS0_20block_scan_algorithmE0ELj4294967295EEENS1_25partition_config_selectorILNS1_17partition_subalgoE4EjNS0_10empty_typeEbEEZZNS1_14partition_implILS8_4ELb0ES6_15HIP_vector_typeIjLj2EENS0_17counting_iteratorIjlEEPS9_SG_NS0_5tupleIJPjSI_NS0_16reverse_iteratorISI_EEEEENSH_IJSG_SG_SG_EEES9_SI_JZNS1_25segmented_radix_sort_implINS0_14default_configELb0EPK6__halfPSP_PKlPlN2at6native12_GLOBAL__N_18offset_tEEE10hipError_tPvRmT1_PNSt15iterator_traitsIS13_E10value_typeET2_T3_PNS14_IS19_E10value_typeET4_jRbjT5_S1F_jjP12ihipStream_tbEUljE_ZNSN_ISO_Lb0ESR_SS_SU_SV_SZ_EES10_S11_S12_S13_S17_S18_S19_S1C_S1D_jS1E_jS1F_S1F_jjS1H_bEUljE0_EEES10_S11_S12_S19_S1D_S1F_T6_T7_T9_mT8_S1H_bDpT10_ENKUlT_T0_E_clISt17integral_constantIbLb0EES1V_EEDaS1Q_S1R_EUlS1Q_E_NS1_11comp_targetILNS1_3genE0ELNS1_11target_archE4294967295ELNS1_3gpuE0ELNS1_3repE0EEENS1_30default_config_static_selectorELNS0_4arch9wavefront6targetE0EEEvS13_: ; @_ZN7rocprim17ROCPRIM_400000_NS6detail17trampoline_kernelINS0_13select_configILj256ELj13ELNS0_17block_load_methodE3ELS4_3ELS4_3ELNS0_20block_scan_algorithmE0ELj4294967295EEENS1_25partition_config_selectorILNS1_17partition_subalgoE4EjNS0_10empty_typeEbEEZZNS1_14partition_implILS8_4ELb0ES6_15HIP_vector_typeIjLj2EENS0_17counting_iteratorIjlEEPS9_SG_NS0_5tupleIJPjSI_NS0_16reverse_iteratorISI_EEEEENSH_IJSG_SG_SG_EEES9_SI_JZNS1_25segmented_radix_sort_implINS0_14default_configELb0EPK6__halfPSP_PKlPlN2at6native12_GLOBAL__N_18offset_tEEE10hipError_tPvRmT1_PNSt15iterator_traitsIS13_E10value_typeET2_T3_PNS14_IS19_E10value_typeET4_jRbjT5_S1F_jjP12ihipStream_tbEUljE_ZNSN_ISO_Lb0ESR_SS_SU_SV_SZ_EES10_S11_S12_S13_S17_S18_S19_S1C_S1D_jS1E_jS1F_S1F_jjS1H_bEUljE0_EEES10_S11_S12_S19_S1D_S1F_T6_T7_T9_mT8_S1H_bDpT10_ENKUlT_T0_E_clISt17integral_constantIbLb0EES1V_EEDaS1Q_S1R_EUlS1Q_E_NS1_11comp_targetILNS1_3genE0ELNS1_11target_archE4294967295ELNS1_3gpuE0ELNS1_3repE0EEENS1_30default_config_static_selectorELNS0_4arch9wavefront6targetE0EEEvS13_
; %bb.0:
	.section	.rodata,"a",@progbits
	.p2align	6, 0x0
	.amdhsa_kernel _ZN7rocprim17ROCPRIM_400000_NS6detail17trampoline_kernelINS0_13select_configILj256ELj13ELNS0_17block_load_methodE3ELS4_3ELS4_3ELNS0_20block_scan_algorithmE0ELj4294967295EEENS1_25partition_config_selectorILNS1_17partition_subalgoE4EjNS0_10empty_typeEbEEZZNS1_14partition_implILS8_4ELb0ES6_15HIP_vector_typeIjLj2EENS0_17counting_iteratorIjlEEPS9_SG_NS0_5tupleIJPjSI_NS0_16reverse_iteratorISI_EEEEENSH_IJSG_SG_SG_EEES9_SI_JZNS1_25segmented_radix_sort_implINS0_14default_configELb0EPK6__halfPSP_PKlPlN2at6native12_GLOBAL__N_18offset_tEEE10hipError_tPvRmT1_PNSt15iterator_traitsIS13_E10value_typeET2_T3_PNS14_IS19_E10value_typeET4_jRbjT5_S1F_jjP12ihipStream_tbEUljE_ZNSN_ISO_Lb0ESR_SS_SU_SV_SZ_EES10_S11_S12_S13_S17_S18_S19_S1C_S1D_jS1E_jS1F_S1F_jjS1H_bEUljE0_EEES10_S11_S12_S19_S1D_S1F_T6_T7_T9_mT8_S1H_bDpT10_ENKUlT_T0_E_clISt17integral_constantIbLb0EES1V_EEDaS1Q_S1R_EUlS1Q_E_NS1_11comp_targetILNS1_3genE0ELNS1_11target_archE4294967295ELNS1_3gpuE0ELNS1_3repE0EEENS1_30default_config_static_selectorELNS0_4arch9wavefront6targetE0EEEvS13_
		.amdhsa_group_segment_fixed_size 0
		.amdhsa_private_segment_fixed_size 0
		.amdhsa_kernarg_size 176
		.amdhsa_user_sgpr_count 6
		.amdhsa_user_sgpr_private_segment_buffer 1
		.amdhsa_user_sgpr_dispatch_ptr 0
		.amdhsa_user_sgpr_queue_ptr 0
		.amdhsa_user_sgpr_kernarg_segment_ptr 1
		.amdhsa_user_sgpr_dispatch_id 0
		.amdhsa_user_sgpr_flat_scratch_init 0
		.amdhsa_user_sgpr_private_segment_size 0
		.amdhsa_wavefront_size32 1
		.amdhsa_uses_dynamic_stack 0
		.amdhsa_system_sgpr_private_segment_wavefront_offset 0
		.amdhsa_system_sgpr_workgroup_id_x 1
		.amdhsa_system_sgpr_workgroup_id_y 0
		.amdhsa_system_sgpr_workgroup_id_z 0
		.amdhsa_system_sgpr_workgroup_info 0
		.amdhsa_system_vgpr_workitem_id 0
		.amdhsa_next_free_vgpr 1
		.amdhsa_next_free_sgpr 1
		.amdhsa_reserve_vcc 0
		.amdhsa_reserve_flat_scratch 0
		.amdhsa_float_round_mode_32 0
		.amdhsa_float_round_mode_16_64 0
		.amdhsa_float_denorm_mode_32 3
		.amdhsa_float_denorm_mode_16_64 3
		.amdhsa_dx10_clamp 1
		.amdhsa_ieee_mode 1
		.amdhsa_fp16_overflow 0
		.amdhsa_workgroup_processor_mode 1
		.amdhsa_memory_ordered 1
		.amdhsa_forward_progress 1
		.amdhsa_shared_vgpr_count 0
		.amdhsa_exception_fp_ieee_invalid_op 0
		.amdhsa_exception_fp_denorm_src 0
		.amdhsa_exception_fp_ieee_div_zero 0
		.amdhsa_exception_fp_ieee_overflow 0
		.amdhsa_exception_fp_ieee_underflow 0
		.amdhsa_exception_fp_ieee_inexact 0
		.amdhsa_exception_int_div_zero 0
	.end_amdhsa_kernel
	.section	.text._ZN7rocprim17ROCPRIM_400000_NS6detail17trampoline_kernelINS0_13select_configILj256ELj13ELNS0_17block_load_methodE3ELS4_3ELS4_3ELNS0_20block_scan_algorithmE0ELj4294967295EEENS1_25partition_config_selectorILNS1_17partition_subalgoE4EjNS0_10empty_typeEbEEZZNS1_14partition_implILS8_4ELb0ES6_15HIP_vector_typeIjLj2EENS0_17counting_iteratorIjlEEPS9_SG_NS0_5tupleIJPjSI_NS0_16reverse_iteratorISI_EEEEENSH_IJSG_SG_SG_EEES9_SI_JZNS1_25segmented_radix_sort_implINS0_14default_configELb0EPK6__halfPSP_PKlPlN2at6native12_GLOBAL__N_18offset_tEEE10hipError_tPvRmT1_PNSt15iterator_traitsIS13_E10value_typeET2_T3_PNS14_IS19_E10value_typeET4_jRbjT5_S1F_jjP12ihipStream_tbEUljE_ZNSN_ISO_Lb0ESR_SS_SU_SV_SZ_EES10_S11_S12_S13_S17_S18_S19_S1C_S1D_jS1E_jS1F_S1F_jjS1H_bEUljE0_EEES10_S11_S12_S19_S1D_S1F_T6_T7_T9_mT8_S1H_bDpT10_ENKUlT_T0_E_clISt17integral_constantIbLb0EES1V_EEDaS1Q_S1R_EUlS1Q_E_NS1_11comp_targetILNS1_3genE0ELNS1_11target_archE4294967295ELNS1_3gpuE0ELNS1_3repE0EEENS1_30default_config_static_selectorELNS0_4arch9wavefront6targetE0EEEvS13_,"axG",@progbits,_ZN7rocprim17ROCPRIM_400000_NS6detail17trampoline_kernelINS0_13select_configILj256ELj13ELNS0_17block_load_methodE3ELS4_3ELS4_3ELNS0_20block_scan_algorithmE0ELj4294967295EEENS1_25partition_config_selectorILNS1_17partition_subalgoE4EjNS0_10empty_typeEbEEZZNS1_14partition_implILS8_4ELb0ES6_15HIP_vector_typeIjLj2EENS0_17counting_iteratorIjlEEPS9_SG_NS0_5tupleIJPjSI_NS0_16reverse_iteratorISI_EEEEENSH_IJSG_SG_SG_EEES9_SI_JZNS1_25segmented_radix_sort_implINS0_14default_configELb0EPK6__halfPSP_PKlPlN2at6native12_GLOBAL__N_18offset_tEEE10hipError_tPvRmT1_PNSt15iterator_traitsIS13_E10value_typeET2_T3_PNS14_IS19_E10value_typeET4_jRbjT5_S1F_jjP12ihipStream_tbEUljE_ZNSN_ISO_Lb0ESR_SS_SU_SV_SZ_EES10_S11_S12_S13_S17_S18_S19_S1C_S1D_jS1E_jS1F_S1F_jjS1H_bEUljE0_EEES10_S11_S12_S19_S1D_S1F_T6_T7_T9_mT8_S1H_bDpT10_ENKUlT_T0_E_clISt17integral_constantIbLb0EES1V_EEDaS1Q_S1R_EUlS1Q_E_NS1_11comp_targetILNS1_3genE0ELNS1_11target_archE4294967295ELNS1_3gpuE0ELNS1_3repE0EEENS1_30default_config_static_selectorELNS0_4arch9wavefront6targetE0EEEvS13_,comdat
.Lfunc_end1768:
	.size	_ZN7rocprim17ROCPRIM_400000_NS6detail17trampoline_kernelINS0_13select_configILj256ELj13ELNS0_17block_load_methodE3ELS4_3ELS4_3ELNS0_20block_scan_algorithmE0ELj4294967295EEENS1_25partition_config_selectorILNS1_17partition_subalgoE4EjNS0_10empty_typeEbEEZZNS1_14partition_implILS8_4ELb0ES6_15HIP_vector_typeIjLj2EENS0_17counting_iteratorIjlEEPS9_SG_NS0_5tupleIJPjSI_NS0_16reverse_iteratorISI_EEEEENSH_IJSG_SG_SG_EEES9_SI_JZNS1_25segmented_radix_sort_implINS0_14default_configELb0EPK6__halfPSP_PKlPlN2at6native12_GLOBAL__N_18offset_tEEE10hipError_tPvRmT1_PNSt15iterator_traitsIS13_E10value_typeET2_T3_PNS14_IS19_E10value_typeET4_jRbjT5_S1F_jjP12ihipStream_tbEUljE_ZNSN_ISO_Lb0ESR_SS_SU_SV_SZ_EES10_S11_S12_S13_S17_S18_S19_S1C_S1D_jS1E_jS1F_S1F_jjS1H_bEUljE0_EEES10_S11_S12_S19_S1D_S1F_T6_T7_T9_mT8_S1H_bDpT10_ENKUlT_T0_E_clISt17integral_constantIbLb0EES1V_EEDaS1Q_S1R_EUlS1Q_E_NS1_11comp_targetILNS1_3genE0ELNS1_11target_archE4294967295ELNS1_3gpuE0ELNS1_3repE0EEENS1_30default_config_static_selectorELNS0_4arch9wavefront6targetE0EEEvS13_, .Lfunc_end1768-_ZN7rocprim17ROCPRIM_400000_NS6detail17trampoline_kernelINS0_13select_configILj256ELj13ELNS0_17block_load_methodE3ELS4_3ELS4_3ELNS0_20block_scan_algorithmE0ELj4294967295EEENS1_25partition_config_selectorILNS1_17partition_subalgoE4EjNS0_10empty_typeEbEEZZNS1_14partition_implILS8_4ELb0ES6_15HIP_vector_typeIjLj2EENS0_17counting_iteratorIjlEEPS9_SG_NS0_5tupleIJPjSI_NS0_16reverse_iteratorISI_EEEEENSH_IJSG_SG_SG_EEES9_SI_JZNS1_25segmented_radix_sort_implINS0_14default_configELb0EPK6__halfPSP_PKlPlN2at6native12_GLOBAL__N_18offset_tEEE10hipError_tPvRmT1_PNSt15iterator_traitsIS13_E10value_typeET2_T3_PNS14_IS19_E10value_typeET4_jRbjT5_S1F_jjP12ihipStream_tbEUljE_ZNSN_ISO_Lb0ESR_SS_SU_SV_SZ_EES10_S11_S12_S13_S17_S18_S19_S1C_S1D_jS1E_jS1F_S1F_jjS1H_bEUljE0_EEES10_S11_S12_S19_S1D_S1F_T6_T7_T9_mT8_S1H_bDpT10_ENKUlT_T0_E_clISt17integral_constantIbLb0EES1V_EEDaS1Q_S1R_EUlS1Q_E_NS1_11comp_targetILNS1_3genE0ELNS1_11target_archE4294967295ELNS1_3gpuE0ELNS1_3repE0EEENS1_30default_config_static_selectorELNS0_4arch9wavefront6targetE0EEEvS13_
                                        ; -- End function
	.set _ZN7rocprim17ROCPRIM_400000_NS6detail17trampoline_kernelINS0_13select_configILj256ELj13ELNS0_17block_load_methodE3ELS4_3ELS4_3ELNS0_20block_scan_algorithmE0ELj4294967295EEENS1_25partition_config_selectorILNS1_17partition_subalgoE4EjNS0_10empty_typeEbEEZZNS1_14partition_implILS8_4ELb0ES6_15HIP_vector_typeIjLj2EENS0_17counting_iteratorIjlEEPS9_SG_NS0_5tupleIJPjSI_NS0_16reverse_iteratorISI_EEEEENSH_IJSG_SG_SG_EEES9_SI_JZNS1_25segmented_radix_sort_implINS0_14default_configELb0EPK6__halfPSP_PKlPlN2at6native12_GLOBAL__N_18offset_tEEE10hipError_tPvRmT1_PNSt15iterator_traitsIS13_E10value_typeET2_T3_PNS14_IS19_E10value_typeET4_jRbjT5_S1F_jjP12ihipStream_tbEUljE_ZNSN_ISO_Lb0ESR_SS_SU_SV_SZ_EES10_S11_S12_S13_S17_S18_S19_S1C_S1D_jS1E_jS1F_S1F_jjS1H_bEUljE0_EEES10_S11_S12_S19_S1D_S1F_T6_T7_T9_mT8_S1H_bDpT10_ENKUlT_T0_E_clISt17integral_constantIbLb0EES1V_EEDaS1Q_S1R_EUlS1Q_E_NS1_11comp_targetILNS1_3genE0ELNS1_11target_archE4294967295ELNS1_3gpuE0ELNS1_3repE0EEENS1_30default_config_static_selectorELNS0_4arch9wavefront6targetE0EEEvS13_.num_vgpr, 0
	.set _ZN7rocprim17ROCPRIM_400000_NS6detail17trampoline_kernelINS0_13select_configILj256ELj13ELNS0_17block_load_methodE3ELS4_3ELS4_3ELNS0_20block_scan_algorithmE0ELj4294967295EEENS1_25partition_config_selectorILNS1_17partition_subalgoE4EjNS0_10empty_typeEbEEZZNS1_14partition_implILS8_4ELb0ES6_15HIP_vector_typeIjLj2EENS0_17counting_iteratorIjlEEPS9_SG_NS0_5tupleIJPjSI_NS0_16reverse_iteratorISI_EEEEENSH_IJSG_SG_SG_EEES9_SI_JZNS1_25segmented_radix_sort_implINS0_14default_configELb0EPK6__halfPSP_PKlPlN2at6native12_GLOBAL__N_18offset_tEEE10hipError_tPvRmT1_PNSt15iterator_traitsIS13_E10value_typeET2_T3_PNS14_IS19_E10value_typeET4_jRbjT5_S1F_jjP12ihipStream_tbEUljE_ZNSN_ISO_Lb0ESR_SS_SU_SV_SZ_EES10_S11_S12_S13_S17_S18_S19_S1C_S1D_jS1E_jS1F_S1F_jjS1H_bEUljE0_EEES10_S11_S12_S19_S1D_S1F_T6_T7_T9_mT8_S1H_bDpT10_ENKUlT_T0_E_clISt17integral_constantIbLb0EES1V_EEDaS1Q_S1R_EUlS1Q_E_NS1_11comp_targetILNS1_3genE0ELNS1_11target_archE4294967295ELNS1_3gpuE0ELNS1_3repE0EEENS1_30default_config_static_selectorELNS0_4arch9wavefront6targetE0EEEvS13_.num_agpr, 0
	.set _ZN7rocprim17ROCPRIM_400000_NS6detail17trampoline_kernelINS0_13select_configILj256ELj13ELNS0_17block_load_methodE3ELS4_3ELS4_3ELNS0_20block_scan_algorithmE0ELj4294967295EEENS1_25partition_config_selectorILNS1_17partition_subalgoE4EjNS0_10empty_typeEbEEZZNS1_14partition_implILS8_4ELb0ES6_15HIP_vector_typeIjLj2EENS0_17counting_iteratorIjlEEPS9_SG_NS0_5tupleIJPjSI_NS0_16reverse_iteratorISI_EEEEENSH_IJSG_SG_SG_EEES9_SI_JZNS1_25segmented_radix_sort_implINS0_14default_configELb0EPK6__halfPSP_PKlPlN2at6native12_GLOBAL__N_18offset_tEEE10hipError_tPvRmT1_PNSt15iterator_traitsIS13_E10value_typeET2_T3_PNS14_IS19_E10value_typeET4_jRbjT5_S1F_jjP12ihipStream_tbEUljE_ZNSN_ISO_Lb0ESR_SS_SU_SV_SZ_EES10_S11_S12_S13_S17_S18_S19_S1C_S1D_jS1E_jS1F_S1F_jjS1H_bEUljE0_EEES10_S11_S12_S19_S1D_S1F_T6_T7_T9_mT8_S1H_bDpT10_ENKUlT_T0_E_clISt17integral_constantIbLb0EES1V_EEDaS1Q_S1R_EUlS1Q_E_NS1_11comp_targetILNS1_3genE0ELNS1_11target_archE4294967295ELNS1_3gpuE0ELNS1_3repE0EEENS1_30default_config_static_selectorELNS0_4arch9wavefront6targetE0EEEvS13_.numbered_sgpr, 0
	.set _ZN7rocprim17ROCPRIM_400000_NS6detail17trampoline_kernelINS0_13select_configILj256ELj13ELNS0_17block_load_methodE3ELS4_3ELS4_3ELNS0_20block_scan_algorithmE0ELj4294967295EEENS1_25partition_config_selectorILNS1_17partition_subalgoE4EjNS0_10empty_typeEbEEZZNS1_14partition_implILS8_4ELb0ES6_15HIP_vector_typeIjLj2EENS0_17counting_iteratorIjlEEPS9_SG_NS0_5tupleIJPjSI_NS0_16reverse_iteratorISI_EEEEENSH_IJSG_SG_SG_EEES9_SI_JZNS1_25segmented_radix_sort_implINS0_14default_configELb0EPK6__halfPSP_PKlPlN2at6native12_GLOBAL__N_18offset_tEEE10hipError_tPvRmT1_PNSt15iterator_traitsIS13_E10value_typeET2_T3_PNS14_IS19_E10value_typeET4_jRbjT5_S1F_jjP12ihipStream_tbEUljE_ZNSN_ISO_Lb0ESR_SS_SU_SV_SZ_EES10_S11_S12_S13_S17_S18_S19_S1C_S1D_jS1E_jS1F_S1F_jjS1H_bEUljE0_EEES10_S11_S12_S19_S1D_S1F_T6_T7_T9_mT8_S1H_bDpT10_ENKUlT_T0_E_clISt17integral_constantIbLb0EES1V_EEDaS1Q_S1R_EUlS1Q_E_NS1_11comp_targetILNS1_3genE0ELNS1_11target_archE4294967295ELNS1_3gpuE0ELNS1_3repE0EEENS1_30default_config_static_selectorELNS0_4arch9wavefront6targetE0EEEvS13_.num_named_barrier, 0
	.set _ZN7rocprim17ROCPRIM_400000_NS6detail17trampoline_kernelINS0_13select_configILj256ELj13ELNS0_17block_load_methodE3ELS4_3ELS4_3ELNS0_20block_scan_algorithmE0ELj4294967295EEENS1_25partition_config_selectorILNS1_17partition_subalgoE4EjNS0_10empty_typeEbEEZZNS1_14partition_implILS8_4ELb0ES6_15HIP_vector_typeIjLj2EENS0_17counting_iteratorIjlEEPS9_SG_NS0_5tupleIJPjSI_NS0_16reverse_iteratorISI_EEEEENSH_IJSG_SG_SG_EEES9_SI_JZNS1_25segmented_radix_sort_implINS0_14default_configELb0EPK6__halfPSP_PKlPlN2at6native12_GLOBAL__N_18offset_tEEE10hipError_tPvRmT1_PNSt15iterator_traitsIS13_E10value_typeET2_T3_PNS14_IS19_E10value_typeET4_jRbjT5_S1F_jjP12ihipStream_tbEUljE_ZNSN_ISO_Lb0ESR_SS_SU_SV_SZ_EES10_S11_S12_S13_S17_S18_S19_S1C_S1D_jS1E_jS1F_S1F_jjS1H_bEUljE0_EEES10_S11_S12_S19_S1D_S1F_T6_T7_T9_mT8_S1H_bDpT10_ENKUlT_T0_E_clISt17integral_constantIbLb0EES1V_EEDaS1Q_S1R_EUlS1Q_E_NS1_11comp_targetILNS1_3genE0ELNS1_11target_archE4294967295ELNS1_3gpuE0ELNS1_3repE0EEENS1_30default_config_static_selectorELNS0_4arch9wavefront6targetE0EEEvS13_.private_seg_size, 0
	.set _ZN7rocprim17ROCPRIM_400000_NS6detail17trampoline_kernelINS0_13select_configILj256ELj13ELNS0_17block_load_methodE3ELS4_3ELS4_3ELNS0_20block_scan_algorithmE0ELj4294967295EEENS1_25partition_config_selectorILNS1_17partition_subalgoE4EjNS0_10empty_typeEbEEZZNS1_14partition_implILS8_4ELb0ES6_15HIP_vector_typeIjLj2EENS0_17counting_iteratorIjlEEPS9_SG_NS0_5tupleIJPjSI_NS0_16reverse_iteratorISI_EEEEENSH_IJSG_SG_SG_EEES9_SI_JZNS1_25segmented_radix_sort_implINS0_14default_configELb0EPK6__halfPSP_PKlPlN2at6native12_GLOBAL__N_18offset_tEEE10hipError_tPvRmT1_PNSt15iterator_traitsIS13_E10value_typeET2_T3_PNS14_IS19_E10value_typeET4_jRbjT5_S1F_jjP12ihipStream_tbEUljE_ZNSN_ISO_Lb0ESR_SS_SU_SV_SZ_EES10_S11_S12_S13_S17_S18_S19_S1C_S1D_jS1E_jS1F_S1F_jjS1H_bEUljE0_EEES10_S11_S12_S19_S1D_S1F_T6_T7_T9_mT8_S1H_bDpT10_ENKUlT_T0_E_clISt17integral_constantIbLb0EES1V_EEDaS1Q_S1R_EUlS1Q_E_NS1_11comp_targetILNS1_3genE0ELNS1_11target_archE4294967295ELNS1_3gpuE0ELNS1_3repE0EEENS1_30default_config_static_selectorELNS0_4arch9wavefront6targetE0EEEvS13_.uses_vcc, 0
	.set _ZN7rocprim17ROCPRIM_400000_NS6detail17trampoline_kernelINS0_13select_configILj256ELj13ELNS0_17block_load_methodE3ELS4_3ELS4_3ELNS0_20block_scan_algorithmE0ELj4294967295EEENS1_25partition_config_selectorILNS1_17partition_subalgoE4EjNS0_10empty_typeEbEEZZNS1_14partition_implILS8_4ELb0ES6_15HIP_vector_typeIjLj2EENS0_17counting_iteratorIjlEEPS9_SG_NS0_5tupleIJPjSI_NS0_16reverse_iteratorISI_EEEEENSH_IJSG_SG_SG_EEES9_SI_JZNS1_25segmented_radix_sort_implINS0_14default_configELb0EPK6__halfPSP_PKlPlN2at6native12_GLOBAL__N_18offset_tEEE10hipError_tPvRmT1_PNSt15iterator_traitsIS13_E10value_typeET2_T3_PNS14_IS19_E10value_typeET4_jRbjT5_S1F_jjP12ihipStream_tbEUljE_ZNSN_ISO_Lb0ESR_SS_SU_SV_SZ_EES10_S11_S12_S13_S17_S18_S19_S1C_S1D_jS1E_jS1F_S1F_jjS1H_bEUljE0_EEES10_S11_S12_S19_S1D_S1F_T6_T7_T9_mT8_S1H_bDpT10_ENKUlT_T0_E_clISt17integral_constantIbLb0EES1V_EEDaS1Q_S1R_EUlS1Q_E_NS1_11comp_targetILNS1_3genE0ELNS1_11target_archE4294967295ELNS1_3gpuE0ELNS1_3repE0EEENS1_30default_config_static_selectorELNS0_4arch9wavefront6targetE0EEEvS13_.uses_flat_scratch, 0
	.set _ZN7rocprim17ROCPRIM_400000_NS6detail17trampoline_kernelINS0_13select_configILj256ELj13ELNS0_17block_load_methodE3ELS4_3ELS4_3ELNS0_20block_scan_algorithmE0ELj4294967295EEENS1_25partition_config_selectorILNS1_17partition_subalgoE4EjNS0_10empty_typeEbEEZZNS1_14partition_implILS8_4ELb0ES6_15HIP_vector_typeIjLj2EENS0_17counting_iteratorIjlEEPS9_SG_NS0_5tupleIJPjSI_NS0_16reverse_iteratorISI_EEEEENSH_IJSG_SG_SG_EEES9_SI_JZNS1_25segmented_radix_sort_implINS0_14default_configELb0EPK6__halfPSP_PKlPlN2at6native12_GLOBAL__N_18offset_tEEE10hipError_tPvRmT1_PNSt15iterator_traitsIS13_E10value_typeET2_T3_PNS14_IS19_E10value_typeET4_jRbjT5_S1F_jjP12ihipStream_tbEUljE_ZNSN_ISO_Lb0ESR_SS_SU_SV_SZ_EES10_S11_S12_S13_S17_S18_S19_S1C_S1D_jS1E_jS1F_S1F_jjS1H_bEUljE0_EEES10_S11_S12_S19_S1D_S1F_T6_T7_T9_mT8_S1H_bDpT10_ENKUlT_T0_E_clISt17integral_constantIbLb0EES1V_EEDaS1Q_S1R_EUlS1Q_E_NS1_11comp_targetILNS1_3genE0ELNS1_11target_archE4294967295ELNS1_3gpuE0ELNS1_3repE0EEENS1_30default_config_static_selectorELNS0_4arch9wavefront6targetE0EEEvS13_.has_dyn_sized_stack, 0
	.set _ZN7rocprim17ROCPRIM_400000_NS6detail17trampoline_kernelINS0_13select_configILj256ELj13ELNS0_17block_load_methodE3ELS4_3ELS4_3ELNS0_20block_scan_algorithmE0ELj4294967295EEENS1_25partition_config_selectorILNS1_17partition_subalgoE4EjNS0_10empty_typeEbEEZZNS1_14partition_implILS8_4ELb0ES6_15HIP_vector_typeIjLj2EENS0_17counting_iteratorIjlEEPS9_SG_NS0_5tupleIJPjSI_NS0_16reverse_iteratorISI_EEEEENSH_IJSG_SG_SG_EEES9_SI_JZNS1_25segmented_radix_sort_implINS0_14default_configELb0EPK6__halfPSP_PKlPlN2at6native12_GLOBAL__N_18offset_tEEE10hipError_tPvRmT1_PNSt15iterator_traitsIS13_E10value_typeET2_T3_PNS14_IS19_E10value_typeET4_jRbjT5_S1F_jjP12ihipStream_tbEUljE_ZNSN_ISO_Lb0ESR_SS_SU_SV_SZ_EES10_S11_S12_S13_S17_S18_S19_S1C_S1D_jS1E_jS1F_S1F_jjS1H_bEUljE0_EEES10_S11_S12_S19_S1D_S1F_T6_T7_T9_mT8_S1H_bDpT10_ENKUlT_T0_E_clISt17integral_constantIbLb0EES1V_EEDaS1Q_S1R_EUlS1Q_E_NS1_11comp_targetILNS1_3genE0ELNS1_11target_archE4294967295ELNS1_3gpuE0ELNS1_3repE0EEENS1_30default_config_static_selectorELNS0_4arch9wavefront6targetE0EEEvS13_.has_recursion, 0
	.set _ZN7rocprim17ROCPRIM_400000_NS6detail17trampoline_kernelINS0_13select_configILj256ELj13ELNS0_17block_load_methodE3ELS4_3ELS4_3ELNS0_20block_scan_algorithmE0ELj4294967295EEENS1_25partition_config_selectorILNS1_17partition_subalgoE4EjNS0_10empty_typeEbEEZZNS1_14partition_implILS8_4ELb0ES6_15HIP_vector_typeIjLj2EENS0_17counting_iteratorIjlEEPS9_SG_NS0_5tupleIJPjSI_NS0_16reverse_iteratorISI_EEEEENSH_IJSG_SG_SG_EEES9_SI_JZNS1_25segmented_radix_sort_implINS0_14default_configELb0EPK6__halfPSP_PKlPlN2at6native12_GLOBAL__N_18offset_tEEE10hipError_tPvRmT1_PNSt15iterator_traitsIS13_E10value_typeET2_T3_PNS14_IS19_E10value_typeET4_jRbjT5_S1F_jjP12ihipStream_tbEUljE_ZNSN_ISO_Lb0ESR_SS_SU_SV_SZ_EES10_S11_S12_S13_S17_S18_S19_S1C_S1D_jS1E_jS1F_S1F_jjS1H_bEUljE0_EEES10_S11_S12_S19_S1D_S1F_T6_T7_T9_mT8_S1H_bDpT10_ENKUlT_T0_E_clISt17integral_constantIbLb0EES1V_EEDaS1Q_S1R_EUlS1Q_E_NS1_11comp_targetILNS1_3genE0ELNS1_11target_archE4294967295ELNS1_3gpuE0ELNS1_3repE0EEENS1_30default_config_static_selectorELNS0_4arch9wavefront6targetE0EEEvS13_.has_indirect_call, 0
	.section	.AMDGPU.csdata,"",@progbits
; Kernel info:
; codeLenInByte = 0
; TotalNumSgprs: 0
; NumVgprs: 0
; ScratchSize: 0
; MemoryBound: 0
; FloatMode: 240
; IeeeMode: 1
; LDSByteSize: 0 bytes/workgroup (compile time only)
; SGPRBlocks: 0
; VGPRBlocks: 0
; NumSGPRsForWavesPerEU: 1
; NumVGPRsForWavesPerEU: 1
; Occupancy: 16
; WaveLimiterHint : 0
; COMPUTE_PGM_RSRC2:SCRATCH_EN: 0
; COMPUTE_PGM_RSRC2:USER_SGPR: 6
; COMPUTE_PGM_RSRC2:TRAP_HANDLER: 0
; COMPUTE_PGM_RSRC2:TGID_X_EN: 1
; COMPUTE_PGM_RSRC2:TGID_Y_EN: 0
; COMPUTE_PGM_RSRC2:TGID_Z_EN: 0
; COMPUTE_PGM_RSRC2:TIDIG_COMP_CNT: 0
	.section	.text._ZN7rocprim17ROCPRIM_400000_NS6detail17trampoline_kernelINS0_13select_configILj256ELj13ELNS0_17block_load_methodE3ELS4_3ELS4_3ELNS0_20block_scan_algorithmE0ELj4294967295EEENS1_25partition_config_selectorILNS1_17partition_subalgoE4EjNS0_10empty_typeEbEEZZNS1_14partition_implILS8_4ELb0ES6_15HIP_vector_typeIjLj2EENS0_17counting_iteratorIjlEEPS9_SG_NS0_5tupleIJPjSI_NS0_16reverse_iteratorISI_EEEEENSH_IJSG_SG_SG_EEES9_SI_JZNS1_25segmented_radix_sort_implINS0_14default_configELb0EPK6__halfPSP_PKlPlN2at6native12_GLOBAL__N_18offset_tEEE10hipError_tPvRmT1_PNSt15iterator_traitsIS13_E10value_typeET2_T3_PNS14_IS19_E10value_typeET4_jRbjT5_S1F_jjP12ihipStream_tbEUljE_ZNSN_ISO_Lb0ESR_SS_SU_SV_SZ_EES10_S11_S12_S13_S17_S18_S19_S1C_S1D_jS1E_jS1F_S1F_jjS1H_bEUljE0_EEES10_S11_S12_S19_S1D_S1F_T6_T7_T9_mT8_S1H_bDpT10_ENKUlT_T0_E_clISt17integral_constantIbLb0EES1V_EEDaS1Q_S1R_EUlS1Q_E_NS1_11comp_targetILNS1_3genE5ELNS1_11target_archE942ELNS1_3gpuE9ELNS1_3repE0EEENS1_30default_config_static_selectorELNS0_4arch9wavefront6targetE0EEEvS13_,"axG",@progbits,_ZN7rocprim17ROCPRIM_400000_NS6detail17trampoline_kernelINS0_13select_configILj256ELj13ELNS0_17block_load_methodE3ELS4_3ELS4_3ELNS0_20block_scan_algorithmE0ELj4294967295EEENS1_25partition_config_selectorILNS1_17partition_subalgoE4EjNS0_10empty_typeEbEEZZNS1_14partition_implILS8_4ELb0ES6_15HIP_vector_typeIjLj2EENS0_17counting_iteratorIjlEEPS9_SG_NS0_5tupleIJPjSI_NS0_16reverse_iteratorISI_EEEEENSH_IJSG_SG_SG_EEES9_SI_JZNS1_25segmented_radix_sort_implINS0_14default_configELb0EPK6__halfPSP_PKlPlN2at6native12_GLOBAL__N_18offset_tEEE10hipError_tPvRmT1_PNSt15iterator_traitsIS13_E10value_typeET2_T3_PNS14_IS19_E10value_typeET4_jRbjT5_S1F_jjP12ihipStream_tbEUljE_ZNSN_ISO_Lb0ESR_SS_SU_SV_SZ_EES10_S11_S12_S13_S17_S18_S19_S1C_S1D_jS1E_jS1F_S1F_jjS1H_bEUljE0_EEES10_S11_S12_S19_S1D_S1F_T6_T7_T9_mT8_S1H_bDpT10_ENKUlT_T0_E_clISt17integral_constantIbLb0EES1V_EEDaS1Q_S1R_EUlS1Q_E_NS1_11comp_targetILNS1_3genE5ELNS1_11target_archE942ELNS1_3gpuE9ELNS1_3repE0EEENS1_30default_config_static_selectorELNS0_4arch9wavefront6targetE0EEEvS13_,comdat
	.globl	_ZN7rocprim17ROCPRIM_400000_NS6detail17trampoline_kernelINS0_13select_configILj256ELj13ELNS0_17block_load_methodE3ELS4_3ELS4_3ELNS0_20block_scan_algorithmE0ELj4294967295EEENS1_25partition_config_selectorILNS1_17partition_subalgoE4EjNS0_10empty_typeEbEEZZNS1_14partition_implILS8_4ELb0ES6_15HIP_vector_typeIjLj2EENS0_17counting_iteratorIjlEEPS9_SG_NS0_5tupleIJPjSI_NS0_16reverse_iteratorISI_EEEEENSH_IJSG_SG_SG_EEES9_SI_JZNS1_25segmented_radix_sort_implINS0_14default_configELb0EPK6__halfPSP_PKlPlN2at6native12_GLOBAL__N_18offset_tEEE10hipError_tPvRmT1_PNSt15iterator_traitsIS13_E10value_typeET2_T3_PNS14_IS19_E10value_typeET4_jRbjT5_S1F_jjP12ihipStream_tbEUljE_ZNSN_ISO_Lb0ESR_SS_SU_SV_SZ_EES10_S11_S12_S13_S17_S18_S19_S1C_S1D_jS1E_jS1F_S1F_jjS1H_bEUljE0_EEES10_S11_S12_S19_S1D_S1F_T6_T7_T9_mT8_S1H_bDpT10_ENKUlT_T0_E_clISt17integral_constantIbLb0EES1V_EEDaS1Q_S1R_EUlS1Q_E_NS1_11comp_targetILNS1_3genE5ELNS1_11target_archE942ELNS1_3gpuE9ELNS1_3repE0EEENS1_30default_config_static_selectorELNS0_4arch9wavefront6targetE0EEEvS13_ ; -- Begin function _ZN7rocprim17ROCPRIM_400000_NS6detail17trampoline_kernelINS0_13select_configILj256ELj13ELNS0_17block_load_methodE3ELS4_3ELS4_3ELNS0_20block_scan_algorithmE0ELj4294967295EEENS1_25partition_config_selectorILNS1_17partition_subalgoE4EjNS0_10empty_typeEbEEZZNS1_14partition_implILS8_4ELb0ES6_15HIP_vector_typeIjLj2EENS0_17counting_iteratorIjlEEPS9_SG_NS0_5tupleIJPjSI_NS0_16reverse_iteratorISI_EEEEENSH_IJSG_SG_SG_EEES9_SI_JZNS1_25segmented_radix_sort_implINS0_14default_configELb0EPK6__halfPSP_PKlPlN2at6native12_GLOBAL__N_18offset_tEEE10hipError_tPvRmT1_PNSt15iterator_traitsIS13_E10value_typeET2_T3_PNS14_IS19_E10value_typeET4_jRbjT5_S1F_jjP12ihipStream_tbEUljE_ZNSN_ISO_Lb0ESR_SS_SU_SV_SZ_EES10_S11_S12_S13_S17_S18_S19_S1C_S1D_jS1E_jS1F_S1F_jjS1H_bEUljE0_EEES10_S11_S12_S19_S1D_S1F_T6_T7_T9_mT8_S1H_bDpT10_ENKUlT_T0_E_clISt17integral_constantIbLb0EES1V_EEDaS1Q_S1R_EUlS1Q_E_NS1_11comp_targetILNS1_3genE5ELNS1_11target_archE942ELNS1_3gpuE9ELNS1_3repE0EEENS1_30default_config_static_selectorELNS0_4arch9wavefront6targetE0EEEvS13_
	.p2align	8
	.type	_ZN7rocprim17ROCPRIM_400000_NS6detail17trampoline_kernelINS0_13select_configILj256ELj13ELNS0_17block_load_methodE3ELS4_3ELS4_3ELNS0_20block_scan_algorithmE0ELj4294967295EEENS1_25partition_config_selectorILNS1_17partition_subalgoE4EjNS0_10empty_typeEbEEZZNS1_14partition_implILS8_4ELb0ES6_15HIP_vector_typeIjLj2EENS0_17counting_iteratorIjlEEPS9_SG_NS0_5tupleIJPjSI_NS0_16reverse_iteratorISI_EEEEENSH_IJSG_SG_SG_EEES9_SI_JZNS1_25segmented_radix_sort_implINS0_14default_configELb0EPK6__halfPSP_PKlPlN2at6native12_GLOBAL__N_18offset_tEEE10hipError_tPvRmT1_PNSt15iterator_traitsIS13_E10value_typeET2_T3_PNS14_IS19_E10value_typeET4_jRbjT5_S1F_jjP12ihipStream_tbEUljE_ZNSN_ISO_Lb0ESR_SS_SU_SV_SZ_EES10_S11_S12_S13_S17_S18_S19_S1C_S1D_jS1E_jS1F_S1F_jjS1H_bEUljE0_EEES10_S11_S12_S19_S1D_S1F_T6_T7_T9_mT8_S1H_bDpT10_ENKUlT_T0_E_clISt17integral_constantIbLb0EES1V_EEDaS1Q_S1R_EUlS1Q_E_NS1_11comp_targetILNS1_3genE5ELNS1_11target_archE942ELNS1_3gpuE9ELNS1_3repE0EEENS1_30default_config_static_selectorELNS0_4arch9wavefront6targetE0EEEvS13_,@function
_ZN7rocprim17ROCPRIM_400000_NS6detail17trampoline_kernelINS0_13select_configILj256ELj13ELNS0_17block_load_methodE3ELS4_3ELS4_3ELNS0_20block_scan_algorithmE0ELj4294967295EEENS1_25partition_config_selectorILNS1_17partition_subalgoE4EjNS0_10empty_typeEbEEZZNS1_14partition_implILS8_4ELb0ES6_15HIP_vector_typeIjLj2EENS0_17counting_iteratorIjlEEPS9_SG_NS0_5tupleIJPjSI_NS0_16reverse_iteratorISI_EEEEENSH_IJSG_SG_SG_EEES9_SI_JZNS1_25segmented_radix_sort_implINS0_14default_configELb0EPK6__halfPSP_PKlPlN2at6native12_GLOBAL__N_18offset_tEEE10hipError_tPvRmT1_PNSt15iterator_traitsIS13_E10value_typeET2_T3_PNS14_IS19_E10value_typeET4_jRbjT5_S1F_jjP12ihipStream_tbEUljE_ZNSN_ISO_Lb0ESR_SS_SU_SV_SZ_EES10_S11_S12_S13_S17_S18_S19_S1C_S1D_jS1E_jS1F_S1F_jjS1H_bEUljE0_EEES10_S11_S12_S19_S1D_S1F_T6_T7_T9_mT8_S1H_bDpT10_ENKUlT_T0_E_clISt17integral_constantIbLb0EES1V_EEDaS1Q_S1R_EUlS1Q_E_NS1_11comp_targetILNS1_3genE5ELNS1_11target_archE942ELNS1_3gpuE9ELNS1_3repE0EEENS1_30default_config_static_selectorELNS0_4arch9wavefront6targetE0EEEvS13_: ; @_ZN7rocprim17ROCPRIM_400000_NS6detail17trampoline_kernelINS0_13select_configILj256ELj13ELNS0_17block_load_methodE3ELS4_3ELS4_3ELNS0_20block_scan_algorithmE0ELj4294967295EEENS1_25partition_config_selectorILNS1_17partition_subalgoE4EjNS0_10empty_typeEbEEZZNS1_14partition_implILS8_4ELb0ES6_15HIP_vector_typeIjLj2EENS0_17counting_iteratorIjlEEPS9_SG_NS0_5tupleIJPjSI_NS0_16reverse_iteratorISI_EEEEENSH_IJSG_SG_SG_EEES9_SI_JZNS1_25segmented_radix_sort_implINS0_14default_configELb0EPK6__halfPSP_PKlPlN2at6native12_GLOBAL__N_18offset_tEEE10hipError_tPvRmT1_PNSt15iterator_traitsIS13_E10value_typeET2_T3_PNS14_IS19_E10value_typeET4_jRbjT5_S1F_jjP12ihipStream_tbEUljE_ZNSN_ISO_Lb0ESR_SS_SU_SV_SZ_EES10_S11_S12_S13_S17_S18_S19_S1C_S1D_jS1E_jS1F_S1F_jjS1H_bEUljE0_EEES10_S11_S12_S19_S1D_S1F_T6_T7_T9_mT8_S1H_bDpT10_ENKUlT_T0_E_clISt17integral_constantIbLb0EES1V_EEDaS1Q_S1R_EUlS1Q_E_NS1_11comp_targetILNS1_3genE5ELNS1_11target_archE942ELNS1_3gpuE9ELNS1_3repE0EEENS1_30default_config_static_selectorELNS0_4arch9wavefront6targetE0EEEvS13_
; %bb.0:
	.section	.rodata,"a",@progbits
	.p2align	6, 0x0
	.amdhsa_kernel _ZN7rocprim17ROCPRIM_400000_NS6detail17trampoline_kernelINS0_13select_configILj256ELj13ELNS0_17block_load_methodE3ELS4_3ELS4_3ELNS0_20block_scan_algorithmE0ELj4294967295EEENS1_25partition_config_selectorILNS1_17partition_subalgoE4EjNS0_10empty_typeEbEEZZNS1_14partition_implILS8_4ELb0ES6_15HIP_vector_typeIjLj2EENS0_17counting_iteratorIjlEEPS9_SG_NS0_5tupleIJPjSI_NS0_16reverse_iteratorISI_EEEEENSH_IJSG_SG_SG_EEES9_SI_JZNS1_25segmented_radix_sort_implINS0_14default_configELb0EPK6__halfPSP_PKlPlN2at6native12_GLOBAL__N_18offset_tEEE10hipError_tPvRmT1_PNSt15iterator_traitsIS13_E10value_typeET2_T3_PNS14_IS19_E10value_typeET4_jRbjT5_S1F_jjP12ihipStream_tbEUljE_ZNSN_ISO_Lb0ESR_SS_SU_SV_SZ_EES10_S11_S12_S13_S17_S18_S19_S1C_S1D_jS1E_jS1F_S1F_jjS1H_bEUljE0_EEES10_S11_S12_S19_S1D_S1F_T6_T7_T9_mT8_S1H_bDpT10_ENKUlT_T0_E_clISt17integral_constantIbLb0EES1V_EEDaS1Q_S1R_EUlS1Q_E_NS1_11comp_targetILNS1_3genE5ELNS1_11target_archE942ELNS1_3gpuE9ELNS1_3repE0EEENS1_30default_config_static_selectorELNS0_4arch9wavefront6targetE0EEEvS13_
		.amdhsa_group_segment_fixed_size 0
		.amdhsa_private_segment_fixed_size 0
		.amdhsa_kernarg_size 176
		.amdhsa_user_sgpr_count 6
		.amdhsa_user_sgpr_private_segment_buffer 1
		.amdhsa_user_sgpr_dispatch_ptr 0
		.amdhsa_user_sgpr_queue_ptr 0
		.amdhsa_user_sgpr_kernarg_segment_ptr 1
		.amdhsa_user_sgpr_dispatch_id 0
		.amdhsa_user_sgpr_flat_scratch_init 0
		.amdhsa_user_sgpr_private_segment_size 0
		.amdhsa_wavefront_size32 1
		.amdhsa_uses_dynamic_stack 0
		.amdhsa_system_sgpr_private_segment_wavefront_offset 0
		.amdhsa_system_sgpr_workgroup_id_x 1
		.amdhsa_system_sgpr_workgroup_id_y 0
		.amdhsa_system_sgpr_workgroup_id_z 0
		.amdhsa_system_sgpr_workgroup_info 0
		.amdhsa_system_vgpr_workitem_id 0
		.amdhsa_next_free_vgpr 1
		.amdhsa_next_free_sgpr 1
		.amdhsa_reserve_vcc 0
		.amdhsa_reserve_flat_scratch 0
		.amdhsa_float_round_mode_32 0
		.amdhsa_float_round_mode_16_64 0
		.amdhsa_float_denorm_mode_32 3
		.amdhsa_float_denorm_mode_16_64 3
		.amdhsa_dx10_clamp 1
		.amdhsa_ieee_mode 1
		.amdhsa_fp16_overflow 0
		.amdhsa_workgroup_processor_mode 1
		.amdhsa_memory_ordered 1
		.amdhsa_forward_progress 1
		.amdhsa_shared_vgpr_count 0
		.amdhsa_exception_fp_ieee_invalid_op 0
		.amdhsa_exception_fp_denorm_src 0
		.amdhsa_exception_fp_ieee_div_zero 0
		.amdhsa_exception_fp_ieee_overflow 0
		.amdhsa_exception_fp_ieee_underflow 0
		.amdhsa_exception_fp_ieee_inexact 0
		.amdhsa_exception_int_div_zero 0
	.end_amdhsa_kernel
	.section	.text._ZN7rocprim17ROCPRIM_400000_NS6detail17trampoline_kernelINS0_13select_configILj256ELj13ELNS0_17block_load_methodE3ELS4_3ELS4_3ELNS0_20block_scan_algorithmE0ELj4294967295EEENS1_25partition_config_selectorILNS1_17partition_subalgoE4EjNS0_10empty_typeEbEEZZNS1_14partition_implILS8_4ELb0ES6_15HIP_vector_typeIjLj2EENS0_17counting_iteratorIjlEEPS9_SG_NS0_5tupleIJPjSI_NS0_16reverse_iteratorISI_EEEEENSH_IJSG_SG_SG_EEES9_SI_JZNS1_25segmented_radix_sort_implINS0_14default_configELb0EPK6__halfPSP_PKlPlN2at6native12_GLOBAL__N_18offset_tEEE10hipError_tPvRmT1_PNSt15iterator_traitsIS13_E10value_typeET2_T3_PNS14_IS19_E10value_typeET4_jRbjT5_S1F_jjP12ihipStream_tbEUljE_ZNSN_ISO_Lb0ESR_SS_SU_SV_SZ_EES10_S11_S12_S13_S17_S18_S19_S1C_S1D_jS1E_jS1F_S1F_jjS1H_bEUljE0_EEES10_S11_S12_S19_S1D_S1F_T6_T7_T9_mT8_S1H_bDpT10_ENKUlT_T0_E_clISt17integral_constantIbLb0EES1V_EEDaS1Q_S1R_EUlS1Q_E_NS1_11comp_targetILNS1_3genE5ELNS1_11target_archE942ELNS1_3gpuE9ELNS1_3repE0EEENS1_30default_config_static_selectorELNS0_4arch9wavefront6targetE0EEEvS13_,"axG",@progbits,_ZN7rocprim17ROCPRIM_400000_NS6detail17trampoline_kernelINS0_13select_configILj256ELj13ELNS0_17block_load_methodE3ELS4_3ELS4_3ELNS0_20block_scan_algorithmE0ELj4294967295EEENS1_25partition_config_selectorILNS1_17partition_subalgoE4EjNS0_10empty_typeEbEEZZNS1_14partition_implILS8_4ELb0ES6_15HIP_vector_typeIjLj2EENS0_17counting_iteratorIjlEEPS9_SG_NS0_5tupleIJPjSI_NS0_16reverse_iteratorISI_EEEEENSH_IJSG_SG_SG_EEES9_SI_JZNS1_25segmented_radix_sort_implINS0_14default_configELb0EPK6__halfPSP_PKlPlN2at6native12_GLOBAL__N_18offset_tEEE10hipError_tPvRmT1_PNSt15iterator_traitsIS13_E10value_typeET2_T3_PNS14_IS19_E10value_typeET4_jRbjT5_S1F_jjP12ihipStream_tbEUljE_ZNSN_ISO_Lb0ESR_SS_SU_SV_SZ_EES10_S11_S12_S13_S17_S18_S19_S1C_S1D_jS1E_jS1F_S1F_jjS1H_bEUljE0_EEES10_S11_S12_S19_S1D_S1F_T6_T7_T9_mT8_S1H_bDpT10_ENKUlT_T0_E_clISt17integral_constantIbLb0EES1V_EEDaS1Q_S1R_EUlS1Q_E_NS1_11comp_targetILNS1_3genE5ELNS1_11target_archE942ELNS1_3gpuE9ELNS1_3repE0EEENS1_30default_config_static_selectorELNS0_4arch9wavefront6targetE0EEEvS13_,comdat
.Lfunc_end1769:
	.size	_ZN7rocprim17ROCPRIM_400000_NS6detail17trampoline_kernelINS0_13select_configILj256ELj13ELNS0_17block_load_methodE3ELS4_3ELS4_3ELNS0_20block_scan_algorithmE0ELj4294967295EEENS1_25partition_config_selectorILNS1_17partition_subalgoE4EjNS0_10empty_typeEbEEZZNS1_14partition_implILS8_4ELb0ES6_15HIP_vector_typeIjLj2EENS0_17counting_iteratorIjlEEPS9_SG_NS0_5tupleIJPjSI_NS0_16reverse_iteratorISI_EEEEENSH_IJSG_SG_SG_EEES9_SI_JZNS1_25segmented_radix_sort_implINS0_14default_configELb0EPK6__halfPSP_PKlPlN2at6native12_GLOBAL__N_18offset_tEEE10hipError_tPvRmT1_PNSt15iterator_traitsIS13_E10value_typeET2_T3_PNS14_IS19_E10value_typeET4_jRbjT5_S1F_jjP12ihipStream_tbEUljE_ZNSN_ISO_Lb0ESR_SS_SU_SV_SZ_EES10_S11_S12_S13_S17_S18_S19_S1C_S1D_jS1E_jS1F_S1F_jjS1H_bEUljE0_EEES10_S11_S12_S19_S1D_S1F_T6_T7_T9_mT8_S1H_bDpT10_ENKUlT_T0_E_clISt17integral_constantIbLb0EES1V_EEDaS1Q_S1R_EUlS1Q_E_NS1_11comp_targetILNS1_3genE5ELNS1_11target_archE942ELNS1_3gpuE9ELNS1_3repE0EEENS1_30default_config_static_selectorELNS0_4arch9wavefront6targetE0EEEvS13_, .Lfunc_end1769-_ZN7rocprim17ROCPRIM_400000_NS6detail17trampoline_kernelINS0_13select_configILj256ELj13ELNS0_17block_load_methodE3ELS4_3ELS4_3ELNS0_20block_scan_algorithmE0ELj4294967295EEENS1_25partition_config_selectorILNS1_17partition_subalgoE4EjNS0_10empty_typeEbEEZZNS1_14partition_implILS8_4ELb0ES6_15HIP_vector_typeIjLj2EENS0_17counting_iteratorIjlEEPS9_SG_NS0_5tupleIJPjSI_NS0_16reverse_iteratorISI_EEEEENSH_IJSG_SG_SG_EEES9_SI_JZNS1_25segmented_radix_sort_implINS0_14default_configELb0EPK6__halfPSP_PKlPlN2at6native12_GLOBAL__N_18offset_tEEE10hipError_tPvRmT1_PNSt15iterator_traitsIS13_E10value_typeET2_T3_PNS14_IS19_E10value_typeET4_jRbjT5_S1F_jjP12ihipStream_tbEUljE_ZNSN_ISO_Lb0ESR_SS_SU_SV_SZ_EES10_S11_S12_S13_S17_S18_S19_S1C_S1D_jS1E_jS1F_S1F_jjS1H_bEUljE0_EEES10_S11_S12_S19_S1D_S1F_T6_T7_T9_mT8_S1H_bDpT10_ENKUlT_T0_E_clISt17integral_constantIbLb0EES1V_EEDaS1Q_S1R_EUlS1Q_E_NS1_11comp_targetILNS1_3genE5ELNS1_11target_archE942ELNS1_3gpuE9ELNS1_3repE0EEENS1_30default_config_static_selectorELNS0_4arch9wavefront6targetE0EEEvS13_
                                        ; -- End function
	.set _ZN7rocprim17ROCPRIM_400000_NS6detail17trampoline_kernelINS0_13select_configILj256ELj13ELNS0_17block_load_methodE3ELS4_3ELS4_3ELNS0_20block_scan_algorithmE0ELj4294967295EEENS1_25partition_config_selectorILNS1_17partition_subalgoE4EjNS0_10empty_typeEbEEZZNS1_14partition_implILS8_4ELb0ES6_15HIP_vector_typeIjLj2EENS0_17counting_iteratorIjlEEPS9_SG_NS0_5tupleIJPjSI_NS0_16reverse_iteratorISI_EEEEENSH_IJSG_SG_SG_EEES9_SI_JZNS1_25segmented_radix_sort_implINS0_14default_configELb0EPK6__halfPSP_PKlPlN2at6native12_GLOBAL__N_18offset_tEEE10hipError_tPvRmT1_PNSt15iterator_traitsIS13_E10value_typeET2_T3_PNS14_IS19_E10value_typeET4_jRbjT5_S1F_jjP12ihipStream_tbEUljE_ZNSN_ISO_Lb0ESR_SS_SU_SV_SZ_EES10_S11_S12_S13_S17_S18_S19_S1C_S1D_jS1E_jS1F_S1F_jjS1H_bEUljE0_EEES10_S11_S12_S19_S1D_S1F_T6_T7_T9_mT8_S1H_bDpT10_ENKUlT_T0_E_clISt17integral_constantIbLb0EES1V_EEDaS1Q_S1R_EUlS1Q_E_NS1_11comp_targetILNS1_3genE5ELNS1_11target_archE942ELNS1_3gpuE9ELNS1_3repE0EEENS1_30default_config_static_selectorELNS0_4arch9wavefront6targetE0EEEvS13_.num_vgpr, 0
	.set _ZN7rocprim17ROCPRIM_400000_NS6detail17trampoline_kernelINS0_13select_configILj256ELj13ELNS0_17block_load_methodE3ELS4_3ELS4_3ELNS0_20block_scan_algorithmE0ELj4294967295EEENS1_25partition_config_selectorILNS1_17partition_subalgoE4EjNS0_10empty_typeEbEEZZNS1_14partition_implILS8_4ELb0ES6_15HIP_vector_typeIjLj2EENS0_17counting_iteratorIjlEEPS9_SG_NS0_5tupleIJPjSI_NS0_16reverse_iteratorISI_EEEEENSH_IJSG_SG_SG_EEES9_SI_JZNS1_25segmented_radix_sort_implINS0_14default_configELb0EPK6__halfPSP_PKlPlN2at6native12_GLOBAL__N_18offset_tEEE10hipError_tPvRmT1_PNSt15iterator_traitsIS13_E10value_typeET2_T3_PNS14_IS19_E10value_typeET4_jRbjT5_S1F_jjP12ihipStream_tbEUljE_ZNSN_ISO_Lb0ESR_SS_SU_SV_SZ_EES10_S11_S12_S13_S17_S18_S19_S1C_S1D_jS1E_jS1F_S1F_jjS1H_bEUljE0_EEES10_S11_S12_S19_S1D_S1F_T6_T7_T9_mT8_S1H_bDpT10_ENKUlT_T0_E_clISt17integral_constantIbLb0EES1V_EEDaS1Q_S1R_EUlS1Q_E_NS1_11comp_targetILNS1_3genE5ELNS1_11target_archE942ELNS1_3gpuE9ELNS1_3repE0EEENS1_30default_config_static_selectorELNS0_4arch9wavefront6targetE0EEEvS13_.num_agpr, 0
	.set _ZN7rocprim17ROCPRIM_400000_NS6detail17trampoline_kernelINS0_13select_configILj256ELj13ELNS0_17block_load_methodE3ELS4_3ELS4_3ELNS0_20block_scan_algorithmE0ELj4294967295EEENS1_25partition_config_selectorILNS1_17partition_subalgoE4EjNS0_10empty_typeEbEEZZNS1_14partition_implILS8_4ELb0ES6_15HIP_vector_typeIjLj2EENS0_17counting_iteratorIjlEEPS9_SG_NS0_5tupleIJPjSI_NS0_16reverse_iteratorISI_EEEEENSH_IJSG_SG_SG_EEES9_SI_JZNS1_25segmented_radix_sort_implINS0_14default_configELb0EPK6__halfPSP_PKlPlN2at6native12_GLOBAL__N_18offset_tEEE10hipError_tPvRmT1_PNSt15iterator_traitsIS13_E10value_typeET2_T3_PNS14_IS19_E10value_typeET4_jRbjT5_S1F_jjP12ihipStream_tbEUljE_ZNSN_ISO_Lb0ESR_SS_SU_SV_SZ_EES10_S11_S12_S13_S17_S18_S19_S1C_S1D_jS1E_jS1F_S1F_jjS1H_bEUljE0_EEES10_S11_S12_S19_S1D_S1F_T6_T7_T9_mT8_S1H_bDpT10_ENKUlT_T0_E_clISt17integral_constantIbLb0EES1V_EEDaS1Q_S1R_EUlS1Q_E_NS1_11comp_targetILNS1_3genE5ELNS1_11target_archE942ELNS1_3gpuE9ELNS1_3repE0EEENS1_30default_config_static_selectorELNS0_4arch9wavefront6targetE0EEEvS13_.numbered_sgpr, 0
	.set _ZN7rocprim17ROCPRIM_400000_NS6detail17trampoline_kernelINS0_13select_configILj256ELj13ELNS0_17block_load_methodE3ELS4_3ELS4_3ELNS0_20block_scan_algorithmE0ELj4294967295EEENS1_25partition_config_selectorILNS1_17partition_subalgoE4EjNS0_10empty_typeEbEEZZNS1_14partition_implILS8_4ELb0ES6_15HIP_vector_typeIjLj2EENS0_17counting_iteratorIjlEEPS9_SG_NS0_5tupleIJPjSI_NS0_16reverse_iteratorISI_EEEEENSH_IJSG_SG_SG_EEES9_SI_JZNS1_25segmented_radix_sort_implINS0_14default_configELb0EPK6__halfPSP_PKlPlN2at6native12_GLOBAL__N_18offset_tEEE10hipError_tPvRmT1_PNSt15iterator_traitsIS13_E10value_typeET2_T3_PNS14_IS19_E10value_typeET4_jRbjT5_S1F_jjP12ihipStream_tbEUljE_ZNSN_ISO_Lb0ESR_SS_SU_SV_SZ_EES10_S11_S12_S13_S17_S18_S19_S1C_S1D_jS1E_jS1F_S1F_jjS1H_bEUljE0_EEES10_S11_S12_S19_S1D_S1F_T6_T7_T9_mT8_S1H_bDpT10_ENKUlT_T0_E_clISt17integral_constantIbLb0EES1V_EEDaS1Q_S1R_EUlS1Q_E_NS1_11comp_targetILNS1_3genE5ELNS1_11target_archE942ELNS1_3gpuE9ELNS1_3repE0EEENS1_30default_config_static_selectorELNS0_4arch9wavefront6targetE0EEEvS13_.num_named_barrier, 0
	.set _ZN7rocprim17ROCPRIM_400000_NS6detail17trampoline_kernelINS0_13select_configILj256ELj13ELNS0_17block_load_methodE3ELS4_3ELS4_3ELNS0_20block_scan_algorithmE0ELj4294967295EEENS1_25partition_config_selectorILNS1_17partition_subalgoE4EjNS0_10empty_typeEbEEZZNS1_14partition_implILS8_4ELb0ES6_15HIP_vector_typeIjLj2EENS0_17counting_iteratorIjlEEPS9_SG_NS0_5tupleIJPjSI_NS0_16reverse_iteratorISI_EEEEENSH_IJSG_SG_SG_EEES9_SI_JZNS1_25segmented_radix_sort_implINS0_14default_configELb0EPK6__halfPSP_PKlPlN2at6native12_GLOBAL__N_18offset_tEEE10hipError_tPvRmT1_PNSt15iterator_traitsIS13_E10value_typeET2_T3_PNS14_IS19_E10value_typeET4_jRbjT5_S1F_jjP12ihipStream_tbEUljE_ZNSN_ISO_Lb0ESR_SS_SU_SV_SZ_EES10_S11_S12_S13_S17_S18_S19_S1C_S1D_jS1E_jS1F_S1F_jjS1H_bEUljE0_EEES10_S11_S12_S19_S1D_S1F_T6_T7_T9_mT8_S1H_bDpT10_ENKUlT_T0_E_clISt17integral_constantIbLb0EES1V_EEDaS1Q_S1R_EUlS1Q_E_NS1_11comp_targetILNS1_3genE5ELNS1_11target_archE942ELNS1_3gpuE9ELNS1_3repE0EEENS1_30default_config_static_selectorELNS0_4arch9wavefront6targetE0EEEvS13_.private_seg_size, 0
	.set _ZN7rocprim17ROCPRIM_400000_NS6detail17trampoline_kernelINS0_13select_configILj256ELj13ELNS0_17block_load_methodE3ELS4_3ELS4_3ELNS0_20block_scan_algorithmE0ELj4294967295EEENS1_25partition_config_selectorILNS1_17partition_subalgoE4EjNS0_10empty_typeEbEEZZNS1_14partition_implILS8_4ELb0ES6_15HIP_vector_typeIjLj2EENS0_17counting_iteratorIjlEEPS9_SG_NS0_5tupleIJPjSI_NS0_16reverse_iteratorISI_EEEEENSH_IJSG_SG_SG_EEES9_SI_JZNS1_25segmented_radix_sort_implINS0_14default_configELb0EPK6__halfPSP_PKlPlN2at6native12_GLOBAL__N_18offset_tEEE10hipError_tPvRmT1_PNSt15iterator_traitsIS13_E10value_typeET2_T3_PNS14_IS19_E10value_typeET4_jRbjT5_S1F_jjP12ihipStream_tbEUljE_ZNSN_ISO_Lb0ESR_SS_SU_SV_SZ_EES10_S11_S12_S13_S17_S18_S19_S1C_S1D_jS1E_jS1F_S1F_jjS1H_bEUljE0_EEES10_S11_S12_S19_S1D_S1F_T6_T7_T9_mT8_S1H_bDpT10_ENKUlT_T0_E_clISt17integral_constantIbLb0EES1V_EEDaS1Q_S1R_EUlS1Q_E_NS1_11comp_targetILNS1_3genE5ELNS1_11target_archE942ELNS1_3gpuE9ELNS1_3repE0EEENS1_30default_config_static_selectorELNS0_4arch9wavefront6targetE0EEEvS13_.uses_vcc, 0
	.set _ZN7rocprim17ROCPRIM_400000_NS6detail17trampoline_kernelINS0_13select_configILj256ELj13ELNS0_17block_load_methodE3ELS4_3ELS4_3ELNS0_20block_scan_algorithmE0ELj4294967295EEENS1_25partition_config_selectorILNS1_17partition_subalgoE4EjNS0_10empty_typeEbEEZZNS1_14partition_implILS8_4ELb0ES6_15HIP_vector_typeIjLj2EENS0_17counting_iteratorIjlEEPS9_SG_NS0_5tupleIJPjSI_NS0_16reverse_iteratorISI_EEEEENSH_IJSG_SG_SG_EEES9_SI_JZNS1_25segmented_radix_sort_implINS0_14default_configELb0EPK6__halfPSP_PKlPlN2at6native12_GLOBAL__N_18offset_tEEE10hipError_tPvRmT1_PNSt15iterator_traitsIS13_E10value_typeET2_T3_PNS14_IS19_E10value_typeET4_jRbjT5_S1F_jjP12ihipStream_tbEUljE_ZNSN_ISO_Lb0ESR_SS_SU_SV_SZ_EES10_S11_S12_S13_S17_S18_S19_S1C_S1D_jS1E_jS1F_S1F_jjS1H_bEUljE0_EEES10_S11_S12_S19_S1D_S1F_T6_T7_T9_mT8_S1H_bDpT10_ENKUlT_T0_E_clISt17integral_constantIbLb0EES1V_EEDaS1Q_S1R_EUlS1Q_E_NS1_11comp_targetILNS1_3genE5ELNS1_11target_archE942ELNS1_3gpuE9ELNS1_3repE0EEENS1_30default_config_static_selectorELNS0_4arch9wavefront6targetE0EEEvS13_.uses_flat_scratch, 0
	.set _ZN7rocprim17ROCPRIM_400000_NS6detail17trampoline_kernelINS0_13select_configILj256ELj13ELNS0_17block_load_methodE3ELS4_3ELS4_3ELNS0_20block_scan_algorithmE0ELj4294967295EEENS1_25partition_config_selectorILNS1_17partition_subalgoE4EjNS0_10empty_typeEbEEZZNS1_14partition_implILS8_4ELb0ES6_15HIP_vector_typeIjLj2EENS0_17counting_iteratorIjlEEPS9_SG_NS0_5tupleIJPjSI_NS0_16reverse_iteratorISI_EEEEENSH_IJSG_SG_SG_EEES9_SI_JZNS1_25segmented_radix_sort_implINS0_14default_configELb0EPK6__halfPSP_PKlPlN2at6native12_GLOBAL__N_18offset_tEEE10hipError_tPvRmT1_PNSt15iterator_traitsIS13_E10value_typeET2_T3_PNS14_IS19_E10value_typeET4_jRbjT5_S1F_jjP12ihipStream_tbEUljE_ZNSN_ISO_Lb0ESR_SS_SU_SV_SZ_EES10_S11_S12_S13_S17_S18_S19_S1C_S1D_jS1E_jS1F_S1F_jjS1H_bEUljE0_EEES10_S11_S12_S19_S1D_S1F_T6_T7_T9_mT8_S1H_bDpT10_ENKUlT_T0_E_clISt17integral_constantIbLb0EES1V_EEDaS1Q_S1R_EUlS1Q_E_NS1_11comp_targetILNS1_3genE5ELNS1_11target_archE942ELNS1_3gpuE9ELNS1_3repE0EEENS1_30default_config_static_selectorELNS0_4arch9wavefront6targetE0EEEvS13_.has_dyn_sized_stack, 0
	.set _ZN7rocprim17ROCPRIM_400000_NS6detail17trampoline_kernelINS0_13select_configILj256ELj13ELNS0_17block_load_methodE3ELS4_3ELS4_3ELNS0_20block_scan_algorithmE0ELj4294967295EEENS1_25partition_config_selectorILNS1_17partition_subalgoE4EjNS0_10empty_typeEbEEZZNS1_14partition_implILS8_4ELb0ES6_15HIP_vector_typeIjLj2EENS0_17counting_iteratorIjlEEPS9_SG_NS0_5tupleIJPjSI_NS0_16reverse_iteratorISI_EEEEENSH_IJSG_SG_SG_EEES9_SI_JZNS1_25segmented_radix_sort_implINS0_14default_configELb0EPK6__halfPSP_PKlPlN2at6native12_GLOBAL__N_18offset_tEEE10hipError_tPvRmT1_PNSt15iterator_traitsIS13_E10value_typeET2_T3_PNS14_IS19_E10value_typeET4_jRbjT5_S1F_jjP12ihipStream_tbEUljE_ZNSN_ISO_Lb0ESR_SS_SU_SV_SZ_EES10_S11_S12_S13_S17_S18_S19_S1C_S1D_jS1E_jS1F_S1F_jjS1H_bEUljE0_EEES10_S11_S12_S19_S1D_S1F_T6_T7_T9_mT8_S1H_bDpT10_ENKUlT_T0_E_clISt17integral_constantIbLb0EES1V_EEDaS1Q_S1R_EUlS1Q_E_NS1_11comp_targetILNS1_3genE5ELNS1_11target_archE942ELNS1_3gpuE9ELNS1_3repE0EEENS1_30default_config_static_selectorELNS0_4arch9wavefront6targetE0EEEvS13_.has_recursion, 0
	.set _ZN7rocprim17ROCPRIM_400000_NS6detail17trampoline_kernelINS0_13select_configILj256ELj13ELNS0_17block_load_methodE3ELS4_3ELS4_3ELNS0_20block_scan_algorithmE0ELj4294967295EEENS1_25partition_config_selectorILNS1_17partition_subalgoE4EjNS0_10empty_typeEbEEZZNS1_14partition_implILS8_4ELb0ES6_15HIP_vector_typeIjLj2EENS0_17counting_iteratorIjlEEPS9_SG_NS0_5tupleIJPjSI_NS0_16reverse_iteratorISI_EEEEENSH_IJSG_SG_SG_EEES9_SI_JZNS1_25segmented_radix_sort_implINS0_14default_configELb0EPK6__halfPSP_PKlPlN2at6native12_GLOBAL__N_18offset_tEEE10hipError_tPvRmT1_PNSt15iterator_traitsIS13_E10value_typeET2_T3_PNS14_IS19_E10value_typeET4_jRbjT5_S1F_jjP12ihipStream_tbEUljE_ZNSN_ISO_Lb0ESR_SS_SU_SV_SZ_EES10_S11_S12_S13_S17_S18_S19_S1C_S1D_jS1E_jS1F_S1F_jjS1H_bEUljE0_EEES10_S11_S12_S19_S1D_S1F_T6_T7_T9_mT8_S1H_bDpT10_ENKUlT_T0_E_clISt17integral_constantIbLb0EES1V_EEDaS1Q_S1R_EUlS1Q_E_NS1_11comp_targetILNS1_3genE5ELNS1_11target_archE942ELNS1_3gpuE9ELNS1_3repE0EEENS1_30default_config_static_selectorELNS0_4arch9wavefront6targetE0EEEvS13_.has_indirect_call, 0
	.section	.AMDGPU.csdata,"",@progbits
; Kernel info:
; codeLenInByte = 0
; TotalNumSgprs: 0
; NumVgprs: 0
; ScratchSize: 0
; MemoryBound: 0
; FloatMode: 240
; IeeeMode: 1
; LDSByteSize: 0 bytes/workgroup (compile time only)
; SGPRBlocks: 0
; VGPRBlocks: 0
; NumSGPRsForWavesPerEU: 1
; NumVGPRsForWavesPerEU: 1
; Occupancy: 16
; WaveLimiterHint : 0
; COMPUTE_PGM_RSRC2:SCRATCH_EN: 0
; COMPUTE_PGM_RSRC2:USER_SGPR: 6
; COMPUTE_PGM_RSRC2:TRAP_HANDLER: 0
; COMPUTE_PGM_RSRC2:TGID_X_EN: 1
; COMPUTE_PGM_RSRC2:TGID_Y_EN: 0
; COMPUTE_PGM_RSRC2:TGID_Z_EN: 0
; COMPUTE_PGM_RSRC2:TIDIG_COMP_CNT: 0
	.section	.text._ZN7rocprim17ROCPRIM_400000_NS6detail17trampoline_kernelINS0_13select_configILj256ELj13ELNS0_17block_load_methodE3ELS4_3ELS4_3ELNS0_20block_scan_algorithmE0ELj4294967295EEENS1_25partition_config_selectorILNS1_17partition_subalgoE4EjNS0_10empty_typeEbEEZZNS1_14partition_implILS8_4ELb0ES6_15HIP_vector_typeIjLj2EENS0_17counting_iteratorIjlEEPS9_SG_NS0_5tupleIJPjSI_NS0_16reverse_iteratorISI_EEEEENSH_IJSG_SG_SG_EEES9_SI_JZNS1_25segmented_radix_sort_implINS0_14default_configELb0EPK6__halfPSP_PKlPlN2at6native12_GLOBAL__N_18offset_tEEE10hipError_tPvRmT1_PNSt15iterator_traitsIS13_E10value_typeET2_T3_PNS14_IS19_E10value_typeET4_jRbjT5_S1F_jjP12ihipStream_tbEUljE_ZNSN_ISO_Lb0ESR_SS_SU_SV_SZ_EES10_S11_S12_S13_S17_S18_S19_S1C_S1D_jS1E_jS1F_S1F_jjS1H_bEUljE0_EEES10_S11_S12_S19_S1D_S1F_T6_T7_T9_mT8_S1H_bDpT10_ENKUlT_T0_E_clISt17integral_constantIbLb0EES1V_EEDaS1Q_S1R_EUlS1Q_E_NS1_11comp_targetILNS1_3genE4ELNS1_11target_archE910ELNS1_3gpuE8ELNS1_3repE0EEENS1_30default_config_static_selectorELNS0_4arch9wavefront6targetE0EEEvS13_,"axG",@progbits,_ZN7rocprim17ROCPRIM_400000_NS6detail17trampoline_kernelINS0_13select_configILj256ELj13ELNS0_17block_load_methodE3ELS4_3ELS4_3ELNS0_20block_scan_algorithmE0ELj4294967295EEENS1_25partition_config_selectorILNS1_17partition_subalgoE4EjNS0_10empty_typeEbEEZZNS1_14partition_implILS8_4ELb0ES6_15HIP_vector_typeIjLj2EENS0_17counting_iteratorIjlEEPS9_SG_NS0_5tupleIJPjSI_NS0_16reverse_iteratorISI_EEEEENSH_IJSG_SG_SG_EEES9_SI_JZNS1_25segmented_radix_sort_implINS0_14default_configELb0EPK6__halfPSP_PKlPlN2at6native12_GLOBAL__N_18offset_tEEE10hipError_tPvRmT1_PNSt15iterator_traitsIS13_E10value_typeET2_T3_PNS14_IS19_E10value_typeET4_jRbjT5_S1F_jjP12ihipStream_tbEUljE_ZNSN_ISO_Lb0ESR_SS_SU_SV_SZ_EES10_S11_S12_S13_S17_S18_S19_S1C_S1D_jS1E_jS1F_S1F_jjS1H_bEUljE0_EEES10_S11_S12_S19_S1D_S1F_T6_T7_T9_mT8_S1H_bDpT10_ENKUlT_T0_E_clISt17integral_constantIbLb0EES1V_EEDaS1Q_S1R_EUlS1Q_E_NS1_11comp_targetILNS1_3genE4ELNS1_11target_archE910ELNS1_3gpuE8ELNS1_3repE0EEENS1_30default_config_static_selectorELNS0_4arch9wavefront6targetE0EEEvS13_,comdat
	.globl	_ZN7rocprim17ROCPRIM_400000_NS6detail17trampoline_kernelINS0_13select_configILj256ELj13ELNS0_17block_load_methodE3ELS4_3ELS4_3ELNS0_20block_scan_algorithmE0ELj4294967295EEENS1_25partition_config_selectorILNS1_17partition_subalgoE4EjNS0_10empty_typeEbEEZZNS1_14partition_implILS8_4ELb0ES6_15HIP_vector_typeIjLj2EENS0_17counting_iteratorIjlEEPS9_SG_NS0_5tupleIJPjSI_NS0_16reverse_iteratorISI_EEEEENSH_IJSG_SG_SG_EEES9_SI_JZNS1_25segmented_radix_sort_implINS0_14default_configELb0EPK6__halfPSP_PKlPlN2at6native12_GLOBAL__N_18offset_tEEE10hipError_tPvRmT1_PNSt15iterator_traitsIS13_E10value_typeET2_T3_PNS14_IS19_E10value_typeET4_jRbjT5_S1F_jjP12ihipStream_tbEUljE_ZNSN_ISO_Lb0ESR_SS_SU_SV_SZ_EES10_S11_S12_S13_S17_S18_S19_S1C_S1D_jS1E_jS1F_S1F_jjS1H_bEUljE0_EEES10_S11_S12_S19_S1D_S1F_T6_T7_T9_mT8_S1H_bDpT10_ENKUlT_T0_E_clISt17integral_constantIbLb0EES1V_EEDaS1Q_S1R_EUlS1Q_E_NS1_11comp_targetILNS1_3genE4ELNS1_11target_archE910ELNS1_3gpuE8ELNS1_3repE0EEENS1_30default_config_static_selectorELNS0_4arch9wavefront6targetE0EEEvS13_ ; -- Begin function _ZN7rocprim17ROCPRIM_400000_NS6detail17trampoline_kernelINS0_13select_configILj256ELj13ELNS0_17block_load_methodE3ELS4_3ELS4_3ELNS0_20block_scan_algorithmE0ELj4294967295EEENS1_25partition_config_selectorILNS1_17partition_subalgoE4EjNS0_10empty_typeEbEEZZNS1_14partition_implILS8_4ELb0ES6_15HIP_vector_typeIjLj2EENS0_17counting_iteratorIjlEEPS9_SG_NS0_5tupleIJPjSI_NS0_16reverse_iteratorISI_EEEEENSH_IJSG_SG_SG_EEES9_SI_JZNS1_25segmented_radix_sort_implINS0_14default_configELb0EPK6__halfPSP_PKlPlN2at6native12_GLOBAL__N_18offset_tEEE10hipError_tPvRmT1_PNSt15iterator_traitsIS13_E10value_typeET2_T3_PNS14_IS19_E10value_typeET4_jRbjT5_S1F_jjP12ihipStream_tbEUljE_ZNSN_ISO_Lb0ESR_SS_SU_SV_SZ_EES10_S11_S12_S13_S17_S18_S19_S1C_S1D_jS1E_jS1F_S1F_jjS1H_bEUljE0_EEES10_S11_S12_S19_S1D_S1F_T6_T7_T9_mT8_S1H_bDpT10_ENKUlT_T0_E_clISt17integral_constantIbLb0EES1V_EEDaS1Q_S1R_EUlS1Q_E_NS1_11comp_targetILNS1_3genE4ELNS1_11target_archE910ELNS1_3gpuE8ELNS1_3repE0EEENS1_30default_config_static_selectorELNS0_4arch9wavefront6targetE0EEEvS13_
	.p2align	8
	.type	_ZN7rocprim17ROCPRIM_400000_NS6detail17trampoline_kernelINS0_13select_configILj256ELj13ELNS0_17block_load_methodE3ELS4_3ELS4_3ELNS0_20block_scan_algorithmE0ELj4294967295EEENS1_25partition_config_selectorILNS1_17partition_subalgoE4EjNS0_10empty_typeEbEEZZNS1_14partition_implILS8_4ELb0ES6_15HIP_vector_typeIjLj2EENS0_17counting_iteratorIjlEEPS9_SG_NS0_5tupleIJPjSI_NS0_16reverse_iteratorISI_EEEEENSH_IJSG_SG_SG_EEES9_SI_JZNS1_25segmented_radix_sort_implINS0_14default_configELb0EPK6__halfPSP_PKlPlN2at6native12_GLOBAL__N_18offset_tEEE10hipError_tPvRmT1_PNSt15iterator_traitsIS13_E10value_typeET2_T3_PNS14_IS19_E10value_typeET4_jRbjT5_S1F_jjP12ihipStream_tbEUljE_ZNSN_ISO_Lb0ESR_SS_SU_SV_SZ_EES10_S11_S12_S13_S17_S18_S19_S1C_S1D_jS1E_jS1F_S1F_jjS1H_bEUljE0_EEES10_S11_S12_S19_S1D_S1F_T6_T7_T9_mT8_S1H_bDpT10_ENKUlT_T0_E_clISt17integral_constantIbLb0EES1V_EEDaS1Q_S1R_EUlS1Q_E_NS1_11comp_targetILNS1_3genE4ELNS1_11target_archE910ELNS1_3gpuE8ELNS1_3repE0EEENS1_30default_config_static_selectorELNS0_4arch9wavefront6targetE0EEEvS13_,@function
_ZN7rocprim17ROCPRIM_400000_NS6detail17trampoline_kernelINS0_13select_configILj256ELj13ELNS0_17block_load_methodE3ELS4_3ELS4_3ELNS0_20block_scan_algorithmE0ELj4294967295EEENS1_25partition_config_selectorILNS1_17partition_subalgoE4EjNS0_10empty_typeEbEEZZNS1_14partition_implILS8_4ELb0ES6_15HIP_vector_typeIjLj2EENS0_17counting_iteratorIjlEEPS9_SG_NS0_5tupleIJPjSI_NS0_16reverse_iteratorISI_EEEEENSH_IJSG_SG_SG_EEES9_SI_JZNS1_25segmented_radix_sort_implINS0_14default_configELb0EPK6__halfPSP_PKlPlN2at6native12_GLOBAL__N_18offset_tEEE10hipError_tPvRmT1_PNSt15iterator_traitsIS13_E10value_typeET2_T3_PNS14_IS19_E10value_typeET4_jRbjT5_S1F_jjP12ihipStream_tbEUljE_ZNSN_ISO_Lb0ESR_SS_SU_SV_SZ_EES10_S11_S12_S13_S17_S18_S19_S1C_S1D_jS1E_jS1F_S1F_jjS1H_bEUljE0_EEES10_S11_S12_S19_S1D_S1F_T6_T7_T9_mT8_S1H_bDpT10_ENKUlT_T0_E_clISt17integral_constantIbLb0EES1V_EEDaS1Q_S1R_EUlS1Q_E_NS1_11comp_targetILNS1_3genE4ELNS1_11target_archE910ELNS1_3gpuE8ELNS1_3repE0EEENS1_30default_config_static_selectorELNS0_4arch9wavefront6targetE0EEEvS13_: ; @_ZN7rocprim17ROCPRIM_400000_NS6detail17trampoline_kernelINS0_13select_configILj256ELj13ELNS0_17block_load_methodE3ELS4_3ELS4_3ELNS0_20block_scan_algorithmE0ELj4294967295EEENS1_25partition_config_selectorILNS1_17partition_subalgoE4EjNS0_10empty_typeEbEEZZNS1_14partition_implILS8_4ELb0ES6_15HIP_vector_typeIjLj2EENS0_17counting_iteratorIjlEEPS9_SG_NS0_5tupleIJPjSI_NS0_16reverse_iteratorISI_EEEEENSH_IJSG_SG_SG_EEES9_SI_JZNS1_25segmented_radix_sort_implINS0_14default_configELb0EPK6__halfPSP_PKlPlN2at6native12_GLOBAL__N_18offset_tEEE10hipError_tPvRmT1_PNSt15iterator_traitsIS13_E10value_typeET2_T3_PNS14_IS19_E10value_typeET4_jRbjT5_S1F_jjP12ihipStream_tbEUljE_ZNSN_ISO_Lb0ESR_SS_SU_SV_SZ_EES10_S11_S12_S13_S17_S18_S19_S1C_S1D_jS1E_jS1F_S1F_jjS1H_bEUljE0_EEES10_S11_S12_S19_S1D_S1F_T6_T7_T9_mT8_S1H_bDpT10_ENKUlT_T0_E_clISt17integral_constantIbLb0EES1V_EEDaS1Q_S1R_EUlS1Q_E_NS1_11comp_targetILNS1_3genE4ELNS1_11target_archE910ELNS1_3gpuE8ELNS1_3repE0EEENS1_30default_config_static_selectorELNS0_4arch9wavefront6targetE0EEEvS13_
; %bb.0:
	.section	.rodata,"a",@progbits
	.p2align	6, 0x0
	.amdhsa_kernel _ZN7rocprim17ROCPRIM_400000_NS6detail17trampoline_kernelINS0_13select_configILj256ELj13ELNS0_17block_load_methodE3ELS4_3ELS4_3ELNS0_20block_scan_algorithmE0ELj4294967295EEENS1_25partition_config_selectorILNS1_17partition_subalgoE4EjNS0_10empty_typeEbEEZZNS1_14partition_implILS8_4ELb0ES6_15HIP_vector_typeIjLj2EENS0_17counting_iteratorIjlEEPS9_SG_NS0_5tupleIJPjSI_NS0_16reverse_iteratorISI_EEEEENSH_IJSG_SG_SG_EEES9_SI_JZNS1_25segmented_radix_sort_implINS0_14default_configELb0EPK6__halfPSP_PKlPlN2at6native12_GLOBAL__N_18offset_tEEE10hipError_tPvRmT1_PNSt15iterator_traitsIS13_E10value_typeET2_T3_PNS14_IS19_E10value_typeET4_jRbjT5_S1F_jjP12ihipStream_tbEUljE_ZNSN_ISO_Lb0ESR_SS_SU_SV_SZ_EES10_S11_S12_S13_S17_S18_S19_S1C_S1D_jS1E_jS1F_S1F_jjS1H_bEUljE0_EEES10_S11_S12_S19_S1D_S1F_T6_T7_T9_mT8_S1H_bDpT10_ENKUlT_T0_E_clISt17integral_constantIbLb0EES1V_EEDaS1Q_S1R_EUlS1Q_E_NS1_11comp_targetILNS1_3genE4ELNS1_11target_archE910ELNS1_3gpuE8ELNS1_3repE0EEENS1_30default_config_static_selectorELNS0_4arch9wavefront6targetE0EEEvS13_
		.amdhsa_group_segment_fixed_size 0
		.amdhsa_private_segment_fixed_size 0
		.amdhsa_kernarg_size 176
		.amdhsa_user_sgpr_count 6
		.amdhsa_user_sgpr_private_segment_buffer 1
		.amdhsa_user_sgpr_dispatch_ptr 0
		.amdhsa_user_sgpr_queue_ptr 0
		.amdhsa_user_sgpr_kernarg_segment_ptr 1
		.amdhsa_user_sgpr_dispatch_id 0
		.amdhsa_user_sgpr_flat_scratch_init 0
		.amdhsa_user_sgpr_private_segment_size 0
		.amdhsa_wavefront_size32 1
		.amdhsa_uses_dynamic_stack 0
		.amdhsa_system_sgpr_private_segment_wavefront_offset 0
		.amdhsa_system_sgpr_workgroup_id_x 1
		.amdhsa_system_sgpr_workgroup_id_y 0
		.amdhsa_system_sgpr_workgroup_id_z 0
		.amdhsa_system_sgpr_workgroup_info 0
		.amdhsa_system_vgpr_workitem_id 0
		.amdhsa_next_free_vgpr 1
		.amdhsa_next_free_sgpr 1
		.amdhsa_reserve_vcc 0
		.amdhsa_reserve_flat_scratch 0
		.amdhsa_float_round_mode_32 0
		.amdhsa_float_round_mode_16_64 0
		.amdhsa_float_denorm_mode_32 3
		.amdhsa_float_denorm_mode_16_64 3
		.amdhsa_dx10_clamp 1
		.amdhsa_ieee_mode 1
		.amdhsa_fp16_overflow 0
		.amdhsa_workgroup_processor_mode 1
		.amdhsa_memory_ordered 1
		.amdhsa_forward_progress 1
		.amdhsa_shared_vgpr_count 0
		.amdhsa_exception_fp_ieee_invalid_op 0
		.amdhsa_exception_fp_denorm_src 0
		.amdhsa_exception_fp_ieee_div_zero 0
		.amdhsa_exception_fp_ieee_overflow 0
		.amdhsa_exception_fp_ieee_underflow 0
		.amdhsa_exception_fp_ieee_inexact 0
		.amdhsa_exception_int_div_zero 0
	.end_amdhsa_kernel
	.section	.text._ZN7rocprim17ROCPRIM_400000_NS6detail17trampoline_kernelINS0_13select_configILj256ELj13ELNS0_17block_load_methodE3ELS4_3ELS4_3ELNS0_20block_scan_algorithmE0ELj4294967295EEENS1_25partition_config_selectorILNS1_17partition_subalgoE4EjNS0_10empty_typeEbEEZZNS1_14partition_implILS8_4ELb0ES6_15HIP_vector_typeIjLj2EENS0_17counting_iteratorIjlEEPS9_SG_NS0_5tupleIJPjSI_NS0_16reverse_iteratorISI_EEEEENSH_IJSG_SG_SG_EEES9_SI_JZNS1_25segmented_radix_sort_implINS0_14default_configELb0EPK6__halfPSP_PKlPlN2at6native12_GLOBAL__N_18offset_tEEE10hipError_tPvRmT1_PNSt15iterator_traitsIS13_E10value_typeET2_T3_PNS14_IS19_E10value_typeET4_jRbjT5_S1F_jjP12ihipStream_tbEUljE_ZNSN_ISO_Lb0ESR_SS_SU_SV_SZ_EES10_S11_S12_S13_S17_S18_S19_S1C_S1D_jS1E_jS1F_S1F_jjS1H_bEUljE0_EEES10_S11_S12_S19_S1D_S1F_T6_T7_T9_mT8_S1H_bDpT10_ENKUlT_T0_E_clISt17integral_constantIbLb0EES1V_EEDaS1Q_S1R_EUlS1Q_E_NS1_11comp_targetILNS1_3genE4ELNS1_11target_archE910ELNS1_3gpuE8ELNS1_3repE0EEENS1_30default_config_static_selectorELNS0_4arch9wavefront6targetE0EEEvS13_,"axG",@progbits,_ZN7rocprim17ROCPRIM_400000_NS6detail17trampoline_kernelINS0_13select_configILj256ELj13ELNS0_17block_load_methodE3ELS4_3ELS4_3ELNS0_20block_scan_algorithmE0ELj4294967295EEENS1_25partition_config_selectorILNS1_17partition_subalgoE4EjNS0_10empty_typeEbEEZZNS1_14partition_implILS8_4ELb0ES6_15HIP_vector_typeIjLj2EENS0_17counting_iteratorIjlEEPS9_SG_NS0_5tupleIJPjSI_NS0_16reverse_iteratorISI_EEEEENSH_IJSG_SG_SG_EEES9_SI_JZNS1_25segmented_radix_sort_implINS0_14default_configELb0EPK6__halfPSP_PKlPlN2at6native12_GLOBAL__N_18offset_tEEE10hipError_tPvRmT1_PNSt15iterator_traitsIS13_E10value_typeET2_T3_PNS14_IS19_E10value_typeET4_jRbjT5_S1F_jjP12ihipStream_tbEUljE_ZNSN_ISO_Lb0ESR_SS_SU_SV_SZ_EES10_S11_S12_S13_S17_S18_S19_S1C_S1D_jS1E_jS1F_S1F_jjS1H_bEUljE0_EEES10_S11_S12_S19_S1D_S1F_T6_T7_T9_mT8_S1H_bDpT10_ENKUlT_T0_E_clISt17integral_constantIbLb0EES1V_EEDaS1Q_S1R_EUlS1Q_E_NS1_11comp_targetILNS1_3genE4ELNS1_11target_archE910ELNS1_3gpuE8ELNS1_3repE0EEENS1_30default_config_static_selectorELNS0_4arch9wavefront6targetE0EEEvS13_,comdat
.Lfunc_end1770:
	.size	_ZN7rocprim17ROCPRIM_400000_NS6detail17trampoline_kernelINS0_13select_configILj256ELj13ELNS0_17block_load_methodE3ELS4_3ELS4_3ELNS0_20block_scan_algorithmE0ELj4294967295EEENS1_25partition_config_selectorILNS1_17partition_subalgoE4EjNS0_10empty_typeEbEEZZNS1_14partition_implILS8_4ELb0ES6_15HIP_vector_typeIjLj2EENS0_17counting_iteratorIjlEEPS9_SG_NS0_5tupleIJPjSI_NS0_16reverse_iteratorISI_EEEEENSH_IJSG_SG_SG_EEES9_SI_JZNS1_25segmented_radix_sort_implINS0_14default_configELb0EPK6__halfPSP_PKlPlN2at6native12_GLOBAL__N_18offset_tEEE10hipError_tPvRmT1_PNSt15iterator_traitsIS13_E10value_typeET2_T3_PNS14_IS19_E10value_typeET4_jRbjT5_S1F_jjP12ihipStream_tbEUljE_ZNSN_ISO_Lb0ESR_SS_SU_SV_SZ_EES10_S11_S12_S13_S17_S18_S19_S1C_S1D_jS1E_jS1F_S1F_jjS1H_bEUljE0_EEES10_S11_S12_S19_S1D_S1F_T6_T7_T9_mT8_S1H_bDpT10_ENKUlT_T0_E_clISt17integral_constantIbLb0EES1V_EEDaS1Q_S1R_EUlS1Q_E_NS1_11comp_targetILNS1_3genE4ELNS1_11target_archE910ELNS1_3gpuE8ELNS1_3repE0EEENS1_30default_config_static_selectorELNS0_4arch9wavefront6targetE0EEEvS13_, .Lfunc_end1770-_ZN7rocprim17ROCPRIM_400000_NS6detail17trampoline_kernelINS0_13select_configILj256ELj13ELNS0_17block_load_methodE3ELS4_3ELS4_3ELNS0_20block_scan_algorithmE0ELj4294967295EEENS1_25partition_config_selectorILNS1_17partition_subalgoE4EjNS0_10empty_typeEbEEZZNS1_14partition_implILS8_4ELb0ES6_15HIP_vector_typeIjLj2EENS0_17counting_iteratorIjlEEPS9_SG_NS0_5tupleIJPjSI_NS0_16reverse_iteratorISI_EEEEENSH_IJSG_SG_SG_EEES9_SI_JZNS1_25segmented_radix_sort_implINS0_14default_configELb0EPK6__halfPSP_PKlPlN2at6native12_GLOBAL__N_18offset_tEEE10hipError_tPvRmT1_PNSt15iterator_traitsIS13_E10value_typeET2_T3_PNS14_IS19_E10value_typeET4_jRbjT5_S1F_jjP12ihipStream_tbEUljE_ZNSN_ISO_Lb0ESR_SS_SU_SV_SZ_EES10_S11_S12_S13_S17_S18_S19_S1C_S1D_jS1E_jS1F_S1F_jjS1H_bEUljE0_EEES10_S11_S12_S19_S1D_S1F_T6_T7_T9_mT8_S1H_bDpT10_ENKUlT_T0_E_clISt17integral_constantIbLb0EES1V_EEDaS1Q_S1R_EUlS1Q_E_NS1_11comp_targetILNS1_3genE4ELNS1_11target_archE910ELNS1_3gpuE8ELNS1_3repE0EEENS1_30default_config_static_selectorELNS0_4arch9wavefront6targetE0EEEvS13_
                                        ; -- End function
	.set _ZN7rocprim17ROCPRIM_400000_NS6detail17trampoline_kernelINS0_13select_configILj256ELj13ELNS0_17block_load_methodE3ELS4_3ELS4_3ELNS0_20block_scan_algorithmE0ELj4294967295EEENS1_25partition_config_selectorILNS1_17partition_subalgoE4EjNS0_10empty_typeEbEEZZNS1_14partition_implILS8_4ELb0ES6_15HIP_vector_typeIjLj2EENS0_17counting_iteratorIjlEEPS9_SG_NS0_5tupleIJPjSI_NS0_16reverse_iteratorISI_EEEEENSH_IJSG_SG_SG_EEES9_SI_JZNS1_25segmented_radix_sort_implINS0_14default_configELb0EPK6__halfPSP_PKlPlN2at6native12_GLOBAL__N_18offset_tEEE10hipError_tPvRmT1_PNSt15iterator_traitsIS13_E10value_typeET2_T3_PNS14_IS19_E10value_typeET4_jRbjT5_S1F_jjP12ihipStream_tbEUljE_ZNSN_ISO_Lb0ESR_SS_SU_SV_SZ_EES10_S11_S12_S13_S17_S18_S19_S1C_S1D_jS1E_jS1F_S1F_jjS1H_bEUljE0_EEES10_S11_S12_S19_S1D_S1F_T6_T7_T9_mT8_S1H_bDpT10_ENKUlT_T0_E_clISt17integral_constantIbLb0EES1V_EEDaS1Q_S1R_EUlS1Q_E_NS1_11comp_targetILNS1_3genE4ELNS1_11target_archE910ELNS1_3gpuE8ELNS1_3repE0EEENS1_30default_config_static_selectorELNS0_4arch9wavefront6targetE0EEEvS13_.num_vgpr, 0
	.set _ZN7rocprim17ROCPRIM_400000_NS6detail17trampoline_kernelINS0_13select_configILj256ELj13ELNS0_17block_load_methodE3ELS4_3ELS4_3ELNS0_20block_scan_algorithmE0ELj4294967295EEENS1_25partition_config_selectorILNS1_17partition_subalgoE4EjNS0_10empty_typeEbEEZZNS1_14partition_implILS8_4ELb0ES6_15HIP_vector_typeIjLj2EENS0_17counting_iteratorIjlEEPS9_SG_NS0_5tupleIJPjSI_NS0_16reverse_iteratorISI_EEEEENSH_IJSG_SG_SG_EEES9_SI_JZNS1_25segmented_radix_sort_implINS0_14default_configELb0EPK6__halfPSP_PKlPlN2at6native12_GLOBAL__N_18offset_tEEE10hipError_tPvRmT1_PNSt15iterator_traitsIS13_E10value_typeET2_T3_PNS14_IS19_E10value_typeET4_jRbjT5_S1F_jjP12ihipStream_tbEUljE_ZNSN_ISO_Lb0ESR_SS_SU_SV_SZ_EES10_S11_S12_S13_S17_S18_S19_S1C_S1D_jS1E_jS1F_S1F_jjS1H_bEUljE0_EEES10_S11_S12_S19_S1D_S1F_T6_T7_T9_mT8_S1H_bDpT10_ENKUlT_T0_E_clISt17integral_constantIbLb0EES1V_EEDaS1Q_S1R_EUlS1Q_E_NS1_11comp_targetILNS1_3genE4ELNS1_11target_archE910ELNS1_3gpuE8ELNS1_3repE0EEENS1_30default_config_static_selectorELNS0_4arch9wavefront6targetE0EEEvS13_.num_agpr, 0
	.set _ZN7rocprim17ROCPRIM_400000_NS6detail17trampoline_kernelINS0_13select_configILj256ELj13ELNS0_17block_load_methodE3ELS4_3ELS4_3ELNS0_20block_scan_algorithmE0ELj4294967295EEENS1_25partition_config_selectorILNS1_17partition_subalgoE4EjNS0_10empty_typeEbEEZZNS1_14partition_implILS8_4ELb0ES6_15HIP_vector_typeIjLj2EENS0_17counting_iteratorIjlEEPS9_SG_NS0_5tupleIJPjSI_NS0_16reverse_iteratorISI_EEEEENSH_IJSG_SG_SG_EEES9_SI_JZNS1_25segmented_radix_sort_implINS0_14default_configELb0EPK6__halfPSP_PKlPlN2at6native12_GLOBAL__N_18offset_tEEE10hipError_tPvRmT1_PNSt15iterator_traitsIS13_E10value_typeET2_T3_PNS14_IS19_E10value_typeET4_jRbjT5_S1F_jjP12ihipStream_tbEUljE_ZNSN_ISO_Lb0ESR_SS_SU_SV_SZ_EES10_S11_S12_S13_S17_S18_S19_S1C_S1D_jS1E_jS1F_S1F_jjS1H_bEUljE0_EEES10_S11_S12_S19_S1D_S1F_T6_T7_T9_mT8_S1H_bDpT10_ENKUlT_T0_E_clISt17integral_constantIbLb0EES1V_EEDaS1Q_S1R_EUlS1Q_E_NS1_11comp_targetILNS1_3genE4ELNS1_11target_archE910ELNS1_3gpuE8ELNS1_3repE0EEENS1_30default_config_static_selectorELNS0_4arch9wavefront6targetE0EEEvS13_.numbered_sgpr, 0
	.set _ZN7rocprim17ROCPRIM_400000_NS6detail17trampoline_kernelINS0_13select_configILj256ELj13ELNS0_17block_load_methodE3ELS4_3ELS4_3ELNS0_20block_scan_algorithmE0ELj4294967295EEENS1_25partition_config_selectorILNS1_17partition_subalgoE4EjNS0_10empty_typeEbEEZZNS1_14partition_implILS8_4ELb0ES6_15HIP_vector_typeIjLj2EENS0_17counting_iteratorIjlEEPS9_SG_NS0_5tupleIJPjSI_NS0_16reverse_iteratorISI_EEEEENSH_IJSG_SG_SG_EEES9_SI_JZNS1_25segmented_radix_sort_implINS0_14default_configELb0EPK6__halfPSP_PKlPlN2at6native12_GLOBAL__N_18offset_tEEE10hipError_tPvRmT1_PNSt15iterator_traitsIS13_E10value_typeET2_T3_PNS14_IS19_E10value_typeET4_jRbjT5_S1F_jjP12ihipStream_tbEUljE_ZNSN_ISO_Lb0ESR_SS_SU_SV_SZ_EES10_S11_S12_S13_S17_S18_S19_S1C_S1D_jS1E_jS1F_S1F_jjS1H_bEUljE0_EEES10_S11_S12_S19_S1D_S1F_T6_T7_T9_mT8_S1H_bDpT10_ENKUlT_T0_E_clISt17integral_constantIbLb0EES1V_EEDaS1Q_S1R_EUlS1Q_E_NS1_11comp_targetILNS1_3genE4ELNS1_11target_archE910ELNS1_3gpuE8ELNS1_3repE0EEENS1_30default_config_static_selectorELNS0_4arch9wavefront6targetE0EEEvS13_.num_named_barrier, 0
	.set _ZN7rocprim17ROCPRIM_400000_NS6detail17trampoline_kernelINS0_13select_configILj256ELj13ELNS0_17block_load_methodE3ELS4_3ELS4_3ELNS0_20block_scan_algorithmE0ELj4294967295EEENS1_25partition_config_selectorILNS1_17partition_subalgoE4EjNS0_10empty_typeEbEEZZNS1_14partition_implILS8_4ELb0ES6_15HIP_vector_typeIjLj2EENS0_17counting_iteratorIjlEEPS9_SG_NS0_5tupleIJPjSI_NS0_16reverse_iteratorISI_EEEEENSH_IJSG_SG_SG_EEES9_SI_JZNS1_25segmented_radix_sort_implINS0_14default_configELb0EPK6__halfPSP_PKlPlN2at6native12_GLOBAL__N_18offset_tEEE10hipError_tPvRmT1_PNSt15iterator_traitsIS13_E10value_typeET2_T3_PNS14_IS19_E10value_typeET4_jRbjT5_S1F_jjP12ihipStream_tbEUljE_ZNSN_ISO_Lb0ESR_SS_SU_SV_SZ_EES10_S11_S12_S13_S17_S18_S19_S1C_S1D_jS1E_jS1F_S1F_jjS1H_bEUljE0_EEES10_S11_S12_S19_S1D_S1F_T6_T7_T9_mT8_S1H_bDpT10_ENKUlT_T0_E_clISt17integral_constantIbLb0EES1V_EEDaS1Q_S1R_EUlS1Q_E_NS1_11comp_targetILNS1_3genE4ELNS1_11target_archE910ELNS1_3gpuE8ELNS1_3repE0EEENS1_30default_config_static_selectorELNS0_4arch9wavefront6targetE0EEEvS13_.private_seg_size, 0
	.set _ZN7rocprim17ROCPRIM_400000_NS6detail17trampoline_kernelINS0_13select_configILj256ELj13ELNS0_17block_load_methodE3ELS4_3ELS4_3ELNS0_20block_scan_algorithmE0ELj4294967295EEENS1_25partition_config_selectorILNS1_17partition_subalgoE4EjNS0_10empty_typeEbEEZZNS1_14partition_implILS8_4ELb0ES6_15HIP_vector_typeIjLj2EENS0_17counting_iteratorIjlEEPS9_SG_NS0_5tupleIJPjSI_NS0_16reverse_iteratorISI_EEEEENSH_IJSG_SG_SG_EEES9_SI_JZNS1_25segmented_radix_sort_implINS0_14default_configELb0EPK6__halfPSP_PKlPlN2at6native12_GLOBAL__N_18offset_tEEE10hipError_tPvRmT1_PNSt15iterator_traitsIS13_E10value_typeET2_T3_PNS14_IS19_E10value_typeET4_jRbjT5_S1F_jjP12ihipStream_tbEUljE_ZNSN_ISO_Lb0ESR_SS_SU_SV_SZ_EES10_S11_S12_S13_S17_S18_S19_S1C_S1D_jS1E_jS1F_S1F_jjS1H_bEUljE0_EEES10_S11_S12_S19_S1D_S1F_T6_T7_T9_mT8_S1H_bDpT10_ENKUlT_T0_E_clISt17integral_constantIbLb0EES1V_EEDaS1Q_S1R_EUlS1Q_E_NS1_11comp_targetILNS1_3genE4ELNS1_11target_archE910ELNS1_3gpuE8ELNS1_3repE0EEENS1_30default_config_static_selectorELNS0_4arch9wavefront6targetE0EEEvS13_.uses_vcc, 0
	.set _ZN7rocprim17ROCPRIM_400000_NS6detail17trampoline_kernelINS0_13select_configILj256ELj13ELNS0_17block_load_methodE3ELS4_3ELS4_3ELNS0_20block_scan_algorithmE0ELj4294967295EEENS1_25partition_config_selectorILNS1_17partition_subalgoE4EjNS0_10empty_typeEbEEZZNS1_14partition_implILS8_4ELb0ES6_15HIP_vector_typeIjLj2EENS0_17counting_iteratorIjlEEPS9_SG_NS0_5tupleIJPjSI_NS0_16reverse_iteratorISI_EEEEENSH_IJSG_SG_SG_EEES9_SI_JZNS1_25segmented_radix_sort_implINS0_14default_configELb0EPK6__halfPSP_PKlPlN2at6native12_GLOBAL__N_18offset_tEEE10hipError_tPvRmT1_PNSt15iterator_traitsIS13_E10value_typeET2_T3_PNS14_IS19_E10value_typeET4_jRbjT5_S1F_jjP12ihipStream_tbEUljE_ZNSN_ISO_Lb0ESR_SS_SU_SV_SZ_EES10_S11_S12_S13_S17_S18_S19_S1C_S1D_jS1E_jS1F_S1F_jjS1H_bEUljE0_EEES10_S11_S12_S19_S1D_S1F_T6_T7_T9_mT8_S1H_bDpT10_ENKUlT_T0_E_clISt17integral_constantIbLb0EES1V_EEDaS1Q_S1R_EUlS1Q_E_NS1_11comp_targetILNS1_3genE4ELNS1_11target_archE910ELNS1_3gpuE8ELNS1_3repE0EEENS1_30default_config_static_selectorELNS0_4arch9wavefront6targetE0EEEvS13_.uses_flat_scratch, 0
	.set _ZN7rocprim17ROCPRIM_400000_NS6detail17trampoline_kernelINS0_13select_configILj256ELj13ELNS0_17block_load_methodE3ELS4_3ELS4_3ELNS0_20block_scan_algorithmE0ELj4294967295EEENS1_25partition_config_selectorILNS1_17partition_subalgoE4EjNS0_10empty_typeEbEEZZNS1_14partition_implILS8_4ELb0ES6_15HIP_vector_typeIjLj2EENS0_17counting_iteratorIjlEEPS9_SG_NS0_5tupleIJPjSI_NS0_16reverse_iteratorISI_EEEEENSH_IJSG_SG_SG_EEES9_SI_JZNS1_25segmented_radix_sort_implINS0_14default_configELb0EPK6__halfPSP_PKlPlN2at6native12_GLOBAL__N_18offset_tEEE10hipError_tPvRmT1_PNSt15iterator_traitsIS13_E10value_typeET2_T3_PNS14_IS19_E10value_typeET4_jRbjT5_S1F_jjP12ihipStream_tbEUljE_ZNSN_ISO_Lb0ESR_SS_SU_SV_SZ_EES10_S11_S12_S13_S17_S18_S19_S1C_S1D_jS1E_jS1F_S1F_jjS1H_bEUljE0_EEES10_S11_S12_S19_S1D_S1F_T6_T7_T9_mT8_S1H_bDpT10_ENKUlT_T0_E_clISt17integral_constantIbLb0EES1V_EEDaS1Q_S1R_EUlS1Q_E_NS1_11comp_targetILNS1_3genE4ELNS1_11target_archE910ELNS1_3gpuE8ELNS1_3repE0EEENS1_30default_config_static_selectorELNS0_4arch9wavefront6targetE0EEEvS13_.has_dyn_sized_stack, 0
	.set _ZN7rocprim17ROCPRIM_400000_NS6detail17trampoline_kernelINS0_13select_configILj256ELj13ELNS0_17block_load_methodE3ELS4_3ELS4_3ELNS0_20block_scan_algorithmE0ELj4294967295EEENS1_25partition_config_selectorILNS1_17partition_subalgoE4EjNS0_10empty_typeEbEEZZNS1_14partition_implILS8_4ELb0ES6_15HIP_vector_typeIjLj2EENS0_17counting_iteratorIjlEEPS9_SG_NS0_5tupleIJPjSI_NS0_16reverse_iteratorISI_EEEEENSH_IJSG_SG_SG_EEES9_SI_JZNS1_25segmented_radix_sort_implINS0_14default_configELb0EPK6__halfPSP_PKlPlN2at6native12_GLOBAL__N_18offset_tEEE10hipError_tPvRmT1_PNSt15iterator_traitsIS13_E10value_typeET2_T3_PNS14_IS19_E10value_typeET4_jRbjT5_S1F_jjP12ihipStream_tbEUljE_ZNSN_ISO_Lb0ESR_SS_SU_SV_SZ_EES10_S11_S12_S13_S17_S18_S19_S1C_S1D_jS1E_jS1F_S1F_jjS1H_bEUljE0_EEES10_S11_S12_S19_S1D_S1F_T6_T7_T9_mT8_S1H_bDpT10_ENKUlT_T0_E_clISt17integral_constantIbLb0EES1V_EEDaS1Q_S1R_EUlS1Q_E_NS1_11comp_targetILNS1_3genE4ELNS1_11target_archE910ELNS1_3gpuE8ELNS1_3repE0EEENS1_30default_config_static_selectorELNS0_4arch9wavefront6targetE0EEEvS13_.has_recursion, 0
	.set _ZN7rocprim17ROCPRIM_400000_NS6detail17trampoline_kernelINS0_13select_configILj256ELj13ELNS0_17block_load_methodE3ELS4_3ELS4_3ELNS0_20block_scan_algorithmE0ELj4294967295EEENS1_25partition_config_selectorILNS1_17partition_subalgoE4EjNS0_10empty_typeEbEEZZNS1_14partition_implILS8_4ELb0ES6_15HIP_vector_typeIjLj2EENS0_17counting_iteratorIjlEEPS9_SG_NS0_5tupleIJPjSI_NS0_16reverse_iteratorISI_EEEEENSH_IJSG_SG_SG_EEES9_SI_JZNS1_25segmented_radix_sort_implINS0_14default_configELb0EPK6__halfPSP_PKlPlN2at6native12_GLOBAL__N_18offset_tEEE10hipError_tPvRmT1_PNSt15iterator_traitsIS13_E10value_typeET2_T3_PNS14_IS19_E10value_typeET4_jRbjT5_S1F_jjP12ihipStream_tbEUljE_ZNSN_ISO_Lb0ESR_SS_SU_SV_SZ_EES10_S11_S12_S13_S17_S18_S19_S1C_S1D_jS1E_jS1F_S1F_jjS1H_bEUljE0_EEES10_S11_S12_S19_S1D_S1F_T6_T7_T9_mT8_S1H_bDpT10_ENKUlT_T0_E_clISt17integral_constantIbLb0EES1V_EEDaS1Q_S1R_EUlS1Q_E_NS1_11comp_targetILNS1_3genE4ELNS1_11target_archE910ELNS1_3gpuE8ELNS1_3repE0EEENS1_30default_config_static_selectorELNS0_4arch9wavefront6targetE0EEEvS13_.has_indirect_call, 0
	.section	.AMDGPU.csdata,"",@progbits
; Kernel info:
; codeLenInByte = 0
; TotalNumSgprs: 0
; NumVgprs: 0
; ScratchSize: 0
; MemoryBound: 0
; FloatMode: 240
; IeeeMode: 1
; LDSByteSize: 0 bytes/workgroup (compile time only)
; SGPRBlocks: 0
; VGPRBlocks: 0
; NumSGPRsForWavesPerEU: 1
; NumVGPRsForWavesPerEU: 1
; Occupancy: 16
; WaveLimiterHint : 0
; COMPUTE_PGM_RSRC2:SCRATCH_EN: 0
; COMPUTE_PGM_RSRC2:USER_SGPR: 6
; COMPUTE_PGM_RSRC2:TRAP_HANDLER: 0
; COMPUTE_PGM_RSRC2:TGID_X_EN: 1
; COMPUTE_PGM_RSRC2:TGID_Y_EN: 0
; COMPUTE_PGM_RSRC2:TGID_Z_EN: 0
; COMPUTE_PGM_RSRC2:TIDIG_COMP_CNT: 0
	.section	.text._ZN7rocprim17ROCPRIM_400000_NS6detail17trampoline_kernelINS0_13select_configILj256ELj13ELNS0_17block_load_methodE3ELS4_3ELS4_3ELNS0_20block_scan_algorithmE0ELj4294967295EEENS1_25partition_config_selectorILNS1_17partition_subalgoE4EjNS0_10empty_typeEbEEZZNS1_14partition_implILS8_4ELb0ES6_15HIP_vector_typeIjLj2EENS0_17counting_iteratorIjlEEPS9_SG_NS0_5tupleIJPjSI_NS0_16reverse_iteratorISI_EEEEENSH_IJSG_SG_SG_EEES9_SI_JZNS1_25segmented_radix_sort_implINS0_14default_configELb0EPK6__halfPSP_PKlPlN2at6native12_GLOBAL__N_18offset_tEEE10hipError_tPvRmT1_PNSt15iterator_traitsIS13_E10value_typeET2_T3_PNS14_IS19_E10value_typeET4_jRbjT5_S1F_jjP12ihipStream_tbEUljE_ZNSN_ISO_Lb0ESR_SS_SU_SV_SZ_EES10_S11_S12_S13_S17_S18_S19_S1C_S1D_jS1E_jS1F_S1F_jjS1H_bEUljE0_EEES10_S11_S12_S19_S1D_S1F_T6_T7_T9_mT8_S1H_bDpT10_ENKUlT_T0_E_clISt17integral_constantIbLb0EES1V_EEDaS1Q_S1R_EUlS1Q_E_NS1_11comp_targetILNS1_3genE3ELNS1_11target_archE908ELNS1_3gpuE7ELNS1_3repE0EEENS1_30default_config_static_selectorELNS0_4arch9wavefront6targetE0EEEvS13_,"axG",@progbits,_ZN7rocprim17ROCPRIM_400000_NS6detail17trampoline_kernelINS0_13select_configILj256ELj13ELNS0_17block_load_methodE3ELS4_3ELS4_3ELNS0_20block_scan_algorithmE0ELj4294967295EEENS1_25partition_config_selectorILNS1_17partition_subalgoE4EjNS0_10empty_typeEbEEZZNS1_14partition_implILS8_4ELb0ES6_15HIP_vector_typeIjLj2EENS0_17counting_iteratorIjlEEPS9_SG_NS0_5tupleIJPjSI_NS0_16reverse_iteratorISI_EEEEENSH_IJSG_SG_SG_EEES9_SI_JZNS1_25segmented_radix_sort_implINS0_14default_configELb0EPK6__halfPSP_PKlPlN2at6native12_GLOBAL__N_18offset_tEEE10hipError_tPvRmT1_PNSt15iterator_traitsIS13_E10value_typeET2_T3_PNS14_IS19_E10value_typeET4_jRbjT5_S1F_jjP12ihipStream_tbEUljE_ZNSN_ISO_Lb0ESR_SS_SU_SV_SZ_EES10_S11_S12_S13_S17_S18_S19_S1C_S1D_jS1E_jS1F_S1F_jjS1H_bEUljE0_EEES10_S11_S12_S19_S1D_S1F_T6_T7_T9_mT8_S1H_bDpT10_ENKUlT_T0_E_clISt17integral_constantIbLb0EES1V_EEDaS1Q_S1R_EUlS1Q_E_NS1_11comp_targetILNS1_3genE3ELNS1_11target_archE908ELNS1_3gpuE7ELNS1_3repE0EEENS1_30default_config_static_selectorELNS0_4arch9wavefront6targetE0EEEvS13_,comdat
	.globl	_ZN7rocprim17ROCPRIM_400000_NS6detail17trampoline_kernelINS0_13select_configILj256ELj13ELNS0_17block_load_methodE3ELS4_3ELS4_3ELNS0_20block_scan_algorithmE0ELj4294967295EEENS1_25partition_config_selectorILNS1_17partition_subalgoE4EjNS0_10empty_typeEbEEZZNS1_14partition_implILS8_4ELb0ES6_15HIP_vector_typeIjLj2EENS0_17counting_iteratorIjlEEPS9_SG_NS0_5tupleIJPjSI_NS0_16reverse_iteratorISI_EEEEENSH_IJSG_SG_SG_EEES9_SI_JZNS1_25segmented_radix_sort_implINS0_14default_configELb0EPK6__halfPSP_PKlPlN2at6native12_GLOBAL__N_18offset_tEEE10hipError_tPvRmT1_PNSt15iterator_traitsIS13_E10value_typeET2_T3_PNS14_IS19_E10value_typeET4_jRbjT5_S1F_jjP12ihipStream_tbEUljE_ZNSN_ISO_Lb0ESR_SS_SU_SV_SZ_EES10_S11_S12_S13_S17_S18_S19_S1C_S1D_jS1E_jS1F_S1F_jjS1H_bEUljE0_EEES10_S11_S12_S19_S1D_S1F_T6_T7_T9_mT8_S1H_bDpT10_ENKUlT_T0_E_clISt17integral_constantIbLb0EES1V_EEDaS1Q_S1R_EUlS1Q_E_NS1_11comp_targetILNS1_3genE3ELNS1_11target_archE908ELNS1_3gpuE7ELNS1_3repE0EEENS1_30default_config_static_selectorELNS0_4arch9wavefront6targetE0EEEvS13_ ; -- Begin function _ZN7rocprim17ROCPRIM_400000_NS6detail17trampoline_kernelINS0_13select_configILj256ELj13ELNS0_17block_load_methodE3ELS4_3ELS4_3ELNS0_20block_scan_algorithmE0ELj4294967295EEENS1_25partition_config_selectorILNS1_17partition_subalgoE4EjNS0_10empty_typeEbEEZZNS1_14partition_implILS8_4ELb0ES6_15HIP_vector_typeIjLj2EENS0_17counting_iteratorIjlEEPS9_SG_NS0_5tupleIJPjSI_NS0_16reverse_iteratorISI_EEEEENSH_IJSG_SG_SG_EEES9_SI_JZNS1_25segmented_radix_sort_implINS0_14default_configELb0EPK6__halfPSP_PKlPlN2at6native12_GLOBAL__N_18offset_tEEE10hipError_tPvRmT1_PNSt15iterator_traitsIS13_E10value_typeET2_T3_PNS14_IS19_E10value_typeET4_jRbjT5_S1F_jjP12ihipStream_tbEUljE_ZNSN_ISO_Lb0ESR_SS_SU_SV_SZ_EES10_S11_S12_S13_S17_S18_S19_S1C_S1D_jS1E_jS1F_S1F_jjS1H_bEUljE0_EEES10_S11_S12_S19_S1D_S1F_T6_T7_T9_mT8_S1H_bDpT10_ENKUlT_T0_E_clISt17integral_constantIbLb0EES1V_EEDaS1Q_S1R_EUlS1Q_E_NS1_11comp_targetILNS1_3genE3ELNS1_11target_archE908ELNS1_3gpuE7ELNS1_3repE0EEENS1_30default_config_static_selectorELNS0_4arch9wavefront6targetE0EEEvS13_
	.p2align	8
	.type	_ZN7rocprim17ROCPRIM_400000_NS6detail17trampoline_kernelINS0_13select_configILj256ELj13ELNS0_17block_load_methodE3ELS4_3ELS4_3ELNS0_20block_scan_algorithmE0ELj4294967295EEENS1_25partition_config_selectorILNS1_17partition_subalgoE4EjNS0_10empty_typeEbEEZZNS1_14partition_implILS8_4ELb0ES6_15HIP_vector_typeIjLj2EENS0_17counting_iteratorIjlEEPS9_SG_NS0_5tupleIJPjSI_NS0_16reverse_iteratorISI_EEEEENSH_IJSG_SG_SG_EEES9_SI_JZNS1_25segmented_radix_sort_implINS0_14default_configELb0EPK6__halfPSP_PKlPlN2at6native12_GLOBAL__N_18offset_tEEE10hipError_tPvRmT1_PNSt15iterator_traitsIS13_E10value_typeET2_T3_PNS14_IS19_E10value_typeET4_jRbjT5_S1F_jjP12ihipStream_tbEUljE_ZNSN_ISO_Lb0ESR_SS_SU_SV_SZ_EES10_S11_S12_S13_S17_S18_S19_S1C_S1D_jS1E_jS1F_S1F_jjS1H_bEUljE0_EEES10_S11_S12_S19_S1D_S1F_T6_T7_T9_mT8_S1H_bDpT10_ENKUlT_T0_E_clISt17integral_constantIbLb0EES1V_EEDaS1Q_S1R_EUlS1Q_E_NS1_11comp_targetILNS1_3genE3ELNS1_11target_archE908ELNS1_3gpuE7ELNS1_3repE0EEENS1_30default_config_static_selectorELNS0_4arch9wavefront6targetE0EEEvS13_,@function
_ZN7rocprim17ROCPRIM_400000_NS6detail17trampoline_kernelINS0_13select_configILj256ELj13ELNS0_17block_load_methodE3ELS4_3ELS4_3ELNS0_20block_scan_algorithmE0ELj4294967295EEENS1_25partition_config_selectorILNS1_17partition_subalgoE4EjNS0_10empty_typeEbEEZZNS1_14partition_implILS8_4ELb0ES6_15HIP_vector_typeIjLj2EENS0_17counting_iteratorIjlEEPS9_SG_NS0_5tupleIJPjSI_NS0_16reverse_iteratorISI_EEEEENSH_IJSG_SG_SG_EEES9_SI_JZNS1_25segmented_radix_sort_implINS0_14default_configELb0EPK6__halfPSP_PKlPlN2at6native12_GLOBAL__N_18offset_tEEE10hipError_tPvRmT1_PNSt15iterator_traitsIS13_E10value_typeET2_T3_PNS14_IS19_E10value_typeET4_jRbjT5_S1F_jjP12ihipStream_tbEUljE_ZNSN_ISO_Lb0ESR_SS_SU_SV_SZ_EES10_S11_S12_S13_S17_S18_S19_S1C_S1D_jS1E_jS1F_S1F_jjS1H_bEUljE0_EEES10_S11_S12_S19_S1D_S1F_T6_T7_T9_mT8_S1H_bDpT10_ENKUlT_T0_E_clISt17integral_constantIbLb0EES1V_EEDaS1Q_S1R_EUlS1Q_E_NS1_11comp_targetILNS1_3genE3ELNS1_11target_archE908ELNS1_3gpuE7ELNS1_3repE0EEENS1_30default_config_static_selectorELNS0_4arch9wavefront6targetE0EEEvS13_: ; @_ZN7rocprim17ROCPRIM_400000_NS6detail17trampoline_kernelINS0_13select_configILj256ELj13ELNS0_17block_load_methodE3ELS4_3ELS4_3ELNS0_20block_scan_algorithmE0ELj4294967295EEENS1_25partition_config_selectorILNS1_17partition_subalgoE4EjNS0_10empty_typeEbEEZZNS1_14partition_implILS8_4ELb0ES6_15HIP_vector_typeIjLj2EENS0_17counting_iteratorIjlEEPS9_SG_NS0_5tupleIJPjSI_NS0_16reverse_iteratorISI_EEEEENSH_IJSG_SG_SG_EEES9_SI_JZNS1_25segmented_radix_sort_implINS0_14default_configELb0EPK6__halfPSP_PKlPlN2at6native12_GLOBAL__N_18offset_tEEE10hipError_tPvRmT1_PNSt15iterator_traitsIS13_E10value_typeET2_T3_PNS14_IS19_E10value_typeET4_jRbjT5_S1F_jjP12ihipStream_tbEUljE_ZNSN_ISO_Lb0ESR_SS_SU_SV_SZ_EES10_S11_S12_S13_S17_S18_S19_S1C_S1D_jS1E_jS1F_S1F_jjS1H_bEUljE0_EEES10_S11_S12_S19_S1D_S1F_T6_T7_T9_mT8_S1H_bDpT10_ENKUlT_T0_E_clISt17integral_constantIbLb0EES1V_EEDaS1Q_S1R_EUlS1Q_E_NS1_11comp_targetILNS1_3genE3ELNS1_11target_archE908ELNS1_3gpuE7ELNS1_3repE0EEENS1_30default_config_static_selectorELNS0_4arch9wavefront6targetE0EEEvS13_
; %bb.0:
	.section	.rodata,"a",@progbits
	.p2align	6, 0x0
	.amdhsa_kernel _ZN7rocprim17ROCPRIM_400000_NS6detail17trampoline_kernelINS0_13select_configILj256ELj13ELNS0_17block_load_methodE3ELS4_3ELS4_3ELNS0_20block_scan_algorithmE0ELj4294967295EEENS1_25partition_config_selectorILNS1_17partition_subalgoE4EjNS0_10empty_typeEbEEZZNS1_14partition_implILS8_4ELb0ES6_15HIP_vector_typeIjLj2EENS0_17counting_iteratorIjlEEPS9_SG_NS0_5tupleIJPjSI_NS0_16reverse_iteratorISI_EEEEENSH_IJSG_SG_SG_EEES9_SI_JZNS1_25segmented_radix_sort_implINS0_14default_configELb0EPK6__halfPSP_PKlPlN2at6native12_GLOBAL__N_18offset_tEEE10hipError_tPvRmT1_PNSt15iterator_traitsIS13_E10value_typeET2_T3_PNS14_IS19_E10value_typeET4_jRbjT5_S1F_jjP12ihipStream_tbEUljE_ZNSN_ISO_Lb0ESR_SS_SU_SV_SZ_EES10_S11_S12_S13_S17_S18_S19_S1C_S1D_jS1E_jS1F_S1F_jjS1H_bEUljE0_EEES10_S11_S12_S19_S1D_S1F_T6_T7_T9_mT8_S1H_bDpT10_ENKUlT_T0_E_clISt17integral_constantIbLb0EES1V_EEDaS1Q_S1R_EUlS1Q_E_NS1_11comp_targetILNS1_3genE3ELNS1_11target_archE908ELNS1_3gpuE7ELNS1_3repE0EEENS1_30default_config_static_selectorELNS0_4arch9wavefront6targetE0EEEvS13_
		.amdhsa_group_segment_fixed_size 0
		.amdhsa_private_segment_fixed_size 0
		.amdhsa_kernarg_size 176
		.amdhsa_user_sgpr_count 6
		.amdhsa_user_sgpr_private_segment_buffer 1
		.amdhsa_user_sgpr_dispatch_ptr 0
		.amdhsa_user_sgpr_queue_ptr 0
		.amdhsa_user_sgpr_kernarg_segment_ptr 1
		.amdhsa_user_sgpr_dispatch_id 0
		.amdhsa_user_sgpr_flat_scratch_init 0
		.amdhsa_user_sgpr_private_segment_size 0
		.amdhsa_wavefront_size32 1
		.amdhsa_uses_dynamic_stack 0
		.amdhsa_system_sgpr_private_segment_wavefront_offset 0
		.amdhsa_system_sgpr_workgroup_id_x 1
		.amdhsa_system_sgpr_workgroup_id_y 0
		.amdhsa_system_sgpr_workgroup_id_z 0
		.amdhsa_system_sgpr_workgroup_info 0
		.amdhsa_system_vgpr_workitem_id 0
		.amdhsa_next_free_vgpr 1
		.amdhsa_next_free_sgpr 1
		.amdhsa_reserve_vcc 0
		.amdhsa_reserve_flat_scratch 0
		.amdhsa_float_round_mode_32 0
		.amdhsa_float_round_mode_16_64 0
		.amdhsa_float_denorm_mode_32 3
		.amdhsa_float_denorm_mode_16_64 3
		.amdhsa_dx10_clamp 1
		.amdhsa_ieee_mode 1
		.amdhsa_fp16_overflow 0
		.amdhsa_workgroup_processor_mode 1
		.amdhsa_memory_ordered 1
		.amdhsa_forward_progress 1
		.amdhsa_shared_vgpr_count 0
		.amdhsa_exception_fp_ieee_invalid_op 0
		.amdhsa_exception_fp_denorm_src 0
		.amdhsa_exception_fp_ieee_div_zero 0
		.amdhsa_exception_fp_ieee_overflow 0
		.amdhsa_exception_fp_ieee_underflow 0
		.amdhsa_exception_fp_ieee_inexact 0
		.amdhsa_exception_int_div_zero 0
	.end_amdhsa_kernel
	.section	.text._ZN7rocprim17ROCPRIM_400000_NS6detail17trampoline_kernelINS0_13select_configILj256ELj13ELNS0_17block_load_methodE3ELS4_3ELS4_3ELNS0_20block_scan_algorithmE0ELj4294967295EEENS1_25partition_config_selectorILNS1_17partition_subalgoE4EjNS0_10empty_typeEbEEZZNS1_14partition_implILS8_4ELb0ES6_15HIP_vector_typeIjLj2EENS0_17counting_iteratorIjlEEPS9_SG_NS0_5tupleIJPjSI_NS0_16reverse_iteratorISI_EEEEENSH_IJSG_SG_SG_EEES9_SI_JZNS1_25segmented_radix_sort_implINS0_14default_configELb0EPK6__halfPSP_PKlPlN2at6native12_GLOBAL__N_18offset_tEEE10hipError_tPvRmT1_PNSt15iterator_traitsIS13_E10value_typeET2_T3_PNS14_IS19_E10value_typeET4_jRbjT5_S1F_jjP12ihipStream_tbEUljE_ZNSN_ISO_Lb0ESR_SS_SU_SV_SZ_EES10_S11_S12_S13_S17_S18_S19_S1C_S1D_jS1E_jS1F_S1F_jjS1H_bEUljE0_EEES10_S11_S12_S19_S1D_S1F_T6_T7_T9_mT8_S1H_bDpT10_ENKUlT_T0_E_clISt17integral_constantIbLb0EES1V_EEDaS1Q_S1R_EUlS1Q_E_NS1_11comp_targetILNS1_3genE3ELNS1_11target_archE908ELNS1_3gpuE7ELNS1_3repE0EEENS1_30default_config_static_selectorELNS0_4arch9wavefront6targetE0EEEvS13_,"axG",@progbits,_ZN7rocprim17ROCPRIM_400000_NS6detail17trampoline_kernelINS0_13select_configILj256ELj13ELNS0_17block_load_methodE3ELS4_3ELS4_3ELNS0_20block_scan_algorithmE0ELj4294967295EEENS1_25partition_config_selectorILNS1_17partition_subalgoE4EjNS0_10empty_typeEbEEZZNS1_14partition_implILS8_4ELb0ES6_15HIP_vector_typeIjLj2EENS0_17counting_iteratorIjlEEPS9_SG_NS0_5tupleIJPjSI_NS0_16reverse_iteratorISI_EEEEENSH_IJSG_SG_SG_EEES9_SI_JZNS1_25segmented_radix_sort_implINS0_14default_configELb0EPK6__halfPSP_PKlPlN2at6native12_GLOBAL__N_18offset_tEEE10hipError_tPvRmT1_PNSt15iterator_traitsIS13_E10value_typeET2_T3_PNS14_IS19_E10value_typeET4_jRbjT5_S1F_jjP12ihipStream_tbEUljE_ZNSN_ISO_Lb0ESR_SS_SU_SV_SZ_EES10_S11_S12_S13_S17_S18_S19_S1C_S1D_jS1E_jS1F_S1F_jjS1H_bEUljE0_EEES10_S11_S12_S19_S1D_S1F_T6_T7_T9_mT8_S1H_bDpT10_ENKUlT_T0_E_clISt17integral_constantIbLb0EES1V_EEDaS1Q_S1R_EUlS1Q_E_NS1_11comp_targetILNS1_3genE3ELNS1_11target_archE908ELNS1_3gpuE7ELNS1_3repE0EEENS1_30default_config_static_selectorELNS0_4arch9wavefront6targetE0EEEvS13_,comdat
.Lfunc_end1771:
	.size	_ZN7rocprim17ROCPRIM_400000_NS6detail17trampoline_kernelINS0_13select_configILj256ELj13ELNS0_17block_load_methodE3ELS4_3ELS4_3ELNS0_20block_scan_algorithmE0ELj4294967295EEENS1_25partition_config_selectorILNS1_17partition_subalgoE4EjNS0_10empty_typeEbEEZZNS1_14partition_implILS8_4ELb0ES6_15HIP_vector_typeIjLj2EENS0_17counting_iteratorIjlEEPS9_SG_NS0_5tupleIJPjSI_NS0_16reverse_iteratorISI_EEEEENSH_IJSG_SG_SG_EEES9_SI_JZNS1_25segmented_radix_sort_implINS0_14default_configELb0EPK6__halfPSP_PKlPlN2at6native12_GLOBAL__N_18offset_tEEE10hipError_tPvRmT1_PNSt15iterator_traitsIS13_E10value_typeET2_T3_PNS14_IS19_E10value_typeET4_jRbjT5_S1F_jjP12ihipStream_tbEUljE_ZNSN_ISO_Lb0ESR_SS_SU_SV_SZ_EES10_S11_S12_S13_S17_S18_S19_S1C_S1D_jS1E_jS1F_S1F_jjS1H_bEUljE0_EEES10_S11_S12_S19_S1D_S1F_T6_T7_T9_mT8_S1H_bDpT10_ENKUlT_T0_E_clISt17integral_constantIbLb0EES1V_EEDaS1Q_S1R_EUlS1Q_E_NS1_11comp_targetILNS1_3genE3ELNS1_11target_archE908ELNS1_3gpuE7ELNS1_3repE0EEENS1_30default_config_static_selectorELNS0_4arch9wavefront6targetE0EEEvS13_, .Lfunc_end1771-_ZN7rocprim17ROCPRIM_400000_NS6detail17trampoline_kernelINS0_13select_configILj256ELj13ELNS0_17block_load_methodE3ELS4_3ELS4_3ELNS0_20block_scan_algorithmE0ELj4294967295EEENS1_25partition_config_selectorILNS1_17partition_subalgoE4EjNS0_10empty_typeEbEEZZNS1_14partition_implILS8_4ELb0ES6_15HIP_vector_typeIjLj2EENS0_17counting_iteratorIjlEEPS9_SG_NS0_5tupleIJPjSI_NS0_16reverse_iteratorISI_EEEEENSH_IJSG_SG_SG_EEES9_SI_JZNS1_25segmented_radix_sort_implINS0_14default_configELb0EPK6__halfPSP_PKlPlN2at6native12_GLOBAL__N_18offset_tEEE10hipError_tPvRmT1_PNSt15iterator_traitsIS13_E10value_typeET2_T3_PNS14_IS19_E10value_typeET4_jRbjT5_S1F_jjP12ihipStream_tbEUljE_ZNSN_ISO_Lb0ESR_SS_SU_SV_SZ_EES10_S11_S12_S13_S17_S18_S19_S1C_S1D_jS1E_jS1F_S1F_jjS1H_bEUljE0_EEES10_S11_S12_S19_S1D_S1F_T6_T7_T9_mT8_S1H_bDpT10_ENKUlT_T0_E_clISt17integral_constantIbLb0EES1V_EEDaS1Q_S1R_EUlS1Q_E_NS1_11comp_targetILNS1_3genE3ELNS1_11target_archE908ELNS1_3gpuE7ELNS1_3repE0EEENS1_30default_config_static_selectorELNS0_4arch9wavefront6targetE0EEEvS13_
                                        ; -- End function
	.set _ZN7rocprim17ROCPRIM_400000_NS6detail17trampoline_kernelINS0_13select_configILj256ELj13ELNS0_17block_load_methodE3ELS4_3ELS4_3ELNS0_20block_scan_algorithmE0ELj4294967295EEENS1_25partition_config_selectorILNS1_17partition_subalgoE4EjNS0_10empty_typeEbEEZZNS1_14partition_implILS8_4ELb0ES6_15HIP_vector_typeIjLj2EENS0_17counting_iteratorIjlEEPS9_SG_NS0_5tupleIJPjSI_NS0_16reverse_iteratorISI_EEEEENSH_IJSG_SG_SG_EEES9_SI_JZNS1_25segmented_radix_sort_implINS0_14default_configELb0EPK6__halfPSP_PKlPlN2at6native12_GLOBAL__N_18offset_tEEE10hipError_tPvRmT1_PNSt15iterator_traitsIS13_E10value_typeET2_T3_PNS14_IS19_E10value_typeET4_jRbjT5_S1F_jjP12ihipStream_tbEUljE_ZNSN_ISO_Lb0ESR_SS_SU_SV_SZ_EES10_S11_S12_S13_S17_S18_S19_S1C_S1D_jS1E_jS1F_S1F_jjS1H_bEUljE0_EEES10_S11_S12_S19_S1D_S1F_T6_T7_T9_mT8_S1H_bDpT10_ENKUlT_T0_E_clISt17integral_constantIbLb0EES1V_EEDaS1Q_S1R_EUlS1Q_E_NS1_11comp_targetILNS1_3genE3ELNS1_11target_archE908ELNS1_3gpuE7ELNS1_3repE0EEENS1_30default_config_static_selectorELNS0_4arch9wavefront6targetE0EEEvS13_.num_vgpr, 0
	.set _ZN7rocprim17ROCPRIM_400000_NS6detail17trampoline_kernelINS0_13select_configILj256ELj13ELNS0_17block_load_methodE3ELS4_3ELS4_3ELNS0_20block_scan_algorithmE0ELj4294967295EEENS1_25partition_config_selectorILNS1_17partition_subalgoE4EjNS0_10empty_typeEbEEZZNS1_14partition_implILS8_4ELb0ES6_15HIP_vector_typeIjLj2EENS0_17counting_iteratorIjlEEPS9_SG_NS0_5tupleIJPjSI_NS0_16reverse_iteratorISI_EEEEENSH_IJSG_SG_SG_EEES9_SI_JZNS1_25segmented_radix_sort_implINS0_14default_configELb0EPK6__halfPSP_PKlPlN2at6native12_GLOBAL__N_18offset_tEEE10hipError_tPvRmT1_PNSt15iterator_traitsIS13_E10value_typeET2_T3_PNS14_IS19_E10value_typeET4_jRbjT5_S1F_jjP12ihipStream_tbEUljE_ZNSN_ISO_Lb0ESR_SS_SU_SV_SZ_EES10_S11_S12_S13_S17_S18_S19_S1C_S1D_jS1E_jS1F_S1F_jjS1H_bEUljE0_EEES10_S11_S12_S19_S1D_S1F_T6_T7_T9_mT8_S1H_bDpT10_ENKUlT_T0_E_clISt17integral_constantIbLb0EES1V_EEDaS1Q_S1R_EUlS1Q_E_NS1_11comp_targetILNS1_3genE3ELNS1_11target_archE908ELNS1_3gpuE7ELNS1_3repE0EEENS1_30default_config_static_selectorELNS0_4arch9wavefront6targetE0EEEvS13_.num_agpr, 0
	.set _ZN7rocprim17ROCPRIM_400000_NS6detail17trampoline_kernelINS0_13select_configILj256ELj13ELNS0_17block_load_methodE3ELS4_3ELS4_3ELNS0_20block_scan_algorithmE0ELj4294967295EEENS1_25partition_config_selectorILNS1_17partition_subalgoE4EjNS0_10empty_typeEbEEZZNS1_14partition_implILS8_4ELb0ES6_15HIP_vector_typeIjLj2EENS0_17counting_iteratorIjlEEPS9_SG_NS0_5tupleIJPjSI_NS0_16reverse_iteratorISI_EEEEENSH_IJSG_SG_SG_EEES9_SI_JZNS1_25segmented_radix_sort_implINS0_14default_configELb0EPK6__halfPSP_PKlPlN2at6native12_GLOBAL__N_18offset_tEEE10hipError_tPvRmT1_PNSt15iterator_traitsIS13_E10value_typeET2_T3_PNS14_IS19_E10value_typeET4_jRbjT5_S1F_jjP12ihipStream_tbEUljE_ZNSN_ISO_Lb0ESR_SS_SU_SV_SZ_EES10_S11_S12_S13_S17_S18_S19_S1C_S1D_jS1E_jS1F_S1F_jjS1H_bEUljE0_EEES10_S11_S12_S19_S1D_S1F_T6_T7_T9_mT8_S1H_bDpT10_ENKUlT_T0_E_clISt17integral_constantIbLb0EES1V_EEDaS1Q_S1R_EUlS1Q_E_NS1_11comp_targetILNS1_3genE3ELNS1_11target_archE908ELNS1_3gpuE7ELNS1_3repE0EEENS1_30default_config_static_selectorELNS0_4arch9wavefront6targetE0EEEvS13_.numbered_sgpr, 0
	.set _ZN7rocprim17ROCPRIM_400000_NS6detail17trampoline_kernelINS0_13select_configILj256ELj13ELNS0_17block_load_methodE3ELS4_3ELS4_3ELNS0_20block_scan_algorithmE0ELj4294967295EEENS1_25partition_config_selectorILNS1_17partition_subalgoE4EjNS0_10empty_typeEbEEZZNS1_14partition_implILS8_4ELb0ES6_15HIP_vector_typeIjLj2EENS0_17counting_iteratorIjlEEPS9_SG_NS0_5tupleIJPjSI_NS0_16reverse_iteratorISI_EEEEENSH_IJSG_SG_SG_EEES9_SI_JZNS1_25segmented_radix_sort_implINS0_14default_configELb0EPK6__halfPSP_PKlPlN2at6native12_GLOBAL__N_18offset_tEEE10hipError_tPvRmT1_PNSt15iterator_traitsIS13_E10value_typeET2_T3_PNS14_IS19_E10value_typeET4_jRbjT5_S1F_jjP12ihipStream_tbEUljE_ZNSN_ISO_Lb0ESR_SS_SU_SV_SZ_EES10_S11_S12_S13_S17_S18_S19_S1C_S1D_jS1E_jS1F_S1F_jjS1H_bEUljE0_EEES10_S11_S12_S19_S1D_S1F_T6_T7_T9_mT8_S1H_bDpT10_ENKUlT_T0_E_clISt17integral_constantIbLb0EES1V_EEDaS1Q_S1R_EUlS1Q_E_NS1_11comp_targetILNS1_3genE3ELNS1_11target_archE908ELNS1_3gpuE7ELNS1_3repE0EEENS1_30default_config_static_selectorELNS0_4arch9wavefront6targetE0EEEvS13_.num_named_barrier, 0
	.set _ZN7rocprim17ROCPRIM_400000_NS6detail17trampoline_kernelINS0_13select_configILj256ELj13ELNS0_17block_load_methodE3ELS4_3ELS4_3ELNS0_20block_scan_algorithmE0ELj4294967295EEENS1_25partition_config_selectorILNS1_17partition_subalgoE4EjNS0_10empty_typeEbEEZZNS1_14partition_implILS8_4ELb0ES6_15HIP_vector_typeIjLj2EENS0_17counting_iteratorIjlEEPS9_SG_NS0_5tupleIJPjSI_NS0_16reverse_iteratorISI_EEEEENSH_IJSG_SG_SG_EEES9_SI_JZNS1_25segmented_radix_sort_implINS0_14default_configELb0EPK6__halfPSP_PKlPlN2at6native12_GLOBAL__N_18offset_tEEE10hipError_tPvRmT1_PNSt15iterator_traitsIS13_E10value_typeET2_T3_PNS14_IS19_E10value_typeET4_jRbjT5_S1F_jjP12ihipStream_tbEUljE_ZNSN_ISO_Lb0ESR_SS_SU_SV_SZ_EES10_S11_S12_S13_S17_S18_S19_S1C_S1D_jS1E_jS1F_S1F_jjS1H_bEUljE0_EEES10_S11_S12_S19_S1D_S1F_T6_T7_T9_mT8_S1H_bDpT10_ENKUlT_T0_E_clISt17integral_constantIbLb0EES1V_EEDaS1Q_S1R_EUlS1Q_E_NS1_11comp_targetILNS1_3genE3ELNS1_11target_archE908ELNS1_3gpuE7ELNS1_3repE0EEENS1_30default_config_static_selectorELNS0_4arch9wavefront6targetE0EEEvS13_.private_seg_size, 0
	.set _ZN7rocprim17ROCPRIM_400000_NS6detail17trampoline_kernelINS0_13select_configILj256ELj13ELNS0_17block_load_methodE3ELS4_3ELS4_3ELNS0_20block_scan_algorithmE0ELj4294967295EEENS1_25partition_config_selectorILNS1_17partition_subalgoE4EjNS0_10empty_typeEbEEZZNS1_14partition_implILS8_4ELb0ES6_15HIP_vector_typeIjLj2EENS0_17counting_iteratorIjlEEPS9_SG_NS0_5tupleIJPjSI_NS0_16reverse_iteratorISI_EEEEENSH_IJSG_SG_SG_EEES9_SI_JZNS1_25segmented_radix_sort_implINS0_14default_configELb0EPK6__halfPSP_PKlPlN2at6native12_GLOBAL__N_18offset_tEEE10hipError_tPvRmT1_PNSt15iterator_traitsIS13_E10value_typeET2_T3_PNS14_IS19_E10value_typeET4_jRbjT5_S1F_jjP12ihipStream_tbEUljE_ZNSN_ISO_Lb0ESR_SS_SU_SV_SZ_EES10_S11_S12_S13_S17_S18_S19_S1C_S1D_jS1E_jS1F_S1F_jjS1H_bEUljE0_EEES10_S11_S12_S19_S1D_S1F_T6_T7_T9_mT8_S1H_bDpT10_ENKUlT_T0_E_clISt17integral_constantIbLb0EES1V_EEDaS1Q_S1R_EUlS1Q_E_NS1_11comp_targetILNS1_3genE3ELNS1_11target_archE908ELNS1_3gpuE7ELNS1_3repE0EEENS1_30default_config_static_selectorELNS0_4arch9wavefront6targetE0EEEvS13_.uses_vcc, 0
	.set _ZN7rocprim17ROCPRIM_400000_NS6detail17trampoline_kernelINS0_13select_configILj256ELj13ELNS0_17block_load_methodE3ELS4_3ELS4_3ELNS0_20block_scan_algorithmE0ELj4294967295EEENS1_25partition_config_selectorILNS1_17partition_subalgoE4EjNS0_10empty_typeEbEEZZNS1_14partition_implILS8_4ELb0ES6_15HIP_vector_typeIjLj2EENS0_17counting_iteratorIjlEEPS9_SG_NS0_5tupleIJPjSI_NS0_16reverse_iteratorISI_EEEEENSH_IJSG_SG_SG_EEES9_SI_JZNS1_25segmented_radix_sort_implINS0_14default_configELb0EPK6__halfPSP_PKlPlN2at6native12_GLOBAL__N_18offset_tEEE10hipError_tPvRmT1_PNSt15iterator_traitsIS13_E10value_typeET2_T3_PNS14_IS19_E10value_typeET4_jRbjT5_S1F_jjP12ihipStream_tbEUljE_ZNSN_ISO_Lb0ESR_SS_SU_SV_SZ_EES10_S11_S12_S13_S17_S18_S19_S1C_S1D_jS1E_jS1F_S1F_jjS1H_bEUljE0_EEES10_S11_S12_S19_S1D_S1F_T6_T7_T9_mT8_S1H_bDpT10_ENKUlT_T0_E_clISt17integral_constantIbLb0EES1V_EEDaS1Q_S1R_EUlS1Q_E_NS1_11comp_targetILNS1_3genE3ELNS1_11target_archE908ELNS1_3gpuE7ELNS1_3repE0EEENS1_30default_config_static_selectorELNS0_4arch9wavefront6targetE0EEEvS13_.uses_flat_scratch, 0
	.set _ZN7rocprim17ROCPRIM_400000_NS6detail17trampoline_kernelINS0_13select_configILj256ELj13ELNS0_17block_load_methodE3ELS4_3ELS4_3ELNS0_20block_scan_algorithmE0ELj4294967295EEENS1_25partition_config_selectorILNS1_17partition_subalgoE4EjNS0_10empty_typeEbEEZZNS1_14partition_implILS8_4ELb0ES6_15HIP_vector_typeIjLj2EENS0_17counting_iteratorIjlEEPS9_SG_NS0_5tupleIJPjSI_NS0_16reverse_iteratorISI_EEEEENSH_IJSG_SG_SG_EEES9_SI_JZNS1_25segmented_radix_sort_implINS0_14default_configELb0EPK6__halfPSP_PKlPlN2at6native12_GLOBAL__N_18offset_tEEE10hipError_tPvRmT1_PNSt15iterator_traitsIS13_E10value_typeET2_T3_PNS14_IS19_E10value_typeET4_jRbjT5_S1F_jjP12ihipStream_tbEUljE_ZNSN_ISO_Lb0ESR_SS_SU_SV_SZ_EES10_S11_S12_S13_S17_S18_S19_S1C_S1D_jS1E_jS1F_S1F_jjS1H_bEUljE0_EEES10_S11_S12_S19_S1D_S1F_T6_T7_T9_mT8_S1H_bDpT10_ENKUlT_T0_E_clISt17integral_constantIbLb0EES1V_EEDaS1Q_S1R_EUlS1Q_E_NS1_11comp_targetILNS1_3genE3ELNS1_11target_archE908ELNS1_3gpuE7ELNS1_3repE0EEENS1_30default_config_static_selectorELNS0_4arch9wavefront6targetE0EEEvS13_.has_dyn_sized_stack, 0
	.set _ZN7rocprim17ROCPRIM_400000_NS6detail17trampoline_kernelINS0_13select_configILj256ELj13ELNS0_17block_load_methodE3ELS4_3ELS4_3ELNS0_20block_scan_algorithmE0ELj4294967295EEENS1_25partition_config_selectorILNS1_17partition_subalgoE4EjNS0_10empty_typeEbEEZZNS1_14partition_implILS8_4ELb0ES6_15HIP_vector_typeIjLj2EENS0_17counting_iteratorIjlEEPS9_SG_NS0_5tupleIJPjSI_NS0_16reverse_iteratorISI_EEEEENSH_IJSG_SG_SG_EEES9_SI_JZNS1_25segmented_radix_sort_implINS0_14default_configELb0EPK6__halfPSP_PKlPlN2at6native12_GLOBAL__N_18offset_tEEE10hipError_tPvRmT1_PNSt15iterator_traitsIS13_E10value_typeET2_T3_PNS14_IS19_E10value_typeET4_jRbjT5_S1F_jjP12ihipStream_tbEUljE_ZNSN_ISO_Lb0ESR_SS_SU_SV_SZ_EES10_S11_S12_S13_S17_S18_S19_S1C_S1D_jS1E_jS1F_S1F_jjS1H_bEUljE0_EEES10_S11_S12_S19_S1D_S1F_T6_T7_T9_mT8_S1H_bDpT10_ENKUlT_T0_E_clISt17integral_constantIbLb0EES1V_EEDaS1Q_S1R_EUlS1Q_E_NS1_11comp_targetILNS1_3genE3ELNS1_11target_archE908ELNS1_3gpuE7ELNS1_3repE0EEENS1_30default_config_static_selectorELNS0_4arch9wavefront6targetE0EEEvS13_.has_recursion, 0
	.set _ZN7rocprim17ROCPRIM_400000_NS6detail17trampoline_kernelINS0_13select_configILj256ELj13ELNS0_17block_load_methodE3ELS4_3ELS4_3ELNS0_20block_scan_algorithmE0ELj4294967295EEENS1_25partition_config_selectorILNS1_17partition_subalgoE4EjNS0_10empty_typeEbEEZZNS1_14partition_implILS8_4ELb0ES6_15HIP_vector_typeIjLj2EENS0_17counting_iteratorIjlEEPS9_SG_NS0_5tupleIJPjSI_NS0_16reverse_iteratorISI_EEEEENSH_IJSG_SG_SG_EEES9_SI_JZNS1_25segmented_radix_sort_implINS0_14default_configELb0EPK6__halfPSP_PKlPlN2at6native12_GLOBAL__N_18offset_tEEE10hipError_tPvRmT1_PNSt15iterator_traitsIS13_E10value_typeET2_T3_PNS14_IS19_E10value_typeET4_jRbjT5_S1F_jjP12ihipStream_tbEUljE_ZNSN_ISO_Lb0ESR_SS_SU_SV_SZ_EES10_S11_S12_S13_S17_S18_S19_S1C_S1D_jS1E_jS1F_S1F_jjS1H_bEUljE0_EEES10_S11_S12_S19_S1D_S1F_T6_T7_T9_mT8_S1H_bDpT10_ENKUlT_T0_E_clISt17integral_constantIbLb0EES1V_EEDaS1Q_S1R_EUlS1Q_E_NS1_11comp_targetILNS1_3genE3ELNS1_11target_archE908ELNS1_3gpuE7ELNS1_3repE0EEENS1_30default_config_static_selectorELNS0_4arch9wavefront6targetE0EEEvS13_.has_indirect_call, 0
	.section	.AMDGPU.csdata,"",@progbits
; Kernel info:
; codeLenInByte = 0
; TotalNumSgprs: 0
; NumVgprs: 0
; ScratchSize: 0
; MemoryBound: 0
; FloatMode: 240
; IeeeMode: 1
; LDSByteSize: 0 bytes/workgroup (compile time only)
; SGPRBlocks: 0
; VGPRBlocks: 0
; NumSGPRsForWavesPerEU: 1
; NumVGPRsForWavesPerEU: 1
; Occupancy: 16
; WaveLimiterHint : 0
; COMPUTE_PGM_RSRC2:SCRATCH_EN: 0
; COMPUTE_PGM_RSRC2:USER_SGPR: 6
; COMPUTE_PGM_RSRC2:TRAP_HANDLER: 0
; COMPUTE_PGM_RSRC2:TGID_X_EN: 1
; COMPUTE_PGM_RSRC2:TGID_Y_EN: 0
; COMPUTE_PGM_RSRC2:TGID_Z_EN: 0
; COMPUTE_PGM_RSRC2:TIDIG_COMP_CNT: 0
	.section	.text._ZN7rocprim17ROCPRIM_400000_NS6detail17trampoline_kernelINS0_13select_configILj256ELj13ELNS0_17block_load_methodE3ELS4_3ELS4_3ELNS0_20block_scan_algorithmE0ELj4294967295EEENS1_25partition_config_selectorILNS1_17partition_subalgoE4EjNS0_10empty_typeEbEEZZNS1_14partition_implILS8_4ELb0ES6_15HIP_vector_typeIjLj2EENS0_17counting_iteratorIjlEEPS9_SG_NS0_5tupleIJPjSI_NS0_16reverse_iteratorISI_EEEEENSH_IJSG_SG_SG_EEES9_SI_JZNS1_25segmented_radix_sort_implINS0_14default_configELb0EPK6__halfPSP_PKlPlN2at6native12_GLOBAL__N_18offset_tEEE10hipError_tPvRmT1_PNSt15iterator_traitsIS13_E10value_typeET2_T3_PNS14_IS19_E10value_typeET4_jRbjT5_S1F_jjP12ihipStream_tbEUljE_ZNSN_ISO_Lb0ESR_SS_SU_SV_SZ_EES10_S11_S12_S13_S17_S18_S19_S1C_S1D_jS1E_jS1F_S1F_jjS1H_bEUljE0_EEES10_S11_S12_S19_S1D_S1F_T6_T7_T9_mT8_S1H_bDpT10_ENKUlT_T0_E_clISt17integral_constantIbLb0EES1V_EEDaS1Q_S1R_EUlS1Q_E_NS1_11comp_targetILNS1_3genE2ELNS1_11target_archE906ELNS1_3gpuE6ELNS1_3repE0EEENS1_30default_config_static_selectorELNS0_4arch9wavefront6targetE0EEEvS13_,"axG",@progbits,_ZN7rocprim17ROCPRIM_400000_NS6detail17trampoline_kernelINS0_13select_configILj256ELj13ELNS0_17block_load_methodE3ELS4_3ELS4_3ELNS0_20block_scan_algorithmE0ELj4294967295EEENS1_25partition_config_selectorILNS1_17partition_subalgoE4EjNS0_10empty_typeEbEEZZNS1_14partition_implILS8_4ELb0ES6_15HIP_vector_typeIjLj2EENS0_17counting_iteratorIjlEEPS9_SG_NS0_5tupleIJPjSI_NS0_16reverse_iteratorISI_EEEEENSH_IJSG_SG_SG_EEES9_SI_JZNS1_25segmented_radix_sort_implINS0_14default_configELb0EPK6__halfPSP_PKlPlN2at6native12_GLOBAL__N_18offset_tEEE10hipError_tPvRmT1_PNSt15iterator_traitsIS13_E10value_typeET2_T3_PNS14_IS19_E10value_typeET4_jRbjT5_S1F_jjP12ihipStream_tbEUljE_ZNSN_ISO_Lb0ESR_SS_SU_SV_SZ_EES10_S11_S12_S13_S17_S18_S19_S1C_S1D_jS1E_jS1F_S1F_jjS1H_bEUljE0_EEES10_S11_S12_S19_S1D_S1F_T6_T7_T9_mT8_S1H_bDpT10_ENKUlT_T0_E_clISt17integral_constantIbLb0EES1V_EEDaS1Q_S1R_EUlS1Q_E_NS1_11comp_targetILNS1_3genE2ELNS1_11target_archE906ELNS1_3gpuE6ELNS1_3repE0EEENS1_30default_config_static_selectorELNS0_4arch9wavefront6targetE0EEEvS13_,comdat
	.globl	_ZN7rocprim17ROCPRIM_400000_NS6detail17trampoline_kernelINS0_13select_configILj256ELj13ELNS0_17block_load_methodE3ELS4_3ELS4_3ELNS0_20block_scan_algorithmE0ELj4294967295EEENS1_25partition_config_selectorILNS1_17partition_subalgoE4EjNS0_10empty_typeEbEEZZNS1_14partition_implILS8_4ELb0ES6_15HIP_vector_typeIjLj2EENS0_17counting_iteratorIjlEEPS9_SG_NS0_5tupleIJPjSI_NS0_16reverse_iteratorISI_EEEEENSH_IJSG_SG_SG_EEES9_SI_JZNS1_25segmented_radix_sort_implINS0_14default_configELb0EPK6__halfPSP_PKlPlN2at6native12_GLOBAL__N_18offset_tEEE10hipError_tPvRmT1_PNSt15iterator_traitsIS13_E10value_typeET2_T3_PNS14_IS19_E10value_typeET4_jRbjT5_S1F_jjP12ihipStream_tbEUljE_ZNSN_ISO_Lb0ESR_SS_SU_SV_SZ_EES10_S11_S12_S13_S17_S18_S19_S1C_S1D_jS1E_jS1F_S1F_jjS1H_bEUljE0_EEES10_S11_S12_S19_S1D_S1F_T6_T7_T9_mT8_S1H_bDpT10_ENKUlT_T0_E_clISt17integral_constantIbLb0EES1V_EEDaS1Q_S1R_EUlS1Q_E_NS1_11comp_targetILNS1_3genE2ELNS1_11target_archE906ELNS1_3gpuE6ELNS1_3repE0EEENS1_30default_config_static_selectorELNS0_4arch9wavefront6targetE0EEEvS13_ ; -- Begin function _ZN7rocprim17ROCPRIM_400000_NS6detail17trampoline_kernelINS0_13select_configILj256ELj13ELNS0_17block_load_methodE3ELS4_3ELS4_3ELNS0_20block_scan_algorithmE0ELj4294967295EEENS1_25partition_config_selectorILNS1_17partition_subalgoE4EjNS0_10empty_typeEbEEZZNS1_14partition_implILS8_4ELb0ES6_15HIP_vector_typeIjLj2EENS0_17counting_iteratorIjlEEPS9_SG_NS0_5tupleIJPjSI_NS0_16reverse_iteratorISI_EEEEENSH_IJSG_SG_SG_EEES9_SI_JZNS1_25segmented_radix_sort_implINS0_14default_configELb0EPK6__halfPSP_PKlPlN2at6native12_GLOBAL__N_18offset_tEEE10hipError_tPvRmT1_PNSt15iterator_traitsIS13_E10value_typeET2_T3_PNS14_IS19_E10value_typeET4_jRbjT5_S1F_jjP12ihipStream_tbEUljE_ZNSN_ISO_Lb0ESR_SS_SU_SV_SZ_EES10_S11_S12_S13_S17_S18_S19_S1C_S1D_jS1E_jS1F_S1F_jjS1H_bEUljE0_EEES10_S11_S12_S19_S1D_S1F_T6_T7_T9_mT8_S1H_bDpT10_ENKUlT_T0_E_clISt17integral_constantIbLb0EES1V_EEDaS1Q_S1R_EUlS1Q_E_NS1_11comp_targetILNS1_3genE2ELNS1_11target_archE906ELNS1_3gpuE6ELNS1_3repE0EEENS1_30default_config_static_selectorELNS0_4arch9wavefront6targetE0EEEvS13_
	.p2align	8
	.type	_ZN7rocprim17ROCPRIM_400000_NS6detail17trampoline_kernelINS0_13select_configILj256ELj13ELNS0_17block_load_methodE3ELS4_3ELS4_3ELNS0_20block_scan_algorithmE0ELj4294967295EEENS1_25partition_config_selectorILNS1_17partition_subalgoE4EjNS0_10empty_typeEbEEZZNS1_14partition_implILS8_4ELb0ES6_15HIP_vector_typeIjLj2EENS0_17counting_iteratorIjlEEPS9_SG_NS0_5tupleIJPjSI_NS0_16reverse_iteratorISI_EEEEENSH_IJSG_SG_SG_EEES9_SI_JZNS1_25segmented_radix_sort_implINS0_14default_configELb0EPK6__halfPSP_PKlPlN2at6native12_GLOBAL__N_18offset_tEEE10hipError_tPvRmT1_PNSt15iterator_traitsIS13_E10value_typeET2_T3_PNS14_IS19_E10value_typeET4_jRbjT5_S1F_jjP12ihipStream_tbEUljE_ZNSN_ISO_Lb0ESR_SS_SU_SV_SZ_EES10_S11_S12_S13_S17_S18_S19_S1C_S1D_jS1E_jS1F_S1F_jjS1H_bEUljE0_EEES10_S11_S12_S19_S1D_S1F_T6_T7_T9_mT8_S1H_bDpT10_ENKUlT_T0_E_clISt17integral_constantIbLb0EES1V_EEDaS1Q_S1R_EUlS1Q_E_NS1_11comp_targetILNS1_3genE2ELNS1_11target_archE906ELNS1_3gpuE6ELNS1_3repE0EEENS1_30default_config_static_selectorELNS0_4arch9wavefront6targetE0EEEvS13_,@function
_ZN7rocprim17ROCPRIM_400000_NS6detail17trampoline_kernelINS0_13select_configILj256ELj13ELNS0_17block_load_methodE3ELS4_3ELS4_3ELNS0_20block_scan_algorithmE0ELj4294967295EEENS1_25partition_config_selectorILNS1_17partition_subalgoE4EjNS0_10empty_typeEbEEZZNS1_14partition_implILS8_4ELb0ES6_15HIP_vector_typeIjLj2EENS0_17counting_iteratorIjlEEPS9_SG_NS0_5tupleIJPjSI_NS0_16reverse_iteratorISI_EEEEENSH_IJSG_SG_SG_EEES9_SI_JZNS1_25segmented_radix_sort_implINS0_14default_configELb0EPK6__halfPSP_PKlPlN2at6native12_GLOBAL__N_18offset_tEEE10hipError_tPvRmT1_PNSt15iterator_traitsIS13_E10value_typeET2_T3_PNS14_IS19_E10value_typeET4_jRbjT5_S1F_jjP12ihipStream_tbEUljE_ZNSN_ISO_Lb0ESR_SS_SU_SV_SZ_EES10_S11_S12_S13_S17_S18_S19_S1C_S1D_jS1E_jS1F_S1F_jjS1H_bEUljE0_EEES10_S11_S12_S19_S1D_S1F_T6_T7_T9_mT8_S1H_bDpT10_ENKUlT_T0_E_clISt17integral_constantIbLb0EES1V_EEDaS1Q_S1R_EUlS1Q_E_NS1_11comp_targetILNS1_3genE2ELNS1_11target_archE906ELNS1_3gpuE6ELNS1_3repE0EEENS1_30default_config_static_selectorELNS0_4arch9wavefront6targetE0EEEvS13_: ; @_ZN7rocprim17ROCPRIM_400000_NS6detail17trampoline_kernelINS0_13select_configILj256ELj13ELNS0_17block_load_methodE3ELS4_3ELS4_3ELNS0_20block_scan_algorithmE0ELj4294967295EEENS1_25partition_config_selectorILNS1_17partition_subalgoE4EjNS0_10empty_typeEbEEZZNS1_14partition_implILS8_4ELb0ES6_15HIP_vector_typeIjLj2EENS0_17counting_iteratorIjlEEPS9_SG_NS0_5tupleIJPjSI_NS0_16reverse_iteratorISI_EEEEENSH_IJSG_SG_SG_EEES9_SI_JZNS1_25segmented_radix_sort_implINS0_14default_configELb0EPK6__halfPSP_PKlPlN2at6native12_GLOBAL__N_18offset_tEEE10hipError_tPvRmT1_PNSt15iterator_traitsIS13_E10value_typeET2_T3_PNS14_IS19_E10value_typeET4_jRbjT5_S1F_jjP12ihipStream_tbEUljE_ZNSN_ISO_Lb0ESR_SS_SU_SV_SZ_EES10_S11_S12_S13_S17_S18_S19_S1C_S1D_jS1E_jS1F_S1F_jjS1H_bEUljE0_EEES10_S11_S12_S19_S1D_S1F_T6_T7_T9_mT8_S1H_bDpT10_ENKUlT_T0_E_clISt17integral_constantIbLb0EES1V_EEDaS1Q_S1R_EUlS1Q_E_NS1_11comp_targetILNS1_3genE2ELNS1_11target_archE906ELNS1_3gpuE6ELNS1_3repE0EEENS1_30default_config_static_selectorELNS0_4arch9wavefront6targetE0EEEvS13_
; %bb.0:
	.section	.rodata,"a",@progbits
	.p2align	6, 0x0
	.amdhsa_kernel _ZN7rocprim17ROCPRIM_400000_NS6detail17trampoline_kernelINS0_13select_configILj256ELj13ELNS0_17block_load_methodE3ELS4_3ELS4_3ELNS0_20block_scan_algorithmE0ELj4294967295EEENS1_25partition_config_selectorILNS1_17partition_subalgoE4EjNS0_10empty_typeEbEEZZNS1_14partition_implILS8_4ELb0ES6_15HIP_vector_typeIjLj2EENS0_17counting_iteratorIjlEEPS9_SG_NS0_5tupleIJPjSI_NS0_16reverse_iteratorISI_EEEEENSH_IJSG_SG_SG_EEES9_SI_JZNS1_25segmented_radix_sort_implINS0_14default_configELb0EPK6__halfPSP_PKlPlN2at6native12_GLOBAL__N_18offset_tEEE10hipError_tPvRmT1_PNSt15iterator_traitsIS13_E10value_typeET2_T3_PNS14_IS19_E10value_typeET4_jRbjT5_S1F_jjP12ihipStream_tbEUljE_ZNSN_ISO_Lb0ESR_SS_SU_SV_SZ_EES10_S11_S12_S13_S17_S18_S19_S1C_S1D_jS1E_jS1F_S1F_jjS1H_bEUljE0_EEES10_S11_S12_S19_S1D_S1F_T6_T7_T9_mT8_S1H_bDpT10_ENKUlT_T0_E_clISt17integral_constantIbLb0EES1V_EEDaS1Q_S1R_EUlS1Q_E_NS1_11comp_targetILNS1_3genE2ELNS1_11target_archE906ELNS1_3gpuE6ELNS1_3repE0EEENS1_30default_config_static_selectorELNS0_4arch9wavefront6targetE0EEEvS13_
		.amdhsa_group_segment_fixed_size 0
		.amdhsa_private_segment_fixed_size 0
		.amdhsa_kernarg_size 176
		.amdhsa_user_sgpr_count 6
		.amdhsa_user_sgpr_private_segment_buffer 1
		.amdhsa_user_sgpr_dispatch_ptr 0
		.amdhsa_user_sgpr_queue_ptr 0
		.amdhsa_user_sgpr_kernarg_segment_ptr 1
		.amdhsa_user_sgpr_dispatch_id 0
		.amdhsa_user_sgpr_flat_scratch_init 0
		.amdhsa_user_sgpr_private_segment_size 0
		.amdhsa_wavefront_size32 1
		.amdhsa_uses_dynamic_stack 0
		.amdhsa_system_sgpr_private_segment_wavefront_offset 0
		.amdhsa_system_sgpr_workgroup_id_x 1
		.amdhsa_system_sgpr_workgroup_id_y 0
		.amdhsa_system_sgpr_workgroup_id_z 0
		.amdhsa_system_sgpr_workgroup_info 0
		.amdhsa_system_vgpr_workitem_id 0
		.amdhsa_next_free_vgpr 1
		.amdhsa_next_free_sgpr 1
		.amdhsa_reserve_vcc 0
		.amdhsa_reserve_flat_scratch 0
		.amdhsa_float_round_mode_32 0
		.amdhsa_float_round_mode_16_64 0
		.amdhsa_float_denorm_mode_32 3
		.amdhsa_float_denorm_mode_16_64 3
		.amdhsa_dx10_clamp 1
		.amdhsa_ieee_mode 1
		.amdhsa_fp16_overflow 0
		.amdhsa_workgroup_processor_mode 1
		.amdhsa_memory_ordered 1
		.amdhsa_forward_progress 1
		.amdhsa_shared_vgpr_count 0
		.amdhsa_exception_fp_ieee_invalid_op 0
		.amdhsa_exception_fp_denorm_src 0
		.amdhsa_exception_fp_ieee_div_zero 0
		.amdhsa_exception_fp_ieee_overflow 0
		.amdhsa_exception_fp_ieee_underflow 0
		.amdhsa_exception_fp_ieee_inexact 0
		.amdhsa_exception_int_div_zero 0
	.end_amdhsa_kernel
	.section	.text._ZN7rocprim17ROCPRIM_400000_NS6detail17trampoline_kernelINS0_13select_configILj256ELj13ELNS0_17block_load_methodE3ELS4_3ELS4_3ELNS0_20block_scan_algorithmE0ELj4294967295EEENS1_25partition_config_selectorILNS1_17partition_subalgoE4EjNS0_10empty_typeEbEEZZNS1_14partition_implILS8_4ELb0ES6_15HIP_vector_typeIjLj2EENS0_17counting_iteratorIjlEEPS9_SG_NS0_5tupleIJPjSI_NS0_16reverse_iteratorISI_EEEEENSH_IJSG_SG_SG_EEES9_SI_JZNS1_25segmented_radix_sort_implINS0_14default_configELb0EPK6__halfPSP_PKlPlN2at6native12_GLOBAL__N_18offset_tEEE10hipError_tPvRmT1_PNSt15iterator_traitsIS13_E10value_typeET2_T3_PNS14_IS19_E10value_typeET4_jRbjT5_S1F_jjP12ihipStream_tbEUljE_ZNSN_ISO_Lb0ESR_SS_SU_SV_SZ_EES10_S11_S12_S13_S17_S18_S19_S1C_S1D_jS1E_jS1F_S1F_jjS1H_bEUljE0_EEES10_S11_S12_S19_S1D_S1F_T6_T7_T9_mT8_S1H_bDpT10_ENKUlT_T0_E_clISt17integral_constantIbLb0EES1V_EEDaS1Q_S1R_EUlS1Q_E_NS1_11comp_targetILNS1_3genE2ELNS1_11target_archE906ELNS1_3gpuE6ELNS1_3repE0EEENS1_30default_config_static_selectorELNS0_4arch9wavefront6targetE0EEEvS13_,"axG",@progbits,_ZN7rocprim17ROCPRIM_400000_NS6detail17trampoline_kernelINS0_13select_configILj256ELj13ELNS0_17block_load_methodE3ELS4_3ELS4_3ELNS0_20block_scan_algorithmE0ELj4294967295EEENS1_25partition_config_selectorILNS1_17partition_subalgoE4EjNS0_10empty_typeEbEEZZNS1_14partition_implILS8_4ELb0ES6_15HIP_vector_typeIjLj2EENS0_17counting_iteratorIjlEEPS9_SG_NS0_5tupleIJPjSI_NS0_16reverse_iteratorISI_EEEEENSH_IJSG_SG_SG_EEES9_SI_JZNS1_25segmented_radix_sort_implINS0_14default_configELb0EPK6__halfPSP_PKlPlN2at6native12_GLOBAL__N_18offset_tEEE10hipError_tPvRmT1_PNSt15iterator_traitsIS13_E10value_typeET2_T3_PNS14_IS19_E10value_typeET4_jRbjT5_S1F_jjP12ihipStream_tbEUljE_ZNSN_ISO_Lb0ESR_SS_SU_SV_SZ_EES10_S11_S12_S13_S17_S18_S19_S1C_S1D_jS1E_jS1F_S1F_jjS1H_bEUljE0_EEES10_S11_S12_S19_S1D_S1F_T6_T7_T9_mT8_S1H_bDpT10_ENKUlT_T0_E_clISt17integral_constantIbLb0EES1V_EEDaS1Q_S1R_EUlS1Q_E_NS1_11comp_targetILNS1_3genE2ELNS1_11target_archE906ELNS1_3gpuE6ELNS1_3repE0EEENS1_30default_config_static_selectorELNS0_4arch9wavefront6targetE0EEEvS13_,comdat
.Lfunc_end1772:
	.size	_ZN7rocprim17ROCPRIM_400000_NS6detail17trampoline_kernelINS0_13select_configILj256ELj13ELNS0_17block_load_methodE3ELS4_3ELS4_3ELNS0_20block_scan_algorithmE0ELj4294967295EEENS1_25partition_config_selectorILNS1_17partition_subalgoE4EjNS0_10empty_typeEbEEZZNS1_14partition_implILS8_4ELb0ES6_15HIP_vector_typeIjLj2EENS0_17counting_iteratorIjlEEPS9_SG_NS0_5tupleIJPjSI_NS0_16reverse_iteratorISI_EEEEENSH_IJSG_SG_SG_EEES9_SI_JZNS1_25segmented_radix_sort_implINS0_14default_configELb0EPK6__halfPSP_PKlPlN2at6native12_GLOBAL__N_18offset_tEEE10hipError_tPvRmT1_PNSt15iterator_traitsIS13_E10value_typeET2_T3_PNS14_IS19_E10value_typeET4_jRbjT5_S1F_jjP12ihipStream_tbEUljE_ZNSN_ISO_Lb0ESR_SS_SU_SV_SZ_EES10_S11_S12_S13_S17_S18_S19_S1C_S1D_jS1E_jS1F_S1F_jjS1H_bEUljE0_EEES10_S11_S12_S19_S1D_S1F_T6_T7_T9_mT8_S1H_bDpT10_ENKUlT_T0_E_clISt17integral_constantIbLb0EES1V_EEDaS1Q_S1R_EUlS1Q_E_NS1_11comp_targetILNS1_3genE2ELNS1_11target_archE906ELNS1_3gpuE6ELNS1_3repE0EEENS1_30default_config_static_selectorELNS0_4arch9wavefront6targetE0EEEvS13_, .Lfunc_end1772-_ZN7rocprim17ROCPRIM_400000_NS6detail17trampoline_kernelINS0_13select_configILj256ELj13ELNS0_17block_load_methodE3ELS4_3ELS4_3ELNS0_20block_scan_algorithmE0ELj4294967295EEENS1_25partition_config_selectorILNS1_17partition_subalgoE4EjNS0_10empty_typeEbEEZZNS1_14partition_implILS8_4ELb0ES6_15HIP_vector_typeIjLj2EENS0_17counting_iteratorIjlEEPS9_SG_NS0_5tupleIJPjSI_NS0_16reverse_iteratorISI_EEEEENSH_IJSG_SG_SG_EEES9_SI_JZNS1_25segmented_radix_sort_implINS0_14default_configELb0EPK6__halfPSP_PKlPlN2at6native12_GLOBAL__N_18offset_tEEE10hipError_tPvRmT1_PNSt15iterator_traitsIS13_E10value_typeET2_T3_PNS14_IS19_E10value_typeET4_jRbjT5_S1F_jjP12ihipStream_tbEUljE_ZNSN_ISO_Lb0ESR_SS_SU_SV_SZ_EES10_S11_S12_S13_S17_S18_S19_S1C_S1D_jS1E_jS1F_S1F_jjS1H_bEUljE0_EEES10_S11_S12_S19_S1D_S1F_T6_T7_T9_mT8_S1H_bDpT10_ENKUlT_T0_E_clISt17integral_constantIbLb0EES1V_EEDaS1Q_S1R_EUlS1Q_E_NS1_11comp_targetILNS1_3genE2ELNS1_11target_archE906ELNS1_3gpuE6ELNS1_3repE0EEENS1_30default_config_static_selectorELNS0_4arch9wavefront6targetE0EEEvS13_
                                        ; -- End function
	.set _ZN7rocprim17ROCPRIM_400000_NS6detail17trampoline_kernelINS0_13select_configILj256ELj13ELNS0_17block_load_methodE3ELS4_3ELS4_3ELNS0_20block_scan_algorithmE0ELj4294967295EEENS1_25partition_config_selectorILNS1_17partition_subalgoE4EjNS0_10empty_typeEbEEZZNS1_14partition_implILS8_4ELb0ES6_15HIP_vector_typeIjLj2EENS0_17counting_iteratorIjlEEPS9_SG_NS0_5tupleIJPjSI_NS0_16reverse_iteratorISI_EEEEENSH_IJSG_SG_SG_EEES9_SI_JZNS1_25segmented_radix_sort_implINS0_14default_configELb0EPK6__halfPSP_PKlPlN2at6native12_GLOBAL__N_18offset_tEEE10hipError_tPvRmT1_PNSt15iterator_traitsIS13_E10value_typeET2_T3_PNS14_IS19_E10value_typeET4_jRbjT5_S1F_jjP12ihipStream_tbEUljE_ZNSN_ISO_Lb0ESR_SS_SU_SV_SZ_EES10_S11_S12_S13_S17_S18_S19_S1C_S1D_jS1E_jS1F_S1F_jjS1H_bEUljE0_EEES10_S11_S12_S19_S1D_S1F_T6_T7_T9_mT8_S1H_bDpT10_ENKUlT_T0_E_clISt17integral_constantIbLb0EES1V_EEDaS1Q_S1R_EUlS1Q_E_NS1_11comp_targetILNS1_3genE2ELNS1_11target_archE906ELNS1_3gpuE6ELNS1_3repE0EEENS1_30default_config_static_selectorELNS0_4arch9wavefront6targetE0EEEvS13_.num_vgpr, 0
	.set _ZN7rocprim17ROCPRIM_400000_NS6detail17trampoline_kernelINS0_13select_configILj256ELj13ELNS0_17block_load_methodE3ELS4_3ELS4_3ELNS0_20block_scan_algorithmE0ELj4294967295EEENS1_25partition_config_selectorILNS1_17partition_subalgoE4EjNS0_10empty_typeEbEEZZNS1_14partition_implILS8_4ELb0ES6_15HIP_vector_typeIjLj2EENS0_17counting_iteratorIjlEEPS9_SG_NS0_5tupleIJPjSI_NS0_16reverse_iteratorISI_EEEEENSH_IJSG_SG_SG_EEES9_SI_JZNS1_25segmented_radix_sort_implINS0_14default_configELb0EPK6__halfPSP_PKlPlN2at6native12_GLOBAL__N_18offset_tEEE10hipError_tPvRmT1_PNSt15iterator_traitsIS13_E10value_typeET2_T3_PNS14_IS19_E10value_typeET4_jRbjT5_S1F_jjP12ihipStream_tbEUljE_ZNSN_ISO_Lb0ESR_SS_SU_SV_SZ_EES10_S11_S12_S13_S17_S18_S19_S1C_S1D_jS1E_jS1F_S1F_jjS1H_bEUljE0_EEES10_S11_S12_S19_S1D_S1F_T6_T7_T9_mT8_S1H_bDpT10_ENKUlT_T0_E_clISt17integral_constantIbLb0EES1V_EEDaS1Q_S1R_EUlS1Q_E_NS1_11comp_targetILNS1_3genE2ELNS1_11target_archE906ELNS1_3gpuE6ELNS1_3repE0EEENS1_30default_config_static_selectorELNS0_4arch9wavefront6targetE0EEEvS13_.num_agpr, 0
	.set _ZN7rocprim17ROCPRIM_400000_NS6detail17trampoline_kernelINS0_13select_configILj256ELj13ELNS0_17block_load_methodE3ELS4_3ELS4_3ELNS0_20block_scan_algorithmE0ELj4294967295EEENS1_25partition_config_selectorILNS1_17partition_subalgoE4EjNS0_10empty_typeEbEEZZNS1_14partition_implILS8_4ELb0ES6_15HIP_vector_typeIjLj2EENS0_17counting_iteratorIjlEEPS9_SG_NS0_5tupleIJPjSI_NS0_16reverse_iteratorISI_EEEEENSH_IJSG_SG_SG_EEES9_SI_JZNS1_25segmented_radix_sort_implINS0_14default_configELb0EPK6__halfPSP_PKlPlN2at6native12_GLOBAL__N_18offset_tEEE10hipError_tPvRmT1_PNSt15iterator_traitsIS13_E10value_typeET2_T3_PNS14_IS19_E10value_typeET4_jRbjT5_S1F_jjP12ihipStream_tbEUljE_ZNSN_ISO_Lb0ESR_SS_SU_SV_SZ_EES10_S11_S12_S13_S17_S18_S19_S1C_S1D_jS1E_jS1F_S1F_jjS1H_bEUljE0_EEES10_S11_S12_S19_S1D_S1F_T6_T7_T9_mT8_S1H_bDpT10_ENKUlT_T0_E_clISt17integral_constantIbLb0EES1V_EEDaS1Q_S1R_EUlS1Q_E_NS1_11comp_targetILNS1_3genE2ELNS1_11target_archE906ELNS1_3gpuE6ELNS1_3repE0EEENS1_30default_config_static_selectorELNS0_4arch9wavefront6targetE0EEEvS13_.numbered_sgpr, 0
	.set _ZN7rocprim17ROCPRIM_400000_NS6detail17trampoline_kernelINS0_13select_configILj256ELj13ELNS0_17block_load_methodE3ELS4_3ELS4_3ELNS0_20block_scan_algorithmE0ELj4294967295EEENS1_25partition_config_selectorILNS1_17partition_subalgoE4EjNS0_10empty_typeEbEEZZNS1_14partition_implILS8_4ELb0ES6_15HIP_vector_typeIjLj2EENS0_17counting_iteratorIjlEEPS9_SG_NS0_5tupleIJPjSI_NS0_16reverse_iteratorISI_EEEEENSH_IJSG_SG_SG_EEES9_SI_JZNS1_25segmented_radix_sort_implINS0_14default_configELb0EPK6__halfPSP_PKlPlN2at6native12_GLOBAL__N_18offset_tEEE10hipError_tPvRmT1_PNSt15iterator_traitsIS13_E10value_typeET2_T3_PNS14_IS19_E10value_typeET4_jRbjT5_S1F_jjP12ihipStream_tbEUljE_ZNSN_ISO_Lb0ESR_SS_SU_SV_SZ_EES10_S11_S12_S13_S17_S18_S19_S1C_S1D_jS1E_jS1F_S1F_jjS1H_bEUljE0_EEES10_S11_S12_S19_S1D_S1F_T6_T7_T9_mT8_S1H_bDpT10_ENKUlT_T0_E_clISt17integral_constantIbLb0EES1V_EEDaS1Q_S1R_EUlS1Q_E_NS1_11comp_targetILNS1_3genE2ELNS1_11target_archE906ELNS1_3gpuE6ELNS1_3repE0EEENS1_30default_config_static_selectorELNS0_4arch9wavefront6targetE0EEEvS13_.num_named_barrier, 0
	.set _ZN7rocprim17ROCPRIM_400000_NS6detail17trampoline_kernelINS0_13select_configILj256ELj13ELNS0_17block_load_methodE3ELS4_3ELS4_3ELNS0_20block_scan_algorithmE0ELj4294967295EEENS1_25partition_config_selectorILNS1_17partition_subalgoE4EjNS0_10empty_typeEbEEZZNS1_14partition_implILS8_4ELb0ES6_15HIP_vector_typeIjLj2EENS0_17counting_iteratorIjlEEPS9_SG_NS0_5tupleIJPjSI_NS0_16reverse_iteratorISI_EEEEENSH_IJSG_SG_SG_EEES9_SI_JZNS1_25segmented_radix_sort_implINS0_14default_configELb0EPK6__halfPSP_PKlPlN2at6native12_GLOBAL__N_18offset_tEEE10hipError_tPvRmT1_PNSt15iterator_traitsIS13_E10value_typeET2_T3_PNS14_IS19_E10value_typeET4_jRbjT5_S1F_jjP12ihipStream_tbEUljE_ZNSN_ISO_Lb0ESR_SS_SU_SV_SZ_EES10_S11_S12_S13_S17_S18_S19_S1C_S1D_jS1E_jS1F_S1F_jjS1H_bEUljE0_EEES10_S11_S12_S19_S1D_S1F_T6_T7_T9_mT8_S1H_bDpT10_ENKUlT_T0_E_clISt17integral_constantIbLb0EES1V_EEDaS1Q_S1R_EUlS1Q_E_NS1_11comp_targetILNS1_3genE2ELNS1_11target_archE906ELNS1_3gpuE6ELNS1_3repE0EEENS1_30default_config_static_selectorELNS0_4arch9wavefront6targetE0EEEvS13_.private_seg_size, 0
	.set _ZN7rocprim17ROCPRIM_400000_NS6detail17trampoline_kernelINS0_13select_configILj256ELj13ELNS0_17block_load_methodE3ELS4_3ELS4_3ELNS0_20block_scan_algorithmE0ELj4294967295EEENS1_25partition_config_selectorILNS1_17partition_subalgoE4EjNS0_10empty_typeEbEEZZNS1_14partition_implILS8_4ELb0ES6_15HIP_vector_typeIjLj2EENS0_17counting_iteratorIjlEEPS9_SG_NS0_5tupleIJPjSI_NS0_16reverse_iteratorISI_EEEEENSH_IJSG_SG_SG_EEES9_SI_JZNS1_25segmented_radix_sort_implINS0_14default_configELb0EPK6__halfPSP_PKlPlN2at6native12_GLOBAL__N_18offset_tEEE10hipError_tPvRmT1_PNSt15iterator_traitsIS13_E10value_typeET2_T3_PNS14_IS19_E10value_typeET4_jRbjT5_S1F_jjP12ihipStream_tbEUljE_ZNSN_ISO_Lb0ESR_SS_SU_SV_SZ_EES10_S11_S12_S13_S17_S18_S19_S1C_S1D_jS1E_jS1F_S1F_jjS1H_bEUljE0_EEES10_S11_S12_S19_S1D_S1F_T6_T7_T9_mT8_S1H_bDpT10_ENKUlT_T0_E_clISt17integral_constantIbLb0EES1V_EEDaS1Q_S1R_EUlS1Q_E_NS1_11comp_targetILNS1_3genE2ELNS1_11target_archE906ELNS1_3gpuE6ELNS1_3repE0EEENS1_30default_config_static_selectorELNS0_4arch9wavefront6targetE0EEEvS13_.uses_vcc, 0
	.set _ZN7rocprim17ROCPRIM_400000_NS6detail17trampoline_kernelINS0_13select_configILj256ELj13ELNS0_17block_load_methodE3ELS4_3ELS4_3ELNS0_20block_scan_algorithmE0ELj4294967295EEENS1_25partition_config_selectorILNS1_17partition_subalgoE4EjNS0_10empty_typeEbEEZZNS1_14partition_implILS8_4ELb0ES6_15HIP_vector_typeIjLj2EENS0_17counting_iteratorIjlEEPS9_SG_NS0_5tupleIJPjSI_NS0_16reverse_iteratorISI_EEEEENSH_IJSG_SG_SG_EEES9_SI_JZNS1_25segmented_radix_sort_implINS0_14default_configELb0EPK6__halfPSP_PKlPlN2at6native12_GLOBAL__N_18offset_tEEE10hipError_tPvRmT1_PNSt15iterator_traitsIS13_E10value_typeET2_T3_PNS14_IS19_E10value_typeET4_jRbjT5_S1F_jjP12ihipStream_tbEUljE_ZNSN_ISO_Lb0ESR_SS_SU_SV_SZ_EES10_S11_S12_S13_S17_S18_S19_S1C_S1D_jS1E_jS1F_S1F_jjS1H_bEUljE0_EEES10_S11_S12_S19_S1D_S1F_T6_T7_T9_mT8_S1H_bDpT10_ENKUlT_T0_E_clISt17integral_constantIbLb0EES1V_EEDaS1Q_S1R_EUlS1Q_E_NS1_11comp_targetILNS1_3genE2ELNS1_11target_archE906ELNS1_3gpuE6ELNS1_3repE0EEENS1_30default_config_static_selectorELNS0_4arch9wavefront6targetE0EEEvS13_.uses_flat_scratch, 0
	.set _ZN7rocprim17ROCPRIM_400000_NS6detail17trampoline_kernelINS0_13select_configILj256ELj13ELNS0_17block_load_methodE3ELS4_3ELS4_3ELNS0_20block_scan_algorithmE0ELj4294967295EEENS1_25partition_config_selectorILNS1_17partition_subalgoE4EjNS0_10empty_typeEbEEZZNS1_14partition_implILS8_4ELb0ES6_15HIP_vector_typeIjLj2EENS0_17counting_iteratorIjlEEPS9_SG_NS0_5tupleIJPjSI_NS0_16reverse_iteratorISI_EEEEENSH_IJSG_SG_SG_EEES9_SI_JZNS1_25segmented_radix_sort_implINS0_14default_configELb0EPK6__halfPSP_PKlPlN2at6native12_GLOBAL__N_18offset_tEEE10hipError_tPvRmT1_PNSt15iterator_traitsIS13_E10value_typeET2_T3_PNS14_IS19_E10value_typeET4_jRbjT5_S1F_jjP12ihipStream_tbEUljE_ZNSN_ISO_Lb0ESR_SS_SU_SV_SZ_EES10_S11_S12_S13_S17_S18_S19_S1C_S1D_jS1E_jS1F_S1F_jjS1H_bEUljE0_EEES10_S11_S12_S19_S1D_S1F_T6_T7_T9_mT8_S1H_bDpT10_ENKUlT_T0_E_clISt17integral_constantIbLb0EES1V_EEDaS1Q_S1R_EUlS1Q_E_NS1_11comp_targetILNS1_3genE2ELNS1_11target_archE906ELNS1_3gpuE6ELNS1_3repE0EEENS1_30default_config_static_selectorELNS0_4arch9wavefront6targetE0EEEvS13_.has_dyn_sized_stack, 0
	.set _ZN7rocprim17ROCPRIM_400000_NS6detail17trampoline_kernelINS0_13select_configILj256ELj13ELNS0_17block_load_methodE3ELS4_3ELS4_3ELNS0_20block_scan_algorithmE0ELj4294967295EEENS1_25partition_config_selectorILNS1_17partition_subalgoE4EjNS0_10empty_typeEbEEZZNS1_14partition_implILS8_4ELb0ES6_15HIP_vector_typeIjLj2EENS0_17counting_iteratorIjlEEPS9_SG_NS0_5tupleIJPjSI_NS0_16reverse_iteratorISI_EEEEENSH_IJSG_SG_SG_EEES9_SI_JZNS1_25segmented_radix_sort_implINS0_14default_configELb0EPK6__halfPSP_PKlPlN2at6native12_GLOBAL__N_18offset_tEEE10hipError_tPvRmT1_PNSt15iterator_traitsIS13_E10value_typeET2_T3_PNS14_IS19_E10value_typeET4_jRbjT5_S1F_jjP12ihipStream_tbEUljE_ZNSN_ISO_Lb0ESR_SS_SU_SV_SZ_EES10_S11_S12_S13_S17_S18_S19_S1C_S1D_jS1E_jS1F_S1F_jjS1H_bEUljE0_EEES10_S11_S12_S19_S1D_S1F_T6_T7_T9_mT8_S1H_bDpT10_ENKUlT_T0_E_clISt17integral_constantIbLb0EES1V_EEDaS1Q_S1R_EUlS1Q_E_NS1_11comp_targetILNS1_3genE2ELNS1_11target_archE906ELNS1_3gpuE6ELNS1_3repE0EEENS1_30default_config_static_selectorELNS0_4arch9wavefront6targetE0EEEvS13_.has_recursion, 0
	.set _ZN7rocprim17ROCPRIM_400000_NS6detail17trampoline_kernelINS0_13select_configILj256ELj13ELNS0_17block_load_methodE3ELS4_3ELS4_3ELNS0_20block_scan_algorithmE0ELj4294967295EEENS1_25partition_config_selectorILNS1_17partition_subalgoE4EjNS0_10empty_typeEbEEZZNS1_14partition_implILS8_4ELb0ES6_15HIP_vector_typeIjLj2EENS0_17counting_iteratorIjlEEPS9_SG_NS0_5tupleIJPjSI_NS0_16reverse_iteratorISI_EEEEENSH_IJSG_SG_SG_EEES9_SI_JZNS1_25segmented_radix_sort_implINS0_14default_configELb0EPK6__halfPSP_PKlPlN2at6native12_GLOBAL__N_18offset_tEEE10hipError_tPvRmT1_PNSt15iterator_traitsIS13_E10value_typeET2_T3_PNS14_IS19_E10value_typeET4_jRbjT5_S1F_jjP12ihipStream_tbEUljE_ZNSN_ISO_Lb0ESR_SS_SU_SV_SZ_EES10_S11_S12_S13_S17_S18_S19_S1C_S1D_jS1E_jS1F_S1F_jjS1H_bEUljE0_EEES10_S11_S12_S19_S1D_S1F_T6_T7_T9_mT8_S1H_bDpT10_ENKUlT_T0_E_clISt17integral_constantIbLb0EES1V_EEDaS1Q_S1R_EUlS1Q_E_NS1_11comp_targetILNS1_3genE2ELNS1_11target_archE906ELNS1_3gpuE6ELNS1_3repE0EEENS1_30default_config_static_selectorELNS0_4arch9wavefront6targetE0EEEvS13_.has_indirect_call, 0
	.section	.AMDGPU.csdata,"",@progbits
; Kernel info:
; codeLenInByte = 0
; TotalNumSgprs: 0
; NumVgprs: 0
; ScratchSize: 0
; MemoryBound: 0
; FloatMode: 240
; IeeeMode: 1
; LDSByteSize: 0 bytes/workgroup (compile time only)
; SGPRBlocks: 0
; VGPRBlocks: 0
; NumSGPRsForWavesPerEU: 1
; NumVGPRsForWavesPerEU: 1
; Occupancy: 16
; WaveLimiterHint : 0
; COMPUTE_PGM_RSRC2:SCRATCH_EN: 0
; COMPUTE_PGM_RSRC2:USER_SGPR: 6
; COMPUTE_PGM_RSRC2:TRAP_HANDLER: 0
; COMPUTE_PGM_RSRC2:TGID_X_EN: 1
; COMPUTE_PGM_RSRC2:TGID_Y_EN: 0
; COMPUTE_PGM_RSRC2:TGID_Z_EN: 0
; COMPUTE_PGM_RSRC2:TIDIG_COMP_CNT: 0
	.section	.text._ZN7rocprim17ROCPRIM_400000_NS6detail17trampoline_kernelINS0_13select_configILj256ELj13ELNS0_17block_load_methodE3ELS4_3ELS4_3ELNS0_20block_scan_algorithmE0ELj4294967295EEENS1_25partition_config_selectorILNS1_17partition_subalgoE4EjNS0_10empty_typeEbEEZZNS1_14partition_implILS8_4ELb0ES6_15HIP_vector_typeIjLj2EENS0_17counting_iteratorIjlEEPS9_SG_NS0_5tupleIJPjSI_NS0_16reverse_iteratorISI_EEEEENSH_IJSG_SG_SG_EEES9_SI_JZNS1_25segmented_radix_sort_implINS0_14default_configELb0EPK6__halfPSP_PKlPlN2at6native12_GLOBAL__N_18offset_tEEE10hipError_tPvRmT1_PNSt15iterator_traitsIS13_E10value_typeET2_T3_PNS14_IS19_E10value_typeET4_jRbjT5_S1F_jjP12ihipStream_tbEUljE_ZNSN_ISO_Lb0ESR_SS_SU_SV_SZ_EES10_S11_S12_S13_S17_S18_S19_S1C_S1D_jS1E_jS1F_S1F_jjS1H_bEUljE0_EEES10_S11_S12_S19_S1D_S1F_T6_T7_T9_mT8_S1H_bDpT10_ENKUlT_T0_E_clISt17integral_constantIbLb0EES1V_EEDaS1Q_S1R_EUlS1Q_E_NS1_11comp_targetILNS1_3genE10ELNS1_11target_archE1200ELNS1_3gpuE4ELNS1_3repE0EEENS1_30default_config_static_selectorELNS0_4arch9wavefront6targetE0EEEvS13_,"axG",@progbits,_ZN7rocprim17ROCPRIM_400000_NS6detail17trampoline_kernelINS0_13select_configILj256ELj13ELNS0_17block_load_methodE3ELS4_3ELS4_3ELNS0_20block_scan_algorithmE0ELj4294967295EEENS1_25partition_config_selectorILNS1_17partition_subalgoE4EjNS0_10empty_typeEbEEZZNS1_14partition_implILS8_4ELb0ES6_15HIP_vector_typeIjLj2EENS0_17counting_iteratorIjlEEPS9_SG_NS0_5tupleIJPjSI_NS0_16reverse_iteratorISI_EEEEENSH_IJSG_SG_SG_EEES9_SI_JZNS1_25segmented_radix_sort_implINS0_14default_configELb0EPK6__halfPSP_PKlPlN2at6native12_GLOBAL__N_18offset_tEEE10hipError_tPvRmT1_PNSt15iterator_traitsIS13_E10value_typeET2_T3_PNS14_IS19_E10value_typeET4_jRbjT5_S1F_jjP12ihipStream_tbEUljE_ZNSN_ISO_Lb0ESR_SS_SU_SV_SZ_EES10_S11_S12_S13_S17_S18_S19_S1C_S1D_jS1E_jS1F_S1F_jjS1H_bEUljE0_EEES10_S11_S12_S19_S1D_S1F_T6_T7_T9_mT8_S1H_bDpT10_ENKUlT_T0_E_clISt17integral_constantIbLb0EES1V_EEDaS1Q_S1R_EUlS1Q_E_NS1_11comp_targetILNS1_3genE10ELNS1_11target_archE1200ELNS1_3gpuE4ELNS1_3repE0EEENS1_30default_config_static_selectorELNS0_4arch9wavefront6targetE0EEEvS13_,comdat
	.globl	_ZN7rocprim17ROCPRIM_400000_NS6detail17trampoline_kernelINS0_13select_configILj256ELj13ELNS0_17block_load_methodE3ELS4_3ELS4_3ELNS0_20block_scan_algorithmE0ELj4294967295EEENS1_25partition_config_selectorILNS1_17partition_subalgoE4EjNS0_10empty_typeEbEEZZNS1_14partition_implILS8_4ELb0ES6_15HIP_vector_typeIjLj2EENS0_17counting_iteratorIjlEEPS9_SG_NS0_5tupleIJPjSI_NS0_16reverse_iteratorISI_EEEEENSH_IJSG_SG_SG_EEES9_SI_JZNS1_25segmented_radix_sort_implINS0_14default_configELb0EPK6__halfPSP_PKlPlN2at6native12_GLOBAL__N_18offset_tEEE10hipError_tPvRmT1_PNSt15iterator_traitsIS13_E10value_typeET2_T3_PNS14_IS19_E10value_typeET4_jRbjT5_S1F_jjP12ihipStream_tbEUljE_ZNSN_ISO_Lb0ESR_SS_SU_SV_SZ_EES10_S11_S12_S13_S17_S18_S19_S1C_S1D_jS1E_jS1F_S1F_jjS1H_bEUljE0_EEES10_S11_S12_S19_S1D_S1F_T6_T7_T9_mT8_S1H_bDpT10_ENKUlT_T0_E_clISt17integral_constantIbLb0EES1V_EEDaS1Q_S1R_EUlS1Q_E_NS1_11comp_targetILNS1_3genE10ELNS1_11target_archE1200ELNS1_3gpuE4ELNS1_3repE0EEENS1_30default_config_static_selectorELNS0_4arch9wavefront6targetE0EEEvS13_ ; -- Begin function _ZN7rocprim17ROCPRIM_400000_NS6detail17trampoline_kernelINS0_13select_configILj256ELj13ELNS0_17block_load_methodE3ELS4_3ELS4_3ELNS0_20block_scan_algorithmE0ELj4294967295EEENS1_25partition_config_selectorILNS1_17partition_subalgoE4EjNS0_10empty_typeEbEEZZNS1_14partition_implILS8_4ELb0ES6_15HIP_vector_typeIjLj2EENS0_17counting_iteratorIjlEEPS9_SG_NS0_5tupleIJPjSI_NS0_16reverse_iteratorISI_EEEEENSH_IJSG_SG_SG_EEES9_SI_JZNS1_25segmented_radix_sort_implINS0_14default_configELb0EPK6__halfPSP_PKlPlN2at6native12_GLOBAL__N_18offset_tEEE10hipError_tPvRmT1_PNSt15iterator_traitsIS13_E10value_typeET2_T3_PNS14_IS19_E10value_typeET4_jRbjT5_S1F_jjP12ihipStream_tbEUljE_ZNSN_ISO_Lb0ESR_SS_SU_SV_SZ_EES10_S11_S12_S13_S17_S18_S19_S1C_S1D_jS1E_jS1F_S1F_jjS1H_bEUljE0_EEES10_S11_S12_S19_S1D_S1F_T6_T7_T9_mT8_S1H_bDpT10_ENKUlT_T0_E_clISt17integral_constantIbLb0EES1V_EEDaS1Q_S1R_EUlS1Q_E_NS1_11comp_targetILNS1_3genE10ELNS1_11target_archE1200ELNS1_3gpuE4ELNS1_3repE0EEENS1_30default_config_static_selectorELNS0_4arch9wavefront6targetE0EEEvS13_
	.p2align	8
	.type	_ZN7rocprim17ROCPRIM_400000_NS6detail17trampoline_kernelINS0_13select_configILj256ELj13ELNS0_17block_load_methodE3ELS4_3ELS4_3ELNS0_20block_scan_algorithmE0ELj4294967295EEENS1_25partition_config_selectorILNS1_17partition_subalgoE4EjNS0_10empty_typeEbEEZZNS1_14partition_implILS8_4ELb0ES6_15HIP_vector_typeIjLj2EENS0_17counting_iteratorIjlEEPS9_SG_NS0_5tupleIJPjSI_NS0_16reverse_iteratorISI_EEEEENSH_IJSG_SG_SG_EEES9_SI_JZNS1_25segmented_radix_sort_implINS0_14default_configELb0EPK6__halfPSP_PKlPlN2at6native12_GLOBAL__N_18offset_tEEE10hipError_tPvRmT1_PNSt15iterator_traitsIS13_E10value_typeET2_T3_PNS14_IS19_E10value_typeET4_jRbjT5_S1F_jjP12ihipStream_tbEUljE_ZNSN_ISO_Lb0ESR_SS_SU_SV_SZ_EES10_S11_S12_S13_S17_S18_S19_S1C_S1D_jS1E_jS1F_S1F_jjS1H_bEUljE0_EEES10_S11_S12_S19_S1D_S1F_T6_T7_T9_mT8_S1H_bDpT10_ENKUlT_T0_E_clISt17integral_constantIbLb0EES1V_EEDaS1Q_S1R_EUlS1Q_E_NS1_11comp_targetILNS1_3genE10ELNS1_11target_archE1200ELNS1_3gpuE4ELNS1_3repE0EEENS1_30default_config_static_selectorELNS0_4arch9wavefront6targetE0EEEvS13_,@function
_ZN7rocprim17ROCPRIM_400000_NS6detail17trampoline_kernelINS0_13select_configILj256ELj13ELNS0_17block_load_methodE3ELS4_3ELS4_3ELNS0_20block_scan_algorithmE0ELj4294967295EEENS1_25partition_config_selectorILNS1_17partition_subalgoE4EjNS0_10empty_typeEbEEZZNS1_14partition_implILS8_4ELb0ES6_15HIP_vector_typeIjLj2EENS0_17counting_iteratorIjlEEPS9_SG_NS0_5tupleIJPjSI_NS0_16reverse_iteratorISI_EEEEENSH_IJSG_SG_SG_EEES9_SI_JZNS1_25segmented_radix_sort_implINS0_14default_configELb0EPK6__halfPSP_PKlPlN2at6native12_GLOBAL__N_18offset_tEEE10hipError_tPvRmT1_PNSt15iterator_traitsIS13_E10value_typeET2_T3_PNS14_IS19_E10value_typeET4_jRbjT5_S1F_jjP12ihipStream_tbEUljE_ZNSN_ISO_Lb0ESR_SS_SU_SV_SZ_EES10_S11_S12_S13_S17_S18_S19_S1C_S1D_jS1E_jS1F_S1F_jjS1H_bEUljE0_EEES10_S11_S12_S19_S1D_S1F_T6_T7_T9_mT8_S1H_bDpT10_ENKUlT_T0_E_clISt17integral_constantIbLb0EES1V_EEDaS1Q_S1R_EUlS1Q_E_NS1_11comp_targetILNS1_3genE10ELNS1_11target_archE1200ELNS1_3gpuE4ELNS1_3repE0EEENS1_30default_config_static_selectorELNS0_4arch9wavefront6targetE0EEEvS13_: ; @_ZN7rocprim17ROCPRIM_400000_NS6detail17trampoline_kernelINS0_13select_configILj256ELj13ELNS0_17block_load_methodE3ELS4_3ELS4_3ELNS0_20block_scan_algorithmE0ELj4294967295EEENS1_25partition_config_selectorILNS1_17partition_subalgoE4EjNS0_10empty_typeEbEEZZNS1_14partition_implILS8_4ELb0ES6_15HIP_vector_typeIjLj2EENS0_17counting_iteratorIjlEEPS9_SG_NS0_5tupleIJPjSI_NS0_16reverse_iteratorISI_EEEEENSH_IJSG_SG_SG_EEES9_SI_JZNS1_25segmented_radix_sort_implINS0_14default_configELb0EPK6__halfPSP_PKlPlN2at6native12_GLOBAL__N_18offset_tEEE10hipError_tPvRmT1_PNSt15iterator_traitsIS13_E10value_typeET2_T3_PNS14_IS19_E10value_typeET4_jRbjT5_S1F_jjP12ihipStream_tbEUljE_ZNSN_ISO_Lb0ESR_SS_SU_SV_SZ_EES10_S11_S12_S13_S17_S18_S19_S1C_S1D_jS1E_jS1F_S1F_jjS1H_bEUljE0_EEES10_S11_S12_S19_S1D_S1F_T6_T7_T9_mT8_S1H_bDpT10_ENKUlT_T0_E_clISt17integral_constantIbLb0EES1V_EEDaS1Q_S1R_EUlS1Q_E_NS1_11comp_targetILNS1_3genE10ELNS1_11target_archE1200ELNS1_3gpuE4ELNS1_3repE0EEENS1_30default_config_static_selectorELNS0_4arch9wavefront6targetE0EEEvS13_
; %bb.0:
	.section	.rodata,"a",@progbits
	.p2align	6, 0x0
	.amdhsa_kernel _ZN7rocprim17ROCPRIM_400000_NS6detail17trampoline_kernelINS0_13select_configILj256ELj13ELNS0_17block_load_methodE3ELS4_3ELS4_3ELNS0_20block_scan_algorithmE0ELj4294967295EEENS1_25partition_config_selectorILNS1_17partition_subalgoE4EjNS0_10empty_typeEbEEZZNS1_14partition_implILS8_4ELb0ES6_15HIP_vector_typeIjLj2EENS0_17counting_iteratorIjlEEPS9_SG_NS0_5tupleIJPjSI_NS0_16reverse_iteratorISI_EEEEENSH_IJSG_SG_SG_EEES9_SI_JZNS1_25segmented_radix_sort_implINS0_14default_configELb0EPK6__halfPSP_PKlPlN2at6native12_GLOBAL__N_18offset_tEEE10hipError_tPvRmT1_PNSt15iterator_traitsIS13_E10value_typeET2_T3_PNS14_IS19_E10value_typeET4_jRbjT5_S1F_jjP12ihipStream_tbEUljE_ZNSN_ISO_Lb0ESR_SS_SU_SV_SZ_EES10_S11_S12_S13_S17_S18_S19_S1C_S1D_jS1E_jS1F_S1F_jjS1H_bEUljE0_EEES10_S11_S12_S19_S1D_S1F_T6_T7_T9_mT8_S1H_bDpT10_ENKUlT_T0_E_clISt17integral_constantIbLb0EES1V_EEDaS1Q_S1R_EUlS1Q_E_NS1_11comp_targetILNS1_3genE10ELNS1_11target_archE1200ELNS1_3gpuE4ELNS1_3repE0EEENS1_30default_config_static_selectorELNS0_4arch9wavefront6targetE0EEEvS13_
		.amdhsa_group_segment_fixed_size 0
		.amdhsa_private_segment_fixed_size 0
		.amdhsa_kernarg_size 176
		.amdhsa_user_sgpr_count 6
		.amdhsa_user_sgpr_private_segment_buffer 1
		.amdhsa_user_sgpr_dispatch_ptr 0
		.amdhsa_user_sgpr_queue_ptr 0
		.amdhsa_user_sgpr_kernarg_segment_ptr 1
		.amdhsa_user_sgpr_dispatch_id 0
		.amdhsa_user_sgpr_flat_scratch_init 0
		.amdhsa_user_sgpr_private_segment_size 0
		.amdhsa_wavefront_size32 1
		.amdhsa_uses_dynamic_stack 0
		.amdhsa_system_sgpr_private_segment_wavefront_offset 0
		.amdhsa_system_sgpr_workgroup_id_x 1
		.amdhsa_system_sgpr_workgroup_id_y 0
		.amdhsa_system_sgpr_workgroup_id_z 0
		.amdhsa_system_sgpr_workgroup_info 0
		.amdhsa_system_vgpr_workitem_id 0
		.amdhsa_next_free_vgpr 1
		.amdhsa_next_free_sgpr 1
		.amdhsa_reserve_vcc 0
		.amdhsa_reserve_flat_scratch 0
		.amdhsa_float_round_mode_32 0
		.amdhsa_float_round_mode_16_64 0
		.amdhsa_float_denorm_mode_32 3
		.amdhsa_float_denorm_mode_16_64 3
		.amdhsa_dx10_clamp 1
		.amdhsa_ieee_mode 1
		.amdhsa_fp16_overflow 0
		.amdhsa_workgroup_processor_mode 1
		.amdhsa_memory_ordered 1
		.amdhsa_forward_progress 1
		.amdhsa_shared_vgpr_count 0
		.amdhsa_exception_fp_ieee_invalid_op 0
		.amdhsa_exception_fp_denorm_src 0
		.amdhsa_exception_fp_ieee_div_zero 0
		.amdhsa_exception_fp_ieee_overflow 0
		.amdhsa_exception_fp_ieee_underflow 0
		.amdhsa_exception_fp_ieee_inexact 0
		.amdhsa_exception_int_div_zero 0
	.end_amdhsa_kernel
	.section	.text._ZN7rocprim17ROCPRIM_400000_NS6detail17trampoline_kernelINS0_13select_configILj256ELj13ELNS0_17block_load_methodE3ELS4_3ELS4_3ELNS0_20block_scan_algorithmE0ELj4294967295EEENS1_25partition_config_selectorILNS1_17partition_subalgoE4EjNS0_10empty_typeEbEEZZNS1_14partition_implILS8_4ELb0ES6_15HIP_vector_typeIjLj2EENS0_17counting_iteratorIjlEEPS9_SG_NS0_5tupleIJPjSI_NS0_16reverse_iteratorISI_EEEEENSH_IJSG_SG_SG_EEES9_SI_JZNS1_25segmented_radix_sort_implINS0_14default_configELb0EPK6__halfPSP_PKlPlN2at6native12_GLOBAL__N_18offset_tEEE10hipError_tPvRmT1_PNSt15iterator_traitsIS13_E10value_typeET2_T3_PNS14_IS19_E10value_typeET4_jRbjT5_S1F_jjP12ihipStream_tbEUljE_ZNSN_ISO_Lb0ESR_SS_SU_SV_SZ_EES10_S11_S12_S13_S17_S18_S19_S1C_S1D_jS1E_jS1F_S1F_jjS1H_bEUljE0_EEES10_S11_S12_S19_S1D_S1F_T6_T7_T9_mT8_S1H_bDpT10_ENKUlT_T0_E_clISt17integral_constantIbLb0EES1V_EEDaS1Q_S1R_EUlS1Q_E_NS1_11comp_targetILNS1_3genE10ELNS1_11target_archE1200ELNS1_3gpuE4ELNS1_3repE0EEENS1_30default_config_static_selectorELNS0_4arch9wavefront6targetE0EEEvS13_,"axG",@progbits,_ZN7rocprim17ROCPRIM_400000_NS6detail17trampoline_kernelINS0_13select_configILj256ELj13ELNS0_17block_load_methodE3ELS4_3ELS4_3ELNS0_20block_scan_algorithmE0ELj4294967295EEENS1_25partition_config_selectorILNS1_17partition_subalgoE4EjNS0_10empty_typeEbEEZZNS1_14partition_implILS8_4ELb0ES6_15HIP_vector_typeIjLj2EENS0_17counting_iteratorIjlEEPS9_SG_NS0_5tupleIJPjSI_NS0_16reverse_iteratorISI_EEEEENSH_IJSG_SG_SG_EEES9_SI_JZNS1_25segmented_radix_sort_implINS0_14default_configELb0EPK6__halfPSP_PKlPlN2at6native12_GLOBAL__N_18offset_tEEE10hipError_tPvRmT1_PNSt15iterator_traitsIS13_E10value_typeET2_T3_PNS14_IS19_E10value_typeET4_jRbjT5_S1F_jjP12ihipStream_tbEUljE_ZNSN_ISO_Lb0ESR_SS_SU_SV_SZ_EES10_S11_S12_S13_S17_S18_S19_S1C_S1D_jS1E_jS1F_S1F_jjS1H_bEUljE0_EEES10_S11_S12_S19_S1D_S1F_T6_T7_T9_mT8_S1H_bDpT10_ENKUlT_T0_E_clISt17integral_constantIbLb0EES1V_EEDaS1Q_S1R_EUlS1Q_E_NS1_11comp_targetILNS1_3genE10ELNS1_11target_archE1200ELNS1_3gpuE4ELNS1_3repE0EEENS1_30default_config_static_selectorELNS0_4arch9wavefront6targetE0EEEvS13_,comdat
.Lfunc_end1773:
	.size	_ZN7rocprim17ROCPRIM_400000_NS6detail17trampoline_kernelINS0_13select_configILj256ELj13ELNS0_17block_load_methodE3ELS4_3ELS4_3ELNS0_20block_scan_algorithmE0ELj4294967295EEENS1_25partition_config_selectorILNS1_17partition_subalgoE4EjNS0_10empty_typeEbEEZZNS1_14partition_implILS8_4ELb0ES6_15HIP_vector_typeIjLj2EENS0_17counting_iteratorIjlEEPS9_SG_NS0_5tupleIJPjSI_NS0_16reverse_iteratorISI_EEEEENSH_IJSG_SG_SG_EEES9_SI_JZNS1_25segmented_radix_sort_implINS0_14default_configELb0EPK6__halfPSP_PKlPlN2at6native12_GLOBAL__N_18offset_tEEE10hipError_tPvRmT1_PNSt15iterator_traitsIS13_E10value_typeET2_T3_PNS14_IS19_E10value_typeET4_jRbjT5_S1F_jjP12ihipStream_tbEUljE_ZNSN_ISO_Lb0ESR_SS_SU_SV_SZ_EES10_S11_S12_S13_S17_S18_S19_S1C_S1D_jS1E_jS1F_S1F_jjS1H_bEUljE0_EEES10_S11_S12_S19_S1D_S1F_T6_T7_T9_mT8_S1H_bDpT10_ENKUlT_T0_E_clISt17integral_constantIbLb0EES1V_EEDaS1Q_S1R_EUlS1Q_E_NS1_11comp_targetILNS1_3genE10ELNS1_11target_archE1200ELNS1_3gpuE4ELNS1_3repE0EEENS1_30default_config_static_selectorELNS0_4arch9wavefront6targetE0EEEvS13_, .Lfunc_end1773-_ZN7rocprim17ROCPRIM_400000_NS6detail17trampoline_kernelINS0_13select_configILj256ELj13ELNS0_17block_load_methodE3ELS4_3ELS4_3ELNS0_20block_scan_algorithmE0ELj4294967295EEENS1_25partition_config_selectorILNS1_17partition_subalgoE4EjNS0_10empty_typeEbEEZZNS1_14partition_implILS8_4ELb0ES6_15HIP_vector_typeIjLj2EENS0_17counting_iteratorIjlEEPS9_SG_NS0_5tupleIJPjSI_NS0_16reverse_iteratorISI_EEEEENSH_IJSG_SG_SG_EEES9_SI_JZNS1_25segmented_radix_sort_implINS0_14default_configELb0EPK6__halfPSP_PKlPlN2at6native12_GLOBAL__N_18offset_tEEE10hipError_tPvRmT1_PNSt15iterator_traitsIS13_E10value_typeET2_T3_PNS14_IS19_E10value_typeET4_jRbjT5_S1F_jjP12ihipStream_tbEUljE_ZNSN_ISO_Lb0ESR_SS_SU_SV_SZ_EES10_S11_S12_S13_S17_S18_S19_S1C_S1D_jS1E_jS1F_S1F_jjS1H_bEUljE0_EEES10_S11_S12_S19_S1D_S1F_T6_T7_T9_mT8_S1H_bDpT10_ENKUlT_T0_E_clISt17integral_constantIbLb0EES1V_EEDaS1Q_S1R_EUlS1Q_E_NS1_11comp_targetILNS1_3genE10ELNS1_11target_archE1200ELNS1_3gpuE4ELNS1_3repE0EEENS1_30default_config_static_selectorELNS0_4arch9wavefront6targetE0EEEvS13_
                                        ; -- End function
	.set _ZN7rocprim17ROCPRIM_400000_NS6detail17trampoline_kernelINS0_13select_configILj256ELj13ELNS0_17block_load_methodE3ELS4_3ELS4_3ELNS0_20block_scan_algorithmE0ELj4294967295EEENS1_25partition_config_selectorILNS1_17partition_subalgoE4EjNS0_10empty_typeEbEEZZNS1_14partition_implILS8_4ELb0ES6_15HIP_vector_typeIjLj2EENS0_17counting_iteratorIjlEEPS9_SG_NS0_5tupleIJPjSI_NS0_16reverse_iteratorISI_EEEEENSH_IJSG_SG_SG_EEES9_SI_JZNS1_25segmented_radix_sort_implINS0_14default_configELb0EPK6__halfPSP_PKlPlN2at6native12_GLOBAL__N_18offset_tEEE10hipError_tPvRmT1_PNSt15iterator_traitsIS13_E10value_typeET2_T3_PNS14_IS19_E10value_typeET4_jRbjT5_S1F_jjP12ihipStream_tbEUljE_ZNSN_ISO_Lb0ESR_SS_SU_SV_SZ_EES10_S11_S12_S13_S17_S18_S19_S1C_S1D_jS1E_jS1F_S1F_jjS1H_bEUljE0_EEES10_S11_S12_S19_S1D_S1F_T6_T7_T9_mT8_S1H_bDpT10_ENKUlT_T0_E_clISt17integral_constantIbLb0EES1V_EEDaS1Q_S1R_EUlS1Q_E_NS1_11comp_targetILNS1_3genE10ELNS1_11target_archE1200ELNS1_3gpuE4ELNS1_3repE0EEENS1_30default_config_static_selectorELNS0_4arch9wavefront6targetE0EEEvS13_.num_vgpr, 0
	.set _ZN7rocprim17ROCPRIM_400000_NS6detail17trampoline_kernelINS0_13select_configILj256ELj13ELNS0_17block_load_methodE3ELS4_3ELS4_3ELNS0_20block_scan_algorithmE0ELj4294967295EEENS1_25partition_config_selectorILNS1_17partition_subalgoE4EjNS0_10empty_typeEbEEZZNS1_14partition_implILS8_4ELb0ES6_15HIP_vector_typeIjLj2EENS0_17counting_iteratorIjlEEPS9_SG_NS0_5tupleIJPjSI_NS0_16reverse_iteratorISI_EEEEENSH_IJSG_SG_SG_EEES9_SI_JZNS1_25segmented_radix_sort_implINS0_14default_configELb0EPK6__halfPSP_PKlPlN2at6native12_GLOBAL__N_18offset_tEEE10hipError_tPvRmT1_PNSt15iterator_traitsIS13_E10value_typeET2_T3_PNS14_IS19_E10value_typeET4_jRbjT5_S1F_jjP12ihipStream_tbEUljE_ZNSN_ISO_Lb0ESR_SS_SU_SV_SZ_EES10_S11_S12_S13_S17_S18_S19_S1C_S1D_jS1E_jS1F_S1F_jjS1H_bEUljE0_EEES10_S11_S12_S19_S1D_S1F_T6_T7_T9_mT8_S1H_bDpT10_ENKUlT_T0_E_clISt17integral_constantIbLb0EES1V_EEDaS1Q_S1R_EUlS1Q_E_NS1_11comp_targetILNS1_3genE10ELNS1_11target_archE1200ELNS1_3gpuE4ELNS1_3repE0EEENS1_30default_config_static_selectorELNS0_4arch9wavefront6targetE0EEEvS13_.num_agpr, 0
	.set _ZN7rocprim17ROCPRIM_400000_NS6detail17trampoline_kernelINS0_13select_configILj256ELj13ELNS0_17block_load_methodE3ELS4_3ELS4_3ELNS0_20block_scan_algorithmE0ELj4294967295EEENS1_25partition_config_selectorILNS1_17partition_subalgoE4EjNS0_10empty_typeEbEEZZNS1_14partition_implILS8_4ELb0ES6_15HIP_vector_typeIjLj2EENS0_17counting_iteratorIjlEEPS9_SG_NS0_5tupleIJPjSI_NS0_16reverse_iteratorISI_EEEEENSH_IJSG_SG_SG_EEES9_SI_JZNS1_25segmented_radix_sort_implINS0_14default_configELb0EPK6__halfPSP_PKlPlN2at6native12_GLOBAL__N_18offset_tEEE10hipError_tPvRmT1_PNSt15iterator_traitsIS13_E10value_typeET2_T3_PNS14_IS19_E10value_typeET4_jRbjT5_S1F_jjP12ihipStream_tbEUljE_ZNSN_ISO_Lb0ESR_SS_SU_SV_SZ_EES10_S11_S12_S13_S17_S18_S19_S1C_S1D_jS1E_jS1F_S1F_jjS1H_bEUljE0_EEES10_S11_S12_S19_S1D_S1F_T6_T7_T9_mT8_S1H_bDpT10_ENKUlT_T0_E_clISt17integral_constantIbLb0EES1V_EEDaS1Q_S1R_EUlS1Q_E_NS1_11comp_targetILNS1_3genE10ELNS1_11target_archE1200ELNS1_3gpuE4ELNS1_3repE0EEENS1_30default_config_static_selectorELNS0_4arch9wavefront6targetE0EEEvS13_.numbered_sgpr, 0
	.set _ZN7rocprim17ROCPRIM_400000_NS6detail17trampoline_kernelINS0_13select_configILj256ELj13ELNS0_17block_load_methodE3ELS4_3ELS4_3ELNS0_20block_scan_algorithmE0ELj4294967295EEENS1_25partition_config_selectorILNS1_17partition_subalgoE4EjNS0_10empty_typeEbEEZZNS1_14partition_implILS8_4ELb0ES6_15HIP_vector_typeIjLj2EENS0_17counting_iteratorIjlEEPS9_SG_NS0_5tupleIJPjSI_NS0_16reverse_iteratorISI_EEEEENSH_IJSG_SG_SG_EEES9_SI_JZNS1_25segmented_radix_sort_implINS0_14default_configELb0EPK6__halfPSP_PKlPlN2at6native12_GLOBAL__N_18offset_tEEE10hipError_tPvRmT1_PNSt15iterator_traitsIS13_E10value_typeET2_T3_PNS14_IS19_E10value_typeET4_jRbjT5_S1F_jjP12ihipStream_tbEUljE_ZNSN_ISO_Lb0ESR_SS_SU_SV_SZ_EES10_S11_S12_S13_S17_S18_S19_S1C_S1D_jS1E_jS1F_S1F_jjS1H_bEUljE0_EEES10_S11_S12_S19_S1D_S1F_T6_T7_T9_mT8_S1H_bDpT10_ENKUlT_T0_E_clISt17integral_constantIbLb0EES1V_EEDaS1Q_S1R_EUlS1Q_E_NS1_11comp_targetILNS1_3genE10ELNS1_11target_archE1200ELNS1_3gpuE4ELNS1_3repE0EEENS1_30default_config_static_selectorELNS0_4arch9wavefront6targetE0EEEvS13_.num_named_barrier, 0
	.set _ZN7rocprim17ROCPRIM_400000_NS6detail17trampoline_kernelINS0_13select_configILj256ELj13ELNS0_17block_load_methodE3ELS4_3ELS4_3ELNS0_20block_scan_algorithmE0ELj4294967295EEENS1_25partition_config_selectorILNS1_17partition_subalgoE4EjNS0_10empty_typeEbEEZZNS1_14partition_implILS8_4ELb0ES6_15HIP_vector_typeIjLj2EENS0_17counting_iteratorIjlEEPS9_SG_NS0_5tupleIJPjSI_NS0_16reverse_iteratorISI_EEEEENSH_IJSG_SG_SG_EEES9_SI_JZNS1_25segmented_radix_sort_implINS0_14default_configELb0EPK6__halfPSP_PKlPlN2at6native12_GLOBAL__N_18offset_tEEE10hipError_tPvRmT1_PNSt15iterator_traitsIS13_E10value_typeET2_T3_PNS14_IS19_E10value_typeET4_jRbjT5_S1F_jjP12ihipStream_tbEUljE_ZNSN_ISO_Lb0ESR_SS_SU_SV_SZ_EES10_S11_S12_S13_S17_S18_S19_S1C_S1D_jS1E_jS1F_S1F_jjS1H_bEUljE0_EEES10_S11_S12_S19_S1D_S1F_T6_T7_T9_mT8_S1H_bDpT10_ENKUlT_T0_E_clISt17integral_constantIbLb0EES1V_EEDaS1Q_S1R_EUlS1Q_E_NS1_11comp_targetILNS1_3genE10ELNS1_11target_archE1200ELNS1_3gpuE4ELNS1_3repE0EEENS1_30default_config_static_selectorELNS0_4arch9wavefront6targetE0EEEvS13_.private_seg_size, 0
	.set _ZN7rocprim17ROCPRIM_400000_NS6detail17trampoline_kernelINS0_13select_configILj256ELj13ELNS0_17block_load_methodE3ELS4_3ELS4_3ELNS0_20block_scan_algorithmE0ELj4294967295EEENS1_25partition_config_selectorILNS1_17partition_subalgoE4EjNS0_10empty_typeEbEEZZNS1_14partition_implILS8_4ELb0ES6_15HIP_vector_typeIjLj2EENS0_17counting_iteratorIjlEEPS9_SG_NS0_5tupleIJPjSI_NS0_16reverse_iteratorISI_EEEEENSH_IJSG_SG_SG_EEES9_SI_JZNS1_25segmented_radix_sort_implINS0_14default_configELb0EPK6__halfPSP_PKlPlN2at6native12_GLOBAL__N_18offset_tEEE10hipError_tPvRmT1_PNSt15iterator_traitsIS13_E10value_typeET2_T3_PNS14_IS19_E10value_typeET4_jRbjT5_S1F_jjP12ihipStream_tbEUljE_ZNSN_ISO_Lb0ESR_SS_SU_SV_SZ_EES10_S11_S12_S13_S17_S18_S19_S1C_S1D_jS1E_jS1F_S1F_jjS1H_bEUljE0_EEES10_S11_S12_S19_S1D_S1F_T6_T7_T9_mT8_S1H_bDpT10_ENKUlT_T0_E_clISt17integral_constantIbLb0EES1V_EEDaS1Q_S1R_EUlS1Q_E_NS1_11comp_targetILNS1_3genE10ELNS1_11target_archE1200ELNS1_3gpuE4ELNS1_3repE0EEENS1_30default_config_static_selectorELNS0_4arch9wavefront6targetE0EEEvS13_.uses_vcc, 0
	.set _ZN7rocprim17ROCPRIM_400000_NS6detail17trampoline_kernelINS0_13select_configILj256ELj13ELNS0_17block_load_methodE3ELS4_3ELS4_3ELNS0_20block_scan_algorithmE0ELj4294967295EEENS1_25partition_config_selectorILNS1_17partition_subalgoE4EjNS0_10empty_typeEbEEZZNS1_14partition_implILS8_4ELb0ES6_15HIP_vector_typeIjLj2EENS0_17counting_iteratorIjlEEPS9_SG_NS0_5tupleIJPjSI_NS0_16reverse_iteratorISI_EEEEENSH_IJSG_SG_SG_EEES9_SI_JZNS1_25segmented_radix_sort_implINS0_14default_configELb0EPK6__halfPSP_PKlPlN2at6native12_GLOBAL__N_18offset_tEEE10hipError_tPvRmT1_PNSt15iterator_traitsIS13_E10value_typeET2_T3_PNS14_IS19_E10value_typeET4_jRbjT5_S1F_jjP12ihipStream_tbEUljE_ZNSN_ISO_Lb0ESR_SS_SU_SV_SZ_EES10_S11_S12_S13_S17_S18_S19_S1C_S1D_jS1E_jS1F_S1F_jjS1H_bEUljE0_EEES10_S11_S12_S19_S1D_S1F_T6_T7_T9_mT8_S1H_bDpT10_ENKUlT_T0_E_clISt17integral_constantIbLb0EES1V_EEDaS1Q_S1R_EUlS1Q_E_NS1_11comp_targetILNS1_3genE10ELNS1_11target_archE1200ELNS1_3gpuE4ELNS1_3repE0EEENS1_30default_config_static_selectorELNS0_4arch9wavefront6targetE0EEEvS13_.uses_flat_scratch, 0
	.set _ZN7rocprim17ROCPRIM_400000_NS6detail17trampoline_kernelINS0_13select_configILj256ELj13ELNS0_17block_load_methodE3ELS4_3ELS4_3ELNS0_20block_scan_algorithmE0ELj4294967295EEENS1_25partition_config_selectorILNS1_17partition_subalgoE4EjNS0_10empty_typeEbEEZZNS1_14partition_implILS8_4ELb0ES6_15HIP_vector_typeIjLj2EENS0_17counting_iteratorIjlEEPS9_SG_NS0_5tupleIJPjSI_NS0_16reverse_iteratorISI_EEEEENSH_IJSG_SG_SG_EEES9_SI_JZNS1_25segmented_radix_sort_implINS0_14default_configELb0EPK6__halfPSP_PKlPlN2at6native12_GLOBAL__N_18offset_tEEE10hipError_tPvRmT1_PNSt15iterator_traitsIS13_E10value_typeET2_T3_PNS14_IS19_E10value_typeET4_jRbjT5_S1F_jjP12ihipStream_tbEUljE_ZNSN_ISO_Lb0ESR_SS_SU_SV_SZ_EES10_S11_S12_S13_S17_S18_S19_S1C_S1D_jS1E_jS1F_S1F_jjS1H_bEUljE0_EEES10_S11_S12_S19_S1D_S1F_T6_T7_T9_mT8_S1H_bDpT10_ENKUlT_T0_E_clISt17integral_constantIbLb0EES1V_EEDaS1Q_S1R_EUlS1Q_E_NS1_11comp_targetILNS1_3genE10ELNS1_11target_archE1200ELNS1_3gpuE4ELNS1_3repE0EEENS1_30default_config_static_selectorELNS0_4arch9wavefront6targetE0EEEvS13_.has_dyn_sized_stack, 0
	.set _ZN7rocprim17ROCPRIM_400000_NS6detail17trampoline_kernelINS0_13select_configILj256ELj13ELNS0_17block_load_methodE3ELS4_3ELS4_3ELNS0_20block_scan_algorithmE0ELj4294967295EEENS1_25partition_config_selectorILNS1_17partition_subalgoE4EjNS0_10empty_typeEbEEZZNS1_14partition_implILS8_4ELb0ES6_15HIP_vector_typeIjLj2EENS0_17counting_iteratorIjlEEPS9_SG_NS0_5tupleIJPjSI_NS0_16reverse_iteratorISI_EEEEENSH_IJSG_SG_SG_EEES9_SI_JZNS1_25segmented_radix_sort_implINS0_14default_configELb0EPK6__halfPSP_PKlPlN2at6native12_GLOBAL__N_18offset_tEEE10hipError_tPvRmT1_PNSt15iterator_traitsIS13_E10value_typeET2_T3_PNS14_IS19_E10value_typeET4_jRbjT5_S1F_jjP12ihipStream_tbEUljE_ZNSN_ISO_Lb0ESR_SS_SU_SV_SZ_EES10_S11_S12_S13_S17_S18_S19_S1C_S1D_jS1E_jS1F_S1F_jjS1H_bEUljE0_EEES10_S11_S12_S19_S1D_S1F_T6_T7_T9_mT8_S1H_bDpT10_ENKUlT_T0_E_clISt17integral_constantIbLb0EES1V_EEDaS1Q_S1R_EUlS1Q_E_NS1_11comp_targetILNS1_3genE10ELNS1_11target_archE1200ELNS1_3gpuE4ELNS1_3repE0EEENS1_30default_config_static_selectorELNS0_4arch9wavefront6targetE0EEEvS13_.has_recursion, 0
	.set _ZN7rocprim17ROCPRIM_400000_NS6detail17trampoline_kernelINS0_13select_configILj256ELj13ELNS0_17block_load_methodE3ELS4_3ELS4_3ELNS0_20block_scan_algorithmE0ELj4294967295EEENS1_25partition_config_selectorILNS1_17partition_subalgoE4EjNS0_10empty_typeEbEEZZNS1_14partition_implILS8_4ELb0ES6_15HIP_vector_typeIjLj2EENS0_17counting_iteratorIjlEEPS9_SG_NS0_5tupleIJPjSI_NS0_16reverse_iteratorISI_EEEEENSH_IJSG_SG_SG_EEES9_SI_JZNS1_25segmented_radix_sort_implINS0_14default_configELb0EPK6__halfPSP_PKlPlN2at6native12_GLOBAL__N_18offset_tEEE10hipError_tPvRmT1_PNSt15iterator_traitsIS13_E10value_typeET2_T3_PNS14_IS19_E10value_typeET4_jRbjT5_S1F_jjP12ihipStream_tbEUljE_ZNSN_ISO_Lb0ESR_SS_SU_SV_SZ_EES10_S11_S12_S13_S17_S18_S19_S1C_S1D_jS1E_jS1F_S1F_jjS1H_bEUljE0_EEES10_S11_S12_S19_S1D_S1F_T6_T7_T9_mT8_S1H_bDpT10_ENKUlT_T0_E_clISt17integral_constantIbLb0EES1V_EEDaS1Q_S1R_EUlS1Q_E_NS1_11comp_targetILNS1_3genE10ELNS1_11target_archE1200ELNS1_3gpuE4ELNS1_3repE0EEENS1_30default_config_static_selectorELNS0_4arch9wavefront6targetE0EEEvS13_.has_indirect_call, 0
	.section	.AMDGPU.csdata,"",@progbits
; Kernel info:
; codeLenInByte = 0
; TotalNumSgprs: 0
; NumVgprs: 0
; ScratchSize: 0
; MemoryBound: 0
; FloatMode: 240
; IeeeMode: 1
; LDSByteSize: 0 bytes/workgroup (compile time only)
; SGPRBlocks: 0
; VGPRBlocks: 0
; NumSGPRsForWavesPerEU: 1
; NumVGPRsForWavesPerEU: 1
; Occupancy: 16
; WaveLimiterHint : 0
; COMPUTE_PGM_RSRC2:SCRATCH_EN: 0
; COMPUTE_PGM_RSRC2:USER_SGPR: 6
; COMPUTE_PGM_RSRC2:TRAP_HANDLER: 0
; COMPUTE_PGM_RSRC2:TGID_X_EN: 1
; COMPUTE_PGM_RSRC2:TGID_Y_EN: 0
; COMPUTE_PGM_RSRC2:TGID_Z_EN: 0
; COMPUTE_PGM_RSRC2:TIDIG_COMP_CNT: 0
	.section	.text._ZN7rocprim17ROCPRIM_400000_NS6detail17trampoline_kernelINS0_13select_configILj256ELj13ELNS0_17block_load_methodE3ELS4_3ELS4_3ELNS0_20block_scan_algorithmE0ELj4294967295EEENS1_25partition_config_selectorILNS1_17partition_subalgoE4EjNS0_10empty_typeEbEEZZNS1_14partition_implILS8_4ELb0ES6_15HIP_vector_typeIjLj2EENS0_17counting_iteratorIjlEEPS9_SG_NS0_5tupleIJPjSI_NS0_16reverse_iteratorISI_EEEEENSH_IJSG_SG_SG_EEES9_SI_JZNS1_25segmented_radix_sort_implINS0_14default_configELb0EPK6__halfPSP_PKlPlN2at6native12_GLOBAL__N_18offset_tEEE10hipError_tPvRmT1_PNSt15iterator_traitsIS13_E10value_typeET2_T3_PNS14_IS19_E10value_typeET4_jRbjT5_S1F_jjP12ihipStream_tbEUljE_ZNSN_ISO_Lb0ESR_SS_SU_SV_SZ_EES10_S11_S12_S13_S17_S18_S19_S1C_S1D_jS1E_jS1F_S1F_jjS1H_bEUljE0_EEES10_S11_S12_S19_S1D_S1F_T6_T7_T9_mT8_S1H_bDpT10_ENKUlT_T0_E_clISt17integral_constantIbLb0EES1V_EEDaS1Q_S1R_EUlS1Q_E_NS1_11comp_targetILNS1_3genE9ELNS1_11target_archE1100ELNS1_3gpuE3ELNS1_3repE0EEENS1_30default_config_static_selectorELNS0_4arch9wavefront6targetE0EEEvS13_,"axG",@progbits,_ZN7rocprim17ROCPRIM_400000_NS6detail17trampoline_kernelINS0_13select_configILj256ELj13ELNS0_17block_load_methodE3ELS4_3ELS4_3ELNS0_20block_scan_algorithmE0ELj4294967295EEENS1_25partition_config_selectorILNS1_17partition_subalgoE4EjNS0_10empty_typeEbEEZZNS1_14partition_implILS8_4ELb0ES6_15HIP_vector_typeIjLj2EENS0_17counting_iteratorIjlEEPS9_SG_NS0_5tupleIJPjSI_NS0_16reverse_iteratorISI_EEEEENSH_IJSG_SG_SG_EEES9_SI_JZNS1_25segmented_radix_sort_implINS0_14default_configELb0EPK6__halfPSP_PKlPlN2at6native12_GLOBAL__N_18offset_tEEE10hipError_tPvRmT1_PNSt15iterator_traitsIS13_E10value_typeET2_T3_PNS14_IS19_E10value_typeET4_jRbjT5_S1F_jjP12ihipStream_tbEUljE_ZNSN_ISO_Lb0ESR_SS_SU_SV_SZ_EES10_S11_S12_S13_S17_S18_S19_S1C_S1D_jS1E_jS1F_S1F_jjS1H_bEUljE0_EEES10_S11_S12_S19_S1D_S1F_T6_T7_T9_mT8_S1H_bDpT10_ENKUlT_T0_E_clISt17integral_constantIbLb0EES1V_EEDaS1Q_S1R_EUlS1Q_E_NS1_11comp_targetILNS1_3genE9ELNS1_11target_archE1100ELNS1_3gpuE3ELNS1_3repE0EEENS1_30default_config_static_selectorELNS0_4arch9wavefront6targetE0EEEvS13_,comdat
	.globl	_ZN7rocprim17ROCPRIM_400000_NS6detail17trampoline_kernelINS0_13select_configILj256ELj13ELNS0_17block_load_methodE3ELS4_3ELS4_3ELNS0_20block_scan_algorithmE0ELj4294967295EEENS1_25partition_config_selectorILNS1_17partition_subalgoE4EjNS0_10empty_typeEbEEZZNS1_14partition_implILS8_4ELb0ES6_15HIP_vector_typeIjLj2EENS0_17counting_iteratorIjlEEPS9_SG_NS0_5tupleIJPjSI_NS0_16reverse_iteratorISI_EEEEENSH_IJSG_SG_SG_EEES9_SI_JZNS1_25segmented_radix_sort_implINS0_14default_configELb0EPK6__halfPSP_PKlPlN2at6native12_GLOBAL__N_18offset_tEEE10hipError_tPvRmT1_PNSt15iterator_traitsIS13_E10value_typeET2_T3_PNS14_IS19_E10value_typeET4_jRbjT5_S1F_jjP12ihipStream_tbEUljE_ZNSN_ISO_Lb0ESR_SS_SU_SV_SZ_EES10_S11_S12_S13_S17_S18_S19_S1C_S1D_jS1E_jS1F_S1F_jjS1H_bEUljE0_EEES10_S11_S12_S19_S1D_S1F_T6_T7_T9_mT8_S1H_bDpT10_ENKUlT_T0_E_clISt17integral_constantIbLb0EES1V_EEDaS1Q_S1R_EUlS1Q_E_NS1_11comp_targetILNS1_3genE9ELNS1_11target_archE1100ELNS1_3gpuE3ELNS1_3repE0EEENS1_30default_config_static_selectorELNS0_4arch9wavefront6targetE0EEEvS13_ ; -- Begin function _ZN7rocprim17ROCPRIM_400000_NS6detail17trampoline_kernelINS0_13select_configILj256ELj13ELNS0_17block_load_methodE3ELS4_3ELS4_3ELNS0_20block_scan_algorithmE0ELj4294967295EEENS1_25partition_config_selectorILNS1_17partition_subalgoE4EjNS0_10empty_typeEbEEZZNS1_14partition_implILS8_4ELb0ES6_15HIP_vector_typeIjLj2EENS0_17counting_iteratorIjlEEPS9_SG_NS0_5tupleIJPjSI_NS0_16reverse_iteratorISI_EEEEENSH_IJSG_SG_SG_EEES9_SI_JZNS1_25segmented_radix_sort_implINS0_14default_configELb0EPK6__halfPSP_PKlPlN2at6native12_GLOBAL__N_18offset_tEEE10hipError_tPvRmT1_PNSt15iterator_traitsIS13_E10value_typeET2_T3_PNS14_IS19_E10value_typeET4_jRbjT5_S1F_jjP12ihipStream_tbEUljE_ZNSN_ISO_Lb0ESR_SS_SU_SV_SZ_EES10_S11_S12_S13_S17_S18_S19_S1C_S1D_jS1E_jS1F_S1F_jjS1H_bEUljE0_EEES10_S11_S12_S19_S1D_S1F_T6_T7_T9_mT8_S1H_bDpT10_ENKUlT_T0_E_clISt17integral_constantIbLb0EES1V_EEDaS1Q_S1R_EUlS1Q_E_NS1_11comp_targetILNS1_3genE9ELNS1_11target_archE1100ELNS1_3gpuE3ELNS1_3repE0EEENS1_30default_config_static_selectorELNS0_4arch9wavefront6targetE0EEEvS13_
	.p2align	8
	.type	_ZN7rocprim17ROCPRIM_400000_NS6detail17trampoline_kernelINS0_13select_configILj256ELj13ELNS0_17block_load_methodE3ELS4_3ELS4_3ELNS0_20block_scan_algorithmE0ELj4294967295EEENS1_25partition_config_selectorILNS1_17partition_subalgoE4EjNS0_10empty_typeEbEEZZNS1_14partition_implILS8_4ELb0ES6_15HIP_vector_typeIjLj2EENS0_17counting_iteratorIjlEEPS9_SG_NS0_5tupleIJPjSI_NS0_16reverse_iteratorISI_EEEEENSH_IJSG_SG_SG_EEES9_SI_JZNS1_25segmented_radix_sort_implINS0_14default_configELb0EPK6__halfPSP_PKlPlN2at6native12_GLOBAL__N_18offset_tEEE10hipError_tPvRmT1_PNSt15iterator_traitsIS13_E10value_typeET2_T3_PNS14_IS19_E10value_typeET4_jRbjT5_S1F_jjP12ihipStream_tbEUljE_ZNSN_ISO_Lb0ESR_SS_SU_SV_SZ_EES10_S11_S12_S13_S17_S18_S19_S1C_S1D_jS1E_jS1F_S1F_jjS1H_bEUljE0_EEES10_S11_S12_S19_S1D_S1F_T6_T7_T9_mT8_S1H_bDpT10_ENKUlT_T0_E_clISt17integral_constantIbLb0EES1V_EEDaS1Q_S1R_EUlS1Q_E_NS1_11comp_targetILNS1_3genE9ELNS1_11target_archE1100ELNS1_3gpuE3ELNS1_3repE0EEENS1_30default_config_static_selectorELNS0_4arch9wavefront6targetE0EEEvS13_,@function
_ZN7rocprim17ROCPRIM_400000_NS6detail17trampoline_kernelINS0_13select_configILj256ELj13ELNS0_17block_load_methodE3ELS4_3ELS4_3ELNS0_20block_scan_algorithmE0ELj4294967295EEENS1_25partition_config_selectorILNS1_17partition_subalgoE4EjNS0_10empty_typeEbEEZZNS1_14partition_implILS8_4ELb0ES6_15HIP_vector_typeIjLj2EENS0_17counting_iteratorIjlEEPS9_SG_NS0_5tupleIJPjSI_NS0_16reverse_iteratorISI_EEEEENSH_IJSG_SG_SG_EEES9_SI_JZNS1_25segmented_radix_sort_implINS0_14default_configELb0EPK6__halfPSP_PKlPlN2at6native12_GLOBAL__N_18offset_tEEE10hipError_tPvRmT1_PNSt15iterator_traitsIS13_E10value_typeET2_T3_PNS14_IS19_E10value_typeET4_jRbjT5_S1F_jjP12ihipStream_tbEUljE_ZNSN_ISO_Lb0ESR_SS_SU_SV_SZ_EES10_S11_S12_S13_S17_S18_S19_S1C_S1D_jS1E_jS1F_S1F_jjS1H_bEUljE0_EEES10_S11_S12_S19_S1D_S1F_T6_T7_T9_mT8_S1H_bDpT10_ENKUlT_T0_E_clISt17integral_constantIbLb0EES1V_EEDaS1Q_S1R_EUlS1Q_E_NS1_11comp_targetILNS1_3genE9ELNS1_11target_archE1100ELNS1_3gpuE3ELNS1_3repE0EEENS1_30default_config_static_selectorELNS0_4arch9wavefront6targetE0EEEvS13_: ; @_ZN7rocprim17ROCPRIM_400000_NS6detail17trampoline_kernelINS0_13select_configILj256ELj13ELNS0_17block_load_methodE3ELS4_3ELS4_3ELNS0_20block_scan_algorithmE0ELj4294967295EEENS1_25partition_config_selectorILNS1_17partition_subalgoE4EjNS0_10empty_typeEbEEZZNS1_14partition_implILS8_4ELb0ES6_15HIP_vector_typeIjLj2EENS0_17counting_iteratorIjlEEPS9_SG_NS0_5tupleIJPjSI_NS0_16reverse_iteratorISI_EEEEENSH_IJSG_SG_SG_EEES9_SI_JZNS1_25segmented_radix_sort_implINS0_14default_configELb0EPK6__halfPSP_PKlPlN2at6native12_GLOBAL__N_18offset_tEEE10hipError_tPvRmT1_PNSt15iterator_traitsIS13_E10value_typeET2_T3_PNS14_IS19_E10value_typeET4_jRbjT5_S1F_jjP12ihipStream_tbEUljE_ZNSN_ISO_Lb0ESR_SS_SU_SV_SZ_EES10_S11_S12_S13_S17_S18_S19_S1C_S1D_jS1E_jS1F_S1F_jjS1H_bEUljE0_EEES10_S11_S12_S19_S1D_S1F_T6_T7_T9_mT8_S1H_bDpT10_ENKUlT_T0_E_clISt17integral_constantIbLb0EES1V_EEDaS1Q_S1R_EUlS1Q_E_NS1_11comp_targetILNS1_3genE9ELNS1_11target_archE1100ELNS1_3gpuE3ELNS1_3repE0EEENS1_30default_config_static_selectorELNS0_4arch9wavefront6targetE0EEEvS13_
; %bb.0:
	.section	.rodata,"a",@progbits
	.p2align	6, 0x0
	.amdhsa_kernel _ZN7rocprim17ROCPRIM_400000_NS6detail17trampoline_kernelINS0_13select_configILj256ELj13ELNS0_17block_load_methodE3ELS4_3ELS4_3ELNS0_20block_scan_algorithmE0ELj4294967295EEENS1_25partition_config_selectorILNS1_17partition_subalgoE4EjNS0_10empty_typeEbEEZZNS1_14partition_implILS8_4ELb0ES6_15HIP_vector_typeIjLj2EENS0_17counting_iteratorIjlEEPS9_SG_NS0_5tupleIJPjSI_NS0_16reverse_iteratorISI_EEEEENSH_IJSG_SG_SG_EEES9_SI_JZNS1_25segmented_radix_sort_implINS0_14default_configELb0EPK6__halfPSP_PKlPlN2at6native12_GLOBAL__N_18offset_tEEE10hipError_tPvRmT1_PNSt15iterator_traitsIS13_E10value_typeET2_T3_PNS14_IS19_E10value_typeET4_jRbjT5_S1F_jjP12ihipStream_tbEUljE_ZNSN_ISO_Lb0ESR_SS_SU_SV_SZ_EES10_S11_S12_S13_S17_S18_S19_S1C_S1D_jS1E_jS1F_S1F_jjS1H_bEUljE0_EEES10_S11_S12_S19_S1D_S1F_T6_T7_T9_mT8_S1H_bDpT10_ENKUlT_T0_E_clISt17integral_constantIbLb0EES1V_EEDaS1Q_S1R_EUlS1Q_E_NS1_11comp_targetILNS1_3genE9ELNS1_11target_archE1100ELNS1_3gpuE3ELNS1_3repE0EEENS1_30default_config_static_selectorELNS0_4arch9wavefront6targetE0EEEvS13_
		.amdhsa_group_segment_fixed_size 0
		.amdhsa_private_segment_fixed_size 0
		.amdhsa_kernarg_size 176
		.amdhsa_user_sgpr_count 6
		.amdhsa_user_sgpr_private_segment_buffer 1
		.amdhsa_user_sgpr_dispatch_ptr 0
		.amdhsa_user_sgpr_queue_ptr 0
		.amdhsa_user_sgpr_kernarg_segment_ptr 1
		.amdhsa_user_sgpr_dispatch_id 0
		.amdhsa_user_sgpr_flat_scratch_init 0
		.amdhsa_user_sgpr_private_segment_size 0
		.amdhsa_wavefront_size32 1
		.amdhsa_uses_dynamic_stack 0
		.amdhsa_system_sgpr_private_segment_wavefront_offset 0
		.amdhsa_system_sgpr_workgroup_id_x 1
		.amdhsa_system_sgpr_workgroup_id_y 0
		.amdhsa_system_sgpr_workgroup_id_z 0
		.amdhsa_system_sgpr_workgroup_info 0
		.amdhsa_system_vgpr_workitem_id 0
		.amdhsa_next_free_vgpr 1
		.amdhsa_next_free_sgpr 1
		.amdhsa_reserve_vcc 0
		.amdhsa_reserve_flat_scratch 0
		.amdhsa_float_round_mode_32 0
		.amdhsa_float_round_mode_16_64 0
		.amdhsa_float_denorm_mode_32 3
		.amdhsa_float_denorm_mode_16_64 3
		.amdhsa_dx10_clamp 1
		.amdhsa_ieee_mode 1
		.amdhsa_fp16_overflow 0
		.amdhsa_workgroup_processor_mode 1
		.amdhsa_memory_ordered 1
		.amdhsa_forward_progress 1
		.amdhsa_shared_vgpr_count 0
		.amdhsa_exception_fp_ieee_invalid_op 0
		.amdhsa_exception_fp_denorm_src 0
		.amdhsa_exception_fp_ieee_div_zero 0
		.amdhsa_exception_fp_ieee_overflow 0
		.amdhsa_exception_fp_ieee_underflow 0
		.amdhsa_exception_fp_ieee_inexact 0
		.amdhsa_exception_int_div_zero 0
	.end_amdhsa_kernel
	.section	.text._ZN7rocprim17ROCPRIM_400000_NS6detail17trampoline_kernelINS0_13select_configILj256ELj13ELNS0_17block_load_methodE3ELS4_3ELS4_3ELNS0_20block_scan_algorithmE0ELj4294967295EEENS1_25partition_config_selectorILNS1_17partition_subalgoE4EjNS0_10empty_typeEbEEZZNS1_14partition_implILS8_4ELb0ES6_15HIP_vector_typeIjLj2EENS0_17counting_iteratorIjlEEPS9_SG_NS0_5tupleIJPjSI_NS0_16reverse_iteratorISI_EEEEENSH_IJSG_SG_SG_EEES9_SI_JZNS1_25segmented_radix_sort_implINS0_14default_configELb0EPK6__halfPSP_PKlPlN2at6native12_GLOBAL__N_18offset_tEEE10hipError_tPvRmT1_PNSt15iterator_traitsIS13_E10value_typeET2_T3_PNS14_IS19_E10value_typeET4_jRbjT5_S1F_jjP12ihipStream_tbEUljE_ZNSN_ISO_Lb0ESR_SS_SU_SV_SZ_EES10_S11_S12_S13_S17_S18_S19_S1C_S1D_jS1E_jS1F_S1F_jjS1H_bEUljE0_EEES10_S11_S12_S19_S1D_S1F_T6_T7_T9_mT8_S1H_bDpT10_ENKUlT_T0_E_clISt17integral_constantIbLb0EES1V_EEDaS1Q_S1R_EUlS1Q_E_NS1_11comp_targetILNS1_3genE9ELNS1_11target_archE1100ELNS1_3gpuE3ELNS1_3repE0EEENS1_30default_config_static_selectorELNS0_4arch9wavefront6targetE0EEEvS13_,"axG",@progbits,_ZN7rocprim17ROCPRIM_400000_NS6detail17trampoline_kernelINS0_13select_configILj256ELj13ELNS0_17block_load_methodE3ELS4_3ELS4_3ELNS0_20block_scan_algorithmE0ELj4294967295EEENS1_25partition_config_selectorILNS1_17partition_subalgoE4EjNS0_10empty_typeEbEEZZNS1_14partition_implILS8_4ELb0ES6_15HIP_vector_typeIjLj2EENS0_17counting_iteratorIjlEEPS9_SG_NS0_5tupleIJPjSI_NS0_16reverse_iteratorISI_EEEEENSH_IJSG_SG_SG_EEES9_SI_JZNS1_25segmented_radix_sort_implINS0_14default_configELb0EPK6__halfPSP_PKlPlN2at6native12_GLOBAL__N_18offset_tEEE10hipError_tPvRmT1_PNSt15iterator_traitsIS13_E10value_typeET2_T3_PNS14_IS19_E10value_typeET4_jRbjT5_S1F_jjP12ihipStream_tbEUljE_ZNSN_ISO_Lb0ESR_SS_SU_SV_SZ_EES10_S11_S12_S13_S17_S18_S19_S1C_S1D_jS1E_jS1F_S1F_jjS1H_bEUljE0_EEES10_S11_S12_S19_S1D_S1F_T6_T7_T9_mT8_S1H_bDpT10_ENKUlT_T0_E_clISt17integral_constantIbLb0EES1V_EEDaS1Q_S1R_EUlS1Q_E_NS1_11comp_targetILNS1_3genE9ELNS1_11target_archE1100ELNS1_3gpuE3ELNS1_3repE0EEENS1_30default_config_static_selectorELNS0_4arch9wavefront6targetE0EEEvS13_,comdat
.Lfunc_end1774:
	.size	_ZN7rocprim17ROCPRIM_400000_NS6detail17trampoline_kernelINS0_13select_configILj256ELj13ELNS0_17block_load_methodE3ELS4_3ELS4_3ELNS0_20block_scan_algorithmE0ELj4294967295EEENS1_25partition_config_selectorILNS1_17partition_subalgoE4EjNS0_10empty_typeEbEEZZNS1_14partition_implILS8_4ELb0ES6_15HIP_vector_typeIjLj2EENS0_17counting_iteratorIjlEEPS9_SG_NS0_5tupleIJPjSI_NS0_16reverse_iteratorISI_EEEEENSH_IJSG_SG_SG_EEES9_SI_JZNS1_25segmented_radix_sort_implINS0_14default_configELb0EPK6__halfPSP_PKlPlN2at6native12_GLOBAL__N_18offset_tEEE10hipError_tPvRmT1_PNSt15iterator_traitsIS13_E10value_typeET2_T3_PNS14_IS19_E10value_typeET4_jRbjT5_S1F_jjP12ihipStream_tbEUljE_ZNSN_ISO_Lb0ESR_SS_SU_SV_SZ_EES10_S11_S12_S13_S17_S18_S19_S1C_S1D_jS1E_jS1F_S1F_jjS1H_bEUljE0_EEES10_S11_S12_S19_S1D_S1F_T6_T7_T9_mT8_S1H_bDpT10_ENKUlT_T0_E_clISt17integral_constantIbLb0EES1V_EEDaS1Q_S1R_EUlS1Q_E_NS1_11comp_targetILNS1_3genE9ELNS1_11target_archE1100ELNS1_3gpuE3ELNS1_3repE0EEENS1_30default_config_static_selectorELNS0_4arch9wavefront6targetE0EEEvS13_, .Lfunc_end1774-_ZN7rocprim17ROCPRIM_400000_NS6detail17trampoline_kernelINS0_13select_configILj256ELj13ELNS0_17block_load_methodE3ELS4_3ELS4_3ELNS0_20block_scan_algorithmE0ELj4294967295EEENS1_25partition_config_selectorILNS1_17partition_subalgoE4EjNS0_10empty_typeEbEEZZNS1_14partition_implILS8_4ELb0ES6_15HIP_vector_typeIjLj2EENS0_17counting_iteratorIjlEEPS9_SG_NS0_5tupleIJPjSI_NS0_16reverse_iteratorISI_EEEEENSH_IJSG_SG_SG_EEES9_SI_JZNS1_25segmented_radix_sort_implINS0_14default_configELb0EPK6__halfPSP_PKlPlN2at6native12_GLOBAL__N_18offset_tEEE10hipError_tPvRmT1_PNSt15iterator_traitsIS13_E10value_typeET2_T3_PNS14_IS19_E10value_typeET4_jRbjT5_S1F_jjP12ihipStream_tbEUljE_ZNSN_ISO_Lb0ESR_SS_SU_SV_SZ_EES10_S11_S12_S13_S17_S18_S19_S1C_S1D_jS1E_jS1F_S1F_jjS1H_bEUljE0_EEES10_S11_S12_S19_S1D_S1F_T6_T7_T9_mT8_S1H_bDpT10_ENKUlT_T0_E_clISt17integral_constantIbLb0EES1V_EEDaS1Q_S1R_EUlS1Q_E_NS1_11comp_targetILNS1_3genE9ELNS1_11target_archE1100ELNS1_3gpuE3ELNS1_3repE0EEENS1_30default_config_static_selectorELNS0_4arch9wavefront6targetE0EEEvS13_
                                        ; -- End function
	.set _ZN7rocprim17ROCPRIM_400000_NS6detail17trampoline_kernelINS0_13select_configILj256ELj13ELNS0_17block_load_methodE3ELS4_3ELS4_3ELNS0_20block_scan_algorithmE0ELj4294967295EEENS1_25partition_config_selectorILNS1_17partition_subalgoE4EjNS0_10empty_typeEbEEZZNS1_14partition_implILS8_4ELb0ES6_15HIP_vector_typeIjLj2EENS0_17counting_iteratorIjlEEPS9_SG_NS0_5tupleIJPjSI_NS0_16reverse_iteratorISI_EEEEENSH_IJSG_SG_SG_EEES9_SI_JZNS1_25segmented_radix_sort_implINS0_14default_configELb0EPK6__halfPSP_PKlPlN2at6native12_GLOBAL__N_18offset_tEEE10hipError_tPvRmT1_PNSt15iterator_traitsIS13_E10value_typeET2_T3_PNS14_IS19_E10value_typeET4_jRbjT5_S1F_jjP12ihipStream_tbEUljE_ZNSN_ISO_Lb0ESR_SS_SU_SV_SZ_EES10_S11_S12_S13_S17_S18_S19_S1C_S1D_jS1E_jS1F_S1F_jjS1H_bEUljE0_EEES10_S11_S12_S19_S1D_S1F_T6_T7_T9_mT8_S1H_bDpT10_ENKUlT_T0_E_clISt17integral_constantIbLb0EES1V_EEDaS1Q_S1R_EUlS1Q_E_NS1_11comp_targetILNS1_3genE9ELNS1_11target_archE1100ELNS1_3gpuE3ELNS1_3repE0EEENS1_30default_config_static_selectorELNS0_4arch9wavefront6targetE0EEEvS13_.num_vgpr, 0
	.set _ZN7rocprim17ROCPRIM_400000_NS6detail17trampoline_kernelINS0_13select_configILj256ELj13ELNS0_17block_load_methodE3ELS4_3ELS4_3ELNS0_20block_scan_algorithmE0ELj4294967295EEENS1_25partition_config_selectorILNS1_17partition_subalgoE4EjNS0_10empty_typeEbEEZZNS1_14partition_implILS8_4ELb0ES6_15HIP_vector_typeIjLj2EENS0_17counting_iteratorIjlEEPS9_SG_NS0_5tupleIJPjSI_NS0_16reverse_iteratorISI_EEEEENSH_IJSG_SG_SG_EEES9_SI_JZNS1_25segmented_radix_sort_implINS0_14default_configELb0EPK6__halfPSP_PKlPlN2at6native12_GLOBAL__N_18offset_tEEE10hipError_tPvRmT1_PNSt15iterator_traitsIS13_E10value_typeET2_T3_PNS14_IS19_E10value_typeET4_jRbjT5_S1F_jjP12ihipStream_tbEUljE_ZNSN_ISO_Lb0ESR_SS_SU_SV_SZ_EES10_S11_S12_S13_S17_S18_S19_S1C_S1D_jS1E_jS1F_S1F_jjS1H_bEUljE0_EEES10_S11_S12_S19_S1D_S1F_T6_T7_T9_mT8_S1H_bDpT10_ENKUlT_T0_E_clISt17integral_constantIbLb0EES1V_EEDaS1Q_S1R_EUlS1Q_E_NS1_11comp_targetILNS1_3genE9ELNS1_11target_archE1100ELNS1_3gpuE3ELNS1_3repE0EEENS1_30default_config_static_selectorELNS0_4arch9wavefront6targetE0EEEvS13_.num_agpr, 0
	.set _ZN7rocprim17ROCPRIM_400000_NS6detail17trampoline_kernelINS0_13select_configILj256ELj13ELNS0_17block_load_methodE3ELS4_3ELS4_3ELNS0_20block_scan_algorithmE0ELj4294967295EEENS1_25partition_config_selectorILNS1_17partition_subalgoE4EjNS0_10empty_typeEbEEZZNS1_14partition_implILS8_4ELb0ES6_15HIP_vector_typeIjLj2EENS0_17counting_iteratorIjlEEPS9_SG_NS0_5tupleIJPjSI_NS0_16reverse_iteratorISI_EEEEENSH_IJSG_SG_SG_EEES9_SI_JZNS1_25segmented_radix_sort_implINS0_14default_configELb0EPK6__halfPSP_PKlPlN2at6native12_GLOBAL__N_18offset_tEEE10hipError_tPvRmT1_PNSt15iterator_traitsIS13_E10value_typeET2_T3_PNS14_IS19_E10value_typeET4_jRbjT5_S1F_jjP12ihipStream_tbEUljE_ZNSN_ISO_Lb0ESR_SS_SU_SV_SZ_EES10_S11_S12_S13_S17_S18_S19_S1C_S1D_jS1E_jS1F_S1F_jjS1H_bEUljE0_EEES10_S11_S12_S19_S1D_S1F_T6_T7_T9_mT8_S1H_bDpT10_ENKUlT_T0_E_clISt17integral_constantIbLb0EES1V_EEDaS1Q_S1R_EUlS1Q_E_NS1_11comp_targetILNS1_3genE9ELNS1_11target_archE1100ELNS1_3gpuE3ELNS1_3repE0EEENS1_30default_config_static_selectorELNS0_4arch9wavefront6targetE0EEEvS13_.numbered_sgpr, 0
	.set _ZN7rocprim17ROCPRIM_400000_NS6detail17trampoline_kernelINS0_13select_configILj256ELj13ELNS0_17block_load_methodE3ELS4_3ELS4_3ELNS0_20block_scan_algorithmE0ELj4294967295EEENS1_25partition_config_selectorILNS1_17partition_subalgoE4EjNS0_10empty_typeEbEEZZNS1_14partition_implILS8_4ELb0ES6_15HIP_vector_typeIjLj2EENS0_17counting_iteratorIjlEEPS9_SG_NS0_5tupleIJPjSI_NS0_16reverse_iteratorISI_EEEEENSH_IJSG_SG_SG_EEES9_SI_JZNS1_25segmented_radix_sort_implINS0_14default_configELb0EPK6__halfPSP_PKlPlN2at6native12_GLOBAL__N_18offset_tEEE10hipError_tPvRmT1_PNSt15iterator_traitsIS13_E10value_typeET2_T3_PNS14_IS19_E10value_typeET4_jRbjT5_S1F_jjP12ihipStream_tbEUljE_ZNSN_ISO_Lb0ESR_SS_SU_SV_SZ_EES10_S11_S12_S13_S17_S18_S19_S1C_S1D_jS1E_jS1F_S1F_jjS1H_bEUljE0_EEES10_S11_S12_S19_S1D_S1F_T6_T7_T9_mT8_S1H_bDpT10_ENKUlT_T0_E_clISt17integral_constantIbLb0EES1V_EEDaS1Q_S1R_EUlS1Q_E_NS1_11comp_targetILNS1_3genE9ELNS1_11target_archE1100ELNS1_3gpuE3ELNS1_3repE0EEENS1_30default_config_static_selectorELNS0_4arch9wavefront6targetE0EEEvS13_.num_named_barrier, 0
	.set _ZN7rocprim17ROCPRIM_400000_NS6detail17trampoline_kernelINS0_13select_configILj256ELj13ELNS0_17block_load_methodE3ELS4_3ELS4_3ELNS0_20block_scan_algorithmE0ELj4294967295EEENS1_25partition_config_selectorILNS1_17partition_subalgoE4EjNS0_10empty_typeEbEEZZNS1_14partition_implILS8_4ELb0ES6_15HIP_vector_typeIjLj2EENS0_17counting_iteratorIjlEEPS9_SG_NS0_5tupleIJPjSI_NS0_16reverse_iteratorISI_EEEEENSH_IJSG_SG_SG_EEES9_SI_JZNS1_25segmented_radix_sort_implINS0_14default_configELb0EPK6__halfPSP_PKlPlN2at6native12_GLOBAL__N_18offset_tEEE10hipError_tPvRmT1_PNSt15iterator_traitsIS13_E10value_typeET2_T3_PNS14_IS19_E10value_typeET4_jRbjT5_S1F_jjP12ihipStream_tbEUljE_ZNSN_ISO_Lb0ESR_SS_SU_SV_SZ_EES10_S11_S12_S13_S17_S18_S19_S1C_S1D_jS1E_jS1F_S1F_jjS1H_bEUljE0_EEES10_S11_S12_S19_S1D_S1F_T6_T7_T9_mT8_S1H_bDpT10_ENKUlT_T0_E_clISt17integral_constantIbLb0EES1V_EEDaS1Q_S1R_EUlS1Q_E_NS1_11comp_targetILNS1_3genE9ELNS1_11target_archE1100ELNS1_3gpuE3ELNS1_3repE0EEENS1_30default_config_static_selectorELNS0_4arch9wavefront6targetE0EEEvS13_.private_seg_size, 0
	.set _ZN7rocprim17ROCPRIM_400000_NS6detail17trampoline_kernelINS0_13select_configILj256ELj13ELNS0_17block_load_methodE3ELS4_3ELS4_3ELNS0_20block_scan_algorithmE0ELj4294967295EEENS1_25partition_config_selectorILNS1_17partition_subalgoE4EjNS0_10empty_typeEbEEZZNS1_14partition_implILS8_4ELb0ES6_15HIP_vector_typeIjLj2EENS0_17counting_iteratorIjlEEPS9_SG_NS0_5tupleIJPjSI_NS0_16reverse_iteratorISI_EEEEENSH_IJSG_SG_SG_EEES9_SI_JZNS1_25segmented_radix_sort_implINS0_14default_configELb0EPK6__halfPSP_PKlPlN2at6native12_GLOBAL__N_18offset_tEEE10hipError_tPvRmT1_PNSt15iterator_traitsIS13_E10value_typeET2_T3_PNS14_IS19_E10value_typeET4_jRbjT5_S1F_jjP12ihipStream_tbEUljE_ZNSN_ISO_Lb0ESR_SS_SU_SV_SZ_EES10_S11_S12_S13_S17_S18_S19_S1C_S1D_jS1E_jS1F_S1F_jjS1H_bEUljE0_EEES10_S11_S12_S19_S1D_S1F_T6_T7_T9_mT8_S1H_bDpT10_ENKUlT_T0_E_clISt17integral_constantIbLb0EES1V_EEDaS1Q_S1R_EUlS1Q_E_NS1_11comp_targetILNS1_3genE9ELNS1_11target_archE1100ELNS1_3gpuE3ELNS1_3repE0EEENS1_30default_config_static_selectorELNS0_4arch9wavefront6targetE0EEEvS13_.uses_vcc, 0
	.set _ZN7rocprim17ROCPRIM_400000_NS6detail17trampoline_kernelINS0_13select_configILj256ELj13ELNS0_17block_load_methodE3ELS4_3ELS4_3ELNS0_20block_scan_algorithmE0ELj4294967295EEENS1_25partition_config_selectorILNS1_17partition_subalgoE4EjNS0_10empty_typeEbEEZZNS1_14partition_implILS8_4ELb0ES6_15HIP_vector_typeIjLj2EENS0_17counting_iteratorIjlEEPS9_SG_NS0_5tupleIJPjSI_NS0_16reverse_iteratorISI_EEEEENSH_IJSG_SG_SG_EEES9_SI_JZNS1_25segmented_radix_sort_implINS0_14default_configELb0EPK6__halfPSP_PKlPlN2at6native12_GLOBAL__N_18offset_tEEE10hipError_tPvRmT1_PNSt15iterator_traitsIS13_E10value_typeET2_T3_PNS14_IS19_E10value_typeET4_jRbjT5_S1F_jjP12ihipStream_tbEUljE_ZNSN_ISO_Lb0ESR_SS_SU_SV_SZ_EES10_S11_S12_S13_S17_S18_S19_S1C_S1D_jS1E_jS1F_S1F_jjS1H_bEUljE0_EEES10_S11_S12_S19_S1D_S1F_T6_T7_T9_mT8_S1H_bDpT10_ENKUlT_T0_E_clISt17integral_constantIbLb0EES1V_EEDaS1Q_S1R_EUlS1Q_E_NS1_11comp_targetILNS1_3genE9ELNS1_11target_archE1100ELNS1_3gpuE3ELNS1_3repE0EEENS1_30default_config_static_selectorELNS0_4arch9wavefront6targetE0EEEvS13_.uses_flat_scratch, 0
	.set _ZN7rocprim17ROCPRIM_400000_NS6detail17trampoline_kernelINS0_13select_configILj256ELj13ELNS0_17block_load_methodE3ELS4_3ELS4_3ELNS0_20block_scan_algorithmE0ELj4294967295EEENS1_25partition_config_selectorILNS1_17partition_subalgoE4EjNS0_10empty_typeEbEEZZNS1_14partition_implILS8_4ELb0ES6_15HIP_vector_typeIjLj2EENS0_17counting_iteratorIjlEEPS9_SG_NS0_5tupleIJPjSI_NS0_16reverse_iteratorISI_EEEEENSH_IJSG_SG_SG_EEES9_SI_JZNS1_25segmented_radix_sort_implINS0_14default_configELb0EPK6__halfPSP_PKlPlN2at6native12_GLOBAL__N_18offset_tEEE10hipError_tPvRmT1_PNSt15iterator_traitsIS13_E10value_typeET2_T3_PNS14_IS19_E10value_typeET4_jRbjT5_S1F_jjP12ihipStream_tbEUljE_ZNSN_ISO_Lb0ESR_SS_SU_SV_SZ_EES10_S11_S12_S13_S17_S18_S19_S1C_S1D_jS1E_jS1F_S1F_jjS1H_bEUljE0_EEES10_S11_S12_S19_S1D_S1F_T6_T7_T9_mT8_S1H_bDpT10_ENKUlT_T0_E_clISt17integral_constantIbLb0EES1V_EEDaS1Q_S1R_EUlS1Q_E_NS1_11comp_targetILNS1_3genE9ELNS1_11target_archE1100ELNS1_3gpuE3ELNS1_3repE0EEENS1_30default_config_static_selectorELNS0_4arch9wavefront6targetE0EEEvS13_.has_dyn_sized_stack, 0
	.set _ZN7rocprim17ROCPRIM_400000_NS6detail17trampoline_kernelINS0_13select_configILj256ELj13ELNS0_17block_load_methodE3ELS4_3ELS4_3ELNS0_20block_scan_algorithmE0ELj4294967295EEENS1_25partition_config_selectorILNS1_17partition_subalgoE4EjNS0_10empty_typeEbEEZZNS1_14partition_implILS8_4ELb0ES6_15HIP_vector_typeIjLj2EENS0_17counting_iteratorIjlEEPS9_SG_NS0_5tupleIJPjSI_NS0_16reverse_iteratorISI_EEEEENSH_IJSG_SG_SG_EEES9_SI_JZNS1_25segmented_radix_sort_implINS0_14default_configELb0EPK6__halfPSP_PKlPlN2at6native12_GLOBAL__N_18offset_tEEE10hipError_tPvRmT1_PNSt15iterator_traitsIS13_E10value_typeET2_T3_PNS14_IS19_E10value_typeET4_jRbjT5_S1F_jjP12ihipStream_tbEUljE_ZNSN_ISO_Lb0ESR_SS_SU_SV_SZ_EES10_S11_S12_S13_S17_S18_S19_S1C_S1D_jS1E_jS1F_S1F_jjS1H_bEUljE0_EEES10_S11_S12_S19_S1D_S1F_T6_T7_T9_mT8_S1H_bDpT10_ENKUlT_T0_E_clISt17integral_constantIbLb0EES1V_EEDaS1Q_S1R_EUlS1Q_E_NS1_11comp_targetILNS1_3genE9ELNS1_11target_archE1100ELNS1_3gpuE3ELNS1_3repE0EEENS1_30default_config_static_selectorELNS0_4arch9wavefront6targetE0EEEvS13_.has_recursion, 0
	.set _ZN7rocprim17ROCPRIM_400000_NS6detail17trampoline_kernelINS0_13select_configILj256ELj13ELNS0_17block_load_methodE3ELS4_3ELS4_3ELNS0_20block_scan_algorithmE0ELj4294967295EEENS1_25partition_config_selectorILNS1_17partition_subalgoE4EjNS0_10empty_typeEbEEZZNS1_14partition_implILS8_4ELb0ES6_15HIP_vector_typeIjLj2EENS0_17counting_iteratorIjlEEPS9_SG_NS0_5tupleIJPjSI_NS0_16reverse_iteratorISI_EEEEENSH_IJSG_SG_SG_EEES9_SI_JZNS1_25segmented_radix_sort_implINS0_14default_configELb0EPK6__halfPSP_PKlPlN2at6native12_GLOBAL__N_18offset_tEEE10hipError_tPvRmT1_PNSt15iterator_traitsIS13_E10value_typeET2_T3_PNS14_IS19_E10value_typeET4_jRbjT5_S1F_jjP12ihipStream_tbEUljE_ZNSN_ISO_Lb0ESR_SS_SU_SV_SZ_EES10_S11_S12_S13_S17_S18_S19_S1C_S1D_jS1E_jS1F_S1F_jjS1H_bEUljE0_EEES10_S11_S12_S19_S1D_S1F_T6_T7_T9_mT8_S1H_bDpT10_ENKUlT_T0_E_clISt17integral_constantIbLb0EES1V_EEDaS1Q_S1R_EUlS1Q_E_NS1_11comp_targetILNS1_3genE9ELNS1_11target_archE1100ELNS1_3gpuE3ELNS1_3repE0EEENS1_30default_config_static_selectorELNS0_4arch9wavefront6targetE0EEEvS13_.has_indirect_call, 0
	.section	.AMDGPU.csdata,"",@progbits
; Kernel info:
; codeLenInByte = 0
; TotalNumSgprs: 0
; NumVgprs: 0
; ScratchSize: 0
; MemoryBound: 0
; FloatMode: 240
; IeeeMode: 1
; LDSByteSize: 0 bytes/workgroup (compile time only)
; SGPRBlocks: 0
; VGPRBlocks: 0
; NumSGPRsForWavesPerEU: 1
; NumVGPRsForWavesPerEU: 1
; Occupancy: 16
; WaveLimiterHint : 0
; COMPUTE_PGM_RSRC2:SCRATCH_EN: 0
; COMPUTE_PGM_RSRC2:USER_SGPR: 6
; COMPUTE_PGM_RSRC2:TRAP_HANDLER: 0
; COMPUTE_PGM_RSRC2:TGID_X_EN: 1
; COMPUTE_PGM_RSRC2:TGID_Y_EN: 0
; COMPUTE_PGM_RSRC2:TGID_Z_EN: 0
; COMPUTE_PGM_RSRC2:TIDIG_COMP_CNT: 0
	.section	.text._ZN7rocprim17ROCPRIM_400000_NS6detail17trampoline_kernelINS0_13select_configILj256ELj13ELNS0_17block_load_methodE3ELS4_3ELS4_3ELNS0_20block_scan_algorithmE0ELj4294967295EEENS1_25partition_config_selectorILNS1_17partition_subalgoE4EjNS0_10empty_typeEbEEZZNS1_14partition_implILS8_4ELb0ES6_15HIP_vector_typeIjLj2EENS0_17counting_iteratorIjlEEPS9_SG_NS0_5tupleIJPjSI_NS0_16reverse_iteratorISI_EEEEENSH_IJSG_SG_SG_EEES9_SI_JZNS1_25segmented_radix_sort_implINS0_14default_configELb0EPK6__halfPSP_PKlPlN2at6native12_GLOBAL__N_18offset_tEEE10hipError_tPvRmT1_PNSt15iterator_traitsIS13_E10value_typeET2_T3_PNS14_IS19_E10value_typeET4_jRbjT5_S1F_jjP12ihipStream_tbEUljE_ZNSN_ISO_Lb0ESR_SS_SU_SV_SZ_EES10_S11_S12_S13_S17_S18_S19_S1C_S1D_jS1E_jS1F_S1F_jjS1H_bEUljE0_EEES10_S11_S12_S19_S1D_S1F_T6_T7_T9_mT8_S1H_bDpT10_ENKUlT_T0_E_clISt17integral_constantIbLb0EES1V_EEDaS1Q_S1R_EUlS1Q_E_NS1_11comp_targetILNS1_3genE8ELNS1_11target_archE1030ELNS1_3gpuE2ELNS1_3repE0EEENS1_30default_config_static_selectorELNS0_4arch9wavefront6targetE0EEEvS13_,"axG",@progbits,_ZN7rocprim17ROCPRIM_400000_NS6detail17trampoline_kernelINS0_13select_configILj256ELj13ELNS0_17block_load_methodE3ELS4_3ELS4_3ELNS0_20block_scan_algorithmE0ELj4294967295EEENS1_25partition_config_selectorILNS1_17partition_subalgoE4EjNS0_10empty_typeEbEEZZNS1_14partition_implILS8_4ELb0ES6_15HIP_vector_typeIjLj2EENS0_17counting_iteratorIjlEEPS9_SG_NS0_5tupleIJPjSI_NS0_16reverse_iteratorISI_EEEEENSH_IJSG_SG_SG_EEES9_SI_JZNS1_25segmented_radix_sort_implINS0_14default_configELb0EPK6__halfPSP_PKlPlN2at6native12_GLOBAL__N_18offset_tEEE10hipError_tPvRmT1_PNSt15iterator_traitsIS13_E10value_typeET2_T3_PNS14_IS19_E10value_typeET4_jRbjT5_S1F_jjP12ihipStream_tbEUljE_ZNSN_ISO_Lb0ESR_SS_SU_SV_SZ_EES10_S11_S12_S13_S17_S18_S19_S1C_S1D_jS1E_jS1F_S1F_jjS1H_bEUljE0_EEES10_S11_S12_S19_S1D_S1F_T6_T7_T9_mT8_S1H_bDpT10_ENKUlT_T0_E_clISt17integral_constantIbLb0EES1V_EEDaS1Q_S1R_EUlS1Q_E_NS1_11comp_targetILNS1_3genE8ELNS1_11target_archE1030ELNS1_3gpuE2ELNS1_3repE0EEENS1_30default_config_static_selectorELNS0_4arch9wavefront6targetE0EEEvS13_,comdat
	.globl	_ZN7rocprim17ROCPRIM_400000_NS6detail17trampoline_kernelINS0_13select_configILj256ELj13ELNS0_17block_load_methodE3ELS4_3ELS4_3ELNS0_20block_scan_algorithmE0ELj4294967295EEENS1_25partition_config_selectorILNS1_17partition_subalgoE4EjNS0_10empty_typeEbEEZZNS1_14partition_implILS8_4ELb0ES6_15HIP_vector_typeIjLj2EENS0_17counting_iteratorIjlEEPS9_SG_NS0_5tupleIJPjSI_NS0_16reverse_iteratorISI_EEEEENSH_IJSG_SG_SG_EEES9_SI_JZNS1_25segmented_radix_sort_implINS0_14default_configELb0EPK6__halfPSP_PKlPlN2at6native12_GLOBAL__N_18offset_tEEE10hipError_tPvRmT1_PNSt15iterator_traitsIS13_E10value_typeET2_T3_PNS14_IS19_E10value_typeET4_jRbjT5_S1F_jjP12ihipStream_tbEUljE_ZNSN_ISO_Lb0ESR_SS_SU_SV_SZ_EES10_S11_S12_S13_S17_S18_S19_S1C_S1D_jS1E_jS1F_S1F_jjS1H_bEUljE0_EEES10_S11_S12_S19_S1D_S1F_T6_T7_T9_mT8_S1H_bDpT10_ENKUlT_T0_E_clISt17integral_constantIbLb0EES1V_EEDaS1Q_S1R_EUlS1Q_E_NS1_11comp_targetILNS1_3genE8ELNS1_11target_archE1030ELNS1_3gpuE2ELNS1_3repE0EEENS1_30default_config_static_selectorELNS0_4arch9wavefront6targetE0EEEvS13_ ; -- Begin function _ZN7rocprim17ROCPRIM_400000_NS6detail17trampoline_kernelINS0_13select_configILj256ELj13ELNS0_17block_load_methodE3ELS4_3ELS4_3ELNS0_20block_scan_algorithmE0ELj4294967295EEENS1_25partition_config_selectorILNS1_17partition_subalgoE4EjNS0_10empty_typeEbEEZZNS1_14partition_implILS8_4ELb0ES6_15HIP_vector_typeIjLj2EENS0_17counting_iteratorIjlEEPS9_SG_NS0_5tupleIJPjSI_NS0_16reverse_iteratorISI_EEEEENSH_IJSG_SG_SG_EEES9_SI_JZNS1_25segmented_radix_sort_implINS0_14default_configELb0EPK6__halfPSP_PKlPlN2at6native12_GLOBAL__N_18offset_tEEE10hipError_tPvRmT1_PNSt15iterator_traitsIS13_E10value_typeET2_T3_PNS14_IS19_E10value_typeET4_jRbjT5_S1F_jjP12ihipStream_tbEUljE_ZNSN_ISO_Lb0ESR_SS_SU_SV_SZ_EES10_S11_S12_S13_S17_S18_S19_S1C_S1D_jS1E_jS1F_S1F_jjS1H_bEUljE0_EEES10_S11_S12_S19_S1D_S1F_T6_T7_T9_mT8_S1H_bDpT10_ENKUlT_T0_E_clISt17integral_constantIbLb0EES1V_EEDaS1Q_S1R_EUlS1Q_E_NS1_11comp_targetILNS1_3genE8ELNS1_11target_archE1030ELNS1_3gpuE2ELNS1_3repE0EEENS1_30default_config_static_selectorELNS0_4arch9wavefront6targetE0EEEvS13_
	.p2align	8
	.type	_ZN7rocprim17ROCPRIM_400000_NS6detail17trampoline_kernelINS0_13select_configILj256ELj13ELNS0_17block_load_methodE3ELS4_3ELS4_3ELNS0_20block_scan_algorithmE0ELj4294967295EEENS1_25partition_config_selectorILNS1_17partition_subalgoE4EjNS0_10empty_typeEbEEZZNS1_14partition_implILS8_4ELb0ES6_15HIP_vector_typeIjLj2EENS0_17counting_iteratorIjlEEPS9_SG_NS0_5tupleIJPjSI_NS0_16reverse_iteratorISI_EEEEENSH_IJSG_SG_SG_EEES9_SI_JZNS1_25segmented_radix_sort_implINS0_14default_configELb0EPK6__halfPSP_PKlPlN2at6native12_GLOBAL__N_18offset_tEEE10hipError_tPvRmT1_PNSt15iterator_traitsIS13_E10value_typeET2_T3_PNS14_IS19_E10value_typeET4_jRbjT5_S1F_jjP12ihipStream_tbEUljE_ZNSN_ISO_Lb0ESR_SS_SU_SV_SZ_EES10_S11_S12_S13_S17_S18_S19_S1C_S1D_jS1E_jS1F_S1F_jjS1H_bEUljE0_EEES10_S11_S12_S19_S1D_S1F_T6_T7_T9_mT8_S1H_bDpT10_ENKUlT_T0_E_clISt17integral_constantIbLb0EES1V_EEDaS1Q_S1R_EUlS1Q_E_NS1_11comp_targetILNS1_3genE8ELNS1_11target_archE1030ELNS1_3gpuE2ELNS1_3repE0EEENS1_30default_config_static_selectorELNS0_4arch9wavefront6targetE0EEEvS13_,@function
_ZN7rocprim17ROCPRIM_400000_NS6detail17trampoline_kernelINS0_13select_configILj256ELj13ELNS0_17block_load_methodE3ELS4_3ELS4_3ELNS0_20block_scan_algorithmE0ELj4294967295EEENS1_25partition_config_selectorILNS1_17partition_subalgoE4EjNS0_10empty_typeEbEEZZNS1_14partition_implILS8_4ELb0ES6_15HIP_vector_typeIjLj2EENS0_17counting_iteratorIjlEEPS9_SG_NS0_5tupleIJPjSI_NS0_16reverse_iteratorISI_EEEEENSH_IJSG_SG_SG_EEES9_SI_JZNS1_25segmented_radix_sort_implINS0_14default_configELb0EPK6__halfPSP_PKlPlN2at6native12_GLOBAL__N_18offset_tEEE10hipError_tPvRmT1_PNSt15iterator_traitsIS13_E10value_typeET2_T3_PNS14_IS19_E10value_typeET4_jRbjT5_S1F_jjP12ihipStream_tbEUljE_ZNSN_ISO_Lb0ESR_SS_SU_SV_SZ_EES10_S11_S12_S13_S17_S18_S19_S1C_S1D_jS1E_jS1F_S1F_jjS1H_bEUljE0_EEES10_S11_S12_S19_S1D_S1F_T6_T7_T9_mT8_S1H_bDpT10_ENKUlT_T0_E_clISt17integral_constantIbLb0EES1V_EEDaS1Q_S1R_EUlS1Q_E_NS1_11comp_targetILNS1_3genE8ELNS1_11target_archE1030ELNS1_3gpuE2ELNS1_3repE0EEENS1_30default_config_static_selectorELNS0_4arch9wavefront6targetE0EEEvS13_: ; @_ZN7rocprim17ROCPRIM_400000_NS6detail17trampoline_kernelINS0_13select_configILj256ELj13ELNS0_17block_load_methodE3ELS4_3ELS4_3ELNS0_20block_scan_algorithmE0ELj4294967295EEENS1_25partition_config_selectorILNS1_17partition_subalgoE4EjNS0_10empty_typeEbEEZZNS1_14partition_implILS8_4ELb0ES6_15HIP_vector_typeIjLj2EENS0_17counting_iteratorIjlEEPS9_SG_NS0_5tupleIJPjSI_NS0_16reverse_iteratorISI_EEEEENSH_IJSG_SG_SG_EEES9_SI_JZNS1_25segmented_radix_sort_implINS0_14default_configELb0EPK6__halfPSP_PKlPlN2at6native12_GLOBAL__N_18offset_tEEE10hipError_tPvRmT1_PNSt15iterator_traitsIS13_E10value_typeET2_T3_PNS14_IS19_E10value_typeET4_jRbjT5_S1F_jjP12ihipStream_tbEUljE_ZNSN_ISO_Lb0ESR_SS_SU_SV_SZ_EES10_S11_S12_S13_S17_S18_S19_S1C_S1D_jS1E_jS1F_S1F_jjS1H_bEUljE0_EEES10_S11_S12_S19_S1D_S1F_T6_T7_T9_mT8_S1H_bDpT10_ENKUlT_T0_E_clISt17integral_constantIbLb0EES1V_EEDaS1Q_S1R_EUlS1Q_E_NS1_11comp_targetILNS1_3genE8ELNS1_11target_archE1030ELNS1_3gpuE2ELNS1_3repE0EEENS1_30default_config_static_selectorELNS0_4arch9wavefront6targetE0EEEvS13_
; %bb.0:
	s_clause 0x6
	s_load_dword s3, s[4:5], 0x80
	s_load_dwordx2 s[34:35], s[4:5], 0x10
	s_load_dwordx2 s[0:1], s[4:5], 0x68
	s_load_dword s7, s[4:5], 0x8
	s_load_dwordx4 s[24:27], s[4:5], 0x58
	s_load_dwordx2 s[40:41], s[4:5], 0xa8
	s_load_dwordx8 s[16:23], s[4:5], 0x88
	s_mul_i32 s42, s6, 0xd00
	s_waitcnt lgkmcnt(0)
	s_mul_i32 s2, s3, 0xd00
	s_add_i32 s3, s3, -1
	s_add_u32 s8, s34, s2
	s_addc_u32 s9, s35, 0
	s_load_dwordx4 s[28:31], s[26:27], 0x0
	s_cmp_eq_u32 s6, s3
	v_cmp_gt_u64_e64 s1, s[0:1], s[8:9]
	s_cselect_b32 s33, -1, 0
	s_cmp_lg_u32 s6, s3
	s_cselect_b32 s3, -1, 0
	s_add_i32 s7, s7, s42
	s_or_b32 s1, s3, s1
	s_add_i32 s7, s7, s34
	s_and_b32 vcc_lo, exec_lo, s1
	v_add_nc_u32_e32 v1, s7, v0
	s_mov_b32 s3, -1
	v_add_nc_u32_e32 v2, 0x100, v1
	v_add_nc_u32_e32 v3, 0x200, v1
	;; [unrolled: 1-line block ×12, first 2 shown]
	s_cbranch_vccz .LBB1775_2
; %bb.1:
	v_lshlrev_b32_e32 v14, 2, v0
	s_mov_b32 s3, 0
	ds_write2st64_b32 v14, v1, v2 offset1:4
	ds_write2st64_b32 v14, v3, v4 offset0:8 offset1:12
	ds_write2st64_b32 v14, v5, v6 offset0:16 offset1:20
	;; [unrolled: 1-line block ×5, first 2 shown]
	ds_write_b32 v14, v13 offset:12288
	s_waitcnt lgkmcnt(0)
	s_barrier
.LBB1775_2:
	s_andn2_b32 vcc_lo, exec_lo, s3
	s_add_i32 s2, s2, s34
	s_cbranch_vccnz .LBB1775_4
; %bb.3:
	v_lshlrev_b32_e32 v14, 2, v0
	ds_write2st64_b32 v14, v1, v2 offset1:4
	ds_write2st64_b32 v14, v3, v4 offset0:8 offset1:12
	ds_write2st64_b32 v14, v5, v6 offset0:16 offset1:20
	ds_write2st64_b32 v14, v7, v8 offset0:24 offset1:28
	ds_write2st64_b32 v14, v9, v10 offset0:32 offset1:36
	ds_write2st64_b32 v14, v11, v12 offset0:40 offset1:44
	ds_write_b32 v14, v13 offset:12288
	s_waitcnt lgkmcnt(0)
	s_barrier
.LBB1775_4:
	v_mul_u32_u24_e32 v29, 13, v0
	s_clause 0x1
	s_load_dwordx4 s[36:39], s[4:5], 0x28
	s_load_dwordx2 s[26:27], s[4:5], 0x38
	s_waitcnt lgkmcnt(0)
	buffer_gl0_inv
	v_cndmask_b32_e64 v27, 0, 1, s1
	s_sub_i32 s43, s0, s2
	v_lshlrev_b32_e32 v1, 2, v29
	s_andn2_b32 vcc_lo, exec_lo, s1
	ds_read_b32 v28, v1 offset:48
	ds_read2_b32 v[9:10], v1 offset0:10 offset1:11
	ds_read2_b32 v[11:12], v1 offset0:8 offset1:9
	;; [unrolled: 1-line block ×4, first 2 shown]
	ds_read2_b32 v[19:20], v1 offset1:1
	ds_read2_b32 v[17:18], v1 offset0:2 offset1:3
	s_waitcnt lgkmcnt(0)
	s_barrier
	buffer_gl0_inv
	s_cbranch_vccnz .LBB1775_32
; %bb.5:
	v_add_nc_u32_e32 v1, s17, v19
	v_add_nc_u32_e32 v2, s19, v19
	s_mov_b32 s45, 0
	s_mov_b32 s44, 0
	s_mov_b32 s1, exec_lo
	v_mul_lo_u32 v1, v1, s16
	v_mul_lo_u32 v2, v2, s18
	v_sub_nc_u32_e32 v1, v1, v2
	v_cmp_lt_u32_e32 vcc_lo, s20, v1
	v_cmpx_ge_u32_e64 s20, v1
	s_cbranch_execz .LBB1775_7
; %bb.6:
	v_add_nc_u32_e32 v1, s22, v19
	v_add_nc_u32_e32 v2, s40, v19
	v_mul_lo_u32 v1, v1, s21
	v_mul_lo_u32 v2, v2, s23
	v_sub_nc_u32_e32 v1, v1, v2
	v_cmp_lt_u32_e64 s0, s41, v1
	s_and_b32 s44, s0, exec_lo
.LBB1775_7:
	s_or_b32 exec_lo, exec_lo, s1
	v_add_nc_u32_e32 v1, s17, v20
	v_add_nc_u32_e32 v2, s19, v20
	s_mov_b32 s2, exec_lo
	v_mul_lo_u32 v1, v1, s16
	v_mul_lo_u32 v2, v2, s18
	v_sub_nc_u32_e32 v1, v1, v2
	v_cmp_lt_u32_e64 s0, s20, v1
	v_cmpx_ge_u32_e64 s20, v1
	s_cbranch_execz .LBB1775_9
; %bb.8:
	v_add_nc_u32_e32 v1, s22, v20
	v_add_nc_u32_e32 v2, s40, v20
	v_mul_lo_u32 v1, v1, s21
	v_mul_lo_u32 v2, v2, s23
	v_sub_nc_u32_e32 v1, v1, v2
	v_cmp_lt_u32_e64 s1, s41, v1
	s_and_b32 s45, s1, exec_lo
.LBB1775_9:
	s_or_b32 exec_lo, exec_lo, s2
	v_add_nc_u32_e32 v1, s17, v17
	v_add_nc_u32_e32 v2, s19, v17
	s_mov_b32 s47, 0
	s_mov_b32 s46, 0
	s_mov_b32 s3, exec_lo
	v_mul_lo_u32 v1, v1, s16
	v_mul_lo_u32 v2, v2, s18
	v_sub_nc_u32_e32 v1, v1, v2
	v_cmp_lt_u32_e64 s1, s20, v1
	v_cmpx_ge_u32_e64 s20, v1
	s_cbranch_execz .LBB1775_11
; %bb.10:
	v_add_nc_u32_e32 v1, s22, v17
	v_add_nc_u32_e32 v2, s40, v17
	v_mul_lo_u32 v1, v1, s21
	v_mul_lo_u32 v2, v2, s23
	v_sub_nc_u32_e32 v1, v1, v2
	v_cmp_lt_u32_e64 s2, s41, v1
	s_and_b32 s46, s2, exec_lo
.LBB1775_11:
	s_or_b32 exec_lo, exec_lo, s3
	v_add_nc_u32_e32 v1, s17, v18
	v_add_nc_u32_e32 v2, s19, v18
	s_mov_b32 s7, exec_lo
	v_mul_lo_u32 v1, v1, s16
	v_mul_lo_u32 v2, v2, s18
	v_sub_nc_u32_e32 v1, v1, v2
	v_cmp_lt_u32_e64 s2, s20, v1
	v_cmpx_ge_u32_e64 s20, v1
	s_cbranch_execz .LBB1775_13
; %bb.12:
	v_add_nc_u32_e32 v1, s22, v18
	v_add_nc_u32_e32 v2, s40, v18
	v_mul_lo_u32 v1, v1, s21
	v_mul_lo_u32 v2, v2, s23
	v_sub_nc_u32_e32 v1, v1, v2
	v_cmp_lt_u32_e64 s3, s41, v1
	s_and_b32 s47, s3, exec_lo
.LBB1775_13:
	s_or_b32 exec_lo, exec_lo, s7
	v_add_nc_u32_e32 v1, s17, v15
	v_add_nc_u32_e32 v2, s19, v15
	s_mov_b32 s49, 0
	s_mov_b32 s48, 0
	s_mov_b32 s8, exec_lo
	v_mul_lo_u32 v1, v1, s16
	v_mul_lo_u32 v2, v2, s18
	v_sub_nc_u32_e32 v1, v1, v2
	v_cmp_lt_u32_e64 s3, s20, v1
	;; [unrolled: 40-line block ×6, first 2 shown]
	v_cmpx_ge_u32_e64 s20, v1
	s_cbranch_execz .LBB1775_31
; %bb.30:
	v_add_nc_u32_e32 v1, s22, v28
	v_add_nc_u32_e32 v2, s40, v28
	v_mul_lo_u32 v1, v1, s21
	v_mul_lo_u32 v2, v2, s23
	v_sub_nc_u32_e32 v1, v1, v2
	v_cmp_lt_u32_e64 s15, s41, v1
	s_and_b32 s57, s15, exec_lo
.LBB1775_31:
	s_or_b32 exec_lo, exec_lo, s58
	v_cndmask_b32_e64 v2, 0, 1, s0
	v_cndmask_b32_e64 v4, 0, 1, s2
	v_cndmask_b32_e64 v1, 0, 1, vcc_lo
	v_cndmask_b32_e64 v3, 0, 1, s1
	v_cndmask_b32_e64 v6, 0, 1, s7
	v_lshlrev_b16 v2, 8, v2
	v_lshlrev_b16 v4, 8, v4
	v_cndmask_b32_e64 v8, 0, 1, s9
	v_cndmask_b32_e64 v22, 0, 1, s11
	;; [unrolled: 1-line block ×3, first 2 shown]
	v_or_b32_e32 v1, v1, v2
	v_or_b32_sdwa v2, v3, v4 dst_sel:WORD_1 dst_unused:UNUSED_PAD src0_sel:DWORD src1_sel:DWORD
	v_cndmask_b32_e64 v3, 0, 1, s44
	v_cndmask_b32_e64 v5, 0, 1, s3
	;; [unrolled: 1-line block ×11, first 2 shown]
	v_or_b32_sdwa v30, v1, v2 dst_sel:DWORD dst_unused:UNUSED_PAD src0_sel:WORD_0 src1_sel:DWORD
	v_lshlrev_b16 v1, 8, v6
	v_lshlrev_b16 v2, 8, v8
	;; [unrolled: 1-line block ×5, first 2 shown]
	v_cndmask_b32_e64 v26, 0, 1, s53
	v_cndmask_b32_e64 v32, 0, 1, s51
	;; [unrolled: 1-line block ×5, first 2 shown]
	v_or_b32_e32 v1, v5, v1
	v_or_b32_sdwa v2, v7, v2 dst_sel:WORD_1 dst_unused:UNUSED_PAD src0_sel:DWORD src1_sel:DWORD
	v_or_b32_e32 v5, v21, v6
	v_or_b32_sdwa v6, v23, v8 dst_sel:WORD_1 dst_unused:UNUSED_PAD src0_sel:DWORD src1_sel:DWORD
	v_or_b32_e32 v3, v4, v3
	v_lshlrev_b16 v4, 8, v39
	v_lshlrev_b16 v7, 8, v36
	;; [unrolled: 1-line block ×5, first 2 shown]
	v_or_b32_sdwa v4, v40, v4 dst_sel:WORD_1 dst_unused:UNUSED_PAD src0_sel:DWORD src1_sel:DWORD
	v_or_b32_e32 v7, v38, v7
	v_or_b32_sdwa v8, v35, v8 dst_sel:WORD_1 dst_unused:UNUSED_PAD src0_sel:DWORD src1_sel:DWORD
	v_or_b32_e32 v21, v32, v21
	v_or_b32_sdwa v22, v26, v22 dst_sel:WORD_1 dst_unused:UNUSED_PAD src0_sel:DWORD src1_sel:DWORD
	v_cndmask_b32_e64 v34, 0, 1, s55
	v_cndmask_b32_e64 v37, 0, 1, s57
	v_or_b32_sdwa v32, v1, v2 dst_sel:DWORD dst_unused:UNUSED_PAD src0_sel:WORD_0 src1_sel:DWORD
	v_or_b32_sdwa v35, v5, v6 dst_sel:DWORD dst_unused:UNUSED_PAD src0_sel:WORD_0 src1_sel:DWORD
	;; [unrolled: 1-line block ×5, first 2 shown]
	s_load_dwordx2 s[4:5], s[4:5], 0x78
	s_and_b32 vcc_lo, exec_lo, s54
	s_add_i32 s7, s43, 0xd00
	s_cbranch_vccnz .LBB1775_33
	s_branch .LBB1775_110
.LBB1775_32:
                                        ; implicit-def: $vgpr37
                                        ; implicit-def: $vgpr34
                                        ; implicit-def: $vgpr33
                                        ; implicit-def: $vgpr31
                                        ; implicit-def: $vgpr36
                                        ; implicit-def: $vgpr35
                                        ; implicit-def: $vgpr32
                                        ; implicit-def: $vgpr30
	s_load_dwordx2 s[4:5], s[4:5], 0x78
	s_add_i32 s7, s43, 0xd00
	s_cbranch_execz .LBB1775_110
.LBB1775_33:
	v_mov_b32_e32 v2, 0
	v_mov_b32_e32 v1, 0
	s_mov_b32 s1, exec_lo
	v_cmpx_gt_u32_e64 s7, v29
	s_cbranch_execz .LBB1775_37
; %bb.34:
	v_add_nc_u32_e32 v1, s17, v19
	v_add_nc_u32_e32 v2, s19, v19
	s_mov_b32 s3, 0
	s_mov_b32 s2, exec_lo
	v_mul_lo_u32 v1, v1, s16
	v_mul_lo_u32 v2, v2, s18
	v_sub_nc_u32_e32 v1, v1, v2
	v_cmp_lt_u32_e32 vcc_lo, s20, v1
	v_cmpx_ge_u32_e64 s20, v1
	s_cbranch_execz .LBB1775_36
; %bb.35:
	v_add_nc_u32_e32 v1, s22, v19
	v_add_nc_u32_e32 v2, s40, v19
	v_mul_lo_u32 v1, v1, s21
	v_mul_lo_u32 v2, v2, s23
	v_sub_nc_u32_e32 v1, v1, v2
	v_cmp_lt_u32_e64 s0, s41, v1
	s_and_b32 s3, s0, exec_lo
.LBB1775_36:
	s_or_b32 exec_lo, exec_lo, s2
	v_cndmask_b32_e64 v2, 0, 1, s3
	v_cndmask_b32_e64 v1, 0, 1, vcc_lo
.LBB1775_37:
	s_or_b32 exec_lo, exec_lo, s1
	v_add_nc_u32_e32 v3, 1, v29
	v_lshlrev_b16 v21, 8, v2
	v_and_b32_e32 v6, 0xff, v1
	v_lshlrev_b16 v7, 8, 0
                                        ; implicit-def: $vgpr5
                                        ; implicit-def: $vgpr8
                                        ; implicit-def: $vgpr2
                                        ; implicit-def: $vgpr4
	v_cmp_le_u32_e32 vcc_lo, s7, v3
                                        ; implicit-def: $vgpr3
	s_and_saveexec_b32 s0, vcc_lo
	s_xor_b32 s0, exec_lo, s0
	s_cbranch_execz .LBB1775_39
; %bb.38:
	v_mov_b32_e32 v1, 8
	v_mov_b32_e32 v2, 0xff
	;; [unrolled: 1-line block ×3, first 2 shown]
	v_and_b32_e32 v4, 0xffff, v7
	v_and_b32_e32 v3, 0xffff, v7
	v_lshrrev_b32_sdwa v1, v1, v21 dst_sel:BYTE_1 dst_unused:UNUSED_PAD src0_sel:DWORD src1_sel:WORD_0
	v_and_b32_sdwa v2, v21, v2 dst_sel:DWORD dst_unused:UNUSED_PAD src0_sel:WORD_0 src1_sel:DWORD
                                        ; implicit-def: $vgpr21
	v_or_b32_e32 v1, v2, v1
	v_and_b32_e32 v2, 0xffff, v7
                                        ; implicit-def: $vgpr7
	v_and_b32_e32 v8, 0xffff, v1
                                        ; implicit-def: $vgpr1
.LBB1775_39:
	s_andn2_saveexec_b32 s1, s0
	s_cbranch_execz .LBB1775_43
; %bb.40:
	v_add_nc_u32_e32 v2, s17, v20
	v_add_nc_u32_e32 v3, s19, v20
	s_mov_b32 s2, 0
	s_mov_b32 s3, exec_lo
	v_mul_lo_u32 v2, v2, s16
	v_mul_lo_u32 v3, v3, s18
	v_sub_nc_u32_e32 v2, v2, v3
	v_cmp_lt_u32_e32 vcc_lo, s20, v2
	v_cmpx_ge_u32_e64 s20, v2
	s_cbranch_execz .LBB1775_42
; %bb.41:
	v_add_nc_u32_e32 v2, s22, v20
	v_add_nc_u32_e32 v3, s40, v20
	v_mul_lo_u32 v2, v2, s21
	v_mul_lo_u32 v3, v3, s23
	v_sub_nc_u32_e32 v2, v2, v3
	v_cmp_lt_u32_e64 s0, s41, v2
	s_and_b32 s2, s0, exec_lo
.LBB1775_42:
	s_or_b32 exec_lo, exec_lo, s3
	v_mov_b32_e32 v2, 0xff
	v_mov_b32_e32 v3, 8
	v_cndmask_b32_e64 v4, 0, 1, vcc_lo
	v_mov_b32_e32 v5, 0
	v_and_b32_sdwa v2, v21, v2 dst_sel:DWORD dst_unused:UNUSED_PAD src0_sel:WORD_0 src1_sel:DWORD
	v_lshrrev_b32_sdwa v3, v3, v21 dst_sel:BYTE_1 dst_unused:UNUSED_PAD src0_sel:DWORD src1_sel:WORD_0
	v_lshlrev_b16 v4, 8, v4
	v_or_b32_e32 v2, v2, v3
	v_cndmask_b32_e64 v3, 0, 1, s2
	v_or_b32_sdwa v1, v1, v4 dst_sel:DWORD dst_unused:UNUSED_PAD src0_sel:BYTE_0 src1_sel:DWORD
	v_and_b32_e32 v4, 0xffff, v7
	v_and_b32_e32 v8, 0xffff, v2
	v_mov_b32_e32 v2, 0
	v_and_b32_e32 v6, 0xffff, v1
	v_lshl_or_b32 v8, v3, 16, v8
	v_and_b32_e32 v3, 0xffff, v7
.LBB1775_43:
	s_or_b32 exec_lo, exec_lo, s1
	v_add_nc_u32_e32 v1, 2, v29
                                        ; implicit-def: $vgpr7
	v_cmp_le_u32_e32 vcc_lo, s7, v1
                                        ; implicit-def: $vgpr1
	s_and_saveexec_b32 s0, vcc_lo
	s_xor_b32 s0, exec_lo, s0
	s_cbranch_execz .LBB1775_45
; %bb.44:
	v_lshrrev_b32_e32 v1, 24, v6
	v_mov_b32_e32 v7, 8
	v_and_b32_e32 v21, 0xff0000, v8
	v_perm_b32 v4, v4, v4, 0x3060504
	v_perm_b32 v1, v1, v6, 0x40c0100
	v_lshrrev_b32_sdwa v6, v7, v1 dst_sel:BYTE_1 dst_unused:UNUSED_PAD src0_sel:DWORD src1_sel:DWORD
	v_or_b32_sdwa v6, v1, v6 dst_sel:DWORD dst_unused:UNUSED_PAD src0_sel:BYTE_0 src1_sel:DWORD
	v_and_b32_e32 v6, 0xffff, v6
	v_and_or_b32 v7, 0xff000000, v1, v6
	v_perm_b32 v1, v8, v21, 0x3020504
                                        ; implicit-def: $vgpr6
                                        ; implicit-def: $vgpr8
.LBB1775_45:
	s_andn2_saveexec_b32 s1, s0
	s_cbranch_execz .LBB1775_49
; %bb.46:
	v_add_nc_u32_e32 v1, s17, v17
	v_add_nc_u32_e32 v7, s19, v17
	s_mov_b32 s2, 0
	s_mov_b32 s3, exec_lo
	v_mul_lo_u32 v1, v1, s16
	v_mul_lo_u32 v7, v7, s18
	v_sub_nc_u32_e32 v1, v1, v7
	v_cmp_lt_u32_e32 vcc_lo, s20, v1
	v_cmpx_ge_u32_e64 s20, v1
	s_cbranch_execz .LBB1775_48
; %bb.47:
	v_add_nc_u32_e32 v1, s22, v17
	v_add_nc_u32_e32 v7, s40, v17
	v_mul_lo_u32 v1, v1, s21
	v_mul_lo_u32 v7, v7, s23
	v_sub_nc_u32_e32 v1, v1, v7
	v_cmp_lt_u32_e64 s0, s41, v1
	s_and_b32 s2, s0, exec_lo
.LBB1775_48:
	s_or_b32 exec_lo, exec_lo, s3
	v_mov_b32_e32 v1, 8
	v_mov_b32_e32 v7, 24
	v_cndmask_b32_e64 v22, 0, 1, s2
	v_mov_b32_e32 v23, 0xff
	v_cndmask_b32_e64 v21, 0, 1, vcc_lo
	v_lshrrev_b32_sdwa v24, v1, v6 dst_sel:BYTE_1 dst_unused:UNUSED_PAD src0_sel:DWORD src1_sel:DWORD
	v_lshrrev_b32_sdwa v7, v7, v6 dst_sel:BYTE_1 dst_unused:UNUSED_PAD src0_sel:DWORD src1_sel:DWORD
	;; [unrolled: 1-line block ×3, first 2 shown]
	v_lshlrev_b16 v22, 8, v22
	v_and_b32_sdwa v23, v8, v23 dst_sel:DWORD dst_unused:UNUSED_PAD src0_sel:WORD_1 src1_sel:DWORD
	v_or_b32_sdwa v6, v6, v24 dst_sel:DWORD dst_unused:UNUSED_PAD src0_sel:BYTE_0 src1_sel:DWORD
	v_or_b32_sdwa v7, v21, v7 dst_sel:WORD_1 dst_unused:UNUSED_PAD src0_sel:DWORD src1_sel:DWORD
	v_or_b32_sdwa v1, v8, v1 dst_sel:DWORD dst_unused:UNUSED_PAD src0_sel:BYTE_0 src1_sel:DWORD
	v_or_b32_sdwa v8, v23, v22 dst_sel:WORD_1 dst_unused:UNUSED_PAD src0_sel:DWORD src1_sel:DWORD
	v_or_b32_sdwa v7, v6, v7 dst_sel:DWORD dst_unused:UNUSED_PAD src0_sel:WORD_0 src1_sel:DWORD
	v_or_b32_sdwa v1, v1, v8 dst_sel:DWORD dst_unused:UNUSED_PAD src0_sel:WORD_0 src1_sel:DWORD
.LBB1775_49:
	s_or_b32 exec_lo, exec_lo, s1
	v_add_nc_u32_e32 v6, 3, v29
                                        ; implicit-def: $vgpr30
	v_cmp_le_u32_e32 vcc_lo, s7, v6
                                        ; implicit-def: $vgpr6
	s_and_saveexec_b32 s0, vcc_lo
	s_xor_b32 s0, exec_lo, s0
	s_cbranch_execz .LBB1775_51
; %bb.50:
	v_mov_b32_e32 v6, 24
	v_mov_b32_e32 v8, 0xff
	;; [unrolled: 1-line block ×3, first 2 shown]
	v_and_b32_e32 v22, 0xff0000, v7
	v_perm_b32 v4, v4, v4, 0x3060504
	v_lshrrev_b32_sdwa v6, v6, v5 dst_sel:BYTE_1 dst_unused:UNUSED_PAD src0_sel:DWORD src1_sel:DWORD
	v_and_b32_sdwa v8, v5, v8 dst_sel:DWORD dst_unused:UNUSED_PAD src0_sel:WORD_1 src1_sel:DWORD
	v_lshrrev_b32_sdwa v5, v21, v5 dst_sel:BYTE_1 dst_unused:UNUSED_PAD src0_sel:DWORD src1_sel:DWORD
	v_perm_b32 v30, v7, v22, 0x3020504
	v_perm_b32 v3, v3, v3, 0x3060504
                                        ; implicit-def: $vgpr7
	v_or_b32_sdwa v6, v8, v6 dst_sel:WORD_1 dst_unused:UNUSED_PAD src0_sel:DWORD src1_sel:DWORD
	v_or_b32_sdwa v6, v5, v6 dst_sel:DWORD dst_unused:UNUSED_PAD src0_sel:WORD_0 src1_sel:DWORD
                                        ; implicit-def: $vgpr5
.LBB1775_51:
	s_andn2_saveexec_b32 s1, s0
	s_cbranch_execz .LBB1775_55
; %bb.52:
	v_add_nc_u32_e32 v6, s17, v18
	v_add_nc_u32_e32 v8, s19, v18
	s_mov_b32 s2, 0
	s_mov_b32 s3, exec_lo
	v_mul_lo_u32 v6, v6, s16
	v_mul_lo_u32 v8, v8, s18
	v_sub_nc_u32_e32 v6, v6, v8
	v_cmp_lt_u32_e32 vcc_lo, s20, v6
	v_cmpx_ge_u32_e64 s20, v6
	s_cbranch_execz .LBB1775_54
; %bb.53:
	v_add_nc_u32_e32 v6, s22, v18
	v_add_nc_u32_e32 v8, s40, v18
	v_mul_lo_u32 v6, v6, s21
	v_mul_lo_u32 v8, v8, s23
	v_sub_nc_u32_e32 v6, v6, v8
	v_cmp_lt_u32_e64 s0, s41, v6
	s_and_b32 s2, s0, exec_lo
.LBB1775_54:
	s_or_b32 exec_lo, exec_lo, s3
	v_mov_b32_e32 v6, 8
	v_cndmask_b32_e64 v8, 0, 1, vcc_lo
	v_mov_b32_e32 v21, 0xff
	v_mov_b32_e32 v22, 24
	v_cndmask_b32_e64 v23, 0, 1, s2
	v_lshrrev_b32_sdwa v24, v6, v7 dst_sel:BYTE_1 dst_unused:UNUSED_PAD src0_sel:DWORD src1_sel:DWORD
	v_lshlrev_b16 v8, 8, v8
	v_and_b32_sdwa v25, v7, v21 dst_sel:DWORD dst_unused:UNUSED_PAD src0_sel:WORD_1 src1_sel:DWORD
	v_lshrrev_b32_sdwa v22, v22, v5 dst_sel:BYTE_1 dst_unused:UNUSED_PAD src0_sel:DWORD src1_sel:DWORD
	v_and_b32_sdwa v21, v5, v21 dst_sel:DWORD dst_unused:UNUSED_PAD src0_sel:WORD_1 src1_sel:DWORD
	v_lshrrev_b32_sdwa v5, v6, v5 dst_sel:BYTE_1 dst_unused:UNUSED_PAD src0_sel:DWORD src1_sel:DWORD
	v_or_b32_sdwa v6, v7, v24 dst_sel:DWORD dst_unused:UNUSED_PAD src0_sel:BYTE_0 src1_sel:DWORD
	v_or_b32_sdwa v7, v25, v8 dst_sel:WORD_1 dst_unused:UNUSED_PAD src0_sel:DWORD src1_sel:DWORD
	v_or_b32_sdwa v8, v21, v22 dst_sel:WORD_1 dst_unused:UNUSED_PAD src0_sel:DWORD src1_sel:DWORD
	v_or_b32_e32 v5, v23, v5
	v_or_b32_sdwa v30, v6, v7 dst_sel:DWORD dst_unused:UNUSED_PAD src0_sel:WORD_0 src1_sel:DWORD
	v_or_b32_sdwa v6, v5, v8 dst_sel:DWORD dst_unused:UNUSED_PAD src0_sel:WORD_0 src1_sel:DWORD
.LBB1775_55:
	s_or_b32 exec_lo, exec_lo, s1
	v_add_nc_u32_e32 v5, 4, v29
                                        ; implicit-def: $vgpr7
	v_cmp_le_u32_e32 vcc_lo, s7, v5
                                        ; implicit-def: $vgpr5
	s_and_saveexec_b32 s0, vcc_lo
	s_xor_b32 s0, exec_lo, s0
	s_cbranch_execz .LBB1775_57
; %bb.56:
	v_mov_b32_e32 v5, 24
	v_mov_b32_e32 v7, 0xff
	;; [unrolled: 1-line block ×3, first 2 shown]
	v_perm_b32 v3, v3, v3, 0x3060504
	v_lshrrev_b32_sdwa v21, v5, v4 dst_sel:BYTE_1 dst_unused:UNUSED_PAD src0_sel:DWORD src1_sel:DWORD
	v_and_b32_sdwa v22, v4, v7 dst_sel:DWORD dst_unused:UNUSED_PAD src0_sel:WORD_1 src1_sel:DWORD
	v_lshrrev_b32_sdwa v5, v5, v6 dst_sel:BYTE_1 dst_unused:UNUSED_PAD src0_sel:DWORD src1_sel:DWORD
	v_and_b32_sdwa v7, v6, v7 dst_sel:DWORD dst_unused:UNUSED_PAD src0_sel:WORD_1 src1_sel:DWORD
	v_lshrrev_b32_sdwa v4, v8, v4 dst_sel:BYTE_1 dst_unused:UNUSED_PAD src0_sel:DWORD src1_sel:DWORD
	v_or_b32_sdwa v8, v22, v21 dst_sel:WORD_1 dst_unused:UNUSED_PAD src0_sel:DWORD src1_sel:DWORD
	v_or_b32_e32 v7, v7, v5
	v_or_b32_sdwa v5, v4, v8 dst_sel:DWORD dst_unused:UNUSED_PAD src0_sel:WORD_0 src1_sel:DWORD
                                        ; implicit-def: $vgpr4
	v_perm_b32 v7, v7, v6, 0x5040c00
                                        ; implicit-def: $vgpr6
.LBB1775_57:
	s_andn2_saveexec_b32 s1, s0
	s_cbranch_execz .LBB1775_61
; %bb.58:
	v_add_nc_u32_e32 v5, s17, v15
	v_add_nc_u32_e32 v7, s19, v15
	s_mov_b32 s2, 0
	s_mov_b32 s3, exec_lo
	v_mul_lo_u32 v5, v5, s16
	v_mul_lo_u32 v7, v7, s18
	v_sub_nc_u32_e32 v5, v5, v7
	v_cmp_lt_u32_e32 vcc_lo, s20, v5
	v_cmpx_ge_u32_e64 s20, v5
	s_cbranch_execz .LBB1775_60
; %bb.59:
	v_add_nc_u32_e32 v5, s22, v15
	v_add_nc_u32_e32 v7, s40, v15
	v_mul_lo_u32 v5, v5, s21
	v_mul_lo_u32 v7, v7, s23
	v_sub_nc_u32_e32 v5, v5, v7
	v_cmp_lt_u32_e64 s0, s41, v5
	s_and_b32 s2, s0, exec_lo
.LBB1775_60:
	s_or_b32 exec_lo, exec_lo, s3
	v_mov_b32_e32 v5, 24
	v_mov_b32_e32 v7, 0xff
	;; [unrolled: 1-line block ×3, first 2 shown]
	v_cndmask_b32_e64 v21, 0, 1, s2
	v_cndmask_b32_e64 v22, 0, 1, vcc_lo
	v_lshrrev_b32_sdwa v23, v5, v4 dst_sel:BYTE_1 dst_unused:UNUSED_PAD src0_sel:DWORD src1_sel:DWORD
	v_and_b32_sdwa v24, v4, v7 dst_sel:DWORD dst_unused:UNUSED_PAD src0_sel:WORD_1 src1_sel:DWORD
	v_lshrrev_b32_sdwa v4, v8, v4 dst_sel:BYTE_1 dst_unused:UNUSED_PAD src0_sel:DWORD src1_sel:DWORD
	v_lshlrev_b16 v8, 8, v21
	v_lshrrev_b32_sdwa v5, v5, v6 dst_sel:BYTE_1 dst_unused:UNUSED_PAD src0_sel:DWORD src1_sel:DWORD
	v_and_b32_sdwa v7, v6, v7 dst_sel:DWORD dst_unused:UNUSED_PAD src0_sel:WORD_1 src1_sel:DWORD
	v_or_b32_sdwa v21, v24, v23 dst_sel:WORD_1 dst_unused:UNUSED_PAD src0_sel:DWORD src1_sel:DWORD
	v_or_b32_e32 v4, v22, v4
	v_or_b32_sdwa v6, v6, v8 dst_sel:DWORD dst_unused:UNUSED_PAD src0_sel:BYTE_0 src1_sel:DWORD
	v_or_b32_sdwa v7, v7, v5 dst_sel:WORD_1 dst_unused:UNUSED_PAD src0_sel:DWORD src1_sel:DWORD
	v_or_b32_sdwa v5, v4, v21 dst_sel:DWORD dst_unused:UNUSED_PAD src0_sel:WORD_0 src1_sel:DWORD
	v_or_b32_sdwa v7, v6, v7 dst_sel:DWORD dst_unused:UNUSED_PAD src0_sel:WORD_0 src1_sel:DWORD
.LBB1775_61:
	s_or_b32 exec_lo, exec_lo, s1
	v_add_nc_u32_e32 v4, 5, v29
                                        ; implicit-def: $vgpr6
	v_cmp_le_u32_e32 vcc_lo, s7, v4
                                        ; implicit-def: $vgpr4
	s_and_saveexec_b32 s0, vcc_lo
	s_xor_b32 s0, exec_lo, s0
	s_cbranch_execz .LBB1775_63
; %bb.62:
	v_lshrrev_b32_e32 v4, 24, v7
	v_mov_b32_e32 v6, 8
	v_mov_b32_e32 v8, 0xff
	v_perm_b32 v3, v3, v3, 0x3060504
	v_perm_b32 v4, v4, v7, 0x40c0100
	v_mov_b32_e32 v7, 24
	v_and_b32_sdwa v8, v5, v8 dst_sel:DWORD dst_unused:UNUSED_PAD src0_sel:WORD_1 src1_sel:DWORD
	v_lshrrev_b32_sdwa v6, v6, v4 dst_sel:BYTE_1 dst_unused:UNUSED_PAD src0_sel:DWORD src1_sel:DWORD
	v_lshrrev_b32_sdwa v7, v7, v5 dst_sel:BYTE_1 dst_unused:UNUSED_PAD src0_sel:DWORD src1_sel:DWORD
	v_or_b32_sdwa v6, v4, v6 dst_sel:DWORD dst_unused:UNUSED_PAD src0_sel:BYTE_0 src1_sel:DWORD
	v_or_b32_e32 v7, v8, v7
	v_and_b32_e32 v8, 0xffff, v6
	v_perm_b32 v6, v7, v5, 0x5040c00
                                        ; implicit-def: $vgpr5
                                        ; implicit-def: $vgpr7
	v_and_or_b32 v4, 0xff000000, v4, v8
.LBB1775_63:
	s_andn2_saveexec_b32 s1, s0
	s_cbranch_execz .LBB1775_67
; %bb.64:
	v_add_nc_u32_e32 v4, s17, v16
	v_add_nc_u32_e32 v6, s19, v16
	s_mov_b32 s2, 0
	s_mov_b32 s3, exec_lo
	v_mul_lo_u32 v4, v4, s16
	v_mul_lo_u32 v6, v6, s18
	v_sub_nc_u32_e32 v4, v4, v6
	v_cmp_lt_u32_e32 vcc_lo, s20, v4
	v_cmpx_ge_u32_e64 s20, v4
	s_cbranch_execz .LBB1775_66
; %bb.65:
	v_add_nc_u32_e32 v4, s22, v16
	v_add_nc_u32_e32 v6, s40, v16
	v_mul_lo_u32 v4, v4, s21
	v_mul_lo_u32 v6, v6, s23
	v_sub_nc_u32_e32 v4, v4, v6
	v_cmp_lt_u32_e64 s0, s41, v4
	s_and_b32 s2, s0, exec_lo
.LBB1775_66:
	s_or_b32 exec_lo, exec_lo, s3
	v_cndmask_b32_e64 v4, 0, 1, vcc_lo
	v_mov_b32_e32 v6, 24
	v_mov_b32_e32 v8, 0xff
	;; [unrolled: 1-line block ×3, first 2 shown]
	v_cndmask_b32_e64 v22, 0, 1, s2
	v_lshlrev_b16 v4, 8, v4
	v_lshrrev_b32_sdwa v23, v6, v5 dst_sel:BYTE_1 dst_unused:UNUSED_PAD src0_sel:DWORD src1_sel:DWORD
	v_and_b32_sdwa v8, v5, v8 dst_sel:DWORD dst_unused:UNUSED_PAD src0_sel:WORD_1 src1_sel:DWORD
	v_lshrrev_b32_sdwa v21, v21, v7 dst_sel:BYTE_1 dst_unused:UNUSED_PAD src0_sel:DWORD src1_sel:DWORD
	v_lshrrev_b32_sdwa v6, v6, v7 dst_sel:BYTE_1 dst_unused:UNUSED_PAD src0_sel:DWORD src1_sel:DWORD
	v_or_b32_sdwa v4, v5, v4 dst_sel:DWORD dst_unused:UNUSED_PAD src0_sel:BYTE_0 src1_sel:DWORD
	v_or_b32_sdwa v5, v8, v23 dst_sel:WORD_1 dst_unused:UNUSED_PAD src0_sel:DWORD src1_sel:DWORD
	v_or_b32_sdwa v7, v7, v21 dst_sel:DWORD dst_unused:UNUSED_PAD src0_sel:BYTE_0 src1_sel:DWORD
	v_or_b32_sdwa v8, v22, v6 dst_sel:WORD_1 dst_unused:UNUSED_PAD src0_sel:DWORD src1_sel:DWORD
	v_or_b32_sdwa v6, v4, v5 dst_sel:DWORD dst_unused:UNUSED_PAD src0_sel:WORD_0 src1_sel:DWORD
	v_or_b32_sdwa v4, v7, v8 dst_sel:DWORD dst_unused:UNUSED_PAD src0_sel:WORD_0 src1_sel:DWORD
.LBB1775_67:
	s_or_b32 exec_lo, exec_lo, s1
	v_add_nc_u32_e32 v5, 6, v29
                                        ; implicit-def: $vgpr31
	v_cmp_le_u32_e32 vcc_lo, s7, v5
                                        ; implicit-def: $vgpr5
	s_and_saveexec_b32 s0, vcc_lo
	s_xor_b32 s0, exec_lo, s0
	s_cbranch_execz .LBB1775_69
; %bb.68:
	v_lshrrev_b32_e32 v5, 24, v6
	v_mov_b32_e32 v7, 8
	v_perm_b32 v3, v3, v3, 0x3060504
	v_perm_b32 v5, v5, v6, 0x40c0100
	v_lshrrev_b32_sdwa v6, v7, v5 dst_sel:BYTE_1 dst_unused:UNUSED_PAD src0_sel:DWORD src1_sel:DWORD
	v_and_b32_e32 v7, 0xff0000, v4
	v_or_b32_sdwa v6, v5, v6 dst_sel:DWORD dst_unused:UNUSED_PAD src0_sel:BYTE_0 src1_sel:DWORD
	v_perm_b32 v31, v4, v7, 0x3020504
                                        ; implicit-def: $vgpr4
	v_and_b32_e32 v6, 0xffff, v6
	v_and_or_b32 v5, 0xff000000, v5, v6
                                        ; implicit-def: $vgpr6
.LBB1775_69:
	s_andn2_saveexec_b32 s1, s0
	s_cbranch_execz .LBB1775_73
; %bb.70:
	v_add_nc_u32_e32 v5, s17, v13
	v_add_nc_u32_e32 v7, s19, v13
	s_mov_b32 s2, 0
	s_mov_b32 s3, exec_lo
	v_mul_lo_u32 v5, v5, s16
	v_mul_lo_u32 v7, v7, s18
	v_sub_nc_u32_e32 v5, v5, v7
	v_cmp_lt_u32_e32 vcc_lo, s20, v5
	v_cmpx_ge_u32_e64 s20, v5
	s_cbranch_execz .LBB1775_72
; %bb.71:
	v_add_nc_u32_e32 v5, s22, v13
	v_add_nc_u32_e32 v7, s40, v13
	v_mul_lo_u32 v5, v5, s21
	v_mul_lo_u32 v7, v7, s23
	v_sub_nc_u32_e32 v5, v5, v7
	v_cmp_lt_u32_e64 s0, s41, v5
	s_and_b32 s2, s0, exec_lo
.LBB1775_72:
	s_or_b32 exec_lo, exec_lo, s3
	v_mov_b32_e32 v5, 8
	v_mov_b32_e32 v7, 24
	v_cndmask_b32_e64 v21, 0, 1, s2
	v_mov_b32_e32 v22, 0xff
	v_cndmask_b32_e64 v8, 0, 1, vcc_lo
	v_lshrrev_b32_sdwa v23, v5, v6 dst_sel:BYTE_1 dst_unused:UNUSED_PAD src0_sel:DWORD src1_sel:DWORD
	v_lshrrev_b32_sdwa v7, v7, v6 dst_sel:BYTE_1 dst_unused:UNUSED_PAD src0_sel:DWORD src1_sel:DWORD
	;; [unrolled: 1-line block ×3, first 2 shown]
	v_lshlrev_b16 v21, 8, v21
	v_and_b32_sdwa v22, v4, v22 dst_sel:DWORD dst_unused:UNUSED_PAD src0_sel:WORD_1 src1_sel:DWORD
	v_or_b32_sdwa v6, v6, v23 dst_sel:DWORD dst_unused:UNUSED_PAD src0_sel:BYTE_0 src1_sel:DWORD
	v_or_b32_sdwa v7, v8, v7 dst_sel:WORD_1 dst_unused:UNUSED_PAD src0_sel:DWORD src1_sel:DWORD
	v_or_b32_sdwa v4, v4, v5 dst_sel:DWORD dst_unused:UNUSED_PAD src0_sel:BYTE_0 src1_sel:DWORD
	v_or_b32_sdwa v8, v22, v21 dst_sel:WORD_1 dst_unused:UNUSED_PAD src0_sel:DWORD src1_sel:DWORD
	v_or_b32_sdwa v5, v6, v7 dst_sel:DWORD dst_unused:UNUSED_PAD src0_sel:WORD_0 src1_sel:DWORD
	v_or_b32_sdwa v31, v4, v8 dst_sel:DWORD dst_unused:UNUSED_PAD src0_sel:WORD_0 src1_sel:DWORD
.LBB1775_73:
	s_or_b32 exec_lo, exec_lo, s1
	v_add_nc_u32_e32 v4, 7, v29
                                        ; implicit-def: $vgpr32
	v_cmp_le_u32_e32 vcc_lo, s7, v4
                                        ; implicit-def: $vgpr4
	s_and_saveexec_b32 s0, vcc_lo
	s_xor_b32 s0, exec_lo, s0
	s_cbranch_execz .LBB1775_75
; %bb.74:
	v_mov_b32_e32 v4, 24
	v_mov_b32_e32 v6, 0xff
	;; [unrolled: 1-line block ×3, first 2 shown]
	v_lshrrev_b32_sdwa v4, v4, v3 dst_sel:BYTE_1 dst_unused:UNUSED_PAD src0_sel:DWORD src1_sel:DWORD
	v_and_b32_sdwa v6, v3, v6 dst_sel:DWORD dst_unused:UNUSED_PAD src0_sel:WORD_1 src1_sel:DWORD
	v_lshrrev_b32_sdwa v3, v7, v3 dst_sel:BYTE_1 dst_unused:UNUSED_PAD src0_sel:DWORD src1_sel:DWORD
	v_and_b32_e32 v7, 0xff0000, v5
	v_or_b32_sdwa v4, v6, v4 dst_sel:WORD_1 dst_unused:UNUSED_PAD src0_sel:DWORD src1_sel:DWORD
	v_perm_b32 v32, v5, v7, 0x3020504
                                        ; implicit-def: $vgpr5
	v_or_b32_sdwa v4, v3, v4 dst_sel:DWORD dst_unused:UNUSED_PAD src0_sel:WORD_0 src1_sel:DWORD
                                        ; implicit-def: $vgpr3
.LBB1775_75:
	s_andn2_saveexec_b32 s1, s0
	s_cbranch_execz .LBB1775_79
; %bb.76:
	v_add_nc_u32_e32 v4, s17, v14
	v_add_nc_u32_e32 v6, s19, v14
	s_mov_b32 s2, 0
	s_mov_b32 s3, exec_lo
	v_mul_lo_u32 v4, v4, s16
	v_mul_lo_u32 v6, v6, s18
	v_sub_nc_u32_e32 v4, v4, v6
	v_cmp_lt_u32_e32 vcc_lo, s20, v4
	v_cmpx_ge_u32_e64 s20, v4
	s_cbranch_execz .LBB1775_78
; %bb.77:
	v_add_nc_u32_e32 v4, s22, v14
	v_add_nc_u32_e32 v6, s40, v14
	v_mul_lo_u32 v4, v4, s21
	v_mul_lo_u32 v6, v6, s23
	v_sub_nc_u32_e32 v4, v4, v6
	v_cmp_lt_u32_e64 s0, s41, v4
	s_and_b32 s2, s0, exec_lo
.LBB1775_78:
	s_or_b32 exec_lo, exec_lo, s3
	v_mov_b32_e32 v4, 8
	v_cndmask_b32_e64 v6, 0, 1, vcc_lo
	v_mov_b32_e32 v7, 0xff
	v_mov_b32_e32 v8, 24
	v_cndmask_b32_e64 v21, 0, 1, s2
	v_lshrrev_b32_sdwa v22, v4, v5 dst_sel:BYTE_1 dst_unused:UNUSED_PAD src0_sel:DWORD src1_sel:DWORD
	v_lshlrev_b16 v6, 8, v6
	v_and_b32_sdwa v23, v5, v7 dst_sel:DWORD dst_unused:UNUSED_PAD src0_sel:WORD_1 src1_sel:DWORD
	v_lshrrev_b32_sdwa v8, v8, v3 dst_sel:BYTE_1 dst_unused:UNUSED_PAD src0_sel:DWORD src1_sel:DWORD
	v_and_b32_sdwa v7, v3, v7 dst_sel:DWORD dst_unused:UNUSED_PAD src0_sel:WORD_1 src1_sel:DWORD
	v_lshrrev_b32_sdwa v3, v4, v3 dst_sel:BYTE_1 dst_unused:UNUSED_PAD src0_sel:DWORD src1_sel:DWORD
	v_or_b32_sdwa v4, v5, v22 dst_sel:DWORD dst_unused:UNUSED_PAD src0_sel:BYTE_0 src1_sel:DWORD
	v_or_b32_sdwa v5, v23, v6 dst_sel:WORD_1 dst_unused:UNUSED_PAD src0_sel:DWORD src1_sel:DWORD
	v_or_b32_sdwa v6, v7, v8 dst_sel:WORD_1 dst_unused:UNUSED_PAD src0_sel:DWORD src1_sel:DWORD
	v_or_b32_e32 v3, v21, v3
	v_or_b32_sdwa v32, v4, v5 dst_sel:DWORD dst_unused:UNUSED_PAD src0_sel:WORD_0 src1_sel:DWORD
	v_or_b32_sdwa v4, v3, v6 dst_sel:DWORD dst_unused:UNUSED_PAD src0_sel:WORD_0 src1_sel:DWORD
.LBB1775_79:
	s_or_b32 exec_lo, exec_lo, s1
	v_add_nc_u32_e32 v3, 8, v29
                                        ; implicit-def: $vgpr5
	v_cmp_le_u32_e32 vcc_lo, s7, v3
                                        ; implicit-def: $vgpr3
	s_and_saveexec_b32 s0, vcc_lo
	s_xor_b32 s0, exec_lo, s0
	s_cbranch_execz .LBB1775_81
; %bb.80:
	v_mov_b32_e32 v3, 24
	v_mov_b32_e32 v5, 0xff
	;; [unrolled: 1-line block ×3, first 2 shown]
	v_perm_b32 v1, v1, v1, 0x3060504
	v_lshrrev_b32_sdwa v7, v3, v4 dst_sel:BYTE_1 dst_unused:UNUSED_PAD src0_sel:DWORD src1_sel:DWORD
	v_lshrrev_b32_sdwa v3, v3, v2 dst_sel:BYTE_1 dst_unused:UNUSED_PAD src0_sel:DWORD src1_sel:DWORD
	v_and_b32_sdwa v8, v2, v5 dst_sel:DWORD dst_unused:UNUSED_PAD src0_sel:WORD_1 src1_sel:DWORD
	v_and_b32_sdwa v5, v4, v5 dst_sel:DWORD dst_unused:UNUSED_PAD src0_sel:WORD_1 src1_sel:DWORD
	v_lshrrev_b32_sdwa v2, v6, v2 dst_sel:BYTE_1 dst_unused:UNUSED_PAD src0_sel:DWORD src1_sel:DWORD
	v_or_b32_sdwa v3, v8, v3 dst_sel:WORD_1 dst_unused:UNUSED_PAD src0_sel:DWORD src1_sel:DWORD
	v_or_b32_e32 v5, v5, v7
	v_or_b32_sdwa v3, v2, v3 dst_sel:DWORD dst_unused:UNUSED_PAD src0_sel:WORD_0 src1_sel:DWORD
	v_perm_b32 v5, v5, v4, 0x5040c00
                                        ; implicit-def: $vgpr2
                                        ; implicit-def: $vgpr4
.LBB1775_81:
	s_andn2_saveexec_b32 s1, s0
	s_cbranch_execz .LBB1775_85
; %bb.82:
	v_add_nc_u32_e32 v3, s17, v11
	v_add_nc_u32_e32 v5, s19, v11
	s_mov_b32 s2, 0
	s_mov_b32 s3, exec_lo
	v_mul_lo_u32 v3, v3, s16
	v_mul_lo_u32 v5, v5, s18
	v_sub_nc_u32_e32 v3, v3, v5
	v_cmp_lt_u32_e32 vcc_lo, s20, v3
	v_cmpx_ge_u32_e64 s20, v3
	s_cbranch_execz .LBB1775_84
; %bb.83:
	v_add_nc_u32_e32 v3, s22, v11
	v_add_nc_u32_e32 v5, s40, v11
	v_mul_lo_u32 v3, v3, s21
	v_mul_lo_u32 v5, v5, s23
	v_sub_nc_u32_e32 v3, v3, v5
	v_cmp_lt_u32_e64 s0, s41, v3
	s_and_b32 s2, s0, exec_lo
.LBB1775_84:
	s_or_b32 exec_lo, exec_lo, s3
	v_mov_b32_e32 v3, 24
	v_mov_b32_e32 v5, 0xff
	;; [unrolled: 1-line block ×3, first 2 shown]
	v_cndmask_b32_e64 v7, 0, 1, s2
	v_cndmask_b32_e64 v8, 0, 1, vcc_lo
	v_lshrrev_b32_sdwa v21, v3, v2 dst_sel:BYTE_1 dst_unused:UNUSED_PAD src0_sel:DWORD src1_sel:DWORD
	v_and_b32_sdwa v22, v2, v5 dst_sel:DWORD dst_unused:UNUSED_PAD src0_sel:WORD_1 src1_sel:DWORD
	v_lshrrev_b32_sdwa v2, v6, v2 dst_sel:BYTE_1 dst_unused:UNUSED_PAD src0_sel:DWORD src1_sel:DWORD
	v_lshlrev_b16 v6, 8, v7
	v_lshrrev_b32_sdwa v3, v3, v4 dst_sel:BYTE_1 dst_unused:UNUSED_PAD src0_sel:DWORD src1_sel:DWORD
	v_and_b32_sdwa v5, v4, v5 dst_sel:DWORD dst_unused:UNUSED_PAD src0_sel:WORD_1 src1_sel:DWORD
	v_or_b32_sdwa v7, v22, v21 dst_sel:WORD_1 dst_unused:UNUSED_PAD src0_sel:DWORD src1_sel:DWORD
	v_or_b32_e32 v2, v8, v2
	v_or_b32_sdwa v4, v4, v6 dst_sel:DWORD dst_unused:UNUSED_PAD src0_sel:BYTE_0 src1_sel:DWORD
	v_or_b32_sdwa v5, v5, v3 dst_sel:WORD_1 dst_unused:UNUSED_PAD src0_sel:DWORD src1_sel:DWORD
	v_or_b32_sdwa v3, v2, v7 dst_sel:DWORD dst_unused:UNUSED_PAD src0_sel:WORD_0 src1_sel:DWORD
	v_or_b32_sdwa v5, v4, v5 dst_sel:DWORD dst_unused:UNUSED_PAD src0_sel:WORD_0 src1_sel:DWORD
.LBB1775_85:
	s_or_b32 exec_lo, exec_lo, s1
	v_add_nc_u32_e32 v2, 9, v29
                                        ; implicit-def: $vgpr4
	v_cmp_le_u32_e32 vcc_lo, s7, v2
                                        ; implicit-def: $vgpr2
	s_and_saveexec_b32 s0, vcc_lo
	s_xor_b32 s0, exec_lo, s0
	s_cbranch_execz .LBB1775_87
; %bb.86:
	v_lshrrev_b32_e32 v2, 24, v5
	v_mov_b32_e32 v4, 8
	v_mov_b32_e32 v6, 0xff
	v_perm_b32 v1, v1, v1, 0x3060504
	v_perm_b32 v2, v2, v5, 0x40c0100
	v_mov_b32_e32 v5, 24
	v_and_b32_sdwa v6, v3, v6 dst_sel:DWORD dst_unused:UNUSED_PAD src0_sel:WORD_1 src1_sel:DWORD
	v_lshrrev_b32_sdwa v4, v4, v2 dst_sel:BYTE_1 dst_unused:UNUSED_PAD src0_sel:DWORD src1_sel:DWORD
	v_lshrrev_b32_sdwa v5, v5, v3 dst_sel:BYTE_1 dst_unused:UNUSED_PAD src0_sel:DWORD src1_sel:DWORD
	v_or_b32_sdwa v4, v2, v4 dst_sel:DWORD dst_unused:UNUSED_PAD src0_sel:BYTE_0 src1_sel:DWORD
	v_or_b32_e32 v5, v6, v5
	v_and_b32_e32 v6, 0xffff, v4
	v_perm_b32 v4, v5, v3, 0x5040c00
                                        ; implicit-def: $vgpr3
                                        ; implicit-def: $vgpr5
	v_and_or_b32 v2, 0xff000000, v2, v6
.LBB1775_87:
	s_andn2_saveexec_b32 s1, s0
	s_cbranch_execz .LBB1775_91
; %bb.88:
	v_add_nc_u32_e32 v2, s17, v12
	v_add_nc_u32_e32 v4, s19, v12
	s_mov_b32 s2, 0
	s_mov_b32 s3, exec_lo
	v_mul_lo_u32 v2, v2, s16
	v_mul_lo_u32 v4, v4, s18
	v_sub_nc_u32_e32 v2, v2, v4
	v_cmp_lt_u32_e32 vcc_lo, s20, v2
	v_cmpx_ge_u32_e64 s20, v2
	s_cbranch_execz .LBB1775_90
; %bb.89:
	v_add_nc_u32_e32 v2, s22, v12
	v_add_nc_u32_e32 v4, s40, v12
	v_mul_lo_u32 v2, v2, s21
	v_mul_lo_u32 v4, v4, s23
	v_sub_nc_u32_e32 v2, v2, v4
	v_cmp_lt_u32_e64 s0, s41, v2
	s_and_b32 s2, s0, exec_lo
.LBB1775_90:
	s_or_b32 exec_lo, exec_lo, s3
	v_cndmask_b32_e64 v2, 0, 1, vcc_lo
	v_mov_b32_e32 v4, 24
	v_mov_b32_e32 v6, 0xff
	;; [unrolled: 1-line block ×3, first 2 shown]
	v_cndmask_b32_e64 v8, 0, 1, s2
	v_lshlrev_b16 v2, 8, v2
	v_lshrrev_b32_sdwa v21, v4, v3 dst_sel:BYTE_1 dst_unused:UNUSED_PAD src0_sel:DWORD src1_sel:DWORD
	v_and_b32_sdwa v6, v3, v6 dst_sel:DWORD dst_unused:UNUSED_PAD src0_sel:WORD_1 src1_sel:DWORD
	v_lshrrev_b32_sdwa v7, v7, v5 dst_sel:BYTE_1 dst_unused:UNUSED_PAD src0_sel:DWORD src1_sel:DWORD
	v_lshrrev_b32_sdwa v4, v4, v5 dst_sel:BYTE_1 dst_unused:UNUSED_PAD src0_sel:DWORD src1_sel:DWORD
	v_or_b32_sdwa v2, v3, v2 dst_sel:DWORD dst_unused:UNUSED_PAD src0_sel:BYTE_0 src1_sel:DWORD
	v_or_b32_sdwa v3, v6, v21 dst_sel:WORD_1 dst_unused:UNUSED_PAD src0_sel:DWORD src1_sel:DWORD
	v_or_b32_sdwa v5, v5, v7 dst_sel:DWORD dst_unused:UNUSED_PAD src0_sel:BYTE_0 src1_sel:DWORD
	v_or_b32_sdwa v6, v8, v4 dst_sel:WORD_1 dst_unused:UNUSED_PAD src0_sel:DWORD src1_sel:DWORD
	v_or_b32_sdwa v4, v2, v3 dst_sel:DWORD dst_unused:UNUSED_PAD src0_sel:WORD_0 src1_sel:DWORD
	v_or_b32_sdwa v2, v5, v6 dst_sel:DWORD dst_unused:UNUSED_PAD src0_sel:WORD_0 src1_sel:DWORD
.LBB1775_91:
	s_or_b32 exec_lo, exec_lo, s1
	v_add_nc_u32_e32 v3, 10, v29
                                        ; implicit-def: $vgpr33
	v_cmp_le_u32_e32 vcc_lo, s7, v3
                                        ; implicit-def: $vgpr3
	s_and_saveexec_b32 s0, vcc_lo
	s_xor_b32 s0, exec_lo, s0
	s_cbranch_execz .LBB1775_93
; %bb.92:
	v_lshrrev_b32_e32 v3, 24, v4
	v_mov_b32_e32 v5, 8
	v_perm_b32 v1, v1, v1, 0x3060504
	v_perm_b32 v3, v3, v4, 0x40c0100
	v_lshrrev_b32_sdwa v4, v5, v3 dst_sel:BYTE_1 dst_unused:UNUSED_PAD src0_sel:DWORD src1_sel:DWORD
	v_and_b32_e32 v5, 0xff0000, v2
	v_or_b32_sdwa v4, v3, v4 dst_sel:DWORD dst_unused:UNUSED_PAD src0_sel:BYTE_0 src1_sel:DWORD
	v_perm_b32 v33, v2, v5, 0x3020504
                                        ; implicit-def: $vgpr2
	v_and_b32_e32 v4, 0xffff, v4
	v_and_or_b32 v3, 0xff000000, v3, v4
                                        ; implicit-def: $vgpr4
.LBB1775_93:
	s_andn2_saveexec_b32 s1, s0
	s_cbranch_execz .LBB1775_97
; %bb.94:
	v_add_nc_u32_e32 v3, s17, v9
	v_add_nc_u32_e32 v5, s19, v9
	s_mov_b32 s2, 0
	s_mov_b32 s3, exec_lo
	v_mul_lo_u32 v3, v3, s16
	v_mul_lo_u32 v5, v5, s18
	v_sub_nc_u32_e32 v3, v3, v5
	v_cmp_lt_u32_e32 vcc_lo, s20, v3
	v_cmpx_ge_u32_e64 s20, v3
	s_cbranch_execz .LBB1775_96
; %bb.95:
	v_add_nc_u32_e32 v3, s22, v9
	v_add_nc_u32_e32 v5, s40, v9
	v_mul_lo_u32 v3, v3, s21
	v_mul_lo_u32 v5, v5, s23
	v_sub_nc_u32_e32 v3, v3, v5
	v_cmp_lt_u32_e64 s0, s41, v3
	s_and_b32 s2, s0, exec_lo
.LBB1775_96:
	s_or_b32 exec_lo, exec_lo, s3
	v_mov_b32_e32 v3, 8
	v_mov_b32_e32 v5, 24
	v_cndmask_b32_e64 v7, 0, 1, s2
	v_mov_b32_e32 v8, 0xff
	v_cndmask_b32_e64 v6, 0, 1, vcc_lo
	v_lshrrev_b32_sdwa v21, v3, v4 dst_sel:BYTE_1 dst_unused:UNUSED_PAD src0_sel:DWORD src1_sel:DWORD
	v_lshrrev_b32_sdwa v5, v5, v4 dst_sel:BYTE_1 dst_unused:UNUSED_PAD src0_sel:DWORD src1_sel:DWORD
	;; [unrolled: 1-line block ×3, first 2 shown]
	v_lshlrev_b16 v7, 8, v7
	v_and_b32_sdwa v8, v2, v8 dst_sel:DWORD dst_unused:UNUSED_PAD src0_sel:WORD_1 src1_sel:DWORD
	v_or_b32_sdwa v4, v4, v21 dst_sel:DWORD dst_unused:UNUSED_PAD src0_sel:BYTE_0 src1_sel:DWORD
	v_or_b32_sdwa v5, v6, v5 dst_sel:WORD_1 dst_unused:UNUSED_PAD src0_sel:DWORD src1_sel:DWORD
	v_or_b32_sdwa v2, v2, v3 dst_sel:DWORD dst_unused:UNUSED_PAD src0_sel:BYTE_0 src1_sel:DWORD
	v_or_b32_sdwa v6, v8, v7 dst_sel:WORD_1 dst_unused:UNUSED_PAD src0_sel:DWORD src1_sel:DWORD
	v_or_b32_sdwa v3, v4, v5 dst_sel:DWORD dst_unused:UNUSED_PAD src0_sel:WORD_0 src1_sel:DWORD
	v_or_b32_sdwa v33, v2, v6 dst_sel:DWORD dst_unused:UNUSED_PAD src0_sel:WORD_0 src1_sel:DWORD
.LBB1775_97:
	s_or_b32 exec_lo, exec_lo, s1
	v_add_nc_u32_e32 v2, 11, v29
	v_mov_b32_e32 v34, 0
	s_mov_b32 s0, exec_lo
                                        ; implicit-def: $vgpr35
	v_cmpx_le_u32_e64 s7, v2
	s_xor_b32 s0, exec_lo, s0
; %bb.98:
	v_and_b32_e32 v2, 0xff0000, v3
	v_perm_b32 v1, v1, v1, 0x3060504
	v_perm_b32 v35, v3, v2, 0x3020504
                                        ; implicit-def: $vgpr3
; %bb.99:
	s_andn2_saveexec_b32 s1, s0
	s_cbranch_execz .LBB1775_103
; %bb.100:
	v_add_nc_u32_e32 v2, s17, v10
	v_add_nc_u32_e32 v4, s19, v10
	s_mov_b32 s2, 0
	s_mov_b32 s3, exec_lo
	v_mul_lo_u32 v2, v2, s16
	v_mul_lo_u32 v4, v4, s18
	v_sub_nc_u32_e32 v2, v2, v4
	v_cmp_lt_u32_e32 vcc_lo, s20, v2
	v_cmpx_ge_u32_e64 s20, v2
	s_cbranch_execz .LBB1775_102
; %bb.101:
	v_add_nc_u32_e32 v2, s22, v10
	v_add_nc_u32_e32 v4, s40, v10
	v_mul_lo_u32 v2, v2, s21
	v_mul_lo_u32 v4, v4, s23
	v_sub_nc_u32_e32 v2, v2, v4
	v_cmp_lt_u32_e64 s0, s41, v2
	s_and_b32 s2, s0, exec_lo
.LBB1775_102:
	s_or_b32 exec_lo, exec_lo, s3
	v_mov_b32_e32 v2, 8
	v_cndmask_b32_e64 v4, 0, 1, vcc_lo
	v_mov_b32_e32 v5, 0xff
	v_cndmask_b32_e64 v34, 0, 1, s2
	v_lshrrev_b32_sdwa v2, v2, v3 dst_sel:BYTE_1 dst_unused:UNUSED_PAD src0_sel:DWORD src1_sel:DWORD
	v_lshlrev_b16 v4, 8, v4
	v_and_b32_sdwa v5, v3, v5 dst_sel:DWORD dst_unused:UNUSED_PAD src0_sel:WORD_1 src1_sel:DWORD
	v_or_b32_sdwa v2, v3, v2 dst_sel:DWORD dst_unused:UNUSED_PAD src0_sel:BYTE_0 src1_sel:DWORD
	v_or_b32_sdwa v3, v5, v4 dst_sel:WORD_1 dst_unused:UNUSED_PAD src0_sel:DWORD src1_sel:DWORD
	v_or_b32_sdwa v35, v2, v3 dst_sel:DWORD dst_unused:UNUSED_PAD src0_sel:WORD_0 src1_sel:DWORD
.LBB1775_103:
	s_or_b32 exec_lo, exec_lo, s1
	v_add_nc_u32_e32 v2, 12, v29
	s_mov_b32 s0, exec_lo
                                        ; implicit-def: $vgpr36
	v_cmpx_le_u32_e64 s7, v2
	s_xor_b32 s0, exec_lo, s0
	s_cbranch_execz .LBB1775_105
; %bb.104:
	v_mov_b32_e32 v2, 24
	v_mov_b32_e32 v3, 0xff
	;; [unrolled: 1-line block ×3, first 2 shown]
	v_lshrrev_b32_sdwa v2, v2, v1 dst_sel:BYTE_1 dst_unused:UNUSED_PAD src0_sel:DWORD src1_sel:DWORD
	v_and_b32_sdwa v3, v1, v3 dst_sel:DWORD dst_unused:UNUSED_PAD src0_sel:WORD_1 src1_sel:DWORD
	v_lshrrev_b32_sdwa v1, v4, v1 dst_sel:BYTE_1 dst_unused:UNUSED_PAD src0_sel:DWORD src1_sel:DWORD
	v_or_b32_sdwa v2, v3, v2 dst_sel:WORD_1 dst_unused:UNUSED_PAD src0_sel:DWORD src1_sel:DWORD
	v_or_b32_sdwa v36, v1, v2 dst_sel:DWORD dst_unused:UNUSED_PAD src0_sel:WORD_0 src1_sel:DWORD
                                        ; implicit-def: $vgpr1
.LBB1775_105:
	s_or_saveexec_b32 s1, s0
	v_mov_b32_e32 v37, 0
	s_xor_b32 exec_lo, exec_lo, s1
	s_cbranch_execz .LBB1775_109
; %bb.106:
	v_add_nc_u32_e32 v2, s17, v28
	v_add_nc_u32_e32 v3, s19, v28
	s_mov_b32 s2, 0
	s_mov_b32 s3, exec_lo
	v_mul_lo_u32 v2, v2, s16
	v_mul_lo_u32 v3, v3, s18
	v_sub_nc_u32_e32 v2, v2, v3
	v_cmp_lt_u32_e32 vcc_lo, s20, v2
	v_cmpx_ge_u32_e64 s20, v2
	s_cbranch_execz .LBB1775_108
; %bb.107:
	v_add_nc_u32_e32 v2, s22, v28
	v_add_nc_u32_e32 v3, s40, v28
	v_mul_lo_u32 v2, v2, s21
	v_mul_lo_u32 v3, v3, s23
	v_sub_nc_u32_e32 v2, v2, v3
	v_cmp_lt_u32_e64 s0, s41, v2
	s_and_b32 s2, s0, exec_lo
.LBB1775_108:
	s_or_b32 exec_lo, exec_lo, s3
	v_mov_b32_e32 v2, 24
	v_mov_b32_e32 v3, 0xff
	;; [unrolled: 1-line block ×3, first 2 shown]
	v_cndmask_b32_e64 v5, 0, 1, vcc_lo
	v_cndmask_b32_e64 v37, 0, 1, s2
	v_lshrrev_b32_sdwa v2, v2, v1 dst_sel:BYTE_1 dst_unused:UNUSED_PAD src0_sel:DWORD src1_sel:DWORD
	v_and_b32_sdwa v3, v1, v3 dst_sel:DWORD dst_unused:UNUSED_PAD src0_sel:WORD_1 src1_sel:DWORD
	v_lshrrev_b32_sdwa v1, v4, v1 dst_sel:BYTE_1 dst_unused:UNUSED_PAD src0_sel:DWORD src1_sel:DWORD
	v_or_b32_sdwa v2, v3, v2 dst_sel:WORD_1 dst_unused:UNUSED_PAD src0_sel:DWORD src1_sel:DWORD
	v_or_b32_e32 v1, v5, v1
	v_or_b32_sdwa v36, v1, v2 dst_sel:DWORD dst_unused:UNUSED_PAD src0_sel:WORD_0 src1_sel:DWORD
.LBB1775_109:
	s_or_b32 exec_lo, exec_lo, s1
.LBB1775_110:
	v_and_b32_e32 v60, 0xff, v30
	v_bfe_u32 v61, v36, 8, 8
	v_bfe_u32 v57, v30, 8, 8
	;; [unrolled: 1-line block ×4, first 2 shown]
	v_lshrrev_b32_e32 v43, 24, v36
	v_lshrrev_b32_e32 v42, 24, v30
	v_and_b32_e32 v56, 0xff, v31
	v_and_b32_e32 v54, 0xff, v32
	v_bfe_u32 v55, v31, 8, 8
	v_add3_u32 v1, v57, v60, v59
	v_add3_u32 v2, v58, v61, v43
	v_bfe_u32 v52, v32, 8, 8
	v_bfe_u32 v53, v31, 16, 8
	;; [unrolled: 1-line block ×3, first 2 shown]
	v_lshrrev_b32_e32 v41, 24, v31
	v_add3_u32 v1, v1, v42, v54
	v_add3_u32 v2, v2, v56, v55
	v_lshrrev_b32_e32 v40, 24, v32
	v_and_b32_e32 v51, 0xff, v33
	v_and_b32_e32 v49, 0xff, v35
	v_bfe_u32 v50, v33, 8, 8
	v_add3_u32 v1, v1, v52, v46
	v_add3_u32 v2, v2, v53, v41
	v_bfe_u32 v47, v35, 8, 8
	v_bfe_u32 v48, v33, 16, 8
	;; [unrolled: 1-line block ×3, first 2 shown]
	v_lshrrev_b32_e32 v39, 24, v33
	v_add3_u32 v1, v1, v40, v49
	v_add3_u32 v2, v2, v51, v50
	v_mbcnt_lo_u32_b32 v62, -1, 0
	v_lshrrev_b32_e32 v38, 24, v35
	v_and_b32_e32 v44, 0xff, v34
	v_and_b32_e32 v3, 0xff, v36
	;; [unrolled: 1-line block ×3, first 2 shown]
	v_add3_u32 v1, v1, v47, v45
	v_add3_u32 v2, v2, v48, v39
	v_and_b32_e32 v64, 15, v62
	v_and_b32_e32 v66, 16, v62
	v_lshrrev_b32_e32 v63, 5, v0
	v_add3_u32 v67, v1, v38, v3
	v_add3_u32 v68, v2, v44, v4
	v_cmp_eq_u32_e64 s1, 0, v64
	v_cmp_lt_u32_e64 s0, 1, v64
	v_cmp_lt_u32_e64 s2, 3, v64
	v_or_b32_e32 v65, 31, v0
	s_cmp_lg_u32 s6, 0
	s_mov_b32 s3, -1
	v_cmp_lt_u32_e32 vcc_lo, 7, v64
	s_cbranch_scc0 .LBB1775_132
; %bb.111:
	v_mov_b32_dpp v1, v68 row_shr:1 row_mask:0xf bank_mask:0xf
	v_mov_b32_dpp v2, v67 row_shr:1 row_mask:0xf bank_mask:0xf
	s_mov_b32 s3, exec_lo
	v_add_nc_u32_e32 v1, v1, v68
	v_add_nc_u32_e32 v2, v2, v67
	v_cndmask_b32_e64 v1, v1, v68, s1
	v_cndmask_b32_e64 v2, v2, v67, s1
	v_mov_b32_dpp v3, v1 row_shr:2 row_mask:0xf bank_mask:0xf
	v_mov_b32_dpp v4, v2 row_shr:2 row_mask:0xf bank_mask:0xf
	v_add_nc_u32_e32 v3, v1, v3
	v_add_nc_u32_e32 v4, v2, v4
	v_cndmask_b32_e64 v1, v1, v3, s0
	v_cndmask_b32_e64 v2, v2, v4, s0
	v_mov_b32_dpp v3, v1 row_shr:4 row_mask:0xf bank_mask:0xf
	v_mov_b32_dpp v4, v2 row_shr:4 row_mask:0xf bank_mask:0xf
	;; [unrolled: 6-line block ×3, first 2 shown]
	v_add_nc_u32_e32 v3, v1, v3
	v_add_nc_u32_e32 v4, v2, v4
	v_cndmask_b32_e32 v1, v1, v3, vcc_lo
	v_cndmask_b32_e32 v2, v2, v4, vcc_lo
	v_cmp_eq_u32_e32 vcc_lo, 0, v66
	ds_swizzle_b32 v3, v1 offset:swizzle(BROADCAST,32,15)
	ds_swizzle_b32 v4, v2 offset:swizzle(BROADCAST,32,15)
	s_waitcnt lgkmcnt(0)
	v_add_nc_u32_e32 v3, v1, v3
	v_add_nc_u32_e32 v4, v2, v4
	v_cmpx_eq_u32_e64 v0, v65
	s_cbranch_execz .LBB1775_113
; %bb.112:
	v_lshlrev_b32_e32 v7, 3, v63
	v_cndmask_b32_e32 v6, v3, v1, vcc_lo
	v_cndmask_b32_e32 v5, v4, v2, vcc_lo
	ds_write_b64 v7, v[5:6]
.LBB1775_113:
	s_or_b32 exec_lo, exec_lo, s3
	s_mov_b32 s3, exec_lo
	s_waitcnt lgkmcnt(0)
	s_barrier
	buffer_gl0_inv
	v_cmpx_gt_u32_e32 8, v0
	s_cbranch_execz .LBB1775_115
; %bb.114:
	v_lshlrev_b32_e32 v7, 3, v0
	v_and_b32_e32 v22, 7, v62
	ds_read_b64 v[5:6], v7
	v_cmp_eq_u32_e64 s2, 0, v22
	s_waitcnt lgkmcnt(0)
	v_mov_b32_dpp v8, v5 row_shr:1 row_mask:0xf bank_mask:0xf
	v_mov_b32_dpp v21, v6 row_shr:1 row_mask:0xf bank_mask:0xf
	v_add_nc_u32_e32 v8, v8, v5
	v_add_nc_u32_e32 v21, v21, v6
	v_cndmask_b32_e64 v5, v8, v5, s2
	v_cndmask_b32_e64 v6, v21, v6, s2
	v_cmp_lt_u32_e64 s2, 1, v22
	v_mov_b32_dpp v8, v5 row_shr:2 row_mask:0xf bank_mask:0xf
	v_mov_b32_dpp v21, v6 row_shr:2 row_mask:0xf bank_mask:0xf
	v_add_nc_u32_e32 v8, v5, v8
	v_add_nc_u32_e32 v21, v6, v21
	v_cndmask_b32_e64 v5, v5, v8, s2
	v_cndmask_b32_e64 v6, v6, v21, s2
	v_cmp_lt_u32_e64 s2, 3, v22
	v_mov_b32_dpp v8, v5 row_shr:4 row_mask:0xf bank_mask:0xf
	v_mov_b32_dpp v21, v6 row_shr:4 row_mask:0xf bank_mask:0xf
	v_cndmask_b32_e64 v8, 0, v8, s2
	v_cndmask_b32_e64 v21, 0, v21, s2
	v_add_nc_u32_e32 v5, v8, v5
	v_add_nc_u32_e32 v6, v21, v6
	ds_write_b64 v7, v[5:6]
.LBB1775_115:
	s_or_b32 exec_lo, exec_lo, s3
	v_cndmask_b32_e32 v1, v3, v1, vcc_lo
	v_cndmask_b32_e32 v2, v4, v2, vcc_lo
	s_mov_b32 s3, exec_lo
	v_cmp_gt_u32_e32 vcc_lo, 32, v0
	s_waitcnt lgkmcnt(0)
	s_barrier
	buffer_gl0_inv
                                        ; implicit-def: $vgpr21
	v_cmpx_lt_u32_e32 31, v0
	s_cbranch_execz .LBB1775_117
; %bb.116:
	v_lshl_add_u32 v3, v63, 3, -8
	ds_read_b64 v[21:22], v3
	s_waitcnt lgkmcnt(0)
	v_add_nc_u32_e32 v1, v22, v1
	v_add_nc_u32_e32 v2, v21, v2
.LBB1775_117:
	s_or_b32 exec_lo, exec_lo, s3
	v_sub_co_u32 v3, s2, v62, 1
	v_cmp_gt_i32_e64 s3, 0, v3
	v_cndmask_b32_e64 v3, v3, v62, s3
	v_lshlrev_b32_e32 v3, 2, v3
	ds_bpermute_b32 v69, v3, v2
	ds_bpermute_b32 v70, v3, v1
	s_and_saveexec_b32 s3, vcc_lo
	s_cbranch_execz .LBB1775_137
; %bb.118:
	v_mov_b32_e32 v4, 0
	ds_read_b64 v[1:2], v4 offset:56
	s_and_saveexec_b32 s8, s2
	s_cbranch_execz .LBB1775_120
; %bb.119:
	s_add_i32 s10, s6, 32
	s_mov_b32 s11, 0
	v_mov_b32_e32 v3, 1
	s_lshl_b64 s[10:11], s[10:11], 4
	s_add_u32 s10, s4, s10
	s_addc_u32 s11, s5, s11
	v_mov_b32_e32 v5, s10
	v_mov_b32_e32 v6, s11
	s_waitcnt lgkmcnt(0)
	;;#ASMSTART
	global_store_dwordx4 v[5:6], v[1:4] off	
s_waitcnt vmcnt(0)
	;;#ASMEND
.LBB1775_120:
	s_or_b32 exec_lo, exec_lo, s8
	v_xad_u32 v23, v62, -1, s6
	s_mov_b32 s9, 0
	v_add_nc_u32_e32 v3, 32, v23
	v_lshlrev_b64 v[5:6], 4, v[3:4]
	v_add_co_u32 v24, vcc_lo, s4, v5
	v_add_co_ci_u32_e64 v25, null, s5, v6, vcc_lo
	;;#ASMSTART
	global_load_dwordx4 v[5:8], v[24:25] off glc dlc	
s_waitcnt vmcnt(0)
	;;#ASMEND
	v_cmp_eq_u16_sdwa s10, v7, v4 src0_sel:BYTE_0 src1_sel:DWORD
	s_and_saveexec_b32 s8, s10
	s_cbranch_execz .LBB1775_124
; %bb.121:
	v_mov_b32_e32 v3, 0
.LBB1775_122:                           ; =>This Inner Loop Header: Depth=1
	;;#ASMSTART
	global_load_dwordx4 v[5:8], v[24:25] off glc dlc	
s_waitcnt vmcnt(0)
	;;#ASMEND
	v_cmp_ne_u16_sdwa s10, v7, v3 src0_sel:BYTE_0 src1_sel:DWORD
	s_or_b32 s9, s10, s9
	s_andn2_b32 exec_lo, exec_lo, s9
	s_cbranch_execnz .LBB1775_122
; %bb.123:
	s_or_b32 exec_lo, exec_lo, s9
.LBB1775_124:
	s_or_b32 exec_lo, exec_lo, s8
	v_cmp_ne_u32_e32 vcc_lo, 31, v62
	v_mov_b32_e32 v72, 2
	v_lshlrev_b32_e64 v73, v62, -1
	v_add_nc_u32_e32 v75, 2, v62
	v_add_nc_u32_e32 v77, 4, v62
	v_add_co_ci_u32_e64 v3, null, 0, v62, vcc_lo
	v_cmp_eq_u16_sdwa s8, v7, v72 src0_sel:BYTE_0 src1_sel:DWORD
	v_cmp_gt_u32_e32 vcc_lo, 30, v62
	v_add_nc_u32_e32 v79, 8, v62
	v_lshlrev_b32_e32 v71, 2, v3
	v_lshl_or_b32 v80, v62, 2, 64
	v_and_b32_e32 v8, s8, v73
	v_cndmask_b32_e64 v24, 0, 2, vcc_lo
	v_add_nc_u32_e32 v81, 16, v62
	ds_bpermute_b32 v3, v71, v6
	ds_bpermute_b32 v4, v71, v5
	v_or_b32_e32 v8, 0x80000000, v8
	v_add_lshl_u32 v74, v24, v62, 2
	v_ffbl_b32_e32 v8, v8
	v_cmp_lt_u32_e32 vcc_lo, v62, v8
	s_waitcnt lgkmcnt(1)
	v_add_nc_u32_e32 v3, v3, v6
	s_waitcnt lgkmcnt(0)
	v_add_nc_u32_e32 v4, v4, v5
	v_cndmask_b32_e32 v3, v6, v3, vcc_lo
	v_cndmask_b32_e32 v4, v5, v4, vcc_lo
	v_cmp_gt_u32_e32 vcc_lo, 28, v62
	ds_bpermute_b32 v5, v74, v3
	ds_bpermute_b32 v6, v74, v4
	v_cndmask_b32_e64 v24, 0, 4, vcc_lo
	v_cmp_gt_u32_e32 vcc_lo, v75, v8
	v_add_lshl_u32 v76, v24, v62, 2
	s_waitcnt lgkmcnt(1)
	v_add_nc_u32_e32 v5, v3, v5
	s_waitcnt lgkmcnt(0)
	v_add_nc_u32_e32 v6, v4, v6
	v_cndmask_b32_e32 v3, v5, v3, vcc_lo
	v_cndmask_b32_e32 v4, v6, v4, vcc_lo
	v_cmp_gt_u32_e32 vcc_lo, 24, v62
	ds_bpermute_b32 v5, v76, v3
	ds_bpermute_b32 v6, v76, v4
	v_cndmask_b32_e64 v24, 0, 8, vcc_lo
	v_cmp_gt_u32_e32 vcc_lo, v77, v8
	v_add_lshl_u32 v78, v24, v62, 2
	v_mov_b32_e32 v24, 0
	s_waitcnt lgkmcnt(1)
	v_add_nc_u32_e32 v5, v3, v5
	s_waitcnt lgkmcnt(0)
	v_add_nc_u32_e32 v6, v4, v6
	v_cndmask_b32_e32 v3, v5, v3, vcc_lo
	v_cndmask_b32_e32 v4, v6, v4, vcc_lo
	v_cmp_gt_u32_e32 vcc_lo, v79, v8
	ds_bpermute_b32 v5, v78, v3
	ds_bpermute_b32 v6, v78, v4
	s_waitcnt lgkmcnt(1)
	v_add_nc_u32_e32 v5, v3, v5
	s_waitcnt lgkmcnt(0)
	v_add_nc_u32_e32 v6, v4, v6
	v_cndmask_b32_e32 v3, v5, v3, vcc_lo
	v_cndmask_b32_e32 v4, v6, v4, vcc_lo
	v_cmp_le_u32_e32 vcc_lo, v81, v8
	ds_bpermute_b32 v6, v80, v3
	ds_bpermute_b32 v5, v80, v4
	s_waitcnt lgkmcnt(1)
	v_cndmask_b32_e32 v6, 0, v6, vcc_lo
	s_waitcnt lgkmcnt(0)
	v_cndmask_b32_e32 v5, 0, v5, vcc_lo
	v_add_nc_u32_e32 v6, v6, v3
	v_add_nc_u32_e32 v5, v5, v4
	s_branch .LBB1775_128
.LBB1775_125:                           ;   in Loop: Header=BB1775_128 Depth=1
	s_or_b32 exec_lo, exec_lo, s9
.LBB1775_126:                           ;   in Loop: Header=BB1775_128 Depth=1
	s_or_b32 exec_lo, exec_lo, s8
	ds_bpermute_b32 v8, v71, v5
	ds_bpermute_b32 v25, v71, v6
	v_cmp_eq_u16_sdwa s8, v7, v72 src0_sel:BYTE_0 src1_sel:DWORD
	v_subrev_nc_u32_e32 v23, 32, v23
	v_and_or_b32 v26, s8, v73, 0x80000000
	s_mov_b32 s8, 0
	v_ffbl_b32_e32 v26, v26
	v_cmp_lt_u32_e32 vcc_lo, v62, v26
	s_waitcnt lgkmcnt(1)
	v_add_nc_u32_e32 v8, v8, v5
	s_waitcnt lgkmcnt(0)
	v_add_nc_u32_e32 v25, v25, v6
	v_cndmask_b32_e32 v5, v5, v8, vcc_lo
	v_cndmask_b32_e32 v6, v6, v25, vcc_lo
	v_cmp_gt_u32_e32 vcc_lo, v75, v26
	ds_bpermute_b32 v8, v74, v5
	ds_bpermute_b32 v25, v74, v6
	s_waitcnt lgkmcnt(1)
	v_add_nc_u32_e32 v8, v5, v8
	s_waitcnt lgkmcnt(0)
	v_add_nc_u32_e32 v25, v6, v25
	v_cndmask_b32_e32 v5, v8, v5, vcc_lo
	v_cndmask_b32_e32 v6, v25, v6, vcc_lo
	v_cmp_gt_u32_e32 vcc_lo, v77, v26
	ds_bpermute_b32 v8, v76, v5
	ds_bpermute_b32 v25, v76, v6
	;; [unrolled: 9-line block ×3, first 2 shown]
	s_waitcnt lgkmcnt(1)
	v_add_nc_u32_e32 v8, v5, v8
	s_waitcnt lgkmcnt(0)
	v_add_nc_u32_e32 v25, v6, v25
	v_cndmask_b32_e32 v5, v8, v5, vcc_lo
	v_cndmask_b32_e32 v6, v25, v6, vcc_lo
	v_cmp_le_u32_e32 vcc_lo, v81, v26
	ds_bpermute_b32 v8, v80, v5
	ds_bpermute_b32 v25, v80, v6
	s_waitcnt lgkmcnt(1)
	v_cndmask_b32_e32 v8, 0, v8, vcc_lo
	s_waitcnt lgkmcnt(0)
	v_cndmask_b32_e32 v25, 0, v25, vcc_lo
	v_add3_u32 v5, v5, v3, v8
	v_add3_u32 v6, v6, v4, v25
.LBB1775_127:                           ;   in Loop: Header=BB1775_128 Depth=1
	s_and_b32 vcc_lo, exec_lo, s8
	s_cbranch_vccnz .LBB1775_133
.LBB1775_128:                           ; =>This Loop Header: Depth=1
                                        ;     Child Loop BB1775_131 Depth 2
	v_cmp_ne_u16_sdwa s8, v7, v72 src0_sel:BYTE_0 src1_sel:DWORD
	v_mov_b32_e32 v3, v5
	v_mov_b32_e32 v4, v6
                                        ; implicit-def: $vgpr7
                                        ; implicit-def: $vgpr5_vgpr6
	s_cmp_lg_u32 s8, exec_lo
	s_mov_b32 s8, -1
	s_cbranch_scc1 .LBB1775_127
; %bb.129:                              ;   in Loop: Header=BB1775_128 Depth=1
	v_lshlrev_b64 v[5:6], 4, v[23:24]
	v_add_co_u32 v25, vcc_lo, s4, v5
	v_add_co_ci_u32_e64 v26, null, s5, v6, vcc_lo
	;;#ASMSTART
	global_load_dwordx4 v[5:8], v[25:26] off glc dlc	
s_waitcnt vmcnt(0)
	;;#ASMEND
	v_cmp_eq_u16_sdwa s9, v7, v24 src0_sel:BYTE_0 src1_sel:DWORD
	s_and_saveexec_b32 s8, s9
	s_cbranch_execz .LBB1775_126
; %bb.130:                              ;   in Loop: Header=BB1775_128 Depth=1
	s_mov_b32 s9, 0
.LBB1775_131:                           ;   Parent Loop BB1775_128 Depth=1
                                        ; =>  This Inner Loop Header: Depth=2
	;;#ASMSTART
	global_load_dwordx4 v[5:8], v[25:26] off glc dlc	
s_waitcnt vmcnt(0)
	;;#ASMEND
	v_cmp_ne_u16_sdwa s10, v7, v24 src0_sel:BYTE_0 src1_sel:DWORD
	s_or_b32 s9, s10, s9
	s_andn2_b32 exec_lo, exec_lo, s9
	s_cbranch_execnz .LBB1775_131
	s_branch .LBB1775_125
.LBB1775_132:
                                        ; implicit-def: $vgpr23
                                        ; implicit-def: $vgpr3
                                        ; implicit-def: $vgpr24
	s_and_b32 vcc_lo, exec_lo, s3
	s_cbranch_vccnz .LBB1775_138
	s_branch .LBB1775_147
.LBB1775_133:
	s_and_saveexec_b32 s8, s2
	s_cbranch_execnz .LBB1775_375
; %bb.134:
	s_or_b32 exec_lo, exec_lo, s8
	s_and_saveexec_b32 s6, s2
	s_cbranch_execnz .LBB1775_376
.LBB1775_135:
	s_or_b32 exec_lo, exec_lo, s6
	v_cmp_eq_u32_e32 vcc_lo, 0, v0
	s_and_b32 exec_lo, exec_lo, vcc_lo
.LBB1775_136:
	v_mov_b32_e32 v1, 0
	ds_write_b64 v1, v[3:4] offset:56
.LBB1775_137:
	s_or_b32 exec_lo, exec_lo, s3
	v_mov_b32_e32 v1, 0
	s_waitcnt lgkmcnt(0)
	s_barrier
	buffer_gl0_inv
	v_cndmask_b32_e64 v7, v69, v21, s2
	ds_read_b64 v[5:6], v1 offset:56
	s_waitcnt lgkmcnt(0)
	s_barrier
	buffer_gl0_inv
	ds_read_b128 v[1:4], v1 offset:13312
	v_cndmask_b32_e64 v8, v70, v22, s2
	v_cmp_eq_u32_e32 vcc_lo, 0, v0
	v_add_nc_u32_e32 v7, v5, v7
	v_add_nc_u32_e32 v8, v6, v8
	v_cndmask_b32_e32 v24, v7, v5, vcc_lo
	v_cndmask_b32_e32 v23, v8, v6, vcc_lo
	s_branch .LBB1775_147
.LBB1775_138:
	s_waitcnt lgkmcnt(0)
	v_mov_b32_dpp v1, v67 row_shr:1 row_mask:0xf bank_mask:0xf
	v_mov_b32_dpp v2, v68 row_shr:1 row_mask:0xf bank_mask:0xf
	v_cmp_lt_u32_e32 vcc_lo, 3, v64
	v_add_nc_u32_e32 v1, v1, v67
	v_add_nc_u32_e32 v2, v2, v68
	v_cndmask_b32_e64 v1, v1, v67, s1
	v_cndmask_b32_e64 v2, v2, v68, s1
	s_mov_b32 s1, exec_lo
	v_mov_b32_dpp v3, v1 row_shr:2 row_mask:0xf bank_mask:0xf
	v_mov_b32_dpp v4, v2 row_shr:2 row_mask:0xf bank_mask:0xf
	v_add_nc_u32_e32 v3, v1, v3
	v_add_nc_u32_e32 v4, v2, v4
	v_cndmask_b32_e64 v1, v1, v3, s0
	v_cndmask_b32_e64 v2, v2, v4, s0
	v_mov_b32_dpp v3, v1 row_shr:4 row_mask:0xf bank_mask:0xf
	v_mov_b32_dpp v4, v2 row_shr:4 row_mask:0xf bank_mask:0xf
	v_add_nc_u32_e32 v3, v1, v3
	v_add_nc_u32_e32 v4, v2, v4
	v_cndmask_b32_e32 v3, v1, v3, vcc_lo
	v_cndmask_b32_e32 v2, v2, v4, vcc_lo
	v_cmp_lt_u32_e32 vcc_lo, 7, v64
	v_mov_b32_dpp v1, v3 row_shr:8 row_mask:0xf bank_mask:0xf
	v_mov_b32_dpp v4, v2 row_shr:8 row_mask:0xf bank_mask:0xf
	v_add_nc_u32_e32 v5, v3, v1
	v_add_nc_u32_e32 v1, v2, v4
	v_cndmask_b32_e32 v1, v2, v1, vcc_lo
	v_cndmask_b32_e32 v2, v3, v5, vcc_lo
	v_cmp_eq_u32_e32 vcc_lo, 0, v66
	ds_swizzle_b32 v3, v1 offset:swizzle(BROADCAST,32,15)
	ds_swizzle_b32 v4, v2 offset:swizzle(BROADCAST,32,15)
	s_waitcnt lgkmcnt(1)
	v_add_nc_u32_e32 v3, v1, v3
	s_waitcnt lgkmcnt(0)
	v_add_nc_u32_e32 v4, v2, v4
	v_cmpx_eq_u32_e64 v0, v65
	s_cbranch_execz .LBB1775_140
; %bb.139:
	v_cndmask_b32_e32 v5, v4, v2, vcc_lo
	v_cndmask_b32_e32 v6, v3, v1, vcc_lo
	v_lshlrev_b32_e32 v7, 3, v63
	ds_write_b64 v7, v[5:6]
.LBB1775_140:
	s_or_b32 exec_lo, exec_lo, s1
	s_mov_b32 s1, exec_lo
	s_waitcnt lgkmcnt(0)
	s_barrier
	buffer_gl0_inv
	v_cmpx_gt_u32_e32 8, v0
	s_cbranch_execz .LBB1775_142
; %bb.141:
	v_lshlrev_b32_e32 v7, 3, v0
	v_and_b32_e32 v22, 7, v62
	ds_read_b64 v[5:6], v7
	v_cmp_eq_u32_e64 s0, 0, v22
	s_waitcnt lgkmcnt(0)
	v_mov_b32_dpp v8, v5 row_shr:1 row_mask:0xf bank_mask:0xf
	v_mov_b32_dpp v21, v6 row_shr:1 row_mask:0xf bank_mask:0xf
	v_add_nc_u32_e32 v8, v8, v5
	v_add_nc_u32_e32 v21, v21, v6
	v_cndmask_b32_e64 v5, v8, v5, s0
	v_cndmask_b32_e64 v6, v21, v6, s0
	v_cmp_lt_u32_e64 s0, 1, v22
	v_mov_b32_dpp v8, v5 row_shr:2 row_mask:0xf bank_mask:0xf
	v_mov_b32_dpp v21, v6 row_shr:2 row_mask:0xf bank_mask:0xf
	v_add_nc_u32_e32 v8, v5, v8
	v_add_nc_u32_e32 v21, v6, v21
	v_cndmask_b32_e64 v5, v5, v8, s0
	v_cndmask_b32_e64 v6, v6, v21, s0
	v_cmp_lt_u32_e64 s0, 3, v22
	v_mov_b32_dpp v8, v5 row_shr:4 row_mask:0xf bank_mask:0xf
	v_mov_b32_dpp v21, v6 row_shr:4 row_mask:0xf bank_mask:0xf
	v_cndmask_b32_e64 v8, 0, v8, s0
	v_cndmask_b32_e64 v21, 0, v21, s0
	v_add_nc_u32_e32 v5, v8, v5
	v_add_nc_u32_e32 v6, v21, v6
	ds_write_b64 v7, v[5:6]
.LBB1775_142:
	s_or_b32 exec_lo, exec_lo, s1
	v_mov_b32_e32 v7, 0
	v_mov_b32_e32 v5, 0
	;; [unrolled: 1-line block ×3, first 2 shown]
	s_mov_b32 s1, exec_lo
	s_waitcnt lgkmcnt(0)
	s_barrier
	buffer_gl0_inv
	v_cmpx_lt_u32_e32 31, v0
; %bb.143:
	v_lshl_add_u32 v5, v63, 3, -8
	ds_read_b64 v[5:6], v5
; %bb.144:
	s_or_b32 exec_lo, exec_lo, s1
	v_sub_co_u32 v8, s0, v62, 1
	v_cndmask_b32_e32 v2, v4, v2, vcc_lo
	v_cndmask_b32_e32 v1, v3, v1, vcc_lo
	v_cmp_eq_u32_e32 vcc_lo, 0, v0
	v_cmp_gt_i32_e64 s1, 0, v8
	s_waitcnt lgkmcnt(0)
	v_add_nc_u32_e32 v2, v5, v2
	v_add_nc_u32_e32 v1, v6, v1
	v_cndmask_b32_e64 v4, v8, v62, s1
	v_lshlrev_b32_e32 v3, 2, v4
	ds_bpermute_b32 v8, v3, v2
	ds_bpermute_b32 v21, v3, v1
	ds_read_b64 v[1:2], v7 offset:56
	s_and_saveexec_b32 s1, vcc_lo
	s_cbranch_execz .LBB1775_146
; %bb.145:
	s_add_u32 s2, s4, 0x200
	s_addc_u32 s3, s5, 0
	v_mov_b32_e32 v3, 2
	v_mov_b32_e32 v23, s3
	;; [unrolled: 1-line block ×4, first 2 shown]
	s_waitcnt lgkmcnt(0)
	;;#ASMSTART
	global_store_dwordx4 v[22:23], v[1:4] off	
s_waitcnt vmcnt(0)
	;;#ASMEND
.LBB1775_146:
	s_or_b32 exec_lo, exec_lo, s1
	s_waitcnt lgkmcnt(1)
	v_cndmask_b32_e64 v3, v21, v6, s0
	v_cndmask_b32_e64 v5, v8, v5, s0
	v_mov_b32_e32 v4, 0
	s_waitcnt lgkmcnt(0)
	s_barrier
	v_cndmask_b32_e64 v23, v3, 0, vcc_lo
	v_cndmask_b32_e64 v24, v5, 0, vcc_lo
	v_mov_b32_e32 v3, 0
	buffer_gl0_inv
.LBB1775_147:
	v_add_nc_u32_e32 v61, v23, v61
	v_add_nc_u32_e32 v60, v24, v60
	s_waitcnt lgkmcnt(0)
	v_sub_nc_u32_e32 v23, v23, v4
	v_lshrrev_b32_e32 v26, 8, v36
	v_lshlrev_b32_e32 v66, 1, v1
	v_add_nc_u32_e32 v58, v61, v58
	v_sub_nc_u32_e32 v61, v61, v4
	v_add_nc_u32_e32 v57, v60, v57
	v_sub_nc_u32_e32 v24, v24, v3
	v_sub_nc_u32_e32 v60, v60, v3
	v_add_nc_u32_e32 v23, v23, v1
	v_add_nc_u32_e32 v61, v61, v1
	v_and_b32_e32 v26, 1, v26
	v_mov_b32_e32 v68, 1
	v_add3_u32 v29, v66, v2, v29
	v_add_nc_u32_e32 v73, v24, v23
	v_add_nc_u32_e32 v72, v61, v60
	v_cmp_eq_u32_e32 vcc_lo, 1, v26
	v_and_b32_sdwa v71, v68, v36 dst_sel:DWORD dst_unused:UNUSED_PAD src0_sel:DWORD src1_sel:WORD_1
	v_lshrrev_b32_e32 v25, 8, v30
	v_sub_nc_u32_e32 v73, v29, v73
	v_sub_nc_u32_e32 v72, v29, v72
	v_and_b32_e32 v67, 1, v30
	v_add_nc_u32_e32 v62, v58, v43
	v_and_b32_e32 v25, 1, v25
	v_cndmask_b32_e32 v23, v73, v23, vcc_lo
	v_add_nc_u32_e32 v72, 1, v72
	v_cmp_eq_u32_e32 vcc_lo, 1, v71
	v_sub_nc_u32_e32 v58, v58, v4
	v_add_nc_u32_e32 v59, v57, v59
	v_sub_nc_u32_e32 v57, v57, v3
	v_add_co_u32 v5, s0, s28, v3
	v_cndmask_b32_e32 v26, v72, v61, vcc_lo
	v_cmp_eq_u32_e32 vcc_lo, 1, v67
	v_add_nc_u32_e32 v58, v58, v1
	v_add_co_ci_u32_e64 v6, null, s29, 0, s0
	v_sub_co_u32 v64, s0, s30, v1
	v_cndmask_b32_e32 v67, v23, v24, vcc_lo
	v_cmp_eq_u32_e32 vcc_lo, 1, v25
	v_sub_co_ci_u32_e64 v65, null, s31, 0, s0
	v_and_b32_e32 v43, 1, v43
	v_add_nc_u32_e32 v56, v62, v56
	v_cndmask_b32_e32 v25, v26, v60, vcc_lo
	v_add_nc_u32_e32 v26, v58, v57
	v_add_co_u32 v23, vcc_lo, v64, v4
	v_add_co_ci_u32_e64 v24, null, 0, v65, vcc_lo
	v_sub_nc_u32_e32 v26, v29, v26
	v_sub_nc_u32_e32 v62, v62, v4
	v_and_b32_sdwa v30, v68, v30 dst_sel:DWORD dst_unused:UNUSED_PAD src0_sel:DWORD src1_sel:WORD_1
	v_cmp_eq_u32_e32 vcc_lo, 1, v43
	v_add_nc_u32_e32 v63, v59, v42
	v_add_nc_u32_e32 v26, 2, v26
	v_sub_nc_u32_e32 v59, v59, v3
	v_add_nc_u32_e32 v62, v62, v1
	v_add_nc_u32_e32 v55, v56, v55
	v_lshlrev_b32_e32 v60, 2, v67
	v_cndmask_b32_e32 v26, v26, v58, vcc_lo
	v_cmp_eq_u32_e32 vcc_lo, 1, v30
	v_lshlrev_b32_e32 v25, 2, v25
	v_sub_nc_u32_e32 v56, v56, v4
	v_add_nc_u32_e32 v43, v59, v62
	v_sub_nc_u32_e32 v58, v63, v3
	v_cndmask_b32_e32 v26, v26, v57, vcc_lo
	ds_write_b32 v60, v19
	v_add_nc_u32_e32 v56, v56, v1
	v_sub_nc_u32_e32 v19, v29, v43
	ds_write_b32 v25, v20
	v_lshlrev_b32_e32 v25, 2, v26
	v_and_b32_e32 v26, 1, v31
	v_lshrrev_b32_e32 v22, 8, v31
	v_add_nc_u32_e32 v54, v63, v54
	v_add_nc_u32_e32 v20, v58, v56
	;; [unrolled: 1-line block ×3, first 2 shown]
	v_and_b32_e32 v30, 1, v42
	v_sub_nc_u32_e32 v42, v55, v4
	v_cmp_eq_u32_e32 vcc_lo, 1, v26
	v_sub_nc_u32_e32 v20, v29, v20
	v_and_b32_e32 v22, 1, v22
	v_sub_nc_u32_e32 v26, v54, v3
	v_add_nc_u32_e32 v42, v42, v1
	v_cndmask_b32_e32 v19, v19, v62, vcc_lo
	v_cmp_eq_u32_e32 vcc_lo, 1, v30
	v_add_nc_u32_e32 v20, 4, v20
	v_and_b32_e32 v30, 1, v32
	v_add_nc_u32_e32 v43, v26, v42
	v_lshrrev_b32_e32 v21, 8, v32
	v_cndmask_b32_e32 v19, v19, v59, vcc_lo
	v_cmp_eq_u32_e32 vcc_lo, 1, v22
	v_add_nc_u32_e32 v53, v55, v53
	ds_write_b32 v25, v17
	v_and_b32_sdwa v25, v68, v31 dst_sel:DWORD dst_unused:UNUSED_PAD src0_sel:DWORD src1_sel:WORD_1
	v_lshlrev_b32_e32 v17, 2, v19
	v_cndmask_b32_e32 v20, v20, v56, vcc_lo
	v_sub_nc_u32_e32 v19, v29, v43
	v_cmp_eq_u32_e32 vcc_lo, 1, v30
	v_add_nc_u32_e32 v52, v54, v52
	v_add_nc_u32_e32 v69, v53, v41
	v_and_b32_e32 v21, 1, v21
	v_sub_nc_u32_e32 v22, v53, v4
	v_cndmask_b32_e32 v20, v20, v58, vcc_lo
	v_add_nc_u32_e32 v19, 5, v19
	v_cmp_eq_u32_e32 vcc_lo, 1, v25
	v_add_nc_u32_e32 v46, v52, v46
	v_sub_nc_u32_e32 v30, v52, v3
	v_sub_nc_u32_e32 v31, v69, v4
	v_add_nc_u32_e32 v22, v22, v1
	v_cndmask_b32_e32 v19, v19, v42, vcc_lo
	v_cmp_eq_u32_e32 vcc_lo, 1, v21
	v_sub_nc_u32_e32 v25, v46, v3
	v_add_nc_u32_e32 v31, v31, v1
	v_lshlrev_b32_e32 v20, 2, v20
	v_add_nc_u32_e32 v42, v30, v22
	v_cndmask_b32_e32 v19, v19, v26, vcc_lo
	ds_write_b32 v17, v18
	v_add_nc_u32_e32 v21, v25, v31
	ds_write_b32 v20, v15
	v_sub_nc_u32_e32 v17, v29, v42
	v_lshlrev_b32_e32 v15, 2, v19
	v_and_b32_e32 v19, 1, v41
	v_sub_nc_u32_e32 v18, v29, v21
	v_and_b32_e32 v21, 1, v33
	v_add_nc_u32_e32 v17, 6, v17
	v_add_nc_u32_e32 v51, v69, v51
	v_cmp_eq_u32_e32 vcc_lo, 1, v19
	v_and_b32_sdwa v20, v68, v32 dst_sel:DWORD dst_unused:UNUSED_PAD src0_sel:DWORD src1_sel:WORD_1
	v_add_nc_u32_e32 v18, 7, v18
	v_add_nc_u32_e32 v70, v46, v40
	v_sub_nc_u32_e32 v19, v51, v4
	v_cndmask_b32_e32 v17, v17, v22, vcc_lo
	v_cmp_eq_u32_e32 vcc_lo, 1, v21
	v_and_b32_e32 v22, 1, v40
	v_add_nc_u32_e32 v50, v51, v50
	v_sub_nc_u32_e32 v21, v70, v3
	v_add_nc_u32_e32 v19, v19, v1
	v_cndmask_b32_e32 v18, v18, v31, vcc_lo
	v_cmp_eq_u32_e32 vcc_lo, 1, v20
	v_lshrrev_b32_e32 v8, 8, v33
	v_add_nc_u32_e32 v49, v70, v49
	v_add_nc_u32_e32 v20, v21, v19
	ds_write_b32 v15, v16
	v_cndmask_b32_e32 v17, v17, v30, vcc_lo
	v_cmp_eq_u32_e32 vcc_lo, 1, v22
	v_sub_nc_u32_e32 v15, v50, v4
	v_add_nc_u32_e32 v48, v50, v48
	v_and_b32_e32 v8, 1, v8
	v_lshlrev_b32_e32 v16, 2, v17
	v_cndmask_b32_e32 v18, v18, v25, vcc_lo
	v_add_nc_u32_e32 v15, v15, v1
	v_add_nc_u32_e32 v47, v49, v47
	v_cmp_eq_u32_e32 vcc_lo, 1, v8
	v_lshrrev_b32_e32 v7, 8, v35
	v_lshlrev_b32_e32 v17, 2, v18
	v_sub_nc_u32_e32 v18, v29, v20
	v_sub_nc_u32_e32 v20, v49, v3
	ds_write_b32 v16, v13
	ds_write_b32 v17, v14
	v_and_b32_e32 v16, 1, v35
	v_add_nc_u32_e32 v13, 8, v18
	v_add_nc_u32_e32 v14, v20, v15
	v_sub_nc_u32_e32 v17, v48, v4
	v_add_nc_u32_e32 v74, v48, v39
	v_add_nc_u32_e32 v45, v47, v45
	v_cndmask_b32_e32 v8, v13, v19, vcc_lo
	v_sub_nc_u32_e32 v13, v29, v14
	v_sub_nc_u32_e32 v14, v47, v3
	v_add_nc_u32_e32 v17, v17, v1
	v_cmp_eq_u32_e32 vcc_lo, 1, v16
	v_and_b32_sdwa v16, v68, v33 dst_sel:DWORD dst_unused:UNUSED_PAD src0_sel:DWORD src1_sel:WORD_1
	v_add_nc_u32_e32 v44, v74, v44
	v_add_nc_u32_e32 v13, 9, v13
	v_and_b32_e32 v7, 1, v7
	v_cndmask_b32_e32 v8, v8, v21, vcc_lo
	v_add_nc_u32_e32 v18, v14, v17
	v_sub_nc_u32_e32 v19, v74, v4
	v_cmp_eq_u32_e32 vcc_lo, 1, v16
	v_add_nc_u32_e32 v61, v45, v38
	v_and_b32_e32 v25, 1, v37
	v_sub_nc_u32_e32 v16, v29, v18
	v_sub_nc_u32_e32 v18, v45, v3
	v_cndmask_b32_e32 v13, v13, v15, vcc_lo
	v_sub_nc_u32_e32 v15, v44, v4
	v_add_nc_u32_e32 v19, v19, v1
	v_cmp_eq_u32_e32 vcc_lo, 1, v7
	v_sub_nc_u32_e32 v3, v61, v3
	v_add_nc_u32_e32 v16, 10, v16
	v_add_nc_u32_e32 v15, v15, v1
	v_and_b32_sdwa v22, v68, v35 dst_sel:DWORD dst_unused:UNUSED_PAD src0_sel:DWORD src1_sel:WORD_1
	v_cndmask_b32_e32 v7, v13, v20, vcc_lo
	v_add_nc_u32_e32 v13, v18, v19
	v_and_b32_e32 v20, 1, v39
	v_add_nc_u32_e32 v21, v3, v15
	v_lshlrev_b32_e32 v8, 2, v8
	v_lshlrev_b32_e32 v7, 2, v7
	v_sub_nc_u32_e32 v13, v29, v13
	v_cmp_eq_u32_e32 vcc_lo, 1, v20
	v_and_b32_e32 v20, 1, v34
	v_add_nc_u32_e32 v13, 11, v13
	v_cndmask_b32_e32 v16, v16, v17, vcc_lo
	v_sub_nc_u32_e32 v17, v29, v21
	v_cmp_eq_u32_e32 vcc_lo, 1, v20
	v_and_b32_e32 v21, 1, v38
	v_add_nc_u32_e32 v17, 12, v17
	v_cndmask_b32_e32 v13, v13, v19, vcc_lo
	v_cmp_eq_u32_e32 vcc_lo, 1, v25
	v_and_b32_e32 v19, 1, v36
	v_cndmask_b32_e32 v15, v17, v15, vcc_lo
	v_cmp_eq_u32_e32 vcc_lo, 1, v22
	v_cndmask_b32_e32 v14, v16, v14, vcc_lo
	v_cmp_eq_u32_e32 vcc_lo, 1, v21
	v_lshlrev_b32_e32 v14, 2, v14
	v_cndmask_b32_e32 v13, v13, v18, vcc_lo
	v_cmp_eq_u32_e32 vcc_lo, 1, v19
	v_lshlrev_b32_e32 v13, 2, v13
	v_cndmask_b32_e32 v3, v15, v3, vcc_lo
	v_lshlrev_b32_e32 v3, 2, v3
	ds_write_b32 v8, v11
	ds_write_b32 v7, v12
	ds_write_b32 v14, v9
	ds_write_b32 v13, v10
	ds_write_b32 v3, v28
	v_add_co_u32 v3, s0, v2, v66
	v_add_co_ci_u32_e64 v7, null, 0, 0, s0
	s_add_u32 s0, s34, s42
	v_add_co_u32 v3, vcc_lo, v3, v23
	v_add_co_ci_u32_e64 v7, null, v7, v24, vcc_lo
	s_addc_u32 s1, s35, 0
	v_add_co_u32 v3, vcc_lo, v3, v5
	v_add_co_ci_u32_e64 v9, null, v7, v6, vcc_lo
	v_lshlrev_b64 v[7:8], 2, v[23:24]
	v_sub_co_u32 v3, vcc_lo, s0, v3
	v_sub_co_ci_u32_e64 v11, null, s1, v9, vcc_lo
	v_lshlrev_b64 v[9:10], 2, v[5:6]
	v_add_co_u32 v7, vcc_lo, s38, v7
	v_add_co_ci_u32_e64 v8, null, s39, v8, vcc_lo
	v_cmp_ne_u32_e32 vcc_lo, 1, v27
	v_add_co_u32 v9, s0, s36, v9
	v_add_nc_u32_e32 v12, v1, v2
	v_add_co_ci_u32_e64 v10, null, s37, v10, s0
	s_and_b32 vcc_lo, exec_lo, vcc_lo
	s_mov_b32 s0, -1
	s_waitcnt lgkmcnt(0)
	s_barrier
	buffer_gl0_inv
	s_cbranch_vccz .LBB1775_151
; %bb.148:
	s_and_b32 vcc_lo, exec_lo, s0
	s_cbranch_vccnz .LBB1775_256
.LBB1775_149:
	v_cmp_eq_u32_e32 vcc_lo, 0, v0
	s_and_b32 s0, vcc_lo, s33
	s_and_saveexec_b32 s1, s0
	s_cbranch_execnz .LBB1775_374
.LBB1775_150:
	s_endpgm
.LBB1775_151:
	s_mov_b32 s0, exec_lo
	v_cmpx_ge_u32_e64 v0, v1
	s_xor_b32 s0, exec_lo, s0
	s_cbranch_execz .LBB1775_157
; %bb.152:
	s_mov_b32 s1, exec_lo
	v_cmpx_ge_u32_e64 v0, v12
	s_xor_b32 s1, exec_lo, s1
	s_cbranch_execz .LBB1775_154
; %bb.153:
	v_lshlrev_b32_e32 v13, 2, v0
	ds_read_b32 v15, v13
	v_add_co_u32 v13, vcc_lo, v3, v0
	v_add_co_ci_u32_e64 v14, null, 0, v11, vcc_lo
	v_lshlrev_b64 v[13:14], 2, v[13:14]
	v_sub_co_u32 v13, vcc_lo, s26, v13
	v_sub_co_ci_u32_e64 v14, null, s27, v14, vcc_lo
	s_waitcnt lgkmcnt(0)
	global_store_dword v[13:14], v15, off offset:-4
.LBB1775_154:
	s_andn2_saveexec_b32 s1, s1
	s_cbranch_execz .LBB1775_156
; %bb.155:
	v_lshlrev_b32_e32 v13, 2, v0
	v_readfirstlane_b32 s2, v7
	v_readfirstlane_b32 s3, v8
	ds_read_b32 v14, v13
	s_waitcnt lgkmcnt(0)
	global_store_dword v13, v14, s[2:3]
.LBB1775_156:
	s_or_b32 exec_lo, exec_lo, s1
.LBB1775_157:
	s_andn2_saveexec_b32 s0, s0
	s_cbranch_execz .LBB1775_159
; %bb.158:
	v_lshlrev_b32_e32 v13, 2, v0
	v_readfirstlane_b32 s2, v9
	v_readfirstlane_b32 s3, v10
	ds_read_b32 v14, v13
	s_waitcnt lgkmcnt(0)
	global_store_dword v13, v14, s[2:3]
.LBB1775_159:
	s_or_b32 exec_lo, exec_lo, s0
	v_or_b32_e32 v13, 0x100, v0
	s_mov_b32 s0, exec_lo
	v_cmpx_ge_u32_e64 v13, v1
	s_xor_b32 s0, exec_lo, s0
	s_cbranch_execz .LBB1775_165
; %bb.160:
	s_mov_b32 s1, exec_lo
	v_cmpx_ge_u32_e64 v13, v12
	s_xor_b32 s1, exec_lo, s1
	s_cbranch_execz .LBB1775_162
; %bb.161:
	v_lshlrev_b32_e32 v13, 2, v0
	ds_read_b32 v15, v13 offset:1024
	v_add_co_u32 v13, vcc_lo, v3, v0
	v_add_co_ci_u32_e64 v14, null, 0, v11, vcc_lo
	v_lshlrev_b64 v[13:14], 2, v[13:14]
	v_sub_co_u32 v13, vcc_lo, s26, v13
	v_sub_co_ci_u32_e64 v14, null, s27, v14, vcc_lo
	s_waitcnt lgkmcnt(0)
	global_store_dword v[13:14], v15, off offset:-1028
.LBB1775_162:
	s_andn2_saveexec_b32 s1, s1
	s_cbranch_execz .LBB1775_164
; %bb.163:
	v_lshlrev_b32_e32 v13, 2, v0
	v_readfirstlane_b32 s2, v7
	v_readfirstlane_b32 s3, v8
	ds_read_b32 v14, v13 offset:1024
	s_waitcnt lgkmcnt(0)
	global_store_dword v13, v14, s[2:3] offset:1024
.LBB1775_164:
	s_or_b32 exec_lo, exec_lo, s1
.LBB1775_165:
	s_andn2_saveexec_b32 s0, s0
	s_cbranch_execz .LBB1775_167
; %bb.166:
	v_lshlrev_b32_e32 v13, 2, v0
	v_readfirstlane_b32 s2, v9
	v_readfirstlane_b32 s3, v10
	ds_read_b32 v14, v13 offset:1024
	s_waitcnt lgkmcnt(0)
	global_store_dword v13, v14, s[2:3] offset:1024
.LBB1775_167:
	s_or_b32 exec_lo, exec_lo, s0
	v_or_b32_e32 v13, 0x200, v0
	s_mov_b32 s0, exec_lo
	v_cmpx_ge_u32_e64 v13, v1
	s_xor_b32 s0, exec_lo, s0
	s_cbranch_execz .LBB1775_173
; %bb.168:
	s_mov_b32 s1, exec_lo
	v_cmpx_ge_u32_e64 v13, v12
	s_xor_b32 s1, exec_lo, s1
	s_cbranch_execz .LBB1775_170
; %bb.169:
	v_lshlrev_b32_e32 v15, 2, v0
	v_add_co_u32 v13, vcc_lo, v3, v0
	v_add_co_ci_u32_e64 v14, null, 0, v11, vcc_lo
	ds_read_b32 v15, v15 offset:2048
	v_lshlrev_b64 v[13:14], 2, v[13:14]
	v_sub_co_u32 v13, vcc_lo, s26, v13
	v_sub_co_ci_u32_e64 v14, null, s27, v14, vcc_lo
	v_add_co_u32 v13, vcc_lo, 0xfffff800, v13
	v_add_co_ci_u32_e64 v14, null, -1, v14, vcc_lo
	s_waitcnt lgkmcnt(0)
	global_store_dword v[13:14], v15, off offset:-4
                                        ; implicit-def: $vgpr13
.LBB1775_170:
	s_andn2_saveexec_b32 s1, s1
	s_cbranch_execz .LBB1775_172
; %bb.171:
	v_lshlrev_b32_e32 v14, 2, v0
	v_lshlrev_b32_e32 v13, 2, v13
	v_readfirstlane_b32 s2, v7
	v_readfirstlane_b32 s3, v8
	ds_read_b32 v14, v14 offset:2048
	s_waitcnt lgkmcnt(0)
	global_store_dword v13, v14, s[2:3]
.LBB1775_172:
	s_or_b32 exec_lo, exec_lo, s1
                                        ; implicit-def: $vgpr13
.LBB1775_173:
	s_andn2_saveexec_b32 s0, s0
	s_cbranch_execz .LBB1775_175
; %bb.174:
	v_lshlrev_b32_e32 v14, 2, v0
	v_lshlrev_b32_e32 v13, 2, v13
	v_readfirstlane_b32 s2, v9
	v_readfirstlane_b32 s3, v10
	ds_read_b32 v14, v14 offset:2048
	s_waitcnt lgkmcnt(0)
	global_store_dword v13, v14, s[2:3]
.LBB1775_175:
	s_or_b32 exec_lo, exec_lo, s0
	v_or_b32_e32 v13, 0x300, v0
	s_mov_b32 s0, exec_lo
	v_cmpx_ge_u32_e64 v13, v1
	s_xor_b32 s0, exec_lo, s0
	s_cbranch_execz .LBB1775_181
; %bb.176:
	s_mov_b32 s1, exec_lo
	v_cmpx_ge_u32_e64 v13, v12
	s_xor_b32 s1, exec_lo, s1
	s_cbranch_execz .LBB1775_178
; %bb.177:
	v_lshlrev_b32_e32 v14, 2, v0
	v_add_co_u32 v13, vcc_lo, v3, v13
	ds_read_b32 v15, v14 offset:3072
	v_add_co_ci_u32_e64 v14, null, 0, v11, vcc_lo
	v_lshlrev_b64 v[13:14], 2, v[13:14]
	v_sub_co_u32 v13, vcc_lo, s26, v13
	v_sub_co_ci_u32_e64 v14, null, s27, v14, vcc_lo
	s_waitcnt lgkmcnt(0)
	global_store_dword v[13:14], v15, off offset:-4
                                        ; implicit-def: $vgpr13
.LBB1775_178:
	s_andn2_saveexec_b32 s1, s1
	s_cbranch_execz .LBB1775_180
; %bb.179:
	v_lshlrev_b32_e32 v14, 2, v0
	v_lshlrev_b32_e32 v13, 2, v13
	v_readfirstlane_b32 s2, v7
	v_readfirstlane_b32 s3, v8
	ds_read_b32 v14, v14 offset:3072
	s_waitcnt lgkmcnt(0)
	global_store_dword v13, v14, s[2:3]
.LBB1775_180:
	s_or_b32 exec_lo, exec_lo, s1
                                        ; implicit-def: $vgpr13
.LBB1775_181:
	s_andn2_saveexec_b32 s0, s0
	s_cbranch_execz .LBB1775_183
; %bb.182:
	v_lshlrev_b32_e32 v14, 2, v0
	v_lshlrev_b32_e32 v13, 2, v13
	v_readfirstlane_b32 s2, v9
	v_readfirstlane_b32 s3, v10
	ds_read_b32 v14, v14 offset:3072
	s_waitcnt lgkmcnt(0)
	global_store_dword v13, v14, s[2:3]
.LBB1775_183:
	s_or_b32 exec_lo, exec_lo, s0
	v_or_b32_e32 v13, 0x400, v0
	s_mov_b32 s0, exec_lo
	v_cmpx_ge_u32_e64 v13, v1
	s_xor_b32 s0, exec_lo, s0
	s_cbranch_execz .LBB1775_189
; %bb.184:
	s_mov_b32 s1, exec_lo
	v_cmpx_ge_u32_e64 v13, v12
	s_xor_b32 s1, exec_lo, s1
	s_cbranch_execz .LBB1775_186
; %bb.185:
	v_lshlrev_b32_e32 v14, 2, v0
	v_add_co_u32 v13, vcc_lo, v3, v13
	ds_read_b32 v15, v14 offset:4096
	v_add_co_ci_u32_e64 v14, null, 0, v11, vcc_lo
	v_lshlrev_b64 v[13:14], 2, v[13:14]
	v_sub_co_u32 v13, vcc_lo, s26, v13
	v_sub_co_ci_u32_e64 v14, null, s27, v14, vcc_lo
	s_waitcnt lgkmcnt(0)
	global_store_dword v[13:14], v15, off offset:-4
                                        ; implicit-def: $vgpr13
.LBB1775_186:
	s_andn2_saveexec_b32 s1, s1
	s_cbranch_execz .LBB1775_188
; %bb.187:
	v_lshlrev_b32_e32 v14, 2, v0
	v_lshlrev_b32_e32 v13, 2, v13
	v_readfirstlane_b32 s2, v7
	v_readfirstlane_b32 s3, v8
	ds_read_b32 v14, v14 offset:4096
	s_waitcnt lgkmcnt(0)
	global_store_dword v13, v14, s[2:3]
.LBB1775_188:
	s_or_b32 exec_lo, exec_lo, s1
                                        ; implicit-def: $vgpr13
.LBB1775_189:
	s_andn2_saveexec_b32 s0, s0
	s_cbranch_execz .LBB1775_191
; %bb.190:
	v_lshlrev_b32_e32 v14, 2, v0
	v_lshlrev_b32_e32 v13, 2, v13
	v_readfirstlane_b32 s2, v9
	v_readfirstlane_b32 s3, v10
	ds_read_b32 v14, v14 offset:4096
	s_waitcnt lgkmcnt(0)
	global_store_dword v13, v14, s[2:3]
.LBB1775_191:
	s_or_b32 exec_lo, exec_lo, s0
	v_or_b32_e32 v13, 0x500, v0
	s_mov_b32 s0, exec_lo
	v_cmpx_ge_u32_e64 v13, v1
	s_xor_b32 s0, exec_lo, s0
	s_cbranch_execz .LBB1775_197
; %bb.192:
	s_mov_b32 s1, exec_lo
	v_cmpx_ge_u32_e64 v13, v12
	s_xor_b32 s1, exec_lo, s1
	s_cbranch_execz .LBB1775_194
; %bb.193:
	v_lshlrev_b32_e32 v14, 2, v0
	v_add_co_u32 v13, vcc_lo, v3, v13
	ds_read_b32 v15, v14 offset:5120
	v_add_co_ci_u32_e64 v14, null, 0, v11, vcc_lo
	v_lshlrev_b64 v[13:14], 2, v[13:14]
	v_sub_co_u32 v13, vcc_lo, s26, v13
	v_sub_co_ci_u32_e64 v14, null, s27, v14, vcc_lo
	s_waitcnt lgkmcnt(0)
	global_store_dword v[13:14], v15, off offset:-4
                                        ; implicit-def: $vgpr13
.LBB1775_194:
	s_andn2_saveexec_b32 s1, s1
	s_cbranch_execz .LBB1775_196
; %bb.195:
	v_lshlrev_b32_e32 v14, 2, v0
	v_lshlrev_b32_e32 v13, 2, v13
	v_readfirstlane_b32 s2, v7
	v_readfirstlane_b32 s3, v8
	ds_read_b32 v14, v14 offset:5120
	s_waitcnt lgkmcnt(0)
	global_store_dword v13, v14, s[2:3]
.LBB1775_196:
	s_or_b32 exec_lo, exec_lo, s1
                                        ; implicit-def: $vgpr13
.LBB1775_197:
	s_andn2_saveexec_b32 s0, s0
	s_cbranch_execz .LBB1775_199
; %bb.198:
	v_lshlrev_b32_e32 v14, 2, v0
	v_lshlrev_b32_e32 v13, 2, v13
	v_readfirstlane_b32 s2, v9
	v_readfirstlane_b32 s3, v10
	ds_read_b32 v14, v14 offset:5120
	s_waitcnt lgkmcnt(0)
	global_store_dword v13, v14, s[2:3]
.LBB1775_199:
	s_or_b32 exec_lo, exec_lo, s0
	v_or_b32_e32 v13, 0x600, v0
	s_mov_b32 s0, exec_lo
	v_cmpx_ge_u32_e64 v13, v1
	s_xor_b32 s0, exec_lo, s0
	s_cbranch_execz .LBB1775_205
; %bb.200:
	s_mov_b32 s1, exec_lo
	v_cmpx_ge_u32_e64 v13, v12
	s_xor_b32 s1, exec_lo, s1
	s_cbranch_execz .LBB1775_202
; %bb.201:
	v_lshlrev_b32_e32 v14, 2, v0
	v_add_co_u32 v13, vcc_lo, v3, v13
	ds_read_b32 v15, v14 offset:6144
	v_add_co_ci_u32_e64 v14, null, 0, v11, vcc_lo
	v_lshlrev_b64 v[13:14], 2, v[13:14]
	v_sub_co_u32 v13, vcc_lo, s26, v13
	v_sub_co_ci_u32_e64 v14, null, s27, v14, vcc_lo
	s_waitcnt lgkmcnt(0)
	global_store_dword v[13:14], v15, off offset:-4
                                        ; implicit-def: $vgpr13
.LBB1775_202:
	s_andn2_saveexec_b32 s1, s1
	s_cbranch_execz .LBB1775_204
; %bb.203:
	v_lshlrev_b32_e32 v14, 2, v0
	v_lshlrev_b32_e32 v13, 2, v13
	v_readfirstlane_b32 s2, v7
	v_readfirstlane_b32 s3, v8
	ds_read_b32 v14, v14 offset:6144
	s_waitcnt lgkmcnt(0)
	global_store_dword v13, v14, s[2:3]
.LBB1775_204:
	s_or_b32 exec_lo, exec_lo, s1
                                        ; implicit-def: $vgpr13
.LBB1775_205:
	s_andn2_saveexec_b32 s0, s0
	s_cbranch_execz .LBB1775_207
; %bb.206:
	v_lshlrev_b32_e32 v14, 2, v0
	v_lshlrev_b32_e32 v13, 2, v13
	v_readfirstlane_b32 s2, v9
	v_readfirstlane_b32 s3, v10
	ds_read_b32 v14, v14 offset:6144
	s_waitcnt lgkmcnt(0)
	global_store_dword v13, v14, s[2:3]
.LBB1775_207:
	s_or_b32 exec_lo, exec_lo, s0
	v_or_b32_e32 v13, 0x700, v0
	s_mov_b32 s0, exec_lo
	v_cmpx_ge_u32_e64 v13, v1
	s_xor_b32 s0, exec_lo, s0
	s_cbranch_execz .LBB1775_213
; %bb.208:
	s_mov_b32 s1, exec_lo
	v_cmpx_ge_u32_e64 v13, v12
	s_xor_b32 s1, exec_lo, s1
	s_cbranch_execz .LBB1775_210
; %bb.209:
	v_lshlrev_b32_e32 v14, 2, v0
	v_add_co_u32 v13, vcc_lo, v3, v13
	ds_read_b32 v15, v14 offset:7168
	v_add_co_ci_u32_e64 v14, null, 0, v11, vcc_lo
	v_lshlrev_b64 v[13:14], 2, v[13:14]
	v_sub_co_u32 v13, vcc_lo, s26, v13
	v_sub_co_ci_u32_e64 v14, null, s27, v14, vcc_lo
	s_waitcnt lgkmcnt(0)
	global_store_dword v[13:14], v15, off offset:-4
                                        ; implicit-def: $vgpr13
.LBB1775_210:
	s_andn2_saveexec_b32 s1, s1
	s_cbranch_execz .LBB1775_212
; %bb.211:
	v_lshlrev_b32_e32 v14, 2, v0
	v_lshlrev_b32_e32 v13, 2, v13
	v_readfirstlane_b32 s2, v7
	v_readfirstlane_b32 s3, v8
	ds_read_b32 v14, v14 offset:7168
	s_waitcnt lgkmcnt(0)
	global_store_dword v13, v14, s[2:3]
.LBB1775_212:
	s_or_b32 exec_lo, exec_lo, s1
                                        ; implicit-def: $vgpr13
.LBB1775_213:
	s_andn2_saveexec_b32 s0, s0
	s_cbranch_execz .LBB1775_215
; %bb.214:
	v_lshlrev_b32_e32 v14, 2, v0
	v_lshlrev_b32_e32 v13, 2, v13
	v_readfirstlane_b32 s2, v9
	v_readfirstlane_b32 s3, v10
	ds_read_b32 v14, v14 offset:7168
	s_waitcnt lgkmcnt(0)
	global_store_dword v13, v14, s[2:3]
.LBB1775_215:
	s_or_b32 exec_lo, exec_lo, s0
	v_or_b32_e32 v13, 0x800, v0
	s_mov_b32 s0, exec_lo
	v_cmpx_ge_u32_e64 v13, v1
	s_xor_b32 s0, exec_lo, s0
	s_cbranch_execz .LBB1775_221
; %bb.216:
	s_mov_b32 s1, exec_lo
	v_cmpx_ge_u32_e64 v13, v12
	s_xor_b32 s1, exec_lo, s1
	s_cbranch_execz .LBB1775_218
; %bb.217:
	v_lshlrev_b32_e32 v14, 2, v0
	v_add_co_u32 v13, vcc_lo, v3, v13
	ds_read_b32 v15, v14 offset:8192
	v_add_co_ci_u32_e64 v14, null, 0, v11, vcc_lo
	v_lshlrev_b64 v[13:14], 2, v[13:14]
	v_sub_co_u32 v13, vcc_lo, s26, v13
	v_sub_co_ci_u32_e64 v14, null, s27, v14, vcc_lo
	s_waitcnt lgkmcnt(0)
	global_store_dword v[13:14], v15, off offset:-4
                                        ; implicit-def: $vgpr13
.LBB1775_218:
	s_andn2_saveexec_b32 s1, s1
	s_cbranch_execz .LBB1775_220
; %bb.219:
	v_lshlrev_b32_e32 v14, 2, v0
	v_lshlrev_b32_e32 v13, 2, v13
	v_readfirstlane_b32 s2, v7
	v_readfirstlane_b32 s3, v8
	ds_read_b32 v14, v14 offset:8192
	s_waitcnt lgkmcnt(0)
	global_store_dword v13, v14, s[2:3]
.LBB1775_220:
	s_or_b32 exec_lo, exec_lo, s1
                                        ; implicit-def: $vgpr13
.LBB1775_221:
	s_andn2_saveexec_b32 s0, s0
	s_cbranch_execz .LBB1775_223
; %bb.222:
	v_lshlrev_b32_e32 v14, 2, v0
	v_lshlrev_b32_e32 v13, 2, v13
	v_readfirstlane_b32 s2, v9
	v_readfirstlane_b32 s3, v10
	ds_read_b32 v14, v14 offset:8192
	s_waitcnt lgkmcnt(0)
	global_store_dword v13, v14, s[2:3]
.LBB1775_223:
	s_or_b32 exec_lo, exec_lo, s0
	v_or_b32_e32 v13, 0x900, v0
	s_mov_b32 s0, exec_lo
	v_cmpx_ge_u32_e64 v13, v1
	s_xor_b32 s0, exec_lo, s0
	s_cbranch_execz .LBB1775_229
; %bb.224:
	s_mov_b32 s1, exec_lo
	v_cmpx_ge_u32_e64 v13, v12
	s_xor_b32 s1, exec_lo, s1
	s_cbranch_execz .LBB1775_226
; %bb.225:
	v_lshlrev_b32_e32 v14, 2, v0
	v_add_co_u32 v13, vcc_lo, v3, v13
	ds_read_b32 v15, v14 offset:9216
	v_add_co_ci_u32_e64 v14, null, 0, v11, vcc_lo
	v_lshlrev_b64 v[13:14], 2, v[13:14]
	v_sub_co_u32 v13, vcc_lo, s26, v13
	v_sub_co_ci_u32_e64 v14, null, s27, v14, vcc_lo
	s_waitcnt lgkmcnt(0)
	global_store_dword v[13:14], v15, off offset:-4
                                        ; implicit-def: $vgpr13
.LBB1775_226:
	s_andn2_saveexec_b32 s1, s1
	s_cbranch_execz .LBB1775_228
; %bb.227:
	v_lshlrev_b32_e32 v14, 2, v0
	v_lshlrev_b32_e32 v13, 2, v13
	v_readfirstlane_b32 s2, v7
	v_readfirstlane_b32 s3, v8
	ds_read_b32 v14, v14 offset:9216
	s_waitcnt lgkmcnt(0)
	global_store_dword v13, v14, s[2:3]
.LBB1775_228:
	s_or_b32 exec_lo, exec_lo, s1
                                        ; implicit-def: $vgpr13
.LBB1775_229:
	s_andn2_saveexec_b32 s0, s0
	s_cbranch_execz .LBB1775_231
; %bb.230:
	v_lshlrev_b32_e32 v14, 2, v0
	v_lshlrev_b32_e32 v13, 2, v13
	v_readfirstlane_b32 s2, v9
	v_readfirstlane_b32 s3, v10
	ds_read_b32 v14, v14 offset:9216
	s_waitcnt lgkmcnt(0)
	global_store_dword v13, v14, s[2:3]
.LBB1775_231:
	s_or_b32 exec_lo, exec_lo, s0
	v_or_b32_e32 v13, 0xa00, v0
	s_mov_b32 s0, exec_lo
	v_cmpx_ge_u32_e64 v13, v1
	s_xor_b32 s0, exec_lo, s0
	s_cbranch_execz .LBB1775_237
; %bb.232:
	s_mov_b32 s1, exec_lo
	v_cmpx_ge_u32_e64 v13, v12
	s_xor_b32 s1, exec_lo, s1
	s_cbranch_execz .LBB1775_234
; %bb.233:
	v_lshlrev_b32_e32 v14, 2, v0
	v_add_co_u32 v13, vcc_lo, v3, v13
	ds_read_b32 v15, v14 offset:10240
	v_add_co_ci_u32_e64 v14, null, 0, v11, vcc_lo
	v_lshlrev_b64 v[13:14], 2, v[13:14]
	v_sub_co_u32 v13, vcc_lo, s26, v13
	v_sub_co_ci_u32_e64 v14, null, s27, v14, vcc_lo
	s_waitcnt lgkmcnt(0)
	global_store_dword v[13:14], v15, off offset:-4
                                        ; implicit-def: $vgpr13
.LBB1775_234:
	s_andn2_saveexec_b32 s1, s1
	s_cbranch_execz .LBB1775_236
; %bb.235:
	v_lshlrev_b32_e32 v14, 2, v0
	v_lshlrev_b32_e32 v13, 2, v13
	v_readfirstlane_b32 s2, v7
	v_readfirstlane_b32 s3, v8
	ds_read_b32 v14, v14 offset:10240
	s_waitcnt lgkmcnt(0)
	global_store_dword v13, v14, s[2:3]
.LBB1775_236:
	s_or_b32 exec_lo, exec_lo, s1
                                        ; implicit-def: $vgpr13
.LBB1775_237:
	s_andn2_saveexec_b32 s0, s0
	s_cbranch_execz .LBB1775_239
; %bb.238:
	v_lshlrev_b32_e32 v14, 2, v0
	v_lshlrev_b32_e32 v13, 2, v13
	v_readfirstlane_b32 s2, v9
	v_readfirstlane_b32 s3, v10
	ds_read_b32 v14, v14 offset:10240
	s_waitcnt lgkmcnt(0)
	global_store_dword v13, v14, s[2:3]
.LBB1775_239:
	s_or_b32 exec_lo, exec_lo, s0
	v_or_b32_e32 v13, 0xb00, v0
	s_mov_b32 s0, exec_lo
	v_cmpx_ge_u32_e64 v13, v1
	s_xor_b32 s0, exec_lo, s0
	s_cbranch_execz .LBB1775_245
; %bb.240:
	s_mov_b32 s1, exec_lo
	v_cmpx_ge_u32_e64 v13, v12
	s_xor_b32 s1, exec_lo, s1
	s_cbranch_execz .LBB1775_242
; %bb.241:
	v_lshlrev_b32_e32 v14, 2, v0
	v_add_co_u32 v13, vcc_lo, v3, v13
	ds_read_b32 v15, v14 offset:11264
	v_add_co_ci_u32_e64 v14, null, 0, v11, vcc_lo
	v_lshlrev_b64 v[13:14], 2, v[13:14]
	v_sub_co_u32 v13, vcc_lo, s26, v13
	v_sub_co_ci_u32_e64 v14, null, s27, v14, vcc_lo
	s_waitcnt lgkmcnt(0)
	global_store_dword v[13:14], v15, off offset:-4
                                        ; implicit-def: $vgpr13
.LBB1775_242:
	s_andn2_saveexec_b32 s1, s1
	s_cbranch_execz .LBB1775_244
; %bb.243:
	v_lshlrev_b32_e32 v14, 2, v0
	v_lshlrev_b32_e32 v13, 2, v13
	v_readfirstlane_b32 s2, v7
	v_readfirstlane_b32 s3, v8
	ds_read_b32 v14, v14 offset:11264
	s_waitcnt lgkmcnt(0)
	global_store_dword v13, v14, s[2:3]
.LBB1775_244:
	s_or_b32 exec_lo, exec_lo, s1
                                        ; implicit-def: $vgpr13
.LBB1775_245:
	s_andn2_saveexec_b32 s0, s0
	s_cbranch_execz .LBB1775_247
; %bb.246:
	v_lshlrev_b32_e32 v14, 2, v0
	v_lshlrev_b32_e32 v13, 2, v13
	v_readfirstlane_b32 s2, v9
	v_readfirstlane_b32 s3, v10
	ds_read_b32 v14, v14 offset:11264
	s_waitcnt lgkmcnt(0)
	global_store_dword v13, v14, s[2:3]
.LBB1775_247:
	s_or_b32 exec_lo, exec_lo, s0
	v_or_b32_e32 v13, 0xc00, v0
	s_mov_b32 s0, exec_lo
	v_cmpx_ge_u32_e64 v13, v1
	s_xor_b32 s0, exec_lo, s0
	s_cbranch_execz .LBB1775_253
; %bb.248:
	s_mov_b32 s1, exec_lo
	v_cmpx_ge_u32_e64 v13, v12
	s_xor_b32 s1, exec_lo, s1
	s_cbranch_execz .LBB1775_250
; %bb.249:
	v_lshlrev_b32_e32 v14, 2, v0
	v_add_co_u32 v13, vcc_lo, v3, v13
	ds_read_b32 v15, v14 offset:12288
	v_add_co_ci_u32_e64 v14, null, 0, v11, vcc_lo
	v_lshlrev_b64 v[13:14], 2, v[13:14]
	v_sub_co_u32 v13, vcc_lo, s26, v13
	v_sub_co_ci_u32_e64 v14, null, s27, v14, vcc_lo
	s_waitcnt lgkmcnt(0)
	global_store_dword v[13:14], v15, off offset:-4
                                        ; implicit-def: $vgpr13
.LBB1775_250:
	s_andn2_saveexec_b32 s1, s1
	s_cbranch_execz .LBB1775_252
; %bb.251:
	v_lshlrev_b32_e32 v14, 2, v0
	v_lshlrev_b32_e32 v13, 2, v13
	v_readfirstlane_b32 s2, v7
	v_readfirstlane_b32 s3, v8
	ds_read_b32 v14, v14 offset:12288
	s_waitcnt lgkmcnt(0)
	global_store_dword v13, v14, s[2:3]
.LBB1775_252:
	s_or_b32 exec_lo, exec_lo, s1
                                        ; implicit-def: $vgpr13
.LBB1775_253:
	s_andn2_saveexec_b32 s0, s0
	s_cbranch_execz .LBB1775_255
; %bb.254:
	v_lshlrev_b32_e32 v14, 2, v0
	v_lshlrev_b32_e32 v13, 2, v13
	v_readfirstlane_b32 s2, v9
	v_readfirstlane_b32 s3, v10
	ds_read_b32 v14, v14 offset:12288
	s_waitcnt lgkmcnt(0)
	global_store_dword v13, v14, s[2:3]
.LBB1775_255:
	s_or_b32 exec_lo, exec_lo, s0
	s_branch .LBB1775_149
.LBB1775_256:
	s_mov_b32 s0, exec_lo
	v_cmpx_gt_u32_e64 s7, v0
	s_cbranch_execz .LBB1775_265
; %bb.257:
	s_mov_b32 s1, exec_lo
	v_cmpx_ge_u32_e64 v0, v1
	s_xor_b32 s1, exec_lo, s1
	s_cbranch_execz .LBB1775_263
; %bb.258:
	s_mov_b32 s2, exec_lo
	v_cmpx_ge_u32_e64 v0, v12
	s_xor_b32 s2, exec_lo, s2
	s_cbranch_execz .LBB1775_260
; %bb.259:
	v_lshlrev_b32_e32 v13, 2, v0
	ds_read_b32 v15, v13
	v_add_co_u32 v13, vcc_lo, v3, v0
	v_add_co_ci_u32_e64 v14, null, 0, v11, vcc_lo
	v_lshlrev_b64 v[13:14], 2, v[13:14]
	v_sub_co_u32 v13, vcc_lo, s26, v13
	v_sub_co_ci_u32_e64 v14, null, s27, v14, vcc_lo
	s_waitcnt lgkmcnt(0)
	global_store_dword v[13:14], v15, off offset:-4
.LBB1775_260:
	s_andn2_saveexec_b32 s2, s2
	s_cbranch_execz .LBB1775_262
; %bb.261:
	v_lshlrev_b32_e32 v13, 2, v0
	v_readfirstlane_b32 s4, v7
	v_readfirstlane_b32 s5, v8
	ds_read_b32 v14, v13
	s_waitcnt lgkmcnt(0)
	global_store_dword v13, v14, s[4:5]
.LBB1775_262:
	s_or_b32 exec_lo, exec_lo, s2
.LBB1775_263:
	s_andn2_saveexec_b32 s1, s1
	s_cbranch_execz .LBB1775_265
; %bb.264:
	v_lshlrev_b32_e32 v13, 2, v0
	v_readfirstlane_b32 s2, v9
	v_readfirstlane_b32 s3, v10
	ds_read_b32 v14, v13
	s_waitcnt lgkmcnt(0)
	global_store_dword v13, v14, s[2:3]
.LBB1775_265:
	s_or_b32 exec_lo, exec_lo, s0
	v_or_b32_e32 v13, 0x100, v0
	s_mov_b32 s0, exec_lo
	v_cmpx_gt_u32_e64 s7, v13
	s_cbranch_execz .LBB1775_274
; %bb.266:
	s_mov_b32 s1, exec_lo
	v_cmpx_ge_u32_e64 v13, v1
	s_xor_b32 s1, exec_lo, s1
	s_cbranch_execz .LBB1775_272
; %bb.267:
	s_mov_b32 s2, exec_lo
	v_cmpx_ge_u32_e64 v13, v12
	s_xor_b32 s2, exec_lo, s2
	s_cbranch_execz .LBB1775_269
; %bb.268:
	v_lshlrev_b32_e32 v13, 2, v0
	ds_read_b32 v15, v13 offset:1024
	v_add_co_u32 v13, vcc_lo, v3, v0
	v_add_co_ci_u32_e64 v14, null, 0, v11, vcc_lo
	v_lshlrev_b64 v[13:14], 2, v[13:14]
	v_sub_co_u32 v13, vcc_lo, s26, v13
	v_sub_co_ci_u32_e64 v14, null, s27, v14, vcc_lo
	s_waitcnt lgkmcnt(0)
	global_store_dword v[13:14], v15, off offset:-1028
.LBB1775_269:
	s_andn2_saveexec_b32 s2, s2
	s_cbranch_execz .LBB1775_271
; %bb.270:
	v_lshlrev_b32_e32 v13, 2, v0
	v_readfirstlane_b32 s4, v7
	v_readfirstlane_b32 s5, v8
	ds_read_b32 v14, v13 offset:1024
	s_waitcnt lgkmcnt(0)
	global_store_dword v13, v14, s[4:5] offset:1024
.LBB1775_271:
	s_or_b32 exec_lo, exec_lo, s2
.LBB1775_272:
	s_andn2_saveexec_b32 s1, s1
	s_cbranch_execz .LBB1775_274
; %bb.273:
	v_lshlrev_b32_e32 v13, 2, v0
	v_readfirstlane_b32 s2, v9
	v_readfirstlane_b32 s3, v10
	ds_read_b32 v14, v13 offset:1024
	s_waitcnt lgkmcnt(0)
	global_store_dword v13, v14, s[2:3] offset:1024
.LBB1775_274:
	s_or_b32 exec_lo, exec_lo, s0
	v_or_b32_e32 v13, 0x200, v0
	s_mov_b32 s0, exec_lo
	v_cmpx_gt_u32_e64 s7, v13
	s_cbranch_execz .LBB1775_283
; %bb.275:
	s_mov_b32 s1, exec_lo
	v_cmpx_ge_u32_e64 v13, v1
	s_xor_b32 s1, exec_lo, s1
	s_cbranch_execz .LBB1775_281
; %bb.276:
	s_mov_b32 s2, exec_lo
	v_cmpx_ge_u32_e64 v13, v12
	s_xor_b32 s2, exec_lo, s2
	s_cbranch_execz .LBB1775_278
; %bb.277:
	v_lshlrev_b32_e32 v15, 2, v0
	v_add_co_u32 v13, vcc_lo, v3, v0
	v_add_co_ci_u32_e64 v14, null, 0, v11, vcc_lo
	ds_read_b32 v15, v15 offset:2048
	v_lshlrev_b64 v[13:14], 2, v[13:14]
	v_sub_co_u32 v13, vcc_lo, s26, v13
	v_sub_co_ci_u32_e64 v14, null, s27, v14, vcc_lo
	v_add_co_u32 v13, vcc_lo, 0xfffff800, v13
	v_add_co_ci_u32_e64 v14, null, -1, v14, vcc_lo
	s_waitcnt lgkmcnt(0)
	global_store_dword v[13:14], v15, off offset:-4
                                        ; implicit-def: $vgpr13
.LBB1775_278:
	s_andn2_saveexec_b32 s2, s2
	s_cbranch_execz .LBB1775_280
; %bb.279:
	v_lshlrev_b32_e32 v14, 2, v0
	v_lshlrev_b32_e32 v13, 2, v13
	v_readfirstlane_b32 s4, v7
	v_readfirstlane_b32 s5, v8
	ds_read_b32 v14, v14 offset:2048
	s_waitcnt lgkmcnt(0)
	global_store_dword v13, v14, s[4:5]
.LBB1775_280:
	s_or_b32 exec_lo, exec_lo, s2
                                        ; implicit-def: $vgpr13
.LBB1775_281:
	s_andn2_saveexec_b32 s1, s1
	s_cbranch_execz .LBB1775_283
; %bb.282:
	v_lshlrev_b32_e32 v14, 2, v0
	v_lshlrev_b32_e32 v13, 2, v13
	v_readfirstlane_b32 s2, v9
	v_readfirstlane_b32 s3, v10
	ds_read_b32 v14, v14 offset:2048
	s_waitcnt lgkmcnt(0)
	global_store_dword v13, v14, s[2:3]
.LBB1775_283:
	s_or_b32 exec_lo, exec_lo, s0
	v_or_b32_e32 v13, 0x300, v0
	s_mov_b32 s0, exec_lo
	v_cmpx_gt_u32_e64 s7, v13
	s_cbranch_execz .LBB1775_292
; %bb.284:
	s_mov_b32 s1, exec_lo
	v_cmpx_ge_u32_e64 v13, v1
	s_xor_b32 s1, exec_lo, s1
	s_cbranch_execz .LBB1775_290
; %bb.285:
	s_mov_b32 s2, exec_lo
	v_cmpx_ge_u32_e64 v13, v12
	s_xor_b32 s2, exec_lo, s2
	s_cbranch_execz .LBB1775_287
; %bb.286:
	v_lshlrev_b32_e32 v14, 2, v0
	v_add_co_u32 v13, vcc_lo, v3, v13
	ds_read_b32 v15, v14 offset:3072
	v_add_co_ci_u32_e64 v14, null, 0, v11, vcc_lo
	v_lshlrev_b64 v[13:14], 2, v[13:14]
	v_sub_co_u32 v13, vcc_lo, s26, v13
	v_sub_co_ci_u32_e64 v14, null, s27, v14, vcc_lo
	s_waitcnt lgkmcnt(0)
	global_store_dword v[13:14], v15, off offset:-4
                                        ; implicit-def: $vgpr13
.LBB1775_287:
	s_andn2_saveexec_b32 s2, s2
	s_cbranch_execz .LBB1775_289
; %bb.288:
	v_lshlrev_b32_e32 v14, 2, v0
	v_lshlrev_b32_e32 v13, 2, v13
	v_readfirstlane_b32 s4, v7
	v_readfirstlane_b32 s5, v8
	ds_read_b32 v14, v14 offset:3072
	s_waitcnt lgkmcnt(0)
	global_store_dword v13, v14, s[4:5]
.LBB1775_289:
	s_or_b32 exec_lo, exec_lo, s2
                                        ; implicit-def: $vgpr13
.LBB1775_290:
	s_andn2_saveexec_b32 s1, s1
	s_cbranch_execz .LBB1775_292
; %bb.291:
	v_lshlrev_b32_e32 v14, 2, v0
	v_lshlrev_b32_e32 v13, 2, v13
	v_readfirstlane_b32 s2, v9
	v_readfirstlane_b32 s3, v10
	ds_read_b32 v14, v14 offset:3072
	s_waitcnt lgkmcnt(0)
	global_store_dword v13, v14, s[2:3]
.LBB1775_292:
	s_or_b32 exec_lo, exec_lo, s0
	v_or_b32_e32 v13, 0x400, v0
	s_mov_b32 s0, exec_lo
	v_cmpx_gt_u32_e64 s7, v13
	s_cbranch_execz .LBB1775_301
; %bb.293:
	s_mov_b32 s1, exec_lo
	v_cmpx_ge_u32_e64 v13, v1
	s_xor_b32 s1, exec_lo, s1
	s_cbranch_execz .LBB1775_299
; %bb.294:
	s_mov_b32 s2, exec_lo
	v_cmpx_ge_u32_e64 v13, v12
	s_xor_b32 s2, exec_lo, s2
	s_cbranch_execz .LBB1775_296
; %bb.295:
	v_lshlrev_b32_e32 v14, 2, v0
	v_add_co_u32 v13, vcc_lo, v3, v13
	ds_read_b32 v15, v14 offset:4096
	v_add_co_ci_u32_e64 v14, null, 0, v11, vcc_lo
	v_lshlrev_b64 v[13:14], 2, v[13:14]
	v_sub_co_u32 v13, vcc_lo, s26, v13
	v_sub_co_ci_u32_e64 v14, null, s27, v14, vcc_lo
	s_waitcnt lgkmcnt(0)
	global_store_dword v[13:14], v15, off offset:-4
                                        ; implicit-def: $vgpr13
.LBB1775_296:
	s_andn2_saveexec_b32 s2, s2
	s_cbranch_execz .LBB1775_298
; %bb.297:
	v_lshlrev_b32_e32 v14, 2, v0
	v_lshlrev_b32_e32 v13, 2, v13
	v_readfirstlane_b32 s4, v7
	v_readfirstlane_b32 s5, v8
	ds_read_b32 v14, v14 offset:4096
	s_waitcnt lgkmcnt(0)
	global_store_dword v13, v14, s[4:5]
.LBB1775_298:
	s_or_b32 exec_lo, exec_lo, s2
                                        ; implicit-def: $vgpr13
.LBB1775_299:
	s_andn2_saveexec_b32 s1, s1
	s_cbranch_execz .LBB1775_301
; %bb.300:
	v_lshlrev_b32_e32 v14, 2, v0
	v_lshlrev_b32_e32 v13, 2, v13
	v_readfirstlane_b32 s2, v9
	v_readfirstlane_b32 s3, v10
	ds_read_b32 v14, v14 offset:4096
	s_waitcnt lgkmcnt(0)
	global_store_dword v13, v14, s[2:3]
.LBB1775_301:
	;; [unrolled: 52-line block ×9, first 2 shown]
	s_or_b32 exec_lo, exec_lo, s0
	v_or_b32_e32 v13, 0xc00, v0
	s_mov_b32 s0, exec_lo
	v_cmpx_gt_u32_e64 s7, v13
	s_cbranch_execz .LBB1775_373
; %bb.365:
	s_mov_b32 s1, exec_lo
	v_cmpx_ge_u32_e64 v13, v1
	s_xor_b32 s1, exec_lo, s1
	s_cbranch_execz .LBB1775_371
; %bb.366:
	s_mov_b32 s2, exec_lo
	v_cmpx_ge_u32_e64 v13, v12
	s_xor_b32 s2, exec_lo, s2
	s_cbranch_execz .LBB1775_368
; %bb.367:
	v_lshlrev_b32_e32 v7, 2, v0
	ds_read_b32 v9, v7 offset:12288
	v_add_co_u32 v7, vcc_lo, v3, v13
	v_add_co_ci_u32_e64 v8, null, 0, v11, vcc_lo
                                        ; implicit-def: $vgpr13
	v_lshlrev_b64 v[7:8], 2, v[7:8]
	v_sub_co_u32 v7, vcc_lo, s26, v7
	v_sub_co_ci_u32_e64 v8, null, s27, v8, vcc_lo
	s_waitcnt lgkmcnt(0)
	global_store_dword v[7:8], v9, off offset:-4
                                        ; implicit-def: $vgpr7_vgpr8
.LBB1775_368:
	s_andn2_saveexec_b32 s2, s2
	s_cbranch_execz .LBB1775_370
; %bb.369:
	v_lshlrev_b32_e32 v3, 2, v0
	v_lshlrev_b32_e32 v9, 2, v13
	v_readfirstlane_b32 s4, v7
	v_readfirstlane_b32 s5, v8
	ds_read_b32 v3, v3 offset:12288
	s_waitcnt lgkmcnt(0)
	global_store_dword v9, v3, s[4:5]
.LBB1775_370:
	s_or_b32 exec_lo, exec_lo, s2
                                        ; implicit-def: $vgpr13
                                        ; implicit-def: $vgpr9_vgpr10
.LBB1775_371:
	s_andn2_saveexec_b32 s1, s1
	s_cbranch_execz .LBB1775_373
; %bb.372:
	v_lshlrev_b32_e32 v3, 2, v0
	v_lshlrev_b32_e32 v7, 2, v13
	v_readfirstlane_b32 s2, v9
	v_readfirstlane_b32 s3, v10
	ds_read_b32 v3, v3 offset:12288
	s_waitcnt lgkmcnt(0)
	global_store_dword v7, v3, s[2:3]
.LBB1775_373:
	s_or_b32 exec_lo, exec_lo, s0
	v_cmp_eq_u32_e32 vcc_lo, 0, v0
	s_and_b32 s0, vcc_lo, s33
	s_and_saveexec_b32 s1, s0
	s_cbranch_execz .LBB1775_150
.LBB1775_374:
	v_add_co_u32 v0, s0, s30, v2
	v_add_co_ci_u32_e64 v3, null, s31, 0, s0
	v_mov_b32_e32 v7, 0
	v_add_co_u32 v2, vcc_lo, v0, v4
	v_add_co_ci_u32_e64 v3, null, 0, v3, vcc_lo
	v_add_co_u32 v0, vcc_lo, v5, v1
	v_add_co_ci_u32_e64 v1, null, 0, v6, vcc_lo
	global_store_dwordx4 v7, v[0:3], s[24:25]
	s_endpgm
.LBB1775_375:
	s_add_i32 s10, s6, 32
	s_mov_b32 s11, 0
	v_add_nc_u32_e32 v6, v4, v2
	s_lshl_b64 s[10:11], s[10:11], 4
	v_add_nc_u32_e32 v5, v3, v1
	s_add_u32 s10, s4, s10
	s_addc_u32 s11, s5, s11
	v_mov_b32_e32 v7, 2
	v_mov_b32_e32 v24, s11
	;; [unrolled: 1-line block ×4, first 2 shown]
	;;#ASMSTART
	global_store_dwordx4 v[23:24], v[5:8] off	
s_waitcnt vmcnt(0)
	;;#ASMEND
	s_or_b32 exec_lo, exec_lo, s8
	s_and_saveexec_b32 s6, s2
	s_cbranch_execz .LBB1775_135
.LBB1775_376:
	v_mov_b32_e32 v5, 0
	ds_write_b128 v5, v[1:4] offset:13312
	s_or_b32 exec_lo, exec_lo, s6
	v_cmp_eq_u32_e32 vcc_lo, 0, v0
	s_and_b32 exec_lo, exec_lo, vcc_lo
	s_cbranch_execnz .LBB1775_136
	s_branch .LBB1775_137
	.section	.rodata,"a",@progbits
	.p2align	6, 0x0
	.amdhsa_kernel _ZN7rocprim17ROCPRIM_400000_NS6detail17trampoline_kernelINS0_13select_configILj256ELj13ELNS0_17block_load_methodE3ELS4_3ELS4_3ELNS0_20block_scan_algorithmE0ELj4294967295EEENS1_25partition_config_selectorILNS1_17partition_subalgoE4EjNS0_10empty_typeEbEEZZNS1_14partition_implILS8_4ELb0ES6_15HIP_vector_typeIjLj2EENS0_17counting_iteratorIjlEEPS9_SG_NS0_5tupleIJPjSI_NS0_16reverse_iteratorISI_EEEEENSH_IJSG_SG_SG_EEES9_SI_JZNS1_25segmented_radix_sort_implINS0_14default_configELb0EPK6__halfPSP_PKlPlN2at6native12_GLOBAL__N_18offset_tEEE10hipError_tPvRmT1_PNSt15iterator_traitsIS13_E10value_typeET2_T3_PNS14_IS19_E10value_typeET4_jRbjT5_S1F_jjP12ihipStream_tbEUljE_ZNSN_ISO_Lb0ESR_SS_SU_SV_SZ_EES10_S11_S12_S13_S17_S18_S19_S1C_S1D_jS1E_jS1F_S1F_jjS1H_bEUljE0_EEES10_S11_S12_S19_S1D_S1F_T6_T7_T9_mT8_S1H_bDpT10_ENKUlT_T0_E_clISt17integral_constantIbLb0EES1V_EEDaS1Q_S1R_EUlS1Q_E_NS1_11comp_targetILNS1_3genE8ELNS1_11target_archE1030ELNS1_3gpuE2ELNS1_3repE0EEENS1_30default_config_static_selectorELNS0_4arch9wavefront6targetE0EEEvS13_
		.amdhsa_group_segment_fixed_size 13328
		.amdhsa_private_segment_fixed_size 0
		.amdhsa_kernarg_size 176
		.amdhsa_user_sgpr_count 6
		.amdhsa_user_sgpr_private_segment_buffer 1
		.amdhsa_user_sgpr_dispatch_ptr 0
		.amdhsa_user_sgpr_queue_ptr 0
		.amdhsa_user_sgpr_kernarg_segment_ptr 1
		.amdhsa_user_sgpr_dispatch_id 0
		.amdhsa_user_sgpr_flat_scratch_init 0
		.amdhsa_user_sgpr_private_segment_size 0
		.amdhsa_wavefront_size32 1
		.amdhsa_uses_dynamic_stack 0
		.amdhsa_system_sgpr_private_segment_wavefront_offset 0
		.amdhsa_system_sgpr_workgroup_id_x 1
		.amdhsa_system_sgpr_workgroup_id_y 0
		.amdhsa_system_sgpr_workgroup_id_z 0
		.amdhsa_system_sgpr_workgroup_info 0
		.amdhsa_system_vgpr_workitem_id 0
		.amdhsa_next_free_vgpr 82
		.amdhsa_next_free_sgpr 59
		.amdhsa_reserve_vcc 1
		.amdhsa_reserve_flat_scratch 0
		.amdhsa_float_round_mode_32 0
		.amdhsa_float_round_mode_16_64 0
		.amdhsa_float_denorm_mode_32 3
		.amdhsa_float_denorm_mode_16_64 3
		.amdhsa_dx10_clamp 1
		.amdhsa_ieee_mode 1
		.amdhsa_fp16_overflow 0
		.amdhsa_workgroup_processor_mode 1
		.amdhsa_memory_ordered 1
		.amdhsa_forward_progress 1
		.amdhsa_shared_vgpr_count 0
		.amdhsa_exception_fp_ieee_invalid_op 0
		.amdhsa_exception_fp_denorm_src 0
		.amdhsa_exception_fp_ieee_div_zero 0
		.amdhsa_exception_fp_ieee_overflow 0
		.amdhsa_exception_fp_ieee_underflow 0
		.amdhsa_exception_fp_ieee_inexact 0
		.amdhsa_exception_int_div_zero 0
	.end_amdhsa_kernel
	.section	.text._ZN7rocprim17ROCPRIM_400000_NS6detail17trampoline_kernelINS0_13select_configILj256ELj13ELNS0_17block_load_methodE3ELS4_3ELS4_3ELNS0_20block_scan_algorithmE0ELj4294967295EEENS1_25partition_config_selectorILNS1_17partition_subalgoE4EjNS0_10empty_typeEbEEZZNS1_14partition_implILS8_4ELb0ES6_15HIP_vector_typeIjLj2EENS0_17counting_iteratorIjlEEPS9_SG_NS0_5tupleIJPjSI_NS0_16reverse_iteratorISI_EEEEENSH_IJSG_SG_SG_EEES9_SI_JZNS1_25segmented_radix_sort_implINS0_14default_configELb0EPK6__halfPSP_PKlPlN2at6native12_GLOBAL__N_18offset_tEEE10hipError_tPvRmT1_PNSt15iterator_traitsIS13_E10value_typeET2_T3_PNS14_IS19_E10value_typeET4_jRbjT5_S1F_jjP12ihipStream_tbEUljE_ZNSN_ISO_Lb0ESR_SS_SU_SV_SZ_EES10_S11_S12_S13_S17_S18_S19_S1C_S1D_jS1E_jS1F_S1F_jjS1H_bEUljE0_EEES10_S11_S12_S19_S1D_S1F_T6_T7_T9_mT8_S1H_bDpT10_ENKUlT_T0_E_clISt17integral_constantIbLb0EES1V_EEDaS1Q_S1R_EUlS1Q_E_NS1_11comp_targetILNS1_3genE8ELNS1_11target_archE1030ELNS1_3gpuE2ELNS1_3repE0EEENS1_30default_config_static_selectorELNS0_4arch9wavefront6targetE0EEEvS13_,"axG",@progbits,_ZN7rocprim17ROCPRIM_400000_NS6detail17trampoline_kernelINS0_13select_configILj256ELj13ELNS0_17block_load_methodE3ELS4_3ELS4_3ELNS0_20block_scan_algorithmE0ELj4294967295EEENS1_25partition_config_selectorILNS1_17partition_subalgoE4EjNS0_10empty_typeEbEEZZNS1_14partition_implILS8_4ELb0ES6_15HIP_vector_typeIjLj2EENS0_17counting_iteratorIjlEEPS9_SG_NS0_5tupleIJPjSI_NS0_16reverse_iteratorISI_EEEEENSH_IJSG_SG_SG_EEES9_SI_JZNS1_25segmented_radix_sort_implINS0_14default_configELb0EPK6__halfPSP_PKlPlN2at6native12_GLOBAL__N_18offset_tEEE10hipError_tPvRmT1_PNSt15iterator_traitsIS13_E10value_typeET2_T3_PNS14_IS19_E10value_typeET4_jRbjT5_S1F_jjP12ihipStream_tbEUljE_ZNSN_ISO_Lb0ESR_SS_SU_SV_SZ_EES10_S11_S12_S13_S17_S18_S19_S1C_S1D_jS1E_jS1F_S1F_jjS1H_bEUljE0_EEES10_S11_S12_S19_S1D_S1F_T6_T7_T9_mT8_S1H_bDpT10_ENKUlT_T0_E_clISt17integral_constantIbLb0EES1V_EEDaS1Q_S1R_EUlS1Q_E_NS1_11comp_targetILNS1_3genE8ELNS1_11target_archE1030ELNS1_3gpuE2ELNS1_3repE0EEENS1_30default_config_static_selectorELNS0_4arch9wavefront6targetE0EEEvS13_,comdat
.Lfunc_end1775:
	.size	_ZN7rocprim17ROCPRIM_400000_NS6detail17trampoline_kernelINS0_13select_configILj256ELj13ELNS0_17block_load_methodE3ELS4_3ELS4_3ELNS0_20block_scan_algorithmE0ELj4294967295EEENS1_25partition_config_selectorILNS1_17partition_subalgoE4EjNS0_10empty_typeEbEEZZNS1_14partition_implILS8_4ELb0ES6_15HIP_vector_typeIjLj2EENS0_17counting_iteratorIjlEEPS9_SG_NS0_5tupleIJPjSI_NS0_16reverse_iteratorISI_EEEEENSH_IJSG_SG_SG_EEES9_SI_JZNS1_25segmented_radix_sort_implINS0_14default_configELb0EPK6__halfPSP_PKlPlN2at6native12_GLOBAL__N_18offset_tEEE10hipError_tPvRmT1_PNSt15iterator_traitsIS13_E10value_typeET2_T3_PNS14_IS19_E10value_typeET4_jRbjT5_S1F_jjP12ihipStream_tbEUljE_ZNSN_ISO_Lb0ESR_SS_SU_SV_SZ_EES10_S11_S12_S13_S17_S18_S19_S1C_S1D_jS1E_jS1F_S1F_jjS1H_bEUljE0_EEES10_S11_S12_S19_S1D_S1F_T6_T7_T9_mT8_S1H_bDpT10_ENKUlT_T0_E_clISt17integral_constantIbLb0EES1V_EEDaS1Q_S1R_EUlS1Q_E_NS1_11comp_targetILNS1_3genE8ELNS1_11target_archE1030ELNS1_3gpuE2ELNS1_3repE0EEENS1_30default_config_static_selectorELNS0_4arch9wavefront6targetE0EEEvS13_, .Lfunc_end1775-_ZN7rocprim17ROCPRIM_400000_NS6detail17trampoline_kernelINS0_13select_configILj256ELj13ELNS0_17block_load_methodE3ELS4_3ELS4_3ELNS0_20block_scan_algorithmE0ELj4294967295EEENS1_25partition_config_selectorILNS1_17partition_subalgoE4EjNS0_10empty_typeEbEEZZNS1_14partition_implILS8_4ELb0ES6_15HIP_vector_typeIjLj2EENS0_17counting_iteratorIjlEEPS9_SG_NS0_5tupleIJPjSI_NS0_16reverse_iteratorISI_EEEEENSH_IJSG_SG_SG_EEES9_SI_JZNS1_25segmented_radix_sort_implINS0_14default_configELb0EPK6__halfPSP_PKlPlN2at6native12_GLOBAL__N_18offset_tEEE10hipError_tPvRmT1_PNSt15iterator_traitsIS13_E10value_typeET2_T3_PNS14_IS19_E10value_typeET4_jRbjT5_S1F_jjP12ihipStream_tbEUljE_ZNSN_ISO_Lb0ESR_SS_SU_SV_SZ_EES10_S11_S12_S13_S17_S18_S19_S1C_S1D_jS1E_jS1F_S1F_jjS1H_bEUljE0_EEES10_S11_S12_S19_S1D_S1F_T6_T7_T9_mT8_S1H_bDpT10_ENKUlT_T0_E_clISt17integral_constantIbLb0EES1V_EEDaS1Q_S1R_EUlS1Q_E_NS1_11comp_targetILNS1_3genE8ELNS1_11target_archE1030ELNS1_3gpuE2ELNS1_3repE0EEENS1_30default_config_static_selectorELNS0_4arch9wavefront6targetE0EEEvS13_
                                        ; -- End function
	.set _ZN7rocprim17ROCPRIM_400000_NS6detail17trampoline_kernelINS0_13select_configILj256ELj13ELNS0_17block_load_methodE3ELS4_3ELS4_3ELNS0_20block_scan_algorithmE0ELj4294967295EEENS1_25partition_config_selectorILNS1_17partition_subalgoE4EjNS0_10empty_typeEbEEZZNS1_14partition_implILS8_4ELb0ES6_15HIP_vector_typeIjLj2EENS0_17counting_iteratorIjlEEPS9_SG_NS0_5tupleIJPjSI_NS0_16reverse_iteratorISI_EEEEENSH_IJSG_SG_SG_EEES9_SI_JZNS1_25segmented_radix_sort_implINS0_14default_configELb0EPK6__halfPSP_PKlPlN2at6native12_GLOBAL__N_18offset_tEEE10hipError_tPvRmT1_PNSt15iterator_traitsIS13_E10value_typeET2_T3_PNS14_IS19_E10value_typeET4_jRbjT5_S1F_jjP12ihipStream_tbEUljE_ZNSN_ISO_Lb0ESR_SS_SU_SV_SZ_EES10_S11_S12_S13_S17_S18_S19_S1C_S1D_jS1E_jS1F_S1F_jjS1H_bEUljE0_EEES10_S11_S12_S19_S1D_S1F_T6_T7_T9_mT8_S1H_bDpT10_ENKUlT_T0_E_clISt17integral_constantIbLb0EES1V_EEDaS1Q_S1R_EUlS1Q_E_NS1_11comp_targetILNS1_3genE8ELNS1_11target_archE1030ELNS1_3gpuE2ELNS1_3repE0EEENS1_30default_config_static_selectorELNS0_4arch9wavefront6targetE0EEEvS13_.num_vgpr, 82
	.set _ZN7rocprim17ROCPRIM_400000_NS6detail17trampoline_kernelINS0_13select_configILj256ELj13ELNS0_17block_load_methodE3ELS4_3ELS4_3ELNS0_20block_scan_algorithmE0ELj4294967295EEENS1_25partition_config_selectorILNS1_17partition_subalgoE4EjNS0_10empty_typeEbEEZZNS1_14partition_implILS8_4ELb0ES6_15HIP_vector_typeIjLj2EENS0_17counting_iteratorIjlEEPS9_SG_NS0_5tupleIJPjSI_NS0_16reverse_iteratorISI_EEEEENSH_IJSG_SG_SG_EEES9_SI_JZNS1_25segmented_radix_sort_implINS0_14default_configELb0EPK6__halfPSP_PKlPlN2at6native12_GLOBAL__N_18offset_tEEE10hipError_tPvRmT1_PNSt15iterator_traitsIS13_E10value_typeET2_T3_PNS14_IS19_E10value_typeET4_jRbjT5_S1F_jjP12ihipStream_tbEUljE_ZNSN_ISO_Lb0ESR_SS_SU_SV_SZ_EES10_S11_S12_S13_S17_S18_S19_S1C_S1D_jS1E_jS1F_S1F_jjS1H_bEUljE0_EEES10_S11_S12_S19_S1D_S1F_T6_T7_T9_mT8_S1H_bDpT10_ENKUlT_T0_E_clISt17integral_constantIbLb0EES1V_EEDaS1Q_S1R_EUlS1Q_E_NS1_11comp_targetILNS1_3genE8ELNS1_11target_archE1030ELNS1_3gpuE2ELNS1_3repE0EEENS1_30default_config_static_selectorELNS0_4arch9wavefront6targetE0EEEvS13_.num_agpr, 0
	.set _ZN7rocprim17ROCPRIM_400000_NS6detail17trampoline_kernelINS0_13select_configILj256ELj13ELNS0_17block_load_methodE3ELS4_3ELS4_3ELNS0_20block_scan_algorithmE0ELj4294967295EEENS1_25partition_config_selectorILNS1_17partition_subalgoE4EjNS0_10empty_typeEbEEZZNS1_14partition_implILS8_4ELb0ES6_15HIP_vector_typeIjLj2EENS0_17counting_iteratorIjlEEPS9_SG_NS0_5tupleIJPjSI_NS0_16reverse_iteratorISI_EEEEENSH_IJSG_SG_SG_EEES9_SI_JZNS1_25segmented_radix_sort_implINS0_14default_configELb0EPK6__halfPSP_PKlPlN2at6native12_GLOBAL__N_18offset_tEEE10hipError_tPvRmT1_PNSt15iterator_traitsIS13_E10value_typeET2_T3_PNS14_IS19_E10value_typeET4_jRbjT5_S1F_jjP12ihipStream_tbEUljE_ZNSN_ISO_Lb0ESR_SS_SU_SV_SZ_EES10_S11_S12_S13_S17_S18_S19_S1C_S1D_jS1E_jS1F_S1F_jjS1H_bEUljE0_EEES10_S11_S12_S19_S1D_S1F_T6_T7_T9_mT8_S1H_bDpT10_ENKUlT_T0_E_clISt17integral_constantIbLb0EES1V_EEDaS1Q_S1R_EUlS1Q_E_NS1_11comp_targetILNS1_3genE8ELNS1_11target_archE1030ELNS1_3gpuE2ELNS1_3repE0EEENS1_30default_config_static_selectorELNS0_4arch9wavefront6targetE0EEEvS13_.numbered_sgpr, 59
	.set _ZN7rocprim17ROCPRIM_400000_NS6detail17trampoline_kernelINS0_13select_configILj256ELj13ELNS0_17block_load_methodE3ELS4_3ELS4_3ELNS0_20block_scan_algorithmE0ELj4294967295EEENS1_25partition_config_selectorILNS1_17partition_subalgoE4EjNS0_10empty_typeEbEEZZNS1_14partition_implILS8_4ELb0ES6_15HIP_vector_typeIjLj2EENS0_17counting_iteratorIjlEEPS9_SG_NS0_5tupleIJPjSI_NS0_16reverse_iteratorISI_EEEEENSH_IJSG_SG_SG_EEES9_SI_JZNS1_25segmented_radix_sort_implINS0_14default_configELb0EPK6__halfPSP_PKlPlN2at6native12_GLOBAL__N_18offset_tEEE10hipError_tPvRmT1_PNSt15iterator_traitsIS13_E10value_typeET2_T3_PNS14_IS19_E10value_typeET4_jRbjT5_S1F_jjP12ihipStream_tbEUljE_ZNSN_ISO_Lb0ESR_SS_SU_SV_SZ_EES10_S11_S12_S13_S17_S18_S19_S1C_S1D_jS1E_jS1F_S1F_jjS1H_bEUljE0_EEES10_S11_S12_S19_S1D_S1F_T6_T7_T9_mT8_S1H_bDpT10_ENKUlT_T0_E_clISt17integral_constantIbLb0EES1V_EEDaS1Q_S1R_EUlS1Q_E_NS1_11comp_targetILNS1_3genE8ELNS1_11target_archE1030ELNS1_3gpuE2ELNS1_3repE0EEENS1_30default_config_static_selectorELNS0_4arch9wavefront6targetE0EEEvS13_.num_named_barrier, 0
	.set _ZN7rocprim17ROCPRIM_400000_NS6detail17trampoline_kernelINS0_13select_configILj256ELj13ELNS0_17block_load_methodE3ELS4_3ELS4_3ELNS0_20block_scan_algorithmE0ELj4294967295EEENS1_25partition_config_selectorILNS1_17partition_subalgoE4EjNS0_10empty_typeEbEEZZNS1_14partition_implILS8_4ELb0ES6_15HIP_vector_typeIjLj2EENS0_17counting_iteratorIjlEEPS9_SG_NS0_5tupleIJPjSI_NS0_16reverse_iteratorISI_EEEEENSH_IJSG_SG_SG_EEES9_SI_JZNS1_25segmented_radix_sort_implINS0_14default_configELb0EPK6__halfPSP_PKlPlN2at6native12_GLOBAL__N_18offset_tEEE10hipError_tPvRmT1_PNSt15iterator_traitsIS13_E10value_typeET2_T3_PNS14_IS19_E10value_typeET4_jRbjT5_S1F_jjP12ihipStream_tbEUljE_ZNSN_ISO_Lb0ESR_SS_SU_SV_SZ_EES10_S11_S12_S13_S17_S18_S19_S1C_S1D_jS1E_jS1F_S1F_jjS1H_bEUljE0_EEES10_S11_S12_S19_S1D_S1F_T6_T7_T9_mT8_S1H_bDpT10_ENKUlT_T0_E_clISt17integral_constantIbLb0EES1V_EEDaS1Q_S1R_EUlS1Q_E_NS1_11comp_targetILNS1_3genE8ELNS1_11target_archE1030ELNS1_3gpuE2ELNS1_3repE0EEENS1_30default_config_static_selectorELNS0_4arch9wavefront6targetE0EEEvS13_.private_seg_size, 0
	.set _ZN7rocprim17ROCPRIM_400000_NS6detail17trampoline_kernelINS0_13select_configILj256ELj13ELNS0_17block_load_methodE3ELS4_3ELS4_3ELNS0_20block_scan_algorithmE0ELj4294967295EEENS1_25partition_config_selectorILNS1_17partition_subalgoE4EjNS0_10empty_typeEbEEZZNS1_14partition_implILS8_4ELb0ES6_15HIP_vector_typeIjLj2EENS0_17counting_iteratorIjlEEPS9_SG_NS0_5tupleIJPjSI_NS0_16reverse_iteratorISI_EEEEENSH_IJSG_SG_SG_EEES9_SI_JZNS1_25segmented_radix_sort_implINS0_14default_configELb0EPK6__halfPSP_PKlPlN2at6native12_GLOBAL__N_18offset_tEEE10hipError_tPvRmT1_PNSt15iterator_traitsIS13_E10value_typeET2_T3_PNS14_IS19_E10value_typeET4_jRbjT5_S1F_jjP12ihipStream_tbEUljE_ZNSN_ISO_Lb0ESR_SS_SU_SV_SZ_EES10_S11_S12_S13_S17_S18_S19_S1C_S1D_jS1E_jS1F_S1F_jjS1H_bEUljE0_EEES10_S11_S12_S19_S1D_S1F_T6_T7_T9_mT8_S1H_bDpT10_ENKUlT_T0_E_clISt17integral_constantIbLb0EES1V_EEDaS1Q_S1R_EUlS1Q_E_NS1_11comp_targetILNS1_3genE8ELNS1_11target_archE1030ELNS1_3gpuE2ELNS1_3repE0EEENS1_30default_config_static_selectorELNS0_4arch9wavefront6targetE0EEEvS13_.uses_vcc, 1
	.set _ZN7rocprim17ROCPRIM_400000_NS6detail17trampoline_kernelINS0_13select_configILj256ELj13ELNS0_17block_load_methodE3ELS4_3ELS4_3ELNS0_20block_scan_algorithmE0ELj4294967295EEENS1_25partition_config_selectorILNS1_17partition_subalgoE4EjNS0_10empty_typeEbEEZZNS1_14partition_implILS8_4ELb0ES6_15HIP_vector_typeIjLj2EENS0_17counting_iteratorIjlEEPS9_SG_NS0_5tupleIJPjSI_NS0_16reverse_iteratorISI_EEEEENSH_IJSG_SG_SG_EEES9_SI_JZNS1_25segmented_radix_sort_implINS0_14default_configELb0EPK6__halfPSP_PKlPlN2at6native12_GLOBAL__N_18offset_tEEE10hipError_tPvRmT1_PNSt15iterator_traitsIS13_E10value_typeET2_T3_PNS14_IS19_E10value_typeET4_jRbjT5_S1F_jjP12ihipStream_tbEUljE_ZNSN_ISO_Lb0ESR_SS_SU_SV_SZ_EES10_S11_S12_S13_S17_S18_S19_S1C_S1D_jS1E_jS1F_S1F_jjS1H_bEUljE0_EEES10_S11_S12_S19_S1D_S1F_T6_T7_T9_mT8_S1H_bDpT10_ENKUlT_T0_E_clISt17integral_constantIbLb0EES1V_EEDaS1Q_S1R_EUlS1Q_E_NS1_11comp_targetILNS1_3genE8ELNS1_11target_archE1030ELNS1_3gpuE2ELNS1_3repE0EEENS1_30default_config_static_selectorELNS0_4arch9wavefront6targetE0EEEvS13_.uses_flat_scratch, 0
	.set _ZN7rocprim17ROCPRIM_400000_NS6detail17trampoline_kernelINS0_13select_configILj256ELj13ELNS0_17block_load_methodE3ELS4_3ELS4_3ELNS0_20block_scan_algorithmE0ELj4294967295EEENS1_25partition_config_selectorILNS1_17partition_subalgoE4EjNS0_10empty_typeEbEEZZNS1_14partition_implILS8_4ELb0ES6_15HIP_vector_typeIjLj2EENS0_17counting_iteratorIjlEEPS9_SG_NS0_5tupleIJPjSI_NS0_16reverse_iteratorISI_EEEEENSH_IJSG_SG_SG_EEES9_SI_JZNS1_25segmented_radix_sort_implINS0_14default_configELb0EPK6__halfPSP_PKlPlN2at6native12_GLOBAL__N_18offset_tEEE10hipError_tPvRmT1_PNSt15iterator_traitsIS13_E10value_typeET2_T3_PNS14_IS19_E10value_typeET4_jRbjT5_S1F_jjP12ihipStream_tbEUljE_ZNSN_ISO_Lb0ESR_SS_SU_SV_SZ_EES10_S11_S12_S13_S17_S18_S19_S1C_S1D_jS1E_jS1F_S1F_jjS1H_bEUljE0_EEES10_S11_S12_S19_S1D_S1F_T6_T7_T9_mT8_S1H_bDpT10_ENKUlT_T0_E_clISt17integral_constantIbLb0EES1V_EEDaS1Q_S1R_EUlS1Q_E_NS1_11comp_targetILNS1_3genE8ELNS1_11target_archE1030ELNS1_3gpuE2ELNS1_3repE0EEENS1_30default_config_static_selectorELNS0_4arch9wavefront6targetE0EEEvS13_.has_dyn_sized_stack, 0
	.set _ZN7rocprim17ROCPRIM_400000_NS6detail17trampoline_kernelINS0_13select_configILj256ELj13ELNS0_17block_load_methodE3ELS4_3ELS4_3ELNS0_20block_scan_algorithmE0ELj4294967295EEENS1_25partition_config_selectorILNS1_17partition_subalgoE4EjNS0_10empty_typeEbEEZZNS1_14partition_implILS8_4ELb0ES6_15HIP_vector_typeIjLj2EENS0_17counting_iteratorIjlEEPS9_SG_NS0_5tupleIJPjSI_NS0_16reverse_iteratorISI_EEEEENSH_IJSG_SG_SG_EEES9_SI_JZNS1_25segmented_radix_sort_implINS0_14default_configELb0EPK6__halfPSP_PKlPlN2at6native12_GLOBAL__N_18offset_tEEE10hipError_tPvRmT1_PNSt15iterator_traitsIS13_E10value_typeET2_T3_PNS14_IS19_E10value_typeET4_jRbjT5_S1F_jjP12ihipStream_tbEUljE_ZNSN_ISO_Lb0ESR_SS_SU_SV_SZ_EES10_S11_S12_S13_S17_S18_S19_S1C_S1D_jS1E_jS1F_S1F_jjS1H_bEUljE0_EEES10_S11_S12_S19_S1D_S1F_T6_T7_T9_mT8_S1H_bDpT10_ENKUlT_T0_E_clISt17integral_constantIbLb0EES1V_EEDaS1Q_S1R_EUlS1Q_E_NS1_11comp_targetILNS1_3genE8ELNS1_11target_archE1030ELNS1_3gpuE2ELNS1_3repE0EEENS1_30default_config_static_selectorELNS0_4arch9wavefront6targetE0EEEvS13_.has_recursion, 0
	.set _ZN7rocprim17ROCPRIM_400000_NS6detail17trampoline_kernelINS0_13select_configILj256ELj13ELNS0_17block_load_methodE3ELS4_3ELS4_3ELNS0_20block_scan_algorithmE0ELj4294967295EEENS1_25partition_config_selectorILNS1_17partition_subalgoE4EjNS0_10empty_typeEbEEZZNS1_14partition_implILS8_4ELb0ES6_15HIP_vector_typeIjLj2EENS0_17counting_iteratorIjlEEPS9_SG_NS0_5tupleIJPjSI_NS0_16reverse_iteratorISI_EEEEENSH_IJSG_SG_SG_EEES9_SI_JZNS1_25segmented_radix_sort_implINS0_14default_configELb0EPK6__halfPSP_PKlPlN2at6native12_GLOBAL__N_18offset_tEEE10hipError_tPvRmT1_PNSt15iterator_traitsIS13_E10value_typeET2_T3_PNS14_IS19_E10value_typeET4_jRbjT5_S1F_jjP12ihipStream_tbEUljE_ZNSN_ISO_Lb0ESR_SS_SU_SV_SZ_EES10_S11_S12_S13_S17_S18_S19_S1C_S1D_jS1E_jS1F_S1F_jjS1H_bEUljE0_EEES10_S11_S12_S19_S1D_S1F_T6_T7_T9_mT8_S1H_bDpT10_ENKUlT_T0_E_clISt17integral_constantIbLb0EES1V_EEDaS1Q_S1R_EUlS1Q_E_NS1_11comp_targetILNS1_3genE8ELNS1_11target_archE1030ELNS1_3gpuE2ELNS1_3repE0EEENS1_30default_config_static_selectorELNS0_4arch9wavefront6targetE0EEEvS13_.has_indirect_call, 0
	.section	.AMDGPU.csdata,"",@progbits
; Kernel info:
; codeLenInByte = 16236
; TotalNumSgprs: 61
; NumVgprs: 82
; ScratchSize: 0
; MemoryBound: 0
; FloatMode: 240
; IeeeMode: 1
; LDSByteSize: 13328 bytes/workgroup (compile time only)
; SGPRBlocks: 0
; VGPRBlocks: 10
; NumSGPRsForWavesPerEU: 61
; NumVGPRsForWavesPerEU: 82
; Occupancy: 10
; WaveLimiterHint : 1
; COMPUTE_PGM_RSRC2:SCRATCH_EN: 0
; COMPUTE_PGM_RSRC2:USER_SGPR: 6
; COMPUTE_PGM_RSRC2:TRAP_HANDLER: 0
; COMPUTE_PGM_RSRC2:TGID_X_EN: 1
; COMPUTE_PGM_RSRC2:TGID_Y_EN: 0
; COMPUTE_PGM_RSRC2:TGID_Z_EN: 0
; COMPUTE_PGM_RSRC2:TIDIG_COMP_CNT: 0
	.section	.text._ZN7rocprim17ROCPRIM_400000_NS6detail17trampoline_kernelINS0_13select_configILj256ELj13ELNS0_17block_load_methodE3ELS4_3ELS4_3ELNS0_20block_scan_algorithmE0ELj4294967295EEENS1_25partition_config_selectorILNS1_17partition_subalgoE4EjNS0_10empty_typeEbEEZZNS1_14partition_implILS8_4ELb0ES6_15HIP_vector_typeIjLj2EENS0_17counting_iteratorIjlEEPS9_SG_NS0_5tupleIJPjSI_NS0_16reverse_iteratorISI_EEEEENSH_IJSG_SG_SG_EEES9_SI_JZNS1_25segmented_radix_sort_implINS0_14default_configELb0EPK6__halfPSP_PKlPlN2at6native12_GLOBAL__N_18offset_tEEE10hipError_tPvRmT1_PNSt15iterator_traitsIS13_E10value_typeET2_T3_PNS14_IS19_E10value_typeET4_jRbjT5_S1F_jjP12ihipStream_tbEUljE_ZNSN_ISO_Lb0ESR_SS_SU_SV_SZ_EES10_S11_S12_S13_S17_S18_S19_S1C_S1D_jS1E_jS1F_S1F_jjS1H_bEUljE0_EEES10_S11_S12_S19_S1D_S1F_T6_T7_T9_mT8_S1H_bDpT10_ENKUlT_T0_E_clISt17integral_constantIbLb1EES1V_EEDaS1Q_S1R_EUlS1Q_E_NS1_11comp_targetILNS1_3genE0ELNS1_11target_archE4294967295ELNS1_3gpuE0ELNS1_3repE0EEENS1_30default_config_static_selectorELNS0_4arch9wavefront6targetE0EEEvS13_,"axG",@progbits,_ZN7rocprim17ROCPRIM_400000_NS6detail17trampoline_kernelINS0_13select_configILj256ELj13ELNS0_17block_load_methodE3ELS4_3ELS4_3ELNS0_20block_scan_algorithmE0ELj4294967295EEENS1_25partition_config_selectorILNS1_17partition_subalgoE4EjNS0_10empty_typeEbEEZZNS1_14partition_implILS8_4ELb0ES6_15HIP_vector_typeIjLj2EENS0_17counting_iteratorIjlEEPS9_SG_NS0_5tupleIJPjSI_NS0_16reverse_iteratorISI_EEEEENSH_IJSG_SG_SG_EEES9_SI_JZNS1_25segmented_radix_sort_implINS0_14default_configELb0EPK6__halfPSP_PKlPlN2at6native12_GLOBAL__N_18offset_tEEE10hipError_tPvRmT1_PNSt15iterator_traitsIS13_E10value_typeET2_T3_PNS14_IS19_E10value_typeET4_jRbjT5_S1F_jjP12ihipStream_tbEUljE_ZNSN_ISO_Lb0ESR_SS_SU_SV_SZ_EES10_S11_S12_S13_S17_S18_S19_S1C_S1D_jS1E_jS1F_S1F_jjS1H_bEUljE0_EEES10_S11_S12_S19_S1D_S1F_T6_T7_T9_mT8_S1H_bDpT10_ENKUlT_T0_E_clISt17integral_constantIbLb1EES1V_EEDaS1Q_S1R_EUlS1Q_E_NS1_11comp_targetILNS1_3genE0ELNS1_11target_archE4294967295ELNS1_3gpuE0ELNS1_3repE0EEENS1_30default_config_static_selectorELNS0_4arch9wavefront6targetE0EEEvS13_,comdat
	.globl	_ZN7rocprim17ROCPRIM_400000_NS6detail17trampoline_kernelINS0_13select_configILj256ELj13ELNS0_17block_load_methodE3ELS4_3ELS4_3ELNS0_20block_scan_algorithmE0ELj4294967295EEENS1_25partition_config_selectorILNS1_17partition_subalgoE4EjNS0_10empty_typeEbEEZZNS1_14partition_implILS8_4ELb0ES6_15HIP_vector_typeIjLj2EENS0_17counting_iteratorIjlEEPS9_SG_NS0_5tupleIJPjSI_NS0_16reverse_iteratorISI_EEEEENSH_IJSG_SG_SG_EEES9_SI_JZNS1_25segmented_radix_sort_implINS0_14default_configELb0EPK6__halfPSP_PKlPlN2at6native12_GLOBAL__N_18offset_tEEE10hipError_tPvRmT1_PNSt15iterator_traitsIS13_E10value_typeET2_T3_PNS14_IS19_E10value_typeET4_jRbjT5_S1F_jjP12ihipStream_tbEUljE_ZNSN_ISO_Lb0ESR_SS_SU_SV_SZ_EES10_S11_S12_S13_S17_S18_S19_S1C_S1D_jS1E_jS1F_S1F_jjS1H_bEUljE0_EEES10_S11_S12_S19_S1D_S1F_T6_T7_T9_mT8_S1H_bDpT10_ENKUlT_T0_E_clISt17integral_constantIbLb1EES1V_EEDaS1Q_S1R_EUlS1Q_E_NS1_11comp_targetILNS1_3genE0ELNS1_11target_archE4294967295ELNS1_3gpuE0ELNS1_3repE0EEENS1_30default_config_static_selectorELNS0_4arch9wavefront6targetE0EEEvS13_ ; -- Begin function _ZN7rocprim17ROCPRIM_400000_NS6detail17trampoline_kernelINS0_13select_configILj256ELj13ELNS0_17block_load_methodE3ELS4_3ELS4_3ELNS0_20block_scan_algorithmE0ELj4294967295EEENS1_25partition_config_selectorILNS1_17partition_subalgoE4EjNS0_10empty_typeEbEEZZNS1_14partition_implILS8_4ELb0ES6_15HIP_vector_typeIjLj2EENS0_17counting_iteratorIjlEEPS9_SG_NS0_5tupleIJPjSI_NS0_16reverse_iteratorISI_EEEEENSH_IJSG_SG_SG_EEES9_SI_JZNS1_25segmented_radix_sort_implINS0_14default_configELb0EPK6__halfPSP_PKlPlN2at6native12_GLOBAL__N_18offset_tEEE10hipError_tPvRmT1_PNSt15iterator_traitsIS13_E10value_typeET2_T3_PNS14_IS19_E10value_typeET4_jRbjT5_S1F_jjP12ihipStream_tbEUljE_ZNSN_ISO_Lb0ESR_SS_SU_SV_SZ_EES10_S11_S12_S13_S17_S18_S19_S1C_S1D_jS1E_jS1F_S1F_jjS1H_bEUljE0_EEES10_S11_S12_S19_S1D_S1F_T6_T7_T9_mT8_S1H_bDpT10_ENKUlT_T0_E_clISt17integral_constantIbLb1EES1V_EEDaS1Q_S1R_EUlS1Q_E_NS1_11comp_targetILNS1_3genE0ELNS1_11target_archE4294967295ELNS1_3gpuE0ELNS1_3repE0EEENS1_30default_config_static_selectorELNS0_4arch9wavefront6targetE0EEEvS13_
	.p2align	8
	.type	_ZN7rocprim17ROCPRIM_400000_NS6detail17trampoline_kernelINS0_13select_configILj256ELj13ELNS0_17block_load_methodE3ELS4_3ELS4_3ELNS0_20block_scan_algorithmE0ELj4294967295EEENS1_25partition_config_selectorILNS1_17partition_subalgoE4EjNS0_10empty_typeEbEEZZNS1_14partition_implILS8_4ELb0ES6_15HIP_vector_typeIjLj2EENS0_17counting_iteratorIjlEEPS9_SG_NS0_5tupleIJPjSI_NS0_16reverse_iteratorISI_EEEEENSH_IJSG_SG_SG_EEES9_SI_JZNS1_25segmented_radix_sort_implINS0_14default_configELb0EPK6__halfPSP_PKlPlN2at6native12_GLOBAL__N_18offset_tEEE10hipError_tPvRmT1_PNSt15iterator_traitsIS13_E10value_typeET2_T3_PNS14_IS19_E10value_typeET4_jRbjT5_S1F_jjP12ihipStream_tbEUljE_ZNSN_ISO_Lb0ESR_SS_SU_SV_SZ_EES10_S11_S12_S13_S17_S18_S19_S1C_S1D_jS1E_jS1F_S1F_jjS1H_bEUljE0_EEES10_S11_S12_S19_S1D_S1F_T6_T7_T9_mT8_S1H_bDpT10_ENKUlT_T0_E_clISt17integral_constantIbLb1EES1V_EEDaS1Q_S1R_EUlS1Q_E_NS1_11comp_targetILNS1_3genE0ELNS1_11target_archE4294967295ELNS1_3gpuE0ELNS1_3repE0EEENS1_30default_config_static_selectorELNS0_4arch9wavefront6targetE0EEEvS13_,@function
_ZN7rocprim17ROCPRIM_400000_NS6detail17trampoline_kernelINS0_13select_configILj256ELj13ELNS0_17block_load_methodE3ELS4_3ELS4_3ELNS0_20block_scan_algorithmE0ELj4294967295EEENS1_25partition_config_selectorILNS1_17partition_subalgoE4EjNS0_10empty_typeEbEEZZNS1_14partition_implILS8_4ELb0ES6_15HIP_vector_typeIjLj2EENS0_17counting_iteratorIjlEEPS9_SG_NS0_5tupleIJPjSI_NS0_16reverse_iteratorISI_EEEEENSH_IJSG_SG_SG_EEES9_SI_JZNS1_25segmented_radix_sort_implINS0_14default_configELb0EPK6__halfPSP_PKlPlN2at6native12_GLOBAL__N_18offset_tEEE10hipError_tPvRmT1_PNSt15iterator_traitsIS13_E10value_typeET2_T3_PNS14_IS19_E10value_typeET4_jRbjT5_S1F_jjP12ihipStream_tbEUljE_ZNSN_ISO_Lb0ESR_SS_SU_SV_SZ_EES10_S11_S12_S13_S17_S18_S19_S1C_S1D_jS1E_jS1F_S1F_jjS1H_bEUljE0_EEES10_S11_S12_S19_S1D_S1F_T6_T7_T9_mT8_S1H_bDpT10_ENKUlT_T0_E_clISt17integral_constantIbLb1EES1V_EEDaS1Q_S1R_EUlS1Q_E_NS1_11comp_targetILNS1_3genE0ELNS1_11target_archE4294967295ELNS1_3gpuE0ELNS1_3repE0EEENS1_30default_config_static_selectorELNS0_4arch9wavefront6targetE0EEEvS13_: ; @_ZN7rocprim17ROCPRIM_400000_NS6detail17trampoline_kernelINS0_13select_configILj256ELj13ELNS0_17block_load_methodE3ELS4_3ELS4_3ELNS0_20block_scan_algorithmE0ELj4294967295EEENS1_25partition_config_selectorILNS1_17partition_subalgoE4EjNS0_10empty_typeEbEEZZNS1_14partition_implILS8_4ELb0ES6_15HIP_vector_typeIjLj2EENS0_17counting_iteratorIjlEEPS9_SG_NS0_5tupleIJPjSI_NS0_16reverse_iteratorISI_EEEEENSH_IJSG_SG_SG_EEES9_SI_JZNS1_25segmented_radix_sort_implINS0_14default_configELb0EPK6__halfPSP_PKlPlN2at6native12_GLOBAL__N_18offset_tEEE10hipError_tPvRmT1_PNSt15iterator_traitsIS13_E10value_typeET2_T3_PNS14_IS19_E10value_typeET4_jRbjT5_S1F_jjP12ihipStream_tbEUljE_ZNSN_ISO_Lb0ESR_SS_SU_SV_SZ_EES10_S11_S12_S13_S17_S18_S19_S1C_S1D_jS1E_jS1F_S1F_jjS1H_bEUljE0_EEES10_S11_S12_S19_S1D_S1F_T6_T7_T9_mT8_S1H_bDpT10_ENKUlT_T0_E_clISt17integral_constantIbLb1EES1V_EEDaS1Q_S1R_EUlS1Q_E_NS1_11comp_targetILNS1_3genE0ELNS1_11target_archE4294967295ELNS1_3gpuE0ELNS1_3repE0EEENS1_30default_config_static_selectorELNS0_4arch9wavefront6targetE0EEEvS13_
; %bb.0:
	.section	.rodata,"a",@progbits
	.p2align	6, 0x0
	.amdhsa_kernel _ZN7rocprim17ROCPRIM_400000_NS6detail17trampoline_kernelINS0_13select_configILj256ELj13ELNS0_17block_load_methodE3ELS4_3ELS4_3ELNS0_20block_scan_algorithmE0ELj4294967295EEENS1_25partition_config_selectorILNS1_17partition_subalgoE4EjNS0_10empty_typeEbEEZZNS1_14partition_implILS8_4ELb0ES6_15HIP_vector_typeIjLj2EENS0_17counting_iteratorIjlEEPS9_SG_NS0_5tupleIJPjSI_NS0_16reverse_iteratorISI_EEEEENSH_IJSG_SG_SG_EEES9_SI_JZNS1_25segmented_radix_sort_implINS0_14default_configELb0EPK6__halfPSP_PKlPlN2at6native12_GLOBAL__N_18offset_tEEE10hipError_tPvRmT1_PNSt15iterator_traitsIS13_E10value_typeET2_T3_PNS14_IS19_E10value_typeET4_jRbjT5_S1F_jjP12ihipStream_tbEUljE_ZNSN_ISO_Lb0ESR_SS_SU_SV_SZ_EES10_S11_S12_S13_S17_S18_S19_S1C_S1D_jS1E_jS1F_S1F_jjS1H_bEUljE0_EEES10_S11_S12_S19_S1D_S1F_T6_T7_T9_mT8_S1H_bDpT10_ENKUlT_T0_E_clISt17integral_constantIbLb1EES1V_EEDaS1Q_S1R_EUlS1Q_E_NS1_11comp_targetILNS1_3genE0ELNS1_11target_archE4294967295ELNS1_3gpuE0ELNS1_3repE0EEENS1_30default_config_static_selectorELNS0_4arch9wavefront6targetE0EEEvS13_
		.amdhsa_group_segment_fixed_size 0
		.amdhsa_private_segment_fixed_size 0
		.amdhsa_kernarg_size 184
		.amdhsa_user_sgpr_count 6
		.amdhsa_user_sgpr_private_segment_buffer 1
		.amdhsa_user_sgpr_dispatch_ptr 0
		.amdhsa_user_sgpr_queue_ptr 0
		.amdhsa_user_sgpr_kernarg_segment_ptr 1
		.amdhsa_user_sgpr_dispatch_id 0
		.amdhsa_user_sgpr_flat_scratch_init 0
		.amdhsa_user_sgpr_private_segment_size 0
		.amdhsa_wavefront_size32 1
		.amdhsa_uses_dynamic_stack 0
		.amdhsa_system_sgpr_private_segment_wavefront_offset 0
		.amdhsa_system_sgpr_workgroup_id_x 1
		.amdhsa_system_sgpr_workgroup_id_y 0
		.amdhsa_system_sgpr_workgroup_id_z 0
		.amdhsa_system_sgpr_workgroup_info 0
		.amdhsa_system_vgpr_workitem_id 0
		.amdhsa_next_free_vgpr 1
		.amdhsa_next_free_sgpr 1
		.amdhsa_reserve_vcc 0
		.amdhsa_reserve_flat_scratch 0
		.amdhsa_float_round_mode_32 0
		.amdhsa_float_round_mode_16_64 0
		.amdhsa_float_denorm_mode_32 3
		.amdhsa_float_denorm_mode_16_64 3
		.amdhsa_dx10_clamp 1
		.amdhsa_ieee_mode 1
		.amdhsa_fp16_overflow 0
		.amdhsa_workgroup_processor_mode 1
		.amdhsa_memory_ordered 1
		.amdhsa_forward_progress 1
		.amdhsa_shared_vgpr_count 0
		.amdhsa_exception_fp_ieee_invalid_op 0
		.amdhsa_exception_fp_denorm_src 0
		.amdhsa_exception_fp_ieee_div_zero 0
		.amdhsa_exception_fp_ieee_overflow 0
		.amdhsa_exception_fp_ieee_underflow 0
		.amdhsa_exception_fp_ieee_inexact 0
		.amdhsa_exception_int_div_zero 0
	.end_amdhsa_kernel
	.section	.text._ZN7rocprim17ROCPRIM_400000_NS6detail17trampoline_kernelINS0_13select_configILj256ELj13ELNS0_17block_load_methodE3ELS4_3ELS4_3ELNS0_20block_scan_algorithmE0ELj4294967295EEENS1_25partition_config_selectorILNS1_17partition_subalgoE4EjNS0_10empty_typeEbEEZZNS1_14partition_implILS8_4ELb0ES6_15HIP_vector_typeIjLj2EENS0_17counting_iteratorIjlEEPS9_SG_NS0_5tupleIJPjSI_NS0_16reverse_iteratorISI_EEEEENSH_IJSG_SG_SG_EEES9_SI_JZNS1_25segmented_radix_sort_implINS0_14default_configELb0EPK6__halfPSP_PKlPlN2at6native12_GLOBAL__N_18offset_tEEE10hipError_tPvRmT1_PNSt15iterator_traitsIS13_E10value_typeET2_T3_PNS14_IS19_E10value_typeET4_jRbjT5_S1F_jjP12ihipStream_tbEUljE_ZNSN_ISO_Lb0ESR_SS_SU_SV_SZ_EES10_S11_S12_S13_S17_S18_S19_S1C_S1D_jS1E_jS1F_S1F_jjS1H_bEUljE0_EEES10_S11_S12_S19_S1D_S1F_T6_T7_T9_mT8_S1H_bDpT10_ENKUlT_T0_E_clISt17integral_constantIbLb1EES1V_EEDaS1Q_S1R_EUlS1Q_E_NS1_11comp_targetILNS1_3genE0ELNS1_11target_archE4294967295ELNS1_3gpuE0ELNS1_3repE0EEENS1_30default_config_static_selectorELNS0_4arch9wavefront6targetE0EEEvS13_,"axG",@progbits,_ZN7rocprim17ROCPRIM_400000_NS6detail17trampoline_kernelINS0_13select_configILj256ELj13ELNS0_17block_load_methodE3ELS4_3ELS4_3ELNS0_20block_scan_algorithmE0ELj4294967295EEENS1_25partition_config_selectorILNS1_17partition_subalgoE4EjNS0_10empty_typeEbEEZZNS1_14partition_implILS8_4ELb0ES6_15HIP_vector_typeIjLj2EENS0_17counting_iteratorIjlEEPS9_SG_NS0_5tupleIJPjSI_NS0_16reverse_iteratorISI_EEEEENSH_IJSG_SG_SG_EEES9_SI_JZNS1_25segmented_radix_sort_implINS0_14default_configELb0EPK6__halfPSP_PKlPlN2at6native12_GLOBAL__N_18offset_tEEE10hipError_tPvRmT1_PNSt15iterator_traitsIS13_E10value_typeET2_T3_PNS14_IS19_E10value_typeET4_jRbjT5_S1F_jjP12ihipStream_tbEUljE_ZNSN_ISO_Lb0ESR_SS_SU_SV_SZ_EES10_S11_S12_S13_S17_S18_S19_S1C_S1D_jS1E_jS1F_S1F_jjS1H_bEUljE0_EEES10_S11_S12_S19_S1D_S1F_T6_T7_T9_mT8_S1H_bDpT10_ENKUlT_T0_E_clISt17integral_constantIbLb1EES1V_EEDaS1Q_S1R_EUlS1Q_E_NS1_11comp_targetILNS1_3genE0ELNS1_11target_archE4294967295ELNS1_3gpuE0ELNS1_3repE0EEENS1_30default_config_static_selectorELNS0_4arch9wavefront6targetE0EEEvS13_,comdat
.Lfunc_end1776:
	.size	_ZN7rocprim17ROCPRIM_400000_NS6detail17trampoline_kernelINS0_13select_configILj256ELj13ELNS0_17block_load_methodE3ELS4_3ELS4_3ELNS0_20block_scan_algorithmE0ELj4294967295EEENS1_25partition_config_selectorILNS1_17partition_subalgoE4EjNS0_10empty_typeEbEEZZNS1_14partition_implILS8_4ELb0ES6_15HIP_vector_typeIjLj2EENS0_17counting_iteratorIjlEEPS9_SG_NS0_5tupleIJPjSI_NS0_16reverse_iteratorISI_EEEEENSH_IJSG_SG_SG_EEES9_SI_JZNS1_25segmented_radix_sort_implINS0_14default_configELb0EPK6__halfPSP_PKlPlN2at6native12_GLOBAL__N_18offset_tEEE10hipError_tPvRmT1_PNSt15iterator_traitsIS13_E10value_typeET2_T3_PNS14_IS19_E10value_typeET4_jRbjT5_S1F_jjP12ihipStream_tbEUljE_ZNSN_ISO_Lb0ESR_SS_SU_SV_SZ_EES10_S11_S12_S13_S17_S18_S19_S1C_S1D_jS1E_jS1F_S1F_jjS1H_bEUljE0_EEES10_S11_S12_S19_S1D_S1F_T6_T7_T9_mT8_S1H_bDpT10_ENKUlT_T0_E_clISt17integral_constantIbLb1EES1V_EEDaS1Q_S1R_EUlS1Q_E_NS1_11comp_targetILNS1_3genE0ELNS1_11target_archE4294967295ELNS1_3gpuE0ELNS1_3repE0EEENS1_30default_config_static_selectorELNS0_4arch9wavefront6targetE0EEEvS13_, .Lfunc_end1776-_ZN7rocprim17ROCPRIM_400000_NS6detail17trampoline_kernelINS0_13select_configILj256ELj13ELNS0_17block_load_methodE3ELS4_3ELS4_3ELNS0_20block_scan_algorithmE0ELj4294967295EEENS1_25partition_config_selectorILNS1_17partition_subalgoE4EjNS0_10empty_typeEbEEZZNS1_14partition_implILS8_4ELb0ES6_15HIP_vector_typeIjLj2EENS0_17counting_iteratorIjlEEPS9_SG_NS0_5tupleIJPjSI_NS0_16reverse_iteratorISI_EEEEENSH_IJSG_SG_SG_EEES9_SI_JZNS1_25segmented_radix_sort_implINS0_14default_configELb0EPK6__halfPSP_PKlPlN2at6native12_GLOBAL__N_18offset_tEEE10hipError_tPvRmT1_PNSt15iterator_traitsIS13_E10value_typeET2_T3_PNS14_IS19_E10value_typeET4_jRbjT5_S1F_jjP12ihipStream_tbEUljE_ZNSN_ISO_Lb0ESR_SS_SU_SV_SZ_EES10_S11_S12_S13_S17_S18_S19_S1C_S1D_jS1E_jS1F_S1F_jjS1H_bEUljE0_EEES10_S11_S12_S19_S1D_S1F_T6_T7_T9_mT8_S1H_bDpT10_ENKUlT_T0_E_clISt17integral_constantIbLb1EES1V_EEDaS1Q_S1R_EUlS1Q_E_NS1_11comp_targetILNS1_3genE0ELNS1_11target_archE4294967295ELNS1_3gpuE0ELNS1_3repE0EEENS1_30default_config_static_selectorELNS0_4arch9wavefront6targetE0EEEvS13_
                                        ; -- End function
	.set _ZN7rocprim17ROCPRIM_400000_NS6detail17trampoline_kernelINS0_13select_configILj256ELj13ELNS0_17block_load_methodE3ELS4_3ELS4_3ELNS0_20block_scan_algorithmE0ELj4294967295EEENS1_25partition_config_selectorILNS1_17partition_subalgoE4EjNS0_10empty_typeEbEEZZNS1_14partition_implILS8_4ELb0ES6_15HIP_vector_typeIjLj2EENS0_17counting_iteratorIjlEEPS9_SG_NS0_5tupleIJPjSI_NS0_16reverse_iteratorISI_EEEEENSH_IJSG_SG_SG_EEES9_SI_JZNS1_25segmented_radix_sort_implINS0_14default_configELb0EPK6__halfPSP_PKlPlN2at6native12_GLOBAL__N_18offset_tEEE10hipError_tPvRmT1_PNSt15iterator_traitsIS13_E10value_typeET2_T3_PNS14_IS19_E10value_typeET4_jRbjT5_S1F_jjP12ihipStream_tbEUljE_ZNSN_ISO_Lb0ESR_SS_SU_SV_SZ_EES10_S11_S12_S13_S17_S18_S19_S1C_S1D_jS1E_jS1F_S1F_jjS1H_bEUljE0_EEES10_S11_S12_S19_S1D_S1F_T6_T7_T9_mT8_S1H_bDpT10_ENKUlT_T0_E_clISt17integral_constantIbLb1EES1V_EEDaS1Q_S1R_EUlS1Q_E_NS1_11comp_targetILNS1_3genE0ELNS1_11target_archE4294967295ELNS1_3gpuE0ELNS1_3repE0EEENS1_30default_config_static_selectorELNS0_4arch9wavefront6targetE0EEEvS13_.num_vgpr, 0
	.set _ZN7rocprim17ROCPRIM_400000_NS6detail17trampoline_kernelINS0_13select_configILj256ELj13ELNS0_17block_load_methodE3ELS4_3ELS4_3ELNS0_20block_scan_algorithmE0ELj4294967295EEENS1_25partition_config_selectorILNS1_17partition_subalgoE4EjNS0_10empty_typeEbEEZZNS1_14partition_implILS8_4ELb0ES6_15HIP_vector_typeIjLj2EENS0_17counting_iteratorIjlEEPS9_SG_NS0_5tupleIJPjSI_NS0_16reverse_iteratorISI_EEEEENSH_IJSG_SG_SG_EEES9_SI_JZNS1_25segmented_radix_sort_implINS0_14default_configELb0EPK6__halfPSP_PKlPlN2at6native12_GLOBAL__N_18offset_tEEE10hipError_tPvRmT1_PNSt15iterator_traitsIS13_E10value_typeET2_T3_PNS14_IS19_E10value_typeET4_jRbjT5_S1F_jjP12ihipStream_tbEUljE_ZNSN_ISO_Lb0ESR_SS_SU_SV_SZ_EES10_S11_S12_S13_S17_S18_S19_S1C_S1D_jS1E_jS1F_S1F_jjS1H_bEUljE0_EEES10_S11_S12_S19_S1D_S1F_T6_T7_T9_mT8_S1H_bDpT10_ENKUlT_T0_E_clISt17integral_constantIbLb1EES1V_EEDaS1Q_S1R_EUlS1Q_E_NS1_11comp_targetILNS1_3genE0ELNS1_11target_archE4294967295ELNS1_3gpuE0ELNS1_3repE0EEENS1_30default_config_static_selectorELNS0_4arch9wavefront6targetE0EEEvS13_.num_agpr, 0
	.set _ZN7rocprim17ROCPRIM_400000_NS6detail17trampoline_kernelINS0_13select_configILj256ELj13ELNS0_17block_load_methodE3ELS4_3ELS4_3ELNS0_20block_scan_algorithmE0ELj4294967295EEENS1_25partition_config_selectorILNS1_17partition_subalgoE4EjNS0_10empty_typeEbEEZZNS1_14partition_implILS8_4ELb0ES6_15HIP_vector_typeIjLj2EENS0_17counting_iteratorIjlEEPS9_SG_NS0_5tupleIJPjSI_NS0_16reverse_iteratorISI_EEEEENSH_IJSG_SG_SG_EEES9_SI_JZNS1_25segmented_radix_sort_implINS0_14default_configELb0EPK6__halfPSP_PKlPlN2at6native12_GLOBAL__N_18offset_tEEE10hipError_tPvRmT1_PNSt15iterator_traitsIS13_E10value_typeET2_T3_PNS14_IS19_E10value_typeET4_jRbjT5_S1F_jjP12ihipStream_tbEUljE_ZNSN_ISO_Lb0ESR_SS_SU_SV_SZ_EES10_S11_S12_S13_S17_S18_S19_S1C_S1D_jS1E_jS1F_S1F_jjS1H_bEUljE0_EEES10_S11_S12_S19_S1D_S1F_T6_T7_T9_mT8_S1H_bDpT10_ENKUlT_T0_E_clISt17integral_constantIbLb1EES1V_EEDaS1Q_S1R_EUlS1Q_E_NS1_11comp_targetILNS1_3genE0ELNS1_11target_archE4294967295ELNS1_3gpuE0ELNS1_3repE0EEENS1_30default_config_static_selectorELNS0_4arch9wavefront6targetE0EEEvS13_.numbered_sgpr, 0
	.set _ZN7rocprim17ROCPRIM_400000_NS6detail17trampoline_kernelINS0_13select_configILj256ELj13ELNS0_17block_load_methodE3ELS4_3ELS4_3ELNS0_20block_scan_algorithmE0ELj4294967295EEENS1_25partition_config_selectorILNS1_17partition_subalgoE4EjNS0_10empty_typeEbEEZZNS1_14partition_implILS8_4ELb0ES6_15HIP_vector_typeIjLj2EENS0_17counting_iteratorIjlEEPS9_SG_NS0_5tupleIJPjSI_NS0_16reverse_iteratorISI_EEEEENSH_IJSG_SG_SG_EEES9_SI_JZNS1_25segmented_radix_sort_implINS0_14default_configELb0EPK6__halfPSP_PKlPlN2at6native12_GLOBAL__N_18offset_tEEE10hipError_tPvRmT1_PNSt15iterator_traitsIS13_E10value_typeET2_T3_PNS14_IS19_E10value_typeET4_jRbjT5_S1F_jjP12ihipStream_tbEUljE_ZNSN_ISO_Lb0ESR_SS_SU_SV_SZ_EES10_S11_S12_S13_S17_S18_S19_S1C_S1D_jS1E_jS1F_S1F_jjS1H_bEUljE0_EEES10_S11_S12_S19_S1D_S1F_T6_T7_T9_mT8_S1H_bDpT10_ENKUlT_T0_E_clISt17integral_constantIbLb1EES1V_EEDaS1Q_S1R_EUlS1Q_E_NS1_11comp_targetILNS1_3genE0ELNS1_11target_archE4294967295ELNS1_3gpuE0ELNS1_3repE0EEENS1_30default_config_static_selectorELNS0_4arch9wavefront6targetE0EEEvS13_.num_named_barrier, 0
	.set _ZN7rocprim17ROCPRIM_400000_NS6detail17trampoline_kernelINS0_13select_configILj256ELj13ELNS0_17block_load_methodE3ELS4_3ELS4_3ELNS0_20block_scan_algorithmE0ELj4294967295EEENS1_25partition_config_selectorILNS1_17partition_subalgoE4EjNS0_10empty_typeEbEEZZNS1_14partition_implILS8_4ELb0ES6_15HIP_vector_typeIjLj2EENS0_17counting_iteratorIjlEEPS9_SG_NS0_5tupleIJPjSI_NS0_16reverse_iteratorISI_EEEEENSH_IJSG_SG_SG_EEES9_SI_JZNS1_25segmented_radix_sort_implINS0_14default_configELb0EPK6__halfPSP_PKlPlN2at6native12_GLOBAL__N_18offset_tEEE10hipError_tPvRmT1_PNSt15iterator_traitsIS13_E10value_typeET2_T3_PNS14_IS19_E10value_typeET4_jRbjT5_S1F_jjP12ihipStream_tbEUljE_ZNSN_ISO_Lb0ESR_SS_SU_SV_SZ_EES10_S11_S12_S13_S17_S18_S19_S1C_S1D_jS1E_jS1F_S1F_jjS1H_bEUljE0_EEES10_S11_S12_S19_S1D_S1F_T6_T7_T9_mT8_S1H_bDpT10_ENKUlT_T0_E_clISt17integral_constantIbLb1EES1V_EEDaS1Q_S1R_EUlS1Q_E_NS1_11comp_targetILNS1_3genE0ELNS1_11target_archE4294967295ELNS1_3gpuE0ELNS1_3repE0EEENS1_30default_config_static_selectorELNS0_4arch9wavefront6targetE0EEEvS13_.private_seg_size, 0
	.set _ZN7rocprim17ROCPRIM_400000_NS6detail17trampoline_kernelINS0_13select_configILj256ELj13ELNS0_17block_load_methodE3ELS4_3ELS4_3ELNS0_20block_scan_algorithmE0ELj4294967295EEENS1_25partition_config_selectorILNS1_17partition_subalgoE4EjNS0_10empty_typeEbEEZZNS1_14partition_implILS8_4ELb0ES6_15HIP_vector_typeIjLj2EENS0_17counting_iteratorIjlEEPS9_SG_NS0_5tupleIJPjSI_NS0_16reverse_iteratorISI_EEEEENSH_IJSG_SG_SG_EEES9_SI_JZNS1_25segmented_radix_sort_implINS0_14default_configELb0EPK6__halfPSP_PKlPlN2at6native12_GLOBAL__N_18offset_tEEE10hipError_tPvRmT1_PNSt15iterator_traitsIS13_E10value_typeET2_T3_PNS14_IS19_E10value_typeET4_jRbjT5_S1F_jjP12ihipStream_tbEUljE_ZNSN_ISO_Lb0ESR_SS_SU_SV_SZ_EES10_S11_S12_S13_S17_S18_S19_S1C_S1D_jS1E_jS1F_S1F_jjS1H_bEUljE0_EEES10_S11_S12_S19_S1D_S1F_T6_T7_T9_mT8_S1H_bDpT10_ENKUlT_T0_E_clISt17integral_constantIbLb1EES1V_EEDaS1Q_S1R_EUlS1Q_E_NS1_11comp_targetILNS1_3genE0ELNS1_11target_archE4294967295ELNS1_3gpuE0ELNS1_3repE0EEENS1_30default_config_static_selectorELNS0_4arch9wavefront6targetE0EEEvS13_.uses_vcc, 0
	.set _ZN7rocprim17ROCPRIM_400000_NS6detail17trampoline_kernelINS0_13select_configILj256ELj13ELNS0_17block_load_methodE3ELS4_3ELS4_3ELNS0_20block_scan_algorithmE0ELj4294967295EEENS1_25partition_config_selectorILNS1_17partition_subalgoE4EjNS0_10empty_typeEbEEZZNS1_14partition_implILS8_4ELb0ES6_15HIP_vector_typeIjLj2EENS0_17counting_iteratorIjlEEPS9_SG_NS0_5tupleIJPjSI_NS0_16reverse_iteratorISI_EEEEENSH_IJSG_SG_SG_EEES9_SI_JZNS1_25segmented_radix_sort_implINS0_14default_configELb0EPK6__halfPSP_PKlPlN2at6native12_GLOBAL__N_18offset_tEEE10hipError_tPvRmT1_PNSt15iterator_traitsIS13_E10value_typeET2_T3_PNS14_IS19_E10value_typeET4_jRbjT5_S1F_jjP12ihipStream_tbEUljE_ZNSN_ISO_Lb0ESR_SS_SU_SV_SZ_EES10_S11_S12_S13_S17_S18_S19_S1C_S1D_jS1E_jS1F_S1F_jjS1H_bEUljE0_EEES10_S11_S12_S19_S1D_S1F_T6_T7_T9_mT8_S1H_bDpT10_ENKUlT_T0_E_clISt17integral_constantIbLb1EES1V_EEDaS1Q_S1R_EUlS1Q_E_NS1_11comp_targetILNS1_3genE0ELNS1_11target_archE4294967295ELNS1_3gpuE0ELNS1_3repE0EEENS1_30default_config_static_selectorELNS0_4arch9wavefront6targetE0EEEvS13_.uses_flat_scratch, 0
	.set _ZN7rocprim17ROCPRIM_400000_NS6detail17trampoline_kernelINS0_13select_configILj256ELj13ELNS0_17block_load_methodE3ELS4_3ELS4_3ELNS0_20block_scan_algorithmE0ELj4294967295EEENS1_25partition_config_selectorILNS1_17partition_subalgoE4EjNS0_10empty_typeEbEEZZNS1_14partition_implILS8_4ELb0ES6_15HIP_vector_typeIjLj2EENS0_17counting_iteratorIjlEEPS9_SG_NS0_5tupleIJPjSI_NS0_16reverse_iteratorISI_EEEEENSH_IJSG_SG_SG_EEES9_SI_JZNS1_25segmented_radix_sort_implINS0_14default_configELb0EPK6__halfPSP_PKlPlN2at6native12_GLOBAL__N_18offset_tEEE10hipError_tPvRmT1_PNSt15iterator_traitsIS13_E10value_typeET2_T3_PNS14_IS19_E10value_typeET4_jRbjT5_S1F_jjP12ihipStream_tbEUljE_ZNSN_ISO_Lb0ESR_SS_SU_SV_SZ_EES10_S11_S12_S13_S17_S18_S19_S1C_S1D_jS1E_jS1F_S1F_jjS1H_bEUljE0_EEES10_S11_S12_S19_S1D_S1F_T6_T7_T9_mT8_S1H_bDpT10_ENKUlT_T0_E_clISt17integral_constantIbLb1EES1V_EEDaS1Q_S1R_EUlS1Q_E_NS1_11comp_targetILNS1_3genE0ELNS1_11target_archE4294967295ELNS1_3gpuE0ELNS1_3repE0EEENS1_30default_config_static_selectorELNS0_4arch9wavefront6targetE0EEEvS13_.has_dyn_sized_stack, 0
	.set _ZN7rocprim17ROCPRIM_400000_NS6detail17trampoline_kernelINS0_13select_configILj256ELj13ELNS0_17block_load_methodE3ELS4_3ELS4_3ELNS0_20block_scan_algorithmE0ELj4294967295EEENS1_25partition_config_selectorILNS1_17partition_subalgoE4EjNS0_10empty_typeEbEEZZNS1_14partition_implILS8_4ELb0ES6_15HIP_vector_typeIjLj2EENS0_17counting_iteratorIjlEEPS9_SG_NS0_5tupleIJPjSI_NS0_16reverse_iteratorISI_EEEEENSH_IJSG_SG_SG_EEES9_SI_JZNS1_25segmented_radix_sort_implINS0_14default_configELb0EPK6__halfPSP_PKlPlN2at6native12_GLOBAL__N_18offset_tEEE10hipError_tPvRmT1_PNSt15iterator_traitsIS13_E10value_typeET2_T3_PNS14_IS19_E10value_typeET4_jRbjT5_S1F_jjP12ihipStream_tbEUljE_ZNSN_ISO_Lb0ESR_SS_SU_SV_SZ_EES10_S11_S12_S13_S17_S18_S19_S1C_S1D_jS1E_jS1F_S1F_jjS1H_bEUljE0_EEES10_S11_S12_S19_S1D_S1F_T6_T7_T9_mT8_S1H_bDpT10_ENKUlT_T0_E_clISt17integral_constantIbLb1EES1V_EEDaS1Q_S1R_EUlS1Q_E_NS1_11comp_targetILNS1_3genE0ELNS1_11target_archE4294967295ELNS1_3gpuE0ELNS1_3repE0EEENS1_30default_config_static_selectorELNS0_4arch9wavefront6targetE0EEEvS13_.has_recursion, 0
	.set _ZN7rocprim17ROCPRIM_400000_NS6detail17trampoline_kernelINS0_13select_configILj256ELj13ELNS0_17block_load_methodE3ELS4_3ELS4_3ELNS0_20block_scan_algorithmE0ELj4294967295EEENS1_25partition_config_selectorILNS1_17partition_subalgoE4EjNS0_10empty_typeEbEEZZNS1_14partition_implILS8_4ELb0ES6_15HIP_vector_typeIjLj2EENS0_17counting_iteratorIjlEEPS9_SG_NS0_5tupleIJPjSI_NS0_16reverse_iteratorISI_EEEEENSH_IJSG_SG_SG_EEES9_SI_JZNS1_25segmented_radix_sort_implINS0_14default_configELb0EPK6__halfPSP_PKlPlN2at6native12_GLOBAL__N_18offset_tEEE10hipError_tPvRmT1_PNSt15iterator_traitsIS13_E10value_typeET2_T3_PNS14_IS19_E10value_typeET4_jRbjT5_S1F_jjP12ihipStream_tbEUljE_ZNSN_ISO_Lb0ESR_SS_SU_SV_SZ_EES10_S11_S12_S13_S17_S18_S19_S1C_S1D_jS1E_jS1F_S1F_jjS1H_bEUljE0_EEES10_S11_S12_S19_S1D_S1F_T6_T7_T9_mT8_S1H_bDpT10_ENKUlT_T0_E_clISt17integral_constantIbLb1EES1V_EEDaS1Q_S1R_EUlS1Q_E_NS1_11comp_targetILNS1_3genE0ELNS1_11target_archE4294967295ELNS1_3gpuE0ELNS1_3repE0EEENS1_30default_config_static_selectorELNS0_4arch9wavefront6targetE0EEEvS13_.has_indirect_call, 0
	.section	.AMDGPU.csdata,"",@progbits
; Kernel info:
; codeLenInByte = 0
; TotalNumSgprs: 0
; NumVgprs: 0
; ScratchSize: 0
; MemoryBound: 0
; FloatMode: 240
; IeeeMode: 1
; LDSByteSize: 0 bytes/workgroup (compile time only)
; SGPRBlocks: 0
; VGPRBlocks: 0
; NumSGPRsForWavesPerEU: 1
; NumVGPRsForWavesPerEU: 1
; Occupancy: 16
; WaveLimiterHint : 0
; COMPUTE_PGM_RSRC2:SCRATCH_EN: 0
; COMPUTE_PGM_RSRC2:USER_SGPR: 6
; COMPUTE_PGM_RSRC2:TRAP_HANDLER: 0
; COMPUTE_PGM_RSRC2:TGID_X_EN: 1
; COMPUTE_PGM_RSRC2:TGID_Y_EN: 0
; COMPUTE_PGM_RSRC2:TGID_Z_EN: 0
; COMPUTE_PGM_RSRC2:TIDIG_COMP_CNT: 0
	.section	.text._ZN7rocprim17ROCPRIM_400000_NS6detail17trampoline_kernelINS0_13select_configILj256ELj13ELNS0_17block_load_methodE3ELS4_3ELS4_3ELNS0_20block_scan_algorithmE0ELj4294967295EEENS1_25partition_config_selectorILNS1_17partition_subalgoE4EjNS0_10empty_typeEbEEZZNS1_14partition_implILS8_4ELb0ES6_15HIP_vector_typeIjLj2EENS0_17counting_iteratorIjlEEPS9_SG_NS0_5tupleIJPjSI_NS0_16reverse_iteratorISI_EEEEENSH_IJSG_SG_SG_EEES9_SI_JZNS1_25segmented_radix_sort_implINS0_14default_configELb0EPK6__halfPSP_PKlPlN2at6native12_GLOBAL__N_18offset_tEEE10hipError_tPvRmT1_PNSt15iterator_traitsIS13_E10value_typeET2_T3_PNS14_IS19_E10value_typeET4_jRbjT5_S1F_jjP12ihipStream_tbEUljE_ZNSN_ISO_Lb0ESR_SS_SU_SV_SZ_EES10_S11_S12_S13_S17_S18_S19_S1C_S1D_jS1E_jS1F_S1F_jjS1H_bEUljE0_EEES10_S11_S12_S19_S1D_S1F_T6_T7_T9_mT8_S1H_bDpT10_ENKUlT_T0_E_clISt17integral_constantIbLb1EES1V_EEDaS1Q_S1R_EUlS1Q_E_NS1_11comp_targetILNS1_3genE5ELNS1_11target_archE942ELNS1_3gpuE9ELNS1_3repE0EEENS1_30default_config_static_selectorELNS0_4arch9wavefront6targetE0EEEvS13_,"axG",@progbits,_ZN7rocprim17ROCPRIM_400000_NS6detail17trampoline_kernelINS0_13select_configILj256ELj13ELNS0_17block_load_methodE3ELS4_3ELS4_3ELNS0_20block_scan_algorithmE0ELj4294967295EEENS1_25partition_config_selectorILNS1_17partition_subalgoE4EjNS0_10empty_typeEbEEZZNS1_14partition_implILS8_4ELb0ES6_15HIP_vector_typeIjLj2EENS0_17counting_iteratorIjlEEPS9_SG_NS0_5tupleIJPjSI_NS0_16reverse_iteratorISI_EEEEENSH_IJSG_SG_SG_EEES9_SI_JZNS1_25segmented_radix_sort_implINS0_14default_configELb0EPK6__halfPSP_PKlPlN2at6native12_GLOBAL__N_18offset_tEEE10hipError_tPvRmT1_PNSt15iterator_traitsIS13_E10value_typeET2_T3_PNS14_IS19_E10value_typeET4_jRbjT5_S1F_jjP12ihipStream_tbEUljE_ZNSN_ISO_Lb0ESR_SS_SU_SV_SZ_EES10_S11_S12_S13_S17_S18_S19_S1C_S1D_jS1E_jS1F_S1F_jjS1H_bEUljE0_EEES10_S11_S12_S19_S1D_S1F_T6_T7_T9_mT8_S1H_bDpT10_ENKUlT_T0_E_clISt17integral_constantIbLb1EES1V_EEDaS1Q_S1R_EUlS1Q_E_NS1_11comp_targetILNS1_3genE5ELNS1_11target_archE942ELNS1_3gpuE9ELNS1_3repE0EEENS1_30default_config_static_selectorELNS0_4arch9wavefront6targetE0EEEvS13_,comdat
	.globl	_ZN7rocprim17ROCPRIM_400000_NS6detail17trampoline_kernelINS0_13select_configILj256ELj13ELNS0_17block_load_methodE3ELS4_3ELS4_3ELNS0_20block_scan_algorithmE0ELj4294967295EEENS1_25partition_config_selectorILNS1_17partition_subalgoE4EjNS0_10empty_typeEbEEZZNS1_14partition_implILS8_4ELb0ES6_15HIP_vector_typeIjLj2EENS0_17counting_iteratorIjlEEPS9_SG_NS0_5tupleIJPjSI_NS0_16reverse_iteratorISI_EEEEENSH_IJSG_SG_SG_EEES9_SI_JZNS1_25segmented_radix_sort_implINS0_14default_configELb0EPK6__halfPSP_PKlPlN2at6native12_GLOBAL__N_18offset_tEEE10hipError_tPvRmT1_PNSt15iterator_traitsIS13_E10value_typeET2_T3_PNS14_IS19_E10value_typeET4_jRbjT5_S1F_jjP12ihipStream_tbEUljE_ZNSN_ISO_Lb0ESR_SS_SU_SV_SZ_EES10_S11_S12_S13_S17_S18_S19_S1C_S1D_jS1E_jS1F_S1F_jjS1H_bEUljE0_EEES10_S11_S12_S19_S1D_S1F_T6_T7_T9_mT8_S1H_bDpT10_ENKUlT_T0_E_clISt17integral_constantIbLb1EES1V_EEDaS1Q_S1R_EUlS1Q_E_NS1_11comp_targetILNS1_3genE5ELNS1_11target_archE942ELNS1_3gpuE9ELNS1_3repE0EEENS1_30default_config_static_selectorELNS0_4arch9wavefront6targetE0EEEvS13_ ; -- Begin function _ZN7rocprim17ROCPRIM_400000_NS6detail17trampoline_kernelINS0_13select_configILj256ELj13ELNS0_17block_load_methodE3ELS4_3ELS4_3ELNS0_20block_scan_algorithmE0ELj4294967295EEENS1_25partition_config_selectorILNS1_17partition_subalgoE4EjNS0_10empty_typeEbEEZZNS1_14partition_implILS8_4ELb0ES6_15HIP_vector_typeIjLj2EENS0_17counting_iteratorIjlEEPS9_SG_NS0_5tupleIJPjSI_NS0_16reverse_iteratorISI_EEEEENSH_IJSG_SG_SG_EEES9_SI_JZNS1_25segmented_radix_sort_implINS0_14default_configELb0EPK6__halfPSP_PKlPlN2at6native12_GLOBAL__N_18offset_tEEE10hipError_tPvRmT1_PNSt15iterator_traitsIS13_E10value_typeET2_T3_PNS14_IS19_E10value_typeET4_jRbjT5_S1F_jjP12ihipStream_tbEUljE_ZNSN_ISO_Lb0ESR_SS_SU_SV_SZ_EES10_S11_S12_S13_S17_S18_S19_S1C_S1D_jS1E_jS1F_S1F_jjS1H_bEUljE0_EEES10_S11_S12_S19_S1D_S1F_T6_T7_T9_mT8_S1H_bDpT10_ENKUlT_T0_E_clISt17integral_constantIbLb1EES1V_EEDaS1Q_S1R_EUlS1Q_E_NS1_11comp_targetILNS1_3genE5ELNS1_11target_archE942ELNS1_3gpuE9ELNS1_3repE0EEENS1_30default_config_static_selectorELNS0_4arch9wavefront6targetE0EEEvS13_
	.p2align	8
	.type	_ZN7rocprim17ROCPRIM_400000_NS6detail17trampoline_kernelINS0_13select_configILj256ELj13ELNS0_17block_load_methodE3ELS4_3ELS4_3ELNS0_20block_scan_algorithmE0ELj4294967295EEENS1_25partition_config_selectorILNS1_17partition_subalgoE4EjNS0_10empty_typeEbEEZZNS1_14partition_implILS8_4ELb0ES6_15HIP_vector_typeIjLj2EENS0_17counting_iteratorIjlEEPS9_SG_NS0_5tupleIJPjSI_NS0_16reverse_iteratorISI_EEEEENSH_IJSG_SG_SG_EEES9_SI_JZNS1_25segmented_radix_sort_implINS0_14default_configELb0EPK6__halfPSP_PKlPlN2at6native12_GLOBAL__N_18offset_tEEE10hipError_tPvRmT1_PNSt15iterator_traitsIS13_E10value_typeET2_T3_PNS14_IS19_E10value_typeET4_jRbjT5_S1F_jjP12ihipStream_tbEUljE_ZNSN_ISO_Lb0ESR_SS_SU_SV_SZ_EES10_S11_S12_S13_S17_S18_S19_S1C_S1D_jS1E_jS1F_S1F_jjS1H_bEUljE0_EEES10_S11_S12_S19_S1D_S1F_T6_T7_T9_mT8_S1H_bDpT10_ENKUlT_T0_E_clISt17integral_constantIbLb1EES1V_EEDaS1Q_S1R_EUlS1Q_E_NS1_11comp_targetILNS1_3genE5ELNS1_11target_archE942ELNS1_3gpuE9ELNS1_3repE0EEENS1_30default_config_static_selectorELNS0_4arch9wavefront6targetE0EEEvS13_,@function
_ZN7rocprim17ROCPRIM_400000_NS6detail17trampoline_kernelINS0_13select_configILj256ELj13ELNS0_17block_load_methodE3ELS4_3ELS4_3ELNS0_20block_scan_algorithmE0ELj4294967295EEENS1_25partition_config_selectorILNS1_17partition_subalgoE4EjNS0_10empty_typeEbEEZZNS1_14partition_implILS8_4ELb0ES6_15HIP_vector_typeIjLj2EENS0_17counting_iteratorIjlEEPS9_SG_NS0_5tupleIJPjSI_NS0_16reverse_iteratorISI_EEEEENSH_IJSG_SG_SG_EEES9_SI_JZNS1_25segmented_radix_sort_implINS0_14default_configELb0EPK6__halfPSP_PKlPlN2at6native12_GLOBAL__N_18offset_tEEE10hipError_tPvRmT1_PNSt15iterator_traitsIS13_E10value_typeET2_T3_PNS14_IS19_E10value_typeET4_jRbjT5_S1F_jjP12ihipStream_tbEUljE_ZNSN_ISO_Lb0ESR_SS_SU_SV_SZ_EES10_S11_S12_S13_S17_S18_S19_S1C_S1D_jS1E_jS1F_S1F_jjS1H_bEUljE0_EEES10_S11_S12_S19_S1D_S1F_T6_T7_T9_mT8_S1H_bDpT10_ENKUlT_T0_E_clISt17integral_constantIbLb1EES1V_EEDaS1Q_S1R_EUlS1Q_E_NS1_11comp_targetILNS1_3genE5ELNS1_11target_archE942ELNS1_3gpuE9ELNS1_3repE0EEENS1_30default_config_static_selectorELNS0_4arch9wavefront6targetE0EEEvS13_: ; @_ZN7rocprim17ROCPRIM_400000_NS6detail17trampoline_kernelINS0_13select_configILj256ELj13ELNS0_17block_load_methodE3ELS4_3ELS4_3ELNS0_20block_scan_algorithmE0ELj4294967295EEENS1_25partition_config_selectorILNS1_17partition_subalgoE4EjNS0_10empty_typeEbEEZZNS1_14partition_implILS8_4ELb0ES6_15HIP_vector_typeIjLj2EENS0_17counting_iteratorIjlEEPS9_SG_NS0_5tupleIJPjSI_NS0_16reverse_iteratorISI_EEEEENSH_IJSG_SG_SG_EEES9_SI_JZNS1_25segmented_radix_sort_implINS0_14default_configELb0EPK6__halfPSP_PKlPlN2at6native12_GLOBAL__N_18offset_tEEE10hipError_tPvRmT1_PNSt15iterator_traitsIS13_E10value_typeET2_T3_PNS14_IS19_E10value_typeET4_jRbjT5_S1F_jjP12ihipStream_tbEUljE_ZNSN_ISO_Lb0ESR_SS_SU_SV_SZ_EES10_S11_S12_S13_S17_S18_S19_S1C_S1D_jS1E_jS1F_S1F_jjS1H_bEUljE0_EEES10_S11_S12_S19_S1D_S1F_T6_T7_T9_mT8_S1H_bDpT10_ENKUlT_T0_E_clISt17integral_constantIbLb1EES1V_EEDaS1Q_S1R_EUlS1Q_E_NS1_11comp_targetILNS1_3genE5ELNS1_11target_archE942ELNS1_3gpuE9ELNS1_3repE0EEENS1_30default_config_static_selectorELNS0_4arch9wavefront6targetE0EEEvS13_
; %bb.0:
	.section	.rodata,"a",@progbits
	.p2align	6, 0x0
	.amdhsa_kernel _ZN7rocprim17ROCPRIM_400000_NS6detail17trampoline_kernelINS0_13select_configILj256ELj13ELNS0_17block_load_methodE3ELS4_3ELS4_3ELNS0_20block_scan_algorithmE0ELj4294967295EEENS1_25partition_config_selectorILNS1_17partition_subalgoE4EjNS0_10empty_typeEbEEZZNS1_14partition_implILS8_4ELb0ES6_15HIP_vector_typeIjLj2EENS0_17counting_iteratorIjlEEPS9_SG_NS0_5tupleIJPjSI_NS0_16reverse_iteratorISI_EEEEENSH_IJSG_SG_SG_EEES9_SI_JZNS1_25segmented_radix_sort_implINS0_14default_configELb0EPK6__halfPSP_PKlPlN2at6native12_GLOBAL__N_18offset_tEEE10hipError_tPvRmT1_PNSt15iterator_traitsIS13_E10value_typeET2_T3_PNS14_IS19_E10value_typeET4_jRbjT5_S1F_jjP12ihipStream_tbEUljE_ZNSN_ISO_Lb0ESR_SS_SU_SV_SZ_EES10_S11_S12_S13_S17_S18_S19_S1C_S1D_jS1E_jS1F_S1F_jjS1H_bEUljE0_EEES10_S11_S12_S19_S1D_S1F_T6_T7_T9_mT8_S1H_bDpT10_ENKUlT_T0_E_clISt17integral_constantIbLb1EES1V_EEDaS1Q_S1R_EUlS1Q_E_NS1_11comp_targetILNS1_3genE5ELNS1_11target_archE942ELNS1_3gpuE9ELNS1_3repE0EEENS1_30default_config_static_selectorELNS0_4arch9wavefront6targetE0EEEvS13_
		.amdhsa_group_segment_fixed_size 0
		.amdhsa_private_segment_fixed_size 0
		.amdhsa_kernarg_size 184
		.amdhsa_user_sgpr_count 6
		.amdhsa_user_sgpr_private_segment_buffer 1
		.amdhsa_user_sgpr_dispatch_ptr 0
		.amdhsa_user_sgpr_queue_ptr 0
		.amdhsa_user_sgpr_kernarg_segment_ptr 1
		.amdhsa_user_sgpr_dispatch_id 0
		.amdhsa_user_sgpr_flat_scratch_init 0
		.amdhsa_user_sgpr_private_segment_size 0
		.amdhsa_wavefront_size32 1
		.amdhsa_uses_dynamic_stack 0
		.amdhsa_system_sgpr_private_segment_wavefront_offset 0
		.amdhsa_system_sgpr_workgroup_id_x 1
		.amdhsa_system_sgpr_workgroup_id_y 0
		.amdhsa_system_sgpr_workgroup_id_z 0
		.amdhsa_system_sgpr_workgroup_info 0
		.amdhsa_system_vgpr_workitem_id 0
		.amdhsa_next_free_vgpr 1
		.amdhsa_next_free_sgpr 1
		.amdhsa_reserve_vcc 0
		.amdhsa_reserve_flat_scratch 0
		.amdhsa_float_round_mode_32 0
		.amdhsa_float_round_mode_16_64 0
		.amdhsa_float_denorm_mode_32 3
		.amdhsa_float_denorm_mode_16_64 3
		.amdhsa_dx10_clamp 1
		.amdhsa_ieee_mode 1
		.amdhsa_fp16_overflow 0
		.amdhsa_workgroup_processor_mode 1
		.amdhsa_memory_ordered 1
		.amdhsa_forward_progress 1
		.amdhsa_shared_vgpr_count 0
		.amdhsa_exception_fp_ieee_invalid_op 0
		.amdhsa_exception_fp_denorm_src 0
		.amdhsa_exception_fp_ieee_div_zero 0
		.amdhsa_exception_fp_ieee_overflow 0
		.amdhsa_exception_fp_ieee_underflow 0
		.amdhsa_exception_fp_ieee_inexact 0
		.amdhsa_exception_int_div_zero 0
	.end_amdhsa_kernel
	.section	.text._ZN7rocprim17ROCPRIM_400000_NS6detail17trampoline_kernelINS0_13select_configILj256ELj13ELNS0_17block_load_methodE3ELS4_3ELS4_3ELNS0_20block_scan_algorithmE0ELj4294967295EEENS1_25partition_config_selectorILNS1_17partition_subalgoE4EjNS0_10empty_typeEbEEZZNS1_14partition_implILS8_4ELb0ES6_15HIP_vector_typeIjLj2EENS0_17counting_iteratorIjlEEPS9_SG_NS0_5tupleIJPjSI_NS0_16reverse_iteratorISI_EEEEENSH_IJSG_SG_SG_EEES9_SI_JZNS1_25segmented_radix_sort_implINS0_14default_configELb0EPK6__halfPSP_PKlPlN2at6native12_GLOBAL__N_18offset_tEEE10hipError_tPvRmT1_PNSt15iterator_traitsIS13_E10value_typeET2_T3_PNS14_IS19_E10value_typeET4_jRbjT5_S1F_jjP12ihipStream_tbEUljE_ZNSN_ISO_Lb0ESR_SS_SU_SV_SZ_EES10_S11_S12_S13_S17_S18_S19_S1C_S1D_jS1E_jS1F_S1F_jjS1H_bEUljE0_EEES10_S11_S12_S19_S1D_S1F_T6_T7_T9_mT8_S1H_bDpT10_ENKUlT_T0_E_clISt17integral_constantIbLb1EES1V_EEDaS1Q_S1R_EUlS1Q_E_NS1_11comp_targetILNS1_3genE5ELNS1_11target_archE942ELNS1_3gpuE9ELNS1_3repE0EEENS1_30default_config_static_selectorELNS0_4arch9wavefront6targetE0EEEvS13_,"axG",@progbits,_ZN7rocprim17ROCPRIM_400000_NS6detail17trampoline_kernelINS0_13select_configILj256ELj13ELNS0_17block_load_methodE3ELS4_3ELS4_3ELNS0_20block_scan_algorithmE0ELj4294967295EEENS1_25partition_config_selectorILNS1_17partition_subalgoE4EjNS0_10empty_typeEbEEZZNS1_14partition_implILS8_4ELb0ES6_15HIP_vector_typeIjLj2EENS0_17counting_iteratorIjlEEPS9_SG_NS0_5tupleIJPjSI_NS0_16reverse_iteratorISI_EEEEENSH_IJSG_SG_SG_EEES9_SI_JZNS1_25segmented_radix_sort_implINS0_14default_configELb0EPK6__halfPSP_PKlPlN2at6native12_GLOBAL__N_18offset_tEEE10hipError_tPvRmT1_PNSt15iterator_traitsIS13_E10value_typeET2_T3_PNS14_IS19_E10value_typeET4_jRbjT5_S1F_jjP12ihipStream_tbEUljE_ZNSN_ISO_Lb0ESR_SS_SU_SV_SZ_EES10_S11_S12_S13_S17_S18_S19_S1C_S1D_jS1E_jS1F_S1F_jjS1H_bEUljE0_EEES10_S11_S12_S19_S1D_S1F_T6_T7_T9_mT8_S1H_bDpT10_ENKUlT_T0_E_clISt17integral_constantIbLb1EES1V_EEDaS1Q_S1R_EUlS1Q_E_NS1_11comp_targetILNS1_3genE5ELNS1_11target_archE942ELNS1_3gpuE9ELNS1_3repE0EEENS1_30default_config_static_selectorELNS0_4arch9wavefront6targetE0EEEvS13_,comdat
.Lfunc_end1777:
	.size	_ZN7rocprim17ROCPRIM_400000_NS6detail17trampoline_kernelINS0_13select_configILj256ELj13ELNS0_17block_load_methodE3ELS4_3ELS4_3ELNS0_20block_scan_algorithmE0ELj4294967295EEENS1_25partition_config_selectorILNS1_17partition_subalgoE4EjNS0_10empty_typeEbEEZZNS1_14partition_implILS8_4ELb0ES6_15HIP_vector_typeIjLj2EENS0_17counting_iteratorIjlEEPS9_SG_NS0_5tupleIJPjSI_NS0_16reverse_iteratorISI_EEEEENSH_IJSG_SG_SG_EEES9_SI_JZNS1_25segmented_radix_sort_implINS0_14default_configELb0EPK6__halfPSP_PKlPlN2at6native12_GLOBAL__N_18offset_tEEE10hipError_tPvRmT1_PNSt15iterator_traitsIS13_E10value_typeET2_T3_PNS14_IS19_E10value_typeET4_jRbjT5_S1F_jjP12ihipStream_tbEUljE_ZNSN_ISO_Lb0ESR_SS_SU_SV_SZ_EES10_S11_S12_S13_S17_S18_S19_S1C_S1D_jS1E_jS1F_S1F_jjS1H_bEUljE0_EEES10_S11_S12_S19_S1D_S1F_T6_T7_T9_mT8_S1H_bDpT10_ENKUlT_T0_E_clISt17integral_constantIbLb1EES1V_EEDaS1Q_S1R_EUlS1Q_E_NS1_11comp_targetILNS1_3genE5ELNS1_11target_archE942ELNS1_3gpuE9ELNS1_3repE0EEENS1_30default_config_static_selectorELNS0_4arch9wavefront6targetE0EEEvS13_, .Lfunc_end1777-_ZN7rocprim17ROCPRIM_400000_NS6detail17trampoline_kernelINS0_13select_configILj256ELj13ELNS0_17block_load_methodE3ELS4_3ELS4_3ELNS0_20block_scan_algorithmE0ELj4294967295EEENS1_25partition_config_selectorILNS1_17partition_subalgoE4EjNS0_10empty_typeEbEEZZNS1_14partition_implILS8_4ELb0ES6_15HIP_vector_typeIjLj2EENS0_17counting_iteratorIjlEEPS9_SG_NS0_5tupleIJPjSI_NS0_16reverse_iteratorISI_EEEEENSH_IJSG_SG_SG_EEES9_SI_JZNS1_25segmented_radix_sort_implINS0_14default_configELb0EPK6__halfPSP_PKlPlN2at6native12_GLOBAL__N_18offset_tEEE10hipError_tPvRmT1_PNSt15iterator_traitsIS13_E10value_typeET2_T3_PNS14_IS19_E10value_typeET4_jRbjT5_S1F_jjP12ihipStream_tbEUljE_ZNSN_ISO_Lb0ESR_SS_SU_SV_SZ_EES10_S11_S12_S13_S17_S18_S19_S1C_S1D_jS1E_jS1F_S1F_jjS1H_bEUljE0_EEES10_S11_S12_S19_S1D_S1F_T6_T7_T9_mT8_S1H_bDpT10_ENKUlT_T0_E_clISt17integral_constantIbLb1EES1V_EEDaS1Q_S1R_EUlS1Q_E_NS1_11comp_targetILNS1_3genE5ELNS1_11target_archE942ELNS1_3gpuE9ELNS1_3repE0EEENS1_30default_config_static_selectorELNS0_4arch9wavefront6targetE0EEEvS13_
                                        ; -- End function
	.set _ZN7rocprim17ROCPRIM_400000_NS6detail17trampoline_kernelINS0_13select_configILj256ELj13ELNS0_17block_load_methodE3ELS4_3ELS4_3ELNS0_20block_scan_algorithmE0ELj4294967295EEENS1_25partition_config_selectorILNS1_17partition_subalgoE4EjNS0_10empty_typeEbEEZZNS1_14partition_implILS8_4ELb0ES6_15HIP_vector_typeIjLj2EENS0_17counting_iteratorIjlEEPS9_SG_NS0_5tupleIJPjSI_NS0_16reverse_iteratorISI_EEEEENSH_IJSG_SG_SG_EEES9_SI_JZNS1_25segmented_radix_sort_implINS0_14default_configELb0EPK6__halfPSP_PKlPlN2at6native12_GLOBAL__N_18offset_tEEE10hipError_tPvRmT1_PNSt15iterator_traitsIS13_E10value_typeET2_T3_PNS14_IS19_E10value_typeET4_jRbjT5_S1F_jjP12ihipStream_tbEUljE_ZNSN_ISO_Lb0ESR_SS_SU_SV_SZ_EES10_S11_S12_S13_S17_S18_S19_S1C_S1D_jS1E_jS1F_S1F_jjS1H_bEUljE0_EEES10_S11_S12_S19_S1D_S1F_T6_T7_T9_mT8_S1H_bDpT10_ENKUlT_T0_E_clISt17integral_constantIbLb1EES1V_EEDaS1Q_S1R_EUlS1Q_E_NS1_11comp_targetILNS1_3genE5ELNS1_11target_archE942ELNS1_3gpuE9ELNS1_3repE0EEENS1_30default_config_static_selectorELNS0_4arch9wavefront6targetE0EEEvS13_.num_vgpr, 0
	.set _ZN7rocprim17ROCPRIM_400000_NS6detail17trampoline_kernelINS0_13select_configILj256ELj13ELNS0_17block_load_methodE3ELS4_3ELS4_3ELNS0_20block_scan_algorithmE0ELj4294967295EEENS1_25partition_config_selectorILNS1_17partition_subalgoE4EjNS0_10empty_typeEbEEZZNS1_14partition_implILS8_4ELb0ES6_15HIP_vector_typeIjLj2EENS0_17counting_iteratorIjlEEPS9_SG_NS0_5tupleIJPjSI_NS0_16reverse_iteratorISI_EEEEENSH_IJSG_SG_SG_EEES9_SI_JZNS1_25segmented_radix_sort_implINS0_14default_configELb0EPK6__halfPSP_PKlPlN2at6native12_GLOBAL__N_18offset_tEEE10hipError_tPvRmT1_PNSt15iterator_traitsIS13_E10value_typeET2_T3_PNS14_IS19_E10value_typeET4_jRbjT5_S1F_jjP12ihipStream_tbEUljE_ZNSN_ISO_Lb0ESR_SS_SU_SV_SZ_EES10_S11_S12_S13_S17_S18_S19_S1C_S1D_jS1E_jS1F_S1F_jjS1H_bEUljE0_EEES10_S11_S12_S19_S1D_S1F_T6_T7_T9_mT8_S1H_bDpT10_ENKUlT_T0_E_clISt17integral_constantIbLb1EES1V_EEDaS1Q_S1R_EUlS1Q_E_NS1_11comp_targetILNS1_3genE5ELNS1_11target_archE942ELNS1_3gpuE9ELNS1_3repE0EEENS1_30default_config_static_selectorELNS0_4arch9wavefront6targetE0EEEvS13_.num_agpr, 0
	.set _ZN7rocprim17ROCPRIM_400000_NS6detail17trampoline_kernelINS0_13select_configILj256ELj13ELNS0_17block_load_methodE3ELS4_3ELS4_3ELNS0_20block_scan_algorithmE0ELj4294967295EEENS1_25partition_config_selectorILNS1_17partition_subalgoE4EjNS0_10empty_typeEbEEZZNS1_14partition_implILS8_4ELb0ES6_15HIP_vector_typeIjLj2EENS0_17counting_iteratorIjlEEPS9_SG_NS0_5tupleIJPjSI_NS0_16reverse_iteratorISI_EEEEENSH_IJSG_SG_SG_EEES9_SI_JZNS1_25segmented_radix_sort_implINS0_14default_configELb0EPK6__halfPSP_PKlPlN2at6native12_GLOBAL__N_18offset_tEEE10hipError_tPvRmT1_PNSt15iterator_traitsIS13_E10value_typeET2_T3_PNS14_IS19_E10value_typeET4_jRbjT5_S1F_jjP12ihipStream_tbEUljE_ZNSN_ISO_Lb0ESR_SS_SU_SV_SZ_EES10_S11_S12_S13_S17_S18_S19_S1C_S1D_jS1E_jS1F_S1F_jjS1H_bEUljE0_EEES10_S11_S12_S19_S1D_S1F_T6_T7_T9_mT8_S1H_bDpT10_ENKUlT_T0_E_clISt17integral_constantIbLb1EES1V_EEDaS1Q_S1R_EUlS1Q_E_NS1_11comp_targetILNS1_3genE5ELNS1_11target_archE942ELNS1_3gpuE9ELNS1_3repE0EEENS1_30default_config_static_selectorELNS0_4arch9wavefront6targetE0EEEvS13_.numbered_sgpr, 0
	.set _ZN7rocprim17ROCPRIM_400000_NS6detail17trampoline_kernelINS0_13select_configILj256ELj13ELNS0_17block_load_methodE3ELS4_3ELS4_3ELNS0_20block_scan_algorithmE0ELj4294967295EEENS1_25partition_config_selectorILNS1_17partition_subalgoE4EjNS0_10empty_typeEbEEZZNS1_14partition_implILS8_4ELb0ES6_15HIP_vector_typeIjLj2EENS0_17counting_iteratorIjlEEPS9_SG_NS0_5tupleIJPjSI_NS0_16reverse_iteratorISI_EEEEENSH_IJSG_SG_SG_EEES9_SI_JZNS1_25segmented_radix_sort_implINS0_14default_configELb0EPK6__halfPSP_PKlPlN2at6native12_GLOBAL__N_18offset_tEEE10hipError_tPvRmT1_PNSt15iterator_traitsIS13_E10value_typeET2_T3_PNS14_IS19_E10value_typeET4_jRbjT5_S1F_jjP12ihipStream_tbEUljE_ZNSN_ISO_Lb0ESR_SS_SU_SV_SZ_EES10_S11_S12_S13_S17_S18_S19_S1C_S1D_jS1E_jS1F_S1F_jjS1H_bEUljE0_EEES10_S11_S12_S19_S1D_S1F_T6_T7_T9_mT8_S1H_bDpT10_ENKUlT_T0_E_clISt17integral_constantIbLb1EES1V_EEDaS1Q_S1R_EUlS1Q_E_NS1_11comp_targetILNS1_3genE5ELNS1_11target_archE942ELNS1_3gpuE9ELNS1_3repE0EEENS1_30default_config_static_selectorELNS0_4arch9wavefront6targetE0EEEvS13_.num_named_barrier, 0
	.set _ZN7rocprim17ROCPRIM_400000_NS6detail17trampoline_kernelINS0_13select_configILj256ELj13ELNS0_17block_load_methodE3ELS4_3ELS4_3ELNS0_20block_scan_algorithmE0ELj4294967295EEENS1_25partition_config_selectorILNS1_17partition_subalgoE4EjNS0_10empty_typeEbEEZZNS1_14partition_implILS8_4ELb0ES6_15HIP_vector_typeIjLj2EENS0_17counting_iteratorIjlEEPS9_SG_NS0_5tupleIJPjSI_NS0_16reverse_iteratorISI_EEEEENSH_IJSG_SG_SG_EEES9_SI_JZNS1_25segmented_radix_sort_implINS0_14default_configELb0EPK6__halfPSP_PKlPlN2at6native12_GLOBAL__N_18offset_tEEE10hipError_tPvRmT1_PNSt15iterator_traitsIS13_E10value_typeET2_T3_PNS14_IS19_E10value_typeET4_jRbjT5_S1F_jjP12ihipStream_tbEUljE_ZNSN_ISO_Lb0ESR_SS_SU_SV_SZ_EES10_S11_S12_S13_S17_S18_S19_S1C_S1D_jS1E_jS1F_S1F_jjS1H_bEUljE0_EEES10_S11_S12_S19_S1D_S1F_T6_T7_T9_mT8_S1H_bDpT10_ENKUlT_T0_E_clISt17integral_constantIbLb1EES1V_EEDaS1Q_S1R_EUlS1Q_E_NS1_11comp_targetILNS1_3genE5ELNS1_11target_archE942ELNS1_3gpuE9ELNS1_3repE0EEENS1_30default_config_static_selectorELNS0_4arch9wavefront6targetE0EEEvS13_.private_seg_size, 0
	.set _ZN7rocprim17ROCPRIM_400000_NS6detail17trampoline_kernelINS0_13select_configILj256ELj13ELNS0_17block_load_methodE3ELS4_3ELS4_3ELNS0_20block_scan_algorithmE0ELj4294967295EEENS1_25partition_config_selectorILNS1_17partition_subalgoE4EjNS0_10empty_typeEbEEZZNS1_14partition_implILS8_4ELb0ES6_15HIP_vector_typeIjLj2EENS0_17counting_iteratorIjlEEPS9_SG_NS0_5tupleIJPjSI_NS0_16reverse_iteratorISI_EEEEENSH_IJSG_SG_SG_EEES9_SI_JZNS1_25segmented_radix_sort_implINS0_14default_configELb0EPK6__halfPSP_PKlPlN2at6native12_GLOBAL__N_18offset_tEEE10hipError_tPvRmT1_PNSt15iterator_traitsIS13_E10value_typeET2_T3_PNS14_IS19_E10value_typeET4_jRbjT5_S1F_jjP12ihipStream_tbEUljE_ZNSN_ISO_Lb0ESR_SS_SU_SV_SZ_EES10_S11_S12_S13_S17_S18_S19_S1C_S1D_jS1E_jS1F_S1F_jjS1H_bEUljE0_EEES10_S11_S12_S19_S1D_S1F_T6_T7_T9_mT8_S1H_bDpT10_ENKUlT_T0_E_clISt17integral_constantIbLb1EES1V_EEDaS1Q_S1R_EUlS1Q_E_NS1_11comp_targetILNS1_3genE5ELNS1_11target_archE942ELNS1_3gpuE9ELNS1_3repE0EEENS1_30default_config_static_selectorELNS0_4arch9wavefront6targetE0EEEvS13_.uses_vcc, 0
	.set _ZN7rocprim17ROCPRIM_400000_NS6detail17trampoline_kernelINS0_13select_configILj256ELj13ELNS0_17block_load_methodE3ELS4_3ELS4_3ELNS0_20block_scan_algorithmE0ELj4294967295EEENS1_25partition_config_selectorILNS1_17partition_subalgoE4EjNS0_10empty_typeEbEEZZNS1_14partition_implILS8_4ELb0ES6_15HIP_vector_typeIjLj2EENS0_17counting_iteratorIjlEEPS9_SG_NS0_5tupleIJPjSI_NS0_16reverse_iteratorISI_EEEEENSH_IJSG_SG_SG_EEES9_SI_JZNS1_25segmented_radix_sort_implINS0_14default_configELb0EPK6__halfPSP_PKlPlN2at6native12_GLOBAL__N_18offset_tEEE10hipError_tPvRmT1_PNSt15iterator_traitsIS13_E10value_typeET2_T3_PNS14_IS19_E10value_typeET4_jRbjT5_S1F_jjP12ihipStream_tbEUljE_ZNSN_ISO_Lb0ESR_SS_SU_SV_SZ_EES10_S11_S12_S13_S17_S18_S19_S1C_S1D_jS1E_jS1F_S1F_jjS1H_bEUljE0_EEES10_S11_S12_S19_S1D_S1F_T6_T7_T9_mT8_S1H_bDpT10_ENKUlT_T0_E_clISt17integral_constantIbLb1EES1V_EEDaS1Q_S1R_EUlS1Q_E_NS1_11comp_targetILNS1_3genE5ELNS1_11target_archE942ELNS1_3gpuE9ELNS1_3repE0EEENS1_30default_config_static_selectorELNS0_4arch9wavefront6targetE0EEEvS13_.uses_flat_scratch, 0
	.set _ZN7rocprim17ROCPRIM_400000_NS6detail17trampoline_kernelINS0_13select_configILj256ELj13ELNS0_17block_load_methodE3ELS4_3ELS4_3ELNS0_20block_scan_algorithmE0ELj4294967295EEENS1_25partition_config_selectorILNS1_17partition_subalgoE4EjNS0_10empty_typeEbEEZZNS1_14partition_implILS8_4ELb0ES6_15HIP_vector_typeIjLj2EENS0_17counting_iteratorIjlEEPS9_SG_NS0_5tupleIJPjSI_NS0_16reverse_iteratorISI_EEEEENSH_IJSG_SG_SG_EEES9_SI_JZNS1_25segmented_radix_sort_implINS0_14default_configELb0EPK6__halfPSP_PKlPlN2at6native12_GLOBAL__N_18offset_tEEE10hipError_tPvRmT1_PNSt15iterator_traitsIS13_E10value_typeET2_T3_PNS14_IS19_E10value_typeET4_jRbjT5_S1F_jjP12ihipStream_tbEUljE_ZNSN_ISO_Lb0ESR_SS_SU_SV_SZ_EES10_S11_S12_S13_S17_S18_S19_S1C_S1D_jS1E_jS1F_S1F_jjS1H_bEUljE0_EEES10_S11_S12_S19_S1D_S1F_T6_T7_T9_mT8_S1H_bDpT10_ENKUlT_T0_E_clISt17integral_constantIbLb1EES1V_EEDaS1Q_S1R_EUlS1Q_E_NS1_11comp_targetILNS1_3genE5ELNS1_11target_archE942ELNS1_3gpuE9ELNS1_3repE0EEENS1_30default_config_static_selectorELNS0_4arch9wavefront6targetE0EEEvS13_.has_dyn_sized_stack, 0
	.set _ZN7rocprim17ROCPRIM_400000_NS6detail17trampoline_kernelINS0_13select_configILj256ELj13ELNS0_17block_load_methodE3ELS4_3ELS4_3ELNS0_20block_scan_algorithmE0ELj4294967295EEENS1_25partition_config_selectorILNS1_17partition_subalgoE4EjNS0_10empty_typeEbEEZZNS1_14partition_implILS8_4ELb0ES6_15HIP_vector_typeIjLj2EENS0_17counting_iteratorIjlEEPS9_SG_NS0_5tupleIJPjSI_NS0_16reverse_iteratorISI_EEEEENSH_IJSG_SG_SG_EEES9_SI_JZNS1_25segmented_radix_sort_implINS0_14default_configELb0EPK6__halfPSP_PKlPlN2at6native12_GLOBAL__N_18offset_tEEE10hipError_tPvRmT1_PNSt15iterator_traitsIS13_E10value_typeET2_T3_PNS14_IS19_E10value_typeET4_jRbjT5_S1F_jjP12ihipStream_tbEUljE_ZNSN_ISO_Lb0ESR_SS_SU_SV_SZ_EES10_S11_S12_S13_S17_S18_S19_S1C_S1D_jS1E_jS1F_S1F_jjS1H_bEUljE0_EEES10_S11_S12_S19_S1D_S1F_T6_T7_T9_mT8_S1H_bDpT10_ENKUlT_T0_E_clISt17integral_constantIbLb1EES1V_EEDaS1Q_S1R_EUlS1Q_E_NS1_11comp_targetILNS1_3genE5ELNS1_11target_archE942ELNS1_3gpuE9ELNS1_3repE0EEENS1_30default_config_static_selectorELNS0_4arch9wavefront6targetE0EEEvS13_.has_recursion, 0
	.set _ZN7rocprim17ROCPRIM_400000_NS6detail17trampoline_kernelINS0_13select_configILj256ELj13ELNS0_17block_load_methodE3ELS4_3ELS4_3ELNS0_20block_scan_algorithmE0ELj4294967295EEENS1_25partition_config_selectorILNS1_17partition_subalgoE4EjNS0_10empty_typeEbEEZZNS1_14partition_implILS8_4ELb0ES6_15HIP_vector_typeIjLj2EENS0_17counting_iteratorIjlEEPS9_SG_NS0_5tupleIJPjSI_NS0_16reverse_iteratorISI_EEEEENSH_IJSG_SG_SG_EEES9_SI_JZNS1_25segmented_radix_sort_implINS0_14default_configELb0EPK6__halfPSP_PKlPlN2at6native12_GLOBAL__N_18offset_tEEE10hipError_tPvRmT1_PNSt15iterator_traitsIS13_E10value_typeET2_T3_PNS14_IS19_E10value_typeET4_jRbjT5_S1F_jjP12ihipStream_tbEUljE_ZNSN_ISO_Lb0ESR_SS_SU_SV_SZ_EES10_S11_S12_S13_S17_S18_S19_S1C_S1D_jS1E_jS1F_S1F_jjS1H_bEUljE0_EEES10_S11_S12_S19_S1D_S1F_T6_T7_T9_mT8_S1H_bDpT10_ENKUlT_T0_E_clISt17integral_constantIbLb1EES1V_EEDaS1Q_S1R_EUlS1Q_E_NS1_11comp_targetILNS1_3genE5ELNS1_11target_archE942ELNS1_3gpuE9ELNS1_3repE0EEENS1_30default_config_static_selectorELNS0_4arch9wavefront6targetE0EEEvS13_.has_indirect_call, 0
	.section	.AMDGPU.csdata,"",@progbits
; Kernel info:
; codeLenInByte = 0
; TotalNumSgprs: 0
; NumVgprs: 0
; ScratchSize: 0
; MemoryBound: 0
; FloatMode: 240
; IeeeMode: 1
; LDSByteSize: 0 bytes/workgroup (compile time only)
; SGPRBlocks: 0
; VGPRBlocks: 0
; NumSGPRsForWavesPerEU: 1
; NumVGPRsForWavesPerEU: 1
; Occupancy: 16
; WaveLimiterHint : 0
; COMPUTE_PGM_RSRC2:SCRATCH_EN: 0
; COMPUTE_PGM_RSRC2:USER_SGPR: 6
; COMPUTE_PGM_RSRC2:TRAP_HANDLER: 0
; COMPUTE_PGM_RSRC2:TGID_X_EN: 1
; COMPUTE_PGM_RSRC2:TGID_Y_EN: 0
; COMPUTE_PGM_RSRC2:TGID_Z_EN: 0
; COMPUTE_PGM_RSRC2:TIDIG_COMP_CNT: 0
	.section	.text._ZN7rocprim17ROCPRIM_400000_NS6detail17trampoline_kernelINS0_13select_configILj256ELj13ELNS0_17block_load_methodE3ELS4_3ELS4_3ELNS0_20block_scan_algorithmE0ELj4294967295EEENS1_25partition_config_selectorILNS1_17partition_subalgoE4EjNS0_10empty_typeEbEEZZNS1_14partition_implILS8_4ELb0ES6_15HIP_vector_typeIjLj2EENS0_17counting_iteratorIjlEEPS9_SG_NS0_5tupleIJPjSI_NS0_16reverse_iteratorISI_EEEEENSH_IJSG_SG_SG_EEES9_SI_JZNS1_25segmented_radix_sort_implINS0_14default_configELb0EPK6__halfPSP_PKlPlN2at6native12_GLOBAL__N_18offset_tEEE10hipError_tPvRmT1_PNSt15iterator_traitsIS13_E10value_typeET2_T3_PNS14_IS19_E10value_typeET4_jRbjT5_S1F_jjP12ihipStream_tbEUljE_ZNSN_ISO_Lb0ESR_SS_SU_SV_SZ_EES10_S11_S12_S13_S17_S18_S19_S1C_S1D_jS1E_jS1F_S1F_jjS1H_bEUljE0_EEES10_S11_S12_S19_S1D_S1F_T6_T7_T9_mT8_S1H_bDpT10_ENKUlT_T0_E_clISt17integral_constantIbLb1EES1V_EEDaS1Q_S1R_EUlS1Q_E_NS1_11comp_targetILNS1_3genE4ELNS1_11target_archE910ELNS1_3gpuE8ELNS1_3repE0EEENS1_30default_config_static_selectorELNS0_4arch9wavefront6targetE0EEEvS13_,"axG",@progbits,_ZN7rocprim17ROCPRIM_400000_NS6detail17trampoline_kernelINS0_13select_configILj256ELj13ELNS0_17block_load_methodE3ELS4_3ELS4_3ELNS0_20block_scan_algorithmE0ELj4294967295EEENS1_25partition_config_selectorILNS1_17partition_subalgoE4EjNS0_10empty_typeEbEEZZNS1_14partition_implILS8_4ELb0ES6_15HIP_vector_typeIjLj2EENS0_17counting_iteratorIjlEEPS9_SG_NS0_5tupleIJPjSI_NS0_16reverse_iteratorISI_EEEEENSH_IJSG_SG_SG_EEES9_SI_JZNS1_25segmented_radix_sort_implINS0_14default_configELb0EPK6__halfPSP_PKlPlN2at6native12_GLOBAL__N_18offset_tEEE10hipError_tPvRmT1_PNSt15iterator_traitsIS13_E10value_typeET2_T3_PNS14_IS19_E10value_typeET4_jRbjT5_S1F_jjP12ihipStream_tbEUljE_ZNSN_ISO_Lb0ESR_SS_SU_SV_SZ_EES10_S11_S12_S13_S17_S18_S19_S1C_S1D_jS1E_jS1F_S1F_jjS1H_bEUljE0_EEES10_S11_S12_S19_S1D_S1F_T6_T7_T9_mT8_S1H_bDpT10_ENKUlT_T0_E_clISt17integral_constantIbLb1EES1V_EEDaS1Q_S1R_EUlS1Q_E_NS1_11comp_targetILNS1_3genE4ELNS1_11target_archE910ELNS1_3gpuE8ELNS1_3repE0EEENS1_30default_config_static_selectorELNS0_4arch9wavefront6targetE0EEEvS13_,comdat
	.globl	_ZN7rocprim17ROCPRIM_400000_NS6detail17trampoline_kernelINS0_13select_configILj256ELj13ELNS0_17block_load_methodE3ELS4_3ELS4_3ELNS0_20block_scan_algorithmE0ELj4294967295EEENS1_25partition_config_selectorILNS1_17partition_subalgoE4EjNS0_10empty_typeEbEEZZNS1_14partition_implILS8_4ELb0ES6_15HIP_vector_typeIjLj2EENS0_17counting_iteratorIjlEEPS9_SG_NS0_5tupleIJPjSI_NS0_16reverse_iteratorISI_EEEEENSH_IJSG_SG_SG_EEES9_SI_JZNS1_25segmented_radix_sort_implINS0_14default_configELb0EPK6__halfPSP_PKlPlN2at6native12_GLOBAL__N_18offset_tEEE10hipError_tPvRmT1_PNSt15iterator_traitsIS13_E10value_typeET2_T3_PNS14_IS19_E10value_typeET4_jRbjT5_S1F_jjP12ihipStream_tbEUljE_ZNSN_ISO_Lb0ESR_SS_SU_SV_SZ_EES10_S11_S12_S13_S17_S18_S19_S1C_S1D_jS1E_jS1F_S1F_jjS1H_bEUljE0_EEES10_S11_S12_S19_S1D_S1F_T6_T7_T9_mT8_S1H_bDpT10_ENKUlT_T0_E_clISt17integral_constantIbLb1EES1V_EEDaS1Q_S1R_EUlS1Q_E_NS1_11comp_targetILNS1_3genE4ELNS1_11target_archE910ELNS1_3gpuE8ELNS1_3repE0EEENS1_30default_config_static_selectorELNS0_4arch9wavefront6targetE0EEEvS13_ ; -- Begin function _ZN7rocprim17ROCPRIM_400000_NS6detail17trampoline_kernelINS0_13select_configILj256ELj13ELNS0_17block_load_methodE3ELS4_3ELS4_3ELNS0_20block_scan_algorithmE0ELj4294967295EEENS1_25partition_config_selectorILNS1_17partition_subalgoE4EjNS0_10empty_typeEbEEZZNS1_14partition_implILS8_4ELb0ES6_15HIP_vector_typeIjLj2EENS0_17counting_iteratorIjlEEPS9_SG_NS0_5tupleIJPjSI_NS0_16reverse_iteratorISI_EEEEENSH_IJSG_SG_SG_EEES9_SI_JZNS1_25segmented_radix_sort_implINS0_14default_configELb0EPK6__halfPSP_PKlPlN2at6native12_GLOBAL__N_18offset_tEEE10hipError_tPvRmT1_PNSt15iterator_traitsIS13_E10value_typeET2_T3_PNS14_IS19_E10value_typeET4_jRbjT5_S1F_jjP12ihipStream_tbEUljE_ZNSN_ISO_Lb0ESR_SS_SU_SV_SZ_EES10_S11_S12_S13_S17_S18_S19_S1C_S1D_jS1E_jS1F_S1F_jjS1H_bEUljE0_EEES10_S11_S12_S19_S1D_S1F_T6_T7_T9_mT8_S1H_bDpT10_ENKUlT_T0_E_clISt17integral_constantIbLb1EES1V_EEDaS1Q_S1R_EUlS1Q_E_NS1_11comp_targetILNS1_3genE4ELNS1_11target_archE910ELNS1_3gpuE8ELNS1_3repE0EEENS1_30default_config_static_selectorELNS0_4arch9wavefront6targetE0EEEvS13_
	.p2align	8
	.type	_ZN7rocprim17ROCPRIM_400000_NS6detail17trampoline_kernelINS0_13select_configILj256ELj13ELNS0_17block_load_methodE3ELS4_3ELS4_3ELNS0_20block_scan_algorithmE0ELj4294967295EEENS1_25partition_config_selectorILNS1_17partition_subalgoE4EjNS0_10empty_typeEbEEZZNS1_14partition_implILS8_4ELb0ES6_15HIP_vector_typeIjLj2EENS0_17counting_iteratorIjlEEPS9_SG_NS0_5tupleIJPjSI_NS0_16reverse_iteratorISI_EEEEENSH_IJSG_SG_SG_EEES9_SI_JZNS1_25segmented_radix_sort_implINS0_14default_configELb0EPK6__halfPSP_PKlPlN2at6native12_GLOBAL__N_18offset_tEEE10hipError_tPvRmT1_PNSt15iterator_traitsIS13_E10value_typeET2_T3_PNS14_IS19_E10value_typeET4_jRbjT5_S1F_jjP12ihipStream_tbEUljE_ZNSN_ISO_Lb0ESR_SS_SU_SV_SZ_EES10_S11_S12_S13_S17_S18_S19_S1C_S1D_jS1E_jS1F_S1F_jjS1H_bEUljE0_EEES10_S11_S12_S19_S1D_S1F_T6_T7_T9_mT8_S1H_bDpT10_ENKUlT_T0_E_clISt17integral_constantIbLb1EES1V_EEDaS1Q_S1R_EUlS1Q_E_NS1_11comp_targetILNS1_3genE4ELNS1_11target_archE910ELNS1_3gpuE8ELNS1_3repE0EEENS1_30default_config_static_selectorELNS0_4arch9wavefront6targetE0EEEvS13_,@function
_ZN7rocprim17ROCPRIM_400000_NS6detail17trampoline_kernelINS0_13select_configILj256ELj13ELNS0_17block_load_methodE3ELS4_3ELS4_3ELNS0_20block_scan_algorithmE0ELj4294967295EEENS1_25partition_config_selectorILNS1_17partition_subalgoE4EjNS0_10empty_typeEbEEZZNS1_14partition_implILS8_4ELb0ES6_15HIP_vector_typeIjLj2EENS0_17counting_iteratorIjlEEPS9_SG_NS0_5tupleIJPjSI_NS0_16reverse_iteratorISI_EEEEENSH_IJSG_SG_SG_EEES9_SI_JZNS1_25segmented_radix_sort_implINS0_14default_configELb0EPK6__halfPSP_PKlPlN2at6native12_GLOBAL__N_18offset_tEEE10hipError_tPvRmT1_PNSt15iterator_traitsIS13_E10value_typeET2_T3_PNS14_IS19_E10value_typeET4_jRbjT5_S1F_jjP12ihipStream_tbEUljE_ZNSN_ISO_Lb0ESR_SS_SU_SV_SZ_EES10_S11_S12_S13_S17_S18_S19_S1C_S1D_jS1E_jS1F_S1F_jjS1H_bEUljE0_EEES10_S11_S12_S19_S1D_S1F_T6_T7_T9_mT8_S1H_bDpT10_ENKUlT_T0_E_clISt17integral_constantIbLb1EES1V_EEDaS1Q_S1R_EUlS1Q_E_NS1_11comp_targetILNS1_3genE4ELNS1_11target_archE910ELNS1_3gpuE8ELNS1_3repE0EEENS1_30default_config_static_selectorELNS0_4arch9wavefront6targetE0EEEvS13_: ; @_ZN7rocprim17ROCPRIM_400000_NS6detail17trampoline_kernelINS0_13select_configILj256ELj13ELNS0_17block_load_methodE3ELS4_3ELS4_3ELNS0_20block_scan_algorithmE0ELj4294967295EEENS1_25partition_config_selectorILNS1_17partition_subalgoE4EjNS0_10empty_typeEbEEZZNS1_14partition_implILS8_4ELb0ES6_15HIP_vector_typeIjLj2EENS0_17counting_iteratorIjlEEPS9_SG_NS0_5tupleIJPjSI_NS0_16reverse_iteratorISI_EEEEENSH_IJSG_SG_SG_EEES9_SI_JZNS1_25segmented_radix_sort_implINS0_14default_configELb0EPK6__halfPSP_PKlPlN2at6native12_GLOBAL__N_18offset_tEEE10hipError_tPvRmT1_PNSt15iterator_traitsIS13_E10value_typeET2_T3_PNS14_IS19_E10value_typeET4_jRbjT5_S1F_jjP12ihipStream_tbEUljE_ZNSN_ISO_Lb0ESR_SS_SU_SV_SZ_EES10_S11_S12_S13_S17_S18_S19_S1C_S1D_jS1E_jS1F_S1F_jjS1H_bEUljE0_EEES10_S11_S12_S19_S1D_S1F_T6_T7_T9_mT8_S1H_bDpT10_ENKUlT_T0_E_clISt17integral_constantIbLb1EES1V_EEDaS1Q_S1R_EUlS1Q_E_NS1_11comp_targetILNS1_3genE4ELNS1_11target_archE910ELNS1_3gpuE8ELNS1_3repE0EEENS1_30default_config_static_selectorELNS0_4arch9wavefront6targetE0EEEvS13_
; %bb.0:
	.section	.rodata,"a",@progbits
	.p2align	6, 0x0
	.amdhsa_kernel _ZN7rocprim17ROCPRIM_400000_NS6detail17trampoline_kernelINS0_13select_configILj256ELj13ELNS0_17block_load_methodE3ELS4_3ELS4_3ELNS0_20block_scan_algorithmE0ELj4294967295EEENS1_25partition_config_selectorILNS1_17partition_subalgoE4EjNS0_10empty_typeEbEEZZNS1_14partition_implILS8_4ELb0ES6_15HIP_vector_typeIjLj2EENS0_17counting_iteratorIjlEEPS9_SG_NS0_5tupleIJPjSI_NS0_16reverse_iteratorISI_EEEEENSH_IJSG_SG_SG_EEES9_SI_JZNS1_25segmented_radix_sort_implINS0_14default_configELb0EPK6__halfPSP_PKlPlN2at6native12_GLOBAL__N_18offset_tEEE10hipError_tPvRmT1_PNSt15iterator_traitsIS13_E10value_typeET2_T3_PNS14_IS19_E10value_typeET4_jRbjT5_S1F_jjP12ihipStream_tbEUljE_ZNSN_ISO_Lb0ESR_SS_SU_SV_SZ_EES10_S11_S12_S13_S17_S18_S19_S1C_S1D_jS1E_jS1F_S1F_jjS1H_bEUljE0_EEES10_S11_S12_S19_S1D_S1F_T6_T7_T9_mT8_S1H_bDpT10_ENKUlT_T0_E_clISt17integral_constantIbLb1EES1V_EEDaS1Q_S1R_EUlS1Q_E_NS1_11comp_targetILNS1_3genE4ELNS1_11target_archE910ELNS1_3gpuE8ELNS1_3repE0EEENS1_30default_config_static_selectorELNS0_4arch9wavefront6targetE0EEEvS13_
		.amdhsa_group_segment_fixed_size 0
		.amdhsa_private_segment_fixed_size 0
		.amdhsa_kernarg_size 184
		.amdhsa_user_sgpr_count 6
		.amdhsa_user_sgpr_private_segment_buffer 1
		.amdhsa_user_sgpr_dispatch_ptr 0
		.amdhsa_user_sgpr_queue_ptr 0
		.amdhsa_user_sgpr_kernarg_segment_ptr 1
		.amdhsa_user_sgpr_dispatch_id 0
		.amdhsa_user_sgpr_flat_scratch_init 0
		.amdhsa_user_sgpr_private_segment_size 0
		.amdhsa_wavefront_size32 1
		.amdhsa_uses_dynamic_stack 0
		.amdhsa_system_sgpr_private_segment_wavefront_offset 0
		.amdhsa_system_sgpr_workgroup_id_x 1
		.amdhsa_system_sgpr_workgroup_id_y 0
		.amdhsa_system_sgpr_workgroup_id_z 0
		.amdhsa_system_sgpr_workgroup_info 0
		.amdhsa_system_vgpr_workitem_id 0
		.amdhsa_next_free_vgpr 1
		.amdhsa_next_free_sgpr 1
		.amdhsa_reserve_vcc 0
		.amdhsa_reserve_flat_scratch 0
		.amdhsa_float_round_mode_32 0
		.amdhsa_float_round_mode_16_64 0
		.amdhsa_float_denorm_mode_32 3
		.amdhsa_float_denorm_mode_16_64 3
		.amdhsa_dx10_clamp 1
		.amdhsa_ieee_mode 1
		.amdhsa_fp16_overflow 0
		.amdhsa_workgroup_processor_mode 1
		.amdhsa_memory_ordered 1
		.amdhsa_forward_progress 1
		.amdhsa_shared_vgpr_count 0
		.amdhsa_exception_fp_ieee_invalid_op 0
		.amdhsa_exception_fp_denorm_src 0
		.amdhsa_exception_fp_ieee_div_zero 0
		.amdhsa_exception_fp_ieee_overflow 0
		.amdhsa_exception_fp_ieee_underflow 0
		.amdhsa_exception_fp_ieee_inexact 0
		.amdhsa_exception_int_div_zero 0
	.end_amdhsa_kernel
	.section	.text._ZN7rocprim17ROCPRIM_400000_NS6detail17trampoline_kernelINS0_13select_configILj256ELj13ELNS0_17block_load_methodE3ELS4_3ELS4_3ELNS0_20block_scan_algorithmE0ELj4294967295EEENS1_25partition_config_selectorILNS1_17partition_subalgoE4EjNS0_10empty_typeEbEEZZNS1_14partition_implILS8_4ELb0ES6_15HIP_vector_typeIjLj2EENS0_17counting_iteratorIjlEEPS9_SG_NS0_5tupleIJPjSI_NS0_16reverse_iteratorISI_EEEEENSH_IJSG_SG_SG_EEES9_SI_JZNS1_25segmented_radix_sort_implINS0_14default_configELb0EPK6__halfPSP_PKlPlN2at6native12_GLOBAL__N_18offset_tEEE10hipError_tPvRmT1_PNSt15iterator_traitsIS13_E10value_typeET2_T3_PNS14_IS19_E10value_typeET4_jRbjT5_S1F_jjP12ihipStream_tbEUljE_ZNSN_ISO_Lb0ESR_SS_SU_SV_SZ_EES10_S11_S12_S13_S17_S18_S19_S1C_S1D_jS1E_jS1F_S1F_jjS1H_bEUljE0_EEES10_S11_S12_S19_S1D_S1F_T6_T7_T9_mT8_S1H_bDpT10_ENKUlT_T0_E_clISt17integral_constantIbLb1EES1V_EEDaS1Q_S1R_EUlS1Q_E_NS1_11comp_targetILNS1_3genE4ELNS1_11target_archE910ELNS1_3gpuE8ELNS1_3repE0EEENS1_30default_config_static_selectorELNS0_4arch9wavefront6targetE0EEEvS13_,"axG",@progbits,_ZN7rocprim17ROCPRIM_400000_NS6detail17trampoline_kernelINS0_13select_configILj256ELj13ELNS0_17block_load_methodE3ELS4_3ELS4_3ELNS0_20block_scan_algorithmE0ELj4294967295EEENS1_25partition_config_selectorILNS1_17partition_subalgoE4EjNS0_10empty_typeEbEEZZNS1_14partition_implILS8_4ELb0ES6_15HIP_vector_typeIjLj2EENS0_17counting_iteratorIjlEEPS9_SG_NS0_5tupleIJPjSI_NS0_16reverse_iteratorISI_EEEEENSH_IJSG_SG_SG_EEES9_SI_JZNS1_25segmented_radix_sort_implINS0_14default_configELb0EPK6__halfPSP_PKlPlN2at6native12_GLOBAL__N_18offset_tEEE10hipError_tPvRmT1_PNSt15iterator_traitsIS13_E10value_typeET2_T3_PNS14_IS19_E10value_typeET4_jRbjT5_S1F_jjP12ihipStream_tbEUljE_ZNSN_ISO_Lb0ESR_SS_SU_SV_SZ_EES10_S11_S12_S13_S17_S18_S19_S1C_S1D_jS1E_jS1F_S1F_jjS1H_bEUljE0_EEES10_S11_S12_S19_S1D_S1F_T6_T7_T9_mT8_S1H_bDpT10_ENKUlT_T0_E_clISt17integral_constantIbLb1EES1V_EEDaS1Q_S1R_EUlS1Q_E_NS1_11comp_targetILNS1_3genE4ELNS1_11target_archE910ELNS1_3gpuE8ELNS1_3repE0EEENS1_30default_config_static_selectorELNS0_4arch9wavefront6targetE0EEEvS13_,comdat
.Lfunc_end1778:
	.size	_ZN7rocprim17ROCPRIM_400000_NS6detail17trampoline_kernelINS0_13select_configILj256ELj13ELNS0_17block_load_methodE3ELS4_3ELS4_3ELNS0_20block_scan_algorithmE0ELj4294967295EEENS1_25partition_config_selectorILNS1_17partition_subalgoE4EjNS0_10empty_typeEbEEZZNS1_14partition_implILS8_4ELb0ES6_15HIP_vector_typeIjLj2EENS0_17counting_iteratorIjlEEPS9_SG_NS0_5tupleIJPjSI_NS0_16reverse_iteratorISI_EEEEENSH_IJSG_SG_SG_EEES9_SI_JZNS1_25segmented_radix_sort_implINS0_14default_configELb0EPK6__halfPSP_PKlPlN2at6native12_GLOBAL__N_18offset_tEEE10hipError_tPvRmT1_PNSt15iterator_traitsIS13_E10value_typeET2_T3_PNS14_IS19_E10value_typeET4_jRbjT5_S1F_jjP12ihipStream_tbEUljE_ZNSN_ISO_Lb0ESR_SS_SU_SV_SZ_EES10_S11_S12_S13_S17_S18_S19_S1C_S1D_jS1E_jS1F_S1F_jjS1H_bEUljE0_EEES10_S11_S12_S19_S1D_S1F_T6_T7_T9_mT8_S1H_bDpT10_ENKUlT_T0_E_clISt17integral_constantIbLb1EES1V_EEDaS1Q_S1R_EUlS1Q_E_NS1_11comp_targetILNS1_3genE4ELNS1_11target_archE910ELNS1_3gpuE8ELNS1_3repE0EEENS1_30default_config_static_selectorELNS0_4arch9wavefront6targetE0EEEvS13_, .Lfunc_end1778-_ZN7rocprim17ROCPRIM_400000_NS6detail17trampoline_kernelINS0_13select_configILj256ELj13ELNS0_17block_load_methodE3ELS4_3ELS4_3ELNS0_20block_scan_algorithmE0ELj4294967295EEENS1_25partition_config_selectorILNS1_17partition_subalgoE4EjNS0_10empty_typeEbEEZZNS1_14partition_implILS8_4ELb0ES6_15HIP_vector_typeIjLj2EENS0_17counting_iteratorIjlEEPS9_SG_NS0_5tupleIJPjSI_NS0_16reverse_iteratorISI_EEEEENSH_IJSG_SG_SG_EEES9_SI_JZNS1_25segmented_radix_sort_implINS0_14default_configELb0EPK6__halfPSP_PKlPlN2at6native12_GLOBAL__N_18offset_tEEE10hipError_tPvRmT1_PNSt15iterator_traitsIS13_E10value_typeET2_T3_PNS14_IS19_E10value_typeET4_jRbjT5_S1F_jjP12ihipStream_tbEUljE_ZNSN_ISO_Lb0ESR_SS_SU_SV_SZ_EES10_S11_S12_S13_S17_S18_S19_S1C_S1D_jS1E_jS1F_S1F_jjS1H_bEUljE0_EEES10_S11_S12_S19_S1D_S1F_T6_T7_T9_mT8_S1H_bDpT10_ENKUlT_T0_E_clISt17integral_constantIbLb1EES1V_EEDaS1Q_S1R_EUlS1Q_E_NS1_11comp_targetILNS1_3genE4ELNS1_11target_archE910ELNS1_3gpuE8ELNS1_3repE0EEENS1_30default_config_static_selectorELNS0_4arch9wavefront6targetE0EEEvS13_
                                        ; -- End function
	.set _ZN7rocprim17ROCPRIM_400000_NS6detail17trampoline_kernelINS0_13select_configILj256ELj13ELNS0_17block_load_methodE3ELS4_3ELS4_3ELNS0_20block_scan_algorithmE0ELj4294967295EEENS1_25partition_config_selectorILNS1_17partition_subalgoE4EjNS0_10empty_typeEbEEZZNS1_14partition_implILS8_4ELb0ES6_15HIP_vector_typeIjLj2EENS0_17counting_iteratorIjlEEPS9_SG_NS0_5tupleIJPjSI_NS0_16reverse_iteratorISI_EEEEENSH_IJSG_SG_SG_EEES9_SI_JZNS1_25segmented_radix_sort_implINS0_14default_configELb0EPK6__halfPSP_PKlPlN2at6native12_GLOBAL__N_18offset_tEEE10hipError_tPvRmT1_PNSt15iterator_traitsIS13_E10value_typeET2_T3_PNS14_IS19_E10value_typeET4_jRbjT5_S1F_jjP12ihipStream_tbEUljE_ZNSN_ISO_Lb0ESR_SS_SU_SV_SZ_EES10_S11_S12_S13_S17_S18_S19_S1C_S1D_jS1E_jS1F_S1F_jjS1H_bEUljE0_EEES10_S11_S12_S19_S1D_S1F_T6_T7_T9_mT8_S1H_bDpT10_ENKUlT_T0_E_clISt17integral_constantIbLb1EES1V_EEDaS1Q_S1R_EUlS1Q_E_NS1_11comp_targetILNS1_3genE4ELNS1_11target_archE910ELNS1_3gpuE8ELNS1_3repE0EEENS1_30default_config_static_selectorELNS0_4arch9wavefront6targetE0EEEvS13_.num_vgpr, 0
	.set _ZN7rocprim17ROCPRIM_400000_NS6detail17trampoline_kernelINS0_13select_configILj256ELj13ELNS0_17block_load_methodE3ELS4_3ELS4_3ELNS0_20block_scan_algorithmE0ELj4294967295EEENS1_25partition_config_selectorILNS1_17partition_subalgoE4EjNS0_10empty_typeEbEEZZNS1_14partition_implILS8_4ELb0ES6_15HIP_vector_typeIjLj2EENS0_17counting_iteratorIjlEEPS9_SG_NS0_5tupleIJPjSI_NS0_16reverse_iteratorISI_EEEEENSH_IJSG_SG_SG_EEES9_SI_JZNS1_25segmented_radix_sort_implINS0_14default_configELb0EPK6__halfPSP_PKlPlN2at6native12_GLOBAL__N_18offset_tEEE10hipError_tPvRmT1_PNSt15iterator_traitsIS13_E10value_typeET2_T3_PNS14_IS19_E10value_typeET4_jRbjT5_S1F_jjP12ihipStream_tbEUljE_ZNSN_ISO_Lb0ESR_SS_SU_SV_SZ_EES10_S11_S12_S13_S17_S18_S19_S1C_S1D_jS1E_jS1F_S1F_jjS1H_bEUljE0_EEES10_S11_S12_S19_S1D_S1F_T6_T7_T9_mT8_S1H_bDpT10_ENKUlT_T0_E_clISt17integral_constantIbLb1EES1V_EEDaS1Q_S1R_EUlS1Q_E_NS1_11comp_targetILNS1_3genE4ELNS1_11target_archE910ELNS1_3gpuE8ELNS1_3repE0EEENS1_30default_config_static_selectorELNS0_4arch9wavefront6targetE0EEEvS13_.num_agpr, 0
	.set _ZN7rocprim17ROCPRIM_400000_NS6detail17trampoline_kernelINS0_13select_configILj256ELj13ELNS0_17block_load_methodE3ELS4_3ELS4_3ELNS0_20block_scan_algorithmE0ELj4294967295EEENS1_25partition_config_selectorILNS1_17partition_subalgoE4EjNS0_10empty_typeEbEEZZNS1_14partition_implILS8_4ELb0ES6_15HIP_vector_typeIjLj2EENS0_17counting_iteratorIjlEEPS9_SG_NS0_5tupleIJPjSI_NS0_16reverse_iteratorISI_EEEEENSH_IJSG_SG_SG_EEES9_SI_JZNS1_25segmented_radix_sort_implINS0_14default_configELb0EPK6__halfPSP_PKlPlN2at6native12_GLOBAL__N_18offset_tEEE10hipError_tPvRmT1_PNSt15iterator_traitsIS13_E10value_typeET2_T3_PNS14_IS19_E10value_typeET4_jRbjT5_S1F_jjP12ihipStream_tbEUljE_ZNSN_ISO_Lb0ESR_SS_SU_SV_SZ_EES10_S11_S12_S13_S17_S18_S19_S1C_S1D_jS1E_jS1F_S1F_jjS1H_bEUljE0_EEES10_S11_S12_S19_S1D_S1F_T6_T7_T9_mT8_S1H_bDpT10_ENKUlT_T0_E_clISt17integral_constantIbLb1EES1V_EEDaS1Q_S1R_EUlS1Q_E_NS1_11comp_targetILNS1_3genE4ELNS1_11target_archE910ELNS1_3gpuE8ELNS1_3repE0EEENS1_30default_config_static_selectorELNS0_4arch9wavefront6targetE0EEEvS13_.numbered_sgpr, 0
	.set _ZN7rocprim17ROCPRIM_400000_NS6detail17trampoline_kernelINS0_13select_configILj256ELj13ELNS0_17block_load_methodE3ELS4_3ELS4_3ELNS0_20block_scan_algorithmE0ELj4294967295EEENS1_25partition_config_selectorILNS1_17partition_subalgoE4EjNS0_10empty_typeEbEEZZNS1_14partition_implILS8_4ELb0ES6_15HIP_vector_typeIjLj2EENS0_17counting_iteratorIjlEEPS9_SG_NS0_5tupleIJPjSI_NS0_16reverse_iteratorISI_EEEEENSH_IJSG_SG_SG_EEES9_SI_JZNS1_25segmented_radix_sort_implINS0_14default_configELb0EPK6__halfPSP_PKlPlN2at6native12_GLOBAL__N_18offset_tEEE10hipError_tPvRmT1_PNSt15iterator_traitsIS13_E10value_typeET2_T3_PNS14_IS19_E10value_typeET4_jRbjT5_S1F_jjP12ihipStream_tbEUljE_ZNSN_ISO_Lb0ESR_SS_SU_SV_SZ_EES10_S11_S12_S13_S17_S18_S19_S1C_S1D_jS1E_jS1F_S1F_jjS1H_bEUljE0_EEES10_S11_S12_S19_S1D_S1F_T6_T7_T9_mT8_S1H_bDpT10_ENKUlT_T0_E_clISt17integral_constantIbLb1EES1V_EEDaS1Q_S1R_EUlS1Q_E_NS1_11comp_targetILNS1_3genE4ELNS1_11target_archE910ELNS1_3gpuE8ELNS1_3repE0EEENS1_30default_config_static_selectorELNS0_4arch9wavefront6targetE0EEEvS13_.num_named_barrier, 0
	.set _ZN7rocprim17ROCPRIM_400000_NS6detail17trampoline_kernelINS0_13select_configILj256ELj13ELNS0_17block_load_methodE3ELS4_3ELS4_3ELNS0_20block_scan_algorithmE0ELj4294967295EEENS1_25partition_config_selectorILNS1_17partition_subalgoE4EjNS0_10empty_typeEbEEZZNS1_14partition_implILS8_4ELb0ES6_15HIP_vector_typeIjLj2EENS0_17counting_iteratorIjlEEPS9_SG_NS0_5tupleIJPjSI_NS0_16reverse_iteratorISI_EEEEENSH_IJSG_SG_SG_EEES9_SI_JZNS1_25segmented_radix_sort_implINS0_14default_configELb0EPK6__halfPSP_PKlPlN2at6native12_GLOBAL__N_18offset_tEEE10hipError_tPvRmT1_PNSt15iterator_traitsIS13_E10value_typeET2_T3_PNS14_IS19_E10value_typeET4_jRbjT5_S1F_jjP12ihipStream_tbEUljE_ZNSN_ISO_Lb0ESR_SS_SU_SV_SZ_EES10_S11_S12_S13_S17_S18_S19_S1C_S1D_jS1E_jS1F_S1F_jjS1H_bEUljE0_EEES10_S11_S12_S19_S1D_S1F_T6_T7_T9_mT8_S1H_bDpT10_ENKUlT_T0_E_clISt17integral_constantIbLb1EES1V_EEDaS1Q_S1R_EUlS1Q_E_NS1_11comp_targetILNS1_3genE4ELNS1_11target_archE910ELNS1_3gpuE8ELNS1_3repE0EEENS1_30default_config_static_selectorELNS0_4arch9wavefront6targetE0EEEvS13_.private_seg_size, 0
	.set _ZN7rocprim17ROCPRIM_400000_NS6detail17trampoline_kernelINS0_13select_configILj256ELj13ELNS0_17block_load_methodE3ELS4_3ELS4_3ELNS0_20block_scan_algorithmE0ELj4294967295EEENS1_25partition_config_selectorILNS1_17partition_subalgoE4EjNS0_10empty_typeEbEEZZNS1_14partition_implILS8_4ELb0ES6_15HIP_vector_typeIjLj2EENS0_17counting_iteratorIjlEEPS9_SG_NS0_5tupleIJPjSI_NS0_16reverse_iteratorISI_EEEEENSH_IJSG_SG_SG_EEES9_SI_JZNS1_25segmented_radix_sort_implINS0_14default_configELb0EPK6__halfPSP_PKlPlN2at6native12_GLOBAL__N_18offset_tEEE10hipError_tPvRmT1_PNSt15iterator_traitsIS13_E10value_typeET2_T3_PNS14_IS19_E10value_typeET4_jRbjT5_S1F_jjP12ihipStream_tbEUljE_ZNSN_ISO_Lb0ESR_SS_SU_SV_SZ_EES10_S11_S12_S13_S17_S18_S19_S1C_S1D_jS1E_jS1F_S1F_jjS1H_bEUljE0_EEES10_S11_S12_S19_S1D_S1F_T6_T7_T9_mT8_S1H_bDpT10_ENKUlT_T0_E_clISt17integral_constantIbLb1EES1V_EEDaS1Q_S1R_EUlS1Q_E_NS1_11comp_targetILNS1_3genE4ELNS1_11target_archE910ELNS1_3gpuE8ELNS1_3repE0EEENS1_30default_config_static_selectorELNS0_4arch9wavefront6targetE0EEEvS13_.uses_vcc, 0
	.set _ZN7rocprim17ROCPRIM_400000_NS6detail17trampoline_kernelINS0_13select_configILj256ELj13ELNS0_17block_load_methodE3ELS4_3ELS4_3ELNS0_20block_scan_algorithmE0ELj4294967295EEENS1_25partition_config_selectorILNS1_17partition_subalgoE4EjNS0_10empty_typeEbEEZZNS1_14partition_implILS8_4ELb0ES6_15HIP_vector_typeIjLj2EENS0_17counting_iteratorIjlEEPS9_SG_NS0_5tupleIJPjSI_NS0_16reverse_iteratorISI_EEEEENSH_IJSG_SG_SG_EEES9_SI_JZNS1_25segmented_radix_sort_implINS0_14default_configELb0EPK6__halfPSP_PKlPlN2at6native12_GLOBAL__N_18offset_tEEE10hipError_tPvRmT1_PNSt15iterator_traitsIS13_E10value_typeET2_T3_PNS14_IS19_E10value_typeET4_jRbjT5_S1F_jjP12ihipStream_tbEUljE_ZNSN_ISO_Lb0ESR_SS_SU_SV_SZ_EES10_S11_S12_S13_S17_S18_S19_S1C_S1D_jS1E_jS1F_S1F_jjS1H_bEUljE0_EEES10_S11_S12_S19_S1D_S1F_T6_T7_T9_mT8_S1H_bDpT10_ENKUlT_T0_E_clISt17integral_constantIbLb1EES1V_EEDaS1Q_S1R_EUlS1Q_E_NS1_11comp_targetILNS1_3genE4ELNS1_11target_archE910ELNS1_3gpuE8ELNS1_3repE0EEENS1_30default_config_static_selectorELNS0_4arch9wavefront6targetE0EEEvS13_.uses_flat_scratch, 0
	.set _ZN7rocprim17ROCPRIM_400000_NS6detail17trampoline_kernelINS0_13select_configILj256ELj13ELNS0_17block_load_methodE3ELS4_3ELS4_3ELNS0_20block_scan_algorithmE0ELj4294967295EEENS1_25partition_config_selectorILNS1_17partition_subalgoE4EjNS0_10empty_typeEbEEZZNS1_14partition_implILS8_4ELb0ES6_15HIP_vector_typeIjLj2EENS0_17counting_iteratorIjlEEPS9_SG_NS0_5tupleIJPjSI_NS0_16reverse_iteratorISI_EEEEENSH_IJSG_SG_SG_EEES9_SI_JZNS1_25segmented_radix_sort_implINS0_14default_configELb0EPK6__halfPSP_PKlPlN2at6native12_GLOBAL__N_18offset_tEEE10hipError_tPvRmT1_PNSt15iterator_traitsIS13_E10value_typeET2_T3_PNS14_IS19_E10value_typeET4_jRbjT5_S1F_jjP12ihipStream_tbEUljE_ZNSN_ISO_Lb0ESR_SS_SU_SV_SZ_EES10_S11_S12_S13_S17_S18_S19_S1C_S1D_jS1E_jS1F_S1F_jjS1H_bEUljE0_EEES10_S11_S12_S19_S1D_S1F_T6_T7_T9_mT8_S1H_bDpT10_ENKUlT_T0_E_clISt17integral_constantIbLb1EES1V_EEDaS1Q_S1R_EUlS1Q_E_NS1_11comp_targetILNS1_3genE4ELNS1_11target_archE910ELNS1_3gpuE8ELNS1_3repE0EEENS1_30default_config_static_selectorELNS0_4arch9wavefront6targetE0EEEvS13_.has_dyn_sized_stack, 0
	.set _ZN7rocprim17ROCPRIM_400000_NS6detail17trampoline_kernelINS0_13select_configILj256ELj13ELNS0_17block_load_methodE3ELS4_3ELS4_3ELNS0_20block_scan_algorithmE0ELj4294967295EEENS1_25partition_config_selectorILNS1_17partition_subalgoE4EjNS0_10empty_typeEbEEZZNS1_14partition_implILS8_4ELb0ES6_15HIP_vector_typeIjLj2EENS0_17counting_iteratorIjlEEPS9_SG_NS0_5tupleIJPjSI_NS0_16reverse_iteratorISI_EEEEENSH_IJSG_SG_SG_EEES9_SI_JZNS1_25segmented_radix_sort_implINS0_14default_configELb0EPK6__halfPSP_PKlPlN2at6native12_GLOBAL__N_18offset_tEEE10hipError_tPvRmT1_PNSt15iterator_traitsIS13_E10value_typeET2_T3_PNS14_IS19_E10value_typeET4_jRbjT5_S1F_jjP12ihipStream_tbEUljE_ZNSN_ISO_Lb0ESR_SS_SU_SV_SZ_EES10_S11_S12_S13_S17_S18_S19_S1C_S1D_jS1E_jS1F_S1F_jjS1H_bEUljE0_EEES10_S11_S12_S19_S1D_S1F_T6_T7_T9_mT8_S1H_bDpT10_ENKUlT_T0_E_clISt17integral_constantIbLb1EES1V_EEDaS1Q_S1R_EUlS1Q_E_NS1_11comp_targetILNS1_3genE4ELNS1_11target_archE910ELNS1_3gpuE8ELNS1_3repE0EEENS1_30default_config_static_selectorELNS0_4arch9wavefront6targetE0EEEvS13_.has_recursion, 0
	.set _ZN7rocprim17ROCPRIM_400000_NS6detail17trampoline_kernelINS0_13select_configILj256ELj13ELNS0_17block_load_methodE3ELS4_3ELS4_3ELNS0_20block_scan_algorithmE0ELj4294967295EEENS1_25partition_config_selectorILNS1_17partition_subalgoE4EjNS0_10empty_typeEbEEZZNS1_14partition_implILS8_4ELb0ES6_15HIP_vector_typeIjLj2EENS0_17counting_iteratorIjlEEPS9_SG_NS0_5tupleIJPjSI_NS0_16reverse_iteratorISI_EEEEENSH_IJSG_SG_SG_EEES9_SI_JZNS1_25segmented_radix_sort_implINS0_14default_configELb0EPK6__halfPSP_PKlPlN2at6native12_GLOBAL__N_18offset_tEEE10hipError_tPvRmT1_PNSt15iterator_traitsIS13_E10value_typeET2_T3_PNS14_IS19_E10value_typeET4_jRbjT5_S1F_jjP12ihipStream_tbEUljE_ZNSN_ISO_Lb0ESR_SS_SU_SV_SZ_EES10_S11_S12_S13_S17_S18_S19_S1C_S1D_jS1E_jS1F_S1F_jjS1H_bEUljE0_EEES10_S11_S12_S19_S1D_S1F_T6_T7_T9_mT8_S1H_bDpT10_ENKUlT_T0_E_clISt17integral_constantIbLb1EES1V_EEDaS1Q_S1R_EUlS1Q_E_NS1_11comp_targetILNS1_3genE4ELNS1_11target_archE910ELNS1_3gpuE8ELNS1_3repE0EEENS1_30default_config_static_selectorELNS0_4arch9wavefront6targetE0EEEvS13_.has_indirect_call, 0
	.section	.AMDGPU.csdata,"",@progbits
; Kernel info:
; codeLenInByte = 0
; TotalNumSgprs: 0
; NumVgprs: 0
; ScratchSize: 0
; MemoryBound: 0
; FloatMode: 240
; IeeeMode: 1
; LDSByteSize: 0 bytes/workgroup (compile time only)
; SGPRBlocks: 0
; VGPRBlocks: 0
; NumSGPRsForWavesPerEU: 1
; NumVGPRsForWavesPerEU: 1
; Occupancy: 16
; WaveLimiterHint : 0
; COMPUTE_PGM_RSRC2:SCRATCH_EN: 0
; COMPUTE_PGM_RSRC2:USER_SGPR: 6
; COMPUTE_PGM_RSRC2:TRAP_HANDLER: 0
; COMPUTE_PGM_RSRC2:TGID_X_EN: 1
; COMPUTE_PGM_RSRC2:TGID_Y_EN: 0
; COMPUTE_PGM_RSRC2:TGID_Z_EN: 0
; COMPUTE_PGM_RSRC2:TIDIG_COMP_CNT: 0
	.section	.text._ZN7rocprim17ROCPRIM_400000_NS6detail17trampoline_kernelINS0_13select_configILj256ELj13ELNS0_17block_load_methodE3ELS4_3ELS4_3ELNS0_20block_scan_algorithmE0ELj4294967295EEENS1_25partition_config_selectorILNS1_17partition_subalgoE4EjNS0_10empty_typeEbEEZZNS1_14partition_implILS8_4ELb0ES6_15HIP_vector_typeIjLj2EENS0_17counting_iteratorIjlEEPS9_SG_NS0_5tupleIJPjSI_NS0_16reverse_iteratorISI_EEEEENSH_IJSG_SG_SG_EEES9_SI_JZNS1_25segmented_radix_sort_implINS0_14default_configELb0EPK6__halfPSP_PKlPlN2at6native12_GLOBAL__N_18offset_tEEE10hipError_tPvRmT1_PNSt15iterator_traitsIS13_E10value_typeET2_T3_PNS14_IS19_E10value_typeET4_jRbjT5_S1F_jjP12ihipStream_tbEUljE_ZNSN_ISO_Lb0ESR_SS_SU_SV_SZ_EES10_S11_S12_S13_S17_S18_S19_S1C_S1D_jS1E_jS1F_S1F_jjS1H_bEUljE0_EEES10_S11_S12_S19_S1D_S1F_T6_T7_T9_mT8_S1H_bDpT10_ENKUlT_T0_E_clISt17integral_constantIbLb1EES1V_EEDaS1Q_S1R_EUlS1Q_E_NS1_11comp_targetILNS1_3genE3ELNS1_11target_archE908ELNS1_3gpuE7ELNS1_3repE0EEENS1_30default_config_static_selectorELNS0_4arch9wavefront6targetE0EEEvS13_,"axG",@progbits,_ZN7rocprim17ROCPRIM_400000_NS6detail17trampoline_kernelINS0_13select_configILj256ELj13ELNS0_17block_load_methodE3ELS4_3ELS4_3ELNS0_20block_scan_algorithmE0ELj4294967295EEENS1_25partition_config_selectorILNS1_17partition_subalgoE4EjNS0_10empty_typeEbEEZZNS1_14partition_implILS8_4ELb0ES6_15HIP_vector_typeIjLj2EENS0_17counting_iteratorIjlEEPS9_SG_NS0_5tupleIJPjSI_NS0_16reverse_iteratorISI_EEEEENSH_IJSG_SG_SG_EEES9_SI_JZNS1_25segmented_radix_sort_implINS0_14default_configELb0EPK6__halfPSP_PKlPlN2at6native12_GLOBAL__N_18offset_tEEE10hipError_tPvRmT1_PNSt15iterator_traitsIS13_E10value_typeET2_T3_PNS14_IS19_E10value_typeET4_jRbjT5_S1F_jjP12ihipStream_tbEUljE_ZNSN_ISO_Lb0ESR_SS_SU_SV_SZ_EES10_S11_S12_S13_S17_S18_S19_S1C_S1D_jS1E_jS1F_S1F_jjS1H_bEUljE0_EEES10_S11_S12_S19_S1D_S1F_T6_T7_T9_mT8_S1H_bDpT10_ENKUlT_T0_E_clISt17integral_constantIbLb1EES1V_EEDaS1Q_S1R_EUlS1Q_E_NS1_11comp_targetILNS1_3genE3ELNS1_11target_archE908ELNS1_3gpuE7ELNS1_3repE0EEENS1_30default_config_static_selectorELNS0_4arch9wavefront6targetE0EEEvS13_,comdat
	.globl	_ZN7rocprim17ROCPRIM_400000_NS6detail17trampoline_kernelINS0_13select_configILj256ELj13ELNS0_17block_load_methodE3ELS4_3ELS4_3ELNS0_20block_scan_algorithmE0ELj4294967295EEENS1_25partition_config_selectorILNS1_17partition_subalgoE4EjNS0_10empty_typeEbEEZZNS1_14partition_implILS8_4ELb0ES6_15HIP_vector_typeIjLj2EENS0_17counting_iteratorIjlEEPS9_SG_NS0_5tupleIJPjSI_NS0_16reverse_iteratorISI_EEEEENSH_IJSG_SG_SG_EEES9_SI_JZNS1_25segmented_radix_sort_implINS0_14default_configELb0EPK6__halfPSP_PKlPlN2at6native12_GLOBAL__N_18offset_tEEE10hipError_tPvRmT1_PNSt15iterator_traitsIS13_E10value_typeET2_T3_PNS14_IS19_E10value_typeET4_jRbjT5_S1F_jjP12ihipStream_tbEUljE_ZNSN_ISO_Lb0ESR_SS_SU_SV_SZ_EES10_S11_S12_S13_S17_S18_S19_S1C_S1D_jS1E_jS1F_S1F_jjS1H_bEUljE0_EEES10_S11_S12_S19_S1D_S1F_T6_T7_T9_mT8_S1H_bDpT10_ENKUlT_T0_E_clISt17integral_constantIbLb1EES1V_EEDaS1Q_S1R_EUlS1Q_E_NS1_11comp_targetILNS1_3genE3ELNS1_11target_archE908ELNS1_3gpuE7ELNS1_3repE0EEENS1_30default_config_static_selectorELNS0_4arch9wavefront6targetE0EEEvS13_ ; -- Begin function _ZN7rocprim17ROCPRIM_400000_NS6detail17trampoline_kernelINS0_13select_configILj256ELj13ELNS0_17block_load_methodE3ELS4_3ELS4_3ELNS0_20block_scan_algorithmE0ELj4294967295EEENS1_25partition_config_selectorILNS1_17partition_subalgoE4EjNS0_10empty_typeEbEEZZNS1_14partition_implILS8_4ELb0ES6_15HIP_vector_typeIjLj2EENS0_17counting_iteratorIjlEEPS9_SG_NS0_5tupleIJPjSI_NS0_16reverse_iteratorISI_EEEEENSH_IJSG_SG_SG_EEES9_SI_JZNS1_25segmented_radix_sort_implINS0_14default_configELb0EPK6__halfPSP_PKlPlN2at6native12_GLOBAL__N_18offset_tEEE10hipError_tPvRmT1_PNSt15iterator_traitsIS13_E10value_typeET2_T3_PNS14_IS19_E10value_typeET4_jRbjT5_S1F_jjP12ihipStream_tbEUljE_ZNSN_ISO_Lb0ESR_SS_SU_SV_SZ_EES10_S11_S12_S13_S17_S18_S19_S1C_S1D_jS1E_jS1F_S1F_jjS1H_bEUljE0_EEES10_S11_S12_S19_S1D_S1F_T6_T7_T9_mT8_S1H_bDpT10_ENKUlT_T0_E_clISt17integral_constantIbLb1EES1V_EEDaS1Q_S1R_EUlS1Q_E_NS1_11comp_targetILNS1_3genE3ELNS1_11target_archE908ELNS1_3gpuE7ELNS1_3repE0EEENS1_30default_config_static_selectorELNS0_4arch9wavefront6targetE0EEEvS13_
	.p2align	8
	.type	_ZN7rocprim17ROCPRIM_400000_NS6detail17trampoline_kernelINS0_13select_configILj256ELj13ELNS0_17block_load_methodE3ELS4_3ELS4_3ELNS0_20block_scan_algorithmE0ELj4294967295EEENS1_25partition_config_selectorILNS1_17partition_subalgoE4EjNS0_10empty_typeEbEEZZNS1_14partition_implILS8_4ELb0ES6_15HIP_vector_typeIjLj2EENS0_17counting_iteratorIjlEEPS9_SG_NS0_5tupleIJPjSI_NS0_16reverse_iteratorISI_EEEEENSH_IJSG_SG_SG_EEES9_SI_JZNS1_25segmented_radix_sort_implINS0_14default_configELb0EPK6__halfPSP_PKlPlN2at6native12_GLOBAL__N_18offset_tEEE10hipError_tPvRmT1_PNSt15iterator_traitsIS13_E10value_typeET2_T3_PNS14_IS19_E10value_typeET4_jRbjT5_S1F_jjP12ihipStream_tbEUljE_ZNSN_ISO_Lb0ESR_SS_SU_SV_SZ_EES10_S11_S12_S13_S17_S18_S19_S1C_S1D_jS1E_jS1F_S1F_jjS1H_bEUljE0_EEES10_S11_S12_S19_S1D_S1F_T6_T7_T9_mT8_S1H_bDpT10_ENKUlT_T0_E_clISt17integral_constantIbLb1EES1V_EEDaS1Q_S1R_EUlS1Q_E_NS1_11comp_targetILNS1_3genE3ELNS1_11target_archE908ELNS1_3gpuE7ELNS1_3repE0EEENS1_30default_config_static_selectorELNS0_4arch9wavefront6targetE0EEEvS13_,@function
_ZN7rocprim17ROCPRIM_400000_NS6detail17trampoline_kernelINS0_13select_configILj256ELj13ELNS0_17block_load_methodE3ELS4_3ELS4_3ELNS0_20block_scan_algorithmE0ELj4294967295EEENS1_25partition_config_selectorILNS1_17partition_subalgoE4EjNS0_10empty_typeEbEEZZNS1_14partition_implILS8_4ELb0ES6_15HIP_vector_typeIjLj2EENS0_17counting_iteratorIjlEEPS9_SG_NS0_5tupleIJPjSI_NS0_16reverse_iteratorISI_EEEEENSH_IJSG_SG_SG_EEES9_SI_JZNS1_25segmented_radix_sort_implINS0_14default_configELb0EPK6__halfPSP_PKlPlN2at6native12_GLOBAL__N_18offset_tEEE10hipError_tPvRmT1_PNSt15iterator_traitsIS13_E10value_typeET2_T3_PNS14_IS19_E10value_typeET4_jRbjT5_S1F_jjP12ihipStream_tbEUljE_ZNSN_ISO_Lb0ESR_SS_SU_SV_SZ_EES10_S11_S12_S13_S17_S18_S19_S1C_S1D_jS1E_jS1F_S1F_jjS1H_bEUljE0_EEES10_S11_S12_S19_S1D_S1F_T6_T7_T9_mT8_S1H_bDpT10_ENKUlT_T0_E_clISt17integral_constantIbLb1EES1V_EEDaS1Q_S1R_EUlS1Q_E_NS1_11comp_targetILNS1_3genE3ELNS1_11target_archE908ELNS1_3gpuE7ELNS1_3repE0EEENS1_30default_config_static_selectorELNS0_4arch9wavefront6targetE0EEEvS13_: ; @_ZN7rocprim17ROCPRIM_400000_NS6detail17trampoline_kernelINS0_13select_configILj256ELj13ELNS0_17block_load_methodE3ELS4_3ELS4_3ELNS0_20block_scan_algorithmE0ELj4294967295EEENS1_25partition_config_selectorILNS1_17partition_subalgoE4EjNS0_10empty_typeEbEEZZNS1_14partition_implILS8_4ELb0ES6_15HIP_vector_typeIjLj2EENS0_17counting_iteratorIjlEEPS9_SG_NS0_5tupleIJPjSI_NS0_16reverse_iteratorISI_EEEEENSH_IJSG_SG_SG_EEES9_SI_JZNS1_25segmented_radix_sort_implINS0_14default_configELb0EPK6__halfPSP_PKlPlN2at6native12_GLOBAL__N_18offset_tEEE10hipError_tPvRmT1_PNSt15iterator_traitsIS13_E10value_typeET2_T3_PNS14_IS19_E10value_typeET4_jRbjT5_S1F_jjP12ihipStream_tbEUljE_ZNSN_ISO_Lb0ESR_SS_SU_SV_SZ_EES10_S11_S12_S13_S17_S18_S19_S1C_S1D_jS1E_jS1F_S1F_jjS1H_bEUljE0_EEES10_S11_S12_S19_S1D_S1F_T6_T7_T9_mT8_S1H_bDpT10_ENKUlT_T0_E_clISt17integral_constantIbLb1EES1V_EEDaS1Q_S1R_EUlS1Q_E_NS1_11comp_targetILNS1_3genE3ELNS1_11target_archE908ELNS1_3gpuE7ELNS1_3repE0EEENS1_30default_config_static_selectorELNS0_4arch9wavefront6targetE0EEEvS13_
; %bb.0:
	.section	.rodata,"a",@progbits
	.p2align	6, 0x0
	.amdhsa_kernel _ZN7rocprim17ROCPRIM_400000_NS6detail17trampoline_kernelINS0_13select_configILj256ELj13ELNS0_17block_load_methodE3ELS4_3ELS4_3ELNS0_20block_scan_algorithmE0ELj4294967295EEENS1_25partition_config_selectorILNS1_17partition_subalgoE4EjNS0_10empty_typeEbEEZZNS1_14partition_implILS8_4ELb0ES6_15HIP_vector_typeIjLj2EENS0_17counting_iteratorIjlEEPS9_SG_NS0_5tupleIJPjSI_NS0_16reverse_iteratorISI_EEEEENSH_IJSG_SG_SG_EEES9_SI_JZNS1_25segmented_radix_sort_implINS0_14default_configELb0EPK6__halfPSP_PKlPlN2at6native12_GLOBAL__N_18offset_tEEE10hipError_tPvRmT1_PNSt15iterator_traitsIS13_E10value_typeET2_T3_PNS14_IS19_E10value_typeET4_jRbjT5_S1F_jjP12ihipStream_tbEUljE_ZNSN_ISO_Lb0ESR_SS_SU_SV_SZ_EES10_S11_S12_S13_S17_S18_S19_S1C_S1D_jS1E_jS1F_S1F_jjS1H_bEUljE0_EEES10_S11_S12_S19_S1D_S1F_T6_T7_T9_mT8_S1H_bDpT10_ENKUlT_T0_E_clISt17integral_constantIbLb1EES1V_EEDaS1Q_S1R_EUlS1Q_E_NS1_11comp_targetILNS1_3genE3ELNS1_11target_archE908ELNS1_3gpuE7ELNS1_3repE0EEENS1_30default_config_static_selectorELNS0_4arch9wavefront6targetE0EEEvS13_
		.amdhsa_group_segment_fixed_size 0
		.amdhsa_private_segment_fixed_size 0
		.amdhsa_kernarg_size 184
		.amdhsa_user_sgpr_count 6
		.amdhsa_user_sgpr_private_segment_buffer 1
		.amdhsa_user_sgpr_dispatch_ptr 0
		.amdhsa_user_sgpr_queue_ptr 0
		.amdhsa_user_sgpr_kernarg_segment_ptr 1
		.amdhsa_user_sgpr_dispatch_id 0
		.amdhsa_user_sgpr_flat_scratch_init 0
		.amdhsa_user_sgpr_private_segment_size 0
		.amdhsa_wavefront_size32 1
		.amdhsa_uses_dynamic_stack 0
		.amdhsa_system_sgpr_private_segment_wavefront_offset 0
		.amdhsa_system_sgpr_workgroup_id_x 1
		.amdhsa_system_sgpr_workgroup_id_y 0
		.amdhsa_system_sgpr_workgroup_id_z 0
		.amdhsa_system_sgpr_workgroup_info 0
		.amdhsa_system_vgpr_workitem_id 0
		.amdhsa_next_free_vgpr 1
		.amdhsa_next_free_sgpr 1
		.amdhsa_reserve_vcc 0
		.amdhsa_reserve_flat_scratch 0
		.amdhsa_float_round_mode_32 0
		.amdhsa_float_round_mode_16_64 0
		.amdhsa_float_denorm_mode_32 3
		.amdhsa_float_denorm_mode_16_64 3
		.amdhsa_dx10_clamp 1
		.amdhsa_ieee_mode 1
		.amdhsa_fp16_overflow 0
		.amdhsa_workgroup_processor_mode 1
		.amdhsa_memory_ordered 1
		.amdhsa_forward_progress 1
		.amdhsa_shared_vgpr_count 0
		.amdhsa_exception_fp_ieee_invalid_op 0
		.amdhsa_exception_fp_denorm_src 0
		.amdhsa_exception_fp_ieee_div_zero 0
		.amdhsa_exception_fp_ieee_overflow 0
		.amdhsa_exception_fp_ieee_underflow 0
		.amdhsa_exception_fp_ieee_inexact 0
		.amdhsa_exception_int_div_zero 0
	.end_amdhsa_kernel
	.section	.text._ZN7rocprim17ROCPRIM_400000_NS6detail17trampoline_kernelINS0_13select_configILj256ELj13ELNS0_17block_load_methodE3ELS4_3ELS4_3ELNS0_20block_scan_algorithmE0ELj4294967295EEENS1_25partition_config_selectorILNS1_17partition_subalgoE4EjNS0_10empty_typeEbEEZZNS1_14partition_implILS8_4ELb0ES6_15HIP_vector_typeIjLj2EENS0_17counting_iteratorIjlEEPS9_SG_NS0_5tupleIJPjSI_NS0_16reverse_iteratorISI_EEEEENSH_IJSG_SG_SG_EEES9_SI_JZNS1_25segmented_radix_sort_implINS0_14default_configELb0EPK6__halfPSP_PKlPlN2at6native12_GLOBAL__N_18offset_tEEE10hipError_tPvRmT1_PNSt15iterator_traitsIS13_E10value_typeET2_T3_PNS14_IS19_E10value_typeET4_jRbjT5_S1F_jjP12ihipStream_tbEUljE_ZNSN_ISO_Lb0ESR_SS_SU_SV_SZ_EES10_S11_S12_S13_S17_S18_S19_S1C_S1D_jS1E_jS1F_S1F_jjS1H_bEUljE0_EEES10_S11_S12_S19_S1D_S1F_T6_T7_T9_mT8_S1H_bDpT10_ENKUlT_T0_E_clISt17integral_constantIbLb1EES1V_EEDaS1Q_S1R_EUlS1Q_E_NS1_11comp_targetILNS1_3genE3ELNS1_11target_archE908ELNS1_3gpuE7ELNS1_3repE0EEENS1_30default_config_static_selectorELNS0_4arch9wavefront6targetE0EEEvS13_,"axG",@progbits,_ZN7rocprim17ROCPRIM_400000_NS6detail17trampoline_kernelINS0_13select_configILj256ELj13ELNS0_17block_load_methodE3ELS4_3ELS4_3ELNS0_20block_scan_algorithmE0ELj4294967295EEENS1_25partition_config_selectorILNS1_17partition_subalgoE4EjNS0_10empty_typeEbEEZZNS1_14partition_implILS8_4ELb0ES6_15HIP_vector_typeIjLj2EENS0_17counting_iteratorIjlEEPS9_SG_NS0_5tupleIJPjSI_NS0_16reverse_iteratorISI_EEEEENSH_IJSG_SG_SG_EEES9_SI_JZNS1_25segmented_radix_sort_implINS0_14default_configELb0EPK6__halfPSP_PKlPlN2at6native12_GLOBAL__N_18offset_tEEE10hipError_tPvRmT1_PNSt15iterator_traitsIS13_E10value_typeET2_T3_PNS14_IS19_E10value_typeET4_jRbjT5_S1F_jjP12ihipStream_tbEUljE_ZNSN_ISO_Lb0ESR_SS_SU_SV_SZ_EES10_S11_S12_S13_S17_S18_S19_S1C_S1D_jS1E_jS1F_S1F_jjS1H_bEUljE0_EEES10_S11_S12_S19_S1D_S1F_T6_T7_T9_mT8_S1H_bDpT10_ENKUlT_T0_E_clISt17integral_constantIbLb1EES1V_EEDaS1Q_S1R_EUlS1Q_E_NS1_11comp_targetILNS1_3genE3ELNS1_11target_archE908ELNS1_3gpuE7ELNS1_3repE0EEENS1_30default_config_static_selectorELNS0_4arch9wavefront6targetE0EEEvS13_,comdat
.Lfunc_end1779:
	.size	_ZN7rocprim17ROCPRIM_400000_NS6detail17trampoline_kernelINS0_13select_configILj256ELj13ELNS0_17block_load_methodE3ELS4_3ELS4_3ELNS0_20block_scan_algorithmE0ELj4294967295EEENS1_25partition_config_selectorILNS1_17partition_subalgoE4EjNS0_10empty_typeEbEEZZNS1_14partition_implILS8_4ELb0ES6_15HIP_vector_typeIjLj2EENS0_17counting_iteratorIjlEEPS9_SG_NS0_5tupleIJPjSI_NS0_16reverse_iteratorISI_EEEEENSH_IJSG_SG_SG_EEES9_SI_JZNS1_25segmented_radix_sort_implINS0_14default_configELb0EPK6__halfPSP_PKlPlN2at6native12_GLOBAL__N_18offset_tEEE10hipError_tPvRmT1_PNSt15iterator_traitsIS13_E10value_typeET2_T3_PNS14_IS19_E10value_typeET4_jRbjT5_S1F_jjP12ihipStream_tbEUljE_ZNSN_ISO_Lb0ESR_SS_SU_SV_SZ_EES10_S11_S12_S13_S17_S18_S19_S1C_S1D_jS1E_jS1F_S1F_jjS1H_bEUljE0_EEES10_S11_S12_S19_S1D_S1F_T6_T7_T9_mT8_S1H_bDpT10_ENKUlT_T0_E_clISt17integral_constantIbLb1EES1V_EEDaS1Q_S1R_EUlS1Q_E_NS1_11comp_targetILNS1_3genE3ELNS1_11target_archE908ELNS1_3gpuE7ELNS1_3repE0EEENS1_30default_config_static_selectorELNS0_4arch9wavefront6targetE0EEEvS13_, .Lfunc_end1779-_ZN7rocprim17ROCPRIM_400000_NS6detail17trampoline_kernelINS0_13select_configILj256ELj13ELNS0_17block_load_methodE3ELS4_3ELS4_3ELNS0_20block_scan_algorithmE0ELj4294967295EEENS1_25partition_config_selectorILNS1_17partition_subalgoE4EjNS0_10empty_typeEbEEZZNS1_14partition_implILS8_4ELb0ES6_15HIP_vector_typeIjLj2EENS0_17counting_iteratorIjlEEPS9_SG_NS0_5tupleIJPjSI_NS0_16reverse_iteratorISI_EEEEENSH_IJSG_SG_SG_EEES9_SI_JZNS1_25segmented_radix_sort_implINS0_14default_configELb0EPK6__halfPSP_PKlPlN2at6native12_GLOBAL__N_18offset_tEEE10hipError_tPvRmT1_PNSt15iterator_traitsIS13_E10value_typeET2_T3_PNS14_IS19_E10value_typeET4_jRbjT5_S1F_jjP12ihipStream_tbEUljE_ZNSN_ISO_Lb0ESR_SS_SU_SV_SZ_EES10_S11_S12_S13_S17_S18_S19_S1C_S1D_jS1E_jS1F_S1F_jjS1H_bEUljE0_EEES10_S11_S12_S19_S1D_S1F_T6_T7_T9_mT8_S1H_bDpT10_ENKUlT_T0_E_clISt17integral_constantIbLb1EES1V_EEDaS1Q_S1R_EUlS1Q_E_NS1_11comp_targetILNS1_3genE3ELNS1_11target_archE908ELNS1_3gpuE7ELNS1_3repE0EEENS1_30default_config_static_selectorELNS0_4arch9wavefront6targetE0EEEvS13_
                                        ; -- End function
	.set _ZN7rocprim17ROCPRIM_400000_NS6detail17trampoline_kernelINS0_13select_configILj256ELj13ELNS0_17block_load_methodE3ELS4_3ELS4_3ELNS0_20block_scan_algorithmE0ELj4294967295EEENS1_25partition_config_selectorILNS1_17partition_subalgoE4EjNS0_10empty_typeEbEEZZNS1_14partition_implILS8_4ELb0ES6_15HIP_vector_typeIjLj2EENS0_17counting_iteratorIjlEEPS9_SG_NS0_5tupleIJPjSI_NS0_16reverse_iteratorISI_EEEEENSH_IJSG_SG_SG_EEES9_SI_JZNS1_25segmented_radix_sort_implINS0_14default_configELb0EPK6__halfPSP_PKlPlN2at6native12_GLOBAL__N_18offset_tEEE10hipError_tPvRmT1_PNSt15iterator_traitsIS13_E10value_typeET2_T3_PNS14_IS19_E10value_typeET4_jRbjT5_S1F_jjP12ihipStream_tbEUljE_ZNSN_ISO_Lb0ESR_SS_SU_SV_SZ_EES10_S11_S12_S13_S17_S18_S19_S1C_S1D_jS1E_jS1F_S1F_jjS1H_bEUljE0_EEES10_S11_S12_S19_S1D_S1F_T6_T7_T9_mT8_S1H_bDpT10_ENKUlT_T0_E_clISt17integral_constantIbLb1EES1V_EEDaS1Q_S1R_EUlS1Q_E_NS1_11comp_targetILNS1_3genE3ELNS1_11target_archE908ELNS1_3gpuE7ELNS1_3repE0EEENS1_30default_config_static_selectorELNS0_4arch9wavefront6targetE0EEEvS13_.num_vgpr, 0
	.set _ZN7rocprim17ROCPRIM_400000_NS6detail17trampoline_kernelINS0_13select_configILj256ELj13ELNS0_17block_load_methodE3ELS4_3ELS4_3ELNS0_20block_scan_algorithmE0ELj4294967295EEENS1_25partition_config_selectorILNS1_17partition_subalgoE4EjNS0_10empty_typeEbEEZZNS1_14partition_implILS8_4ELb0ES6_15HIP_vector_typeIjLj2EENS0_17counting_iteratorIjlEEPS9_SG_NS0_5tupleIJPjSI_NS0_16reverse_iteratorISI_EEEEENSH_IJSG_SG_SG_EEES9_SI_JZNS1_25segmented_radix_sort_implINS0_14default_configELb0EPK6__halfPSP_PKlPlN2at6native12_GLOBAL__N_18offset_tEEE10hipError_tPvRmT1_PNSt15iterator_traitsIS13_E10value_typeET2_T3_PNS14_IS19_E10value_typeET4_jRbjT5_S1F_jjP12ihipStream_tbEUljE_ZNSN_ISO_Lb0ESR_SS_SU_SV_SZ_EES10_S11_S12_S13_S17_S18_S19_S1C_S1D_jS1E_jS1F_S1F_jjS1H_bEUljE0_EEES10_S11_S12_S19_S1D_S1F_T6_T7_T9_mT8_S1H_bDpT10_ENKUlT_T0_E_clISt17integral_constantIbLb1EES1V_EEDaS1Q_S1R_EUlS1Q_E_NS1_11comp_targetILNS1_3genE3ELNS1_11target_archE908ELNS1_3gpuE7ELNS1_3repE0EEENS1_30default_config_static_selectorELNS0_4arch9wavefront6targetE0EEEvS13_.num_agpr, 0
	.set _ZN7rocprim17ROCPRIM_400000_NS6detail17trampoline_kernelINS0_13select_configILj256ELj13ELNS0_17block_load_methodE3ELS4_3ELS4_3ELNS0_20block_scan_algorithmE0ELj4294967295EEENS1_25partition_config_selectorILNS1_17partition_subalgoE4EjNS0_10empty_typeEbEEZZNS1_14partition_implILS8_4ELb0ES6_15HIP_vector_typeIjLj2EENS0_17counting_iteratorIjlEEPS9_SG_NS0_5tupleIJPjSI_NS0_16reverse_iteratorISI_EEEEENSH_IJSG_SG_SG_EEES9_SI_JZNS1_25segmented_radix_sort_implINS0_14default_configELb0EPK6__halfPSP_PKlPlN2at6native12_GLOBAL__N_18offset_tEEE10hipError_tPvRmT1_PNSt15iterator_traitsIS13_E10value_typeET2_T3_PNS14_IS19_E10value_typeET4_jRbjT5_S1F_jjP12ihipStream_tbEUljE_ZNSN_ISO_Lb0ESR_SS_SU_SV_SZ_EES10_S11_S12_S13_S17_S18_S19_S1C_S1D_jS1E_jS1F_S1F_jjS1H_bEUljE0_EEES10_S11_S12_S19_S1D_S1F_T6_T7_T9_mT8_S1H_bDpT10_ENKUlT_T0_E_clISt17integral_constantIbLb1EES1V_EEDaS1Q_S1R_EUlS1Q_E_NS1_11comp_targetILNS1_3genE3ELNS1_11target_archE908ELNS1_3gpuE7ELNS1_3repE0EEENS1_30default_config_static_selectorELNS0_4arch9wavefront6targetE0EEEvS13_.numbered_sgpr, 0
	.set _ZN7rocprim17ROCPRIM_400000_NS6detail17trampoline_kernelINS0_13select_configILj256ELj13ELNS0_17block_load_methodE3ELS4_3ELS4_3ELNS0_20block_scan_algorithmE0ELj4294967295EEENS1_25partition_config_selectorILNS1_17partition_subalgoE4EjNS0_10empty_typeEbEEZZNS1_14partition_implILS8_4ELb0ES6_15HIP_vector_typeIjLj2EENS0_17counting_iteratorIjlEEPS9_SG_NS0_5tupleIJPjSI_NS0_16reverse_iteratorISI_EEEEENSH_IJSG_SG_SG_EEES9_SI_JZNS1_25segmented_radix_sort_implINS0_14default_configELb0EPK6__halfPSP_PKlPlN2at6native12_GLOBAL__N_18offset_tEEE10hipError_tPvRmT1_PNSt15iterator_traitsIS13_E10value_typeET2_T3_PNS14_IS19_E10value_typeET4_jRbjT5_S1F_jjP12ihipStream_tbEUljE_ZNSN_ISO_Lb0ESR_SS_SU_SV_SZ_EES10_S11_S12_S13_S17_S18_S19_S1C_S1D_jS1E_jS1F_S1F_jjS1H_bEUljE0_EEES10_S11_S12_S19_S1D_S1F_T6_T7_T9_mT8_S1H_bDpT10_ENKUlT_T0_E_clISt17integral_constantIbLb1EES1V_EEDaS1Q_S1R_EUlS1Q_E_NS1_11comp_targetILNS1_3genE3ELNS1_11target_archE908ELNS1_3gpuE7ELNS1_3repE0EEENS1_30default_config_static_selectorELNS0_4arch9wavefront6targetE0EEEvS13_.num_named_barrier, 0
	.set _ZN7rocprim17ROCPRIM_400000_NS6detail17trampoline_kernelINS0_13select_configILj256ELj13ELNS0_17block_load_methodE3ELS4_3ELS4_3ELNS0_20block_scan_algorithmE0ELj4294967295EEENS1_25partition_config_selectorILNS1_17partition_subalgoE4EjNS0_10empty_typeEbEEZZNS1_14partition_implILS8_4ELb0ES6_15HIP_vector_typeIjLj2EENS0_17counting_iteratorIjlEEPS9_SG_NS0_5tupleIJPjSI_NS0_16reverse_iteratorISI_EEEEENSH_IJSG_SG_SG_EEES9_SI_JZNS1_25segmented_radix_sort_implINS0_14default_configELb0EPK6__halfPSP_PKlPlN2at6native12_GLOBAL__N_18offset_tEEE10hipError_tPvRmT1_PNSt15iterator_traitsIS13_E10value_typeET2_T3_PNS14_IS19_E10value_typeET4_jRbjT5_S1F_jjP12ihipStream_tbEUljE_ZNSN_ISO_Lb0ESR_SS_SU_SV_SZ_EES10_S11_S12_S13_S17_S18_S19_S1C_S1D_jS1E_jS1F_S1F_jjS1H_bEUljE0_EEES10_S11_S12_S19_S1D_S1F_T6_T7_T9_mT8_S1H_bDpT10_ENKUlT_T0_E_clISt17integral_constantIbLb1EES1V_EEDaS1Q_S1R_EUlS1Q_E_NS1_11comp_targetILNS1_3genE3ELNS1_11target_archE908ELNS1_3gpuE7ELNS1_3repE0EEENS1_30default_config_static_selectorELNS0_4arch9wavefront6targetE0EEEvS13_.private_seg_size, 0
	.set _ZN7rocprim17ROCPRIM_400000_NS6detail17trampoline_kernelINS0_13select_configILj256ELj13ELNS0_17block_load_methodE3ELS4_3ELS4_3ELNS0_20block_scan_algorithmE0ELj4294967295EEENS1_25partition_config_selectorILNS1_17partition_subalgoE4EjNS0_10empty_typeEbEEZZNS1_14partition_implILS8_4ELb0ES6_15HIP_vector_typeIjLj2EENS0_17counting_iteratorIjlEEPS9_SG_NS0_5tupleIJPjSI_NS0_16reverse_iteratorISI_EEEEENSH_IJSG_SG_SG_EEES9_SI_JZNS1_25segmented_radix_sort_implINS0_14default_configELb0EPK6__halfPSP_PKlPlN2at6native12_GLOBAL__N_18offset_tEEE10hipError_tPvRmT1_PNSt15iterator_traitsIS13_E10value_typeET2_T3_PNS14_IS19_E10value_typeET4_jRbjT5_S1F_jjP12ihipStream_tbEUljE_ZNSN_ISO_Lb0ESR_SS_SU_SV_SZ_EES10_S11_S12_S13_S17_S18_S19_S1C_S1D_jS1E_jS1F_S1F_jjS1H_bEUljE0_EEES10_S11_S12_S19_S1D_S1F_T6_T7_T9_mT8_S1H_bDpT10_ENKUlT_T0_E_clISt17integral_constantIbLb1EES1V_EEDaS1Q_S1R_EUlS1Q_E_NS1_11comp_targetILNS1_3genE3ELNS1_11target_archE908ELNS1_3gpuE7ELNS1_3repE0EEENS1_30default_config_static_selectorELNS0_4arch9wavefront6targetE0EEEvS13_.uses_vcc, 0
	.set _ZN7rocprim17ROCPRIM_400000_NS6detail17trampoline_kernelINS0_13select_configILj256ELj13ELNS0_17block_load_methodE3ELS4_3ELS4_3ELNS0_20block_scan_algorithmE0ELj4294967295EEENS1_25partition_config_selectorILNS1_17partition_subalgoE4EjNS0_10empty_typeEbEEZZNS1_14partition_implILS8_4ELb0ES6_15HIP_vector_typeIjLj2EENS0_17counting_iteratorIjlEEPS9_SG_NS0_5tupleIJPjSI_NS0_16reverse_iteratorISI_EEEEENSH_IJSG_SG_SG_EEES9_SI_JZNS1_25segmented_radix_sort_implINS0_14default_configELb0EPK6__halfPSP_PKlPlN2at6native12_GLOBAL__N_18offset_tEEE10hipError_tPvRmT1_PNSt15iterator_traitsIS13_E10value_typeET2_T3_PNS14_IS19_E10value_typeET4_jRbjT5_S1F_jjP12ihipStream_tbEUljE_ZNSN_ISO_Lb0ESR_SS_SU_SV_SZ_EES10_S11_S12_S13_S17_S18_S19_S1C_S1D_jS1E_jS1F_S1F_jjS1H_bEUljE0_EEES10_S11_S12_S19_S1D_S1F_T6_T7_T9_mT8_S1H_bDpT10_ENKUlT_T0_E_clISt17integral_constantIbLb1EES1V_EEDaS1Q_S1R_EUlS1Q_E_NS1_11comp_targetILNS1_3genE3ELNS1_11target_archE908ELNS1_3gpuE7ELNS1_3repE0EEENS1_30default_config_static_selectorELNS0_4arch9wavefront6targetE0EEEvS13_.uses_flat_scratch, 0
	.set _ZN7rocprim17ROCPRIM_400000_NS6detail17trampoline_kernelINS0_13select_configILj256ELj13ELNS0_17block_load_methodE3ELS4_3ELS4_3ELNS0_20block_scan_algorithmE0ELj4294967295EEENS1_25partition_config_selectorILNS1_17partition_subalgoE4EjNS0_10empty_typeEbEEZZNS1_14partition_implILS8_4ELb0ES6_15HIP_vector_typeIjLj2EENS0_17counting_iteratorIjlEEPS9_SG_NS0_5tupleIJPjSI_NS0_16reverse_iteratorISI_EEEEENSH_IJSG_SG_SG_EEES9_SI_JZNS1_25segmented_radix_sort_implINS0_14default_configELb0EPK6__halfPSP_PKlPlN2at6native12_GLOBAL__N_18offset_tEEE10hipError_tPvRmT1_PNSt15iterator_traitsIS13_E10value_typeET2_T3_PNS14_IS19_E10value_typeET4_jRbjT5_S1F_jjP12ihipStream_tbEUljE_ZNSN_ISO_Lb0ESR_SS_SU_SV_SZ_EES10_S11_S12_S13_S17_S18_S19_S1C_S1D_jS1E_jS1F_S1F_jjS1H_bEUljE0_EEES10_S11_S12_S19_S1D_S1F_T6_T7_T9_mT8_S1H_bDpT10_ENKUlT_T0_E_clISt17integral_constantIbLb1EES1V_EEDaS1Q_S1R_EUlS1Q_E_NS1_11comp_targetILNS1_3genE3ELNS1_11target_archE908ELNS1_3gpuE7ELNS1_3repE0EEENS1_30default_config_static_selectorELNS0_4arch9wavefront6targetE0EEEvS13_.has_dyn_sized_stack, 0
	.set _ZN7rocprim17ROCPRIM_400000_NS6detail17trampoline_kernelINS0_13select_configILj256ELj13ELNS0_17block_load_methodE3ELS4_3ELS4_3ELNS0_20block_scan_algorithmE0ELj4294967295EEENS1_25partition_config_selectorILNS1_17partition_subalgoE4EjNS0_10empty_typeEbEEZZNS1_14partition_implILS8_4ELb0ES6_15HIP_vector_typeIjLj2EENS0_17counting_iteratorIjlEEPS9_SG_NS0_5tupleIJPjSI_NS0_16reverse_iteratorISI_EEEEENSH_IJSG_SG_SG_EEES9_SI_JZNS1_25segmented_radix_sort_implINS0_14default_configELb0EPK6__halfPSP_PKlPlN2at6native12_GLOBAL__N_18offset_tEEE10hipError_tPvRmT1_PNSt15iterator_traitsIS13_E10value_typeET2_T3_PNS14_IS19_E10value_typeET4_jRbjT5_S1F_jjP12ihipStream_tbEUljE_ZNSN_ISO_Lb0ESR_SS_SU_SV_SZ_EES10_S11_S12_S13_S17_S18_S19_S1C_S1D_jS1E_jS1F_S1F_jjS1H_bEUljE0_EEES10_S11_S12_S19_S1D_S1F_T6_T7_T9_mT8_S1H_bDpT10_ENKUlT_T0_E_clISt17integral_constantIbLb1EES1V_EEDaS1Q_S1R_EUlS1Q_E_NS1_11comp_targetILNS1_3genE3ELNS1_11target_archE908ELNS1_3gpuE7ELNS1_3repE0EEENS1_30default_config_static_selectorELNS0_4arch9wavefront6targetE0EEEvS13_.has_recursion, 0
	.set _ZN7rocprim17ROCPRIM_400000_NS6detail17trampoline_kernelINS0_13select_configILj256ELj13ELNS0_17block_load_methodE3ELS4_3ELS4_3ELNS0_20block_scan_algorithmE0ELj4294967295EEENS1_25partition_config_selectorILNS1_17partition_subalgoE4EjNS0_10empty_typeEbEEZZNS1_14partition_implILS8_4ELb0ES6_15HIP_vector_typeIjLj2EENS0_17counting_iteratorIjlEEPS9_SG_NS0_5tupleIJPjSI_NS0_16reverse_iteratorISI_EEEEENSH_IJSG_SG_SG_EEES9_SI_JZNS1_25segmented_radix_sort_implINS0_14default_configELb0EPK6__halfPSP_PKlPlN2at6native12_GLOBAL__N_18offset_tEEE10hipError_tPvRmT1_PNSt15iterator_traitsIS13_E10value_typeET2_T3_PNS14_IS19_E10value_typeET4_jRbjT5_S1F_jjP12ihipStream_tbEUljE_ZNSN_ISO_Lb0ESR_SS_SU_SV_SZ_EES10_S11_S12_S13_S17_S18_S19_S1C_S1D_jS1E_jS1F_S1F_jjS1H_bEUljE0_EEES10_S11_S12_S19_S1D_S1F_T6_T7_T9_mT8_S1H_bDpT10_ENKUlT_T0_E_clISt17integral_constantIbLb1EES1V_EEDaS1Q_S1R_EUlS1Q_E_NS1_11comp_targetILNS1_3genE3ELNS1_11target_archE908ELNS1_3gpuE7ELNS1_3repE0EEENS1_30default_config_static_selectorELNS0_4arch9wavefront6targetE0EEEvS13_.has_indirect_call, 0
	.section	.AMDGPU.csdata,"",@progbits
; Kernel info:
; codeLenInByte = 0
; TotalNumSgprs: 0
; NumVgprs: 0
; ScratchSize: 0
; MemoryBound: 0
; FloatMode: 240
; IeeeMode: 1
; LDSByteSize: 0 bytes/workgroup (compile time only)
; SGPRBlocks: 0
; VGPRBlocks: 0
; NumSGPRsForWavesPerEU: 1
; NumVGPRsForWavesPerEU: 1
; Occupancy: 16
; WaveLimiterHint : 0
; COMPUTE_PGM_RSRC2:SCRATCH_EN: 0
; COMPUTE_PGM_RSRC2:USER_SGPR: 6
; COMPUTE_PGM_RSRC2:TRAP_HANDLER: 0
; COMPUTE_PGM_RSRC2:TGID_X_EN: 1
; COMPUTE_PGM_RSRC2:TGID_Y_EN: 0
; COMPUTE_PGM_RSRC2:TGID_Z_EN: 0
; COMPUTE_PGM_RSRC2:TIDIG_COMP_CNT: 0
	.section	.text._ZN7rocprim17ROCPRIM_400000_NS6detail17trampoline_kernelINS0_13select_configILj256ELj13ELNS0_17block_load_methodE3ELS4_3ELS4_3ELNS0_20block_scan_algorithmE0ELj4294967295EEENS1_25partition_config_selectorILNS1_17partition_subalgoE4EjNS0_10empty_typeEbEEZZNS1_14partition_implILS8_4ELb0ES6_15HIP_vector_typeIjLj2EENS0_17counting_iteratorIjlEEPS9_SG_NS0_5tupleIJPjSI_NS0_16reverse_iteratorISI_EEEEENSH_IJSG_SG_SG_EEES9_SI_JZNS1_25segmented_radix_sort_implINS0_14default_configELb0EPK6__halfPSP_PKlPlN2at6native12_GLOBAL__N_18offset_tEEE10hipError_tPvRmT1_PNSt15iterator_traitsIS13_E10value_typeET2_T3_PNS14_IS19_E10value_typeET4_jRbjT5_S1F_jjP12ihipStream_tbEUljE_ZNSN_ISO_Lb0ESR_SS_SU_SV_SZ_EES10_S11_S12_S13_S17_S18_S19_S1C_S1D_jS1E_jS1F_S1F_jjS1H_bEUljE0_EEES10_S11_S12_S19_S1D_S1F_T6_T7_T9_mT8_S1H_bDpT10_ENKUlT_T0_E_clISt17integral_constantIbLb1EES1V_EEDaS1Q_S1R_EUlS1Q_E_NS1_11comp_targetILNS1_3genE2ELNS1_11target_archE906ELNS1_3gpuE6ELNS1_3repE0EEENS1_30default_config_static_selectorELNS0_4arch9wavefront6targetE0EEEvS13_,"axG",@progbits,_ZN7rocprim17ROCPRIM_400000_NS6detail17trampoline_kernelINS0_13select_configILj256ELj13ELNS0_17block_load_methodE3ELS4_3ELS4_3ELNS0_20block_scan_algorithmE0ELj4294967295EEENS1_25partition_config_selectorILNS1_17partition_subalgoE4EjNS0_10empty_typeEbEEZZNS1_14partition_implILS8_4ELb0ES6_15HIP_vector_typeIjLj2EENS0_17counting_iteratorIjlEEPS9_SG_NS0_5tupleIJPjSI_NS0_16reverse_iteratorISI_EEEEENSH_IJSG_SG_SG_EEES9_SI_JZNS1_25segmented_radix_sort_implINS0_14default_configELb0EPK6__halfPSP_PKlPlN2at6native12_GLOBAL__N_18offset_tEEE10hipError_tPvRmT1_PNSt15iterator_traitsIS13_E10value_typeET2_T3_PNS14_IS19_E10value_typeET4_jRbjT5_S1F_jjP12ihipStream_tbEUljE_ZNSN_ISO_Lb0ESR_SS_SU_SV_SZ_EES10_S11_S12_S13_S17_S18_S19_S1C_S1D_jS1E_jS1F_S1F_jjS1H_bEUljE0_EEES10_S11_S12_S19_S1D_S1F_T6_T7_T9_mT8_S1H_bDpT10_ENKUlT_T0_E_clISt17integral_constantIbLb1EES1V_EEDaS1Q_S1R_EUlS1Q_E_NS1_11comp_targetILNS1_3genE2ELNS1_11target_archE906ELNS1_3gpuE6ELNS1_3repE0EEENS1_30default_config_static_selectorELNS0_4arch9wavefront6targetE0EEEvS13_,comdat
	.globl	_ZN7rocprim17ROCPRIM_400000_NS6detail17trampoline_kernelINS0_13select_configILj256ELj13ELNS0_17block_load_methodE3ELS4_3ELS4_3ELNS0_20block_scan_algorithmE0ELj4294967295EEENS1_25partition_config_selectorILNS1_17partition_subalgoE4EjNS0_10empty_typeEbEEZZNS1_14partition_implILS8_4ELb0ES6_15HIP_vector_typeIjLj2EENS0_17counting_iteratorIjlEEPS9_SG_NS0_5tupleIJPjSI_NS0_16reverse_iteratorISI_EEEEENSH_IJSG_SG_SG_EEES9_SI_JZNS1_25segmented_radix_sort_implINS0_14default_configELb0EPK6__halfPSP_PKlPlN2at6native12_GLOBAL__N_18offset_tEEE10hipError_tPvRmT1_PNSt15iterator_traitsIS13_E10value_typeET2_T3_PNS14_IS19_E10value_typeET4_jRbjT5_S1F_jjP12ihipStream_tbEUljE_ZNSN_ISO_Lb0ESR_SS_SU_SV_SZ_EES10_S11_S12_S13_S17_S18_S19_S1C_S1D_jS1E_jS1F_S1F_jjS1H_bEUljE0_EEES10_S11_S12_S19_S1D_S1F_T6_T7_T9_mT8_S1H_bDpT10_ENKUlT_T0_E_clISt17integral_constantIbLb1EES1V_EEDaS1Q_S1R_EUlS1Q_E_NS1_11comp_targetILNS1_3genE2ELNS1_11target_archE906ELNS1_3gpuE6ELNS1_3repE0EEENS1_30default_config_static_selectorELNS0_4arch9wavefront6targetE0EEEvS13_ ; -- Begin function _ZN7rocprim17ROCPRIM_400000_NS6detail17trampoline_kernelINS0_13select_configILj256ELj13ELNS0_17block_load_methodE3ELS4_3ELS4_3ELNS0_20block_scan_algorithmE0ELj4294967295EEENS1_25partition_config_selectorILNS1_17partition_subalgoE4EjNS0_10empty_typeEbEEZZNS1_14partition_implILS8_4ELb0ES6_15HIP_vector_typeIjLj2EENS0_17counting_iteratorIjlEEPS9_SG_NS0_5tupleIJPjSI_NS0_16reverse_iteratorISI_EEEEENSH_IJSG_SG_SG_EEES9_SI_JZNS1_25segmented_radix_sort_implINS0_14default_configELb0EPK6__halfPSP_PKlPlN2at6native12_GLOBAL__N_18offset_tEEE10hipError_tPvRmT1_PNSt15iterator_traitsIS13_E10value_typeET2_T3_PNS14_IS19_E10value_typeET4_jRbjT5_S1F_jjP12ihipStream_tbEUljE_ZNSN_ISO_Lb0ESR_SS_SU_SV_SZ_EES10_S11_S12_S13_S17_S18_S19_S1C_S1D_jS1E_jS1F_S1F_jjS1H_bEUljE0_EEES10_S11_S12_S19_S1D_S1F_T6_T7_T9_mT8_S1H_bDpT10_ENKUlT_T0_E_clISt17integral_constantIbLb1EES1V_EEDaS1Q_S1R_EUlS1Q_E_NS1_11comp_targetILNS1_3genE2ELNS1_11target_archE906ELNS1_3gpuE6ELNS1_3repE0EEENS1_30default_config_static_selectorELNS0_4arch9wavefront6targetE0EEEvS13_
	.p2align	8
	.type	_ZN7rocprim17ROCPRIM_400000_NS6detail17trampoline_kernelINS0_13select_configILj256ELj13ELNS0_17block_load_methodE3ELS4_3ELS4_3ELNS0_20block_scan_algorithmE0ELj4294967295EEENS1_25partition_config_selectorILNS1_17partition_subalgoE4EjNS0_10empty_typeEbEEZZNS1_14partition_implILS8_4ELb0ES6_15HIP_vector_typeIjLj2EENS0_17counting_iteratorIjlEEPS9_SG_NS0_5tupleIJPjSI_NS0_16reverse_iteratorISI_EEEEENSH_IJSG_SG_SG_EEES9_SI_JZNS1_25segmented_radix_sort_implINS0_14default_configELb0EPK6__halfPSP_PKlPlN2at6native12_GLOBAL__N_18offset_tEEE10hipError_tPvRmT1_PNSt15iterator_traitsIS13_E10value_typeET2_T3_PNS14_IS19_E10value_typeET4_jRbjT5_S1F_jjP12ihipStream_tbEUljE_ZNSN_ISO_Lb0ESR_SS_SU_SV_SZ_EES10_S11_S12_S13_S17_S18_S19_S1C_S1D_jS1E_jS1F_S1F_jjS1H_bEUljE0_EEES10_S11_S12_S19_S1D_S1F_T6_T7_T9_mT8_S1H_bDpT10_ENKUlT_T0_E_clISt17integral_constantIbLb1EES1V_EEDaS1Q_S1R_EUlS1Q_E_NS1_11comp_targetILNS1_3genE2ELNS1_11target_archE906ELNS1_3gpuE6ELNS1_3repE0EEENS1_30default_config_static_selectorELNS0_4arch9wavefront6targetE0EEEvS13_,@function
_ZN7rocprim17ROCPRIM_400000_NS6detail17trampoline_kernelINS0_13select_configILj256ELj13ELNS0_17block_load_methodE3ELS4_3ELS4_3ELNS0_20block_scan_algorithmE0ELj4294967295EEENS1_25partition_config_selectorILNS1_17partition_subalgoE4EjNS0_10empty_typeEbEEZZNS1_14partition_implILS8_4ELb0ES6_15HIP_vector_typeIjLj2EENS0_17counting_iteratorIjlEEPS9_SG_NS0_5tupleIJPjSI_NS0_16reverse_iteratorISI_EEEEENSH_IJSG_SG_SG_EEES9_SI_JZNS1_25segmented_radix_sort_implINS0_14default_configELb0EPK6__halfPSP_PKlPlN2at6native12_GLOBAL__N_18offset_tEEE10hipError_tPvRmT1_PNSt15iterator_traitsIS13_E10value_typeET2_T3_PNS14_IS19_E10value_typeET4_jRbjT5_S1F_jjP12ihipStream_tbEUljE_ZNSN_ISO_Lb0ESR_SS_SU_SV_SZ_EES10_S11_S12_S13_S17_S18_S19_S1C_S1D_jS1E_jS1F_S1F_jjS1H_bEUljE0_EEES10_S11_S12_S19_S1D_S1F_T6_T7_T9_mT8_S1H_bDpT10_ENKUlT_T0_E_clISt17integral_constantIbLb1EES1V_EEDaS1Q_S1R_EUlS1Q_E_NS1_11comp_targetILNS1_3genE2ELNS1_11target_archE906ELNS1_3gpuE6ELNS1_3repE0EEENS1_30default_config_static_selectorELNS0_4arch9wavefront6targetE0EEEvS13_: ; @_ZN7rocprim17ROCPRIM_400000_NS6detail17trampoline_kernelINS0_13select_configILj256ELj13ELNS0_17block_load_methodE3ELS4_3ELS4_3ELNS0_20block_scan_algorithmE0ELj4294967295EEENS1_25partition_config_selectorILNS1_17partition_subalgoE4EjNS0_10empty_typeEbEEZZNS1_14partition_implILS8_4ELb0ES6_15HIP_vector_typeIjLj2EENS0_17counting_iteratorIjlEEPS9_SG_NS0_5tupleIJPjSI_NS0_16reverse_iteratorISI_EEEEENSH_IJSG_SG_SG_EEES9_SI_JZNS1_25segmented_radix_sort_implINS0_14default_configELb0EPK6__halfPSP_PKlPlN2at6native12_GLOBAL__N_18offset_tEEE10hipError_tPvRmT1_PNSt15iterator_traitsIS13_E10value_typeET2_T3_PNS14_IS19_E10value_typeET4_jRbjT5_S1F_jjP12ihipStream_tbEUljE_ZNSN_ISO_Lb0ESR_SS_SU_SV_SZ_EES10_S11_S12_S13_S17_S18_S19_S1C_S1D_jS1E_jS1F_S1F_jjS1H_bEUljE0_EEES10_S11_S12_S19_S1D_S1F_T6_T7_T9_mT8_S1H_bDpT10_ENKUlT_T0_E_clISt17integral_constantIbLb1EES1V_EEDaS1Q_S1R_EUlS1Q_E_NS1_11comp_targetILNS1_3genE2ELNS1_11target_archE906ELNS1_3gpuE6ELNS1_3repE0EEENS1_30default_config_static_selectorELNS0_4arch9wavefront6targetE0EEEvS13_
; %bb.0:
	.section	.rodata,"a",@progbits
	.p2align	6, 0x0
	.amdhsa_kernel _ZN7rocprim17ROCPRIM_400000_NS6detail17trampoline_kernelINS0_13select_configILj256ELj13ELNS0_17block_load_methodE3ELS4_3ELS4_3ELNS0_20block_scan_algorithmE0ELj4294967295EEENS1_25partition_config_selectorILNS1_17partition_subalgoE4EjNS0_10empty_typeEbEEZZNS1_14partition_implILS8_4ELb0ES6_15HIP_vector_typeIjLj2EENS0_17counting_iteratorIjlEEPS9_SG_NS0_5tupleIJPjSI_NS0_16reverse_iteratorISI_EEEEENSH_IJSG_SG_SG_EEES9_SI_JZNS1_25segmented_radix_sort_implINS0_14default_configELb0EPK6__halfPSP_PKlPlN2at6native12_GLOBAL__N_18offset_tEEE10hipError_tPvRmT1_PNSt15iterator_traitsIS13_E10value_typeET2_T3_PNS14_IS19_E10value_typeET4_jRbjT5_S1F_jjP12ihipStream_tbEUljE_ZNSN_ISO_Lb0ESR_SS_SU_SV_SZ_EES10_S11_S12_S13_S17_S18_S19_S1C_S1D_jS1E_jS1F_S1F_jjS1H_bEUljE0_EEES10_S11_S12_S19_S1D_S1F_T6_T7_T9_mT8_S1H_bDpT10_ENKUlT_T0_E_clISt17integral_constantIbLb1EES1V_EEDaS1Q_S1R_EUlS1Q_E_NS1_11comp_targetILNS1_3genE2ELNS1_11target_archE906ELNS1_3gpuE6ELNS1_3repE0EEENS1_30default_config_static_selectorELNS0_4arch9wavefront6targetE0EEEvS13_
		.amdhsa_group_segment_fixed_size 0
		.amdhsa_private_segment_fixed_size 0
		.amdhsa_kernarg_size 184
		.amdhsa_user_sgpr_count 6
		.amdhsa_user_sgpr_private_segment_buffer 1
		.amdhsa_user_sgpr_dispatch_ptr 0
		.amdhsa_user_sgpr_queue_ptr 0
		.amdhsa_user_sgpr_kernarg_segment_ptr 1
		.amdhsa_user_sgpr_dispatch_id 0
		.amdhsa_user_sgpr_flat_scratch_init 0
		.amdhsa_user_sgpr_private_segment_size 0
		.amdhsa_wavefront_size32 1
		.amdhsa_uses_dynamic_stack 0
		.amdhsa_system_sgpr_private_segment_wavefront_offset 0
		.amdhsa_system_sgpr_workgroup_id_x 1
		.amdhsa_system_sgpr_workgroup_id_y 0
		.amdhsa_system_sgpr_workgroup_id_z 0
		.amdhsa_system_sgpr_workgroup_info 0
		.amdhsa_system_vgpr_workitem_id 0
		.amdhsa_next_free_vgpr 1
		.amdhsa_next_free_sgpr 1
		.amdhsa_reserve_vcc 0
		.amdhsa_reserve_flat_scratch 0
		.amdhsa_float_round_mode_32 0
		.amdhsa_float_round_mode_16_64 0
		.amdhsa_float_denorm_mode_32 3
		.amdhsa_float_denorm_mode_16_64 3
		.amdhsa_dx10_clamp 1
		.amdhsa_ieee_mode 1
		.amdhsa_fp16_overflow 0
		.amdhsa_workgroup_processor_mode 1
		.amdhsa_memory_ordered 1
		.amdhsa_forward_progress 1
		.amdhsa_shared_vgpr_count 0
		.amdhsa_exception_fp_ieee_invalid_op 0
		.amdhsa_exception_fp_denorm_src 0
		.amdhsa_exception_fp_ieee_div_zero 0
		.amdhsa_exception_fp_ieee_overflow 0
		.amdhsa_exception_fp_ieee_underflow 0
		.amdhsa_exception_fp_ieee_inexact 0
		.amdhsa_exception_int_div_zero 0
	.end_amdhsa_kernel
	.section	.text._ZN7rocprim17ROCPRIM_400000_NS6detail17trampoline_kernelINS0_13select_configILj256ELj13ELNS0_17block_load_methodE3ELS4_3ELS4_3ELNS0_20block_scan_algorithmE0ELj4294967295EEENS1_25partition_config_selectorILNS1_17partition_subalgoE4EjNS0_10empty_typeEbEEZZNS1_14partition_implILS8_4ELb0ES6_15HIP_vector_typeIjLj2EENS0_17counting_iteratorIjlEEPS9_SG_NS0_5tupleIJPjSI_NS0_16reverse_iteratorISI_EEEEENSH_IJSG_SG_SG_EEES9_SI_JZNS1_25segmented_radix_sort_implINS0_14default_configELb0EPK6__halfPSP_PKlPlN2at6native12_GLOBAL__N_18offset_tEEE10hipError_tPvRmT1_PNSt15iterator_traitsIS13_E10value_typeET2_T3_PNS14_IS19_E10value_typeET4_jRbjT5_S1F_jjP12ihipStream_tbEUljE_ZNSN_ISO_Lb0ESR_SS_SU_SV_SZ_EES10_S11_S12_S13_S17_S18_S19_S1C_S1D_jS1E_jS1F_S1F_jjS1H_bEUljE0_EEES10_S11_S12_S19_S1D_S1F_T6_T7_T9_mT8_S1H_bDpT10_ENKUlT_T0_E_clISt17integral_constantIbLb1EES1V_EEDaS1Q_S1R_EUlS1Q_E_NS1_11comp_targetILNS1_3genE2ELNS1_11target_archE906ELNS1_3gpuE6ELNS1_3repE0EEENS1_30default_config_static_selectorELNS0_4arch9wavefront6targetE0EEEvS13_,"axG",@progbits,_ZN7rocprim17ROCPRIM_400000_NS6detail17trampoline_kernelINS0_13select_configILj256ELj13ELNS0_17block_load_methodE3ELS4_3ELS4_3ELNS0_20block_scan_algorithmE0ELj4294967295EEENS1_25partition_config_selectorILNS1_17partition_subalgoE4EjNS0_10empty_typeEbEEZZNS1_14partition_implILS8_4ELb0ES6_15HIP_vector_typeIjLj2EENS0_17counting_iteratorIjlEEPS9_SG_NS0_5tupleIJPjSI_NS0_16reverse_iteratorISI_EEEEENSH_IJSG_SG_SG_EEES9_SI_JZNS1_25segmented_radix_sort_implINS0_14default_configELb0EPK6__halfPSP_PKlPlN2at6native12_GLOBAL__N_18offset_tEEE10hipError_tPvRmT1_PNSt15iterator_traitsIS13_E10value_typeET2_T3_PNS14_IS19_E10value_typeET4_jRbjT5_S1F_jjP12ihipStream_tbEUljE_ZNSN_ISO_Lb0ESR_SS_SU_SV_SZ_EES10_S11_S12_S13_S17_S18_S19_S1C_S1D_jS1E_jS1F_S1F_jjS1H_bEUljE0_EEES10_S11_S12_S19_S1D_S1F_T6_T7_T9_mT8_S1H_bDpT10_ENKUlT_T0_E_clISt17integral_constantIbLb1EES1V_EEDaS1Q_S1R_EUlS1Q_E_NS1_11comp_targetILNS1_3genE2ELNS1_11target_archE906ELNS1_3gpuE6ELNS1_3repE0EEENS1_30default_config_static_selectorELNS0_4arch9wavefront6targetE0EEEvS13_,comdat
.Lfunc_end1780:
	.size	_ZN7rocprim17ROCPRIM_400000_NS6detail17trampoline_kernelINS0_13select_configILj256ELj13ELNS0_17block_load_methodE3ELS4_3ELS4_3ELNS0_20block_scan_algorithmE0ELj4294967295EEENS1_25partition_config_selectorILNS1_17partition_subalgoE4EjNS0_10empty_typeEbEEZZNS1_14partition_implILS8_4ELb0ES6_15HIP_vector_typeIjLj2EENS0_17counting_iteratorIjlEEPS9_SG_NS0_5tupleIJPjSI_NS0_16reverse_iteratorISI_EEEEENSH_IJSG_SG_SG_EEES9_SI_JZNS1_25segmented_radix_sort_implINS0_14default_configELb0EPK6__halfPSP_PKlPlN2at6native12_GLOBAL__N_18offset_tEEE10hipError_tPvRmT1_PNSt15iterator_traitsIS13_E10value_typeET2_T3_PNS14_IS19_E10value_typeET4_jRbjT5_S1F_jjP12ihipStream_tbEUljE_ZNSN_ISO_Lb0ESR_SS_SU_SV_SZ_EES10_S11_S12_S13_S17_S18_S19_S1C_S1D_jS1E_jS1F_S1F_jjS1H_bEUljE0_EEES10_S11_S12_S19_S1D_S1F_T6_T7_T9_mT8_S1H_bDpT10_ENKUlT_T0_E_clISt17integral_constantIbLb1EES1V_EEDaS1Q_S1R_EUlS1Q_E_NS1_11comp_targetILNS1_3genE2ELNS1_11target_archE906ELNS1_3gpuE6ELNS1_3repE0EEENS1_30default_config_static_selectorELNS0_4arch9wavefront6targetE0EEEvS13_, .Lfunc_end1780-_ZN7rocprim17ROCPRIM_400000_NS6detail17trampoline_kernelINS0_13select_configILj256ELj13ELNS0_17block_load_methodE3ELS4_3ELS4_3ELNS0_20block_scan_algorithmE0ELj4294967295EEENS1_25partition_config_selectorILNS1_17partition_subalgoE4EjNS0_10empty_typeEbEEZZNS1_14partition_implILS8_4ELb0ES6_15HIP_vector_typeIjLj2EENS0_17counting_iteratorIjlEEPS9_SG_NS0_5tupleIJPjSI_NS0_16reverse_iteratorISI_EEEEENSH_IJSG_SG_SG_EEES9_SI_JZNS1_25segmented_radix_sort_implINS0_14default_configELb0EPK6__halfPSP_PKlPlN2at6native12_GLOBAL__N_18offset_tEEE10hipError_tPvRmT1_PNSt15iterator_traitsIS13_E10value_typeET2_T3_PNS14_IS19_E10value_typeET4_jRbjT5_S1F_jjP12ihipStream_tbEUljE_ZNSN_ISO_Lb0ESR_SS_SU_SV_SZ_EES10_S11_S12_S13_S17_S18_S19_S1C_S1D_jS1E_jS1F_S1F_jjS1H_bEUljE0_EEES10_S11_S12_S19_S1D_S1F_T6_T7_T9_mT8_S1H_bDpT10_ENKUlT_T0_E_clISt17integral_constantIbLb1EES1V_EEDaS1Q_S1R_EUlS1Q_E_NS1_11comp_targetILNS1_3genE2ELNS1_11target_archE906ELNS1_3gpuE6ELNS1_3repE0EEENS1_30default_config_static_selectorELNS0_4arch9wavefront6targetE0EEEvS13_
                                        ; -- End function
	.set _ZN7rocprim17ROCPRIM_400000_NS6detail17trampoline_kernelINS0_13select_configILj256ELj13ELNS0_17block_load_methodE3ELS4_3ELS4_3ELNS0_20block_scan_algorithmE0ELj4294967295EEENS1_25partition_config_selectorILNS1_17partition_subalgoE4EjNS0_10empty_typeEbEEZZNS1_14partition_implILS8_4ELb0ES6_15HIP_vector_typeIjLj2EENS0_17counting_iteratorIjlEEPS9_SG_NS0_5tupleIJPjSI_NS0_16reverse_iteratorISI_EEEEENSH_IJSG_SG_SG_EEES9_SI_JZNS1_25segmented_radix_sort_implINS0_14default_configELb0EPK6__halfPSP_PKlPlN2at6native12_GLOBAL__N_18offset_tEEE10hipError_tPvRmT1_PNSt15iterator_traitsIS13_E10value_typeET2_T3_PNS14_IS19_E10value_typeET4_jRbjT5_S1F_jjP12ihipStream_tbEUljE_ZNSN_ISO_Lb0ESR_SS_SU_SV_SZ_EES10_S11_S12_S13_S17_S18_S19_S1C_S1D_jS1E_jS1F_S1F_jjS1H_bEUljE0_EEES10_S11_S12_S19_S1D_S1F_T6_T7_T9_mT8_S1H_bDpT10_ENKUlT_T0_E_clISt17integral_constantIbLb1EES1V_EEDaS1Q_S1R_EUlS1Q_E_NS1_11comp_targetILNS1_3genE2ELNS1_11target_archE906ELNS1_3gpuE6ELNS1_3repE0EEENS1_30default_config_static_selectorELNS0_4arch9wavefront6targetE0EEEvS13_.num_vgpr, 0
	.set _ZN7rocprim17ROCPRIM_400000_NS6detail17trampoline_kernelINS0_13select_configILj256ELj13ELNS0_17block_load_methodE3ELS4_3ELS4_3ELNS0_20block_scan_algorithmE0ELj4294967295EEENS1_25partition_config_selectorILNS1_17partition_subalgoE4EjNS0_10empty_typeEbEEZZNS1_14partition_implILS8_4ELb0ES6_15HIP_vector_typeIjLj2EENS0_17counting_iteratorIjlEEPS9_SG_NS0_5tupleIJPjSI_NS0_16reverse_iteratorISI_EEEEENSH_IJSG_SG_SG_EEES9_SI_JZNS1_25segmented_radix_sort_implINS0_14default_configELb0EPK6__halfPSP_PKlPlN2at6native12_GLOBAL__N_18offset_tEEE10hipError_tPvRmT1_PNSt15iterator_traitsIS13_E10value_typeET2_T3_PNS14_IS19_E10value_typeET4_jRbjT5_S1F_jjP12ihipStream_tbEUljE_ZNSN_ISO_Lb0ESR_SS_SU_SV_SZ_EES10_S11_S12_S13_S17_S18_S19_S1C_S1D_jS1E_jS1F_S1F_jjS1H_bEUljE0_EEES10_S11_S12_S19_S1D_S1F_T6_T7_T9_mT8_S1H_bDpT10_ENKUlT_T0_E_clISt17integral_constantIbLb1EES1V_EEDaS1Q_S1R_EUlS1Q_E_NS1_11comp_targetILNS1_3genE2ELNS1_11target_archE906ELNS1_3gpuE6ELNS1_3repE0EEENS1_30default_config_static_selectorELNS0_4arch9wavefront6targetE0EEEvS13_.num_agpr, 0
	.set _ZN7rocprim17ROCPRIM_400000_NS6detail17trampoline_kernelINS0_13select_configILj256ELj13ELNS0_17block_load_methodE3ELS4_3ELS4_3ELNS0_20block_scan_algorithmE0ELj4294967295EEENS1_25partition_config_selectorILNS1_17partition_subalgoE4EjNS0_10empty_typeEbEEZZNS1_14partition_implILS8_4ELb0ES6_15HIP_vector_typeIjLj2EENS0_17counting_iteratorIjlEEPS9_SG_NS0_5tupleIJPjSI_NS0_16reverse_iteratorISI_EEEEENSH_IJSG_SG_SG_EEES9_SI_JZNS1_25segmented_radix_sort_implINS0_14default_configELb0EPK6__halfPSP_PKlPlN2at6native12_GLOBAL__N_18offset_tEEE10hipError_tPvRmT1_PNSt15iterator_traitsIS13_E10value_typeET2_T3_PNS14_IS19_E10value_typeET4_jRbjT5_S1F_jjP12ihipStream_tbEUljE_ZNSN_ISO_Lb0ESR_SS_SU_SV_SZ_EES10_S11_S12_S13_S17_S18_S19_S1C_S1D_jS1E_jS1F_S1F_jjS1H_bEUljE0_EEES10_S11_S12_S19_S1D_S1F_T6_T7_T9_mT8_S1H_bDpT10_ENKUlT_T0_E_clISt17integral_constantIbLb1EES1V_EEDaS1Q_S1R_EUlS1Q_E_NS1_11comp_targetILNS1_3genE2ELNS1_11target_archE906ELNS1_3gpuE6ELNS1_3repE0EEENS1_30default_config_static_selectorELNS0_4arch9wavefront6targetE0EEEvS13_.numbered_sgpr, 0
	.set _ZN7rocprim17ROCPRIM_400000_NS6detail17trampoline_kernelINS0_13select_configILj256ELj13ELNS0_17block_load_methodE3ELS4_3ELS4_3ELNS0_20block_scan_algorithmE0ELj4294967295EEENS1_25partition_config_selectorILNS1_17partition_subalgoE4EjNS0_10empty_typeEbEEZZNS1_14partition_implILS8_4ELb0ES6_15HIP_vector_typeIjLj2EENS0_17counting_iteratorIjlEEPS9_SG_NS0_5tupleIJPjSI_NS0_16reverse_iteratorISI_EEEEENSH_IJSG_SG_SG_EEES9_SI_JZNS1_25segmented_radix_sort_implINS0_14default_configELb0EPK6__halfPSP_PKlPlN2at6native12_GLOBAL__N_18offset_tEEE10hipError_tPvRmT1_PNSt15iterator_traitsIS13_E10value_typeET2_T3_PNS14_IS19_E10value_typeET4_jRbjT5_S1F_jjP12ihipStream_tbEUljE_ZNSN_ISO_Lb0ESR_SS_SU_SV_SZ_EES10_S11_S12_S13_S17_S18_S19_S1C_S1D_jS1E_jS1F_S1F_jjS1H_bEUljE0_EEES10_S11_S12_S19_S1D_S1F_T6_T7_T9_mT8_S1H_bDpT10_ENKUlT_T0_E_clISt17integral_constantIbLb1EES1V_EEDaS1Q_S1R_EUlS1Q_E_NS1_11comp_targetILNS1_3genE2ELNS1_11target_archE906ELNS1_3gpuE6ELNS1_3repE0EEENS1_30default_config_static_selectorELNS0_4arch9wavefront6targetE0EEEvS13_.num_named_barrier, 0
	.set _ZN7rocprim17ROCPRIM_400000_NS6detail17trampoline_kernelINS0_13select_configILj256ELj13ELNS0_17block_load_methodE3ELS4_3ELS4_3ELNS0_20block_scan_algorithmE0ELj4294967295EEENS1_25partition_config_selectorILNS1_17partition_subalgoE4EjNS0_10empty_typeEbEEZZNS1_14partition_implILS8_4ELb0ES6_15HIP_vector_typeIjLj2EENS0_17counting_iteratorIjlEEPS9_SG_NS0_5tupleIJPjSI_NS0_16reverse_iteratorISI_EEEEENSH_IJSG_SG_SG_EEES9_SI_JZNS1_25segmented_radix_sort_implINS0_14default_configELb0EPK6__halfPSP_PKlPlN2at6native12_GLOBAL__N_18offset_tEEE10hipError_tPvRmT1_PNSt15iterator_traitsIS13_E10value_typeET2_T3_PNS14_IS19_E10value_typeET4_jRbjT5_S1F_jjP12ihipStream_tbEUljE_ZNSN_ISO_Lb0ESR_SS_SU_SV_SZ_EES10_S11_S12_S13_S17_S18_S19_S1C_S1D_jS1E_jS1F_S1F_jjS1H_bEUljE0_EEES10_S11_S12_S19_S1D_S1F_T6_T7_T9_mT8_S1H_bDpT10_ENKUlT_T0_E_clISt17integral_constantIbLb1EES1V_EEDaS1Q_S1R_EUlS1Q_E_NS1_11comp_targetILNS1_3genE2ELNS1_11target_archE906ELNS1_3gpuE6ELNS1_3repE0EEENS1_30default_config_static_selectorELNS0_4arch9wavefront6targetE0EEEvS13_.private_seg_size, 0
	.set _ZN7rocprim17ROCPRIM_400000_NS6detail17trampoline_kernelINS0_13select_configILj256ELj13ELNS0_17block_load_methodE3ELS4_3ELS4_3ELNS0_20block_scan_algorithmE0ELj4294967295EEENS1_25partition_config_selectorILNS1_17partition_subalgoE4EjNS0_10empty_typeEbEEZZNS1_14partition_implILS8_4ELb0ES6_15HIP_vector_typeIjLj2EENS0_17counting_iteratorIjlEEPS9_SG_NS0_5tupleIJPjSI_NS0_16reverse_iteratorISI_EEEEENSH_IJSG_SG_SG_EEES9_SI_JZNS1_25segmented_radix_sort_implINS0_14default_configELb0EPK6__halfPSP_PKlPlN2at6native12_GLOBAL__N_18offset_tEEE10hipError_tPvRmT1_PNSt15iterator_traitsIS13_E10value_typeET2_T3_PNS14_IS19_E10value_typeET4_jRbjT5_S1F_jjP12ihipStream_tbEUljE_ZNSN_ISO_Lb0ESR_SS_SU_SV_SZ_EES10_S11_S12_S13_S17_S18_S19_S1C_S1D_jS1E_jS1F_S1F_jjS1H_bEUljE0_EEES10_S11_S12_S19_S1D_S1F_T6_T7_T9_mT8_S1H_bDpT10_ENKUlT_T0_E_clISt17integral_constantIbLb1EES1V_EEDaS1Q_S1R_EUlS1Q_E_NS1_11comp_targetILNS1_3genE2ELNS1_11target_archE906ELNS1_3gpuE6ELNS1_3repE0EEENS1_30default_config_static_selectorELNS0_4arch9wavefront6targetE0EEEvS13_.uses_vcc, 0
	.set _ZN7rocprim17ROCPRIM_400000_NS6detail17trampoline_kernelINS0_13select_configILj256ELj13ELNS0_17block_load_methodE3ELS4_3ELS4_3ELNS0_20block_scan_algorithmE0ELj4294967295EEENS1_25partition_config_selectorILNS1_17partition_subalgoE4EjNS0_10empty_typeEbEEZZNS1_14partition_implILS8_4ELb0ES6_15HIP_vector_typeIjLj2EENS0_17counting_iteratorIjlEEPS9_SG_NS0_5tupleIJPjSI_NS0_16reverse_iteratorISI_EEEEENSH_IJSG_SG_SG_EEES9_SI_JZNS1_25segmented_radix_sort_implINS0_14default_configELb0EPK6__halfPSP_PKlPlN2at6native12_GLOBAL__N_18offset_tEEE10hipError_tPvRmT1_PNSt15iterator_traitsIS13_E10value_typeET2_T3_PNS14_IS19_E10value_typeET4_jRbjT5_S1F_jjP12ihipStream_tbEUljE_ZNSN_ISO_Lb0ESR_SS_SU_SV_SZ_EES10_S11_S12_S13_S17_S18_S19_S1C_S1D_jS1E_jS1F_S1F_jjS1H_bEUljE0_EEES10_S11_S12_S19_S1D_S1F_T6_T7_T9_mT8_S1H_bDpT10_ENKUlT_T0_E_clISt17integral_constantIbLb1EES1V_EEDaS1Q_S1R_EUlS1Q_E_NS1_11comp_targetILNS1_3genE2ELNS1_11target_archE906ELNS1_3gpuE6ELNS1_3repE0EEENS1_30default_config_static_selectorELNS0_4arch9wavefront6targetE0EEEvS13_.uses_flat_scratch, 0
	.set _ZN7rocprim17ROCPRIM_400000_NS6detail17trampoline_kernelINS0_13select_configILj256ELj13ELNS0_17block_load_methodE3ELS4_3ELS4_3ELNS0_20block_scan_algorithmE0ELj4294967295EEENS1_25partition_config_selectorILNS1_17partition_subalgoE4EjNS0_10empty_typeEbEEZZNS1_14partition_implILS8_4ELb0ES6_15HIP_vector_typeIjLj2EENS0_17counting_iteratorIjlEEPS9_SG_NS0_5tupleIJPjSI_NS0_16reverse_iteratorISI_EEEEENSH_IJSG_SG_SG_EEES9_SI_JZNS1_25segmented_radix_sort_implINS0_14default_configELb0EPK6__halfPSP_PKlPlN2at6native12_GLOBAL__N_18offset_tEEE10hipError_tPvRmT1_PNSt15iterator_traitsIS13_E10value_typeET2_T3_PNS14_IS19_E10value_typeET4_jRbjT5_S1F_jjP12ihipStream_tbEUljE_ZNSN_ISO_Lb0ESR_SS_SU_SV_SZ_EES10_S11_S12_S13_S17_S18_S19_S1C_S1D_jS1E_jS1F_S1F_jjS1H_bEUljE0_EEES10_S11_S12_S19_S1D_S1F_T6_T7_T9_mT8_S1H_bDpT10_ENKUlT_T0_E_clISt17integral_constantIbLb1EES1V_EEDaS1Q_S1R_EUlS1Q_E_NS1_11comp_targetILNS1_3genE2ELNS1_11target_archE906ELNS1_3gpuE6ELNS1_3repE0EEENS1_30default_config_static_selectorELNS0_4arch9wavefront6targetE0EEEvS13_.has_dyn_sized_stack, 0
	.set _ZN7rocprim17ROCPRIM_400000_NS6detail17trampoline_kernelINS0_13select_configILj256ELj13ELNS0_17block_load_methodE3ELS4_3ELS4_3ELNS0_20block_scan_algorithmE0ELj4294967295EEENS1_25partition_config_selectorILNS1_17partition_subalgoE4EjNS0_10empty_typeEbEEZZNS1_14partition_implILS8_4ELb0ES6_15HIP_vector_typeIjLj2EENS0_17counting_iteratorIjlEEPS9_SG_NS0_5tupleIJPjSI_NS0_16reverse_iteratorISI_EEEEENSH_IJSG_SG_SG_EEES9_SI_JZNS1_25segmented_radix_sort_implINS0_14default_configELb0EPK6__halfPSP_PKlPlN2at6native12_GLOBAL__N_18offset_tEEE10hipError_tPvRmT1_PNSt15iterator_traitsIS13_E10value_typeET2_T3_PNS14_IS19_E10value_typeET4_jRbjT5_S1F_jjP12ihipStream_tbEUljE_ZNSN_ISO_Lb0ESR_SS_SU_SV_SZ_EES10_S11_S12_S13_S17_S18_S19_S1C_S1D_jS1E_jS1F_S1F_jjS1H_bEUljE0_EEES10_S11_S12_S19_S1D_S1F_T6_T7_T9_mT8_S1H_bDpT10_ENKUlT_T0_E_clISt17integral_constantIbLb1EES1V_EEDaS1Q_S1R_EUlS1Q_E_NS1_11comp_targetILNS1_3genE2ELNS1_11target_archE906ELNS1_3gpuE6ELNS1_3repE0EEENS1_30default_config_static_selectorELNS0_4arch9wavefront6targetE0EEEvS13_.has_recursion, 0
	.set _ZN7rocprim17ROCPRIM_400000_NS6detail17trampoline_kernelINS0_13select_configILj256ELj13ELNS0_17block_load_methodE3ELS4_3ELS4_3ELNS0_20block_scan_algorithmE0ELj4294967295EEENS1_25partition_config_selectorILNS1_17partition_subalgoE4EjNS0_10empty_typeEbEEZZNS1_14partition_implILS8_4ELb0ES6_15HIP_vector_typeIjLj2EENS0_17counting_iteratorIjlEEPS9_SG_NS0_5tupleIJPjSI_NS0_16reverse_iteratorISI_EEEEENSH_IJSG_SG_SG_EEES9_SI_JZNS1_25segmented_radix_sort_implINS0_14default_configELb0EPK6__halfPSP_PKlPlN2at6native12_GLOBAL__N_18offset_tEEE10hipError_tPvRmT1_PNSt15iterator_traitsIS13_E10value_typeET2_T3_PNS14_IS19_E10value_typeET4_jRbjT5_S1F_jjP12ihipStream_tbEUljE_ZNSN_ISO_Lb0ESR_SS_SU_SV_SZ_EES10_S11_S12_S13_S17_S18_S19_S1C_S1D_jS1E_jS1F_S1F_jjS1H_bEUljE0_EEES10_S11_S12_S19_S1D_S1F_T6_T7_T9_mT8_S1H_bDpT10_ENKUlT_T0_E_clISt17integral_constantIbLb1EES1V_EEDaS1Q_S1R_EUlS1Q_E_NS1_11comp_targetILNS1_3genE2ELNS1_11target_archE906ELNS1_3gpuE6ELNS1_3repE0EEENS1_30default_config_static_selectorELNS0_4arch9wavefront6targetE0EEEvS13_.has_indirect_call, 0
	.section	.AMDGPU.csdata,"",@progbits
; Kernel info:
; codeLenInByte = 0
; TotalNumSgprs: 0
; NumVgprs: 0
; ScratchSize: 0
; MemoryBound: 0
; FloatMode: 240
; IeeeMode: 1
; LDSByteSize: 0 bytes/workgroup (compile time only)
; SGPRBlocks: 0
; VGPRBlocks: 0
; NumSGPRsForWavesPerEU: 1
; NumVGPRsForWavesPerEU: 1
; Occupancy: 16
; WaveLimiterHint : 0
; COMPUTE_PGM_RSRC2:SCRATCH_EN: 0
; COMPUTE_PGM_RSRC2:USER_SGPR: 6
; COMPUTE_PGM_RSRC2:TRAP_HANDLER: 0
; COMPUTE_PGM_RSRC2:TGID_X_EN: 1
; COMPUTE_PGM_RSRC2:TGID_Y_EN: 0
; COMPUTE_PGM_RSRC2:TGID_Z_EN: 0
; COMPUTE_PGM_RSRC2:TIDIG_COMP_CNT: 0
	.section	.text._ZN7rocprim17ROCPRIM_400000_NS6detail17trampoline_kernelINS0_13select_configILj256ELj13ELNS0_17block_load_methodE3ELS4_3ELS4_3ELNS0_20block_scan_algorithmE0ELj4294967295EEENS1_25partition_config_selectorILNS1_17partition_subalgoE4EjNS0_10empty_typeEbEEZZNS1_14partition_implILS8_4ELb0ES6_15HIP_vector_typeIjLj2EENS0_17counting_iteratorIjlEEPS9_SG_NS0_5tupleIJPjSI_NS0_16reverse_iteratorISI_EEEEENSH_IJSG_SG_SG_EEES9_SI_JZNS1_25segmented_radix_sort_implINS0_14default_configELb0EPK6__halfPSP_PKlPlN2at6native12_GLOBAL__N_18offset_tEEE10hipError_tPvRmT1_PNSt15iterator_traitsIS13_E10value_typeET2_T3_PNS14_IS19_E10value_typeET4_jRbjT5_S1F_jjP12ihipStream_tbEUljE_ZNSN_ISO_Lb0ESR_SS_SU_SV_SZ_EES10_S11_S12_S13_S17_S18_S19_S1C_S1D_jS1E_jS1F_S1F_jjS1H_bEUljE0_EEES10_S11_S12_S19_S1D_S1F_T6_T7_T9_mT8_S1H_bDpT10_ENKUlT_T0_E_clISt17integral_constantIbLb1EES1V_EEDaS1Q_S1R_EUlS1Q_E_NS1_11comp_targetILNS1_3genE10ELNS1_11target_archE1200ELNS1_3gpuE4ELNS1_3repE0EEENS1_30default_config_static_selectorELNS0_4arch9wavefront6targetE0EEEvS13_,"axG",@progbits,_ZN7rocprim17ROCPRIM_400000_NS6detail17trampoline_kernelINS0_13select_configILj256ELj13ELNS0_17block_load_methodE3ELS4_3ELS4_3ELNS0_20block_scan_algorithmE0ELj4294967295EEENS1_25partition_config_selectorILNS1_17partition_subalgoE4EjNS0_10empty_typeEbEEZZNS1_14partition_implILS8_4ELb0ES6_15HIP_vector_typeIjLj2EENS0_17counting_iteratorIjlEEPS9_SG_NS0_5tupleIJPjSI_NS0_16reverse_iteratorISI_EEEEENSH_IJSG_SG_SG_EEES9_SI_JZNS1_25segmented_radix_sort_implINS0_14default_configELb0EPK6__halfPSP_PKlPlN2at6native12_GLOBAL__N_18offset_tEEE10hipError_tPvRmT1_PNSt15iterator_traitsIS13_E10value_typeET2_T3_PNS14_IS19_E10value_typeET4_jRbjT5_S1F_jjP12ihipStream_tbEUljE_ZNSN_ISO_Lb0ESR_SS_SU_SV_SZ_EES10_S11_S12_S13_S17_S18_S19_S1C_S1D_jS1E_jS1F_S1F_jjS1H_bEUljE0_EEES10_S11_S12_S19_S1D_S1F_T6_T7_T9_mT8_S1H_bDpT10_ENKUlT_T0_E_clISt17integral_constantIbLb1EES1V_EEDaS1Q_S1R_EUlS1Q_E_NS1_11comp_targetILNS1_3genE10ELNS1_11target_archE1200ELNS1_3gpuE4ELNS1_3repE0EEENS1_30default_config_static_selectorELNS0_4arch9wavefront6targetE0EEEvS13_,comdat
	.globl	_ZN7rocprim17ROCPRIM_400000_NS6detail17trampoline_kernelINS0_13select_configILj256ELj13ELNS0_17block_load_methodE3ELS4_3ELS4_3ELNS0_20block_scan_algorithmE0ELj4294967295EEENS1_25partition_config_selectorILNS1_17partition_subalgoE4EjNS0_10empty_typeEbEEZZNS1_14partition_implILS8_4ELb0ES6_15HIP_vector_typeIjLj2EENS0_17counting_iteratorIjlEEPS9_SG_NS0_5tupleIJPjSI_NS0_16reverse_iteratorISI_EEEEENSH_IJSG_SG_SG_EEES9_SI_JZNS1_25segmented_radix_sort_implINS0_14default_configELb0EPK6__halfPSP_PKlPlN2at6native12_GLOBAL__N_18offset_tEEE10hipError_tPvRmT1_PNSt15iterator_traitsIS13_E10value_typeET2_T3_PNS14_IS19_E10value_typeET4_jRbjT5_S1F_jjP12ihipStream_tbEUljE_ZNSN_ISO_Lb0ESR_SS_SU_SV_SZ_EES10_S11_S12_S13_S17_S18_S19_S1C_S1D_jS1E_jS1F_S1F_jjS1H_bEUljE0_EEES10_S11_S12_S19_S1D_S1F_T6_T7_T9_mT8_S1H_bDpT10_ENKUlT_T0_E_clISt17integral_constantIbLb1EES1V_EEDaS1Q_S1R_EUlS1Q_E_NS1_11comp_targetILNS1_3genE10ELNS1_11target_archE1200ELNS1_3gpuE4ELNS1_3repE0EEENS1_30default_config_static_selectorELNS0_4arch9wavefront6targetE0EEEvS13_ ; -- Begin function _ZN7rocprim17ROCPRIM_400000_NS6detail17trampoline_kernelINS0_13select_configILj256ELj13ELNS0_17block_load_methodE3ELS4_3ELS4_3ELNS0_20block_scan_algorithmE0ELj4294967295EEENS1_25partition_config_selectorILNS1_17partition_subalgoE4EjNS0_10empty_typeEbEEZZNS1_14partition_implILS8_4ELb0ES6_15HIP_vector_typeIjLj2EENS0_17counting_iteratorIjlEEPS9_SG_NS0_5tupleIJPjSI_NS0_16reverse_iteratorISI_EEEEENSH_IJSG_SG_SG_EEES9_SI_JZNS1_25segmented_radix_sort_implINS0_14default_configELb0EPK6__halfPSP_PKlPlN2at6native12_GLOBAL__N_18offset_tEEE10hipError_tPvRmT1_PNSt15iterator_traitsIS13_E10value_typeET2_T3_PNS14_IS19_E10value_typeET4_jRbjT5_S1F_jjP12ihipStream_tbEUljE_ZNSN_ISO_Lb0ESR_SS_SU_SV_SZ_EES10_S11_S12_S13_S17_S18_S19_S1C_S1D_jS1E_jS1F_S1F_jjS1H_bEUljE0_EEES10_S11_S12_S19_S1D_S1F_T6_T7_T9_mT8_S1H_bDpT10_ENKUlT_T0_E_clISt17integral_constantIbLb1EES1V_EEDaS1Q_S1R_EUlS1Q_E_NS1_11comp_targetILNS1_3genE10ELNS1_11target_archE1200ELNS1_3gpuE4ELNS1_3repE0EEENS1_30default_config_static_selectorELNS0_4arch9wavefront6targetE0EEEvS13_
	.p2align	8
	.type	_ZN7rocprim17ROCPRIM_400000_NS6detail17trampoline_kernelINS0_13select_configILj256ELj13ELNS0_17block_load_methodE3ELS4_3ELS4_3ELNS0_20block_scan_algorithmE0ELj4294967295EEENS1_25partition_config_selectorILNS1_17partition_subalgoE4EjNS0_10empty_typeEbEEZZNS1_14partition_implILS8_4ELb0ES6_15HIP_vector_typeIjLj2EENS0_17counting_iteratorIjlEEPS9_SG_NS0_5tupleIJPjSI_NS0_16reverse_iteratorISI_EEEEENSH_IJSG_SG_SG_EEES9_SI_JZNS1_25segmented_radix_sort_implINS0_14default_configELb0EPK6__halfPSP_PKlPlN2at6native12_GLOBAL__N_18offset_tEEE10hipError_tPvRmT1_PNSt15iterator_traitsIS13_E10value_typeET2_T3_PNS14_IS19_E10value_typeET4_jRbjT5_S1F_jjP12ihipStream_tbEUljE_ZNSN_ISO_Lb0ESR_SS_SU_SV_SZ_EES10_S11_S12_S13_S17_S18_S19_S1C_S1D_jS1E_jS1F_S1F_jjS1H_bEUljE0_EEES10_S11_S12_S19_S1D_S1F_T6_T7_T9_mT8_S1H_bDpT10_ENKUlT_T0_E_clISt17integral_constantIbLb1EES1V_EEDaS1Q_S1R_EUlS1Q_E_NS1_11comp_targetILNS1_3genE10ELNS1_11target_archE1200ELNS1_3gpuE4ELNS1_3repE0EEENS1_30default_config_static_selectorELNS0_4arch9wavefront6targetE0EEEvS13_,@function
_ZN7rocprim17ROCPRIM_400000_NS6detail17trampoline_kernelINS0_13select_configILj256ELj13ELNS0_17block_load_methodE3ELS4_3ELS4_3ELNS0_20block_scan_algorithmE0ELj4294967295EEENS1_25partition_config_selectorILNS1_17partition_subalgoE4EjNS0_10empty_typeEbEEZZNS1_14partition_implILS8_4ELb0ES6_15HIP_vector_typeIjLj2EENS0_17counting_iteratorIjlEEPS9_SG_NS0_5tupleIJPjSI_NS0_16reverse_iteratorISI_EEEEENSH_IJSG_SG_SG_EEES9_SI_JZNS1_25segmented_radix_sort_implINS0_14default_configELb0EPK6__halfPSP_PKlPlN2at6native12_GLOBAL__N_18offset_tEEE10hipError_tPvRmT1_PNSt15iterator_traitsIS13_E10value_typeET2_T3_PNS14_IS19_E10value_typeET4_jRbjT5_S1F_jjP12ihipStream_tbEUljE_ZNSN_ISO_Lb0ESR_SS_SU_SV_SZ_EES10_S11_S12_S13_S17_S18_S19_S1C_S1D_jS1E_jS1F_S1F_jjS1H_bEUljE0_EEES10_S11_S12_S19_S1D_S1F_T6_T7_T9_mT8_S1H_bDpT10_ENKUlT_T0_E_clISt17integral_constantIbLb1EES1V_EEDaS1Q_S1R_EUlS1Q_E_NS1_11comp_targetILNS1_3genE10ELNS1_11target_archE1200ELNS1_3gpuE4ELNS1_3repE0EEENS1_30default_config_static_selectorELNS0_4arch9wavefront6targetE0EEEvS13_: ; @_ZN7rocprim17ROCPRIM_400000_NS6detail17trampoline_kernelINS0_13select_configILj256ELj13ELNS0_17block_load_methodE3ELS4_3ELS4_3ELNS0_20block_scan_algorithmE0ELj4294967295EEENS1_25partition_config_selectorILNS1_17partition_subalgoE4EjNS0_10empty_typeEbEEZZNS1_14partition_implILS8_4ELb0ES6_15HIP_vector_typeIjLj2EENS0_17counting_iteratorIjlEEPS9_SG_NS0_5tupleIJPjSI_NS0_16reverse_iteratorISI_EEEEENSH_IJSG_SG_SG_EEES9_SI_JZNS1_25segmented_radix_sort_implINS0_14default_configELb0EPK6__halfPSP_PKlPlN2at6native12_GLOBAL__N_18offset_tEEE10hipError_tPvRmT1_PNSt15iterator_traitsIS13_E10value_typeET2_T3_PNS14_IS19_E10value_typeET4_jRbjT5_S1F_jjP12ihipStream_tbEUljE_ZNSN_ISO_Lb0ESR_SS_SU_SV_SZ_EES10_S11_S12_S13_S17_S18_S19_S1C_S1D_jS1E_jS1F_S1F_jjS1H_bEUljE0_EEES10_S11_S12_S19_S1D_S1F_T6_T7_T9_mT8_S1H_bDpT10_ENKUlT_T0_E_clISt17integral_constantIbLb1EES1V_EEDaS1Q_S1R_EUlS1Q_E_NS1_11comp_targetILNS1_3genE10ELNS1_11target_archE1200ELNS1_3gpuE4ELNS1_3repE0EEENS1_30default_config_static_selectorELNS0_4arch9wavefront6targetE0EEEvS13_
; %bb.0:
	.section	.rodata,"a",@progbits
	.p2align	6, 0x0
	.amdhsa_kernel _ZN7rocprim17ROCPRIM_400000_NS6detail17trampoline_kernelINS0_13select_configILj256ELj13ELNS0_17block_load_methodE3ELS4_3ELS4_3ELNS0_20block_scan_algorithmE0ELj4294967295EEENS1_25partition_config_selectorILNS1_17partition_subalgoE4EjNS0_10empty_typeEbEEZZNS1_14partition_implILS8_4ELb0ES6_15HIP_vector_typeIjLj2EENS0_17counting_iteratorIjlEEPS9_SG_NS0_5tupleIJPjSI_NS0_16reverse_iteratorISI_EEEEENSH_IJSG_SG_SG_EEES9_SI_JZNS1_25segmented_radix_sort_implINS0_14default_configELb0EPK6__halfPSP_PKlPlN2at6native12_GLOBAL__N_18offset_tEEE10hipError_tPvRmT1_PNSt15iterator_traitsIS13_E10value_typeET2_T3_PNS14_IS19_E10value_typeET4_jRbjT5_S1F_jjP12ihipStream_tbEUljE_ZNSN_ISO_Lb0ESR_SS_SU_SV_SZ_EES10_S11_S12_S13_S17_S18_S19_S1C_S1D_jS1E_jS1F_S1F_jjS1H_bEUljE0_EEES10_S11_S12_S19_S1D_S1F_T6_T7_T9_mT8_S1H_bDpT10_ENKUlT_T0_E_clISt17integral_constantIbLb1EES1V_EEDaS1Q_S1R_EUlS1Q_E_NS1_11comp_targetILNS1_3genE10ELNS1_11target_archE1200ELNS1_3gpuE4ELNS1_3repE0EEENS1_30default_config_static_selectorELNS0_4arch9wavefront6targetE0EEEvS13_
		.amdhsa_group_segment_fixed_size 0
		.amdhsa_private_segment_fixed_size 0
		.amdhsa_kernarg_size 184
		.amdhsa_user_sgpr_count 6
		.amdhsa_user_sgpr_private_segment_buffer 1
		.amdhsa_user_sgpr_dispatch_ptr 0
		.amdhsa_user_sgpr_queue_ptr 0
		.amdhsa_user_sgpr_kernarg_segment_ptr 1
		.amdhsa_user_sgpr_dispatch_id 0
		.amdhsa_user_sgpr_flat_scratch_init 0
		.amdhsa_user_sgpr_private_segment_size 0
		.amdhsa_wavefront_size32 1
		.amdhsa_uses_dynamic_stack 0
		.amdhsa_system_sgpr_private_segment_wavefront_offset 0
		.amdhsa_system_sgpr_workgroup_id_x 1
		.amdhsa_system_sgpr_workgroup_id_y 0
		.amdhsa_system_sgpr_workgroup_id_z 0
		.amdhsa_system_sgpr_workgroup_info 0
		.amdhsa_system_vgpr_workitem_id 0
		.amdhsa_next_free_vgpr 1
		.amdhsa_next_free_sgpr 1
		.amdhsa_reserve_vcc 0
		.amdhsa_reserve_flat_scratch 0
		.amdhsa_float_round_mode_32 0
		.amdhsa_float_round_mode_16_64 0
		.amdhsa_float_denorm_mode_32 3
		.amdhsa_float_denorm_mode_16_64 3
		.amdhsa_dx10_clamp 1
		.amdhsa_ieee_mode 1
		.amdhsa_fp16_overflow 0
		.amdhsa_workgroup_processor_mode 1
		.amdhsa_memory_ordered 1
		.amdhsa_forward_progress 1
		.amdhsa_shared_vgpr_count 0
		.amdhsa_exception_fp_ieee_invalid_op 0
		.amdhsa_exception_fp_denorm_src 0
		.amdhsa_exception_fp_ieee_div_zero 0
		.amdhsa_exception_fp_ieee_overflow 0
		.amdhsa_exception_fp_ieee_underflow 0
		.amdhsa_exception_fp_ieee_inexact 0
		.amdhsa_exception_int_div_zero 0
	.end_amdhsa_kernel
	.section	.text._ZN7rocprim17ROCPRIM_400000_NS6detail17trampoline_kernelINS0_13select_configILj256ELj13ELNS0_17block_load_methodE3ELS4_3ELS4_3ELNS0_20block_scan_algorithmE0ELj4294967295EEENS1_25partition_config_selectorILNS1_17partition_subalgoE4EjNS0_10empty_typeEbEEZZNS1_14partition_implILS8_4ELb0ES6_15HIP_vector_typeIjLj2EENS0_17counting_iteratorIjlEEPS9_SG_NS0_5tupleIJPjSI_NS0_16reverse_iteratorISI_EEEEENSH_IJSG_SG_SG_EEES9_SI_JZNS1_25segmented_radix_sort_implINS0_14default_configELb0EPK6__halfPSP_PKlPlN2at6native12_GLOBAL__N_18offset_tEEE10hipError_tPvRmT1_PNSt15iterator_traitsIS13_E10value_typeET2_T3_PNS14_IS19_E10value_typeET4_jRbjT5_S1F_jjP12ihipStream_tbEUljE_ZNSN_ISO_Lb0ESR_SS_SU_SV_SZ_EES10_S11_S12_S13_S17_S18_S19_S1C_S1D_jS1E_jS1F_S1F_jjS1H_bEUljE0_EEES10_S11_S12_S19_S1D_S1F_T6_T7_T9_mT8_S1H_bDpT10_ENKUlT_T0_E_clISt17integral_constantIbLb1EES1V_EEDaS1Q_S1R_EUlS1Q_E_NS1_11comp_targetILNS1_3genE10ELNS1_11target_archE1200ELNS1_3gpuE4ELNS1_3repE0EEENS1_30default_config_static_selectorELNS0_4arch9wavefront6targetE0EEEvS13_,"axG",@progbits,_ZN7rocprim17ROCPRIM_400000_NS6detail17trampoline_kernelINS0_13select_configILj256ELj13ELNS0_17block_load_methodE3ELS4_3ELS4_3ELNS0_20block_scan_algorithmE0ELj4294967295EEENS1_25partition_config_selectorILNS1_17partition_subalgoE4EjNS0_10empty_typeEbEEZZNS1_14partition_implILS8_4ELb0ES6_15HIP_vector_typeIjLj2EENS0_17counting_iteratorIjlEEPS9_SG_NS0_5tupleIJPjSI_NS0_16reverse_iteratorISI_EEEEENSH_IJSG_SG_SG_EEES9_SI_JZNS1_25segmented_radix_sort_implINS0_14default_configELb0EPK6__halfPSP_PKlPlN2at6native12_GLOBAL__N_18offset_tEEE10hipError_tPvRmT1_PNSt15iterator_traitsIS13_E10value_typeET2_T3_PNS14_IS19_E10value_typeET4_jRbjT5_S1F_jjP12ihipStream_tbEUljE_ZNSN_ISO_Lb0ESR_SS_SU_SV_SZ_EES10_S11_S12_S13_S17_S18_S19_S1C_S1D_jS1E_jS1F_S1F_jjS1H_bEUljE0_EEES10_S11_S12_S19_S1D_S1F_T6_T7_T9_mT8_S1H_bDpT10_ENKUlT_T0_E_clISt17integral_constantIbLb1EES1V_EEDaS1Q_S1R_EUlS1Q_E_NS1_11comp_targetILNS1_3genE10ELNS1_11target_archE1200ELNS1_3gpuE4ELNS1_3repE0EEENS1_30default_config_static_selectorELNS0_4arch9wavefront6targetE0EEEvS13_,comdat
.Lfunc_end1781:
	.size	_ZN7rocprim17ROCPRIM_400000_NS6detail17trampoline_kernelINS0_13select_configILj256ELj13ELNS0_17block_load_methodE3ELS4_3ELS4_3ELNS0_20block_scan_algorithmE0ELj4294967295EEENS1_25partition_config_selectorILNS1_17partition_subalgoE4EjNS0_10empty_typeEbEEZZNS1_14partition_implILS8_4ELb0ES6_15HIP_vector_typeIjLj2EENS0_17counting_iteratorIjlEEPS9_SG_NS0_5tupleIJPjSI_NS0_16reverse_iteratorISI_EEEEENSH_IJSG_SG_SG_EEES9_SI_JZNS1_25segmented_radix_sort_implINS0_14default_configELb0EPK6__halfPSP_PKlPlN2at6native12_GLOBAL__N_18offset_tEEE10hipError_tPvRmT1_PNSt15iterator_traitsIS13_E10value_typeET2_T3_PNS14_IS19_E10value_typeET4_jRbjT5_S1F_jjP12ihipStream_tbEUljE_ZNSN_ISO_Lb0ESR_SS_SU_SV_SZ_EES10_S11_S12_S13_S17_S18_S19_S1C_S1D_jS1E_jS1F_S1F_jjS1H_bEUljE0_EEES10_S11_S12_S19_S1D_S1F_T6_T7_T9_mT8_S1H_bDpT10_ENKUlT_T0_E_clISt17integral_constantIbLb1EES1V_EEDaS1Q_S1R_EUlS1Q_E_NS1_11comp_targetILNS1_3genE10ELNS1_11target_archE1200ELNS1_3gpuE4ELNS1_3repE0EEENS1_30default_config_static_selectorELNS0_4arch9wavefront6targetE0EEEvS13_, .Lfunc_end1781-_ZN7rocprim17ROCPRIM_400000_NS6detail17trampoline_kernelINS0_13select_configILj256ELj13ELNS0_17block_load_methodE3ELS4_3ELS4_3ELNS0_20block_scan_algorithmE0ELj4294967295EEENS1_25partition_config_selectorILNS1_17partition_subalgoE4EjNS0_10empty_typeEbEEZZNS1_14partition_implILS8_4ELb0ES6_15HIP_vector_typeIjLj2EENS0_17counting_iteratorIjlEEPS9_SG_NS0_5tupleIJPjSI_NS0_16reverse_iteratorISI_EEEEENSH_IJSG_SG_SG_EEES9_SI_JZNS1_25segmented_radix_sort_implINS0_14default_configELb0EPK6__halfPSP_PKlPlN2at6native12_GLOBAL__N_18offset_tEEE10hipError_tPvRmT1_PNSt15iterator_traitsIS13_E10value_typeET2_T3_PNS14_IS19_E10value_typeET4_jRbjT5_S1F_jjP12ihipStream_tbEUljE_ZNSN_ISO_Lb0ESR_SS_SU_SV_SZ_EES10_S11_S12_S13_S17_S18_S19_S1C_S1D_jS1E_jS1F_S1F_jjS1H_bEUljE0_EEES10_S11_S12_S19_S1D_S1F_T6_T7_T9_mT8_S1H_bDpT10_ENKUlT_T0_E_clISt17integral_constantIbLb1EES1V_EEDaS1Q_S1R_EUlS1Q_E_NS1_11comp_targetILNS1_3genE10ELNS1_11target_archE1200ELNS1_3gpuE4ELNS1_3repE0EEENS1_30default_config_static_selectorELNS0_4arch9wavefront6targetE0EEEvS13_
                                        ; -- End function
	.set _ZN7rocprim17ROCPRIM_400000_NS6detail17trampoline_kernelINS0_13select_configILj256ELj13ELNS0_17block_load_methodE3ELS4_3ELS4_3ELNS0_20block_scan_algorithmE0ELj4294967295EEENS1_25partition_config_selectorILNS1_17partition_subalgoE4EjNS0_10empty_typeEbEEZZNS1_14partition_implILS8_4ELb0ES6_15HIP_vector_typeIjLj2EENS0_17counting_iteratorIjlEEPS9_SG_NS0_5tupleIJPjSI_NS0_16reverse_iteratorISI_EEEEENSH_IJSG_SG_SG_EEES9_SI_JZNS1_25segmented_radix_sort_implINS0_14default_configELb0EPK6__halfPSP_PKlPlN2at6native12_GLOBAL__N_18offset_tEEE10hipError_tPvRmT1_PNSt15iterator_traitsIS13_E10value_typeET2_T3_PNS14_IS19_E10value_typeET4_jRbjT5_S1F_jjP12ihipStream_tbEUljE_ZNSN_ISO_Lb0ESR_SS_SU_SV_SZ_EES10_S11_S12_S13_S17_S18_S19_S1C_S1D_jS1E_jS1F_S1F_jjS1H_bEUljE0_EEES10_S11_S12_S19_S1D_S1F_T6_T7_T9_mT8_S1H_bDpT10_ENKUlT_T0_E_clISt17integral_constantIbLb1EES1V_EEDaS1Q_S1R_EUlS1Q_E_NS1_11comp_targetILNS1_3genE10ELNS1_11target_archE1200ELNS1_3gpuE4ELNS1_3repE0EEENS1_30default_config_static_selectorELNS0_4arch9wavefront6targetE0EEEvS13_.num_vgpr, 0
	.set _ZN7rocprim17ROCPRIM_400000_NS6detail17trampoline_kernelINS0_13select_configILj256ELj13ELNS0_17block_load_methodE3ELS4_3ELS4_3ELNS0_20block_scan_algorithmE0ELj4294967295EEENS1_25partition_config_selectorILNS1_17partition_subalgoE4EjNS0_10empty_typeEbEEZZNS1_14partition_implILS8_4ELb0ES6_15HIP_vector_typeIjLj2EENS0_17counting_iteratorIjlEEPS9_SG_NS0_5tupleIJPjSI_NS0_16reverse_iteratorISI_EEEEENSH_IJSG_SG_SG_EEES9_SI_JZNS1_25segmented_radix_sort_implINS0_14default_configELb0EPK6__halfPSP_PKlPlN2at6native12_GLOBAL__N_18offset_tEEE10hipError_tPvRmT1_PNSt15iterator_traitsIS13_E10value_typeET2_T3_PNS14_IS19_E10value_typeET4_jRbjT5_S1F_jjP12ihipStream_tbEUljE_ZNSN_ISO_Lb0ESR_SS_SU_SV_SZ_EES10_S11_S12_S13_S17_S18_S19_S1C_S1D_jS1E_jS1F_S1F_jjS1H_bEUljE0_EEES10_S11_S12_S19_S1D_S1F_T6_T7_T9_mT8_S1H_bDpT10_ENKUlT_T0_E_clISt17integral_constantIbLb1EES1V_EEDaS1Q_S1R_EUlS1Q_E_NS1_11comp_targetILNS1_3genE10ELNS1_11target_archE1200ELNS1_3gpuE4ELNS1_3repE0EEENS1_30default_config_static_selectorELNS0_4arch9wavefront6targetE0EEEvS13_.num_agpr, 0
	.set _ZN7rocprim17ROCPRIM_400000_NS6detail17trampoline_kernelINS0_13select_configILj256ELj13ELNS0_17block_load_methodE3ELS4_3ELS4_3ELNS0_20block_scan_algorithmE0ELj4294967295EEENS1_25partition_config_selectorILNS1_17partition_subalgoE4EjNS0_10empty_typeEbEEZZNS1_14partition_implILS8_4ELb0ES6_15HIP_vector_typeIjLj2EENS0_17counting_iteratorIjlEEPS9_SG_NS0_5tupleIJPjSI_NS0_16reverse_iteratorISI_EEEEENSH_IJSG_SG_SG_EEES9_SI_JZNS1_25segmented_radix_sort_implINS0_14default_configELb0EPK6__halfPSP_PKlPlN2at6native12_GLOBAL__N_18offset_tEEE10hipError_tPvRmT1_PNSt15iterator_traitsIS13_E10value_typeET2_T3_PNS14_IS19_E10value_typeET4_jRbjT5_S1F_jjP12ihipStream_tbEUljE_ZNSN_ISO_Lb0ESR_SS_SU_SV_SZ_EES10_S11_S12_S13_S17_S18_S19_S1C_S1D_jS1E_jS1F_S1F_jjS1H_bEUljE0_EEES10_S11_S12_S19_S1D_S1F_T6_T7_T9_mT8_S1H_bDpT10_ENKUlT_T0_E_clISt17integral_constantIbLb1EES1V_EEDaS1Q_S1R_EUlS1Q_E_NS1_11comp_targetILNS1_3genE10ELNS1_11target_archE1200ELNS1_3gpuE4ELNS1_3repE0EEENS1_30default_config_static_selectorELNS0_4arch9wavefront6targetE0EEEvS13_.numbered_sgpr, 0
	.set _ZN7rocprim17ROCPRIM_400000_NS6detail17trampoline_kernelINS0_13select_configILj256ELj13ELNS0_17block_load_methodE3ELS4_3ELS4_3ELNS0_20block_scan_algorithmE0ELj4294967295EEENS1_25partition_config_selectorILNS1_17partition_subalgoE4EjNS0_10empty_typeEbEEZZNS1_14partition_implILS8_4ELb0ES6_15HIP_vector_typeIjLj2EENS0_17counting_iteratorIjlEEPS9_SG_NS0_5tupleIJPjSI_NS0_16reverse_iteratorISI_EEEEENSH_IJSG_SG_SG_EEES9_SI_JZNS1_25segmented_radix_sort_implINS0_14default_configELb0EPK6__halfPSP_PKlPlN2at6native12_GLOBAL__N_18offset_tEEE10hipError_tPvRmT1_PNSt15iterator_traitsIS13_E10value_typeET2_T3_PNS14_IS19_E10value_typeET4_jRbjT5_S1F_jjP12ihipStream_tbEUljE_ZNSN_ISO_Lb0ESR_SS_SU_SV_SZ_EES10_S11_S12_S13_S17_S18_S19_S1C_S1D_jS1E_jS1F_S1F_jjS1H_bEUljE0_EEES10_S11_S12_S19_S1D_S1F_T6_T7_T9_mT8_S1H_bDpT10_ENKUlT_T0_E_clISt17integral_constantIbLb1EES1V_EEDaS1Q_S1R_EUlS1Q_E_NS1_11comp_targetILNS1_3genE10ELNS1_11target_archE1200ELNS1_3gpuE4ELNS1_3repE0EEENS1_30default_config_static_selectorELNS0_4arch9wavefront6targetE0EEEvS13_.num_named_barrier, 0
	.set _ZN7rocprim17ROCPRIM_400000_NS6detail17trampoline_kernelINS0_13select_configILj256ELj13ELNS0_17block_load_methodE3ELS4_3ELS4_3ELNS0_20block_scan_algorithmE0ELj4294967295EEENS1_25partition_config_selectorILNS1_17partition_subalgoE4EjNS0_10empty_typeEbEEZZNS1_14partition_implILS8_4ELb0ES6_15HIP_vector_typeIjLj2EENS0_17counting_iteratorIjlEEPS9_SG_NS0_5tupleIJPjSI_NS0_16reverse_iteratorISI_EEEEENSH_IJSG_SG_SG_EEES9_SI_JZNS1_25segmented_radix_sort_implINS0_14default_configELb0EPK6__halfPSP_PKlPlN2at6native12_GLOBAL__N_18offset_tEEE10hipError_tPvRmT1_PNSt15iterator_traitsIS13_E10value_typeET2_T3_PNS14_IS19_E10value_typeET4_jRbjT5_S1F_jjP12ihipStream_tbEUljE_ZNSN_ISO_Lb0ESR_SS_SU_SV_SZ_EES10_S11_S12_S13_S17_S18_S19_S1C_S1D_jS1E_jS1F_S1F_jjS1H_bEUljE0_EEES10_S11_S12_S19_S1D_S1F_T6_T7_T9_mT8_S1H_bDpT10_ENKUlT_T0_E_clISt17integral_constantIbLb1EES1V_EEDaS1Q_S1R_EUlS1Q_E_NS1_11comp_targetILNS1_3genE10ELNS1_11target_archE1200ELNS1_3gpuE4ELNS1_3repE0EEENS1_30default_config_static_selectorELNS0_4arch9wavefront6targetE0EEEvS13_.private_seg_size, 0
	.set _ZN7rocprim17ROCPRIM_400000_NS6detail17trampoline_kernelINS0_13select_configILj256ELj13ELNS0_17block_load_methodE3ELS4_3ELS4_3ELNS0_20block_scan_algorithmE0ELj4294967295EEENS1_25partition_config_selectorILNS1_17partition_subalgoE4EjNS0_10empty_typeEbEEZZNS1_14partition_implILS8_4ELb0ES6_15HIP_vector_typeIjLj2EENS0_17counting_iteratorIjlEEPS9_SG_NS0_5tupleIJPjSI_NS0_16reverse_iteratorISI_EEEEENSH_IJSG_SG_SG_EEES9_SI_JZNS1_25segmented_radix_sort_implINS0_14default_configELb0EPK6__halfPSP_PKlPlN2at6native12_GLOBAL__N_18offset_tEEE10hipError_tPvRmT1_PNSt15iterator_traitsIS13_E10value_typeET2_T3_PNS14_IS19_E10value_typeET4_jRbjT5_S1F_jjP12ihipStream_tbEUljE_ZNSN_ISO_Lb0ESR_SS_SU_SV_SZ_EES10_S11_S12_S13_S17_S18_S19_S1C_S1D_jS1E_jS1F_S1F_jjS1H_bEUljE0_EEES10_S11_S12_S19_S1D_S1F_T6_T7_T9_mT8_S1H_bDpT10_ENKUlT_T0_E_clISt17integral_constantIbLb1EES1V_EEDaS1Q_S1R_EUlS1Q_E_NS1_11comp_targetILNS1_3genE10ELNS1_11target_archE1200ELNS1_3gpuE4ELNS1_3repE0EEENS1_30default_config_static_selectorELNS0_4arch9wavefront6targetE0EEEvS13_.uses_vcc, 0
	.set _ZN7rocprim17ROCPRIM_400000_NS6detail17trampoline_kernelINS0_13select_configILj256ELj13ELNS0_17block_load_methodE3ELS4_3ELS4_3ELNS0_20block_scan_algorithmE0ELj4294967295EEENS1_25partition_config_selectorILNS1_17partition_subalgoE4EjNS0_10empty_typeEbEEZZNS1_14partition_implILS8_4ELb0ES6_15HIP_vector_typeIjLj2EENS0_17counting_iteratorIjlEEPS9_SG_NS0_5tupleIJPjSI_NS0_16reverse_iteratorISI_EEEEENSH_IJSG_SG_SG_EEES9_SI_JZNS1_25segmented_radix_sort_implINS0_14default_configELb0EPK6__halfPSP_PKlPlN2at6native12_GLOBAL__N_18offset_tEEE10hipError_tPvRmT1_PNSt15iterator_traitsIS13_E10value_typeET2_T3_PNS14_IS19_E10value_typeET4_jRbjT5_S1F_jjP12ihipStream_tbEUljE_ZNSN_ISO_Lb0ESR_SS_SU_SV_SZ_EES10_S11_S12_S13_S17_S18_S19_S1C_S1D_jS1E_jS1F_S1F_jjS1H_bEUljE0_EEES10_S11_S12_S19_S1D_S1F_T6_T7_T9_mT8_S1H_bDpT10_ENKUlT_T0_E_clISt17integral_constantIbLb1EES1V_EEDaS1Q_S1R_EUlS1Q_E_NS1_11comp_targetILNS1_3genE10ELNS1_11target_archE1200ELNS1_3gpuE4ELNS1_3repE0EEENS1_30default_config_static_selectorELNS0_4arch9wavefront6targetE0EEEvS13_.uses_flat_scratch, 0
	.set _ZN7rocprim17ROCPRIM_400000_NS6detail17trampoline_kernelINS0_13select_configILj256ELj13ELNS0_17block_load_methodE3ELS4_3ELS4_3ELNS0_20block_scan_algorithmE0ELj4294967295EEENS1_25partition_config_selectorILNS1_17partition_subalgoE4EjNS0_10empty_typeEbEEZZNS1_14partition_implILS8_4ELb0ES6_15HIP_vector_typeIjLj2EENS0_17counting_iteratorIjlEEPS9_SG_NS0_5tupleIJPjSI_NS0_16reverse_iteratorISI_EEEEENSH_IJSG_SG_SG_EEES9_SI_JZNS1_25segmented_radix_sort_implINS0_14default_configELb0EPK6__halfPSP_PKlPlN2at6native12_GLOBAL__N_18offset_tEEE10hipError_tPvRmT1_PNSt15iterator_traitsIS13_E10value_typeET2_T3_PNS14_IS19_E10value_typeET4_jRbjT5_S1F_jjP12ihipStream_tbEUljE_ZNSN_ISO_Lb0ESR_SS_SU_SV_SZ_EES10_S11_S12_S13_S17_S18_S19_S1C_S1D_jS1E_jS1F_S1F_jjS1H_bEUljE0_EEES10_S11_S12_S19_S1D_S1F_T6_T7_T9_mT8_S1H_bDpT10_ENKUlT_T0_E_clISt17integral_constantIbLb1EES1V_EEDaS1Q_S1R_EUlS1Q_E_NS1_11comp_targetILNS1_3genE10ELNS1_11target_archE1200ELNS1_3gpuE4ELNS1_3repE0EEENS1_30default_config_static_selectorELNS0_4arch9wavefront6targetE0EEEvS13_.has_dyn_sized_stack, 0
	.set _ZN7rocprim17ROCPRIM_400000_NS6detail17trampoline_kernelINS0_13select_configILj256ELj13ELNS0_17block_load_methodE3ELS4_3ELS4_3ELNS0_20block_scan_algorithmE0ELj4294967295EEENS1_25partition_config_selectorILNS1_17partition_subalgoE4EjNS0_10empty_typeEbEEZZNS1_14partition_implILS8_4ELb0ES6_15HIP_vector_typeIjLj2EENS0_17counting_iteratorIjlEEPS9_SG_NS0_5tupleIJPjSI_NS0_16reverse_iteratorISI_EEEEENSH_IJSG_SG_SG_EEES9_SI_JZNS1_25segmented_radix_sort_implINS0_14default_configELb0EPK6__halfPSP_PKlPlN2at6native12_GLOBAL__N_18offset_tEEE10hipError_tPvRmT1_PNSt15iterator_traitsIS13_E10value_typeET2_T3_PNS14_IS19_E10value_typeET4_jRbjT5_S1F_jjP12ihipStream_tbEUljE_ZNSN_ISO_Lb0ESR_SS_SU_SV_SZ_EES10_S11_S12_S13_S17_S18_S19_S1C_S1D_jS1E_jS1F_S1F_jjS1H_bEUljE0_EEES10_S11_S12_S19_S1D_S1F_T6_T7_T9_mT8_S1H_bDpT10_ENKUlT_T0_E_clISt17integral_constantIbLb1EES1V_EEDaS1Q_S1R_EUlS1Q_E_NS1_11comp_targetILNS1_3genE10ELNS1_11target_archE1200ELNS1_3gpuE4ELNS1_3repE0EEENS1_30default_config_static_selectorELNS0_4arch9wavefront6targetE0EEEvS13_.has_recursion, 0
	.set _ZN7rocprim17ROCPRIM_400000_NS6detail17trampoline_kernelINS0_13select_configILj256ELj13ELNS0_17block_load_methodE3ELS4_3ELS4_3ELNS0_20block_scan_algorithmE0ELj4294967295EEENS1_25partition_config_selectorILNS1_17partition_subalgoE4EjNS0_10empty_typeEbEEZZNS1_14partition_implILS8_4ELb0ES6_15HIP_vector_typeIjLj2EENS0_17counting_iteratorIjlEEPS9_SG_NS0_5tupleIJPjSI_NS0_16reverse_iteratorISI_EEEEENSH_IJSG_SG_SG_EEES9_SI_JZNS1_25segmented_radix_sort_implINS0_14default_configELb0EPK6__halfPSP_PKlPlN2at6native12_GLOBAL__N_18offset_tEEE10hipError_tPvRmT1_PNSt15iterator_traitsIS13_E10value_typeET2_T3_PNS14_IS19_E10value_typeET4_jRbjT5_S1F_jjP12ihipStream_tbEUljE_ZNSN_ISO_Lb0ESR_SS_SU_SV_SZ_EES10_S11_S12_S13_S17_S18_S19_S1C_S1D_jS1E_jS1F_S1F_jjS1H_bEUljE0_EEES10_S11_S12_S19_S1D_S1F_T6_T7_T9_mT8_S1H_bDpT10_ENKUlT_T0_E_clISt17integral_constantIbLb1EES1V_EEDaS1Q_S1R_EUlS1Q_E_NS1_11comp_targetILNS1_3genE10ELNS1_11target_archE1200ELNS1_3gpuE4ELNS1_3repE0EEENS1_30default_config_static_selectorELNS0_4arch9wavefront6targetE0EEEvS13_.has_indirect_call, 0
	.section	.AMDGPU.csdata,"",@progbits
; Kernel info:
; codeLenInByte = 0
; TotalNumSgprs: 0
; NumVgprs: 0
; ScratchSize: 0
; MemoryBound: 0
; FloatMode: 240
; IeeeMode: 1
; LDSByteSize: 0 bytes/workgroup (compile time only)
; SGPRBlocks: 0
; VGPRBlocks: 0
; NumSGPRsForWavesPerEU: 1
; NumVGPRsForWavesPerEU: 1
; Occupancy: 16
; WaveLimiterHint : 0
; COMPUTE_PGM_RSRC2:SCRATCH_EN: 0
; COMPUTE_PGM_RSRC2:USER_SGPR: 6
; COMPUTE_PGM_RSRC2:TRAP_HANDLER: 0
; COMPUTE_PGM_RSRC2:TGID_X_EN: 1
; COMPUTE_PGM_RSRC2:TGID_Y_EN: 0
; COMPUTE_PGM_RSRC2:TGID_Z_EN: 0
; COMPUTE_PGM_RSRC2:TIDIG_COMP_CNT: 0
	.section	.text._ZN7rocprim17ROCPRIM_400000_NS6detail17trampoline_kernelINS0_13select_configILj256ELj13ELNS0_17block_load_methodE3ELS4_3ELS4_3ELNS0_20block_scan_algorithmE0ELj4294967295EEENS1_25partition_config_selectorILNS1_17partition_subalgoE4EjNS0_10empty_typeEbEEZZNS1_14partition_implILS8_4ELb0ES6_15HIP_vector_typeIjLj2EENS0_17counting_iteratorIjlEEPS9_SG_NS0_5tupleIJPjSI_NS0_16reverse_iteratorISI_EEEEENSH_IJSG_SG_SG_EEES9_SI_JZNS1_25segmented_radix_sort_implINS0_14default_configELb0EPK6__halfPSP_PKlPlN2at6native12_GLOBAL__N_18offset_tEEE10hipError_tPvRmT1_PNSt15iterator_traitsIS13_E10value_typeET2_T3_PNS14_IS19_E10value_typeET4_jRbjT5_S1F_jjP12ihipStream_tbEUljE_ZNSN_ISO_Lb0ESR_SS_SU_SV_SZ_EES10_S11_S12_S13_S17_S18_S19_S1C_S1D_jS1E_jS1F_S1F_jjS1H_bEUljE0_EEES10_S11_S12_S19_S1D_S1F_T6_T7_T9_mT8_S1H_bDpT10_ENKUlT_T0_E_clISt17integral_constantIbLb1EES1V_EEDaS1Q_S1R_EUlS1Q_E_NS1_11comp_targetILNS1_3genE9ELNS1_11target_archE1100ELNS1_3gpuE3ELNS1_3repE0EEENS1_30default_config_static_selectorELNS0_4arch9wavefront6targetE0EEEvS13_,"axG",@progbits,_ZN7rocprim17ROCPRIM_400000_NS6detail17trampoline_kernelINS0_13select_configILj256ELj13ELNS0_17block_load_methodE3ELS4_3ELS4_3ELNS0_20block_scan_algorithmE0ELj4294967295EEENS1_25partition_config_selectorILNS1_17partition_subalgoE4EjNS0_10empty_typeEbEEZZNS1_14partition_implILS8_4ELb0ES6_15HIP_vector_typeIjLj2EENS0_17counting_iteratorIjlEEPS9_SG_NS0_5tupleIJPjSI_NS0_16reverse_iteratorISI_EEEEENSH_IJSG_SG_SG_EEES9_SI_JZNS1_25segmented_radix_sort_implINS0_14default_configELb0EPK6__halfPSP_PKlPlN2at6native12_GLOBAL__N_18offset_tEEE10hipError_tPvRmT1_PNSt15iterator_traitsIS13_E10value_typeET2_T3_PNS14_IS19_E10value_typeET4_jRbjT5_S1F_jjP12ihipStream_tbEUljE_ZNSN_ISO_Lb0ESR_SS_SU_SV_SZ_EES10_S11_S12_S13_S17_S18_S19_S1C_S1D_jS1E_jS1F_S1F_jjS1H_bEUljE0_EEES10_S11_S12_S19_S1D_S1F_T6_T7_T9_mT8_S1H_bDpT10_ENKUlT_T0_E_clISt17integral_constantIbLb1EES1V_EEDaS1Q_S1R_EUlS1Q_E_NS1_11comp_targetILNS1_3genE9ELNS1_11target_archE1100ELNS1_3gpuE3ELNS1_3repE0EEENS1_30default_config_static_selectorELNS0_4arch9wavefront6targetE0EEEvS13_,comdat
	.globl	_ZN7rocprim17ROCPRIM_400000_NS6detail17trampoline_kernelINS0_13select_configILj256ELj13ELNS0_17block_load_methodE3ELS4_3ELS4_3ELNS0_20block_scan_algorithmE0ELj4294967295EEENS1_25partition_config_selectorILNS1_17partition_subalgoE4EjNS0_10empty_typeEbEEZZNS1_14partition_implILS8_4ELb0ES6_15HIP_vector_typeIjLj2EENS0_17counting_iteratorIjlEEPS9_SG_NS0_5tupleIJPjSI_NS0_16reverse_iteratorISI_EEEEENSH_IJSG_SG_SG_EEES9_SI_JZNS1_25segmented_radix_sort_implINS0_14default_configELb0EPK6__halfPSP_PKlPlN2at6native12_GLOBAL__N_18offset_tEEE10hipError_tPvRmT1_PNSt15iterator_traitsIS13_E10value_typeET2_T3_PNS14_IS19_E10value_typeET4_jRbjT5_S1F_jjP12ihipStream_tbEUljE_ZNSN_ISO_Lb0ESR_SS_SU_SV_SZ_EES10_S11_S12_S13_S17_S18_S19_S1C_S1D_jS1E_jS1F_S1F_jjS1H_bEUljE0_EEES10_S11_S12_S19_S1D_S1F_T6_T7_T9_mT8_S1H_bDpT10_ENKUlT_T0_E_clISt17integral_constantIbLb1EES1V_EEDaS1Q_S1R_EUlS1Q_E_NS1_11comp_targetILNS1_3genE9ELNS1_11target_archE1100ELNS1_3gpuE3ELNS1_3repE0EEENS1_30default_config_static_selectorELNS0_4arch9wavefront6targetE0EEEvS13_ ; -- Begin function _ZN7rocprim17ROCPRIM_400000_NS6detail17trampoline_kernelINS0_13select_configILj256ELj13ELNS0_17block_load_methodE3ELS4_3ELS4_3ELNS0_20block_scan_algorithmE0ELj4294967295EEENS1_25partition_config_selectorILNS1_17partition_subalgoE4EjNS0_10empty_typeEbEEZZNS1_14partition_implILS8_4ELb0ES6_15HIP_vector_typeIjLj2EENS0_17counting_iteratorIjlEEPS9_SG_NS0_5tupleIJPjSI_NS0_16reverse_iteratorISI_EEEEENSH_IJSG_SG_SG_EEES9_SI_JZNS1_25segmented_radix_sort_implINS0_14default_configELb0EPK6__halfPSP_PKlPlN2at6native12_GLOBAL__N_18offset_tEEE10hipError_tPvRmT1_PNSt15iterator_traitsIS13_E10value_typeET2_T3_PNS14_IS19_E10value_typeET4_jRbjT5_S1F_jjP12ihipStream_tbEUljE_ZNSN_ISO_Lb0ESR_SS_SU_SV_SZ_EES10_S11_S12_S13_S17_S18_S19_S1C_S1D_jS1E_jS1F_S1F_jjS1H_bEUljE0_EEES10_S11_S12_S19_S1D_S1F_T6_T7_T9_mT8_S1H_bDpT10_ENKUlT_T0_E_clISt17integral_constantIbLb1EES1V_EEDaS1Q_S1R_EUlS1Q_E_NS1_11comp_targetILNS1_3genE9ELNS1_11target_archE1100ELNS1_3gpuE3ELNS1_3repE0EEENS1_30default_config_static_selectorELNS0_4arch9wavefront6targetE0EEEvS13_
	.p2align	8
	.type	_ZN7rocprim17ROCPRIM_400000_NS6detail17trampoline_kernelINS0_13select_configILj256ELj13ELNS0_17block_load_methodE3ELS4_3ELS4_3ELNS0_20block_scan_algorithmE0ELj4294967295EEENS1_25partition_config_selectorILNS1_17partition_subalgoE4EjNS0_10empty_typeEbEEZZNS1_14partition_implILS8_4ELb0ES6_15HIP_vector_typeIjLj2EENS0_17counting_iteratorIjlEEPS9_SG_NS0_5tupleIJPjSI_NS0_16reverse_iteratorISI_EEEEENSH_IJSG_SG_SG_EEES9_SI_JZNS1_25segmented_radix_sort_implINS0_14default_configELb0EPK6__halfPSP_PKlPlN2at6native12_GLOBAL__N_18offset_tEEE10hipError_tPvRmT1_PNSt15iterator_traitsIS13_E10value_typeET2_T3_PNS14_IS19_E10value_typeET4_jRbjT5_S1F_jjP12ihipStream_tbEUljE_ZNSN_ISO_Lb0ESR_SS_SU_SV_SZ_EES10_S11_S12_S13_S17_S18_S19_S1C_S1D_jS1E_jS1F_S1F_jjS1H_bEUljE0_EEES10_S11_S12_S19_S1D_S1F_T6_T7_T9_mT8_S1H_bDpT10_ENKUlT_T0_E_clISt17integral_constantIbLb1EES1V_EEDaS1Q_S1R_EUlS1Q_E_NS1_11comp_targetILNS1_3genE9ELNS1_11target_archE1100ELNS1_3gpuE3ELNS1_3repE0EEENS1_30default_config_static_selectorELNS0_4arch9wavefront6targetE0EEEvS13_,@function
_ZN7rocprim17ROCPRIM_400000_NS6detail17trampoline_kernelINS0_13select_configILj256ELj13ELNS0_17block_load_methodE3ELS4_3ELS4_3ELNS0_20block_scan_algorithmE0ELj4294967295EEENS1_25partition_config_selectorILNS1_17partition_subalgoE4EjNS0_10empty_typeEbEEZZNS1_14partition_implILS8_4ELb0ES6_15HIP_vector_typeIjLj2EENS0_17counting_iteratorIjlEEPS9_SG_NS0_5tupleIJPjSI_NS0_16reverse_iteratorISI_EEEEENSH_IJSG_SG_SG_EEES9_SI_JZNS1_25segmented_radix_sort_implINS0_14default_configELb0EPK6__halfPSP_PKlPlN2at6native12_GLOBAL__N_18offset_tEEE10hipError_tPvRmT1_PNSt15iterator_traitsIS13_E10value_typeET2_T3_PNS14_IS19_E10value_typeET4_jRbjT5_S1F_jjP12ihipStream_tbEUljE_ZNSN_ISO_Lb0ESR_SS_SU_SV_SZ_EES10_S11_S12_S13_S17_S18_S19_S1C_S1D_jS1E_jS1F_S1F_jjS1H_bEUljE0_EEES10_S11_S12_S19_S1D_S1F_T6_T7_T9_mT8_S1H_bDpT10_ENKUlT_T0_E_clISt17integral_constantIbLb1EES1V_EEDaS1Q_S1R_EUlS1Q_E_NS1_11comp_targetILNS1_3genE9ELNS1_11target_archE1100ELNS1_3gpuE3ELNS1_3repE0EEENS1_30default_config_static_selectorELNS0_4arch9wavefront6targetE0EEEvS13_: ; @_ZN7rocprim17ROCPRIM_400000_NS6detail17trampoline_kernelINS0_13select_configILj256ELj13ELNS0_17block_load_methodE3ELS4_3ELS4_3ELNS0_20block_scan_algorithmE0ELj4294967295EEENS1_25partition_config_selectorILNS1_17partition_subalgoE4EjNS0_10empty_typeEbEEZZNS1_14partition_implILS8_4ELb0ES6_15HIP_vector_typeIjLj2EENS0_17counting_iteratorIjlEEPS9_SG_NS0_5tupleIJPjSI_NS0_16reverse_iteratorISI_EEEEENSH_IJSG_SG_SG_EEES9_SI_JZNS1_25segmented_radix_sort_implINS0_14default_configELb0EPK6__halfPSP_PKlPlN2at6native12_GLOBAL__N_18offset_tEEE10hipError_tPvRmT1_PNSt15iterator_traitsIS13_E10value_typeET2_T3_PNS14_IS19_E10value_typeET4_jRbjT5_S1F_jjP12ihipStream_tbEUljE_ZNSN_ISO_Lb0ESR_SS_SU_SV_SZ_EES10_S11_S12_S13_S17_S18_S19_S1C_S1D_jS1E_jS1F_S1F_jjS1H_bEUljE0_EEES10_S11_S12_S19_S1D_S1F_T6_T7_T9_mT8_S1H_bDpT10_ENKUlT_T0_E_clISt17integral_constantIbLb1EES1V_EEDaS1Q_S1R_EUlS1Q_E_NS1_11comp_targetILNS1_3genE9ELNS1_11target_archE1100ELNS1_3gpuE3ELNS1_3repE0EEENS1_30default_config_static_selectorELNS0_4arch9wavefront6targetE0EEEvS13_
; %bb.0:
	.section	.rodata,"a",@progbits
	.p2align	6, 0x0
	.amdhsa_kernel _ZN7rocprim17ROCPRIM_400000_NS6detail17trampoline_kernelINS0_13select_configILj256ELj13ELNS0_17block_load_methodE3ELS4_3ELS4_3ELNS0_20block_scan_algorithmE0ELj4294967295EEENS1_25partition_config_selectorILNS1_17partition_subalgoE4EjNS0_10empty_typeEbEEZZNS1_14partition_implILS8_4ELb0ES6_15HIP_vector_typeIjLj2EENS0_17counting_iteratorIjlEEPS9_SG_NS0_5tupleIJPjSI_NS0_16reverse_iteratorISI_EEEEENSH_IJSG_SG_SG_EEES9_SI_JZNS1_25segmented_radix_sort_implINS0_14default_configELb0EPK6__halfPSP_PKlPlN2at6native12_GLOBAL__N_18offset_tEEE10hipError_tPvRmT1_PNSt15iterator_traitsIS13_E10value_typeET2_T3_PNS14_IS19_E10value_typeET4_jRbjT5_S1F_jjP12ihipStream_tbEUljE_ZNSN_ISO_Lb0ESR_SS_SU_SV_SZ_EES10_S11_S12_S13_S17_S18_S19_S1C_S1D_jS1E_jS1F_S1F_jjS1H_bEUljE0_EEES10_S11_S12_S19_S1D_S1F_T6_T7_T9_mT8_S1H_bDpT10_ENKUlT_T0_E_clISt17integral_constantIbLb1EES1V_EEDaS1Q_S1R_EUlS1Q_E_NS1_11comp_targetILNS1_3genE9ELNS1_11target_archE1100ELNS1_3gpuE3ELNS1_3repE0EEENS1_30default_config_static_selectorELNS0_4arch9wavefront6targetE0EEEvS13_
		.amdhsa_group_segment_fixed_size 0
		.amdhsa_private_segment_fixed_size 0
		.amdhsa_kernarg_size 184
		.amdhsa_user_sgpr_count 6
		.amdhsa_user_sgpr_private_segment_buffer 1
		.amdhsa_user_sgpr_dispatch_ptr 0
		.amdhsa_user_sgpr_queue_ptr 0
		.amdhsa_user_sgpr_kernarg_segment_ptr 1
		.amdhsa_user_sgpr_dispatch_id 0
		.amdhsa_user_sgpr_flat_scratch_init 0
		.amdhsa_user_sgpr_private_segment_size 0
		.amdhsa_wavefront_size32 1
		.amdhsa_uses_dynamic_stack 0
		.amdhsa_system_sgpr_private_segment_wavefront_offset 0
		.amdhsa_system_sgpr_workgroup_id_x 1
		.amdhsa_system_sgpr_workgroup_id_y 0
		.amdhsa_system_sgpr_workgroup_id_z 0
		.amdhsa_system_sgpr_workgroup_info 0
		.amdhsa_system_vgpr_workitem_id 0
		.amdhsa_next_free_vgpr 1
		.amdhsa_next_free_sgpr 1
		.amdhsa_reserve_vcc 0
		.amdhsa_reserve_flat_scratch 0
		.amdhsa_float_round_mode_32 0
		.amdhsa_float_round_mode_16_64 0
		.amdhsa_float_denorm_mode_32 3
		.amdhsa_float_denorm_mode_16_64 3
		.amdhsa_dx10_clamp 1
		.amdhsa_ieee_mode 1
		.amdhsa_fp16_overflow 0
		.amdhsa_workgroup_processor_mode 1
		.amdhsa_memory_ordered 1
		.amdhsa_forward_progress 1
		.amdhsa_shared_vgpr_count 0
		.amdhsa_exception_fp_ieee_invalid_op 0
		.amdhsa_exception_fp_denorm_src 0
		.amdhsa_exception_fp_ieee_div_zero 0
		.amdhsa_exception_fp_ieee_overflow 0
		.amdhsa_exception_fp_ieee_underflow 0
		.amdhsa_exception_fp_ieee_inexact 0
		.amdhsa_exception_int_div_zero 0
	.end_amdhsa_kernel
	.section	.text._ZN7rocprim17ROCPRIM_400000_NS6detail17trampoline_kernelINS0_13select_configILj256ELj13ELNS0_17block_load_methodE3ELS4_3ELS4_3ELNS0_20block_scan_algorithmE0ELj4294967295EEENS1_25partition_config_selectorILNS1_17partition_subalgoE4EjNS0_10empty_typeEbEEZZNS1_14partition_implILS8_4ELb0ES6_15HIP_vector_typeIjLj2EENS0_17counting_iteratorIjlEEPS9_SG_NS0_5tupleIJPjSI_NS0_16reverse_iteratorISI_EEEEENSH_IJSG_SG_SG_EEES9_SI_JZNS1_25segmented_radix_sort_implINS0_14default_configELb0EPK6__halfPSP_PKlPlN2at6native12_GLOBAL__N_18offset_tEEE10hipError_tPvRmT1_PNSt15iterator_traitsIS13_E10value_typeET2_T3_PNS14_IS19_E10value_typeET4_jRbjT5_S1F_jjP12ihipStream_tbEUljE_ZNSN_ISO_Lb0ESR_SS_SU_SV_SZ_EES10_S11_S12_S13_S17_S18_S19_S1C_S1D_jS1E_jS1F_S1F_jjS1H_bEUljE0_EEES10_S11_S12_S19_S1D_S1F_T6_T7_T9_mT8_S1H_bDpT10_ENKUlT_T0_E_clISt17integral_constantIbLb1EES1V_EEDaS1Q_S1R_EUlS1Q_E_NS1_11comp_targetILNS1_3genE9ELNS1_11target_archE1100ELNS1_3gpuE3ELNS1_3repE0EEENS1_30default_config_static_selectorELNS0_4arch9wavefront6targetE0EEEvS13_,"axG",@progbits,_ZN7rocprim17ROCPRIM_400000_NS6detail17trampoline_kernelINS0_13select_configILj256ELj13ELNS0_17block_load_methodE3ELS4_3ELS4_3ELNS0_20block_scan_algorithmE0ELj4294967295EEENS1_25partition_config_selectorILNS1_17partition_subalgoE4EjNS0_10empty_typeEbEEZZNS1_14partition_implILS8_4ELb0ES6_15HIP_vector_typeIjLj2EENS0_17counting_iteratorIjlEEPS9_SG_NS0_5tupleIJPjSI_NS0_16reverse_iteratorISI_EEEEENSH_IJSG_SG_SG_EEES9_SI_JZNS1_25segmented_radix_sort_implINS0_14default_configELb0EPK6__halfPSP_PKlPlN2at6native12_GLOBAL__N_18offset_tEEE10hipError_tPvRmT1_PNSt15iterator_traitsIS13_E10value_typeET2_T3_PNS14_IS19_E10value_typeET4_jRbjT5_S1F_jjP12ihipStream_tbEUljE_ZNSN_ISO_Lb0ESR_SS_SU_SV_SZ_EES10_S11_S12_S13_S17_S18_S19_S1C_S1D_jS1E_jS1F_S1F_jjS1H_bEUljE0_EEES10_S11_S12_S19_S1D_S1F_T6_T7_T9_mT8_S1H_bDpT10_ENKUlT_T0_E_clISt17integral_constantIbLb1EES1V_EEDaS1Q_S1R_EUlS1Q_E_NS1_11comp_targetILNS1_3genE9ELNS1_11target_archE1100ELNS1_3gpuE3ELNS1_3repE0EEENS1_30default_config_static_selectorELNS0_4arch9wavefront6targetE0EEEvS13_,comdat
.Lfunc_end1782:
	.size	_ZN7rocprim17ROCPRIM_400000_NS6detail17trampoline_kernelINS0_13select_configILj256ELj13ELNS0_17block_load_methodE3ELS4_3ELS4_3ELNS0_20block_scan_algorithmE0ELj4294967295EEENS1_25partition_config_selectorILNS1_17partition_subalgoE4EjNS0_10empty_typeEbEEZZNS1_14partition_implILS8_4ELb0ES6_15HIP_vector_typeIjLj2EENS0_17counting_iteratorIjlEEPS9_SG_NS0_5tupleIJPjSI_NS0_16reverse_iteratorISI_EEEEENSH_IJSG_SG_SG_EEES9_SI_JZNS1_25segmented_radix_sort_implINS0_14default_configELb0EPK6__halfPSP_PKlPlN2at6native12_GLOBAL__N_18offset_tEEE10hipError_tPvRmT1_PNSt15iterator_traitsIS13_E10value_typeET2_T3_PNS14_IS19_E10value_typeET4_jRbjT5_S1F_jjP12ihipStream_tbEUljE_ZNSN_ISO_Lb0ESR_SS_SU_SV_SZ_EES10_S11_S12_S13_S17_S18_S19_S1C_S1D_jS1E_jS1F_S1F_jjS1H_bEUljE0_EEES10_S11_S12_S19_S1D_S1F_T6_T7_T9_mT8_S1H_bDpT10_ENKUlT_T0_E_clISt17integral_constantIbLb1EES1V_EEDaS1Q_S1R_EUlS1Q_E_NS1_11comp_targetILNS1_3genE9ELNS1_11target_archE1100ELNS1_3gpuE3ELNS1_3repE0EEENS1_30default_config_static_selectorELNS0_4arch9wavefront6targetE0EEEvS13_, .Lfunc_end1782-_ZN7rocprim17ROCPRIM_400000_NS6detail17trampoline_kernelINS0_13select_configILj256ELj13ELNS0_17block_load_methodE3ELS4_3ELS4_3ELNS0_20block_scan_algorithmE0ELj4294967295EEENS1_25partition_config_selectorILNS1_17partition_subalgoE4EjNS0_10empty_typeEbEEZZNS1_14partition_implILS8_4ELb0ES6_15HIP_vector_typeIjLj2EENS0_17counting_iteratorIjlEEPS9_SG_NS0_5tupleIJPjSI_NS0_16reverse_iteratorISI_EEEEENSH_IJSG_SG_SG_EEES9_SI_JZNS1_25segmented_radix_sort_implINS0_14default_configELb0EPK6__halfPSP_PKlPlN2at6native12_GLOBAL__N_18offset_tEEE10hipError_tPvRmT1_PNSt15iterator_traitsIS13_E10value_typeET2_T3_PNS14_IS19_E10value_typeET4_jRbjT5_S1F_jjP12ihipStream_tbEUljE_ZNSN_ISO_Lb0ESR_SS_SU_SV_SZ_EES10_S11_S12_S13_S17_S18_S19_S1C_S1D_jS1E_jS1F_S1F_jjS1H_bEUljE0_EEES10_S11_S12_S19_S1D_S1F_T6_T7_T9_mT8_S1H_bDpT10_ENKUlT_T0_E_clISt17integral_constantIbLb1EES1V_EEDaS1Q_S1R_EUlS1Q_E_NS1_11comp_targetILNS1_3genE9ELNS1_11target_archE1100ELNS1_3gpuE3ELNS1_3repE0EEENS1_30default_config_static_selectorELNS0_4arch9wavefront6targetE0EEEvS13_
                                        ; -- End function
	.set _ZN7rocprim17ROCPRIM_400000_NS6detail17trampoline_kernelINS0_13select_configILj256ELj13ELNS0_17block_load_methodE3ELS4_3ELS4_3ELNS0_20block_scan_algorithmE0ELj4294967295EEENS1_25partition_config_selectorILNS1_17partition_subalgoE4EjNS0_10empty_typeEbEEZZNS1_14partition_implILS8_4ELb0ES6_15HIP_vector_typeIjLj2EENS0_17counting_iteratorIjlEEPS9_SG_NS0_5tupleIJPjSI_NS0_16reverse_iteratorISI_EEEEENSH_IJSG_SG_SG_EEES9_SI_JZNS1_25segmented_radix_sort_implINS0_14default_configELb0EPK6__halfPSP_PKlPlN2at6native12_GLOBAL__N_18offset_tEEE10hipError_tPvRmT1_PNSt15iterator_traitsIS13_E10value_typeET2_T3_PNS14_IS19_E10value_typeET4_jRbjT5_S1F_jjP12ihipStream_tbEUljE_ZNSN_ISO_Lb0ESR_SS_SU_SV_SZ_EES10_S11_S12_S13_S17_S18_S19_S1C_S1D_jS1E_jS1F_S1F_jjS1H_bEUljE0_EEES10_S11_S12_S19_S1D_S1F_T6_T7_T9_mT8_S1H_bDpT10_ENKUlT_T0_E_clISt17integral_constantIbLb1EES1V_EEDaS1Q_S1R_EUlS1Q_E_NS1_11comp_targetILNS1_3genE9ELNS1_11target_archE1100ELNS1_3gpuE3ELNS1_3repE0EEENS1_30default_config_static_selectorELNS0_4arch9wavefront6targetE0EEEvS13_.num_vgpr, 0
	.set _ZN7rocprim17ROCPRIM_400000_NS6detail17trampoline_kernelINS0_13select_configILj256ELj13ELNS0_17block_load_methodE3ELS4_3ELS4_3ELNS0_20block_scan_algorithmE0ELj4294967295EEENS1_25partition_config_selectorILNS1_17partition_subalgoE4EjNS0_10empty_typeEbEEZZNS1_14partition_implILS8_4ELb0ES6_15HIP_vector_typeIjLj2EENS0_17counting_iteratorIjlEEPS9_SG_NS0_5tupleIJPjSI_NS0_16reverse_iteratorISI_EEEEENSH_IJSG_SG_SG_EEES9_SI_JZNS1_25segmented_radix_sort_implINS0_14default_configELb0EPK6__halfPSP_PKlPlN2at6native12_GLOBAL__N_18offset_tEEE10hipError_tPvRmT1_PNSt15iterator_traitsIS13_E10value_typeET2_T3_PNS14_IS19_E10value_typeET4_jRbjT5_S1F_jjP12ihipStream_tbEUljE_ZNSN_ISO_Lb0ESR_SS_SU_SV_SZ_EES10_S11_S12_S13_S17_S18_S19_S1C_S1D_jS1E_jS1F_S1F_jjS1H_bEUljE0_EEES10_S11_S12_S19_S1D_S1F_T6_T7_T9_mT8_S1H_bDpT10_ENKUlT_T0_E_clISt17integral_constantIbLb1EES1V_EEDaS1Q_S1R_EUlS1Q_E_NS1_11comp_targetILNS1_3genE9ELNS1_11target_archE1100ELNS1_3gpuE3ELNS1_3repE0EEENS1_30default_config_static_selectorELNS0_4arch9wavefront6targetE0EEEvS13_.num_agpr, 0
	.set _ZN7rocprim17ROCPRIM_400000_NS6detail17trampoline_kernelINS0_13select_configILj256ELj13ELNS0_17block_load_methodE3ELS4_3ELS4_3ELNS0_20block_scan_algorithmE0ELj4294967295EEENS1_25partition_config_selectorILNS1_17partition_subalgoE4EjNS0_10empty_typeEbEEZZNS1_14partition_implILS8_4ELb0ES6_15HIP_vector_typeIjLj2EENS0_17counting_iteratorIjlEEPS9_SG_NS0_5tupleIJPjSI_NS0_16reverse_iteratorISI_EEEEENSH_IJSG_SG_SG_EEES9_SI_JZNS1_25segmented_radix_sort_implINS0_14default_configELb0EPK6__halfPSP_PKlPlN2at6native12_GLOBAL__N_18offset_tEEE10hipError_tPvRmT1_PNSt15iterator_traitsIS13_E10value_typeET2_T3_PNS14_IS19_E10value_typeET4_jRbjT5_S1F_jjP12ihipStream_tbEUljE_ZNSN_ISO_Lb0ESR_SS_SU_SV_SZ_EES10_S11_S12_S13_S17_S18_S19_S1C_S1D_jS1E_jS1F_S1F_jjS1H_bEUljE0_EEES10_S11_S12_S19_S1D_S1F_T6_T7_T9_mT8_S1H_bDpT10_ENKUlT_T0_E_clISt17integral_constantIbLb1EES1V_EEDaS1Q_S1R_EUlS1Q_E_NS1_11comp_targetILNS1_3genE9ELNS1_11target_archE1100ELNS1_3gpuE3ELNS1_3repE0EEENS1_30default_config_static_selectorELNS0_4arch9wavefront6targetE0EEEvS13_.numbered_sgpr, 0
	.set _ZN7rocprim17ROCPRIM_400000_NS6detail17trampoline_kernelINS0_13select_configILj256ELj13ELNS0_17block_load_methodE3ELS4_3ELS4_3ELNS0_20block_scan_algorithmE0ELj4294967295EEENS1_25partition_config_selectorILNS1_17partition_subalgoE4EjNS0_10empty_typeEbEEZZNS1_14partition_implILS8_4ELb0ES6_15HIP_vector_typeIjLj2EENS0_17counting_iteratorIjlEEPS9_SG_NS0_5tupleIJPjSI_NS0_16reverse_iteratorISI_EEEEENSH_IJSG_SG_SG_EEES9_SI_JZNS1_25segmented_radix_sort_implINS0_14default_configELb0EPK6__halfPSP_PKlPlN2at6native12_GLOBAL__N_18offset_tEEE10hipError_tPvRmT1_PNSt15iterator_traitsIS13_E10value_typeET2_T3_PNS14_IS19_E10value_typeET4_jRbjT5_S1F_jjP12ihipStream_tbEUljE_ZNSN_ISO_Lb0ESR_SS_SU_SV_SZ_EES10_S11_S12_S13_S17_S18_S19_S1C_S1D_jS1E_jS1F_S1F_jjS1H_bEUljE0_EEES10_S11_S12_S19_S1D_S1F_T6_T7_T9_mT8_S1H_bDpT10_ENKUlT_T0_E_clISt17integral_constantIbLb1EES1V_EEDaS1Q_S1R_EUlS1Q_E_NS1_11comp_targetILNS1_3genE9ELNS1_11target_archE1100ELNS1_3gpuE3ELNS1_3repE0EEENS1_30default_config_static_selectorELNS0_4arch9wavefront6targetE0EEEvS13_.num_named_barrier, 0
	.set _ZN7rocprim17ROCPRIM_400000_NS6detail17trampoline_kernelINS0_13select_configILj256ELj13ELNS0_17block_load_methodE3ELS4_3ELS4_3ELNS0_20block_scan_algorithmE0ELj4294967295EEENS1_25partition_config_selectorILNS1_17partition_subalgoE4EjNS0_10empty_typeEbEEZZNS1_14partition_implILS8_4ELb0ES6_15HIP_vector_typeIjLj2EENS0_17counting_iteratorIjlEEPS9_SG_NS0_5tupleIJPjSI_NS0_16reverse_iteratorISI_EEEEENSH_IJSG_SG_SG_EEES9_SI_JZNS1_25segmented_radix_sort_implINS0_14default_configELb0EPK6__halfPSP_PKlPlN2at6native12_GLOBAL__N_18offset_tEEE10hipError_tPvRmT1_PNSt15iterator_traitsIS13_E10value_typeET2_T3_PNS14_IS19_E10value_typeET4_jRbjT5_S1F_jjP12ihipStream_tbEUljE_ZNSN_ISO_Lb0ESR_SS_SU_SV_SZ_EES10_S11_S12_S13_S17_S18_S19_S1C_S1D_jS1E_jS1F_S1F_jjS1H_bEUljE0_EEES10_S11_S12_S19_S1D_S1F_T6_T7_T9_mT8_S1H_bDpT10_ENKUlT_T0_E_clISt17integral_constantIbLb1EES1V_EEDaS1Q_S1R_EUlS1Q_E_NS1_11comp_targetILNS1_3genE9ELNS1_11target_archE1100ELNS1_3gpuE3ELNS1_3repE0EEENS1_30default_config_static_selectorELNS0_4arch9wavefront6targetE0EEEvS13_.private_seg_size, 0
	.set _ZN7rocprim17ROCPRIM_400000_NS6detail17trampoline_kernelINS0_13select_configILj256ELj13ELNS0_17block_load_methodE3ELS4_3ELS4_3ELNS0_20block_scan_algorithmE0ELj4294967295EEENS1_25partition_config_selectorILNS1_17partition_subalgoE4EjNS0_10empty_typeEbEEZZNS1_14partition_implILS8_4ELb0ES6_15HIP_vector_typeIjLj2EENS0_17counting_iteratorIjlEEPS9_SG_NS0_5tupleIJPjSI_NS0_16reverse_iteratorISI_EEEEENSH_IJSG_SG_SG_EEES9_SI_JZNS1_25segmented_radix_sort_implINS0_14default_configELb0EPK6__halfPSP_PKlPlN2at6native12_GLOBAL__N_18offset_tEEE10hipError_tPvRmT1_PNSt15iterator_traitsIS13_E10value_typeET2_T3_PNS14_IS19_E10value_typeET4_jRbjT5_S1F_jjP12ihipStream_tbEUljE_ZNSN_ISO_Lb0ESR_SS_SU_SV_SZ_EES10_S11_S12_S13_S17_S18_S19_S1C_S1D_jS1E_jS1F_S1F_jjS1H_bEUljE0_EEES10_S11_S12_S19_S1D_S1F_T6_T7_T9_mT8_S1H_bDpT10_ENKUlT_T0_E_clISt17integral_constantIbLb1EES1V_EEDaS1Q_S1R_EUlS1Q_E_NS1_11comp_targetILNS1_3genE9ELNS1_11target_archE1100ELNS1_3gpuE3ELNS1_3repE0EEENS1_30default_config_static_selectorELNS0_4arch9wavefront6targetE0EEEvS13_.uses_vcc, 0
	.set _ZN7rocprim17ROCPRIM_400000_NS6detail17trampoline_kernelINS0_13select_configILj256ELj13ELNS0_17block_load_methodE3ELS4_3ELS4_3ELNS0_20block_scan_algorithmE0ELj4294967295EEENS1_25partition_config_selectorILNS1_17partition_subalgoE4EjNS0_10empty_typeEbEEZZNS1_14partition_implILS8_4ELb0ES6_15HIP_vector_typeIjLj2EENS0_17counting_iteratorIjlEEPS9_SG_NS0_5tupleIJPjSI_NS0_16reverse_iteratorISI_EEEEENSH_IJSG_SG_SG_EEES9_SI_JZNS1_25segmented_radix_sort_implINS0_14default_configELb0EPK6__halfPSP_PKlPlN2at6native12_GLOBAL__N_18offset_tEEE10hipError_tPvRmT1_PNSt15iterator_traitsIS13_E10value_typeET2_T3_PNS14_IS19_E10value_typeET4_jRbjT5_S1F_jjP12ihipStream_tbEUljE_ZNSN_ISO_Lb0ESR_SS_SU_SV_SZ_EES10_S11_S12_S13_S17_S18_S19_S1C_S1D_jS1E_jS1F_S1F_jjS1H_bEUljE0_EEES10_S11_S12_S19_S1D_S1F_T6_T7_T9_mT8_S1H_bDpT10_ENKUlT_T0_E_clISt17integral_constantIbLb1EES1V_EEDaS1Q_S1R_EUlS1Q_E_NS1_11comp_targetILNS1_3genE9ELNS1_11target_archE1100ELNS1_3gpuE3ELNS1_3repE0EEENS1_30default_config_static_selectorELNS0_4arch9wavefront6targetE0EEEvS13_.uses_flat_scratch, 0
	.set _ZN7rocprim17ROCPRIM_400000_NS6detail17trampoline_kernelINS0_13select_configILj256ELj13ELNS0_17block_load_methodE3ELS4_3ELS4_3ELNS0_20block_scan_algorithmE0ELj4294967295EEENS1_25partition_config_selectorILNS1_17partition_subalgoE4EjNS0_10empty_typeEbEEZZNS1_14partition_implILS8_4ELb0ES6_15HIP_vector_typeIjLj2EENS0_17counting_iteratorIjlEEPS9_SG_NS0_5tupleIJPjSI_NS0_16reverse_iteratorISI_EEEEENSH_IJSG_SG_SG_EEES9_SI_JZNS1_25segmented_radix_sort_implINS0_14default_configELb0EPK6__halfPSP_PKlPlN2at6native12_GLOBAL__N_18offset_tEEE10hipError_tPvRmT1_PNSt15iterator_traitsIS13_E10value_typeET2_T3_PNS14_IS19_E10value_typeET4_jRbjT5_S1F_jjP12ihipStream_tbEUljE_ZNSN_ISO_Lb0ESR_SS_SU_SV_SZ_EES10_S11_S12_S13_S17_S18_S19_S1C_S1D_jS1E_jS1F_S1F_jjS1H_bEUljE0_EEES10_S11_S12_S19_S1D_S1F_T6_T7_T9_mT8_S1H_bDpT10_ENKUlT_T0_E_clISt17integral_constantIbLb1EES1V_EEDaS1Q_S1R_EUlS1Q_E_NS1_11comp_targetILNS1_3genE9ELNS1_11target_archE1100ELNS1_3gpuE3ELNS1_3repE0EEENS1_30default_config_static_selectorELNS0_4arch9wavefront6targetE0EEEvS13_.has_dyn_sized_stack, 0
	.set _ZN7rocprim17ROCPRIM_400000_NS6detail17trampoline_kernelINS0_13select_configILj256ELj13ELNS0_17block_load_methodE3ELS4_3ELS4_3ELNS0_20block_scan_algorithmE0ELj4294967295EEENS1_25partition_config_selectorILNS1_17partition_subalgoE4EjNS0_10empty_typeEbEEZZNS1_14partition_implILS8_4ELb0ES6_15HIP_vector_typeIjLj2EENS0_17counting_iteratorIjlEEPS9_SG_NS0_5tupleIJPjSI_NS0_16reverse_iteratorISI_EEEEENSH_IJSG_SG_SG_EEES9_SI_JZNS1_25segmented_radix_sort_implINS0_14default_configELb0EPK6__halfPSP_PKlPlN2at6native12_GLOBAL__N_18offset_tEEE10hipError_tPvRmT1_PNSt15iterator_traitsIS13_E10value_typeET2_T3_PNS14_IS19_E10value_typeET4_jRbjT5_S1F_jjP12ihipStream_tbEUljE_ZNSN_ISO_Lb0ESR_SS_SU_SV_SZ_EES10_S11_S12_S13_S17_S18_S19_S1C_S1D_jS1E_jS1F_S1F_jjS1H_bEUljE0_EEES10_S11_S12_S19_S1D_S1F_T6_T7_T9_mT8_S1H_bDpT10_ENKUlT_T0_E_clISt17integral_constantIbLb1EES1V_EEDaS1Q_S1R_EUlS1Q_E_NS1_11comp_targetILNS1_3genE9ELNS1_11target_archE1100ELNS1_3gpuE3ELNS1_3repE0EEENS1_30default_config_static_selectorELNS0_4arch9wavefront6targetE0EEEvS13_.has_recursion, 0
	.set _ZN7rocprim17ROCPRIM_400000_NS6detail17trampoline_kernelINS0_13select_configILj256ELj13ELNS0_17block_load_methodE3ELS4_3ELS4_3ELNS0_20block_scan_algorithmE0ELj4294967295EEENS1_25partition_config_selectorILNS1_17partition_subalgoE4EjNS0_10empty_typeEbEEZZNS1_14partition_implILS8_4ELb0ES6_15HIP_vector_typeIjLj2EENS0_17counting_iteratorIjlEEPS9_SG_NS0_5tupleIJPjSI_NS0_16reverse_iteratorISI_EEEEENSH_IJSG_SG_SG_EEES9_SI_JZNS1_25segmented_radix_sort_implINS0_14default_configELb0EPK6__halfPSP_PKlPlN2at6native12_GLOBAL__N_18offset_tEEE10hipError_tPvRmT1_PNSt15iterator_traitsIS13_E10value_typeET2_T3_PNS14_IS19_E10value_typeET4_jRbjT5_S1F_jjP12ihipStream_tbEUljE_ZNSN_ISO_Lb0ESR_SS_SU_SV_SZ_EES10_S11_S12_S13_S17_S18_S19_S1C_S1D_jS1E_jS1F_S1F_jjS1H_bEUljE0_EEES10_S11_S12_S19_S1D_S1F_T6_T7_T9_mT8_S1H_bDpT10_ENKUlT_T0_E_clISt17integral_constantIbLb1EES1V_EEDaS1Q_S1R_EUlS1Q_E_NS1_11comp_targetILNS1_3genE9ELNS1_11target_archE1100ELNS1_3gpuE3ELNS1_3repE0EEENS1_30default_config_static_selectorELNS0_4arch9wavefront6targetE0EEEvS13_.has_indirect_call, 0
	.section	.AMDGPU.csdata,"",@progbits
; Kernel info:
; codeLenInByte = 0
; TotalNumSgprs: 0
; NumVgprs: 0
; ScratchSize: 0
; MemoryBound: 0
; FloatMode: 240
; IeeeMode: 1
; LDSByteSize: 0 bytes/workgroup (compile time only)
; SGPRBlocks: 0
; VGPRBlocks: 0
; NumSGPRsForWavesPerEU: 1
; NumVGPRsForWavesPerEU: 1
; Occupancy: 16
; WaveLimiterHint : 0
; COMPUTE_PGM_RSRC2:SCRATCH_EN: 0
; COMPUTE_PGM_RSRC2:USER_SGPR: 6
; COMPUTE_PGM_RSRC2:TRAP_HANDLER: 0
; COMPUTE_PGM_RSRC2:TGID_X_EN: 1
; COMPUTE_PGM_RSRC2:TGID_Y_EN: 0
; COMPUTE_PGM_RSRC2:TGID_Z_EN: 0
; COMPUTE_PGM_RSRC2:TIDIG_COMP_CNT: 0
	.section	.text._ZN7rocprim17ROCPRIM_400000_NS6detail17trampoline_kernelINS0_13select_configILj256ELj13ELNS0_17block_load_methodE3ELS4_3ELS4_3ELNS0_20block_scan_algorithmE0ELj4294967295EEENS1_25partition_config_selectorILNS1_17partition_subalgoE4EjNS0_10empty_typeEbEEZZNS1_14partition_implILS8_4ELb0ES6_15HIP_vector_typeIjLj2EENS0_17counting_iteratorIjlEEPS9_SG_NS0_5tupleIJPjSI_NS0_16reverse_iteratorISI_EEEEENSH_IJSG_SG_SG_EEES9_SI_JZNS1_25segmented_radix_sort_implINS0_14default_configELb0EPK6__halfPSP_PKlPlN2at6native12_GLOBAL__N_18offset_tEEE10hipError_tPvRmT1_PNSt15iterator_traitsIS13_E10value_typeET2_T3_PNS14_IS19_E10value_typeET4_jRbjT5_S1F_jjP12ihipStream_tbEUljE_ZNSN_ISO_Lb0ESR_SS_SU_SV_SZ_EES10_S11_S12_S13_S17_S18_S19_S1C_S1D_jS1E_jS1F_S1F_jjS1H_bEUljE0_EEES10_S11_S12_S19_S1D_S1F_T6_T7_T9_mT8_S1H_bDpT10_ENKUlT_T0_E_clISt17integral_constantIbLb1EES1V_EEDaS1Q_S1R_EUlS1Q_E_NS1_11comp_targetILNS1_3genE8ELNS1_11target_archE1030ELNS1_3gpuE2ELNS1_3repE0EEENS1_30default_config_static_selectorELNS0_4arch9wavefront6targetE0EEEvS13_,"axG",@progbits,_ZN7rocprim17ROCPRIM_400000_NS6detail17trampoline_kernelINS0_13select_configILj256ELj13ELNS0_17block_load_methodE3ELS4_3ELS4_3ELNS0_20block_scan_algorithmE0ELj4294967295EEENS1_25partition_config_selectorILNS1_17partition_subalgoE4EjNS0_10empty_typeEbEEZZNS1_14partition_implILS8_4ELb0ES6_15HIP_vector_typeIjLj2EENS0_17counting_iteratorIjlEEPS9_SG_NS0_5tupleIJPjSI_NS0_16reverse_iteratorISI_EEEEENSH_IJSG_SG_SG_EEES9_SI_JZNS1_25segmented_radix_sort_implINS0_14default_configELb0EPK6__halfPSP_PKlPlN2at6native12_GLOBAL__N_18offset_tEEE10hipError_tPvRmT1_PNSt15iterator_traitsIS13_E10value_typeET2_T3_PNS14_IS19_E10value_typeET4_jRbjT5_S1F_jjP12ihipStream_tbEUljE_ZNSN_ISO_Lb0ESR_SS_SU_SV_SZ_EES10_S11_S12_S13_S17_S18_S19_S1C_S1D_jS1E_jS1F_S1F_jjS1H_bEUljE0_EEES10_S11_S12_S19_S1D_S1F_T6_T7_T9_mT8_S1H_bDpT10_ENKUlT_T0_E_clISt17integral_constantIbLb1EES1V_EEDaS1Q_S1R_EUlS1Q_E_NS1_11comp_targetILNS1_3genE8ELNS1_11target_archE1030ELNS1_3gpuE2ELNS1_3repE0EEENS1_30default_config_static_selectorELNS0_4arch9wavefront6targetE0EEEvS13_,comdat
	.globl	_ZN7rocprim17ROCPRIM_400000_NS6detail17trampoline_kernelINS0_13select_configILj256ELj13ELNS0_17block_load_methodE3ELS4_3ELS4_3ELNS0_20block_scan_algorithmE0ELj4294967295EEENS1_25partition_config_selectorILNS1_17partition_subalgoE4EjNS0_10empty_typeEbEEZZNS1_14partition_implILS8_4ELb0ES6_15HIP_vector_typeIjLj2EENS0_17counting_iteratorIjlEEPS9_SG_NS0_5tupleIJPjSI_NS0_16reverse_iteratorISI_EEEEENSH_IJSG_SG_SG_EEES9_SI_JZNS1_25segmented_radix_sort_implINS0_14default_configELb0EPK6__halfPSP_PKlPlN2at6native12_GLOBAL__N_18offset_tEEE10hipError_tPvRmT1_PNSt15iterator_traitsIS13_E10value_typeET2_T3_PNS14_IS19_E10value_typeET4_jRbjT5_S1F_jjP12ihipStream_tbEUljE_ZNSN_ISO_Lb0ESR_SS_SU_SV_SZ_EES10_S11_S12_S13_S17_S18_S19_S1C_S1D_jS1E_jS1F_S1F_jjS1H_bEUljE0_EEES10_S11_S12_S19_S1D_S1F_T6_T7_T9_mT8_S1H_bDpT10_ENKUlT_T0_E_clISt17integral_constantIbLb1EES1V_EEDaS1Q_S1R_EUlS1Q_E_NS1_11comp_targetILNS1_3genE8ELNS1_11target_archE1030ELNS1_3gpuE2ELNS1_3repE0EEENS1_30default_config_static_selectorELNS0_4arch9wavefront6targetE0EEEvS13_ ; -- Begin function _ZN7rocprim17ROCPRIM_400000_NS6detail17trampoline_kernelINS0_13select_configILj256ELj13ELNS0_17block_load_methodE3ELS4_3ELS4_3ELNS0_20block_scan_algorithmE0ELj4294967295EEENS1_25partition_config_selectorILNS1_17partition_subalgoE4EjNS0_10empty_typeEbEEZZNS1_14partition_implILS8_4ELb0ES6_15HIP_vector_typeIjLj2EENS0_17counting_iteratorIjlEEPS9_SG_NS0_5tupleIJPjSI_NS0_16reverse_iteratorISI_EEEEENSH_IJSG_SG_SG_EEES9_SI_JZNS1_25segmented_radix_sort_implINS0_14default_configELb0EPK6__halfPSP_PKlPlN2at6native12_GLOBAL__N_18offset_tEEE10hipError_tPvRmT1_PNSt15iterator_traitsIS13_E10value_typeET2_T3_PNS14_IS19_E10value_typeET4_jRbjT5_S1F_jjP12ihipStream_tbEUljE_ZNSN_ISO_Lb0ESR_SS_SU_SV_SZ_EES10_S11_S12_S13_S17_S18_S19_S1C_S1D_jS1E_jS1F_S1F_jjS1H_bEUljE0_EEES10_S11_S12_S19_S1D_S1F_T6_T7_T9_mT8_S1H_bDpT10_ENKUlT_T0_E_clISt17integral_constantIbLb1EES1V_EEDaS1Q_S1R_EUlS1Q_E_NS1_11comp_targetILNS1_3genE8ELNS1_11target_archE1030ELNS1_3gpuE2ELNS1_3repE0EEENS1_30default_config_static_selectorELNS0_4arch9wavefront6targetE0EEEvS13_
	.p2align	8
	.type	_ZN7rocprim17ROCPRIM_400000_NS6detail17trampoline_kernelINS0_13select_configILj256ELj13ELNS0_17block_load_methodE3ELS4_3ELS4_3ELNS0_20block_scan_algorithmE0ELj4294967295EEENS1_25partition_config_selectorILNS1_17partition_subalgoE4EjNS0_10empty_typeEbEEZZNS1_14partition_implILS8_4ELb0ES6_15HIP_vector_typeIjLj2EENS0_17counting_iteratorIjlEEPS9_SG_NS0_5tupleIJPjSI_NS0_16reverse_iteratorISI_EEEEENSH_IJSG_SG_SG_EEES9_SI_JZNS1_25segmented_radix_sort_implINS0_14default_configELb0EPK6__halfPSP_PKlPlN2at6native12_GLOBAL__N_18offset_tEEE10hipError_tPvRmT1_PNSt15iterator_traitsIS13_E10value_typeET2_T3_PNS14_IS19_E10value_typeET4_jRbjT5_S1F_jjP12ihipStream_tbEUljE_ZNSN_ISO_Lb0ESR_SS_SU_SV_SZ_EES10_S11_S12_S13_S17_S18_S19_S1C_S1D_jS1E_jS1F_S1F_jjS1H_bEUljE0_EEES10_S11_S12_S19_S1D_S1F_T6_T7_T9_mT8_S1H_bDpT10_ENKUlT_T0_E_clISt17integral_constantIbLb1EES1V_EEDaS1Q_S1R_EUlS1Q_E_NS1_11comp_targetILNS1_3genE8ELNS1_11target_archE1030ELNS1_3gpuE2ELNS1_3repE0EEENS1_30default_config_static_selectorELNS0_4arch9wavefront6targetE0EEEvS13_,@function
_ZN7rocprim17ROCPRIM_400000_NS6detail17trampoline_kernelINS0_13select_configILj256ELj13ELNS0_17block_load_methodE3ELS4_3ELS4_3ELNS0_20block_scan_algorithmE0ELj4294967295EEENS1_25partition_config_selectorILNS1_17partition_subalgoE4EjNS0_10empty_typeEbEEZZNS1_14partition_implILS8_4ELb0ES6_15HIP_vector_typeIjLj2EENS0_17counting_iteratorIjlEEPS9_SG_NS0_5tupleIJPjSI_NS0_16reverse_iteratorISI_EEEEENSH_IJSG_SG_SG_EEES9_SI_JZNS1_25segmented_radix_sort_implINS0_14default_configELb0EPK6__halfPSP_PKlPlN2at6native12_GLOBAL__N_18offset_tEEE10hipError_tPvRmT1_PNSt15iterator_traitsIS13_E10value_typeET2_T3_PNS14_IS19_E10value_typeET4_jRbjT5_S1F_jjP12ihipStream_tbEUljE_ZNSN_ISO_Lb0ESR_SS_SU_SV_SZ_EES10_S11_S12_S13_S17_S18_S19_S1C_S1D_jS1E_jS1F_S1F_jjS1H_bEUljE0_EEES10_S11_S12_S19_S1D_S1F_T6_T7_T9_mT8_S1H_bDpT10_ENKUlT_T0_E_clISt17integral_constantIbLb1EES1V_EEDaS1Q_S1R_EUlS1Q_E_NS1_11comp_targetILNS1_3genE8ELNS1_11target_archE1030ELNS1_3gpuE2ELNS1_3repE0EEENS1_30default_config_static_selectorELNS0_4arch9wavefront6targetE0EEEvS13_: ; @_ZN7rocprim17ROCPRIM_400000_NS6detail17trampoline_kernelINS0_13select_configILj256ELj13ELNS0_17block_load_methodE3ELS4_3ELS4_3ELNS0_20block_scan_algorithmE0ELj4294967295EEENS1_25partition_config_selectorILNS1_17partition_subalgoE4EjNS0_10empty_typeEbEEZZNS1_14partition_implILS8_4ELb0ES6_15HIP_vector_typeIjLj2EENS0_17counting_iteratorIjlEEPS9_SG_NS0_5tupleIJPjSI_NS0_16reverse_iteratorISI_EEEEENSH_IJSG_SG_SG_EEES9_SI_JZNS1_25segmented_radix_sort_implINS0_14default_configELb0EPK6__halfPSP_PKlPlN2at6native12_GLOBAL__N_18offset_tEEE10hipError_tPvRmT1_PNSt15iterator_traitsIS13_E10value_typeET2_T3_PNS14_IS19_E10value_typeET4_jRbjT5_S1F_jjP12ihipStream_tbEUljE_ZNSN_ISO_Lb0ESR_SS_SU_SV_SZ_EES10_S11_S12_S13_S17_S18_S19_S1C_S1D_jS1E_jS1F_S1F_jjS1H_bEUljE0_EEES10_S11_S12_S19_S1D_S1F_T6_T7_T9_mT8_S1H_bDpT10_ENKUlT_T0_E_clISt17integral_constantIbLb1EES1V_EEDaS1Q_S1R_EUlS1Q_E_NS1_11comp_targetILNS1_3genE8ELNS1_11target_archE1030ELNS1_3gpuE2ELNS1_3repE0EEENS1_30default_config_static_selectorELNS0_4arch9wavefront6targetE0EEEvS13_
; %bb.0:
	s_endpgm
	.section	.rodata,"a",@progbits
	.p2align	6, 0x0
	.amdhsa_kernel _ZN7rocprim17ROCPRIM_400000_NS6detail17trampoline_kernelINS0_13select_configILj256ELj13ELNS0_17block_load_methodE3ELS4_3ELS4_3ELNS0_20block_scan_algorithmE0ELj4294967295EEENS1_25partition_config_selectorILNS1_17partition_subalgoE4EjNS0_10empty_typeEbEEZZNS1_14partition_implILS8_4ELb0ES6_15HIP_vector_typeIjLj2EENS0_17counting_iteratorIjlEEPS9_SG_NS0_5tupleIJPjSI_NS0_16reverse_iteratorISI_EEEEENSH_IJSG_SG_SG_EEES9_SI_JZNS1_25segmented_radix_sort_implINS0_14default_configELb0EPK6__halfPSP_PKlPlN2at6native12_GLOBAL__N_18offset_tEEE10hipError_tPvRmT1_PNSt15iterator_traitsIS13_E10value_typeET2_T3_PNS14_IS19_E10value_typeET4_jRbjT5_S1F_jjP12ihipStream_tbEUljE_ZNSN_ISO_Lb0ESR_SS_SU_SV_SZ_EES10_S11_S12_S13_S17_S18_S19_S1C_S1D_jS1E_jS1F_S1F_jjS1H_bEUljE0_EEES10_S11_S12_S19_S1D_S1F_T6_T7_T9_mT8_S1H_bDpT10_ENKUlT_T0_E_clISt17integral_constantIbLb1EES1V_EEDaS1Q_S1R_EUlS1Q_E_NS1_11comp_targetILNS1_3genE8ELNS1_11target_archE1030ELNS1_3gpuE2ELNS1_3repE0EEENS1_30default_config_static_selectorELNS0_4arch9wavefront6targetE0EEEvS13_
		.amdhsa_group_segment_fixed_size 0
		.amdhsa_private_segment_fixed_size 0
		.amdhsa_kernarg_size 184
		.amdhsa_user_sgpr_count 6
		.amdhsa_user_sgpr_private_segment_buffer 1
		.amdhsa_user_sgpr_dispatch_ptr 0
		.amdhsa_user_sgpr_queue_ptr 0
		.amdhsa_user_sgpr_kernarg_segment_ptr 1
		.amdhsa_user_sgpr_dispatch_id 0
		.amdhsa_user_sgpr_flat_scratch_init 0
		.amdhsa_user_sgpr_private_segment_size 0
		.amdhsa_wavefront_size32 1
		.amdhsa_uses_dynamic_stack 0
		.amdhsa_system_sgpr_private_segment_wavefront_offset 0
		.amdhsa_system_sgpr_workgroup_id_x 1
		.amdhsa_system_sgpr_workgroup_id_y 0
		.amdhsa_system_sgpr_workgroup_id_z 0
		.amdhsa_system_sgpr_workgroup_info 0
		.amdhsa_system_vgpr_workitem_id 0
		.amdhsa_next_free_vgpr 1
		.amdhsa_next_free_sgpr 1
		.amdhsa_reserve_vcc 0
		.amdhsa_reserve_flat_scratch 0
		.amdhsa_float_round_mode_32 0
		.amdhsa_float_round_mode_16_64 0
		.amdhsa_float_denorm_mode_32 3
		.amdhsa_float_denorm_mode_16_64 3
		.amdhsa_dx10_clamp 1
		.amdhsa_ieee_mode 1
		.amdhsa_fp16_overflow 0
		.amdhsa_workgroup_processor_mode 1
		.amdhsa_memory_ordered 1
		.amdhsa_forward_progress 1
		.amdhsa_shared_vgpr_count 0
		.amdhsa_exception_fp_ieee_invalid_op 0
		.amdhsa_exception_fp_denorm_src 0
		.amdhsa_exception_fp_ieee_div_zero 0
		.amdhsa_exception_fp_ieee_overflow 0
		.amdhsa_exception_fp_ieee_underflow 0
		.amdhsa_exception_fp_ieee_inexact 0
		.amdhsa_exception_int_div_zero 0
	.end_amdhsa_kernel
	.section	.text._ZN7rocprim17ROCPRIM_400000_NS6detail17trampoline_kernelINS0_13select_configILj256ELj13ELNS0_17block_load_methodE3ELS4_3ELS4_3ELNS0_20block_scan_algorithmE0ELj4294967295EEENS1_25partition_config_selectorILNS1_17partition_subalgoE4EjNS0_10empty_typeEbEEZZNS1_14partition_implILS8_4ELb0ES6_15HIP_vector_typeIjLj2EENS0_17counting_iteratorIjlEEPS9_SG_NS0_5tupleIJPjSI_NS0_16reverse_iteratorISI_EEEEENSH_IJSG_SG_SG_EEES9_SI_JZNS1_25segmented_radix_sort_implINS0_14default_configELb0EPK6__halfPSP_PKlPlN2at6native12_GLOBAL__N_18offset_tEEE10hipError_tPvRmT1_PNSt15iterator_traitsIS13_E10value_typeET2_T3_PNS14_IS19_E10value_typeET4_jRbjT5_S1F_jjP12ihipStream_tbEUljE_ZNSN_ISO_Lb0ESR_SS_SU_SV_SZ_EES10_S11_S12_S13_S17_S18_S19_S1C_S1D_jS1E_jS1F_S1F_jjS1H_bEUljE0_EEES10_S11_S12_S19_S1D_S1F_T6_T7_T9_mT8_S1H_bDpT10_ENKUlT_T0_E_clISt17integral_constantIbLb1EES1V_EEDaS1Q_S1R_EUlS1Q_E_NS1_11comp_targetILNS1_3genE8ELNS1_11target_archE1030ELNS1_3gpuE2ELNS1_3repE0EEENS1_30default_config_static_selectorELNS0_4arch9wavefront6targetE0EEEvS13_,"axG",@progbits,_ZN7rocprim17ROCPRIM_400000_NS6detail17trampoline_kernelINS0_13select_configILj256ELj13ELNS0_17block_load_methodE3ELS4_3ELS4_3ELNS0_20block_scan_algorithmE0ELj4294967295EEENS1_25partition_config_selectorILNS1_17partition_subalgoE4EjNS0_10empty_typeEbEEZZNS1_14partition_implILS8_4ELb0ES6_15HIP_vector_typeIjLj2EENS0_17counting_iteratorIjlEEPS9_SG_NS0_5tupleIJPjSI_NS0_16reverse_iteratorISI_EEEEENSH_IJSG_SG_SG_EEES9_SI_JZNS1_25segmented_radix_sort_implINS0_14default_configELb0EPK6__halfPSP_PKlPlN2at6native12_GLOBAL__N_18offset_tEEE10hipError_tPvRmT1_PNSt15iterator_traitsIS13_E10value_typeET2_T3_PNS14_IS19_E10value_typeET4_jRbjT5_S1F_jjP12ihipStream_tbEUljE_ZNSN_ISO_Lb0ESR_SS_SU_SV_SZ_EES10_S11_S12_S13_S17_S18_S19_S1C_S1D_jS1E_jS1F_S1F_jjS1H_bEUljE0_EEES10_S11_S12_S19_S1D_S1F_T6_T7_T9_mT8_S1H_bDpT10_ENKUlT_T0_E_clISt17integral_constantIbLb1EES1V_EEDaS1Q_S1R_EUlS1Q_E_NS1_11comp_targetILNS1_3genE8ELNS1_11target_archE1030ELNS1_3gpuE2ELNS1_3repE0EEENS1_30default_config_static_selectorELNS0_4arch9wavefront6targetE0EEEvS13_,comdat
.Lfunc_end1783:
	.size	_ZN7rocprim17ROCPRIM_400000_NS6detail17trampoline_kernelINS0_13select_configILj256ELj13ELNS0_17block_load_methodE3ELS4_3ELS4_3ELNS0_20block_scan_algorithmE0ELj4294967295EEENS1_25partition_config_selectorILNS1_17partition_subalgoE4EjNS0_10empty_typeEbEEZZNS1_14partition_implILS8_4ELb0ES6_15HIP_vector_typeIjLj2EENS0_17counting_iteratorIjlEEPS9_SG_NS0_5tupleIJPjSI_NS0_16reverse_iteratorISI_EEEEENSH_IJSG_SG_SG_EEES9_SI_JZNS1_25segmented_radix_sort_implINS0_14default_configELb0EPK6__halfPSP_PKlPlN2at6native12_GLOBAL__N_18offset_tEEE10hipError_tPvRmT1_PNSt15iterator_traitsIS13_E10value_typeET2_T3_PNS14_IS19_E10value_typeET4_jRbjT5_S1F_jjP12ihipStream_tbEUljE_ZNSN_ISO_Lb0ESR_SS_SU_SV_SZ_EES10_S11_S12_S13_S17_S18_S19_S1C_S1D_jS1E_jS1F_S1F_jjS1H_bEUljE0_EEES10_S11_S12_S19_S1D_S1F_T6_T7_T9_mT8_S1H_bDpT10_ENKUlT_T0_E_clISt17integral_constantIbLb1EES1V_EEDaS1Q_S1R_EUlS1Q_E_NS1_11comp_targetILNS1_3genE8ELNS1_11target_archE1030ELNS1_3gpuE2ELNS1_3repE0EEENS1_30default_config_static_selectorELNS0_4arch9wavefront6targetE0EEEvS13_, .Lfunc_end1783-_ZN7rocprim17ROCPRIM_400000_NS6detail17trampoline_kernelINS0_13select_configILj256ELj13ELNS0_17block_load_methodE3ELS4_3ELS4_3ELNS0_20block_scan_algorithmE0ELj4294967295EEENS1_25partition_config_selectorILNS1_17partition_subalgoE4EjNS0_10empty_typeEbEEZZNS1_14partition_implILS8_4ELb0ES6_15HIP_vector_typeIjLj2EENS0_17counting_iteratorIjlEEPS9_SG_NS0_5tupleIJPjSI_NS0_16reverse_iteratorISI_EEEEENSH_IJSG_SG_SG_EEES9_SI_JZNS1_25segmented_radix_sort_implINS0_14default_configELb0EPK6__halfPSP_PKlPlN2at6native12_GLOBAL__N_18offset_tEEE10hipError_tPvRmT1_PNSt15iterator_traitsIS13_E10value_typeET2_T3_PNS14_IS19_E10value_typeET4_jRbjT5_S1F_jjP12ihipStream_tbEUljE_ZNSN_ISO_Lb0ESR_SS_SU_SV_SZ_EES10_S11_S12_S13_S17_S18_S19_S1C_S1D_jS1E_jS1F_S1F_jjS1H_bEUljE0_EEES10_S11_S12_S19_S1D_S1F_T6_T7_T9_mT8_S1H_bDpT10_ENKUlT_T0_E_clISt17integral_constantIbLb1EES1V_EEDaS1Q_S1R_EUlS1Q_E_NS1_11comp_targetILNS1_3genE8ELNS1_11target_archE1030ELNS1_3gpuE2ELNS1_3repE0EEENS1_30default_config_static_selectorELNS0_4arch9wavefront6targetE0EEEvS13_
                                        ; -- End function
	.set _ZN7rocprim17ROCPRIM_400000_NS6detail17trampoline_kernelINS0_13select_configILj256ELj13ELNS0_17block_load_methodE3ELS4_3ELS4_3ELNS0_20block_scan_algorithmE0ELj4294967295EEENS1_25partition_config_selectorILNS1_17partition_subalgoE4EjNS0_10empty_typeEbEEZZNS1_14partition_implILS8_4ELb0ES6_15HIP_vector_typeIjLj2EENS0_17counting_iteratorIjlEEPS9_SG_NS0_5tupleIJPjSI_NS0_16reverse_iteratorISI_EEEEENSH_IJSG_SG_SG_EEES9_SI_JZNS1_25segmented_radix_sort_implINS0_14default_configELb0EPK6__halfPSP_PKlPlN2at6native12_GLOBAL__N_18offset_tEEE10hipError_tPvRmT1_PNSt15iterator_traitsIS13_E10value_typeET2_T3_PNS14_IS19_E10value_typeET4_jRbjT5_S1F_jjP12ihipStream_tbEUljE_ZNSN_ISO_Lb0ESR_SS_SU_SV_SZ_EES10_S11_S12_S13_S17_S18_S19_S1C_S1D_jS1E_jS1F_S1F_jjS1H_bEUljE0_EEES10_S11_S12_S19_S1D_S1F_T6_T7_T9_mT8_S1H_bDpT10_ENKUlT_T0_E_clISt17integral_constantIbLb1EES1V_EEDaS1Q_S1R_EUlS1Q_E_NS1_11comp_targetILNS1_3genE8ELNS1_11target_archE1030ELNS1_3gpuE2ELNS1_3repE0EEENS1_30default_config_static_selectorELNS0_4arch9wavefront6targetE0EEEvS13_.num_vgpr, 0
	.set _ZN7rocprim17ROCPRIM_400000_NS6detail17trampoline_kernelINS0_13select_configILj256ELj13ELNS0_17block_load_methodE3ELS4_3ELS4_3ELNS0_20block_scan_algorithmE0ELj4294967295EEENS1_25partition_config_selectorILNS1_17partition_subalgoE4EjNS0_10empty_typeEbEEZZNS1_14partition_implILS8_4ELb0ES6_15HIP_vector_typeIjLj2EENS0_17counting_iteratorIjlEEPS9_SG_NS0_5tupleIJPjSI_NS0_16reverse_iteratorISI_EEEEENSH_IJSG_SG_SG_EEES9_SI_JZNS1_25segmented_radix_sort_implINS0_14default_configELb0EPK6__halfPSP_PKlPlN2at6native12_GLOBAL__N_18offset_tEEE10hipError_tPvRmT1_PNSt15iterator_traitsIS13_E10value_typeET2_T3_PNS14_IS19_E10value_typeET4_jRbjT5_S1F_jjP12ihipStream_tbEUljE_ZNSN_ISO_Lb0ESR_SS_SU_SV_SZ_EES10_S11_S12_S13_S17_S18_S19_S1C_S1D_jS1E_jS1F_S1F_jjS1H_bEUljE0_EEES10_S11_S12_S19_S1D_S1F_T6_T7_T9_mT8_S1H_bDpT10_ENKUlT_T0_E_clISt17integral_constantIbLb1EES1V_EEDaS1Q_S1R_EUlS1Q_E_NS1_11comp_targetILNS1_3genE8ELNS1_11target_archE1030ELNS1_3gpuE2ELNS1_3repE0EEENS1_30default_config_static_selectorELNS0_4arch9wavefront6targetE0EEEvS13_.num_agpr, 0
	.set _ZN7rocprim17ROCPRIM_400000_NS6detail17trampoline_kernelINS0_13select_configILj256ELj13ELNS0_17block_load_methodE3ELS4_3ELS4_3ELNS0_20block_scan_algorithmE0ELj4294967295EEENS1_25partition_config_selectorILNS1_17partition_subalgoE4EjNS0_10empty_typeEbEEZZNS1_14partition_implILS8_4ELb0ES6_15HIP_vector_typeIjLj2EENS0_17counting_iteratorIjlEEPS9_SG_NS0_5tupleIJPjSI_NS0_16reverse_iteratorISI_EEEEENSH_IJSG_SG_SG_EEES9_SI_JZNS1_25segmented_radix_sort_implINS0_14default_configELb0EPK6__halfPSP_PKlPlN2at6native12_GLOBAL__N_18offset_tEEE10hipError_tPvRmT1_PNSt15iterator_traitsIS13_E10value_typeET2_T3_PNS14_IS19_E10value_typeET4_jRbjT5_S1F_jjP12ihipStream_tbEUljE_ZNSN_ISO_Lb0ESR_SS_SU_SV_SZ_EES10_S11_S12_S13_S17_S18_S19_S1C_S1D_jS1E_jS1F_S1F_jjS1H_bEUljE0_EEES10_S11_S12_S19_S1D_S1F_T6_T7_T9_mT8_S1H_bDpT10_ENKUlT_T0_E_clISt17integral_constantIbLb1EES1V_EEDaS1Q_S1R_EUlS1Q_E_NS1_11comp_targetILNS1_3genE8ELNS1_11target_archE1030ELNS1_3gpuE2ELNS1_3repE0EEENS1_30default_config_static_selectorELNS0_4arch9wavefront6targetE0EEEvS13_.numbered_sgpr, 0
	.set _ZN7rocprim17ROCPRIM_400000_NS6detail17trampoline_kernelINS0_13select_configILj256ELj13ELNS0_17block_load_methodE3ELS4_3ELS4_3ELNS0_20block_scan_algorithmE0ELj4294967295EEENS1_25partition_config_selectorILNS1_17partition_subalgoE4EjNS0_10empty_typeEbEEZZNS1_14partition_implILS8_4ELb0ES6_15HIP_vector_typeIjLj2EENS0_17counting_iteratorIjlEEPS9_SG_NS0_5tupleIJPjSI_NS0_16reverse_iteratorISI_EEEEENSH_IJSG_SG_SG_EEES9_SI_JZNS1_25segmented_radix_sort_implINS0_14default_configELb0EPK6__halfPSP_PKlPlN2at6native12_GLOBAL__N_18offset_tEEE10hipError_tPvRmT1_PNSt15iterator_traitsIS13_E10value_typeET2_T3_PNS14_IS19_E10value_typeET4_jRbjT5_S1F_jjP12ihipStream_tbEUljE_ZNSN_ISO_Lb0ESR_SS_SU_SV_SZ_EES10_S11_S12_S13_S17_S18_S19_S1C_S1D_jS1E_jS1F_S1F_jjS1H_bEUljE0_EEES10_S11_S12_S19_S1D_S1F_T6_T7_T9_mT8_S1H_bDpT10_ENKUlT_T0_E_clISt17integral_constantIbLb1EES1V_EEDaS1Q_S1R_EUlS1Q_E_NS1_11comp_targetILNS1_3genE8ELNS1_11target_archE1030ELNS1_3gpuE2ELNS1_3repE0EEENS1_30default_config_static_selectorELNS0_4arch9wavefront6targetE0EEEvS13_.num_named_barrier, 0
	.set _ZN7rocprim17ROCPRIM_400000_NS6detail17trampoline_kernelINS0_13select_configILj256ELj13ELNS0_17block_load_methodE3ELS4_3ELS4_3ELNS0_20block_scan_algorithmE0ELj4294967295EEENS1_25partition_config_selectorILNS1_17partition_subalgoE4EjNS0_10empty_typeEbEEZZNS1_14partition_implILS8_4ELb0ES6_15HIP_vector_typeIjLj2EENS0_17counting_iteratorIjlEEPS9_SG_NS0_5tupleIJPjSI_NS0_16reverse_iteratorISI_EEEEENSH_IJSG_SG_SG_EEES9_SI_JZNS1_25segmented_radix_sort_implINS0_14default_configELb0EPK6__halfPSP_PKlPlN2at6native12_GLOBAL__N_18offset_tEEE10hipError_tPvRmT1_PNSt15iterator_traitsIS13_E10value_typeET2_T3_PNS14_IS19_E10value_typeET4_jRbjT5_S1F_jjP12ihipStream_tbEUljE_ZNSN_ISO_Lb0ESR_SS_SU_SV_SZ_EES10_S11_S12_S13_S17_S18_S19_S1C_S1D_jS1E_jS1F_S1F_jjS1H_bEUljE0_EEES10_S11_S12_S19_S1D_S1F_T6_T7_T9_mT8_S1H_bDpT10_ENKUlT_T0_E_clISt17integral_constantIbLb1EES1V_EEDaS1Q_S1R_EUlS1Q_E_NS1_11comp_targetILNS1_3genE8ELNS1_11target_archE1030ELNS1_3gpuE2ELNS1_3repE0EEENS1_30default_config_static_selectorELNS0_4arch9wavefront6targetE0EEEvS13_.private_seg_size, 0
	.set _ZN7rocprim17ROCPRIM_400000_NS6detail17trampoline_kernelINS0_13select_configILj256ELj13ELNS0_17block_load_methodE3ELS4_3ELS4_3ELNS0_20block_scan_algorithmE0ELj4294967295EEENS1_25partition_config_selectorILNS1_17partition_subalgoE4EjNS0_10empty_typeEbEEZZNS1_14partition_implILS8_4ELb0ES6_15HIP_vector_typeIjLj2EENS0_17counting_iteratorIjlEEPS9_SG_NS0_5tupleIJPjSI_NS0_16reverse_iteratorISI_EEEEENSH_IJSG_SG_SG_EEES9_SI_JZNS1_25segmented_radix_sort_implINS0_14default_configELb0EPK6__halfPSP_PKlPlN2at6native12_GLOBAL__N_18offset_tEEE10hipError_tPvRmT1_PNSt15iterator_traitsIS13_E10value_typeET2_T3_PNS14_IS19_E10value_typeET4_jRbjT5_S1F_jjP12ihipStream_tbEUljE_ZNSN_ISO_Lb0ESR_SS_SU_SV_SZ_EES10_S11_S12_S13_S17_S18_S19_S1C_S1D_jS1E_jS1F_S1F_jjS1H_bEUljE0_EEES10_S11_S12_S19_S1D_S1F_T6_T7_T9_mT8_S1H_bDpT10_ENKUlT_T0_E_clISt17integral_constantIbLb1EES1V_EEDaS1Q_S1R_EUlS1Q_E_NS1_11comp_targetILNS1_3genE8ELNS1_11target_archE1030ELNS1_3gpuE2ELNS1_3repE0EEENS1_30default_config_static_selectorELNS0_4arch9wavefront6targetE0EEEvS13_.uses_vcc, 0
	.set _ZN7rocprim17ROCPRIM_400000_NS6detail17trampoline_kernelINS0_13select_configILj256ELj13ELNS0_17block_load_methodE3ELS4_3ELS4_3ELNS0_20block_scan_algorithmE0ELj4294967295EEENS1_25partition_config_selectorILNS1_17partition_subalgoE4EjNS0_10empty_typeEbEEZZNS1_14partition_implILS8_4ELb0ES6_15HIP_vector_typeIjLj2EENS0_17counting_iteratorIjlEEPS9_SG_NS0_5tupleIJPjSI_NS0_16reverse_iteratorISI_EEEEENSH_IJSG_SG_SG_EEES9_SI_JZNS1_25segmented_radix_sort_implINS0_14default_configELb0EPK6__halfPSP_PKlPlN2at6native12_GLOBAL__N_18offset_tEEE10hipError_tPvRmT1_PNSt15iterator_traitsIS13_E10value_typeET2_T3_PNS14_IS19_E10value_typeET4_jRbjT5_S1F_jjP12ihipStream_tbEUljE_ZNSN_ISO_Lb0ESR_SS_SU_SV_SZ_EES10_S11_S12_S13_S17_S18_S19_S1C_S1D_jS1E_jS1F_S1F_jjS1H_bEUljE0_EEES10_S11_S12_S19_S1D_S1F_T6_T7_T9_mT8_S1H_bDpT10_ENKUlT_T0_E_clISt17integral_constantIbLb1EES1V_EEDaS1Q_S1R_EUlS1Q_E_NS1_11comp_targetILNS1_3genE8ELNS1_11target_archE1030ELNS1_3gpuE2ELNS1_3repE0EEENS1_30default_config_static_selectorELNS0_4arch9wavefront6targetE0EEEvS13_.uses_flat_scratch, 0
	.set _ZN7rocprim17ROCPRIM_400000_NS6detail17trampoline_kernelINS0_13select_configILj256ELj13ELNS0_17block_load_methodE3ELS4_3ELS4_3ELNS0_20block_scan_algorithmE0ELj4294967295EEENS1_25partition_config_selectorILNS1_17partition_subalgoE4EjNS0_10empty_typeEbEEZZNS1_14partition_implILS8_4ELb0ES6_15HIP_vector_typeIjLj2EENS0_17counting_iteratorIjlEEPS9_SG_NS0_5tupleIJPjSI_NS0_16reverse_iteratorISI_EEEEENSH_IJSG_SG_SG_EEES9_SI_JZNS1_25segmented_radix_sort_implINS0_14default_configELb0EPK6__halfPSP_PKlPlN2at6native12_GLOBAL__N_18offset_tEEE10hipError_tPvRmT1_PNSt15iterator_traitsIS13_E10value_typeET2_T3_PNS14_IS19_E10value_typeET4_jRbjT5_S1F_jjP12ihipStream_tbEUljE_ZNSN_ISO_Lb0ESR_SS_SU_SV_SZ_EES10_S11_S12_S13_S17_S18_S19_S1C_S1D_jS1E_jS1F_S1F_jjS1H_bEUljE0_EEES10_S11_S12_S19_S1D_S1F_T6_T7_T9_mT8_S1H_bDpT10_ENKUlT_T0_E_clISt17integral_constantIbLb1EES1V_EEDaS1Q_S1R_EUlS1Q_E_NS1_11comp_targetILNS1_3genE8ELNS1_11target_archE1030ELNS1_3gpuE2ELNS1_3repE0EEENS1_30default_config_static_selectorELNS0_4arch9wavefront6targetE0EEEvS13_.has_dyn_sized_stack, 0
	.set _ZN7rocprim17ROCPRIM_400000_NS6detail17trampoline_kernelINS0_13select_configILj256ELj13ELNS0_17block_load_methodE3ELS4_3ELS4_3ELNS0_20block_scan_algorithmE0ELj4294967295EEENS1_25partition_config_selectorILNS1_17partition_subalgoE4EjNS0_10empty_typeEbEEZZNS1_14partition_implILS8_4ELb0ES6_15HIP_vector_typeIjLj2EENS0_17counting_iteratorIjlEEPS9_SG_NS0_5tupleIJPjSI_NS0_16reverse_iteratorISI_EEEEENSH_IJSG_SG_SG_EEES9_SI_JZNS1_25segmented_radix_sort_implINS0_14default_configELb0EPK6__halfPSP_PKlPlN2at6native12_GLOBAL__N_18offset_tEEE10hipError_tPvRmT1_PNSt15iterator_traitsIS13_E10value_typeET2_T3_PNS14_IS19_E10value_typeET4_jRbjT5_S1F_jjP12ihipStream_tbEUljE_ZNSN_ISO_Lb0ESR_SS_SU_SV_SZ_EES10_S11_S12_S13_S17_S18_S19_S1C_S1D_jS1E_jS1F_S1F_jjS1H_bEUljE0_EEES10_S11_S12_S19_S1D_S1F_T6_T7_T9_mT8_S1H_bDpT10_ENKUlT_T0_E_clISt17integral_constantIbLb1EES1V_EEDaS1Q_S1R_EUlS1Q_E_NS1_11comp_targetILNS1_3genE8ELNS1_11target_archE1030ELNS1_3gpuE2ELNS1_3repE0EEENS1_30default_config_static_selectorELNS0_4arch9wavefront6targetE0EEEvS13_.has_recursion, 0
	.set _ZN7rocprim17ROCPRIM_400000_NS6detail17trampoline_kernelINS0_13select_configILj256ELj13ELNS0_17block_load_methodE3ELS4_3ELS4_3ELNS0_20block_scan_algorithmE0ELj4294967295EEENS1_25partition_config_selectorILNS1_17partition_subalgoE4EjNS0_10empty_typeEbEEZZNS1_14partition_implILS8_4ELb0ES6_15HIP_vector_typeIjLj2EENS0_17counting_iteratorIjlEEPS9_SG_NS0_5tupleIJPjSI_NS0_16reverse_iteratorISI_EEEEENSH_IJSG_SG_SG_EEES9_SI_JZNS1_25segmented_radix_sort_implINS0_14default_configELb0EPK6__halfPSP_PKlPlN2at6native12_GLOBAL__N_18offset_tEEE10hipError_tPvRmT1_PNSt15iterator_traitsIS13_E10value_typeET2_T3_PNS14_IS19_E10value_typeET4_jRbjT5_S1F_jjP12ihipStream_tbEUljE_ZNSN_ISO_Lb0ESR_SS_SU_SV_SZ_EES10_S11_S12_S13_S17_S18_S19_S1C_S1D_jS1E_jS1F_S1F_jjS1H_bEUljE0_EEES10_S11_S12_S19_S1D_S1F_T6_T7_T9_mT8_S1H_bDpT10_ENKUlT_T0_E_clISt17integral_constantIbLb1EES1V_EEDaS1Q_S1R_EUlS1Q_E_NS1_11comp_targetILNS1_3genE8ELNS1_11target_archE1030ELNS1_3gpuE2ELNS1_3repE0EEENS1_30default_config_static_selectorELNS0_4arch9wavefront6targetE0EEEvS13_.has_indirect_call, 0
	.section	.AMDGPU.csdata,"",@progbits
; Kernel info:
; codeLenInByte = 4
; TotalNumSgprs: 0
; NumVgprs: 0
; ScratchSize: 0
; MemoryBound: 0
; FloatMode: 240
; IeeeMode: 1
; LDSByteSize: 0 bytes/workgroup (compile time only)
; SGPRBlocks: 0
; VGPRBlocks: 0
; NumSGPRsForWavesPerEU: 1
; NumVGPRsForWavesPerEU: 1
; Occupancy: 16
; WaveLimiterHint : 0
; COMPUTE_PGM_RSRC2:SCRATCH_EN: 0
; COMPUTE_PGM_RSRC2:USER_SGPR: 6
; COMPUTE_PGM_RSRC2:TRAP_HANDLER: 0
; COMPUTE_PGM_RSRC2:TGID_X_EN: 1
; COMPUTE_PGM_RSRC2:TGID_Y_EN: 0
; COMPUTE_PGM_RSRC2:TGID_Z_EN: 0
; COMPUTE_PGM_RSRC2:TIDIG_COMP_CNT: 0
	.section	.text._ZN7rocprim17ROCPRIM_400000_NS6detail17trampoline_kernelINS0_13select_configILj256ELj13ELNS0_17block_load_methodE3ELS4_3ELS4_3ELNS0_20block_scan_algorithmE0ELj4294967295EEENS1_25partition_config_selectorILNS1_17partition_subalgoE4EjNS0_10empty_typeEbEEZZNS1_14partition_implILS8_4ELb0ES6_15HIP_vector_typeIjLj2EENS0_17counting_iteratorIjlEEPS9_SG_NS0_5tupleIJPjSI_NS0_16reverse_iteratorISI_EEEEENSH_IJSG_SG_SG_EEES9_SI_JZNS1_25segmented_radix_sort_implINS0_14default_configELb0EPK6__halfPSP_PKlPlN2at6native12_GLOBAL__N_18offset_tEEE10hipError_tPvRmT1_PNSt15iterator_traitsIS13_E10value_typeET2_T3_PNS14_IS19_E10value_typeET4_jRbjT5_S1F_jjP12ihipStream_tbEUljE_ZNSN_ISO_Lb0ESR_SS_SU_SV_SZ_EES10_S11_S12_S13_S17_S18_S19_S1C_S1D_jS1E_jS1F_S1F_jjS1H_bEUljE0_EEES10_S11_S12_S19_S1D_S1F_T6_T7_T9_mT8_S1H_bDpT10_ENKUlT_T0_E_clISt17integral_constantIbLb1EES1U_IbLb0EEEEDaS1Q_S1R_EUlS1Q_E_NS1_11comp_targetILNS1_3genE0ELNS1_11target_archE4294967295ELNS1_3gpuE0ELNS1_3repE0EEENS1_30default_config_static_selectorELNS0_4arch9wavefront6targetE0EEEvS13_,"axG",@progbits,_ZN7rocprim17ROCPRIM_400000_NS6detail17trampoline_kernelINS0_13select_configILj256ELj13ELNS0_17block_load_methodE3ELS4_3ELS4_3ELNS0_20block_scan_algorithmE0ELj4294967295EEENS1_25partition_config_selectorILNS1_17partition_subalgoE4EjNS0_10empty_typeEbEEZZNS1_14partition_implILS8_4ELb0ES6_15HIP_vector_typeIjLj2EENS0_17counting_iteratorIjlEEPS9_SG_NS0_5tupleIJPjSI_NS0_16reverse_iteratorISI_EEEEENSH_IJSG_SG_SG_EEES9_SI_JZNS1_25segmented_radix_sort_implINS0_14default_configELb0EPK6__halfPSP_PKlPlN2at6native12_GLOBAL__N_18offset_tEEE10hipError_tPvRmT1_PNSt15iterator_traitsIS13_E10value_typeET2_T3_PNS14_IS19_E10value_typeET4_jRbjT5_S1F_jjP12ihipStream_tbEUljE_ZNSN_ISO_Lb0ESR_SS_SU_SV_SZ_EES10_S11_S12_S13_S17_S18_S19_S1C_S1D_jS1E_jS1F_S1F_jjS1H_bEUljE0_EEES10_S11_S12_S19_S1D_S1F_T6_T7_T9_mT8_S1H_bDpT10_ENKUlT_T0_E_clISt17integral_constantIbLb1EES1U_IbLb0EEEEDaS1Q_S1R_EUlS1Q_E_NS1_11comp_targetILNS1_3genE0ELNS1_11target_archE4294967295ELNS1_3gpuE0ELNS1_3repE0EEENS1_30default_config_static_selectorELNS0_4arch9wavefront6targetE0EEEvS13_,comdat
	.globl	_ZN7rocprim17ROCPRIM_400000_NS6detail17trampoline_kernelINS0_13select_configILj256ELj13ELNS0_17block_load_methodE3ELS4_3ELS4_3ELNS0_20block_scan_algorithmE0ELj4294967295EEENS1_25partition_config_selectorILNS1_17partition_subalgoE4EjNS0_10empty_typeEbEEZZNS1_14partition_implILS8_4ELb0ES6_15HIP_vector_typeIjLj2EENS0_17counting_iteratorIjlEEPS9_SG_NS0_5tupleIJPjSI_NS0_16reverse_iteratorISI_EEEEENSH_IJSG_SG_SG_EEES9_SI_JZNS1_25segmented_radix_sort_implINS0_14default_configELb0EPK6__halfPSP_PKlPlN2at6native12_GLOBAL__N_18offset_tEEE10hipError_tPvRmT1_PNSt15iterator_traitsIS13_E10value_typeET2_T3_PNS14_IS19_E10value_typeET4_jRbjT5_S1F_jjP12ihipStream_tbEUljE_ZNSN_ISO_Lb0ESR_SS_SU_SV_SZ_EES10_S11_S12_S13_S17_S18_S19_S1C_S1D_jS1E_jS1F_S1F_jjS1H_bEUljE0_EEES10_S11_S12_S19_S1D_S1F_T6_T7_T9_mT8_S1H_bDpT10_ENKUlT_T0_E_clISt17integral_constantIbLb1EES1U_IbLb0EEEEDaS1Q_S1R_EUlS1Q_E_NS1_11comp_targetILNS1_3genE0ELNS1_11target_archE4294967295ELNS1_3gpuE0ELNS1_3repE0EEENS1_30default_config_static_selectorELNS0_4arch9wavefront6targetE0EEEvS13_ ; -- Begin function _ZN7rocprim17ROCPRIM_400000_NS6detail17trampoline_kernelINS0_13select_configILj256ELj13ELNS0_17block_load_methodE3ELS4_3ELS4_3ELNS0_20block_scan_algorithmE0ELj4294967295EEENS1_25partition_config_selectorILNS1_17partition_subalgoE4EjNS0_10empty_typeEbEEZZNS1_14partition_implILS8_4ELb0ES6_15HIP_vector_typeIjLj2EENS0_17counting_iteratorIjlEEPS9_SG_NS0_5tupleIJPjSI_NS0_16reverse_iteratorISI_EEEEENSH_IJSG_SG_SG_EEES9_SI_JZNS1_25segmented_radix_sort_implINS0_14default_configELb0EPK6__halfPSP_PKlPlN2at6native12_GLOBAL__N_18offset_tEEE10hipError_tPvRmT1_PNSt15iterator_traitsIS13_E10value_typeET2_T3_PNS14_IS19_E10value_typeET4_jRbjT5_S1F_jjP12ihipStream_tbEUljE_ZNSN_ISO_Lb0ESR_SS_SU_SV_SZ_EES10_S11_S12_S13_S17_S18_S19_S1C_S1D_jS1E_jS1F_S1F_jjS1H_bEUljE0_EEES10_S11_S12_S19_S1D_S1F_T6_T7_T9_mT8_S1H_bDpT10_ENKUlT_T0_E_clISt17integral_constantIbLb1EES1U_IbLb0EEEEDaS1Q_S1R_EUlS1Q_E_NS1_11comp_targetILNS1_3genE0ELNS1_11target_archE4294967295ELNS1_3gpuE0ELNS1_3repE0EEENS1_30default_config_static_selectorELNS0_4arch9wavefront6targetE0EEEvS13_
	.p2align	8
	.type	_ZN7rocprim17ROCPRIM_400000_NS6detail17trampoline_kernelINS0_13select_configILj256ELj13ELNS0_17block_load_methodE3ELS4_3ELS4_3ELNS0_20block_scan_algorithmE0ELj4294967295EEENS1_25partition_config_selectorILNS1_17partition_subalgoE4EjNS0_10empty_typeEbEEZZNS1_14partition_implILS8_4ELb0ES6_15HIP_vector_typeIjLj2EENS0_17counting_iteratorIjlEEPS9_SG_NS0_5tupleIJPjSI_NS0_16reverse_iteratorISI_EEEEENSH_IJSG_SG_SG_EEES9_SI_JZNS1_25segmented_radix_sort_implINS0_14default_configELb0EPK6__halfPSP_PKlPlN2at6native12_GLOBAL__N_18offset_tEEE10hipError_tPvRmT1_PNSt15iterator_traitsIS13_E10value_typeET2_T3_PNS14_IS19_E10value_typeET4_jRbjT5_S1F_jjP12ihipStream_tbEUljE_ZNSN_ISO_Lb0ESR_SS_SU_SV_SZ_EES10_S11_S12_S13_S17_S18_S19_S1C_S1D_jS1E_jS1F_S1F_jjS1H_bEUljE0_EEES10_S11_S12_S19_S1D_S1F_T6_T7_T9_mT8_S1H_bDpT10_ENKUlT_T0_E_clISt17integral_constantIbLb1EES1U_IbLb0EEEEDaS1Q_S1R_EUlS1Q_E_NS1_11comp_targetILNS1_3genE0ELNS1_11target_archE4294967295ELNS1_3gpuE0ELNS1_3repE0EEENS1_30default_config_static_selectorELNS0_4arch9wavefront6targetE0EEEvS13_,@function
_ZN7rocprim17ROCPRIM_400000_NS6detail17trampoline_kernelINS0_13select_configILj256ELj13ELNS0_17block_load_methodE3ELS4_3ELS4_3ELNS0_20block_scan_algorithmE0ELj4294967295EEENS1_25partition_config_selectorILNS1_17partition_subalgoE4EjNS0_10empty_typeEbEEZZNS1_14partition_implILS8_4ELb0ES6_15HIP_vector_typeIjLj2EENS0_17counting_iteratorIjlEEPS9_SG_NS0_5tupleIJPjSI_NS0_16reverse_iteratorISI_EEEEENSH_IJSG_SG_SG_EEES9_SI_JZNS1_25segmented_radix_sort_implINS0_14default_configELb0EPK6__halfPSP_PKlPlN2at6native12_GLOBAL__N_18offset_tEEE10hipError_tPvRmT1_PNSt15iterator_traitsIS13_E10value_typeET2_T3_PNS14_IS19_E10value_typeET4_jRbjT5_S1F_jjP12ihipStream_tbEUljE_ZNSN_ISO_Lb0ESR_SS_SU_SV_SZ_EES10_S11_S12_S13_S17_S18_S19_S1C_S1D_jS1E_jS1F_S1F_jjS1H_bEUljE0_EEES10_S11_S12_S19_S1D_S1F_T6_T7_T9_mT8_S1H_bDpT10_ENKUlT_T0_E_clISt17integral_constantIbLb1EES1U_IbLb0EEEEDaS1Q_S1R_EUlS1Q_E_NS1_11comp_targetILNS1_3genE0ELNS1_11target_archE4294967295ELNS1_3gpuE0ELNS1_3repE0EEENS1_30default_config_static_selectorELNS0_4arch9wavefront6targetE0EEEvS13_: ; @_ZN7rocprim17ROCPRIM_400000_NS6detail17trampoline_kernelINS0_13select_configILj256ELj13ELNS0_17block_load_methodE3ELS4_3ELS4_3ELNS0_20block_scan_algorithmE0ELj4294967295EEENS1_25partition_config_selectorILNS1_17partition_subalgoE4EjNS0_10empty_typeEbEEZZNS1_14partition_implILS8_4ELb0ES6_15HIP_vector_typeIjLj2EENS0_17counting_iteratorIjlEEPS9_SG_NS0_5tupleIJPjSI_NS0_16reverse_iteratorISI_EEEEENSH_IJSG_SG_SG_EEES9_SI_JZNS1_25segmented_radix_sort_implINS0_14default_configELb0EPK6__halfPSP_PKlPlN2at6native12_GLOBAL__N_18offset_tEEE10hipError_tPvRmT1_PNSt15iterator_traitsIS13_E10value_typeET2_T3_PNS14_IS19_E10value_typeET4_jRbjT5_S1F_jjP12ihipStream_tbEUljE_ZNSN_ISO_Lb0ESR_SS_SU_SV_SZ_EES10_S11_S12_S13_S17_S18_S19_S1C_S1D_jS1E_jS1F_S1F_jjS1H_bEUljE0_EEES10_S11_S12_S19_S1D_S1F_T6_T7_T9_mT8_S1H_bDpT10_ENKUlT_T0_E_clISt17integral_constantIbLb1EES1U_IbLb0EEEEDaS1Q_S1R_EUlS1Q_E_NS1_11comp_targetILNS1_3genE0ELNS1_11target_archE4294967295ELNS1_3gpuE0ELNS1_3repE0EEENS1_30default_config_static_selectorELNS0_4arch9wavefront6targetE0EEEvS13_
; %bb.0:
	.section	.rodata,"a",@progbits
	.p2align	6, 0x0
	.amdhsa_kernel _ZN7rocprim17ROCPRIM_400000_NS6detail17trampoline_kernelINS0_13select_configILj256ELj13ELNS0_17block_load_methodE3ELS4_3ELS4_3ELNS0_20block_scan_algorithmE0ELj4294967295EEENS1_25partition_config_selectorILNS1_17partition_subalgoE4EjNS0_10empty_typeEbEEZZNS1_14partition_implILS8_4ELb0ES6_15HIP_vector_typeIjLj2EENS0_17counting_iteratorIjlEEPS9_SG_NS0_5tupleIJPjSI_NS0_16reverse_iteratorISI_EEEEENSH_IJSG_SG_SG_EEES9_SI_JZNS1_25segmented_radix_sort_implINS0_14default_configELb0EPK6__halfPSP_PKlPlN2at6native12_GLOBAL__N_18offset_tEEE10hipError_tPvRmT1_PNSt15iterator_traitsIS13_E10value_typeET2_T3_PNS14_IS19_E10value_typeET4_jRbjT5_S1F_jjP12ihipStream_tbEUljE_ZNSN_ISO_Lb0ESR_SS_SU_SV_SZ_EES10_S11_S12_S13_S17_S18_S19_S1C_S1D_jS1E_jS1F_S1F_jjS1H_bEUljE0_EEES10_S11_S12_S19_S1D_S1F_T6_T7_T9_mT8_S1H_bDpT10_ENKUlT_T0_E_clISt17integral_constantIbLb1EES1U_IbLb0EEEEDaS1Q_S1R_EUlS1Q_E_NS1_11comp_targetILNS1_3genE0ELNS1_11target_archE4294967295ELNS1_3gpuE0ELNS1_3repE0EEENS1_30default_config_static_selectorELNS0_4arch9wavefront6targetE0EEEvS13_
		.amdhsa_group_segment_fixed_size 0
		.amdhsa_private_segment_fixed_size 0
		.amdhsa_kernarg_size 176
		.amdhsa_user_sgpr_count 6
		.amdhsa_user_sgpr_private_segment_buffer 1
		.amdhsa_user_sgpr_dispatch_ptr 0
		.amdhsa_user_sgpr_queue_ptr 0
		.amdhsa_user_sgpr_kernarg_segment_ptr 1
		.amdhsa_user_sgpr_dispatch_id 0
		.amdhsa_user_sgpr_flat_scratch_init 0
		.amdhsa_user_sgpr_private_segment_size 0
		.amdhsa_wavefront_size32 1
		.amdhsa_uses_dynamic_stack 0
		.amdhsa_system_sgpr_private_segment_wavefront_offset 0
		.amdhsa_system_sgpr_workgroup_id_x 1
		.amdhsa_system_sgpr_workgroup_id_y 0
		.amdhsa_system_sgpr_workgroup_id_z 0
		.amdhsa_system_sgpr_workgroup_info 0
		.amdhsa_system_vgpr_workitem_id 0
		.amdhsa_next_free_vgpr 1
		.amdhsa_next_free_sgpr 1
		.amdhsa_reserve_vcc 0
		.amdhsa_reserve_flat_scratch 0
		.amdhsa_float_round_mode_32 0
		.amdhsa_float_round_mode_16_64 0
		.amdhsa_float_denorm_mode_32 3
		.amdhsa_float_denorm_mode_16_64 3
		.amdhsa_dx10_clamp 1
		.amdhsa_ieee_mode 1
		.amdhsa_fp16_overflow 0
		.amdhsa_workgroup_processor_mode 1
		.amdhsa_memory_ordered 1
		.amdhsa_forward_progress 1
		.amdhsa_shared_vgpr_count 0
		.amdhsa_exception_fp_ieee_invalid_op 0
		.amdhsa_exception_fp_denorm_src 0
		.amdhsa_exception_fp_ieee_div_zero 0
		.amdhsa_exception_fp_ieee_overflow 0
		.amdhsa_exception_fp_ieee_underflow 0
		.amdhsa_exception_fp_ieee_inexact 0
		.amdhsa_exception_int_div_zero 0
	.end_amdhsa_kernel
	.section	.text._ZN7rocprim17ROCPRIM_400000_NS6detail17trampoline_kernelINS0_13select_configILj256ELj13ELNS0_17block_load_methodE3ELS4_3ELS4_3ELNS0_20block_scan_algorithmE0ELj4294967295EEENS1_25partition_config_selectorILNS1_17partition_subalgoE4EjNS0_10empty_typeEbEEZZNS1_14partition_implILS8_4ELb0ES6_15HIP_vector_typeIjLj2EENS0_17counting_iteratorIjlEEPS9_SG_NS0_5tupleIJPjSI_NS0_16reverse_iteratorISI_EEEEENSH_IJSG_SG_SG_EEES9_SI_JZNS1_25segmented_radix_sort_implINS0_14default_configELb0EPK6__halfPSP_PKlPlN2at6native12_GLOBAL__N_18offset_tEEE10hipError_tPvRmT1_PNSt15iterator_traitsIS13_E10value_typeET2_T3_PNS14_IS19_E10value_typeET4_jRbjT5_S1F_jjP12ihipStream_tbEUljE_ZNSN_ISO_Lb0ESR_SS_SU_SV_SZ_EES10_S11_S12_S13_S17_S18_S19_S1C_S1D_jS1E_jS1F_S1F_jjS1H_bEUljE0_EEES10_S11_S12_S19_S1D_S1F_T6_T7_T9_mT8_S1H_bDpT10_ENKUlT_T0_E_clISt17integral_constantIbLb1EES1U_IbLb0EEEEDaS1Q_S1R_EUlS1Q_E_NS1_11comp_targetILNS1_3genE0ELNS1_11target_archE4294967295ELNS1_3gpuE0ELNS1_3repE0EEENS1_30default_config_static_selectorELNS0_4arch9wavefront6targetE0EEEvS13_,"axG",@progbits,_ZN7rocprim17ROCPRIM_400000_NS6detail17trampoline_kernelINS0_13select_configILj256ELj13ELNS0_17block_load_methodE3ELS4_3ELS4_3ELNS0_20block_scan_algorithmE0ELj4294967295EEENS1_25partition_config_selectorILNS1_17partition_subalgoE4EjNS0_10empty_typeEbEEZZNS1_14partition_implILS8_4ELb0ES6_15HIP_vector_typeIjLj2EENS0_17counting_iteratorIjlEEPS9_SG_NS0_5tupleIJPjSI_NS0_16reverse_iteratorISI_EEEEENSH_IJSG_SG_SG_EEES9_SI_JZNS1_25segmented_radix_sort_implINS0_14default_configELb0EPK6__halfPSP_PKlPlN2at6native12_GLOBAL__N_18offset_tEEE10hipError_tPvRmT1_PNSt15iterator_traitsIS13_E10value_typeET2_T3_PNS14_IS19_E10value_typeET4_jRbjT5_S1F_jjP12ihipStream_tbEUljE_ZNSN_ISO_Lb0ESR_SS_SU_SV_SZ_EES10_S11_S12_S13_S17_S18_S19_S1C_S1D_jS1E_jS1F_S1F_jjS1H_bEUljE0_EEES10_S11_S12_S19_S1D_S1F_T6_T7_T9_mT8_S1H_bDpT10_ENKUlT_T0_E_clISt17integral_constantIbLb1EES1U_IbLb0EEEEDaS1Q_S1R_EUlS1Q_E_NS1_11comp_targetILNS1_3genE0ELNS1_11target_archE4294967295ELNS1_3gpuE0ELNS1_3repE0EEENS1_30default_config_static_selectorELNS0_4arch9wavefront6targetE0EEEvS13_,comdat
.Lfunc_end1784:
	.size	_ZN7rocprim17ROCPRIM_400000_NS6detail17trampoline_kernelINS0_13select_configILj256ELj13ELNS0_17block_load_methodE3ELS4_3ELS4_3ELNS0_20block_scan_algorithmE0ELj4294967295EEENS1_25partition_config_selectorILNS1_17partition_subalgoE4EjNS0_10empty_typeEbEEZZNS1_14partition_implILS8_4ELb0ES6_15HIP_vector_typeIjLj2EENS0_17counting_iteratorIjlEEPS9_SG_NS0_5tupleIJPjSI_NS0_16reverse_iteratorISI_EEEEENSH_IJSG_SG_SG_EEES9_SI_JZNS1_25segmented_radix_sort_implINS0_14default_configELb0EPK6__halfPSP_PKlPlN2at6native12_GLOBAL__N_18offset_tEEE10hipError_tPvRmT1_PNSt15iterator_traitsIS13_E10value_typeET2_T3_PNS14_IS19_E10value_typeET4_jRbjT5_S1F_jjP12ihipStream_tbEUljE_ZNSN_ISO_Lb0ESR_SS_SU_SV_SZ_EES10_S11_S12_S13_S17_S18_S19_S1C_S1D_jS1E_jS1F_S1F_jjS1H_bEUljE0_EEES10_S11_S12_S19_S1D_S1F_T6_T7_T9_mT8_S1H_bDpT10_ENKUlT_T0_E_clISt17integral_constantIbLb1EES1U_IbLb0EEEEDaS1Q_S1R_EUlS1Q_E_NS1_11comp_targetILNS1_3genE0ELNS1_11target_archE4294967295ELNS1_3gpuE0ELNS1_3repE0EEENS1_30default_config_static_selectorELNS0_4arch9wavefront6targetE0EEEvS13_, .Lfunc_end1784-_ZN7rocprim17ROCPRIM_400000_NS6detail17trampoline_kernelINS0_13select_configILj256ELj13ELNS0_17block_load_methodE3ELS4_3ELS4_3ELNS0_20block_scan_algorithmE0ELj4294967295EEENS1_25partition_config_selectorILNS1_17partition_subalgoE4EjNS0_10empty_typeEbEEZZNS1_14partition_implILS8_4ELb0ES6_15HIP_vector_typeIjLj2EENS0_17counting_iteratorIjlEEPS9_SG_NS0_5tupleIJPjSI_NS0_16reverse_iteratorISI_EEEEENSH_IJSG_SG_SG_EEES9_SI_JZNS1_25segmented_radix_sort_implINS0_14default_configELb0EPK6__halfPSP_PKlPlN2at6native12_GLOBAL__N_18offset_tEEE10hipError_tPvRmT1_PNSt15iterator_traitsIS13_E10value_typeET2_T3_PNS14_IS19_E10value_typeET4_jRbjT5_S1F_jjP12ihipStream_tbEUljE_ZNSN_ISO_Lb0ESR_SS_SU_SV_SZ_EES10_S11_S12_S13_S17_S18_S19_S1C_S1D_jS1E_jS1F_S1F_jjS1H_bEUljE0_EEES10_S11_S12_S19_S1D_S1F_T6_T7_T9_mT8_S1H_bDpT10_ENKUlT_T0_E_clISt17integral_constantIbLb1EES1U_IbLb0EEEEDaS1Q_S1R_EUlS1Q_E_NS1_11comp_targetILNS1_3genE0ELNS1_11target_archE4294967295ELNS1_3gpuE0ELNS1_3repE0EEENS1_30default_config_static_selectorELNS0_4arch9wavefront6targetE0EEEvS13_
                                        ; -- End function
	.set _ZN7rocprim17ROCPRIM_400000_NS6detail17trampoline_kernelINS0_13select_configILj256ELj13ELNS0_17block_load_methodE3ELS4_3ELS4_3ELNS0_20block_scan_algorithmE0ELj4294967295EEENS1_25partition_config_selectorILNS1_17partition_subalgoE4EjNS0_10empty_typeEbEEZZNS1_14partition_implILS8_4ELb0ES6_15HIP_vector_typeIjLj2EENS0_17counting_iteratorIjlEEPS9_SG_NS0_5tupleIJPjSI_NS0_16reverse_iteratorISI_EEEEENSH_IJSG_SG_SG_EEES9_SI_JZNS1_25segmented_radix_sort_implINS0_14default_configELb0EPK6__halfPSP_PKlPlN2at6native12_GLOBAL__N_18offset_tEEE10hipError_tPvRmT1_PNSt15iterator_traitsIS13_E10value_typeET2_T3_PNS14_IS19_E10value_typeET4_jRbjT5_S1F_jjP12ihipStream_tbEUljE_ZNSN_ISO_Lb0ESR_SS_SU_SV_SZ_EES10_S11_S12_S13_S17_S18_S19_S1C_S1D_jS1E_jS1F_S1F_jjS1H_bEUljE0_EEES10_S11_S12_S19_S1D_S1F_T6_T7_T9_mT8_S1H_bDpT10_ENKUlT_T0_E_clISt17integral_constantIbLb1EES1U_IbLb0EEEEDaS1Q_S1R_EUlS1Q_E_NS1_11comp_targetILNS1_3genE0ELNS1_11target_archE4294967295ELNS1_3gpuE0ELNS1_3repE0EEENS1_30default_config_static_selectorELNS0_4arch9wavefront6targetE0EEEvS13_.num_vgpr, 0
	.set _ZN7rocprim17ROCPRIM_400000_NS6detail17trampoline_kernelINS0_13select_configILj256ELj13ELNS0_17block_load_methodE3ELS4_3ELS4_3ELNS0_20block_scan_algorithmE0ELj4294967295EEENS1_25partition_config_selectorILNS1_17partition_subalgoE4EjNS0_10empty_typeEbEEZZNS1_14partition_implILS8_4ELb0ES6_15HIP_vector_typeIjLj2EENS0_17counting_iteratorIjlEEPS9_SG_NS0_5tupleIJPjSI_NS0_16reverse_iteratorISI_EEEEENSH_IJSG_SG_SG_EEES9_SI_JZNS1_25segmented_radix_sort_implINS0_14default_configELb0EPK6__halfPSP_PKlPlN2at6native12_GLOBAL__N_18offset_tEEE10hipError_tPvRmT1_PNSt15iterator_traitsIS13_E10value_typeET2_T3_PNS14_IS19_E10value_typeET4_jRbjT5_S1F_jjP12ihipStream_tbEUljE_ZNSN_ISO_Lb0ESR_SS_SU_SV_SZ_EES10_S11_S12_S13_S17_S18_S19_S1C_S1D_jS1E_jS1F_S1F_jjS1H_bEUljE0_EEES10_S11_S12_S19_S1D_S1F_T6_T7_T9_mT8_S1H_bDpT10_ENKUlT_T0_E_clISt17integral_constantIbLb1EES1U_IbLb0EEEEDaS1Q_S1R_EUlS1Q_E_NS1_11comp_targetILNS1_3genE0ELNS1_11target_archE4294967295ELNS1_3gpuE0ELNS1_3repE0EEENS1_30default_config_static_selectorELNS0_4arch9wavefront6targetE0EEEvS13_.num_agpr, 0
	.set _ZN7rocprim17ROCPRIM_400000_NS6detail17trampoline_kernelINS0_13select_configILj256ELj13ELNS0_17block_load_methodE3ELS4_3ELS4_3ELNS0_20block_scan_algorithmE0ELj4294967295EEENS1_25partition_config_selectorILNS1_17partition_subalgoE4EjNS0_10empty_typeEbEEZZNS1_14partition_implILS8_4ELb0ES6_15HIP_vector_typeIjLj2EENS0_17counting_iteratorIjlEEPS9_SG_NS0_5tupleIJPjSI_NS0_16reverse_iteratorISI_EEEEENSH_IJSG_SG_SG_EEES9_SI_JZNS1_25segmented_radix_sort_implINS0_14default_configELb0EPK6__halfPSP_PKlPlN2at6native12_GLOBAL__N_18offset_tEEE10hipError_tPvRmT1_PNSt15iterator_traitsIS13_E10value_typeET2_T3_PNS14_IS19_E10value_typeET4_jRbjT5_S1F_jjP12ihipStream_tbEUljE_ZNSN_ISO_Lb0ESR_SS_SU_SV_SZ_EES10_S11_S12_S13_S17_S18_S19_S1C_S1D_jS1E_jS1F_S1F_jjS1H_bEUljE0_EEES10_S11_S12_S19_S1D_S1F_T6_T7_T9_mT8_S1H_bDpT10_ENKUlT_T0_E_clISt17integral_constantIbLb1EES1U_IbLb0EEEEDaS1Q_S1R_EUlS1Q_E_NS1_11comp_targetILNS1_3genE0ELNS1_11target_archE4294967295ELNS1_3gpuE0ELNS1_3repE0EEENS1_30default_config_static_selectorELNS0_4arch9wavefront6targetE0EEEvS13_.numbered_sgpr, 0
	.set _ZN7rocprim17ROCPRIM_400000_NS6detail17trampoline_kernelINS0_13select_configILj256ELj13ELNS0_17block_load_methodE3ELS4_3ELS4_3ELNS0_20block_scan_algorithmE0ELj4294967295EEENS1_25partition_config_selectorILNS1_17partition_subalgoE4EjNS0_10empty_typeEbEEZZNS1_14partition_implILS8_4ELb0ES6_15HIP_vector_typeIjLj2EENS0_17counting_iteratorIjlEEPS9_SG_NS0_5tupleIJPjSI_NS0_16reverse_iteratorISI_EEEEENSH_IJSG_SG_SG_EEES9_SI_JZNS1_25segmented_radix_sort_implINS0_14default_configELb0EPK6__halfPSP_PKlPlN2at6native12_GLOBAL__N_18offset_tEEE10hipError_tPvRmT1_PNSt15iterator_traitsIS13_E10value_typeET2_T3_PNS14_IS19_E10value_typeET4_jRbjT5_S1F_jjP12ihipStream_tbEUljE_ZNSN_ISO_Lb0ESR_SS_SU_SV_SZ_EES10_S11_S12_S13_S17_S18_S19_S1C_S1D_jS1E_jS1F_S1F_jjS1H_bEUljE0_EEES10_S11_S12_S19_S1D_S1F_T6_T7_T9_mT8_S1H_bDpT10_ENKUlT_T0_E_clISt17integral_constantIbLb1EES1U_IbLb0EEEEDaS1Q_S1R_EUlS1Q_E_NS1_11comp_targetILNS1_3genE0ELNS1_11target_archE4294967295ELNS1_3gpuE0ELNS1_3repE0EEENS1_30default_config_static_selectorELNS0_4arch9wavefront6targetE0EEEvS13_.num_named_barrier, 0
	.set _ZN7rocprim17ROCPRIM_400000_NS6detail17trampoline_kernelINS0_13select_configILj256ELj13ELNS0_17block_load_methodE3ELS4_3ELS4_3ELNS0_20block_scan_algorithmE0ELj4294967295EEENS1_25partition_config_selectorILNS1_17partition_subalgoE4EjNS0_10empty_typeEbEEZZNS1_14partition_implILS8_4ELb0ES6_15HIP_vector_typeIjLj2EENS0_17counting_iteratorIjlEEPS9_SG_NS0_5tupleIJPjSI_NS0_16reverse_iteratorISI_EEEEENSH_IJSG_SG_SG_EEES9_SI_JZNS1_25segmented_radix_sort_implINS0_14default_configELb0EPK6__halfPSP_PKlPlN2at6native12_GLOBAL__N_18offset_tEEE10hipError_tPvRmT1_PNSt15iterator_traitsIS13_E10value_typeET2_T3_PNS14_IS19_E10value_typeET4_jRbjT5_S1F_jjP12ihipStream_tbEUljE_ZNSN_ISO_Lb0ESR_SS_SU_SV_SZ_EES10_S11_S12_S13_S17_S18_S19_S1C_S1D_jS1E_jS1F_S1F_jjS1H_bEUljE0_EEES10_S11_S12_S19_S1D_S1F_T6_T7_T9_mT8_S1H_bDpT10_ENKUlT_T0_E_clISt17integral_constantIbLb1EES1U_IbLb0EEEEDaS1Q_S1R_EUlS1Q_E_NS1_11comp_targetILNS1_3genE0ELNS1_11target_archE4294967295ELNS1_3gpuE0ELNS1_3repE0EEENS1_30default_config_static_selectorELNS0_4arch9wavefront6targetE0EEEvS13_.private_seg_size, 0
	.set _ZN7rocprim17ROCPRIM_400000_NS6detail17trampoline_kernelINS0_13select_configILj256ELj13ELNS0_17block_load_methodE3ELS4_3ELS4_3ELNS0_20block_scan_algorithmE0ELj4294967295EEENS1_25partition_config_selectorILNS1_17partition_subalgoE4EjNS0_10empty_typeEbEEZZNS1_14partition_implILS8_4ELb0ES6_15HIP_vector_typeIjLj2EENS0_17counting_iteratorIjlEEPS9_SG_NS0_5tupleIJPjSI_NS0_16reverse_iteratorISI_EEEEENSH_IJSG_SG_SG_EEES9_SI_JZNS1_25segmented_radix_sort_implINS0_14default_configELb0EPK6__halfPSP_PKlPlN2at6native12_GLOBAL__N_18offset_tEEE10hipError_tPvRmT1_PNSt15iterator_traitsIS13_E10value_typeET2_T3_PNS14_IS19_E10value_typeET4_jRbjT5_S1F_jjP12ihipStream_tbEUljE_ZNSN_ISO_Lb0ESR_SS_SU_SV_SZ_EES10_S11_S12_S13_S17_S18_S19_S1C_S1D_jS1E_jS1F_S1F_jjS1H_bEUljE0_EEES10_S11_S12_S19_S1D_S1F_T6_T7_T9_mT8_S1H_bDpT10_ENKUlT_T0_E_clISt17integral_constantIbLb1EES1U_IbLb0EEEEDaS1Q_S1R_EUlS1Q_E_NS1_11comp_targetILNS1_3genE0ELNS1_11target_archE4294967295ELNS1_3gpuE0ELNS1_3repE0EEENS1_30default_config_static_selectorELNS0_4arch9wavefront6targetE0EEEvS13_.uses_vcc, 0
	.set _ZN7rocprim17ROCPRIM_400000_NS6detail17trampoline_kernelINS0_13select_configILj256ELj13ELNS0_17block_load_methodE3ELS4_3ELS4_3ELNS0_20block_scan_algorithmE0ELj4294967295EEENS1_25partition_config_selectorILNS1_17partition_subalgoE4EjNS0_10empty_typeEbEEZZNS1_14partition_implILS8_4ELb0ES6_15HIP_vector_typeIjLj2EENS0_17counting_iteratorIjlEEPS9_SG_NS0_5tupleIJPjSI_NS0_16reverse_iteratorISI_EEEEENSH_IJSG_SG_SG_EEES9_SI_JZNS1_25segmented_radix_sort_implINS0_14default_configELb0EPK6__halfPSP_PKlPlN2at6native12_GLOBAL__N_18offset_tEEE10hipError_tPvRmT1_PNSt15iterator_traitsIS13_E10value_typeET2_T3_PNS14_IS19_E10value_typeET4_jRbjT5_S1F_jjP12ihipStream_tbEUljE_ZNSN_ISO_Lb0ESR_SS_SU_SV_SZ_EES10_S11_S12_S13_S17_S18_S19_S1C_S1D_jS1E_jS1F_S1F_jjS1H_bEUljE0_EEES10_S11_S12_S19_S1D_S1F_T6_T7_T9_mT8_S1H_bDpT10_ENKUlT_T0_E_clISt17integral_constantIbLb1EES1U_IbLb0EEEEDaS1Q_S1R_EUlS1Q_E_NS1_11comp_targetILNS1_3genE0ELNS1_11target_archE4294967295ELNS1_3gpuE0ELNS1_3repE0EEENS1_30default_config_static_selectorELNS0_4arch9wavefront6targetE0EEEvS13_.uses_flat_scratch, 0
	.set _ZN7rocprim17ROCPRIM_400000_NS6detail17trampoline_kernelINS0_13select_configILj256ELj13ELNS0_17block_load_methodE3ELS4_3ELS4_3ELNS0_20block_scan_algorithmE0ELj4294967295EEENS1_25partition_config_selectorILNS1_17partition_subalgoE4EjNS0_10empty_typeEbEEZZNS1_14partition_implILS8_4ELb0ES6_15HIP_vector_typeIjLj2EENS0_17counting_iteratorIjlEEPS9_SG_NS0_5tupleIJPjSI_NS0_16reverse_iteratorISI_EEEEENSH_IJSG_SG_SG_EEES9_SI_JZNS1_25segmented_radix_sort_implINS0_14default_configELb0EPK6__halfPSP_PKlPlN2at6native12_GLOBAL__N_18offset_tEEE10hipError_tPvRmT1_PNSt15iterator_traitsIS13_E10value_typeET2_T3_PNS14_IS19_E10value_typeET4_jRbjT5_S1F_jjP12ihipStream_tbEUljE_ZNSN_ISO_Lb0ESR_SS_SU_SV_SZ_EES10_S11_S12_S13_S17_S18_S19_S1C_S1D_jS1E_jS1F_S1F_jjS1H_bEUljE0_EEES10_S11_S12_S19_S1D_S1F_T6_T7_T9_mT8_S1H_bDpT10_ENKUlT_T0_E_clISt17integral_constantIbLb1EES1U_IbLb0EEEEDaS1Q_S1R_EUlS1Q_E_NS1_11comp_targetILNS1_3genE0ELNS1_11target_archE4294967295ELNS1_3gpuE0ELNS1_3repE0EEENS1_30default_config_static_selectorELNS0_4arch9wavefront6targetE0EEEvS13_.has_dyn_sized_stack, 0
	.set _ZN7rocprim17ROCPRIM_400000_NS6detail17trampoline_kernelINS0_13select_configILj256ELj13ELNS0_17block_load_methodE3ELS4_3ELS4_3ELNS0_20block_scan_algorithmE0ELj4294967295EEENS1_25partition_config_selectorILNS1_17partition_subalgoE4EjNS0_10empty_typeEbEEZZNS1_14partition_implILS8_4ELb0ES6_15HIP_vector_typeIjLj2EENS0_17counting_iteratorIjlEEPS9_SG_NS0_5tupleIJPjSI_NS0_16reverse_iteratorISI_EEEEENSH_IJSG_SG_SG_EEES9_SI_JZNS1_25segmented_radix_sort_implINS0_14default_configELb0EPK6__halfPSP_PKlPlN2at6native12_GLOBAL__N_18offset_tEEE10hipError_tPvRmT1_PNSt15iterator_traitsIS13_E10value_typeET2_T3_PNS14_IS19_E10value_typeET4_jRbjT5_S1F_jjP12ihipStream_tbEUljE_ZNSN_ISO_Lb0ESR_SS_SU_SV_SZ_EES10_S11_S12_S13_S17_S18_S19_S1C_S1D_jS1E_jS1F_S1F_jjS1H_bEUljE0_EEES10_S11_S12_S19_S1D_S1F_T6_T7_T9_mT8_S1H_bDpT10_ENKUlT_T0_E_clISt17integral_constantIbLb1EES1U_IbLb0EEEEDaS1Q_S1R_EUlS1Q_E_NS1_11comp_targetILNS1_3genE0ELNS1_11target_archE4294967295ELNS1_3gpuE0ELNS1_3repE0EEENS1_30default_config_static_selectorELNS0_4arch9wavefront6targetE0EEEvS13_.has_recursion, 0
	.set _ZN7rocprim17ROCPRIM_400000_NS6detail17trampoline_kernelINS0_13select_configILj256ELj13ELNS0_17block_load_methodE3ELS4_3ELS4_3ELNS0_20block_scan_algorithmE0ELj4294967295EEENS1_25partition_config_selectorILNS1_17partition_subalgoE4EjNS0_10empty_typeEbEEZZNS1_14partition_implILS8_4ELb0ES6_15HIP_vector_typeIjLj2EENS0_17counting_iteratorIjlEEPS9_SG_NS0_5tupleIJPjSI_NS0_16reverse_iteratorISI_EEEEENSH_IJSG_SG_SG_EEES9_SI_JZNS1_25segmented_radix_sort_implINS0_14default_configELb0EPK6__halfPSP_PKlPlN2at6native12_GLOBAL__N_18offset_tEEE10hipError_tPvRmT1_PNSt15iterator_traitsIS13_E10value_typeET2_T3_PNS14_IS19_E10value_typeET4_jRbjT5_S1F_jjP12ihipStream_tbEUljE_ZNSN_ISO_Lb0ESR_SS_SU_SV_SZ_EES10_S11_S12_S13_S17_S18_S19_S1C_S1D_jS1E_jS1F_S1F_jjS1H_bEUljE0_EEES10_S11_S12_S19_S1D_S1F_T6_T7_T9_mT8_S1H_bDpT10_ENKUlT_T0_E_clISt17integral_constantIbLb1EES1U_IbLb0EEEEDaS1Q_S1R_EUlS1Q_E_NS1_11comp_targetILNS1_3genE0ELNS1_11target_archE4294967295ELNS1_3gpuE0ELNS1_3repE0EEENS1_30default_config_static_selectorELNS0_4arch9wavefront6targetE0EEEvS13_.has_indirect_call, 0
	.section	.AMDGPU.csdata,"",@progbits
; Kernel info:
; codeLenInByte = 0
; TotalNumSgprs: 0
; NumVgprs: 0
; ScratchSize: 0
; MemoryBound: 0
; FloatMode: 240
; IeeeMode: 1
; LDSByteSize: 0 bytes/workgroup (compile time only)
; SGPRBlocks: 0
; VGPRBlocks: 0
; NumSGPRsForWavesPerEU: 1
; NumVGPRsForWavesPerEU: 1
; Occupancy: 16
; WaveLimiterHint : 0
; COMPUTE_PGM_RSRC2:SCRATCH_EN: 0
; COMPUTE_PGM_RSRC2:USER_SGPR: 6
; COMPUTE_PGM_RSRC2:TRAP_HANDLER: 0
; COMPUTE_PGM_RSRC2:TGID_X_EN: 1
; COMPUTE_PGM_RSRC2:TGID_Y_EN: 0
; COMPUTE_PGM_RSRC2:TGID_Z_EN: 0
; COMPUTE_PGM_RSRC2:TIDIG_COMP_CNT: 0
	.section	.text._ZN7rocprim17ROCPRIM_400000_NS6detail17trampoline_kernelINS0_13select_configILj256ELj13ELNS0_17block_load_methodE3ELS4_3ELS4_3ELNS0_20block_scan_algorithmE0ELj4294967295EEENS1_25partition_config_selectorILNS1_17partition_subalgoE4EjNS0_10empty_typeEbEEZZNS1_14partition_implILS8_4ELb0ES6_15HIP_vector_typeIjLj2EENS0_17counting_iteratorIjlEEPS9_SG_NS0_5tupleIJPjSI_NS0_16reverse_iteratorISI_EEEEENSH_IJSG_SG_SG_EEES9_SI_JZNS1_25segmented_radix_sort_implINS0_14default_configELb0EPK6__halfPSP_PKlPlN2at6native12_GLOBAL__N_18offset_tEEE10hipError_tPvRmT1_PNSt15iterator_traitsIS13_E10value_typeET2_T3_PNS14_IS19_E10value_typeET4_jRbjT5_S1F_jjP12ihipStream_tbEUljE_ZNSN_ISO_Lb0ESR_SS_SU_SV_SZ_EES10_S11_S12_S13_S17_S18_S19_S1C_S1D_jS1E_jS1F_S1F_jjS1H_bEUljE0_EEES10_S11_S12_S19_S1D_S1F_T6_T7_T9_mT8_S1H_bDpT10_ENKUlT_T0_E_clISt17integral_constantIbLb1EES1U_IbLb0EEEEDaS1Q_S1R_EUlS1Q_E_NS1_11comp_targetILNS1_3genE5ELNS1_11target_archE942ELNS1_3gpuE9ELNS1_3repE0EEENS1_30default_config_static_selectorELNS0_4arch9wavefront6targetE0EEEvS13_,"axG",@progbits,_ZN7rocprim17ROCPRIM_400000_NS6detail17trampoline_kernelINS0_13select_configILj256ELj13ELNS0_17block_load_methodE3ELS4_3ELS4_3ELNS0_20block_scan_algorithmE0ELj4294967295EEENS1_25partition_config_selectorILNS1_17partition_subalgoE4EjNS0_10empty_typeEbEEZZNS1_14partition_implILS8_4ELb0ES6_15HIP_vector_typeIjLj2EENS0_17counting_iteratorIjlEEPS9_SG_NS0_5tupleIJPjSI_NS0_16reverse_iteratorISI_EEEEENSH_IJSG_SG_SG_EEES9_SI_JZNS1_25segmented_radix_sort_implINS0_14default_configELb0EPK6__halfPSP_PKlPlN2at6native12_GLOBAL__N_18offset_tEEE10hipError_tPvRmT1_PNSt15iterator_traitsIS13_E10value_typeET2_T3_PNS14_IS19_E10value_typeET4_jRbjT5_S1F_jjP12ihipStream_tbEUljE_ZNSN_ISO_Lb0ESR_SS_SU_SV_SZ_EES10_S11_S12_S13_S17_S18_S19_S1C_S1D_jS1E_jS1F_S1F_jjS1H_bEUljE0_EEES10_S11_S12_S19_S1D_S1F_T6_T7_T9_mT8_S1H_bDpT10_ENKUlT_T0_E_clISt17integral_constantIbLb1EES1U_IbLb0EEEEDaS1Q_S1R_EUlS1Q_E_NS1_11comp_targetILNS1_3genE5ELNS1_11target_archE942ELNS1_3gpuE9ELNS1_3repE0EEENS1_30default_config_static_selectorELNS0_4arch9wavefront6targetE0EEEvS13_,comdat
	.globl	_ZN7rocprim17ROCPRIM_400000_NS6detail17trampoline_kernelINS0_13select_configILj256ELj13ELNS0_17block_load_methodE3ELS4_3ELS4_3ELNS0_20block_scan_algorithmE0ELj4294967295EEENS1_25partition_config_selectorILNS1_17partition_subalgoE4EjNS0_10empty_typeEbEEZZNS1_14partition_implILS8_4ELb0ES6_15HIP_vector_typeIjLj2EENS0_17counting_iteratorIjlEEPS9_SG_NS0_5tupleIJPjSI_NS0_16reverse_iteratorISI_EEEEENSH_IJSG_SG_SG_EEES9_SI_JZNS1_25segmented_radix_sort_implINS0_14default_configELb0EPK6__halfPSP_PKlPlN2at6native12_GLOBAL__N_18offset_tEEE10hipError_tPvRmT1_PNSt15iterator_traitsIS13_E10value_typeET2_T3_PNS14_IS19_E10value_typeET4_jRbjT5_S1F_jjP12ihipStream_tbEUljE_ZNSN_ISO_Lb0ESR_SS_SU_SV_SZ_EES10_S11_S12_S13_S17_S18_S19_S1C_S1D_jS1E_jS1F_S1F_jjS1H_bEUljE0_EEES10_S11_S12_S19_S1D_S1F_T6_T7_T9_mT8_S1H_bDpT10_ENKUlT_T0_E_clISt17integral_constantIbLb1EES1U_IbLb0EEEEDaS1Q_S1R_EUlS1Q_E_NS1_11comp_targetILNS1_3genE5ELNS1_11target_archE942ELNS1_3gpuE9ELNS1_3repE0EEENS1_30default_config_static_selectorELNS0_4arch9wavefront6targetE0EEEvS13_ ; -- Begin function _ZN7rocprim17ROCPRIM_400000_NS6detail17trampoline_kernelINS0_13select_configILj256ELj13ELNS0_17block_load_methodE3ELS4_3ELS4_3ELNS0_20block_scan_algorithmE0ELj4294967295EEENS1_25partition_config_selectorILNS1_17partition_subalgoE4EjNS0_10empty_typeEbEEZZNS1_14partition_implILS8_4ELb0ES6_15HIP_vector_typeIjLj2EENS0_17counting_iteratorIjlEEPS9_SG_NS0_5tupleIJPjSI_NS0_16reverse_iteratorISI_EEEEENSH_IJSG_SG_SG_EEES9_SI_JZNS1_25segmented_radix_sort_implINS0_14default_configELb0EPK6__halfPSP_PKlPlN2at6native12_GLOBAL__N_18offset_tEEE10hipError_tPvRmT1_PNSt15iterator_traitsIS13_E10value_typeET2_T3_PNS14_IS19_E10value_typeET4_jRbjT5_S1F_jjP12ihipStream_tbEUljE_ZNSN_ISO_Lb0ESR_SS_SU_SV_SZ_EES10_S11_S12_S13_S17_S18_S19_S1C_S1D_jS1E_jS1F_S1F_jjS1H_bEUljE0_EEES10_S11_S12_S19_S1D_S1F_T6_T7_T9_mT8_S1H_bDpT10_ENKUlT_T0_E_clISt17integral_constantIbLb1EES1U_IbLb0EEEEDaS1Q_S1R_EUlS1Q_E_NS1_11comp_targetILNS1_3genE5ELNS1_11target_archE942ELNS1_3gpuE9ELNS1_3repE0EEENS1_30default_config_static_selectorELNS0_4arch9wavefront6targetE0EEEvS13_
	.p2align	8
	.type	_ZN7rocprim17ROCPRIM_400000_NS6detail17trampoline_kernelINS0_13select_configILj256ELj13ELNS0_17block_load_methodE3ELS4_3ELS4_3ELNS0_20block_scan_algorithmE0ELj4294967295EEENS1_25partition_config_selectorILNS1_17partition_subalgoE4EjNS0_10empty_typeEbEEZZNS1_14partition_implILS8_4ELb0ES6_15HIP_vector_typeIjLj2EENS0_17counting_iteratorIjlEEPS9_SG_NS0_5tupleIJPjSI_NS0_16reverse_iteratorISI_EEEEENSH_IJSG_SG_SG_EEES9_SI_JZNS1_25segmented_radix_sort_implINS0_14default_configELb0EPK6__halfPSP_PKlPlN2at6native12_GLOBAL__N_18offset_tEEE10hipError_tPvRmT1_PNSt15iterator_traitsIS13_E10value_typeET2_T3_PNS14_IS19_E10value_typeET4_jRbjT5_S1F_jjP12ihipStream_tbEUljE_ZNSN_ISO_Lb0ESR_SS_SU_SV_SZ_EES10_S11_S12_S13_S17_S18_S19_S1C_S1D_jS1E_jS1F_S1F_jjS1H_bEUljE0_EEES10_S11_S12_S19_S1D_S1F_T6_T7_T9_mT8_S1H_bDpT10_ENKUlT_T0_E_clISt17integral_constantIbLb1EES1U_IbLb0EEEEDaS1Q_S1R_EUlS1Q_E_NS1_11comp_targetILNS1_3genE5ELNS1_11target_archE942ELNS1_3gpuE9ELNS1_3repE0EEENS1_30default_config_static_selectorELNS0_4arch9wavefront6targetE0EEEvS13_,@function
_ZN7rocprim17ROCPRIM_400000_NS6detail17trampoline_kernelINS0_13select_configILj256ELj13ELNS0_17block_load_methodE3ELS4_3ELS4_3ELNS0_20block_scan_algorithmE0ELj4294967295EEENS1_25partition_config_selectorILNS1_17partition_subalgoE4EjNS0_10empty_typeEbEEZZNS1_14partition_implILS8_4ELb0ES6_15HIP_vector_typeIjLj2EENS0_17counting_iteratorIjlEEPS9_SG_NS0_5tupleIJPjSI_NS0_16reverse_iteratorISI_EEEEENSH_IJSG_SG_SG_EEES9_SI_JZNS1_25segmented_radix_sort_implINS0_14default_configELb0EPK6__halfPSP_PKlPlN2at6native12_GLOBAL__N_18offset_tEEE10hipError_tPvRmT1_PNSt15iterator_traitsIS13_E10value_typeET2_T3_PNS14_IS19_E10value_typeET4_jRbjT5_S1F_jjP12ihipStream_tbEUljE_ZNSN_ISO_Lb0ESR_SS_SU_SV_SZ_EES10_S11_S12_S13_S17_S18_S19_S1C_S1D_jS1E_jS1F_S1F_jjS1H_bEUljE0_EEES10_S11_S12_S19_S1D_S1F_T6_T7_T9_mT8_S1H_bDpT10_ENKUlT_T0_E_clISt17integral_constantIbLb1EES1U_IbLb0EEEEDaS1Q_S1R_EUlS1Q_E_NS1_11comp_targetILNS1_3genE5ELNS1_11target_archE942ELNS1_3gpuE9ELNS1_3repE0EEENS1_30default_config_static_selectorELNS0_4arch9wavefront6targetE0EEEvS13_: ; @_ZN7rocprim17ROCPRIM_400000_NS6detail17trampoline_kernelINS0_13select_configILj256ELj13ELNS0_17block_load_methodE3ELS4_3ELS4_3ELNS0_20block_scan_algorithmE0ELj4294967295EEENS1_25partition_config_selectorILNS1_17partition_subalgoE4EjNS0_10empty_typeEbEEZZNS1_14partition_implILS8_4ELb0ES6_15HIP_vector_typeIjLj2EENS0_17counting_iteratorIjlEEPS9_SG_NS0_5tupleIJPjSI_NS0_16reverse_iteratorISI_EEEEENSH_IJSG_SG_SG_EEES9_SI_JZNS1_25segmented_radix_sort_implINS0_14default_configELb0EPK6__halfPSP_PKlPlN2at6native12_GLOBAL__N_18offset_tEEE10hipError_tPvRmT1_PNSt15iterator_traitsIS13_E10value_typeET2_T3_PNS14_IS19_E10value_typeET4_jRbjT5_S1F_jjP12ihipStream_tbEUljE_ZNSN_ISO_Lb0ESR_SS_SU_SV_SZ_EES10_S11_S12_S13_S17_S18_S19_S1C_S1D_jS1E_jS1F_S1F_jjS1H_bEUljE0_EEES10_S11_S12_S19_S1D_S1F_T6_T7_T9_mT8_S1H_bDpT10_ENKUlT_T0_E_clISt17integral_constantIbLb1EES1U_IbLb0EEEEDaS1Q_S1R_EUlS1Q_E_NS1_11comp_targetILNS1_3genE5ELNS1_11target_archE942ELNS1_3gpuE9ELNS1_3repE0EEENS1_30default_config_static_selectorELNS0_4arch9wavefront6targetE0EEEvS13_
; %bb.0:
	.section	.rodata,"a",@progbits
	.p2align	6, 0x0
	.amdhsa_kernel _ZN7rocprim17ROCPRIM_400000_NS6detail17trampoline_kernelINS0_13select_configILj256ELj13ELNS0_17block_load_methodE3ELS4_3ELS4_3ELNS0_20block_scan_algorithmE0ELj4294967295EEENS1_25partition_config_selectorILNS1_17partition_subalgoE4EjNS0_10empty_typeEbEEZZNS1_14partition_implILS8_4ELb0ES6_15HIP_vector_typeIjLj2EENS0_17counting_iteratorIjlEEPS9_SG_NS0_5tupleIJPjSI_NS0_16reverse_iteratorISI_EEEEENSH_IJSG_SG_SG_EEES9_SI_JZNS1_25segmented_radix_sort_implINS0_14default_configELb0EPK6__halfPSP_PKlPlN2at6native12_GLOBAL__N_18offset_tEEE10hipError_tPvRmT1_PNSt15iterator_traitsIS13_E10value_typeET2_T3_PNS14_IS19_E10value_typeET4_jRbjT5_S1F_jjP12ihipStream_tbEUljE_ZNSN_ISO_Lb0ESR_SS_SU_SV_SZ_EES10_S11_S12_S13_S17_S18_S19_S1C_S1D_jS1E_jS1F_S1F_jjS1H_bEUljE0_EEES10_S11_S12_S19_S1D_S1F_T6_T7_T9_mT8_S1H_bDpT10_ENKUlT_T0_E_clISt17integral_constantIbLb1EES1U_IbLb0EEEEDaS1Q_S1R_EUlS1Q_E_NS1_11comp_targetILNS1_3genE5ELNS1_11target_archE942ELNS1_3gpuE9ELNS1_3repE0EEENS1_30default_config_static_selectorELNS0_4arch9wavefront6targetE0EEEvS13_
		.amdhsa_group_segment_fixed_size 0
		.amdhsa_private_segment_fixed_size 0
		.amdhsa_kernarg_size 176
		.amdhsa_user_sgpr_count 6
		.amdhsa_user_sgpr_private_segment_buffer 1
		.amdhsa_user_sgpr_dispatch_ptr 0
		.amdhsa_user_sgpr_queue_ptr 0
		.amdhsa_user_sgpr_kernarg_segment_ptr 1
		.amdhsa_user_sgpr_dispatch_id 0
		.amdhsa_user_sgpr_flat_scratch_init 0
		.amdhsa_user_sgpr_private_segment_size 0
		.amdhsa_wavefront_size32 1
		.amdhsa_uses_dynamic_stack 0
		.amdhsa_system_sgpr_private_segment_wavefront_offset 0
		.amdhsa_system_sgpr_workgroup_id_x 1
		.amdhsa_system_sgpr_workgroup_id_y 0
		.amdhsa_system_sgpr_workgroup_id_z 0
		.amdhsa_system_sgpr_workgroup_info 0
		.amdhsa_system_vgpr_workitem_id 0
		.amdhsa_next_free_vgpr 1
		.amdhsa_next_free_sgpr 1
		.amdhsa_reserve_vcc 0
		.amdhsa_reserve_flat_scratch 0
		.amdhsa_float_round_mode_32 0
		.amdhsa_float_round_mode_16_64 0
		.amdhsa_float_denorm_mode_32 3
		.amdhsa_float_denorm_mode_16_64 3
		.amdhsa_dx10_clamp 1
		.amdhsa_ieee_mode 1
		.amdhsa_fp16_overflow 0
		.amdhsa_workgroup_processor_mode 1
		.amdhsa_memory_ordered 1
		.amdhsa_forward_progress 1
		.amdhsa_shared_vgpr_count 0
		.amdhsa_exception_fp_ieee_invalid_op 0
		.amdhsa_exception_fp_denorm_src 0
		.amdhsa_exception_fp_ieee_div_zero 0
		.amdhsa_exception_fp_ieee_overflow 0
		.amdhsa_exception_fp_ieee_underflow 0
		.amdhsa_exception_fp_ieee_inexact 0
		.amdhsa_exception_int_div_zero 0
	.end_amdhsa_kernel
	.section	.text._ZN7rocprim17ROCPRIM_400000_NS6detail17trampoline_kernelINS0_13select_configILj256ELj13ELNS0_17block_load_methodE3ELS4_3ELS4_3ELNS0_20block_scan_algorithmE0ELj4294967295EEENS1_25partition_config_selectorILNS1_17partition_subalgoE4EjNS0_10empty_typeEbEEZZNS1_14partition_implILS8_4ELb0ES6_15HIP_vector_typeIjLj2EENS0_17counting_iteratorIjlEEPS9_SG_NS0_5tupleIJPjSI_NS0_16reverse_iteratorISI_EEEEENSH_IJSG_SG_SG_EEES9_SI_JZNS1_25segmented_radix_sort_implINS0_14default_configELb0EPK6__halfPSP_PKlPlN2at6native12_GLOBAL__N_18offset_tEEE10hipError_tPvRmT1_PNSt15iterator_traitsIS13_E10value_typeET2_T3_PNS14_IS19_E10value_typeET4_jRbjT5_S1F_jjP12ihipStream_tbEUljE_ZNSN_ISO_Lb0ESR_SS_SU_SV_SZ_EES10_S11_S12_S13_S17_S18_S19_S1C_S1D_jS1E_jS1F_S1F_jjS1H_bEUljE0_EEES10_S11_S12_S19_S1D_S1F_T6_T7_T9_mT8_S1H_bDpT10_ENKUlT_T0_E_clISt17integral_constantIbLb1EES1U_IbLb0EEEEDaS1Q_S1R_EUlS1Q_E_NS1_11comp_targetILNS1_3genE5ELNS1_11target_archE942ELNS1_3gpuE9ELNS1_3repE0EEENS1_30default_config_static_selectorELNS0_4arch9wavefront6targetE0EEEvS13_,"axG",@progbits,_ZN7rocprim17ROCPRIM_400000_NS6detail17trampoline_kernelINS0_13select_configILj256ELj13ELNS0_17block_load_methodE3ELS4_3ELS4_3ELNS0_20block_scan_algorithmE0ELj4294967295EEENS1_25partition_config_selectorILNS1_17partition_subalgoE4EjNS0_10empty_typeEbEEZZNS1_14partition_implILS8_4ELb0ES6_15HIP_vector_typeIjLj2EENS0_17counting_iteratorIjlEEPS9_SG_NS0_5tupleIJPjSI_NS0_16reverse_iteratorISI_EEEEENSH_IJSG_SG_SG_EEES9_SI_JZNS1_25segmented_radix_sort_implINS0_14default_configELb0EPK6__halfPSP_PKlPlN2at6native12_GLOBAL__N_18offset_tEEE10hipError_tPvRmT1_PNSt15iterator_traitsIS13_E10value_typeET2_T3_PNS14_IS19_E10value_typeET4_jRbjT5_S1F_jjP12ihipStream_tbEUljE_ZNSN_ISO_Lb0ESR_SS_SU_SV_SZ_EES10_S11_S12_S13_S17_S18_S19_S1C_S1D_jS1E_jS1F_S1F_jjS1H_bEUljE0_EEES10_S11_S12_S19_S1D_S1F_T6_T7_T9_mT8_S1H_bDpT10_ENKUlT_T0_E_clISt17integral_constantIbLb1EES1U_IbLb0EEEEDaS1Q_S1R_EUlS1Q_E_NS1_11comp_targetILNS1_3genE5ELNS1_11target_archE942ELNS1_3gpuE9ELNS1_3repE0EEENS1_30default_config_static_selectorELNS0_4arch9wavefront6targetE0EEEvS13_,comdat
.Lfunc_end1785:
	.size	_ZN7rocprim17ROCPRIM_400000_NS6detail17trampoline_kernelINS0_13select_configILj256ELj13ELNS0_17block_load_methodE3ELS4_3ELS4_3ELNS0_20block_scan_algorithmE0ELj4294967295EEENS1_25partition_config_selectorILNS1_17partition_subalgoE4EjNS0_10empty_typeEbEEZZNS1_14partition_implILS8_4ELb0ES6_15HIP_vector_typeIjLj2EENS0_17counting_iteratorIjlEEPS9_SG_NS0_5tupleIJPjSI_NS0_16reverse_iteratorISI_EEEEENSH_IJSG_SG_SG_EEES9_SI_JZNS1_25segmented_radix_sort_implINS0_14default_configELb0EPK6__halfPSP_PKlPlN2at6native12_GLOBAL__N_18offset_tEEE10hipError_tPvRmT1_PNSt15iterator_traitsIS13_E10value_typeET2_T3_PNS14_IS19_E10value_typeET4_jRbjT5_S1F_jjP12ihipStream_tbEUljE_ZNSN_ISO_Lb0ESR_SS_SU_SV_SZ_EES10_S11_S12_S13_S17_S18_S19_S1C_S1D_jS1E_jS1F_S1F_jjS1H_bEUljE0_EEES10_S11_S12_S19_S1D_S1F_T6_T7_T9_mT8_S1H_bDpT10_ENKUlT_T0_E_clISt17integral_constantIbLb1EES1U_IbLb0EEEEDaS1Q_S1R_EUlS1Q_E_NS1_11comp_targetILNS1_3genE5ELNS1_11target_archE942ELNS1_3gpuE9ELNS1_3repE0EEENS1_30default_config_static_selectorELNS0_4arch9wavefront6targetE0EEEvS13_, .Lfunc_end1785-_ZN7rocprim17ROCPRIM_400000_NS6detail17trampoline_kernelINS0_13select_configILj256ELj13ELNS0_17block_load_methodE3ELS4_3ELS4_3ELNS0_20block_scan_algorithmE0ELj4294967295EEENS1_25partition_config_selectorILNS1_17partition_subalgoE4EjNS0_10empty_typeEbEEZZNS1_14partition_implILS8_4ELb0ES6_15HIP_vector_typeIjLj2EENS0_17counting_iteratorIjlEEPS9_SG_NS0_5tupleIJPjSI_NS0_16reverse_iteratorISI_EEEEENSH_IJSG_SG_SG_EEES9_SI_JZNS1_25segmented_radix_sort_implINS0_14default_configELb0EPK6__halfPSP_PKlPlN2at6native12_GLOBAL__N_18offset_tEEE10hipError_tPvRmT1_PNSt15iterator_traitsIS13_E10value_typeET2_T3_PNS14_IS19_E10value_typeET4_jRbjT5_S1F_jjP12ihipStream_tbEUljE_ZNSN_ISO_Lb0ESR_SS_SU_SV_SZ_EES10_S11_S12_S13_S17_S18_S19_S1C_S1D_jS1E_jS1F_S1F_jjS1H_bEUljE0_EEES10_S11_S12_S19_S1D_S1F_T6_T7_T9_mT8_S1H_bDpT10_ENKUlT_T0_E_clISt17integral_constantIbLb1EES1U_IbLb0EEEEDaS1Q_S1R_EUlS1Q_E_NS1_11comp_targetILNS1_3genE5ELNS1_11target_archE942ELNS1_3gpuE9ELNS1_3repE0EEENS1_30default_config_static_selectorELNS0_4arch9wavefront6targetE0EEEvS13_
                                        ; -- End function
	.set _ZN7rocprim17ROCPRIM_400000_NS6detail17trampoline_kernelINS0_13select_configILj256ELj13ELNS0_17block_load_methodE3ELS4_3ELS4_3ELNS0_20block_scan_algorithmE0ELj4294967295EEENS1_25partition_config_selectorILNS1_17partition_subalgoE4EjNS0_10empty_typeEbEEZZNS1_14partition_implILS8_4ELb0ES6_15HIP_vector_typeIjLj2EENS0_17counting_iteratorIjlEEPS9_SG_NS0_5tupleIJPjSI_NS0_16reverse_iteratorISI_EEEEENSH_IJSG_SG_SG_EEES9_SI_JZNS1_25segmented_radix_sort_implINS0_14default_configELb0EPK6__halfPSP_PKlPlN2at6native12_GLOBAL__N_18offset_tEEE10hipError_tPvRmT1_PNSt15iterator_traitsIS13_E10value_typeET2_T3_PNS14_IS19_E10value_typeET4_jRbjT5_S1F_jjP12ihipStream_tbEUljE_ZNSN_ISO_Lb0ESR_SS_SU_SV_SZ_EES10_S11_S12_S13_S17_S18_S19_S1C_S1D_jS1E_jS1F_S1F_jjS1H_bEUljE0_EEES10_S11_S12_S19_S1D_S1F_T6_T7_T9_mT8_S1H_bDpT10_ENKUlT_T0_E_clISt17integral_constantIbLb1EES1U_IbLb0EEEEDaS1Q_S1R_EUlS1Q_E_NS1_11comp_targetILNS1_3genE5ELNS1_11target_archE942ELNS1_3gpuE9ELNS1_3repE0EEENS1_30default_config_static_selectorELNS0_4arch9wavefront6targetE0EEEvS13_.num_vgpr, 0
	.set _ZN7rocprim17ROCPRIM_400000_NS6detail17trampoline_kernelINS0_13select_configILj256ELj13ELNS0_17block_load_methodE3ELS4_3ELS4_3ELNS0_20block_scan_algorithmE0ELj4294967295EEENS1_25partition_config_selectorILNS1_17partition_subalgoE4EjNS0_10empty_typeEbEEZZNS1_14partition_implILS8_4ELb0ES6_15HIP_vector_typeIjLj2EENS0_17counting_iteratorIjlEEPS9_SG_NS0_5tupleIJPjSI_NS0_16reverse_iteratorISI_EEEEENSH_IJSG_SG_SG_EEES9_SI_JZNS1_25segmented_radix_sort_implINS0_14default_configELb0EPK6__halfPSP_PKlPlN2at6native12_GLOBAL__N_18offset_tEEE10hipError_tPvRmT1_PNSt15iterator_traitsIS13_E10value_typeET2_T3_PNS14_IS19_E10value_typeET4_jRbjT5_S1F_jjP12ihipStream_tbEUljE_ZNSN_ISO_Lb0ESR_SS_SU_SV_SZ_EES10_S11_S12_S13_S17_S18_S19_S1C_S1D_jS1E_jS1F_S1F_jjS1H_bEUljE0_EEES10_S11_S12_S19_S1D_S1F_T6_T7_T9_mT8_S1H_bDpT10_ENKUlT_T0_E_clISt17integral_constantIbLb1EES1U_IbLb0EEEEDaS1Q_S1R_EUlS1Q_E_NS1_11comp_targetILNS1_3genE5ELNS1_11target_archE942ELNS1_3gpuE9ELNS1_3repE0EEENS1_30default_config_static_selectorELNS0_4arch9wavefront6targetE0EEEvS13_.num_agpr, 0
	.set _ZN7rocprim17ROCPRIM_400000_NS6detail17trampoline_kernelINS0_13select_configILj256ELj13ELNS0_17block_load_methodE3ELS4_3ELS4_3ELNS0_20block_scan_algorithmE0ELj4294967295EEENS1_25partition_config_selectorILNS1_17partition_subalgoE4EjNS0_10empty_typeEbEEZZNS1_14partition_implILS8_4ELb0ES6_15HIP_vector_typeIjLj2EENS0_17counting_iteratorIjlEEPS9_SG_NS0_5tupleIJPjSI_NS0_16reverse_iteratorISI_EEEEENSH_IJSG_SG_SG_EEES9_SI_JZNS1_25segmented_radix_sort_implINS0_14default_configELb0EPK6__halfPSP_PKlPlN2at6native12_GLOBAL__N_18offset_tEEE10hipError_tPvRmT1_PNSt15iterator_traitsIS13_E10value_typeET2_T3_PNS14_IS19_E10value_typeET4_jRbjT5_S1F_jjP12ihipStream_tbEUljE_ZNSN_ISO_Lb0ESR_SS_SU_SV_SZ_EES10_S11_S12_S13_S17_S18_S19_S1C_S1D_jS1E_jS1F_S1F_jjS1H_bEUljE0_EEES10_S11_S12_S19_S1D_S1F_T6_T7_T9_mT8_S1H_bDpT10_ENKUlT_T0_E_clISt17integral_constantIbLb1EES1U_IbLb0EEEEDaS1Q_S1R_EUlS1Q_E_NS1_11comp_targetILNS1_3genE5ELNS1_11target_archE942ELNS1_3gpuE9ELNS1_3repE0EEENS1_30default_config_static_selectorELNS0_4arch9wavefront6targetE0EEEvS13_.numbered_sgpr, 0
	.set _ZN7rocprim17ROCPRIM_400000_NS6detail17trampoline_kernelINS0_13select_configILj256ELj13ELNS0_17block_load_methodE3ELS4_3ELS4_3ELNS0_20block_scan_algorithmE0ELj4294967295EEENS1_25partition_config_selectorILNS1_17partition_subalgoE4EjNS0_10empty_typeEbEEZZNS1_14partition_implILS8_4ELb0ES6_15HIP_vector_typeIjLj2EENS0_17counting_iteratorIjlEEPS9_SG_NS0_5tupleIJPjSI_NS0_16reverse_iteratorISI_EEEEENSH_IJSG_SG_SG_EEES9_SI_JZNS1_25segmented_radix_sort_implINS0_14default_configELb0EPK6__halfPSP_PKlPlN2at6native12_GLOBAL__N_18offset_tEEE10hipError_tPvRmT1_PNSt15iterator_traitsIS13_E10value_typeET2_T3_PNS14_IS19_E10value_typeET4_jRbjT5_S1F_jjP12ihipStream_tbEUljE_ZNSN_ISO_Lb0ESR_SS_SU_SV_SZ_EES10_S11_S12_S13_S17_S18_S19_S1C_S1D_jS1E_jS1F_S1F_jjS1H_bEUljE0_EEES10_S11_S12_S19_S1D_S1F_T6_T7_T9_mT8_S1H_bDpT10_ENKUlT_T0_E_clISt17integral_constantIbLb1EES1U_IbLb0EEEEDaS1Q_S1R_EUlS1Q_E_NS1_11comp_targetILNS1_3genE5ELNS1_11target_archE942ELNS1_3gpuE9ELNS1_3repE0EEENS1_30default_config_static_selectorELNS0_4arch9wavefront6targetE0EEEvS13_.num_named_barrier, 0
	.set _ZN7rocprim17ROCPRIM_400000_NS6detail17trampoline_kernelINS0_13select_configILj256ELj13ELNS0_17block_load_methodE3ELS4_3ELS4_3ELNS0_20block_scan_algorithmE0ELj4294967295EEENS1_25partition_config_selectorILNS1_17partition_subalgoE4EjNS0_10empty_typeEbEEZZNS1_14partition_implILS8_4ELb0ES6_15HIP_vector_typeIjLj2EENS0_17counting_iteratorIjlEEPS9_SG_NS0_5tupleIJPjSI_NS0_16reverse_iteratorISI_EEEEENSH_IJSG_SG_SG_EEES9_SI_JZNS1_25segmented_radix_sort_implINS0_14default_configELb0EPK6__halfPSP_PKlPlN2at6native12_GLOBAL__N_18offset_tEEE10hipError_tPvRmT1_PNSt15iterator_traitsIS13_E10value_typeET2_T3_PNS14_IS19_E10value_typeET4_jRbjT5_S1F_jjP12ihipStream_tbEUljE_ZNSN_ISO_Lb0ESR_SS_SU_SV_SZ_EES10_S11_S12_S13_S17_S18_S19_S1C_S1D_jS1E_jS1F_S1F_jjS1H_bEUljE0_EEES10_S11_S12_S19_S1D_S1F_T6_T7_T9_mT8_S1H_bDpT10_ENKUlT_T0_E_clISt17integral_constantIbLb1EES1U_IbLb0EEEEDaS1Q_S1R_EUlS1Q_E_NS1_11comp_targetILNS1_3genE5ELNS1_11target_archE942ELNS1_3gpuE9ELNS1_3repE0EEENS1_30default_config_static_selectorELNS0_4arch9wavefront6targetE0EEEvS13_.private_seg_size, 0
	.set _ZN7rocprim17ROCPRIM_400000_NS6detail17trampoline_kernelINS0_13select_configILj256ELj13ELNS0_17block_load_methodE3ELS4_3ELS4_3ELNS0_20block_scan_algorithmE0ELj4294967295EEENS1_25partition_config_selectorILNS1_17partition_subalgoE4EjNS0_10empty_typeEbEEZZNS1_14partition_implILS8_4ELb0ES6_15HIP_vector_typeIjLj2EENS0_17counting_iteratorIjlEEPS9_SG_NS0_5tupleIJPjSI_NS0_16reverse_iteratorISI_EEEEENSH_IJSG_SG_SG_EEES9_SI_JZNS1_25segmented_radix_sort_implINS0_14default_configELb0EPK6__halfPSP_PKlPlN2at6native12_GLOBAL__N_18offset_tEEE10hipError_tPvRmT1_PNSt15iterator_traitsIS13_E10value_typeET2_T3_PNS14_IS19_E10value_typeET4_jRbjT5_S1F_jjP12ihipStream_tbEUljE_ZNSN_ISO_Lb0ESR_SS_SU_SV_SZ_EES10_S11_S12_S13_S17_S18_S19_S1C_S1D_jS1E_jS1F_S1F_jjS1H_bEUljE0_EEES10_S11_S12_S19_S1D_S1F_T6_T7_T9_mT8_S1H_bDpT10_ENKUlT_T0_E_clISt17integral_constantIbLb1EES1U_IbLb0EEEEDaS1Q_S1R_EUlS1Q_E_NS1_11comp_targetILNS1_3genE5ELNS1_11target_archE942ELNS1_3gpuE9ELNS1_3repE0EEENS1_30default_config_static_selectorELNS0_4arch9wavefront6targetE0EEEvS13_.uses_vcc, 0
	.set _ZN7rocprim17ROCPRIM_400000_NS6detail17trampoline_kernelINS0_13select_configILj256ELj13ELNS0_17block_load_methodE3ELS4_3ELS4_3ELNS0_20block_scan_algorithmE0ELj4294967295EEENS1_25partition_config_selectorILNS1_17partition_subalgoE4EjNS0_10empty_typeEbEEZZNS1_14partition_implILS8_4ELb0ES6_15HIP_vector_typeIjLj2EENS0_17counting_iteratorIjlEEPS9_SG_NS0_5tupleIJPjSI_NS0_16reverse_iteratorISI_EEEEENSH_IJSG_SG_SG_EEES9_SI_JZNS1_25segmented_radix_sort_implINS0_14default_configELb0EPK6__halfPSP_PKlPlN2at6native12_GLOBAL__N_18offset_tEEE10hipError_tPvRmT1_PNSt15iterator_traitsIS13_E10value_typeET2_T3_PNS14_IS19_E10value_typeET4_jRbjT5_S1F_jjP12ihipStream_tbEUljE_ZNSN_ISO_Lb0ESR_SS_SU_SV_SZ_EES10_S11_S12_S13_S17_S18_S19_S1C_S1D_jS1E_jS1F_S1F_jjS1H_bEUljE0_EEES10_S11_S12_S19_S1D_S1F_T6_T7_T9_mT8_S1H_bDpT10_ENKUlT_T0_E_clISt17integral_constantIbLb1EES1U_IbLb0EEEEDaS1Q_S1R_EUlS1Q_E_NS1_11comp_targetILNS1_3genE5ELNS1_11target_archE942ELNS1_3gpuE9ELNS1_3repE0EEENS1_30default_config_static_selectorELNS0_4arch9wavefront6targetE0EEEvS13_.uses_flat_scratch, 0
	.set _ZN7rocprim17ROCPRIM_400000_NS6detail17trampoline_kernelINS0_13select_configILj256ELj13ELNS0_17block_load_methodE3ELS4_3ELS4_3ELNS0_20block_scan_algorithmE0ELj4294967295EEENS1_25partition_config_selectorILNS1_17partition_subalgoE4EjNS0_10empty_typeEbEEZZNS1_14partition_implILS8_4ELb0ES6_15HIP_vector_typeIjLj2EENS0_17counting_iteratorIjlEEPS9_SG_NS0_5tupleIJPjSI_NS0_16reverse_iteratorISI_EEEEENSH_IJSG_SG_SG_EEES9_SI_JZNS1_25segmented_radix_sort_implINS0_14default_configELb0EPK6__halfPSP_PKlPlN2at6native12_GLOBAL__N_18offset_tEEE10hipError_tPvRmT1_PNSt15iterator_traitsIS13_E10value_typeET2_T3_PNS14_IS19_E10value_typeET4_jRbjT5_S1F_jjP12ihipStream_tbEUljE_ZNSN_ISO_Lb0ESR_SS_SU_SV_SZ_EES10_S11_S12_S13_S17_S18_S19_S1C_S1D_jS1E_jS1F_S1F_jjS1H_bEUljE0_EEES10_S11_S12_S19_S1D_S1F_T6_T7_T9_mT8_S1H_bDpT10_ENKUlT_T0_E_clISt17integral_constantIbLb1EES1U_IbLb0EEEEDaS1Q_S1R_EUlS1Q_E_NS1_11comp_targetILNS1_3genE5ELNS1_11target_archE942ELNS1_3gpuE9ELNS1_3repE0EEENS1_30default_config_static_selectorELNS0_4arch9wavefront6targetE0EEEvS13_.has_dyn_sized_stack, 0
	.set _ZN7rocprim17ROCPRIM_400000_NS6detail17trampoline_kernelINS0_13select_configILj256ELj13ELNS0_17block_load_methodE3ELS4_3ELS4_3ELNS0_20block_scan_algorithmE0ELj4294967295EEENS1_25partition_config_selectorILNS1_17partition_subalgoE4EjNS0_10empty_typeEbEEZZNS1_14partition_implILS8_4ELb0ES6_15HIP_vector_typeIjLj2EENS0_17counting_iteratorIjlEEPS9_SG_NS0_5tupleIJPjSI_NS0_16reverse_iteratorISI_EEEEENSH_IJSG_SG_SG_EEES9_SI_JZNS1_25segmented_radix_sort_implINS0_14default_configELb0EPK6__halfPSP_PKlPlN2at6native12_GLOBAL__N_18offset_tEEE10hipError_tPvRmT1_PNSt15iterator_traitsIS13_E10value_typeET2_T3_PNS14_IS19_E10value_typeET4_jRbjT5_S1F_jjP12ihipStream_tbEUljE_ZNSN_ISO_Lb0ESR_SS_SU_SV_SZ_EES10_S11_S12_S13_S17_S18_S19_S1C_S1D_jS1E_jS1F_S1F_jjS1H_bEUljE0_EEES10_S11_S12_S19_S1D_S1F_T6_T7_T9_mT8_S1H_bDpT10_ENKUlT_T0_E_clISt17integral_constantIbLb1EES1U_IbLb0EEEEDaS1Q_S1R_EUlS1Q_E_NS1_11comp_targetILNS1_3genE5ELNS1_11target_archE942ELNS1_3gpuE9ELNS1_3repE0EEENS1_30default_config_static_selectorELNS0_4arch9wavefront6targetE0EEEvS13_.has_recursion, 0
	.set _ZN7rocprim17ROCPRIM_400000_NS6detail17trampoline_kernelINS0_13select_configILj256ELj13ELNS0_17block_load_methodE3ELS4_3ELS4_3ELNS0_20block_scan_algorithmE0ELj4294967295EEENS1_25partition_config_selectorILNS1_17partition_subalgoE4EjNS0_10empty_typeEbEEZZNS1_14partition_implILS8_4ELb0ES6_15HIP_vector_typeIjLj2EENS0_17counting_iteratorIjlEEPS9_SG_NS0_5tupleIJPjSI_NS0_16reverse_iteratorISI_EEEEENSH_IJSG_SG_SG_EEES9_SI_JZNS1_25segmented_radix_sort_implINS0_14default_configELb0EPK6__halfPSP_PKlPlN2at6native12_GLOBAL__N_18offset_tEEE10hipError_tPvRmT1_PNSt15iterator_traitsIS13_E10value_typeET2_T3_PNS14_IS19_E10value_typeET4_jRbjT5_S1F_jjP12ihipStream_tbEUljE_ZNSN_ISO_Lb0ESR_SS_SU_SV_SZ_EES10_S11_S12_S13_S17_S18_S19_S1C_S1D_jS1E_jS1F_S1F_jjS1H_bEUljE0_EEES10_S11_S12_S19_S1D_S1F_T6_T7_T9_mT8_S1H_bDpT10_ENKUlT_T0_E_clISt17integral_constantIbLb1EES1U_IbLb0EEEEDaS1Q_S1R_EUlS1Q_E_NS1_11comp_targetILNS1_3genE5ELNS1_11target_archE942ELNS1_3gpuE9ELNS1_3repE0EEENS1_30default_config_static_selectorELNS0_4arch9wavefront6targetE0EEEvS13_.has_indirect_call, 0
	.section	.AMDGPU.csdata,"",@progbits
; Kernel info:
; codeLenInByte = 0
; TotalNumSgprs: 0
; NumVgprs: 0
; ScratchSize: 0
; MemoryBound: 0
; FloatMode: 240
; IeeeMode: 1
; LDSByteSize: 0 bytes/workgroup (compile time only)
; SGPRBlocks: 0
; VGPRBlocks: 0
; NumSGPRsForWavesPerEU: 1
; NumVGPRsForWavesPerEU: 1
; Occupancy: 16
; WaveLimiterHint : 0
; COMPUTE_PGM_RSRC2:SCRATCH_EN: 0
; COMPUTE_PGM_RSRC2:USER_SGPR: 6
; COMPUTE_PGM_RSRC2:TRAP_HANDLER: 0
; COMPUTE_PGM_RSRC2:TGID_X_EN: 1
; COMPUTE_PGM_RSRC2:TGID_Y_EN: 0
; COMPUTE_PGM_RSRC2:TGID_Z_EN: 0
; COMPUTE_PGM_RSRC2:TIDIG_COMP_CNT: 0
	.section	.text._ZN7rocprim17ROCPRIM_400000_NS6detail17trampoline_kernelINS0_13select_configILj256ELj13ELNS0_17block_load_methodE3ELS4_3ELS4_3ELNS0_20block_scan_algorithmE0ELj4294967295EEENS1_25partition_config_selectorILNS1_17partition_subalgoE4EjNS0_10empty_typeEbEEZZNS1_14partition_implILS8_4ELb0ES6_15HIP_vector_typeIjLj2EENS0_17counting_iteratorIjlEEPS9_SG_NS0_5tupleIJPjSI_NS0_16reverse_iteratorISI_EEEEENSH_IJSG_SG_SG_EEES9_SI_JZNS1_25segmented_radix_sort_implINS0_14default_configELb0EPK6__halfPSP_PKlPlN2at6native12_GLOBAL__N_18offset_tEEE10hipError_tPvRmT1_PNSt15iterator_traitsIS13_E10value_typeET2_T3_PNS14_IS19_E10value_typeET4_jRbjT5_S1F_jjP12ihipStream_tbEUljE_ZNSN_ISO_Lb0ESR_SS_SU_SV_SZ_EES10_S11_S12_S13_S17_S18_S19_S1C_S1D_jS1E_jS1F_S1F_jjS1H_bEUljE0_EEES10_S11_S12_S19_S1D_S1F_T6_T7_T9_mT8_S1H_bDpT10_ENKUlT_T0_E_clISt17integral_constantIbLb1EES1U_IbLb0EEEEDaS1Q_S1R_EUlS1Q_E_NS1_11comp_targetILNS1_3genE4ELNS1_11target_archE910ELNS1_3gpuE8ELNS1_3repE0EEENS1_30default_config_static_selectorELNS0_4arch9wavefront6targetE0EEEvS13_,"axG",@progbits,_ZN7rocprim17ROCPRIM_400000_NS6detail17trampoline_kernelINS0_13select_configILj256ELj13ELNS0_17block_load_methodE3ELS4_3ELS4_3ELNS0_20block_scan_algorithmE0ELj4294967295EEENS1_25partition_config_selectorILNS1_17partition_subalgoE4EjNS0_10empty_typeEbEEZZNS1_14partition_implILS8_4ELb0ES6_15HIP_vector_typeIjLj2EENS0_17counting_iteratorIjlEEPS9_SG_NS0_5tupleIJPjSI_NS0_16reverse_iteratorISI_EEEEENSH_IJSG_SG_SG_EEES9_SI_JZNS1_25segmented_radix_sort_implINS0_14default_configELb0EPK6__halfPSP_PKlPlN2at6native12_GLOBAL__N_18offset_tEEE10hipError_tPvRmT1_PNSt15iterator_traitsIS13_E10value_typeET2_T3_PNS14_IS19_E10value_typeET4_jRbjT5_S1F_jjP12ihipStream_tbEUljE_ZNSN_ISO_Lb0ESR_SS_SU_SV_SZ_EES10_S11_S12_S13_S17_S18_S19_S1C_S1D_jS1E_jS1F_S1F_jjS1H_bEUljE0_EEES10_S11_S12_S19_S1D_S1F_T6_T7_T9_mT8_S1H_bDpT10_ENKUlT_T0_E_clISt17integral_constantIbLb1EES1U_IbLb0EEEEDaS1Q_S1R_EUlS1Q_E_NS1_11comp_targetILNS1_3genE4ELNS1_11target_archE910ELNS1_3gpuE8ELNS1_3repE0EEENS1_30default_config_static_selectorELNS0_4arch9wavefront6targetE0EEEvS13_,comdat
	.globl	_ZN7rocprim17ROCPRIM_400000_NS6detail17trampoline_kernelINS0_13select_configILj256ELj13ELNS0_17block_load_methodE3ELS4_3ELS4_3ELNS0_20block_scan_algorithmE0ELj4294967295EEENS1_25partition_config_selectorILNS1_17partition_subalgoE4EjNS0_10empty_typeEbEEZZNS1_14partition_implILS8_4ELb0ES6_15HIP_vector_typeIjLj2EENS0_17counting_iteratorIjlEEPS9_SG_NS0_5tupleIJPjSI_NS0_16reverse_iteratorISI_EEEEENSH_IJSG_SG_SG_EEES9_SI_JZNS1_25segmented_radix_sort_implINS0_14default_configELb0EPK6__halfPSP_PKlPlN2at6native12_GLOBAL__N_18offset_tEEE10hipError_tPvRmT1_PNSt15iterator_traitsIS13_E10value_typeET2_T3_PNS14_IS19_E10value_typeET4_jRbjT5_S1F_jjP12ihipStream_tbEUljE_ZNSN_ISO_Lb0ESR_SS_SU_SV_SZ_EES10_S11_S12_S13_S17_S18_S19_S1C_S1D_jS1E_jS1F_S1F_jjS1H_bEUljE0_EEES10_S11_S12_S19_S1D_S1F_T6_T7_T9_mT8_S1H_bDpT10_ENKUlT_T0_E_clISt17integral_constantIbLb1EES1U_IbLb0EEEEDaS1Q_S1R_EUlS1Q_E_NS1_11comp_targetILNS1_3genE4ELNS1_11target_archE910ELNS1_3gpuE8ELNS1_3repE0EEENS1_30default_config_static_selectorELNS0_4arch9wavefront6targetE0EEEvS13_ ; -- Begin function _ZN7rocprim17ROCPRIM_400000_NS6detail17trampoline_kernelINS0_13select_configILj256ELj13ELNS0_17block_load_methodE3ELS4_3ELS4_3ELNS0_20block_scan_algorithmE0ELj4294967295EEENS1_25partition_config_selectorILNS1_17partition_subalgoE4EjNS0_10empty_typeEbEEZZNS1_14partition_implILS8_4ELb0ES6_15HIP_vector_typeIjLj2EENS0_17counting_iteratorIjlEEPS9_SG_NS0_5tupleIJPjSI_NS0_16reverse_iteratorISI_EEEEENSH_IJSG_SG_SG_EEES9_SI_JZNS1_25segmented_radix_sort_implINS0_14default_configELb0EPK6__halfPSP_PKlPlN2at6native12_GLOBAL__N_18offset_tEEE10hipError_tPvRmT1_PNSt15iterator_traitsIS13_E10value_typeET2_T3_PNS14_IS19_E10value_typeET4_jRbjT5_S1F_jjP12ihipStream_tbEUljE_ZNSN_ISO_Lb0ESR_SS_SU_SV_SZ_EES10_S11_S12_S13_S17_S18_S19_S1C_S1D_jS1E_jS1F_S1F_jjS1H_bEUljE0_EEES10_S11_S12_S19_S1D_S1F_T6_T7_T9_mT8_S1H_bDpT10_ENKUlT_T0_E_clISt17integral_constantIbLb1EES1U_IbLb0EEEEDaS1Q_S1R_EUlS1Q_E_NS1_11comp_targetILNS1_3genE4ELNS1_11target_archE910ELNS1_3gpuE8ELNS1_3repE0EEENS1_30default_config_static_selectorELNS0_4arch9wavefront6targetE0EEEvS13_
	.p2align	8
	.type	_ZN7rocprim17ROCPRIM_400000_NS6detail17trampoline_kernelINS0_13select_configILj256ELj13ELNS0_17block_load_methodE3ELS4_3ELS4_3ELNS0_20block_scan_algorithmE0ELj4294967295EEENS1_25partition_config_selectorILNS1_17partition_subalgoE4EjNS0_10empty_typeEbEEZZNS1_14partition_implILS8_4ELb0ES6_15HIP_vector_typeIjLj2EENS0_17counting_iteratorIjlEEPS9_SG_NS0_5tupleIJPjSI_NS0_16reverse_iteratorISI_EEEEENSH_IJSG_SG_SG_EEES9_SI_JZNS1_25segmented_radix_sort_implINS0_14default_configELb0EPK6__halfPSP_PKlPlN2at6native12_GLOBAL__N_18offset_tEEE10hipError_tPvRmT1_PNSt15iterator_traitsIS13_E10value_typeET2_T3_PNS14_IS19_E10value_typeET4_jRbjT5_S1F_jjP12ihipStream_tbEUljE_ZNSN_ISO_Lb0ESR_SS_SU_SV_SZ_EES10_S11_S12_S13_S17_S18_S19_S1C_S1D_jS1E_jS1F_S1F_jjS1H_bEUljE0_EEES10_S11_S12_S19_S1D_S1F_T6_T7_T9_mT8_S1H_bDpT10_ENKUlT_T0_E_clISt17integral_constantIbLb1EES1U_IbLb0EEEEDaS1Q_S1R_EUlS1Q_E_NS1_11comp_targetILNS1_3genE4ELNS1_11target_archE910ELNS1_3gpuE8ELNS1_3repE0EEENS1_30default_config_static_selectorELNS0_4arch9wavefront6targetE0EEEvS13_,@function
_ZN7rocprim17ROCPRIM_400000_NS6detail17trampoline_kernelINS0_13select_configILj256ELj13ELNS0_17block_load_methodE3ELS4_3ELS4_3ELNS0_20block_scan_algorithmE0ELj4294967295EEENS1_25partition_config_selectorILNS1_17partition_subalgoE4EjNS0_10empty_typeEbEEZZNS1_14partition_implILS8_4ELb0ES6_15HIP_vector_typeIjLj2EENS0_17counting_iteratorIjlEEPS9_SG_NS0_5tupleIJPjSI_NS0_16reverse_iteratorISI_EEEEENSH_IJSG_SG_SG_EEES9_SI_JZNS1_25segmented_radix_sort_implINS0_14default_configELb0EPK6__halfPSP_PKlPlN2at6native12_GLOBAL__N_18offset_tEEE10hipError_tPvRmT1_PNSt15iterator_traitsIS13_E10value_typeET2_T3_PNS14_IS19_E10value_typeET4_jRbjT5_S1F_jjP12ihipStream_tbEUljE_ZNSN_ISO_Lb0ESR_SS_SU_SV_SZ_EES10_S11_S12_S13_S17_S18_S19_S1C_S1D_jS1E_jS1F_S1F_jjS1H_bEUljE0_EEES10_S11_S12_S19_S1D_S1F_T6_T7_T9_mT8_S1H_bDpT10_ENKUlT_T0_E_clISt17integral_constantIbLb1EES1U_IbLb0EEEEDaS1Q_S1R_EUlS1Q_E_NS1_11comp_targetILNS1_3genE4ELNS1_11target_archE910ELNS1_3gpuE8ELNS1_3repE0EEENS1_30default_config_static_selectorELNS0_4arch9wavefront6targetE0EEEvS13_: ; @_ZN7rocprim17ROCPRIM_400000_NS6detail17trampoline_kernelINS0_13select_configILj256ELj13ELNS0_17block_load_methodE3ELS4_3ELS4_3ELNS0_20block_scan_algorithmE0ELj4294967295EEENS1_25partition_config_selectorILNS1_17partition_subalgoE4EjNS0_10empty_typeEbEEZZNS1_14partition_implILS8_4ELb0ES6_15HIP_vector_typeIjLj2EENS0_17counting_iteratorIjlEEPS9_SG_NS0_5tupleIJPjSI_NS0_16reverse_iteratorISI_EEEEENSH_IJSG_SG_SG_EEES9_SI_JZNS1_25segmented_radix_sort_implINS0_14default_configELb0EPK6__halfPSP_PKlPlN2at6native12_GLOBAL__N_18offset_tEEE10hipError_tPvRmT1_PNSt15iterator_traitsIS13_E10value_typeET2_T3_PNS14_IS19_E10value_typeET4_jRbjT5_S1F_jjP12ihipStream_tbEUljE_ZNSN_ISO_Lb0ESR_SS_SU_SV_SZ_EES10_S11_S12_S13_S17_S18_S19_S1C_S1D_jS1E_jS1F_S1F_jjS1H_bEUljE0_EEES10_S11_S12_S19_S1D_S1F_T6_T7_T9_mT8_S1H_bDpT10_ENKUlT_T0_E_clISt17integral_constantIbLb1EES1U_IbLb0EEEEDaS1Q_S1R_EUlS1Q_E_NS1_11comp_targetILNS1_3genE4ELNS1_11target_archE910ELNS1_3gpuE8ELNS1_3repE0EEENS1_30default_config_static_selectorELNS0_4arch9wavefront6targetE0EEEvS13_
; %bb.0:
	.section	.rodata,"a",@progbits
	.p2align	6, 0x0
	.amdhsa_kernel _ZN7rocprim17ROCPRIM_400000_NS6detail17trampoline_kernelINS0_13select_configILj256ELj13ELNS0_17block_load_methodE3ELS4_3ELS4_3ELNS0_20block_scan_algorithmE0ELj4294967295EEENS1_25partition_config_selectorILNS1_17partition_subalgoE4EjNS0_10empty_typeEbEEZZNS1_14partition_implILS8_4ELb0ES6_15HIP_vector_typeIjLj2EENS0_17counting_iteratorIjlEEPS9_SG_NS0_5tupleIJPjSI_NS0_16reverse_iteratorISI_EEEEENSH_IJSG_SG_SG_EEES9_SI_JZNS1_25segmented_radix_sort_implINS0_14default_configELb0EPK6__halfPSP_PKlPlN2at6native12_GLOBAL__N_18offset_tEEE10hipError_tPvRmT1_PNSt15iterator_traitsIS13_E10value_typeET2_T3_PNS14_IS19_E10value_typeET4_jRbjT5_S1F_jjP12ihipStream_tbEUljE_ZNSN_ISO_Lb0ESR_SS_SU_SV_SZ_EES10_S11_S12_S13_S17_S18_S19_S1C_S1D_jS1E_jS1F_S1F_jjS1H_bEUljE0_EEES10_S11_S12_S19_S1D_S1F_T6_T7_T9_mT8_S1H_bDpT10_ENKUlT_T0_E_clISt17integral_constantIbLb1EES1U_IbLb0EEEEDaS1Q_S1R_EUlS1Q_E_NS1_11comp_targetILNS1_3genE4ELNS1_11target_archE910ELNS1_3gpuE8ELNS1_3repE0EEENS1_30default_config_static_selectorELNS0_4arch9wavefront6targetE0EEEvS13_
		.amdhsa_group_segment_fixed_size 0
		.amdhsa_private_segment_fixed_size 0
		.amdhsa_kernarg_size 176
		.amdhsa_user_sgpr_count 6
		.amdhsa_user_sgpr_private_segment_buffer 1
		.amdhsa_user_sgpr_dispatch_ptr 0
		.amdhsa_user_sgpr_queue_ptr 0
		.amdhsa_user_sgpr_kernarg_segment_ptr 1
		.amdhsa_user_sgpr_dispatch_id 0
		.amdhsa_user_sgpr_flat_scratch_init 0
		.amdhsa_user_sgpr_private_segment_size 0
		.amdhsa_wavefront_size32 1
		.amdhsa_uses_dynamic_stack 0
		.amdhsa_system_sgpr_private_segment_wavefront_offset 0
		.amdhsa_system_sgpr_workgroup_id_x 1
		.amdhsa_system_sgpr_workgroup_id_y 0
		.amdhsa_system_sgpr_workgroup_id_z 0
		.amdhsa_system_sgpr_workgroup_info 0
		.amdhsa_system_vgpr_workitem_id 0
		.amdhsa_next_free_vgpr 1
		.amdhsa_next_free_sgpr 1
		.amdhsa_reserve_vcc 0
		.amdhsa_reserve_flat_scratch 0
		.amdhsa_float_round_mode_32 0
		.amdhsa_float_round_mode_16_64 0
		.amdhsa_float_denorm_mode_32 3
		.amdhsa_float_denorm_mode_16_64 3
		.amdhsa_dx10_clamp 1
		.amdhsa_ieee_mode 1
		.amdhsa_fp16_overflow 0
		.amdhsa_workgroup_processor_mode 1
		.amdhsa_memory_ordered 1
		.amdhsa_forward_progress 1
		.amdhsa_shared_vgpr_count 0
		.amdhsa_exception_fp_ieee_invalid_op 0
		.amdhsa_exception_fp_denorm_src 0
		.amdhsa_exception_fp_ieee_div_zero 0
		.amdhsa_exception_fp_ieee_overflow 0
		.amdhsa_exception_fp_ieee_underflow 0
		.amdhsa_exception_fp_ieee_inexact 0
		.amdhsa_exception_int_div_zero 0
	.end_amdhsa_kernel
	.section	.text._ZN7rocprim17ROCPRIM_400000_NS6detail17trampoline_kernelINS0_13select_configILj256ELj13ELNS0_17block_load_methodE3ELS4_3ELS4_3ELNS0_20block_scan_algorithmE0ELj4294967295EEENS1_25partition_config_selectorILNS1_17partition_subalgoE4EjNS0_10empty_typeEbEEZZNS1_14partition_implILS8_4ELb0ES6_15HIP_vector_typeIjLj2EENS0_17counting_iteratorIjlEEPS9_SG_NS0_5tupleIJPjSI_NS0_16reverse_iteratorISI_EEEEENSH_IJSG_SG_SG_EEES9_SI_JZNS1_25segmented_radix_sort_implINS0_14default_configELb0EPK6__halfPSP_PKlPlN2at6native12_GLOBAL__N_18offset_tEEE10hipError_tPvRmT1_PNSt15iterator_traitsIS13_E10value_typeET2_T3_PNS14_IS19_E10value_typeET4_jRbjT5_S1F_jjP12ihipStream_tbEUljE_ZNSN_ISO_Lb0ESR_SS_SU_SV_SZ_EES10_S11_S12_S13_S17_S18_S19_S1C_S1D_jS1E_jS1F_S1F_jjS1H_bEUljE0_EEES10_S11_S12_S19_S1D_S1F_T6_T7_T9_mT8_S1H_bDpT10_ENKUlT_T0_E_clISt17integral_constantIbLb1EES1U_IbLb0EEEEDaS1Q_S1R_EUlS1Q_E_NS1_11comp_targetILNS1_3genE4ELNS1_11target_archE910ELNS1_3gpuE8ELNS1_3repE0EEENS1_30default_config_static_selectorELNS0_4arch9wavefront6targetE0EEEvS13_,"axG",@progbits,_ZN7rocprim17ROCPRIM_400000_NS6detail17trampoline_kernelINS0_13select_configILj256ELj13ELNS0_17block_load_methodE3ELS4_3ELS4_3ELNS0_20block_scan_algorithmE0ELj4294967295EEENS1_25partition_config_selectorILNS1_17partition_subalgoE4EjNS0_10empty_typeEbEEZZNS1_14partition_implILS8_4ELb0ES6_15HIP_vector_typeIjLj2EENS0_17counting_iteratorIjlEEPS9_SG_NS0_5tupleIJPjSI_NS0_16reverse_iteratorISI_EEEEENSH_IJSG_SG_SG_EEES9_SI_JZNS1_25segmented_radix_sort_implINS0_14default_configELb0EPK6__halfPSP_PKlPlN2at6native12_GLOBAL__N_18offset_tEEE10hipError_tPvRmT1_PNSt15iterator_traitsIS13_E10value_typeET2_T3_PNS14_IS19_E10value_typeET4_jRbjT5_S1F_jjP12ihipStream_tbEUljE_ZNSN_ISO_Lb0ESR_SS_SU_SV_SZ_EES10_S11_S12_S13_S17_S18_S19_S1C_S1D_jS1E_jS1F_S1F_jjS1H_bEUljE0_EEES10_S11_S12_S19_S1D_S1F_T6_T7_T9_mT8_S1H_bDpT10_ENKUlT_T0_E_clISt17integral_constantIbLb1EES1U_IbLb0EEEEDaS1Q_S1R_EUlS1Q_E_NS1_11comp_targetILNS1_3genE4ELNS1_11target_archE910ELNS1_3gpuE8ELNS1_3repE0EEENS1_30default_config_static_selectorELNS0_4arch9wavefront6targetE0EEEvS13_,comdat
.Lfunc_end1786:
	.size	_ZN7rocprim17ROCPRIM_400000_NS6detail17trampoline_kernelINS0_13select_configILj256ELj13ELNS0_17block_load_methodE3ELS4_3ELS4_3ELNS0_20block_scan_algorithmE0ELj4294967295EEENS1_25partition_config_selectorILNS1_17partition_subalgoE4EjNS0_10empty_typeEbEEZZNS1_14partition_implILS8_4ELb0ES6_15HIP_vector_typeIjLj2EENS0_17counting_iteratorIjlEEPS9_SG_NS0_5tupleIJPjSI_NS0_16reverse_iteratorISI_EEEEENSH_IJSG_SG_SG_EEES9_SI_JZNS1_25segmented_radix_sort_implINS0_14default_configELb0EPK6__halfPSP_PKlPlN2at6native12_GLOBAL__N_18offset_tEEE10hipError_tPvRmT1_PNSt15iterator_traitsIS13_E10value_typeET2_T3_PNS14_IS19_E10value_typeET4_jRbjT5_S1F_jjP12ihipStream_tbEUljE_ZNSN_ISO_Lb0ESR_SS_SU_SV_SZ_EES10_S11_S12_S13_S17_S18_S19_S1C_S1D_jS1E_jS1F_S1F_jjS1H_bEUljE0_EEES10_S11_S12_S19_S1D_S1F_T6_T7_T9_mT8_S1H_bDpT10_ENKUlT_T0_E_clISt17integral_constantIbLb1EES1U_IbLb0EEEEDaS1Q_S1R_EUlS1Q_E_NS1_11comp_targetILNS1_3genE4ELNS1_11target_archE910ELNS1_3gpuE8ELNS1_3repE0EEENS1_30default_config_static_selectorELNS0_4arch9wavefront6targetE0EEEvS13_, .Lfunc_end1786-_ZN7rocprim17ROCPRIM_400000_NS6detail17trampoline_kernelINS0_13select_configILj256ELj13ELNS0_17block_load_methodE3ELS4_3ELS4_3ELNS0_20block_scan_algorithmE0ELj4294967295EEENS1_25partition_config_selectorILNS1_17partition_subalgoE4EjNS0_10empty_typeEbEEZZNS1_14partition_implILS8_4ELb0ES6_15HIP_vector_typeIjLj2EENS0_17counting_iteratorIjlEEPS9_SG_NS0_5tupleIJPjSI_NS0_16reverse_iteratorISI_EEEEENSH_IJSG_SG_SG_EEES9_SI_JZNS1_25segmented_radix_sort_implINS0_14default_configELb0EPK6__halfPSP_PKlPlN2at6native12_GLOBAL__N_18offset_tEEE10hipError_tPvRmT1_PNSt15iterator_traitsIS13_E10value_typeET2_T3_PNS14_IS19_E10value_typeET4_jRbjT5_S1F_jjP12ihipStream_tbEUljE_ZNSN_ISO_Lb0ESR_SS_SU_SV_SZ_EES10_S11_S12_S13_S17_S18_S19_S1C_S1D_jS1E_jS1F_S1F_jjS1H_bEUljE0_EEES10_S11_S12_S19_S1D_S1F_T6_T7_T9_mT8_S1H_bDpT10_ENKUlT_T0_E_clISt17integral_constantIbLb1EES1U_IbLb0EEEEDaS1Q_S1R_EUlS1Q_E_NS1_11comp_targetILNS1_3genE4ELNS1_11target_archE910ELNS1_3gpuE8ELNS1_3repE0EEENS1_30default_config_static_selectorELNS0_4arch9wavefront6targetE0EEEvS13_
                                        ; -- End function
	.set _ZN7rocprim17ROCPRIM_400000_NS6detail17trampoline_kernelINS0_13select_configILj256ELj13ELNS0_17block_load_methodE3ELS4_3ELS4_3ELNS0_20block_scan_algorithmE0ELj4294967295EEENS1_25partition_config_selectorILNS1_17partition_subalgoE4EjNS0_10empty_typeEbEEZZNS1_14partition_implILS8_4ELb0ES6_15HIP_vector_typeIjLj2EENS0_17counting_iteratorIjlEEPS9_SG_NS0_5tupleIJPjSI_NS0_16reverse_iteratorISI_EEEEENSH_IJSG_SG_SG_EEES9_SI_JZNS1_25segmented_radix_sort_implINS0_14default_configELb0EPK6__halfPSP_PKlPlN2at6native12_GLOBAL__N_18offset_tEEE10hipError_tPvRmT1_PNSt15iterator_traitsIS13_E10value_typeET2_T3_PNS14_IS19_E10value_typeET4_jRbjT5_S1F_jjP12ihipStream_tbEUljE_ZNSN_ISO_Lb0ESR_SS_SU_SV_SZ_EES10_S11_S12_S13_S17_S18_S19_S1C_S1D_jS1E_jS1F_S1F_jjS1H_bEUljE0_EEES10_S11_S12_S19_S1D_S1F_T6_T7_T9_mT8_S1H_bDpT10_ENKUlT_T0_E_clISt17integral_constantIbLb1EES1U_IbLb0EEEEDaS1Q_S1R_EUlS1Q_E_NS1_11comp_targetILNS1_3genE4ELNS1_11target_archE910ELNS1_3gpuE8ELNS1_3repE0EEENS1_30default_config_static_selectorELNS0_4arch9wavefront6targetE0EEEvS13_.num_vgpr, 0
	.set _ZN7rocprim17ROCPRIM_400000_NS6detail17trampoline_kernelINS0_13select_configILj256ELj13ELNS0_17block_load_methodE3ELS4_3ELS4_3ELNS0_20block_scan_algorithmE0ELj4294967295EEENS1_25partition_config_selectorILNS1_17partition_subalgoE4EjNS0_10empty_typeEbEEZZNS1_14partition_implILS8_4ELb0ES6_15HIP_vector_typeIjLj2EENS0_17counting_iteratorIjlEEPS9_SG_NS0_5tupleIJPjSI_NS0_16reverse_iteratorISI_EEEEENSH_IJSG_SG_SG_EEES9_SI_JZNS1_25segmented_radix_sort_implINS0_14default_configELb0EPK6__halfPSP_PKlPlN2at6native12_GLOBAL__N_18offset_tEEE10hipError_tPvRmT1_PNSt15iterator_traitsIS13_E10value_typeET2_T3_PNS14_IS19_E10value_typeET4_jRbjT5_S1F_jjP12ihipStream_tbEUljE_ZNSN_ISO_Lb0ESR_SS_SU_SV_SZ_EES10_S11_S12_S13_S17_S18_S19_S1C_S1D_jS1E_jS1F_S1F_jjS1H_bEUljE0_EEES10_S11_S12_S19_S1D_S1F_T6_T7_T9_mT8_S1H_bDpT10_ENKUlT_T0_E_clISt17integral_constantIbLb1EES1U_IbLb0EEEEDaS1Q_S1R_EUlS1Q_E_NS1_11comp_targetILNS1_3genE4ELNS1_11target_archE910ELNS1_3gpuE8ELNS1_3repE0EEENS1_30default_config_static_selectorELNS0_4arch9wavefront6targetE0EEEvS13_.num_agpr, 0
	.set _ZN7rocprim17ROCPRIM_400000_NS6detail17trampoline_kernelINS0_13select_configILj256ELj13ELNS0_17block_load_methodE3ELS4_3ELS4_3ELNS0_20block_scan_algorithmE0ELj4294967295EEENS1_25partition_config_selectorILNS1_17partition_subalgoE4EjNS0_10empty_typeEbEEZZNS1_14partition_implILS8_4ELb0ES6_15HIP_vector_typeIjLj2EENS0_17counting_iteratorIjlEEPS9_SG_NS0_5tupleIJPjSI_NS0_16reverse_iteratorISI_EEEEENSH_IJSG_SG_SG_EEES9_SI_JZNS1_25segmented_radix_sort_implINS0_14default_configELb0EPK6__halfPSP_PKlPlN2at6native12_GLOBAL__N_18offset_tEEE10hipError_tPvRmT1_PNSt15iterator_traitsIS13_E10value_typeET2_T3_PNS14_IS19_E10value_typeET4_jRbjT5_S1F_jjP12ihipStream_tbEUljE_ZNSN_ISO_Lb0ESR_SS_SU_SV_SZ_EES10_S11_S12_S13_S17_S18_S19_S1C_S1D_jS1E_jS1F_S1F_jjS1H_bEUljE0_EEES10_S11_S12_S19_S1D_S1F_T6_T7_T9_mT8_S1H_bDpT10_ENKUlT_T0_E_clISt17integral_constantIbLb1EES1U_IbLb0EEEEDaS1Q_S1R_EUlS1Q_E_NS1_11comp_targetILNS1_3genE4ELNS1_11target_archE910ELNS1_3gpuE8ELNS1_3repE0EEENS1_30default_config_static_selectorELNS0_4arch9wavefront6targetE0EEEvS13_.numbered_sgpr, 0
	.set _ZN7rocprim17ROCPRIM_400000_NS6detail17trampoline_kernelINS0_13select_configILj256ELj13ELNS0_17block_load_methodE3ELS4_3ELS4_3ELNS0_20block_scan_algorithmE0ELj4294967295EEENS1_25partition_config_selectorILNS1_17partition_subalgoE4EjNS0_10empty_typeEbEEZZNS1_14partition_implILS8_4ELb0ES6_15HIP_vector_typeIjLj2EENS0_17counting_iteratorIjlEEPS9_SG_NS0_5tupleIJPjSI_NS0_16reverse_iteratorISI_EEEEENSH_IJSG_SG_SG_EEES9_SI_JZNS1_25segmented_radix_sort_implINS0_14default_configELb0EPK6__halfPSP_PKlPlN2at6native12_GLOBAL__N_18offset_tEEE10hipError_tPvRmT1_PNSt15iterator_traitsIS13_E10value_typeET2_T3_PNS14_IS19_E10value_typeET4_jRbjT5_S1F_jjP12ihipStream_tbEUljE_ZNSN_ISO_Lb0ESR_SS_SU_SV_SZ_EES10_S11_S12_S13_S17_S18_S19_S1C_S1D_jS1E_jS1F_S1F_jjS1H_bEUljE0_EEES10_S11_S12_S19_S1D_S1F_T6_T7_T9_mT8_S1H_bDpT10_ENKUlT_T0_E_clISt17integral_constantIbLb1EES1U_IbLb0EEEEDaS1Q_S1R_EUlS1Q_E_NS1_11comp_targetILNS1_3genE4ELNS1_11target_archE910ELNS1_3gpuE8ELNS1_3repE0EEENS1_30default_config_static_selectorELNS0_4arch9wavefront6targetE0EEEvS13_.num_named_barrier, 0
	.set _ZN7rocprim17ROCPRIM_400000_NS6detail17trampoline_kernelINS0_13select_configILj256ELj13ELNS0_17block_load_methodE3ELS4_3ELS4_3ELNS0_20block_scan_algorithmE0ELj4294967295EEENS1_25partition_config_selectorILNS1_17partition_subalgoE4EjNS0_10empty_typeEbEEZZNS1_14partition_implILS8_4ELb0ES6_15HIP_vector_typeIjLj2EENS0_17counting_iteratorIjlEEPS9_SG_NS0_5tupleIJPjSI_NS0_16reverse_iteratorISI_EEEEENSH_IJSG_SG_SG_EEES9_SI_JZNS1_25segmented_radix_sort_implINS0_14default_configELb0EPK6__halfPSP_PKlPlN2at6native12_GLOBAL__N_18offset_tEEE10hipError_tPvRmT1_PNSt15iterator_traitsIS13_E10value_typeET2_T3_PNS14_IS19_E10value_typeET4_jRbjT5_S1F_jjP12ihipStream_tbEUljE_ZNSN_ISO_Lb0ESR_SS_SU_SV_SZ_EES10_S11_S12_S13_S17_S18_S19_S1C_S1D_jS1E_jS1F_S1F_jjS1H_bEUljE0_EEES10_S11_S12_S19_S1D_S1F_T6_T7_T9_mT8_S1H_bDpT10_ENKUlT_T0_E_clISt17integral_constantIbLb1EES1U_IbLb0EEEEDaS1Q_S1R_EUlS1Q_E_NS1_11comp_targetILNS1_3genE4ELNS1_11target_archE910ELNS1_3gpuE8ELNS1_3repE0EEENS1_30default_config_static_selectorELNS0_4arch9wavefront6targetE0EEEvS13_.private_seg_size, 0
	.set _ZN7rocprim17ROCPRIM_400000_NS6detail17trampoline_kernelINS0_13select_configILj256ELj13ELNS0_17block_load_methodE3ELS4_3ELS4_3ELNS0_20block_scan_algorithmE0ELj4294967295EEENS1_25partition_config_selectorILNS1_17partition_subalgoE4EjNS0_10empty_typeEbEEZZNS1_14partition_implILS8_4ELb0ES6_15HIP_vector_typeIjLj2EENS0_17counting_iteratorIjlEEPS9_SG_NS0_5tupleIJPjSI_NS0_16reverse_iteratorISI_EEEEENSH_IJSG_SG_SG_EEES9_SI_JZNS1_25segmented_radix_sort_implINS0_14default_configELb0EPK6__halfPSP_PKlPlN2at6native12_GLOBAL__N_18offset_tEEE10hipError_tPvRmT1_PNSt15iterator_traitsIS13_E10value_typeET2_T3_PNS14_IS19_E10value_typeET4_jRbjT5_S1F_jjP12ihipStream_tbEUljE_ZNSN_ISO_Lb0ESR_SS_SU_SV_SZ_EES10_S11_S12_S13_S17_S18_S19_S1C_S1D_jS1E_jS1F_S1F_jjS1H_bEUljE0_EEES10_S11_S12_S19_S1D_S1F_T6_T7_T9_mT8_S1H_bDpT10_ENKUlT_T0_E_clISt17integral_constantIbLb1EES1U_IbLb0EEEEDaS1Q_S1R_EUlS1Q_E_NS1_11comp_targetILNS1_3genE4ELNS1_11target_archE910ELNS1_3gpuE8ELNS1_3repE0EEENS1_30default_config_static_selectorELNS0_4arch9wavefront6targetE0EEEvS13_.uses_vcc, 0
	.set _ZN7rocprim17ROCPRIM_400000_NS6detail17trampoline_kernelINS0_13select_configILj256ELj13ELNS0_17block_load_methodE3ELS4_3ELS4_3ELNS0_20block_scan_algorithmE0ELj4294967295EEENS1_25partition_config_selectorILNS1_17partition_subalgoE4EjNS0_10empty_typeEbEEZZNS1_14partition_implILS8_4ELb0ES6_15HIP_vector_typeIjLj2EENS0_17counting_iteratorIjlEEPS9_SG_NS0_5tupleIJPjSI_NS0_16reverse_iteratorISI_EEEEENSH_IJSG_SG_SG_EEES9_SI_JZNS1_25segmented_radix_sort_implINS0_14default_configELb0EPK6__halfPSP_PKlPlN2at6native12_GLOBAL__N_18offset_tEEE10hipError_tPvRmT1_PNSt15iterator_traitsIS13_E10value_typeET2_T3_PNS14_IS19_E10value_typeET4_jRbjT5_S1F_jjP12ihipStream_tbEUljE_ZNSN_ISO_Lb0ESR_SS_SU_SV_SZ_EES10_S11_S12_S13_S17_S18_S19_S1C_S1D_jS1E_jS1F_S1F_jjS1H_bEUljE0_EEES10_S11_S12_S19_S1D_S1F_T6_T7_T9_mT8_S1H_bDpT10_ENKUlT_T0_E_clISt17integral_constantIbLb1EES1U_IbLb0EEEEDaS1Q_S1R_EUlS1Q_E_NS1_11comp_targetILNS1_3genE4ELNS1_11target_archE910ELNS1_3gpuE8ELNS1_3repE0EEENS1_30default_config_static_selectorELNS0_4arch9wavefront6targetE0EEEvS13_.uses_flat_scratch, 0
	.set _ZN7rocprim17ROCPRIM_400000_NS6detail17trampoline_kernelINS0_13select_configILj256ELj13ELNS0_17block_load_methodE3ELS4_3ELS4_3ELNS0_20block_scan_algorithmE0ELj4294967295EEENS1_25partition_config_selectorILNS1_17partition_subalgoE4EjNS0_10empty_typeEbEEZZNS1_14partition_implILS8_4ELb0ES6_15HIP_vector_typeIjLj2EENS0_17counting_iteratorIjlEEPS9_SG_NS0_5tupleIJPjSI_NS0_16reverse_iteratorISI_EEEEENSH_IJSG_SG_SG_EEES9_SI_JZNS1_25segmented_radix_sort_implINS0_14default_configELb0EPK6__halfPSP_PKlPlN2at6native12_GLOBAL__N_18offset_tEEE10hipError_tPvRmT1_PNSt15iterator_traitsIS13_E10value_typeET2_T3_PNS14_IS19_E10value_typeET4_jRbjT5_S1F_jjP12ihipStream_tbEUljE_ZNSN_ISO_Lb0ESR_SS_SU_SV_SZ_EES10_S11_S12_S13_S17_S18_S19_S1C_S1D_jS1E_jS1F_S1F_jjS1H_bEUljE0_EEES10_S11_S12_S19_S1D_S1F_T6_T7_T9_mT8_S1H_bDpT10_ENKUlT_T0_E_clISt17integral_constantIbLb1EES1U_IbLb0EEEEDaS1Q_S1R_EUlS1Q_E_NS1_11comp_targetILNS1_3genE4ELNS1_11target_archE910ELNS1_3gpuE8ELNS1_3repE0EEENS1_30default_config_static_selectorELNS0_4arch9wavefront6targetE0EEEvS13_.has_dyn_sized_stack, 0
	.set _ZN7rocprim17ROCPRIM_400000_NS6detail17trampoline_kernelINS0_13select_configILj256ELj13ELNS0_17block_load_methodE3ELS4_3ELS4_3ELNS0_20block_scan_algorithmE0ELj4294967295EEENS1_25partition_config_selectorILNS1_17partition_subalgoE4EjNS0_10empty_typeEbEEZZNS1_14partition_implILS8_4ELb0ES6_15HIP_vector_typeIjLj2EENS0_17counting_iteratorIjlEEPS9_SG_NS0_5tupleIJPjSI_NS0_16reverse_iteratorISI_EEEEENSH_IJSG_SG_SG_EEES9_SI_JZNS1_25segmented_radix_sort_implINS0_14default_configELb0EPK6__halfPSP_PKlPlN2at6native12_GLOBAL__N_18offset_tEEE10hipError_tPvRmT1_PNSt15iterator_traitsIS13_E10value_typeET2_T3_PNS14_IS19_E10value_typeET4_jRbjT5_S1F_jjP12ihipStream_tbEUljE_ZNSN_ISO_Lb0ESR_SS_SU_SV_SZ_EES10_S11_S12_S13_S17_S18_S19_S1C_S1D_jS1E_jS1F_S1F_jjS1H_bEUljE0_EEES10_S11_S12_S19_S1D_S1F_T6_T7_T9_mT8_S1H_bDpT10_ENKUlT_T0_E_clISt17integral_constantIbLb1EES1U_IbLb0EEEEDaS1Q_S1R_EUlS1Q_E_NS1_11comp_targetILNS1_3genE4ELNS1_11target_archE910ELNS1_3gpuE8ELNS1_3repE0EEENS1_30default_config_static_selectorELNS0_4arch9wavefront6targetE0EEEvS13_.has_recursion, 0
	.set _ZN7rocprim17ROCPRIM_400000_NS6detail17trampoline_kernelINS0_13select_configILj256ELj13ELNS0_17block_load_methodE3ELS4_3ELS4_3ELNS0_20block_scan_algorithmE0ELj4294967295EEENS1_25partition_config_selectorILNS1_17partition_subalgoE4EjNS0_10empty_typeEbEEZZNS1_14partition_implILS8_4ELb0ES6_15HIP_vector_typeIjLj2EENS0_17counting_iteratorIjlEEPS9_SG_NS0_5tupleIJPjSI_NS0_16reverse_iteratorISI_EEEEENSH_IJSG_SG_SG_EEES9_SI_JZNS1_25segmented_radix_sort_implINS0_14default_configELb0EPK6__halfPSP_PKlPlN2at6native12_GLOBAL__N_18offset_tEEE10hipError_tPvRmT1_PNSt15iterator_traitsIS13_E10value_typeET2_T3_PNS14_IS19_E10value_typeET4_jRbjT5_S1F_jjP12ihipStream_tbEUljE_ZNSN_ISO_Lb0ESR_SS_SU_SV_SZ_EES10_S11_S12_S13_S17_S18_S19_S1C_S1D_jS1E_jS1F_S1F_jjS1H_bEUljE0_EEES10_S11_S12_S19_S1D_S1F_T6_T7_T9_mT8_S1H_bDpT10_ENKUlT_T0_E_clISt17integral_constantIbLb1EES1U_IbLb0EEEEDaS1Q_S1R_EUlS1Q_E_NS1_11comp_targetILNS1_3genE4ELNS1_11target_archE910ELNS1_3gpuE8ELNS1_3repE0EEENS1_30default_config_static_selectorELNS0_4arch9wavefront6targetE0EEEvS13_.has_indirect_call, 0
	.section	.AMDGPU.csdata,"",@progbits
; Kernel info:
; codeLenInByte = 0
; TotalNumSgprs: 0
; NumVgprs: 0
; ScratchSize: 0
; MemoryBound: 0
; FloatMode: 240
; IeeeMode: 1
; LDSByteSize: 0 bytes/workgroup (compile time only)
; SGPRBlocks: 0
; VGPRBlocks: 0
; NumSGPRsForWavesPerEU: 1
; NumVGPRsForWavesPerEU: 1
; Occupancy: 16
; WaveLimiterHint : 0
; COMPUTE_PGM_RSRC2:SCRATCH_EN: 0
; COMPUTE_PGM_RSRC2:USER_SGPR: 6
; COMPUTE_PGM_RSRC2:TRAP_HANDLER: 0
; COMPUTE_PGM_RSRC2:TGID_X_EN: 1
; COMPUTE_PGM_RSRC2:TGID_Y_EN: 0
; COMPUTE_PGM_RSRC2:TGID_Z_EN: 0
; COMPUTE_PGM_RSRC2:TIDIG_COMP_CNT: 0
	.section	.text._ZN7rocprim17ROCPRIM_400000_NS6detail17trampoline_kernelINS0_13select_configILj256ELj13ELNS0_17block_load_methodE3ELS4_3ELS4_3ELNS0_20block_scan_algorithmE0ELj4294967295EEENS1_25partition_config_selectorILNS1_17partition_subalgoE4EjNS0_10empty_typeEbEEZZNS1_14partition_implILS8_4ELb0ES6_15HIP_vector_typeIjLj2EENS0_17counting_iteratorIjlEEPS9_SG_NS0_5tupleIJPjSI_NS0_16reverse_iteratorISI_EEEEENSH_IJSG_SG_SG_EEES9_SI_JZNS1_25segmented_radix_sort_implINS0_14default_configELb0EPK6__halfPSP_PKlPlN2at6native12_GLOBAL__N_18offset_tEEE10hipError_tPvRmT1_PNSt15iterator_traitsIS13_E10value_typeET2_T3_PNS14_IS19_E10value_typeET4_jRbjT5_S1F_jjP12ihipStream_tbEUljE_ZNSN_ISO_Lb0ESR_SS_SU_SV_SZ_EES10_S11_S12_S13_S17_S18_S19_S1C_S1D_jS1E_jS1F_S1F_jjS1H_bEUljE0_EEES10_S11_S12_S19_S1D_S1F_T6_T7_T9_mT8_S1H_bDpT10_ENKUlT_T0_E_clISt17integral_constantIbLb1EES1U_IbLb0EEEEDaS1Q_S1R_EUlS1Q_E_NS1_11comp_targetILNS1_3genE3ELNS1_11target_archE908ELNS1_3gpuE7ELNS1_3repE0EEENS1_30default_config_static_selectorELNS0_4arch9wavefront6targetE0EEEvS13_,"axG",@progbits,_ZN7rocprim17ROCPRIM_400000_NS6detail17trampoline_kernelINS0_13select_configILj256ELj13ELNS0_17block_load_methodE3ELS4_3ELS4_3ELNS0_20block_scan_algorithmE0ELj4294967295EEENS1_25partition_config_selectorILNS1_17partition_subalgoE4EjNS0_10empty_typeEbEEZZNS1_14partition_implILS8_4ELb0ES6_15HIP_vector_typeIjLj2EENS0_17counting_iteratorIjlEEPS9_SG_NS0_5tupleIJPjSI_NS0_16reverse_iteratorISI_EEEEENSH_IJSG_SG_SG_EEES9_SI_JZNS1_25segmented_radix_sort_implINS0_14default_configELb0EPK6__halfPSP_PKlPlN2at6native12_GLOBAL__N_18offset_tEEE10hipError_tPvRmT1_PNSt15iterator_traitsIS13_E10value_typeET2_T3_PNS14_IS19_E10value_typeET4_jRbjT5_S1F_jjP12ihipStream_tbEUljE_ZNSN_ISO_Lb0ESR_SS_SU_SV_SZ_EES10_S11_S12_S13_S17_S18_S19_S1C_S1D_jS1E_jS1F_S1F_jjS1H_bEUljE0_EEES10_S11_S12_S19_S1D_S1F_T6_T7_T9_mT8_S1H_bDpT10_ENKUlT_T0_E_clISt17integral_constantIbLb1EES1U_IbLb0EEEEDaS1Q_S1R_EUlS1Q_E_NS1_11comp_targetILNS1_3genE3ELNS1_11target_archE908ELNS1_3gpuE7ELNS1_3repE0EEENS1_30default_config_static_selectorELNS0_4arch9wavefront6targetE0EEEvS13_,comdat
	.globl	_ZN7rocprim17ROCPRIM_400000_NS6detail17trampoline_kernelINS0_13select_configILj256ELj13ELNS0_17block_load_methodE3ELS4_3ELS4_3ELNS0_20block_scan_algorithmE0ELj4294967295EEENS1_25partition_config_selectorILNS1_17partition_subalgoE4EjNS0_10empty_typeEbEEZZNS1_14partition_implILS8_4ELb0ES6_15HIP_vector_typeIjLj2EENS0_17counting_iteratorIjlEEPS9_SG_NS0_5tupleIJPjSI_NS0_16reverse_iteratorISI_EEEEENSH_IJSG_SG_SG_EEES9_SI_JZNS1_25segmented_radix_sort_implINS0_14default_configELb0EPK6__halfPSP_PKlPlN2at6native12_GLOBAL__N_18offset_tEEE10hipError_tPvRmT1_PNSt15iterator_traitsIS13_E10value_typeET2_T3_PNS14_IS19_E10value_typeET4_jRbjT5_S1F_jjP12ihipStream_tbEUljE_ZNSN_ISO_Lb0ESR_SS_SU_SV_SZ_EES10_S11_S12_S13_S17_S18_S19_S1C_S1D_jS1E_jS1F_S1F_jjS1H_bEUljE0_EEES10_S11_S12_S19_S1D_S1F_T6_T7_T9_mT8_S1H_bDpT10_ENKUlT_T0_E_clISt17integral_constantIbLb1EES1U_IbLb0EEEEDaS1Q_S1R_EUlS1Q_E_NS1_11comp_targetILNS1_3genE3ELNS1_11target_archE908ELNS1_3gpuE7ELNS1_3repE0EEENS1_30default_config_static_selectorELNS0_4arch9wavefront6targetE0EEEvS13_ ; -- Begin function _ZN7rocprim17ROCPRIM_400000_NS6detail17trampoline_kernelINS0_13select_configILj256ELj13ELNS0_17block_load_methodE3ELS4_3ELS4_3ELNS0_20block_scan_algorithmE0ELj4294967295EEENS1_25partition_config_selectorILNS1_17partition_subalgoE4EjNS0_10empty_typeEbEEZZNS1_14partition_implILS8_4ELb0ES6_15HIP_vector_typeIjLj2EENS0_17counting_iteratorIjlEEPS9_SG_NS0_5tupleIJPjSI_NS0_16reverse_iteratorISI_EEEEENSH_IJSG_SG_SG_EEES9_SI_JZNS1_25segmented_radix_sort_implINS0_14default_configELb0EPK6__halfPSP_PKlPlN2at6native12_GLOBAL__N_18offset_tEEE10hipError_tPvRmT1_PNSt15iterator_traitsIS13_E10value_typeET2_T3_PNS14_IS19_E10value_typeET4_jRbjT5_S1F_jjP12ihipStream_tbEUljE_ZNSN_ISO_Lb0ESR_SS_SU_SV_SZ_EES10_S11_S12_S13_S17_S18_S19_S1C_S1D_jS1E_jS1F_S1F_jjS1H_bEUljE0_EEES10_S11_S12_S19_S1D_S1F_T6_T7_T9_mT8_S1H_bDpT10_ENKUlT_T0_E_clISt17integral_constantIbLb1EES1U_IbLb0EEEEDaS1Q_S1R_EUlS1Q_E_NS1_11comp_targetILNS1_3genE3ELNS1_11target_archE908ELNS1_3gpuE7ELNS1_3repE0EEENS1_30default_config_static_selectorELNS0_4arch9wavefront6targetE0EEEvS13_
	.p2align	8
	.type	_ZN7rocprim17ROCPRIM_400000_NS6detail17trampoline_kernelINS0_13select_configILj256ELj13ELNS0_17block_load_methodE3ELS4_3ELS4_3ELNS0_20block_scan_algorithmE0ELj4294967295EEENS1_25partition_config_selectorILNS1_17partition_subalgoE4EjNS0_10empty_typeEbEEZZNS1_14partition_implILS8_4ELb0ES6_15HIP_vector_typeIjLj2EENS0_17counting_iteratorIjlEEPS9_SG_NS0_5tupleIJPjSI_NS0_16reverse_iteratorISI_EEEEENSH_IJSG_SG_SG_EEES9_SI_JZNS1_25segmented_radix_sort_implINS0_14default_configELb0EPK6__halfPSP_PKlPlN2at6native12_GLOBAL__N_18offset_tEEE10hipError_tPvRmT1_PNSt15iterator_traitsIS13_E10value_typeET2_T3_PNS14_IS19_E10value_typeET4_jRbjT5_S1F_jjP12ihipStream_tbEUljE_ZNSN_ISO_Lb0ESR_SS_SU_SV_SZ_EES10_S11_S12_S13_S17_S18_S19_S1C_S1D_jS1E_jS1F_S1F_jjS1H_bEUljE0_EEES10_S11_S12_S19_S1D_S1F_T6_T7_T9_mT8_S1H_bDpT10_ENKUlT_T0_E_clISt17integral_constantIbLb1EES1U_IbLb0EEEEDaS1Q_S1R_EUlS1Q_E_NS1_11comp_targetILNS1_3genE3ELNS1_11target_archE908ELNS1_3gpuE7ELNS1_3repE0EEENS1_30default_config_static_selectorELNS0_4arch9wavefront6targetE0EEEvS13_,@function
_ZN7rocprim17ROCPRIM_400000_NS6detail17trampoline_kernelINS0_13select_configILj256ELj13ELNS0_17block_load_methodE3ELS4_3ELS4_3ELNS0_20block_scan_algorithmE0ELj4294967295EEENS1_25partition_config_selectorILNS1_17partition_subalgoE4EjNS0_10empty_typeEbEEZZNS1_14partition_implILS8_4ELb0ES6_15HIP_vector_typeIjLj2EENS0_17counting_iteratorIjlEEPS9_SG_NS0_5tupleIJPjSI_NS0_16reverse_iteratorISI_EEEEENSH_IJSG_SG_SG_EEES9_SI_JZNS1_25segmented_radix_sort_implINS0_14default_configELb0EPK6__halfPSP_PKlPlN2at6native12_GLOBAL__N_18offset_tEEE10hipError_tPvRmT1_PNSt15iterator_traitsIS13_E10value_typeET2_T3_PNS14_IS19_E10value_typeET4_jRbjT5_S1F_jjP12ihipStream_tbEUljE_ZNSN_ISO_Lb0ESR_SS_SU_SV_SZ_EES10_S11_S12_S13_S17_S18_S19_S1C_S1D_jS1E_jS1F_S1F_jjS1H_bEUljE0_EEES10_S11_S12_S19_S1D_S1F_T6_T7_T9_mT8_S1H_bDpT10_ENKUlT_T0_E_clISt17integral_constantIbLb1EES1U_IbLb0EEEEDaS1Q_S1R_EUlS1Q_E_NS1_11comp_targetILNS1_3genE3ELNS1_11target_archE908ELNS1_3gpuE7ELNS1_3repE0EEENS1_30default_config_static_selectorELNS0_4arch9wavefront6targetE0EEEvS13_: ; @_ZN7rocprim17ROCPRIM_400000_NS6detail17trampoline_kernelINS0_13select_configILj256ELj13ELNS0_17block_load_methodE3ELS4_3ELS4_3ELNS0_20block_scan_algorithmE0ELj4294967295EEENS1_25partition_config_selectorILNS1_17partition_subalgoE4EjNS0_10empty_typeEbEEZZNS1_14partition_implILS8_4ELb0ES6_15HIP_vector_typeIjLj2EENS0_17counting_iteratorIjlEEPS9_SG_NS0_5tupleIJPjSI_NS0_16reverse_iteratorISI_EEEEENSH_IJSG_SG_SG_EEES9_SI_JZNS1_25segmented_radix_sort_implINS0_14default_configELb0EPK6__halfPSP_PKlPlN2at6native12_GLOBAL__N_18offset_tEEE10hipError_tPvRmT1_PNSt15iterator_traitsIS13_E10value_typeET2_T3_PNS14_IS19_E10value_typeET4_jRbjT5_S1F_jjP12ihipStream_tbEUljE_ZNSN_ISO_Lb0ESR_SS_SU_SV_SZ_EES10_S11_S12_S13_S17_S18_S19_S1C_S1D_jS1E_jS1F_S1F_jjS1H_bEUljE0_EEES10_S11_S12_S19_S1D_S1F_T6_T7_T9_mT8_S1H_bDpT10_ENKUlT_T0_E_clISt17integral_constantIbLb1EES1U_IbLb0EEEEDaS1Q_S1R_EUlS1Q_E_NS1_11comp_targetILNS1_3genE3ELNS1_11target_archE908ELNS1_3gpuE7ELNS1_3repE0EEENS1_30default_config_static_selectorELNS0_4arch9wavefront6targetE0EEEvS13_
; %bb.0:
	.section	.rodata,"a",@progbits
	.p2align	6, 0x0
	.amdhsa_kernel _ZN7rocprim17ROCPRIM_400000_NS6detail17trampoline_kernelINS0_13select_configILj256ELj13ELNS0_17block_load_methodE3ELS4_3ELS4_3ELNS0_20block_scan_algorithmE0ELj4294967295EEENS1_25partition_config_selectorILNS1_17partition_subalgoE4EjNS0_10empty_typeEbEEZZNS1_14partition_implILS8_4ELb0ES6_15HIP_vector_typeIjLj2EENS0_17counting_iteratorIjlEEPS9_SG_NS0_5tupleIJPjSI_NS0_16reverse_iteratorISI_EEEEENSH_IJSG_SG_SG_EEES9_SI_JZNS1_25segmented_radix_sort_implINS0_14default_configELb0EPK6__halfPSP_PKlPlN2at6native12_GLOBAL__N_18offset_tEEE10hipError_tPvRmT1_PNSt15iterator_traitsIS13_E10value_typeET2_T3_PNS14_IS19_E10value_typeET4_jRbjT5_S1F_jjP12ihipStream_tbEUljE_ZNSN_ISO_Lb0ESR_SS_SU_SV_SZ_EES10_S11_S12_S13_S17_S18_S19_S1C_S1D_jS1E_jS1F_S1F_jjS1H_bEUljE0_EEES10_S11_S12_S19_S1D_S1F_T6_T7_T9_mT8_S1H_bDpT10_ENKUlT_T0_E_clISt17integral_constantIbLb1EES1U_IbLb0EEEEDaS1Q_S1R_EUlS1Q_E_NS1_11comp_targetILNS1_3genE3ELNS1_11target_archE908ELNS1_3gpuE7ELNS1_3repE0EEENS1_30default_config_static_selectorELNS0_4arch9wavefront6targetE0EEEvS13_
		.amdhsa_group_segment_fixed_size 0
		.amdhsa_private_segment_fixed_size 0
		.amdhsa_kernarg_size 176
		.amdhsa_user_sgpr_count 6
		.amdhsa_user_sgpr_private_segment_buffer 1
		.amdhsa_user_sgpr_dispatch_ptr 0
		.amdhsa_user_sgpr_queue_ptr 0
		.amdhsa_user_sgpr_kernarg_segment_ptr 1
		.amdhsa_user_sgpr_dispatch_id 0
		.amdhsa_user_sgpr_flat_scratch_init 0
		.amdhsa_user_sgpr_private_segment_size 0
		.amdhsa_wavefront_size32 1
		.amdhsa_uses_dynamic_stack 0
		.amdhsa_system_sgpr_private_segment_wavefront_offset 0
		.amdhsa_system_sgpr_workgroup_id_x 1
		.amdhsa_system_sgpr_workgroup_id_y 0
		.amdhsa_system_sgpr_workgroup_id_z 0
		.amdhsa_system_sgpr_workgroup_info 0
		.amdhsa_system_vgpr_workitem_id 0
		.amdhsa_next_free_vgpr 1
		.amdhsa_next_free_sgpr 1
		.amdhsa_reserve_vcc 0
		.amdhsa_reserve_flat_scratch 0
		.amdhsa_float_round_mode_32 0
		.amdhsa_float_round_mode_16_64 0
		.amdhsa_float_denorm_mode_32 3
		.amdhsa_float_denorm_mode_16_64 3
		.amdhsa_dx10_clamp 1
		.amdhsa_ieee_mode 1
		.amdhsa_fp16_overflow 0
		.amdhsa_workgroup_processor_mode 1
		.amdhsa_memory_ordered 1
		.amdhsa_forward_progress 1
		.amdhsa_shared_vgpr_count 0
		.amdhsa_exception_fp_ieee_invalid_op 0
		.amdhsa_exception_fp_denorm_src 0
		.amdhsa_exception_fp_ieee_div_zero 0
		.amdhsa_exception_fp_ieee_overflow 0
		.amdhsa_exception_fp_ieee_underflow 0
		.amdhsa_exception_fp_ieee_inexact 0
		.amdhsa_exception_int_div_zero 0
	.end_amdhsa_kernel
	.section	.text._ZN7rocprim17ROCPRIM_400000_NS6detail17trampoline_kernelINS0_13select_configILj256ELj13ELNS0_17block_load_methodE3ELS4_3ELS4_3ELNS0_20block_scan_algorithmE0ELj4294967295EEENS1_25partition_config_selectorILNS1_17partition_subalgoE4EjNS0_10empty_typeEbEEZZNS1_14partition_implILS8_4ELb0ES6_15HIP_vector_typeIjLj2EENS0_17counting_iteratorIjlEEPS9_SG_NS0_5tupleIJPjSI_NS0_16reverse_iteratorISI_EEEEENSH_IJSG_SG_SG_EEES9_SI_JZNS1_25segmented_radix_sort_implINS0_14default_configELb0EPK6__halfPSP_PKlPlN2at6native12_GLOBAL__N_18offset_tEEE10hipError_tPvRmT1_PNSt15iterator_traitsIS13_E10value_typeET2_T3_PNS14_IS19_E10value_typeET4_jRbjT5_S1F_jjP12ihipStream_tbEUljE_ZNSN_ISO_Lb0ESR_SS_SU_SV_SZ_EES10_S11_S12_S13_S17_S18_S19_S1C_S1D_jS1E_jS1F_S1F_jjS1H_bEUljE0_EEES10_S11_S12_S19_S1D_S1F_T6_T7_T9_mT8_S1H_bDpT10_ENKUlT_T0_E_clISt17integral_constantIbLb1EES1U_IbLb0EEEEDaS1Q_S1R_EUlS1Q_E_NS1_11comp_targetILNS1_3genE3ELNS1_11target_archE908ELNS1_3gpuE7ELNS1_3repE0EEENS1_30default_config_static_selectorELNS0_4arch9wavefront6targetE0EEEvS13_,"axG",@progbits,_ZN7rocprim17ROCPRIM_400000_NS6detail17trampoline_kernelINS0_13select_configILj256ELj13ELNS0_17block_load_methodE3ELS4_3ELS4_3ELNS0_20block_scan_algorithmE0ELj4294967295EEENS1_25partition_config_selectorILNS1_17partition_subalgoE4EjNS0_10empty_typeEbEEZZNS1_14partition_implILS8_4ELb0ES6_15HIP_vector_typeIjLj2EENS0_17counting_iteratorIjlEEPS9_SG_NS0_5tupleIJPjSI_NS0_16reverse_iteratorISI_EEEEENSH_IJSG_SG_SG_EEES9_SI_JZNS1_25segmented_radix_sort_implINS0_14default_configELb0EPK6__halfPSP_PKlPlN2at6native12_GLOBAL__N_18offset_tEEE10hipError_tPvRmT1_PNSt15iterator_traitsIS13_E10value_typeET2_T3_PNS14_IS19_E10value_typeET4_jRbjT5_S1F_jjP12ihipStream_tbEUljE_ZNSN_ISO_Lb0ESR_SS_SU_SV_SZ_EES10_S11_S12_S13_S17_S18_S19_S1C_S1D_jS1E_jS1F_S1F_jjS1H_bEUljE0_EEES10_S11_S12_S19_S1D_S1F_T6_T7_T9_mT8_S1H_bDpT10_ENKUlT_T0_E_clISt17integral_constantIbLb1EES1U_IbLb0EEEEDaS1Q_S1R_EUlS1Q_E_NS1_11comp_targetILNS1_3genE3ELNS1_11target_archE908ELNS1_3gpuE7ELNS1_3repE0EEENS1_30default_config_static_selectorELNS0_4arch9wavefront6targetE0EEEvS13_,comdat
.Lfunc_end1787:
	.size	_ZN7rocprim17ROCPRIM_400000_NS6detail17trampoline_kernelINS0_13select_configILj256ELj13ELNS0_17block_load_methodE3ELS4_3ELS4_3ELNS0_20block_scan_algorithmE0ELj4294967295EEENS1_25partition_config_selectorILNS1_17partition_subalgoE4EjNS0_10empty_typeEbEEZZNS1_14partition_implILS8_4ELb0ES6_15HIP_vector_typeIjLj2EENS0_17counting_iteratorIjlEEPS9_SG_NS0_5tupleIJPjSI_NS0_16reverse_iteratorISI_EEEEENSH_IJSG_SG_SG_EEES9_SI_JZNS1_25segmented_radix_sort_implINS0_14default_configELb0EPK6__halfPSP_PKlPlN2at6native12_GLOBAL__N_18offset_tEEE10hipError_tPvRmT1_PNSt15iterator_traitsIS13_E10value_typeET2_T3_PNS14_IS19_E10value_typeET4_jRbjT5_S1F_jjP12ihipStream_tbEUljE_ZNSN_ISO_Lb0ESR_SS_SU_SV_SZ_EES10_S11_S12_S13_S17_S18_S19_S1C_S1D_jS1E_jS1F_S1F_jjS1H_bEUljE0_EEES10_S11_S12_S19_S1D_S1F_T6_T7_T9_mT8_S1H_bDpT10_ENKUlT_T0_E_clISt17integral_constantIbLb1EES1U_IbLb0EEEEDaS1Q_S1R_EUlS1Q_E_NS1_11comp_targetILNS1_3genE3ELNS1_11target_archE908ELNS1_3gpuE7ELNS1_3repE0EEENS1_30default_config_static_selectorELNS0_4arch9wavefront6targetE0EEEvS13_, .Lfunc_end1787-_ZN7rocprim17ROCPRIM_400000_NS6detail17trampoline_kernelINS0_13select_configILj256ELj13ELNS0_17block_load_methodE3ELS4_3ELS4_3ELNS0_20block_scan_algorithmE0ELj4294967295EEENS1_25partition_config_selectorILNS1_17partition_subalgoE4EjNS0_10empty_typeEbEEZZNS1_14partition_implILS8_4ELb0ES6_15HIP_vector_typeIjLj2EENS0_17counting_iteratorIjlEEPS9_SG_NS0_5tupleIJPjSI_NS0_16reverse_iteratorISI_EEEEENSH_IJSG_SG_SG_EEES9_SI_JZNS1_25segmented_radix_sort_implINS0_14default_configELb0EPK6__halfPSP_PKlPlN2at6native12_GLOBAL__N_18offset_tEEE10hipError_tPvRmT1_PNSt15iterator_traitsIS13_E10value_typeET2_T3_PNS14_IS19_E10value_typeET4_jRbjT5_S1F_jjP12ihipStream_tbEUljE_ZNSN_ISO_Lb0ESR_SS_SU_SV_SZ_EES10_S11_S12_S13_S17_S18_S19_S1C_S1D_jS1E_jS1F_S1F_jjS1H_bEUljE0_EEES10_S11_S12_S19_S1D_S1F_T6_T7_T9_mT8_S1H_bDpT10_ENKUlT_T0_E_clISt17integral_constantIbLb1EES1U_IbLb0EEEEDaS1Q_S1R_EUlS1Q_E_NS1_11comp_targetILNS1_3genE3ELNS1_11target_archE908ELNS1_3gpuE7ELNS1_3repE0EEENS1_30default_config_static_selectorELNS0_4arch9wavefront6targetE0EEEvS13_
                                        ; -- End function
	.set _ZN7rocprim17ROCPRIM_400000_NS6detail17trampoline_kernelINS0_13select_configILj256ELj13ELNS0_17block_load_methodE3ELS4_3ELS4_3ELNS0_20block_scan_algorithmE0ELj4294967295EEENS1_25partition_config_selectorILNS1_17partition_subalgoE4EjNS0_10empty_typeEbEEZZNS1_14partition_implILS8_4ELb0ES6_15HIP_vector_typeIjLj2EENS0_17counting_iteratorIjlEEPS9_SG_NS0_5tupleIJPjSI_NS0_16reverse_iteratorISI_EEEEENSH_IJSG_SG_SG_EEES9_SI_JZNS1_25segmented_radix_sort_implINS0_14default_configELb0EPK6__halfPSP_PKlPlN2at6native12_GLOBAL__N_18offset_tEEE10hipError_tPvRmT1_PNSt15iterator_traitsIS13_E10value_typeET2_T3_PNS14_IS19_E10value_typeET4_jRbjT5_S1F_jjP12ihipStream_tbEUljE_ZNSN_ISO_Lb0ESR_SS_SU_SV_SZ_EES10_S11_S12_S13_S17_S18_S19_S1C_S1D_jS1E_jS1F_S1F_jjS1H_bEUljE0_EEES10_S11_S12_S19_S1D_S1F_T6_T7_T9_mT8_S1H_bDpT10_ENKUlT_T0_E_clISt17integral_constantIbLb1EES1U_IbLb0EEEEDaS1Q_S1R_EUlS1Q_E_NS1_11comp_targetILNS1_3genE3ELNS1_11target_archE908ELNS1_3gpuE7ELNS1_3repE0EEENS1_30default_config_static_selectorELNS0_4arch9wavefront6targetE0EEEvS13_.num_vgpr, 0
	.set _ZN7rocprim17ROCPRIM_400000_NS6detail17trampoline_kernelINS0_13select_configILj256ELj13ELNS0_17block_load_methodE3ELS4_3ELS4_3ELNS0_20block_scan_algorithmE0ELj4294967295EEENS1_25partition_config_selectorILNS1_17partition_subalgoE4EjNS0_10empty_typeEbEEZZNS1_14partition_implILS8_4ELb0ES6_15HIP_vector_typeIjLj2EENS0_17counting_iteratorIjlEEPS9_SG_NS0_5tupleIJPjSI_NS0_16reverse_iteratorISI_EEEEENSH_IJSG_SG_SG_EEES9_SI_JZNS1_25segmented_radix_sort_implINS0_14default_configELb0EPK6__halfPSP_PKlPlN2at6native12_GLOBAL__N_18offset_tEEE10hipError_tPvRmT1_PNSt15iterator_traitsIS13_E10value_typeET2_T3_PNS14_IS19_E10value_typeET4_jRbjT5_S1F_jjP12ihipStream_tbEUljE_ZNSN_ISO_Lb0ESR_SS_SU_SV_SZ_EES10_S11_S12_S13_S17_S18_S19_S1C_S1D_jS1E_jS1F_S1F_jjS1H_bEUljE0_EEES10_S11_S12_S19_S1D_S1F_T6_T7_T9_mT8_S1H_bDpT10_ENKUlT_T0_E_clISt17integral_constantIbLb1EES1U_IbLb0EEEEDaS1Q_S1R_EUlS1Q_E_NS1_11comp_targetILNS1_3genE3ELNS1_11target_archE908ELNS1_3gpuE7ELNS1_3repE0EEENS1_30default_config_static_selectorELNS0_4arch9wavefront6targetE0EEEvS13_.num_agpr, 0
	.set _ZN7rocprim17ROCPRIM_400000_NS6detail17trampoline_kernelINS0_13select_configILj256ELj13ELNS0_17block_load_methodE3ELS4_3ELS4_3ELNS0_20block_scan_algorithmE0ELj4294967295EEENS1_25partition_config_selectorILNS1_17partition_subalgoE4EjNS0_10empty_typeEbEEZZNS1_14partition_implILS8_4ELb0ES6_15HIP_vector_typeIjLj2EENS0_17counting_iteratorIjlEEPS9_SG_NS0_5tupleIJPjSI_NS0_16reverse_iteratorISI_EEEEENSH_IJSG_SG_SG_EEES9_SI_JZNS1_25segmented_radix_sort_implINS0_14default_configELb0EPK6__halfPSP_PKlPlN2at6native12_GLOBAL__N_18offset_tEEE10hipError_tPvRmT1_PNSt15iterator_traitsIS13_E10value_typeET2_T3_PNS14_IS19_E10value_typeET4_jRbjT5_S1F_jjP12ihipStream_tbEUljE_ZNSN_ISO_Lb0ESR_SS_SU_SV_SZ_EES10_S11_S12_S13_S17_S18_S19_S1C_S1D_jS1E_jS1F_S1F_jjS1H_bEUljE0_EEES10_S11_S12_S19_S1D_S1F_T6_T7_T9_mT8_S1H_bDpT10_ENKUlT_T0_E_clISt17integral_constantIbLb1EES1U_IbLb0EEEEDaS1Q_S1R_EUlS1Q_E_NS1_11comp_targetILNS1_3genE3ELNS1_11target_archE908ELNS1_3gpuE7ELNS1_3repE0EEENS1_30default_config_static_selectorELNS0_4arch9wavefront6targetE0EEEvS13_.numbered_sgpr, 0
	.set _ZN7rocprim17ROCPRIM_400000_NS6detail17trampoline_kernelINS0_13select_configILj256ELj13ELNS0_17block_load_methodE3ELS4_3ELS4_3ELNS0_20block_scan_algorithmE0ELj4294967295EEENS1_25partition_config_selectorILNS1_17partition_subalgoE4EjNS0_10empty_typeEbEEZZNS1_14partition_implILS8_4ELb0ES6_15HIP_vector_typeIjLj2EENS0_17counting_iteratorIjlEEPS9_SG_NS0_5tupleIJPjSI_NS0_16reverse_iteratorISI_EEEEENSH_IJSG_SG_SG_EEES9_SI_JZNS1_25segmented_radix_sort_implINS0_14default_configELb0EPK6__halfPSP_PKlPlN2at6native12_GLOBAL__N_18offset_tEEE10hipError_tPvRmT1_PNSt15iterator_traitsIS13_E10value_typeET2_T3_PNS14_IS19_E10value_typeET4_jRbjT5_S1F_jjP12ihipStream_tbEUljE_ZNSN_ISO_Lb0ESR_SS_SU_SV_SZ_EES10_S11_S12_S13_S17_S18_S19_S1C_S1D_jS1E_jS1F_S1F_jjS1H_bEUljE0_EEES10_S11_S12_S19_S1D_S1F_T6_T7_T9_mT8_S1H_bDpT10_ENKUlT_T0_E_clISt17integral_constantIbLb1EES1U_IbLb0EEEEDaS1Q_S1R_EUlS1Q_E_NS1_11comp_targetILNS1_3genE3ELNS1_11target_archE908ELNS1_3gpuE7ELNS1_3repE0EEENS1_30default_config_static_selectorELNS0_4arch9wavefront6targetE0EEEvS13_.num_named_barrier, 0
	.set _ZN7rocprim17ROCPRIM_400000_NS6detail17trampoline_kernelINS0_13select_configILj256ELj13ELNS0_17block_load_methodE3ELS4_3ELS4_3ELNS0_20block_scan_algorithmE0ELj4294967295EEENS1_25partition_config_selectorILNS1_17partition_subalgoE4EjNS0_10empty_typeEbEEZZNS1_14partition_implILS8_4ELb0ES6_15HIP_vector_typeIjLj2EENS0_17counting_iteratorIjlEEPS9_SG_NS0_5tupleIJPjSI_NS0_16reverse_iteratorISI_EEEEENSH_IJSG_SG_SG_EEES9_SI_JZNS1_25segmented_radix_sort_implINS0_14default_configELb0EPK6__halfPSP_PKlPlN2at6native12_GLOBAL__N_18offset_tEEE10hipError_tPvRmT1_PNSt15iterator_traitsIS13_E10value_typeET2_T3_PNS14_IS19_E10value_typeET4_jRbjT5_S1F_jjP12ihipStream_tbEUljE_ZNSN_ISO_Lb0ESR_SS_SU_SV_SZ_EES10_S11_S12_S13_S17_S18_S19_S1C_S1D_jS1E_jS1F_S1F_jjS1H_bEUljE0_EEES10_S11_S12_S19_S1D_S1F_T6_T7_T9_mT8_S1H_bDpT10_ENKUlT_T0_E_clISt17integral_constantIbLb1EES1U_IbLb0EEEEDaS1Q_S1R_EUlS1Q_E_NS1_11comp_targetILNS1_3genE3ELNS1_11target_archE908ELNS1_3gpuE7ELNS1_3repE0EEENS1_30default_config_static_selectorELNS0_4arch9wavefront6targetE0EEEvS13_.private_seg_size, 0
	.set _ZN7rocprim17ROCPRIM_400000_NS6detail17trampoline_kernelINS0_13select_configILj256ELj13ELNS0_17block_load_methodE3ELS4_3ELS4_3ELNS0_20block_scan_algorithmE0ELj4294967295EEENS1_25partition_config_selectorILNS1_17partition_subalgoE4EjNS0_10empty_typeEbEEZZNS1_14partition_implILS8_4ELb0ES6_15HIP_vector_typeIjLj2EENS0_17counting_iteratorIjlEEPS9_SG_NS0_5tupleIJPjSI_NS0_16reverse_iteratorISI_EEEEENSH_IJSG_SG_SG_EEES9_SI_JZNS1_25segmented_radix_sort_implINS0_14default_configELb0EPK6__halfPSP_PKlPlN2at6native12_GLOBAL__N_18offset_tEEE10hipError_tPvRmT1_PNSt15iterator_traitsIS13_E10value_typeET2_T3_PNS14_IS19_E10value_typeET4_jRbjT5_S1F_jjP12ihipStream_tbEUljE_ZNSN_ISO_Lb0ESR_SS_SU_SV_SZ_EES10_S11_S12_S13_S17_S18_S19_S1C_S1D_jS1E_jS1F_S1F_jjS1H_bEUljE0_EEES10_S11_S12_S19_S1D_S1F_T6_T7_T9_mT8_S1H_bDpT10_ENKUlT_T0_E_clISt17integral_constantIbLb1EES1U_IbLb0EEEEDaS1Q_S1R_EUlS1Q_E_NS1_11comp_targetILNS1_3genE3ELNS1_11target_archE908ELNS1_3gpuE7ELNS1_3repE0EEENS1_30default_config_static_selectorELNS0_4arch9wavefront6targetE0EEEvS13_.uses_vcc, 0
	.set _ZN7rocprim17ROCPRIM_400000_NS6detail17trampoline_kernelINS0_13select_configILj256ELj13ELNS0_17block_load_methodE3ELS4_3ELS4_3ELNS0_20block_scan_algorithmE0ELj4294967295EEENS1_25partition_config_selectorILNS1_17partition_subalgoE4EjNS0_10empty_typeEbEEZZNS1_14partition_implILS8_4ELb0ES6_15HIP_vector_typeIjLj2EENS0_17counting_iteratorIjlEEPS9_SG_NS0_5tupleIJPjSI_NS0_16reverse_iteratorISI_EEEEENSH_IJSG_SG_SG_EEES9_SI_JZNS1_25segmented_radix_sort_implINS0_14default_configELb0EPK6__halfPSP_PKlPlN2at6native12_GLOBAL__N_18offset_tEEE10hipError_tPvRmT1_PNSt15iterator_traitsIS13_E10value_typeET2_T3_PNS14_IS19_E10value_typeET4_jRbjT5_S1F_jjP12ihipStream_tbEUljE_ZNSN_ISO_Lb0ESR_SS_SU_SV_SZ_EES10_S11_S12_S13_S17_S18_S19_S1C_S1D_jS1E_jS1F_S1F_jjS1H_bEUljE0_EEES10_S11_S12_S19_S1D_S1F_T6_T7_T9_mT8_S1H_bDpT10_ENKUlT_T0_E_clISt17integral_constantIbLb1EES1U_IbLb0EEEEDaS1Q_S1R_EUlS1Q_E_NS1_11comp_targetILNS1_3genE3ELNS1_11target_archE908ELNS1_3gpuE7ELNS1_3repE0EEENS1_30default_config_static_selectorELNS0_4arch9wavefront6targetE0EEEvS13_.uses_flat_scratch, 0
	.set _ZN7rocprim17ROCPRIM_400000_NS6detail17trampoline_kernelINS0_13select_configILj256ELj13ELNS0_17block_load_methodE3ELS4_3ELS4_3ELNS0_20block_scan_algorithmE0ELj4294967295EEENS1_25partition_config_selectorILNS1_17partition_subalgoE4EjNS0_10empty_typeEbEEZZNS1_14partition_implILS8_4ELb0ES6_15HIP_vector_typeIjLj2EENS0_17counting_iteratorIjlEEPS9_SG_NS0_5tupleIJPjSI_NS0_16reverse_iteratorISI_EEEEENSH_IJSG_SG_SG_EEES9_SI_JZNS1_25segmented_radix_sort_implINS0_14default_configELb0EPK6__halfPSP_PKlPlN2at6native12_GLOBAL__N_18offset_tEEE10hipError_tPvRmT1_PNSt15iterator_traitsIS13_E10value_typeET2_T3_PNS14_IS19_E10value_typeET4_jRbjT5_S1F_jjP12ihipStream_tbEUljE_ZNSN_ISO_Lb0ESR_SS_SU_SV_SZ_EES10_S11_S12_S13_S17_S18_S19_S1C_S1D_jS1E_jS1F_S1F_jjS1H_bEUljE0_EEES10_S11_S12_S19_S1D_S1F_T6_T7_T9_mT8_S1H_bDpT10_ENKUlT_T0_E_clISt17integral_constantIbLb1EES1U_IbLb0EEEEDaS1Q_S1R_EUlS1Q_E_NS1_11comp_targetILNS1_3genE3ELNS1_11target_archE908ELNS1_3gpuE7ELNS1_3repE0EEENS1_30default_config_static_selectorELNS0_4arch9wavefront6targetE0EEEvS13_.has_dyn_sized_stack, 0
	.set _ZN7rocprim17ROCPRIM_400000_NS6detail17trampoline_kernelINS0_13select_configILj256ELj13ELNS0_17block_load_methodE3ELS4_3ELS4_3ELNS0_20block_scan_algorithmE0ELj4294967295EEENS1_25partition_config_selectorILNS1_17partition_subalgoE4EjNS0_10empty_typeEbEEZZNS1_14partition_implILS8_4ELb0ES6_15HIP_vector_typeIjLj2EENS0_17counting_iteratorIjlEEPS9_SG_NS0_5tupleIJPjSI_NS0_16reverse_iteratorISI_EEEEENSH_IJSG_SG_SG_EEES9_SI_JZNS1_25segmented_radix_sort_implINS0_14default_configELb0EPK6__halfPSP_PKlPlN2at6native12_GLOBAL__N_18offset_tEEE10hipError_tPvRmT1_PNSt15iterator_traitsIS13_E10value_typeET2_T3_PNS14_IS19_E10value_typeET4_jRbjT5_S1F_jjP12ihipStream_tbEUljE_ZNSN_ISO_Lb0ESR_SS_SU_SV_SZ_EES10_S11_S12_S13_S17_S18_S19_S1C_S1D_jS1E_jS1F_S1F_jjS1H_bEUljE0_EEES10_S11_S12_S19_S1D_S1F_T6_T7_T9_mT8_S1H_bDpT10_ENKUlT_T0_E_clISt17integral_constantIbLb1EES1U_IbLb0EEEEDaS1Q_S1R_EUlS1Q_E_NS1_11comp_targetILNS1_3genE3ELNS1_11target_archE908ELNS1_3gpuE7ELNS1_3repE0EEENS1_30default_config_static_selectorELNS0_4arch9wavefront6targetE0EEEvS13_.has_recursion, 0
	.set _ZN7rocprim17ROCPRIM_400000_NS6detail17trampoline_kernelINS0_13select_configILj256ELj13ELNS0_17block_load_methodE3ELS4_3ELS4_3ELNS0_20block_scan_algorithmE0ELj4294967295EEENS1_25partition_config_selectorILNS1_17partition_subalgoE4EjNS0_10empty_typeEbEEZZNS1_14partition_implILS8_4ELb0ES6_15HIP_vector_typeIjLj2EENS0_17counting_iteratorIjlEEPS9_SG_NS0_5tupleIJPjSI_NS0_16reverse_iteratorISI_EEEEENSH_IJSG_SG_SG_EEES9_SI_JZNS1_25segmented_radix_sort_implINS0_14default_configELb0EPK6__halfPSP_PKlPlN2at6native12_GLOBAL__N_18offset_tEEE10hipError_tPvRmT1_PNSt15iterator_traitsIS13_E10value_typeET2_T3_PNS14_IS19_E10value_typeET4_jRbjT5_S1F_jjP12ihipStream_tbEUljE_ZNSN_ISO_Lb0ESR_SS_SU_SV_SZ_EES10_S11_S12_S13_S17_S18_S19_S1C_S1D_jS1E_jS1F_S1F_jjS1H_bEUljE0_EEES10_S11_S12_S19_S1D_S1F_T6_T7_T9_mT8_S1H_bDpT10_ENKUlT_T0_E_clISt17integral_constantIbLb1EES1U_IbLb0EEEEDaS1Q_S1R_EUlS1Q_E_NS1_11comp_targetILNS1_3genE3ELNS1_11target_archE908ELNS1_3gpuE7ELNS1_3repE0EEENS1_30default_config_static_selectorELNS0_4arch9wavefront6targetE0EEEvS13_.has_indirect_call, 0
	.section	.AMDGPU.csdata,"",@progbits
; Kernel info:
; codeLenInByte = 0
; TotalNumSgprs: 0
; NumVgprs: 0
; ScratchSize: 0
; MemoryBound: 0
; FloatMode: 240
; IeeeMode: 1
; LDSByteSize: 0 bytes/workgroup (compile time only)
; SGPRBlocks: 0
; VGPRBlocks: 0
; NumSGPRsForWavesPerEU: 1
; NumVGPRsForWavesPerEU: 1
; Occupancy: 16
; WaveLimiterHint : 0
; COMPUTE_PGM_RSRC2:SCRATCH_EN: 0
; COMPUTE_PGM_RSRC2:USER_SGPR: 6
; COMPUTE_PGM_RSRC2:TRAP_HANDLER: 0
; COMPUTE_PGM_RSRC2:TGID_X_EN: 1
; COMPUTE_PGM_RSRC2:TGID_Y_EN: 0
; COMPUTE_PGM_RSRC2:TGID_Z_EN: 0
; COMPUTE_PGM_RSRC2:TIDIG_COMP_CNT: 0
	.section	.text._ZN7rocprim17ROCPRIM_400000_NS6detail17trampoline_kernelINS0_13select_configILj256ELj13ELNS0_17block_load_methodE3ELS4_3ELS4_3ELNS0_20block_scan_algorithmE0ELj4294967295EEENS1_25partition_config_selectorILNS1_17partition_subalgoE4EjNS0_10empty_typeEbEEZZNS1_14partition_implILS8_4ELb0ES6_15HIP_vector_typeIjLj2EENS0_17counting_iteratorIjlEEPS9_SG_NS0_5tupleIJPjSI_NS0_16reverse_iteratorISI_EEEEENSH_IJSG_SG_SG_EEES9_SI_JZNS1_25segmented_radix_sort_implINS0_14default_configELb0EPK6__halfPSP_PKlPlN2at6native12_GLOBAL__N_18offset_tEEE10hipError_tPvRmT1_PNSt15iterator_traitsIS13_E10value_typeET2_T3_PNS14_IS19_E10value_typeET4_jRbjT5_S1F_jjP12ihipStream_tbEUljE_ZNSN_ISO_Lb0ESR_SS_SU_SV_SZ_EES10_S11_S12_S13_S17_S18_S19_S1C_S1D_jS1E_jS1F_S1F_jjS1H_bEUljE0_EEES10_S11_S12_S19_S1D_S1F_T6_T7_T9_mT8_S1H_bDpT10_ENKUlT_T0_E_clISt17integral_constantIbLb1EES1U_IbLb0EEEEDaS1Q_S1R_EUlS1Q_E_NS1_11comp_targetILNS1_3genE2ELNS1_11target_archE906ELNS1_3gpuE6ELNS1_3repE0EEENS1_30default_config_static_selectorELNS0_4arch9wavefront6targetE0EEEvS13_,"axG",@progbits,_ZN7rocprim17ROCPRIM_400000_NS6detail17trampoline_kernelINS0_13select_configILj256ELj13ELNS0_17block_load_methodE3ELS4_3ELS4_3ELNS0_20block_scan_algorithmE0ELj4294967295EEENS1_25partition_config_selectorILNS1_17partition_subalgoE4EjNS0_10empty_typeEbEEZZNS1_14partition_implILS8_4ELb0ES6_15HIP_vector_typeIjLj2EENS0_17counting_iteratorIjlEEPS9_SG_NS0_5tupleIJPjSI_NS0_16reverse_iteratorISI_EEEEENSH_IJSG_SG_SG_EEES9_SI_JZNS1_25segmented_radix_sort_implINS0_14default_configELb0EPK6__halfPSP_PKlPlN2at6native12_GLOBAL__N_18offset_tEEE10hipError_tPvRmT1_PNSt15iterator_traitsIS13_E10value_typeET2_T3_PNS14_IS19_E10value_typeET4_jRbjT5_S1F_jjP12ihipStream_tbEUljE_ZNSN_ISO_Lb0ESR_SS_SU_SV_SZ_EES10_S11_S12_S13_S17_S18_S19_S1C_S1D_jS1E_jS1F_S1F_jjS1H_bEUljE0_EEES10_S11_S12_S19_S1D_S1F_T6_T7_T9_mT8_S1H_bDpT10_ENKUlT_T0_E_clISt17integral_constantIbLb1EES1U_IbLb0EEEEDaS1Q_S1R_EUlS1Q_E_NS1_11comp_targetILNS1_3genE2ELNS1_11target_archE906ELNS1_3gpuE6ELNS1_3repE0EEENS1_30default_config_static_selectorELNS0_4arch9wavefront6targetE0EEEvS13_,comdat
	.globl	_ZN7rocprim17ROCPRIM_400000_NS6detail17trampoline_kernelINS0_13select_configILj256ELj13ELNS0_17block_load_methodE3ELS4_3ELS4_3ELNS0_20block_scan_algorithmE0ELj4294967295EEENS1_25partition_config_selectorILNS1_17partition_subalgoE4EjNS0_10empty_typeEbEEZZNS1_14partition_implILS8_4ELb0ES6_15HIP_vector_typeIjLj2EENS0_17counting_iteratorIjlEEPS9_SG_NS0_5tupleIJPjSI_NS0_16reverse_iteratorISI_EEEEENSH_IJSG_SG_SG_EEES9_SI_JZNS1_25segmented_radix_sort_implINS0_14default_configELb0EPK6__halfPSP_PKlPlN2at6native12_GLOBAL__N_18offset_tEEE10hipError_tPvRmT1_PNSt15iterator_traitsIS13_E10value_typeET2_T3_PNS14_IS19_E10value_typeET4_jRbjT5_S1F_jjP12ihipStream_tbEUljE_ZNSN_ISO_Lb0ESR_SS_SU_SV_SZ_EES10_S11_S12_S13_S17_S18_S19_S1C_S1D_jS1E_jS1F_S1F_jjS1H_bEUljE0_EEES10_S11_S12_S19_S1D_S1F_T6_T7_T9_mT8_S1H_bDpT10_ENKUlT_T0_E_clISt17integral_constantIbLb1EES1U_IbLb0EEEEDaS1Q_S1R_EUlS1Q_E_NS1_11comp_targetILNS1_3genE2ELNS1_11target_archE906ELNS1_3gpuE6ELNS1_3repE0EEENS1_30default_config_static_selectorELNS0_4arch9wavefront6targetE0EEEvS13_ ; -- Begin function _ZN7rocprim17ROCPRIM_400000_NS6detail17trampoline_kernelINS0_13select_configILj256ELj13ELNS0_17block_load_methodE3ELS4_3ELS4_3ELNS0_20block_scan_algorithmE0ELj4294967295EEENS1_25partition_config_selectorILNS1_17partition_subalgoE4EjNS0_10empty_typeEbEEZZNS1_14partition_implILS8_4ELb0ES6_15HIP_vector_typeIjLj2EENS0_17counting_iteratorIjlEEPS9_SG_NS0_5tupleIJPjSI_NS0_16reverse_iteratorISI_EEEEENSH_IJSG_SG_SG_EEES9_SI_JZNS1_25segmented_radix_sort_implINS0_14default_configELb0EPK6__halfPSP_PKlPlN2at6native12_GLOBAL__N_18offset_tEEE10hipError_tPvRmT1_PNSt15iterator_traitsIS13_E10value_typeET2_T3_PNS14_IS19_E10value_typeET4_jRbjT5_S1F_jjP12ihipStream_tbEUljE_ZNSN_ISO_Lb0ESR_SS_SU_SV_SZ_EES10_S11_S12_S13_S17_S18_S19_S1C_S1D_jS1E_jS1F_S1F_jjS1H_bEUljE0_EEES10_S11_S12_S19_S1D_S1F_T6_T7_T9_mT8_S1H_bDpT10_ENKUlT_T0_E_clISt17integral_constantIbLb1EES1U_IbLb0EEEEDaS1Q_S1R_EUlS1Q_E_NS1_11comp_targetILNS1_3genE2ELNS1_11target_archE906ELNS1_3gpuE6ELNS1_3repE0EEENS1_30default_config_static_selectorELNS0_4arch9wavefront6targetE0EEEvS13_
	.p2align	8
	.type	_ZN7rocprim17ROCPRIM_400000_NS6detail17trampoline_kernelINS0_13select_configILj256ELj13ELNS0_17block_load_methodE3ELS4_3ELS4_3ELNS0_20block_scan_algorithmE0ELj4294967295EEENS1_25partition_config_selectorILNS1_17partition_subalgoE4EjNS0_10empty_typeEbEEZZNS1_14partition_implILS8_4ELb0ES6_15HIP_vector_typeIjLj2EENS0_17counting_iteratorIjlEEPS9_SG_NS0_5tupleIJPjSI_NS0_16reverse_iteratorISI_EEEEENSH_IJSG_SG_SG_EEES9_SI_JZNS1_25segmented_radix_sort_implINS0_14default_configELb0EPK6__halfPSP_PKlPlN2at6native12_GLOBAL__N_18offset_tEEE10hipError_tPvRmT1_PNSt15iterator_traitsIS13_E10value_typeET2_T3_PNS14_IS19_E10value_typeET4_jRbjT5_S1F_jjP12ihipStream_tbEUljE_ZNSN_ISO_Lb0ESR_SS_SU_SV_SZ_EES10_S11_S12_S13_S17_S18_S19_S1C_S1D_jS1E_jS1F_S1F_jjS1H_bEUljE0_EEES10_S11_S12_S19_S1D_S1F_T6_T7_T9_mT8_S1H_bDpT10_ENKUlT_T0_E_clISt17integral_constantIbLb1EES1U_IbLb0EEEEDaS1Q_S1R_EUlS1Q_E_NS1_11comp_targetILNS1_3genE2ELNS1_11target_archE906ELNS1_3gpuE6ELNS1_3repE0EEENS1_30default_config_static_selectorELNS0_4arch9wavefront6targetE0EEEvS13_,@function
_ZN7rocprim17ROCPRIM_400000_NS6detail17trampoline_kernelINS0_13select_configILj256ELj13ELNS0_17block_load_methodE3ELS4_3ELS4_3ELNS0_20block_scan_algorithmE0ELj4294967295EEENS1_25partition_config_selectorILNS1_17partition_subalgoE4EjNS0_10empty_typeEbEEZZNS1_14partition_implILS8_4ELb0ES6_15HIP_vector_typeIjLj2EENS0_17counting_iteratorIjlEEPS9_SG_NS0_5tupleIJPjSI_NS0_16reverse_iteratorISI_EEEEENSH_IJSG_SG_SG_EEES9_SI_JZNS1_25segmented_radix_sort_implINS0_14default_configELb0EPK6__halfPSP_PKlPlN2at6native12_GLOBAL__N_18offset_tEEE10hipError_tPvRmT1_PNSt15iterator_traitsIS13_E10value_typeET2_T3_PNS14_IS19_E10value_typeET4_jRbjT5_S1F_jjP12ihipStream_tbEUljE_ZNSN_ISO_Lb0ESR_SS_SU_SV_SZ_EES10_S11_S12_S13_S17_S18_S19_S1C_S1D_jS1E_jS1F_S1F_jjS1H_bEUljE0_EEES10_S11_S12_S19_S1D_S1F_T6_T7_T9_mT8_S1H_bDpT10_ENKUlT_T0_E_clISt17integral_constantIbLb1EES1U_IbLb0EEEEDaS1Q_S1R_EUlS1Q_E_NS1_11comp_targetILNS1_3genE2ELNS1_11target_archE906ELNS1_3gpuE6ELNS1_3repE0EEENS1_30default_config_static_selectorELNS0_4arch9wavefront6targetE0EEEvS13_: ; @_ZN7rocprim17ROCPRIM_400000_NS6detail17trampoline_kernelINS0_13select_configILj256ELj13ELNS0_17block_load_methodE3ELS4_3ELS4_3ELNS0_20block_scan_algorithmE0ELj4294967295EEENS1_25partition_config_selectorILNS1_17partition_subalgoE4EjNS0_10empty_typeEbEEZZNS1_14partition_implILS8_4ELb0ES6_15HIP_vector_typeIjLj2EENS0_17counting_iteratorIjlEEPS9_SG_NS0_5tupleIJPjSI_NS0_16reverse_iteratorISI_EEEEENSH_IJSG_SG_SG_EEES9_SI_JZNS1_25segmented_radix_sort_implINS0_14default_configELb0EPK6__halfPSP_PKlPlN2at6native12_GLOBAL__N_18offset_tEEE10hipError_tPvRmT1_PNSt15iterator_traitsIS13_E10value_typeET2_T3_PNS14_IS19_E10value_typeET4_jRbjT5_S1F_jjP12ihipStream_tbEUljE_ZNSN_ISO_Lb0ESR_SS_SU_SV_SZ_EES10_S11_S12_S13_S17_S18_S19_S1C_S1D_jS1E_jS1F_S1F_jjS1H_bEUljE0_EEES10_S11_S12_S19_S1D_S1F_T6_T7_T9_mT8_S1H_bDpT10_ENKUlT_T0_E_clISt17integral_constantIbLb1EES1U_IbLb0EEEEDaS1Q_S1R_EUlS1Q_E_NS1_11comp_targetILNS1_3genE2ELNS1_11target_archE906ELNS1_3gpuE6ELNS1_3repE0EEENS1_30default_config_static_selectorELNS0_4arch9wavefront6targetE0EEEvS13_
; %bb.0:
	.section	.rodata,"a",@progbits
	.p2align	6, 0x0
	.amdhsa_kernel _ZN7rocprim17ROCPRIM_400000_NS6detail17trampoline_kernelINS0_13select_configILj256ELj13ELNS0_17block_load_methodE3ELS4_3ELS4_3ELNS0_20block_scan_algorithmE0ELj4294967295EEENS1_25partition_config_selectorILNS1_17partition_subalgoE4EjNS0_10empty_typeEbEEZZNS1_14partition_implILS8_4ELb0ES6_15HIP_vector_typeIjLj2EENS0_17counting_iteratorIjlEEPS9_SG_NS0_5tupleIJPjSI_NS0_16reverse_iteratorISI_EEEEENSH_IJSG_SG_SG_EEES9_SI_JZNS1_25segmented_radix_sort_implINS0_14default_configELb0EPK6__halfPSP_PKlPlN2at6native12_GLOBAL__N_18offset_tEEE10hipError_tPvRmT1_PNSt15iterator_traitsIS13_E10value_typeET2_T3_PNS14_IS19_E10value_typeET4_jRbjT5_S1F_jjP12ihipStream_tbEUljE_ZNSN_ISO_Lb0ESR_SS_SU_SV_SZ_EES10_S11_S12_S13_S17_S18_S19_S1C_S1D_jS1E_jS1F_S1F_jjS1H_bEUljE0_EEES10_S11_S12_S19_S1D_S1F_T6_T7_T9_mT8_S1H_bDpT10_ENKUlT_T0_E_clISt17integral_constantIbLb1EES1U_IbLb0EEEEDaS1Q_S1R_EUlS1Q_E_NS1_11comp_targetILNS1_3genE2ELNS1_11target_archE906ELNS1_3gpuE6ELNS1_3repE0EEENS1_30default_config_static_selectorELNS0_4arch9wavefront6targetE0EEEvS13_
		.amdhsa_group_segment_fixed_size 0
		.amdhsa_private_segment_fixed_size 0
		.amdhsa_kernarg_size 176
		.amdhsa_user_sgpr_count 6
		.amdhsa_user_sgpr_private_segment_buffer 1
		.amdhsa_user_sgpr_dispatch_ptr 0
		.amdhsa_user_sgpr_queue_ptr 0
		.amdhsa_user_sgpr_kernarg_segment_ptr 1
		.amdhsa_user_sgpr_dispatch_id 0
		.amdhsa_user_sgpr_flat_scratch_init 0
		.amdhsa_user_sgpr_private_segment_size 0
		.amdhsa_wavefront_size32 1
		.amdhsa_uses_dynamic_stack 0
		.amdhsa_system_sgpr_private_segment_wavefront_offset 0
		.amdhsa_system_sgpr_workgroup_id_x 1
		.amdhsa_system_sgpr_workgroup_id_y 0
		.amdhsa_system_sgpr_workgroup_id_z 0
		.amdhsa_system_sgpr_workgroup_info 0
		.amdhsa_system_vgpr_workitem_id 0
		.amdhsa_next_free_vgpr 1
		.amdhsa_next_free_sgpr 1
		.amdhsa_reserve_vcc 0
		.amdhsa_reserve_flat_scratch 0
		.amdhsa_float_round_mode_32 0
		.amdhsa_float_round_mode_16_64 0
		.amdhsa_float_denorm_mode_32 3
		.amdhsa_float_denorm_mode_16_64 3
		.amdhsa_dx10_clamp 1
		.amdhsa_ieee_mode 1
		.amdhsa_fp16_overflow 0
		.amdhsa_workgroup_processor_mode 1
		.amdhsa_memory_ordered 1
		.amdhsa_forward_progress 1
		.amdhsa_shared_vgpr_count 0
		.amdhsa_exception_fp_ieee_invalid_op 0
		.amdhsa_exception_fp_denorm_src 0
		.amdhsa_exception_fp_ieee_div_zero 0
		.amdhsa_exception_fp_ieee_overflow 0
		.amdhsa_exception_fp_ieee_underflow 0
		.amdhsa_exception_fp_ieee_inexact 0
		.amdhsa_exception_int_div_zero 0
	.end_amdhsa_kernel
	.section	.text._ZN7rocprim17ROCPRIM_400000_NS6detail17trampoline_kernelINS0_13select_configILj256ELj13ELNS0_17block_load_methodE3ELS4_3ELS4_3ELNS0_20block_scan_algorithmE0ELj4294967295EEENS1_25partition_config_selectorILNS1_17partition_subalgoE4EjNS0_10empty_typeEbEEZZNS1_14partition_implILS8_4ELb0ES6_15HIP_vector_typeIjLj2EENS0_17counting_iteratorIjlEEPS9_SG_NS0_5tupleIJPjSI_NS0_16reverse_iteratorISI_EEEEENSH_IJSG_SG_SG_EEES9_SI_JZNS1_25segmented_radix_sort_implINS0_14default_configELb0EPK6__halfPSP_PKlPlN2at6native12_GLOBAL__N_18offset_tEEE10hipError_tPvRmT1_PNSt15iterator_traitsIS13_E10value_typeET2_T3_PNS14_IS19_E10value_typeET4_jRbjT5_S1F_jjP12ihipStream_tbEUljE_ZNSN_ISO_Lb0ESR_SS_SU_SV_SZ_EES10_S11_S12_S13_S17_S18_S19_S1C_S1D_jS1E_jS1F_S1F_jjS1H_bEUljE0_EEES10_S11_S12_S19_S1D_S1F_T6_T7_T9_mT8_S1H_bDpT10_ENKUlT_T0_E_clISt17integral_constantIbLb1EES1U_IbLb0EEEEDaS1Q_S1R_EUlS1Q_E_NS1_11comp_targetILNS1_3genE2ELNS1_11target_archE906ELNS1_3gpuE6ELNS1_3repE0EEENS1_30default_config_static_selectorELNS0_4arch9wavefront6targetE0EEEvS13_,"axG",@progbits,_ZN7rocprim17ROCPRIM_400000_NS6detail17trampoline_kernelINS0_13select_configILj256ELj13ELNS0_17block_load_methodE3ELS4_3ELS4_3ELNS0_20block_scan_algorithmE0ELj4294967295EEENS1_25partition_config_selectorILNS1_17partition_subalgoE4EjNS0_10empty_typeEbEEZZNS1_14partition_implILS8_4ELb0ES6_15HIP_vector_typeIjLj2EENS0_17counting_iteratorIjlEEPS9_SG_NS0_5tupleIJPjSI_NS0_16reverse_iteratorISI_EEEEENSH_IJSG_SG_SG_EEES9_SI_JZNS1_25segmented_radix_sort_implINS0_14default_configELb0EPK6__halfPSP_PKlPlN2at6native12_GLOBAL__N_18offset_tEEE10hipError_tPvRmT1_PNSt15iterator_traitsIS13_E10value_typeET2_T3_PNS14_IS19_E10value_typeET4_jRbjT5_S1F_jjP12ihipStream_tbEUljE_ZNSN_ISO_Lb0ESR_SS_SU_SV_SZ_EES10_S11_S12_S13_S17_S18_S19_S1C_S1D_jS1E_jS1F_S1F_jjS1H_bEUljE0_EEES10_S11_S12_S19_S1D_S1F_T6_T7_T9_mT8_S1H_bDpT10_ENKUlT_T0_E_clISt17integral_constantIbLb1EES1U_IbLb0EEEEDaS1Q_S1R_EUlS1Q_E_NS1_11comp_targetILNS1_3genE2ELNS1_11target_archE906ELNS1_3gpuE6ELNS1_3repE0EEENS1_30default_config_static_selectorELNS0_4arch9wavefront6targetE0EEEvS13_,comdat
.Lfunc_end1788:
	.size	_ZN7rocprim17ROCPRIM_400000_NS6detail17trampoline_kernelINS0_13select_configILj256ELj13ELNS0_17block_load_methodE3ELS4_3ELS4_3ELNS0_20block_scan_algorithmE0ELj4294967295EEENS1_25partition_config_selectorILNS1_17partition_subalgoE4EjNS0_10empty_typeEbEEZZNS1_14partition_implILS8_4ELb0ES6_15HIP_vector_typeIjLj2EENS0_17counting_iteratorIjlEEPS9_SG_NS0_5tupleIJPjSI_NS0_16reverse_iteratorISI_EEEEENSH_IJSG_SG_SG_EEES9_SI_JZNS1_25segmented_radix_sort_implINS0_14default_configELb0EPK6__halfPSP_PKlPlN2at6native12_GLOBAL__N_18offset_tEEE10hipError_tPvRmT1_PNSt15iterator_traitsIS13_E10value_typeET2_T3_PNS14_IS19_E10value_typeET4_jRbjT5_S1F_jjP12ihipStream_tbEUljE_ZNSN_ISO_Lb0ESR_SS_SU_SV_SZ_EES10_S11_S12_S13_S17_S18_S19_S1C_S1D_jS1E_jS1F_S1F_jjS1H_bEUljE0_EEES10_S11_S12_S19_S1D_S1F_T6_T7_T9_mT8_S1H_bDpT10_ENKUlT_T0_E_clISt17integral_constantIbLb1EES1U_IbLb0EEEEDaS1Q_S1R_EUlS1Q_E_NS1_11comp_targetILNS1_3genE2ELNS1_11target_archE906ELNS1_3gpuE6ELNS1_3repE0EEENS1_30default_config_static_selectorELNS0_4arch9wavefront6targetE0EEEvS13_, .Lfunc_end1788-_ZN7rocprim17ROCPRIM_400000_NS6detail17trampoline_kernelINS0_13select_configILj256ELj13ELNS0_17block_load_methodE3ELS4_3ELS4_3ELNS0_20block_scan_algorithmE0ELj4294967295EEENS1_25partition_config_selectorILNS1_17partition_subalgoE4EjNS0_10empty_typeEbEEZZNS1_14partition_implILS8_4ELb0ES6_15HIP_vector_typeIjLj2EENS0_17counting_iteratorIjlEEPS9_SG_NS0_5tupleIJPjSI_NS0_16reverse_iteratorISI_EEEEENSH_IJSG_SG_SG_EEES9_SI_JZNS1_25segmented_radix_sort_implINS0_14default_configELb0EPK6__halfPSP_PKlPlN2at6native12_GLOBAL__N_18offset_tEEE10hipError_tPvRmT1_PNSt15iterator_traitsIS13_E10value_typeET2_T3_PNS14_IS19_E10value_typeET4_jRbjT5_S1F_jjP12ihipStream_tbEUljE_ZNSN_ISO_Lb0ESR_SS_SU_SV_SZ_EES10_S11_S12_S13_S17_S18_S19_S1C_S1D_jS1E_jS1F_S1F_jjS1H_bEUljE0_EEES10_S11_S12_S19_S1D_S1F_T6_T7_T9_mT8_S1H_bDpT10_ENKUlT_T0_E_clISt17integral_constantIbLb1EES1U_IbLb0EEEEDaS1Q_S1R_EUlS1Q_E_NS1_11comp_targetILNS1_3genE2ELNS1_11target_archE906ELNS1_3gpuE6ELNS1_3repE0EEENS1_30default_config_static_selectorELNS0_4arch9wavefront6targetE0EEEvS13_
                                        ; -- End function
	.set _ZN7rocprim17ROCPRIM_400000_NS6detail17trampoline_kernelINS0_13select_configILj256ELj13ELNS0_17block_load_methodE3ELS4_3ELS4_3ELNS0_20block_scan_algorithmE0ELj4294967295EEENS1_25partition_config_selectorILNS1_17partition_subalgoE4EjNS0_10empty_typeEbEEZZNS1_14partition_implILS8_4ELb0ES6_15HIP_vector_typeIjLj2EENS0_17counting_iteratorIjlEEPS9_SG_NS0_5tupleIJPjSI_NS0_16reverse_iteratorISI_EEEEENSH_IJSG_SG_SG_EEES9_SI_JZNS1_25segmented_radix_sort_implINS0_14default_configELb0EPK6__halfPSP_PKlPlN2at6native12_GLOBAL__N_18offset_tEEE10hipError_tPvRmT1_PNSt15iterator_traitsIS13_E10value_typeET2_T3_PNS14_IS19_E10value_typeET4_jRbjT5_S1F_jjP12ihipStream_tbEUljE_ZNSN_ISO_Lb0ESR_SS_SU_SV_SZ_EES10_S11_S12_S13_S17_S18_S19_S1C_S1D_jS1E_jS1F_S1F_jjS1H_bEUljE0_EEES10_S11_S12_S19_S1D_S1F_T6_T7_T9_mT8_S1H_bDpT10_ENKUlT_T0_E_clISt17integral_constantIbLb1EES1U_IbLb0EEEEDaS1Q_S1R_EUlS1Q_E_NS1_11comp_targetILNS1_3genE2ELNS1_11target_archE906ELNS1_3gpuE6ELNS1_3repE0EEENS1_30default_config_static_selectorELNS0_4arch9wavefront6targetE0EEEvS13_.num_vgpr, 0
	.set _ZN7rocprim17ROCPRIM_400000_NS6detail17trampoline_kernelINS0_13select_configILj256ELj13ELNS0_17block_load_methodE3ELS4_3ELS4_3ELNS0_20block_scan_algorithmE0ELj4294967295EEENS1_25partition_config_selectorILNS1_17partition_subalgoE4EjNS0_10empty_typeEbEEZZNS1_14partition_implILS8_4ELb0ES6_15HIP_vector_typeIjLj2EENS0_17counting_iteratorIjlEEPS9_SG_NS0_5tupleIJPjSI_NS0_16reverse_iteratorISI_EEEEENSH_IJSG_SG_SG_EEES9_SI_JZNS1_25segmented_radix_sort_implINS0_14default_configELb0EPK6__halfPSP_PKlPlN2at6native12_GLOBAL__N_18offset_tEEE10hipError_tPvRmT1_PNSt15iterator_traitsIS13_E10value_typeET2_T3_PNS14_IS19_E10value_typeET4_jRbjT5_S1F_jjP12ihipStream_tbEUljE_ZNSN_ISO_Lb0ESR_SS_SU_SV_SZ_EES10_S11_S12_S13_S17_S18_S19_S1C_S1D_jS1E_jS1F_S1F_jjS1H_bEUljE0_EEES10_S11_S12_S19_S1D_S1F_T6_T7_T9_mT8_S1H_bDpT10_ENKUlT_T0_E_clISt17integral_constantIbLb1EES1U_IbLb0EEEEDaS1Q_S1R_EUlS1Q_E_NS1_11comp_targetILNS1_3genE2ELNS1_11target_archE906ELNS1_3gpuE6ELNS1_3repE0EEENS1_30default_config_static_selectorELNS0_4arch9wavefront6targetE0EEEvS13_.num_agpr, 0
	.set _ZN7rocprim17ROCPRIM_400000_NS6detail17trampoline_kernelINS0_13select_configILj256ELj13ELNS0_17block_load_methodE3ELS4_3ELS4_3ELNS0_20block_scan_algorithmE0ELj4294967295EEENS1_25partition_config_selectorILNS1_17partition_subalgoE4EjNS0_10empty_typeEbEEZZNS1_14partition_implILS8_4ELb0ES6_15HIP_vector_typeIjLj2EENS0_17counting_iteratorIjlEEPS9_SG_NS0_5tupleIJPjSI_NS0_16reverse_iteratorISI_EEEEENSH_IJSG_SG_SG_EEES9_SI_JZNS1_25segmented_radix_sort_implINS0_14default_configELb0EPK6__halfPSP_PKlPlN2at6native12_GLOBAL__N_18offset_tEEE10hipError_tPvRmT1_PNSt15iterator_traitsIS13_E10value_typeET2_T3_PNS14_IS19_E10value_typeET4_jRbjT5_S1F_jjP12ihipStream_tbEUljE_ZNSN_ISO_Lb0ESR_SS_SU_SV_SZ_EES10_S11_S12_S13_S17_S18_S19_S1C_S1D_jS1E_jS1F_S1F_jjS1H_bEUljE0_EEES10_S11_S12_S19_S1D_S1F_T6_T7_T9_mT8_S1H_bDpT10_ENKUlT_T0_E_clISt17integral_constantIbLb1EES1U_IbLb0EEEEDaS1Q_S1R_EUlS1Q_E_NS1_11comp_targetILNS1_3genE2ELNS1_11target_archE906ELNS1_3gpuE6ELNS1_3repE0EEENS1_30default_config_static_selectorELNS0_4arch9wavefront6targetE0EEEvS13_.numbered_sgpr, 0
	.set _ZN7rocprim17ROCPRIM_400000_NS6detail17trampoline_kernelINS0_13select_configILj256ELj13ELNS0_17block_load_methodE3ELS4_3ELS4_3ELNS0_20block_scan_algorithmE0ELj4294967295EEENS1_25partition_config_selectorILNS1_17partition_subalgoE4EjNS0_10empty_typeEbEEZZNS1_14partition_implILS8_4ELb0ES6_15HIP_vector_typeIjLj2EENS0_17counting_iteratorIjlEEPS9_SG_NS0_5tupleIJPjSI_NS0_16reverse_iteratorISI_EEEEENSH_IJSG_SG_SG_EEES9_SI_JZNS1_25segmented_radix_sort_implINS0_14default_configELb0EPK6__halfPSP_PKlPlN2at6native12_GLOBAL__N_18offset_tEEE10hipError_tPvRmT1_PNSt15iterator_traitsIS13_E10value_typeET2_T3_PNS14_IS19_E10value_typeET4_jRbjT5_S1F_jjP12ihipStream_tbEUljE_ZNSN_ISO_Lb0ESR_SS_SU_SV_SZ_EES10_S11_S12_S13_S17_S18_S19_S1C_S1D_jS1E_jS1F_S1F_jjS1H_bEUljE0_EEES10_S11_S12_S19_S1D_S1F_T6_T7_T9_mT8_S1H_bDpT10_ENKUlT_T0_E_clISt17integral_constantIbLb1EES1U_IbLb0EEEEDaS1Q_S1R_EUlS1Q_E_NS1_11comp_targetILNS1_3genE2ELNS1_11target_archE906ELNS1_3gpuE6ELNS1_3repE0EEENS1_30default_config_static_selectorELNS0_4arch9wavefront6targetE0EEEvS13_.num_named_barrier, 0
	.set _ZN7rocprim17ROCPRIM_400000_NS6detail17trampoline_kernelINS0_13select_configILj256ELj13ELNS0_17block_load_methodE3ELS4_3ELS4_3ELNS0_20block_scan_algorithmE0ELj4294967295EEENS1_25partition_config_selectorILNS1_17partition_subalgoE4EjNS0_10empty_typeEbEEZZNS1_14partition_implILS8_4ELb0ES6_15HIP_vector_typeIjLj2EENS0_17counting_iteratorIjlEEPS9_SG_NS0_5tupleIJPjSI_NS0_16reverse_iteratorISI_EEEEENSH_IJSG_SG_SG_EEES9_SI_JZNS1_25segmented_radix_sort_implINS0_14default_configELb0EPK6__halfPSP_PKlPlN2at6native12_GLOBAL__N_18offset_tEEE10hipError_tPvRmT1_PNSt15iterator_traitsIS13_E10value_typeET2_T3_PNS14_IS19_E10value_typeET4_jRbjT5_S1F_jjP12ihipStream_tbEUljE_ZNSN_ISO_Lb0ESR_SS_SU_SV_SZ_EES10_S11_S12_S13_S17_S18_S19_S1C_S1D_jS1E_jS1F_S1F_jjS1H_bEUljE0_EEES10_S11_S12_S19_S1D_S1F_T6_T7_T9_mT8_S1H_bDpT10_ENKUlT_T0_E_clISt17integral_constantIbLb1EES1U_IbLb0EEEEDaS1Q_S1R_EUlS1Q_E_NS1_11comp_targetILNS1_3genE2ELNS1_11target_archE906ELNS1_3gpuE6ELNS1_3repE0EEENS1_30default_config_static_selectorELNS0_4arch9wavefront6targetE0EEEvS13_.private_seg_size, 0
	.set _ZN7rocprim17ROCPRIM_400000_NS6detail17trampoline_kernelINS0_13select_configILj256ELj13ELNS0_17block_load_methodE3ELS4_3ELS4_3ELNS0_20block_scan_algorithmE0ELj4294967295EEENS1_25partition_config_selectorILNS1_17partition_subalgoE4EjNS0_10empty_typeEbEEZZNS1_14partition_implILS8_4ELb0ES6_15HIP_vector_typeIjLj2EENS0_17counting_iteratorIjlEEPS9_SG_NS0_5tupleIJPjSI_NS0_16reverse_iteratorISI_EEEEENSH_IJSG_SG_SG_EEES9_SI_JZNS1_25segmented_radix_sort_implINS0_14default_configELb0EPK6__halfPSP_PKlPlN2at6native12_GLOBAL__N_18offset_tEEE10hipError_tPvRmT1_PNSt15iterator_traitsIS13_E10value_typeET2_T3_PNS14_IS19_E10value_typeET4_jRbjT5_S1F_jjP12ihipStream_tbEUljE_ZNSN_ISO_Lb0ESR_SS_SU_SV_SZ_EES10_S11_S12_S13_S17_S18_S19_S1C_S1D_jS1E_jS1F_S1F_jjS1H_bEUljE0_EEES10_S11_S12_S19_S1D_S1F_T6_T7_T9_mT8_S1H_bDpT10_ENKUlT_T0_E_clISt17integral_constantIbLb1EES1U_IbLb0EEEEDaS1Q_S1R_EUlS1Q_E_NS1_11comp_targetILNS1_3genE2ELNS1_11target_archE906ELNS1_3gpuE6ELNS1_3repE0EEENS1_30default_config_static_selectorELNS0_4arch9wavefront6targetE0EEEvS13_.uses_vcc, 0
	.set _ZN7rocprim17ROCPRIM_400000_NS6detail17trampoline_kernelINS0_13select_configILj256ELj13ELNS0_17block_load_methodE3ELS4_3ELS4_3ELNS0_20block_scan_algorithmE0ELj4294967295EEENS1_25partition_config_selectorILNS1_17partition_subalgoE4EjNS0_10empty_typeEbEEZZNS1_14partition_implILS8_4ELb0ES6_15HIP_vector_typeIjLj2EENS0_17counting_iteratorIjlEEPS9_SG_NS0_5tupleIJPjSI_NS0_16reverse_iteratorISI_EEEEENSH_IJSG_SG_SG_EEES9_SI_JZNS1_25segmented_radix_sort_implINS0_14default_configELb0EPK6__halfPSP_PKlPlN2at6native12_GLOBAL__N_18offset_tEEE10hipError_tPvRmT1_PNSt15iterator_traitsIS13_E10value_typeET2_T3_PNS14_IS19_E10value_typeET4_jRbjT5_S1F_jjP12ihipStream_tbEUljE_ZNSN_ISO_Lb0ESR_SS_SU_SV_SZ_EES10_S11_S12_S13_S17_S18_S19_S1C_S1D_jS1E_jS1F_S1F_jjS1H_bEUljE0_EEES10_S11_S12_S19_S1D_S1F_T6_T7_T9_mT8_S1H_bDpT10_ENKUlT_T0_E_clISt17integral_constantIbLb1EES1U_IbLb0EEEEDaS1Q_S1R_EUlS1Q_E_NS1_11comp_targetILNS1_3genE2ELNS1_11target_archE906ELNS1_3gpuE6ELNS1_3repE0EEENS1_30default_config_static_selectorELNS0_4arch9wavefront6targetE0EEEvS13_.uses_flat_scratch, 0
	.set _ZN7rocprim17ROCPRIM_400000_NS6detail17trampoline_kernelINS0_13select_configILj256ELj13ELNS0_17block_load_methodE3ELS4_3ELS4_3ELNS0_20block_scan_algorithmE0ELj4294967295EEENS1_25partition_config_selectorILNS1_17partition_subalgoE4EjNS0_10empty_typeEbEEZZNS1_14partition_implILS8_4ELb0ES6_15HIP_vector_typeIjLj2EENS0_17counting_iteratorIjlEEPS9_SG_NS0_5tupleIJPjSI_NS0_16reverse_iteratorISI_EEEEENSH_IJSG_SG_SG_EEES9_SI_JZNS1_25segmented_radix_sort_implINS0_14default_configELb0EPK6__halfPSP_PKlPlN2at6native12_GLOBAL__N_18offset_tEEE10hipError_tPvRmT1_PNSt15iterator_traitsIS13_E10value_typeET2_T3_PNS14_IS19_E10value_typeET4_jRbjT5_S1F_jjP12ihipStream_tbEUljE_ZNSN_ISO_Lb0ESR_SS_SU_SV_SZ_EES10_S11_S12_S13_S17_S18_S19_S1C_S1D_jS1E_jS1F_S1F_jjS1H_bEUljE0_EEES10_S11_S12_S19_S1D_S1F_T6_T7_T9_mT8_S1H_bDpT10_ENKUlT_T0_E_clISt17integral_constantIbLb1EES1U_IbLb0EEEEDaS1Q_S1R_EUlS1Q_E_NS1_11comp_targetILNS1_3genE2ELNS1_11target_archE906ELNS1_3gpuE6ELNS1_3repE0EEENS1_30default_config_static_selectorELNS0_4arch9wavefront6targetE0EEEvS13_.has_dyn_sized_stack, 0
	.set _ZN7rocprim17ROCPRIM_400000_NS6detail17trampoline_kernelINS0_13select_configILj256ELj13ELNS0_17block_load_methodE3ELS4_3ELS4_3ELNS0_20block_scan_algorithmE0ELj4294967295EEENS1_25partition_config_selectorILNS1_17partition_subalgoE4EjNS0_10empty_typeEbEEZZNS1_14partition_implILS8_4ELb0ES6_15HIP_vector_typeIjLj2EENS0_17counting_iteratorIjlEEPS9_SG_NS0_5tupleIJPjSI_NS0_16reverse_iteratorISI_EEEEENSH_IJSG_SG_SG_EEES9_SI_JZNS1_25segmented_radix_sort_implINS0_14default_configELb0EPK6__halfPSP_PKlPlN2at6native12_GLOBAL__N_18offset_tEEE10hipError_tPvRmT1_PNSt15iterator_traitsIS13_E10value_typeET2_T3_PNS14_IS19_E10value_typeET4_jRbjT5_S1F_jjP12ihipStream_tbEUljE_ZNSN_ISO_Lb0ESR_SS_SU_SV_SZ_EES10_S11_S12_S13_S17_S18_S19_S1C_S1D_jS1E_jS1F_S1F_jjS1H_bEUljE0_EEES10_S11_S12_S19_S1D_S1F_T6_T7_T9_mT8_S1H_bDpT10_ENKUlT_T0_E_clISt17integral_constantIbLb1EES1U_IbLb0EEEEDaS1Q_S1R_EUlS1Q_E_NS1_11comp_targetILNS1_3genE2ELNS1_11target_archE906ELNS1_3gpuE6ELNS1_3repE0EEENS1_30default_config_static_selectorELNS0_4arch9wavefront6targetE0EEEvS13_.has_recursion, 0
	.set _ZN7rocprim17ROCPRIM_400000_NS6detail17trampoline_kernelINS0_13select_configILj256ELj13ELNS0_17block_load_methodE3ELS4_3ELS4_3ELNS0_20block_scan_algorithmE0ELj4294967295EEENS1_25partition_config_selectorILNS1_17partition_subalgoE4EjNS0_10empty_typeEbEEZZNS1_14partition_implILS8_4ELb0ES6_15HIP_vector_typeIjLj2EENS0_17counting_iteratorIjlEEPS9_SG_NS0_5tupleIJPjSI_NS0_16reverse_iteratorISI_EEEEENSH_IJSG_SG_SG_EEES9_SI_JZNS1_25segmented_radix_sort_implINS0_14default_configELb0EPK6__halfPSP_PKlPlN2at6native12_GLOBAL__N_18offset_tEEE10hipError_tPvRmT1_PNSt15iterator_traitsIS13_E10value_typeET2_T3_PNS14_IS19_E10value_typeET4_jRbjT5_S1F_jjP12ihipStream_tbEUljE_ZNSN_ISO_Lb0ESR_SS_SU_SV_SZ_EES10_S11_S12_S13_S17_S18_S19_S1C_S1D_jS1E_jS1F_S1F_jjS1H_bEUljE0_EEES10_S11_S12_S19_S1D_S1F_T6_T7_T9_mT8_S1H_bDpT10_ENKUlT_T0_E_clISt17integral_constantIbLb1EES1U_IbLb0EEEEDaS1Q_S1R_EUlS1Q_E_NS1_11comp_targetILNS1_3genE2ELNS1_11target_archE906ELNS1_3gpuE6ELNS1_3repE0EEENS1_30default_config_static_selectorELNS0_4arch9wavefront6targetE0EEEvS13_.has_indirect_call, 0
	.section	.AMDGPU.csdata,"",@progbits
; Kernel info:
; codeLenInByte = 0
; TotalNumSgprs: 0
; NumVgprs: 0
; ScratchSize: 0
; MemoryBound: 0
; FloatMode: 240
; IeeeMode: 1
; LDSByteSize: 0 bytes/workgroup (compile time only)
; SGPRBlocks: 0
; VGPRBlocks: 0
; NumSGPRsForWavesPerEU: 1
; NumVGPRsForWavesPerEU: 1
; Occupancy: 16
; WaveLimiterHint : 0
; COMPUTE_PGM_RSRC2:SCRATCH_EN: 0
; COMPUTE_PGM_RSRC2:USER_SGPR: 6
; COMPUTE_PGM_RSRC2:TRAP_HANDLER: 0
; COMPUTE_PGM_RSRC2:TGID_X_EN: 1
; COMPUTE_PGM_RSRC2:TGID_Y_EN: 0
; COMPUTE_PGM_RSRC2:TGID_Z_EN: 0
; COMPUTE_PGM_RSRC2:TIDIG_COMP_CNT: 0
	.section	.text._ZN7rocprim17ROCPRIM_400000_NS6detail17trampoline_kernelINS0_13select_configILj256ELj13ELNS0_17block_load_methodE3ELS4_3ELS4_3ELNS0_20block_scan_algorithmE0ELj4294967295EEENS1_25partition_config_selectorILNS1_17partition_subalgoE4EjNS0_10empty_typeEbEEZZNS1_14partition_implILS8_4ELb0ES6_15HIP_vector_typeIjLj2EENS0_17counting_iteratorIjlEEPS9_SG_NS0_5tupleIJPjSI_NS0_16reverse_iteratorISI_EEEEENSH_IJSG_SG_SG_EEES9_SI_JZNS1_25segmented_radix_sort_implINS0_14default_configELb0EPK6__halfPSP_PKlPlN2at6native12_GLOBAL__N_18offset_tEEE10hipError_tPvRmT1_PNSt15iterator_traitsIS13_E10value_typeET2_T3_PNS14_IS19_E10value_typeET4_jRbjT5_S1F_jjP12ihipStream_tbEUljE_ZNSN_ISO_Lb0ESR_SS_SU_SV_SZ_EES10_S11_S12_S13_S17_S18_S19_S1C_S1D_jS1E_jS1F_S1F_jjS1H_bEUljE0_EEES10_S11_S12_S19_S1D_S1F_T6_T7_T9_mT8_S1H_bDpT10_ENKUlT_T0_E_clISt17integral_constantIbLb1EES1U_IbLb0EEEEDaS1Q_S1R_EUlS1Q_E_NS1_11comp_targetILNS1_3genE10ELNS1_11target_archE1200ELNS1_3gpuE4ELNS1_3repE0EEENS1_30default_config_static_selectorELNS0_4arch9wavefront6targetE0EEEvS13_,"axG",@progbits,_ZN7rocprim17ROCPRIM_400000_NS6detail17trampoline_kernelINS0_13select_configILj256ELj13ELNS0_17block_load_methodE3ELS4_3ELS4_3ELNS0_20block_scan_algorithmE0ELj4294967295EEENS1_25partition_config_selectorILNS1_17partition_subalgoE4EjNS0_10empty_typeEbEEZZNS1_14partition_implILS8_4ELb0ES6_15HIP_vector_typeIjLj2EENS0_17counting_iteratorIjlEEPS9_SG_NS0_5tupleIJPjSI_NS0_16reverse_iteratorISI_EEEEENSH_IJSG_SG_SG_EEES9_SI_JZNS1_25segmented_radix_sort_implINS0_14default_configELb0EPK6__halfPSP_PKlPlN2at6native12_GLOBAL__N_18offset_tEEE10hipError_tPvRmT1_PNSt15iterator_traitsIS13_E10value_typeET2_T3_PNS14_IS19_E10value_typeET4_jRbjT5_S1F_jjP12ihipStream_tbEUljE_ZNSN_ISO_Lb0ESR_SS_SU_SV_SZ_EES10_S11_S12_S13_S17_S18_S19_S1C_S1D_jS1E_jS1F_S1F_jjS1H_bEUljE0_EEES10_S11_S12_S19_S1D_S1F_T6_T7_T9_mT8_S1H_bDpT10_ENKUlT_T0_E_clISt17integral_constantIbLb1EES1U_IbLb0EEEEDaS1Q_S1R_EUlS1Q_E_NS1_11comp_targetILNS1_3genE10ELNS1_11target_archE1200ELNS1_3gpuE4ELNS1_3repE0EEENS1_30default_config_static_selectorELNS0_4arch9wavefront6targetE0EEEvS13_,comdat
	.globl	_ZN7rocprim17ROCPRIM_400000_NS6detail17trampoline_kernelINS0_13select_configILj256ELj13ELNS0_17block_load_methodE3ELS4_3ELS4_3ELNS0_20block_scan_algorithmE0ELj4294967295EEENS1_25partition_config_selectorILNS1_17partition_subalgoE4EjNS0_10empty_typeEbEEZZNS1_14partition_implILS8_4ELb0ES6_15HIP_vector_typeIjLj2EENS0_17counting_iteratorIjlEEPS9_SG_NS0_5tupleIJPjSI_NS0_16reverse_iteratorISI_EEEEENSH_IJSG_SG_SG_EEES9_SI_JZNS1_25segmented_radix_sort_implINS0_14default_configELb0EPK6__halfPSP_PKlPlN2at6native12_GLOBAL__N_18offset_tEEE10hipError_tPvRmT1_PNSt15iterator_traitsIS13_E10value_typeET2_T3_PNS14_IS19_E10value_typeET4_jRbjT5_S1F_jjP12ihipStream_tbEUljE_ZNSN_ISO_Lb0ESR_SS_SU_SV_SZ_EES10_S11_S12_S13_S17_S18_S19_S1C_S1D_jS1E_jS1F_S1F_jjS1H_bEUljE0_EEES10_S11_S12_S19_S1D_S1F_T6_T7_T9_mT8_S1H_bDpT10_ENKUlT_T0_E_clISt17integral_constantIbLb1EES1U_IbLb0EEEEDaS1Q_S1R_EUlS1Q_E_NS1_11comp_targetILNS1_3genE10ELNS1_11target_archE1200ELNS1_3gpuE4ELNS1_3repE0EEENS1_30default_config_static_selectorELNS0_4arch9wavefront6targetE0EEEvS13_ ; -- Begin function _ZN7rocprim17ROCPRIM_400000_NS6detail17trampoline_kernelINS0_13select_configILj256ELj13ELNS0_17block_load_methodE3ELS4_3ELS4_3ELNS0_20block_scan_algorithmE0ELj4294967295EEENS1_25partition_config_selectorILNS1_17partition_subalgoE4EjNS0_10empty_typeEbEEZZNS1_14partition_implILS8_4ELb0ES6_15HIP_vector_typeIjLj2EENS0_17counting_iteratorIjlEEPS9_SG_NS0_5tupleIJPjSI_NS0_16reverse_iteratorISI_EEEEENSH_IJSG_SG_SG_EEES9_SI_JZNS1_25segmented_radix_sort_implINS0_14default_configELb0EPK6__halfPSP_PKlPlN2at6native12_GLOBAL__N_18offset_tEEE10hipError_tPvRmT1_PNSt15iterator_traitsIS13_E10value_typeET2_T3_PNS14_IS19_E10value_typeET4_jRbjT5_S1F_jjP12ihipStream_tbEUljE_ZNSN_ISO_Lb0ESR_SS_SU_SV_SZ_EES10_S11_S12_S13_S17_S18_S19_S1C_S1D_jS1E_jS1F_S1F_jjS1H_bEUljE0_EEES10_S11_S12_S19_S1D_S1F_T6_T7_T9_mT8_S1H_bDpT10_ENKUlT_T0_E_clISt17integral_constantIbLb1EES1U_IbLb0EEEEDaS1Q_S1R_EUlS1Q_E_NS1_11comp_targetILNS1_3genE10ELNS1_11target_archE1200ELNS1_3gpuE4ELNS1_3repE0EEENS1_30default_config_static_selectorELNS0_4arch9wavefront6targetE0EEEvS13_
	.p2align	8
	.type	_ZN7rocprim17ROCPRIM_400000_NS6detail17trampoline_kernelINS0_13select_configILj256ELj13ELNS0_17block_load_methodE3ELS4_3ELS4_3ELNS0_20block_scan_algorithmE0ELj4294967295EEENS1_25partition_config_selectorILNS1_17partition_subalgoE4EjNS0_10empty_typeEbEEZZNS1_14partition_implILS8_4ELb0ES6_15HIP_vector_typeIjLj2EENS0_17counting_iteratorIjlEEPS9_SG_NS0_5tupleIJPjSI_NS0_16reverse_iteratorISI_EEEEENSH_IJSG_SG_SG_EEES9_SI_JZNS1_25segmented_radix_sort_implINS0_14default_configELb0EPK6__halfPSP_PKlPlN2at6native12_GLOBAL__N_18offset_tEEE10hipError_tPvRmT1_PNSt15iterator_traitsIS13_E10value_typeET2_T3_PNS14_IS19_E10value_typeET4_jRbjT5_S1F_jjP12ihipStream_tbEUljE_ZNSN_ISO_Lb0ESR_SS_SU_SV_SZ_EES10_S11_S12_S13_S17_S18_S19_S1C_S1D_jS1E_jS1F_S1F_jjS1H_bEUljE0_EEES10_S11_S12_S19_S1D_S1F_T6_T7_T9_mT8_S1H_bDpT10_ENKUlT_T0_E_clISt17integral_constantIbLb1EES1U_IbLb0EEEEDaS1Q_S1R_EUlS1Q_E_NS1_11comp_targetILNS1_3genE10ELNS1_11target_archE1200ELNS1_3gpuE4ELNS1_3repE0EEENS1_30default_config_static_selectorELNS0_4arch9wavefront6targetE0EEEvS13_,@function
_ZN7rocprim17ROCPRIM_400000_NS6detail17trampoline_kernelINS0_13select_configILj256ELj13ELNS0_17block_load_methodE3ELS4_3ELS4_3ELNS0_20block_scan_algorithmE0ELj4294967295EEENS1_25partition_config_selectorILNS1_17partition_subalgoE4EjNS0_10empty_typeEbEEZZNS1_14partition_implILS8_4ELb0ES6_15HIP_vector_typeIjLj2EENS0_17counting_iteratorIjlEEPS9_SG_NS0_5tupleIJPjSI_NS0_16reverse_iteratorISI_EEEEENSH_IJSG_SG_SG_EEES9_SI_JZNS1_25segmented_radix_sort_implINS0_14default_configELb0EPK6__halfPSP_PKlPlN2at6native12_GLOBAL__N_18offset_tEEE10hipError_tPvRmT1_PNSt15iterator_traitsIS13_E10value_typeET2_T3_PNS14_IS19_E10value_typeET4_jRbjT5_S1F_jjP12ihipStream_tbEUljE_ZNSN_ISO_Lb0ESR_SS_SU_SV_SZ_EES10_S11_S12_S13_S17_S18_S19_S1C_S1D_jS1E_jS1F_S1F_jjS1H_bEUljE0_EEES10_S11_S12_S19_S1D_S1F_T6_T7_T9_mT8_S1H_bDpT10_ENKUlT_T0_E_clISt17integral_constantIbLb1EES1U_IbLb0EEEEDaS1Q_S1R_EUlS1Q_E_NS1_11comp_targetILNS1_3genE10ELNS1_11target_archE1200ELNS1_3gpuE4ELNS1_3repE0EEENS1_30default_config_static_selectorELNS0_4arch9wavefront6targetE0EEEvS13_: ; @_ZN7rocprim17ROCPRIM_400000_NS6detail17trampoline_kernelINS0_13select_configILj256ELj13ELNS0_17block_load_methodE3ELS4_3ELS4_3ELNS0_20block_scan_algorithmE0ELj4294967295EEENS1_25partition_config_selectorILNS1_17partition_subalgoE4EjNS0_10empty_typeEbEEZZNS1_14partition_implILS8_4ELb0ES6_15HIP_vector_typeIjLj2EENS0_17counting_iteratorIjlEEPS9_SG_NS0_5tupleIJPjSI_NS0_16reverse_iteratorISI_EEEEENSH_IJSG_SG_SG_EEES9_SI_JZNS1_25segmented_radix_sort_implINS0_14default_configELb0EPK6__halfPSP_PKlPlN2at6native12_GLOBAL__N_18offset_tEEE10hipError_tPvRmT1_PNSt15iterator_traitsIS13_E10value_typeET2_T3_PNS14_IS19_E10value_typeET4_jRbjT5_S1F_jjP12ihipStream_tbEUljE_ZNSN_ISO_Lb0ESR_SS_SU_SV_SZ_EES10_S11_S12_S13_S17_S18_S19_S1C_S1D_jS1E_jS1F_S1F_jjS1H_bEUljE0_EEES10_S11_S12_S19_S1D_S1F_T6_T7_T9_mT8_S1H_bDpT10_ENKUlT_T0_E_clISt17integral_constantIbLb1EES1U_IbLb0EEEEDaS1Q_S1R_EUlS1Q_E_NS1_11comp_targetILNS1_3genE10ELNS1_11target_archE1200ELNS1_3gpuE4ELNS1_3repE0EEENS1_30default_config_static_selectorELNS0_4arch9wavefront6targetE0EEEvS13_
; %bb.0:
	.section	.rodata,"a",@progbits
	.p2align	6, 0x0
	.amdhsa_kernel _ZN7rocprim17ROCPRIM_400000_NS6detail17trampoline_kernelINS0_13select_configILj256ELj13ELNS0_17block_load_methodE3ELS4_3ELS4_3ELNS0_20block_scan_algorithmE0ELj4294967295EEENS1_25partition_config_selectorILNS1_17partition_subalgoE4EjNS0_10empty_typeEbEEZZNS1_14partition_implILS8_4ELb0ES6_15HIP_vector_typeIjLj2EENS0_17counting_iteratorIjlEEPS9_SG_NS0_5tupleIJPjSI_NS0_16reverse_iteratorISI_EEEEENSH_IJSG_SG_SG_EEES9_SI_JZNS1_25segmented_radix_sort_implINS0_14default_configELb0EPK6__halfPSP_PKlPlN2at6native12_GLOBAL__N_18offset_tEEE10hipError_tPvRmT1_PNSt15iterator_traitsIS13_E10value_typeET2_T3_PNS14_IS19_E10value_typeET4_jRbjT5_S1F_jjP12ihipStream_tbEUljE_ZNSN_ISO_Lb0ESR_SS_SU_SV_SZ_EES10_S11_S12_S13_S17_S18_S19_S1C_S1D_jS1E_jS1F_S1F_jjS1H_bEUljE0_EEES10_S11_S12_S19_S1D_S1F_T6_T7_T9_mT8_S1H_bDpT10_ENKUlT_T0_E_clISt17integral_constantIbLb1EES1U_IbLb0EEEEDaS1Q_S1R_EUlS1Q_E_NS1_11comp_targetILNS1_3genE10ELNS1_11target_archE1200ELNS1_3gpuE4ELNS1_3repE0EEENS1_30default_config_static_selectorELNS0_4arch9wavefront6targetE0EEEvS13_
		.amdhsa_group_segment_fixed_size 0
		.amdhsa_private_segment_fixed_size 0
		.amdhsa_kernarg_size 176
		.amdhsa_user_sgpr_count 6
		.amdhsa_user_sgpr_private_segment_buffer 1
		.amdhsa_user_sgpr_dispatch_ptr 0
		.amdhsa_user_sgpr_queue_ptr 0
		.amdhsa_user_sgpr_kernarg_segment_ptr 1
		.amdhsa_user_sgpr_dispatch_id 0
		.amdhsa_user_sgpr_flat_scratch_init 0
		.amdhsa_user_sgpr_private_segment_size 0
		.amdhsa_wavefront_size32 1
		.amdhsa_uses_dynamic_stack 0
		.amdhsa_system_sgpr_private_segment_wavefront_offset 0
		.amdhsa_system_sgpr_workgroup_id_x 1
		.amdhsa_system_sgpr_workgroup_id_y 0
		.amdhsa_system_sgpr_workgroup_id_z 0
		.amdhsa_system_sgpr_workgroup_info 0
		.amdhsa_system_vgpr_workitem_id 0
		.amdhsa_next_free_vgpr 1
		.amdhsa_next_free_sgpr 1
		.amdhsa_reserve_vcc 0
		.amdhsa_reserve_flat_scratch 0
		.amdhsa_float_round_mode_32 0
		.amdhsa_float_round_mode_16_64 0
		.amdhsa_float_denorm_mode_32 3
		.amdhsa_float_denorm_mode_16_64 3
		.amdhsa_dx10_clamp 1
		.amdhsa_ieee_mode 1
		.amdhsa_fp16_overflow 0
		.amdhsa_workgroup_processor_mode 1
		.amdhsa_memory_ordered 1
		.amdhsa_forward_progress 1
		.amdhsa_shared_vgpr_count 0
		.amdhsa_exception_fp_ieee_invalid_op 0
		.amdhsa_exception_fp_denorm_src 0
		.amdhsa_exception_fp_ieee_div_zero 0
		.amdhsa_exception_fp_ieee_overflow 0
		.amdhsa_exception_fp_ieee_underflow 0
		.amdhsa_exception_fp_ieee_inexact 0
		.amdhsa_exception_int_div_zero 0
	.end_amdhsa_kernel
	.section	.text._ZN7rocprim17ROCPRIM_400000_NS6detail17trampoline_kernelINS0_13select_configILj256ELj13ELNS0_17block_load_methodE3ELS4_3ELS4_3ELNS0_20block_scan_algorithmE0ELj4294967295EEENS1_25partition_config_selectorILNS1_17partition_subalgoE4EjNS0_10empty_typeEbEEZZNS1_14partition_implILS8_4ELb0ES6_15HIP_vector_typeIjLj2EENS0_17counting_iteratorIjlEEPS9_SG_NS0_5tupleIJPjSI_NS0_16reverse_iteratorISI_EEEEENSH_IJSG_SG_SG_EEES9_SI_JZNS1_25segmented_radix_sort_implINS0_14default_configELb0EPK6__halfPSP_PKlPlN2at6native12_GLOBAL__N_18offset_tEEE10hipError_tPvRmT1_PNSt15iterator_traitsIS13_E10value_typeET2_T3_PNS14_IS19_E10value_typeET4_jRbjT5_S1F_jjP12ihipStream_tbEUljE_ZNSN_ISO_Lb0ESR_SS_SU_SV_SZ_EES10_S11_S12_S13_S17_S18_S19_S1C_S1D_jS1E_jS1F_S1F_jjS1H_bEUljE0_EEES10_S11_S12_S19_S1D_S1F_T6_T7_T9_mT8_S1H_bDpT10_ENKUlT_T0_E_clISt17integral_constantIbLb1EES1U_IbLb0EEEEDaS1Q_S1R_EUlS1Q_E_NS1_11comp_targetILNS1_3genE10ELNS1_11target_archE1200ELNS1_3gpuE4ELNS1_3repE0EEENS1_30default_config_static_selectorELNS0_4arch9wavefront6targetE0EEEvS13_,"axG",@progbits,_ZN7rocprim17ROCPRIM_400000_NS6detail17trampoline_kernelINS0_13select_configILj256ELj13ELNS0_17block_load_methodE3ELS4_3ELS4_3ELNS0_20block_scan_algorithmE0ELj4294967295EEENS1_25partition_config_selectorILNS1_17partition_subalgoE4EjNS0_10empty_typeEbEEZZNS1_14partition_implILS8_4ELb0ES6_15HIP_vector_typeIjLj2EENS0_17counting_iteratorIjlEEPS9_SG_NS0_5tupleIJPjSI_NS0_16reverse_iteratorISI_EEEEENSH_IJSG_SG_SG_EEES9_SI_JZNS1_25segmented_radix_sort_implINS0_14default_configELb0EPK6__halfPSP_PKlPlN2at6native12_GLOBAL__N_18offset_tEEE10hipError_tPvRmT1_PNSt15iterator_traitsIS13_E10value_typeET2_T3_PNS14_IS19_E10value_typeET4_jRbjT5_S1F_jjP12ihipStream_tbEUljE_ZNSN_ISO_Lb0ESR_SS_SU_SV_SZ_EES10_S11_S12_S13_S17_S18_S19_S1C_S1D_jS1E_jS1F_S1F_jjS1H_bEUljE0_EEES10_S11_S12_S19_S1D_S1F_T6_T7_T9_mT8_S1H_bDpT10_ENKUlT_T0_E_clISt17integral_constantIbLb1EES1U_IbLb0EEEEDaS1Q_S1R_EUlS1Q_E_NS1_11comp_targetILNS1_3genE10ELNS1_11target_archE1200ELNS1_3gpuE4ELNS1_3repE0EEENS1_30default_config_static_selectorELNS0_4arch9wavefront6targetE0EEEvS13_,comdat
.Lfunc_end1789:
	.size	_ZN7rocprim17ROCPRIM_400000_NS6detail17trampoline_kernelINS0_13select_configILj256ELj13ELNS0_17block_load_methodE3ELS4_3ELS4_3ELNS0_20block_scan_algorithmE0ELj4294967295EEENS1_25partition_config_selectorILNS1_17partition_subalgoE4EjNS0_10empty_typeEbEEZZNS1_14partition_implILS8_4ELb0ES6_15HIP_vector_typeIjLj2EENS0_17counting_iteratorIjlEEPS9_SG_NS0_5tupleIJPjSI_NS0_16reverse_iteratorISI_EEEEENSH_IJSG_SG_SG_EEES9_SI_JZNS1_25segmented_radix_sort_implINS0_14default_configELb0EPK6__halfPSP_PKlPlN2at6native12_GLOBAL__N_18offset_tEEE10hipError_tPvRmT1_PNSt15iterator_traitsIS13_E10value_typeET2_T3_PNS14_IS19_E10value_typeET4_jRbjT5_S1F_jjP12ihipStream_tbEUljE_ZNSN_ISO_Lb0ESR_SS_SU_SV_SZ_EES10_S11_S12_S13_S17_S18_S19_S1C_S1D_jS1E_jS1F_S1F_jjS1H_bEUljE0_EEES10_S11_S12_S19_S1D_S1F_T6_T7_T9_mT8_S1H_bDpT10_ENKUlT_T0_E_clISt17integral_constantIbLb1EES1U_IbLb0EEEEDaS1Q_S1R_EUlS1Q_E_NS1_11comp_targetILNS1_3genE10ELNS1_11target_archE1200ELNS1_3gpuE4ELNS1_3repE0EEENS1_30default_config_static_selectorELNS0_4arch9wavefront6targetE0EEEvS13_, .Lfunc_end1789-_ZN7rocprim17ROCPRIM_400000_NS6detail17trampoline_kernelINS0_13select_configILj256ELj13ELNS0_17block_load_methodE3ELS4_3ELS4_3ELNS0_20block_scan_algorithmE0ELj4294967295EEENS1_25partition_config_selectorILNS1_17partition_subalgoE4EjNS0_10empty_typeEbEEZZNS1_14partition_implILS8_4ELb0ES6_15HIP_vector_typeIjLj2EENS0_17counting_iteratorIjlEEPS9_SG_NS0_5tupleIJPjSI_NS0_16reverse_iteratorISI_EEEEENSH_IJSG_SG_SG_EEES9_SI_JZNS1_25segmented_radix_sort_implINS0_14default_configELb0EPK6__halfPSP_PKlPlN2at6native12_GLOBAL__N_18offset_tEEE10hipError_tPvRmT1_PNSt15iterator_traitsIS13_E10value_typeET2_T3_PNS14_IS19_E10value_typeET4_jRbjT5_S1F_jjP12ihipStream_tbEUljE_ZNSN_ISO_Lb0ESR_SS_SU_SV_SZ_EES10_S11_S12_S13_S17_S18_S19_S1C_S1D_jS1E_jS1F_S1F_jjS1H_bEUljE0_EEES10_S11_S12_S19_S1D_S1F_T6_T7_T9_mT8_S1H_bDpT10_ENKUlT_T0_E_clISt17integral_constantIbLb1EES1U_IbLb0EEEEDaS1Q_S1R_EUlS1Q_E_NS1_11comp_targetILNS1_3genE10ELNS1_11target_archE1200ELNS1_3gpuE4ELNS1_3repE0EEENS1_30default_config_static_selectorELNS0_4arch9wavefront6targetE0EEEvS13_
                                        ; -- End function
	.set _ZN7rocprim17ROCPRIM_400000_NS6detail17trampoline_kernelINS0_13select_configILj256ELj13ELNS0_17block_load_methodE3ELS4_3ELS4_3ELNS0_20block_scan_algorithmE0ELj4294967295EEENS1_25partition_config_selectorILNS1_17partition_subalgoE4EjNS0_10empty_typeEbEEZZNS1_14partition_implILS8_4ELb0ES6_15HIP_vector_typeIjLj2EENS0_17counting_iteratorIjlEEPS9_SG_NS0_5tupleIJPjSI_NS0_16reverse_iteratorISI_EEEEENSH_IJSG_SG_SG_EEES9_SI_JZNS1_25segmented_radix_sort_implINS0_14default_configELb0EPK6__halfPSP_PKlPlN2at6native12_GLOBAL__N_18offset_tEEE10hipError_tPvRmT1_PNSt15iterator_traitsIS13_E10value_typeET2_T3_PNS14_IS19_E10value_typeET4_jRbjT5_S1F_jjP12ihipStream_tbEUljE_ZNSN_ISO_Lb0ESR_SS_SU_SV_SZ_EES10_S11_S12_S13_S17_S18_S19_S1C_S1D_jS1E_jS1F_S1F_jjS1H_bEUljE0_EEES10_S11_S12_S19_S1D_S1F_T6_T7_T9_mT8_S1H_bDpT10_ENKUlT_T0_E_clISt17integral_constantIbLb1EES1U_IbLb0EEEEDaS1Q_S1R_EUlS1Q_E_NS1_11comp_targetILNS1_3genE10ELNS1_11target_archE1200ELNS1_3gpuE4ELNS1_3repE0EEENS1_30default_config_static_selectorELNS0_4arch9wavefront6targetE0EEEvS13_.num_vgpr, 0
	.set _ZN7rocprim17ROCPRIM_400000_NS6detail17trampoline_kernelINS0_13select_configILj256ELj13ELNS0_17block_load_methodE3ELS4_3ELS4_3ELNS0_20block_scan_algorithmE0ELj4294967295EEENS1_25partition_config_selectorILNS1_17partition_subalgoE4EjNS0_10empty_typeEbEEZZNS1_14partition_implILS8_4ELb0ES6_15HIP_vector_typeIjLj2EENS0_17counting_iteratorIjlEEPS9_SG_NS0_5tupleIJPjSI_NS0_16reverse_iteratorISI_EEEEENSH_IJSG_SG_SG_EEES9_SI_JZNS1_25segmented_radix_sort_implINS0_14default_configELb0EPK6__halfPSP_PKlPlN2at6native12_GLOBAL__N_18offset_tEEE10hipError_tPvRmT1_PNSt15iterator_traitsIS13_E10value_typeET2_T3_PNS14_IS19_E10value_typeET4_jRbjT5_S1F_jjP12ihipStream_tbEUljE_ZNSN_ISO_Lb0ESR_SS_SU_SV_SZ_EES10_S11_S12_S13_S17_S18_S19_S1C_S1D_jS1E_jS1F_S1F_jjS1H_bEUljE0_EEES10_S11_S12_S19_S1D_S1F_T6_T7_T9_mT8_S1H_bDpT10_ENKUlT_T0_E_clISt17integral_constantIbLb1EES1U_IbLb0EEEEDaS1Q_S1R_EUlS1Q_E_NS1_11comp_targetILNS1_3genE10ELNS1_11target_archE1200ELNS1_3gpuE4ELNS1_3repE0EEENS1_30default_config_static_selectorELNS0_4arch9wavefront6targetE0EEEvS13_.num_agpr, 0
	.set _ZN7rocprim17ROCPRIM_400000_NS6detail17trampoline_kernelINS0_13select_configILj256ELj13ELNS0_17block_load_methodE3ELS4_3ELS4_3ELNS0_20block_scan_algorithmE0ELj4294967295EEENS1_25partition_config_selectorILNS1_17partition_subalgoE4EjNS0_10empty_typeEbEEZZNS1_14partition_implILS8_4ELb0ES6_15HIP_vector_typeIjLj2EENS0_17counting_iteratorIjlEEPS9_SG_NS0_5tupleIJPjSI_NS0_16reverse_iteratorISI_EEEEENSH_IJSG_SG_SG_EEES9_SI_JZNS1_25segmented_radix_sort_implINS0_14default_configELb0EPK6__halfPSP_PKlPlN2at6native12_GLOBAL__N_18offset_tEEE10hipError_tPvRmT1_PNSt15iterator_traitsIS13_E10value_typeET2_T3_PNS14_IS19_E10value_typeET4_jRbjT5_S1F_jjP12ihipStream_tbEUljE_ZNSN_ISO_Lb0ESR_SS_SU_SV_SZ_EES10_S11_S12_S13_S17_S18_S19_S1C_S1D_jS1E_jS1F_S1F_jjS1H_bEUljE0_EEES10_S11_S12_S19_S1D_S1F_T6_T7_T9_mT8_S1H_bDpT10_ENKUlT_T0_E_clISt17integral_constantIbLb1EES1U_IbLb0EEEEDaS1Q_S1R_EUlS1Q_E_NS1_11comp_targetILNS1_3genE10ELNS1_11target_archE1200ELNS1_3gpuE4ELNS1_3repE0EEENS1_30default_config_static_selectorELNS0_4arch9wavefront6targetE0EEEvS13_.numbered_sgpr, 0
	.set _ZN7rocprim17ROCPRIM_400000_NS6detail17trampoline_kernelINS0_13select_configILj256ELj13ELNS0_17block_load_methodE3ELS4_3ELS4_3ELNS0_20block_scan_algorithmE0ELj4294967295EEENS1_25partition_config_selectorILNS1_17partition_subalgoE4EjNS0_10empty_typeEbEEZZNS1_14partition_implILS8_4ELb0ES6_15HIP_vector_typeIjLj2EENS0_17counting_iteratorIjlEEPS9_SG_NS0_5tupleIJPjSI_NS0_16reverse_iteratorISI_EEEEENSH_IJSG_SG_SG_EEES9_SI_JZNS1_25segmented_radix_sort_implINS0_14default_configELb0EPK6__halfPSP_PKlPlN2at6native12_GLOBAL__N_18offset_tEEE10hipError_tPvRmT1_PNSt15iterator_traitsIS13_E10value_typeET2_T3_PNS14_IS19_E10value_typeET4_jRbjT5_S1F_jjP12ihipStream_tbEUljE_ZNSN_ISO_Lb0ESR_SS_SU_SV_SZ_EES10_S11_S12_S13_S17_S18_S19_S1C_S1D_jS1E_jS1F_S1F_jjS1H_bEUljE0_EEES10_S11_S12_S19_S1D_S1F_T6_T7_T9_mT8_S1H_bDpT10_ENKUlT_T0_E_clISt17integral_constantIbLb1EES1U_IbLb0EEEEDaS1Q_S1R_EUlS1Q_E_NS1_11comp_targetILNS1_3genE10ELNS1_11target_archE1200ELNS1_3gpuE4ELNS1_3repE0EEENS1_30default_config_static_selectorELNS0_4arch9wavefront6targetE0EEEvS13_.num_named_barrier, 0
	.set _ZN7rocprim17ROCPRIM_400000_NS6detail17trampoline_kernelINS0_13select_configILj256ELj13ELNS0_17block_load_methodE3ELS4_3ELS4_3ELNS0_20block_scan_algorithmE0ELj4294967295EEENS1_25partition_config_selectorILNS1_17partition_subalgoE4EjNS0_10empty_typeEbEEZZNS1_14partition_implILS8_4ELb0ES6_15HIP_vector_typeIjLj2EENS0_17counting_iteratorIjlEEPS9_SG_NS0_5tupleIJPjSI_NS0_16reverse_iteratorISI_EEEEENSH_IJSG_SG_SG_EEES9_SI_JZNS1_25segmented_radix_sort_implINS0_14default_configELb0EPK6__halfPSP_PKlPlN2at6native12_GLOBAL__N_18offset_tEEE10hipError_tPvRmT1_PNSt15iterator_traitsIS13_E10value_typeET2_T3_PNS14_IS19_E10value_typeET4_jRbjT5_S1F_jjP12ihipStream_tbEUljE_ZNSN_ISO_Lb0ESR_SS_SU_SV_SZ_EES10_S11_S12_S13_S17_S18_S19_S1C_S1D_jS1E_jS1F_S1F_jjS1H_bEUljE0_EEES10_S11_S12_S19_S1D_S1F_T6_T7_T9_mT8_S1H_bDpT10_ENKUlT_T0_E_clISt17integral_constantIbLb1EES1U_IbLb0EEEEDaS1Q_S1R_EUlS1Q_E_NS1_11comp_targetILNS1_3genE10ELNS1_11target_archE1200ELNS1_3gpuE4ELNS1_3repE0EEENS1_30default_config_static_selectorELNS0_4arch9wavefront6targetE0EEEvS13_.private_seg_size, 0
	.set _ZN7rocprim17ROCPRIM_400000_NS6detail17trampoline_kernelINS0_13select_configILj256ELj13ELNS0_17block_load_methodE3ELS4_3ELS4_3ELNS0_20block_scan_algorithmE0ELj4294967295EEENS1_25partition_config_selectorILNS1_17partition_subalgoE4EjNS0_10empty_typeEbEEZZNS1_14partition_implILS8_4ELb0ES6_15HIP_vector_typeIjLj2EENS0_17counting_iteratorIjlEEPS9_SG_NS0_5tupleIJPjSI_NS0_16reverse_iteratorISI_EEEEENSH_IJSG_SG_SG_EEES9_SI_JZNS1_25segmented_radix_sort_implINS0_14default_configELb0EPK6__halfPSP_PKlPlN2at6native12_GLOBAL__N_18offset_tEEE10hipError_tPvRmT1_PNSt15iterator_traitsIS13_E10value_typeET2_T3_PNS14_IS19_E10value_typeET4_jRbjT5_S1F_jjP12ihipStream_tbEUljE_ZNSN_ISO_Lb0ESR_SS_SU_SV_SZ_EES10_S11_S12_S13_S17_S18_S19_S1C_S1D_jS1E_jS1F_S1F_jjS1H_bEUljE0_EEES10_S11_S12_S19_S1D_S1F_T6_T7_T9_mT8_S1H_bDpT10_ENKUlT_T0_E_clISt17integral_constantIbLb1EES1U_IbLb0EEEEDaS1Q_S1R_EUlS1Q_E_NS1_11comp_targetILNS1_3genE10ELNS1_11target_archE1200ELNS1_3gpuE4ELNS1_3repE0EEENS1_30default_config_static_selectorELNS0_4arch9wavefront6targetE0EEEvS13_.uses_vcc, 0
	.set _ZN7rocprim17ROCPRIM_400000_NS6detail17trampoline_kernelINS0_13select_configILj256ELj13ELNS0_17block_load_methodE3ELS4_3ELS4_3ELNS0_20block_scan_algorithmE0ELj4294967295EEENS1_25partition_config_selectorILNS1_17partition_subalgoE4EjNS0_10empty_typeEbEEZZNS1_14partition_implILS8_4ELb0ES6_15HIP_vector_typeIjLj2EENS0_17counting_iteratorIjlEEPS9_SG_NS0_5tupleIJPjSI_NS0_16reverse_iteratorISI_EEEEENSH_IJSG_SG_SG_EEES9_SI_JZNS1_25segmented_radix_sort_implINS0_14default_configELb0EPK6__halfPSP_PKlPlN2at6native12_GLOBAL__N_18offset_tEEE10hipError_tPvRmT1_PNSt15iterator_traitsIS13_E10value_typeET2_T3_PNS14_IS19_E10value_typeET4_jRbjT5_S1F_jjP12ihipStream_tbEUljE_ZNSN_ISO_Lb0ESR_SS_SU_SV_SZ_EES10_S11_S12_S13_S17_S18_S19_S1C_S1D_jS1E_jS1F_S1F_jjS1H_bEUljE0_EEES10_S11_S12_S19_S1D_S1F_T6_T7_T9_mT8_S1H_bDpT10_ENKUlT_T0_E_clISt17integral_constantIbLb1EES1U_IbLb0EEEEDaS1Q_S1R_EUlS1Q_E_NS1_11comp_targetILNS1_3genE10ELNS1_11target_archE1200ELNS1_3gpuE4ELNS1_3repE0EEENS1_30default_config_static_selectorELNS0_4arch9wavefront6targetE0EEEvS13_.uses_flat_scratch, 0
	.set _ZN7rocprim17ROCPRIM_400000_NS6detail17trampoline_kernelINS0_13select_configILj256ELj13ELNS0_17block_load_methodE3ELS4_3ELS4_3ELNS0_20block_scan_algorithmE0ELj4294967295EEENS1_25partition_config_selectorILNS1_17partition_subalgoE4EjNS0_10empty_typeEbEEZZNS1_14partition_implILS8_4ELb0ES6_15HIP_vector_typeIjLj2EENS0_17counting_iteratorIjlEEPS9_SG_NS0_5tupleIJPjSI_NS0_16reverse_iteratorISI_EEEEENSH_IJSG_SG_SG_EEES9_SI_JZNS1_25segmented_radix_sort_implINS0_14default_configELb0EPK6__halfPSP_PKlPlN2at6native12_GLOBAL__N_18offset_tEEE10hipError_tPvRmT1_PNSt15iterator_traitsIS13_E10value_typeET2_T3_PNS14_IS19_E10value_typeET4_jRbjT5_S1F_jjP12ihipStream_tbEUljE_ZNSN_ISO_Lb0ESR_SS_SU_SV_SZ_EES10_S11_S12_S13_S17_S18_S19_S1C_S1D_jS1E_jS1F_S1F_jjS1H_bEUljE0_EEES10_S11_S12_S19_S1D_S1F_T6_T7_T9_mT8_S1H_bDpT10_ENKUlT_T0_E_clISt17integral_constantIbLb1EES1U_IbLb0EEEEDaS1Q_S1R_EUlS1Q_E_NS1_11comp_targetILNS1_3genE10ELNS1_11target_archE1200ELNS1_3gpuE4ELNS1_3repE0EEENS1_30default_config_static_selectorELNS0_4arch9wavefront6targetE0EEEvS13_.has_dyn_sized_stack, 0
	.set _ZN7rocprim17ROCPRIM_400000_NS6detail17trampoline_kernelINS0_13select_configILj256ELj13ELNS0_17block_load_methodE3ELS4_3ELS4_3ELNS0_20block_scan_algorithmE0ELj4294967295EEENS1_25partition_config_selectorILNS1_17partition_subalgoE4EjNS0_10empty_typeEbEEZZNS1_14partition_implILS8_4ELb0ES6_15HIP_vector_typeIjLj2EENS0_17counting_iteratorIjlEEPS9_SG_NS0_5tupleIJPjSI_NS0_16reverse_iteratorISI_EEEEENSH_IJSG_SG_SG_EEES9_SI_JZNS1_25segmented_radix_sort_implINS0_14default_configELb0EPK6__halfPSP_PKlPlN2at6native12_GLOBAL__N_18offset_tEEE10hipError_tPvRmT1_PNSt15iterator_traitsIS13_E10value_typeET2_T3_PNS14_IS19_E10value_typeET4_jRbjT5_S1F_jjP12ihipStream_tbEUljE_ZNSN_ISO_Lb0ESR_SS_SU_SV_SZ_EES10_S11_S12_S13_S17_S18_S19_S1C_S1D_jS1E_jS1F_S1F_jjS1H_bEUljE0_EEES10_S11_S12_S19_S1D_S1F_T6_T7_T9_mT8_S1H_bDpT10_ENKUlT_T0_E_clISt17integral_constantIbLb1EES1U_IbLb0EEEEDaS1Q_S1R_EUlS1Q_E_NS1_11comp_targetILNS1_3genE10ELNS1_11target_archE1200ELNS1_3gpuE4ELNS1_3repE0EEENS1_30default_config_static_selectorELNS0_4arch9wavefront6targetE0EEEvS13_.has_recursion, 0
	.set _ZN7rocprim17ROCPRIM_400000_NS6detail17trampoline_kernelINS0_13select_configILj256ELj13ELNS0_17block_load_methodE3ELS4_3ELS4_3ELNS0_20block_scan_algorithmE0ELj4294967295EEENS1_25partition_config_selectorILNS1_17partition_subalgoE4EjNS0_10empty_typeEbEEZZNS1_14partition_implILS8_4ELb0ES6_15HIP_vector_typeIjLj2EENS0_17counting_iteratorIjlEEPS9_SG_NS0_5tupleIJPjSI_NS0_16reverse_iteratorISI_EEEEENSH_IJSG_SG_SG_EEES9_SI_JZNS1_25segmented_radix_sort_implINS0_14default_configELb0EPK6__halfPSP_PKlPlN2at6native12_GLOBAL__N_18offset_tEEE10hipError_tPvRmT1_PNSt15iterator_traitsIS13_E10value_typeET2_T3_PNS14_IS19_E10value_typeET4_jRbjT5_S1F_jjP12ihipStream_tbEUljE_ZNSN_ISO_Lb0ESR_SS_SU_SV_SZ_EES10_S11_S12_S13_S17_S18_S19_S1C_S1D_jS1E_jS1F_S1F_jjS1H_bEUljE0_EEES10_S11_S12_S19_S1D_S1F_T6_T7_T9_mT8_S1H_bDpT10_ENKUlT_T0_E_clISt17integral_constantIbLb1EES1U_IbLb0EEEEDaS1Q_S1R_EUlS1Q_E_NS1_11comp_targetILNS1_3genE10ELNS1_11target_archE1200ELNS1_3gpuE4ELNS1_3repE0EEENS1_30default_config_static_selectorELNS0_4arch9wavefront6targetE0EEEvS13_.has_indirect_call, 0
	.section	.AMDGPU.csdata,"",@progbits
; Kernel info:
; codeLenInByte = 0
; TotalNumSgprs: 0
; NumVgprs: 0
; ScratchSize: 0
; MemoryBound: 0
; FloatMode: 240
; IeeeMode: 1
; LDSByteSize: 0 bytes/workgroup (compile time only)
; SGPRBlocks: 0
; VGPRBlocks: 0
; NumSGPRsForWavesPerEU: 1
; NumVGPRsForWavesPerEU: 1
; Occupancy: 16
; WaveLimiterHint : 0
; COMPUTE_PGM_RSRC2:SCRATCH_EN: 0
; COMPUTE_PGM_RSRC2:USER_SGPR: 6
; COMPUTE_PGM_RSRC2:TRAP_HANDLER: 0
; COMPUTE_PGM_RSRC2:TGID_X_EN: 1
; COMPUTE_PGM_RSRC2:TGID_Y_EN: 0
; COMPUTE_PGM_RSRC2:TGID_Z_EN: 0
; COMPUTE_PGM_RSRC2:TIDIG_COMP_CNT: 0
	.section	.text._ZN7rocprim17ROCPRIM_400000_NS6detail17trampoline_kernelINS0_13select_configILj256ELj13ELNS0_17block_load_methodE3ELS4_3ELS4_3ELNS0_20block_scan_algorithmE0ELj4294967295EEENS1_25partition_config_selectorILNS1_17partition_subalgoE4EjNS0_10empty_typeEbEEZZNS1_14partition_implILS8_4ELb0ES6_15HIP_vector_typeIjLj2EENS0_17counting_iteratorIjlEEPS9_SG_NS0_5tupleIJPjSI_NS0_16reverse_iteratorISI_EEEEENSH_IJSG_SG_SG_EEES9_SI_JZNS1_25segmented_radix_sort_implINS0_14default_configELb0EPK6__halfPSP_PKlPlN2at6native12_GLOBAL__N_18offset_tEEE10hipError_tPvRmT1_PNSt15iterator_traitsIS13_E10value_typeET2_T3_PNS14_IS19_E10value_typeET4_jRbjT5_S1F_jjP12ihipStream_tbEUljE_ZNSN_ISO_Lb0ESR_SS_SU_SV_SZ_EES10_S11_S12_S13_S17_S18_S19_S1C_S1D_jS1E_jS1F_S1F_jjS1H_bEUljE0_EEES10_S11_S12_S19_S1D_S1F_T6_T7_T9_mT8_S1H_bDpT10_ENKUlT_T0_E_clISt17integral_constantIbLb1EES1U_IbLb0EEEEDaS1Q_S1R_EUlS1Q_E_NS1_11comp_targetILNS1_3genE9ELNS1_11target_archE1100ELNS1_3gpuE3ELNS1_3repE0EEENS1_30default_config_static_selectorELNS0_4arch9wavefront6targetE0EEEvS13_,"axG",@progbits,_ZN7rocprim17ROCPRIM_400000_NS6detail17trampoline_kernelINS0_13select_configILj256ELj13ELNS0_17block_load_methodE3ELS4_3ELS4_3ELNS0_20block_scan_algorithmE0ELj4294967295EEENS1_25partition_config_selectorILNS1_17partition_subalgoE4EjNS0_10empty_typeEbEEZZNS1_14partition_implILS8_4ELb0ES6_15HIP_vector_typeIjLj2EENS0_17counting_iteratorIjlEEPS9_SG_NS0_5tupleIJPjSI_NS0_16reverse_iteratorISI_EEEEENSH_IJSG_SG_SG_EEES9_SI_JZNS1_25segmented_radix_sort_implINS0_14default_configELb0EPK6__halfPSP_PKlPlN2at6native12_GLOBAL__N_18offset_tEEE10hipError_tPvRmT1_PNSt15iterator_traitsIS13_E10value_typeET2_T3_PNS14_IS19_E10value_typeET4_jRbjT5_S1F_jjP12ihipStream_tbEUljE_ZNSN_ISO_Lb0ESR_SS_SU_SV_SZ_EES10_S11_S12_S13_S17_S18_S19_S1C_S1D_jS1E_jS1F_S1F_jjS1H_bEUljE0_EEES10_S11_S12_S19_S1D_S1F_T6_T7_T9_mT8_S1H_bDpT10_ENKUlT_T0_E_clISt17integral_constantIbLb1EES1U_IbLb0EEEEDaS1Q_S1R_EUlS1Q_E_NS1_11comp_targetILNS1_3genE9ELNS1_11target_archE1100ELNS1_3gpuE3ELNS1_3repE0EEENS1_30default_config_static_selectorELNS0_4arch9wavefront6targetE0EEEvS13_,comdat
	.globl	_ZN7rocprim17ROCPRIM_400000_NS6detail17trampoline_kernelINS0_13select_configILj256ELj13ELNS0_17block_load_methodE3ELS4_3ELS4_3ELNS0_20block_scan_algorithmE0ELj4294967295EEENS1_25partition_config_selectorILNS1_17partition_subalgoE4EjNS0_10empty_typeEbEEZZNS1_14partition_implILS8_4ELb0ES6_15HIP_vector_typeIjLj2EENS0_17counting_iteratorIjlEEPS9_SG_NS0_5tupleIJPjSI_NS0_16reverse_iteratorISI_EEEEENSH_IJSG_SG_SG_EEES9_SI_JZNS1_25segmented_radix_sort_implINS0_14default_configELb0EPK6__halfPSP_PKlPlN2at6native12_GLOBAL__N_18offset_tEEE10hipError_tPvRmT1_PNSt15iterator_traitsIS13_E10value_typeET2_T3_PNS14_IS19_E10value_typeET4_jRbjT5_S1F_jjP12ihipStream_tbEUljE_ZNSN_ISO_Lb0ESR_SS_SU_SV_SZ_EES10_S11_S12_S13_S17_S18_S19_S1C_S1D_jS1E_jS1F_S1F_jjS1H_bEUljE0_EEES10_S11_S12_S19_S1D_S1F_T6_T7_T9_mT8_S1H_bDpT10_ENKUlT_T0_E_clISt17integral_constantIbLb1EES1U_IbLb0EEEEDaS1Q_S1R_EUlS1Q_E_NS1_11comp_targetILNS1_3genE9ELNS1_11target_archE1100ELNS1_3gpuE3ELNS1_3repE0EEENS1_30default_config_static_selectorELNS0_4arch9wavefront6targetE0EEEvS13_ ; -- Begin function _ZN7rocprim17ROCPRIM_400000_NS6detail17trampoline_kernelINS0_13select_configILj256ELj13ELNS0_17block_load_methodE3ELS4_3ELS4_3ELNS0_20block_scan_algorithmE0ELj4294967295EEENS1_25partition_config_selectorILNS1_17partition_subalgoE4EjNS0_10empty_typeEbEEZZNS1_14partition_implILS8_4ELb0ES6_15HIP_vector_typeIjLj2EENS0_17counting_iteratorIjlEEPS9_SG_NS0_5tupleIJPjSI_NS0_16reverse_iteratorISI_EEEEENSH_IJSG_SG_SG_EEES9_SI_JZNS1_25segmented_radix_sort_implINS0_14default_configELb0EPK6__halfPSP_PKlPlN2at6native12_GLOBAL__N_18offset_tEEE10hipError_tPvRmT1_PNSt15iterator_traitsIS13_E10value_typeET2_T3_PNS14_IS19_E10value_typeET4_jRbjT5_S1F_jjP12ihipStream_tbEUljE_ZNSN_ISO_Lb0ESR_SS_SU_SV_SZ_EES10_S11_S12_S13_S17_S18_S19_S1C_S1D_jS1E_jS1F_S1F_jjS1H_bEUljE0_EEES10_S11_S12_S19_S1D_S1F_T6_T7_T9_mT8_S1H_bDpT10_ENKUlT_T0_E_clISt17integral_constantIbLb1EES1U_IbLb0EEEEDaS1Q_S1R_EUlS1Q_E_NS1_11comp_targetILNS1_3genE9ELNS1_11target_archE1100ELNS1_3gpuE3ELNS1_3repE0EEENS1_30default_config_static_selectorELNS0_4arch9wavefront6targetE0EEEvS13_
	.p2align	8
	.type	_ZN7rocprim17ROCPRIM_400000_NS6detail17trampoline_kernelINS0_13select_configILj256ELj13ELNS0_17block_load_methodE3ELS4_3ELS4_3ELNS0_20block_scan_algorithmE0ELj4294967295EEENS1_25partition_config_selectorILNS1_17partition_subalgoE4EjNS0_10empty_typeEbEEZZNS1_14partition_implILS8_4ELb0ES6_15HIP_vector_typeIjLj2EENS0_17counting_iteratorIjlEEPS9_SG_NS0_5tupleIJPjSI_NS0_16reverse_iteratorISI_EEEEENSH_IJSG_SG_SG_EEES9_SI_JZNS1_25segmented_radix_sort_implINS0_14default_configELb0EPK6__halfPSP_PKlPlN2at6native12_GLOBAL__N_18offset_tEEE10hipError_tPvRmT1_PNSt15iterator_traitsIS13_E10value_typeET2_T3_PNS14_IS19_E10value_typeET4_jRbjT5_S1F_jjP12ihipStream_tbEUljE_ZNSN_ISO_Lb0ESR_SS_SU_SV_SZ_EES10_S11_S12_S13_S17_S18_S19_S1C_S1D_jS1E_jS1F_S1F_jjS1H_bEUljE0_EEES10_S11_S12_S19_S1D_S1F_T6_T7_T9_mT8_S1H_bDpT10_ENKUlT_T0_E_clISt17integral_constantIbLb1EES1U_IbLb0EEEEDaS1Q_S1R_EUlS1Q_E_NS1_11comp_targetILNS1_3genE9ELNS1_11target_archE1100ELNS1_3gpuE3ELNS1_3repE0EEENS1_30default_config_static_selectorELNS0_4arch9wavefront6targetE0EEEvS13_,@function
_ZN7rocprim17ROCPRIM_400000_NS6detail17trampoline_kernelINS0_13select_configILj256ELj13ELNS0_17block_load_methodE3ELS4_3ELS4_3ELNS0_20block_scan_algorithmE0ELj4294967295EEENS1_25partition_config_selectorILNS1_17partition_subalgoE4EjNS0_10empty_typeEbEEZZNS1_14partition_implILS8_4ELb0ES6_15HIP_vector_typeIjLj2EENS0_17counting_iteratorIjlEEPS9_SG_NS0_5tupleIJPjSI_NS0_16reverse_iteratorISI_EEEEENSH_IJSG_SG_SG_EEES9_SI_JZNS1_25segmented_radix_sort_implINS0_14default_configELb0EPK6__halfPSP_PKlPlN2at6native12_GLOBAL__N_18offset_tEEE10hipError_tPvRmT1_PNSt15iterator_traitsIS13_E10value_typeET2_T3_PNS14_IS19_E10value_typeET4_jRbjT5_S1F_jjP12ihipStream_tbEUljE_ZNSN_ISO_Lb0ESR_SS_SU_SV_SZ_EES10_S11_S12_S13_S17_S18_S19_S1C_S1D_jS1E_jS1F_S1F_jjS1H_bEUljE0_EEES10_S11_S12_S19_S1D_S1F_T6_T7_T9_mT8_S1H_bDpT10_ENKUlT_T0_E_clISt17integral_constantIbLb1EES1U_IbLb0EEEEDaS1Q_S1R_EUlS1Q_E_NS1_11comp_targetILNS1_3genE9ELNS1_11target_archE1100ELNS1_3gpuE3ELNS1_3repE0EEENS1_30default_config_static_selectorELNS0_4arch9wavefront6targetE0EEEvS13_: ; @_ZN7rocprim17ROCPRIM_400000_NS6detail17trampoline_kernelINS0_13select_configILj256ELj13ELNS0_17block_load_methodE3ELS4_3ELS4_3ELNS0_20block_scan_algorithmE0ELj4294967295EEENS1_25partition_config_selectorILNS1_17partition_subalgoE4EjNS0_10empty_typeEbEEZZNS1_14partition_implILS8_4ELb0ES6_15HIP_vector_typeIjLj2EENS0_17counting_iteratorIjlEEPS9_SG_NS0_5tupleIJPjSI_NS0_16reverse_iteratorISI_EEEEENSH_IJSG_SG_SG_EEES9_SI_JZNS1_25segmented_radix_sort_implINS0_14default_configELb0EPK6__halfPSP_PKlPlN2at6native12_GLOBAL__N_18offset_tEEE10hipError_tPvRmT1_PNSt15iterator_traitsIS13_E10value_typeET2_T3_PNS14_IS19_E10value_typeET4_jRbjT5_S1F_jjP12ihipStream_tbEUljE_ZNSN_ISO_Lb0ESR_SS_SU_SV_SZ_EES10_S11_S12_S13_S17_S18_S19_S1C_S1D_jS1E_jS1F_S1F_jjS1H_bEUljE0_EEES10_S11_S12_S19_S1D_S1F_T6_T7_T9_mT8_S1H_bDpT10_ENKUlT_T0_E_clISt17integral_constantIbLb1EES1U_IbLb0EEEEDaS1Q_S1R_EUlS1Q_E_NS1_11comp_targetILNS1_3genE9ELNS1_11target_archE1100ELNS1_3gpuE3ELNS1_3repE0EEENS1_30default_config_static_selectorELNS0_4arch9wavefront6targetE0EEEvS13_
; %bb.0:
	.section	.rodata,"a",@progbits
	.p2align	6, 0x0
	.amdhsa_kernel _ZN7rocprim17ROCPRIM_400000_NS6detail17trampoline_kernelINS0_13select_configILj256ELj13ELNS0_17block_load_methodE3ELS4_3ELS4_3ELNS0_20block_scan_algorithmE0ELj4294967295EEENS1_25partition_config_selectorILNS1_17partition_subalgoE4EjNS0_10empty_typeEbEEZZNS1_14partition_implILS8_4ELb0ES6_15HIP_vector_typeIjLj2EENS0_17counting_iteratorIjlEEPS9_SG_NS0_5tupleIJPjSI_NS0_16reverse_iteratorISI_EEEEENSH_IJSG_SG_SG_EEES9_SI_JZNS1_25segmented_radix_sort_implINS0_14default_configELb0EPK6__halfPSP_PKlPlN2at6native12_GLOBAL__N_18offset_tEEE10hipError_tPvRmT1_PNSt15iterator_traitsIS13_E10value_typeET2_T3_PNS14_IS19_E10value_typeET4_jRbjT5_S1F_jjP12ihipStream_tbEUljE_ZNSN_ISO_Lb0ESR_SS_SU_SV_SZ_EES10_S11_S12_S13_S17_S18_S19_S1C_S1D_jS1E_jS1F_S1F_jjS1H_bEUljE0_EEES10_S11_S12_S19_S1D_S1F_T6_T7_T9_mT8_S1H_bDpT10_ENKUlT_T0_E_clISt17integral_constantIbLb1EES1U_IbLb0EEEEDaS1Q_S1R_EUlS1Q_E_NS1_11comp_targetILNS1_3genE9ELNS1_11target_archE1100ELNS1_3gpuE3ELNS1_3repE0EEENS1_30default_config_static_selectorELNS0_4arch9wavefront6targetE0EEEvS13_
		.amdhsa_group_segment_fixed_size 0
		.amdhsa_private_segment_fixed_size 0
		.amdhsa_kernarg_size 176
		.amdhsa_user_sgpr_count 6
		.amdhsa_user_sgpr_private_segment_buffer 1
		.amdhsa_user_sgpr_dispatch_ptr 0
		.amdhsa_user_sgpr_queue_ptr 0
		.amdhsa_user_sgpr_kernarg_segment_ptr 1
		.amdhsa_user_sgpr_dispatch_id 0
		.amdhsa_user_sgpr_flat_scratch_init 0
		.amdhsa_user_sgpr_private_segment_size 0
		.amdhsa_wavefront_size32 1
		.amdhsa_uses_dynamic_stack 0
		.amdhsa_system_sgpr_private_segment_wavefront_offset 0
		.amdhsa_system_sgpr_workgroup_id_x 1
		.amdhsa_system_sgpr_workgroup_id_y 0
		.amdhsa_system_sgpr_workgroup_id_z 0
		.amdhsa_system_sgpr_workgroup_info 0
		.amdhsa_system_vgpr_workitem_id 0
		.amdhsa_next_free_vgpr 1
		.amdhsa_next_free_sgpr 1
		.amdhsa_reserve_vcc 0
		.amdhsa_reserve_flat_scratch 0
		.amdhsa_float_round_mode_32 0
		.amdhsa_float_round_mode_16_64 0
		.amdhsa_float_denorm_mode_32 3
		.amdhsa_float_denorm_mode_16_64 3
		.amdhsa_dx10_clamp 1
		.amdhsa_ieee_mode 1
		.amdhsa_fp16_overflow 0
		.amdhsa_workgroup_processor_mode 1
		.amdhsa_memory_ordered 1
		.amdhsa_forward_progress 1
		.amdhsa_shared_vgpr_count 0
		.amdhsa_exception_fp_ieee_invalid_op 0
		.amdhsa_exception_fp_denorm_src 0
		.amdhsa_exception_fp_ieee_div_zero 0
		.amdhsa_exception_fp_ieee_overflow 0
		.amdhsa_exception_fp_ieee_underflow 0
		.amdhsa_exception_fp_ieee_inexact 0
		.amdhsa_exception_int_div_zero 0
	.end_amdhsa_kernel
	.section	.text._ZN7rocprim17ROCPRIM_400000_NS6detail17trampoline_kernelINS0_13select_configILj256ELj13ELNS0_17block_load_methodE3ELS4_3ELS4_3ELNS0_20block_scan_algorithmE0ELj4294967295EEENS1_25partition_config_selectorILNS1_17partition_subalgoE4EjNS0_10empty_typeEbEEZZNS1_14partition_implILS8_4ELb0ES6_15HIP_vector_typeIjLj2EENS0_17counting_iteratorIjlEEPS9_SG_NS0_5tupleIJPjSI_NS0_16reverse_iteratorISI_EEEEENSH_IJSG_SG_SG_EEES9_SI_JZNS1_25segmented_radix_sort_implINS0_14default_configELb0EPK6__halfPSP_PKlPlN2at6native12_GLOBAL__N_18offset_tEEE10hipError_tPvRmT1_PNSt15iterator_traitsIS13_E10value_typeET2_T3_PNS14_IS19_E10value_typeET4_jRbjT5_S1F_jjP12ihipStream_tbEUljE_ZNSN_ISO_Lb0ESR_SS_SU_SV_SZ_EES10_S11_S12_S13_S17_S18_S19_S1C_S1D_jS1E_jS1F_S1F_jjS1H_bEUljE0_EEES10_S11_S12_S19_S1D_S1F_T6_T7_T9_mT8_S1H_bDpT10_ENKUlT_T0_E_clISt17integral_constantIbLb1EES1U_IbLb0EEEEDaS1Q_S1R_EUlS1Q_E_NS1_11comp_targetILNS1_3genE9ELNS1_11target_archE1100ELNS1_3gpuE3ELNS1_3repE0EEENS1_30default_config_static_selectorELNS0_4arch9wavefront6targetE0EEEvS13_,"axG",@progbits,_ZN7rocprim17ROCPRIM_400000_NS6detail17trampoline_kernelINS0_13select_configILj256ELj13ELNS0_17block_load_methodE3ELS4_3ELS4_3ELNS0_20block_scan_algorithmE0ELj4294967295EEENS1_25partition_config_selectorILNS1_17partition_subalgoE4EjNS0_10empty_typeEbEEZZNS1_14partition_implILS8_4ELb0ES6_15HIP_vector_typeIjLj2EENS0_17counting_iteratorIjlEEPS9_SG_NS0_5tupleIJPjSI_NS0_16reverse_iteratorISI_EEEEENSH_IJSG_SG_SG_EEES9_SI_JZNS1_25segmented_radix_sort_implINS0_14default_configELb0EPK6__halfPSP_PKlPlN2at6native12_GLOBAL__N_18offset_tEEE10hipError_tPvRmT1_PNSt15iterator_traitsIS13_E10value_typeET2_T3_PNS14_IS19_E10value_typeET4_jRbjT5_S1F_jjP12ihipStream_tbEUljE_ZNSN_ISO_Lb0ESR_SS_SU_SV_SZ_EES10_S11_S12_S13_S17_S18_S19_S1C_S1D_jS1E_jS1F_S1F_jjS1H_bEUljE0_EEES10_S11_S12_S19_S1D_S1F_T6_T7_T9_mT8_S1H_bDpT10_ENKUlT_T0_E_clISt17integral_constantIbLb1EES1U_IbLb0EEEEDaS1Q_S1R_EUlS1Q_E_NS1_11comp_targetILNS1_3genE9ELNS1_11target_archE1100ELNS1_3gpuE3ELNS1_3repE0EEENS1_30default_config_static_selectorELNS0_4arch9wavefront6targetE0EEEvS13_,comdat
.Lfunc_end1790:
	.size	_ZN7rocprim17ROCPRIM_400000_NS6detail17trampoline_kernelINS0_13select_configILj256ELj13ELNS0_17block_load_methodE3ELS4_3ELS4_3ELNS0_20block_scan_algorithmE0ELj4294967295EEENS1_25partition_config_selectorILNS1_17partition_subalgoE4EjNS0_10empty_typeEbEEZZNS1_14partition_implILS8_4ELb0ES6_15HIP_vector_typeIjLj2EENS0_17counting_iteratorIjlEEPS9_SG_NS0_5tupleIJPjSI_NS0_16reverse_iteratorISI_EEEEENSH_IJSG_SG_SG_EEES9_SI_JZNS1_25segmented_radix_sort_implINS0_14default_configELb0EPK6__halfPSP_PKlPlN2at6native12_GLOBAL__N_18offset_tEEE10hipError_tPvRmT1_PNSt15iterator_traitsIS13_E10value_typeET2_T3_PNS14_IS19_E10value_typeET4_jRbjT5_S1F_jjP12ihipStream_tbEUljE_ZNSN_ISO_Lb0ESR_SS_SU_SV_SZ_EES10_S11_S12_S13_S17_S18_S19_S1C_S1D_jS1E_jS1F_S1F_jjS1H_bEUljE0_EEES10_S11_S12_S19_S1D_S1F_T6_T7_T9_mT8_S1H_bDpT10_ENKUlT_T0_E_clISt17integral_constantIbLb1EES1U_IbLb0EEEEDaS1Q_S1R_EUlS1Q_E_NS1_11comp_targetILNS1_3genE9ELNS1_11target_archE1100ELNS1_3gpuE3ELNS1_3repE0EEENS1_30default_config_static_selectorELNS0_4arch9wavefront6targetE0EEEvS13_, .Lfunc_end1790-_ZN7rocprim17ROCPRIM_400000_NS6detail17trampoline_kernelINS0_13select_configILj256ELj13ELNS0_17block_load_methodE3ELS4_3ELS4_3ELNS0_20block_scan_algorithmE0ELj4294967295EEENS1_25partition_config_selectorILNS1_17partition_subalgoE4EjNS0_10empty_typeEbEEZZNS1_14partition_implILS8_4ELb0ES6_15HIP_vector_typeIjLj2EENS0_17counting_iteratorIjlEEPS9_SG_NS0_5tupleIJPjSI_NS0_16reverse_iteratorISI_EEEEENSH_IJSG_SG_SG_EEES9_SI_JZNS1_25segmented_radix_sort_implINS0_14default_configELb0EPK6__halfPSP_PKlPlN2at6native12_GLOBAL__N_18offset_tEEE10hipError_tPvRmT1_PNSt15iterator_traitsIS13_E10value_typeET2_T3_PNS14_IS19_E10value_typeET4_jRbjT5_S1F_jjP12ihipStream_tbEUljE_ZNSN_ISO_Lb0ESR_SS_SU_SV_SZ_EES10_S11_S12_S13_S17_S18_S19_S1C_S1D_jS1E_jS1F_S1F_jjS1H_bEUljE0_EEES10_S11_S12_S19_S1D_S1F_T6_T7_T9_mT8_S1H_bDpT10_ENKUlT_T0_E_clISt17integral_constantIbLb1EES1U_IbLb0EEEEDaS1Q_S1R_EUlS1Q_E_NS1_11comp_targetILNS1_3genE9ELNS1_11target_archE1100ELNS1_3gpuE3ELNS1_3repE0EEENS1_30default_config_static_selectorELNS0_4arch9wavefront6targetE0EEEvS13_
                                        ; -- End function
	.set _ZN7rocprim17ROCPRIM_400000_NS6detail17trampoline_kernelINS0_13select_configILj256ELj13ELNS0_17block_load_methodE3ELS4_3ELS4_3ELNS0_20block_scan_algorithmE0ELj4294967295EEENS1_25partition_config_selectorILNS1_17partition_subalgoE4EjNS0_10empty_typeEbEEZZNS1_14partition_implILS8_4ELb0ES6_15HIP_vector_typeIjLj2EENS0_17counting_iteratorIjlEEPS9_SG_NS0_5tupleIJPjSI_NS0_16reverse_iteratorISI_EEEEENSH_IJSG_SG_SG_EEES9_SI_JZNS1_25segmented_radix_sort_implINS0_14default_configELb0EPK6__halfPSP_PKlPlN2at6native12_GLOBAL__N_18offset_tEEE10hipError_tPvRmT1_PNSt15iterator_traitsIS13_E10value_typeET2_T3_PNS14_IS19_E10value_typeET4_jRbjT5_S1F_jjP12ihipStream_tbEUljE_ZNSN_ISO_Lb0ESR_SS_SU_SV_SZ_EES10_S11_S12_S13_S17_S18_S19_S1C_S1D_jS1E_jS1F_S1F_jjS1H_bEUljE0_EEES10_S11_S12_S19_S1D_S1F_T6_T7_T9_mT8_S1H_bDpT10_ENKUlT_T0_E_clISt17integral_constantIbLb1EES1U_IbLb0EEEEDaS1Q_S1R_EUlS1Q_E_NS1_11comp_targetILNS1_3genE9ELNS1_11target_archE1100ELNS1_3gpuE3ELNS1_3repE0EEENS1_30default_config_static_selectorELNS0_4arch9wavefront6targetE0EEEvS13_.num_vgpr, 0
	.set _ZN7rocprim17ROCPRIM_400000_NS6detail17trampoline_kernelINS0_13select_configILj256ELj13ELNS0_17block_load_methodE3ELS4_3ELS4_3ELNS0_20block_scan_algorithmE0ELj4294967295EEENS1_25partition_config_selectorILNS1_17partition_subalgoE4EjNS0_10empty_typeEbEEZZNS1_14partition_implILS8_4ELb0ES6_15HIP_vector_typeIjLj2EENS0_17counting_iteratorIjlEEPS9_SG_NS0_5tupleIJPjSI_NS0_16reverse_iteratorISI_EEEEENSH_IJSG_SG_SG_EEES9_SI_JZNS1_25segmented_radix_sort_implINS0_14default_configELb0EPK6__halfPSP_PKlPlN2at6native12_GLOBAL__N_18offset_tEEE10hipError_tPvRmT1_PNSt15iterator_traitsIS13_E10value_typeET2_T3_PNS14_IS19_E10value_typeET4_jRbjT5_S1F_jjP12ihipStream_tbEUljE_ZNSN_ISO_Lb0ESR_SS_SU_SV_SZ_EES10_S11_S12_S13_S17_S18_S19_S1C_S1D_jS1E_jS1F_S1F_jjS1H_bEUljE0_EEES10_S11_S12_S19_S1D_S1F_T6_T7_T9_mT8_S1H_bDpT10_ENKUlT_T0_E_clISt17integral_constantIbLb1EES1U_IbLb0EEEEDaS1Q_S1R_EUlS1Q_E_NS1_11comp_targetILNS1_3genE9ELNS1_11target_archE1100ELNS1_3gpuE3ELNS1_3repE0EEENS1_30default_config_static_selectorELNS0_4arch9wavefront6targetE0EEEvS13_.num_agpr, 0
	.set _ZN7rocprim17ROCPRIM_400000_NS6detail17trampoline_kernelINS0_13select_configILj256ELj13ELNS0_17block_load_methodE3ELS4_3ELS4_3ELNS0_20block_scan_algorithmE0ELj4294967295EEENS1_25partition_config_selectorILNS1_17partition_subalgoE4EjNS0_10empty_typeEbEEZZNS1_14partition_implILS8_4ELb0ES6_15HIP_vector_typeIjLj2EENS0_17counting_iteratorIjlEEPS9_SG_NS0_5tupleIJPjSI_NS0_16reverse_iteratorISI_EEEEENSH_IJSG_SG_SG_EEES9_SI_JZNS1_25segmented_radix_sort_implINS0_14default_configELb0EPK6__halfPSP_PKlPlN2at6native12_GLOBAL__N_18offset_tEEE10hipError_tPvRmT1_PNSt15iterator_traitsIS13_E10value_typeET2_T3_PNS14_IS19_E10value_typeET4_jRbjT5_S1F_jjP12ihipStream_tbEUljE_ZNSN_ISO_Lb0ESR_SS_SU_SV_SZ_EES10_S11_S12_S13_S17_S18_S19_S1C_S1D_jS1E_jS1F_S1F_jjS1H_bEUljE0_EEES10_S11_S12_S19_S1D_S1F_T6_T7_T9_mT8_S1H_bDpT10_ENKUlT_T0_E_clISt17integral_constantIbLb1EES1U_IbLb0EEEEDaS1Q_S1R_EUlS1Q_E_NS1_11comp_targetILNS1_3genE9ELNS1_11target_archE1100ELNS1_3gpuE3ELNS1_3repE0EEENS1_30default_config_static_selectorELNS0_4arch9wavefront6targetE0EEEvS13_.numbered_sgpr, 0
	.set _ZN7rocprim17ROCPRIM_400000_NS6detail17trampoline_kernelINS0_13select_configILj256ELj13ELNS0_17block_load_methodE3ELS4_3ELS4_3ELNS0_20block_scan_algorithmE0ELj4294967295EEENS1_25partition_config_selectorILNS1_17partition_subalgoE4EjNS0_10empty_typeEbEEZZNS1_14partition_implILS8_4ELb0ES6_15HIP_vector_typeIjLj2EENS0_17counting_iteratorIjlEEPS9_SG_NS0_5tupleIJPjSI_NS0_16reverse_iteratorISI_EEEEENSH_IJSG_SG_SG_EEES9_SI_JZNS1_25segmented_radix_sort_implINS0_14default_configELb0EPK6__halfPSP_PKlPlN2at6native12_GLOBAL__N_18offset_tEEE10hipError_tPvRmT1_PNSt15iterator_traitsIS13_E10value_typeET2_T3_PNS14_IS19_E10value_typeET4_jRbjT5_S1F_jjP12ihipStream_tbEUljE_ZNSN_ISO_Lb0ESR_SS_SU_SV_SZ_EES10_S11_S12_S13_S17_S18_S19_S1C_S1D_jS1E_jS1F_S1F_jjS1H_bEUljE0_EEES10_S11_S12_S19_S1D_S1F_T6_T7_T9_mT8_S1H_bDpT10_ENKUlT_T0_E_clISt17integral_constantIbLb1EES1U_IbLb0EEEEDaS1Q_S1R_EUlS1Q_E_NS1_11comp_targetILNS1_3genE9ELNS1_11target_archE1100ELNS1_3gpuE3ELNS1_3repE0EEENS1_30default_config_static_selectorELNS0_4arch9wavefront6targetE0EEEvS13_.num_named_barrier, 0
	.set _ZN7rocprim17ROCPRIM_400000_NS6detail17trampoline_kernelINS0_13select_configILj256ELj13ELNS0_17block_load_methodE3ELS4_3ELS4_3ELNS0_20block_scan_algorithmE0ELj4294967295EEENS1_25partition_config_selectorILNS1_17partition_subalgoE4EjNS0_10empty_typeEbEEZZNS1_14partition_implILS8_4ELb0ES6_15HIP_vector_typeIjLj2EENS0_17counting_iteratorIjlEEPS9_SG_NS0_5tupleIJPjSI_NS0_16reverse_iteratorISI_EEEEENSH_IJSG_SG_SG_EEES9_SI_JZNS1_25segmented_radix_sort_implINS0_14default_configELb0EPK6__halfPSP_PKlPlN2at6native12_GLOBAL__N_18offset_tEEE10hipError_tPvRmT1_PNSt15iterator_traitsIS13_E10value_typeET2_T3_PNS14_IS19_E10value_typeET4_jRbjT5_S1F_jjP12ihipStream_tbEUljE_ZNSN_ISO_Lb0ESR_SS_SU_SV_SZ_EES10_S11_S12_S13_S17_S18_S19_S1C_S1D_jS1E_jS1F_S1F_jjS1H_bEUljE0_EEES10_S11_S12_S19_S1D_S1F_T6_T7_T9_mT8_S1H_bDpT10_ENKUlT_T0_E_clISt17integral_constantIbLb1EES1U_IbLb0EEEEDaS1Q_S1R_EUlS1Q_E_NS1_11comp_targetILNS1_3genE9ELNS1_11target_archE1100ELNS1_3gpuE3ELNS1_3repE0EEENS1_30default_config_static_selectorELNS0_4arch9wavefront6targetE0EEEvS13_.private_seg_size, 0
	.set _ZN7rocprim17ROCPRIM_400000_NS6detail17trampoline_kernelINS0_13select_configILj256ELj13ELNS0_17block_load_methodE3ELS4_3ELS4_3ELNS0_20block_scan_algorithmE0ELj4294967295EEENS1_25partition_config_selectorILNS1_17partition_subalgoE4EjNS0_10empty_typeEbEEZZNS1_14partition_implILS8_4ELb0ES6_15HIP_vector_typeIjLj2EENS0_17counting_iteratorIjlEEPS9_SG_NS0_5tupleIJPjSI_NS0_16reverse_iteratorISI_EEEEENSH_IJSG_SG_SG_EEES9_SI_JZNS1_25segmented_radix_sort_implINS0_14default_configELb0EPK6__halfPSP_PKlPlN2at6native12_GLOBAL__N_18offset_tEEE10hipError_tPvRmT1_PNSt15iterator_traitsIS13_E10value_typeET2_T3_PNS14_IS19_E10value_typeET4_jRbjT5_S1F_jjP12ihipStream_tbEUljE_ZNSN_ISO_Lb0ESR_SS_SU_SV_SZ_EES10_S11_S12_S13_S17_S18_S19_S1C_S1D_jS1E_jS1F_S1F_jjS1H_bEUljE0_EEES10_S11_S12_S19_S1D_S1F_T6_T7_T9_mT8_S1H_bDpT10_ENKUlT_T0_E_clISt17integral_constantIbLb1EES1U_IbLb0EEEEDaS1Q_S1R_EUlS1Q_E_NS1_11comp_targetILNS1_3genE9ELNS1_11target_archE1100ELNS1_3gpuE3ELNS1_3repE0EEENS1_30default_config_static_selectorELNS0_4arch9wavefront6targetE0EEEvS13_.uses_vcc, 0
	.set _ZN7rocprim17ROCPRIM_400000_NS6detail17trampoline_kernelINS0_13select_configILj256ELj13ELNS0_17block_load_methodE3ELS4_3ELS4_3ELNS0_20block_scan_algorithmE0ELj4294967295EEENS1_25partition_config_selectorILNS1_17partition_subalgoE4EjNS0_10empty_typeEbEEZZNS1_14partition_implILS8_4ELb0ES6_15HIP_vector_typeIjLj2EENS0_17counting_iteratorIjlEEPS9_SG_NS0_5tupleIJPjSI_NS0_16reverse_iteratorISI_EEEEENSH_IJSG_SG_SG_EEES9_SI_JZNS1_25segmented_radix_sort_implINS0_14default_configELb0EPK6__halfPSP_PKlPlN2at6native12_GLOBAL__N_18offset_tEEE10hipError_tPvRmT1_PNSt15iterator_traitsIS13_E10value_typeET2_T3_PNS14_IS19_E10value_typeET4_jRbjT5_S1F_jjP12ihipStream_tbEUljE_ZNSN_ISO_Lb0ESR_SS_SU_SV_SZ_EES10_S11_S12_S13_S17_S18_S19_S1C_S1D_jS1E_jS1F_S1F_jjS1H_bEUljE0_EEES10_S11_S12_S19_S1D_S1F_T6_T7_T9_mT8_S1H_bDpT10_ENKUlT_T0_E_clISt17integral_constantIbLb1EES1U_IbLb0EEEEDaS1Q_S1R_EUlS1Q_E_NS1_11comp_targetILNS1_3genE9ELNS1_11target_archE1100ELNS1_3gpuE3ELNS1_3repE0EEENS1_30default_config_static_selectorELNS0_4arch9wavefront6targetE0EEEvS13_.uses_flat_scratch, 0
	.set _ZN7rocprim17ROCPRIM_400000_NS6detail17trampoline_kernelINS0_13select_configILj256ELj13ELNS0_17block_load_methodE3ELS4_3ELS4_3ELNS0_20block_scan_algorithmE0ELj4294967295EEENS1_25partition_config_selectorILNS1_17partition_subalgoE4EjNS0_10empty_typeEbEEZZNS1_14partition_implILS8_4ELb0ES6_15HIP_vector_typeIjLj2EENS0_17counting_iteratorIjlEEPS9_SG_NS0_5tupleIJPjSI_NS0_16reverse_iteratorISI_EEEEENSH_IJSG_SG_SG_EEES9_SI_JZNS1_25segmented_radix_sort_implINS0_14default_configELb0EPK6__halfPSP_PKlPlN2at6native12_GLOBAL__N_18offset_tEEE10hipError_tPvRmT1_PNSt15iterator_traitsIS13_E10value_typeET2_T3_PNS14_IS19_E10value_typeET4_jRbjT5_S1F_jjP12ihipStream_tbEUljE_ZNSN_ISO_Lb0ESR_SS_SU_SV_SZ_EES10_S11_S12_S13_S17_S18_S19_S1C_S1D_jS1E_jS1F_S1F_jjS1H_bEUljE0_EEES10_S11_S12_S19_S1D_S1F_T6_T7_T9_mT8_S1H_bDpT10_ENKUlT_T0_E_clISt17integral_constantIbLb1EES1U_IbLb0EEEEDaS1Q_S1R_EUlS1Q_E_NS1_11comp_targetILNS1_3genE9ELNS1_11target_archE1100ELNS1_3gpuE3ELNS1_3repE0EEENS1_30default_config_static_selectorELNS0_4arch9wavefront6targetE0EEEvS13_.has_dyn_sized_stack, 0
	.set _ZN7rocprim17ROCPRIM_400000_NS6detail17trampoline_kernelINS0_13select_configILj256ELj13ELNS0_17block_load_methodE3ELS4_3ELS4_3ELNS0_20block_scan_algorithmE0ELj4294967295EEENS1_25partition_config_selectorILNS1_17partition_subalgoE4EjNS0_10empty_typeEbEEZZNS1_14partition_implILS8_4ELb0ES6_15HIP_vector_typeIjLj2EENS0_17counting_iteratorIjlEEPS9_SG_NS0_5tupleIJPjSI_NS0_16reverse_iteratorISI_EEEEENSH_IJSG_SG_SG_EEES9_SI_JZNS1_25segmented_radix_sort_implINS0_14default_configELb0EPK6__halfPSP_PKlPlN2at6native12_GLOBAL__N_18offset_tEEE10hipError_tPvRmT1_PNSt15iterator_traitsIS13_E10value_typeET2_T3_PNS14_IS19_E10value_typeET4_jRbjT5_S1F_jjP12ihipStream_tbEUljE_ZNSN_ISO_Lb0ESR_SS_SU_SV_SZ_EES10_S11_S12_S13_S17_S18_S19_S1C_S1D_jS1E_jS1F_S1F_jjS1H_bEUljE0_EEES10_S11_S12_S19_S1D_S1F_T6_T7_T9_mT8_S1H_bDpT10_ENKUlT_T0_E_clISt17integral_constantIbLb1EES1U_IbLb0EEEEDaS1Q_S1R_EUlS1Q_E_NS1_11comp_targetILNS1_3genE9ELNS1_11target_archE1100ELNS1_3gpuE3ELNS1_3repE0EEENS1_30default_config_static_selectorELNS0_4arch9wavefront6targetE0EEEvS13_.has_recursion, 0
	.set _ZN7rocprim17ROCPRIM_400000_NS6detail17trampoline_kernelINS0_13select_configILj256ELj13ELNS0_17block_load_methodE3ELS4_3ELS4_3ELNS0_20block_scan_algorithmE0ELj4294967295EEENS1_25partition_config_selectorILNS1_17partition_subalgoE4EjNS0_10empty_typeEbEEZZNS1_14partition_implILS8_4ELb0ES6_15HIP_vector_typeIjLj2EENS0_17counting_iteratorIjlEEPS9_SG_NS0_5tupleIJPjSI_NS0_16reverse_iteratorISI_EEEEENSH_IJSG_SG_SG_EEES9_SI_JZNS1_25segmented_radix_sort_implINS0_14default_configELb0EPK6__halfPSP_PKlPlN2at6native12_GLOBAL__N_18offset_tEEE10hipError_tPvRmT1_PNSt15iterator_traitsIS13_E10value_typeET2_T3_PNS14_IS19_E10value_typeET4_jRbjT5_S1F_jjP12ihipStream_tbEUljE_ZNSN_ISO_Lb0ESR_SS_SU_SV_SZ_EES10_S11_S12_S13_S17_S18_S19_S1C_S1D_jS1E_jS1F_S1F_jjS1H_bEUljE0_EEES10_S11_S12_S19_S1D_S1F_T6_T7_T9_mT8_S1H_bDpT10_ENKUlT_T0_E_clISt17integral_constantIbLb1EES1U_IbLb0EEEEDaS1Q_S1R_EUlS1Q_E_NS1_11comp_targetILNS1_3genE9ELNS1_11target_archE1100ELNS1_3gpuE3ELNS1_3repE0EEENS1_30default_config_static_selectorELNS0_4arch9wavefront6targetE0EEEvS13_.has_indirect_call, 0
	.section	.AMDGPU.csdata,"",@progbits
; Kernel info:
; codeLenInByte = 0
; TotalNumSgprs: 0
; NumVgprs: 0
; ScratchSize: 0
; MemoryBound: 0
; FloatMode: 240
; IeeeMode: 1
; LDSByteSize: 0 bytes/workgroup (compile time only)
; SGPRBlocks: 0
; VGPRBlocks: 0
; NumSGPRsForWavesPerEU: 1
; NumVGPRsForWavesPerEU: 1
; Occupancy: 16
; WaveLimiterHint : 0
; COMPUTE_PGM_RSRC2:SCRATCH_EN: 0
; COMPUTE_PGM_RSRC2:USER_SGPR: 6
; COMPUTE_PGM_RSRC2:TRAP_HANDLER: 0
; COMPUTE_PGM_RSRC2:TGID_X_EN: 1
; COMPUTE_PGM_RSRC2:TGID_Y_EN: 0
; COMPUTE_PGM_RSRC2:TGID_Z_EN: 0
; COMPUTE_PGM_RSRC2:TIDIG_COMP_CNT: 0
	.section	.text._ZN7rocprim17ROCPRIM_400000_NS6detail17trampoline_kernelINS0_13select_configILj256ELj13ELNS0_17block_load_methodE3ELS4_3ELS4_3ELNS0_20block_scan_algorithmE0ELj4294967295EEENS1_25partition_config_selectorILNS1_17partition_subalgoE4EjNS0_10empty_typeEbEEZZNS1_14partition_implILS8_4ELb0ES6_15HIP_vector_typeIjLj2EENS0_17counting_iteratorIjlEEPS9_SG_NS0_5tupleIJPjSI_NS0_16reverse_iteratorISI_EEEEENSH_IJSG_SG_SG_EEES9_SI_JZNS1_25segmented_radix_sort_implINS0_14default_configELb0EPK6__halfPSP_PKlPlN2at6native12_GLOBAL__N_18offset_tEEE10hipError_tPvRmT1_PNSt15iterator_traitsIS13_E10value_typeET2_T3_PNS14_IS19_E10value_typeET4_jRbjT5_S1F_jjP12ihipStream_tbEUljE_ZNSN_ISO_Lb0ESR_SS_SU_SV_SZ_EES10_S11_S12_S13_S17_S18_S19_S1C_S1D_jS1E_jS1F_S1F_jjS1H_bEUljE0_EEES10_S11_S12_S19_S1D_S1F_T6_T7_T9_mT8_S1H_bDpT10_ENKUlT_T0_E_clISt17integral_constantIbLb1EES1U_IbLb0EEEEDaS1Q_S1R_EUlS1Q_E_NS1_11comp_targetILNS1_3genE8ELNS1_11target_archE1030ELNS1_3gpuE2ELNS1_3repE0EEENS1_30default_config_static_selectorELNS0_4arch9wavefront6targetE0EEEvS13_,"axG",@progbits,_ZN7rocprim17ROCPRIM_400000_NS6detail17trampoline_kernelINS0_13select_configILj256ELj13ELNS0_17block_load_methodE3ELS4_3ELS4_3ELNS0_20block_scan_algorithmE0ELj4294967295EEENS1_25partition_config_selectorILNS1_17partition_subalgoE4EjNS0_10empty_typeEbEEZZNS1_14partition_implILS8_4ELb0ES6_15HIP_vector_typeIjLj2EENS0_17counting_iteratorIjlEEPS9_SG_NS0_5tupleIJPjSI_NS0_16reverse_iteratorISI_EEEEENSH_IJSG_SG_SG_EEES9_SI_JZNS1_25segmented_radix_sort_implINS0_14default_configELb0EPK6__halfPSP_PKlPlN2at6native12_GLOBAL__N_18offset_tEEE10hipError_tPvRmT1_PNSt15iterator_traitsIS13_E10value_typeET2_T3_PNS14_IS19_E10value_typeET4_jRbjT5_S1F_jjP12ihipStream_tbEUljE_ZNSN_ISO_Lb0ESR_SS_SU_SV_SZ_EES10_S11_S12_S13_S17_S18_S19_S1C_S1D_jS1E_jS1F_S1F_jjS1H_bEUljE0_EEES10_S11_S12_S19_S1D_S1F_T6_T7_T9_mT8_S1H_bDpT10_ENKUlT_T0_E_clISt17integral_constantIbLb1EES1U_IbLb0EEEEDaS1Q_S1R_EUlS1Q_E_NS1_11comp_targetILNS1_3genE8ELNS1_11target_archE1030ELNS1_3gpuE2ELNS1_3repE0EEENS1_30default_config_static_selectorELNS0_4arch9wavefront6targetE0EEEvS13_,comdat
	.globl	_ZN7rocprim17ROCPRIM_400000_NS6detail17trampoline_kernelINS0_13select_configILj256ELj13ELNS0_17block_load_methodE3ELS4_3ELS4_3ELNS0_20block_scan_algorithmE0ELj4294967295EEENS1_25partition_config_selectorILNS1_17partition_subalgoE4EjNS0_10empty_typeEbEEZZNS1_14partition_implILS8_4ELb0ES6_15HIP_vector_typeIjLj2EENS0_17counting_iteratorIjlEEPS9_SG_NS0_5tupleIJPjSI_NS0_16reverse_iteratorISI_EEEEENSH_IJSG_SG_SG_EEES9_SI_JZNS1_25segmented_radix_sort_implINS0_14default_configELb0EPK6__halfPSP_PKlPlN2at6native12_GLOBAL__N_18offset_tEEE10hipError_tPvRmT1_PNSt15iterator_traitsIS13_E10value_typeET2_T3_PNS14_IS19_E10value_typeET4_jRbjT5_S1F_jjP12ihipStream_tbEUljE_ZNSN_ISO_Lb0ESR_SS_SU_SV_SZ_EES10_S11_S12_S13_S17_S18_S19_S1C_S1D_jS1E_jS1F_S1F_jjS1H_bEUljE0_EEES10_S11_S12_S19_S1D_S1F_T6_T7_T9_mT8_S1H_bDpT10_ENKUlT_T0_E_clISt17integral_constantIbLb1EES1U_IbLb0EEEEDaS1Q_S1R_EUlS1Q_E_NS1_11comp_targetILNS1_3genE8ELNS1_11target_archE1030ELNS1_3gpuE2ELNS1_3repE0EEENS1_30default_config_static_selectorELNS0_4arch9wavefront6targetE0EEEvS13_ ; -- Begin function _ZN7rocprim17ROCPRIM_400000_NS6detail17trampoline_kernelINS0_13select_configILj256ELj13ELNS0_17block_load_methodE3ELS4_3ELS4_3ELNS0_20block_scan_algorithmE0ELj4294967295EEENS1_25partition_config_selectorILNS1_17partition_subalgoE4EjNS0_10empty_typeEbEEZZNS1_14partition_implILS8_4ELb0ES6_15HIP_vector_typeIjLj2EENS0_17counting_iteratorIjlEEPS9_SG_NS0_5tupleIJPjSI_NS0_16reverse_iteratorISI_EEEEENSH_IJSG_SG_SG_EEES9_SI_JZNS1_25segmented_radix_sort_implINS0_14default_configELb0EPK6__halfPSP_PKlPlN2at6native12_GLOBAL__N_18offset_tEEE10hipError_tPvRmT1_PNSt15iterator_traitsIS13_E10value_typeET2_T3_PNS14_IS19_E10value_typeET4_jRbjT5_S1F_jjP12ihipStream_tbEUljE_ZNSN_ISO_Lb0ESR_SS_SU_SV_SZ_EES10_S11_S12_S13_S17_S18_S19_S1C_S1D_jS1E_jS1F_S1F_jjS1H_bEUljE0_EEES10_S11_S12_S19_S1D_S1F_T6_T7_T9_mT8_S1H_bDpT10_ENKUlT_T0_E_clISt17integral_constantIbLb1EES1U_IbLb0EEEEDaS1Q_S1R_EUlS1Q_E_NS1_11comp_targetILNS1_3genE8ELNS1_11target_archE1030ELNS1_3gpuE2ELNS1_3repE0EEENS1_30default_config_static_selectorELNS0_4arch9wavefront6targetE0EEEvS13_
	.p2align	8
	.type	_ZN7rocprim17ROCPRIM_400000_NS6detail17trampoline_kernelINS0_13select_configILj256ELj13ELNS0_17block_load_methodE3ELS4_3ELS4_3ELNS0_20block_scan_algorithmE0ELj4294967295EEENS1_25partition_config_selectorILNS1_17partition_subalgoE4EjNS0_10empty_typeEbEEZZNS1_14partition_implILS8_4ELb0ES6_15HIP_vector_typeIjLj2EENS0_17counting_iteratorIjlEEPS9_SG_NS0_5tupleIJPjSI_NS0_16reverse_iteratorISI_EEEEENSH_IJSG_SG_SG_EEES9_SI_JZNS1_25segmented_radix_sort_implINS0_14default_configELb0EPK6__halfPSP_PKlPlN2at6native12_GLOBAL__N_18offset_tEEE10hipError_tPvRmT1_PNSt15iterator_traitsIS13_E10value_typeET2_T3_PNS14_IS19_E10value_typeET4_jRbjT5_S1F_jjP12ihipStream_tbEUljE_ZNSN_ISO_Lb0ESR_SS_SU_SV_SZ_EES10_S11_S12_S13_S17_S18_S19_S1C_S1D_jS1E_jS1F_S1F_jjS1H_bEUljE0_EEES10_S11_S12_S19_S1D_S1F_T6_T7_T9_mT8_S1H_bDpT10_ENKUlT_T0_E_clISt17integral_constantIbLb1EES1U_IbLb0EEEEDaS1Q_S1R_EUlS1Q_E_NS1_11comp_targetILNS1_3genE8ELNS1_11target_archE1030ELNS1_3gpuE2ELNS1_3repE0EEENS1_30default_config_static_selectorELNS0_4arch9wavefront6targetE0EEEvS13_,@function
_ZN7rocprim17ROCPRIM_400000_NS6detail17trampoline_kernelINS0_13select_configILj256ELj13ELNS0_17block_load_methodE3ELS4_3ELS4_3ELNS0_20block_scan_algorithmE0ELj4294967295EEENS1_25partition_config_selectorILNS1_17partition_subalgoE4EjNS0_10empty_typeEbEEZZNS1_14partition_implILS8_4ELb0ES6_15HIP_vector_typeIjLj2EENS0_17counting_iteratorIjlEEPS9_SG_NS0_5tupleIJPjSI_NS0_16reverse_iteratorISI_EEEEENSH_IJSG_SG_SG_EEES9_SI_JZNS1_25segmented_radix_sort_implINS0_14default_configELb0EPK6__halfPSP_PKlPlN2at6native12_GLOBAL__N_18offset_tEEE10hipError_tPvRmT1_PNSt15iterator_traitsIS13_E10value_typeET2_T3_PNS14_IS19_E10value_typeET4_jRbjT5_S1F_jjP12ihipStream_tbEUljE_ZNSN_ISO_Lb0ESR_SS_SU_SV_SZ_EES10_S11_S12_S13_S17_S18_S19_S1C_S1D_jS1E_jS1F_S1F_jjS1H_bEUljE0_EEES10_S11_S12_S19_S1D_S1F_T6_T7_T9_mT8_S1H_bDpT10_ENKUlT_T0_E_clISt17integral_constantIbLb1EES1U_IbLb0EEEEDaS1Q_S1R_EUlS1Q_E_NS1_11comp_targetILNS1_3genE8ELNS1_11target_archE1030ELNS1_3gpuE2ELNS1_3repE0EEENS1_30default_config_static_selectorELNS0_4arch9wavefront6targetE0EEEvS13_: ; @_ZN7rocprim17ROCPRIM_400000_NS6detail17trampoline_kernelINS0_13select_configILj256ELj13ELNS0_17block_load_methodE3ELS4_3ELS4_3ELNS0_20block_scan_algorithmE0ELj4294967295EEENS1_25partition_config_selectorILNS1_17partition_subalgoE4EjNS0_10empty_typeEbEEZZNS1_14partition_implILS8_4ELb0ES6_15HIP_vector_typeIjLj2EENS0_17counting_iteratorIjlEEPS9_SG_NS0_5tupleIJPjSI_NS0_16reverse_iteratorISI_EEEEENSH_IJSG_SG_SG_EEES9_SI_JZNS1_25segmented_radix_sort_implINS0_14default_configELb0EPK6__halfPSP_PKlPlN2at6native12_GLOBAL__N_18offset_tEEE10hipError_tPvRmT1_PNSt15iterator_traitsIS13_E10value_typeET2_T3_PNS14_IS19_E10value_typeET4_jRbjT5_S1F_jjP12ihipStream_tbEUljE_ZNSN_ISO_Lb0ESR_SS_SU_SV_SZ_EES10_S11_S12_S13_S17_S18_S19_S1C_S1D_jS1E_jS1F_S1F_jjS1H_bEUljE0_EEES10_S11_S12_S19_S1D_S1F_T6_T7_T9_mT8_S1H_bDpT10_ENKUlT_T0_E_clISt17integral_constantIbLb1EES1U_IbLb0EEEEDaS1Q_S1R_EUlS1Q_E_NS1_11comp_targetILNS1_3genE8ELNS1_11target_archE1030ELNS1_3gpuE2ELNS1_3repE0EEENS1_30default_config_static_selectorELNS0_4arch9wavefront6targetE0EEEvS13_
; %bb.0:
	s_endpgm
	.section	.rodata,"a",@progbits
	.p2align	6, 0x0
	.amdhsa_kernel _ZN7rocprim17ROCPRIM_400000_NS6detail17trampoline_kernelINS0_13select_configILj256ELj13ELNS0_17block_load_methodE3ELS4_3ELS4_3ELNS0_20block_scan_algorithmE0ELj4294967295EEENS1_25partition_config_selectorILNS1_17partition_subalgoE4EjNS0_10empty_typeEbEEZZNS1_14partition_implILS8_4ELb0ES6_15HIP_vector_typeIjLj2EENS0_17counting_iteratorIjlEEPS9_SG_NS0_5tupleIJPjSI_NS0_16reverse_iteratorISI_EEEEENSH_IJSG_SG_SG_EEES9_SI_JZNS1_25segmented_radix_sort_implINS0_14default_configELb0EPK6__halfPSP_PKlPlN2at6native12_GLOBAL__N_18offset_tEEE10hipError_tPvRmT1_PNSt15iterator_traitsIS13_E10value_typeET2_T3_PNS14_IS19_E10value_typeET4_jRbjT5_S1F_jjP12ihipStream_tbEUljE_ZNSN_ISO_Lb0ESR_SS_SU_SV_SZ_EES10_S11_S12_S13_S17_S18_S19_S1C_S1D_jS1E_jS1F_S1F_jjS1H_bEUljE0_EEES10_S11_S12_S19_S1D_S1F_T6_T7_T9_mT8_S1H_bDpT10_ENKUlT_T0_E_clISt17integral_constantIbLb1EES1U_IbLb0EEEEDaS1Q_S1R_EUlS1Q_E_NS1_11comp_targetILNS1_3genE8ELNS1_11target_archE1030ELNS1_3gpuE2ELNS1_3repE0EEENS1_30default_config_static_selectorELNS0_4arch9wavefront6targetE0EEEvS13_
		.amdhsa_group_segment_fixed_size 0
		.amdhsa_private_segment_fixed_size 0
		.amdhsa_kernarg_size 176
		.amdhsa_user_sgpr_count 6
		.amdhsa_user_sgpr_private_segment_buffer 1
		.amdhsa_user_sgpr_dispatch_ptr 0
		.amdhsa_user_sgpr_queue_ptr 0
		.amdhsa_user_sgpr_kernarg_segment_ptr 1
		.amdhsa_user_sgpr_dispatch_id 0
		.amdhsa_user_sgpr_flat_scratch_init 0
		.amdhsa_user_sgpr_private_segment_size 0
		.amdhsa_wavefront_size32 1
		.amdhsa_uses_dynamic_stack 0
		.amdhsa_system_sgpr_private_segment_wavefront_offset 0
		.amdhsa_system_sgpr_workgroup_id_x 1
		.amdhsa_system_sgpr_workgroup_id_y 0
		.amdhsa_system_sgpr_workgroup_id_z 0
		.amdhsa_system_sgpr_workgroup_info 0
		.amdhsa_system_vgpr_workitem_id 0
		.amdhsa_next_free_vgpr 1
		.amdhsa_next_free_sgpr 1
		.amdhsa_reserve_vcc 0
		.amdhsa_reserve_flat_scratch 0
		.amdhsa_float_round_mode_32 0
		.amdhsa_float_round_mode_16_64 0
		.amdhsa_float_denorm_mode_32 3
		.amdhsa_float_denorm_mode_16_64 3
		.amdhsa_dx10_clamp 1
		.amdhsa_ieee_mode 1
		.amdhsa_fp16_overflow 0
		.amdhsa_workgroup_processor_mode 1
		.amdhsa_memory_ordered 1
		.amdhsa_forward_progress 1
		.amdhsa_shared_vgpr_count 0
		.amdhsa_exception_fp_ieee_invalid_op 0
		.amdhsa_exception_fp_denorm_src 0
		.amdhsa_exception_fp_ieee_div_zero 0
		.amdhsa_exception_fp_ieee_overflow 0
		.amdhsa_exception_fp_ieee_underflow 0
		.amdhsa_exception_fp_ieee_inexact 0
		.amdhsa_exception_int_div_zero 0
	.end_amdhsa_kernel
	.section	.text._ZN7rocprim17ROCPRIM_400000_NS6detail17trampoline_kernelINS0_13select_configILj256ELj13ELNS0_17block_load_methodE3ELS4_3ELS4_3ELNS0_20block_scan_algorithmE0ELj4294967295EEENS1_25partition_config_selectorILNS1_17partition_subalgoE4EjNS0_10empty_typeEbEEZZNS1_14partition_implILS8_4ELb0ES6_15HIP_vector_typeIjLj2EENS0_17counting_iteratorIjlEEPS9_SG_NS0_5tupleIJPjSI_NS0_16reverse_iteratorISI_EEEEENSH_IJSG_SG_SG_EEES9_SI_JZNS1_25segmented_radix_sort_implINS0_14default_configELb0EPK6__halfPSP_PKlPlN2at6native12_GLOBAL__N_18offset_tEEE10hipError_tPvRmT1_PNSt15iterator_traitsIS13_E10value_typeET2_T3_PNS14_IS19_E10value_typeET4_jRbjT5_S1F_jjP12ihipStream_tbEUljE_ZNSN_ISO_Lb0ESR_SS_SU_SV_SZ_EES10_S11_S12_S13_S17_S18_S19_S1C_S1D_jS1E_jS1F_S1F_jjS1H_bEUljE0_EEES10_S11_S12_S19_S1D_S1F_T6_T7_T9_mT8_S1H_bDpT10_ENKUlT_T0_E_clISt17integral_constantIbLb1EES1U_IbLb0EEEEDaS1Q_S1R_EUlS1Q_E_NS1_11comp_targetILNS1_3genE8ELNS1_11target_archE1030ELNS1_3gpuE2ELNS1_3repE0EEENS1_30default_config_static_selectorELNS0_4arch9wavefront6targetE0EEEvS13_,"axG",@progbits,_ZN7rocprim17ROCPRIM_400000_NS6detail17trampoline_kernelINS0_13select_configILj256ELj13ELNS0_17block_load_methodE3ELS4_3ELS4_3ELNS0_20block_scan_algorithmE0ELj4294967295EEENS1_25partition_config_selectorILNS1_17partition_subalgoE4EjNS0_10empty_typeEbEEZZNS1_14partition_implILS8_4ELb0ES6_15HIP_vector_typeIjLj2EENS0_17counting_iteratorIjlEEPS9_SG_NS0_5tupleIJPjSI_NS0_16reverse_iteratorISI_EEEEENSH_IJSG_SG_SG_EEES9_SI_JZNS1_25segmented_radix_sort_implINS0_14default_configELb0EPK6__halfPSP_PKlPlN2at6native12_GLOBAL__N_18offset_tEEE10hipError_tPvRmT1_PNSt15iterator_traitsIS13_E10value_typeET2_T3_PNS14_IS19_E10value_typeET4_jRbjT5_S1F_jjP12ihipStream_tbEUljE_ZNSN_ISO_Lb0ESR_SS_SU_SV_SZ_EES10_S11_S12_S13_S17_S18_S19_S1C_S1D_jS1E_jS1F_S1F_jjS1H_bEUljE0_EEES10_S11_S12_S19_S1D_S1F_T6_T7_T9_mT8_S1H_bDpT10_ENKUlT_T0_E_clISt17integral_constantIbLb1EES1U_IbLb0EEEEDaS1Q_S1R_EUlS1Q_E_NS1_11comp_targetILNS1_3genE8ELNS1_11target_archE1030ELNS1_3gpuE2ELNS1_3repE0EEENS1_30default_config_static_selectorELNS0_4arch9wavefront6targetE0EEEvS13_,comdat
.Lfunc_end1791:
	.size	_ZN7rocprim17ROCPRIM_400000_NS6detail17trampoline_kernelINS0_13select_configILj256ELj13ELNS0_17block_load_methodE3ELS4_3ELS4_3ELNS0_20block_scan_algorithmE0ELj4294967295EEENS1_25partition_config_selectorILNS1_17partition_subalgoE4EjNS0_10empty_typeEbEEZZNS1_14partition_implILS8_4ELb0ES6_15HIP_vector_typeIjLj2EENS0_17counting_iteratorIjlEEPS9_SG_NS0_5tupleIJPjSI_NS0_16reverse_iteratorISI_EEEEENSH_IJSG_SG_SG_EEES9_SI_JZNS1_25segmented_radix_sort_implINS0_14default_configELb0EPK6__halfPSP_PKlPlN2at6native12_GLOBAL__N_18offset_tEEE10hipError_tPvRmT1_PNSt15iterator_traitsIS13_E10value_typeET2_T3_PNS14_IS19_E10value_typeET4_jRbjT5_S1F_jjP12ihipStream_tbEUljE_ZNSN_ISO_Lb0ESR_SS_SU_SV_SZ_EES10_S11_S12_S13_S17_S18_S19_S1C_S1D_jS1E_jS1F_S1F_jjS1H_bEUljE0_EEES10_S11_S12_S19_S1D_S1F_T6_T7_T9_mT8_S1H_bDpT10_ENKUlT_T0_E_clISt17integral_constantIbLb1EES1U_IbLb0EEEEDaS1Q_S1R_EUlS1Q_E_NS1_11comp_targetILNS1_3genE8ELNS1_11target_archE1030ELNS1_3gpuE2ELNS1_3repE0EEENS1_30default_config_static_selectorELNS0_4arch9wavefront6targetE0EEEvS13_, .Lfunc_end1791-_ZN7rocprim17ROCPRIM_400000_NS6detail17trampoline_kernelINS0_13select_configILj256ELj13ELNS0_17block_load_methodE3ELS4_3ELS4_3ELNS0_20block_scan_algorithmE0ELj4294967295EEENS1_25partition_config_selectorILNS1_17partition_subalgoE4EjNS0_10empty_typeEbEEZZNS1_14partition_implILS8_4ELb0ES6_15HIP_vector_typeIjLj2EENS0_17counting_iteratorIjlEEPS9_SG_NS0_5tupleIJPjSI_NS0_16reverse_iteratorISI_EEEEENSH_IJSG_SG_SG_EEES9_SI_JZNS1_25segmented_radix_sort_implINS0_14default_configELb0EPK6__halfPSP_PKlPlN2at6native12_GLOBAL__N_18offset_tEEE10hipError_tPvRmT1_PNSt15iterator_traitsIS13_E10value_typeET2_T3_PNS14_IS19_E10value_typeET4_jRbjT5_S1F_jjP12ihipStream_tbEUljE_ZNSN_ISO_Lb0ESR_SS_SU_SV_SZ_EES10_S11_S12_S13_S17_S18_S19_S1C_S1D_jS1E_jS1F_S1F_jjS1H_bEUljE0_EEES10_S11_S12_S19_S1D_S1F_T6_T7_T9_mT8_S1H_bDpT10_ENKUlT_T0_E_clISt17integral_constantIbLb1EES1U_IbLb0EEEEDaS1Q_S1R_EUlS1Q_E_NS1_11comp_targetILNS1_3genE8ELNS1_11target_archE1030ELNS1_3gpuE2ELNS1_3repE0EEENS1_30default_config_static_selectorELNS0_4arch9wavefront6targetE0EEEvS13_
                                        ; -- End function
	.set _ZN7rocprim17ROCPRIM_400000_NS6detail17trampoline_kernelINS0_13select_configILj256ELj13ELNS0_17block_load_methodE3ELS4_3ELS4_3ELNS0_20block_scan_algorithmE0ELj4294967295EEENS1_25partition_config_selectorILNS1_17partition_subalgoE4EjNS0_10empty_typeEbEEZZNS1_14partition_implILS8_4ELb0ES6_15HIP_vector_typeIjLj2EENS0_17counting_iteratorIjlEEPS9_SG_NS0_5tupleIJPjSI_NS0_16reverse_iteratorISI_EEEEENSH_IJSG_SG_SG_EEES9_SI_JZNS1_25segmented_radix_sort_implINS0_14default_configELb0EPK6__halfPSP_PKlPlN2at6native12_GLOBAL__N_18offset_tEEE10hipError_tPvRmT1_PNSt15iterator_traitsIS13_E10value_typeET2_T3_PNS14_IS19_E10value_typeET4_jRbjT5_S1F_jjP12ihipStream_tbEUljE_ZNSN_ISO_Lb0ESR_SS_SU_SV_SZ_EES10_S11_S12_S13_S17_S18_S19_S1C_S1D_jS1E_jS1F_S1F_jjS1H_bEUljE0_EEES10_S11_S12_S19_S1D_S1F_T6_T7_T9_mT8_S1H_bDpT10_ENKUlT_T0_E_clISt17integral_constantIbLb1EES1U_IbLb0EEEEDaS1Q_S1R_EUlS1Q_E_NS1_11comp_targetILNS1_3genE8ELNS1_11target_archE1030ELNS1_3gpuE2ELNS1_3repE0EEENS1_30default_config_static_selectorELNS0_4arch9wavefront6targetE0EEEvS13_.num_vgpr, 0
	.set _ZN7rocprim17ROCPRIM_400000_NS6detail17trampoline_kernelINS0_13select_configILj256ELj13ELNS0_17block_load_methodE3ELS4_3ELS4_3ELNS0_20block_scan_algorithmE0ELj4294967295EEENS1_25partition_config_selectorILNS1_17partition_subalgoE4EjNS0_10empty_typeEbEEZZNS1_14partition_implILS8_4ELb0ES6_15HIP_vector_typeIjLj2EENS0_17counting_iteratorIjlEEPS9_SG_NS0_5tupleIJPjSI_NS0_16reverse_iteratorISI_EEEEENSH_IJSG_SG_SG_EEES9_SI_JZNS1_25segmented_radix_sort_implINS0_14default_configELb0EPK6__halfPSP_PKlPlN2at6native12_GLOBAL__N_18offset_tEEE10hipError_tPvRmT1_PNSt15iterator_traitsIS13_E10value_typeET2_T3_PNS14_IS19_E10value_typeET4_jRbjT5_S1F_jjP12ihipStream_tbEUljE_ZNSN_ISO_Lb0ESR_SS_SU_SV_SZ_EES10_S11_S12_S13_S17_S18_S19_S1C_S1D_jS1E_jS1F_S1F_jjS1H_bEUljE0_EEES10_S11_S12_S19_S1D_S1F_T6_T7_T9_mT8_S1H_bDpT10_ENKUlT_T0_E_clISt17integral_constantIbLb1EES1U_IbLb0EEEEDaS1Q_S1R_EUlS1Q_E_NS1_11comp_targetILNS1_3genE8ELNS1_11target_archE1030ELNS1_3gpuE2ELNS1_3repE0EEENS1_30default_config_static_selectorELNS0_4arch9wavefront6targetE0EEEvS13_.num_agpr, 0
	.set _ZN7rocprim17ROCPRIM_400000_NS6detail17trampoline_kernelINS0_13select_configILj256ELj13ELNS0_17block_load_methodE3ELS4_3ELS4_3ELNS0_20block_scan_algorithmE0ELj4294967295EEENS1_25partition_config_selectorILNS1_17partition_subalgoE4EjNS0_10empty_typeEbEEZZNS1_14partition_implILS8_4ELb0ES6_15HIP_vector_typeIjLj2EENS0_17counting_iteratorIjlEEPS9_SG_NS0_5tupleIJPjSI_NS0_16reverse_iteratorISI_EEEEENSH_IJSG_SG_SG_EEES9_SI_JZNS1_25segmented_radix_sort_implINS0_14default_configELb0EPK6__halfPSP_PKlPlN2at6native12_GLOBAL__N_18offset_tEEE10hipError_tPvRmT1_PNSt15iterator_traitsIS13_E10value_typeET2_T3_PNS14_IS19_E10value_typeET4_jRbjT5_S1F_jjP12ihipStream_tbEUljE_ZNSN_ISO_Lb0ESR_SS_SU_SV_SZ_EES10_S11_S12_S13_S17_S18_S19_S1C_S1D_jS1E_jS1F_S1F_jjS1H_bEUljE0_EEES10_S11_S12_S19_S1D_S1F_T6_T7_T9_mT8_S1H_bDpT10_ENKUlT_T0_E_clISt17integral_constantIbLb1EES1U_IbLb0EEEEDaS1Q_S1R_EUlS1Q_E_NS1_11comp_targetILNS1_3genE8ELNS1_11target_archE1030ELNS1_3gpuE2ELNS1_3repE0EEENS1_30default_config_static_selectorELNS0_4arch9wavefront6targetE0EEEvS13_.numbered_sgpr, 0
	.set _ZN7rocprim17ROCPRIM_400000_NS6detail17trampoline_kernelINS0_13select_configILj256ELj13ELNS0_17block_load_methodE3ELS4_3ELS4_3ELNS0_20block_scan_algorithmE0ELj4294967295EEENS1_25partition_config_selectorILNS1_17partition_subalgoE4EjNS0_10empty_typeEbEEZZNS1_14partition_implILS8_4ELb0ES6_15HIP_vector_typeIjLj2EENS0_17counting_iteratorIjlEEPS9_SG_NS0_5tupleIJPjSI_NS0_16reverse_iteratorISI_EEEEENSH_IJSG_SG_SG_EEES9_SI_JZNS1_25segmented_radix_sort_implINS0_14default_configELb0EPK6__halfPSP_PKlPlN2at6native12_GLOBAL__N_18offset_tEEE10hipError_tPvRmT1_PNSt15iterator_traitsIS13_E10value_typeET2_T3_PNS14_IS19_E10value_typeET4_jRbjT5_S1F_jjP12ihipStream_tbEUljE_ZNSN_ISO_Lb0ESR_SS_SU_SV_SZ_EES10_S11_S12_S13_S17_S18_S19_S1C_S1D_jS1E_jS1F_S1F_jjS1H_bEUljE0_EEES10_S11_S12_S19_S1D_S1F_T6_T7_T9_mT8_S1H_bDpT10_ENKUlT_T0_E_clISt17integral_constantIbLb1EES1U_IbLb0EEEEDaS1Q_S1R_EUlS1Q_E_NS1_11comp_targetILNS1_3genE8ELNS1_11target_archE1030ELNS1_3gpuE2ELNS1_3repE0EEENS1_30default_config_static_selectorELNS0_4arch9wavefront6targetE0EEEvS13_.num_named_barrier, 0
	.set _ZN7rocprim17ROCPRIM_400000_NS6detail17trampoline_kernelINS0_13select_configILj256ELj13ELNS0_17block_load_methodE3ELS4_3ELS4_3ELNS0_20block_scan_algorithmE0ELj4294967295EEENS1_25partition_config_selectorILNS1_17partition_subalgoE4EjNS0_10empty_typeEbEEZZNS1_14partition_implILS8_4ELb0ES6_15HIP_vector_typeIjLj2EENS0_17counting_iteratorIjlEEPS9_SG_NS0_5tupleIJPjSI_NS0_16reverse_iteratorISI_EEEEENSH_IJSG_SG_SG_EEES9_SI_JZNS1_25segmented_radix_sort_implINS0_14default_configELb0EPK6__halfPSP_PKlPlN2at6native12_GLOBAL__N_18offset_tEEE10hipError_tPvRmT1_PNSt15iterator_traitsIS13_E10value_typeET2_T3_PNS14_IS19_E10value_typeET4_jRbjT5_S1F_jjP12ihipStream_tbEUljE_ZNSN_ISO_Lb0ESR_SS_SU_SV_SZ_EES10_S11_S12_S13_S17_S18_S19_S1C_S1D_jS1E_jS1F_S1F_jjS1H_bEUljE0_EEES10_S11_S12_S19_S1D_S1F_T6_T7_T9_mT8_S1H_bDpT10_ENKUlT_T0_E_clISt17integral_constantIbLb1EES1U_IbLb0EEEEDaS1Q_S1R_EUlS1Q_E_NS1_11comp_targetILNS1_3genE8ELNS1_11target_archE1030ELNS1_3gpuE2ELNS1_3repE0EEENS1_30default_config_static_selectorELNS0_4arch9wavefront6targetE0EEEvS13_.private_seg_size, 0
	.set _ZN7rocprim17ROCPRIM_400000_NS6detail17trampoline_kernelINS0_13select_configILj256ELj13ELNS0_17block_load_methodE3ELS4_3ELS4_3ELNS0_20block_scan_algorithmE0ELj4294967295EEENS1_25partition_config_selectorILNS1_17partition_subalgoE4EjNS0_10empty_typeEbEEZZNS1_14partition_implILS8_4ELb0ES6_15HIP_vector_typeIjLj2EENS0_17counting_iteratorIjlEEPS9_SG_NS0_5tupleIJPjSI_NS0_16reverse_iteratorISI_EEEEENSH_IJSG_SG_SG_EEES9_SI_JZNS1_25segmented_radix_sort_implINS0_14default_configELb0EPK6__halfPSP_PKlPlN2at6native12_GLOBAL__N_18offset_tEEE10hipError_tPvRmT1_PNSt15iterator_traitsIS13_E10value_typeET2_T3_PNS14_IS19_E10value_typeET4_jRbjT5_S1F_jjP12ihipStream_tbEUljE_ZNSN_ISO_Lb0ESR_SS_SU_SV_SZ_EES10_S11_S12_S13_S17_S18_S19_S1C_S1D_jS1E_jS1F_S1F_jjS1H_bEUljE0_EEES10_S11_S12_S19_S1D_S1F_T6_T7_T9_mT8_S1H_bDpT10_ENKUlT_T0_E_clISt17integral_constantIbLb1EES1U_IbLb0EEEEDaS1Q_S1R_EUlS1Q_E_NS1_11comp_targetILNS1_3genE8ELNS1_11target_archE1030ELNS1_3gpuE2ELNS1_3repE0EEENS1_30default_config_static_selectorELNS0_4arch9wavefront6targetE0EEEvS13_.uses_vcc, 0
	.set _ZN7rocprim17ROCPRIM_400000_NS6detail17trampoline_kernelINS0_13select_configILj256ELj13ELNS0_17block_load_methodE3ELS4_3ELS4_3ELNS0_20block_scan_algorithmE0ELj4294967295EEENS1_25partition_config_selectorILNS1_17partition_subalgoE4EjNS0_10empty_typeEbEEZZNS1_14partition_implILS8_4ELb0ES6_15HIP_vector_typeIjLj2EENS0_17counting_iteratorIjlEEPS9_SG_NS0_5tupleIJPjSI_NS0_16reverse_iteratorISI_EEEEENSH_IJSG_SG_SG_EEES9_SI_JZNS1_25segmented_radix_sort_implINS0_14default_configELb0EPK6__halfPSP_PKlPlN2at6native12_GLOBAL__N_18offset_tEEE10hipError_tPvRmT1_PNSt15iterator_traitsIS13_E10value_typeET2_T3_PNS14_IS19_E10value_typeET4_jRbjT5_S1F_jjP12ihipStream_tbEUljE_ZNSN_ISO_Lb0ESR_SS_SU_SV_SZ_EES10_S11_S12_S13_S17_S18_S19_S1C_S1D_jS1E_jS1F_S1F_jjS1H_bEUljE0_EEES10_S11_S12_S19_S1D_S1F_T6_T7_T9_mT8_S1H_bDpT10_ENKUlT_T0_E_clISt17integral_constantIbLb1EES1U_IbLb0EEEEDaS1Q_S1R_EUlS1Q_E_NS1_11comp_targetILNS1_3genE8ELNS1_11target_archE1030ELNS1_3gpuE2ELNS1_3repE0EEENS1_30default_config_static_selectorELNS0_4arch9wavefront6targetE0EEEvS13_.uses_flat_scratch, 0
	.set _ZN7rocprim17ROCPRIM_400000_NS6detail17trampoline_kernelINS0_13select_configILj256ELj13ELNS0_17block_load_methodE3ELS4_3ELS4_3ELNS0_20block_scan_algorithmE0ELj4294967295EEENS1_25partition_config_selectorILNS1_17partition_subalgoE4EjNS0_10empty_typeEbEEZZNS1_14partition_implILS8_4ELb0ES6_15HIP_vector_typeIjLj2EENS0_17counting_iteratorIjlEEPS9_SG_NS0_5tupleIJPjSI_NS0_16reverse_iteratorISI_EEEEENSH_IJSG_SG_SG_EEES9_SI_JZNS1_25segmented_radix_sort_implINS0_14default_configELb0EPK6__halfPSP_PKlPlN2at6native12_GLOBAL__N_18offset_tEEE10hipError_tPvRmT1_PNSt15iterator_traitsIS13_E10value_typeET2_T3_PNS14_IS19_E10value_typeET4_jRbjT5_S1F_jjP12ihipStream_tbEUljE_ZNSN_ISO_Lb0ESR_SS_SU_SV_SZ_EES10_S11_S12_S13_S17_S18_S19_S1C_S1D_jS1E_jS1F_S1F_jjS1H_bEUljE0_EEES10_S11_S12_S19_S1D_S1F_T6_T7_T9_mT8_S1H_bDpT10_ENKUlT_T0_E_clISt17integral_constantIbLb1EES1U_IbLb0EEEEDaS1Q_S1R_EUlS1Q_E_NS1_11comp_targetILNS1_3genE8ELNS1_11target_archE1030ELNS1_3gpuE2ELNS1_3repE0EEENS1_30default_config_static_selectorELNS0_4arch9wavefront6targetE0EEEvS13_.has_dyn_sized_stack, 0
	.set _ZN7rocprim17ROCPRIM_400000_NS6detail17trampoline_kernelINS0_13select_configILj256ELj13ELNS0_17block_load_methodE3ELS4_3ELS4_3ELNS0_20block_scan_algorithmE0ELj4294967295EEENS1_25partition_config_selectorILNS1_17partition_subalgoE4EjNS0_10empty_typeEbEEZZNS1_14partition_implILS8_4ELb0ES6_15HIP_vector_typeIjLj2EENS0_17counting_iteratorIjlEEPS9_SG_NS0_5tupleIJPjSI_NS0_16reverse_iteratorISI_EEEEENSH_IJSG_SG_SG_EEES9_SI_JZNS1_25segmented_radix_sort_implINS0_14default_configELb0EPK6__halfPSP_PKlPlN2at6native12_GLOBAL__N_18offset_tEEE10hipError_tPvRmT1_PNSt15iterator_traitsIS13_E10value_typeET2_T3_PNS14_IS19_E10value_typeET4_jRbjT5_S1F_jjP12ihipStream_tbEUljE_ZNSN_ISO_Lb0ESR_SS_SU_SV_SZ_EES10_S11_S12_S13_S17_S18_S19_S1C_S1D_jS1E_jS1F_S1F_jjS1H_bEUljE0_EEES10_S11_S12_S19_S1D_S1F_T6_T7_T9_mT8_S1H_bDpT10_ENKUlT_T0_E_clISt17integral_constantIbLb1EES1U_IbLb0EEEEDaS1Q_S1R_EUlS1Q_E_NS1_11comp_targetILNS1_3genE8ELNS1_11target_archE1030ELNS1_3gpuE2ELNS1_3repE0EEENS1_30default_config_static_selectorELNS0_4arch9wavefront6targetE0EEEvS13_.has_recursion, 0
	.set _ZN7rocprim17ROCPRIM_400000_NS6detail17trampoline_kernelINS0_13select_configILj256ELj13ELNS0_17block_load_methodE3ELS4_3ELS4_3ELNS0_20block_scan_algorithmE0ELj4294967295EEENS1_25partition_config_selectorILNS1_17partition_subalgoE4EjNS0_10empty_typeEbEEZZNS1_14partition_implILS8_4ELb0ES6_15HIP_vector_typeIjLj2EENS0_17counting_iteratorIjlEEPS9_SG_NS0_5tupleIJPjSI_NS0_16reverse_iteratorISI_EEEEENSH_IJSG_SG_SG_EEES9_SI_JZNS1_25segmented_radix_sort_implINS0_14default_configELb0EPK6__halfPSP_PKlPlN2at6native12_GLOBAL__N_18offset_tEEE10hipError_tPvRmT1_PNSt15iterator_traitsIS13_E10value_typeET2_T3_PNS14_IS19_E10value_typeET4_jRbjT5_S1F_jjP12ihipStream_tbEUljE_ZNSN_ISO_Lb0ESR_SS_SU_SV_SZ_EES10_S11_S12_S13_S17_S18_S19_S1C_S1D_jS1E_jS1F_S1F_jjS1H_bEUljE0_EEES10_S11_S12_S19_S1D_S1F_T6_T7_T9_mT8_S1H_bDpT10_ENKUlT_T0_E_clISt17integral_constantIbLb1EES1U_IbLb0EEEEDaS1Q_S1R_EUlS1Q_E_NS1_11comp_targetILNS1_3genE8ELNS1_11target_archE1030ELNS1_3gpuE2ELNS1_3repE0EEENS1_30default_config_static_selectorELNS0_4arch9wavefront6targetE0EEEvS13_.has_indirect_call, 0
	.section	.AMDGPU.csdata,"",@progbits
; Kernel info:
; codeLenInByte = 4
; TotalNumSgprs: 0
; NumVgprs: 0
; ScratchSize: 0
; MemoryBound: 0
; FloatMode: 240
; IeeeMode: 1
; LDSByteSize: 0 bytes/workgroup (compile time only)
; SGPRBlocks: 0
; VGPRBlocks: 0
; NumSGPRsForWavesPerEU: 1
; NumVGPRsForWavesPerEU: 1
; Occupancy: 16
; WaveLimiterHint : 0
; COMPUTE_PGM_RSRC2:SCRATCH_EN: 0
; COMPUTE_PGM_RSRC2:USER_SGPR: 6
; COMPUTE_PGM_RSRC2:TRAP_HANDLER: 0
; COMPUTE_PGM_RSRC2:TGID_X_EN: 1
; COMPUTE_PGM_RSRC2:TGID_Y_EN: 0
; COMPUTE_PGM_RSRC2:TGID_Z_EN: 0
; COMPUTE_PGM_RSRC2:TIDIG_COMP_CNT: 0
	.section	.text._ZN7rocprim17ROCPRIM_400000_NS6detail17trampoline_kernelINS0_13select_configILj256ELj13ELNS0_17block_load_methodE3ELS4_3ELS4_3ELNS0_20block_scan_algorithmE0ELj4294967295EEENS1_25partition_config_selectorILNS1_17partition_subalgoE4EjNS0_10empty_typeEbEEZZNS1_14partition_implILS8_4ELb0ES6_15HIP_vector_typeIjLj2EENS0_17counting_iteratorIjlEEPS9_SG_NS0_5tupleIJPjSI_NS0_16reverse_iteratorISI_EEEEENSH_IJSG_SG_SG_EEES9_SI_JZNS1_25segmented_radix_sort_implINS0_14default_configELb0EPK6__halfPSP_PKlPlN2at6native12_GLOBAL__N_18offset_tEEE10hipError_tPvRmT1_PNSt15iterator_traitsIS13_E10value_typeET2_T3_PNS14_IS19_E10value_typeET4_jRbjT5_S1F_jjP12ihipStream_tbEUljE_ZNSN_ISO_Lb0ESR_SS_SU_SV_SZ_EES10_S11_S12_S13_S17_S18_S19_S1C_S1D_jS1E_jS1F_S1F_jjS1H_bEUljE0_EEES10_S11_S12_S19_S1D_S1F_T6_T7_T9_mT8_S1H_bDpT10_ENKUlT_T0_E_clISt17integral_constantIbLb0EES1U_IbLb1EEEEDaS1Q_S1R_EUlS1Q_E_NS1_11comp_targetILNS1_3genE0ELNS1_11target_archE4294967295ELNS1_3gpuE0ELNS1_3repE0EEENS1_30default_config_static_selectorELNS0_4arch9wavefront6targetE0EEEvS13_,"axG",@progbits,_ZN7rocprim17ROCPRIM_400000_NS6detail17trampoline_kernelINS0_13select_configILj256ELj13ELNS0_17block_load_methodE3ELS4_3ELS4_3ELNS0_20block_scan_algorithmE0ELj4294967295EEENS1_25partition_config_selectorILNS1_17partition_subalgoE4EjNS0_10empty_typeEbEEZZNS1_14partition_implILS8_4ELb0ES6_15HIP_vector_typeIjLj2EENS0_17counting_iteratorIjlEEPS9_SG_NS0_5tupleIJPjSI_NS0_16reverse_iteratorISI_EEEEENSH_IJSG_SG_SG_EEES9_SI_JZNS1_25segmented_radix_sort_implINS0_14default_configELb0EPK6__halfPSP_PKlPlN2at6native12_GLOBAL__N_18offset_tEEE10hipError_tPvRmT1_PNSt15iterator_traitsIS13_E10value_typeET2_T3_PNS14_IS19_E10value_typeET4_jRbjT5_S1F_jjP12ihipStream_tbEUljE_ZNSN_ISO_Lb0ESR_SS_SU_SV_SZ_EES10_S11_S12_S13_S17_S18_S19_S1C_S1D_jS1E_jS1F_S1F_jjS1H_bEUljE0_EEES10_S11_S12_S19_S1D_S1F_T6_T7_T9_mT8_S1H_bDpT10_ENKUlT_T0_E_clISt17integral_constantIbLb0EES1U_IbLb1EEEEDaS1Q_S1R_EUlS1Q_E_NS1_11comp_targetILNS1_3genE0ELNS1_11target_archE4294967295ELNS1_3gpuE0ELNS1_3repE0EEENS1_30default_config_static_selectorELNS0_4arch9wavefront6targetE0EEEvS13_,comdat
	.globl	_ZN7rocprim17ROCPRIM_400000_NS6detail17trampoline_kernelINS0_13select_configILj256ELj13ELNS0_17block_load_methodE3ELS4_3ELS4_3ELNS0_20block_scan_algorithmE0ELj4294967295EEENS1_25partition_config_selectorILNS1_17partition_subalgoE4EjNS0_10empty_typeEbEEZZNS1_14partition_implILS8_4ELb0ES6_15HIP_vector_typeIjLj2EENS0_17counting_iteratorIjlEEPS9_SG_NS0_5tupleIJPjSI_NS0_16reverse_iteratorISI_EEEEENSH_IJSG_SG_SG_EEES9_SI_JZNS1_25segmented_radix_sort_implINS0_14default_configELb0EPK6__halfPSP_PKlPlN2at6native12_GLOBAL__N_18offset_tEEE10hipError_tPvRmT1_PNSt15iterator_traitsIS13_E10value_typeET2_T3_PNS14_IS19_E10value_typeET4_jRbjT5_S1F_jjP12ihipStream_tbEUljE_ZNSN_ISO_Lb0ESR_SS_SU_SV_SZ_EES10_S11_S12_S13_S17_S18_S19_S1C_S1D_jS1E_jS1F_S1F_jjS1H_bEUljE0_EEES10_S11_S12_S19_S1D_S1F_T6_T7_T9_mT8_S1H_bDpT10_ENKUlT_T0_E_clISt17integral_constantIbLb0EES1U_IbLb1EEEEDaS1Q_S1R_EUlS1Q_E_NS1_11comp_targetILNS1_3genE0ELNS1_11target_archE4294967295ELNS1_3gpuE0ELNS1_3repE0EEENS1_30default_config_static_selectorELNS0_4arch9wavefront6targetE0EEEvS13_ ; -- Begin function _ZN7rocprim17ROCPRIM_400000_NS6detail17trampoline_kernelINS0_13select_configILj256ELj13ELNS0_17block_load_methodE3ELS4_3ELS4_3ELNS0_20block_scan_algorithmE0ELj4294967295EEENS1_25partition_config_selectorILNS1_17partition_subalgoE4EjNS0_10empty_typeEbEEZZNS1_14partition_implILS8_4ELb0ES6_15HIP_vector_typeIjLj2EENS0_17counting_iteratorIjlEEPS9_SG_NS0_5tupleIJPjSI_NS0_16reverse_iteratorISI_EEEEENSH_IJSG_SG_SG_EEES9_SI_JZNS1_25segmented_radix_sort_implINS0_14default_configELb0EPK6__halfPSP_PKlPlN2at6native12_GLOBAL__N_18offset_tEEE10hipError_tPvRmT1_PNSt15iterator_traitsIS13_E10value_typeET2_T3_PNS14_IS19_E10value_typeET4_jRbjT5_S1F_jjP12ihipStream_tbEUljE_ZNSN_ISO_Lb0ESR_SS_SU_SV_SZ_EES10_S11_S12_S13_S17_S18_S19_S1C_S1D_jS1E_jS1F_S1F_jjS1H_bEUljE0_EEES10_S11_S12_S19_S1D_S1F_T6_T7_T9_mT8_S1H_bDpT10_ENKUlT_T0_E_clISt17integral_constantIbLb0EES1U_IbLb1EEEEDaS1Q_S1R_EUlS1Q_E_NS1_11comp_targetILNS1_3genE0ELNS1_11target_archE4294967295ELNS1_3gpuE0ELNS1_3repE0EEENS1_30default_config_static_selectorELNS0_4arch9wavefront6targetE0EEEvS13_
	.p2align	8
	.type	_ZN7rocprim17ROCPRIM_400000_NS6detail17trampoline_kernelINS0_13select_configILj256ELj13ELNS0_17block_load_methodE3ELS4_3ELS4_3ELNS0_20block_scan_algorithmE0ELj4294967295EEENS1_25partition_config_selectorILNS1_17partition_subalgoE4EjNS0_10empty_typeEbEEZZNS1_14partition_implILS8_4ELb0ES6_15HIP_vector_typeIjLj2EENS0_17counting_iteratorIjlEEPS9_SG_NS0_5tupleIJPjSI_NS0_16reverse_iteratorISI_EEEEENSH_IJSG_SG_SG_EEES9_SI_JZNS1_25segmented_radix_sort_implINS0_14default_configELb0EPK6__halfPSP_PKlPlN2at6native12_GLOBAL__N_18offset_tEEE10hipError_tPvRmT1_PNSt15iterator_traitsIS13_E10value_typeET2_T3_PNS14_IS19_E10value_typeET4_jRbjT5_S1F_jjP12ihipStream_tbEUljE_ZNSN_ISO_Lb0ESR_SS_SU_SV_SZ_EES10_S11_S12_S13_S17_S18_S19_S1C_S1D_jS1E_jS1F_S1F_jjS1H_bEUljE0_EEES10_S11_S12_S19_S1D_S1F_T6_T7_T9_mT8_S1H_bDpT10_ENKUlT_T0_E_clISt17integral_constantIbLb0EES1U_IbLb1EEEEDaS1Q_S1R_EUlS1Q_E_NS1_11comp_targetILNS1_3genE0ELNS1_11target_archE4294967295ELNS1_3gpuE0ELNS1_3repE0EEENS1_30default_config_static_selectorELNS0_4arch9wavefront6targetE0EEEvS13_,@function
_ZN7rocprim17ROCPRIM_400000_NS6detail17trampoline_kernelINS0_13select_configILj256ELj13ELNS0_17block_load_methodE3ELS4_3ELS4_3ELNS0_20block_scan_algorithmE0ELj4294967295EEENS1_25partition_config_selectorILNS1_17partition_subalgoE4EjNS0_10empty_typeEbEEZZNS1_14partition_implILS8_4ELb0ES6_15HIP_vector_typeIjLj2EENS0_17counting_iteratorIjlEEPS9_SG_NS0_5tupleIJPjSI_NS0_16reverse_iteratorISI_EEEEENSH_IJSG_SG_SG_EEES9_SI_JZNS1_25segmented_radix_sort_implINS0_14default_configELb0EPK6__halfPSP_PKlPlN2at6native12_GLOBAL__N_18offset_tEEE10hipError_tPvRmT1_PNSt15iterator_traitsIS13_E10value_typeET2_T3_PNS14_IS19_E10value_typeET4_jRbjT5_S1F_jjP12ihipStream_tbEUljE_ZNSN_ISO_Lb0ESR_SS_SU_SV_SZ_EES10_S11_S12_S13_S17_S18_S19_S1C_S1D_jS1E_jS1F_S1F_jjS1H_bEUljE0_EEES10_S11_S12_S19_S1D_S1F_T6_T7_T9_mT8_S1H_bDpT10_ENKUlT_T0_E_clISt17integral_constantIbLb0EES1U_IbLb1EEEEDaS1Q_S1R_EUlS1Q_E_NS1_11comp_targetILNS1_3genE0ELNS1_11target_archE4294967295ELNS1_3gpuE0ELNS1_3repE0EEENS1_30default_config_static_selectorELNS0_4arch9wavefront6targetE0EEEvS13_: ; @_ZN7rocprim17ROCPRIM_400000_NS6detail17trampoline_kernelINS0_13select_configILj256ELj13ELNS0_17block_load_methodE3ELS4_3ELS4_3ELNS0_20block_scan_algorithmE0ELj4294967295EEENS1_25partition_config_selectorILNS1_17partition_subalgoE4EjNS0_10empty_typeEbEEZZNS1_14partition_implILS8_4ELb0ES6_15HIP_vector_typeIjLj2EENS0_17counting_iteratorIjlEEPS9_SG_NS0_5tupleIJPjSI_NS0_16reverse_iteratorISI_EEEEENSH_IJSG_SG_SG_EEES9_SI_JZNS1_25segmented_radix_sort_implINS0_14default_configELb0EPK6__halfPSP_PKlPlN2at6native12_GLOBAL__N_18offset_tEEE10hipError_tPvRmT1_PNSt15iterator_traitsIS13_E10value_typeET2_T3_PNS14_IS19_E10value_typeET4_jRbjT5_S1F_jjP12ihipStream_tbEUljE_ZNSN_ISO_Lb0ESR_SS_SU_SV_SZ_EES10_S11_S12_S13_S17_S18_S19_S1C_S1D_jS1E_jS1F_S1F_jjS1H_bEUljE0_EEES10_S11_S12_S19_S1D_S1F_T6_T7_T9_mT8_S1H_bDpT10_ENKUlT_T0_E_clISt17integral_constantIbLb0EES1U_IbLb1EEEEDaS1Q_S1R_EUlS1Q_E_NS1_11comp_targetILNS1_3genE0ELNS1_11target_archE4294967295ELNS1_3gpuE0ELNS1_3repE0EEENS1_30default_config_static_selectorELNS0_4arch9wavefront6targetE0EEEvS13_
; %bb.0:
	.section	.rodata,"a",@progbits
	.p2align	6, 0x0
	.amdhsa_kernel _ZN7rocprim17ROCPRIM_400000_NS6detail17trampoline_kernelINS0_13select_configILj256ELj13ELNS0_17block_load_methodE3ELS4_3ELS4_3ELNS0_20block_scan_algorithmE0ELj4294967295EEENS1_25partition_config_selectorILNS1_17partition_subalgoE4EjNS0_10empty_typeEbEEZZNS1_14partition_implILS8_4ELb0ES6_15HIP_vector_typeIjLj2EENS0_17counting_iteratorIjlEEPS9_SG_NS0_5tupleIJPjSI_NS0_16reverse_iteratorISI_EEEEENSH_IJSG_SG_SG_EEES9_SI_JZNS1_25segmented_radix_sort_implINS0_14default_configELb0EPK6__halfPSP_PKlPlN2at6native12_GLOBAL__N_18offset_tEEE10hipError_tPvRmT1_PNSt15iterator_traitsIS13_E10value_typeET2_T3_PNS14_IS19_E10value_typeET4_jRbjT5_S1F_jjP12ihipStream_tbEUljE_ZNSN_ISO_Lb0ESR_SS_SU_SV_SZ_EES10_S11_S12_S13_S17_S18_S19_S1C_S1D_jS1E_jS1F_S1F_jjS1H_bEUljE0_EEES10_S11_S12_S19_S1D_S1F_T6_T7_T9_mT8_S1H_bDpT10_ENKUlT_T0_E_clISt17integral_constantIbLb0EES1U_IbLb1EEEEDaS1Q_S1R_EUlS1Q_E_NS1_11comp_targetILNS1_3genE0ELNS1_11target_archE4294967295ELNS1_3gpuE0ELNS1_3repE0EEENS1_30default_config_static_selectorELNS0_4arch9wavefront6targetE0EEEvS13_
		.amdhsa_group_segment_fixed_size 0
		.amdhsa_private_segment_fixed_size 0
		.amdhsa_kernarg_size 184
		.amdhsa_user_sgpr_count 6
		.amdhsa_user_sgpr_private_segment_buffer 1
		.amdhsa_user_sgpr_dispatch_ptr 0
		.amdhsa_user_sgpr_queue_ptr 0
		.amdhsa_user_sgpr_kernarg_segment_ptr 1
		.amdhsa_user_sgpr_dispatch_id 0
		.amdhsa_user_sgpr_flat_scratch_init 0
		.amdhsa_user_sgpr_private_segment_size 0
		.amdhsa_wavefront_size32 1
		.amdhsa_uses_dynamic_stack 0
		.amdhsa_system_sgpr_private_segment_wavefront_offset 0
		.amdhsa_system_sgpr_workgroup_id_x 1
		.amdhsa_system_sgpr_workgroup_id_y 0
		.amdhsa_system_sgpr_workgroup_id_z 0
		.amdhsa_system_sgpr_workgroup_info 0
		.amdhsa_system_vgpr_workitem_id 0
		.amdhsa_next_free_vgpr 1
		.amdhsa_next_free_sgpr 1
		.amdhsa_reserve_vcc 0
		.amdhsa_reserve_flat_scratch 0
		.amdhsa_float_round_mode_32 0
		.amdhsa_float_round_mode_16_64 0
		.amdhsa_float_denorm_mode_32 3
		.amdhsa_float_denorm_mode_16_64 3
		.amdhsa_dx10_clamp 1
		.amdhsa_ieee_mode 1
		.amdhsa_fp16_overflow 0
		.amdhsa_workgroup_processor_mode 1
		.amdhsa_memory_ordered 1
		.amdhsa_forward_progress 1
		.amdhsa_shared_vgpr_count 0
		.amdhsa_exception_fp_ieee_invalid_op 0
		.amdhsa_exception_fp_denorm_src 0
		.amdhsa_exception_fp_ieee_div_zero 0
		.amdhsa_exception_fp_ieee_overflow 0
		.amdhsa_exception_fp_ieee_underflow 0
		.amdhsa_exception_fp_ieee_inexact 0
		.amdhsa_exception_int_div_zero 0
	.end_amdhsa_kernel
	.section	.text._ZN7rocprim17ROCPRIM_400000_NS6detail17trampoline_kernelINS0_13select_configILj256ELj13ELNS0_17block_load_methodE3ELS4_3ELS4_3ELNS0_20block_scan_algorithmE0ELj4294967295EEENS1_25partition_config_selectorILNS1_17partition_subalgoE4EjNS0_10empty_typeEbEEZZNS1_14partition_implILS8_4ELb0ES6_15HIP_vector_typeIjLj2EENS0_17counting_iteratorIjlEEPS9_SG_NS0_5tupleIJPjSI_NS0_16reverse_iteratorISI_EEEEENSH_IJSG_SG_SG_EEES9_SI_JZNS1_25segmented_radix_sort_implINS0_14default_configELb0EPK6__halfPSP_PKlPlN2at6native12_GLOBAL__N_18offset_tEEE10hipError_tPvRmT1_PNSt15iterator_traitsIS13_E10value_typeET2_T3_PNS14_IS19_E10value_typeET4_jRbjT5_S1F_jjP12ihipStream_tbEUljE_ZNSN_ISO_Lb0ESR_SS_SU_SV_SZ_EES10_S11_S12_S13_S17_S18_S19_S1C_S1D_jS1E_jS1F_S1F_jjS1H_bEUljE0_EEES10_S11_S12_S19_S1D_S1F_T6_T7_T9_mT8_S1H_bDpT10_ENKUlT_T0_E_clISt17integral_constantIbLb0EES1U_IbLb1EEEEDaS1Q_S1R_EUlS1Q_E_NS1_11comp_targetILNS1_3genE0ELNS1_11target_archE4294967295ELNS1_3gpuE0ELNS1_3repE0EEENS1_30default_config_static_selectorELNS0_4arch9wavefront6targetE0EEEvS13_,"axG",@progbits,_ZN7rocprim17ROCPRIM_400000_NS6detail17trampoline_kernelINS0_13select_configILj256ELj13ELNS0_17block_load_methodE3ELS4_3ELS4_3ELNS0_20block_scan_algorithmE0ELj4294967295EEENS1_25partition_config_selectorILNS1_17partition_subalgoE4EjNS0_10empty_typeEbEEZZNS1_14partition_implILS8_4ELb0ES6_15HIP_vector_typeIjLj2EENS0_17counting_iteratorIjlEEPS9_SG_NS0_5tupleIJPjSI_NS0_16reverse_iteratorISI_EEEEENSH_IJSG_SG_SG_EEES9_SI_JZNS1_25segmented_radix_sort_implINS0_14default_configELb0EPK6__halfPSP_PKlPlN2at6native12_GLOBAL__N_18offset_tEEE10hipError_tPvRmT1_PNSt15iterator_traitsIS13_E10value_typeET2_T3_PNS14_IS19_E10value_typeET4_jRbjT5_S1F_jjP12ihipStream_tbEUljE_ZNSN_ISO_Lb0ESR_SS_SU_SV_SZ_EES10_S11_S12_S13_S17_S18_S19_S1C_S1D_jS1E_jS1F_S1F_jjS1H_bEUljE0_EEES10_S11_S12_S19_S1D_S1F_T6_T7_T9_mT8_S1H_bDpT10_ENKUlT_T0_E_clISt17integral_constantIbLb0EES1U_IbLb1EEEEDaS1Q_S1R_EUlS1Q_E_NS1_11comp_targetILNS1_3genE0ELNS1_11target_archE4294967295ELNS1_3gpuE0ELNS1_3repE0EEENS1_30default_config_static_selectorELNS0_4arch9wavefront6targetE0EEEvS13_,comdat
.Lfunc_end1792:
	.size	_ZN7rocprim17ROCPRIM_400000_NS6detail17trampoline_kernelINS0_13select_configILj256ELj13ELNS0_17block_load_methodE3ELS4_3ELS4_3ELNS0_20block_scan_algorithmE0ELj4294967295EEENS1_25partition_config_selectorILNS1_17partition_subalgoE4EjNS0_10empty_typeEbEEZZNS1_14partition_implILS8_4ELb0ES6_15HIP_vector_typeIjLj2EENS0_17counting_iteratorIjlEEPS9_SG_NS0_5tupleIJPjSI_NS0_16reverse_iteratorISI_EEEEENSH_IJSG_SG_SG_EEES9_SI_JZNS1_25segmented_radix_sort_implINS0_14default_configELb0EPK6__halfPSP_PKlPlN2at6native12_GLOBAL__N_18offset_tEEE10hipError_tPvRmT1_PNSt15iterator_traitsIS13_E10value_typeET2_T3_PNS14_IS19_E10value_typeET4_jRbjT5_S1F_jjP12ihipStream_tbEUljE_ZNSN_ISO_Lb0ESR_SS_SU_SV_SZ_EES10_S11_S12_S13_S17_S18_S19_S1C_S1D_jS1E_jS1F_S1F_jjS1H_bEUljE0_EEES10_S11_S12_S19_S1D_S1F_T6_T7_T9_mT8_S1H_bDpT10_ENKUlT_T0_E_clISt17integral_constantIbLb0EES1U_IbLb1EEEEDaS1Q_S1R_EUlS1Q_E_NS1_11comp_targetILNS1_3genE0ELNS1_11target_archE4294967295ELNS1_3gpuE0ELNS1_3repE0EEENS1_30default_config_static_selectorELNS0_4arch9wavefront6targetE0EEEvS13_, .Lfunc_end1792-_ZN7rocprim17ROCPRIM_400000_NS6detail17trampoline_kernelINS0_13select_configILj256ELj13ELNS0_17block_load_methodE3ELS4_3ELS4_3ELNS0_20block_scan_algorithmE0ELj4294967295EEENS1_25partition_config_selectorILNS1_17partition_subalgoE4EjNS0_10empty_typeEbEEZZNS1_14partition_implILS8_4ELb0ES6_15HIP_vector_typeIjLj2EENS0_17counting_iteratorIjlEEPS9_SG_NS0_5tupleIJPjSI_NS0_16reverse_iteratorISI_EEEEENSH_IJSG_SG_SG_EEES9_SI_JZNS1_25segmented_radix_sort_implINS0_14default_configELb0EPK6__halfPSP_PKlPlN2at6native12_GLOBAL__N_18offset_tEEE10hipError_tPvRmT1_PNSt15iterator_traitsIS13_E10value_typeET2_T3_PNS14_IS19_E10value_typeET4_jRbjT5_S1F_jjP12ihipStream_tbEUljE_ZNSN_ISO_Lb0ESR_SS_SU_SV_SZ_EES10_S11_S12_S13_S17_S18_S19_S1C_S1D_jS1E_jS1F_S1F_jjS1H_bEUljE0_EEES10_S11_S12_S19_S1D_S1F_T6_T7_T9_mT8_S1H_bDpT10_ENKUlT_T0_E_clISt17integral_constantIbLb0EES1U_IbLb1EEEEDaS1Q_S1R_EUlS1Q_E_NS1_11comp_targetILNS1_3genE0ELNS1_11target_archE4294967295ELNS1_3gpuE0ELNS1_3repE0EEENS1_30default_config_static_selectorELNS0_4arch9wavefront6targetE0EEEvS13_
                                        ; -- End function
	.set _ZN7rocprim17ROCPRIM_400000_NS6detail17trampoline_kernelINS0_13select_configILj256ELj13ELNS0_17block_load_methodE3ELS4_3ELS4_3ELNS0_20block_scan_algorithmE0ELj4294967295EEENS1_25partition_config_selectorILNS1_17partition_subalgoE4EjNS0_10empty_typeEbEEZZNS1_14partition_implILS8_4ELb0ES6_15HIP_vector_typeIjLj2EENS0_17counting_iteratorIjlEEPS9_SG_NS0_5tupleIJPjSI_NS0_16reverse_iteratorISI_EEEEENSH_IJSG_SG_SG_EEES9_SI_JZNS1_25segmented_radix_sort_implINS0_14default_configELb0EPK6__halfPSP_PKlPlN2at6native12_GLOBAL__N_18offset_tEEE10hipError_tPvRmT1_PNSt15iterator_traitsIS13_E10value_typeET2_T3_PNS14_IS19_E10value_typeET4_jRbjT5_S1F_jjP12ihipStream_tbEUljE_ZNSN_ISO_Lb0ESR_SS_SU_SV_SZ_EES10_S11_S12_S13_S17_S18_S19_S1C_S1D_jS1E_jS1F_S1F_jjS1H_bEUljE0_EEES10_S11_S12_S19_S1D_S1F_T6_T7_T9_mT8_S1H_bDpT10_ENKUlT_T0_E_clISt17integral_constantIbLb0EES1U_IbLb1EEEEDaS1Q_S1R_EUlS1Q_E_NS1_11comp_targetILNS1_3genE0ELNS1_11target_archE4294967295ELNS1_3gpuE0ELNS1_3repE0EEENS1_30default_config_static_selectorELNS0_4arch9wavefront6targetE0EEEvS13_.num_vgpr, 0
	.set _ZN7rocprim17ROCPRIM_400000_NS6detail17trampoline_kernelINS0_13select_configILj256ELj13ELNS0_17block_load_methodE3ELS4_3ELS4_3ELNS0_20block_scan_algorithmE0ELj4294967295EEENS1_25partition_config_selectorILNS1_17partition_subalgoE4EjNS0_10empty_typeEbEEZZNS1_14partition_implILS8_4ELb0ES6_15HIP_vector_typeIjLj2EENS0_17counting_iteratorIjlEEPS9_SG_NS0_5tupleIJPjSI_NS0_16reverse_iteratorISI_EEEEENSH_IJSG_SG_SG_EEES9_SI_JZNS1_25segmented_radix_sort_implINS0_14default_configELb0EPK6__halfPSP_PKlPlN2at6native12_GLOBAL__N_18offset_tEEE10hipError_tPvRmT1_PNSt15iterator_traitsIS13_E10value_typeET2_T3_PNS14_IS19_E10value_typeET4_jRbjT5_S1F_jjP12ihipStream_tbEUljE_ZNSN_ISO_Lb0ESR_SS_SU_SV_SZ_EES10_S11_S12_S13_S17_S18_S19_S1C_S1D_jS1E_jS1F_S1F_jjS1H_bEUljE0_EEES10_S11_S12_S19_S1D_S1F_T6_T7_T9_mT8_S1H_bDpT10_ENKUlT_T0_E_clISt17integral_constantIbLb0EES1U_IbLb1EEEEDaS1Q_S1R_EUlS1Q_E_NS1_11comp_targetILNS1_3genE0ELNS1_11target_archE4294967295ELNS1_3gpuE0ELNS1_3repE0EEENS1_30default_config_static_selectorELNS0_4arch9wavefront6targetE0EEEvS13_.num_agpr, 0
	.set _ZN7rocprim17ROCPRIM_400000_NS6detail17trampoline_kernelINS0_13select_configILj256ELj13ELNS0_17block_load_methodE3ELS4_3ELS4_3ELNS0_20block_scan_algorithmE0ELj4294967295EEENS1_25partition_config_selectorILNS1_17partition_subalgoE4EjNS0_10empty_typeEbEEZZNS1_14partition_implILS8_4ELb0ES6_15HIP_vector_typeIjLj2EENS0_17counting_iteratorIjlEEPS9_SG_NS0_5tupleIJPjSI_NS0_16reverse_iteratorISI_EEEEENSH_IJSG_SG_SG_EEES9_SI_JZNS1_25segmented_radix_sort_implINS0_14default_configELb0EPK6__halfPSP_PKlPlN2at6native12_GLOBAL__N_18offset_tEEE10hipError_tPvRmT1_PNSt15iterator_traitsIS13_E10value_typeET2_T3_PNS14_IS19_E10value_typeET4_jRbjT5_S1F_jjP12ihipStream_tbEUljE_ZNSN_ISO_Lb0ESR_SS_SU_SV_SZ_EES10_S11_S12_S13_S17_S18_S19_S1C_S1D_jS1E_jS1F_S1F_jjS1H_bEUljE0_EEES10_S11_S12_S19_S1D_S1F_T6_T7_T9_mT8_S1H_bDpT10_ENKUlT_T0_E_clISt17integral_constantIbLb0EES1U_IbLb1EEEEDaS1Q_S1R_EUlS1Q_E_NS1_11comp_targetILNS1_3genE0ELNS1_11target_archE4294967295ELNS1_3gpuE0ELNS1_3repE0EEENS1_30default_config_static_selectorELNS0_4arch9wavefront6targetE0EEEvS13_.numbered_sgpr, 0
	.set _ZN7rocprim17ROCPRIM_400000_NS6detail17trampoline_kernelINS0_13select_configILj256ELj13ELNS0_17block_load_methodE3ELS4_3ELS4_3ELNS0_20block_scan_algorithmE0ELj4294967295EEENS1_25partition_config_selectorILNS1_17partition_subalgoE4EjNS0_10empty_typeEbEEZZNS1_14partition_implILS8_4ELb0ES6_15HIP_vector_typeIjLj2EENS0_17counting_iteratorIjlEEPS9_SG_NS0_5tupleIJPjSI_NS0_16reverse_iteratorISI_EEEEENSH_IJSG_SG_SG_EEES9_SI_JZNS1_25segmented_radix_sort_implINS0_14default_configELb0EPK6__halfPSP_PKlPlN2at6native12_GLOBAL__N_18offset_tEEE10hipError_tPvRmT1_PNSt15iterator_traitsIS13_E10value_typeET2_T3_PNS14_IS19_E10value_typeET4_jRbjT5_S1F_jjP12ihipStream_tbEUljE_ZNSN_ISO_Lb0ESR_SS_SU_SV_SZ_EES10_S11_S12_S13_S17_S18_S19_S1C_S1D_jS1E_jS1F_S1F_jjS1H_bEUljE0_EEES10_S11_S12_S19_S1D_S1F_T6_T7_T9_mT8_S1H_bDpT10_ENKUlT_T0_E_clISt17integral_constantIbLb0EES1U_IbLb1EEEEDaS1Q_S1R_EUlS1Q_E_NS1_11comp_targetILNS1_3genE0ELNS1_11target_archE4294967295ELNS1_3gpuE0ELNS1_3repE0EEENS1_30default_config_static_selectorELNS0_4arch9wavefront6targetE0EEEvS13_.num_named_barrier, 0
	.set _ZN7rocprim17ROCPRIM_400000_NS6detail17trampoline_kernelINS0_13select_configILj256ELj13ELNS0_17block_load_methodE3ELS4_3ELS4_3ELNS0_20block_scan_algorithmE0ELj4294967295EEENS1_25partition_config_selectorILNS1_17partition_subalgoE4EjNS0_10empty_typeEbEEZZNS1_14partition_implILS8_4ELb0ES6_15HIP_vector_typeIjLj2EENS0_17counting_iteratorIjlEEPS9_SG_NS0_5tupleIJPjSI_NS0_16reverse_iteratorISI_EEEEENSH_IJSG_SG_SG_EEES9_SI_JZNS1_25segmented_radix_sort_implINS0_14default_configELb0EPK6__halfPSP_PKlPlN2at6native12_GLOBAL__N_18offset_tEEE10hipError_tPvRmT1_PNSt15iterator_traitsIS13_E10value_typeET2_T3_PNS14_IS19_E10value_typeET4_jRbjT5_S1F_jjP12ihipStream_tbEUljE_ZNSN_ISO_Lb0ESR_SS_SU_SV_SZ_EES10_S11_S12_S13_S17_S18_S19_S1C_S1D_jS1E_jS1F_S1F_jjS1H_bEUljE0_EEES10_S11_S12_S19_S1D_S1F_T6_T7_T9_mT8_S1H_bDpT10_ENKUlT_T0_E_clISt17integral_constantIbLb0EES1U_IbLb1EEEEDaS1Q_S1R_EUlS1Q_E_NS1_11comp_targetILNS1_3genE0ELNS1_11target_archE4294967295ELNS1_3gpuE0ELNS1_3repE0EEENS1_30default_config_static_selectorELNS0_4arch9wavefront6targetE0EEEvS13_.private_seg_size, 0
	.set _ZN7rocprim17ROCPRIM_400000_NS6detail17trampoline_kernelINS0_13select_configILj256ELj13ELNS0_17block_load_methodE3ELS4_3ELS4_3ELNS0_20block_scan_algorithmE0ELj4294967295EEENS1_25partition_config_selectorILNS1_17partition_subalgoE4EjNS0_10empty_typeEbEEZZNS1_14partition_implILS8_4ELb0ES6_15HIP_vector_typeIjLj2EENS0_17counting_iteratorIjlEEPS9_SG_NS0_5tupleIJPjSI_NS0_16reverse_iteratorISI_EEEEENSH_IJSG_SG_SG_EEES9_SI_JZNS1_25segmented_radix_sort_implINS0_14default_configELb0EPK6__halfPSP_PKlPlN2at6native12_GLOBAL__N_18offset_tEEE10hipError_tPvRmT1_PNSt15iterator_traitsIS13_E10value_typeET2_T3_PNS14_IS19_E10value_typeET4_jRbjT5_S1F_jjP12ihipStream_tbEUljE_ZNSN_ISO_Lb0ESR_SS_SU_SV_SZ_EES10_S11_S12_S13_S17_S18_S19_S1C_S1D_jS1E_jS1F_S1F_jjS1H_bEUljE0_EEES10_S11_S12_S19_S1D_S1F_T6_T7_T9_mT8_S1H_bDpT10_ENKUlT_T0_E_clISt17integral_constantIbLb0EES1U_IbLb1EEEEDaS1Q_S1R_EUlS1Q_E_NS1_11comp_targetILNS1_3genE0ELNS1_11target_archE4294967295ELNS1_3gpuE0ELNS1_3repE0EEENS1_30default_config_static_selectorELNS0_4arch9wavefront6targetE0EEEvS13_.uses_vcc, 0
	.set _ZN7rocprim17ROCPRIM_400000_NS6detail17trampoline_kernelINS0_13select_configILj256ELj13ELNS0_17block_load_methodE3ELS4_3ELS4_3ELNS0_20block_scan_algorithmE0ELj4294967295EEENS1_25partition_config_selectorILNS1_17partition_subalgoE4EjNS0_10empty_typeEbEEZZNS1_14partition_implILS8_4ELb0ES6_15HIP_vector_typeIjLj2EENS0_17counting_iteratorIjlEEPS9_SG_NS0_5tupleIJPjSI_NS0_16reverse_iteratorISI_EEEEENSH_IJSG_SG_SG_EEES9_SI_JZNS1_25segmented_radix_sort_implINS0_14default_configELb0EPK6__halfPSP_PKlPlN2at6native12_GLOBAL__N_18offset_tEEE10hipError_tPvRmT1_PNSt15iterator_traitsIS13_E10value_typeET2_T3_PNS14_IS19_E10value_typeET4_jRbjT5_S1F_jjP12ihipStream_tbEUljE_ZNSN_ISO_Lb0ESR_SS_SU_SV_SZ_EES10_S11_S12_S13_S17_S18_S19_S1C_S1D_jS1E_jS1F_S1F_jjS1H_bEUljE0_EEES10_S11_S12_S19_S1D_S1F_T6_T7_T9_mT8_S1H_bDpT10_ENKUlT_T0_E_clISt17integral_constantIbLb0EES1U_IbLb1EEEEDaS1Q_S1R_EUlS1Q_E_NS1_11comp_targetILNS1_3genE0ELNS1_11target_archE4294967295ELNS1_3gpuE0ELNS1_3repE0EEENS1_30default_config_static_selectorELNS0_4arch9wavefront6targetE0EEEvS13_.uses_flat_scratch, 0
	.set _ZN7rocprim17ROCPRIM_400000_NS6detail17trampoline_kernelINS0_13select_configILj256ELj13ELNS0_17block_load_methodE3ELS4_3ELS4_3ELNS0_20block_scan_algorithmE0ELj4294967295EEENS1_25partition_config_selectorILNS1_17partition_subalgoE4EjNS0_10empty_typeEbEEZZNS1_14partition_implILS8_4ELb0ES6_15HIP_vector_typeIjLj2EENS0_17counting_iteratorIjlEEPS9_SG_NS0_5tupleIJPjSI_NS0_16reverse_iteratorISI_EEEEENSH_IJSG_SG_SG_EEES9_SI_JZNS1_25segmented_radix_sort_implINS0_14default_configELb0EPK6__halfPSP_PKlPlN2at6native12_GLOBAL__N_18offset_tEEE10hipError_tPvRmT1_PNSt15iterator_traitsIS13_E10value_typeET2_T3_PNS14_IS19_E10value_typeET4_jRbjT5_S1F_jjP12ihipStream_tbEUljE_ZNSN_ISO_Lb0ESR_SS_SU_SV_SZ_EES10_S11_S12_S13_S17_S18_S19_S1C_S1D_jS1E_jS1F_S1F_jjS1H_bEUljE0_EEES10_S11_S12_S19_S1D_S1F_T6_T7_T9_mT8_S1H_bDpT10_ENKUlT_T0_E_clISt17integral_constantIbLb0EES1U_IbLb1EEEEDaS1Q_S1R_EUlS1Q_E_NS1_11comp_targetILNS1_3genE0ELNS1_11target_archE4294967295ELNS1_3gpuE0ELNS1_3repE0EEENS1_30default_config_static_selectorELNS0_4arch9wavefront6targetE0EEEvS13_.has_dyn_sized_stack, 0
	.set _ZN7rocprim17ROCPRIM_400000_NS6detail17trampoline_kernelINS0_13select_configILj256ELj13ELNS0_17block_load_methodE3ELS4_3ELS4_3ELNS0_20block_scan_algorithmE0ELj4294967295EEENS1_25partition_config_selectorILNS1_17partition_subalgoE4EjNS0_10empty_typeEbEEZZNS1_14partition_implILS8_4ELb0ES6_15HIP_vector_typeIjLj2EENS0_17counting_iteratorIjlEEPS9_SG_NS0_5tupleIJPjSI_NS0_16reverse_iteratorISI_EEEEENSH_IJSG_SG_SG_EEES9_SI_JZNS1_25segmented_radix_sort_implINS0_14default_configELb0EPK6__halfPSP_PKlPlN2at6native12_GLOBAL__N_18offset_tEEE10hipError_tPvRmT1_PNSt15iterator_traitsIS13_E10value_typeET2_T3_PNS14_IS19_E10value_typeET4_jRbjT5_S1F_jjP12ihipStream_tbEUljE_ZNSN_ISO_Lb0ESR_SS_SU_SV_SZ_EES10_S11_S12_S13_S17_S18_S19_S1C_S1D_jS1E_jS1F_S1F_jjS1H_bEUljE0_EEES10_S11_S12_S19_S1D_S1F_T6_T7_T9_mT8_S1H_bDpT10_ENKUlT_T0_E_clISt17integral_constantIbLb0EES1U_IbLb1EEEEDaS1Q_S1R_EUlS1Q_E_NS1_11comp_targetILNS1_3genE0ELNS1_11target_archE4294967295ELNS1_3gpuE0ELNS1_3repE0EEENS1_30default_config_static_selectorELNS0_4arch9wavefront6targetE0EEEvS13_.has_recursion, 0
	.set _ZN7rocprim17ROCPRIM_400000_NS6detail17trampoline_kernelINS0_13select_configILj256ELj13ELNS0_17block_load_methodE3ELS4_3ELS4_3ELNS0_20block_scan_algorithmE0ELj4294967295EEENS1_25partition_config_selectorILNS1_17partition_subalgoE4EjNS0_10empty_typeEbEEZZNS1_14partition_implILS8_4ELb0ES6_15HIP_vector_typeIjLj2EENS0_17counting_iteratorIjlEEPS9_SG_NS0_5tupleIJPjSI_NS0_16reverse_iteratorISI_EEEEENSH_IJSG_SG_SG_EEES9_SI_JZNS1_25segmented_radix_sort_implINS0_14default_configELb0EPK6__halfPSP_PKlPlN2at6native12_GLOBAL__N_18offset_tEEE10hipError_tPvRmT1_PNSt15iterator_traitsIS13_E10value_typeET2_T3_PNS14_IS19_E10value_typeET4_jRbjT5_S1F_jjP12ihipStream_tbEUljE_ZNSN_ISO_Lb0ESR_SS_SU_SV_SZ_EES10_S11_S12_S13_S17_S18_S19_S1C_S1D_jS1E_jS1F_S1F_jjS1H_bEUljE0_EEES10_S11_S12_S19_S1D_S1F_T6_T7_T9_mT8_S1H_bDpT10_ENKUlT_T0_E_clISt17integral_constantIbLb0EES1U_IbLb1EEEEDaS1Q_S1R_EUlS1Q_E_NS1_11comp_targetILNS1_3genE0ELNS1_11target_archE4294967295ELNS1_3gpuE0ELNS1_3repE0EEENS1_30default_config_static_selectorELNS0_4arch9wavefront6targetE0EEEvS13_.has_indirect_call, 0
	.section	.AMDGPU.csdata,"",@progbits
; Kernel info:
; codeLenInByte = 0
; TotalNumSgprs: 0
; NumVgprs: 0
; ScratchSize: 0
; MemoryBound: 0
; FloatMode: 240
; IeeeMode: 1
; LDSByteSize: 0 bytes/workgroup (compile time only)
; SGPRBlocks: 0
; VGPRBlocks: 0
; NumSGPRsForWavesPerEU: 1
; NumVGPRsForWavesPerEU: 1
; Occupancy: 16
; WaveLimiterHint : 0
; COMPUTE_PGM_RSRC2:SCRATCH_EN: 0
; COMPUTE_PGM_RSRC2:USER_SGPR: 6
; COMPUTE_PGM_RSRC2:TRAP_HANDLER: 0
; COMPUTE_PGM_RSRC2:TGID_X_EN: 1
; COMPUTE_PGM_RSRC2:TGID_Y_EN: 0
; COMPUTE_PGM_RSRC2:TGID_Z_EN: 0
; COMPUTE_PGM_RSRC2:TIDIG_COMP_CNT: 0
	.section	.text._ZN7rocprim17ROCPRIM_400000_NS6detail17trampoline_kernelINS0_13select_configILj256ELj13ELNS0_17block_load_methodE3ELS4_3ELS4_3ELNS0_20block_scan_algorithmE0ELj4294967295EEENS1_25partition_config_selectorILNS1_17partition_subalgoE4EjNS0_10empty_typeEbEEZZNS1_14partition_implILS8_4ELb0ES6_15HIP_vector_typeIjLj2EENS0_17counting_iteratorIjlEEPS9_SG_NS0_5tupleIJPjSI_NS0_16reverse_iteratorISI_EEEEENSH_IJSG_SG_SG_EEES9_SI_JZNS1_25segmented_radix_sort_implINS0_14default_configELb0EPK6__halfPSP_PKlPlN2at6native12_GLOBAL__N_18offset_tEEE10hipError_tPvRmT1_PNSt15iterator_traitsIS13_E10value_typeET2_T3_PNS14_IS19_E10value_typeET4_jRbjT5_S1F_jjP12ihipStream_tbEUljE_ZNSN_ISO_Lb0ESR_SS_SU_SV_SZ_EES10_S11_S12_S13_S17_S18_S19_S1C_S1D_jS1E_jS1F_S1F_jjS1H_bEUljE0_EEES10_S11_S12_S19_S1D_S1F_T6_T7_T9_mT8_S1H_bDpT10_ENKUlT_T0_E_clISt17integral_constantIbLb0EES1U_IbLb1EEEEDaS1Q_S1R_EUlS1Q_E_NS1_11comp_targetILNS1_3genE5ELNS1_11target_archE942ELNS1_3gpuE9ELNS1_3repE0EEENS1_30default_config_static_selectorELNS0_4arch9wavefront6targetE0EEEvS13_,"axG",@progbits,_ZN7rocprim17ROCPRIM_400000_NS6detail17trampoline_kernelINS0_13select_configILj256ELj13ELNS0_17block_load_methodE3ELS4_3ELS4_3ELNS0_20block_scan_algorithmE0ELj4294967295EEENS1_25partition_config_selectorILNS1_17partition_subalgoE4EjNS0_10empty_typeEbEEZZNS1_14partition_implILS8_4ELb0ES6_15HIP_vector_typeIjLj2EENS0_17counting_iteratorIjlEEPS9_SG_NS0_5tupleIJPjSI_NS0_16reverse_iteratorISI_EEEEENSH_IJSG_SG_SG_EEES9_SI_JZNS1_25segmented_radix_sort_implINS0_14default_configELb0EPK6__halfPSP_PKlPlN2at6native12_GLOBAL__N_18offset_tEEE10hipError_tPvRmT1_PNSt15iterator_traitsIS13_E10value_typeET2_T3_PNS14_IS19_E10value_typeET4_jRbjT5_S1F_jjP12ihipStream_tbEUljE_ZNSN_ISO_Lb0ESR_SS_SU_SV_SZ_EES10_S11_S12_S13_S17_S18_S19_S1C_S1D_jS1E_jS1F_S1F_jjS1H_bEUljE0_EEES10_S11_S12_S19_S1D_S1F_T6_T7_T9_mT8_S1H_bDpT10_ENKUlT_T0_E_clISt17integral_constantIbLb0EES1U_IbLb1EEEEDaS1Q_S1R_EUlS1Q_E_NS1_11comp_targetILNS1_3genE5ELNS1_11target_archE942ELNS1_3gpuE9ELNS1_3repE0EEENS1_30default_config_static_selectorELNS0_4arch9wavefront6targetE0EEEvS13_,comdat
	.globl	_ZN7rocprim17ROCPRIM_400000_NS6detail17trampoline_kernelINS0_13select_configILj256ELj13ELNS0_17block_load_methodE3ELS4_3ELS4_3ELNS0_20block_scan_algorithmE0ELj4294967295EEENS1_25partition_config_selectorILNS1_17partition_subalgoE4EjNS0_10empty_typeEbEEZZNS1_14partition_implILS8_4ELb0ES6_15HIP_vector_typeIjLj2EENS0_17counting_iteratorIjlEEPS9_SG_NS0_5tupleIJPjSI_NS0_16reverse_iteratorISI_EEEEENSH_IJSG_SG_SG_EEES9_SI_JZNS1_25segmented_radix_sort_implINS0_14default_configELb0EPK6__halfPSP_PKlPlN2at6native12_GLOBAL__N_18offset_tEEE10hipError_tPvRmT1_PNSt15iterator_traitsIS13_E10value_typeET2_T3_PNS14_IS19_E10value_typeET4_jRbjT5_S1F_jjP12ihipStream_tbEUljE_ZNSN_ISO_Lb0ESR_SS_SU_SV_SZ_EES10_S11_S12_S13_S17_S18_S19_S1C_S1D_jS1E_jS1F_S1F_jjS1H_bEUljE0_EEES10_S11_S12_S19_S1D_S1F_T6_T7_T9_mT8_S1H_bDpT10_ENKUlT_T0_E_clISt17integral_constantIbLb0EES1U_IbLb1EEEEDaS1Q_S1R_EUlS1Q_E_NS1_11comp_targetILNS1_3genE5ELNS1_11target_archE942ELNS1_3gpuE9ELNS1_3repE0EEENS1_30default_config_static_selectorELNS0_4arch9wavefront6targetE0EEEvS13_ ; -- Begin function _ZN7rocprim17ROCPRIM_400000_NS6detail17trampoline_kernelINS0_13select_configILj256ELj13ELNS0_17block_load_methodE3ELS4_3ELS4_3ELNS0_20block_scan_algorithmE0ELj4294967295EEENS1_25partition_config_selectorILNS1_17partition_subalgoE4EjNS0_10empty_typeEbEEZZNS1_14partition_implILS8_4ELb0ES6_15HIP_vector_typeIjLj2EENS0_17counting_iteratorIjlEEPS9_SG_NS0_5tupleIJPjSI_NS0_16reverse_iteratorISI_EEEEENSH_IJSG_SG_SG_EEES9_SI_JZNS1_25segmented_radix_sort_implINS0_14default_configELb0EPK6__halfPSP_PKlPlN2at6native12_GLOBAL__N_18offset_tEEE10hipError_tPvRmT1_PNSt15iterator_traitsIS13_E10value_typeET2_T3_PNS14_IS19_E10value_typeET4_jRbjT5_S1F_jjP12ihipStream_tbEUljE_ZNSN_ISO_Lb0ESR_SS_SU_SV_SZ_EES10_S11_S12_S13_S17_S18_S19_S1C_S1D_jS1E_jS1F_S1F_jjS1H_bEUljE0_EEES10_S11_S12_S19_S1D_S1F_T6_T7_T9_mT8_S1H_bDpT10_ENKUlT_T0_E_clISt17integral_constantIbLb0EES1U_IbLb1EEEEDaS1Q_S1R_EUlS1Q_E_NS1_11comp_targetILNS1_3genE5ELNS1_11target_archE942ELNS1_3gpuE9ELNS1_3repE0EEENS1_30default_config_static_selectorELNS0_4arch9wavefront6targetE0EEEvS13_
	.p2align	8
	.type	_ZN7rocprim17ROCPRIM_400000_NS6detail17trampoline_kernelINS0_13select_configILj256ELj13ELNS0_17block_load_methodE3ELS4_3ELS4_3ELNS0_20block_scan_algorithmE0ELj4294967295EEENS1_25partition_config_selectorILNS1_17partition_subalgoE4EjNS0_10empty_typeEbEEZZNS1_14partition_implILS8_4ELb0ES6_15HIP_vector_typeIjLj2EENS0_17counting_iteratorIjlEEPS9_SG_NS0_5tupleIJPjSI_NS0_16reverse_iteratorISI_EEEEENSH_IJSG_SG_SG_EEES9_SI_JZNS1_25segmented_radix_sort_implINS0_14default_configELb0EPK6__halfPSP_PKlPlN2at6native12_GLOBAL__N_18offset_tEEE10hipError_tPvRmT1_PNSt15iterator_traitsIS13_E10value_typeET2_T3_PNS14_IS19_E10value_typeET4_jRbjT5_S1F_jjP12ihipStream_tbEUljE_ZNSN_ISO_Lb0ESR_SS_SU_SV_SZ_EES10_S11_S12_S13_S17_S18_S19_S1C_S1D_jS1E_jS1F_S1F_jjS1H_bEUljE0_EEES10_S11_S12_S19_S1D_S1F_T6_T7_T9_mT8_S1H_bDpT10_ENKUlT_T0_E_clISt17integral_constantIbLb0EES1U_IbLb1EEEEDaS1Q_S1R_EUlS1Q_E_NS1_11comp_targetILNS1_3genE5ELNS1_11target_archE942ELNS1_3gpuE9ELNS1_3repE0EEENS1_30default_config_static_selectorELNS0_4arch9wavefront6targetE0EEEvS13_,@function
_ZN7rocprim17ROCPRIM_400000_NS6detail17trampoline_kernelINS0_13select_configILj256ELj13ELNS0_17block_load_methodE3ELS4_3ELS4_3ELNS0_20block_scan_algorithmE0ELj4294967295EEENS1_25partition_config_selectorILNS1_17partition_subalgoE4EjNS0_10empty_typeEbEEZZNS1_14partition_implILS8_4ELb0ES6_15HIP_vector_typeIjLj2EENS0_17counting_iteratorIjlEEPS9_SG_NS0_5tupleIJPjSI_NS0_16reverse_iteratorISI_EEEEENSH_IJSG_SG_SG_EEES9_SI_JZNS1_25segmented_radix_sort_implINS0_14default_configELb0EPK6__halfPSP_PKlPlN2at6native12_GLOBAL__N_18offset_tEEE10hipError_tPvRmT1_PNSt15iterator_traitsIS13_E10value_typeET2_T3_PNS14_IS19_E10value_typeET4_jRbjT5_S1F_jjP12ihipStream_tbEUljE_ZNSN_ISO_Lb0ESR_SS_SU_SV_SZ_EES10_S11_S12_S13_S17_S18_S19_S1C_S1D_jS1E_jS1F_S1F_jjS1H_bEUljE0_EEES10_S11_S12_S19_S1D_S1F_T6_T7_T9_mT8_S1H_bDpT10_ENKUlT_T0_E_clISt17integral_constantIbLb0EES1U_IbLb1EEEEDaS1Q_S1R_EUlS1Q_E_NS1_11comp_targetILNS1_3genE5ELNS1_11target_archE942ELNS1_3gpuE9ELNS1_3repE0EEENS1_30default_config_static_selectorELNS0_4arch9wavefront6targetE0EEEvS13_: ; @_ZN7rocprim17ROCPRIM_400000_NS6detail17trampoline_kernelINS0_13select_configILj256ELj13ELNS0_17block_load_methodE3ELS4_3ELS4_3ELNS0_20block_scan_algorithmE0ELj4294967295EEENS1_25partition_config_selectorILNS1_17partition_subalgoE4EjNS0_10empty_typeEbEEZZNS1_14partition_implILS8_4ELb0ES6_15HIP_vector_typeIjLj2EENS0_17counting_iteratorIjlEEPS9_SG_NS0_5tupleIJPjSI_NS0_16reverse_iteratorISI_EEEEENSH_IJSG_SG_SG_EEES9_SI_JZNS1_25segmented_radix_sort_implINS0_14default_configELb0EPK6__halfPSP_PKlPlN2at6native12_GLOBAL__N_18offset_tEEE10hipError_tPvRmT1_PNSt15iterator_traitsIS13_E10value_typeET2_T3_PNS14_IS19_E10value_typeET4_jRbjT5_S1F_jjP12ihipStream_tbEUljE_ZNSN_ISO_Lb0ESR_SS_SU_SV_SZ_EES10_S11_S12_S13_S17_S18_S19_S1C_S1D_jS1E_jS1F_S1F_jjS1H_bEUljE0_EEES10_S11_S12_S19_S1D_S1F_T6_T7_T9_mT8_S1H_bDpT10_ENKUlT_T0_E_clISt17integral_constantIbLb0EES1U_IbLb1EEEEDaS1Q_S1R_EUlS1Q_E_NS1_11comp_targetILNS1_3genE5ELNS1_11target_archE942ELNS1_3gpuE9ELNS1_3repE0EEENS1_30default_config_static_selectorELNS0_4arch9wavefront6targetE0EEEvS13_
; %bb.0:
	.section	.rodata,"a",@progbits
	.p2align	6, 0x0
	.amdhsa_kernel _ZN7rocprim17ROCPRIM_400000_NS6detail17trampoline_kernelINS0_13select_configILj256ELj13ELNS0_17block_load_methodE3ELS4_3ELS4_3ELNS0_20block_scan_algorithmE0ELj4294967295EEENS1_25partition_config_selectorILNS1_17partition_subalgoE4EjNS0_10empty_typeEbEEZZNS1_14partition_implILS8_4ELb0ES6_15HIP_vector_typeIjLj2EENS0_17counting_iteratorIjlEEPS9_SG_NS0_5tupleIJPjSI_NS0_16reverse_iteratorISI_EEEEENSH_IJSG_SG_SG_EEES9_SI_JZNS1_25segmented_radix_sort_implINS0_14default_configELb0EPK6__halfPSP_PKlPlN2at6native12_GLOBAL__N_18offset_tEEE10hipError_tPvRmT1_PNSt15iterator_traitsIS13_E10value_typeET2_T3_PNS14_IS19_E10value_typeET4_jRbjT5_S1F_jjP12ihipStream_tbEUljE_ZNSN_ISO_Lb0ESR_SS_SU_SV_SZ_EES10_S11_S12_S13_S17_S18_S19_S1C_S1D_jS1E_jS1F_S1F_jjS1H_bEUljE0_EEES10_S11_S12_S19_S1D_S1F_T6_T7_T9_mT8_S1H_bDpT10_ENKUlT_T0_E_clISt17integral_constantIbLb0EES1U_IbLb1EEEEDaS1Q_S1R_EUlS1Q_E_NS1_11comp_targetILNS1_3genE5ELNS1_11target_archE942ELNS1_3gpuE9ELNS1_3repE0EEENS1_30default_config_static_selectorELNS0_4arch9wavefront6targetE0EEEvS13_
		.amdhsa_group_segment_fixed_size 0
		.amdhsa_private_segment_fixed_size 0
		.amdhsa_kernarg_size 184
		.amdhsa_user_sgpr_count 6
		.amdhsa_user_sgpr_private_segment_buffer 1
		.amdhsa_user_sgpr_dispatch_ptr 0
		.amdhsa_user_sgpr_queue_ptr 0
		.amdhsa_user_sgpr_kernarg_segment_ptr 1
		.amdhsa_user_sgpr_dispatch_id 0
		.amdhsa_user_sgpr_flat_scratch_init 0
		.amdhsa_user_sgpr_private_segment_size 0
		.amdhsa_wavefront_size32 1
		.amdhsa_uses_dynamic_stack 0
		.amdhsa_system_sgpr_private_segment_wavefront_offset 0
		.amdhsa_system_sgpr_workgroup_id_x 1
		.amdhsa_system_sgpr_workgroup_id_y 0
		.amdhsa_system_sgpr_workgroup_id_z 0
		.amdhsa_system_sgpr_workgroup_info 0
		.amdhsa_system_vgpr_workitem_id 0
		.amdhsa_next_free_vgpr 1
		.amdhsa_next_free_sgpr 1
		.amdhsa_reserve_vcc 0
		.amdhsa_reserve_flat_scratch 0
		.amdhsa_float_round_mode_32 0
		.amdhsa_float_round_mode_16_64 0
		.amdhsa_float_denorm_mode_32 3
		.amdhsa_float_denorm_mode_16_64 3
		.amdhsa_dx10_clamp 1
		.amdhsa_ieee_mode 1
		.amdhsa_fp16_overflow 0
		.amdhsa_workgroup_processor_mode 1
		.amdhsa_memory_ordered 1
		.amdhsa_forward_progress 1
		.amdhsa_shared_vgpr_count 0
		.amdhsa_exception_fp_ieee_invalid_op 0
		.amdhsa_exception_fp_denorm_src 0
		.amdhsa_exception_fp_ieee_div_zero 0
		.amdhsa_exception_fp_ieee_overflow 0
		.amdhsa_exception_fp_ieee_underflow 0
		.amdhsa_exception_fp_ieee_inexact 0
		.amdhsa_exception_int_div_zero 0
	.end_amdhsa_kernel
	.section	.text._ZN7rocprim17ROCPRIM_400000_NS6detail17trampoline_kernelINS0_13select_configILj256ELj13ELNS0_17block_load_methodE3ELS4_3ELS4_3ELNS0_20block_scan_algorithmE0ELj4294967295EEENS1_25partition_config_selectorILNS1_17partition_subalgoE4EjNS0_10empty_typeEbEEZZNS1_14partition_implILS8_4ELb0ES6_15HIP_vector_typeIjLj2EENS0_17counting_iteratorIjlEEPS9_SG_NS0_5tupleIJPjSI_NS0_16reverse_iteratorISI_EEEEENSH_IJSG_SG_SG_EEES9_SI_JZNS1_25segmented_radix_sort_implINS0_14default_configELb0EPK6__halfPSP_PKlPlN2at6native12_GLOBAL__N_18offset_tEEE10hipError_tPvRmT1_PNSt15iterator_traitsIS13_E10value_typeET2_T3_PNS14_IS19_E10value_typeET4_jRbjT5_S1F_jjP12ihipStream_tbEUljE_ZNSN_ISO_Lb0ESR_SS_SU_SV_SZ_EES10_S11_S12_S13_S17_S18_S19_S1C_S1D_jS1E_jS1F_S1F_jjS1H_bEUljE0_EEES10_S11_S12_S19_S1D_S1F_T6_T7_T9_mT8_S1H_bDpT10_ENKUlT_T0_E_clISt17integral_constantIbLb0EES1U_IbLb1EEEEDaS1Q_S1R_EUlS1Q_E_NS1_11comp_targetILNS1_3genE5ELNS1_11target_archE942ELNS1_3gpuE9ELNS1_3repE0EEENS1_30default_config_static_selectorELNS0_4arch9wavefront6targetE0EEEvS13_,"axG",@progbits,_ZN7rocprim17ROCPRIM_400000_NS6detail17trampoline_kernelINS0_13select_configILj256ELj13ELNS0_17block_load_methodE3ELS4_3ELS4_3ELNS0_20block_scan_algorithmE0ELj4294967295EEENS1_25partition_config_selectorILNS1_17partition_subalgoE4EjNS0_10empty_typeEbEEZZNS1_14partition_implILS8_4ELb0ES6_15HIP_vector_typeIjLj2EENS0_17counting_iteratorIjlEEPS9_SG_NS0_5tupleIJPjSI_NS0_16reverse_iteratorISI_EEEEENSH_IJSG_SG_SG_EEES9_SI_JZNS1_25segmented_radix_sort_implINS0_14default_configELb0EPK6__halfPSP_PKlPlN2at6native12_GLOBAL__N_18offset_tEEE10hipError_tPvRmT1_PNSt15iterator_traitsIS13_E10value_typeET2_T3_PNS14_IS19_E10value_typeET4_jRbjT5_S1F_jjP12ihipStream_tbEUljE_ZNSN_ISO_Lb0ESR_SS_SU_SV_SZ_EES10_S11_S12_S13_S17_S18_S19_S1C_S1D_jS1E_jS1F_S1F_jjS1H_bEUljE0_EEES10_S11_S12_S19_S1D_S1F_T6_T7_T9_mT8_S1H_bDpT10_ENKUlT_T0_E_clISt17integral_constantIbLb0EES1U_IbLb1EEEEDaS1Q_S1R_EUlS1Q_E_NS1_11comp_targetILNS1_3genE5ELNS1_11target_archE942ELNS1_3gpuE9ELNS1_3repE0EEENS1_30default_config_static_selectorELNS0_4arch9wavefront6targetE0EEEvS13_,comdat
.Lfunc_end1793:
	.size	_ZN7rocprim17ROCPRIM_400000_NS6detail17trampoline_kernelINS0_13select_configILj256ELj13ELNS0_17block_load_methodE3ELS4_3ELS4_3ELNS0_20block_scan_algorithmE0ELj4294967295EEENS1_25partition_config_selectorILNS1_17partition_subalgoE4EjNS0_10empty_typeEbEEZZNS1_14partition_implILS8_4ELb0ES6_15HIP_vector_typeIjLj2EENS0_17counting_iteratorIjlEEPS9_SG_NS0_5tupleIJPjSI_NS0_16reverse_iteratorISI_EEEEENSH_IJSG_SG_SG_EEES9_SI_JZNS1_25segmented_radix_sort_implINS0_14default_configELb0EPK6__halfPSP_PKlPlN2at6native12_GLOBAL__N_18offset_tEEE10hipError_tPvRmT1_PNSt15iterator_traitsIS13_E10value_typeET2_T3_PNS14_IS19_E10value_typeET4_jRbjT5_S1F_jjP12ihipStream_tbEUljE_ZNSN_ISO_Lb0ESR_SS_SU_SV_SZ_EES10_S11_S12_S13_S17_S18_S19_S1C_S1D_jS1E_jS1F_S1F_jjS1H_bEUljE0_EEES10_S11_S12_S19_S1D_S1F_T6_T7_T9_mT8_S1H_bDpT10_ENKUlT_T0_E_clISt17integral_constantIbLb0EES1U_IbLb1EEEEDaS1Q_S1R_EUlS1Q_E_NS1_11comp_targetILNS1_3genE5ELNS1_11target_archE942ELNS1_3gpuE9ELNS1_3repE0EEENS1_30default_config_static_selectorELNS0_4arch9wavefront6targetE0EEEvS13_, .Lfunc_end1793-_ZN7rocprim17ROCPRIM_400000_NS6detail17trampoline_kernelINS0_13select_configILj256ELj13ELNS0_17block_load_methodE3ELS4_3ELS4_3ELNS0_20block_scan_algorithmE0ELj4294967295EEENS1_25partition_config_selectorILNS1_17partition_subalgoE4EjNS0_10empty_typeEbEEZZNS1_14partition_implILS8_4ELb0ES6_15HIP_vector_typeIjLj2EENS0_17counting_iteratorIjlEEPS9_SG_NS0_5tupleIJPjSI_NS0_16reverse_iteratorISI_EEEEENSH_IJSG_SG_SG_EEES9_SI_JZNS1_25segmented_radix_sort_implINS0_14default_configELb0EPK6__halfPSP_PKlPlN2at6native12_GLOBAL__N_18offset_tEEE10hipError_tPvRmT1_PNSt15iterator_traitsIS13_E10value_typeET2_T3_PNS14_IS19_E10value_typeET4_jRbjT5_S1F_jjP12ihipStream_tbEUljE_ZNSN_ISO_Lb0ESR_SS_SU_SV_SZ_EES10_S11_S12_S13_S17_S18_S19_S1C_S1D_jS1E_jS1F_S1F_jjS1H_bEUljE0_EEES10_S11_S12_S19_S1D_S1F_T6_T7_T9_mT8_S1H_bDpT10_ENKUlT_T0_E_clISt17integral_constantIbLb0EES1U_IbLb1EEEEDaS1Q_S1R_EUlS1Q_E_NS1_11comp_targetILNS1_3genE5ELNS1_11target_archE942ELNS1_3gpuE9ELNS1_3repE0EEENS1_30default_config_static_selectorELNS0_4arch9wavefront6targetE0EEEvS13_
                                        ; -- End function
	.set _ZN7rocprim17ROCPRIM_400000_NS6detail17trampoline_kernelINS0_13select_configILj256ELj13ELNS0_17block_load_methodE3ELS4_3ELS4_3ELNS0_20block_scan_algorithmE0ELj4294967295EEENS1_25partition_config_selectorILNS1_17partition_subalgoE4EjNS0_10empty_typeEbEEZZNS1_14partition_implILS8_4ELb0ES6_15HIP_vector_typeIjLj2EENS0_17counting_iteratorIjlEEPS9_SG_NS0_5tupleIJPjSI_NS0_16reverse_iteratorISI_EEEEENSH_IJSG_SG_SG_EEES9_SI_JZNS1_25segmented_radix_sort_implINS0_14default_configELb0EPK6__halfPSP_PKlPlN2at6native12_GLOBAL__N_18offset_tEEE10hipError_tPvRmT1_PNSt15iterator_traitsIS13_E10value_typeET2_T3_PNS14_IS19_E10value_typeET4_jRbjT5_S1F_jjP12ihipStream_tbEUljE_ZNSN_ISO_Lb0ESR_SS_SU_SV_SZ_EES10_S11_S12_S13_S17_S18_S19_S1C_S1D_jS1E_jS1F_S1F_jjS1H_bEUljE0_EEES10_S11_S12_S19_S1D_S1F_T6_T7_T9_mT8_S1H_bDpT10_ENKUlT_T0_E_clISt17integral_constantIbLb0EES1U_IbLb1EEEEDaS1Q_S1R_EUlS1Q_E_NS1_11comp_targetILNS1_3genE5ELNS1_11target_archE942ELNS1_3gpuE9ELNS1_3repE0EEENS1_30default_config_static_selectorELNS0_4arch9wavefront6targetE0EEEvS13_.num_vgpr, 0
	.set _ZN7rocprim17ROCPRIM_400000_NS6detail17trampoline_kernelINS0_13select_configILj256ELj13ELNS0_17block_load_methodE3ELS4_3ELS4_3ELNS0_20block_scan_algorithmE0ELj4294967295EEENS1_25partition_config_selectorILNS1_17partition_subalgoE4EjNS0_10empty_typeEbEEZZNS1_14partition_implILS8_4ELb0ES6_15HIP_vector_typeIjLj2EENS0_17counting_iteratorIjlEEPS9_SG_NS0_5tupleIJPjSI_NS0_16reverse_iteratorISI_EEEEENSH_IJSG_SG_SG_EEES9_SI_JZNS1_25segmented_radix_sort_implINS0_14default_configELb0EPK6__halfPSP_PKlPlN2at6native12_GLOBAL__N_18offset_tEEE10hipError_tPvRmT1_PNSt15iterator_traitsIS13_E10value_typeET2_T3_PNS14_IS19_E10value_typeET4_jRbjT5_S1F_jjP12ihipStream_tbEUljE_ZNSN_ISO_Lb0ESR_SS_SU_SV_SZ_EES10_S11_S12_S13_S17_S18_S19_S1C_S1D_jS1E_jS1F_S1F_jjS1H_bEUljE0_EEES10_S11_S12_S19_S1D_S1F_T6_T7_T9_mT8_S1H_bDpT10_ENKUlT_T0_E_clISt17integral_constantIbLb0EES1U_IbLb1EEEEDaS1Q_S1R_EUlS1Q_E_NS1_11comp_targetILNS1_3genE5ELNS1_11target_archE942ELNS1_3gpuE9ELNS1_3repE0EEENS1_30default_config_static_selectorELNS0_4arch9wavefront6targetE0EEEvS13_.num_agpr, 0
	.set _ZN7rocprim17ROCPRIM_400000_NS6detail17trampoline_kernelINS0_13select_configILj256ELj13ELNS0_17block_load_methodE3ELS4_3ELS4_3ELNS0_20block_scan_algorithmE0ELj4294967295EEENS1_25partition_config_selectorILNS1_17partition_subalgoE4EjNS0_10empty_typeEbEEZZNS1_14partition_implILS8_4ELb0ES6_15HIP_vector_typeIjLj2EENS0_17counting_iteratorIjlEEPS9_SG_NS0_5tupleIJPjSI_NS0_16reverse_iteratorISI_EEEEENSH_IJSG_SG_SG_EEES9_SI_JZNS1_25segmented_radix_sort_implINS0_14default_configELb0EPK6__halfPSP_PKlPlN2at6native12_GLOBAL__N_18offset_tEEE10hipError_tPvRmT1_PNSt15iterator_traitsIS13_E10value_typeET2_T3_PNS14_IS19_E10value_typeET4_jRbjT5_S1F_jjP12ihipStream_tbEUljE_ZNSN_ISO_Lb0ESR_SS_SU_SV_SZ_EES10_S11_S12_S13_S17_S18_S19_S1C_S1D_jS1E_jS1F_S1F_jjS1H_bEUljE0_EEES10_S11_S12_S19_S1D_S1F_T6_T7_T9_mT8_S1H_bDpT10_ENKUlT_T0_E_clISt17integral_constantIbLb0EES1U_IbLb1EEEEDaS1Q_S1R_EUlS1Q_E_NS1_11comp_targetILNS1_3genE5ELNS1_11target_archE942ELNS1_3gpuE9ELNS1_3repE0EEENS1_30default_config_static_selectorELNS0_4arch9wavefront6targetE0EEEvS13_.numbered_sgpr, 0
	.set _ZN7rocprim17ROCPRIM_400000_NS6detail17trampoline_kernelINS0_13select_configILj256ELj13ELNS0_17block_load_methodE3ELS4_3ELS4_3ELNS0_20block_scan_algorithmE0ELj4294967295EEENS1_25partition_config_selectorILNS1_17partition_subalgoE4EjNS0_10empty_typeEbEEZZNS1_14partition_implILS8_4ELb0ES6_15HIP_vector_typeIjLj2EENS0_17counting_iteratorIjlEEPS9_SG_NS0_5tupleIJPjSI_NS0_16reverse_iteratorISI_EEEEENSH_IJSG_SG_SG_EEES9_SI_JZNS1_25segmented_radix_sort_implINS0_14default_configELb0EPK6__halfPSP_PKlPlN2at6native12_GLOBAL__N_18offset_tEEE10hipError_tPvRmT1_PNSt15iterator_traitsIS13_E10value_typeET2_T3_PNS14_IS19_E10value_typeET4_jRbjT5_S1F_jjP12ihipStream_tbEUljE_ZNSN_ISO_Lb0ESR_SS_SU_SV_SZ_EES10_S11_S12_S13_S17_S18_S19_S1C_S1D_jS1E_jS1F_S1F_jjS1H_bEUljE0_EEES10_S11_S12_S19_S1D_S1F_T6_T7_T9_mT8_S1H_bDpT10_ENKUlT_T0_E_clISt17integral_constantIbLb0EES1U_IbLb1EEEEDaS1Q_S1R_EUlS1Q_E_NS1_11comp_targetILNS1_3genE5ELNS1_11target_archE942ELNS1_3gpuE9ELNS1_3repE0EEENS1_30default_config_static_selectorELNS0_4arch9wavefront6targetE0EEEvS13_.num_named_barrier, 0
	.set _ZN7rocprim17ROCPRIM_400000_NS6detail17trampoline_kernelINS0_13select_configILj256ELj13ELNS0_17block_load_methodE3ELS4_3ELS4_3ELNS0_20block_scan_algorithmE0ELj4294967295EEENS1_25partition_config_selectorILNS1_17partition_subalgoE4EjNS0_10empty_typeEbEEZZNS1_14partition_implILS8_4ELb0ES6_15HIP_vector_typeIjLj2EENS0_17counting_iteratorIjlEEPS9_SG_NS0_5tupleIJPjSI_NS0_16reverse_iteratorISI_EEEEENSH_IJSG_SG_SG_EEES9_SI_JZNS1_25segmented_radix_sort_implINS0_14default_configELb0EPK6__halfPSP_PKlPlN2at6native12_GLOBAL__N_18offset_tEEE10hipError_tPvRmT1_PNSt15iterator_traitsIS13_E10value_typeET2_T3_PNS14_IS19_E10value_typeET4_jRbjT5_S1F_jjP12ihipStream_tbEUljE_ZNSN_ISO_Lb0ESR_SS_SU_SV_SZ_EES10_S11_S12_S13_S17_S18_S19_S1C_S1D_jS1E_jS1F_S1F_jjS1H_bEUljE0_EEES10_S11_S12_S19_S1D_S1F_T6_T7_T9_mT8_S1H_bDpT10_ENKUlT_T0_E_clISt17integral_constantIbLb0EES1U_IbLb1EEEEDaS1Q_S1R_EUlS1Q_E_NS1_11comp_targetILNS1_3genE5ELNS1_11target_archE942ELNS1_3gpuE9ELNS1_3repE0EEENS1_30default_config_static_selectorELNS0_4arch9wavefront6targetE0EEEvS13_.private_seg_size, 0
	.set _ZN7rocprim17ROCPRIM_400000_NS6detail17trampoline_kernelINS0_13select_configILj256ELj13ELNS0_17block_load_methodE3ELS4_3ELS4_3ELNS0_20block_scan_algorithmE0ELj4294967295EEENS1_25partition_config_selectorILNS1_17partition_subalgoE4EjNS0_10empty_typeEbEEZZNS1_14partition_implILS8_4ELb0ES6_15HIP_vector_typeIjLj2EENS0_17counting_iteratorIjlEEPS9_SG_NS0_5tupleIJPjSI_NS0_16reverse_iteratorISI_EEEEENSH_IJSG_SG_SG_EEES9_SI_JZNS1_25segmented_radix_sort_implINS0_14default_configELb0EPK6__halfPSP_PKlPlN2at6native12_GLOBAL__N_18offset_tEEE10hipError_tPvRmT1_PNSt15iterator_traitsIS13_E10value_typeET2_T3_PNS14_IS19_E10value_typeET4_jRbjT5_S1F_jjP12ihipStream_tbEUljE_ZNSN_ISO_Lb0ESR_SS_SU_SV_SZ_EES10_S11_S12_S13_S17_S18_S19_S1C_S1D_jS1E_jS1F_S1F_jjS1H_bEUljE0_EEES10_S11_S12_S19_S1D_S1F_T6_T7_T9_mT8_S1H_bDpT10_ENKUlT_T0_E_clISt17integral_constantIbLb0EES1U_IbLb1EEEEDaS1Q_S1R_EUlS1Q_E_NS1_11comp_targetILNS1_3genE5ELNS1_11target_archE942ELNS1_3gpuE9ELNS1_3repE0EEENS1_30default_config_static_selectorELNS0_4arch9wavefront6targetE0EEEvS13_.uses_vcc, 0
	.set _ZN7rocprim17ROCPRIM_400000_NS6detail17trampoline_kernelINS0_13select_configILj256ELj13ELNS0_17block_load_methodE3ELS4_3ELS4_3ELNS0_20block_scan_algorithmE0ELj4294967295EEENS1_25partition_config_selectorILNS1_17partition_subalgoE4EjNS0_10empty_typeEbEEZZNS1_14partition_implILS8_4ELb0ES6_15HIP_vector_typeIjLj2EENS0_17counting_iteratorIjlEEPS9_SG_NS0_5tupleIJPjSI_NS0_16reverse_iteratorISI_EEEEENSH_IJSG_SG_SG_EEES9_SI_JZNS1_25segmented_radix_sort_implINS0_14default_configELb0EPK6__halfPSP_PKlPlN2at6native12_GLOBAL__N_18offset_tEEE10hipError_tPvRmT1_PNSt15iterator_traitsIS13_E10value_typeET2_T3_PNS14_IS19_E10value_typeET4_jRbjT5_S1F_jjP12ihipStream_tbEUljE_ZNSN_ISO_Lb0ESR_SS_SU_SV_SZ_EES10_S11_S12_S13_S17_S18_S19_S1C_S1D_jS1E_jS1F_S1F_jjS1H_bEUljE0_EEES10_S11_S12_S19_S1D_S1F_T6_T7_T9_mT8_S1H_bDpT10_ENKUlT_T0_E_clISt17integral_constantIbLb0EES1U_IbLb1EEEEDaS1Q_S1R_EUlS1Q_E_NS1_11comp_targetILNS1_3genE5ELNS1_11target_archE942ELNS1_3gpuE9ELNS1_3repE0EEENS1_30default_config_static_selectorELNS0_4arch9wavefront6targetE0EEEvS13_.uses_flat_scratch, 0
	.set _ZN7rocprim17ROCPRIM_400000_NS6detail17trampoline_kernelINS0_13select_configILj256ELj13ELNS0_17block_load_methodE3ELS4_3ELS4_3ELNS0_20block_scan_algorithmE0ELj4294967295EEENS1_25partition_config_selectorILNS1_17partition_subalgoE4EjNS0_10empty_typeEbEEZZNS1_14partition_implILS8_4ELb0ES6_15HIP_vector_typeIjLj2EENS0_17counting_iteratorIjlEEPS9_SG_NS0_5tupleIJPjSI_NS0_16reverse_iteratorISI_EEEEENSH_IJSG_SG_SG_EEES9_SI_JZNS1_25segmented_radix_sort_implINS0_14default_configELb0EPK6__halfPSP_PKlPlN2at6native12_GLOBAL__N_18offset_tEEE10hipError_tPvRmT1_PNSt15iterator_traitsIS13_E10value_typeET2_T3_PNS14_IS19_E10value_typeET4_jRbjT5_S1F_jjP12ihipStream_tbEUljE_ZNSN_ISO_Lb0ESR_SS_SU_SV_SZ_EES10_S11_S12_S13_S17_S18_S19_S1C_S1D_jS1E_jS1F_S1F_jjS1H_bEUljE0_EEES10_S11_S12_S19_S1D_S1F_T6_T7_T9_mT8_S1H_bDpT10_ENKUlT_T0_E_clISt17integral_constantIbLb0EES1U_IbLb1EEEEDaS1Q_S1R_EUlS1Q_E_NS1_11comp_targetILNS1_3genE5ELNS1_11target_archE942ELNS1_3gpuE9ELNS1_3repE0EEENS1_30default_config_static_selectorELNS0_4arch9wavefront6targetE0EEEvS13_.has_dyn_sized_stack, 0
	.set _ZN7rocprim17ROCPRIM_400000_NS6detail17trampoline_kernelINS0_13select_configILj256ELj13ELNS0_17block_load_methodE3ELS4_3ELS4_3ELNS0_20block_scan_algorithmE0ELj4294967295EEENS1_25partition_config_selectorILNS1_17partition_subalgoE4EjNS0_10empty_typeEbEEZZNS1_14partition_implILS8_4ELb0ES6_15HIP_vector_typeIjLj2EENS0_17counting_iteratorIjlEEPS9_SG_NS0_5tupleIJPjSI_NS0_16reverse_iteratorISI_EEEEENSH_IJSG_SG_SG_EEES9_SI_JZNS1_25segmented_radix_sort_implINS0_14default_configELb0EPK6__halfPSP_PKlPlN2at6native12_GLOBAL__N_18offset_tEEE10hipError_tPvRmT1_PNSt15iterator_traitsIS13_E10value_typeET2_T3_PNS14_IS19_E10value_typeET4_jRbjT5_S1F_jjP12ihipStream_tbEUljE_ZNSN_ISO_Lb0ESR_SS_SU_SV_SZ_EES10_S11_S12_S13_S17_S18_S19_S1C_S1D_jS1E_jS1F_S1F_jjS1H_bEUljE0_EEES10_S11_S12_S19_S1D_S1F_T6_T7_T9_mT8_S1H_bDpT10_ENKUlT_T0_E_clISt17integral_constantIbLb0EES1U_IbLb1EEEEDaS1Q_S1R_EUlS1Q_E_NS1_11comp_targetILNS1_3genE5ELNS1_11target_archE942ELNS1_3gpuE9ELNS1_3repE0EEENS1_30default_config_static_selectorELNS0_4arch9wavefront6targetE0EEEvS13_.has_recursion, 0
	.set _ZN7rocprim17ROCPRIM_400000_NS6detail17trampoline_kernelINS0_13select_configILj256ELj13ELNS0_17block_load_methodE3ELS4_3ELS4_3ELNS0_20block_scan_algorithmE0ELj4294967295EEENS1_25partition_config_selectorILNS1_17partition_subalgoE4EjNS0_10empty_typeEbEEZZNS1_14partition_implILS8_4ELb0ES6_15HIP_vector_typeIjLj2EENS0_17counting_iteratorIjlEEPS9_SG_NS0_5tupleIJPjSI_NS0_16reverse_iteratorISI_EEEEENSH_IJSG_SG_SG_EEES9_SI_JZNS1_25segmented_radix_sort_implINS0_14default_configELb0EPK6__halfPSP_PKlPlN2at6native12_GLOBAL__N_18offset_tEEE10hipError_tPvRmT1_PNSt15iterator_traitsIS13_E10value_typeET2_T3_PNS14_IS19_E10value_typeET4_jRbjT5_S1F_jjP12ihipStream_tbEUljE_ZNSN_ISO_Lb0ESR_SS_SU_SV_SZ_EES10_S11_S12_S13_S17_S18_S19_S1C_S1D_jS1E_jS1F_S1F_jjS1H_bEUljE0_EEES10_S11_S12_S19_S1D_S1F_T6_T7_T9_mT8_S1H_bDpT10_ENKUlT_T0_E_clISt17integral_constantIbLb0EES1U_IbLb1EEEEDaS1Q_S1R_EUlS1Q_E_NS1_11comp_targetILNS1_3genE5ELNS1_11target_archE942ELNS1_3gpuE9ELNS1_3repE0EEENS1_30default_config_static_selectorELNS0_4arch9wavefront6targetE0EEEvS13_.has_indirect_call, 0
	.section	.AMDGPU.csdata,"",@progbits
; Kernel info:
; codeLenInByte = 0
; TotalNumSgprs: 0
; NumVgprs: 0
; ScratchSize: 0
; MemoryBound: 0
; FloatMode: 240
; IeeeMode: 1
; LDSByteSize: 0 bytes/workgroup (compile time only)
; SGPRBlocks: 0
; VGPRBlocks: 0
; NumSGPRsForWavesPerEU: 1
; NumVGPRsForWavesPerEU: 1
; Occupancy: 16
; WaveLimiterHint : 0
; COMPUTE_PGM_RSRC2:SCRATCH_EN: 0
; COMPUTE_PGM_RSRC2:USER_SGPR: 6
; COMPUTE_PGM_RSRC2:TRAP_HANDLER: 0
; COMPUTE_PGM_RSRC2:TGID_X_EN: 1
; COMPUTE_PGM_RSRC2:TGID_Y_EN: 0
; COMPUTE_PGM_RSRC2:TGID_Z_EN: 0
; COMPUTE_PGM_RSRC2:TIDIG_COMP_CNT: 0
	.section	.text._ZN7rocprim17ROCPRIM_400000_NS6detail17trampoline_kernelINS0_13select_configILj256ELj13ELNS0_17block_load_methodE3ELS4_3ELS4_3ELNS0_20block_scan_algorithmE0ELj4294967295EEENS1_25partition_config_selectorILNS1_17partition_subalgoE4EjNS0_10empty_typeEbEEZZNS1_14partition_implILS8_4ELb0ES6_15HIP_vector_typeIjLj2EENS0_17counting_iteratorIjlEEPS9_SG_NS0_5tupleIJPjSI_NS0_16reverse_iteratorISI_EEEEENSH_IJSG_SG_SG_EEES9_SI_JZNS1_25segmented_radix_sort_implINS0_14default_configELb0EPK6__halfPSP_PKlPlN2at6native12_GLOBAL__N_18offset_tEEE10hipError_tPvRmT1_PNSt15iterator_traitsIS13_E10value_typeET2_T3_PNS14_IS19_E10value_typeET4_jRbjT5_S1F_jjP12ihipStream_tbEUljE_ZNSN_ISO_Lb0ESR_SS_SU_SV_SZ_EES10_S11_S12_S13_S17_S18_S19_S1C_S1D_jS1E_jS1F_S1F_jjS1H_bEUljE0_EEES10_S11_S12_S19_S1D_S1F_T6_T7_T9_mT8_S1H_bDpT10_ENKUlT_T0_E_clISt17integral_constantIbLb0EES1U_IbLb1EEEEDaS1Q_S1R_EUlS1Q_E_NS1_11comp_targetILNS1_3genE4ELNS1_11target_archE910ELNS1_3gpuE8ELNS1_3repE0EEENS1_30default_config_static_selectorELNS0_4arch9wavefront6targetE0EEEvS13_,"axG",@progbits,_ZN7rocprim17ROCPRIM_400000_NS6detail17trampoline_kernelINS0_13select_configILj256ELj13ELNS0_17block_load_methodE3ELS4_3ELS4_3ELNS0_20block_scan_algorithmE0ELj4294967295EEENS1_25partition_config_selectorILNS1_17partition_subalgoE4EjNS0_10empty_typeEbEEZZNS1_14partition_implILS8_4ELb0ES6_15HIP_vector_typeIjLj2EENS0_17counting_iteratorIjlEEPS9_SG_NS0_5tupleIJPjSI_NS0_16reverse_iteratorISI_EEEEENSH_IJSG_SG_SG_EEES9_SI_JZNS1_25segmented_radix_sort_implINS0_14default_configELb0EPK6__halfPSP_PKlPlN2at6native12_GLOBAL__N_18offset_tEEE10hipError_tPvRmT1_PNSt15iterator_traitsIS13_E10value_typeET2_T3_PNS14_IS19_E10value_typeET4_jRbjT5_S1F_jjP12ihipStream_tbEUljE_ZNSN_ISO_Lb0ESR_SS_SU_SV_SZ_EES10_S11_S12_S13_S17_S18_S19_S1C_S1D_jS1E_jS1F_S1F_jjS1H_bEUljE0_EEES10_S11_S12_S19_S1D_S1F_T6_T7_T9_mT8_S1H_bDpT10_ENKUlT_T0_E_clISt17integral_constantIbLb0EES1U_IbLb1EEEEDaS1Q_S1R_EUlS1Q_E_NS1_11comp_targetILNS1_3genE4ELNS1_11target_archE910ELNS1_3gpuE8ELNS1_3repE0EEENS1_30default_config_static_selectorELNS0_4arch9wavefront6targetE0EEEvS13_,comdat
	.globl	_ZN7rocprim17ROCPRIM_400000_NS6detail17trampoline_kernelINS0_13select_configILj256ELj13ELNS0_17block_load_methodE3ELS4_3ELS4_3ELNS0_20block_scan_algorithmE0ELj4294967295EEENS1_25partition_config_selectorILNS1_17partition_subalgoE4EjNS0_10empty_typeEbEEZZNS1_14partition_implILS8_4ELb0ES6_15HIP_vector_typeIjLj2EENS0_17counting_iteratorIjlEEPS9_SG_NS0_5tupleIJPjSI_NS0_16reverse_iteratorISI_EEEEENSH_IJSG_SG_SG_EEES9_SI_JZNS1_25segmented_radix_sort_implINS0_14default_configELb0EPK6__halfPSP_PKlPlN2at6native12_GLOBAL__N_18offset_tEEE10hipError_tPvRmT1_PNSt15iterator_traitsIS13_E10value_typeET2_T3_PNS14_IS19_E10value_typeET4_jRbjT5_S1F_jjP12ihipStream_tbEUljE_ZNSN_ISO_Lb0ESR_SS_SU_SV_SZ_EES10_S11_S12_S13_S17_S18_S19_S1C_S1D_jS1E_jS1F_S1F_jjS1H_bEUljE0_EEES10_S11_S12_S19_S1D_S1F_T6_T7_T9_mT8_S1H_bDpT10_ENKUlT_T0_E_clISt17integral_constantIbLb0EES1U_IbLb1EEEEDaS1Q_S1R_EUlS1Q_E_NS1_11comp_targetILNS1_3genE4ELNS1_11target_archE910ELNS1_3gpuE8ELNS1_3repE0EEENS1_30default_config_static_selectorELNS0_4arch9wavefront6targetE0EEEvS13_ ; -- Begin function _ZN7rocprim17ROCPRIM_400000_NS6detail17trampoline_kernelINS0_13select_configILj256ELj13ELNS0_17block_load_methodE3ELS4_3ELS4_3ELNS0_20block_scan_algorithmE0ELj4294967295EEENS1_25partition_config_selectorILNS1_17partition_subalgoE4EjNS0_10empty_typeEbEEZZNS1_14partition_implILS8_4ELb0ES6_15HIP_vector_typeIjLj2EENS0_17counting_iteratorIjlEEPS9_SG_NS0_5tupleIJPjSI_NS0_16reverse_iteratorISI_EEEEENSH_IJSG_SG_SG_EEES9_SI_JZNS1_25segmented_radix_sort_implINS0_14default_configELb0EPK6__halfPSP_PKlPlN2at6native12_GLOBAL__N_18offset_tEEE10hipError_tPvRmT1_PNSt15iterator_traitsIS13_E10value_typeET2_T3_PNS14_IS19_E10value_typeET4_jRbjT5_S1F_jjP12ihipStream_tbEUljE_ZNSN_ISO_Lb0ESR_SS_SU_SV_SZ_EES10_S11_S12_S13_S17_S18_S19_S1C_S1D_jS1E_jS1F_S1F_jjS1H_bEUljE0_EEES10_S11_S12_S19_S1D_S1F_T6_T7_T9_mT8_S1H_bDpT10_ENKUlT_T0_E_clISt17integral_constantIbLb0EES1U_IbLb1EEEEDaS1Q_S1R_EUlS1Q_E_NS1_11comp_targetILNS1_3genE4ELNS1_11target_archE910ELNS1_3gpuE8ELNS1_3repE0EEENS1_30default_config_static_selectorELNS0_4arch9wavefront6targetE0EEEvS13_
	.p2align	8
	.type	_ZN7rocprim17ROCPRIM_400000_NS6detail17trampoline_kernelINS0_13select_configILj256ELj13ELNS0_17block_load_methodE3ELS4_3ELS4_3ELNS0_20block_scan_algorithmE0ELj4294967295EEENS1_25partition_config_selectorILNS1_17partition_subalgoE4EjNS0_10empty_typeEbEEZZNS1_14partition_implILS8_4ELb0ES6_15HIP_vector_typeIjLj2EENS0_17counting_iteratorIjlEEPS9_SG_NS0_5tupleIJPjSI_NS0_16reverse_iteratorISI_EEEEENSH_IJSG_SG_SG_EEES9_SI_JZNS1_25segmented_radix_sort_implINS0_14default_configELb0EPK6__halfPSP_PKlPlN2at6native12_GLOBAL__N_18offset_tEEE10hipError_tPvRmT1_PNSt15iterator_traitsIS13_E10value_typeET2_T3_PNS14_IS19_E10value_typeET4_jRbjT5_S1F_jjP12ihipStream_tbEUljE_ZNSN_ISO_Lb0ESR_SS_SU_SV_SZ_EES10_S11_S12_S13_S17_S18_S19_S1C_S1D_jS1E_jS1F_S1F_jjS1H_bEUljE0_EEES10_S11_S12_S19_S1D_S1F_T6_T7_T9_mT8_S1H_bDpT10_ENKUlT_T0_E_clISt17integral_constantIbLb0EES1U_IbLb1EEEEDaS1Q_S1R_EUlS1Q_E_NS1_11comp_targetILNS1_3genE4ELNS1_11target_archE910ELNS1_3gpuE8ELNS1_3repE0EEENS1_30default_config_static_selectorELNS0_4arch9wavefront6targetE0EEEvS13_,@function
_ZN7rocprim17ROCPRIM_400000_NS6detail17trampoline_kernelINS0_13select_configILj256ELj13ELNS0_17block_load_methodE3ELS4_3ELS4_3ELNS0_20block_scan_algorithmE0ELj4294967295EEENS1_25partition_config_selectorILNS1_17partition_subalgoE4EjNS0_10empty_typeEbEEZZNS1_14partition_implILS8_4ELb0ES6_15HIP_vector_typeIjLj2EENS0_17counting_iteratorIjlEEPS9_SG_NS0_5tupleIJPjSI_NS0_16reverse_iteratorISI_EEEEENSH_IJSG_SG_SG_EEES9_SI_JZNS1_25segmented_radix_sort_implINS0_14default_configELb0EPK6__halfPSP_PKlPlN2at6native12_GLOBAL__N_18offset_tEEE10hipError_tPvRmT1_PNSt15iterator_traitsIS13_E10value_typeET2_T3_PNS14_IS19_E10value_typeET4_jRbjT5_S1F_jjP12ihipStream_tbEUljE_ZNSN_ISO_Lb0ESR_SS_SU_SV_SZ_EES10_S11_S12_S13_S17_S18_S19_S1C_S1D_jS1E_jS1F_S1F_jjS1H_bEUljE0_EEES10_S11_S12_S19_S1D_S1F_T6_T7_T9_mT8_S1H_bDpT10_ENKUlT_T0_E_clISt17integral_constantIbLb0EES1U_IbLb1EEEEDaS1Q_S1R_EUlS1Q_E_NS1_11comp_targetILNS1_3genE4ELNS1_11target_archE910ELNS1_3gpuE8ELNS1_3repE0EEENS1_30default_config_static_selectorELNS0_4arch9wavefront6targetE0EEEvS13_: ; @_ZN7rocprim17ROCPRIM_400000_NS6detail17trampoline_kernelINS0_13select_configILj256ELj13ELNS0_17block_load_methodE3ELS4_3ELS4_3ELNS0_20block_scan_algorithmE0ELj4294967295EEENS1_25partition_config_selectorILNS1_17partition_subalgoE4EjNS0_10empty_typeEbEEZZNS1_14partition_implILS8_4ELb0ES6_15HIP_vector_typeIjLj2EENS0_17counting_iteratorIjlEEPS9_SG_NS0_5tupleIJPjSI_NS0_16reverse_iteratorISI_EEEEENSH_IJSG_SG_SG_EEES9_SI_JZNS1_25segmented_radix_sort_implINS0_14default_configELb0EPK6__halfPSP_PKlPlN2at6native12_GLOBAL__N_18offset_tEEE10hipError_tPvRmT1_PNSt15iterator_traitsIS13_E10value_typeET2_T3_PNS14_IS19_E10value_typeET4_jRbjT5_S1F_jjP12ihipStream_tbEUljE_ZNSN_ISO_Lb0ESR_SS_SU_SV_SZ_EES10_S11_S12_S13_S17_S18_S19_S1C_S1D_jS1E_jS1F_S1F_jjS1H_bEUljE0_EEES10_S11_S12_S19_S1D_S1F_T6_T7_T9_mT8_S1H_bDpT10_ENKUlT_T0_E_clISt17integral_constantIbLb0EES1U_IbLb1EEEEDaS1Q_S1R_EUlS1Q_E_NS1_11comp_targetILNS1_3genE4ELNS1_11target_archE910ELNS1_3gpuE8ELNS1_3repE0EEENS1_30default_config_static_selectorELNS0_4arch9wavefront6targetE0EEEvS13_
; %bb.0:
	.section	.rodata,"a",@progbits
	.p2align	6, 0x0
	.amdhsa_kernel _ZN7rocprim17ROCPRIM_400000_NS6detail17trampoline_kernelINS0_13select_configILj256ELj13ELNS0_17block_load_methodE3ELS4_3ELS4_3ELNS0_20block_scan_algorithmE0ELj4294967295EEENS1_25partition_config_selectorILNS1_17partition_subalgoE4EjNS0_10empty_typeEbEEZZNS1_14partition_implILS8_4ELb0ES6_15HIP_vector_typeIjLj2EENS0_17counting_iteratorIjlEEPS9_SG_NS0_5tupleIJPjSI_NS0_16reverse_iteratorISI_EEEEENSH_IJSG_SG_SG_EEES9_SI_JZNS1_25segmented_radix_sort_implINS0_14default_configELb0EPK6__halfPSP_PKlPlN2at6native12_GLOBAL__N_18offset_tEEE10hipError_tPvRmT1_PNSt15iterator_traitsIS13_E10value_typeET2_T3_PNS14_IS19_E10value_typeET4_jRbjT5_S1F_jjP12ihipStream_tbEUljE_ZNSN_ISO_Lb0ESR_SS_SU_SV_SZ_EES10_S11_S12_S13_S17_S18_S19_S1C_S1D_jS1E_jS1F_S1F_jjS1H_bEUljE0_EEES10_S11_S12_S19_S1D_S1F_T6_T7_T9_mT8_S1H_bDpT10_ENKUlT_T0_E_clISt17integral_constantIbLb0EES1U_IbLb1EEEEDaS1Q_S1R_EUlS1Q_E_NS1_11comp_targetILNS1_3genE4ELNS1_11target_archE910ELNS1_3gpuE8ELNS1_3repE0EEENS1_30default_config_static_selectorELNS0_4arch9wavefront6targetE0EEEvS13_
		.amdhsa_group_segment_fixed_size 0
		.amdhsa_private_segment_fixed_size 0
		.amdhsa_kernarg_size 184
		.amdhsa_user_sgpr_count 6
		.amdhsa_user_sgpr_private_segment_buffer 1
		.amdhsa_user_sgpr_dispatch_ptr 0
		.amdhsa_user_sgpr_queue_ptr 0
		.amdhsa_user_sgpr_kernarg_segment_ptr 1
		.amdhsa_user_sgpr_dispatch_id 0
		.amdhsa_user_sgpr_flat_scratch_init 0
		.amdhsa_user_sgpr_private_segment_size 0
		.amdhsa_wavefront_size32 1
		.amdhsa_uses_dynamic_stack 0
		.amdhsa_system_sgpr_private_segment_wavefront_offset 0
		.amdhsa_system_sgpr_workgroup_id_x 1
		.amdhsa_system_sgpr_workgroup_id_y 0
		.amdhsa_system_sgpr_workgroup_id_z 0
		.amdhsa_system_sgpr_workgroup_info 0
		.amdhsa_system_vgpr_workitem_id 0
		.amdhsa_next_free_vgpr 1
		.amdhsa_next_free_sgpr 1
		.amdhsa_reserve_vcc 0
		.amdhsa_reserve_flat_scratch 0
		.amdhsa_float_round_mode_32 0
		.amdhsa_float_round_mode_16_64 0
		.amdhsa_float_denorm_mode_32 3
		.amdhsa_float_denorm_mode_16_64 3
		.amdhsa_dx10_clamp 1
		.amdhsa_ieee_mode 1
		.amdhsa_fp16_overflow 0
		.amdhsa_workgroup_processor_mode 1
		.amdhsa_memory_ordered 1
		.amdhsa_forward_progress 1
		.amdhsa_shared_vgpr_count 0
		.amdhsa_exception_fp_ieee_invalid_op 0
		.amdhsa_exception_fp_denorm_src 0
		.amdhsa_exception_fp_ieee_div_zero 0
		.amdhsa_exception_fp_ieee_overflow 0
		.amdhsa_exception_fp_ieee_underflow 0
		.amdhsa_exception_fp_ieee_inexact 0
		.amdhsa_exception_int_div_zero 0
	.end_amdhsa_kernel
	.section	.text._ZN7rocprim17ROCPRIM_400000_NS6detail17trampoline_kernelINS0_13select_configILj256ELj13ELNS0_17block_load_methodE3ELS4_3ELS4_3ELNS0_20block_scan_algorithmE0ELj4294967295EEENS1_25partition_config_selectorILNS1_17partition_subalgoE4EjNS0_10empty_typeEbEEZZNS1_14partition_implILS8_4ELb0ES6_15HIP_vector_typeIjLj2EENS0_17counting_iteratorIjlEEPS9_SG_NS0_5tupleIJPjSI_NS0_16reverse_iteratorISI_EEEEENSH_IJSG_SG_SG_EEES9_SI_JZNS1_25segmented_radix_sort_implINS0_14default_configELb0EPK6__halfPSP_PKlPlN2at6native12_GLOBAL__N_18offset_tEEE10hipError_tPvRmT1_PNSt15iterator_traitsIS13_E10value_typeET2_T3_PNS14_IS19_E10value_typeET4_jRbjT5_S1F_jjP12ihipStream_tbEUljE_ZNSN_ISO_Lb0ESR_SS_SU_SV_SZ_EES10_S11_S12_S13_S17_S18_S19_S1C_S1D_jS1E_jS1F_S1F_jjS1H_bEUljE0_EEES10_S11_S12_S19_S1D_S1F_T6_T7_T9_mT8_S1H_bDpT10_ENKUlT_T0_E_clISt17integral_constantIbLb0EES1U_IbLb1EEEEDaS1Q_S1R_EUlS1Q_E_NS1_11comp_targetILNS1_3genE4ELNS1_11target_archE910ELNS1_3gpuE8ELNS1_3repE0EEENS1_30default_config_static_selectorELNS0_4arch9wavefront6targetE0EEEvS13_,"axG",@progbits,_ZN7rocprim17ROCPRIM_400000_NS6detail17trampoline_kernelINS0_13select_configILj256ELj13ELNS0_17block_load_methodE3ELS4_3ELS4_3ELNS0_20block_scan_algorithmE0ELj4294967295EEENS1_25partition_config_selectorILNS1_17partition_subalgoE4EjNS0_10empty_typeEbEEZZNS1_14partition_implILS8_4ELb0ES6_15HIP_vector_typeIjLj2EENS0_17counting_iteratorIjlEEPS9_SG_NS0_5tupleIJPjSI_NS0_16reverse_iteratorISI_EEEEENSH_IJSG_SG_SG_EEES9_SI_JZNS1_25segmented_radix_sort_implINS0_14default_configELb0EPK6__halfPSP_PKlPlN2at6native12_GLOBAL__N_18offset_tEEE10hipError_tPvRmT1_PNSt15iterator_traitsIS13_E10value_typeET2_T3_PNS14_IS19_E10value_typeET4_jRbjT5_S1F_jjP12ihipStream_tbEUljE_ZNSN_ISO_Lb0ESR_SS_SU_SV_SZ_EES10_S11_S12_S13_S17_S18_S19_S1C_S1D_jS1E_jS1F_S1F_jjS1H_bEUljE0_EEES10_S11_S12_S19_S1D_S1F_T6_T7_T9_mT8_S1H_bDpT10_ENKUlT_T0_E_clISt17integral_constantIbLb0EES1U_IbLb1EEEEDaS1Q_S1R_EUlS1Q_E_NS1_11comp_targetILNS1_3genE4ELNS1_11target_archE910ELNS1_3gpuE8ELNS1_3repE0EEENS1_30default_config_static_selectorELNS0_4arch9wavefront6targetE0EEEvS13_,comdat
.Lfunc_end1794:
	.size	_ZN7rocprim17ROCPRIM_400000_NS6detail17trampoline_kernelINS0_13select_configILj256ELj13ELNS0_17block_load_methodE3ELS4_3ELS4_3ELNS0_20block_scan_algorithmE0ELj4294967295EEENS1_25partition_config_selectorILNS1_17partition_subalgoE4EjNS0_10empty_typeEbEEZZNS1_14partition_implILS8_4ELb0ES6_15HIP_vector_typeIjLj2EENS0_17counting_iteratorIjlEEPS9_SG_NS0_5tupleIJPjSI_NS0_16reverse_iteratorISI_EEEEENSH_IJSG_SG_SG_EEES9_SI_JZNS1_25segmented_radix_sort_implINS0_14default_configELb0EPK6__halfPSP_PKlPlN2at6native12_GLOBAL__N_18offset_tEEE10hipError_tPvRmT1_PNSt15iterator_traitsIS13_E10value_typeET2_T3_PNS14_IS19_E10value_typeET4_jRbjT5_S1F_jjP12ihipStream_tbEUljE_ZNSN_ISO_Lb0ESR_SS_SU_SV_SZ_EES10_S11_S12_S13_S17_S18_S19_S1C_S1D_jS1E_jS1F_S1F_jjS1H_bEUljE0_EEES10_S11_S12_S19_S1D_S1F_T6_T7_T9_mT8_S1H_bDpT10_ENKUlT_T0_E_clISt17integral_constantIbLb0EES1U_IbLb1EEEEDaS1Q_S1R_EUlS1Q_E_NS1_11comp_targetILNS1_3genE4ELNS1_11target_archE910ELNS1_3gpuE8ELNS1_3repE0EEENS1_30default_config_static_selectorELNS0_4arch9wavefront6targetE0EEEvS13_, .Lfunc_end1794-_ZN7rocprim17ROCPRIM_400000_NS6detail17trampoline_kernelINS0_13select_configILj256ELj13ELNS0_17block_load_methodE3ELS4_3ELS4_3ELNS0_20block_scan_algorithmE0ELj4294967295EEENS1_25partition_config_selectorILNS1_17partition_subalgoE4EjNS0_10empty_typeEbEEZZNS1_14partition_implILS8_4ELb0ES6_15HIP_vector_typeIjLj2EENS0_17counting_iteratorIjlEEPS9_SG_NS0_5tupleIJPjSI_NS0_16reverse_iteratorISI_EEEEENSH_IJSG_SG_SG_EEES9_SI_JZNS1_25segmented_radix_sort_implINS0_14default_configELb0EPK6__halfPSP_PKlPlN2at6native12_GLOBAL__N_18offset_tEEE10hipError_tPvRmT1_PNSt15iterator_traitsIS13_E10value_typeET2_T3_PNS14_IS19_E10value_typeET4_jRbjT5_S1F_jjP12ihipStream_tbEUljE_ZNSN_ISO_Lb0ESR_SS_SU_SV_SZ_EES10_S11_S12_S13_S17_S18_S19_S1C_S1D_jS1E_jS1F_S1F_jjS1H_bEUljE0_EEES10_S11_S12_S19_S1D_S1F_T6_T7_T9_mT8_S1H_bDpT10_ENKUlT_T0_E_clISt17integral_constantIbLb0EES1U_IbLb1EEEEDaS1Q_S1R_EUlS1Q_E_NS1_11comp_targetILNS1_3genE4ELNS1_11target_archE910ELNS1_3gpuE8ELNS1_3repE0EEENS1_30default_config_static_selectorELNS0_4arch9wavefront6targetE0EEEvS13_
                                        ; -- End function
	.set _ZN7rocprim17ROCPRIM_400000_NS6detail17trampoline_kernelINS0_13select_configILj256ELj13ELNS0_17block_load_methodE3ELS4_3ELS4_3ELNS0_20block_scan_algorithmE0ELj4294967295EEENS1_25partition_config_selectorILNS1_17partition_subalgoE4EjNS0_10empty_typeEbEEZZNS1_14partition_implILS8_4ELb0ES6_15HIP_vector_typeIjLj2EENS0_17counting_iteratorIjlEEPS9_SG_NS0_5tupleIJPjSI_NS0_16reverse_iteratorISI_EEEEENSH_IJSG_SG_SG_EEES9_SI_JZNS1_25segmented_radix_sort_implINS0_14default_configELb0EPK6__halfPSP_PKlPlN2at6native12_GLOBAL__N_18offset_tEEE10hipError_tPvRmT1_PNSt15iterator_traitsIS13_E10value_typeET2_T3_PNS14_IS19_E10value_typeET4_jRbjT5_S1F_jjP12ihipStream_tbEUljE_ZNSN_ISO_Lb0ESR_SS_SU_SV_SZ_EES10_S11_S12_S13_S17_S18_S19_S1C_S1D_jS1E_jS1F_S1F_jjS1H_bEUljE0_EEES10_S11_S12_S19_S1D_S1F_T6_T7_T9_mT8_S1H_bDpT10_ENKUlT_T0_E_clISt17integral_constantIbLb0EES1U_IbLb1EEEEDaS1Q_S1R_EUlS1Q_E_NS1_11comp_targetILNS1_3genE4ELNS1_11target_archE910ELNS1_3gpuE8ELNS1_3repE0EEENS1_30default_config_static_selectorELNS0_4arch9wavefront6targetE0EEEvS13_.num_vgpr, 0
	.set _ZN7rocprim17ROCPRIM_400000_NS6detail17trampoline_kernelINS0_13select_configILj256ELj13ELNS0_17block_load_methodE3ELS4_3ELS4_3ELNS0_20block_scan_algorithmE0ELj4294967295EEENS1_25partition_config_selectorILNS1_17partition_subalgoE4EjNS0_10empty_typeEbEEZZNS1_14partition_implILS8_4ELb0ES6_15HIP_vector_typeIjLj2EENS0_17counting_iteratorIjlEEPS9_SG_NS0_5tupleIJPjSI_NS0_16reverse_iteratorISI_EEEEENSH_IJSG_SG_SG_EEES9_SI_JZNS1_25segmented_radix_sort_implINS0_14default_configELb0EPK6__halfPSP_PKlPlN2at6native12_GLOBAL__N_18offset_tEEE10hipError_tPvRmT1_PNSt15iterator_traitsIS13_E10value_typeET2_T3_PNS14_IS19_E10value_typeET4_jRbjT5_S1F_jjP12ihipStream_tbEUljE_ZNSN_ISO_Lb0ESR_SS_SU_SV_SZ_EES10_S11_S12_S13_S17_S18_S19_S1C_S1D_jS1E_jS1F_S1F_jjS1H_bEUljE0_EEES10_S11_S12_S19_S1D_S1F_T6_T7_T9_mT8_S1H_bDpT10_ENKUlT_T0_E_clISt17integral_constantIbLb0EES1U_IbLb1EEEEDaS1Q_S1R_EUlS1Q_E_NS1_11comp_targetILNS1_3genE4ELNS1_11target_archE910ELNS1_3gpuE8ELNS1_3repE0EEENS1_30default_config_static_selectorELNS0_4arch9wavefront6targetE0EEEvS13_.num_agpr, 0
	.set _ZN7rocprim17ROCPRIM_400000_NS6detail17trampoline_kernelINS0_13select_configILj256ELj13ELNS0_17block_load_methodE3ELS4_3ELS4_3ELNS0_20block_scan_algorithmE0ELj4294967295EEENS1_25partition_config_selectorILNS1_17partition_subalgoE4EjNS0_10empty_typeEbEEZZNS1_14partition_implILS8_4ELb0ES6_15HIP_vector_typeIjLj2EENS0_17counting_iteratorIjlEEPS9_SG_NS0_5tupleIJPjSI_NS0_16reverse_iteratorISI_EEEEENSH_IJSG_SG_SG_EEES9_SI_JZNS1_25segmented_radix_sort_implINS0_14default_configELb0EPK6__halfPSP_PKlPlN2at6native12_GLOBAL__N_18offset_tEEE10hipError_tPvRmT1_PNSt15iterator_traitsIS13_E10value_typeET2_T3_PNS14_IS19_E10value_typeET4_jRbjT5_S1F_jjP12ihipStream_tbEUljE_ZNSN_ISO_Lb0ESR_SS_SU_SV_SZ_EES10_S11_S12_S13_S17_S18_S19_S1C_S1D_jS1E_jS1F_S1F_jjS1H_bEUljE0_EEES10_S11_S12_S19_S1D_S1F_T6_T7_T9_mT8_S1H_bDpT10_ENKUlT_T0_E_clISt17integral_constantIbLb0EES1U_IbLb1EEEEDaS1Q_S1R_EUlS1Q_E_NS1_11comp_targetILNS1_3genE4ELNS1_11target_archE910ELNS1_3gpuE8ELNS1_3repE0EEENS1_30default_config_static_selectorELNS0_4arch9wavefront6targetE0EEEvS13_.numbered_sgpr, 0
	.set _ZN7rocprim17ROCPRIM_400000_NS6detail17trampoline_kernelINS0_13select_configILj256ELj13ELNS0_17block_load_methodE3ELS4_3ELS4_3ELNS0_20block_scan_algorithmE0ELj4294967295EEENS1_25partition_config_selectorILNS1_17partition_subalgoE4EjNS0_10empty_typeEbEEZZNS1_14partition_implILS8_4ELb0ES6_15HIP_vector_typeIjLj2EENS0_17counting_iteratorIjlEEPS9_SG_NS0_5tupleIJPjSI_NS0_16reverse_iteratorISI_EEEEENSH_IJSG_SG_SG_EEES9_SI_JZNS1_25segmented_radix_sort_implINS0_14default_configELb0EPK6__halfPSP_PKlPlN2at6native12_GLOBAL__N_18offset_tEEE10hipError_tPvRmT1_PNSt15iterator_traitsIS13_E10value_typeET2_T3_PNS14_IS19_E10value_typeET4_jRbjT5_S1F_jjP12ihipStream_tbEUljE_ZNSN_ISO_Lb0ESR_SS_SU_SV_SZ_EES10_S11_S12_S13_S17_S18_S19_S1C_S1D_jS1E_jS1F_S1F_jjS1H_bEUljE0_EEES10_S11_S12_S19_S1D_S1F_T6_T7_T9_mT8_S1H_bDpT10_ENKUlT_T0_E_clISt17integral_constantIbLb0EES1U_IbLb1EEEEDaS1Q_S1R_EUlS1Q_E_NS1_11comp_targetILNS1_3genE4ELNS1_11target_archE910ELNS1_3gpuE8ELNS1_3repE0EEENS1_30default_config_static_selectorELNS0_4arch9wavefront6targetE0EEEvS13_.num_named_barrier, 0
	.set _ZN7rocprim17ROCPRIM_400000_NS6detail17trampoline_kernelINS0_13select_configILj256ELj13ELNS0_17block_load_methodE3ELS4_3ELS4_3ELNS0_20block_scan_algorithmE0ELj4294967295EEENS1_25partition_config_selectorILNS1_17partition_subalgoE4EjNS0_10empty_typeEbEEZZNS1_14partition_implILS8_4ELb0ES6_15HIP_vector_typeIjLj2EENS0_17counting_iteratorIjlEEPS9_SG_NS0_5tupleIJPjSI_NS0_16reverse_iteratorISI_EEEEENSH_IJSG_SG_SG_EEES9_SI_JZNS1_25segmented_radix_sort_implINS0_14default_configELb0EPK6__halfPSP_PKlPlN2at6native12_GLOBAL__N_18offset_tEEE10hipError_tPvRmT1_PNSt15iterator_traitsIS13_E10value_typeET2_T3_PNS14_IS19_E10value_typeET4_jRbjT5_S1F_jjP12ihipStream_tbEUljE_ZNSN_ISO_Lb0ESR_SS_SU_SV_SZ_EES10_S11_S12_S13_S17_S18_S19_S1C_S1D_jS1E_jS1F_S1F_jjS1H_bEUljE0_EEES10_S11_S12_S19_S1D_S1F_T6_T7_T9_mT8_S1H_bDpT10_ENKUlT_T0_E_clISt17integral_constantIbLb0EES1U_IbLb1EEEEDaS1Q_S1R_EUlS1Q_E_NS1_11comp_targetILNS1_3genE4ELNS1_11target_archE910ELNS1_3gpuE8ELNS1_3repE0EEENS1_30default_config_static_selectorELNS0_4arch9wavefront6targetE0EEEvS13_.private_seg_size, 0
	.set _ZN7rocprim17ROCPRIM_400000_NS6detail17trampoline_kernelINS0_13select_configILj256ELj13ELNS0_17block_load_methodE3ELS4_3ELS4_3ELNS0_20block_scan_algorithmE0ELj4294967295EEENS1_25partition_config_selectorILNS1_17partition_subalgoE4EjNS0_10empty_typeEbEEZZNS1_14partition_implILS8_4ELb0ES6_15HIP_vector_typeIjLj2EENS0_17counting_iteratorIjlEEPS9_SG_NS0_5tupleIJPjSI_NS0_16reverse_iteratorISI_EEEEENSH_IJSG_SG_SG_EEES9_SI_JZNS1_25segmented_radix_sort_implINS0_14default_configELb0EPK6__halfPSP_PKlPlN2at6native12_GLOBAL__N_18offset_tEEE10hipError_tPvRmT1_PNSt15iterator_traitsIS13_E10value_typeET2_T3_PNS14_IS19_E10value_typeET4_jRbjT5_S1F_jjP12ihipStream_tbEUljE_ZNSN_ISO_Lb0ESR_SS_SU_SV_SZ_EES10_S11_S12_S13_S17_S18_S19_S1C_S1D_jS1E_jS1F_S1F_jjS1H_bEUljE0_EEES10_S11_S12_S19_S1D_S1F_T6_T7_T9_mT8_S1H_bDpT10_ENKUlT_T0_E_clISt17integral_constantIbLb0EES1U_IbLb1EEEEDaS1Q_S1R_EUlS1Q_E_NS1_11comp_targetILNS1_3genE4ELNS1_11target_archE910ELNS1_3gpuE8ELNS1_3repE0EEENS1_30default_config_static_selectorELNS0_4arch9wavefront6targetE0EEEvS13_.uses_vcc, 0
	.set _ZN7rocprim17ROCPRIM_400000_NS6detail17trampoline_kernelINS0_13select_configILj256ELj13ELNS0_17block_load_methodE3ELS4_3ELS4_3ELNS0_20block_scan_algorithmE0ELj4294967295EEENS1_25partition_config_selectorILNS1_17partition_subalgoE4EjNS0_10empty_typeEbEEZZNS1_14partition_implILS8_4ELb0ES6_15HIP_vector_typeIjLj2EENS0_17counting_iteratorIjlEEPS9_SG_NS0_5tupleIJPjSI_NS0_16reverse_iteratorISI_EEEEENSH_IJSG_SG_SG_EEES9_SI_JZNS1_25segmented_radix_sort_implINS0_14default_configELb0EPK6__halfPSP_PKlPlN2at6native12_GLOBAL__N_18offset_tEEE10hipError_tPvRmT1_PNSt15iterator_traitsIS13_E10value_typeET2_T3_PNS14_IS19_E10value_typeET4_jRbjT5_S1F_jjP12ihipStream_tbEUljE_ZNSN_ISO_Lb0ESR_SS_SU_SV_SZ_EES10_S11_S12_S13_S17_S18_S19_S1C_S1D_jS1E_jS1F_S1F_jjS1H_bEUljE0_EEES10_S11_S12_S19_S1D_S1F_T6_T7_T9_mT8_S1H_bDpT10_ENKUlT_T0_E_clISt17integral_constantIbLb0EES1U_IbLb1EEEEDaS1Q_S1R_EUlS1Q_E_NS1_11comp_targetILNS1_3genE4ELNS1_11target_archE910ELNS1_3gpuE8ELNS1_3repE0EEENS1_30default_config_static_selectorELNS0_4arch9wavefront6targetE0EEEvS13_.uses_flat_scratch, 0
	.set _ZN7rocprim17ROCPRIM_400000_NS6detail17trampoline_kernelINS0_13select_configILj256ELj13ELNS0_17block_load_methodE3ELS4_3ELS4_3ELNS0_20block_scan_algorithmE0ELj4294967295EEENS1_25partition_config_selectorILNS1_17partition_subalgoE4EjNS0_10empty_typeEbEEZZNS1_14partition_implILS8_4ELb0ES6_15HIP_vector_typeIjLj2EENS0_17counting_iteratorIjlEEPS9_SG_NS0_5tupleIJPjSI_NS0_16reverse_iteratorISI_EEEEENSH_IJSG_SG_SG_EEES9_SI_JZNS1_25segmented_radix_sort_implINS0_14default_configELb0EPK6__halfPSP_PKlPlN2at6native12_GLOBAL__N_18offset_tEEE10hipError_tPvRmT1_PNSt15iterator_traitsIS13_E10value_typeET2_T3_PNS14_IS19_E10value_typeET4_jRbjT5_S1F_jjP12ihipStream_tbEUljE_ZNSN_ISO_Lb0ESR_SS_SU_SV_SZ_EES10_S11_S12_S13_S17_S18_S19_S1C_S1D_jS1E_jS1F_S1F_jjS1H_bEUljE0_EEES10_S11_S12_S19_S1D_S1F_T6_T7_T9_mT8_S1H_bDpT10_ENKUlT_T0_E_clISt17integral_constantIbLb0EES1U_IbLb1EEEEDaS1Q_S1R_EUlS1Q_E_NS1_11comp_targetILNS1_3genE4ELNS1_11target_archE910ELNS1_3gpuE8ELNS1_3repE0EEENS1_30default_config_static_selectorELNS0_4arch9wavefront6targetE0EEEvS13_.has_dyn_sized_stack, 0
	.set _ZN7rocprim17ROCPRIM_400000_NS6detail17trampoline_kernelINS0_13select_configILj256ELj13ELNS0_17block_load_methodE3ELS4_3ELS4_3ELNS0_20block_scan_algorithmE0ELj4294967295EEENS1_25partition_config_selectorILNS1_17partition_subalgoE4EjNS0_10empty_typeEbEEZZNS1_14partition_implILS8_4ELb0ES6_15HIP_vector_typeIjLj2EENS0_17counting_iteratorIjlEEPS9_SG_NS0_5tupleIJPjSI_NS0_16reverse_iteratorISI_EEEEENSH_IJSG_SG_SG_EEES9_SI_JZNS1_25segmented_radix_sort_implINS0_14default_configELb0EPK6__halfPSP_PKlPlN2at6native12_GLOBAL__N_18offset_tEEE10hipError_tPvRmT1_PNSt15iterator_traitsIS13_E10value_typeET2_T3_PNS14_IS19_E10value_typeET4_jRbjT5_S1F_jjP12ihipStream_tbEUljE_ZNSN_ISO_Lb0ESR_SS_SU_SV_SZ_EES10_S11_S12_S13_S17_S18_S19_S1C_S1D_jS1E_jS1F_S1F_jjS1H_bEUljE0_EEES10_S11_S12_S19_S1D_S1F_T6_T7_T9_mT8_S1H_bDpT10_ENKUlT_T0_E_clISt17integral_constantIbLb0EES1U_IbLb1EEEEDaS1Q_S1R_EUlS1Q_E_NS1_11comp_targetILNS1_3genE4ELNS1_11target_archE910ELNS1_3gpuE8ELNS1_3repE0EEENS1_30default_config_static_selectorELNS0_4arch9wavefront6targetE0EEEvS13_.has_recursion, 0
	.set _ZN7rocprim17ROCPRIM_400000_NS6detail17trampoline_kernelINS0_13select_configILj256ELj13ELNS0_17block_load_methodE3ELS4_3ELS4_3ELNS0_20block_scan_algorithmE0ELj4294967295EEENS1_25partition_config_selectorILNS1_17partition_subalgoE4EjNS0_10empty_typeEbEEZZNS1_14partition_implILS8_4ELb0ES6_15HIP_vector_typeIjLj2EENS0_17counting_iteratorIjlEEPS9_SG_NS0_5tupleIJPjSI_NS0_16reverse_iteratorISI_EEEEENSH_IJSG_SG_SG_EEES9_SI_JZNS1_25segmented_radix_sort_implINS0_14default_configELb0EPK6__halfPSP_PKlPlN2at6native12_GLOBAL__N_18offset_tEEE10hipError_tPvRmT1_PNSt15iterator_traitsIS13_E10value_typeET2_T3_PNS14_IS19_E10value_typeET4_jRbjT5_S1F_jjP12ihipStream_tbEUljE_ZNSN_ISO_Lb0ESR_SS_SU_SV_SZ_EES10_S11_S12_S13_S17_S18_S19_S1C_S1D_jS1E_jS1F_S1F_jjS1H_bEUljE0_EEES10_S11_S12_S19_S1D_S1F_T6_T7_T9_mT8_S1H_bDpT10_ENKUlT_T0_E_clISt17integral_constantIbLb0EES1U_IbLb1EEEEDaS1Q_S1R_EUlS1Q_E_NS1_11comp_targetILNS1_3genE4ELNS1_11target_archE910ELNS1_3gpuE8ELNS1_3repE0EEENS1_30default_config_static_selectorELNS0_4arch9wavefront6targetE0EEEvS13_.has_indirect_call, 0
	.section	.AMDGPU.csdata,"",@progbits
; Kernel info:
; codeLenInByte = 0
; TotalNumSgprs: 0
; NumVgprs: 0
; ScratchSize: 0
; MemoryBound: 0
; FloatMode: 240
; IeeeMode: 1
; LDSByteSize: 0 bytes/workgroup (compile time only)
; SGPRBlocks: 0
; VGPRBlocks: 0
; NumSGPRsForWavesPerEU: 1
; NumVGPRsForWavesPerEU: 1
; Occupancy: 16
; WaveLimiterHint : 0
; COMPUTE_PGM_RSRC2:SCRATCH_EN: 0
; COMPUTE_PGM_RSRC2:USER_SGPR: 6
; COMPUTE_PGM_RSRC2:TRAP_HANDLER: 0
; COMPUTE_PGM_RSRC2:TGID_X_EN: 1
; COMPUTE_PGM_RSRC2:TGID_Y_EN: 0
; COMPUTE_PGM_RSRC2:TGID_Z_EN: 0
; COMPUTE_PGM_RSRC2:TIDIG_COMP_CNT: 0
	.section	.text._ZN7rocprim17ROCPRIM_400000_NS6detail17trampoline_kernelINS0_13select_configILj256ELj13ELNS0_17block_load_methodE3ELS4_3ELS4_3ELNS0_20block_scan_algorithmE0ELj4294967295EEENS1_25partition_config_selectorILNS1_17partition_subalgoE4EjNS0_10empty_typeEbEEZZNS1_14partition_implILS8_4ELb0ES6_15HIP_vector_typeIjLj2EENS0_17counting_iteratorIjlEEPS9_SG_NS0_5tupleIJPjSI_NS0_16reverse_iteratorISI_EEEEENSH_IJSG_SG_SG_EEES9_SI_JZNS1_25segmented_radix_sort_implINS0_14default_configELb0EPK6__halfPSP_PKlPlN2at6native12_GLOBAL__N_18offset_tEEE10hipError_tPvRmT1_PNSt15iterator_traitsIS13_E10value_typeET2_T3_PNS14_IS19_E10value_typeET4_jRbjT5_S1F_jjP12ihipStream_tbEUljE_ZNSN_ISO_Lb0ESR_SS_SU_SV_SZ_EES10_S11_S12_S13_S17_S18_S19_S1C_S1D_jS1E_jS1F_S1F_jjS1H_bEUljE0_EEES10_S11_S12_S19_S1D_S1F_T6_T7_T9_mT8_S1H_bDpT10_ENKUlT_T0_E_clISt17integral_constantIbLb0EES1U_IbLb1EEEEDaS1Q_S1R_EUlS1Q_E_NS1_11comp_targetILNS1_3genE3ELNS1_11target_archE908ELNS1_3gpuE7ELNS1_3repE0EEENS1_30default_config_static_selectorELNS0_4arch9wavefront6targetE0EEEvS13_,"axG",@progbits,_ZN7rocprim17ROCPRIM_400000_NS6detail17trampoline_kernelINS0_13select_configILj256ELj13ELNS0_17block_load_methodE3ELS4_3ELS4_3ELNS0_20block_scan_algorithmE0ELj4294967295EEENS1_25partition_config_selectorILNS1_17partition_subalgoE4EjNS0_10empty_typeEbEEZZNS1_14partition_implILS8_4ELb0ES6_15HIP_vector_typeIjLj2EENS0_17counting_iteratorIjlEEPS9_SG_NS0_5tupleIJPjSI_NS0_16reverse_iteratorISI_EEEEENSH_IJSG_SG_SG_EEES9_SI_JZNS1_25segmented_radix_sort_implINS0_14default_configELb0EPK6__halfPSP_PKlPlN2at6native12_GLOBAL__N_18offset_tEEE10hipError_tPvRmT1_PNSt15iterator_traitsIS13_E10value_typeET2_T3_PNS14_IS19_E10value_typeET4_jRbjT5_S1F_jjP12ihipStream_tbEUljE_ZNSN_ISO_Lb0ESR_SS_SU_SV_SZ_EES10_S11_S12_S13_S17_S18_S19_S1C_S1D_jS1E_jS1F_S1F_jjS1H_bEUljE0_EEES10_S11_S12_S19_S1D_S1F_T6_T7_T9_mT8_S1H_bDpT10_ENKUlT_T0_E_clISt17integral_constantIbLb0EES1U_IbLb1EEEEDaS1Q_S1R_EUlS1Q_E_NS1_11comp_targetILNS1_3genE3ELNS1_11target_archE908ELNS1_3gpuE7ELNS1_3repE0EEENS1_30default_config_static_selectorELNS0_4arch9wavefront6targetE0EEEvS13_,comdat
	.globl	_ZN7rocprim17ROCPRIM_400000_NS6detail17trampoline_kernelINS0_13select_configILj256ELj13ELNS0_17block_load_methodE3ELS4_3ELS4_3ELNS0_20block_scan_algorithmE0ELj4294967295EEENS1_25partition_config_selectorILNS1_17partition_subalgoE4EjNS0_10empty_typeEbEEZZNS1_14partition_implILS8_4ELb0ES6_15HIP_vector_typeIjLj2EENS0_17counting_iteratorIjlEEPS9_SG_NS0_5tupleIJPjSI_NS0_16reverse_iteratorISI_EEEEENSH_IJSG_SG_SG_EEES9_SI_JZNS1_25segmented_radix_sort_implINS0_14default_configELb0EPK6__halfPSP_PKlPlN2at6native12_GLOBAL__N_18offset_tEEE10hipError_tPvRmT1_PNSt15iterator_traitsIS13_E10value_typeET2_T3_PNS14_IS19_E10value_typeET4_jRbjT5_S1F_jjP12ihipStream_tbEUljE_ZNSN_ISO_Lb0ESR_SS_SU_SV_SZ_EES10_S11_S12_S13_S17_S18_S19_S1C_S1D_jS1E_jS1F_S1F_jjS1H_bEUljE0_EEES10_S11_S12_S19_S1D_S1F_T6_T7_T9_mT8_S1H_bDpT10_ENKUlT_T0_E_clISt17integral_constantIbLb0EES1U_IbLb1EEEEDaS1Q_S1R_EUlS1Q_E_NS1_11comp_targetILNS1_3genE3ELNS1_11target_archE908ELNS1_3gpuE7ELNS1_3repE0EEENS1_30default_config_static_selectorELNS0_4arch9wavefront6targetE0EEEvS13_ ; -- Begin function _ZN7rocprim17ROCPRIM_400000_NS6detail17trampoline_kernelINS0_13select_configILj256ELj13ELNS0_17block_load_methodE3ELS4_3ELS4_3ELNS0_20block_scan_algorithmE0ELj4294967295EEENS1_25partition_config_selectorILNS1_17partition_subalgoE4EjNS0_10empty_typeEbEEZZNS1_14partition_implILS8_4ELb0ES6_15HIP_vector_typeIjLj2EENS0_17counting_iteratorIjlEEPS9_SG_NS0_5tupleIJPjSI_NS0_16reverse_iteratorISI_EEEEENSH_IJSG_SG_SG_EEES9_SI_JZNS1_25segmented_radix_sort_implINS0_14default_configELb0EPK6__halfPSP_PKlPlN2at6native12_GLOBAL__N_18offset_tEEE10hipError_tPvRmT1_PNSt15iterator_traitsIS13_E10value_typeET2_T3_PNS14_IS19_E10value_typeET4_jRbjT5_S1F_jjP12ihipStream_tbEUljE_ZNSN_ISO_Lb0ESR_SS_SU_SV_SZ_EES10_S11_S12_S13_S17_S18_S19_S1C_S1D_jS1E_jS1F_S1F_jjS1H_bEUljE0_EEES10_S11_S12_S19_S1D_S1F_T6_T7_T9_mT8_S1H_bDpT10_ENKUlT_T0_E_clISt17integral_constantIbLb0EES1U_IbLb1EEEEDaS1Q_S1R_EUlS1Q_E_NS1_11comp_targetILNS1_3genE3ELNS1_11target_archE908ELNS1_3gpuE7ELNS1_3repE0EEENS1_30default_config_static_selectorELNS0_4arch9wavefront6targetE0EEEvS13_
	.p2align	8
	.type	_ZN7rocprim17ROCPRIM_400000_NS6detail17trampoline_kernelINS0_13select_configILj256ELj13ELNS0_17block_load_methodE3ELS4_3ELS4_3ELNS0_20block_scan_algorithmE0ELj4294967295EEENS1_25partition_config_selectorILNS1_17partition_subalgoE4EjNS0_10empty_typeEbEEZZNS1_14partition_implILS8_4ELb0ES6_15HIP_vector_typeIjLj2EENS0_17counting_iteratorIjlEEPS9_SG_NS0_5tupleIJPjSI_NS0_16reverse_iteratorISI_EEEEENSH_IJSG_SG_SG_EEES9_SI_JZNS1_25segmented_radix_sort_implINS0_14default_configELb0EPK6__halfPSP_PKlPlN2at6native12_GLOBAL__N_18offset_tEEE10hipError_tPvRmT1_PNSt15iterator_traitsIS13_E10value_typeET2_T3_PNS14_IS19_E10value_typeET4_jRbjT5_S1F_jjP12ihipStream_tbEUljE_ZNSN_ISO_Lb0ESR_SS_SU_SV_SZ_EES10_S11_S12_S13_S17_S18_S19_S1C_S1D_jS1E_jS1F_S1F_jjS1H_bEUljE0_EEES10_S11_S12_S19_S1D_S1F_T6_T7_T9_mT8_S1H_bDpT10_ENKUlT_T0_E_clISt17integral_constantIbLb0EES1U_IbLb1EEEEDaS1Q_S1R_EUlS1Q_E_NS1_11comp_targetILNS1_3genE3ELNS1_11target_archE908ELNS1_3gpuE7ELNS1_3repE0EEENS1_30default_config_static_selectorELNS0_4arch9wavefront6targetE0EEEvS13_,@function
_ZN7rocprim17ROCPRIM_400000_NS6detail17trampoline_kernelINS0_13select_configILj256ELj13ELNS0_17block_load_methodE3ELS4_3ELS4_3ELNS0_20block_scan_algorithmE0ELj4294967295EEENS1_25partition_config_selectorILNS1_17partition_subalgoE4EjNS0_10empty_typeEbEEZZNS1_14partition_implILS8_4ELb0ES6_15HIP_vector_typeIjLj2EENS0_17counting_iteratorIjlEEPS9_SG_NS0_5tupleIJPjSI_NS0_16reverse_iteratorISI_EEEEENSH_IJSG_SG_SG_EEES9_SI_JZNS1_25segmented_radix_sort_implINS0_14default_configELb0EPK6__halfPSP_PKlPlN2at6native12_GLOBAL__N_18offset_tEEE10hipError_tPvRmT1_PNSt15iterator_traitsIS13_E10value_typeET2_T3_PNS14_IS19_E10value_typeET4_jRbjT5_S1F_jjP12ihipStream_tbEUljE_ZNSN_ISO_Lb0ESR_SS_SU_SV_SZ_EES10_S11_S12_S13_S17_S18_S19_S1C_S1D_jS1E_jS1F_S1F_jjS1H_bEUljE0_EEES10_S11_S12_S19_S1D_S1F_T6_T7_T9_mT8_S1H_bDpT10_ENKUlT_T0_E_clISt17integral_constantIbLb0EES1U_IbLb1EEEEDaS1Q_S1R_EUlS1Q_E_NS1_11comp_targetILNS1_3genE3ELNS1_11target_archE908ELNS1_3gpuE7ELNS1_3repE0EEENS1_30default_config_static_selectorELNS0_4arch9wavefront6targetE0EEEvS13_: ; @_ZN7rocprim17ROCPRIM_400000_NS6detail17trampoline_kernelINS0_13select_configILj256ELj13ELNS0_17block_load_methodE3ELS4_3ELS4_3ELNS0_20block_scan_algorithmE0ELj4294967295EEENS1_25partition_config_selectorILNS1_17partition_subalgoE4EjNS0_10empty_typeEbEEZZNS1_14partition_implILS8_4ELb0ES6_15HIP_vector_typeIjLj2EENS0_17counting_iteratorIjlEEPS9_SG_NS0_5tupleIJPjSI_NS0_16reverse_iteratorISI_EEEEENSH_IJSG_SG_SG_EEES9_SI_JZNS1_25segmented_radix_sort_implINS0_14default_configELb0EPK6__halfPSP_PKlPlN2at6native12_GLOBAL__N_18offset_tEEE10hipError_tPvRmT1_PNSt15iterator_traitsIS13_E10value_typeET2_T3_PNS14_IS19_E10value_typeET4_jRbjT5_S1F_jjP12ihipStream_tbEUljE_ZNSN_ISO_Lb0ESR_SS_SU_SV_SZ_EES10_S11_S12_S13_S17_S18_S19_S1C_S1D_jS1E_jS1F_S1F_jjS1H_bEUljE0_EEES10_S11_S12_S19_S1D_S1F_T6_T7_T9_mT8_S1H_bDpT10_ENKUlT_T0_E_clISt17integral_constantIbLb0EES1U_IbLb1EEEEDaS1Q_S1R_EUlS1Q_E_NS1_11comp_targetILNS1_3genE3ELNS1_11target_archE908ELNS1_3gpuE7ELNS1_3repE0EEENS1_30default_config_static_selectorELNS0_4arch9wavefront6targetE0EEEvS13_
; %bb.0:
	.section	.rodata,"a",@progbits
	.p2align	6, 0x0
	.amdhsa_kernel _ZN7rocprim17ROCPRIM_400000_NS6detail17trampoline_kernelINS0_13select_configILj256ELj13ELNS0_17block_load_methodE3ELS4_3ELS4_3ELNS0_20block_scan_algorithmE0ELj4294967295EEENS1_25partition_config_selectorILNS1_17partition_subalgoE4EjNS0_10empty_typeEbEEZZNS1_14partition_implILS8_4ELb0ES6_15HIP_vector_typeIjLj2EENS0_17counting_iteratorIjlEEPS9_SG_NS0_5tupleIJPjSI_NS0_16reverse_iteratorISI_EEEEENSH_IJSG_SG_SG_EEES9_SI_JZNS1_25segmented_radix_sort_implINS0_14default_configELb0EPK6__halfPSP_PKlPlN2at6native12_GLOBAL__N_18offset_tEEE10hipError_tPvRmT1_PNSt15iterator_traitsIS13_E10value_typeET2_T3_PNS14_IS19_E10value_typeET4_jRbjT5_S1F_jjP12ihipStream_tbEUljE_ZNSN_ISO_Lb0ESR_SS_SU_SV_SZ_EES10_S11_S12_S13_S17_S18_S19_S1C_S1D_jS1E_jS1F_S1F_jjS1H_bEUljE0_EEES10_S11_S12_S19_S1D_S1F_T6_T7_T9_mT8_S1H_bDpT10_ENKUlT_T0_E_clISt17integral_constantIbLb0EES1U_IbLb1EEEEDaS1Q_S1R_EUlS1Q_E_NS1_11comp_targetILNS1_3genE3ELNS1_11target_archE908ELNS1_3gpuE7ELNS1_3repE0EEENS1_30default_config_static_selectorELNS0_4arch9wavefront6targetE0EEEvS13_
		.amdhsa_group_segment_fixed_size 0
		.amdhsa_private_segment_fixed_size 0
		.amdhsa_kernarg_size 184
		.amdhsa_user_sgpr_count 6
		.amdhsa_user_sgpr_private_segment_buffer 1
		.amdhsa_user_sgpr_dispatch_ptr 0
		.amdhsa_user_sgpr_queue_ptr 0
		.amdhsa_user_sgpr_kernarg_segment_ptr 1
		.amdhsa_user_sgpr_dispatch_id 0
		.amdhsa_user_sgpr_flat_scratch_init 0
		.amdhsa_user_sgpr_private_segment_size 0
		.amdhsa_wavefront_size32 1
		.amdhsa_uses_dynamic_stack 0
		.amdhsa_system_sgpr_private_segment_wavefront_offset 0
		.amdhsa_system_sgpr_workgroup_id_x 1
		.amdhsa_system_sgpr_workgroup_id_y 0
		.amdhsa_system_sgpr_workgroup_id_z 0
		.amdhsa_system_sgpr_workgroup_info 0
		.amdhsa_system_vgpr_workitem_id 0
		.amdhsa_next_free_vgpr 1
		.amdhsa_next_free_sgpr 1
		.amdhsa_reserve_vcc 0
		.amdhsa_reserve_flat_scratch 0
		.amdhsa_float_round_mode_32 0
		.amdhsa_float_round_mode_16_64 0
		.amdhsa_float_denorm_mode_32 3
		.amdhsa_float_denorm_mode_16_64 3
		.amdhsa_dx10_clamp 1
		.amdhsa_ieee_mode 1
		.amdhsa_fp16_overflow 0
		.amdhsa_workgroup_processor_mode 1
		.amdhsa_memory_ordered 1
		.amdhsa_forward_progress 1
		.amdhsa_shared_vgpr_count 0
		.amdhsa_exception_fp_ieee_invalid_op 0
		.amdhsa_exception_fp_denorm_src 0
		.amdhsa_exception_fp_ieee_div_zero 0
		.amdhsa_exception_fp_ieee_overflow 0
		.amdhsa_exception_fp_ieee_underflow 0
		.amdhsa_exception_fp_ieee_inexact 0
		.amdhsa_exception_int_div_zero 0
	.end_amdhsa_kernel
	.section	.text._ZN7rocprim17ROCPRIM_400000_NS6detail17trampoline_kernelINS0_13select_configILj256ELj13ELNS0_17block_load_methodE3ELS4_3ELS4_3ELNS0_20block_scan_algorithmE0ELj4294967295EEENS1_25partition_config_selectorILNS1_17partition_subalgoE4EjNS0_10empty_typeEbEEZZNS1_14partition_implILS8_4ELb0ES6_15HIP_vector_typeIjLj2EENS0_17counting_iteratorIjlEEPS9_SG_NS0_5tupleIJPjSI_NS0_16reverse_iteratorISI_EEEEENSH_IJSG_SG_SG_EEES9_SI_JZNS1_25segmented_radix_sort_implINS0_14default_configELb0EPK6__halfPSP_PKlPlN2at6native12_GLOBAL__N_18offset_tEEE10hipError_tPvRmT1_PNSt15iterator_traitsIS13_E10value_typeET2_T3_PNS14_IS19_E10value_typeET4_jRbjT5_S1F_jjP12ihipStream_tbEUljE_ZNSN_ISO_Lb0ESR_SS_SU_SV_SZ_EES10_S11_S12_S13_S17_S18_S19_S1C_S1D_jS1E_jS1F_S1F_jjS1H_bEUljE0_EEES10_S11_S12_S19_S1D_S1F_T6_T7_T9_mT8_S1H_bDpT10_ENKUlT_T0_E_clISt17integral_constantIbLb0EES1U_IbLb1EEEEDaS1Q_S1R_EUlS1Q_E_NS1_11comp_targetILNS1_3genE3ELNS1_11target_archE908ELNS1_3gpuE7ELNS1_3repE0EEENS1_30default_config_static_selectorELNS0_4arch9wavefront6targetE0EEEvS13_,"axG",@progbits,_ZN7rocprim17ROCPRIM_400000_NS6detail17trampoline_kernelINS0_13select_configILj256ELj13ELNS0_17block_load_methodE3ELS4_3ELS4_3ELNS0_20block_scan_algorithmE0ELj4294967295EEENS1_25partition_config_selectorILNS1_17partition_subalgoE4EjNS0_10empty_typeEbEEZZNS1_14partition_implILS8_4ELb0ES6_15HIP_vector_typeIjLj2EENS0_17counting_iteratorIjlEEPS9_SG_NS0_5tupleIJPjSI_NS0_16reverse_iteratorISI_EEEEENSH_IJSG_SG_SG_EEES9_SI_JZNS1_25segmented_radix_sort_implINS0_14default_configELb0EPK6__halfPSP_PKlPlN2at6native12_GLOBAL__N_18offset_tEEE10hipError_tPvRmT1_PNSt15iterator_traitsIS13_E10value_typeET2_T3_PNS14_IS19_E10value_typeET4_jRbjT5_S1F_jjP12ihipStream_tbEUljE_ZNSN_ISO_Lb0ESR_SS_SU_SV_SZ_EES10_S11_S12_S13_S17_S18_S19_S1C_S1D_jS1E_jS1F_S1F_jjS1H_bEUljE0_EEES10_S11_S12_S19_S1D_S1F_T6_T7_T9_mT8_S1H_bDpT10_ENKUlT_T0_E_clISt17integral_constantIbLb0EES1U_IbLb1EEEEDaS1Q_S1R_EUlS1Q_E_NS1_11comp_targetILNS1_3genE3ELNS1_11target_archE908ELNS1_3gpuE7ELNS1_3repE0EEENS1_30default_config_static_selectorELNS0_4arch9wavefront6targetE0EEEvS13_,comdat
.Lfunc_end1795:
	.size	_ZN7rocprim17ROCPRIM_400000_NS6detail17trampoline_kernelINS0_13select_configILj256ELj13ELNS0_17block_load_methodE3ELS4_3ELS4_3ELNS0_20block_scan_algorithmE0ELj4294967295EEENS1_25partition_config_selectorILNS1_17partition_subalgoE4EjNS0_10empty_typeEbEEZZNS1_14partition_implILS8_4ELb0ES6_15HIP_vector_typeIjLj2EENS0_17counting_iteratorIjlEEPS9_SG_NS0_5tupleIJPjSI_NS0_16reverse_iteratorISI_EEEEENSH_IJSG_SG_SG_EEES9_SI_JZNS1_25segmented_radix_sort_implINS0_14default_configELb0EPK6__halfPSP_PKlPlN2at6native12_GLOBAL__N_18offset_tEEE10hipError_tPvRmT1_PNSt15iterator_traitsIS13_E10value_typeET2_T3_PNS14_IS19_E10value_typeET4_jRbjT5_S1F_jjP12ihipStream_tbEUljE_ZNSN_ISO_Lb0ESR_SS_SU_SV_SZ_EES10_S11_S12_S13_S17_S18_S19_S1C_S1D_jS1E_jS1F_S1F_jjS1H_bEUljE0_EEES10_S11_S12_S19_S1D_S1F_T6_T7_T9_mT8_S1H_bDpT10_ENKUlT_T0_E_clISt17integral_constantIbLb0EES1U_IbLb1EEEEDaS1Q_S1R_EUlS1Q_E_NS1_11comp_targetILNS1_3genE3ELNS1_11target_archE908ELNS1_3gpuE7ELNS1_3repE0EEENS1_30default_config_static_selectorELNS0_4arch9wavefront6targetE0EEEvS13_, .Lfunc_end1795-_ZN7rocprim17ROCPRIM_400000_NS6detail17trampoline_kernelINS0_13select_configILj256ELj13ELNS0_17block_load_methodE3ELS4_3ELS4_3ELNS0_20block_scan_algorithmE0ELj4294967295EEENS1_25partition_config_selectorILNS1_17partition_subalgoE4EjNS0_10empty_typeEbEEZZNS1_14partition_implILS8_4ELb0ES6_15HIP_vector_typeIjLj2EENS0_17counting_iteratorIjlEEPS9_SG_NS0_5tupleIJPjSI_NS0_16reverse_iteratorISI_EEEEENSH_IJSG_SG_SG_EEES9_SI_JZNS1_25segmented_radix_sort_implINS0_14default_configELb0EPK6__halfPSP_PKlPlN2at6native12_GLOBAL__N_18offset_tEEE10hipError_tPvRmT1_PNSt15iterator_traitsIS13_E10value_typeET2_T3_PNS14_IS19_E10value_typeET4_jRbjT5_S1F_jjP12ihipStream_tbEUljE_ZNSN_ISO_Lb0ESR_SS_SU_SV_SZ_EES10_S11_S12_S13_S17_S18_S19_S1C_S1D_jS1E_jS1F_S1F_jjS1H_bEUljE0_EEES10_S11_S12_S19_S1D_S1F_T6_T7_T9_mT8_S1H_bDpT10_ENKUlT_T0_E_clISt17integral_constantIbLb0EES1U_IbLb1EEEEDaS1Q_S1R_EUlS1Q_E_NS1_11comp_targetILNS1_3genE3ELNS1_11target_archE908ELNS1_3gpuE7ELNS1_3repE0EEENS1_30default_config_static_selectorELNS0_4arch9wavefront6targetE0EEEvS13_
                                        ; -- End function
	.set _ZN7rocprim17ROCPRIM_400000_NS6detail17trampoline_kernelINS0_13select_configILj256ELj13ELNS0_17block_load_methodE3ELS4_3ELS4_3ELNS0_20block_scan_algorithmE0ELj4294967295EEENS1_25partition_config_selectorILNS1_17partition_subalgoE4EjNS0_10empty_typeEbEEZZNS1_14partition_implILS8_4ELb0ES6_15HIP_vector_typeIjLj2EENS0_17counting_iteratorIjlEEPS9_SG_NS0_5tupleIJPjSI_NS0_16reverse_iteratorISI_EEEEENSH_IJSG_SG_SG_EEES9_SI_JZNS1_25segmented_radix_sort_implINS0_14default_configELb0EPK6__halfPSP_PKlPlN2at6native12_GLOBAL__N_18offset_tEEE10hipError_tPvRmT1_PNSt15iterator_traitsIS13_E10value_typeET2_T3_PNS14_IS19_E10value_typeET4_jRbjT5_S1F_jjP12ihipStream_tbEUljE_ZNSN_ISO_Lb0ESR_SS_SU_SV_SZ_EES10_S11_S12_S13_S17_S18_S19_S1C_S1D_jS1E_jS1F_S1F_jjS1H_bEUljE0_EEES10_S11_S12_S19_S1D_S1F_T6_T7_T9_mT8_S1H_bDpT10_ENKUlT_T0_E_clISt17integral_constantIbLb0EES1U_IbLb1EEEEDaS1Q_S1R_EUlS1Q_E_NS1_11comp_targetILNS1_3genE3ELNS1_11target_archE908ELNS1_3gpuE7ELNS1_3repE0EEENS1_30default_config_static_selectorELNS0_4arch9wavefront6targetE0EEEvS13_.num_vgpr, 0
	.set _ZN7rocprim17ROCPRIM_400000_NS6detail17trampoline_kernelINS0_13select_configILj256ELj13ELNS0_17block_load_methodE3ELS4_3ELS4_3ELNS0_20block_scan_algorithmE0ELj4294967295EEENS1_25partition_config_selectorILNS1_17partition_subalgoE4EjNS0_10empty_typeEbEEZZNS1_14partition_implILS8_4ELb0ES6_15HIP_vector_typeIjLj2EENS0_17counting_iteratorIjlEEPS9_SG_NS0_5tupleIJPjSI_NS0_16reverse_iteratorISI_EEEEENSH_IJSG_SG_SG_EEES9_SI_JZNS1_25segmented_radix_sort_implINS0_14default_configELb0EPK6__halfPSP_PKlPlN2at6native12_GLOBAL__N_18offset_tEEE10hipError_tPvRmT1_PNSt15iterator_traitsIS13_E10value_typeET2_T3_PNS14_IS19_E10value_typeET4_jRbjT5_S1F_jjP12ihipStream_tbEUljE_ZNSN_ISO_Lb0ESR_SS_SU_SV_SZ_EES10_S11_S12_S13_S17_S18_S19_S1C_S1D_jS1E_jS1F_S1F_jjS1H_bEUljE0_EEES10_S11_S12_S19_S1D_S1F_T6_T7_T9_mT8_S1H_bDpT10_ENKUlT_T0_E_clISt17integral_constantIbLb0EES1U_IbLb1EEEEDaS1Q_S1R_EUlS1Q_E_NS1_11comp_targetILNS1_3genE3ELNS1_11target_archE908ELNS1_3gpuE7ELNS1_3repE0EEENS1_30default_config_static_selectorELNS0_4arch9wavefront6targetE0EEEvS13_.num_agpr, 0
	.set _ZN7rocprim17ROCPRIM_400000_NS6detail17trampoline_kernelINS0_13select_configILj256ELj13ELNS0_17block_load_methodE3ELS4_3ELS4_3ELNS0_20block_scan_algorithmE0ELj4294967295EEENS1_25partition_config_selectorILNS1_17partition_subalgoE4EjNS0_10empty_typeEbEEZZNS1_14partition_implILS8_4ELb0ES6_15HIP_vector_typeIjLj2EENS0_17counting_iteratorIjlEEPS9_SG_NS0_5tupleIJPjSI_NS0_16reverse_iteratorISI_EEEEENSH_IJSG_SG_SG_EEES9_SI_JZNS1_25segmented_radix_sort_implINS0_14default_configELb0EPK6__halfPSP_PKlPlN2at6native12_GLOBAL__N_18offset_tEEE10hipError_tPvRmT1_PNSt15iterator_traitsIS13_E10value_typeET2_T3_PNS14_IS19_E10value_typeET4_jRbjT5_S1F_jjP12ihipStream_tbEUljE_ZNSN_ISO_Lb0ESR_SS_SU_SV_SZ_EES10_S11_S12_S13_S17_S18_S19_S1C_S1D_jS1E_jS1F_S1F_jjS1H_bEUljE0_EEES10_S11_S12_S19_S1D_S1F_T6_T7_T9_mT8_S1H_bDpT10_ENKUlT_T0_E_clISt17integral_constantIbLb0EES1U_IbLb1EEEEDaS1Q_S1R_EUlS1Q_E_NS1_11comp_targetILNS1_3genE3ELNS1_11target_archE908ELNS1_3gpuE7ELNS1_3repE0EEENS1_30default_config_static_selectorELNS0_4arch9wavefront6targetE0EEEvS13_.numbered_sgpr, 0
	.set _ZN7rocprim17ROCPRIM_400000_NS6detail17trampoline_kernelINS0_13select_configILj256ELj13ELNS0_17block_load_methodE3ELS4_3ELS4_3ELNS0_20block_scan_algorithmE0ELj4294967295EEENS1_25partition_config_selectorILNS1_17partition_subalgoE4EjNS0_10empty_typeEbEEZZNS1_14partition_implILS8_4ELb0ES6_15HIP_vector_typeIjLj2EENS0_17counting_iteratorIjlEEPS9_SG_NS0_5tupleIJPjSI_NS0_16reverse_iteratorISI_EEEEENSH_IJSG_SG_SG_EEES9_SI_JZNS1_25segmented_radix_sort_implINS0_14default_configELb0EPK6__halfPSP_PKlPlN2at6native12_GLOBAL__N_18offset_tEEE10hipError_tPvRmT1_PNSt15iterator_traitsIS13_E10value_typeET2_T3_PNS14_IS19_E10value_typeET4_jRbjT5_S1F_jjP12ihipStream_tbEUljE_ZNSN_ISO_Lb0ESR_SS_SU_SV_SZ_EES10_S11_S12_S13_S17_S18_S19_S1C_S1D_jS1E_jS1F_S1F_jjS1H_bEUljE0_EEES10_S11_S12_S19_S1D_S1F_T6_T7_T9_mT8_S1H_bDpT10_ENKUlT_T0_E_clISt17integral_constantIbLb0EES1U_IbLb1EEEEDaS1Q_S1R_EUlS1Q_E_NS1_11comp_targetILNS1_3genE3ELNS1_11target_archE908ELNS1_3gpuE7ELNS1_3repE0EEENS1_30default_config_static_selectorELNS0_4arch9wavefront6targetE0EEEvS13_.num_named_barrier, 0
	.set _ZN7rocprim17ROCPRIM_400000_NS6detail17trampoline_kernelINS0_13select_configILj256ELj13ELNS0_17block_load_methodE3ELS4_3ELS4_3ELNS0_20block_scan_algorithmE0ELj4294967295EEENS1_25partition_config_selectorILNS1_17partition_subalgoE4EjNS0_10empty_typeEbEEZZNS1_14partition_implILS8_4ELb0ES6_15HIP_vector_typeIjLj2EENS0_17counting_iteratorIjlEEPS9_SG_NS0_5tupleIJPjSI_NS0_16reverse_iteratorISI_EEEEENSH_IJSG_SG_SG_EEES9_SI_JZNS1_25segmented_radix_sort_implINS0_14default_configELb0EPK6__halfPSP_PKlPlN2at6native12_GLOBAL__N_18offset_tEEE10hipError_tPvRmT1_PNSt15iterator_traitsIS13_E10value_typeET2_T3_PNS14_IS19_E10value_typeET4_jRbjT5_S1F_jjP12ihipStream_tbEUljE_ZNSN_ISO_Lb0ESR_SS_SU_SV_SZ_EES10_S11_S12_S13_S17_S18_S19_S1C_S1D_jS1E_jS1F_S1F_jjS1H_bEUljE0_EEES10_S11_S12_S19_S1D_S1F_T6_T7_T9_mT8_S1H_bDpT10_ENKUlT_T0_E_clISt17integral_constantIbLb0EES1U_IbLb1EEEEDaS1Q_S1R_EUlS1Q_E_NS1_11comp_targetILNS1_3genE3ELNS1_11target_archE908ELNS1_3gpuE7ELNS1_3repE0EEENS1_30default_config_static_selectorELNS0_4arch9wavefront6targetE0EEEvS13_.private_seg_size, 0
	.set _ZN7rocprim17ROCPRIM_400000_NS6detail17trampoline_kernelINS0_13select_configILj256ELj13ELNS0_17block_load_methodE3ELS4_3ELS4_3ELNS0_20block_scan_algorithmE0ELj4294967295EEENS1_25partition_config_selectorILNS1_17partition_subalgoE4EjNS0_10empty_typeEbEEZZNS1_14partition_implILS8_4ELb0ES6_15HIP_vector_typeIjLj2EENS0_17counting_iteratorIjlEEPS9_SG_NS0_5tupleIJPjSI_NS0_16reverse_iteratorISI_EEEEENSH_IJSG_SG_SG_EEES9_SI_JZNS1_25segmented_radix_sort_implINS0_14default_configELb0EPK6__halfPSP_PKlPlN2at6native12_GLOBAL__N_18offset_tEEE10hipError_tPvRmT1_PNSt15iterator_traitsIS13_E10value_typeET2_T3_PNS14_IS19_E10value_typeET4_jRbjT5_S1F_jjP12ihipStream_tbEUljE_ZNSN_ISO_Lb0ESR_SS_SU_SV_SZ_EES10_S11_S12_S13_S17_S18_S19_S1C_S1D_jS1E_jS1F_S1F_jjS1H_bEUljE0_EEES10_S11_S12_S19_S1D_S1F_T6_T7_T9_mT8_S1H_bDpT10_ENKUlT_T0_E_clISt17integral_constantIbLb0EES1U_IbLb1EEEEDaS1Q_S1R_EUlS1Q_E_NS1_11comp_targetILNS1_3genE3ELNS1_11target_archE908ELNS1_3gpuE7ELNS1_3repE0EEENS1_30default_config_static_selectorELNS0_4arch9wavefront6targetE0EEEvS13_.uses_vcc, 0
	.set _ZN7rocprim17ROCPRIM_400000_NS6detail17trampoline_kernelINS0_13select_configILj256ELj13ELNS0_17block_load_methodE3ELS4_3ELS4_3ELNS0_20block_scan_algorithmE0ELj4294967295EEENS1_25partition_config_selectorILNS1_17partition_subalgoE4EjNS0_10empty_typeEbEEZZNS1_14partition_implILS8_4ELb0ES6_15HIP_vector_typeIjLj2EENS0_17counting_iteratorIjlEEPS9_SG_NS0_5tupleIJPjSI_NS0_16reverse_iteratorISI_EEEEENSH_IJSG_SG_SG_EEES9_SI_JZNS1_25segmented_radix_sort_implINS0_14default_configELb0EPK6__halfPSP_PKlPlN2at6native12_GLOBAL__N_18offset_tEEE10hipError_tPvRmT1_PNSt15iterator_traitsIS13_E10value_typeET2_T3_PNS14_IS19_E10value_typeET4_jRbjT5_S1F_jjP12ihipStream_tbEUljE_ZNSN_ISO_Lb0ESR_SS_SU_SV_SZ_EES10_S11_S12_S13_S17_S18_S19_S1C_S1D_jS1E_jS1F_S1F_jjS1H_bEUljE0_EEES10_S11_S12_S19_S1D_S1F_T6_T7_T9_mT8_S1H_bDpT10_ENKUlT_T0_E_clISt17integral_constantIbLb0EES1U_IbLb1EEEEDaS1Q_S1R_EUlS1Q_E_NS1_11comp_targetILNS1_3genE3ELNS1_11target_archE908ELNS1_3gpuE7ELNS1_3repE0EEENS1_30default_config_static_selectorELNS0_4arch9wavefront6targetE0EEEvS13_.uses_flat_scratch, 0
	.set _ZN7rocprim17ROCPRIM_400000_NS6detail17trampoline_kernelINS0_13select_configILj256ELj13ELNS0_17block_load_methodE3ELS4_3ELS4_3ELNS0_20block_scan_algorithmE0ELj4294967295EEENS1_25partition_config_selectorILNS1_17partition_subalgoE4EjNS0_10empty_typeEbEEZZNS1_14partition_implILS8_4ELb0ES6_15HIP_vector_typeIjLj2EENS0_17counting_iteratorIjlEEPS9_SG_NS0_5tupleIJPjSI_NS0_16reverse_iteratorISI_EEEEENSH_IJSG_SG_SG_EEES9_SI_JZNS1_25segmented_radix_sort_implINS0_14default_configELb0EPK6__halfPSP_PKlPlN2at6native12_GLOBAL__N_18offset_tEEE10hipError_tPvRmT1_PNSt15iterator_traitsIS13_E10value_typeET2_T3_PNS14_IS19_E10value_typeET4_jRbjT5_S1F_jjP12ihipStream_tbEUljE_ZNSN_ISO_Lb0ESR_SS_SU_SV_SZ_EES10_S11_S12_S13_S17_S18_S19_S1C_S1D_jS1E_jS1F_S1F_jjS1H_bEUljE0_EEES10_S11_S12_S19_S1D_S1F_T6_T7_T9_mT8_S1H_bDpT10_ENKUlT_T0_E_clISt17integral_constantIbLb0EES1U_IbLb1EEEEDaS1Q_S1R_EUlS1Q_E_NS1_11comp_targetILNS1_3genE3ELNS1_11target_archE908ELNS1_3gpuE7ELNS1_3repE0EEENS1_30default_config_static_selectorELNS0_4arch9wavefront6targetE0EEEvS13_.has_dyn_sized_stack, 0
	.set _ZN7rocprim17ROCPRIM_400000_NS6detail17trampoline_kernelINS0_13select_configILj256ELj13ELNS0_17block_load_methodE3ELS4_3ELS4_3ELNS0_20block_scan_algorithmE0ELj4294967295EEENS1_25partition_config_selectorILNS1_17partition_subalgoE4EjNS0_10empty_typeEbEEZZNS1_14partition_implILS8_4ELb0ES6_15HIP_vector_typeIjLj2EENS0_17counting_iteratorIjlEEPS9_SG_NS0_5tupleIJPjSI_NS0_16reverse_iteratorISI_EEEEENSH_IJSG_SG_SG_EEES9_SI_JZNS1_25segmented_radix_sort_implINS0_14default_configELb0EPK6__halfPSP_PKlPlN2at6native12_GLOBAL__N_18offset_tEEE10hipError_tPvRmT1_PNSt15iterator_traitsIS13_E10value_typeET2_T3_PNS14_IS19_E10value_typeET4_jRbjT5_S1F_jjP12ihipStream_tbEUljE_ZNSN_ISO_Lb0ESR_SS_SU_SV_SZ_EES10_S11_S12_S13_S17_S18_S19_S1C_S1D_jS1E_jS1F_S1F_jjS1H_bEUljE0_EEES10_S11_S12_S19_S1D_S1F_T6_T7_T9_mT8_S1H_bDpT10_ENKUlT_T0_E_clISt17integral_constantIbLb0EES1U_IbLb1EEEEDaS1Q_S1R_EUlS1Q_E_NS1_11comp_targetILNS1_3genE3ELNS1_11target_archE908ELNS1_3gpuE7ELNS1_3repE0EEENS1_30default_config_static_selectorELNS0_4arch9wavefront6targetE0EEEvS13_.has_recursion, 0
	.set _ZN7rocprim17ROCPRIM_400000_NS6detail17trampoline_kernelINS0_13select_configILj256ELj13ELNS0_17block_load_methodE3ELS4_3ELS4_3ELNS0_20block_scan_algorithmE0ELj4294967295EEENS1_25partition_config_selectorILNS1_17partition_subalgoE4EjNS0_10empty_typeEbEEZZNS1_14partition_implILS8_4ELb0ES6_15HIP_vector_typeIjLj2EENS0_17counting_iteratorIjlEEPS9_SG_NS0_5tupleIJPjSI_NS0_16reverse_iteratorISI_EEEEENSH_IJSG_SG_SG_EEES9_SI_JZNS1_25segmented_radix_sort_implINS0_14default_configELb0EPK6__halfPSP_PKlPlN2at6native12_GLOBAL__N_18offset_tEEE10hipError_tPvRmT1_PNSt15iterator_traitsIS13_E10value_typeET2_T3_PNS14_IS19_E10value_typeET4_jRbjT5_S1F_jjP12ihipStream_tbEUljE_ZNSN_ISO_Lb0ESR_SS_SU_SV_SZ_EES10_S11_S12_S13_S17_S18_S19_S1C_S1D_jS1E_jS1F_S1F_jjS1H_bEUljE0_EEES10_S11_S12_S19_S1D_S1F_T6_T7_T9_mT8_S1H_bDpT10_ENKUlT_T0_E_clISt17integral_constantIbLb0EES1U_IbLb1EEEEDaS1Q_S1R_EUlS1Q_E_NS1_11comp_targetILNS1_3genE3ELNS1_11target_archE908ELNS1_3gpuE7ELNS1_3repE0EEENS1_30default_config_static_selectorELNS0_4arch9wavefront6targetE0EEEvS13_.has_indirect_call, 0
	.section	.AMDGPU.csdata,"",@progbits
; Kernel info:
; codeLenInByte = 0
; TotalNumSgprs: 0
; NumVgprs: 0
; ScratchSize: 0
; MemoryBound: 0
; FloatMode: 240
; IeeeMode: 1
; LDSByteSize: 0 bytes/workgroup (compile time only)
; SGPRBlocks: 0
; VGPRBlocks: 0
; NumSGPRsForWavesPerEU: 1
; NumVGPRsForWavesPerEU: 1
; Occupancy: 16
; WaveLimiterHint : 0
; COMPUTE_PGM_RSRC2:SCRATCH_EN: 0
; COMPUTE_PGM_RSRC2:USER_SGPR: 6
; COMPUTE_PGM_RSRC2:TRAP_HANDLER: 0
; COMPUTE_PGM_RSRC2:TGID_X_EN: 1
; COMPUTE_PGM_RSRC2:TGID_Y_EN: 0
; COMPUTE_PGM_RSRC2:TGID_Z_EN: 0
; COMPUTE_PGM_RSRC2:TIDIG_COMP_CNT: 0
	.section	.text._ZN7rocprim17ROCPRIM_400000_NS6detail17trampoline_kernelINS0_13select_configILj256ELj13ELNS0_17block_load_methodE3ELS4_3ELS4_3ELNS0_20block_scan_algorithmE0ELj4294967295EEENS1_25partition_config_selectorILNS1_17partition_subalgoE4EjNS0_10empty_typeEbEEZZNS1_14partition_implILS8_4ELb0ES6_15HIP_vector_typeIjLj2EENS0_17counting_iteratorIjlEEPS9_SG_NS0_5tupleIJPjSI_NS0_16reverse_iteratorISI_EEEEENSH_IJSG_SG_SG_EEES9_SI_JZNS1_25segmented_radix_sort_implINS0_14default_configELb0EPK6__halfPSP_PKlPlN2at6native12_GLOBAL__N_18offset_tEEE10hipError_tPvRmT1_PNSt15iterator_traitsIS13_E10value_typeET2_T3_PNS14_IS19_E10value_typeET4_jRbjT5_S1F_jjP12ihipStream_tbEUljE_ZNSN_ISO_Lb0ESR_SS_SU_SV_SZ_EES10_S11_S12_S13_S17_S18_S19_S1C_S1D_jS1E_jS1F_S1F_jjS1H_bEUljE0_EEES10_S11_S12_S19_S1D_S1F_T6_T7_T9_mT8_S1H_bDpT10_ENKUlT_T0_E_clISt17integral_constantIbLb0EES1U_IbLb1EEEEDaS1Q_S1R_EUlS1Q_E_NS1_11comp_targetILNS1_3genE2ELNS1_11target_archE906ELNS1_3gpuE6ELNS1_3repE0EEENS1_30default_config_static_selectorELNS0_4arch9wavefront6targetE0EEEvS13_,"axG",@progbits,_ZN7rocprim17ROCPRIM_400000_NS6detail17trampoline_kernelINS0_13select_configILj256ELj13ELNS0_17block_load_methodE3ELS4_3ELS4_3ELNS0_20block_scan_algorithmE0ELj4294967295EEENS1_25partition_config_selectorILNS1_17partition_subalgoE4EjNS0_10empty_typeEbEEZZNS1_14partition_implILS8_4ELb0ES6_15HIP_vector_typeIjLj2EENS0_17counting_iteratorIjlEEPS9_SG_NS0_5tupleIJPjSI_NS0_16reverse_iteratorISI_EEEEENSH_IJSG_SG_SG_EEES9_SI_JZNS1_25segmented_radix_sort_implINS0_14default_configELb0EPK6__halfPSP_PKlPlN2at6native12_GLOBAL__N_18offset_tEEE10hipError_tPvRmT1_PNSt15iterator_traitsIS13_E10value_typeET2_T3_PNS14_IS19_E10value_typeET4_jRbjT5_S1F_jjP12ihipStream_tbEUljE_ZNSN_ISO_Lb0ESR_SS_SU_SV_SZ_EES10_S11_S12_S13_S17_S18_S19_S1C_S1D_jS1E_jS1F_S1F_jjS1H_bEUljE0_EEES10_S11_S12_S19_S1D_S1F_T6_T7_T9_mT8_S1H_bDpT10_ENKUlT_T0_E_clISt17integral_constantIbLb0EES1U_IbLb1EEEEDaS1Q_S1R_EUlS1Q_E_NS1_11comp_targetILNS1_3genE2ELNS1_11target_archE906ELNS1_3gpuE6ELNS1_3repE0EEENS1_30default_config_static_selectorELNS0_4arch9wavefront6targetE0EEEvS13_,comdat
	.globl	_ZN7rocprim17ROCPRIM_400000_NS6detail17trampoline_kernelINS0_13select_configILj256ELj13ELNS0_17block_load_methodE3ELS4_3ELS4_3ELNS0_20block_scan_algorithmE0ELj4294967295EEENS1_25partition_config_selectorILNS1_17partition_subalgoE4EjNS0_10empty_typeEbEEZZNS1_14partition_implILS8_4ELb0ES6_15HIP_vector_typeIjLj2EENS0_17counting_iteratorIjlEEPS9_SG_NS0_5tupleIJPjSI_NS0_16reverse_iteratorISI_EEEEENSH_IJSG_SG_SG_EEES9_SI_JZNS1_25segmented_radix_sort_implINS0_14default_configELb0EPK6__halfPSP_PKlPlN2at6native12_GLOBAL__N_18offset_tEEE10hipError_tPvRmT1_PNSt15iterator_traitsIS13_E10value_typeET2_T3_PNS14_IS19_E10value_typeET4_jRbjT5_S1F_jjP12ihipStream_tbEUljE_ZNSN_ISO_Lb0ESR_SS_SU_SV_SZ_EES10_S11_S12_S13_S17_S18_S19_S1C_S1D_jS1E_jS1F_S1F_jjS1H_bEUljE0_EEES10_S11_S12_S19_S1D_S1F_T6_T7_T9_mT8_S1H_bDpT10_ENKUlT_T0_E_clISt17integral_constantIbLb0EES1U_IbLb1EEEEDaS1Q_S1R_EUlS1Q_E_NS1_11comp_targetILNS1_3genE2ELNS1_11target_archE906ELNS1_3gpuE6ELNS1_3repE0EEENS1_30default_config_static_selectorELNS0_4arch9wavefront6targetE0EEEvS13_ ; -- Begin function _ZN7rocprim17ROCPRIM_400000_NS6detail17trampoline_kernelINS0_13select_configILj256ELj13ELNS0_17block_load_methodE3ELS4_3ELS4_3ELNS0_20block_scan_algorithmE0ELj4294967295EEENS1_25partition_config_selectorILNS1_17partition_subalgoE4EjNS0_10empty_typeEbEEZZNS1_14partition_implILS8_4ELb0ES6_15HIP_vector_typeIjLj2EENS0_17counting_iteratorIjlEEPS9_SG_NS0_5tupleIJPjSI_NS0_16reverse_iteratorISI_EEEEENSH_IJSG_SG_SG_EEES9_SI_JZNS1_25segmented_radix_sort_implINS0_14default_configELb0EPK6__halfPSP_PKlPlN2at6native12_GLOBAL__N_18offset_tEEE10hipError_tPvRmT1_PNSt15iterator_traitsIS13_E10value_typeET2_T3_PNS14_IS19_E10value_typeET4_jRbjT5_S1F_jjP12ihipStream_tbEUljE_ZNSN_ISO_Lb0ESR_SS_SU_SV_SZ_EES10_S11_S12_S13_S17_S18_S19_S1C_S1D_jS1E_jS1F_S1F_jjS1H_bEUljE0_EEES10_S11_S12_S19_S1D_S1F_T6_T7_T9_mT8_S1H_bDpT10_ENKUlT_T0_E_clISt17integral_constantIbLb0EES1U_IbLb1EEEEDaS1Q_S1R_EUlS1Q_E_NS1_11comp_targetILNS1_3genE2ELNS1_11target_archE906ELNS1_3gpuE6ELNS1_3repE0EEENS1_30default_config_static_selectorELNS0_4arch9wavefront6targetE0EEEvS13_
	.p2align	8
	.type	_ZN7rocprim17ROCPRIM_400000_NS6detail17trampoline_kernelINS0_13select_configILj256ELj13ELNS0_17block_load_methodE3ELS4_3ELS4_3ELNS0_20block_scan_algorithmE0ELj4294967295EEENS1_25partition_config_selectorILNS1_17partition_subalgoE4EjNS0_10empty_typeEbEEZZNS1_14partition_implILS8_4ELb0ES6_15HIP_vector_typeIjLj2EENS0_17counting_iteratorIjlEEPS9_SG_NS0_5tupleIJPjSI_NS0_16reverse_iteratorISI_EEEEENSH_IJSG_SG_SG_EEES9_SI_JZNS1_25segmented_radix_sort_implINS0_14default_configELb0EPK6__halfPSP_PKlPlN2at6native12_GLOBAL__N_18offset_tEEE10hipError_tPvRmT1_PNSt15iterator_traitsIS13_E10value_typeET2_T3_PNS14_IS19_E10value_typeET4_jRbjT5_S1F_jjP12ihipStream_tbEUljE_ZNSN_ISO_Lb0ESR_SS_SU_SV_SZ_EES10_S11_S12_S13_S17_S18_S19_S1C_S1D_jS1E_jS1F_S1F_jjS1H_bEUljE0_EEES10_S11_S12_S19_S1D_S1F_T6_T7_T9_mT8_S1H_bDpT10_ENKUlT_T0_E_clISt17integral_constantIbLb0EES1U_IbLb1EEEEDaS1Q_S1R_EUlS1Q_E_NS1_11comp_targetILNS1_3genE2ELNS1_11target_archE906ELNS1_3gpuE6ELNS1_3repE0EEENS1_30default_config_static_selectorELNS0_4arch9wavefront6targetE0EEEvS13_,@function
_ZN7rocprim17ROCPRIM_400000_NS6detail17trampoline_kernelINS0_13select_configILj256ELj13ELNS0_17block_load_methodE3ELS4_3ELS4_3ELNS0_20block_scan_algorithmE0ELj4294967295EEENS1_25partition_config_selectorILNS1_17partition_subalgoE4EjNS0_10empty_typeEbEEZZNS1_14partition_implILS8_4ELb0ES6_15HIP_vector_typeIjLj2EENS0_17counting_iteratorIjlEEPS9_SG_NS0_5tupleIJPjSI_NS0_16reverse_iteratorISI_EEEEENSH_IJSG_SG_SG_EEES9_SI_JZNS1_25segmented_radix_sort_implINS0_14default_configELb0EPK6__halfPSP_PKlPlN2at6native12_GLOBAL__N_18offset_tEEE10hipError_tPvRmT1_PNSt15iterator_traitsIS13_E10value_typeET2_T3_PNS14_IS19_E10value_typeET4_jRbjT5_S1F_jjP12ihipStream_tbEUljE_ZNSN_ISO_Lb0ESR_SS_SU_SV_SZ_EES10_S11_S12_S13_S17_S18_S19_S1C_S1D_jS1E_jS1F_S1F_jjS1H_bEUljE0_EEES10_S11_S12_S19_S1D_S1F_T6_T7_T9_mT8_S1H_bDpT10_ENKUlT_T0_E_clISt17integral_constantIbLb0EES1U_IbLb1EEEEDaS1Q_S1R_EUlS1Q_E_NS1_11comp_targetILNS1_3genE2ELNS1_11target_archE906ELNS1_3gpuE6ELNS1_3repE0EEENS1_30default_config_static_selectorELNS0_4arch9wavefront6targetE0EEEvS13_: ; @_ZN7rocprim17ROCPRIM_400000_NS6detail17trampoline_kernelINS0_13select_configILj256ELj13ELNS0_17block_load_methodE3ELS4_3ELS4_3ELNS0_20block_scan_algorithmE0ELj4294967295EEENS1_25partition_config_selectorILNS1_17partition_subalgoE4EjNS0_10empty_typeEbEEZZNS1_14partition_implILS8_4ELb0ES6_15HIP_vector_typeIjLj2EENS0_17counting_iteratorIjlEEPS9_SG_NS0_5tupleIJPjSI_NS0_16reverse_iteratorISI_EEEEENSH_IJSG_SG_SG_EEES9_SI_JZNS1_25segmented_radix_sort_implINS0_14default_configELb0EPK6__halfPSP_PKlPlN2at6native12_GLOBAL__N_18offset_tEEE10hipError_tPvRmT1_PNSt15iterator_traitsIS13_E10value_typeET2_T3_PNS14_IS19_E10value_typeET4_jRbjT5_S1F_jjP12ihipStream_tbEUljE_ZNSN_ISO_Lb0ESR_SS_SU_SV_SZ_EES10_S11_S12_S13_S17_S18_S19_S1C_S1D_jS1E_jS1F_S1F_jjS1H_bEUljE0_EEES10_S11_S12_S19_S1D_S1F_T6_T7_T9_mT8_S1H_bDpT10_ENKUlT_T0_E_clISt17integral_constantIbLb0EES1U_IbLb1EEEEDaS1Q_S1R_EUlS1Q_E_NS1_11comp_targetILNS1_3genE2ELNS1_11target_archE906ELNS1_3gpuE6ELNS1_3repE0EEENS1_30default_config_static_selectorELNS0_4arch9wavefront6targetE0EEEvS13_
; %bb.0:
	.section	.rodata,"a",@progbits
	.p2align	6, 0x0
	.amdhsa_kernel _ZN7rocprim17ROCPRIM_400000_NS6detail17trampoline_kernelINS0_13select_configILj256ELj13ELNS0_17block_load_methodE3ELS4_3ELS4_3ELNS0_20block_scan_algorithmE0ELj4294967295EEENS1_25partition_config_selectorILNS1_17partition_subalgoE4EjNS0_10empty_typeEbEEZZNS1_14partition_implILS8_4ELb0ES6_15HIP_vector_typeIjLj2EENS0_17counting_iteratorIjlEEPS9_SG_NS0_5tupleIJPjSI_NS0_16reverse_iteratorISI_EEEEENSH_IJSG_SG_SG_EEES9_SI_JZNS1_25segmented_radix_sort_implINS0_14default_configELb0EPK6__halfPSP_PKlPlN2at6native12_GLOBAL__N_18offset_tEEE10hipError_tPvRmT1_PNSt15iterator_traitsIS13_E10value_typeET2_T3_PNS14_IS19_E10value_typeET4_jRbjT5_S1F_jjP12ihipStream_tbEUljE_ZNSN_ISO_Lb0ESR_SS_SU_SV_SZ_EES10_S11_S12_S13_S17_S18_S19_S1C_S1D_jS1E_jS1F_S1F_jjS1H_bEUljE0_EEES10_S11_S12_S19_S1D_S1F_T6_T7_T9_mT8_S1H_bDpT10_ENKUlT_T0_E_clISt17integral_constantIbLb0EES1U_IbLb1EEEEDaS1Q_S1R_EUlS1Q_E_NS1_11comp_targetILNS1_3genE2ELNS1_11target_archE906ELNS1_3gpuE6ELNS1_3repE0EEENS1_30default_config_static_selectorELNS0_4arch9wavefront6targetE0EEEvS13_
		.amdhsa_group_segment_fixed_size 0
		.amdhsa_private_segment_fixed_size 0
		.amdhsa_kernarg_size 184
		.amdhsa_user_sgpr_count 6
		.amdhsa_user_sgpr_private_segment_buffer 1
		.amdhsa_user_sgpr_dispatch_ptr 0
		.amdhsa_user_sgpr_queue_ptr 0
		.amdhsa_user_sgpr_kernarg_segment_ptr 1
		.amdhsa_user_sgpr_dispatch_id 0
		.amdhsa_user_sgpr_flat_scratch_init 0
		.amdhsa_user_sgpr_private_segment_size 0
		.amdhsa_wavefront_size32 1
		.amdhsa_uses_dynamic_stack 0
		.amdhsa_system_sgpr_private_segment_wavefront_offset 0
		.amdhsa_system_sgpr_workgroup_id_x 1
		.amdhsa_system_sgpr_workgroup_id_y 0
		.amdhsa_system_sgpr_workgroup_id_z 0
		.amdhsa_system_sgpr_workgroup_info 0
		.amdhsa_system_vgpr_workitem_id 0
		.amdhsa_next_free_vgpr 1
		.amdhsa_next_free_sgpr 1
		.amdhsa_reserve_vcc 0
		.amdhsa_reserve_flat_scratch 0
		.amdhsa_float_round_mode_32 0
		.amdhsa_float_round_mode_16_64 0
		.amdhsa_float_denorm_mode_32 3
		.amdhsa_float_denorm_mode_16_64 3
		.amdhsa_dx10_clamp 1
		.amdhsa_ieee_mode 1
		.amdhsa_fp16_overflow 0
		.amdhsa_workgroup_processor_mode 1
		.amdhsa_memory_ordered 1
		.amdhsa_forward_progress 1
		.amdhsa_shared_vgpr_count 0
		.amdhsa_exception_fp_ieee_invalid_op 0
		.amdhsa_exception_fp_denorm_src 0
		.amdhsa_exception_fp_ieee_div_zero 0
		.amdhsa_exception_fp_ieee_overflow 0
		.amdhsa_exception_fp_ieee_underflow 0
		.amdhsa_exception_fp_ieee_inexact 0
		.amdhsa_exception_int_div_zero 0
	.end_amdhsa_kernel
	.section	.text._ZN7rocprim17ROCPRIM_400000_NS6detail17trampoline_kernelINS0_13select_configILj256ELj13ELNS0_17block_load_methodE3ELS4_3ELS4_3ELNS0_20block_scan_algorithmE0ELj4294967295EEENS1_25partition_config_selectorILNS1_17partition_subalgoE4EjNS0_10empty_typeEbEEZZNS1_14partition_implILS8_4ELb0ES6_15HIP_vector_typeIjLj2EENS0_17counting_iteratorIjlEEPS9_SG_NS0_5tupleIJPjSI_NS0_16reverse_iteratorISI_EEEEENSH_IJSG_SG_SG_EEES9_SI_JZNS1_25segmented_radix_sort_implINS0_14default_configELb0EPK6__halfPSP_PKlPlN2at6native12_GLOBAL__N_18offset_tEEE10hipError_tPvRmT1_PNSt15iterator_traitsIS13_E10value_typeET2_T3_PNS14_IS19_E10value_typeET4_jRbjT5_S1F_jjP12ihipStream_tbEUljE_ZNSN_ISO_Lb0ESR_SS_SU_SV_SZ_EES10_S11_S12_S13_S17_S18_S19_S1C_S1D_jS1E_jS1F_S1F_jjS1H_bEUljE0_EEES10_S11_S12_S19_S1D_S1F_T6_T7_T9_mT8_S1H_bDpT10_ENKUlT_T0_E_clISt17integral_constantIbLb0EES1U_IbLb1EEEEDaS1Q_S1R_EUlS1Q_E_NS1_11comp_targetILNS1_3genE2ELNS1_11target_archE906ELNS1_3gpuE6ELNS1_3repE0EEENS1_30default_config_static_selectorELNS0_4arch9wavefront6targetE0EEEvS13_,"axG",@progbits,_ZN7rocprim17ROCPRIM_400000_NS6detail17trampoline_kernelINS0_13select_configILj256ELj13ELNS0_17block_load_methodE3ELS4_3ELS4_3ELNS0_20block_scan_algorithmE0ELj4294967295EEENS1_25partition_config_selectorILNS1_17partition_subalgoE4EjNS0_10empty_typeEbEEZZNS1_14partition_implILS8_4ELb0ES6_15HIP_vector_typeIjLj2EENS0_17counting_iteratorIjlEEPS9_SG_NS0_5tupleIJPjSI_NS0_16reverse_iteratorISI_EEEEENSH_IJSG_SG_SG_EEES9_SI_JZNS1_25segmented_radix_sort_implINS0_14default_configELb0EPK6__halfPSP_PKlPlN2at6native12_GLOBAL__N_18offset_tEEE10hipError_tPvRmT1_PNSt15iterator_traitsIS13_E10value_typeET2_T3_PNS14_IS19_E10value_typeET4_jRbjT5_S1F_jjP12ihipStream_tbEUljE_ZNSN_ISO_Lb0ESR_SS_SU_SV_SZ_EES10_S11_S12_S13_S17_S18_S19_S1C_S1D_jS1E_jS1F_S1F_jjS1H_bEUljE0_EEES10_S11_S12_S19_S1D_S1F_T6_T7_T9_mT8_S1H_bDpT10_ENKUlT_T0_E_clISt17integral_constantIbLb0EES1U_IbLb1EEEEDaS1Q_S1R_EUlS1Q_E_NS1_11comp_targetILNS1_3genE2ELNS1_11target_archE906ELNS1_3gpuE6ELNS1_3repE0EEENS1_30default_config_static_selectorELNS0_4arch9wavefront6targetE0EEEvS13_,comdat
.Lfunc_end1796:
	.size	_ZN7rocprim17ROCPRIM_400000_NS6detail17trampoline_kernelINS0_13select_configILj256ELj13ELNS0_17block_load_methodE3ELS4_3ELS4_3ELNS0_20block_scan_algorithmE0ELj4294967295EEENS1_25partition_config_selectorILNS1_17partition_subalgoE4EjNS0_10empty_typeEbEEZZNS1_14partition_implILS8_4ELb0ES6_15HIP_vector_typeIjLj2EENS0_17counting_iteratorIjlEEPS9_SG_NS0_5tupleIJPjSI_NS0_16reverse_iteratorISI_EEEEENSH_IJSG_SG_SG_EEES9_SI_JZNS1_25segmented_radix_sort_implINS0_14default_configELb0EPK6__halfPSP_PKlPlN2at6native12_GLOBAL__N_18offset_tEEE10hipError_tPvRmT1_PNSt15iterator_traitsIS13_E10value_typeET2_T3_PNS14_IS19_E10value_typeET4_jRbjT5_S1F_jjP12ihipStream_tbEUljE_ZNSN_ISO_Lb0ESR_SS_SU_SV_SZ_EES10_S11_S12_S13_S17_S18_S19_S1C_S1D_jS1E_jS1F_S1F_jjS1H_bEUljE0_EEES10_S11_S12_S19_S1D_S1F_T6_T7_T9_mT8_S1H_bDpT10_ENKUlT_T0_E_clISt17integral_constantIbLb0EES1U_IbLb1EEEEDaS1Q_S1R_EUlS1Q_E_NS1_11comp_targetILNS1_3genE2ELNS1_11target_archE906ELNS1_3gpuE6ELNS1_3repE0EEENS1_30default_config_static_selectorELNS0_4arch9wavefront6targetE0EEEvS13_, .Lfunc_end1796-_ZN7rocprim17ROCPRIM_400000_NS6detail17trampoline_kernelINS0_13select_configILj256ELj13ELNS0_17block_load_methodE3ELS4_3ELS4_3ELNS0_20block_scan_algorithmE0ELj4294967295EEENS1_25partition_config_selectorILNS1_17partition_subalgoE4EjNS0_10empty_typeEbEEZZNS1_14partition_implILS8_4ELb0ES6_15HIP_vector_typeIjLj2EENS0_17counting_iteratorIjlEEPS9_SG_NS0_5tupleIJPjSI_NS0_16reverse_iteratorISI_EEEEENSH_IJSG_SG_SG_EEES9_SI_JZNS1_25segmented_radix_sort_implINS0_14default_configELb0EPK6__halfPSP_PKlPlN2at6native12_GLOBAL__N_18offset_tEEE10hipError_tPvRmT1_PNSt15iterator_traitsIS13_E10value_typeET2_T3_PNS14_IS19_E10value_typeET4_jRbjT5_S1F_jjP12ihipStream_tbEUljE_ZNSN_ISO_Lb0ESR_SS_SU_SV_SZ_EES10_S11_S12_S13_S17_S18_S19_S1C_S1D_jS1E_jS1F_S1F_jjS1H_bEUljE0_EEES10_S11_S12_S19_S1D_S1F_T6_T7_T9_mT8_S1H_bDpT10_ENKUlT_T0_E_clISt17integral_constantIbLb0EES1U_IbLb1EEEEDaS1Q_S1R_EUlS1Q_E_NS1_11comp_targetILNS1_3genE2ELNS1_11target_archE906ELNS1_3gpuE6ELNS1_3repE0EEENS1_30default_config_static_selectorELNS0_4arch9wavefront6targetE0EEEvS13_
                                        ; -- End function
	.set _ZN7rocprim17ROCPRIM_400000_NS6detail17trampoline_kernelINS0_13select_configILj256ELj13ELNS0_17block_load_methodE3ELS4_3ELS4_3ELNS0_20block_scan_algorithmE0ELj4294967295EEENS1_25partition_config_selectorILNS1_17partition_subalgoE4EjNS0_10empty_typeEbEEZZNS1_14partition_implILS8_4ELb0ES6_15HIP_vector_typeIjLj2EENS0_17counting_iteratorIjlEEPS9_SG_NS0_5tupleIJPjSI_NS0_16reverse_iteratorISI_EEEEENSH_IJSG_SG_SG_EEES9_SI_JZNS1_25segmented_radix_sort_implINS0_14default_configELb0EPK6__halfPSP_PKlPlN2at6native12_GLOBAL__N_18offset_tEEE10hipError_tPvRmT1_PNSt15iterator_traitsIS13_E10value_typeET2_T3_PNS14_IS19_E10value_typeET4_jRbjT5_S1F_jjP12ihipStream_tbEUljE_ZNSN_ISO_Lb0ESR_SS_SU_SV_SZ_EES10_S11_S12_S13_S17_S18_S19_S1C_S1D_jS1E_jS1F_S1F_jjS1H_bEUljE0_EEES10_S11_S12_S19_S1D_S1F_T6_T7_T9_mT8_S1H_bDpT10_ENKUlT_T0_E_clISt17integral_constantIbLb0EES1U_IbLb1EEEEDaS1Q_S1R_EUlS1Q_E_NS1_11comp_targetILNS1_3genE2ELNS1_11target_archE906ELNS1_3gpuE6ELNS1_3repE0EEENS1_30default_config_static_selectorELNS0_4arch9wavefront6targetE0EEEvS13_.num_vgpr, 0
	.set _ZN7rocprim17ROCPRIM_400000_NS6detail17trampoline_kernelINS0_13select_configILj256ELj13ELNS0_17block_load_methodE3ELS4_3ELS4_3ELNS0_20block_scan_algorithmE0ELj4294967295EEENS1_25partition_config_selectorILNS1_17partition_subalgoE4EjNS0_10empty_typeEbEEZZNS1_14partition_implILS8_4ELb0ES6_15HIP_vector_typeIjLj2EENS0_17counting_iteratorIjlEEPS9_SG_NS0_5tupleIJPjSI_NS0_16reverse_iteratorISI_EEEEENSH_IJSG_SG_SG_EEES9_SI_JZNS1_25segmented_radix_sort_implINS0_14default_configELb0EPK6__halfPSP_PKlPlN2at6native12_GLOBAL__N_18offset_tEEE10hipError_tPvRmT1_PNSt15iterator_traitsIS13_E10value_typeET2_T3_PNS14_IS19_E10value_typeET4_jRbjT5_S1F_jjP12ihipStream_tbEUljE_ZNSN_ISO_Lb0ESR_SS_SU_SV_SZ_EES10_S11_S12_S13_S17_S18_S19_S1C_S1D_jS1E_jS1F_S1F_jjS1H_bEUljE0_EEES10_S11_S12_S19_S1D_S1F_T6_T7_T9_mT8_S1H_bDpT10_ENKUlT_T0_E_clISt17integral_constantIbLb0EES1U_IbLb1EEEEDaS1Q_S1R_EUlS1Q_E_NS1_11comp_targetILNS1_3genE2ELNS1_11target_archE906ELNS1_3gpuE6ELNS1_3repE0EEENS1_30default_config_static_selectorELNS0_4arch9wavefront6targetE0EEEvS13_.num_agpr, 0
	.set _ZN7rocprim17ROCPRIM_400000_NS6detail17trampoline_kernelINS0_13select_configILj256ELj13ELNS0_17block_load_methodE3ELS4_3ELS4_3ELNS0_20block_scan_algorithmE0ELj4294967295EEENS1_25partition_config_selectorILNS1_17partition_subalgoE4EjNS0_10empty_typeEbEEZZNS1_14partition_implILS8_4ELb0ES6_15HIP_vector_typeIjLj2EENS0_17counting_iteratorIjlEEPS9_SG_NS0_5tupleIJPjSI_NS0_16reverse_iteratorISI_EEEEENSH_IJSG_SG_SG_EEES9_SI_JZNS1_25segmented_radix_sort_implINS0_14default_configELb0EPK6__halfPSP_PKlPlN2at6native12_GLOBAL__N_18offset_tEEE10hipError_tPvRmT1_PNSt15iterator_traitsIS13_E10value_typeET2_T3_PNS14_IS19_E10value_typeET4_jRbjT5_S1F_jjP12ihipStream_tbEUljE_ZNSN_ISO_Lb0ESR_SS_SU_SV_SZ_EES10_S11_S12_S13_S17_S18_S19_S1C_S1D_jS1E_jS1F_S1F_jjS1H_bEUljE0_EEES10_S11_S12_S19_S1D_S1F_T6_T7_T9_mT8_S1H_bDpT10_ENKUlT_T0_E_clISt17integral_constantIbLb0EES1U_IbLb1EEEEDaS1Q_S1R_EUlS1Q_E_NS1_11comp_targetILNS1_3genE2ELNS1_11target_archE906ELNS1_3gpuE6ELNS1_3repE0EEENS1_30default_config_static_selectorELNS0_4arch9wavefront6targetE0EEEvS13_.numbered_sgpr, 0
	.set _ZN7rocprim17ROCPRIM_400000_NS6detail17trampoline_kernelINS0_13select_configILj256ELj13ELNS0_17block_load_methodE3ELS4_3ELS4_3ELNS0_20block_scan_algorithmE0ELj4294967295EEENS1_25partition_config_selectorILNS1_17partition_subalgoE4EjNS0_10empty_typeEbEEZZNS1_14partition_implILS8_4ELb0ES6_15HIP_vector_typeIjLj2EENS0_17counting_iteratorIjlEEPS9_SG_NS0_5tupleIJPjSI_NS0_16reverse_iteratorISI_EEEEENSH_IJSG_SG_SG_EEES9_SI_JZNS1_25segmented_radix_sort_implINS0_14default_configELb0EPK6__halfPSP_PKlPlN2at6native12_GLOBAL__N_18offset_tEEE10hipError_tPvRmT1_PNSt15iterator_traitsIS13_E10value_typeET2_T3_PNS14_IS19_E10value_typeET4_jRbjT5_S1F_jjP12ihipStream_tbEUljE_ZNSN_ISO_Lb0ESR_SS_SU_SV_SZ_EES10_S11_S12_S13_S17_S18_S19_S1C_S1D_jS1E_jS1F_S1F_jjS1H_bEUljE0_EEES10_S11_S12_S19_S1D_S1F_T6_T7_T9_mT8_S1H_bDpT10_ENKUlT_T0_E_clISt17integral_constantIbLb0EES1U_IbLb1EEEEDaS1Q_S1R_EUlS1Q_E_NS1_11comp_targetILNS1_3genE2ELNS1_11target_archE906ELNS1_3gpuE6ELNS1_3repE0EEENS1_30default_config_static_selectorELNS0_4arch9wavefront6targetE0EEEvS13_.num_named_barrier, 0
	.set _ZN7rocprim17ROCPRIM_400000_NS6detail17trampoline_kernelINS0_13select_configILj256ELj13ELNS0_17block_load_methodE3ELS4_3ELS4_3ELNS0_20block_scan_algorithmE0ELj4294967295EEENS1_25partition_config_selectorILNS1_17partition_subalgoE4EjNS0_10empty_typeEbEEZZNS1_14partition_implILS8_4ELb0ES6_15HIP_vector_typeIjLj2EENS0_17counting_iteratorIjlEEPS9_SG_NS0_5tupleIJPjSI_NS0_16reverse_iteratorISI_EEEEENSH_IJSG_SG_SG_EEES9_SI_JZNS1_25segmented_radix_sort_implINS0_14default_configELb0EPK6__halfPSP_PKlPlN2at6native12_GLOBAL__N_18offset_tEEE10hipError_tPvRmT1_PNSt15iterator_traitsIS13_E10value_typeET2_T3_PNS14_IS19_E10value_typeET4_jRbjT5_S1F_jjP12ihipStream_tbEUljE_ZNSN_ISO_Lb0ESR_SS_SU_SV_SZ_EES10_S11_S12_S13_S17_S18_S19_S1C_S1D_jS1E_jS1F_S1F_jjS1H_bEUljE0_EEES10_S11_S12_S19_S1D_S1F_T6_T7_T9_mT8_S1H_bDpT10_ENKUlT_T0_E_clISt17integral_constantIbLb0EES1U_IbLb1EEEEDaS1Q_S1R_EUlS1Q_E_NS1_11comp_targetILNS1_3genE2ELNS1_11target_archE906ELNS1_3gpuE6ELNS1_3repE0EEENS1_30default_config_static_selectorELNS0_4arch9wavefront6targetE0EEEvS13_.private_seg_size, 0
	.set _ZN7rocprim17ROCPRIM_400000_NS6detail17trampoline_kernelINS0_13select_configILj256ELj13ELNS0_17block_load_methodE3ELS4_3ELS4_3ELNS0_20block_scan_algorithmE0ELj4294967295EEENS1_25partition_config_selectorILNS1_17partition_subalgoE4EjNS0_10empty_typeEbEEZZNS1_14partition_implILS8_4ELb0ES6_15HIP_vector_typeIjLj2EENS0_17counting_iteratorIjlEEPS9_SG_NS0_5tupleIJPjSI_NS0_16reverse_iteratorISI_EEEEENSH_IJSG_SG_SG_EEES9_SI_JZNS1_25segmented_radix_sort_implINS0_14default_configELb0EPK6__halfPSP_PKlPlN2at6native12_GLOBAL__N_18offset_tEEE10hipError_tPvRmT1_PNSt15iterator_traitsIS13_E10value_typeET2_T3_PNS14_IS19_E10value_typeET4_jRbjT5_S1F_jjP12ihipStream_tbEUljE_ZNSN_ISO_Lb0ESR_SS_SU_SV_SZ_EES10_S11_S12_S13_S17_S18_S19_S1C_S1D_jS1E_jS1F_S1F_jjS1H_bEUljE0_EEES10_S11_S12_S19_S1D_S1F_T6_T7_T9_mT8_S1H_bDpT10_ENKUlT_T0_E_clISt17integral_constantIbLb0EES1U_IbLb1EEEEDaS1Q_S1R_EUlS1Q_E_NS1_11comp_targetILNS1_3genE2ELNS1_11target_archE906ELNS1_3gpuE6ELNS1_3repE0EEENS1_30default_config_static_selectorELNS0_4arch9wavefront6targetE0EEEvS13_.uses_vcc, 0
	.set _ZN7rocprim17ROCPRIM_400000_NS6detail17trampoline_kernelINS0_13select_configILj256ELj13ELNS0_17block_load_methodE3ELS4_3ELS4_3ELNS0_20block_scan_algorithmE0ELj4294967295EEENS1_25partition_config_selectorILNS1_17partition_subalgoE4EjNS0_10empty_typeEbEEZZNS1_14partition_implILS8_4ELb0ES6_15HIP_vector_typeIjLj2EENS0_17counting_iteratorIjlEEPS9_SG_NS0_5tupleIJPjSI_NS0_16reverse_iteratorISI_EEEEENSH_IJSG_SG_SG_EEES9_SI_JZNS1_25segmented_radix_sort_implINS0_14default_configELb0EPK6__halfPSP_PKlPlN2at6native12_GLOBAL__N_18offset_tEEE10hipError_tPvRmT1_PNSt15iterator_traitsIS13_E10value_typeET2_T3_PNS14_IS19_E10value_typeET4_jRbjT5_S1F_jjP12ihipStream_tbEUljE_ZNSN_ISO_Lb0ESR_SS_SU_SV_SZ_EES10_S11_S12_S13_S17_S18_S19_S1C_S1D_jS1E_jS1F_S1F_jjS1H_bEUljE0_EEES10_S11_S12_S19_S1D_S1F_T6_T7_T9_mT8_S1H_bDpT10_ENKUlT_T0_E_clISt17integral_constantIbLb0EES1U_IbLb1EEEEDaS1Q_S1R_EUlS1Q_E_NS1_11comp_targetILNS1_3genE2ELNS1_11target_archE906ELNS1_3gpuE6ELNS1_3repE0EEENS1_30default_config_static_selectorELNS0_4arch9wavefront6targetE0EEEvS13_.uses_flat_scratch, 0
	.set _ZN7rocprim17ROCPRIM_400000_NS6detail17trampoline_kernelINS0_13select_configILj256ELj13ELNS0_17block_load_methodE3ELS4_3ELS4_3ELNS0_20block_scan_algorithmE0ELj4294967295EEENS1_25partition_config_selectorILNS1_17partition_subalgoE4EjNS0_10empty_typeEbEEZZNS1_14partition_implILS8_4ELb0ES6_15HIP_vector_typeIjLj2EENS0_17counting_iteratorIjlEEPS9_SG_NS0_5tupleIJPjSI_NS0_16reverse_iteratorISI_EEEEENSH_IJSG_SG_SG_EEES9_SI_JZNS1_25segmented_radix_sort_implINS0_14default_configELb0EPK6__halfPSP_PKlPlN2at6native12_GLOBAL__N_18offset_tEEE10hipError_tPvRmT1_PNSt15iterator_traitsIS13_E10value_typeET2_T3_PNS14_IS19_E10value_typeET4_jRbjT5_S1F_jjP12ihipStream_tbEUljE_ZNSN_ISO_Lb0ESR_SS_SU_SV_SZ_EES10_S11_S12_S13_S17_S18_S19_S1C_S1D_jS1E_jS1F_S1F_jjS1H_bEUljE0_EEES10_S11_S12_S19_S1D_S1F_T6_T7_T9_mT8_S1H_bDpT10_ENKUlT_T0_E_clISt17integral_constantIbLb0EES1U_IbLb1EEEEDaS1Q_S1R_EUlS1Q_E_NS1_11comp_targetILNS1_3genE2ELNS1_11target_archE906ELNS1_3gpuE6ELNS1_3repE0EEENS1_30default_config_static_selectorELNS0_4arch9wavefront6targetE0EEEvS13_.has_dyn_sized_stack, 0
	.set _ZN7rocprim17ROCPRIM_400000_NS6detail17trampoline_kernelINS0_13select_configILj256ELj13ELNS0_17block_load_methodE3ELS4_3ELS4_3ELNS0_20block_scan_algorithmE0ELj4294967295EEENS1_25partition_config_selectorILNS1_17partition_subalgoE4EjNS0_10empty_typeEbEEZZNS1_14partition_implILS8_4ELb0ES6_15HIP_vector_typeIjLj2EENS0_17counting_iteratorIjlEEPS9_SG_NS0_5tupleIJPjSI_NS0_16reverse_iteratorISI_EEEEENSH_IJSG_SG_SG_EEES9_SI_JZNS1_25segmented_radix_sort_implINS0_14default_configELb0EPK6__halfPSP_PKlPlN2at6native12_GLOBAL__N_18offset_tEEE10hipError_tPvRmT1_PNSt15iterator_traitsIS13_E10value_typeET2_T3_PNS14_IS19_E10value_typeET4_jRbjT5_S1F_jjP12ihipStream_tbEUljE_ZNSN_ISO_Lb0ESR_SS_SU_SV_SZ_EES10_S11_S12_S13_S17_S18_S19_S1C_S1D_jS1E_jS1F_S1F_jjS1H_bEUljE0_EEES10_S11_S12_S19_S1D_S1F_T6_T7_T9_mT8_S1H_bDpT10_ENKUlT_T0_E_clISt17integral_constantIbLb0EES1U_IbLb1EEEEDaS1Q_S1R_EUlS1Q_E_NS1_11comp_targetILNS1_3genE2ELNS1_11target_archE906ELNS1_3gpuE6ELNS1_3repE0EEENS1_30default_config_static_selectorELNS0_4arch9wavefront6targetE0EEEvS13_.has_recursion, 0
	.set _ZN7rocprim17ROCPRIM_400000_NS6detail17trampoline_kernelINS0_13select_configILj256ELj13ELNS0_17block_load_methodE3ELS4_3ELS4_3ELNS0_20block_scan_algorithmE0ELj4294967295EEENS1_25partition_config_selectorILNS1_17partition_subalgoE4EjNS0_10empty_typeEbEEZZNS1_14partition_implILS8_4ELb0ES6_15HIP_vector_typeIjLj2EENS0_17counting_iteratorIjlEEPS9_SG_NS0_5tupleIJPjSI_NS0_16reverse_iteratorISI_EEEEENSH_IJSG_SG_SG_EEES9_SI_JZNS1_25segmented_radix_sort_implINS0_14default_configELb0EPK6__halfPSP_PKlPlN2at6native12_GLOBAL__N_18offset_tEEE10hipError_tPvRmT1_PNSt15iterator_traitsIS13_E10value_typeET2_T3_PNS14_IS19_E10value_typeET4_jRbjT5_S1F_jjP12ihipStream_tbEUljE_ZNSN_ISO_Lb0ESR_SS_SU_SV_SZ_EES10_S11_S12_S13_S17_S18_S19_S1C_S1D_jS1E_jS1F_S1F_jjS1H_bEUljE0_EEES10_S11_S12_S19_S1D_S1F_T6_T7_T9_mT8_S1H_bDpT10_ENKUlT_T0_E_clISt17integral_constantIbLb0EES1U_IbLb1EEEEDaS1Q_S1R_EUlS1Q_E_NS1_11comp_targetILNS1_3genE2ELNS1_11target_archE906ELNS1_3gpuE6ELNS1_3repE0EEENS1_30default_config_static_selectorELNS0_4arch9wavefront6targetE0EEEvS13_.has_indirect_call, 0
	.section	.AMDGPU.csdata,"",@progbits
; Kernel info:
; codeLenInByte = 0
; TotalNumSgprs: 0
; NumVgprs: 0
; ScratchSize: 0
; MemoryBound: 0
; FloatMode: 240
; IeeeMode: 1
; LDSByteSize: 0 bytes/workgroup (compile time only)
; SGPRBlocks: 0
; VGPRBlocks: 0
; NumSGPRsForWavesPerEU: 1
; NumVGPRsForWavesPerEU: 1
; Occupancy: 16
; WaveLimiterHint : 0
; COMPUTE_PGM_RSRC2:SCRATCH_EN: 0
; COMPUTE_PGM_RSRC2:USER_SGPR: 6
; COMPUTE_PGM_RSRC2:TRAP_HANDLER: 0
; COMPUTE_PGM_RSRC2:TGID_X_EN: 1
; COMPUTE_PGM_RSRC2:TGID_Y_EN: 0
; COMPUTE_PGM_RSRC2:TGID_Z_EN: 0
; COMPUTE_PGM_RSRC2:TIDIG_COMP_CNT: 0
	.section	.text._ZN7rocprim17ROCPRIM_400000_NS6detail17trampoline_kernelINS0_13select_configILj256ELj13ELNS0_17block_load_methodE3ELS4_3ELS4_3ELNS0_20block_scan_algorithmE0ELj4294967295EEENS1_25partition_config_selectorILNS1_17partition_subalgoE4EjNS0_10empty_typeEbEEZZNS1_14partition_implILS8_4ELb0ES6_15HIP_vector_typeIjLj2EENS0_17counting_iteratorIjlEEPS9_SG_NS0_5tupleIJPjSI_NS0_16reverse_iteratorISI_EEEEENSH_IJSG_SG_SG_EEES9_SI_JZNS1_25segmented_radix_sort_implINS0_14default_configELb0EPK6__halfPSP_PKlPlN2at6native12_GLOBAL__N_18offset_tEEE10hipError_tPvRmT1_PNSt15iterator_traitsIS13_E10value_typeET2_T3_PNS14_IS19_E10value_typeET4_jRbjT5_S1F_jjP12ihipStream_tbEUljE_ZNSN_ISO_Lb0ESR_SS_SU_SV_SZ_EES10_S11_S12_S13_S17_S18_S19_S1C_S1D_jS1E_jS1F_S1F_jjS1H_bEUljE0_EEES10_S11_S12_S19_S1D_S1F_T6_T7_T9_mT8_S1H_bDpT10_ENKUlT_T0_E_clISt17integral_constantIbLb0EES1U_IbLb1EEEEDaS1Q_S1R_EUlS1Q_E_NS1_11comp_targetILNS1_3genE10ELNS1_11target_archE1200ELNS1_3gpuE4ELNS1_3repE0EEENS1_30default_config_static_selectorELNS0_4arch9wavefront6targetE0EEEvS13_,"axG",@progbits,_ZN7rocprim17ROCPRIM_400000_NS6detail17trampoline_kernelINS0_13select_configILj256ELj13ELNS0_17block_load_methodE3ELS4_3ELS4_3ELNS0_20block_scan_algorithmE0ELj4294967295EEENS1_25partition_config_selectorILNS1_17partition_subalgoE4EjNS0_10empty_typeEbEEZZNS1_14partition_implILS8_4ELb0ES6_15HIP_vector_typeIjLj2EENS0_17counting_iteratorIjlEEPS9_SG_NS0_5tupleIJPjSI_NS0_16reverse_iteratorISI_EEEEENSH_IJSG_SG_SG_EEES9_SI_JZNS1_25segmented_radix_sort_implINS0_14default_configELb0EPK6__halfPSP_PKlPlN2at6native12_GLOBAL__N_18offset_tEEE10hipError_tPvRmT1_PNSt15iterator_traitsIS13_E10value_typeET2_T3_PNS14_IS19_E10value_typeET4_jRbjT5_S1F_jjP12ihipStream_tbEUljE_ZNSN_ISO_Lb0ESR_SS_SU_SV_SZ_EES10_S11_S12_S13_S17_S18_S19_S1C_S1D_jS1E_jS1F_S1F_jjS1H_bEUljE0_EEES10_S11_S12_S19_S1D_S1F_T6_T7_T9_mT8_S1H_bDpT10_ENKUlT_T0_E_clISt17integral_constantIbLb0EES1U_IbLb1EEEEDaS1Q_S1R_EUlS1Q_E_NS1_11comp_targetILNS1_3genE10ELNS1_11target_archE1200ELNS1_3gpuE4ELNS1_3repE0EEENS1_30default_config_static_selectorELNS0_4arch9wavefront6targetE0EEEvS13_,comdat
	.globl	_ZN7rocprim17ROCPRIM_400000_NS6detail17trampoline_kernelINS0_13select_configILj256ELj13ELNS0_17block_load_methodE3ELS4_3ELS4_3ELNS0_20block_scan_algorithmE0ELj4294967295EEENS1_25partition_config_selectorILNS1_17partition_subalgoE4EjNS0_10empty_typeEbEEZZNS1_14partition_implILS8_4ELb0ES6_15HIP_vector_typeIjLj2EENS0_17counting_iteratorIjlEEPS9_SG_NS0_5tupleIJPjSI_NS0_16reverse_iteratorISI_EEEEENSH_IJSG_SG_SG_EEES9_SI_JZNS1_25segmented_radix_sort_implINS0_14default_configELb0EPK6__halfPSP_PKlPlN2at6native12_GLOBAL__N_18offset_tEEE10hipError_tPvRmT1_PNSt15iterator_traitsIS13_E10value_typeET2_T3_PNS14_IS19_E10value_typeET4_jRbjT5_S1F_jjP12ihipStream_tbEUljE_ZNSN_ISO_Lb0ESR_SS_SU_SV_SZ_EES10_S11_S12_S13_S17_S18_S19_S1C_S1D_jS1E_jS1F_S1F_jjS1H_bEUljE0_EEES10_S11_S12_S19_S1D_S1F_T6_T7_T9_mT8_S1H_bDpT10_ENKUlT_T0_E_clISt17integral_constantIbLb0EES1U_IbLb1EEEEDaS1Q_S1R_EUlS1Q_E_NS1_11comp_targetILNS1_3genE10ELNS1_11target_archE1200ELNS1_3gpuE4ELNS1_3repE0EEENS1_30default_config_static_selectorELNS0_4arch9wavefront6targetE0EEEvS13_ ; -- Begin function _ZN7rocprim17ROCPRIM_400000_NS6detail17trampoline_kernelINS0_13select_configILj256ELj13ELNS0_17block_load_methodE3ELS4_3ELS4_3ELNS0_20block_scan_algorithmE0ELj4294967295EEENS1_25partition_config_selectorILNS1_17partition_subalgoE4EjNS0_10empty_typeEbEEZZNS1_14partition_implILS8_4ELb0ES6_15HIP_vector_typeIjLj2EENS0_17counting_iteratorIjlEEPS9_SG_NS0_5tupleIJPjSI_NS0_16reverse_iteratorISI_EEEEENSH_IJSG_SG_SG_EEES9_SI_JZNS1_25segmented_radix_sort_implINS0_14default_configELb0EPK6__halfPSP_PKlPlN2at6native12_GLOBAL__N_18offset_tEEE10hipError_tPvRmT1_PNSt15iterator_traitsIS13_E10value_typeET2_T3_PNS14_IS19_E10value_typeET4_jRbjT5_S1F_jjP12ihipStream_tbEUljE_ZNSN_ISO_Lb0ESR_SS_SU_SV_SZ_EES10_S11_S12_S13_S17_S18_S19_S1C_S1D_jS1E_jS1F_S1F_jjS1H_bEUljE0_EEES10_S11_S12_S19_S1D_S1F_T6_T7_T9_mT8_S1H_bDpT10_ENKUlT_T0_E_clISt17integral_constantIbLb0EES1U_IbLb1EEEEDaS1Q_S1R_EUlS1Q_E_NS1_11comp_targetILNS1_3genE10ELNS1_11target_archE1200ELNS1_3gpuE4ELNS1_3repE0EEENS1_30default_config_static_selectorELNS0_4arch9wavefront6targetE0EEEvS13_
	.p2align	8
	.type	_ZN7rocprim17ROCPRIM_400000_NS6detail17trampoline_kernelINS0_13select_configILj256ELj13ELNS0_17block_load_methodE3ELS4_3ELS4_3ELNS0_20block_scan_algorithmE0ELj4294967295EEENS1_25partition_config_selectorILNS1_17partition_subalgoE4EjNS0_10empty_typeEbEEZZNS1_14partition_implILS8_4ELb0ES6_15HIP_vector_typeIjLj2EENS0_17counting_iteratorIjlEEPS9_SG_NS0_5tupleIJPjSI_NS0_16reverse_iteratorISI_EEEEENSH_IJSG_SG_SG_EEES9_SI_JZNS1_25segmented_radix_sort_implINS0_14default_configELb0EPK6__halfPSP_PKlPlN2at6native12_GLOBAL__N_18offset_tEEE10hipError_tPvRmT1_PNSt15iterator_traitsIS13_E10value_typeET2_T3_PNS14_IS19_E10value_typeET4_jRbjT5_S1F_jjP12ihipStream_tbEUljE_ZNSN_ISO_Lb0ESR_SS_SU_SV_SZ_EES10_S11_S12_S13_S17_S18_S19_S1C_S1D_jS1E_jS1F_S1F_jjS1H_bEUljE0_EEES10_S11_S12_S19_S1D_S1F_T6_T7_T9_mT8_S1H_bDpT10_ENKUlT_T0_E_clISt17integral_constantIbLb0EES1U_IbLb1EEEEDaS1Q_S1R_EUlS1Q_E_NS1_11comp_targetILNS1_3genE10ELNS1_11target_archE1200ELNS1_3gpuE4ELNS1_3repE0EEENS1_30default_config_static_selectorELNS0_4arch9wavefront6targetE0EEEvS13_,@function
_ZN7rocprim17ROCPRIM_400000_NS6detail17trampoline_kernelINS0_13select_configILj256ELj13ELNS0_17block_load_methodE3ELS4_3ELS4_3ELNS0_20block_scan_algorithmE0ELj4294967295EEENS1_25partition_config_selectorILNS1_17partition_subalgoE4EjNS0_10empty_typeEbEEZZNS1_14partition_implILS8_4ELb0ES6_15HIP_vector_typeIjLj2EENS0_17counting_iteratorIjlEEPS9_SG_NS0_5tupleIJPjSI_NS0_16reverse_iteratorISI_EEEEENSH_IJSG_SG_SG_EEES9_SI_JZNS1_25segmented_radix_sort_implINS0_14default_configELb0EPK6__halfPSP_PKlPlN2at6native12_GLOBAL__N_18offset_tEEE10hipError_tPvRmT1_PNSt15iterator_traitsIS13_E10value_typeET2_T3_PNS14_IS19_E10value_typeET4_jRbjT5_S1F_jjP12ihipStream_tbEUljE_ZNSN_ISO_Lb0ESR_SS_SU_SV_SZ_EES10_S11_S12_S13_S17_S18_S19_S1C_S1D_jS1E_jS1F_S1F_jjS1H_bEUljE0_EEES10_S11_S12_S19_S1D_S1F_T6_T7_T9_mT8_S1H_bDpT10_ENKUlT_T0_E_clISt17integral_constantIbLb0EES1U_IbLb1EEEEDaS1Q_S1R_EUlS1Q_E_NS1_11comp_targetILNS1_3genE10ELNS1_11target_archE1200ELNS1_3gpuE4ELNS1_3repE0EEENS1_30default_config_static_selectorELNS0_4arch9wavefront6targetE0EEEvS13_: ; @_ZN7rocprim17ROCPRIM_400000_NS6detail17trampoline_kernelINS0_13select_configILj256ELj13ELNS0_17block_load_methodE3ELS4_3ELS4_3ELNS0_20block_scan_algorithmE0ELj4294967295EEENS1_25partition_config_selectorILNS1_17partition_subalgoE4EjNS0_10empty_typeEbEEZZNS1_14partition_implILS8_4ELb0ES6_15HIP_vector_typeIjLj2EENS0_17counting_iteratorIjlEEPS9_SG_NS0_5tupleIJPjSI_NS0_16reverse_iteratorISI_EEEEENSH_IJSG_SG_SG_EEES9_SI_JZNS1_25segmented_radix_sort_implINS0_14default_configELb0EPK6__halfPSP_PKlPlN2at6native12_GLOBAL__N_18offset_tEEE10hipError_tPvRmT1_PNSt15iterator_traitsIS13_E10value_typeET2_T3_PNS14_IS19_E10value_typeET4_jRbjT5_S1F_jjP12ihipStream_tbEUljE_ZNSN_ISO_Lb0ESR_SS_SU_SV_SZ_EES10_S11_S12_S13_S17_S18_S19_S1C_S1D_jS1E_jS1F_S1F_jjS1H_bEUljE0_EEES10_S11_S12_S19_S1D_S1F_T6_T7_T9_mT8_S1H_bDpT10_ENKUlT_T0_E_clISt17integral_constantIbLb0EES1U_IbLb1EEEEDaS1Q_S1R_EUlS1Q_E_NS1_11comp_targetILNS1_3genE10ELNS1_11target_archE1200ELNS1_3gpuE4ELNS1_3repE0EEENS1_30default_config_static_selectorELNS0_4arch9wavefront6targetE0EEEvS13_
; %bb.0:
	.section	.rodata,"a",@progbits
	.p2align	6, 0x0
	.amdhsa_kernel _ZN7rocprim17ROCPRIM_400000_NS6detail17trampoline_kernelINS0_13select_configILj256ELj13ELNS0_17block_load_methodE3ELS4_3ELS4_3ELNS0_20block_scan_algorithmE0ELj4294967295EEENS1_25partition_config_selectorILNS1_17partition_subalgoE4EjNS0_10empty_typeEbEEZZNS1_14partition_implILS8_4ELb0ES6_15HIP_vector_typeIjLj2EENS0_17counting_iteratorIjlEEPS9_SG_NS0_5tupleIJPjSI_NS0_16reverse_iteratorISI_EEEEENSH_IJSG_SG_SG_EEES9_SI_JZNS1_25segmented_radix_sort_implINS0_14default_configELb0EPK6__halfPSP_PKlPlN2at6native12_GLOBAL__N_18offset_tEEE10hipError_tPvRmT1_PNSt15iterator_traitsIS13_E10value_typeET2_T3_PNS14_IS19_E10value_typeET4_jRbjT5_S1F_jjP12ihipStream_tbEUljE_ZNSN_ISO_Lb0ESR_SS_SU_SV_SZ_EES10_S11_S12_S13_S17_S18_S19_S1C_S1D_jS1E_jS1F_S1F_jjS1H_bEUljE0_EEES10_S11_S12_S19_S1D_S1F_T6_T7_T9_mT8_S1H_bDpT10_ENKUlT_T0_E_clISt17integral_constantIbLb0EES1U_IbLb1EEEEDaS1Q_S1R_EUlS1Q_E_NS1_11comp_targetILNS1_3genE10ELNS1_11target_archE1200ELNS1_3gpuE4ELNS1_3repE0EEENS1_30default_config_static_selectorELNS0_4arch9wavefront6targetE0EEEvS13_
		.amdhsa_group_segment_fixed_size 0
		.amdhsa_private_segment_fixed_size 0
		.amdhsa_kernarg_size 184
		.amdhsa_user_sgpr_count 6
		.amdhsa_user_sgpr_private_segment_buffer 1
		.amdhsa_user_sgpr_dispatch_ptr 0
		.amdhsa_user_sgpr_queue_ptr 0
		.amdhsa_user_sgpr_kernarg_segment_ptr 1
		.amdhsa_user_sgpr_dispatch_id 0
		.amdhsa_user_sgpr_flat_scratch_init 0
		.amdhsa_user_sgpr_private_segment_size 0
		.amdhsa_wavefront_size32 1
		.amdhsa_uses_dynamic_stack 0
		.amdhsa_system_sgpr_private_segment_wavefront_offset 0
		.amdhsa_system_sgpr_workgroup_id_x 1
		.amdhsa_system_sgpr_workgroup_id_y 0
		.amdhsa_system_sgpr_workgroup_id_z 0
		.amdhsa_system_sgpr_workgroup_info 0
		.amdhsa_system_vgpr_workitem_id 0
		.amdhsa_next_free_vgpr 1
		.amdhsa_next_free_sgpr 1
		.amdhsa_reserve_vcc 0
		.amdhsa_reserve_flat_scratch 0
		.amdhsa_float_round_mode_32 0
		.amdhsa_float_round_mode_16_64 0
		.amdhsa_float_denorm_mode_32 3
		.amdhsa_float_denorm_mode_16_64 3
		.amdhsa_dx10_clamp 1
		.amdhsa_ieee_mode 1
		.amdhsa_fp16_overflow 0
		.amdhsa_workgroup_processor_mode 1
		.amdhsa_memory_ordered 1
		.amdhsa_forward_progress 1
		.amdhsa_shared_vgpr_count 0
		.amdhsa_exception_fp_ieee_invalid_op 0
		.amdhsa_exception_fp_denorm_src 0
		.amdhsa_exception_fp_ieee_div_zero 0
		.amdhsa_exception_fp_ieee_overflow 0
		.amdhsa_exception_fp_ieee_underflow 0
		.amdhsa_exception_fp_ieee_inexact 0
		.amdhsa_exception_int_div_zero 0
	.end_amdhsa_kernel
	.section	.text._ZN7rocprim17ROCPRIM_400000_NS6detail17trampoline_kernelINS0_13select_configILj256ELj13ELNS0_17block_load_methodE3ELS4_3ELS4_3ELNS0_20block_scan_algorithmE0ELj4294967295EEENS1_25partition_config_selectorILNS1_17partition_subalgoE4EjNS0_10empty_typeEbEEZZNS1_14partition_implILS8_4ELb0ES6_15HIP_vector_typeIjLj2EENS0_17counting_iteratorIjlEEPS9_SG_NS0_5tupleIJPjSI_NS0_16reverse_iteratorISI_EEEEENSH_IJSG_SG_SG_EEES9_SI_JZNS1_25segmented_radix_sort_implINS0_14default_configELb0EPK6__halfPSP_PKlPlN2at6native12_GLOBAL__N_18offset_tEEE10hipError_tPvRmT1_PNSt15iterator_traitsIS13_E10value_typeET2_T3_PNS14_IS19_E10value_typeET4_jRbjT5_S1F_jjP12ihipStream_tbEUljE_ZNSN_ISO_Lb0ESR_SS_SU_SV_SZ_EES10_S11_S12_S13_S17_S18_S19_S1C_S1D_jS1E_jS1F_S1F_jjS1H_bEUljE0_EEES10_S11_S12_S19_S1D_S1F_T6_T7_T9_mT8_S1H_bDpT10_ENKUlT_T0_E_clISt17integral_constantIbLb0EES1U_IbLb1EEEEDaS1Q_S1R_EUlS1Q_E_NS1_11comp_targetILNS1_3genE10ELNS1_11target_archE1200ELNS1_3gpuE4ELNS1_3repE0EEENS1_30default_config_static_selectorELNS0_4arch9wavefront6targetE0EEEvS13_,"axG",@progbits,_ZN7rocprim17ROCPRIM_400000_NS6detail17trampoline_kernelINS0_13select_configILj256ELj13ELNS0_17block_load_methodE3ELS4_3ELS4_3ELNS0_20block_scan_algorithmE0ELj4294967295EEENS1_25partition_config_selectorILNS1_17partition_subalgoE4EjNS0_10empty_typeEbEEZZNS1_14partition_implILS8_4ELb0ES6_15HIP_vector_typeIjLj2EENS0_17counting_iteratorIjlEEPS9_SG_NS0_5tupleIJPjSI_NS0_16reverse_iteratorISI_EEEEENSH_IJSG_SG_SG_EEES9_SI_JZNS1_25segmented_radix_sort_implINS0_14default_configELb0EPK6__halfPSP_PKlPlN2at6native12_GLOBAL__N_18offset_tEEE10hipError_tPvRmT1_PNSt15iterator_traitsIS13_E10value_typeET2_T3_PNS14_IS19_E10value_typeET4_jRbjT5_S1F_jjP12ihipStream_tbEUljE_ZNSN_ISO_Lb0ESR_SS_SU_SV_SZ_EES10_S11_S12_S13_S17_S18_S19_S1C_S1D_jS1E_jS1F_S1F_jjS1H_bEUljE0_EEES10_S11_S12_S19_S1D_S1F_T6_T7_T9_mT8_S1H_bDpT10_ENKUlT_T0_E_clISt17integral_constantIbLb0EES1U_IbLb1EEEEDaS1Q_S1R_EUlS1Q_E_NS1_11comp_targetILNS1_3genE10ELNS1_11target_archE1200ELNS1_3gpuE4ELNS1_3repE0EEENS1_30default_config_static_selectorELNS0_4arch9wavefront6targetE0EEEvS13_,comdat
.Lfunc_end1797:
	.size	_ZN7rocprim17ROCPRIM_400000_NS6detail17trampoline_kernelINS0_13select_configILj256ELj13ELNS0_17block_load_methodE3ELS4_3ELS4_3ELNS0_20block_scan_algorithmE0ELj4294967295EEENS1_25partition_config_selectorILNS1_17partition_subalgoE4EjNS0_10empty_typeEbEEZZNS1_14partition_implILS8_4ELb0ES6_15HIP_vector_typeIjLj2EENS0_17counting_iteratorIjlEEPS9_SG_NS0_5tupleIJPjSI_NS0_16reverse_iteratorISI_EEEEENSH_IJSG_SG_SG_EEES9_SI_JZNS1_25segmented_radix_sort_implINS0_14default_configELb0EPK6__halfPSP_PKlPlN2at6native12_GLOBAL__N_18offset_tEEE10hipError_tPvRmT1_PNSt15iterator_traitsIS13_E10value_typeET2_T3_PNS14_IS19_E10value_typeET4_jRbjT5_S1F_jjP12ihipStream_tbEUljE_ZNSN_ISO_Lb0ESR_SS_SU_SV_SZ_EES10_S11_S12_S13_S17_S18_S19_S1C_S1D_jS1E_jS1F_S1F_jjS1H_bEUljE0_EEES10_S11_S12_S19_S1D_S1F_T6_T7_T9_mT8_S1H_bDpT10_ENKUlT_T0_E_clISt17integral_constantIbLb0EES1U_IbLb1EEEEDaS1Q_S1R_EUlS1Q_E_NS1_11comp_targetILNS1_3genE10ELNS1_11target_archE1200ELNS1_3gpuE4ELNS1_3repE0EEENS1_30default_config_static_selectorELNS0_4arch9wavefront6targetE0EEEvS13_, .Lfunc_end1797-_ZN7rocprim17ROCPRIM_400000_NS6detail17trampoline_kernelINS0_13select_configILj256ELj13ELNS0_17block_load_methodE3ELS4_3ELS4_3ELNS0_20block_scan_algorithmE0ELj4294967295EEENS1_25partition_config_selectorILNS1_17partition_subalgoE4EjNS0_10empty_typeEbEEZZNS1_14partition_implILS8_4ELb0ES6_15HIP_vector_typeIjLj2EENS0_17counting_iteratorIjlEEPS9_SG_NS0_5tupleIJPjSI_NS0_16reverse_iteratorISI_EEEEENSH_IJSG_SG_SG_EEES9_SI_JZNS1_25segmented_radix_sort_implINS0_14default_configELb0EPK6__halfPSP_PKlPlN2at6native12_GLOBAL__N_18offset_tEEE10hipError_tPvRmT1_PNSt15iterator_traitsIS13_E10value_typeET2_T3_PNS14_IS19_E10value_typeET4_jRbjT5_S1F_jjP12ihipStream_tbEUljE_ZNSN_ISO_Lb0ESR_SS_SU_SV_SZ_EES10_S11_S12_S13_S17_S18_S19_S1C_S1D_jS1E_jS1F_S1F_jjS1H_bEUljE0_EEES10_S11_S12_S19_S1D_S1F_T6_T7_T9_mT8_S1H_bDpT10_ENKUlT_T0_E_clISt17integral_constantIbLb0EES1U_IbLb1EEEEDaS1Q_S1R_EUlS1Q_E_NS1_11comp_targetILNS1_3genE10ELNS1_11target_archE1200ELNS1_3gpuE4ELNS1_3repE0EEENS1_30default_config_static_selectorELNS0_4arch9wavefront6targetE0EEEvS13_
                                        ; -- End function
	.set _ZN7rocprim17ROCPRIM_400000_NS6detail17trampoline_kernelINS0_13select_configILj256ELj13ELNS0_17block_load_methodE3ELS4_3ELS4_3ELNS0_20block_scan_algorithmE0ELj4294967295EEENS1_25partition_config_selectorILNS1_17partition_subalgoE4EjNS0_10empty_typeEbEEZZNS1_14partition_implILS8_4ELb0ES6_15HIP_vector_typeIjLj2EENS0_17counting_iteratorIjlEEPS9_SG_NS0_5tupleIJPjSI_NS0_16reverse_iteratorISI_EEEEENSH_IJSG_SG_SG_EEES9_SI_JZNS1_25segmented_radix_sort_implINS0_14default_configELb0EPK6__halfPSP_PKlPlN2at6native12_GLOBAL__N_18offset_tEEE10hipError_tPvRmT1_PNSt15iterator_traitsIS13_E10value_typeET2_T3_PNS14_IS19_E10value_typeET4_jRbjT5_S1F_jjP12ihipStream_tbEUljE_ZNSN_ISO_Lb0ESR_SS_SU_SV_SZ_EES10_S11_S12_S13_S17_S18_S19_S1C_S1D_jS1E_jS1F_S1F_jjS1H_bEUljE0_EEES10_S11_S12_S19_S1D_S1F_T6_T7_T9_mT8_S1H_bDpT10_ENKUlT_T0_E_clISt17integral_constantIbLb0EES1U_IbLb1EEEEDaS1Q_S1R_EUlS1Q_E_NS1_11comp_targetILNS1_3genE10ELNS1_11target_archE1200ELNS1_3gpuE4ELNS1_3repE0EEENS1_30default_config_static_selectorELNS0_4arch9wavefront6targetE0EEEvS13_.num_vgpr, 0
	.set _ZN7rocprim17ROCPRIM_400000_NS6detail17trampoline_kernelINS0_13select_configILj256ELj13ELNS0_17block_load_methodE3ELS4_3ELS4_3ELNS0_20block_scan_algorithmE0ELj4294967295EEENS1_25partition_config_selectorILNS1_17partition_subalgoE4EjNS0_10empty_typeEbEEZZNS1_14partition_implILS8_4ELb0ES6_15HIP_vector_typeIjLj2EENS0_17counting_iteratorIjlEEPS9_SG_NS0_5tupleIJPjSI_NS0_16reverse_iteratorISI_EEEEENSH_IJSG_SG_SG_EEES9_SI_JZNS1_25segmented_radix_sort_implINS0_14default_configELb0EPK6__halfPSP_PKlPlN2at6native12_GLOBAL__N_18offset_tEEE10hipError_tPvRmT1_PNSt15iterator_traitsIS13_E10value_typeET2_T3_PNS14_IS19_E10value_typeET4_jRbjT5_S1F_jjP12ihipStream_tbEUljE_ZNSN_ISO_Lb0ESR_SS_SU_SV_SZ_EES10_S11_S12_S13_S17_S18_S19_S1C_S1D_jS1E_jS1F_S1F_jjS1H_bEUljE0_EEES10_S11_S12_S19_S1D_S1F_T6_T7_T9_mT8_S1H_bDpT10_ENKUlT_T0_E_clISt17integral_constantIbLb0EES1U_IbLb1EEEEDaS1Q_S1R_EUlS1Q_E_NS1_11comp_targetILNS1_3genE10ELNS1_11target_archE1200ELNS1_3gpuE4ELNS1_3repE0EEENS1_30default_config_static_selectorELNS0_4arch9wavefront6targetE0EEEvS13_.num_agpr, 0
	.set _ZN7rocprim17ROCPRIM_400000_NS6detail17trampoline_kernelINS0_13select_configILj256ELj13ELNS0_17block_load_methodE3ELS4_3ELS4_3ELNS0_20block_scan_algorithmE0ELj4294967295EEENS1_25partition_config_selectorILNS1_17partition_subalgoE4EjNS0_10empty_typeEbEEZZNS1_14partition_implILS8_4ELb0ES6_15HIP_vector_typeIjLj2EENS0_17counting_iteratorIjlEEPS9_SG_NS0_5tupleIJPjSI_NS0_16reverse_iteratorISI_EEEEENSH_IJSG_SG_SG_EEES9_SI_JZNS1_25segmented_radix_sort_implINS0_14default_configELb0EPK6__halfPSP_PKlPlN2at6native12_GLOBAL__N_18offset_tEEE10hipError_tPvRmT1_PNSt15iterator_traitsIS13_E10value_typeET2_T3_PNS14_IS19_E10value_typeET4_jRbjT5_S1F_jjP12ihipStream_tbEUljE_ZNSN_ISO_Lb0ESR_SS_SU_SV_SZ_EES10_S11_S12_S13_S17_S18_S19_S1C_S1D_jS1E_jS1F_S1F_jjS1H_bEUljE0_EEES10_S11_S12_S19_S1D_S1F_T6_T7_T9_mT8_S1H_bDpT10_ENKUlT_T0_E_clISt17integral_constantIbLb0EES1U_IbLb1EEEEDaS1Q_S1R_EUlS1Q_E_NS1_11comp_targetILNS1_3genE10ELNS1_11target_archE1200ELNS1_3gpuE4ELNS1_3repE0EEENS1_30default_config_static_selectorELNS0_4arch9wavefront6targetE0EEEvS13_.numbered_sgpr, 0
	.set _ZN7rocprim17ROCPRIM_400000_NS6detail17trampoline_kernelINS0_13select_configILj256ELj13ELNS0_17block_load_methodE3ELS4_3ELS4_3ELNS0_20block_scan_algorithmE0ELj4294967295EEENS1_25partition_config_selectorILNS1_17partition_subalgoE4EjNS0_10empty_typeEbEEZZNS1_14partition_implILS8_4ELb0ES6_15HIP_vector_typeIjLj2EENS0_17counting_iteratorIjlEEPS9_SG_NS0_5tupleIJPjSI_NS0_16reverse_iteratorISI_EEEEENSH_IJSG_SG_SG_EEES9_SI_JZNS1_25segmented_radix_sort_implINS0_14default_configELb0EPK6__halfPSP_PKlPlN2at6native12_GLOBAL__N_18offset_tEEE10hipError_tPvRmT1_PNSt15iterator_traitsIS13_E10value_typeET2_T3_PNS14_IS19_E10value_typeET4_jRbjT5_S1F_jjP12ihipStream_tbEUljE_ZNSN_ISO_Lb0ESR_SS_SU_SV_SZ_EES10_S11_S12_S13_S17_S18_S19_S1C_S1D_jS1E_jS1F_S1F_jjS1H_bEUljE0_EEES10_S11_S12_S19_S1D_S1F_T6_T7_T9_mT8_S1H_bDpT10_ENKUlT_T0_E_clISt17integral_constantIbLb0EES1U_IbLb1EEEEDaS1Q_S1R_EUlS1Q_E_NS1_11comp_targetILNS1_3genE10ELNS1_11target_archE1200ELNS1_3gpuE4ELNS1_3repE0EEENS1_30default_config_static_selectorELNS0_4arch9wavefront6targetE0EEEvS13_.num_named_barrier, 0
	.set _ZN7rocprim17ROCPRIM_400000_NS6detail17trampoline_kernelINS0_13select_configILj256ELj13ELNS0_17block_load_methodE3ELS4_3ELS4_3ELNS0_20block_scan_algorithmE0ELj4294967295EEENS1_25partition_config_selectorILNS1_17partition_subalgoE4EjNS0_10empty_typeEbEEZZNS1_14partition_implILS8_4ELb0ES6_15HIP_vector_typeIjLj2EENS0_17counting_iteratorIjlEEPS9_SG_NS0_5tupleIJPjSI_NS0_16reverse_iteratorISI_EEEEENSH_IJSG_SG_SG_EEES9_SI_JZNS1_25segmented_radix_sort_implINS0_14default_configELb0EPK6__halfPSP_PKlPlN2at6native12_GLOBAL__N_18offset_tEEE10hipError_tPvRmT1_PNSt15iterator_traitsIS13_E10value_typeET2_T3_PNS14_IS19_E10value_typeET4_jRbjT5_S1F_jjP12ihipStream_tbEUljE_ZNSN_ISO_Lb0ESR_SS_SU_SV_SZ_EES10_S11_S12_S13_S17_S18_S19_S1C_S1D_jS1E_jS1F_S1F_jjS1H_bEUljE0_EEES10_S11_S12_S19_S1D_S1F_T6_T7_T9_mT8_S1H_bDpT10_ENKUlT_T0_E_clISt17integral_constantIbLb0EES1U_IbLb1EEEEDaS1Q_S1R_EUlS1Q_E_NS1_11comp_targetILNS1_3genE10ELNS1_11target_archE1200ELNS1_3gpuE4ELNS1_3repE0EEENS1_30default_config_static_selectorELNS0_4arch9wavefront6targetE0EEEvS13_.private_seg_size, 0
	.set _ZN7rocprim17ROCPRIM_400000_NS6detail17trampoline_kernelINS0_13select_configILj256ELj13ELNS0_17block_load_methodE3ELS4_3ELS4_3ELNS0_20block_scan_algorithmE0ELj4294967295EEENS1_25partition_config_selectorILNS1_17partition_subalgoE4EjNS0_10empty_typeEbEEZZNS1_14partition_implILS8_4ELb0ES6_15HIP_vector_typeIjLj2EENS0_17counting_iteratorIjlEEPS9_SG_NS0_5tupleIJPjSI_NS0_16reverse_iteratorISI_EEEEENSH_IJSG_SG_SG_EEES9_SI_JZNS1_25segmented_radix_sort_implINS0_14default_configELb0EPK6__halfPSP_PKlPlN2at6native12_GLOBAL__N_18offset_tEEE10hipError_tPvRmT1_PNSt15iterator_traitsIS13_E10value_typeET2_T3_PNS14_IS19_E10value_typeET4_jRbjT5_S1F_jjP12ihipStream_tbEUljE_ZNSN_ISO_Lb0ESR_SS_SU_SV_SZ_EES10_S11_S12_S13_S17_S18_S19_S1C_S1D_jS1E_jS1F_S1F_jjS1H_bEUljE0_EEES10_S11_S12_S19_S1D_S1F_T6_T7_T9_mT8_S1H_bDpT10_ENKUlT_T0_E_clISt17integral_constantIbLb0EES1U_IbLb1EEEEDaS1Q_S1R_EUlS1Q_E_NS1_11comp_targetILNS1_3genE10ELNS1_11target_archE1200ELNS1_3gpuE4ELNS1_3repE0EEENS1_30default_config_static_selectorELNS0_4arch9wavefront6targetE0EEEvS13_.uses_vcc, 0
	.set _ZN7rocprim17ROCPRIM_400000_NS6detail17trampoline_kernelINS0_13select_configILj256ELj13ELNS0_17block_load_methodE3ELS4_3ELS4_3ELNS0_20block_scan_algorithmE0ELj4294967295EEENS1_25partition_config_selectorILNS1_17partition_subalgoE4EjNS0_10empty_typeEbEEZZNS1_14partition_implILS8_4ELb0ES6_15HIP_vector_typeIjLj2EENS0_17counting_iteratorIjlEEPS9_SG_NS0_5tupleIJPjSI_NS0_16reverse_iteratorISI_EEEEENSH_IJSG_SG_SG_EEES9_SI_JZNS1_25segmented_radix_sort_implINS0_14default_configELb0EPK6__halfPSP_PKlPlN2at6native12_GLOBAL__N_18offset_tEEE10hipError_tPvRmT1_PNSt15iterator_traitsIS13_E10value_typeET2_T3_PNS14_IS19_E10value_typeET4_jRbjT5_S1F_jjP12ihipStream_tbEUljE_ZNSN_ISO_Lb0ESR_SS_SU_SV_SZ_EES10_S11_S12_S13_S17_S18_S19_S1C_S1D_jS1E_jS1F_S1F_jjS1H_bEUljE0_EEES10_S11_S12_S19_S1D_S1F_T6_T7_T9_mT8_S1H_bDpT10_ENKUlT_T0_E_clISt17integral_constantIbLb0EES1U_IbLb1EEEEDaS1Q_S1R_EUlS1Q_E_NS1_11comp_targetILNS1_3genE10ELNS1_11target_archE1200ELNS1_3gpuE4ELNS1_3repE0EEENS1_30default_config_static_selectorELNS0_4arch9wavefront6targetE0EEEvS13_.uses_flat_scratch, 0
	.set _ZN7rocprim17ROCPRIM_400000_NS6detail17trampoline_kernelINS0_13select_configILj256ELj13ELNS0_17block_load_methodE3ELS4_3ELS4_3ELNS0_20block_scan_algorithmE0ELj4294967295EEENS1_25partition_config_selectorILNS1_17partition_subalgoE4EjNS0_10empty_typeEbEEZZNS1_14partition_implILS8_4ELb0ES6_15HIP_vector_typeIjLj2EENS0_17counting_iteratorIjlEEPS9_SG_NS0_5tupleIJPjSI_NS0_16reverse_iteratorISI_EEEEENSH_IJSG_SG_SG_EEES9_SI_JZNS1_25segmented_radix_sort_implINS0_14default_configELb0EPK6__halfPSP_PKlPlN2at6native12_GLOBAL__N_18offset_tEEE10hipError_tPvRmT1_PNSt15iterator_traitsIS13_E10value_typeET2_T3_PNS14_IS19_E10value_typeET4_jRbjT5_S1F_jjP12ihipStream_tbEUljE_ZNSN_ISO_Lb0ESR_SS_SU_SV_SZ_EES10_S11_S12_S13_S17_S18_S19_S1C_S1D_jS1E_jS1F_S1F_jjS1H_bEUljE0_EEES10_S11_S12_S19_S1D_S1F_T6_T7_T9_mT8_S1H_bDpT10_ENKUlT_T0_E_clISt17integral_constantIbLb0EES1U_IbLb1EEEEDaS1Q_S1R_EUlS1Q_E_NS1_11comp_targetILNS1_3genE10ELNS1_11target_archE1200ELNS1_3gpuE4ELNS1_3repE0EEENS1_30default_config_static_selectorELNS0_4arch9wavefront6targetE0EEEvS13_.has_dyn_sized_stack, 0
	.set _ZN7rocprim17ROCPRIM_400000_NS6detail17trampoline_kernelINS0_13select_configILj256ELj13ELNS0_17block_load_methodE3ELS4_3ELS4_3ELNS0_20block_scan_algorithmE0ELj4294967295EEENS1_25partition_config_selectorILNS1_17partition_subalgoE4EjNS0_10empty_typeEbEEZZNS1_14partition_implILS8_4ELb0ES6_15HIP_vector_typeIjLj2EENS0_17counting_iteratorIjlEEPS9_SG_NS0_5tupleIJPjSI_NS0_16reverse_iteratorISI_EEEEENSH_IJSG_SG_SG_EEES9_SI_JZNS1_25segmented_radix_sort_implINS0_14default_configELb0EPK6__halfPSP_PKlPlN2at6native12_GLOBAL__N_18offset_tEEE10hipError_tPvRmT1_PNSt15iterator_traitsIS13_E10value_typeET2_T3_PNS14_IS19_E10value_typeET4_jRbjT5_S1F_jjP12ihipStream_tbEUljE_ZNSN_ISO_Lb0ESR_SS_SU_SV_SZ_EES10_S11_S12_S13_S17_S18_S19_S1C_S1D_jS1E_jS1F_S1F_jjS1H_bEUljE0_EEES10_S11_S12_S19_S1D_S1F_T6_T7_T9_mT8_S1H_bDpT10_ENKUlT_T0_E_clISt17integral_constantIbLb0EES1U_IbLb1EEEEDaS1Q_S1R_EUlS1Q_E_NS1_11comp_targetILNS1_3genE10ELNS1_11target_archE1200ELNS1_3gpuE4ELNS1_3repE0EEENS1_30default_config_static_selectorELNS0_4arch9wavefront6targetE0EEEvS13_.has_recursion, 0
	.set _ZN7rocprim17ROCPRIM_400000_NS6detail17trampoline_kernelINS0_13select_configILj256ELj13ELNS0_17block_load_methodE3ELS4_3ELS4_3ELNS0_20block_scan_algorithmE0ELj4294967295EEENS1_25partition_config_selectorILNS1_17partition_subalgoE4EjNS0_10empty_typeEbEEZZNS1_14partition_implILS8_4ELb0ES6_15HIP_vector_typeIjLj2EENS0_17counting_iteratorIjlEEPS9_SG_NS0_5tupleIJPjSI_NS0_16reverse_iteratorISI_EEEEENSH_IJSG_SG_SG_EEES9_SI_JZNS1_25segmented_radix_sort_implINS0_14default_configELb0EPK6__halfPSP_PKlPlN2at6native12_GLOBAL__N_18offset_tEEE10hipError_tPvRmT1_PNSt15iterator_traitsIS13_E10value_typeET2_T3_PNS14_IS19_E10value_typeET4_jRbjT5_S1F_jjP12ihipStream_tbEUljE_ZNSN_ISO_Lb0ESR_SS_SU_SV_SZ_EES10_S11_S12_S13_S17_S18_S19_S1C_S1D_jS1E_jS1F_S1F_jjS1H_bEUljE0_EEES10_S11_S12_S19_S1D_S1F_T6_T7_T9_mT8_S1H_bDpT10_ENKUlT_T0_E_clISt17integral_constantIbLb0EES1U_IbLb1EEEEDaS1Q_S1R_EUlS1Q_E_NS1_11comp_targetILNS1_3genE10ELNS1_11target_archE1200ELNS1_3gpuE4ELNS1_3repE0EEENS1_30default_config_static_selectorELNS0_4arch9wavefront6targetE0EEEvS13_.has_indirect_call, 0
	.section	.AMDGPU.csdata,"",@progbits
; Kernel info:
; codeLenInByte = 0
; TotalNumSgprs: 0
; NumVgprs: 0
; ScratchSize: 0
; MemoryBound: 0
; FloatMode: 240
; IeeeMode: 1
; LDSByteSize: 0 bytes/workgroup (compile time only)
; SGPRBlocks: 0
; VGPRBlocks: 0
; NumSGPRsForWavesPerEU: 1
; NumVGPRsForWavesPerEU: 1
; Occupancy: 16
; WaveLimiterHint : 0
; COMPUTE_PGM_RSRC2:SCRATCH_EN: 0
; COMPUTE_PGM_RSRC2:USER_SGPR: 6
; COMPUTE_PGM_RSRC2:TRAP_HANDLER: 0
; COMPUTE_PGM_RSRC2:TGID_X_EN: 1
; COMPUTE_PGM_RSRC2:TGID_Y_EN: 0
; COMPUTE_PGM_RSRC2:TGID_Z_EN: 0
; COMPUTE_PGM_RSRC2:TIDIG_COMP_CNT: 0
	.section	.text._ZN7rocprim17ROCPRIM_400000_NS6detail17trampoline_kernelINS0_13select_configILj256ELj13ELNS0_17block_load_methodE3ELS4_3ELS4_3ELNS0_20block_scan_algorithmE0ELj4294967295EEENS1_25partition_config_selectorILNS1_17partition_subalgoE4EjNS0_10empty_typeEbEEZZNS1_14partition_implILS8_4ELb0ES6_15HIP_vector_typeIjLj2EENS0_17counting_iteratorIjlEEPS9_SG_NS0_5tupleIJPjSI_NS0_16reverse_iteratorISI_EEEEENSH_IJSG_SG_SG_EEES9_SI_JZNS1_25segmented_radix_sort_implINS0_14default_configELb0EPK6__halfPSP_PKlPlN2at6native12_GLOBAL__N_18offset_tEEE10hipError_tPvRmT1_PNSt15iterator_traitsIS13_E10value_typeET2_T3_PNS14_IS19_E10value_typeET4_jRbjT5_S1F_jjP12ihipStream_tbEUljE_ZNSN_ISO_Lb0ESR_SS_SU_SV_SZ_EES10_S11_S12_S13_S17_S18_S19_S1C_S1D_jS1E_jS1F_S1F_jjS1H_bEUljE0_EEES10_S11_S12_S19_S1D_S1F_T6_T7_T9_mT8_S1H_bDpT10_ENKUlT_T0_E_clISt17integral_constantIbLb0EES1U_IbLb1EEEEDaS1Q_S1R_EUlS1Q_E_NS1_11comp_targetILNS1_3genE9ELNS1_11target_archE1100ELNS1_3gpuE3ELNS1_3repE0EEENS1_30default_config_static_selectorELNS0_4arch9wavefront6targetE0EEEvS13_,"axG",@progbits,_ZN7rocprim17ROCPRIM_400000_NS6detail17trampoline_kernelINS0_13select_configILj256ELj13ELNS0_17block_load_methodE3ELS4_3ELS4_3ELNS0_20block_scan_algorithmE0ELj4294967295EEENS1_25partition_config_selectorILNS1_17partition_subalgoE4EjNS0_10empty_typeEbEEZZNS1_14partition_implILS8_4ELb0ES6_15HIP_vector_typeIjLj2EENS0_17counting_iteratorIjlEEPS9_SG_NS0_5tupleIJPjSI_NS0_16reverse_iteratorISI_EEEEENSH_IJSG_SG_SG_EEES9_SI_JZNS1_25segmented_radix_sort_implINS0_14default_configELb0EPK6__halfPSP_PKlPlN2at6native12_GLOBAL__N_18offset_tEEE10hipError_tPvRmT1_PNSt15iterator_traitsIS13_E10value_typeET2_T3_PNS14_IS19_E10value_typeET4_jRbjT5_S1F_jjP12ihipStream_tbEUljE_ZNSN_ISO_Lb0ESR_SS_SU_SV_SZ_EES10_S11_S12_S13_S17_S18_S19_S1C_S1D_jS1E_jS1F_S1F_jjS1H_bEUljE0_EEES10_S11_S12_S19_S1D_S1F_T6_T7_T9_mT8_S1H_bDpT10_ENKUlT_T0_E_clISt17integral_constantIbLb0EES1U_IbLb1EEEEDaS1Q_S1R_EUlS1Q_E_NS1_11comp_targetILNS1_3genE9ELNS1_11target_archE1100ELNS1_3gpuE3ELNS1_3repE0EEENS1_30default_config_static_selectorELNS0_4arch9wavefront6targetE0EEEvS13_,comdat
	.globl	_ZN7rocprim17ROCPRIM_400000_NS6detail17trampoline_kernelINS0_13select_configILj256ELj13ELNS0_17block_load_methodE3ELS4_3ELS4_3ELNS0_20block_scan_algorithmE0ELj4294967295EEENS1_25partition_config_selectorILNS1_17partition_subalgoE4EjNS0_10empty_typeEbEEZZNS1_14partition_implILS8_4ELb0ES6_15HIP_vector_typeIjLj2EENS0_17counting_iteratorIjlEEPS9_SG_NS0_5tupleIJPjSI_NS0_16reverse_iteratorISI_EEEEENSH_IJSG_SG_SG_EEES9_SI_JZNS1_25segmented_radix_sort_implINS0_14default_configELb0EPK6__halfPSP_PKlPlN2at6native12_GLOBAL__N_18offset_tEEE10hipError_tPvRmT1_PNSt15iterator_traitsIS13_E10value_typeET2_T3_PNS14_IS19_E10value_typeET4_jRbjT5_S1F_jjP12ihipStream_tbEUljE_ZNSN_ISO_Lb0ESR_SS_SU_SV_SZ_EES10_S11_S12_S13_S17_S18_S19_S1C_S1D_jS1E_jS1F_S1F_jjS1H_bEUljE0_EEES10_S11_S12_S19_S1D_S1F_T6_T7_T9_mT8_S1H_bDpT10_ENKUlT_T0_E_clISt17integral_constantIbLb0EES1U_IbLb1EEEEDaS1Q_S1R_EUlS1Q_E_NS1_11comp_targetILNS1_3genE9ELNS1_11target_archE1100ELNS1_3gpuE3ELNS1_3repE0EEENS1_30default_config_static_selectorELNS0_4arch9wavefront6targetE0EEEvS13_ ; -- Begin function _ZN7rocprim17ROCPRIM_400000_NS6detail17trampoline_kernelINS0_13select_configILj256ELj13ELNS0_17block_load_methodE3ELS4_3ELS4_3ELNS0_20block_scan_algorithmE0ELj4294967295EEENS1_25partition_config_selectorILNS1_17partition_subalgoE4EjNS0_10empty_typeEbEEZZNS1_14partition_implILS8_4ELb0ES6_15HIP_vector_typeIjLj2EENS0_17counting_iteratorIjlEEPS9_SG_NS0_5tupleIJPjSI_NS0_16reverse_iteratorISI_EEEEENSH_IJSG_SG_SG_EEES9_SI_JZNS1_25segmented_radix_sort_implINS0_14default_configELb0EPK6__halfPSP_PKlPlN2at6native12_GLOBAL__N_18offset_tEEE10hipError_tPvRmT1_PNSt15iterator_traitsIS13_E10value_typeET2_T3_PNS14_IS19_E10value_typeET4_jRbjT5_S1F_jjP12ihipStream_tbEUljE_ZNSN_ISO_Lb0ESR_SS_SU_SV_SZ_EES10_S11_S12_S13_S17_S18_S19_S1C_S1D_jS1E_jS1F_S1F_jjS1H_bEUljE0_EEES10_S11_S12_S19_S1D_S1F_T6_T7_T9_mT8_S1H_bDpT10_ENKUlT_T0_E_clISt17integral_constantIbLb0EES1U_IbLb1EEEEDaS1Q_S1R_EUlS1Q_E_NS1_11comp_targetILNS1_3genE9ELNS1_11target_archE1100ELNS1_3gpuE3ELNS1_3repE0EEENS1_30default_config_static_selectorELNS0_4arch9wavefront6targetE0EEEvS13_
	.p2align	8
	.type	_ZN7rocprim17ROCPRIM_400000_NS6detail17trampoline_kernelINS0_13select_configILj256ELj13ELNS0_17block_load_methodE3ELS4_3ELS4_3ELNS0_20block_scan_algorithmE0ELj4294967295EEENS1_25partition_config_selectorILNS1_17partition_subalgoE4EjNS0_10empty_typeEbEEZZNS1_14partition_implILS8_4ELb0ES6_15HIP_vector_typeIjLj2EENS0_17counting_iteratorIjlEEPS9_SG_NS0_5tupleIJPjSI_NS0_16reverse_iteratorISI_EEEEENSH_IJSG_SG_SG_EEES9_SI_JZNS1_25segmented_radix_sort_implINS0_14default_configELb0EPK6__halfPSP_PKlPlN2at6native12_GLOBAL__N_18offset_tEEE10hipError_tPvRmT1_PNSt15iterator_traitsIS13_E10value_typeET2_T3_PNS14_IS19_E10value_typeET4_jRbjT5_S1F_jjP12ihipStream_tbEUljE_ZNSN_ISO_Lb0ESR_SS_SU_SV_SZ_EES10_S11_S12_S13_S17_S18_S19_S1C_S1D_jS1E_jS1F_S1F_jjS1H_bEUljE0_EEES10_S11_S12_S19_S1D_S1F_T6_T7_T9_mT8_S1H_bDpT10_ENKUlT_T0_E_clISt17integral_constantIbLb0EES1U_IbLb1EEEEDaS1Q_S1R_EUlS1Q_E_NS1_11comp_targetILNS1_3genE9ELNS1_11target_archE1100ELNS1_3gpuE3ELNS1_3repE0EEENS1_30default_config_static_selectorELNS0_4arch9wavefront6targetE0EEEvS13_,@function
_ZN7rocprim17ROCPRIM_400000_NS6detail17trampoline_kernelINS0_13select_configILj256ELj13ELNS0_17block_load_methodE3ELS4_3ELS4_3ELNS0_20block_scan_algorithmE0ELj4294967295EEENS1_25partition_config_selectorILNS1_17partition_subalgoE4EjNS0_10empty_typeEbEEZZNS1_14partition_implILS8_4ELb0ES6_15HIP_vector_typeIjLj2EENS0_17counting_iteratorIjlEEPS9_SG_NS0_5tupleIJPjSI_NS0_16reverse_iteratorISI_EEEEENSH_IJSG_SG_SG_EEES9_SI_JZNS1_25segmented_radix_sort_implINS0_14default_configELb0EPK6__halfPSP_PKlPlN2at6native12_GLOBAL__N_18offset_tEEE10hipError_tPvRmT1_PNSt15iterator_traitsIS13_E10value_typeET2_T3_PNS14_IS19_E10value_typeET4_jRbjT5_S1F_jjP12ihipStream_tbEUljE_ZNSN_ISO_Lb0ESR_SS_SU_SV_SZ_EES10_S11_S12_S13_S17_S18_S19_S1C_S1D_jS1E_jS1F_S1F_jjS1H_bEUljE0_EEES10_S11_S12_S19_S1D_S1F_T6_T7_T9_mT8_S1H_bDpT10_ENKUlT_T0_E_clISt17integral_constantIbLb0EES1U_IbLb1EEEEDaS1Q_S1R_EUlS1Q_E_NS1_11comp_targetILNS1_3genE9ELNS1_11target_archE1100ELNS1_3gpuE3ELNS1_3repE0EEENS1_30default_config_static_selectorELNS0_4arch9wavefront6targetE0EEEvS13_: ; @_ZN7rocprim17ROCPRIM_400000_NS6detail17trampoline_kernelINS0_13select_configILj256ELj13ELNS0_17block_load_methodE3ELS4_3ELS4_3ELNS0_20block_scan_algorithmE0ELj4294967295EEENS1_25partition_config_selectorILNS1_17partition_subalgoE4EjNS0_10empty_typeEbEEZZNS1_14partition_implILS8_4ELb0ES6_15HIP_vector_typeIjLj2EENS0_17counting_iteratorIjlEEPS9_SG_NS0_5tupleIJPjSI_NS0_16reverse_iteratorISI_EEEEENSH_IJSG_SG_SG_EEES9_SI_JZNS1_25segmented_radix_sort_implINS0_14default_configELb0EPK6__halfPSP_PKlPlN2at6native12_GLOBAL__N_18offset_tEEE10hipError_tPvRmT1_PNSt15iterator_traitsIS13_E10value_typeET2_T3_PNS14_IS19_E10value_typeET4_jRbjT5_S1F_jjP12ihipStream_tbEUljE_ZNSN_ISO_Lb0ESR_SS_SU_SV_SZ_EES10_S11_S12_S13_S17_S18_S19_S1C_S1D_jS1E_jS1F_S1F_jjS1H_bEUljE0_EEES10_S11_S12_S19_S1D_S1F_T6_T7_T9_mT8_S1H_bDpT10_ENKUlT_T0_E_clISt17integral_constantIbLb0EES1U_IbLb1EEEEDaS1Q_S1R_EUlS1Q_E_NS1_11comp_targetILNS1_3genE9ELNS1_11target_archE1100ELNS1_3gpuE3ELNS1_3repE0EEENS1_30default_config_static_selectorELNS0_4arch9wavefront6targetE0EEEvS13_
; %bb.0:
	.section	.rodata,"a",@progbits
	.p2align	6, 0x0
	.amdhsa_kernel _ZN7rocprim17ROCPRIM_400000_NS6detail17trampoline_kernelINS0_13select_configILj256ELj13ELNS0_17block_load_methodE3ELS4_3ELS4_3ELNS0_20block_scan_algorithmE0ELj4294967295EEENS1_25partition_config_selectorILNS1_17partition_subalgoE4EjNS0_10empty_typeEbEEZZNS1_14partition_implILS8_4ELb0ES6_15HIP_vector_typeIjLj2EENS0_17counting_iteratorIjlEEPS9_SG_NS0_5tupleIJPjSI_NS0_16reverse_iteratorISI_EEEEENSH_IJSG_SG_SG_EEES9_SI_JZNS1_25segmented_radix_sort_implINS0_14default_configELb0EPK6__halfPSP_PKlPlN2at6native12_GLOBAL__N_18offset_tEEE10hipError_tPvRmT1_PNSt15iterator_traitsIS13_E10value_typeET2_T3_PNS14_IS19_E10value_typeET4_jRbjT5_S1F_jjP12ihipStream_tbEUljE_ZNSN_ISO_Lb0ESR_SS_SU_SV_SZ_EES10_S11_S12_S13_S17_S18_S19_S1C_S1D_jS1E_jS1F_S1F_jjS1H_bEUljE0_EEES10_S11_S12_S19_S1D_S1F_T6_T7_T9_mT8_S1H_bDpT10_ENKUlT_T0_E_clISt17integral_constantIbLb0EES1U_IbLb1EEEEDaS1Q_S1R_EUlS1Q_E_NS1_11comp_targetILNS1_3genE9ELNS1_11target_archE1100ELNS1_3gpuE3ELNS1_3repE0EEENS1_30default_config_static_selectorELNS0_4arch9wavefront6targetE0EEEvS13_
		.amdhsa_group_segment_fixed_size 0
		.amdhsa_private_segment_fixed_size 0
		.amdhsa_kernarg_size 184
		.amdhsa_user_sgpr_count 6
		.amdhsa_user_sgpr_private_segment_buffer 1
		.amdhsa_user_sgpr_dispatch_ptr 0
		.amdhsa_user_sgpr_queue_ptr 0
		.amdhsa_user_sgpr_kernarg_segment_ptr 1
		.amdhsa_user_sgpr_dispatch_id 0
		.amdhsa_user_sgpr_flat_scratch_init 0
		.amdhsa_user_sgpr_private_segment_size 0
		.amdhsa_wavefront_size32 1
		.amdhsa_uses_dynamic_stack 0
		.amdhsa_system_sgpr_private_segment_wavefront_offset 0
		.amdhsa_system_sgpr_workgroup_id_x 1
		.amdhsa_system_sgpr_workgroup_id_y 0
		.amdhsa_system_sgpr_workgroup_id_z 0
		.amdhsa_system_sgpr_workgroup_info 0
		.amdhsa_system_vgpr_workitem_id 0
		.amdhsa_next_free_vgpr 1
		.amdhsa_next_free_sgpr 1
		.amdhsa_reserve_vcc 0
		.amdhsa_reserve_flat_scratch 0
		.amdhsa_float_round_mode_32 0
		.amdhsa_float_round_mode_16_64 0
		.amdhsa_float_denorm_mode_32 3
		.amdhsa_float_denorm_mode_16_64 3
		.amdhsa_dx10_clamp 1
		.amdhsa_ieee_mode 1
		.amdhsa_fp16_overflow 0
		.amdhsa_workgroup_processor_mode 1
		.amdhsa_memory_ordered 1
		.amdhsa_forward_progress 1
		.amdhsa_shared_vgpr_count 0
		.amdhsa_exception_fp_ieee_invalid_op 0
		.amdhsa_exception_fp_denorm_src 0
		.amdhsa_exception_fp_ieee_div_zero 0
		.amdhsa_exception_fp_ieee_overflow 0
		.amdhsa_exception_fp_ieee_underflow 0
		.amdhsa_exception_fp_ieee_inexact 0
		.amdhsa_exception_int_div_zero 0
	.end_amdhsa_kernel
	.section	.text._ZN7rocprim17ROCPRIM_400000_NS6detail17trampoline_kernelINS0_13select_configILj256ELj13ELNS0_17block_load_methodE3ELS4_3ELS4_3ELNS0_20block_scan_algorithmE0ELj4294967295EEENS1_25partition_config_selectorILNS1_17partition_subalgoE4EjNS0_10empty_typeEbEEZZNS1_14partition_implILS8_4ELb0ES6_15HIP_vector_typeIjLj2EENS0_17counting_iteratorIjlEEPS9_SG_NS0_5tupleIJPjSI_NS0_16reverse_iteratorISI_EEEEENSH_IJSG_SG_SG_EEES9_SI_JZNS1_25segmented_radix_sort_implINS0_14default_configELb0EPK6__halfPSP_PKlPlN2at6native12_GLOBAL__N_18offset_tEEE10hipError_tPvRmT1_PNSt15iterator_traitsIS13_E10value_typeET2_T3_PNS14_IS19_E10value_typeET4_jRbjT5_S1F_jjP12ihipStream_tbEUljE_ZNSN_ISO_Lb0ESR_SS_SU_SV_SZ_EES10_S11_S12_S13_S17_S18_S19_S1C_S1D_jS1E_jS1F_S1F_jjS1H_bEUljE0_EEES10_S11_S12_S19_S1D_S1F_T6_T7_T9_mT8_S1H_bDpT10_ENKUlT_T0_E_clISt17integral_constantIbLb0EES1U_IbLb1EEEEDaS1Q_S1R_EUlS1Q_E_NS1_11comp_targetILNS1_3genE9ELNS1_11target_archE1100ELNS1_3gpuE3ELNS1_3repE0EEENS1_30default_config_static_selectorELNS0_4arch9wavefront6targetE0EEEvS13_,"axG",@progbits,_ZN7rocprim17ROCPRIM_400000_NS6detail17trampoline_kernelINS0_13select_configILj256ELj13ELNS0_17block_load_methodE3ELS4_3ELS4_3ELNS0_20block_scan_algorithmE0ELj4294967295EEENS1_25partition_config_selectorILNS1_17partition_subalgoE4EjNS0_10empty_typeEbEEZZNS1_14partition_implILS8_4ELb0ES6_15HIP_vector_typeIjLj2EENS0_17counting_iteratorIjlEEPS9_SG_NS0_5tupleIJPjSI_NS0_16reverse_iteratorISI_EEEEENSH_IJSG_SG_SG_EEES9_SI_JZNS1_25segmented_radix_sort_implINS0_14default_configELb0EPK6__halfPSP_PKlPlN2at6native12_GLOBAL__N_18offset_tEEE10hipError_tPvRmT1_PNSt15iterator_traitsIS13_E10value_typeET2_T3_PNS14_IS19_E10value_typeET4_jRbjT5_S1F_jjP12ihipStream_tbEUljE_ZNSN_ISO_Lb0ESR_SS_SU_SV_SZ_EES10_S11_S12_S13_S17_S18_S19_S1C_S1D_jS1E_jS1F_S1F_jjS1H_bEUljE0_EEES10_S11_S12_S19_S1D_S1F_T6_T7_T9_mT8_S1H_bDpT10_ENKUlT_T0_E_clISt17integral_constantIbLb0EES1U_IbLb1EEEEDaS1Q_S1R_EUlS1Q_E_NS1_11comp_targetILNS1_3genE9ELNS1_11target_archE1100ELNS1_3gpuE3ELNS1_3repE0EEENS1_30default_config_static_selectorELNS0_4arch9wavefront6targetE0EEEvS13_,comdat
.Lfunc_end1798:
	.size	_ZN7rocprim17ROCPRIM_400000_NS6detail17trampoline_kernelINS0_13select_configILj256ELj13ELNS0_17block_load_methodE3ELS4_3ELS4_3ELNS0_20block_scan_algorithmE0ELj4294967295EEENS1_25partition_config_selectorILNS1_17partition_subalgoE4EjNS0_10empty_typeEbEEZZNS1_14partition_implILS8_4ELb0ES6_15HIP_vector_typeIjLj2EENS0_17counting_iteratorIjlEEPS9_SG_NS0_5tupleIJPjSI_NS0_16reverse_iteratorISI_EEEEENSH_IJSG_SG_SG_EEES9_SI_JZNS1_25segmented_radix_sort_implINS0_14default_configELb0EPK6__halfPSP_PKlPlN2at6native12_GLOBAL__N_18offset_tEEE10hipError_tPvRmT1_PNSt15iterator_traitsIS13_E10value_typeET2_T3_PNS14_IS19_E10value_typeET4_jRbjT5_S1F_jjP12ihipStream_tbEUljE_ZNSN_ISO_Lb0ESR_SS_SU_SV_SZ_EES10_S11_S12_S13_S17_S18_S19_S1C_S1D_jS1E_jS1F_S1F_jjS1H_bEUljE0_EEES10_S11_S12_S19_S1D_S1F_T6_T7_T9_mT8_S1H_bDpT10_ENKUlT_T0_E_clISt17integral_constantIbLb0EES1U_IbLb1EEEEDaS1Q_S1R_EUlS1Q_E_NS1_11comp_targetILNS1_3genE9ELNS1_11target_archE1100ELNS1_3gpuE3ELNS1_3repE0EEENS1_30default_config_static_selectorELNS0_4arch9wavefront6targetE0EEEvS13_, .Lfunc_end1798-_ZN7rocprim17ROCPRIM_400000_NS6detail17trampoline_kernelINS0_13select_configILj256ELj13ELNS0_17block_load_methodE3ELS4_3ELS4_3ELNS0_20block_scan_algorithmE0ELj4294967295EEENS1_25partition_config_selectorILNS1_17partition_subalgoE4EjNS0_10empty_typeEbEEZZNS1_14partition_implILS8_4ELb0ES6_15HIP_vector_typeIjLj2EENS0_17counting_iteratorIjlEEPS9_SG_NS0_5tupleIJPjSI_NS0_16reverse_iteratorISI_EEEEENSH_IJSG_SG_SG_EEES9_SI_JZNS1_25segmented_radix_sort_implINS0_14default_configELb0EPK6__halfPSP_PKlPlN2at6native12_GLOBAL__N_18offset_tEEE10hipError_tPvRmT1_PNSt15iterator_traitsIS13_E10value_typeET2_T3_PNS14_IS19_E10value_typeET4_jRbjT5_S1F_jjP12ihipStream_tbEUljE_ZNSN_ISO_Lb0ESR_SS_SU_SV_SZ_EES10_S11_S12_S13_S17_S18_S19_S1C_S1D_jS1E_jS1F_S1F_jjS1H_bEUljE0_EEES10_S11_S12_S19_S1D_S1F_T6_T7_T9_mT8_S1H_bDpT10_ENKUlT_T0_E_clISt17integral_constantIbLb0EES1U_IbLb1EEEEDaS1Q_S1R_EUlS1Q_E_NS1_11comp_targetILNS1_3genE9ELNS1_11target_archE1100ELNS1_3gpuE3ELNS1_3repE0EEENS1_30default_config_static_selectorELNS0_4arch9wavefront6targetE0EEEvS13_
                                        ; -- End function
	.set _ZN7rocprim17ROCPRIM_400000_NS6detail17trampoline_kernelINS0_13select_configILj256ELj13ELNS0_17block_load_methodE3ELS4_3ELS4_3ELNS0_20block_scan_algorithmE0ELj4294967295EEENS1_25partition_config_selectorILNS1_17partition_subalgoE4EjNS0_10empty_typeEbEEZZNS1_14partition_implILS8_4ELb0ES6_15HIP_vector_typeIjLj2EENS0_17counting_iteratorIjlEEPS9_SG_NS0_5tupleIJPjSI_NS0_16reverse_iteratorISI_EEEEENSH_IJSG_SG_SG_EEES9_SI_JZNS1_25segmented_radix_sort_implINS0_14default_configELb0EPK6__halfPSP_PKlPlN2at6native12_GLOBAL__N_18offset_tEEE10hipError_tPvRmT1_PNSt15iterator_traitsIS13_E10value_typeET2_T3_PNS14_IS19_E10value_typeET4_jRbjT5_S1F_jjP12ihipStream_tbEUljE_ZNSN_ISO_Lb0ESR_SS_SU_SV_SZ_EES10_S11_S12_S13_S17_S18_S19_S1C_S1D_jS1E_jS1F_S1F_jjS1H_bEUljE0_EEES10_S11_S12_S19_S1D_S1F_T6_T7_T9_mT8_S1H_bDpT10_ENKUlT_T0_E_clISt17integral_constantIbLb0EES1U_IbLb1EEEEDaS1Q_S1R_EUlS1Q_E_NS1_11comp_targetILNS1_3genE9ELNS1_11target_archE1100ELNS1_3gpuE3ELNS1_3repE0EEENS1_30default_config_static_selectorELNS0_4arch9wavefront6targetE0EEEvS13_.num_vgpr, 0
	.set _ZN7rocprim17ROCPRIM_400000_NS6detail17trampoline_kernelINS0_13select_configILj256ELj13ELNS0_17block_load_methodE3ELS4_3ELS4_3ELNS0_20block_scan_algorithmE0ELj4294967295EEENS1_25partition_config_selectorILNS1_17partition_subalgoE4EjNS0_10empty_typeEbEEZZNS1_14partition_implILS8_4ELb0ES6_15HIP_vector_typeIjLj2EENS0_17counting_iteratorIjlEEPS9_SG_NS0_5tupleIJPjSI_NS0_16reverse_iteratorISI_EEEEENSH_IJSG_SG_SG_EEES9_SI_JZNS1_25segmented_radix_sort_implINS0_14default_configELb0EPK6__halfPSP_PKlPlN2at6native12_GLOBAL__N_18offset_tEEE10hipError_tPvRmT1_PNSt15iterator_traitsIS13_E10value_typeET2_T3_PNS14_IS19_E10value_typeET4_jRbjT5_S1F_jjP12ihipStream_tbEUljE_ZNSN_ISO_Lb0ESR_SS_SU_SV_SZ_EES10_S11_S12_S13_S17_S18_S19_S1C_S1D_jS1E_jS1F_S1F_jjS1H_bEUljE0_EEES10_S11_S12_S19_S1D_S1F_T6_T7_T9_mT8_S1H_bDpT10_ENKUlT_T0_E_clISt17integral_constantIbLb0EES1U_IbLb1EEEEDaS1Q_S1R_EUlS1Q_E_NS1_11comp_targetILNS1_3genE9ELNS1_11target_archE1100ELNS1_3gpuE3ELNS1_3repE0EEENS1_30default_config_static_selectorELNS0_4arch9wavefront6targetE0EEEvS13_.num_agpr, 0
	.set _ZN7rocprim17ROCPRIM_400000_NS6detail17trampoline_kernelINS0_13select_configILj256ELj13ELNS0_17block_load_methodE3ELS4_3ELS4_3ELNS0_20block_scan_algorithmE0ELj4294967295EEENS1_25partition_config_selectorILNS1_17partition_subalgoE4EjNS0_10empty_typeEbEEZZNS1_14partition_implILS8_4ELb0ES6_15HIP_vector_typeIjLj2EENS0_17counting_iteratorIjlEEPS9_SG_NS0_5tupleIJPjSI_NS0_16reverse_iteratorISI_EEEEENSH_IJSG_SG_SG_EEES9_SI_JZNS1_25segmented_radix_sort_implINS0_14default_configELb0EPK6__halfPSP_PKlPlN2at6native12_GLOBAL__N_18offset_tEEE10hipError_tPvRmT1_PNSt15iterator_traitsIS13_E10value_typeET2_T3_PNS14_IS19_E10value_typeET4_jRbjT5_S1F_jjP12ihipStream_tbEUljE_ZNSN_ISO_Lb0ESR_SS_SU_SV_SZ_EES10_S11_S12_S13_S17_S18_S19_S1C_S1D_jS1E_jS1F_S1F_jjS1H_bEUljE0_EEES10_S11_S12_S19_S1D_S1F_T6_T7_T9_mT8_S1H_bDpT10_ENKUlT_T0_E_clISt17integral_constantIbLb0EES1U_IbLb1EEEEDaS1Q_S1R_EUlS1Q_E_NS1_11comp_targetILNS1_3genE9ELNS1_11target_archE1100ELNS1_3gpuE3ELNS1_3repE0EEENS1_30default_config_static_selectorELNS0_4arch9wavefront6targetE0EEEvS13_.numbered_sgpr, 0
	.set _ZN7rocprim17ROCPRIM_400000_NS6detail17trampoline_kernelINS0_13select_configILj256ELj13ELNS0_17block_load_methodE3ELS4_3ELS4_3ELNS0_20block_scan_algorithmE0ELj4294967295EEENS1_25partition_config_selectorILNS1_17partition_subalgoE4EjNS0_10empty_typeEbEEZZNS1_14partition_implILS8_4ELb0ES6_15HIP_vector_typeIjLj2EENS0_17counting_iteratorIjlEEPS9_SG_NS0_5tupleIJPjSI_NS0_16reverse_iteratorISI_EEEEENSH_IJSG_SG_SG_EEES9_SI_JZNS1_25segmented_radix_sort_implINS0_14default_configELb0EPK6__halfPSP_PKlPlN2at6native12_GLOBAL__N_18offset_tEEE10hipError_tPvRmT1_PNSt15iterator_traitsIS13_E10value_typeET2_T3_PNS14_IS19_E10value_typeET4_jRbjT5_S1F_jjP12ihipStream_tbEUljE_ZNSN_ISO_Lb0ESR_SS_SU_SV_SZ_EES10_S11_S12_S13_S17_S18_S19_S1C_S1D_jS1E_jS1F_S1F_jjS1H_bEUljE0_EEES10_S11_S12_S19_S1D_S1F_T6_T7_T9_mT8_S1H_bDpT10_ENKUlT_T0_E_clISt17integral_constantIbLb0EES1U_IbLb1EEEEDaS1Q_S1R_EUlS1Q_E_NS1_11comp_targetILNS1_3genE9ELNS1_11target_archE1100ELNS1_3gpuE3ELNS1_3repE0EEENS1_30default_config_static_selectorELNS0_4arch9wavefront6targetE0EEEvS13_.num_named_barrier, 0
	.set _ZN7rocprim17ROCPRIM_400000_NS6detail17trampoline_kernelINS0_13select_configILj256ELj13ELNS0_17block_load_methodE3ELS4_3ELS4_3ELNS0_20block_scan_algorithmE0ELj4294967295EEENS1_25partition_config_selectorILNS1_17partition_subalgoE4EjNS0_10empty_typeEbEEZZNS1_14partition_implILS8_4ELb0ES6_15HIP_vector_typeIjLj2EENS0_17counting_iteratorIjlEEPS9_SG_NS0_5tupleIJPjSI_NS0_16reverse_iteratorISI_EEEEENSH_IJSG_SG_SG_EEES9_SI_JZNS1_25segmented_radix_sort_implINS0_14default_configELb0EPK6__halfPSP_PKlPlN2at6native12_GLOBAL__N_18offset_tEEE10hipError_tPvRmT1_PNSt15iterator_traitsIS13_E10value_typeET2_T3_PNS14_IS19_E10value_typeET4_jRbjT5_S1F_jjP12ihipStream_tbEUljE_ZNSN_ISO_Lb0ESR_SS_SU_SV_SZ_EES10_S11_S12_S13_S17_S18_S19_S1C_S1D_jS1E_jS1F_S1F_jjS1H_bEUljE0_EEES10_S11_S12_S19_S1D_S1F_T6_T7_T9_mT8_S1H_bDpT10_ENKUlT_T0_E_clISt17integral_constantIbLb0EES1U_IbLb1EEEEDaS1Q_S1R_EUlS1Q_E_NS1_11comp_targetILNS1_3genE9ELNS1_11target_archE1100ELNS1_3gpuE3ELNS1_3repE0EEENS1_30default_config_static_selectorELNS0_4arch9wavefront6targetE0EEEvS13_.private_seg_size, 0
	.set _ZN7rocprim17ROCPRIM_400000_NS6detail17trampoline_kernelINS0_13select_configILj256ELj13ELNS0_17block_load_methodE3ELS4_3ELS4_3ELNS0_20block_scan_algorithmE0ELj4294967295EEENS1_25partition_config_selectorILNS1_17partition_subalgoE4EjNS0_10empty_typeEbEEZZNS1_14partition_implILS8_4ELb0ES6_15HIP_vector_typeIjLj2EENS0_17counting_iteratorIjlEEPS9_SG_NS0_5tupleIJPjSI_NS0_16reverse_iteratorISI_EEEEENSH_IJSG_SG_SG_EEES9_SI_JZNS1_25segmented_radix_sort_implINS0_14default_configELb0EPK6__halfPSP_PKlPlN2at6native12_GLOBAL__N_18offset_tEEE10hipError_tPvRmT1_PNSt15iterator_traitsIS13_E10value_typeET2_T3_PNS14_IS19_E10value_typeET4_jRbjT5_S1F_jjP12ihipStream_tbEUljE_ZNSN_ISO_Lb0ESR_SS_SU_SV_SZ_EES10_S11_S12_S13_S17_S18_S19_S1C_S1D_jS1E_jS1F_S1F_jjS1H_bEUljE0_EEES10_S11_S12_S19_S1D_S1F_T6_T7_T9_mT8_S1H_bDpT10_ENKUlT_T0_E_clISt17integral_constantIbLb0EES1U_IbLb1EEEEDaS1Q_S1R_EUlS1Q_E_NS1_11comp_targetILNS1_3genE9ELNS1_11target_archE1100ELNS1_3gpuE3ELNS1_3repE0EEENS1_30default_config_static_selectorELNS0_4arch9wavefront6targetE0EEEvS13_.uses_vcc, 0
	.set _ZN7rocprim17ROCPRIM_400000_NS6detail17trampoline_kernelINS0_13select_configILj256ELj13ELNS0_17block_load_methodE3ELS4_3ELS4_3ELNS0_20block_scan_algorithmE0ELj4294967295EEENS1_25partition_config_selectorILNS1_17partition_subalgoE4EjNS0_10empty_typeEbEEZZNS1_14partition_implILS8_4ELb0ES6_15HIP_vector_typeIjLj2EENS0_17counting_iteratorIjlEEPS9_SG_NS0_5tupleIJPjSI_NS0_16reverse_iteratorISI_EEEEENSH_IJSG_SG_SG_EEES9_SI_JZNS1_25segmented_radix_sort_implINS0_14default_configELb0EPK6__halfPSP_PKlPlN2at6native12_GLOBAL__N_18offset_tEEE10hipError_tPvRmT1_PNSt15iterator_traitsIS13_E10value_typeET2_T3_PNS14_IS19_E10value_typeET4_jRbjT5_S1F_jjP12ihipStream_tbEUljE_ZNSN_ISO_Lb0ESR_SS_SU_SV_SZ_EES10_S11_S12_S13_S17_S18_S19_S1C_S1D_jS1E_jS1F_S1F_jjS1H_bEUljE0_EEES10_S11_S12_S19_S1D_S1F_T6_T7_T9_mT8_S1H_bDpT10_ENKUlT_T0_E_clISt17integral_constantIbLb0EES1U_IbLb1EEEEDaS1Q_S1R_EUlS1Q_E_NS1_11comp_targetILNS1_3genE9ELNS1_11target_archE1100ELNS1_3gpuE3ELNS1_3repE0EEENS1_30default_config_static_selectorELNS0_4arch9wavefront6targetE0EEEvS13_.uses_flat_scratch, 0
	.set _ZN7rocprim17ROCPRIM_400000_NS6detail17trampoline_kernelINS0_13select_configILj256ELj13ELNS0_17block_load_methodE3ELS4_3ELS4_3ELNS0_20block_scan_algorithmE0ELj4294967295EEENS1_25partition_config_selectorILNS1_17partition_subalgoE4EjNS0_10empty_typeEbEEZZNS1_14partition_implILS8_4ELb0ES6_15HIP_vector_typeIjLj2EENS0_17counting_iteratorIjlEEPS9_SG_NS0_5tupleIJPjSI_NS0_16reverse_iteratorISI_EEEEENSH_IJSG_SG_SG_EEES9_SI_JZNS1_25segmented_radix_sort_implINS0_14default_configELb0EPK6__halfPSP_PKlPlN2at6native12_GLOBAL__N_18offset_tEEE10hipError_tPvRmT1_PNSt15iterator_traitsIS13_E10value_typeET2_T3_PNS14_IS19_E10value_typeET4_jRbjT5_S1F_jjP12ihipStream_tbEUljE_ZNSN_ISO_Lb0ESR_SS_SU_SV_SZ_EES10_S11_S12_S13_S17_S18_S19_S1C_S1D_jS1E_jS1F_S1F_jjS1H_bEUljE0_EEES10_S11_S12_S19_S1D_S1F_T6_T7_T9_mT8_S1H_bDpT10_ENKUlT_T0_E_clISt17integral_constantIbLb0EES1U_IbLb1EEEEDaS1Q_S1R_EUlS1Q_E_NS1_11comp_targetILNS1_3genE9ELNS1_11target_archE1100ELNS1_3gpuE3ELNS1_3repE0EEENS1_30default_config_static_selectorELNS0_4arch9wavefront6targetE0EEEvS13_.has_dyn_sized_stack, 0
	.set _ZN7rocprim17ROCPRIM_400000_NS6detail17trampoline_kernelINS0_13select_configILj256ELj13ELNS0_17block_load_methodE3ELS4_3ELS4_3ELNS0_20block_scan_algorithmE0ELj4294967295EEENS1_25partition_config_selectorILNS1_17partition_subalgoE4EjNS0_10empty_typeEbEEZZNS1_14partition_implILS8_4ELb0ES6_15HIP_vector_typeIjLj2EENS0_17counting_iteratorIjlEEPS9_SG_NS0_5tupleIJPjSI_NS0_16reverse_iteratorISI_EEEEENSH_IJSG_SG_SG_EEES9_SI_JZNS1_25segmented_radix_sort_implINS0_14default_configELb0EPK6__halfPSP_PKlPlN2at6native12_GLOBAL__N_18offset_tEEE10hipError_tPvRmT1_PNSt15iterator_traitsIS13_E10value_typeET2_T3_PNS14_IS19_E10value_typeET4_jRbjT5_S1F_jjP12ihipStream_tbEUljE_ZNSN_ISO_Lb0ESR_SS_SU_SV_SZ_EES10_S11_S12_S13_S17_S18_S19_S1C_S1D_jS1E_jS1F_S1F_jjS1H_bEUljE0_EEES10_S11_S12_S19_S1D_S1F_T6_T7_T9_mT8_S1H_bDpT10_ENKUlT_T0_E_clISt17integral_constantIbLb0EES1U_IbLb1EEEEDaS1Q_S1R_EUlS1Q_E_NS1_11comp_targetILNS1_3genE9ELNS1_11target_archE1100ELNS1_3gpuE3ELNS1_3repE0EEENS1_30default_config_static_selectorELNS0_4arch9wavefront6targetE0EEEvS13_.has_recursion, 0
	.set _ZN7rocprim17ROCPRIM_400000_NS6detail17trampoline_kernelINS0_13select_configILj256ELj13ELNS0_17block_load_methodE3ELS4_3ELS4_3ELNS0_20block_scan_algorithmE0ELj4294967295EEENS1_25partition_config_selectorILNS1_17partition_subalgoE4EjNS0_10empty_typeEbEEZZNS1_14partition_implILS8_4ELb0ES6_15HIP_vector_typeIjLj2EENS0_17counting_iteratorIjlEEPS9_SG_NS0_5tupleIJPjSI_NS0_16reverse_iteratorISI_EEEEENSH_IJSG_SG_SG_EEES9_SI_JZNS1_25segmented_radix_sort_implINS0_14default_configELb0EPK6__halfPSP_PKlPlN2at6native12_GLOBAL__N_18offset_tEEE10hipError_tPvRmT1_PNSt15iterator_traitsIS13_E10value_typeET2_T3_PNS14_IS19_E10value_typeET4_jRbjT5_S1F_jjP12ihipStream_tbEUljE_ZNSN_ISO_Lb0ESR_SS_SU_SV_SZ_EES10_S11_S12_S13_S17_S18_S19_S1C_S1D_jS1E_jS1F_S1F_jjS1H_bEUljE0_EEES10_S11_S12_S19_S1D_S1F_T6_T7_T9_mT8_S1H_bDpT10_ENKUlT_T0_E_clISt17integral_constantIbLb0EES1U_IbLb1EEEEDaS1Q_S1R_EUlS1Q_E_NS1_11comp_targetILNS1_3genE9ELNS1_11target_archE1100ELNS1_3gpuE3ELNS1_3repE0EEENS1_30default_config_static_selectorELNS0_4arch9wavefront6targetE0EEEvS13_.has_indirect_call, 0
	.section	.AMDGPU.csdata,"",@progbits
; Kernel info:
; codeLenInByte = 0
; TotalNumSgprs: 0
; NumVgprs: 0
; ScratchSize: 0
; MemoryBound: 0
; FloatMode: 240
; IeeeMode: 1
; LDSByteSize: 0 bytes/workgroup (compile time only)
; SGPRBlocks: 0
; VGPRBlocks: 0
; NumSGPRsForWavesPerEU: 1
; NumVGPRsForWavesPerEU: 1
; Occupancy: 16
; WaveLimiterHint : 0
; COMPUTE_PGM_RSRC2:SCRATCH_EN: 0
; COMPUTE_PGM_RSRC2:USER_SGPR: 6
; COMPUTE_PGM_RSRC2:TRAP_HANDLER: 0
; COMPUTE_PGM_RSRC2:TGID_X_EN: 1
; COMPUTE_PGM_RSRC2:TGID_Y_EN: 0
; COMPUTE_PGM_RSRC2:TGID_Z_EN: 0
; COMPUTE_PGM_RSRC2:TIDIG_COMP_CNT: 0
	.section	.text._ZN7rocprim17ROCPRIM_400000_NS6detail17trampoline_kernelINS0_13select_configILj256ELj13ELNS0_17block_load_methodE3ELS4_3ELS4_3ELNS0_20block_scan_algorithmE0ELj4294967295EEENS1_25partition_config_selectorILNS1_17partition_subalgoE4EjNS0_10empty_typeEbEEZZNS1_14partition_implILS8_4ELb0ES6_15HIP_vector_typeIjLj2EENS0_17counting_iteratorIjlEEPS9_SG_NS0_5tupleIJPjSI_NS0_16reverse_iteratorISI_EEEEENSH_IJSG_SG_SG_EEES9_SI_JZNS1_25segmented_radix_sort_implINS0_14default_configELb0EPK6__halfPSP_PKlPlN2at6native12_GLOBAL__N_18offset_tEEE10hipError_tPvRmT1_PNSt15iterator_traitsIS13_E10value_typeET2_T3_PNS14_IS19_E10value_typeET4_jRbjT5_S1F_jjP12ihipStream_tbEUljE_ZNSN_ISO_Lb0ESR_SS_SU_SV_SZ_EES10_S11_S12_S13_S17_S18_S19_S1C_S1D_jS1E_jS1F_S1F_jjS1H_bEUljE0_EEES10_S11_S12_S19_S1D_S1F_T6_T7_T9_mT8_S1H_bDpT10_ENKUlT_T0_E_clISt17integral_constantIbLb0EES1U_IbLb1EEEEDaS1Q_S1R_EUlS1Q_E_NS1_11comp_targetILNS1_3genE8ELNS1_11target_archE1030ELNS1_3gpuE2ELNS1_3repE0EEENS1_30default_config_static_selectorELNS0_4arch9wavefront6targetE0EEEvS13_,"axG",@progbits,_ZN7rocprim17ROCPRIM_400000_NS6detail17trampoline_kernelINS0_13select_configILj256ELj13ELNS0_17block_load_methodE3ELS4_3ELS4_3ELNS0_20block_scan_algorithmE0ELj4294967295EEENS1_25partition_config_selectorILNS1_17partition_subalgoE4EjNS0_10empty_typeEbEEZZNS1_14partition_implILS8_4ELb0ES6_15HIP_vector_typeIjLj2EENS0_17counting_iteratorIjlEEPS9_SG_NS0_5tupleIJPjSI_NS0_16reverse_iteratorISI_EEEEENSH_IJSG_SG_SG_EEES9_SI_JZNS1_25segmented_radix_sort_implINS0_14default_configELb0EPK6__halfPSP_PKlPlN2at6native12_GLOBAL__N_18offset_tEEE10hipError_tPvRmT1_PNSt15iterator_traitsIS13_E10value_typeET2_T3_PNS14_IS19_E10value_typeET4_jRbjT5_S1F_jjP12ihipStream_tbEUljE_ZNSN_ISO_Lb0ESR_SS_SU_SV_SZ_EES10_S11_S12_S13_S17_S18_S19_S1C_S1D_jS1E_jS1F_S1F_jjS1H_bEUljE0_EEES10_S11_S12_S19_S1D_S1F_T6_T7_T9_mT8_S1H_bDpT10_ENKUlT_T0_E_clISt17integral_constantIbLb0EES1U_IbLb1EEEEDaS1Q_S1R_EUlS1Q_E_NS1_11comp_targetILNS1_3genE8ELNS1_11target_archE1030ELNS1_3gpuE2ELNS1_3repE0EEENS1_30default_config_static_selectorELNS0_4arch9wavefront6targetE0EEEvS13_,comdat
	.globl	_ZN7rocprim17ROCPRIM_400000_NS6detail17trampoline_kernelINS0_13select_configILj256ELj13ELNS0_17block_load_methodE3ELS4_3ELS4_3ELNS0_20block_scan_algorithmE0ELj4294967295EEENS1_25partition_config_selectorILNS1_17partition_subalgoE4EjNS0_10empty_typeEbEEZZNS1_14partition_implILS8_4ELb0ES6_15HIP_vector_typeIjLj2EENS0_17counting_iteratorIjlEEPS9_SG_NS0_5tupleIJPjSI_NS0_16reverse_iteratorISI_EEEEENSH_IJSG_SG_SG_EEES9_SI_JZNS1_25segmented_radix_sort_implINS0_14default_configELb0EPK6__halfPSP_PKlPlN2at6native12_GLOBAL__N_18offset_tEEE10hipError_tPvRmT1_PNSt15iterator_traitsIS13_E10value_typeET2_T3_PNS14_IS19_E10value_typeET4_jRbjT5_S1F_jjP12ihipStream_tbEUljE_ZNSN_ISO_Lb0ESR_SS_SU_SV_SZ_EES10_S11_S12_S13_S17_S18_S19_S1C_S1D_jS1E_jS1F_S1F_jjS1H_bEUljE0_EEES10_S11_S12_S19_S1D_S1F_T6_T7_T9_mT8_S1H_bDpT10_ENKUlT_T0_E_clISt17integral_constantIbLb0EES1U_IbLb1EEEEDaS1Q_S1R_EUlS1Q_E_NS1_11comp_targetILNS1_3genE8ELNS1_11target_archE1030ELNS1_3gpuE2ELNS1_3repE0EEENS1_30default_config_static_selectorELNS0_4arch9wavefront6targetE0EEEvS13_ ; -- Begin function _ZN7rocprim17ROCPRIM_400000_NS6detail17trampoline_kernelINS0_13select_configILj256ELj13ELNS0_17block_load_methodE3ELS4_3ELS4_3ELNS0_20block_scan_algorithmE0ELj4294967295EEENS1_25partition_config_selectorILNS1_17partition_subalgoE4EjNS0_10empty_typeEbEEZZNS1_14partition_implILS8_4ELb0ES6_15HIP_vector_typeIjLj2EENS0_17counting_iteratorIjlEEPS9_SG_NS0_5tupleIJPjSI_NS0_16reverse_iteratorISI_EEEEENSH_IJSG_SG_SG_EEES9_SI_JZNS1_25segmented_radix_sort_implINS0_14default_configELb0EPK6__halfPSP_PKlPlN2at6native12_GLOBAL__N_18offset_tEEE10hipError_tPvRmT1_PNSt15iterator_traitsIS13_E10value_typeET2_T3_PNS14_IS19_E10value_typeET4_jRbjT5_S1F_jjP12ihipStream_tbEUljE_ZNSN_ISO_Lb0ESR_SS_SU_SV_SZ_EES10_S11_S12_S13_S17_S18_S19_S1C_S1D_jS1E_jS1F_S1F_jjS1H_bEUljE0_EEES10_S11_S12_S19_S1D_S1F_T6_T7_T9_mT8_S1H_bDpT10_ENKUlT_T0_E_clISt17integral_constantIbLb0EES1U_IbLb1EEEEDaS1Q_S1R_EUlS1Q_E_NS1_11comp_targetILNS1_3genE8ELNS1_11target_archE1030ELNS1_3gpuE2ELNS1_3repE0EEENS1_30default_config_static_selectorELNS0_4arch9wavefront6targetE0EEEvS13_
	.p2align	8
	.type	_ZN7rocprim17ROCPRIM_400000_NS6detail17trampoline_kernelINS0_13select_configILj256ELj13ELNS0_17block_load_methodE3ELS4_3ELS4_3ELNS0_20block_scan_algorithmE0ELj4294967295EEENS1_25partition_config_selectorILNS1_17partition_subalgoE4EjNS0_10empty_typeEbEEZZNS1_14partition_implILS8_4ELb0ES6_15HIP_vector_typeIjLj2EENS0_17counting_iteratorIjlEEPS9_SG_NS0_5tupleIJPjSI_NS0_16reverse_iteratorISI_EEEEENSH_IJSG_SG_SG_EEES9_SI_JZNS1_25segmented_radix_sort_implINS0_14default_configELb0EPK6__halfPSP_PKlPlN2at6native12_GLOBAL__N_18offset_tEEE10hipError_tPvRmT1_PNSt15iterator_traitsIS13_E10value_typeET2_T3_PNS14_IS19_E10value_typeET4_jRbjT5_S1F_jjP12ihipStream_tbEUljE_ZNSN_ISO_Lb0ESR_SS_SU_SV_SZ_EES10_S11_S12_S13_S17_S18_S19_S1C_S1D_jS1E_jS1F_S1F_jjS1H_bEUljE0_EEES10_S11_S12_S19_S1D_S1F_T6_T7_T9_mT8_S1H_bDpT10_ENKUlT_T0_E_clISt17integral_constantIbLb0EES1U_IbLb1EEEEDaS1Q_S1R_EUlS1Q_E_NS1_11comp_targetILNS1_3genE8ELNS1_11target_archE1030ELNS1_3gpuE2ELNS1_3repE0EEENS1_30default_config_static_selectorELNS0_4arch9wavefront6targetE0EEEvS13_,@function
_ZN7rocprim17ROCPRIM_400000_NS6detail17trampoline_kernelINS0_13select_configILj256ELj13ELNS0_17block_load_methodE3ELS4_3ELS4_3ELNS0_20block_scan_algorithmE0ELj4294967295EEENS1_25partition_config_selectorILNS1_17partition_subalgoE4EjNS0_10empty_typeEbEEZZNS1_14partition_implILS8_4ELb0ES6_15HIP_vector_typeIjLj2EENS0_17counting_iteratorIjlEEPS9_SG_NS0_5tupleIJPjSI_NS0_16reverse_iteratorISI_EEEEENSH_IJSG_SG_SG_EEES9_SI_JZNS1_25segmented_radix_sort_implINS0_14default_configELb0EPK6__halfPSP_PKlPlN2at6native12_GLOBAL__N_18offset_tEEE10hipError_tPvRmT1_PNSt15iterator_traitsIS13_E10value_typeET2_T3_PNS14_IS19_E10value_typeET4_jRbjT5_S1F_jjP12ihipStream_tbEUljE_ZNSN_ISO_Lb0ESR_SS_SU_SV_SZ_EES10_S11_S12_S13_S17_S18_S19_S1C_S1D_jS1E_jS1F_S1F_jjS1H_bEUljE0_EEES10_S11_S12_S19_S1D_S1F_T6_T7_T9_mT8_S1H_bDpT10_ENKUlT_T0_E_clISt17integral_constantIbLb0EES1U_IbLb1EEEEDaS1Q_S1R_EUlS1Q_E_NS1_11comp_targetILNS1_3genE8ELNS1_11target_archE1030ELNS1_3gpuE2ELNS1_3repE0EEENS1_30default_config_static_selectorELNS0_4arch9wavefront6targetE0EEEvS13_: ; @_ZN7rocprim17ROCPRIM_400000_NS6detail17trampoline_kernelINS0_13select_configILj256ELj13ELNS0_17block_load_methodE3ELS4_3ELS4_3ELNS0_20block_scan_algorithmE0ELj4294967295EEENS1_25partition_config_selectorILNS1_17partition_subalgoE4EjNS0_10empty_typeEbEEZZNS1_14partition_implILS8_4ELb0ES6_15HIP_vector_typeIjLj2EENS0_17counting_iteratorIjlEEPS9_SG_NS0_5tupleIJPjSI_NS0_16reverse_iteratorISI_EEEEENSH_IJSG_SG_SG_EEES9_SI_JZNS1_25segmented_radix_sort_implINS0_14default_configELb0EPK6__halfPSP_PKlPlN2at6native12_GLOBAL__N_18offset_tEEE10hipError_tPvRmT1_PNSt15iterator_traitsIS13_E10value_typeET2_T3_PNS14_IS19_E10value_typeET4_jRbjT5_S1F_jjP12ihipStream_tbEUljE_ZNSN_ISO_Lb0ESR_SS_SU_SV_SZ_EES10_S11_S12_S13_S17_S18_S19_S1C_S1D_jS1E_jS1F_S1F_jjS1H_bEUljE0_EEES10_S11_S12_S19_S1D_S1F_T6_T7_T9_mT8_S1H_bDpT10_ENKUlT_T0_E_clISt17integral_constantIbLb0EES1U_IbLb1EEEEDaS1Q_S1R_EUlS1Q_E_NS1_11comp_targetILNS1_3genE8ELNS1_11target_archE1030ELNS1_3gpuE2ELNS1_3repE0EEENS1_30default_config_static_selectorELNS0_4arch9wavefront6targetE0EEEvS13_
; %bb.0:
	s_clause 0x7
	s_load_dwordx2 s[34:35], s[4:5], 0x10
	s_load_dwordx4 s[28:31], s[4:5], 0x28
	s_load_dwordx2 s[14:15], s[4:5], 0x38
	s_load_dwordx4 s[24:27], s[4:5], 0x58
	s_load_dwordx2 s[2:3], s[4:5], 0x68
	s_load_dwordx2 s[36:37], s[4:5], 0x78
	s_load_dwordx2 s[38:39], s[4:5], 0xb0
	s_load_dwordx8 s[16:23], s[4:5], 0x90
	v_cmp_eq_u32_e64 s0, 0, v0
	s_and_saveexec_b32 s1, s0
	s_cbranch_execz .LBB1799_4
; %bb.1:
	s_mov_b32 s7, exec_lo
	s_mov_b32 s6, exec_lo
	v_mbcnt_lo_u32_b32 v1, s7, 0
                                        ; implicit-def: $vgpr2
	v_cmpx_eq_u32_e32 0, v1
	s_cbranch_execz .LBB1799_3
; %bb.2:
	s_load_dwordx2 s[8:9], s[4:5], 0x88
	s_bcnt1_i32_b32 s7, s7
	v_mov_b32_e32 v2, 0
	v_mov_b32_e32 v3, s7
	s_waitcnt lgkmcnt(0)
	global_atomic_add v2, v2, v3, s[8:9] glc
.LBB1799_3:
	s_or_b32 exec_lo, exec_lo, s6
	s_waitcnt vmcnt(0)
	v_readfirstlane_b32 s6, v2
	v_mov_b32_e32 v2, 0
	v_add_nc_u32_e32 v1, s6, v1
	ds_write_b32 v2, v1
.LBB1799_4:
	s_or_b32 exec_lo, exec_lo, s1
	v_mov_b32_e32 v1, 0
	s_clause 0x1
	s_load_dword s6, s[4:5], 0x8
	s_load_dword s1, s[4:5], 0x80
	s_waitcnt lgkmcnt(0)
	s_barrier
	buffer_gl0_inv
	ds_read_b32 v5, v1
	s_waitcnt lgkmcnt(0)
	s_barrier
	buffer_gl0_inv
	global_load_dwordx4 v[1:4], v1, s[26:27]
	s_add_i32 s5, s6, s34
	s_mul_i32 s4, s1, 0xd00
	s_add_i32 s1, s1, -1
	s_add_u32 s6, s34, s4
	s_addc_u32 s7, s35, 0
	v_mul_lo_u32 v31, 0xd00, v5
	v_readfirstlane_b32 s27, v5
	v_cmp_gt_u64_e64 s3, s[2:3], s[6:7]
	v_cmp_ne_u32_e32 vcc_lo, s1, v5
	s_cmp_eq_u32 s27, s1
	s_cselect_b32 s26, -1, 0
	v_add3_u32 v5, v31, s5, v0
	s_or_b32 s1, s3, vcc_lo
	s_mov_b32 s3, -1
	s_and_b32 vcc_lo, exec_lo, s1
	v_add_nc_u32_e32 v6, 0x100, v5
	v_add_nc_u32_e32 v7, 0x200, v5
	v_add_nc_u32_e32 v8, 0x300, v5
	v_add_nc_u32_e32 v9, 0x400, v5
	v_add_nc_u32_e32 v10, 0x500, v5
	v_add_nc_u32_e32 v11, 0x600, v5
	v_add_nc_u32_e32 v12, 0x700, v5
	v_add_nc_u32_e32 v13, 0x800, v5
	v_add_nc_u32_e32 v14, 0x900, v5
	v_add_nc_u32_e32 v15, 0xa00, v5
	v_add_nc_u32_e32 v16, 0xb00, v5
	v_add_nc_u32_e32 v17, 0xc00, v5
	s_cbranch_vccz .LBB1799_6
; %bb.5:
	v_lshlrev_b32_e32 v18, 2, v0
	s_mov_b32 s3, 0
	ds_write2st64_b32 v18, v5, v6 offset1:4
	ds_write2st64_b32 v18, v7, v8 offset0:8 offset1:12
	ds_write2st64_b32 v18, v9, v10 offset0:16 offset1:20
	;; [unrolled: 1-line block ×5, first 2 shown]
	ds_write_b32 v18, v17 offset:12288
	s_waitcnt vmcnt(0) lgkmcnt(0)
	s_barrier
.LBB1799_6:
	s_andn2_b32 vcc_lo, exec_lo, s3
	s_add_i32 s4, s4, s34
	s_cbranch_vccnz .LBB1799_8
; %bb.7:
	v_lshlrev_b32_e32 v18, 2, v0
	ds_write2st64_b32 v18, v5, v6 offset1:4
	ds_write2st64_b32 v18, v7, v8 offset0:8 offset1:12
	ds_write2st64_b32 v18, v9, v10 offset0:16 offset1:20
	;; [unrolled: 1-line block ×5, first 2 shown]
	ds_write_b32 v18, v17 offset:12288
	s_waitcnt vmcnt(0) lgkmcnt(0)
	s_barrier
.LBB1799_8:
	v_mul_u32_u24_e32 v34, 13, v0
	s_waitcnt vmcnt(0)
	buffer_gl0_inv
	v_cndmask_b32_e64 v32, 0, 1, s1
	s_sub_i32 s33, s2, s4
	s_andn2_b32 vcc_lo, exec_lo, s1
	v_lshlrev_b32_e32 v5, 2, v34
	ds_read_b32 v33, v5 offset:48
	ds_read2_b32 v[13:14], v5 offset0:10 offset1:11
	ds_read2_b32 v[15:16], v5 offset0:8 offset1:9
	;; [unrolled: 1-line block ×4, first 2 shown]
	ds_read2_b32 v[23:24], v5 offset1:1
	ds_read2_b32 v[21:22], v5 offset0:2 offset1:3
	s_waitcnt lgkmcnt(0)
	s_barrier
	buffer_gl0_inv
	s_cbranch_vccnz .LBB1799_36
; %bb.9:
	v_add_nc_u32_e32 v5, s17, v23
	v_add_nc_u32_e32 v6, s19, v23
	s_mov_b32 s41, 0
	s_mov_b32 s40, 0
	s_mov_b32 s2, exec_lo
	v_mul_lo_u32 v5, v5, s16
	v_mul_lo_u32 v6, v6, s18
	v_sub_nc_u32_e32 v5, v5, v6
	v_cmp_lt_u32_e32 vcc_lo, s20, v5
	v_cmpx_ge_u32_e64 s20, v5
	s_cbranch_execz .LBB1799_11
; %bb.10:
	v_add_nc_u32_e32 v5, s22, v23
	v_add_nc_u32_e32 v6, s38, v23
	v_mul_lo_u32 v5, v5, s21
	v_mul_lo_u32 v6, v6, s23
	v_sub_nc_u32_e32 v5, v5, v6
	v_cmp_lt_u32_e64 s1, s39, v5
	s_and_b32 s40, s1, exec_lo
.LBB1799_11:
	s_or_b32 exec_lo, exec_lo, s2
	v_add_nc_u32_e32 v5, s17, v24
	v_add_nc_u32_e32 v6, s19, v24
	s_mov_b32 s3, exec_lo
	v_mul_lo_u32 v5, v5, s16
	v_mul_lo_u32 v6, v6, s18
	v_sub_nc_u32_e32 v5, v5, v6
	v_cmp_lt_u32_e64 s1, s20, v5
	v_cmpx_ge_u32_e64 s20, v5
	s_cbranch_execz .LBB1799_13
; %bb.12:
	v_add_nc_u32_e32 v5, s22, v24
	v_add_nc_u32_e32 v6, s38, v24
	v_mul_lo_u32 v5, v5, s21
	v_mul_lo_u32 v6, v6, s23
	v_sub_nc_u32_e32 v5, v5, v6
	v_cmp_lt_u32_e64 s2, s39, v5
	s_and_b32 s41, s2, exec_lo
.LBB1799_13:
	s_or_b32 exec_lo, exec_lo, s3
	v_add_nc_u32_e32 v5, s17, v21
	v_add_nc_u32_e32 v6, s19, v21
	s_mov_b32 s43, 0
	s_mov_b32 s42, 0
	s_mov_b32 s4, exec_lo
	v_mul_lo_u32 v5, v5, s16
	v_mul_lo_u32 v6, v6, s18
	v_sub_nc_u32_e32 v5, v5, v6
	v_cmp_lt_u32_e64 s2, s20, v5
	v_cmpx_ge_u32_e64 s20, v5
	s_cbranch_execz .LBB1799_15
; %bb.14:
	v_add_nc_u32_e32 v5, s22, v21
	v_add_nc_u32_e32 v6, s38, v21
	v_mul_lo_u32 v5, v5, s21
	v_mul_lo_u32 v6, v6, s23
	v_sub_nc_u32_e32 v5, v5, v6
	v_cmp_lt_u32_e64 s3, s39, v5
	s_and_b32 s42, s3, exec_lo
.LBB1799_15:
	s_or_b32 exec_lo, exec_lo, s4
	v_add_nc_u32_e32 v5, s17, v22
	v_add_nc_u32_e32 v6, s19, v22
	s_mov_b32 s5, exec_lo
	v_mul_lo_u32 v5, v5, s16
	v_mul_lo_u32 v6, v6, s18
	v_sub_nc_u32_e32 v5, v5, v6
	v_cmp_lt_u32_e64 s3, s20, v5
	v_cmpx_ge_u32_e64 s20, v5
	s_cbranch_execz .LBB1799_17
; %bb.16:
	v_add_nc_u32_e32 v5, s22, v22
	v_add_nc_u32_e32 v6, s38, v22
	v_mul_lo_u32 v5, v5, s21
	v_mul_lo_u32 v6, v6, s23
	v_sub_nc_u32_e32 v5, v5, v6
	v_cmp_lt_u32_e64 s4, s39, v5
	s_and_b32 s43, s4, exec_lo
.LBB1799_17:
	s_or_b32 exec_lo, exec_lo, s5
	v_add_nc_u32_e32 v5, s17, v19
	v_add_nc_u32_e32 v6, s19, v19
	s_mov_b32 s45, 0
	s_mov_b32 s44, 0
	s_mov_b32 s6, exec_lo
	v_mul_lo_u32 v5, v5, s16
	v_mul_lo_u32 v6, v6, s18
	v_sub_nc_u32_e32 v5, v5, v6
	v_cmp_lt_u32_e64 s4, s20, v5
	;; [unrolled: 40-line block ×6, first 2 shown]
	v_cmpx_ge_u32_e64 s20, v5
	s_cbranch_execz .LBB1799_35
; %bb.34:
	v_add_nc_u32_e32 v5, s22, v33
	v_add_nc_u32_e32 v6, s38, v33
	v_mul_lo_u32 v5, v5, s21
	v_mul_lo_u32 v6, v6, s23
	v_sub_nc_u32_e32 v5, v5, v6
	v_cmp_lt_u32_e64 s13, s39, v5
	s_and_b32 s53, s13, exec_lo
.LBB1799_35:
	s_or_b32 exec_lo, exec_lo, s54
	v_cndmask_b32_e64 v6, 0, 1, s1
	v_cndmask_b32_e64 v8, 0, 1, s3
	v_cndmask_b32_e64 v5, 0, 1, vcc_lo
	v_cndmask_b32_e64 v7, 0, 1, s2
	v_cndmask_b32_e64 v10, 0, 1, s5
	v_lshlrev_b16 v6, 8, v6
	v_lshlrev_b16 v8, 8, v8
	v_cndmask_b32_e64 v12, 0, 1, s7
	v_cndmask_b32_e64 v26, 0, 1, s9
	;; [unrolled: 1-line block ×3, first 2 shown]
	v_or_b32_e32 v5, v5, v6
	v_or_b32_sdwa v6, v7, v8 dst_sel:WORD_1 dst_unused:UNUSED_PAD src0_sel:DWORD src1_sel:DWORD
	v_cndmask_b32_e64 v7, 0, 1, s40
	v_cndmask_b32_e64 v9, 0, 1, s4
	;; [unrolled: 1-line block ×11, first 2 shown]
	v_or_b32_sdwa v35, v5, v6 dst_sel:DWORD dst_unused:UNUSED_PAD src0_sel:WORD_0 src1_sel:DWORD
	v_lshlrev_b16 v5, 8, v10
	v_lshlrev_b16 v6, 8, v12
	;; [unrolled: 1-line block ×5, first 2 shown]
	v_cndmask_b32_e64 v30, 0, 1, s49
	v_cndmask_b32_e64 v37, 0, 1, s47
	;; [unrolled: 1-line block ×5, first 2 shown]
	v_or_b32_e32 v5, v9, v5
	v_or_b32_sdwa v6, v11, v6 dst_sel:WORD_1 dst_unused:UNUSED_PAD src0_sel:DWORD src1_sel:DWORD
	v_or_b32_e32 v9, v25, v10
	v_or_b32_sdwa v10, v27, v12 dst_sel:WORD_1 dst_unused:UNUSED_PAD src0_sel:DWORD src1_sel:DWORD
	v_or_b32_e32 v7, v8, v7
	v_lshlrev_b16 v8, 8, v44
	v_lshlrev_b16 v11, 8, v41
	;; [unrolled: 1-line block ×5, first 2 shown]
	v_or_b32_sdwa v8, v45, v8 dst_sel:WORD_1 dst_unused:UNUSED_PAD src0_sel:DWORD src1_sel:DWORD
	v_or_b32_e32 v11, v43, v11
	v_or_b32_sdwa v12, v40, v12 dst_sel:WORD_1 dst_unused:UNUSED_PAD src0_sel:DWORD src1_sel:DWORD
	v_or_b32_e32 v25, v37, v25
	v_or_b32_sdwa v26, v30, v26 dst_sel:WORD_1 dst_unused:UNUSED_PAD src0_sel:DWORD src1_sel:DWORD
	v_cndmask_b32_e64 v39, 0, 1, s51
	v_cndmask_b32_e64 v42, 0, 1, s53
	v_or_b32_sdwa v37, v5, v6 dst_sel:DWORD dst_unused:UNUSED_PAD src0_sel:WORD_0 src1_sel:DWORD
	v_or_b32_sdwa v40, v9, v10 dst_sel:DWORD dst_unused:UNUSED_PAD src0_sel:WORD_0 src1_sel:DWORD
	;; [unrolled: 1-line block ×5, first 2 shown]
	s_and_b32 vcc_lo, exec_lo, s50
	s_add_i32 s5, s33, 0xd00
	s_cbranch_vccnz .LBB1799_37
	s_branch .LBB1799_114
.LBB1799_36:
                                        ; implicit-def: $vgpr42
                                        ; implicit-def: $vgpr39
                                        ; implicit-def: $vgpr38
                                        ; implicit-def: $vgpr36
                                        ; implicit-def: $vgpr41
                                        ; implicit-def: $vgpr40
                                        ; implicit-def: $vgpr37
                                        ; implicit-def: $vgpr35
	s_add_i32 s5, s33, 0xd00
	s_cbranch_execz .LBB1799_114
.LBB1799_37:
	v_mov_b32_e32 v6, 0
	v_mov_b32_e32 v5, 0
	s_mov_b32 s2, exec_lo
	v_cmpx_gt_u32_e64 s5, v34
	s_cbranch_execz .LBB1799_41
; %bb.38:
	v_add_nc_u32_e32 v5, s17, v23
	v_add_nc_u32_e32 v6, s19, v23
	s_mov_b32 s4, 0
	s_mov_b32 s3, exec_lo
	v_mul_lo_u32 v5, v5, s16
	v_mul_lo_u32 v6, v6, s18
	v_sub_nc_u32_e32 v5, v5, v6
	v_cmp_lt_u32_e32 vcc_lo, s20, v5
	v_cmpx_ge_u32_e64 s20, v5
	s_cbranch_execz .LBB1799_40
; %bb.39:
	v_add_nc_u32_e32 v5, s22, v23
	v_add_nc_u32_e32 v6, s38, v23
	v_mul_lo_u32 v5, v5, s21
	v_mul_lo_u32 v6, v6, s23
	v_sub_nc_u32_e32 v5, v5, v6
	v_cmp_lt_u32_e64 s1, s39, v5
	s_and_b32 s4, s1, exec_lo
.LBB1799_40:
	s_or_b32 exec_lo, exec_lo, s3
	v_cndmask_b32_e64 v6, 0, 1, s4
	v_cndmask_b32_e64 v5, 0, 1, vcc_lo
.LBB1799_41:
	s_or_b32 exec_lo, exec_lo, s2
	v_add_nc_u32_e32 v7, 1, v34
	v_lshlrev_b16 v25, 8, v6
	v_and_b32_e32 v10, 0xff, v5
	v_lshlrev_b16 v11, 8, 0
                                        ; implicit-def: $vgpr9
                                        ; implicit-def: $vgpr12
                                        ; implicit-def: $vgpr6
                                        ; implicit-def: $vgpr8
	v_cmp_le_u32_e32 vcc_lo, s5, v7
                                        ; implicit-def: $vgpr7
	s_and_saveexec_b32 s1, vcc_lo
	s_xor_b32 s1, exec_lo, s1
	s_cbranch_execz .LBB1799_43
; %bb.42:
	v_mov_b32_e32 v5, 8
	v_mov_b32_e32 v6, 0xff
	;; [unrolled: 1-line block ×3, first 2 shown]
	v_and_b32_e32 v8, 0xffff, v11
	v_and_b32_e32 v7, 0xffff, v11
	v_lshrrev_b32_sdwa v5, v5, v25 dst_sel:BYTE_1 dst_unused:UNUSED_PAD src0_sel:DWORD src1_sel:WORD_0
	v_and_b32_sdwa v6, v25, v6 dst_sel:DWORD dst_unused:UNUSED_PAD src0_sel:WORD_0 src1_sel:DWORD
                                        ; implicit-def: $vgpr25
	v_or_b32_e32 v5, v6, v5
	v_and_b32_e32 v6, 0xffff, v11
                                        ; implicit-def: $vgpr11
	v_and_b32_e32 v12, 0xffff, v5
                                        ; implicit-def: $vgpr5
.LBB1799_43:
	s_andn2_saveexec_b32 s2, s1
	s_cbranch_execz .LBB1799_47
; %bb.44:
	v_add_nc_u32_e32 v6, s17, v24
	v_add_nc_u32_e32 v7, s19, v24
	s_mov_b32 s3, 0
	s_mov_b32 s4, exec_lo
	v_mul_lo_u32 v6, v6, s16
	v_mul_lo_u32 v7, v7, s18
	v_sub_nc_u32_e32 v6, v6, v7
	v_cmp_lt_u32_e32 vcc_lo, s20, v6
	v_cmpx_ge_u32_e64 s20, v6
	s_cbranch_execz .LBB1799_46
; %bb.45:
	v_add_nc_u32_e32 v6, s22, v24
	v_add_nc_u32_e32 v7, s38, v24
	v_mul_lo_u32 v6, v6, s21
	v_mul_lo_u32 v7, v7, s23
	v_sub_nc_u32_e32 v6, v6, v7
	v_cmp_lt_u32_e64 s1, s39, v6
	s_and_b32 s3, s1, exec_lo
.LBB1799_46:
	s_or_b32 exec_lo, exec_lo, s4
	v_mov_b32_e32 v6, 0xff
	v_mov_b32_e32 v7, 8
	v_cndmask_b32_e64 v8, 0, 1, vcc_lo
	v_mov_b32_e32 v9, 0
	v_and_b32_sdwa v6, v25, v6 dst_sel:DWORD dst_unused:UNUSED_PAD src0_sel:WORD_0 src1_sel:DWORD
	v_lshrrev_b32_sdwa v7, v7, v25 dst_sel:BYTE_1 dst_unused:UNUSED_PAD src0_sel:DWORD src1_sel:WORD_0
	v_lshlrev_b16 v8, 8, v8
	v_or_b32_e32 v6, v6, v7
	v_cndmask_b32_e64 v7, 0, 1, s3
	v_or_b32_sdwa v5, v5, v8 dst_sel:DWORD dst_unused:UNUSED_PAD src0_sel:BYTE_0 src1_sel:DWORD
	v_and_b32_e32 v8, 0xffff, v11
	v_and_b32_e32 v12, 0xffff, v6
	v_mov_b32_e32 v6, 0
	v_and_b32_e32 v10, 0xffff, v5
	v_lshl_or_b32 v12, v7, 16, v12
	v_and_b32_e32 v7, 0xffff, v11
.LBB1799_47:
	s_or_b32 exec_lo, exec_lo, s2
	v_add_nc_u32_e32 v5, 2, v34
                                        ; implicit-def: $vgpr11
	v_cmp_le_u32_e32 vcc_lo, s5, v5
                                        ; implicit-def: $vgpr5
	s_and_saveexec_b32 s1, vcc_lo
	s_xor_b32 s1, exec_lo, s1
	s_cbranch_execz .LBB1799_49
; %bb.48:
	v_lshrrev_b32_e32 v5, 24, v10
	v_mov_b32_e32 v11, 8
	v_and_b32_e32 v25, 0xff0000, v12
	v_perm_b32 v8, v8, v8, 0x3060504
	v_perm_b32 v5, v5, v10, 0x40c0100
	v_lshrrev_b32_sdwa v10, v11, v5 dst_sel:BYTE_1 dst_unused:UNUSED_PAD src0_sel:DWORD src1_sel:DWORD
	v_or_b32_sdwa v10, v5, v10 dst_sel:DWORD dst_unused:UNUSED_PAD src0_sel:BYTE_0 src1_sel:DWORD
	v_and_b32_e32 v10, 0xffff, v10
	v_and_or_b32 v11, 0xff000000, v5, v10
	v_perm_b32 v5, v12, v25, 0x3020504
                                        ; implicit-def: $vgpr10
                                        ; implicit-def: $vgpr12
.LBB1799_49:
	s_andn2_saveexec_b32 s2, s1
	s_cbranch_execz .LBB1799_53
; %bb.50:
	v_add_nc_u32_e32 v5, s17, v21
	v_add_nc_u32_e32 v11, s19, v21
	s_mov_b32 s3, 0
	s_mov_b32 s4, exec_lo
	v_mul_lo_u32 v5, v5, s16
	v_mul_lo_u32 v11, v11, s18
	v_sub_nc_u32_e32 v5, v5, v11
	v_cmp_lt_u32_e32 vcc_lo, s20, v5
	v_cmpx_ge_u32_e64 s20, v5
	s_cbranch_execz .LBB1799_52
; %bb.51:
	v_add_nc_u32_e32 v5, s22, v21
	v_add_nc_u32_e32 v11, s38, v21
	v_mul_lo_u32 v5, v5, s21
	v_mul_lo_u32 v11, v11, s23
	v_sub_nc_u32_e32 v5, v5, v11
	v_cmp_lt_u32_e64 s1, s39, v5
	s_and_b32 s3, s1, exec_lo
.LBB1799_52:
	s_or_b32 exec_lo, exec_lo, s4
	v_mov_b32_e32 v5, 8
	v_mov_b32_e32 v11, 24
	v_cndmask_b32_e64 v26, 0, 1, s3
	v_mov_b32_e32 v27, 0xff
	v_cndmask_b32_e64 v25, 0, 1, vcc_lo
	v_lshrrev_b32_sdwa v28, v5, v10 dst_sel:BYTE_1 dst_unused:UNUSED_PAD src0_sel:DWORD src1_sel:DWORD
	v_lshrrev_b32_sdwa v11, v11, v10 dst_sel:BYTE_1 dst_unused:UNUSED_PAD src0_sel:DWORD src1_sel:DWORD
	;; [unrolled: 1-line block ×3, first 2 shown]
	v_lshlrev_b16 v26, 8, v26
	v_and_b32_sdwa v27, v12, v27 dst_sel:DWORD dst_unused:UNUSED_PAD src0_sel:WORD_1 src1_sel:DWORD
	v_or_b32_sdwa v10, v10, v28 dst_sel:DWORD dst_unused:UNUSED_PAD src0_sel:BYTE_0 src1_sel:DWORD
	v_or_b32_sdwa v11, v25, v11 dst_sel:WORD_1 dst_unused:UNUSED_PAD src0_sel:DWORD src1_sel:DWORD
	v_or_b32_sdwa v5, v12, v5 dst_sel:DWORD dst_unused:UNUSED_PAD src0_sel:BYTE_0 src1_sel:DWORD
	v_or_b32_sdwa v12, v27, v26 dst_sel:WORD_1 dst_unused:UNUSED_PAD src0_sel:DWORD src1_sel:DWORD
	v_or_b32_sdwa v11, v10, v11 dst_sel:DWORD dst_unused:UNUSED_PAD src0_sel:WORD_0 src1_sel:DWORD
	v_or_b32_sdwa v5, v5, v12 dst_sel:DWORD dst_unused:UNUSED_PAD src0_sel:WORD_0 src1_sel:DWORD
.LBB1799_53:
	s_or_b32 exec_lo, exec_lo, s2
	v_add_nc_u32_e32 v10, 3, v34
                                        ; implicit-def: $vgpr35
	v_cmp_le_u32_e32 vcc_lo, s5, v10
                                        ; implicit-def: $vgpr10
	s_and_saveexec_b32 s1, vcc_lo
	s_xor_b32 s1, exec_lo, s1
	s_cbranch_execz .LBB1799_55
; %bb.54:
	v_mov_b32_e32 v10, 24
	v_mov_b32_e32 v12, 0xff
	;; [unrolled: 1-line block ×3, first 2 shown]
	v_and_b32_e32 v26, 0xff0000, v11
	v_perm_b32 v8, v8, v8, 0x3060504
	v_lshrrev_b32_sdwa v10, v10, v9 dst_sel:BYTE_1 dst_unused:UNUSED_PAD src0_sel:DWORD src1_sel:DWORD
	v_and_b32_sdwa v12, v9, v12 dst_sel:DWORD dst_unused:UNUSED_PAD src0_sel:WORD_1 src1_sel:DWORD
	v_lshrrev_b32_sdwa v9, v25, v9 dst_sel:BYTE_1 dst_unused:UNUSED_PAD src0_sel:DWORD src1_sel:DWORD
	v_perm_b32 v35, v11, v26, 0x3020504
	v_perm_b32 v7, v7, v7, 0x3060504
                                        ; implicit-def: $vgpr11
	v_or_b32_sdwa v10, v12, v10 dst_sel:WORD_1 dst_unused:UNUSED_PAD src0_sel:DWORD src1_sel:DWORD
	v_or_b32_sdwa v10, v9, v10 dst_sel:DWORD dst_unused:UNUSED_PAD src0_sel:WORD_0 src1_sel:DWORD
                                        ; implicit-def: $vgpr9
.LBB1799_55:
	s_andn2_saveexec_b32 s2, s1
	s_cbranch_execz .LBB1799_59
; %bb.56:
	v_add_nc_u32_e32 v10, s17, v22
	v_add_nc_u32_e32 v12, s19, v22
	s_mov_b32 s3, 0
	s_mov_b32 s4, exec_lo
	v_mul_lo_u32 v10, v10, s16
	v_mul_lo_u32 v12, v12, s18
	v_sub_nc_u32_e32 v10, v10, v12
	v_cmp_lt_u32_e32 vcc_lo, s20, v10
	v_cmpx_ge_u32_e64 s20, v10
	s_cbranch_execz .LBB1799_58
; %bb.57:
	v_add_nc_u32_e32 v10, s22, v22
	v_add_nc_u32_e32 v12, s38, v22
	v_mul_lo_u32 v10, v10, s21
	v_mul_lo_u32 v12, v12, s23
	v_sub_nc_u32_e32 v10, v10, v12
	v_cmp_lt_u32_e64 s1, s39, v10
	s_and_b32 s3, s1, exec_lo
.LBB1799_58:
	s_or_b32 exec_lo, exec_lo, s4
	v_mov_b32_e32 v10, 8
	v_cndmask_b32_e64 v12, 0, 1, vcc_lo
	v_mov_b32_e32 v25, 0xff
	v_mov_b32_e32 v26, 24
	v_cndmask_b32_e64 v27, 0, 1, s3
	v_lshrrev_b32_sdwa v28, v10, v11 dst_sel:BYTE_1 dst_unused:UNUSED_PAD src0_sel:DWORD src1_sel:DWORD
	v_lshlrev_b16 v12, 8, v12
	v_and_b32_sdwa v29, v11, v25 dst_sel:DWORD dst_unused:UNUSED_PAD src0_sel:WORD_1 src1_sel:DWORD
	v_lshrrev_b32_sdwa v26, v26, v9 dst_sel:BYTE_1 dst_unused:UNUSED_PAD src0_sel:DWORD src1_sel:DWORD
	v_and_b32_sdwa v25, v9, v25 dst_sel:DWORD dst_unused:UNUSED_PAD src0_sel:WORD_1 src1_sel:DWORD
	v_lshrrev_b32_sdwa v9, v10, v9 dst_sel:BYTE_1 dst_unused:UNUSED_PAD src0_sel:DWORD src1_sel:DWORD
	v_or_b32_sdwa v10, v11, v28 dst_sel:DWORD dst_unused:UNUSED_PAD src0_sel:BYTE_0 src1_sel:DWORD
	v_or_b32_sdwa v11, v29, v12 dst_sel:WORD_1 dst_unused:UNUSED_PAD src0_sel:DWORD src1_sel:DWORD
	v_or_b32_sdwa v12, v25, v26 dst_sel:WORD_1 dst_unused:UNUSED_PAD src0_sel:DWORD src1_sel:DWORD
	v_or_b32_e32 v9, v27, v9
	v_or_b32_sdwa v35, v10, v11 dst_sel:DWORD dst_unused:UNUSED_PAD src0_sel:WORD_0 src1_sel:DWORD
	v_or_b32_sdwa v10, v9, v12 dst_sel:DWORD dst_unused:UNUSED_PAD src0_sel:WORD_0 src1_sel:DWORD
.LBB1799_59:
	s_or_b32 exec_lo, exec_lo, s2
	v_add_nc_u32_e32 v9, 4, v34
                                        ; implicit-def: $vgpr11
	v_cmp_le_u32_e32 vcc_lo, s5, v9
                                        ; implicit-def: $vgpr9
	s_and_saveexec_b32 s1, vcc_lo
	s_xor_b32 s1, exec_lo, s1
	s_cbranch_execz .LBB1799_61
; %bb.60:
	v_mov_b32_e32 v9, 24
	v_mov_b32_e32 v11, 0xff
	;; [unrolled: 1-line block ×3, first 2 shown]
	v_perm_b32 v7, v7, v7, 0x3060504
	v_lshrrev_b32_sdwa v25, v9, v8 dst_sel:BYTE_1 dst_unused:UNUSED_PAD src0_sel:DWORD src1_sel:DWORD
	v_and_b32_sdwa v26, v8, v11 dst_sel:DWORD dst_unused:UNUSED_PAD src0_sel:WORD_1 src1_sel:DWORD
	v_lshrrev_b32_sdwa v9, v9, v10 dst_sel:BYTE_1 dst_unused:UNUSED_PAD src0_sel:DWORD src1_sel:DWORD
	v_and_b32_sdwa v11, v10, v11 dst_sel:DWORD dst_unused:UNUSED_PAD src0_sel:WORD_1 src1_sel:DWORD
	v_lshrrev_b32_sdwa v8, v12, v8 dst_sel:BYTE_1 dst_unused:UNUSED_PAD src0_sel:DWORD src1_sel:DWORD
	v_or_b32_sdwa v12, v26, v25 dst_sel:WORD_1 dst_unused:UNUSED_PAD src0_sel:DWORD src1_sel:DWORD
	v_or_b32_e32 v11, v11, v9
	v_or_b32_sdwa v9, v8, v12 dst_sel:DWORD dst_unused:UNUSED_PAD src0_sel:WORD_0 src1_sel:DWORD
                                        ; implicit-def: $vgpr8
	v_perm_b32 v11, v11, v10, 0x5040c00
                                        ; implicit-def: $vgpr10
.LBB1799_61:
	s_andn2_saveexec_b32 s2, s1
	s_cbranch_execz .LBB1799_65
; %bb.62:
	v_add_nc_u32_e32 v9, s17, v19
	v_add_nc_u32_e32 v11, s19, v19
	s_mov_b32 s3, 0
	s_mov_b32 s4, exec_lo
	v_mul_lo_u32 v9, v9, s16
	v_mul_lo_u32 v11, v11, s18
	v_sub_nc_u32_e32 v9, v9, v11
	v_cmp_lt_u32_e32 vcc_lo, s20, v9
	v_cmpx_ge_u32_e64 s20, v9
	s_cbranch_execz .LBB1799_64
; %bb.63:
	v_add_nc_u32_e32 v9, s22, v19
	v_add_nc_u32_e32 v11, s38, v19
	v_mul_lo_u32 v9, v9, s21
	v_mul_lo_u32 v11, v11, s23
	v_sub_nc_u32_e32 v9, v9, v11
	v_cmp_lt_u32_e64 s1, s39, v9
	s_and_b32 s3, s1, exec_lo
.LBB1799_64:
	s_or_b32 exec_lo, exec_lo, s4
	v_mov_b32_e32 v9, 24
	v_mov_b32_e32 v11, 0xff
	;; [unrolled: 1-line block ×3, first 2 shown]
	v_cndmask_b32_e64 v25, 0, 1, s3
	v_cndmask_b32_e64 v26, 0, 1, vcc_lo
	v_lshrrev_b32_sdwa v27, v9, v8 dst_sel:BYTE_1 dst_unused:UNUSED_PAD src0_sel:DWORD src1_sel:DWORD
	v_and_b32_sdwa v28, v8, v11 dst_sel:DWORD dst_unused:UNUSED_PAD src0_sel:WORD_1 src1_sel:DWORD
	v_lshrrev_b32_sdwa v8, v12, v8 dst_sel:BYTE_1 dst_unused:UNUSED_PAD src0_sel:DWORD src1_sel:DWORD
	v_lshlrev_b16 v12, 8, v25
	v_lshrrev_b32_sdwa v9, v9, v10 dst_sel:BYTE_1 dst_unused:UNUSED_PAD src0_sel:DWORD src1_sel:DWORD
	v_and_b32_sdwa v11, v10, v11 dst_sel:DWORD dst_unused:UNUSED_PAD src0_sel:WORD_1 src1_sel:DWORD
	v_or_b32_sdwa v25, v28, v27 dst_sel:WORD_1 dst_unused:UNUSED_PAD src0_sel:DWORD src1_sel:DWORD
	v_or_b32_e32 v8, v26, v8
	v_or_b32_sdwa v10, v10, v12 dst_sel:DWORD dst_unused:UNUSED_PAD src0_sel:BYTE_0 src1_sel:DWORD
	v_or_b32_sdwa v11, v11, v9 dst_sel:WORD_1 dst_unused:UNUSED_PAD src0_sel:DWORD src1_sel:DWORD
	v_or_b32_sdwa v9, v8, v25 dst_sel:DWORD dst_unused:UNUSED_PAD src0_sel:WORD_0 src1_sel:DWORD
	v_or_b32_sdwa v11, v10, v11 dst_sel:DWORD dst_unused:UNUSED_PAD src0_sel:WORD_0 src1_sel:DWORD
.LBB1799_65:
	s_or_b32 exec_lo, exec_lo, s2
	v_add_nc_u32_e32 v8, 5, v34
                                        ; implicit-def: $vgpr10
	v_cmp_le_u32_e32 vcc_lo, s5, v8
                                        ; implicit-def: $vgpr8
	s_and_saveexec_b32 s1, vcc_lo
	s_xor_b32 s1, exec_lo, s1
	s_cbranch_execz .LBB1799_67
; %bb.66:
	v_lshrrev_b32_e32 v8, 24, v11
	v_mov_b32_e32 v10, 8
	v_mov_b32_e32 v12, 0xff
	v_perm_b32 v7, v7, v7, 0x3060504
	v_perm_b32 v8, v8, v11, 0x40c0100
	v_mov_b32_e32 v11, 24
	v_and_b32_sdwa v12, v9, v12 dst_sel:DWORD dst_unused:UNUSED_PAD src0_sel:WORD_1 src1_sel:DWORD
	v_lshrrev_b32_sdwa v10, v10, v8 dst_sel:BYTE_1 dst_unused:UNUSED_PAD src0_sel:DWORD src1_sel:DWORD
	v_lshrrev_b32_sdwa v11, v11, v9 dst_sel:BYTE_1 dst_unused:UNUSED_PAD src0_sel:DWORD src1_sel:DWORD
	v_or_b32_sdwa v10, v8, v10 dst_sel:DWORD dst_unused:UNUSED_PAD src0_sel:BYTE_0 src1_sel:DWORD
	v_or_b32_e32 v11, v12, v11
	v_and_b32_e32 v12, 0xffff, v10
	v_perm_b32 v10, v11, v9, 0x5040c00
                                        ; implicit-def: $vgpr9
                                        ; implicit-def: $vgpr11
	v_and_or_b32 v8, 0xff000000, v8, v12
.LBB1799_67:
	s_andn2_saveexec_b32 s2, s1
	s_cbranch_execz .LBB1799_71
; %bb.68:
	v_add_nc_u32_e32 v8, s17, v20
	v_add_nc_u32_e32 v10, s19, v20
	s_mov_b32 s3, 0
	s_mov_b32 s4, exec_lo
	v_mul_lo_u32 v8, v8, s16
	v_mul_lo_u32 v10, v10, s18
	v_sub_nc_u32_e32 v8, v8, v10
	v_cmp_lt_u32_e32 vcc_lo, s20, v8
	v_cmpx_ge_u32_e64 s20, v8
	s_cbranch_execz .LBB1799_70
; %bb.69:
	v_add_nc_u32_e32 v8, s22, v20
	v_add_nc_u32_e32 v10, s38, v20
	v_mul_lo_u32 v8, v8, s21
	v_mul_lo_u32 v10, v10, s23
	v_sub_nc_u32_e32 v8, v8, v10
	v_cmp_lt_u32_e64 s1, s39, v8
	s_and_b32 s3, s1, exec_lo
.LBB1799_70:
	s_or_b32 exec_lo, exec_lo, s4
	v_cndmask_b32_e64 v8, 0, 1, vcc_lo
	v_mov_b32_e32 v10, 24
	v_mov_b32_e32 v12, 0xff
	;; [unrolled: 1-line block ×3, first 2 shown]
	v_cndmask_b32_e64 v26, 0, 1, s3
	v_lshlrev_b16 v8, 8, v8
	v_lshrrev_b32_sdwa v27, v10, v9 dst_sel:BYTE_1 dst_unused:UNUSED_PAD src0_sel:DWORD src1_sel:DWORD
	v_and_b32_sdwa v12, v9, v12 dst_sel:DWORD dst_unused:UNUSED_PAD src0_sel:WORD_1 src1_sel:DWORD
	v_lshrrev_b32_sdwa v25, v25, v11 dst_sel:BYTE_1 dst_unused:UNUSED_PAD src0_sel:DWORD src1_sel:DWORD
	v_lshrrev_b32_sdwa v10, v10, v11 dst_sel:BYTE_1 dst_unused:UNUSED_PAD src0_sel:DWORD src1_sel:DWORD
	v_or_b32_sdwa v8, v9, v8 dst_sel:DWORD dst_unused:UNUSED_PAD src0_sel:BYTE_0 src1_sel:DWORD
	v_or_b32_sdwa v9, v12, v27 dst_sel:WORD_1 dst_unused:UNUSED_PAD src0_sel:DWORD src1_sel:DWORD
	v_or_b32_sdwa v11, v11, v25 dst_sel:DWORD dst_unused:UNUSED_PAD src0_sel:BYTE_0 src1_sel:DWORD
	v_or_b32_sdwa v12, v26, v10 dst_sel:WORD_1 dst_unused:UNUSED_PAD src0_sel:DWORD src1_sel:DWORD
	v_or_b32_sdwa v10, v8, v9 dst_sel:DWORD dst_unused:UNUSED_PAD src0_sel:WORD_0 src1_sel:DWORD
	v_or_b32_sdwa v8, v11, v12 dst_sel:DWORD dst_unused:UNUSED_PAD src0_sel:WORD_0 src1_sel:DWORD
.LBB1799_71:
	s_or_b32 exec_lo, exec_lo, s2
	v_add_nc_u32_e32 v9, 6, v34
                                        ; implicit-def: $vgpr36
	v_cmp_le_u32_e32 vcc_lo, s5, v9
                                        ; implicit-def: $vgpr9
	s_and_saveexec_b32 s1, vcc_lo
	s_xor_b32 s1, exec_lo, s1
	s_cbranch_execz .LBB1799_73
; %bb.72:
	v_lshrrev_b32_e32 v9, 24, v10
	v_mov_b32_e32 v11, 8
	v_perm_b32 v7, v7, v7, 0x3060504
	v_perm_b32 v9, v9, v10, 0x40c0100
	v_lshrrev_b32_sdwa v10, v11, v9 dst_sel:BYTE_1 dst_unused:UNUSED_PAD src0_sel:DWORD src1_sel:DWORD
	v_and_b32_e32 v11, 0xff0000, v8
	v_or_b32_sdwa v10, v9, v10 dst_sel:DWORD dst_unused:UNUSED_PAD src0_sel:BYTE_0 src1_sel:DWORD
	v_perm_b32 v36, v8, v11, 0x3020504
                                        ; implicit-def: $vgpr8
	v_and_b32_e32 v10, 0xffff, v10
	v_and_or_b32 v9, 0xff000000, v9, v10
                                        ; implicit-def: $vgpr10
.LBB1799_73:
	s_andn2_saveexec_b32 s2, s1
	s_cbranch_execz .LBB1799_77
; %bb.74:
	v_add_nc_u32_e32 v9, s17, v17
	v_add_nc_u32_e32 v11, s19, v17
	s_mov_b32 s3, 0
	s_mov_b32 s4, exec_lo
	v_mul_lo_u32 v9, v9, s16
	v_mul_lo_u32 v11, v11, s18
	v_sub_nc_u32_e32 v9, v9, v11
	v_cmp_lt_u32_e32 vcc_lo, s20, v9
	v_cmpx_ge_u32_e64 s20, v9
	s_cbranch_execz .LBB1799_76
; %bb.75:
	v_add_nc_u32_e32 v9, s22, v17
	v_add_nc_u32_e32 v11, s38, v17
	v_mul_lo_u32 v9, v9, s21
	v_mul_lo_u32 v11, v11, s23
	v_sub_nc_u32_e32 v9, v9, v11
	v_cmp_lt_u32_e64 s1, s39, v9
	s_and_b32 s3, s1, exec_lo
.LBB1799_76:
	s_or_b32 exec_lo, exec_lo, s4
	v_mov_b32_e32 v9, 8
	v_mov_b32_e32 v11, 24
	v_cndmask_b32_e64 v25, 0, 1, s3
	v_mov_b32_e32 v26, 0xff
	v_cndmask_b32_e64 v12, 0, 1, vcc_lo
	v_lshrrev_b32_sdwa v27, v9, v10 dst_sel:BYTE_1 dst_unused:UNUSED_PAD src0_sel:DWORD src1_sel:DWORD
	v_lshrrev_b32_sdwa v11, v11, v10 dst_sel:BYTE_1 dst_unused:UNUSED_PAD src0_sel:DWORD src1_sel:DWORD
	;; [unrolled: 1-line block ×3, first 2 shown]
	v_lshlrev_b16 v25, 8, v25
	v_and_b32_sdwa v26, v8, v26 dst_sel:DWORD dst_unused:UNUSED_PAD src0_sel:WORD_1 src1_sel:DWORD
	v_or_b32_sdwa v10, v10, v27 dst_sel:DWORD dst_unused:UNUSED_PAD src0_sel:BYTE_0 src1_sel:DWORD
	v_or_b32_sdwa v11, v12, v11 dst_sel:WORD_1 dst_unused:UNUSED_PAD src0_sel:DWORD src1_sel:DWORD
	v_or_b32_sdwa v8, v8, v9 dst_sel:DWORD dst_unused:UNUSED_PAD src0_sel:BYTE_0 src1_sel:DWORD
	v_or_b32_sdwa v12, v26, v25 dst_sel:WORD_1 dst_unused:UNUSED_PAD src0_sel:DWORD src1_sel:DWORD
	v_or_b32_sdwa v9, v10, v11 dst_sel:DWORD dst_unused:UNUSED_PAD src0_sel:WORD_0 src1_sel:DWORD
	v_or_b32_sdwa v36, v8, v12 dst_sel:DWORD dst_unused:UNUSED_PAD src0_sel:WORD_0 src1_sel:DWORD
.LBB1799_77:
	s_or_b32 exec_lo, exec_lo, s2
	v_add_nc_u32_e32 v8, 7, v34
                                        ; implicit-def: $vgpr37
	v_cmp_le_u32_e32 vcc_lo, s5, v8
                                        ; implicit-def: $vgpr8
	s_and_saveexec_b32 s1, vcc_lo
	s_xor_b32 s1, exec_lo, s1
	s_cbranch_execz .LBB1799_79
; %bb.78:
	v_mov_b32_e32 v8, 24
	v_mov_b32_e32 v10, 0xff
	;; [unrolled: 1-line block ×3, first 2 shown]
	v_lshrrev_b32_sdwa v8, v8, v7 dst_sel:BYTE_1 dst_unused:UNUSED_PAD src0_sel:DWORD src1_sel:DWORD
	v_and_b32_sdwa v10, v7, v10 dst_sel:DWORD dst_unused:UNUSED_PAD src0_sel:WORD_1 src1_sel:DWORD
	v_lshrrev_b32_sdwa v7, v11, v7 dst_sel:BYTE_1 dst_unused:UNUSED_PAD src0_sel:DWORD src1_sel:DWORD
	v_and_b32_e32 v11, 0xff0000, v9
	v_or_b32_sdwa v8, v10, v8 dst_sel:WORD_1 dst_unused:UNUSED_PAD src0_sel:DWORD src1_sel:DWORD
	v_perm_b32 v37, v9, v11, 0x3020504
                                        ; implicit-def: $vgpr9
	v_or_b32_sdwa v8, v7, v8 dst_sel:DWORD dst_unused:UNUSED_PAD src0_sel:WORD_0 src1_sel:DWORD
                                        ; implicit-def: $vgpr7
.LBB1799_79:
	s_andn2_saveexec_b32 s2, s1
	s_cbranch_execz .LBB1799_83
; %bb.80:
	v_add_nc_u32_e32 v8, s17, v18
	v_add_nc_u32_e32 v10, s19, v18
	s_mov_b32 s3, 0
	s_mov_b32 s4, exec_lo
	v_mul_lo_u32 v8, v8, s16
	v_mul_lo_u32 v10, v10, s18
	v_sub_nc_u32_e32 v8, v8, v10
	v_cmp_lt_u32_e32 vcc_lo, s20, v8
	v_cmpx_ge_u32_e64 s20, v8
	s_cbranch_execz .LBB1799_82
; %bb.81:
	v_add_nc_u32_e32 v8, s22, v18
	v_add_nc_u32_e32 v10, s38, v18
	v_mul_lo_u32 v8, v8, s21
	v_mul_lo_u32 v10, v10, s23
	v_sub_nc_u32_e32 v8, v8, v10
	v_cmp_lt_u32_e64 s1, s39, v8
	s_and_b32 s3, s1, exec_lo
.LBB1799_82:
	s_or_b32 exec_lo, exec_lo, s4
	v_mov_b32_e32 v8, 8
	v_cndmask_b32_e64 v10, 0, 1, vcc_lo
	v_mov_b32_e32 v11, 0xff
	v_mov_b32_e32 v12, 24
	v_cndmask_b32_e64 v25, 0, 1, s3
	v_lshrrev_b32_sdwa v26, v8, v9 dst_sel:BYTE_1 dst_unused:UNUSED_PAD src0_sel:DWORD src1_sel:DWORD
	v_lshlrev_b16 v10, 8, v10
	v_and_b32_sdwa v27, v9, v11 dst_sel:DWORD dst_unused:UNUSED_PAD src0_sel:WORD_1 src1_sel:DWORD
	v_lshrrev_b32_sdwa v12, v12, v7 dst_sel:BYTE_1 dst_unused:UNUSED_PAD src0_sel:DWORD src1_sel:DWORD
	v_and_b32_sdwa v11, v7, v11 dst_sel:DWORD dst_unused:UNUSED_PAD src0_sel:WORD_1 src1_sel:DWORD
	v_lshrrev_b32_sdwa v7, v8, v7 dst_sel:BYTE_1 dst_unused:UNUSED_PAD src0_sel:DWORD src1_sel:DWORD
	v_or_b32_sdwa v8, v9, v26 dst_sel:DWORD dst_unused:UNUSED_PAD src0_sel:BYTE_0 src1_sel:DWORD
	v_or_b32_sdwa v9, v27, v10 dst_sel:WORD_1 dst_unused:UNUSED_PAD src0_sel:DWORD src1_sel:DWORD
	v_or_b32_sdwa v10, v11, v12 dst_sel:WORD_1 dst_unused:UNUSED_PAD src0_sel:DWORD src1_sel:DWORD
	v_or_b32_e32 v7, v25, v7
	v_or_b32_sdwa v37, v8, v9 dst_sel:DWORD dst_unused:UNUSED_PAD src0_sel:WORD_0 src1_sel:DWORD
	v_or_b32_sdwa v8, v7, v10 dst_sel:DWORD dst_unused:UNUSED_PAD src0_sel:WORD_0 src1_sel:DWORD
.LBB1799_83:
	s_or_b32 exec_lo, exec_lo, s2
	v_add_nc_u32_e32 v7, 8, v34
                                        ; implicit-def: $vgpr9
	v_cmp_le_u32_e32 vcc_lo, s5, v7
                                        ; implicit-def: $vgpr7
	s_and_saveexec_b32 s1, vcc_lo
	s_xor_b32 s1, exec_lo, s1
	s_cbranch_execz .LBB1799_85
; %bb.84:
	v_mov_b32_e32 v7, 24
	v_mov_b32_e32 v9, 0xff
	;; [unrolled: 1-line block ×3, first 2 shown]
	v_perm_b32 v5, v5, v5, 0x3060504
	v_lshrrev_b32_sdwa v11, v7, v8 dst_sel:BYTE_1 dst_unused:UNUSED_PAD src0_sel:DWORD src1_sel:DWORD
	v_lshrrev_b32_sdwa v7, v7, v6 dst_sel:BYTE_1 dst_unused:UNUSED_PAD src0_sel:DWORD src1_sel:DWORD
	v_and_b32_sdwa v12, v6, v9 dst_sel:DWORD dst_unused:UNUSED_PAD src0_sel:WORD_1 src1_sel:DWORD
	v_and_b32_sdwa v9, v8, v9 dst_sel:DWORD dst_unused:UNUSED_PAD src0_sel:WORD_1 src1_sel:DWORD
	v_lshrrev_b32_sdwa v6, v10, v6 dst_sel:BYTE_1 dst_unused:UNUSED_PAD src0_sel:DWORD src1_sel:DWORD
	v_or_b32_sdwa v7, v12, v7 dst_sel:WORD_1 dst_unused:UNUSED_PAD src0_sel:DWORD src1_sel:DWORD
	v_or_b32_e32 v9, v9, v11
	v_or_b32_sdwa v7, v6, v7 dst_sel:DWORD dst_unused:UNUSED_PAD src0_sel:WORD_0 src1_sel:DWORD
	v_perm_b32 v9, v9, v8, 0x5040c00
                                        ; implicit-def: $vgpr6
                                        ; implicit-def: $vgpr8
.LBB1799_85:
	s_andn2_saveexec_b32 s2, s1
	s_cbranch_execz .LBB1799_89
; %bb.86:
	v_add_nc_u32_e32 v7, s17, v15
	v_add_nc_u32_e32 v9, s19, v15
	s_mov_b32 s3, 0
	s_mov_b32 s4, exec_lo
	v_mul_lo_u32 v7, v7, s16
	v_mul_lo_u32 v9, v9, s18
	v_sub_nc_u32_e32 v7, v7, v9
	v_cmp_lt_u32_e32 vcc_lo, s20, v7
	v_cmpx_ge_u32_e64 s20, v7
	s_cbranch_execz .LBB1799_88
; %bb.87:
	v_add_nc_u32_e32 v7, s22, v15
	v_add_nc_u32_e32 v9, s38, v15
	v_mul_lo_u32 v7, v7, s21
	v_mul_lo_u32 v9, v9, s23
	v_sub_nc_u32_e32 v7, v7, v9
	v_cmp_lt_u32_e64 s1, s39, v7
	s_and_b32 s3, s1, exec_lo
.LBB1799_88:
	s_or_b32 exec_lo, exec_lo, s4
	v_mov_b32_e32 v7, 24
	v_mov_b32_e32 v9, 0xff
	;; [unrolled: 1-line block ×3, first 2 shown]
	v_cndmask_b32_e64 v11, 0, 1, s3
	v_cndmask_b32_e64 v12, 0, 1, vcc_lo
	v_lshrrev_b32_sdwa v25, v7, v6 dst_sel:BYTE_1 dst_unused:UNUSED_PAD src0_sel:DWORD src1_sel:DWORD
	v_and_b32_sdwa v26, v6, v9 dst_sel:DWORD dst_unused:UNUSED_PAD src0_sel:WORD_1 src1_sel:DWORD
	v_lshrrev_b32_sdwa v6, v10, v6 dst_sel:BYTE_1 dst_unused:UNUSED_PAD src0_sel:DWORD src1_sel:DWORD
	v_lshlrev_b16 v10, 8, v11
	v_lshrrev_b32_sdwa v7, v7, v8 dst_sel:BYTE_1 dst_unused:UNUSED_PAD src0_sel:DWORD src1_sel:DWORD
	v_and_b32_sdwa v9, v8, v9 dst_sel:DWORD dst_unused:UNUSED_PAD src0_sel:WORD_1 src1_sel:DWORD
	v_or_b32_sdwa v11, v26, v25 dst_sel:WORD_1 dst_unused:UNUSED_PAD src0_sel:DWORD src1_sel:DWORD
	v_or_b32_e32 v6, v12, v6
	v_or_b32_sdwa v8, v8, v10 dst_sel:DWORD dst_unused:UNUSED_PAD src0_sel:BYTE_0 src1_sel:DWORD
	v_or_b32_sdwa v9, v9, v7 dst_sel:WORD_1 dst_unused:UNUSED_PAD src0_sel:DWORD src1_sel:DWORD
	v_or_b32_sdwa v7, v6, v11 dst_sel:DWORD dst_unused:UNUSED_PAD src0_sel:WORD_0 src1_sel:DWORD
	v_or_b32_sdwa v9, v8, v9 dst_sel:DWORD dst_unused:UNUSED_PAD src0_sel:WORD_0 src1_sel:DWORD
.LBB1799_89:
	s_or_b32 exec_lo, exec_lo, s2
	v_add_nc_u32_e32 v6, 9, v34
                                        ; implicit-def: $vgpr8
	v_cmp_le_u32_e32 vcc_lo, s5, v6
                                        ; implicit-def: $vgpr6
	s_and_saveexec_b32 s1, vcc_lo
	s_xor_b32 s1, exec_lo, s1
	s_cbranch_execz .LBB1799_91
; %bb.90:
	v_lshrrev_b32_e32 v6, 24, v9
	v_mov_b32_e32 v8, 8
	v_mov_b32_e32 v10, 0xff
	v_perm_b32 v5, v5, v5, 0x3060504
	v_perm_b32 v6, v6, v9, 0x40c0100
	v_mov_b32_e32 v9, 24
	v_and_b32_sdwa v10, v7, v10 dst_sel:DWORD dst_unused:UNUSED_PAD src0_sel:WORD_1 src1_sel:DWORD
	v_lshrrev_b32_sdwa v8, v8, v6 dst_sel:BYTE_1 dst_unused:UNUSED_PAD src0_sel:DWORD src1_sel:DWORD
	v_lshrrev_b32_sdwa v9, v9, v7 dst_sel:BYTE_1 dst_unused:UNUSED_PAD src0_sel:DWORD src1_sel:DWORD
	v_or_b32_sdwa v8, v6, v8 dst_sel:DWORD dst_unused:UNUSED_PAD src0_sel:BYTE_0 src1_sel:DWORD
	v_or_b32_e32 v9, v10, v9
	v_and_b32_e32 v10, 0xffff, v8
	v_perm_b32 v8, v9, v7, 0x5040c00
                                        ; implicit-def: $vgpr7
                                        ; implicit-def: $vgpr9
	v_and_or_b32 v6, 0xff000000, v6, v10
.LBB1799_91:
	s_andn2_saveexec_b32 s2, s1
	s_cbranch_execz .LBB1799_95
; %bb.92:
	v_add_nc_u32_e32 v6, s17, v16
	v_add_nc_u32_e32 v8, s19, v16
	s_mov_b32 s3, 0
	s_mov_b32 s4, exec_lo
	v_mul_lo_u32 v6, v6, s16
	v_mul_lo_u32 v8, v8, s18
	v_sub_nc_u32_e32 v6, v6, v8
	v_cmp_lt_u32_e32 vcc_lo, s20, v6
	v_cmpx_ge_u32_e64 s20, v6
	s_cbranch_execz .LBB1799_94
; %bb.93:
	v_add_nc_u32_e32 v6, s22, v16
	v_add_nc_u32_e32 v8, s38, v16
	v_mul_lo_u32 v6, v6, s21
	v_mul_lo_u32 v8, v8, s23
	v_sub_nc_u32_e32 v6, v6, v8
	v_cmp_lt_u32_e64 s1, s39, v6
	s_and_b32 s3, s1, exec_lo
.LBB1799_94:
	s_or_b32 exec_lo, exec_lo, s4
	v_cndmask_b32_e64 v6, 0, 1, vcc_lo
	v_mov_b32_e32 v8, 24
	v_mov_b32_e32 v10, 0xff
	;; [unrolled: 1-line block ×3, first 2 shown]
	v_cndmask_b32_e64 v12, 0, 1, s3
	v_lshlrev_b16 v6, 8, v6
	v_lshrrev_b32_sdwa v25, v8, v7 dst_sel:BYTE_1 dst_unused:UNUSED_PAD src0_sel:DWORD src1_sel:DWORD
	v_and_b32_sdwa v10, v7, v10 dst_sel:DWORD dst_unused:UNUSED_PAD src0_sel:WORD_1 src1_sel:DWORD
	v_lshrrev_b32_sdwa v11, v11, v9 dst_sel:BYTE_1 dst_unused:UNUSED_PAD src0_sel:DWORD src1_sel:DWORD
	v_lshrrev_b32_sdwa v8, v8, v9 dst_sel:BYTE_1 dst_unused:UNUSED_PAD src0_sel:DWORD src1_sel:DWORD
	v_or_b32_sdwa v6, v7, v6 dst_sel:DWORD dst_unused:UNUSED_PAD src0_sel:BYTE_0 src1_sel:DWORD
	v_or_b32_sdwa v7, v10, v25 dst_sel:WORD_1 dst_unused:UNUSED_PAD src0_sel:DWORD src1_sel:DWORD
	v_or_b32_sdwa v9, v9, v11 dst_sel:DWORD dst_unused:UNUSED_PAD src0_sel:BYTE_0 src1_sel:DWORD
	v_or_b32_sdwa v10, v12, v8 dst_sel:WORD_1 dst_unused:UNUSED_PAD src0_sel:DWORD src1_sel:DWORD
	v_or_b32_sdwa v8, v6, v7 dst_sel:DWORD dst_unused:UNUSED_PAD src0_sel:WORD_0 src1_sel:DWORD
	v_or_b32_sdwa v6, v9, v10 dst_sel:DWORD dst_unused:UNUSED_PAD src0_sel:WORD_0 src1_sel:DWORD
.LBB1799_95:
	s_or_b32 exec_lo, exec_lo, s2
	v_add_nc_u32_e32 v7, 10, v34
                                        ; implicit-def: $vgpr38
	v_cmp_le_u32_e32 vcc_lo, s5, v7
                                        ; implicit-def: $vgpr7
	s_and_saveexec_b32 s1, vcc_lo
	s_xor_b32 s1, exec_lo, s1
	s_cbranch_execz .LBB1799_97
; %bb.96:
	v_lshrrev_b32_e32 v7, 24, v8
	v_mov_b32_e32 v9, 8
	v_perm_b32 v5, v5, v5, 0x3060504
	v_perm_b32 v7, v7, v8, 0x40c0100
	v_lshrrev_b32_sdwa v8, v9, v7 dst_sel:BYTE_1 dst_unused:UNUSED_PAD src0_sel:DWORD src1_sel:DWORD
	v_and_b32_e32 v9, 0xff0000, v6
	v_or_b32_sdwa v8, v7, v8 dst_sel:DWORD dst_unused:UNUSED_PAD src0_sel:BYTE_0 src1_sel:DWORD
	v_perm_b32 v38, v6, v9, 0x3020504
                                        ; implicit-def: $vgpr6
	v_and_b32_e32 v8, 0xffff, v8
	v_and_or_b32 v7, 0xff000000, v7, v8
                                        ; implicit-def: $vgpr8
.LBB1799_97:
	s_andn2_saveexec_b32 s2, s1
	s_cbranch_execz .LBB1799_101
; %bb.98:
	v_add_nc_u32_e32 v7, s17, v13
	v_add_nc_u32_e32 v9, s19, v13
	s_mov_b32 s3, 0
	s_mov_b32 s4, exec_lo
	v_mul_lo_u32 v7, v7, s16
	v_mul_lo_u32 v9, v9, s18
	v_sub_nc_u32_e32 v7, v7, v9
	v_cmp_lt_u32_e32 vcc_lo, s20, v7
	v_cmpx_ge_u32_e64 s20, v7
	s_cbranch_execz .LBB1799_100
; %bb.99:
	v_add_nc_u32_e32 v7, s22, v13
	v_add_nc_u32_e32 v9, s38, v13
	v_mul_lo_u32 v7, v7, s21
	v_mul_lo_u32 v9, v9, s23
	v_sub_nc_u32_e32 v7, v7, v9
	v_cmp_lt_u32_e64 s1, s39, v7
	s_and_b32 s3, s1, exec_lo
.LBB1799_100:
	s_or_b32 exec_lo, exec_lo, s4
	v_mov_b32_e32 v7, 8
	v_mov_b32_e32 v9, 24
	v_cndmask_b32_e64 v11, 0, 1, s3
	v_mov_b32_e32 v12, 0xff
	v_cndmask_b32_e64 v10, 0, 1, vcc_lo
	v_lshrrev_b32_sdwa v25, v7, v8 dst_sel:BYTE_1 dst_unused:UNUSED_PAD src0_sel:DWORD src1_sel:DWORD
	v_lshrrev_b32_sdwa v9, v9, v8 dst_sel:BYTE_1 dst_unused:UNUSED_PAD src0_sel:DWORD src1_sel:DWORD
	;; [unrolled: 1-line block ×3, first 2 shown]
	v_lshlrev_b16 v11, 8, v11
	v_and_b32_sdwa v12, v6, v12 dst_sel:DWORD dst_unused:UNUSED_PAD src0_sel:WORD_1 src1_sel:DWORD
	v_or_b32_sdwa v8, v8, v25 dst_sel:DWORD dst_unused:UNUSED_PAD src0_sel:BYTE_0 src1_sel:DWORD
	v_or_b32_sdwa v9, v10, v9 dst_sel:WORD_1 dst_unused:UNUSED_PAD src0_sel:DWORD src1_sel:DWORD
	v_or_b32_sdwa v6, v6, v7 dst_sel:DWORD dst_unused:UNUSED_PAD src0_sel:BYTE_0 src1_sel:DWORD
	v_or_b32_sdwa v10, v12, v11 dst_sel:WORD_1 dst_unused:UNUSED_PAD src0_sel:DWORD src1_sel:DWORD
	v_or_b32_sdwa v7, v8, v9 dst_sel:DWORD dst_unused:UNUSED_PAD src0_sel:WORD_0 src1_sel:DWORD
	v_or_b32_sdwa v38, v6, v10 dst_sel:DWORD dst_unused:UNUSED_PAD src0_sel:WORD_0 src1_sel:DWORD
.LBB1799_101:
	s_or_b32 exec_lo, exec_lo, s2
	v_add_nc_u32_e32 v6, 11, v34
	v_mov_b32_e32 v39, 0
	s_mov_b32 s1, exec_lo
                                        ; implicit-def: $vgpr40
	v_cmpx_le_u32_e64 s5, v6
	s_xor_b32 s1, exec_lo, s1
; %bb.102:
	v_and_b32_e32 v6, 0xff0000, v7
	v_perm_b32 v5, v5, v5, 0x3060504
	v_perm_b32 v40, v7, v6, 0x3020504
                                        ; implicit-def: $vgpr7
; %bb.103:
	s_andn2_saveexec_b32 s2, s1
	s_cbranch_execz .LBB1799_107
; %bb.104:
	v_add_nc_u32_e32 v6, s17, v14
	v_add_nc_u32_e32 v8, s19, v14
	s_mov_b32 s3, 0
	s_mov_b32 s4, exec_lo
	v_mul_lo_u32 v6, v6, s16
	v_mul_lo_u32 v8, v8, s18
	v_sub_nc_u32_e32 v6, v6, v8
	v_cmp_lt_u32_e32 vcc_lo, s20, v6
	v_cmpx_ge_u32_e64 s20, v6
	s_cbranch_execz .LBB1799_106
; %bb.105:
	v_add_nc_u32_e32 v6, s22, v14
	v_add_nc_u32_e32 v8, s38, v14
	v_mul_lo_u32 v6, v6, s21
	v_mul_lo_u32 v8, v8, s23
	v_sub_nc_u32_e32 v6, v6, v8
	v_cmp_lt_u32_e64 s1, s39, v6
	s_and_b32 s3, s1, exec_lo
.LBB1799_106:
	s_or_b32 exec_lo, exec_lo, s4
	v_mov_b32_e32 v6, 8
	v_cndmask_b32_e64 v8, 0, 1, vcc_lo
	v_mov_b32_e32 v9, 0xff
	v_cndmask_b32_e64 v39, 0, 1, s3
	v_lshrrev_b32_sdwa v6, v6, v7 dst_sel:BYTE_1 dst_unused:UNUSED_PAD src0_sel:DWORD src1_sel:DWORD
	v_lshlrev_b16 v8, 8, v8
	v_and_b32_sdwa v9, v7, v9 dst_sel:DWORD dst_unused:UNUSED_PAD src0_sel:WORD_1 src1_sel:DWORD
	v_or_b32_sdwa v6, v7, v6 dst_sel:DWORD dst_unused:UNUSED_PAD src0_sel:BYTE_0 src1_sel:DWORD
	v_or_b32_sdwa v7, v9, v8 dst_sel:WORD_1 dst_unused:UNUSED_PAD src0_sel:DWORD src1_sel:DWORD
	v_or_b32_sdwa v40, v6, v7 dst_sel:DWORD dst_unused:UNUSED_PAD src0_sel:WORD_0 src1_sel:DWORD
.LBB1799_107:
	s_or_b32 exec_lo, exec_lo, s2
	v_add_nc_u32_e32 v6, 12, v34
	s_mov_b32 s1, exec_lo
                                        ; implicit-def: $vgpr41
	v_cmpx_le_u32_e64 s5, v6
	s_xor_b32 s1, exec_lo, s1
	s_cbranch_execz .LBB1799_109
; %bb.108:
	v_mov_b32_e32 v6, 24
	v_mov_b32_e32 v7, 0xff
	v_mov_b32_e32 v8, 8
	v_lshrrev_b32_sdwa v6, v6, v5 dst_sel:BYTE_1 dst_unused:UNUSED_PAD src0_sel:DWORD src1_sel:DWORD
	v_and_b32_sdwa v7, v5, v7 dst_sel:DWORD dst_unused:UNUSED_PAD src0_sel:WORD_1 src1_sel:DWORD
	v_lshrrev_b32_sdwa v5, v8, v5 dst_sel:BYTE_1 dst_unused:UNUSED_PAD src0_sel:DWORD src1_sel:DWORD
	v_or_b32_sdwa v6, v7, v6 dst_sel:WORD_1 dst_unused:UNUSED_PAD src0_sel:DWORD src1_sel:DWORD
	v_or_b32_sdwa v41, v5, v6 dst_sel:DWORD dst_unused:UNUSED_PAD src0_sel:WORD_0 src1_sel:DWORD
                                        ; implicit-def: $vgpr5
.LBB1799_109:
	s_or_saveexec_b32 s2, s1
	v_mov_b32_e32 v42, 0
	s_xor_b32 exec_lo, exec_lo, s2
	s_cbranch_execz .LBB1799_113
; %bb.110:
	v_add_nc_u32_e32 v6, s17, v33
	v_add_nc_u32_e32 v7, s19, v33
	s_mov_b32 s3, 0
	s_mov_b32 s4, exec_lo
	v_mul_lo_u32 v6, v6, s16
	v_mul_lo_u32 v7, v7, s18
	v_sub_nc_u32_e32 v6, v6, v7
	v_cmp_lt_u32_e32 vcc_lo, s20, v6
	v_cmpx_ge_u32_e64 s20, v6
	s_cbranch_execz .LBB1799_112
; %bb.111:
	v_add_nc_u32_e32 v6, s22, v33
	v_add_nc_u32_e32 v7, s38, v33
	v_mul_lo_u32 v6, v6, s21
	v_mul_lo_u32 v7, v7, s23
	v_sub_nc_u32_e32 v6, v6, v7
	v_cmp_lt_u32_e64 s1, s39, v6
	s_and_b32 s3, s1, exec_lo
.LBB1799_112:
	s_or_b32 exec_lo, exec_lo, s4
	v_mov_b32_e32 v6, 24
	v_mov_b32_e32 v7, 0xff
	;; [unrolled: 1-line block ×3, first 2 shown]
	v_cndmask_b32_e64 v9, 0, 1, vcc_lo
	v_cndmask_b32_e64 v42, 0, 1, s3
	v_lshrrev_b32_sdwa v6, v6, v5 dst_sel:BYTE_1 dst_unused:UNUSED_PAD src0_sel:DWORD src1_sel:DWORD
	v_and_b32_sdwa v7, v5, v7 dst_sel:DWORD dst_unused:UNUSED_PAD src0_sel:WORD_1 src1_sel:DWORD
	v_lshrrev_b32_sdwa v5, v8, v5 dst_sel:BYTE_1 dst_unused:UNUSED_PAD src0_sel:DWORD src1_sel:DWORD
	v_or_b32_sdwa v6, v7, v6 dst_sel:WORD_1 dst_unused:UNUSED_PAD src0_sel:DWORD src1_sel:DWORD
	v_or_b32_e32 v5, v9, v5
	v_or_b32_sdwa v41, v5, v6 dst_sel:DWORD dst_unused:UNUSED_PAD src0_sel:WORD_0 src1_sel:DWORD
.LBB1799_113:
	s_or_b32 exec_lo, exec_lo, s2
.LBB1799_114:
	v_and_b32_e32 v65, 0xff, v35
	v_bfe_u32 v66, v41, 8, 8
	v_bfe_u32 v62, v35, 8, 8
	;; [unrolled: 1-line block ×4, first 2 shown]
	v_lshrrev_b32_e32 v48, 24, v41
	v_lshrrev_b32_e32 v47, 24, v35
	v_and_b32_e32 v61, 0xff, v36
	v_and_b32_e32 v59, 0xff, v37
	v_bfe_u32 v60, v36, 8, 8
	v_add3_u32 v5, v62, v65, v64
	v_add3_u32 v6, v63, v66, v48
	v_bfe_u32 v57, v37, 8, 8
	v_bfe_u32 v58, v36, 16, 8
	;; [unrolled: 1-line block ×3, first 2 shown]
	v_lshrrev_b32_e32 v46, 24, v36
	v_add3_u32 v5, v5, v47, v59
	v_add3_u32 v6, v6, v61, v60
	v_lshrrev_b32_e32 v45, 24, v37
	v_and_b32_e32 v56, 0xff, v38
	v_and_b32_e32 v54, 0xff, v40
	v_bfe_u32 v55, v38, 8, 8
	v_add3_u32 v5, v5, v57, v52
	v_add3_u32 v6, v6, v58, v46
	v_bfe_u32 v51, v40, 8, 8
	v_bfe_u32 v53, v38, 16, 8
	;; [unrolled: 1-line block ×3, first 2 shown]
	v_lshrrev_b32_e32 v44, 24, v38
	v_add3_u32 v5, v5, v45, v54
	v_add3_u32 v6, v6, v56, v55
	v_mbcnt_lo_u32_b32 v67, -1, 0
	v_lshrrev_b32_e32 v43, 24, v40
	v_and_b32_e32 v50, 0xff, v39
	v_and_b32_e32 v7, 0xff, v41
	;; [unrolled: 1-line block ×3, first 2 shown]
	v_add3_u32 v5, v5, v51, v49
	v_add3_u32 v6, v6, v53, v44
	v_and_b32_e32 v69, 15, v67
	v_and_b32_e32 v71, 16, v67
	v_lshrrev_b32_e32 v68, 5, v0
	v_add3_u32 v72, v5, v43, v7
	v_add3_u32 v73, v6, v50, v8
	v_cmp_eq_u32_e64 s2, 0, v69
	v_cmp_lt_u32_e64 s1, 1, v69
	v_cmp_lt_u32_e64 s3, 3, v69
	v_or_b32_e32 v70, 31, v0
	s_cmp_lg_u32 s27, 0
	s_mov_b32 s4, -1
	v_cmp_lt_u32_e32 vcc_lo, 7, v69
	s_cbranch_scc0 .LBB1799_136
; %bb.115:
	v_mov_b32_dpp v5, v73 row_shr:1 row_mask:0xf bank_mask:0xf
	v_mov_b32_dpp v6, v72 row_shr:1 row_mask:0xf bank_mask:0xf
	s_mov_b32 s4, exec_lo
	v_add_nc_u32_e32 v5, v5, v73
	v_add_nc_u32_e32 v6, v6, v72
	v_cndmask_b32_e64 v5, v5, v73, s2
	v_cndmask_b32_e64 v6, v6, v72, s2
	v_mov_b32_dpp v7, v5 row_shr:2 row_mask:0xf bank_mask:0xf
	v_mov_b32_dpp v8, v6 row_shr:2 row_mask:0xf bank_mask:0xf
	v_add_nc_u32_e32 v7, v5, v7
	v_add_nc_u32_e32 v8, v6, v8
	v_cndmask_b32_e64 v5, v5, v7, s1
	v_cndmask_b32_e64 v6, v6, v8, s1
	v_mov_b32_dpp v7, v5 row_shr:4 row_mask:0xf bank_mask:0xf
	v_mov_b32_dpp v8, v6 row_shr:4 row_mask:0xf bank_mask:0xf
	;; [unrolled: 6-line block ×3, first 2 shown]
	v_add_nc_u32_e32 v7, v5, v7
	v_add_nc_u32_e32 v8, v6, v8
	v_cndmask_b32_e32 v5, v5, v7, vcc_lo
	v_cndmask_b32_e32 v6, v6, v8, vcc_lo
	v_cmp_eq_u32_e32 vcc_lo, 0, v71
	ds_swizzle_b32 v7, v5 offset:swizzle(BROADCAST,32,15)
	ds_swizzle_b32 v8, v6 offset:swizzle(BROADCAST,32,15)
	s_waitcnt lgkmcnt(1)
	v_add_nc_u32_e32 v7, v5, v7
	s_waitcnt lgkmcnt(0)
	v_add_nc_u32_e32 v8, v6, v8
	v_cmpx_eq_u32_e64 v0, v70
	s_cbranch_execz .LBB1799_117
; %bb.116:
	v_lshlrev_b32_e32 v11, 3, v68
	v_cndmask_b32_e32 v10, v7, v5, vcc_lo
	v_cndmask_b32_e32 v9, v8, v6, vcc_lo
	ds_write_b64 v11, v[9:10]
.LBB1799_117:
	s_or_b32 exec_lo, exec_lo, s4
	s_mov_b32 s4, exec_lo
	s_waitcnt lgkmcnt(0)
	s_barrier
	buffer_gl0_inv
	v_cmpx_gt_u32_e32 8, v0
	s_cbranch_execz .LBB1799_119
; %bb.118:
	v_lshlrev_b32_e32 v11, 3, v0
	v_and_b32_e32 v26, 7, v67
	ds_read_b64 v[9:10], v11
	v_cmp_eq_u32_e64 s3, 0, v26
	s_waitcnt lgkmcnt(0)
	v_mov_b32_dpp v12, v9 row_shr:1 row_mask:0xf bank_mask:0xf
	v_mov_b32_dpp v25, v10 row_shr:1 row_mask:0xf bank_mask:0xf
	v_add_nc_u32_e32 v12, v12, v9
	v_add_nc_u32_e32 v25, v25, v10
	v_cndmask_b32_e64 v9, v12, v9, s3
	v_cndmask_b32_e64 v10, v25, v10, s3
	v_cmp_lt_u32_e64 s3, 1, v26
	v_mov_b32_dpp v12, v9 row_shr:2 row_mask:0xf bank_mask:0xf
	v_mov_b32_dpp v25, v10 row_shr:2 row_mask:0xf bank_mask:0xf
	v_add_nc_u32_e32 v12, v9, v12
	v_add_nc_u32_e32 v25, v10, v25
	v_cndmask_b32_e64 v9, v9, v12, s3
	v_cndmask_b32_e64 v10, v10, v25, s3
	v_cmp_lt_u32_e64 s3, 3, v26
	v_mov_b32_dpp v12, v9 row_shr:4 row_mask:0xf bank_mask:0xf
	v_mov_b32_dpp v25, v10 row_shr:4 row_mask:0xf bank_mask:0xf
	v_cndmask_b32_e64 v12, 0, v12, s3
	v_cndmask_b32_e64 v25, 0, v25, s3
	v_add_nc_u32_e32 v9, v12, v9
	v_add_nc_u32_e32 v10, v25, v10
	ds_write_b64 v11, v[9:10]
.LBB1799_119:
	s_or_b32 exec_lo, exec_lo, s4
	v_cndmask_b32_e32 v5, v7, v5, vcc_lo
	v_cndmask_b32_e32 v6, v8, v6, vcc_lo
	s_mov_b32 s4, exec_lo
	v_cmp_gt_u32_e32 vcc_lo, 32, v0
	s_waitcnt lgkmcnt(0)
	s_barrier
	buffer_gl0_inv
                                        ; implicit-def: $vgpr25
	v_cmpx_lt_u32_e32 31, v0
	s_cbranch_execz .LBB1799_121
; %bb.120:
	v_lshl_add_u32 v7, v68, 3, -8
	ds_read_b64 v[25:26], v7
	s_waitcnt lgkmcnt(0)
	v_add_nc_u32_e32 v5, v26, v5
	v_add_nc_u32_e32 v6, v25, v6
.LBB1799_121:
	s_or_b32 exec_lo, exec_lo, s4
	v_sub_co_u32 v7, s3, v67, 1
	v_cmp_gt_i32_e64 s4, 0, v7
	v_cndmask_b32_e64 v7, v7, v67, s4
	v_lshlrev_b32_e32 v7, 2, v7
	ds_bpermute_b32 v74, v7, v6
	ds_bpermute_b32 v75, v7, v5
	s_and_saveexec_b32 s4, vcc_lo
	s_cbranch_execz .LBB1799_141
; %bb.122:
	v_mov_b32_e32 v8, 0
	ds_read_b64 v[5:6], v8 offset:56
	s_and_saveexec_b32 s6, s3
	s_cbranch_execz .LBB1799_124
; %bb.123:
	s_add_i32 s8, s27, 32
	s_mov_b32 s9, 0
	v_mov_b32_e32 v7, 1
	s_lshl_b64 s[8:9], s[8:9], 4
	s_add_u32 s8, s36, s8
	s_addc_u32 s9, s37, s9
	v_mov_b32_e32 v10, s9
	v_mov_b32_e32 v9, s8
	s_waitcnt lgkmcnt(0)
	;;#ASMSTART
	global_store_dwordx4 v[9:10], v[5:8] off	
s_waitcnt vmcnt(0)
	;;#ASMEND
.LBB1799_124:
	s_or_b32 exec_lo, exec_lo, s6
	v_xad_u32 v27, v67, -1, s27
	s_mov_b32 s7, 0
	v_add_nc_u32_e32 v7, 32, v27
	v_lshlrev_b64 v[9:10], 4, v[7:8]
	v_add_co_u32 v28, vcc_lo, s36, v9
	v_add_co_ci_u32_e64 v29, null, s37, v10, vcc_lo
	;;#ASMSTART
	global_load_dwordx4 v[9:12], v[28:29] off glc dlc	
s_waitcnt vmcnt(0)
	;;#ASMEND
	v_cmp_eq_u16_sdwa s8, v11, v8 src0_sel:BYTE_0 src1_sel:DWORD
	s_and_saveexec_b32 s6, s8
	s_cbranch_execz .LBB1799_128
; %bb.125:
	v_mov_b32_e32 v7, 0
.LBB1799_126:                           ; =>This Inner Loop Header: Depth=1
	;;#ASMSTART
	global_load_dwordx4 v[9:12], v[28:29] off glc dlc	
s_waitcnt vmcnt(0)
	;;#ASMEND
	v_cmp_ne_u16_sdwa s8, v11, v7 src0_sel:BYTE_0 src1_sel:DWORD
	s_or_b32 s7, s8, s7
	s_andn2_b32 exec_lo, exec_lo, s7
	s_cbranch_execnz .LBB1799_126
; %bb.127:
	s_or_b32 exec_lo, exec_lo, s7
.LBB1799_128:
	s_or_b32 exec_lo, exec_lo, s6
	v_cmp_ne_u32_e32 vcc_lo, 31, v67
	v_mov_b32_e32 v77, 2
	v_lshlrev_b32_e64 v78, v67, -1
	v_add_nc_u32_e32 v80, 2, v67
	v_add_nc_u32_e32 v82, 4, v67
	v_add_co_ci_u32_e64 v7, null, 0, v67, vcc_lo
	v_cmp_eq_u16_sdwa s6, v11, v77 src0_sel:BYTE_0 src1_sel:DWORD
	v_cmp_gt_u32_e32 vcc_lo, 30, v67
	v_add_nc_u32_e32 v84, 8, v67
	v_lshlrev_b32_e32 v76, 2, v7
	v_lshl_or_b32 v85, v67, 2, 64
	v_and_b32_e32 v12, s6, v78
	v_cndmask_b32_e64 v28, 0, 2, vcc_lo
	v_add_nc_u32_e32 v86, 16, v67
	ds_bpermute_b32 v7, v76, v10
	ds_bpermute_b32 v8, v76, v9
	v_or_b32_e32 v12, 0x80000000, v12
	v_add_lshl_u32 v79, v28, v67, 2
	v_ffbl_b32_e32 v12, v12
	v_cmp_lt_u32_e32 vcc_lo, v67, v12
	s_waitcnt lgkmcnt(1)
	v_add_nc_u32_e32 v7, v7, v10
	s_waitcnt lgkmcnt(0)
	v_add_nc_u32_e32 v8, v8, v9
	v_cndmask_b32_e32 v7, v10, v7, vcc_lo
	v_cndmask_b32_e32 v8, v9, v8, vcc_lo
	v_cmp_gt_u32_e32 vcc_lo, 28, v67
	ds_bpermute_b32 v9, v79, v7
	ds_bpermute_b32 v10, v79, v8
	v_cndmask_b32_e64 v28, 0, 4, vcc_lo
	v_cmp_gt_u32_e32 vcc_lo, v80, v12
	v_add_lshl_u32 v81, v28, v67, 2
	s_waitcnt lgkmcnt(1)
	v_add_nc_u32_e32 v9, v7, v9
	s_waitcnt lgkmcnt(0)
	v_add_nc_u32_e32 v10, v8, v10
	v_cndmask_b32_e32 v7, v9, v7, vcc_lo
	v_cndmask_b32_e32 v8, v10, v8, vcc_lo
	v_cmp_gt_u32_e32 vcc_lo, 24, v67
	ds_bpermute_b32 v9, v81, v7
	ds_bpermute_b32 v10, v81, v8
	v_cndmask_b32_e64 v28, 0, 8, vcc_lo
	v_cmp_gt_u32_e32 vcc_lo, v82, v12
	v_add_lshl_u32 v83, v28, v67, 2
	v_mov_b32_e32 v28, 0
	s_waitcnt lgkmcnt(1)
	v_add_nc_u32_e32 v9, v7, v9
	s_waitcnt lgkmcnt(0)
	v_add_nc_u32_e32 v10, v8, v10
	v_cndmask_b32_e32 v7, v9, v7, vcc_lo
	v_cndmask_b32_e32 v8, v10, v8, vcc_lo
	v_cmp_gt_u32_e32 vcc_lo, v84, v12
	ds_bpermute_b32 v9, v83, v7
	ds_bpermute_b32 v10, v83, v8
	s_waitcnt lgkmcnt(1)
	v_add_nc_u32_e32 v9, v7, v9
	s_waitcnt lgkmcnt(0)
	v_add_nc_u32_e32 v10, v8, v10
	v_cndmask_b32_e32 v7, v9, v7, vcc_lo
	v_cndmask_b32_e32 v8, v10, v8, vcc_lo
	v_cmp_le_u32_e32 vcc_lo, v86, v12
	ds_bpermute_b32 v10, v85, v7
	ds_bpermute_b32 v9, v85, v8
	s_waitcnt lgkmcnt(1)
	v_cndmask_b32_e32 v10, 0, v10, vcc_lo
	s_waitcnt lgkmcnt(0)
	v_cndmask_b32_e32 v9, 0, v9, vcc_lo
	v_add_nc_u32_e32 v10, v10, v7
	v_add_nc_u32_e32 v9, v9, v8
	s_branch .LBB1799_132
.LBB1799_129:                           ;   in Loop: Header=BB1799_132 Depth=1
	s_or_b32 exec_lo, exec_lo, s7
.LBB1799_130:                           ;   in Loop: Header=BB1799_132 Depth=1
	s_or_b32 exec_lo, exec_lo, s6
	ds_bpermute_b32 v12, v76, v9
	ds_bpermute_b32 v29, v76, v10
	v_cmp_eq_u16_sdwa s6, v11, v77 src0_sel:BYTE_0 src1_sel:DWORD
	v_subrev_nc_u32_e32 v27, 32, v27
	v_and_or_b32 v30, s6, v78, 0x80000000
	s_mov_b32 s6, 0
	v_ffbl_b32_e32 v30, v30
	v_cmp_lt_u32_e32 vcc_lo, v67, v30
	s_waitcnt lgkmcnt(1)
	v_add_nc_u32_e32 v12, v12, v9
	s_waitcnt lgkmcnt(0)
	v_add_nc_u32_e32 v29, v29, v10
	v_cndmask_b32_e32 v9, v9, v12, vcc_lo
	v_cndmask_b32_e32 v10, v10, v29, vcc_lo
	v_cmp_gt_u32_e32 vcc_lo, v80, v30
	ds_bpermute_b32 v12, v79, v9
	ds_bpermute_b32 v29, v79, v10
	s_waitcnt lgkmcnt(1)
	v_add_nc_u32_e32 v12, v9, v12
	s_waitcnt lgkmcnt(0)
	v_add_nc_u32_e32 v29, v10, v29
	v_cndmask_b32_e32 v9, v12, v9, vcc_lo
	v_cndmask_b32_e32 v10, v29, v10, vcc_lo
	v_cmp_gt_u32_e32 vcc_lo, v82, v30
	ds_bpermute_b32 v12, v81, v9
	ds_bpermute_b32 v29, v81, v10
	;; [unrolled: 9-line block ×3, first 2 shown]
	s_waitcnt lgkmcnt(1)
	v_add_nc_u32_e32 v12, v9, v12
	s_waitcnt lgkmcnt(0)
	v_add_nc_u32_e32 v29, v10, v29
	v_cndmask_b32_e32 v9, v12, v9, vcc_lo
	v_cndmask_b32_e32 v10, v29, v10, vcc_lo
	v_cmp_le_u32_e32 vcc_lo, v86, v30
	ds_bpermute_b32 v12, v85, v9
	ds_bpermute_b32 v29, v85, v10
	s_waitcnt lgkmcnt(1)
	v_cndmask_b32_e32 v12, 0, v12, vcc_lo
	s_waitcnt lgkmcnt(0)
	v_cndmask_b32_e32 v29, 0, v29, vcc_lo
	v_add3_u32 v9, v9, v7, v12
	v_add3_u32 v10, v10, v8, v29
.LBB1799_131:                           ;   in Loop: Header=BB1799_132 Depth=1
	s_and_b32 vcc_lo, exec_lo, s6
	s_cbranch_vccnz .LBB1799_137
.LBB1799_132:                           ; =>This Loop Header: Depth=1
                                        ;     Child Loop BB1799_135 Depth 2
	v_cmp_ne_u16_sdwa s6, v11, v77 src0_sel:BYTE_0 src1_sel:DWORD
	v_mov_b32_e32 v7, v9
	v_mov_b32_e32 v8, v10
                                        ; implicit-def: $vgpr11
                                        ; implicit-def: $vgpr9_vgpr10
	s_cmp_lg_u32 s6, exec_lo
	s_mov_b32 s6, -1
	s_cbranch_scc1 .LBB1799_131
; %bb.133:                              ;   in Loop: Header=BB1799_132 Depth=1
	v_lshlrev_b64 v[9:10], 4, v[27:28]
	v_add_co_u32 v29, vcc_lo, s36, v9
	v_add_co_ci_u32_e64 v30, null, s37, v10, vcc_lo
	;;#ASMSTART
	global_load_dwordx4 v[9:12], v[29:30] off glc dlc	
s_waitcnt vmcnt(0)
	;;#ASMEND
	v_cmp_eq_u16_sdwa s7, v11, v28 src0_sel:BYTE_0 src1_sel:DWORD
	s_and_saveexec_b32 s6, s7
	s_cbranch_execz .LBB1799_130
; %bb.134:                              ;   in Loop: Header=BB1799_132 Depth=1
	s_mov_b32 s7, 0
.LBB1799_135:                           ;   Parent Loop BB1799_132 Depth=1
                                        ; =>  This Inner Loop Header: Depth=2
	;;#ASMSTART
	global_load_dwordx4 v[9:12], v[29:30] off glc dlc	
s_waitcnt vmcnt(0)
	;;#ASMEND
	v_cmp_ne_u16_sdwa s8, v11, v28 src0_sel:BYTE_0 src1_sel:DWORD
	s_or_b32 s7, s8, s7
	s_andn2_b32 exec_lo, exec_lo, s7
	s_cbranch_execnz .LBB1799_135
	s_branch .LBB1799_129
.LBB1799_136:
                                        ; implicit-def: $vgpr25
                                        ; implicit-def: $vgpr7
                                        ; implicit-def: $vgpr26
	s_and_b32 vcc_lo, exec_lo, s4
	s_cbranch_vccnz .LBB1799_142
	s_branch .LBB1799_151
.LBB1799_137:
	s_and_saveexec_b32 s6, s3
	s_cbranch_execnz .LBB1799_379
; %bb.138:
	s_or_b32 exec_lo, exec_lo, s6
	s_and_saveexec_b32 s6, s3
	s_cbranch_execnz .LBB1799_380
.LBB1799_139:
	s_or_b32 exec_lo, exec_lo, s6
	s_and_b32 exec_lo, exec_lo, s0
.LBB1799_140:
	v_mov_b32_e32 v5, 0
	ds_write_b64 v5, v[7:8] offset:56
.LBB1799_141:
	s_or_b32 exec_lo, exec_lo, s4
	v_mov_b32_e32 v5, 0
	s_waitcnt lgkmcnt(0)
	s_barrier
	buffer_gl0_inv
	v_cndmask_b32_e64 v11, v75, v26, s3
	ds_read_b64 v[9:10], v5 offset:56
	s_waitcnt lgkmcnt(0)
	s_barrier
	buffer_gl0_inv
	ds_read_b128 v[5:8], v5 offset:13312
	v_cndmask_b32_e64 v12, v74, v25, s3
	v_add_nc_u32_e32 v11, v10, v11
	v_add_nc_u32_e32 v12, v9, v12
	v_cndmask_b32_e64 v25, v11, v10, s0
	v_cndmask_b32_e64 v26, v12, v9, s0
	s_branch .LBB1799_151
.LBB1799_142:
	s_waitcnt lgkmcnt(0)
	v_mov_b32_dpp v5, v72 row_shr:1 row_mask:0xf bank_mask:0xf
	v_mov_b32_dpp v6, v73 row_shr:1 row_mask:0xf bank_mask:0xf
	v_cmp_lt_u32_e32 vcc_lo, 3, v69
	v_add_nc_u32_e32 v5, v5, v72
	v_add_nc_u32_e32 v6, v6, v73
	v_cndmask_b32_e64 v5, v5, v72, s2
	v_cndmask_b32_e64 v6, v6, v73, s2
	s_mov_b32 s2, exec_lo
	v_mov_b32_dpp v7, v5 row_shr:2 row_mask:0xf bank_mask:0xf
	v_mov_b32_dpp v8, v6 row_shr:2 row_mask:0xf bank_mask:0xf
	v_add_nc_u32_e32 v7, v5, v7
	v_add_nc_u32_e32 v8, v6, v8
	v_cndmask_b32_e64 v5, v5, v7, s1
	v_cndmask_b32_e64 v6, v6, v8, s1
	v_mov_b32_dpp v7, v5 row_shr:4 row_mask:0xf bank_mask:0xf
	v_mov_b32_dpp v8, v6 row_shr:4 row_mask:0xf bank_mask:0xf
	v_add_nc_u32_e32 v7, v5, v7
	v_add_nc_u32_e32 v8, v6, v8
	v_cndmask_b32_e32 v7, v5, v7, vcc_lo
	v_cndmask_b32_e32 v6, v6, v8, vcc_lo
	v_cmp_lt_u32_e32 vcc_lo, 7, v69
	v_mov_b32_dpp v5, v7 row_shr:8 row_mask:0xf bank_mask:0xf
	v_mov_b32_dpp v8, v6 row_shr:8 row_mask:0xf bank_mask:0xf
	v_add_nc_u32_e32 v9, v7, v5
	v_add_nc_u32_e32 v5, v6, v8
	v_cndmask_b32_e32 v5, v6, v5, vcc_lo
	v_cndmask_b32_e32 v6, v7, v9, vcc_lo
	v_cmp_eq_u32_e32 vcc_lo, 0, v71
	ds_swizzle_b32 v7, v5 offset:swizzle(BROADCAST,32,15)
	ds_swizzle_b32 v8, v6 offset:swizzle(BROADCAST,32,15)
	s_waitcnt lgkmcnt(1)
	v_add_nc_u32_e32 v7, v5, v7
	s_waitcnt lgkmcnt(0)
	v_add_nc_u32_e32 v8, v6, v8
	v_cmpx_eq_u32_e64 v0, v70
	s_cbranch_execz .LBB1799_144
; %bb.143:
	v_cndmask_b32_e32 v9, v8, v6, vcc_lo
	v_cndmask_b32_e32 v10, v7, v5, vcc_lo
	v_lshlrev_b32_e32 v11, 3, v68
	ds_write_b64 v11, v[9:10]
.LBB1799_144:
	s_or_b32 exec_lo, exec_lo, s2
	s_mov_b32 s2, exec_lo
	s_waitcnt lgkmcnt(0)
	s_barrier
	buffer_gl0_inv
	v_cmpx_gt_u32_e32 8, v0
	s_cbranch_execz .LBB1799_146
; %bb.145:
	v_lshlrev_b32_e32 v11, 3, v0
	v_and_b32_e32 v26, 7, v67
	ds_read_b64 v[9:10], v11
	v_cmp_eq_u32_e64 s1, 0, v26
	s_waitcnt lgkmcnt(0)
	v_mov_b32_dpp v12, v9 row_shr:1 row_mask:0xf bank_mask:0xf
	v_mov_b32_dpp v25, v10 row_shr:1 row_mask:0xf bank_mask:0xf
	v_add_nc_u32_e32 v12, v12, v9
	v_add_nc_u32_e32 v25, v25, v10
	v_cndmask_b32_e64 v9, v12, v9, s1
	v_cndmask_b32_e64 v10, v25, v10, s1
	v_cmp_lt_u32_e64 s1, 1, v26
	v_mov_b32_dpp v12, v9 row_shr:2 row_mask:0xf bank_mask:0xf
	v_mov_b32_dpp v25, v10 row_shr:2 row_mask:0xf bank_mask:0xf
	v_add_nc_u32_e32 v12, v9, v12
	v_add_nc_u32_e32 v25, v10, v25
	v_cndmask_b32_e64 v9, v9, v12, s1
	v_cndmask_b32_e64 v10, v10, v25, s1
	v_cmp_lt_u32_e64 s1, 3, v26
	v_mov_b32_dpp v12, v9 row_shr:4 row_mask:0xf bank_mask:0xf
	v_mov_b32_dpp v25, v10 row_shr:4 row_mask:0xf bank_mask:0xf
	v_cndmask_b32_e64 v12, 0, v12, s1
	v_cndmask_b32_e64 v25, 0, v25, s1
	v_add_nc_u32_e32 v9, v12, v9
	v_add_nc_u32_e32 v10, v25, v10
	ds_write_b64 v11, v[9:10]
.LBB1799_146:
	s_or_b32 exec_lo, exec_lo, s2
	v_mov_b32_e32 v11, 0
	v_mov_b32_e32 v9, 0
	;; [unrolled: 1-line block ×3, first 2 shown]
	s_mov_b32 s2, exec_lo
	s_waitcnt lgkmcnt(0)
	s_barrier
	buffer_gl0_inv
	v_cmpx_lt_u32_e32 31, v0
; %bb.147:
	v_lshl_add_u32 v9, v68, 3, -8
	ds_read_b64 v[9:10], v9
; %bb.148:
	s_or_b32 exec_lo, exec_lo, s2
	v_sub_co_u32 v12, s1, v67, 1
	v_cndmask_b32_e32 v6, v8, v6, vcc_lo
	v_cndmask_b32_e32 v5, v7, v5, vcc_lo
	v_cmp_gt_i32_e64 s2, 0, v12
	s_waitcnt lgkmcnt(0)
	v_add_nc_u32_e32 v6, v9, v6
	v_add_nc_u32_e32 v5, v10, v5
	v_cndmask_b32_e64 v8, v12, v67, s2
	v_lshlrev_b32_e32 v7, 2, v8
	ds_bpermute_b32 v12, v7, v6
	ds_bpermute_b32 v25, v7, v5
	ds_read_b64 v[5:6], v11 offset:56
	s_and_saveexec_b32 s2, s0
	s_cbranch_execz .LBB1799_150
; %bb.149:
	s_add_u32 s6, s36, 0x200
	s_addc_u32 s7, s37, 0
	v_mov_b32_e32 v7, 2
	v_mov_b32_e32 v27, s7
	v_mov_b32_e32 v8, 0
	v_mov_b32_e32 v26, s6
	s_waitcnt lgkmcnt(0)
	;;#ASMSTART
	global_store_dwordx4 v[26:27], v[5:8] off	
s_waitcnt vmcnt(0)
	;;#ASMEND
.LBB1799_150:
	s_or_b32 exec_lo, exec_lo, s2
	s_waitcnt lgkmcnt(1)
	v_cndmask_b32_e64 v7, v25, v10, s1
	v_cndmask_b32_e64 v9, v12, v9, s1
	v_mov_b32_e32 v8, 0
	s_waitcnt lgkmcnt(0)
	s_barrier
	v_cndmask_b32_e64 v25, v7, 0, s0
	v_cndmask_b32_e64 v26, v9, 0, s0
	v_mov_b32_e32 v7, 0
	buffer_gl0_inv
.LBB1799_151:
	v_add_nc_u32_e32 v30, v25, v66
	v_add_nc_u32_e32 v29, v26, v65
	s_waitcnt lgkmcnt(0)
	v_sub_nc_u32_e32 v25, v25, v8
	v_lshrrev_b32_e32 v28, 8, v41
	v_lshlrev_b32_e32 v69, 1, v5
	v_add_nc_u32_e32 v63, v30, v63
	v_sub_nc_u32_e32 v30, v30, v8
	v_add_nc_u32_e32 v62, v29, v62
	v_sub_nc_u32_e32 v26, v26, v7
	;; [unrolled: 2-line block ×3, first 2 shown]
	v_add_nc_u32_e32 v30, v30, v5
	v_and_b32_e32 v28, 1, v28
	v_mov_b32_e32 v71, 1
	v_add3_u32 v34, v69, v6, v34
	v_add_nc_u32_e32 v75, v26, v25
	v_add_nc_u32_e32 v76, v30, v29
	v_add_co_u32 v1, vcc_lo, v1, v7
	v_add_co_ci_u32_e64 v2, null, 0, v2, vcc_lo
	v_sub_co_u32 v67, vcc_lo, v3, v5
	v_subrev_co_ci_u32_e64 v68, null, 0, v4, vcc_lo
	v_and_b32_sdwa v74, v71, v41 dst_sel:DWORD dst_unused:UNUSED_PAD src0_sel:DWORD src1_sel:WORD_1
	v_sub_nc_u32_e32 v76, v34, v76
	v_sub_nc_u32_e32 v75, v34, v75
	v_cmp_eq_u32_e32 vcc_lo, 1, v28
	v_lshrrev_b32_e32 v27, 8, v35
	v_add_nc_u32_e32 v65, v63, v48
	v_and_b32_e32 v70, 1, v35
	v_sub_nc_u32_e32 v63, v63, v8
	v_add_nc_u32_e32 v76, 1, v76
	v_cndmask_b32_e32 v25, v75, v25, vcc_lo
	v_cmp_eq_u32_e32 vcc_lo, 1, v74
	v_add_nc_u32_e32 v64, v62, v64
	v_and_b32_e32 v27, 1, v27
	v_sub_nc_u32_e32 v62, v62, v7
	v_add_nc_u32_e32 v63, v63, v5
	v_cndmask_b32_e32 v30, v76, v30, vcc_lo
	v_cmp_eq_u32_e32 vcc_lo, 1, v70
	v_and_b32_e32 v48, 1, v48
	v_add_nc_u32_e32 v61, v65, v61
	v_add_nc_u32_e32 v74, v63, v62
	v_and_b32_sdwa v35, v71, v35 dst_sel:DWORD dst_unused:UNUSED_PAD src0_sel:DWORD src1_sel:WORD_1
	v_cndmask_b32_e32 v70, v25, v26, vcc_lo
	v_cmp_eq_u32_e32 vcc_lo, 1, v27
	v_sub_nc_u32_e32 v65, v65, v8
	v_add_nc_u32_e32 v66, v64, v47
	v_add_nc_u32_e32 v60, v61, v60
	v_sub_nc_u32_e32 v61, v61, v8
	v_cndmask_b32_e32 v27, v30, v29, vcc_lo
	v_sub_nc_u32_e32 v29, v34, v74
	v_add_co_u32 v25, vcc_lo, v67, v8
	v_add_co_ci_u32_e64 v26, null, 0, v68, vcc_lo
	v_add_nc_u32_e32 v29, 2, v29
	v_cmp_eq_u32_e32 vcc_lo, 1, v48
	v_sub_nc_u32_e32 v48, v64, v7
	v_lshlrev_b32_e32 v30, 2, v70
	v_add_nc_u32_e32 v61, v61, v5
	v_lshlrev_b32_e32 v27, 2, v27
	v_cndmask_b32_e32 v29, v29, v63, vcc_lo
	v_add_nc_u32_e32 v63, v65, v5
	v_cmp_eq_u32_e32 vcc_lo, 1, v35
	v_sub_nc_u32_e32 v35, v66, v7
	v_lshrrev_b32_e32 v12, 8, v36
	ds_write_b32 v30, v23
	ds_write_b32 v27, v24
	v_and_b32_e32 v30, 1, v36
	v_cndmask_b32_e32 v29, v29, v62, vcc_lo
	v_add_nc_u32_e32 v62, v48, v63
	v_add_nc_u32_e32 v24, v35, v61
	;; [unrolled: 1-line block ×3, first 2 shown]
	v_and_b32_e32 v12, 1, v12
	v_lshlrev_b32_e32 v23, 2, v29
	v_sub_nc_u32_e32 v27, v34, v62
	v_and_b32_e32 v29, 1, v47
	v_sub_nc_u32_e32 v47, v60, v8
	v_sub_nc_u32_e32 v24, v34, v24
	v_cmp_eq_u32_e32 vcc_lo, 1, v30
	v_add_nc_u32_e32 v27, 3, v27
	v_add_nc_u32_e32 v57, v59, v57
	v_sub_nc_u32_e32 v59, v59, v7
	v_add_nc_u32_e32 v47, v47, v5
	v_add_nc_u32_e32 v24, 4, v24
	v_cndmask_b32_e32 v27, v27, v63, vcc_lo
	v_cmp_eq_u32_e32 vcc_lo, 1, v12
	v_add_nc_u32_e32 v58, v60, v58
	v_and_b32_e32 v30, 1, v37
	v_add_nc_u32_e32 v60, v59, v47
	v_lshrrev_b32_e32 v11, 8, v37
	v_cndmask_b32_e32 v12, v24, v61, vcc_lo
	v_cmp_eq_u32_e32 vcc_lo, 1, v29
	ds_write_b32 v23, v21
	v_and_b32_sdwa v23, v71, v36 dst_sel:DWORD dst_unused:UNUSED_PAD src0_sel:DWORD src1_sel:WORD_1
	v_add_nc_u32_e32 v72, v58, v46
	v_and_b32_e32 v11, 1, v11
	v_cndmask_b32_e32 v24, v27, v48, vcc_lo
	v_sub_nc_u32_e32 v27, v34, v60
	v_cmp_eq_u32_e32 vcc_lo, 1, v30
	v_add_nc_u32_e32 v52, v57, v52
	v_sub_nc_u32_e32 v29, v72, v8
	v_lshlrev_b32_e32 v21, 2, v24
	v_add_nc_u32_e32 v24, 5, v27
	v_cndmask_b32_e32 v12, v12, v35, vcc_lo
	v_sub_nc_u32_e32 v27, v58, v8
	v_cmp_eq_u32_e32 vcc_lo, 1, v23
	v_add_nc_u32_e32 v29, v29, v5
	v_add_nc_u32_e32 v56, v72, v56
	v_lshlrev_b32_e32 v12, 2, v12
	v_add_nc_u32_e32 v27, v27, v5
	v_cndmask_b32_e32 v23, v24, v47, vcc_lo
	v_sub_nc_u32_e32 v24, v57, v7
	v_cmp_eq_u32_e32 vcc_lo, 1, v11
	ds_write_b32 v21, v22
	ds_write_b32 v12, v19
	v_and_b32_e32 v22, 1, v46
	v_and_b32_e32 v35, 1, v38
	v_add_nc_u32_e32 v30, v24, v27
	v_cndmask_b32_e32 v11, v23, v59, vcc_lo
	v_sub_nc_u32_e32 v23, v52, v7
	v_cmp_eq_u32_e32 vcc_lo, 1, v22
	v_add_nc_u32_e32 v73, v52, v45
	v_sub_nc_u32_e32 v19, v34, v30
	v_sub_nc_u32_e32 v30, v56, v8
	v_add_nc_u32_e32 v12, v23, v29
	v_and_b32_sdwa v21, v71, v37 dst_sel:DWORD dst_unused:UNUSED_PAD src0_sel:DWORD src1_sel:WORD_1
	v_sub_nc_u32_e32 v36, v73, v7
	v_add_nc_u32_e32 v19, 6, v19
	v_add_nc_u32_e32 v30, v30, v5
	v_sub_nc_u32_e32 v12, v34, v12
	v_and_b32_e32 v22, 1, v45
	v_lshrrev_b32_e32 v10, 8, v38
	v_cndmask_b32_e32 v19, v19, v27, vcc_lo
	v_cmp_eq_u32_e32 vcc_lo, 1, v35
	v_add_nc_u32_e32 v12, 7, v12
	v_add_nc_u32_e32 v55, v56, v55
	;; [unrolled: 1-line block ×4, first 2 shown]
	v_and_b32_e32 v10, 1, v10
	v_cndmask_b32_e32 v12, v12, v29, vcc_lo
	v_cmp_eq_u32_e32 vcc_lo, 1, v21
	v_sub_nc_u32_e32 v21, v34, v27
	v_add_nc_u32_e32 v53, v55, v53
	v_lshlrev_b32_e32 v11, 2, v11
	v_add_nc_u32_e32 v51, v54, v51
	v_cndmask_b32_e32 v19, v19, v24, vcc_lo
	v_cmp_eq_u32_e32 vcc_lo, 1, v22
	v_sub_nc_u32_e32 v22, v55, v8
	v_add_nc_u32_e32 v21, 8, v21
	v_sub_nc_u32_e32 v24, v54, v7
	v_lshlrev_b32_e32 v19, 2, v19
	v_cndmask_b32_e32 v12, v12, v23, vcc_lo
	v_add_nc_u32_e32 v22, v22, v5
	v_cmp_eq_u32_e32 vcc_lo, 1, v10
	v_add_nc_u32_e32 v77, v53, v44
	v_and_b32_e32 v23, 1, v40
	v_lshlrev_b32_e32 v12, 2, v12
	ds_write_b32 v11, v20
	ds_write_b32 v19, v17
	;; [unrolled: 1-line block ×3, first 2 shown]
	v_cndmask_b32_e32 v10, v21, v30, vcc_lo
	v_add_nc_u32_e32 v21, v24, v22
	v_sub_nc_u32_e32 v12, v53, v8
	v_lshrrev_b32_e32 v9, 8, v40
	v_add_nc_u32_e32 v49, v51, v49
	v_cmp_eq_u32_e32 vcc_lo, 1, v23
	v_sub_nc_u32_e32 v11, v34, v21
	v_and_b32_sdwa v17, v71, v38 dst_sel:DWORD dst_unused:UNUSED_PAD src0_sel:DWORD src1_sel:WORD_1
	v_sub_nc_u32_e32 v18, v51, v7
	v_sub_nc_u32_e32 v19, v77, v8
	v_add_nc_u32_e32 v12, v12, v5
	v_cndmask_b32_e32 v10, v10, v36, vcc_lo
	v_and_b32_e32 v9, 1, v9
	v_add_nc_u32_e32 v11, 9, v11
	v_cmp_eq_u32_e32 vcc_lo, 1, v17
	v_sub_nc_u32_e32 v17, v49, v7
	v_add_nc_u32_e32 v19, v19, v5
	v_add_nc_u32_e32 v20, v18, v12
	;; [unrolled: 1-line block ×3, first 2 shown]
	v_cndmask_b32_e32 v11, v11, v22, vcc_lo
	v_cmp_eq_u32_e32 vcc_lo, 1, v9
	v_add_nc_u32_e32 v21, v17, v19
	v_sub_nc_u32_e32 v20, v34, v20
	v_and_b32_e32 v23, 1, v44
	v_add_nc_u32_e32 v50, v49, v43
	v_cndmask_b32_e32 v9, v11, v24, vcc_lo
	v_sub_nc_u32_e32 v11, v28, v8
	v_sub_nc_u32_e32 v21, v34, v21
	v_add_nc_u32_e32 v20, 10, v20
	v_and_b32_e32 v24, 1, v39
	v_cmp_eq_u32_e32 vcc_lo, 1, v23
	v_and_b32_sdwa v22, v71, v40 dst_sel:DWORD dst_unused:UNUSED_PAD src0_sel:DWORD src1_sel:WORD_1
	v_sub_nc_u32_e32 v7, v50, v7
	v_add_nc_u32_e32 v11, v11, v5
	v_add_nc_u32_e32 v21, 11, v21
	v_cndmask_b32_e32 v12, v20, v12, vcc_lo
	v_cmp_eq_u32_e32 vcc_lo, 1, v24
	v_and_b32_e32 v20, 1, v43
	v_add_nc_u32_e32 v27, v7, v11
	v_lshlrev_b32_e32 v10, 2, v10
	v_lshlrev_b32_e32 v9, 2, v9
	v_cndmask_b32_e32 v19, v21, v19, vcc_lo
	v_cmp_eq_u32_e32 vcc_lo, 1, v22
	v_sub_nc_u32_e32 v23, v34, v27
	v_cndmask_b32_e32 v12, v12, v18, vcc_lo
	v_and_b32_e32 v18, 1, v42
	v_cmp_eq_u32_e32 vcc_lo, 1, v20
	v_add_nc_u32_e32 v21, 12, v23
	v_lshlrev_b32_e32 v12, 2, v12
	v_cndmask_b32_e32 v17, v19, v17, vcc_lo
	v_and_b32_e32 v19, 1, v41
	v_cmp_eq_u32_e32 vcc_lo, 1, v18
	v_lshlrev_b32_e32 v17, 2, v17
	ds_write_b32 v10, v15
	ds_write_b32 v9, v16
	;; [unrolled: 1-line block ×4, first 2 shown]
	v_cndmask_b32_e32 v11, v21, v11, vcc_lo
	v_cmp_eq_u32_e32 vcc_lo, 1, v19
	v_add_co_u32 v9, s1, v6, v69
	v_add_co_ci_u32_e64 v10, null, 0, 0, s1
	v_cndmask_b32_e32 v7, v11, v7, vcc_lo
	v_add_co_u32 v11, s1, s34, v31
	v_add_co_ci_u32_e64 v12, null, s35, 0, s1
	v_lshlrev_b32_e32 v7, 2, v7
	v_add_nc_u32_e32 v14, v5, v6
	ds_write_b32 v7, v33
	v_add_co_u32 v7, vcc_lo, v9, v25
	v_add_co_ci_u32_e64 v9, null, v10, v26, vcc_lo
	s_waitcnt lgkmcnt(0)
	v_add_co_u32 v7, vcc_lo, v7, v1
	v_add_co_ci_u32_e64 v13, null, v9, v2, vcc_lo
	v_lshlrev_b64 v[9:10], 2, v[25:26]
	v_sub_co_u32 v7, vcc_lo, v11, v7
	v_sub_co_ci_u32_e64 v13, null, v12, v13, vcc_lo
	v_lshlrev_b64 v[11:12], 2, v[1:2]
	v_add_co_u32 v9, vcc_lo, s30, v9
	v_add_co_ci_u32_e64 v10, null, s31, v10, vcc_lo
	v_cmp_ne_u32_e32 vcc_lo, 1, v32
	v_add_co_u32 v11, s1, s28, v11
	v_add_co_ci_u32_e64 v12, null, s29, v12, s1
	s_mov_b32 s1, -1
	s_barrier
	buffer_gl0_inv
	s_cbranch_vccz .LBB1799_155
; %bb.152:
	s_and_b32 vcc_lo, exec_lo, s1
	s_cbranch_vccnz .LBB1799_260
.LBB1799_153:
	s_and_b32 s0, s0, s26
	s_and_saveexec_b32 s1, s0
	s_cbranch_execnz .LBB1799_378
.LBB1799_154:
	s_endpgm
.LBB1799_155:
	s_mov_b32 s1, exec_lo
	v_cmpx_ge_u32_e64 v0, v5
	s_xor_b32 s1, exec_lo, s1
	s_cbranch_execz .LBB1799_161
; %bb.156:
	s_mov_b32 s2, exec_lo
	v_cmpx_ge_u32_e64 v0, v14
	s_xor_b32 s2, exec_lo, s2
	s_cbranch_execz .LBB1799_158
; %bb.157:
	v_lshlrev_b32_e32 v15, 2, v0
	ds_read_b32 v17, v15
	v_add_co_u32 v15, vcc_lo, v7, v0
	v_add_co_ci_u32_e64 v16, null, 0, v13, vcc_lo
	v_lshlrev_b64 v[15:16], 2, v[15:16]
	v_sub_co_u32 v15, vcc_lo, s14, v15
	v_sub_co_ci_u32_e64 v16, null, s15, v16, vcc_lo
	s_waitcnt lgkmcnt(0)
	global_store_dword v[15:16], v17, off offset:-4
.LBB1799_158:
	s_andn2_saveexec_b32 s2, s2
	s_cbranch_execz .LBB1799_160
; %bb.159:
	v_lshlrev_b32_e32 v15, 2, v0
	v_readfirstlane_b32 s6, v9
	v_readfirstlane_b32 s7, v10
	ds_read_b32 v16, v15
	s_waitcnt lgkmcnt(0)
	global_store_dword v15, v16, s[6:7]
.LBB1799_160:
	s_or_b32 exec_lo, exec_lo, s2
.LBB1799_161:
	s_andn2_saveexec_b32 s1, s1
	s_cbranch_execz .LBB1799_163
; %bb.162:
	v_lshlrev_b32_e32 v15, 2, v0
	v_readfirstlane_b32 s2, v11
	v_readfirstlane_b32 s3, v12
	ds_read_b32 v16, v15
	s_waitcnt lgkmcnt(0)
	global_store_dword v15, v16, s[2:3]
.LBB1799_163:
	s_or_b32 exec_lo, exec_lo, s1
	v_or_b32_e32 v15, 0x100, v0
	s_mov_b32 s1, exec_lo
	v_cmpx_ge_u32_e64 v15, v5
	s_xor_b32 s1, exec_lo, s1
	s_cbranch_execz .LBB1799_169
; %bb.164:
	s_mov_b32 s2, exec_lo
	v_cmpx_ge_u32_e64 v15, v14
	s_xor_b32 s2, exec_lo, s2
	s_cbranch_execz .LBB1799_166
; %bb.165:
	v_lshlrev_b32_e32 v15, 2, v0
	ds_read_b32 v17, v15 offset:1024
	v_add_co_u32 v15, vcc_lo, v7, v0
	v_add_co_ci_u32_e64 v16, null, 0, v13, vcc_lo
	v_lshlrev_b64 v[15:16], 2, v[15:16]
	v_sub_co_u32 v15, vcc_lo, s14, v15
	v_sub_co_ci_u32_e64 v16, null, s15, v16, vcc_lo
	s_waitcnt lgkmcnt(0)
	global_store_dword v[15:16], v17, off offset:-1028
.LBB1799_166:
	s_andn2_saveexec_b32 s2, s2
	s_cbranch_execz .LBB1799_168
; %bb.167:
	v_lshlrev_b32_e32 v15, 2, v0
	v_readfirstlane_b32 s6, v9
	v_readfirstlane_b32 s7, v10
	ds_read_b32 v16, v15 offset:1024
	s_waitcnt lgkmcnt(0)
	global_store_dword v15, v16, s[6:7] offset:1024
.LBB1799_168:
	s_or_b32 exec_lo, exec_lo, s2
.LBB1799_169:
	s_andn2_saveexec_b32 s1, s1
	s_cbranch_execz .LBB1799_171
; %bb.170:
	v_lshlrev_b32_e32 v15, 2, v0
	v_readfirstlane_b32 s2, v11
	v_readfirstlane_b32 s3, v12
	ds_read_b32 v16, v15 offset:1024
	s_waitcnt lgkmcnt(0)
	global_store_dword v15, v16, s[2:3] offset:1024
.LBB1799_171:
	s_or_b32 exec_lo, exec_lo, s1
	v_or_b32_e32 v15, 0x200, v0
	s_mov_b32 s1, exec_lo
	v_cmpx_ge_u32_e64 v15, v5
	s_xor_b32 s1, exec_lo, s1
	s_cbranch_execz .LBB1799_177
; %bb.172:
	s_mov_b32 s2, exec_lo
	v_cmpx_ge_u32_e64 v15, v14
	s_xor_b32 s2, exec_lo, s2
	s_cbranch_execz .LBB1799_174
; %bb.173:
	v_lshlrev_b32_e32 v17, 2, v0
	v_add_co_u32 v15, vcc_lo, v7, v0
	v_add_co_ci_u32_e64 v16, null, 0, v13, vcc_lo
	ds_read_b32 v17, v17 offset:2048
	v_lshlrev_b64 v[15:16], 2, v[15:16]
	v_sub_co_u32 v15, vcc_lo, s14, v15
	v_sub_co_ci_u32_e64 v16, null, s15, v16, vcc_lo
	v_add_co_u32 v15, vcc_lo, 0xfffff800, v15
	v_add_co_ci_u32_e64 v16, null, -1, v16, vcc_lo
	s_waitcnt lgkmcnt(0)
	global_store_dword v[15:16], v17, off offset:-4
                                        ; implicit-def: $vgpr15
.LBB1799_174:
	s_andn2_saveexec_b32 s2, s2
	s_cbranch_execz .LBB1799_176
; %bb.175:
	v_lshlrev_b32_e32 v16, 2, v0
	v_lshlrev_b32_e32 v15, 2, v15
	v_readfirstlane_b32 s6, v9
	v_readfirstlane_b32 s7, v10
	ds_read_b32 v16, v16 offset:2048
	s_waitcnt lgkmcnt(0)
	global_store_dword v15, v16, s[6:7]
.LBB1799_176:
	s_or_b32 exec_lo, exec_lo, s2
                                        ; implicit-def: $vgpr15
.LBB1799_177:
	s_andn2_saveexec_b32 s1, s1
	s_cbranch_execz .LBB1799_179
; %bb.178:
	v_lshlrev_b32_e32 v16, 2, v0
	v_lshlrev_b32_e32 v15, 2, v15
	v_readfirstlane_b32 s2, v11
	v_readfirstlane_b32 s3, v12
	ds_read_b32 v16, v16 offset:2048
	s_waitcnt lgkmcnt(0)
	global_store_dword v15, v16, s[2:3]
.LBB1799_179:
	s_or_b32 exec_lo, exec_lo, s1
	v_or_b32_e32 v15, 0x300, v0
	s_mov_b32 s1, exec_lo
	v_cmpx_ge_u32_e64 v15, v5
	s_xor_b32 s1, exec_lo, s1
	s_cbranch_execz .LBB1799_185
; %bb.180:
	s_mov_b32 s2, exec_lo
	v_cmpx_ge_u32_e64 v15, v14
	s_xor_b32 s2, exec_lo, s2
	s_cbranch_execz .LBB1799_182
; %bb.181:
	v_lshlrev_b32_e32 v16, 2, v0
	v_add_co_u32 v15, vcc_lo, v7, v15
	ds_read_b32 v17, v16 offset:3072
	v_add_co_ci_u32_e64 v16, null, 0, v13, vcc_lo
	v_lshlrev_b64 v[15:16], 2, v[15:16]
	v_sub_co_u32 v15, vcc_lo, s14, v15
	v_sub_co_ci_u32_e64 v16, null, s15, v16, vcc_lo
	s_waitcnt lgkmcnt(0)
	global_store_dword v[15:16], v17, off offset:-4
                                        ; implicit-def: $vgpr15
.LBB1799_182:
	s_andn2_saveexec_b32 s2, s2
	s_cbranch_execz .LBB1799_184
; %bb.183:
	v_lshlrev_b32_e32 v16, 2, v0
	v_lshlrev_b32_e32 v15, 2, v15
	v_readfirstlane_b32 s6, v9
	v_readfirstlane_b32 s7, v10
	ds_read_b32 v16, v16 offset:3072
	s_waitcnt lgkmcnt(0)
	global_store_dword v15, v16, s[6:7]
.LBB1799_184:
	s_or_b32 exec_lo, exec_lo, s2
                                        ; implicit-def: $vgpr15
.LBB1799_185:
	s_andn2_saveexec_b32 s1, s1
	s_cbranch_execz .LBB1799_187
; %bb.186:
	v_lshlrev_b32_e32 v16, 2, v0
	v_lshlrev_b32_e32 v15, 2, v15
	v_readfirstlane_b32 s2, v11
	v_readfirstlane_b32 s3, v12
	ds_read_b32 v16, v16 offset:3072
	s_waitcnt lgkmcnt(0)
	global_store_dword v15, v16, s[2:3]
.LBB1799_187:
	s_or_b32 exec_lo, exec_lo, s1
	v_or_b32_e32 v15, 0x400, v0
	s_mov_b32 s1, exec_lo
	v_cmpx_ge_u32_e64 v15, v5
	s_xor_b32 s1, exec_lo, s1
	s_cbranch_execz .LBB1799_193
; %bb.188:
	s_mov_b32 s2, exec_lo
	v_cmpx_ge_u32_e64 v15, v14
	s_xor_b32 s2, exec_lo, s2
	s_cbranch_execz .LBB1799_190
; %bb.189:
	v_lshlrev_b32_e32 v16, 2, v0
	v_add_co_u32 v15, vcc_lo, v7, v15
	ds_read_b32 v17, v16 offset:4096
	v_add_co_ci_u32_e64 v16, null, 0, v13, vcc_lo
	v_lshlrev_b64 v[15:16], 2, v[15:16]
	v_sub_co_u32 v15, vcc_lo, s14, v15
	v_sub_co_ci_u32_e64 v16, null, s15, v16, vcc_lo
	s_waitcnt lgkmcnt(0)
	global_store_dword v[15:16], v17, off offset:-4
                                        ; implicit-def: $vgpr15
.LBB1799_190:
	s_andn2_saveexec_b32 s2, s2
	s_cbranch_execz .LBB1799_192
; %bb.191:
	v_lshlrev_b32_e32 v16, 2, v0
	v_lshlrev_b32_e32 v15, 2, v15
	v_readfirstlane_b32 s6, v9
	v_readfirstlane_b32 s7, v10
	ds_read_b32 v16, v16 offset:4096
	s_waitcnt lgkmcnt(0)
	global_store_dword v15, v16, s[6:7]
.LBB1799_192:
	s_or_b32 exec_lo, exec_lo, s2
                                        ; implicit-def: $vgpr15
.LBB1799_193:
	;; [unrolled: 48-line block ×10, first 2 shown]
	s_andn2_saveexec_b32 s1, s1
	s_cbranch_execz .LBB1799_259
; %bb.258:
	v_lshlrev_b32_e32 v16, 2, v0
	v_lshlrev_b32_e32 v15, 2, v15
	v_readfirstlane_b32 s2, v11
	v_readfirstlane_b32 s3, v12
	ds_read_b32 v16, v16 offset:12288
	s_waitcnt lgkmcnt(0)
	global_store_dword v15, v16, s[2:3]
.LBB1799_259:
	s_or_b32 exec_lo, exec_lo, s1
	s_branch .LBB1799_153
.LBB1799_260:
	s_mov_b32 s1, exec_lo
	v_cmpx_gt_u32_e64 s5, v0
	s_cbranch_execz .LBB1799_269
; %bb.261:
	s_mov_b32 s2, exec_lo
	v_cmpx_ge_u32_e64 v0, v5
	s_xor_b32 s2, exec_lo, s2
	s_cbranch_execz .LBB1799_267
; %bb.262:
	s_mov_b32 s3, exec_lo
	v_cmpx_ge_u32_e64 v0, v14
	s_xor_b32 s3, exec_lo, s3
	s_cbranch_execz .LBB1799_264
; %bb.263:
	v_lshlrev_b32_e32 v15, 2, v0
	ds_read_b32 v17, v15
	v_add_co_u32 v15, vcc_lo, v7, v0
	v_add_co_ci_u32_e64 v16, null, 0, v13, vcc_lo
	v_lshlrev_b64 v[15:16], 2, v[15:16]
	v_sub_co_u32 v15, vcc_lo, s14, v15
	v_sub_co_ci_u32_e64 v16, null, s15, v16, vcc_lo
	s_waitcnt lgkmcnt(0)
	global_store_dword v[15:16], v17, off offset:-4
.LBB1799_264:
	s_andn2_saveexec_b32 s3, s3
	s_cbranch_execz .LBB1799_266
; %bb.265:
	v_lshlrev_b32_e32 v15, 2, v0
	v_readfirstlane_b32 s6, v9
	v_readfirstlane_b32 s7, v10
	ds_read_b32 v16, v15
	s_waitcnt lgkmcnt(0)
	global_store_dword v15, v16, s[6:7]
.LBB1799_266:
	s_or_b32 exec_lo, exec_lo, s3
.LBB1799_267:
	s_andn2_saveexec_b32 s2, s2
	s_cbranch_execz .LBB1799_269
; %bb.268:
	v_lshlrev_b32_e32 v15, 2, v0
	v_readfirstlane_b32 s2, v11
	v_readfirstlane_b32 s3, v12
	ds_read_b32 v16, v15
	s_waitcnt lgkmcnt(0)
	global_store_dword v15, v16, s[2:3]
.LBB1799_269:
	s_or_b32 exec_lo, exec_lo, s1
	v_or_b32_e32 v15, 0x100, v0
	s_mov_b32 s1, exec_lo
	v_cmpx_gt_u32_e64 s5, v15
	s_cbranch_execz .LBB1799_278
; %bb.270:
	s_mov_b32 s2, exec_lo
	v_cmpx_ge_u32_e64 v15, v5
	s_xor_b32 s2, exec_lo, s2
	s_cbranch_execz .LBB1799_276
; %bb.271:
	s_mov_b32 s3, exec_lo
	v_cmpx_ge_u32_e64 v15, v14
	s_xor_b32 s3, exec_lo, s3
	s_cbranch_execz .LBB1799_273
; %bb.272:
	v_lshlrev_b32_e32 v15, 2, v0
	ds_read_b32 v17, v15 offset:1024
	v_add_co_u32 v15, vcc_lo, v7, v0
	v_add_co_ci_u32_e64 v16, null, 0, v13, vcc_lo
	v_lshlrev_b64 v[15:16], 2, v[15:16]
	v_sub_co_u32 v15, vcc_lo, s14, v15
	v_sub_co_ci_u32_e64 v16, null, s15, v16, vcc_lo
	s_waitcnt lgkmcnt(0)
	global_store_dword v[15:16], v17, off offset:-1028
.LBB1799_273:
	s_andn2_saveexec_b32 s3, s3
	s_cbranch_execz .LBB1799_275
; %bb.274:
	v_lshlrev_b32_e32 v15, 2, v0
	v_readfirstlane_b32 s6, v9
	v_readfirstlane_b32 s7, v10
	ds_read_b32 v16, v15 offset:1024
	s_waitcnt lgkmcnt(0)
	global_store_dword v15, v16, s[6:7] offset:1024
.LBB1799_275:
	s_or_b32 exec_lo, exec_lo, s3
.LBB1799_276:
	s_andn2_saveexec_b32 s2, s2
	s_cbranch_execz .LBB1799_278
; %bb.277:
	v_lshlrev_b32_e32 v15, 2, v0
	v_readfirstlane_b32 s2, v11
	v_readfirstlane_b32 s3, v12
	ds_read_b32 v16, v15 offset:1024
	s_waitcnt lgkmcnt(0)
	global_store_dword v15, v16, s[2:3] offset:1024
.LBB1799_278:
	s_or_b32 exec_lo, exec_lo, s1
	v_or_b32_e32 v15, 0x200, v0
	s_mov_b32 s1, exec_lo
	v_cmpx_gt_u32_e64 s5, v15
	s_cbranch_execz .LBB1799_287
; %bb.279:
	s_mov_b32 s2, exec_lo
	v_cmpx_ge_u32_e64 v15, v5
	s_xor_b32 s2, exec_lo, s2
	s_cbranch_execz .LBB1799_285
; %bb.280:
	s_mov_b32 s3, exec_lo
	v_cmpx_ge_u32_e64 v15, v14
	s_xor_b32 s3, exec_lo, s3
	s_cbranch_execz .LBB1799_282
; %bb.281:
	v_lshlrev_b32_e32 v17, 2, v0
	v_add_co_u32 v15, vcc_lo, v7, v0
	v_add_co_ci_u32_e64 v16, null, 0, v13, vcc_lo
	ds_read_b32 v17, v17 offset:2048
	v_lshlrev_b64 v[15:16], 2, v[15:16]
	v_sub_co_u32 v15, vcc_lo, s14, v15
	v_sub_co_ci_u32_e64 v16, null, s15, v16, vcc_lo
	v_add_co_u32 v15, vcc_lo, 0xfffff800, v15
	v_add_co_ci_u32_e64 v16, null, -1, v16, vcc_lo
	s_waitcnt lgkmcnt(0)
	global_store_dword v[15:16], v17, off offset:-4
                                        ; implicit-def: $vgpr15
.LBB1799_282:
	s_andn2_saveexec_b32 s3, s3
	s_cbranch_execz .LBB1799_284
; %bb.283:
	v_lshlrev_b32_e32 v16, 2, v0
	v_lshlrev_b32_e32 v15, 2, v15
	v_readfirstlane_b32 s6, v9
	v_readfirstlane_b32 s7, v10
	ds_read_b32 v16, v16 offset:2048
	s_waitcnt lgkmcnt(0)
	global_store_dword v15, v16, s[6:7]
.LBB1799_284:
	s_or_b32 exec_lo, exec_lo, s3
                                        ; implicit-def: $vgpr15
.LBB1799_285:
	s_andn2_saveexec_b32 s2, s2
	s_cbranch_execz .LBB1799_287
; %bb.286:
	v_lshlrev_b32_e32 v16, 2, v0
	v_lshlrev_b32_e32 v15, 2, v15
	v_readfirstlane_b32 s2, v11
	v_readfirstlane_b32 s3, v12
	ds_read_b32 v16, v16 offset:2048
	s_waitcnt lgkmcnt(0)
	global_store_dword v15, v16, s[2:3]
.LBB1799_287:
	s_or_b32 exec_lo, exec_lo, s1
	v_or_b32_e32 v15, 0x300, v0
	s_mov_b32 s1, exec_lo
	v_cmpx_gt_u32_e64 s5, v15
	s_cbranch_execz .LBB1799_296
; %bb.288:
	s_mov_b32 s2, exec_lo
	v_cmpx_ge_u32_e64 v15, v5
	s_xor_b32 s2, exec_lo, s2
	s_cbranch_execz .LBB1799_294
; %bb.289:
	s_mov_b32 s3, exec_lo
	v_cmpx_ge_u32_e64 v15, v14
	s_xor_b32 s3, exec_lo, s3
	s_cbranch_execz .LBB1799_291
; %bb.290:
	v_lshlrev_b32_e32 v16, 2, v0
	v_add_co_u32 v15, vcc_lo, v7, v15
	ds_read_b32 v17, v16 offset:3072
	v_add_co_ci_u32_e64 v16, null, 0, v13, vcc_lo
	v_lshlrev_b64 v[15:16], 2, v[15:16]
	v_sub_co_u32 v15, vcc_lo, s14, v15
	v_sub_co_ci_u32_e64 v16, null, s15, v16, vcc_lo
	s_waitcnt lgkmcnt(0)
	global_store_dword v[15:16], v17, off offset:-4
                                        ; implicit-def: $vgpr15
.LBB1799_291:
	s_andn2_saveexec_b32 s3, s3
	s_cbranch_execz .LBB1799_293
; %bb.292:
	v_lshlrev_b32_e32 v16, 2, v0
	v_lshlrev_b32_e32 v15, 2, v15
	v_readfirstlane_b32 s6, v9
	v_readfirstlane_b32 s7, v10
	ds_read_b32 v16, v16 offset:3072
	s_waitcnt lgkmcnt(0)
	global_store_dword v15, v16, s[6:7]
.LBB1799_293:
	s_or_b32 exec_lo, exec_lo, s3
                                        ; implicit-def: $vgpr15
.LBB1799_294:
	s_andn2_saveexec_b32 s2, s2
	s_cbranch_execz .LBB1799_296
; %bb.295:
	v_lshlrev_b32_e32 v16, 2, v0
	v_lshlrev_b32_e32 v15, 2, v15
	v_readfirstlane_b32 s2, v11
	v_readfirstlane_b32 s3, v12
	ds_read_b32 v16, v16 offset:3072
	s_waitcnt lgkmcnt(0)
	global_store_dword v15, v16, s[2:3]
.LBB1799_296:
	s_or_b32 exec_lo, exec_lo, s1
	v_or_b32_e32 v15, 0x400, v0
	s_mov_b32 s1, exec_lo
	v_cmpx_gt_u32_e64 s5, v15
	s_cbranch_execz .LBB1799_305
; %bb.297:
	s_mov_b32 s2, exec_lo
	v_cmpx_ge_u32_e64 v15, v5
	s_xor_b32 s2, exec_lo, s2
	s_cbranch_execz .LBB1799_303
; %bb.298:
	s_mov_b32 s3, exec_lo
	v_cmpx_ge_u32_e64 v15, v14
	s_xor_b32 s3, exec_lo, s3
	s_cbranch_execz .LBB1799_300
; %bb.299:
	v_lshlrev_b32_e32 v16, 2, v0
	v_add_co_u32 v15, vcc_lo, v7, v15
	ds_read_b32 v17, v16 offset:4096
	v_add_co_ci_u32_e64 v16, null, 0, v13, vcc_lo
	v_lshlrev_b64 v[15:16], 2, v[15:16]
	v_sub_co_u32 v15, vcc_lo, s14, v15
	v_sub_co_ci_u32_e64 v16, null, s15, v16, vcc_lo
	s_waitcnt lgkmcnt(0)
	global_store_dword v[15:16], v17, off offset:-4
                                        ; implicit-def: $vgpr15
.LBB1799_300:
	s_andn2_saveexec_b32 s3, s3
	s_cbranch_execz .LBB1799_302
; %bb.301:
	v_lshlrev_b32_e32 v16, 2, v0
	v_lshlrev_b32_e32 v15, 2, v15
	v_readfirstlane_b32 s6, v9
	v_readfirstlane_b32 s7, v10
	ds_read_b32 v16, v16 offset:4096
	s_waitcnt lgkmcnt(0)
	global_store_dword v15, v16, s[6:7]
.LBB1799_302:
	s_or_b32 exec_lo, exec_lo, s3
                                        ; implicit-def: $vgpr15
.LBB1799_303:
	s_andn2_saveexec_b32 s2, s2
	s_cbranch_execz .LBB1799_305
; %bb.304:
	v_lshlrev_b32_e32 v16, 2, v0
	v_lshlrev_b32_e32 v15, 2, v15
	v_readfirstlane_b32 s2, v11
	v_readfirstlane_b32 s3, v12
	ds_read_b32 v16, v16 offset:4096
	s_waitcnt lgkmcnt(0)
	global_store_dword v15, v16, s[2:3]
.LBB1799_305:
	;; [unrolled: 52-line block ×9, first 2 shown]
	s_or_b32 exec_lo, exec_lo, s1
	v_or_b32_e32 v15, 0xc00, v0
	s_mov_b32 s1, exec_lo
	v_cmpx_gt_u32_e64 s5, v15
	s_cbranch_execz .LBB1799_377
; %bb.369:
	s_mov_b32 s2, exec_lo
	v_cmpx_ge_u32_e64 v15, v5
	s_xor_b32 s2, exec_lo, s2
	s_cbranch_execz .LBB1799_375
; %bb.370:
	s_mov_b32 s3, exec_lo
	v_cmpx_ge_u32_e64 v15, v14
	s_xor_b32 s3, exec_lo, s3
	s_cbranch_execz .LBB1799_372
; %bb.371:
	v_lshlrev_b32_e32 v0, 2, v0
	v_add_co_u32 v9, vcc_lo, v7, v15
	v_add_co_ci_u32_e64 v10, null, 0, v13, vcc_lo
	ds_read_b32 v0, v0 offset:12288
                                        ; implicit-def: $vgpr15
	v_lshlrev_b64 v[9:10], 2, v[9:10]
	v_sub_co_u32 v9, vcc_lo, s14, v9
	v_sub_co_ci_u32_e64 v10, null, s15, v10, vcc_lo
	s_waitcnt lgkmcnt(0)
	global_store_dword v[9:10], v0, off offset:-4
                                        ; implicit-def: $vgpr0
                                        ; implicit-def: $vgpr9_vgpr10
.LBB1799_372:
	s_andn2_saveexec_b32 s3, s3
	s_cbranch_execz .LBB1799_374
; %bb.373:
	v_lshlrev_b32_e32 v0, 2, v0
	v_lshlrev_b32_e32 v7, 2, v15
	v_readfirstlane_b32 s4, v9
	v_readfirstlane_b32 s5, v10
	ds_read_b32 v0, v0 offset:12288
	s_waitcnt lgkmcnt(0)
	global_store_dword v7, v0, s[4:5]
.LBB1799_374:
	s_or_b32 exec_lo, exec_lo, s3
                                        ; implicit-def: $vgpr0
                                        ; implicit-def: $vgpr15
                                        ; implicit-def: $vgpr11_vgpr12
.LBB1799_375:
	s_andn2_saveexec_b32 s2, s2
	s_cbranch_execz .LBB1799_377
; %bb.376:
	v_lshlrev_b32_e32 v0, 2, v0
	v_lshlrev_b32_e32 v7, 2, v15
	v_readfirstlane_b32 s2, v11
	v_readfirstlane_b32 s3, v12
	ds_read_b32 v0, v0 offset:12288
	s_waitcnt lgkmcnt(0)
	global_store_dword v7, v0, s[2:3]
.LBB1799_377:
	s_or_b32 exec_lo, exec_lo, s1
	s_and_b32 s0, s0, s26
	s_and_saveexec_b32 s1, s0
	s_cbranch_execz .LBB1799_154
.LBB1799_378:
	v_add_co_u32 v0, vcc_lo, v3, v6
	v_add_co_ci_u32_e64 v4, null, 0, v4, vcc_lo
	v_mov_b32_e32 v6, 0
	v_add_co_u32 v3, vcc_lo, v0, v8
	v_add_co_ci_u32_e64 v4, null, 0, v4, vcc_lo
	v_add_co_u32 v1, vcc_lo, v1, v5
	v_add_co_ci_u32_e64 v2, null, 0, v2, vcc_lo
	global_store_dwordx4 v6, v[1:4], s[24:25]
	s_endpgm
.LBB1799_379:
	s_add_i32 s8, s27, 32
	s_mov_b32 s9, 0
	v_add_nc_u32_e32 v10, v8, v6
	s_lshl_b64 s[8:9], s[8:9], 4
	v_add_nc_u32_e32 v9, v7, v5
	s_add_u32 s8, s36, s8
	s_addc_u32 s9, s37, s9
	v_mov_b32_e32 v11, 2
	v_mov_b32_e32 v28, s9
	;; [unrolled: 1-line block ×4, first 2 shown]
	;;#ASMSTART
	global_store_dwordx4 v[27:28], v[9:12] off	
s_waitcnt vmcnt(0)
	;;#ASMEND
	s_or_b32 exec_lo, exec_lo, s6
	s_and_saveexec_b32 s6, s3
	s_cbranch_execz .LBB1799_139
.LBB1799_380:
	v_mov_b32_e32 v9, 0
	ds_write_b128 v9, v[5:8] offset:13312
	s_or_b32 exec_lo, exec_lo, s6
	s_and_b32 exec_lo, exec_lo, s0
	s_cbranch_execnz .LBB1799_140
	s_branch .LBB1799_141
	.section	.rodata,"a",@progbits
	.p2align	6, 0x0
	.amdhsa_kernel _ZN7rocprim17ROCPRIM_400000_NS6detail17trampoline_kernelINS0_13select_configILj256ELj13ELNS0_17block_load_methodE3ELS4_3ELS4_3ELNS0_20block_scan_algorithmE0ELj4294967295EEENS1_25partition_config_selectorILNS1_17partition_subalgoE4EjNS0_10empty_typeEbEEZZNS1_14partition_implILS8_4ELb0ES6_15HIP_vector_typeIjLj2EENS0_17counting_iteratorIjlEEPS9_SG_NS0_5tupleIJPjSI_NS0_16reverse_iteratorISI_EEEEENSH_IJSG_SG_SG_EEES9_SI_JZNS1_25segmented_radix_sort_implINS0_14default_configELb0EPK6__halfPSP_PKlPlN2at6native12_GLOBAL__N_18offset_tEEE10hipError_tPvRmT1_PNSt15iterator_traitsIS13_E10value_typeET2_T3_PNS14_IS19_E10value_typeET4_jRbjT5_S1F_jjP12ihipStream_tbEUljE_ZNSN_ISO_Lb0ESR_SS_SU_SV_SZ_EES10_S11_S12_S13_S17_S18_S19_S1C_S1D_jS1E_jS1F_S1F_jjS1H_bEUljE0_EEES10_S11_S12_S19_S1D_S1F_T6_T7_T9_mT8_S1H_bDpT10_ENKUlT_T0_E_clISt17integral_constantIbLb0EES1U_IbLb1EEEEDaS1Q_S1R_EUlS1Q_E_NS1_11comp_targetILNS1_3genE8ELNS1_11target_archE1030ELNS1_3gpuE2ELNS1_3repE0EEENS1_30default_config_static_selectorELNS0_4arch9wavefront6targetE0EEEvS13_
		.amdhsa_group_segment_fixed_size 13328
		.amdhsa_private_segment_fixed_size 0
		.amdhsa_kernarg_size 184
		.amdhsa_user_sgpr_count 6
		.amdhsa_user_sgpr_private_segment_buffer 1
		.amdhsa_user_sgpr_dispatch_ptr 0
		.amdhsa_user_sgpr_queue_ptr 0
		.amdhsa_user_sgpr_kernarg_segment_ptr 1
		.amdhsa_user_sgpr_dispatch_id 0
		.amdhsa_user_sgpr_flat_scratch_init 0
		.amdhsa_user_sgpr_private_segment_size 0
		.amdhsa_wavefront_size32 1
		.amdhsa_uses_dynamic_stack 0
		.amdhsa_system_sgpr_private_segment_wavefront_offset 0
		.amdhsa_system_sgpr_workgroup_id_x 1
		.amdhsa_system_sgpr_workgroup_id_y 0
		.amdhsa_system_sgpr_workgroup_id_z 0
		.amdhsa_system_sgpr_workgroup_info 0
		.amdhsa_system_vgpr_workitem_id 0
		.amdhsa_next_free_vgpr 87
		.amdhsa_next_free_sgpr 55
		.amdhsa_reserve_vcc 1
		.amdhsa_reserve_flat_scratch 0
		.amdhsa_float_round_mode_32 0
		.amdhsa_float_round_mode_16_64 0
		.amdhsa_float_denorm_mode_32 3
		.amdhsa_float_denorm_mode_16_64 3
		.amdhsa_dx10_clamp 1
		.amdhsa_ieee_mode 1
		.amdhsa_fp16_overflow 0
		.amdhsa_workgroup_processor_mode 1
		.amdhsa_memory_ordered 1
		.amdhsa_forward_progress 1
		.amdhsa_shared_vgpr_count 0
		.amdhsa_exception_fp_ieee_invalid_op 0
		.amdhsa_exception_fp_denorm_src 0
		.amdhsa_exception_fp_ieee_div_zero 0
		.amdhsa_exception_fp_ieee_overflow 0
		.amdhsa_exception_fp_ieee_underflow 0
		.amdhsa_exception_fp_ieee_inexact 0
		.amdhsa_exception_int_div_zero 0
	.end_amdhsa_kernel
	.section	.text._ZN7rocprim17ROCPRIM_400000_NS6detail17trampoline_kernelINS0_13select_configILj256ELj13ELNS0_17block_load_methodE3ELS4_3ELS4_3ELNS0_20block_scan_algorithmE0ELj4294967295EEENS1_25partition_config_selectorILNS1_17partition_subalgoE4EjNS0_10empty_typeEbEEZZNS1_14partition_implILS8_4ELb0ES6_15HIP_vector_typeIjLj2EENS0_17counting_iteratorIjlEEPS9_SG_NS0_5tupleIJPjSI_NS0_16reverse_iteratorISI_EEEEENSH_IJSG_SG_SG_EEES9_SI_JZNS1_25segmented_radix_sort_implINS0_14default_configELb0EPK6__halfPSP_PKlPlN2at6native12_GLOBAL__N_18offset_tEEE10hipError_tPvRmT1_PNSt15iterator_traitsIS13_E10value_typeET2_T3_PNS14_IS19_E10value_typeET4_jRbjT5_S1F_jjP12ihipStream_tbEUljE_ZNSN_ISO_Lb0ESR_SS_SU_SV_SZ_EES10_S11_S12_S13_S17_S18_S19_S1C_S1D_jS1E_jS1F_S1F_jjS1H_bEUljE0_EEES10_S11_S12_S19_S1D_S1F_T6_T7_T9_mT8_S1H_bDpT10_ENKUlT_T0_E_clISt17integral_constantIbLb0EES1U_IbLb1EEEEDaS1Q_S1R_EUlS1Q_E_NS1_11comp_targetILNS1_3genE8ELNS1_11target_archE1030ELNS1_3gpuE2ELNS1_3repE0EEENS1_30default_config_static_selectorELNS0_4arch9wavefront6targetE0EEEvS13_,"axG",@progbits,_ZN7rocprim17ROCPRIM_400000_NS6detail17trampoline_kernelINS0_13select_configILj256ELj13ELNS0_17block_load_methodE3ELS4_3ELS4_3ELNS0_20block_scan_algorithmE0ELj4294967295EEENS1_25partition_config_selectorILNS1_17partition_subalgoE4EjNS0_10empty_typeEbEEZZNS1_14partition_implILS8_4ELb0ES6_15HIP_vector_typeIjLj2EENS0_17counting_iteratorIjlEEPS9_SG_NS0_5tupleIJPjSI_NS0_16reverse_iteratorISI_EEEEENSH_IJSG_SG_SG_EEES9_SI_JZNS1_25segmented_radix_sort_implINS0_14default_configELb0EPK6__halfPSP_PKlPlN2at6native12_GLOBAL__N_18offset_tEEE10hipError_tPvRmT1_PNSt15iterator_traitsIS13_E10value_typeET2_T3_PNS14_IS19_E10value_typeET4_jRbjT5_S1F_jjP12ihipStream_tbEUljE_ZNSN_ISO_Lb0ESR_SS_SU_SV_SZ_EES10_S11_S12_S13_S17_S18_S19_S1C_S1D_jS1E_jS1F_S1F_jjS1H_bEUljE0_EEES10_S11_S12_S19_S1D_S1F_T6_T7_T9_mT8_S1H_bDpT10_ENKUlT_T0_E_clISt17integral_constantIbLb0EES1U_IbLb1EEEEDaS1Q_S1R_EUlS1Q_E_NS1_11comp_targetILNS1_3genE8ELNS1_11target_archE1030ELNS1_3gpuE2ELNS1_3repE0EEENS1_30default_config_static_selectorELNS0_4arch9wavefront6targetE0EEEvS13_,comdat
.Lfunc_end1799:
	.size	_ZN7rocprim17ROCPRIM_400000_NS6detail17trampoline_kernelINS0_13select_configILj256ELj13ELNS0_17block_load_methodE3ELS4_3ELS4_3ELNS0_20block_scan_algorithmE0ELj4294967295EEENS1_25partition_config_selectorILNS1_17partition_subalgoE4EjNS0_10empty_typeEbEEZZNS1_14partition_implILS8_4ELb0ES6_15HIP_vector_typeIjLj2EENS0_17counting_iteratorIjlEEPS9_SG_NS0_5tupleIJPjSI_NS0_16reverse_iteratorISI_EEEEENSH_IJSG_SG_SG_EEES9_SI_JZNS1_25segmented_radix_sort_implINS0_14default_configELb0EPK6__halfPSP_PKlPlN2at6native12_GLOBAL__N_18offset_tEEE10hipError_tPvRmT1_PNSt15iterator_traitsIS13_E10value_typeET2_T3_PNS14_IS19_E10value_typeET4_jRbjT5_S1F_jjP12ihipStream_tbEUljE_ZNSN_ISO_Lb0ESR_SS_SU_SV_SZ_EES10_S11_S12_S13_S17_S18_S19_S1C_S1D_jS1E_jS1F_S1F_jjS1H_bEUljE0_EEES10_S11_S12_S19_S1D_S1F_T6_T7_T9_mT8_S1H_bDpT10_ENKUlT_T0_E_clISt17integral_constantIbLb0EES1U_IbLb1EEEEDaS1Q_S1R_EUlS1Q_E_NS1_11comp_targetILNS1_3genE8ELNS1_11target_archE1030ELNS1_3gpuE2ELNS1_3repE0EEENS1_30default_config_static_selectorELNS0_4arch9wavefront6targetE0EEEvS13_, .Lfunc_end1799-_ZN7rocprim17ROCPRIM_400000_NS6detail17trampoline_kernelINS0_13select_configILj256ELj13ELNS0_17block_load_methodE3ELS4_3ELS4_3ELNS0_20block_scan_algorithmE0ELj4294967295EEENS1_25partition_config_selectorILNS1_17partition_subalgoE4EjNS0_10empty_typeEbEEZZNS1_14partition_implILS8_4ELb0ES6_15HIP_vector_typeIjLj2EENS0_17counting_iteratorIjlEEPS9_SG_NS0_5tupleIJPjSI_NS0_16reverse_iteratorISI_EEEEENSH_IJSG_SG_SG_EEES9_SI_JZNS1_25segmented_radix_sort_implINS0_14default_configELb0EPK6__halfPSP_PKlPlN2at6native12_GLOBAL__N_18offset_tEEE10hipError_tPvRmT1_PNSt15iterator_traitsIS13_E10value_typeET2_T3_PNS14_IS19_E10value_typeET4_jRbjT5_S1F_jjP12ihipStream_tbEUljE_ZNSN_ISO_Lb0ESR_SS_SU_SV_SZ_EES10_S11_S12_S13_S17_S18_S19_S1C_S1D_jS1E_jS1F_S1F_jjS1H_bEUljE0_EEES10_S11_S12_S19_S1D_S1F_T6_T7_T9_mT8_S1H_bDpT10_ENKUlT_T0_E_clISt17integral_constantIbLb0EES1U_IbLb1EEEEDaS1Q_S1R_EUlS1Q_E_NS1_11comp_targetILNS1_3genE8ELNS1_11target_archE1030ELNS1_3gpuE2ELNS1_3repE0EEENS1_30default_config_static_selectorELNS0_4arch9wavefront6targetE0EEEvS13_
                                        ; -- End function
	.set _ZN7rocprim17ROCPRIM_400000_NS6detail17trampoline_kernelINS0_13select_configILj256ELj13ELNS0_17block_load_methodE3ELS4_3ELS4_3ELNS0_20block_scan_algorithmE0ELj4294967295EEENS1_25partition_config_selectorILNS1_17partition_subalgoE4EjNS0_10empty_typeEbEEZZNS1_14partition_implILS8_4ELb0ES6_15HIP_vector_typeIjLj2EENS0_17counting_iteratorIjlEEPS9_SG_NS0_5tupleIJPjSI_NS0_16reverse_iteratorISI_EEEEENSH_IJSG_SG_SG_EEES9_SI_JZNS1_25segmented_radix_sort_implINS0_14default_configELb0EPK6__halfPSP_PKlPlN2at6native12_GLOBAL__N_18offset_tEEE10hipError_tPvRmT1_PNSt15iterator_traitsIS13_E10value_typeET2_T3_PNS14_IS19_E10value_typeET4_jRbjT5_S1F_jjP12ihipStream_tbEUljE_ZNSN_ISO_Lb0ESR_SS_SU_SV_SZ_EES10_S11_S12_S13_S17_S18_S19_S1C_S1D_jS1E_jS1F_S1F_jjS1H_bEUljE0_EEES10_S11_S12_S19_S1D_S1F_T6_T7_T9_mT8_S1H_bDpT10_ENKUlT_T0_E_clISt17integral_constantIbLb0EES1U_IbLb1EEEEDaS1Q_S1R_EUlS1Q_E_NS1_11comp_targetILNS1_3genE8ELNS1_11target_archE1030ELNS1_3gpuE2ELNS1_3repE0EEENS1_30default_config_static_selectorELNS0_4arch9wavefront6targetE0EEEvS13_.num_vgpr, 87
	.set _ZN7rocprim17ROCPRIM_400000_NS6detail17trampoline_kernelINS0_13select_configILj256ELj13ELNS0_17block_load_methodE3ELS4_3ELS4_3ELNS0_20block_scan_algorithmE0ELj4294967295EEENS1_25partition_config_selectorILNS1_17partition_subalgoE4EjNS0_10empty_typeEbEEZZNS1_14partition_implILS8_4ELb0ES6_15HIP_vector_typeIjLj2EENS0_17counting_iteratorIjlEEPS9_SG_NS0_5tupleIJPjSI_NS0_16reverse_iteratorISI_EEEEENSH_IJSG_SG_SG_EEES9_SI_JZNS1_25segmented_radix_sort_implINS0_14default_configELb0EPK6__halfPSP_PKlPlN2at6native12_GLOBAL__N_18offset_tEEE10hipError_tPvRmT1_PNSt15iterator_traitsIS13_E10value_typeET2_T3_PNS14_IS19_E10value_typeET4_jRbjT5_S1F_jjP12ihipStream_tbEUljE_ZNSN_ISO_Lb0ESR_SS_SU_SV_SZ_EES10_S11_S12_S13_S17_S18_S19_S1C_S1D_jS1E_jS1F_S1F_jjS1H_bEUljE0_EEES10_S11_S12_S19_S1D_S1F_T6_T7_T9_mT8_S1H_bDpT10_ENKUlT_T0_E_clISt17integral_constantIbLb0EES1U_IbLb1EEEEDaS1Q_S1R_EUlS1Q_E_NS1_11comp_targetILNS1_3genE8ELNS1_11target_archE1030ELNS1_3gpuE2ELNS1_3repE0EEENS1_30default_config_static_selectorELNS0_4arch9wavefront6targetE0EEEvS13_.num_agpr, 0
	.set _ZN7rocprim17ROCPRIM_400000_NS6detail17trampoline_kernelINS0_13select_configILj256ELj13ELNS0_17block_load_methodE3ELS4_3ELS4_3ELNS0_20block_scan_algorithmE0ELj4294967295EEENS1_25partition_config_selectorILNS1_17partition_subalgoE4EjNS0_10empty_typeEbEEZZNS1_14partition_implILS8_4ELb0ES6_15HIP_vector_typeIjLj2EENS0_17counting_iteratorIjlEEPS9_SG_NS0_5tupleIJPjSI_NS0_16reverse_iteratorISI_EEEEENSH_IJSG_SG_SG_EEES9_SI_JZNS1_25segmented_radix_sort_implINS0_14default_configELb0EPK6__halfPSP_PKlPlN2at6native12_GLOBAL__N_18offset_tEEE10hipError_tPvRmT1_PNSt15iterator_traitsIS13_E10value_typeET2_T3_PNS14_IS19_E10value_typeET4_jRbjT5_S1F_jjP12ihipStream_tbEUljE_ZNSN_ISO_Lb0ESR_SS_SU_SV_SZ_EES10_S11_S12_S13_S17_S18_S19_S1C_S1D_jS1E_jS1F_S1F_jjS1H_bEUljE0_EEES10_S11_S12_S19_S1D_S1F_T6_T7_T9_mT8_S1H_bDpT10_ENKUlT_T0_E_clISt17integral_constantIbLb0EES1U_IbLb1EEEEDaS1Q_S1R_EUlS1Q_E_NS1_11comp_targetILNS1_3genE8ELNS1_11target_archE1030ELNS1_3gpuE2ELNS1_3repE0EEENS1_30default_config_static_selectorELNS0_4arch9wavefront6targetE0EEEvS13_.numbered_sgpr, 55
	.set _ZN7rocprim17ROCPRIM_400000_NS6detail17trampoline_kernelINS0_13select_configILj256ELj13ELNS0_17block_load_methodE3ELS4_3ELS4_3ELNS0_20block_scan_algorithmE0ELj4294967295EEENS1_25partition_config_selectorILNS1_17partition_subalgoE4EjNS0_10empty_typeEbEEZZNS1_14partition_implILS8_4ELb0ES6_15HIP_vector_typeIjLj2EENS0_17counting_iteratorIjlEEPS9_SG_NS0_5tupleIJPjSI_NS0_16reverse_iteratorISI_EEEEENSH_IJSG_SG_SG_EEES9_SI_JZNS1_25segmented_radix_sort_implINS0_14default_configELb0EPK6__halfPSP_PKlPlN2at6native12_GLOBAL__N_18offset_tEEE10hipError_tPvRmT1_PNSt15iterator_traitsIS13_E10value_typeET2_T3_PNS14_IS19_E10value_typeET4_jRbjT5_S1F_jjP12ihipStream_tbEUljE_ZNSN_ISO_Lb0ESR_SS_SU_SV_SZ_EES10_S11_S12_S13_S17_S18_S19_S1C_S1D_jS1E_jS1F_S1F_jjS1H_bEUljE0_EEES10_S11_S12_S19_S1D_S1F_T6_T7_T9_mT8_S1H_bDpT10_ENKUlT_T0_E_clISt17integral_constantIbLb0EES1U_IbLb1EEEEDaS1Q_S1R_EUlS1Q_E_NS1_11comp_targetILNS1_3genE8ELNS1_11target_archE1030ELNS1_3gpuE2ELNS1_3repE0EEENS1_30default_config_static_selectorELNS0_4arch9wavefront6targetE0EEEvS13_.num_named_barrier, 0
	.set _ZN7rocprim17ROCPRIM_400000_NS6detail17trampoline_kernelINS0_13select_configILj256ELj13ELNS0_17block_load_methodE3ELS4_3ELS4_3ELNS0_20block_scan_algorithmE0ELj4294967295EEENS1_25partition_config_selectorILNS1_17partition_subalgoE4EjNS0_10empty_typeEbEEZZNS1_14partition_implILS8_4ELb0ES6_15HIP_vector_typeIjLj2EENS0_17counting_iteratorIjlEEPS9_SG_NS0_5tupleIJPjSI_NS0_16reverse_iteratorISI_EEEEENSH_IJSG_SG_SG_EEES9_SI_JZNS1_25segmented_radix_sort_implINS0_14default_configELb0EPK6__halfPSP_PKlPlN2at6native12_GLOBAL__N_18offset_tEEE10hipError_tPvRmT1_PNSt15iterator_traitsIS13_E10value_typeET2_T3_PNS14_IS19_E10value_typeET4_jRbjT5_S1F_jjP12ihipStream_tbEUljE_ZNSN_ISO_Lb0ESR_SS_SU_SV_SZ_EES10_S11_S12_S13_S17_S18_S19_S1C_S1D_jS1E_jS1F_S1F_jjS1H_bEUljE0_EEES10_S11_S12_S19_S1D_S1F_T6_T7_T9_mT8_S1H_bDpT10_ENKUlT_T0_E_clISt17integral_constantIbLb0EES1U_IbLb1EEEEDaS1Q_S1R_EUlS1Q_E_NS1_11comp_targetILNS1_3genE8ELNS1_11target_archE1030ELNS1_3gpuE2ELNS1_3repE0EEENS1_30default_config_static_selectorELNS0_4arch9wavefront6targetE0EEEvS13_.private_seg_size, 0
	.set _ZN7rocprim17ROCPRIM_400000_NS6detail17trampoline_kernelINS0_13select_configILj256ELj13ELNS0_17block_load_methodE3ELS4_3ELS4_3ELNS0_20block_scan_algorithmE0ELj4294967295EEENS1_25partition_config_selectorILNS1_17partition_subalgoE4EjNS0_10empty_typeEbEEZZNS1_14partition_implILS8_4ELb0ES6_15HIP_vector_typeIjLj2EENS0_17counting_iteratorIjlEEPS9_SG_NS0_5tupleIJPjSI_NS0_16reverse_iteratorISI_EEEEENSH_IJSG_SG_SG_EEES9_SI_JZNS1_25segmented_radix_sort_implINS0_14default_configELb0EPK6__halfPSP_PKlPlN2at6native12_GLOBAL__N_18offset_tEEE10hipError_tPvRmT1_PNSt15iterator_traitsIS13_E10value_typeET2_T3_PNS14_IS19_E10value_typeET4_jRbjT5_S1F_jjP12ihipStream_tbEUljE_ZNSN_ISO_Lb0ESR_SS_SU_SV_SZ_EES10_S11_S12_S13_S17_S18_S19_S1C_S1D_jS1E_jS1F_S1F_jjS1H_bEUljE0_EEES10_S11_S12_S19_S1D_S1F_T6_T7_T9_mT8_S1H_bDpT10_ENKUlT_T0_E_clISt17integral_constantIbLb0EES1U_IbLb1EEEEDaS1Q_S1R_EUlS1Q_E_NS1_11comp_targetILNS1_3genE8ELNS1_11target_archE1030ELNS1_3gpuE2ELNS1_3repE0EEENS1_30default_config_static_selectorELNS0_4arch9wavefront6targetE0EEEvS13_.uses_vcc, 1
	.set _ZN7rocprim17ROCPRIM_400000_NS6detail17trampoline_kernelINS0_13select_configILj256ELj13ELNS0_17block_load_methodE3ELS4_3ELS4_3ELNS0_20block_scan_algorithmE0ELj4294967295EEENS1_25partition_config_selectorILNS1_17partition_subalgoE4EjNS0_10empty_typeEbEEZZNS1_14partition_implILS8_4ELb0ES6_15HIP_vector_typeIjLj2EENS0_17counting_iteratorIjlEEPS9_SG_NS0_5tupleIJPjSI_NS0_16reverse_iteratorISI_EEEEENSH_IJSG_SG_SG_EEES9_SI_JZNS1_25segmented_radix_sort_implINS0_14default_configELb0EPK6__halfPSP_PKlPlN2at6native12_GLOBAL__N_18offset_tEEE10hipError_tPvRmT1_PNSt15iterator_traitsIS13_E10value_typeET2_T3_PNS14_IS19_E10value_typeET4_jRbjT5_S1F_jjP12ihipStream_tbEUljE_ZNSN_ISO_Lb0ESR_SS_SU_SV_SZ_EES10_S11_S12_S13_S17_S18_S19_S1C_S1D_jS1E_jS1F_S1F_jjS1H_bEUljE0_EEES10_S11_S12_S19_S1D_S1F_T6_T7_T9_mT8_S1H_bDpT10_ENKUlT_T0_E_clISt17integral_constantIbLb0EES1U_IbLb1EEEEDaS1Q_S1R_EUlS1Q_E_NS1_11comp_targetILNS1_3genE8ELNS1_11target_archE1030ELNS1_3gpuE2ELNS1_3repE0EEENS1_30default_config_static_selectorELNS0_4arch9wavefront6targetE0EEEvS13_.uses_flat_scratch, 0
	.set _ZN7rocprim17ROCPRIM_400000_NS6detail17trampoline_kernelINS0_13select_configILj256ELj13ELNS0_17block_load_methodE3ELS4_3ELS4_3ELNS0_20block_scan_algorithmE0ELj4294967295EEENS1_25partition_config_selectorILNS1_17partition_subalgoE4EjNS0_10empty_typeEbEEZZNS1_14partition_implILS8_4ELb0ES6_15HIP_vector_typeIjLj2EENS0_17counting_iteratorIjlEEPS9_SG_NS0_5tupleIJPjSI_NS0_16reverse_iteratorISI_EEEEENSH_IJSG_SG_SG_EEES9_SI_JZNS1_25segmented_radix_sort_implINS0_14default_configELb0EPK6__halfPSP_PKlPlN2at6native12_GLOBAL__N_18offset_tEEE10hipError_tPvRmT1_PNSt15iterator_traitsIS13_E10value_typeET2_T3_PNS14_IS19_E10value_typeET4_jRbjT5_S1F_jjP12ihipStream_tbEUljE_ZNSN_ISO_Lb0ESR_SS_SU_SV_SZ_EES10_S11_S12_S13_S17_S18_S19_S1C_S1D_jS1E_jS1F_S1F_jjS1H_bEUljE0_EEES10_S11_S12_S19_S1D_S1F_T6_T7_T9_mT8_S1H_bDpT10_ENKUlT_T0_E_clISt17integral_constantIbLb0EES1U_IbLb1EEEEDaS1Q_S1R_EUlS1Q_E_NS1_11comp_targetILNS1_3genE8ELNS1_11target_archE1030ELNS1_3gpuE2ELNS1_3repE0EEENS1_30default_config_static_selectorELNS0_4arch9wavefront6targetE0EEEvS13_.has_dyn_sized_stack, 0
	.set _ZN7rocprim17ROCPRIM_400000_NS6detail17trampoline_kernelINS0_13select_configILj256ELj13ELNS0_17block_load_methodE3ELS4_3ELS4_3ELNS0_20block_scan_algorithmE0ELj4294967295EEENS1_25partition_config_selectorILNS1_17partition_subalgoE4EjNS0_10empty_typeEbEEZZNS1_14partition_implILS8_4ELb0ES6_15HIP_vector_typeIjLj2EENS0_17counting_iteratorIjlEEPS9_SG_NS0_5tupleIJPjSI_NS0_16reverse_iteratorISI_EEEEENSH_IJSG_SG_SG_EEES9_SI_JZNS1_25segmented_radix_sort_implINS0_14default_configELb0EPK6__halfPSP_PKlPlN2at6native12_GLOBAL__N_18offset_tEEE10hipError_tPvRmT1_PNSt15iterator_traitsIS13_E10value_typeET2_T3_PNS14_IS19_E10value_typeET4_jRbjT5_S1F_jjP12ihipStream_tbEUljE_ZNSN_ISO_Lb0ESR_SS_SU_SV_SZ_EES10_S11_S12_S13_S17_S18_S19_S1C_S1D_jS1E_jS1F_S1F_jjS1H_bEUljE0_EEES10_S11_S12_S19_S1D_S1F_T6_T7_T9_mT8_S1H_bDpT10_ENKUlT_T0_E_clISt17integral_constantIbLb0EES1U_IbLb1EEEEDaS1Q_S1R_EUlS1Q_E_NS1_11comp_targetILNS1_3genE8ELNS1_11target_archE1030ELNS1_3gpuE2ELNS1_3repE0EEENS1_30default_config_static_selectorELNS0_4arch9wavefront6targetE0EEEvS13_.has_recursion, 0
	.set _ZN7rocprim17ROCPRIM_400000_NS6detail17trampoline_kernelINS0_13select_configILj256ELj13ELNS0_17block_load_methodE3ELS4_3ELS4_3ELNS0_20block_scan_algorithmE0ELj4294967295EEENS1_25partition_config_selectorILNS1_17partition_subalgoE4EjNS0_10empty_typeEbEEZZNS1_14partition_implILS8_4ELb0ES6_15HIP_vector_typeIjLj2EENS0_17counting_iteratorIjlEEPS9_SG_NS0_5tupleIJPjSI_NS0_16reverse_iteratorISI_EEEEENSH_IJSG_SG_SG_EEES9_SI_JZNS1_25segmented_radix_sort_implINS0_14default_configELb0EPK6__halfPSP_PKlPlN2at6native12_GLOBAL__N_18offset_tEEE10hipError_tPvRmT1_PNSt15iterator_traitsIS13_E10value_typeET2_T3_PNS14_IS19_E10value_typeET4_jRbjT5_S1F_jjP12ihipStream_tbEUljE_ZNSN_ISO_Lb0ESR_SS_SU_SV_SZ_EES10_S11_S12_S13_S17_S18_S19_S1C_S1D_jS1E_jS1F_S1F_jjS1H_bEUljE0_EEES10_S11_S12_S19_S1D_S1F_T6_T7_T9_mT8_S1H_bDpT10_ENKUlT_T0_E_clISt17integral_constantIbLb0EES1U_IbLb1EEEEDaS1Q_S1R_EUlS1Q_E_NS1_11comp_targetILNS1_3genE8ELNS1_11target_archE1030ELNS1_3gpuE2ELNS1_3repE0EEENS1_30default_config_static_selectorELNS0_4arch9wavefront6targetE0EEEvS13_.has_indirect_call, 0
	.section	.AMDGPU.csdata,"",@progbits
; Kernel info:
; codeLenInByte = 16368
; TotalNumSgprs: 57
; NumVgprs: 87
; ScratchSize: 0
; MemoryBound: 0
; FloatMode: 240
; IeeeMode: 1
; LDSByteSize: 13328 bytes/workgroup (compile time only)
; SGPRBlocks: 0
; VGPRBlocks: 10
; NumSGPRsForWavesPerEU: 57
; NumVGPRsForWavesPerEU: 87
; Occupancy: 10
; WaveLimiterHint : 1
; COMPUTE_PGM_RSRC2:SCRATCH_EN: 0
; COMPUTE_PGM_RSRC2:USER_SGPR: 6
; COMPUTE_PGM_RSRC2:TRAP_HANDLER: 0
; COMPUTE_PGM_RSRC2:TGID_X_EN: 1
; COMPUTE_PGM_RSRC2:TGID_Y_EN: 0
; COMPUTE_PGM_RSRC2:TGID_Z_EN: 0
; COMPUTE_PGM_RSRC2:TIDIG_COMP_CNT: 0
	.section	.text._ZN7rocprim17ROCPRIM_400000_NS6detail17trampoline_kernelINS0_13select_configILj256ELj13ELNS0_17block_load_methodE3ELS4_3ELS4_3ELNS0_20block_scan_algorithmE0ELj4294967295EEENS1_25partition_config_selectorILNS1_17partition_subalgoE3EjNS0_10empty_typeEbEEZZNS1_14partition_implILS8_3ELb0ES6_jNS0_17counting_iteratorIjlEEPS9_SE_NS0_5tupleIJPjSE_EEENSF_IJSE_SE_EEES9_SG_JZNS1_25segmented_radix_sort_implINS0_14default_configELb0EPK6__halfPSL_PKlPlN2at6native12_GLOBAL__N_18offset_tEEE10hipError_tPvRmT1_PNSt15iterator_traitsISZ_E10value_typeET2_T3_PNS10_IS15_E10value_typeET4_jRbjT5_S1B_jjP12ihipStream_tbEUljE_EEESW_SX_SY_S15_S19_S1B_T6_T7_T9_mT8_S1D_bDpT10_ENKUlT_T0_E_clISt17integral_constantIbLb0EES1Q_EEDaS1L_S1M_EUlS1L_E_NS1_11comp_targetILNS1_3genE0ELNS1_11target_archE4294967295ELNS1_3gpuE0ELNS1_3repE0EEENS1_30default_config_static_selectorELNS0_4arch9wavefront6targetE0EEEvSZ_,"axG",@progbits,_ZN7rocprim17ROCPRIM_400000_NS6detail17trampoline_kernelINS0_13select_configILj256ELj13ELNS0_17block_load_methodE3ELS4_3ELS4_3ELNS0_20block_scan_algorithmE0ELj4294967295EEENS1_25partition_config_selectorILNS1_17partition_subalgoE3EjNS0_10empty_typeEbEEZZNS1_14partition_implILS8_3ELb0ES6_jNS0_17counting_iteratorIjlEEPS9_SE_NS0_5tupleIJPjSE_EEENSF_IJSE_SE_EEES9_SG_JZNS1_25segmented_radix_sort_implINS0_14default_configELb0EPK6__halfPSL_PKlPlN2at6native12_GLOBAL__N_18offset_tEEE10hipError_tPvRmT1_PNSt15iterator_traitsISZ_E10value_typeET2_T3_PNS10_IS15_E10value_typeET4_jRbjT5_S1B_jjP12ihipStream_tbEUljE_EEESW_SX_SY_S15_S19_S1B_T6_T7_T9_mT8_S1D_bDpT10_ENKUlT_T0_E_clISt17integral_constantIbLb0EES1Q_EEDaS1L_S1M_EUlS1L_E_NS1_11comp_targetILNS1_3genE0ELNS1_11target_archE4294967295ELNS1_3gpuE0ELNS1_3repE0EEENS1_30default_config_static_selectorELNS0_4arch9wavefront6targetE0EEEvSZ_,comdat
	.globl	_ZN7rocprim17ROCPRIM_400000_NS6detail17trampoline_kernelINS0_13select_configILj256ELj13ELNS0_17block_load_methodE3ELS4_3ELS4_3ELNS0_20block_scan_algorithmE0ELj4294967295EEENS1_25partition_config_selectorILNS1_17partition_subalgoE3EjNS0_10empty_typeEbEEZZNS1_14partition_implILS8_3ELb0ES6_jNS0_17counting_iteratorIjlEEPS9_SE_NS0_5tupleIJPjSE_EEENSF_IJSE_SE_EEES9_SG_JZNS1_25segmented_radix_sort_implINS0_14default_configELb0EPK6__halfPSL_PKlPlN2at6native12_GLOBAL__N_18offset_tEEE10hipError_tPvRmT1_PNSt15iterator_traitsISZ_E10value_typeET2_T3_PNS10_IS15_E10value_typeET4_jRbjT5_S1B_jjP12ihipStream_tbEUljE_EEESW_SX_SY_S15_S19_S1B_T6_T7_T9_mT8_S1D_bDpT10_ENKUlT_T0_E_clISt17integral_constantIbLb0EES1Q_EEDaS1L_S1M_EUlS1L_E_NS1_11comp_targetILNS1_3genE0ELNS1_11target_archE4294967295ELNS1_3gpuE0ELNS1_3repE0EEENS1_30default_config_static_selectorELNS0_4arch9wavefront6targetE0EEEvSZ_ ; -- Begin function _ZN7rocprim17ROCPRIM_400000_NS6detail17trampoline_kernelINS0_13select_configILj256ELj13ELNS0_17block_load_methodE3ELS4_3ELS4_3ELNS0_20block_scan_algorithmE0ELj4294967295EEENS1_25partition_config_selectorILNS1_17partition_subalgoE3EjNS0_10empty_typeEbEEZZNS1_14partition_implILS8_3ELb0ES6_jNS0_17counting_iteratorIjlEEPS9_SE_NS0_5tupleIJPjSE_EEENSF_IJSE_SE_EEES9_SG_JZNS1_25segmented_radix_sort_implINS0_14default_configELb0EPK6__halfPSL_PKlPlN2at6native12_GLOBAL__N_18offset_tEEE10hipError_tPvRmT1_PNSt15iterator_traitsISZ_E10value_typeET2_T3_PNS10_IS15_E10value_typeET4_jRbjT5_S1B_jjP12ihipStream_tbEUljE_EEESW_SX_SY_S15_S19_S1B_T6_T7_T9_mT8_S1D_bDpT10_ENKUlT_T0_E_clISt17integral_constantIbLb0EES1Q_EEDaS1L_S1M_EUlS1L_E_NS1_11comp_targetILNS1_3genE0ELNS1_11target_archE4294967295ELNS1_3gpuE0ELNS1_3repE0EEENS1_30default_config_static_selectorELNS0_4arch9wavefront6targetE0EEEvSZ_
	.p2align	8
	.type	_ZN7rocprim17ROCPRIM_400000_NS6detail17trampoline_kernelINS0_13select_configILj256ELj13ELNS0_17block_load_methodE3ELS4_3ELS4_3ELNS0_20block_scan_algorithmE0ELj4294967295EEENS1_25partition_config_selectorILNS1_17partition_subalgoE3EjNS0_10empty_typeEbEEZZNS1_14partition_implILS8_3ELb0ES6_jNS0_17counting_iteratorIjlEEPS9_SE_NS0_5tupleIJPjSE_EEENSF_IJSE_SE_EEES9_SG_JZNS1_25segmented_radix_sort_implINS0_14default_configELb0EPK6__halfPSL_PKlPlN2at6native12_GLOBAL__N_18offset_tEEE10hipError_tPvRmT1_PNSt15iterator_traitsISZ_E10value_typeET2_T3_PNS10_IS15_E10value_typeET4_jRbjT5_S1B_jjP12ihipStream_tbEUljE_EEESW_SX_SY_S15_S19_S1B_T6_T7_T9_mT8_S1D_bDpT10_ENKUlT_T0_E_clISt17integral_constantIbLb0EES1Q_EEDaS1L_S1M_EUlS1L_E_NS1_11comp_targetILNS1_3genE0ELNS1_11target_archE4294967295ELNS1_3gpuE0ELNS1_3repE0EEENS1_30default_config_static_selectorELNS0_4arch9wavefront6targetE0EEEvSZ_,@function
_ZN7rocprim17ROCPRIM_400000_NS6detail17trampoline_kernelINS0_13select_configILj256ELj13ELNS0_17block_load_methodE3ELS4_3ELS4_3ELNS0_20block_scan_algorithmE0ELj4294967295EEENS1_25partition_config_selectorILNS1_17partition_subalgoE3EjNS0_10empty_typeEbEEZZNS1_14partition_implILS8_3ELb0ES6_jNS0_17counting_iteratorIjlEEPS9_SE_NS0_5tupleIJPjSE_EEENSF_IJSE_SE_EEES9_SG_JZNS1_25segmented_radix_sort_implINS0_14default_configELb0EPK6__halfPSL_PKlPlN2at6native12_GLOBAL__N_18offset_tEEE10hipError_tPvRmT1_PNSt15iterator_traitsISZ_E10value_typeET2_T3_PNS10_IS15_E10value_typeET4_jRbjT5_S1B_jjP12ihipStream_tbEUljE_EEESW_SX_SY_S15_S19_S1B_T6_T7_T9_mT8_S1D_bDpT10_ENKUlT_T0_E_clISt17integral_constantIbLb0EES1Q_EEDaS1L_S1M_EUlS1L_E_NS1_11comp_targetILNS1_3genE0ELNS1_11target_archE4294967295ELNS1_3gpuE0ELNS1_3repE0EEENS1_30default_config_static_selectorELNS0_4arch9wavefront6targetE0EEEvSZ_: ; @_ZN7rocprim17ROCPRIM_400000_NS6detail17trampoline_kernelINS0_13select_configILj256ELj13ELNS0_17block_load_methodE3ELS4_3ELS4_3ELNS0_20block_scan_algorithmE0ELj4294967295EEENS1_25partition_config_selectorILNS1_17partition_subalgoE3EjNS0_10empty_typeEbEEZZNS1_14partition_implILS8_3ELb0ES6_jNS0_17counting_iteratorIjlEEPS9_SE_NS0_5tupleIJPjSE_EEENSF_IJSE_SE_EEES9_SG_JZNS1_25segmented_radix_sort_implINS0_14default_configELb0EPK6__halfPSL_PKlPlN2at6native12_GLOBAL__N_18offset_tEEE10hipError_tPvRmT1_PNSt15iterator_traitsISZ_E10value_typeET2_T3_PNS10_IS15_E10value_typeET4_jRbjT5_S1B_jjP12ihipStream_tbEUljE_EEESW_SX_SY_S15_S19_S1B_T6_T7_T9_mT8_S1D_bDpT10_ENKUlT_T0_E_clISt17integral_constantIbLb0EES1Q_EEDaS1L_S1M_EUlS1L_E_NS1_11comp_targetILNS1_3genE0ELNS1_11target_archE4294967295ELNS1_3gpuE0ELNS1_3repE0EEENS1_30default_config_static_selectorELNS0_4arch9wavefront6targetE0EEEvSZ_
; %bb.0:
	.section	.rodata,"a",@progbits
	.p2align	6, 0x0
	.amdhsa_kernel _ZN7rocprim17ROCPRIM_400000_NS6detail17trampoline_kernelINS0_13select_configILj256ELj13ELNS0_17block_load_methodE3ELS4_3ELS4_3ELNS0_20block_scan_algorithmE0ELj4294967295EEENS1_25partition_config_selectorILNS1_17partition_subalgoE3EjNS0_10empty_typeEbEEZZNS1_14partition_implILS8_3ELb0ES6_jNS0_17counting_iteratorIjlEEPS9_SE_NS0_5tupleIJPjSE_EEENSF_IJSE_SE_EEES9_SG_JZNS1_25segmented_radix_sort_implINS0_14default_configELb0EPK6__halfPSL_PKlPlN2at6native12_GLOBAL__N_18offset_tEEE10hipError_tPvRmT1_PNSt15iterator_traitsISZ_E10value_typeET2_T3_PNS10_IS15_E10value_typeET4_jRbjT5_S1B_jjP12ihipStream_tbEUljE_EEESW_SX_SY_S15_S19_S1B_T6_T7_T9_mT8_S1D_bDpT10_ENKUlT_T0_E_clISt17integral_constantIbLb0EES1Q_EEDaS1L_S1M_EUlS1L_E_NS1_11comp_targetILNS1_3genE0ELNS1_11target_archE4294967295ELNS1_3gpuE0ELNS1_3repE0EEENS1_30default_config_static_selectorELNS0_4arch9wavefront6targetE0EEEvSZ_
		.amdhsa_group_segment_fixed_size 0
		.amdhsa_private_segment_fixed_size 0
		.amdhsa_kernarg_size 144
		.amdhsa_user_sgpr_count 6
		.amdhsa_user_sgpr_private_segment_buffer 1
		.amdhsa_user_sgpr_dispatch_ptr 0
		.amdhsa_user_sgpr_queue_ptr 0
		.amdhsa_user_sgpr_kernarg_segment_ptr 1
		.amdhsa_user_sgpr_dispatch_id 0
		.amdhsa_user_sgpr_flat_scratch_init 0
		.amdhsa_user_sgpr_private_segment_size 0
		.amdhsa_wavefront_size32 1
		.amdhsa_uses_dynamic_stack 0
		.amdhsa_system_sgpr_private_segment_wavefront_offset 0
		.amdhsa_system_sgpr_workgroup_id_x 1
		.amdhsa_system_sgpr_workgroup_id_y 0
		.amdhsa_system_sgpr_workgroup_id_z 0
		.amdhsa_system_sgpr_workgroup_info 0
		.amdhsa_system_vgpr_workitem_id 0
		.amdhsa_next_free_vgpr 1
		.amdhsa_next_free_sgpr 1
		.amdhsa_reserve_vcc 0
		.amdhsa_reserve_flat_scratch 0
		.amdhsa_float_round_mode_32 0
		.amdhsa_float_round_mode_16_64 0
		.amdhsa_float_denorm_mode_32 3
		.amdhsa_float_denorm_mode_16_64 3
		.amdhsa_dx10_clamp 1
		.amdhsa_ieee_mode 1
		.amdhsa_fp16_overflow 0
		.amdhsa_workgroup_processor_mode 1
		.amdhsa_memory_ordered 1
		.amdhsa_forward_progress 1
		.amdhsa_shared_vgpr_count 0
		.amdhsa_exception_fp_ieee_invalid_op 0
		.amdhsa_exception_fp_denorm_src 0
		.amdhsa_exception_fp_ieee_div_zero 0
		.amdhsa_exception_fp_ieee_overflow 0
		.amdhsa_exception_fp_ieee_underflow 0
		.amdhsa_exception_fp_ieee_inexact 0
		.amdhsa_exception_int_div_zero 0
	.end_amdhsa_kernel
	.section	.text._ZN7rocprim17ROCPRIM_400000_NS6detail17trampoline_kernelINS0_13select_configILj256ELj13ELNS0_17block_load_methodE3ELS4_3ELS4_3ELNS0_20block_scan_algorithmE0ELj4294967295EEENS1_25partition_config_selectorILNS1_17partition_subalgoE3EjNS0_10empty_typeEbEEZZNS1_14partition_implILS8_3ELb0ES6_jNS0_17counting_iteratorIjlEEPS9_SE_NS0_5tupleIJPjSE_EEENSF_IJSE_SE_EEES9_SG_JZNS1_25segmented_radix_sort_implINS0_14default_configELb0EPK6__halfPSL_PKlPlN2at6native12_GLOBAL__N_18offset_tEEE10hipError_tPvRmT1_PNSt15iterator_traitsISZ_E10value_typeET2_T3_PNS10_IS15_E10value_typeET4_jRbjT5_S1B_jjP12ihipStream_tbEUljE_EEESW_SX_SY_S15_S19_S1B_T6_T7_T9_mT8_S1D_bDpT10_ENKUlT_T0_E_clISt17integral_constantIbLb0EES1Q_EEDaS1L_S1M_EUlS1L_E_NS1_11comp_targetILNS1_3genE0ELNS1_11target_archE4294967295ELNS1_3gpuE0ELNS1_3repE0EEENS1_30default_config_static_selectorELNS0_4arch9wavefront6targetE0EEEvSZ_,"axG",@progbits,_ZN7rocprim17ROCPRIM_400000_NS6detail17trampoline_kernelINS0_13select_configILj256ELj13ELNS0_17block_load_methodE3ELS4_3ELS4_3ELNS0_20block_scan_algorithmE0ELj4294967295EEENS1_25partition_config_selectorILNS1_17partition_subalgoE3EjNS0_10empty_typeEbEEZZNS1_14partition_implILS8_3ELb0ES6_jNS0_17counting_iteratorIjlEEPS9_SE_NS0_5tupleIJPjSE_EEENSF_IJSE_SE_EEES9_SG_JZNS1_25segmented_radix_sort_implINS0_14default_configELb0EPK6__halfPSL_PKlPlN2at6native12_GLOBAL__N_18offset_tEEE10hipError_tPvRmT1_PNSt15iterator_traitsISZ_E10value_typeET2_T3_PNS10_IS15_E10value_typeET4_jRbjT5_S1B_jjP12ihipStream_tbEUljE_EEESW_SX_SY_S15_S19_S1B_T6_T7_T9_mT8_S1D_bDpT10_ENKUlT_T0_E_clISt17integral_constantIbLb0EES1Q_EEDaS1L_S1M_EUlS1L_E_NS1_11comp_targetILNS1_3genE0ELNS1_11target_archE4294967295ELNS1_3gpuE0ELNS1_3repE0EEENS1_30default_config_static_selectorELNS0_4arch9wavefront6targetE0EEEvSZ_,comdat
.Lfunc_end1800:
	.size	_ZN7rocprim17ROCPRIM_400000_NS6detail17trampoline_kernelINS0_13select_configILj256ELj13ELNS0_17block_load_methodE3ELS4_3ELS4_3ELNS0_20block_scan_algorithmE0ELj4294967295EEENS1_25partition_config_selectorILNS1_17partition_subalgoE3EjNS0_10empty_typeEbEEZZNS1_14partition_implILS8_3ELb0ES6_jNS0_17counting_iteratorIjlEEPS9_SE_NS0_5tupleIJPjSE_EEENSF_IJSE_SE_EEES9_SG_JZNS1_25segmented_radix_sort_implINS0_14default_configELb0EPK6__halfPSL_PKlPlN2at6native12_GLOBAL__N_18offset_tEEE10hipError_tPvRmT1_PNSt15iterator_traitsISZ_E10value_typeET2_T3_PNS10_IS15_E10value_typeET4_jRbjT5_S1B_jjP12ihipStream_tbEUljE_EEESW_SX_SY_S15_S19_S1B_T6_T7_T9_mT8_S1D_bDpT10_ENKUlT_T0_E_clISt17integral_constantIbLb0EES1Q_EEDaS1L_S1M_EUlS1L_E_NS1_11comp_targetILNS1_3genE0ELNS1_11target_archE4294967295ELNS1_3gpuE0ELNS1_3repE0EEENS1_30default_config_static_selectorELNS0_4arch9wavefront6targetE0EEEvSZ_, .Lfunc_end1800-_ZN7rocprim17ROCPRIM_400000_NS6detail17trampoline_kernelINS0_13select_configILj256ELj13ELNS0_17block_load_methodE3ELS4_3ELS4_3ELNS0_20block_scan_algorithmE0ELj4294967295EEENS1_25partition_config_selectorILNS1_17partition_subalgoE3EjNS0_10empty_typeEbEEZZNS1_14partition_implILS8_3ELb0ES6_jNS0_17counting_iteratorIjlEEPS9_SE_NS0_5tupleIJPjSE_EEENSF_IJSE_SE_EEES9_SG_JZNS1_25segmented_radix_sort_implINS0_14default_configELb0EPK6__halfPSL_PKlPlN2at6native12_GLOBAL__N_18offset_tEEE10hipError_tPvRmT1_PNSt15iterator_traitsISZ_E10value_typeET2_T3_PNS10_IS15_E10value_typeET4_jRbjT5_S1B_jjP12ihipStream_tbEUljE_EEESW_SX_SY_S15_S19_S1B_T6_T7_T9_mT8_S1D_bDpT10_ENKUlT_T0_E_clISt17integral_constantIbLb0EES1Q_EEDaS1L_S1M_EUlS1L_E_NS1_11comp_targetILNS1_3genE0ELNS1_11target_archE4294967295ELNS1_3gpuE0ELNS1_3repE0EEENS1_30default_config_static_selectorELNS0_4arch9wavefront6targetE0EEEvSZ_
                                        ; -- End function
	.set _ZN7rocprim17ROCPRIM_400000_NS6detail17trampoline_kernelINS0_13select_configILj256ELj13ELNS0_17block_load_methodE3ELS4_3ELS4_3ELNS0_20block_scan_algorithmE0ELj4294967295EEENS1_25partition_config_selectorILNS1_17partition_subalgoE3EjNS0_10empty_typeEbEEZZNS1_14partition_implILS8_3ELb0ES6_jNS0_17counting_iteratorIjlEEPS9_SE_NS0_5tupleIJPjSE_EEENSF_IJSE_SE_EEES9_SG_JZNS1_25segmented_radix_sort_implINS0_14default_configELb0EPK6__halfPSL_PKlPlN2at6native12_GLOBAL__N_18offset_tEEE10hipError_tPvRmT1_PNSt15iterator_traitsISZ_E10value_typeET2_T3_PNS10_IS15_E10value_typeET4_jRbjT5_S1B_jjP12ihipStream_tbEUljE_EEESW_SX_SY_S15_S19_S1B_T6_T7_T9_mT8_S1D_bDpT10_ENKUlT_T0_E_clISt17integral_constantIbLb0EES1Q_EEDaS1L_S1M_EUlS1L_E_NS1_11comp_targetILNS1_3genE0ELNS1_11target_archE4294967295ELNS1_3gpuE0ELNS1_3repE0EEENS1_30default_config_static_selectorELNS0_4arch9wavefront6targetE0EEEvSZ_.num_vgpr, 0
	.set _ZN7rocprim17ROCPRIM_400000_NS6detail17trampoline_kernelINS0_13select_configILj256ELj13ELNS0_17block_load_methodE3ELS4_3ELS4_3ELNS0_20block_scan_algorithmE0ELj4294967295EEENS1_25partition_config_selectorILNS1_17partition_subalgoE3EjNS0_10empty_typeEbEEZZNS1_14partition_implILS8_3ELb0ES6_jNS0_17counting_iteratorIjlEEPS9_SE_NS0_5tupleIJPjSE_EEENSF_IJSE_SE_EEES9_SG_JZNS1_25segmented_radix_sort_implINS0_14default_configELb0EPK6__halfPSL_PKlPlN2at6native12_GLOBAL__N_18offset_tEEE10hipError_tPvRmT1_PNSt15iterator_traitsISZ_E10value_typeET2_T3_PNS10_IS15_E10value_typeET4_jRbjT5_S1B_jjP12ihipStream_tbEUljE_EEESW_SX_SY_S15_S19_S1B_T6_T7_T9_mT8_S1D_bDpT10_ENKUlT_T0_E_clISt17integral_constantIbLb0EES1Q_EEDaS1L_S1M_EUlS1L_E_NS1_11comp_targetILNS1_3genE0ELNS1_11target_archE4294967295ELNS1_3gpuE0ELNS1_3repE0EEENS1_30default_config_static_selectorELNS0_4arch9wavefront6targetE0EEEvSZ_.num_agpr, 0
	.set _ZN7rocprim17ROCPRIM_400000_NS6detail17trampoline_kernelINS0_13select_configILj256ELj13ELNS0_17block_load_methodE3ELS4_3ELS4_3ELNS0_20block_scan_algorithmE0ELj4294967295EEENS1_25partition_config_selectorILNS1_17partition_subalgoE3EjNS0_10empty_typeEbEEZZNS1_14partition_implILS8_3ELb0ES6_jNS0_17counting_iteratorIjlEEPS9_SE_NS0_5tupleIJPjSE_EEENSF_IJSE_SE_EEES9_SG_JZNS1_25segmented_radix_sort_implINS0_14default_configELb0EPK6__halfPSL_PKlPlN2at6native12_GLOBAL__N_18offset_tEEE10hipError_tPvRmT1_PNSt15iterator_traitsISZ_E10value_typeET2_T3_PNS10_IS15_E10value_typeET4_jRbjT5_S1B_jjP12ihipStream_tbEUljE_EEESW_SX_SY_S15_S19_S1B_T6_T7_T9_mT8_S1D_bDpT10_ENKUlT_T0_E_clISt17integral_constantIbLb0EES1Q_EEDaS1L_S1M_EUlS1L_E_NS1_11comp_targetILNS1_3genE0ELNS1_11target_archE4294967295ELNS1_3gpuE0ELNS1_3repE0EEENS1_30default_config_static_selectorELNS0_4arch9wavefront6targetE0EEEvSZ_.numbered_sgpr, 0
	.set _ZN7rocprim17ROCPRIM_400000_NS6detail17trampoline_kernelINS0_13select_configILj256ELj13ELNS0_17block_load_methodE3ELS4_3ELS4_3ELNS0_20block_scan_algorithmE0ELj4294967295EEENS1_25partition_config_selectorILNS1_17partition_subalgoE3EjNS0_10empty_typeEbEEZZNS1_14partition_implILS8_3ELb0ES6_jNS0_17counting_iteratorIjlEEPS9_SE_NS0_5tupleIJPjSE_EEENSF_IJSE_SE_EEES9_SG_JZNS1_25segmented_radix_sort_implINS0_14default_configELb0EPK6__halfPSL_PKlPlN2at6native12_GLOBAL__N_18offset_tEEE10hipError_tPvRmT1_PNSt15iterator_traitsISZ_E10value_typeET2_T3_PNS10_IS15_E10value_typeET4_jRbjT5_S1B_jjP12ihipStream_tbEUljE_EEESW_SX_SY_S15_S19_S1B_T6_T7_T9_mT8_S1D_bDpT10_ENKUlT_T0_E_clISt17integral_constantIbLb0EES1Q_EEDaS1L_S1M_EUlS1L_E_NS1_11comp_targetILNS1_3genE0ELNS1_11target_archE4294967295ELNS1_3gpuE0ELNS1_3repE0EEENS1_30default_config_static_selectorELNS0_4arch9wavefront6targetE0EEEvSZ_.num_named_barrier, 0
	.set _ZN7rocprim17ROCPRIM_400000_NS6detail17trampoline_kernelINS0_13select_configILj256ELj13ELNS0_17block_load_methodE3ELS4_3ELS4_3ELNS0_20block_scan_algorithmE0ELj4294967295EEENS1_25partition_config_selectorILNS1_17partition_subalgoE3EjNS0_10empty_typeEbEEZZNS1_14partition_implILS8_3ELb0ES6_jNS0_17counting_iteratorIjlEEPS9_SE_NS0_5tupleIJPjSE_EEENSF_IJSE_SE_EEES9_SG_JZNS1_25segmented_radix_sort_implINS0_14default_configELb0EPK6__halfPSL_PKlPlN2at6native12_GLOBAL__N_18offset_tEEE10hipError_tPvRmT1_PNSt15iterator_traitsISZ_E10value_typeET2_T3_PNS10_IS15_E10value_typeET4_jRbjT5_S1B_jjP12ihipStream_tbEUljE_EEESW_SX_SY_S15_S19_S1B_T6_T7_T9_mT8_S1D_bDpT10_ENKUlT_T0_E_clISt17integral_constantIbLb0EES1Q_EEDaS1L_S1M_EUlS1L_E_NS1_11comp_targetILNS1_3genE0ELNS1_11target_archE4294967295ELNS1_3gpuE0ELNS1_3repE0EEENS1_30default_config_static_selectorELNS0_4arch9wavefront6targetE0EEEvSZ_.private_seg_size, 0
	.set _ZN7rocprim17ROCPRIM_400000_NS6detail17trampoline_kernelINS0_13select_configILj256ELj13ELNS0_17block_load_methodE3ELS4_3ELS4_3ELNS0_20block_scan_algorithmE0ELj4294967295EEENS1_25partition_config_selectorILNS1_17partition_subalgoE3EjNS0_10empty_typeEbEEZZNS1_14partition_implILS8_3ELb0ES6_jNS0_17counting_iteratorIjlEEPS9_SE_NS0_5tupleIJPjSE_EEENSF_IJSE_SE_EEES9_SG_JZNS1_25segmented_radix_sort_implINS0_14default_configELb0EPK6__halfPSL_PKlPlN2at6native12_GLOBAL__N_18offset_tEEE10hipError_tPvRmT1_PNSt15iterator_traitsISZ_E10value_typeET2_T3_PNS10_IS15_E10value_typeET4_jRbjT5_S1B_jjP12ihipStream_tbEUljE_EEESW_SX_SY_S15_S19_S1B_T6_T7_T9_mT8_S1D_bDpT10_ENKUlT_T0_E_clISt17integral_constantIbLb0EES1Q_EEDaS1L_S1M_EUlS1L_E_NS1_11comp_targetILNS1_3genE0ELNS1_11target_archE4294967295ELNS1_3gpuE0ELNS1_3repE0EEENS1_30default_config_static_selectorELNS0_4arch9wavefront6targetE0EEEvSZ_.uses_vcc, 0
	.set _ZN7rocprim17ROCPRIM_400000_NS6detail17trampoline_kernelINS0_13select_configILj256ELj13ELNS0_17block_load_methodE3ELS4_3ELS4_3ELNS0_20block_scan_algorithmE0ELj4294967295EEENS1_25partition_config_selectorILNS1_17partition_subalgoE3EjNS0_10empty_typeEbEEZZNS1_14partition_implILS8_3ELb0ES6_jNS0_17counting_iteratorIjlEEPS9_SE_NS0_5tupleIJPjSE_EEENSF_IJSE_SE_EEES9_SG_JZNS1_25segmented_radix_sort_implINS0_14default_configELb0EPK6__halfPSL_PKlPlN2at6native12_GLOBAL__N_18offset_tEEE10hipError_tPvRmT1_PNSt15iterator_traitsISZ_E10value_typeET2_T3_PNS10_IS15_E10value_typeET4_jRbjT5_S1B_jjP12ihipStream_tbEUljE_EEESW_SX_SY_S15_S19_S1B_T6_T7_T9_mT8_S1D_bDpT10_ENKUlT_T0_E_clISt17integral_constantIbLb0EES1Q_EEDaS1L_S1M_EUlS1L_E_NS1_11comp_targetILNS1_3genE0ELNS1_11target_archE4294967295ELNS1_3gpuE0ELNS1_3repE0EEENS1_30default_config_static_selectorELNS0_4arch9wavefront6targetE0EEEvSZ_.uses_flat_scratch, 0
	.set _ZN7rocprim17ROCPRIM_400000_NS6detail17trampoline_kernelINS0_13select_configILj256ELj13ELNS0_17block_load_methodE3ELS4_3ELS4_3ELNS0_20block_scan_algorithmE0ELj4294967295EEENS1_25partition_config_selectorILNS1_17partition_subalgoE3EjNS0_10empty_typeEbEEZZNS1_14partition_implILS8_3ELb0ES6_jNS0_17counting_iteratorIjlEEPS9_SE_NS0_5tupleIJPjSE_EEENSF_IJSE_SE_EEES9_SG_JZNS1_25segmented_radix_sort_implINS0_14default_configELb0EPK6__halfPSL_PKlPlN2at6native12_GLOBAL__N_18offset_tEEE10hipError_tPvRmT1_PNSt15iterator_traitsISZ_E10value_typeET2_T3_PNS10_IS15_E10value_typeET4_jRbjT5_S1B_jjP12ihipStream_tbEUljE_EEESW_SX_SY_S15_S19_S1B_T6_T7_T9_mT8_S1D_bDpT10_ENKUlT_T0_E_clISt17integral_constantIbLb0EES1Q_EEDaS1L_S1M_EUlS1L_E_NS1_11comp_targetILNS1_3genE0ELNS1_11target_archE4294967295ELNS1_3gpuE0ELNS1_3repE0EEENS1_30default_config_static_selectorELNS0_4arch9wavefront6targetE0EEEvSZ_.has_dyn_sized_stack, 0
	.set _ZN7rocprim17ROCPRIM_400000_NS6detail17trampoline_kernelINS0_13select_configILj256ELj13ELNS0_17block_load_methodE3ELS4_3ELS4_3ELNS0_20block_scan_algorithmE0ELj4294967295EEENS1_25partition_config_selectorILNS1_17partition_subalgoE3EjNS0_10empty_typeEbEEZZNS1_14partition_implILS8_3ELb0ES6_jNS0_17counting_iteratorIjlEEPS9_SE_NS0_5tupleIJPjSE_EEENSF_IJSE_SE_EEES9_SG_JZNS1_25segmented_radix_sort_implINS0_14default_configELb0EPK6__halfPSL_PKlPlN2at6native12_GLOBAL__N_18offset_tEEE10hipError_tPvRmT1_PNSt15iterator_traitsISZ_E10value_typeET2_T3_PNS10_IS15_E10value_typeET4_jRbjT5_S1B_jjP12ihipStream_tbEUljE_EEESW_SX_SY_S15_S19_S1B_T6_T7_T9_mT8_S1D_bDpT10_ENKUlT_T0_E_clISt17integral_constantIbLb0EES1Q_EEDaS1L_S1M_EUlS1L_E_NS1_11comp_targetILNS1_3genE0ELNS1_11target_archE4294967295ELNS1_3gpuE0ELNS1_3repE0EEENS1_30default_config_static_selectorELNS0_4arch9wavefront6targetE0EEEvSZ_.has_recursion, 0
	.set _ZN7rocprim17ROCPRIM_400000_NS6detail17trampoline_kernelINS0_13select_configILj256ELj13ELNS0_17block_load_methodE3ELS4_3ELS4_3ELNS0_20block_scan_algorithmE0ELj4294967295EEENS1_25partition_config_selectorILNS1_17partition_subalgoE3EjNS0_10empty_typeEbEEZZNS1_14partition_implILS8_3ELb0ES6_jNS0_17counting_iteratorIjlEEPS9_SE_NS0_5tupleIJPjSE_EEENSF_IJSE_SE_EEES9_SG_JZNS1_25segmented_radix_sort_implINS0_14default_configELb0EPK6__halfPSL_PKlPlN2at6native12_GLOBAL__N_18offset_tEEE10hipError_tPvRmT1_PNSt15iterator_traitsISZ_E10value_typeET2_T3_PNS10_IS15_E10value_typeET4_jRbjT5_S1B_jjP12ihipStream_tbEUljE_EEESW_SX_SY_S15_S19_S1B_T6_T7_T9_mT8_S1D_bDpT10_ENKUlT_T0_E_clISt17integral_constantIbLb0EES1Q_EEDaS1L_S1M_EUlS1L_E_NS1_11comp_targetILNS1_3genE0ELNS1_11target_archE4294967295ELNS1_3gpuE0ELNS1_3repE0EEENS1_30default_config_static_selectorELNS0_4arch9wavefront6targetE0EEEvSZ_.has_indirect_call, 0
	.section	.AMDGPU.csdata,"",@progbits
; Kernel info:
; codeLenInByte = 0
; TotalNumSgprs: 0
; NumVgprs: 0
; ScratchSize: 0
; MemoryBound: 0
; FloatMode: 240
; IeeeMode: 1
; LDSByteSize: 0 bytes/workgroup (compile time only)
; SGPRBlocks: 0
; VGPRBlocks: 0
; NumSGPRsForWavesPerEU: 1
; NumVGPRsForWavesPerEU: 1
; Occupancy: 16
; WaveLimiterHint : 0
; COMPUTE_PGM_RSRC2:SCRATCH_EN: 0
; COMPUTE_PGM_RSRC2:USER_SGPR: 6
; COMPUTE_PGM_RSRC2:TRAP_HANDLER: 0
; COMPUTE_PGM_RSRC2:TGID_X_EN: 1
; COMPUTE_PGM_RSRC2:TGID_Y_EN: 0
; COMPUTE_PGM_RSRC2:TGID_Z_EN: 0
; COMPUTE_PGM_RSRC2:TIDIG_COMP_CNT: 0
	.section	.text._ZN7rocprim17ROCPRIM_400000_NS6detail17trampoline_kernelINS0_13select_configILj256ELj13ELNS0_17block_load_methodE3ELS4_3ELS4_3ELNS0_20block_scan_algorithmE0ELj4294967295EEENS1_25partition_config_selectorILNS1_17partition_subalgoE3EjNS0_10empty_typeEbEEZZNS1_14partition_implILS8_3ELb0ES6_jNS0_17counting_iteratorIjlEEPS9_SE_NS0_5tupleIJPjSE_EEENSF_IJSE_SE_EEES9_SG_JZNS1_25segmented_radix_sort_implINS0_14default_configELb0EPK6__halfPSL_PKlPlN2at6native12_GLOBAL__N_18offset_tEEE10hipError_tPvRmT1_PNSt15iterator_traitsISZ_E10value_typeET2_T3_PNS10_IS15_E10value_typeET4_jRbjT5_S1B_jjP12ihipStream_tbEUljE_EEESW_SX_SY_S15_S19_S1B_T6_T7_T9_mT8_S1D_bDpT10_ENKUlT_T0_E_clISt17integral_constantIbLb0EES1Q_EEDaS1L_S1M_EUlS1L_E_NS1_11comp_targetILNS1_3genE5ELNS1_11target_archE942ELNS1_3gpuE9ELNS1_3repE0EEENS1_30default_config_static_selectorELNS0_4arch9wavefront6targetE0EEEvSZ_,"axG",@progbits,_ZN7rocprim17ROCPRIM_400000_NS6detail17trampoline_kernelINS0_13select_configILj256ELj13ELNS0_17block_load_methodE3ELS4_3ELS4_3ELNS0_20block_scan_algorithmE0ELj4294967295EEENS1_25partition_config_selectorILNS1_17partition_subalgoE3EjNS0_10empty_typeEbEEZZNS1_14partition_implILS8_3ELb0ES6_jNS0_17counting_iteratorIjlEEPS9_SE_NS0_5tupleIJPjSE_EEENSF_IJSE_SE_EEES9_SG_JZNS1_25segmented_radix_sort_implINS0_14default_configELb0EPK6__halfPSL_PKlPlN2at6native12_GLOBAL__N_18offset_tEEE10hipError_tPvRmT1_PNSt15iterator_traitsISZ_E10value_typeET2_T3_PNS10_IS15_E10value_typeET4_jRbjT5_S1B_jjP12ihipStream_tbEUljE_EEESW_SX_SY_S15_S19_S1B_T6_T7_T9_mT8_S1D_bDpT10_ENKUlT_T0_E_clISt17integral_constantIbLb0EES1Q_EEDaS1L_S1M_EUlS1L_E_NS1_11comp_targetILNS1_3genE5ELNS1_11target_archE942ELNS1_3gpuE9ELNS1_3repE0EEENS1_30default_config_static_selectorELNS0_4arch9wavefront6targetE0EEEvSZ_,comdat
	.globl	_ZN7rocprim17ROCPRIM_400000_NS6detail17trampoline_kernelINS0_13select_configILj256ELj13ELNS0_17block_load_methodE3ELS4_3ELS4_3ELNS0_20block_scan_algorithmE0ELj4294967295EEENS1_25partition_config_selectorILNS1_17partition_subalgoE3EjNS0_10empty_typeEbEEZZNS1_14partition_implILS8_3ELb0ES6_jNS0_17counting_iteratorIjlEEPS9_SE_NS0_5tupleIJPjSE_EEENSF_IJSE_SE_EEES9_SG_JZNS1_25segmented_radix_sort_implINS0_14default_configELb0EPK6__halfPSL_PKlPlN2at6native12_GLOBAL__N_18offset_tEEE10hipError_tPvRmT1_PNSt15iterator_traitsISZ_E10value_typeET2_T3_PNS10_IS15_E10value_typeET4_jRbjT5_S1B_jjP12ihipStream_tbEUljE_EEESW_SX_SY_S15_S19_S1B_T6_T7_T9_mT8_S1D_bDpT10_ENKUlT_T0_E_clISt17integral_constantIbLb0EES1Q_EEDaS1L_S1M_EUlS1L_E_NS1_11comp_targetILNS1_3genE5ELNS1_11target_archE942ELNS1_3gpuE9ELNS1_3repE0EEENS1_30default_config_static_selectorELNS0_4arch9wavefront6targetE0EEEvSZ_ ; -- Begin function _ZN7rocprim17ROCPRIM_400000_NS6detail17trampoline_kernelINS0_13select_configILj256ELj13ELNS0_17block_load_methodE3ELS4_3ELS4_3ELNS0_20block_scan_algorithmE0ELj4294967295EEENS1_25partition_config_selectorILNS1_17partition_subalgoE3EjNS0_10empty_typeEbEEZZNS1_14partition_implILS8_3ELb0ES6_jNS0_17counting_iteratorIjlEEPS9_SE_NS0_5tupleIJPjSE_EEENSF_IJSE_SE_EEES9_SG_JZNS1_25segmented_radix_sort_implINS0_14default_configELb0EPK6__halfPSL_PKlPlN2at6native12_GLOBAL__N_18offset_tEEE10hipError_tPvRmT1_PNSt15iterator_traitsISZ_E10value_typeET2_T3_PNS10_IS15_E10value_typeET4_jRbjT5_S1B_jjP12ihipStream_tbEUljE_EEESW_SX_SY_S15_S19_S1B_T6_T7_T9_mT8_S1D_bDpT10_ENKUlT_T0_E_clISt17integral_constantIbLb0EES1Q_EEDaS1L_S1M_EUlS1L_E_NS1_11comp_targetILNS1_3genE5ELNS1_11target_archE942ELNS1_3gpuE9ELNS1_3repE0EEENS1_30default_config_static_selectorELNS0_4arch9wavefront6targetE0EEEvSZ_
	.p2align	8
	.type	_ZN7rocprim17ROCPRIM_400000_NS6detail17trampoline_kernelINS0_13select_configILj256ELj13ELNS0_17block_load_methodE3ELS4_3ELS4_3ELNS0_20block_scan_algorithmE0ELj4294967295EEENS1_25partition_config_selectorILNS1_17partition_subalgoE3EjNS0_10empty_typeEbEEZZNS1_14partition_implILS8_3ELb0ES6_jNS0_17counting_iteratorIjlEEPS9_SE_NS0_5tupleIJPjSE_EEENSF_IJSE_SE_EEES9_SG_JZNS1_25segmented_radix_sort_implINS0_14default_configELb0EPK6__halfPSL_PKlPlN2at6native12_GLOBAL__N_18offset_tEEE10hipError_tPvRmT1_PNSt15iterator_traitsISZ_E10value_typeET2_T3_PNS10_IS15_E10value_typeET4_jRbjT5_S1B_jjP12ihipStream_tbEUljE_EEESW_SX_SY_S15_S19_S1B_T6_T7_T9_mT8_S1D_bDpT10_ENKUlT_T0_E_clISt17integral_constantIbLb0EES1Q_EEDaS1L_S1M_EUlS1L_E_NS1_11comp_targetILNS1_3genE5ELNS1_11target_archE942ELNS1_3gpuE9ELNS1_3repE0EEENS1_30default_config_static_selectorELNS0_4arch9wavefront6targetE0EEEvSZ_,@function
_ZN7rocprim17ROCPRIM_400000_NS6detail17trampoline_kernelINS0_13select_configILj256ELj13ELNS0_17block_load_methodE3ELS4_3ELS4_3ELNS0_20block_scan_algorithmE0ELj4294967295EEENS1_25partition_config_selectorILNS1_17partition_subalgoE3EjNS0_10empty_typeEbEEZZNS1_14partition_implILS8_3ELb0ES6_jNS0_17counting_iteratorIjlEEPS9_SE_NS0_5tupleIJPjSE_EEENSF_IJSE_SE_EEES9_SG_JZNS1_25segmented_radix_sort_implINS0_14default_configELb0EPK6__halfPSL_PKlPlN2at6native12_GLOBAL__N_18offset_tEEE10hipError_tPvRmT1_PNSt15iterator_traitsISZ_E10value_typeET2_T3_PNS10_IS15_E10value_typeET4_jRbjT5_S1B_jjP12ihipStream_tbEUljE_EEESW_SX_SY_S15_S19_S1B_T6_T7_T9_mT8_S1D_bDpT10_ENKUlT_T0_E_clISt17integral_constantIbLb0EES1Q_EEDaS1L_S1M_EUlS1L_E_NS1_11comp_targetILNS1_3genE5ELNS1_11target_archE942ELNS1_3gpuE9ELNS1_3repE0EEENS1_30default_config_static_selectorELNS0_4arch9wavefront6targetE0EEEvSZ_: ; @_ZN7rocprim17ROCPRIM_400000_NS6detail17trampoline_kernelINS0_13select_configILj256ELj13ELNS0_17block_load_methodE3ELS4_3ELS4_3ELNS0_20block_scan_algorithmE0ELj4294967295EEENS1_25partition_config_selectorILNS1_17partition_subalgoE3EjNS0_10empty_typeEbEEZZNS1_14partition_implILS8_3ELb0ES6_jNS0_17counting_iteratorIjlEEPS9_SE_NS0_5tupleIJPjSE_EEENSF_IJSE_SE_EEES9_SG_JZNS1_25segmented_radix_sort_implINS0_14default_configELb0EPK6__halfPSL_PKlPlN2at6native12_GLOBAL__N_18offset_tEEE10hipError_tPvRmT1_PNSt15iterator_traitsISZ_E10value_typeET2_T3_PNS10_IS15_E10value_typeET4_jRbjT5_S1B_jjP12ihipStream_tbEUljE_EEESW_SX_SY_S15_S19_S1B_T6_T7_T9_mT8_S1D_bDpT10_ENKUlT_T0_E_clISt17integral_constantIbLb0EES1Q_EEDaS1L_S1M_EUlS1L_E_NS1_11comp_targetILNS1_3genE5ELNS1_11target_archE942ELNS1_3gpuE9ELNS1_3repE0EEENS1_30default_config_static_selectorELNS0_4arch9wavefront6targetE0EEEvSZ_
; %bb.0:
	.section	.rodata,"a",@progbits
	.p2align	6, 0x0
	.amdhsa_kernel _ZN7rocprim17ROCPRIM_400000_NS6detail17trampoline_kernelINS0_13select_configILj256ELj13ELNS0_17block_load_methodE3ELS4_3ELS4_3ELNS0_20block_scan_algorithmE0ELj4294967295EEENS1_25partition_config_selectorILNS1_17partition_subalgoE3EjNS0_10empty_typeEbEEZZNS1_14partition_implILS8_3ELb0ES6_jNS0_17counting_iteratorIjlEEPS9_SE_NS0_5tupleIJPjSE_EEENSF_IJSE_SE_EEES9_SG_JZNS1_25segmented_radix_sort_implINS0_14default_configELb0EPK6__halfPSL_PKlPlN2at6native12_GLOBAL__N_18offset_tEEE10hipError_tPvRmT1_PNSt15iterator_traitsISZ_E10value_typeET2_T3_PNS10_IS15_E10value_typeET4_jRbjT5_S1B_jjP12ihipStream_tbEUljE_EEESW_SX_SY_S15_S19_S1B_T6_T7_T9_mT8_S1D_bDpT10_ENKUlT_T0_E_clISt17integral_constantIbLb0EES1Q_EEDaS1L_S1M_EUlS1L_E_NS1_11comp_targetILNS1_3genE5ELNS1_11target_archE942ELNS1_3gpuE9ELNS1_3repE0EEENS1_30default_config_static_selectorELNS0_4arch9wavefront6targetE0EEEvSZ_
		.amdhsa_group_segment_fixed_size 0
		.amdhsa_private_segment_fixed_size 0
		.amdhsa_kernarg_size 144
		.amdhsa_user_sgpr_count 6
		.amdhsa_user_sgpr_private_segment_buffer 1
		.amdhsa_user_sgpr_dispatch_ptr 0
		.amdhsa_user_sgpr_queue_ptr 0
		.amdhsa_user_sgpr_kernarg_segment_ptr 1
		.amdhsa_user_sgpr_dispatch_id 0
		.amdhsa_user_sgpr_flat_scratch_init 0
		.amdhsa_user_sgpr_private_segment_size 0
		.amdhsa_wavefront_size32 1
		.amdhsa_uses_dynamic_stack 0
		.amdhsa_system_sgpr_private_segment_wavefront_offset 0
		.amdhsa_system_sgpr_workgroup_id_x 1
		.amdhsa_system_sgpr_workgroup_id_y 0
		.amdhsa_system_sgpr_workgroup_id_z 0
		.amdhsa_system_sgpr_workgroup_info 0
		.amdhsa_system_vgpr_workitem_id 0
		.amdhsa_next_free_vgpr 1
		.amdhsa_next_free_sgpr 1
		.amdhsa_reserve_vcc 0
		.amdhsa_reserve_flat_scratch 0
		.amdhsa_float_round_mode_32 0
		.amdhsa_float_round_mode_16_64 0
		.amdhsa_float_denorm_mode_32 3
		.amdhsa_float_denorm_mode_16_64 3
		.amdhsa_dx10_clamp 1
		.amdhsa_ieee_mode 1
		.amdhsa_fp16_overflow 0
		.amdhsa_workgroup_processor_mode 1
		.amdhsa_memory_ordered 1
		.amdhsa_forward_progress 1
		.amdhsa_shared_vgpr_count 0
		.amdhsa_exception_fp_ieee_invalid_op 0
		.amdhsa_exception_fp_denorm_src 0
		.amdhsa_exception_fp_ieee_div_zero 0
		.amdhsa_exception_fp_ieee_overflow 0
		.amdhsa_exception_fp_ieee_underflow 0
		.amdhsa_exception_fp_ieee_inexact 0
		.amdhsa_exception_int_div_zero 0
	.end_amdhsa_kernel
	.section	.text._ZN7rocprim17ROCPRIM_400000_NS6detail17trampoline_kernelINS0_13select_configILj256ELj13ELNS0_17block_load_methodE3ELS4_3ELS4_3ELNS0_20block_scan_algorithmE0ELj4294967295EEENS1_25partition_config_selectorILNS1_17partition_subalgoE3EjNS0_10empty_typeEbEEZZNS1_14partition_implILS8_3ELb0ES6_jNS0_17counting_iteratorIjlEEPS9_SE_NS0_5tupleIJPjSE_EEENSF_IJSE_SE_EEES9_SG_JZNS1_25segmented_radix_sort_implINS0_14default_configELb0EPK6__halfPSL_PKlPlN2at6native12_GLOBAL__N_18offset_tEEE10hipError_tPvRmT1_PNSt15iterator_traitsISZ_E10value_typeET2_T3_PNS10_IS15_E10value_typeET4_jRbjT5_S1B_jjP12ihipStream_tbEUljE_EEESW_SX_SY_S15_S19_S1B_T6_T7_T9_mT8_S1D_bDpT10_ENKUlT_T0_E_clISt17integral_constantIbLb0EES1Q_EEDaS1L_S1M_EUlS1L_E_NS1_11comp_targetILNS1_3genE5ELNS1_11target_archE942ELNS1_3gpuE9ELNS1_3repE0EEENS1_30default_config_static_selectorELNS0_4arch9wavefront6targetE0EEEvSZ_,"axG",@progbits,_ZN7rocprim17ROCPRIM_400000_NS6detail17trampoline_kernelINS0_13select_configILj256ELj13ELNS0_17block_load_methodE3ELS4_3ELS4_3ELNS0_20block_scan_algorithmE0ELj4294967295EEENS1_25partition_config_selectorILNS1_17partition_subalgoE3EjNS0_10empty_typeEbEEZZNS1_14partition_implILS8_3ELb0ES6_jNS0_17counting_iteratorIjlEEPS9_SE_NS0_5tupleIJPjSE_EEENSF_IJSE_SE_EEES9_SG_JZNS1_25segmented_radix_sort_implINS0_14default_configELb0EPK6__halfPSL_PKlPlN2at6native12_GLOBAL__N_18offset_tEEE10hipError_tPvRmT1_PNSt15iterator_traitsISZ_E10value_typeET2_T3_PNS10_IS15_E10value_typeET4_jRbjT5_S1B_jjP12ihipStream_tbEUljE_EEESW_SX_SY_S15_S19_S1B_T6_T7_T9_mT8_S1D_bDpT10_ENKUlT_T0_E_clISt17integral_constantIbLb0EES1Q_EEDaS1L_S1M_EUlS1L_E_NS1_11comp_targetILNS1_3genE5ELNS1_11target_archE942ELNS1_3gpuE9ELNS1_3repE0EEENS1_30default_config_static_selectorELNS0_4arch9wavefront6targetE0EEEvSZ_,comdat
.Lfunc_end1801:
	.size	_ZN7rocprim17ROCPRIM_400000_NS6detail17trampoline_kernelINS0_13select_configILj256ELj13ELNS0_17block_load_methodE3ELS4_3ELS4_3ELNS0_20block_scan_algorithmE0ELj4294967295EEENS1_25partition_config_selectorILNS1_17partition_subalgoE3EjNS0_10empty_typeEbEEZZNS1_14partition_implILS8_3ELb0ES6_jNS0_17counting_iteratorIjlEEPS9_SE_NS0_5tupleIJPjSE_EEENSF_IJSE_SE_EEES9_SG_JZNS1_25segmented_radix_sort_implINS0_14default_configELb0EPK6__halfPSL_PKlPlN2at6native12_GLOBAL__N_18offset_tEEE10hipError_tPvRmT1_PNSt15iterator_traitsISZ_E10value_typeET2_T3_PNS10_IS15_E10value_typeET4_jRbjT5_S1B_jjP12ihipStream_tbEUljE_EEESW_SX_SY_S15_S19_S1B_T6_T7_T9_mT8_S1D_bDpT10_ENKUlT_T0_E_clISt17integral_constantIbLb0EES1Q_EEDaS1L_S1M_EUlS1L_E_NS1_11comp_targetILNS1_3genE5ELNS1_11target_archE942ELNS1_3gpuE9ELNS1_3repE0EEENS1_30default_config_static_selectorELNS0_4arch9wavefront6targetE0EEEvSZ_, .Lfunc_end1801-_ZN7rocprim17ROCPRIM_400000_NS6detail17trampoline_kernelINS0_13select_configILj256ELj13ELNS0_17block_load_methodE3ELS4_3ELS4_3ELNS0_20block_scan_algorithmE0ELj4294967295EEENS1_25partition_config_selectorILNS1_17partition_subalgoE3EjNS0_10empty_typeEbEEZZNS1_14partition_implILS8_3ELb0ES6_jNS0_17counting_iteratorIjlEEPS9_SE_NS0_5tupleIJPjSE_EEENSF_IJSE_SE_EEES9_SG_JZNS1_25segmented_radix_sort_implINS0_14default_configELb0EPK6__halfPSL_PKlPlN2at6native12_GLOBAL__N_18offset_tEEE10hipError_tPvRmT1_PNSt15iterator_traitsISZ_E10value_typeET2_T3_PNS10_IS15_E10value_typeET4_jRbjT5_S1B_jjP12ihipStream_tbEUljE_EEESW_SX_SY_S15_S19_S1B_T6_T7_T9_mT8_S1D_bDpT10_ENKUlT_T0_E_clISt17integral_constantIbLb0EES1Q_EEDaS1L_S1M_EUlS1L_E_NS1_11comp_targetILNS1_3genE5ELNS1_11target_archE942ELNS1_3gpuE9ELNS1_3repE0EEENS1_30default_config_static_selectorELNS0_4arch9wavefront6targetE0EEEvSZ_
                                        ; -- End function
	.set _ZN7rocprim17ROCPRIM_400000_NS6detail17trampoline_kernelINS0_13select_configILj256ELj13ELNS0_17block_load_methodE3ELS4_3ELS4_3ELNS0_20block_scan_algorithmE0ELj4294967295EEENS1_25partition_config_selectorILNS1_17partition_subalgoE3EjNS0_10empty_typeEbEEZZNS1_14partition_implILS8_3ELb0ES6_jNS0_17counting_iteratorIjlEEPS9_SE_NS0_5tupleIJPjSE_EEENSF_IJSE_SE_EEES9_SG_JZNS1_25segmented_radix_sort_implINS0_14default_configELb0EPK6__halfPSL_PKlPlN2at6native12_GLOBAL__N_18offset_tEEE10hipError_tPvRmT1_PNSt15iterator_traitsISZ_E10value_typeET2_T3_PNS10_IS15_E10value_typeET4_jRbjT5_S1B_jjP12ihipStream_tbEUljE_EEESW_SX_SY_S15_S19_S1B_T6_T7_T9_mT8_S1D_bDpT10_ENKUlT_T0_E_clISt17integral_constantIbLb0EES1Q_EEDaS1L_S1M_EUlS1L_E_NS1_11comp_targetILNS1_3genE5ELNS1_11target_archE942ELNS1_3gpuE9ELNS1_3repE0EEENS1_30default_config_static_selectorELNS0_4arch9wavefront6targetE0EEEvSZ_.num_vgpr, 0
	.set _ZN7rocprim17ROCPRIM_400000_NS6detail17trampoline_kernelINS0_13select_configILj256ELj13ELNS0_17block_load_methodE3ELS4_3ELS4_3ELNS0_20block_scan_algorithmE0ELj4294967295EEENS1_25partition_config_selectorILNS1_17partition_subalgoE3EjNS0_10empty_typeEbEEZZNS1_14partition_implILS8_3ELb0ES6_jNS0_17counting_iteratorIjlEEPS9_SE_NS0_5tupleIJPjSE_EEENSF_IJSE_SE_EEES9_SG_JZNS1_25segmented_radix_sort_implINS0_14default_configELb0EPK6__halfPSL_PKlPlN2at6native12_GLOBAL__N_18offset_tEEE10hipError_tPvRmT1_PNSt15iterator_traitsISZ_E10value_typeET2_T3_PNS10_IS15_E10value_typeET4_jRbjT5_S1B_jjP12ihipStream_tbEUljE_EEESW_SX_SY_S15_S19_S1B_T6_T7_T9_mT8_S1D_bDpT10_ENKUlT_T0_E_clISt17integral_constantIbLb0EES1Q_EEDaS1L_S1M_EUlS1L_E_NS1_11comp_targetILNS1_3genE5ELNS1_11target_archE942ELNS1_3gpuE9ELNS1_3repE0EEENS1_30default_config_static_selectorELNS0_4arch9wavefront6targetE0EEEvSZ_.num_agpr, 0
	.set _ZN7rocprim17ROCPRIM_400000_NS6detail17trampoline_kernelINS0_13select_configILj256ELj13ELNS0_17block_load_methodE3ELS4_3ELS4_3ELNS0_20block_scan_algorithmE0ELj4294967295EEENS1_25partition_config_selectorILNS1_17partition_subalgoE3EjNS0_10empty_typeEbEEZZNS1_14partition_implILS8_3ELb0ES6_jNS0_17counting_iteratorIjlEEPS9_SE_NS0_5tupleIJPjSE_EEENSF_IJSE_SE_EEES9_SG_JZNS1_25segmented_radix_sort_implINS0_14default_configELb0EPK6__halfPSL_PKlPlN2at6native12_GLOBAL__N_18offset_tEEE10hipError_tPvRmT1_PNSt15iterator_traitsISZ_E10value_typeET2_T3_PNS10_IS15_E10value_typeET4_jRbjT5_S1B_jjP12ihipStream_tbEUljE_EEESW_SX_SY_S15_S19_S1B_T6_T7_T9_mT8_S1D_bDpT10_ENKUlT_T0_E_clISt17integral_constantIbLb0EES1Q_EEDaS1L_S1M_EUlS1L_E_NS1_11comp_targetILNS1_3genE5ELNS1_11target_archE942ELNS1_3gpuE9ELNS1_3repE0EEENS1_30default_config_static_selectorELNS0_4arch9wavefront6targetE0EEEvSZ_.numbered_sgpr, 0
	.set _ZN7rocprim17ROCPRIM_400000_NS6detail17trampoline_kernelINS0_13select_configILj256ELj13ELNS0_17block_load_methodE3ELS4_3ELS4_3ELNS0_20block_scan_algorithmE0ELj4294967295EEENS1_25partition_config_selectorILNS1_17partition_subalgoE3EjNS0_10empty_typeEbEEZZNS1_14partition_implILS8_3ELb0ES6_jNS0_17counting_iteratorIjlEEPS9_SE_NS0_5tupleIJPjSE_EEENSF_IJSE_SE_EEES9_SG_JZNS1_25segmented_radix_sort_implINS0_14default_configELb0EPK6__halfPSL_PKlPlN2at6native12_GLOBAL__N_18offset_tEEE10hipError_tPvRmT1_PNSt15iterator_traitsISZ_E10value_typeET2_T3_PNS10_IS15_E10value_typeET4_jRbjT5_S1B_jjP12ihipStream_tbEUljE_EEESW_SX_SY_S15_S19_S1B_T6_T7_T9_mT8_S1D_bDpT10_ENKUlT_T0_E_clISt17integral_constantIbLb0EES1Q_EEDaS1L_S1M_EUlS1L_E_NS1_11comp_targetILNS1_3genE5ELNS1_11target_archE942ELNS1_3gpuE9ELNS1_3repE0EEENS1_30default_config_static_selectorELNS0_4arch9wavefront6targetE0EEEvSZ_.num_named_barrier, 0
	.set _ZN7rocprim17ROCPRIM_400000_NS6detail17trampoline_kernelINS0_13select_configILj256ELj13ELNS0_17block_load_methodE3ELS4_3ELS4_3ELNS0_20block_scan_algorithmE0ELj4294967295EEENS1_25partition_config_selectorILNS1_17partition_subalgoE3EjNS0_10empty_typeEbEEZZNS1_14partition_implILS8_3ELb0ES6_jNS0_17counting_iteratorIjlEEPS9_SE_NS0_5tupleIJPjSE_EEENSF_IJSE_SE_EEES9_SG_JZNS1_25segmented_radix_sort_implINS0_14default_configELb0EPK6__halfPSL_PKlPlN2at6native12_GLOBAL__N_18offset_tEEE10hipError_tPvRmT1_PNSt15iterator_traitsISZ_E10value_typeET2_T3_PNS10_IS15_E10value_typeET4_jRbjT5_S1B_jjP12ihipStream_tbEUljE_EEESW_SX_SY_S15_S19_S1B_T6_T7_T9_mT8_S1D_bDpT10_ENKUlT_T0_E_clISt17integral_constantIbLb0EES1Q_EEDaS1L_S1M_EUlS1L_E_NS1_11comp_targetILNS1_3genE5ELNS1_11target_archE942ELNS1_3gpuE9ELNS1_3repE0EEENS1_30default_config_static_selectorELNS0_4arch9wavefront6targetE0EEEvSZ_.private_seg_size, 0
	.set _ZN7rocprim17ROCPRIM_400000_NS6detail17trampoline_kernelINS0_13select_configILj256ELj13ELNS0_17block_load_methodE3ELS4_3ELS4_3ELNS0_20block_scan_algorithmE0ELj4294967295EEENS1_25partition_config_selectorILNS1_17partition_subalgoE3EjNS0_10empty_typeEbEEZZNS1_14partition_implILS8_3ELb0ES6_jNS0_17counting_iteratorIjlEEPS9_SE_NS0_5tupleIJPjSE_EEENSF_IJSE_SE_EEES9_SG_JZNS1_25segmented_radix_sort_implINS0_14default_configELb0EPK6__halfPSL_PKlPlN2at6native12_GLOBAL__N_18offset_tEEE10hipError_tPvRmT1_PNSt15iterator_traitsISZ_E10value_typeET2_T3_PNS10_IS15_E10value_typeET4_jRbjT5_S1B_jjP12ihipStream_tbEUljE_EEESW_SX_SY_S15_S19_S1B_T6_T7_T9_mT8_S1D_bDpT10_ENKUlT_T0_E_clISt17integral_constantIbLb0EES1Q_EEDaS1L_S1M_EUlS1L_E_NS1_11comp_targetILNS1_3genE5ELNS1_11target_archE942ELNS1_3gpuE9ELNS1_3repE0EEENS1_30default_config_static_selectorELNS0_4arch9wavefront6targetE0EEEvSZ_.uses_vcc, 0
	.set _ZN7rocprim17ROCPRIM_400000_NS6detail17trampoline_kernelINS0_13select_configILj256ELj13ELNS0_17block_load_methodE3ELS4_3ELS4_3ELNS0_20block_scan_algorithmE0ELj4294967295EEENS1_25partition_config_selectorILNS1_17partition_subalgoE3EjNS0_10empty_typeEbEEZZNS1_14partition_implILS8_3ELb0ES6_jNS0_17counting_iteratorIjlEEPS9_SE_NS0_5tupleIJPjSE_EEENSF_IJSE_SE_EEES9_SG_JZNS1_25segmented_radix_sort_implINS0_14default_configELb0EPK6__halfPSL_PKlPlN2at6native12_GLOBAL__N_18offset_tEEE10hipError_tPvRmT1_PNSt15iterator_traitsISZ_E10value_typeET2_T3_PNS10_IS15_E10value_typeET4_jRbjT5_S1B_jjP12ihipStream_tbEUljE_EEESW_SX_SY_S15_S19_S1B_T6_T7_T9_mT8_S1D_bDpT10_ENKUlT_T0_E_clISt17integral_constantIbLb0EES1Q_EEDaS1L_S1M_EUlS1L_E_NS1_11comp_targetILNS1_3genE5ELNS1_11target_archE942ELNS1_3gpuE9ELNS1_3repE0EEENS1_30default_config_static_selectorELNS0_4arch9wavefront6targetE0EEEvSZ_.uses_flat_scratch, 0
	.set _ZN7rocprim17ROCPRIM_400000_NS6detail17trampoline_kernelINS0_13select_configILj256ELj13ELNS0_17block_load_methodE3ELS4_3ELS4_3ELNS0_20block_scan_algorithmE0ELj4294967295EEENS1_25partition_config_selectorILNS1_17partition_subalgoE3EjNS0_10empty_typeEbEEZZNS1_14partition_implILS8_3ELb0ES6_jNS0_17counting_iteratorIjlEEPS9_SE_NS0_5tupleIJPjSE_EEENSF_IJSE_SE_EEES9_SG_JZNS1_25segmented_radix_sort_implINS0_14default_configELb0EPK6__halfPSL_PKlPlN2at6native12_GLOBAL__N_18offset_tEEE10hipError_tPvRmT1_PNSt15iterator_traitsISZ_E10value_typeET2_T3_PNS10_IS15_E10value_typeET4_jRbjT5_S1B_jjP12ihipStream_tbEUljE_EEESW_SX_SY_S15_S19_S1B_T6_T7_T9_mT8_S1D_bDpT10_ENKUlT_T0_E_clISt17integral_constantIbLb0EES1Q_EEDaS1L_S1M_EUlS1L_E_NS1_11comp_targetILNS1_3genE5ELNS1_11target_archE942ELNS1_3gpuE9ELNS1_3repE0EEENS1_30default_config_static_selectorELNS0_4arch9wavefront6targetE0EEEvSZ_.has_dyn_sized_stack, 0
	.set _ZN7rocprim17ROCPRIM_400000_NS6detail17trampoline_kernelINS0_13select_configILj256ELj13ELNS0_17block_load_methodE3ELS4_3ELS4_3ELNS0_20block_scan_algorithmE0ELj4294967295EEENS1_25partition_config_selectorILNS1_17partition_subalgoE3EjNS0_10empty_typeEbEEZZNS1_14partition_implILS8_3ELb0ES6_jNS0_17counting_iteratorIjlEEPS9_SE_NS0_5tupleIJPjSE_EEENSF_IJSE_SE_EEES9_SG_JZNS1_25segmented_radix_sort_implINS0_14default_configELb0EPK6__halfPSL_PKlPlN2at6native12_GLOBAL__N_18offset_tEEE10hipError_tPvRmT1_PNSt15iterator_traitsISZ_E10value_typeET2_T3_PNS10_IS15_E10value_typeET4_jRbjT5_S1B_jjP12ihipStream_tbEUljE_EEESW_SX_SY_S15_S19_S1B_T6_T7_T9_mT8_S1D_bDpT10_ENKUlT_T0_E_clISt17integral_constantIbLb0EES1Q_EEDaS1L_S1M_EUlS1L_E_NS1_11comp_targetILNS1_3genE5ELNS1_11target_archE942ELNS1_3gpuE9ELNS1_3repE0EEENS1_30default_config_static_selectorELNS0_4arch9wavefront6targetE0EEEvSZ_.has_recursion, 0
	.set _ZN7rocprim17ROCPRIM_400000_NS6detail17trampoline_kernelINS0_13select_configILj256ELj13ELNS0_17block_load_methodE3ELS4_3ELS4_3ELNS0_20block_scan_algorithmE0ELj4294967295EEENS1_25partition_config_selectorILNS1_17partition_subalgoE3EjNS0_10empty_typeEbEEZZNS1_14partition_implILS8_3ELb0ES6_jNS0_17counting_iteratorIjlEEPS9_SE_NS0_5tupleIJPjSE_EEENSF_IJSE_SE_EEES9_SG_JZNS1_25segmented_radix_sort_implINS0_14default_configELb0EPK6__halfPSL_PKlPlN2at6native12_GLOBAL__N_18offset_tEEE10hipError_tPvRmT1_PNSt15iterator_traitsISZ_E10value_typeET2_T3_PNS10_IS15_E10value_typeET4_jRbjT5_S1B_jjP12ihipStream_tbEUljE_EEESW_SX_SY_S15_S19_S1B_T6_T7_T9_mT8_S1D_bDpT10_ENKUlT_T0_E_clISt17integral_constantIbLb0EES1Q_EEDaS1L_S1M_EUlS1L_E_NS1_11comp_targetILNS1_3genE5ELNS1_11target_archE942ELNS1_3gpuE9ELNS1_3repE0EEENS1_30default_config_static_selectorELNS0_4arch9wavefront6targetE0EEEvSZ_.has_indirect_call, 0
	.section	.AMDGPU.csdata,"",@progbits
; Kernel info:
; codeLenInByte = 0
; TotalNumSgprs: 0
; NumVgprs: 0
; ScratchSize: 0
; MemoryBound: 0
; FloatMode: 240
; IeeeMode: 1
; LDSByteSize: 0 bytes/workgroup (compile time only)
; SGPRBlocks: 0
; VGPRBlocks: 0
; NumSGPRsForWavesPerEU: 1
; NumVGPRsForWavesPerEU: 1
; Occupancy: 16
; WaveLimiterHint : 0
; COMPUTE_PGM_RSRC2:SCRATCH_EN: 0
; COMPUTE_PGM_RSRC2:USER_SGPR: 6
; COMPUTE_PGM_RSRC2:TRAP_HANDLER: 0
; COMPUTE_PGM_RSRC2:TGID_X_EN: 1
; COMPUTE_PGM_RSRC2:TGID_Y_EN: 0
; COMPUTE_PGM_RSRC2:TGID_Z_EN: 0
; COMPUTE_PGM_RSRC2:TIDIG_COMP_CNT: 0
	.section	.text._ZN7rocprim17ROCPRIM_400000_NS6detail17trampoline_kernelINS0_13select_configILj256ELj13ELNS0_17block_load_methodE3ELS4_3ELS4_3ELNS0_20block_scan_algorithmE0ELj4294967295EEENS1_25partition_config_selectorILNS1_17partition_subalgoE3EjNS0_10empty_typeEbEEZZNS1_14partition_implILS8_3ELb0ES6_jNS0_17counting_iteratorIjlEEPS9_SE_NS0_5tupleIJPjSE_EEENSF_IJSE_SE_EEES9_SG_JZNS1_25segmented_radix_sort_implINS0_14default_configELb0EPK6__halfPSL_PKlPlN2at6native12_GLOBAL__N_18offset_tEEE10hipError_tPvRmT1_PNSt15iterator_traitsISZ_E10value_typeET2_T3_PNS10_IS15_E10value_typeET4_jRbjT5_S1B_jjP12ihipStream_tbEUljE_EEESW_SX_SY_S15_S19_S1B_T6_T7_T9_mT8_S1D_bDpT10_ENKUlT_T0_E_clISt17integral_constantIbLb0EES1Q_EEDaS1L_S1M_EUlS1L_E_NS1_11comp_targetILNS1_3genE4ELNS1_11target_archE910ELNS1_3gpuE8ELNS1_3repE0EEENS1_30default_config_static_selectorELNS0_4arch9wavefront6targetE0EEEvSZ_,"axG",@progbits,_ZN7rocprim17ROCPRIM_400000_NS6detail17trampoline_kernelINS0_13select_configILj256ELj13ELNS0_17block_load_methodE3ELS4_3ELS4_3ELNS0_20block_scan_algorithmE0ELj4294967295EEENS1_25partition_config_selectorILNS1_17partition_subalgoE3EjNS0_10empty_typeEbEEZZNS1_14partition_implILS8_3ELb0ES6_jNS0_17counting_iteratorIjlEEPS9_SE_NS0_5tupleIJPjSE_EEENSF_IJSE_SE_EEES9_SG_JZNS1_25segmented_radix_sort_implINS0_14default_configELb0EPK6__halfPSL_PKlPlN2at6native12_GLOBAL__N_18offset_tEEE10hipError_tPvRmT1_PNSt15iterator_traitsISZ_E10value_typeET2_T3_PNS10_IS15_E10value_typeET4_jRbjT5_S1B_jjP12ihipStream_tbEUljE_EEESW_SX_SY_S15_S19_S1B_T6_T7_T9_mT8_S1D_bDpT10_ENKUlT_T0_E_clISt17integral_constantIbLb0EES1Q_EEDaS1L_S1M_EUlS1L_E_NS1_11comp_targetILNS1_3genE4ELNS1_11target_archE910ELNS1_3gpuE8ELNS1_3repE0EEENS1_30default_config_static_selectorELNS0_4arch9wavefront6targetE0EEEvSZ_,comdat
	.globl	_ZN7rocprim17ROCPRIM_400000_NS6detail17trampoline_kernelINS0_13select_configILj256ELj13ELNS0_17block_load_methodE3ELS4_3ELS4_3ELNS0_20block_scan_algorithmE0ELj4294967295EEENS1_25partition_config_selectorILNS1_17partition_subalgoE3EjNS0_10empty_typeEbEEZZNS1_14partition_implILS8_3ELb0ES6_jNS0_17counting_iteratorIjlEEPS9_SE_NS0_5tupleIJPjSE_EEENSF_IJSE_SE_EEES9_SG_JZNS1_25segmented_radix_sort_implINS0_14default_configELb0EPK6__halfPSL_PKlPlN2at6native12_GLOBAL__N_18offset_tEEE10hipError_tPvRmT1_PNSt15iterator_traitsISZ_E10value_typeET2_T3_PNS10_IS15_E10value_typeET4_jRbjT5_S1B_jjP12ihipStream_tbEUljE_EEESW_SX_SY_S15_S19_S1B_T6_T7_T9_mT8_S1D_bDpT10_ENKUlT_T0_E_clISt17integral_constantIbLb0EES1Q_EEDaS1L_S1M_EUlS1L_E_NS1_11comp_targetILNS1_3genE4ELNS1_11target_archE910ELNS1_3gpuE8ELNS1_3repE0EEENS1_30default_config_static_selectorELNS0_4arch9wavefront6targetE0EEEvSZ_ ; -- Begin function _ZN7rocprim17ROCPRIM_400000_NS6detail17trampoline_kernelINS0_13select_configILj256ELj13ELNS0_17block_load_methodE3ELS4_3ELS4_3ELNS0_20block_scan_algorithmE0ELj4294967295EEENS1_25partition_config_selectorILNS1_17partition_subalgoE3EjNS0_10empty_typeEbEEZZNS1_14partition_implILS8_3ELb0ES6_jNS0_17counting_iteratorIjlEEPS9_SE_NS0_5tupleIJPjSE_EEENSF_IJSE_SE_EEES9_SG_JZNS1_25segmented_radix_sort_implINS0_14default_configELb0EPK6__halfPSL_PKlPlN2at6native12_GLOBAL__N_18offset_tEEE10hipError_tPvRmT1_PNSt15iterator_traitsISZ_E10value_typeET2_T3_PNS10_IS15_E10value_typeET4_jRbjT5_S1B_jjP12ihipStream_tbEUljE_EEESW_SX_SY_S15_S19_S1B_T6_T7_T9_mT8_S1D_bDpT10_ENKUlT_T0_E_clISt17integral_constantIbLb0EES1Q_EEDaS1L_S1M_EUlS1L_E_NS1_11comp_targetILNS1_3genE4ELNS1_11target_archE910ELNS1_3gpuE8ELNS1_3repE0EEENS1_30default_config_static_selectorELNS0_4arch9wavefront6targetE0EEEvSZ_
	.p2align	8
	.type	_ZN7rocprim17ROCPRIM_400000_NS6detail17trampoline_kernelINS0_13select_configILj256ELj13ELNS0_17block_load_methodE3ELS4_3ELS4_3ELNS0_20block_scan_algorithmE0ELj4294967295EEENS1_25partition_config_selectorILNS1_17partition_subalgoE3EjNS0_10empty_typeEbEEZZNS1_14partition_implILS8_3ELb0ES6_jNS0_17counting_iteratorIjlEEPS9_SE_NS0_5tupleIJPjSE_EEENSF_IJSE_SE_EEES9_SG_JZNS1_25segmented_radix_sort_implINS0_14default_configELb0EPK6__halfPSL_PKlPlN2at6native12_GLOBAL__N_18offset_tEEE10hipError_tPvRmT1_PNSt15iterator_traitsISZ_E10value_typeET2_T3_PNS10_IS15_E10value_typeET4_jRbjT5_S1B_jjP12ihipStream_tbEUljE_EEESW_SX_SY_S15_S19_S1B_T6_T7_T9_mT8_S1D_bDpT10_ENKUlT_T0_E_clISt17integral_constantIbLb0EES1Q_EEDaS1L_S1M_EUlS1L_E_NS1_11comp_targetILNS1_3genE4ELNS1_11target_archE910ELNS1_3gpuE8ELNS1_3repE0EEENS1_30default_config_static_selectorELNS0_4arch9wavefront6targetE0EEEvSZ_,@function
_ZN7rocprim17ROCPRIM_400000_NS6detail17trampoline_kernelINS0_13select_configILj256ELj13ELNS0_17block_load_methodE3ELS4_3ELS4_3ELNS0_20block_scan_algorithmE0ELj4294967295EEENS1_25partition_config_selectorILNS1_17partition_subalgoE3EjNS0_10empty_typeEbEEZZNS1_14partition_implILS8_3ELb0ES6_jNS0_17counting_iteratorIjlEEPS9_SE_NS0_5tupleIJPjSE_EEENSF_IJSE_SE_EEES9_SG_JZNS1_25segmented_radix_sort_implINS0_14default_configELb0EPK6__halfPSL_PKlPlN2at6native12_GLOBAL__N_18offset_tEEE10hipError_tPvRmT1_PNSt15iterator_traitsISZ_E10value_typeET2_T3_PNS10_IS15_E10value_typeET4_jRbjT5_S1B_jjP12ihipStream_tbEUljE_EEESW_SX_SY_S15_S19_S1B_T6_T7_T9_mT8_S1D_bDpT10_ENKUlT_T0_E_clISt17integral_constantIbLb0EES1Q_EEDaS1L_S1M_EUlS1L_E_NS1_11comp_targetILNS1_3genE4ELNS1_11target_archE910ELNS1_3gpuE8ELNS1_3repE0EEENS1_30default_config_static_selectorELNS0_4arch9wavefront6targetE0EEEvSZ_: ; @_ZN7rocprim17ROCPRIM_400000_NS6detail17trampoline_kernelINS0_13select_configILj256ELj13ELNS0_17block_load_methodE3ELS4_3ELS4_3ELNS0_20block_scan_algorithmE0ELj4294967295EEENS1_25partition_config_selectorILNS1_17partition_subalgoE3EjNS0_10empty_typeEbEEZZNS1_14partition_implILS8_3ELb0ES6_jNS0_17counting_iteratorIjlEEPS9_SE_NS0_5tupleIJPjSE_EEENSF_IJSE_SE_EEES9_SG_JZNS1_25segmented_radix_sort_implINS0_14default_configELb0EPK6__halfPSL_PKlPlN2at6native12_GLOBAL__N_18offset_tEEE10hipError_tPvRmT1_PNSt15iterator_traitsISZ_E10value_typeET2_T3_PNS10_IS15_E10value_typeET4_jRbjT5_S1B_jjP12ihipStream_tbEUljE_EEESW_SX_SY_S15_S19_S1B_T6_T7_T9_mT8_S1D_bDpT10_ENKUlT_T0_E_clISt17integral_constantIbLb0EES1Q_EEDaS1L_S1M_EUlS1L_E_NS1_11comp_targetILNS1_3genE4ELNS1_11target_archE910ELNS1_3gpuE8ELNS1_3repE0EEENS1_30default_config_static_selectorELNS0_4arch9wavefront6targetE0EEEvSZ_
; %bb.0:
	.section	.rodata,"a",@progbits
	.p2align	6, 0x0
	.amdhsa_kernel _ZN7rocprim17ROCPRIM_400000_NS6detail17trampoline_kernelINS0_13select_configILj256ELj13ELNS0_17block_load_methodE3ELS4_3ELS4_3ELNS0_20block_scan_algorithmE0ELj4294967295EEENS1_25partition_config_selectorILNS1_17partition_subalgoE3EjNS0_10empty_typeEbEEZZNS1_14partition_implILS8_3ELb0ES6_jNS0_17counting_iteratorIjlEEPS9_SE_NS0_5tupleIJPjSE_EEENSF_IJSE_SE_EEES9_SG_JZNS1_25segmented_radix_sort_implINS0_14default_configELb0EPK6__halfPSL_PKlPlN2at6native12_GLOBAL__N_18offset_tEEE10hipError_tPvRmT1_PNSt15iterator_traitsISZ_E10value_typeET2_T3_PNS10_IS15_E10value_typeET4_jRbjT5_S1B_jjP12ihipStream_tbEUljE_EEESW_SX_SY_S15_S19_S1B_T6_T7_T9_mT8_S1D_bDpT10_ENKUlT_T0_E_clISt17integral_constantIbLb0EES1Q_EEDaS1L_S1M_EUlS1L_E_NS1_11comp_targetILNS1_3genE4ELNS1_11target_archE910ELNS1_3gpuE8ELNS1_3repE0EEENS1_30default_config_static_selectorELNS0_4arch9wavefront6targetE0EEEvSZ_
		.amdhsa_group_segment_fixed_size 0
		.amdhsa_private_segment_fixed_size 0
		.amdhsa_kernarg_size 144
		.amdhsa_user_sgpr_count 6
		.amdhsa_user_sgpr_private_segment_buffer 1
		.amdhsa_user_sgpr_dispatch_ptr 0
		.amdhsa_user_sgpr_queue_ptr 0
		.amdhsa_user_sgpr_kernarg_segment_ptr 1
		.amdhsa_user_sgpr_dispatch_id 0
		.amdhsa_user_sgpr_flat_scratch_init 0
		.amdhsa_user_sgpr_private_segment_size 0
		.amdhsa_wavefront_size32 1
		.amdhsa_uses_dynamic_stack 0
		.amdhsa_system_sgpr_private_segment_wavefront_offset 0
		.amdhsa_system_sgpr_workgroup_id_x 1
		.amdhsa_system_sgpr_workgroup_id_y 0
		.amdhsa_system_sgpr_workgroup_id_z 0
		.amdhsa_system_sgpr_workgroup_info 0
		.amdhsa_system_vgpr_workitem_id 0
		.amdhsa_next_free_vgpr 1
		.amdhsa_next_free_sgpr 1
		.amdhsa_reserve_vcc 0
		.amdhsa_reserve_flat_scratch 0
		.amdhsa_float_round_mode_32 0
		.amdhsa_float_round_mode_16_64 0
		.amdhsa_float_denorm_mode_32 3
		.amdhsa_float_denorm_mode_16_64 3
		.amdhsa_dx10_clamp 1
		.amdhsa_ieee_mode 1
		.amdhsa_fp16_overflow 0
		.amdhsa_workgroup_processor_mode 1
		.amdhsa_memory_ordered 1
		.amdhsa_forward_progress 1
		.amdhsa_shared_vgpr_count 0
		.amdhsa_exception_fp_ieee_invalid_op 0
		.amdhsa_exception_fp_denorm_src 0
		.amdhsa_exception_fp_ieee_div_zero 0
		.amdhsa_exception_fp_ieee_overflow 0
		.amdhsa_exception_fp_ieee_underflow 0
		.amdhsa_exception_fp_ieee_inexact 0
		.amdhsa_exception_int_div_zero 0
	.end_amdhsa_kernel
	.section	.text._ZN7rocprim17ROCPRIM_400000_NS6detail17trampoline_kernelINS0_13select_configILj256ELj13ELNS0_17block_load_methodE3ELS4_3ELS4_3ELNS0_20block_scan_algorithmE0ELj4294967295EEENS1_25partition_config_selectorILNS1_17partition_subalgoE3EjNS0_10empty_typeEbEEZZNS1_14partition_implILS8_3ELb0ES6_jNS0_17counting_iteratorIjlEEPS9_SE_NS0_5tupleIJPjSE_EEENSF_IJSE_SE_EEES9_SG_JZNS1_25segmented_radix_sort_implINS0_14default_configELb0EPK6__halfPSL_PKlPlN2at6native12_GLOBAL__N_18offset_tEEE10hipError_tPvRmT1_PNSt15iterator_traitsISZ_E10value_typeET2_T3_PNS10_IS15_E10value_typeET4_jRbjT5_S1B_jjP12ihipStream_tbEUljE_EEESW_SX_SY_S15_S19_S1B_T6_T7_T9_mT8_S1D_bDpT10_ENKUlT_T0_E_clISt17integral_constantIbLb0EES1Q_EEDaS1L_S1M_EUlS1L_E_NS1_11comp_targetILNS1_3genE4ELNS1_11target_archE910ELNS1_3gpuE8ELNS1_3repE0EEENS1_30default_config_static_selectorELNS0_4arch9wavefront6targetE0EEEvSZ_,"axG",@progbits,_ZN7rocprim17ROCPRIM_400000_NS6detail17trampoline_kernelINS0_13select_configILj256ELj13ELNS0_17block_load_methodE3ELS4_3ELS4_3ELNS0_20block_scan_algorithmE0ELj4294967295EEENS1_25partition_config_selectorILNS1_17partition_subalgoE3EjNS0_10empty_typeEbEEZZNS1_14partition_implILS8_3ELb0ES6_jNS0_17counting_iteratorIjlEEPS9_SE_NS0_5tupleIJPjSE_EEENSF_IJSE_SE_EEES9_SG_JZNS1_25segmented_radix_sort_implINS0_14default_configELb0EPK6__halfPSL_PKlPlN2at6native12_GLOBAL__N_18offset_tEEE10hipError_tPvRmT1_PNSt15iterator_traitsISZ_E10value_typeET2_T3_PNS10_IS15_E10value_typeET4_jRbjT5_S1B_jjP12ihipStream_tbEUljE_EEESW_SX_SY_S15_S19_S1B_T6_T7_T9_mT8_S1D_bDpT10_ENKUlT_T0_E_clISt17integral_constantIbLb0EES1Q_EEDaS1L_S1M_EUlS1L_E_NS1_11comp_targetILNS1_3genE4ELNS1_11target_archE910ELNS1_3gpuE8ELNS1_3repE0EEENS1_30default_config_static_selectorELNS0_4arch9wavefront6targetE0EEEvSZ_,comdat
.Lfunc_end1802:
	.size	_ZN7rocprim17ROCPRIM_400000_NS6detail17trampoline_kernelINS0_13select_configILj256ELj13ELNS0_17block_load_methodE3ELS4_3ELS4_3ELNS0_20block_scan_algorithmE0ELj4294967295EEENS1_25partition_config_selectorILNS1_17partition_subalgoE3EjNS0_10empty_typeEbEEZZNS1_14partition_implILS8_3ELb0ES6_jNS0_17counting_iteratorIjlEEPS9_SE_NS0_5tupleIJPjSE_EEENSF_IJSE_SE_EEES9_SG_JZNS1_25segmented_radix_sort_implINS0_14default_configELb0EPK6__halfPSL_PKlPlN2at6native12_GLOBAL__N_18offset_tEEE10hipError_tPvRmT1_PNSt15iterator_traitsISZ_E10value_typeET2_T3_PNS10_IS15_E10value_typeET4_jRbjT5_S1B_jjP12ihipStream_tbEUljE_EEESW_SX_SY_S15_S19_S1B_T6_T7_T9_mT8_S1D_bDpT10_ENKUlT_T0_E_clISt17integral_constantIbLb0EES1Q_EEDaS1L_S1M_EUlS1L_E_NS1_11comp_targetILNS1_3genE4ELNS1_11target_archE910ELNS1_3gpuE8ELNS1_3repE0EEENS1_30default_config_static_selectorELNS0_4arch9wavefront6targetE0EEEvSZ_, .Lfunc_end1802-_ZN7rocprim17ROCPRIM_400000_NS6detail17trampoline_kernelINS0_13select_configILj256ELj13ELNS0_17block_load_methodE3ELS4_3ELS4_3ELNS0_20block_scan_algorithmE0ELj4294967295EEENS1_25partition_config_selectorILNS1_17partition_subalgoE3EjNS0_10empty_typeEbEEZZNS1_14partition_implILS8_3ELb0ES6_jNS0_17counting_iteratorIjlEEPS9_SE_NS0_5tupleIJPjSE_EEENSF_IJSE_SE_EEES9_SG_JZNS1_25segmented_radix_sort_implINS0_14default_configELb0EPK6__halfPSL_PKlPlN2at6native12_GLOBAL__N_18offset_tEEE10hipError_tPvRmT1_PNSt15iterator_traitsISZ_E10value_typeET2_T3_PNS10_IS15_E10value_typeET4_jRbjT5_S1B_jjP12ihipStream_tbEUljE_EEESW_SX_SY_S15_S19_S1B_T6_T7_T9_mT8_S1D_bDpT10_ENKUlT_T0_E_clISt17integral_constantIbLb0EES1Q_EEDaS1L_S1M_EUlS1L_E_NS1_11comp_targetILNS1_3genE4ELNS1_11target_archE910ELNS1_3gpuE8ELNS1_3repE0EEENS1_30default_config_static_selectorELNS0_4arch9wavefront6targetE0EEEvSZ_
                                        ; -- End function
	.set _ZN7rocprim17ROCPRIM_400000_NS6detail17trampoline_kernelINS0_13select_configILj256ELj13ELNS0_17block_load_methodE3ELS4_3ELS4_3ELNS0_20block_scan_algorithmE0ELj4294967295EEENS1_25partition_config_selectorILNS1_17partition_subalgoE3EjNS0_10empty_typeEbEEZZNS1_14partition_implILS8_3ELb0ES6_jNS0_17counting_iteratorIjlEEPS9_SE_NS0_5tupleIJPjSE_EEENSF_IJSE_SE_EEES9_SG_JZNS1_25segmented_radix_sort_implINS0_14default_configELb0EPK6__halfPSL_PKlPlN2at6native12_GLOBAL__N_18offset_tEEE10hipError_tPvRmT1_PNSt15iterator_traitsISZ_E10value_typeET2_T3_PNS10_IS15_E10value_typeET4_jRbjT5_S1B_jjP12ihipStream_tbEUljE_EEESW_SX_SY_S15_S19_S1B_T6_T7_T9_mT8_S1D_bDpT10_ENKUlT_T0_E_clISt17integral_constantIbLb0EES1Q_EEDaS1L_S1M_EUlS1L_E_NS1_11comp_targetILNS1_3genE4ELNS1_11target_archE910ELNS1_3gpuE8ELNS1_3repE0EEENS1_30default_config_static_selectorELNS0_4arch9wavefront6targetE0EEEvSZ_.num_vgpr, 0
	.set _ZN7rocprim17ROCPRIM_400000_NS6detail17trampoline_kernelINS0_13select_configILj256ELj13ELNS0_17block_load_methodE3ELS4_3ELS4_3ELNS0_20block_scan_algorithmE0ELj4294967295EEENS1_25partition_config_selectorILNS1_17partition_subalgoE3EjNS0_10empty_typeEbEEZZNS1_14partition_implILS8_3ELb0ES6_jNS0_17counting_iteratorIjlEEPS9_SE_NS0_5tupleIJPjSE_EEENSF_IJSE_SE_EEES9_SG_JZNS1_25segmented_radix_sort_implINS0_14default_configELb0EPK6__halfPSL_PKlPlN2at6native12_GLOBAL__N_18offset_tEEE10hipError_tPvRmT1_PNSt15iterator_traitsISZ_E10value_typeET2_T3_PNS10_IS15_E10value_typeET4_jRbjT5_S1B_jjP12ihipStream_tbEUljE_EEESW_SX_SY_S15_S19_S1B_T6_T7_T9_mT8_S1D_bDpT10_ENKUlT_T0_E_clISt17integral_constantIbLb0EES1Q_EEDaS1L_S1M_EUlS1L_E_NS1_11comp_targetILNS1_3genE4ELNS1_11target_archE910ELNS1_3gpuE8ELNS1_3repE0EEENS1_30default_config_static_selectorELNS0_4arch9wavefront6targetE0EEEvSZ_.num_agpr, 0
	.set _ZN7rocprim17ROCPRIM_400000_NS6detail17trampoline_kernelINS0_13select_configILj256ELj13ELNS0_17block_load_methodE3ELS4_3ELS4_3ELNS0_20block_scan_algorithmE0ELj4294967295EEENS1_25partition_config_selectorILNS1_17partition_subalgoE3EjNS0_10empty_typeEbEEZZNS1_14partition_implILS8_3ELb0ES6_jNS0_17counting_iteratorIjlEEPS9_SE_NS0_5tupleIJPjSE_EEENSF_IJSE_SE_EEES9_SG_JZNS1_25segmented_radix_sort_implINS0_14default_configELb0EPK6__halfPSL_PKlPlN2at6native12_GLOBAL__N_18offset_tEEE10hipError_tPvRmT1_PNSt15iterator_traitsISZ_E10value_typeET2_T3_PNS10_IS15_E10value_typeET4_jRbjT5_S1B_jjP12ihipStream_tbEUljE_EEESW_SX_SY_S15_S19_S1B_T6_T7_T9_mT8_S1D_bDpT10_ENKUlT_T0_E_clISt17integral_constantIbLb0EES1Q_EEDaS1L_S1M_EUlS1L_E_NS1_11comp_targetILNS1_3genE4ELNS1_11target_archE910ELNS1_3gpuE8ELNS1_3repE0EEENS1_30default_config_static_selectorELNS0_4arch9wavefront6targetE0EEEvSZ_.numbered_sgpr, 0
	.set _ZN7rocprim17ROCPRIM_400000_NS6detail17trampoline_kernelINS0_13select_configILj256ELj13ELNS0_17block_load_methodE3ELS4_3ELS4_3ELNS0_20block_scan_algorithmE0ELj4294967295EEENS1_25partition_config_selectorILNS1_17partition_subalgoE3EjNS0_10empty_typeEbEEZZNS1_14partition_implILS8_3ELb0ES6_jNS0_17counting_iteratorIjlEEPS9_SE_NS0_5tupleIJPjSE_EEENSF_IJSE_SE_EEES9_SG_JZNS1_25segmented_radix_sort_implINS0_14default_configELb0EPK6__halfPSL_PKlPlN2at6native12_GLOBAL__N_18offset_tEEE10hipError_tPvRmT1_PNSt15iterator_traitsISZ_E10value_typeET2_T3_PNS10_IS15_E10value_typeET4_jRbjT5_S1B_jjP12ihipStream_tbEUljE_EEESW_SX_SY_S15_S19_S1B_T6_T7_T9_mT8_S1D_bDpT10_ENKUlT_T0_E_clISt17integral_constantIbLb0EES1Q_EEDaS1L_S1M_EUlS1L_E_NS1_11comp_targetILNS1_3genE4ELNS1_11target_archE910ELNS1_3gpuE8ELNS1_3repE0EEENS1_30default_config_static_selectorELNS0_4arch9wavefront6targetE0EEEvSZ_.num_named_barrier, 0
	.set _ZN7rocprim17ROCPRIM_400000_NS6detail17trampoline_kernelINS0_13select_configILj256ELj13ELNS0_17block_load_methodE3ELS4_3ELS4_3ELNS0_20block_scan_algorithmE0ELj4294967295EEENS1_25partition_config_selectorILNS1_17partition_subalgoE3EjNS0_10empty_typeEbEEZZNS1_14partition_implILS8_3ELb0ES6_jNS0_17counting_iteratorIjlEEPS9_SE_NS0_5tupleIJPjSE_EEENSF_IJSE_SE_EEES9_SG_JZNS1_25segmented_radix_sort_implINS0_14default_configELb0EPK6__halfPSL_PKlPlN2at6native12_GLOBAL__N_18offset_tEEE10hipError_tPvRmT1_PNSt15iterator_traitsISZ_E10value_typeET2_T3_PNS10_IS15_E10value_typeET4_jRbjT5_S1B_jjP12ihipStream_tbEUljE_EEESW_SX_SY_S15_S19_S1B_T6_T7_T9_mT8_S1D_bDpT10_ENKUlT_T0_E_clISt17integral_constantIbLb0EES1Q_EEDaS1L_S1M_EUlS1L_E_NS1_11comp_targetILNS1_3genE4ELNS1_11target_archE910ELNS1_3gpuE8ELNS1_3repE0EEENS1_30default_config_static_selectorELNS0_4arch9wavefront6targetE0EEEvSZ_.private_seg_size, 0
	.set _ZN7rocprim17ROCPRIM_400000_NS6detail17trampoline_kernelINS0_13select_configILj256ELj13ELNS0_17block_load_methodE3ELS4_3ELS4_3ELNS0_20block_scan_algorithmE0ELj4294967295EEENS1_25partition_config_selectorILNS1_17partition_subalgoE3EjNS0_10empty_typeEbEEZZNS1_14partition_implILS8_3ELb0ES6_jNS0_17counting_iteratorIjlEEPS9_SE_NS0_5tupleIJPjSE_EEENSF_IJSE_SE_EEES9_SG_JZNS1_25segmented_radix_sort_implINS0_14default_configELb0EPK6__halfPSL_PKlPlN2at6native12_GLOBAL__N_18offset_tEEE10hipError_tPvRmT1_PNSt15iterator_traitsISZ_E10value_typeET2_T3_PNS10_IS15_E10value_typeET4_jRbjT5_S1B_jjP12ihipStream_tbEUljE_EEESW_SX_SY_S15_S19_S1B_T6_T7_T9_mT8_S1D_bDpT10_ENKUlT_T0_E_clISt17integral_constantIbLb0EES1Q_EEDaS1L_S1M_EUlS1L_E_NS1_11comp_targetILNS1_3genE4ELNS1_11target_archE910ELNS1_3gpuE8ELNS1_3repE0EEENS1_30default_config_static_selectorELNS0_4arch9wavefront6targetE0EEEvSZ_.uses_vcc, 0
	.set _ZN7rocprim17ROCPRIM_400000_NS6detail17trampoline_kernelINS0_13select_configILj256ELj13ELNS0_17block_load_methodE3ELS4_3ELS4_3ELNS0_20block_scan_algorithmE0ELj4294967295EEENS1_25partition_config_selectorILNS1_17partition_subalgoE3EjNS0_10empty_typeEbEEZZNS1_14partition_implILS8_3ELb0ES6_jNS0_17counting_iteratorIjlEEPS9_SE_NS0_5tupleIJPjSE_EEENSF_IJSE_SE_EEES9_SG_JZNS1_25segmented_radix_sort_implINS0_14default_configELb0EPK6__halfPSL_PKlPlN2at6native12_GLOBAL__N_18offset_tEEE10hipError_tPvRmT1_PNSt15iterator_traitsISZ_E10value_typeET2_T3_PNS10_IS15_E10value_typeET4_jRbjT5_S1B_jjP12ihipStream_tbEUljE_EEESW_SX_SY_S15_S19_S1B_T6_T7_T9_mT8_S1D_bDpT10_ENKUlT_T0_E_clISt17integral_constantIbLb0EES1Q_EEDaS1L_S1M_EUlS1L_E_NS1_11comp_targetILNS1_3genE4ELNS1_11target_archE910ELNS1_3gpuE8ELNS1_3repE0EEENS1_30default_config_static_selectorELNS0_4arch9wavefront6targetE0EEEvSZ_.uses_flat_scratch, 0
	.set _ZN7rocprim17ROCPRIM_400000_NS6detail17trampoline_kernelINS0_13select_configILj256ELj13ELNS0_17block_load_methodE3ELS4_3ELS4_3ELNS0_20block_scan_algorithmE0ELj4294967295EEENS1_25partition_config_selectorILNS1_17partition_subalgoE3EjNS0_10empty_typeEbEEZZNS1_14partition_implILS8_3ELb0ES6_jNS0_17counting_iteratorIjlEEPS9_SE_NS0_5tupleIJPjSE_EEENSF_IJSE_SE_EEES9_SG_JZNS1_25segmented_radix_sort_implINS0_14default_configELb0EPK6__halfPSL_PKlPlN2at6native12_GLOBAL__N_18offset_tEEE10hipError_tPvRmT1_PNSt15iterator_traitsISZ_E10value_typeET2_T3_PNS10_IS15_E10value_typeET4_jRbjT5_S1B_jjP12ihipStream_tbEUljE_EEESW_SX_SY_S15_S19_S1B_T6_T7_T9_mT8_S1D_bDpT10_ENKUlT_T0_E_clISt17integral_constantIbLb0EES1Q_EEDaS1L_S1M_EUlS1L_E_NS1_11comp_targetILNS1_3genE4ELNS1_11target_archE910ELNS1_3gpuE8ELNS1_3repE0EEENS1_30default_config_static_selectorELNS0_4arch9wavefront6targetE0EEEvSZ_.has_dyn_sized_stack, 0
	.set _ZN7rocprim17ROCPRIM_400000_NS6detail17trampoline_kernelINS0_13select_configILj256ELj13ELNS0_17block_load_methodE3ELS4_3ELS4_3ELNS0_20block_scan_algorithmE0ELj4294967295EEENS1_25partition_config_selectorILNS1_17partition_subalgoE3EjNS0_10empty_typeEbEEZZNS1_14partition_implILS8_3ELb0ES6_jNS0_17counting_iteratorIjlEEPS9_SE_NS0_5tupleIJPjSE_EEENSF_IJSE_SE_EEES9_SG_JZNS1_25segmented_radix_sort_implINS0_14default_configELb0EPK6__halfPSL_PKlPlN2at6native12_GLOBAL__N_18offset_tEEE10hipError_tPvRmT1_PNSt15iterator_traitsISZ_E10value_typeET2_T3_PNS10_IS15_E10value_typeET4_jRbjT5_S1B_jjP12ihipStream_tbEUljE_EEESW_SX_SY_S15_S19_S1B_T6_T7_T9_mT8_S1D_bDpT10_ENKUlT_T0_E_clISt17integral_constantIbLb0EES1Q_EEDaS1L_S1M_EUlS1L_E_NS1_11comp_targetILNS1_3genE4ELNS1_11target_archE910ELNS1_3gpuE8ELNS1_3repE0EEENS1_30default_config_static_selectorELNS0_4arch9wavefront6targetE0EEEvSZ_.has_recursion, 0
	.set _ZN7rocprim17ROCPRIM_400000_NS6detail17trampoline_kernelINS0_13select_configILj256ELj13ELNS0_17block_load_methodE3ELS4_3ELS4_3ELNS0_20block_scan_algorithmE0ELj4294967295EEENS1_25partition_config_selectorILNS1_17partition_subalgoE3EjNS0_10empty_typeEbEEZZNS1_14partition_implILS8_3ELb0ES6_jNS0_17counting_iteratorIjlEEPS9_SE_NS0_5tupleIJPjSE_EEENSF_IJSE_SE_EEES9_SG_JZNS1_25segmented_radix_sort_implINS0_14default_configELb0EPK6__halfPSL_PKlPlN2at6native12_GLOBAL__N_18offset_tEEE10hipError_tPvRmT1_PNSt15iterator_traitsISZ_E10value_typeET2_T3_PNS10_IS15_E10value_typeET4_jRbjT5_S1B_jjP12ihipStream_tbEUljE_EEESW_SX_SY_S15_S19_S1B_T6_T7_T9_mT8_S1D_bDpT10_ENKUlT_T0_E_clISt17integral_constantIbLb0EES1Q_EEDaS1L_S1M_EUlS1L_E_NS1_11comp_targetILNS1_3genE4ELNS1_11target_archE910ELNS1_3gpuE8ELNS1_3repE0EEENS1_30default_config_static_selectorELNS0_4arch9wavefront6targetE0EEEvSZ_.has_indirect_call, 0
	.section	.AMDGPU.csdata,"",@progbits
; Kernel info:
; codeLenInByte = 0
; TotalNumSgprs: 0
; NumVgprs: 0
; ScratchSize: 0
; MemoryBound: 0
; FloatMode: 240
; IeeeMode: 1
; LDSByteSize: 0 bytes/workgroup (compile time only)
; SGPRBlocks: 0
; VGPRBlocks: 0
; NumSGPRsForWavesPerEU: 1
; NumVGPRsForWavesPerEU: 1
; Occupancy: 16
; WaveLimiterHint : 0
; COMPUTE_PGM_RSRC2:SCRATCH_EN: 0
; COMPUTE_PGM_RSRC2:USER_SGPR: 6
; COMPUTE_PGM_RSRC2:TRAP_HANDLER: 0
; COMPUTE_PGM_RSRC2:TGID_X_EN: 1
; COMPUTE_PGM_RSRC2:TGID_Y_EN: 0
; COMPUTE_PGM_RSRC2:TGID_Z_EN: 0
; COMPUTE_PGM_RSRC2:TIDIG_COMP_CNT: 0
	.section	.text._ZN7rocprim17ROCPRIM_400000_NS6detail17trampoline_kernelINS0_13select_configILj256ELj13ELNS0_17block_load_methodE3ELS4_3ELS4_3ELNS0_20block_scan_algorithmE0ELj4294967295EEENS1_25partition_config_selectorILNS1_17partition_subalgoE3EjNS0_10empty_typeEbEEZZNS1_14partition_implILS8_3ELb0ES6_jNS0_17counting_iteratorIjlEEPS9_SE_NS0_5tupleIJPjSE_EEENSF_IJSE_SE_EEES9_SG_JZNS1_25segmented_radix_sort_implINS0_14default_configELb0EPK6__halfPSL_PKlPlN2at6native12_GLOBAL__N_18offset_tEEE10hipError_tPvRmT1_PNSt15iterator_traitsISZ_E10value_typeET2_T3_PNS10_IS15_E10value_typeET4_jRbjT5_S1B_jjP12ihipStream_tbEUljE_EEESW_SX_SY_S15_S19_S1B_T6_T7_T9_mT8_S1D_bDpT10_ENKUlT_T0_E_clISt17integral_constantIbLb0EES1Q_EEDaS1L_S1M_EUlS1L_E_NS1_11comp_targetILNS1_3genE3ELNS1_11target_archE908ELNS1_3gpuE7ELNS1_3repE0EEENS1_30default_config_static_selectorELNS0_4arch9wavefront6targetE0EEEvSZ_,"axG",@progbits,_ZN7rocprim17ROCPRIM_400000_NS6detail17trampoline_kernelINS0_13select_configILj256ELj13ELNS0_17block_load_methodE3ELS4_3ELS4_3ELNS0_20block_scan_algorithmE0ELj4294967295EEENS1_25partition_config_selectorILNS1_17partition_subalgoE3EjNS0_10empty_typeEbEEZZNS1_14partition_implILS8_3ELb0ES6_jNS0_17counting_iteratorIjlEEPS9_SE_NS0_5tupleIJPjSE_EEENSF_IJSE_SE_EEES9_SG_JZNS1_25segmented_radix_sort_implINS0_14default_configELb0EPK6__halfPSL_PKlPlN2at6native12_GLOBAL__N_18offset_tEEE10hipError_tPvRmT1_PNSt15iterator_traitsISZ_E10value_typeET2_T3_PNS10_IS15_E10value_typeET4_jRbjT5_S1B_jjP12ihipStream_tbEUljE_EEESW_SX_SY_S15_S19_S1B_T6_T7_T9_mT8_S1D_bDpT10_ENKUlT_T0_E_clISt17integral_constantIbLb0EES1Q_EEDaS1L_S1M_EUlS1L_E_NS1_11comp_targetILNS1_3genE3ELNS1_11target_archE908ELNS1_3gpuE7ELNS1_3repE0EEENS1_30default_config_static_selectorELNS0_4arch9wavefront6targetE0EEEvSZ_,comdat
	.globl	_ZN7rocprim17ROCPRIM_400000_NS6detail17trampoline_kernelINS0_13select_configILj256ELj13ELNS0_17block_load_methodE3ELS4_3ELS4_3ELNS0_20block_scan_algorithmE0ELj4294967295EEENS1_25partition_config_selectorILNS1_17partition_subalgoE3EjNS0_10empty_typeEbEEZZNS1_14partition_implILS8_3ELb0ES6_jNS0_17counting_iteratorIjlEEPS9_SE_NS0_5tupleIJPjSE_EEENSF_IJSE_SE_EEES9_SG_JZNS1_25segmented_radix_sort_implINS0_14default_configELb0EPK6__halfPSL_PKlPlN2at6native12_GLOBAL__N_18offset_tEEE10hipError_tPvRmT1_PNSt15iterator_traitsISZ_E10value_typeET2_T3_PNS10_IS15_E10value_typeET4_jRbjT5_S1B_jjP12ihipStream_tbEUljE_EEESW_SX_SY_S15_S19_S1B_T6_T7_T9_mT8_S1D_bDpT10_ENKUlT_T0_E_clISt17integral_constantIbLb0EES1Q_EEDaS1L_S1M_EUlS1L_E_NS1_11comp_targetILNS1_3genE3ELNS1_11target_archE908ELNS1_3gpuE7ELNS1_3repE0EEENS1_30default_config_static_selectorELNS0_4arch9wavefront6targetE0EEEvSZ_ ; -- Begin function _ZN7rocprim17ROCPRIM_400000_NS6detail17trampoline_kernelINS0_13select_configILj256ELj13ELNS0_17block_load_methodE3ELS4_3ELS4_3ELNS0_20block_scan_algorithmE0ELj4294967295EEENS1_25partition_config_selectorILNS1_17partition_subalgoE3EjNS0_10empty_typeEbEEZZNS1_14partition_implILS8_3ELb0ES6_jNS0_17counting_iteratorIjlEEPS9_SE_NS0_5tupleIJPjSE_EEENSF_IJSE_SE_EEES9_SG_JZNS1_25segmented_radix_sort_implINS0_14default_configELb0EPK6__halfPSL_PKlPlN2at6native12_GLOBAL__N_18offset_tEEE10hipError_tPvRmT1_PNSt15iterator_traitsISZ_E10value_typeET2_T3_PNS10_IS15_E10value_typeET4_jRbjT5_S1B_jjP12ihipStream_tbEUljE_EEESW_SX_SY_S15_S19_S1B_T6_T7_T9_mT8_S1D_bDpT10_ENKUlT_T0_E_clISt17integral_constantIbLb0EES1Q_EEDaS1L_S1M_EUlS1L_E_NS1_11comp_targetILNS1_3genE3ELNS1_11target_archE908ELNS1_3gpuE7ELNS1_3repE0EEENS1_30default_config_static_selectorELNS0_4arch9wavefront6targetE0EEEvSZ_
	.p2align	8
	.type	_ZN7rocprim17ROCPRIM_400000_NS6detail17trampoline_kernelINS0_13select_configILj256ELj13ELNS0_17block_load_methodE3ELS4_3ELS4_3ELNS0_20block_scan_algorithmE0ELj4294967295EEENS1_25partition_config_selectorILNS1_17partition_subalgoE3EjNS0_10empty_typeEbEEZZNS1_14partition_implILS8_3ELb0ES6_jNS0_17counting_iteratorIjlEEPS9_SE_NS0_5tupleIJPjSE_EEENSF_IJSE_SE_EEES9_SG_JZNS1_25segmented_radix_sort_implINS0_14default_configELb0EPK6__halfPSL_PKlPlN2at6native12_GLOBAL__N_18offset_tEEE10hipError_tPvRmT1_PNSt15iterator_traitsISZ_E10value_typeET2_T3_PNS10_IS15_E10value_typeET4_jRbjT5_S1B_jjP12ihipStream_tbEUljE_EEESW_SX_SY_S15_S19_S1B_T6_T7_T9_mT8_S1D_bDpT10_ENKUlT_T0_E_clISt17integral_constantIbLb0EES1Q_EEDaS1L_S1M_EUlS1L_E_NS1_11comp_targetILNS1_3genE3ELNS1_11target_archE908ELNS1_3gpuE7ELNS1_3repE0EEENS1_30default_config_static_selectorELNS0_4arch9wavefront6targetE0EEEvSZ_,@function
_ZN7rocprim17ROCPRIM_400000_NS6detail17trampoline_kernelINS0_13select_configILj256ELj13ELNS0_17block_load_methodE3ELS4_3ELS4_3ELNS0_20block_scan_algorithmE0ELj4294967295EEENS1_25partition_config_selectorILNS1_17partition_subalgoE3EjNS0_10empty_typeEbEEZZNS1_14partition_implILS8_3ELb0ES6_jNS0_17counting_iteratorIjlEEPS9_SE_NS0_5tupleIJPjSE_EEENSF_IJSE_SE_EEES9_SG_JZNS1_25segmented_radix_sort_implINS0_14default_configELb0EPK6__halfPSL_PKlPlN2at6native12_GLOBAL__N_18offset_tEEE10hipError_tPvRmT1_PNSt15iterator_traitsISZ_E10value_typeET2_T3_PNS10_IS15_E10value_typeET4_jRbjT5_S1B_jjP12ihipStream_tbEUljE_EEESW_SX_SY_S15_S19_S1B_T6_T7_T9_mT8_S1D_bDpT10_ENKUlT_T0_E_clISt17integral_constantIbLb0EES1Q_EEDaS1L_S1M_EUlS1L_E_NS1_11comp_targetILNS1_3genE3ELNS1_11target_archE908ELNS1_3gpuE7ELNS1_3repE0EEENS1_30default_config_static_selectorELNS0_4arch9wavefront6targetE0EEEvSZ_: ; @_ZN7rocprim17ROCPRIM_400000_NS6detail17trampoline_kernelINS0_13select_configILj256ELj13ELNS0_17block_load_methodE3ELS4_3ELS4_3ELNS0_20block_scan_algorithmE0ELj4294967295EEENS1_25partition_config_selectorILNS1_17partition_subalgoE3EjNS0_10empty_typeEbEEZZNS1_14partition_implILS8_3ELb0ES6_jNS0_17counting_iteratorIjlEEPS9_SE_NS0_5tupleIJPjSE_EEENSF_IJSE_SE_EEES9_SG_JZNS1_25segmented_radix_sort_implINS0_14default_configELb0EPK6__halfPSL_PKlPlN2at6native12_GLOBAL__N_18offset_tEEE10hipError_tPvRmT1_PNSt15iterator_traitsISZ_E10value_typeET2_T3_PNS10_IS15_E10value_typeET4_jRbjT5_S1B_jjP12ihipStream_tbEUljE_EEESW_SX_SY_S15_S19_S1B_T6_T7_T9_mT8_S1D_bDpT10_ENKUlT_T0_E_clISt17integral_constantIbLb0EES1Q_EEDaS1L_S1M_EUlS1L_E_NS1_11comp_targetILNS1_3genE3ELNS1_11target_archE908ELNS1_3gpuE7ELNS1_3repE0EEENS1_30default_config_static_selectorELNS0_4arch9wavefront6targetE0EEEvSZ_
; %bb.0:
	.section	.rodata,"a",@progbits
	.p2align	6, 0x0
	.amdhsa_kernel _ZN7rocprim17ROCPRIM_400000_NS6detail17trampoline_kernelINS0_13select_configILj256ELj13ELNS0_17block_load_methodE3ELS4_3ELS4_3ELNS0_20block_scan_algorithmE0ELj4294967295EEENS1_25partition_config_selectorILNS1_17partition_subalgoE3EjNS0_10empty_typeEbEEZZNS1_14partition_implILS8_3ELb0ES6_jNS0_17counting_iteratorIjlEEPS9_SE_NS0_5tupleIJPjSE_EEENSF_IJSE_SE_EEES9_SG_JZNS1_25segmented_radix_sort_implINS0_14default_configELb0EPK6__halfPSL_PKlPlN2at6native12_GLOBAL__N_18offset_tEEE10hipError_tPvRmT1_PNSt15iterator_traitsISZ_E10value_typeET2_T3_PNS10_IS15_E10value_typeET4_jRbjT5_S1B_jjP12ihipStream_tbEUljE_EEESW_SX_SY_S15_S19_S1B_T6_T7_T9_mT8_S1D_bDpT10_ENKUlT_T0_E_clISt17integral_constantIbLb0EES1Q_EEDaS1L_S1M_EUlS1L_E_NS1_11comp_targetILNS1_3genE3ELNS1_11target_archE908ELNS1_3gpuE7ELNS1_3repE0EEENS1_30default_config_static_selectorELNS0_4arch9wavefront6targetE0EEEvSZ_
		.amdhsa_group_segment_fixed_size 0
		.amdhsa_private_segment_fixed_size 0
		.amdhsa_kernarg_size 144
		.amdhsa_user_sgpr_count 6
		.amdhsa_user_sgpr_private_segment_buffer 1
		.amdhsa_user_sgpr_dispatch_ptr 0
		.amdhsa_user_sgpr_queue_ptr 0
		.amdhsa_user_sgpr_kernarg_segment_ptr 1
		.amdhsa_user_sgpr_dispatch_id 0
		.amdhsa_user_sgpr_flat_scratch_init 0
		.amdhsa_user_sgpr_private_segment_size 0
		.amdhsa_wavefront_size32 1
		.amdhsa_uses_dynamic_stack 0
		.amdhsa_system_sgpr_private_segment_wavefront_offset 0
		.amdhsa_system_sgpr_workgroup_id_x 1
		.amdhsa_system_sgpr_workgroup_id_y 0
		.amdhsa_system_sgpr_workgroup_id_z 0
		.amdhsa_system_sgpr_workgroup_info 0
		.amdhsa_system_vgpr_workitem_id 0
		.amdhsa_next_free_vgpr 1
		.amdhsa_next_free_sgpr 1
		.amdhsa_reserve_vcc 0
		.amdhsa_reserve_flat_scratch 0
		.amdhsa_float_round_mode_32 0
		.amdhsa_float_round_mode_16_64 0
		.amdhsa_float_denorm_mode_32 3
		.amdhsa_float_denorm_mode_16_64 3
		.amdhsa_dx10_clamp 1
		.amdhsa_ieee_mode 1
		.amdhsa_fp16_overflow 0
		.amdhsa_workgroup_processor_mode 1
		.amdhsa_memory_ordered 1
		.amdhsa_forward_progress 1
		.amdhsa_shared_vgpr_count 0
		.amdhsa_exception_fp_ieee_invalid_op 0
		.amdhsa_exception_fp_denorm_src 0
		.amdhsa_exception_fp_ieee_div_zero 0
		.amdhsa_exception_fp_ieee_overflow 0
		.amdhsa_exception_fp_ieee_underflow 0
		.amdhsa_exception_fp_ieee_inexact 0
		.amdhsa_exception_int_div_zero 0
	.end_amdhsa_kernel
	.section	.text._ZN7rocprim17ROCPRIM_400000_NS6detail17trampoline_kernelINS0_13select_configILj256ELj13ELNS0_17block_load_methodE3ELS4_3ELS4_3ELNS0_20block_scan_algorithmE0ELj4294967295EEENS1_25partition_config_selectorILNS1_17partition_subalgoE3EjNS0_10empty_typeEbEEZZNS1_14partition_implILS8_3ELb0ES6_jNS0_17counting_iteratorIjlEEPS9_SE_NS0_5tupleIJPjSE_EEENSF_IJSE_SE_EEES9_SG_JZNS1_25segmented_radix_sort_implINS0_14default_configELb0EPK6__halfPSL_PKlPlN2at6native12_GLOBAL__N_18offset_tEEE10hipError_tPvRmT1_PNSt15iterator_traitsISZ_E10value_typeET2_T3_PNS10_IS15_E10value_typeET4_jRbjT5_S1B_jjP12ihipStream_tbEUljE_EEESW_SX_SY_S15_S19_S1B_T6_T7_T9_mT8_S1D_bDpT10_ENKUlT_T0_E_clISt17integral_constantIbLb0EES1Q_EEDaS1L_S1M_EUlS1L_E_NS1_11comp_targetILNS1_3genE3ELNS1_11target_archE908ELNS1_3gpuE7ELNS1_3repE0EEENS1_30default_config_static_selectorELNS0_4arch9wavefront6targetE0EEEvSZ_,"axG",@progbits,_ZN7rocprim17ROCPRIM_400000_NS6detail17trampoline_kernelINS0_13select_configILj256ELj13ELNS0_17block_load_methodE3ELS4_3ELS4_3ELNS0_20block_scan_algorithmE0ELj4294967295EEENS1_25partition_config_selectorILNS1_17partition_subalgoE3EjNS0_10empty_typeEbEEZZNS1_14partition_implILS8_3ELb0ES6_jNS0_17counting_iteratorIjlEEPS9_SE_NS0_5tupleIJPjSE_EEENSF_IJSE_SE_EEES9_SG_JZNS1_25segmented_radix_sort_implINS0_14default_configELb0EPK6__halfPSL_PKlPlN2at6native12_GLOBAL__N_18offset_tEEE10hipError_tPvRmT1_PNSt15iterator_traitsISZ_E10value_typeET2_T3_PNS10_IS15_E10value_typeET4_jRbjT5_S1B_jjP12ihipStream_tbEUljE_EEESW_SX_SY_S15_S19_S1B_T6_T7_T9_mT8_S1D_bDpT10_ENKUlT_T0_E_clISt17integral_constantIbLb0EES1Q_EEDaS1L_S1M_EUlS1L_E_NS1_11comp_targetILNS1_3genE3ELNS1_11target_archE908ELNS1_3gpuE7ELNS1_3repE0EEENS1_30default_config_static_selectorELNS0_4arch9wavefront6targetE0EEEvSZ_,comdat
.Lfunc_end1803:
	.size	_ZN7rocprim17ROCPRIM_400000_NS6detail17trampoline_kernelINS0_13select_configILj256ELj13ELNS0_17block_load_methodE3ELS4_3ELS4_3ELNS0_20block_scan_algorithmE0ELj4294967295EEENS1_25partition_config_selectorILNS1_17partition_subalgoE3EjNS0_10empty_typeEbEEZZNS1_14partition_implILS8_3ELb0ES6_jNS0_17counting_iteratorIjlEEPS9_SE_NS0_5tupleIJPjSE_EEENSF_IJSE_SE_EEES9_SG_JZNS1_25segmented_radix_sort_implINS0_14default_configELb0EPK6__halfPSL_PKlPlN2at6native12_GLOBAL__N_18offset_tEEE10hipError_tPvRmT1_PNSt15iterator_traitsISZ_E10value_typeET2_T3_PNS10_IS15_E10value_typeET4_jRbjT5_S1B_jjP12ihipStream_tbEUljE_EEESW_SX_SY_S15_S19_S1B_T6_T7_T9_mT8_S1D_bDpT10_ENKUlT_T0_E_clISt17integral_constantIbLb0EES1Q_EEDaS1L_S1M_EUlS1L_E_NS1_11comp_targetILNS1_3genE3ELNS1_11target_archE908ELNS1_3gpuE7ELNS1_3repE0EEENS1_30default_config_static_selectorELNS0_4arch9wavefront6targetE0EEEvSZ_, .Lfunc_end1803-_ZN7rocprim17ROCPRIM_400000_NS6detail17trampoline_kernelINS0_13select_configILj256ELj13ELNS0_17block_load_methodE3ELS4_3ELS4_3ELNS0_20block_scan_algorithmE0ELj4294967295EEENS1_25partition_config_selectorILNS1_17partition_subalgoE3EjNS0_10empty_typeEbEEZZNS1_14partition_implILS8_3ELb0ES6_jNS0_17counting_iteratorIjlEEPS9_SE_NS0_5tupleIJPjSE_EEENSF_IJSE_SE_EEES9_SG_JZNS1_25segmented_radix_sort_implINS0_14default_configELb0EPK6__halfPSL_PKlPlN2at6native12_GLOBAL__N_18offset_tEEE10hipError_tPvRmT1_PNSt15iterator_traitsISZ_E10value_typeET2_T3_PNS10_IS15_E10value_typeET4_jRbjT5_S1B_jjP12ihipStream_tbEUljE_EEESW_SX_SY_S15_S19_S1B_T6_T7_T9_mT8_S1D_bDpT10_ENKUlT_T0_E_clISt17integral_constantIbLb0EES1Q_EEDaS1L_S1M_EUlS1L_E_NS1_11comp_targetILNS1_3genE3ELNS1_11target_archE908ELNS1_3gpuE7ELNS1_3repE0EEENS1_30default_config_static_selectorELNS0_4arch9wavefront6targetE0EEEvSZ_
                                        ; -- End function
	.set _ZN7rocprim17ROCPRIM_400000_NS6detail17trampoline_kernelINS0_13select_configILj256ELj13ELNS0_17block_load_methodE3ELS4_3ELS4_3ELNS0_20block_scan_algorithmE0ELj4294967295EEENS1_25partition_config_selectorILNS1_17partition_subalgoE3EjNS0_10empty_typeEbEEZZNS1_14partition_implILS8_3ELb0ES6_jNS0_17counting_iteratorIjlEEPS9_SE_NS0_5tupleIJPjSE_EEENSF_IJSE_SE_EEES9_SG_JZNS1_25segmented_radix_sort_implINS0_14default_configELb0EPK6__halfPSL_PKlPlN2at6native12_GLOBAL__N_18offset_tEEE10hipError_tPvRmT1_PNSt15iterator_traitsISZ_E10value_typeET2_T3_PNS10_IS15_E10value_typeET4_jRbjT5_S1B_jjP12ihipStream_tbEUljE_EEESW_SX_SY_S15_S19_S1B_T6_T7_T9_mT8_S1D_bDpT10_ENKUlT_T0_E_clISt17integral_constantIbLb0EES1Q_EEDaS1L_S1M_EUlS1L_E_NS1_11comp_targetILNS1_3genE3ELNS1_11target_archE908ELNS1_3gpuE7ELNS1_3repE0EEENS1_30default_config_static_selectorELNS0_4arch9wavefront6targetE0EEEvSZ_.num_vgpr, 0
	.set _ZN7rocprim17ROCPRIM_400000_NS6detail17trampoline_kernelINS0_13select_configILj256ELj13ELNS0_17block_load_methodE3ELS4_3ELS4_3ELNS0_20block_scan_algorithmE0ELj4294967295EEENS1_25partition_config_selectorILNS1_17partition_subalgoE3EjNS0_10empty_typeEbEEZZNS1_14partition_implILS8_3ELb0ES6_jNS0_17counting_iteratorIjlEEPS9_SE_NS0_5tupleIJPjSE_EEENSF_IJSE_SE_EEES9_SG_JZNS1_25segmented_radix_sort_implINS0_14default_configELb0EPK6__halfPSL_PKlPlN2at6native12_GLOBAL__N_18offset_tEEE10hipError_tPvRmT1_PNSt15iterator_traitsISZ_E10value_typeET2_T3_PNS10_IS15_E10value_typeET4_jRbjT5_S1B_jjP12ihipStream_tbEUljE_EEESW_SX_SY_S15_S19_S1B_T6_T7_T9_mT8_S1D_bDpT10_ENKUlT_T0_E_clISt17integral_constantIbLb0EES1Q_EEDaS1L_S1M_EUlS1L_E_NS1_11comp_targetILNS1_3genE3ELNS1_11target_archE908ELNS1_3gpuE7ELNS1_3repE0EEENS1_30default_config_static_selectorELNS0_4arch9wavefront6targetE0EEEvSZ_.num_agpr, 0
	.set _ZN7rocprim17ROCPRIM_400000_NS6detail17trampoline_kernelINS0_13select_configILj256ELj13ELNS0_17block_load_methodE3ELS4_3ELS4_3ELNS0_20block_scan_algorithmE0ELj4294967295EEENS1_25partition_config_selectorILNS1_17partition_subalgoE3EjNS0_10empty_typeEbEEZZNS1_14partition_implILS8_3ELb0ES6_jNS0_17counting_iteratorIjlEEPS9_SE_NS0_5tupleIJPjSE_EEENSF_IJSE_SE_EEES9_SG_JZNS1_25segmented_radix_sort_implINS0_14default_configELb0EPK6__halfPSL_PKlPlN2at6native12_GLOBAL__N_18offset_tEEE10hipError_tPvRmT1_PNSt15iterator_traitsISZ_E10value_typeET2_T3_PNS10_IS15_E10value_typeET4_jRbjT5_S1B_jjP12ihipStream_tbEUljE_EEESW_SX_SY_S15_S19_S1B_T6_T7_T9_mT8_S1D_bDpT10_ENKUlT_T0_E_clISt17integral_constantIbLb0EES1Q_EEDaS1L_S1M_EUlS1L_E_NS1_11comp_targetILNS1_3genE3ELNS1_11target_archE908ELNS1_3gpuE7ELNS1_3repE0EEENS1_30default_config_static_selectorELNS0_4arch9wavefront6targetE0EEEvSZ_.numbered_sgpr, 0
	.set _ZN7rocprim17ROCPRIM_400000_NS6detail17trampoline_kernelINS0_13select_configILj256ELj13ELNS0_17block_load_methodE3ELS4_3ELS4_3ELNS0_20block_scan_algorithmE0ELj4294967295EEENS1_25partition_config_selectorILNS1_17partition_subalgoE3EjNS0_10empty_typeEbEEZZNS1_14partition_implILS8_3ELb0ES6_jNS0_17counting_iteratorIjlEEPS9_SE_NS0_5tupleIJPjSE_EEENSF_IJSE_SE_EEES9_SG_JZNS1_25segmented_radix_sort_implINS0_14default_configELb0EPK6__halfPSL_PKlPlN2at6native12_GLOBAL__N_18offset_tEEE10hipError_tPvRmT1_PNSt15iterator_traitsISZ_E10value_typeET2_T3_PNS10_IS15_E10value_typeET4_jRbjT5_S1B_jjP12ihipStream_tbEUljE_EEESW_SX_SY_S15_S19_S1B_T6_T7_T9_mT8_S1D_bDpT10_ENKUlT_T0_E_clISt17integral_constantIbLb0EES1Q_EEDaS1L_S1M_EUlS1L_E_NS1_11comp_targetILNS1_3genE3ELNS1_11target_archE908ELNS1_3gpuE7ELNS1_3repE0EEENS1_30default_config_static_selectorELNS0_4arch9wavefront6targetE0EEEvSZ_.num_named_barrier, 0
	.set _ZN7rocprim17ROCPRIM_400000_NS6detail17trampoline_kernelINS0_13select_configILj256ELj13ELNS0_17block_load_methodE3ELS4_3ELS4_3ELNS0_20block_scan_algorithmE0ELj4294967295EEENS1_25partition_config_selectorILNS1_17partition_subalgoE3EjNS0_10empty_typeEbEEZZNS1_14partition_implILS8_3ELb0ES6_jNS0_17counting_iteratorIjlEEPS9_SE_NS0_5tupleIJPjSE_EEENSF_IJSE_SE_EEES9_SG_JZNS1_25segmented_radix_sort_implINS0_14default_configELb0EPK6__halfPSL_PKlPlN2at6native12_GLOBAL__N_18offset_tEEE10hipError_tPvRmT1_PNSt15iterator_traitsISZ_E10value_typeET2_T3_PNS10_IS15_E10value_typeET4_jRbjT5_S1B_jjP12ihipStream_tbEUljE_EEESW_SX_SY_S15_S19_S1B_T6_T7_T9_mT8_S1D_bDpT10_ENKUlT_T0_E_clISt17integral_constantIbLb0EES1Q_EEDaS1L_S1M_EUlS1L_E_NS1_11comp_targetILNS1_3genE3ELNS1_11target_archE908ELNS1_3gpuE7ELNS1_3repE0EEENS1_30default_config_static_selectorELNS0_4arch9wavefront6targetE0EEEvSZ_.private_seg_size, 0
	.set _ZN7rocprim17ROCPRIM_400000_NS6detail17trampoline_kernelINS0_13select_configILj256ELj13ELNS0_17block_load_methodE3ELS4_3ELS4_3ELNS0_20block_scan_algorithmE0ELj4294967295EEENS1_25partition_config_selectorILNS1_17partition_subalgoE3EjNS0_10empty_typeEbEEZZNS1_14partition_implILS8_3ELb0ES6_jNS0_17counting_iteratorIjlEEPS9_SE_NS0_5tupleIJPjSE_EEENSF_IJSE_SE_EEES9_SG_JZNS1_25segmented_radix_sort_implINS0_14default_configELb0EPK6__halfPSL_PKlPlN2at6native12_GLOBAL__N_18offset_tEEE10hipError_tPvRmT1_PNSt15iterator_traitsISZ_E10value_typeET2_T3_PNS10_IS15_E10value_typeET4_jRbjT5_S1B_jjP12ihipStream_tbEUljE_EEESW_SX_SY_S15_S19_S1B_T6_T7_T9_mT8_S1D_bDpT10_ENKUlT_T0_E_clISt17integral_constantIbLb0EES1Q_EEDaS1L_S1M_EUlS1L_E_NS1_11comp_targetILNS1_3genE3ELNS1_11target_archE908ELNS1_3gpuE7ELNS1_3repE0EEENS1_30default_config_static_selectorELNS0_4arch9wavefront6targetE0EEEvSZ_.uses_vcc, 0
	.set _ZN7rocprim17ROCPRIM_400000_NS6detail17trampoline_kernelINS0_13select_configILj256ELj13ELNS0_17block_load_methodE3ELS4_3ELS4_3ELNS0_20block_scan_algorithmE0ELj4294967295EEENS1_25partition_config_selectorILNS1_17partition_subalgoE3EjNS0_10empty_typeEbEEZZNS1_14partition_implILS8_3ELb0ES6_jNS0_17counting_iteratorIjlEEPS9_SE_NS0_5tupleIJPjSE_EEENSF_IJSE_SE_EEES9_SG_JZNS1_25segmented_radix_sort_implINS0_14default_configELb0EPK6__halfPSL_PKlPlN2at6native12_GLOBAL__N_18offset_tEEE10hipError_tPvRmT1_PNSt15iterator_traitsISZ_E10value_typeET2_T3_PNS10_IS15_E10value_typeET4_jRbjT5_S1B_jjP12ihipStream_tbEUljE_EEESW_SX_SY_S15_S19_S1B_T6_T7_T9_mT8_S1D_bDpT10_ENKUlT_T0_E_clISt17integral_constantIbLb0EES1Q_EEDaS1L_S1M_EUlS1L_E_NS1_11comp_targetILNS1_3genE3ELNS1_11target_archE908ELNS1_3gpuE7ELNS1_3repE0EEENS1_30default_config_static_selectorELNS0_4arch9wavefront6targetE0EEEvSZ_.uses_flat_scratch, 0
	.set _ZN7rocprim17ROCPRIM_400000_NS6detail17trampoline_kernelINS0_13select_configILj256ELj13ELNS0_17block_load_methodE3ELS4_3ELS4_3ELNS0_20block_scan_algorithmE0ELj4294967295EEENS1_25partition_config_selectorILNS1_17partition_subalgoE3EjNS0_10empty_typeEbEEZZNS1_14partition_implILS8_3ELb0ES6_jNS0_17counting_iteratorIjlEEPS9_SE_NS0_5tupleIJPjSE_EEENSF_IJSE_SE_EEES9_SG_JZNS1_25segmented_radix_sort_implINS0_14default_configELb0EPK6__halfPSL_PKlPlN2at6native12_GLOBAL__N_18offset_tEEE10hipError_tPvRmT1_PNSt15iterator_traitsISZ_E10value_typeET2_T3_PNS10_IS15_E10value_typeET4_jRbjT5_S1B_jjP12ihipStream_tbEUljE_EEESW_SX_SY_S15_S19_S1B_T6_T7_T9_mT8_S1D_bDpT10_ENKUlT_T0_E_clISt17integral_constantIbLb0EES1Q_EEDaS1L_S1M_EUlS1L_E_NS1_11comp_targetILNS1_3genE3ELNS1_11target_archE908ELNS1_3gpuE7ELNS1_3repE0EEENS1_30default_config_static_selectorELNS0_4arch9wavefront6targetE0EEEvSZ_.has_dyn_sized_stack, 0
	.set _ZN7rocprim17ROCPRIM_400000_NS6detail17trampoline_kernelINS0_13select_configILj256ELj13ELNS0_17block_load_methodE3ELS4_3ELS4_3ELNS0_20block_scan_algorithmE0ELj4294967295EEENS1_25partition_config_selectorILNS1_17partition_subalgoE3EjNS0_10empty_typeEbEEZZNS1_14partition_implILS8_3ELb0ES6_jNS0_17counting_iteratorIjlEEPS9_SE_NS0_5tupleIJPjSE_EEENSF_IJSE_SE_EEES9_SG_JZNS1_25segmented_radix_sort_implINS0_14default_configELb0EPK6__halfPSL_PKlPlN2at6native12_GLOBAL__N_18offset_tEEE10hipError_tPvRmT1_PNSt15iterator_traitsISZ_E10value_typeET2_T3_PNS10_IS15_E10value_typeET4_jRbjT5_S1B_jjP12ihipStream_tbEUljE_EEESW_SX_SY_S15_S19_S1B_T6_T7_T9_mT8_S1D_bDpT10_ENKUlT_T0_E_clISt17integral_constantIbLb0EES1Q_EEDaS1L_S1M_EUlS1L_E_NS1_11comp_targetILNS1_3genE3ELNS1_11target_archE908ELNS1_3gpuE7ELNS1_3repE0EEENS1_30default_config_static_selectorELNS0_4arch9wavefront6targetE0EEEvSZ_.has_recursion, 0
	.set _ZN7rocprim17ROCPRIM_400000_NS6detail17trampoline_kernelINS0_13select_configILj256ELj13ELNS0_17block_load_methodE3ELS4_3ELS4_3ELNS0_20block_scan_algorithmE0ELj4294967295EEENS1_25partition_config_selectorILNS1_17partition_subalgoE3EjNS0_10empty_typeEbEEZZNS1_14partition_implILS8_3ELb0ES6_jNS0_17counting_iteratorIjlEEPS9_SE_NS0_5tupleIJPjSE_EEENSF_IJSE_SE_EEES9_SG_JZNS1_25segmented_radix_sort_implINS0_14default_configELb0EPK6__halfPSL_PKlPlN2at6native12_GLOBAL__N_18offset_tEEE10hipError_tPvRmT1_PNSt15iterator_traitsISZ_E10value_typeET2_T3_PNS10_IS15_E10value_typeET4_jRbjT5_S1B_jjP12ihipStream_tbEUljE_EEESW_SX_SY_S15_S19_S1B_T6_T7_T9_mT8_S1D_bDpT10_ENKUlT_T0_E_clISt17integral_constantIbLb0EES1Q_EEDaS1L_S1M_EUlS1L_E_NS1_11comp_targetILNS1_3genE3ELNS1_11target_archE908ELNS1_3gpuE7ELNS1_3repE0EEENS1_30default_config_static_selectorELNS0_4arch9wavefront6targetE0EEEvSZ_.has_indirect_call, 0
	.section	.AMDGPU.csdata,"",@progbits
; Kernel info:
; codeLenInByte = 0
; TotalNumSgprs: 0
; NumVgprs: 0
; ScratchSize: 0
; MemoryBound: 0
; FloatMode: 240
; IeeeMode: 1
; LDSByteSize: 0 bytes/workgroup (compile time only)
; SGPRBlocks: 0
; VGPRBlocks: 0
; NumSGPRsForWavesPerEU: 1
; NumVGPRsForWavesPerEU: 1
; Occupancy: 16
; WaveLimiterHint : 0
; COMPUTE_PGM_RSRC2:SCRATCH_EN: 0
; COMPUTE_PGM_RSRC2:USER_SGPR: 6
; COMPUTE_PGM_RSRC2:TRAP_HANDLER: 0
; COMPUTE_PGM_RSRC2:TGID_X_EN: 1
; COMPUTE_PGM_RSRC2:TGID_Y_EN: 0
; COMPUTE_PGM_RSRC2:TGID_Z_EN: 0
; COMPUTE_PGM_RSRC2:TIDIG_COMP_CNT: 0
	.section	.text._ZN7rocprim17ROCPRIM_400000_NS6detail17trampoline_kernelINS0_13select_configILj256ELj13ELNS0_17block_load_methodE3ELS4_3ELS4_3ELNS0_20block_scan_algorithmE0ELj4294967295EEENS1_25partition_config_selectorILNS1_17partition_subalgoE3EjNS0_10empty_typeEbEEZZNS1_14partition_implILS8_3ELb0ES6_jNS0_17counting_iteratorIjlEEPS9_SE_NS0_5tupleIJPjSE_EEENSF_IJSE_SE_EEES9_SG_JZNS1_25segmented_radix_sort_implINS0_14default_configELb0EPK6__halfPSL_PKlPlN2at6native12_GLOBAL__N_18offset_tEEE10hipError_tPvRmT1_PNSt15iterator_traitsISZ_E10value_typeET2_T3_PNS10_IS15_E10value_typeET4_jRbjT5_S1B_jjP12ihipStream_tbEUljE_EEESW_SX_SY_S15_S19_S1B_T6_T7_T9_mT8_S1D_bDpT10_ENKUlT_T0_E_clISt17integral_constantIbLb0EES1Q_EEDaS1L_S1M_EUlS1L_E_NS1_11comp_targetILNS1_3genE2ELNS1_11target_archE906ELNS1_3gpuE6ELNS1_3repE0EEENS1_30default_config_static_selectorELNS0_4arch9wavefront6targetE0EEEvSZ_,"axG",@progbits,_ZN7rocprim17ROCPRIM_400000_NS6detail17trampoline_kernelINS0_13select_configILj256ELj13ELNS0_17block_load_methodE3ELS4_3ELS4_3ELNS0_20block_scan_algorithmE0ELj4294967295EEENS1_25partition_config_selectorILNS1_17partition_subalgoE3EjNS0_10empty_typeEbEEZZNS1_14partition_implILS8_3ELb0ES6_jNS0_17counting_iteratorIjlEEPS9_SE_NS0_5tupleIJPjSE_EEENSF_IJSE_SE_EEES9_SG_JZNS1_25segmented_radix_sort_implINS0_14default_configELb0EPK6__halfPSL_PKlPlN2at6native12_GLOBAL__N_18offset_tEEE10hipError_tPvRmT1_PNSt15iterator_traitsISZ_E10value_typeET2_T3_PNS10_IS15_E10value_typeET4_jRbjT5_S1B_jjP12ihipStream_tbEUljE_EEESW_SX_SY_S15_S19_S1B_T6_T7_T9_mT8_S1D_bDpT10_ENKUlT_T0_E_clISt17integral_constantIbLb0EES1Q_EEDaS1L_S1M_EUlS1L_E_NS1_11comp_targetILNS1_3genE2ELNS1_11target_archE906ELNS1_3gpuE6ELNS1_3repE0EEENS1_30default_config_static_selectorELNS0_4arch9wavefront6targetE0EEEvSZ_,comdat
	.globl	_ZN7rocprim17ROCPRIM_400000_NS6detail17trampoline_kernelINS0_13select_configILj256ELj13ELNS0_17block_load_methodE3ELS4_3ELS4_3ELNS0_20block_scan_algorithmE0ELj4294967295EEENS1_25partition_config_selectorILNS1_17partition_subalgoE3EjNS0_10empty_typeEbEEZZNS1_14partition_implILS8_3ELb0ES6_jNS0_17counting_iteratorIjlEEPS9_SE_NS0_5tupleIJPjSE_EEENSF_IJSE_SE_EEES9_SG_JZNS1_25segmented_radix_sort_implINS0_14default_configELb0EPK6__halfPSL_PKlPlN2at6native12_GLOBAL__N_18offset_tEEE10hipError_tPvRmT1_PNSt15iterator_traitsISZ_E10value_typeET2_T3_PNS10_IS15_E10value_typeET4_jRbjT5_S1B_jjP12ihipStream_tbEUljE_EEESW_SX_SY_S15_S19_S1B_T6_T7_T9_mT8_S1D_bDpT10_ENKUlT_T0_E_clISt17integral_constantIbLb0EES1Q_EEDaS1L_S1M_EUlS1L_E_NS1_11comp_targetILNS1_3genE2ELNS1_11target_archE906ELNS1_3gpuE6ELNS1_3repE0EEENS1_30default_config_static_selectorELNS0_4arch9wavefront6targetE0EEEvSZ_ ; -- Begin function _ZN7rocprim17ROCPRIM_400000_NS6detail17trampoline_kernelINS0_13select_configILj256ELj13ELNS0_17block_load_methodE3ELS4_3ELS4_3ELNS0_20block_scan_algorithmE0ELj4294967295EEENS1_25partition_config_selectorILNS1_17partition_subalgoE3EjNS0_10empty_typeEbEEZZNS1_14partition_implILS8_3ELb0ES6_jNS0_17counting_iteratorIjlEEPS9_SE_NS0_5tupleIJPjSE_EEENSF_IJSE_SE_EEES9_SG_JZNS1_25segmented_radix_sort_implINS0_14default_configELb0EPK6__halfPSL_PKlPlN2at6native12_GLOBAL__N_18offset_tEEE10hipError_tPvRmT1_PNSt15iterator_traitsISZ_E10value_typeET2_T3_PNS10_IS15_E10value_typeET4_jRbjT5_S1B_jjP12ihipStream_tbEUljE_EEESW_SX_SY_S15_S19_S1B_T6_T7_T9_mT8_S1D_bDpT10_ENKUlT_T0_E_clISt17integral_constantIbLb0EES1Q_EEDaS1L_S1M_EUlS1L_E_NS1_11comp_targetILNS1_3genE2ELNS1_11target_archE906ELNS1_3gpuE6ELNS1_3repE0EEENS1_30default_config_static_selectorELNS0_4arch9wavefront6targetE0EEEvSZ_
	.p2align	8
	.type	_ZN7rocprim17ROCPRIM_400000_NS6detail17trampoline_kernelINS0_13select_configILj256ELj13ELNS0_17block_load_methodE3ELS4_3ELS4_3ELNS0_20block_scan_algorithmE0ELj4294967295EEENS1_25partition_config_selectorILNS1_17partition_subalgoE3EjNS0_10empty_typeEbEEZZNS1_14partition_implILS8_3ELb0ES6_jNS0_17counting_iteratorIjlEEPS9_SE_NS0_5tupleIJPjSE_EEENSF_IJSE_SE_EEES9_SG_JZNS1_25segmented_radix_sort_implINS0_14default_configELb0EPK6__halfPSL_PKlPlN2at6native12_GLOBAL__N_18offset_tEEE10hipError_tPvRmT1_PNSt15iterator_traitsISZ_E10value_typeET2_T3_PNS10_IS15_E10value_typeET4_jRbjT5_S1B_jjP12ihipStream_tbEUljE_EEESW_SX_SY_S15_S19_S1B_T6_T7_T9_mT8_S1D_bDpT10_ENKUlT_T0_E_clISt17integral_constantIbLb0EES1Q_EEDaS1L_S1M_EUlS1L_E_NS1_11comp_targetILNS1_3genE2ELNS1_11target_archE906ELNS1_3gpuE6ELNS1_3repE0EEENS1_30default_config_static_selectorELNS0_4arch9wavefront6targetE0EEEvSZ_,@function
_ZN7rocprim17ROCPRIM_400000_NS6detail17trampoline_kernelINS0_13select_configILj256ELj13ELNS0_17block_load_methodE3ELS4_3ELS4_3ELNS0_20block_scan_algorithmE0ELj4294967295EEENS1_25partition_config_selectorILNS1_17partition_subalgoE3EjNS0_10empty_typeEbEEZZNS1_14partition_implILS8_3ELb0ES6_jNS0_17counting_iteratorIjlEEPS9_SE_NS0_5tupleIJPjSE_EEENSF_IJSE_SE_EEES9_SG_JZNS1_25segmented_radix_sort_implINS0_14default_configELb0EPK6__halfPSL_PKlPlN2at6native12_GLOBAL__N_18offset_tEEE10hipError_tPvRmT1_PNSt15iterator_traitsISZ_E10value_typeET2_T3_PNS10_IS15_E10value_typeET4_jRbjT5_S1B_jjP12ihipStream_tbEUljE_EEESW_SX_SY_S15_S19_S1B_T6_T7_T9_mT8_S1D_bDpT10_ENKUlT_T0_E_clISt17integral_constantIbLb0EES1Q_EEDaS1L_S1M_EUlS1L_E_NS1_11comp_targetILNS1_3genE2ELNS1_11target_archE906ELNS1_3gpuE6ELNS1_3repE0EEENS1_30default_config_static_selectorELNS0_4arch9wavefront6targetE0EEEvSZ_: ; @_ZN7rocprim17ROCPRIM_400000_NS6detail17trampoline_kernelINS0_13select_configILj256ELj13ELNS0_17block_load_methodE3ELS4_3ELS4_3ELNS0_20block_scan_algorithmE0ELj4294967295EEENS1_25partition_config_selectorILNS1_17partition_subalgoE3EjNS0_10empty_typeEbEEZZNS1_14partition_implILS8_3ELb0ES6_jNS0_17counting_iteratorIjlEEPS9_SE_NS0_5tupleIJPjSE_EEENSF_IJSE_SE_EEES9_SG_JZNS1_25segmented_radix_sort_implINS0_14default_configELb0EPK6__halfPSL_PKlPlN2at6native12_GLOBAL__N_18offset_tEEE10hipError_tPvRmT1_PNSt15iterator_traitsISZ_E10value_typeET2_T3_PNS10_IS15_E10value_typeET4_jRbjT5_S1B_jjP12ihipStream_tbEUljE_EEESW_SX_SY_S15_S19_S1B_T6_T7_T9_mT8_S1D_bDpT10_ENKUlT_T0_E_clISt17integral_constantIbLb0EES1Q_EEDaS1L_S1M_EUlS1L_E_NS1_11comp_targetILNS1_3genE2ELNS1_11target_archE906ELNS1_3gpuE6ELNS1_3repE0EEENS1_30default_config_static_selectorELNS0_4arch9wavefront6targetE0EEEvSZ_
; %bb.0:
	.section	.rodata,"a",@progbits
	.p2align	6, 0x0
	.amdhsa_kernel _ZN7rocprim17ROCPRIM_400000_NS6detail17trampoline_kernelINS0_13select_configILj256ELj13ELNS0_17block_load_methodE3ELS4_3ELS4_3ELNS0_20block_scan_algorithmE0ELj4294967295EEENS1_25partition_config_selectorILNS1_17partition_subalgoE3EjNS0_10empty_typeEbEEZZNS1_14partition_implILS8_3ELb0ES6_jNS0_17counting_iteratorIjlEEPS9_SE_NS0_5tupleIJPjSE_EEENSF_IJSE_SE_EEES9_SG_JZNS1_25segmented_radix_sort_implINS0_14default_configELb0EPK6__halfPSL_PKlPlN2at6native12_GLOBAL__N_18offset_tEEE10hipError_tPvRmT1_PNSt15iterator_traitsISZ_E10value_typeET2_T3_PNS10_IS15_E10value_typeET4_jRbjT5_S1B_jjP12ihipStream_tbEUljE_EEESW_SX_SY_S15_S19_S1B_T6_T7_T9_mT8_S1D_bDpT10_ENKUlT_T0_E_clISt17integral_constantIbLb0EES1Q_EEDaS1L_S1M_EUlS1L_E_NS1_11comp_targetILNS1_3genE2ELNS1_11target_archE906ELNS1_3gpuE6ELNS1_3repE0EEENS1_30default_config_static_selectorELNS0_4arch9wavefront6targetE0EEEvSZ_
		.amdhsa_group_segment_fixed_size 0
		.amdhsa_private_segment_fixed_size 0
		.amdhsa_kernarg_size 144
		.amdhsa_user_sgpr_count 6
		.amdhsa_user_sgpr_private_segment_buffer 1
		.amdhsa_user_sgpr_dispatch_ptr 0
		.amdhsa_user_sgpr_queue_ptr 0
		.amdhsa_user_sgpr_kernarg_segment_ptr 1
		.amdhsa_user_sgpr_dispatch_id 0
		.amdhsa_user_sgpr_flat_scratch_init 0
		.amdhsa_user_sgpr_private_segment_size 0
		.amdhsa_wavefront_size32 1
		.amdhsa_uses_dynamic_stack 0
		.amdhsa_system_sgpr_private_segment_wavefront_offset 0
		.amdhsa_system_sgpr_workgroup_id_x 1
		.amdhsa_system_sgpr_workgroup_id_y 0
		.amdhsa_system_sgpr_workgroup_id_z 0
		.amdhsa_system_sgpr_workgroup_info 0
		.amdhsa_system_vgpr_workitem_id 0
		.amdhsa_next_free_vgpr 1
		.amdhsa_next_free_sgpr 1
		.amdhsa_reserve_vcc 0
		.amdhsa_reserve_flat_scratch 0
		.amdhsa_float_round_mode_32 0
		.amdhsa_float_round_mode_16_64 0
		.amdhsa_float_denorm_mode_32 3
		.amdhsa_float_denorm_mode_16_64 3
		.amdhsa_dx10_clamp 1
		.amdhsa_ieee_mode 1
		.amdhsa_fp16_overflow 0
		.amdhsa_workgroup_processor_mode 1
		.amdhsa_memory_ordered 1
		.amdhsa_forward_progress 1
		.amdhsa_shared_vgpr_count 0
		.amdhsa_exception_fp_ieee_invalid_op 0
		.amdhsa_exception_fp_denorm_src 0
		.amdhsa_exception_fp_ieee_div_zero 0
		.amdhsa_exception_fp_ieee_overflow 0
		.amdhsa_exception_fp_ieee_underflow 0
		.amdhsa_exception_fp_ieee_inexact 0
		.amdhsa_exception_int_div_zero 0
	.end_amdhsa_kernel
	.section	.text._ZN7rocprim17ROCPRIM_400000_NS6detail17trampoline_kernelINS0_13select_configILj256ELj13ELNS0_17block_load_methodE3ELS4_3ELS4_3ELNS0_20block_scan_algorithmE0ELj4294967295EEENS1_25partition_config_selectorILNS1_17partition_subalgoE3EjNS0_10empty_typeEbEEZZNS1_14partition_implILS8_3ELb0ES6_jNS0_17counting_iteratorIjlEEPS9_SE_NS0_5tupleIJPjSE_EEENSF_IJSE_SE_EEES9_SG_JZNS1_25segmented_radix_sort_implINS0_14default_configELb0EPK6__halfPSL_PKlPlN2at6native12_GLOBAL__N_18offset_tEEE10hipError_tPvRmT1_PNSt15iterator_traitsISZ_E10value_typeET2_T3_PNS10_IS15_E10value_typeET4_jRbjT5_S1B_jjP12ihipStream_tbEUljE_EEESW_SX_SY_S15_S19_S1B_T6_T7_T9_mT8_S1D_bDpT10_ENKUlT_T0_E_clISt17integral_constantIbLb0EES1Q_EEDaS1L_S1M_EUlS1L_E_NS1_11comp_targetILNS1_3genE2ELNS1_11target_archE906ELNS1_3gpuE6ELNS1_3repE0EEENS1_30default_config_static_selectorELNS0_4arch9wavefront6targetE0EEEvSZ_,"axG",@progbits,_ZN7rocprim17ROCPRIM_400000_NS6detail17trampoline_kernelINS0_13select_configILj256ELj13ELNS0_17block_load_methodE3ELS4_3ELS4_3ELNS0_20block_scan_algorithmE0ELj4294967295EEENS1_25partition_config_selectorILNS1_17partition_subalgoE3EjNS0_10empty_typeEbEEZZNS1_14partition_implILS8_3ELb0ES6_jNS0_17counting_iteratorIjlEEPS9_SE_NS0_5tupleIJPjSE_EEENSF_IJSE_SE_EEES9_SG_JZNS1_25segmented_radix_sort_implINS0_14default_configELb0EPK6__halfPSL_PKlPlN2at6native12_GLOBAL__N_18offset_tEEE10hipError_tPvRmT1_PNSt15iterator_traitsISZ_E10value_typeET2_T3_PNS10_IS15_E10value_typeET4_jRbjT5_S1B_jjP12ihipStream_tbEUljE_EEESW_SX_SY_S15_S19_S1B_T6_T7_T9_mT8_S1D_bDpT10_ENKUlT_T0_E_clISt17integral_constantIbLb0EES1Q_EEDaS1L_S1M_EUlS1L_E_NS1_11comp_targetILNS1_3genE2ELNS1_11target_archE906ELNS1_3gpuE6ELNS1_3repE0EEENS1_30default_config_static_selectorELNS0_4arch9wavefront6targetE0EEEvSZ_,comdat
.Lfunc_end1804:
	.size	_ZN7rocprim17ROCPRIM_400000_NS6detail17trampoline_kernelINS0_13select_configILj256ELj13ELNS0_17block_load_methodE3ELS4_3ELS4_3ELNS0_20block_scan_algorithmE0ELj4294967295EEENS1_25partition_config_selectorILNS1_17partition_subalgoE3EjNS0_10empty_typeEbEEZZNS1_14partition_implILS8_3ELb0ES6_jNS0_17counting_iteratorIjlEEPS9_SE_NS0_5tupleIJPjSE_EEENSF_IJSE_SE_EEES9_SG_JZNS1_25segmented_radix_sort_implINS0_14default_configELb0EPK6__halfPSL_PKlPlN2at6native12_GLOBAL__N_18offset_tEEE10hipError_tPvRmT1_PNSt15iterator_traitsISZ_E10value_typeET2_T3_PNS10_IS15_E10value_typeET4_jRbjT5_S1B_jjP12ihipStream_tbEUljE_EEESW_SX_SY_S15_S19_S1B_T6_T7_T9_mT8_S1D_bDpT10_ENKUlT_T0_E_clISt17integral_constantIbLb0EES1Q_EEDaS1L_S1M_EUlS1L_E_NS1_11comp_targetILNS1_3genE2ELNS1_11target_archE906ELNS1_3gpuE6ELNS1_3repE0EEENS1_30default_config_static_selectorELNS0_4arch9wavefront6targetE0EEEvSZ_, .Lfunc_end1804-_ZN7rocprim17ROCPRIM_400000_NS6detail17trampoline_kernelINS0_13select_configILj256ELj13ELNS0_17block_load_methodE3ELS4_3ELS4_3ELNS0_20block_scan_algorithmE0ELj4294967295EEENS1_25partition_config_selectorILNS1_17partition_subalgoE3EjNS0_10empty_typeEbEEZZNS1_14partition_implILS8_3ELb0ES6_jNS0_17counting_iteratorIjlEEPS9_SE_NS0_5tupleIJPjSE_EEENSF_IJSE_SE_EEES9_SG_JZNS1_25segmented_radix_sort_implINS0_14default_configELb0EPK6__halfPSL_PKlPlN2at6native12_GLOBAL__N_18offset_tEEE10hipError_tPvRmT1_PNSt15iterator_traitsISZ_E10value_typeET2_T3_PNS10_IS15_E10value_typeET4_jRbjT5_S1B_jjP12ihipStream_tbEUljE_EEESW_SX_SY_S15_S19_S1B_T6_T7_T9_mT8_S1D_bDpT10_ENKUlT_T0_E_clISt17integral_constantIbLb0EES1Q_EEDaS1L_S1M_EUlS1L_E_NS1_11comp_targetILNS1_3genE2ELNS1_11target_archE906ELNS1_3gpuE6ELNS1_3repE0EEENS1_30default_config_static_selectorELNS0_4arch9wavefront6targetE0EEEvSZ_
                                        ; -- End function
	.set _ZN7rocprim17ROCPRIM_400000_NS6detail17trampoline_kernelINS0_13select_configILj256ELj13ELNS0_17block_load_methodE3ELS4_3ELS4_3ELNS0_20block_scan_algorithmE0ELj4294967295EEENS1_25partition_config_selectorILNS1_17partition_subalgoE3EjNS0_10empty_typeEbEEZZNS1_14partition_implILS8_3ELb0ES6_jNS0_17counting_iteratorIjlEEPS9_SE_NS0_5tupleIJPjSE_EEENSF_IJSE_SE_EEES9_SG_JZNS1_25segmented_radix_sort_implINS0_14default_configELb0EPK6__halfPSL_PKlPlN2at6native12_GLOBAL__N_18offset_tEEE10hipError_tPvRmT1_PNSt15iterator_traitsISZ_E10value_typeET2_T3_PNS10_IS15_E10value_typeET4_jRbjT5_S1B_jjP12ihipStream_tbEUljE_EEESW_SX_SY_S15_S19_S1B_T6_T7_T9_mT8_S1D_bDpT10_ENKUlT_T0_E_clISt17integral_constantIbLb0EES1Q_EEDaS1L_S1M_EUlS1L_E_NS1_11comp_targetILNS1_3genE2ELNS1_11target_archE906ELNS1_3gpuE6ELNS1_3repE0EEENS1_30default_config_static_selectorELNS0_4arch9wavefront6targetE0EEEvSZ_.num_vgpr, 0
	.set _ZN7rocprim17ROCPRIM_400000_NS6detail17trampoline_kernelINS0_13select_configILj256ELj13ELNS0_17block_load_methodE3ELS4_3ELS4_3ELNS0_20block_scan_algorithmE0ELj4294967295EEENS1_25partition_config_selectorILNS1_17partition_subalgoE3EjNS0_10empty_typeEbEEZZNS1_14partition_implILS8_3ELb0ES6_jNS0_17counting_iteratorIjlEEPS9_SE_NS0_5tupleIJPjSE_EEENSF_IJSE_SE_EEES9_SG_JZNS1_25segmented_radix_sort_implINS0_14default_configELb0EPK6__halfPSL_PKlPlN2at6native12_GLOBAL__N_18offset_tEEE10hipError_tPvRmT1_PNSt15iterator_traitsISZ_E10value_typeET2_T3_PNS10_IS15_E10value_typeET4_jRbjT5_S1B_jjP12ihipStream_tbEUljE_EEESW_SX_SY_S15_S19_S1B_T6_T7_T9_mT8_S1D_bDpT10_ENKUlT_T0_E_clISt17integral_constantIbLb0EES1Q_EEDaS1L_S1M_EUlS1L_E_NS1_11comp_targetILNS1_3genE2ELNS1_11target_archE906ELNS1_3gpuE6ELNS1_3repE0EEENS1_30default_config_static_selectorELNS0_4arch9wavefront6targetE0EEEvSZ_.num_agpr, 0
	.set _ZN7rocprim17ROCPRIM_400000_NS6detail17trampoline_kernelINS0_13select_configILj256ELj13ELNS0_17block_load_methodE3ELS4_3ELS4_3ELNS0_20block_scan_algorithmE0ELj4294967295EEENS1_25partition_config_selectorILNS1_17partition_subalgoE3EjNS0_10empty_typeEbEEZZNS1_14partition_implILS8_3ELb0ES6_jNS0_17counting_iteratorIjlEEPS9_SE_NS0_5tupleIJPjSE_EEENSF_IJSE_SE_EEES9_SG_JZNS1_25segmented_radix_sort_implINS0_14default_configELb0EPK6__halfPSL_PKlPlN2at6native12_GLOBAL__N_18offset_tEEE10hipError_tPvRmT1_PNSt15iterator_traitsISZ_E10value_typeET2_T3_PNS10_IS15_E10value_typeET4_jRbjT5_S1B_jjP12ihipStream_tbEUljE_EEESW_SX_SY_S15_S19_S1B_T6_T7_T9_mT8_S1D_bDpT10_ENKUlT_T0_E_clISt17integral_constantIbLb0EES1Q_EEDaS1L_S1M_EUlS1L_E_NS1_11comp_targetILNS1_3genE2ELNS1_11target_archE906ELNS1_3gpuE6ELNS1_3repE0EEENS1_30default_config_static_selectorELNS0_4arch9wavefront6targetE0EEEvSZ_.numbered_sgpr, 0
	.set _ZN7rocprim17ROCPRIM_400000_NS6detail17trampoline_kernelINS0_13select_configILj256ELj13ELNS0_17block_load_methodE3ELS4_3ELS4_3ELNS0_20block_scan_algorithmE0ELj4294967295EEENS1_25partition_config_selectorILNS1_17partition_subalgoE3EjNS0_10empty_typeEbEEZZNS1_14partition_implILS8_3ELb0ES6_jNS0_17counting_iteratorIjlEEPS9_SE_NS0_5tupleIJPjSE_EEENSF_IJSE_SE_EEES9_SG_JZNS1_25segmented_radix_sort_implINS0_14default_configELb0EPK6__halfPSL_PKlPlN2at6native12_GLOBAL__N_18offset_tEEE10hipError_tPvRmT1_PNSt15iterator_traitsISZ_E10value_typeET2_T3_PNS10_IS15_E10value_typeET4_jRbjT5_S1B_jjP12ihipStream_tbEUljE_EEESW_SX_SY_S15_S19_S1B_T6_T7_T9_mT8_S1D_bDpT10_ENKUlT_T0_E_clISt17integral_constantIbLb0EES1Q_EEDaS1L_S1M_EUlS1L_E_NS1_11comp_targetILNS1_3genE2ELNS1_11target_archE906ELNS1_3gpuE6ELNS1_3repE0EEENS1_30default_config_static_selectorELNS0_4arch9wavefront6targetE0EEEvSZ_.num_named_barrier, 0
	.set _ZN7rocprim17ROCPRIM_400000_NS6detail17trampoline_kernelINS0_13select_configILj256ELj13ELNS0_17block_load_methodE3ELS4_3ELS4_3ELNS0_20block_scan_algorithmE0ELj4294967295EEENS1_25partition_config_selectorILNS1_17partition_subalgoE3EjNS0_10empty_typeEbEEZZNS1_14partition_implILS8_3ELb0ES6_jNS0_17counting_iteratorIjlEEPS9_SE_NS0_5tupleIJPjSE_EEENSF_IJSE_SE_EEES9_SG_JZNS1_25segmented_radix_sort_implINS0_14default_configELb0EPK6__halfPSL_PKlPlN2at6native12_GLOBAL__N_18offset_tEEE10hipError_tPvRmT1_PNSt15iterator_traitsISZ_E10value_typeET2_T3_PNS10_IS15_E10value_typeET4_jRbjT5_S1B_jjP12ihipStream_tbEUljE_EEESW_SX_SY_S15_S19_S1B_T6_T7_T9_mT8_S1D_bDpT10_ENKUlT_T0_E_clISt17integral_constantIbLb0EES1Q_EEDaS1L_S1M_EUlS1L_E_NS1_11comp_targetILNS1_3genE2ELNS1_11target_archE906ELNS1_3gpuE6ELNS1_3repE0EEENS1_30default_config_static_selectorELNS0_4arch9wavefront6targetE0EEEvSZ_.private_seg_size, 0
	.set _ZN7rocprim17ROCPRIM_400000_NS6detail17trampoline_kernelINS0_13select_configILj256ELj13ELNS0_17block_load_methodE3ELS4_3ELS4_3ELNS0_20block_scan_algorithmE0ELj4294967295EEENS1_25partition_config_selectorILNS1_17partition_subalgoE3EjNS0_10empty_typeEbEEZZNS1_14partition_implILS8_3ELb0ES6_jNS0_17counting_iteratorIjlEEPS9_SE_NS0_5tupleIJPjSE_EEENSF_IJSE_SE_EEES9_SG_JZNS1_25segmented_radix_sort_implINS0_14default_configELb0EPK6__halfPSL_PKlPlN2at6native12_GLOBAL__N_18offset_tEEE10hipError_tPvRmT1_PNSt15iterator_traitsISZ_E10value_typeET2_T3_PNS10_IS15_E10value_typeET4_jRbjT5_S1B_jjP12ihipStream_tbEUljE_EEESW_SX_SY_S15_S19_S1B_T6_T7_T9_mT8_S1D_bDpT10_ENKUlT_T0_E_clISt17integral_constantIbLb0EES1Q_EEDaS1L_S1M_EUlS1L_E_NS1_11comp_targetILNS1_3genE2ELNS1_11target_archE906ELNS1_3gpuE6ELNS1_3repE0EEENS1_30default_config_static_selectorELNS0_4arch9wavefront6targetE0EEEvSZ_.uses_vcc, 0
	.set _ZN7rocprim17ROCPRIM_400000_NS6detail17trampoline_kernelINS0_13select_configILj256ELj13ELNS0_17block_load_methodE3ELS4_3ELS4_3ELNS0_20block_scan_algorithmE0ELj4294967295EEENS1_25partition_config_selectorILNS1_17partition_subalgoE3EjNS0_10empty_typeEbEEZZNS1_14partition_implILS8_3ELb0ES6_jNS0_17counting_iteratorIjlEEPS9_SE_NS0_5tupleIJPjSE_EEENSF_IJSE_SE_EEES9_SG_JZNS1_25segmented_radix_sort_implINS0_14default_configELb0EPK6__halfPSL_PKlPlN2at6native12_GLOBAL__N_18offset_tEEE10hipError_tPvRmT1_PNSt15iterator_traitsISZ_E10value_typeET2_T3_PNS10_IS15_E10value_typeET4_jRbjT5_S1B_jjP12ihipStream_tbEUljE_EEESW_SX_SY_S15_S19_S1B_T6_T7_T9_mT8_S1D_bDpT10_ENKUlT_T0_E_clISt17integral_constantIbLb0EES1Q_EEDaS1L_S1M_EUlS1L_E_NS1_11comp_targetILNS1_3genE2ELNS1_11target_archE906ELNS1_3gpuE6ELNS1_3repE0EEENS1_30default_config_static_selectorELNS0_4arch9wavefront6targetE0EEEvSZ_.uses_flat_scratch, 0
	.set _ZN7rocprim17ROCPRIM_400000_NS6detail17trampoline_kernelINS0_13select_configILj256ELj13ELNS0_17block_load_methodE3ELS4_3ELS4_3ELNS0_20block_scan_algorithmE0ELj4294967295EEENS1_25partition_config_selectorILNS1_17partition_subalgoE3EjNS0_10empty_typeEbEEZZNS1_14partition_implILS8_3ELb0ES6_jNS0_17counting_iteratorIjlEEPS9_SE_NS0_5tupleIJPjSE_EEENSF_IJSE_SE_EEES9_SG_JZNS1_25segmented_radix_sort_implINS0_14default_configELb0EPK6__halfPSL_PKlPlN2at6native12_GLOBAL__N_18offset_tEEE10hipError_tPvRmT1_PNSt15iterator_traitsISZ_E10value_typeET2_T3_PNS10_IS15_E10value_typeET4_jRbjT5_S1B_jjP12ihipStream_tbEUljE_EEESW_SX_SY_S15_S19_S1B_T6_T7_T9_mT8_S1D_bDpT10_ENKUlT_T0_E_clISt17integral_constantIbLb0EES1Q_EEDaS1L_S1M_EUlS1L_E_NS1_11comp_targetILNS1_3genE2ELNS1_11target_archE906ELNS1_3gpuE6ELNS1_3repE0EEENS1_30default_config_static_selectorELNS0_4arch9wavefront6targetE0EEEvSZ_.has_dyn_sized_stack, 0
	.set _ZN7rocprim17ROCPRIM_400000_NS6detail17trampoline_kernelINS0_13select_configILj256ELj13ELNS0_17block_load_methodE3ELS4_3ELS4_3ELNS0_20block_scan_algorithmE0ELj4294967295EEENS1_25partition_config_selectorILNS1_17partition_subalgoE3EjNS0_10empty_typeEbEEZZNS1_14partition_implILS8_3ELb0ES6_jNS0_17counting_iteratorIjlEEPS9_SE_NS0_5tupleIJPjSE_EEENSF_IJSE_SE_EEES9_SG_JZNS1_25segmented_radix_sort_implINS0_14default_configELb0EPK6__halfPSL_PKlPlN2at6native12_GLOBAL__N_18offset_tEEE10hipError_tPvRmT1_PNSt15iterator_traitsISZ_E10value_typeET2_T3_PNS10_IS15_E10value_typeET4_jRbjT5_S1B_jjP12ihipStream_tbEUljE_EEESW_SX_SY_S15_S19_S1B_T6_T7_T9_mT8_S1D_bDpT10_ENKUlT_T0_E_clISt17integral_constantIbLb0EES1Q_EEDaS1L_S1M_EUlS1L_E_NS1_11comp_targetILNS1_3genE2ELNS1_11target_archE906ELNS1_3gpuE6ELNS1_3repE0EEENS1_30default_config_static_selectorELNS0_4arch9wavefront6targetE0EEEvSZ_.has_recursion, 0
	.set _ZN7rocprim17ROCPRIM_400000_NS6detail17trampoline_kernelINS0_13select_configILj256ELj13ELNS0_17block_load_methodE3ELS4_3ELS4_3ELNS0_20block_scan_algorithmE0ELj4294967295EEENS1_25partition_config_selectorILNS1_17partition_subalgoE3EjNS0_10empty_typeEbEEZZNS1_14partition_implILS8_3ELb0ES6_jNS0_17counting_iteratorIjlEEPS9_SE_NS0_5tupleIJPjSE_EEENSF_IJSE_SE_EEES9_SG_JZNS1_25segmented_radix_sort_implINS0_14default_configELb0EPK6__halfPSL_PKlPlN2at6native12_GLOBAL__N_18offset_tEEE10hipError_tPvRmT1_PNSt15iterator_traitsISZ_E10value_typeET2_T3_PNS10_IS15_E10value_typeET4_jRbjT5_S1B_jjP12ihipStream_tbEUljE_EEESW_SX_SY_S15_S19_S1B_T6_T7_T9_mT8_S1D_bDpT10_ENKUlT_T0_E_clISt17integral_constantIbLb0EES1Q_EEDaS1L_S1M_EUlS1L_E_NS1_11comp_targetILNS1_3genE2ELNS1_11target_archE906ELNS1_3gpuE6ELNS1_3repE0EEENS1_30default_config_static_selectorELNS0_4arch9wavefront6targetE0EEEvSZ_.has_indirect_call, 0
	.section	.AMDGPU.csdata,"",@progbits
; Kernel info:
; codeLenInByte = 0
; TotalNumSgprs: 0
; NumVgprs: 0
; ScratchSize: 0
; MemoryBound: 0
; FloatMode: 240
; IeeeMode: 1
; LDSByteSize: 0 bytes/workgroup (compile time only)
; SGPRBlocks: 0
; VGPRBlocks: 0
; NumSGPRsForWavesPerEU: 1
; NumVGPRsForWavesPerEU: 1
; Occupancy: 16
; WaveLimiterHint : 0
; COMPUTE_PGM_RSRC2:SCRATCH_EN: 0
; COMPUTE_PGM_RSRC2:USER_SGPR: 6
; COMPUTE_PGM_RSRC2:TRAP_HANDLER: 0
; COMPUTE_PGM_RSRC2:TGID_X_EN: 1
; COMPUTE_PGM_RSRC2:TGID_Y_EN: 0
; COMPUTE_PGM_RSRC2:TGID_Z_EN: 0
; COMPUTE_PGM_RSRC2:TIDIG_COMP_CNT: 0
	.section	.text._ZN7rocprim17ROCPRIM_400000_NS6detail17trampoline_kernelINS0_13select_configILj256ELj13ELNS0_17block_load_methodE3ELS4_3ELS4_3ELNS0_20block_scan_algorithmE0ELj4294967295EEENS1_25partition_config_selectorILNS1_17partition_subalgoE3EjNS0_10empty_typeEbEEZZNS1_14partition_implILS8_3ELb0ES6_jNS0_17counting_iteratorIjlEEPS9_SE_NS0_5tupleIJPjSE_EEENSF_IJSE_SE_EEES9_SG_JZNS1_25segmented_radix_sort_implINS0_14default_configELb0EPK6__halfPSL_PKlPlN2at6native12_GLOBAL__N_18offset_tEEE10hipError_tPvRmT1_PNSt15iterator_traitsISZ_E10value_typeET2_T3_PNS10_IS15_E10value_typeET4_jRbjT5_S1B_jjP12ihipStream_tbEUljE_EEESW_SX_SY_S15_S19_S1B_T6_T7_T9_mT8_S1D_bDpT10_ENKUlT_T0_E_clISt17integral_constantIbLb0EES1Q_EEDaS1L_S1M_EUlS1L_E_NS1_11comp_targetILNS1_3genE10ELNS1_11target_archE1200ELNS1_3gpuE4ELNS1_3repE0EEENS1_30default_config_static_selectorELNS0_4arch9wavefront6targetE0EEEvSZ_,"axG",@progbits,_ZN7rocprim17ROCPRIM_400000_NS6detail17trampoline_kernelINS0_13select_configILj256ELj13ELNS0_17block_load_methodE3ELS4_3ELS4_3ELNS0_20block_scan_algorithmE0ELj4294967295EEENS1_25partition_config_selectorILNS1_17partition_subalgoE3EjNS0_10empty_typeEbEEZZNS1_14partition_implILS8_3ELb0ES6_jNS0_17counting_iteratorIjlEEPS9_SE_NS0_5tupleIJPjSE_EEENSF_IJSE_SE_EEES9_SG_JZNS1_25segmented_radix_sort_implINS0_14default_configELb0EPK6__halfPSL_PKlPlN2at6native12_GLOBAL__N_18offset_tEEE10hipError_tPvRmT1_PNSt15iterator_traitsISZ_E10value_typeET2_T3_PNS10_IS15_E10value_typeET4_jRbjT5_S1B_jjP12ihipStream_tbEUljE_EEESW_SX_SY_S15_S19_S1B_T6_T7_T9_mT8_S1D_bDpT10_ENKUlT_T0_E_clISt17integral_constantIbLb0EES1Q_EEDaS1L_S1M_EUlS1L_E_NS1_11comp_targetILNS1_3genE10ELNS1_11target_archE1200ELNS1_3gpuE4ELNS1_3repE0EEENS1_30default_config_static_selectorELNS0_4arch9wavefront6targetE0EEEvSZ_,comdat
	.globl	_ZN7rocprim17ROCPRIM_400000_NS6detail17trampoline_kernelINS0_13select_configILj256ELj13ELNS0_17block_load_methodE3ELS4_3ELS4_3ELNS0_20block_scan_algorithmE0ELj4294967295EEENS1_25partition_config_selectorILNS1_17partition_subalgoE3EjNS0_10empty_typeEbEEZZNS1_14partition_implILS8_3ELb0ES6_jNS0_17counting_iteratorIjlEEPS9_SE_NS0_5tupleIJPjSE_EEENSF_IJSE_SE_EEES9_SG_JZNS1_25segmented_radix_sort_implINS0_14default_configELb0EPK6__halfPSL_PKlPlN2at6native12_GLOBAL__N_18offset_tEEE10hipError_tPvRmT1_PNSt15iterator_traitsISZ_E10value_typeET2_T3_PNS10_IS15_E10value_typeET4_jRbjT5_S1B_jjP12ihipStream_tbEUljE_EEESW_SX_SY_S15_S19_S1B_T6_T7_T9_mT8_S1D_bDpT10_ENKUlT_T0_E_clISt17integral_constantIbLb0EES1Q_EEDaS1L_S1M_EUlS1L_E_NS1_11comp_targetILNS1_3genE10ELNS1_11target_archE1200ELNS1_3gpuE4ELNS1_3repE0EEENS1_30default_config_static_selectorELNS0_4arch9wavefront6targetE0EEEvSZ_ ; -- Begin function _ZN7rocprim17ROCPRIM_400000_NS6detail17trampoline_kernelINS0_13select_configILj256ELj13ELNS0_17block_load_methodE3ELS4_3ELS4_3ELNS0_20block_scan_algorithmE0ELj4294967295EEENS1_25partition_config_selectorILNS1_17partition_subalgoE3EjNS0_10empty_typeEbEEZZNS1_14partition_implILS8_3ELb0ES6_jNS0_17counting_iteratorIjlEEPS9_SE_NS0_5tupleIJPjSE_EEENSF_IJSE_SE_EEES9_SG_JZNS1_25segmented_radix_sort_implINS0_14default_configELb0EPK6__halfPSL_PKlPlN2at6native12_GLOBAL__N_18offset_tEEE10hipError_tPvRmT1_PNSt15iterator_traitsISZ_E10value_typeET2_T3_PNS10_IS15_E10value_typeET4_jRbjT5_S1B_jjP12ihipStream_tbEUljE_EEESW_SX_SY_S15_S19_S1B_T6_T7_T9_mT8_S1D_bDpT10_ENKUlT_T0_E_clISt17integral_constantIbLb0EES1Q_EEDaS1L_S1M_EUlS1L_E_NS1_11comp_targetILNS1_3genE10ELNS1_11target_archE1200ELNS1_3gpuE4ELNS1_3repE0EEENS1_30default_config_static_selectorELNS0_4arch9wavefront6targetE0EEEvSZ_
	.p2align	8
	.type	_ZN7rocprim17ROCPRIM_400000_NS6detail17trampoline_kernelINS0_13select_configILj256ELj13ELNS0_17block_load_methodE3ELS4_3ELS4_3ELNS0_20block_scan_algorithmE0ELj4294967295EEENS1_25partition_config_selectorILNS1_17partition_subalgoE3EjNS0_10empty_typeEbEEZZNS1_14partition_implILS8_3ELb0ES6_jNS0_17counting_iteratorIjlEEPS9_SE_NS0_5tupleIJPjSE_EEENSF_IJSE_SE_EEES9_SG_JZNS1_25segmented_radix_sort_implINS0_14default_configELb0EPK6__halfPSL_PKlPlN2at6native12_GLOBAL__N_18offset_tEEE10hipError_tPvRmT1_PNSt15iterator_traitsISZ_E10value_typeET2_T3_PNS10_IS15_E10value_typeET4_jRbjT5_S1B_jjP12ihipStream_tbEUljE_EEESW_SX_SY_S15_S19_S1B_T6_T7_T9_mT8_S1D_bDpT10_ENKUlT_T0_E_clISt17integral_constantIbLb0EES1Q_EEDaS1L_S1M_EUlS1L_E_NS1_11comp_targetILNS1_3genE10ELNS1_11target_archE1200ELNS1_3gpuE4ELNS1_3repE0EEENS1_30default_config_static_selectorELNS0_4arch9wavefront6targetE0EEEvSZ_,@function
_ZN7rocprim17ROCPRIM_400000_NS6detail17trampoline_kernelINS0_13select_configILj256ELj13ELNS0_17block_load_methodE3ELS4_3ELS4_3ELNS0_20block_scan_algorithmE0ELj4294967295EEENS1_25partition_config_selectorILNS1_17partition_subalgoE3EjNS0_10empty_typeEbEEZZNS1_14partition_implILS8_3ELb0ES6_jNS0_17counting_iteratorIjlEEPS9_SE_NS0_5tupleIJPjSE_EEENSF_IJSE_SE_EEES9_SG_JZNS1_25segmented_radix_sort_implINS0_14default_configELb0EPK6__halfPSL_PKlPlN2at6native12_GLOBAL__N_18offset_tEEE10hipError_tPvRmT1_PNSt15iterator_traitsISZ_E10value_typeET2_T3_PNS10_IS15_E10value_typeET4_jRbjT5_S1B_jjP12ihipStream_tbEUljE_EEESW_SX_SY_S15_S19_S1B_T6_T7_T9_mT8_S1D_bDpT10_ENKUlT_T0_E_clISt17integral_constantIbLb0EES1Q_EEDaS1L_S1M_EUlS1L_E_NS1_11comp_targetILNS1_3genE10ELNS1_11target_archE1200ELNS1_3gpuE4ELNS1_3repE0EEENS1_30default_config_static_selectorELNS0_4arch9wavefront6targetE0EEEvSZ_: ; @_ZN7rocprim17ROCPRIM_400000_NS6detail17trampoline_kernelINS0_13select_configILj256ELj13ELNS0_17block_load_methodE3ELS4_3ELS4_3ELNS0_20block_scan_algorithmE0ELj4294967295EEENS1_25partition_config_selectorILNS1_17partition_subalgoE3EjNS0_10empty_typeEbEEZZNS1_14partition_implILS8_3ELb0ES6_jNS0_17counting_iteratorIjlEEPS9_SE_NS0_5tupleIJPjSE_EEENSF_IJSE_SE_EEES9_SG_JZNS1_25segmented_radix_sort_implINS0_14default_configELb0EPK6__halfPSL_PKlPlN2at6native12_GLOBAL__N_18offset_tEEE10hipError_tPvRmT1_PNSt15iterator_traitsISZ_E10value_typeET2_T3_PNS10_IS15_E10value_typeET4_jRbjT5_S1B_jjP12ihipStream_tbEUljE_EEESW_SX_SY_S15_S19_S1B_T6_T7_T9_mT8_S1D_bDpT10_ENKUlT_T0_E_clISt17integral_constantIbLb0EES1Q_EEDaS1L_S1M_EUlS1L_E_NS1_11comp_targetILNS1_3genE10ELNS1_11target_archE1200ELNS1_3gpuE4ELNS1_3repE0EEENS1_30default_config_static_selectorELNS0_4arch9wavefront6targetE0EEEvSZ_
; %bb.0:
	.section	.rodata,"a",@progbits
	.p2align	6, 0x0
	.amdhsa_kernel _ZN7rocprim17ROCPRIM_400000_NS6detail17trampoline_kernelINS0_13select_configILj256ELj13ELNS0_17block_load_methodE3ELS4_3ELS4_3ELNS0_20block_scan_algorithmE0ELj4294967295EEENS1_25partition_config_selectorILNS1_17partition_subalgoE3EjNS0_10empty_typeEbEEZZNS1_14partition_implILS8_3ELb0ES6_jNS0_17counting_iteratorIjlEEPS9_SE_NS0_5tupleIJPjSE_EEENSF_IJSE_SE_EEES9_SG_JZNS1_25segmented_radix_sort_implINS0_14default_configELb0EPK6__halfPSL_PKlPlN2at6native12_GLOBAL__N_18offset_tEEE10hipError_tPvRmT1_PNSt15iterator_traitsISZ_E10value_typeET2_T3_PNS10_IS15_E10value_typeET4_jRbjT5_S1B_jjP12ihipStream_tbEUljE_EEESW_SX_SY_S15_S19_S1B_T6_T7_T9_mT8_S1D_bDpT10_ENKUlT_T0_E_clISt17integral_constantIbLb0EES1Q_EEDaS1L_S1M_EUlS1L_E_NS1_11comp_targetILNS1_3genE10ELNS1_11target_archE1200ELNS1_3gpuE4ELNS1_3repE0EEENS1_30default_config_static_selectorELNS0_4arch9wavefront6targetE0EEEvSZ_
		.amdhsa_group_segment_fixed_size 0
		.amdhsa_private_segment_fixed_size 0
		.amdhsa_kernarg_size 144
		.amdhsa_user_sgpr_count 6
		.amdhsa_user_sgpr_private_segment_buffer 1
		.amdhsa_user_sgpr_dispatch_ptr 0
		.amdhsa_user_sgpr_queue_ptr 0
		.amdhsa_user_sgpr_kernarg_segment_ptr 1
		.amdhsa_user_sgpr_dispatch_id 0
		.amdhsa_user_sgpr_flat_scratch_init 0
		.amdhsa_user_sgpr_private_segment_size 0
		.amdhsa_wavefront_size32 1
		.amdhsa_uses_dynamic_stack 0
		.amdhsa_system_sgpr_private_segment_wavefront_offset 0
		.amdhsa_system_sgpr_workgroup_id_x 1
		.amdhsa_system_sgpr_workgroup_id_y 0
		.amdhsa_system_sgpr_workgroup_id_z 0
		.amdhsa_system_sgpr_workgroup_info 0
		.amdhsa_system_vgpr_workitem_id 0
		.amdhsa_next_free_vgpr 1
		.amdhsa_next_free_sgpr 1
		.amdhsa_reserve_vcc 0
		.amdhsa_reserve_flat_scratch 0
		.amdhsa_float_round_mode_32 0
		.amdhsa_float_round_mode_16_64 0
		.amdhsa_float_denorm_mode_32 3
		.amdhsa_float_denorm_mode_16_64 3
		.amdhsa_dx10_clamp 1
		.amdhsa_ieee_mode 1
		.amdhsa_fp16_overflow 0
		.amdhsa_workgroup_processor_mode 1
		.amdhsa_memory_ordered 1
		.amdhsa_forward_progress 1
		.amdhsa_shared_vgpr_count 0
		.amdhsa_exception_fp_ieee_invalid_op 0
		.amdhsa_exception_fp_denorm_src 0
		.amdhsa_exception_fp_ieee_div_zero 0
		.amdhsa_exception_fp_ieee_overflow 0
		.amdhsa_exception_fp_ieee_underflow 0
		.amdhsa_exception_fp_ieee_inexact 0
		.amdhsa_exception_int_div_zero 0
	.end_amdhsa_kernel
	.section	.text._ZN7rocprim17ROCPRIM_400000_NS6detail17trampoline_kernelINS0_13select_configILj256ELj13ELNS0_17block_load_methodE3ELS4_3ELS4_3ELNS0_20block_scan_algorithmE0ELj4294967295EEENS1_25partition_config_selectorILNS1_17partition_subalgoE3EjNS0_10empty_typeEbEEZZNS1_14partition_implILS8_3ELb0ES6_jNS0_17counting_iteratorIjlEEPS9_SE_NS0_5tupleIJPjSE_EEENSF_IJSE_SE_EEES9_SG_JZNS1_25segmented_radix_sort_implINS0_14default_configELb0EPK6__halfPSL_PKlPlN2at6native12_GLOBAL__N_18offset_tEEE10hipError_tPvRmT1_PNSt15iterator_traitsISZ_E10value_typeET2_T3_PNS10_IS15_E10value_typeET4_jRbjT5_S1B_jjP12ihipStream_tbEUljE_EEESW_SX_SY_S15_S19_S1B_T6_T7_T9_mT8_S1D_bDpT10_ENKUlT_T0_E_clISt17integral_constantIbLb0EES1Q_EEDaS1L_S1M_EUlS1L_E_NS1_11comp_targetILNS1_3genE10ELNS1_11target_archE1200ELNS1_3gpuE4ELNS1_3repE0EEENS1_30default_config_static_selectorELNS0_4arch9wavefront6targetE0EEEvSZ_,"axG",@progbits,_ZN7rocprim17ROCPRIM_400000_NS6detail17trampoline_kernelINS0_13select_configILj256ELj13ELNS0_17block_load_methodE3ELS4_3ELS4_3ELNS0_20block_scan_algorithmE0ELj4294967295EEENS1_25partition_config_selectorILNS1_17partition_subalgoE3EjNS0_10empty_typeEbEEZZNS1_14partition_implILS8_3ELb0ES6_jNS0_17counting_iteratorIjlEEPS9_SE_NS0_5tupleIJPjSE_EEENSF_IJSE_SE_EEES9_SG_JZNS1_25segmented_radix_sort_implINS0_14default_configELb0EPK6__halfPSL_PKlPlN2at6native12_GLOBAL__N_18offset_tEEE10hipError_tPvRmT1_PNSt15iterator_traitsISZ_E10value_typeET2_T3_PNS10_IS15_E10value_typeET4_jRbjT5_S1B_jjP12ihipStream_tbEUljE_EEESW_SX_SY_S15_S19_S1B_T6_T7_T9_mT8_S1D_bDpT10_ENKUlT_T0_E_clISt17integral_constantIbLb0EES1Q_EEDaS1L_S1M_EUlS1L_E_NS1_11comp_targetILNS1_3genE10ELNS1_11target_archE1200ELNS1_3gpuE4ELNS1_3repE0EEENS1_30default_config_static_selectorELNS0_4arch9wavefront6targetE0EEEvSZ_,comdat
.Lfunc_end1805:
	.size	_ZN7rocprim17ROCPRIM_400000_NS6detail17trampoline_kernelINS0_13select_configILj256ELj13ELNS0_17block_load_methodE3ELS4_3ELS4_3ELNS0_20block_scan_algorithmE0ELj4294967295EEENS1_25partition_config_selectorILNS1_17partition_subalgoE3EjNS0_10empty_typeEbEEZZNS1_14partition_implILS8_3ELb0ES6_jNS0_17counting_iteratorIjlEEPS9_SE_NS0_5tupleIJPjSE_EEENSF_IJSE_SE_EEES9_SG_JZNS1_25segmented_radix_sort_implINS0_14default_configELb0EPK6__halfPSL_PKlPlN2at6native12_GLOBAL__N_18offset_tEEE10hipError_tPvRmT1_PNSt15iterator_traitsISZ_E10value_typeET2_T3_PNS10_IS15_E10value_typeET4_jRbjT5_S1B_jjP12ihipStream_tbEUljE_EEESW_SX_SY_S15_S19_S1B_T6_T7_T9_mT8_S1D_bDpT10_ENKUlT_T0_E_clISt17integral_constantIbLb0EES1Q_EEDaS1L_S1M_EUlS1L_E_NS1_11comp_targetILNS1_3genE10ELNS1_11target_archE1200ELNS1_3gpuE4ELNS1_3repE0EEENS1_30default_config_static_selectorELNS0_4arch9wavefront6targetE0EEEvSZ_, .Lfunc_end1805-_ZN7rocprim17ROCPRIM_400000_NS6detail17trampoline_kernelINS0_13select_configILj256ELj13ELNS0_17block_load_methodE3ELS4_3ELS4_3ELNS0_20block_scan_algorithmE0ELj4294967295EEENS1_25partition_config_selectorILNS1_17partition_subalgoE3EjNS0_10empty_typeEbEEZZNS1_14partition_implILS8_3ELb0ES6_jNS0_17counting_iteratorIjlEEPS9_SE_NS0_5tupleIJPjSE_EEENSF_IJSE_SE_EEES9_SG_JZNS1_25segmented_radix_sort_implINS0_14default_configELb0EPK6__halfPSL_PKlPlN2at6native12_GLOBAL__N_18offset_tEEE10hipError_tPvRmT1_PNSt15iterator_traitsISZ_E10value_typeET2_T3_PNS10_IS15_E10value_typeET4_jRbjT5_S1B_jjP12ihipStream_tbEUljE_EEESW_SX_SY_S15_S19_S1B_T6_T7_T9_mT8_S1D_bDpT10_ENKUlT_T0_E_clISt17integral_constantIbLb0EES1Q_EEDaS1L_S1M_EUlS1L_E_NS1_11comp_targetILNS1_3genE10ELNS1_11target_archE1200ELNS1_3gpuE4ELNS1_3repE0EEENS1_30default_config_static_selectorELNS0_4arch9wavefront6targetE0EEEvSZ_
                                        ; -- End function
	.set _ZN7rocprim17ROCPRIM_400000_NS6detail17trampoline_kernelINS0_13select_configILj256ELj13ELNS0_17block_load_methodE3ELS4_3ELS4_3ELNS0_20block_scan_algorithmE0ELj4294967295EEENS1_25partition_config_selectorILNS1_17partition_subalgoE3EjNS0_10empty_typeEbEEZZNS1_14partition_implILS8_3ELb0ES6_jNS0_17counting_iteratorIjlEEPS9_SE_NS0_5tupleIJPjSE_EEENSF_IJSE_SE_EEES9_SG_JZNS1_25segmented_radix_sort_implINS0_14default_configELb0EPK6__halfPSL_PKlPlN2at6native12_GLOBAL__N_18offset_tEEE10hipError_tPvRmT1_PNSt15iterator_traitsISZ_E10value_typeET2_T3_PNS10_IS15_E10value_typeET4_jRbjT5_S1B_jjP12ihipStream_tbEUljE_EEESW_SX_SY_S15_S19_S1B_T6_T7_T9_mT8_S1D_bDpT10_ENKUlT_T0_E_clISt17integral_constantIbLb0EES1Q_EEDaS1L_S1M_EUlS1L_E_NS1_11comp_targetILNS1_3genE10ELNS1_11target_archE1200ELNS1_3gpuE4ELNS1_3repE0EEENS1_30default_config_static_selectorELNS0_4arch9wavefront6targetE0EEEvSZ_.num_vgpr, 0
	.set _ZN7rocprim17ROCPRIM_400000_NS6detail17trampoline_kernelINS0_13select_configILj256ELj13ELNS0_17block_load_methodE3ELS4_3ELS4_3ELNS0_20block_scan_algorithmE0ELj4294967295EEENS1_25partition_config_selectorILNS1_17partition_subalgoE3EjNS0_10empty_typeEbEEZZNS1_14partition_implILS8_3ELb0ES6_jNS0_17counting_iteratorIjlEEPS9_SE_NS0_5tupleIJPjSE_EEENSF_IJSE_SE_EEES9_SG_JZNS1_25segmented_radix_sort_implINS0_14default_configELb0EPK6__halfPSL_PKlPlN2at6native12_GLOBAL__N_18offset_tEEE10hipError_tPvRmT1_PNSt15iterator_traitsISZ_E10value_typeET2_T3_PNS10_IS15_E10value_typeET4_jRbjT5_S1B_jjP12ihipStream_tbEUljE_EEESW_SX_SY_S15_S19_S1B_T6_T7_T9_mT8_S1D_bDpT10_ENKUlT_T0_E_clISt17integral_constantIbLb0EES1Q_EEDaS1L_S1M_EUlS1L_E_NS1_11comp_targetILNS1_3genE10ELNS1_11target_archE1200ELNS1_3gpuE4ELNS1_3repE0EEENS1_30default_config_static_selectorELNS0_4arch9wavefront6targetE0EEEvSZ_.num_agpr, 0
	.set _ZN7rocprim17ROCPRIM_400000_NS6detail17trampoline_kernelINS0_13select_configILj256ELj13ELNS0_17block_load_methodE3ELS4_3ELS4_3ELNS0_20block_scan_algorithmE0ELj4294967295EEENS1_25partition_config_selectorILNS1_17partition_subalgoE3EjNS0_10empty_typeEbEEZZNS1_14partition_implILS8_3ELb0ES6_jNS0_17counting_iteratorIjlEEPS9_SE_NS0_5tupleIJPjSE_EEENSF_IJSE_SE_EEES9_SG_JZNS1_25segmented_radix_sort_implINS0_14default_configELb0EPK6__halfPSL_PKlPlN2at6native12_GLOBAL__N_18offset_tEEE10hipError_tPvRmT1_PNSt15iterator_traitsISZ_E10value_typeET2_T3_PNS10_IS15_E10value_typeET4_jRbjT5_S1B_jjP12ihipStream_tbEUljE_EEESW_SX_SY_S15_S19_S1B_T6_T7_T9_mT8_S1D_bDpT10_ENKUlT_T0_E_clISt17integral_constantIbLb0EES1Q_EEDaS1L_S1M_EUlS1L_E_NS1_11comp_targetILNS1_3genE10ELNS1_11target_archE1200ELNS1_3gpuE4ELNS1_3repE0EEENS1_30default_config_static_selectorELNS0_4arch9wavefront6targetE0EEEvSZ_.numbered_sgpr, 0
	.set _ZN7rocprim17ROCPRIM_400000_NS6detail17trampoline_kernelINS0_13select_configILj256ELj13ELNS0_17block_load_methodE3ELS4_3ELS4_3ELNS0_20block_scan_algorithmE0ELj4294967295EEENS1_25partition_config_selectorILNS1_17partition_subalgoE3EjNS0_10empty_typeEbEEZZNS1_14partition_implILS8_3ELb0ES6_jNS0_17counting_iteratorIjlEEPS9_SE_NS0_5tupleIJPjSE_EEENSF_IJSE_SE_EEES9_SG_JZNS1_25segmented_radix_sort_implINS0_14default_configELb0EPK6__halfPSL_PKlPlN2at6native12_GLOBAL__N_18offset_tEEE10hipError_tPvRmT1_PNSt15iterator_traitsISZ_E10value_typeET2_T3_PNS10_IS15_E10value_typeET4_jRbjT5_S1B_jjP12ihipStream_tbEUljE_EEESW_SX_SY_S15_S19_S1B_T6_T7_T9_mT8_S1D_bDpT10_ENKUlT_T0_E_clISt17integral_constantIbLb0EES1Q_EEDaS1L_S1M_EUlS1L_E_NS1_11comp_targetILNS1_3genE10ELNS1_11target_archE1200ELNS1_3gpuE4ELNS1_3repE0EEENS1_30default_config_static_selectorELNS0_4arch9wavefront6targetE0EEEvSZ_.num_named_barrier, 0
	.set _ZN7rocprim17ROCPRIM_400000_NS6detail17trampoline_kernelINS0_13select_configILj256ELj13ELNS0_17block_load_methodE3ELS4_3ELS4_3ELNS0_20block_scan_algorithmE0ELj4294967295EEENS1_25partition_config_selectorILNS1_17partition_subalgoE3EjNS0_10empty_typeEbEEZZNS1_14partition_implILS8_3ELb0ES6_jNS0_17counting_iteratorIjlEEPS9_SE_NS0_5tupleIJPjSE_EEENSF_IJSE_SE_EEES9_SG_JZNS1_25segmented_radix_sort_implINS0_14default_configELb0EPK6__halfPSL_PKlPlN2at6native12_GLOBAL__N_18offset_tEEE10hipError_tPvRmT1_PNSt15iterator_traitsISZ_E10value_typeET2_T3_PNS10_IS15_E10value_typeET4_jRbjT5_S1B_jjP12ihipStream_tbEUljE_EEESW_SX_SY_S15_S19_S1B_T6_T7_T9_mT8_S1D_bDpT10_ENKUlT_T0_E_clISt17integral_constantIbLb0EES1Q_EEDaS1L_S1M_EUlS1L_E_NS1_11comp_targetILNS1_3genE10ELNS1_11target_archE1200ELNS1_3gpuE4ELNS1_3repE0EEENS1_30default_config_static_selectorELNS0_4arch9wavefront6targetE0EEEvSZ_.private_seg_size, 0
	.set _ZN7rocprim17ROCPRIM_400000_NS6detail17trampoline_kernelINS0_13select_configILj256ELj13ELNS0_17block_load_methodE3ELS4_3ELS4_3ELNS0_20block_scan_algorithmE0ELj4294967295EEENS1_25partition_config_selectorILNS1_17partition_subalgoE3EjNS0_10empty_typeEbEEZZNS1_14partition_implILS8_3ELb0ES6_jNS0_17counting_iteratorIjlEEPS9_SE_NS0_5tupleIJPjSE_EEENSF_IJSE_SE_EEES9_SG_JZNS1_25segmented_radix_sort_implINS0_14default_configELb0EPK6__halfPSL_PKlPlN2at6native12_GLOBAL__N_18offset_tEEE10hipError_tPvRmT1_PNSt15iterator_traitsISZ_E10value_typeET2_T3_PNS10_IS15_E10value_typeET4_jRbjT5_S1B_jjP12ihipStream_tbEUljE_EEESW_SX_SY_S15_S19_S1B_T6_T7_T9_mT8_S1D_bDpT10_ENKUlT_T0_E_clISt17integral_constantIbLb0EES1Q_EEDaS1L_S1M_EUlS1L_E_NS1_11comp_targetILNS1_3genE10ELNS1_11target_archE1200ELNS1_3gpuE4ELNS1_3repE0EEENS1_30default_config_static_selectorELNS0_4arch9wavefront6targetE0EEEvSZ_.uses_vcc, 0
	.set _ZN7rocprim17ROCPRIM_400000_NS6detail17trampoline_kernelINS0_13select_configILj256ELj13ELNS0_17block_load_methodE3ELS4_3ELS4_3ELNS0_20block_scan_algorithmE0ELj4294967295EEENS1_25partition_config_selectorILNS1_17partition_subalgoE3EjNS0_10empty_typeEbEEZZNS1_14partition_implILS8_3ELb0ES6_jNS0_17counting_iteratorIjlEEPS9_SE_NS0_5tupleIJPjSE_EEENSF_IJSE_SE_EEES9_SG_JZNS1_25segmented_radix_sort_implINS0_14default_configELb0EPK6__halfPSL_PKlPlN2at6native12_GLOBAL__N_18offset_tEEE10hipError_tPvRmT1_PNSt15iterator_traitsISZ_E10value_typeET2_T3_PNS10_IS15_E10value_typeET4_jRbjT5_S1B_jjP12ihipStream_tbEUljE_EEESW_SX_SY_S15_S19_S1B_T6_T7_T9_mT8_S1D_bDpT10_ENKUlT_T0_E_clISt17integral_constantIbLb0EES1Q_EEDaS1L_S1M_EUlS1L_E_NS1_11comp_targetILNS1_3genE10ELNS1_11target_archE1200ELNS1_3gpuE4ELNS1_3repE0EEENS1_30default_config_static_selectorELNS0_4arch9wavefront6targetE0EEEvSZ_.uses_flat_scratch, 0
	.set _ZN7rocprim17ROCPRIM_400000_NS6detail17trampoline_kernelINS0_13select_configILj256ELj13ELNS0_17block_load_methodE3ELS4_3ELS4_3ELNS0_20block_scan_algorithmE0ELj4294967295EEENS1_25partition_config_selectorILNS1_17partition_subalgoE3EjNS0_10empty_typeEbEEZZNS1_14partition_implILS8_3ELb0ES6_jNS0_17counting_iteratorIjlEEPS9_SE_NS0_5tupleIJPjSE_EEENSF_IJSE_SE_EEES9_SG_JZNS1_25segmented_radix_sort_implINS0_14default_configELb0EPK6__halfPSL_PKlPlN2at6native12_GLOBAL__N_18offset_tEEE10hipError_tPvRmT1_PNSt15iterator_traitsISZ_E10value_typeET2_T3_PNS10_IS15_E10value_typeET4_jRbjT5_S1B_jjP12ihipStream_tbEUljE_EEESW_SX_SY_S15_S19_S1B_T6_T7_T9_mT8_S1D_bDpT10_ENKUlT_T0_E_clISt17integral_constantIbLb0EES1Q_EEDaS1L_S1M_EUlS1L_E_NS1_11comp_targetILNS1_3genE10ELNS1_11target_archE1200ELNS1_3gpuE4ELNS1_3repE0EEENS1_30default_config_static_selectorELNS0_4arch9wavefront6targetE0EEEvSZ_.has_dyn_sized_stack, 0
	.set _ZN7rocprim17ROCPRIM_400000_NS6detail17trampoline_kernelINS0_13select_configILj256ELj13ELNS0_17block_load_methodE3ELS4_3ELS4_3ELNS0_20block_scan_algorithmE0ELj4294967295EEENS1_25partition_config_selectorILNS1_17partition_subalgoE3EjNS0_10empty_typeEbEEZZNS1_14partition_implILS8_3ELb0ES6_jNS0_17counting_iteratorIjlEEPS9_SE_NS0_5tupleIJPjSE_EEENSF_IJSE_SE_EEES9_SG_JZNS1_25segmented_radix_sort_implINS0_14default_configELb0EPK6__halfPSL_PKlPlN2at6native12_GLOBAL__N_18offset_tEEE10hipError_tPvRmT1_PNSt15iterator_traitsISZ_E10value_typeET2_T3_PNS10_IS15_E10value_typeET4_jRbjT5_S1B_jjP12ihipStream_tbEUljE_EEESW_SX_SY_S15_S19_S1B_T6_T7_T9_mT8_S1D_bDpT10_ENKUlT_T0_E_clISt17integral_constantIbLb0EES1Q_EEDaS1L_S1M_EUlS1L_E_NS1_11comp_targetILNS1_3genE10ELNS1_11target_archE1200ELNS1_3gpuE4ELNS1_3repE0EEENS1_30default_config_static_selectorELNS0_4arch9wavefront6targetE0EEEvSZ_.has_recursion, 0
	.set _ZN7rocprim17ROCPRIM_400000_NS6detail17trampoline_kernelINS0_13select_configILj256ELj13ELNS0_17block_load_methodE3ELS4_3ELS4_3ELNS0_20block_scan_algorithmE0ELj4294967295EEENS1_25partition_config_selectorILNS1_17partition_subalgoE3EjNS0_10empty_typeEbEEZZNS1_14partition_implILS8_3ELb0ES6_jNS0_17counting_iteratorIjlEEPS9_SE_NS0_5tupleIJPjSE_EEENSF_IJSE_SE_EEES9_SG_JZNS1_25segmented_radix_sort_implINS0_14default_configELb0EPK6__halfPSL_PKlPlN2at6native12_GLOBAL__N_18offset_tEEE10hipError_tPvRmT1_PNSt15iterator_traitsISZ_E10value_typeET2_T3_PNS10_IS15_E10value_typeET4_jRbjT5_S1B_jjP12ihipStream_tbEUljE_EEESW_SX_SY_S15_S19_S1B_T6_T7_T9_mT8_S1D_bDpT10_ENKUlT_T0_E_clISt17integral_constantIbLb0EES1Q_EEDaS1L_S1M_EUlS1L_E_NS1_11comp_targetILNS1_3genE10ELNS1_11target_archE1200ELNS1_3gpuE4ELNS1_3repE0EEENS1_30default_config_static_selectorELNS0_4arch9wavefront6targetE0EEEvSZ_.has_indirect_call, 0
	.section	.AMDGPU.csdata,"",@progbits
; Kernel info:
; codeLenInByte = 0
; TotalNumSgprs: 0
; NumVgprs: 0
; ScratchSize: 0
; MemoryBound: 0
; FloatMode: 240
; IeeeMode: 1
; LDSByteSize: 0 bytes/workgroup (compile time only)
; SGPRBlocks: 0
; VGPRBlocks: 0
; NumSGPRsForWavesPerEU: 1
; NumVGPRsForWavesPerEU: 1
; Occupancy: 16
; WaveLimiterHint : 0
; COMPUTE_PGM_RSRC2:SCRATCH_EN: 0
; COMPUTE_PGM_RSRC2:USER_SGPR: 6
; COMPUTE_PGM_RSRC2:TRAP_HANDLER: 0
; COMPUTE_PGM_RSRC2:TGID_X_EN: 1
; COMPUTE_PGM_RSRC2:TGID_Y_EN: 0
; COMPUTE_PGM_RSRC2:TGID_Z_EN: 0
; COMPUTE_PGM_RSRC2:TIDIG_COMP_CNT: 0
	.section	.text._ZN7rocprim17ROCPRIM_400000_NS6detail17trampoline_kernelINS0_13select_configILj256ELj13ELNS0_17block_load_methodE3ELS4_3ELS4_3ELNS0_20block_scan_algorithmE0ELj4294967295EEENS1_25partition_config_selectorILNS1_17partition_subalgoE3EjNS0_10empty_typeEbEEZZNS1_14partition_implILS8_3ELb0ES6_jNS0_17counting_iteratorIjlEEPS9_SE_NS0_5tupleIJPjSE_EEENSF_IJSE_SE_EEES9_SG_JZNS1_25segmented_radix_sort_implINS0_14default_configELb0EPK6__halfPSL_PKlPlN2at6native12_GLOBAL__N_18offset_tEEE10hipError_tPvRmT1_PNSt15iterator_traitsISZ_E10value_typeET2_T3_PNS10_IS15_E10value_typeET4_jRbjT5_S1B_jjP12ihipStream_tbEUljE_EEESW_SX_SY_S15_S19_S1B_T6_T7_T9_mT8_S1D_bDpT10_ENKUlT_T0_E_clISt17integral_constantIbLb0EES1Q_EEDaS1L_S1M_EUlS1L_E_NS1_11comp_targetILNS1_3genE9ELNS1_11target_archE1100ELNS1_3gpuE3ELNS1_3repE0EEENS1_30default_config_static_selectorELNS0_4arch9wavefront6targetE0EEEvSZ_,"axG",@progbits,_ZN7rocprim17ROCPRIM_400000_NS6detail17trampoline_kernelINS0_13select_configILj256ELj13ELNS0_17block_load_methodE3ELS4_3ELS4_3ELNS0_20block_scan_algorithmE0ELj4294967295EEENS1_25partition_config_selectorILNS1_17partition_subalgoE3EjNS0_10empty_typeEbEEZZNS1_14partition_implILS8_3ELb0ES6_jNS0_17counting_iteratorIjlEEPS9_SE_NS0_5tupleIJPjSE_EEENSF_IJSE_SE_EEES9_SG_JZNS1_25segmented_radix_sort_implINS0_14default_configELb0EPK6__halfPSL_PKlPlN2at6native12_GLOBAL__N_18offset_tEEE10hipError_tPvRmT1_PNSt15iterator_traitsISZ_E10value_typeET2_T3_PNS10_IS15_E10value_typeET4_jRbjT5_S1B_jjP12ihipStream_tbEUljE_EEESW_SX_SY_S15_S19_S1B_T6_T7_T9_mT8_S1D_bDpT10_ENKUlT_T0_E_clISt17integral_constantIbLb0EES1Q_EEDaS1L_S1M_EUlS1L_E_NS1_11comp_targetILNS1_3genE9ELNS1_11target_archE1100ELNS1_3gpuE3ELNS1_3repE0EEENS1_30default_config_static_selectorELNS0_4arch9wavefront6targetE0EEEvSZ_,comdat
	.globl	_ZN7rocprim17ROCPRIM_400000_NS6detail17trampoline_kernelINS0_13select_configILj256ELj13ELNS0_17block_load_methodE3ELS4_3ELS4_3ELNS0_20block_scan_algorithmE0ELj4294967295EEENS1_25partition_config_selectorILNS1_17partition_subalgoE3EjNS0_10empty_typeEbEEZZNS1_14partition_implILS8_3ELb0ES6_jNS0_17counting_iteratorIjlEEPS9_SE_NS0_5tupleIJPjSE_EEENSF_IJSE_SE_EEES9_SG_JZNS1_25segmented_radix_sort_implINS0_14default_configELb0EPK6__halfPSL_PKlPlN2at6native12_GLOBAL__N_18offset_tEEE10hipError_tPvRmT1_PNSt15iterator_traitsISZ_E10value_typeET2_T3_PNS10_IS15_E10value_typeET4_jRbjT5_S1B_jjP12ihipStream_tbEUljE_EEESW_SX_SY_S15_S19_S1B_T6_T7_T9_mT8_S1D_bDpT10_ENKUlT_T0_E_clISt17integral_constantIbLb0EES1Q_EEDaS1L_S1M_EUlS1L_E_NS1_11comp_targetILNS1_3genE9ELNS1_11target_archE1100ELNS1_3gpuE3ELNS1_3repE0EEENS1_30default_config_static_selectorELNS0_4arch9wavefront6targetE0EEEvSZ_ ; -- Begin function _ZN7rocprim17ROCPRIM_400000_NS6detail17trampoline_kernelINS0_13select_configILj256ELj13ELNS0_17block_load_methodE3ELS4_3ELS4_3ELNS0_20block_scan_algorithmE0ELj4294967295EEENS1_25partition_config_selectorILNS1_17partition_subalgoE3EjNS0_10empty_typeEbEEZZNS1_14partition_implILS8_3ELb0ES6_jNS0_17counting_iteratorIjlEEPS9_SE_NS0_5tupleIJPjSE_EEENSF_IJSE_SE_EEES9_SG_JZNS1_25segmented_radix_sort_implINS0_14default_configELb0EPK6__halfPSL_PKlPlN2at6native12_GLOBAL__N_18offset_tEEE10hipError_tPvRmT1_PNSt15iterator_traitsISZ_E10value_typeET2_T3_PNS10_IS15_E10value_typeET4_jRbjT5_S1B_jjP12ihipStream_tbEUljE_EEESW_SX_SY_S15_S19_S1B_T6_T7_T9_mT8_S1D_bDpT10_ENKUlT_T0_E_clISt17integral_constantIbLb0EES1Q_EEDaS1L_S1M_EUlS1L_E_NS1_11comp_targetILNS1_3genE9ELNS1_11target_archE1100ELNS1_3gpuE3ELNS1_3repE0EEENS1_30default_config_static_selectorELNS0_4arch9wavefront6targetE0EEEvSZ_
	.p2align	8
	.type	_ZN7rocprim17ROCPRIM_400000_NS6detail17trampoline_kernelINS0_13select_configILj256ELj13ELNS0_17block_load_methodE3ELS4_3ELS4_3ELNS0_20block_scan_algorithmE0ELj4294967295EEENS1_25partition_config_selectorILNS1_17partition_subalgoE3EjNS0_10empty_typeEbEEZZNS1_14partition_implILS8_3ELb0ES6_jNS0_17counting_iteratorIjlEEPS9_SE_NS0_5tupleIJPjSE_EEENSF_IJSE_SE_EEES9_SG_JZNS1_25segmented_radix_sort_implINS0_14default_configELb0EPK6__halfPSL_PKlPlN2at6native12_GLOBAL__N_18offset_tEEE10hipError_tPvRmT1_PNSt15iterator_traitsISZ_E10value_typeET2_T3_PNS10_IS15_E10value_typeET4_jRbjT5_S1B_jjP12ihipStream_tbEUljE_EEESW_SX_SY_S15_S19_S1B_T6_T7_T9_mT8_S1D_bDpT10_ENKUlT_T0_E_clISt17integral_constantIbLb0EES1Q_EEDaS1L_S1M_EUlS1L_E_NS1_11comp_targetILNS1_3genE9ELNS1_11target_archE1100ELNS1_3gpuE3ELNS1_3repE0EEENS1_30default_config_static_selectorELNS0_4arch9wavefront6targetE0EEEvSZ_,@function
_ZN7rocprim17ROCPRIM_400000_NS6detail17trampoline_kernelINS0_13select_configILj256ELj13ELNS0_17block_load_methodE3ELS4_3ELS4_3ELNS0_20block_scan_algorithmE0ELj4294967295EEENS1_25partition_config_selectorILNS1_17partition_subalgoE3EjNS0_10empty_typeEbEEZZNS1_14partition_implILS8_3ELb0ES6_jNS0_17counting_iteratorIjlEEPS9_SE_NS0_5tupleIJPjSE_EEENSF_IJSE_SE_EEES9_SG_JZNS1_25segmented_radix_sort_implINS0_14default_configELb0EPK6__halfPSL_PKlPlN2at6native12_GLOBAL__N_18offset_tEEE10hipError_tPvRmT1_PNSt15iterator_traitsISZ_E10value_typeET2_T3_PNS10_IS15_E10value_typeET4_jRbjT5_S1B_jjP12ihipStream_tbEUljE_EEESW_SX_SY_S15_S19_S1B_T6_T7_T9_mT8_S1D_bDpT10_ENKUlT_T0_E_clISt17integral_constantIbLb0EES1Q_EEDaS1L_S1M_EUlS1L_E_NS1_11comp_targetILNS1_3genE9ELNS1_11target_archE1100ELNS1_3gpuE3ELNS1_3repE0EEENS1_30default_config_static_selectorELNS0_4arch9wavefront6targetE0EEEvSZ_: ; @_ZN7rocprim17ROCPRIM_400000_NS6detail17trampoline_kernelINS0_13select_configILj256ELj13ELNS0_17block_load_methodE3ELS4_3ELS4_3ELNS0_20block_scan_algorithmE0ELj4294967295EEENS1_25partition_config_selectorILNS1_17partition_subalgoE3EjNS0_10empty_typeEbEEZZNS1_14partition_implILS8_3ELb0ES6_jNS0_17counting_iteratorIjlEEPS9_SE_NS0_5tupleIJPjSE_EEENSF_IJSE_SE_EEES9_SG_JZNS1_25segmented_radix_sort_implINS0_14default_configELb0EPK6__halfPSL_PKlPlN2at6native12_GLOBAL__N_18offset_tEEE10hipError_tPvRmT1_PNSt15iterator_traitsISZ_E10value_typeET2_T3_PNS10_IS15_E10value_typeET4_jRbjT5_S1B_jjP12ihipStream_tbEUljE_EEESW_SX_SY_S15_S19_S1B_T6_T7_T9_mT8_S1D_bDpT10_ENKUlT_T0_E_clISt17integral_constantIbLb0EES1Q_EEDaS1L_S1M_EUlS1L_E_NS1_11comp_targetILNS1_3genE9ELNS1_11target_archE1100ELNS1_3gpuE3ELNS1_3repE0EEENS1_30default_config_static_selectorELNS0_4arch9wavefront6targetE0EEEvSZ_
; %bb.0:
	.section	.rodata,"a",@progbits
	.p2align	6, 0x0
	.amdhsa_kernel _ZN7rocprim17ROCPRIM_400000_NS6detail17trampoline_kernelINS0_13select_configILj256ELj13ELNS0_17block_load_methodE3ELS4_3ELS4_3ELNS0_20block_scan_algorithmE0ELj4294967295EEENS1_25partition_config_selectorILNS1_17partition_subalgoE3EjNS0_10empty_typeEbEEZZNS1_14partition_implILS8_3ELb0ES6_jNS0_17counting_iteratorIjlEEPS9_SE_NS0_5tupleIJPjSE_EEENSF_IJSE_SE_EEES9_SG_JZNS1_25segmented_radix_sort_implINS0_14default_configELb0EPK6__halfPSL_PKlPlN2at6native12_GLOBAL__N_18offset_tEEE10hipError_tPvRmT1_PNSt15iterator_traitsISZ_E10value_typeET2_T3_PNS10_IS15_E10value_typeET4_jRbjT5_S1B_jjP12ihipStream_tbEUljE_EEESW_SX_SY_S15_S19_S1B_T6_T7_T9_mT8_S1D_bDpT10_ENKUlT_T0_E_clISt17integral_constantIbLb0EES1Q_EEDaS1L_S1M_EUlS1L_E_NS1_11comp_targetILNS1_3genE9ELNS1_11target_archE1100ELNS1_3gpuE3ELNS1_3repE0EEENS1_30default_config_static_selectorELNS0_4arch9wavefront6targetE0EEEvSZ_
		.amdhsa_group_segment_fixed_size 0
		.amdhsa_private_segment_fixed_size 0
		.amdhsa_kernarg_size 144
		.amdhsa_user_sgpr_count 6
		.amdhsa_user_sgpr_private_segment_buffer 1
		.amdhsa_user_sgpr_dispatch_ptr 0
		.amdhsa_user_sgpr_queue_ptr 0
		.amdhsa_user_sgpr_kernarg_segment_ptr 1
		.amdhsa_user_sgpr_dispatch_id 0
		.amdhsa_user_sgpr_flat_scratch_init 0
		.amdhsa_user_sgpr_private_segment_size 0
		.amdhsa_wavefront_size32 1
		.amdhsa_uses_dynamic_stack 0
		.amdhsa_system_sgpr_private_segment_wavefront_offset 0
		.amdhsa_system_sgpr_workgroup_id_x 1
		.amdhsa_system_sgpr_workgroup_id_y 0
		.amdhsa_system_sgpr_workgroup_id_z 0
		.amdhsa_system_sgpr_workgroup_info 0
		.amdhsa_system_vgpr_workitem_id 0
		.amdhsa_next_free_vgpr 1
		.amdhsa_next_free_sgpr 1
		.amdhsa_reserve_vcc 0
		.amdhsa_reserve_flat_scratch 0
		.amdhsa_float_round_mode_32 0
		.amdhsa_float_round_mode_16_64 0
		.amdhsa_float_denorm_mode_32 3
		.amdhsa_float_denorm_mode_16_64 3
		.amdhsa_dx10_clamp 1
		.amdhsa_ieee_mode 1
		.amdhsa_fp16_overflow 0
		.amdhsa_workgroup_processor_mode 1
		.amdhsa_memory_ordered 1
		.amdhsa_forward_progress 1
		.amdhsa_shared_vgpr_count 0
		.amdhsa_exception_fp_ieee_invalid_op 0
		.amdhsa_exception_fp_denorm_src 0
		.amdhsa_exception_fp_ieee_div_zero 0
		.amdhsa_exception_fp_ieee_overflow 0
		.amdhsa_exception_fp_ieee_underflow 0
		.amdhsa_exception_fp_ieee_inexact 0
		.amdhsa_exception_int_div_zero 0
	.end_amdhsa_kernel
	.section	.text._ZN7rocprim17ROCPRIM_400000_NS6detail17trampoline_kernelINS0_13select_configILj256ELj13ELNS0_17block_load_methodE3ELS4_3ELS4_3ELNS0_20block_scan_algorithmE0ELj4294967295EEENS1_25partition_config_selectorILNS1_17partition_subalgoE3EjNS0_10empty_typeEbEEZZNS1_14partition_implILS8_3ELb0ES6_jNS0_17counting_iteratorIjlEEPS9_SE_NS0_5tupleIJPjSE_EEENSF_IJSE_SE_EEES9_SG_JZNS1_25segmented_radix_sort_implINS0_14default_configELb0EPK6__halfPSL_PKlPlN2at6native12_GLOBAL__N_18offset_tEEE10hipError_tPvRmT1_PNSt15iterator_traitsISZ_E10value_typeET2_T3_PNS10_IS15_E10value_typeET4_jRbjT5_S1B_jjP12ihipStream_tbEUljE_EEESW_SX_SY_S15_S19_S1B_T6_T7_T9_mT8_S1D_bDpT10_ENKUlT_T0_E_clISt17integral_constantIbLb0EES1Q_EEDaS1L_S1M_EUlS1L_E_NS1_11comp_targetILNS1_3genE9ELNS1_11target_archE1100ELNS1_3gpuE3ELNS1_3repE0EEENS1_30default_config_static_selectorELNS0_4arch9wavefront6targetE0EEEvSZ_,"axG",@progbits,_ZN7rocprim17ROCPRIM_400000_NS6detail17trampoline_kernelINS0_13select_configILj256ELj13ELNS0_17block_load_methodE3ELS4_3ELS4_3ELNS0_20block_scan_algorithmE0ELj4294967295EEENS1_25partition_config_selectorILNS1_17partition_subalgoE3EjNS0_10empty_typeEbEEZZNS1_14partition_implILS8_3ELb0ES6_jNS0_17counting_iteratorIjlEEPS9_SE_NS0_5tupleIJPjSE_EEENSF_IJSE_SE_EEES9_SG_JZNS1_25segmented_radix_sort_implINS0_14default_configELb0EPK6__halfPSL_PKlPlN2at6native12_GLOBAL__N_18offset_tEEE10hipError_tPvRmT1_PNSt15iterator_traitsISZ_E10value_typeET2_T3_PNS10_IS15_E10value_typeET4_jRbjT5_S1B_jjP12ihipStream_tbEUljE_EEESW_SX_SY_S15_S19_S1B_T6_T7_T9_mT8_S1D_bDpT10_ENKUlT_T0_E_clISt17integral_constantIbLb0EES1Q_EEDaS1L_S1M_EUlS1L_E_NS1_11comp_targetILNS1_3genE9ELNS1_11target_archE1100ELNS1_3gpuE3ELNS1_3repE0EEENS1_30default_config_static_selectorELNS0_4arch9wavefront6targetE0EEEvSZ_,comdat
.Lfunc_end1806:
	.size	_ZN7rocprim17ROCPRIM_400000_NS6detail17trampoline_kernelINS0_13select_configILj256ELj13ELNS0_17block_load_methodE3ELS4_3ELS4_3ELNS0_20block_scan_algorithmE0ELj4294967295EEENS1_25partition_config_selectorILNS1_17partition_subalgoE3EjNS0_10empty_typeEbEEZZNS1_14partition_implILS8_3ELb0ES6_jNS0_17counting_iteratorIjlEEPS9_SE_NS0_5tupleIJPjSE_EEENSF_IJSE_SE_EEES9_SG_JZNS1_25segmented_radix_sort_implINS0_14default_configELb0EPK6__halfPSL_PKlPlN2at6native12_GLOBAL__N_18offset_tEEE10hipError_tPvRmT1_PNSt15iterator_traitsISZ_E10value_typeET2_T3_PNS10_IS15_E10value_typeET4_jRbjT5_S1B_jjP12ihipStream_tbEUljE_EEESW_SX_SY_S15_S19_S1B_T6_T7_T9_mT8_S1D_bDpT10_ENKUlT_T0_E_clISt17integral_constantIbLb0EES1Q_EEDaS1L_S1M_EUlS1L_E_NS1_11comp_targetILNS1_3genE9ELNS1_11target_archE1100ELNS1_3gpuE3ELNS1_3repE0EEENS1_30default_config_static_selectorELNS0_4arch9wavefront6targetE0EEEvSZ_, .Lfunc_end1806-_ZN7rocprim17ROCPRIM_400000_NS6detail17trampoline_kernelINS0_13select_configILj256ELj13ELNS0_17block_load_methodE3ELS4_3ELS4_3ELNS0_20block_scan_algorithmE0ELj4294967295EEENS1_25partition_config_selectorILNS1_17partition_subalgoE3EjNS0_10empty_typeEbEEZZNS1_14partition_implILS8_3ELb0ES6_jNS0_17counting_iteratorIjlEEPS9_SE_NS0_5tupleIJPjSE_EEENSF_IJSE_SE_EEES9_SG_JZNS1_25segmented_radix_sort_implINS0_14default_configELb0EPK6__halfPSL_PKlPlN2at6native12_GLOBAL__N_18offset_tEEE10hipError_tPvRmT1_PNSt15iterator_traitsISZ_E10value_typeET2_T3_PNS10_IS15_E10value_typeET4_jRbjT5_S1B_jjP12ihipStream_tbEUljE_EEESW_SX_SY_S15_S19_S1B_T6_T7_T9_mT8_S1D_bDpT10_ENKUlT_T0_E_clISt17integral_constantIbLb0EES1Q_EEDaS1L_S1M_EUlS1L_E_NS1_11comp_targetILNS1_3genE9ELNS1_11target_archE1100ELNS1_3gpuE3ELNS1_3repE0EEENS1_30default_config_static_selectorELNS0_4arch9wavefront6targetE0EEEvSZ_
                                        ; -- End function
	.set _ZN7rocprim17ROCPRIM_400000_NS6detail17trampoline_kernelINS0_13select_configILj256ELj13ELNS0_17block_load_methodE3ELS4_3ELS4_3ELNS0_20block_scan_algorithmE0ELj4294967295EEENS1_25partition_config_selectorILNS1_17partition_subalgoE3EjNS0_10empty_typeEbEEZZNS1_14partition_implILS8_3ELb0ES6_jNS0_17counting_iteratorIjlEEPS9_SE_NS0_5tupleIJPjSE_EEENSF_IJSE_SE_EEES9_SG_JZNS1_25segmented_radix_sort_implINS0_14default_configELb0EPK6__halfPSL_PKlPlN2at6native12_GLOBAL__N_18offset_tEEE10hipError_tPvRmT1_PNSt15iterator_traitsISZ_E10value_typeET2_T3_PNS10_IS15_E10value_typeET4_jRbjT5_S1B_jjP12ihipStream_tbEUljE_EEESW_SX_SY_S15_S19_S1B_T6_T7_T9_mT8_S1D_bDpT10_ENKUlT_T0_E_clISt17integral_constantIbLb0EES1Q_EEDaS1L_S1M_EUlS1L_E_NS1_11comp_targetILNS1_3genE9ELNS1_11target_archE1100ELNS1_3gpuE3ELNS1_3repE0EEENS1_30default_config_static_selectorELNS0_4arch9wavefront6targetE0EEEvSZ_.num_vgpr, 0
	.set _ZN7rocprim17ROCPRIM_400000_NS6detail17trampoline_kernelINS0_13select_configILj256ELj13ELNS0_17block_load_methodE3ELS4_3ELS4_3ELNS0_20block_scan_algorithmE0ELj4294967295EEENS1_25partition_config_selectorILNS1_17partition_subalgoE3EjNS0_10empty_typeEbEEZZNS1_14partition_implILS8_3ELb0ES6_jNS0_17counting_iteratorIjlEEPS9_SE_NS0_5tupleIJPjSE_EEENSF_IJSE_SE_EEES9_SG_JZNS1_25segmented_radix_sort_implINS0_14default_configELb0EPK6__halfPSL_PKlPlN2at6native12_GLOBAL__N_18offset_tEEE10hipError_tPvRmT1_PNSt15iterator_traitsISZ_E10value_typeET2_T3_PNS10_IS15_E10value_typeET4_jRbjT5_S1B_jjP12ihipStream_tbEUljE_EEESW_SX_SY_S15_S19_S1B_T6_T7_T9_mT8_S1D_bDpT10_ENKUlT_T0_E_clISt17integral_constantIbLb0EES1Q_EEDaS1L_S1M_EUlS1L_E_NS1_11comp_targetILNS1_3genE9ELNS1_11target_archE1100ELNS1_3gpuE3ELNS1_3repE0EEENS1_30default_config_static_selectorELNS0_4arch9wavefront6targetE0EEEvSZ_.num_agpr, 0
	.set _ZN7rocprim17ROCPRIM_400000_NS6detail17trampoline_kernelINS0_13select_configILj256ELj13ELNS0_17block_load_methodE3ELS4_3ELS4_3ELNS0_20block_scan_algorithmE0ELj4294967295EEENS1_25partition_config_selectorILNS1_17partition_subalgoE3EjNS0_10empty_typeEbEEZZNS1_14partition_implILS8_3ELb0ES6_jNS0_17counting_iteratorIjlEEPS9_SE_NS0_5tupleIJPjSE_EEENSF_IJSE_SE_EEES9_SG_JZNS1_25segmented_radix_sort_implINS0_14default_configELb0EPK6__halfPSL_PKlPlN2at6native12_GLOBAL__N_18offset_tEEE10hipError_tPvRmT1_PNSt15iterator_traitsISZ_E10value_typeET2_T3_PNS10_IS15_E10value_typeET4_jRbjT5_S1B_jjP12ihipStream_tbEUljE_EEESW_SX_SY_S15_S19_S1B_T6_T7_T9_mT8_S1D_bDpT10_ENKUlT_T0_E_clISt17integral_constantIbLb0EES1Q_EEDaS1L_S1M_EUlS1L_E_NS1_11comp_targetILNS1_3genE9ELNS1_11target_archE1100ELNS1_3gpuE3ELNS1_3repE0EEENS1_30default_config_static_selectorELNS0_4arch9wavefront6targetE0EEEvSZ_.numbered_sgpr, 0
	.set _ZN7rocprim17ROCPRIM_400000_NS6detail17trampoline_kernelINS0_13select_configILj256ELj13ELNS0_17block_load_methodE3ELS4_3ELS4_3ELNS0_20block_scan_algorithmE0ELj4294967295EEENS1_25partition_config_selectorILNS1_17partition_subalgoE3EjNS0_10empty_typeEbEEZZNS1_14partition_implILS8_3ELb0ES6_jNS0_17counting_iteratorIjlEEPS9_SE_NS0_5tupleIJPjSE_EEENSF_IJSE_SE_EEES9_SG_JZNS1_25segmented_radix_sort_implINS0_14default_configELb0EPK6__halfPSL_PKlPlN2at6native12_GLOBAL__N_18offset_tEEE10hipError_tPvRmT1_PNSt15iterator_traitsISZ_E10value_typeET2_T3_PNS10_IS15_E10value_typeET4_jRbjT5_S1B_jjP12ihipStream_tbEUljE_EEESW_SX_SY_S15_S19_S1B_T6_T7_T9_mT8_S1D_bDpT10_ENKUlT_T0_E_clISt17integral_constantIbLb0EES1Q_EEDaS1L_S1M_EUlS1L_E_NS1_11comp_targetILNS1_3genE9ELNS1_11target_archE1100ELNS1_3gpuE3ELNS1_3repE0EEENS1_30default_config_static_selectorELNS0_4arch9wavefront6targetE0EEEvSZ_.num_named_barrier, 0
	.set _ZN7rocprim17ROCPRIM_400000_NS6detail17trampoline_kernelINS0_13select_configILj256ELj13ELNS0_17block_load_methodE3ELS4_3ELS4_3ELNS0_20block_scan_algorithmE0ELj4294967295EEENS1_25partition_config_selectorILNS1_17partition_subalgoE3EjNS0_10empty_typeEbEEZZNS1_14partition_implILS8_3ELb0ES6_jNS0_17counting_iteratorIjlEEPS9_SE_NS0_5tupleIJPjSE_EEENSF_IJSE_SE_EEES9_SG_JZNS1_25segmented_radix_sort_implINS0_14default_configELb0EPK6__halfPSL_PKlPlN2at6native12_GLOBAL__N_18offset_tEEE10hipError_tPvRmT1_PNSt15iterator_traitsISZ_E10value_typeET2_T3_PNS10_IS15_E10value_typeET4_jRbjT5_S1B_jjP12ihipStream_tbEUljE_EEESW_SX_SY_S15_S19_S1B_T6_T7_T9_mT8_S1D_bDpT10_ENKUlT_T0_E_clISt17integral_constantIbLb0EES1Q_EEDaS1L_S1M_EUlS1L_E_NS1_11comp_targetILNS1_3genE9ELNS1_11target_archE1100ELNS1_3gpuE3ELNS1_3repE0EEENS1_30default_config_static_selectorELNS0_4arch9wavefront6targetE0EEEvSZ_.private_seg_size, 0
	.set _ZN7rocprim17ROCPRIM_400000_NS6detail17trampoline_kernelINS0_13select_configILj256ELj13ELNS0_17block_load_methodE3ELS4_3ELS4_3ELNS0_20block_scan_algorithmE0ELj4294967295EEENS1_25partition_config_selectorILNS1_17partition_subalgoE3EjNS0_10empty_typeEbEEZZNS1_14partition_implILS8_3ELb0ES6_jNS0_17counting_iteratorIjlEEPS9_SE_NS0_5tupleIJPjSE_EEENSF_IJSE_SE_EEES9_SG_JZNS1_25segmented_radix_sort_implINS0_14default_configELb0EPK6__halfPSL_PKlPlN2at6native12_GLOBAL__N_18offset_tEEE10hipError_tPvRmT1_PNSt15iterator_traitsISZ_E10value_typeET2_T3_PNS10_IS15_E10value_typeET4_jRbjT5_S1B_jjP12ihipStream_tbEUljE_EEESW_SX_SY_S15_S19_S1B_T6_T7_T9_mT8_S1D_bDpT10_ENKUlT_T0_E_clISt17integral_constantIbLb0EES1Q_EEDaS1L_S1M_EUlS1L_E_NS1_11comp_targetILNS1_3genE9ELNS1_11target_archE1100ELNS1_3gpuE3ELNS1_3repE0EEENS1_30default_config_static_selectorELNS0_4arch9wavefront6targetE0EEEvSZ_.uses_vcc, 0
	.set _ZN7rocprim17ROCPRIM_400000_NS6detail17trampoline_kernelINS0_13select_configILj256ELj13ELNS0_17block_load_methodE3ELS4_3ELS4_3ELNS0_20block_scan_algorithmE0ELj4294967295EEENS1_25partition_config_selectorILNS1_17partition_subalgoE3EjNS0_10empty_typeEbEEZZNS1_14partition_implILS8_3ELb0ES6_jNS0_17counting_iteratorIjlEEPS9_SE_NS0_5tupleIJPjSE_EEENSF_IJSE_SE_EEES9_SG_JZNS1_25segmented_radix_sort_implINS0_14default_configELb0EPK6__halfPSL_PKlPlN2at6native12_GLOBAL__N_18offset_tEEE10hipError_tPvRmT1_PNSt15iterator_traitsISZ_E10value_typeET2_T3_PNS10_IS15_E10value_typeET4_jRbjT5_S1B_jjP12ihipStream_tbEUljE_EEESW_SX_SY_S15_S19_S1B_T6_T7_T9_mT8_S1D_bDpT10_ENKUlT_T0_E_clISt17integral_constantIbLb0EES1Q_EEDaS1L_S1M_EUlS1L_E_NS1_11comp_targetILNS1_3genE9ELNS1_11target_archE1100ELNS1_3gpuE3ELNS1_3repE0EEENS1_30default_config_static_selectorELNS0_4arch9wavefront6targetE0EEEvSZ_.uses_flat_scratch, 0
	.set _ZN7rocprim17ROCPRIM_400000_NS6detail17trampoline_kernelINS0_13select_configILj256ELj13ELNS0_17block_load_methodE3ELS4_3ELS4_3ELNS0_20block_scan_algorithmE0ELj4294967295EEENS1_25partition_config_selectorILNS1_17partition_subalgoE3EjNS0_10empty_typeEbEEZZNS1_14partition_implILS8_3ELb0ES6_jNS0_17counting_iteratorIjlEEPS9_SE_NS0_5tupleIJPjSE_EEENSF_IJSE_SE_EEES9_SG_JZNS1_25segmented_radix_sort_implINS0_14default_configELb0EPK6__halfPSL_PKlPlN2at6native12_GLOBAL__N_18offset_tEEE10hipError_tPvRmT1_PNSt15iterator_traitsISZ_E10value_typeET2_T3_PNS10_IS15_E10value_typeET4_jRbjT5_S1B_jjP12ihipStream_tbEUljE_EEESW_SX_SY_S15_S19_S1B_T6_T7_T9_mT8_S1D_bDpT10_ENKUlT_T0_E_clISt17integral_constantIbLb0EES1Q_EEDaS1L_S1M_EUlS1L_E_NS1_11comp_targetILNS1_3genE9ELNS1_11target_archE1100ELNS1_3gpuE3ELNS1_3repE0EEENS1_30default_config_static_selectorELNS0_4arch9wavefront6targetE0EEEvSZ_.has_dyn_sized_stack, 0
	.set _ZN7rocprim17ROCPRIM_400000_NS6detail17trampoline_kernelINS0_13select_configILj256ELj13ELNS0_17block_load_methodE3ELS4_3ELS4_3ELNS0_20block_scan_algorithmE0ELj4294967295EEENS1_25partition_config_selectorILNS1_17partition_subalgoE3EjNS0_10empty_typeEbEEZZNS1_14partition_implILS8_3ELb0ES6_jNS0_17counting_iteratorIjlEEPS9_SE_NS0_5tupleIJPjSE_EEENSF_IJSE_SE_EEES9_SG_JZNS1_25segmented_radix_sort_implINS0_14default_configELb0EPK6__halfPSL_PKlPlN2at6native12_GLOBAL__N_18offset_tEEE10hipError_tPvRmT1_PNSt15iterator_traitsISZ_E10value_typeET2_T3_PNS10_IS15_E10value_typeET4_jRbjT5_S1B_jjP12ihipStream_tbEUljE_EEESW_SX_SY_S15_S19_S1B_T6_T7_T9_mT8_S1D_bDpT10_ENKUlT_T0_E_clISt17integral_constantIbLb0EES1Q_EEDaS1L_S1M_EUlS1L_E_NS1_11comp_targetILNS1_3genE9ELNS1_11target_archE1100ELNS1_3gpuE3ELNS1_3repE0EEENS1_30default_config_static_selectorELNS0_4arch9wavefront6targetE0EEEvSZ_.has_recursion, 0
	.set _ZN7rocprim17ROCPRIM_400000_NS6detail17trampoline_kernelINS0_13select_configILj256ELj13ELNS0_17block_load_methodE3ELS4_3ELS4_3ELNS0_20block_scan_algorithmE0ELj4294967295EEENS1_25partition_config_selectorILNS1_17partition_subalgoE3EjNS0_10empty_typeEbEEZZNS1_14partition_implILS8_3ELb0ES6_jNS0_17counting_iteratorIjlEEPS9_SE_NS0_5tupleIJPjSE_EEENSF_IJSE_SE_EEES9_SG_JZNS1_25segmented_radix_sort_implINS0_14default_configELb0EPK6__halfPSL_PKlPlN2at6native12_GLOBAL__N_18offset_tEEE10hipError_tPvRmT1_PNSt15iterator_traitsISZ_E10value_typeET2_T3_PNS10_IS15_E10value_typeET4_jRbjT5_S1B_jjP12ihipStream_tbEUljE_EEESW_SX_SY_S15_S19_S1B_T6_T7_T9_mT8_S1D_bDpT10_ENKUlT_T0_E_clISt17integral_constantIbLb0EES1Q_EEDaS1L_S1M_EUlS1L_E_NS1_11comp_targetILNS1_3genE9ELNS1_11target_archE1100ELNS1_3gpuE3ELNS1_3repE0EEENS1_30default_config_static_selectorELNS0_4arch9wavefront6targetE0EEEvSZ_.has_indirect_call, 0
	.section	.AMDGPU.csdata,"",@progbits
; Kernel info:
; codeLenInByte = 0
; TotalNumSgprs: 0
; NumVgprs: 0
; ScratchSize: 0
; MemoryBound: 0
; FloatMode: 240
; IeeeMode: 1
; LDSByteSize: 0 bytes/workgroup (compile time only)
; SGPRBlocks: 0
; VGPRBlocks: 0
; NumSGPRsForWavesPerEU: 1
; NumVGPRsForWavesPerEU: 1
; Occupancy: 16
; WaveLimiterHint : 0
; COMPUTE_PGM_RSRC2:SCRATCH_EN: 0
; COMPUTE_PGM_RSRC2:USER_SGPR: 6
; COMPUTE_PGM_RSRC2:TRAP_HANDLER: 0
; COMPUTE_PGM_RSRC2:TGID_X_EN: 1
; COMPUTE_PGM_RSRC2:TGID_Y_EN: 0
; COMPUTE_PGM_RSRC2:TGID_Z_EN: 0
; COMPUTE_PGM_RSRC2:TIDIG_COMP_CNT: 0
	.section	.text._ZN7rocprim17ROCPRIM_400000_NS6detail17trampoline_kernelINS0_13select_configILj256ELj13ELNS0_17block_load_methodE3ELS4_3ELS4_3ELNS0_20block_scan_algorithmE0ELj4294967295EEENS1_25partition_config_selectorILNS1_17partition_subalgoE3EjNS0_10empty_typeEbEEZZNS1_14partition_implILS8_3ELb0ES6_jNS0_17counting_iteratorIjlEEPS9_SE_NS0_5tupleIJPjSE_EEENSF_IJSE_SE_EEES9_SG_JZNS1_25segmented_radix_sort_implINS0_14default_configELb0EPK6__halfPSL_PKlPlN2at6native12_GLOBAL__N_18offset_tEEE10hipError_tPvRmT1_PNSt15iterator_traitsISZ_E10value_typeET2_T3_PNS10_IS15_E10value_typeET4_jRbjT5_S1B_jjP12ihipStream_tbEUljE_EEESW_SX_SY_S15_S19_S1B_T6_T7_T9_mT8_S1D_bDpT10_ENKUlT_T0_E_clISt17integral_constantIbLb0EES1Q_EEDaS1L_S1M_EUlS1L_E_NS1_11comp_targetILNS1_3genE8ELNS1_11target_archE1030ELNS1_3gpuE2ELNS1_3repE0EEENS1_30default_config_static_selectorELNS0_4arch9wavefront6targetE0EEEvSZ_,"axG",@progbits,_ZN7rocprim17ROCPRIM_400000_NS6detail17trampoline_kernelINS0_13select_configILj256ELj13ELNS0_17block_load_methodE3ELS4_3ELS4_3ELNS0_20block_scan_algorithmE0ELj4294967295EEENS1_25partition_config_selectorILNS1_17partition_subalgoE3EjNS0_10empty_typeEbEEZZNS1_14partition_implILS8_3ELb0ES6_jNS0_17counting_iteratorIjlEEPS9_SE_NS0_5tupleIJPjSE_EEENSF_IJSE_SE_EEES9_SG_JZNS1_25segmented_radix_sort_implINS0_14default_configELb0EPK6__halfPSL_PKlPlN2at6native12_GLOBAL__N_18offset_tEEE10hipError_tPvRmT1_PNSt15iterator_traitsISZ_E10value_typeET2_T3_PNS10_IS15_E10value_typeET4_jRbjT5_S1B_jjP12ihipStream_tbEUljE_EEESW_SX_SY_S15_S19_S1B_T6_T7_T9_mT8_S1D_bDpT10_ENKUlT_T0_E_clISt17integral_constantIbLb0EES1Q_EEDaS1L_S1M_EUlS1L_E_NS1_11comp_targetILNS1_3genE8ELNS1_11target_archE1030ELNS1_3gpuE2ELNS1_3repE0EEENS1_30default_config_static_selectorELNS0_4arch9wavefront6targetE0EEEvSZ_,comdat
	.globl	_ZN7rocprim17ROCPRIM_400000_NS6detail17trampoline_kernelINS0_13select_configILj256ELj13ELNS0_17block_load_methodE3ELS4_3ELS4_3ELNS0_20block_scan_algorithmE0ELj4294967295EEENS1_25partition_config_selectorILNS1_17partition_subalgoE3EjNS0_10empty_typeEbEEZZNS1_14partition_implILS8_3ELb0ES6_jNS0_17counting_iteratorIjlEEPS9_SE_NS0_5tupleIJPjSE_EEENSF_IJSE_SE_EEES9_SG_JZNS1_25segmented_radix_sort_implINS0_14default_configELb0EPK6__halfPSL_PKlPlN2at6native12_GLOBAL__N_18offset_tEEE10hipError_tPvRmT1_PNSt15iterator_traitsISZ_E10value_typeET2_T3_PNS10_IS15_E10value_typeET4_jRbjT5_S1B_jjP12ihipStream_tbEUljE_EEESW_SX_SY_S15_S19_S1B_T6_T7_T9_mT8_S1D_bDpT10_ENKUlT_T0_E_clISt17integral_constantIbLb0EES1Q_EEDaS1L_S1M_EUlS1L_E_NS1_11comp_targetILNS1_3genE8ELNS1_11target_archE1030ELNS1_3gpuE2ELNS1_3repE0EEENS1_30default_config_static_selectorELNS0_4arch9wavefront6targetE0EEEvSZ_ ; -- Begin function _ZN7rocprim17ROCPRIM_400000_NS6detail17trampoline_kernelINS0_13select_configILj256ELj13ELNS0_17block_load_methodE3ELS4_3ELS4_3ELNS0_20block_scan_algorithmE0ELj4294967295EEENS1_25partition_config_selectorILNS1_17partition_subalgoE3EjNS0_10empty_typeEbEEZZNS1_14partition_implILS8_3ELb0ES6_jNS0_17counting_iteratorIjlEEPS9_SE_NS0_5tupleIJPjSE_EEENSF_IJSE_SE_EEES9_SG_JZNS1_25segmented_radix_sort_implINS0_14default_configELb0EPK6__halfPSL_PKlPlN2at6native12_GLOBAL__N_18offset_tEEE10hipError_tPvRmT1_PNSt15iterator_traitsISZ_E10value_typeET2_T3_PNS10_IS15_E10value_typeET4_jRbjT5_S1B_jjP12ihipStream_tbEUljE_EEESW_SX_SY_S15_S19_S1B_T6_T7_T9_mT8_S1D_bDpT10_ENKUlT_T0_E_clISt17integral_constantIbLb0EES1Q_EEDaS1L_S1M_EUlS1L_E_NS1_11comp_targetILNS1_3genE8ELNS1_11target_archE1030ELNS1_3gpuE2ELNS1_3repE0EEENS1_30default_config_static_selectorELNS0_4arch9wavefront6targetE0EEEvSZ_
	.p2align	8
	.type	_ZN7rocprim17ROCPRIM_400000_NS6detail17trampoline_kernelINS0_13select_configILj256ELj13ELNS0_17block_load_methodE3ELS4_3ELS4_3ELNS0_20block_scan_algorithmE0ELj4294967295EEENS1_25partition_config_selectorILNS1_17partition_subalgoE3EjNS0_10empty_typeEbEEZZNS1_14partition_implILS8_3ELb0ES6_jNS0_17counting_iteratorIjlEEPS9_SE_NS0_5tupleIJPjSE_EEENSF_IJSE_SE_EEES9_SG_JZNS1_25segmented_radix_sort_implINS0_14default_configELb0EPK6__halfPSL_PKlPlN2at6native12_GLOBAL__N_18offset_tEEE10hipError_tPvRmT1_PNSt15iterator_traitsISZ_E10value_typeET2_T3_PNS10_IS15_E10value_typeET4_jRbjT5_S1B_jjP12ihipStream_tbEUljE_EEESW_SX_SY_S15_S19_S1B_T6_T7_T9_mT8_S1D_bDpT10_ENKUlT_T0_E_clISt17integral_constantIbLb0EES1Q_EEDaS1L_S1M_EUlS1L_E_NS1_11comp_targetILNS1_3genE8ELNS1_11target_archE1030ELNS1_3gpuE2ELNS1_3repE0EEENS1_30default_config_static_selectorELNS0_4arch9wavefront6targetE0EEEvSZ_,@function
_ZN7rocprim17ROCPRIM_400000_NS6detail17trampoline_kernelINS0_13select_configILj256ELj13ELNS0_17block_load_methodE3ELS4_3ELS4_3ELNS0_20block_scan_algorithmE0ELj4294967295EEENS1_25partition_config_selectorILNS1_17partition_subalgoE3EjNS0_10empty_typeEbEEZZNS1_14partition_implILS8_3ELb0ES6_jNS0_17counting_iteratorIjlEEPS9_SE_NS0_5tupleIJPjSE_EEENSF_IJSE_SE_EEES9_SG_JZNS1_25segmented_radix_sort_implINS0_14default_configELb0EPK6__halfPSL_PKlPlN2at6native12_GLOBAL__N_18offset_tEEE10hipError_tPvRmT1_PNSt15iterator_traitsISZ_E10value_typeET2_T3_PNS10_IS15_E10value_typeET4_jRbjT5_S1B_jjP12ihipStream_tbEUljE_EEESW_SX_SY_S15_S19_S1B_T6_T7_T9_mT8_S1D_bDpT10_ENKUlT_T0_E_clISt17integral_constantIbLb0EES1Q_EEDaS1L_S1M_EUlS1L_E_NS1_11comp_targetILNS1_3genE8ELNS1_11target_archE1030ELNS1_3gpuE2ELNS1_3repE0EEENS1_30default_config_static_selectorELNS0_4arch9wavefront6targetE0EEEvSZ_: ; @_ZN7rocprim17ROCPRIM_400000_NS6detail17trampoline_kernelINS0_13select_configILj256ELj13ELNS0_17block_load_methodE3ELS4_3ELS4_3ELNS0_20block_scan_algorithmE0ELj4294967295EEENS1_25partition_config_selectorILNS1_17partition_subalgoE3EjNS0_10empty_typeEbEEZZNS1_14partition_implILS8_3ELb0ES6_jNS0_17counting_iteratorIjlEEPS9_SE_NS0_5tupleIJPjSE_EEENSF_IJSE_SE_EEES9_SG_JZNS1_25segmented_radix_sort_implINS0_14default_configELb0EPK6__halfPSL_PKlPlN2at6native12_GLOBAL__N_18offset_tEEE10hipError_tPvRmT1_PNSt15iterator_traitsISZ_E10value_typeET2_T3_PNS10_IS15_E10value_typeET4_jRbjT5_S1B_jjP12ihipStream_tbEUljE_EEESW_SX_SY_S15_S19_S1B_T6_T7_T9_mT8_S1D_bDpT10_ENKUlT_T0_E_clISt17integral_constantIbLb0EES1Q_EEDaS1L_S1M_EUlS1L_E_NS1_11comp_targetILNS1_3genE8ELNS1_11target_archE1030ELNS1_3gpuE2ELNS1_3repE0EEENS1_30default_config_static_selectorELNS0_4arch9wavefront6targetE0EEEvSZ_
; %bb.0:
	s_clause 0x6
	s_load_dword s0, s[4:5], 0x70
	s_load_dwordx2 s[16:17], s[4:5], 0x10
	s_load_dwordx4 s[12:15], s[4:5], 0x48
	s_load_dwordx2 s[18:19], s[4:5], 0x58
	s_load_dword s7, s[4:5], 0x8
	s_load_dwordx4 s[8:11], s[4:5], 0x78
	s_load_dword s1, s[4:5], 0x88
	s_mul_i32 s26, s6, 0xd00
	v_lshlrev_b32_e32 v42, 2, v0
	s_waitcnt lgkmcnt(0)
	s_mul_i32 s2, s0, 0xd00
	s_add_i32 s0, s0, -1
	s_add_i32 s3, s2, s16
	s_load_dwordx2 s[20:21], s[14:15], 0x0
	s_sub_i32 s25, s18, s3
	s_addk_i32 s25, 0xd00
	s_add_u32 s2, s16, s2
	s_addc_u32 s3, s17, 0
	s_cmp_eq_u32 s6, s0
	v_cmp_gt_u64_e64 s2, s[18:19], s[2:3]
	s_cselect_b32 s24, -1, 0
	s_cmp_lg_u32 s6, s0
	s_cselect_b32 s0, -1, 0
	s_add_i32 s3, s7, s26
	s_or_b32 s2, s0, s2
	s_add_i32 s3, s3, s16
	s_and_b32 vcc_lo, exec_lo, s2
	v_add_nc_u32_e32 v1, s3, v0
	s_mov_b32 s7, -1
	s_cbranch_vccz .LBB1807_2
; %bb.1:
	v_add_nc_u32_e32 v2, 0x100, v1
	v_add_nc_u32_e32 v3, 0x200, v1
	;; [unrolled: 1-line block ×12, first 2 shown]
	ds_write2st64_b32 v42, v1, v2 offset1:4
	ds_write2st64_b32 v42, v3, v4 offset0:8 offset1:12
	ds_write2st64_b32 v42, v5, v6 offset0:16 offset1:20
	;; [unrolled: 1-line block ×5, first 2 shown]
	ds_write_b32 v42, v13 offset:12288
	s_waitcnt lgkmcnt(0)
	s_mov_b32 s7, 0
	s_barrier
.LBB1807_2:
	v_cmp_gt_u32_e64 s0, s25, v0
	v_or_b32_e32 v41, 0x100, v0
	v_or_b32_e32 v40, 0x200, v0
	;; [unrolled: 1-line block ×12, first 2 shown]
	s_andn2_b32 vcc_lo, exec_lo, s7
	s_cbranch_vccnz .LBB1807_4
; %bb.3:
	v_add_nc_u32_e32 v2, s3, v41
	v_cmp_gt_u32_e32 vcc_lo, s25, v41
	v_add_nc_u32_e32 v3, s3, v40
	v_add_nc_u32_e32 v4, s3, v39
	;; [unrolled: 1-line block ×4, first 2 shown]
	v_cndmask_b32_e32 v2, 0, v2, vcc_lo
	v_cmp_gt_u32_e32 vcc_lo, s25, v40
	v_add_nc_u32_e32 v7, s3, v36
	v_add_nc_u32_e32 v8, s3, v35
	v_add_nc_u32_e32 v9, s3, v34
	v_add_nc_u32_e32 v10, s3, v33
	v_cndmask_b32_e32 v3, 0, v3, vcc_lo
	v_cmp_gt_u32_e32 vcc_lo, s25, v39
	v_add_nc_u32_e32 v11, s3, v32
	v_add_nc_u32_e32 v12, s3, v31
	v_cndmask_b32_e64 v1, 0, v1, s0
	v_add_nc_u32_e32 v13, s3, v30
	v_cndmask_b32_e32 v4, 0, v4, vcc_lo
	v_cmp_gt_u32_e32 vcc_lo, s25, v38
	v_cndmask_b32_e32 v5, 0, v5, vcc_lo
	v_cmp_gt_u32_e32 vcc_lo, s25, v37
	;; [unrolled: 2-line block ×9, first 2 shown]
	v_cndmask_b32_e32 v13, 0, v13, vcc_lo
	ds_write2st64_b32 v42, v1, v2 offset1:4
	ds_write2st64_b32 v42, v3, v4 offset0:8 offset1:12
	ds_write2st64_b32 v42, v5, v6 offset0:16 offset1:20
	;; [unrolled: 1-line block ×5, first 2 shown]
	ds_write_b32 v42, v13 offset:12288
	s_waitcnt lgkmcnt(0)
	s_barrier
.LBB1807_4:
	v_mul_u32_u24_e32 v45, 13, v0
	s_waitcnt lgkmcnt(0)
	buffer_gl0_inv
	v_cndmask_b32_e64 v43, 0, 1, s2
	s_andn2_b32 vcc_lo, exec_lo, s2
	v_lshlrev_b32_e32 v1, 2, v45
	ds_read2_b32 v[26:27], v1 offset0:2 offset1:3
	ds_read2_b32 v[22:23], v1 offset0:6 offset1:7
	;; [unrolled: 1-line block ×3, first 2 shown]
	ds_read2_b32 v[28:29], v1 offset1:1
	ds_read2_b32 v[18:19], v1 offset0:10 offset1:11
	ds_read_b32 v44, v1 offset:48
	ds_read2_b32 v[20:21], v1 offset0:8 offset1:9
	s_waitcnt lgkmcnt(0)
	s_barrier
	buffer_gl0_inv
	s_cbranch_vccnz .LBB1807_6
; %bb.5:
	v_add_nc_u32_e32 v1, s9, v27
	v_add_nc_u32_e32 v4, s9, v26
	;; [unrolled: 1-line block ×6, first 2 shown]
	v_mul_lo_u32 v4, v4, s8
	v_mul_lo_u32 v1, v1, s8
	;; [unrolled: 1-line block ×4, first 2 shown]
	v_add_nc_u32_e32 v3, s9, v28
	v_add_nc_u32_e32 v7, s11, v28
	v_mul_lo_u32 v2, v2, s8
	v_mul_lo_u32 v6, v6, s10
	v_add_nc_u32_e32 v10, s11, v25
	v_mul_lo_u32 v3, v3, s8
	v_mul_lo_u32 v7, v7, s10
	v_sub_nc_u32_e32 v1, v1, v5
	v_sub_nc_u32_e32 v4, v4, v8
	v_add_nc_u32_e32 v5, s9, v23
	v_add_nc_u32_e32 v8, s11, v23
	v_sub_nc_u32_e32 v2, v2, v6
	v_add_nc_u32_e32 v6, s9, v25
	v_add_nc_u32_e32 v9, s9, v22
	v_mul_lo_u32 v5, v5, s8
	v_mul_lo_u32 v8, v8, s10
	v_sub_nc_u32_e32 v3, v3, v7
	v_add_nc_u32_e32 v7, s9, v24
	v_add_nc_u32_e32 v11, s11, v22
	v_mul_lo_u32 v6, v6, s8
	v_mul_lo_u32 v10, v10, s10
	v_add_nc_u32_e32 v12, s11, v24
	v_mul_lo_u32 v9, v9, s8
	v_mul_lo_u32 v7, v7, s8
	v_mul_lo_u32 v11, v11, s10
	v_sub_nc_u32_e32 v5, v5, v8
	v_mul_lo_u32 v8, v12, s10
	v_cmp_lt_u32_e32 vcc_lo, s1, v1
	v_sub_nc_u32_e32 v6, v6, v10
	v_add_nc_u32_e32 v10, s9, v19
	v_add_nc_u32_e32 v14, s11, v19
	;; [unrolled: 1-line block ×3, first 2 shown]
	v_cndmask_b32_e64 v1, 0, 1, vcc_lo
	v_cmp_lt_u32_e32 vcc_lo, s1, v2
	v_sub_nc_u32_e32 v7, v7, v8
	v_sub_nc_u32_e32 v8, v9, v11
	v_add_nc_u32_e32 v11, s9, v21
	v_mul_lo_u32 v10, v10, s8
	v_mul_lo_u32 v14, v14, s10
	v_cndmask_b32_e64 v2, 0, 1, vcc_lo
	v_cmp_lt_u32_e32 vcc_lo, s1, v5
	v_mul_lo_u32 v11, v11, s8
	v_mul_lo_u32 v15, v15, s10
	v_mov_b32_e32 v9, 8
	v_lshlrev_b16 v2, 8, v2
	v_cndmask_b32_e64 v5, 0, 1, vcc_lo
	v_cmp_lt_u32_e32 vcc_lo, s1, v6
	v_sub_nc_u32_e32 v10, v10, v14
	v_add_nc_u32_e32 v12, s9, v20
	v_add_nc_u32_e32 v16, s11, v20
	v_sub_nc_u32_e32 v11, v11, v15
	v_cndmask_b32_e64 v6, 0, 1, vcc_lo
	v_cmp_lt_u32_e32 vcc_lo, s1, v10
	v_lshrrev_b32_sdwa v2, v9, v2 dst_sel:BYTE_1 dst_unused:UNUSED_PAD src0_sel:DWORD src1_sel:DWORD
	v_add_nc_u32_e32 v13, s9, v18
	v_add_nc_u32_e32 v17, s11, v18
	v_mul_lo_u32 v12, v12, s8
	v_cndmask_b32_e64 v10, 0, 1, vcc_lo
	v_cmp_lt_u32_e32 vcc_lo, s1, v11
	v_mul_lo_u32 v16, v16, s10
	v_mul_lo_u32 v13, v13, s8
	;; [unrolled: 1-line block ×3, first 2 shown]
	v_add_nc_u32_e32 v14, s9, v44
	v_cndmask_b32_e64 v11, 0, 1, vcc_lo
	v_cmp_lt_u32_e32 vcc_lo, s1, v3
	v_add_nc_u32_e32 v15, s11, v44
	v_lshlrev_b16 v1, 8, v1
	v_sub_nc_u32_e32 v12, v12, v16
	v_lshlrev_b16 v11, 8, v11
	v_cndmask_b32_e64 v3, 0, 1, vcc_lo
	v_cmp_lt_u32_e32 vcc_lo, s1, v4
	v_sub_nc_u32_e32 v13, v13, v17
	v_mul_lo_u32 v14, v14, s8
	v_mul_lo_u32 v15, v15, s10
	v_or_b32_e32 v2, v3, v2
	v_cndmask_b32_e64 v3, 0, 1, vcc_lo
	v_cmp_lt_u32_e32 vcc_lo, s1, v7
	v_lshlrev_b16 v6, 8, v6
	v_lshlrev_b16 v10, 8, v10
	;; [unrolled: 1-line block ×3, first 2 shown]
	v_lshrrev_b32_sdwa v1, v9, v1 dst_sel:BYTE_1 dst_unused:UNUSED_PAD src0_sel:DWORD src1_sel:DWORD
	v_cndmask_b32_e64 v4, 0, 1, vcc_lo
	v_cmp_lt_u32_e32 vcc_lo, s1, v8
	v_lshrrev_b32_sdwa v8, v9, v11 dst_sel:BYTE_1 dst_unused:UNUSED_PAD src0_sel:DWORD src1_sel:DWORD
	v_lshrrev_b32_sdwa v6, v9, v6 dst_sel:BYTE_1 dst_unused:UNUSED_PAD src0_sel:DWORD src1_sel:DWORD
	v_sub_nc_u32_e32 v14, v14, v15
	v_lshrrev_b32_sdwa v9, v9, v10 dst_sel:BYTE_1 dst_unused:UNUSED_PAD src0_sel:DWORD src1_sel:DWORD
	v_cndmask_b32_e64 v7, 0, 1, vcc_lo
	v_cmp_lt_u32_e32 vcc_lo, s1, v12
	v_or_b32_sdwa v1, v3, v1 dst_sel:WORD_1 dst_unused:UNUSED_PAD src0_sel:DWORD src1_sel:DWORD
	v_or_b32_e32 v3, v4, v6
	v_or_b32_sdwa v4, v7, v5 dst_sel:WORD_1 dst_unused:UNUSED_PAD src0_sel:DWORD src1_sel:DWORD
	v_cndmask_b32_e64 v11, 0, 1, vcc_lo
	v_cmp_lt_u32_e32 vcc_lo, s1, v13
	v_or_b32_sdwa v50, v2, v1 dst_sel:DWORD dst_unused:UNUSED_PAD src0_sel:WORD_0 src1_sel:DWORD
	v_or_b32_sdwa v48, v3, v4 dst_sel:DWORD dst_unused:UNUSED_PAD src0_sel:WORD_0 src1_sel:DWORD
	v_or_b32_e32 v5, v11, v8
	v_cndmask_b32_e64 v10, 0, 1, vcc_lo
	v_cmp_lt_u32_e32 vcc_lo, s1, v14
	v_or_b32_sdwa v6, v10, v9 dst_sel:WORD_1 dst_unused:UNUSED_PAD src0_sel:DWORD src1_sel:DWORD
	v_cndmask_b32_e64 v46, 0, 1, vcc_lo
	v_or_b32_sdwa v47, v5, v6 dst_sel:DWORD dst_unused:UNUSED_PAD src0_sel:WORD_0 src1_sel:DWORD
	s_clause 0x1
	s_load_dwordx2 s[14:15], s[4:5], 0x28
	s_load_dwordx2 s[22:23], s[4:5], 0x68
	s_cbranch_execz .LBB1807_7
	s_branch .LBB1807_34
.LBB1807_6:
                                        ; implicit-def: $vgpr46
                                        ; implicit-def: $vgpr47
                                        ; implicit-def: $vgpr48
                                        ; implicit-def: $vgpr50
	s_clause 0x1
	s_load_dwordx2 s[14:15], s[4:5], 0x28
	s_load_dwordx2 s[22:23], s[4:5], 0x68
.LBB1807_7:
	v_mov_b32_e32 v2, 0
	v_mov_b32_e32 v1, 0
	s_mov_b32 s0, exec_lo
	v_cmpx_gt_u32_e64 s25, v45
	s_cbranch_execz .LBB1807_9
; %bb.8:
	v_add_nc_u32_e32 v1, s9, v28
	v_add_nc_u32_e32 v3, s11, v28
	v_mul_lo_u32 v1, v1, s8
	v_mul_lo_u32 v3, v3, s10
	v_sub_nc_u32_e32 v1, v1, v3
	v_cmp_lt_u32_e32 vcc_lo, s1, v1
	v_cndmask_b32_e64 v1, 0, 1, vcc_lo
.LBB1807_9:
	s_or_b32 exec_lo, exec_lo, s0
	v_add_nc_u32_e32 v3, 1, v45
	s_mov_b32 s0, exec_lo
	v_cmpx_gt_u32_e64 s25, v3
	s_cbranch_execz .LBB1807_11
; %bb.10:
	v_add_nc_u32_e32 v2, s9, v29
	v_add_nc_u32_e32 v3, s11, v29
	v_mul_lo_u32 v2, v2, s8
	v_mul_lo_u32 v3, v3, s10
	v_sub_nc_u32_e32 v2, v2, v3
	v_cmp_lt_u32_e32 vcc_lo, s1, v2
	v_cndmask_b32_e64 v2, 0, 1, vcc_lo
.LBB1807_11:
	s_or_b32 exec_lo, exec_lo, s0
	v_add_nc_u32_e32 v3, 2, v45
	v_mov_b32_e32 v4, 0
	v_cmp_gt_u32_e32 vcc_lo, s25, v3
	v_mov_b32_e32 v3, 0
	s_and_saveexec_b32 s0, vcc_lo
	s_cbranch_execz .LBB1807_13
; %bb.12:
	v_add_nc_u32_e32 v3, s9, v26
	v_add_nc_u32_e32 v5, s11, v26
	v_mul_lo_u32 v3, v3, s8
	v_mul_lo_u32 v5, v5, s10
	v_sub_nc_u32_e32 v3, v3, v5
	v_cmp_lt_u32_e32 vcc_lo, s1, v3
	v_cndmask_b32_e64 v3, 0, 1, vcc_lo
.LBB1807_13:
	s_or_b32 exec_lo, exec_lo, s0
	v_add_nc_u32_e32 v5, 3, v45
	s_mov_b32 s0, exec_lo
	v_cmpx_gt_u32_e64 s25, v5
	s_cbranch_execz .LBB1807_15
; %bb.14:
	v_add_nc_u32_e32 v4, s9, v27
	v_add_nc_u32_e32 v5, s11, v27
	v_mul_lo_u32 v4, v4, s8
	v_mul_lo_u32 v5, v5, s10
	v_sub_nc_u32_e32 v4, v4, v5
	v_cmp_lt_u32_e32 vcc_lo, s1, v4
	v_cndmask_b32_e64 v4, 0, 1, vcc_lo
.LBB1807_15:
	s_or_b32 exec_lo, exec_lo, s0
	v_add_nc_u32_e32 v5, 4, v45
	v_mov_b32_e32 v6, 0
	v_cmp_gt_u32_e32 vcc_lo, s25, v5
	v_mov_b32_e32 v5, 0
	s_and_saveexec_b32 s0, vcc_lo
	;; [unrolled: 30-line block ×5, first 2 shown]
	s_cbranch_execz .LBB1807_29
; %bb.28:
	v_add_nc_u32_e32 v11, s9, v18
	v_add_nc_u32_e32 v13, s11, v18
	v_mul_lo_u32 v11, v11, s8
	v_mul_lo_u32 v13, v13, s10
	v_sub_nc_u32_e32 v11, v11, v13
	v_cmp_lt_u32_e32 vcc_lo, s1, v11
	v_cndmask_b32_e64 v11, 0, 1, vcc_lo
.LBB1807_29:
	s_or_b32 exec_lo, exec_lo, s0
	v_add_nc_u32_e32 v13, 11, v45
	s_mov_b32 s0, exec_lo
	v_cmpx_gt_u32_e64 s25, v13
	s_cbranch_execz .LBB1807_31
; %bb.30:
	v_add_nc_u32_e32 v12, s9, v19
	v_add_nc_u32_e32 v13, s11, v19
	v_mul_lo_u32 v12, v12, s8
	v_mul_lo_u32 v13, v13, s10
	v_sub_nc_u32_e32 v12, v12, v13
	v_cmp_lt_u32_e32 vcc_lo, s1, v12
	v_cndmask_b32_e64 v12, 0, 1, vcc_lo
.LBB1807_31:
	s_or_b32 exec_lo, exec_lo, s0
	v_add_nc_u32_e32 v13, 12, v45
	v_mov_b32_e32 v46, 0
	s_mov_b32 s0, exec_lo
	v_cmpx_gt_u32_e64 s25, v13
	s_cbranch_execz .LBB1807_33
; %bb.32:
	v_add_nc_u32_e32 v13, s9, v44
	v_add_nc_u32_e32 v14, s11, v44
	v_mul_lo_u32 v13, v13, s8
	v_mul_lo_u32 v14, v14, s10
	v_sub_nc_u32_e32 v13, v13, v14
	v_cmp_lt_u32_e32 vcc_lo, s1, v13
	v_cndmask_b32_e64 v46, 0, 1, vcc_lo
.LBB1807_33:
	s_or_b32 exec_lo, exec_lo, s0
	v_lshlrev_b16 v2, 8, v2
	v_lshlrev_b16 v4, 8, v4
	;; [unrolled: 1-line block ×5, first 2 shown]
	v_or_b32_e32 v1, v1, v2
	v_lshlrev_b16 v2, 8, v12
	v_or_b32_sdwa v3, v3, v4 dst_sel:WORD_1 dst_unused:UNUSED_PAD src0_sel:DWORD src1_sel:DWORD
	v_or_b32_e32 v4, v5, v6
	v_or_b32_sdwa v5, v7, v8 dst_sel:WORD_1 dst_unused:UNUSED_PAD src0_sel:DWORD src1_sel:DWORD
	v_or_b32_e32 v6, v9, v10
	v_or_b32_sdwa v2, v11, v2 dst_sel:WORD_1 dst_unused:UNUSED_PAD src0_sel:DWORD src1_sel:DWORD
	v_or_b32_sdwa v50, v1, v3 dst_sel:DWORD dst_unused:UNUSED_PAD src0_sel:WORD_0 src1_sel:DWORD
	v_or_b32_sdwa v48, v4, v5 dst_sel:DWORD dst_unused:UNUSED_PAD src0_sel:WORD_0 src1_sel:DWORD
	;; [unrolled: 1-line block ×3, first 2 shown]
.LBB1807_34:
	v_and_b32_e32 v53, 0xff, v50
	v_bfe_u32 v54, v50, 8, 8
	v_bfe_u32 v55, v50, 16, 8
	v_lshrrev_b32_e32 v52, 24, v50
	v_and_b32_e32 v56, 0xff, v48
	v_bfe_u32 v57, v48, 8, 8
	v_bfe_u32 v58, v48, 16, 8
	v_add3_u32 v1, v54, v53, v55
	v_lshrrev_b32_e32 v51, 24, v48
	v_and_b32_e32 v59, 0xff, v47
	v_bfe_u32 v60, v47, 8, 8
	v_mbcnt_lo_u32_b32 v62, -1, 0
	v_add3_u32 v1, v1, v52, v56
	v_bfe_u32 v61, v47, 16, 8
	v_lshrrev_b32_e32 v49, 24, v47
	v_and_b32_e32 v2, 0xff, v46
	v_and_b32_e32 v3, 15, v62
	v_add3_u32 v1, v1, v57, v58
	v_or_b32_e32 v4, 31, v0
	v_and_b32_e32 v5, 16, v62
	v_lshrrev_b32_e32 v63, 5, v0
	v_cmp_eq_u32_e64 s5, 0, v3
	v_add3_u32 v1, v1, v51, v59
	v_cmp_lt_u32_e64 s4, 1, v3
	v_cmp_lt_u32_e64 s3, 3, v3
	;; [unrolled: 1-line block ×3, first 2 shown]
	v_cmp_eq_u32_e64 s1, 0, v5
	v_add3_u32 v1, v1, v60, v61
	v_cmp_eq_u32_e64 s0, v0, v4
	s_cmp_lg_u32 s6, 0
	s_mov_b32 s7, -1
	v_add3_u32 v64, v1, v49, v2
	s_cbranch_scc0 .LBB1807_56
; %bb.35:
	v_mov_b32_dpp v1, v64 row_shr:1 row_mask:0xf bank_mask:0xf
	v_cndmask_b32_e64 v1, v1, 0, s5
	v_add_nc_u32_e32 v1, v1, v64
	v_mov_b32_dpp v2, v1 row_shr:2 row_mask:0xf bank_mask:0xf
	v_cndmask_b32_e64 v2, 0, v2, s4
	v_add_nc_u32_e32 v1, v1, v2
	;; [unrolled: 3-line block ×4, first 2 shown]
	ds_swizzle_b32 v2, v1 offset:swizzle(BROADCAST,32,15)
	s_waitcnt lgkmcnt(0)
	v_cndmask_b32_e64 v2, v2, 0, s1
	v_add_nc_u32_e32 v1, v1, v2
	s_and_saveexec_b32 s7, s0
; %bb.36:
	v_lshlrev_b32_e32 v2, 2, v63
	ds_write_b32 v2, v1
; %bb.37:
	s_or_b32 exec_lo, exec_lo, s7
	s_mov_b32 s7, exec_lo
	s_waitcnt lgkmcnt(0)
	s_barrier
	buffer_gl0_inv
	v_cmpx_gt_u32_e32 8, v0
	s_cbranch_execz .LBB1807_39
; %bb.38:
	ds_read_b32 v2, v42
	v_and_b32_e32 v3, 7, v62
	v_cmp_ne_u32_e32 vcc_lo, 0, v3
	s_waitcnt lgkmcnt(0)
	v_mov_b32_dpp v4, v2 row_shr:1 row_mask:0xf bank_mask:0xf
	v_cndmask_b32_e32 v4, 0, v4, vcc_lo
	v_cmp_lt_u32_e32 vcc_lo, 1, v3
	v_add_nc_u32_e32 v2, v4, v2
	v_mov_b32_dpp v4, v2 row_shr:2 row_mask:0xf bank_mask:0xf
	v_cndmask_b32_e32 v4, 0, v4, vcc_lo
	v_cmp_lt_u32_e32 vcc_lo, 3, v3
	v_add_nc_u32_e32 v2, v2, v4
	v_mov_b32_dpp v4, v2 row_shr:4 row_mask:0xf bank_mask:0xf
	v_cndmask_b32_e32 v3, 0, v4, vcc_lo
	v_add_nc_u32_e32 v2, v2, v3
	ds_write_b32 v42, v2
.LBB1807_39:
	s_or_b32 exec_lo, exec_lo, s7
	s_mov_b32 s8, exec_lo
	v_cmp_gt_u32_e32 vcc_lo, 32, v0
	s_waitcnt lgkmcnt(0)
	s_barrier
	buffer_gl0_inv
                                        ; implicit-def: $vgpr10
	v_cmpx_lt_u32_e32 31, v0
	s_cbranch_execz .LBB1807_41
; %bb.40:
	v_lshl_add_u32 v2, v63, 2, -4
	ds_read_b32 v10, v2
	s_waitcnt lgkmcnt(0)
	v_add_nc_u32_e32 v1, v10, v1
.LBB1807_41:
	s_or_b32 exec_lo, exec_lo, s8
	v_sub_co_u32 v2, s7, v62, 1
	v_cmp_gt_i32_e64 s8, 0, v2
	v_cndmask_b32_e64 v2, v2, v62, s8
	v_lshlrev_b32_e32 v2, 2, v2
	ds_bpermute_b32 v11, v2, v1
	s_and_saveexec_b32 s8, vcc_lo
	s_cbranch_execz .LBB1807_61
; %bb.42:
	v_mov_b32_e32 v7, 0
	ds_read_b32 v1, v7 offset:28
	s_and_saveexec_b32 s9, s7
	s_cbranch_execz .LBB1807_44
; %bb.43:
	s_add_i32 s10, s6, 32
	s_mov_b32 s11, 0
	v_mov_b32_e32 v2, 1
	s_lshl_b64 s[10:11], s[10:11], 3
	s_add_u32 s10, s22, s10
	s_addc_u32 s11, s23, s11
	s_waitcnt lgkmcnt(0)
	global_store_dwordx2 v7, v[1:2], s[10:11]
.LBB1807_44:
	s_or_b32 exec_lo, exec_lo, s9
	v_xad_u32 v3, v62, -1, s6
	s_mov_b32 s10, 0
	v_add_nc_u32_e32 v6, 32, v3
	v_lshlrev_b64 v[4:5], 3, v[6:7]
	v_add_co_u32 v8, vcc_lo, s22, v4
	v_add_co_ci_u32_e64 v9, null, s23, v5, vcc_lo
	global_load_dwordx2 v[5:6], v[8:9], off glc dlc
	s_waitcnt vmcnt(0)
	v_cmp_eq_u16_sdwa s11, v6, v7 src0_sel:BYTE_0 src1_sel:DWORD
	s_and_saveexec_b32 s9, s11
	s_cbranch_execz .LBB1807_48
; %bb.45:
	v_mov_b32_e32 v2, 0
.LBB1807_46:                            ; =>This Inner Loop Header: Depth=1
	global_load_dwordx2 v[5:6], v[8:9], off glc dlc
	s_waitcnt vmcnt(0)
	v_cmp_ne_u16_sdwa s11, v6, v2 src0_sel:BYTE_0 src1_sel:DWORD
	s_or_b32 s10, s11, s10
	s_andn2_b32 exec_lo, exec_lo, s10
	s_cbranch_execnz .LBB1807_46
; %bb.47:
	s_or_b32 exec_lo, exec_lo, s10
.LBB1807_48:
	s_or_b32 exec_lo, exec_lo, s9
	v_cmp_ne_u32_e32 vcc_lo, 31, v62
	v_mov_b32_e32 v12, 2
	v_lshlrev_b32_e64 v13, v62, -1
	v_add_nc_u32_e32 v15, 2, v62
	v_add_nc_u32_e32 v17, 4, v62
	v_add_co_ci_u32_e64 v2, null, 0, v62, vcc_lo
	v_cmp_eq_u16_sdwa s9, v6, v12 src0_sel:BYTE_0 src1_sel:DWORD
	v_cmp_gt_u32_e32 vcc_lo, 30, v62
	v_add_nc_u32_e32 v66, 8, v62
	v_lshlrev_b32_e32 v9, 2, v2
	v_lshl_or_b32 v67, v62, 2, 64
	v_and_or_b32 v4, s9, v13, 0x80000000
	v_cndmask_b32_e64 v7, 0, 2, vcc_lo
	v_add_nc_u32_e32 v68, 16, v62
	ds_bpermute_b32 v2, v9, v5
	v_ffbl_b32_e32 v4, v4
	v_add_lshl_u32 v14, v7, v62, 2
	v_cmp_lt_u32_e32 vcc_lo, v62, v4
	s_waitcnt lgkmcnt(0)
	v_cndmask_b32_e32 v2, 0, v2, vcc_lo
	v_cmp_gt_u32_e32 vcc_lo, 28, v62
	v_add_nc_u32_e32 v2, v2, v5
	v_cndmask_b32_e64 v7, 0, 4, vcc_lo
	v_cmp_le_u32_e32 vcc_lo, v15, v4
	ds_bpermute_b32 v5, v14, v2
	v_add_lshl_u32 v16, v7, v62, 2
	s_waitcnt lgkmcnt(0)
	v_cndmask_b32_e32 v5, 0, v5, vcc_lo
	v_cmp_gt_u32_e32 vcc_lo, 24, v62
	v_add_nc_u32_e32 v2, v2, v5
	v_cndmask_b32_e64 v7, 0, 8, vcc_lo
	v_cmp_le_u32_e32 vcc_lo, v17, v4
	ds_bpermute_b32 v5, v16, v2
	v_add_lshl_u32 v65, v7, v62, 2
	s_waitcnt lgkmcnt(0)
	v_cndmask_b32_e32 v5, 0, v5, vcc_lo
	v_cmp_le_u32_e32 vcc_lo, v66, v4
	v_add_nc_u32_e32 v2, v2, v5
	ds_bpermute_b32 v5, v65, v2
	s_waitcnt lgkmcnt(0)
	v_cndmask_b32_e32 v5, 0, v5, vcc_lo
	v_cmp_le_u32_e32 vcc_lo, v68, v4
	v_add_nc_u32_e32 v2, v2, v5
	ds_bpermute_b32 v5, v67, v2
	s_waitcnt lgkmcnt(0)
	v_cndmask_b32_e32 v4, 0, v5, vcc_lo
	v_add_nc_u32_e32 v5, v2, v4
	v_mov_b32_e32 v4, 0
	s_branch .LBB1807_52
.LBB1807_49:                            ;   in Loop: Header=BB1807_52 Depth=1
	s_or_b32 exec_lo, exec_lo, s10
.LBB1807_50:                            ;   in Loop: Header=BB1807_52 Depth=1
	s_or_b32 exec_lo, exec_lo, s9
	ds_bpermute_b32 v7, v9, v5
	v_cmp_eq_u16_sdwa s9, v6, v12 src0_sel:BYTE_0 src1_sel:DWORD
	v_subrev_nc_u32_e32 v3, 32, v3
	v_and_or_b32 v8, s9, v13, 0x80000000
	s_mov_b32 s9, 0
	v_ffbl_b32_e32 v8, v8
	v_cmp_lt_u32_e32 vcc_lo, v62, v8
	s_waitcnt lgkmcnt(0)
	v_cndmask_b32_e32 v7, 0, v7, vcc_lo
	v_cmp_le_u32_e32 vcc_lo, v15, v8
	v_add_nc_u32_e32 v5, v7, v5
	ds_bpermute_b32 v7, v14, v5
	s_waitcnt lgkmcnt(0)
	v_cndmask_b32_e32 v7, 0, v7, vcc_lo
	v_cmp_le_u32_e32 vcc_lo, v17, v8
	v_add_nc_u32_e32 v5, v5, v7
	ds_bpermute_b32 v7, v16, v5
	;; [unrolled: 5-line block ×4, first 2 shown]
	s_waitcnt lgkmcnt(0)
	v_cndmask_b32_e32 v7, 0, v7, vcc_lo
	v_add3_u32 v5, v7, v2, v5
.LBB1807_51:                            ;   in Loop: Header=BB1807_52 Depth=1
	s_and_b32 vcc_lo, exec_lo, s9
	s_cbranch_vccnz .LBB1807_57
.LBB1807_52:                            ; =>This Loop Header: Depth=1
                                        ;     Child Loop BB1807_55 Depth 2
	v_cmp_ne_u16_sdwa s9, v6, v12 src0_sel:BYTE_0 src1_sel:DWORD
	v_mov_b32_e32 v2, v5
                                        ; implicit-def: $vgpr5
                                        ; implicit-def: $vgpr6
	s_cmp_lg_u32 s9, exec_lo
	s_mov_b32 s9, -1
	s_cbranch_scc1 .LBB1807_51
; %bb.53:                               ;   in Loop: Header=BB1807_52 Depth=1
	v_lshlrev_b64 v[5:6], 3, v[3:4]
	v_add_co_u32 v7, vcc_lo, s22, v5
	v_add_co_ci_u32_e64 v8, null, s23, v6, vcc_lo
	global_load_dwordx2 v[5:6], v[7:8], off glc dlc
	s_waitcnt vmcnt(0)
	v_cmp_eq_u16_sdwa s10, v6, v4 src0_sel:BYTE_0 src1_sel:DWORD
	s_and_saveexec_b32 s9, s10
	s_cbranch_execz .LBB1807_50
; %bb.54:                               ;   in Loop: Header=BB1807_52 Depth=1
	s_mov_b32 s10, 0
.LBB1807_55:                            ;   Parent Loop BB1807_52 Depth=1
                                        ; =>  This Inner Loop Header: Depth=2
	global_load_dwordx2 v[5:6], v[7:8], off glc dlc
	s_waitcnt vmcnt(0)
	v_cmp_ne_u16_sdwa s11, v6, v4 src0_sel:BYTE_0 src1_sel:DWORD
	s_or_b32 s10, s11, s10
	s_andn2_b32 exec_lo, exec_lo, s10
	s_cbranch_execnz .LBB1807_55
	s_branch .LBB1807_49
.LBB1807_56:
                                        ; implicit-def: $vgpr17
                                        ; implicit-def: $vgpr1_vgpr2_vgpr3_vgpr4_vgpr5_vgpr6_vgpr7_vgpr8_vgpr9_vgpr10_vgpr11_vgpr12_vgpr13_vgpr14_vgpr15_vgpr16
	s_and_b32 vcc_lo, exec_lo, s7
	s_cbranch_vccnz .LBB1807_62
	s_branch .LBB1807_71
.LBB1807_57:
	s_and_saveexec_b32 s9, s7
	s_cbranch_execz .LBB1807_59
; %bb.58:
	s_add_i32 s10, s6, 32
	s_mov_b32 s11, 0
	v_add_nc_u32_e32 v3, v2, v1
	v_mov_b32_e32 v4, 2
	s_lshl_b64 s[10:11], s[10:11], 3
	v_mov_b32_e32 v5, 0
	s_add_u32 s10, s22, s10
	s_addc_u32 s11, s23, s11
	global_store_dwordx2 v5, v[3:4], s[10:11]
	ds_write_b64 v5, v[1:2] offset:13312
.LBB1807_59:
	s_or_b32 exec_lo, exec_lo, s9
	v_cmp_eq_u32_e32 vcc_lo, 0, v0
	s_and_b32 exec_lo, exec_lo, vcc_lo
; %bb.60:
	v_mov_b32_e32 v1, 0
	ds_write_b32 v1, v2 offset:28
.LBB1807_61:
	s_or_b32 exec_lo, exec_lo, s8
	v_mov_b32_e32 v12, 0
	s_waitcnt lgkmcnt(0)
	s_waitcnt_vscnt null, 0x0
	s_barrier
	buffer_gl0_inv
	v_cndmask_b32_e64 v2, v11, v10, s7
	ds_read_b32 v1, v12 offset:28
	v_cmp_ne_u32_e32 vcc_lo, 0, v0
	s_waitcnt lgkmcnt(0)
	s_barrier
	buffer_gl0_inv
	ds_read_b64 v[16:17], v12 offset:13312
	v_cndmask_b32_e32 v2, 0, v2, vcc_lo
	v_add_nc_u32_e32 v1, v1, v2
	v_add_nc_u32_e32 v2, v1, v53
	;; [unrolled: 1-line block ×13, first 2 shown]
	s_branch .LBB1807_71
.LBB1807_62:
	v_mov_b32_dpp v1, v64 row_shr:1 row_mask:0xf bank_mask:0xf
	v_cndmask_b32_e64 v1, v1, 0, s5
	v_add_nc_u32_e32 v1, v1, v64
	v_mov_b32_dpp v2, v1 row_shr:2 row_mask:0xf bank_mask:0xf
	v_cndmask_b32_e64 v2, 0, v2, s4
	v_add_nc_u32_e32 v1, v1, v2
	;; [unrolled: 3-line block ×4, first 2 shown]
	ds_swizzle_b32 v2, v1 offset:swizzle(BROADCAST,32,15)
	s_waitcnt lgkmcnt(0)
	v_cndmask_b32_e64 v2, v2, 0, s1
	v_add_nc_u32_e32 v1, v1, v2
	s_and_saveexec_b32 s1, s0
; %bb.63:
	v_lshlrev_b32_e32 v2, 2, v63
	ds_write_b32 v2, v1
; %bb.64:
	s_or_b32 exec_lo, exec_lo, s1
	s_mov_b32 s0, exec_lo
	s_waitcnt lgkmcnt(0)
	s_barrier
	buffer_gl0_inv
	v_cmpx_gt_u32_e32 8, v0
	s_cbranch_execz .LBB1807_66
; %bb.65:
	ds_read_b32 v2, v42
	v_and_b32_e32 v3, 7, v62
	v_cmp_ne_u32_e32 vcc_lo, 0, v3
	s_waitcnt lgkmcnt(0)
	v_mov_b32_dpp v4, v2 row_shr:1 row_mask:0xf bank_mask:0xf
	v_cndmask_b32_e32 v4, 0, v4, vcc_lo
	v_cmp_lt_u32_e32 vcc_lo, 1, v3
	v_add_nc_u32_e32 v2, v4, v2
	v_mov_b32_dpp v4, v2 row_shr:2 row_mask:0xf bank_mask:0xf
	v_cndmask_b32_e32 v4, 0, v4, vcc_lo
	v_cmp_lt_u32_e32 vcc_lo, 3, v3
	v_add_nc_u32_e32 v2, v2, v4
	v_mov_b32_dpp v4, v2 row_shr:4 row_mask:0xf bank_mask:0xf
	v_cndmask_b32_e32 v3, 0, v4, vcc_lo
	v_add_nc_u32_e32 v2, v2, v3
	ds_write_b32 v42, v2
.LBB1807_66:
	s_or_b32 exec_lo, exec_lo, s0
	v_mov_b32_e32 v3, 0
	v_mov_b32_e32 v2, 0
	s_mov_b32 s0, exec_lo
	s_waitcnt lgkmcnt(0)
	s_barrier
	buffer_gl0_inv
	v_cmpx_lt_u32_e32 31, v0
; %bb.67:
	v_lshl_add_u32 v2, v63, 2, -4
	ds_read_b32 v2, v2
; %bb.68:
	s_or_b32 exec_lo, exec_lo, s0
	v_sub_co_u32 v4, vcc_lo, v62, 1
	s_waitcnt lgkmcnt(0)
	v_add_nc_u32_e32 v1, v2, v1
	ds_read_b32 v16, v3 offset:28
	v_cmp_gt_i32_e64 s0, 0, v4
	v_cndmask_b32_e64 v4, v4, v62, s0
	v_cmp_eq_u32_e64 s0, 0, v0
	v_lshlrev_b32_e32 v4, 2, v4
	ds_bpermute_b32 v1, v4, v1
	s_and_saveexec_b32 s1, s0
	s_cbranch_execz .LBB1807_70
; %bb.69:
	v_mov_b32_e32 v3, 0
	v_mov_b32_e32 v17, 2
	s_waitcnt lgkmcnt(1)
	global_store_dwordx2 v3, v[16:17], s[22:23] offset:256
.LBB1807_70:
	s_or_b32 exec_lo, exec_lo, s1
	s_waitcnt lgkmcnt(0)
	v_cndmask_b32_e32 v1, v1, v2, vcc_lo
	v_mov_b32_e32 v17, 0
	s_waitcnt_vscnt null, 0x0
	s_barrier
	buffer_gl0_inv
	v_cndmask_b32_e64 v1, v1, 0, s0
	v_add_nc_u32_e32 v2, v1, v53
	v_add_nc_u32_e32 v3, v2, v54
	;; [unrolled: 1-line block ×12, first 2 shown]
.LBB1807_71:
	s_waitcnt lgkmcnt(0)
	v_add_nc_u32_e32 v45, v16, v45
	v_sub_nc_u32_e32 v1, v1, v17
	v_and_b32_e32 v54, 1, v50
	v_lshrrev_b32_e32 v53, 8, v50
	v_sub_nc_u32_e32 v2, v2, v17
	v_sub_nc_u32_e32 v3, v3, v17
	;; [unrolled: 1-line block ×3, first 2 shown]
	v_cmp_eq_u32_e32 vcc_lo, 1, v54
	v_and_b32_e32 v53, 1, v53
	v_mov_b32_e32 v56, 1
	v_sub_nc_u32_e32 v54, v45, v2
	v_sub_nc_u32_e32 v4, v4, v17
	v_cndmask_b32_e32 v1, v55, v1, vcc_lo
	v_sub_nc_u32_e32 v55, v45, v3
	v_and_b32_sdwa v50, v56, v50 dst_sel:DWORD dst_unused:UNUSED_PAD src0_sel:DWORD src1_sel:WORD_1
	v_add_nc_u32_e32 v54, 1, v54
	v_cmp_eq_u32_e32 vcc_lo, 1, v53
	v_lshlrev_b32_e32 v1, 2, v1
	v_and_b32_e32 v52, 1, v52
	v_sub_nc_u32_e32 v57, v45, v4
	v_add_nc_u32_e32 v55, 2, v55
	v_lshrrev_b32_e32 v15, 8, v48
	ds_write_b32 v1, v28
	v_cndmask_b32_e32 v1, v54, v2, vcc_lo
	v_cmp_eq_u32_e32 vcc_lo, 1, v50
	v_add_nc_u32_e32 v57, 3, v57
	v_lshrrev_b32_e32 v14, 8, v47
	v_lshlrev_b32_e32 v1, 2, v1
	v_cndmask_b32_e32 v2, v55, v3, vcc_lo
	v_cmp_eq_u32_e32 vcc_lo, 1, v52
	ds_write_b32 v1, v29
	v_lshlrev_b32_e32 v2, 2, v2
	v_cndmask_b32_e32 v3, v57, v4, vcc_lo
	v_sub_nc_u32_e32 v4, v5, v17
	v_sub_nc_u32_e32 v5, v6, v17
	v_lshlrev_b32_e32 v3, 2, v3
	v_sub_nc_u32_e32 v1, v45, v4
	v_sub_nc_u32_e32 v6, v45, v5
	ds_write_b32 v2, v26
	ds_write_b32 v3, v27
	v_and_b32_e32 v2, 1, v48
	v_add_nc_u32_e32 v1, 4, v1
	v_add_nc_u32_e32 v3, 5, v6
	v_sub_nc_u32_e32 v6, v7, v17
	v_and_b32_e32 v7, 1, v15
	v_cmp_eq_u32_e32 vcc_lo, 1, v2
	v_sub_nc_u32_e32 v2, v8, v17
	v_and_b32_e32 v8, 1, v51
	v_add_co_u32 v15, s0, s20, v17
	v_cndmask_b32_e32 v1, v1, v4, vcc_lo
	v_sub_nc_u32_e32 v4, v45, v6
	v_cmp_eq_u32_e32 vcc_lo, 1, v7
	v_and_b32_sdwa v7, v56, v48 dst_sel:DWORD dst_unused:UNUSED_PAD src0_sel:DWORD src1_sel:WORD_1
	v_lshlrev_b32_e32 v1, 2, v1
	v_add_nc_u32_e32 v4, 6, v4
	v_cndmask_b32_e32 v3, v3, v5, vcc_lo
	v_sub_nc_u32_e32 v5, v45, v2
	v_cmp_eq_u32_e32 vcc_lo, 1, v7
	v_sub_nc_u32_e32 v7, v13, v17
	v_lshlrev_b32_e32 v3, 2, v3
	v_add_nc_u32_e32 v5, 7, v5
	v_cndmask_b32_e32 v4, v4, v6, vcc_lo
	v_cmp_eq_u32_e32 vcc_lo, 1, v8
	v_sub_nc_u32_e32 v6, v9, v17
	ds_write_b32 v1, v24
	ds_write_b32 v3, v25
	v_lshlrev_b32_e32 v3, 2, v4
	v_cndmask_b32_e32 v2, v5, v2, vcc_lo
	v_sub_nc_u32_e32 v1, v45, v6
	v_and_b32_e32 v5, 1, v47
	v_sub_nc_u32_e32 v4, v10, v17
	v_and_b32_e32 v10, 1, v49
	v_lshlrev_b32_e32 v2, 2, v2
	v_add_nc_u32_e32 v1, 8, v1
	ds_write_b32 v3, v22
	ds_write_b32 v2, v23
	v_cmp_eq_u32_e32 vcc_lo, 1, v5
	v_sub_nc_u32_e32 v3, v11, v17
	v_sub_nc_u32_e32 v2, v45, v4
	v_sub_nc_u32_e32 v5, v12, v17
	v_and_b32_e32 v11, 1, v46
	v_cndmask_b32_e32 v1, v1, v6, vcc_lo
	v_and_b32_e32 v6, 1, v14
	v_sub_nc_u32_e32 v8, v45, v3
	v_add_nc_u32_e32 v2, 9, v2
	v_sub_nc_u32_e32 v9, v45, v5
	v_lshlrev_b32_e32 v1, 2, v1
	v_cmp_eq_u32_e32 vcc_lo, 1, v6
	v_add_nc_u32_e32 v6, 10, v8
	v_and_b32_sdwa v8, v56, v47 dst_sel:DWORD dst_unused:UNUSED_PAD src0_sel:DWORD src1_sel:WORD_1
	v_add_nc_u32_e32 v9, 11, v9
	v_add_co_ci_u32_e64 v17, null, s21, 0, s0
	v_cndmask_b32_e32 v2, v2, v4, vcc_lo
	v_cmp_eq_u32_e32 vcc_lo, 1, v8
	v_sub_nc_u32_e32 v4, v45, v7
	v_lshlrev_b32_e32 v2, 2, v2
	v_cndmask_b32_e32 v3, v6, v3, vcc_lo
	v_cmp_eq_u32_e32 vcc_lo, 1, v10
	v_add_nc_u32_e32 v4, 12, v4
	v_lshlrev_b32_e32 v3, 2, v3
	v_cndmask_b32_e32 v5, v9, v5, vcc_lo
	v_cmp_eq_u32_e32 vcc_lo, 1, v11
	v_lshlrev_b32_e32 v5, 2, v5
	v_cndmask_b32_e32 v4, v4, v7, vcc_lo
	v_cmp_ne_u32_e32 vcc_lo, 1, v43
	v_lshlrev_b32_e32 v4, 2, v4
	ds_write_b32 v1, v20
	ds_write_b32 v2, v21
	;; [unrolled: 1-line block ×5, first 2 shown]
	s_waitcnt lgkmcnt(0)
	s_barrier
	buffer_gl0_inv
	ds_read2st64_b32 v[11:12], v42 offset1:4
	ds_read2st64_b32 v[9:10], v42 offset0:8 offset1:12
	ds_read2st64_b32 v[7:8], v42 offset0:16 offset1:20
	ds_read2st64_b32 v[5:6], v42 offset0:24 offset1:28
	ds_read2st64_b32 v[3:4], v42 offset0:32 offset1:36
	ds_read2st64_b32 v[1:2], v42 offset0:40 offset1:44
	ds_read_b32 v18, v42 offset:12288
	s_cbranch_vccnz .LBB1807_125
; %bb.72:
	s_sub_u32 s0, s18, s26
	v_sub_co_u32 v13, vcc_lo, v15, s16
	s_subb_u32 s1, s19, 0
	v_add_co_u32 v19, s0, s0, v16
	v_subrev_co_ci_u32_e64 v14, null, s17, v17, vcc_lo
	v_add_co_ci_u32_e64 v20, null, s1, 0, s0
	v_add_co_u32 v19, vcc_lo, v19, v13
	s_mov_b32 s0, exec_lo
	v_add_co_ci_u32_e64 v20, null, v20, v14, vcc_lo
                                        ; implicit-def: $vgpr13_vgpr14
	v_cmpx_ge_u32_e64 v0, v16
	s_xor_b32 s0, exec_lo, s0
; %bb.73:
	v_not_b32_e32 v13, v0
	v_ashrrev_i32_e32 v14, 31, v13
	v_add_co_u32 v13, vcc_lo, v19, v13
	v_add_co_ci_u32_e64 v14, null, v20, v14, vcc_lo
; %bb.74:
	s_andn2_saveexec_b32 s0, s0
; %bb.75:
	v_add_co_u32 v13, vcc_lo, v15, v0
	v_add_co_ci_u32_e64 v14, null, 0, v17, vcc_lo
; %bb.76:
	s_or_b32 exec_lo, exec_lo, s0
	v_lshlrev_b64 v[13:14], 2, v[13:14]
	s_mov_b32 s0, exec_lo
	v_add_co_u32 v13, vcc_lo, s14, v13
	v_add_co_ci_u32_e64 v14, null, s15, v14, vcc_lo
	s_waitcnt lgkmcnt(6)
	global_store_dword v[13:14], v11, off
                                        ; implicit-def: $vgpr13_vgpr14
	v_cmpx_ge_u32_e64 v41, v16
	s_xor_b32 s0, exec_lo, s0
; %bb.77:
	v_xor_b32_e32 v13, 0xfffffeff, v0
	v_ashrrev_i32_e32 v14, 31, v13
	v_add_co_u32 v13, vcc_lo, v19, v13
	v_add_co_ci_u32_e64 v14, null, v20, v14, vcc_lo
; %bb.78:
	s_andn2_saveexec_b32 s0, s0
; %bb.79:
	v_add_co_u32 v13, vcc_lo, v15, v41
	v_add_co_ci_u32_e64 v14, null, 0, v17, vcc_lo
; %bb.80:
	s_or_b32 exec_lo, exec_lo, s0
	v_lshlrev_b64 v[13:14], 2, v[13:14]
	s_mov_b32 s0, exec_lo
	v_add_co_u32 v13, vcc_lo, s14, v13
	v_add_co_ci_u32_e64 v14, null, s15, v14, vcc_lo
	global_store_dword v[13:14], v12, off
                                        ; implicit-def: $vgpr13_vgpr14
	v_cmpx_ge_u32_e64 v40, v16
	s_xor_b32 s0, exec_lo, s0
; %bb.81:
	v_xor_b32_e32 v13, 0xfffffdff, v0
	v_ashrrev_i32_e32 v14, 31, v13
	v_add_co_u32 v13, vcc_lo, v19, v13
	v_add_co_ci_u32_e64 v14, null, v20, v14, vcc_lo
; %bb.82:
	s_andn2_saveexec_b32 s0, s0
; %bb.83:
	v_add_co_u32 v13, vcc_lo, v15, v40
	v_add_co_ci_u32_e64 v14, null, 0, v17, vcc_lo
; %bb.84:
	s_or_b32 exec_lo, exec_lo, s0
	v_lshlrev_b64 v[13:14], 2, v[13:14]
	s_mov_b32 s0, exec_lo
	v_add_co_u32 v13, vcc_lo, s14, v13
	v_add_co_ci_u32_e64 v14, null, s15, v14, vcc_lo
	s_waitcnt lgkmcnt(5)
	global_store_dword v[13:14], v9, off
                                        ; implicit-def: $vgpr13_vgpr14
	v_cmpx_ge_u32_e64 v39, v16
	s_xor_b32 s0, exec_lo, s0
; %bb.85:
	v_xor_b32_e32 v13, 0xfffffcff, v0
	v_ashrrev_i32_e32 v14, 31, v13
	v_add_co_u32 v13, vcc_lo, v19, v13
	v_add_co_ci_u32_e64 v14, null, v20, v14, vcc_lo
; %bb.86:
	s_andn2_saveexec_b32 s0, s0
; %bb.87:
	v_add_co_u32 v13, vcc_lo, v15, v39
	v_add_co_ci_u32_e64 v14, null, 0, v17, vcc_lo
; %bb.88:
	s_or_b32 exec_lo, exec_lo, s0
	v_lshlrev_b64 v[13:14], 2, v[13:14]
	s_mov_b32 s0, exec_lo
	v_add_co_u32 v13, vcc_lo, s14, v13
	v_add_co_ci_u32_e64 v14, null, s15, v14, vcc_lo
	global_store_dword v[13:14], v10, off
                                        ; implicit-def: $vgpr13_vgpr14
	v_cmpx_ge_u32_e64 v38, v16
	s_xor_b32 s0, exec_lo, s0
; %bb.89:
	v_xor_b32_e32 v13, 0xfffffbff, v0
	;; [unrolled: 41-line block ×6, first 2 shown]
	v_ashrrev_i32_e32 v14, 31, v13
	v_add_co_u32 v13, vcc_lo, v19, v13
	v_add_co_ci_u32_e64 v14, null, v20, v14, vcc_lo
; %bb.122:
	s_andn2_saveexec_b32 s0, s0
; %bb.123:
	v_add_co_u32 v13, vcc_lo, v15, v30
	v_add_co_ci_u32_e64 v14, null, 0, v17, vcc_lo
; %bb.124:
	s_or_b32 exec_lo, exec_lo, s0
	s_mov_b32 s0, -1
	s_branch .LBB1807_205
.LBB1807_125:
	s_mov_b32 s0, 0
                                        ; implicit-def: $vgpr13_vgpr14
	s_cbranch_execz .LBB1807_205
; %bb.126:
	s_add_u32 s1, s16, s26
	s_addc_u32 s2, s17, 0
	s_sub_u32 s1, s18, s1
	s_subb_u32 s2, s19, s2
	v_add_co_u32 v13, s1, s1, v16
	v_add_co_ci_u32_e64 v14, null, s2, 0, s1
	s_mov_b32 s1, exec_lo
	v_add_co_u32 v19, vcc_lo, v13, v15
	v_add_co_ci_u32_e64 v20, null, v14, v17, vcc_lo
	v_cmpx_gt_u32_e64 s25, v0
	s_cbranch_execz .LBB1807_162
; %bb.127:
	s_mov_b32 s2, exec_lo
                                        ; implicit-def: $vgpr13_vgpr14
	v_cmpx_ge_u32_e64 v0, v16
	s_xor_b32 s2, exec_lo, s2
; %bb.128:
	v_not_b32_e32 v13, v0
	v_ashrrev_i32_e32 v14, 31, v13
	v_add_co_u32 v13, vcc_lo, v19, v13
	v_add_co_ci_u32_e64 v14, null, v20, v14, vcc_lo
; %bb.129:
	s_andn2_saveexec_b32 s2, s2
; %bb.130:
	v_add_co_u32 v13, vcc_lo, v15, v0
	v_add_co_ci_u32_e64 v14, null, 0, v17, vcc_lo
; %bb.131:
	s_or_b32 exec_lo, exec_lo, s2
	v_lshlrev_b64 v[13:14], 2, v[13:14]
	v_add_co_u32 v13, vcc_lo, s14, v13
	v_add_co_ci_u32_e64 v14, null, s15, v14, vcc_lo
	s_waitcnt lgkmcnt(6)
	global_store_dword v[13:14], v11, off
	s_or_b32 exec_lo, exec_lo, s1
	s_mov_b32 s1, exec_lo
	v_cmpx_gt_u32_e64 s25, v41
	s_cbranch_execnz .LBB1807_163
.LBB1807_132:
	s_or_b32 exec_lo, exec_lo, s1
	s_mov_b32 s1, exec_lo
	v_cmpx_gt_u32_e64 s25, v40
	s_cbranch_execz .LBB1807_168
.LBB1807_133:
	s_mov_b32 s2, exec_lo
                                        ; implicit-def: $vgpr11_vgpr12
	v_cmpx_ge_u32_e64 v40, v16
	s_xor_b32 s2, exec_lo, s2
	s_cbranch_execz .LBB1807_135
; %bb.134:
	s_waitcnt lgkmcnt(6)
	v_xor_b32_e32 v11, 0xfffffdff, v0
                                        ; implicit-def: $vgpr40
	v_ashrrev_i32_e32 v12, 31, v11
	v_add_co_u32 v11, vcc_lo, v19, v11
	v_add_co_ci_u32_e64 v12, null, v20, v12, vcc_lo
.LBB1807_135:
	s_andn2_saveexec_b32 s2, s2
	s_cbranch_execz .LBB1807_137
; %bb.136:
	s_waitcnt lgkmcnt(6)
	v_add_co_u32 v11, vcc_lo, v15, v40
	v_add_co_ci_u32_e64 v12, null, 0, v17, vcc_lo
.LBB1807_137:
	s_or_b32 exec_lo, exec_lo, s2
	s_waitcnt lgkmcnt(6)
	v_lshlrev_b64 v[11:12], 2, v[11:12]
	v_add_co_u32 v11, vcc_lo, s14, v11
	v_add_co_ci_u32_e64 v12, null, s15, v12, vcc_lo
	s_waitcnt lgkmcnt(5)
	global_store_dword v[11:12], v9, off
	s_or_b32 exec_lo, exec_lo, s1
	s_mov_b32 s1, exec_lo
	v_cmpx_gt_u32_e64 s25, v39
	s_cbranch_execnz .LBB1807_169
.LBB1807_138:
	s_or_b32 exec_lo, exec_lo, s1
	s_mov_b32 s1, exec_lo
	v_cmpx_gt_u32_e64 s25, v38
	s_cbranch_execz .LBB1807_174
.LBB1807_139:
	s_mov_b32 s2, exec_lo
                                        ; implicit-def: $vgpr9_vgpr10
	v_cmpx_ge_u32_e64 v38, v16
	s_xor_b32 s2, exec_lo, s2
	s_cbranch_execz .LBB1807_141
; %bb.140:
	s_waitcnt lgkmcnt(5)
	v_xor_b32_e32 v9, 0xfffffbff, v0
                                        ; implicit-def: $vgpr38
	v_ashrrev_i32_e32 v10, 31, v9
	v_add_co_u32 v9, vcc_lo, v19, v9
	v_add_co_ci_u32_e64 v10, null, v20, v10, vcc_lo
.LBB1807_141:
	s_andn2_saveexec_b32 s2, s2
	s_cbranch_execz .LBB1807_143
; %bb.142:
	s_waitcnt lgkmcnt(5)
	v_add_co_u32 v9, vcc_lo, v15, v38
	v_add_co_ci_u32_e64 v10, null, 0, v17, vcc_lo
.LBB1807_143:
	s_or_b32 exec_lo, exec_lo, s2
	s_waitcnt lgkmcnt(5)
	v_lshlrev_b64 v[9:10], 2, v[9:10]
	v_add_co_u32 v9, vcc_lo, s14, v9
	v_add_co_ci_u32_e64 v10, null, s15, v10, vcc_lo
	s_waitcnt lgkmcnt(4)
	global_store_dword v[9:10], v7, off
	s_or_b32 exec_lo, exec_lo, s1
	s_mov_b32 s1, exec_lo
	v_cmpx_gt_u32_e64 s25, v37
	s_cbranch_execnz .LBB1807_175
.LBB1807_144:
	s_or_b32 exec_lo, exec_lo, s1
	s_mov_b32 s1, exec_lo
	v_cmpx_gt_u32_e64 s25, v36
	s_cbranch_execz .LBB1807_180
.LBB1807_145:
	s_mov_b32 s2, exec_lo
                                        ; implicit-def: $vgpr7_vgpr8
	v_cmpx_ge_u32_e64 v36, v16
	s_xor_b32 s2, exec_lo, s2
	s_cbranch_execz .LBB1807_147
; %bb.146:
	s_waitcnt lgkmcnt(4)
	v_xor_b32_e32 v7, 0xfffff9ff, v0
                                        ; implicit-def: $vgpr36
	v_ashrrev_i32_e32 v8, 31, v7
	v_add_co_u32 v7, vcc_lo, v19, v7
	v_add_co_ci_u32_e64 v8, null, v20, v8, vcc_lo
.LBB1807_147:
	s_andn2_saveexec_b32 s2, s2
	s_cbranch_execz .LBB1807_149
; %bb.148:
	s_waitcnt lgkmcnt(4)
	v_add_co_u32 v7, vcc_lo, v15, v36
	v_add_co_ci_u32_e64 v8, null, 0, v17, vcc_lo
.LBB1807_149:
	s_or_b32 exec_lo, exec_lo, s2
	s_waitcnt lgkmcnt(4)
	v_lshlrev_b64 v[7:8], 2, v[7:8]
	v_add_co_u32 v7, vcc_lo, s14, v7
	v_add_co_ci_u32_e64 v8, null, s15, v8, vcc_lo
	s_waitcnt lgkmcnt(3)
	global_store_dword v[7:8], v5, off
	s_or_b32 exec_lo, exec_lo, s1
	s_mov_b32 s1, exec_lo
	v_cmpx_gt_u32_e64 s25, v35
	s_cbranch_execnz .LBB1807_181
.LBB1807_150:
	s_or_b32 exec_lo, exec_lo, s1
	s_mov_b32 s1, exec_lo
	v_cmpx_gt_u32_e64 s25, v34
	s_cbranch_execz .LBB1807_186
.LBB1807_151:
	s_mov_b32 s2, exec_lo
                                        ; implicit-def: $vgpr5_vgpr6
	v_cmpx_ge_u32_e64 v34, v16
	s_xor_b32 s2, exec_lo, s2
	s_cbranch_execz .LBB1807_153
; %bb.152:
	s_waitcnt lgkmcnt(3)
	v_xor_b32_e32 v5, 0xfffff7ff, v0
                                        ; implicit-def: $vgpr34
	v_ashrrev_i32_e32 v6, 31, v5
	v_add_co_u32 v5, vcc_lo, v19, v5
	v_add_co_ci_u32_e64 v6, null, v20, v6, vcc_lo
.LBB1807_153:
	s_andn2_saveexec_b32 s2, s2
	s_cbranch_execz .LBB1807_155
; %bb.154:
	s_waitcnt lgkmcnt(3)
	v_add_co_u32 v5, vcc_lo, v15, v34
	v_add_co_ci_u32_e64 v6, null, 0, v17, vcc_lo
.LBB1807_155:
	s_or_b32 exec_lo, exec_lo, s2
	s_waitcnt lgkmcnt(3)
	v_lshlrev_b64 v[5:6], 2, v[5:6]
	v_add_co_u32 v5, vcc_lo, s14, v5
	v_add_co_ci_u32_e64 v6, null, s15, v6, vcc_lo
	s_waitcnt lgkmcnt(2)
	global_store_dword v[5:6], v3, off
	s_or_b32 exec_lo, exec_lo, s1
	s_mov_b32 s1, exec_lo
	v_cmpx_gt_u32_e64 s25, v33
	s_cbranch_execnz .LBB1807_187
.LBB1807_156:
	s_or_b32 exec_lo, exec_lo, s1
	s_mov_b32 s1, exec_lo
	v_cmpx_gt_u32_e64 s25, v32
	s_cbranch_execz .LBB1807_192
.LBB1807_157:
	s_mov_b32 s2, exec_lo
                                        ; implicit-def: $vgpr3_vgpr4
	v_cmpx_ge_u32_e64 v32, v16
	s_xor_b32 s2, exec_lo, s2
	s_cbranch_execz .LBB1807_159
; %bb.158:
	s_waitcnt lgkmcnt(2)
	v_xor_b32_e32 v3, 0xfffff5ff, v0
                                        ; implicit-def: $vgpr32
	v_ashrrev_i32_e32 v4, 31, v3
	v_add_co_u32 v3, vcc_lo, v19, v3
	v_add_co_ci_u32_e64 v4, null, v20, v4, vcc_lo
.LBB1807_159:
	s_andn2_saveexec_b32 s2, s2
	s_cbranch_execz .LBB1807_161
; %bb.160:
	s_waitcnt lgkmcnt(2)
	v_add_co_u32 v3, vcc_lo, v15, v32
	v_add_co_ci_u32_e64 v4, null, 0, v17, vcc_lo
.LBB1807_161:
	s_or_b32 exec_lo, exec_lo, s2
	s_waitcnt lgkmcnt(2)
	v_lshlrev_b64 v[3:4], 2, v[3:4]
	v_add_co_u32 v3, vcc_lo, s14, v3
	v_add_co_ci_u32_e64 v4, null, s15, v4, vcc_lo
	s_waitcnt lgkmcnt(1)
	global_store_dword v[3:4], v1, off
	s_or_b32 exec_lo, exec_lo, s1
	s_mov_b32 s1, exec_lo
	v_cmpx_gt_u32_e64 s25, v31
	s_cbranch_execz .LBB1807_198
	s_branch .LBB1807_193
.LBB1807_162:
	s_or_b32 exec_lo, exec_lo, s1
	s_mov_b32 s1, exec_lo
	v_cmpx_gt_u32_e64 s25, v41
	s_cbranch_execz .LBB1807_132
.LBB1807_163:
	s_mov_b32 s2, exec_lo
                                        ; implicit-def: $vgpr13_vgpr14
	v_cmpx_ge_u32_e64 v41, v16
	s_xor_b32 s2, exec_lo, s2
	s_cbranch_execz .LBB1807_165
; %bb.164:
	s_waitcnt lgkmcnt(6)
	v_xor_b32_e32 v11, 0xfffffeff, v0
                                        ; implicit-def: $vgpr41
	v_ashrrev_i32_e32 v14, 31, v11
	v_add_co_u32 v13, vcc_lo, v19, v11
	v_add_co_ci_u32_e64 v14, null, v20, v14, vcc_lo
.LBB1807_165:
	s_andn2_saveexec_b32 s2, s2
; %bb.166:
	v_add_co_u32 v13, vcc_lo, v15, v41
	v_add_co_ci_u32_e64 v14, null, 0, v17, vcc_lo
; %bb.167:
	s_or_b32 exec_lo, exec_lo, s2
	v_lshlrev_b64 v[13:14], 2, v[13:14]
	v_add_co_u32 v13, vcc_lo, s14, v13
	v_add_co_ci_u32_e64 v14, null, s15, v14, vcc_lo
	s_waitcnt lgkmcnt(6)
	global_store_dword v[13:14], v12, off
	s_or_b32 exec_lo, exec_lo, s1
	s_mov_b32 s1, exec_lo
	v_cmpx_gt_u32_e64 s25, v40
	s_cbranch_execnz .LBB1807_133
.LBB1807_168:
	s_or_b32 exec_lo, exec_lo, s1
	s_mov_b32 s1, exec_lo
	v_cmpx_gt_u32_e64 s25, v39
	s_cbranch_execz .LBB1807_138
.LBB1807_169:
	s_mov_b32 s2, exec_lo
                                        ; implicit-def: $vgpr11_vgpr12
	v_cmpx_ge_u32_e64 v39, v16
	s_xor_b32 s2, exec_lo, s2
	s_cbranch_execz .LBB1807_171
; %bb.170:
	s_waitcnt lgkmcnt(5)
	v_xor_b32_e32 v9, 0xfffffcff, v0
                                        ; implicit-def: $vgpr39
	v_ashrrev_i32_e32 v12, 31, v9
	v_add_co_u32 v11, vcc_lo, v19, v9
	v_add_co_ci_u32_e64 v12, null, v20, v12, vcc_lo
.LBB1807_171:
	s_andn2_saveexec_b32 s2, s2
	s_cbranch_execz .LBB1807_173
; %bb.172:
	s_waitcnt lgkmcnt(6)
	v_add_co_u32 v11, vcc_lo, v15, v39
	v_add_co_ci_u32_e64 v12, null, 0, v17, vcc_lo
.LBB1807_173:
	s_or_b32 exec_lo, exec_lo, s2
	s_waitcnt lgkmcnt(6)
	v_lshlrev_b64 v[11:12], 2, v[11:12]
	v_add_co_u32 v11, vcc_lo, s14, v11
	v_add_co_ci_u32_e64 v12, null, s15, v12, vcc_lo
	s_waitcnt lgkmcnt(5)
	global_store_dword v[11:12], v10, off
	s_or_b32 exec_lo, exec_lo, s1
	s_mov_b32 s1, exec_lo
	v_cmpx_gt_u32_e64 s25, v38
	s_cbranch_execnz .LBB1807_139
.LBB1807_174:
	s_or_b32 exec_lo, exec_lo, s1
	s_mov_b32 s1, exec_lo
	v_cmpx_gt_u32_e64 s25, v37
	s_cbranch_execz .LBB1807_144
.LBB1807_175:
	s_mov_b32 s2, exec_lo
                                        ; implicit-def: $vgpr9_vgpr10
	v_cmpx_ge_u32_e64 v37, v16
	s_xor_b32 s2, exec_lo, s2
	s_cbranch_execz .LBB1807_177
; %bb.176:
	s_waitcnt lgkmcnt(4)
	v_xor_b32_e32 v7, 0xfffffaff, v0
                                        ; implicit-def: $vgpr37
	v_ashrrev_i32_e32 v10, 31, v7
	v_add_co_u32 v9, vcc_lo, v19, v7
	v_add_co_ci_u32_e64 v10, null, v20, v10, vcc_lo
.LBB1807_177:
	s_andn2_saveexec_b32 s2, s2
	s_cbranch_execz .LBB1807_179
; %bb.178:
	s_waitcnt lgkmcnt(5)
	v_add_co_u32 v9, vcc_lo, v15, v37
	v_add_co_ci_u32_e64 v10, null, 0, v17, vcc_lo
.LBB1807_179:
	s_or_b32 exec_lo, exec_lo, s2
	s_waitcnt lgkmcnt(5)
	v_lshlrev_b64 v[9:10], 2, v[9:10]
	v_add_co_u32 v9, vcc_lo, s14, v9
	v_add_co_ci_u32_e64 v10, null, s15, v10, vcc_lo
	s_waitcnt lgkmcnt(4)
	global_store_dword v[9:10], v8, off
	s_or_b32 exec_lo, exec_lo, s1
	s_mov_b32 s1, exec_lo
	v_cmpx_gt_u32_e64 s25, v36
	s_cbranch_execnz .LBB1807_145
.LBB1807_180:
	s_or_b32 exec_lo, exec_lo, s1
	s_mov_b32 s1, exec_lo
	v_cmpx_gt_u32_e64 s25, v35
	s_cbranch_execz .LBB1807_150
.LBB1807_181:
	s_mov_b32 s2, exec_lo
                                        ; implicit-def: $vgpr7_vgpr8
	v_cmpx_ge_u32_e64 v35, v16
	s_xor_b32 s2, exec_lo, s2
	s_cbranch_execz .LBB1807_183
; %bb.182:
	s_waitcnt lgkmcnt(3)
	v_xor_b32_e32 v5, 0xfffff8ff, v0
                                        ; implicit-def: $vgpr35
	v_ashrrev_i32_e32 v8, 31, v5
	v_add_co_u32 v7, vcc_lo, v19, v5
	v_add_co_ci_u32_e64 v8, null, v20, v8, vcc_lo
.LBB1807_183:
	s_andn2_saveexec_b32 s2, s2
	s_cbranch_execz .LBB1807_185
; %bb.184:
	s_waitcnt lgkmcnt(4)
	v_add_co_u32 v7, vcc_lo, v15, v35
	v_add_co_ci_u32_e64 v8, null, 0, v17, vcc_lo
.LBB1807_185:
	s_or_b32 exec_lo, exec_lo, s2
	s_waitcnt lgkmcnt(4)
	v_lshlrev_b64 v[7:8], 2, v[7:8]
	v_add_co_u32 v7, vcc_lo, s14, v7
	v_add_co_ci_u32_e64 v8, null, s15, v8, vcc_lo
	s_waitcnt lgkmcnt(3)
	global_store_dword v[7:8], v6, off
	s_or_b32 exec_lo, exec_lo, s1
	s_mov_b32 s1, exec_lo
	v_cmpx_gt_u32_e64 s25, v34
	s_cbranch_execnz .LBB1807_151
.LBB1807_186:
	s_or_b32 exec_lo, exec_lo, s1
	s_mov_b32 s1, exec_lo
	v_cmpx_gt_u32_e64 s25, v33
	s_cbranch_execz .LBB1807_156
.LBB1807_187:
	s_mov_b32 s2, exec_lo
                                        ; implicit-def: $vgpr5_vgpr6
	v_cmpx_ge_u32_e64 v33, v16
	s_xor_b32 s2, exec_lo, s2
	s_cbranch_execz .LBB1807_189
; %bb.188:
	s_waitcnt lgkmcnt(2)
	v_xor_b32_e32 v3, 0xfffff6ff, v0
                                        ; implicit-def: $vgpr33
	v_ashrrev_i32_e32 v6, 31, v3
	v_add_co_u32 v5, vcc_lo, v19, v3
	v_add_co_ci_u32_e64 v6, null, v20, v6, vcc_lo
.LBB1807_189:
	s_andn2_saveexec_b32 s2, s2
	s_cbranch_execz .LBB1807_191
; %bb.190:
	s_waitcnt lgkmcnt(3)
	v_add_co_u32 v5, vcc_lo, v15, v33
	v_add_co_ci_u32_e64 v6, null, 0, v17, vcc_lo
.LBB1807_191:
	s_or_b32 exec_lo, exec_lo, s2
	s_waitcnt lgkmcnt(3)
	v_lshlrev_b64 v[5:6], 2, v[5:6]
	v_add_co_u32 v5, vcc_lo, s14, v5
	v_add_co_ci_u32_e64 v6, null, s15, v6, vcc_lo
	s_waitcnt lgkmcnt(2)
	global_store_dword v[5:6], v4, off
	s_or_b32 exec_lo, exec_lo, s1
	s_mov_b32 s1, exec_lo
	v_cmpx_gt_u32_e64 s25, v32
	s_cbranch_execnz .LBB1807_157
.LBB1807_192:
	s_or_b32 exec_lo, exec_lo, s1
	s_mov_b32 s1, exec_lo
	v_cmpx_gt_u32_e64 s25, v31
	s_cbranch_execz .LBB1807_198
.LBB1807_193:
	s_mov_b32 s2, exec_lo
                                        ; implicit-def: $vgpr3_vgpr4
	v_cmpx_ge_u32_e64 v31, v16
	s_xor_b32 s2, exec_lo, s2
	s_cbranch_execz .LBB1807_195
; %bb.194:
	s_waitcnt lgkmcnt(1)
	v_xor_b32_e32 v1, 0xfffff4ff, v0
                                        ; implicit-def: $vgpr31
	v_ashrrev_i32_e32 v4, 31, v1
	v_add_co_u32 v3, vcc_lo, v19, v1
	v_add_co_ci_u32_e64 v4, null, v20, v4, vcc_lo
.LBB1807_195:
	s_andn2_saveexec_b32 s2, s2
	s_cbranch_execz .LBB1807_197
; %bb.196:
	s_waitcnt lgkmcnt(2)
	v_add_co_u32 v3, vcc_lo, v15, v31
	v_add_co_ci_u32_e64 v4, null, 0, v17, vcc_lo
.LBB1807_197:
	s_or_b32 exec_lo, exec_lo, s2
	s_waitcnt lgkmcnt(2)
	v_lshlrev_b64 v[3:4], 2, v[3:4]
	v_add_co_u32 v3, vcc_lo, s14, v3
	v_add_co_ci_u32_e64 v4, null, s15, v4, vcc_lo
	s_waitcnt lgkmcnt(1)
	global_store_dword v[3:4], v2, off
.LBB1807_198:
	s_or_b32 exec_lo, exec_lo, s1
	s_mov_b32 s1, exec_lo
                                        ; implicit-def: $vgpr13_vgpr14
	v_cmpx_gt_u32_e64 s25, v30
	s_cbranch_execz .LBB1807_204
; %bb.199:
	s_mov_b32 s2, exec_lo
                                        ; implicit-def: $vgpr13_vgpr14
	v_cmpx_ge_u32_e64 v30, v16
	s_xor_b32 s2, exec_lo, s2
	s_cbranch_execz .LBB1807_201
; %bb.200:
	s_waitcnt lgkmcnt(1)
	v_xor_b32_e32 v1, 0xfffff3ff, v0
                                        ; implicit-def: $vgpr30
	v_ashrrev_i32_e32 v2, 31, v1
	v_add_co_u32 v13, vcc_lo, v19, v1
	v_add_co_ci_u32_e64 v14, null, v20, v2, vcc_lo
.LBB1807_201:
	s_andn2_saveexec_b32 s2, s2
; %bb.202:
	v_add_co_u32 v13, vcc_lo, v15, v30
	v_add_co_ci_u32_e64 v14, null, 0, v17, vcc_lo
; %bb.203:
	s_or_b32 exec_lo, exec_lo, s2
	s_or_b32 s0, s0, exec_lo
.LBB1807_204:
	s_or_b32 exec_lo, exec_lo, s1
.LBB1807_205:
	s_and_saveexec_b32 s1, s0
	s_cbranch_execz .LBB1807_207
; %bb.206:
	s_waitcnt lgkmcnt(1)
	v_lshlrev_b64 v[1:2], 2, v[13:14]
	v_add_co_u32 v1, vcc_lo, s14, v1
	v_add_co_ci_u32_e64 v2, null, s15, v2, vcc_lo
	s_waitcnt lgkmcnt(0)
	global_store_dword v[1:2], v18, off
.LBB1807_207:
	s_or_b32 exec_lo, exec_lo, s1
	v_cmp_eq_u32_e32 vcc_lo, 0, v0
	s_and_b32 s0, vcc_lo, s24
	s_and_saveexec_b32 s1, s0
	s_cbranch_execz .LBB1807_209
; %bb.208:
	v_add_co_u32 v0, vcc_lo, v15, v16
	s_waitcnt lgkmcnt(1)
	v_mov_b32_e32 v2, 0
	v_add_co_ci_u32_e64 v1, null, 0, v17, vcc_lo
	global_store_dwordx2 v2, v[0:1], s[12:13]
.LBB1807_209:
	s_endpgm
	.section	.rodata,"a",@progbits
	.p2align	6, 0x0
	.amdhsa_kernel _ZN7rocprim17ROCPRIM_400000_NS6detail17trampoline_kernelINS0_13select_configILj256ELj13ELNS0_17block_load_methodE3ELS4_3ELS4_3ELNS0_20block_scan_algorithmE0ELj4294967295EEENS1_25partition_config_selectorILNS1_17partition_subalgoE3EjNS0_10empty_typeEbEEZZNS1_14partition_implILS8_3ELb0ES6_jNS0_17counting_iteratorIjlEEPS9_SE_NS0_5tupleIJPjSE_EEENSF_IJSE_SE_EEES9_SG_JZNS1_25segmented_radix_sort_implINS0_14default_configELb0EPK6__halfPSL_PKlPlN2at6native12_GLOBAL__N_18offset_tEEE10hipError_tPvRmT1_PNSt15iterator_traitsISZ_E10value_typeET2_T3_PNS10_IS15_E10value_typeET4_jRbjT5_S1B_jjP12ihipStream_tbEUljE_EEESW_SX_SY_S15_S19_S1B_T6_T7_T9_mT8_S1D_bDpT10_ENKUlT_T0_E_clISt17integral_constantIbLb0EES1Q_EEDaS1L_S1M_EUlS1L_E_NS1_11comp_targetILNS1_3genE8ELNS1_11target_archE1030ELNS1_3gpuE2ELNS1_3repE0EEENS1_30default_config_static_selectorELNS0_4arch9wavefront6targetE0EEEvSZ_
		.amdhsa_group_segment_fixed_size 13320
		.amdhsa_private_segment_fixed_size 0
		.amdhsa_kernarg_size 144
		.amdhsa_user_sgpr_count 6
		.amdhsa_user_sgpr_private_segment_buffer 1
		.amdhsa_user_sgpr_dispatch_ptr 0
		.amdhsa_user_sgpr_queue_ptr 0
		.amdhsa_user_sgpr_kernarg_segment_ptr 1
		.amdhsa_user_sgpr_dispatch_id 0
		.amdhsa_user_sgpr_flat_scratch_init 0
		.amdhsa_user_sgpr_private_segment_size 0
		.amdhsa_wavefront_size32 1
		.amdhsa_uses_dynamic_stack 0
		.amdhsa_system_sgpr_private_segment_wavefront_offset 0
		.amdhsa_system_sgpr_workgroup_id_x 1
		.amdhsa_system_sgpr_workgroup_id_y 0
		.amdhsa_system_sgpr_workgroup_id_z 0
		.amdhsa_system_sgpr_workgroup_info 0
		.amdhsa_system_vgpr_workitem_id 0
		.amdhsa_next_free_vgpr 69
		.amdhsa_next_free_sgpr 27
		.amdhsa_reserve_vcc 1
		.amdhsa_reserve_flat_scratch 0
		.amdhsa_float_round_mode_32 0
		.amdhsa_float_round_mode_16_64 0
		.amdhsa_float_denorm_mode_32 3
		.amdhsa_float_denorm_mode_16_64 3
		.amdhsa_dx10_clamp 1
		.amdhsa_ieee_mode 1
		.amdhsa_fp16_overflow 0
		.amdhsa_workgroup_processor_mode 1
		.amdhsa_memory_ordered 1
		.amdhsa_forward_progress 1
		.amdhsa_shared_vgpr_count 0
		.amdhsa_exception_fp_ieee_invalid_op 0
		.amdhsa_exception_fp_denorm_src 0
		.amdhsa_exception_fp_ieee_div_zero 0
		.amdhsa_exception_fp_ieee_overflow 0
		.amdhsa_exception_fp_ieee_underflow 0
		.amdhsa_exception_fp_ieee_inexact 0
		.amdhsa_exception_int_div_zero 0
	.end_amdhsa_kernel
	.section	.text._ZN7rocprim17ROCPRIM_400000_NS6detail17trampoline_kernelINS0_13select_configILj256ELj13ELNS0_17block_load_methodE3ELS4_3ELS4_3ELNS0_20block_scan_algorithmE0ELj4294967295EEENS1_25partition_config_selectorILNS1_17partition_subalgoE3EjNS0_10empty_typeEbEEZZNS1_14partition_implILS8_3ELb0ES6_jNS0_17counting_iteratorIjlEEPS9_SE_NS0_5tupleIJPjSE_EEENSF_IJSE_SE_EEES9_SG_JZNS1_25segmented_radix_sort_implINS0_14default_configELb0EPK6__halfPSL_PKlPlN2at6native12_GLOBAL__N_18offset_tEEE10hipError_tPvRmT1_PNSt15iterator_traitsISZ_E10value_typeET2_T3_PNS10_IS15_E10value_typeET4_jRbjT5_S1B_jjP12ihipStream_tbEUljE_EEESW_SX_SY_S15_S19_S1B_T6_T7_T9_mT8_S1D_bDpT10_ENKUlT_T0_E_clISt17integral_constantIbLb0EES1Q_EEDaS1L_S1M_EUlS1L_E_NS1_11comp_targetILNS1_3genE8ELNS1_11target_archE1030ELNS1_3gpuE2ELNS1_3repE0EEENS1_30default_config_static_selectorELNS0_4arch9wavefront6targetE0EEEvSZ_,"axG",@progbits,_ZN7rocprim17ROCPRIM_400000_NS6detail17trampoline_kernelINS0_13select_configILj256ELj13ELNS0_17block_load_methodE3ELS4_3ELS4_3ELNS0_20block_scan_algorithmE0ELj4294967295EEENS1_25partition_config_selectorILNS1_17partition_subalgoE3EjNS0_10empty_typeEbEEZZNS1_14partition_implILS8_3ELb0ES6_jNS0_17counting_iteratorIjlEEPS9_SE_NS0_5tupleIJPjSE_EEENSF_IJSE_SE_EEES9_SG_JZNS1_25segmented_radix_sort_implINS0_14default_configELb0EPK6__halfPSL_PKlPlN2at6native12_GLOBAL__N_18offset_tEEE10hipError_tPvRmT1_PNSt15iterator_traitsISZ_E10value_typeET2_T3_PNS10_IS15_E10value_typeET4_jRbjT5_S1B_jjP12ihipStream_tbEUljE_EEESW_SX_SY_S15_S19_S1B_T6_T7_T9_mT8_S1D_bDpT10_ENKUlT_T0_E_clISt17integral_constantIbLb0EES1Q_EEDaS1L_S1M_EUlS1L_E_NS1_11comp_targetILNS1_3genE8ELNS1_11target_archE1030ELNS1_3gpuE2ELNS1_3repE0EEENS1_30default_config_static_selectorELNS0_4arch9wavefront6targetE0EEEvSZ_,comdat
.Lfunc_end1807:
	.size	_ZN7rocprim17ROCPRIM_400000_NS6detail17trampoline_kernelINS0_13select_configILj256ELj13ELNS0_17block_load_methodE3ELS4_3ELS4_3ELNS0_20block_scan_algorithmE0ELj4294967295EEENS1_25partition_config_selectorILNS1_17partition_subalgoE3EjNS0_10empty_typeEbEEZZNS1_14partition_implILS8_3ELb0ES6_jNS0_17counting_iteratorIjlEEPS9_SE_NS0_5tupleIJPjSE_EEENSF_IJSE_SE_EEES9_SG_JZNS1_25segmented_radix_sort_implINS0_14default_configELb0EPK6__halfPSL_PKlPlN2at6native12_GLOBAL__N_18offset_tEEE10hipError_tPvRmT1_PNSt15iterator_traitsISZ_E10value_typeET2_T3_PNS10_IS15_E10value_typeET4_jRbjT5_S1B_jjP12ihipStream_tbEUljE_EEESW_SX_SY_S15_S19_S1B_T6_T7_T9_mT8_S1D_bDpT10_ENKUlT_T0_E_clISt17integral_constantIbLb0EES1Q_EEDaS1L_S1M_EUlS1L_E_NS1_11comp_targetILNS1_3genE8ELNS1_11target_archE1030ELNS1_3gpuE2ELNS1_3repE0EEENS1_30default_config_static_selectorELNS0_4arch9wavefront6targetE0EEEvSZ_, .Lfunc_end1807-_ZN7rocprim17ROCPRIM_400000_NS6detail17trampoline_kernelINS0_13select_configILj256ELj13ELNS0_17block_load_methodE3ELS4_3ELS4_3ELNS0_20block_scan_algorithmE0ELj4294967295EEENS1_25partition_config_selectorILNS1_17partition_subalgoE3EjNS0_10empty_typeEbEEZZNS1_14partition_implILS8_3ELb0ES6_jNS0_17counting_iteratorIjlEEPS9_SE_NS0_5tupleIJPjSE_EEENSF_IJSE_SE_EEES9_SG_JZNS1_25segmented_radix_sort_implINS0_14default_configELb0EPK6__halfPSL_PKlPlN2at6native12_GLOBAL__N_18offset_tEEE10hipError_tPvRmT1_PNSt15iterator_traitsISZ_E10value_typeET2_T3_PNS10_IS15_E10value_typeET4_jRbjT5_S1B_jjP12ihipStream_tbEUljE_EEESW_SX_SY_S15_S19_S1B_T6_T7_T9_mT8_S1D_bDpT10_ENKUlT_T0_E_clISt17integral_constantIbLb0EES1Q_EEDaS1L_S1M_EUlS1L_E_NS1_11comp_targetILNS1_3genE8ELNS1_11target_archE1030ELNS1_3gpuE2ELNS1_3repE0EEENS1_30default_config_static_selectorELNS0_4arch9wavefront6targetE0EEEvSZ_
                                        ; -- End function
	.set _ZN7rocprim17ROCPRIM_400000_NS6detail17trampoline_kernelINS0_13select_configILj256ELj13ELNS0_17block_load_methodE3ELS4_3ELS4_3ELNS0_20block_scan_algorithmE0ELj4294967295EEENS1_25partition_config_selectorILNS1_17partition_subalgoE3EjNS0_10empty_typeEbEEZZNS1_14partition_implILS8_3ELb0ES6_jNS0_17counting_iteratorIjlEEPS9_SE_NS0_5tupleIJPjSE_EEENSF_IJSE_SE_EEES9_SG_JZNS1_25segmented_radix_sort_implINS0_14default_configELb0EPK6__halfPSL_PKlPlN2at6native12_GLOBAL__N_18offset_tEEE10hipError_tPvRmT1_PNSt15iterator_traitsISZ_E10value_typeET2_T3_PNS10_IS15_E10value_typeET4_jRbjT5_S1B_jjP12ihipStream_tbEUljE_EEESW_SX_SY_S15_S19_S1B_T6_T7_T9_mT8_S1D_bDpT10_ENKUlT_T0_E_clISt17integral_constantIbLb0EES1Q_EEDaS1L_S1M_EUlS1L_E_NS1_11comp_targetILNS1_3genE8ELNS1_11target_archE1030ELNS1_3gpuE2ELNS1_3repE0EEENS1_30default_config_static_selectorELNS0_4arch9wavefront6targetE0EEEvSZ_.num_vgpr, 69
	.set _ZN7rocprim17ROCPRIM_400000_NS6detail17trampoline_kernelINS0_13select_configILj256ELj13ELNS0_17block_load_methodE3ELS4_3ELS4_3ELNS0_20block_scan_algorithmE0ELj4294967295EEENS1_25partition_config_selectorILNS1_17partition_subalgoE3EjNS0_10empty_typeEbEEZZNS1_14partition_implILS8_3ELb0ES6_jNS0_17counting_iteratorIjlEEPS9_SE_NS0_5tupleIJPjSE_EEENSF_IJSE_SE_EEES9_SG_JZNS1_25segmented_radix_sort_implINS0_14default_configELb0EPK6__halfPSL_PKlPlN2at6native12_GLOBAL__N_18offset_tEEE10hipError_tPvRmT1_PNSt15iterator_traitsISZ_E10value_typeET2_T3_PNS10_IS15_E10value_typeET4_jRbjT5_S1B_jjP12ihipStream_tbEUljE_EEESW_SX_SY_S15_S19_S1B_T6_T7_T9_mT8_S1D_bDpT10_ENKUlT_T0_E_clISt17integral_constantIbLb0EES1Q_EEDaS1L_S1M_EUlS1L_E_NS1_11comp_targetILNS1_3genE8ELNS1_11target_archE1030ELNS1_3gpuE2ELNS1_3repE0EEENS1_30default_config_static_selectorELNS0_4arch9wavefront6targetE0EEEvSZ_.num_agpr, 0
	.set _ZN7rocprim17ROCPRIM_400000_NS6detail17trampoline_kernelINS0_13select_configILj256ELj13ELNS0_17block_load_methodE3ELS4_3ELS4_3ELNS0_20block_scan_algorithmE0ELj4294967295EEENS1_25partition_config_selectorILNS1_17partition_subalgoE3EjNS0_10empty_typeEbEEZZNS1_14partition_implILS8_3ELb0ES6_jNS0_17counting_iteratorIjlEEPS9_SE_NS0_5tupleIJPjSE_EEENSF_IJSE_SE_EEES9_SG_JZNS1_25segmented_radix_sort_implINS0_14default_configELb0EPK6__halfPSL_PKlPlN2at6native12_GLOBAL__N_18offset_tEEE10hipError_tPvRmT1_PNSt15iterator_traitsISZ_E10value_typeET2_T3_PNS10_IS15_E10value_typeET4_jRbjT5_S1B_jjP12ihipStream_tbEUljE_EEESW_SX_SY_S15_S19_S1B_T6_T7_T9_mT8_S1D_bDpT10_ENKUlT_T0_E_clISt17integral_constantIbLb0EES1Q_EEDaS1L_S1M_EUlS1L_E_NS1_11comp_targetILNS1_3genE8ELNS1_11target_archE1030ELNS1_3gpuE2ELNS1_3repE0EEENS1_30default_config_static_selectorELNS0_4arch9wavefront6targetE0EEEvSZ_.numbered_sgpr, 27
	.set _ZN7rocprim17ROCPRIM_400000_NS6detail17trampoline_kernelINS0_13select_configILj256ELj13ELNS0_17block_load_methodE3ELS4_3ELS4_3ELNS0_20block_scan_algorithmE0ELj4294967295EEENS1_25partition_config_selectorILNS1_17partition_subalgoE3EjNS0_10empty_typeEbEEZZNS1_14partition_implILS8_3ELb0ES6_jNS0_17counting_iteratorIjlEEPS9_SE_NS0_5tupleIJPjSE_EEENSF_IJSE_SE_EEES9_SG_JZNS1_25segmented_radix_sort_implINS0_14default_configELb0EPK6__halfPSL_PKlPlN2at6native12_GLOBAL__N_18offset_tEEE10hipError_tPvRmT1_PNSt15iterator_traitsISZ_E10value_typeET2_T3_PNS10_IS15_E10value_typeET4_jRbjT5_S1B_jjP12ihipStream_tbEUljE_EEESW_SX_SY_S15_S19_S1B_T6_T7_T9_mT8_S1D_bDpT10_ENKUlT_T0_E_clISt17integral_constantIbLb0EES1Q_EEDaS1L_S1M_EUlS1L_E_NS1_11comp_targetILNS1_3genE8ELNS1_11target_archE1030ELNS1_3gpuE2ELNS1_3repE0EEENS1_30default_config_static_selectorELNS0_4arch9wavefront6targetE0EEEvSZ_.num_named_barrier, 0
	.set _ZN7rocprim17ROCPRIM_400000_NS6detail17trampoline_kernelINS0_13select_configILj256ELj13ELNS0_17block_load_methodE3ELS4_3ELS4_3ELNS0_20block_scan_algorithmE0ELj4294967295EEENS1_25partition_config_selectorILNS1_17partition_subalgoE3EjNS0_10empty_typeEbEEZZNS1_14partition_implILS8_3ELb0ES6_jNS0_17counting_iteratorIjlEEPS9_SE_NS0_5tupleIJPjSE_EEENSF_IJSE_SE_EEES9_SG_JZNS1_25segmented_radix_sort_implINS0_14default_configELb0EPK6__halfPSL_PKlPlN2at6native12_GLOBAL__N_18offset_tEEE10hipError_tPvRmT1_PNSt15iterator_traitsISZ_E10value_typeET2_T3_PNS10_IS15_E10value_typeET4_jRbjT5_S1B_jjP12ihipStream_tbEUljE_EEESW_SX_SY_S15_S19_S1B_T6_T7_T9_mT8_S1D_bDpT10_ENKUlT_T0_E_clISt17integral_constantIbLb0EES1Q_EEDaS1L_S1M_EUlS1L_E_NS1_11comp_targetILNS1_3genE8ELNS1_11target_archE1030ELNS1_3gpuE2ELNS1_3repE0EEENS1_30default_config_static_selectorELNS0_4arch9wavefront6targetE0EEEvSZ_.private_seg_size, 0
	.set _ZN7rocprim17ROCPRIM_400000_NS6detail17trampoline_kernelINS0_13select_configILj256ELj13ELNS0_17block_load_methodE3ELS4_3ELS4_3ELNS0_20block_scan_algorithmE0ELj4294967295EEENS1_25partition_config_selectorILNS1_17partition_subalgoE3EjNS0_10empty_typeEbEEZZNS1_14partition_implILS8_3ELb0ES6_jNS0_17counting_iteratorIjlEEPS9_SE_NS0_5tupleIJPjSE_EEENSF_IJSE_SE_EEES9_SG_JZNS1_25segmented_radix_sort_implINS0_14default_configELb0EPK6__halfPSL_PKlPlN2at6native12_GLOBAL__N_18offset_tEEE10hipError_tPvRmT1_PNSt15iterator_traitsISZ_E10value_typeET2_T3_PNS10_IS15_E10value_typeET4_jRbjT5_S1B_jjP12ihipStream_tbEUljE_EEESW_SX_SY_S15_S19_S1B_T6_T7_T9_mT8_S1D_bDpT10_ENKUlT_T0_E_clISt17integral_constantIbLb0EES1Q_EEDaS1L_S1M_EUlS1L_E_NS1_11comp_targetILNS1_3genE8ELNS1_11target_archE1030ELNS1_3gpuE2ELNS1_3repE0EEENS1_30default_config_static_selectorELNS0_4arch9wavefront6targetE0EEEvSZ_.uses_vcc, 1
	.set _ZN7rocprim17ROCPRIM_400000_NS6detail17trampoline_kernelINS0_13select_configILj256ELj13ELNS0_17block_load_methodE3ELS4_3ELS4_3ELNS0_20block_scan_algorithmE0ELj4294967295EEENS1_25partition_config_selectorILNS1_17partition_subalgoE3EjNS0_10empty_typeEbEEZZNS1_14partition_implILS8_3ELb0ES6_jNS0_17counting_iteratorIjlEEPS9_SE_NS0_5tupleIJPjSE_EEENSF_IJSE_SE_EEES9_SG_JZNS1_25segmented_radix_sort_implINS0_14default_configELb0EPK6__halfPSL_PKlPlN2at6native12_GLOBAL__N_18offset_tEEE10hipError_tPvRmT1_PNSt15iterator_traitsISZ_E10value_typeET2_T3_PNS10_IS15_E10value_typeET4_jRbjT5_S1B_jjP12ihipStream_tbEUljE_EEESW_SX_SY_S15_S19_S1B_T6_T7_T9_mT8_S1D_bDpT10_ENKUlT_T0_E_clISt17integral_constantIbLb0EES1Q_EEDaS1L_S1M_EUlS1L_E_NS1_11comp_targetILNS1_3genE8ELNS1_11target_archE1030ELNS1_3gpuE2ELNS1_3repE0EEENS1_30default_config_static_selectorELNS0_4arch9wavefront6targetE0EEEvSZ_.uses_flat_scratch, 0
	.set _ZN7rocprim17ROCPRIM_400000_NS6detail17trampoline_kernelINS0_13select_configILj256ELj13ELNS0_17block_load_methodE3ELS4_3ELS4_3ELNS0_20block_scan_algorithmE0ELj4294967295EEENS1_25partition_config_selectorILNS1_17partition_subalgoE3EjNS0_10empty_typeEbEEZZNS1_14partition_implILS8_3ELb0ES6_jNS0_17counting_iteratorIjlEEPS9_SE_NS0_5tupleIJPjSE_EEENSF_IJSE_SE_EEES9_SG_JZNS1_25segmented_radix_sort_implINS0_14default_configELb0EPK6__halfPSL_PKlPlN2at6native12_GLOBAL__N_18offset_tEEE10hipError_tPvRmT1_PNSt15iterator_traitsISZ_E10value_typeET2_T3_PNS10_IS15_E10value_typeET4_jRbjT5_S1B_jjP12ihipStream_tbEUljE_EEESW_SX_SY_S15_S19_S1B_T6_T7_T9_mT8_S1D_bDpT10_ENKUlT_T0_E_clISt17integral_constantIbLb0EES1Q_EEDaS1L_S1M_EUlS1L_E_NS1_11comp_targetILNS1_3genE8ELNS1_11target_archE1030ELNS1_3gpuE2ELNS1_3repE0EEENS1_30default_config_static_selectorELNS0_4arch9wavefront6targetE0EEEvSZ_.has_dyn_sized_stack, 0
	.set _ZN7rocprim17ROCPRIM_400000_NS6detail17trampoline_kernelINS0_13select_configILj256ELj13ELNS0_17block_load_methodE3ELS4_3ELS4_3ELNS0_20block_scan_algorithmE0ELj4294967295EEENS1_25partition_config_selectorILNS1_17partition_subalgoE3EjNS0_10empty_typeEbEEZZNS1_14partition_implILS8_3ELb0ES6_jNS0_17counting_iteratorIjlEEPS9_SE_NS0_5tupleIJPjSE_EEENSF_IJSE_SE_EEES9_SG_JZNS1_25segmented_radix_sort_implINS0_14default_configELb0EPK6__halfPSL_PKlPlN2at6native12_GLOBAL__N_18offset_tEEE10hipError_tPvRmT1_PNSt15iterator_traitsISZ_E10value_typeET2_T3_PNS10_IS15_E10value_typeET4_jRbjT5_S1B_jjP12ihipStream_tbEUljE_EEESW_SX_SY_S15_S19_S1B_T6_T7_T9_mT8_S1D_bDpT10_ENKUlT_T0_E_clISt17integral_constantIbLb0EES1Q_EEDaS1L_S1M_EUlS1L_E_NS1_11comp_targetILNS1_3genE8ELNS1_11target_archE1030ELNS1_3gpuE2ELNS1_3repE0EEENS1_30default_config_static_selectorELNS0_4arch9wavefront6targetE0EEEvSZ_.has_recursion, 0
	.set _ZN7rocprim17ROCPRIM_400000_NS6detail17trampoline_kernelINS0_13select_configILj256ELj13ELNS0_17block_load_methodE3ELS4_3ELS4_3ELNS0_20block_scan_algorithmE0ELj4294967295EEENS1_25partition_config_selectorILNS1_17partition_subalgoE3EjNS0_10empty_typeEbEEZZNS1_14partition_implILS8_3ELb0ES6_jNS0_17counting_iteratorIjlEEPS9_SE_NS0_5tupleIJPjSE_EEENSF_IJSE_SE_EEES9_SG_JZNS1_25segmented_radix_sort_implINS0_14default_configELb0EPK6__halfPSL_PKlPlN2at6native12_GLOBAL__N_18offset_tEEE10hipError_tPvRmT1_PNSt15iterator_traitsISZ_E10value_typeET2_T3_PNS10_IS15_E10value_typeET4_jRbjT5_S1B_jjP12ihipStream_tbEUljE_EEESW_SX_SY_S15_S19_S1B_T6_T7_T9_mT8_S1D_bDpT10_ENKUlT_T0_E_clISt17integral_constantIbLb0EES1Q_EEDaS1L_S1M_EUlS1L_E_NS1_11comp_targetILNS1_3genE8ELNS1_11target_archE1030ELNS1_3gpuE2ELNS1_3repE0EEENS1_30default_config_static_selectorELNS0_4arch9wavefront6targetE0EEEvSZ_.has_indirect_call, 0
	.section	.AMDGPU.csdata,"",@progbits
; Kernel info:
; codeLenInByte = 8564
; TotalNumSgprs: 29
; NumVgprs: 69
; ScratchSize: 0
; MemoryBound: 0
; FloatMode: 240
; IeeeMode: 1
; LDSByteSize: 13320 bytes/workgroup (compile time only)
; SGPRBlocks: 0
; VGPRBlocks: 8
; NumSGPRsForWavesPerEU: 29
; NumVGPRsForWavesPerEU: 69
; Occupancy: 12
; WaveLimiterHint : 0
; COMPUTE_PGM_RSRC2:SCRATCH_EN: 0
; COMPUTE_PGM_RSRC2:USER_SGPR: 6
; COMPUTE_PGM_RSRC2:TRAP_HANDLER: 0
; COMPUTE_PGM_RSRC2:TGID_X_EN: 1
; COMPUTE_PGM_RSRC2:TGID_Y_EN: 0
; COMPUTE_PGM_RSRC2:TGID_Z_EN: 0
; COMPUTE_PGM_RSRC2:TIDIG_COMP_CNT: 0
	.section	.text._ZN7rocprim17ROCPRIM_400000_NS6detail17trampoline_kernelINS0_13select_configILj256ELj13ELNS0_17block_load_methodE3ELS4_3ELS4_3ELNS0_20block_scan_algorithmE0ELj4294967295EEENS1_25partition_config_selectorILNS1_17partition_subalgoE3EjNS0_10empty_typeEbEEZZNS1_14partition_implILS8_3ELb0ES6_jNS0_17counting_iteratorIjlEEPS9_SE_NS0_5tupleIJPjSE_EEENSF_IJSE_SE_EEES9_SG_JZNS1_25segmented_radix_sort_implINS0_14default_configELb0EPK6__halfPSL_PKlPlN2at6native12_GLOBAL__N_18offset_tEEE10hipError_tPvRmT1_PNSt15iterator_traitsISZ_E10value_typeET2_T3_PNS10_IS15_E10value_typeET4_jRbjT5_S1B_jjP12ihipStream_tbEUljE_EEESW_SX_SY_S15_S19_S1B_T6_T7_T9_mT8_S1D_bDpT10_ENKUlT_T0_E_clISt17integral_constantIbLb1EES1Q_EEDaS1L_S1M_EUlS1L_E_NS1_11comp_targetILNS1_3genE0ELNS1_11target_archE4294967295ELNS1_3gpuE0ELNS1_3repE0EEENS1_30default_config_static_selectorELNS0_4arch9wavefront6targetE0EEEvSZ_,"axG",@progbits,_ZN7rocprim17ROCPRIM_400000_NS6detail17trampoline_kernelINS0_13select_configILj256ELj13ELNS0_17block_load_methodE3ELS4_3ELS4_3ELNS0_20block_scan_algorithmE0ELj4294967295EEENS1_25partition_config_selectorILNS1_17partition_subalgoE3EjNS0_10empty_typeEbEEZZNS1_14partition_implILS8_3ELb0ES6_jNS0_17counting_iteratorIjlEEPS9_SE_NS0_5tupleIJPjSE_EEENSF_IJSE_SE_EEES9_SG_JZNS1_25segmented_radix_sort_implINS0_14default_configELb0EPK6__halfPSL_PKlPlN2at6native12_GLOBAL__N_18offset_tEEE10hipError_tPvRmT1_PNSt15iterator_traitsISZ_E10value_typeET2_T3_PNS10_IS15_E10value_typeET4_jRbjT5_S1B_jjP12ihipStream_tbEUljE_EEESW_SX_SY_S15_S19_S1B_T6_T7_T9_mT8_S1D_bDpT10_ENKUlT_T0_E_clISt17integral_constantIbLb1EES1Q_EEDaS1L_S1M_EUlS1L_E_NS1_11comp_targetILNS1_3genE0ELNS1_11target_archE4294967295ELNS1_3gpuE0ELNS1_3repE0EEENS1_30default_config_static_selectorELNS0_4arch9wavefront6targetE0EEEvSZ_,comdat
	.globl	_ZN7rocprim17ROCPRIM_400000_NS6detail17trampoline_kernelINS0_13select_configILj256ELj13ELNS0_17block_load_methodE3ELS4_3ELS4_3ELNS0_20block_scan_algorithmE0ELj4294967295EEENS1_25partition_config_selectorILNS1_17partition_subalgoE3EjNS0_10empty_typeEbEEZZNS1_14partition_implILS8_3ELb0ES6_jNS0_17counting_iteratorIjlEEPS9_SE_NS0_5tupleIJPjSE_EEENSF_IJSE_SE_EEES9_SG_JZNS1_25segmented_radix_sort_implINS0_14default_configELb0EPK6__halfPSL_PKlPlN2at6native12_GLOBAL__N_18offset_tEEE10hipError_tPvRmT1_PNSt15iterator_traitsISZ_E10value_typeET2_T3_PNS10_IS15_E10value_typeET4_jRbjT5_S1B_jjP12ihipStream_tbEUljE_EEESW_SX_SY_S15_S19_S1B_T6_T7_T9_mT8_S1D_bDpT10_ENKUlT_T0_E_clISt17integral_constantIbLb1EES1Q_EEDaS1L_S1M_EUlS1L_E_NS1_11comp_targetILNS1_3genE0ELNS1_11target_archE4294967295ELNS1_3gpuE0ELNS1_3repE0EEENS1_30default_config_static_selectorELNS0_4arch9wavefront6targetE0EEEvSZ_ ; -- Begin function _ZN7rocprim17ROCPRIM_400000_NS6detail17trampoline_kernelINS0_13select_configILj256ELj13ELNS0_17block_load_methodE3ELS4_3ELS4_3ELNS0_20block_scan_algorithmE0ELj4294967295EEENS1_25partition_config_selectorILNS1_17partition_subalgoE3EjNS0_10empty_typeEbEEZZNS1_14partition_implILS8_3ELb0ES6_jNS0_17counting_iteratorIjlEEPS9_SE_NS0_5tupleIJPjSE_EEENSF_IJSE_SE_EEES9_SG_JZNS1_25segmented_radix_sort_implINS0_14default_configELb0EPK6__halfPSL_PKlPlN2at6native12_GLOBAL__N_18offset_tEEE10hipError_tPvRmT1_PNSt15iterator_traitsISZ_E10value_typeET2_T3_PNS10_IS15_E10value_typeET4_jRbjT5_S1B_jjP12ihipStream_tbEUljE_EEESW_SX_SY_S15_S19_S1B_T6_T7_T9_mT8_S1D_bDpT10_ENKUlT_T0_E_clISt17integral_constantIbLb1EES1Q_EEDaS1L_S1M_EUlS1L_E_NS1_11comp_targetILNS1_3genE0ELNS1_11target_archE4294967295ELNS1_3gpuE0ELNS1_3repE0EEENS1_30default_config_static_selectorELNS0_4arch9wavefront6targetE0EEEvSZ_
	.p2align	8
	.type	_ZN7rocprim17ROCPRIM_400000_NS6detail17trampoline_kernelINS0_13select_configILj256ELj13ELNS0_17block_load_methodE3ELS4_3ELS4_3ELNS0_20block_scan_algorithmE0ELj4294967295EEENS1_25partition_config_selectorILNS1_17partition_subalgoE3EjNS0_10empty_typeEbEEZZNS1_14partition_implILS8_3ELb0ES6_jNS0_17counting_iteratorIjlEEPS9_SE_NS0_5tupleIJPjSE_EEENSF_IJSE_SE_EEES9_SG_JZNS1_25segmented_radix_sort_implINS0_14default_configELb0EPK6__halfPSL_PKlPlN2at6native12_GLOBAL__N_18offset_tEEE10hipError_tPvRmT1_PNSt15iterator_traitsISZ_E10value_typeET2_T3_PNS10_IS15_E10value_typeET4_jRbjT5_S1B_jjP12ihipStream_tbEUljE_EEESW_SX_SY_S15_S19_S1B_T6_T7_T9_mT8_S1D_bDpT10_ENKUlT_T0_E_clISt17integral_constantIbLb1EES1Q_EEDaS1L_S1M_EUlS1L_E_NS1_11comp_targetILNS1_3genE0ELNS1_11target_archE4294967295ELNS1_3gpuE0ELNS1_3repE0EEENS1_30default_config_static_selectorELNS0_4arch9wavefront6targetE0EEEvSZ_,@function
_ZN7rocprim17ROCPRIM_400000_NS6detail17trampoline_kernelINS0_13select_configILj256ELj13ELNS0_17block_load_methodE3ELS4_3ELS4_3ELNS0_20block_scan_algorithmE0ELj4294967295EEENS1_25partition_config_selectorILNS1_17partition_subalgoE3EjNS0_10empty_typeEbEEZZNS1_14partition_implILS8_3ELb0ES6_jNS0_17counting_iteratorIjlEEPS9_SE_NS0_5tupleIJPjSE_EEENSF_IJSE_SE_EEES9_SG_JZNS1_25segmented_radix_sort_implINS0_14default_configELb0EPK6__halfPSL_PKlPlN2at6native12_GLOBAL__N_18offset_tEEE10hipError_tPvRmT1_PNSt15iterator_traitsISZ_E10value_typeET2_T3_PNS10_IS15_E10value_typeET4_jRbjT5_S1B_jjP12ihipStream_tbEUljE_EEESW_SX_SY_S15_S19_S1B_T6_T7_T9_mT8_S1D_bDpT10_ENKUlT_T0_E_clISt17integral_constantIbLb1EES1Q_EEDaS1L_S1M_EUlS1L_E_NS1_11comp_targetILNS1_3genE0ELNS1_11target_archE4294967295ELNS1_3gpuE0ELNS1_3repE0EEENS1_30default_config_static_selectorELNS0_4arch9wavefront6targetE0EEEvSZ_: ; @_ZN7rocprim17ROCPRIM_400000_NS6detail17trampoline_kernelINS0_13select_configILj256ELj13ELNS0_17block_load_methodE3ELS4_3ELS4_3ELNS0_20block_scan_algorithmE0ELj4294967295EEENS1_25partition_config_selectorILNS1_17partition_subalgoE3EjNS0_10empty_typeEbEEZZNS1_14partition_implILS8_3ELb0ES6_jNS0_17counting_iteratorIjlEEPS9_SE_NS0_5tupleIJPjSE_EEENSF_IJSE_SE_EEES9_SG_JZNS1_25segmented_radix_sort_implINS0_14default_configELb0EPK6__halfPSL_PKlPlN2at6native12_GLOBAL__N_18offset_tEEE10hipError_tPvRmT1_PNSt15iterator_traitsISZ_E10value_typeET2_T3_PNS10_IS15_E10value_typeET4_jRbjT5_S1B_jjP12ihipStream_tbEUljE_EEESW_SX_SY_S15_S19_S1B_T6_T7_T9_mT8_S1D_bDpT10_ENKUlT_T0_E_clISt17integral_constantIbLb1EES1Q_EEDaS1L_S1M_EUlS1L_E_NS1_11comp_targetILNS1_3genE0ELNS1_11target_archE4294967295ELNS1_3gpuE0ELNS1_3repE0EEENS1_30default_config_static_selectorELNS0_4arch9wavefront6targetE0EEEvSZ_
; %bb.0:
	.section	.rodata,"a",@progbits
	.p2align	6, 0x0
	.amdhsa_kernel _ZN7rocprim17ROCPRIM_400000_NS6detail17trampoline_kernelINS0_13select_configILj256ELj13ELNS0_17block_load_methodE3ELS4_3ELS4_3ELNS0_20block_scan_algorithmE0ELj4294967295EEENS1_25partition_config_selectorILNS1_17partition_subalgoE3EjNS0_10empty_typeEbEEZZNS1_14partition_implILS8_3ELb0ES6_jNS0_17counting_iteratorIjlEEPS9_SE_NS0_5tupleIJPjSE_EEENSF_IJSE_SE_EEES9_SG_JZNS1_25segmented_radix_sort_implINS0_14default_configELb0EPK6__halfPSL_PKlPlN2at6native12_GLOBAL__N_18offset_tEEE10hipError_tPvRmT1_PNSt15iterator_traitsISZ_E10value_typeET2_T3_PNS10_IS15_E10value_typeET4_jRbjT5_S1B_jjP12ihipStream_tbEUljE_EEESW_SX_SY_S15_S19_S1B_T6_T7_T9_mT8_S1D_bDpT10_ENKUlT_T0_E_clISt17integral_constantIbLb1EES1Q_EEDaS1L_S1M_EUlS1L_E_NS1_11comp_targetILNS1_3genE0ELNS1_11target_archE4294967295ELNS1_3gpuE0ELNS1_3repE0EEENS1_30default_config_static_selectorELNS0_4arch9wavefront6targetE0EEEvSZ_
		.amdhsa_group_segment_fixed_size 0
		.amdhsa_private_segment_fixed_size 0
		.amdhsa_kernarg_size 152
		.amdhsa_user_sgpr_count 6
		.amdhsa_user_sgpr_private_segment_buffer 1
		.amdhsa_user_sgpr_dispatch_ptr 0
		.amdhsa_user_sgpr_queue_ptr 0
		.amdhsa_user_sgpr_kernarg_segment_ptr 1
		.amdhsa_user_sgpr_dispatch_id 0
		.amdhsa_user_sgpr_flat_scratch_init 0
		.amdhsa_user_sgpr_private_segment_size 0
		.amdhsa_wavefront_size32 1
		.amdhsa_uses_dynamic_stack 0
		.amdhsa_system_sgpr_private_segment_wavefront_offset 0
		.amdhsa_system_sgpr_workgroup_id_x 1
		.amdhsa_system_sgpr_workgroup_id_y 0
		.amdhsa_system_sgpr_workgroup_id_z 0
		.amdhsa_system_sgpr_workgroup_info 0
		.amdhsa_system_vgpr_workitem_id 0
		.amdhsa_next_free_vgpr 1
		.amdhsa_next_free_sgpr 1
		.amdhsa_reserve_vcc 0
		.amdhsa_reserve_flat_scratch 0
		.amdhsa_float_round_mode_32 0
		.amdhsa_float_round_mode_16_64 0
		.amdhsa_float_denorm_mode_32 3
		.amdhsa_float_denorm_mode_16_64 3
		.amdhsa_dx10_clamp 1
		.amdhsa_ieee_mode 1
		.amdhsa_fp16_overflow 0
		.amdhsa_workgroup_processor_mode 1
		.amdhsa_memory_ordered 1
		.amdhsa_forward_progress 1
		.amdhsa_shared_vgpr_count 0
		.amdhsa_exception_fp_ieee_invalid_op 0
		.amdhsa_exception_fp_denorm_src 0
		.amdhsa_exception_fp_ieee_div_zero 0
		.amdhsa_exception_fp_ieee_overflow 0
		.amdhsa_exception_fp_ieee_underflow 0
		.amdhsa_exception_fp_ieee_inexact 0
		.amdhsa_exception_int_div_zero 0
	.end_amdhsa_kernel
	.section	.text._ZN7rocprim17ROCPRIM_400000_NS6detail17trampoline_kernelINS0_13select_configILj256ELj13ELNS0_17block_load_methodE3ELS4_3ELS4_3ELNS0_20block_scan_algorithmE0ELj4294967295EEENS1_25partition_config_selectorILNS1_17partition_subalgoE3EjNS0_10empty_typeEbEEZZNS1_14partition_implILS8_3ELb0ES6_jNS0_17counting_iteratorIjlEEPS9_SE_NS0_5tupleIJPjSE_EEENSF_IJSE_SE_EEES9_SG_JZNS1_25segmented_radix_sort_implINS0_14default_configELb0EPK6__halfPSL_PKlPlN2at6native12_GLOBAL__N_18offset_tEEE10hipError_tPvRmT1_PNSt15iterator_traitsISZ_E10value_typeET2_T3_PNS10_IS15_E10value_typeET4_jRbjT5_S1B_jjP12ihipStream_tbEUljE_EEESW_SX_SY_S15_S19_S1B_T6_T7_T9_mT8_S1D_bDpT10_ENKUlT_T0_E_clISt17integral_constantIbLb1EES1Q_EEDaS1L_S1M_EUlS1L_E_NS1_11comp_targetILNS1_3genE0ELNS1_11target_archE4294967295ELNS1_3gpuE0ELNS1_3repE0EEENS1_30default_config_static_selectorELNS0_4arch9wavefront6targetE0EEEvSZ_,"axG",@progbits,_ZN7rocprim17ROCPRIM_400000_NS6detail17trampoline_kernelINS0_13select_configILj256ELj13ELNS0_17block_load_methodE3ELS4_3ELS4_3ELNS0_20block_scan_algorithmE0ELj4294967295EEENS1_25partition_config_selectorILNS1_17partition_subalgoE3EjNS0_10empty_typeEbEEZZNS1_14partition_implILS8_3ELb0ES6_jNS0_17counting_iteratorIjlEEPS9_SE_NS0_5tupleIJPjSE_EEENSF_IJSE_SE_EEES9_SG_JZNS1_25segmented_radix_sort_implINS0_14default_configELb0EPK6__halfPSL_PKlPlN2at6native12_GLOBAL__N_18offset_tEEE10hipError_tPvRmT1_PNSt15iterator_traitsISZ_E10value_typeET2_T3_PNS10_IS15_E10value_typeET4_jRbjT5_S1B_jjP12ihipStream_tbEUljE_EEESW_SX_SY_S15_S19_S1B_T6_T7_T9_mT8_S1D_bDpT10_ENKUlT_T0_E_clISt17integral_constantIbLb1EES1Q_EEDaS1L_S1M_EUlS1L_E_NS1_11comp_targetILNS1_3genE0ELNS1_11target_archE4294967295ELNS1_3gpuE0ELNS1_3repE0EEENS1_30default_config_static_selectorELNS0_4arch9wavefront6targetE0EEEvSZ_,comdat
.Lfunc_end1808:
	.size	_ZN7rocprim17ROCPRIM_400000_NS6detail17trampoline_kernelINS0_13select_configILj256ELj13ELNS0_17block_load_methodE3ELS4_3ELS4_3ELNS0_20block_scan_algorithmE0ELj4294967295EEENS1_25partition_config_selectorILNS1_17partition_subalgoE3EjNS0_10empty_typeEbEEZZNS1_14partition_implILS8_3ELb0ES6_jNS0_17counting_iteratorIjlEEPS9_SE_NS0_5tupleIJPjSE_EEENSF_IJSE_SE_EEES9_SG_JZNS1_25segmented_radix_sort_implINS0_14default_configELb0EPK6__halfPSL_PKlPlN2at6native12_GLOBAL__N_18offset_tEEE10hipError_tPvRmT1_PNSt15iterator_traitsISZ_E10value_typeET2_T3_PNS10_IS15_E10value_typeET4_jRbjT5_S1B_jjP12ihipStream_tbEUljE_EEESW_SX_SY_S15_S19_S1B_T6_T7_T9_mT8_S1D_bDpT10_ENKUlT_T0_E_clISt17integral_constantIbLb1EES1Q_EEDaS1L_S1M_EUlS1L_E_NS1_11comp_targetILNS1_3genE0ELNS1_11target_archE4294967295ELNS1_3gpuE0ELNS1_3repE0EEENS1_30default_config_static_selectorELNS0_4arch9wavefront6targetE0EEEvSZ_, .Lfunc_end1808-_ZN7rocprim17ROCPRIM_400000_NS6detail17trampoline_kernelINS0_13select_configILj256ELj13ELNS0_17block_load_methodE3ELS4_3ELS4_3ELNS0_20block_scan_algorithmE0ELj4294967295EEENS1_25partition_config_selectorILNS1_17partition_subalgoE3EjNS0_10empty_typeEbEEZZNS1_14partition_implILS8_3ELb0ES6_jNS0_17counting_iteratorIjlEEPS9_SE_NS0_5tupleIJPjSE_EEENSF_IJSE_SE_EEES9_SG_JZNS1_25segmented_radix_sort_implINS0_14default_configELb0EPK6__halfPSL_PKlPlN2at6native12_GLOBAL__N_18offset_tEEE10hipError_tPvRmT1_PNSt15iterator_traitsISZ_E10value_typeET2_T3_PNS10_IS15_E10value_typeET4_jRbjT5_S1B_jjP12ihipStream_tbEUljE_EEESW_SX_SY_S15_S19_S1B_T6_T7_T9_mT8_S1D_bDpT10_ENKUlT_T0_E_clISt17integral_constantIbLb1EES1Q_EEDaS1L_S1M_EUlS1L_E_NS1_11comp_targetILNS1_3genE0ELNS1_11target_archE4294967295ELNS1_3gpuE0ELNS1_3repE0EEENS1_30default_config_static_selectorELNS0_4arch9wavefront6targetE0EEEvSZ_
                                        ; -- End function
	.set _ZN7rocprim17ROCPRIM_400000_NS6detail17trampoline_kernelINS0_13select_configILj256ELj13ELNS0_17block_load_methodE3ELS4_3ELS4_3ELNS0_20block_scan_algorithmE0ELj4294967295EEENS1_25partition_config_selectorILNS1_17partition_subalgoE3EjNS0_10empty_typeEbEEZZNS1_14partition_implILS8_3ELb0ES6_jNS0_17counting_iteratorIjlEEPS9_SE_NS0_5tupleIJPjSE_EEENSF_IJSE_SE_EEES9_SG_JZNS1_25segmented_radix_sort_implINS0_14default_configELb0EPK6__halfPSL_PKlPlN2at6native12_GLOBAL__N_18offset_tEEE10hipError_tPvRmT1_PNSt15iterator_traitsISZ_E10value_typeET2_T3_PNS10_IS15_E10value_typeET4_jRbjT5_S1B_jjP12ihipStream_tbEUljE_EEESW_SX_SY_S15_S19_S1B_T6_T7_T9_mT8_S1D_bDpT10_ENKUlT_T0_E_clISt17integral_constantIbLb1EES1Q_EEDaS1L_S1M_EUlS1L_E_NS1_11comp_targetILNS1_3genE0ELNS1_11target_archE4294967295ELNS1_3gpuE0ELNS1_3repE0EEENS1_30default_config_static_selectorELNS0_4arch9wavefront6targetE0EEEvSZ_.num_vgpr, 0
	.set _ZN7rocprim17ROCPRIM_400000_NS6detail17trampoline_kernelINS0_13select_configILj256ELj13ELNS0_17block_load_methodE3ELS4_3ELS4_3ELNS0_20block_scan_algorithmE0ELj4294967295EEENS1_25partition_config_selectorILNS1_17partition_subalgoE3EjNS0_10empty_typeEbEEZZNS1_14partition_implILS8_3ELb0ES6_jNS0_17counting_iteratorIjlEEPS9_SE_NS0_5tupleIJPjSE_EEENSF_IJSE_SE_EEES9_SG_JZNS1_25segmented_radix_sort_implINS0_14default_configELb0EPK6__halfPSL_PKlPlN2at6native12_GLOBAL__N_18offset_tEEE10hipError_tPvRmT1_PNSt15iterator_traitsISZ_E10value_typeET2_T3_PNS10_IS15_E10value_typeET4_jRbjT5_S1B_jjP12ihipStream_tbEUljE_EEESW_SX_SY_S15_S19_S1B_T6_T7_T9_mT8_S1D_bDpT10_ENKUlT_T0_E_clISt17integral_constantIbLb1EES1Q_EEDaS1L_S1M_EUlS1L_E_NS1_11comp_targetILNS1_3genE0ELNS1_11target_archE4294967295ELNS1_3gpuE0ELNS1_3repE0EEENS1_30default_config_static_selectorELNS0_4arch9wavefront6targetE0EEEvSZ_.num_agpr, 0
	.set _ZN7rocprim17ROCPRIM_400000_NS6detail17trampoline_kernelINS0_13select_configILj256ELj13ELNS0_17block_load_methodE3ELS4_3ELS4_3ELNS0_20block_scan_algorithmE0ELj4294967295EEENS1_25partition_config_selectorILNS1_17partition_subalgoE3EjNS0_10empty_typeEbEEZZNS1_14partition_implILS8_3ELb0ES6_jNS0_17counting_iteratorIjlEEPS9_SE_NS0_5tupleIJPjSE_EEENSF_IJSE_SE_EEES9_SG_JZNS1_25segmented_radix_sort_implINS0_14default_configELb0EPK6__halfPSL_PKlPlN2at6native12_GLOBAL__N_18offset_tEEE10hipError_tPvRmT1_PNSt15iterator_traitsISZ_E10value_typeET2_T3_PNS10_IS15_E10value_typeET4_jRbjT5_S1B_jjP12ihipStream_tbEUljE_EEESW_SX_SY_S15_S19_S1B_T6_T7_T9_mT8_S1D_bDpT10_ENKUlT_T0_E_clISt17integral_constantIbLb1EES1Q_EEDaS1L_S1M_EUlS1L_E_NS1_11comp_targetILNS1_3genE0ELNS1_11target_archE4294967295ELNS1_3gpuE0ELNS1_3repE0EEENS1_30default_config_static_selectorELNS0_4arch9wavefront6targetE0EEEvSZ_.numbered_sgpr, 0
	.set _ZN7rocprim17ROCPRIM_400000_NS6detail17trampoline_kernelINS0_13select_configILj256ELj13ELNS0_17block_load_methodE3ELS4_3ELS4_3ELNS0_20block_scan_algorithmE0ELj4294967295EEENS1_25partition_config_selectorILNS1_17partition_subalgoE3EjNS0_10empty_typeEbEEZZNS1_14partition_implILS8_3ELb0ES6_jNS0_17counting_iteratorIjlEEPS9_SE_NS0_5tupleIJPjSE_EEENSF_IJSE_SE_EEES9_SG_JZNS1_25segmented_radix_sort_implINS0_14default_configELb0EPK6__halfPSL_PKlPlN2at6native12_GLOBAL__N_18offset_tEEE10hipError_tPvRmT1_PNSt15iterator_traitsISZ_E10value_typeET2_T3_PNS10_IS15_E10value_typeET4_jRbjT5_S1B_jjP12ihipStream_tbEUljE_EEESW_SX_SY_S15_S19_S1B_T6_T7_T9_mT8_S1D_bDpT10_ENKUlT_T0_E_clISt17integral_constantIbLb1EES1Q_EEDaS1L_S1M_EUlS1L_E_NS1_11comp_targetILNS1_3genE0ELNS1_11target_archE4294967295ELNS1_3gpuE0ELNS1_3repE0EEENS1_30default_config_static_selectorELNS0_4arch9wavefront6targetE0EEEvSZ_.num_named_barrier, 0
	.set _ZN7rocprim17ROCPRIM_400000_NS6detail17trampoline_kernelINS0_13select_configILj256ELj13ELNS0_17block_load_methodE3ELS4_3ELS4_3ELNS0_20block_scan_algorithmE0ELj4294967295EEENS1_25partition_config_selectorILNS1_17partition_subalgoE3EjNS0_10empty_typeEbEEZZNS1_14partition_implILS8_3ELb0ES6_jNS0_17counting_iteratorIjlEEPS9_SE_NS0_5tupleIJPjSE_EEENSF_IJSE_SE_EEES9_SG_JZNS1_25segmented_radix_sort_implINS0_14default_configELb0EPK6__halfPSL_PKlPlN2at6native12_GLOBAL__N_18offset_tEEE10hipError_tPvRmT1_PNSt15iterator_traitsISZ_E10value_typeET2_T3_PNS10_IS15_E10value_typeET4_jRbjT5_S1B_jjP12ihipStream_tbEUljE_EEESW_SX_SY_S15_S19_S1B_T6_T7_T9_mT8_S1D_bDpT10_ENKUlT_T0_E_clISt17integral_constantIbLb1EES1Q_EEDaS1L_S1M_EUlS1L_E_NS1_11comp_targetILNS1_3genE0ELNS1_11target_archE4294967295ELNS1_3gpuE0ELNS1_3repE0EEENS1_30default_config_static_selectorELNS0_4arch9wavefront6targetE0EEEvSZ_.private_seg_size, 0
	.set _ZN7rocprim17ROCPRIM_400000_NS6detail17trampoline_kernelINS0_13select_configILj256ELj13ELNS0_17block_load_methodE3ELS4_3ELS4_3ELNS0_20block_scan_algorithmE0ELj4294967295EEENS1_25partition_config_selectorILNS1_17partition_subalgoE3EjNS0_10empty_typeEbEEZZNS1_14partition_implILS8_3ELb0ES6_jNS0_17counting_iteratorIjlEEPS9_SE_NS0_5tupleIJPjSE_EEENSF_IJSE_SE_EEES9_SG_JZNS1_25segmented_radix_sort_implINS0_14default_configELb0EPK6__halfPSL_PKlPlN2at6native12_GLOBAL__N_18offset_tEEE10hipError_tPvRmT1_PNSt15iterator_traitsISZ_E10value_typeET2_T3_PNS10_IS15_E10value_typeET4_jRbjT5_S1B_jjP12ihipStream_tbEUljE_EEESW_SX_SY_S15_S19_S1B_T6_T7_T9_mT8_S1D_bDpT10_ENKUlT_T0_E_clISt17integral_constantIbLb1EES1Q_EEDaS1L_S1M_EUlS1L_E_NS1_11comp_targetILNS1_3genE0ELNS1_11target_archE4294967295ELNS1_3gpuE0ELNS1_3repE0EEENS1_30default_config_static_selectorELNS0_4arch9wavefront6targetE0EEEvSZ_.uses_vcc, 0
	.set _ZN7rocprim17ROCPRIM_400000_NS6detail17trampoline_kernelINS0_13select_configILj256ELj13ELNS0_17block_load_methodE3ELS4_3ELS4_3ELNS0_20block_scan_algorithmE0ELj4294967295EEENS1_25partition_config_selectorILNS1_17partition_subalgoE3EjNS0_10empty_typeEbEEZZNS1_14partition_implILS8_3ELb0ES6_jNS0_17counting_iteratorIjlEEPS9_SE_NS0_5tupleIJPjSE_EEENSF_IJSE_SE_EEES9_SG_JZNS1_25segmented_radix_sort_implINS0_14default_configELb0EPK6__halfPSL_PKlPlN2at6native12_GLOBAL__N_18offset_tEEE10hipError_tPvRmT1_PNSt15iterator_traitsISZ_E10value_typeET2_T3_PNS10_IS15_E10value_typeET4_jRbjT5_S1B_jjP12ihipStream_tbEUljE_EEESW_SX_SY_S15_S19_S1B_T6_T7_T9_mT8_S1D_bDpT10_ENKUlT_T0_E_clISt17integral_constantIbLb1EES1Q_EEDaS1L_S1M_EUlS1L_E_NS1_11comp_targetILNS1_3genE0ELNS1_11target_archE4294967295ELNS1_3gpuE0ELNS1_3repE0EEENS1_30default_config_static_selectorELNS0_4arch9wavefront6targetE0EEEvSZ_.uses_flat_scratch, 0
	.set _ZN7rocprim17ROCPRIM_400000_NS6detail17trampoline_kernelINS0_13select_configILj256ELj13ELNS0_17block_load_methodE3ELS4_3ELS4_3ELNS0_20block_scan_algorithmE0ELj4294967295EEENS1_25partition_config_selectorILNS1_17partition_subalgoE3EjNS0_10empty_typeEbEEZZNS1_14partition_implILS8_3ELb0ES6_jNS0_17counting_iteratorIjlEEPS9_SE_NS0_5tupleIJPjSE_EEENSF_IJSE_SE_EEES9_SG_JZNS1_25segmented_radix_sort_implINS0_14default_configELb0EPK6__halfPSL_PKlPlN2at6native12_GLOBAL__N_18offset_tEEE10hipError_tPvRmT1_PNSt15iterator_traitsISZ_E10value_typeET2_T3_PNS10_IS15_E10value_typeET4_jRbjT5_S1B_jjP12ihipStream_tbEUljE_EEESW_SX_SY_S15_S19_S1B_T6_T7_T9_mT8_S1D_bDpT10_ENKUlT_T0_E_clISt17integral_constantIbLb1EES1Q_EEDaS1L_S1M_EUlS1L_E_NS1_11comp_targetILNS1_3genE0ELNS1_11target_archE4294967295ELNS1_3gpuE0ELNS1_3repE0EEENS1_30default_config_static_selectorELNS0_4arch9wavefront6targetE0EEEvSZ_.has_dyn_sized_stack, 0
	.set _ZN7rocprim17ROCPRIM_400000_NS6detail17trampoline_kernelINS0_13select_configILj256ELj13ELNS0_17block_load_methodE3ELS4_3ELS4_3ELNS0_20block_scan_algorithmE0ELj4294967295EEENS1_25partition_config_selectorILNS1_17partition_subalgoE3EjNS0_10empty_typeEbEEZZNS1_14partition_implILS8_3ELb0ES6_jNS0_17counting_iteratorIjlEEPS9_SE_NS0_5tupleIJPjSE_EEENSF_IJSE_SE_EEES9_SG_JZNS1_25segmented_radix_sort_implINS0_14default_configELb0EPK6__halfPSL_PKlPlN2at6native12_GLOBAL__N_18offset_tEEE10hipError_tPvRmT1_PNSt15iterator_traitsISZ_E10value_typeET2_T3_PNS10_IS15_E10value_typeET4_jRbjT5_S1B_jjP12ihipStream_tbEUljE_EEESW_SX_SY_S15_S19_S1B_T6_T7_T9_mT8_S1D_bDpT10_ENKUlT_T0_E_clISt17integral_constantIbLb1EES1Q_EEDaS1L_S1M_EUlS1L_E_NS1_11comp_targetILNS1_3genE0ELNS1_11target_archE4294967295ELNS1_3gpuE0ELNS1_3repE0EEENS1_30default_config_static_selectorELNS0_4arch9wavefront6targetE0EEEvSZ_.has_recursion, 0
	.set _ZN7rocprim17ROCPRIM_400000_NS6detail17trampoline_kernelINS0_13select_configILj256ELj13ELNS0_17block_load_methodE3ELS4_3ELS4_3ELNS0_20block_scan_algorithmE0ELj4294967295EEENS1_25partition_config_selectorILNS1_17partition_subalgoE3EjNS0_10empty_typeEbEEZZNS1_14partition_implILS8_3ELb0ES6_jNS0_17counting_iteratorIjlEEPS9_SE_NS0_5tupleIJPjSE_EEENSF_IJSE_SE_EEES9_SG_JZNS1_25segmented_radix_sort_implINS0_14default_configELb0EPK6__halfPSL_PKlPlN2at6native12_GLOBAL__N_18offset_tEEE10hipError_tPvRmT1_PNSt15iterator_traitsISZ_E10value_typeET2_T3_PNS10_IS15_E10value_typeET4_jRbjT5_S1B_jjP12ihipStream_tbEUljE_EEESW_SX_SY_S15_S19_S1B_T6_T7_T9_mT8_S1D_bDpT10_ENKUlT_T0_E_clISt17integral_constantIbLb1EES1Q_EEDaS1L_S1M_EUlS1L_E_NS1_11comp_targetILNS1_3genE0ELNS1_11target_archE4294967295ELNS1_3gpuE0ELNS1_3repE0EEENS1_30default_config_static_selectorELNS0_4arch9wavefront6targetE0EEEvSZ_.has_indirect_call, 0
	.section	.AMDGPU.csdata,"",@progbits
; Kernel info:
; codeLenInByte = 0
; TotalNumSgprs: 0
; NumVgprs: 0
; ScratchSize: 0
; MemoryBound: 0
; FloatMode: 240
; IeeeMode: 1
; LDSByteSize: 0 bytes/workgroup (compile time only)
; SGPRBlocks: 0
; VGPRBlocks: 0
; NumSGPRsForWavesPerEU: 1
; NumVGPRsForWavesPerEU: 1
; Occupancy: 16
; WaveLimiterHint : 0
; COMPUTE_PGM_RSRC2:SCRATCH_EN: 0
; COMPUTE_PGM_RSRC2:USER_SGPR: 6
; COMPUTE_PGM_RSRC2:TRAP_HANDLER: 0
; COMPUTE_PGM_RSRC2:TGID_X_EN: 1
; COMPUTE_PGM_RSRC2:TGID_Y_EN: 0
; COMPUTE_PGM_RSRC2:TGID_Z_EN: 0
; COMPUTE_PGM_RSRC2:TIDIG_COMP_CNT: 0
	.section	.text._ZN7rocprim17ROCPRIM_400000_NS6detail17trampoline_kernelINS0_13select_configILj256ELj13ELNS0_17block_load_methodE3ELS4_3ELS4_3ELNS0_20block_scan_algorithmE0ELj4294967295EEENS1_25partition_config_selectorILNS1_17partition_subalgoE3EjNS0_10empty_typeEbEEZZNS1_14partition_implILS8_3ELb0ES6_jNS0_17counting_iteratorIjlEEPS9_SE_NS0_5tupleIJPjSE_EEENSF_IJSE_SE_EEES9_SG_JZNS1_25segmented_radix_sort_implINS0_14default_configELb0EPK6__halfPSL_PKlPlN2at6native12_GLOBAL__N_18offset_tEEE10hipError_tPvRmT1_PNSt15iterator_traitsISZ_E10value_typeET2_T3_PNS10_IS15_E10value_typeET4_jRbjT5_S1B_jjP12ihipStream_tbEUljE_EEESW_SX_SY_S15_S19_S1B_T6_T7_T9_mT8_S1D_bDpT10_ENKUlT_T0_E_clISt17integral_constantIbLb1EES1Q_EEDaS1L_S1M_EUlS1L_E_NS1_11comp_targetILNS1_3genE5ELNS1_11target_archE942ELNS1_3gpuE9ELNS1_3repE0EEENS1_30default_config_static_selectorELNS0_4arch9wavefront6targetE0EEEvSZ_,"axG",@progbits,_ZN7rocprim17ROCPRIM_400000_NS6detail17trampoline_kernelINS0_13select_configILj256ELj13ELNS0_17block_load_methodE3ELS4_3ELS4_3ELNS0_20block_scan_algorithmE0ELj4294967295EEENS1_25partition_config_selectorILNS1_17partition_subalgoE3EjNS0_10empty_typeEbEEZZNS1_14partition_implILS8_3ELb0ES6_jNS0_17counting_iteratorIjlEEPS9_SE_NS0_5tupleIJPjSE_EEENSF_IJSE_SE_EEES9_SG_JZNS1_25segmented_radix_sort_implINS0_14default_configELb0EPK6__halfPSL_PKlPlN2at6native12_GLOBAL__N_18offset_tEEE10hipError_tPvRmT1_PNSt15iterator_traitsISZ_E10value_typeET2_T3_PNS10_IS15_E10value_typeET4_jRbjT5_S1B_jjP12ihipStream_tbEUljE_EEESW_SX_SY_S15_S19_S1B_T6_T7_T9_mT8_S1D_bDpT10_ENKUlT_T0_E_clISt17integral_constantIbLb1EES1Q_EEDaS1L_S1M_EUlS1L_E_NS1_11comp_targetILNS1_3genE5ELNS1_11target_archE942ELNS1_3gpuE9ELNS1_3repE0EEENS1_30default_config_static_selectorELNS0_4arch9wavefront6targetE0EEEvSZ_,comdat
	.globl	_ZN7rocprim17ROCPRIM_400000_NS6detail17trampoline_kernelINS0_13select_configILj256ELj13ELNS0_17block_load_methodE3ELS4_3ELS4_3ELNS0_20block_scan_algorithmE0ELj4294967295EEENS1_25partition_config_selectorILNS1_17partition_subalgoE3EjNS0_10empty_typeEbEEZZNS1_14partition_implILS8_3ELb0ES6_jNS0_17counting_iteratorIjlEEPS9_SE_NS0_5tupleIJPjSE_EEENSF_IJSE_SE_EEES9_SG_JZNS1_25segmented_radix_sort_implINS0_14default_configELb0EPK6__halfPSL_PKlPlN2at6native12_GLOBAL__N_18offset_tEEE10hipError_tPvRmT1_PNSt15iterator_traitsISZ_E10value_typeET2_T3_PNS10_IS15_E10value_typeET4_jRbjT5_S1B_jjP12ihipStream_tbEUljE_EEESW_SX_SY_S15_S19_S1B_T6_T7_T9_mT8_S1D_bDpT10_ENKUlT_T0_E_clISt17integral_constantIbLb1EES1Q_EEDaS1L_S1M_EUlS1L_E_NS1_11comp_targetILNS1_3genE5ELNS1_11target_archE942ELNS1_3gpuE9ELNS1_3repE0EEENS1_30default_config_static_selectorELNS0_4arch9wavefront6targetE0EEEvSZ_ ; -- Begin function _ZN7rocprim17ROCPRIM_400000_NS6detail17trampoline_kernelINS0_13select_configILj256ELj13ELNS0_17block_load_methodE3ELS4_3ELS4_3ELNS0_20block_scan_algorithmE0ELj4294967295EEENS1_25partition_config_selectorILNS1_17partition_subalgoE3EjNS0_10empty_typeEbEEZZNS1_14partition_implILS8_3ELb0ES6_jNS0_17counting_iteratorIjlEEPS9_SE_NS0_5tupleIJPjSE_EEENSF_IJSE_SE_EEES9_SG_JZNS1_25segmented_radix_sort_implINS0_14default_configELb0EPK6__halfPSL_PKlPlN2at6native12_GLOBAL__N_18offset_tEEE10hipError_tPvRmT1_PNSt15iterator_traitsISZ_E10value_typeET2_T3_PNS10_IS15_E10value_typeET4_jRbjT5_S1B_jjP12ihipStream_tbEUljE_EEESW_SX_SY_S15_S19_S1B_T6_T7_T9_mT8_S1D_bDpT10_ENKUlT_T0_E_clISt17integral_constantIbLb1EES1Q_EEDaS1L_S1M_EUlS1L_E_NS1_11comp_targetILNS1_3genE5ELNS1_11target_archE942ELNS1_3gpuE9ELNS1_3repE0EEENS1_30default_config_static_selectorELNS0_4arch9wavefront6targetE0EEEvSZ_
	.p2align	8
	.type	_ZN7rocprim17ROCPRIM_400000_NS6detail17trampoline_kernelINS0_13select_configILj256ELj13ELNS0_17block_load_methodE3ELS4_3ELS4_3ELNS0_20block_scan_algorithmE0ELj4294967295EEENS1_25partition_config_selectorILNS1_17partition_subalgoE3EjNS0_10empty_typeEbEEZZNS1_14partition_implILS8_3ELb0ES6_jNS0_17counting_iteratorIjlEEPS9_SE_NS0_5tupleIJPjSE_EEENSF_IJSE_SE_EEES9_SG_JZNS1_25segmented_radix_sort_implINS0_14default_configELb0EPK6__halfPSL_PKlPlN2at6native12_GLOBAL__N_18offset_tEEE10hipError_tPvRmT1_PNSt15iterator_traitsISZ_E10value_typeET2_T3_PNS10_IS15_E10value_typeET4_jRbjT5_S1B_jjP12ihipStream_tbEUljE_EEESW_SX_SY_S15_S19_S1B_T6_T7_T9_mT8_S1D_bDpT10_ENKUlT_T0_E_clISt17integral_constantIbLb1EES1Q_EEDaS1L_S1M_EUlS1L_E_NS1_11comp_targetILNS1_3genE5ELNS1_11target_archE942ELNS1_3gpuE9ELNS1_3repE0EEENS1_30default_config_static_selectorELNS0_4arch9wavefront6targetE0EEEvSZ_,@function
_ZN7rocprim17ROCPRIM_400000_NS6detail17trampoline_kernelINS0_13select_configILj256ELj13ELNS0_17block_load_methodE3ELS4_3ELS4_3ELNS0_20block_scan_algorithmE0ELj4294967295EEENS1_25partition_config_selectorILNS1_17partition_subalgoE3EjNS0_10empty_typeEbEEZZNS1_14partition_implILS8_3ELb0ES6_jNS0_17counting_iteratorIjlEEPS9_SE_NS0_5tupleIJPjSE_EEENSF_IJSE_SE_EEES9_SG_JZNS1_25segmented_radix_sort_implINS0_14default_configELb0EPK6__halfPSL_PKlPlN2at6native12_GLOBAL__N_18offset_tEEE10hipError_tPvRmT1_PNSt15iterator_traitsISZ_E10value_typeET2_T3_PNS10_IS15_E10value_typeET4_jRbjT5_S1B_jjP12ihipStream_tbEUljE_EEESW_SX_SY_S15_S19_S1B_T6_T7_T9_mT8_S1D_bDpT10_ENKUlT_T0_E_clISt17integral_constantIbLb1EES1Q_EEDaS1L_S1M_EUlS1L_E_NS1_11comp_targetILNS1_3genE5ELNS1_11target_archE942ELNS1_3gpuE9ELNS1_3repE0EEENS1_30default_config_static_selectorELNS0_4arch9wavefront6targetE0EEEvSZ_: ; @_ZN7rocprim17ROCPRIM_400000_NS6detail17trampoline_kernelINS0_13select_configILj256ELj13ELNS0_17block_load_methodE3ELS4_3ELS4_3ELNS0_20block_scan_algorithmE0ELj4294967295EEENS1_25partition_config_selectorILNS1_17partition_subalgoE3EjNS0_10empty_typeEbEEZZNS1_14partition_implILS8_3ELb0ES6_jNS0_17counting_iteratorIjlEEPS9_SE_NS0_5tupleIJPjSE_EEENSF_IJSE_SE_EEES9_SG_JZNS1_25segmented_radix_sort_implINS0_14default_configELb0EPK6__halfPSL_PKlPlN2at6native12_GLOBAL__N_18offset_tEEE10hipError_tPvRmT1_PNSt15iterator_traitsISZ_E10value_typeET2_T3_PNS10_IS15_E10value_typeET4_jRbjT5_S1B_jjP12ihipStream_tbEUljE_EEESW_SX_SY_S15_S19_S1B_T6_T7_T9_mT8_S1D_bDpT10_ENKUlT_T0_E_clISt17integral_constantIbLb1EES1Q_EEDaS1L_S1M_EUlS1L_E_NS1_11comp_targetILNS1_3genE5ELNS1_11target_archE942ELNS1_3gpuE9ELNS1_3repE0EEENS1_30default_config_static_selectorELNS0_4arch9wavefront6targetE0EEEvSZ_
; %bb.0:
	.section	.rodata,"a",@progbits
	.p2align	6, 0x0
	.amdhsa_kernel _ZN7rocprim17ROCPRIM_400000_NS6detail17trampoline_kernelINS0_13select_configILj256ELj13ELNS0_17block_load_methodE3ELS4_3ELS4_3ELNS0_20block_scan_algorithmE0ELj4294967295EEENS1_25partition_config_selectorILNS1_17partition_subalgoE3EjNS0_10empty_typeEbEEZZNS1_14partition_implILS8_3ELb0ES6_jNS0_17counting_iteratorIjlEEPS9_SE_NS0_5tupleIJPjSE_EEENSF_IJSE_SE_EEES9_SG_JZNS1_25segmented_radix_sort_implINS0_14default_configELb0EPK6__halfPSL_PKlPlN2at6native12_GLOBAL__N_18offset_tEEE10hipError_tPvRmT1_PNSt15iterator_traitsISZ_E10value_typeET2_T3_PNS10_IS15_E10value_typeET4_jRbjT5_S1B_jjP12ihipStream_tbEUljE_EEESW_SX_SY_S15_S19_S1B_T6_T7_T9_mT8_S1D_bDpT10_ENKUlT_T0_E_clISt17integral_constantIbLb1EES1Q_EEDaS1L_S1M_EUlS1L_E_NS1_11comp_targetILNS1_3genE5ELNS1_11target_archE942ELNS1_3gpuE9ELNS1_3repE0EEENS1_30default_config_static_selectorELNS0_4arch9wavefront6targetE0EEEvSZ_
		.amdhsa_group_segment_fixed_size 0
		.amdhsa_private_segment_fixed_size 0
		.amdhsa_kernarg_size 152
		.amdhsa_user_sgpr_count 6
		.amdhsa_user_sgpr_private_segment_buffer 1
		.amdhsa_user_sgpr_dispatch_ptr 0
		.amdhsa_user_sgpr_queue_ptr 0
		.amdhsa_user_sgpr_kernarg_segment_ptr 1
		.amdhsa_user_sgpr_dispatch_id 0
		.amdhsa_user_sgpr_flat_scratch_init 0
		.amdhsa_user_sgpr_private_segment_size 0
		.amdhsa_wavefront_size32 1
		.amdhsa_uses_dynamic_stack 0
		.amdhsa_system_sgpr_private_segment_wavefront_offset 0
		.amdhsa_system_sgpr_workgroup_id_x 1
		.amdhsa_system_sgpr_workgroup_id_y 0
		.amdhsa_system_sgpr_workgroup_id_z 0
		.amdhsa_system_sgpr_workgroup_info 0
		.amdhsa_system_vgpr_workitem_id 0
		.amdhsa_next_free_vgpr 1
		.amdhsa_next_free_sgpr 1
		.amdhsa_reserve_vcc 0
		.amdhsa_reserve_flat_scratch 0
		.amdhsa_float_round_mode_32 0
		.amdhsa_float_round_mode_16_64 0
		.amdhsa_float_denorm_mode_32 3
		.amdhsa_float_denorm_mode_16_64 3
		.amdhsa_dx10_clamp 1
		.amdhsa_ieee_mode 1
		.amdhsa_fp16_overflow 0
		.amdhsa_workgroup_processor_mode 1
		.amdhsa_memory_ordered 1
		.amdhsa_forward_progress 1
		.amdhsa_shared_vgpr_count 0
		.amdhsa_exception_fp_ieee_invalid_op 0
		.amdhsa_exception_fp_denorm_src 0
		.amdhsa_exception_fp_ieee_div_zero 0
		.amdhsa_exception_fp_ieee_overflow 0
		.amdhsa_exception_fp_ieee_underflow 0
		.amdhsa_exception_fp_ieee_inexact 0
		.amdhsa_exception_int_div_zero 0
	.end_amdhsa_kernel
	.section	.text._ZN7rocprim17ROCPRIM_400000_NS6detail17trampoline_kernelINS0_13select_configILj256ELj13ELNS0_17block_load_methodE3ELS4_3ELS4_3ELNS0_20block_scan_algorithmE0ELj4294967295EEENS1_25partition_config_selectorILNS1_17partition_subalgoE3EjNS0_10empty_typeEbEEZZNS1_14partition_implILS8_3ELb0ES6_jNS0_17counting_iteratorIjlEEPS9_SE_NS0_5tupleIJPjSE_EEENSF_IJSE_SE_EEES9_SG_JZNS1_25segmented_radix_sort_implINS0_14default_configELb0EPK6__halfPSL_PKlPlN2at6native12_GLOBAL__N_18offset_tEEE10hipError_tPvRmT1_PNSt15iterator_traitsISZ_E10value_typeET2_T3_PNS10_IS15_E10value_typeET4_jRbjT5_S1B_jjP12ihipStream_tbEUljE_EEESW_SX_SY_S15_S19_S1B_T6_T7_T9_mT8_S1D_bDpT10_ENKUlT_T0_E_clISt17integral_constantIbLb1EES1Q_EEDaS1L_S1M_EUlS1L_E_NS1_11comp_targetILNS1_3genE5ELNS1_11target_archE942ELNS1_3gpuE9ELNS1_3repE0EEENS1_30default_config_static_selectorELNS0_4arch9wavefront6targetE0EEEvSZ_,"axG",@progbits,_ZN7rocprim17ROCPRIM_400000_NS6detail17trampoline_kernelINS0_13select_configILj256ELj13ELNS0_17block_load_methodE3ELS4_3ELS4_3ELNS0_20block_scan_algorithmE0ELj4294967295EEENS1_25partition_config_selectorILNS1_17partition_subalgoE3EjNS0_10empty_typeEbEEZZNS1_14partition_implILS8_3ELb0ES6_jNS0_17counting_iteratorIjlEEPS9_SE_NS0_5tupleIJPjSE_EEENSF_IJSE_SE_EEES9_SG_JZNS1_25segmented_radix_sort_implINS0_14default_configELb0EPK6__halfPSL_PKlPlN2at6native12_GLOBAL__N_18offset_tEEE10hipError_tPvRmT1_PNSt15iterator_traitsISZ_E10value_typeET2_T3_PNS10_IS15_E10value_typeET4_jRbjT5_S1B_jjP12ihipStream_tbEUljE_EEESW_SX_SY_S15_S19_S1B_T6_T7_T9_mT8_S1D_bDpT10_ENKUlT_T0_E_clISt17integral_constantIbLb1EES1Q_EEDaS1L_S1M_EUlS1L_E_NS1_11comp_targetILNS1_3genE5ELNS1_11target_archE942ELNS1_3gpuE9ELNS1_3repE0EEENS1_30default_config_static_selectorELNS0_4arch9wavefront6targetE0EEEvSZ_,comdat
.Lfunc_end1809:
	.size	_ZN7rocprim17ROCPRIM_400000_NS6detail17trampoline_kernelINS0_13select_configILj256ELj13ELNS0_17block_load_methodE3ELS4_3ELS4_3ELNS0_20block_scan_algorithmE0ELj4294967295EEENS1_25partition_config_selectorILNS1_17partition_subalgoE3EjNS0_10empty_typeEbEEZZNS1_14partition_implILS8_3ELb0ES6_jNS0_17counting_iteratorIjlEEPS9_SE_NS0_5tupleIJPjSE_EEENSF_IJSE_SE_EEES9_SG_JZNS1_25segmented_radix_sort_implINS0_14default_configELb0EPK6__halfPSL_PKlPlN2at6native12_GLOBAL__N_18offset_tEEE10hipError_tPvRmT1_PNSt15iterator_traitsISZ_E10value_typeET2_T3_PNS10_IS15_E10value_typeET4_jRbjT5_S1B_jjP12ihipStream_tbEUljE_EEESW_SX_SY_S15_S19_S1B_T6_T7_T9_mT8_S1D_bDpT10_ENKUlT_T0_E_clISt17integral_constantIbLb1EES1Q_EEDaS1L_S1M_EUlS1L_E_NS1_11comp_targetILNS1_3genE5ELNS1_11target_archE942ELNS1_3gpuE9ELNS1_3repE0EEENS1_30default_config_static_selectorELNS0_4arch9wavefront6targetE0EEEvSZ_, .Lfunc_end1809-_ZN7rocprim17ROCPRIM_400000_NS6detail17trampoline_kernelINS0_13select_configILj256ELj13ELNS0_17block_load_methodE3ELS4_3ELS4_3ELNS0_20block_scan_algorithmE0ELj4294967295EEENS1_25partition_config_selectorILNS1_17partition_subalgoE3EjNS0_10empty_typeEbEEZZNS1_14partition_implILS8_3ELb0ES6_jNS0_17counting_iteratorIjlEEPS9_SE_NS0_5tupleIJPjSE_EEENSF_IJSE_SE_EEES9_SG_JZNS1_25segmented_radix_sort_implINS0_14default_configELb0EPK6__halfPSL_PKlPlN2at6native12_GLOBAL__N_18offset_tEEE10hipError_tPvRmT1_PNSt15iterator_traitsISZ_E10value_typeET2_T3_PNS10_IS15_E10value_typeET4_jRbjT5_S1B_jjP12ihipStream_tbEUljE_EEESW_SX_SY_S15_S19_S1B_T6_T7_T9_mT8_S1D_bDpT10_ENKUlT_T0_E_clISt17integral_constantIbLb1EES1Q_EEDaS1L_S1M_EUlS1L_E_NS1_11comp_targetILNS1_3genE5ELNS1_11target_archE942ELNS1_3gpuE9ELNS1_3repE0EEENS1_30default_config_static_selectorELNS0_4arch9wavefront6targetE0EEEvSZ_
                                        ; -- End function
	.set _ZN7rocprim17ROCPRIM_400000_NS6detail17trampoline_kernelINS0_13select_configILj256ELj13ELNS0_17block_load_methodE3ELS4_3ELS4_3ELNS0_20block_scan_algorithmE0ELj4294967295EEENS1_25partition_config_selectorILNS1_17partition_subalgoE3EjNS0_10empty_typeEbEEZZNS1_14partition_implILS8_3ELb0ES6_jNS0_17counting_iteratorIjlEEPS9_SE_NS0_5tupleIJPjSE_EEENSF_IJSE_SE_EEES9_SG_JZNS1_25segmented_radix_sort_implINS0_14default_configELb0EPK6__halfPSL_PKlPlN2at6native12_GLOBAL__N_18offset_tEEE10hipError_tPvRmT1_PNSt15iterator_traitsISZ_E10value_typeET2_T3_PNS10_IS15_E10value_typeET4_jRbjT5_S1B_jjP12ihipStream_tbEUljE_EEESW_SX_SY_S15_S19_S1B_T6_T7_T9_mT8_S1D_bDpT10_ENKUlT_T0_E_clISt17integral_constantIbLb1EES1Q_EEDaS1L_S1M_EUlS1L_E_NS1_11comp_targetILNS1_3genE5ELNS1_11target_archE942ELNS1_3gpuE9ELNS1_3repE0EEENS1_30default_config_static_selectorELNS0_4arch9wavefront6targetE0EEEvSZ_.num_vgpr, 0
	.set _ZN7rocprim17ROCPRIM_400000_NS6detail17trampoline_kernelINS0_13select_configILj256ELj13ELNS0_17block_load_methodE3ELS4_3ELS4_3ELNS0_20block_scan_algorithmE0ELj4294967295EEENS1_25partition_config_selectorILNS1_17partition_subalgoE3EjNS0_10empty_typeEbEEZZNS1_14partition_implILS8_3ELb0ES6_jNS0_17counting_iteratorIjlEEPS9_SE_NS0_5tupleIJPjSE_EEENSF_IJSE_SE_EEES9_SG_JZNS1_25segmented_radix_sort_implINS0_14default_configELb0EPK6__halfPSL_PKlPlN2at6native12_GLOBAL__N_18offset_tEEE10hipError_tPvRmT1_PNSt15iterator_traitsISZ_E10value_typeET2_T3_PNS10_IS15_E10value_typeET4_jRbjT5_S1B_jjP12ihipStream_tbEUljE_EEESW_SX_SY_S15_S19_S1B_T6_T7_T9_mT8_S1D_bDpT10_ENKUlT_T0_E_clISt17integral_constantIbLb1EES1Q_EEDaS1L_S1M_EUlS1L_E_NS1_11comp_targetILNS1_3genE5ELNS1_11target_archE942ELNS1_3gpuE9ELNS1_3repE0EEENS1_30default_config_static_selectorELNS0_4arch9wavefront6targetE0EEEvSZ_.num_agpr, 0
	.set _ZN7rocprim17ROCPRIM_400000_NS6detail17trampoline_kernelINS0_13select_configILj256ELj13ELNS0_17block_load_methodE3ELS4_3ELS4_3ELNS0_20block_scan_algorithmE0ELj4294967295EEENS1_25partition_config_selectorILNS1_17partition_subalgoE3EjNS0_10empty_typeEbEEZZNS1_14partition_implILS8_3ELb0ES6_jNS0_17counting_iteratorIjlEEPS9_SE_NS0_5tupleIJPjSE_EEENSF_IJSE_SE_EEES9_SG_JZNS1_25segmented_radix_sort_implINS0_14default_configELb0EPK6__halfPSL_PKlPlN2at6native12_GLOBAL__N_18offset_tEEE10hipError_tPvRmT1_PNSt15iterator_traitsISZ_E10value_typeET2_T3_PNS10_IS15_E10value_typeET4_jRbjT5_S1B_jjP12ihipStream_tbEUljE_EEESW_SX_SY_S15_S19_S1B_T6_T7_T9_mT8_S1D_bDpT10_ENKUlT_T0_E_clISt17integral_constantIbLb1EES1Q_EEDaS1L_S1M_EUlS1L_E_NS1_11comp_targetILNS1_3genE5ELNS1_11target_archE942ELNS1_3gpuE9ELNS1_3repE0EEENS1_30default_config_static_selectorELNS0_4arch9wavefront6targetE0EEEvSZ_.numbered_sgpr, 0
	.set _ZN7rocprim17ROCPRIM_400000_NS6detail17trampoline_kernelINS0_13select_configILj256ELj13ELNS0_17block_load_methodE3ELS4_3ELS4_3ELNS0_20block_scan_algorithmE0ELj4294967295EEENS1_25partition_config_selectorILNS1_17partition_subalgoE3EjNS0_10empty_typeEbEEZZNS1_14partition_implILS8_3ELb0ES6_jNS0_17counting_iteratorIjlEEPS9_SE_NS0_5tupleIJPjSE_EEENSF_IJSE_SE_EEES9_SG_JZNS1_25segmented_radix_sort_implINS0_14default_configELb0EPK6__halfPSL_PKlPlN2at6native12_GLOBAL__N_18offset_tEEE10hipError_tPvRmT1_PNSt15iterator_traitsISZ_E10value_typeET2_T3_PNS10_IS15_E10value_typeET4_jRbjT5_S1B_jjP12ihipStream_tbEUljE_EEESW_SX_SY_S15_S19_S1B_T6_T7_T9_mT8_S1D_bDpT10_ENKUlT_T0_E_clISt17integral_constantIbLb1EES1Q_EEDaS1L_S1M_EUlS1L_E_NS1_11comp_targetILNS1_3genE5ELNS1_11target_archE942ELNS1_3gpuE9ELNS1_3repE0EEENS1_30default_config_static_selectorELNS0_4arch9wavefront6targetE0EEEvSZ_.num_named_barrier, 0
	.set _ZN7rocprim17ROCPRIM_400000_NS6detail17trampoline_kernelINS0_13select_configILj256ELj13ELNS0_17block_load_methodE3ELS4_3ELS4_3ELNS0_20block_scan_algorithmE0ELj4294967295EEENS1_25partition_config_selectorILNS1_17partition_subalgoE3EjNS0_10empty_typeEbEEZZNS1_14partition_implILS8_3ELb0ES6_jNS0_17counting_iteratorIjlEEPS9_SE_NS0_5tupleIJPjSE_EEENSF_IJSE_SE_EEES9_SG_JZNS1_25segmented_radix_sort_implINS0_14default_configELb0EPK6__halfPSL_PKlPlN2at6native12_GLOBAL__N_18offset_tEEE10hipError_tPvRmT1_PNSt15iterator_traitsISZ_E10value_typeET2_T3_PNS10_IS15_E10value_typeET4_jRbjT5_S1B_jjP12ihipStream_tbEUljE_EEESW_SX_SY_S15_S19_S1B_T6_T7_T9_mT8_S1D_bDpT10_ENKUlT_T0_E_clISt17integral_constantIbLb1EES1Q_EEDaS1L_S1M_EUlS1L_E_NS1_11comp_targetILNS1_3genE5ELNS1_11target_archE942ELNS1_3gpuE9ELNS1_3repE0EEENS1_30default_config_static_selectorELNS0_4arch9wavefront6targetE0EEEvSZ_.private_seg_size, 0
	.set _ZN7rocprim17ROCPRIM_400000_NS6detail17trampoline_kernelINS0_13select_configILj256ELj13ELNS0_17block_load_methodE3ELS4_3ELS4_3ELNS0_20block_scan_algorithmE0ELj4294967295EEENS1_25partition_config_selectorILNS1_17partition_subalgoE3EjNS0_10empty_typeEbEEZZNS1_14partition_implILS8_3ELb0ES6_jNS0_17counting_iteratorIjlEEPS9_SE_NS0_5tupleIJPjSE_EEENSF_IJSE_SE_EEES9_SG_JZNS1_25segmented_radix_sort_implINS0_14default_configELb0EPK6__halfPSL_PKlPlN2at6native12_GLOBAL__N_18offset_tEEE10hipError_tPvRmT1_PNSt15iterator_traitsISZ_E10value_typeET2_T3_PNS10_IS15_E10value_typeET4_jRbjT5_S1B_jjP12ihipStream_tbEUljE_EEESW_SX_SY_S15_S19_S1B_T6_T7_T9_mT8_S1D_bDpT10_ENKUlT_T0_E_clISt17integral_constantIbLb1EES1Q_EEDaS1L_S1M_EUlS1L_E_NS1_11comp_targetILNS1_3genE5ELNS1_11target_archE942ELNS1_3gpuE9ELNS1_3repE0EEENS1_30default_config_static_selectorELNS0_4arch9wavefront6targetE0EEEvSZ_.uses_vcc, 0
	.set _ZN7rocprim17ROCPRIM_400000_NS6detail17trampoline_kernelINS0_13select_configILj256ELj13ELNS0_17block_load_methodE3ELS4_3ELS4_3ELNS0_20block_scan_algorithmE0ELj4294967295EEENS1_25partition_config_selectorILNS1_17partition_subalgoE3EjNS0_10empty_typeEbEEZZNS1_14partition_implILS8_3ELb0ES6_jNS0_17counting_iteratorIjlEEPS9_SE_NS0_5tupleIJPjSE_EEENSF_IJSE_SE_EEES9_SG_JZNS1_25segmented_radix_sort_implINS0_14default_configELb0EPK6__halfPSL_PKlPlN2at6native12_GLOBAL__N_18offset_tEEE10hipError_tPvRmT1_PNSt15iterator_traitsISZ_E10value_typeET2_T3_PNS10_IS15_E10value_typeET4_jRbjT5_S1B_jjP12ihipStream_tbEUljE_EEESW_SX_SY_S15_S19_S1B_T6_T7_T9_mT8_S1D_bDpT10_ENKUlT_T0_E_clISt17integral_constantIbLb1EES1Q_EEDaS1L_S1M_EUlS1L_E_NS1_11comp_targetILNS1_3genE5ELNS1_11target_archE942ELNS1_3gpuE9ELNS1_3repE0EEENS1_30default_config_static_selectorELNS0_4arch9wavefront6targetE0EEEvSZ_.uses_flat_scratch, 0
	.set _ZN7rocprim17ROCPRIM_400000_NS6detail17trampoline_kernelINS0_13select_configILj256ELj13ELNS0_17block_load_methodE3ELS4_3ELS4_3ELNS0_20block_scan_algorithmE0ELj4294967295EEENS1_25partition_config_selectorILNS1_17partition_subalgoE3EjNS0_10empty_typeEbEEZZNS1_14partition_implILS8_3ELb0ES6_jNS0_17counting_iteratorIjlEEPS9_SE_NS0_5tupleIJPjSE_EEENSF_IJSE_SE_EEES9_SG_JZNS1_25segmented_radix_sort_implINS0_14default_configELb0EPK6__halfPSL_PKlPlN2at6native12_GLOBAL__N_18offset_tEEE10hipError_tPvRmT1_PNSt15iterator_traitsISZ_E10value_typeET2_T3_PNS10_IS15_E10value_typeET4_jRbjT5_S1B_jjP12ihipStream_tbEUljE_EEESW_SX_SY_S15_S19_S1B_T6_T7_T9_mT8_S1D_bDpT10_ENKUlT_T0_E_clISt17integral_constantIbLb1EES1Q_EEDaS1L_S1M_EUlS1L_E_NS1_11comp_targetILNS1_3genE5ELNS1_11target_archE942ELNS1_3gpuE9ELNS1_3repE0EEENS1_30default_config_static_selectorELNS0_4arch9wavefront6targetE0EEEvSZ_.has_dyn_sized_stack, 0
	.set _ZN7rocprim17ROCPRIM_400000_NS6detail17trampoline_kernelINS0_13select_configILj256ELj13ELNS0_17block_load_methodE3ELS4_3ELS4_3ELNS0_20block_scan_algorithmE0ELj4294967295EEENS1_25partition_config_selectorILNS1_17partition_subalgoE3EjNS0_10empty_typeEbEEZZNS1_14partition_implILS8_3ELb0ES6_jNS0_17counting_iteratorIjlEEPS9_SE_NS0_5tupleIJPjSE_EEENSF_IJSE_SE_EEES9_SG_JZNS1_25segmented_radix_sort_implINS0_14default_configELb0EPK6__halfPSL_PKlPlN2at6native12_GLOBAL__N_18offset_tEEE10hipError_tPvRmT1_PNSt15iterator_traitsISZ_E10value_typeET2_T3_PNS10_IS15_E10value_typeET4_jRbjT5_S1B_jjP12ihipStream_tbEUljE_EEESW_SX_SY_S15_S19_S1B_T6_T7_T9_mT8_S1D_bDpT10_ENKUlT_T0_E_clISt17integral_constantIbLb1EES1Q_EEDaS1L_S1M_EUlS1L_E_NS1_11comp_targetILNS1_3genE5ELNS1_11target_archE942ELNS1_3gpuE9ELNS1_3repE0EEENS1_30default_config_static_selectorELNS0_4arch9wavefront6targetE0EEEvSZ_.has_recursion, 0
	.set _ZN7rocprim17ROCPRIM_400000_NS6detail17trampoline_kernelINS0_13select_configILj256ELj13ELNS0_17block_load_methodE3ELS4_3ELS4_3ELNS0_20block_scan_algorithmE0ELj4294967295EEENS1_25partition_config_selectorILNS1_17partition_subalgoE3EjNS0_10empty_typeEbEEZZNS1_14partition_implILS8_3ELb0ES6_jNS0_17counting_iteratorIjlEEPS9_SE_NS0_5tupleIJPjSE_EEENSF_IJSE_SE_EEES9_SG_JZNS1_25segmented_radix_sort_implINS0_14default_configELb0EPK6__halfPSL_PKlPlN2at6native12_GLOBAL__N_18offset_tEEE10hipError_tPvRmT1_PNSt15iterator_traitsISZ_E10value_typeET2_T3_PNS10_IS15_E10value_typeET4_jRbjT5_S1B_jjP12ihipStream_tbEUljE_EEESW_SX_SY_S15_S19_S1B_T6_T7_T9_mT8_S1D_bDpT10_ENKUlT_T0_E_clISt17integral_constantIbLb1EES1Q_EEDaS1L_S1M_EUlS1L_E_NS1_11comp_targetILNS1_3genE5ELNS1_11target_archE942ELNS1_3gpuE9ELNS1_3repE0EEENS1_30default_config_static_selectorELNS0_4arch9wavefront6targetE0EEEvSZ_.has_indirect_call, 0
	.section	.AMDGPU.csdata,"",@progbits
; Kernel info:
; codeLenInByte = 0
; TotalNumSgprs: 0
; NumVgprs: 0
; ScratchSize: 0
; MemoryBound: 0
; FloatMode: 240
; IeeeMode: 1
; LDSByteSize: 0 bytes/workgroup (compile time only)
; SGPRBlocks: 0
; VGPRBlocks: 0
; NumSGPRsForWavesPerEU: 1
; NumVGPRsForWavesPerEU: 1
; Occupancy: 16
; WaveLimiterHint : 0
; COMPUTE_PGM_RSRC2:SCRATCH_EN: 0
; COMPUTE_PGM_RSRC2:USER_SGPR: 6
; COMPUTE_PGM_RSRC2:TRAP_HANDLER: 0
; COMPUTE_PGM_RSRC2:TGID_X_EN: 1
; COMPUTE_PGM_RSRC2:TGID_Y_EN: 0
; COMPUTE_PGM_RSRC2:TGID_Z_EN: 0
; COMPUTE_PGM_RSRC2:TIDIG_COMP_CNT: 0
	.section	.text._ZN7rocprim17ROCPRIM_400000_NS6detail17trampoline_kernelINS0_13select_configILj256ELj13ELNS0_17block_load_methodE3ELS4_3ELS4_3ELNS0_20block_scan_algorithmE0ELj4294967295EEENS1_25partition_config_selectorILNS1_17partition_subalgoE3EjNS0_10empty_typeEbEEZZNS1_14partition_implILS8_3ELb0ES6_jNS0_17counting_iteratorIjlEEPS9_SE_NS0_5tupleIJPjSE_EEENSF_IJSE_SE_EEES9_SG_JZNS1_25segmented_radix_sort_implINS0_14default_configELb0EPK6__halfPSL_PKlPlN2at6native12_GLOBAL__N_18offset_tEEE10hipError_tPvRmT1_PNSt15iterator_traitsISZ_E10value_typeET2_T3_PNS10_IS15_E10value_typeET4_jRbjT5_S1B_jjP12ihipStream_tbEUljE_EEESW_SX_SY_S15_S19_S1B_T6_T7_T9_mT8_S1D_bDpT10_ENKUlT_T0_E_clISt17integral_constantIbLb1EES1Q_EEDaS1L_S1M_EUlS1L_E_NS1_11comp_targetILNS1_3genE4ELNS1_11target_archE910ELNS1_3gpuE8ELNS1_3repE0EEENS1_30default_config_static_selectorELNS0_4arch9wavefront6targetE0EEEvSZ_,"axG",@progbits,_ZN7rocprim17ROCPRIM_400000_NS6detail17trampoline_kernelINS0_13select_configILj256ELj13ELNS0_17block_load_methodE3ELS4_3ELS4_3ELNS0_20block_scan_algorithmE0ELj4294967295EEENS1_25partition_config_selectorILNS1_17partition_subalgoE3EjNS0_10empty_typeEbEEZZNS1_14partition_implILS8_3ELb0ES6_jNS0_17counting_iteratorIjlEEPS9_SE_NS0_5tupleIJPjSE_EEENSF_IJSE_SE_EEES9_SG_JZNS1_25segmented_radix_sort_implINS0_14default_configELb0EPK6__halfPSL_PKlPlN2at6native12_GLOBAL__N_18offset_tEEE10hipError_tPvRmT1_PNSt15iterator_traitsISZ_E10value_typeET2_T3_PNS10_IS15_E10value_typeET4_jRbjT5_S1B_jjP12ihipStream_tbEUljE_EEESW_SX_SY_S15_S19_S1B_T6_T7_T9_mT8_S1D_bDpT10_ENKUlT_T0_E_clISt17integral_constantIbLb1EES1Q_EEDaS1L_S1M_EUlS1L_E_NS1_11comp_targetILNS1_3genE4ELNS1_11target_archE910ELNS1_3gpuE8ELNS1_3repE0EEENS1_30default_config_static_selectorELNS0_4arch9wavefront6targetE0EEEvSZ_,comdat
	.globl	_ZN7rocprim17ROCPRIM_400000_NS6detail17trampoline_kernelINS0_13select_configILj256ELj13ELNS0_17block_load_methodE3ELS4_3ELS4_3ELNS0_20block_scan_algorithmE0ELj4294967295EEENS1_25partition_config_selectorILNS1_17partition_subalgoE3EjNS0_10empty_typeEbEEZZNS1_14partition_implILS8_3ELb0ES6_jNS0_17counting_iteratorIjlEEPS9_SE_NS0_5tupleIJPjSE_EEENSF_IJSE_SE_EEES9_SG_JZNS1_25segmented_radix_sort_implINS0_14default_configELb0EPK6__halfPSL_PKlPlN2at6native12_GLOBAL__N_18offset_tEEE10hipError_tPvRmT1_PNSt15iterator_traitsISZ_E10value_typeET2_T3_PNS10_IS15_E10value_typeET4_jRbjT5_S1B_jjP12ihipStream_tbEUljE_EEESW_SX_SY_S15_S19_S1B_T6_T7_T9_mT8_S1D_bDpT10_ENKUlT_T0_E_clISt17integral_constantIbLb1EES1Q_EEDaS1L_S1M_EUlS1L_E_NS1_11comp_targetILNS1_3genE4ELNS1_11target_archE910ELNS1_3gpuE8ELNS1_3repE0EEENS1_30default_config_static_selectorELNS0_4arch9wavefront6targetE0EEEvSZ_ ; -- Begin function _ZN7rocprim17ROCPRIM_400000_NS6detail17trampoline_kernelINS0_13select_configILj256ELj13ELNS0_17block_load_methodE3ELS4_3ELS4_3ELNS0_20block_scan_algorithmE0ELj4294967295EEENS1_25partition_config_selectorILNS1_17partition_subalgoE3EjNS0_10empty_typeEbEEZZNS1_14partition_implILS8_3ELb0ES6_jNS0_17counting_iteratorIjlEEPS9_SE_NS0_5tupleIJPjSE_EEENSF_IJSE_SE_EEES9_SG_JZNS1_25segmented_radix_sort_implINS0_14default_configELb0EPK6__halfPSL_PKlPlN2at6native12_GLOBAL__N_18offset_tEEE10hipError_tPvRmT1_PNSt15iterator_traitsISZ_E10value_typeET2_T3_PNS10_IS15_E10value_typeET4_jRbjT5_S1B_jjP12ihipStream_tbEUljE_EEESW_SX_SY_S15_S19_S1B_T6_T7_T9_mT8_S1D_bDpT10_ENKUlT_T0_E_clISt17integral_constantIbLb1EES1Q_EEDaS1L_S1M_EUlS1L_E_NS1_11comp_targetILNS1_3genE4ELNS1_11target_archE910ELNS1_3gpuE8ELNS1_3repE0EEENS1_30default_config_static_selectorELNS0_4arch9wavefront6targetE0EEEvSZ_
	.p2align	8
	.type	_ZN7rocprim17ROCPRIM_400000_NS6detail17trampoline_kernelINS0_13select_configILj256ELj13ELNS0_17block_load_methodE3ELS4_3ELS4_3ELNS0_20block_scan_algorithmE0ELj4294967295EEENS1_25partition_config_selectorILNS1_17partition_subalgoE3EjNS0_10empty_typeEbEEZZNS1_14partition_implILS8_3ELb0ES6_jNS0_17counting_iteratorIjlEEPS9_SE_NS0_5tupleIJPjSE_EEENSF_IJSE_SE_EEES9_SG_JZNS1_25segmented_radix_sort_implINS0_14default_configELb0EPK6__halfPSL_PKlPlN2at6native12_GLOBAL__N_18offset_tEEE10hipError_tPvRmT1_PNSt15iterator_traitsISZ_E10value_typeET2_T3_PNS10_IS15_E10value_typeET4_jRbjT5_S1B_jjP12ihipStream_tbEUljE_EEESW_SX_SY_S15_S19_S1B_T6_T7_T9_mT8_S1D_bDpT10_ENKUlT_T0_E_clISt17integral_constantIbLb1EES1Q_EEDaS1L_S1M_EUlS1L_E_NS1_11comp_targetILNS1_3genE4ELNS1_11target_archE910ELNS1_3gpuE8ELNS1_3repE0EEENS1_30default_config_static_selectorELNS0_4arch9wavefront6targetE0EEEvSZ_,@function
_ZN7rocprim17ROCPRIM_400000_NS6detail17trampoline_kernelINS0_13select_configILj256ELj13ELNS0_17block_load_methodE3ELS4_3ELS4_3ELNS0_20block_scan_algorithmE0ELj4294967295EEENS1_25partition_config_selectorILNS1_17partition_subalgoE3EjNS0_10empty_typeEbEEZZNS1_14partition_implILS8_3ELb0ES6_jNS0_17counting_iteratorIjlEEPS9_SE_NS0_5tupleIJPjSE_EEENSF_IJSE_SE_EEES9_SG_JZNS1_25segmented_radix_sort_implINS0_14default_configELb0EPK6__halfPSL_PKlPlN2at6native12_GLOBAL__N_18offset_tEEE10hipError_tPvRmT1_PNSt15iterator_traitsISZ_E10value_typeET2_T3_PNS10_IS15_E10value_typeET4_jRbjT5_S1B_jjP12ihipStream_tbEUljE_EEESW_SX_SY_S15_S19_S1B_T6_T7_T9_mT8_S1D_bDpT10_ENKUlT_T0_E_clISt17integral_constantIbLb1EES1Q_EEDaS1L_S1M_EUlS1L_E_NS1_11comp_targetILNS1_3genE4ELNS1_11target_archE910ELNS1_3gpuE8ELNS1_3repE0EEENS1_30default_config_static_selectorELNS0_4arch9wavefront6targetE0EEEvSZ_: ; @_ZN7rocprim17ROCPRIM_400000_NS6detail17trampoline_kernelINS0_13select_configILj256ELj13ELNS0_17block_load_methodE3ELS4_3ELS4_3ELNS0_20block_scan_algorithmE0ELj4294967295EEENS1_25partition_config_selectorILNS1_17partition_subalgoE3EjNS0_10empty_typeEbEEZZNS1_14partition_implILS8_3ELb0ES6_jNS0_17counting_iteratorIjlEEPS9_SE_NS0_5tupleIJPjSE_EEENSF_IJSE_SE_EEES9_SG_JZNS1_25segmented_radix_sort_implINS0_14default_configELb0EPK6__halfPSL_PKlPlN2at6native12_GLOBAL__N_18offset_tEEE10hipError_tPvRmT1_PNSt15iterator_traitsISZ_E10value_typeET2_T3_PNS10_IS15_E10value_typeET4_jRbjT5_S1B_jjP12ihipStream_tbEUljE_EEESW_SX_SY_S15_S19_S1B_T6_T7_T9_mT8_S1D_bDpT10_ENKUlT_T0_E_clISt17integral_constantIbLb1EES1Q_EEDaS1L_S1M_EUlS1L_E_NS1_11comp_targetILNS1_3genE4ELNS1_11target_archE910ELNS1_3gpuE8ELNS1_3repE0EEENS1_30default_config_static_selectorELNS0_4arch9wavefront6targetE0EEEvSZ_
; %bb.0:
	.section	.rodata,"a",@progbits
	.p2align	6, 0x0
	.amdhsa_kernel _ZN7rocprim17ROCPRIM_400000_NS6detail17trampoline_kernelINS0_13select_configILj256ELj13ELNS0_17block_load_methodE3ELS4_3ELS4_3ELNS0_20block_scan_algorithmE0ELj4294967295EEENS1_25partition_config_selectorILNS1_17partition_subalgoE3EjNS0_10empty_typeEbEEZZNS1_14partition_implILS8_3ELb0ES6_jNS0_17counting_iteratorIjlEEPS9_SE_NS0_5tupleIJPjSE_EEENSF_IJSE_SE_EEES9_SG_JZNS1_25segmented_radix_sort_implINS0_14default_configELb0EPK6__halfPSL_PKlPlN2at6native12_GLOBAL__N_18offset_tEEE10hipError_tPvRmT1_PNSt15iterator_traitsISZ_E10value_typeET2_T3_PNS10_IS15_E10value_typeET4_jRbjT5_S1B_jjP12ihipStream_tbEUljE_EEESW_SX_SY_S15_S19_S1B_T6_T7_T9_mT8_S1D_bDpT10_ENKUlT_T0_E_clISt17integral_constantIbLb1EES1Q_EEDaS1L_S1M_EUlS1L_E_NS1_11comp_targetILNS1_3genE4ELNS1_11target_archE910ELNS1_3gpuE8ELNS1_3repE0EEENS1_30default_config_static_selectorELNS0_4arch9wavefront6targetE0EEEvSZ_
		.amdhsa_group_segment_fixed_size 0
		.amdhsa_private_segment_fixed_size 0
		.amdhsa_kernarg_size 152
		.amdhsa_user_sgpr_count 6
		.amdhsa_user_sgpr_private_segment_buffer 1
		.amdhsa_user_sgpr_dispatch_ptr 0
		.amdhsa_user_sgpr_queue_ptr 0
		.amdhsa_user_sgpr_kernarg_segment_ptr 1
		.amdhsa_user_sgpr_dispatch_id 0
		.amdhsa_user_sgpr_flat_scratch_init 0
		.amdhsa_user_sgpr_private_segment_size 0
		.amdhsa_wavefront_size32 1
		.amdhsa_uses_dynamic_stack 0
		.amdhsa_system_sgpr_private_segment_wavefront_offset 0
		.amdhsa_system_sgpr_workgroup_id_x 1
		.amdhsa_system_sgpr_workgroup_id_y 0
		.amdhsa_system_sgpr_workgroup_id_z 0
		.amdhsa_system_sgpr_workgroup_info 0
		.amdhsa_system_vgpr_workitem_id 0
		.amdhsa_next_free_vgpr 1
		.amdhsa_next_free_sgpr 1
		.amdhsa_reserve_vcc 0
		.amdhsa_reserve_flat_scratch 0
		.amdhsa_float_round_mode_32 0
		.amdhsa_float_round_mode_16_64 0
		.amdhsa_float_denorm_mode_32 3
		.amdhsa_float_denorm_mode_16_64 3
		.amdhsa_dx10_clamp 1
		.amdhsa_ieee_mode 1
		.amdhsa_fp16_overflow 0
		.amdhsa_workgroup_processor_mode 1
		.amdhsa_memory_ordered 1
		.amdhsa_forward_progress 1
		.amdhsa_shared_vgpr_count 0
		.amdhsa_exception_fp_ieee_invalid_op 0
		.amdhsa_exception_fp_denorm_src 0
		.amdhsa_exception_fp_ieee_div_zero 0
		.amdhsa_exception_fp_ieee_overflow 0
		.amdhsa_exception_fp_ieee_underflow 0
		.amdhsa_exception_fp_ieee_inexact 0
		.amdhsa_exception_int_div_zero 0
	.end_amdhsa_kernel
	.section	.text._ZN7rocprim17ROCPRIM_400000_NS6detail17trampoline_kernelINS0_13select_configILj256ELj13ELNS0_17block_load_methodE3ELS4_3ELS4_3ELNS0_20block_scan_algorithmE0ELj4294967295EEENS1_25partition_config_selectorILNS1_17partition_subalgoE3EjNS0_10empty_typeEbEEZZNS1_14partition_implILS8_3ELb0ES6_jNS0_17counting_iteratorIjlEEPS9_SE_NS0_5tupleIJPjSE_EEENSF_IJSE_SE_EEES9_SG_JZNS1_25segmented_radix_sort_implINS0_14default_configELb0EPK6__halfPSL_PKlPlN2at6native12_GLOBAL__N_18offset_tEEE10hipError_tPvRmT1_PNSt15iterator_traitsISZ_E10value_typeET2_T3_PNS10_IS15_E10value_typeET4_jRbjT5_S1B_jjP12ihipStream_tbEUljE_EEESW_SX_SY_S15_S19_S1B_T6_T7_T9_mT8_S1D_bDpT10_ENKUlT_T0_E_clISt17integral_constantIbLb1EES1Q_EEDaS1L_S1M_EUlS1L_E_NS1_11comp_targetILNS1_3genE4ELNS1_11target_archE910ELNS1_3gpuE8ELNS1_3repE0EEENS1_30default_config_static_selectorELNS0_4arch9wavefront6targetE0EEEvSZ_,"axG",@progbits,_ZN7rocprim17ROCPRIM_400000_NS6detail17trampoline_kernelINS0_13select_configILj256ELj13ELNS0_17block_load_methodE3ELS4_3ELS4_3ELNS0_20block_scan_algorithmE0ELj4294967295EEENS1_25partition_config_selectorILNS1_17partition_subalgoE3EjNS0_10empty_typeEbEEZZNS1_14partition_implILS8_3ELb0ES6_jNS0_17counting_iteratorIjlEEPS9_SE_NS0_5tupleIJPjSE_EEENSF_IJSE_SE_EEES9_SG_JZNS1_25segmented_radix_sort_implINS0_14default_configELb0EPK6__halfPSL_PKlPlN2at6native12_GLOBAL__N_18offset_tEEE10hipError_tPvRmT1_PNSt15iterator_traitsISZ_E10value_typeET2_T3_PNS10_IS15_E10value_typeET4_jRbjT5_S1B_jjP12ihipStream_tbEUljE_EEESW_SX_SY_S15_S19_S1B_T6_T7_T9_mT8_S1D_bDpT10_ENKUlT_T0_E_clISt17integral_constantIbLb1EES1Q_EEDaS1L_S1M_EUlS1L_E_NS1_11comp_targetILNS1_3genE4ELNS1_11target_archE910ELNS1_3gpuE8ELNS1_3repE0EEENS1_30default_config_static_selectorELNS0_4arch9wavefront6targetE0EEEvSZ_,comdat
.Lfunc_end1810:
	.size	_ZN7rocprim17ROCPRIM_400000_NS6detail17trampoline_kernelINS0_13select_configILj256ELj13ELNS0_17block_load_methodE3ELS4_3ELS4_3ELNS0_20block_scan_algorithmE0ELj4294967295EEENS1_25partition_config_selectorILNS1_17partition_subalgoE3EjNS0_10empty_typeEbEEZZNS1_14partition_implILS8_3ELb0ES6_jNS0_17counting_iteratorIjlEEPS9_SE_NS0_5tupleIJPjSE_EEENSF_IJSE_SE_EEES9_SG_JZNS1_25segmented_radix_sort_implINS0_14default_configELb0EPK6__halfPSL_PKlPlN2at6native12_GLOBAL__N_18offset_tEEE10hipError_tPvRmT1_PNSt15iterator_traitsISZ_E10value_typeET2_T3_PNS10_IS15_E10value_typeET4_jRbjT5_S1B_jjP12ihipStream_tbEUljE_EEESW_SX_SY_S15_S19_S1B_T6_T7_T9_mT8_S1D_bDpT10_ENKUlT_T0_E_clISt17integral_constantIbLb1EES1Q_EEDaS1L_S1M_EUlS1L_E_NS1_11comp_targetILNS1_3genE4ELNS1_11target_archE910ELNS1_3gpuE8ELNS1_3repE0EEENS1_30default_config_static_selectorELNS0_4arch9wavefront6targetE0EEEvSZ_, .Lfunc_end1810-_ZN7rocprim17ROCPRIM_400000_NS6detail17trampoline_kernelINS0_13select_configILj256ELj13ELNS0_17block_load_methodE3ELS4_3ELS4_3ELNS0_20block_scan_algorithmE0ELj4294967295EEENS1_25partition_config_selectorILNS1_17partition_subalgoE3EjNS0_10empty_typeEbEEZZNS1_14partition_implILS8_3ELb0ES6_jNS0_17counting_iteratorIjlEEPS9_SE_NS0_5tupleIJPjSE_EEENSF_IJSE_SE_EEES9_SG_JZNS1_25segmented_radix_sort_implINS0_14default_configELb0EPK6__halfPSL_PKlPlN2at6native12_GLOBAL__N_18offset_tEEE10hipError_tPvRmT1_PNSt15iterator_traitsISZ_E10value_typeET2_T3_PNS10_IS15_E10value_typeET4_jRbjT5_S1B_jjP12ihipStream_tbEUljE_EEESW_SX_SY_S15_S19_S1B_T6_T7_T9_mT8_S1D_bDpT10_ENKUlT_T0_E_clISt17integral_constantIbLb1EES1Q_EEDaS1L_S1M_EUlS1L_E_NS1_11comp_targetILNS1_3genE4ELNS1_11target_archE910ELNS1_3gpuE8ELNS1_3repE0EEENS1_30default_config_static_selectorELNS0_4arch9wavefront6targetE0EEEvSZ_
                                        ; -- End function
	.set _ZN7rocprim17ROCPRIM_400000_NS6detail17trampoline_kernelINS0_13select_configILj256ELj13ELNS0_17block_load_methodE3ELS4_3ELS4_3ELNS0_20block_scan_algorithmE0ELj4294967295EEENS1_25partition_config_selectorILNS1_17partition_subalgoE3EjNS0_10empty_typeEbEEZZNS1_14partition_implILS8_3ELb0ES6_jNS0_17counting_iteratorIjlEEPS9_SE_NS0_5tupleIJPjSE_EEENSF_IJSE_SE_EEES9_SG_JZNS1_25segmented_radix_sort_implINS0_14default_configELb0EPK6__halfPSL_PKlPlN2at6native12_GLOBAL__N_18offset_tEEE10hipError_tPvRmT1_PNSt15iterator_traitsISZ_E10value_typeET2_T3_PNS10_IS15_E10value_typeET4_jRbjT5_S1B_jjP12ihipStream_tbEUljE_EEESW_SX_SY_S15_S19_S1B_T6_T7_T9_mT8_S1D_bDpT10_ENKUlT_T0_E_clISt17integral_constantIbLb1EES1Q_EEDaS1L_S1M_EUlS1L_E_NS1_11comp_targetILNS1_3genE4ELNS1_11target_archE910ELNS1_3gpuE8ELNS1_3repE0EEENS1_30default_config_static_selectorELNS0_4arch9wavefront6targetE0EEEvSZ_.num_vgpr, 0
	.set _ZN7rocprim17ROCPRIM_400000_NS6detail17trampoline_kernelINS0_13select_configILj256ELj13ELNS0_17block_load_methodE3ELS4_3ELS4_3ELNS0_20block_scan_algorithmE0ELj4294967295EEENS1_25partition_config_selectorILNS1_17partition_subalgoE3EjNS0_10empty_typeEbEEZZNS1_14partition_implILS8_3ELb0ES6_jNS0_17counting_iteratorIjlEEPS9_SE_NS0_5tupleIJPjSE_EEENSF_IJSE_SE_EEES9_SG_JZNS1_25segmented_radix_sort_implINS0_14default_configELb0EPK6__halfPSL_PKlPlN2at6native12_GLOBAL__N_18offset_tEEE10hipError_tPvRmT1_PNSt15iterator_traitsISZ_E10value_typeET2_T3_PNS10_IS15_E10value_typeET4_jRbjT5_S1B_jjP12ihipStream_tbEUljE_EEESW_SX_SY_S15_S19_S1B_T6_T7_T9_mT8_S1D_bDpT10_ENKUlT_T0_E_clISt17integral_constantIbLb1EES1Q_EEDaS1L_S1M_EUlS1L_E_NS1_11comp_targetILNS1_3genE4ELNS1_11target_archE910ELNS1_3gpuE8ELNS1_3repE0EEENS1_30default_config_static_selectorELNS0_4arch9wavefront6targetE0EEEvSZ_.num_agpr, 0
	.set _ZN7rocprim17ROCPRIM_400000_NS6detail17trampoline_kernelINS0_13select_configILj256ELj13ELNS0_17block_load_methodE3ELS4_3ELS4_3ELNS0_20block_scan_algorithmE0ELj4294967295EEENS1_25partition_config_selectorILNS1_17partition_subalgoE3EjNS0_10empty_typeEbEEZZNS1_14partition_implILS8_3ELb0ES6_jNS0_17counting_iteratorIjlEEPS9_SE_NS0_5tupleIJPjSE_EEENSF_IJSE_SE_EEES9_SG_JZNS1_25segmented_radix_sort_implINS0_14default_configELb0EPK6__halfPSL_PKlPlN2at6native12_GLOBAL__N_18offset_tEEE10hipError_tPvRmT1_PNSt15iterator_traitsISZ_E10value_typeET2_T3_PNS10_IS15_E10value_typeET4_jRbjT5_S1B_jjP12ihipStream_tbEUljE_EEESW_SX_SY_S15_S19_S1B_T6_T7_T9_mT8_S1D_bDpT10_ENKUlT_T0_E_clISt17integral_constantIbLb1EES1Q_EEDaS1L_S1M_EUlS1L_E_NS1_11comp_targetILNS1_3genE4ELNS1_11target_archE910ELNS1_3gpuE8ELNS1_3repE0EEENS1_30default_config_static_selectorELNS0_4arch9wavefront6targetE0EEEvSZ_.numbered_sgpr, 0
	.set _ZN7rocprim17ROCPRIM_400000_NS6detail17trampoline_kernelINS0_13select_configILj256ELj13ELNS0_17block_load_methodE3ELS4_3ELS4_3ELNS0_20block_scan_algorithmE0ELj4294967295EEENS1_25partition_config_selectorILNS1_17partition_subalgoE3EjNS0_10empty_typeEbEEZZNS1_14partition_implILS8_3ELb0ES6_jNS0_17counting_iteratorIjlEEPS9_SE_NS0_5tupleIJPjSE_EEENSF_IJSE_SE_EEES9_SG_JZNS1_25segmented_radix_sort_implINS0_14default_configELb0EPK6__halfPSL_PKlPlN2at6native12_GLOBAL__N_18offset_tEEE10hipError_tPvRmT1_PNSt15iterator_traitsISZ_E10value_typeET2_T3_PNS10_IS15_E10value_typeET4_jRbjT5_S1B_jjP12ihipStream_tbEUljE_EEESW_SX_SY_S15_S19_S1B_T6_T7_T9_mT8_S1D_bDpT10_ENKUlT_T0_E_clISt17integral_constantIbLb1EES1Q_EEDaS1L_S1M_EUlS1L_E_NS1_11comp_targetILNS1_3genE4ELNS1_11target_archE910ELNS1_3gpuE8ELNS1_3repE0EEENS1_30default_config_static_selectorELNS0_4arch9wavefront6targetE0EEEvSZ_.num_named_barrier, 0
	.set _ZN7rocprim17ROCPRIM_400000_NS6detail17trampoline_kernelINS0_13select_configILj256ELj13ELNS0_17block_load_methodE3ELS4_3ELS4_3ELNS0_20block_scan_algorithmE0ELj4294967295EEENS1_25partition_config_selectorILNS1_17partition_subalgoE3EjNS0_10empty_typeEbEEZZNS1_14partition_implILS8_3ELb0ES6_jNS0_17counting_iteratorIjlEEPS9_SE_NS0_5tupleIJPjSE_EEENSF_IJSE_SE_EEES9_SG_JZNS1_25segmented_radix_sort_implINS0_14default_configELb0EPK6__halfPSL_PKlPlN2at6native12_GLOBAL__N_18offset_tEEE10hipError_tPvRmT1_PNSt15iterator_traitsISZ_E10value_typeET2_T3_PNS10_IS15_E10value_typeET4_jRbjT5_S1B_jjP12ihipStream_tbEUljE_EEESW_SX_SY_S15_S19_S1B_T6_T7_T9_mT8_S1D_bDpT10_ENKUlT_T0_E_clISt17integral_constantIbLb1EES1Q_EEDaS1L_S1M_EUlS1L_E_NS1_11comp_targetILNS1_3genE4ELNS1_11target_archE910ELNS1_3gpuE8ELNS1_3repE0EEENS1_30default_config_static_selectorELNS0_4arch9wavefront6targetE0EEEvSZ_.private_seg_size, 0
	.set _ZN7rocprim17ROCPRIM_400000_NS6detail17trampoline_kernelINS0_13select_configILj256ELj13ELNS0_17block_load_methodE3ELS4_3ELS4_3ELNS0_20block_scan_algorithmE0ELj4294967295EEENS1_25partition_config_selectorILNS1_17partition_subalgoE3EjNS0_10empty_typeEbEEZZNS1_14partition_implILS8_3ELb0ES6_jNS0_17counting_iteratorIjlEEPS9_SE_NS0_5tupleIJPjSE_EEENSF_IJSE_SE_EEES9_SG_JZNS1_25segmented_radix_sort_implINS0_14default_configELb0EPK6__halfPSL_PKlPlN2at6native12_GLOBAL__N_18offset_tEEE10hipError_tPvRmT1_PNSt15iterator_traitsISZ_E10value_typeET2_T3_PNS10_IS15_E10value_typeET4_jRbjT5_S1B_jjP12ihipStream_tbEUljE_EEESW_SX_SY_S15_S19_S1B_T6_T7_T9_mT8_S1D_bDpT10_ENKUlT_T0_E_clISt17integral_constantIbLb1EES1Q_EEDaS1L_S1M_EUlS1L_E_NS1_11comp_targetILNS1_3genE4ELNS1_11target_archE910ELNS1_3gpuE8ELNS1_3repE0EEENS1_30default_config_static_selectorELNS0_4arch9wavefront6targetE0EEEvSZ_.uses_vcc, 0
	.set _ZN7rocprim17ROCPRIM_400000_NS6detail17trampoline_kernelINS0_13select_configILj256ELj13ELNS0_17block_load_methodE3ELS4_3ELS4_3ELNS0_20block_scan_algorithmE0ELj4294967295EEENS1_25partition_config_selectorILNS1_17partition_subalgoE3EjNS0_10empty_typeEbEEZZNS1_14partition_implILS8_3ELb0ES6_jNS0_17counting_iteratorIjlEEPS9_SE_NS0_5tupleIJPjSE_EEENSF_IJSE_SE_EEES9_SG_JZNS1_25segmented_radix_sort_implINS0_14default_configELb0EPK6__halfPSL_PKlPlN2at6native12_GLOBAL__N_18offset_tEEE10hipError_tPvRmT1_PNSt15iterator_traitsISZ_E10value_typeET2_T3_PNS10_IS15_E10value_typeET4_jRbjT5_S1B_jjP12ihipStream_tbEUljE_EEESW_SX_SY_S15_S19_S1B_T6_T7_T9_mT8_S1D_bDpT10_ENKUlT_T0_E_clISt17integral_constantIbLb1EES1Q_EEDaS1L_S1M_EUlS1L_E_NS1_11comp_targetILNS1_3genE4ELNS1_11target_archE910ELNS1_3gpuE8ELNS1_3repE0EEENS1_30default_config_static_selectorELNS0_4arch9wavefront6targetE0EEEvSZ_.uses_flat_scratch, 0
	.set _ZN7rocprim17ROCPRIM_400000_NS6detail17trampoline_kernelINS0_13select_configILj256ELj13ELNS0_17block_load_methodE3ELS4_3ELS4_3ELNS0_20block_scan_algorithmE0ELj4294967295EEENS1_25partition_config_selectorILNS1_17partition_subalgoE3EjNS0_10empty_typeEbEEZZNS1_14partition_implILS8_3ELb0ES6_jNS0_17counting_iteratorIjlEEPS9_SE_NS0_5tupleIJPjSE_EEENSF_IJSE_SE_EEES9_SG_JZNS1_25segmented_radix_sort_implINS0_14default_configELb0EPK6__halfPSL_PKlPlN2at6native12_GLOBAL__N_18offset_tEEE10hipError_tPvRmT1_PNSt15iterator_traitsISZ_E10value_typeET2_T3_PNS10_IS15_E10value_typeET4_jRbjT5_S1B_jjP12ihipStream_tbEUljE_EEESW_SX_SY_S15_S19_S1B_T6_T7_T9_mT8_S1D_bDpT10_ENKUlT_T0_E_clISt17integral_constantIbLb1EES1Q_EEDaS1L_S1M_EUlS1L_E_NS1_11comp_targetILNS1_3genE4ELNS1_11target_archE910ELNS1_3gpuE8ELNS1_3repE0EEENS1_30default_config_static_selectorELNS0_4arch9wavefront6targetE0EEEvSZ_.has_dyn_sized_stack, 0
	.set _ZN7rocprim17ROCPRIM_400000_NS6detail17trampoline_kernelINS0_13select_configILj256ELj13ELNS0_17block_load_methodE3ELS4_3ELS4_3ELNS0_20block_scan_algorithmE0ELj4294967295EEENS1_25partition_config_selectorILNS1_17partition_subalgoE3EjNS0_10empty_typeEbEEZZNS1_14partition_implILS8_3ELb0ES6_jNS0_17counting_iteratorIjlEEPS9_SE_NS0_5tupleIJPjSE_EEENSF_IJSE_SE_EEES9_SG_JZNS1_25segmented_radix_sort_implINS0_14default_configELb0EPK6__halfPSL_PKlPlN2at6native12_GLOBAL__N_18offset_tEEE10hipError_tPvRmT1_PNSt15iterator_traitsISZ_E10value_typeET2_T3_PNS10_IS15_E10value_typeET4_jRbjT5_S1B_jjP12ihipStream_tbEUljE_EEESW_SX_SY_S15_S19_S1B_T6_T7_T9_mT8_S1D_bDpT10_ENKUlT_T0_E_clISt17integral_constantIbLb1EES1Q_EEDaS1L_S1M_EUlS1L_E_NS1_11comp_targetILNS1_3genE4ELNS1_11target_archE910ELNS1_3gpuE8ELNS1_3repE0EEENS1_30default_config_static_selectorELNS0_4arch9wavefront6targetE0EEEvSZ_.has_recursion, 0
	.set _ZN7rocprim17ROCPRIM_400000_NS6detail17trampoline_kernelINS0_13select_configILj256ELj13ELNS0_17block_load_methodE3ELS4_3ELS4_3ELNS0_20block_scan_algorithmE0ELj4294967295EEENS1_25partition_config_selectorILNS1_17partition_subalgoE3EjNS0_10empty_typeEbEEZZNS1_14partition_implILS8_3ELb0ES6_jNS0_17counting_iteratorIjlEEPS9_SE_NS0_5tupleIJPjSE_EEENSF_IJSE_SE_EEES9_SG_JZNS1_25segmented_radix_sort_implINS0_14default_configELb0EPK6__halfPSL_PKlPlN2at6native12_GLOBAL__N_18offset_tEEE10hipError_tPvRmT1_PNSt15iterator_traitsISZ_E10value_typeET2_T3_PNS10_IS15_E10value_typeET4_jRbjT5_S1B_jjP12ihipStream_tbEUljE_EEESW_SX_SY_S15_S19_S1B_T6_T7_T9_mT8_S1D_bDpT10_ENKUlT_T0_E_clISt17integral_constantIbLb1EES1Q_EEDaS1L_S1M_EUlS1L_E_NS1_11comp_targetILNS1_3genE4ELNS1_11target_archE910ELNS1_3gpuE8ELNS1_3repE0EEENS1_30default_config_static_selectorELNS0_4arch9wavefront6targetE0EEEvSZ_.has_indirect_call, 0
	.section	.AMDGPU.csdata,"",@progbits
; Kernel info:
; codeLenInByte = 0
; TotalNumSgprs: 0
; NumVgprs: 0
; ScratchSize: 0
; MemoryBound: 0
; FloatMode: 240
; IeeeMode: 1
; LDSByteSize: 0 bytes/workgroup (compile time only)
; SGPRBlocks: 0
; VGPRBlocks: 0
; NumSGPRsForWavesPerEU: 1
; NumVGPRsForWavesPerEU: 1
; Occupancy: 16
; WaveLimiterHint : 0
; COMPUTE_PGM_RSRC2:SCRATCH_EN: 0
; COMPUTE_PGM_RSRC2:USER_SGPR: 6
; COMPUTE_PGM_RSRC2:TRAP_HANDLER: 0
; COMPUTE_PGM_RSRC2:TGID_X_EN: 1
; COMPUTE_PGM_RSRC2:TGID_Y_EN: 0
; COMPUTE_PGM_RSRC2:TGID_Z_EN: 0
; COMPUTE_PGM_RSRC2:TIDIG_COMP_CNT: 0
	.section	.text._ZN7rocprim17ROCPRIM_400000_NS6detail17trampoline_kernelINS0_13select_configILj256ELj13ELNS0_17block_load_methodE3ELS4_3ELS4_3ELNS0_20block_scan_algorithmE0ELj4294967295EEENS1_25partition_config_selectorILNS1_17partition_subalgoE3EjNS0_10empty_typeEbEEZZNS1_14partition_implILS8_3ELb0ES6_jNS0_17counting_iteratorIjlEEPS9_SE_NS0_5tupleIJPjSE_EEENSF_IJSE_SE_EEES9_SG_JZNS1_25segmented_radix_sort_implINS0_14default_configELb0EPK6__halfPSL_PKlPlN2at6native12_GLOBAL__N_18offset_tEEE10hipError_tPvRmT1_PNSt15iterator_traitsISZ_E10value_typeET2_T3_PNS10_IS15_E10value_typeET4_jRbjT5_S1B_jjP12ihipStream_tbEUljE_EEESW_SX_SY_S15_S19_S1B_T6_T7_T9_mT8_S1D_bDpT10_ENKUlT_T0_E_clISt17integral_constantIbLb1EES1Q_EEDaS1L_S1M_EUlS1L_E_NS1_11comp_targetILNS1_3genE3ELNS1_11target_archE908ELNS1_3gpuE7ELNS1_3repE0EEENS1_30default_config_static_selectorELNS0_4arch9wavefront6targetE0EEEvSZ_,"axG",@progbits,_ZN7rocprim17ROCPRIM_400000_NS6detail17trampoline_kernelINS0_13select_configILj256ELj13ELNS0_17block_load_methodE3ELS4_3ELS4_3ELNS0_20block_scan_algorithmE0ELj4294967295EEENS1_25partition_config_selectorILNS1_17partition_subalgoE3EjNS0_10empty_typeEbEEZZNS1_14partition_implILS8_3ELb0ES6_jNS0_17counting_iteratorIjlEEPS9_SE_NS0_5tupleIJPjSE_EEENSF_IJSE_SE_EEES9_SG_JZNS1_25segmented_radix_sort_implINS0_14default_configELb0EPK6__halfPSL_PKlPlN2at6native12_GLOBAL__N_18offset_tEEE10hipError_tPvRmT1_PNSt15iterator_traitsISZ_E10value_typeET2_T3_PNS10_IS15_E10value_typeET4_jRbjT5_S1B_jjP12ihipStream_tbEUljE_EEESW_SX_SY_S15_S19_S1B_T6_T7_T9_mT8_S1D_bDpT10_ENKUlT_T0_E_clISt17integral_constantIbLb1EES1Q_EEDaS1L_S1M_EUlS1L_E_NS1_11comp_targetILNS1_3genE3ELNS1_11target_archE908ELNS1_3gpuE7ELNS1_3repE0EEENS1_30default_config_static_selectorELNS0_4arch9wavefront6targetE0EEEvSZ_,comdat
	.globl	_ZN7rocprim17ROCPRIM_400000_NS6detail17trampoline_kernelINS0_13select_configILj256ELj13ELNS0_17block_load_methodE3ELS4_3ELS4_3ELNS0_20block_scan_algorithmE0ELj4294967295EEENS1_25partition_config_selectorILNS1_17partition_subalgoE3EjNS0_10empty_typeEbEEZZNS1_14partition_implILS8_3ELb0ES6_jNS0_17counting_iteratorIjlEEPS9_SE_NS0_5tupleIJPjSE_EEENSF_IJSE_SE_EEES9_SG_JZNS1_25segmented_radix_sort_implINS0_14default_configELb0EPK6__halfPSL_PKlPlN2at6native12_GLOBAL__N_18offset_tEEE10hipError_tPvRmT1_PNSt15iterator_traitsISZ_E10value_typeET2_T3_PNS10_IS15_E10value_typeET4_jRbjT5_S1B_jjP12ihipStream_tbEUljE_EEESW_SX_SY_S15_S19_S1B_T6_T7_T9_mT8_S1D_bDpT10_ENKUlT_T0_E_clISt17integral_constantIbLb1EES1Q_EEDaS1L_S1M_EUlS1L_E_NS1_11comp_targetILNS1_3genE3ELNS1_11target_archE908ELNS1_3gpuE7ELNS1_3repE0EEENS1_30default_config_static_selectorELNS0_4arch9wavefront6targetE0EEEvSZ_ ; -- Begin function _ZN7rocprim17ROCPRIM_400000_NS6detail17trampoline_kernelINS0_13select_configILj256ELj13ELNS0_17block_load_methodE3ELS4_3ELS4_3ELNS0_20block_scan_algorithmE0ELj4294967295EEENS1_25partition_config_selectorILNS1_17partition_subalgoE3EjNS0_10empty_typeEbEEZZNS1_14partition_implILS8_3ELb0ES6_jNS0_17counting_iteratorIjlEEPS9_SE_NS0_5tupleIJPjSE_EEENSF_IJSE_SE_EEES9_SG_JZNS1_25segmented_radix_sort_implINS0_14default_configELb0EPK6__halfPSL_PKlPlN2at6native12_GLOBAL__N_18offset_tEEE10hipError_tPvRmT1_PNSt15iterator_traitsISZ_E10value_typeET2_T3_PNS10_IS15_E10value_typeET4_jRbjT5_S1B_jjP12ihipStream_tbEUljE_EEESW_SX_SY_S15_S19_S1B_T6_T7_T9_mT8_S1D_bDpT10_ENKUlT_T0_E_clISt17integral_constantIbLb1EES1Q_EEDaS1L_S1M_EUlS1L_E_NS1_11comp_targetILNS1_3genE3ELNS1_11target_archE908ELNS1_3gpuE7ELNS1_3repE0EEENS1_30default_config_static_selectorELNS0_4arch9wavefront6targetE0EEEvSZ_
	.p2align	8
	.type	_ZN7rocprim17ROCPRIM_400000_NS6detail17trampoline_kernelINS0_13select_configILj256ELj13ELNS0_17block_load_methodE3ELS4_3ELS4_3ELNS0_20block_scan_algorithmE0ELj4294967295EEENS1_25partition_config_selectorILNS1_17partition_subalgoE3EjNS0_10empty_typeEbEEZZNS1_14partition_implILS8_3ELb0ES6_jNS0_17counting_iteratorIjlEEPS9_SE_NS0_5tupleIJPjSE_EEENSF_IJSE_SE_EEES9_SG_JZNS1_25segmented_radix_sort_implINS0_14default_configELb0EPK6__halfPSL_PKlPlN2at6native12_GLOBAL__N_18offset_tEEE10hipError_tPvRmT1_PNSt15iterator_traitsISZ_E10value_typeET2_T3_PNS10_IS15_E10value_typeET4_jRbjT5_S1B_jjP12ihipStream_tbEUljE_EEESW_SX_SY_S15_S19_S1B_T6_T7_T9_mT8_S1D_bDpT10_ENKUlT_T0_E_clISt17integral_constantIbLb1EES1Q_EEDaS1L_S1M_EUlS1L_E_NS1_11comp_targetILNS1_3genE3ELNS1_11target_archE908ELNS1_3gpuE7ELNS1_3repE0EEENS1_30default_config_static_selectorELNS0_4arch9wavefront6targetE0EEEvSZ_,@function
_ZN7rocprim17ROCPRIM_400000_NS6detail17trampoline_kernelINS0_13select_configILj256ELj13ELNS0_17block_load_methodE3ELS4_3ELS4_3ELNS0_20block_scan_algorithmE0ELj4294967295EEENS1_25partition_config_selectorILNS1_17partition_subalgoE3EjNS0_10empty_typeEbEEZZNS1_14partition_implILS8_3ELb0ES6_jNS0_17counting_iteratorIjlEEPS9_SE_NS0_5tupleIJPjSE_EEENSF_IJSE_SE_EEES9_SG_JZNS1_25segmented_radix_sort_implINS0_14default_configELb0EPK6__halfPSL_PKlPlN2at6native12_GLOBAL__N_18offset_tEEE10hipError_tPvRmT1_PNSt15iterator_traitsISZ_E10value_typeET2_T3_PNS10_IS15_E10value_typeET4_jRbjT5_S1B_jjP12ihipStream_tbEUljE_EEESW_SX_SY_S15_S19_S1B_T6_T7_T9_mT8_S1D_bDpT10_ENKUlT_T0_E_clISt17integral_constantIbLb1EES1Q_EEDaS1L_S1M_EUlS1L_E_NS1_11comp_targetILNS1_3genE3ELNS1_11target_archE908ELNS1_3gpuE7ELNS1_3repE0EEENS1_30default_config_static_selectorELNS0_4arch9wavefront6targetE0EEEvSZ_: ; @_ZN7rocprim17ROCPRIM_400000_NS6detail17trampoline_kernelINS0_13select_configILj256ELj13ELNS0_17block_load_methodE3ELS4_3ELS4_3ELNS0_20block_scan_algorithmE0ELj4294967295EEENS1_25partition_config_selectorILNS1_17partition_subalgoE3EjNS0_10empty_typeEbEEZZNS1_14partition_implILS8_3ELb0ES6_jNS0_17counting_iteratorIjlEEPS9_SE_NS0_5tupleIJPjSE_EEENSF_IJSE_SE_EEES9_SG_JZNS1_25segmented_radix_sort_implINS0_14default_configELb0EPK6__halfPSL_PKlPlN2at6native12_GLOBAL__N_18offset_tEEE10hipError_tPvRmT1_PNSt15iterator_traitsISZ_E10value_typeET2_T3_PNS10_IS15_E10value_typeET4_jRbjT5_S1B_jjP12ihipStream_tbEUljE_EEESW_SX_SY_S15_S19_S1B_T6_T7_T9_mT8_S1D_bDpT10_ENKUlT_T0_E_clISt17integral_constantIbLb1EES1Q_EEDaS1L_S1M_EUlS1L_E_NS1_11comp_targetILNS1_3genE3ELNS1_11target_archE908ELNS1_3gpuE7ELNS1_3repE0EEENS1_30default_config_static_selectorELNS0_4arch9wavefront6targetE0EEEvSZ_
; %bb.0:
	.section	.rodata,"a",@progbits
	.p2align	6, 0x0
	.amdhsa_kernel _ZN7rocprim17ROCPRIM_400000_NS6detail17trampoline_kernelINS0_13select_configILj256ELj13ELNS0_17block_load_methodE3ELS4_3ELS4_3ELNS0_20block_scan_algorithmE0ELj4294967295EEENS1_25partition_config_selectorILNS1_17partition_subalgoE3EjNS0_10empty_typeEbEEZZNS1_14partition_implILS8_3ELb0ES6_jNS0_17counting_iteratorIjlEEPS9_SE_NS0_5tupleIJPjSE_EEENSF_IJSE_SE_EEES9_SG_JZNS1_25segmented_radix_sort_implINS0_14default_configELb0EPK6__halfPSL_PKlPlN2at6native12_GLOBAL__N_18offset_tEEE10hipError_tPvRmT1_PNSt15iterator_traitsISZ_E10value_typeET2_T3_PNS10_IS15_E10value_typeET4_jRbjT5_S1B_jjP12ihipStream_tbEUljE_EEESW_SX_SY_S15_S19_S1B_T6_T7_T9_mT8_S1D_bDpT10_ENKUlT_T0_E_clISt17integral_constantIbLb1EES1Q_EEDaS1L_S1M_EUlS1L_E_NS1_11comp_targetILNS1_3genE3ELNS1_11target_archE908ELNS1_3gpuE7ELNS1_3repE0EEENS1_30default_config_static_selectorELNS0_4arch9wavefront6targetE0EEEvSZ_
		.amdhsa_group_segment_fixed_size 0
		.amdhsa_private_segment_fixed_size 0
		.amdhsa_kernarg_size 152
		.amdhsa_user_sgpr_count 6
		.amdhsa_user_sgpr_private_segment_buffer 1
		.amdhsa_user_sgpr_dispatch_ptr 0
		.amdhsa_user_sgpr_queue_ptr 0
		.amdhsa_user_sgpr_kernarg_segment_ptr 1
		.amdhsa_user_sgpr_dispatch_id 0
		.amdhsa_user_sgpr_flat_scratch_init 0
		.amdhsa_user_sgpr_private_segment_size 0
		.amdhsa_wavefront_size32 1
		.amdhsa_uses_dynamic_stack 0
		.amdhsa_system_sgpr_private_segment_wavefront_offset 0
		.amdhsa_system_sgpr_workgroup_id_x 1
		.amdhsa_system_sgpr_workgroup_id_y 0
		.amdhsa_system_sgpr_workgroup_id_z 0
		.amdhsa_system_sgpr_workgroup_info 0
		.amdhsa_system_vgpr_workitem_id 0
		.amdhsa_next_free_vgpr 1
		.amdhsa_next_free_sgpr 1
		.amdhsa_reserve_vcc 0
		.amdhsa_reserve_flat_scratch 0
		.amdhsa_float_round_mode_32 0
		.amdhsa_float_round_mode_16_64 0
		.amdhsa_float_denorm_mode_32 3
		.amdhsa_float_denorm_mode_16_64 3
		.amdhsa_dx10_clamp 1
		.amdhsa_ieee_mode 1
		.amdhsa_fp16_overflow 0
		.amdhsa_workgroup_processor_mode 1
		.amdhsa_memory_ordered 1
		.amdhsa_forward_progress 1
		.amdhsa_shared_vgpr_count 0
		.amdhsa_exception_fp_ieee_invalid_op 0
		.amdhsa_exception_fp_denorm_src 0
		.amdhsa_exception_fp_ieee_div_zero 0
		.amdhsa_exception_fp_ieee_overflow 0
		.amdhsa_exception_fp_ieee_underflow 0
		.amdhsa_exception_fp_ieee_inexact 0
		.amdhsa_exception_int_div_zero 0
	.end_amdhsa_kernel
	.section	.text._ZN7rocprim17ROCPRIM_400000_NS6detail17trampoline_kernelINS0_13select_configILj256ELj13ELNS0_17block_load_methodE3ELS4_3ELS4_3ELNS0_20block_scan_algorithmE0ELj4294967295EEENS1_25partition_config_selectorILNS1_17partition_subalgoE3EjNS0_10empty_typeEbEEZZNS1_14partition_implILS8_3ELb0ES6_jNS0_17counting_iteratorIjlEEPS9_SE_NS0_5tupleIJPjSE_EEENSF_IJSE_SE_EEES9_SG_JZNS1_25segmented_radix_sort_implINS0_14default_configELb0EPK6__halfPSL_PKlPlN2at6native12_GLOBAL__N_18offset_tEEE10hipError_tPvRmT1_PNSt15iterator_traitsISZ_E10value_typeET2_T3_PNS10_IS15_E10value_typeET4_jRbjT5_S1B_jjP12ihipStream_tbEUljE_EEESW_SX_SY_S15_S19_S1B_T6_T7_T9_mT8_S1D_bDpT10_ENKUlT_T0_E_clISt17integral_constantIbLb1EES1Q_EEDaS1L_S1M_EUlS1L_E_NS1_11comp_targetILNS1_3genE3ELNS1_11target_archE908ELNS1_3gpuE7ELNS1_3repE0EEENS1_30default_config_static_selectorELNS0_4arch9wavefront6targetE0EEEvSZ_,"axG",@progbits,_ZN7rocprim17ROCPRIM_400000_NS6detail17trampoline_kernelINS0_13select_configILj256ELj13ELNS0_17block_load_methodE3ELS4_3ELS4_3ELNS0_20block_scan_algorithmE0ELj4294967295EEENS1_25partition_config_selectorILNS1_17partition_subalgoE3EjNS0_10empty_typeEbEEZZNS1_14partition_implILS8_3ELb0ES6_jNS0_17counting_iteratorIjlEEPS9_SE_NS0_5tupleIJPjSE_EEENSF_IJSE_SE_EEES9_SG_JZNS1_25segmented_radix_sort_implINS0_14default_configELb0EPK6__halfPSL_PKlPlN2at6native12_GLOBAL__N_18offset_tEEE10hipError_tPvRmT1_PNSt15iterator_traitsISZ_E10value_typeET2_T3_PNS10_IS15_E10value_typeET4_jRbjT5_S1B_jjP12ihipStream_tbEUljE_EEESW_SX_SY_S15_S19_S1B_T6_T7_T9_mT8_S1D_bDpT10_ENKUlT_T0_E_clISt17integral_constantIbLb1EES1Q_EEDaS1L_S1M_EUlS1L_E_NS1_11comp_targetILNS1_3genE3ELNS1_11target_archE908ELNS1_3gpuE7ELNS1_3repE0EEENS1_30default_config_static_selectorELNS0_4arch9wavefront6targetE0EEEvSZ_,comdat
.Lfunc_end1811:
	.size	_ZN7rocprim17ROCPRIM_400000_NS6detail17trampoline_kernelINS0_13select_configILj256ELj13ELNS0_17block_load_methodE3ELS4_3ELS4_3ELNS0_20block_scan_algorithmE0ELj4294967295EEENS1_25partition_config_selectorILNS1_17partition_subalgoE3EjNS0_10empty_typeEbEEZZNS1_14partition_implILS8_3ELb0ES6_jNS0_17counting_iteratorIjlEEPS9_SE_NS0_5tupleIJPjSE_EEENSF_IJSE_SE_EEES9_SG_JZNS1_25segmented_radix_sort_implINS0_14default_configELb0EPK6__halfPSL_PKlPlN2at6native12_GLOBAL__N_18offset_tEEE10hipError_tPvRmT1_PNSt15iterator_traitsISZ_E10value_typeET2_T3_PNS10_IS15_E10value_typeET4_jRbjT5_S1B_jjP12ihipStream_tbEUljE_EEESW_SX_SY_S15_S19_S1B_T6_T7_T9_mT8_S1D_bDpT10_ENKUlT_T0_E_clISt17integral_constantIbLb1EES1Q_EEDaS1L_S1M_EUlS1L_E_NS1_11comp_targetILNS1_3genE3ELNS1_11target_archE908ELNS1_3gpuE7ELNS1_3repE0EEENS1_30default_config_static_selectorELNS0_4arch9wavefront6targetE0EEEvSZ_, .Lfunc_end1811-_ZN7rocprim17ROCPRIM_400000_NS6detail17trampoline_kernelINS0_13select_configILj256ELj13ELNS0_17block_load_methodE3ELS4_3ELS4_3ELNS0_20block_scan_algorithmE0ELj4294967295EEENS1_25partition_config_selectorILNS1_17partition_subalgoE3EjNS0_10empty_typeEbEEZZNS1_14partition_implILS8_3ELb0ES6_jNS0_17counting_iteratorIjlEEPS9_SE_NS0_5tupleIJPjSE_EEENSF_IJSE_SE_EEES9_SG_JZNS1_25segmented_radix_sort_implINS0_14default_configELb0EPK6__halfPSL_PKlPlN2at6native12_GLOBAL__N_18offset_tEEE10hipError_tPvRmT1_PNSt15iterator_traitsISZ_E10value_typeET2_T3_PNS10_IS15_E10value_typeET4_jRbjT5_S1B_jjP12ihipStream_tbEUljE_EEESW_SX_SY_S15_S19_S1B_T6_T7_T9_mT8_S1D_bDpT10_ENKUlT_T0_E_clISt17integral_constantIbLb1EES1Q_EEDaS1L_S1M_EUlS1L_E_NS1_11comp_targetILNS1_3genE3ELNS1_11target_archE908ELNS1_3gpuE7ELNS1_3repE0EEENS1_30default_config_static_selectorELNS0_4arch9wavefront6targetE0EEEvSZ_
                                        ; -- End function
	.set _ZN7rocprim17ROCPRIM_400000_NS6detail17trampoline_kernelINS0_13select_configILj256ELj13ELNS0_17block_load_methodE3ELS4_3ELS4_3ELNS0_20block_scan_algorithmE0ELj4294967295EEENS1_25partition_config_selectorILNS1_17partition_subalgoE3EjNS0_10empty_typeEbEEZZNS1_14partition_implILS8_3ELb0ES6_jNS0_17counting_iteratorIjlEEPS9_SE_NS0_5tupleIJPjSE_EEENSF_IJSE_SE_EEES9_SG_JZNS1_25segmented_radix_sort_implINS0_14default_configELb0EPK6__halfPSL_PKlPlN2at6native12_GLOBAL__N_18offset_tEEE10hipError_tPvRmT1_PNSt15iterator_traitsISZ_E10value_typeET2_T3_PNS10_IS15_E10value_typeET4_jRbjT5_S1B_jjP12ihipStream_tbEUljE_EEESW_SX_SY_S15_S19_S1B_T6_T7_T9_mT8_S1D_bDpT10_ENKUlT_T0_E_clISt17integral_constantIbLb1EES1Q_EEDaS1L_S1M_EUlS1L_E_NS1_11comp_targetILNS1_3genE3ELNS1_11target_archE908ELNS1_3gpuE7ELNS1_3repE0EEENS1_30default_config_static_selectorELNS0_4arch9wavefront6targetE0EEEvSZ_.num_vgpr, 0
	.set _ZN7rocprim17ROCPRIM_400000_NS6detail17trampoline_kernelINS0_13select_configILj256ELj13ELNS0_17block_load_methodE3ELS4_3ELS4_3ELNS0_20block_scan_algorithmE0ELj4294967295EEENS1_25partition_config_selectorILNS1_17partition_subalgoE3EjNS0_10empty_typeEbEEZZNS1_14partition_implILS8_3ELb0ES6_jNS0_17counting_iteratorIjlEEPS9_SE_NS0_5tupleIJPjSE_EEENSF_IJSE_SE_EEES9_SG_JZNS1_25segmented_radix_sort_implINS0_14default_configELb0EPK6__halfPSL_PKlPlN2at6native12_GLOBAL__N_18offset_tEEE10hipError_tPvRmT1_PNSt15iterator_traitsISZ_E10value_typeET2_T3_PNS10_IS15_E10value_typeET4_jRbjT5_S1B_jjP12ihipStream_tbEUljE_EEESW_SX_SY_S15_S19_S1B_T6_T7_T9_mT8_S1D_bDpT10_ENKUlT_T0_E_clISt17integral_constantIbLb1EES1Q_EEDaS1L_S1M_EUlS1L_E_NS1_11comp_targetILNS1_3genE3ELNS1_11target_archE908ELNS1_3gpuE7ELNS1_3repE0EEENS1_30default_config_static_selectorELNS0_4arch9wavefront6targetE0EEEvSZ_.num_agpr, 0
	.set _ZN7rocprim17ROCPRIM_400000_NS6detail17trampoline_kernelINS0_13select_configILj256ELj13ELNS0_17block_load_methodE3ELS4_3ELS4_3ELNS0_20block_scan_algorithmE0ELj4294967295EEENS1_25partition_config_selectorILNS1_17partition_subalgoE3EjNS0_10empty_typeEbEEZZNS1_14partition_implILS8_3ELb0ES6_jNS0_17counting_iteratorIjlEEPS9_SE_NS0_5tupleIJPjSE_EEENSF_IJSE_SE_EEES9_SG_JZNS1_25segmented_radix_sort_implINS0_14default_configELb0EPK6__halfPSL_PKlPlN2at6native12_GLOBAL__N_18offset_tEEE10hipError_tPvRmT1_PNSt15iterator_traitsISZ_E10value_typeET2_T3_PNS10_IS15_E10value_typeET4_jRbjT5_S1B_jjP12ihipStream_tbEUljE_EEESW_SX_SY_S15_S19_S1B_T6_T7_T9_mT8_S1D_bDpT10_ENKUlT_T0_E_clISt17integral_constantIbLb1EES1Q_EEDaS1L_S1M_EUlS1L_E_NS1_11comp_targetILNS1_3genE3ELNS1_11target_archE908ELNS1_3gpuE7ELNS1_3repE0EEENS1_30default_config_static_selectorELNS0_4arch9wavefront6targetE0EEEvSZ_.numbered_sgpr, 0
	.set _ZN7rocprim17ROCPRIM_400000_NS6detail17trampoline_kernelINS0_13select_configILj256ELj13ELNS0_17block_load_methodE3ELS4_3ELS4_3ELNS0_20block_scan_algorithmE0ELj4294967295EEENS1_25partition_config_selectorILNS1_17partition_subalgoE3EjNS0_10empty_typeEbEEZZNS1_14partition_implILS8_3ELb0ES6_jNS0_17counting_iteratorIjlEEPS9_SE_NS0_5tupleIJPjSE_EEENSF_IJSE_SE_EEES9_SG_JZNS1_25segmented_radix_sort_implINS0_14default_configELb0EPK6__halfPSL_PKlPlN2at6native12_GLOBAL__N_18offset_tEEE10hipError_tPvRmT1_PNSt15iterator_traitsISZ_E10value_typeET2_T3_PNS10_IS15_E10value_typeET4_jRbjT5_S1B_jjP12ihipStream_tbEUljE_EEESW_SX_SY_S15_S19_S1B_T6_T7_T9_mT8_S1D_bDpT10_ENKUlT_T0_E_clISt17integral_constantIbLb1EES1Q_EEDaS1L_S1M_EUlS1L_E_NS1_11comp_targetILNS1_3genE3ELNS1_11target_archE908ELNS1_3gpuE7ELNS1_3repE0EEENS1_30default_config_static_selectorELNS0_4arch9wavefront6targetE0EEEvSZ_.num_named_barrier, 0
	.set _ZN7rocprim17ROCPRIM_400000_NS6detail17trampoline_kernelINS0_13select_configILj256ELj13ELNS0_17block_load_methodE3ELS4_3ELS4_3ELNS0_20block_scan_algorithmE0ELj4294967295EEENS1_25partition_config_selectorILNS1_17partition_subalgoE3EjNS0_10empty_typeEbEEZZNS1_14partition_implILS8_3ELb0ES6_jNS0_17counting_iteratorIjlEEPS9_SE_NS0_5tupleIJPjSE_EEENSF_IJSE_SE_EEES9_SG_JZNS1_25segmented_radix_sort_implINS0_14default_configELb0EPK6__halfPSL_PKlPlN2at6native12_GLOBAL__N_18offset_tEEE10hipError_tPvRmT1_PNSt15iterator_traitsISZ_E10value_typeET2_T3_PNS10_IS15_E10value_typeET4_jRbjT5_S1B_jjP12ihipStream_tbEUljE_EEESW_SX_SY_S15_S19_S1B_T6_T7_T9_mT8_S1D_bDpT10_ENKUlT_T0_E_clISt17integral_constantIbLb1EES1Q_EEDaS1L_S1M_EUlS1L_E_NS1_11comp_targetILNS1_3genE3ELNS1_11target_archE908ELNS1_3gpuE7ELNS1_3repE0EEENS1_30default_config_static_selectorELNS0_4arch9wavefront6targetE0EEEvSZ_.private_seg_size, 0
	.set _ZN7rocprim17ROCPRIM_400000_NS6detail17trampoline_kernelINS0_13select_configILj256ELj13ELNS0_17block_load_methodE3ELS4_3ELS4_3ELNS0_20block_scan_algorithmE0ELj4294967295EEENS1_25partition_config_selectorILNS1_17partition_subalgoE3EjNS0_10empty_typeEbEEZZNS1_14partition_implILS8_3ELb0ES6_jNS0_17counting_iteratorIjlEEPS9_SE_NS0_5tupleIJPjSE_EEENSF_IJSE_SE_EEES9_SG_JZNS1_25segmented_radix_sort_implINS0_14default_configELb0EPK6__halfPSL_PKlPlN2at6native12_GLOBAL__N_18offset_tEEE10hipError_tPvRmT1_PNSt15iterator_traitsISZ_E10value_typeET2_T3_PNS10_IS15_E10value_typeET4_jRbjT5_S1B_jjP12ihipStream_tbEUljE_EEESW_SX_SY_S15_S19_S1B_T6_T7_T9_mT8_S1D_bDpT10_ENKUlT_T0_E_clISt17integral_constantIbLb1EES1Q_EEDaS1L_S1M_EUlS1L_E_NS1_11comp_targetILNS1_3genE3ELNS1_11target_archE908ELNS1_3gpuE7ELNS1_3repE0EEENS1_30default_config_static_selectorELNS0_4arch9wavefront6targetE0EEEvSZ_.uses_vcc, 0
	.set _ZN7rocprim17ROCPRIM_400000_NS6detail17trampoline_kernelINS0_13select_configILj256ELj13ELNS0_17block_load_methodE3ELS4_3ELS4_3ELNS0_20block_scan_algorithmE0ELj4294967295EEENS1_25partition_config_selectorILNS1_17partition_subalgoE3EjNS0_10empty_typeEbEEZZNS1_14partition_implILS8_3ELb0ES6_jNS0_17counting_iteratorIjlEEPS9_SE_NS0_5tupleIJPjSE_EEENSF_IJSE_SE_EEES9_SG_JZNS1_25segmented_radix_sort_implINS0_14default_configELb0EPK6__halfPSL_PKlPlN2at6native12_GLOBAL__N_18offset_tEEE10hipError_tPvRmT1_PNSt15iterator_traitsISZ_E10value_typeET2_T3_PNS10_IS15_E10value_typeET4_jRbjT5_S1B_jjP12ihipStream_tbEUljE_EEESW_SX_SY_S15_S19_S1B_T6_T7_T9_mT8_S1D_bDpT10_ENKUlT_T0_E_clISt17integral_constantIbLb1EES1Q_EEDaS1L_S1M_EUlS1L_E_NS1_11comp_targetILNS1_3genE3ELNS1_11target_archE908ELNS1_3gpuE7ELNS1_3repE0EEENS1_30default_config_static_selectorELNS0_4arch9wavefront6targetE0EEEvSZ_.uses_flat_scratch, 0
	.set _ZN7rocprim17ROCPRIM_400000_NS6detail17trampoline_kernelINS0_13select_configILj256ELj13ELNS0_17block_load_methodE3ELS4_3ELS4_3ELNS0_20block_scan_algorithmE0ELj4294967295EEENS1_25partition_config_selectorILNS1_17partition_subalgoE3EjNS0_10empty_typeEbEEZZNS1_14partition_implILS8_3ELb0ES6_jNS0_17counting_iteratorIjlEEPS9_SE_NS0_5tupleIJPjSE_EEENSF_IJSE_SE_EEES9_SG_JZNS1_25segmented_radix_sort_implINS0_14default_configELb0EPK6__halfPSL_PKlPlN2at6native12_GLOBAL__N_18offset_tEEE10hipError_tPvRmT1_PNSt15iterator_traitsISZ_E10value_typeET2_T3_PNS10_IS15_E10value_typeET4_jRbjT5_S1B_jjP12ihipStream_tbEUljE_EEESW_SX_SY_S15_S19_S1B_T6_T7_T9_mT8_S1D_bDpT10_ENKUlT_T0_E_clISt17integral_constantIbLb1EES1Q_EEDaS1L_S1M_EUlS1L_E_NS1_11comp_targetILNS1_3genE3ELNS1_11target_archE908ELNS1_3gpuE7ELNS1_3repE0EEENS1_30default_config_static_selectorELNS0_4arch9wavefront6targetE0EEEvSZ_.has_dyn_sized_stack, 0
	.set _ZN7rocprim17ROCPRIM_400000_NS6detail17trampoline_kernelINS0_13select_configILj256ELj13ELNS0_17block_load_methodE3ELS4_3ELS4_3ELNS0_20block_scan_algorithmE0ELj4294967295EEENS1_25partition_config_selectorILNS1_17partition_subalgoE3EjNS0_10empty_typeEbEEZZNS1_14partition_implILS8_3ELb0ES6_jNS0_17counting_iteratorIjlEEPS9_SE_NS0_5tupleIJPjSE_EEENSF_IJSE_SE_EEES9_SG_JZNS1_25segmented_radix_sort_implINS0_14default_configELb0EPK6__halfPSL_PKlPlN2at6native12_GLOBAL__N_18offset_tEEE10hipError_tPvRmT1_PNSt15iterator_traitsISZ_E10value_typeET2_T3_PNS10_IS15_E10value_typeET4_jRbjT5_S1B_jjP12ihipStream_tbEUljE_EEESW_SX_SY_S15_S19_S1B_T6_T7_T9_mT8_S1D_bDpT10_ENKUlT_T0_E_clISt17integral_constantIbLb1EES1Q_EEDaS1L_S1M_EUlS1L_E_NS1_11comp_targetILNS1_3genE3ELNS1_11target_archE908ELNS1_3gpuE7ELNS1_3repE0EEENS1_30default_config_static_selectorELNS0_4arch9wavefront6targetE0EEEvSZ_.has_recursion, 0
	.set _ZN7rocprim17ROCPRIM_400000_NS6detail17trampoline_kernelINS0_13select_configILj256ELj13ELNS0_17block_load_methodE3ELS4_3ELS4_3ELNS0_20block_scan_algorithmE0ELj4294967295EEENS1_25partition_config_selectorILNS1_17partition_subalgoE3EjNS0_10empty_typeEbEEZZNS1_14partition_implILS8_3ELb0ES6_jNS0_17counting_iteratorIjlEEPS9_SE_NS0_5tupleIJPjSE_EEENSF_IJSE_SE_EEES9_SG_JZNS1_25segmented_radix_sort_implINS0_14default_configELb0EPK6__halfPSL_PKlPlN2at6native12_GLOBAL__N_18offset_tEEE10hipError_tPvRmT1_PNSt15iterator_traitsISZ_E10value_typeET2_T3_PNS10_IS15_E10value_typeET4_jRbjT5_S1B_jjP12ihipStream_tbEUljE_EEESW_SX_SY_S15_S19_S1B_T6_T7_T9_mT8_S1D_bDpT10_ENKUlT_T0_E_clISt17integral_constantIbLb1EES1Q_EEDaS1L_S1M_EUlS1L_E_NS1_11comp_targetILNS1_3genE3ELNS1_11target_archE908ELNS1_3gpuE7ELNS1_3repE0EEENS1_30default_config_static_selectorELNS0_4arch9wavefront6targetE0EEEvSZ_.has_indirect_call, 0
	.section	.AMDGPU.csdata,"",@progbits
; Kernel info:
; codeLenInByte = 0
; TotalNumSgprs: 0
; NumVgprs: 0
; ScratchSize: 0
; MemoryBound: 0
; FloatMode: 240
; IeeeMode: 1
; LDSByteSize: 0 bytes/workgroup (compile time only)
; SGPRBlocks: 0
; VGPRBlocks: 0
; NumSGPRsForWavesPerEU: 1
; NumVGPRsForWavesPerEU: 1
; Occupancy: 16
; WaveLimiterHint : 0
; COMPUTE_PGM_RSRC2:SCRATCH_EN: 0
; COMPUTE_PGM_RSRC2:USER_SGPR: 6
; COMPUTE_PGM_RSRC2:TRAP_HANDLER: 0
; COMPUTE_PGM_RSRC2:TGID_X_EN: 1
; COMPUTE_PGM_RSRC2:TGID_Y_EN: 0
; COMPUTE_PGM_RSRC2:TGID_Z_EN: 0
; COMPUTE_PGM_RSRC2:TIDIG_COMP_CNT: 0
	.section	.text._ZN7rocprim17ROCPRIM_400000_NS6detail17trampoline_kernelINS0_13select_configILj256ELj13ELNS0_17block_load_methodE3ELS4_3ELS4_3ELNS0_20block_scan_algorithmE0ELj4294967295EEENS1_25partition_config_selectorILNS1_17partition_subalgoE3EjNS0_10empty_typeEbEEZZNS1_14partition_implILS8_3ELb0ES6_jNS0_17counting_iteratorIjlEEPS9_SE_NS0_5tupleIJPjSE_EEENSF_IJSE_SE_EEES9_SG_JZNS1_25segmented_radix_sort_implINS0_14default_configELb0EPK6__halfPSL_PKlPlN2at6native12_GLOBAL__N_18offset_tEEE10hipError_tPvRmT1_PNSt15iterator_traitsISZ_E10value_typeET2_T3_PNS10_IS15_E10value_typeET4_jRbjT5_S1B_jjP12ihipStream_tbEUljE_EEESW_SX_SY_S15_S19_S1B_T6_T7_T9_mT8_S1D_bDpT10_ENKUlT_T0_E_clISt17integral_constantIbLb1EES1Q_EEDaS1L_S1M_EUlS1L_E_NS1_11comp_targetILNS1_3genE2ELNS1_11target_archE906ELNS1_3gpuE6ELNS1_3repE0EEENS1_30default_config_static_selectorELNS0_4arch9wavefront6targetE0EEEvSZ_,"axG",@progbits,_ZN7rocprim17ROCPRIM_400000_NS6detail17trampoline_kernelINS0_13select_configILj256ELj13ELNS0_17block_load_methodE3ELS4_3ELS4_3ELNS0_20block_scan_algorithmE0ELj4294967295EEENS1_25partition_config_selectorILNS1_17partition_subalgoE3EjNS0_10empty_typeEbEEZZNS1_14partition_implILS8_3ELb0ES6_jNS0_17counting_iteratorIjlEEPS9_SE_NS0_5tupleIJPjSE_EEENSF_IJSE_SE_EEES9_SG_JZNS1_25segmented_radix_sort_implINS0_14default_configELb0EPK6__halfPSL_PKlPlN2at6native12_GLOBAL__N_18offset_tEEE10hipError_tPvRmT1_PNSt15iterator_traitsISZ_E10value_typeET2_T3_PNS10_IS15_E10value_typeET4_jRbjT5_S1B_jjP12ihipStream_tbEUljE_EEESW_SX_SY_S15_S19_S1B_T6_T7_T9_mT8_S1D_bDpT10_ENKUlT_T0_E_clISt17integral_constantIbLb1EES1Q_EEDaS1L_S1M_EUlS1L_E_NS1_11comp_targetILNS1_3genE2ELNS1_11target_archE906ELNS1_3gpuE6ELNS1_3repE0EEENS1_30default_config_static_selectorELNS0_4arch9wavefront6targetE0EEEvSZ_,comdat
	.globl	_ZN7rocprim17ROCPRIM_400000_NS6detail17trampoline_kernelINS0_13select_configILj256ELj13ELNS0_17block_load_methodE3ELS4_3ELS4_3ELNS0_20block_scan_algorithmE0ELj4294967295EEENS1_25partition_config_selectorILNS1_17partition_subalgoE3EjNS0_10empty_typeEbEEZZNS1_14partition_implILS8_3ELb0ES6_jNS0_17counting_iteratorIjlEEPS9_SE_NS0_5tupleIJPjSE_EEENSF_IJSE_SE_EEES9_SG_JZNS1_25segmented_radix_sort_implINS0_14default_configELb0EPK6__halfPSL_PKlPlN2at6native12_GLOBAL__N_18offset_tEEE10hipError_tPvRmT1_PNSt15iterator_traitsISZ_E10value_typeET2_T3_PNS10_IS15_E10value_typeET4_jRbjT5_S1B_jjP12ihipStream_tbEUljE_EEESW_SX_SY_S15_S19_S1B_T6_T7_T9_mT8_S1D_bDpT10_ENKUlT_T0_E_clISt17integral_constantIbLb1EES1Q_EEDaS1L_S1M_EUlS1L_E_NS1_11comp_targetILNS1_3genE2ELNS1_11target_archE906ELNS1_3gpuE6ELNS1_3repE0EEENS1_30default_config_static_selectorELNS0_4arch9wavefront6targetE0EEEvSZ_ ; -- Begin function _ZN7rocprim17ROCPRIM_400000_NS6detail17trampoline_kernelINS0_13select_configILj256ELj13ELNS0_17block_load_methodE3ELS4_3ELS4_3ELNS0_20block_scan_algorithmE0ELj4294967295EEENS1_25partition_config_selectorILNS1_17partition_subalgoE3EjNS0_10empty_typeEbEEZZNS1_14partition_implILS8_3ELb0ES6_jNS0_17counting_iteratorIjlEEPS9_SE_NS0_5tupleIJPjSE_EEENSF_IJSE_SE_EEES9_SG_JZNS1_25segmented_radix_sort_implINS0_14default_configELb0EPK6__halfPSL_PKlPlN2at6native12_GLOBAL__N_18offset_tEEE10hipError_tPvRmT1_PNSt15iterator_traitsISZ_E10value_typeET2_T3_PNS10_IS15_E10value_typeET4_jRbjT5_S1B_jjP12ihipStream_tbEUljE_EEESW_SX_SY_S15_S19_S1B_T6_T7_T9_mT8_S1D_bDpT10_ENKUlT_T0_E_clISt17integral_constantIbLb1EES1Q_EEDaS1L_S1M_EUlS1L_E_NS1_11comp_targetILNS1_3genE2ELNS1_11target_archE906ELNS1_3gpuE6ELNS1_3repE0EEENS1_30default_config_static_selectorELNS0_4arch9wavefront6targetE0EEEvSZ_
	.p2align	8
	.type	_ZN7rocprim17ROCPRIM_400000_NS6detail17trampoline_kernelINS0_13select_configILj256ELj13ELNS0_17block_load_methodE3ELS4_3ELS4_3ELNS0_20block_scan_algorithmE0ELj4294967295EEENS1_25partition_config_selectorILNS1_17partition_subalgoE3EjNS0_10empty_typeEbEEZZNS1_14partition_implILS8_3ELb0ES6_jNS0_17counting_iteratorIjlEEPS9_SE_NS0_5tupleIJPjSE_EEENSF_IJSE_SE_EEES9_SG_JZNS1_25segmented_radix_sort_implINS0_14default_configELb0EPK6__halfPSL_PKlPlN2at6native12_GLOBAL__N_18offset_tEEE10hipError_tPvRmT1_PNSt15iterator_traitsISZ_E10value_typeET2_T3_PNS10_IS15_E10value_typeET4_jRbjT5_S1B_jjP12ihipStream_tbEUljE_EEESW_SX_SY_S15_S19_S1B_T6_T7_T9_mT8_S1D_bDpT10_ENKUlT_T0_E_clISt17integral_constantIbLb1EES1Q_EEDaS1L_S1M_EUlS1L_E_NS1_11comp_targetILNS1_3genE2ELNS1_11target_archE906ELNS1_3gpuE6ELNS1_3repE0EEENS1_30default_config_static_selectorELNS0_4arch9wavefront6targetE0EEEvSZ_,@function
_ZN7rocprim17ROCPRIM_400000_NS6detail17trampoline_kernelINS0_13select_configILj256ELj13ELNS0_17block_load_methodE3ELS4_3ELS4_3ELNS0_20block_scan_algorithmE0ELj4294967295EEENS1_25partition_config_selectorILNS1_17partition_subalgoE3EjNS0_10empty_typeEbEEZZNS1_14partition_implILS8_3ELb0ES6_jNS0_17counting_iteratorIjlEEPS9_SE_NS0_5tupleIJPjSE_EEENSF_IJSE_SE_EEES9_SG_JZNS1_25segmented_radix_sort_implINS0_14default_configELb0EPK6__halfPSL_PKlPlN2at6native12_GLOBAL__N_18offset_tEEE10hipError_tPvRmT1_PNSt15iterator_traitsISZ_E10value_typeET2_T3_PNS10_IS15_E10value_typeET4_jRbjT5_S1B_jjP12ihipStream_tbEUljE_EEESW_SX_SY_S15_S19_S1B_T6_T7_T9_mT8_S1D_bDpT10_ENKUlT_T0_E_clISt17integral_constantIbLb1EES1Q_EEDaS1L_S1M_EUlS1L_E_NS1_11comp_targetILNS1_3genE2ELNS1_11target_archE906ELNS1_3gpuE6ELNS1_3repE0EEENS1_30default_config_static_selectorELNS0_4arch9wavefront6targetE0EEEvSZ_: ; @_ZN7rocprim17ROCPRIM_400000_NS6detail17trampoline_kernelINS0_13select_configILj256ELj13ELNS0_17block_load_methodE3ELS4_3ELS4_3ELNS0_20block_scan_algorithmE0ELj4294967295EEENS1_25partition_config_selectorILNS1_17partition_subalgoE3EjNS0_10empty_typeEbEEZZNS1_14partition_implILS8_3ELb0ES6_jNS0_17counting_iteratorIjlEEPS9_SE_NS0_5tupleIJPjSE_EEENSF_IJSE_SE_EEES9_SG_JZNS1_25segmented_radix_sort_implINS0_14default_configELb0EPK6__halfPSL_PKlPlN2at6native12_GLOBAL__N_18offset_tEEE10hipError_tPvRmT1_PNSt15iterator_traitsISZ_E10value_typeET2_T3_PNS10_IS15_E10value_typeET4_jRbjT5_S1B_jjP12ihipStream_tbEUljE_EEESW_SX_SY_S15_S19_S1B_T6_T7_T9_mT8_S1D_bDpT10_ENKUlT_T0_E_clISt17integral_constantIbLb1EES1Q_EEDaS1L_S1M_EUlS1L_E_NS1_11comp_targetILNS1_3genE2ELNS1_11target_archE906ELNS1_3gpuE6ELNS1_3repE0EEENS1_30default_config_static_selectorELNS0_4arch9wavefront6targetE0EEEvSZ_
; %bb.0:
	.section	.rodata,"a",@progbits
	.p2align	6, 0x0
	.amdhsa_kernel _ZN7rocprim17ROCPRIM_400000_NS6detail17trampoline_kernelINS0_13select_configILj256ELj13ELNS0_17block_load_methodE3ELS4_3ELS4_3ELNS0_20block_scan_algorithmE0ELj4294967295EEENS1_25partition_config_selectorILNS1_17partition_subalgoE3EjNS0_10empty_typeEbEEZZNS1_14partition_implILS8_3ELb0ES6_jNS0_17counting_iteratorIjlEEPS9_SE_NS0_5tupleIJPjSE_EEENSF_IJSE_SE_EEES9_SG_JZNS1_25segmented_radix_sort_implINS0_14default_configELb0EPK6__halfPSL_PKlPlN2at6native12_GLOBAL__N_18offset_tEEE10hipError_tPvRmT1_PNSt15iterator_traitsISZ_E10value_typeET2_T3_PNS10_IS15_E10value_typeET4_jRbjT5_S1B_jjP12ihipStream_tbEUljE_EEESW_SX_SY_S15_S19_S1B_T6_T7_T9_mT8_S1D_bDpT10_ENKUlT_T0_E_clISt17integral_constantIbLb1EES1Q_EEDaS1L_S1M_EUlS1L_E_NS1_11comp_targetILNS1_3genE2ELNS1_11target_archE906ELNS1_3gpuE6ELNS1_3repE0EEENS1_30default_config_static_selectorELNS0_4arch9wavefront6targetE0EEEvSZ_
		.amdhsa_group_segment_fixed_size 0
		.amdhsa_private_segment_fixed_size 0
		.amdhsa_kernarg_size 152
		.amdhsa_user_sgpr_count 6
		.amdhsa_user_sgpr_private_segment_buffer 1
		.amdhsa_user_sgpr_dispatch_ptr 0
		.amdhsa_user_sgpr_queue_ptr 0
		.amdhsa_user_sgpr_kernarg_segment_ptr 1
		.amdhsa_user_sgpr_dispatch_id 0
		.amdhsa_user_sgpr_flat_scratch_init 0
		.amdhsa_user_sgpr_private_segment_size 0
		.amdhsa_wavefront_size32 1
		.amdhsa_uses_dynamic_stack 0
		.amdhsa_system_sgpr_private_segment_wavefront_offset 0
		.amdhsa_system_sgpr_workgroup_id_x 1
		.amdhsa_system_sgpr_workgroup_id_y 0
		.amdhsa_system_sgpr_workgroup_id_z 0
		.amdhsa_system_sgpr_workgroup_info 0
		.amdhsa_system_vgpr_workitem_id 0
		.amdhsa_next_free_vgpr 1
		.amdhsa_next_free_sgpr 1
		.amdhsa_reserve_vcc 0
		.amdhsa_reserve_flat_scratch 0
		.amdhsa_float_round_mode_32 0
		.amdhsa_float_round_mode_16_64 0
		.amdhsa_float_denorm_mode_32 3
		.amdhsa_float_denorm_mode_16_64 3
		.amdhsa_dx10_clamp 1
		.amdhsa_ieee_mode 1
		.amdhsa_fp16_overflow 0
		.amdhsa_workgroup_processor_mode 1
		.amdhsa_memory_ordered 1
		.amdhsa_forward_progress 1
		.amdhsa_shared_vgpr_count 0
		.amdhsa_exception_fp_ieee_invalid_op 0
		.amdhsa_exception_fp_denorm_src 0
		.amdhsa_exception_fp_ieee_div_zero 0
		.amdhsa_exception_fp_ieee_overflow 0
		.amdhsa_exception_fp_ieee_underflow 0
		.amdhsa_exception_fp_ieee_inexact 0
		.amdhsa_exception_int_div_zero 0
	.end_amdhsa_kernel
	.section	.text._ZN7rocprim17ROCPRIM_400000_NS6detail17trampoline_kernelINS0_13select_configILj256ELj13ELNS0_17block_load_methodE3ELS4_3ELS4_3ELNS0_20block_scan_algorithmE0ELj4294967295EEENS1_25partition_config_selectorILNS1_17partition_subalgoE3EjNS0_10empty_typeEbEEZZNS1_14partition_implILS8_3ELb0ES6_jNS0_17counting_iteratorIjlEEPS9_SE_NS0_5tupleIJPjSE_EEENSF_IJSE_SE_EEES9_SG_JZNS1_25segmented_radix_sort_implINS0_14default_configELb0EPK6__halfPSL_PKlPlN2at6native12_GLOBAL__N_18offset_tEEE10hipError_tPvRmT1_PNSt15iterator_traitsISZ_E10value_typeET2_T3_PNS10_IS15_E10value_typeET4_jRbjT5_S1B_jjP12ihipStream_tbEUljE_EEESW_SX_SY_S15_S19_S1B_T6_T7_T9_mT8_S1D_bDpT10_ENKUlT_T0_E_clISt17integral_constantIbLb1EES1Q_EEDaS1L_S1M_EUlS1L_E_NS1_11comp_targetILNS1_3genE2ELNS1_11target_archE906ELNS1_3gpuE6ELNS1_3repE0EEENS1_30default_config_static_selectorELNS0_4arch9wavefront6targetE0EEEvSZ_,"axG",@progbits,_ZN7rocprim17ROCPRIM_400000_NS6detail17trampoline_kernelINS0_13select_configILj256ELj13ELNS0_17block_load_methodE3ELS4_3ELS4_3ELNS0_20block_scan_algorithmE0ELj4294967295EEENS1_25partition_config_selectorILNS1_17partition_subalgoE3EjNS0_10empty_typeEbEEZZNS1_14partition_implILS8_3ELb0ES6_jNS0_17counting_iteratorIjlEEPS9_SE_NS0_5tupleIJPjSE_EEENSF_IJSE_SE_EEES9_SG_JZNS1_25segmented_radix_sort_implINS0_14default_configELb0EPK6__halfPSL_PKlPlN2at6native12_GLOBAL__N_18offset_tEEE10hipError_tPvRmT1_PNSt15iterator_traitsISZ_E10value_typeET2_T3_PNS10_IS15_E10value_typeET4_jRbjT5_S1B_jjP12ihipStream_tbEUljE_EEESW_SX_SY_S15_S19_S1B_T6_T7_T9_mT8_S1D_bDpT10_ENKUlT_T0_E_clISt17integral_constantIbLb1EES1Q_EEDaS1L_S1M_EUlS1L_E_NS1_11comp_targetILNS1_3genE2ELNS1_11target_archE906ELNS1_3gpuE6ELNS1_3repE0EEENS1_30default_config_static_selectorELNS0_4arch9wavefront6targetE0EEEvSZ_,comdat
.Lfunc_end1812:
	.size	_ZN7rocprim17ROCPRIM_400000_NS6detail17trampoline_kernelINS0_13select_configILj256ELj13ELNS0_17block_load_methodE3ELS4_3ELS4_3ELNS0_20block_scan_algorithmE0ELj4294967295EEENS1_25partition_config_selectorILNS1_17partition_subalgoE3EjNS0_10empty_typeEbEEZZNS1_14partition_implILS8_3ELb0ES6_jNS0_17counting_iteratorIjlEEPS9_SE_NS0_5tupleIJPjSE_EEENSF_IJSE_SE_EEES9_SG_JZNS1_25segmented_radix_sort_implINS0_14default_configELb0EPK6__halfPSL_PKlPlN2at6native12_GLOBAL__N_18offset_tEEE10hipError_tPvRmT1_PNSt15iterator_traitsISZ_E10value_typeET2_T3_PNS10_IS15_E10value_typeET4_jRbjT5_S1B_jjP12ihipStream_tbEUljE_EEESW_SX_SY_S15_S19_S1B_T6_T7_T9_mT8_S1D_bDpT10_ENKUlT_T0_E_clISt17integral_constantIbLb1EES1Q_EEDaS1L_S1M_EUlS1L_E_NS1_11comp_targetILNS1_3genE2ELNS1_11target_archE906ELNS1_3gpuE6ELNS1_3repE0EEENS1_30default_config_static_selectorELNS0_4arch9wavefront6targetE0EEEvSZ_, .Lfunc_end1812-_ZN7rocprim17ROCPRIM_400000_NS6detail17trampoline_kernelINS0_13select_configILj256ELj13ELNS0_17block_load_methodE3ELS4_3ELS4_3ELNS0_20block_scan_algorithmE0ELj4294967295EEENS1_25partition_config_selectorILNS1_17partition_subalgoE3EjNS0_10empty_typeEbEEZZNS1_14partition_implILS8_3ELb0ES6_jNS0_17counting_iteratorIjlEEPS9_SE_NS0_5tupleIJPjSE_EEENSF_IJSE_SE_EEES9_SG_JZNS1_25segmented_radix_sort_implINS0_14default_configELb0EPK6__halfPSL_PKlPlN2at6native12_GLOBAL__N_18offset_tEEE10hipError_tPvRmT1_PNSt15iterator_traitsISZ_E10value_typeET2_T3_PNS10_IS15_E10value_typeET4_jRbjT5_S1B_jjP12ihipStream_tbEUljE_EEESW_SX_SY_S15_S19_S1B_T6_T7_T9_mT8_S1D_bDpT10_ENKUlT_T0_E_clISt17integral_constantIbLb1EES1Q_EEDaS1L_S1M_EUlS1L_E_NS1_11comp_targetILNS1_3genE2ELNS1_11target_archE906ELNS1_3gpuE6ELNS1_3repE0EEENS1_30default_config_static_selectorELNS0_4arch9wavefront6targetE0EEEvSZ_
                                        ; -- End function
	.set _ZN7rocprim17ROCPRIM_400000_NS6detail17trampoline_kernelINS0_13select_configILj256ELj13ELNS0_17block_load_methodE3ELS4_3ELS4_3ELNS0_20block_scan_algorithmE0ELj4294967295EEENS1_25partition_config_selectorILNS1_17partition_subalgoE3EjNS0_10empty_typeEbEEZZNS1_14partition_implILS8_3ELb0ES6_jNS0_17counting_iteratorIjlEEPS9_SE_NS0_5tupleIJPjSE_EEENSF_IJSE_SE_EEES9_SG_JZNS1_25segmented_radix_sort_implINS0_14default_configELb0EPK6__halfPSL_PKlPlN2at6native12_GLOBAL__N_18offset_tEEE10hipError_tPvRmT1_PNSt15iterator_traitsISZ_E10value_typeET2_T3_PNS10_IS15_E10value_typeET4_jRbjT5_S1B_jjP12ihipStream_tbEUljE_EEESW_SX_SY_S15_S19_S1B_T6_T7_T9_mT8_S1D_bDpT10_ENKUlT_T0_E_clISt17integral_constantIbLb1EES1Q_EEDaS1L_S1M_EUlS1L_E_NS1_11comp_targetILNS1_3genE2ELNS1_11target_archE906ELNS1_3gpuE6ELNS1_3repE0EEENS1_30default_config_static_selectorELNS0_4arch9wavefront6targetE0EEEvSZ_.num_vgpr, 0
	.set _ZN7rocprim17ROCPRIM_400000_NS6detail17trampoline_kernelINS0_13select_configILj256ELj13ELNS0_17block_load_methodE3ELS4_3ELS4_3ELNS0_20block_scan_algorithmE0ELj4294967295EEENS1_25partition_config_selectorILNS1_17partition_subalgoE3EjNS0_10empty_typeEbEEZZNS1_14partition_implILS8_3ELb0ES6_jNS0_17counting_iteratorIjlEEPS9_SE_NS0_5tupleIJPjSE_EEENSF_IJSE_SE_EEES9_SG_JZNS1_25segmented_radix_sort_implINS0_14default_configELb0EPK6__halfPSL_PKlPlN2at6native12_GLOBAL__N_18offset_tEEE10hipError_tPvRmT1_PNSt15iterator_traitsISZ_E10value_typeET2_T3_PNS10_IS15_E10value_typeET4_jRbjT5_S1B_jjP12ihipStream_tbEUljE_EEESW_SX_SY_S15_S19_S1B_T6_T7_T9_mT8_S1D_bDpT10_ENKUlT_T0_E_clISt17integral_constantIbLb1EES1Q_EEDaS1L_S1M_EUlS1L_E_NS1_11comp_targetILNS1_3genE2ELNS1_11target_archE906ELNS1_3gpuE6ELNS1_3repE0EEENS1_30default_config_static_selectorELNS0_4arch9wavefront6targetE0EEEvSZ_.num_agpr, 0
	.set _ZN7rocprim17ROCPRIM_400000_NS6detail17trampoline_kernelINS0_13select_configILj256ELj13ELNS0_17block_load_methodE3ELS4_3ELS4_3ELNS0_20block_scan_algorithmE0ELj4294967295EEENS1_25partition_config_selectorILNS1_17partition_subalgoE3EjNS0_10empty_typeEbEEZZNS1_14partition_implILS8_3ELb0ES6_jNS0_17counting_iteratorIjlEEPS9_SE_NS0_5tupleIJPjSE_EEENSF_IJSE_SE_EEES9_SG_JZNS1_25segmented_radix_sort_implINS0_14default_configELb0EPK6__halfPSL_PKlPlN2at6native12_GLOBAL__N_18offset_tEEE10hipError_tPvRmT1_PNSt15iterator_traitsISZ_E10value_typeET2_T3_PNS10_IS15_E10value_typeET4_jRbjT5_S1B_jjP12ihipStream_tbEUljE_EEESW_SX_SY_S15_S19_S1B_T6_T7_T9_mT8_S1D_bDpT10_ENKUlT_T0_E_clISt17integral_constantIbLb1EES1Q_EEDaS1L_S1M_EUlS1L_E_NS1_11comp_targetILNS1_3genE2ELNS1_11target_archE906ELNS1_3gpuE6ELNS1_3repE0EEENS1_30default_config_static_selectorELNS0_4arch9wavefront6targetE0EEEvSZ_.numbered_sgpr, 0
	.set _ZN7rocprim17ROCPRIM_400000_NS6detail17trampoline_kernelINS0_13select_configILj256ELj13ELNS0_17block_load_methodE3ELS4_3ELS4_3ELNS0_20block_scan_algorithmE0ELj4294967295EEENS1_25partition_config_selectorILNS1_17partition_subalgoE3EjNS0_10empty_typeEbEEZZNS1_14partition_implILS8_3ELb0ES6_jNS0_17counting_iteratorIjlEEPS9_SE_NS0_5tupleIJPjSE_EEENSF_IJSE_SE_EEES9_SG_JZNS1_25segmented_radix_sort_implINS0_14default_configELb0EPK6__halfPSL_PKlPlN2at6native12_GLOBAL__N_18offset_tEEE10hipError_tPvRmT1_PNSt15iterator_traitsISZ_E10value_typeET2_T3_PNS10_IS15_E10value_typeET4_jRbjT5_S1B_jjP12ihipStream_tbEUljE_EEESW_SX_SY_S15_S19_S1B_T6_T7_T9_mT8_S1D_bDpT10_ENKUlT_T0_E_clISt17integral_constantIbLb1EES1Q_EEDaS1L_S1M_EUlS1L_E_NS1_11comp_targetILNS1_3genE2ELNS1_11target_archE906ELNS1_3gpuE6ELNS1_3repE0EEENS1_30default_config_static_selectorELNS0_4arch9wavefront6targetE0EEEvSZ_.num_named_barrier, 0
	.set _ZN7rocprim17ROCPRIM_400000_NS6detail17trampoline_kernelINS0_13select_configILj256ELj13ELNS0_17block_load_methodE3ELS4_3ELS4_3ELNS0_20block_scan_algorithmE0ELj4294967295EEENS1_25partition_config_selectorILNS1_17partition_subalgoE3EjNS0_10empty_typeEbEEZZNS1_14partition_implILS8_3ELb0ES6_jNS0_17counting_iteratorIjlEEPS9_SE_NS0_5tupleIJPjSE_EEENSF_IJSE_SE_EEES9_SG_JZNS1_25segmented_radix_sort_implINS0_14default_configELb0EPK6__halfPSL_PKlPlN2at6native12_GLOBAL__N_18offset_tEEE10hipError_tPvRmT1_PNSt15iterator_traitsISZ_E10value_typeET2_T3_PNS10_IS15_E10value_typeET4_jRbjT5_S1B_jjP12ihipStream_tbEUljE_EEESW_SX_SY_S15_S19_S1B_T6_T7_T9_mT8_S1D_bDpT10_ENKUlT_T0_E_clISt17integral_constantIbLb1EES1Q_EEDaS1L_S1M_EUlS1L_E_NS1_11comp_targetILNS1_3genE2ELNS1_11target_archE906ELNS1_3gpuE6ELNS1_3repE0EEENS1_30default_config_static_selectorELNS0_4arch9wavefront6targetE0EEEvSZ_.private_seg_size, 0
	.set _ZN7rocprim17ROCPRIM_400000_NS6detail17trampoline_kernelINS0_13select_configILj256ELj13ELNS0_17block_load_methodE3ELS4_3ELS4_3ELNS0_20block_scan_algorithmE0ELj4294967295EEENS1_25partition_config_selectorILNS1_17partition_subalgoE3EjNS0_10empty_typeEbEEZZNS1_14partition_implILS8_3ELb0ES6_jNS0_17counting_iteratorIjlEEPS9_SE_NS0_5tupleIJPjSE_EEENSF_IJSE_SE_EEES9_SG_JZNS1_25segmented_radix_sort_implINS0_14default_configELb0EPK6__halfPSL_PKlPlN2at6native12_GLOBAL__N_18offset_tEEE10hipError_tPvRmT1_PNSt15iterator_traitsISZ_E10value_typeET2_T3_PNS10_IS15_E10value_typeET4_jRbjT5_S1B_jjP12ihipStream_tbEUljE_EEESW_SX_SY_S15_S19_S1B_T6_T7_T9_mT8_S1D_bDpT10_ENKUlT_T0_E_clISt17integral_constantIbLb1EES1Q_EEDaS1L_S1M_EUlS1L_E_NS1_11comp_targetILNS1_3genE2ELNS1_11target_archE906ELNS1_3gpuE6ELNS1_3repE0EEENS1_30default_config_static_selectorELNS0_4arch9wavefront6targetE0EEEvSZ_.uses_vcc, 0
	.set _ZN7rocprim17ROCPRIM_400000_NS6detail17trampoline_kernelINS0_13select_configILj256ELj13ELNS0_17block_load_methodE3ELS4_3ELS4_3ELNS0_20block_scan_algorithmE0ELj4294967295EEENS1_25partition_config_selectorILNS1_17partition_subalgoE3EjNS0_10empty_typeEbEEZZNS1_14partition_implILS8_3ELb0ES6_jNS0_17counting_iteratorIjlEEPS9_SE_NS0_5tupleIJPjSE_EEENSF_IJSE_SE_EEES9_SG_JZNS1_25segmented_radix_sort_implINS0_14default_configELb0EPK6__halfPSL_PKlPlN2at6native12_GLOBAL__N_18offset_tEEE10hipError_tPvRmT1_PNSt15iterator_traitsISZ_E10value_typeET2_T3_PNS10_IS15_E10value_typeET4_jRbjT5_S1B_jjP12ihipStream_tbEUljE_EEESW_SX_SY_S15_S19_S1B_T6_T7_T9_mT8_S1D_bDpT10_ENKUlT_T0_E_clISt17integral_constantIbLb1EES1Q_EEDaS1L_S1M_EUlS1L_E_NS1_11comp_targetILNS1_3genE2ELNS1_11target_archE906ELNS1_3gpuE6ELNS1_3repE0EEENS1_30default_config_static_selectorELNS0_4arch9wavefront6targetE0EEEvSZ_.uses_flat_scratch, 0
	.set _ZN7rocprim17ROCPRIM_400000_NS6detail17trampoline_kernelINS0_13select_configILj256ELj13ELNS0_17block_load_methodE3ELS4_3ELS4_3ELNS0_20block_scan_algorithmE0ELj4294967295EEENS1_25partition_config_selectorILNS1_17partition_subalgoE3EjNS0_10empty_typeEbEEZZNS1_14partition_implILS8_3ELb0ES6_jNS0_17counting_iteratorIjlEEPS9_SE_NS0_5tupleIJPjSE_EEENSF_IJSE_SE_EEES9_SG_JZNS1_25segmented_radix_sort_implINS0_14default_configELb0EPK6__halfPSL_PKlPlN2at6native12_GLOBAL__N_18offset_tEEE10hipError_tPvRmT1_PNSt15iterator_traitsISZ_E10value_typeET2_T3_PNS10_IS15_E10value_typeET4_jRbjT5_S1B_jjP12ihipStream_tbEUljE_EEESW_SX_SY_S15_S19_S1B_T6_T7_T9_mT8_S1D_bDpT10_ENKUlT_T0_E_clISt17integral_constantIbLb1EES1Q_EEDaS1L_S1M_EUlS1L_E_NS1_11comp_targetILNS1_3genE2ELNS1_11target_archE906ELNS1_3gpuE6ELNS1_3repE0EEENS1_30default_config_static_selectorELNS0_4arch9wavefront6targetE0EEEvSZ_.has_dyn_sized_stack, 0
	.set _ZN7rocprim17ROCPRIM_400000_NS6detail17trampoline_kernelINS0_13select_configILj256ELj13ELNS0_17block_load_methodE3ELS4_3ELS4_3ELNS0_20block_scan_algorithmE0ELj4294967295EEENS1_25partition_config_selectorILNS1_17partition_subalgoE3EjNS0_10empty_typeEbEEZZNS1_14partition_implILS8_3ELb0ES6_jNS0_17counting_iteratorIjlEEPS9_SE_NS0_5tupleIJPjSE_EEENSF_IJSE_SE_EEES9_SG_JZNS1_25segmented_radix_sort_implINS0_14default_configELb0EPK6__halfPSL_PKlPlN2at6native12_GLOBAL__N_18offset_tEEE10hipError_tPvRmT1_PNSt15iterator_traitsISZ_E10value_typeET2_T3_PNS10_IS15_E10value_typeET4_jRbjT5_S1B_jjP12ihipStream_tbEUljE_EEESW_SX_SY_S15_S19_S1B_T6_T7_T9_mT8_S1D_bDpT10_ENKUlT_T0_E_clISt17integral_constantIbLb1EES1Q_EEDaS1L_S1M_EUlS1L_E_NS1_11comp_targetILNS1_3genE2ELNS1_11target_archE906ELNS1_3gpuE6ELNS1_3repE0EEENS1_30default_config_static_selectorELNS0_4arch9wavefront6targetE0EEEvSZ_.has_recursion, 0
	.set _ZN7rocprim17ROCPRIM_400000_NS6detail17trampoline_kernelINS0_13select_configILj256ELj13ELNS0_17block_load_methodE3ELS4_3ELS4_3ELNS0_20block_scan_algorithmE0ELj4294967295EEENS1_25partition_config_selectorILNS1_17partition_subalgoE3EjNS0_10empty_typeEbEEZZNS1_14partition_implILS8_3ELb0ES6_jNS0_17counting_iteratorIjlEEPS9_SE_NS0_5tupleIJPjSE_EEENSF_IJSE_SE_EEES9_SG_JZNS1_25segmented_radix_sort_implINS0_14default_configELb0EPK6__halfPSL_PKlPlN2at6native12_GLOBAL__N_18offset_tEEE10hipError_tPvRmT1_PNSt15iterator_traitsISZ_E10value_typeET2_T3_PNS10_IS15_E10value_typeET4_jRbjT5_S1B_jjP12ihipStream_tbEUljE_EEESW_SX_SY_S15_S19_S1B_T6_T7_T9_mT8_S1D_bDpT10_ENKUlT_T0_E_clISt17integral_constantIbLb1EES1Q_EEDaS1L_S1M_EUlS1L_E_NS1_11comp_targetILNS1_3genE2ELNS1_11target_archE906ELNS1_3gpuE6ELNS1_3repE0EEENS1_30default_config_static_selectorELNS0_4arch9wavefront6targetE0EEEvSZ_.has_indirect_call, 0
	.section	.AMDGPU.csdata,"",@progbits
; Kernel info:
; codeLenInByte = 0
; TotalNumSgprs: 0
; NumVgprs: 0
; ScratchSize: 0
; MemoryBound: 0
; FloatMode: 240
; IeeeMode: 1
; LDSByteSize: 0 bytes/workgroup (compile time only)
; SGPRBlocks: 0
; VGPRBlocks: 0
; NumSGPRsForWavesPerEU: 1
; NumVGPRsForWavesPerEU: 1
; Occupancy: 16
; WaveLimiterHint : 0
; COMPUTE_PGM_RSRC2:SCRATCH_EN: 0
; COMPUTE_PGM_RSRC2:USER_SGPR: 6
; COMPUTE_PGM_RSRC2:TRAP_HANDLER: 0
; COMPUTE_PGM_RSRC2:TGID_X_EN: 1
; COMPUTE_PGM_RSRC2:TGID_Y_EN: 0
; COMPUTE_PGM_RSRC2:TGID_Z_EN: 0
; COMPUTE_PGM_RSRC2:TIDIG_COMP_CNT: 0
	.section	.text._ZN7rocprim17ROCPRIM_400000_NS6detail17trampoline_kernelINS0_13select_configILj256ELj13ELNS0_17block_load_methodE3ELS4_3ELS4_3ELNS0_20block_scan_algorithmE0ELj4294967295EEENS1_25partition_config_selectorILNS1_17partition_subalgoE3EjNS0_10empty_typeEbEEZZNS1_14partition_implILS8_3ELb0ES6_jNS0_17counting_iteratorIjlEEPS9_SE_NS0_5tupleIJPjSE_EEENSF_IJSE_SE_EEES9_SG_JZNS1_25segmented_radix_sort_implINS0_14default_configELb0EPK6__halfPSL_PKlPlN2at6native12_GLOBAL__N_18offset_tEEE10hipError_tPvRmT1_PNSt15iterator_traitsISZ_E10value_typeET2_T3_PNS10_IS15_E10value_typeET4_jRbjT5_S1B_jjP12ihipStream_tbEUljE_EEESW_SX_SY_S15_S19_S1B_T6_T7_T9_mT8_S1D_bDpT10_ENKUlT_T0_E_clISt17integral_constantIbLb1EES1Q_EEDaS1L_S1M_EUlS1L_E_NS1_11comp_targetILNS1_3genE10ELNS1_11target_archE1200ELNS1_3gpuE4ELNS1_3repE0EEENS1_30default_config_static_selectorELNS0_4arch9wavefront6targetE0EEEvSZ_,"axG",@progbits,_ZN7rocprim17ROCPRIM_400000_NS6detail17trampoline_kernelINS0_13select_configILj256ELj13ELNS0_17block_load_methodE3ELS4_3ELS4_3ELNS0_20block_scan_algorithmE0ELj4294967295EEENS1_25partition_config_selectorILNS1_17partition_subalgoE3EjNS0_10empty_typeEbEEZZNS1_14partition_implILS8_3ELb0ES6_jNS0_17counting_iteratorIjlEEPS9_SE_NS0_5tupleIJPjSE_EEENSF_IJSE_SE_EEES9_SG_JZNS1_25segmented_radix_sort_implINS0_14default_configELb0EPK6__halfPSL_PKlPlN2at6native12_GLOBAL__N_18offset_tEEE10hipError_tPvRmT1_PNSt15iterator_traitsISZ_E10value_typeET2_T3_PNS10_IS15_E10value_typeET4_jRbjT5_S1B_jjP12ihipStream_tbEUljE_EEESW_SX_SY_S15_S19_S1B_T6_T7_T9_mT8_S1D_bDpT10_ENKUlT_T0_E_clISt17integral_constantIbLb1EES1Q_EEDaS1L_S1M_EUlS1L_E_NS1_11comp_targetILNS1_3genE10ELNS1_11target_archE1200ELNS1_3gpuE4ELNS1_3repE0EEENS1_30default_config_static_selectorELNS0_4arch9wavefront6targetE0EEEvSZ_,comdat
	.globl	_ZN7rocprim17ROCPRIM_400000_NS6detail17trampoline_kernelINS0_13select_configILj256ELj13ELNS0_17block_load_methodE3ELS4_3ELS4_3ELNS0_20block_scan_algorithmE0ELj4294967295EEENS1_25partition_config_selectorILNS1_17partition_subalgoE3EjNS0_10empty_typeEbEEZZNS1_14partition_implILS8_3ELb0ES6_jNS0_17counting_iteratorIjlEEPS9_SE_NS0_5tupleIJPjSE_EEENSF_IJSE_SE_EEES9_SG_JZNS1_25segmented_radix_sort_implINS0_14default_configELb0EPK6__halfPSL_PKlPlN2at6native12_GLOBAL__N_18offset_tEEE10hipError_tPvRmT1_PNSt15iterator_traitsISZ_E10value_typeET2_T3_PNS10_IS15_E10value_typeET4_jRbjT5_S1B_jjP12ihipStream_tbEUljE_EEESW_SX_SY_S15_S19_S1B_T6_T7_T9_mT8_S1D_bDpT10_ENKUlT_T0_E_clISt17integral_constantIbLb1EES1Q_EEDaS1L_S1M_EUlS1L_E_NS1_11comp_targetILNS1_3genE10ELNS1_11target_archE1200ELNS1_3gpuE4ELNS1_3repE0EEENS1_30default_config_static_selectorELNS0_4arch9wavefront6targetE0EEEvSZ_ ; -- Begin function _ZN7rocprim17ROCPRIM_400000_NS6detail17trampoline_kernelINS0_13select_configILj256ELj13ELNS0_17block_load_methodE3ELS4_3ELS4_3ELNS0_20block_scan_algorithmE0ELj4294967295EEENS1_25partition_config_selectorILNS1_17partition_subalgoE3EjNS0_10empty_typeEbEEZZNS1_14partition_implILS8_3ELb0ES6_jNS0_17counting_iteratorIjlEEPS9_SE_NS0_5tupleIJPjSE_EEENSF_IJSE_SE_EEES9_SG_JZNS1_25segmented_radix_sort_implINS0_14default_configELb0EPK6__halfPSL_PKlPlN2at6native12_GLOBAL__N_18offset_tEEE10hipError_tPvRmT1_PNSt15iterator_traitsISZ_E10value_typeET2_T3_PNS10_IS15_E10value_typeET4_jRbjT5_S1B_jjP12ihipStream_tbEUljE_EEESW_SX_SY_S15_S19_S1B_T6_T7_T9_mT8_S1D_bDpT10_ENKUlT_T0_E_clISt17integral_constantIbLb1EES1Q_EEDaS1L_S1M_EUlS1L_E_NS1_11comp_targetILNS1_3genE10ELNS1_11target_archE1200ELNS1_3gpuE4ELNS1_3repE0EEENS1_30default_config_static_selectorELNS0_4arch9wavefront6targetE0EEEvSZ_
	.p2align	8
	.type	_ZN7rocprim17ROCPRIM_400000_NS6detail17trampoline_kernelINS0_13select_configILj256ELj13ELNS0_17block_load_methodE3ELS4_3ELS4_3ELNS0_20block_scan_algorithmE0ELj4294967295EEENS1_25partition_config_selectorILNS1_17partition_subalgoE3EjNS0_10empty_typeEbEEZZNS1_14partition_implILS8_3ELb0ES6_jNS0_17counting_iteratorIjlEEPS9_SE_NS0_5tupleIJPjSE_EEENSF_IJSE_SE_EEES9_SG_JZNS1_25segmented_radix_sort_implINS0_14default_configELb0EPK6__halfPSL_PKlPlN2at6native12_GLOBAL__N_18offset_tEEE10hipError_tPvRmT1_PNSt15iterator_traitsISZ_E10value_typeET2_T3_PNS10_IS15_E10value_typeET4_jRbjT5_S1B_jjP12ihipStream_tbEUljE_EEESW_SX_SY_S15_S19_S1B_T6_T7_T9_mT8_S1D_bDpT10_ENKUlT_T0_E_clISt17integral_constantIbLb1EES1Q_EEDaS1L_S1M_EUlS1L_E_NS1_11comp_targetILNS1_3genE10ELNS1_11target_archE1200ELNS1_3gpuE4ELNS1_3repE0EEENS1_30default_config_static_selectorELNS0_4arch9wavefront6targetE0EEEvSZ_,@function
_ZN7rocprim17ROCPRIM_400000_NS6detail17trampoline_kernelINS0_13select_configILj256ELj13ELNS0_17block_load_methodE3ELS4_3ELS4_3ELNS0_20block_scan_algorithmE0ELj4294967295EEENS1_25partition_config_selectorILNS1_17partition_subalgoE3EjNS0_10empty_typeEbEEZZNS1_14partition_implILS8_3ELb0ES6_jNS0_17counting_iteratorIjlEEPS9_SE_NS0_5tupleIJPjSE_EEENSF_IJSE_SE_EEES9_SG_JZNS1_25segmented_radix_sort_implINS0_14default_configELb0EPK6__halfPSL_PKlPlN2at6native12_GLOBAL__N_18offset_tEEE10hipError_tPvRmT1_PNSt15iterator_traitsISZ_E10value_typeET2_T3_PNS10_IS15_E10value_typeET4_jRbjT5_S1B_jjP12ihipStream_tbEUljE_EEESW_SX_SY_S15_S19_S1B_T6_T7_T9_mT8_S1D_bDpT10_ENKUlT_T0_E_clISt17integral_constantIbLb1EES1Q_EEDaS1L_S1M_EUlS1L_E_NS1_11comp_targetILNS1_3genE10ELNS1_11target_archE1200ELNS1_3gpuE4ELNS1_3repE0EEENS1_30default_config_static_selectorELNS0_4arch9wavefront6targetE0EEEvSZ_: ; @_ZN7rocprim17ROCPRIM_400000_NS6detail17trampoline_kernelINS0_13select_configILj256ELj13ELNS0_17block_load_methodE3ELS4_3ELS4_3ELNS0_20block_scan_algorithmE0ELj4294967295EEENS1_25partition_config_selectorILNS1_17partition_subalgoE3EjNS0_10empty_typeEbEEZZNS1_14partition_implILS8_3ELb0ES6_jNS0_17counting_iteratorIjlEEPS9_SE_NS0_5tupleIJPjSE_EEENSF_IJSE_SE_EEES9_SG_JZNS1_25segmented_radix_sort_implINS0_14default_configELb0EPK6__halfPSL_PKlPlN2at6native12_GLOBAL__N_18offset_tEEE10hipError_tPvRmT1_PNSt15iterator_traitsISZ_E10value_typeET2_T3_PNS10_IS15_E10value_typeET4_jRbjT5_S1B_jjP12ihipStream_tbEUljE_EEESW_SX_SY_S15_S19_S1B_T6_T7_T9_mT8_S1D_bDpT10_ENKUlT_T0_E_clISt17integral_constantIbLb1EES1Q_EEDaS1L_S1M_EUlS1L_E_NS1_11comp_targetILNS1_3genE10ELNS1_11target_archE1200ELNS1_3gpuE4ELNS1_3repE0EEENS1_30default_config_static_selectorELNS0_4arch9wavefront6targetE0EEEvSZ_
; %bb.0:
	.section	.rodata,"a",@progbits
	.p2align	6, 0x0
	.amdhsa_kernel _ZN7rocprim17ROCPRIM_400000_NS6detail17trampoline_kernelINS0_13select_configILj256ELj13ELNS0_17block_load_methodE3ELS4_3ELS4_3ELNS0_20block_scan_algorithmE0ELj4294967295EEENS1_25partition_config_selectorILNS1_17partition_subalgoE3EjNS0_10empty_typeEbEEZZNS1_14partition_implILS8_3ELb0ES6_jNS0_17counting_iteratorIjlEEPS9_SE_NS0_5tupleIJPjSE_EEENSF_IJSE_SE_EEES9_SG_JZNS1_25segmented_radix_sort_implINS0_14default_configELb0EPK6__halfPSL_PKlPlN2at6native12_GLOBAL__N_18offset_tEEE10hipError_tPvRmT1_PNSt15iterator_traitsISZ_E10value_typeET2_T3_PNS10_IS15_E10value_typeET4_jRbjT5_S1B_jjP12ihipStream_tbEUljE_EEESW_SX_SY_S15_S19_S1B_T6_T7_T9_mT8_S1D_bDpT10_ENKUlT_T0_E_clISt17integral_constantIbLb1EES1Q_EEDaS1L_S1M_EUlS1L_E_NS1_11comp_targetILNS1_3genE10ELNS1_11target_archE1200ELNS1_3gpuE4ELNS1_3repE0EEENS1_30default_config_static_selectorELNS0_4arch9wavefront6targetE0EEEvSZ_
		.amdhsa_group_segment_fixed_size 0
		.amdhsa_private_segment_fixed_size 0
		.amdhsa_kernarg_size 152
		.amdhsa_user_sgpr_count 6
		.amdhsa_user_sgpr_private_segment_buffer 1
		.amdhsa_user_sgpr_dispatch_ptr 0
		.amdhsa_user_sgpr_queue_ptr 0
		.amdhsa_user_sgpr_kernarg_segment_ptr 1
		.amdhsa_user_sgpr_dispatch_id 0
		.amdhsa_user_sgpr_flat_scratch_init 0
		.amdhsa_user_sgpr_private_segment_size 0
		.amdhsa_wavefront_size32 1
		.amdhsa_uses_dynamic_stack 0
		.amdhsa_system_sgpr_private_segment_wavefront_offset 0
		.amdhsa_system_sgpr_workgroup_id_x 1
		.amdhsa_system_sgpr_workgroup_id_y 0
		.amdhsa_system_sgpr_workgroup_id_z 0
		.amdhsa_system_sgpr_workgroup_info 0
		.amdhsa_system_vgpr_workitem_id 0
		.amdhsa_next_free_vgpr 1
		.amdhsa_next_free_sgpr 1
		.amdhsa_reserve_vcc 0
		.amdhsa_reserve_flat_scratch 0
		.amdhsa_float_round_mode_32 0
		.amdhsa_float_round_mode_16_64 0
		.amdhsa_float_denorm_mode_32 3
		.amdhsa_float_denorm_mode_16_64 3
		.amdhsa_dx10_clamp 1
		.amdhsa_ieee_mode 1
		.amdhsa_fp16_overflow 0
		.amdhsa_workgroup_processor_mode 1
		.amdhsa_memory_ordered 1
		.amdhsa_forward_progress 1
		.amdhsa_shared_vgpr_count 0
		.amdhsa_exception_fp_ieee_invalid_op 0
		.amdhsa_exception_fp_denorm_src 0
		.amdhsa_exception_fp_ieee_div_zero 0
		.amdhsa_exception_fp_ieee_overflow 0
		.amdhsa_exception_fp_ieee_underflow 0
		.amdhsa_exception_fp_ieee_inexact 0
		.amdhsa_exception_int_div_zero 0
	.end_amdhsa_kernel
	.section	.text._ZN7rocprim17ROCPRIM_400000_NS6detail17trampoline_kernelINS0_13select_configILj256ELj13ELNS0_17block_load_methodE3ELS4_3ELS4_3ELNS0_20block_scan_algorithmE0ELj4294967295EEENS1_25partition_config_selectorILNS1_17partition_subalgoE3EjNS0_10empty_typeEbEEZZNS1_14partition_implILS8_3ELb0ES6_jNS0_17counting_iteratorIjlEEPS9_SE_NS0_5tupleIJPjSE_EEENSF_IJSE_SE_EEES9_SG_JZNS1_25segmented_radix_sort_implINS0_14default_configELb0EPK6__halfPSL_PKlPlN2at6native12_GLOBAL__N_18offset_tEEE10hipError_tPvRmT1_PNSt15iterator_traitsISZ_E10value_typeET2_T3_PNS10_IS15_E10value_typeET4_jRbjT5_S1B_jjP12ihipStream_tbEUljE_EEESW_SX_SY_S15_S19_S1B_T6_T7_T9_mT8_S1D_bDpT10_ENKUlT_T0_E_clISt17integral_constantIbLb1EES1Q_EEDaS1L_S1M_EUlS1L_E_NS1_11comp_targetILNS1_3genE10ELNS1_11target_archE1200ELNS1_3gpuE4ELNS1_3repE0EEENS1_30default_config_static_selectorELNS0_4arch9wavefront6targetE0EEEvSZ_,"axG",@progbits,_ZN7rocprim17ROCPRIM_400000_NS6detail17trampoline_kernelINS0_13select_configILj256ELj13ELNS0_17block_load_methodE3ELS4_3ELS4_3ELNS0_20block_scan_algorithmE0ELj4294967295EEENS1_25partition_config_selectorILNS1_17partition_subalgoE3EjNS0_10empty_typeEbEEZZNS1_14partition_implILS8_3ELb0ES6_jNS0_17counting_iteratorIjlEEPS9_SE_NS0_5tupleIJPjSE_EEENSF_IJSE_SE_EEES9_SG_JZNS1_25segmented_radix_sort_implINS0_14default_configELb0EPK6__halfPSL_PKlPlN2at6native12_GLOBAL__N_18offset_tEEE10hipError_tPvRmT1_PNSt15iterator_traitsISZ_E10value_typeET2_T3_PNS10_IS15_E10value_typeET4_jRbjT5_S1B_jjP12ihipStream_tbEUljE_EEESW_SX_SY_S15_S19_S1B_T6_T7_T9_mT8_S1D_bDpT10_ENKUlT_T0_E_clISt17integral_constantIbLb1EES1Q_EEDaS1L_S1M_EUlS1L_E_NS1_11comp_targetILNS1_3genE10ELNS1_11target_archE1200ELNS1_3gpuE4ELNS1_3repE0EEENS1_30default_config_static_selectorELNS0_4arch9wavefront6targetE0EEEvSZ_,comdat
.Lfunc_end1813:
	.size	_ZN7rocprim17ROCPRIM_400000_NS6detail17trampoline_kernelINS0_13select_configILj256ELj13ELNS0_17block_load_methodE3ELS4_3ELS4_3ELNS0_20block_scan_algorithmE0ELj4294967295EEENS1_25partition_config_selectorILNS1_17partition_subalgoE3EjNS0_10empty_typeEbEEZZNS1_14partition_implILS8_3ELb0ES6_jNS0_17counting_iteratorIjlEEPS9_SE_NS0_5tupleIJPjSE_EEENSF_IJSE_SE_EEES9_SG_JZNS1_25segmented_radix_sort_implINS0_14default_configELb0EPK6__halfPSL_PKlPlN2at6native12_GLOBAL__N_18offset_tEEE10hipError_tPvRmT1_PNSt15iterator_traitsISZ_E10value_typeET2_T3_PNS10_IS15_E10value_typeET4_jRbjT5_S1B_jjP12ihipStream_tbEUljE_EEESW_SX_SY_S15_S19_S1B_T6_T7_T9_mT8_S1D_bDpT10_ENKUlT_T0_E_clISt17integral_constantIbLb1EES1Q_EEDaS1L_S1M_EUlS1L_E_NS1_11comp_targetILNS1_3genE10ELNS1_11target_archE1200ELNS1_3gpuE4ELNS1_3repE0EEENS1_30default_config_static_selectorELNS0_4arch9wavefront6targetE0EEEvSZ_, .Lfunc_end1813-_ZN7rocprim17ROCPRIM_400000_NS6detail17trampoline_kernelINS0_13select_configILj256ELj13ELNS0_17block_load_methodE3ELS4_3ELS4_3ELNS0_20block_scan_algorithmE0ELj4294967295EEENS1_25partition_config_selectorILNS1_17partition_subalgoE3EjNS0_10empty_typeEbEEZZNS1_14partition_implILS8_3ELb0ES6_jNS0_17counting_iteratorIjlEEPS9_SE_NS0_5tupleIJPjSE_EEENSF_IJSE_SE_EEES9_SG_JZNS1_25segmented_radix_sort_implINS0_14default_configELb0EPK6__halfPSL_PKlPlN2at6native12_GLOBAL__N_18offset_tEEE10hipError_tPvRmT1_PNSt15iterator_traitsISZ_E10value_typeET2_T3_PNS10_IS15_E10value_typeET4_jRbjT5_S1B_jjP12ihipStream_tbEUljE_EEESW_SX_SY_S15_S19_S1B_T6_T7_T9_mT8_S1D_bDpT10_ENKUlT_T0_E_clISt17integral_constantIbLb1EES1Q_EEDaS1L_S1M_EUlS1L_E_NS1_11comp_targetILNS1_3genE10ELNS1_11target_archE1200ELNS1_3gpuE4ELNS1_3repE0EEENS1_30default_config_static_selectorELNS0_4arch9wavefront6targetE0EEEvSZ_
                                        ; -- End function
	.set _ZN7rocprim17ROCPRIM_400000_NS6detail17trampoline_kernelINS0_13select_configILj256ELj13ELNS0_17block_load_methodE3ELS4_3ELS4_3ELNS0_20block_scan_algorithmE0ELj4294967295EEENS1_25partition_config_selectorILNS1_17partition_subalgoE3EjNS0_10empty_typeEbEEZZNS1_14partition_implILS8_3ELb0ES6_jNS0_17counting_iteratorIjlEEPS9_SE_NS0_5tupleIJPjSE_EEENSF_IJSE_SE_EEES9_SG_JZNS1_25segmented_radix_sort_implINS0_14default_configELb0EPK6__halfPSL_PKlPlN2at6native12_GLOBAL__N_18offset_tEEE10hipError_tPvRmT1_PNSt15iterator_traitsISZ_E10value_typeET2_T3_PNS10_IS15_E10value_typeET4_jRbjT5_S1B_jjP12ihipStream_tbEUljE_EEESW_SX_SY_S15_S19_S1B_T6_T7_T9_mT8_S1D_bDpT10_ENKUlT_T0_E_clISt17integral_constantIbLb1EES1Q_EEDaS1L_S1M_EUlS1L_E_NS1_11comp_targetILNS1_3genE10ELNS1_11target_archE1200ELNS1_3gpuE4ELNS1_3repE0EEENS1_30default_config_static_selectorELNS0_4arch9wavefront6targetE0EEEvSZ_.num_vgpr, 0
	.set _ZN7rocprim17ROCPRIM_400000_NS6detail17trampoline_kernelINS0_13select_configILj256ELj13ELNS0_17block_load_methodE3ELS4_3ELS4_3ELNS0_20block_scan_algorithmE0ELj4294967295EEENS1_25partition_config_selectorILNS1_17partition_subalgoE3EjNS0_10empty_typeEbEEZZNS1_14partition_implILS8_3ELb0ES6_jNS0_17counting_iteratorIjlEEPS9_SE_NS0_5tupleIJPjSE_EEENSF_IJSE_SE_EEES9_SG_JZNS1_25segmented_radix_sort_implINS0_14default_configELb0EPK6__halfPSL_PKlPlN2at6native12_GLOBAL__N_18offset_tEEE10hipError_tPvRmT1_PNSt15iterator_traitsISZ_E10value_typeET2_T3_PNS10_IS15_E10value_typeET4_jRbjT5_S1B_jjP12ihipStream_tbEUljE_EEESW_SX_SY_S15_S19_S1B_T6_T7_T9_mT8_S1D_bDpT10_ENKUlT_T0_E_clISt17integral_constantIbLb1EES1Q_EEDaS1L_S1M_EUlS1L_E_NS1_11comp_targetILNS1_3genE10ELNS1_11target_archE1200ELNS1_3gpuE4ELNS1_3repE0EEENS1_30default_config_static_selectorELNS0_4arch9wavefront6targetE0EEEvSZ_.num_agpr, 0
	.set _ZN7rocprim17ROCPRIM_400000_NS6detail17trampoline_kernelINS0_13select_configILj256ELj13ELNS0_17block_load_methodE3ELS4_3ELS4_3ELNS0_20block_scan_algorithmE0ELj4294967295EEENS1_25partition_config_selectorILNS1_17partition_subalgoE3EjNS0_10empty_typeEbEEZZNS1_14partition_implILS8_3ELb0ES6_jNS0_17counting_iteratorIjlEEPS9_SE_NS0_5tupleIJPjSE_EEENSF_IJSE_SE_EEES9_SG_JZNS1_25segmented_radix_sort_implINS0_14default_configELb0EPK6__halfPSL_PKlPlN2at6native12_GLOBAL__N_18offset_tEEE10hipError_tPvRmT1_PNSt15iterator_traitsISZ_E10value_typeET2_T3_PNS10_IS15_E10value_typeET4_jRbjT5_S1B_jjP12ihipStream_tbEUljE_EEESW_SX_SY_S15_S19_S1B_T6_T7_T9_mT8_S1D_bDpT10_ENKUlT_T0_E_clISt17integral_constantIbLb1EES1Q_EEDaS1L_S1M_EUlS1L_E_NS1_11comp_targetILNS1_3genE10ELNS1_11target_archE1200ELNS1_3gpuE4ELNS1_3repE0EEENS1_30default_config_static_selectorELNS0_4arch9wavefront6targetE0EEEvSZ_.numbered_sgpr, 0
	.set _ZN7rocprim17ROCPRIM_400000_NS6detail17trampoline_kernelINS0_13select_configILj256ELj13ELNS0_17block_load_methodE3ELS4_3ELS4_3ELNS0_20block_scan_algorithmE0ELj4294967295EEENS1_25partition_config_selectorILNS1_17partition_subalgoE3EjNS0_10empty_typeEbEEZZNS1_14partition_implILS8_3ELb0ES6_jNS0_17counting_iteratorIjlEEPS9_SE_NS0_5tupleIJPjSE_EEENSF_IJSE_SE_EEES9_SG_JZNS1_25segmented_radix_sort_implINS0_14default_configELb0EPK6__halfPSL_PKlPlN2at6native12_GLOBAL__N_18offset_tEEE10hipError_tPvRmT1_PNSt15iterator_traitsISZ_E10value_typeET2_T3_PNS10_IS15_E10value_typeET4_jRbjT5_S1B_jjP12ihipStream_tbEUljE_EEESW_SX_SY_S15_S19_S1B_T6_T7_T9_mT8_S1D_bDpT10_ENKUlT_T0_E_clISt17integral_constantIbLb1EES1Q_EEDaS1L_S1M_EUlS1L_E_NS1_11comp_targetILNS1_3genE10ELNS1_11target_archE1200ELNS1_3gpuE4ELNS1_3repE0EEENS1_30default_config_static_selectorELNS0_4arch9wavefront6targetE0EEEvSZ_.num_named_barrier, 0
	.set _ZN7rocprim17ROCPRIM_400000_NS6detail17trampoline_kernelINS0_13select_configILj256ELj13ELNS0_17block_load_methodE3ELS4_3ELS4_3ELNS0_20block_scan_algorithmE0ELj4294967295EEENS1_25partition_config_selectorILNS1_17partition_subalgoE3EjNS0_10empty_typeEbEEZZNS1_14partition_implILS8_3ELb0ES6_jNS0_17counting_iteratorIjlEEPS9_SE_NS0_5tupleIJPjSE_EEENSF_IJSE_SE_EEES9_SG_JZNS1_25segmented_radix_sort_implINS0_14default_configELb0EPK6__halfPSL_PKlPlN2at6native12_GLOBAL__N_18offset_tEEE10hipError_tPvRmT1_PNSt15iterator_traitsISZ_E10value_typeET2_T3_PNS10_IS15_E10value_typeET4_jRbjT5_S1B_jjP12ihipStream_tbEUljE_EEESW_SX_SY_S15_S19_S1B_T6_T7_T9_mT8_S1D_bDpT10_ENKUlT_T0_E_clISt17integral_constantIbLb1EES1Q_EEDaS1L_S1M_EUlS1L_E_NS1_11comp_targetILNS1_3genE10ELNS1_11target_archE1200ELNS1_3gpuE4ELNS1_3repE0EEENS1_30default_config_static_selectorELNS0_4arch9wavefront6targetE0EEEvSZ_.private_seg_size, 0
	.set _ZN7rocprim17ROCPRIM_400000_NS6detail17trampoline_kernelINS0_13select_configILj256ELj13ELNS0_17block_load_methodE3ELS4_3ELS4_3ELNS0_20block_scan_algorithmE0ELj4294967295EEENS1_25partition_config_selectorILNS1_17partition_subalgoE3EjNS0_10empty_typeEbEEZZNS1_14partition_implILS8_3ELb0ES6_jNS0_17counting_iteratorIjlEEPS9_SE_NS0_5tupleIJPjSE_EEENSF_IJSE_SE_EEES9_SG_JZNS1_25segmented_radix_sort_implINS0_14default_configELb0EPK6__halfPSL_PKlPlN2at6native12_GLOBAL__N_18offset_tEEE10hipError_tPvRmT1_PNSt15iterator_traitsISZ_E10value_typeET2_T3_PNS10_IS15_E10value_typeET4_jRbjT5_S1B_jjP12ihipStream_tbEUljE_EEESW_SX_SY_S15_S19_S1B_T6_T7_T9_mT8_S1D_bDpT10_ENKUlT_T0_E_clISt17integral_constantIbLb1EES1Q_EEDaS1L_S1M_EUlS1L_E_NS1_11comp_targetILNS1_3genE10ELNS1_11target_archE1200ELNS1_3gpuE4ELNS1_3repE0EEENS1_30default_config_static_selectorELNS0_4arch9wavefront6targetE0EEEvSZ_.uses_vcc, 0
	.set _ZN7rocprim17ROCPRIM_400000_NS6detail17trampoline_kernelINS0_13select_configILj256ELj13ELNS0_17block_load_methodE3ELS4_3ELS4_3ELNS0_20block_scan_algorithmE0ELj4294967295EEENS1_25partition_config_selectorILNS1_17partition_subalgoE3EjNS0_10empty_typeEbEEZZNS1_14partition_implILS8_3ELb0ES6_jNS0_17counting_iteratorIjlEEPS9_SE_NS0_5tupleIJPjSE_EEENSF_IJSE_SE_EEES9_SG_JZNS1_25segmented_radix_sort_implINS0_14default_configELb0EPK6__halfPSL_PKlPlN2at6native12_GLOBAL__N_18offset_tEEE10hipError_tPvRmT1_PNSt15iterator_traitsISZ_E10value_typeET2_T3_PNS10_IS15_E10value_typeET4_jRbjT5_S1B_jjP12ihipStream_tbEUljE_EEESW_SX_SY_S15_S19_S1B_T6_T7_T9_mT8_S1D_bDpT10_ENKUlT_T0_E_clISt17integral_constantIbLb1EES1Q_EEDaS1L_S1M_EUlS1L_E_NS1_11comp_targetILNS1_3genE10ELNS1_11target_archE1200ELNS1_3gpuE4ELNS1_3repE0EEENS1_30default_config_static_selectorELNS0_4arch9wavefront6targetE0EEEvSZ_.uses_flat_scratch, 0
	.set _ZN7rocprim17ROCPRIM_400000_NS6detail17trampoline_kernelINS0_13select_configILj256ELj13ELNS0_17block_load_methodE3ELS4_3ELS4_3ELNS0_20block_scan_algorithmE0ELj4294967295EEENS1_25partition_config_selectorILNS1_17partition_subalgoE3EjNS0_10empty_typeEbEEZZNS1_14partition_implILS8_3ELb0ES6_jNS0_17counting_iteratorIjlEEPS9_SE_NS0_5tupleIJPjSE_EEENSF_IJSE_SE_EEES9_SG_JZNS1_25segmented_radix_sort_implINS0_14default_configELb0EPK6__halfPSL_PKlPlN2at6native12_GLOBAL__N_18offset_tEEE10hipError_tPvRmT1_PNSt15iterator_traitsISZ_E10value_typeET2_T3_PNS10_IS15_E10value_typeET4_jRbjT5_S1B_jjP12ihipStream_tbEUljE_EEESW_SX_SY_S15_S19_S1B_T6_T7_T9_mT8_S1D_bDpT10_ENKUlT_T0_E_clISt17integral_constantIbLb1EES1Q_EEDaS1L_S1M_EUlS1L_E_NS1_11comp_targetILNS1_3genE10ELNS1_11target_archE1200ELNS1_3gpuE4ELNS1_3repE0EEENS1_30default_config_static_selectorELNS0_4arch9wavefront6targetE0EEEvSZ_.has_dyn_sized_stack, 0
	.set _ZN7rocprim17ROCPRIM_400000_NS6detail17trampoline_kernelINS0_13select_configILj256ELj13ELNS0_17block_load_methodE3ELS4_3ELS4_3ELNS0_20block_scan_algorithmE0ELj4294967295EEENS1_25partition_config_selectorILNS1_17partition_subalgoE3EjNS0_10empty_typeEbEEZZNS1_14partition_implILS8_3ELb0ES6_jNS0_17counting_iteratorIjlEEPS9_SE_NS0_5tupleIJPjSE_EEENSF_IJSE_SE_EEES9_SG_JZNS1_25segmented_radix_sort_implINS0_14default_configELb0EPK6__halfPSL_PKlPlN2at6native12_GLOBAL__N_18offset_tEEE10hipError_tPvRmT1_PNSt15iterator_traitsISZ_E10value_typeET2_T3_PNS10_IS15_E10value_typeET4_jRbjT5_S1B_jjP12ihipStream_tbEUljE_EEESW_SX_SY_S15_S19_S1B_T6_T7_T9_mT8_S1D_bDpT10_ENKUlT_T0_E_clISt17integral_constantIbLb1EES1Q_EEDaS1L_S1M_EUlS1L_E_NS1_11comp_targetILNS1_3genE10ELNS1_11target_archE1200ELNS1_3gpuE4ELNS1_3repE0EEENS1_30default_config_static_selectorELNS0_4arch9wavefront6targetE0EEEvSZ_.has_recursion, 0
	.set _ZN7rocprim17ROCPRIM_400000_NS6detail17trampoline_kernelINS0_13select_configILj256ELj13ELNS0_17block_load_methodE3ELS4_3ELS4_3ELNS0_20block_scan_algorithmE0ELj4294967295EEENS1_25partition_config_selectorILNS1_17partition_subalgoE3EjNS0_10empty_typeEbEEZZNS1_14partition_implILS8_3ELb0ES6_jNS0_17counting_iteratorIjlEEPS9_SE_NS0_5tupleIJPjSE_EEENSF_IJSE_SE_EEES9_SG_JZNS1_25segmented_radix_sort_implINS0_14default_configELb0EPK6__halfPSL_PKlPlN2at6native12_GLOBAL__N_18offset_tEEE10hipError_tPvRmT1_PNSt15iterator_traitsISZ_E10value_typeET2_T3_PNS10_IS15_E10value_typeET4_jRbjT5_S1B_jjP12ihipStream_tbEUljE_EEESW_SX_SY_S15_S19_S1B_T6_T7_T9_mT8_S1D_bDpT10_ENKUlT_T0_E_clISt17integral_constantIbLb1EES1Q_EEDaS1L_S1M_EUlS1L_E_NS1_11comp_targetILNS1_3genE10ELNS1_11target_archE1200ELNS1_3gpuE4ELNS1_3repE0EEENS1_30default_config_static_selectorELNS0_4arch9wavefront6targetE0EEEvSZ_.has_indirect_call, 0
	.section	.AMDGPU.csdata,"",@progbits
; Kernel info:
; codeLenInByte = 0
; TotalNumSgprs: 0
; NumVgprs: 0
; ScratchSize: 0
; MemoryBound: 0
; FloatMode: 240
; IeeeMode: 1
; LDSByteSize: 0 bytes/workgroup (compile time only)
; SGPRBlocks: 0
; VGPRBlocks: 0
; NumSGPRsForWavesPerEU: 1
; NumVGPRsForWavesPerEU: 1
; Occupancy: 16
; WaveLimiterHint : 0
; COMPUTE_PGM_RSRC2:SCRATCH_EN: 0
; COMPUTE_PGM_RSRC2:USER_SGPR: 6
; COMPUTE_PGM_RSRC2:TRAP_HANDLER: 0
; COMPUTE_PGM_RSRC2:TGID_X_EN: 1
; COMPUTE_PGM_RSRC2:TGID_Y_EN: 0
; COMPUTE_PGM_RSRC2:TGID_Z_EN: 0
; COMPUTE_PGM_RSRC2:TIDIG_COMP_CNT: 0
	.section	.text._ZN7rocprim17ROCPRIM_400000_NS6detail17trampoline_kernelINS0_13select_configILj256ELj13ELNS0_17block_load_methodE3ELS4_3ELS4_3ELNS0_20block_scan_algorithmE0ELj4294967295EEENS1_25partition_config_selectorILNS1_17partition_subalgoE3EjNS0_10empty_typeEbEEZZNS1_14partition_implILS8_3ELb0ES6_jNS0_17counting_iteratorIjlEEPS9_SE_NS0_5tupleIJPjSE_EEENSF_IJSE_SE_EEES9_SG_JZNS1_25segmented_radix_sort_implINS0_14default_configELb0EPK6__halfPSL_PKlPlN2at6native12_GLOBAL__N_18offset_tEEE10hipError_tPvRmT1_PNSt15iterator_traitsISZ_E10value_typeET2_T3_PNS10_IS15_E10value_typeET4_jRbjT5_S1B_jjP12ihipStream_tbEUljE_EEESW_SX_SY_S15_S19_S1B_T6_T7_T9_mT8_S1D_bDpT10_ENKUlT_T0_E_clISt17integral_constantIbLb1EES1Q_EEDaS1L_S1M_EUlS1L_E_NS1_11comp_targetILNS1_3genE9ELNS1_11target_archE1100ELNS1_3gpuE3ELNS1_3repE0EEENS1_30default_config_static_selectorELNS0_4arch9wavefront6targetE0EEEvSZ_,"axG",@progbits,_ZN7rocprim17ROCPRIM_400000_NS6detail17trampoline_kernelINS0_13select_configILj256ELj13ELNS0_17block_load_methodE3ELS4_3ELS4_3ELNS0_20block_scan_algorithmE0ELj4294967295EEENS1_25partition_config_selectorILNS1_17partition_subalgoE3EjNS0_10empty_typeEbEEZZNS1_14partition_implILS8_3ELb0ES6_jNS0_17counting_iteratorIjlEEPS9_SE_NS0_5tupleIJPjSE_EEENSF_IJSE_SE_EEES9_SG_JZNS1_25segmented_radix_sort_implINS0_14default_configELb0EPK6__halfPSL_PKlPlN2at6native12_GLOBAL__N_18offset_tEEE10hipError_tPvRmT1_PNSt15iterator_traitsISZ_E10value_typeET2_T3_PNS10_IS15_E10value_typeET4_jRbjT5_S1B_jjP12ihipStream_tbEUljE_EEESW_SX_SY_S15_S19_S1B_T6_T7_T9_mT8_S1D_bDpT10_ENKUlT_T0_E_clISt17integral_constantIbLb1EES1Q_EEDaS1L_S1M_EUlS1L_E_NS1_11comp_targetILNS1_3genE9ELNS1_11target_archE1100ELNS1_3gpuE3ELNS1_3repE0EEENS1_30default_config_static_selectorELNS0_4arch9wavefront6targetE0EEEvSZ_,comdat
	.globl	_ZN7rocprim17ROCPRIM_400000_NS6detail17trampoline_kernelINS0_13select_configILj256ELj13ELNS0_17block_load_methodE3ELS4_3ELS4_3ELNS0_20block_scan_algorithmE0ELj4294967295EEENS1_25partition_config_selectorILNS1_17partition_subalgoE3EjNS0_10empty_typeEbEEZZNS1_14partition_implILS8_3ELb0ES6_jNS0_17counting_iteratorIjlEEPS9_SE_NS0_5tupleIJPjSE_EEENSF_IJSE_SE_EEES9_SG_JZNS1_25segmented_radix_sort_implINS0_14default_configELb0EPK6__halfPSL_PKlPlN2at6native12_GLOBAL__N_18offset_tEEE10hipError_tPvRmT1_PNSt15iterator_traitsISZ_E10value_typeET2_T3_PNS10_IS15_E10value_typeET4_jRbjT5_S1B_jjP12ihipStream_tbEUljE_EEESW_SX_SY_S15_S19_S1B_T6_T7_T9_mT8_S1D_bDpT10_ENKUlT_T0_E_clISt17integral_constantIbLb1EES1Q_EEDaS1L_S1M_EUlS1L_E_NS1_11comp_targetILNS1_3genE9ELNS1_11target_archE1100ELNS1_3gpuE3ELNS1_3repE0EEENS1_30default_config_static_selectorELNS0_4arch9wavefront6targetE0EEEvSZ_ ; -- Begin function _ZN7rocprim17ROCPRIM_400000_NS6detail17trampoline_kernelINS0_13select_configILj256ELj13ELNS0_17block_load_methodE3ELS4_3ELS4_3ELNS0_20block_scan_algorithmE0ELj4294967295EEENS1_25partition_config_selectorILNS1_17partition_subalgoE3EjNS0_10empty_typeEbEEZZNS1_14partition_implILS8_3ELb0ES6_jNS0_17counting_iteratorIjlEEPS9_SE_NS0_5tupleIJPjSE_EEENSF_IJSE_SE_EEES9_SG_JZNS1_25segmented_radix_sort_implINS0_14default_configELb0EPK6__halfPSL_PKlPlN2at6native12_GLOBAL__N_18offset_tEEE10hipError_tPvRmT1_PNSt15iterator_traitsISZ_E10value_typeET2_T3_PNS10_IS15_E10value_typeET4_jRbjT5_S1B_jjP12ihipStream_tbEUljE_EEESW_SX_SY_S15_S19_S1B_T6_T7_T9_mT8_S1D_bDpT10_ENKUlT_T0_E_clISt17integral_constantIbLb1EES1Q_EEDaS1L_S1M_EUlS1L_E_NS1_11comp_targetILNS1_3genE9ELNS1_11target_archE1100ELNS1_3gpuE3ELNS1_3repE0EEENS1_30default_config_static_selectorELNS0_4arch9wavefront6targetE0EEEvSZ_
	.p2align	8
	.type	_ZN7rocprim17ROCPRIM_400000_NS6detail17trampoline_kernelINS0_13select_configILj256ELj13ELNS0_17block_load_methodE3ELS4_3ELS4_3ELNS0_20block_scan_algorithmE0ELj4294967295EEENS1_25partition_config_selectorILNS1_17partition_subalgoE3EjNS0_10empty_typeEbEEZZNS1_14partition_implILS8_3ELb0ES6_jNS0_17counting_iteratorIjlEEPS9_SE_NS0_5tupleIJPjSE_EEENSF_IJSE_SE_EEES9_SG_JZNS1_25segmented_radix_sort_implINS0_14default_configELb0EPK6__halfPSL_PKlPlN2at6native12_GLOBAL__N_18offset_tEEE10hipError_tPvRmT1_PNSt15iterator_traitsISZ_E10value_typeET2_T3_PNS10_IS15_E10value_typeET4_jRbjT5_S1B_jjP12ihipStream_tbEUljE_EEESW_SX_SY_S15_S19_S1B_T6_T7_T9_mT8_S1D_bDpT10_ENKUlT_T0_E_clISt17integral_constantIbLb1EES1Q_EEDaS1L_S1M_EUlS1L_E_NS1_11comp_targetILNS1_3genE9ELNS1_11target_archE1100ELNS1_3gpuE3ELNS1_3repE0EEENS1_30default_config_static_selectorELNS0_4arch9wavefront6targetE0EEEvSZ_,@function
_ZN7rocprim17ROCPRIM_400000_NS6detail17trampoline_kernelINS0_13select_configILj256ELj13ELNS0_17block_load_methodE3ELS4_3ELS4_3ELNS0_20block_scan_algorithmE0ELj4294967295EEENS1_25partition_config_selectorILNS1_17partition_subalgoE3EjNS0_10empty_typeEbEEZZNS1_14partition_implILS8_3ELb0ES6_jNS0_17counting_iteratorIjlEEPS9_SE_NS0_5tupleIJPjSE_EEENSF_IJSE_SE_EEES9_SG_JZNS1_25segmented_radix_sort_implINS0_14default_configELb0EPK6__halfPSL_PKlPlN2at6native12_GLOBAL__N_18offset_tEEE10hipError_tPvRmT1_PNSt15iterator_traitsISZ_E10value_typeET2_T3_PNS10_IS15_E10value_typeET4_jRbjT5_S1B_jjP12ihipStream_tbEUljE_EEESW_SX_SY_S15_S19_S1B_T6_T7_T9_mT8_S1D_bDpT10_ENKUlT_T0_E_clISt17integral_constantIbLb1EES1Q_EEDaS1L_S1M_EUlS1L_E_NS1_11comp_targetILNS1_3genE9ELNS1_11target_archE1100ELNS1_3gpuE3ELNS1_3repE0EEENS1_30default_config_static_selectorELNS0_4arch9wavefront6targetE0EEEvSZ_: ; @_ZN7rocprim17ROCPRIM_400000_NS6detail17trampoline_kernelINS0_13select_configILj256ELj13ELNS0_17block_load_methodE3ELS4_3ELS4_3ELNS0_20block_scan_algorithmE0ELj4294967295EEENS1_25partition_config_selectorILNS1_17partition_subalgoE3EjNS0_10empty_typeEbEEZZNS1_14partition_implILS8_3ELb0ES6_jNS0_17counting_iteratorIjlEEPS9_SE_NS0_5tupleIJPjSE_EEENSF_IJSE_SE_EEES9_SG_JZNS1_25segmented_radix_sort_implINS0_14default_configELb0EPK6__halfPSL_PKlPlN2at6native12_GLOBAL__N_18offset_tEEE10hipError_tPvRmT1_PNSt15iterator_traitsISZ_E10value_typeET2_T3_PNS10_IS15_E10value_typeET4_jRbjT5_S1B_jjP12ihipStream_tbEUljE_EEESW_SX_SY_S15_S19_S1B_T6_T7_T9_mT8_S1D_bDpT10_ENKUlT_T0_E_clISt17integral_constantIbLb1EES1Q_EEDaS1L_S1M_EUlS1L_E_NS1_11comp_targetILNS1_3genE9ELNS1_11target_archE1100ELNS1_3gpuE3ELNS1_3repE0EEENS1_30default_config_static_selectorELNS0_4arch9wavefront6targetE0EEEvSZ_
; %bb.0:
	.section	.rodata,"a",@progbits
	.p2align	6, 0x0
	.amdhsa_kernel _ZN7rocprim17ROCPRIM_400000_NS6detail17trampoline_kernelINS0_13select_configILj256ELj13ELNS0_17block_load_methodE3ELS4_3ELS4_3ELNS0_20block_scan_algorithmE0ELj4294967295EEENS1_25partition_config_selectorILNS1_17partition_subalgoE3EjNS0_10empty_typeEbEEZZNS1_14partition_implILS8_3ELb0ES6_jNS0_17counting_iteratorIjlEEPS9_SE_NS0_5tupleIJPjSE_EEENSF_IJSE_SE_EEES9_SG_JZNS1_25segmented_radix_sort_implINS0_14default_configELb0EPK6__halfPSL_PKlPlN2at6native12_GLOBAL__N_18offset_tEEE10hipError_tPvRmT1_PNSt15iterator_traitsISZ_E10value_typeET2_T3_PNS10_IS15_E10value_typeET4_jRbjT5_S1B_jjP12ihipStream_tbEUljE_EEESW_SX_SY_S15_S19_S1B_T6_T7_T9_mT8_S1D_bDpT10_ENKUlT_T0_E_clISt17integral_constantIbLb1EES1Q_EEDaS1L_S1M_EUlS1L_E_NS1_11comp_targetILNS1_3genE9ELNS1_11target_archE1100ELNS1_3gpuE3ELNS1_3repE0EEENS1_30default_config_static_selectorELNS0_4arch9wavefront6targetE0EEEvSZ_
		.amdhsa_group_segment_fixed_size 0
		.amdhsa_private_segment_fixed_size 0
		.amdhsa_kernarg_size 152
		.amdhsa_user_sgpr_count 6
		.amdhsa_user_sgpr_private_segment_buffer 1
		.amdhsa_user_sgpr_dispatch_ptr 0
		.amdhsa_user_sgpr_queue_ptr 0
		.amdhsa_user_sgpr_kernarg_segment_ptr 1
		.amdhsa_user_sgpr_dispatch_id 0
		.amdhsa_user_sgpr_flat_scratch_init 0
		.amdhsa_user_sgpr_private_segment_size 0
		.amdhsa_wavefront_size32 1
		.amdhsa_uses_dynamic_stack 0
		.amdhsa_system_sgpr_private_segment_wavefront_offset 0
		.amdhsa_system_sgpr_workgroup_id_x 1
		.amdhsa_system_sgpr_workgroup_id_y 0
		.amdhsa_system_sgpr_workgroup_id_z 0
		.amdhsa_system_sgpr_workgroup_info 0
		.amdhsa_system_vgpr_workitem_id 0
		.amdhsa_next_free_vgpr 1
		.amdhsa_next_free_sgpr 1
		.amdhsa_reserve_vcc 0
		.amdhsa_reserve_flat_scratch 0
		.amdhsa_float_round_mode_32 0
		.amdhsa_float_round_mode_16_64 0
		.amdhsa_float_denorm_mode_32 3
		.amdhsa_float_denorm_mode_16_64 3
		.amdhsa_dx10_clamp 1
		.amdhsa_ieee_mode 1
		.amdhsa_fp16_overflow 0
		.amdhsa_workgroup_processor_mode 1
		.amdhsa_memory_ordered 1
		.amdhsa_forward_progress 1
		.amdhsa_shared_vgpr_count 0
		.amdhsa_exception_fp_ieee_invalid_op 0
		.amdhsa_exception_fp_denorm_src 0
		.amdhsa_exception_fp_ieee_div_zero 0
		.amdhsa_exception_fp_ieee_overflow 0
		.amdhsa_exception_fp_ieee_underflow 0
		.amdhsa_exception_fp_ieee_inexact 0
		.amdhsa_exception_int_div_zero 0
	.end_amdhsa_kernel
	.section	.text._ZN7rocprim17ROCPRIM_400000_NS6detail17trampoline_kernelINS0_13select_configILj256ELj13ELNS0_17block_load_methodE3ELS4_3ELS4_3ELNS0_20block_scan_algorithmE0ELj4294967295EEENS1_25partition_config_selectorILNS1_17partition_subalgoE3EjNS0_10empty_typeEbEEZZNS1_14partition_implILS8_3ELb0ES6_jNS0_17counting_iteratorIjlEEPS9_SE_NS0_5tupleIJPjSE_EEENSF_IJSE_SE_EEES9_SG_JZNS1_25segmented_radix_sort_implINS0_14default_configELb0EPK6__halfPSL_PKlPlN2at6native12_GLOBAL__N_18offset_tEEE10hipError_tPvRmT1_PNSt15iterator_traitsISZ_E10value_typeET2_T3_PNS10_IS15_E10value_typeET4_jRbjT5_S1B_jjP12ihipStream_tbEUljE_EEESW_SX_SY_S15_S19_S1B_T6_T7_T9_mT8_S1D_bDpT10_ENKUlT_T0_E_clISt17integral_constantIbLb1EES1Q_EEDaS1L_S1M_EUlS1L_E_NS1_11comp_targetILNS1_3genE9ELNS1_11target_archE1100ELNS1_3gpuE3ELNS1_3repE0EEENS1_30default_config_static_selectorELNS0_4arch9wavefront6targetE0EEEvSZ_,"axG",@progbits,_ZN7rocprim17ROCPRIM_400000_NS6detail17trampoline_kernelINS0_13select_configILj256ELj13ELNS0_17block_load_methodE3ELS4_3ELS4_3ELNS0_20block_scan_algorithmE0ELj4294967295EEENS1_25partition_config_selectorILNS1_17partition_subalgoE3EjNS0_10empty_typeEbEEZZNS1_14partition_implILS8_3ELb0ES6_jNS0_17counting_iteratorIjlEEPS9_SE_NS0_5tupleIJPjSE_EEENSF_IJSE_SE_EEES9_SG_JZNS1_25segmented_radix_sort_implINS0_14default_configELb0EPK6__halfPSL_PKlPlN2at6native12_GLOBAL__N_18offset_tEEE10hipError_tPvRmT1_PNSt15iterator_traitsISZ_E10value_typeET2_T3_PNS10_IS15_E10value_typeET4_jRbjT5_S1B_jjP12ihipStream_tbEUljE_EEESW_SX_SY_S15_S19_S1B_T6_T7_T9_mT8_S1D_bDpT10_ENKUlT_T0_E_clISt17integral_constantIbLb1EES1Q_EEDaS1L_S1M_EUlS1L_E_NS1_11comp_targetILNS1_3genE9ELNS1_11target_archE1100ELNS1_3gpuE3ELNS1_3repE0EEENS1_30default_config_static_selectorELNS0_4arch9wavefront6targetE0EEEvSZ_,comdat
.Lfunc_end1814:
	.size	_ZN7rocprim17ROCPRIM_400000_NS6detail17trampoline_kernelINS0_13select_configILj256ELj13ELNS0_17block_load_methodE3ELS4_3ELS4_3ELNS0_20block_scan_algorithmE0ELj4294967295EEENS1_25partition_config_selectorILNS1_17partition_subalgoE3EjNS0_10empty_typeEbEEZZNS1_14partition_implILS8_3ELb0ES6_jNS0_17counting_iteratorIjlEEPS9_SE_NS0_5tupleIJPjSE_EEENSF_IJSE_SE_EEES9_SG_JZNS1_25segmented_radix_sort_implINS0_14default_configELb0EPK6__halfPSL_PKlPlN2at6native12_GLOBAL__N_18offset_tEEE10hipError_tPvRmT1_PNSt15iterator_traitsISZ_E10value_typeET2_T3_PNS10_IS15_E10value_typeET4_jRbjT5_S1B_jjP12ihipStream_tbEUljE_EEESW_SX_SY_S15_S19_S1B_T6_T7_T9_mT8_S1D_bDpT10_ENKUlT_T0_E_clISt17integral_constantIbLb1EES1Q_EEDaS1L_S1M_EUlS1L_E_NS1_11comp_targetILNS1_3genE9ELNS1_11target_archE1100ELNS1_3gpuE3ELNS1_3repE0EEENS1_30default_config_static_selectorELNS0_4arch9wavefront6targetE0EEEvSZ_, .Lfunc_end1814-_ZN7rocprim17ROCPRIM_400000_NS6detail17trampoline_kernelINS0_13select_configILj256ELj13ELNS0_17block_load_methodE3ELS4_3ELS4_3ELNS0_20block_scan_algorithmE0ELj4294967295EEENS1_25partition_config_selectorILNS1_17partition_subalgoE3EjNS0_10empty_typeEbEEZZNS1_14partition_implILS8_3ELb0ES6_jNS0_17counting_iteratorIjlEEPS9_SE_NS0_5tupleIJPjSE_EEENSF_IJSE_SE_EEES9_SG_JZNS1_25segmented_radix_sort_implINS0_14default_configELb0EPK6__halfPSL_PKlPlN2at6native12_GLOBAL__N_18offset_tEEE10hipError_tPvRmT1_PNSt15iterator_traitsISZ_E10value_typeET2_T3_PNS10_IS15_E10value_typeET4_jRbjT5_S1B_jjP12ihipStream_tbEUljE_EEESW_SX_SY_S15_S19_S1B_T6_T7_T9_mT8_S1D_bDpT10_ENKUlT_T0_E_clISt17integral_constantIbLb1EES1Q_EEDaS1L_S1M_EUlS1L_E_NS1_11comp_targetILNS1_3genE9ELNS1_11target_archE1100ELNS1_3gpuE3ELNS1_3repE0EEENS1_30default_config_static_selectorELNS0_4arch9wavefront6targetE0EEEvSZ_
                                        ; -- End function
	.set _ZN7rocprim17ROCPRIM_400000_NS6detail17trampoline_kernelINS0_13select_configILj256ELj13ELNS0_17block_load_methodE3ELS4_3ELS4_3ELNS0_20block_scan_algorithmE0ELj4294967295EEENS1_25partition_config_selectorILNS1_17partition_subalgoE3EjNS0_10empty_typeEbEEZZNS1_14partition_implILS8_3ELb0ES6_jNS0_17counting_iteratorIjlEEPS9_SE_NS0_5tupleIJPjSE_EEENSF_IJSE_SE_EEES9_SG_JZNS1_25segmented_radix_sort_implINS0_14default_configELb0EPK6__halfPSL_PKlPlN2at6native12_GLOBAL__N_18offset_tEEE10hipError_tPvRmT1_PNSt15iterator_traitsISZ_E10value_typeET2_T3_PNS10_IS15_E10value_typeET4_jRbjT5_S1B_jjP12ihipStream_tbEUljE_EEESW_SX_SY_S15_S19_S1B_T6_T7_T9_mT8_S1D_bDpT10_ENKUlT_T0_E_clISt17integral_constantIbLb1EES1Q_EEDaS1L_S1M_EUlS1L_E_NS1_11comp_targetILNS1_3genE9ELNS1_11target_archE1100ELNS1_3gpuE3ELNS1_3repE0EEENS1_30default_config_static_selectorELNS0_4arch9wavefront6targetE0EEEvSZ_.num_vgpr, 0
	.set _ZN7rocprim17ROCPRIM_400000_NS6detail17trampoline_kernelINS0_13select_configILj256ELj13ELNS0_17block_load_methodE3ELS4_3ELS4_3ELNS0_20block_scan_algorithmE0ELj4294967295EEENS1_25partition_config_selectorILNS1_17partition_subalgoE3EjNS0_10empty_typeEbEEZZNS1_14partition_implILS8_3ELb0ES6_jNS0_17counting_iteratorIjlEEPS9_SE_NS0_5tupleIJPjSE_EEENSF_IJSE_SE_EEES9_SG_JZNS1_25segmented_radix_sort_implINS0_14default_configELb0EPK6__halfPSL_PKlPlN2at6native12_GLOBAL__N_18offset_tEEE10hipError_tPvRmT1_PNSt15iterator_traitsISZ_E10value_typeET2_T3_PNS10_IS15_E10value_typeET4_jRbjT5_S1B_jjP12ihipStream_tbEUljE_EEESW_SX_SY_S15_S19_S1B_T6_T7_T9_mT8_S1D_bDpT10_ENKUlT_T0_E_clISt17integral_constantIbLb1EES1Q_EEDaS1L_S1M_EUlS1L_E_NS1_11comp_targetILNS1_3genE9ELNS1_11target_archE1100ELNS1_3gpuE3ELNS1_3repE0EEENS1_30default_config_static_selectorELNS0_4arch9wavefront6targetE0EEEvSZ_.num_agpr, 0
	.set _ZN7rocprim17ROCPRIM_400000_NS6detail17trampoline_kernelINS0_13select_configILj256ELj13ELNS0_17block_load_methodE3ELS4_3ELS4_3ELNS0_20block_scan_algorithmE0ELj4294967295EEENS1_25partition_config_selectorILNS1_17partition_subalgoE3EjNS0_10empty_typeEbEEZZNS1_14partition_implILS8_3ELb0ES6_jNS0_17counting_iteratorIjlEEPS9_SE_NS0_5tupleIJPjSE_EEENSF_IJSE_SE_EEES9_SG_JZNS1_25segmented_radix_sort_implINS0_14default_configELb0EPK6__halfPSL_PKlPlN2at6native12_GLOBAL__N_18offset_tEEE10hipError_tPvRmT1_PNSt15iterator_traitsISZ_E10value_typeET2_T3_PNS10_IS15_E10value_typeET4_jRbjT5_S1B_jjP12ihipStream_tbEUljE_EEESW_SX_SY_S15_S19_S1B_T6_T7_T9_mT8_S1D_bDpT10_ENKUlT_T0_E_clISt17integral_constantIbLb1EES1Q_EEDaS1L_S1M_EUlS1L_E_NS1_11comp_targetILNS1_3genE9ELNS1_11target_archE1100ELNS1_3gpuE3ELNS1_3repE0EEENS1_30default_config_static_selectorELNS0_4arch9wavefront6targetE0EEEvSZ_.numbered_sgpr, 0
	.set _ZN7rocprim17ROCPRIM_400000_NS6detail17trampoline_kernelINS0_13select_configILj256ELj13ELNS0_17block_load_methodE3ELS4_3ELS4_3ELNS0_20block_scan_algorithmE0ELj4294967295EEENS1_25partition_config_selectorILNS1_17partition_subalgoE3EjNS0_10empty_typeEbEEZZNS1_14partition_implILS8_3ELb0ES6_jNS0_17counting_iteratorIjlEEPS9_SE_NS0_5tupleIJPjSE_EEENSF_IJSE_SE_EEES9_SG_JZNS1_25segmented_radix_sort_implINS0_14default_configELb0EPK6__halfPSL_PKlPlN2at6native12_GLOBAL__N_18offset_tEEE10hipError_tPvRmT1_PNSt15iterator_traitsISZ_E10value_typeET2_T3_PNS10_IS15_E10value_typeET4_jRbjT5_S1B_jjP12ihipStream_tbEUljE_EEESW_SX_SY_S15_S19_S1B_T6_T7_T9_mT8_S1D_bDpT10_ENKUlT_T0_E_clISt17integral_constantIbLb1EES1Q_EEDaS1L_S1M_EUlS1L_E_NS1_11comp_targetILNS1_3genE9ELNS1_11target_archE1100ELNS1_3gpuE3ELNS1_3repE0EEENS1_30default_config_static_selectorELNS0_4arch9wavefront6targetE0EEEvSZ_.num_named_barrier, 0
	.set _ZN7rocprim17ROCPRIM_400000_NS6detail17trampoline_kernelINS0_13select_configILj256ELj13ELNS0_17block_load_methodE3ELS4_3ELS4_3ELNS0_20block_scan_algorithmE0ELj4294967295EEENS1_25partition_config_selectorILNS1_17partition_subalgoE3EjNS0_10empty_typeEbEEZZNS1_14partition_implILS8_3ELb0ES6_jNS0_17counting_iteratorIjlEEPS9_SE_NS0_5tupleIJPjSE_EEENSF_IJSE_SE_EEES9_SG_JZNS1_25segmented_radix_sort_implINS0_14default_configELb0EPK6__halfPSL_PKlPlN2at6native12_GLOBAL__N_18offset_tEEE10hipError_tPvRmT1_PNSt15iterator_traitsISZ_E10value_typeET2_T3_PNS10_IS15_E10value_typeET4_jRbjT5_S1B_jjP12ihipStream_tbEUljE_EEESW_SX_SY_S15_S19_S1B_T6_T7_T9_mT8_S1D_bDpT10_ENKUlT_T0_E_clISt17integral_constantIbLb1EES1Q_EEDaS1L_S1M_EUlS1L_E_NS1_11comp_targetILNS1_3genE9ELNS1_11target_archE1100ELNS1_3gpuE3ELNS1_3repE0EEENS1_30default_config_static_selectorELNS0_4arch9wavefront6targetE0EEEvSZ_.private_seg_size, 0
	.set _ZN7rocprim17ROCPRIM_400000_NS6detail17trampoline_kernelINS0_13select_configILj256ELj13ELNS0_17block_load_methodE3ELS4_3ELS4_3ELNS0_20block_scan_algorithmE0ELj4294967295EEENS1_25partition_config_selectorILNS1_17partition_subalgoE3EjNS0_10empty_typeEbEEZZNS1_14partition_implILS8_3ELb0ES6_jNS0_17counting_iteratorIjlEEPS9_SE_NS0_5tupleIJPjSE_EEENSF_IJSE_SE_EEES9_SG_JZNS1_25segmented_radix_sort_implINS0_14default_configELb0EPK6__halfPSL_PKlPlN2at6native12_GLOBAL__N_18offset_tEEE10hipError_tPvRmT1_PNSt15iterator_traitsISZ_E10value_typeET2_T3_PNS10_IS15_E10value_typeET4_jRbjT5_S1B_jjP12ihipStream_tbEUljE_EEESW_SX_SY_S15_S19_S1B_T6_T7_T9_mT8_S1D_bDpT10_ENKUlT_T0_E_clISt17integral_constantIbLb1EES1Q_EEDaS1L_S1M_EUlS1L_E_NS1_11comp_targetILNS1_3genE9ELNS1_11target_archE1100ELNS1_3gpuE3ELNS1_3repE0EEENS1_30default_config_static_selectorELNS0_4arch9wavefront6targetE0EEEvSZ_.uses_vcc, 0
	.set _ZN7rocprim17ROCPRIM_400000_NS6detail17trampoline_kernelINS0_13select_configILj256ELj13ELNS0_17block_load_methodE3ELS4_3ELS4_3ELNS0_20block_scan_algorithmE0ELj4294967295EEENS1_25partition_config_selectorILNS1_17partition_subalgoE3EjNS0_10empty_typeEbEEZZNS1_14partition_implILS8_3ELb0ES6_jNS0_17counting_iteratorIjlEEPS9_SE_NS0_5tupleIJPjSE_EEENSF_IJSE_SE_EEES9_SG_JZNS1_25segmented_radix_sort_implINS0_14default_configELb0EPK6__halfPSL_PKlPlN2at6native12_GLOBAL__N_18offset_tEEE10hipError_tPvRmT1_PNSt15iterator_traitsISZ_E10value_typeET2_T3_PNS10_IS15_E10value_typeET4_jRbjT5_S1B_jjP12ihipStream_tbEUljE_EEESW_SX_SY_S15_S19_S1B_T6_T7_T9_mT8_S1D_bDpT10_ENKUlT_T0_E_clISt17integral_constantIbLb1EES1Q_EEDaS1L_S1M_EUlS1L_E_NS1_11comp_targetILNS1_3genE9ELNS1_11target_archE1100ELNS1_3gpuE3ELNS1_3repE0EEENS1_30default_config_static_selectorELNS0_4arch9wavefront6targetE0EEEvSZ_.uses_flat_scratch, 0
	.set _ZN7rocprim17ROCPRIM_400000_NS6detail17trampoline_kernelINS0_13select_configILj256ELj13ELNS0_17block_load_methodE3ELS4_3ELS4_3ELNS0_20block_scan_algorithmE0ELj4294967295EEENS1_25partition_config_selectorILNS1_17partition_subalgoE3EjNS0_10empty_typeEbEEZZNS1_14partition_implILS8_3ELb0ES6_jNS0_17counting_iteratorIjlEEPS9_SE_NS0_5tupleIJPjSE_EEENSF_IJSE_SE_EEES9_SG_JZNS1_25segmented_radix_sort_implINS0_14default_configELb0EPK6__halfPSL_PKlPlN2at6native12_GLOBAL__N_18offset_tEEE10hipError_tPvRmT1_PNSt15iterator_traitsISZ_E10value_typeET2_T3_PNS10_IS15_E10value_typeET4_jRbjT5_S1B_jjP12ihipStream_tbEUljE_EEESW_SX_SY_S15_S19_S1B_T6_T7_T9_mT8_S1D_bDpT10_ENKUlT_T0_E_clISt17integral_constantIbLb1EES1Q_EEDaS1L_S1M_EUlS1L_E_NS1_11comp_targetILNS1_3genE9ELNS1_11target_archE1100ELNS1_3gpuE3ELNS1_3repE0EEENS1_30default_config_static_selectorELNS0_4arch9wavefront6targetE0EEEvSZ_.has_dyn_sized_stack, 0
	.set _ZN7rocprim17ROCPRIM_400000_NS6detail17trampoline_kernelINS0_13select_configILj256ELj13ELNS0_17block_load_methodE3ELS4_3ELS4_3ELNS0_20block_scan_algorithmE0ELj4294967295EEENS1_25partition_config_selectorILNS1_17partition_subalgoE3EjNS0_10empty_typeEbEEZZNS1_14partition_implILS8_3ELb0ES6_jNS0_17counting_iteratorIjlEEPS9_SE_NS0_5tupleIJPjSE_EEENSF_IJSE_SE_EEES9_SG_JZNS1_25segmented_radix_sort_implINS0_14default_configELb0EPK6__halfPSL_PKlPlN2at6native12_GLOBAL__N_18offset_tEEE10hipError_tPvRmT1_PNSt15iterator_traitsISZ_E10value_typeET2_T3_PNS10_IS15_E10value_typeET4_jRbjT5_S1B_jjP12ihipStream_tbEUljE_EEESW_SX_SY_S15_S19_S1B_T6_T7_T9_mT8_S1D_bDpT10_ENKUlT_T0_E_clISt17integral_constantIbLb1EES1Q_EEDaS1L_S1M_EUlS1L_E_NS1_11comp_targetILNS1_3genE9ELNS1_11target_archE1100ELNS1_3gpuE3ELNS1_3repE0EEENS1_30default_config_static_selectorELNS0_4arch9wavefront6targetE0EEEvSZ_.has_recursion, 0
	.set _ZN7rocprim17ROCPRIM_400000_NS6detail17trampoline_kernelINS0_13select_configILj256ELj13ELNS0_17block_load_methodE3ELS4_3ELS4_3ELNS0_20block_scan_algorithmE0ELj4294967295EEENS1_25partition_config_selectorILNS1_17partition_subalgoE3EjNS0_10empty_typeEbEEZZNS1_14partition_implILS8_3ELb0ES6_jNS0_17counting_iteratorIjlEEPS9_SE_NS0_5tupleIJPjSE_EEENSF_IJSE_SE_EEES9_SG_JZNS1_25segmented_radix_sort_implINS0_14default_configELb0EPK6__halfPSL_PKlPlN2at6native12_GLOBAL__N_18offset_tEEE10hipError_tPvRmT1_PNSt15iterator_traitsISZ_E10value_typeET2_T3_PNS10_IS15_E10value_typeET4_jRbjT5_S1B_jjP12ihipStream_tbEUljE_EEESW_SX_SY_S15_S19_S1B_T6_T7_T9_mT8_S1D_bDpT10_ENKUlT_T0_E_clISt17integral_constantIbLb1EES1Q_EEDaS1L_S1M_EUlS1L_E_NS1_11comp_targetILNS1_3genE9ELNS1_11target_archE1100ELNS1_3gpuE3ELNS1_3repE0EEENS1_30default_config_static_selectorELNS0_4arch9wavefront6targetE0EEEvSZ_.has_indirect_call, 0
	.section	.AMDGPU.csdata,"",@progbits
; Kernel info:
; codeLenInByte = 0
; TotalNumSgprs: 0
; NumVgprs: 0
; ScratchSize: 0
; MemoryBound: 0
; FloatMode: 240
; IeeeMode: 1
; LDSByteSize: 0 bytes/workgroup (compile time only)
; SGPRBlocks: 0
; VGPRBlocks: 0
; NumSGPRsForWavesPerEU: 1
; NumVGPRsForWavesPerEU: 1
; Occupancy: 16
; WaveLimiterHint : 0
; COMPUTE_PGM_RSRC2:SCRATCH_EN: 0
; COMPUTE_PGM_RSRC2:USER_SGPR: 6
; COMPUTE_PGM_RSRC2:TRAP_HANDLER: 0
; COMPUTE_PGM_RSRC2:TGID_X_EN: 1
; COMPUTE_PGM_RSRC2:TGID_Y_EN: 0
; COMPUTE_PGM_RSRC2:TGID_Z_EN: 0
; COMPUTE_PGM_RSRC2:TIDIG_COMP_CNT: 0
	.section	.text._ZN7rocprim17ROCPRIM_400000_NS6detail17trampoline_kernelINS0_13select_configILj256ELj13ELNS0_17block_load_methodE3ELS4_3ELS4_3ELNS0_20block_scan_algorithmE0ELj4294967295EEENS1_25partition_config_selectorILNS1_17partition_subalgoE3EjNS0_10empty_typeEbEEZZNS1_14partition_implILS8_3ELb0ES6_jNS0_17counting_iteratorIjlEEPS9_SE_NS0_5tupleIJPjSE_EEENSF_IJSE_SE_EEES9_SG_JZNS1_25segmented_radix_sort_implINS0_14default_configELb0EPK6__halfPSL_PKlPlN2at6native12_GLOBAL__N_18offset_tEEE10hipError_tPvRmT1_PNSt15iterator_traitsISZ_E10value_typeET2_T3_PNS10_IS15_E10value_typeET4_jRbjT5_S1B_jjP12ihipStream_tbEUljE_EEESW_SX_SY_S15_S19_S1B_T6_T7_T9_mT8_S1D_bDpT10_ENKUlT_T0_E_clISt17integral_constantIbLb1EES1Q_EEDaS1L_S1M_EUlS1L_E_NS1_11comp_targetILNS1_3genE8ELNS1_11target_archE1030ELNS1_3gpuE2ELNS1_3repE0EEENS1_30default_config_static_selectorELNS0_4arch9wavefront6targetE0EEEvSZ_,"axG",@progbits,_ZN7rocprim17ROCPRIM_400000_NS6detail17trampoline_kernelINS0_13select_configILj256ELj13ELNS0_17block_load_methodE3ELS4_3ELS4_3ELNS0_20block_scan_algorithmE0ELj4294967295EEENS1_25partition_config_selectorILNS1_17partition_subalgoE3EjNS0_10empty_typeEbEEZZNS1_14partition_implILS8_3ELb0ES6_jNS0_17counting_iteratorIjlEEPS9_SE_NS0_5tupleIJPjSE_EEENSF_IJSE_SE_EEES9_SG_JZNS1_25segmented_radix_sort_implINS0_14default_configELb0EPK6__halfPSL_PKlPlN2at6native12_GLOBAL__N_18offset_tEEE10hipError_tPvRmT1_PNSt15iterator_traitsISZ_E10value_typeET2_T3_PNS10_IS15_E10value_typeET4_jRbjT5_S1B_jjP12ihipStream_tbEUljE_EEESW_SX_SY_S15_S19_S1B_T6_T7_T9_mT8_S1D_bDpT10_ENKUlT_T0_E_clISt17integral_constantIbLb1EES1Q_EEDaS1L_S1M_EUlS1L_E_NS1_11comp_targetILNS1_3genE8ELNS1_11target_archE1030ELNS1_3gpuE2ELNS1_3repE0EEENS1_30default_config_static_selectorELNS0_4arch9wavefront6targetE0EEEvSZ_,comdat
	.globl	_ZN7rocprim17ROCPRIM_400000_NS6detail17trampoline_kernelINS0_13select_configILj256ELj13ELNS0_17block_load_methodE3ELS4_3ELS4_3ELNS0_20block_scan_algorithmE0ELj4294967295EEENS1_25partition_config_selectorILNS1_17partition_subalgoE3EjNS0_10empty_typeEbEEZZNS1_14partition_implILS8_3ELb0ES6_jNS0_17counting_iteratorIjlEEPS9_SE_NS0_5tupleIJPjSE_EEENSF_IJSE_SE_EEES9_SG_JZNS1_25segmented_radix_sort_implINS0_14default_configELb0EPK6__halfPSL_PKlPlN2at6native12_GLOBAL__N_18offset_tEEE10hipError_tPvRmT1_PNSt15iterator_traitsISZ_E10value_typeET2_T3_PNS10_IS15_E10value_typeET4_jRbjT5_S1B_jjP12ihipStream_tbEUljE_EEESW_SX_SY_S15_S19_S1B_T6_T7_T9_mT8_S1D_bDpT10_ENKUlT_T0_E_clISt17integral_constantIbLb1EES1Q_EEDaS1L_S1M_EUlS1L_E_NS1_11comp_targetILNS1_3genE8ELNS1_11target_archE1030ELNS1_3gpuE2ELNS1_3repE0EEENS1_30default_config_static_selectorELNS0_4arch9wavefront6targetE0EEEvSZ_ ; -- Begin function _ZN7rocprim17ROCPRIM_400000_NS6detail17trampoline_kernelINS0_13select_configILj256ELj13ELNS0_17block_load_methodE3ELS4_3ELS4_3ELNS0_20block_scan_algorithmE0ELj4294967295EEENS1_25partition_config_selectorILNS1_17partition_subalgoE3EjNS0_10empty_typeEbEEZZNS1_14partition_implILS8_3ELb0ES6_jNS0_17counting_iteratorIjlEEPS9_SE_NS0_5tupleIJPjSE_EEENSF_IJSE_SE_EEES9_SG_JZNS1_25segmented_radix_sort_implINS0_14default_configELb0EPK6__halfPSL_PKlPlN2at6native12_GLOBAL__N_18offset_tEEE10hipError_tPvRmT1_PNSt15iterator_traitsISZ_E10value_typeET2_T3_PNS10_IS15_E10value_typeET4_jRbjT5_S1B_jjP12ihipStream_tbEUljE_EEESW_SX_SY_S15_S19_S1B_T6_T7_T9_mT8_S1D_bDpT10_ENKUlT_T0_E_clISt17integral_constantIbLb1EES1Q_EEDaS1L_S1M_EUlS1L_E_NS1_11comp_targetILNS1_3genE8ELNS1_11target_archE1030ELNS1_3gpuE2ELNS1_3repE0EEENS1_30default_config_static_selectorELNS0_4arch9wavefront6targetE0EEEvSZ_
	.p2align	8
	.type	_ZN7rocprim17ROCPRIM_400000_NS6detail17trampoline_kernelINS0_13select_configILj256ELj13ELNS0_17block_load_methodE3ELS4_3ELS4_3ELNS0_20block_scan_algorithmE0ELj4294967295EEENS1_25partition_config_selectorILNS1_17partition_subalgoE3EjNS0_10empty_typeEbEEZZNS1_14partition_implILS8_3ELb0ES6_jNS0_17counting_iteratorIjlEEPS9_SE_NS0_5tupleIJPjSE_EEENSF_IJSE_SE_EEES9_SG_JZNS1_25segmented_radix_sort_implINS0_14default_configELb0EPK6__halfPSL_PKlPlN2at6native12_GLOBAL__N_18offset_tEEE10hipError_tPvRmT1_PNSt15iterator_traitsISZ_E10value_typeET2_T3_PNS10_IS15_E10value_typeET4_jRbjT5_S1B_jjP12ihipStream_tbEUljE_EEESW_SX_SY_S15_S19_S1B_T6_T7_T9_mT8_S1D_bDpT10_ENKUlT_T0_E_clISt17integral_constantIbLb1EES1Q_EEDaS1L_S1M_EUlS1L_E_NS1_11comp_targetILNS1_3genE8ELNS1_11target_archE1030ELNS1_3gpuE2ELNS1_3repE0EEENS1_30default_config_static_selectorELNS0_4arch9wavefront6targetE0EEEvSZ_,@function
_ZN7rocprim17ROCPRIM_400000_NS6detail17trampoline_kernelINS0_13select_configILj256ELj13ELNS0_17block_load_methodE3ELS4_3ELS4_3ELNS0_20block_scan_algorithmE0ELj4294967295EEENS1_25partition_config_selectorILNS1_17partition_subalgoE3EjNS0_10empty_typeEbEEZZNS1_14partition_implILS8_3ELb0ES6_jNS0_17counting_iteratorIjlEEPS9_SE_NS0_5tupleIJPjSE_EEENSF_IJSE_SE_EEES9_SG_JZNS1_25segmented_radix_sort_implINS0_14default_configELb0EPK6__halfPSL_PKlPlN2at6native12_GLOBAL__N_18offset_tEEE10hipError_tPvRmT1_PNSt15iterator_traitsISZ_E10value_typeET2_T3_PNS10_IS15_E10value_typeET4_jRbjT5_S1B_jjP12ihipStream_tbEUljE_EEESW_SX_SY_S15_S19_S1B_T6_T7_T9_mT8_S1D_bDpT10_ENKUlT_T0_E_clISt17integral_constantIbLb1EES1Q_EEDaS1L_S1M_EUlS1L_E_NS1_11comp_targetILNS1_3genE8ELNS1_11target_archE1030ELNS1_3gpuE2ELNS1_3repE0EEENS1_30default_config_static_selectorELNS0_4arch9wavefront6targetE0EEEvSZ_: ; @_ZN7rocprim17ROCPRIM_400000_NS6detail17trampoline_kernelINS0_13select_configILj256ELj13ELNS0_17block_load_methodE3ELS4_3ELS4_3ELNS0_20block_scan_algorithmE0ELj4294967295EEENS1_25partition_config_selectorILNS1_17partition_subalgoE3EjNS0_10empty_typeEbEEZZNS1_14partition_implILS8_3ELb0ES6_jNS0_17counting_iteratorIjlEEPS9_SE_NS0_5tupleIJPjSE_EEENSF_IJSE_SE_EEES9_SG_JZNS1_25segmented_radix_sort_implINS0_14default_configELb0EPK6__halfPSL_PKlPlN2at6native12_GLOBAL__N_18offset_tEEE10hipError_tPvRmT1_PNSt15iterator_traitsISZ_E10value_typeET2_T3_PNS10_IS15_E10value_typeET4_jRbjT5_S1B_jjP12ihipStream_tbEUljE_EEESW_SX_SY_S15_S19_S1B_T6_T7_T9_mT8_S1D_bDpT10_ENKUlT_T0_E_clISt17integral_constantIbLb1EES1Q_EEDaS1L_S1M_EUlS1L_E_NS1_11comp_targetILNS1_3genE8ELNS1_11target_archE1030ELNS1_3gpuE2ELNS1_3repE0EEENS1_30default_config_static_selectorELNS0_4arch9wavefront6targetE0EEEvSZ_
; %bb.0:
	s_endpgm
	.section	.rodata,"a",@progbits
	.p2align	6, 0x0
	.amdhsa_kernel _ZN7rocprim17ROCPRIM_400000_NS6detail17trampoline_kernelINS0_13select_configILj256ELj13ELNS0_17block_load_methodE3ELS4_3ELS4_3ELNS0_20block_scan_algorithmE0ELj4294967295EEENS1_25partition_config_selectorILNS1_17partition_subalgoE3EjNS0_10empty_typeEbEEZZNS1_14partition_implILS8_3ELb0ES6_jNS0_17counting_iteratorIjlEEPS9_SE_NS0_5tupleIJPjSE_EEENSF_IJSE_SE_EEES9_SG_JZNS1_25segmented_radix_sort_implINS0_14default_configELb0EPK6__halfPSL_PKlPlN2at6native12_GLOBAL__N_18offset_tEEE10hipError_tPvRmT1_PNSt15iterator_traitsISZ_E10value_typeET2_T3_PNS10_IS15_E10value_typeET4_jRbjT5_S1B_jjP12ihipStream_tbEUljE_EEESW_SX_SY_S15_S19_S1B_T6_T7_T9_mT8_S1D_bDpT10_ENKUlT_T0_E_clISt17integral_constantIbLb1EES1Q_EEDaS1L_S1M_EUlS1L_E_NS1_11comp_targetILNS1_3genE8ELNS1_11target_archE1030ELNS1_3gpuE2ELNS1_3repE0EEENS1_30default_config_static_selectorELNS0_4arch9wavefront6targetE0EEEvSZ_
		.amdhsa_group_segment_fixed_size 0
		.amdhsa_private_segment_fixed_size 0
		.amdhsa_kernarg_size 152
		.amdhsa_user_sgpr_count 6
		.amdhsa_user_sgpr_private_segment_buffer 1
		.amdhsa_user_sgpr_dispatch_ptr 0
		.amdhsa_user_sgpr_queue_ptr 0
		.amdhsa_user_sgpr_kernarg_segment_ptr 1
		.amdhsa_user_sgpr_dispatch_id 0
		.amdhsa_user_sgpr_flat_scratch_init 0
		.amdhsa_user_sgpr_private_segment_size 0
		.amdhsa_wavefront_size32 1
		.amdhsa_uses_dynamic_stack 0
		.amdhsa_system_sgpr_private_segment_wavefront_offset 0
		.amdhsa_system_sgpr_workgroup_id_x 1
		.amdhsa_system_sgpr_workgroup_id_y 0
		.amdhsa_system_sgpr_workgroup_id_z 0
		.amdhsa_system_sgpr_workgroup_info 0
		.amdhsa_system_vgpr_workitem_id 0
		.amdhsa_next_free_vgpr 1
		.amdhsa_next_free_sgpr 1
		.amdhsa_reserve_vcc 0
		.amdhsa_reserve_flat_scratch 0
		.amdhsa_float_round_mode_32 0
		.amdhsa_float_round_mode_16_64 0
		.amdhsa_float_denorm_mode_32 3
		.amdhsa_float_denorm_mode_16_64 3
		.amdhsa_dx10_clamp 1
		.amdhsa_ieee_mode 1
		.amdhsa_fp16_overflow 0
		.amdhsa_workgroup_processor_mode 1
		.amdhsa_memory_ordered 1
		.amdhsa_forward_progress 1
		.amdhsa_shared_vgpr_count 0
		.amdhsa_exception_fp_ieee_invalid_op 0
		.amdhsa_exception_fp_denorm_src 0
		.amdhsa_exception_fp_ieee_div_zero 0
		.amdhsa_exception_fp_ieee_overflow 0
		.amdhsa_exception_fp_ieee_underflow 0
		.amdhsa_exception_fp_ieee_inexact 0
		.amdhsa_exception_int_div_zero 0
	.end_amdhsa_kernel
	.section	.text._ZN7rocprim17ROCPRIM_400000_NS6detail17trampoline_kernelINS0_13select_configILj256ELj13ELNS0_17block_load_methodE3ELS4_3ELS4_3ELNS0_20block_scan_algorithmE0ELj4294967295EEENS1_25partition_config_selectorILNS1_17partition_subalgoE3EjNS0_10empty_typeEbEEZZNS1_14partition_implILS8_3ELb0ES6_jNS0_17counting_iteratorIjlEEPS9_SE_NS0_5tupleIJPjSE_EEENSF_IJSE_SE_EEES9_SG_JZNS1_25segmented_radix_sort_implINS0_14default_configELb0EPK6__halfPSL_PKlPlN2at6native12_GLOBAL__N_18offset_tEEE10hipError_tPvRmT1_PNSt15iterator_traitsISZ_E10value_typeET2_T3_PNS10_IS15_E10value_typeET4_jRbjT5_S1B_jjP12ihipStream_tbEUljE_EEESW_SX_SY_S15_S19_S1B_T6_T7_T9_mT8_S1D_bDpT10_ENKUlT_T0_E_clISt17integral_constantIbLb1EES1Q_EEDaS1L_S1M_EUlS1L_E_NS1_11comp_targetILNS1_3genE8ELNS1_11target_archE1030ELNS1_3gpuE2ELNS1_3repE0EEENS1_30default_config_static_selectorELNS0_4arch9wavefront6targetE0EEEvSZ_,"axG",@progbits,_ZN7rocprim17ROCPRIM_400000_NS6detail17trampoline_kernelINS0_13select_configILj256ELj13ELNS0_17block_load_methodE3ELS4_3ELS4_3ELNS0_20block_scan_algorithmE0ELj4294967295EEENS1_25partition_config_selectorILNS1_17partition_subalgoE3EjNS0_10empty_typeEbEEZZNS1_14partition_implILS8_3ELb0ES6_jNS0_17counting_iteratorIjlEEPS9_SE_NS0_5tupleIJPjSE_EEENSF_IJSE_SE_EEES9_SG_JZNS1_25segmented_radix_sort_implINS0_14default_configELb0EPK6__halfPSL_PKlPlN2at6native12_GLOBAL__N_18offset_tEEE10hipError_tPvRmT1_PNSt15iterator_traitsISZ_E10value_typeET2_T3_PNS10_IS15_E10value_typeET4_jRbjT5_S1B_jjP12ihipStream_tbEUljE_EEESW_SX_SY_S15_S19_S1B_T6_T7_T9_mT8_S1D_bDpT10_ENKUlT_T0_E_clISt17integral_constantIbLb1EES1Q_EEDaS1L_S1M_EUlS1L_E_NS1_11comp_targetILNS1_3genE8ELNS1_11target_archE1030ELNS1_3gpuE2ELNS1_3repE0EEENS1_30default_config_static_selectorELNS0_4arch9wavefront6targetE0EEEvSZ_,comdat
.Lfunc_end1815:
	.size	_ZN7rocprim17ROCPRIM_400000_NS6detail17trampoline_kernelINS0_13select_configILj256ELj13ELNS0_17block_load_methodE3ELS4_3ELS4_3ELNS0_20block_scan_algorithmE0ELj4294967295EEENS1_25partition_config_selectorILNS1_17partition_subalgoE3EjNS0_10empty_typeEbEEZZNS1_14partition_implILS8_3ELb0ES6_jNS0_17counting_iteratorIjlEEPS9_SE_NS0_5tupleIJPjSE_EEENSF_IJSE_SE_EEES9_SG_JZNS1_25segmented_radix_sort_implINS0_14default_configELb0EPK6__halfPSL_PKlPlN2at6native12_GLOBAL__N_18offset_tEEE10hipError_tPvRmT1_PNSt15iterator_traitsISZ_E10value_typeET2_T3_PNS10_IS15_E10value_typeET4_jRbjT5_S1B_jjP12ihipStream_tbEUljE_EEESW_SX_SY_S15_S19_S1B_T6_T7_T9_mT8_S1D_bDpT10_ENKUlT_T0_E_clISt17integral_constantIbLb1EES1Q_EEDaS1L_S1M_EUlS1L_E_NS1_11comp_targetILNS1_3genE8ELNS1_11target_archE1030ELNS1_3gpuE2ELNS1_3repE0EEENS1_30default_config_static_selectorELNS0_4arch9wavefront6targetE0EEEvSZ_, .Lfunc_end1815-_ZN7rocprim17ROCPRIM_400000_NS6detail17trampoline_kernelINS0_13select_configILj256ELj13ELNS0_17block_load_methodE3ELS4_3ELS4_3ELNS0_20block_scan_algorithmE0ELj4294967295EEENS1_25partition_config_selectorILNS1_17partition_subalgoE3EjNS0_10empty_typeEbEEZZNS1_14partition_implILS8_3ELb0ES6_jNS0_17counting_iteratorIjlEEPS9_SE_NS0_5tupleIJPjSE_EEENSF_IJSE_SE_EEES9_SG_JZNS1_25segmented_radix_sort_implINS0_14default_configELb0EPK6__halfPSL_PKlPlN2at6native12_GLOBAL__N_18offset_tEEE10hipError_tPvRmT1_PNSt15iterator_traitsISZ_E10value_typeET2_T3_PNS10_IS15_E10value_typeET4_jRbjT5_S1B_jjP12ihipStream_tbEUljE_EEESW_SX_SY_S15_S19_S1B_T6_T7_T9_mT8_S1D_bDpT10_ENKUlT_T0_E_clISt17integral_constantIbLb1EES1Q_EEDaS1L_S1M_EUlS1L_E_NS1_11comp_targetILNS1_3genE8ELNS1_11target_archE1030ELNS1_3gpuE2ELNS1_3repE0EEENS1_30default_config_static_selectorELNS0_4arch9wavefront6targetE0EEEvSZ_
                                        ; -- End function
	.set _ZN7rocprim17ROCPRIM_400000_NS6detail17trampoline_kernelINS0_13select_configILj256ELj13ELNS0_17block_load_methodE3ELS4_3ELS4_3ELNS0_20block_scan_algorithmE0ELj4294967295EEENS1_25partition_config_selectorILNS1_17partition_subalgoE3EjNS0_10empty_typeEbEEZZNS1_14partition_implILS8_3ELb0ES6_jNS0_17counting_iteratorIjlEEPS9_SE_NS0_5tupleIJPjSE_EEENSF_IJSE_SE_EEES9_SG_JZNS1_25segmented_radix_sort_implINS0_14default_configELb0EPK6__halfPSL_PKlPlN2at6native12_GLOBAL__N_18offset_tEEE10hipError_tPvRmT1_PNSt15iterator_traitsISZ_E10value_typeET2_T3_PNS10_IS15_E10value_typeET4_jRbjT5_S1B_jjP12ihipStream_tbEUljE_EEESW_SX_SY_S15_S19_S1B_T6_T7_T9_mT8_S1D_bDpT10_ENKUlT_T0_E_clISt17integral_constantIbLb1EES1Q_EEDaS1L_S1M_EUlS1L_E_NS1_11comp_targetILNS1_3genE8ELNS1_11target_archE1030ELNS1_3gpuE2ELNS1_3repE0EEENS1_30default_config_static_selectorELNS0_4arch9wavefront6targetE0EEEvSZ_.num_vgpr, 0
	.set _ZN7rocprim17ROCPRIM_400000_NS6detail17trampoline_kernelINS0_13select_configILj256ELj13ELNS0_17block_load_methodE3ELS4_3ELS4_3ELNS0_20block_scan_algorithmE0ELj4294967295EEENS1_25partition_config_selectorILNS1_17partition_subalgoE3EjNS0_10empty_typeEbEEZZNS1_14partition_implILS8_3ELb0ES6_jNS0_17counting_iteratorIjlEEPS9_SE_NS0_5tupleIJPjSE_EEENSF_IJSE_SE_EEES9_SG_JZNS1_25segmented_radix_sort_implINS0_14default_configELb0EPK6__halfPSL_PKlPlN2at6native12_GLOBAL__N_18offset_tEEE10hipError_tPvRmT1_PNSt15iterator_traitsISZ_E10value_typeET2_T3_PNS10_IS15_E10value_typeET4_jRbjT5_S1B_jjP12ihipStream_tbEUljE_EEESW_SX_SY_S15_S19_S1B_T6_T7_T9_mT8_S1D_bDpT10_ENKUlT_T0_E_clISt17integral_constantIbLb1EES1Q_EEDaS1L_S1M_EUlS1L_E_NS1_11comp_targetILNS1_3genE8ELNS1_11target_archE1030ELNS1_3gpuE2ELNS1_3repE0EEENS1_30default_config_static_selectorELNS0_4arch9wavefront6targetE0EEEvSZ_.num_agpr, 0
	.set _ZN7rocprim17ROCPRIM_400000_NS6detail17trampoline_kernelINS0_13select_configILj256ELj13ELNS0_17block_load_methodE3ELS4_3ELS4_3ELNS0_20block_scan_algorithmE0ELj4294967295EEENS1_25partition_config_selectorILNS1_17partition_subalgoE3EjNS0_10empty_typeEbEEZZNS1_14partition_implILS8_3ELb0ES6_jNS0_17counting_iteratorIjlEEPS9_SE_NS0_5tupleIJPjSE_EEENSF_IJSE_SE_EEES9_SG_JZNS1_25segmented_radix_sort_implINS0_14default_configELb0EPK6__halfPSL_PKlPlN2at6native12_GLOBAL__N_18offset_tEEE10hipError_tPvRmT1_PNSt15iterator_traitsISZ_E10value_typeET2_T3_PNS10_IS15_E10value_typeET4_jRbjT5_S1B_jjP12ihipStream_tbEUljE_EEESW_SX_SY_S15_S19_S1B_T6_T7_T9_mT8_S1D_bDpT10_ENKUlT_T0_E_clISt17integral_constantIbLb1EES1Q_EEDaS1L_S1M_EUlS1L_E_NS1_11comp_targetILNS1_3genE8ELNS1_11target_archE1030ELNS1_3gpuE2ELNS1_3repE0EEENS1_30default_config_static_selectorELNS0_4arch9wavefront6targetE0EEEvSZ_.numbered_sgpr, 0
	.set _ZN7rocprim17ROCPRIM_400000_NS6detail17trampoline_kernelINS0_13select_configILj256ELj13ELNS0_17block_load_methodE3ELS4_3ELS4_3ELNS0_20block_scan_algorithmE0ELj4294967295EEENS1_25partition_config_selectorILNS1_17partition_subalgoE3EjNS0_10empty_typeEbEEZZNS1_14partition_implILS8_3ELb0ES6_jNS0_17counting_iteratorIjlEEPS9_SE_NS0_5tupleIJPjSE_EEENSF_IJSE_SE_EEES9_SG_JZNS1_25segmented_radix_sort_implINS0_14default_configELb0EPK6__halfPSL_PKlPlN2at6native12_GLOBAL__N_18offset_tEEE10hipError_tPvRmT1_PNSt15iterator_traitsISZ_E10value_typeET2_T3_PNS10_IS15_E10value_typeET4_jRbjT5_S1B_jjP12ihipStream_tbEUljE_EEESW_SX_SY_S15_S19_S1B_T6_T7_T9_mT8_S1D_bDpT10_ENKUlT_T0_E_clISt17integral_constantIbLb1EES1Q_EEDaS1L_S1M_EUlS1L_E_NS1_11comp_targetILNS1_3genE8ELNS1_11target_archE1030ELNS1_3gpuE2ELNS1_3repE0EEENS1_30default_config_static_selectorELNS0_4arch9wavefront6targetE0EEEvSZ_.num_named_barrier, 0
	.set _ZN7rocprim17ROCPRIM_400000_NS6detail17trampoline_kernelINS0_13select_configILj256ELj13ELNS0_17block_load_methodE3ELS4_3ELS4_3ELNS0_20block_scan_algorithmE0ELj4294967295EEENS1_25partition_config_selectorILNS1_17partition_subalgoE3EjNS0_10empty_typeEbEEZZNS1_14partition_implILS8_3ELb0ES6_jNS0_17counting_iteratorIjlEEPS9_SE_NS0_5tupleIJPjSE_EEENSF_IJSE_SE_EEES9_SG_JZNS1_25segmented_radix_sort_implINS0_14default_configELb0EPK6__halfPSL_PKlPlN2at6native12_GLOBAL__N_18offset_tEEE10hipError_tPvRmT1_PNSt15iterator_traitsISZ_E10value_typeET2_T3_PNS10_IS15_E10value_typeET4_jRbjT5_S1B_jjP12ihipStream_tbEUljE_EEESW_SX_SY_S15_S19_S1B_T6_T7_T9_mT8_S1D_bDpT10_ENKUlT_T0_E_clISt17integral_constantIbLb1EES1Q_EEDaS1L_S1M_EUlS1L_E_NS1_11comp_targetILNS1_3genE8ELNS1_11target_archE1030ELNS1_3gpuE2ELNS1_3repE0EEENS1_30default_config_static_selectorELNS0_4arch9wavefront6targetE0EEEvSZ_.private_seg_size, 0
	.set _ZN7rocprim17ROCPRIM_400000_NS6detail17trampoline_kernelINS0_13select_configILj256ELj13ELNS0_17block_load_methodE3ELS4_3ELS4_3ELNS0_20block_scan_algorithmE0ELj4294967295EEENS1_25partition_config_selectorILNS1_17partition_subalgoE3EjNS0_10empty_typeEbEEZZNS1_14partition_implILS8_3ELb0ES6_jNS0_17counting_iteratorIjlEEPS9_SE_NS0_5tupleIJPjSE_EEENSF_IJSE_SE_EEES9_SG_JZNS1_25segmented_radix_sort_implINS0_14default_configELb0EPK6__halfPSL_PKlPlN2at6native12_GLOBAL__N_18offset_tEEE10hipError_tPvRmT1_PNSt15iterator_traitsISZ_E10value_typeET2_T3_PNS10_IS15_E10value_typeET4_jRbjT5_S1B_jjP12ihipStream_tbEUljE_EEESW_SX_SY_S15_S19_S1B_T6_T7_T9_mT8_S1D_bDpT10_ENKUlT_T0_E_clISt17integral_constantIbLb1EES1Q_EEDaS1L_S1M_EUlS1L_E_NS1_11comp_targetILNS1_3genE8ELNS1_11target_archE1030ELNS1_3gpuE2ELNS1_3repE0EEENS1_30default_config_static_selectorELNS0_4arch9wavefront6targetE0EEEvSZ_.uses_vcc, 0
	.set _ZN7rocprim17ROCPRIM_400000_NS6detail17trampoline_kernelINS0_13select_configILj256ELj13ELNS0_17block_load_methodE3ELS4_3ELS4_3ELNS0_20block_scan_algorithmE0ELj4294967295EEENS1_25partition_config_selectorILNS1_17partition_subalgoE3EjNS0_10empty_typeEbEEZZNS1_14partition_implILS8_3ELb0ES6_jNS0_17counting_iteratorIjlEEPS9_SE_NS0_5tupleIJPjSE_EEENSF_IJSE_SE_EEES9_SG_JZNS1_25segmented_radix_sort_implINS0_14default_configELb0EPK6__halfPSL_PKlPlN2at6native12_GLOBAL__N_18offset_tEEE10hipError_tPvRmT1_PNSt15iterator_traitsISZ_E10value_typeET2_T3_PNS10_IS15_E10value_typeET4_jRbjT5_S1B_jjP12ihipStream_tbEUljE_EEESW_SX_SY_S15_S19_S1B_T6_T7_T9_mT8_S1D_bDpT10_ENKUlT_T0_E_clISt17integral_constantIbLb1EES1Q_EEDaS1L_S1M_EUlS1L_E_NS1_11comp_targetILNS1_3genE8ELNS1_11target_archE1030ELNS1_3gpuE2ELNS1_3repE0EEENS1_30default_config_static_selectorELNS0_4arch9wavefront6targetE0EEEvSZ_.uses_flat_scratch, 0
	.set _ZN7rocprim17ROCPRIM_400000_NS6detail17trampoline_kernelINS0_13select_configILj256ELj13ELNS0_17block_load_methodE3ELS4_3ELS4_3ELNS0_20block_scan_algorithmE0ELj4294967295EEENS1_25partition_config_selectorILNS1_17partition_subalgoE3EjNS0_10empty_typeEbEEZZNS1_14partition_implILS8_3ELb0ES6_jNS0_17counting_iteratorIjlEEPS9_SE_NS0_5tupleIJPjSE_EEENSF_IJSE_SE_EEES9_SG_JZNS1_25segmented_radix_sort_implINS0_14default_configELb0EPK6__halfPSL_PKlPlN2at6native12_GLOBAL__N_18offset_tEEE10hipError_tPvRmT1_PNSt15iterator_traitsISZ_E10value_typeET2_T3_PNS10_IS15_E10value_typeET4_jRbjT5_S1B_jjP12ihipStream_tbEUljE_EEESW_SX_SY_S15_S19_S1B_T6_T7_T9_mT8_S1D_bDpT10_ENKUlT_T0_E_clISt17integral_constantIbLb1EES1Q_EEDaS1L_S1M_EUlS1L_E_NS1_11comp_targetILNS1_3genE8ELNS1_11target_archE1030ELNS1_3gpuE2ELNS1_3repE0EEENS1_30default_config_static_selectorELNS0_4arch9wavefront6targetE0EEEvSZ_.has_dyn_sized_stack, 0
	.set _ZN7rocprim17ROCPRIM_400000_NS6detail17trampoline_kernelINS0_13select_configILj256ELj13ELNS0_17block_load_methodE3ELS4_3ELS4_3ELNS0_20block_scan_algorithmE0ELj4294967295EEENS1_25partition_config_selectorILNS1_17partition_subalgoE3EjNS0_10empty_typeEbEEZZNS1_14partition_implILS8_3ELb0ES6_jNS0_17counting_iteratorIjlEEPS9_SE_NS0_5tupleIJPjSE_EEENSF_IJSE_SE_EEES9_SG_JZNS1_25segmented_radix_sort_implINS0_14default_configELb0EPK6__halfPSL_PKlPlN2at6native12_GLOBAL__N_18offset_tEEE10hipError_tPvRmT1_PNSt15iterator_traitsISZ_E10value_typeET2_T3_PNS10_IS15_E10value_typeET4_jRbjT5_S1B_jjP12ihipStream_tbEUljE_EEESW_SX_SY_S15_S19_S1B_T6_T7_T9_mT8_S1D_bDpT10_ENKUlT_T0_E_clISt17integral_constantIbLb1EES1Q_EEDaS1L_S1M_EUlS1L_E_NS1_11comp_targetILNS1_3genE8ELNS1_11target_archE1030ELNS1_3gpuE2ELNS1_3repE0EEENS1_30default_config_static_selectorELNS0_4arch9wavefront6targetE0EEEvSZ_.has_recursion, 0
	.set _ZN7rocprim17ROCPRIM_400000_NS6detail17trampoline_kernelINS0_13select_configILj256ELj13ELNS0_17block_load_methodE3ELS4_3ELS4_3ELNS0_20block_scan_algorithmE0ELj4294967295EEENS1_25partition_config_selectorILNS1_17partition_subalgoE3EjNS0_10empty_typeEbEEZZNS1_14partition_implILS8_3ELb0ES6_jNS0_17counting_iteratorIjlEEPS9_SE_NS0_5tupleIJPjSE_EEENSF_IJSE_SE_EEES9_SG_JZNS1_25segmented_radix_sort_implINS0_14default_configELb0EPK6__halfPSL_PKlPlN2at6native12_GLOBAL__N_18offset_tEEE10hipError_tPvRmT1_PNSt15iterator_traitsISZ_E10value_typeET2_T3_PNS10_IS15_E10value_typeET4_jRbjT5_S1B_jjP12ihipStream_tbEUljE_EEESW_SX_SY_S15_S19_S1B_T6_T7_T9_mT8_S1D_bDpT10_ENKUlT_T0_E_clISt17integral_constantIbLb1EES1Q_EEDaS1L_S1M_EUlS1L_E_NS1_11comp_targetILNS1_3genE8ELNS1_11target_archE1030ELNS1_3gpuE2ELNS1_3repE0EEENS1_30default_config_static_selectorELNS0_4arch9wavefront6targetE0EEEvSZ_.has_indirect_call, 0
	.section	.AMDGPU.csdata,"",@progbits
; Kernel info:
; codeLenInByte = 4
; TotalNumSgprs: 0
; NumVgprs: 0
; ScratchSize: 0
; MemoryBound: 0
; FloatMode: 240
; IeeeMode: 1
; LDSByteSize: 0 bytes/workgroup (compile time only)
; SGPRBlocks: 0
; VGPRBlocks: 0
; NumSGPRsForWavesPerEU: 1
; NumVGPRsForWavesPerEU: 1
; Occupancy: 16
; WaveLimiterHint : 0
; COMPUTE_PGM_RSRC2:SCRATCH_EN: 0
; COMPUTE_PGM_RSRC2:USER_SGPR: 6
; COMPUTE_PGM_RSRC2:TRAP_HANDLER: 0
; COMPUTE_PGM_RSRC2:TGID_X_EN: 1
; COMPUTE_PGM_RSRC2:TGID_Y_EN: 0
; COMPUTE_PGM_RSRC2:TGID_Z_EN: 0
; COMPUTE_PGM_RSRC2:TIDIG_COMP_CNT: 0
	.section	.text._ZN7rocprim17ROCPRIM_400000_NS6detail17trampoline_kernelINS0_13select_configILj256ELj13ELNS0_17block_load_methodE3ELS4_3ELS4_3ELNS0_20block_scan_algorithmE0ELj4294967295EEENS1_25partition_config_selectorILNS1_17partition_subalgoE3EjNS0_10empty_typeEbEEZZNS1_14partition_implILS8_3ELb0ES6_jNS0_17counting_iteratorIjlEEPS9_SE_NS0_5tupleIJPjSE_EEENSF_IJSE_SE_EEES9_SG_JZNS1_25segmented_radix_sort_implINS0_14default_configELb0EPK6__halfPSL_PKlPlN2at6native12_GLOBAL__N_18offset_tEEE10hipError_tPvRmT1_PNSt15iterator_traitsISZ_E10value_typeET2_T3_PNS10_IS15_E10value_typeET4_jRbjT5_S1B_jjP12ihipStream_tbEUljE_EEESW_SX_SY_S15_S19_S1B_T6_T7_T9_mT8_S1D_bDpT10_ENKUlT_T0_E_clISt17integral_constantIbLb1EES1P_IbLb0EEEEDaS1L_S1M_EUlS1L_E_NS1_11comp_targetILNS1_3genE0ELNS1_11target_archE4294967295ELNS1_3gpuE0ELNS1_3repE0EEENS1_30default_config_static_selectorELNS0_4arch9wavefront6targetE0EEEvSZ_,"axG",@progbits,_ZN7rocprim17ROCPRIM_400000_NS6detail17trampoline_kernelINS0_13select_configILj256ELj13ELNS0_17block_load_methodE3ELS4_3ELS4_3ELNS0_20block_scan_algorithmE0ELj4294967295EEENS1_25partition_config_selectorILNS1_17partition_subalgoE3EjNS0_10empty_typeEbEEZZNS1_14partition_implILS8_3ELb0ES6_jNS0_17counting_iteratorIjlEEPS9_SE_NS0_5tupleIJPjSE_EEENSF_IJSE_SE_EEES9_SG_JZNS1_25segmented_radix_sort_implINS0_14default_configELb0EPK6__halfPSL_PKlPlN2at6native12_GLOBAL__N_18offset_tEEE10hipError_tPvRmT1_PNSt15iterator_traitsISZ_E10value_typeET2_T3_PNS10_IS15_E10value_typeET4_jRbjT5_S1B_jjP12ihipStream_tbEUljE_EEESW_SX_SY_S15_S19_S1B_T6_T7_T9_mT8_S1D_bDpT10_ENKUlT_T0_E_clISt17integral_constantIbLb1EES1P_IbLb0EEEEDaS1L_S1M_EUlS1L_E_NS1_11comp_targetILNS1_3genE0ELNS1_11target_archE4294967295ELNS1_3gpuE0ELNS1_3repE0EEENS1_30default_config_static_selectorELNS0_4arch9wavefront6targetE0EEEvSZ_,comdat
	.globl	_ZN7rocprim17ROCPRIM_400000_NS6detail17trampoline_kernelINS0_13select_configILj256ELj13ELNS0_17block_load_methodE3ELS4_3ELS4_3ELNS0_20block_scan_algorithmE0ELj4294967295EEENS1_25partition_config_selectorILNS1_17partition_subalgoE3EjNS0_10empty_typeEbEEZZNS1_14partition_implILS8_3ELb0ES6_jNS0_17counting_iteratorIjlEEPS9_SE_NS0_5tupleIJPjSE_EEENSF_IJSE_SE_EEES9_SG_JZNS1_25segmented_radix_sort_implINS0_14default_configELb0EPK6__halfPSL_PKlPlN2at6native12_GLOBAL__N_18offset_tEEE10hipError_tPvRmT1_PNSt15iterator_traitsISZ_E10value_typeET2_T3_PNS10_IS15_E10value_typeET4_jRbjT5_S1B_jjP12ihipStream_tbEUljE_EEESW_SX_SY_S15_S19_S1B_T6_T7_T9_mT8_S1D_bDpT10_ENKUlT_T0_E_clISt17integral_constantIbLb1EES1P_IbLb0EEEEDaS1L_S1M_EUlS1L_E_NS1_11comp_targetILNS1_3genE0ELNS1_11target_archE4294967295ELNS1_3gpuE0ELNS1_3repE0EEENS1_30default_config_static_selectorELNS0_4arch9wavefront6targetE0EEEvSZ_ ; -- Begin function _ZN7rocprim17ROCPRIM_400000_NS6detail17trampoline_kernelINS0_13select_configILj256ELj13ELNS0_17block_load_methodE3ELS4_3ELS4_3ELNS0_20block_scan_algorithmE0ELj4294967295EEENS1_25partition_config_selectorILNS1_17partition_subalgoE3EjNS0_10empty_typeEbEEZZNS1_14partition_implILS8_3ELb0ES6_jNS0_17counting_iteratorIjlEEPS9_SE_NS0_5tupleIJPjSE_EEENSF_IJSE_SE_EEES9_SG_JZNS1_25segmented_radix_sort_implINS0_14default_configELb0EPK6__halfPSL_PKlPlN2at6native12_GLOBAL__N_18offset_tEEE10hipError_tPvRmT1_PNSt15iterator_traitsISZ_E10value_typeET2_T3_PNS10_IS15_E10value_typeET4_jRbjT5_S1B_jjP12ihipStream_tbEUljE_EEESW_SX_SY_S15_S19_S1B_T6_T7_T9_mT8_S1D_bDpT10_ENKUlT_T0_E_clISt17integral_constantIbLb1EES1P_IbLb0EEEEDaS1L_S1M_EUlS1L_E_NS1_11comp_targetILNS1_3genE0ELNS1_11target_archE4294967295ELNS1_3gpuE0ELNS1_3repE0EEENS1_30default_config_static_selectorELNS0_4arch9wavefront6targetE0EEEvSZ_
	.p2align	8
	.type	_ZN7rocprim17ROCPRIM_400000_NS6detail17trampoline_kernelINS0_13select_configILj256ELj13ELNS0_17block_load_methodE3ELS4_3ELS4_3ELNS0_20block_scan_algorithmE0ELj4294967295EEENS1_25partition_config_selectorILNS1_17partition_subalgoE3EjNS0_10empty_typeEbEEZZNS1_14partition_implILS8_3ELb0ES6_jNS0_17counting_iteratorIjlEEPS9_SE_NS0_5tupleIJPjSE_EEENSF_IJSE_SE_EEES9_SG_JZNS1_25segmented_radix_sort_implINS0_14default_configELb0EPK6__halfPSL_PKlPlN2at6native12_GLOBAL__N_18offset_tEEE10hipError_tPvRmT1_PNSt15iterator_traitsISZ_E10value_typeET2_T3_PNS10_IS15_E10value_typeET4_jRbjT5_S1B_jjP12ihipStream_tbEUljE_EEESW_SX_SY_S15_S19_S1B_T6_T7_T9_mT8_S1D_bDpT10_ENKUlT_T0_E_clISt17integral_constantIbLb1EES1P_IbLb0EEEEDaS1L_S1M_EUlS1L_E_NS1_11comp_targetILNS1_3genE0ELNS1_11target_archE4294967295ELNS1_3gpuE0ELNS1_3repE0EEENS1_30default_config_static_selectorELNS0_4arch9wavefront6targetE0EEEvSZ_,@function
_ZN7rocprim17ROCPRIM_400000_NS6detail17trampoline_kernelINS0_13select_configILj256ELj13ELNS0_17block_load_methodE3ELS4_3ELS4_3ELNS0_20block_scan_algorithmE0ELj4294967295EEENS1_25partition_config_selectorILNS1_17partition_subalgoE3EjNS0_10empty_typeEbEEZZNS1_14partition_implILS8_3ELb0ES6_jNS0_17counting_iteratorIjlEEPS9_SE_NS0_5tupleIJPjSE_EEENSF_IJSE_SE_EEES9_SG_JZNS1_25segmented_radix_sort_implINS0_14default_configELb0EPK6__halfPSL_PKlPlN2at6native12_GLOBAL__N_18offset_tEEE10hipError_tPvRmT1_PNSt15iterator_traitsISZ_E10value_typeET2_T3_PNS10_IS15_E10value_typeET4_jRbjT5_S1B_jjP12ihipStream_tbEUljE_EEESW_SX_SY_S15_S19_S1B_T6_T7_T9_mT8_S1D_bDpT10_ENKUlT_T0_E_clISt17integral_constantIbLb1EES1P_IbLb0EEEEDaS1L_S1M_EUlS1L_E_NS1_11comp_targetILNS1_3genE0ELNS1_11target_archE4294967295ELNS1_3gpuE0ELNS1_3repE0EEENS1_30default_config_static_selectorELNS0_4arch9wavefront6targetE0EEEvSZ_: ; @_ZN7rocprim17ROCPRIM_400000_NS6detail17trampoline_kernelINS0_13select_configILj256ELj13ELNS0_17block_load_methodE3ELS4_3ELS4_3ELNS0_20block_scan_algorithmE0ELj4294967295EEENS1_25partition_config_selectorILNS1_17partition_subalgoE3EjNS0_10empty_typeEbEEZZNS1_14partition_implILS8_3ELb0ES6_jNS0_17counting_iteratorIjlEEPS9_SE_NS0_5tupleIJPjSE_EEENSF_IJSE_SE_EEES9_SG_JZNS1_25segmented_radix_sort_implINS0_14default_configELb0EPK6__halfPSL_PKlPlN2at6native12_GLOBAL__N_18offset_tEEE10hipError_tPvRmT1_PNSt15iterator_traitsISZ_E10value_typeET2_T3_PNS10_IS15_E10value_typeET4_jRbjT5_S1B_jjP12ihipStream_tbEUljE_EEESW_SX_SY_S15_S19_S1B_T6_T7_T9_mT8_S1D_bDpT10_ENKUlT_T0_E_clISt17integral_constantIbLb1EES1P_IbLb0EEEEDaS1L_S1M_EUlS1L_E_NS1_11comp_targetILNS1_3genE0ELNS1_11target_archE4294967295ELNS1_3gpuE0ELNS1_3repE0EEENS1_30default_config_static_selectorELNS0_4arch9wavefront6targetE0EEEvSZ_
; %bb.0:
	.section	.rodata,"a",@progbits
	.p2align	6, 0x0
	.amdhsa_kernel _ZN7rocprim17ROCPRIM_400000_NS6detail17trampoline_kernelINS0_13select_configILj256ELj13ELNS0_17block_load_methodE3ELS4_3ELS4_3ELNS0_20block_scan_algorithmE0ELj4294967295EEENS1_25partition_config_selectorILNS1_17partition_subalgoE3EjNS0_10empty_typeEbEEZZNS1_14partition_implILS8_3ELb0ES6_jNS0_17counting_iteratorIjlEEPS9_SE_NS0_5tupleIJPjSE_EEENSF_IJSE_SE_EEES9_SG_JZNS1_25segmented_radix_sort_implINS0_14default_configELb0EPK6__halfPSL_PKlPlN2at6native12_GLOBAL__N_18offset_tEEE10hipError_tPvRmT1_PNSt15iterator_traitsISZ_E10value_typeET2_T3_PNS10_IS15_E10value_typeET4_jRbjT5_S1B_jjP12ihipStream_tbEUljE_EEESW_SX_SY_S15_S19_S1B_T6_T7_T9_mT8_S1D_bDpT10_ENKUlT_T0_E_clISt17integral_constantIbLb1EES1P_IbLb0EEEEDaS1L_S1M_EUlS1L_E_NS1_11comp_targetILNS1_3genE0ELNS1_11target_archE4294967295ELNS1_3gpuE0ELNS1_3repE0EEENS1_30default_config_static_selectorELNS0_4arch9wavefront6targetE0EEEvSZ_
		.amdhsa_group_segment_fixed_size 0
		.amdhsa_private_segment_fixed_size 0
		.amdhsa_kernarg_size 144
		.amdhsa_user_sgpr_count 6
		.amdhsa_user_sgpr_private_segment_buffer 1
		.amdhsa_user_sgpr_dispatch_ptr 0
		.amdhsa_user_sgpr_queue_ptr 0
		.amdhsa_user_sgpr_kernarg_segment_ptr 1
		.amdhsa_user_sgpr_dispatch_id 0
		.amdhsa_user_sgpr_flat_scratch_init 0
		.amdhsa_user_sgpr_private_segment_size 0
		.amdhsa_wavefront_size32 1
		.amdhsa_uses_dynamic_stack 0
		.amdhsa_system_sgpr_private_segment_wavefront_offset 0
		.amdhsa_system_sgpr_workgroup_id_x 1
		.amdhsa_system_sgpr_workgroup_id_y 0
		.amdhsa_system_sgpr_workgroup_id_z 0
		.amdhsa_system_sgpr_workgroup_info 0
		.amdhsa_system_vgpr_workitem_id 0
		.amdhsa_next_free_vgpr 1
		.amdhsa_next_free_sgpr 1
		.amdhsa_reserve_vcc 0
		.amdhsa_reserve_flat_scratch 0
		.amdhsa_float_round_mode_32 0
		.amdhsa_float_round_mode_16_64 0
		.amdhsa_float_denorm_mode_32 3
		.amdhsa_float_denorm_mode_16_64 3
		.amdhsa_dx10_clamp 1
		.amdhsa_ieee_mode 1
		.amdhsa_fp16_overflow 0
		.amdhsa_workgroup_processor_mode 1
		.amdhsa_memory_ordered 1
		.amdhsa_forward_progress 1
		.amdhsa_shared_vgpr_count 0
		.amdhsa_exception_fp_ieee_invalid_op 0
		.amdhsa_exception_fp_denorm_src 0
		.amdhsa_exception_fp_ieee_div_zero 0
		.amdhsa_exception_fp_ieee_overflow 0
		.amdhsa_exception_fp_ieee_underflow 0
		.amdhsa_exception_fp_ieee_inexact 0
		.amdhsa_exception_int_div_zero 0
	.end_amdhsa_kernel
	.section	.text._ZN7rocprim17ROCPRIM_400000_NS6detail17trampoline_kernelINS0_13select_configILj256ELj13ELNS0_17block_load_methodE3ELS4_3ELS4_3ELNS0_20block_scan_algorithmE0ELj4294967295EEENS1_25partition_config_selectorILNS1_17partition_subalgoE3EjNS0_10empty_typeEbEEZZNS1_14partition_implILS8_3ELb0ES6_jNS0_17counting_iteratorIjlEEPS9_SE_NS0_5tupleIJPjSE_EEENSF_IJSE_SE_EEES9_SG_JZNS1_25segmented_radix_sort_implINS0_14default_configELb0EPK6__halfPSL_PKlPlN2at6native12_GLOBAL__N_18offset_tEEE10hipError_tPvRmT1_PNSt15iterator_traitsISZ_E10value_typeET2_T3_PNS10_IS15_E10value_typeET4_jRbjT5_S1B_jjP12ihipStream_tbEUljE_EEESW_SX_SY_S15_S19_S1B_T6_T7_T9_mT8_S1D_bDpT10_ENKUlT_T0_E_clISt17integral_constantIbLb1EES1P_IbLb0EEEEDaS1L_S1M_EUlS1L_E_NS1_11comp_targetILNS1_3genE0ELNS1_11target_archE4294967295ELNS1_3gpuE0ELNS1_3repE0EEENS1_30default_config_static_selectorELNS0_4arch9wavefront6targetE0EEEvSZ_,"axG",@progbits,_ZN7rocprim17ROCPRIM_400000_NS6detail17trampoline_kernelINS0_13select_configILj256ELj13ELNS0_17block_load_methodE3ELS4_3ELS4_3ELNS0_20block_scan_algorithmE0ELj4294967295EEENS1_25partition_config_selectorILNS1_17partition_subalgoE3EjNS0_10empty_typeEbEEZZNS1_14partition_implILS8_3ELb0ES6_jNS0_17counting_iteratorIjlEEPS9_SE_NS0_5tupleIJPjSE_EEENSF_IJSE_SE_EEES9_SG_JZNS1_25segmented_radix_sort_implINS0_14default_configELb0EPK6__halfPSL_PKlPlN2at6native12_GLOBAL__N_18offset_tEEE10hipError_tPvRmT1_PNSt15iterator_traitsISZ_E10value_typeET2_T3_PNS10_IS15_E10value_typeET4_jRbjT5_S1B_jjP12ihipStream_tbEUljE_EEESW_SX_SY_S15_S19_S1B_T6_T7_T9_mT8_S1D_bDpT10_ENKUlT_T0_E_clISt17integral_constantIbLb1EES1P_IbLb0EEEEDaS1L_S1M_EUlS1L_E_NS1_11comp_targetILNS1_3genE0ELNS1_11target_archE4294967295ELNS1_3gpuE0ELNS1_3repE0EEENS1_30default_config_static_selectorELNS0_4arch9wavefront6targetE0EEEvSZ_,comdat
.Lfunc_end1816:
	.size	_ZN7rocprim17ROCPRIM_400000_NS6detail17trampoline_kernelINS0_13select_configILj256ELj13ELNS0_17block_load_methodE3ELS4_3ELS4_3ELNS0_20block_scan_algorithmE0ELj4294967295EEENS1_25partition_config_selectorILNS1_17partition_subalgoE3EjNS0_10empty_typeEbEEZZNS1_14partition_implILS8_3ELb0ES6_jNS0_17counting_iteratorIjlEEPS9_SE_NS0_5tupleIJPjSE_EEENSF_IJSE_SE_EEES9_SG_JZNS1_25segmented_radix_sort_implINS0_14default_configELb0EPK6__halfPSL_PKlPlN2at6native12_GLOBAL__N_18offset_tEEE10hipError_tPvRmT1_PNSt15iterator_traitsISZ_E10value_typeET2_T3_PNS10_IS15_E10value_typeET4_jRbjT5_S1B_jjP12ihipStream_tbEUljE_EEESW_SX_SY_S15_S19_S1B_T6_T7_T9_mT8_S1D_bDpT10_ENKUlT_T0_E_clISt17integral_constantIbLb1EES1P_IbLb0EEEEDaS1L_S1M_EUlS1L_E_NS1_11comp_targetILNS1_3genE0ELNS1_11target_archE4294967295ELNS1_3gpuE0ELNS1_3repE0EEENS1_30default_config_static_selectorELNS0_4arch9wavefront6targetE0EEEvSZ_, .Lfunc_end1816-_ZN7rocprim17ROCPRIM_400000_NS6detail17trampoline_kernelINS0_13select_configILj256ELj13ELNS0_17block_load_methodE3ELS4_3ELS4_3ELNS0_20block_scan_algorithmE0ELj4294967295EEENS1_25partition_config_selectorILNS1_17partition_subalgoE3EjNS0_10empty_typeEbEEZZNS1_14partition_implILS8_3ELb0ES6_jNS0_17counting_iteratorIjlEEPS9_SE_NS0_5tupleIJPjSE_EEENSF_IJSE_SE_EEES9_SG_JZNS1_25segmented_radix_sort_implINS0_14default_configELb0EPK6__halfPSL_PKlPlN2at6native12_GLOBAL__N_18offset_tEEE10hipError_tPvRmT1_PNSt15iterator_traitsISZ_E10value_typeET2_T3_PNS10_IS15_E10value_typeET4_jRbjT5_S1B_jjP12ihipStream_tbEUljE_EEESW_SX_SY_S15_S19_S1B_T6_T7_T9_mT8_S1D_bDpT10_ENKUlT_T0_E_clISt17integral_constantIbLb1EES1P_IbLb0EEEEDaS1L_S1M_EUlS1L_E_NS1_11comp_targetILNS1_3genE0ELNS1_11target_archE4294967295ELNS1_3gpuE0ELNS1_3repE0EEENS1_30default_config_static_selectorELNS0_4arch9wavefront6targetE0EEEvSZ_
                                        ; -- End function
	.set _ZN7rocprim17ROCPRIM_400000_NS6detail17trampoline_kernelINS0_13select_configILj256ELj13ELNS0_17block_load_methodE3ELS4_3ELS4_3ELNS0_20block_scan_algorithmE0ELj4294967295EEENS1_25partition_config_selectorILNS1_17partition_subalgoE3EjNS0_10empty_typeEbEEZZNS1_14partition_implILS8_3ELb0ES6_jNS0_17counting_iteratorIjlEEPS9_SE_NS0_5tupleIJPjSE_EEENSF_IJSE_SE_EEES9_SG_JZNS1_25segmented_radix_sort_implINS0_14default_configELb0EPK6__halfPSL_PKlPlN2at6native12_GLOBAL__N_18offset_tEEE10hipError_tPvRmT1_PNSt15iterator_traitsISZ_E10value_typeET2_T3_PNS10_IS15_E10value_typeET4_jRbjT5_S1B_jjP12ihipStream_tbEUljE_EEESW_SX_SY_S15_S19_S1B_T6_T7_T9_mT8_S1D_bDpT10_ENKUlT_T0_E_clISt17integral_constantIbLb1EES1P_IbLb0EEEEDaS1L_S1M_EUlS1L_E_NS1_11comp_targetILNS1_3genE0ELNS1_11target_archE4294967295ELNS1_3gpuE0ELNS1_3repE0EEENS1_30default_config_static_selectorELNS0_4arch9wavefront6targetE0EEEvSZ_.num_vgpr, 0
	.set _ZN7rocprim17ROCPRIM_400000_NS6detail17trampoline_kernelINS0_13select_configILj256ELj13ELNS0_17block_load_methodE3ELS4_3ELS4_3ELNS0_20block_scan_algorithmE0ELj4294967295EEENS1_25partition_config_selectorILNS1_17partition_subalgoE3EjNS0_10empty_typeEbEEZZNS1_14partition_implILS8_3ELb0ES6_jNS0_17counting_iteratorIjlEEPS9_SE_NS0_5tupleIJPjSE_EEENSF_IJSE_SE_EEES9_SG_JZNS1_25segmented_radix_sort_implINS0_14default_configELb0EPK6__halfPSL_PKlPlN2at6native12_GLOBAL__N_18offset_tEEE10hipError_tPvRmT1_PNSt15iterator_traitsISZ_E10value_typeET2_T3_PNS10_IS15_E10value_typeET4_jRbjT5_S1B_jjP12ihipStream_tbEUljE_EEESW_SX_SY_S15_S19_S1B_T6_T7_T9_mT8_S1D_bDpT10_ENKUlT_T0_E_clISt17integral_constantIbLb1EES1P_IbLb0EEEEDaS1L_S1M_EUlS1L_E_NS1_11comp_targetILNS1_3genE0ELNS1_11target_archE4294967295ELNS1_3gpuE0ELNS1_3repE0EEENS1_30default_config_static_selectorELNS0_4arch9wavefront6targetE0EEEvSZ_.num_agpr, 0
	.set _ZN7rocprim17ROCPRIM_400000_NS6detail17trampoline_kernelINS0_13select_configILj256ELj13ELNS0_17block_load_methodE3ELS4_3ELS4_3ELNS0_20block_scan_algorithmE0ELj4294967295EEENS1_25partition_config_selectorILNS1_17partition_subalgoE3EjNS0_10empty_typeEbEEZZNS1_14partition_implILS8_3ELb0ES6_jNS0_17counting_iteratorIjlEEPS9_SE_NS0_5tupleIJPjSE_EEENSF_IJSE_SE_EEES9_SG_JZNS1_25segmented_radix_sort_implINS0_14default_configELb0EPK6__halfPSL_PKlPlN2at6native12_GLOBAL__N_18offset_tEEE10hipError_tPvRmT1_PNSt15iterator_traitsISZ_E10value_typeET2_T3_PNS10_IS15_E10value_typeET4_jRbjT5_S1B_jjP12ihipStream_tbEUljE_EEESW_SX_SY_S15_S19_S1B_T6_T7_T9_mT8_S1D_bDpT10_ENKUlT_T0_E_clISt17integral_constantIbLb1EES1P_IbLb0EEEEDaS1L_S1M_EUlS1L_E_NS1_11comp_targetILNS1_3genE0ELNS1_11target_archE4294967295ELNS1_3gpuE0ELNS1_3repE0EEENS1_30default_config_static_selectorELNS0_4arch9wavefront6targetE0EEEvSZ_.numbered_sgpr, 0
	.set _ZN7rocprim17ROCPRIM_400000_NS6detail17trampoline_kernelINS0_13select_configILj256ELj13ELNS0_17block_load_methodE3ELS4_3ELS4_3ELNS0_20block_scan_algorithmE0ELj4294967295EEENS1_25partition_config_selectorILNS1_17partition_subalgoE3EjNS0_10empty_typeEbEEZZNS1_14partition_implILS8_3ELb0ES6_jNS0_17counting_iteratorIjlEEPS9_SE_NS0_5tupleIJPjSE_EEENSF_IJSE_SE_EEES9_SG_JZNS1_25segmented_radix_sort_implINS0_14default_configELb0EPK6__halfPSL_PKlPlN2at6native12_GLOBAL__N_18offset_tEEE10hipError_tPvRmT1_PNSt15iterator_traitsISZ_E10value_typeET2_T3_PNS10_IS15_E10value_typeET4_jRbjT5_S1B_jjP12ihipStream_tbEUljE_EEESW_SX_SY_S15_S19_S1B_T6_T7_T9_mT8_S1D_bDpT10_ENKUlT_T0_E_clISt17integral_constantIbLb1EES1P_IbLb0EEEEDaS1L_S1M_EUlS1L_E_NS1_11comp_targetILNS1_3genE0ELNS1_11target_archE4294967295ELNS1_3gpuE0ELNS1_3repE0EEENS1_30default_config_static_selectorELNS0_4arch9wavefront6targetE0EEEvSZ_.num_named_barrier, 0
	.set _ZN7rocprim17ROCPRIM_400000_NS6detail17trampoline_kernelINS0_13select_configILj256ELj13ELNS0_17block_load_methodE3ELS4_3ELS4_3ELNS0_20block_scan_algorithmE0ELj4294967295EEENS1_25partition_config_selectorILNS1_17partition_subalgoE3EjNS0_10empty_typeEbEEZZNS1_14partition_implILS8_3ELb0ES6_jNS0_17counting_iteratorIjlEEPS9_SE_NS0_5tupleIJPjSE_EEENSF_IJSE_SE_EEES9_SG_JZNS1_25segmented_radix_sort_implINS0_14default_configELb0EPK6__halfPSL_PKlPlN2at6native12_GLOBAL__N_18offset_tEEE10hipError_tPvRmT1_PNSt15iterator_traitsISZ_E10value_typeET2_T3_PNS10_IS15_E10value_typeET4_jRbjT5_S1B_jjP12ihipStream_tbEUljE_EEESW_SX_SY_S15_S19_S1B_T6_T7_T9_mT8_S1D_bDpT10_ENKUlT_T0_E_clISt17integral_constantIbLb1EES1P_IbLb0EEEEDaS1L_S1M_EUlS1L_E_NS1_11comp_targetILNS1_3genE0ELNS1_11target_archE4294967295ELNS1_3gpuE0ELNS1_3repE0EEENS1_30default_config_static_selectorELNS0_4arch9wavefront6targetE0EEEvSZ_.private_seg_size, 0
	.set _ZN7rocprim17ROCPRIM_400000_NS6detail17trampoline_kernelINS0_13select_configILj256ELj13ELNS0_17block_load_methodE3ELS4_3ELS4_3ELNS0_20block_scan_algorithmE0ELj4294967295EEENS1_25partition_config_selectorILNS1_17partition_subalgoE3EjNS0_10empty_typeEbEEZZNS1_14partition_implILS8_3ELb0ES6_jNS0_17counting_iteratorIjlEEPS9_SE_NS0_5tupleIJPjSE_EEENSF_IJSE_SE_EEES9_SG_JZNS1_25segmented_radix_sort_implINS0_14default_configELb0EPK6__halfPSL_PKlPlN2at6native12_GLOBAL__N_18offset_tEEE10hipError_tPvRmT1_PNSt15iterator_traitsISZ_E10value_typeET2_T3_PNS10_IS15_E10value_typeET4_jRbjT5_S1B_jjP12ihipStream_tbEUljE_EEESW_SX_SY_S15_S19_S1B_T6_T7_T9_mT8_S1D_bDpT10_ENKUlT_T0_E_clISt17integral_constantIbLb1EES1P_IbLb0EEEEDaS1L_S1M_EUlS1L_E_NS1_11comp_targetILNS1_3genE0ELNS1_11target_archE4294967295ELNS1_3gpuE0ELNS1_3repE0EEENS1_30default_config_static_selectorELNS0_4arch9wavefront6targetE0EEEvSZ_.uses_vcc, 0
	.set _ZN7rocprim17ROCPRIM_400000_NS6detail17trampoline_kernelINS0_13select_configILj256ELj13ELNS0_17block_load_methodE3ELS4_3ELS4_3ELNS0_20block_scan_algorithmE0ELj4294967295EEENS1_25partition_config_selectorILNS1_17partition_subalgoE3EjNS0_10empty_typeEbEEZZNS1_14partition_implILS8_3ELb0ES6_jNS0_17counting_iteratorIjlEEPS9_SE_NS0_5tupleIJPjSE_EEENSF_IJSE_SE_EEES9_SG_JZNS1_25segmented_radix_sort_implINS0_14default_configELb0EPK6__halfPSL_PKlPlN2at6native12_GLOBAL__N_18offset_tEEE10hipError_tPvRmT1_PNSt15iterator_traitsISZ_E10value_typeET2_T3_PNS10_IS15_E10value_typeET4_jRbjT5_S1B_jjP12ihipStream_tbEUljE_EEESW_SX_SY_S15_S19_S1B_T6_T7_T9_mT8_S1D_bDpT10_ENKUlT_T0_E_clISt17integral_constantIbLb1EES1P_IbLb0EEEEDaS1L_S1M_EUlS1L_E_NS1_11comp_targetILNS1_3genE0ELNS1_11target_archE4294967295ELNS1_3gpuE0ELNS1_3repE0EEENS1_30default_config_static_selectorELNS0_4arch9wavefront6targetE0EEEvSZ_.uses_flat_scratch, 0
	.set _ZN7rocprim17ROCPRIM_400000_NS6detail17trampoline_kernelINS0_13select_configILj256ELj13ELNS0_17block_load_methodE3ELS4_3ELS4_3ELNS0_20block_scan_algorithmE0ELj4294967295EEENS1_25partition_config_selectorILNS1_17partition_subalgoE3EjNS0_10empty_typeEbEEZZNS1_14partition_implILS8_3ELb0ES6_jNS0_17counting_iteratorIjlEEPS9_SE_NS0_5tupleIJPjSE_EEENSF_IJSE_SE_EEES9_SG_JZNS1_25segmented_radix_sort_implINS0_14default_configELb0EPK6__halfPSL_PKlPlN2at6native12_GLOBAL__N_18offset_tEEE10hipError_tPvRmT1_PNSt15iterator_traitsISZ_E10value_typeET2_T3_PNS10_IS15_E10value_typeET4_jRbjT5_S1B_jjP12ihipStream_tbEUljE_EEESW_SX_SY_S15_S19_S1B_T6_T7_T9_mT8_S1D_bDpT10_ENKUlT_T0_E_clISt17integral_constantIbLb1EES1P_IbLb0EEEEDaS1L_S1M_EUlS1L_E_NS1_11comp_targetILNS1_3genE0ELNS1_11target_archE4294967295ELNS1_3gpuE0ELNS1_3repE0EEENS1_30default_config_static_selectorELNS0_4arch9wavefront6targetE0EEEvSZ_.has_dyn_sized_stack, 0
	.set _ZN7rocprim17ROCPRIM_400000_NS6detail17trampoline_kernelINS0_13select_configILj256ELj13ELNS0_17block_load_methodE3ELS4_3ELS4_3ELNS0_20block_scan_algorithmE0ELj4294967295EEENS1_25partition_config_selectorILNS1_17partition_subalgoE3EjNS0_10empty_typeEbEEZZNS1_14partition_implILS8_3ELb0ES6_jNS0_17counting_iteratorIjlEEPS9_SE_NS0_5tupleIJPjSE_EEENSF_IJSE_SE_EEES9_SG_JZNS1_25segmented_radix_sort_implINS0_14default_configELb0EPK6__halfPSL_PKlPlN2at6native12_GLOBAL__N_18offset_tEEE10hipError_tPvRmT1_PNSt15iterator_traitsISZ_E10value_typeET2_T3_PNS10_IS15_E10value_typeET4_jRbjT5_S1B_jjP12ihipStream_tbEUljE_EEESW_SX_SY_S15_S19_S1B_T6_T7_T9_mT8_S1D_bDpT10_ENKUlT_T0_E_clISt17integral_constantIbLb1EES1P_IbLb0EEEEDaS1L_S1M_EUlS1L_E_NS1_11comp_targetILNS1_3genE0ELNS1_11target_archE4294967295ELNS1_3gpuE0ELNS1_3repE0EEENS1_30default_config_static_selectorELNS0_4arch9wavefront6targetE0EEEvSZ_.has_recursion, 0
	.set _ZN7rocprim17ROCPRIM_400000_NS6detail17trampoline_kernelINS0_13select_configILj256ELj13ELNS0_17block_load_methodE3ELS4_3ELS4_3ELNS0_20block_scan_algorithmE0ELj4294967295EEENS1_25partition_config_selectorILNS1_17partition_subalgoE3EjNS0_10empty_typeEbEEZZNS1_14partition_implILS8_3ELb0ES6_jNS0_17counting_iteratorIjlEEPS9_SE_NS0_5tupleIJPjSE_EEENSF_IJSE_SE_EEES9_SG_JZNS1_25segmented_radix_sort_implINS0_14default_configELb0EPK6__halfPSL_PKlPlN2at6native12_GLOBAL__N_18offset_tEEE10hipError_tPvRmT1_PNSt15iterator_traitsISZ_E10value_typeET2_T3_PNS10_IS15_E10value_typeET4_jRbjT5_S1B_jjP12ihipStream_tbEUljE_EEESW_SX_SY_S15_S19_S1B_T6_T7_T9_mT8_S1D_bDpT10_ENKUlT_T0_E_clISt17integral_constantIbLb1EES1P_IbLb0EEEEDaS1L_S1M_EUlS1L_E_NS1_11comp_targetILNS1_3genE0ELNS1_11target_archE4294967295ELNS1_3gpuE0ELNS1_3repE0EEENS1_30default_config_static_selectorELNS0_4arch9wavefront6targetE0EEEvSZ_.has_indirect_call, 0
	.section	.AMDGPU.csdata,"",@progbits
; Kernel info:
; codeLenInByte = 0
; TotalNumSgprs: 0
; NumVgprs: 0
; ScratchSize: 0
; MemoryBound: 0
; FloatMode: 240
; IeeeMode: 1
; LDSByteSize: 0 bytes/workgroup (compile time only)
; SGPRBlocks: 0
; VGPRBlocks: 0
; NumSGPRsForWavesPerEU: 1
; NumVGPRsForWavesPerEU: 1
; Occupancy: 16
; WaveLimiterHint : 0
; COMPUTE_PGM_RSRC2:SCRATCH_EN: 0
; COMPUTE_PGM_RSRC2:USER_SGPR: 6
; COMPUTE_PGM_RSRC2:TRAP_HANDLER: 0
; COMPUTE_PGM_RSRC2:TGID_X_EN: 1
; COMPUTE_PGM_RSRC2:TGID_Y_EN: 0
; COMPUTE_PGM_RSRC2:TGID_Z_EN: 0
; COMPUTE_PGM_RSRC2:TIDIG_COMP_CNT: 0
	.section	.text._ZN7rocprim17ROCPRIM_400000_NS6detail17trampoline_kernelINS0_13select_configILj256ELj13ELNS0_17block_load_methodE3ELS4_3ELS4_3ELNS0_20block_scan_algorithmE0ELj4294967295EEENS1_25partition_config_selectorILNS1_17partition_subalgoE3EjNS0_10empty_typeEbEEZZNS1_14partition_implILS8_3ELb0ES6_jNS0_17counting_iteratorIjlEEPS9_SE_NS0_5tupleIJPjSE_EEENSF_IJSE_SE_EEES9_SG_JZNS1_25segmented_radix_sort_implINS0_14default_configELb0EPK6__halfPSL_PKlPlN2at6native12_GLOBAL__N_18offset_tEEE10hipError_tPvRmT1_PNSt15iterator_traitsISZ_E10value_typeET2_T3_PNS10_IS15_E10value_typeET4_jRbjT5_S1B_jjP12ihipStream_tbEUljE_EEESW_SX_SY_S15_S19_S1B_T6_T7_T9_mT8_S1D_bDpT10_ENKUlT_T0_E_clISt17integral_constantIbLb1EES1P_IbLb0EEEEDaS1L_S1M_EUlS1L_E_NS1_11comp_targetILNS1_3genE5ELNS1_11target_archE942ELNS1_3gpuE9ELNS1_3repE0EEENS1_30default_config_static_selectorELNS0_4arch9wavefront6targetE0EEEvSZ_,"axG",@progbits,_ZN7rocprim17ROCPRIM_400000_NS6detail17trampoline_kernelINS0_13select_configILj256ELj13ELNS0_17block_load_methodE3ELS4_3ELS4_3ELNS0_20block_scan_algorithmE0ELj4294967295EEENS1_25partition_config_selectorILNS1_17partition_subalgoE3EjNS0_10empty_typeEbEEZZNS1_14partition_implILS8_3ELb0ES6_jNS0_17counting_iteratorIjlEEPS9_SE_NS0_5tupleIJPjSE_EEENSF_IJSE_SE_EEES9_SG_JZNS1_25segmented_radix_sort_implINS0_14default_configELb0EPK6__halfPSL_PKlPlN2at6native12_GLOBAL__N_18offset_tEEE10hipError_tPvRmT1_PNSt15iterator_traitsISZ_E10value_typeET2_T3_PNS10_IS15_E10value_typeET4_jRbjT5_S1B_jjP12ihipStream_tbEUljE_EEESW_SX_SY_S15_S19_S1B_T6_T7_T9_mT8_S1D_bDpT10_ENKUlT_T0_E_clISt17integral_constantIbLb1EES1P_IbLb0EEEEDaS1L_S1M_EUlS1L_E_NS1_11comp_targetILNS1_3genE5ELNS1_11target_archE942ELNS1_3gpuE9ELNS1_3repE0EEENS1_30default_config_static_selectorELNS0_4arch9wavefront6targetE0EEEvSZ_,comdat
	.globl	_ZN7rocprim17ROCPRIM_400000_NS6detail17trampoline_kernelINS0_13select_configILj256ELj13ELNS0_17block_load_methodE3ELS4_3ELS4_3ELNS0_20block_scan_algorithmE0ELj4294967295EEENS1_25partition_config_selectorILNS1_17partition_subalgoE3EjNS0_10empty_typeEbEEZZNS1_14partition_implILS8_3ELb0ES6_jNS0_17counting_iteratorIjlEEPS9_SE_NS0_5tupleIJPjSE_EEENSF_IJSE_SE_EEES9_SG_JZNS1_25segmented_radix_sort_implINS0_14default_configELb0EPK6__halfPSL_PKlPlN2at6native12_GLOBAL__N_18offset_tEEE10hipError_tPvRmT1_PNSt15iterator_traitsISZ_E10value_typeET2_T3_PNS10_IS15_E10value_typeET4_jRbjT5_S1B_jjP12ihipStream_tbEUljE_EEESW_SX_SY_S15_S19_S1B_T6_T7_T9_mT8_S1D_bDpT10_ENKUlT_T0_E_clISt17integral_constantIbLb1EES1P_IbLb0EEEEDaS1L_S1M_EUlS1L_E_NS1_11comp_targetILNS1_3genE5ELNS1_11target_archE942ELNS1_3gpuE9ELNS1_3repE0EEENS1_30default_config_static_selectorELNS0_4arch9wavefront6targetE0EEEvSZ_ ; -- Begin function _ZN7rocprim17ROCPRIM_400000_NS6detail17trampoline_kernelINS0_13select_configILj256ELj13ELNS0_17block_load_methodE3ELS4_3ELS4_3ELNS0_20block_scan_algorithmE0ELj4294967295EEENS1_25partition_config_selectorILNS1_17partition_subalgoE3EjNS0_10empty_typeEbEEZZNS1_14partition_implILS8_3ELb0ES6_jNS0_17counting_iteratorIjlEEPS9_SE_NS0_5tupleIJPjSE_EEENSF_IJSE_SE_EEES9_SG_JZNS1_25segmented_radix_sort_implINS0_14default_configELb0EPK6__halfPSL_PKlPlN2at6native12_GLOBAL__N_18offset_tEEE10hipError_tPvRmT1_PNSt15iterator_traitsISZ_E10value_typeET2_T3_PNS10_IS15_E10value_typeET4_jRbjT5_S1B_jjP12ihipStream_tbEUljE_EEESW_SX_SY_S15_S19_S1B_T6_T7_T9_mT8_S1D_bDpT10_ENKUlT_T0_E_clISt17integral_constantIbLb1EES1P_IbLb0EEEEDaS1L_S1M_EUlS1L_E_NS1_11comp_targetILNS1_3genE5ELNS1_11target_archE942ELNS1_3gpuE9ELNS1_3repE0EEENS1_30default_config_static_selectorELNS0_4arch9wavefront6targetE0EEEvSZ_
	.p2align	8
	.type	_ZN7rocprim17ROCPRIM_400000_NS6detail17trampoline_kernelINS0_13select_configILj256ELj13ELNS0_17block_load_methodE3ELS4_3ELS4_3ELNS0_20block_scan_algorithmE0ELj4294967295EEENS1_25partition_config_selectorILNS1_17partition_subalgoE3EjNS0_10empty_typeEbEEZZNS1_14partition_implILS8_3ELb0ES6_jNS0_17counting_iteratorIjlEEPS9_SE_NS0_5tupleIJPjSE_EEENSF_IJSE_SE_EEES9_SG_JZNS1_25segmented_radix_sort_implINS0_14default_configELb0EPK6__halfPSL_PKlPlN2at6native12_GLOBAL__N_18offset_tEEE10hipError_tPvRmT1_PNSt15iterator_traitsISZ_E10value_typeET2_T3_PNS10_IS15_E10value_typeET4_jRbjT5_S1B_jjP12ihipStream_tbEUljE_EEESW_SX_SY_S15_S19_S1B_T6_T7_T9_mT8_S1D_bDpT10_ENKUlT_T0_E_clISt17integral_constantIbLb1EES1P_IbLb0EEEEDaS1L_S1M_EUlS1L_E_NS1_11comp_targetILNS1_3genE5ELNS1_11target_archE942ELNS1_3gpuE9ELNS1_3repE0EEENS1_30default_config_static_selectorELNS0_4arch9wavefront6targetE0EEEvSZ_,@function
_ZN7rocprim17ROCPRIM_400000_NS6detail17trampoline_kernelINS0_13select_configILj256ELj13ELNS0_17block_load_methodE3ELS4_3ELS4_3ELNS0_20block_scan_algorithmE0ELj4294967295EEENS1_25partition_config_selectorILNS1_17partition_subalgoE3EjNS0_10empty_typeEbEEZZNS1_14partition_implILS8_3ELb0ES6_jNS0_17counting_iteratorIjlEEPS9_SE_NS0_5tupleIJPjSE_EEENSF_IJSE_SE_EEES9_SG_JZNS1_25segmented_radix_sort_implINS0_14default_configELb0EPK6__halfPSL_PKlPlN2at6native12_GLOBAL__N_18offset_tEEE10hipError_tPvRmT1_PNSt15iterator_traitsISZ_E10value_typeET2_T3_PNS10_IS15_E10value_typeET4_jRbjT5_S1B_jjP12ihipStream_tbEUljE_EEESW_SX_SY_S15_S19_S1B_T6_T7_T9_mT8_S1D_bDpT10_ENKUlT_T0_E_clISt17integral_constantIbLb1EES1P_IbLb0EEEEDaS1L_S1M_EUlS1L_E_NS1_11comp_targetILNS1_3genE5ELNS1_11target_archE942ELNS1_3gpuE9ELNS1_3repE0EEENS1_30default_config_static_selectorELNS0_4arch9wavefront6targetE0EEEvSZ_: ; @_ZN7rocprim17ROCPRIM_400000_NS6detail17trampoline_kernelINS0_13select_configILj256ELj13ELNS0_17block_load_methodE3ELS4_3ELS4_3ELNS0_20block_scan_algorithmE0ELj4294967295EEENS1_25partition_config_selectorILNS1_17partition_subalgoE3EjNS0_10empty_typeEbEEZZNS1_14partition_implILS8_3ELb0ES6_jNS0_17counting_iteratorIjlEEPS9_SE_NS0_5tupleIJPjSE_EEENSF_IJSE_SE_EEES9_SG_JZNS1_25segmented_radix_sort_implINS0_14default_configELb0EPK6__halfPSL_PKlPlN2at6native12_GLOBAL__N_18offset_tEEE10hipError_tPvRmT1_PNSt15iterator_traitsISZ_E10value_typeET2_T3_PNS10_IS15_E10value_typeET4_jRbjT5_S1B_jjP12ihipStream_tbEUljE_EEESW_SX_SY_S15_S19_S1B_T6_T7_T9_mT8_S1D_bDpT10_ENKUlT_T0_E_clISt17integral_constantIbLb1EES1P_IbLb0EEEEDaS1L_S1M_EUlS1L_E_NS1_11comp_targetILNS1_3genE5ELNS1_11target_archE942ELNS1_3gpuE9ELNS1_3repE0EEENS1_30default_config_static_selectorELNS0_4arch9wavefront6targetE0EEEvSZ_
; %bb.0:
	.section	.rodata,"a",@progbits
	.p2align	6, 0x0
	.amdhsa_kernel _ZN7rocprim17ROCPRIM_400000_NS6detail17trampoline_kernelINS0_13select_configILj256ELj13ELNS0_17block_load_methodE3ELS4_3ELS4_3ELNS0_20block_scan_algorithmE0ELj4294967295EEENS1_25partition_config_selectorILNS1_17partition_subalgoE3EjNS0_10empty_typeEbEEZZNS1_14partition_implILS8_3ELb0ES6_jNS0_17counting_iteratorIjlEEPS9_SE_NS0_5tupleIJPjSE_EEENSF_IJSE_SE_EEES9_SG_JZNS1_25segmented_radix_sort_implINS0_14default_configELb0EPK6__halfPSL_PKlPlN2at6native12_GLOBAL__N_18offset_tEEE10hipError_tPvRmT1_PNSt15iterator_traitsISZ_E10value_typeET2_T3_PNS10_IS15_E10value_typeET4_jRbjT5_S1B_jjP12ihipStream_tbEUljE_EEESW_SX_SY_S15_S19_S1B_T6_T7_T9_mT8_S1D_bDpT10_ENKUlT_T0_E_clISt17integral_constantIbLb1EES1P_IbLb0EEEEDaS1L_S1M_EUlS1L_E_NS1_11comp_targetILNS1_3genE5ELNS1_11target_archE942ELNS1_3gpuE9ELNS1_3repE0EEENS1_30default_config_static_selectorELNS0_4arch9wavefront6targetE0EEEvSZ_
		.amdhsa_group_segment_fixed_size 0
		.amdhsa_private_segment_fixed_size 0
		.amdhsa_kernarg_size 144
		.amdhsa_user_sgpr_count 6
		.amdhsa_user_sgpr_private_segment_buffer 1
		.amdhsa_user_sgpr_dispatch_ptr 0
		.amdhsa_user_sgpr_queue_ptr 0
		.amdhsa_user_sgpr_kernarg_segment_ptr 1
		.amdhsa_user_sgpr_dispatch_id 0
		.amdhsa_user_sgpr_flat_scratch_init 0
		.amdhsa_user_sgpr_private_segment_size 0
		.amdhsa_wavefront_size32 1
		.amdhsa_uses_dynamic_stack 0
		.amdhsa_system_sgpr_private_segment_wavefront_offset 0
		.amdhsa_system_sgpr_workgroup_id_x 1
		.amdhsa_system_sgpr_workgroup_id_y 0
		.amdhsa_system_sgpr_workgroup_id_z 0
		.amdhsa_system_sgpr_workgroup_info 0
		.amdhsa_system_vgpr_workitem_id 0
		.amdhsa_next_free_vgpr 1
		.amdhsa_next_free_sgpr 1
		.amdhsa_reserve_vcc 0
		.amdhsa_reserve_flat_scratch 0
		.amdhsa_float_round_mode_32 0
		.amdhsa_float_round_mode_16_64 0
		.amdhsa_float_denorm_mode_32 3
		.amdhsa_float_denorm_mode_16_64 3
		.amdhsa_dx10_clamp 1
		.amdhsa_ieee_mode 1
		.amdhsa_fp16_overflow 0
		.amdhsa_workgroup_processor_mode 1
		.amdhsa_memory_ordered 1
		.amdhsa_forward_progress 1
		.amdhsa_shared_vgpr_count 0
		.amdhsa_exception_fp_ieee_invalid_op 0
		.amdhsa_exception_fp_denorm_src 0
		.amdhsa_exception_fp_ieee_div_zero 0
		.amdhsa_exception_fp_ieee_overflow 0
		.amdhsa_exception_fp_ieee_underflow 0
		.amdhsa_exception_fp_ieee_inexact 0
		.amdhsa_exception_int_div_zero 0
	.end_amdhsa_kernel
	.section	.text._ZN7rocprim17ROCPRIM_400000_NS6detail17trampoline_kernelINS0_13select_configILj256ELj13ELNS0_17block_load_methodE3ELS4_3ELS4_3ELNS0_20block_scan_algorithmE0ELj4294967295EEENS1_25partition_config_selectorILNS1_17partition_subalgoE3EjNS0_10empty_typeEbEEZZNS1_14partition_implILS8_3ELb0ES6_jNS0_17counting_iteratorIjlEEPS9_SE_NS0_5tupleIJPjSE_EEENSF_IJSE_SE_EEES9_SG_JZNS1_25segmented_radix_sort_implINS0_14default_configELb0EPK6__halfPSL_PKlPlN2at6native12_GLOBAL__N_18offset_tEEE10hipError_tPvRmT1_PNSt15iterator_traitsISZ_E10value_typeET2_T3_PNS10_IS15_E10value_typeET4_jRbjT5_S1B_jjP12ihipStream_tbEUljE_EEESW_SX_SY_S15_S19_S1B_T6_T7_T9_mT8_S1D_bDpT10_ENKUlT_T0_E_clISt17integral_constantIbLb1EES1P_IbLb0EEEEDaS1L_S1M_EUlS1L_E_NS1_11comp_targetILNS1_3genE5ELNS1_11target_archE942ELNS1_3gpuE9ELNS1_3repE0EEENS1_30default_config_static_selectorELNS0_4arch9wavefront6targetE0EEEvSZ_,"axG",@progbits,_ZN7rocprim17ROCPRIM_400000_NS6detail17trampoline_kernelINS0_13select_configILj256ELj13ELNS0_17block_load_methodE3ELS4_3ELS4_3ELNS0_20block_scan_algorithmE0ELj4294967295EEENS1_25partition_config_selectorILNS1_17partition_subalgoE3EjNS0_10empty_typeEbEEZZNS1_14partition_implILS8_3ELb0ES6_jNS0_17counting_iteratorIjlEEPS9_SE_NS0_5tupleIJPjSE_EEENSF_IJSE_SE_EEES9_SG_JZNS1_25segmented_radix_sort_implINS0_14default_configELb0EPK6__halfPSL_PKlPlN2at6native12_GLOBAL__N_18offset_tEEE10hipError_tPvRmT1_PNSt15iterator_traitsISZ_E10value_typeET2_T3_PNS10_IS15_E10value_typeET4_jRbjT5_S1B_jjP12ihipStream_tbEUljE_EEESW_SX_SY_S15_S19_S1B_T6_T7_T9_mT8_S1D_bDpT10_ENKUlT_T0_E_clISt17integral_constantIbLb1EES1P_IbLb0EEEEDaS1L_S1M_EUlS1L_E_NS1_11comp_targetILNS1_3genE5ELNS1_11target_archE942ELNS1_3gpuE9ELNS1_3repE0EEENS1_30default_config_static_selectorELNS0_4arch9wavefront6targetE0EEEvSZ_,comdat
.Lfunc_end1817:
	.size	_ZN7rocprim17ROCPRIM_400000_NS6detail17trampoline_kernelINS0_13select_configILj256ELj13ELNS0_17block_load_methodE3ELS4_3ELS4_3ELNS0_20block_scan_algorithmE0ELj4294967295EEENS1_25partition_config_selectorILNS1_17partition_subalgoE3EjNS0_10empty_typeEbEEZZNS1_14partition_implILS8_3ELb0ES6_jNS0_17counting_iteratorIjlEEPS9_SE_NS0_5tupleIJPjSE_EEENSF_IJSE_SE_EEES9_SG_JZNS1_25segmented_radix_sort_implINS0_14default_configELb0EPK6__halfPSL_PKlPlN2at6native12_GLOBAL__N_18offset_tEEE10hipError_tPvRmT1_PNSt15iterator_traitsISZ_E10value_typeET2_T3_PNS10_IS15_E10value_typeET4_jRbjT5_S1B_jjP12ihipStream_tbEUljE_EEESW_SX_SY_S15_S19_S1B_T6_T7_T9_mT8_S1D_bDpT10_ENKUlT_T0_E_clISt17integral_constantIbLb1EES1P_IbLb0EEEEDaS1L_S1M_EUlS1L_E_NS1_11comp_targetILNS1_3genE5ELNS1_11target_archE942ELNS1_3gpuE9ELNS1_3repE0EEENS1_30default_config_static_selectorELNS0_4arch9wavefront6targetE0EEEvSZ_, .Lfunc_end1817-_ZN7rocprim17ROCPRIM_400000_NS6detail17trampoline_kernelINS0_13select_configILj256ELj13ELNS0_17block_load_methodE3ELS4_3ELS4_3ELNS0_20block_scan_algorithmE0ELj4294967295EEENS1_25partition_config_selectorILNS1_17partition_subalgoE3EjNS0_10empty_typeEbEEZZNS1_14partition_implILS8_3ELb0ES6_jNS0_17counting_iteratorIjlEEPS9_SE_NS0_5tupleIJPjSE_EEENSF_IJSE_SE_EEES9_SG_JZNS1_25segmented_radix_sort_implINS0_14default_configELb0EPK6__halfPSL_PKlPlN2at6native12_GLOBAL__N_18offset_tEEE10hipError_tPvRmT1_PNSt15iterator_traitsISZ_E10value_typeET2_T3_PNS10_IS15_E10value_typeET4_jRbjT5_S1B_jjP12ihipStream_tbEUljE_EEESW_SX_SY_S15_S19_S1B_T6_T7_T9_mT8_S1D_bDpT10_ENKUlT_T0_E_clISt17integral_constantIbLb1EES1P_IbLb0EEEEDaS1L_S1M_EUlS1L_E_NS1_11comp_targetILNS1_3genE5ELNS1_11target_archE942ELNS1_3gpuE9ELNS1_3repE0EEENS1_30default_config_static_selectorELNS0_4arch9wavefront6targetE0EEEvSZ_
                                        ; -- End function
	.set _ZN7rocprim17ROCPRIM_400000_NS6detail17trampoline_kernelINS0_13select_configILj256ELj13ELNS0_17block_load_methodE3ELS4_3ELS4_3ELNS0_20block_scan_algorithmE0ELj4294967295EEENS1_25partition_config_selectorILNS1_17partition_subalgoE3EjNS0_10empty_typeEbEEZZNS1_14partition_implILS8_3ELb0ES6_jNS0_17counting_iteratorIjlEEPS9_SE_NS0_5tupleIJPjSE_EEENSF_IJSE_SE_EEES9_SG_JZNS1_25segmented_radix_sort_implINS0_14default_configELb0EPK6__halfPSL_PKlPlN2at6native12_GLOBAL__N_18offset_tEEE10hipError_tPvRmT1_PNSt15iterator_traitsISZ_E10value_typeET2_T3_PNS10_IS15_E10value_typeET4_jRbjT5_S1B_jjP12ihipStream_tbEUljE_EEESW_SX_SY_S15_S19_S1B_T6_T7_T9_mT8_S1D_bDpT10_ENKUlT_T0_E_clISt17integral_constantIbLb1EES1P_IbLb0EEEEDaS1L_S1M_EUlS1L_E_NS1_11comp_targetILNS1_3genE5ELNS1_11target_archE942ELNS1_3gpuE9ELNS1_3repE0EEENS1_30default_config_static_selectorELNS0_4arch9wavefront6targetE0EEEvSZ_.num_vgpr, 0
	.set _ZN7rocprim17ROCPRIM_400000_NS6detail17trampoline_kernelINS0_13select_configILj256ELj13ELNS0_17block_load_methodE3ELS4_3ELS4_3ELNS0_20block_scan_algorithmE0ELj4294967295EEENS1_25partition_config_selectorILNS1_17partition_subalgoE3EjNS0_10empty_typeEbEEZZNS1_14partition_implILS8_3ELb0ES6_jNS0_17counting_iteratorIjlEEPS9_SE_NS0_5tupleIJPjSE_EEENSF_IJSE_SE_EEES9_SG_JZNS1_25segmented_radix_sort_implINS0_14default_configELb0EPK6__halfPSL_PKlPlN2at6native12_GLOBAL__N_18offset_tEEE10hipError_tPvRmT1_PNSt15iterator_traitsISZ_E10value_typeET2_T3_PNS10_IS15_E10value_typeET4_jRbjT5_S1B_jjP12ihipStream_tbEUljE_EEESW_SX_SY_S15_S19_S1B_T6_T7_T9_mT8_S1D_bDpT10_ENKUlT_T0_E_clISt17integral_constantIbLb1EES1P_IbLb0EEEEDaS1L_S1M_EUlS1L_E_NS1_11comp_targetILNS1_3genE5ELNS1_11target_archE942ELNS1_3gpuE9ELNS1_3repE0EEENS1_30default_config_static_selectorELNS0_4arch9wavefront6targetE0EEEvSZ_.num_agpr, 0
	.set _ZN7rocprim17ROCPRIM_400000_NS6detail17trampoline_kernelINS0_13select_configILj256ELj13ELNS0_17block_load_methodE3ELS4_3ELS4_3ELNS0_20block_scan_algorithmE0ELj4294967295EEENS1_25partition_config_selectorILNS1_17partition_subalgoE3EjNS0_10empty_typeEbEEZZNS1_14partition_implILS8_3ELb0ES6_jNS0_17counting_iteratorIjlEEPS9_SE_NS0_5tupleIJPjSE_EEENSF_IJSE_SE_EEES9_SG_JZNS1_25segmented_radix_sort_implINS0_14default_configELb0EPK6__halfPSL_PKlPlN2at6native12_GLOBAL__N_18offset_tEEE10hipError_tPvRmT1_PNSt15iterator_traitsISZ_E10value_typeET2_T3_PNS10_IS15_E10value_typeET4_jRbjT5_S1B_jjP12ihipStream_tbEUljE_EEESW_SX_SY_S15_S19_S1B_T6_T7_T9_mT8_S1D_bDpT10_ENKUlT_T0_E_clISt17integral_constantIbLb1EES1P_IbLb0EEEEDaS1L_S1M_EUlS1L_E_NS1_11comp_targetILNS1_3genE5ELNS1_11target_archE942ELNS1_3gpuE9ELNS1_3repE0EEENS1_30default_config_static_selectorELNS0_4arch9wavefront6targetE0EEEvSZ_.numbered_sgpr, 0
	.set _ZN7rocprim17ROCPRIM_400000_NS6detail17trampoline_kernelINS0_13select_configILj256ELj13ELNS0_17block_load_methodE3ELS4_3ELS4_3ELNS0_20block_scan_algorithmE0ELj4294967295EEENS1_25partition_config_selectorILNS1_17partition_subalgoE3EjNS0_10empty_typeEbEEZZNS1_14partition_implILS8_3ELb0ES6_jNS0_17counting_iteratorIjlEEPS9_SE_NS0_5tupleIJPjSE_EEENSF_IJSE_SE_EEES9_SG_JZNS1_25segmented_radix_sort_implINS0_14default_configELb0EPK6__halfPSL_PKlPlN2at6native12_GLOBAL__N_18offset_tEEE10hipError_tPvRmT1_PNSt15iterator_traitsISZ_E10value_typeET2_T3_PNS10_IS15_E10value_typeET4_jRbjT5_S1B_jjP12ihipStream_tbEUljE_EEESW_SX_SY_S15_S19_S1B_T6_T7_T9_mT8_S1D_bDpT10_ENKUlT_T0_E_clISt17integral_constantIbLb1EES1P_IbLb0EEEEDaS1L_S1M_EUlS1L_E_NS1_11comp_targetILNS1_3genE5ELNS1_11target_archE942ELNS1_3gpuE9ELNS1_3repE0EEENS1_30default_config_static_selectorELNS0_4arch9wavefront6targetE0EEEvSZ_.num_named_barrier, 0
	.set _ZN7rocprim17ROCPRIM_400000_NS6detail17trampoline_kernelINS0_13select_configILj256ELj13ELNS0_17block_load_methodE3ELS4_3ELS4_3ELNS0_20block_scan_algorithmE0ELj4294967295EEENS1_25partition_config_selectorILNS1_17partition_subalgoE3EjNS0_10empty_typeEbEEZZNS1_14partition_implILS8_3ELb0ES6_jNS0_17counting_iteratorIjlEEPS9_SE_NS0_5tupleIJPjSE_EEENSF_IJSE_SE_EEES9_SG_JZNS1_25segmented_radix_sort_implINS0_14default_configELb0EPK6__halfPSL_PKlPlN2at6native12_GLOBAL__N_18offset_tEEE10hipError_tPvRmT1_PNSt15iterator_traitsISZ_E10value_typeET2_T3_PNS10_IS15_E10value_typeET4_jRbjT5_S1B_jjP12ihipStream_tbEUljE_EEESW_SX_SY_S15_S19_S1B_T6_T7_T9_mT8_S1D_bDpT10_ENKUlT_T0_E_clISt17integral_constantIbLb1EES1P_IbLb0EEEEDaS1L_S1M_EUlS1L_E_NS1_11comp_targetILNS1_3genE5ELNS1_11target_archE942ELNS1_3gpuE9ELNS1_3repE0EEENS1_30default_config_static_selectorELNS0_4arch9wavefront6targetE0EEEvSZ_.private_seg_size, 0
	.set _ZN7rocprim17ROCPRIM_400000_NS6detail17trampoline_kernelINS0_13select_configILj256ELj13ELNS0_17block_load_methodE3ELS4_3ELS4_3ELNS0_20block_scan_algorithmE0ELj4294967295EEENS1_25partition_config_selectorILNS1_17partition_subalgoE3EjNS0_10empty_typeEbEEZZNS1_14partition_implILS8_3ELb0ES6_jNS0_17counting_iteratorIjlEEPS9_SE_NS0_5tupleIJPjSE_EEENSF_IJSE_SE_EEES9_SG_JZNS1_25segmented_radix_sort_implINS0_14default_configELb0EPK6__halfPSL_PKlPlN2at6native12_GLOBAL__N_18offset_tEEE10hipError_tPvRmT1_PNSt15iterator_traitsISZ_E10value_typeET2_T3_PNS10_IS15_E10value_typeET4_jRbjT5_S1B_jjP12ihipStream_tbEUljE_EEESW_SX_SY_S15_S19_S1B_T6_T7_T9_mT8_S1D_bDpT10_ENKUlT_T0_E_clISt17integral_constantIbLb1EES1P_IbLb0EEEEDaS1L_S1M_EUlS1L_E_NS1_11comp_targetILNS1_3genE5ELNS1_11target_archE942ELNS1_3gpuE9ELNS1_3repE0EEENS1_30default_config_static_selectorELNS0_4arch9wavefront6targetE0EEEvSZ_.uses_vcc, 0
	.set _ZN7rocprim17ROCPRIM_400000_NS6detail17trampoline_kernelINS0_13select_configILj256ELj13ELNS0_17block_load_methodE3ELS4_3ELS4_3ELNS0_20block_scan_algorithmE0ELj4294967295EEENS1_25partition_config_selectorILNS1_17partition_subalgoE3EjNS0_10empty_typeEbEEZZNS1_14partition_implILS8_3ELb0ES6_jNS0_17counting_iteratorIjlEEPS9_SE_NS0_5tupleIJPjSE_EEENSF_IJSE_SE_EEES9_SG_JZNS1_25segmented_radix_sort_implINS0_14default_configELb0EPK6__halfPSL_PKlPlN2at6native12_GLOBAL__N_18offset_tEEE10hipError_tPvRmT1_PNSt15iterator_traitsISZ_E10value_typeET2_T3_PNS10_IS15_E10value_typeET4_jRbjT5_S1B_jjP12ihipStream_tbEUljE_EEESW_SX_SY_S15_S19_S1B_T6_T7_T9_mT8_S1D_bDpT10_ENKUlT_T0_E_clISt17integral_constantIbLb1EES1P_IbLb0EEEEDaS1L_S1M_EUlS1L_E_NS1_11comp_targetILNS1_3genE5ELNS1_11target_archE942ELNS1_3gpuE9ELNS1_3repE0EEENS1_30default_config_static_selectorELNS0_4arch9wavefront6targetE0EEEvSZ_.uses_flat_scratch, 0
	.set _ZN7rocprim17ROCPRIM_400000_NS6detail17trampoline_kernelINS0_13select_configILj256ELj13ELNS0_17block_load_methodE3ELS4_3ELS4_3ELNS0_20block_scan_algorithmE0ELj4294967295EEENS1_25partition_config_selectorILNS1_17partition_subalgoE3EjNS0_10empty_typeEbEEZZNS1_14partition_implILS8_3ELb0ES6_jNS0_17counting_iteratorIjlEEPS9_SE_NS0_5tupleIJPjSE_EEENSF_IJSE_SE_EEES9_SG_JZNS1_25segmented_radix_sort_implINS0_14default_configELb0EPK6__halfPSL_PKlPlN2at6native12_GLOBAL__N_18offset_tEEE10hipError_tPvRmT1_PNSt15iterator_traitsISZ_E10value_typeET2_T3_PNS10_IS15_E10value_typeET4_jRbjT5_S1B_jjP12ihipStream_tbEUljE_EEESW_SX_SY_S15_S19_S1B_T6_T7_T9_mT8_S1D_bDpT10_ENKUlT_T0_E_clISt17integral_constantIbLb1EES1P_IbLb0EEEEDaS1L_S1M_EUlS1L_E_NS1_11comp_targetILNS1_3genE5ELNS1_11target_archE942ELNS1_3gpuE9ELNS1_3repE0EEENS1_30default_config_static_selectorELNS0_4arch9wavefront6targetE0EEEvSZ_.has_dyn_sized_stack, 0
	.set _ZN7rocprim17ROCPRIM_400000_NS6detail17trampoline_kernelINS0_13select_configILj256ELj13ELNS0_17block_load_methodE3ELS4_3ELS4_3ELNS0_20block_scan_algorithmE0ELj4294967295EEENS1_25partition_config_selectorILNS1_17partition_subalgoE3EjNS0_10empty_typeEbEEZZNS1_14partition_implILS8_3ELb0ES6_jNS0_17counting_iteratorIjlEEPS9_SE_NS0_5tupleIJPjSE_EEENSF_IJSE_SE_EEES9_SG_JZNS1_25segmented_radix_sort_implINS0_14default_configELb0EPK6__halfPSL_PKlPlN2at6native12_GLOBAL__N_18offset_tEEE10hipError_tPvRmT1_PNSt15iterator_traitsISZ_E10value_typeET2_T3_PNS10_IS15_E10value_typeET4_jRbjT5_S1B_jjP12ihipStream_tbEUljE_EEESW_SX_SY_S15_S19_S1B_T6_T7_T9_mT8_S1D_bDpT10_ENKUlT_T0_E_clISt17integral_constantIbLb1EES1P_IbLb0EEEEDaS1L_S1M_EUlS1L_E_NS1_11comp_targetILNS1_3genE5ELNS1_11target_archE942ELNS1_3gpuE9ELNS1_3repE0EEENS1_30default_config_static_selectorELNS0_4arch9wavefront6targetE0EEEvSZ_.has_recursion, 0
	.set _ZN7rocprim17ROCPRIM_400000_NS6detail17trampoline_kernelINS0_13select_configILj256ELj13ELNS0_17block_load_methodE3ELS4_3ELS4_3ELNS0_20block_scan_algorithmE0ELj4294967295EEENS1_25partition_config_selectorILNS1_17partition_subalgoE3EjNS0_10empty_typeEbEEZZNS1_14partition_implILS8_3ELb0ES6_jNS0_17counting_iteratorIjlEEPS9_SE_NS0_5tupleIJPjSE_EEENSF_IJSE_SE_EEES9_SG_JZNS1_25segmented_radix_sort_implINS0_14default_configELb0EPK6__halfPSL_PKlPlN2at6native12_GLOBAL__N_18offset_tEEE10hipError_tPvRmT1_PNSt15iterator_traitsISZ_E10value_typeET2_T3_PNS10_IS15_E10value_typeET4_jRbjT5_S1B_jjP12ihipStream_tbEUljE_EEESW_SX_SY_S15_S19_S1B_T6_T7_T9_mT8_S1D_bDpT10_ENKUlT_T0_E_clISt17integral_constantIbLb1EES1P_IbLb0EEEEDaS1L_S1M_EUlS1L_E_NS1_11comp_targetILNS1_3genE5ELNS1_11target_archE942ELNS1_3gpuE9ELNS1_3repE0EEENS1_30default_config_static_selectorELNS0_4arch9wavefront6targetE0EEEvSZ_.has_indirect_call, 0
	.section	.AMDGPU.csdata,"",@progbits
; Kernel info:
; codeLenInByte = 0
; TotalNumSgprs: 0
; NumVgprs: 0
; ScratchSize: 0
; MemoryBound: 0
; FloatMode: 240
; IeeeMode: 1
; LDSByteSize: 0 bytes/workgroup (compile time only)
; SGPRBlocks: 0
; VGPRBlocks: 0
; NumSGPRsForWavesPerEU: 1
; NumVGPRsForWavesPerEU: 1
; Occupancy: 16
; WaveLimiterHint : 0
; COMPUTE_PGM_RSRC2:SCRATCH_EN: 0
; COMPUTE_PGM_RSRC2:USER_SGPR: 6
; COMPUTE_PGM_RSRC2:TRAP_HANDLER: 0
; COMPUTE_PGM_RSRC2:TGID_X_EN: 1
; COMPUTE_PGM_RSRC2:TGID_Y_EN: 0
; COMPUTE_PGM_RSRC2:TGID_Z_EN: 0
; COMPUTE_PGM_RSRC2:TIDIG_COMP_CNT: 0
	.section	.text._ZN7rocprim17ROCPRIM_400000_NS6detail17trampoline_kernelINS0_13select_configILj256ELj13ELNS0_17block_load_methodE3ELS4_3ELS4_3ELNS0_20block_scan_algorithmE0ELj4294967295EEENS1_25partition_config_selectorILNS1_17partition_subalgoE3EjNS0_10empty_typeEbEEZZNS1_14partition_implILS8_3ELb0ES6_jNS0_17counting_iteratorIjlEEPS9_SE_NS0_5tupleIJPjSE_EEENSF_IJSE_SE_EEES9_SG_JZNS1_25segmented_radix_sort_implINS0_14default_configELb0EPK6__halfPSL_PKlPlN2at6native12_GLOBAL__N_18offset_tEEE10hipError_tPvRmT1_PNSt15iterator_traitsISZ_E10value_typeET2_T3_PNS10_IS15_E10value_typeET4_jRbjT5_S1B_jjP12ihipStream_tbEUljE_EEESW_SX_SY_S15_S19_S1B_T6_T7_T9_mT8_S1D_bDpT10_ENKUlT_T0_E_clISt17integral_constantIbLb1EES1P_IbLb0EEEEDaS1L_S1M_EUlS1L_E_NS1_11comp_targetILNS1_3genE4ELNS1_11target_archE910ELNS1_3gpuE8ELNS1_3repE0EEENS1_30default_config_static_selectorELNS0_4arch9wavefront6targetE0EEEvSZ_,"axG",@progbits,_ZN7rocprim17ROCPRIM_400000_NS6detail17trampoline_kernelINS0_13select_configILj256ELj13ELNS0_17block_load_methodE3ELS4_3ELS4_3ELNS0_20block_scan_algorithmE0ELj4294967295EEENS1_25partition_config_selectorILNS1_17partition_subalgoE3EjNS0_10empty_typeEbEEZZNS1_14partition_implILS8_3ELb0ES6_jNS0_17counting_iteratorIjlEEPS9_SE_NS0_5tupleIJPjSE_EEENSF_IJSE_SE_EEES9_SG_JZNS1_25segmented_radix_sort_implINS0_14default_configELb0EPK6__halfPSL_PKlPlN2at6native12_GLOBAL__N_18offset_tEEE10hipError_tPvRmT1_PNSt15iterator_traitsISZ_E10value_typeET2_T3_PNS10_IS15_E10value_typeET4_jRbjT5_S1B_jjP12ihipStream_tbEUljE_EEESW_SX_SY_S15_S19_S1B_T6_T7_T9_mT8_S1D_bDpT10_ENKUlT_T0_E_clISt17integral_constantIbLb1EES1P_IbLb0EEEEDaS1L_S1M_EUlS1L_E_NS1_11comp_targetILNS1_3genE4ELNS1_11target_archE910ELNS1_3gpuE8ELNS1_3repE0EEENS1_30default_config_static_selectorELNS0_4arch9wavefront6targetE0EEEvSZ_,comdat
	.globl	_ZN7rocprim17ROCPRIM_400000_NS6detail17trampoline_kernelINS0_13select_configILj256ELj13ELNS0_17block_load_methodE3ELS4_3ELS4_3ELNS0_20block_scan_algorithmE0ELj4294967295EEENS1_25partition_config_selectorILNS1_17partition_subalgoE3EjNS0_10empty_typeEbEEZZNS1_14partition_implILS8_3ELb0ES6_jNS0_17counting_iteratorIjlEEPS9_SE_NS0_5tupleIJPjSE_EEENSF_IJSE_SE_EEES9_SG_JZNS1_25segmented_radix_sort_implINS0_14default_configELb0EPK6__halfPSL_PKlPlN2at6native12_GLOBAL__N_18offset_tEEE10hipError_tPvRmT1_PNSt15iterator_traitsISZ_E10value_typeET2_T3_PNS10_IS15_E10value_typeET4_jRbjT5_S1B_jjP12ihipStream_tbEUljE_EEESW_SX_SY_S15_S19_S1B_T6_T7_T9_mT8_S1D_bDpT10_ENKUlT_T0_E_clISt17integral_constantIbLb1EES1P_IbLb0EEEEDaS1L_S1M_EUlS1L_E_NS1_11comp_targetILNS1_3genE4ELNS1_11target_archE910ELNS1_3gpuE8ELNS1_3repE0EEENS1_30default_config_static_selectorELNS0_4arch9wavefront6targetE0EEEvSZ_ ; -- Begin function _ZN7rocprim17ROCPRIM_400000_NS6detail17trampoline_kernelINS0_13select_configILj256ELj13ELNS0_17block_load_methodE3ELS4_3ELS4_3ELNS0_20block_scan_algorithmE0ELj4294967295EEENS1_25partition_config_selectorILNS1_17partition_subalgoE3EjNS0_10empty_typeEbEEZZNS1_14partition_implILS8_3ELb0ES6_jNS0_17counting_iteratorIjlEEPS9_SE_NS0_5tupleIJPjSE_EEENSF_IJSE_SE_EEES9_SG_JZNS1_25segmented_radix_sort_implINS0_14default_configELb0EPK6__halfPSL_PKlPlN2at6native12_GLOBAL__N_18offset_tEEE10hipError_tPvRmT1_PNSt15iterator_traitsISZ_E10value_typeET2_T3_PNS10_IS15_E10value_typeET4_jRbjT5_S1B_jjP12ihipStream_tbEUljE_EEESW_SX_SY_S15_S19_S1B_T6_T7_T9_mT8_S1D_bDpT10_ENKUlT_T0_E_clISt17integral_constantIbLb1EES1P_IbLb0EEEEDaS1L_S1M_EUlS1L_E_NS1_11comp_targetILNS1_3genE4ELNS1_11target_archE910ELNS1_3gpuE8ELNS1_3repE0EEENS1_30default_config_static_selectorELNS0_4arch9wavefront6targetE0EEEvSZ_
	.p2align	8
	.type	_ZN7rocprim17ROCPRIM_400000_NS6detail17trampoline_kernelINS0_13select_configILj256ELj13ELNS0_17block_load_methodE3ELS4_3ELS4_3ELNS0_20block_scan_algorithmE0ELj4294967295EEENS1_25partition_config_selectorILNS1_17partition_subalgoE3EjNS0_10empty_typeEbEEZZNS1_14partition_implILS8_3ELb0ES6_jNS0_17counting_iteratorIjlEEPS9_SE_NS0_5tupleIJPjSE_EEENSF_IJSE_SE_EEES9_SG_JZNS1_25segmented_radix_sort_implINS0_14default_configELb0EPK6__halfPSL_PKlPlN2at6native12_GLOBAL__N_18offset_tEEE10hipError_tPvRmT1_PNSt15iterator_traitsISZ_E10value_typeET2_T3_PNS10_IS15_E10value_typeET4_jRbjT5_S1B_jjP12ihipStream_tbEUljE_EEESW_SX_SY_S15_S19_S1B_T6_T7_T9_mT8_S1D_bDpT10_ENKUlT_T0_E_clISt17integral_constantIbLb1EES1P_IbLb0EEEEDaS1L_S1M_EUlS1L_E_NS1_11comp_targetILNS1_3genE4ELNS1_11target_archE910ELNS1_3gpuE8ELNS1_3repE0EEENS1_30default_config_static_selectorELNS0_4arch9wavefront6targetE0EEEvSZ_,@function
_ZN7rocprim17ROCPRIM_400000_NS6detail17trampoline_kernelINS0_13select_configILj256ELj13ELNS0_17block_load_methodE3ELS4_3ELS4_3ELNS0_20block_scan_algorithmE0ELj4294967295EEENS1_25partition_config_selectorILNS1_17partition_subalgoE3EjNS0_10empty_typeEbEEZZNS1_14partition_implILS8_3ELb0ES6_jNS0_17counting_iteratorIjlEEPS9_SE_NS0_5tupleIJPjSE_EEENSF_IJSE_SE_EEES9_SG_JZNS1_25segmented_radix_sort_implINS0_14default_configELb0EPK6__halfPSL_PKlPlN2at6native12_GLOBAL__N_18offset_tEEE10hipError_tPvRmT1_PNSt15iterator_traitsISZ_E10value_typeET2_T3_PNS10_IS15_E10value_typeET4_jRbjT5_S1B_jjP12ihipStream_tbEUljE_EEESW_SX_SY_S15_S19_S1B_T6_T7_T9_mT8_S1D_bDpT10_ENKUlT_T0_E_clISt17integral_constantIbLb1EES1P_IbLb0EEEEDaS1L_S1M_EUlS1L_E_NS1_11comp_targetILNS1_3genE4ELNS1_11target_archE910ELNS1_3gpuE8ELNS1_3repE0EEENS1_30default_config_static_selectorELNS0_4arch9wavefront6targetE0EEEvSZ_: ; @_ZN7rocprim17ROCPRIM_400000_NS6detail17trampoline_kernelINS0_13select_configILj256ELj13ELNS0_17block_load_methodE3ELS4_3ELS4_3ELNS0_20block_scan_algorithmE0ELj4294967295EEENS1_25partition_config_selectorILNS1_17partition_subalgoE3EjNS0_10empty_typeEbEEZZNS1_14partition_implILS8_3ELb0ES6_jNS0_17counting_iteratorIjlEEPS9_SE_NS0_5tupleIJPjSE_EEENSF_IJSE_SE_EEES9_SG_JZNS1_25segmented_radix_sort_implINS0_14default_configELb0EPK6__halfPSL_PKlPlN2at6native12_GLOBAL__N_18offset_tEEE10hipError_tPvRmT1_PNSt15iterator_traitsISZ_E10value_typeET2_T3_PNS10_IS15_E10value_typeET4_jRbjT5_S1B_jjP12ihipStream_tbEUljE_EEESW_SX_SY_S15_S19_S1B_T6_T7_T9_mT8_S1D_bDpT10_ENKUlT_T0_E_clISt17integral_constantIbLb1EES1P_IbLb0EEEEDaS1L_S1M_EUlS1L_E_NS1_11comp_targetILNS1_3genE4ELNS1_11target_archE910ELNS1_3gpuE8ELNS1_3repE0EEENS1_30default_config_static_selectorELNS0_4arch9wavefront6targetE0EEEvSZ_
; %bb.0:
	.section	.rodata,"a",@progbits
	.p2align	6, 0x0
	.amdhsa_kernel _ZN7rocprim17ROCPRIM_400000_NS6detail17trampoline_kernelINS0_13select_configILj256ELj13ELNS0_17block_load_methodE3ELS4_3ELS4_3ELNS0_20block_scan_algorithmE0ELj4294967295EEENS1_25partition_config_selectorILNS1_17partition_subalgoE3EjNS0_10empty_typeEbEEZZNS1_14partition_implILS8_3ELb0ES6_jNS0_17counting_iteratorIjlEEPS9_SE_NS0_5tupleIJPjSE_EEENSF_IJSE_SE_EEES9_SG_JZNS1_25segmented_radix_sort_implINS0_14default_configELb0EPK6__halfPSL_PKlPlN2at6native12_GLOBAL__N_18offset_tEEE10hipError_tPvRmT1_PNSt15iterator_traitsISZ_E10value_typeET2_T3_PNS10_IS15_E10value_typeET4_jRbjT5_S1B_jjP12ihipStream_tbEUljE_EEESW_SX_SY_S15_S19_S1B_T6_T7_T9_mT8_S1D_bDpT10_ENKUlT_T0_E_clISt17integral_constantIbLb1EES1P_IbLb0EEEEDaS1L_S1M_EUlS1L_E_NS1_11comp_targetILNS1_3genE4ELNS1_11target_archE910ELNS1_3gpuE8ELNS1_3repE0EEENS1_30default_config_static_selectorELNS0_4arch9wavefront6targetE0EEEvSZ_
		.amdhsa_group_segment_fixed_size 0
		.amdhsa_private_segment_fixed_size 0
		.amdhsa_kernarg_size 144
		.amdhsa_user_sgpr_count 6
		.amdhsa_user_sgpr_private_segment_buffer 1
		.amdhsa_user_sgpr_dispatch_ptr 0
		.amdhsa_user_sgpr_queue_ptr 0
		.amdhsa_user_sgpr_kernarg_segment_ptr 1
		.amdhsa_user_sgpr_dispatch_id 0
		.amdhsa_user_sgpr_flat_scratch_init 0
		.amdhsa_user_sgpr_private_segment_size 0
		.amdhsa_wavefront_size32 1
		.amdhsa_uses_dynamic_stack 0
		.amdhsa_system_sgpr_private_segment_wavefront_offset 0
		.amdhsa_system_sgpr_workgroup_id_x 1
		.amdhsa_system_sgpr_workgroup_id_y 0
		.amdhsa_system_sgpr_workgroup_id_z 0
		.amdhsa_system_sgpr_workgroup_info 0
		.amdhsa_system_vgpr_workitem_id 0
		.amdhsa_next_free_vgpr 1
		.amdhsa_next_free_sgpr 1
		.amdhsa_reserve_vcc 0
		.amdhsa_reserve_flat_scratch 0
		.amdhsa_float_round_mode_32 0
		.amdhsa_float_round_mode_16_64 0
		.amdhsa_float_denorm_mode_32 3
		.amdhsa_float_denorm_mode_16_64 3
		.amdhsa_dx10_clamp 1
		.amdhsa_ieee_mode 1
		.amdhsa_fp16_overflow 0
		.amdhsa_workgroup_processor_mode 1
		.amdhsa_memory_ordered 1
		.amdhsa_forward_progress 1
		.amdhsa_shared_vgpr_count 0
		.amdhsa_exception_fp_ieee_invalid_op 0
		.amdhsa_exception_fp_denorm_src 0
		.amdhsa_exception_fp_ieee_div_zero 0
		.amdhsa_exception_fp_ieee_overflow 0
		.amdhsa_exception_fp_ieee_underflow 0
		.amdhsa_exception_fp_ieee_inexact 0
		.amdhsa_exception_int_div_zero 0
	.end_amdhsa_kernel
	.section	.text._ZN7rocprim17ROCPRIM_400000_NS6detail17trampoline_kernelINS0_13select_configILj256ELj13ELNS0_17block_load_methodE3ELS4_3ELS4_3ELNS0_20block_scan_algorithmE0ELj4294967295EEENS1_25partition_config_selectorILNS1_17partition_subalgoE3EjNS0_10empty_typeEbEEZZNS1_14partition_implILS8_3ELb0ES6_jNS0_17counting_iteratorIjlEEPS9_SE_NS0_5tupleIJPjSE_EEENSF_IJSE_SE_EEES9_SG_JZNS1_25segmented_radix_sort_implINS0_14default_configELb0EPK6__halfPSL_PKlPlN2at6native12_GLOBAL__N_18offset_tEEE10hipError_tPvRmT1_PNSt15iterator_traitsISZ_E10value_typeET2_T3_PNS10_IS15_E10value_typeET4_jRbjT5_S1B_jjP12ihipStream_tbEUljE_EEESW_SX_SY_S15_S19_S1B_T6_T7_T9_mT8_S1D_bDpT10_ENKUlT_T0_E_clISt17integral_constantIbLb1EES1P_IbLb0EEEEDaS1L_S1M_EUlS1L_E_NS1_11comp_targetILNS1_3genE4ELNS1_11target_archE910ELNS1_3gpuE8ELNS1_3repE0EEENS1_30default_config_static_selectorELNS0_4arch9wavefront6targetE0EEEvSZ_,"axG",@progbits,_ZN7rocprim17ROCPRIM_400000_NS6detail17trampoline_kernelINS0_13select_configILj256ELj13ELNS0_17block_load_methodE3ELS4_3ELS4_3ELNS0_20block_scan_algorithmE0ELj4294967295EEENS1_25partition_config_selectorILNS1_17partition_subalgoE3EjNS0_10empty_typeEbEEZZNS1_14partition_implILS8_3ELb0ES6_jNS0_17counting_iteratorIjlEEPS9_SE_NS0_5tupleIJPjSE_EEENSF_IJSE_SE_EEES9_SG_JZNS1_25segmented_radix_sort_implINS0_14default_configELb0EPK6__halfPSL_PKlPlN2at6native12_GLOBAL__N_18offset_tEEE10hipError_tPvRmT1_PNSt15iterator_traitsISZ_E10value_typeET2_T3_PNS10_IS15_E10value_typeET4_jRbjT5_S1B_jjP12ihipStream_tbEUljE_EEESW_SX_SY_S15_S19_S1B_T6_T7_T9_mT8_S1D_bDpT10_ENKUlT_T0_E_clISt17integral_constantIbLb1EES1P_IbLb0EEEEDaS1L_S1M_EUlS1L_E_NS1_11comp_targetILNS1_3genE4ELNS1_11target_archE910ELNS1_3gpuE8ELNS1_3repE0EEENS1_30default_config_static_selectorELNS0_4arch9wavefront6targetE0EEEvSZ_,comdat
.Lfunc_end1818:
	.size	_ZN7rocprim17ROCPRIM_400000_NS6detail17trampoline_kernelINS0_13select_configILj256ELj13ELNS0_17block_load_methodE3ELS4_3ELS4_3ELNS0_20block_scan_algorithmE0ELj4294967295EEENS1_25partition_config_selectorILNS1_17partition_subalgoE3EjNS0_10empty_typeEbEEZZNS1_14partition_implILS8_3ELb0ES6_jNS0_17counting_iteratorIjlEEPS9_SE_NS0_5tupleIJPjSE_EEENSF_IJSE_SE_EEES9_SG_JZNS1_25segmented_radix_sort_implINS0_14default_configELb0EPK6__halfPSL_PKlPlN2at6native12_GLOBAL__N_18offset_tEEE10hipError_tPvRmT1_PNSt15iterator_traitsISZ_E10value_typeET2_T3_PNS10_IS15_E10value_typeET4_jRbjT5_S1B_jjP12ihipStream_tbEUljE_EEESW_SX_SY_S15_S19_S1B_T6_T7_T9_mT8_S1D_bDpT10_ENKUlT_T0_E_clISt17integral_constantIbLb1EES1P_IbLb0EEEEDaS1L_S1M_EUlS1L_E_NS1_11comp_targetILNS1_3genE4ELNS1_11target_archE910ELNS1_3gpuE8ELNS1_3repE0EEENS1_30default_config_static_selectorELNS0_4arch9wavefront6targetE0EEEvSZ_, .Lfunc_end1818-_ZN7rocprim17ROCPRIM_400000_NS6detail17trampoline_kernelINS0_13select_configILj256ELj13ELNS0_17block_load_methodE3ELS4_3ELS4_3ELNS0_20block_scan_algorithmE0ELj4294967295EEENS1_25partition_config_selectorILNS1_17partition_subalgoE3EjNS0_10empty_typeEbEEZZNS1_14partition_implILS8_3ELb0ES6_jNS0_17counting_iteratorIjlEEPS9_SE_NS0_5tupleIJPjSE_EEENSF_IJSE_SE_EEES9_SG_JZNS1_25segmented_radix_sort_implINS0_14default_configELb0EPK6__halfPSL_PKlPlN2at6native12_GLOBAL__N_18offset_tEEE10hipError_tPvRmT1_PNSt15iterator_traitsISZ_E10value_typeET2_T3_PNS10_IS15_E10value_typeET4_jRbjT5_S1B_jjP12ihipStream_tbEUljE_EEESW_SX_SY_S15_S19_S1B_T6_T7_T9_mT8_S1D_bDpT10_ENKUlT_T0_E_clISt17integral_constantIbLb1EES1P_IbLb0EEEEDaS1L_S1M_EUlS1L_E_NS1_11comp_targetILNS1_3genE4ELNS1_11target_archE910ELNS1_3gpuE8ELNS1_3repE0EEENS1_30default_config_static_selectorELNS0_4arch9wavefront6targetE0EEEvSZ_
                                        ; -- End function
	.set _ZN7rocprim17ROCPRIM_400000_NS6detail17trampoline_kernelINS0_13select_configILj256ELj13ELNS0_17block_load_methodE3ELS4_3ELS4_3ELNS0_20block_scan_algorithmE0ELj4294967295EEENS1_25partition_config_selectorILNS1_17partition_subalgoE3EjNS0_10empty_typeEbEEZZNS1_14partition_implILS8_3ELb0ES6_jNS0_17counting_iteratorIjlEEPS9_SE_NS0_5tupleIJPjSE_EEENSF_IJSE_SE_EEES9_SG_JZNS1_25segmented_radix_sort_implINS0_14default_configELb0EPK6__halfPSL_PKlPlN2at6native12_GLOBAL__N_18offset_tEEE10hipError_tPvRmT1_PNSt15iterator_traitsISZ_E10value_typeET2_T3_PNS10_IS15_E10value_typeET4_jRbjT5_S1B_jjP12ihipStream_tbEUljE_EEESW_SX_SY_S15_S19_S1B_T6_T7_T9_mT8_S1D_bDpT10_ENKUlT_T0_E_clISt17integral_constantIbLb1EES1P_IbLb0EEEEDaS1L_S1M_EUlS1L_E_NS1_11comp_targetILNS1_3genE4ELNS1_11target_archE910ELNS1_3gpuE8ELNS1_3repE0EEENS1_30default_config_static_selectorELNS0_4arch9wavefront6targetE0EEEvSZ_.num_vgpr, 0
	.set _ZN7rocprim17ROCPRIM_400000_NS6detail17trampoline_kernelINS0_13select_configILj256ELj13ELNS0_17block_load_methodE3ELS4_3ELS4_3ELNS0_20block_scan_algorithmE0ELj4294967295EEENS1_25partition_config_selectorILNS1_17partition_subalgoE3EjNS0_10empty_typeEbEEZZNS1_14partition_implILS8_3ELb0ES6_jNS0_17counting_iteratorIjlEEPS9_SE_NS0_5tupleIJPjSE_EEENSF_IJSE_SE_EEES9_SG_JZNS1_25segmented_radix_sort_implINS0_14default_configELb0EPK6__halfPSL_PKlPlN2at6native12_GLOBAL__N_18offset_tEEE10hipError_tPvRmT1_PNSt15iterator_traitsISZ_E10value_typeET2_T3_PNS10_IS15_E10value_typeET4_jRbjT5_S1B_jjP12ihipStream_tbEUljE_EEESW_SX_SY_S15_S19_S1B_T6_T7_T9_mT8_S1D_bDpT10_ENKUlT_T0_E_clISt17integral_constantIbLb1EES1P_IbLb0EEEEDaS1L_S1M_EUlS1L_E_NS1_11comp_targetILNS1_3genE4ELNS1_11target_archE910ELNS1_3gpuE8ELNS1_3repE0EEENS1_30default_config_static_selectorELNS0_4arch9wavefront6targetE0EEEvSZ_.num_agpr, 0
	.set _ZN7rocprim17ROCPRIM_400000_NS6detail17trampoline_kernelINS0_13select_configILj256ELj13ELNS0_17block_load_methodE3ELS4_3ELS4_3ELNS0_20block_scan_algorithmE0ELj4294967295EEENS1_25partition_config_selectorILNS1_17partition_subalgoE3EjNS0_10empty_typeEbEEZZNS1_14partition_implILS8_3ELb0ES6_jNS0_17counting_iteratorIjlEEPS9_SE_NS0_5tupleIJPjSE_EEENSF_IJSE_SE_EEES9_SG_JZNS1_25segmented_radix_sort_implINS0_14default_configELb0EPK6__halfPSL_PKlPlN2at6native12_GLOBAL__N_18offset_tEEE10hipError_tPvRmT1_PNSt15iterator_traitsISZ_E10value_typeET2_T3_PNS10_IS15_E10value_typeET4_jRbjT5_S1B_jjP12ihipStream_tbEUljE_EEESW_SX_SY_S15_S19_S1B_T6_T7_T9_mT8_S1D_bDpT10_ENKUlT_T0_E_clISt17integral_constantIbLb1EES1P_IbLb0EEEEDaS1L_S1M_EUlS1L_E_NS1_11comp_targetILNS1_3genE4ELNS1_11target_archE910ELNS1_3gpuE8ELNS1_3repE0EEENS1_30default_config_static_selectorELNS0_4arch9wavefront6targetE0EEEvSZ_.numbered_sgpr, 0
	.set _ZN7rocprim17ROCPRIM_400000_NS6detail17trampoline_kernelINS0_13select_configILj256ELj13ELNS0_17block_load_methodE3ELS4_3ELS4_3ELNS0_20block_scan_algorithmE0ELj4294967295EEENS1_25partition_config_selectorILNS1_17partition_subalgoE3EjNS0_10empty_typeEbEEZZNS1_14partition_implILS8_3ELb0ES6_jNS0_17counting_iteratorIjlEEPS9_SE_NS0_5tupleIJPjSE_EEENSF_IJSE_SE_EEES9_SG_JZNS1_25segmented_radix_sort_implINS0_14default_configELb0EPK6__halfPSL_PKlPlN2at6native12_GLOBAL__N_18offset_tEEE10hipError_tPvRmT1_PNSt15iterator_traitsISZ_E10value_typeET2_T3_PNS10_IS15_E10value_typeET4_jRbjT5_S1B_jjP12ihipStream_tbEUljE_EEESW_SX_SY_S15_S19_S1B_T6_T7_T9_mT8_S1D_bDpT10_ENKUlT_T0_E_clISt17integral_constantIbLb1EES1P_IbLb0EEEEDaS1L_S1M_EUlS1L_E_NS1_11comp_targetILNS1_3genE4ELNS1_11target_archE910ELNS1_3gpuE8ELNS1_3repE0EEENS1_30default_config_static_selectorELNS0_4arch9wavefront6targetE0EEEvSZ_.num_named_barrier, 0
	.set _ZN7rocprim17ROCPRIM_400000_NS6detail17trampoline_kernelINS0_13select_configILj256ELj13ELNS0_17block_load_methodE3ELS4_3ELS4_3ELNS0_20block_scan_algorithmE0ELj4294967295EEENS1_25partition_config_selectorILNS1_17partition_subalgoE3EjNS0_10empty_typeEbEEZZNS1_14partition_implILS8_3ELb0ES6_jNS0_17counting_iteratorIjlEEPS9_SE_NS0_5tupleIJPjSE_EEENSF_IJSE_SE_EEES9_SG_JZNS1_25segmented_radix_sort_implINS0_14default_configELb0EPK6__halfPSL_PKlPlN2at6native12_GLOBAL__N_18offset_tEEE10hipError_tPvRmT1_PNSt15iterator_traitsISZ_E10value_typeET2_T3_PNS10_IS15_E10value_typeET4_jRbjT5_S1B_jjP12ihipStream_tbEUljE_EEESW_SX_SY_S15_S19_S1B_T6_T7_T9_mT8_S1D_bDpT10_ENKUlT_T0_E_clISt17integral_constantIbLb1EES1P_IbLb0EEEEDaS1L_S1M_EUlS1L_E_NS1_11comp_targetILNS1_3genE4ELNS1_11target_archE910ELNS1_3gpuE8ELNS1_3repE0EEENS1_30default_config_static_selectorELNS0_4arch9wavefront6targetE0EEEvSZ_.private_seg_size, 0
	.set _ZN7rocprim17ROCPRIM_400000_NS6detail17trampoline_kernelINS0_13select_configILj256ELj13ELNS0_17block_load_methodE3ELS4_3ELS4_3ELNS0_20block_scan_algorithmE0ELj4294967295EEENS1_25partition_config_selectorILNS1_17partition_subalgoE3EjNS0_10empty_typeEbEEZZNS1_14partition_implILS8_3ELb0ES6_jNS0_17counting_iteratorIjlEEPS9_SE_NS0_5tupleIJPjSE_EEENSF_IJSE_SE_EEES9_SG_JZNS1_25segmented_radix_sort_implINS0_14default_configELb0EPK6__halfPSL_PKlPlN2at6native12_GLOBAL__N_18offset_tEEE10hipError_tPvRmT1_PNSt15iterator_traitsISZ_E10value_typeET2_T3_PNS10_IS15_E10value_typeET4_jRbjT5_S1B_jjP12ihipStream_tbEUljE_EEESW_SX_SY_S15_S19_S1B_T6_T7_T9_mT8_S1D_bDpT10_ENKUlT_T0_E_clISt17integral_constantIbLb1EES1P_IbLb0EEEEDaS1L_S1M_EUlS1L_E_NS1_11comp_targetILNS1_3genE4ELNS1_11target_archE910ELNS1_3gpuE8ELNS1_3repE0EEENS1_30default_config_static_selectorELNS0_4arch9wavefront6targetE0EEEvSZ_.uses_vcc, 0
	.set _ZN7rocprim17ROCPRIM_400000_NS6detail17trampoline_kernelINS0_13select_configILj256ELj13ELNS0_17block_load_methodE3ELS4_3ELS4_3ELNS0_20block_scan_algorithmE0ELj4294967295EEENS1_25partition_config_selectorILNS1_17partition_subalgoE3EjNS0_10empty_typeEbEEZZNS1_14partition_implILS8_3ELb0ES6_jNS0_17counting_iteratorIjlEEPS9_SE_NS0_5tupleIJPjSE_EEENSF_IJSE_SE_EEES9_SG_JZNS1_25segmented_radix_sort_implINS0_14default_configELb0EPK6__halfPSL_PKlPlN2at6native12_GLOBAL__N_18offset_tEEE10hipError_tPvRmT1_PNSt15iterator_traitsISZ_E10value_typeET2_T3_PNS10_IS15_E10value_typeET4_jRbjT5_S1B_jjP12ihipStream_tbEUljE_EEESW_SX_SY_S15_S19_S1B_T6_T7_T9_mT8_S1D_bDpT10_ENKUlT_T0_E_clISt17integral_constantIbLb1EES1P_IbLb0EEEEDaS1L_S1M_EUlS1L_E_NS1_11comp_targetILNS1_3genE4ELNS1_11target_archE910ELNS1_3gpuE8ELNS1_3repE0EEENS1_30default_config_static_selectorELNS0_4arch9wavefront6targetE0EEEvSZ_.uses_flat_scratch, 0
	.set _ZN7rocprim17ROCPRIM_400000_NS6detail17trampoline_kernelINS0_13select_configILj256ELj13ELNS0_17block_load_methodE3ELS4_3ELS4_3ELNS0_20block_scan_algorithmE0ELj4294967295EEENS1_25partition_config_selectorILNS1_17partition_subalgoE3EjNS0_10empty_typeEbEEZZNS1_14partition_implILS8_3ELb0ES6_jNS0_17counting_iteratorIjlEEPS9_SE_NS0_5tupleIJPjSE_EEENSF_IJSE_SE_EEES9_SG_JZNS1_25segmented_radix_sort_implINS0_14default_configELb0EPK6__halfPSL_PKlPlN2at6native12_GLOBAL__N_18offset_tEEE10hipError_tPvRmT1_PNSt15iterator_traitsISZ_E10value_typeET2_T3_PNS10_IS15_E10value_typeET4_jRbjT5_S1B_jjP12ihipStream_tbEUljE_EEESW_SX_SY_S15_S19_S1B_T6_T7_T9_mT8_S1D_bDpT10_ENKUlT_T0_E_clISt17integral_constantIbLb1EES1P_IbLb0EEEEDaS1L_S1M_EUlS1L_E_NS1_11comp_targetILNS1_3genE4ELNS1_11target_archE910ELNS1_3gpuE8ELNS1_3repE0EEENS1_30default_config_static_selectorELNS0_4arch9wavefront6targetE0EEEvSZ_.has_dyn_sized_stack, 0
	.set _ZN7rocprim17ROCPRIM_400000_NS6detail17trampoline_kernelINS0_13select_configILj256ELj13ELNS0_17block_load_methodE3ELS4_3ELS4_3ELNS0_20block_scan_algorithmE0ELj4294967295EEENS1_25partition_config_selectorILNS1_17partition_subalgoE3EjNS0_10empty_typeEbEEZZNS1_14partition_implILS8_3ELb0ES6_jNS0_17counting_iteratorIjlEEPS9_SE_NS0_5tupleIJPjSE_EEENSF_IJSE_SE_EEES9_SG_JZNS1_25segmented_radix_sort_implINS0_14default_configELb0EPK6__halfPSL_PKlPlN2at6native12_GLOBAL__N_18offset_tEEE10hipError_tPvRmT1_PNSt15iterator_traitsISZ_E10value_typeET2_T3_PNS10_IS15_E10value_typeET4_jRbjT5_S1B_jjP12ihipStream_tbEUljE_EEESW_SX_SY_S15_S19_S1B_T6_T7_T9_mT8_S1D_bDpT10_ENKUlT_T0_E_clISt17integral_constantIbLb1EES1P_IbLb0EEEEDaS1L_S1M_EUlS1L_E_NS1_11comp_targetILNS1_3genE4ELNS1_11target_archE910ELNS1_3gpuE8ELNS1_3repE0EEENS1_30default_config_static_selectorELNS0_4arch9wavefront6targetE0EEEvSZ_.has_recursion, 0
	.set _ZN7rocprim17ROCPRIM_400000_NS6detail17trampoline_kernelINS0_13select_configILj256ELj13ELNS0_17block_load_methodE3ELS4_3ELS4_3ELNS0_20block_scan_algorithmE0ELj4294967295EEENS1_25partition_config_selectorILNS1_17partition_subalgoE3EjNS0_10empty_typeEbEEZZNS1_14partition_implILS8_3ELb0ES6_jNS0_17counting_iteratorIjlEEPS9_SE_NS0_5tupleIJPjSE_EEENSF_IJSE_SE_EEES9_SG_JZNS1_25segmented_radix_sort_implINS0_14default_configELb0EPK6__halfPSL_PKlPlN2at6native12_GLOBAL__N_18offset_tEEE10hipError_tPvRmT1_PNSt15iterator_traitsISZ_E10value_typeET2_T3_PNS10_IS15_E10value_typeET4_jRbjT5_S1B_jjP12ihipStream_tbEUljE_EEESW_SX_SY_S15_S19_S1B_T6_T7_T9_mT8_S1D_bDpT10_ENKUlT_T0_E_clISt17integral_constantIbLb1EES1P_IbLb0EEEEDaS1L_S1M_EUlS1L_E_NS1_11comp_targetILNS1_3genE4ELNS1_11target_archE910ELNS1_3gpuE8ELNS1_3repE0EEENS1_30default_config_static_selectorELNS0_4arch9wavefront6targetE0EEEvSZ_.has_indirect_call, 0
	.section	.AMDGPU.csdata,"",@progbits
; Kernel info:
; codeLenInByte = 0
; TotalNumSgprs: 0
; NumVgprs: 0
; ScratchSize: 0
; MemoryBound: 0
; FloatMode: 240
; IeeeMode: 1
; LDSByteSize: 0 bytes/workgroup (compile time only)
; SGPRBlocks: 0
; VGPRBlocks: 0
; NumSGPRsForWavesPerEU: 1
; NumVGPRsForWavesPerEU: 1
; Occupancy: 16
; WaveLimiterHint : 0
; COMPUTE_PGM_RSRC2:SCRATCH_EN: 0
; COMPUTE_PGM_RSRC2:USER_SGPR: 6
; COMPUTE_PGM_RSRC2:TRAP_HANDLER: 0
; COMPUTE_PGM_RSRC2:TGID_X_EN: 1
; COMPUTE_PGM_RSRC2:TGID_Y_EN: 0
; COMPUTE_PGM_RSRC2:TGID_Z_EN: 0
; COMPUTE_PGM_RSRC2:TIDIG_COMP_CNT: 0
	.section	.text._ZN7rocprim17ROCPRIM_400000_NS6detail17trampoline_kernelINS0_13select_configILj256ELj13ELNS0_17block_load_methodE3ELS4_3ELS4_3ELNS0_20block_scan_algorithmE0ELj4294967295EEENS1_25partition_config_selectorILNS1_17partition_subalgoE3EjNS0_10empty_typeEbEEZZNS1_14partition_implILS8_3ELb0ES6_jNS0_17counting_iteratorIjlEEPS9_SE_NS0_5tupleIJPjSE_EEENSF_IJSE_SE_EEES9_SG_JZNS1_25segmented_radix_sort_implINS0_14default_configELb0EPK6__halfPSL_PKlPlN2at6native12_GLOBAL__N_18offset_tEEE10hipError_tPvRmT1_PNSt15iterator_traitsISZ_E10value_typeET2_T3_PNS10_IS15_E10value_typeET4_jRbjT5_S1B_jjP12ihipStream_tbEUljE_EEESW_SX_SY_S15_S19_S1B_T6_T7_T9_mT8_S1D_bDpT10_ENKUlT_T0_E_clISt17integral_constantIbLb1EES1P_IbLb0EEEEDaS1L_S1M_EUlS1L_E_NS1_11comp_targetILNS1_3genE3ELNS1_11target_archE908ELNS1_3gpuE7ELNS1_3repE0EEENS1_30default_config_static_selectorELNS0_4arch9wavefront6targetE0EEEvSZ_,"axG",@progbits,_ZN7rocprim17ROCPRIM_400000_NS6detail17trampoline_kernelINS0_13select_configILj256ELj13ELNS0_17block_load_methodE3ELS4_3ELS4_3ELNS0_20block_scan_algorithmE0ELj4294967295EEENS1_25partition_config_selectorILNS1_17partition_subalgoE3EjNS0_10empty_typeEbEEZZNS1_14partition_implILS8_3ELb0ES6_jNS0_17counting_iteratorIjlEEPS9_SE_NS0_5tupleIJPjSE_EEENSF_IJSE_SE_EEES9_SG_JZNS1_25segmented_radix_sort_implINS0_14default_configELb0EPK6__halfPSL_PKlPlN2at6native12_GLOBAL__N_18offset_tEEE10hipError_tPvRmT1_PNSt15iterator_traitsISZ_E10value_typeET2_T3_PNS10_IS15_E10value_typeET4_jRbjT5_S1B_jjP12ihipStream_tbEUljE_EEESW_SX_SY_S15_S19_S1B_T6_T7_T9_mT8_S1D_bDpT10_ENKUlT_T0_E_clISt17integral_constantIbLb1EES1P_IbLb0EEEEDaS1L_S1M_EUlS1L_E_NS1_11comp_targetILNS1_3genE3ELNS1_11target_archE908ELNS1_3gpuE7ELNS1_3repE0EEENS1_30default_config_static_selectorELNS0_4arch9wavefront6targetE0EEEvSZ_,comdat
	.globl	_ZN7rocprim17ROCPRIM_400000_NS6detail17trampoline_kernelINS0_13select_configILj256ELj13ELNS0_17block_load_methodE3ELS4_3ELS4_3ELNS0_20block_scan_algorithmE0ELj4294967295EEENS1_25partition_config_selectorILNS1_17partition_subalgoE3EjNS0_10empty_typeEbEEZZNS1_14partition_implILS8_3ELb0ES6_jNS0_17counting_iteratorIjlEEPS9_SE_NS0_5tupleIJPjSE_EEENSF_IJSE_SE_EEES9_SG_JZNS1_25segmented_radix_sort_implINS0_14default_configELb0EPK6__halfPSL_PKlPlN2at6native12_GLOBAL__N_18offset_tEEE10hipError_tPvRmT1_PNSt15iterator_traitsISZ_E10value_typeET2_T3_PNS10_IS15_E10value_typeET4_jRbjT5_S1B_jjP12ihipStream_tbEUljE_EEESW_SX_SY_S15_S19_S1B_T6_T7_T9_mT8_S1D_bDpT10_ENKUlT_T0_E_clISt17integral_constantIbLb1EES1P_IbLb0EEEEDaS1L_S1M_EUlS1L_E_NS1_11comp_targetILNS1_3genE3ELNS1_11target_archE908ELNS1_3gpuE7ELNS1_3repE0EEENS1_30default_config_static_selectorELNS0_4arch9wavefront6targetE0EEEvSZ_ ; -- Begin function _ZN7rocprim17ROCPRIM_400000_NS6detail17trampoline_kernelINS0_13select_configILj256ELj13ELNS0_17block_load_methodE3ELS4_3ELS4_3ELNS0_20block_scan_algorithmE0ELj4294967295EEENS1_25partition_config_selectorILNS1_17partition_subalgoE3EjNS0_10empty_typeEbEEZZNS1_14partition_implILS8_3ELb0ES6_jNS0_17counting_iteratorIjlEEPS9_SE_NS0_5tupleIJPjSE_EEENSF_IJSE_SE_EEES9_SG_JZNS1_25segmented_radix_sort_implINS0_14default_configELb0EPK6__halfPSL_PKlPlN2at6native12_GLOBAL__N_18offset_tEEE10hipError_tPvRmT1_PNSt15iterator_traitsISZ_E10value_typeET2_T3_PNS10_IS15_E10value_typeET4_jRbjT5_S1B_jjP12ihipStream_tbEUljE_EEESW_SX_SY_S15_S19_S1B_T6_T7_T9_mT8_S1D_bDpT10_ENKUlT_T0_E_clISt17integral_constantIbLb1EES1P_IbLb0EEEEDaS1L_S1M_EUlS1L_E_NS1_11comp_targetILNS1_3genE3ELNS1_11target_archE908ELNS1_3gpuE7ELNS1_3repE0EEENS1_30default_config_static_selectorELNS0_4arch9wavefront6targetE0EEEvSZ_
	.p2align	8
	.type	_ZN7rocprim17ROCPRIM_400000_NS6detail17trampoline_kernelINS0_13select_configILj256ELj13ELNS0_17block_load_methodE3ELS4_3ELS4_3ELNS0_20block_scan_algorithmE0ELj4294967295EEENS1_25partition_config_selectorILNS1_17partition_subalgoE3EjNS0_10empty_typeEbEEZZNS1_14partition_implILS8_3ELb0ES6_jNS0_17counting_iteratorIjlEEPS9_SE_NS0_5tupleIJPjSE_EEENSF_IJSE_SE_EEES9_SG_JZNS1_25segmented_radix_sort_implINS0_14default_configELb0EPK6__halfPSL_PKlPlN2at6native12_GLOBAL__N_18offset_tEEE10hipError_tPvRmT1_PNSt15iterator_traitsISZ_E10value_typeET2_T3_PNS10_IS15_E10value_typeET4_jRbjT5_S1B_jjP12ihipStream_tbEUljE_EEESW_SX_SY_S15_S19_S1B_T6_T7_T9_mT8_S1D_bDpT10_ENKUlT_T0_E_clISt17integral_constantIbLb1EES1P_IbLb0EEEEDaS1L_S1M_EUlS1L_E_NS1_11comp_targetILNS1_3genE3ELNS1_11target_archE908ELNS1_3gpuE7ELNS1_3repE0EEENS1_30default_config_static_selectorELNS0_4arch9wavefront6targetE0EEEvSZ_,@function
_ZN7rocprim17ROCPRIM_400000_NS6detail17trampoline_kernelINS0_13select_configILj256ELj13ELNS0_17block_load_methodE3ELS4_3ELS4_3ELNS0_20block_scan_algorithmE0ELj4294967295EEENS1_25partition_config_selectorILNS1_17partition_subalgoE3EjNS0_10empty_typeEbEEZZNS1_14partition_implILS8_3ELb0ES6_jNS0_17counting_iteratorIjlEEPS9_SE_NS0_5tupleIJPjSE_EEENSF_IJSE_SE_EEES9_SG_JZNS1_25segmented_radix_sort_implINS0_14default_configELb0EPK6__halfPSL_PKlPlN2at6native12_GLOBAL__N_18offset_tEEE10hipError_tPvRmT1_PNSt15iterator_traitsISZ_E10value_typeET2_T3_PNS10_IS15_E10value_typeET4_jRbjT5_S1B_jjP12ihipStream_tbEUljE_EEESW_SX_SY_S15_S19_S1B_T6_T7_T9_mT8_S1D_bDpT10_ENKUlT_T0_E_clISt17integral_constantIbLb1EES1P_IbLb0EEEEDaS1L_S1M_EUlS1L_E_NS1_11comp_targetILNS1_3genE3ELNS1_11target_archE908ELNS1_3gpuE7ELNS1_3repE0EEENS1_30default_config_static_selectorELNS0_4arch9wavefront6targetE0EEEvSZ_: ; @_ZN7rocprim17ROCPRIM_400000_NS6detail17trampoline_kernelINS0_13select_configILj256ELj13ELNS0_17block_load_methodE3ELS4_3ELS4_3ELNS0_20block_scan_algorithmE0ELj4294967295EEENS1_25partition_config_selectorILNS1_17partition_subalgoE3EjNS0_10empty_typeEbEEZZNS1_14partition_implILS8_3ELb0ES6_jNS0_17counting_iteratorIjlEEPS9_SE_NS0_5tupleIJPjSE_EEENSF_IJSE_SE_EEES9_SG_JZNS1_25segmented_radix_sort_implINS0_14default_configELb0EPK6__halfPSL_PKlPlN2at6native12_GLOBAL__N_18offset_tEEE10hipError_tPvRmT1_PNSt15iterator_traitsISZ_E10value_typeET2_T3_PNS10_IS15_E10value_typeET4_jRbjT5_S1B_jjP12ihipStream_tbEUljE_EEESW_SX_SY_S15_S19_S1B_T6_T7_T9_mT8_S1D_bDpT10_ENKUlT_T0_E_clISt17integral_constantIbLb1EES1P_IbLb0EEEEDaS1L_S1M_EUlS1L_E_NS1_11comp_targetILNS1_3genE3ELNS1_11target_archE908ELNS1_3gpuE7ELNS1_3repE0EEENS1_30default_config_static_selectorELNS0_4arch9wavefront6targetE0EEEvSZ_
; %bb.0:
	.section	.rodata,"a",@progbits
	.p2align	6, 0x0
	.amdhsa_kernel _ZN7rocprim17ROCPRIM_400000_NS6detail17trampoline_kernelINS0_13select_configILj256ELj13ELNS0_17block_load_methodE3ELS4_3ELS4_3ELNS0_20block_scan_algorithmE0ELj4294967295EEENS1_25partition_config_selectorILNS1_17partition_subalgoE3EjNS0_10empty_typeEbEEZZNS1_14partition_implILS8_3ELb0ES6_jNS0_17counting_iteratorIjlEEPS9_SE_NS0_5tupleIJPjSE_EEENSF_IJSE_SE_EEES9_SG_JZNS1_25segmented_radix_sort_implINS0_14default_configELb0EPK6__halfPSL_PKlPlN2at6native12_GLOBAL__N_18offset_tEEE10hipError_tPvRmT1_PNSt15iterator_traitsISZ_E10value_typeET2_T3_PNS10_IS15_E10value_typeET4_jRbjT5_S1B_jjP12ihipStream_tbEUljE_EEESW_SX_SY_S15_S19_S1B_T6_T7_T9_mT8_S1D_bDpT10_ENKUlT_T0_E_clISt17integral_constantIbLb1EES1P_IbLb0EEEEDaS1L_S1M_EUlS1L_E_NS1_11comp_targetILNS1_3genE3ELNS1_11target_archE908ELNS1_3gpuE7ELNS1_3repE0EEENS1_30default_config_static_selectorELNS0_4arch9wavefront6targetE0EEEvSZ_
		.amdhsa_group_segment_fixed_size 0
		.amdhsa_private_segment_fixed_size 0
		.amdhsa_kernarg_size 144
		.amdhsa_user_sgpr_count 6
		.amdhsa_user_sgpr_private_segment_buffer 1
		.amdhsa_user_sgpr_dispatch_ptr 0
		.amdhsa_user_sgpr_queue_ptr 0
		.amdhsa_user_sgpr_kernarg_segment_ptr 1
		.amdhsa_user_sgpr_dispatch_id 0
		.amdhsa_user_sgpr_flat_scratch_init 0
		.amdhsa_user_sgpr_private_segment_size 0
		.amdhsa_wavefront_size32 1
		.amdhsa_uses_dynamic_stack 0
		.amdhsa_system_sgpr_private_segment_wavefront_offset 0
		.amdhsa_system_sgpr_workgroup_id_x 1
		.amdhsa_system_sgpr_workgroup_id_y 0
		.amdhsa_system_sgpr_workgroup_id_z 0
		.amdhsa_system_sgpr_workgroup_info 0
		.amdhsa_system_vgpr_workitem_id 0
		.amdhsa_next_free_vgpr 1
		.amdhsa_next_free_sgpr 1
		.amdhsa_reserve_vcc 0
		.amdhsa_reserve_flat_scratch 0
		.amdhsa_float_round_mode_32 0
		.amdhsa_float_round_mode_16_64 0
		.amdhsa_float_denorm_mode_32 3
		.amdhsa_float_denorm_mode_16_64 3
		.amdhsa_dx10_clamp 1
		.amdhsa_ieee_mode 1
		.amdhsa_fp16_overflow 0
		.amdhsa_workgroup_processor_mode 1
		.amdhsa_memory_ordered 1
		.amdhsa_forward_progress 1
		.amdhsa_shared_vgpr_count 0
		.amdhsa_exception_fp_ieee_invalid_op 0
		.amdhsa_exception_fp_denorm_src 0
		.amdhsa_exception_fp_ieee_div_zero 0
		.amdhsa_exception_fp_ieee_overflow 0
		.amdhsa_exception_fp_ieee_underflow 0
		.amdhsa_exception_fp_ieee_inexact 0
		.amdhsa_exception_int_div_zero 0
	.end_amdhsa_kernel
	.section	.text._ZN7rocprim17ROCPRIM_400000_NS6detail17trampoline_kernelINS0_13select_configILj256ELj13ELNS0_17block_load_methodE3ELS4_3ELS4_3ELNS0_20block_scan_algorithmE0ELj4294967295EEENS1_25partition_config_selectorILNS1_17partition_subalgoE3EjNS0_10empty_typeEbEEZZNS1_14partition_implILS8_3ELb0ES6_jNS0_17counting_iteratorIjlEEPS9_SE_NS0_5tupleIJPjSE_EEENSF_IJSE_SE_EEES9_SG_JZNS1_25segmented_radix_sort_implINS0_14default_configELb0EPK6__halfPSL_PKlPlN2at6native12_GLOBAL__N_18offset_tEEE10hipError_tPvRmT1_PNSt15iterator_traitsISZ_E10value_typeET2_T3_PNS10_IS15_E10value_typeET4_jRbjT5_S1B_jjP12ihipStream_tbEUljE_EEESW_SX_SY_S15_S19_S1B_T6_T7_T9_mT8_S1D_bDpT10_ENKUlT_T0_E_clISt17integral_constantIbLb1EES1P_IbLb0EEEEDaS1L_S1M_EUlS1L_E_NS1_11comp_targetILNS1_3genE3ELNS1_11target_archE908ELNS1_3gpuE7ELNS1_3repE0EEENS1_30default_config_static_selectorELNS0_4arch9wavefront6targetE0EEEvSZ_,"axG",@progbits,_ZN7rocprim17ROCPRIM_400000_NS6detail17trampoline_kernelINS0_13select_configILj256ELj13ELNS0_17block_load_methodE3ELS4_3ELS4_3ELNS0_20block_scan_algorithmE0ELj4294967295EEENS1_25partition_config_selectorILNS1_17partition_subalgoE3EjNS0_10empty_typeEbEEZZNS1_14partition_implILS8_3ELb0ES6_jNS0_17counting_iteratorIjlEEPS9_SE_NS0_5tupleIJPjSE_EEENSF_IJSE_SE_EEES9_SG_JZNS1_25segmented_radix_sort_implINS0_14default_configELb0EPK6__halfPSL_PKlPlN2at6native12_GLOBAL__N_18offset_tEEE10hipError_tPvRmT1_PNSt15iterator_traitsISZ_E10value_typeET2_T3_PNS10_IS15_E10value_typeET4_jRbjT5_S1B_jjP12ihipStream_tbEUljE_EEESW_SX_SY_S15_S19_S1B_T6_T7_T9_mT8_S1D_bDpT10_ENKUlT_T0_E_clISt17integral_constantIbLb1EES1P_IbLb0EEEEDaS1L_S1M_EUlS1L_E_NS1_11comp_targetILNS1_3genE3ELNS1_11target_archE908ELNS1_3gpuE7ELNS1_3repE0EEENS1_30default_config_static_selectorELNS0_4arch9wavefront6targetE0EEEvSZ_,comdat
.Lfunc_end1819:
	.size	_ZN7rocprim17ROCPRIM_400000_NS6detail17trampoline_kernelINS0_13select_configILj256ELj13ELNS0_17block_load_methodE3ELS4_3ELS4_3ELNS0_20block_scan_algorithmE0ELj4294967295EEENS1_25partition_config_selectorILNS1_17partition_subalgoE3EjNS0_10empty_typeEbEEZZNS1_14partition_implILS8_3ELb0ES6_jNS0_17counting_iteratorIjlEEPS9_SE_NS0_5tupleIJPjSE_EEENSF_IJSE_SE_EEES9_SG_JZNS1_25segmented_radix_sort_implINS0_14default_configELb0EPK6__halfPSL_PKlPlN2at6native12_GLOBAL__N_18offset_tEEE10hipError_tPvRmT1_PNSt15iterator_traitsISZ_E10value_typeET2_T3_PNS10_IS15_E10value_typeET4_jRbjT5_S1B_jjP12ihipStream_tbEUljE_EEESW_SX_SY_S15_S19_S1B_T6_T7_T9_mT8_S1D_bDpT10_ENKUlT_T0_E_clISt17integral_constantIbLb1EES1P_IbLb0EEEEDaS1L_S1M_EUlS1L_E_NS1_11comp_targetILNS1_3genE3ELNS1_11target_archE908ELNS1_3gpuE7ELNS1_3repE0EEENS1_30default_config_static_selectorELNS0_4arch9wavefront6targetE0EEEvSZ_, .Lfunc_end1819-_ZN7rocprim17ROCPRIM_400000_NS6detail17trampoline_kernelINS0_13select_configILj256ELj13ELNS0_17block_load_methodE3ELS4_3ELS4_3ELNS0_20block_scan_algorithmE0ELj4294967295EEENS1_25partition_config_selectorILNS1_17partition_subalgoE3EjNS0_10empty_typeEbEEZZNS1_14partition_implILS8_3ELb0ES6_jNS0_17counting_iteratorIjlEEPS9_SE_NS0_5tupleIJPjSE_EEENSF_IJSE_SE_EEES9_SG_JZNS1_25segmented_radix_sort_implINS0_14default_configELb0EPK6__halfPSL_PKlPlN2at6native12_GLOBAL__N_18offset_tEEE10hipError_tPvRmT1_PNSt15iterator_traitsISZ_E10value_typeET2_T3_PNS10_IS15_E10value_typeET4_jRbjT5_S1B_jjP12ihipStream_tbEUljE_EEESW_SX_SY_S15_S19_S1B_T6_T7_T9_mT8_S1D_bDpT10_ENKUlT_T0_E_clISt17integral_constantIbLb1EES1P_IbLb0EEEEDaS1L_S1M_EUlS1L_E_NS1_11comp_targetILNS1_3genE3ELNS1_11target_archE908ELNS1_3gpuE7ELNS1_3repE0EEENS1_30default_config_static_selectorELNS0_4arch9wavefront6targetE0EEEvSZ_
                                        ; -- End function
	.set _ZN7rocprim17ROCPRIM_400000_NS6detail17trampoline_kernelINS0_13select_configILj256ELj13ELNS0_17block_load_methodE3ELS4_3ELS4_3ELNS0_20block_scan_algorithmE0ELj4294967295EEENS1_25partition_config_selectorILNS1_17partition_subalgoE3EjNS0_10empty_typeEbEEZZNS1_14partition_implILS8_3ELb0ES6_jNS0_17counting_iteratorIjlEEPS9_SE_NS0_5tupleIJPjSE_EEENSF_IJSE_SE_EEES9_SG_JZNS1_25segmented_radix_sort_implINS0_14default_configELb0EPK6__halfPSL_PKlPlN2at6native12_GLOBAL__N_18offset_tEEE10hipError_tPvRmT1_PNSt15iterator_traitsISZ_E10value_typeET2_T3_PNS10_IS15_E10value_typeET4_jRbjT5_S1B_jjP12ihipStream_tbEUljE_EEESW_SX_SY_S15_S19_S1B_T6_T7_T9_mT8_S1D_bDpT10_ENKUlT_T0_E_clISt17integral_constantIbLb1EES1P_IbLb0EEEEDaS1L_S1M_EUlS1L_E_NS1_11comp_targetILNS1_3genE3ELNS1_11target_archE908ELNS1_3gpuE7ELNS1_3repE0EEENS1_30default_config_static_selectorELNS0_4arch9wavefront6targetE0EEEvSZ_.num_vgpr, 0
	.set _ZN7rocprim17ROCPRIM_400000_NS6detail17trampoline_kernelINS0_13select_configILj256ELj13ELNS0_17block_load_methodE3ELS4_3ELS4_3ELNS0_20block_scan_algorithmE0ELj4294967295EEENS1_25partition_config_selectorILNS1_17partition_subalgoE3EjNS0_10empty_typeEbEEZZNS1_14partition_implILS8_3ELb0ES6_jNS0_17counting_iteratorIjlEEPS9_SE_NS0_5tupleIJPjSE_EEENSF_IJSE_SE_EEES9_SG_JZNS1_25segmented_radix_sort_implINS0_14default_configELb0EPK6__halfPSL_PKlPlN2at6native12_GLOBAL__N_18offset_tEEE10hipError_tPvRmT1_PNSt15iterator_traitsISZ_E10value_typeET2_T3_PNS10_IS15_E10value_typeET4_jRbjT5_S1B_jjP12ihipStream_tbEUljE_EEESW_SX_SY_S15_S19_S1B_T6_T7_T9_mT8_S1D_bDpT10_ENKUlT_T0_E_clISt17integral_constantIbLb1EES1P_IbLb0EEEEDaS1L_S1M_EUlS1L_E_NS1_11comp_targetILNS1_3genE3ELNS1_11target_archE908ELNS1_3gpuE7ELNS1_3repE0EEENS1_30default_config_static_selectorELNS0_4arch9wavefront6targetE0EEEvSZ_.num_agpr, 0
	.set _ZN7rocprim17ROCPRIM_400000_NS6detail17trampoline_kernelINS0_13select_configILj256ELj13ELNS0_17block_load_methodE3ELS4_3ELS4_3ELNS0_20block_scan_algorithmE0ELj4294967295EEENS1_25partition_config_selectorILNS1_17partition_subalgoE3EjNS0_10empty_typeEbEEZZNS1_14partition_implILS8_3ELb0ES6_jNS0_17counting_iteratorIjlEEPS9_SE_NS0_5tupleIJPjSE_EEENSF_IJSE_SE_EEES9_SG_JZNS1_25segmented_radix_sort_implINS0_14default_configELb0EPK6__halfPSL_PKlPlN2at6native12_GLOBAL__N_18offset_tEEE10hipError_tPvRmT1_PNSt15iterator_traitsISZ_E10value_typeET2_T3_PNS10_IS15_E10value_typeET4_jRbjT5_S1B_jjP12ihipStream_tbEUljE_EEESW_SX_SY_S15_S19_S1B_T6_T7_T9_mT8_S1D_bDpT10_ENKUlT_T0_E_clISt17integral_constantIbLb1EES1P_IbLb0EEEEDaS1L_S1M_EUlS1L_E_NS1_11comp_targetILNS1_3genE3ELNS1_11target_archE908ELNS1_3gpuE7ELNS1_3repE0EEENS1_30default_config_static_selectorELNS0_4arch9wavefront6targetE0EEEvSZ_.numbered_sgpr, 0
	.set _ZN7rocprim17ROCPRIM_400000_NS6detail17trampoline_kernelINS0_13select_configILj256ELj13ELNS0_17block_load_methodE3ELS4_3ELS4_3ELNS0_20block_scan_algorithmE0ELj4294967295EEENS1_25partition_config_selectorILNS1_17partition_subalgoE3EjNS0_10empty_typeEbEEZZNS1_14partition_implILS8_3ELb0ES6_jNS0_17counting_iteratorIjlEEPS9_SE_NS0_5tupleIJPjSE_EEENSF_IJSE_SE_EEES9_SG_JZNS1_25segmented_radix_sort_implINS0_14default_configELb0EPK6__halfPSL_PKlPlN2at6native12_GLOBAL__N_18offset_tEEE10hipError_tPvRmT1_PNSt15iterator_traitsISZ_E10value_typeET2_T3_PNS10_IS15_E10value_typeET4_jRbjT5_S1B_jjP12ihipStream_tbEUljE_EEESW_SX_SY_S15_S19_S1B_T6_T7_T9_mT8_S1D_bDpT10_ENKUlT_T0_E_clISt17integral_constantIbLb1EES1P_IbLb0EEEEDaS1L_S1M_EUlS1L_E_NS1_11comp_targetILNS1_3genE3ELNS1_11target_archE908ELNS1_3gpuE7ELNS1_3repE0EEENS1_30default_config_static_selectorELNS0_4arch9wavefront6targetE0EEEvSZ_.num_named_barrier, 0
	.set _ZN7rocprim17ROCPRIM_400000_NS6detail17trampoline_kernelINS0_13select_configILj256ELj13ELNS0_17block_load_methodE3ELS4_3ELS4_3ELNS0_20block_scan_algorithmE0ELj4294967295EEENS1_25partition_config_selectorILNS1_17partition_subalgoE3EjNS0_10empty_typeEbEEZZNS1_14partition_implILS8_3ELb0ES6_jNS0_17counting_iteratorIjlEEPS9_SE_NS0_5tupleIJPjSE_EEENSF_IJSE_SE_EEES9_SG_JZNS1_25segmented_radix_sort_implINS0_14default_configELb0EPK6__halfPSL_PKlPlN2at6native12_GLOBAL__N_18offset_tEEE10hipError_tPvRmT1_PNSt15iterator_traitsISZ_E10value_typeET2_T3_PNS10_IS15_E10value_typeET4_jRbjT5_S1B_jjP12ihipStream_tbEUljE_EEESW_SX_SY_S15_S19_S1B_T6_T7_T9_mT8_S1D_bDpT10_ENKUlT_T0_E_clISt17integral_constantIbLb1EES1P_IbLb0EEEEDaS1L_S1M_EUlS1L_E_NS1_11comp_targetILNS1_3genE3ELNS1_11target_archE908ELNS1_3gpuE7ELNS1_3repE0EEENS1_30default_config_static_selectorELNS0_4arch9wavefront6targetE0EEEvSZ_.private_seg_size, 0
	.set _ZN7rocprim17ROCPRIM_400000_NS6detail17trampoline_kernelINS0_13select_configILj256ELj13ELNS0_17block_load_methodE3ELS4_3ELS4_3ELNS0_20block_scan_algorithmE0ELj4294967295EEENS1_25partition_config_selectorILNS1_17partition_subalgoE3EjNS0_10empty_typeEbEEZZNS1_14partition_implILS8_3ELb0ES6_jNS0_17counting_iteratorIjlEEPS9_SE_NS0_5tupleIJPjSE_EEENSF_IJSE_SE_EEES9_SG_JZNS1_25segmented_radix_sort_implINS0_14default_configELb0EPK6__halfPSL_PKlPlN2at6native12_GLOBAL__N_18offset_tEEE10hipError_tPvRmT1_PNSt15iterator_traitsISZ_E10value_typeET2_T3_PNS10_IS15_E10value_typeET4_jRbjT5_S1B_jjP12ihipStream_tbEUljE_EEESW_SX_SY_S15_S19_S1B_T6_T7_T9_mT8_S1D_bDpT10_ENKUlT_T0_E_clISt17integral_constantIbLb1EES1P_IbLb0EEEEDaS1L_S1M_EUlS1L_E_NS1_11comp_targetILNS1_3genE3ELNS1_11target_archE908ELNS1_3gpuE7ELNS1_3repE0EEENS1_30default_config_static_selectorELNS0_4arch9wavefront6targetE0EEEvSZ_.uses_vcc, 0
	.set _ZN7rocprim17ROCPRIM_400000_NS6detail17trampoline_kernelINS0_13select_configILj256ELj13ELNS0_17block_load_methodE3ELS4_3ELS4_3ELNS0_20block_scan_algorithmE0ELj4294967295EEENS1_25partition_config_selectorILNS1_17partition_subalgoE3EjNS0_10empty_typeEbEEZZNS1_14partition_implILS8_3ELb0ES6_jNS0_17counting_iteratorIjlEEPS9_SE_NS0_5tupleIJPjSE_EEENSF_IJSE_SE_EEES9_SG_JZNS1_25segmented_radix_sort_implINS0_14default_configELb0EPK6__halfPSL_PKlPlN2at6native12_GLOBAL__N_18offset_tEEE10hipError_tPvRmT1_PNSt15iterator_traitsISZ_E10value_typeET2_T3_PNS10_IS15_E10value_typeET4_jRbjT5_S1B_jjP12ihipStream_tbEUljE_EEESW_SX_SY_S15_S19_S1B_T6_T7_T9_mT8_S1D_bDpT10_ENKUlT_T0_E_clISt17integral_constantIbLb1EES1P_IbLb0EEEEDaS1L_S1M_EUlS1L_E_NS1_11comp_targetILNS1_3genE3ELNS1_11target_archE908ELNS1_3gpuE7ELNS1_3repE0EEENS1_30default_config_static_selectorELNS0_4arch9wavefront6targetE0EEEvSZ_.uses_flat_scratch, 0
	.set _ZN7rocprim17ROCPRIM_400000_NS6detail17trampoline_kernelINS0_13select_configILj256ELj13ELNS0_17block_load_methodE3ELS4_3ELS4_3ELNS0_20block_scan_algorithmE0ELj4294967295EEENS1_25partition_config_selectorILNS1_17partition_subalgoE3EjNS0_10empty_typeEbEEZZNS1_14partition_implILS8_3ELb0ES6_jNS0_17counting_iteratorIjlEEPS9_SE_NS0_5tupleIJPjSE_EEENSF_IJSE_SE_EEES9_SG_JZNS1_25segmented_radix_sort_implINS0_14default_configELb0EPK6__halfPSL_PKlPlN2at6native12_GLOBAL__N_18offset_tEEE10hipError_tPvRmT1_PNSt15iterator_traitsISZ_E10value_typeET2_T3_PNS10_IS15_E10value_typeET4_jRbjT5_S1B_jjP12ihipStream_tbEUljE_EEESW_SX_SY_S15_S19_S1B_T6_T7_T9_mT8_S1D_bDpT10_ENKUlT_T0_E_clISt17integral_constantIbLb1EES1P_IbLb0EEEEDaS1L_S1M_EUlS1L_E_NS1_11comp_targetILNS1_3genE3ELNS1_11target_archE908ELNS1_3gpuE7ELNS1_3repE0EEENS1_30default_config_static_selectorELNS0_4arch9wavefront6targetE0EEEvSZ_.has_dyn_sized_stack, 0
	.set _ZN7rocprim17ROCPRIM_400000_NS6detail17trampoline_kernelINS0_13select_configILj256ELj13ELNS0_17block_load_methodE3ELS4_3ELS4_3ELNS0_20block_scan_algorithmE0ELj4294967295EEENS1_25partition_config_selectorILNS1_17partition_subalgoE3EjNS0_10empty_typeEbEEZZNS1_14partition_implILS8_3ELb0ES6_jNS0_17counting_iteratorIjlEEPS9_SE_NS0_5tupleIJPjSE_EEENSF_IJSE_SE_EEES9_SG_JZNS1_25segmented_radix_sort_implINS0_14default_configELb0EPK6__halfPSL_PKlPlN2at6native12_GLOBAL__N_18offset_tEEE10hipError_tPvRmT1_PNSt15iterator_traitsISZ_E10value_typeET2_T3_PNS10_IS15_E10value_typeET4_jRbjT5_S1B_jjP12ihipStream_tbEUljE_EEESW_SX_SY_S15_S19_S1B_T6_T7_T9_mT8_S1D_bDpT10_ENKUlT_T0_E_clISt17integral_constantIbLb1EES1P_IbLb0EEEEDaS1L_S1M_EUlS1L_E_NS1_11comp_targetILNS1_3genE3ELNS1_11target_archE908ELNS1_3gpuE7ELNS1_3repE0EEENS1_30default_config_static_selectorELNS0_4arch9wavefront6targetE0EEEvSZ_.has_recursion, 0
	.set _ZN7rocprim17ROCPRIM_400000_NS6detail17trampoline_kernelINS0_13select_configILj256ELj13ELNS0_17block_load_methodE3ELS4_3ELS4_3ELNS0_20block_scan_algorithmE0ELj4294967295EEENS1_25partition_config_selectorILNS1_17partition_subalgoE3EjNS0_10empty_typeEbEEZZNS1_14partition_implILS8_3ELb0ES6_jNS0_17counting_iteratorIjlEEPS9_SE_NS0_5tupleIJPjSE_EEENSF_IJSE_SE_EEES9_SG_JZNS1_25segmented_radix_sort_implINS0_14default_configELb0EPK6__halfPSL_PKlPlN2at6native12_GLOBAL__N_18offset_tEEE10hipError_tPvRmT1_PNSt15iterator_traitsISZ_E10value_typeET2_T3_PNS10_IS15_E10value_typeET4_jRbjT5_S1B_jjP12ihipStream_tbEUljE_EEESW_SX_SY_S15_S19_S1B_T6_T7_T9_mT8_S1D_bDpT10_ENKUlT_T0_E_clISt17integral_constantIbLb1EES1P_IbLb0EEEEDaS1L_S1M_EUlS1L_E_NS1_11comp_targetILNS1_3genE3ELNS1_11target_archE908ELNS1_3gpuE7ELNS1_3repE0EEENS1_30default_config_static_selectorELNS0_4arch9wavefront6targetE0EEEvSZ_.has_indirect_call, 0
	.section	.AMDGPU.csdata,"",@progbits
; Kernel info:
; codeLenInByte = 0
; TotalNumSgprs: 0
; NumVgprs: 0
; ScratchSize: 0
; MemoryBound: 0
; FloatMode: 240
; IeeeMode: 1
; LDSByteSize: 0 bytes/workgroup (compile time only)
; SGPRBlocks: 0
; VGPRBlocks: 0
; NumSGPRsForWavesPerEU: 1
; NumVGPRsForWavesPerEU: 1
; Occupancy: 16
; WaveLimiterHint : 0
; COMPUTE_PGM_RSRC2:SCRATCH_EN: 0
; COMPUTE_PGM_RSRC2:USER_SGPR: 6
; COMPUTE_PGM_RSRC2:TRAP_HANDLER: 0
; COMPUTE_PGM_RSRC2:TGID_X_EN: 1
; COMPUTE_PGM_RSRC2:TGID_Y_EN: 0
; COMPUTE_PGM_RSRC2:TGID_Z_EN: 0
; COMPUTE_PGM_RSRC2:TIDIG_COMP_CNT: 0
	.section	.text._ZN7rocprim17ROCPRIM_400000_NS6detail17trampoline_kernelINS0_13select_configILj256ELj13ELNS0_17block_load_methodE3ELS4_3ELS4_3ELNS0_20block_scan_algorithmE0ELj4294967295EEENS1_25partition_config_selectorILNS1_17partition_subalgoE3EjNS0_10empty_typeEbEEZZNS1_14partition_implILS8_3ELb0ES6_jNS0_17counting_iteratorIjlEEPS9_SE_NS0_5tupleIJPjSE_EEENSF_IJSE_SE_EEES9_SG_JZNS1_25segmented_radix_sort_implINS0_14default_configELb0EPK6__halfPSL_PKlPlN2at6native12_GLOBAL__N_18offset_tEEE10hipError_tPvRmT1_PNSt15iterator_traitsISZ_E10value_typeET2_T3_PNS10_IS15_E10value_typeET4_jRbjT5_S1B_jjP12ihipStream_tbEUljE_EEESW_SX_SY_S15_S19_S1B_T6_T7_T9_mT8_S1D_bDpT10_ENKUlT_T0_E_clISt17integral_constantIbLb1EES1P_IbLb0EEEEDaS1L_S1M_EUlS1L_E_NS1_11comp_targetILNS1_3genE2ELNS1_11target_archE906ELNS1_3gpuE6ELNS1_3repE0EEENS1_30default_config_static_selectorELNS0_4arch9wavefront6targetE0EEEvSZ_,"axG",@progbits,_ZN7rocprim17ROCPRIM_400000_NS6detail17trampoline_kernelINS0_13select_configILj256ELj13ELNS0_17block_load_methodE3ELS4_3ELS4_3ELNS0_20block_scan_algorithmE0ELj4294967295EEENS1_25partition_config_selectorILNS1_17partition_subalgoE3EjNS0_10empty_typeEbEEZZNS1_14partition_implILS8_3ELb0ES6_jNS0_17counting_iteratorIjlEEPS9_SE_NS0_5tupleIJPjSE_EEENSF_IJSE_SE_EEES9_SG_JZNS1_25segmented_radix_sort_implINS0_14default_configELb0EPK6__halfPSL_PKlPlN2at6native12_GLOBAL__N_18offset_tEEE10hipError_tPvRmT1_PNSt15iterator_traitsISZ_E10value_typeET2_T3_PNS10_IS15_E10value_typeET4_jRbjT5_S1B_jjP12ihipStream_tbEUljE_EEESW_SX_SY_S15_S19_S1B_T6_T7_T9_mT8_S1D_bDpT10_ENKUlT_T0_E_clISt17integral_constantIbLb1EES1P_IbLb0EEEEDaS1L_S1M_EUlS1L_E_NS1_11comp_targetILNS1_3genE2ELNS1_11target_archE906ELNS1_3gpuE6ELNS1_3repE0EEENS1_30default_config_static_selectorELNS0_4arch9wavefront6targetE0EEEvSZ_,comdat
	.globl	_ZN7rocprim17ROCPRIM_400000_NS6detail17trampoline_kernelINS0_13select_configILj256ELj13ELNS0_17block_load_methodE3ELS4_3ELS4_3ELNS0_20block_scan_algorithmE0ELj4294967295EEENS1_25partition_config_selectorILNS1_17partition_subalgoE3EjNS0_10empty_typeEbEEZZNS1_14partition_implILS8_3ELb0ES6_jNS0_17counting_iteratorIjlEEPS9_SE_NS0_5tupleIJPjSE_EEENSF_IJSE_SE_EEES9_SG_JZNS1_25segmented_radix_sort_implINS0_14default_configELb0EPK6__halfPSL_PKlPlN2at6native12_GLOBAL__N_18offset_tEEE10hipError_tPvRmT1_PNSt15iterator_traitsISZ_E10value_typeET2_T3_PNS10_IS15_E10value_typeET4_jRbjT5_S1B_jjP12ihipStream_tbEUljE_EEESW_SX_SY_S15_S19_S1B_T6_T7_T9_mT8_S1D_bDpT10_ENKUlT_T0_E_clISt17integral_constantIbLb1EES1P_IbLb0EEEEDaS1L_S1M_EUlS1L_E_NS1_11comp_targetILNS1_3genE2ELNS1_11target_archE906ELNS1_3gpuE6ELNS1_3repE0EEENS1_30default_config_static_selectorELNS0_4arch9wavefront6targetE0EEEvSZ_ ; -- Begin function _ZN7rocprim17ROCPRIM_400000_NS6detail17trampoline_kernelINS0_13select_configILj256ELj13ELNS0_17block_load_methodE3ELS4_3ELS4_3ELNS0_20block_scan_algorithmE0ELj4294967295EEENS1_25partition_config_selectorILNS1_17partition_subalgoE3EjNS0_10empty_typeEbEEZZNS1_14partition_implILS8_3ELb0ES6_jNS0_17counting_iteratorIjlEEPS9_SE_NS0_5tupleIJPjSE_EEENSF_IJSE_SE_EEES9_SG_JZNS1_25segmented_radix_sort_implINS0_14default_configELb0EPK6__halfPSL_PKlPlN2at6native12_GLOBAL__N_18offset_tEEE10hipError_tPvRmT1_PNSt15iterator_traitsISZ_E10value_typeET2_T3_PNS10_IS15_E10value_typeET4_jRbjT5_S1B_jjP12ihipStream_tbEUljE_EEESW_SX_SY_S15_S19_S1B_T6_T7_T9_mT8_S1D_bDpT10_ENKUlT_T0_E_clISt17integral_constantIbLb1EES1P_IbLb0EEEEDaS1L_S1M_EUlS1L_E_NS1_11comp_targetILNS1_3genE2ELNS1_11target_archE906ELNS1_3gpuE6ELNS1_3repE0EEENS1_30default_config_static_selectorELNS0_4arch9wavefront6targetE0EEEvSZ_
	.p2align	8
	.type	_ZN7rocprim17ROCPRIM_400000_NS6detail17trampoline_kernelINS0_13select_configILj256ELj13ELNS0_17block_load_methodE3ELS4_3ELS4_3ELNS0_20block_scan_algorithmE0ELj4294967295EEENS1_25partition_config_selectorILNS1_17partition_subalgoE3EjNS0_10empty_typeEbEEZZNS1_14partition_implILS8_3ELb0ES6_jNS0_17counting_iteratorIjlEEPS9_SE_NS0_5tupleIJPjSE_EEENSF_IJSE_SE_EEES9_SG_JZNS1_25segmented_radix_sort_implINS0_14default_configELb0EPK6__halfPSL_PKlPlN2at6native12_GLOBAL__N_18offset_tEEE10hipError_tPvRmT1_PNSt15iterator_traitsISZ_E10value_typeET2_T3_PNS10_IS15_E10value_typeET4_jRbjT5_S1B_jjP12ihipStream_tbEUljE_EEESW_SX_SY_S15_S19_S1B_T6_T7_T9_mT8_S1D_bDpT10_ENKUlT_T0_E_clISt17integral_constantIbLb1EES1P_IbLb0EEEEDaS1L_S1M_EUlS1L_E_NS1_11comp_targetILNS1_3genE2ELNS1_11target_archE906ELNS1_3gpuE6ELNS1_3repE0EEENS1_30default_config_static_selectorELNS0_4arch9wavefront6targetE0EEEvSZ_,@function
_ZN7rocprim17ROCPRIM_400000_NS6detail17trampoline_kernelINS0_13select_configILj256ELj13ELNS0_17block_load_methodE3ELS4_3ELS4_3ELNS0_20block_scan_algorithmE0ELj4294967295EEENS1_25partition_config_selectorILNS1_17partition_subalgoE3EjNS0_10empty_typeEbEEZZNS1_14partition_implILS8_3ELb0ES6_jNS0_17counting_iteratorIjlEEPS9_SE_NS0_5tupleIJPjSE_EEENSF_IJSE_SE_EEES9_SG_JZNS1_25segmented_radix_sort_implINS0_14default_configELb0EPK6__halfPSL_PKlPlN2at6native12_GLOBAL__N_18offset_tEEE10hipError_tPvRmT1_PNSt15iterator_traitsISZ_E10value_typeET2_T3_PNS10_IS15_E10value_typeET4_jRbjT5_S1B_jjP12ihipStream_tbEUljE_EEESW_SX_SY_S15_S19_S1B_T6_T7_T9_mT8_S1D_bDpT10_ENKUlT_T0_E_clISt17integral_constantIbLb1EES1P_IbLb0EEEEDaS1L_S1M_EUlS1L_E_NS1_11comp_targetILNS1_3genE2ELNS1_11target_archE906ELNS1_3gpuE6ELNS1_3repE0EEENS1_30default_config_static_selectorELNS0_4arch9wavefront6targetE0EEEvSZ_: ; @_ZN7rocprim17ROCPRIM_400000_NS6detail17trampoline_kernelINS0_13select_configILj256ELj13ELNS0_17block_load_methodE3ELS4_3ELS4_3ELNS0_20block_scan_algorithmE0ELj4294967295EEENS1_25partition_config_selectorILNS1_17partition_subalgoE3EjNS0_10empty_typeEbEEZZNS1_14partition_implILS8_3ELb0ES6_jNS0_17counting_iteratorIjlEEPS9_SE_NS0_5tupleIJPjSE_EEENSF_IJSE_SE_EEES9_SG_JZNS1_25segmented_radix_sort_implINS0_14default_configELb0EPK6__halfPSL_PKlPlN2at6native12_GLOBAL__N_18offset_tEEE10hipError_tPvRmT1_PNSt15iterator_traitsISZ_E10value_typeET2_T3_PNS10_IS15_E10value_typeET4_jRbjT5_S1B_jjP12ihipStream_tbEUljE_EEESW_SX_SY_S15_S19_S1B_T6_T7_T9_mT8_S1D_bDpT10_ENKUlT_T0_E_clISt17integral_constantIbLb1EES1P_IbLb0EEEEDaS1L_S1M_EUlS1L_E_NS1_11comp_targetILNS1_3genE2ELNS1_11target_archE906ELNS1_3gpuE6ELNS1_3repE0EEENS1_30default_config_static_selectorELNS0_4arch9wavefront6targetE0EEEvSZ_
; %bb.0:
	.section	.rodata,"a",@progbits
	.p2align	6, 0x0
	.amdhsa_kernel _ZN7rocprim17ROCPRIM_400000_NS6detail17trampoline_kernelINS0_13select_configILj256ELj13ELNS0_17block_load_methodE3ELS4_3ELS4_3ELNS0_20block_scan_algorithmE0ELj4294967295EEENS1_25partition_config_selectorILNS1_17partition_subalgoE3EjNS0_10empty_typeEbEEZZNS1_14partition_implILS8_3ELb0ES6_jNS0_17counting_iteratorIjlEEPS9_SE_NS0_5tupleIJPjSE_EEENSF_IJSE_SE_EEES9_SG_JZNS1_25segmented_radix_sort_implINS0_14default_configELb0EPK6__halfPSL_PKlPlN2at6native12_GLOBAL__N_18offset_tEEE10hipError_tPvRmT1_PNSt15iterator_traitsISZ_E10value_typeET2_T3_PNS10_IS15_E10value_typeET4_jRbjT5_S1B_jjP12ihipStream_tbEUljE_EEESW_SX_SY_S15_S19_S1B_T6_T7_T9_mT8_S1D_bDpT10_ENKUlT_T0_E_clISt17integral_constantIbLb1EES1P_IbLb0EEEEDaS1L_S1M_EUlS1L_E_NS1_11comp_targetILNS1_3genE2ELNS1_11target_archE906ELNS1_3gpuE6ELNS1_3repE0EEENS1_30default_config_static_selectorELNS0_4arch9wavefront6targetE0EEEvSZ_
		.amdhsa_group_segment_fixed_size 0
		.amdhsa_private_segment_fixed_size 0
		.amdhsa_kernarg_size 144
		.amdhsa_user_sgpr_count 6
		.amdhsa_user_sgpr_private_segment_buffer 1
		.amdhsa_user_sgpr_dispatch_ptr 0
		.amdhsa_user_sgpr_queue_ptr 0
		.amdhsa_user_sgpr_kernarg_segment_ptr 1
		.amdhsa_user_sgpr_dispatch_id 0
		.amdhsa_user_sgpr_flat_scratch_init 0
		.amdhsa_user_sgpr_private_segment_size 0
		.amdhsa_wavefront_size32 1
		.amdhsa_uses_dynamic_stack 0
		.amdhsa_system_sgpr_private_segment_wavefront_offset 0
		.amdhsa_system_sgpr_workgroup_id_x 1
		.amdhsa_system_sgpr_workgroup_id_y 0
		.amdhsa_system_sgpr_workgroup_id_z 0
		.amdhsa_system_sgpr_workgroup_info 0
		.amdhsa_system_vgpr_workitem_id 0
		.amdhsa_next_free_vgpr 1
		.amdhsa_next_free_sgpr 1
		.amdhsa_reserve_vcc 0
		.amdhsa_reserve_flat_scratch 0
		.amdhsa_float_round_mode_32 0
		.amdhsa_float_round_mode_16_64 0
		.amdhsa_float_denorm_mode_32 3
		.amdhsa_float_denorm_mode_16_64 3
		.amdhsa_dx10_clamp 1
		.amdhsa_ieee_mode 1
		.amdhsa_fp16_overflow 0
		.amdhsa_workgroup_processor_mode 1
		.amdhsa_memory_ordered 1
		.amdhsa_forward_progress 1
		.amdhsa_shared_vgpr_count 0
		.amdhsa_exception_fp_ieee_invalid_op 0
		.amdhsa_exception_fp_denorm_src 0
		.amdhsa_exception_fp_ieee_div_zero 0
		.amdhsa_exception_fp_ieee_overflow 0
		.amdhsa_exception_fp_ieee_underflow 0
		.amdhsa_exception_fp_ieee_inexact 0
		.amdhsa_exception_int_div_zero 0
	.end_amdhsa_kernel
	.section	.text._ZN7rocprim17ROCPRIM_400000_NS6detail17trampoline_kernelINS0_13select_configILj256ELj13ELNS0_17block_load_methodE3ELS4_3ELS4_3ELNS0_20block_scan_algorithmE0ELj4294967295EEENS1_25partition_config_selectorILNS1_17partition_subalgoE3EjNS0_10empty_typeEbEEZZNS1_14partition_implILS8_3ELb0ES6_jNS0_17counting_iteratorIjlEEPS9_SE_NS0_5tupleIJPjSE_EEENSF_IJSE_SE_EEES9_SG_JZNS1_25segmented_radix_sort_implINS0_14default_configELb0EPK6__halfPSL_PKlPlN2at6native12_GLOBAL__N_18offset_tEEE10hipError_tPvRmT1_PNSt15iterator_traitsISZ_E10value_typeET2_T3_PNS10_IS15_E10value_typeET4_jRbjT5_S1B_jjP12ihipStream_tbEUljE_EEESW_SX_SY_S15_S19_S1B_T6_T7_T9_mT8_S1D_bDpT10_ENKUlT_T0_E_clISt17integral_constantIbLb1EES1P_IbLb0EEEEDaS1L_S1M_EUlS1L_E_NS1_11comp_targetILNS1_3genE2ELNS1_11target_archE906ELNS1_3gpuE6ELNS1_3repE0EEENS1_30default_config_static_selectorELNS0_4arch9wavefront6targetE0EEEvSZ_,"axG",@progbits,_ZN7rocprim17ROCPRIM_400000_NS6detail17trampoline_kernelINS0_13select_configILj256ELj13ELNS0_17block_load_methodE3ELS4_3ELS4_3ELNS0_20block_scan_algorithmE0ELj4294967295EEENS1_25partition_config_selectorILNS1_17partition_subalgoE3EjNS0_10empty_typeEbEEZZNS1_14partition_implILS8_3ELb0ES6_jNS0_17counting_iteratorIjlEEPS9_SE_NS0_5tupleIJPjSE_EEENSF_IJSE_SE_EEES9_SG_JZNS1_25segmented_radix_sort_implINS0_14default_configELb0EPK6__halfPSL_PKlPlN2at6native12_GLOBAL__N_18offset_tEEE10hipError_tPvRmT1_PNSt15iterator_traitsISZ_E10value_typeET2_T3_PNS10_IS15_E10value_typeET4_jRbjT5_S1B_jjP12ihipStream_tbEUljE_EEESW_SX_SY_S15_S19_S1B_T6_T7_T9_mT8_S1D_bDpT10_ENKUlT_T0_E_clISt17integral_constantIbLb1EES1P_IbLb0EEEEDaS1L_S1M_EUlS1L_E_NS1_11comp_targetILNS1_3genE2ELNS1_11target_archE906ELNS1_3gpuE6ELNS1_3repE0EEENS1_30default_config_static_selectorELNS0_4arch9wavefront6targetE0EEEvSZ_,comdat
.Lfunc_end1820:
	.size	_ZN7rocprim17ROCPRIM_400000_NS6detail17trampoline_kernelINS0_13select_configILj256ELj13ELNS0_17block_load_methodE3ELS4_3ELS4_3ELNS0_20block_scan_algorithmE0ELj4294967295EEENS1_25partition_config_selectorILNS1_17partition_subalgoE3EjNS0_10empty_typeEbEEZZNS1_14partition_implILS8_3ELb0ES6_jNS0_17counting_iteratorIjlEEPS9_SE_NS0_5tupleIJPjSE_EEENSF_IJSE_SE_EEES9_SG_JZNS1_25segmented_radix_sort_implINS0_14default_configELb0EPK6__halfPSL_PKlPlN2at6native12_GLOBAL__N_18offset_tEEE10hipError_tPvRmT1_PNSt15iterator_traitsISZ_E10value_typeET2_T3_PNS10_IS15_E10value_typeET4_jRbjT5_S1B_jjP12ihipStream_tbEUljE_EEESW_SX_SY_S15_S19_S1B_T6_T7_T9_mT8_S1D_bDpT10_ENKUlT_T0_E_clISt17integral_constantIbLb1EES1P_IbLb0EEEEDaS1L_S1M_EUlS1L_E_NS1_11comp_targetILNS1_3genE2ELNS1_11target_archE906ELNS1_3gpuE6ELNS1_3repE0EEENS1_30default_config_static_selectorELNS0_4arch9wavefront6targetE0EEEvSZ_, .Lfunc_end1820-_ZN7rocprim17ROCPRIM_400000_NS6detail17trampoline_kernelINS0_13select_configILj256ELj13ELNS0_17block_load_methodE3ELS4_3ELS4_3ELNS0_20block_scan_algorithmE0ELj4294967295EEENS1_25partition_config_selectorILNS1_17partition_subalgoE3EjNS0_10empty_typeEbEEZZNS1_14partition_implILS8_3ELb0ES6_jNS0_17counting_iteratorIjlEEPS9_SE_NS0_5tupleIJPjSE_EEENSF_IJSE_SE_EEES9_SG_JZNS1_25segmented_radix_sort_implINS0_14default_configELb0EPK6__halfPSL_PKlPlN2at6native12_GLOBAL__N_18offset_tEEE10hipError_tPvRmT1_PNSt15iterator_traitsISZ_E10value_typeET2_T3_PNS10_IS15_E10value_typeET4_jRbjT5_S1B_jjP12ihipStream_tbEUljE_EEESW_SX_SY_S15_S19_S1B_T6_T7_T9_mT8_S1D_bDpT10_ENKUlT_T0_E_clISt17integral_constantIbLb1EES1P_IbLb0EEEEDaS1L_S1M_EUlS1L_E_NS1_11comp_targetILNS1_3genE2ELNS1_11target_archE906ELNS1_3gpuE6ELNS1_3repE0EEENS1_30default_config_static_selectorELNS0_4arch9wavefront6targetE0EEEvSZ_
                                        ; -- End function
	.set _ZN7rocprim17ROCPRIM_400000_NS6detail17trampoline_kernelINS0_13select_configILj256ELj13ELNS0_17block_load_methodE3ELS4_3ELS4_3ELNS0_20block_scan_algorithmE0ELj4294967295EEENS1_25partition_config_selectorILNS1_17partition_subalgoE3EjNS0_10empty_typeEbEEZZNS1_14partition_implILS8_3ELb0ES6_jNS0_17counting_iteratorIjlEEPS9_SE_NS0_5tupleIJPjSE_EEENSF_IJSE_SE_EEES9_SG_JZNS1_25segmented_radix_sort_implINS0_14default_configELb0EPK6__halfPSL_PKlPlN2at6native12_GLOBAL__N_18offset_tEEE10hipError_tPvRmT1_PNSt15iterator_traitsISZ_E10value_typeET2_T3_PNS10_IS15_E10value_typeET4_jRbjT5_S1B_jjP12ihipStream_tbEUljE_EEESW_SX_SY_S15_S19_S1B_T6_T7_T9_mT8_S1D_bDpT10_ENKUlT_T0_E_clISt17integral_constantIbLb1EES1P_IbLb0EEEEDaS1L_S1M_EUlS1L_E_NS1_11comp_targetILNS1_3genE2ELNS1_11target_archE906ELNS1_3gpuE6ELNS1_3repE0EEENS1_30default_config_static_selectorELNS0_4arch9wavefront6targetE0EEEvSZ_.num_vgpr, 0
	.set _ZN7rocprim17ROCPRIM_400000_NS6detail17trampoline_kernelINS0_13select_configILj256ELj13ELNS0_17block_load_methodE3ELS4_3ELS4_3ELNS0_20block_scan_algorithmE0ELj4294967295EEENS1_25partition_config_selectorILNS1_17partition_subalgoE3EjNS0_10empty_typeEbEEZZNS1_14partition_implILS8_3ELb0ES6_jNS0_17counting_iteratorIjlEEPS9_SE_NS0_5tupleIJPjSE_EEENSF_IJSE_SE_EEES9_SG_JZNS1_25segmented_radix_sort_implINS0_14default_configELb0EPK6__halfPSL_PKlPlN2at6native12_GLOBAL__N_18offset_tEEE10hipError_tPvRmT1_PNSt15iterator_traitsISZ_E10value_typeET2_T3_PNS10_IS15_E10value_typeET4_jRbjT5_S1B_jjP12ihipStream_tbEUljE_EEESW_SX_SY_S15_S19_S1B_T6_T7_T9_mT8_S1D_bDpT10_ENKUlT_T0_E_clISt17integral_constantIbLb1EES1P_IbLb0EEEEDaS1L_S1M_EUlS1L_E_NS1_11comp_targetILNS1_3genE2ELNS1_11target_archE906ELNS1_3gpuE6ELNS1_3repE0EEENS1_30default_config_static_selectorELNS0_4arch9wavefront6targetE0EEEvSZ_.num_agpr, 0
	.set _ZN7rocprim17ROCPRIM_400000_NS6detail17trampoline_kernelINS0_13select_configILj256ELj13ELNS0_17block_load_methodE3ELS4_3ELS4_3ELNS0_20block_scan_algorithmE0ELj4294967295EEENS1_25partition_config_selectorILNS1_17partition_subalgoE3EjNS0_10empty_typeEbEEZZNS1_14partition_implILS8_3ELb0ES6_jNS0_17counting_iteratorIjlEEPS9_SE_NS0_5tupleIJPjSE_EEENSF_IJSE_SE_EEES9_SG_JZNS1_25segmented_radix_sort_implINS0_14default_configELb0EPK6__halfPSL_PKlPlN2at6native12_GLOBAL__N_18offset_tEEE10hipError_tPvRmT1_PNSt15iterator_traitsISZ_E10value_typeET2_T3_PNS10_IS15_E10value_typeET4_jRbjT5_S1B_jjP12ihipStream_tbEUljE_EEESW_SX_SY_S15_S19_S1B_T6_T7_T9_mT8_S1D_bDpT10_ENKUlT_T0_E_clISt17integral_constantIbLb1EES1P_IbLb0EEEEDaS1L_S1M_EUlS1L_E_NS1_11comp_targetILNS1_3genE2ELNS1_11target_archE906ELNS1_3gpuE6ELNS1_3repE0EEENS1_30default_config_static_selectorELNS0_4arch9wavefront6targetE0EEEvSZ_.numbered_sgpr, 0
	.set _ZN7rocprim17ROCPRIM_400000_NS6detail17trampoline_kernelINS0_13select_configILj256ELj13ELNS0_17block_load_methodE3ELS4_3ELS4_3ELNS0_20block_scan_algorithmE0ELj4294967295EEENS1_25partition_config_selectorILNS1_17partition_subalgoE3EjNS0_10empty_typeEbEEZZNS1_14partition_implILS8_3ELb0ES6_jNS0_17counting_iteratorIjlEEPS9_SE_NS0_5tupleIJPjSE_EEENSF_IJSE_SE_EEES9_SG_JZNS1_25segmented_radix_sort_implINS0_14default_configELb0EPK6__halfPSL_PKlPlN2at6native12_GLOBAL__N_18offset_tEEE10hipError_tPvRmT1_PNSt15iterator_traitsISZ_E10value_typeET2_T3_PNS10_IS15_E10value_typeET4_jRbjT5_S1B_jjP12ihipStream_tbEUljE_EEESW_SX_SY_S15_S19_S1B_T6_T7_T9_mT8_S1D_bDpT10_ENKUlT_T0_E_clISt17integral_constantIbLb1EES1P_IbLb0EEEEDaS1L_S1M_EUlS1L_E_NS1_11comp_targetILNS1_3genE2ELNS1_11target_archE906ELNS1_3gpuE6ELNS1_3repE0EEENS1_30default_config_static_selectorELNS0_4arch9wavefront6targetE0EEEvSZ_.num_named_barrier, 0
	.set _ZN7rocprim17ROCPRIM_400000_NS6detail17trampoline_kernelINS0_13select_configILj256ELj13ELNS0_17block_load_methodE3ELS4_3ELS4_3ELNS0_20block_scan_algorithmE0ELj4294967295EEENS1_25partition_config_selectorILNS1_17partition_subalgoE3EjNS0_10empty_typeEbEEZZNS1_14partition_implILS8_3ELb0ES6_jNS0_17counting_iteratorIjlEEPS9_SE_NS0_5tupleIJPjSE_EEENSF_IJSE_SE_EEES9_SG_JZNS1_25segmented_radix_sort_implINS0_14default_configELb0EPK6__halfPSL_PKlPlN2at6native12_GLOBAL__N_18offset_tEEE10hipError_tPvRmT1_PNSt15iterator_traitsISZ_E10value_typeET2_T3_PNS10_IS15_E10value_typeET4_jRbjT5_S1B_jjP12ihipStream_tbEUljE_EEESW_SX_SY_S15_S19_S1B_T6_T7_T9_mT8_S1D_bDpT10_ENKUlT_T0_E_clISt17integral_constantIbLb1EES1P_IbLb0EEEEDaS1L_S1M_EUlS1L_E_NS1_11comp_targetILNS1_3genE2ELNS1_11target_archE906ELNS1_3gpuE6ELNS1_3repE0EEENS1_30default_config_static_selectorELNS0_4arch9wavefront6targetE0EEEvSZ_.private_seg_size, 0
	.set _ZN7rocprim17ROCPRIM_400000_NS6detail17trampoline_kernelINS0_13select_configILj256ELj13ELNS0_17block_load_methodE3ELS4_3ELS4_3ELNS0_20block_scan_algorithmE0ELj4294967295EEENS1_25partition_config_selectorILNS1_17partition_subalgoE3EjNS0_10empty_typeEbEEZZNS1_14partition_implILS8_3ELb0ES6_jNS0_17counting_iteratorIjlEEPS9_SE_NS0_5tupleIJPjSE_EEENSF_IJSE_SE_EEES9_SG_JZNS1_25segmented_radix_sort_implINS0_14default_configELb0EPK6__halfPSL_PKlPlN2at6native12_GLOBAL__N_18offset_tEEE10hipError_tPvRmT1_PNSt15iterator_traitsISZ_E10value_typeET2_T3_PNS10_IS15_E10value_typeET4_jRbjT5_S1B_jjP12ihipStream_tbEUljE_EEESW_SX_SY_S15_S19_S1B_T6_T7_T9_mT8_S1D_bDpT10_ENKUlT_T0_E_clISt17integral_constantIbLb1EES1P_IbLb0EEEEDaS1L_S1M_EUlS1L_E_NS1_11comp_targetILNS1_3genE2ELNS1_11target_archE906ELNS1_3gpuE6ELNS1_3repE0EEENS1_30default_config_static_selectorELNS0_4arch9wavefront6targetE0EEEvSZ_.uses_vcc, 0
	.set _ZN7rocprim17ROCPRIM_400000_NS6detail17trampoline_kernelINS0_13select_configILj256ELj13ELNS0_17block_load_methodE3ELS4_3ELS4_3ELNS0_20block_scan_algorithmE0ELj4294967295EEENS1_25partition_config_selectorILNS1_17partition_subalgoE3EjNS0_10empty_typeEbEEZZNS1_14partition_implILS8_3ELb0ES6_jNS0_17counting_iteratorIjlEEPS9_SE_NS0_5tupleIJPjSE_EEENSF_IJSE_SE_EEES9_SG_JZNS1_25segmented_radix_sort_implINS0_14default_configELb0EPK6__halfPSL_PKlPlN2at6native12_GLOBAL__N_18offset_tEEE10hipError_tPvRmT1_PNSt15iterator_traitsISZ_E10value_typeET2_T3_PNS10_IS15_E10value_typeET4_jRbjT5_S1B_jjP12ihipStream_tbEUljE_EEESW_SX_SY_S15_S19_S1B_T6_T7_T9_mT8_S1D_bDpT10_ENKUlT_T0_E_clISt17integral_constantIbLb1EES1P_IbLb0EEEEDaS1L_S1M_EUlS1L_E_NS1_11comp_targetILNS1_3genE2ELNS1_11target_archE906ELNS1_3gpuE6ELNS1_3repE0EEENS1_30default_config_static_selectorELNS0_4arch9wavefront6targetE0EEEvSZ_.uses_flat_scratch, 0
	.set _ZN7rocprim17ROCPRIM_400000_NS6detail17trampoline_kernelINS0_13select_configILj256ELj13ELNS0_17block_load_methodE3ELS4_3ELS4_3ELNS0_20block_scan_algorithmE0ELj4294967295EEENS1_25partition_config_selectorILNS1_17partition_subalgoE3EjNS0_10empty_typeEbEEZZNS1_14partition_implILS8_3ELb0ES6_jNS0_17counting_iteratorIjlEEPS9_SE_NS0_5tupleIJPjSE_EEENSF_IJSE_SE_EEES9_SG_JZNS1_25segmented_radix_sort_implINS0_14default_configELb0EPK6__halfPSL_PKlPlN2at6native12_GLOBAL__N_18offset_tEEE10hipError_tPvRmT1_PNSt15iterator_traitsISZ_E10value_typeET2_T3_PNS10_IS15_E10value_typeET4_jRbjT5_S1B_jjP12ihipStream_tbEUljE_EEESW_SX_SY_S15_S19_S1B_T6_T7_T9_mT8_S1D_bDpT10_ENKUlT_T0_E_clISt17integral_constantIbLb1EES1P_IbLb0EEEEDaS1L_S1M_EUlS1L_E_NS1_11comp_targetILNS1_3genE2ELNS1_11target_archE906ELNS1_3gpuE6ELNS1_3repE0EEENS1_30default_config_static_selectorELNS0_4arch9wavefront6targetE0EEEvSZ_.has_dyn_sized_stack, 0
	.set _ZN7rocprim17ROCPRIM_400000_NS6detail17trampoline_kernelINS0_13select_configILj256ELj13ELNS0_17block_load_methodE3ELS4_3ELS4_3ELNS0_20block_scan_algorithmE0ELj4294967295EEENS1_25partition_config_selectorILNS1_17partition_subalgoE3EjNS0_10empty_typeEbEEZZNS1_14partition_implILS8_3ELb0ES6_jNS0_17counting_iteratorIjlEEPS9_SE_NS0_5tupleIJPjSE_EEENSF_IJSE_SE_EEES9_SG_JZNS1_25segmented_radix_sort_implINS0_14default_configELb0EPK6__halfPSL_PKlPlN2at6native12_GLOBAL__N_18offset_tEEE10hipError_tPvRmT1_PNSt15iterator_traitsISZ_E10value_typeET2_T3_PNS10_IS15_E10value_typeET4_jRbjT5_S1B_jjP12ihipStream_tbEUljE_EEESW_SX_SY_S15_S19_S1B_T6_T7_T9_mT8_S1D_bDpT10_ENKUlT_T0_E_clISt17integral_constantIbLb1EES1P_IbLb0EEEEDaS1L_S1M_EUlS1L_E_NS1_11comp_targetILNS1_3genE2ELNS1_11target_archE906ELNS1_3gpuE6ELNS1_3repE0EEENS1_30default_config_static_selectorELNS0_4arch9wavefront6targetE0EEEvSZ_.has_recursion, 0
	.set _ZN7rocprim17ROCPRIM_400000_NS6detail17trampoline_kernelINS0_13select_configILj256ELj13ELNS0_17block_load_methodE3ELS4_3ELS4_3ELNS0_20block_scan_algorithmE0ELj4294967295EEENS1_25partition_config_selectorILNS1_17partition_subalgoE3EjNS0_10empty_typeEbEEZZNS1_14partition_implILS8_3ELb0ES6_jNS0_17counting_iteratorIjlEEPS9_SE_NS0_5tupleIJPjSE_EEENSF_IJSE_SE_EEES9_SG_JZNS1_25segmented_radix_sort_implINS0_14default_configELb0EPK6__halfPSL_PKlPlN2at6native12_GLOBAL__N_18offset_tEEE10hipError_tPvRmT1_PNSt15iterator_traitsISZ_E10value_typeET2_T3_PNS10_IS15_E10value_typeET4_jRbjT5_S1B_jjP12ihipStream_tbEUljE_EEESW_SX_SY_S15_S19_S1B_T6_T7_T9_mT8_S1D_bDpT10_ENKUlT_T0_E_clISt17integral_constantIbLb1EES1P_IbLb0EEEEDaS1L_S1M_EUlS1L_E_NS1_11comp_targetILNS1_3genE2ELNS1_11target_archE906ELNS1_3gpuE6ELNS1_3repE0EEENS1_30default_config_static_selectorELNS0_4arch9wavefront6targetE0EEEvSZ_.has_indirect_call, 0
	.section	.AMDGPU.csdata,"",@progbits
; Kernel info:
; codeLenInByte = 0
; TotalNumSgprs: 0
; NumVgprs: 0
; ScratchSize: 0
; MemoryBound: 0
; FloatMode: 240
; IeeeMode: 1
; LDSByteSize: 0 bytes/workgroup (compile time only)
; SGPRBlocks: 0
; VGPRBlocks: 0
; NumSGPRsForWavesPerEU: 1
; NumVGPRsForWavesPerEU: 1
; Occupancy: 16
; WaveLimiterHint : 0
; COMPUTE_PGM_RSRC2:SCRATCH_EN: 0
; COMPUTE_PGM_RSRC2:USER_SGPR: 6
; COMPUTE_PGM_RSRC2:TRAP_HANDLER: 0
; COMPUTE_PGM_RSRC2:TGID_X_EN: 1
; COMPUTE_PGM_RSRC2:TGID_Y_EN: 0
; COMPUTE_PGM_RSRC2:TGID_Z_EN: 0
; COMPUTE_PGM_RSRC2:TIDIG_COMP_CNT: 0
	.section	.text._ZN7rocprim17ROCPRIM_400000_NS6detail17trampoline_kernelINS0_13select_configILj256ELj13ELNS0_17block_load_methodE3ELS4_3ELS4_3ELNS0_20block_scan_algorithmE0ELj4294967295EEENS1_25partition_config_selectorILNS1_17partition_subalgoE3EjNS0_10empty_typeEbEEZZNS1_14partition_implILS8_3ELb0ES6_jNS0_17counting_iteratorIjlEEPS9_SE_NS0_5tupleIJPjSE_EEENSF_IJSE_SE_EEES9_SG_JZNS1_25segmented_radix_sort_implINS0_14default_configELb0EPK6__halfPSL_PKlPlN2at6native12_GLOBAL__N_18offset_tEEE10hipError_tPvRmT1_PNSt15iterator_traitsISZ_E10value_typeET2_T3_PNS10_IS15_E10value_typeET4_jRbjT5_S1B_jjP12ihipStream_tbEUljE_EEESW_SX_SY_S15_S19_S1B_T6_T7_T9_mT8_S1D_bDpT10_ENKUlT_T0_E_clISt17integral_constantIbLb1EES1P_IbLb0EEEEDaS1L_S1M_EUlS1L_E_NS1_11comp_targetILNS1_3genE10ELNS1_11target_archE1200ELNS1_3gpuE4ELNS1_3repE0EEENS1_30default_config_static_selectorELNS0_4arch9wavefront6targetE0EEEvSZ_,"axG",@progbits,_ZN7rocprim17ROCPRIM_400000_NS6detail17trampoline_kernelINS0_13select_configILj256ELj13ELNS0_17block_load_methodE3ELS4_3ELS4_3ELNS0_20block_scan_algorithmE0ELj4294967295EEENS1_25partition_config_selectorILNS1_17partition_subalgoE3EjNS0_10empty_typeEbEEZZNS1_14partition_implILS8_3ELb0ES6_jNS0_17counting_iteratorIjlEEPS9_SE_NS0_5tupleIJPjSE_EEENSF_IJSE_SE_EEES9_SG_JZNS1_25segmented_radix_sort_implINS0_14default_configELb0EPK6__halfPSL_PKlPlN2at6native12_GLOBAL__N_18offset_tEEE10hipError_tPvRmT1_PNSt15iterator_traitsISZ_E10value_typeET2_T3_PNS10_IS15_E10value_typeET4_jRbjT5_S1B_jjP12ihipStream_tbEUljE_EEESW_SX_SY_S15_S19_S1B_T6_T7_T9_mT8_S1D_bDpT10_ENKUlT_T0_E_clISt17integral_constantIbLb1EES1P_IbLb0EEEEDaS1L_S1M_EUlS1L_E_NS1_11comp_targetILNS1_3genE10ELNS1_11target_archE1200ELNS1_3gpuE4ELNS1_3repE0EEENS1_30default_config_static_selectorELNS0_4arch9wavefront6targetE0EEEvSZ_,comdat
	.globl	_ZN7rocprim17ROCPRIM_400000_NS6detail17trampoline_kernelINS0_13select_configILj256ELj13ELNS0_17block_load_methodE3ELS4_3ELS4_3ELNS0_20block_scan_algorithmE0ELj4294967295EEENS1_25partition_config_selectorILNS1_17partition_subalgoE3EjNS0_10empty_typeEbEEZZNS1_14partition_implILS8_3ELb0ES6_jNS0_17counting_iteratorIjlEEPS9_SE_NS0_5tupleIJPjSE_EEENSF_IJSE_SE_EEES9_SG_JZNS1_25segmented_radix_sort_implINS0_14default_configELb0EPK6__halfPSL_PKlPlN2at6native12_GLOBAL__N_18offset_tEEE10hipError_tPvRmT1_PNSt15iterator_traitsISZ_E10value_typeET2_T3_PNS10_IS15_E10value_typeET4_jRbjT5_S1B_jjP12ihipStream_tbEUljE_EEESW_SX_SY_S15_S19_S1B_T6_T7_T9_mT8_S1D_bDpT10_ENKUlT_T0_E_clISt17integral_constantIbLb1EES1P_IbLb0EEEEDaS1L_S1M_EUlS1L_E_NS1_11comp_targetILNS1_3genE10ELNS1_11target_archE1200ELNS1_3gpuE4ELNS1_3repE0EEENS1_30default_config_static_selectorELNS0_4arch9wavefront6targetE0EEEvSZ_ ; -- Begin function _ZN7rocprim17ROCPRIM_400000_NS6detail17trampoline_kernelINS0_13select_configILj256ELj13ELNS0_17block_load_methodE3ELS4_3ELS4_3ELNS0_20block_scan_algorithmE0ELj4294967295EEENS1_25partition_config_selectorILNS1_17partition_subalgoE3EjNS0_10empty_typeEbEEZZNS1_14partition_implILS8_3ELb0ES6_jNS0_17counting_iteratorIjlEEPS9_SE_NS0_5tupleIJPjSE_EEENSF_IJSE_SE_EEES9_SG_JZNS1_25segmented_radix_sort_implINS0_14default_configELb0EPK6__halfPSL_PKlPlN2at6native12_GLOBAL__N_18offset_tEEE10hipError_tPvRmT1_PNSt15iterator_traitsISZ_E10value_typeET2_T3_PNS10_IS15_E10value_typeET4_jRbjT5_S1B_jjP12ihipStream_tbEUljE_EEESW_SX_SY_S15_S19_S1B_T6_T7_T9_mT8_S1D_bDpT10_ENKUlT_T0_E_clISt17integral_constantIbLb1EES1P_IbLb0EEEEDaS1L_S1M_EUlS1L_E_NS1_11comp_targetILNS1_3genE10ELNS1_11target_archE1200ELNS1_3gpuE4ELNS1_3repE0EEENS1_30default_config_static_selectorELNS0_4arch9wavefront6targetE0EEEvSZ_
	.p2align	8
	.type	_ZN7rocprim17ROCPRIM_400000_NS6detail17trampoline_kernelINS0_13select_configILj256ELj13ELNS0_17block_load_methodE3ELS4_3ELS4_3ELNS0_20block_scan_algorithmE0ELj4294967295EEENS1_25partition_config_selectorILNS1_17partition_subalgoE3EjNS0_10empty_typeEbEEZZNS1_14partition_implILS8_3ELb0ES6_jNS0_17counting_iteratorIjlEEPS9_SE_NS0_5tupleIJPjSE_EEENSF_IJSE_SE_EEES9_SG_JZNS1_25segmented_radix_sort_implINS0_14default_configELb0EPK6__halfPSL_PKlPlN2at6native12_GLOBAL__N_18offset_tEEE10hipError_tPvRmT1_PNSt15iterator_traitsISZ_E10value_typeET2_T3_PNS10_IS15_E10value_typeET4_jRbjT5_S1B_jjP12ihipStream_tbEUljE_EEESW_SX_SY_S15_S19_S1B_T6_T7_T9_mT8_S1D_bDpT10_ENKUlT_T0_E_clISt17integral_constantIbLb1EES1P_IbLb0EEEEDaS1L_S1M_EUlS1L_E_NS1_11comp_targetILNS1_3genE10ELNS1_11target_archE1200ELNS1_3gpuE4ELNS1_3repE0EEENS1_30default_config_static_selectorELNS0_4arch9wavefront6targetE0EEEvSZ_,@function
_ZN7rocprim17ROCPRIM_400000_NS6detail17trampoline_kernelINS0_13select_configILj256ELj13ELNS0_17block_load_methodE3ELS4_3ELS4_3ELNS0_20block_scan_algorithmE0ELj4294967295EEENS1_25partition_config_selectorILNS1_17partition_subalgoE3EjNS0_10empty_typeEbEEZZNS1_14partition_implILS8_3ELb0ES6_jNS0_17counting_iteratorIjlEEPS9_SE_NS0_5tupleIJPjSE_EEENSF_IJSE_SE_EEES9_SG_JZNS1_25segmented_radix_sort_implINS0_14default_configELb0EPK6__halfPSL_PKlPlN2at6native12_GLOBAL__N_18offset_tEEE10hipError_tPvRmT1_PNSt15iterator_traitsISZ_E10value_typeET2_T3_PNS10_IS15_E10value_typeET4_jRbjT5_S1B_jjP12ihipStream_tbEUljE_EEESW_SX_SY_S15_S19_S1B_T6_T7_T9_mT8_S1D_bDpT10_ENKUlT_T0_E_clISt17integral_constantIbLb1EES1P_IbLb0EEEEDaS1L_S1M_EUlS1L_E_NS1_11comp_targetILNS1_3genE10ELNS1_11target_archE1200ELNS1_3gpuE4ELNS1_3repE0EEENS1_30default_config_static_selectorELNS0_4arch9wavefront6targetE0EEEvSZ_: ; @_ZN7rocprim17ROCPRIM_400000_NS6detail17trampoline_kernelINS0_13select_configILj256ELj13ELNS0_17block_load_methodE3ELS4_3ELS4_3ELNS0_20block_scan_algorithmE0ELj4294967295EEENS1_25partition_config_selectorILNS1_17partition_subalgoE3EjNS0_10empty_typeEbEEZZNS1_14partition_implILS8_3ELb0ES6_jNS0_17counting_iteratorIjlEEPS9_SE_NS0_5tupleIJPjSE_EEENSF_IJSE_SE_EEES9_SG_JZNS1_25segmented_radix_sort_implINS0_14default_configELb0EPK6__halfPSL_PKlPlN2at6native12_GLOBAL__N_18offset_tEEE10hipError_tPvRmT1_PNSt15iterator_traitsISZ_E10value_typeET2_T3_PNS10_IS15_E10value_typeET4_jRbjT5_S1B_jjP12ihipStream_tbEUljE_EEESW_SX_SY_S15_S19_S1B_T6_T7_T9_mT8_S1D_bDpT10_ENKUlT_T0_E_clISt17integral_constantIbLb1EES1P_IbLb0EEEEDaS1L_S1M_EUlS1L_E_NS1_11comp_targetILNS1_3genE10ELNS1_11target_archE1200ELNS1_3gpuE4ELNS1_3repE0EEENS1_30default_config_static_selectorELNS0_4arch9wavefront6targetE0EEEvSZ_
; %bb.0:
	.section	.rodata,"a",@progbits
	.p2align	6, 0x0
	.amdhsa_kernel _ZN7rocprim17ROCPRIM_400000_NS6detail17trampoline_kernelINS0_13select_configILj256ELj13ELNS0_17block_load_methodE3ELS4_3ELS4_3ELNS0_20block_scan_algorithmE0ELj4294967295EEENS1_25partition_config_selectorILNS1_17partition_subalgoE3EjNS0_10empty_typeEbEEZZNS1_14partition_implILS8_3ELb0ES6_jNS0_17counting_iteratorIjlEEPS9_SE_NS0_5tupleIJPjSE_EEENSF_IJSE_SE_EEES9_SG_JZNS1_25segmented_radix_sort_implINS0_14default_configELb0EPK6__halfPSL_PKlPlN2at6native12_GLOBAL__N_18offset_tEEE10hipError_tPvRmT1_PNSt15iterator_traitsISZ_E10value_typeET2_T3_PNS10_IS15_E10value_typeET4_jRbjT5_S1B_jjP12ihipStream_tbEUljE_EEESW_SX_SY_S15_S19_S1B_T6_T7_T9_mT8_S1D_bDpT10_ENKUlT_T0_E_clISt17integral_constantIbLb1EES1P_IbLb0EEEEDaS1L_S1M_EUlS1L_E_NS1_11comp_targetILNS1_3genE10ELNS1_11target_archE1200ELNS1_3gpuE4ELNS1_3repE0EEENS1_30default_config_static_selectorELNS0_4arch9wavefront6targetE0EEEvSZ_
		.amdhsa_group_segment_fixed_size 0
		.amdhsa_private_segment_fixed_size 0
		.amdhsa_kernarg_size 144
		.amdhsa_user_sgpr_count 6
		.amdhsa_user_sgpr_private_segment_buffer 1
		.amdhsa_user_sgpr_dispatch_ptr 0
		.amdhsa_user_sgpr_queue_ptr 0
		.amdhsa_user_sgpr_kernarg_segment_ptr 1
		.amdhsa_user_sgpr_dispatch_id 0
		.amdhsa_user_sgpr_flat_scratch_init 0
		.amdhsa_user_sgpr_private_segment_size 0
		.amdhsa_wavefront_size32 1
		.amdhsa_uses_dynamic_stack 0
		.amdhsa_system_sgpr_private_segment_wavefront_offset 0
		.amdhsa_system_sgpr_workgroup_id_x 1
		.amdhsa_system_sgpr_workgroup_id_y 0
		.amdhsa_system_sgpr_workgroup_id_z 0
		.amdhsa_system_sgpr_workgroup_info 0
		.amdhsa_system_vgpr_workitem_id 0
		.amdhsa_next_free_vgpr 1
		.amdhsa_next_free_sgpr 1
		.amdhsa_reserve_vcc 0
		.amdhsa_reserve_flat_scratch 0
		.amdhsa_float_round_mode_32 0
		.amdhsa_float_round_mode_16_64 0
		.amdhsa_float_denorm_mode_32 3
		.amdhsa_float_denorm_mode_16_64 3
		.amdhsa_dx10_clamp 1
		.amdhsa_ieee_mode 1
		.amdhsa_fp16_overflow 0
		.amdhsa_workgroup_processor_mode 1
		.amdhsa_memory_ordered 1
		.amdhsa_forward_progress 1
		.amdhsa_shared_vgpr_count 0
		.amdhsa_exception_fp_ieee_invalid_op 0
		.amdhsa_exception_fp_denorm_src 0
		.amdhsa_exception_fp_ieee_div_zero 0
		.amdhsa_exception_fp_ieee_overflow 0
		.amdhsa_exception_fp_ieee_underflow 0
		.amdhsa_exception_fp_ieee_inexact 0
		.amdhsa_exception_int_div_zero 0
	.end_amdhsa_kernel
	.section	.text._ZN7rocprim17ROCPRIM_400000_NS6detail17trampoline_kernelINS0_13select_configILj256ELj13ELNS0_17block_load_methodE3ELS4_3ELS4_3ELNS0_20block_scan_algorithmE0ELj4294967295EEENS1_25partition_config_selectorILNS1_17partition_subalgoE3EjNS0_10empty_typeEbEEZZNS1_14partition_implILS8_3ELb0ES6_jNS0_17counting_iteratorIjlEEPS9_SE_NS0_5tupleIJPjSE_EEENSF_IJSE_SE_EEES9_SG_JZNS1_25segmented_radix_sort_implINS0_14default_configELb0EPK6__halfPSL_PKlPlN2at6native12_GLOBAL__N_18offset_tEEE10hipError_tPvRmT1_PNSt15iterator_traitsISZ_E10value_typeET2_T3_PNS10_IS15_E10value_typeET4_jRbjT5_S1B_jjP12ihipStream_tbEUljE_EEESW_SX_SY_S15_S19_S1B_T6_T7_T9_mT8_S1D_bDpT10_ENKUlT_T0_E_clISt17integral_constantIbLb1EES1P_IbLb0EEEEDaS1L_S1M_EUlS1L_E_NS1_11comp_targetILNS1_3genE10ELNS1_11target_archE1200ELNS1_3gpuE4ELNS1_3repE0EEENS1_30default_config_static_selectorELNS0_4arch9wavefront6targetE0EEEvSZ_,"axG",@progbits,_ZN7rocprim17ROCPRIM_400000_NS6detail17trampoline_kernelINS0_13select_configILj256ELj13ELNS0_17block_load_methodE3ELS4_3ELS4_3ELNS0_20block_scan_algorithmE0ELj4294967295EEENS1_25partition_config_selectorILNS1_17partition_subalgoE3EjNS0_10empty_typeEbEEZZNS1_14partition_implILS8_3ELb0ES6_jNS0_17counting_iteratorIjlEEPS9_SE_NS0_5tupleIJPjSE_EEENSF_IJSE_SE_EEES9_SG_JZNS1_25segmented_radix_sort_implINS0_14default_configELb0EPK6__halfPSL_PKlPlN2at6native12_GLOBAL__N_18offset_tEEE10hipError_tPvRmT1_PNSt15iterator_traitsISZ_E10value_typeET2_T3_PNS10_IS15_E10value_typeET4_jRbjT5_S1B_jjP12ihipStream_tbEUljE_EEESW_SX_SY_S15_S19_S1B_T6_T7_T9_mT8_S1D_bDpT10_ENKUlT_T0_E_clISt17integral_constantIbLb1EES1P_IbLb0EEEEDaS1L_S1M_EUlS1L_E_NS1_11comp_targetILNS1_3genE10ELNS1_11target_archE1200ELNS1_3gpuE4ELNS1_3repE0EEENS1_30default_config_static_selectorELNS0_4arch9wavefront6targetE0EEEvSZ_,comdat
.Lfunc_end1821:
	.size	_ZN7rocprim17ROCPRIM_400000_NS6detail17trampoline_kernelINS0_13select_configILj256ELj13ELNS0_17block_load_methodE3ELS4_3ELS4_3ELNS0_20block_scan_algorithmE0ELj4294967295EEENS1_25partition_config_selectorILNS1_17partition_subalgoE3EjNS0_10empty_typeEbEEZZNS1_14partition_implILS8_3ELb0ES6_jNS0_17counting_iteratorIjlEEPS9_SE_NS0_5tupleIJPjSE_EEENSF_IJSE_SE_EEES9_SG_JZNS1_25segmented_radix_sort_implINS0_14default_configELb0EPK6__halfPSL_PKlPlN2at6native12_GLOBAL__N_18offset_tEEE10hipError_tPvRmT1_PNSt15iterator_traitsISZ_E10value_typeET2_T3_PNS10_IS15_E10value_typeET4_jRbjT5_S1B_jjP12ihipStream_tbEUljE_EEESW_SX_SY_S15_S19_S1B_T6_T7_T9_mT8_S1D_bDpT10_ENKUlT_T0_E_clISt17integral_constantIbLb1EES1P_IbLb0EEEEDaS1L_S1M_EUlS1L_E_NS1_11comp_targetILNS1_3genE10ELNS1_11target_archE1200ELNS1_3gpuE4ELNS1_3repE0EEENS1_30default_config_static_selectorELNS0_4arch9wavefront6targetE0EEEvSZ_, .Lfunc_end1821-_ZN7rocprim17ROCPRIM_400000_NS6detail17trampoline_kernelINS0_13select_configILj256ELj13ELNS0_17block_load_methodE3ELS4_3ELS4_3ELNS0_20block_scan_algorithmE0ELj4294967295EEENS1_25partition_config_selectorILNS1_17partition_subalgoE3EjNS0_10empty_typeEbEEZZNS1_14partition_implILS8_3ELb0ES6_jNS0_17counting_iteratorIjlEEPS9_SE_NS0_5tupleIJPjSE_EEENSF_IJSE_SE_EEES9_SG_JZNS1_25segmented_radix_sort_implINS0_14default_configELb0EPK6__halfPSL_PKlPlN2at6native12_GLOBAL__N_18offset_tEEE10hipError_tPvRmT1_PNSt15iterator_traitsISZ_E10value_typeET2_T3_PNS10_IS15_E10value_typeET4_jRbjT5_S1B_jjP12ihipStream_tbEUljE_EEESW_SX_SY_S15_S19_S1B_T6_T7_T9_mT8_S1D_bDpT10_ENKUlT_T0_E_clISt17integral_constantIbLb1EES1P_IbLb0EEEEDaS1L_S1M_EUlS1L_E_NS1_11comp_targetILNS1_3genE10ELNS1_11target_archE1200ELNS1_3gpuE4ELNS1_3repE0EEENS1_30default_config_static_selectorELNS0_4arch9wavefront6targetE0EEEvSZ_
                                        ; -- End function
	.set _ZN7rocprim17ROCPRIM_400000_NS6detail17trampoline_kernelINS0_13select_configILj256ELj13ELNS0_17block_load_methodE3ELS4_3ELS4_3ELNS0_20block_scan_algorithmE0ELj4294967295EEENS1_25partition_config_selectorILNS1_17partition_subalgoE3EjNS0_10empty_typeEbEEZZNS1_14partition_implILS8_3ELb0ES6_jNS0_17counting_iteratorIjlEEPS9_SE_NS0_5tupleIJPjSE_EEENSF_IJSE_SE_EEES9_SG_JZNS1_25segmented_radix_sort_implINS0_14default_configELb0EPK6__halfPSL_PKlPlN2at6native12_GLOBAL__N_18offset_tEEE10hipError_tPvRmT1_PNSt15iterator_traitsISZ_E10value_typeET2_T3_PNS10_IS15_E10value_typeET4_jRbjT5_S1B_jjP12ihipStream_tbEUljE_EEESW_SX_SY_S15_S19_S1B_T6_T7_T9_mT8_S1D_bDpT10_ENKUlT_T0_E_clISt17integral_constantIbLb1EES1P_IbLb0EEEEDaS1L_S1M_EUlS1L_E_NS1_11comp_targetILNS1_3genE10ELNS1_11target_archE1200ELNS1_3gpuE4ELNS1_3repE0EEENS1_30default_config_static_selectorELNS0_4arch9wavefront6targetE0EEEvSZ_.num_vgpr, 0
	.set _ZN7rocprim17ROCPRIM_400000_NS6detail17trampoline_kernelINS0_13select_configILj256ELj13ELNS0_17block_load_methodE3ELS4_3ELS4_3ELNS0_20block_scan_algorithmE0ELj4294967295EEENS1_25partition_config_selectorILNS1_17partition_subalgoE3EjNS0_10empty_typeEbEEZZNS1_14partition_implILS8_3ELb0ES6_jNS0_17counting_iteratorIjlEEPS9_SE_NS0_5tupleIJPjSE_EEENSF_IJSE_SE_EEES9_SG_JZNS1_25segmented_radix_sort_implINS0_14default_configELb0EPK6__halfPSL_PKlPlN2at6native12_GLOBAL__N_18offset_tEEE10hipError_tPvRmT1_PNSt15iterator_traitsISZ_E10value_typeET2_T3_PNS10_IS15_E10value_typeET4_jRbjT5_S1B_jjP12ihipStream_tbEUljE_EEESW_SX_SY_S15_S19_S1B_T6_T7_T9_mT8_S1D_bDpT10_ENKUlT_T0_E_clISt17integral_constantIbLb1EES1P_IbLb0EEEEDaS1L_S1M_EUlS1L_E_NS1_11comp_targetILNS1_3genE10ELNS1_11target_archE1200ELNS1_3gpuE4ELNS1_3repE0EEENS1_30default_config_static_selectorELNS0_4arch9wavefront6targetE0EEEvSZ_.num_agpr, 0
	.set _ZN7rocprim17ROCPRIM_400000_NS6detail17trampoline_kernelINS0_13select_configILj256ELj13ELNS0_17block_load_methodE3ELS4_3ELS4_3ELNS0_20block_scan_algorithmE0ELj4294967295EEENS1_25partition_config_selectorILNS1_17partition_subalgoE3EjNS0_10empty_typeEbEEZZNS1_14partition_implILS8_3ELb0ES6_jNS0_17counting_iteratorIjlEEPS9_SE_NS0_5tupleIJPjSE_EEENSF_IJSE_SE_EEES9_SG_JZNS1_25segmented_radix_sort_implINS0_14default_configELb0EPK6__halfPSL_PKlPlN2at6native12_GLOBAL__N_18offset_tEEE10hipError_tPvRmT1_PNSt15iterator_traitsISZ_E10value_typeET2_T3_PNS10_IS15_E10value_typeET4_jRbjT5_S1B_jjP12ihipStream_tbEUljE_EEESW_SX_SY_S15_S19_S1B_T6_T7_T9_mT8_S1D_bDpT10_ENKUlT_T0_E_clISt17integral_constantIbLb1EES1P_IbLb0EEEEDaS1L_S1M_EUlS1L_E_NS1_11comp_targetILNS1_3genE10ELNS1_11target_archE1200ELNS1_3gpuE4ELNS1_3repE0EEENS1_30default_config_static_selectorELNS0_4arch9wavefront6targetE0EEEvSZ_.numbered_sgpr, 0
	.set _ZN7rocprim17ROCPRIM_400000_NS6detail17trampoline_kernelINS0_13select_configILj256ELj13ELNS0_17block_load_methodE3ELS4_3ELS4_3ELNS0_20block_scan_algorithmE0ELj4294967295EEENS1_25partition_config_selectorILNS1_17partition_subalgoE3EjNS0_10empty_typeEbEEZZNS1_14partition_implILS8_3ELb0ES6_jNS0_17counting_iteratorIjlEEPS9_SE_NS0_5tupleIJPjSE_EEENSF_IJSE_SE_EEES9_SG_JZNS1_25segmented_radix_sort_implINS0_14default_configELb0EPK6__halfPSL_PKlPlN2at6native12_GLOBAL__N_18offset_tEEE10hipError_tPvRmT1_PNSt15iterator_traitsISZ_E10value_typeET2_T3_PNS10_IS15_E10value_typeET4_jRbjT5_S1B_jjP12ihipStream_tbEUljE_EEESW_SX_SY_S15_S19_S1B_T6_T7_T9_mT8_S1D_bDpT10_ENKUlT_T0_E_clISt17integral_constantIbLb1EES1P_IbLb0EEEEDaS1L_S1M_EUlS1L_E_NS1_11comp_targetILNS1_3genE10ELNS1_11target_archE1200ELNS1_3gpuE4ELNS1_3repE0EEENS1_30default_config_static_selectorELNS0_4arch9wavefront6targetE0EEEvSZ_.num_named_barrier, 0
	.set _ZN7rocprim17ROCPRIM_400000_NS6detail17trampoline_kernelINS0_13select_configILj256ELj13ELNS0_17block_load_methodE3ELS4_3ELS4_3ELNS0_20block_scan_algorithmE0ELj4294967295EEENS1_25partition_config_selectorILNS1_17partition_subalgoE3EjNS0_10empty_typeEbEEZZNS1_14partition_implILS8_3ELb0ES6_jNS0_17counting_iteratorIjlEEPS9_SE_NS0_5tupleIJPjSE_EEENSF_IJSE_SE_EEES9_SG_JZNS1_25segmented_radix_sort_implINS0_14default_configELb0EPK6__halfPSL_PKlPlN2at6native12_GLOBAL__N_18offset_tEEE10hipError_tPvRmT1_PNSt15iterator_traitsISZ_E10value_typeET2_T3_PNS10_IS15_E10value_typeET4_jRbjT5_S1B_jjP12ihipStream_tbEUljE_EEESW_SX_SY_S15_S19_S1B_T6_T7_T9_mT8_S1D_bDpT10_ENKUlT_T0_E_clISt17integral_constantIbLb1EES1P_IbLb0EEEEDaS1L_S1M_EUlS1L_E_NS1_11comp_targetILNS1_3genE10ELNS1_11target_archE1200ELNS1_3gpuE4ELNS1_3repE0EEENS1_30default_config_static_selectorELNS0_4arch9wavefront6targetE0EEEvSZ_.private_seg_size, 0
	.set _ZN7rocprim17ROCPRIM_400000_NS6detail17trampoline_kernelINS0_13select_configILj256ELj13ELNS0_17block_load_methodE3ELS4_3ELS4_3ELNS0_20block_scan_algorithmE0ELj4294967295EEENS1_25partition_config_selectorILNS1_17partition_subalgoE3EjNS0_10empty_typeEbEEZZNS1_14partition_implILS8_3ELb0ES6_jNS0_17counting_iteratorIjlEEPS9_SE_NS0_5tupleIJPjSE_EEENSF_IJSE_SE_EEES9_SG_JZNS1_25segmented_radix_sort_implINS0_14default_configELb0EPK6__halfPSL_PKlPlN2at6native12_GLOBAL__N_18offset_tEEE10hipError_tPvRmT1_PNSt15iterator_traitsISZ_E10value_typeET2_T3_PNS10_IS15_E10value_typeET4_jRbjT5_S1B_jjP12ihipStream_tbEUljE_EEESW_SX_SY_S15_S19_S1B_T6_T7_T9_mT8_S1D_bDpT10_ENKUlT_T0_E_clISt17integral_constantIbLb1EES1P_IbLb0EEEEDaS1L_S1M_EUlS1L_E_NS1_11comp_targetILNS1_3genE10ELNS1_11target_archE1200ELNS1_3gpuE4ELNS1_3repE0EEENS1_30default_config_static_selectorELNS0_4arch9wavefront6targetE0EEEvSZ_.uses_vcc, 0
	.set _ZN7rocprim17ROCPRIM_400000_NS6detail17trampoline_kernelINS0_13select_configILj256ELj13ELNS0_17block_load_methodE3ELS4_3ELS4_3ELNS0_20block_scan_algorithmE0ELj4294967295EEENS1_25partition_config_selectorILNS1_17partition_subalgoE3EjNS0_10empty_typeEbEEZZNS1_14partition_implILS8_3ELb0ES6_jNS0_17counting_iteratorIjlEEPS9_SE_NS0_5tupleIJPjSE_EEENSF_IJSE_SE_EEES9_SG_JZNS1_25segmented_radix_sort_implINS0_14default_configELb0EPK6__halfPSL_PKlPlN2at6native12_GLOBAL__N_18offset_tEEE10hipError_tPvRmT1_PNSt15iterator_traitsISZ_E10value_typeET2_T3_PNS10_IS15_E10value_typeET4_jRbjT5_S1B_jjP12ihipStream_tbEUljE_EEESW_SX_SY_S15_S19_S1B_T6_T7_T9_mT8_S1D_bDpT10_ENKUlT_T0_E_clISt17integral_constantIbLb1EES1P_IbLb0EEEEDaS1L_S1M_EUlS1L_E_NS1_11comp_targetILNS1_3genE10ELNS1_11target_archE1200ELNS1_3gpuE4ELNS1_3repE0EEENS1_30default_config_static_selectorELNS0_4arch9wavefront6targetE0EEEvSZ_.uses_flat_scratch, 0
	.set _ZN7rocprim17ROCPRIM_400000_NS6detail17trampoline_kernelINS0_13select_configILj256ELj13ELNS0_17block_load_methodE3ELS4_3ELS4_3ELNS0_20block_scan_algorithmE0ELj4294967295EEENS1_25partition_config_selectorILNS1_17partition_subalgoE3EjNS0_10empty_typeEbEEZZNS1_14partition_implILS8_3ELb0ES6_jNS0_17counting_iteratorIjlEEPS9_SE_NS0_5tupleIJPjSE_EEENSF_IJSE_SE_EEES9_SG_JZNS1_25segmented_radix_sort_implINS0_14default_configELb0EPK6__halfPSL_PKlPlN2at6native12_GLOBAL__N_18offset_tEEE10hipError_tPvRmT1_PNSt15iterator_traitsISZ_E10value_typeET2_T3_PNS10_IS15_E10value_typeET4_jRbjT5_S1B_jjP12ihipStream_tbEUljE_EEESW_SX_SY_S15_S19_S1B_T6_T7_T9_mT8_S1D_bDpT10_ENKUlT_T0_E_clISt17integral_constantIbLb1EES1P_IbLb0EEEEDaS1L_S1M_EUlS1L_E_NS1_11comp_targetILNS1_3genE10ELNS1_11target_archE1200ELNS1_3gpuE4ELNS1_3repE0EEENS1_30default_config_static_selectorELNS0_4arch9wavefront6targetE0EEEvSZ_.has_dyn_sized_stack, 0
	.set _ZN7rocprim17ROCPRIM_400000_NS6detail17trampoline_kernelINS0_13select_configILj256ELj13ELNS0_17block_load_methodE3ELS4_3ELS4_3ELNS0_20block_scan_algorithmE0ELj4294967295EEENS1_25partition_config_selectorILNS1_17partition_subalgoE3EjNS0_10empty_typeEbEEZZNS1_14partition_implILS8_3ELb0ES6_jNS0_17counting_iteratorIjlEEPS9_SE_NS0_5tupleIJPjSE_EEENSF_IJSE_SE_EEES9_SG_JZNS1_25segmented_radix_sort_implINS0_14default_configELb0EPK6__halfPSL_PKlPlN2at6native12_GLOBAL__N_18offset_tEEE10hipError_tPvRmT1_PNSt15iterator_traitsISZ_E10value_typeET2_T3_PNS10_IS15_E10value_typeET4_jRbjT5_S1B_jjP12ihipStream_tbEUljE_EEESW_SX_SY_S15_S19_S1B_T6_T7_T9_mT8_S1D_bDpT10_ENKUlT_T0_E_clISt17integral_constantIbLb1EES1P_IbLb0EEEEDaS1L_S1M_EUlS1L_E_NS1_11comp_targetILNS1_3genE10ELNS1_11target_archE1200ELNS1_3gpuE4ELNS1_3repE0EEENS1_30default_config_static_selectorELNS0_4arch9wavefront6targetE0EEEvSZ_.has_recursion, 0
	.set _ZN7rocprim17ROCPRIM_400000_NS6detail17trampoline_kernelINS0_13select_configILj256ELj13ELNS0_17block_load_methodE3ELS4_3ELS4_3ELNS0_20block_scan_algorithmE0ELj4294967295EEENS1_25partition_config_selectorILNS1_17partition_subalgoE3EjNS0_10empty_typeEbEEZZNS1_14partition_implILS8_3ELb0ES6_jNS0_17counting_iteratorIjlEEPS9_SE_NS0_5tupleIJPjSE_EEENSF_IJSE_SE_EEES9_SG_JZNS1_25segmented_radix_sort_implINS0_14default_configELb0EPK6__halfPSL_PKlPlN2at6native12_GLOBAL__N_18offset_tEEE10hipError_tPvRmT1_PNSt15iterator_traitsISZ_E10value_typeET2_T3_PNS10_IS15_E10value_typeET4_jRbjT5_S1B_jjP12ihipStream_tbEUljE_EEESW_SX_SY_S15_S19_S1B_T6_T7_T9_mT8_S1D_bDpT10_ENKUlT_T0_E_clISt17integral_constantIbLb1EES1P_IbLb0EEEEDaS1L_S1M_EUlS1L_E_NS1_11comp_targetILNS1_3genE10ELNS1_11target_archE1200ELNS1_3gpuE4ELNS1_3repE0EEENS1_30default_config_static_selectorELNS0_4arch9wavefront6targetE0EEEvSZ_.has_indirect_call, 0
	.section	.AMDGPU.csdata,"",@progbits
; Kernel info:
; codeLenInByte = 0
; TotalNumSgprs: 0
; NumVgprs: 0
; ScratchSize: 0
; MemoryBound: 0
; FloatMode: 240
; IeeeMode: 1
; LDSByteSize: 0 bytes/workgroup (compile time only)
; SGPRBlocks: 0
; VGPRBlocks: 0
; NumSGPRsForWavesPerEU: 1
; NumVGPRsForWavesPerEU: 1
; Occupancy: 16
; WaveLimiterHint : 0
; COMPUTE_PGM_RSRC2:SCRATCH_EN: 0
; COMPUTE_PGM_RSRC2:USER_SGPR: 6
; COMPUTE_PGM_RSRC2:TRAP_HANDLER: 0
; COMPUTE_PGM_RSRC2:TGID_X_EN: 1
; COMPUTE_PGM_RSRC2:TGID_Y_EN: 0
; COMPUTE_PGM_RSRC2:TGID_Z_EN: 0
; COMPUTE_PGM_RSRC2:TIDIG_COMP_CNT: 0
	.section	.text._ZN7rocprim17ROCPRIM_400000_NS6detail17trampoline_kernelINS0_13select_configILj256ELj13ELNS0_17block_load_methodE3ELS4_3ELS4_3ELNS0_20block_scan_algorithmE0ELj4294967295EEENS1_25partition_config_selectorILNS1_17partition_subalgoE3EjNS0_10empty_typeEbEEZZNS1_14partition_implILS8_3ELb0ES6_jNS0_17counting_iteratorIjlEEPS9_SE_NS0_5tupleIJPjSE_EEENSF_IJSE_SE_EEES9_SG_JZNS1_25segmented_radix_sort_implINS0_14default_configELb0EPK6__halfPSL_PKlPlN2at6native12_GLOBAL__N_18offset_tEEE10hipError_tPvRmT1_PNSt15iterator_traitsISZ_E10value_typeET2_T3_PNS10_IS15_E10value_typeET4_jRbjT5_S1B_jjP12ihipStream_tbEUljE_EEESW_SX_SY_S15_S19_S1B_T6_T7_T9_mT8_S1D_bDpT10_ENKUlT_T0_E_clISt17integral_constantIbLb1EES1P_IbLb0EEEEDaS1L_S1M_EUlS1L_E_NS1_11comp_targetILNS1_3genE9ELNS1_11target_archE1100ELNS1_3gpuE3ELNS1_3repE0EEENS1_30default_config_static_selectorELNS0_4arch9wavefront6targetE0EEEvSZ_,"axG",@progbits,_ZN7rocprim17ROCPRIM_400000_NS6detail17trampoline_kernelINS0_13select_configILj256ELj13ELNS0_17block_load_methodE3ELS4_3ELS4_3ELNS0_20block_scan_algorithmE0ELj4294967295EEENS1_25partition_config_selectorILNS1_17partition_subalgoE3EjNS0_10empty_typeEbEEZZNS1_14partition_implILS8_3ELb0ES6_jNS0_17counting_iteratorIjlEEPS9_SE_NS0_5tupleIJPjSE_EEENSF_IJSE_SE_EEES9_SG_JZNS1_25segmented_radix_sort_implINS0_14default_configELb0EPK6__halfPSL_PKlPlN2at6native12_GLOBAL__N_18offset_tEEE10hipError_tPvRmT1_PNSt15iterator_traitsISZ_E10value_typeET2_T3_PNS10_IS15_E10value_typeET4_jRbjT5_S1B_jjP12ihipStream_tbEUljE_EEESW_SX_SY_S15_S19_S1B_T6_T7_T9_mT8_S1D_bDpT10_ENKUlT_T0_E_clISt17integral_constantIbLb1EES1P_IbLb0EEEEDaS1L_S1M_EUlS1L_E_NS1_11comp_targetILNS1_3genE9ELNS1_11target_archE1100ELNS1_3gpuE3ELNS1_3repE0EEENS1_30default_config_static_selectorELNS0_4arch9wavefront6targetE0EEEvSZ_,comdat
	.globl	_ZN7rocprim17ROCPRIM_400000_NS6detail17trampoline_kernelINS0_13select_configILj256ELj13ELNS0_17block_load_methodE3ELS4_3ELS4_3ELNS0_20block_scan_algorithmE0ELj4294967295EEENS1_25partition_config_selectorILNS1_17partition_subalgoE3EjNS0_10empty_typeEbEEZZNS1_14partition_implILS8_3ELb0ES6_jNS0_17counting_iteratorIjlEEPS9_SE_NS0_5tupleIJPjSE_EEENSF_IJSE_SE_EEES9_SG_JZNS1_25segmented_radix_sort_implINS0_14default_configELb0EPK6__halfPSL_PKlPlN2at6native12_GLOBAL__N_18offset_tEEE10hipError_tPvRmT1_PNSt15iterator_traitsISZ_E10value_typeET2_T3_PNS10_IS15_E10value_typeET4_jRbjT5_S1B_jjP12ihipStream_tbEUljE_EEESW_SX_SY_S15_S19_S1B_T6_T7_T9_mT8_S1D_bDpT10_ENKUlT_T0_E_clISt17integral_constantIbLb1EES1P_IbLb0EEEEDaS1L_S1M_EUlS1L_E_NS1_11comp_targetILNS1_3genE9ELNS1_11target_archE1100ELNS1_3gpuE3ELNS1_3repE0EEENS1_30default_config_static_selectorELNS0_4arch9wavefront6targetE0EEEvSZ_ ; -- Begin function _ZN7rocprim17ROCPRIM_400000_NS6detail17trampoline_kernelINS0_13select_configILj256ELj13ELNS0_17block_load_methodE3ELS4_3ELS4_3ELNS0_20block_scan_algorithmE0ELj4294967295EEENS1_25partition_config_selectorILNS1_17partition_subalgoE3EjNS0_10empty_typeEbEEZZNS1_14partition_implILS8_3ELb0ES6_jNS0_17counting_iteratorIjlEEPS9_SE_NS0_5tupleIJPjSE_EEENSF_IJSE_SE_EEES9_SG_JZNS1_25segmented_radix_sort_implINS0_14default_configELb0EPK6__halfPSL_PKlPlN2at6native12_GLOBAL__N_18offset_tEEE10hipError_tPvRmT1_PNSt15iterator_traitsISZ_E10value_typeET2_T3_PNS10_IS15_E10value_typeET4_jRbjT5_S1B_jjP12ihipStream_tbEUljE_EEESW_SX_SY_S15_S19_S1B_T6_T7_T9_mT8_S1D_bDpT10_ENKUlT_T0_E_clISt17integral_constantIbLb1EES1P_IbLb0EEEEDaS1L_S1M_EUlS1L_E_NS1_11comp_targetILNS1_3genE9ELNS1_11target_archE1100ELNS1_3gpuE3ELNS1_3repE0EEENS1_30default_config_static_selectorELNS0_4arch9wavefront6targetE0EEEvSZ_
	.p2align	8
	.type	_ZN7rocprim17ROCPRIM_400000_NS6detail17trampoline_kernelINS0_13select_configILj256ELj13ELNS0_17block_load_methodE3ELS4_3ELS4_3ELNS0_20block_scan_algorithmE0ELj4294967295EEENS1_25partition_config_selectorILNS1_17partition_subalgoE3EjNS0_10empty_typeEbEEZZNS1_14partition_implILS8_3ELb0ES6_jNS0_17counting_iteratorIjlEEPS9_SE_NS0_5tupleIJPjSE_EEENSF_IJSE_SE_EEES9_SG_JZNS1_25segmented_radix_sort_implINS0_14default_configELb0EPK6__halfPSL_PKlPlN2at6native12_GLOBAL__N_18offset_tEEE10hipError_tPvRmT1_PNSt15iterator_traitsISZ_E10value_typeET2_T3_PNS10_IS15_E10value_typeET4_jRbjT5_S1B_jjP12ihipStream_tbEUljE_EEESW_SX_SY_S15_S19_S1B_T6_T7_T9_mT8_S1D_bDpT10_ENKUlT_T0_E_clISt17integral_constantIbLb1EES1P_IbLb0EEEEDaS1L_S1M_EUlS1L_E_NS1_11comp_targetILNS1_3genE9ELNS1_11target_archE1100ELNS1_3gpuE3ELNS1_3repE0EEENS1_30default_config_static_selectorELNS0_4arch9wavefront6targetE0EEEvSZ_,@function
_ZN7rocprim17ROCPRIM_400000_NS6detail17trampoline_kernelINS0_13select_configILj256ELj13ELNS0_17block_load_methodE3ELS4_3ELS4_3ELNS0_20block_scan_algorithmE0ELj4294967295EEENS1_25partition_config_selectorILNS1_17partition_subalgoE3EjNS0_10empty_typeEbEEZZNS1_14partition_implILS8_3ELb0ES6_jNS0_17counting_iteratorIjlEEPS9_SE_NS0_5tupleIJPjSE_EEENSF_IJSE_SE_EEES9_SG_JZNS1_25segmented_radix_sort_implINS0_14default_configELb0EPK6__halfPSL_PKlPlN2at6native12_GLOBAL__N_18offset_tEEE10hipError_tPvRmT1_PNSt15iterator_traitsISZ_E10value_typeET2_T3_PNS10_IS15_E10value_typeET4_jRbjT5_S1B_jjP12ihipStream_tbEUljE_EEESW_SX_SY_S15_S19_S1B_T6_T7_T9_mT8_S1D_bDpT10_ENKUlT_T0_E_clISt17integral_constantIbLb1EES1P_IbLb0EEEEDaS1L_S1M_EUlS1L_E_NS1_11comp_targetILNS1_3genE9ELNS1_11target_archE1100ELNS1_3gpuE3ELNS1_3repE0EEENS1_30default_config_static_selectorELNS0_4arch9wavefront6targetE0EEEvSZ_: ; @_ZN7rocprim17ROCPRIM_400000_NS6detail17trampoline_kernelINS0_13select_configILj256ELj13ELNS0_17block_load_methodE3ELS4_3ELS4_3ELNS0_20block_scan_algorithmE0ELj4294967295EEENS1_25partition_config_selectorILNS1_17partition_subalgoE3EjNS0_10empty_typeEbEEZZNS1_14partition_implILS8_3ELb0ES6_jNS0_17counting_iteratorIjlEEPS9_SE_NS0_5tupleIJPjSE_EEENSF_IJSE_SE_EEES9_SG_JZNS1_25segmented_radix_sort_implINS0_14default_configELb0EPK6__halfPSL_PKlPlN2at6native12_GLOBAL__N_18offset_tEEE10hipError_tPvRmT1_PNSt15iterator_traitsISZ_E10value_typeET2_T3_PNS10_IS15_E10value_typeET4_jRbjT5_S1B_jjP12ihipStream_tbEUljE_EEESW_SX_SY_S15_S19_S1B_T6_T7_T9_mT8_S1D_bDpT10_ENKUlT_T0_E_clISt17integral_constantIbLb1EES1P_IbLb0EEEEDaS1L_S1M_EUlS1L_E_NS1_11comp_targetILNS1_3genE9ELNS1_11target_archE1100ELNS1_3gpuE3ELNS1_3repE0EEENS1_30default_config_static_selectorELNS0_4arch9wavefront6targetE0EEEvSZ_
; %bb.0:
	.section	.rodata,"a",@progbits
	.p2align	6, 0x0
	.amdhsa_kernel _ZN7rocprim17ROCPRIM_400000_NS6detail17trampoline_kernelINS0_13select_configILj256ELj13ELNS0_17block_load_methodE3ELS4_3ELS4_3ELNS0_20block_scan_algorithmE0ELj4294967295EEENS1_25partition_config_selectorILNS1_17partition_subalgoE3EjNS0_10empty_typeEbEEZZNS1_14partition_implILS8_3ELb0ES6_jNS0_17counting_iteratorIjlEEPS9_SE_NS0_5tupleIJPjSE_EEENSF_IJSE_SE_EEES9_SG_JZNS1_25segmented_radix_sort_implINS0_14default_configELb0EPK6__halfPSL_PKlPlN2at6native12_GLOBAL__N_18offset_tEEE10hipError_tPvRmT1_PNSt15iterator_traitsISZ_E10value_typeET2_T3_PNS10_IS15_E10value_typeET4_jRbjT5_S1B_jjP12ihipStream_tbEUljE_EEESW_SX_SY_S15_S19_S1B_T6_T7_T9_mT8_S1D_bDpT10_ENKUlT_T0_E_clISt17integral_constantIbLb1EES1P_IbLb0EEEEDaS1L_S1M_EUlS1L_E_NS1_11comp_targetILNS1_3genE9ELNS1_11target_archE1100ELNS1_3gpuE3ELNS1_3repE0EEENS1_30default_config_static_selectorELNS0_4arch9wavefront6targetE0EEEvSZ_
		.amdhsa_group_segment_fixed_size 0
		.amdhsa_private_segment_fixed_size 0
		.amdhsa_kernarg_size 144
		.amdhsa_user_sgpr_count 6
		.amdhsa_user_sgpr_private_segment_buffer 1
		.amdhsa_user_sgpr_dispatch_ptr 0
		.amdhsa_user_sgpr_queue_ptr 0
		.amdhsa_user_sgpr_kernarg_segment_ptr 1
		.amdhsa_user_sgpr_dispatch_id 0
		.amdhsa_user_sgpr_flat_scratch_init 0
		.amdhsa_user_sgpr_private_segment_size 0
		.amdhsa_wavefront_size32 1
		.amdhsa_uses_dynamic_stack 0
		.amdhsa_system_sgpr_private_segment_wavefront_offset 0
		.amdhsa_system_sgpr_workgroup_id_x 1
		.amdhsa_system_sgpr_workgroup_id_y 0
		.amdhsa_system_sgpr_workgroup_id_z 0
		.amdhsa_system_sgpr_workgroup_info 0
		.amdhsa_system_vgpr_workitem_id 0
		.amdhsa_next_free_vgpr 1
		.amdhsa_next_free_sgpr 1
		.amdhsa_reserve_vcc 0
		.amdhsa_reserve_flat_scratch 0
		.amdhsa_float_round_mode_32 0
		.amdhsa_float_round_mode_16_64 0
		.amdhsa_float_denorm_mode_32 3
		.amdhsa_float_denorm_mode_16_64 3
		.amdhsa_dx10_clamp 1
		.amdhsa_ieee_mode 1
		.amdhsa_fp16_overflow 0
		.amdhsa_workgroup_processor_mode 1
		.amdhsa_memory_ordered 1
		.amdhsa_forward_progress 1
		.amdhsa_shared_vgpr_count 0
		.amdhsa_exception_fp_ieee_invalid_op 0
		.amdhsa_exception_fp_denorm_src 0
		.amdhsa_exception_fp_ieee_div_zero 0
		.amdhsa_exception_fp_ieee_overflow 0
		.amdhsa_exception_fp_ieee_underflow 0
		.amdhsa_exception_fp_ieee_inexact 0
		.amdhsa_exception_int_div_zero 0
	.end_amdhsa_kernel
	.section	.text._ZN7rocprim17ROCPRIM_400000_NS6detail17trampoline_kernelINS0_13select_configILj256ELj13ELNS0_17block_load_methodE3ELS4_3ELS4_3ELNS0_20block_scan_algorithmE0ELj4294967295EEENS1_25partition_config_selectorILNS1_17partition_subalgoE3EjNS0_10empty_typeEbEEZZNS1_14partition_implILS8_3ELb0ES6_jNS0_17counting_iteratorIjlEEPS9_SE_NS0_5tupleIJPjSE_EEENSF_IJSE_SE_EEES9_SG_JZNS1_25segmented_radix_sort_implINS0_14default_configELb0EPK6__halfPSL_PKlPlN2at6native12_GLOBAL__N_18offset_tEEE10hipError_tPvRmT1_PNSt15iterator_traitsISZ_E10value_typeET2_T3_PNS10_IS15_E10value_typeET4_jRbjT5_S1B_jjP12ihipStream_tbEUljE_EEESW_SX_SY_S15_S19_S1B_T6_T7_T9_mT8_S1D_bDpT10_ENKUlT_T0_E_clISt17integral_constantIbLb1EES1P_IbLb0EEEEDaS1L_S1M_EUlS1L_E_NS1_11comp_targetILNS1_3genE9ELNS1_11target_archE1100ELNS1_3gpuE3ELNS1_3repE0EEENS1_30default_config_static_selectorELNS0_4arch9wavefront6targetE0EEEvSZ_,"axG",@progbits,_ZN7rocprim17ROCPRIM_400000_NS6detail17trampoline_kernelINS0_13select_configILj256ELj13ELNS0_17block_load_methodE3ELS4_3ELS4_3ELNS0_20block_scan_algorithmE0ELj4294967295EEENS1_25partition_config_selectorILNS1_17partition_subalgoE3EjNS0_10empty_typeEbEEZZNS1_14partition_implILS8_3ELb0ES6_jNS0_17counting_iteratorIjlEEPS9_SE_NS0_5tupleIJPjSE_EEENSF_IJSE_SE_EEES9_SG_JZNS1_25segmented_radix_sort_implINS0_14default_configELb0EPK6__halfPSL_PKlPlN2at6native12_GLOBAL__N_18offset_tEEE10hipError_tPvRmT1_PNSt15iterator_traitsISZ_E10value_typeET2_T3_PNS10_IS15_E10value_typeET4_jRbjT5_S1B_jjP12ihipStream_tbEUljE_EEESW_SX_SY_S15_S19_S1B_T6_T7_T9_mT8_S1D_bDpT10_ENKUlT_T0_E_clISt17integral_constantIbLb1EES1P_IbLb0EEEEDaS1L_S1M_EUlS1L_E_NS1_11comp_targetILNS1_3genE9ELNS1_11target_archE1100ELNS1_3gpuE3ELNS1_3repE0EEENS1_30default_config_static_selectorELNS0_4arch9wavefront6targetE0EEEvSZ_,comdat
.Lfunc_end1822:
	.size	_ZN7rocprim17ROCPRIM_400000_NS6detail17trampoline_kernelINS0_13select_configILj256ELj13ELNS0_17block_load_methodE3ELS4_3ELS4_3ELNS0_20block_scan_algorithmE0ELj4294967295EEENS1_25partition_config_selectorILNS1_17partition_subalgoE3EjNS0_10empty_typeEbEEZZNS1_14partition_implILS8_3ELb0ES6_jNS0_17counting_iteratorIjlEEPS9_SE_NS0_5tupleIJPjSE_EEENSF_IJSE_SE_EEES9_SG_JZNS1_25segmented_radix_sort_implINS0_14default_configELb0EPK6__halfPSL_PKlPlN2at6native12_GLOBAL__N_18offset_tEEE10hipError_tPvRmT1_PNSt15iterator_traitsISZ_E10value_typeET2_T3_PNS10_IS15_E10value_typeET4_jRbjT5_S1B_jjP12ihipStream_tbEUljE_EEESW_SX_SY_S15_S19_S1B_T6_T7_T9_mT8_S1D_bDpT10_ENKUlT_T0_E_clISt17integral_constantIbLb1EES1P_IbLb0EEEEDaS1L_S1M_EUlS1L_E_NS1_11comp_targetILNS1_3genE9ELNS1_11target_archE1100ELNS1_3gpuE3ELNS1_3repE0EEENS1_30default_config_static_selectorELNS0_4arch9wavefront6targetE0EEEvSZ_, .Lfunc_end1822-_ZN7rocprim17ROCPRIM_400000_NS6detail17trampoline_kernelINS0_13select_configILj256ELj13ELNS0_17block_load_methodE3ELS4_3ELS4_3ELNS0_20block_scan_algorithmE0ELj4294967295EEENS1_25partition_config_selectorILNS1_17partition_subalgoE3EjNS0_10empty_typeEbEEZZNS1_14partition_implILS8_3ELb0ES6_jNS0_17counting_iteratorIjlEEPS9_SE_NS0_5tupleIJPjSE_EEENSF_IJSE_SE_EEES9_SG_JZNS1_25segmented_radix_sort_implINS0_14default_configELb0EPK6__halfPSL_PKlPlN2at6native12_GLOBAL__N_18offset_tEEE10hipError_tPvRmT1_PNSt15iterator_traitsISZ_E10value_typeET2_T3_PNS10_IS15_E10value_typeET4_jRbjT5_S1B_jjP12ihipStream_tbEUljE_EEESW_SX_SY_S15_S19_S1B_T6_T7_T9_mT8_S1D_bDpT10_ENKUlT_T0_E_clISt17integral_constantIbLb1EES1P_IbLb0EEEEDaS1L_S1M_EUlS1L_E_NS1_11comp_targetILNS1_3genE9ELNS1_11target_archE1100ELNS1_3gpuE3ELNS1_3repE0EEENS1_30default_config_static_selectorELNS0_4arch9wavefront6targetE0EEEvSZ_
                                        ; -- End function
	.set _ZN7rocprim17ROCPRIM_400000_NS6detail17trampoline_kernelINS0_13select_configILj256ELj13ELNS0_17block_load_methodE3ELS4_3ELS4_3ELNS0_20block_scan_algorithmE0ELj4294967295EEENS1_25partition_config_selectorILNS1_17partition_subalgoE3EjNS0_10empty_typeEbEEZZNS1_14partition_implILS8_3ELb0ES6_jNS0_17counting_iteratorIjlEEPS9_SE_NS0_5tupleIJPjSE_EEENSF_IJSE_SE_EEES9_SG_JZNS1_25segmented_radix_sort_implINS0_14default_configELb0EPK6__halfPSL_PKlPlN2at6native12_GLOBAL__N_18offset_tEEE10hipError_tPvRmT1_PNSt15iterator_traitsISZ_E10value_typeET2_T3_PNS10_IS15_E10value_typeET4_jRbjT5_S1B_jjP12ihipStream_tbEUljE_EEESW_SX_SY_S15_S19_S1B_T6_T7_T9_mT8_S1D_bDpT10_ENKUlT_T0_E_clISt17integral_constantIbLb1EES1P_IbLb0EEEEDaS1L_S1M_EUlS1L_E_NS1_11comp_targetILNS1_3genE9ELNS1_11target_archE1100ELNS1_3gpuE3ELNS1_3repE0EEENS1_30default_config_static_selectorELNS0_4arch9wavefront6targetE0EEEvSZ_.num_vgpr, 0
	.set _ZN7rocprim17ROCPRIM_400000_NS6detail17trampoline_kernelINS0_13select_configILj256ELj13ELNS0_17block_load_methodE3ELS4_3ELS4_3ELNS0_20block_scan_algorithmE0ELj4294967295EEENS1_25partition_config_selectorILNS1_17partition_subalgoE3EjNS0_10empty_typeEbEEZZNS1_14partition_implILS8_3ELb0ES6_jNS0_17counting_iteratorIjlEEPS9_SE_NS0_5tupleIJPjSE_EEENSF_IJSE_SE_EEES9_SG_JZNS1_25segmented_radix_sort_implINS0_14default_configELb0EPK6__halfPSL_PKlPlN2at6native12_GLOBAL__N_18offset_tEEE10hipError_tPvRmT1_PNSt15iterator_traitsISZ_E10value_typeET2_T3_PNS10_IS15_E10value_typeET4_jRbjT5_S1B_jjP12ihipStream_tbEUljE_EEESW_SX_SY_S15_S19_S1B_T6_T7_T9_mT8_S1D_bDpT10_ENKUlT_T0_E_clISt17integral_constantIbLb1EES1P_IbLb0EEEEDaS1L_S1M_EUlS1L_E_NS1_11comp_targetILNS1_3genE9ELNS1_11target_archE1100ELNS1_3gpuE3ELNS1_3repE0EEENS1_30default_config_static_selectorELNS0_4arch9wavefront6targetE0EEEvSZ_.num_agpr, 0
	.set _ZN7rocprim17ROCPRIM_400000_NS6detail17trampoline_kernelINS0_13select_configILj256ELj13ELNS0_17block_load_methodE3ELS4_3ELS4_3ELNS0_20block_scan_algorithmE0ELj4294967295EEENS1_25partition_config_selectorILNS1_17partition_subalgoE3EjNS0_10empty_typeEbEEZZNS1_14partition_implILS8_3ELb0ES6_jNS0_17counting_iteratorIjlEEPS9_SE_NS0_5tupleIJPjSE_EEENSF_IJSE_SE_EEES9_SG_JZNS1_25segmented_radix_sort_implINS0_14default_configELb0EPK6__halfPSL_PKlPlN2at6native12_GLOBAL__N_18offset_tEEE10hipError_tPvRmT1_PNSt15iterator_traitsISZ_E10value_typeET2_T3_PNS10_IS15_E10value_typeET4_jRbjT5_S1B_jjP12ihipStream_tbEUljE_EEESW_SX_SY_S15_S19_S1B_T6_T7_T9_mT8_S1D_bDpT10_ENKUlT_T0_E_clISt17integral_constantIbLb1EES1P_IbLb0EEEEDaS1L_S1M_EUlS1L_E_NS1_11comp_targetILNS1_3genE9ELNS1_11target_archE1100ELNS1_3gpuE3ELNS1_3repE0EEENS1_30default_config_static_selectorELNS0_4arch9wavefront6targetE0EEEvSZ_.numbered_sgpr, 0
	.set _ZN7rocprim17ROCPRIM_400000_NS6detail17trampoline_kernelINS0_13select_configILj256ELj13ELNS0_17block_load_methodE3ELS4_3ELS4_3ELNS0_20block_scan_algorithmE0ELj4294967295EEENS1_25partition_config_selectorILNS1_17partition_subalgoE3EjNS0_10empty_typeEbEEZZNS1_14partition_implILS8_3ELb0ES6_jNS0_17counting_iteratorIjlEEPS9_SE_NS0_5tupleIJPjSE_EEENSF_IJSE_SE_EEES9_SG_JZNS1_25segmented_radix_sort_implINS0_14default_configELb0EPK6__halfPSL_PKlPlN2at6native12_GLOBAL__N_18offset_tEEE10hipError_tPvRmT1_PNSt15iterator_traitsISZ_E10value_typeET2_T3_PNS10_IS15_E10value_typeET4_jRbjT5_S1B_jjP12ihipStream_tbEUljE_EEESW_SX_SY_S15_S19_S1B_T6_T7_T9_mT8_S1D_bDpT10_ENKUlT_T0_E_clISt17integral_constantIbLb1EES1P_IbLb0EEEEDaS1L_S1M_EUlS1L_E_NS1_11comp_targetILNS1_3genE9ELNS1_11target_archE1100ELNS1_3gpuE3ELNS1_3repE0EEENS1_30default_config_static_selectorELNS0_4arch9wavefront6targetE0EEEvSZ_.num_named_barrier, 0
	.set _ZN7rocprim17ROCPRIM_400000_NS6detail17trampoline_kernelINS0_13select_configILj256ELj13ELNS0_17block_load_methodE3ELS4_3ELS4_3ELNS0_20block_scan_algorithmE0ELj4294967295EEENS1_25partition_config_selectorILNS1_17partition_subalgoE3EjNS0_10empty_typeEbEEZZNS1_14partition_implILS8_3ELb0ES6_jNS0_17counting_iteratorIjlEEPS9_SE_NS0_5tupleIJPjSE_EEENSF_IJSE_SE_EEES9_SG_JZNS1_25segmented_radix_sort_implINS0_14default_configELb0EPK6__halfPSL_PKlPlN2at6native12_GLOBAL__N_18offset_tEEE10hipError_tPvRmT1_PNSt15iterator_traitsISZ_E10value_typeET2_T3_PNS10_IS15_E10value_typeET4_jRbjT5_S1B_jjP12ihipStream_tbEUljE_EEESW_SX_SY_S15_S19_S1B_T6_T7_T9_mT8_S1D_bDpT10_ENKUlT_T0_E_clISt17integral_constantIbLb1EES1P_IbLb0EEEEDaS1L_S1M_EUlS1L_E_NS1_11comp_targetILNS1_3genE9ELNS1_11target_archE1100ELNS1_3gpuE3ELNS1_3repE0EEENS1_30default_config_static_selectorELNS0_4arch9wavefront6targetE0EEEvSZ_.private_seg_size, 0
	.set _ZN7rocprim17ROCPRIM_400000_NS6detail17trampoline_kernelINS0_13select_configILj256ELj13ELNS0_17block_load_methodE3ELS4_3ELS4_3ELNS0_20block_scan_algorithmE0ELj4294967295EEENS1_25partition_config_selectorILNS1_17partition_subalgoE3EjNS0_10empty_typeEbEEZZNS1_14partition_implILS8_3ELb0ES6_jNS0_17counting_iteratorIjlEEPS9_SE_NS0_5tupleIJPjSE_EEENSF_IJSE_SE_EEES9_SG_JZNS1_25segmented_radix_sort_implINS0_14default_configELb0EPK6__halfPSL_PKlPlN2at6native12_GLOBAL__N_18offset_tEEE10hipError_tPvRmT1_PNSt15iterator_traitsISZ_E10value_typeET2_T3_PNS10_IS15_E10value_typeET4_jRbjT5_S1B_jjP12ihipStream_tbEUljE_EEESW_SX_SY_S15_S19_S1B_T6_T7_T9_mT8_S1D_bDpT10_ENKUlT_T0_E_clISt17integral_constantIbLb1EES1P_IbLb0EEEEDaS1L_S1M_EUlS1L_E_NS1_11comp_targetILNS1_3genE9ELNS1_11target_archE1100ELNS1_3gpuE3ELNS1_3repE0EEENS1_30default_config_static_selectorELNS0_4arch9wavefront6targetE0EEEvSZ_.uses_vcc, 0
	.set _ZN7rocprim17ROCPRIM_400000_NS6detail17trampoline_kernelINS0_13select_configILj256ELj13ELNS0_17block_load_methodE3ELS4_3ELS4_3ELNS0_20block_scan_algorithmE0ELj4294967295EEENS1_25partition_config_selectorILNS1_17partition_subalgoE3EjNS0_10empty_typeEbEEZZNS1_14partition_implILS8_3ELb0ES6_jNS0_17counting_iteratorIjlEEPS9_SE_NS0_5tupleIJPjSE_EEENSF_IJSE_SE_EEES9_SG_JZNS1_25segmented_radix_sort_implINS0_14default_configELb0EPK6__halfPSL_PKlPlN2at6native12_GLOBAL__N_18offset_tEEE10hipError_tPvRmT1_PNSt15iterator_traitsISZ_E10value_typeET2_T3_PNS10_IS15_E10value_typeET4_jRbjT5_S1B_jjP12ihipStream_tbEUljE_EEESW_SX_SY_S15_S19_S1B_T6_T7_T9_mT8_S1D_bDpT10_ENKUlT_T0_E_clISt17integral_constantIbLb1EES1P_IbLb0EEEEDaS1L_S1M_EUlS1L_E_NS1_11comp_targetILNS1_3genE9ELNS1_11target_archE1100ELNS1_3gpuE3ELNS1_3repE0EEENS1_30default_config_static_selectorELNS0_4arch9wavefront6targetE0EEEvSZ_.uses_flat_scratch, 0
	.set _ZN7rocprim17ROCPRIM_400000_NS6detail17trampoline_kernelINS0_13select_configILj256ELj13ELNS0_17block_load_methodE3ELS4_3ELS4_3ELNS0_20block_scan_algorithmE0ELj4294967295EEENS1_25partition_config_selectorILNS1_17partition_subalgoE3EjNS0_10empty_typeEbEEZZNS1_14partition_implILS8_3ELb0ES6_jNS0_17counting_iteratorIjlEEPS9_SE_NS0_5tupleIJPjSE_EEENSF_IJSE_SE_EEES9_SG_JZNS1_25segmented_radix_sort_implINS0_14default_configELb0EPK6__halfPSL_PKlPlN2at6native12_GLOBAL__N_18offset_tEEE10hipError_tPvRmT1_PNSt15iterator_traitsISZ_E10value_typeET2_T3_PNS10_IS15_E10value_typeET4_jRbjT5_S1B_jjP12ihipStream_tbEUljE_EEESW_SX_SY_S15_S19_S1B_T6_T7_T9_mT8_S1D_bDpT10_ENKUlT_T0_E_clISt17integral_constantIbLb1EES1P_IbLb0EEEEDaS1L_S1M_EUlS1L_E_NS1_11comp_targetILNS1_3genE9ELNS1_11target_archE1100ELNS1_3gpuE3ELNS1_3repE0EEENS1_30default_config_static_selectorELNS0_4arch9wavefront6targetE0EEEvSZ_.has_dyn_sized_stack, 0
	.set _ZN7rocprim17ROCPRIM_400000_NS6detail17trampoline_kernelINS0_13select_configILj256ELj13ELNS0_17block_load_methodE3ELS4_3ELS4_3ELNS0_20block_scan_algorithmE0ELj4294967295EEENS1_25partition_config_selectorILNS1_17partition_subalgoE3EjNS0_10empty_typeEbEEZZNS1_14partition_implILS8_3ELb0ES6_jNS0_17counting_iteratorIjlEEPS9_SE_NS0_5tupleIJPjSE_EEENSF_IJSE_SE_EEES9_SG_JZNS1_25segmented_radix_sort_implINS0_14default_configELb0EPK6__halfPSL_PKlPlN2at6native12_GLOBAL__N_18offset_tEEE10hipError_tPvRmT1_PNSt15iterator_traitsISZ_E10value_typeET2_T3_PNS10_IS15_E10value_typeET4_jRbjT5_S1B_jjP12ihipStream_tbEUljE_EEESW_SX_SY_S15_S19_S1B_T6_T7_T9_mT8_S1D_bDpT10_ENKUlT_T0_E_clISt17integral_constantIbLb1EES1P_IbLb0EEEEDaS1L_S1M_EUlS1L_E_NS1_11comp_targetILNS1_3genE9ELNS1_11target_archE1100ELNS1_3gpuE3ELNS1_3repE0EEENS1_30default_config_static_selectorELNS0_4arch9wavefront6targetE0EEEvSZ_.has_recursion, 0
	.set _ZN7rocprim17ROCPRIM_400000_NS6detail17trampoline_kernelINS0_13select_configILj256ELj13ELNS0_17block_load_methodE3ELS4_3ELS4_3ELNS0_20block_scan_algorithmE0ELj4294967295EEENS1_25partition_config_selectorILNS1_17partition_subalgoE3EjNS0_10empty_typeEbEEZZNS1_14partition_implILS8_3ELb0ES6_jNS0_17counting_iteratorIjlEEPS9_SE_NS0_5tupleIJPjSE_EEENSF_IJSE_SE_EEES9_SG_JZNS1_25segmented_radix_sort_implINS0_14default_configELb0EPK6__halfPSL_PKlPlN2at6native12_GLOBAL__N_18offset_tEEE10hipError_tPvRmT1_PNSt15iterator_traitsISZ_E10value_typeET2_T3_PNS10_IS15_E10value_typeET4_jRbjT5_S1B_jjP12ihipStream_tbEUljE_EEESW_SX_SY_S15_S19_S1B_T6_T7_T9_mT8_S1D_bDpT10_ENKUlT_T0_E_clISt17integral_constantIbLb1EES1P_IbLb0EEEEDaS1L_S1M_EUlS1L_E_NS1_11comp_targetILNS1_3genE9ELNS1_11target_archE1100ELNS1_3gpuE3ELNS1_3repE0EEENS1_30default_config_static_selectorELNS0_4arch9wavefront6targetE0EEEvSZ_.has_indirect_call, 0
	.section	.AMDGPU.csdata,"",@progbits
; Kernel info:
; codeLenInByte = 0
; TotalNumSgprs: 0
; NumVgprs: 0
; ScratchSize: 0
; MemoryBound: 0
; FloatMode: 240
; IeeeMode: 1
; LDSByteSize: 0 bytes/workgroup (compile time only)
; SGPRBlocks: 0
; VGPRBlocks: 0
; NumSGPRsForWavesPerEU: 1
; NumVGPRsForWavesPerEU: 1
; Occupancy: 16
; WaveLimiterHint : 0
; COMPUTE_PGM_RSRC2:SCRATCH_EN: 0
; COMPUTE_PGM_RSRC2:USER_SGPR: 6
; COMPUTE_PGM_RSRC2:TRAP_HANDLER: 0
; COMPUTE_PGM_RSRC2:TGID_X_EN: 1
; COMPUTE_PGM_RSRC2:TGID_Y_EN: 0
; COMPUTE_PGM_RSRC2:TGID_Z_EN: 0
; COMPUTE_PGM_RSRC2:TIDIG_COMP_CNT: 0
	.section	.text._ZN7rocprim17ROCPRIM_400000_NS6detail17trampoline_kernelINS0_13select_configILj256ELj13ELNS0_17block_load_methodE3ELS4_3ELS4_3ELNS0_20block_scan_algorithmE0ELj4294967295EEENS1_25partition_config_selectorILNS1_17partition_subalgoE3EjNS0_10empty_typeEbEEZZNS1_14partition_implILS8_3ELb0ES6_jNS0_17counting_iteratorIjlEEPS9_SE_NS0_5tupleIJPjSE_EEENSF_IJSE_SE_EEES9_SG_JZNS1_25segmented_radix_sort_implINS0_14default_configELb0EPK6__halfPSL_PKlPlN2at6native12_GLOBAL__N_18offset_tEEE10hipError_tPvRmT1_PNSt15iterator_traitsISZ_E10value_typeET2_T3_PNS10_IS15_E10value_typeET4_jRbjT5_S1B_jjP12ihipStream_tbEUljE_EEESW_SX_SY_S15_S19_S1B_T6_T7_T9_mT8_S1D_bDpT10_ENKUlT_T0_E_clISt17integral_constantIbLb1EES1P_IbLb0EEEEDaS1L_S1M_EUlS1L_E_NS1_11comp_targetILNS1_3genE8ELNS1_11target_archE1030ELNS1_3gpuE2ELNS1_3repE0EEENS1_30default_config_static_selectorELNS0_4arch9wavefront6targetE0EEEvSZ_,"axG",@progbits,_ZN7rocprim17ROCPRIM_400000_NS6detail17trampoline_kernelINS0_13select_configILj256ELj13ELNS0_17block_load_methodE3ELS4_3ELS4_3ELNS0_20block_scan_algorithmE0ELj4294967295EEENS1_25partition_config_selectorILNS1_17partition_subalgoE3EjNS0_10empty_typeEbEEZZNS1_14partition_implILS8_3ELb0ES6_jNS0_17counting_iteratorIjlEEPS9_SE_NS0_5tupleIJPjSE_EEENSF_IJSE_SE_EEES9_SG_JZNS1_25segmented_radix_sort_implINS0_14default_configELb0EPK6__halfPSL_PKlPlN2at6native12_GLOBAL__N_18offset_tEEE10hipError_tPvRmT1_PNSt15iterator_traitsISZ_E10value_typeET2_T3_PNS10_IS15_E10value_typeET4_jRbjT5_S1B_jjP12ihipStream_tbEUljE_EEESW_SX_SY_S15_S19_S1B_T6_T7_T9_mT8_S1D_bDpT10_ENKUlT_T0_E_clISt17integral_constantIbLb1EES1P_IbLb0EEEEDaS1L_S1M_EUlS1L_E_NS1_11comp_targetILNS1_3genE8ELNS1_11target_archE1030ELNS1_3gpuE2ELNS1_3repE0EEENS1_30default_config_static_selectorELNS0_4arch9wavefront6targetE0EEEvSZ_,comdat
	.globl	_ZN7rocprim17ROCPRIM_400000_NS6detail17trampoline_kernelINS0_13select_configILj256ELj13ELNS0_17block_load_methodE3ELS4_3ELS4_3ELNS0_20block_scan_algorithmE0ELj4294967295EEENS1_25partition_config_selectorILNS1_17partition_subalgoE3EjNS0_10empty_typeEbEEZZNS1_14partition_implILS8_3ELb0ES6_jNS0_17counting_iteratorIjlEEPS9_SE_NS0_5tupleIJPjSE_EEENSF_IJSE_SE_EEES9_SG_JZNS1_25segmented_radix_sort_implINS0_14default_configELb0EPK6__halfPSL_PKlPlN2at6native12_GLOBAL__N_18offset_tEEE10hipError_tPvRmT1_PNSt15iterator_traitsISZ_E10value_typeET2_T3_PNS10_IS15_E10value_typeET4_jRbjT5_S1B_jjP12ihipStream_tbEUljE_EEESW_SX_SY_S15_S19_S1B_T6_T7_T9_mT8_S1D_bDpT10_ENKUlT_T0_E_clISt17integral_constantIbLb1EES1P_IbLb0EEEEDaS1L_S1M_EUlS1L_E_NS1_11comp_targetILNS1_3genE8ELNS1_11target_archE1030ELNS1_3gpuE2ELNS1_3repE0EEENS1_30default_config_static_selectorELNS0_4arch9wavefront6targetE0EEEvSZ_ ; -- Begin function _ZN7rocprim17ROCPRIM_400000_NS6detail17trampoline_kernelINS0_13select_configILj256ELj13ELNS0_17block_load_methodE3ELS4_3ELS4_3ELNS0_20block_scan_algorithmE0ELj4294967295EEENS1_25partition_config_selectorILNS1_17partition_subalgoE3EjNS0_10empty_typeEbEEZZNS1_14partition_implILS8_3ELb0ES6_jNS0_17counting_iteratorIjlEEPS9_SE_NS0_5tupleIJPjSE_EEENSF_IJSE_SE_EEES9_SG_JZNS1_25segmented_radix_sort_implINS0_14default_configELb0EPK6__halfPSL_PKlPlN2at6native12_GLOBAL__N_18offset_tEEE10hipError_tPvRmT1_PNSt15iterator_traitsISZ_E10value_typeET2_T3_PNS10_IS15_E10value_typeET4_jRbjT5_S1B_jjP12ihipStream_tbEUljE_EEESW_SX_SY_S15_S19_S1B_T6_T7_T9_mT8_S1D_bDpT10_ENKUlT_T0_E_clISt17integral_constantIbLb1EES1P_IbLb0EEEEDaS1L_S1M_EUlS1L_E_NS1_11comp_targetILNS1_3genE8ELNS1_11target_archE1030ELNS1_3gpuE2ELNS1_3repE0EEENS1_30default_config_static_selectorELNS0_4arch9wavefront6targetE0EEEvSZ_
	.p2align	8
	.type	_ZN7rocprim17ROCPRIM_400000_NS6detail17trampoline_kernelINS0_13select_configILj256ELj13ELNS0_17block_load_methodE3ELS4_3ELS4_3ELNS0_20block_scan_algorithmE0ELj4294967295EEENS1_25partition_config_selectorILNS1_17partition_subalgoE3EjNS0_10empty_typeEbEEZZNS1_14partition_implILS8_3ELb0ES6_jNS0_17counting_iteratorIjlEEPS9_SE_NS0_5tupleIJPjSE_EEENSF_IJSE_SE_EEES9_SG_JZNS1_25segmented_radix_sort_implINS0_14default_configELb0EPK6__halfPSL_PKlPlN2at6native12_GLOBAL__N_18offset_tEEE10hipError_tPvRmT1_PNSt15iterator_traitsISZ_E10value_typeET2_T3_PNS10_IS15_E10value_typeET4_jRbjT5_S1B_jjP12ihipStream_tbEUljE_EEESW_SX_SY_S15_S19_S1B_T6_T7_T9_mT8_S1D_bDpT10_ENKUlT_T0_E_clISt17integral_constantIbLb1EES1P_IbLb0EEEEDaS1L_S1M_EUlS1L_E_NS1_11comp_targetILNS1_3genE8ELNS1_11target_archE1030ELNS1_3gpuE2ELNS1_3repE0EEENS1_30default_config_static_selectorELNS0_4arch9wavefront6targetE0EEEvSZ_,@function
_ZN7rocprim17ROCPRIM_400000_NS6detail17trampoline_kernelINS0_13select_configILj256ELj13ELNS0_17block_load_methodE3ELS4_3ELS4_3ELNS0_20block_scan_algorithmE0ELj4294967295EEENS1_25partition_config_selectorILNS1_17partition_subalgoE3EjNS0_10empty_typeEbEEZZNS1_14partition_implILS8_3ELb0ES6_jNS0_17counting_iteratorIjlEEPS9_SE_NS0_5tupleIJPjSE_EEENSF_IJSE_SE_EEES9_SG_JZNS1_25segmented_radix_sort_implINS0_14default_configELb0EPK6__halfPSL_PKlPlN2at6native12_GLOBAL__N_18offset_tEEE10hipError_tPvRmT1_PNSt15iterator_traitsISZ_E10value_typeET2_T3_PNS10_IS15_E10value_typeET4_jRbjT5_S1B_jjP12ihipStream_tbEUljE_EEESW_SX_SY_S15_S19_S1B_T6_T7_T9_mT8_S1D_bDpT10_ENKUlT_T0_E_clISt17integral_constantIbLb1EES1P_IbLb0EEEEDaS1L_S1M_EUlS1L_E_NS1_11comp_targetILNS1_3genE8ELNS1_11target_archE1030ELNS1_3gpuE2ELNS1_3repE0EEENS1_30default_config_static_selectorELNS0_4arch9wavefront6targetE0EEEvSZ_: ; @_ZN7rocprim17ROCPRIM_400000_NS6detail17trampoline_kernelINS0_13select_configILj256ELj13ELNS0_17block_load_methodE3ELS4_3ELS4_3ELNS0_20block_scan_algorithmE0ELj4294967295EEENS1_25partition_config_selectorILNS1_17partition_subalgoE3EjNS0_10empty_typeEbEEZZNS1_14partition_implILS8_3ELb0ES6_jNS0_17counting_iteratorIjlEEPS9_SE_NS0_5tupleIJPjSE_EEENSF_IJSE_SE_EEES9_SG_JZNS1_25segmented_radix_sort_implINS0_14default_configELb0EPK6__halfPSL_PKlPlN2at6native12_GLOBAL__N_18offset_tEEE10hipError_tPvRmT1_PNSt15iterator_traitsISZ_E10value_typeET2_T3_PNS10_IS15_E10value_typeET4_jRbjT5_S1B_jjP12ihipStream_tbEUljE_EEESW_SX_SY_S15_S19_S1B_T6_T7_T9_mT8_S1D_bDpT10_ENKUlT_T0_E_clISt17integral_constantIbLb1EES1P_IbLb0EEEEDaS1L_S1M_EUlS1L_E_NS1_11comp_targetILNS1_3genE8ELNS1_11target_archE1030ELNS1_3gpuE2ELNS1_3repE0EEENS1_30default_config_static_selectorELNS0_4arch9wavefront6targetE0EEEvSZ_
; %bb.0:
	s_endpgm
	.section	.rodata,"a",@progbits
	.p2align	6, 0x0
	.amdhsa_kernel _ZN7rocprim17ROCPRIM_400000_NS6detail17trampoline_kernelINS0_13select_configILj256ELj13ELNS0_17block_load_methodE3ELS4_3ELS4_3ELNS0_20block_scan_algorithmE0ELj4294967295EEENS1_25partition_config_selectorILNS1_17partition_subalgoE3EjNS0_10empty_typeEbEEZZNS1_14partition_implILS8_3ELb0ES6_jNS0_17counting_iteratorIjlEEPS9_SE_NS0_5tupleIJPjSE_EEENSF_IJSE_SE_EEES9_SG_JZNS1_25segmented_radix_sort_implINS0_14default_configELb0EPK6__halfPSL_PKlPlN2at6native12_GLOBAL__N_18offset_tEEE10hipError_tPvRmT1_PNSt15iterator_traitsISZ_E10value_typeET2_T3_PNS10_IS15_E10value_typeET4_jRbjT5_S1B_jjP12ihipStream_tbEUljE_EEESW_SX_SY_S15_S19_S1B_T6_T7_T9_mT8_S1D_bDpT10_ENKUlT_T0_E_clISt17integral_constantIbLb1EES1P_IbLb0EEEEDaS1L_S1M_EUlS1L_E_NS1_11comp_targetILNS1_3genE8ELNS1_11target_archE1030ELNS1_3gpuE2ELNS1_3repE0EEENS1_30default_config_static_selectorELNS0_4arch9wavefront6targetE0EEEvSZ_
		.amdhsa_group_segment_fixed_size 0
		.amdhsa_private_segment_fixed_size 0
		.amdhsa_kernarg_size 144
		.amdhsa_user_sgpr_count 6
		.amdhsa_user_sgpr_private_segment_buffer 1
		.amdhsa_user_sgpr_dispatch_ptr 0
		.amdhsa_user_sgpr_queue_ptr 0
		.amdhsa_user_sgpr_kernarg_segment_ptr 1
		.amdhsa_user_sgpr_dispatch_id 0
		.amdhsa_user_sgpr_flat_scratch_init 0
		.amdhsa_user_sgpr_private_segment_size 0
		.amdhsa_wavefront_size32 1
		.amdhsa_uses_dynamic_stack 0
		.amdhsa_system_sgpr_private_segment_wavefront_offset 0
		.amdhsa_system_sgpr_workgroup_id_x 1
		.amdhsa_system_sgpr_workgroup_id_y 0
		.amdhsa_system_sgpr_workgroup_id_z 0
		.amdhsa_system_sgpr_workgroup_info 0
		.amdhsa_system_vgpr_workitem_id 0
		.amdhsa_next_free_vgpr 1
		.amdhsa_next_free_sgpr 1
		.amdhsa_reserve_vcc 0
		.amdhsa_reserve_flat_scratch 0
		.amdhsa_float_round_mode_32 0
		.amdhsa_float_round_mode_16_64 0
		.amdhsa_float_denorm_mode_32 3
		.amdhsa_float_denorm_mode_16_64 3
		.amdhsa_dx10_clamp 1
		.amdhsa_ieee_mode 1
		.amdhsa_fp16_overflow 0
		.amdhsa_workgroup_processor_mode 1
		.amdhsa_memory_ordered 1
		.amdhsa_forward_progress 1
		.amdhsa_shared_vgpr_count 0
		.amdhsa_exception_fp_ieee_invalid_op 0
		.amdhsa_exception_fp_denorm_src 0
		.amdhsa_exception_fp_ieee_div_zero 0
		.amdhsa_exception_fp_ieee_overflow 0
		.amdhsa_exception_fp_ieee_underflow 0
		.amdhsa_exception_fp_ieee_inexact 0
		.amdhsa_exception_int_div_zero 0
	.end_amdhsa_kernel
	.section	.text._ZN7rocprim17ROCPRIM_400000_NS6detail17trampoline_kernelINS0_13select_configILj256ELj13ELNS0_17block_load_methodE3ELS4_3ELS4_3ELNS0_20block_scan_algorithmE0ELj4294967295EEENS1_25partition_config_selectorILNS1_17partition_subalgoE3EjNS0_10empty_typeEbEEZZNS1_14partition_implILS8_3ELb0ES6_jNS0_17counting_iteratorIjlEEPS9_SE_NS0_5tupleIJPjSE_EEENSF_IJSE_SE_EEES9_SG_JZNS1_25segmented_radix_sort_implINS0_14default_configELb0EPK6__halfPSL_PKlPlN2at6native12_GLOBAL__N_18offset_tEEE10hipError_tPvRmT1_PNSt15iterator_traitsISZ_E10value_typeET2_T3_PNS10_IS15_E10value_typeET4_jRbjT5_S1B_jjP12ihipStream_tbEUljE_EEESW_SX_SY_S15_S19_S1B_T6_T7_T9_mT8_S1D_bDpT10_ENKUlT_T0_E_clISt17integral_constantIbLb1EES1P_IbLb0EEEEDaS1L_S1M_EUlS1L_E_NS1_11comp_targetILNS1_3genE8ELNS1_11target_archE1030ELNS1_3gpuE2ELNS1_3repE0EEENS1_30default_config_static_selectorELNS0_4arch9wavefront6targetE0EEEvSZ_,"axG",@progbits,_ZN7rocprim17ROCPRIM_400000_NS6detail17trampoline_kernelINS0_13select_configILj256ELj13ELNS0_17block_load_methodE3ELS4_3ELS4_3ELNS0_20block_scan_algorithmE0ELj4294967295EEENS1_25partition_config_selectorILNS1_17partition_subalgoE3EjNS0_10empty_typeEbEEZZNS1_14partition_implILS8_3ELb0ES6_jNS0_17counting_iteratorIjlEEPS9_SE_NS0_5tupleIJPjSE_EEENSF_IJSE_SE_EEES9_SG_JZNS1_25segmented_radix_sort_implINS0_14default_configELb0EPK6__halfPSL_PKlPlN2at6native12_GLOBAL__N_18offset_tEEE10hipError_tPvRmT1_PNSt15iterator_traitsISZ_E10value_typeET2_T3_PNS10_IS15_E10value_typeET4_jRbjT5_S1B_jjP12ihipStream_tbEUljE_EEESW_SX_SY_S15_S19_S1B_T6_T7_T9_mT8_S1D_bDpT10_ENKUlT_T0_E_clISt17integral_constantIbLb1EES1P_IbLb0EEEEDaS1L_S1M_EUlS1L_E_NS1_11comp_targetILNS1_3genE8ELNS1_11target_archE1030ELNS1_3gpuE2ELNS1_3repE0EEENS1_30default_config_static_selectorELNS0_4arch9wavefront6targetE0EEEvSZ_,comdat
.Lfunc_end1823:
	.size	_ZN7rocprim17ROCPRIM_400000_NS6detail17trampoline_kernelINS0_13select_configILj256ELj13ELNS0_17block_load_methodE3ELS4_3ELS4_3ELNS0_20block_scan_algorithmE0ELj4294967295EEENS1_25partition_config_selectorILNS1_17partition_subalgoE3EjNS0_10empty_typeEbEEZZNS1_14partition_implILS8_3ELb0ES6_jNS0_17counting_iteratorIjlEEPS9_SE_NS0_5tupleIJPjSE_EEENSF_IJSE_SE_EEES9_SG_JZNS1_25segmented_radix_sort_implINS0_14default_configELb0EPK6__halfPSL_PKlPlN2at6native12_GLOBAL__N_18offset_tEEE10hipError_tPvRmT1_PNSt15iterator_traitsISZ_E10value_typeET2_T3_PNS10_IS15_E10value_typeET4_jRbjT5_S1B_jjP12ihipStream_tbEUljE_EEESW_SX_SY_S15_S19_S1B_T6_T7_T9_mT8_S1D_bDpT10_ENKUlT_T0_E_clISt17integral_constantIbLb1EES1P_IbLb0EEEEDaS1L_S1M_EUlS1L_E_NS1_11comp_targetILNS1_3genE8ELNS1_11target_archE1030ELNS1_3gpuE2ELNS1_3repE0EEENS1_30default_config_static_selectorELNS0_4arch9wavefront6targetE0EEEvSZ_, .Lfunc_end1823-_ZN7rocprim17ROCPRIM_400000_NS6detail17trampoline_kernelINS0_13select_configILj256ELj13ELNS0_17block_load_methodE3ELS4_3ELS4_3ELNS0_20block_scan_algorithmE0ELj4294967295EEENS1_25partition_config_selectorILNS1_17partition_subalgoE3EjNS0_10empty_typeEbEEZZNS1_14partition_implILS8_3ELb0ES6_jNS0_17counting_iteratorIjlEEPS9_SE_NS0_5tupleIJPjSE_EEENSF_IJSE_SE_EEES9_SG_JZNS1_25segmented_radix_sort_implINS0_14default_configELb0EPK6__halfPSL_PKlPlN2at6native12_GLOBAL__N_18offset_tEEE10hipError_tPvRmT1_PNSt15iterator_traitsISZ_E10value_typeET2_T3_PNS10_IS15_E10value_typeET4_jRbjT5_S1B_jjP12ihipStream_tbEUljE_EEESW_SX_SY_S15_S19_S1B_T6_T7_T9_mT8_S1D_bDpT10_ENKUlT_T0_E_clISt17integral_constantIbLb1EES1P_IbLb0EEEEDaS1L_S1M_EUlS1L_E_NS1_11comp_targetILNS1_3genE8ELNS1_11target_archE1030ELNS1_3gpuE2ELNS1_3repE0EEENS1_30default_config_static_selectorELNS0_4arch9wavefront6targetE0EEEvSZ_
                                        ; -- End function
	.set _ZN7rocprim17ROCPRIM_400000_NS6detail17trampoline_kernelINS0_13select_configILj256ELj13ELNS0_17block_load_methodE3ELS4_3ELS4_3ELNS0_20block_scan_algorithmE0ELj4294967295EEENS1_25partition_config_selectorILNS1_17partition_subalgoE3EjNS0_10empty_typeEbEEZZNS1_14partition_implILS8_3ELb0ES6_jNS0_17counting_iteratorIjlEEPS9_SE_NS0_5tupleIJPjSE_EEENSF_IJSE_SE_EEES9_SG_JZNS1_25segmented_radix_sort_implINS0_14default_configELb0EPK6__halfPSL_PKlPlN2at6native12_GLOBAL__N_18offset_tEEE10hipError_tPvRmT1_PNSt15iterator_traitsISZ_E10value_typeET2_T3_PNS10_IS15_E10value_typeET4_jRbjT5_S1B_jjP12ihipStream_tbEUljE_EEESW_SX_SY_S15_S19_S1B_T6_T7_T9_mT8_S1D_bDpT10_ENKUlT_T0_E_clISt17integral_constantIbLb1EES1P_IbLb0EEEEDaS1L_S1M_EUlS1L_E_NS1_11comp_targetILNS1_3genE8ELNS1_11target_archE1030ELNS1_3gpuE2ELNS1_3repE0EEENS1_30default_config_static_selectorELNS0_4arch9wavefront6targetE0EEEvSZ_.num_vgpr, 0
	.set _ZN7rocprim17ROCPRIM_400000_NS6detail17trampoline_kernelINS0_13select_configILj256ELj13ELNS0_17block_load_methodE3ELS4_3ELS4_3ELNS0_20block_scan_algorithmE0ELj4294967295EEENS1_25partition_config_selectorILNS1_17partition_subalgoE3EjNS0_10empty_typeEbEEZZNS1_14partition_implILS8_3ELb0ES6_jNS0_17counting_iteratorIjlEEPS9_SE_NS0_5tupleIJPjSE_EEENSF_IJSE_SE_EEES9_SG_JZNS1_25segmented_radix_sort_implINS0_14default_configELb0EPK6__halfPSL_PKlPlN2at6native12_GLOBAL__N_18offset_tEEE10hipError_tPvRmT1_PNSt15iterator_traitsISZ_E10value_typeET2_T3_PNS10_IS15_E10value_typeET4_jRbjT5_S1B_jjP12ihipStream_tbEUljE_EEESW_SX_SY_S15_S19_S1B_T6_T7_T9_mT8_S1D_bDpT10_ENKUlT_T0_E_clISt17integral_constantIbLb1EES1P_IbLb0EEEEDaS1L_S1M_EUlS1L_E_NS1_11comp_targetILNS1_3genE8ELNS1_11target_archE1030ELNS1_3gpuE2ELNS1_3repE0EEENS1_30default_config_static_selectorELNS0_4arch9wavefront6targetE0EEEvSZ_.num_agpr, 0
	.set _ZN7rocprim17ROCPRIM_400000_NS6detail17trampoline_kernelINS0_13select_configILj256ELj13ELNS0_17block_load_methodE3ELS4_3ELS4_3ELNS0_20block_scan_algorithmE0ELj4294967295EEENS1_25partition_config_selectorILNS1_17partition_subalgoE3EjNS0_10empty_typeEbEEZZNS1_14partition_implILS8_3ELb0ES6_jNS0_17counting_iteratorIjlEEPS9_SE_NS0_5tupleIJPjSE_EEENSF_IJSE_SE_EEES9_SG_JZNS1_25segmented_radix_sort_implINS0_14default_configELb0EPK6__halfPSL_PKlPlN2at6native12_GLOBAL__N_18offset_tEEE10hipError_tPvRmT1_PNSt15iterator_traitsISZ_E10value_typeET2_T3_PNS10_IS15_E10value_typeET4_jRbjT5_S1B_jjP12ihipStream_tbEUljE_EEESW_SX_SY_S15_S19_S1B_T6_T7_T9_mT8_S1D_bDpT10_ENKUlT_T0_E_clISt17integral_constantIbLb1EES1P_IbLb0EEEEDaS1L_S1M_EUlS1L_E_NS1_11comp_targetILNS1_3genE8ELNS1_11target_archE1030ELNS1_3gpuE2ELNS1_3repE0EEENS1_30default_config_static_selectorELNS0_4arch9wavefront6targetE0EEEvSZ_.numbered_sgpr, 0
	.set _ZN7rocprim17ROCPRIM_400000_NS6detail17trampoline_kernelINS0_13select_configILj256ELj13ELNS0_17block_load_methodE3ELS4_3ELS4_3ELNS0_20block_scan_algorithmE0ELj4294967295EEENS1_25partition_config_selectorILNS1_17partition_subalgoE3EjNS0_10empty_typeEbEEZZNS1_14partition_implILS8_3ELb0ES6_jNS0_17counting_iteratorIjlEEPS9_SE_NS0_5tupleIJPjSE_EEENSF_IJSE_SE_EEES9_SG_JZNS1_25segmented_radix_sort_implINS0_14default_configELb0EPK6__halfPSL_PKlPlN2at6native12_GLOBAL__N_18offset_tEEE10hipError_tPvRmT1_PNSt15iterator_traitsISZ_E10value_typeET2_T3_PNS10_IS15_E10value_typeET4_jRbjT5_S1B_jjP12ihipStream_tbEUljE_EEESW_SX_SY_S15_S19_S1B_T6_T7_T9_mT8_S1D_bDpT10_ENKUlT_T0_E_clISt17integral_constantIbLb1EES1P_IbLb0EEEEDaS1L_S1M_EUlS1L_E_NS1_11comp_targetILNS1_3genE8ELNS1_11target_archE1030ELNS1_3gpuE2ELNS1_3repE0EEENS1_30default_config_static_selectorELNS0_4arch9wavefront6targetE0EEEvSZ_.num_named_barrier, 0
	.set _ZN7rocprim17ROCPRIM_400000_NS6detail17trampoline_kernelINS0_13select_configILj256ELj13ELNS0_17block_load_methodE3ELS4_3ELS4_3ELNS0_20block_scan_algorithmE0ELj4294967295EEENS1_25partition_config_selectorILNS1_17partition_subalgoE3EjNS0_10empty_typeEbEEZZNS1_14partition_implILS8_3ELb0ES6_jNS0_17counting_iteratorIjlEEPS9_SE_NS0_5tupleIJPjSE_EEENSF_IJSE_SE_EEES9_SG_JZNS1_25segmented_radix_sort_implINS0_14default_configELb0EPK6__halfPSL_PKlPlN2at6native12_GLOBAL__N_18offset_tEEE10hipError_tPvRmT1_PNSt15iterator_traitsISZ_E10value_typeET2_T3_PNS10_IS15_E10value_typeET4_jRbjT5_S1B_jjP12ihipStream_tbEUljE_EEESW_SX_SY_S15_S19_S1B_T6_T7_T9_mT8_S1D_bDpT10_ENKUlT_T0_E_clISt17integral_constantIbLb1EES1P_IbLb0EEEEDaS1L_S1M_EUlS1L_E_NS1_11comp_targetILNS1_3genE8ELNS1_11target_archE1030ELNS1_3gpuE2ELNS1_3repE0EEENS1_30default_config_static_selectorELNS0_4arch9wavefront6targetE0EEEvSZ_.private_seg_size, 0
	.set _ZN7rocprim17ROCPRIM_400000_NS6detail17trampoline_kernelINS0_13select_configILj256ELj13ELNS0_17block_load_methodE3ELS4_3ELS4_3ELNS0_20block_scan_algorithmE0ELj4294967295EEENS1_25partition_config_selectorILNS1_17partition_subalgoE3EjNS0_10empty_typeEbEEZZNS1_14partition_implILS8_3ELb0ES6_jNS0_17counting_iteratorIjlEEPS9_SE_NS0_5tupleIJPjSE_EEENSF_IJSE_SE_EEES9_SG_JZNS1_25segmented_radix_sort_implINS0_14default_configELb0EPK6__halfPSL_PKlPlN2at6native12_GLOBAL__N_18offset_tEEE10hipError_tPvRmT1_PNSt15iterator_traitsISZ_E10value_typeET2_T3_PNS10_IS15_E10value_typeET4_jRbjT5_S1B_jjP12ihipStream_tbEUljE_EEESW_SX_SY_S15_S19_S1B_T6_T7_T9_mT8_S1D_bDpT10_ENKUlT_T0_E_clISt17integral_constantIbLb1EES1P_IbLb0EEEEDaS1L_S1M_EUlS1L_E_NS1_11comp_targetILNS1_3genE8ELNS1_11target_archE1030ELNS1_3gpuE2ELNS1_3repE0EEENS1_30default_config_static_selectorELNS0_4arch9wavefront6targetE0EEEvSZ_.uses_vcc, 0
	.set _ZN7rocprim17ROCPRIM_400000_NS6detail17trampoline_kernelINS0_13select_configILj256ELj13ELNS0_17block_load_methodE3ELS4_3ELS4_3ELNS0_20block_scan_algorithmE0ELj4294967295EEENS1_25partition_config_selectorILNS1_17partition_subalgoE3EjNS0_10empty_typeEbEEZZNS1_14partition_implILS8_3ELb0ES6_jNS0_17counting_iteratorIjlEEPS9_SE_NS0_5tupleIJPjSE_EEENSF_IJSE_SE_EEES9_SG_JZNS1_25segmented_radix_sort_implINS0_14default_configELb0EPK6__halfPSL_PKlPlN2at6native12_GLOBAL__N_18offset_tEEE10hipError_tPvRmT1_PNSt15iterator_traitsISZ_E10value_typeET2_T3_PNS10_IS15_E10value_typeET4_jRbjT5_S1B_jjP12ihipStream_tbEUljE_EEESW_SX_SY_S15_S19_S1B_T6_T7_T9_mT8_S1D_bDpT10_ENKUlT_T0_E_clISt17integral_constantIbLb1EES1P_IbLb0EEEEDaS1L_S1M_EUlS1L_E_NS1_11comp_targetILNS1_3genE8ELNS1_11target_archE1030ELNS1_3gpuE2ELNS1_3repE0EEENS1_30default_config_static_selectorELNS0_4arch9wavefront6targetE0EEEvSZ_.uses_flat_scratch, 0
	.set _ZN7rocprim17ROCPRIM_400000_NS6detail17trampoline_kernelINS0_13select_configILj256ELj13ELNS0_17block_load_methodE3ELS4_3ELS4_3ELNS0_20block_scan_algorithmE0ELj4294967295EEENS1_25partition_config_selectorILNS1_17partition_subalgoE3EjNS0_10empty_typeEbEEZZNS1_14partition_implILS8_3ELb0ES6_jNS0_17counting_iteratorIjlEEPS9_SE_NS0_5tupleIJPjSE_EEENSF_IJSE_SE_EEES9_SG_JZNS1_25segmented_radix_sort_implINS0_14default_configELb0EPK6__halfPSL_PKlPlN2at6native12_GLOBAL__N_18offset_tEEE10hipError_tPvRmT1_PNSt15iterator_traitsISZ_E10value_typeET2_T3_PNS10_IS15_E10value_typeET4_jRbjT5_S1B_jjP12ihipStream_tbEUljE_EEESW_SX_SY_S15_S19_S1B_T6_T7_T9_mT8_S1D_bDpT10_ENKUlT_T0_E_clISt17integral_constantIbLb1EES1P_IbLb0EEEEDaS1L_S1M_EUlS1L_E_NS1_11comp_targetILNS1_3genE8ELNS1_11target_archE1030ELNS1_3gpuE2ELNS1_3repE0EEENS1_30default_config_static_selectorELNS0_4arch9wavefront6targetE0EEEvSZ_.has_dyn_sized_stack, 0
	.set _ZN7rocprim17ROCPRIM_400000_NS6detail17trampoline_kernelINS0_13select_configILj256ELj13ELNS0_17block_load_methodE3ELS4_3ELS4_3ELNS0_20block_scan_algorithmE0ELj4294967295EEENS1_25partition_config_selectorILNS1_17partition_subalgoE3EjNS0_10empty_typeEbEEZZNS1_14partition_implILS8_3ELb0ES6_jNS0_17counting_iteratorIjlEEPS9_SE_NS0_5tupleIJPjSE_EEENSF_IJSE_SE_EEES9_SG_JZNS1_25segmented_radix_sort_implINS0_14default_configELb0EPK6__halfPSL_PKlPlN2at6native12_GLOBAL__N_18offset_tEEE10hipError_tPvRmT1_PNSt15iterator_traitsISZ_E10value_typeET2_T3_PNS10_IS15_E10value_typeET4_jRbjT5_S1B_jjP12ihipStream_tbEUljE_EEESW_SX_SY_S15_S19_S1B_T6_T7_T9_mT8_S1D_bDpT10_ENKUlT_T0_E_clISt17integral_constantIbLb1EES1P_IbLb0EEEEDaS1L_S1M_EUlS1L_E_NS1_11comp_targetILNS1_3genE8ELNS1_11target_archE1030ELNS1_3gpuE2ELNS1_3repE0EEENS1_30default_config_static_selectorELNS0_4arch9wavefront6targetE0EEEvSZ_.has_recursion, 0
	.set _ZN7rocprim17ROCPRIM_400000_NS6detail17trampoline_kernelINS0_13select_configILj256ELj13ELNS0_17block_load_methodE3ELS4_3ELS4_3ELNS0_20block_scan_algorithmE0ELj4294967295EEENS1_25partition_config_selectorILNS1_17partition_subalgoE3EjNS0_10empty_typeEbEEZZNS1_14partition_implILS8_3ELb0ES6_jNS0_17counting_iteratorIjlEEPS9_SE_NS0_5tupleIJPjSE_EEENSF_IJSE_SE_EEES9_SG_JZNS1_25segmented_radix_sort_implINS0_14default_configELb0EPK6__halfPSL_PKlPlN2at6native12_GLOBAL__N_18offset_tEEE10hipError_tPvRmT1_PNSt15iterator_traitsISZ_E10value_typeET2_T3_PNS10_IS15_E10value_typeET4_jRbjT5_S1B_jjP12ihipStream_tbEUljE_EEESW_SX_SY_S15_S19_S1B_T6_T7_T9_mT8_S1D_bDpT10_ENKUlT_T0_E_clISt17integral_constantIbLb1EES1P_IbLb0EEEEDaS1L_S1M_EUlS1L_E_NS1_11comp_targetILNS1_3genE8ELNS1_11target_archE1030ELNS1_3gpuE2ELNS1_3repE0EEENS1_30default_config_static_selectorELNS0_4arch9wavefront6targetE0EEEvSZ_.has_indirect_call, 0
	.section	.AMDGPU.csdata,"",@progbits
; Kernel info:
; codeLenInByte = 4
; TotalNumSgprs: 0
; NumVgprs: 0
; ScratchSize: 0
; MemoryBound: 0
; FloatMode: 240
; IeeeMode: 1
; LDSByteSize: 0 bytes/workgroup (compile time only)
; SGPRBlocks: 0
; VGPRBlocks: 0
; NumSGPRsForWavesPerEU: 1
; NumVGPRsForWavesPerEU: 1
; Occupancy: 16
; WaveLimiterHint : 0
; COMPUTE_PGM_RSRC2:SCRATCH_EN: 0
; COMPUTE_PGM_RSRC2:USER_SGPR: 6
; COMPUTE_PGM_RSRC2:TRAP_HANDLER: 0
; COMPUTE_PGM_RSRC2:TGID_X_EN: 1
; COMPUTE_PGM_RSRC2:TGID_Y_EN: 0
; COMPUTE_PGM_RSRC2:TGID_Z_EN: 0
; COMPUTE_PGM_RSRC2:TIDIG_COMP_CNT: 0
	.section	.text._ZN7rocprim17ROCPRIM_400000_NS6detail17trampoline_kernelINS0_13select_configILj256ELj13ELNS0_17block_load_methodE3ELS4_3ELS4_3ELNS0_20block_scan_algorithmE0ELj4294967295EEENS1_25partition_config_selectorILNS1_17partition_subalgoE3EjNS0_10empty_typeEbEEZZNS1_14partition_implILS8_3ELb0ES6_jNS0_17counting_iteratorIjlEEPS9_SE_NS0_5tupleIJPjSE_EEENSF_IJSE_SE_EEES9_SG_JZNS1_25segmented_radix_sort_implINS0_14default_configELb0EPK6__halfPSL_PKlPlN2at6native12_GLOBAL__N_18offset_tEEE10hipError_tPvRmT1_PNSt15iterator_traitsISZ_E10value_typeET2_T3_PNS10_IS15_E10value_typeET4_jRbjT5_S1B_jjP12ihipStream_tbEUljE_EEESW_SX_SY_S15_S19_S1B_T6_T7_T9_mT8_S1D_bDpT10_ENKUlT_T0_E_clISt17integral_constantIbLb0EES1P_IbLb1EEEEDaS1L_S1M_EUlS1L_E_NS1_11comp_targetILNS1_3genE0ELNS1_11target_archE4294967295ELNS1_3gpuE0ELNS1_3repE0EEENS1_30default_config_static_selectorELNS0_4arch9wavefront6targetE0EEEvSZ_,"axG",@progbits,_ZN7rocprim17ROCPRIM_400000_NS6detail17trampoline_kernelINS0_13select_configILj256ELj13ELNS0_17block_load_methodE3ELS4_3ELS4_3ELNS0_20block_scan_algorithmE0ELj4294967295EEENS1_25partition_config_selectorILNS1_17partition_subalgoE3EjNS0_10empty_typeEbEEZZNS1_14partition_implILS8_3ELb0ES6_jNS0_17counting_iteratorIjlEEPS9_SE_NS0_5tupleIJPjSE_EEENSF_IJSE_SE_EEES9_SG_JZNS1_25segmented_radix_sort_implINS0_14default_configELb0EPK6__halfPSL_PKlPlN2at6native12_GLOBAL__N_18offset_tEEE10hipError_tPvRmT1_PNSt15iterator_traitsISZ_E10value_typeET2_T3_PNS10_IS15_E10value_typeET4_jRbjT5_S1B_jjP12ihipStream_tbEUljE_EEESW_SX_SY_S15_S19_S1B_T6_T7_T9_mT8_S1D_bDpT10_ENKUlT_T0_E_clISt17integral_constantIbLb0EES1P_IbLb1EEEEDaS1L_S1M_EUlS1L_E_NS1_11comp_targetILNS1_3genE0ELNS1_11target_archE4294967295ELNS1_3gpuE0ELNS1_3repE0EEENS1_30default_config_static_selectorELNS0_4arch9wavefront6targetE0EEEvSZ_,comdat
	.globl	_ZN7rocprim17ROCPRIM_400000_NS6detail17trampoline_kernelINS0_13select_configILj256ELj13ELNS0_17block_load_methodE3ELS4_3ELS4_3ELNS0_20block_scan_algorithmE0ELj4294967295EEENS1_25partition_config_selectorILNS1_17partition_subalgoE3EjNS0_10empty_typeEbEEZZNS1_14partition_implILS8_3ELb0ES6_jNS0_17counting_iteratorIjlEEPS9_SE_NS0_5tupleIJPjSE_EEENSF_IJSE_SE_EEES9_SG_JZNS1_25segmented_radix_sort_implINS0_14default_configELb0EPK6__halfPSL_PKlPlN2at6native12_GLOBAL__N_18offset_tEEE10hipError_tPvRmT1_PNSt15iterator_traitsISZ_E10value_typeET2_T3_PNS10_IS15_E10value_typeET4_jRbjT5_S1B_jjP12ihipStream_tbEUljE_EEESW_SX_SY_S15_S19_S1B_T6_T7_T9_mT8_S1D_bDpT10_ENKUlT_T0_E_clISt17integral_constantIbLb0EES1P_IbLb1EEEEDaS1L_S1M_EUlS1L_E_NS1_11comp_targetILNS1_3genE0ELNS1_11target_archE4294967295ELNS1_3gpuE0ELNS1_3repE0EEENS1_30default_config_static_selectorELNS0_4arch9wavefront6targetE0EEEvSZ_ ; -- Begin function _ZN7rocprim17ROCPRIM_400000_NS6detail17trampoline_kernelINS0_13select_configILj256ELj13ELNS0_17block_load_methodE3ELS4_3ELS4_3ELNS0_20block_scan_algorithmE0ELj4294967295EEENS1_25partition_config_selectorILNS1_17partition_subalgoE3EjNS0_10empty_typeEbEEZZNS1_14partition_implILS8_3ELb0ES6_jNS0_17counting_iteratorIjlEEPS9_SE_NS0_5tupleIJPjSE_EEENSF_IJSE_SE_EEES9_SG_JZNS1_25segmented_radix_sort_implINS0_14default_configELb0EPK6__halfPSL_PKlPlN2at6native12_GLOBAL__N_18offset_tEEE10hipError_tPvRmT1_PNSt15iterator_traitsISZ_E10value_typeET2_T3_PNS10_IS15_E10value_typeET4_jRbjT5_S1B_jjP12ihipStream_tbEUljE_EEESW_SX_SY_S15_S19_S1B_T6_T7_T9_mT8_S1D_bDpT10_ENKUlT_T0_E_clISt17integral_constantIbLb0EES1P_IbLb1EEEEDaS1L_S1M_EUlS1L_E_NS1_11comp_targetILNS1_3genE0ELNS1_11target_archE4294967295ELNS1_3gpuE0ELNS1_3repE0EEENS1_30default_config_static_selectorELNS0_4arch9wavefront6targetE0EEEvSZ_
	.p2align	8
	.type	_ZN7rocprim17ROCPRIM_400000_NS6detail17trampoline_kernelINS0_13select_configILj256ELj13ELNS0_17block_load_methodE3ELS4_3ELS4_3ELNS0_20block_scan_algorithmE0ELj4294967295EEENS1_25partition_config_selectorILNS1_17partition_subalgoE3EjNS0_10empty_typeEbEEZZNS1_14partition_implILS8_3ELb0ES6_jNS0_17counting_iteratorIjlEEPS9_SE_NS0_5tupleIJPjSE_EEENSF_IJSE_SE_EEES9_SG_JZNS1_25segmented_radix_sort_implINS0_14default_configELb0EPK6__halfPSL_PKlPlN2at6native12_GLOBAL__N_18offset_tEEE10hipError_tPvRmT1_PNSt15iterator_traitsISZ_E10value_typeET2_T3_PNS10_IS15_E10value_typeET4_jRbjT5_S1B_jjP12ihipStream_tbEUljE_EEESW_SX_SY_S15_S19_S1B_T6_T7_T9_mT8_S1D_bDpT10_ENKUlT_T0_E_clISt17integral_constantIbLb0EES1P_IbLb1EEEEDaS1L_S1M_EUlS1L_E_NS1_11comp_targetILNS1_3genE0ELNS1_11target_archE4294967295ELNS1_3gpuE0ELNS1_3repE0EEENS1_30default_config_static_selectorELNS0_4arch9wavefront6targetE0EEEvSZ_,@function
_ZN7rocprim17ROCPRIM_400000_NS6detail17trampoline_kernelINS0_13select_configILj256ELj13ELNS0_17block_load_methodE3ELS4_3ELS4_3ELNS0_20block_scan_algorithmE0ELj4294967295EEENS1_25partition_config_selectorILNS1_17partition_subalgoE3EjNS0_10empty_typeEbEEZZNS1_14partition_implILS8_3ELb0ES6_jNS0_17counting_iteratorIjlEEPS9_SE_NS0_5tupleIJPjSE_EEENSF_IJSE_SE_EEES9_SG_JZNS1_25segmented_radix_sort_implINS0_14default_configELb0EPK6__halfPSL_PKlPlN2at6native12_GLOBAL__N_18offset_tEEE10hipError_tPvRmT1_PNSt15iterator_traitsISZ_E10value_typeET2_T3_PNS10_IS15_E10value_typeET4_jRbjT5_S1B_jjP12ihipStream_tbEUljE_EEESW_SX_SY_S15_S19_S1B_T6_T7_T9_mT8_S1D_bDpT10_ENKUlT_T0_E_clISt17integral_constantIbLb0EES1P_IbLb1EEEEDaS1L_S1M_EUlS1L_E_NS1_11comp_targetILNS1_3genE0ELNS1_11target_archE4294967295ELNS1_3gpuE0ELNS1_3repE0EEENS1_30default_config_static_selectorELNS0_4arch9wavefront6targetE0EEEvSZ_: ; @_ZN7rocprim17ROCPRIM_400000_NS6detail17trampoline_kernelINS0_13select_configILj256ELj13ELNS0_17block_load_methodE3ELS4_3ELS4_3ELNS0_20block_scan_algorithmE0ELj4294967295EEENS1_25partition_config_selectorILNS1_17partition_subalgoE3EjNS0_10empty_typeEbEEZZNS1_14partition_implILS8_3ELb0ES6_jNS0_17counting_iteratorIjlEEPS9_SE_NS0_5tupleIJPjSE_EEENSF_IJSE_SE_EEES9_SG_JZNS1_25segmented_radix_sort_implINS0_14default_configELb0EPK6__halfPSL_PKlPlN2at6native12_GLOBAL__N_18offset_tEEE10hipError_tPvRmT1_PNSt15iterator_traitsISZ_E10value_typeET2_T3_PNS10_IS15_E10value_typeET4_jRbjT5_S1B_jjP12ihipStream_tbEUljE_EEESW_SX_SY_S15_S19_S1B_T6_T7_T9_mT8_S1D_bDpT10_ENKUlT_T0_E_clISt17integral_constantIbLb0EES1P_IbLb1EEEEDaS1L_S1M_EUlS1L_E_NS1_11comp_targetILNS1_3genE0ELNS1_11target_archE4294967295ELNS1_3gpuE0ELNS1_3repE0EEENS1_30default_config_static_selectorELNS0_4arch9wavefront6targetE0EEEvSZ_
; %bb.0:
	.section	.rodata,"a",@progbits
	.p2align	6, 0x0
	.amdhsa_kernel _ZN7rocprim17ROCPRIM_400000_NS6detail17trampoline_kernelINS0_13select_configILj256ELj13ELNS0_17block_load_methodE3ELS4_3ELS4_3ELNS0_20block_scan_algorithmE0ELj4294967295EEENS1_25partition_config_selectorILNS1_17partition_subalgoE3EjNS0_10empty_typeEbEEZZNS1_14partition_implILS8_3ELb0ES6_jNS0_17counting_iteratorIjlEEPS9_SE_NS0_5tupleIJPjSE_EEENSF_IJSE_SE_EEES9_SG_JZNS1_25segmented_radix_sort_implINS0_14default_configELb0EPK6__halfPSL_PKlPlN2at6native12_GLOBAL__N_18offset_tEEE10hipError_tPvRmT1_PNSt15iterator_traitsISZ_E10value_typeET2_T3_PNS10_IS15_E10value_typeET4_jRbjT5_S1B_jjP12ihipStream_tbEUljE_EEESW_SX_SY_S15_S19_S1B_T6_T7_T9_mT8_S1D_bDpT10_ENKUlT_T0_E_clISt17integral_constantIbLb0EES1P_IbLb1EEEEDaS1L_S1M_EUlS1L_E_NS1_11comp_targetILNS1_3genE0ELNS1_11target_archE4294967295ELNS1_3gpuE0ELNS1_3repE0EEENS1_30default_config_static_selectorELNS0_4arch9wavefront6targetE0EEEvSZ_
		.amdhsa_group_segment_fixed_size 0
		.amdhsa_private_segment_fixed_size 0
		.amdhsa_kernarg_size 152
		.amdhsa_user_sgpr_count 6
		.amdhsa_user_sgpr_private_segment_buffer 1
		.amdhsa_user_sgpr_dispatch_ptr 0
		.amdhsa_user_sgpr_queue_ptr 0
		.amdhsa_user_sgpr_kernarg_segment_ptr 1
		.amdhsa_user_sgpr_dispatch_id 0
		.amdhsa_user_sgpr_flat_scratch_init 0
		.amdhsa_user_sgpr_private_segment_size 0
		.amdhsa_wavefront_size32 1
		.amdhsa_uses_dynamic_stack 0
		.amdhsa_system_sgpr_private_segment_wavefront_offset 0
		.amdhsa_system_sgpr_workgroup_id_x 1
		.amdhsa_system_sgpr_workgroup_id_y 0
		.amdhsa_system_sgpr_workgroup_id_z 0
		.amdhsa_system_sgpr_workgroup_info 0
		.amdhsa_system_vgpr_workitem_id 0
		.amdhsa_next_free_vgpr 1
		.amdhsa_next_free_sgpr 1
		.amdhsa_reserve_vcc 0
		.amdhsa_reserve_flat_scratch 0
		.amdhsa_float_round_mode_32 0
		.amdhsa_float_round_mode_16_64 0
		.amdhsa_float_denorm_mode_32 3
		.amdhsa_float_denorm_mode_16_64 3
		.amdhsa_dx10_clamp 1
		.amdhsa_ieee_mode 1
		.amdhsa_fp16_overflow 0
		.amdhsa_workgroup_processor_mode 1
		.amdhsa_memory_ordered 1
		.amdhsa_forward_progress 1
		.amdhsa_shared_vgpr_count 0
		.amdhsa_exception_fp_ieee_invalid_op 0
		.amdhsa_exception_fp_denorm_src 0
		.amdhsa_exception_fp_ieee_div_zero 0
		.amdhsa_exception_fp_ieee_overflow 0
		.amdhsa_exception_fp_ieee_underflow 0
		.amdhsa_exception_fp_ieee_inexact 0
		.amdhsa_exception_int_div_zero 0
	.end_amdhsa_kernel
	.section	.text._ZN7rocprim17ROCPRIM_400000_NS6detail17trampoline_kernelINS0_13select_configILj256ELj13ELNS0_17block_load_methodE3ELS4_3ELS4_3ELNS0_20block_scan_algorithmE0ELj4294967295EEENS1_25partition_config_selectorILNS1_17partition_subalgoE3EjNS0_10empty_typeEbEEZZNS1_14partition_implILS8_3ELb0ES6_jNS0_17counting_iteratorIjlEEPS9_SE_NS0_5tupleIJPjSE_EEENSF_IJSE_SE_EEES9_SG_JZNS1_25segmented_radix_sort_implINS0_14default_configELb0EPK6__halfPSL_PKlPlN2at6native12_GLOBAL__N_18offset_tEEE10hipError_tPvRmT1_PNSt15iterator_traitsISZ_E10value_typeET2_T3_PNS10_IS15_E10value_typeET4_jRbjT5_S1B_jjP12ihipStream_tbEUljE_EEESW_SX_SY_S15_S19_S1B_T6_T7_T9_mT8_S1D_bDpT10_ENKUlT_T0_E_clISt17integral_constantIbLb0EES1P_IbLb1EEEEDaS1L_S1M_EUlS1L_E_NS1_11comp_targetILNS1_3genE0ELNS1_11target_archE4294967295ELNS1_3gpuE0ELNS1_3repE0EEENS1_30default_config_static_selectorELNS0_4arch9wavefront6targetE0EEEvSZ_,"axG",@progbits,_ZN7rocprim17ROCPRIM_400000_NS6detail17trampoline_kernelINS0_13select_configILj256ELj13ELNS0_17block_load_methodE3ELS4_3ELS4_3ELNS0_20block_scan_algorithmE0ELj4294967295EEENS1_25partition_config_selectorILNS1_17partition_subalgoE3EjNS0_10empty_typeEbEEZZNS1_14partition_implILS8_3ELb0ES6_jNS0_17counting_iteratorIjlEEPS9_SE_NS0_5tupleIJPjSE_EEENSF_IJSE_SE_EEES9_SG_JZNS1_25segmented_radix_sort_implINS0_14default_configELb0EPK6__halfPSL_PKlPlN2at6native12_GLOBAL__N_18offset_tEEE10hipError_tPvRmT1_PNSt15iterator_traitsISZ_E10value_typeET2_T3_PNS10_IS15_E10value_typeET4_jRbjT5_S1B_jjP12ihipStream_tbEUljE_EEESW_SX_SY_S15_S19_S1B_T6_T7_T9_mT8_S1D_bDpT10_ENKUlT_T0_E_clISt17integral_constantIbLb0EES1P_IbLb1EEEEDaS1L_S1M_EUlS1L_E_NS1_11comp_targetILNS1_3genE0ELNS1_11target_archE4294967295ELNS1_3gpuE0ELNS1_3repE0EEENS1_30default_config_static_selectorELNS0_4arch9wavefront6targetE0EEEvSZ_,comdat
.Lfunc_end1824:
	.size	_ZN7rocprim17ROCPRIM_400000_NS6detail17trampoline_kernelINS0_13select_configILj256ELj13ELNS0_17block_load_methodE3ELS4_3ELS4_3ELNS0_20block_scan_algorithmE0ELj4294967295EEENS1_25partition_config_selectorILNS1_17partition_subalgoE3EjNS0_10empty_typeEbEEZZNS1_14partition_implILS8_3ELb0ES6_jNS0_17counting_iteratorIjlEEPS9_SE_NS0_5tupleIJPjSE_EEENSF_IJSE_SE_EEES9_SG_JZNS1_25segmented_radix_sort_implINS0_14default_configELb0EPK6__halfPSL_PKlPlN2at6native12_GLOBAL__N_18offset_tEEE10hipError_tPvRmT1_PNSt15iterator_traitsISZ_E10value_typeET2_T3_PNS10_IS15_E10value_typeET4_jRbjT5_S1B_jjP12ihipStream_tbEUljE_EEESW_SX_SY_S15_S19_S1B_T6_T7_T9_mT8_S1D_bDpT10_ENKUlT_T0_E_clISt17integral_constantIbLb0EES1P_IbLb1EEEEDaS1L_S1M_EUlS1L_E_NS1_11comp_targetILNS1_3genE0ELNS1_11target_archE4294967295ELNS1_3gpuE0ELNS1_3repE0EEENS1_30default_config_static_selectorELNS0_4arch9wavefront6targetE0EEEvSZ_, .Lfunc_end1824-_ZN7rocprim17ROCPRIM_400000_NS6detail17trampoline_kernelINS0_13select_configILj256ELj13ELNS0_17block_load_methodE3ELS4_3ELS4_3ELNS0_20block_scan_algorithmE0ELj4294967295EEENS1_25partition_config_selectorILNS1_17partition_subalgoE3EjNS0_10empty_typeEbEEZZNS1_14partition_implILS8_3ELb0ES6_jNS0_17counting_iteratorIjlEEPS9_SE_NS0_5tupleIJPjSE_EEENSF_IJSE_SE_EEES9_SG_JZNS1_25segmented_radix_sort_implINS0_14default_configELb0EPK6__halfPSL_PKlPlN2at6native12_GLOBAL__N_18offset_tEEE10hipError_tPvRmT1_PNSt15iterator_traitsISZ_E10value_typeET2_T3_PNS10_IS15_E10value_typeET4_jRbjT5_S1B_jjP12ihipStream_tbEUljE_EEESW_SX_SY_S15_S19_S1B_T6_T7_T9_mT8_S1D_bDpT10_ENKUlT_T0_E_clISt17integral_constantIbLb0EES1P_IbLb1EEEEDaS1L_S1M_EUlS1L_E_NS1_11comp_targetILNS1_3genE0ELNS1_11target_archE4294967295ELNS1_3gpuE0ELNS1_3repE0EEENS1_30default_config_static_selectorELNS0_4arch9wavefront6targetE0EEEvSZ_
                                        ; -- End function
	.set _ZN7rocprim17ROCPRIM_400000_NS6detail17trampoline_kernelINS0_13select_configILj256ELj13ELNS0_17block_load_methodE3ELS4_3ELS4_3ELNS0_20block_scan_algorithmE0ELj4294967295EEENS1_25partition_config_selectorILNS1_17partition_subalgoE3EjNS0_10empty_typeEbEEZZNS1_14partition_implILS8_3ELb0ES6_jNS0_17counting_iteratorIjlEEPS9_SE_NS0_5tupleIJPjSE_EEENSF_IJSE_SE_EEES9_SG_JZNS1_25segmented_radix_sort_implINS0_14default_configELb0EPK6__halfPSL_PKlPlN2at6native12_GLOBAL__N_18offset_tEEE10hipError_tPvRmT1_PNSt15iterator_traitsISZ_E10value_typeET2_T3_PNS10_IS15_E10value_typeET4_jRbjT5_S1B_jjP12ihipStream_tbEUljE_EEESW_SX_SY_S15_S19_S1B_T6_T7_T9_mT8_S1D_bDpT10_ENKUlT_T0_E_clISt17integral_constantIbLb0EES1P_IbLb1EEEEDaS1L_S1M_EUlS1L_E_NS1_11comp_targetILNS1_3genE0ELNS1_11target_archE4294967295ELNS1_3gpuE0ELNS1_3repE0EEENS1_30default_config_static_selectorELNS0_4arch9wavefront6targetE0EEEvSZ_.num_vgpr, 0
	.set _ZN7rocprim17ROCPRIM_400000_NS6detail17trampoline_kernelINS0_13select_configILj256ELj13ELNS0_17block_load_methodE3ELS4_3ELS4_3ELNS0_20block_scan_algorithmE0ELj4294967295EEENS1_25partition_config_selectorILNS1_17partition_subalgoE3EjNS0_10empty_typeEbEEZZNS1_14partition_implILS8_3ELb0ES6_jNS0_17counting_iteratorIjlEEPS9_SE_NS0_5tupleIJPjSE_EEENSF_IJSE_SE_EEES9_SG_JZNS1_25segmented_radix_sort_implINS0_14default_configELb0EPK6__halfPSL_PKlPlN2at6native12_GLOBAL__N_18offset_tEEE10hipError_tPvRmT1_PNSt15iterator_traitsISZ_E10value_typeET2_T3_PNS10_IS15_E10value_typeET4_jRbjT5_S1B_jjP12ihipStream_tbEUljE_EEESW_SX_SY_S15_S19_S1B_T6_T7_T9_mT8_S1D_bDpT10_ENKUlT_T0_E_clISt17integral_constantIbLb0EES1P_IbLb1EEEEDaS1L_S1M_EUlS1L_E_NS1_11comp_targetILNS1_3genE0ELNS1_11target_archE4294967295ELNS1_3gpuE0ELNS1_3repE0EEENS1_30default_config_static_selectorELNS0_4arch9wavefront6targetE0EEEvSZ_.num_agpr, 0
	.set _ZN7rocprim17ROCPRIM_400000_NS6detail17trampoline_kernelINS0_13select_configILj256ELj13ELNS0_17block_load_methodE3ELS4_3ELS4_3ELNS0_20block_scan_algorithmE0ELj4294967295EEENS1_25partition_config_selectorILNS1_17partition_subalgoE3EjNS0_10empty_typeEbEEZZNS1_14partition_implILS8_3ELb0ES6_jNS0_17counting_iteratorIjlEEPS9_SE_NS0_5tupleIJPjSE_EEENSF_IJSE_SE_EEES9_SG_JZNS1_25segmented_radix_sort_implINS0_14default_configELb0EPK6__halfPSL_PKlPlN2at6native12_GLOBAL__N_18offset_tEEE10hipError_tPvRmT1_PNSt15iterator_traitsISZ_E10value_typeET2_T3_PNS10_IS15_E10value_typeET4_jRbjT5_S1B_jjP12ihipStream_tbEUljE_EEESW_SX_SY_S15_S19_S1B_T6_T7_T9_mT8_S1D_bDpT10_ENKUlT_T0_E_clISt17integral_constantIbLb0EES1P_IbLb1EEEEDaS1L_S1M_EUlS1L_E_NS1_11comp_targetILNS1_3genE0ELNS1_11target_archE4294967295ELNS1_3gpuE0ELNS1_3repE0EEENS1_30default_config_static_selectorELNS0_4arch9wavefront6targetE0EEEvSZ_.numbered_sgpr, 0
	.set _ZN7rocprim17ROCPRIM_400000_NS6detail17trampoline_kernelINS0_13select_configILj256ELj13ELNS0_17block_load_methodE3ELS4_3ELS4_3ELNS0_20block_scan_algorithmE0ELj4294967295EEENS1_25partition_config_selectorILNS1_17partition_subalgoE3EjNS0_10empty_typeEbEEZZNS1_14partition_implILS8_3ELb0ES6_jNS0_17counting_iteratorIjlEEPS9_SE_NS0_5tupleIJPjSE_EEENSF_IJSE_SE_EEES9_SG_JZNS1_25segmented_radix_sort_implINS0_14default_configELb0EPK6__halfPSL_PKlPlN2at6native12_GLOBAL__N_18offset_tEEE10hipError_tPvRmT1_PNSt15iterator_traitsISZ_E10value_typeET2_T3_PNS10_IS15_E10value_typeET4_jRbjT5_S1B_jjP12ihipStream_tbEUljE_EEESW_SX_SY_S15_S19_S1B_T6_T7_T9_mT8_S1D_bDpT10_ENKUlT_T0_E_clISt17integral_constantIbLb0EES1P_IbLb1EEEEDaS1L_S1M_EUlS1L_E_NS1_11comp_targetILNS1_3genE0ELNS1_11target_archE4294967295ELNS1_3gpuE0ELNS1_3repE0EEENS1_30default_config_static_selectorELNS0_4arch9wavefront6targetE0EEEvSZ_.num_named_barrier, 0
	.set _ZN7rocprim17ROCPRIM_400000_NS6detail17trampoline_kernelINS0_13select_configILj256ELj13ELNS0_17block_load_methodE3ELS4_3ELS4_3ELNS0_20block_scan_algorithmE0ELj4294967295EEENS1_25partition_config_selectorILNS1_17partition_subalgoE3EjNS0_10empty_typeEbEEZZNS1_14partition_implILS8_3ELb0ES6_jNS0_17counting_iteratorIjlEEPS9_SE_NS0_5tupleIJPjSE_EEENSF_IJSE_SE_EEES9_SG_JZNS1_25segmented_radix_sort_implINS0_14default_configELb0EPK6__halfPSL_PKlPlN2at6native12_GLOBAL__N_18offset_tEEE10hipError_tPvRmT1_PNSt15iterator_traitsISZ_E10value_typeET2_T3_PNS10_IS15_E10value_typeET4_jRbjT5_S1B_jjP12ihipStream_tbEUljE_EEESW_SX_SY_S15_S19_S1B_T6_T7_T9_mT8_S1D_bDpT10_ENKUlT_T0_E_clISt17integral_constantIbLb0EES1P_IbLb1EEEEDaS1L_S1M_EUlS1L_E_NS1_11comp_targetILNS1_3genE0ELNS1_11target_archE4294967295ELNS1_3gpuE0ELNS1_3repE0EEENS1_30default_config_static_selectorELNS0_4arch9wavefront6targetE0EEEvSZ_.private_seg_size, 0
	.set _ZN7rocprim17ROCPRIM_400000_NS6detail17trampoline_kernelINS0_13select_configILj256ELj13ELNS0_17block_load_methodE3ELS4_3ELS4_3ELNS0_20block_scan_algorithmE0ELj4294967295EEENS1_25partition_config_selectorILNS1_17partition_subalgoE3EjNS0_10empty_typeEbEEZZNS1_14partition_implILS8_3ELb0ES6_jNS0_17counting_iteratorIjlEEPS9_SE_NS0_5tupleIJPjSE_EEENSF_IJSE_SE_EEES9_SG_JZNS1_25segmented_radix_sort_implINS0_14default_configELb0EPK6__halfPSL_PKlPlN2at6native12_GLOBAL__N_18offset_tEEE10hipError_tPvRmT1_PNSt15iterator_traitsISZ_E10value_typeET2_T3_PNS10_IS15_E10value_typeET4_jRbjT5_S1B_jjP12ihipStream_tbEUljE_EEESW_SX_SY_S15_S19_S1B_T6_T7_T9_mT8_S1D_bDpT10_ENKUlT_T0_E_clISt17integral_constantIbLb0EES1P_IbLb1EEEEDaS1L_S1M_EUlS1L_E_NS1_11comp_targetILNS1_3genE0ELNS1_11target_archE4294967295ELNS1_3gpuE0ELNS1_3repE0EEENS1_30default_config_static_selectorELNS0_4arch9wavefront6targetE0EEEvSZ_.uses_vcc, 0
	.set _ZN7rocprim17ROCPRIM_400000_NS6detail17trampoline_kernelINS0_13select_configILj256ELj13ELNS0_17block_load_methodE3ELS4_3ELS4_3ELNS0_20block_scan_algorithmE0ELj4294967295EEENS1_25partition_config_selectorILNS1_17partition_subalgoE3EjNS0_10empty_typeEbEEZZNS1_14partition_implILS8_3ELb0ES6_jNS0_17counting_iteratorIjlEEPS9_SE_NS0_5tupleIJPjSE_EEENSF_IJSE_SE_EEES9_SG_JZNS1_25segmented_radix_sort_implINS0_14default_configELb0EPK6__halfPSL_PKlPlN2at6native12_GLOBAL__N_18offset_tEEE10hipError_tPvRmT1_PNSt15iterator_traitsISZ_E10value_typeET2_T3_PNS10_IS15_E10value_typeET4_jRbjT5_S1B_jjP12ihipStream_tbEUljE_EEESW_SX_SY_S15_S19_S1B_T6_T7_T9_mT8_S1D_bDpT10_ENKUlT_T0_E_clISt17integral_constantIbLb0EES1P_IbLb1EEEEDaS1L_S1M_EUlS1L_E_NS1_11comp_targetILNS1_3genE0ELNS1_11target_archE4294967295ELNS1_3gpuE0ELNS1_3repE0EEENS1_30default_config_static_selectorELNS0_4arch9wavefront6targetE0EEEvSZ_.uses_flat_scratch, 0
	.set _ZN7rocprim17ROCPRIM_400000_NS6detail17trampoline_kernelINS0_13select_configILj256ELj13ELNS0_17block_load_methodE3ELS4_3ELS4_3ELNS0_20block_scan_algorithmE0ELj4294967295EEENS1_25partition_config_selectorILNS1_17partition_subalgoE3EjNS0_10empty_typeEbEEZZNS1_14partition_implILS8_3ELb0ES6_jNS0_17counting_iteratorIjlEEPS9_SE_NS0_5tupleIJPjSE_EEENSF_IJSE_SE_EEES9_SG_JZNS1_25segmented_radix_sort_implINS0_14default_configELb0EPK6__halfPSL_PKlPlN2at6native12_GLOBAL__N_18offset_tEEE10hipError_tPvRmT1_PNSt15iterator_traitsISZ_E10value_typeET2_T3_PNS10_IS15_E10value_typeET4_jRbjT5_S1B_jjP12ihipStream_tbEUljE_EEESW_SX_SY_S15_S19_S1B_T6_T7_T9_mT8_S1D_bDpT10_ENKUlT_T0_E_clISt17integral_constantIbLb0EES1P_IbLb1EEEEDaS1L_S1M_EUlS1L_E_NS1_11comp_targetILNS1_3genE0ELNS1_11target_archE4294967295ELNS1_3gpuE0ELNS1_3repE0EEENS1_30default_config_static_selectorELNS0_4arch9wavefront6targetE0EEEvSZ_.has_dyn_sized_stack, 0
	.set _ZN7rocprim17ROCPRIM_400000_NS6detail17trampoline_kernelINS0_13select_configILj256ELj13ELNS0_17block_load_methodE3ELS4_3ELS4_3ELNS0_20block_scan_algorithmE0ELj4294967295EEENS1_25partition_config_selectorILNS1_17partition_subalgoE3EjNS0_10empty_typeEbEEZZNS1_14partition_implILS8_3ELb0ES6_jNS0_17counting_iteratorIjlEEPS9_SE_NS0_5tupleIJPjSE_EEENSF_IJSE_SE_EEES9_SG_JZNS1_25segmented_radix_sort_implINS0_14default_configELb0EPK6__halfPSL_PKlPlN2at6native12_GLOBAL__N_18offset_tEEE10hipError_tPvRmT1_PNSt15iterator_traitsISZ_E10value_typeET2_T3_PNS10_IS15_E10value_typeET4_jRbjT5_S1B_jjP12ihipStream_tbEUljE_EEESW_SX_SY_S15_S19_S1B_T6_T7_T9_mT8_S1D_bDpT10_ENKUlT_T0_E_clISt17integral_constantIbLb0EES1P_IbLb1EEEEDaS1L_S1M_EUlS1L_E_NS1_11comp_targetILNS1_3genE0ELNS1_11target_archE4294967295ELNS1_3gpuE0ELNS1_3repE0EEENS1_30default_config_static_selectorELNS0_4arch9wavefront6targetE0EEEvSZ_.has_recursion, 0
	.set _ZN7rocprim17ROCPRIM_400000_NS6detail17trampoline_kernelINS0_13select_configILj256ELj13ELNS0_17block_load_methodE3ELS4_3ELS4_3ELNS0_20block_scan_algorithmE0ELj4294967295EEENS1_25partition_config_selectorILNS1_17partition_subalgoE3EjNS0_10empty_typeEbEEZZNS1_14partition_implILS8_3ELb0ES6_jNS0_17counting_iteratorIjlEEPS9_SE_NS0_5tupleIJPjSE_EEENSF_IJSE_SE_EEES9_SG_JZNS1_25segmented_radix_sort_implINS0_14default_configELb0EPK6__halfPSL_PKlPlN2at6native12_GLOBAL__N_18offset_tEEE10hipError_tPvRmT1_PNSt15iterator_traitsISZ_E10value_typeET2_T3_PNS10_IS15_E10value_typeET4_jRbjT5_S1B_jjP12ihipStream_tbEUljE_EEESW_SX_SY_S15_S19_S1B_T6_T7_T9_mT8_S1D_bDpT10_ENKUlT_T0_E_clISt17integral_constantIbLb0EES1P_IbLb1EEEEDaS1L_S1M_EUlS1L_E_NS1_11comp_targetILNS1_3genE0ELNS1_11target_archE4294967295ELNS1_3gpuE0ELNS1_3repE0EEENS1_30default_config_static_selectorELNS0_4arch9wavefront6targetE0EEEvSZ_.has_indirect_call, 0
	.section	.AMDGPU.csdata,"",@progbits
; Kernel info:
; codeLenInByte = 0
; TotalNumSgprs: 0
; NumVgprs: 0
; ScratchSize: 0
; MemoryBound: 0
; FloatMode: 240
; IeeeMode: 1
; LDSByteSize: 0 bytes/workgroup (compile time only)
; SGPRBlocks: 0
; VGPRBlocks: 0
; NumSGPRsForWavesPerEU: 1
; NumVGPRsForWavesPerEU: 1
; Occupancy: 16
; WaveLimiterHint : 0
; COMPUTE_PGM_RSRC2:SCRATCH_EN: 0
; COMPUTE_PGM_RSRC2:USER_SGPR: 6
; COMPUTE_PGM_RSRC2:TRAP_HANDLER: 0
; COMPUTE_PGM_RSRC2:TGID_X_EN: 1
; COMPUTE_PGM_RSRC2:TGID_Y_EN: 0
; COMPUTE_PGM_RSRC2:TGID_Z_EN: 0
; COMPUTE_PGM_RSRC2:TIDIG_COMP_CNT: 0
	.section	.text._ZN7rocprim17ROCPRIM_400000_NS6detail17trampoline_kernelINS0_13select_configILj256ELj13ELNS0_17block_load_methodE3ELS4_3ELS4_3ELNS0_20block_scan_algorithmE0ELj4294967295EEENS1_25partition_config_selectorILNS1_17partition_subalgoE3EjNS0_10empty_typeEbEEZZNS1_14partition_implILS8_3ELb0ES6_jNS0_17counting_iteratorIjlEEPS9_SE_NS0_5tupleIJPjSE_EEENSF_IJSE_SE_EEES9_SG_JZNS1_25segmented_radix_sort_implINS0_14default_configELb0EPK6__halfPSL_PKlPlN2at6native12_GLOBAL__N_18offset_tEEE10hipError_tPvRmT1_PNSt15iterator_traitsISZ_E10value_typeET2_T3_PNS10_IS15_E10value_typeET4_jRbjT5_S1B_jjP12ihipStream_tbEUljE_EEESW_SX_SY_S15_S19_S1B_T6_T7_T9_mT8_S1D_bDpT10_ENKUlT_T0_E_clISt17integral_constantIbLb0EES1P_IbLb1EEEEDaS1L_S1M_EUlS1L_E_NS1_11comp_targetILNS1_3genE5ELNS1_11target_archE942ELNS1_3gpuE9ELNS1_3repE0EEENS1_30default_config_static_selectorELNS0_4arch9wavefront6targetE0EEEvSZ_,"axG",@progbits,_ZN7rocprim17ROCPRIM_400000_NS6detail17trampoline_kernelINS0_13select_configILj256ELj13ELNS0_17block_load_methodE3ELS4_3ELS4_3ELNS0_20block_scan_algorithmE0ELj4294967295EEENS1_25partition_config_selectorILNS1_17partition_subalgoE3EjNS0_10empty_typeEbEEZZNS1_14partition_implILS8_3ELb0ES6_jNS0_17counting_iteratorIjlEEPS9_SE_NS0_5tupleIJPjSE_EEENSF_IJSE_SE_EEES9_SG_JZNS1_25segmented_radix_sort_implINS0_14default_configELb0EPK6__halfPSL_PKlPlN2at6native12_GLOBAL__N_18offset_tEEE10hipError_tPvRmT1_PNSt15iterator_traitsISZ_E10value_typeET2_T3_PNS10_IS15_E10value_typeET4_jRbjT5_S1B_jjP12ihipStream_tbEUljE_EEESW_SX_SY_S15_S19_S1B_T6_T7_T9_mT8_S1D_bDpT10_ENKUlT_T0_E_clISt17integral_constantIbLb0EES1P_IbLb1EEEEDaS1L_S1M_EUlS1L_E_NS1_11comp_targetILNS1_3genE5ELNS1_11target_archE942ELNS1_3gpuE9ELNS1_3repE0EEENS1_30default_config_static_selectorELNS0_4arch9wavefront6targetE0EEEvSZ_,comdat
	.globl	_ZN7rocprim17ROCPRIM_400000_NS6detail17trampoline_kernelINS0_13select_configILj256ELj13ELNS0_17block_load_methodE3ELS4_3ELS4_3ELNS0_20block_scan_algorithmE0ELj4294967295EEENS1_25partition_config_selectorILNS1_17partition_subalgoE3EjNS0_10empty_typeEbEEZZNS1_14partition_implILS8_3ELb0ES6_jNS0_17counting_iteratorIjlEEPS9_SE_NS0_5tupleIJPjSE_EEENSF_IJSE_SE_EEES9_SG_JZNS1_25segmented_radix_sort_implINS0_14default_configELb0EPK6__halfPSL_PKlPlN2at6native12_GLOBAL__N_18offset_tEEE10hipError_tPvRmT1_PNSt15iterator_traitsISZ_E10value_typeET2_T3_PNS10_IS15_E10value_typeET4_jRbjT5_S1B_jjP12ihipStream_tbEUljE_EEESW_SX_SY_S15_S19_S1B_T6_T7_T9_mT8_S1D_bDpT10_ENKUlT_T0_E_clISt17integral_constantIbLb0EES1P_IbLb1EEEEDaS1L_S1M_EUlS1L_E_NS1_11comp_targetILNS1_3genE5ELNS1_11target_archE942ELNS1_3gpuE9ELNS1_3repE0EEENS1_30default_config_static_selectorELNS0_4arch9wavefront6targetE0EEEvSZ_ ; -- Begin function _ZN7rocprim17ROCPRIM_400000_NS6detail17trampoline_kernelINS0_13select_configILj256ELj13ELNS0_17block_load_methodE3ELS4_3ELS4_3ELNS0_20block_scan_algorithmE0ELj4294967295EEENS1_25partition_config_selectorILNS1_17partition_subalgoE3EjNS0_10empty_typeEbEEZZNS1_14partition_implILS8_3ELb0ES6_jNS0_17counting_iteratorIjlEEPS9_SE_NS0_5tupleIJPjSE_EEENSF_IJSE_SE_EEES9_SG_JZNS1_25segmented_radix_sort_implINS0_14default_configELb0EPK6__halfPSL_PKlPlN2at6native12_GLOBAL__N_18offset_tEEE10hipError_tPvRmT1_PNSt15iterator_traitsISZ_E10value_typeET2_T3_PNS10_IS15_E10value_typeET4_jRbjT5_S1B_jjP12ihipStream_tbEUljE_EEESW_SX_SY_S15_S19_S1B_T6_T7_T9_mT8_S1D_bDpT10_ENKUlT_T0_E_clISt17integral_constantIbLb0EES1P_IbLb1EEEEDaS1L_S1M_EUlS1L_E_NS1_11comp_targetILNS1_3genE5ELNS1_11target_archE942ELNS1_3gpuE9ELNS1_3repE0EEENS1_30default_config_static_selectorELNS0_4arch9wavefront6targetE0EEEvSZ_
	.p2align	8
	.type	_ZN7rocprim17ROCPRIM_400000_NS6detail17trampoline_kernelINS0_13select_configILj256ELj13ELNS0_17block_load_methodE3ELS4_3ELS4_3ELNS0_20block_scan_algorithmE0ELj4294967295EEENS1_25partition_config_selectorILNS1_17partition_subalgoE3EjNS0_10empty_typeEbEEZZNS1_14partition_implILS8_3ELb0ES6_jNS0_17counting_iteratorIjlEEPS9_SE_NS0_5tupleIJPjSE_EEENSF_IJSE_SE_EEES9_SG_JZNS1_25segmented_radix_sort_implINS0_14default_configELb0EPK6__halfPSL_PKlPlN2at6native12_GLOBAL__N_18offset_tEEE10hipError_tPvRmT1_PNSt15iterator_traitsISZ_E10value_typeET2_T3_PNS10_IS15_E10value_typeET4_jRbjT5_S1B_jjP12ihipStream_tbEUljE_EEESW_SX_SY_S15_S19_S1B_T6_T7_T9_mT8_S1D_bDpT10_ENKUlT_T0_E_clISt17integral_constantIbLb0EES1P_IbLb1EEEEDaS1L_S1M_EUlS1L_E_NS1_11comp_targetILNS1_3genE5ELNS1_11target_archE942ELNS1_3gpuE9ELNS1_3repE0EEENS1_30default_config_static_selectorELNS0_4arch9wavefront6targetE0EEEvSZ_,@function
_ZN7rocprim17ROCPRIM_400000_NS6detail17trampoline_kernelINS0_13select_configILj256ELj13ELNS0_17block_load_methodE3ELS4_3ELS4_3ELNS0_20block_scan_algorithmE0ELj4294967295EEENS1_25partition_config_selectorILNS1_17partition_subalgoE3EjNS0_10empty_typeEbEEZZNS1_14partition_implILS8_3ELb0ES6_jNS0_17counting_iteratorIjlEEPS9_SE_NS0_5tupleIJPjSE_EEENSF_IJSE_SE_EEES9_SG_JZNS1_25segmented_radix_sort_implINS0_14default_configELb0EPK6__halfPSL_PKlPlN2at6native12_GLOBAL__N_18offset_tEEE10hipError_tPvRmT1_PNSt15iterator_traitsISZ_E10value_typeET2_T3_PNS10_IS15_E10value_typeET4_jRbjT5_S1B_jjP12ihipStream_tbEUljE_EEESW_SX_SY_S15_S19_S1B_T6_T7_T9_mT8_S1D_bDpT10_ENKUlT_T0_E_clISt17integral_constantIbLb0EES1P_IbLb1EEEEDaS1L_S1M_EUlS1L_E_NS1_11comp_targetILNS1_3genE5ELNS1_11target_archE942ELNS1_3gpuE9ELNS1_3repE0EEENS1_30default_config_static_selectorELNS0_4arch9wavefront6targetE0EEEvSZ_: ; @_ZN7rocprim17ROCPRIM_400000_NS6detail17trampoline_kernelINS0_13select_configILj256ELj13ELNS0_17block_load_methodE3ELS4_3ELS4_3ELNS0_20block_scan_algorithmE0ELj4294967295EEENS1_25partition_config_selectorILNS1_17partition_subalgoE3EjNS0_10empty_typeEbEEZZNS1_14partition_implILS8_3ELb0ES6_jNS0_17counting_iteratorIjlEEPS9_SE_NS0_5tupleIJPjSE_EEENSF_IJSE_SE_EEES9_SG_JZNS1_25segmented_radix_sort_implINS0_14default_configELb0EPK6__halfPSL_PKlPlN2at6native12_GLOBAL__N_18offset_tEEE10hipError_tPvRmT1_PNSt15iterator_traitsISZ_E10value_typeET2_T3_PNS10_IS15_E10value_typeET4_jRbjT5_S1B_jjP12ihipStream_tbEUljE_EEESW_SX_SY_S15_S19_S1B_T6_T7_T9_mT8_S1D_bDpT10_ENKUlT_T0_E_clISt17integral_constantIbLb0EES1P_IbLb1EEEEDaS1L_S1M_EUlS1L_E_NS1_11comp_targetILNS1_3genE5ELNS1_11target_archE942ELNS1_3gpuE9ELNS1_3repE0EEENS1_30default_config_static_selectorELNS0_4arch9wavefront6targetE0EEEvSZ_
; %bb.0:
	.section	.rodata,"a",@progbits
	.p2align	6, 0x0
	.amdhsa_kernel _ZN7rocprim17ROCPRIM_400000_NS6detail17trampoline_kernelINS0_13select_configILj256ELj13ELNS0_17block_load_methodE3ELS4_3ELS4_3ELNS0_20block_scan_algorithmE0ELj4294967295EEENS1_25partition_config_selectorILNS1_17partition_subalgoE3EjNS0_10empty_typeEbEEZZNS1_14partition_implILS8_3ELb0ES6_jNS0_17counting_iteratorIjlEEPS9_SE_NS0_5tupleIJPjSE_EEENSF_IJSE_SE_EEES9_SG_JZNS1_25segmented_radix_sort_implINS0_14default_configELb0EPK6__halfPSL_PKlPlN2at6native12_GLOBAL__N_18offset_tEEE10hipError_tPvRmT1_PNSt15iterator_traitsISZ_E10value_typeET2_T3_PNS10_IS15_E10value_typeET4_jRbjT5_S1B_jjP12ihipStream_tbEUljE_EEESW_SX_SY_S15_S19_S1B_T6_T7_T9_mT8_S1D_bDpT10_ENKUlT_T0_E_clISt17integral_constantIbLb0EES1P_IbLb1EEEEDaS1L_S1M_EUlS1L_E_NS1_11comp_targetILNS1_3genE5ELNS1_11target_archE942ELNS1_3gpuE9ELNS1_3repE0EEENS1_30default_config_static_selectorELNS0_4arch9wavefront6targetE0EEEvSZ_
		.amdhsa_group_segment_fixed_size 0
		.amdhsa_private_segment_fixed_size 0
		.amdhsa_kernarg_size 152
		.amdhsa_user_sgpr_count 6
		.amdhsa_user_sgpr_private_segment_buffer 1
		.amdhsa_user_sgpr_dispatch_ptr 0
		.amdhsa_user_sgpr_queue_ptr 0
		.amdhsa_user_sgpr_kernarg_segment_ptr 1
		.amdhsa_user_sgpr_dispatch_id 0
		.amdhsa_user_sgpr_flat_scratch_init 0
		.amdhsa_user_sgpr_private_segment_size 0
		.amdhsa_wavefront_size32 1
		.amdhsa_uses_dynamic_stack 0
		.amdhsa_system_sgpr_private_segment_wavefront_offset 0
		.amdhsa_system_sgpr_workgroup_id_x 1
		.amdhsa_system_sgpr_workgroup_id_y 0
		.amdhsa_system_sgpr_workgroup_id_z 0
		.amdhsa_system_sgpr_workgroup_info 0
		.amdhsa_system_vgpr_workitem_id 0
		.amdhsa_next_free_vgpr 1
		.amdhsa_next_free_sgpr 1
		.amdhsa_reserve_vcc 0
		.amdhsa_reserve_flat_scratch 0
		.amdhsa_float_round_mode_32 0
		.amdhsa_float_round_mode_16_64 0
		.amdhsa_float_denorm_mode_32 3
		.amdhsa_float_denorm_mode_16_64 3
		.amdhsa_dx10_clamp 1
		.amdhsa_ieee_mode 1
		.amdhsa_fp16_overflow 0
		.amdhsa_workgroup_processor_mode 1
		.amdhsa_memory_ordered 1
		.amdhsa_forward_progress 1
		.amdhsa_shared_vgpr_count 0
		.amdhsa_exception_fp_ieee_invalid_op 0
		.amdhsa_exception_fp_denorm_src 0
		.amdhsa_exception_fp_ieee_div_zero 0
		.amdhsa_exception_fp_ieee_overflow 0
		.amdhsa_exception_fp_ieee_underflow 0
		.amdhsa_exception_fp_ieee_inexact 0
		.amdhsa_exception_int_div_zero 0
	.end_amdhsa_kernel
	.section	.text._ZN7rocprim17ROCPRIM_400000_NS6detail17trampoline_kernelINS0_13select_configILj256ELj13ELNS0_17block_load_methodE3ELS4_3ELS4_3ELNS0_20block_scan_algorithmE0ELj4294967295EEENS1_25partition_config_selectorILNS1_17partition_subalgoE3EjNS0_10empty_typeEbEEZZNS1_14partition_implILS8_3ELb0ES6_jNS0_17counting_iteratorIjlEEPS9_SE_NS0_5tupleIJPjSE_EEENSF_IJSE_SE_EEES9_SG_JZNS1_25segmented_radix_sort_implINS0_14default_configELb0EPK6__halfPSL_PKlPlN2at6native12_GLOBAL__N_18offset_tEEE10hipError_tPvRmT1_PNSt15iterator_traitsISZ_E10value_typeET2_T3_PNS10_IS15_E10value_typeET4_jRbjT5_S1B_jjP12ihipStream_tbEUljE_EEESW_SX_SY_S15_S19_S1B_T6_T7_T9_mT8_S1D_bDpT10_ENKUlT_T0_E_clISt17integral_constantIbLb0EES1P_IbLb1EEEEDaS1L_S1M_EUlS1L_E_NS1_11comp_targetILNS1_3genE5ELNS1_11target_archE942ELNS1_3gpuE9ELNS1_3repE0EEENS1_30default_config_static_selectorELNS0_4arch9wavefront6targetE0EEEvSZ_,"axG",@progbits,_ZN7rocprim17ROCPRIM_400000_NS6detail17trampoline_kernelINS0_13select_configILj256ELj13ELNS0_17block_load_methodE3ELS4_3ELS4_3ELNS0_20block_scan_algorithmE0ELj4294967295EEENS1_25partition_config_selectorILNS1_17partition_subalgoE3EjNS0_10empty_typeEbEEZZNS1_14partition_implILS8_3ELb0ES6_jNS0_17counting_iteratorIjlEEPS9_SE_NS0_5tupleIJPjSE_EEENSF_IJSE_SE_EEES9_SG_JZNS1_25segmented_radix_sort_implINS0_14default_configELb0EPK6__halfPSL_PKlPlN2at6native12_GLOBAL__N_18offset_tEEE10hipError_tPvRmT1_PNSt15iterator_traitsISZ_E10value_typeET2_T3_PNS10_IS15_E10value_typeET4_jRbjT5_S1B_jjP12ihipStream_tbEUljE_EEESW_SX_SY_S15_S19_S1B_T6_T7_T9_mT8_S1D_bDpT10_ENKUlT_T0_E_clISt17integral_constantIbLb0EES1P_IbLb1EEEEDaS1L_S1M_EUlS1L_E_NS1_11comp_targetILNS1_3genE5ELNS1_11target_archE942ELNS1_3gpuE9ELNS1_3repE0EEENS1_30default_config_static_selectorELNS0_4arch9wavefront6targetE0EEEvSZ_,comdat
.Lfunc_end1825:
	.size	_ZN7rocprim17ROCPRIM_400000_NS6detail17trampoline_kernelINS0_13select_configILj256ELj13ELNS0_17block_load_methodE3ELS4_3ELS4_3ELNS0_20block_scan_algorithmE0ELj4294967295EEENS1_25partition_config_selectorILNS1_17partition_subalgoE3EjNS0_10empty_typeEbEEZZNS1_14partition_implILS8_3ELb0ES6_jNS0_17counting_iteratorIjlEEPS9_SE_NS0_5tupleIJPjSE_EEENSF_IJSE_SE_EEES9_SG_JZNS1_25segmented_radix_sort_implINS0_14default_configELb0EPK6__halfPSL_PKlPlN2at6native12_GLOBAL__N_18offset_tEEE10hipError_tPvRmT1_PNSt15iterator_traitsISZ_E10value_typeET2_T3_PNS10_IS15_E10value_typeET4_jRbjT5_S1B_jjP12ihipStream_tbEUljE_EEESW_SX_SY_S15_S19_S1B_T6_T7_T9_mT8_S1D_bDpT10_ENKUlT_T0_E_clISt17integral_constantIbLb0EES1P_IbLb1EEEEDaS1L_S1M_EUlS1L_E_NS1_11comp_targetILNS1_3genE5ELNS1_11target_archE942ELNS1_3gpuE9ELNS1_3repE0EEENS1_30default_config_static_selectorELNS0_4arch9wavefront6targetE0EEEvSZ_, .Lfunc_end1825-_ZN7rocprim17ROCPRIM_400000_NS6detail17trampoline_kernelINS0_13select_configILj256ELj13ELNS0_17block_load_methodE3ELS4_3ELS4_3ELNS0_20block_scan_algorithmE0ELj4294967295EEENS1_25partition_config_selectorILNS1_17partition_subalgoE3EjNS0_10empty_typeEbEEZZNS1_14partition_implILS8_3ELb0ES6_jNS0_17counting_iteratorIjlEEPS9_SE_NS0_5tupleIJPjSE_EEENSF_IJSE_SE_EEES9_SG_JZNS1_25segmented_radix_sort_implINS0_14default_configELb0EPK6__halfPSL_PKlPlN2at6native12_GLOBAL__N_18offset_tEEE10hipError_tPvRmT1_PNSt15iterator_traitsISZ_E10value_typeET2_T3_PNS10_IS15_E10value_typeET4_jRbjT5_S1B_jjP12ihipStream_tbEUljE_EEESW_SX_SY_S15_S19_S1B_T6_T7_T9_mT8_S1D_bDpT10_ENKUlT_T0_E_clISt17integral_constantIbLb0EES1P_IbLb1EEEEDaS1L_S1M_EUlS1L_E_NS1_11comp_targetILNS1_3genE5ELNS1_11target_archE942ELNS1_3gpuE9ELNS1_3repE0EEENS1_30default_config_static_selectorELNS0_4arch9wavefront6targetE0EEEvSZ_
                                        ; -- End function
	.set _ZN7rocprim17ROCPRIM_400000_NS6detail17trampoline_kernelINS0_13select_configILj256ELj13ELNS0_17block_load_methodE3ELS4_3ELS4_3ELNS0_20block_scan_algorithmE0ELj4294967295EEENS1_25partition_config_selectorILNS1_17partition_subalgoE3EjNS0_10empty_typeEbEEZZNS1_14partition_implILS8_3ELb0ES6_jNS0_17counting_iteratorIjlEEPS9_SE_NS0_5tupleIJPjSE_EEENSF_IJSE_SE_EEES9_SG_JZNS1_25segmented_radix_sort_implINS0_14default_configELb0EPK6__halfPSL_PKlPlN2at6native12_GLOBAL__N_18offset_tEEE10hipError_tPvRmT1_PNSt15iterator_traitsISZ_E10value_typeET2_T3_PNS10_IS15_E10value_typeET4_jRbjT5_S1B_jjP12ihipStream_tbEUljE_EEESW_SX_SY_S15_S19_S1B_T6_T7_T9_mT8_S1D_bDpT10_ENKUlT_T0_E_clISt17integral_constantIbLb0EES1P_IbLb1EEEEDaS1L_S1M_EUlS1L_E_NS1_11comp_targetILNS1_3genE5ELNS1_11target_archE942ELNS1_3gpuE9ELNS1_3repE0EEENS1_30default_config_static_selectorELNS0_4arch9wavefront6targetE0EEEvSZ_.num_vgpr, 0
	.set _ZN7rocprim17ROCPRIM_400000_NS6detail17trampoline_kernelINS0_13select_configILj256ELj13ELNS0_17block_load_methodE3ELS4_3ELS4_3ELNS0_20block_scan_algorithmE0ELj4294967295EEENS1_25partition_config_selectorILNS1_17partition_subalgoE3EjNS0_10empty_typeEbEEZZNS1_14partition_implILS8_3ELb0ES6_jNS0_17counting_iteratorIjlEEPS9_SE_NS0_5tupleIJPjSE_EEENSF_IJSE_SE_EEES9_SG_JZNS1_25segmented_radix_sort_implINS0_14default_configELb0EPK6__halfPSL_PKlPlN2at6native12_GLOBAL__N_18offset_tEEE10hipError_tPvRmT1_PNSt15iterator_traitsISZ_E10value_typeET2_T3_PNS10_IS15_E10value_typeET4_jRbjT5_S1B_jjP12ihipStream_tbEUljE_EEESW_SX_SY_S15_S19_S1B_T6_T7_T9_mT8_S1D_bDpT10_ENKUlT_T0_E_clISt17integral_constantIbLb0EES1P_IbLb1EEEEDaS1L_S1M_EUlS1L_E_NS1_11comp_targetILNS1_3genE5ELNS1_11target_archE942ELNS1_3gpuE9ELNS1_3repE0EEENS1_30default_config_static_selectorELNS0_4arch9wavefront6targetE0EEEvSZ_.num_agpr, 0
	.set _ZN7rocprim17ROCPRIM_400000_NS6detail17trampoline_kernelINS0_13select_configILj256ELj13ELNS0_17block_load_methodE3ELS4_3ELS4_3ELNS0_20block_scan_algorithmE0ELj4294967295EEENS1_25partition_config_selectorILNS1_17partition_subalgoE3EjNS0_10empty_typeEbEEZZNS1_14partition_implILS8_3ELb0ES6_jNS0_17counting_iteratorIjlEEPS9_SE_NS0_5tupleIJPjSE_EEENSF_IJSE_SE_EEES9_SG_JZNS1_25segmented_radix_sort_implINS0_14default_configELb0EPK6__halfPSL_PKlPlN2at6native12_GLOBAL__N_18offset_tEEE10hipError_tPvRmT1_PNSt15iterator_traitsISZ_E10value_typeET2_T3_PNS10_IS15_E10value_typeET4_jRbjT5_S1B_jjP12ihipStream_tbEUljE_EEESW_SX_SY_S15_S19_S1B_T6_T7_T9_mT8_S1D_bDpT10_ENKUlT_T0_E_clISt17integral_constantIbLb0EES1P_IbLb1EEEEDaS1L_S1M_EUlS1L_E_NS1_11comp_targetILNS1_3genE5ELNS1_11target_archE942ELNS1_3gpuE9ELNS1_3repE0EEENS1_30default_config_static_selectorELNS0_4arch9wavefront6targetE0EEEvSZ_.numbered_sgpr, 0
	.set _ZN7rocprim17ROCPRIM_400000_NS6detail17trampoline_kernelINS0_13select_configILj256ELj13ELNS0_17block_load_methodE3ELS4_3ELS4_3ELNS0_20block_scan_algorithmE0ELj4294967295EEENS1_25partition_config_selectorILNS1_17partition_subalgoE3EjNS0_10empty_typeEbEEZZNS1_14partition_implILS8_3ELb0ES6_jNS0_17counting_iteratorIjlEEPS9_SE_NS0_5tupleIJPjSE_EEENSF_IJSE_SE_EEES9_SG_JZNS1_25segmented_radix_sort_implINS0_14default_configELb0EPK6__halfPSL_PKlPlN2at6native12_GLOBAL__N_18offset_tEEE10hipError_tPvRmT1_PNSt15iterator_traitsISZ_E10value_typeET2_T3_PNS10_IS15_E10value_typeET4_jRbjT5_S1B_jjP12ihipStream_tbEUljE_EEESW_SX_SY_S15_S19_S1B_T6_T7_T9_mT8_S1D_bDpT10_ENKUlT_T0_E_clISt17integral_constantIbLb0EES1P_IbLb1EEEEDaS1L_S1M_EUlS1L_E_NS1_11comp_targetILNS1_3genE5ELNS1_11target_archE942ELNS1_3gpuE9ELNS1_3repE0EEENS1_30default_config_static_selectorELNS0_4arch9wavefront6targetE0EEEvSZ_.num_named_barrier, 0
	.set _ZN7rocprim17ROCPRIM_400000_NS6detail17trampoline_kernelINS0_13select_configILj256ELj13ELNS0_17block_load_methodE3ELS4_3ELS4_3ELNS0_20block_scan_algorithmE0ELj4294967295EEENS1_25partition_config_selectorILNS1_17partition_subalgoE3EjNS0_10empty_typeEbEEZZNS1_14partition_implILS8_3ELb0ES6_jNS0_17counting_iteratorIjlEEPS9_SE_NS0_5tupleIJPjSE_EEENSF_IJSE_SE_EEES9_SG_JZNS1_25segmented_radix_sort_implINS0_14default_configELb0EPK6__halfPSL_PKlPlN2at6native12_GLOBAL__N_18offset_tEEE10hipError_tPvRmT1_PNSt15iterator_traitsISZ_E10value_typeET2_T3_PNS10_IS15_E10value_typeET4_jRbjT5_S1B_jjP12ihipStream_tbEUljE_EEESW_SX_SY_S15_S19_S1B_T6_T7_T9_mT8_S1D_bDpT10_ENKUlT_T0_E_clISt17integral_constantIbLb0EES1P_IbLb1EEEEDaS1L_S1M_EUlS1L_E_NS1_11comp_targetILNS1_3genE5ELNS1_11target_archE942ELNS1_3gpuE9ELNS1_3repE0EEENS1_30default_config_static_selectorELNS0_4arch9wavefront6targetE0EEEvSZ_.private_seg_size, 0
	.set _ZN7rocprim17ROCPRIM_400000_NS6detail17trampoline_kernelINS0_13select_configILj256ELj13ELNS0_17block_load_methodE3ELS4_3ELS4_3ELNS0_20block_scan_algorithmE0ELj4294967295EEENS1_25partition_config_selectorILNS1_17partition_subalgoE3EjNS0_10empty_typeEbEEZZNS1_14partition_implILS8_3ELb0ES6_jNS0_17counting_iteratorIjlEEPS9_SE_NS0_5tupleIJPjSE_EEENSF_IJSE_SE_EEES9_SG_JZNS1_25segmented_radix_sort_implINS0_14default_configELb0EPK6__halfPSL_PKlPlN2at6native12_GLOBAL__N_18offset_tEEE10hipError_tPvRmT1_PNSt15iterator_traitsISZ_E10value_typeET2_T3_PNS10_IS15_E10value_typeET4_jRbjT5_S1B_jjP12ihipStream_tbEUljE_EEESW_SX_SY_S15_S19_S1B_T6_T7_T9_mT8_S1D_bDpT10_ENKUlT_T0_E_clISt17integral_constantIbLb0EES1P_IbLb1EEEEDaS1L_S1M_EUlS1L_E_NS1_11comp_targetILNS1_3genE5ELNS1_11target_archE942ELNS1_3gpuE9ELNS1_3repE0EEENS1_30default_config_static_selectorELNS0_4arch9wavefront6targetE0EEEvSZ_.uses_vcc, 0
	.set _ZN7rocprim17ROCPRIM_400000_NS6detail17trampoline_kernelINS0_13select_configILj256ELj13ELNS0_17block_load_methodE3ELS4_3ELS4_3ELNS0_20block_scan_algorithmE0ELj4294967295EEENS1_25partition_config_selectorILNS1_17partition_subalgoE3EjNS0_10empty_typeEbEEZZNS1_14partition_implILS8_3ELb0ES6_jNS0_17counting_iteratorIjlEEPS9_SE_NS0_5tupleIJPjSE_EEENSF_IJSE_SE_EEES9_SG_JZNS1_25segmented_radix_sort_implINS0_14default_configELb0EPK6__halfPSL_PKlPlN2at6native12_GLOBAL__N_18offset_tEEE10hipError_tPvRmT1_PNSt15iterator_traitsISZ_E10value_typeET2_T3_PNS10_IS15_E10value_typeET4_jRbjT5_S1B_jjP12ihipStream_tbEUljE_EEESW_SX_SY_S15_S19_S1B_T6_T7_T9_mT8_S1D_bDpT10_ENKUlT_T0_E_clISt17integral_constantIbLb0EES1P_IbLb1EEEEDaS1L_S1M_EUlS1L_E_NS1_11comp_targetILNS1_3genE5ELNS1_11target_archE942ELNS1_3gpuE9ELNS1_3repE0EEENS1_30default_config_static_selectorELNS0_4arch9wavefront6targetE0EEEvSZ_.uses_flat_scratch, 0
	.set _ZN7rocprim17ROCPRIM_400000_NS6detail17trampoline_kernelINS0_13select_configILj256ELj13ELNS0_17block_load_methodE3ELS4_3ELS4_3ELNS0_20block_scan_algorithmE0ELj4294967295EEENS1_25partition_config_selectorILNS1_17partition_subalgoE3EjNS0_10empty_typeEbEEZZNS1_14partition_implILS8_3ELb0ES6_jNS0_17counting_iteratorIjlEEPS9_SE_NS0_5tupleIJPjSE_EEENSF_IJSE_SE_EEES9_SG_JZNS1_25segmented_radix_sort_implINS0_14default_configELb0EPK6__halfPSL_PKlPlN2at6native12_GLOBAL__N_18offset_tEEE10hipError_tPvRmT1_PNSt15iterator_traitsISZ_E10value_typeET2_T3_PNS10_IS15_E10value_typeET4_jRbjT5_S1B_jjP12ihipStream_tbEUljE_EEESW_SX_SY_S15_S19_S1B_T6_T7_T9_mT8_S1D_bDpT10_ENKUlT_T0_E_clISt17integral_constantIbLb0EES1P_IbLb1EEEEDaS1L_S1M_EUlS1L_E_NS1_11comp_targetILNS1_3genE5ELNS1_11target_archE942ELNS1_3gpuE9ELNS1_3repE0EEENS1_30default_config_static_selectorELNS0_4arch9wavefront6targetE0EEEvSZ_.has_dyn_sized_stack, 0
	.set _ZN7rocprim17ROCPRIM_400000_NS6detail17trampoline_kernelINS0_13select_configILj256ELj13ELNS0_17block_load_methodE3ELS4_3ELS4_3ELNS0_20block_scan_algorithmE0ELj4294967295EEENS1_25partition_config_selectorILNS1_17partition_subalgoE3EjNS0_10empty_typeEbEEZZNS1_14partition_implILS8_3ELb0ES6_jNS0_17counting_iteratorIjlEEPS9_SE_NS0_5tupleIJPjSE_EEENSF_IJSE_SE_EEES9_SG_JZNS1_25segmented_radix_sort_implINS0_14default_configELb0EPK6__halfPSL_PKlPlN2at6native12_GLOBAL__N_18offset_tEEE10hipError_tPvRmT1_PNSt15iterator_traitsISZ_E10value_typeET2_T3_PNS10_IS15_E10value_typeET4_jRbjT5_S1B_jjP12ihipStream_tbEUljE_EEESW_SX_SY_S15_S19_S1B_T6_T7_T9_mT8_S1D_bDpT10_ENKUlT_T0_E_clISt17integral_constantIbLb0EES1P_IbLb1EEEEDaS1L_S1M_EUlS1L_E_NS1_11comp_targetILNS1_3genE5ELNS1_11target_archE942ELNS1_3gpuE9ELNS1_3repE0EEENS1_30default_config_static_selectorELNS0_4arch9wavefront6targetE0EEEvSZ_.has_recursion, 0
	.set _ZN7rocprim17ROCPRIM_400000_NS6detail17trampoline_kernelINS0_13select_configILj256ELj13ELNS0_17block_load_methodE3ELS4_3ELS4_3ELNS0_20block_scan_algorithmE0ELj4294967295EEENS1_25partition_config_selectorILNS1_17partition_subalgoE3EjNS0_10empty_typeEbEEZZNS1_14partition_implILS8_3ELb0ES6_jNS0_17counting_iteratorIjlEEPS9_SE_NS0_5tupleIJPjSE_EEENSF_IJSE_SE_EEES9_SG_JZNS1_25segmented_radix_sort_implINS0_14default_configELb0EPK6__halfPSL_PKlPlN2at6native12_GLOBAL__N_18offset_tEEE10hipError_tPvRmT1_PNSt15iterator_traitsISZ_E10value_typeET2_T3_PNS10_IS15_E10value_typeET4_jRbjT5_S1B_jjP12ihipStream_tbEUljE_EEESW_SX_SY_S15_S19_S1B_T6_T7_T9_mT8_S1D_bDpT10_ENKUlT_T0_E_clISt17integral_constantIbLb0EES1P_IbLb1EEEEDaS1L_S1M_EUlS1L_E_NS1_11comp_targetILNS1_3genE5ELNS1_11target_archE942ELNS1_3gpuE9ELNS1_3repE0EEENS1_30default_config_static_selectorELNS0_4arch9wavefront6targetE0EEEvSZ_.has_indirect_call, 0
	.section	.AMDGPU.csdata,"",@progbits
; Kernel info:
; codeLenInByte = 0
; TotalNumSgprs: 0
; NumVgprs: 0
; ScratchSize: 0
; MemoryBound: 0
; FloatMode: 240
; IeeeMode: 1
; LDSByteSize: 0 bytes/workgroup (compile time only)
; SGPRBlocks: 0
; VGPRBlocks: 0
; NumSGPRsForWavesPerEU: 1
; NumVGPRsForWavesPerEU: 1
; Occupancy: 16
; WaveLimiterHint : 0
; COMPUTE_PGM_RSRC2:SCRATCH_EN: 0
; COMPUTE_PGM_RSRC2:USER_SGPR: 6
; COMPUTE_PGM_RSRC2:TRAP_HANDLER: 0
; COMPUTE_PGM_RSRC2:TGID_X_EN: 1
; COMPUTE_PGM_RSRC2:TGID_Y_EN: 0
; COMPUTE_PGM_RSRC2:TGID_Z_EN: 0
; COMPUTE_PGM_RSRC2:TIDIG_COMP_CNT: 0
	.section	.text._ZN7rocprim17ROCPRIM_400000_NS6detail17trampoline_kernelINS0_13select_configILj256ELj13ELNS0_17block_load_methodE3ELS4_3ELS4_3ELNS0_20block_scan_algorithmE0ELj4294967295EEENS1_25partition_config_selectorILNS1_17partition_subalgoE3EjNS0_10empty_typeEbEEZZNS1_14partition_implILS8_3ELb0ES6_jNS0_17counting_iteratorIjlEEPS9_SE_NS0_5tupleIJPjSE_EEENSF_IJSE_SE_EEES9_SG_JZNS1_25segmented_radix_sort_implINS0_14default_configELb0EPK6__halfPSL_PKlPlN2at6native12_GLOBAL__N_18offset_tEEE10hipError_tPvRmT1_PNSt15iterator_traitsISZ_E10value_typeET2_T3_PNS10_IS15_E10value_typeET4_jRbjT5_S1B_jjP12ihipStream_tbEUljE_EEESW_SX_SY_S15_S19_S1B_T6_T7_T9_mT8_S1D_bDpT10_ENKUlT_T0_E_clISt17integral_constantIbLb0EES1P_IbLb1EEEEDaS1L_S1M_EUlS1L_E_NS1_11comp_targetILNS1_3genE4ELNS1_11target_archE910ELNS1_3gpuE8ELNS1_3repE0EEENS1_30default_config_static_selectorELNS0_4arch9wavefront6targetE0EEEvSZ_,"axG",@progbits,_ZN7rocprim17ROCPRIM_400000_NS6detail17trampoline_kernelINS0_13select_configILj256ELj13ELNS0_17block_load_methodE3ELS4_3ELS4_3ELNS0_20block_scan_algorithmE0ELj4294967295EEENS1_25partition_config_selectorILNS1_17partition_subalgoE3EjNS0_10empty_typeEbEEZZNS1_14partition_implILS8_3ELb0ES6_jNS0_17counting_iteratorIjlEEPS9_SE_NS0_5tupleIJPjSE_EEENSF_IJSE_SE_EEES9_SG_JZNS1_25segmented_radix_sort_implINS0_14default_configELb0EPK6__halfPSL_PKlPlN2at6native12_GLOBAL__N_18offset_tEEE10hipError_tPvRmT1_PNSt15iterator_traitsISZ_E10value_typeET2_T3_PNS10_IS15_E10value_typeET4_jRbjT5_S1B_jjP12ihipStream_tbEUljE_EEESW_SX_SY_S15_S19_S1B_T6_T7_T9_mT8_S1D_bDpT10_ENKUlT_T0_E_clISt17integral_constantIbLb0EES1P_IbLb1EEEEDaS1L_S1M_EUlS1L_E_NS1_11comp_targetILNS1_3genE4ELNS1_11target_archE910ELNS1_3gpuE8ELNS1_3repE0EEENS1_30default_config_static_selectorELNS0_4arch9wavefront6targetE0EEEvSZ_,comdat
	.globl	_ZN7rocprim17ROCPRIM_400000_NS6detail17trampoline_kernelINS0_13select_configILj256ELj13ELNS0_17block_load_methodE3ELS4_3ELS4_3ELNS0_20block_scan_algorithmE0ELj4294967295EEENS1_25partition_config_selectorILNS1_17partition_subalgoE3EjNS0_10empty_typeEbEEZZNS1_14partition_implILS8_3ELb0ES6_jNS0_17counting_iteratorIjlEEPS9_SE_NS0_5tupleIJPjSE_EEENSF_IJSE_SE_EEES9_SG_JZNS1_25segmented_radix_sort_implINS0_14default_configELb0EPK6__halfPSL_PKlPlN2at6native12_GLOBAL__N_18offset_tEEE10hipError_tPvRmT1_PNSt15iterator_traitsISZ_E10value_typeET2_T3_PNS10_IS15_E10value_typeET4_jRbjT5_S1B_jjP12ihipStream_tbEUljE_EEESW_SX_SY_S15_S19_S1B_T6_T7_T9_mT8_S1D_bDpT10_ENKUlT_T0_E_clISt17integral_constantIbLb0EES1P_IbLb1EEEEDaS1L_S1M_EUlS1L_E_NS1_11comp_targetILNS1_3genE4ELNS1_11target_archE910ELNS1_3gpuE8ELNS1_3repE0EEENS1_30default_config_static_selectorELNS0_4arch9wavefront6targetE0EEEvSZ_ ; -- Begin function _ZN7rocprim17ROCPRIM_400000_NS6detail17trampoline_kernelINS0_13select_configILj256ELj13ELNS0_17block_load_methodE3ELS4_3ELS4_3ELNS0_20block_scan_algorithmE0ELj4294967295EEENS1_25partition_config_selectorILNS1_17partition_subalgoE3EjNS0_10empty_typeEbEEZZNS1_14partition_implILS8_3ELb0ES6_jNS0_17counting_iteratorIjlEEPS9_SE_NS0_5tupleIJPjSE_EEENSF_IJSE_SE_EEES9_SG_JZNS1_25segmented_radix_sort_implINS0_14default_configELb0EPK6__halfPSL_PKlPlN2at6native12_GLOBAL__N_18offset_tEEE10hipError_tPvRmT1_PNSt15iterator_traitsISZ_E10value_typeET2_T3_PNS10_IS15_E10value_typeET4_jRbjT5_S1B_jjP12ihipStream_tbEUljE_EEESW_SX_SY_S15_S19_S1B_T6_T7_T9_mT8_S1D_bDpT10_ENKUlT_T0_E_clISt17integral_constantIbLb0EES1P_IbLb1EEEEDaS1L_S1M_EUlS1L_E_NS1_11comp_targetILNS1_3genE4ELNS1_11target_archE910ELNS1_3gpuE8ELNS1_3repE0EEENS1_30default_config_static_selectorELNS0_4arch9wavefront6targetE0EEEvSZ_
	.p2align	8
	.type	_ZN7rocprim17ROCPRIM_400000_NS6detail17trampoline_kernelINS0_13select_configILj256ELj13ELNS0_17block_load_methodE3ELS4_3ELS4_3ELNS0_20block_scan_algorithmE0ELj4294967295EEENS1_25partition_config_selectorILNS1_17partition_subalgoE3EjNS0_10empty_typeEbEEZZNS1_14partition_implILS8_3ELb0ES6_jNS0_17counting_iteratorIjlEEPS9_SE_NS0_5tupleIJPjSE_EEENSF_IJSE_SE_EEES9_SG_JZNS1_25segmented_radix_sort_implINS0_14default_configELb0EPK6__halfPSL_PKlPlN2at6native12_GLOBAL__N_18offset_tEEE10hipError_tPvRmT1_PNSt15iterator_traitsISZ_E10value_typeET2_T3_PNS10_IS15_E10value_typeET4_jRbjT5_S1B_jjP12ihipStream_tbEUljE_EEESW_SX_SY_S15_S19_S1B_T6_T7_T9_mT8_S1D_bDpT10_ENKUlT_T0_E_clISt17integral_constantIbLb0EES1P_IbLb1EEEEDaS1L_S1M_EUlS1L_E_NS1_11comp_targetILNS1_3genE4ELNS1_11target_archE910ELNS1_3gpuE8ELNS1_3repE0EEENS1_30default_config_static_selectorELNS0_4arch9wavefront6targetE0EEEvSZ_,@function
_ZN7rocprim17ROCPRIM_400000_NS6detail17trampoline_kernelINS0_13select_configILj256ELj13ELNS0_17block_load_methodE3ELS4_3ELS4_3ELNS0_20block_scan_algorithmE0ELj4294967295EEENS1_25partition_config_selectorILNS1_17partition_subalgoE3EjNS0_10empty_typeEbEEZZNS1_14partition_implILS8_3ELb0ES6_jNS0_17counting_iteratorIjlEEPS9_SE_NS0_5tupleIJPjSE_EEENSF_IJSE_SE_EEES9_SG_JZNS1_25segmented_radix_sort_implINS0_14default_configELb0EPK6__halfPSL_PKlPlN2at6native12_GLOBAL__N_18offset_tEEE10hipError_tPvRmT1_PNSt15iterator_traitsISZ_E10value_typeET2_T3_PNS10_IS15_E10value_typeET4_jRbjT5_S1B_jjP12ihipStream_tbEUljE_EEESW_SX_SY_S15_S19_S1B_T6_T7_T9_mT8_S1D_bDpT10_ENKUlT_T0_E_clISt17integral_constantIbLb0EES1P_IbLb1EEEEDaS1L_S1M_EUlS1L_E_NS1_11comp_targetILNS1_3genE4ELNS1_11target_archE910ELNS1_3gpuE8ELNS1_3repE0EEENS1_30default_config_static_selectorELNS0_4arch9wavefront6targetE0EEEvSZ_: ; @_ZN7rocprim17ROCPRIM_400000_NS6detail17trampoline_kernelINS0_13select_configILj256ELj13ELNS0_17block_load_methodE3ELS4_3ELS4_3ELNS0_20block_scan_algorithmE0ELj4294967295EEENS1_25partition_config_selectorILNS1_17partition_subalgoE3EjNS0_10empty_typeEbEEZZNS1_14partition_implILS8_3ELb0ES6_jNS0_17counting_iteratorIjlEEPS9_SE_NS0_5tupleIJPjSE_EEENSF_IJSE_SE_EEES9_SG_JZNS1_25segmented_radix_sort_implINS0_14default_configELb0EPK6__halfPSL_PKlPlN2at6native12_GLOBAL__N_18offset_tEEE10hipError_tPvRmT1_PNSt15iterator_traitsISZ_E10value_typeET2_T3_PNS10_IS15_E10value_typeET4_jRbjT5_S1B_jjP12ihipStream_tbEUljE_EEESW_SX_SY_S15_S19_S1B_T6_T7_T9_mT8_S1D_bDpT10_ENKUlT_T0_E_clISt17integral_constantIbLb0EES1P_IbLb1EEEEDaS1L_S1M_EUlS1L_E_NS1_11comp_targetILNS1_3genE4ELNS1_11target_archE910ELNS1_3gpuE8ELNS1_3repE0EEENS1_30default_config_static_selectorELNS0_4arch9wavefront6targetE0EEEvSZ_
; %bb.0:
	.section	.rodata,"a",@progbits
	.p2align	6, 0x0
	.amdhsa_kernel _ZN7rocprim17ROCPRIM_400000_NS6detail17trampoline_kernelINS0_13select_configILj256ELj13ELNS0_17block_load_methodE3ELS4_3ELS4_3ELNS0_20block_scan_algorithmE0ELj4294967295EEENS1_25partition_config_selectorILNS1_17partition_subalgoE3EjNS0_10empty_typeEbEEZZNS1_14partition_implILS8_3ELb0ES6_jNS0_17counting_iteratorIjlEEPS9_SE_NS0_5tupleIJPjSE_EEENSF_IJSE_SE_EEES9_SG_JZNS1_25segmented_radix_sort_implINS0_14default_configELb0EPK6__halfPSL_PKlPlN2at6native12_GLOBAL__N_18offset_tEEE10hipError_tPvRmT1_PNSt15iterator_traitsISZ_E10value_typeET2_T3_PNS10_IS15_E10value_typeET4_jRbjT5_S1B_jjP12ihipStream_tbEUljE_EEESW_SX_SY_S15_S19_S1B_T6_T7_T9_mT8_S1D_bDpT10_ENKUlT_T0_E_clISt17integral_constantIbLb0EES1P_IbLb1EEEEDaS1L_S1M_EUlS1L_E_NS1_11comp_targetILNS1_3genE4ELNS1_11target_archE910ELNS1_3gpuE8ELNS1_3repE0EEENS1_30default_config_static_selectorELNS0_4arch9wavefront6targetE0EEEvSZ_
		.amdhsa_group_segment_fixed_size 0
		.amdhsa_private_segment_fixed_size 0
		.amdhsa_kernarg_size 152
		.amdhsa_user_sgpr_count 6
		.amdhsa_user_sgpr_private_segment_buffer 1
		.amdhsa_user_sgpr_dispatch_ptr 0
		.amdhsa_user_sgpr_queue_ptr 0
		.amdhsa_user_sgpr_kernarg_segment_ptr 1
		.amdhsa_user_sgpr_dispatch_id 0
		.amdhsa_user_sgpr_flat_scratch_init 0
		.amdhsa_user_sgpr_private_segment_size 0
		.amdhsa_wavefront_size32 1
		.amdhsa_uses_dynamic_stack 0
		.amdhsa_system_sgpr_private_segment_wavefront_offset 0
		.amdhsa_system_sgpr_workgroup_id_x 1
		.amdhsa_system_sgpr_workgroup_id_y 0
		.amdhsa_system_sgpr_workgroup_id_z 0
		.amdhsa_system_sgpr_workgroup_info 0
		.amdhsa_system_vgpr_workitem_id 0
		.amdhsa_next_free_vgpr 1
		.amdhsa_next_free_sgpr 1
		.amdhsa_reserve_vcc 0
		.amdhsa_reserve_flat_scratch 0
		.amdhsa_float_round_mode_32 0
		.amdhsa_float_round_mode_16_64 0
		.amdhsa_float_denorm_mode_32 3
		.amdhsa_float_denorm_mode_16_64 3
		.amdhsa_dx10_clamp 1
		.amdhsa_ieee_mode 1
		.amdhsa_fp16_overflow 0
		.amdhsa_workgroup_processor_mode 1
		.amdhsa_memory_ordered 1
		.amdhsa_forward_progress 1
		.amdhsa_shared_vgpr_count 0
		.amdhsa_exception_fp_ieee_invalid_op 0
		.amdhsa_exception_fp_denorm_src 0
		.amdhsa_exception_fp_ieee_div_zero 0
		.amdhsa_exception_fp_ieee_overflow 0
		.amdhsa_exception_fp_ieee_underflow 0
		.amdhsa_exception_fp_ieee_inexact 0
		.amdhsa_exception_int_div_zero 0
	.end_amdhsa_kernel
	.section	.text._ZN7rocprim17ROCPRIM_400000_NS6detail17trampoline_kernelINS0_13select_configILj256ELj13ELNS0_17block_load_methodE3ELS4_3ELS4_3ELNS0_20block_scan_algorithmE0ELj4294967295EEENS1_25partition_config_selectorILNS1_17partition_subalgoE3EjNS0_10empty_typeEbEEZZNS1_14partition_implILS8_3ELb0ES6_jNS0_17counting_iteratorIjlEEPS9_SE_NS0_5tupleIJPjSE_EEENSF_IJSE_SE_EEES9_SG_JZNS1_25segmented_radix_sort_implINS0_14default_configELb0EPK6__halfPSL_PKlPlN2at6native12_GLOBAL__N_18offset_tEEE10hipError_tPvRmT1_PNSt15iterator_traitsISZ_E10value_typeET2_T3_PNS10_IS15_E10value_typeET4_jRbjT5_S1B_jjP12ihipStream_tbEUljE_EEESW_SX_SY_S15_S19_S1B_T6_T7_T9_mT8_S1D_bDpT10_ENKUlT_T0_E_clISt17integral_constantIbLb0EES1P_IbLb1EEEEDaS1L_S1M_EUlS1L_E_NS1_11comp_targetILNS1_3genE4ELNS1_11target_archE910ELNS1_3gpuE8ELNS1_3repE0EEENS1_30default_config_static_selectorELNS0_4arch9wavefront6targetE0EEEvSZ_,"axG",@progbits,_ZN7rocprim17ROCPRIM_400000_NS6detail17trampoline_kernelINS0_13select_configILj256ELj13ELNS0_17block_load_methodE3ELS4_3ELS4_3ELNS0_20block_scan_algorithmE0ELj4294967295EEENS1_25partition_config_selectorILNS1_17partition_subalgoE3EjNS0_10empty_typeEbEEZZNS1_14partition_implILS8_3ELb0ES6_jNS0_17counting_iteratorIjlEEPS9_SE_NS0_5tupleIJPjSE_EEENSF_IJSE_SE_EEES9_SG_JZNS1_25segmented_radix_sort_implINS0_14default_configELb0EPK6__halfPSL_PKlPlN2at6native12_GLOBAL__N_18offset_tEEE10hipError_tPvRmT1_PNSt15iterator_traitsISZ_E10value_typeET2_T3_PNS10_IS15_E10value_typeET4_jRbjT5_S1B_jjP12ihipStream_tbEUljE_EEESW_SX_SY_S15_S19_S1B_T6_T7_T9_mT8_S1D_bDpT10_ENKUlT_T0_E_clISt17integral_constantIbLb0EES1P_IbLb1EEEEDaS1L_S1M_EUlS1L_E_NS1_11comp_targetILNS1_3genE4ELNS1_11target_archE910ELNS1_3gpuE8ELNS1_3repE0EEENS1_30default_config_static_selectorELNS0_4arch9wavefront6targetE0EEEvSZ_,comdat
.Lfunc_end1826:
	.size	_ZN7rocprim17ROCPRIM_400000_NS6detail17trampoline_kernelINS0_13select_configILj256ELj13ELNS0_17block_load_methodE3ELS4_3ELS4_3ELNS0_20block_scan_algorithmE0ELj4294967295EEENS1_25partition_config_selectorILNS1_17partition_subalgoE3EjNS0_10empty_typeEbEEZZNS1_14partition_implILS8_3ELb0ES6_jNS0_17counting_iteratorIjlEEPS9_SE_NS0_5tupleIJPjSE_EEENSF_IJSE_SE_EEES9_SG_JZNS1_25segmented_radix_sort_implINS0_14default_configELb0EPK6__halfPSL_PKlPlN2at6native12_GLOBAL__N_18offset_tEEE10hipError_tPvRmT1_PNSt15iterator_traitsISZ_E10value_typeET2_T3_PNS10_IS15_E10value_typeET4_jRbjT5_S1B_jjP12ihipStream_tbEUljE_EEESW_SX_SY_S15_S19_S1B_T6_T7_T9_mT8_S1D_bDpT10_ENKUlT_T0_E_clISt17integral_constantIbLb0EES1P_IbLb1EEEEDaS1L_S1M_EUlS1L_E_NS1_11comp_targetILNS1_3genE4ELNS1_11target_archE910ELNS1_3gpuE8ELNS1_3repE0EEENS1_30default_config_static_selectorELNS0_4arch9wavefront6targetE0EEEvSZ_, .Lfunc_end1826-_ZN7rocprim17ROCPRIM_400000_NS6detail17trampoline_kernelINS0_13select_configILj256ELj13ELNS0_17block_load_methodE3ELS4_3ELS4_3ELNS0_20block_scan_algorithmE0ELj4294967295EEENS1_25partition_config_selectorILNS1_17partition_subalgoE3EjNS0_10empty_typeEbEEZZNS1_14partition_implILS8_3ELb0ES6_jNS0_17counting_iteratorIjlEEPS9_SE_NS0_5tupleIJPjSE_EEENSF_IJSE_SE_EEES9_SG_JZNS1_25segmented_radix_sort_implINS0_14default_configELb0EPK6__halfPSL_PKlPlN2at6native12_GLOBAL__N_18offset_tEEE10hipError_tPvRmT1_PNSt15iterator_traitsISZ_E10value_typeET2_T3_PNS10_IS15_E10value_typeET4_jRbjT5_S1B_jjP12ihipStream_tbEUljE_EEESW_SX_SY_S15_S19_S1B_T6_T7_T9_mT8_S1D_bDpT10_ENKUlT_T0_E_clISt17integral_constantIbLb0EES1P_IbLb1EEEEDaS1L_S1M_EUlS1L_E_NS1_11comp_targetILNS1_3genE4ELNS1_11target_archE910ELNS1_3gpuE8ELNS1_3repE0EEENS1_30default_config_static_selectorELNS0_4arch9wavefront6targetE0EEEvSZ_
                                        ; -- End function
	.set _ZN7rocprim17ROCPRIM_400000_NS6detail17trampoline_kernelINS0_13select_configILj256ELj13ELNS0_17block_load_methodE3ELS4_3ELS4_3ELNS0_20block_scan_algorithmE0ELj4294967295EEENS1_25partition_config_selectorILNS1_17partition_subalgoE3EjNS0_10empty_typeEbEEZZNS1_14partition_implILS8_3ELb0ES6_jNS0_17counting_iteratorIjlEEPS9_SE_NS0_5tupleIJPjSE_EEENSF_IJSE_SE_EEES9_SG_JZNS1_25segmented_radix_sort_implINS0_14default_configELb0EPK6__halfPSL_PKlPlN2at6native12_GLOBAL__N_18offset_tEEE10hipError_tPvRmT1_PNSt15iterator_traitsISZ_E10value_typeET2_T3_PNS10_IS15_E10value_typeET4_jRbjT5_S1B_jjP12ihipStream_tbEUljE_EEESW_SX_SY_S15_S19_S1B_T6_T7_T9_mT8_S1D_bDpT10_ENKUlT_T0_E_clISt17integral_constantIbLb0EES1P_IbLb1EEEEDaS1L_S1M_EUlS1L_E_NS1_11comp_targetILNS1_3genE4ELNS1_11target_archE910ELNS1_3gpuE8ELNS1_3repE0EEENS1_30default_config_static_selectorELNS0_4arch9wavefront6targetE0EEEvSZ_.num_vgpr, 0
	.set _ZN7rocprim17ROCPRIM_400000_NS6detail17trampoline_kernelINS0_13select_configILj256ELj13ELNS0_17block_load_methodE3ELS4_3ELS4_3ELNS0_20block_scan_algorithmE0ELj4294967295EEENS1_25partition_config_selectorILNS1_17partition_subalgoE3EjNS0_10empty_typeEbEEZZNS1_14partition_implILS8_3ELb0ES6_jNS0_17counting_iteratorIjlEEPS9_SE_NS0_5tupleIJPjSE_EEENSF_IJSE_SE_EEES9_SG_JZNS1_25segmented_radix_sort_implINS0_14default_configELb0EPK6__halfPSL_PKlPlN2at6native12_GLOBAL__N_18offset_tEEE10hipError_tPvRmT1_PNSt15iterator_traitsISZ_E10value_typeET2_T3_PNS10_IS15_E10value_typeET4_jRbjT5_S1B_jjP12ihipStream_tbEUljE_EEESW_SX_SY_S15_S19_S1B_T6_T7_T9_mT8_S1D_bDpT10_ENKUlT_T0_E_clISt17integral_constantIbLb0EES1P_IbLb1EEEEDaS1L_S1M_EUlS1L_E_NS1_11comp_targetILNS1_3genE4ELNS1_11target_archE910ELNS1_3gpuE8ELNS1_3repE0EEENS1_30default_config_static_selectorELNS0_4arch9wavefront6targetE0EEEvSZ_.num_agpr, 0
	.set _ZN7rocprim17ROCPRIM_400000_NS6detail17trampoline_kernelINS0_13select_configILj256ELj13ELNS0_17block_load_methodE3ELS4_3ELS4_3ELNS0_20block_scan_algorithmE0ELj4294967295EEENS1_25partition_config_selectorILNS1_17partition_subalgoE3EjNS0_10empty_typeEbEEZZNS1_14partition_implILS8_3ELb0ES6_jNS0_17counting_iteratorIjlEEPS9_SE_NS0_5tupleIJPjSE_EEENSF_IJSE_SE_EEES9_SG_JZNS1_25segmented_radix_sort_implINS0_14default_configELb0EPK6__halfPSL_PKlPlN2at6native12_GLOBAL__N_18offset_tEEE10hipError_tPvRmT1_PNSt15iterator_traitsISZ_E10value_typeET2_T3_PNS10_IS15_E10value_typeET4_jRbjT5_S1B_jjP12ihipStream_tbEUljE_EEESW_SX_SY_S15_S19_S1B_T6_T7_T9_mT8_S1D_bDpT10_ENKUlT_T0_E_clISt17integral_constantIbLb0EES1P_IbLb1EEEEDaS1L_S1M_EUlS1L_E_NS1_11comp_targetILNS1_3genE4ELNS1_11target_archE910ELNS1_3gpuE8ELNS1_3repE0EEENS1_30default_config_static_selectorELNS0_4arch9wavefront6targetE0EEEvSZ_.numbered_sgpr, 0
	.set _ZN7rocprim17ROCPRIM_400000_NS6detail17trampoline_kernelINS0_13select_configILj256ELj13ELNS0_17block_load_methodE3ELS4_3ELS4_3ELNS0_20block_scan_algorithmE0ELj4294967295EEENS1_25partition_config_selectorILNS1_17partition_subalgoE3EjNS0_10empty_typeEbEEZZNS1_14partition_implILS8_3ELb0ES6_jNS0_17counting_iteratorIjlEEPS9_SE_NS0_5tupleIJPjSE_EEENSF_IJSE_SE_EEES9_SG_JZNS1_25segmented_radix_sort_implINS0_14default_configELb0EPK6__halfPSL_PKlPlN2at6native12_GLOBAL__N_18offset_tEEE10hipError_tPvRmT1_PNSt15iterator_traitsISZ_E10value_typeET2_T3_PNS10_IS15_E10value_typeET4_jRbjT5_S1B_jjP12ihipStream_tbEUljE_EEESW_SX_SY_S15_S19_S1B_T6_T7_T9_mT8_S1D_bDpT10_ENKUlT_T0_E_clISt17integral_constantIbLb0EES1P_IbLb1EEEEDaS1L_S1M_EUlS1L_E_NS1_11comp_targetILNS1_3genE4ELNS1_11target_archE910ELNS1_3gpuE8ELNS1_3repE0EEENS1_30default_config_static_selectorELNS0_4arch9wavefront6targetE0EEEvSZ_.num_named_barrier, 0
	.set _ZN7rocprim17ROCPRIM_400000_NS6detail17trampoline_kernelINS0_13select_configILj256ELj13ELNS0_17block_load_methodE3ELS4_3ELS4_3ELNS0_20block_scan_algorithmE0ELj4294967295EEENS1_25partition_config_selectorILNS1_17partition_subalgoE3EjNS0_10empty_typeEbEEZZNS1_14partition_implILS8_3ELb0ES6_jNS0_17counting_iteratorIjlEEPS9_SE_NS0_5tupleIJPjSE_EEENSF_IJSE_SE_EEES9_SG_JZNS1_25segmented_radix_sort_implINS0_14default_configELb0EPK6__halfPSL_PKlPlN2at6native12_GLOBAL__N_18offset_tEEE10hipError_tPvRmT1_PNSt15iterator_traitsISZ_E10value_typeET2_T3_PNS10_IS15_E10value_typeET4_jRbjT5_S1B_jjP12ihipStream_tbEUljE_EEESW_SX_SY_S15_S19_S1B_T6_T7_T9_mT8_S1D_bDpT10_ENKUlT_T0_E_clISt17integral_constantIbLb0EES1P_IbLb1EEEEDaS1L_S1M_EUlS1L_E_NS1_11comp_targetILNS1_3genE4ELNS1_11target_archE910ELNS1_3gpuE8ELNS1_3repE0EEENS1_30default_config_static_selectorELNS0_4arch9wavefront6targetE0EEEvSZ_.private_seg_size, 0
	.set _ZN7rocprim17ROCPRIM_400000_NS6detail17trampoline_kernelINS0_13select_configILj256ELj13ELNS0_17block_load_methodE3ELS4_3ELS4_3ELNS0_20block_scan_algorithmE0ELj4294967295EEENS1_25partition_config_selectorILNS1_17partition_subalgoE3EjNS0_10empty_typeEbEEZZNS1_14partition_implILS8_3ELb0ES6_jNS0_17counting_iteratorIjlEEPS9_SE_NS0_5tupleIJPjSE_EEENSF_IJSE_SE_EEES9_SG_JZNS1_25segmented_radix_sort_implINS0_14default_configELb0EPK6__halfPSL_PKlPlN2at6native12_GLOBAL__N_18offset_tEEE10hipError_tPvRmT1_PNSt15iterator_traitsISZ_E10value_typeET2_T3_PNS10_IS15_E10value_typeET4_jRbjT5_S1B_jjP12ihipStream_tbEUljE_EEESW_SX_SY_S15_S19_S1B_T6_T7_T9_mT8_S1D_bDpT10_ENKUlT_T0_E_clISt17integral_constantIbLb0EES1P_IbLb1EEEEDaS1L_S1M_EUlS1L_E_NS1_11comp_targetILNS1_3genE4ELNS1_11target_archE910ELNS1_3gpuE8ELNS1_3repE0EEENS1_30default_config_static_selectorELNS0_4arch9wavefront6targetE0EEEvSZ_.uses_vcc, 0
	.set _ZN7rocprim17ROCPRIM_400000_NS6detail17trampoline_kernelINS0_13select_configILj256ELj13ELNS0_17block_load_methodE3ELS4_3ELS4_3ELNS0_20block_scan_algorithmE0ELj4294967295EEENS1_25partition_config_selectorILNS1_17partition_subalgoE3EjNS0_10empty_typeEbEEZZNS1_14partition_implILS8_3ELb0ES6_jNS0_17counting_iteratorIjlEEPS9_SE_NS0_5tupleIJPjSE_EEENSF_IJSE_SE_EEES9_SG_JZNS1_25segmented_radix_sort_implINS0_14default_configELb0EPK6__halfPSL_PKlPlN2at6native12_GLOBAL__N_18offset_tEEE10hipError_tPvRmT1_PNSt15iterator_traitsISZ_E10value_typeET2_T3_PNS10_IS15_E10value_typeET4_jRbjT5_S1B_jjP12ihipStream_tbEUljE_EEESW_SX_SY_S15_S19_S1B_T6_T7_T9_mT8_S1D_bDpT10_ENKUlT_T0_E_clISt17integral_constantIbLb0EES1P_IbLb1EEEEDaS1L_S1M_EUlS1L_E_NS1_11comp_targetILNS1_3genE4ELNS1_11target_archE910ELNS1_3gpuE8ELNS1_3repE0EEENS1_30default_config_static_selectorELNS0_4arch9wavefront6targetE0EEEvSZ_.uses_flat_scratch, 0
	.set _ZN7rocprim17ROCPRIM_400000_NS6detail17trampoline_kernelINS0_13select_configILj256ELj13ELNS0_17block_load_methodE3ELS4_3ELS4_3ELNS0_20block_scan_algorithmE0ELj4294967295EEENS1_25partition_config_selectorILNS1_17partition_subalgoE3EjNS0_10empty_typeEbEEZZNS1_14partition_implILS8_3ELb0ES6_jNS0_17counting_iteratorIjlEEPS9_SE_NS0_5tupleIJPjSE_EEENSF_IJSE_SE_EEES9_SG_JZNS1_25segmented_radix_sort_implINS0_14default_configELb0EPK6__halfPSL_PKlPlN2at6native12_GLOBAL__N_18offset_tEEE10hipError_tPvRmT1_PNSt15iterator_traitsISZ_E10value_typeET2_T3_PNS10_IS15_E10value_typeET4_jRbjT5_S1B_jjP12ihipStream_tbEUljE_EEESW_SX_SY_S15_S19_S1B_T6_T7_T9_mT8_S1D_bDpT10_ENKUlT_T0_E_clISt17integral_constantIbLb0EES1P_IbLb1EEEEDaS1L_S1M_EUlS1L_E_NS1_11comp_targetILNS1_3genE4ELNS1_11target_archE910ELNS1_3gpuE8ELNS1_3repE0EEENS1_30default_config_static_selectorELNS0_4arch9wavefront6targetE0EEEvSZ_.has_dyn_sized_stack, 0
	.set _ZN7rocprim17ROCPRIM_400000_NS6detail17trampoline_kernelINS0_13select_configILj256ELj13ELNS0_17block_load_methodE3ELS4_3ELS4_3ELNS0_20block_scan_algorithmE0ELj4294967295EEENS1_25partition_config_selectorILNS1_17partition_subalgoE3EjNS0_10empty_typeEbEEZZNS1_14partition_implILS8_3ELb0ES6_jNS0_17counting_iteratorIjlEEPS9_SE_NS0_5tupleIJPjSE_EEENSF_IJSE_SE_EEES9_SG_JZNS1_25segmented_radix_sort_implINS0_14default_configELb0EPK6__halfPSL_PKlPlN2at6native12_GLOBAL__N_18offset_tEEE10hipError_tPvRmT1_PNSt15iterator_traitsISZ_E10value_typeET2_T3_PNS10_IS15_E10value_typeET4_jRbjT5_S1B_jjP12ihipStream_tbEUljE_EEESW_SX_SY_S15_S19_S1B_T6_T7_T9_mT8_S1D_bDpT10_ENKUlT_T0_E_clISt17integral_constantIbLb0EES1P_IbLb1EEEEDaS1L_S1M_EUlS1L_E_NS1_11comp_targetILNS1_3genE4ELNS1_11target_archE910ELNS1_3gpuE8ELNS1_3repE0EEENS1_30default_config_static_selectorELNS0_4arch9wavefront6targetE0EEEvSZ_.has_recursion, 0
	.set _ZN7rocprim17ROCPRIM_400000_NS6detail17trampoline_kernelINS0_13select_configILj256ELj13ELNS0_17block_load_methodE3ELS4_3ELS4_3ELNS0_20block_scan_algorithmE0ELj4294967295EEENS1_25partition_config_selectorILNS1_17partition_subalgoE3EjNS0_10empty_typeEbEEZZNS1_14partition_implILS8_3ELb0ES6_jNS0_17counting_iteratorIjlEEPS9_SE_NS0_5tupleIJPjSE_EEENSF_IJSE_SE_EEES9_SG_JZNS1_25segmented_radix_sort_implINS0_14default_configELb0EPK6__halfPSL_PKlPlN2at6native12_GLOBAL__N_18offset_tEEE10hipError_tPvRmT1_PNSt15iterator_traitsISZ_E10value_typeET2_T3_PNS10_IS15_E10value_typeET4_jRbjT5_S1B_jjP12ihipStream_tbEUljE_EEESW_SX_SY_S15_S19_S1B_T6_T7_T9_mT8_S1D_bDpT10_ENKUlT_T0_E_clISt17integral_constantIbLb0EES1P_IbLb1EEEEDaS1L_S1M_EUlS1L_E_NS1_11comp_targetILNS1_3genE4ELNS1_11target_archE910ELNS1_3gpuE8ELNS1_3repE0EEENS1_30default_config_static_selectorELNS0_4arch9wavefront6targetE0EEEvSZ_.has_indirect_call, 0
	.section	.AMDGPU.csdata,"",@progbits
; Kernel info:
; codeLenInByte = 0
; TotalNumSgprs: 0
; NumVgprs: 0
; ScratchSize: 0
; MemoryBound: 0
; FloatMode: 240
; IeeeMode: 1
; LDSByteSize: 0 bytes/workgroup (compile time only)
; SGPRBlocks: 0
; VGPRBlocks: 0
; NumSGPRsForWavesPerEU: 1
; NumVGPRsForWavesPerEU: 1
; Occupancy: 16
; WaveLimiterHint : 0
; COMPUTE_PGM_RSRC2:SCRATCH_EN: 0
; COMPUTE_PGM_RSRC2:USER_SGPR: 6
; COMPUTE_PGM_RSRC2:TRAP_HANDLER: 0
; COMPUTE_PGM_RSRC2:TGID_X_EN: 1
; COMPUTE_PGM_RSRC2:TGID_Y_EN: 0
; COMPUTE_PGM_RSRC2:TGID_Z_EN: 0
; COMPUTE_PGM_RSRC2:TIDIG_COMP_CNT: 0
	.section	.text._ZN7rocprim17ROCPRIM_400000_NS6detail17trampoline_kernelINS0_13select_configILj256ELj13ELNS0_17block_load_methodE3ELS4_3ELS4_3ELNS0_20block_scan_algorithmE0ELj4294967295EEENS1_25partition_config_selectorILNS1_17partition_subalgoE3EjNS0_10empty_typeEbEEZZNS1_14partition_implILS8_3ELb0ES6_jNS0_17counting_iteratorIjlEEPS9_SE_NS0_5tupleIJPjSE_EEENSF_IJSE_SE_EEES9_SG_JZNS1_25segmented_radix_sort_implINS0_14default_configELb0EPK6__halfPSL_PKlPlN2at6native12_GLOBAL__N_18offset_tEEE10hipError_tPvRmT1_PNSt15iterator_traitsISZ_E10value_typeET2_T3_PNS10_IS15_E10value_typeET4_jRbjT5_S1B_jjP12ihipStream_tbEUljE_EEESW_SX_SY_S15_S19_S1B_T6_T7_T9_mT8_S1D_bDpT10_ENKUlT_T0_E_clISt17integral_constantIbLb0EES1P_IbLb1EEEEDaS1L_S1M_EUlS1L_E_NS1_11comp_targetILNS1_3genE3ELNS1_11target_archE908ELNS1_3gpuE7ELNS1_3repE0EEENS1_30default_config_static_selectorELNS0_4arch9wavefront6targetE0EEEvSZ_,"axG",@progbits,_ZN7rocprim17ROCPRIM_400000_NS6detail17trampoline_kernelINS0_13select_configILj256ELj13ELNS0_17block_load_methodE3ELS4_3ELS4_3ELNS0_20block_scan_algorithmE0ELj4294967295EEENS1_25partition_config_selectorILNS1_17partition_subalgoE3EjNS0_10empty_typeEbEEZZNS1_14partition_implILS8_3ELb0ES6_jNS0_17counting_iteratorIjlEEPS9_SE_NS0_5tupleIJPjSE_EEENSF_IJSE_SE_EEES9_SG_JZNS1_25segmented_radix_sort_implINS0_14default_configELb0EPK6__halfPSL_PKlPlN2at6native12_GLOBAL__N_18offset_tEEE10hipError_tPvRmT1_PNSt15iterator_traitsISZ_E10value_typeET2_T3_PNS10_IS15_E10value_typeET4_jRbjT5_S1B_jjP12ihipStream_tbEUljE_EEESW_SX_SY_S15_S19_S1B_T6_T7_T9_mT8_S1D_bDpT10_ENKUlT_T0_E_clISt17integral_constantIbLb0EES1P_IbLb1EEEEDaS1L_S1M_EUlS1L_E_NS1_11comp_targetILNS1_3genE3ELNS1_11target_archE908ELNS1_3gpuE7ELNS1_3repE0EEENS1_30default_config_static_selectorELNS0_4arch9wavefront6targetE0EEEvSZ_,comdat
	.globl	_ZN7rocprim17ROCPRIM_400000_NS6detail17trampoline_kernelINS0_13select_configILj256ELj13ELNS0_17block_load_methodE3ELS4_3ELS4_3ELNS0_20block_scan_algorithmE0ELj4294967295EEENS1_25partition_config_selectorILNS1_17partition_subalgoE3EjNS0_10empty_typeEbEEZZNS1_14partition_implILS8_3ELb0ES6_jNS0_17counting_iteratorIjlEEPS9_SE_NS0_5tupleIJPjSE_EEENSF_IJSE_SE_EEES9_SG_JZNS1_25segmented_radix_sort_implINS0_14default_configELb0EPK6__halfPSL_PKlPlN2at6native12_GLOBAL__N_18offset_tEEE10hipError_tPvRmT1_PNSt15iterator_traitsISZ_E10value_typeET2_T3_PNS10_IS15_E10value_typeET4_jRbjT5_S1B_jjP12ihipStream_tbEUljE_EEESW_SX_SY_S15_S19_S1B_T6_T7_T9_mT8_S1D_bDpT10_ENKUlT_T0_E_clISt17integral_constantIbLb0EES1P_IbLb1EEEEDaS1L_S1M_EUlS1L_E_NS1_11comp_targetILNS1_3genE3ELNS1_11target_archE908ELNS1_3gpuE7ELNS1_3repE0EEENS1_30default_config_static_selectorELNS0_4arch9wavefront6targetE0EEEvSZ_ ; -- Begin function _ZN7rocprim17ROCPRIM_400000_NS6detail17trampoline_kernelINS0_13select_configILj256ELj13ELNS0_17block_load_methodE3ELS4_3ELS4_3ELNS0_20block_scan_algorithmE0ELj4294967295EEENS1_25partition_config_selectorILNS1_17partition_subalgoE3EjNS0_10empty_typeEbEEZZNS1_14partition_implILS8_3ELb0ES6_jNS0_17counting_iteratorIjlEEPS9_SE_NS0_5tupleIJPjSE_EEENSF_IJSE_SE_EEES9_SG_JZNS1_25segmented_radix_sort_implINS0_14default_configELb0EPK6__halfPSL_PKlPlN2at6native12_GLOBAL__N_18offset_tEEE10hipError_tPvRmT1_PNSt15iterator_traitsISZ_E10value_typeET2_T3_PNS10_IS15_E10value_typeET4_jRbjT5_S1B_jjP12ihipStream_tbEUljE_EEESW_SX_SY_S15_S19_S1B_T6_T7_T9_mT8_S1D_bDpT10_ENKUlT_T0_E_clISt17integral_constantIbLb0EES1P_IbLb1EEEEDaS1L_S1M_EUlS1L_E_NS1_11comp_targetILNS1_3genE3ELNS1_11target_archE908ELNS1_3gpuE7ELNS1_3repE0EEENS1_30default_config_static_selectorELNS0_4arch9wavefront6targetE0EEEvSZ_
	.p2align	8
	.type	_ZN7rocprim17ROCPRIM_400000_NS6detail17trampoline_kernelINS0_13select_configILj256ELj13ELNS0_17block_load_methodE3ELS4_3ELS4_3ELNS0_20block_scan_algorithmE0ELj4294967295EEENS1_25partition_config_selectorILNS1_17partition_subalgoE3EjNS0_10empty_typeEbEEZZNS1_14partition_implILS8_3ELb0ES6_jNS0_17counting_iteratorIjlEEPS9_SE_NS0_5tupleIJPjSE_EEENSF_IJSE_SE_EEES9_SG_JZNS1_25segmented_radix_sort_implINS0_14default_configELb0EPK6__halfPSL_PKlPlN2at6native12_GLOBAL__N_18offset_tEEE10hipError_tPvRmT1_PNSt15iterator_traitsISZ_E10value_typeET2_T3_PNS10_IS15_E10value_typeET4_jRbjT5_S1B_jjP12ihipStream_tbEUljE_EEESW_SX_SY_S15_S19_S1B_T6_T7_T9_mT8_S1D_bDpT10_ENKUlT_T0_E_clISt17integral_constantIbLb0EES1P_IbLb1EEEEDaS1L_S1M_EUlS1L_E_NS1_11comp_targetILNS1_3genE3ELNS1_11target_archE908ELNS1_3gpuE7ELNS1_3repE0EEENS1_30default_config_static_selectorELNS0_4arch9wavefront6targetE0EEEvSZ_,@function
_ZN7rocprim17ROCPRIM_400000_NS6detail17trampoline_kernelINS0_13select_configILj256ELj13ELNS0_17block_load_methodE3ELS4_3ELS4_3ELNS0_20block_scan_algorithmE0ELj4294967295EEENS1_25partition_config_selectorILNS1_17partition_subalgoE3EjNS0_10empty_typeEbEEZZNS1_14partition_implILS8_3ELb0ES6_jNS0_17counting_iteratorIjlEEPS9_SE_NS0_5tupleIJPjSE_EEENSF_IJSE_SE_EEES9_SG_JZNS1_25segmented_radix_sort_implINS0_14default_configELb0EPK6__halfPSL_PKlPlN2at6native12_GLOBAL__N_18offset_tEEE10hipError_tPvRmT1_PNSt15iterator_traitsISZ_E10value_typeET2_T3_PNS10_IS15_E10value_typeET4_jRbjT5_S1B_jjP12ihipStream_tbEUljE_EEESW_SX_SY_S15_S19_S1B_T6_T7_T9_mT8_S1D_bDpT10_ENKUlT_T0_E_clISt17integral_constantIbLb0EES1P_IbLb1EEEEDaS1L_S1M_EUlS1L_E_NS1_11comp_targetILNS1_3genE3ELNS1_11target_archE908ELNS1_3gpuE7ELNS1_3repE0EEENS1_30default_config_static_selectorELNS0_4arch9wavefront6targetE0EEEvSZ_: ; @_ZN7rocprim17ROCPRIM_400000_NS6detail17trampoline_kernelINS0_13select_configILj256ELj13ELNS0_17block_load_methodE3ELS4_3ELS4_3ELNS0_20block_scan_algorithmE0ELj4294967295EEENS1_25partition_config_selectorILNS1_17partition_subalgoE3EjNS0_10empty_typeEbEEZZNS1_14partition_implILS8_3ELb0ES6_jNS0_17counting_iteratorIjlEEPS9_SE_NS0_5tupleIJPjSE_EEENSF_IJSE_SE_EEES9_SG_JZNS1_25segmented_radix_sort_implINS0_14default_configELb0EPK6__halfPSL_PKlPlN2at6native12_GLOBAL__N_18offset_tEEE10hipError_tPvRmT1_PNSt15iterator_traitsISZ_E10value_typeET2_T3_PNS10_IS15_E10value_typeET4_jRbjT5_S1B_jjP12ihipStream_tbEUljE_EEESW_SX_SY_S15_S19_S1B_T6_T7_T9_mT8_S1D_bDpT10_ENKUlT_T0_E_clISt17integral_constantIbLb0EES1P_IbLb1EEEEDaS1L_S1M_EUlS1L_E_NS1_11comp_targetILNS1_3genE3ELNS1_11target_archE908ELNS1_3gpuE7ELNS1_3repE0EEENS1_30default_config_static_selectorELNS0_4arch9wavefront6targetE0EEEvSZ_
; %bb.0:
	.section	.rodata,"a",@progbits
	.p2align	6, 0x0
	.amdhsa_kernel _ZN7rocprim17ROCPRIM_400000_NS6detail17trampoline_kernelINS0_13select_configILj256ELj13ELNS0_17block_load_methodE3ELS4_3ELS4_3ELNS0_20block_scan_algorithmE0ELj4294967295EEENS1_25partition_config_selectorILNS1_17partition_subalgoE3EjNS0_10empty_typeEbEEZZNS1_14partition_implILS8_3ELb0ES6_jNS0_17counting_iteratorIjlEEPS9_SE_NS0_5tupleIJPjSE_EEENSF_IJSE_SE_EEES9_SG_JZNS1_25segmented_radix_sort_implINS0_14default_configELb0EPK6__halfPSL_PKlPlN2at6native12_GLOBAL__N_18offset_tEEE10hipError_tPvRmT1_PNSt15iterator_traitsISZ_E10value_typeET2_T3_PNS10_IS15_E10value_typeET4_jRbjT5_S1B_jjP12ihipStream_tbEUljE_EEESW_SX_SY_S15_S19_S1B_T6_T7_T9_mT8_S1D_bDpT10_ENKUlT_T0_E_clISt17integral_constantIbLb0EES1P_IbLb1EEEEDaS1L_S1M_EUlS1L_E_NS1_11comp_targetILNS1_3genE3ELNS1_11target_archE908ELNS1_3gpuE7ELNS1_3repE0EEENS1_30default_config_static_selectorELNS0_4arch9wavefront6targetE0EEEvSZ_
		.amdhsa_group_segment_fixed_size 0
		.amdhsa_private_segment_fixed_size 0
		.amdhsa_kernarg_size 152
		.amdhsa_user_sgpr_count 6
		.amdhsa_user_sgpr_private_segment_buffer 1
		.amdhsa_user_sgpr_dispatch_ptr 0
		.amdhsa_user_sgpr_queue_ptr 0
		.amdhsa_user_sgpr_kernarg_segment_ptr 1
		.amdhsa_user_sgpr_dispatch_id 0
		.amdhsa_user_sgpr_flat_scratch_init 0
		.amdhsa_user_sgpr_private_segment_size 0
		.amdhsa_wavefront_size32 1
		.amdhsa_uses_dynamic_stack 0
		.amdhsa_system_sgpr_private_segment_wavefront_offset 0
		.amdhsa_system_sgpr_workgroup_id_x 1
		.amdhsa_system_sgpr_workgroup_id_y 0
		.amdhsa_system_sgpr_workgroup_id_z 0
		.amdhsa_system_sgpr_workgroup_info 0
		.amdhsa_system_vgpr_workitem_id 0
		.amdhsa_next_free_vgpr 1
		.amdhsa_next_free_sgpr 1
		.amdhsa_reserve_vcc 0
		.amdhsa_reserve_flat_scratch 0
		.amdhsa_float_round_mode_32 0
		.amdhsa_float_round_mode_16_64 0
		.amdhsa_float_denorm_mode_32 3
		.amdhsa_float_denorm_mode_16_64 3
		.amdhsa_dx10_clamp 1
		.amdhsa_ieee_mode 1
		.amdhsa_fp16_overflow 0
		.amdhsa_workgroup_processor_mode 1
		.amdhsa_memory_ordered 1
		.amdhsa_forward_progress 1
		.amdhsa_shared_vgpr_count 0
		.amdhsa_exception_fp_ieee_invalid_op 0
		.amdhsa_exception_fp_denorm_src 0
		.amdhsa_exception_fp_ieee_div_zero 0
		.amdhsa_exception_fp_ieee_overflow 0
		.amdhsa_exception_fp_ieee_underflow 0
		.amdhsa_exception_fp_ieee_inexact 0
		.amdhsa_exception_int_div_zero 0
	.end_amdhsa_kernel
	.section	.text._ZN7rocprim17ROCPRIM_400000_NS6detail17trampoline_kernelINS0_13select_configILj256ELj13ELNS0_17block_load_methodE3ELS4_3ELS4_3ELNS0_20block_scan_algorithmE0ELj4294967295EEENS1_25partition_config_selectorILNS1_17partition_subalgoE3EjNS0_10empty_typeEbEEZZNS1_14partition_implILS8_3ELb0ES6_jNS0_17counting_iteratorIjlEEPS9_SE_NS0_5tupleIJPjSE_EEENSF_IJSE_SE_EEES9_SG_JZNS1_25segmented_radix_sort_implINS0_14default_configELb0EPK6__halfPSL_PKlPlN2at6native12_GLOBAL__N_18offset_tEEE10hipError_tPvRmT1_PNSt15iterator_traitsISZ_E10value_typeET2_T3_PNS10_IS15_E10value_typeET4_jRbjT5_S1B_jjP12ihipStream_tbEUljE_EEESW_SX_SY_S15_S19_S1B_T6_T7_T9_mT8_S1D_bDpT10_ENKUlT_T0_E_clISt17integral_constantIbLb0EES1P_IbLb1EEEEDaS1L_S1M_EUlS1L_E_NS1_11comp_targetILNS1_3genE3ELNS1_11target_archE908ELNS1_3gpuE7ELNS1_3repE0EEENS1_30default_config_static_selectorELNS0_4arch9wavefront6targetE0EEEvSZ_,"axG",@progbits,_ZN7rocprim17ROCPRIM_400000_NS6detail17trampoline_kernelINS0_13select_configILj256ELj13ELNS0_17block_load_methodE3ELS4_3ELS4_3ELNS0_20block_scan_algorithmE0ELj4294967295EEENS1_25partition_config_selectorILNS1_17partition_subalgoE3EjNS0_10empty_typeEbEEZZNS1_14partition_implILS8_3ELb0ES6_jNS0_17counting_iteratorIjlEEPS9_SE_NS0_5tupleIJPjSE_EEENSF_IJSE_SE_EEES9_SG_JZNS1_25segmented_radix_sort_implINS0_14default_configELb0EPK6__halfPSL_PKlPlN2at6native12_GLOBAL__N_18offset_tEEE10hipError_tPvRmT1_PNSt15iterator_traitsISZ_E10value_typeET2_T3_PNS10_IS15_E10value_typeET4_jRbjT5_S1B_jjP12ihipStream_tbEUljE_EEESW_SX_SY_S15_S19_S1B_T6_T7_T9_mT8_S1D_bDpT10_ENKUlT_T0_E_clISt17integral_constantIbLb0EES1P_IbLb1EEEEDaS1L_S1M_EUlS1L_E_NS1_11comp_targetILNS1_3genE3ELNS1_11target_archE908ELNS1_3gpuE7ELNS1_3repE0EEENS1_30default_config_static_selectorELNS0_4arch9wavefront6targetE0EEEvSZ_,comdat
.Lfunc_end1827:
	.size	_ZN7rocprim17ROCPRIM_400000_NS6detail17trampoline_kernelINS0_13select_configILj256ELj13ELNS0_17block_load_methodE3ELS4_3ELS4_3ELNS0_20block_scan_algorithmE0ELj4294967295EEENS1_25partition_config_selectorILNS1_17partition_subalgoE3EjNS0_10empty_typeEbEEZZNS1_14partition_implILS8_3ELb0ES6_jNS0_17counting_iteratorIjlEEPS9_SE_NS0_5tupleIJPjSE_EEENSF_IJSE_SE_EEES9_SG_JZNS1_25segmented_radix_sort_implINS0_14default_configELb0EPK6__halfPSL_PKlPlN2at6native12_GLOBAL__N_18offset_tEEE10hipError_tPvRmT1_PNSt15iterator_traitsISZ_E10value_typeET2_T3_PNS10_IS15_E10value_typeET4_jRbjT5_S1B_jjP12ihipStream_tbEUljE_EEESW_SX_SY_S15_S19_S1B_T6_T7_T9_mT8_S1D_bDpT10_ENKUlT_T0_E_clISt17integral_constantIbLb0EES1P_IbLb1EEEEDaS1L_S1M_EUlS1L_E_NS1_11comp_targetILNS1_3genE3ELNS1_11target_archE908ELNS1_3gpuE7ELNS1_3repE0EEENS1_30default_config_static_selectorELNS0_4arch9wavefront6targetE0EEEvSZ_, .Lfunc_end1827-_ZN7rocprim17ROCPRIM_400000_NS6detail17trampoline_kernelINS0_13select_configILj256ELj13ELNS0_17block_load_methodE3ELS4_3ELS4_3ELNS0_20block_scan_algorithmE0ELj4294967295EEENS1_25partition_config_selectorILNS1_17partition_subalgoE3EjNS0_10empty_typeEbEEZZNS1_14partition_implILS8_3ELb0ES6_jNS0_17counting_iteratorIjlEEPS9_SE_NS0_5tupleIJPjSE_EEENSF_IJSE_SE_EEES9_SG_JZNS1_25segmented_radix_sort_implINS0_14default_configELb0EPK6__halfPSL_PKlPlN2at6native12_GLOBAL__N_18offset_tEEE10hipError_tPvRmT1_PNSt15iterator_traitsISZ_E10value_typeET2_T3_PNS10_IS15_E10value_typeET4_jRbjT5_S1B_jjP12ihipStream_tbEUljE_EEESW_SX_SY_S15_S19_S1B_T6_T7_T9_mT8_S1D_bDpT10_ENKUlT_T0_E_clISt17integral_constantIbLb0EES1P_IbLb1EEEEDaS1L_S1M_EUlS1L_E_NS1_11comp_targetILNS1_3genE3ELNS1_11target_archE908ELNS1_3gpuE7ELNS1_3repE0EEENS1_30default_config_static_selectorELNS0_4arch9wavefront6targetE0EEEvSZ_
                                        ; -- End function
	.set _ZN7rocprim17ROCPRIM_400000_NS6detail17trampoline_kernelINS0_13select_configILj256ELj13ELNS0_17block_load_methodE3ELS4_3ELS4_3ELNS0_20block_scan_algorithmE0ELj4294967295EEENS1_25partition_config_selectorILNS1_17partition_subalgoE3EjNS0_10empty_typeEbEEZZNS1_14partition_implILS8_3ELb0ES6_jNS0_17counting_iteratorIjlEEPS9_SE_NS0_5tupleIJPjSE_EEENSF_IJSE_SE_EEES9_SG_JZNS1_25segmented_radix_sort_implINS0_14default_configELb0EPK6__halfPSL_PKlPlN2at6native12_GLOBAL__N_18offset_tEEE10hipError_tPvRmT1_PNSt15iterator_traitsISZ_E10value_typeET2_T3_PNS10_IS15_E10value_typeET4_jRbjT5_S1B_jjP12ihipStream_tbEUljE_EEESW_SX_SY_S15_S19_S1B_T6_T7_T9_mT8_S1D_bDpT10_ENKUlT_T0_E_clISt17integral_constantIbLb0EES1P_IbLb1EEEEDaS1L_S1M_EUlS1L_E_NS1_11comp_targetILNS1_3genE3ELNS1_11target_archE908ELNS1_3gpuE7ELNS1_3repE0EEENS1_30default_config_static_selectorELNS0_4arch9wavefront6targetE0EEEvSZ_.num_vgpr, 0
	.set _ZN7rocprim17ROCPRIM_400000_NS6detail17trampoline_kernelINS0_13select_configILj256ELj13ELNS0_17block_load_methodE3ELS4_3ELS4_3ELNS0_20block_scan_algorithmE0ELj4294967295EEENS1_25partition_config_selectorILNS1_17partition_subalgoE3EjNS0_10empty_typeEbEEZZNS1_14partition_implILS8_3ELb0ES6_jNS0_17counting_iteratorIjlEEPS9_SE_NS0_5tupleIJPjSE_EEENSF_IJSE_SE_EEES9_SG_JZNS1_25segmented_radix_sort_implINS0_14default_configELb0EPK6__halfPSL_PKlPlN2at6native12_GLOBAL__N_18offset_tEEE10hipError_tPvRmT1_PNSt15iterator_traitsISZ_E10value_typeET2_T3_PNS10_IS15_E10value_typeET4_jRbjT5_S1B_jjP12ihipStream_tbEUljE_EEESW_SX_SY_S15_S19_S1B_T6_T7_T9_mT8_S1D_bDpT10_ENKUlT_T0_E_clISt17integral_constantIbLb0EES1P_IbLb1EEEEDaS1L_S1M_EUlS1L_E_NS1_11comp_targetILNS1_3genE3ELNS1_11target_archE908ELNS1_3gpuE7ELNS1_3repE0EEENS1_30default_config_static_selectorELNS0_4arch9wavefront6targetE0EEEvSZ_.num_agpr, 0
	.set _ZN7rocprim17ROCPRIM_400000_NS6detail17trampoline_kernelINS0_13select_configILj256ELj13ELNS0_17block_load_methodE3ELS4_3ELS4_3ELNS0_20block_scan_algorithmE0ELj4294967295EEENS1_25partition_config_selectorILNS1_17partition_subalgoE3EjNS0_10empty_typeEbEEZZNS1_14partition_implILS8_3ELb0ES6_jNS0_17counting_iteratorIjlEEPS9_SE_NS0_5tupleIJPjSE_EEENSF_IJSE_SE_EEES9_SG_JZNS1_25segmented_radix_sort_implINS0_14default_configELb0EPK6__halfPSL_PKlPlN2at6native12_GLOBAL__N_18offset_tEEE10hipError_tPvRmT1_PNSt15iterator_traitsISZ_E10value_typeET2_T3_PNS10_IS15_E10value_typeET4_jRbjT5_S1B_jjP12ihipStream_tbEUljE_EEESW_SX_SY_S15_S19_S1B_T6_T7_T9_mT8_S1D_bDpT10_ENKUlT_T0_E_clISt17integral_constantIbLb0EES1P_IbLb1EEEEDaS1L_S1M_EUlS1L_E_NS1_11comp_targetILNS1_3genE3ELNS1_11target_archE908ELNS1_3gpuE7ELNS1_3repE0EEENS1_30default_config_static_selectorELNS0_4arch9wavefront6targetE0EEEvSZ_.numbered_sgpr, 0
	.set _ZN7rocprim17ROCPRIM_400000_NS6detail17trampoline_kernelINS0_13select_configILj256ELj13ELNS0_17block_load_methodE3ELS4_3ELS4_3ELNS0_20block_scan_algorithmE0ELj4294967295EEENS1_25partition_config_selectorILNS1_17partition_subalgoE3EjNS0_10empty_typeEbEEZZNS1_14partition_implILS8_3ELb0ES6_jNS0_17counting_iteratorIjlEEPS9_SE_NS0_5tupleIJPjSE_EEENSF_IJSE_SE_EEES9_SG_JZNS1_25segmented_radix_sort_implINS0_14default_configELb0EPK6__halfPSL_PKlPlN2at6native12_GLOBAL__N_18offset_tEEE10hipError_tPvRmT1_PNSt15iterator_traitsISZ_E10value_typeET2_T3_PNS10_IS15_E10value_typeET4_jRbjT5_S1B_jjP12ihipStream_tbEUljE_EEESW_SX_SY_S15_S19_S1B_T6_T7_T9_mT8_S1D_bDpT10_ENKUlT_T0_E_clISt17integral_constantIbLb0EES1P_IbLb1EEEEDaS1L_S1M_EUlS1L_E_NS1_11comp_targetILNS1_3genE3ELNS1_11target_archE908ELNS1_3gpuE7ELNS1_3repE0EEENS1_30default_config_static_selectorELNS0_4arch9wavefront6targetE0EEEvSZ_.num_named_barrier, 0
	.set _ZN7rocprim17ROCPRIM_400000_NS6detail17trampoline_kernelINS0_13select_configILj256ELj13ELNS0_17block_load_methodE3ELS4_3ELS4_3ELNS0_20block_scan_algorithmE0ELj4294967295EEENS1_25partition_config_selectorILNS1_17partition_subalgoE3EjNS0_10empty_typeEbEEZZNS1_14partition_implILS8_3ELb0ES6_jNS0_17counting_iteratorIjlEEPS9_SE_NS0_5tupleIJPjSE_EEENSF_IJSE_SE_EEES9_SG_JZNS1_25segmented_radix_sort_implINS0_14default_configELb0EPK6__halfPSL_PKlPlN2at6native12_GLOBAL__N_18offset_tEEE10hipError_tPvRmT1_PNSt15iterator_traitsISZ_E10value_typeET2_T3_PNS10_IS15_E10value_typeET4_jRbjT5_S1B_jjP12ihipStream_tbEUljE_EEESW_SX_SY_S15_S19_S1B_T6_T7_T9_mT8_S1D_bDpT10_ENKUlT_T0_E_clISt17integral_constantIbLb0EES1P_IbLb1EEEEDaS1L_S1M_EUlS1L_E_NS1_11comp_targetILNS1_3genE3ELNS1_11target_archE908ELNS1_3gpuE7ELNS1_3repE0EEENS1_30default_config_static_selectorELNS0_4arch9wavefront6targetE0EEEvSZ_.private_seg_size, 0
	.set _ZN7rocprim17ROCPRIM_400000_NS6detail17trampoline_kernelINS0_13select_configILj256ELj13ELNS0_17block_load_methodE3ELS4_3ELS4_3ELNS0_20block_scan_algorithmE0ELj4294967295EEENS1_25partition_config_selectorILNS1_17partition_subalgoE3EjNS0_10empty_typeEbEEZZNS1_14partition_implILS8_3ELb0ES6_jNS0_17counting_iteratorIjlEEPS9_SE_NS0_5tupleIJPjSE_EEENSF_IJSE_SE_EEES9_SG_JZNS1_25segmented_radix_sort_implINS0_14default_configELb0EPK6__halfPSL_PKlPlN2at6native12_GLOBAL__N_18offset_tEEE10hipError_tPvRmT1_PNSt15iterator_traitsISZ_E10value_typeET2_T3_PNS10_IS15_E10value_typeET4_jRbjT5_S1B_jjP12ihipStream_tbEUljE_EEESW_SX_SY_S15_S19_S1B_T6_T7_T9_mT8_S1D_bDpT10_ENKUlT_T0_E_clISt17integral_constantIbLb0EES1P_IbLb1EEEEDaS1L_S1M_EUlS1L_E_NS1_11comp_targetILNS1_3genE3ELNS1_11target_archE908ELNS1_3gpuE7ELNS1_3repE0EEENS1_30default_config_static_selectorELNS0_4arch9wavefront6targetE0EEEvSZ_.uses_vcc, 0
	.set _ZN7rocprim17ROCPRIM_400000_NS6detail17trampoline_kernelINS0_13select_configILj256ELj13ELNS0_17block_load_methodE3ELS4_3ELS4_3ELNS0_20block_scan_algorithmE0ELj4294967295EEENS1_25partition_config_selectorILNS1_17partition_subalgoE3EjNS0_10empty_typeEbEEZZNS1_14partition_implILS8_3ELb0ES6_jNS0_17counting_iteratorIjlEEPS9_SE_NS0_5tupleIJPjSE_EEENSF_IJSE_SE_EEES9_SG_JZNS1_25segmented_radix_sort_implINS0_14default_configELb0EPK6__halfPSL_PKlPlN2at6native12_GLOBAL__N_18offset_tEEE10hipError_tPvRmT1_PNSt15iterator_traitsISZ_E10value_typeET2_T3_PNS10_IS15_E10value_typeET4_jRbjT5_S1B_jjP12ihipStream_tbEUljE_EEESW_SX_SY_S15_S19_S1B_T6_T7_T9_mT8_S1D_bDpT10_ENKUlT_T0_E_clISt17integral_constantIbLb0EES1P_IbLb1EEEEDaS1L_S1M_EUlS1L_E_NS1_11comp_targetILNS1_3genE3ELNS1_11target_archE908ELNS1_3gpuE7ELNS1_3repE0EEENS1_30default_config_static_selectorELNS0_4arch9wavefront6targetE0EEEvSZ_.uses_flat_scratch, 0
	.set _ZN7rocprim17ROCPRIM_400000_NS6detail17trampoline_kernelINS0_13select_configILj256ELj13ELNS0_17block_load_methodE3ELS4_3ELS4_3ELNS0_20block_scan_algorithmE0ELj4294967295EEENS1_25partition_config_selectorILNS1_17partition_subalgoE3EjNS0_10empty_typeEbEEZZNS1_14partition_implILS8_3ELb0ES6_jNS0_17counting_iteratorIjlEEPS9_SE_NS0_5tupleIJPjSE_EEENSF_IJSE_SE_EEES9_SG_JZNS1_25segmented_radix_sort_implINS0_14default_configELb0EPK6__halfPSL_PKlPlN2at6native12_GLOBAL__N_18offset_tEEE10hipError_tPvRmT1_PNSt15iterator_traitsISZ_E10value_typeET2_T3_PNS10_IS15_E10value_typeET4_jRbjT5_S1B_jjP12ihipStream_tbEUljE_EEESW_SX_SY_S15_S19_S1B_T6_T7_T9_mT8_S1D_bDpT10_ENKUlT_T0_E_clISt17integral_constantIbLb0EES1P_IbLb1EEEEDaS1L_S1M_EUlS1L_E_NS1_11comp_targetILNS1_3genE3ELNS1_11target_archE908ELNS1_3gpuE7ELNS1_3repE0EEENS1_30default_config_static_selectorELNS0_4arch9wavefront6targetE0EEEvSZ_.has_dyn_sized_stack, 0
	.set _ZN7rocprim17ROCPRIM_400000_NS6detail17trampoline_kernelINS0_13select_configILj256ELj13ELNS0_17block_load_methodE3ELS4_3ELS4_3ELNS0_20block_scan_algorithmE0ELj4294967295EEENS1_25partition_config_selectorILNS1_17partition_subalgoE3EjNS0_10empty_typeEbEEZZNS1_14partition_implILS8_3ELb0ES6_jNS0_17counting_iteratorIjlEEPS9_SE_NS0_5tupleIJPjSE_EEENSF_IJSE_SE_EEES9_SG_JZNS1_25segmented_radix_sort_implINS0_14default_configELb0EPK6__halfPSL_PKlPlN2at6native12_GLOBAL__N_18offset_tEEE10hipError_tPvRmT1_PNSt15iterator_traitsISZ_E10value_typeET2_T3_PNS10_IS15_E10value_typeET4_jRbjT5_S1B_jjP12ihipStream_tbEUljE_EEESW_SX_SY_S15_S19_S1B_T6_T7_T9_mT8_S1D_bDpT10_ENKUlT_T0_E_clISt17integral_constantIbLb0EES1P_IbLb1EEEEDaS1L_S1M_EUlS1L_E_NS1_11comp_targetILNS1_3genE3ELNS1_11target_archE908ELNS1_3gpuE7ELNS1_3repE0EEENS1_30default_config_static_selectorELNS0_4arch9wavefront6targetE0EEEvSZ_.has_recursion, 0
	.set _ZN7rocprim17ROCPRIM_400000_NS6detail17trampoline_kernelINS0_13select_configILj256ELj13ELNS0_17block_load_methodE3ELS4_3ELS4_3ELNS0_20block_scan_algorithmE0ELj4294967295EEENS1_25partition_config_selectorILNS1_17partition_subalgoE3EjNS0_10empty_typeEbEEZZNS1_14partition_implILS8_3ELb0ES6_jNS0_17counting_iteratorIjlEEPS9_SE_NS0_5tupleIJPjSE_EEENSF_IJSE_SE_EEES9_SG_JZNS1_25segmented_radix_sort_implINS0_14default_configELb0EPK6__halfPSL_PKlPlN2at6native12_GLOBAL__N_18offset_tEEE10hipError_tPvRmT1_PNSt15iterator_traitsISZ_E10value_typeET2_T3_PNS10_IS15_E10value_typeET4_jRbjT5_S1B_jjP12ihipStream_tbEUljE_EEESW_SX_SY_S15_S19_S1B_T6_T7_T9_mT8_S1D_bDpT10_ENKUlT_T0_E_clISt17integral_constantIbLb0EES1P_IbLb1EEEEDaS1L_S1M_EUlS1L_E_NS1_11comp_targetILNS1_3genE3ELNS1_11target_archE908ELNS1_3gpuE7ELNS1_3repE0EEENS1_30default_config_static_selectorELNS0_4arch9wavefront6targetE0EEEvSZ_.has_indirect_call, 0
	.section	.AMDGPU.csdata,"",@progbits
; Kernel info:
; codeLenInByte = 0
; TotalNumSgprs: 0
; NumVgprs: 0
; ScratchSize: 0
; MemoryBound: 0
; FloatMode: 240
; IeeeMode: 1
; LDSByteSize: 0 bytes/workgroup (compile time only)
; SGPRBlocks: 0
; VGPRBlocks: 0
; NumSGPRsForWavesPerEU: 1
; NumVGPRsForWavesPerEU: 1
; Occupancy: 16
; WaveLimiterHint : 0
; COMPUTE_PGM_RSRC2:SCRATCH_EN: 0
; COMPUTE_PGM_RSRC2:USER_SGPR: 6
; COMPUTE_PGM_RSRC2:TRAP_HANDLER: 0
; COMPUTE_PGM_RSRC2:TGID_X_EN: 1
; COMPUTE_PGM_RSRC2:TGID_Y_EN: 0
; COMPUTE_PGM_RSRC2:TGID_Z_EN: 0
; COMPUTE_PGM_RSRC2:TIDIG_COMP_CNT: 0
	.section	.text._ZN7rocprim17ROCPRIM_400000_NS6detail17trampoline_kernelINS0_13select_configILj256ELj13ELNS0_17block_load_methodE3ELS4_3ELS4_3ELNS0_20block_scan_algorithmE0ELj4294967295EEENS1_25partition_config_selectorILNS1_17partition_subalgoE3EjNS0_10empty_typeEbEEZZNS1_14partition_implILS8_3ELb0ES6_jNS0_17counting_iteratorIjlEEPS9_SE_NS0_5tupleIJPjSE_EEENSF_IJSE_SE_EEES9_SG_JZNS1_25segmented_radix_sort_implINS0_14default_configELb0EPK6__halfPSL_PKlPlN2at6native12_GLOBAL__N_18offset_tEEE10hipError_tPvRmT1_PNSt15iterator_traitsISZ_E10value_typeET2_T3_PNS10_IS15_E10value_typeET4_jRbjT5_S1B_jjP12ihipStream_tbEUljE_EEESW_SX_SY_S15_S19_S1B_T6_T7_T9_mT8_S1D_bDpT10_ENKUlT_T0_E_clISt17integral_constantIbLb0EES1P_IbLb1EEEEDaS1L_S1M_EUlS1L_E_NS1_11comp_targetILNS1_3genE2ELNS1_11target_archE906ELNS1_3gpuE6ELNS1_3repE0EEENS1_30default_config_static_selectorELNS0_4arch9wavefront6targetE0EEEvSZ_,"axG",@progbits,_ZN7rocprim17ROCPRIM_400000_NS6detail17trampoline_kernelINS0_13select_configILj256ELj13ELNS0_17block_load_methodE3ELS4_3ELS4_3ELNS0_20block_scan_algorithmE0ELj4294967295EEENS1_25partition_config_selectorILNS1_17partition_subalgoE3EjNS0_10empty_typeEbEEZZNS1_14partition_implILS8_3ELb0ES6_jNS0_17counting_iteratorIjlEEPS9_SE_NS0_5tupleIJPjSE_EEENSF_IJSE_SE_EEES9_SG_JZNS1_25segmented_radix_sort_implINS0_14default_configELb0EPK6__halfPSL_PKlPlN2at6native12_GLOBAL__N_18offset_tEEE10hipError_tPvRmT1_PNSt15iterator_traitsISZ_E10value_typeET2_T3_PNS10_IS15_E10value_typeET4_jRbjT5_S1B_jjP12ihipStream_tbEUljE_EEESW_SX_SY_S15_S19_S1B_T6_T7_T9_mT8_S1D_bDpT10_ENKUlT_T0_E_clISt17integral_constantIbLb0EES1P_IbLb1EEEEDaS1L_S1M_EUlS1L_E_NS1_11comp_targetILNS1_3genE2ELNS1_11target_archE906ELNS1_3gpuE6ELNS1_3repE0EEENS1_30default_config_static_selectorELNS0_4arch9wavefront6targetE0EEEvSZ_,comdat
	.globl	_ZN7rocprim17ROCPRIM_400000_NS6detail17trampoline_kernelINS0_13select_configILj256ELj13ELNS0_17block_load_methodE3ELS4_3ELS4_3ELNS0_20block_scan_algorithmE0ELj4294967295EEENS1_25partition_config_selectorILNS1_17partition_subalgoE3EjNS0_10empty_typeEbEEZZNS1_14partition_implILS8_3ELb0ES6_jNS0_17counting_iteratorIjlEEPS9_SE_NS0_5tupleIJPjSE_EEENSF_IJSE_SE_EEES9_SG_JZNS1_25segmented_radix_sort_implINS0_14default_configELb0EPK6__halfPSL_PKlPlN2at6native12_GLOBAL__N_18offset_tEEE10hipError_tPvRmT1_PNSt15iterator_traitsISZ_E10value_typeET2_T3_PNS10_IS15_E10value_typeET4_jRbjT5_S1B_jjP12ihipStream_tbEUljE_EEESW_SX_SY_S15_S19_S1B_T6_T7_T9_mT8_S1D_bDpT10_ENKUlT_T0_E_clISt17integral_constantIbLb0EES1P_IbLb1EEEEDaS1L_S1M_EUlS1L_E_NS1_11comp_targetILNS1_3genE2ELNS1_11target_archE906ELNS1_3gpuE6ELNS1_3repE0EEENS1_30default_config_static_selectorELNS0_4arch9wavefront6targetE0EEEvSZ_ ; -- Begin function _ZN7rocprim17ROCPRIM_400000_NS6detail17trampoline_kernelINS0_13select_configILj256ELj13ELNS0_17block_load_methodE3ELS4_3ELS4_3ELNS0_20block_scan_algorithmE0ELj4294967295EEENS1_25partition_config_selectorILNS1_17partition_subalgoE3EjNS0_10empty_typeEbEEZZNS1_14partition_implILS8_3ELb0ES6_jNS0_17counting_iteratorIjlEEPS9_SE_NS0_5tupleIJPjSE_EEENSF_IJSE_SE_EEES9_SG_JZNS1_25segmented_radix_sort_implINS0_14default_configELb0EPK6__halfPSL_PKlPlN2at6native12_GLOBAL__N_18offset_tEEE10hipError_tPvRmT1_PNSt15iterator_traitsISZ_E10value_typeET2_T3_PNS10_IS15_E10value_typeET4_jRbjT5_S1B_jjP12ihipStream_tbEUljE_EEESW_SX_SY_S15_S19_S1B_T6_T7_T9_mT8_S1D_bDpT10_ENKUlT_T0_E_clISt17integral_constantIbLb0EES1P_IbLb1EEEEDaS1L_S1M_EUlS1L_E_NS1_11comp_targetILNS1_3genE2ELNS1_11target_archE906ELNS1_3gpuE6ELNS1_3repE0EEENS1_30default_config_static_selectorELNS0_4arch9wavefront6targetE0EEEvSZ_
	.p2align	8
	.type	_ZN7rocprim17ROCPRIM_400000_NS6detail17trampoline_kernelINS0_13select_configILj256ELj13ELNS0_17block_load_methodE3ELS4_3ELS4_3ELNS0_20block_scan_algorithmE0ELj4294967295EEENS1_25partition_config_selectorILNS1_17partition_subalgoE3EjNS0_10empty_typeEbEEZZNS1_14partition_implILS8_3ELb0ES6_jNS0_17counting_iteratorIjlEEPS9_SE_NS0_5tupleIJPjSE_EEENSF_IJSE_SE_EEES9_SG_JZNS1_25segmented_radix_sort_implINS0_14default_configELb0EPK6__halfPSL_PKlPlN2at6native12_GLOBAL__N_18offset_tEEE10hipError_tPvRmT1_PNSt15iterator_traitsISZ_E10value_typeET2_T3_PNS10_IS15_E10value_typeET4_jRbjT5_S1B_jjP12ihipStream_tbEUljE_EEESW_SX_SY_S15_S19_S1B_T6_T7_T9_mT8_S1D_bDpT10_ENKUlT_T0_E_clISt17integral_constantIbLb0EES1P_IbLb1EEEEDaS1L_S1M_EUlS1L_E_NS1_11comp_targetILNS1_3genE2ELNS1_11target_archE906ELNS1_3gpuE6ELNS1_3repE0EEENS1_30default_config_static_selectorELNS0_4arch9wavefront6targetE0EEEvSZ_,@function
_ZN7rocprim17ROCPRIM_400000_NS6detail17trampoline_kernelINS0_13select_configILj256ELj13ELNS0_17block_load_methodE3ELS4_3ELS4_3ELNS0_20block_scan_algorithmE0ELj4294967295EEENS1_25partition_config_selectorILNS1_17partition_subalgoE3EjNS0_10empty_typeEbEEZZNS1_14partition_implILS8_3ELb0ES6_jNS0_17counting_iteratorIjlEEPS9_SE_NS0_5tupleIJPjSE_EEENSF_IJSE_SE_EEES9_SG_JZNS1_25segmented_radix_sort_implINS0_14default_configELb0EPK6__halfPSL_PKlPlN2at6native12_GLOBAL__N_18offset_tEEE10hipError_tPvRmT1_PNSt15iterator_traitsISZ_E10value_typeET2_T3_PNS10_IS15_E10value_typeET4_jRbjT5_S1B_jjP12ihipStream_tbEUljE_EEESW_SX_SY_S15_S19_S1B_T6_T7_T9_mT8_S1D_bDpT10_ENKUlT_T0_E_clISt17integral_constantIbLb0EES1P_IbLb1EEEEDaS1L_S1M_EUlS1L_E_NS1_11comp_targetILNS1_3genE2ELNS1_11target_archE906ELNS1_3gpuE6ELNS1_3repE0EEENS1_30default_config_static_selectorELNS0_4arch9wavefront6targetE0EEEvSZ_: ; @_ZN7rocprim17ROCPRIM_400000_NS6detail17trampoline_kernelINS0_13select_configILj256ELj13ELNS0_17block_load_methodE3ELS4_3ELS4_3ELNS0_20block_scan_algorithmE0ELj4294967295EEENS1_25partition_config_selectorILNS1_17partition_subalgoE3EjNS0_10empty_typeEbEEZZNS1_14partition_implILS8_3ELb0ES6_jNS0_17counting_iteratorIjlEEPS9_SE_NS0_5tupleIJPjSE_EEENSF_IJSE_SE_EEES9_SG_JZNS1_25segmented_radix_sort_implINS0_14default_configELb0EPK6__halfPSL_PKlPlN2at6native12_GLOBAL__N_18offset_tEEE10hipError_tPvRmT1_PNSt15iterator_traitsISZ_E10value_typeET2_T3_PNS10_IS15_E10value_typeET4_jRbjT5_S1B_jjP12ihipStream_tbEUljE_EEESW_SX_SY_S15_S19_S1B_T6_T7_T9_mT8_S1D_bDpT10_ENKUlT_T0_E_clISt17integral_constantIbLb0EES1P_IbLb1EEEEDaS1L_S1M_EUlS1L_E_NS1_11comp_targetILNS1_3genE2ELNS1_11target_archE906ELNS1_3gpuE6ELNS1_3repE0EEENS1_30default_config_static_selectorELNS0_4arch9wavefront6targetE0EEEvSZ_
; %bb.0:
	.section	.rodata,"a",@progbits
	.p2align	6, 0x0
	.amdhsa_kernel _ZN7rocprim17ROCPRIM_400000_NS6detail17trampoline_kernelINS0_13select_configILj256ELj13ELNS0_17block_load_methodE3ELS4_3ELS4_3ELNS0_20block_scan_algorithmE0ELj4294967295EEENS1_25partition_config_selectorILNS1_17partition_subalgoE3EjNS0_10empty_typeEbEEZZNS1_14partition_implILS8_3ELb0ES6_jNS0_17counting_iteratorIjlEEPS9_SE_NS0_5tupleIJPjSE_EEENSF_IJSE_SE_EEES9_SG_JZNS1_25segmented_radix_sort_implINS0_14default_configELb0EPK6__halfPSL_PKlPlN2at6native12_GLOBAL__N_18offset_tEEE10hipError_tPvRmT1_PNSt15iterator_traitsISZ_E10value_typeET2_T3_PNS10_IS15_E10value_typeET4_jRbjT5_S1B_jjP12ihipStream_tbEUljE_EEESW_SX_SY_S15_S19_S1B_T6_T7_T9_mT8_S1D_bDpT10_ENKUlT_T0_E_clISt17integral_constantIbLb0EES1P_IbLb1EEEEDaS1L_S1M_EUlS1L_E_NS1_11comp_targetILNS1_3genE2ELNS1_11target_archE906ELNS1_3gpuE6ELNS1_3repE0EEENS1_30default_config_static_selectorELNS0_4arch9wavefront6targetE0EEEvSZ_
		.amdhsa_group_segment_fixed_size 0
		.amdhsa_private_segment_fixed_size 0
		.amdhsa_kernarg_size 152
		.amdhsa_user_sgpr_count 6
		.amdhsa_user_sgpr_private_segment_buffer 1
		.amdhsa_user_sgpr_dispatch_ptr 0
		.amdhsa_user_sgpr_queue_ptr 0
		.amdhsa_user_sgpr_kernarg_segment_ptr 1
		.amdhsa_user_sgpr_dispatch_id 0
		.amdhsa_user_sgpr_flat_scratch_init 0
		.amdhsa_user_sgpr_private_segment_size 0
		.amdhsa_wavefront_size32 1
		.amdhsa_uses_dynamic_stack 0
		.amdhsa_system_sgpr_private_segment_wavefront_offset 0
		.amdhsa_system_sgpr_workgroup_id_x 1
		.amdhsa_system_sgpr_workgroup_id_y 0
		.amdhsa_system_sgpr_workgroup_id_z 0
		.amdhsa_system_sgpr_workgroup_info 0
		.amdhsa_system_vgpr_workitem_id 0
		.amdhsa_next_free_vgpr 1
		.amdhsa_next_free_sgpr 1
		.amdhsa_reserve_vcc 0
		.amdhsa_reserve_flat_scratch 0
		.amdhsa_float_round_mode_32 0
		.amdhsa_float_round_mode_16_64 0
		.amdhsa_float_denorm_mode_32 3
		.amdhsa_float_denorm_mode_16_64 3
		.amdhsa_dx10_clamp 1
		.amdhsa_ieee_mode 1
		.amdhsa_fp16_overflow 0
		.amdhsa_workgroup_processor_mode 1
		.amdhsa_memory_ordered 1
		.amdhsa_forward_progress 1
		.amdhsa_shared_vgpr_count 0
		.amdhsa_exception_fp_ieee_invalid_op 0
		.amdhsa_exception_fp_denorm_src 0
		.amdhsa_exception_fp_ieee_div_zero 0
		.amdhsa_exception_fp_ieee_overflow 0
		.amdhsa_exception_fp_ieee_underflow 0
		.amdhsa_exception_fp_ieee_inexact 0
		.amdhsa_exception_int_div_zero 0
	.end_amdhsa_kernel
	.section	.text._ZN7rocprim17ROCPRIM_400000_NS6detail17trampoline_kernelINS0_13select_configILj256ELj13ELNS0_17block_load_methodE3ELS4_3ELS4_3ELNS0_20block_scan_algorithmE0ELj4294967295EEENS1_25partition_config_selectorILNS1_17partition_subalgoE3EjNS0_10empty_typeEbEEZZNS1_14partition_implILS8_3ELb0ES6_jNS0_17counting_iteratorIjlEEPS9_SE_NS0_5tupleIJPjSE_EEENSF_IJSE_SE_EEES9_SG_JZNS1_25segmented_radix_sort_implINS0_14default_configELb0EPK6__halfPSL_PKlPlN2at6native12_GLOBAL__N_18offset_tEEE10hipError_tPvRmT1_PNSt15iterator_traitsISZ_E10value_typeET2_T3_PNS10_IS15_E10value_typeET4_jRbjT5_S1B_jjP12ihipStream_tbEUljE_EEESW_SX_SY_S15_S19_S1B_T6_T7_T9_mT8_S1D_bDpT10_ENKUlT_T0_E_clISt17integral_constantIbLb0EES1P_IbLb1EEEEDaS1L_S1M_EUlS1L_E_NS1_11comp_targetILNS1_3genE2ELNS1_11target_archE906ELNS1_3gpuE6ELNS1_3repE0EEENS1_30default_config_static_selectorELNS0_4arch9wavefront6targetE0EEEvSZ_,"axG",@progbits,_ZN7rocprim17ROCPRIM_400000_NS6detail17trampoline_kernelINS0_13select_configILj256ELj13ELNS0_17block_load_methodE3ELS4_3ELS4_3ELNS0_20block_scan_algorithmE0ELj4294967295EEENS1_25partition_config_selectorILNS1_17partition_subalgoE3EjNS0_10empty_typeEbEEZZNS1_14partition_implILS8_3ELb0ES6_jNS0_17counting_iteratorIjlEEPS9_SE_NS0_5tupleIJPjSE_EEENSF_IJSE_SE_EEES9_SG_JZNS1_25segmented_radix_sort_implINS0_14default_configELb0EPK6__halfPSL_PKlPlN2at6native12_GLOBAL__N_18offset_tEEE10hipError_tPvRmT1_PNSt15iterator_traitsISZ_E10value_typeET2_T3_PNS10_IS15_E10value_typeET4_jRbjT5_S1B_jjP12ihipStream_tbEUljE_EEESW_SX_SY_S15_S19_S1B_T6_T7_T9_mT8_S1D_bDpT10_ENKUlT_T0_E_clISt17integral_constantIbLb0EES1P_IbLb1EEEEDaS1L_S1M_EUlS1L_E_NS1_11comp_targetILNS1_3genE2ELNS1_11target_archE906ELNS1_3gpuE6ELNS1_3repE0EEENS1_30default_config_static_selectorELNS0_4arch9wavefront6targetE0EEEvSZ_,comdat
.Lfunc_end1828:
	.size	_ZN7rocprim17ROCPRIM_400000_NS6detail17trampoline_kernelINS0_13select_configILj256ELj13ELNS0_17block_load_methodE3ELS4_3ELS4_3ELNS0_20block_scan_algorithmE0ELj4294967295EEENS1_25partition_config_selectorILNS1_17partition_subalgoE3EjNS0_10empty_typeEbEEZZNS1_14partition_implILS8_3ELb0ES6_jNS0_17counting_iteratorIjlEEPS9_SE_NS0_5tupleIJPjSE_EEENSF_IJSE_SE_EEES9_SG_JZNS1_25segmented_radix_sort_implINS0_14default_configELb0EPK6__halfPSL_PKlPlN2at6native12_GLOBAL__N_18offset_tEEE10hipError_tPvRmT1_PNSt15iterator_traitsISZ_E10value_typeET2_T3_PNS10_IS15_E10value_typeET4_jRbjT5_S1B_jjP12ihipStream_tbEUljE_EEESW_SX_SY_S15_S19_S1B_T6_T7_T9_mT8_S1D_bDpT10_ENKUlT_T0_E_clISt17integral_constantIbLb0EES1P_IbLb1EEEEDaS1L_S1M_EUlS1L_E_NS1_11comp_targetILNS1_3genE2ELNS1_11target_archE906ELNS1_3gpuE6ELNS1_3repE0EEENS1_30default_config_static_selectorELNS0_4arch9wavefront6targetE0EEEvSZ_, .Lfunc_end1828-_ZN7rocprim17ROCPRIM_400000_NS6detail17trampoline_kernelINS0_13select_configILj256ELj13ELNS0_17block_load_methodE3ELS4_3ELS4_3ELNS0_20block_scan_algorithmE0ELj4294967295EEENS1_25partition_config_selectorILNS1_17partition_subalgoE3EjNS0_10empty_typeEbEEZZNS1_14partition_implILS8_3ELb0ES6_jNS0_17counting_iteratorIjlEEPS9_SE_NS0_5tupleIJPjSE_EEENSF_IJSE_SE_EEES9_SG_JZNS1_25segmented_radix_sort_implINS0_14default_configELb0EPK6__halfPSL_PKlPlN2at6native12_GLOBAL__N_18offset_tEEE10hipError_tPvRmT1_PNSt15iterator_traitsISZ_E10value_typeET2_T3_PNS10_IS15_E10value_typeET4_jRbjT5_S1B_jjP12ihipStream_tbEUljE_EEESW_SX_SY_S15_S19_S1B_T6_T7_T9_mT8_S1D_bDpT10_ENKUlT_T0_E_clISt17integral_constantIbLb0EES1P_IbLb1EEEEDaS1L_S1M_EUlS1L_E_NS1_11comp_targetILNS1_3genE2ELNS1_11target_archE906ELNS1_3gpuE6ELNS1_3repE0EEENS1_30default_config_static_selectorELNS0_4arch9wavefront6targetE0EEEvSZ_
                                        ; -- End function
	.set _ZN7rocprim17ROCPRIM_400000_NS6detail17trampoline_kernelINS0_13select_configILj256ELj13ELNS0_17block_load_methodE3ELS4_3ELS4_3ELNS0_20block_scan_algorithmE0ELj4294967295EEENS1_25partition_config_selectorILNS1_17partition_subalgoE3EjNS0_10empty_typeEbEEZZNS1_14partition_implILS8_3ELb0ES6_jNS0_17counting_iteratorIjlEEPS9_SE_NS0_5tupleIJPjSE_EEENSF_IJSE_SE_EEES9_SG_JZNS1_25segmented_radix_sort_implINS0_14default_configELb0EPK6__halfPSL_PKlPlN2at6native12_GLOBAL__N_18offset_tEEE10hipError_tPvRmT1_PNSt15iterator_traitsISZ_E10value_typeET2_T3_PNS10_IS15_E10value_typeET4_jRbjT5_S1B_jjP12ihipStream_tbEUljE_EEESW_SX_SY_S15_S19_S1B_T6_T7_T9_mT8_S1D_bDpT10_ENKUlT_T0_E_clISt17integral_constantIbLb0EES1P_IbLb1EEEEDaS1L_S1M_EUlS1L_E_NS1_11comp_targetILNS1_3genE2ELNS1_11target_archE906ELNS1_3gpuE6ELNS1_3repE0EEENS1_30default_config_static_selectorELNS0_4arch9wavefront6targetE0EEEvSZ_.num_vgpr, 0
	.set _ZN7rocprim17ROCPRIM_400000_NS6detail17trampoline_kernelINS0_13select_configILj256ELj13ELNS0_17block_load_methodE3ELS4_3ELS4_3ELNS0_20block_scan_algorithmE0ELj4294967295EEENS1_25partition_config_selectorILNS1_17partition_subalgoE3EjNS0_10empty_typeEbEEZZNS1_14partition_implILS8_3ELb0ES6_jNS0_17counting_iteratorIjlEEPS9_SE_NS0_5tupleIJPjSE_EEENSF_IJSE_SE_EEES9_SG_JZNS1_25segmented_radix_sort_implINS0_14default_configELb0EPK6__halfPSL_PKlPlN2at6native12_GLOBAL__N_18offset_tEEE10hipError_tPvRmT1_PNSt15iterator_traitsISZ_E10value_typeET2_T3_PNS10_IS15_E10value_typeET4_jRbjT5_S1B_jjP12ihipStream_tbEUljE_EEESW_SX_SY_S15_S19_S1B_T6_T7_T9_mT8_S1D_bDpT10_ENKUlT_T0_E_clISt17integral_constantIbLb0EES1P_IbLb1EEEEDaS1L_S1M_EUlS1L_E_NS1_11comp_targetILNS1_3genE2ELNS1_11target_archE906ELNS1_3gpuE6ELNS1_3repE0EEENS1_30default_config_static_selectorELNS0_4arch9wavefront6targetE0EEEvSZ_.num_agpr, 0
	.set _ZN7rocprim17ROCPRIM_400000_NS6detail17trampoline_kernelINS0_13select_configILj256ELj13ELNS0_17block_load_methodE3ELS4_3ELS4_3ELNS0_20block_scan_algorithmE0ELj4294967295EEENS1_25partition_config_selectorILNS1_17partition_subalgoE3EjNS0_10empty_typeEbEEZZNS1_14partition_implILS8_3ELb0ES6_jNS0_17counting_iteratorIjlEEPS9_SE_NS0_5tupleIJPjSE_EEENSF_IJSE_SE_EEES9_SG_JZNS1_25segmented_radix_sort_implINS0_14default_configELb0EPK6__halfPSL_PKlPlN2at6native12_GLOBAL__N_18offset_tEEE10hipError_tPvRmT1_PNSt15iterator_traitsISZ_E10value_typeET2_T3_PNS10_IS15_E10value_typeET4_jRbjT5_S1B_jjP12ihipStream_tbEUljE_EEESW_SX_SY_S15_S19_S1B_T6_T7_T9_mT8_S1D_bDpT10_ENKUlT_T0_E_clISt17integral_constantIbLb0EES1P_IbLb1EEEEDaS1L_S1M_EUlS1L_E_NS1_11comp_targetILNS1_3genE2ELNS1_11target_archE906ELNS1_3gpuE6ELNS1_3repE0EEENS1_30default_config_static_selectorELNS0_4arch9wavefront6targetE0EEEvSZ_.numbered_sgpr, 0
	.set _ZN7rocprim17ROCPRIM_400000_NS6detail17trampoline_kernelINS0_13select_configILj256ELj13ELNS0_17block_load_methodE3ELS4_3ELS4_3ELNS0_20block_scan_algorithmE0ELj4294967295EEENS1_25partition_config_selectorILNS1_17partition_subalgoE3EjNS0_10empty_typeEbEEZZNS1_14partition_implILS8_3ELb0ES6_jNS0_17counting_iteratorIjlEEPS9_SE_NS0_5tupleIJPjSE_EEENSF_IJSE_SE_EEES9_SG_JZNS1_25segmented_radix_sort_implINS0_14default_configELb0EPK6__halfPSL_PKlPlN2at6native12_GLOBAL__N_18offset_tEEE10hipError_tPvRmT1_PNSt15iterator_traitsISZ_E10value_typeET2_T3_PNS10_IS15_E10value_typeET4_jRbjT5_S1B_jjP12ihipStream_tbEUljE_EEESW_SX_SY_S15_S19_S1B_T6_T7_T9_mT8_S1D_bDpT10_ENKUlT_T0_E_clISt17integral_constantIbLb0EES1P_IbLb1EEEEDaS1L_S1M_EUlS1L_E_NS1_11comp_targetILNS1_3genE2ELNS1_11target_archE906ELNS1_3gpuE6ELNS1_3repE0EEENS1_30default_config_static_selectorELNS0_4arch9wavefront6targetE0EEEvSZ_.num_named_barrier, 0
	.set _ZN7rocprim17ROCPRIM_400000_NS6detail17trampoline_kernelINS0_13select_configILj256ELj13ELNS0_17block_load_methodE3ELS4_3ELS4_3ELNS0_20block_scan_algorithmE0ELj4294967295EEENS1_25partition_config_selectorILNS1_17partition_subalgoE3EjNS0_10empty_typeEbEEZZNS1_14partition_implILS8_3ELb0ES6_jNS0_17counting_iteratorIjlEEPS9_SE_NS0_5tupleIJPjSE_EEENSF_IJSE_SE_EEES9_SG_JZNS1_25segmented_radix_sort_implINS0_14default_configELb0EPK6__halfPSL_PKlPlN2at6native12_GLOBAL__N_18offset_tEEE10hipError_tPvRmT1_PNSt15iterator_traitsISZ_E10value_typeET2_T3_PNS10_IS15_E10value_typeET4_jRbjT5_S1B_jjP12ihipStream_tbEUljE_EEESW_SX_SY_S15_S19_S1B_T6_T7_T9_mT8_S1D_bDpT10_ENKUlT_T0_E_clISt17integral_constantIbLb0EES1P_IbLb1EEEEDaS1L_S1M_EUlS1L_E_NS1_11comp_targetILNS1_3genE2ELNS1_11target_archE906ELNS1_3gpuE6ELNS1_3repE0EEENS1_30default_config_static_selectorELNS0_4arch9wavefront6targetE0EEEvSZ_.private_seg_size, 0
	.set _ZN7rocprim17ROCPRIM_400000_NS6detail17trampoline_kernelINS0_13select_configILj256ELj13ELNS0_17block_load_methodE3ELS4_3ELS4_3ELNS0_20block_scan_algorithmE0ELj4294967295EEENS1_25partition_config_selectorILNS1_17partition_subalgoE3EjNS0_10empty_typeEbEEZZNS1_14partition_implILS8_3ELb0ES6_jNS0_17counting_iteratorIjlEEPS9_SE_NS0_5tupleIJPjSE_EEENSF_IJSE_SE_EEES9_SG_JZNS1_25segmented_radix_sort_implINS0_14default_configELb0EPK6__halfPSL_PKlPlN2at6native12_GLOBAL__N_18offset_tEEE10hipError_tPvRmT1_PNSt15iterator_traitsISZ_E10value_typeET2_T3_PNS10_IS15_E10value_typeET4_jRbjT5_S1B_jjP12ihipStream_tbEUljE_EEESW_SX_SY_S15_S19_S1B_T6_T7_T9_mT8_S1D_bDpT10_ENKUlT_T0_E_clISt17integral_constantIbLb0EES1P_IbLb1EEEEDaS1L_S1M_EUlS1L_E_NS1_11comp_targetILNS1_3genE2ELNS1_11target_archE906ELNS1_3gpuE6ELNS1_3repE0EEENS1_30default_config_static_selectorELNS0_4arch9wavefront6targetE0EEEvSZ_.uses_vcc, 0
	.set _ZN7rocprim17ROCPRIM_400000_NS6detail17trampoline_kernelINS0_13select_configILj256ELj13ELNS0_17block_load_methodE3ELS4_3ELS4_3ELNS0_20block_scan_algorithmE0ELj4294967295EEENS1_25partition_config_selectorILNS1_17partition_subalgoE3EjNS0_10empty_typeEbEEZZNS1_14partition_implILS8_3ELb0ES6_jNS0_17counting_iteratorIjlEEPS9_SE_NS0_5tupleIJPjSE_EEENSF_IJSE_SE_EEES9_SG_JZNS1_25segmented_radix_sort_implINS0_14default_configELb0EPK6__halfPSL_PKlPlN2at6native12_GLOBAL__N_18offset_tEEE10hipError_tPvRmT1_PNSt15iterator_traitsISZ_E10value_typeET2_T3_PNS10_IS15_E10value_typeET4_jRbjT5_S1B_jjP12ihipStream_tbEUljE_EEESW_SX_SY_S15_S19_S1B_T6_T7_T9_mT8_S1D_bDpT10_ENKUlT_T0_E_clISt17integral_constantIbLb0EES1P_IbLb1EEEEDaS1L_S1M_EUlS1L_E_NS1_11comp_targetILNS1_3genE2ELNS1_11target_archE906ELNS1_3gpuE6ELNS1_3repE0EEENS1_30default_config_static_selectorELNS0_4arch9wavefront6targetE0EEEvSZ_.uses_flat_scratch, 0
	.set _ZN7rocprim17ROCPRIM_400000_NS6detail17trampoline_kernelINS0_13select_configILj256ELj13ELNS0_17block_load_methodE3ELS4_3ELS4_3ELNS0_20block_scan_algorithmE0ELj4294967295EEENS1_25partition_config_selectorILNS1_17partition_subalgoE3EjNS0_10empty_typeEbEEZZNS1_14partition_implILS8_3ELb0ES6_jNS0_17counting_iteratorIjlEEPS9_SE_NS0_5tupleIJPjSE_EEENSF_IJSE_SE_EEES9_SG_JZNS1_25segmented_radix_sort_implINS0_14default_configELb0EPK6__halfPSL_PKlPlN2at6native12_GLOBAL__N_18offset_tEEE10hipError_tPvRmT1_PNSt15iterator_traitsISZ_E10value_typeET2_T3_PNS10_IS15_E10value_typeET4_jRbjT5_S1B_jjP12ihipStream_tbEUljE_EEESW_SX_SY_S15_S19_S1B_T6_T7_T9_mT8_S1D_bDpT10_ENKUlT_T0_E_clISt17integral_constantIbLb0EES1P_IbLb1EEEEDaS1L_S1M_EUlS1L_E_NS1_11comp_targetILNS1_3genE2ELNS1_11target_archE906ELNS1_3gpuE6ELNS1_3repE0EEENS1_30default_config_static_selectorELNS0_4arch9wavefront6targetE0EEEvSZ_.has_dyn_sized_stack, 0
	.set _ZN7rocprim17ROCPRIM_400000_NS6detail17trampoline_kernelINS0_13select_configILj256ELj13ELNS0_17block_load_methodE3ELS4_3ELS4_3ELNS0_20block_scan_algorithmE0ELj4294967295EEENS1_25partition_config_selectorILNS1_17partition_subalgoE3EjNS0_10empty_typeEbEEZZNS1_14partition_implILS8_3ELb0ES6_jNS0_17counting_iteratorIjlEEPS9_SE_NS0_5tupleIJPjSE_EEENSF_IJSE_SE_EEES9_SG_JZNS1_25segmented_radix_sort_implINS0_14default_configELb0EPK6__halfPSL_PKlPlN2at6native12_GLOBAL__N_18offset_tEEE10hipError_tPvRmT1_PNSt15iterator_traitsISZ_E10value_typeET2_T3_PNS10_IS15_E10value_typeET4_jRbjT5_S1B_jjP12ihipStream_tbEUljE_EEESW_SX_SY_S15_S19_S1B_T6_T7_T9_mT8_S1D_bDpT10_ENKUlT_T0_E_clISt17integral_constantIbLb0EES1P_IbLb1EEEEDaS1L_S1M_EUlS1L_E_NS1_11comp_targetILNS1_3genE2ELNS1_11target_archE906ELNS1_3gpuE6ELNS1_3repE0EEENS1_30default_config_static_selectorELNS0_4arch9wavefront6targetE0EEEvSZ_.has_recursion, 0
	.set _ZN7rocprim17ROCPRIM_400000_NS6detail17trampoline_kernelINS0_13select_configILj256ELj13ELNS0_17block_load_methodE3ELS4_3ELS4_3ELNS0_20block_scan_algorithmE0ELj4294967295EEENS1_25partition_config_selectorILNS1_17partition_subalgoE3EjNS0_10empty_typeEbEEZZNS1_14partition_implILS8_3ELb0ES6_jNS0_17counting_iteratorIjlEEPS9_SE_NS0_5tupleIJPjSE_EEENSF_IJSE_SE_EEES9_SG_JZNS1_25segmented_radix_sort_implINS0_14default_configELb0EPK6__halfPSL_PKlPlN2at6native12_GLOBAL__N_18offset_tEEE10hipError_tPvRmT1_PNSt15iterator_traitsISZ_E10value_typeET2_T3_PNS10_IS15_E10value_typeET4_jRbjT5_S1B_jjP12ihipStream_tbEUljE_EEESW_SX_SY_S15_S19_S1B_T6_T7_T9_mT8_S1D_bDpT10_ENKUlT_T0_E_clISt17integral_constantIbLb0EES1P_IbLb1EEEEDaS1L_S1M_EUlS1L_E_NS1_11comp_targetILNS1_3genE2ELNS1_11target_archE906ELNS1_3gpuE6ELNS1_3repE0EEENS1_30default_config_static_selectorELNS0_4arch9wavefront6targetE0EEEvSZ_.has_indirect_call, 0
	.section	.AMDGPU.csdata,"",@progbits
; Kernel info:
; codeLenInByte = 0
; TotalNumSgprs: 0
; NumVgprs: 0
; ScratchSize: 0
; MemoryBound: 0
; FloatMode: 240
; IeeeMode: 1
; LDSByteSize: 0 bytes/workgroup (compile time only)
; SGPRBlocks: 0
; VGPRBlocks: 0
; NumSGPRsForWavesPerEU: 1
; NumVGPRsForWavesPerEU: 1
; Occupancy: 16
; WaveLimiterHint : 0
; COMPUTE_PGM_RSRC2:SCRATCH_EN: 0
; COMPUTE_PGM_RSRC2:USER_SGPR: 6
; COMPUTE_PGM_RSRC2:TRAP_HANDLER: 0
; COMPUTE_PGM_RSRC2:TGID_X_EN: 1
; COMPUTE_PGM_RSRC2:TGID_Y_EN: 0
; COMPUTE_PGM_RSRC2:TGID_Z_EN: 0
; COMPUTE_PGM_RSRC2:TIDIG_COMP_CNT: 0
	.section	.text._ZN7rocprim17ROCPRIM_400000_NS6detail17trampoline_kernelINS0_13select_configILj256ELj13ELNS0_17block_load_methodE3ELS4_3ELS4_3ELNS0_20block_scan_algorithmE0ELj4294967295EEENS1_25partition_config_selectorILNS1_17partition_subalgoE3EjNS0_10empty_typeEbEEZZNS1_14partition_implILS8_3ELb0ES6_jNS0_17counting_iteratorIjlEEPS9_SE_NS0_5tupleIJPjSE_EEENSF_IJSE_SE_EEES9_SG_JZNS1_25segmented_radix_sort_implINS0_14default_configELb0EPK6__halfPSL_PKlPlN2at6native12_GLOBAL__N_18offset_tEEE10hipError_tPvRmT1_PNSt15iterator_traitsISZ_E10value_typeET2_T3_PNS10_IS15_E10value_typeET4_jRbjT5_S1B_jjP12ihipStream_tbEUljE_EEESW_SX_SY_S15_S19_S1B_T6_T7_T9_mT8_S1D_bDpT10_ENKUlT_T0_E_clISt17integral_constantIbLb0EES1P_IbLb1EEEEDaS1L_S1M_EUlS1L_E_NS1_11comp_targetILNS1_3genE10ELNS1_11target_archE1200ELNS1_3gpuE4ELNS1_3repE0EEENS1_30default_config_static_selectorELNS0_4arch9wavefront6targetE0EEEvSZ_,"axG",@progbits,_ZN7rocprim17ROCPRIM_400000_NS6detail17trampoline_kernelINS0_13select_configILj256ELj13ELNS0_17block_load_methodE3ELS4_3ELS4_3ELNS0_20block_scan_algorithmE0ELj4294967295EEENS1_25partition_config_selectorILNS1_17partition_subalgoE3EjNS0_10empty_typeEbEEZZNS1_14partition_implILS8_3ELb0ES6_jNS0_17counting_iteratorIjlEEPS9_SE_NS0_5tupleIJPjSE_EEENSF_IJSE_SE_EEES9_SG_JZNS1_25segmented_radix_sort_implINS0_14default_configELb0EPK6__halfPSL_PKlPlN2at6native12_GLOBAL__N_18offset_tEEE10hipError_tPvRmT1_PNSt15iterator_traitsISZ_E10value_typeET2_T3_PNS10_IS15_E10value_typeET4_jRbjT5_S1B_jjP12ihipStream_tbEUljE_EEESW_SX_SY_S15_S19_S1B_T6_T7_T9_mT8_S1D_bDpT10_ENKUlT_T0_E_clISt17integral_constantIbLb0EES1P_IbLb1EEEEDaS1L_S1M_EUlS1L_E_NS1_11comp_targetILNS1_3genE10ELNS1_11target_archE1200ELNS1_3gpuE4ELNS1_3repE0EEENS1_30default_config_static_selectorELNS0_4arch9wavefront6targetE0EEEvSZ_,comdat
	.globl	_ZN7rocprim17ROCPRIM_400000_NS6detail17trampoline_kernelINS0_13select_configILj256ELj13ELNS0_17block_load_methodE3ELS4_3ELS4_3ELNS0_20block_scan_algorithmE0ELj4294967295EEENS1_25partition_config_selectorILNS1_17partition_subalgoE3EjNS0_10empty_typeEbEEZZNS1_14partition_implILS8_3ELb0ES6_jNS0_17counting_iteratorIjlEEPS9_SE_NS0_5tupleIJPjSE_EEENSF_IJSE_SE_EEES9_SG_JZNS1_25segmented_radix_sort_implINS0_14default_configELb0EPK6__halfPSL_PKlPlN2at6native12_GLOBAL__N_18offset_tEEE10hipError_tPvRmT1_PNSt15iterator_traitsISZ_E10value_typeET2_T3_PNS10_IS15_E10value_typeET4_jRbjT5_S1B_jjP12ihipStream_tbEUljE_EEESW_SX_SY_S15_S19_S1B_T6_T7_T9_mT8_S1D_bDpT10_ENKUlT_T0_E_clISt17integral_constantIbLb0EES1P_IbLb1EEEEDaS1L_S1M_EUlS1L_E_NS1_11comp_targetILNS1_3genE10ELNS1_11target_archE1200ELNS1_3gpuE4ELNS1_3repE0EEENS1_30default_config_static_selectorELNS0_4arch9wavefront6targetE0EEEvSZ_ ; -- Begin function _ZN7rocprim17ROCPRIM_400000_NS6detail17trampoline_kernelINS0_13select_configILj256ELj13ELNS0_17block_load_methodE3ELS4_3ELS4_3ELNS0_20block_scan_algorithmE0ELj4294967295EEENS1_25partition_config_selectorILNS1_17partition_subalgoE3EjNS0_10empty_typeEbEEZZNS1_14partition_implILS8_3ELb0ES6_jNS0_17counting_iteratorIjlEEPS9_SE_NS0_5tupleIJPjSE_EEENSF_IJSE_SE_EEES9_SG_JZNS1_25segmented_radix_sort_implINS0_14default_configELb0EPK6__halfPSL_PKlPlN2at6native12_GLOBAL__N_18offset_tEEE10hipError_tPvRmT1_PNSt15iterator_traitsISZ_E10value_typeET2_T3_PNS10_IS15_E10value_typeET4_jRbjT5_S1B_jjP12ihipStream_tbEUljE_EEESW_SX_SY_S15_S19_S1B_T6_T7_T9_mT8_S1D_bDpT10_ENKUlT_T0_E_clISt17integral_constantIbLb0EES1P_IbLb1EEEEDaS1L_S1M_EUlS1L_E_NS1_11comp_targetILNS1_3genE10ELNS1_11target_archE1200ELNS1_3gpuE4ELNS1_3repE0EEENS1_30default_config_static_selectorELNS0_4arch9wavefront6targetE0EEEvSZ_
	.p2align	8
	.type	_ZN7rocprim17ROCPRIM_400000_NS6detail17trampoline_kernelINS0_13select_configILj256ELj13ELNS0_17block_load_methodE3ELS4_3ELS4_3ELNS0_20block_scan_algorithmE0ELj4294967295EEENS1_25partition_config_selectorILNS1_17partition_subalgoE3EjNS0_10empty_typeEbEEZZNS1_14partition_implILS8_3ELb0ES6_jNS0_17counting_iteratorIjlEEPS9_SE_NS0_5tupleIJPjSE_EEENSF_IJSE_SE_EEES9_SG_JZNS1_25segmented_radix_sort_implINS0_14default_configELb0EPK6__halfPSL_PKlPlN2at6native12_GLOBAL__N_18offset_tEEE10hipError_tPvRmT1_PNSt15iterator_traitsISZ_E10value_typeET2_T3_PNS10_IS15_E10value_typeET4_jRbjT5_S1B_jjP12ihipStream_tbEUljE_EEESW_SX_SY_S15_S19_S1B_T6_T7_T9_mT8_S1D_bDpT10_ENKUlT_T0_E_clISt17integral_constantIbLb0EES1P_IbLb1EEEEDaS1L_S1M_EUlS1L_E_NS1_11comp_targetILNS1_3genE10ELNS1_11target_archE1200ELNS1_3gpuE4ELNS1_3repE0EEENS1_30default_config_static_selectorELNS0_4arch9wavefront6targetE0EEEvSZ_,@function
_ZN7rocprim17ROCPRIM_400000_NS6detail17trampoline_kernelINS0_13select_configILj256ELj13ELNS0_17block_load_methodE3ELS4_3ELS4_3ELNS0_20block_scan_algorithmE0ELj4294967295EEENS1_25partition_config_selectorILNS1_17partition_subalgoE3EjNS0_10empty_typeEbEEZZNS1_14partition_implILS8_3ELb0ES6_jNS0_17counting_iteratorIjlEEPS9_SE_NS0_5tupleIJPjSE_EEENSF_IJSE_SE_EEES9_SG_JZNS1_25segmented_radix_sort_implINS0_14default_configELb0EPK6__halfPSL_PKlPlN2at6native12_GLOBAL__N_18offset_tEEE10hipError_tPvRmT1_PNSt15iterator_traitsISZ_E10value_typeET2_T3_PNS10_IS15_E10value_typeET4_jRbjT5_S1B_jjP12ihipStream_tbEUljE_EEESW_SX_SY_S15_S19_S1B_T6_T7_T9_mT8_S1D_bDpT10_ENKUlT_T0_E_clISt17integral_constantIbLb0EES1P_IbLb1EEEEDaS1L_S1M_EUlS1L_E_NS1_11comp_targetILNS1_3genE10ELNS1_11target_archE1200ELNS1_3gpuE4ELNS1_3repE0EEENS1_30default_config_static_selectorELNS0_4arch9wavefront6targetE0EEEvSZ_: ; @_ZN7rocprim17ROCPRIM_400000_NS6detail17trampoline_kernelINS0_13select_configILj256ELj13ELNS0_17block_load_methodE3ELS4_3ELS4_3ELNS0_20block_scan_algorithmE0ELj4294967295EEENS1_25partition_config_selectorILNS1_17partition_subalgoE3EjNS0_10empty_typeEbEEZZNS1_14partition_implILS8_3ELb0ES6_jNS0_17counting_iteratorIjlEEPS9_SE_NS0_5tupleIJPjSE_EEENSF_IJSE_SE_EEES9_SG_JZNS1_25segmented_radix_sort_implINS0_14default_configELb0EPK6__halfPSL_PKlPlN2at6native12_GLOBAL__N_18offset_tEEE10hipError_tPvRmT1_PNSt15iterator_traitsISZ_E10value_typeET2_T3_PNS10_IS15_E10value_typeET4_jRbjT5_S1B_jjP12ihipStream_tbEUljE_EEESW_SX_SY_S15_S19_S1B_T6_T7_T9_mT8_S1D_bDpT10_ENKUlT_T0_E_clISt17integral_constantIbLb0EES1P_IbLb1EEEEDaS1L_S1M_EUlS1L_E_NS1_11comp_targetILNS1_3genE10ELNS1_11target_archE1200ELNS1_3gpuE4ELNS1_3repE0EEENS1_30default_config_static_selectorELNS0_4arch9wavefront6targetE0EEEvSZ_
; %bb.0:
	.section	.rodata,"a",@progbits
	.p2align	6, 0x0
	.amdhsa_kernel _ZN7rocprim17ROCPRIM_400000_NS6detail17trampoline_kernelINS0_13select_configILj256ELj13ELNS0_17block_load_methodE3ELS4_3ELS4_3ELNS0_20block_scan_algorithmE0ELj4294967295EEENS1_25partition_config_selectorILNS1_17partition_subalgoE3EjNS0_10empty_typeEbEEZZNS1_14partition_implILS8_3ELb0ES6_jNS0_17counting_iteratorIjlEEPS9_SE_NS0_5tupleIJPjSE_EEENSF_IJSE_SE_EEES9_SG_JZNS1_25segmented_radix_sort_implINS0_14default_configELb0EPK6__halfPSL_PKlPlN2at6native12_GLOBAL__N_18offset_tEEE10hipError_tPvRmT1_PNSt15iterator_traitsISZ_E10value_typeET2_T3_PNS10_IS15_E10value_typeET4_jRbjT5_S1B_jjP12ihipStream_tbEUljE_EEESW_SX_SY_S15_S19_S1B_T6_T7_T9_mT8_S1D_bDpT10_ENKUlT_T0_E_clISt17integral_constantIbLb0EES1P_IbLb1EEEEDaS1L_S1M_EUlS1L_E_NS1_11comp_targetILNS1_3genE10ELNS1_11target_archE1200ELNS1_3gpuE4ELNS1_3repE0EEENS1_30default_config_static_selectorELNS0_4arch9wavefront6targetE0EEEvSZ_
		.amdhsa_group_segment_fixed_size 0
		.amdhsa_private_segment_fixed_size 0
		.amdhsa_kernarg_size 152
		.amdhsa_user_sgpr_count 6
		.amdhsa_user_sgpr_private_segment_buffer 1
		.amdhsa_user_sgpr_dispatch_ptr 0
		.amdhsa_user_sgpr_queue_ptr 0
		.amdhsa_user_sgpr_kernarg_segment_ptr 1
		.amdhsa_user_sgpr_dispatch_id 0
		.amdhsa_user_sgpr_flat_scratch_init 0
		.amdhsa_user_sgpr_private_segment_size 0
		.amdhsa_wavefront_size32 1
		.amdhsa_uses_dynamic_stack 0
		.amdhsa_system_sgpr_private_segment_wavefront_offset 0
		.amdhsa_system_sgpr_workgroup_id_x 1
		.amdhsa_system_sgpr_workgroup_id_y 0
		.amdhsa_system_sgpr_workgroup_id_z 0
		.amdhsa_system_sgpr_workgroup_info 0
		.amdhsa_system_vgpr_workitem_id 0
		.amdhsa_next_free_vgpr 1
		.amdhsa_next_free_sgpr 1
		.amdhsa_reserve_vcc 0
		.amdhsa_reserve_flat_scratch 0
		.amdhsa_float_round_mode_32 0
		.amdhsa_float_round_mode_16_64 0
		.amdhsa_float_denorm_mode_32 3
		.amdhsa_float_denorm_mode_16_64 3
		.amdhsa_dx10_clamp 1
		.amdhsa_ieee_mode 1
		.amdhsa_fp16_overflow 0
		.amdhsa_workgroup_processor_mode 1
		.amdhsa_memory_ordered 1
		.amdhsa_forward_progress 1
		.amdhsa_shared_vgpr_count 0
		.amdhsa_exception_fp_ieee_invalid_op 0
		.amdhsa_exception_fp_denorm_src 0
		.amdhsa_exception_fp_ieee_div_zero 0
		.amdhsa_exception_fp_ieee_overflow 0
		.amdhsa_exception_fp_ieee_underflow 0
		.amdhsa_exception_fp_ieee_inexact 0
		.amdhsa_exception_int_div_zero 0
	.end_amdhsa_kernel
	.section	.text._ZN7rocprim17ROCPRIM_400000_NS6detail17trampoline_kernelINS0_13select_configILj256ELj13ELNS0_17block_load_methodE3ELS4_3ELS4_3ELNS0_20block_scan_algorithmE0ELj4294967295EEENS1_25partition_config_selectorILNS1_17partition_subalgoE3EjNS0_10empty_typeEbEEZZNS1_14partition_implILS8_3ELb0ES6_jNS0_17counting_iteratorIjlEEPS9_SE_NS0_5tupleIJPjSE_EEENSF_IJSE_SE_EEES9_SG_JZNS1_25segmented_radix_sort_implINS0_14default_configELb0EPK6__halfPSL_PKlPlN2at6native12_GLOBAL__N_18offset_tEEE10hipError_tPvRmT1_PNSt15iterator_traitsISZ_E10value_typeET2_T3_PNS10_IS15_E10value_typeET4_jRbjT5_S1B_jjP12ihipStream_tbEUljE_EEESW_SX_SY_S15_S19_S1B_T6_T7_T9_mT8_S1D_bDpT10_ENKUlT_T0_E_clISt17integral_constantIbLb0EES1P_IbLb1EEEEDaS1L_S1M_EUlS1L_E_NS1_11comp_targetILNS1_3genE10ELNS1_11target_archE1200ELNS1_3gpuE4ELNS1_3repE0EEENS1_30default_config_static_selectorELNS0_4arch9wavefront6targetE0EEEvSZ_,"axG",@progbits,_ZN7rocprim17ROCPRIM_400000_NS6detail17trampoline_kernelINS0_13select_configILj256ELj13ELNS0_17block_load_methodE3ELS4_3ELS4_3ELNS0_20block_scan_algorithmE0ELj4294967295EEENS1_25partition_config_selectorILNS1_17partition_subalgoE3EjNS0_10empty_typeEbEEZZNS1_14partition_implILS8_3ELb0ES6_jNS0_17counting_iteratorIjlEEPS9_SE_NS0_5tupleIJPjSE_EEENSF_IJSE_SE_EEES9_SG_JZNS1_25segmented_radix_sort_implINS0_14default_configELb0EPK6__halfPSL_PKlPlN2at6native12_GLOBAL__N_18offset_tEEE10hipError_tPvRmT1_PNSt15iterator_traitsISZ_E10value_typeET2_T3_PNS10_IS15_E10value_typeET4_jRbjT5_S1B_jjP12ihipStream_tbEUljE_EEESW_SX_SY_S15_S19_S1B_T6_T7_T9_mT8_S1D_bDpT10_ENKUlT_T0_E_clISt17integral_constantIbLb0EES1P_IbLb1EEEEDaS1L_S1M_EUlS1L_E_NS1_11comp_targetILNS1_3genE10ELNS1_11target_archE1200ELNS1_3gpuE4ELNS1_3repE0EEENS1_30default_config_static_selectorELNS0_4arch9wavefront6targetE0EEEvSZ_,comdat
.Lfunc_end1829:
	.size	_ZN7rocprim17ROCPRIM_400000_NS6detail17trampoline_kernelINS0_13select_configILj256ELj13ELNS0_17block_load_methodE3ELS4_3ELS4_3ELNS0_20block_scan_algorithmE0ELj4294967295EEENS1_25partition_config_selectorILNS1_17partition_subalgoE3EjNS0_10empty_typeEbEEZZNS1_14partition_implILS8_3ELb0ES6_jNS0_17counting_iteratorIjlEEPS9_SE_NS0_5tupleIJPjSE_EEENSF_IJSE_SE_EEES9_SG_JZNS1_25segmented_radix_sort_implINS0_14default_configELb0EPK6__halfPSL_PKlPlN2at6native12_GLOBAL__N_18offset_tEEE10hipError_tPvRmT1_PNSt15iterator_traitsISZ_E10value_typeET2_T3_PNS10_IS15_E10value_typeET4_jRbjT5_S1B_jjP12ihipStream_tbEUljE_EEESW_SX_SY_S15_S19_S1B_T6_T7_T9_mT8_S1D_bDpT10_ENKUlT_T0_E_clISt17integral_constantIbLb0EES1P_IbLb1EEEEDaS1L_S1M_EUlS1L_E_NS1_11comp_targetILNS1_3genE10ELNS1_11target_archE1200ELNS1_3gpuE4ELNS1_3repE0EEENS1_30default_config_static_selectorELNS0_4arch9wavefront6targetE0EEEvSZ_, .Lfunc_end1829-_ZN7rocprim17ROCPRIM_400000_NS6detail17trampoline_kernelINS0_13select_configILj256ELj13ELNS0_17block_load_methodE3ELS4_3ELS4_3ELNS0_20block_scan_algorithmE0ELj4294967295EEENS1_25partition_config_selectorILNS1_17partition_subalgoE3EjNS0_10empty_typeEbEEZZNS1_14partition_implILS8_3ELb0ES6_jNS0_17counting_iteratorIjlEEPS9_SE_NS0_5tupleIJPjSE_EEENSF_IJSE_SE_EEES9_SG_JZNS1_25segmented_radix_sort_implINS0_14default_configELb0EPK6__halfPSL_PKlPlN2at6native12_GLOBAL__N_18offset_tEEE10hipError_tPvRmT1_PNSt15iterator_traitsISZ_E10value_typeET2_T3_PNS10_IS15_E10value_typeET4_jRbjT5_S1B_jjP12ihipStream_tbEUljE_EEESW_SX_SY_S15_S19_S1B_T6_T7_T9_mT8_S1D_bDpT10_ENKUlT_T0_E_clISt17integral_constantIbLb0EES1P_IbLb1EEEEDaS1L_S1M_EUlS1L_E_NS1_11comp_targetILNS1_3genE10ELNS1_11target_archE1200ELNS1_3gpuE4ELNS1_3repE0EEENS1_30default_config_static_selectorELNS0_4arch9wavefront6targetE0EEEvSZ_
                                        ; -- End function
	.set _ZN7rocprim17ROCPRIM_400000_NS6detail17trampoline_kernelINS0_13select_configILj256ELj13ELNS0_17block_load_methodE3ELS4_3ELS4_3ELNS0_20block_scan_algorithmE0ELj4294967295EEENS1_25partition_config_selectorILNS1_17partition_subalgoE3EjNS0_10empty_typeEbEEZZNS1_14partition_implILS8_3ELb0ES6_jNS0_17counting_iteratorIjlEEPS9_SE_NS0_5tupleIJPjSE_EEENSF_IJSE_SE_EEES9_SG_JZNS1_25segmented_radix_sort_implINS0_14default_configELb0EPK6__halfPSL_PKlPlN2at6native12_GLOBAL__N_18offset_tEEE10hipError_tPvRmT1_PNSt15iterator_traitsISZ_E10value_typeET2_T3_PNS10_IS15_E10value_typeET4_jRbjT5_S1B_jjP12ihipStream_tbEUljE_EEESW_SX_SY_S15_S19_S1B_T6_T7_T9_mT8_S1D_bDpT10_ENKUlT_T0_E_clISt17integral_constantIbLb0EES1P_IbLb1EEEEDaS1L_S1M_EUlS1L_E_NS1_11comp_targetILNS1_3genE10ELNS1_11target_archE1200ELNS1_3gpuE4ELNS1_3repE0EEENS1_30default_config_static_selectorELNS0_4arch9wavefront6targetE0EEEvSZ_.num_vgpr, 0
	.set _ZN7rocprim17ROCPRIM_400000_NS6detail17trampoline_kernelINS0_13select_configILj256ELj13ELNS0_17block_load_methodE3ELS4_3ELS4_3ELNS0_20block_scan_algorithmE0ELj4294967295EEENS1_25partition_config_selectorILNS1_17partition_subalgoE3EjNS0_10empty_typeEbEEZZNS1_14partition_implILS8_3ELb0ES6_jNS0_17counting_iteratorIjlEEPS9_SE_NS0_5tupleIJPjSE_EEENSF_IJSE_SE_EEES9_SG_JZNS1_25segmented_radix_sort_implINS0_14default_configELb0EPK6__halfPSL_PKlPlN2at6native12_GLOBAL__N_18offset_tEEE10hipError_tPvRmT1_PNSt15iterator_traitsISZ_E10value_typeET2_T3_PNS10_IS15_E10value_typeET4_jRbjT5_S1B_jjP12ihipStream_tbEUljE_EEESW_SX_SY_S15_S19_S1B_T6_T7_T9_mT8_S1D_bDpT10_ENKUlT_T0_E_clISt17integral_constantIbLb0EES1P_IbLb1EEEEDaS1L_S1M_EUlS1L_E_NS1_11comp_targetILNS1_3genE10ELNS1_11target_archE1200ELNS1_3gpuE4ELNS1_3repE0EEENS1_30default_config_static_selectorELNS0_4arch9wavefront6targetE0EEEvSZ_.num_agpr, 0
	.set _ZN7rocprim17ROCPRIM_400000_NS6detail17trampoline_kernelINS0_13select_configILj256ELj13ELNS0_17block_load_methodE3ELS4_3ELS4_3ELNS0_20block_scan_algorithmE0ELj4294967295EEENS1_25partition_config_selectorILNS1_17partition_subalgoE3EjNS0_10empty_typeEbEEZZNS1_14partition_implILS8_3ELb0ES6_jNS0_17counting_iteratorIjlEEPS9_SE_NS0_5tupleIJPjSE_EEENSF_IJSE_SE_EEES9_SG_JZNS1_25segmented_radix_sort_implINS0_14default_configELb0EPK6__halfPSL_PKlPlN2at6native12_GLOBAL__N_18offset_tEEE10hipError_tPvRmT1_PNSt15iterator_traitsISZ_E10value_typeET2_T3_PNS10_IS15_E10value_typeET4_jRbjT5_S1B_jjP12ihipStream_tbEUljE_EEESW_SX_SY_S15_S19_S1B_T6_T7_T9_mT8_S1D_bDpT10_ENKUlT_T0_E_clISt17integral_constantIbLb0EES1P_IbLb1EEEEDaS1L_S1M_EUlS1L_E_NS1_11comp_targetILNS1_3genE10ELNS1_11target_archE1200ELNS1_3gpuE4ELNS1_3repE0EEENS1_30default_config_static_selectorELNS0_4arch9wavefront6targetE0EEEvSZ_.numbered_sgpr, 0
	.set _ZN7rocprim17ROCPRIM_400000_NS6detail17trampoline_kernelINS0_13select_configILj256ELj13ELNS0_17block_load_methodE3ELS4_3ELS4_3ELNS0_20block_scan_algorithmE0ELj4294967295EEENS1_25partition_config_selectorILNS1_17partition_subalgoE3EjNS0_10empty_typeEbEEZZNS1_14partition_implILS8_3ELb0ES6_jNS0_17counting_iteratorIjlEEPS9_SE_NS0_5tupleIJPjSE_EEENSF_IJSE_SE_EEES9_SG_JZNS1_25segmented_radix_sort_implINS0_14default_configELb0EPK6__halfPSL_PKlPlN2at6native12_GLOBAL__N_18offset_tEEE10hipError_tPvRmT1_PNSt15iterator_traitsISZ_E10value_typeET2_T3_PNS10_IS15_E10value_typeET4_jRbjT5_S1B_jjP12ihipStream_tbEUljE_EEESW_SX_SY_S15_S19_S1B_T6_T7_T9_mT8_S1D_bDpT10_ENKUlT_T0_E_clISt17integral_constantIbLb0EES1P_IbLb1EEEEDaS1L_S1M_EUlS1L_E_NS1_11comp_targetILNS1_3genE10ELNS1_11target_archE1200ELNS1_3gpuE4ELNS1_3repE0EEENS1_30default_config_static_selectorELNS0_4arch9wavefront6targetE0EEEvSZ_.num_named_barrier, 0
	.set _ZN7rocprim17ROCPRIM_400000_NS6detail17trampoline_kernelINS0_13select_configILj256ELj13ELNS0_17block_load_methodE3ELS4_3ELS4_3ELNS0_20block_scan_algorithmE0ELj4294967295EEENS1_25partition_config_selectorILNS1_17partition_subalgoE3EjNS0_10empty_typeEbEEZZNS1_14partition_implILS8_3ELb0ES6_jNS0_17counting_iteratorIjlEEPS9_SE_NS0_5tupleIJPjSE_EEENSF_IJSE_SE_EEES9_SG_JZNS1_25segmented_radix_sort_implINS0_14default_configELb0EPK6__halfPSL_PKlPlN2at6native12_GLOBAL__N_18offset_tEEE10hipError_tPvRmT1_PNSt15iterator_traitsISZ_E10value_typeET2_T3_PNS10_IS15_E10value_typeET4_jRbjT5_S1B_jjP12ihipStream_tbEUljE_EEESW_SX_SY_S15_S19_S1B_T6_T7_T9_mT8_S1D_bDpT10_ENKUlT_T0_E_clISt17integral_constantIbLb0EES1P_IbLb1EEEEDaS1L_S1M_EUlS1L_E_NS1_11comp_targetILNS1_3genE10ELNS1_11target_archE1200ELNS1_3gpuE4ELNS1_3repE0EEENS1_30default_config_static_selectorELNS0_4arch9wavefront6targetE0EEEvSZ_.private_seg_size, 0
	.set _ZN7rocprim17ROCPRIM_400000_NS6detail17trampoline_kernelINS0_13select_configILj256ELj13ELNS0_17block_load_methodE3ELS4_3ELS4_3ELNS0_20block_scan_algorithmE0ELj4294967295EEENS1_25partition_config_selectorILNS1_17partition_subalgoE3EjNS0_10empty_typeEbEEZZNS1_14partition_implILS8_3ELb0ES6_jNS0_17counting_iteratorIjlEEPS9_SE_NS0_5tupleIJPjSE_EEENSF_IJSE_SE_EEES9_SG_JZNS1_25segmented_radix_sort_implINS0_14default_configELb0EPK6__halfPSL_PKlPlN2at6native12_GLOBAL__N_18offset_tEEE10hipError_tPvRmT1_PNSt15iterator_traitsISZ_E10value_typeET2_T3_PNS10_IS15_E10value_typeET4_jRbjT5_S1B_jjP12ihipStream_tbEUljE_EEESW_SX_SY_S15_S19_S1B_T6_T7_T9_mT8_S1D_bDpT10_ENKUlT_T0_E_clISt17integral_constantIbLb0EES1P_IbLb1EEEEDaS1L_S1M_EUlS1L_E_NS1_11comp_targetILNS1_3genE10ELNS1_11target_archE1200ELNS1_3gpuE4ELNS1_3repE0EEENS1_30default_config_static_selectorELNS0_4arch9wavefront6targetE0EEEvSZ_.uses_vcc, 0
	.set _ZN7rocprim17ROCPRIM_400000_NS6detail17trampoline_kernelINS0_13select_configILj256ELj13ELNS0_17block_load_methodE3ELS4_3ELS4_3ELNS0_20block_scan_algorithmE0ELj4294967295EEENS1_25partition_config_selectorILNS1_17partition_subalgoE3EjNS0_10empty_typeEbEEZZNS1_14partition_implILS8_3ELb0ES6_jNS0_17counting_iteratorIjlEEPS9_SE_NS0_5tupleIJPjSE_EEENSF_IJSE_SE_EEES9_SG_JZNS1_25segmented_radix_sort_implINS0_14default_configELb0EPK6__halfPSL_PKlPlN2at6native12_GLOBAL__N_18offset_tEEE10hipError_tPvRmT1_PNSt15iterator_traitsISZ_E10value_typeET2_T3_PNS10_IS15_E10value_typeET4_jRbjT5_S1B_jjP12ihipStream_tbEUljE_EEESW_SX_SY_S15_S19_S1B_T6_T7_T9_mT8_S1D_bDpT10_ENKUlT_T0_E_clISt17integral_constantIbLb0EES1P_IbLb1EEEEDaS1L_S1M_EUlS1L_E_NS1_11comp_targetILNS1_3genE10ELNS1_11target_archE1200ELNS1_3gpuE4ELNS1_3repE0EEENS1_30default_config_static_selectorELNS0_4arch9wavefront6targetE0EEEvSZ_.uses_flat_scratch, 0
	.set _ZN7rocprim17ROCPRIM_400000_NS6detail17trampoline_kernelINS0_13select_configILj256ELj13ELNS0_17block_load_methodE3ELS4_3ELS4_3ELNS0_20block_scan_algorithmE0ELj4294967295EEENS1_25partition_config_selectorILNS1_17partition_subalgoE3EjNS0_10empty_typeEbEEZZNS1_14partition_implILS8_3ELb0ES6_jNS0_17counting_iteratorIjlEEPS9_SE_NS0_5tupleIJPjSE_EEENSF_IJSE_SE_EEES9_SG_JZNS1_25segmented_radix_sort_implINS0_14default_configELb0EPK6__halfPSL_PKlPlN2at6native12_GLOBAL__N_18offset_tEEE10hipError_tPvRmT1_PNSt15iterator_traitsISZ_E10value_typeET2_T3_PNS10_IS15_E10value_typeET4_jRbjT5_S1B_jjP12ihipStream_tbEUljE_EEESW_SX_SY_S15_S19_S1B_T6_T7_T9_mT8_S1D_bDpT10_ENKUlT_T0_E_clISt17integral_constantIbLb0EES1P_IbLb1EEEEDaS1L_S1M_EUlS1L_E_NS1_11comp_targetILNS1_3genE10ELNS1_11target_archE1200ELNS1_3gpuE4ELNS1_3repE0EEENS1_30default_config_static_selectorELNS0_4arch9wavefront6targetE0EEEvSZ_.has_dyn_sized_stack, 0
	.set _ZN7rocprim17ROCPRIM_400000_NS6detail17trampoline_kernelINS0_13select_configILj256ELj13ELNS0_17block_load_methodE3ELS4_3ELS4_3ELNS0_20block_scan_algorithmE0ELj4294967295EEENS1_25partition_config_selectorILNS1_17partition_subalgoE3EjNS0_10empty_typeEbEEZZNS1_14partition_implILS8_3ELb0ES6_jNS0_17counting_iteratorIjlEEPS9_SE_NS0_5tupleIJPjSE_EEENSF_IJSE_SE_EEES9_SG_JZNS1_25segmented_radix_sort_implINS0_14default_configELb0EPK6__halfPSL_PKlPlN2at6native12_GLOBAL__N_18offset_tEEE10hipError_tPvRmT1_PNSt15iterator_traitsISZ_E10value_typeET2_T3_PNS10_IS15_E10value_typeET4_jRbjT5_S1B_jjP12ihipStream_tbEUljE_EEESW_SX_SY_S15_S19_S1B_T6_T7_T9_mT8_S1D_bDpT10_ENKUlT_T0_E_clISt17integral_constantIbLb0EES1P_IbLb1EEEEDaS1L_S1M_EUlS1L_E_NS1_11comp_targetILNS1_3genE10ELNS1_11target_archE1200ELNS1_3gpuE4ELNS1_3repE0EEENS1_30default_config_static_selectorELNS0_4arch9wavefront6targetE0EEEvSZ_.has_recursion, 0
	.set _ZN7rocprim17ROCPRIM_400000_NS6detail17trampoline_kernelINS0_13select_configILj256ELj13ELNS0_17block_load_methodE3ELS4_3ELS4_3ELNS0_20block_scan_algorithmE0ELj4294967295EEENS1_25partition_config_selectorILNS1_17partition_subalgoE3EjNS0_10empty_typeEbEEZZNS1_14partition_implILS8_3ELb0ES6_jNS0_17counting_iteratorIjlEEPS9_SE_NS0_5tupleIJPjSE_EEENSF_IJSE_SE_EEES9_SG_JZNS1_25segmented_radix_sort_implINS0_14default_configELb0EPK6__halfPSL_PKlPlN2at6native12_GLOBAL__N_18offset_tEEE10hipError_tPvRmT1_PNSt15iterator_traitsISZ_E10value_typeET2_T3_PNS10_IS15_E10value_typeET4_jRbjT5_S1B_jjP12ihipStream_tbEUljE_EEESW_SX_SY_S15_S19_S1B_T6_T7_T9_mT8_S1D_bDpT10_ENKUlT_T0_E_clISt17integral_constantIbLb0EES1P_IbLb1EEEEDaS1L_S1M_EUlS1L_E_NS1_11comp_targetILNS1_3genE10ELNS1_11target_archE1200ELNS1_3gpuE4ELNS1_3repE0EEENS1_30default_config_static_selectorELNS0_4arch9wavefront6targetE0EEEvSZ_.has_indirect_call, 0
	.section	.AMDGPU.csdata,"",@progbits
; Kernel info:
; codeLenInByte = 0
; TotalNumSgprs: 0
; NumVgprs: 0
; ScratchSize: 0
; MemoryBound: 0
; FloatMode: 240
; IeeeMode: 1
; LDSByteSize: 0 bytes/workgroup (compile time only)
; SGPRBlocks: 0
; VGPRBlocks: 0
; NumSGPRsForWavesPerEU: 1
; NumVGPRsForWavesPerEU: 1
; Occupancy: 16
; WaveLimiterHint : 0
; COMPUTE_PGM_RSRC2:SCRATCH_EN: 0
; COMPUTE_PGM_RSRC2:USER_SGPR: 6
; COMPUTE_PGM_RSRC2:TRAP_HANDLER: 0
; COMPUTE_PGM_RSRC2:TGID_X_EN: 1
; COMPUTE_PGM_RSRC2:TGID_Y_EN: 0
; COMPUTE_PGM_RSRC2:TGID_Z_EN: 0
; COMPUTE_PGM_RSRC2:TIDIG_COMP_CNT: 0
	.section	.text._ZN7rocprim17ROCPRIM_400000_NS6detail17trampoline_kernelINS0_13select_configILj256ELj13ELNS0_17block_load_methodE3ELS4_3ELS4_3ELNS0_20block_scan_algorithmE0ELj4294967295EEENS1_25partition_config_selectorILNS1_17partition_subalgoE3EjNS0_10empty_typeEbEEZZNS1_14partition_implILS8_3ELb0ES6_jNS0_17counting_iteratorIjlEEPS9_SE_NS0_5tupleIJPjSE_EEENSF_IJSE_SE_EEES9_SG_JZNS1_25segmented_radix_sort_implINS0_14default_configELb0EPK6__halfPSL_PKlPlN2at6native12_GLOBAL__N_18offset_tEEE10hipError_tPvRmT1_PNSt15iterator_traitsISZ_E10value_typeET2_T3_PNS10_IS15_E10value_typeET4_jRbjT5_S1B_jjP12ihipStream_tbEUljE_EEESW_SX_SY_S15_S19_S1B_T6_T7_T9_mT8_S1D_bDpT10_ENKUlT_T0_E_clISt17integral_constantIbLb0EES1P_IbLb1EEEEDaS1L_S1M_EUlS1L_E_NS1_11comp_targetILNS1_3genE9ELNS1_11target_archE1100ELNS1_3gpuE3ELNS1_3repE0EEENS1_30default_config_static_selectorELNS0_4arch9wavefront6targetE0EEEvSZ_,"axG",@progbits,_ZN7rocprim17ROCPRIM_400000_NS6detail17trampoline_kernelINS0_13select_configILj256ELj13ELNS0_17block_load_methodE3ELS4_3ELS4_3ELNS0_20block_scan_algorithmE0ELj4294967295EEENS1_25partition_config_selectorILNS1_17partition_subalgoE3EjNS0_10empty_typeEbEEZZNS1_14partition_implILS8_3ELb0ES6_jNS0_17counting_iteratorIjlEEPS9_SE_NS0_5tupleIJPjSE_EEENSF_IJSE_SE_EEES9_SG_JZNS1_25segmented_radix_sort_implINS0_14default_configELb0EPK6__halfPSL_PKlPlN2at6native12_GLOBAL__N_18offset_tEEE10hipError_tPvRmT1_PNSt15iterator_traitsISZ_E10value_typeET2_T3_PNS10_IS15_E10value_typeET4_jRbjT5_S1B_jjP12ihipStream_tbEUljE_EEESW_SX_SY_S15_S19_S1B_T6_T7_T9_mT8_S1D_bDpT10_ENKUlT_T0_E_clISt17integral_constantIbLb0EES1P_IbLb1EEEEDaS1L_S1M_EUlS1L_E_NS1_11comp_targetILNS1_3genE9ELNS1_11target_archE1100ELNS1_3gpuE3ELNS1_3repE0EEENS1_30default_config_static_selectorELNS0_4arch9wavefront6targetE0EEEvSZ_,comdat
	.globl	_ZN7rocprim17ROCPRIM_400000_NS6detail17trampoline_kernelINS0_13select_configILj256ELj13ELNS0_17block_load_methodE3ELS4_3ELS4_3ELNS0_20block_scan_algorithmE0ELj4294967295EEENS1_25partition_config_selectorILNS1_17partition_subalgoE3EjNS0_10empty_typeEbEEZZNS1_14partition_implILS8_3ELb0ES6_jNS0_17counting_iteratorIjlEEPS9_SE_NS0_5tupleIJPjSE_EEENSF_IJSE_SE_EEES9_SG_JZNS1_25segmented_radix_sort_implINS0_14default_configELb0EPK6__halfPSL_PKlPlN2at6native12_GLOBAL__N_18offset_tEEE10hipError_tPvRmT1_PNSt15iterator_traitsISZ_E10value_typeET2_T3_PNS10_IS15_E10value_typeET4_jRbjT5_S1B_jjP12ihipStream_tbEUljE_EEESW_SX_SY_S15_S19_S1B_T6_T7_T9_mT8_S1D_bDpT10_ENKUlT_T0_E_clISt17integral_constantIbLb0EES1P_IbLb1EEEEDaS1L_S1M_EUlS1L_E_NS1_11comp_targetILNS1_3genE9ELNS1_11target_archE1100ELNS1_3gpuE3ELNS1_3repE0EEENS1_30default_config_static_selectorELNS0_4arch9wavefront6targetE0EEEvSZ_ ; -- Begin function _ZN7rocprim17ROCPRIM_400000_NS6detail17trampoline_kernelINS0_13select_configILj256ELj13ELNS0_17block_load_methodE3ELS4_3ELS4_3ELNS0_20block_scan_algorithmE0ELj4294967295EEENS1_25partition_config_selectorILNS1_17partition_subalgoE3EjNS0_10empty_typeEbEEZZNS1_14partition_implILS8_3ELb0ES6_jNS0_17counting_iteratorIjlEEPS9_SE_NS0_5tupleIJPjSE_EEENSF_IJSE_SE_EEES9_SG_JZNS1_25segmented_radix_sort_implINS0_14default_configELb0EPK6__halfPSL_PKlPlN2at6native12_GLOBAL__N_18offset_tEEE10hipError_tPvRmT1_PNSt15iterator_traitsISZ_E10value_typeET2_T3_PNS10_IS15_E10value_typeET4_jRbjT5_S1B_jjP12ihipStream_tbEUljE_EEESW_SX_SY_S15_S19_S1B_T6_T7_T9_mT8_S1D_bDpT10_ENKUlT_T0_E_clISt17integral_constantIbLb0EES1P_IbLb1EEEEDaS1L_S1M_EUlS1L_E_NS1_11comp_targetILNS1_3genE9ELNS1_11target_archE1100ELNS1_3gpuE3ELNS1_3repE0EEENS1_30default_config_static_selectorELNS0_4arch9wavefront6targetE0EEEvSZ_
	.p2align	8
	.type	_ZN7rocprim17ROCPRIM_400000_NS6detail17trampoline_kernelINS0_13select_configILj256ELj13ELNS0_17block_load_methodE3ELS4_3ELS4_3ELNS0_20block_scan_algorithmE0ELj4294967295EEENS1_25partition_config_selectorILNS1_17partition_subalgoE3EjNS0_10empty_typeEbEEZZNS1_14partition_implILS8_3ELb0ES6_jNS0_17counting_iteratorIjlEEPS9_SE_NS0_5tupleIJPjSE_EEENSF_IJSE_SE_EEES9_SG_JZNS1_25segmented_radix_sort_implINS0_14default_configELb0EPK6__halfPSL_PKlPlN2at6native12_GLOBAL__N_18offset_tEEE10hipError_tPvRmT1_PNSt15iterator_traitsISZ_E10value_typeET2_T3_PNS10_IS15_E10value_typeET4_jRbjT5_S1B_jjP12ihipStream_tbEUljE_EEESW_SX_SY_S15_S19_S1B_T6_T7_T9_mT8_S1D_bDpT10_ENKUlT_T0_E_clISt17integral_constantIbLb0EES1P_IbLb1EEEEDaS1L_S1M_EUlS1L_E_NS1_11comp_targetILNS1_3genE9ELNS1_11target_archE1100ELNS1_3gpuE3ELNS1_3repE0EEENS1_30default_config_static_selectorELNS0_4arch9wavefront6targetE0EEEvSZ_,@function
_ZN7rocprim17ROCPRIM_400000_NS6detail17trampoline_kernelINS0_13select_configILj256ELj13ELNS0_17block_load_methodE3ELS4_3ELS4_3ELNS0_20block_scan_algorithmE0ELj4294967295EEENS1_25partition_config_selectorILNS1_17partition_subalgoE3EjNS0_10empty_typeEbEEZZNS1_14partition_implILS8_3ELb0ES6_jNS0_17counting_iteratorIjlEEPS9_SE_NS0_5tupleIJPjSE_EEENSF_IJSE_SE_EEES9_SG_JZNS1_25segmented_radix_sort_implINS0_14default_configELb0EPK6__halfPSL_PKlPlN2at6native12_GLOBAL__N_18offset_tEEE10hipError_tPvRmT1_PNSt15iterator_traitsISZ_E10value_typeET2_T3_PNS10_IS15_E10value_typeET4_jRbjT5_S1B_jjP12ihipStream_tbEUljE_EEESW_SX_SY_S15_S19_S1B_T6_T7_T9_mT8_S1D_bDpT10_ENKUlT_T0_E_clISt17integral_constantIbLb0EES1P_IbLb1EEEEDaS1L_S1M_EUlS1L_E_NS1_11comp_targetILNS1_3genE9ELNS1_11target_archE1100ELNS1_3gpuE3ELNS1_3repE0EEENS1_30default_config_static_selectorELNS0_4arch9wavefront6targetE0EEEvSZ_: ; @_ZN7rocprim17ROCPRIM_400000_NS6detail17trampoline_kernelINS0_13select_configILj256ELj13ELNS0_17block_load_methodE3ELS4_3ELS4_3ELNS0_20block_scan_algorithmE0ELj4294967295EEENS1_25partition_config_selectorILNS1_17partition_subalgoE3EjNS0_10empty_typeEbEEZZNS1_14partition_implILS8_3ELb0ES6_jNS0_17counting_iteratorIjlEEPS9_SE_NS0_5tupleIJPjSE_EEENSF_IJSE_SE_EEES9_SG_JZNS1_25segmented_radix_sort_implINS0_14default_configELb0EPK6__halfPSL_PKlPlN2at6native12_GLOBAL__N_18offset_tEEE10hipError_tPvRmT1_PNSt15iterator_traitsISZ_E10value_typeET2_T3_PNS10_IS15_E10value_typeET4_jRbjT5_S1B_jjP12ihipStream_tbEUljE_EEESW_SX_SY_S15_S19_S1B_T6_T7_T9_mT8_S1D_bDpT10_ENKUlT_T0_E_clISt17integral_constantIbLb0EES1P_IbLb1EEEEDaS1L_S1M_EUlS1L_E_NS1_11comp_targetILNS1_3genE9ELNS1_11target_archE1100ELNS1_3gpuE3ELNS1_3repE0EEENS1_30default_config_static_selectorELNS0_4arch9wavefront6targetE0EEEvSZ_
; %bb.0:
	.section	.rodata,"a",@progbits
	.p2align	6, 0x0
	.amdhsa_kernel _ZN7rocprim17ROCPRIM_400000_NS6detail17trampoline_kernelINS0_13select_configILj256ELj13ELNS0_17block_load_methodE3ELS4_3ELS4_3ELNS0_20block_scan_algorithmE0ELj4294967295EEENS1_25partition_config_selectorILNS1_17partition_subalgoE3EjNS0_10empty_typeEbEEZZNS1_14partition_implILS8_3ELb0ES6_jNS0_17counting_iteratorIjlEEPS9_SE_NS0_5tupleIJPjSE_EEENSF_IJSE_SE_EEES9_SG_JZNS1_25segmented_radix_sort_implINS0_14default_configELb0EPK6__halfPSL_PKlPlN2at6native12_GLOBAL__N_18offset_tEEE10hipError_tPvRmT1_PNSt15iterator_traitsISZ_E10value_typeET2_T3_PNS10_IS15_E10value_typeET4_jRbjT5_S1B_jjP12ihipStream_tbEUljE_EEESW_SX_SY_S15_S19_S1B_T6_T7_T9_mT8_S1D_bDpT10_ENKUlT_T0_E_clISt17integral_constantIbLb0EES1P_IbLb1EEEEDaS1L_S1M_EUlS1L_E_NS1_11comp_targetILNS1_3genE9ELNS1_11target_archE1100ELNS1_3gpuE3ELNS1_3repE0EEENS1_30default_config_static_selectorELNS0_4arch9wavefront6targetE0EEEvSZ_
		.amdhsa_group_segment_fixed_size 0
		.amdhsa_private_segment_fixed_size 0
		.amdhsa_kernarg_size 152
		.amdhsa_user_sgpr_count 6
		.amdhsa_user_sgpr_private_segment_buffer 1
		.amdhsa_user_sgpr_dispatch_ptr 0
		.amdhsa_user_sgpr_queue_ptr 0
		.amdhsa_user_sgpr_kernarg_segment_ptr 1
		.amdhsa_user_sgpr_dispatch_id 0
		.amdhsa_user_sgpr_flat_scratch_init 0
		.amdhsa_user_sgpr_private_segment_size 0
		.amdhsa_wavefront_size32 1
		.amdhsa_uses_dynamic_stack 0
		.amdhsa_system_sgpr_private_segment_wavefront_offset 0
		.amdhsa_system_sgpr_workgroup_id_x 1
		.amdhsa_system_sgpr_workgroup_id_y 0
		.amdhsa_system_sgpr_workgroup_id_z 0
		.amdhsa_system_sgpr_workgroup_info 0
		.amdhsa_system_vgpr_workitem_id 0
		.amdhsa_next_free_vgpr 1
		.amdhsa_next_free_sgpr 1
		.amdhsa_reserve_vcc 0
		.amdhsa_reserve_flat_scratch 0
		.amdhsa_float_round_mode_32 0
		.amdhsa_float_round_mode_16_64 0
		.amdhsa_float_denorm_mode_32 3
		.amdhsa_float_denorm_mode_16_64 3
		.amdhsa_dx10_clamp 1
		.amdhsa_ieee_mode 1
		.amdhsa_fp16_overflow 0
		.amdhsa_workgroup_processor_mode 1
		.amdhsa_memory_ordered 1
		.amdhsa_forward_progress 1
		.amdhsa_shared_vgpr_count 0
		.amdhsa_exception_fp_ieee_invalid_op 0
		.amdhsa_exception_fp_denorm_src 0
		.amdhsa_exception_fp_ieee_div_zero 0
		.amdhsa_exception_fp_ieee_overflow 0
		.amdhsa_exception_fp_ieee_underflow 0
		.amdhsa_exception_fp_ieee_inexact 0
		.amdhsa_exception_int_div_zero 0
	.end_amdhsa_kernel
	.section	.text._ZN7rocprim17ROCPRIM_400000_NS6detail17trampoline_kernelINS0_13select_configILj256ELj13ELNS0_17block_load_methodE3ELS4_3ELS4_3ELNS0_20block_scan_algorithmE0ELj4294967295EEENS1_25partition_config_selectorILNS1_17partition_subalgoE3EjNS0_10empty_typeEbEEZZNS1_14partition_implILS8_3ELb0ES6_jNS0_17counting_iteratorIjlEEPS9_SE_NS0_5tupleIJPjSE_EEENSF_IJSE_SE_EEES9_SG_JZNS1_25segmented_radix_sort_implINS0_14default_configELb0EPK6__halfPSL_PKlPlN2at6native12_GLOBAL__N_18offset_tEEE10hipError_tPvRmT1_PNSt15iterator_traitsISZ_E10value_typeET2_T3_PNS10_IS15_E10value_typeET4_jRbjT5_S1B_jjP12ihipStream_tbEUljE_EEESW_SX_SY_S15_S19_S1B_T6_T7_T9_mT8_S1D_bDpT10_ENKUlT_T0_E_clISt17integral_constantIbLb0EES1P_IbLb1EEEEDaS1L_S1M_EUlS1L_E_NS1_11comp_targetILNS1_3genE9ELNS1_11target_archE1100ELNS1_3gpuE3ELNS1_3repE0EEENS1_30default_config_static_selectorELNS0_4arch9wavefront6targetE0EEEvSZ_,"axG",@progbits,_ZN7rocprim17ROCPRIM_400000_NS6detail17trampoline_kernelINS0_13select_configILj256ELj13ELNS0_17block_load_methodE3ELS4_3ELS4_3ELNS0_20block_scan_algorithmE0ELj4294967295EEENS1_25partition_config_selectorILNS1_17partition_subalgoE3EjNS0_10empty_typeEbEEZZNS1_14partition_implILS8_3ELb0ES6_jNS0_17counting_iteratorIjlEEPS9_SE_NS0_5tupleIJPjSE_EEENSF_IJSE_SE_EEES9_SG_JZNS1_25segmented_radix_sort_implINS0_14default_configELb0EPK6__halfPSL_PKlPlN2at6native12_GLOBAL__N_18offset_tEEE10hipError_tPvRmT1_PNSt15iterator_traitsISZ_E10value_typeET2_T3_PNS10_IS15_E10value_typeET4_jRbjT5_S1B_jjP12ihipStream_tbEUljE_EEESW_SX_SY_S15_S19_S1B_T6_T7_T9_mT8_S1D_bDpT10_ENKUlT_T0_E_clISt17integral_constantIbLb0EES1P_IbLb1EEEEDaS1L_S1M_EUlS1L_E_NS1_11comp_targetILNS1_3genE9ELNS1_11target_archE1100ELNS1_3gpuE3ELNS1_3repE0EEENS1_30default_config_static_selectorELNS0_4arch9wavefront6targetE0EEEvSZ_,comdat
.Lfunc_end1830:
	.size	_ZN7rocprim17ROCPRIM_400000_NS6detail17trampoline_kernelINS0_13select_configILj256ELj13ELNS0_17block_load_methodE3ELS4_3ELS4_3ELNS0_20block_scan_algorithmE0ELj4294967295EEENS1_25partition_config_selectorILNS1_17partition_subalgoE3EjNS0_10empty_typeEbEEZZNS1_14partition_implILS8_3ELb0ES6_jNS0_17counting_iteratorIjlEEPS9_SE_NS0_5tupleIJPjSE_EEENSF_IJSE_SE_EEES9_SG_JZNS1_25segmented_radix_sort_implINS0_14default_configELb0EPK6__halfPSL_PKlPlN2at6native12_GLOBAL__N_18offset_tEEE10hipError_tPvRmT1_PNSt15iterator_traitsISZ_E10value_typeET2_T3_PNS10_IS15_E10value_typeET4_jRbjT5_S1B_jjP12ihipStream_tbEUljE_EEESW_SX_SY_S15_S19_S1B_T6_T7_T9_mT8_S1D_bDpT10_ENKUlT_T0_E_clISt17integral_constantIbLb0EES1P_IbLb1EEEEDaS1L_S1M_EUlS1L_E_NS1_11comp_targetILNS1_3genE9ELNS1_11target_archE1100ELNS1_3gpuE3ELNS1_3repE0EEENS1_30default_config_static_selectorELNS0_4arch9wavefront6targetE0EEEvSZ_, .Lfunc_end1830-_ZN7rocprim17ROCPRIM_400000_NS6detail17trampoline_kernelINS0_13select_configILj256ELj13ELNS0_17block_load_methodE3ELS4_3ELS4_3ELNS0_20block_scan_algorithmE0ELj4294967295EEENS1_25partition_config_selectorILNS1_17partition_subalgoE3EjNS0_10empty_typeEbEEZZNS1_14partition_implILS8_3ELb0ES6_jNS0_17counting_iteratorIjlEEPS9_SE_NS0_5tupleIJPjSE_EEENSF_IJSE_SE_EEES9_SG_JZNS1_25segmented_radix_sort_implINS0_14default_configELb0EPK6__halfPSL_PKlPlN2at6native12_GLOBAL__N_18offset_tEEE10hipError_tPvRmT1_PNSt15iterator_traitsISZ_E10value_typeET2_T3_PNS10_IS15_E10value_typeET4_jRbjT5_S1B_jjP12ihipStream_tbEUljE_EEESW_SX_SY_S15_S19_S1B_T6_T7_T9_mT8_S1D_bDpT10_ENKUlT_T0_E_clISt17integral_constantIbLb0EES1P_IbLb1EEEEDaS1L_S1M_EUlS1L_E_NS1_11comp_targetILNS1_3genE9ELNS1_11target_archE1100ELNS1_3gpuE3ELNS1_3repE0EEENS1_30default_config_static_selectorELNS0_4arch9wavefront6targetE0EEEvSZ_
                                        ; -- End function
	.set _ZN7rocprim17ROCPRIM_400000_NS6detail17trampoline_kernelINS0_13select_configILj256ELj13ELNS0_17block_load_methodE3ELS4_3ELS4_3ELNS0_20block_scan_algorithmE0ELj4294967295EEENS1_25partition_config_selectorILNS1_17partition_subalgoE3EjNS0_10empty_typeEbEEZZNS1_14partition_implILS8_3ELb0ES6_jNS0_17counting_iteratorIjlEEPS9_SE_NS0_5tupleIJPjSE_EEENSF_IJSE_SE_EEES9_SG_JZNS1_25segmented_radix_sort_implINS0_14default_configELb0EPK6__halfPSL_PKlPlN2at6native12_GLOBAL__N_18offset_tEEE10hipError_tPvRmT1_PNSt15iterator_traitsISZ_E10value_typeET2_T3_PNS10_IS15_E10value_typeET4_jRbjT5_S1B_jjP12ihipStream_tbEUljE_EEESW_SX_SY_S15_S19_S1B_T6_T7_T9_mT8_S1D_bDpT10_ENKUlT_T0_E_clISt17integral_constantIbLb0EES1P_IbLb1EEEEDaS1L_S1M_EUlS1L_E_NS1_11comp_targetILNS1_3genE9ELNS1_11target_archE1100ELNS1_3gpuE3ELNS1_3repE0EEENS1_30default_config_static_selectorELNS0_4arch9wavefront6targetE0EEEvSZ_.num_vgpr, 0
	.set _ZN7rocprim17ROCPRIM_400000_NS6detail17trampoline_kernelINS0_13select_configILj256ELj13ELNS0_17block_load_methodE3ELS4_3ELS4_3ELNS0_20block_scan_algorithmE0ELj4294967295EEENS1_25partition_config_selectorILNS1_17partition_subalgoE3EjNS0_10empty_typeEbEEZZNS1_14partition_implILS8_3ELb0ES6_jNS0_17counting_iteratorIjlEEPS9_SE_NS0_5tupleIJPjSE_EEENSF_IJSE_SE_EEES9_SG_JZNS1_25segmented_radix_sort_implINS0_14default_configELb0EPK6__halfPSL_PKlPlN2at6native12_GLOBAL__N_18offset_tEEE10hipError_tPvRmT1_PNSt15iterator_traitsISZ_E10value_typeET2_T3_PNS10_IS15_E10value_typeET4_jRbjT5_S1B_jjP12ihipStream_tbEUljE_EEESW_SX_SY_S15_S19_S1B_T6_T7_T9_mT8_S1D_bDpT10_ENKUlT_T0_E_clISt17integral_constantIbLb0EES1P_IbLb1EEEEDaS1L_S1M_EUlS1L_E_NS1_11comp_targetILNS1_3genE9ELNS1_11target_archE1100ELNS1_3gpuE3ELNS1_3repE0EEENS1_30default_config_static_selectorELNS0_4arch9wavefront6targetE0EEEvSZ_.num_agpr, 0
	.set _ZN7rocprim17ROCPRIM_400000_NS6detail17trampoline_kernelINS0_13select_configILj256ELj13ELNS0_17block_load_methodE3ELS4_3ELS4_3ELNS0_20block_scan_algorithmE0ELj4294967295EEENS1_25partition_config_selectorILNS1_17partition_subalgoE3EjNS0_10empty_typeEbEEZZNS1_14partition_implILS8_3ELb0ES6_jNS0_17counting_iteratorIjlEEPS9_SE_NS0_5tupleIJPjSE_EEENSF_IJSE_SE_EEES9_SG_JZNS1_25segmented_radix_sort_implINS0_14default_configELb0EPK6__halfPSL_PKlPlN2at6native12_GLOBAL__N_18offset_tEEE10hipError_tPvRmT1_PNSt15iterator_traitsISZ_E10value_typeET2_T3_PNS10_IS15_E10value_typeET4_jRbjT5_S1B_jjP12ihipStream_tbEUljE_EEESW_SX_SY_S15_S19_S1B_T6_T7_T9_mT8_S1D_bDpT10_ENKUlT_T0_E_clISt17integral_constantIbLb0EES1P_IbLb1EEEEDaS1L_S1M_EUlS1L_E_NS1_11comp_targetILNS1_3genE9ELNS1_11target_archE1100ELNS1_3gpuE3ELNS1_3repE0EEENS1_30default_config_static_selectorELNS0_4arch9wavefront6targetE0EEEvSZ_.numbered_sgpr, 0
	.set _ZN7rocprim17ROCPRIM_400000_NS6detail17trampoline_kernelINS0_13select_configILj256ELj13ELNS0_17block_load_methodE3ELS4_3ELS4_3ELNS0_20block_scan_algorithmE0ELj4294967295EEENS1_25partition_config_selectorILNS1_17partition_subalgoE3EjNS0_10empty_typeEbEEZZNS1_14partition_implILS8_3ELb0ES6_jNS0_17counting_iteratorIjlEEPS9_SE_NS0_5tupleIJPjSE_EEENSF_IJSE_SE_EEES9_SG_JZNS1_25segmented_radix_sort_implINS0_14default_configELb0EPK6__halfPSL_PKlPlN2at6native12_GLOBAL__N_18offset_tEEE10hipError_tPvRmT1_PNSt15iterator_traitsISZ_E10value_typeET2_T3_PNS10_IS15_E10value_typeET4_jRbjT5_S1B_jjP12ihipStream_tbEUljE_EEESW_SX_SY_S15_S19_S1B_T6_T7_T9_mT8_S1D_bDpT10_ENKUlT_T0_E_clISt17integral_constantIbLb0EES1P_IbLb1EEEEDaS1L_S1M_EUlS1L_E_NS1_11comp_targetILNS1_3genE9ELNS1_11target_archE1100ELNS1_3gpuE3ELNS1_3repE0EEENS1_30default_config_static_selectorELNS0_4arch9wavefront6targetE0EEEvSZ_.num_named_barrier, 0
	.set _ZN7rocprim17ROCPRIM_400000_NS6detail17trampoline_kernelINS0_13select_configILj256ELj13ELNS0_17block_load_methodE3ELS4_3ELS4_3ELNS0_20block_scan_algorithmE0ELj4294967295EEENS1_25partition_config_selectorILNS1_17partition_subalgoE3EjNS0_10empty_typeEbEEZZNS1_14partition_implILS8_3ELb0ES6_jNS0_17counting_iteratorIjlEEPS9_SE_NS0_5tupleIJPjSE_EEENSF_IJSE_SE_EEES9_SG_JZNS1_25segmented_radix_sort_implINS0_14default_configELb0EPK6__halfPSL_PKlPlN2at6native12_GLOBAL__N_18offset_tEEE10hipError_tPvRmT1_PNSt15iterator_traitsISZ_E10value_typeET2_T3_PNS10_IS15_E10value_typeET4_jRbjT5_S1B_jjP12ihipStream_tbEUljE_EEESW_SX_SY_S15_S19_S1B_T6_T7_T9_mT8_S1D_bDpT10_ENKUlT_T0_E_clISt17integral_constantIbLb0EES1P_IbLb1EEEEDaS1L_S1M_EUlS1L_E_NS1_11comp_targetILNS1_3genE9ELNS1_11target_archE1100ELNS1_3gpuE3ELNS1_3repE0EEENS1_30default_config_static_selectorELNS0_4arch9wavefront6targetE0EEEvSZ_.private_seg_size, 0
	.set _ZN7rocprim17ROCPRIM_400000_NS6detail17trampoline_kernelINS0_13select_configILj256ELj13ELNS0_17block_load_methodE3ELS4_3ELS4_3ELNS0_20block_scan_algorithmE0ELj4294967295EEENS1_25partition_config_selectorILNS1_17partition_subalgoE3EjNS0_10empty_typeEbEEZZNS1_14partition_implILS8_3ELb0ES6_jNS0_17counting_iteratorIjlEEPS9_SE_NS0_5tupleIJPjSE_EEENSF_IJSE_SE_EEES9_SG_JZNS1_25segmented_radix_sort_implINS0_14default_configELb0EPK6__halfPSL_PKlPlN2at6native12_GLOBAL__N_18offset_tEEE10hipError_tPvRmT1_PNSt15iterator_traitsISZ_E10value_typeET2_T3_PNS10_IS15_E10value_typeET4_jRbjT5_S1B_jjP12ihipStream_tbEUljE_EEESW_SX_SY_S15_S19_S1B_T6_T7_T9_mT8_S1D_bDpT10_ENKUlT_T0_E_clISt17integral_constantIbLb0EES1P_IbLb1EEEEDaS1L_S1M_EUlS1L_E_NS1_11comp_targetILNS1_3genE9ELNS1_11target_archE1100ELNS1_3gpuE3ELNS1_3repE0EEENS1_30default_config_static_selectorELNS0_4arch9wavefront6targetE0EEEvSZ_.uses_vcc, 0
	.set _ZN7rocprim17ROCPRIM_400000_NS6detail17trampoline_kernelINS0_13select_configILj256ELj13ELNS0_17block_load_methodE3ELS4_3ELS4_3ELNS0_20block_scan_algorithmE0ELj4294967295EEENS1_25partition_config_selectorILNS1_17partition_subalgoE3EjNS0_10empty_typeEbEEZZNS1_14partition_implILS8_3ELb0ES6_jNS0_17counting_iteratorIjlEEPS9_SE_NS0_5tupleIJPjSE_EEENSF_IJSE_SE_EEES9_SG_JZNS1_25segmented_radix_sort_implINS0_14default_configELb0EPK6__halfPSL_PKlPlN2at6native12_GLOBAL__N_18offset_tEEE10hipError_tPvRmT1_PNSt15iterator_traitsISZ_E10value_typeET2_T3_PNS10_IS15_E10value_typeET4_jRbjT5_S1B_jjP12ihipStream_tbEUljE_EEESW_SX_SY_S15_S19_S1B_T6_T7_T9_mT8_S1D_bDpT10_ENKUlT_T0_E_clISt17integral_constantIbLb0EES1P_IbLb1EEEEDaS1L_S1M_EUlS1L_E_NS1_11comp_targetILNS1_3genE9ELNS1_11target_archE1100ELNS1_3gpuE3ELNS1_3repE0EEENS1_30default_config_static_selectorELNS0_4arch9wavefront6targetE0EEEvSZ_.uses_flat_scratch, 0
	.set _ZN7rocprim17ROCPRIM_400000_NS6detail17trampoline_kernelINS0_13select_configILj256ELj13ELNS0_17block_load_methodE3ELS4_3ELS4_3ELNS0_20block_scan_algorithmE0ELj4294967295EEENS1_25partition_config_selectorILNS1_17partition_subalgoE3EjNS0_10empty_typeEbEEZZNS1_14partition_implILS8_3ELb0ES6_jNS0_17counting_iteratorIjlEEPS9_SE_NS0_5tupleIJPjSE_EEENSF_IJSE_SE_EEES9_SG_JZNS1_25segmented_radix_sort_implINS0_14default_configELb0EPK6__halfPSL_PKlPlN2at6native12_GLOBAL__N_18offset_tEEE10hipError_tPvRmT1_PNSt15iterator_traitsISZ_E10value_typeET2_T3_PNS10_IS15_E10value_typeET4_jRbjT5_S1B_jjP12ihipStream_tbEUljE_EEESW_SX_SY_S15_S19_S1B_T6_T7_T9_mT8_S1D_bDpT10_ENKUlT_T0_E_clISt17integral_constantIbLb0EES1P_IbLb1EEEEDaS1L_S1M_EUlS1L_E_NS1_11comp_targetILNS1_3genE9ELNS1_11target_archE1100ELNS1_3gpuE3ELNS1_3repE0EEENS1_30default_config_static_selectorELNS0_4arch9wavefront6targetE0EEEvSZ_.has_dyn_sized_stack, 0
	.set _ZN7rocprim17ROCPRIM_400000_NS6detail17trampoline_kernelINS0_13select_configILj256ELj13ELNS0_17block_load_methodE3ELS4_3ELS4_3ELNS0_20block_scan_algorithmE0ELj4294967295EEENS1_25partition_config_selectorILNS1_17partition_subalgoE3EjNS0_10empty_typeEbEEZZNS1_14partition_implILS8_3ELb0ES6_jNS0_17counting_iteratorIjlEEPS9_SE_NS0_5tupleIJPjSE_EEENSF_IJSE_SE_EEES9_SG_JZNS1_25segmented_radix_sort_implINS0_14default_configELb0EPK6__halfPSL_PKlPlN2at6native12_GLOBAL__N_18offset_tEEE10hipError_tPvRmT1_PNSt15iterator_traitsISZ_E10value_typeET2_T3_PNS10_IS15_E10value_typeET4_jRbjT5_S1B_jjP12ihipStream_tbEUljE_EEESW_SX_SY_S15_S19_S1B_T6_T7_T9_mT8_S1D_bDpT10_ENKUlT_T0_E_clISt17integral_constantIbLb0EES1P_IbLb1EEEEDaS1L_S1M_EUlS1L_E_NS1_11comp_targetILNS1_3genE9ELNS1_11target_archE1100ELNS1_3gpuE3ELNS1_3repE0EEENS1_30default_config_static_selectorELNS0_4arch9wavefront6targetE0EEEvSZ_.has_recursion, 0
	.set _ZN7rocprim17ROCPRIM_400000_NS6detail17trampoline_kernelINS0_13select_configILj256ELj13ELNS0_17block_load_methodE3ELS4_3ELS4_3ELNS0_20block_scan_algorithmE0ELj4294967295EEENS1_25partition_config_selectorILNS1_17partition_subalgoE3EjNS0_10empty_typeEbEEZZNS1_14partition_implILS8_3ELb0ES6_jNS0_17counting_iteratorIjlEEPS9_SE_NS0_5tupleIJPjSE_EEENSF_IJSE_SE_EEES9_SG_JZNS1_25segmented_radix_sort_implINS0_14default_configELb0EPK6__halfPSL_PKlPlN2at6native12_GLOBAL__N_18offset_tEEE10hipError_tPvRmT1_PNSt15iterator_traitsISZ_E10value_typeET2_T3_PNS10_IS15_E10value_typeET4_jRbjT5_S1B_jjP12ihipStream_tbEUljE_EEESW_SX_SY_S15_S19_S1B_T6_T7_T9_mT8_S1D_bDpT10_ENKUlT_T0_E_clISt17integral_constantIbLb0EES1P_IbLb1EEEEDaS1L_S1M_EUlS1L_E_NS1_11comp_targetILNS1_3genE9ELNS1_11target_archE1100ELNS1_3gpuE3ELNS1_3repE0EEENS1_30default_config_static_selectorELNS0_4arch9wavefront6targetE0EEEvSZ_.has_indirect_call, 0
	.section	.AMDGPU.csdata,"",@progbits
; Kernel info:
; codeLenInByte = 0
; TotalNumSgprs: 0
; NumVgprs: 0
; ScratchSize: 0
; MemoryBound: 0
; FloatMode: 240
; IeeeMode: 1
; LDSByteSize: 0 bytes/workgroup (compile time only)
; SGPRBlocks: 0
; VGPRBlocks: 0
; NumSGPRsForWavesPerEU: 1
; NumVGPRsForWavesPerEU: 1
; Occupancy: 16
; WaveLimiterHint : 0
; COMPUTE_PGM_RSRC2:SCRATCH_EN: 0
; COMPUTE_PGM_RSRC2:USER_SGPR: 6
; COMPUTE_PGM_RSRC2:TRAP_HANDLER: 0
; COMPUTE_PGM_RSRC2:TGID_X_EN: 1
; COMPUTE_PGM_RSRC2:TGID_Y_EN: 0
; COMPUTE_PGM_RSRC2:TGID_Z_EN: 0
; COMPUTE_PGM_RSRC2:TIDIG_COMP_CNT: 0
	.section	.text._ZN7rocprim17ROCPRIM_400000_NS6detail17trampoline_kernelINS0_13select_configILj256ELj13ELNS0_17block_load_methodE3ELS4_3ELS4_3ELNS0_20block_scan_algorithmE0ELj4294967295EEENS1_25partition_config_selectorILNS1_17partition_subalgoE3EjNS0_10empty_typeEbEEZZNS1_14partition_implILS8_3ELb0ES6_jNS0_17counting_iteratorIjlEEPS9_SE_NS0_5tupleIJPjSE_EEENSF_IJSE_SE_EEES9_SG_JZNS1_25segmented_radix_sort_implINS0_14default_configELb0EPK6__halfPSL_PKlPlN2at6native12_GLOBAL__N_18offset_tEEE10hipError_tPvRmT1_PNSt15iterator_traitsISZ_E10value_typeET2_T3_PNS10_IS15_E10value_typeET4_jRbjT5_S1B_jjP12ihipStream_tbEUljE_EEESW_SX_SY_S15_S19_S1B_T6_T7_T9_mT8_S1D_bDpT10_ENKUlT_T0_E_clISt17integral_constantIbLb0EES1P_IbLb1EEEEDaS1L_S1M_EUlS1L_E_NS1_11comp_targetILNS1_3genE8ELNS1_11target_archE1030ELNS1_3gpuE2ELNS1_3repE0EEENS1_30default_config_static_selectorELNS0_4arch9wavefront6targetE0EEEvSZ_,"axG",@progbits,_ZN7rocprim17ROCPRIM_400000_NS6detail17trampoline_kernelINS0_13select_configILj256ELj13ELNS0_17block_load_methodE3ELS4_3ELS4_3ELNS0_20block_scan_algorithmE0ELj4294967295EEENS1_25partition_config_selectorILNS1_17partition_subalgoE3EjNS0_10empty_typeEbEEZZNS1_14partition_implILS8_3ELb0ES6_jNS0_17counting_iteratorIjlEEPS9_SE_NS0_5tupleIJPjSE_EEENSF_IJSE_SE_EEES9_SG_JZNS1_25segmented_radix_sort_implINS0_14default_configELb0EPK6__halfPSL_PKlPlN2at6native12_GLOBAL__N_18offset_tEEE10hipError_tPvRmT1_PNSt15iterator_traitsISZ_E10value_typeET2_T3_PNS10_IS15_E10value_typeET4_jRbjT5_S1B_jjP12ihipStream_tbEUljE_EEESW_SX_SY_S15_S19_S1B_T6_T7_T9_mT8_S1D_bDpT10_ENKUlT_T0_E_clISt17integral_constantIbLb0EES1P_IbLb1EEEEDaS1L_S1M_EUlS1L_E_NS1_11comp_targetILNS1_3genE8ELNS1_11target_archE1030ELNS1_3gpuE2ELNS1_3repE0EEENS1_30default_config_static_selectorELNS0_4arch9wavefront6targetE0EEEvSZ_,comdat
	.globl	_ZN7rocprim17ROCPRIM_400000_NS6detail17trampoline_kernelINS0_13select_configILj256ELj13ELNS0_17block_load_methodE3ELS4_3ELS4_3ELNS0_20block_scan_algorithmE0ELj4294967295EEENS1_25partition_config_selectorILNS1_17partition_subalgoE3EjNS0_10empty_typeEbEEZZNS1_14partition_implILS8_3ELb0ES6_jNS0_17counting_iteratorIjlEEPS9_SE_NS0_5tupleIJPjSE_EEENSF_IJSE_SE_EEES9_SG_JZNS1_25segmented_radix_sort_implINS0_14default_configELb0EPK6__halfPSL_PKlPlN2at6native12_GLOBAL__N_18offset_tEEE10hipError_tPvRmT1_PNSt15iterator_traitsISZ_E10value_typeET2_T3_PNS10_IS15_E10value_typeET4_jRbjT5_S1B_jjP12ihipStream_tbEUljE_EEESW_SX_SY_S15_S19_S1B_T6_T7_T9_mT8_S1D_bDpT10_ENKUlT_T0_E_clISt17integral_constantIbLb0EES1P_IbLb1EEEEDaS1L_S1M_EUlS1L_E_NS1_11comp_targetILNS1_3genE8ELNS1_11target_archE1030ELNS1_3gpuE2ELNS1_3repE0EEENS1_30default_config_static_selectorELNS0_4arch9wavefront6targetE0EEEvSZ_ ; -- Begin function _ZN7rocprim17ROCPRIM_400000_NS6detail17trampoline_kernelINS0_13select_configILj256ELj13ELNS0_17block_load_methodE3ELS4_3ELS4_3ELNS0_20block_scan_algorithmE0ELj4294967295EEENS1_25partition_config_selectorILNS1_17partition_subalgoE3EjNS0_10empty_typeEbEEZZNS1_14partition_implILS8_3ELb0ES6_jNS0_17counting_iteratorIjlEEPS9_SE_NS0_5tupleIJPjSE_EEENSF_IJSE_SE_EEES9_SG_JZNS1_25segmented_radix_sort_implINS0_14default_configELb0EPK6__halfPSL_PKlPlN2at6native12_GLOBAL__N_18offset_tEEE10hipError_tPvRmT1_PNSt15iterator_traitsISZ_E10value_typeET2_T3_PNS10_IS15_E10value_typeET4_jRbjT5_S1B_jjP12ihipStream_tbEUljE_EEESW_SX_SY_S15_S19_S1B_T6_T7_T9_mT8_S1D_bDpT10_ENKUlT_T0_E_clISt17integral_constantIbLb0EES1P_IbLb1EEEEDaS1L_S1M_EUlS1L_E_NS1_11comp_targetILNS1_3genE8ELNS1_11target_archE1030ELNS1_3gpuE2ELNS1_3repE0EEENS1_30default_config_static_selectorELNS0_4arch9wavefront6targetE0EEEvSZ_
	.p2align	8
	.type	_ZN7rocprim17ROCPRIM_400000_NS6detail17trampoline_kernelINS0_13select_configILj256ELj13ELNS0_17block_load_methodE3ELS4_3ELS4_3ELNS0_20block_scan_algorithmE0ELj4294967295EEENS1_25partition_config_selectorILNS1_17partition_subalgoE3EjNS0_10empty_typeEbEEZZNS1_14partition_implILS8_3ELb0ES6_jNS0_17counting_iteratorIjlEEPS9_SE_NS0_5tupleIJPjSE_EEENSF_IJSE_SE_EEES9_SG_JZNS1_25segmented_radix_sort_implINS0_14default_configELb0EPK6__halfPSL_PKlPlN2at6native12_GLOBAL__N_18offset_tEEE10hipError_tPvRmT1_PNSt15iterator_traitsISZ_E10value_typeET2_T3_PNS10_IS15_E10value_typeET4_jRbjT5_S1B_jjP12ihipStream_tbEUljE_EEESW_SX_SY_S15_S19_S1B_T6_T7_T9_mT8_S1D_bDpT10_ENKUlT_T0_E_clISt17integral_constantIbLb0EES1P_IbLb1EEEEDaS1L_S1M_EUlS1L_E_NS1_11comp_targetILNS1_3genE8ELNS1_11target_archE1030ELNS1_3gpuE2ELNS1_3repE0EEENS1_30default_config_static_selectorELNS0_4arch9wavefront6targetE0EEEvSZ_,@function
_ZN7rocprim17ROCPRIM_400000_NS6detail17trampoline_kernelINS0_13select_configILj256ELj13ELNS0_17block_load_methodE3ELS4_3ELS4_3ELNS0_20block_scan_algorithmE0ELj4294967295EEENS1_25partition_config_selectorILNS1_17partition_subalgoE3EjNS0_10empty_typeEbEEZZNS1_14partition_implILS8_3ELb0ES6_jNS0_17counting_iteratorIjlEEPS9_SE_NS0_5tupleIJPjSE_EEENSF_IJSE_SE_EEES9_SG_JZNS1_25segmented_radix_sort_implINS0_14default_configELb0EPK6__halfPSL_PKlPlN2at6native12_GLOBAL__N_18offset_tEEE10hipError_tPvRmT1_PNSt15iterator_traitsISZ_E10value_typeET2_T3_PNS10_IS15_E10value_typeET4_jRbjT5_S1B_jjP12ihipStream_tbEUljE_EEESW_SX_SY_S15_S19_S1B_T6_T7_T9_mT8_S1D_bDpT10_ENKUlT_T0_E_clISt17integral_constantIbLb0EES1P_IbLb1EEEEDaS1L_S1M_EUlS1L_E_NS1_11comp_targetILNS1_3genE8ELNS1_11target_archE1030ELNS1_3gpuE2ELNS1_3repE0EEENS1_30default_config_static_selectorELNS0_4arch9wavefront6targetE0EEEvSZ_: ; @_ZN7rocprim17ROCPRIM_400000_NS6detail17trampoline_kernelINS0_13select_configILj256ELj13ELNS0_17block_load_methodE3ELS4_3ELS4_3ELNS0_20block_scan_algorithmE0ELj4294967295EEENS1_25partition_config_selectorILNS1_17partition_subalgoE3EjNS0_10empty_typeEbEEZZNS1_14partition_implILS8_3ELb0ES6_jNS0_17counting_iteratorIjlEEPS9_SE_NS0_5tupleIJPjSE_EEENSF_IJSE_SE_EEES9_SG_JZNS1_25segmented_radix_sort_implINS0_14default_configELb0EPK6__halfPSL_PKlPlN2at6native12_GLOBAL__N_18offset_tEEE10hipError_tPvRmT1_PNSt15iterator_traitsISZ_E10value_typeET2_T3_PNS10_IS15_E10value_typeET4_jRbjT5_S1B_jjP12ihipStream_tbEUljE_EEESW_SX_SY_S15_S19_S1B_T6_T7_T9_mT8_S1D_bDpT10_ENKUlT_T0_E_clISt17integral_constantIbLb0EES1P_IbLb1EEEEDaS1L_S1M_EUlS1L_E_NS1_11comp_targetILNS1_3genE8ELNS1_11target_archE1030ELNS1_3gpuE2ELNS1_3repE0EEENS1_30default_config_static_selectorELNS0_4arch9wavefront6targetE0EEEvSZ_
; %bb.0:
	s_clause 0x6
	s_load_dwordx2 s[18:19], s[4:5], 0x10
	s_load_dwordx2 s[16:17], s[4:5], 0x28
	;; [unrolled: 1-line block ×3, first 2 shown]
	s_load_dwordx4 s[12:15], s[4:5], 0x48
	s_load_dword s2, s[4:5], 0x90
	s_load_dwordx2 s[22:23], s[4:5], 0x68
	s_load_dwordx4 s[8:11], s[4:5], 0x80
	v_cmp_eq_u32_e64 s0, 0, v0
	s_and_saveexec_b32 s1, s0
	s_cbranch_execz .LBB1831_4
; %bb.1:
	s_mov_b32 s6, exec_lo
	s_mov_b32 s3, exec_lo
	v_mbcnt_lo_u32_b32 v1, s6, 0
                                        ; implicit-def: $vgpr2
	v_cmpx_eq_u32_e32 0, v1
	s_cbranch_execz .LBB1831_3
; %bb.2:
	s_load_dwordx2 s[24:25], s[4:5], 0x78
	s_bcnt1_i32_b32 s6, s6
	v_mov_b32_e32 v2, 0
	v_mov_b32_e32 v3, s6
	s_waitcnt lgkmcnt(0)
	global_atomic_add v2, v2, v3, s[24:25] glc
.LBB1831_3:
	s_or_b32 exec_lo, exec_lo, s3
	s_waitcnt vmcnt(0)
	v_readfirstlane_b32 s3, v2
	v_mov_b32_e32 v2, 0
	v_add_nc_u32_e32 v1, s3, v1
	ds_write_b32 v2, v1
.LBB1831_4:
	s_or_b32 exec_lo, exec_lo, s1
	v_mov_b32_e32 v1, 0
	s_clause 0x1
	s_load_dword s3, s[4:5], 0x8
	s_load_dword s1, s[4:5], 0x70
	s_waitcnt lgkmcnt(0)
	s_barrier
	buffer_gl0_inv
	ds_read_b32 v2, v1
	s_waitcnt lgkmcnt(0)
	s_barrier
	buffer_gl0_inv
	global_load_dwordx2 v[18:19], v1, s[14:15]
	v_lshlrev_b32_e32 v44, 2, v0
	s_add_i32 s4, s3, s18
	s_mul_i32 s5, s1, 0xd00
	s_add_i32 s1, s1, -1
	s_add_i32 s3, s5, s18
	s_sub_i32 s15, s20, s3
	v_readfirstlane_b32 s25, v2
	s_addk_i32 s15, 0xd00
	s_add_u32 s6, s18, s5
	s_addc_u32 s7, s19, 0
	v_cmp_ne_u32_e32 vcc_lo, s1, v2
	v_cmp_gt_u64_e64 s3, s[20:21], s[6:7]
	s_cmp_eq_u32 s25, s1
	s_mul_i32 s24, s25, 0xd00
	s_cselect_b32 s14, -1, 0
	s_mov_b32 s5, -1
	s_or_b32 s3, s3, vcc_lo
	s_and_b32 vcc_lo, exec_lo, s3
	s_cbranch_vccz .LBB1831_6
; %bb.5:
	v_add3_u32 v1, s24, s4, v0
	s_mov_b32 s5, 0
	v_add_nc_u32_e32 v2, 0x100, v1
	v_add_nc_u32_e32 v3, 0x200, v1
	;; [unrolled: 1-line block ×12, first 2 shown]
	ds_write2st64_b32 v44, v1, v2 offset1:4
	ds_write2st64_b32 v44, v3, v4 offset0:8 offset1:12
	ds_write2st64_b32 v44, v5, v6 offset0:16 offset1:20
	;; [unrolled: 1-line block ×5, first 2 shown]
	ds_write_b32 v44, v13 offset:12288
	s_waitcnt vmcnt(0) lgkmcnt(0)
	s_barrier
.LBB1831_6:
	v_cmp_gt_u32_e64 s1, s15, v0
	v_or_b32_e32 v43, 0x100, v0
	v_or_b32_e32 v42, 0x200, v0
	;; [unrolled: 1-line block ×12, first 2 shown]
	s_andn2_b32 vcc_lo, exec_lo, s5
	s_cbranch_vccnz .LBB1831_8
; %bb.7:
	s_add_i32 s4, s24, s4
	v_cmp_gt_u32_e32 vcc_lo, s15, v43
	v_add_nc_u32_e32 v2, s4, v43
	v_add_nc_u32_e32 v3, s4, v42
	;; [unrolled: 1-line block ×5, first 2 shown]
	v_cndmask_b32_e32 v2, 0, v2, vcc_lo
	v_cmp_gt_u32_e32 vcc_lo, s15, v42
	v_add_nc_u32_e32 v7, s4, v38
	v_add_nc_u32_e32 v8, s4, v37
	;; [unrolled: 1-line block ×4, first 2 shown]
	v_cndmask_b32_e32 v3, 0, v3, vcc_lo
	v_cmp_gt_u32_e32 vcc_lo, s15, v41
	v_add_nc_u32_e32 v11, s4, v34
	v_add_nc_u32_e32 v1, s4, v0
	;; [unrolled: 1-line block ×4, first 2 shown]
	v_cndmask_b32_e32 v4, 0, v4, vcc_lo
	v_cmp_gt_u32_e32 vcc_lo, s15, v40
	v_cndmask_b32_e64 v1, 0, v1, s1
	v_cndmask_b32_e32 v5, 0, v5, vcc_lo
	v_cmp_gt_u32_e32 vcc_lo, s15, v39
	v_cndmask_b32_e32 v6, 0, v6, vcc_lo
	v_cmp_gt_u32_e32 vcc_lo, s15, v38
	;; [unrolled: 2-line block ×8, first 2 shown]
	v_cndmask_b32_e32 v13, 0, v13, vcc_lo
	ds_write2st64_b32 v44, v1, v2 offset1:4
	ds_write2st64_b32 v44, v3, v4 offset0:8 offset1:12
	ds_write2st64_b32 v44, v5, v6 offset0:16 offset1:20
	ds_write2st64_b32 v44, v7, v8 offset0:24 offset1:28
	ds_write2st64_b32 v44, v9, v10 offset0:32 offset1:36
	ds_write2st64_b32 v44, v11, v12 offset0:40 offset1:44
	ds_write_b32 v44, v13 offset:12288
	s_waitcnt vmcnt(0) lgkmcnt(0)
	s_barrier
.LBB1831_8:
	v_mul_u32_u24_e32 v47, 13, v0
	s_waitcnt vmcnt(0)
	buffer_gl0_inv
	v_cndmask_b32_e64 v45, 0, 1, s3
	s_andn2_b32 vcc_lo, exec_lo, s3
	v_lshlrev_b32_e32 v1, 2, v47
	ds_read2_b32 v[28:29], v1 offset0:2 offset1:3
	ds_read2_b32 v[24:25], v1 offset0:6 offset1:7
	;; [unrolled: 1-line block ×3, first 2 shown]
	ds_read2_b32 v[30:31], v1 offset1:1
	ds_read2_b32 v[20:21], v1 offset0:10 offset1:11
	ds_read_b32 v46, v1 offset:48
	ds_read2_b32 v[22:23], v1 offset0:8 offset1:9
	s_waitcnt lgkmcnt(0)
	s_barrier
	buffer_gl0_inv
	s_cbranch_vccnz .LBB1831_10
; %bb.9:
	v_add_nc_u32_e32 v1, s9, v29
	v_add_nc_u32_e32 v4, s9, v28
	;; [unrolled: 1-line block ×6, first 2 shown]
	v_mul_lo_u32 v4, v4, s8
	v_mul_lo_u32 v1, v1, s8
	;; [unrolled: 1-line block ×4, first 2 shown]
	v_add_nc_u32_e32 v3, s9, v30
	v_add_nc_u32_e32 v7, s11, v30
	v_mul_lo_u32 v2, v2, s8
	v_mul_lo_u32 v6, v6, s10
	v_add_nc_u32_e32 v10, s11, v27
	v_mul_lo_u32 v3, v3, s8
	v_mul_lo_u32 v7, v7, s10
	v_sub_nc_u32_e32 v1, v1, v5
	v_sub_nc_u32_e32 v4, v4, v8
	v_add_nc_u32_e32 v5, s9, v25
	v_add_nc_u32_e32 v8, s11, v25
	v_sub_nc_u32_e32 v2, v2, v6
	v_add_nc_u32_e32 v6, s9, v27
	v_add_nc_u32_e32 v9, s9, v24
	v_mul_lo_u32 v5, v5, s8
	v_mul_lo_u32 v8, v8, s10
	v_sub_nc_u32_e32 v3, v3, v7
	v_add_nc_u32_e32 v7, s9, v26
	v_add_nc_u32_e32 v11, s11, v24
	v_mul_lo_u32 v6, v6, s8
	v_mul_lo_u32 v10, v10, s10
	v_add_nc_u32_e32 v12, s11, v26
	v_mul_lo_u32 v9, v9, s8
	v_mul_lo_u32 v7, v7, s8
	;; [unrolled: 1-line block ×3, first 2 shown]
	v_sub_nc_u32_e32 v5, v5, v8
	v_mul_lo_u32 v8, v12, s10
	v_cmp_lt_u32_e32 vcc_lo, s2, v1
	v_sub_nc_u32_e32 v6, v6, v10
	v_add_nc_u32_e32 v10, s9, v21
	v_add_nc_u32_e32 v14, s11, v21
	;; [unrolled: 1-line block ×3, first 2 shown]
	v_cndmask_b32_e64 v1, 0, 1, vcc_lo
	v_cmp_lt_u32_e32 vcc_lo, s2, v2
	v_sub_nc_u32_e32 v7, v7, v8
	v_sub_nc_u32_e32 v8, v9, v11
	v_add_nc_u32_e32 v11, s9, v23
	v_mul_lo_u32 v10, v10, s8
	v_mul_lo_u32 v14, v14, s10
	v_cndmask_b32_e64 v2, 0, 1, vcc_lo
	v_cmp_lt_u32_e32 vcc_lo, s2, v5
	v_mul_lo_u32 v11, v11, s8
	v_mul_lo_u32 v15, v15, s10
	v_mov_b32_e32 v9, 8
	v_lshlrev_b16 v2, 8, v2
	v_cndmask_b32_e64 v5, 0, 1, vcc_lo
	v_cmp_lt_u32_e32 vcc_lo, s2, v6
	v_sub_nc_u32_e32 v10, v10, v14
	v_add_nc_u32_e32 v12, s9, v22
	v_add_nc_u32_e32 v16, s11, v22
	v_sub_nc_u32_e32 v11, v11, v15
	v_cndmask_b32_e64 v6, 0, 1, vcc_lo
	v_cmp_lt_u32_e32 vcc_lo, s2, v10
	v_lshrrev_b32_sdwa v2, v9, v2 dst_sel:BYTE_1 dst_unused:UNUSED_PAD src0_sel:DWORD src1_sel:DWORD
	v_add_nc_u32_e32 v13, s9, v20
	v_add_nc_u32_e32 v17, s11, v20
	v_mul_lo_u32 v12, v12, s8
	v_cndmask_b32_e64 v10, 0, 1, vcc_lo
	v_cmp_lt_u32_e32 vcc_lo, s2, v11
	v_mul_lo_u32 v16, v16, s10
	v_mul_lo_u32 v13, v13, s8
	;; [unrolled: 1-line block ×3, first 2 shown]
	v_add_nc_u32_e32 v14, s9, v46
	v_cndmask_b32_e64 v11, 0, 1, vcc_lo
	v_cmp_lt_u32_e32 vcc_lo, s2, v3
	v_add_nc_u32_e32 v15, s11, v46
	v_lshlrev_b16 v1, 8, v1
	v_sub_nc_u32_e32 v12, v12, v16
	v_lshlrev_b16 v11, 8, v11
	v_cndmask_b32_e64 v3, 0, 1, vcc_lo
	v_cmp_lt_u32_e32 vcc_lo, s2, v4
	v_sub_nc_u32_e32 v13, v13, v17
	v_mul_lo_u32 v14, v14, s8
	v_mul_lo_u32 v15, v15, s10
	v_or_b32_e32 v2, v3, v2
	v_cndmask_b32_e64 v3, 0, 1, vcc_lo
	v_cmp_lt_u32_e32 vcc_lo, s2, v7
	v_lshlrev_b16 v6, 8, v6
	v_lshlrev_b16 v10, 8, v10
	;; [unrolled: 1-line block ×3, first 2 shown]
	v_lshrrev_b32_sdwa v1, v9, v1 dst_sel:BYTE_1 dst_unused:UNUSED_PAD src0_sel:DWORD src1_sel:DWORD
	v_cndmask_b32_e64 v4, 0, 1, vcc_lo
	v_cmp_lt_u32_e32 vcc_lo, s2, v8
	v_lshrrev_b32_sdwa v8, v9, v11 dst_sel:BYTE_1 dst_unused:UNUSED_PAD src0_sel:DWORD src1_sel:DWORD
	v_lshrrev_b32_sdwa v6, v9, v6 dst_sel:BYTE_1 dst_unused:UNUSED_PAD src0_sel:DWORD src1_sel:DWORD
	v_sub_nc_u32_e32 v14, v14, v15
	v_lshrrev_b32_sdwa v9, v9, v10 dst_sel:BYTE_1 dst_unused:UNUSED_PAD src0_sel:DWORD src1_sel:DWORD
	v_cndmask_b32_e64 v7, 0, 1, vcc_lo
	v_cmp_lt_u32_e32 vcc_lo, s2, v12
	v_or_b32_sdwa v1, v3, v1 dst_sel:WORD_1 dst_unused:UNUSED_PAD src0_sel:DWORD src1_sel:DWORD
	v_or_b32_e32 v3, v4, v6
	v_or_b32_sdwa v4, v7, v5 dst_sel:WORD_1 dst_unused:UNUSED_PAD src0_sel:DWORD src1_sel:DWORD
	v_cndmask_b32_e64 v11, 0, 1, vcc_lo
	v_cmp_lt_u32_e32 vcc_lo, s2, v13
	v_or_b32_sdwa v52, v2, v1 dst_sel:DWORD dst_unused:UNUSED_PAD src0_sel:WORD_0 src1_sel:DWORD
	v_or_b32_sdwa v50, v3, v4 dst_sel:DWORD dst_unused:UNUSED_PAD src0_sel:WORD_0 src1_sel:DWORD
	v_or_b32_e32 v5, v11, v8
	v_cndmask_b32_e64 v10, 0, 1, vcc_lo
	v_cmp_lt_u32_e32 vcc_lo, s2, v14
	v_or_b32_sdwa v6, v10, v9 dst_sel:WORD_1 dst_unused:UNUSED_PAD src0_sel:DWORD src1_sel:DWORD
	v_cndmask_b32_e64 v48, 0, 1, vcc_lo
	v_or_b32_sdwa v49, v5, v6 dst_sel:DWORD dst_unused:UNUSED_PAD src0_sel:WORD_0 src1_sel:DWORD
	s_cbranch_execz .LBB1831_11
	s_branch .LBB1831_38
.LBB1831_10:
                                        ; implicit-def: $vgpr48
                                        ; implicit-def: $vgpr49
                                        ; implicit-def: $vgpr50
                                        ; implicit-def: $vgpr52
.LBB1831_11:
	v_mov_b32_e32 v2, 0
	v_mov_b32_e32 v1, 0
	s_mov_b32 s1, exec_lo
	v_cmpx_gt_u32_e64 s15, v47
	s_cbranch_execz .LBB1831_13
; %bb.12:
	v_add_nc_u32_e32 v1, s9, v30
	v_add_nc_u32_e32 v3, s11, v30
	v_mul_lo_u32 v1, v1, s8
	v_mul_lo_u32 v3, v3, s10
	v_sub_nc_u32_e32 v1, v1, v3
	v_cmp_lt_u32_e32 vcc_lo, s2, v1
	v_cndmask_b32_e64 v1, 0, 1, vcc_lo
.LBB1831_13:
	s_or_b32 exec_lo, exec_lo, s1
	v_add_nc_u32_e32 v3, 1, v47
	s_mov_b32 s1, exec_lo
	v_cmpx_gt_u32_e64 s15, v3
	s_cbranch_execz .LBB1831_15
; %bb.14:
	v_add_nc_u32_e32 v2, s9, v31
	v_add_nc_u32_e32 v3, s11, v31
	v_mul_lo_u32 v2, v2, s8
	v_mul_lo_u32 v3, v3, s10
	v_sub_nc_u32_e32 v2, v2, v3
	v_cmp_lt_u32_e32 vcc_lo, s2, v2
	v_cndmask_b32_e64 v2, 0, 1, vcc_lo
.LBB1831_15:
	s_or_b32 exec_lo, exec_lo, s1
	v_add_nc_u32_e32 v3, 2, v47
	v_mov_b32_e32 v4, 0
	v_cmp_gt_u32_e32 vcc_lo, s15, v3
	v_mov_b32_e32 v3, 0
	s_and_saveexec_b32 s1, vcc_lo
	s_cbranch_execz .LBB1831_17
; %bb.16:
	v_add_nc_u32_e32 v3, s9, v28
	v_add_nc_u32_e32 v5, s11, v28
	v_mul_lo_u32 v3, v3, s8
	v_mul_lo_u32 v5, v5, s10
	v_sub_nc_u32_e32 v3, v3, v5
	v_cmp_lt_u32_e32 vcc_lo, s2, v3
	v_cndmask_b32_e64 v3, 0, 1, vcc_lo
.LBB1831_17:
	s_or_b32 exec_lo, exec_lo, s1
	v_add_nc_u32_e32 v5, 3, v47
	s_mov_b32 s1, exec_lo
	v_cmpx_gt_u32_e64 s15, v5
	s_cbranch_execz .LBB1831_19
; %bb.18:
	v_add_nc_u32_e32 v4, s9, v29
	v_add_nc_u32_e32 v5, s11, v29
	v_mul_lo_u32 v4, v4, s8
	v_mul_lo_u32 v5, v5, s10
	v_sub_nc_u32_e32 v4, v4, v5
	v_cmp_lt_u32_e32 vcc_lo, s2, v4
	v_cndmask_b32_e64 v4, 0, 1, vcc_lo
.LBB1831_19:
	s_or_b32 exec_lo, exec_lo, s1
	v_add_nc_u32_e32 v5, 4, v47
	v_mov_b32_e32 v6, 0
	v_cmp_gt_u32_e32 vcc_lo, s15, v5
	v_mov_b32_e32 v5, 0
	s_and_saveexec_b32 s1, vcc_lo
	;; [unrolled: 30-line block ×5, first 2 shown]
	s_cbranch_execz .LBB1831_33
; %bb.32:
	v_add_nc_u32_e32 v11, s9, v20
	v_add_nc_u32_e32 v13, s11, v20
	v_mul_lo_u32 v11, v11, s8
	v_mul_lo_u32 v13, v13, s10
	v_sub_nc_u32_e32 v11, v11, v13
	v_cmp_lt_u32_e32 vcc_lo, s2, v11
	v_cndmask_b32_e64 v11, 0, 1, vcc_lo
.LBB1831_33:
	s_or_b32 exec_lo, exec_lo, s1
	v_add_nc_u32_e32 v13, 11, v47
	s_mov_b32 s1, exec_lo
	v_cmpx_gt_u32_e64 s15, v13
	s_cbranch_execz .LBB1831_35
; %bb.34:
	v_add_nc_u32_e32 v12, s9, v21
	v_add_nc_u32_e32 v13, s11, v21
	v_mul_lo_u32 v12, v12, s8
	v_mul_lo_u32 v13, v13, s10
	v_sub_nc_u32_e32 v12, v12, v13
	v_cmp_lt_u32_e32 vcc_lo, s2, v12
	v_cndmask_b32_e64 v12, 0, 1, vcc_lo
.LBB1831_35:
	s_or_b32 exec_lo, exec_lo, s1
	v_add_nc_u32_e32 v13, 12, v47
	v_mov_b32_e32 v48, 0
	s_mov_b32 s1, exec_lo
	v_cmpx_gt_u32_e64 s15, v13
	s_cbranch_execz .LBB1831_37
; %bb.36:
	v_add_nc_u32_e32 v13, s9, v46
	v_add_nc_u32_e32 v14, s11, v46
	v_mul_lo_u32 v13, v13, s8
	v_mul_lo_u32 v14, v14, s10
	v_sub_nc_u32_e32 v13, v13, v14
	v_cmp_lt_u32_e32 vcc_lo, s2, v13
	v_cndmask_b32_e64 v48, 0, 1, vcc_lo
.LBB1831_37:
	s_or_b32 exec_lo, exec_lo, s1
	v_lshlrev_b16 v2, 8, v2
	v_lshlrev_b16 v4, 8, v4
	;; [unrolled: 1-line block ×5, first 2 shown]
	v_or_b32_e32 v1, v1, v2
	v_lshlrev_b16 v2, 8, v12
	v_or_b32_sdwa v3, v3, v4 dst_sel:WORD_1 dst_unused:UNUSED_PAD src0_sel:DWORD src1_sel:DWORD
	v_or_b32_e32 v4, v5, v6
	v_or_b32_sdwa v5, v7, v8 dst_sel:WORD_1 dst_unused:UNUSED_PAD src0_sel:DWORD src1_sel:DWORD
	v_or_b32_e32 v6, v9, v10
	v_or_b32_sdwa v2, v11, v2 dst_sel:WORD_1 dst_unused:UNUSED_PAD src0_sel:DWORD src1_sel:DWORD
	v_or_b32_sdwa v52, v1, v3 dst_sel:DWORD dst_unused:UNUSED_PAD src0_sel:WORD_0 src1_sel:DWORD
	v_or_b32_sdwa v50, v4, v5 dst_sel:DWORD dst_unused:UNUSED_PAD src0_sel:WORD_0 src1_sel:DWORD
	;; [unrolled: 1-line block ×3, first 2 shown]
.LBB1831_38:
	v_and_b32_e32 v55, 0xff, v52
	v_bfe_u32 v56, v52, 8, 8
	v_bfe_u32 v57, v52, 16, 8
	v_lshrrev_b32_e32 v54, 24, v52
	v_and_b32_e32 v58, 0xff, v50
	v_bfe_u32 v59, v50, 8, 8
	v_bfe_u32 v60, v50, 16, 8
	v_add3_u32 v1, v56, v55, v57
	v_lshrrev_b32_e32 v53, 24, v50
	v_and_b32_e32 v61, 0xff, v49
	v_bfe_u32 v62, v49, 8, 8
	v_mbcnt_lo_u32_b32 v64, -1, 0
	v_add3_u32 v1, v1, v54, v58
	v_bfe_u32 v63, v49, 16, 8
	v_lshrrev_b32_e32 v51, 24, v49
	v_and_b32_e32 v2, 0xff, v48
	v_and_b32_e32 v3, 15, v64
	v_add3_u32 v1, v1, v59, v60
	v_or_b32_e32 v4, 31, v0
	v_and_b32_e32 v5, 16, v64
	v_lshrrev_b32_e32 v65, 5, v0
	v_cmp_eq_u32_e64 s6, 0, v3
	v_add3_u32 v1, v1, v53, v61
	v_cmp_lt_u32_e64 s5, 1, v3
	v_cmp_lt_u32_e64 s4, 3, v3
	;; [unrolled: 1-line block ×3, first 2 shown]
	v_cmp_eq_u32_e64 s2, 0, v5
	v_add3_u32 v1, v1, v62, v63
	v_cmp_eq_u32_e64 s1, v0, v4
	s_cmp_lg_u32 s25, 0
	s_mov_b32 s7, -1
	v_add3_u32 v66, v1, v51, v2
	s_cbranch_scc0 .LBB1831_60
; %bb.39:
	v_mov_b32_dpp v1, v66 row_shr:1 row_mask:0xf bank_mask:0xf
	v_cndmask_b32_e64 v1, v1, 0, s6
	v_add_nc_u32_e32 v1, v1, v66
	v_mov_b32_dpp v2, v1 row_shr:2 row_mask:0xf bank_mask:0xf
	v_cndmask_b32_e64 v2, 0, v2, s5
	v_add_nc_u32_e32 v1, v1, v2
	;; [unrolled: 3-line block ×4, first 2 shown]
	ds_swizzle_b32 v2, v1 offset:swizzle(BROADCAST,32,15)
	s_waitcnt lgkmcnt(0)
	v_cndmask_b32_e64 v2, v2, 0, s2
	v_add_nc_u32_e32 v1, v1, v2
	s_and_saveexec_b32 s7, s1
; %bb.40:
	v_lshlrev_b32_e32 v2, 2, v65
	ds_write_b32 v2, v1
; %bb.41:
	s_or_b32 exec_lo, exec_lo, s7
	s_mov_b32 s7, exec_lo
	s_waitcnt lgkmcnt(0)
	s_barrier
	buffer_gl0_inv
	v_cmpx_gt_u32_e32 8, v0
	s_cbranch_execz .LBB1831_43
; %bb.42:
	ds_read_b32 v2, v44
	v_and_b32_e32 v3, 7, v64
	v_cmp_ne_u32_e32 vcc_lo, 0, v3
	s_waitcnt lgkmcnt(0)
	v_mov_b32_dpp v4, v2 row_shr:1 row_mask:0xf bank_mask:0xf
	v_cndmask_b32_e32 v4, 0, v4, vcc_lo
	v_cmp_lt_u32_e32 vcc_lo, 1, v3
	v_add_nc_u32_e32 v2, v4, v2
	v_mov_b32_dpp v4, v2 row_shr:2 row_mask:0xf bank_mask:0xf
	v_cndmask_b32_e32 v4, 0, v4, vcc_lo
	v_cmp_lt_u32_e32 vcc_lo, 3, v3
	v_add_nc_u32_e32 v2, v2, v4
	v_mov_b32_dpp v4, v2 row_shr:4 row_mask:0xf bank_mask:0xf
	v_cndmask_b32_e32 v3, 0, v4, vcc_lo
	v_add_nc_u32_e32 v2, v2, v3
	ds_write_b32 v44, v2
.LBB1831_43:
	s_or_b32 exec_lo, exec_lo, s7
	s_mov_b32 s8, exec_lo
	v_cmp_gt_u32_e32 vcc_lo, 32, v0
	s_waitcnt lgkmcnt(0)
	s_barrier
	buffer_gl0_inv
                                        ; implicit-def: $vgpr10
	v_cmpx_lt_u32_e32 31, v0
	s_cbranch_execz .LBB1831_45
; %bb.44:
	v_lshl_add_u32 v2, v65, 2, -4
	ds_read_b32 v10, v2
	s_waitcnt lgkmcnt(0)
	v_add_nc_u32_e32 v1, v10, v1
.LBB1831_45:
	s_or_b32 exec_lo, exec_lo, s8
	v_sub_co_u32 v2, s7, v64, 1
	v_cmp_gt_i32_e64 s8, 0, v2
	v_cndmask_b32_e64 v2, v2, v64, s8
	v_lshlrev_b32_e32 v2, 2, v2
	ds_bpermute_b32 v11, v2, v1
	s_and_saveexec_b32 s8, vcc_lo
	s_cbranch_execz .LBB1831_65
; %bb.46:
	v_mov_b32_e32 v7, 0
	ds_read_b32 v1, v7 offset:28
	s_and_saveexec_b32 s9, s7
	s_cbranch_execz .LBB1831_48
; %bb.47:
	s_add_i32 s10, s25, 32
	s_mov_b32 s11, 0
	v_mov_b32_e32 v2, 1
	s_lshl_b64 s[10:11], s[10:11], 3
	s_add_u32 s10, s22, s10
	s_addc_u32 s11, s23, s11
	s_waitcnt lgkmcnt(0)
	global_store_dwordx2 v7, v[1:2], s[10:11]
.LBB1831_48:
	s_or_b32 exec_lo, exec_lo, s9
	v_xad_u32 v3, v64, -1, s25
	s_mov_b32 s10, 0
	v_add_nc_u32_e32 v6, 32, v3
	v_lshlrev_b64 v[4:5], 3, v[6:7]
	v_add_co_u32 v8, vcc_lo, s22, v4
	v_add_co_ci_u32_e64 v9, null, s23, v5, vcc_lo
	global_load_dwordx2 v[5:6], v[8:9], off glc dlc
	s_waitcnt vmcnt(0)
	v_cmp_eq_u16_sdwa s11, v6, v7 src0_sel:BYTE_0 src1_sel:DWORD
	s_and_saveexec_b32 s9, s11
	s_cbranch_execz .LBB1831_52
; %bb.49:
	v_mov_b32_e32 v2, 0
.LBB1831_50:                            ; =>This Inner Loop Header: Depth=1
	global_load_dwordx2 v[5:6], v[8:9], off glc dlc
	s_waitcnt vmcnt(0)
	v_cmp_ne_u16_sdwa s11, v6, v2 src0_sel:BYTE_0 src1_sel:DWORD
	s_or_b32 s10, s11, s10
	s_andn2_b32 exec_lo, exec_lo, s10
	s_cbranch_execnz .LBB1831_50
; %bb.51:
	s_or_b32 exec_lo, exec_lo, s10
.LBB1831_52:
	s_or_b32 exec_lo, exec_lo, s9
	v_cmp_ne_u32_e32 vcc_lo, 31, v64
	v_mov_b32_e32 v12, 2
	v_lshlrev_b32_e64 v13, v64, -1
	v_add_nc_u32_e32 v15, 2, v64
	v_add_nc_u32_e32 v17, 4, v64
	v_add_co_ci_u32_e64 v2, null, 0, v64, vcc_lo
	v_cmp_eq_u16_sdwa s9, v6, v12 src0_sel:BYTE_0 src1_sel:DWORD
	v_cmp_gt_u32_e32 vcc_lo, 30, v64
	v_add_nc_u32_e32 v68, 8, v64
	v_lshlrev_b32_e32 v9, 2, v2
	v_lshl_or_b32 v69, v64, 2, 64
	v_and_or_b32 v4, s9, v13, 0x80000000
	v_cndmask_b32_e64 v7, 0, 2, vcc_lo
	v_add_nc_u32_e32 v70, 16, v64
	ds_bpermute_b32 v2, v9, v5
	v_ffbl_b32_e32 v4, v4
	v_add_lshl_u32 v14, v7, v64, 2
	v_cmp_lt_u32_e32 vcc_lo, v64, v4
	s_waitcnt lgkmcnt(0)
	v_cndmask_b32_e32 v2, 0, v2, vcc_lo
	v_cmp_gt_u32_e32 vcc_lo, 28, v64
	v_add_nc_u32_e32 v2, v2, v5
	v_cndmask_b32_e64 v7, 0, 4, vcc_lo
	v_cmp_le_u32_e32 vcc_lo, v15, v4
	ds_bpermute_b32 v5, v14, v2
	v_add_lshl_u32 v16, v7, v64, 2
	s_waitcnt lgkmcnt(0)
	v_cndmask_b32_e32 v5, 0, v5, vcc_lo
	v_cmp_gt_u32_e32 vcc_lo, 24, v64
	v_add_nc_u32_e32 v2, v2, v5
	v_cndmask_b32_e64 v7, 0, 8, vcc_lo
	v_cmp_le_u32_e32 vcc_lo, v17, v4
	ds_bpermute_b32 v5, v16, v2
	v_add_lshl_u32 v67, v7, v64, 2
	s_waitcnt lgkmcnt(0)
	v_cndmask_b32_e32 v5, 0, v5, vcc_lo
	v_cmp_le_u32_e32 vcc_lo, v68, v4
	v_add_nc_u32_e32 v2, v2, v5
	ds_bpermute_b32 v5, v67, v2
	s_waitcnt lgkmcnt(0)
	v_cndmask_b32_e32 v5, 0, v5, vcc_lo
	v_cmp_le_u32_e32 vcc_lo, v70, v4
	v_add_nc_u32_e32 v2, v2, v5
	ds_bpermute_b32 v5, v69, v2
	s_waitcnt lgkmcnt(0)
	v_cndmask_b32_e32 v4, 0, v5, vcc_lo
	v_add_nc_u32_e32 v5, v2, v4
	v_mov_b32_e32 v4, 0
	s_branch .LBB1831_56
.LBB1831_53:                            ;   in Loop: Header=BB1831_56 Depth=1
	s_or_b32 exec_lo, exec_lo, s10
.LBB1831_54:                            ;   in Loop: Header=BB1831_56 Depth=1
	s_or_b32 exec_lo, exec_lo, s9
	ds_bpermute_b32 v7, v9, v5
	v_cmp_eq_u16_sdwa s9, v6, v12 src0_sel:BYTE_0 src1_sel:DWORD
	v_subrev_nc_u32_e32 v3, 32, v3
	v_and_or_b32 v8, s9, v13, 0x80000000
	s_mov_b32 s9, 0
	v_ffbl_b32_e32 v8, v8
	v_cmp_lt_u32_e32 vcc_lo, v64, v8
	s_waitcnt lgkmcnt(0)
	v_cndmask_b32_e32 v7, 0, v7, vcc_lo
	v_cmp_le_u32_e32 vcc_lo, v15, v8
	v_add_nc_u32_e32 v5, v7, v5
	ds_bpermute_b32 v7, v14, v5
	s_waitcnt lgkmcnt(0)
	v_cndmask_b32_e32 v7, 0, v7, vcc_lo
	v_cmp_le_u32_e32 vcc_lo, v17, v8
	v_add_nc_u32_e32 v5, v5, v7
	ds_bpermute_b32 v7, v16, v5
	;; [unrolled: 5-line block ×4, first 2 shown]
	s_waitcnt lgkmcnt(0)
	v_cndmask_b32_e32 v7, 0, v7, vcc_lo
	v_add3_u32 v5, v7, v2, v5
.LBB1831_55:                            ;   in Loop: Header=BB1831_56 Depth=1
	s_and_b32 vcc_lo, exec_lo, s9
	s_cbranch_vccnz .LBB1831_61
.LBB1831_56:                            ; =>This Loop Header: Depth=1
                                        ;     Child Loop BB1831_59 Depth 2
	v_cmp_ne_u16_sdwa s9, v6, v12 src0_sel:BYTE_0 src1_sel:DWORD
	v_mov_b32_e32 v2, v5
                                        ; implicit-def: $vgpr5
                                        ; implicit-def: $vgpr6
	s_cmp_lg_u32 s9, exec_lo
	s_mov_b32 s9, -1
	s_cbranch_scc1 .LBB1831_55
; %bb.57:                               ;   in Loop: Header=BB1831_56 Depth=1
	v_lshlrev_b64 v[5:6], 3, v[3:4]
	v_add_co_u32 v7, vcc_lo, s22, v5
	v_add_co_ci_u32_e64 v8, null, s23, v6, vcc_lo
	global_load_dwordx2 v[5:6], v[7:8], off glc dlc
	s_waitcnt vmcnt(0)
	v_cmp_eq_u16_sdwa s10, v6, v4 src0_sel:BYTE_0 src1_sel:DWORD
	s_and_saveexec_b32 s9, s10
	s_cbranch_execz .LBB1831_54
; %bb.58:                               ;   in Loop: Header=BB1831_56 Depth=1
	s_mov_b32 s10, 0
.LBB1831_59:                            ;   Parent Loop BB1831_56 Depth=1
                                        ; =>  This Inner Loop Header: Depth=2
	global_load_dwordx2 v[5:6], v[7:8], off glc dlc
	s_waitcnt vmcnt(0)
	v_cmp_ne_u16_sdwa s11, v6, v4 src0_sel:BYTE_0 src1_sel:DWORD
	s_or_b32 s10, s11, s10
	s_andn2_b32 exec_lo, exec_lo, s10
	s_cbranch_execnz .LBB1831_59
	s_branch .LBB1831_53
.LBB1831_60:
                                        ; implicit-def: $vgpr17
                                        ; implicit-def: $vgpr1_vgpr2_vgpr3_vgpr4_vgpr5_vgpr6_vgpr7_vgpr8_vgpr9_vgpr10_vgpr11_vgpr12_vgpr13_vgpr14_vgpr15_vgpr16
	s_and_b32 vcc_lo, exec_lo, s7
	s_cbranch_vccnz .LBB1831_66
	s_branch .LBB1831_75
.LBB1831_61:
	s_and_saveexec_b32 s9, s7
	s_cbranch_execz .LBB1831_63
; %bb.62:
	s_add_i32 s10, s25, 32
	s_mov_b32 s11, 0
	v_add_nc_u32_e32 v3, v2, v1
	v_mov_b32_e32 v4, 2
	s_lshl_b64 s[10:11], s[10:11], 3
	v_mov_b32_e32 v5, 0
	s_add_u32 s10, s22, s10
	s_addc_u32 s11, s23, s11
	global_store_dwordx2 v5, v[3:4], s[10:11]
	ds_write_b64 v5, v[1:2] offset:13312
.LBB1831_63:
	s_or_b32 exec_lo, exec_lo, s9
	s_and_b32 exec_lo, exec_lo, s0
; %bb.64:
	v_mov_b32_e32 v1, 0
	ds_write_b32 v1, v2 offset:28
.LBB1831_65:
	s_or_b32 exec_lo, exec_lo, s8
	v_mov_b32_e32 v12, 0
	s_waitcnt lgkmcnt(0)
	s_waitcnt_vscnt null, 0x0
	s_barrier
	buffer_gl0_inv
	v_cndmask_b32_e64 v2, v11, v10, s7
	ds_read_b32 v1, v12 offset:28
	s_waitcnt lgkmcnt(0)
	s_barrier
	buffer_gl0_inv
	v_cndmask_b32_e64 v2, v2, 0, s0
	ds_read_b64 v[16:17], v12 offset:13312
	v_add_nc_u32_e32 v1, v1, v2
	v_add_nc_u32_e32 v2, v1, v55
	;; [unrolled: 1-line block ×13, first 2 shown]
	s_branch .LBB1831_75
.LBB1831_66:
	v_mov_b32_dpp v1, v66 row_shr:1 row_mask:0xf bank_mask:0xf
	v_cndmask_b32_e64 v1, v1, 0, s6
	v_add_nc_u32_e32 v1, v1, v66
	v_mov_b32_dpp v2, v1 row_shr:2 row_mask:0xf bank_mask:0xf
	v_cndmask_b32_e64 v2, 0, v2, s5
	v_add_nc_u32_e32 v1, v1, v2
	;; [unrolled: 3-line block ×4, first 2 shown]
	ds_swizzle_b32 v2, v1 offset:swizzle(BROADCAST,32,15)
	s_waitcnt lgkmcnt(0)
	v_cndmask_b32_e64 v2, v2, 0, s2
	v_add_nc_u32_e32 v1, v1, v2
	s_and_saveexec_b32 s2, s1
; %bb.67:
	v_lshlrev_b32_e32 v2, 2, v65
	ds_write_b32 v2, v1
; %bb.68:
	s_or_b32 exec_lo, exec_lo, s2
	s_mov_b32 s1, exec_lo
	s_waitcnt lgkmcnt(0)
	s_barrier
	buffer_gl0_inv
	v_cmpx_gt_u32_e32 8, v0
	s_cbranch_execz .LBB1831_70
; %bb.69:
	ds_read_b32 v2, v44
	v_and_b32_e32 v3, 7, v64
	v_cmp_ne_u32_e32 vcc_lo, 0, v3
	s_waitcnt lgkmcnt(0)
	v_mov_b32_dpp v4, v2 row_shr:1 row_mask:0xf bank_mask:0xf
	v_cndmask_b32_e32 v4, 0, v4, vcc_lo
	v_cmp_lt_u32_e32 vcc_lo, 1, v3
	v_add_nc_u32_e32 v2, v4, v2
	v_mov_b32_dpp v4, v2 row_shr:2 row_mask:0xf bank_mask:0xf
	v_cndmask_b32_e32 v4, 0, v4, vcc_lo
	v_cmp_lt_u32_e32 vcc_lo, 3, v3
	v_add_nc_u32_e32 v2, v2, v4
	v_mov_b32_dpp v4, v2 row_shr:4 row_mask:0xf bank_mask:0xf
	v_cndmask_b32_e32 v3, 0, v4, vcc_lo
	v_add_nc_u32_e32 v2, v2, v3
	ds_write_b32 v44, v2
.LBB1831_70:
	s_or_b32 exec_lo, exec_lo, s1
	v_mov_b32_e32 v3, 0
	v_mov_b32_e32 v2, 0
	s_mov_b32 s1, exec_lo
	s_waitcnt lgkmcnt(0)
	s_barrier
	buffer_gl0_inv
	v_cmpx_lt_u32_e32 31, v0
; %bb.71:
	v_lshl_add_u32 v2, v65, 2, -4
	ds_read_b32 v2, v2
; %bb.72:
	s_or_b32 exec_lo, exec_lo, s1
	v_sub_co_u32 v4, vcc_lo, v64, 1
	s_waitcnt lgkmcnt(0)
	v_add_nc_u32_e32 v1, v2, v1
	ds_read_b32 v16, v3 offset:28
	v_cmp_gt_i32_e64 s1, 0, v4
	v_cndmask_b32_e64 v4, v4, v64, s1
	v_lshlrev_b32_e32 v4, 2, v4
	ds_bpermute_b32 v1, v4, v1
	s_and_saveexec_b32 s1, s0
	s_cbranch_execz .LBB1831_74
; %bb.73:
	v_mov_b32_e32 v3, 0
	v_mov_b32_e32 v17, 2
	s_waitcnt lgkmcnt(1)
	global_store_dwordx2 v3, v[16:17], s[22:23] offset:256
.LBB1831_74:
	s_or_b32 exec_lo, exec_lo, s1
	s_waitcnt lgkmcnt(0)
	v_cndmask_b32_e32 v1, v1, v2, vcc_lo
	v_mov_b32_e32 v17, 0
	s_waitcnt_vscnt null, 0x0
	s_barrier
	buffer_gl0_inv
	v_cndmask_b32_e64 v1, v1, 0, s0
	v_add_nc_u32_e32 v2, v1, v55
	v_add_nc_u32_e32 v3, v2, v56
	;; [unrolled: 1-line block ×12, first 2 shown]
.LBB1831_75:
	s_waitcnt lgkmcnt(0)
	v_add_nc_u32_e32 v47, v16, v47
	v_sub_nc_u32_e32 v1, v1, v17
	v_and_b32_e32 v56, 1, v52
	v_lshrrev_b32_e32 v55, 8, v52
	v_sub_nc_u32_e32 v2, v2, v17
	v_sub_nc_u32_e32 v3, v3, v17
	;; [unrolled: 1-line block ×3, first 2 shown]
	v_cmp_eq_u32_e32 vcc_lo, 1, v56
	v_and_b32_e32 v55, 1, v55
	v_mov_b32_e32 v58, 1
	v_sub_nc_u32_e32 v56, v47, v2
	v_sub_nc_u32_e32 v4, v4, v17
	v_cndmask_b32_e32 v1, v57, v1, vcc_lo
	v_sub_nc_u32_e32 v57, v47, v3
	v_and_b32_sdwa v52, v58, v52 dst_sel:DWORD dst_unused:UNUSED_PAD src0_sel:DWORD src1_sel:WORD_1
	v_add_nc_u32_e32 v56, 1, v56
	v_cmp_eq_u32_e32 vcc_lo, 1, v55
	v_lshlrev_b32_e32 v1, 2, v1
	v_and_b32_e32 v54, 1, v54
	v_sub_nc_u32_e32 v59, v47, v4
	v_add_nc_u32_e32 v57, 2, v57
	v_lshrrev_b32_e32 v15, 8, v50
	ds_write_b32 v1, v30
	v_cndmask_b32_e32 v1, v56, v2, vcc_lo
	v_cmp_eq_u32_e32 vcc_lo, 1, v52
	v_add_nc_u32_e32 v59, 3, v59
	v_lshrrev_b32_e32 v14, 8, v49
	v_lshlrev_b32_e32 v1, 2, v1
	v_cndmask_b32_e32 v2, v57, v3, vcc_lo
	v_cmp_eq_u32_e32 vcc_lo, 1, v54
	ds_write_b32 v1, v31
	v_lshlrev_b32_e32 v2, 2, v2
	v_cndmask_b32_e32 v3, v59, v4, vcc_lo
	v_sub_nc_u32_e32 v4, v5, v17
	v_sub_nc_u32_e32 v5, v6, v17
	v_lshlrev_b32_e32 v3, 2, v3
	v_sub_nc_u32_e32 v1, v47, v4
	v_sub_nc_u32_e32 v6, v47, v5
	ds_write_b32 v2, v28
	ds_write_b32 v3, v29
	v_and_b32_e32 v2, 1, v50
	v_add_nc_u32_e32 v1, 4, v1
	v_add_nc_u32_e32 v3, 5, v6
	v_sub_nc_u32_e32 v6, v7, v17
	v_and_b32_e32 v7, 1, v15
	v_cmp_eq_u32_e32 vcc_lo, 1, v2
	v_sub_nc_u32_e32 v2, v8, v17
	v_and_b32_e32 v8, 1, v53
	v_add_co_u32 v15, s1, v18, v17
	v_cndmask_b32_e32 v1, v1, v4, vcc_lo
	v_sub_nc_u32_e32 v4, v47, v6
	v_cmp_eq_u32_e32 vcc_lo, 1, v7
	v_and_b32_sdwa v7, v58, v50 dst_sel:DWORD dst_unused:UNUSED_PAD src0_sel:DWORD src1_sel:WORD_1
	v_lshlrev_b32_e32 v1, 2, v1
	v_add_nc_u32_e32 v4, 6, v4
	v_cndmask_b32_e32 v3, v3, v5, vcc_lo
	v_sub_nc_u32_e32 v5, v47, v2
	v_cmp_eq_u32_e32 vcc_lo, 1, v7
	v_sub_nc_u32_e32 v7, v13, v17
	v_lshlrev_b32_e32 v3, 2, v3
	v_add_nc_u32_e32 v5, 7, v5
	v_cndmask_b32_e32 v4, v4, v6, vcc_lo
	v_cmp_eq_u32_e32 vcc_lo, 1, v8
	v_sub_nc_u32_e32 v6, v9, v17
	ds_write_b32 v1, v26
	ds_write_b32 v3, v27
	v_lshlrev_b32_e32 v3, 2, v4
	v_cndmask_b32_e32 v2, v5, v2, vcc_lo
	v_sub_nc_u32_e32 v1, v47, v6
	v_and_b32_e32 v5, 1, v49
	v_sub_nc_u32_e32 v4, v10, v17
	v_and_b32_e32 v10, 1, v51
	v_lshlrev_b32_e32 v2, 2, v2
	v_add_nc_u32_e32 v1, 8, v1
	ds_write_b32 v3, v24
	ds_write_b32 v2, v25
	v_cmp_eq_u32_e32 vcc_lo, 1, v5
	v_sub_nc_u32_e32 v3, v11, v17
	v_sub_nc_u32_e32 v2, v47, v4
	;; [unrolled: 1-line block ×3, first 2 shown]
	v_and_b32_e32 v11, 1, v48
	v_cndmask_b32_e32 v1, v1, v6, vcc_lo
	v_and_b32_e32 v6, 1, v14
	v_sub_nc_u32_e32 v8, v47, v3
	v_add_nc_u32_e32 v2, 9, v2
	v_sub_nc_u32_e32 v9, v47, v5
	v_lshlrev_b32_e32 v1, 2, v1
	v_cmp_eq_u32_e32 vcc_lo, 1, v6
	v_add_nc_u32_e32 v6, 10, v8
	v_and_b32_sdwa v8, v58, v49 dst_sel:DWORD dst_unused:UNUSED_PAD src0_sel:DWORD src1_sel:WORD_1
	v_add_nc_u32_e32 v9, 11, v9
	v_add_co_ci_u32_e64 v17, null, 0, v19, s1
	v_cndmask_b32_e32 v2, v2, v4, vcc_lo
	v_cmp_eq_u32_e32 vcc_lo, 1, v8
	v_sub_nc_u32_e32 v4, v47, v7
	v_lshlrev_b32_e32 v2, 2, v2
	v_cndmask_b32_e32 v3, v6, v3, vcc_lo
	v_cmp_eq_u32_e32 vcc_lo, 1, v10
	v_add_nc_u32_e32 v4, 12, v4
	v_lshlrev_b32_e32 v3, 2, v3
	v_cndmask_b32_e32 v5, v9, v5, vcc_lo
	v_cmp_eq_u32_e32 vcc_lo, 1, v11
	v_lshlrev_b32_e32 v5, 2, v5
	v_cndmask_b32_e32 v4, v4, v7, vcc_lo
	v_cmp_ne_u32_e32 vcc_lo, 1, v45
	v_lshlrev_b32_e32 v4, 2, v4
	ds_write_b32 v1, v22
	ds_write_b32 v2, v23
	;; [unrolled: 1-line block ×5, first 2 shown]
	s_waitcnt lgkmcnt(0)
	s_barrier
	buffer_gl0_inv
	ds_read2st64_b32 v[11:12], v44 offset1:4
	ds_read2st64_b32 v[9:10], v44 offset0:8 offset1:12
	ds_read2st64_b32 v[7:8], v44 offset0:16 offset1:20
	;; [unrolled: 1-line block ×5, first 2 shown]
	ds_read_b32 v20, v44 offset:12288
	s_cbranch_vccnz .LBB1831_132
; %bb.76:
	s_sub_u32 s1, s20, s24
	v_sub_co_u32 v13, vcc_lo, v15, s18
	s_subb_u32 s2, s21, 0
	v_add_co_u32 v18, s1, s1, v16
	v_subrev_co_ci_u32_e64 v14, null, s19, v17, vcc_lo
	v_add_co_ci_u32_e64 v19, null, s2, 0, s1
	v_add_co_u32 v18, vcc_lo, v18, v13
	s_mov_b32 s1, exec_lo
	v_add_co_ci_u32_e64 v19, null, v19, v14, vcc_lo
                                        ; implicit-def: $vgpr13_vgpr14
	v_cmpx_ge_u32_e64 v0, v16
	s_xor_b32 s1, exec_lo, s1
; %bb.77:
	v_not_b32_e32 v13, v0
	v_ashrrev_i32_e32 v14, 31, v13
	v_add_co_u32 v13, vcc_lo, v18, v13
	v_add_co_ci_u32_e64 v14, null, v19, v14, vcc_lo
; %bb.78:
	s_andn2_saveexec_b32 s1, s1
; %bb.79:
	v_add_co_u32 v13, vcc_lo, v15, v0
	v_add_co_ci_u32_e64 v14, null, 0, v17, vcc_lo
; %bb.80:
	s_or_b32 exec_lo, exec_lo, s1
	v_lshlrev_b64 v[13:14], 2, v[13:14]
	s_mov_b32 s1, exec_lo
	v_add_co_u32 v13, vcc_lo, s16, v13
	v_add_co_ci_u32_e64 v14, null, s17, v14, vcc_lo
	s_waitcnt lgkmcnt(6)
	global_store_dword v[13:14], v11, off
                                        ; implicit-def: $vgpr13_vgpr14
	v_cmpx_ge_u32_e64 v43, v16
	s_xor_b32 s1, exec_lo, s1
; %bb.81:
	v_xor_b32_e32 v13, 0xfffffeff, v0
	v_ashrrev_i32_e32 v14, 31, v13
	v_add_co_u32 v13, vcc_lo, v18, v13
	v_add_co_ci_u32_e64 v14, null, v19, v14, vcc_lo
; %bb.82:
	s_andn2_saveexec_b32 s1, s1
; %bb.83:
	v_add_co_u32 v13, vcc_lo, v15, v43
	v_add_co_ci_u32_e64 v14, null, 0, v17, vcc_lo
; %bb.84:
	s_or_b32 exec_lo, exec_lo, s1
	v_lshlrev_b64 v[13:14], 2, v[13:14]
	s_mov_b32 s1, exec_lo
	v_add_co_u32 v13, vcc_lo, s16, v13
	v_add_co_ci_u32_e64 v14, null, s17, v14, vcc_lo
	global_store_dword v[13:14], v12, off
                                        ; implicit-def: $vgpr13_vgpr14
	v_cmpx_ge_u32_e64 v42, v16
	s_xor_b32 s1, exec_lo, s1
; %bb.85:
	v_xor_b32_e32 v13, 0xfffffdff, v0
	v_ashrrev_i32_e32 v14, 31, v13
	v_add_co_u32 v13, vcc_lo, v18, v13
	v_add_co_ci_u32_e64 v14, null, v19, v14, vcc_lo
; %bb.86:
	s_andn2_saveexec_b32 s1, s1
; %bb.87:
	v_add_co_u32 v13, vcc_lo, v15, v42
	v_add_co_ci_u32_e64 v14, null, 0, v17, vcc_lo
; %bb.88:
	s_or_b32 exec_lo, exec_lo, s1
	v_lshlrev_b64 v[13:14], 2, v[13:14]
	s_mov_b32 s1, exec_lo
	v_add_co_u32 v13, vcc_lo, s16, v13
	v_add_co_ci_u32_e64 v14, null, s17, v14, vcc_lo
	s_waitcnt lgkmcnt(5)
	global_store_dword v[13:14], v9, off
                                        ; implicit-def: $vgpr13_vgpr14
	v_cmpx_ge_u32_e64 v41, v16
	s_xor_b32 s1, exec_lo, s1
; %bb.89:
	v_xor_b32_e32 v13, 0xfffffcff, v0
	v_ashrrev_i32_e32 v14, 31, v13
	v_add_co_u32 v13, vcc_lo, v18, v13
	v_add_co_ci_u32_e64 v14, null, v19, v14, vcc_lo
; %bb.90:
	s_andn2_saveexec_b32 s1, s1
; %bb.91:
	v_add_co_u32 v13, vcc_lo, v15, v41
	v_add_co_ci_u32_e64 v14, null, 0, v17, vcc_lo
; %bb.92:
	s_or_b32 exec_lo, exec_lo, s1
	v_lshlrev_b64 v[13:14], 2, v[13:14]
	s_mov_b32 s1, exec_lo
	v_add_co_u32 v13, vcc_lo, s16, v13
	v_add_co_ci_u32_e64 v14, null, s17, v14, vcc_lo
	global_store_dword v[13:14], v10, off
                                        ; implicit-def: $vgpr13_vgpr14
	v_cmpx_ge_u32_e64 v40, v16
	s_xor_b32 s1, exec_lo, s1
; %bb.93:
	v_xor_b32_e32 v13, 0xfffffbff, v0
	;; [unrolled: 41-line block ×6, first 2 shown]
	v_ashrrev_i32_e32 v14, 31, v13
	v_add_co_u32 v13, vcc_lo, v18, v13
	v_add_co_ci_u32_e64 v14, null, v19, v14, vcc_lo
; %bb.126:
	s_andn2_saveexec_b32 s1, s1
; %bb.127:
	v_add_co_u32 v13, vcc_lo, v15, v32
	v_add_co_ci_u32_e64 v14, null, 0, v17, vcc_lo
; %bb.128:
	s_or_b32 exec_lo, exec_lo, s1
	s_mov_b32 s1, -1
.LBB1831_129:
	s_and_saveexec_b32 s2, s1
	s_cbranch_execz .LBB1831_212
.LBB1831_130:
	s_waitcnt lgkmcnt(1)
	v_lshlrev_b64 v[0:1], 2, v[13:14]
	v_add_co_u32 v0, vcc_lo, s16, v0
	v_add_co_ci_u32_e64 v1, null, s17, v1, vcc_lo
	s_waitcnt lgkmcnt(0)
	global_store_dword v[0:1], v20, off
	s_or_b32 exec_lo, exec_lo, s2
	s_and_b32 s0, s0, s14
	s_and_saveexec_b32 s1, s0
	s_cbranch_execnz .LBB1831_213
.LBB1831_131:
	s_endpgm
.LBB1831_132:
	s_mov_b32 s1, 0
                                        ; implicit-def: $vgpr13_vgpr14
	s_cbranch_execz .LBB1831_129
; %bb.133:
	s_add_u32 s2, s18, s24
	s_addc_u32 s3, s19, 0
	s_sub_u32 s2, s20, s2
	s_subb_u32 s3, s21, s3
	v_add_co_u32 v13, s2, s2, v16
	v_add_co_ci_u32_e64 v14, null, s3, 0, s2
	s_mov_b32 s2, exec_lo
	v_add_co_u32 v18, vcc_lo, v13, v15
	v_add_co_ci_u32_e64 v19, null, v14, v17, vcc_lo
	v_cmpx_gt_u32_e64 s15, v0
	s_cbranch_execz .LBB1831_169
; %bb.134:
	s_mov_b32 s3, exec_lo
                                        ; implicit-def: $vgpr13_vgpr14
	v_cmpx_ge_u32_e64 v0, v16
	s_xor_b32 s3, exec_lo, s3
; %bb.135:
	v_not_b32_e32 v13, v0
	v_ashrrev_i32_e32 v14, 31, v13
	v_add_co_u32 v13, vcc_lo, v18, v13
	v_add_co_ci_u32_e64 v14, null, v19, v14, vcc_lo
; %bb.136:
	s_andn2_saveexec_b32 s3, s3
; %bb.137:
	v_add_co_u32 v13, vcc_lo, v15, v0
	v_add_co_ci_u32_e64 v14, null, 0, v17, vcc_lo
; %bb.138:
	s_or_b32 exec_lo, exec_lo, s3
	v_lshlrev_b64 v[13:14], 2, v[13:14]
	v_add_co_u32 v13, vcc_lo, s16, v13
	v_add_co_ci_u32_e64 v14, null, s17, v14, vcc_lo
	s_waitcnt lgkmcnt(6)
	global_store_dword v[13:14], v11, off
	s_or_b32 exec_lo, exec_lo, s2
	s_mov_b32 s2, exec_lo
	v_cmpx_gt_u32_e64 s15, v43
	s_cbranch_execnz .LBB1831_170
.LBB1831_139:
	s_or_b32 exec_lo, exec_lo, s2
	s_mov_b32 s2, exec_lo
	v_cmpx_gt_u32_e64 s15, v42
	s_cbranch_execz .LBB1831_175
.LBB1831_140:
	s_mov_b32 s3, exec_lo
                                        ; implicit-def: $vgpr11_vgpr12
	v_cmpx_ge_u32_e64 v42, v16
	s_xor_b32 s3, exec_lo, s3
	s_cbranch_execz .LBB1831_142
; %bb.141:
	s_waitcnt lgkmcnt(6)
	v_xor_b32_e32 v11, 0xfffffdff, v0
                                        ; implicit-def: $vgpr42
	v_ashrrev_i32_e32 v12, 31, v11
	v_add_co_u32 v11, vcc_lo, v18, v11
	v_add_co_ci_u32_e64 v12, null, v19, v12, vcc_lo
.LBB1831_142:
	s_andn2_saveexec_b32 s3, s3
	s_cbranch_execz .LBB1831_144
; %bb.143:
	s_waitcnt lgkmcnt(6)
	v_add_co_u32 v11, vcc_lo, v15, v42
	v_add_co_ci_u32_e64 v12, null, 0, v17, vcc_lo
.LBB1831_144:
	s_or_b32 exec_lo, exec_lo, s3
	s_waitcnt lgkmcnt(6)
	v_lshlrev_b64 v[11:12], 2, v[11:12]
	v_add_co_u32 v11, vcc_lo, s16, v11
	v_add_co_ci_u32_e64 v12, null, s17, v12, vcc_lo
	s_waitcnt lgkmcnt(5)
	global_store_dword v[11:12], v9, off
	s_or_b32 exec_lo, exec_lo, s2
	s_mov_b32 s2, exec_lo
	v_cmpx_gt_u32_e64 s15, v41
	s_cbranch_execnz .LBB1831_176
.LBB1831_145:
	s_or_b32 exec_lo, exec_lo, s2
	s_mov_b32 s2, exec_lo
	v_cmpx_gt_u32_e64 s15, v40
	s_cbranch_execz .LBB1831_181
.LBB1831_146:
	s_mov_b32 s3, exec_lo
                                        ; implicit-def: $vgpr9_vgpr10
	v_cmpx_ge_u32_e64 v40, v16
	s_xor_b32 s3, exec_lo, s3
	s_cbranch_execz .LBB1831_148
; %bb.147:
	s_waitcnt lgkmcnt(5)
	v_xor_b32_e32 v9, 0xfffffbff, v0
                                        ; implicit-def: $vgpr40
	v_ashrrev_i32_e32 v10, 31, v9
	v_add_co_u32 v9, vcc_lo, v18, v9
	v_add_co_ci_u32_e64 v10, null, v19, v10, vcc_lo
.LBB1831_148:
	s_andn2_saveexec_b32 s3, s3
	s_cbranch_execz .LBB1831_150
; %bb.149:
	s_waitcnt lgkmcnt(5)
	v_add_co_u32 v9, vcc_lo, v15, v40
	v_add_co_ci_u32_e64 v10, null, 0, v17, vcc_lo
.LBB1831_150:
	s_or_b32 exec_lo, exec_lo, s3
	s_waitcnt lgkmcnt(5)
	v_lshlrev_b64 v[9:10], 2, v[9:10]
	v_add_co_u32 v9, vcc_lo, s16, v9
	v_add_co_ci_u32_e64 v10, null, s17, v10, vcc_lo
	s_waitcnt lgkmcnt(4)
	global_store_dword v[9:10], v7, off
	s_or_b32 exec_lo, exec_lo, s2
	s_mov_b32 s2, exec_lo
	v_cmpx_gt_u32_e64 s15, v39
	s_cbranch_execnz .LBB1831_182
.LBB1831_151:
	s_or_b32 exec_lo, exec_lo, s2
	s_mov_b32 s2, exec_lo
	v_cmpx_gt_u32_e64 s15, v38
	s_cbranch_execz .LBB1831_187
.LBB1831_152:
	s_mov_b32 s3, exec_lo
                                        ; implicit-def: $vgpr7_vgpr8
	v_cmpx_ge_u32_e64 v38, v16
	s_xor_b32 s3, exec_lo, s3
	s_cbranch_execz .LBB1831_154
; %bb.153:
	s_waitcnt lgkmcnt(4)
	v_xor_b32_e32 v7, 0xfffff9ff, v0
                                        ; implicit-def: $vgpr38
	v_ashrrev_i32_e32 v8, 31, v7
	v_add_co_u32 v7, vcc_lo, v18, v7
	v_add_co_ci_u32_e64 v8, null, v19, v8, vcc_lo
.LBB1831_154:
	s_andn2_saveexec_b32 s3, s3
	s_cbranch_execz .LBB1831_156
; %bb.155:
	s_waitcnt lgkmcnt(4)
	v_add_co_u32 v7, vcc_lo, v15, v38
	v_add_co_ci_u32_e64 v8, null, 0, v17, vcc_lo
.LBB1831_156:
	s_or_b32 exec_lo, exec_lo, s3
	s_waitcnt lgkmcnt(4)
	v_lshlrev_b64 v[7:8], 2, v[7:8]
	v_add_co_u32 v7, vcc_lo, s16, v7
	v_add_co_ci_u32_e64 v8, null, s17, v8, vcc_lo
	s_waitcnt lgkmcnt(3)
	global_store_dword v[7:8], v5, off
	s_or_b32 exec_lo, exec_lo, s2
	s_mov_b32 s2, exec_lo
	v_cmpx_gt_u32_e64 s15, v37
	s_cbranch_execnz .LBB1831_188
.LBB1831_157:
	s_or_b32 exec_lo, exec_lo, s2
	s_mov_b32 s2, exec_lo
	v_cmpx_gt_u32_e64 s15, v36
	s_cbranch_execz .LBB1831_193
.LBB1831_158:
	s_mov_b32 s3, exec_lo
                                        ; implicit-def: $vgpr5_vgpr6
	v_cmpx_ge_u32_e64 v36, v16
	s_xor_b32 s3, exec_lo, s3
	s_cbranch_execz .LBB1831_160
; %bb.159:
	s_waitcnt lgkmcnt(3)
	v_xor_b32_e32 v5, 0xfffff7ff, v0
                                        ; implicit-def: $vgpr36
	v_ashrrev_i32_e32 v6, 31, v5
	v_add_co_u32 v5, vcc_lo, v18, v5
	v_add_co_ci_u32_e64 v6, null, v19, v6, vcc_lo
.LBB1831_160:
	s_andn2_saveexec_b32 s3, s3
	s_cbranch_execz .LBB1831_162
; %bb.161:
	s_waitcnt lgkmcnt(3)
	v_add_co_u32 v5, vcc_lo, v15, v36
	v_add_co_ci_u32_e64 v6, null, 0, v17, vcc_lo
.LBB1831_162:
	s_or_b32 exec_lo, exec_lo, s3
	s_waitcnt lgkmcnt(3)
	v_lshlrev_b64 v[5:6], 2, v[5:6]
	v_add_co_u32 v5, vcc_lo, s16, v5
	v_add_co_ci_u32_e64 v6, null, s17, v6, vcc_lo
	s_waitcnt lgkmcnt(2)
	global_store_dword v[5:6], v3, off
	s_or_b32 exec_lo, exec_lo, s2
	s_mov_b32 s2, exec_lo
	v_cmpx_gt_u32_e64 s15, v35
	s_cbranch_execnz .LBB1831_194
.LBB1831_163:
	s_or_b32 exec_lo, exec_lo, s2
	s_mov_b32 s2, exec_lo
	v_cmpx_gt_u32_e64 s15, v34
	s_cbranch_execz .LBB1831_199
.LBB1831_164:
	s_mov_b32 s3, exec_lo
                                        ; implicit-def: $vgpr3_vgpr4
	v_cmpx_ge_u32_e64 v34, v16
	s_xor_b32 s3, exec_lo, s3
	s_cbranch_execz .LBB1831_166
; %bb.165:
	s_waitcnt lgkmcnt(2)
	v_xor_b32_e32 v3, 0xfffff5ff, v0
                                        ; implicit-def: $vgpr34
	v_ashrrev_i32_e32 v4, 31, v3
	v_add_co_u32 v3, vcc_lo, v18, v3
	v_add_co_ci_u32_e64 v4, null, v19, v4, vcc_lo
.LBB1831_166:
	s_andn2_saveexec_b32 s3, s3
	s_cbranch_execz .LBB1831_168
; %bb.167:
	s_waitcnt lgkmcnt(2)
	v_add_co_u32 v3, vcc_lo, v15, v34
	v_add_co_ci_u32_e64 v4, null, 0, v17, vcc_lo
.LBB1831_168:
	s_or_b32 exec_lo, exec_lo, s3
	s_waitcnt lgkmcnt(2)
	v_lshlrev_b64 v[3:4], 2, v[3:4]
	v_add_co_u32 v3, vcc_lo, s16, v3
	v_add_co_ci_u32_e64 v4, null, s17, v4, vcc_lo
	s_waitcnt lgkmcnt(1)
	global_store_dword v[3:4], v1, off
	s_or_b32 exec_lo, exec_lo, s2
	s_mov_b32 s2, exec_lo
	v_cmpx_gt_u32_e64 s15, v33
	s_cbranch_execz .LBB1831_205
	s_branch .LBB1831_200
.LBB1831_169:
	s_or_b32 exec_lo, exec_lo, s2
	s_mov_b32 s2, exec_lo
	v_cmpx_gt_u32_e64 s15, v43
	s_cbranch_execz .LBB1831_139
.LBB1831_170:
	s_mov_b32 s3, exec_lo
                                        ; implicit-def: $vgpr13_vgpr14
	v_cmpx_ge_u32_e64 v43, v16
	s_xor_b32 s3, exec_lo, s3
	s_cbranch_execz .LBB1831_172
; %bb.171:
	s_waitcnt lgkmcnt(6)
	v_xor_b32_e32 v11, 0xfffffeff, v0
                                        ; implicit-def: $vgpr43
	v_ashrrev_i32_e32 v14, 31, v11
	v_add_co_u32 v13, vcc_lo, v18, v11
	v_add_co_ci_u32_e64 v14, null, v19, v14, vcc_lo
.LBB1831_172:
	s_andn2_saveexec_b32 s3, s3
; %bb.173:
	v_add_co_u32 v13, vcc_lo, v15, v43
	v_add_co_ci_u32_e64 v14, null, 0, v17, vcc_lo
; %bb.174:
	s_or_b32 exec_lo, exec_lo, s3
	v_lshlrev_b64 v[13:14], 2, v[13:14]
	v_add_co_u32 v13, vcc_lo, s16, v13
	v_add_co_ci_u32_e64 v14, null, s17, v14, vcc_lo
	s_waitcnt lgkmcnt(6)
	global_store_dword v[13:14], v12, off
	s_or_b32 exec_lo, exec_lo, s2
	s_mov_b32 s2, exec_lo
	v_cmpx_gt_u32_e64 s15, v42
	s_cbranch_execnz .LBB1831_140
.LBB1831_175:
	s_or_b32 exec_lo, exec_lo, s2
	s_mov_b32 s2, exec_lo
	v_cmpx_gt_u32_e64 s15, v41
	s_cbranch_execz .LBB1831_145
.LBB1831_176:
	s_mov_b32 s3, exec_lo
                                        ; implicit-def: $vgpr11_vgpr12
	v_cmpx_ge_u32_e64 v41, v16
	s_xor_b32 s3, exec_lo, s3
	s_cbranch_execz .LBB1831_178
; %bb.177:
	s_waitcnt lgkmcnt(5)
	v_xor_b32_e32 v9, 0xfffffcff, v0
                                        ; implicit-def: $vgpr41
	v_ashrrev_i32_e32 v12, 31, v9
	v_add_co_u32 v11, vcc_lo, v18, v9
	v_add_co_ci_u32_e64 v12, null, v19, v12, vcc_lo
.LBB1831_178:
	s_andn2_saveexec_b32 s3, s3
	s_cbranch_execz .LBB1831_180
; %bb.179:
	s_waitcnt lgkmcnt(6)
	v_add_co_u32 v11, vcc_lo, v15, v41
	v_add_co_ci_u32_e64 v12, null, 0, v17, vcc_lo
.LBB1831_180:
	s_or_b32 exec_lo, exec_lo, s3
	s_waitcnt lgkmcnt(6)
	v_lshlrev_b64 v[11:12], 2, v[11:12]
	v_add_co_u32 v11, vcc_lo, s16, v11
	v_add_co_ci_u32_e64 v12, null, s17, v12, vcc_lo
	s_waitcnt lgkmcnt(5)
	global_store_dword v[11:12], v10, off
	s_or_b32 exec_lo, exec_lo, s2
	s_mov_b32 s2, exec_lo
	v_cmpx_gt_u32_e64 s15, v40
	s_cbranch_execnz .LBB1831_146
.LBB1831_181:
	s_or_b32 exec_lo, exec_lo, s2
	s_mov_b32 s2, exec_lo
	v_cmpx_gt_u32_e64 s15, v39
	s_cbranch_execz .LBB1831_151
.LBB1831_182:
	s_mov_b32 s3, exec_lo
                                        ; implicit-def: $vgpr9_vgpr10
	v_cmpx_ge_u32_e64 v39, v16
	s_xor_b32 s3, exec_lo, s3
	s_cbranch_execz .LBB1831_184
; %bb.183:
	s_waitcnt lgkmcnt(4)
	v_xor_b32_e32 v7, 0xfffffaff, v0
                                        ; implicit-def: $vgpr39
	v_ashrrev_i32_e32 v10, 31, v7
	v_add_co_u32 v9, vcc_lo, v18, v7
	v_add_co_ci_u32_e64 v10, null, v19, v10, vcc_lo
.LBB1831_184:
	s_andn2_saveexec_b32 s3, s3
	s_cbranch_execz .LBB1831_186
; %bb.185:
	s_waitcnt lgkmcnt(5)
	v_add_co_u32 v9, vcc_lo, v15, v39
	v_add_co_ci_u32_e64 v10, null, 0, v17, vcc_lo
.LBB1831_186:
	s_or_b32 exec_lo, exec_lo, s3
	s_waitcnt lgkmcnt(5)
	v_lshlrev_b64 v[9:10], 2, v[9:10]
	v_add_co_u32 v9, vcc_lo, s16, v9
	v_add_co_ci_u32_e64 v10, null, s17, v10, vcc_lo
	s_waitcnt lgkmcnt(4)
	global_store_dword v[9:10], v8, off
	s_or_b32 exec_lo, exec_lo, s2
	s_mov_b32 s2, exec_lo
	v_cmpx_gt_u32_e64 s15, v38
	s_cbranch_execnz .LBB1831_152
.LBB1831_187:
	s_or_b32 exec_lo, exec_lo, s2
	s_mov_b32 s2, exec_lo
	v_cmpx_gt_u32_e64 s15, v37
	s_cbranch_execz .LBB1831_157
.LBB1831_188:
	s_mov_b32 s3, exec_lo
                                        ; implicit-def: $vgpr7_vgpr8
	v_cmpx_ge_u32_e64 v37, v16
	s_xor_b32 s3, exec_lo, s3
	s_cbranch_execz .LBB1831_190
; %bb.189:
	s_waitcnt lgkmcnt(3)
	v_xor_b32_e32 v5, 0xfffff8ff, v0
                                        ; implicit-def: $vgpr37
	v_ashrrev_i32_e32 v8, 31, v5
	v_add_co_u32 v7, vcc_lo, v18, v5
	v_add_co_ci_u32_e64 v8, null, v19, v8, vcc_lo
.LBB1831_190:
	s_andn2_saveexec_b32 s3, s3
	s_cbranch_execz .LBB1831_192
; %bb.191:
	s_waitcnt lgkmcnt(4)
	v_add_co_u32 v7, vcc_lo, v15, v37
	v_add_co_ci_u32_e64 v8, null, 0, v17, vcc_lo
.LBB1831_192:
	s_or_b32 exec_lo, exec_lo, s3
	s_waitcnt lgkmcnt(4)
	v_lshlrev_b64 v[7:8], 2, v[7:8]
	v_add_co_u32 v7, vcc_lo, s16, v7
	v_add_co_ci_u32_e64 v8, null, s17, v8, vcc_lo
	s_waitcnt lgkmcnt(3)
	global_store_dword v[7:8], v6, off
	s_or_b32 exec_lo, exec_lo, s2
	s_mov_b32 s2, exec_lo
	v_cmpx_gt_u32_e64 s15, v36
	s_cbranch_execnz .LBB1831_158
.LBB1831_193:
	s_or_b32 exec_lo, exec_lo, s2
	s_mov_b32 s2, exec_lo
	v_cmpx_gt_u32_e64 s15, v35
	s_cbranch_execz .LBB1831_163
.LBB1831_194:
	s_mov_b32 s3, exec_lo
                                        ; implicit-def: $vgpr5_vgpr6
	v_cmpx_ge_u32_e64 v35, v16
	s_xor_b32 s3, exec_lo, s3
	s_cbranch_execz .LBB1831_196
; %bb.195:
	s_waitcnt lgkmcnt(2)
	v_xor_b32_e32 v3, 0xfffff6ff, v0
                                        ; implicit-def: $vgpr35
	v_ashrrev_i32_e32 v6, 31, v3
	v_add_co_u32 v5, vcc_lo, v18, v3
	v_add_co_ci_u32_e64 v6, null, v19, v6, vcc_lo
.LBB1831_196:
	s_andn2_saveexec_b32 s3, s3
	s_cbranch_execz .LBB1831_198
; %bb.197:
	s_waitcnt lgkmcnt(3)
	v_add_co_u32 v5, vcc_lo, v15, v35
	v_add_co_ci_u32_e64 v6, null, 0, v17, vcc_lo
.LBB1831_198:
	s_or_b32 exec_lo, exec_lo, s3
	s_waitcnt lgkmcnt(3)
	v_lshlrev_b64 v[5:6], 2, v[5:6]
	v_add_co_u32 v5, vcc_lo, s16, v5
	v_add_co_ci_u32_e64 v6, null, s17, v6, vcc_lo
	s_waitcnt lgkmcnt(2)
	global_store_dword v[5:6], v4, off
	s_or_b32 exec_lo, exec_lo, s2
	s_mov_b32 s2, exec_lo
	v_cmpx_gt_u32_e64 s15, v34
	s_cbranch_execnz .LBB1831_164
.LBB1831_199:
	s_or_b32 exec_lo, exec_lo, s2
	s_mov_b32 s2, exec_lo
	v_cmpx_gt_u32_e64 s15, v33
	s_cbranch_execz .LBB1831_205
.LBB1831_200:
	s_mov_b32 s3, exec_lo
                                        ; implicit-def: $vgpr3_vgpr4
	v_cmpx_ge_u32_e64 v33, v16
	s_xor_b32 s3, exec_lo, s3
	s_cbranch_execz .LBB1831_202
; %bb.201:
	s_waitcnt lgkmcnt(1)
	v_xor_b32_e32 v1, 0xfffff4ff, v0
                                        ; implicit-def: $vgpr33
	v_ashrrev_i32_e32 v4, 31, v1
	v_add_co_u32 v3, vcc_lo, v18, v1
	v_add_co_ci_u32_e64 v4, null, v19, v4, vcc_lo
.LBB1831_202:
	s_andn2_saveexec_b32 s3, s3
	s_cbranch_execz .LBB1831_204
; %bb.203:
	s_waitcnt lgkmcnt(2)
	v_add_co_u32 v3, vcc_lo, v15, v33
	v_add_co_ci_u32_e64 v4, null, 0, v17, vcc_lo
.LBB1831_204:
	s_or_b32 exec_lo, exec_lo, s3
	s_waitcnt lgkmcnt(2)
	v_lshlrev_b64 v[3:4], 2, v[3:4]
	v_add_co_u32 v3, vcc_lo, s16, v3
	v_add_co_ci_u32_e64 v4, null, s17, v4, vcc_lo
	s_waitcnt lgkmcnt(1)
	global_store_dword v[3:4], v2, off
.LBB1831_205:
	s_or_b32 exec_lo, exec_lo, s2
	s_mov_b32 s2, exec_lo
                                        ; implicit-def: $vgpr13_vgpr14
	v_cmpx_gt_u32_e64 s15, v32
	s_cbranch_execz .LBB1831_211
; %bb.206:
	s_mov_b32 s3, exec_lo
                                        ; implicit-def: $vgpr13_vgpr14
	v_cmpx_ge_u32_e64 v32, v16
	s_xor_b32 s3, exec_lo, s3
	s_cbranch_execz .LBB1831_208
; %bb.207:
	v_xor_b32_e32 v0, 0xfffff3ff, v0
                                        ; implicit-def: $vgpr32
	s_waitcnt lgkmcnt(1)
	v_ashrrev_i32_e32 v1, 31, v0
	v_add_co_u32 v13, vcc_lo, v18, v0
	v_add_co_ci_u32_e64 v14, null, v19, v1, vcc_lo
.LBB1831_208:
	s_andn2_saveexec_b32 s3, s3
; %bb.209:
	v_add_co_u32 v13, vcc_lo, v15, v32
	v_add_co_ci_u32_e64 v14, null, 0, v17, vcc_lo
; %bb.210:
	s_or_b32 exec_lo, exec_lo, s3
	s_or_b32 s1, s1, exec_lo
.LBB1831_211:
	s_or_b32 exec_lo, exec_lo, s2
	s_and_saveexec_b32 s2, s1
	s_cbranch_execnz .LBB1831_130
.LBB1831_212:
	s_or_b32 exec_lo, exec_lo, s2
	s_and_b32 s0, s0, s14
	s_and_saveexec_b32 s1, s0
	s_cbranch_execz .LBB1831_131
.LBB1831_213:
	v_add_co_u32 v0, vcc_lo, v15, v16
	s_waitcnt lgkmcnt(1)
	v_mov_b32_e32 v2, 0
	v_add_co_ci_u32_e64 v1, null, 0, v17, vcc_lo
	global_store_dwordx2 v2, v[0:1], s[12:13]
	s_endpgm
	.section	.rodata,"a",@progbits
	.p2align	6, 0x0
	.amdhsa_kernel _ZN7rocprim17ROCPRIM_400000_NS6detail17trampoline_kernelINS0_13select_configILj256ELj13ELNS0_17block_load_methodE3ELS4_3ELS4_3ELNS0_20block_scan_algorithmE0ELj4294967295EEENS1_25partition_config_selectorILNS1_17partition_subalgoE3EjNS0_10empty_typeEbEEZZNS1_14partition_implILS8_3ELb0ES6_jNS0_17counting_iteratorIjlEEPS9_SE_NS0_5tupleIJPjSE_EEENSF_IJSE_SE_EEES9_SG_JZNS1_25segmented_radix_sort_implINS0_14default_configELb0EPK6__halfPSL_PKlPlN2at6native12_GLOBAL__N_18offset_tEEE10hipError_tPvRmT1_PNSt15iterator_traitsISZ_E10value_typeET2_T3_PNS10_IS15_E10value_typeET4_jRbjT5_S1B_jjP12ihipStream_tbEUljE_EEESW_SX_SY_S15_S19_S1B_T6_T7_T9_mT8_S1D_bDpT10_ENKUlT_T0_E_clISt17integral_constantIbLb0EES1P_IbLb1EEEEDaS1L_S1M_EUlS1L_E_NS1_11comp_targetILNS1_3genE8ELNS1_11target_archE1030ELNS1_3gpuE2ELNS1_3repE0EEENS1_30default_config_static_selectorELNS0_4arch9wavefront6targetE0EEEvSZ_
		.amdhsa_group_segment_fixed_size 13320
		.amdhsa_private_segment_fixed_size 0
		.amdhsa_kernarg_size 152
		.amdhsa_user_sgpr_count 6
		.amdhsa_user_sgpr_private_segment_buffer 1
		.amdhsa_user_sgpr_dispatch_ptr 0
		.amdhsa_user_sgpr_queue_ptr 0
		.amdhsa_user_sgpr_kernarg_segment_ptr 1
		.amdhsa_user_sgpr_dispatch_id 0
		.amdhsa_user_sgpr_flat_scratch_init 0
		.amdhsa_user_sgpr_private_segment_size 0
		.amdhsa_wavefront_size32 1
		.amdhsa_uses_dynamic_stack 0
		.amdhsa_system_sgpr_private_segment_wavefront_offset 0
		.amdhsa_system_sgpr_workgroup_id_x 1
		.amdhsa_system_sgpr_workgroup_id_y 0
		.amdhsa_system_sgpr_workgroup_id_z 0
		.amdhsa_system_sgpr_workgroup_info 0
		.amdhsa_system_vgpr_workitem_id 0
		.amdhsa_next_free_vgpr 71
		.amdhsa_next_free_sgpr 26
		.amdhsa_reserve_vcc 1
		.amdhsa_reserve_flat_scratch 0
		.amdhsa_float_round_mode_32 0
		.amdhsa_float_round_mode_16_64 0
		.amdhsa_float_denorm_mode_32 3
		.amdhsa_float_denorm_mode_16_64 3
		.amdhsa_dx10_clamp 1
		.amdhsa_ieee_mode 1
		.amdhsa_fp16_overflow 0
		.amdhsa_workgroup_processor_mode 1
		.amdhsa_memory_ordered 1
		.amdhsa_forward_progress 1
		.amdhsa_shared_vgpr_count 0
		.amdhsa_exception_fp_ieee_invalid_op 0
		.amdhsa_exception_fp_denorm_src 0
		.amdhsa_exception_fp_ieee_div_zero 0
		.amdhsa_exception_fp_ieee_overflow 0
		.amdhsa_exception_fp_ieee_underflow 0
		.amdhsa_exception_fp_ieee_inexact 0
		.amdhsa_exception_int_div_zero 0
	.end_amdhsa_kernel
	.section	.text._ZN7rocprim17ROCPRIM_400000_NS6detail17trampoline_kernelINS0_13select_configILj256ELj13ELNS0_17block_load_methodE3ELS4_3ELS4_3ELNS0_20block_scan_algorithmE0ELj4294967295EEENS1_25partition_config_selectorILNS1_17partition_subalgoE3EjNS0_10empty_typeEbEEZZNS1_14partition_implILS8_3ELb0ES6_jNS0_17counting_iteratorIjlEEPS9_SE_NS0_5tupleIJPjSE_EEENSF_IJSE_SE_EEES9_SG_JZNS1_25segmented_radix_sort_implINS0_14default_configELb0EPK6__halfPSL_PKlPlN2at6native12_GLOBAL__N_18offset_tEEE10hipError_tPvRmT1_PNSt15iterator_traitsISZ_E10value_typeET2_T3_PNS10_IS15_E10value_typeET4_jRbjT5_S1B_jjP12ihipStream_tbEUljE_EEESW_SX_SY_S15_S19_S1B_T6_T7_T9_mT8_S1D_bDpT10_ENKUlT_T0_E_clISt17integral_constantIbLb0EES1P_IbLb1EEEEDaS1L_S1M_EUlS1L_E_NS1_11comp_targetILNS1_3genE8ELNS1_11target_archE1030ELNS1_3gpuE2ELNS1_3repE0EEENS1_30default_config_static_selectorELNS0_4arch9wavefront6targetE0EEEvSZ_,"axG",@progbits,_ZN7rocprim17ROCPRIM_400000_NS6detail17trampoline_kernelINS0_13select_configILj256ELj13ELNS0_17block_load_methodE3ELS4_3ELS4_3ELNS0_20block_scan_algorithmE0ELj4294967295EEENS1_25partition_config_selectorILNS1_17partition_subalgoE3EjNS0_10empty_typeEbEEZZNS1_14partition_implILS8_3ELb0ES6_jNS0_17counting_iteratorIjlEEPS9_SE_NS0_5tupleIJPjSE_EEENSF_IJSE_SE_EEES9_SG_JZNS1_25segmented_radix_sort_implINS0_14default_configELb0EPK6__halfPSL_PKlPlN2at6native12_GLOBAL__N_18offset_tEEE10hipError_tPvRmT1_PNSt15iterator_traitsISZ_E10value_typeET2_T3_PNS10_IS15_E10value_typeET4_jRbjT5_S1B_jjP12ihipStream_tbEUljE_EEESW_SX_SY_S15_S19_S1B_T6_T7_T9_mT8_S1D_bDpT10_ENKUlT_T0_E_clISt17integral_constantIbLb0EES1P_IbLb1EEEEDaS1L_S1M_EUlS1L_E_NS1_11comp_targetILNS1_3genE8ELNS1_11target_archE1030ELNS1_3gpuE2ELNS1_3repE0EEENS1_30default_config_static_selectorELNS0_4arch9wavefront6targetE0EEEvSZ_,comdat
.Lfunc_end1831:
	.size	_ZN7rocprim17ROCPRIM_400000_NS6detail17trampoline_kernelINS0_13select_configILj256ELj13ELNS0_17block_load_methodE3ELS4_3ELS4_3ELNS0_20block_scan_algorithmE0ELj4294967295EEENS1_25partition_config_selectorILNS1_17partition_subalgoE3EjNS0_10empty_typeEbEEZZNS1_14partition_implILS8_3ELb0ES6_jNS0_17counting_iteratorIjlEEPS9_SE_NS0_5tupleIJPjSE_EEENSF_IJSE_SE_EEES9_SG_JZNS1_25segmented_radix_sort_implINS0_14default_configELb0EPK6__halfPSL_PKlPlN2at6native12_GLOBAL__N_18offset_tEEE10hipError_tPvRmT1_PNSt15iterator_traitsISZ_E10value_typeET2_T3_PNS10_IS15_E10value_typeET4_jRbjT5_S1B_jjP12ihipStream_tbEUljE_EEESW_SX_SY_S15_S19_S1B_T6_T7_T9_mT8_S1D_bDpT10_ENKUlT_T0_E_clISt17integral_constantIbLb0EES1P_IbLb1EEEEDaS1L_S1M_EUlS1L_E_NS1_11comp_targetILNS1_3genE8ELNS1_11target_archE1030ELNS1_3gpuE2ELNS1_3repE0EEENS1_30default_config_static_selectorELNS0_4arch9wavefront6targetE0EEEvSZ_, .Lfunc_end1831-_ZN7rocprim17ROCPRIM_400000_NS6detail17trampoline_kernelINS0_13select_configILj256ELj13ELNS0_17block_load_methodE3ELS4_3ELS4_3ELNS0_20block_scan_algorithmE0ELj4294967295EEENS1_25partition_config_selectorILNS1_17partition_subalgoE3EjNS0_10empty_typeEbEEZZNS1_14partition_implILS8_3ELb0ES6_jNS0_17counting_iteratorIjlEEPS9_SE_NS0_5tupleIJPjSE_EEENSF_IJSE_SE_EEES9_SG_JZNS1_25segmented_radix_sort_implINS0_14default_configELb0EPK6__halfPSL_PKlPlN2at6native12_GLOBAL__N_18offset_tEEE10hipError_tPvRmT1_PNSt15iterator_traitsISZ_E10value_typeET2_T3_PNS10_IS15_E10value_typeET4_jRbjT5_S1B_jjP12ihipStream_tbEUljE_EEESW_SX_SY_S15_S19_S1B_T6_T7_T9_mT8_S1D_bDpT10_ENKUlT_T0_E_clISt17integral_constantIbLb0EES1P_IbLb1EEEEDaS1L_S1M_EUlS1L_E_NS1_11comp_targetILNS1_3genE8ELNS1_11target_archE1030ELNS1_3gpuE2ELNS1_3repE0EEENS1_30default_config_static_selectorELNS0_4arch9wavefront6targetE0EEEvSZ_
                                        ; -- End function
	.set _ZN7rocprim17ROCPRIM_400000_NS6detail17trampoline_kernelINS0_13select_configILj256ELj13ELNS0_17block_load_methodE3ELS4_3ELS4_3ELNS0_20block_scan_algorithmE0ELj4294967295EEENS1_25partition_config_selectorILNS1_17partition_subalgoE3EjNS0_10empty_typeEbEEZZNS1_14partition_implILS8_3ELb0ES6_jNS0_17counting_iteratorIjlEEPS9_SE_NS0_5tupleIJPjSE_EEENSF_IJSE_SE_EEES9_SG_JZNS1_25segmented_radix_sort_implINS0_14default_configELb0EPK6__halfPSL_PKlPlN2at6native12_GLOBAL__N_18offset_tEEE10hipError_tPvRmT1_PNSt15iterator_traitsISZ_E10value_typeET2_T3_PNS10_IS15_E10value_typeET4_jRbjT5_S1B_jjP12ihipStream_tbEUljE_EEESW_SX_SY_S15_S19_S1B_T6_T7_T9_mT8_S1D_bDpT10_ENKUlT_T0_E_clISt17integral_constantIbLb0EES1P_IbLb1EEEEDaS1L_S1M_EUlS1L_E_NS1_11comp_targetILNS1_3genE8ELNS1_11target_archE1030ELNS1_3gpuE2ELNS1_3repE0EEENS1_30default_config_static_selectorELNS0_4arch9wavefront6targetE0EEEvSZ_.num_vgpr, 71
	.set _ZN7rocprim17ROCPRIM_400000_NS6detail17trampoline_kernelINS0_13select_configILj256ELj13ELNS0_17block_load_methodE3ELS4_3ELS4_3ELNS0_20block_scan_algorithmE0ELj4294967295EEENS1_25partition_config_selectorILNS1_17partition_subalgoE3EjNS0_10empty_typeEbEEZZNS1_14partition_implILS8_3ELb0ES6_jNS0_17counting_iteratorIjlEEPS9_SE_NS0_5tupleIJPjSE_EEENSF_IJSE_SE_EEES9_SG_JZNS1_25segmented_radix_sort_implINS0_14default_configELb0EPK6__halfPSL_PKlPlN2at6native12_GLOBAL__N_18offset_tEEE10hipError_tPvRmT1_PNSt15iterator_traitsISZ_E10value_typeET2_T3_PNS10_IS15_E10value_typeET4_jRbjT5_S1B_jjP12ihipStream_tbEUljE_EEESW_SX_SY_S15_S19_S1B_T6_T7_T9_mT8_S1D_bDpT10_ENKUlT_T0_E_clISt17integral_constantIbLb0EES1P_IbLb1EEEEDaS1L_S1M_EUlS1L_E_NS1_11comp_targetILNS1_3genE8ELNS1_11target_archE1030ELNS1_3gpuE2ELNS1_3repE0EEENS1_30default_config_static_selectorELNS0_4arch9wavefront6targetE0EEEvSZ_.num_agpr, 0
	.set _ZN7rocprim17ROCPRIM_400000_NS6detail17trampoline_kernelINS0_13select_configILj256ELj13ELNS0_17block_load_methodE3ELS4_3ELS4_3ELNS0_20block_scan_algorithmE0ELj4294967295EEENS1_25partition_config_selectorILNS1_17partition_subalgoE3EjNS0_10empty_typeEbEEZZNS1_14partition_implILS8_3ELb0ES6_jNS0_17counting_iteratorIjlEEPS9_SE_NS0_5tupleIJPjSE_EEENSF_IJSE_SE_EEES9_SG_JZNS1_25segmented_radix_sort_implINS0_14default_configELb0EPK6__halfPSL_PKlPlN2at6native12_GLOBAL__N_18offset_tEEE10hipError_tPvRmT1_PNSt15iterator_traitsISZ_E10value_typeET2_T3_PNS10_IS15_E10value_typeET4_jRbjT5_S1B_jjP12ihipStream_tbEUljE_EEESW_SX_SY_S15_S19_S1B_T6_T7_T9_mT8_S1D_bDpT10_ENKUlT_T0_E_clISt17integral_constantIbLb0EES1P_IbLb1EEEEDaS1L_S1M_EUlS1L_E_NS1_11comp_targetILNS1_3genE8ELNS1_11target_archE1030ELNS1_3gpuE2ELNS1_3repE0EEENS1_30default_config_static_selectorELNS0_4arch9wavefront6targetE0EEEvSZ_.numbered_sgpr, 26
	.set _ZN7rocprim17ROCPRIM_400000_NS6detail17trampoline_kernelINS0_13select_configILj256ELj13ELNS0_17block_load_methodE3ELS4_3ELS4_3ELNS0_20block_scan_algorithmE0ELj4294967295EEENS1_25partition_config_selectorILNS1_17partition_subalgoE3EjNS0_10empty_typeEbEEZZNS1_14partition_implILS8_3ELb0ES6_jNS0_17counting_iteratorIjlEEPS9_SE_NS0_5tupleIJPjSE_EEENSF_IJSE_SE_EEES9_SG_JZNS1_25segmented_radix_sort_implINS0_14default_configELb0EPK6__halfPSL_PKlPlN2at6native12_GLOBAL__N_18offset_tEEE10hipError_tPvRmT1_PNSt15iterator_traitsISZ_E10value_typeET2_T3_PNS10_IS15_E10value_typeET4_jRbjT5_S1B_jjP12ihipStream_tbEUljE_EEESW_SX_SY_S15_S19_S1B_T6_T7_T9_mT8_S1D_bDpT10_ENKUlT_T0_E_clISt17integral_constantIbLb0EES1P_IbLb1EEEEDaS1L_S1M_EUlS1L_E_NS1_11comp_targetILNS1_3genE8ELNS1_11target_archE1030ELNS1_3gpuE2ELNS1_3repE0EEENS1_30default_config_static_selectorELNS0_4arch9wavefront6targetE0EEEvSZ_.num_named_barrier, 0
	.set _ZN7rocprim17ROCPRIM_400000_NS6detail17trampoline_kernelINS0_13select_configILj256ELj13ELNS0_17block_load_methodE3ELS4_3ELS4_3ELNS0_20block_scan_algorithmE0ELj4294967295EEENS1_25partition_config_selectorILNS1_17partition_subalgoE3EjNS0_10empty_typeEbEEZZNS1_14partition_implILS8_3ELb0ES6_jNS0_17counting_iteratorIjlEEPS9_SE_NS0_5tupleIJPjSE_EEENSF_IJSE_SE_EEES9_SG_JZNS1_25segmented_radix_sort_implINS0_14default_configELb0EPK6__halfPSL_PKlPlN2at6native12_GLOBAL__N_18offset_tEEE10hipError_tPvRmT1_PNSt15iterator_traitsISZ_E10value_typeET2_T3_PNS10_IS15_E10value_typeET4_jRbjT5_S1B_jjP12ihipStream_tbEUljE_EEESW_SX_SY_S15_S19_S1B_T6_T7_T9_mT8_S1D_bDpT10_ENKUlT_T0_E_clISt17integral_constantIbLb0EES1P_IbLb1EEEEDaS1L_S1M_EUlS1L_E_NS1_11comp_targetILNS1_3genE8ELNS1_11target_archE1030ELNS1_3gpuE2ELNS1_3repE0EEENS1_30default_config_static_selectorELNS0_4arch9wavefront6targetE0EEEvSZ_.private_seg_size, 0
	.set _ZN7rocprim17ROCPRIM_400000_NS6detail17trampoline_kernelINS0_13select_configILj256ELj13ELNS0_17block_load_methodE3ELS4_3ELS4_3ELNS0_20block_scan_algorithmE0ELj4294967295EEENS1_25partition_config_selectorILNS1_17partition_subalgoE3EjNS0_10empty_typeEbEEZZNS1_14partition_implILS8_3ELb0ES6_jNS0_17counting_iteratorIjlEEPS9_SE_NS0_5tupleIJPjSE_EEENSF_IJSE_SE_EEES9_SG_JZNS1_25segmented_radix_sort_implINS0_14default_configELb0EPK6__halfPSL_PKlPlN2at6native12_GLOBAL__N_18offset_tEEE10hipError_tPvRmT1_PNSt15iterator_traitsISZ_E10value_typeET2_T3_PNS10_IS15_E10value_typeET4_jRbjT5_S1B_jjP12ihipStream_tbEUljE_EEESW_SX_SY_S15_S19_S1B_T6_T7_T9_mT8_S1D_bDpT10_ENKUlT_T0_E_clISt17integral_constantIbLb0EES1P_IbLb1EEEEDaS1L_S1M_EUlS1L_E_NS1_11comp_targetILNS1_3genE8ELNS1_11target_archE1030ELNS1_3gpuE2ELNS1_3repE0EEENS1_30default_config_static_selectorELNS0_4arch9wavefront6targetE0EEEvSZ_.uses_vcc, 1
	.set _ZN7rocprim17ROCPRIM_400000_NS6detail17trampoline_kernelINS0_13select_configILj256ELj13ELNS0_17block_load_methodE3ELS4_3ELS4_3ELNS0_20block_scan_algorithmE0ELj4294967295EEENS1_25partition_config_selectorILNS1_17partition_subalgoE3EjNS0_10empty_typeEbEEZZNS1_14partition_implILS8_3ELb0ES6_jNS0_17counting_iteratorIjlEEPS9_SE_NS0_5tupleIJPjSE_EEENSF_IJSE_SE_EEES9_SG_JZNS1_25segmented_radix_sort_implINS0_14default_configELb0EPK6__halfPSL_PKlPlN2at6native12_GLOBAL__N_18offset_tEEE10hipError_tPvRmT1_PNSt15iterator_traitsISZ_E10value_typeET2_T3_PNS10_IS15_E10value_typeET4_jRbjT5_S1B_jjP12ihipStream_tbEUljE_EEESW_SX_SY_S15_S19_S1B_T6_T7_T9_mT8_S1D_bDpT10_ENKUlT_T0_E_clISt17integral_constantIbLb0EES1P_IbLb1EEEEDaS1L_S1M_EUlS1L_E_NS1_11comp_targetILNS1_3genE8ELNS1_11target_archE1030ELNS1_3gpuE2ELNS1_3repE0EEENS1_30default_config_static_selectorELNS0_4arch9wavefront6targetE0EEEvSZ_.uses_flat_scratch, 0
	.set _ZN7rocprim17ROCPRIM_400000_NS6detail17trampoline_kernelINS0_13select_configILj256ELj13ELNS0_17block_load_methodE3ELS4_3ELS4_3ELNS0_20block_scan_algorithmE0ELj4294967295EEENS1_25partition_config_selectorILNS1_17partition_subalgoE3EjNS0_10empty_typeEbEEZZNS1_14partition_implILS8_3ELb0ES6_jNS0_17counting_iteratorIjlEEPS9_SE_NS0_5tupleIJPjSE_EEENSF_IJSE_SE_EEES9_SG_JZNS1_25segmented_radix_sort_implINS0_14default_configELb0EPK6__halfPSL_PKlPlN2at6native12_GLOBAL__N_18offset_tEEE10hipError_tPvRmT1_PNSt15iterator_traitsISZ_E10value_typeET2_T3_PNS10_IS15_E10value_typeET4_jRbjT5_S1B_jjP12ihipStream_tbEUljE_EEESW_SX_SY_S15_S19_S1B_T6_T7_T9_mT8_S1D_bDpT10_ENKUlT_T0_E_clISt17integral_constantIbLb0EES1P_IbLb1EEEEDaS1L_S1M_EUlS1L_E_NS1_11comp_targetILNS1_3genE8ELNS1_11target_archE1030ELNS1_3gpuE2ELNS1_3repE0EEENS1_30default_config_static_selectorELNS0_4arch9wavefront6targetE0EEEvSZ_.has_dyn_sized_stack, 0
	.set _ZN7rocprim17ROCPRIM_400000_NS6detail17trampoline_kernelINS0_13select_configILj256ELj13ELNS0_17block_load_methodE3ELS4_3ELS4_3ELNS0_20block_scan_algorithmE0ELj4294967295EEENS1_25partition_config_selectorILNS1_17partition_subalgoE3EjNS0_10empty_typeEbEEZZNS1_14partition_implILS8_3ELb0ES6_jNS0_17counting_iteratorIjlEEPS9_SE_NS0_5tupleIJPjSE_EEENSF_IJSE_SE_EEES9_SG_JZNS1_25segmented_radix_sort_implINS0_14default_configELb0EPK6__halfPSL_PKlPlN2at6native12_GLOBAL__N_18offset_tEEE10hipError_tPvRmT1_PNSt15iterator_traitsISZ_E10value_typeET2_T3_PNS10_IS15_E10value_typeET4_jRbjT5_S1B_jjP12ihipStream_tbEUljE_EEESW_SX_SY_S15_S19_S1B_T6_T7_T9_mT8_S1D_bDpT10_ENKUlT_T0_E_clISt17integral_constantIbLb0EES1P_IbLb1EEEEDaS1L_S1M_EUlS1L_E_NS1_11comp_targetILNS1_3genE8ELNS1_11target_archE1030ELNS1_3gpuE2ELNS1_3repE0EEENS1_30default_config_static_selectorELNS0_4arch9wavefront6targetE0EEEvSZ_.has_recursion, 0
	.set _ZN7rocprim17ROCPRIM_400000_NS6detail17trampoline_kernelINS0_13select_configILj256ELj13ELNS0_17block_load_methodE3ELS4_3ELS4_3ELNS0_20block_scan_algorithmE0ELj4294967295EEENS1_25partition_config_selectorILNS1_17partition_subalgoE3EjNS0_10empty_typeEbEEZZNS1_14partition_implILS8_3ELb0ES6_jNS0_17counting_iteratorIjlEEPS9_SE_NS0_5tupleIJPjSE_EEENSF_IJSE_SE_EEES9_SG_JZNS1_25segmented_radix_sort_implINS0_14default_configELb0EPK6__halfPSL_PKlPlN2at6native12_GLOBAL__N_18offset_tEEE10hipError_tPvRmT1_PNSt15iterator_traitsISZ_E10value_typeET2_T3_PNS10_IS15_E10value_typeET4_jRbjT5_S1B_jjP12ihipStream_tbEUljE_EEESW_SX_SY_S15_S19_S1B_T6_T7_T9_mT8_S1D_bDpT10_ENKUlT_T0_E_clISt17integral_constantIbLb0EES1P_IbLb1EEEEDaS1L_S1M_EUlS1L_E_NS1_11comp_targetILNS1_3genE8ELNS1_11target_archE1030ELNS1_3gpuE2ELNS1_3repE0EEENS1_30default_config_static_selectorELNS0_4arch9wavefront6targetE0EEEvSZ_.has_indirect_call, 0
	.section	.AMDGPU.csdata,"",@progbits
; Kernel info:
; codeLenInByte = 8704
; TotalNumSgprs: 28
; NumVgprs: 71
; ScratchSize: 0
; MemoryBound: 0
; FloatMode: 240
; IeeeMode: 1
; LDSByteSize: 13320 bytes/workgroup (compile time only)
; SGPRBlocks: 0
; VGPRBlocks: 8
; NumSGPRsForWavesPerEU: 28
; NumVGPRsForWavesPerEU: 71
; Occupancy: 12
; WaveLimiterHint : 0
; COMPUTE_PGM_RSRC2:SCRATCH_EN: 0
; COMPUTE_PGM_RSRC2:USER_SGPR: 6
; COMPUTE_PGM_RSRC2:TRAP_HANDLER: 0
; COMPUTE_PGM_RSRC2:TGID_X_EN: 1
; COMPUTE_PGM_RSRC2:TGID_Y_EN: 0
; COMPUTE_PGM_RSRC2:TGID_Z_EN: 0
; COMPUTE_PGM_RSRC2:TIDIG_COMP_CNT: 0
	.section	.text._ZN7rocprim17ROCPRIM_400000_NS6detail17trampoline_kernelINS0_14default_configENS1_36segmented_radix_sort_config_selectorI6__halflEEZNS1_25segmented_radix_sort_implIS3_Lb0EPKS5_PS5_PKlPlN2at6native12_GLOBAL__N_18offset_tEEE10hipError_tPvRmT1_PNSt15iterator_traitsISL_E10value_typeET2_T3_PNSM_ISR_E10value_typeET4_jRbjT5_SX_jjP12ihipStream_tbEUlT_E_NS1_11comp_targetILNS1_3genE0ELNS1_11target_archE4294967295ELNS1_3gpuE0ELNS1_3repE0EEENS1_30default_config_static_selectorELNS0_4arch9wavefront6targetE0EEEvSL_,"axG",@progbits,_ZN7rocprim17ROCPRIM_400000_NS6detail17trampoline_kernelINS0_14default_configENS1_36segmented_radix_sort_config_selectorI6__halflEEZNS1_25segmented_radix_sort_implIS3_Lb0EPKS5_PS5_PKlPlN2at6native12_GLOBAL__N_18offset_tEEE10hipError_tPvRmT1_PNSt15iterator_traitsISL_E10value_typeET2_T3_PNSM_ISR_E10value_typeET4_jRbjT5_SX_jjP12ihipStream_tbEUlT_E_NS1_11comp_targetILNS1_3genE0ELNS1_11target_archE4294967295ELNS1_3gpuE0ELNS1_3repE0EEENS1_30default_config_static_selectorELNS0_4arch9wavefront6targetE0EEEvSL_,comdat
	.globl	_ZN7rocprim17ROCPRIM_400000_NS6detail17trampoline_kernelINS0_14default_configENS1_36segmented_radix_sort_config_selectorI6__halflEEZNS1_25segmented_radix_sort_implIS3_Lb0EPKS5_PS5_PKlPlN2at6native12_GLOBAL__N_18offset_tEEE10hipError_tPvRmT1_PNSt15iterator_traitsISL_E10value_typeET2_T3_PNSM_ISR_E10value_typeET4_jRbjT5_SX_jjP12ihipStream_tbEUlT_E_NS1_11comp_targetILNS1_3genE0ELNS1_11target_archE4294967295ELNS1_3gpuE0ELNS1_3repE0EEENS1_30default_config_static_selectorELNS0_4arch9wavefront6targetE0EEEvSL_ ; -- Begin function _ZN7rocprim17ROCPRIM_400000_NS6detail17trampoline_kernelINS0_14default_configENS1_36segmented_radix_sort_config_selectorI6__halflEEZNS1_25segmented_radix_sort_implIS3_Lb0EPKS5_PS5_PKlPlN2at6native12_GLOBAL__N_18offset_tEEE10hipError_tPvRmT1_PNSt15iterator_traitsISL_E10value_typeET2_T3_PNSM_ISR_E10value_typeET4_jRbjT5_SX_jjP12ihipStream_tbEUlT_E_NS1_11comp_targetILNS1_3genE0ELNS1_11target_archE4294967295ELNS1_3gpuE0ELNS1_3repE0EEENS1_30default_config_static_selectorELNS0_4arch9wavefront6targetE0EEEvSL_
	.p2align	8
	.type	_ZN7rocprim17ROCPRIM_400000_NS6detail17trampoline_kernelINS0_14default_configENS1_36segmented_radix_sort_config_selectorI6__halflEEZNS1_25segmented_radix_sort_implIS3_Lb0EPKS5_PS5_PKlPlN2at6native12_GLOBAL__N_18offset_tEEE10hipError_tPvRmT1_PNSt15iterator_traitsISL_E10value_typeET2_T3_PNSM_ISR_E10value_typeET4_jRbjT5_SX_jjP12ihipStream_tbEUlT_E_NS1_11comp_targetILNS1_3genE0ELNS1_11target_archE4294967295ELNS1_3gpuE0ELNS1_3repE0EEENS1_30default_config_static_selectorELNS0_4arch9wavefront6targetE0EEEvSL_,@function
_ZN7rocprim17ROCPRIM_400000_NS6detail17trampoline_kernelINS0_14default_configENS1_36segmented_radix_sort_config_selectorI6__halflEEZNS1_25segmented_radix_sort_implIS3_Lb0EPKS5_PS5_PKlPlN2at6native12_GLOBAL__N_18offset_tEEE10hipError_tPvRmT1_PNSt15iterator_traitsISL_E10value_typeET2_T3_PNSM_ISR_E10value_typeET4_jRbjT5_SX_jjP12ihipStream_tbEUlT_E_NS1_11comp_targetILNS1_3genE0ELNS1_11target_archE4294967295ELNS1_3gpuE0ELNS1_3repE0EEENS1_30default_config_static_selectorELNS0_4arch9wavefront6targetE0EEEvSL_: ; @_ZN7rocprim17ROCPRIM_400000_NS6detail17trampoline_kernelINS0_14default_configENS1_36segmented_radix_sort_config_selectorI6__halflEEZNS1_25segmented_radix_sort_implIS3_Lb0EPKS5_PS5_PKlPlN2at6native12_GLOBAL__N_18offset_tEEE10hipError_tPvRmT1_PNSt15iterator_traitsISL_E10value_typeET2_T3_PNSM_ISR_E10value_typeET4_jRbjT5_SX_jjP12ihipStream_tbEUlT_E_NS1_11comp_targetILNS1_3genE0ELNS1_11target_archE4294967295ELNS1_3gpuE0ELNS1_3repE0EEENS1_30default_config_static_selectorELNS0_4arch9wavefront6targetE0EEEvSL_
; %bb.0:
	.section	.rodata,"a",@progbits
	.p2align	6, 0x0
	.amdhsa_kernel _ZN7rocprim17ROCPRIM_400000_NS6detail17trampoline_kernelINS0_14default_configENS1_36segmented_radix_sort_config_selectorI6__halflEEZNS1_25segmented_radix_sort_implIS3_Lb0EPKS5_PS5_PKlPlN2at6native12_GLOBAL__N_18offset_tEEE10hipError_tPvRmT1_PNSt15iterator_traitsISL_E10value_typeET2_T3_PNSM_ISR_E10value_typeET4_jRbjT5_SX_jjP12ihipStream_tbEUlT_E_NS1_11comp_targetILNS1_3genE0ELNS1_11target_archE4294967295ELNS1_3gpuE0ELNS1_3repE0EEENS1_30default_config_static_selectorELNS0_4arch9wavefront6targetE0EEEvSL_
		.amdhsa_group_segment_fixed_size 0
		.amdhsa_private_segment_fixed_size 0
		.amdhsa_kernarg_size 96
		.amdhsa_user_sgpr_count 6
		.amdhsa_user_sgpr_private_segment_buffer 1
		.amdhsa_user_sgpr_dispatch_ptr 0
		.amdhsa_user_sgpr_queue_ptr 0
		.amdhsa_user_sgpr_kernarg_segment_ptr 1
		.amdhsa_user_sgpr_dispatch_id 0
		.amdhsa_user_sgpr_flat_scratch_init 0
		.amdhsa_user_sgpr_private_segment_size 0
		.amdhsa_wavefront_size32 1
		.amdhsa_uses_dynamic_stack 0
		.amdhsa_system_sgpr_private_segment_wavefront_offset 0
		.amdhsa_system_sgpr_workgroup_id_x 1
		.amdhsa_system_sgpr_workgroup_id_y 0
		.amdhsa_system_sgpr_workgroup_id_z 0
		.amdhsa_system_sgpr_workgroup_info 0
		.amdhsa_system_vgpr_workitem_id 0
		.amdhsa_next_free_vgpr 1
		.amdhsa_next_free_sgpr 1
		.amdhsa_reserve_vcc 0
		.amdhsa_reserve_flat_scratch 0
		.amdhsa_float_round_mode_32 0
		.amdhsa_float_round_mode_16_64 0
		.amdhsa_float_denorm_mode_32 3
		.amdhsa_float_denorm_mode_16_64 3
		.amdhsa_dx10_clamp 1
		.amdhsa_ieee_mode 1
		.amdhsa_fp16_overflow 0
		.amdhsa_workgroup_processor_mode 1
		.amdhsa_memory_ordered 1
		.amdhsa_forward_progress 1
		.amdhsa_shared_vgpr_count 0
		.amdhsa_exception_fp_ieee_invalid_op 0
		.amdhsa_exception_fp_denorm_src 0
		.amdhsa_exception_fp_ieee_div_zero 0
		.amdhsa_exception_fp_ieee_overflow 0
		.amdhsa_exception_fp_ieee_underflow 0
		.amdhsa_exception_fp_ieee_inexact 0
		.amdhsa_exception_int_div_zero 0
	.end_amdhsa_kernel
	.section	.text._ZN7rocprim17ROCPRIM_400000_NS6detail17trampoline_kernelINS0_14default_configENS1_36segmented_radix_sort_config_selectorI6__halflEEZNS1_25segmented_radix_sort_implIS3_Lb0EPKS5_PS5_PKlPlN2at6native12_GLOBAL__N_18offset_tEEE10hipError_tPvRmT1_PNSt15iterator_traitsISL_E10value_typeET2_T3_PNSM_ISR_E10value_typeET4_jRbjT5_SX_jjP12ihipStream_tbEUlT_E_NS1_11comp_targetILNS1_3genE0ELNS1_11target_archE4294967295ELNS1_3gpuE0ELNS1_3repE0EEENS1_30default_config_static_selectorELNS0_4arch9wavefront6targetE0EEEvSL_,"axG",@progbits,_ZN7rocprim17ROCPRIM_400000_NS6detail17trampoline_kernelINS0_14default_configENS1_36segmented_radix_sort_config_selectorI6__halflEEZNS1_25segmented_radix_sort_implIS3_Lb0EPKS5_PS5_PKlPlN2at6native12_GLOBAL__N_18offset_tEEE10hipError_tPvRmT1_PNSt15iterator_traitsISL_E10value_typeET2_T3_PNSM_ISR_E10value_typeET4_jRbjT5_SX_jjP12ihipStream_tbEUlT_E_NS1_11comp_targetILNS1_3genE0ELNS1_11target_archE4294967295ELNS1_3gpuE0ELNS1_3repE0EEENS1_30default_config_static_selectorELNS0_4arch9wavefront6targetE0EEEvSL_,comdat
.Lfunc_end1832:
	.size	_ZN7rocprim17ROCPRIM_400000_NS6detail17trampoline_kernelINS0_14default_configENS1_36segmented_radix_sort_config_selectorI6__halflEEZNS1_25segmented_radix_sort_implIS3_Lb0EPKS5_PS5_PKlPlN2at6native12_GLOBAL__N_18offset_tEEE10hipError_tPvRmT1_PNSt15iterator_traitsISL_E10value_typeET2_T3_PNSM_ISR_E10value_typeET4_jRbjT5_SX_jjP12ihipStream_tbEUlT_E_NS1_11comp_targetILNS1_3genE0ELNS1_11target_archE4294967295ELNS1_3gpuE0ELNS1_3repE0EEENS1_30default_config_static_selectorELNS0_4arch9wavefront6targetE0EEEvSL_, .Lfunc_end1832-_ZN7rocprim17ROCPRIM_400000_NS6detail17trampoline_kernelINS0_14default_configENS1_36segmented_radix_sort_config_selectorI6__halflEEZNS1_25segmented_radix_sort_implIS3_Lb0EPKS5_PS5_PKlPlN2at6native12_GLOBAL__N_18offset_tEEE10hipError_tPvRmT1_PNSt15iterator_traitsISL_E10value_typeET2_T3_PNSM_ISR_E10value_typeET4_jRbjT5_SX_jjP12ihipStream_tbEUlT_E_NS1_11comp_targetILNS1_3genE0ELNS1_11target_archE4294967295ELNS1_3gpuE0ELNS1_3repE0EEENS1_30default_config_static_selectorELNS0_4arch9wavefront6targetE0EEEvSL_
                                        ; -- End function
	.set _ZN7rocprim17ROCPRIM_400000_NS6detail17trampoline_kernelINS0_14default_configENS1_36segmented_radix_sort_config_selectorI6__halflEEZNS1_25segmented_radix_sort_implIS3_Lb0EPKS5_PS5_PKlPlN2at6native12_GLOBAL__N_18offset_tEEE10hipError_tPvRmT1_PNSt15iterator_traitsISL_E10value_typeET2_T3_PNSM_ISR_E10value_typeET4_jRbjT5_SX_jjP12ihipStream_tbEUlT_E_NS1_11comp_targetILNS1_3genE0ELNS1_11target_archE4294967295ELNS1_3gpuE0ELNS1_3repE0EEENS1_30default_config_static_selectorELNS0_4arch9wavefront6targetE0EEEvSL_.num_vgpr, 0
	.set _ZN7rocprim17ROCPRIM_400000_NS6detail17trampoline_kernelINS0_14default_configENS1_36segmented_radix_sort_config_selectorI6__halflEEZNS1_25segmented_radix_sort_implIS3_Lb0EPKS5_PS5_PKlPlN2at6native12_GLOBAL__N_18offset_tEEE10hipError_tPvRmT1_PNSt15iterator_traitsISL_E10value_typeET2_T3_PNSM_ISR_E10value_typeET4_jRbjT5_SX_jjP12ihipStream_tbEUlT_E_NS1_11comp_targetILNS1_3genE0ELNS1_11target_archE4294967295ELNS1_3gpuE0ELNS1_3repE0EEENS1_30default_config_static_selectorELNS0_4arch9wavefront6targetE0EEEvSL_.num_agpr, 0
	.set _ZN7rocprim17ROCPRIM_400000_NS6detail17trampoline_kernelINS0_14default_configENS1_36segmented_radix_sort_config_selectorI6__halflEEZNS1_25segmented_radix_sort_implIS3_Lb0EPKS5_PS5_PKlPlN2at6native12_GLOBAL__N_18offset_tEEE10hipError_tPvRmT1_PNSt15iterator_traitsISL_E10value_typeET2_T3_PNSM_ISR_E10value_typeET4_jRbjT5_SX_jjP12ihipStream_tbEUlT_E_NS1_11comp_targetILNS1_3genE0ELNS1_11target_archE4294967295ELNS1_3gpuE0ELNS1_3repE0EEENS1_30default_config_static_selectorELNS0_4arch9wavefront6targetE0EEEvSL_.numbered_sgpr, 0
	.set _ZN7rocprim17ROCPRIM_400000_NS6detail17trampoline_kernelINS0_14default_configENS1_36segmented_radix_sort_config_selectorI6__halflEEZNS1_25segmented_radix_sort_implIS3_Lb0EPKS5_PS5_PKlPlN2at6native12_GLOBAL__N_18offset_tEEE10hipError_tPvRmT1_PNSt15iterator_traitsISL_E10value_typeET2_T3_PNSM_ISR_E10value_typeET4_jRbjT5_SX_jjP12ihipStream_tbEUlT_E_NS1_11comp_targetILNS1_3genE0ELNS1_11target_archE4294967295ELNS1_3gpuE0ELNS1_3repE0EEENS1_30default_config_static_selectorELNS0_4arch9wavefront6targetE0EEEvSL_.num_named_barrier, 0
	.set _ZN7rocprim17ROCPRIM_400000_NS6detail17trampoline_kernelINS0_14default_configENS1_36segmented_radix_sort_config_selectorI6__halflEEZNS1_25segmented_radix_sort_implIS3_Lb0EPKS5_PS5_PKlPlN2at6native12_GLOBAL__N_18offset_tEEE10hipError_tPvRmT1_PNSt15iterator_traitsISL_E10value_typeET2_T3_PNSM_ISR_E10value_typeET4_jRbjT5_SX_jjP12ihipStream_tbEUlT_E_NS1_11comp_targetILNS1_3genE0ELNS1_11target_archE4294967295ELNS1_3gpuE0ELNS1_3repE0EEENS1_30default_config_static_selectorELNS0_4arch9wavefront6targetE0EEEvSL_.private_seg_size, 0
	.set _ZN7rocprim17ROCPRIM_400000_NS6detail17trampoline_kernelINS0_14default_configENS1_36segmented_radix_sort_config_selectorI6__halflEEZNS1_25segmented_radix_sort_implIS3_Lb0EPKS5_PS5_PKlPlN2at6native12_GLOBAL__N_18offset_tEEE10hipError_tPvRmT1_PNSt15iterator_traitsISL_E10value_typeET2_T3_PNSM_ISR_E10value_typeET4_jRbjT5_SX_jjP12ihipStream_tbEUlT_E_NS1_11comp_targetILNS1_3genE0ELNS1_11target_archE4294967295ELNS1_3gpuE0ELNS1_3repE0EEENS1_30default_config_static_selectorELNS0_4arch9wavefront6targetE0EEEvSL_.uses_vcc, 0
	.set _ZN7rocprim17ROCPRIM_400000_NS6detail17trampoline_kernelINS0_14default_configENS1_36segmented_radix_sort_config_selectorI6__halflEEZNS1_25segmented_radix_sort_implIS3_Lb0EPKS5_PS5_PKlPlN2at6native12_GLOBAL__N_18offset_tEEE10hipError_tPvRmT1_PNSt15iterator_traitsISL_E10value_typeET2_T3_PNSM_ISR_E10value_typeET4_jRbjT5_SX_jjP12ihipStream_tbEUlT_E_NS1_11comp_targetILNS1_3genE0ELNS1_11target_archE4294967295ELNS1_3gpuE0ELNS1_3repE0EEENS1_30default_config_static_selectorELNS0_4arch9wavefront6targetE0EEEvSL_.uses_flat_scratch, 0
	.set _ZN7rocprim17ROCPRIM_400000_NS6detail17trampoline_kernelINS0_14default_configENS1_36segmented_radix_sort_config_selectorI6__halflEEZNS1_25segmented_radix_sort_implIS3_Lb0EPKS5_PS5_PKlPlN2at6native12_GLOBAL__N_18offset_tEEE10hipError_tPvRmT1_PNSt15iterator_traitsISL_E10value_typeET2_T3_PNSM_ISR_E10value_typeET4_jRbjT5_SX_jjP12ihipStream_tbEUlT_E_NS1_11comp_targetILNS1_3genE0ELNS1_11target_archE4294967295ELNS1_3gpuE0ELNS1_3repE0EEENS1_30default_config_static_selectorELNS0_4arch9wavefront6targetE0EEEvSL_.has_dyn_sized_stack, 0
	.set _ZN7rocprim17ROCPRIM_400000_NS6detail17trampoline_kernelINS0_14default_configENS1_36segmented_radix_sort_config_selectorI6__halflEEZNS1_25segmented_radix_sort_implIS3_Lb0EPKS5_PS5_PKlPlN2at6native12_GLOBAL__N_18offset_tEEE10hipError_tPvRmT1_PNSt15iterator_traitsISL_E10value_typeET2_T3_PNSM_ISR_E10value_typeET4_jRbjT5_SX_jjP12ihipStream_tbEUlT_E_NS1_11comp_targetILNS1_3genE0ELNS1_11target_archE4294967295ELNS1_3gpuE0ELNS1_3repE0EEENS1_30default_config_static_selectorELNS0_4arch9wavefront6targetE0EEEvSL_.has_recursion, 0
	.set _ZN7rocprim17ROCPRIM_400000_NS6detail17trampoline_kernelINS0_14default_configENS1_36segmented_radix_sort_config_selectorI6__halflEEZNS1_25segmented_radix_sort_implIS3_Lb0EPKS5_PS5_PKlPlN2at6native12_GLOBAL__N_18offset_tEEE10hipError_tPvRmT1_PNSt15iterator_traitsISL_E10value_typeET2_T3_PNSM_ISR_E10value_typeET4_jRbjT5_SX_jjP12ihipStream_tbEUlT_E_NS1_11comp_targetILNS1_3genE0ELNS1_11target_archE4294967295ELNS1_3gpuE0ELNS1_3repE0EEENS1_30default_config_static_selectorELNS0_4arch9wavefront6targetE0EEEvSL_.has_indirect_call, 0
	.section	.AMDGPU.csdata,"",@progbits
; Kernel info:
; codeLenInByte = 0
; TotalNumSgprs: 0
; NumVgprs: 0
; ScratchSize: 0
; MemoryBound: 0
; FloatMode: 240
; IeeeMode: 1
; LDSByteSize: 0 bytes/workgroup (compile time only)
; SGPRBlocks: 0
; VGPRBlocks: 0
; NumSGPRsForWavesPerEU: 1
; NumVGPRsForWavesPerEU: 1
; Occupancy: 16
; WaveLimiterHint : 0
; COMPUTE_PGM_RSRC2:SCRATCH_EN: 0
; COMPUTE_PGM_RSRC2:USER_SGPR: 6
; COMPUTE_PGM_RSRC2:TRAP_HANDLER: 0
; COMPUTE_PGM_RSRC2:TGID_X_EN: 1
; COMPUTE_PGM_RSRC2:TGID_Y_EN: 0
; COMPUTE_PGM_RSRC2:TGID_Z_EN: 0
; COMPUTE_PGM_RSRC2:TIDIG_COMP_CNT: 0
	.section	.text._ZN7rocprim17ROCPRIM_400000_NS6detail17trampoline_kernelINS0_14default_configENS1_36segmented_radix_sort_config_selectorI6__halflEEZNS1_25segmented_radix_sort_implIS3_Lb0EPKS5_PS5_PKlPlN2at6native12_GLOBAL__N_18offset_tEEE10hipError_tPvRmT1_PNSt15iterator_traitsISL_E10value_typeET2_T3_PNSM_ISR_E10value_typeET4_jRbjT5_SX_jjP12ihipStream_tbEUlT_E_NS1_11comp_targetILNS1_3genE5ELNS1_11target_archE942ELNS1_3gpuE9ELNS1_3repE0EEENS1_30default_config_static_selectorELNS0_4arch9wavefront6targetE0EEEvSL_,"axG",@progbits,_ZN7rocprim17ROCPRIM_400000_NS6detail17trampoline_kernelINS0_14default_configENS1_36segmented_radix_sort_config_selectorI6__halflEEZNS1_25segmented_radix_sort_implIS3_Lb0EPKS5_PS5_PKlPlN2at6native12_GLOBAL__N_18offset_tEEE10hipError_tPvRmT1_PNSt15iterator_traitsISL_E10value_typeET2_T3_PNSM_ISR_E10value_typeET4_jRbjT5_SX_jjP12ihipStream_tbEUlT_E_NS1_11comp_targetILNS1_3genE5ELNS1_11target_archE942ELNS1_3gpuE9ELNS1_3repE0EEENS1_30default_config_static_selectorELNS0_4arch9wavefront6targetE0EEEvSL_,comdat
	.globl	_ZN7rocprim17ROCPRIM_400000_NS6detail17trampoline_kernelINS0_14default_configENS1_36segmented_radix_sort_config_selectorI6__halflEEZNS1_25segmented_radix_sort_implIS3_Lb0EPKS5_PS5_PKlPlN2at6native12_GLOBAL__N_18offset_tEEE10hipError_tPvRmT1_PNSt15iterator_traitsISL_E10value_typeET2_T3_PNSM_ISR_E10value_typeET4_jRbjT5_SX_jjP12ihipStream_tbEUlT_E_NS1_11comp_targetILNS1_3genE5ELNS1_11target_archE942ELNS1_3gpuE9ELNS1_3repE0EEENS1_30default_config_static_selectorELNS0_4arch9wavefront6targetE0EEEvSL_ ; -- Begin function _ZN7rocprim17ROCPRIM_400000_NS6detail17trampoline_kernelINS0_14default_configENS1_36segmented_radix_sort_config_selectorI6__halflEEZNS1_25segmented_radix_sort_implIS3_Lb0EPKS5_PS5_PKlPlN2at6native12_GLOBAL__N_18offset_tEEE10hipError_tPvRmT1_PNSt15iterator_traitsISL_E10value_typeET2_T3_PNSM_ISR_E10value_typeET4_jRbjT5_SX_jjP12ihipStream_tbEUlT_E_NS1_11comp_targetILNS1_3genE5ELNS1_11target_archE942ELNS1_3gpuE9ELNS1_3repE0EEENS1_30default_config_static_selectorELNS0_4arch9wavefront6targetE0EEEvSL_
	.p2align	8
	.type	_ZN7rocprim17ROCPRIM_400000_NS6detail17trampoline_kernelINS0_14default_configENS1_36segmented_radix_sort_config_selectorI6__halflEEZNS1_25segmented_radix_sort_implIS3_Lb0EPKS5_PS5_PKlPlN2at6native12_GLOBAL__N_18offset_tEEE10hipError_tPvRmT1_PNSt15iterator_traitsISL_E10value_typeET2_T3_PNSM_ISR_E10value_typeET4_jRbjT5_SX_jjP12ihipStream_tbEUlT_E_NS1_11comp_targetILNS1_3genE5ELNS1_11target_archE942ELNS1_3gpuE9ELNS1_3repE0EEENS1_30default_config_static_selectorELNS0_4arch9wavefront6targetE0EEEvSL_,@function
_ZN7rocprim17ROCPRIM_400000_NS6detail17trampoline_kernelINS0_14default_configENS1_36segmented_radix_sort_config_selectorI6__halflEEZNS1_25segmented_radix_sort_implIS3_Lb0EPKS5_PS5_PKlPlN2at6native12_GLOBAL__N_18offset_tEEE10hipError_tPvRmT1_PNSt15iterator_traitsISL_E10value_typeET2_T3_PNSM_ISR_E10value_typeET4_jRbjT5_SX_jjP12ihipStream_tbEUlT_E_NS1_11comp_targetILNS1_3genE5ELNS1_11target_archE942ELNS1_3gpuE9ELNS1_3repE0EEENS1_30default_config_static_selectorELNS0_4arch9wavefront6targetE0EEEvSL_: ; @_ZN7rocprim17ROCPRIM_400000_NS6detail17trampoline_kernelINS0_14default_configENS1_36segmented_radix_sort_config_selectorI6__halflEEZNS1_25segmented_radix_sort_implIS3_Lb0EPKS5_PS5_PKlPlN2at6native12_GLOBAL__N_18offset_tEEE10hipError_tPvRmT1_PNSt15iterator_traitsISL_E10value_typeET2_T3_PNSM_ISR_E10value_typeET4_jRbjT5_SX_jjP12ihipStream_tbEUlT_E_NS1_11comp_targetILNS1_3genE5ELNS1_11target_archE942ELNS1_3gpuE9ELNS1_3repE0EEENS1_30default_config_static_selectorELNS0_4arch9wavefront6targetE0EEEvSL_
; %bb.0:
	.section	.rodata,"a",@progbits
	.p2align	6, 0x0
	.amdhsa_kernel _ZN7rocprim17ROCPRIM_400000_NS6detail17trampoline_kernelINS0_14default_configENS1_36segmented_radix_sort_config_selectorI6__halflEEZNS1_25segmented_radix_sort_implIS3_Lb0EPKS5_PS5_PKlPlN2at6native12_GLOBAL__N_18offset_tEEE10hipError_tPvRmT1_PNSt15iterator_traitsISL_E10value_typeET2_T3_PNSM_ISR_E10value_typeET4_jRbjT5_SX_jjP12ihipStream_tbEUlT_E_NS1_11comp_targetILNS1_3genE5ELNS1_11target_archE942ELNS1_3gpuE9ELNS1_3repE0EEENS1_30default_config_static_selectorELNS0_4arch9wavefront6targetE0EEEvSL_
		.amdhsa_group_segment_fixed_size 0
		.amdhsa_private_segment_fixed_size 0
		.amdhsa_kernarg_size 96
		.amdhsa_user_sgpr_count 6
		.amdhsa_user_sgpr_private_segment_buffer 1
		.amdhsa_user_sgpr_dispatch_ptr 0
		.amdhsa_user_sgpr_queue_ptr 0
		.amdhsa_user_sgpr_kernarg_segment_ptr 1
		.amdhsa_user_sgpr_dispatch_id 0
		.amdhsa_user_sgpr_flat_scratch_init 0
		.amdhsa_user_sgpr_private_segment_size 0
		.amdhsa_wavefront_size32 1
		.amdhsa_uses_dynamic_stack 0
		.amdhsa_system_sgpr_private_segment_wavefront_offset 0
		.amdhsa_system_sgpr_workgroup_id_x 1
		.amdhsa_system_sgpr_workgroup_id_y 0
		.amdhsa_system_sgpr_workgroup_id_z 0
		.amdhsa_system_sgpr_workgroup_info 0
		.amdhsa_system_vgpr_workitem_id 0
		.amdhsa_next_free_vgpr 1
		.amdhsa_next_free_sgpr 1
		.amdhsa_reserve_vcc 0
		.amdhsa_reserve_flat_scratch 0
		.amdhsa_float_round_mode_32 0
		.amdhsa_float_round_mode_16_64 0
		.amdhsa_float_denorm_mode_32 3
		.amdhsa_float_denorm_mode_16_64 3
		.amdhsa_dx10_clamp 1
		.amdhsa_ieee_mode 1
		.amdhsa_fp16_overflow 0
		.amdhsa_workgroup_processor_mode 1
		.amdhsa_memory_ordered 1
		.amdhsa_forward_progress 1
		.amdhsa_shared_vgpr_count 0
		.amdhsa_exception_fp_ieee_invalid_op 0
		.amdhsa_exception_fp_denorm_src 0
		.amdhsa_exception_fp_ieee_div_zero 0
		.amdhsa_exception_fp_ieee_overflow 0
		.amdhsa_exception_fp_ieee_underflow 0
		.amdhsa_exception_fp_ieee_inexact 0
		.amdhsa_exception_int_div_zero 0
	.end_amdhsa_kernel
	.section	.text._ZN7rocprim17ROCPRIM_400000_NS6detail17trampoline_kernelINS0_14default_configENS1_36segmented_radix_sort_config_selectorI6__halflEEZNS1_25segmented_radix_sort_implIS3_Lb0EPKS5_PS5_PKlPlN2at6native12_GLOBAL__N_18offset_tEEE10hipError_tPvRmT1_PNSt15iterator_traitsISL_E10value_typeET2_T3_PNSM_ISR_E10value_typeET4_jRbjT5_SX_jjP12ihipStream_tbEUlT_E_NS1_11comp_targetILNS1_3genE5ELNS1_11target_archE942ELNS1_3gpuE9ELNS1_3repE0EEENS1_30default_config_static_selectorELNS0_4arch9wavefront6targetE0EEEvSL_,"axG",@progbits,_ZN7rocprim17ROCPRIM_400000_NS6detail17trampoline_kernelINS0_14default_configENS1_36segmented_radix_sort_config_selectorI6__halflEEZNS1_25segmented_radix_sort_implIS3_Lb0EPKS5_PS5_PKlPlN2at6native12_GLOBAL__N_18offset_tEEE10hipError_tPvRmT1_PNSt15iterator_traitsISL_E10value_typeET2_T3_PNSM_ISR_E10value_typeET4_jRbjT5_SX_jjP12ihipStream_tbEUlT_E_NS1_11comp_targetILNS1_3genE5ELNS1_11target_archE942ELNS1_3gpuE9ELNS1_3repE0EEENS1_30default_config_static_selectorELNS0_4arch9wavefront6targetE0EEEvSL_,comdat
.Lfunc_end1833:
	.size	_ZN7rocprim17ROCPRIM_400000_NS6detail17trampoline_kernelINS0_14default_configENS1_36segmented_radix_sort_config_selectorI6__halflEEZNS1_25segmented_radix_sort_implIS3_Lb0EPKS5_PS5_PKlPlN2at6native12_GLOBAL__N_18offset_tEEE10hipError_tPvRmT1_PNSt15iterator_traitsISL_E10value_typeET2_T3_PNSM_ISR_E10value_typeET4_jRbjT5_SX_jjP12ihipStream_tbEUlT_E_NS1_11comp_targetILNS1_3genE5ELNS1_11target_archE942ELNS1_3gpuE9ELNS1_3repE0EEENS1_30default_config_static_selectorELNS0_4arch9wavefront6targetE0EEEvSL_, .Lfunc_end1833-_ZN7rocprim17ROCPRIM_400000_NS6detail17trampoline_kernelINS0_14default_configENS1_36segmented_radix_sort_config_selectorI6__halflEEZNS1_25segmented_radix_sort_implIS3_Lb0EPKS5_PS5_PKlPlN2at6native12_GLOBAL__N_18offset_tEEE10hipError_tPvRmT1_PNSt15iterator_traitsISL_E10value_typeET2_T3_PNSM_ISR_E10value_typeET4_jRbjT5_SX_jjP12ihipStream_tbEUlT_E_NS1_11comp_targetILNS1_3genE5ELNS1_11target_archE942ELNS1_3gpuE9ELNS1_3repE0EEENS1_30default_config_static_selectorELNS0_4arch9wavefront6targetE0EEEvSL_
                                        ; -- End function
	.set _ZN7rocprim17ROCPRIM_400000_NS6detail17trampoline_kernelINS0_14default_configENS1_36segmented_radix_sort_config_selectorI6__halflEEZNS1_25segmented_radix_sort_implIS3_Lb0EPKS5_PS5_PKlPlN2at6native12_GLOBAL__N_18offset_tEEE10hipError_tPvRmT1_PNSt15iterator_traitsISL_E10value_typeET2_T3_PNSM_ISR_E10value_typeET4_jRbjT5_SX_jjP12ihipStream_tbEUlT_E_NS1_11comp_targetILNS1_3genE5ELNS1_11target_archE942ELNS1_3gpuE9ELNS1_3repE0EEENS1_30default_config_static_selectorELNS0_4arch9wavefront6targetE0EEEvSL_.num_vgpr, 0
	.set _ZN7rocprim17ROCPRIM_400000_NS6detail17trampoline_kernelINS0_14default_configENS1_36segmented_radix_sort_config_selectorI6__halflEEZNS1_25segmented_radix_sort_implIS3_Lb0EPKS5_PS5_PKlPlN2at6native12_GLOBAL__N_18offset_tEEE10hipError_tPvRmT1_PNSt15iterator_traitsISL_E10value_typeET2_T3_PNSM_ISR_E10value_typeET4_jRbjT5_SX_jjP12ihipStream_tbEUlT_E_NS1_11comp_targetILNS1_3genE5ELNS1_11target_archE942ELNS1_3gpuE9ELNS1_3repE0EEENS1_30default_config_static_selectorELNS0_4arch9wavefront6targetE0EEEvSL_.num_agpr, 0
	.set _ZN7rocprim17ROCPRIM_400000_NS6detail17trampoline_kernelINS0_14default_configENS1_36segmented_radix_sort_config_selectorI6__halflEEZNS1_25segmented_radix_sort_implIS3_Lb0EPKS5_PS5_PKlPlN2at6native12_GLOBAL__N_18offset_tEEE10hipError_tPvRmT1_PNSt15iterator_traitsISL_E10value_typeET2_T3_PNSM_ISR_E10value_typeET4_jRbjT5_SX_jjP12ihipStream_tbEUlT_E_NS1_11comp_targetILNS1_3genE5ELNS1_11target_archE942ELNS1_3gpuE9ELNS1_3repE0EEENS1_30default_config_static_selectorELNS0_4arch9wavefront6targetE0EEEvSL_.numbered_sgpr, 0
	.set _ZN7rocprim17ROCPRIM_400000_NS6detail17trampoline_kernelINS0_14default_configENS1_36segmented_radix_sort_config_selectorI6__halflEEZNS1_25segmented_radix_sort_implIS3_Lb0EPKS5_PS5_PKlPlN2at6native12_GLOBAL__N_18offset_tEEE10hipError_tPvRmT1_PNSt15iterator_traitsISL_E10value_typeET2_T3_PNSM_ISR_E10value_typeET4_jRbjT5_SX_jjP12ihipStream_tbEUlT_E_NS1_11comp_targetILNS1_3genE5ELNS1_11target_archE942ELNS1_3gpuE9ELNS1_3repE0EEENS1_30default_config_static_selectorELNS0_4arch9wavefront6targetE0EEEvSL_.num_named_barrier, 0
	.set _ZN7rocprim17ROCPRIM_400000_NS6detail17trampoline_kernelINS0_14default_configENS1_36segmented_radix_sort_config_selectorI6__halflEEZNS1_25segmented_radix_sort_implIS3_Lb0EPKS5_PS5_PKlPlN2at6native12_GLOBAL__N_18offset_tEEE10hipError_tPvRmT1_PNSt15iterator_traitsISL_E10value_typeET2_T3_PNSM_ISR_E10value_typeET4_jRbjT5_SX_jjP12ihipStream_tbEUlT_E_NS1_11comp_targetILNS1_3genE5ELNS1_11target_archE942ELNS1_3gpuE9ELNS1_3repE0EEENS1_30default_config_static_selectorELNS0_4arch9wavefront6targetE0EEEvSL_.private_seg_size, 0
	.set _ZN7rocprim17ROCPRIM_400000_NS6detail17trampoline_kernelINS0_14default_configENS1_36segmented_radix_sort_config_selectorI6__halflEEZNS1_25segmented_radix_sort_implIS3_Lb0EPKS5_PS5_PKlPlN2at6native12_GLOBAL__N_18offset_tEEE10hipError_tPvRmT1_PNSt15iterator_traitsISL_E10value_typeET2_T3_PNSM_ISR_E10value_typeET4_jRbjT5_SX_jjP12ihipStream_tbEUlT_E_NS1_11comp_targetILNS1_3genE5ELNS1_11target_archE942ELNS1_3gpuE9ELNS1_3repE0EEENS1_30default_config_static_selectorELNS0_4arch9wavefront6targetE0EEEvSL_.uses_vcc, 0
	.set _ZN7rocprim17ROCPRIM_400000_NS6detail17trampoline_kernelINS0_14default_configENS1_36segmented_radix_sort_config_selectorI6__halflEEZNS1_25segmented_radix_sort_implIS3_Lb0EPKS5_PS5_PKlPlN2at6native12_GLOBAL__N_18offset_tEEE10hipError_tPvRmT1_PNSt15iterator_traitsISL_E10value_typeET2_T3_PNSM_ISR_E10value_typeET4_jRbjT5_SX_jjP12ihipStream_tbEUlT_E_NS1_11comp_targetILNS1_3genE5ELNS1_11target_archE942ELNS1_3gpuE9ELNS1_3repE0EEENS1_30default_config_static_selectorELNS0_4arch9wavefront6targetE0EEEvSL_.uses_flat_scratch, 0
	.set _ZN7rocprim17ROCPRIM_400000_NS6detail17trampoline_kernelINS0_14default_configENS1_36segmented_radix_sort_config_selectorI6__halflEEZNS1_25segmented_radix_sort_implIS3_Lb0EPKS5_PS5_PKlPlN2at6native12_GLOBAL__N_18offset_tEEE10hipError_tPvRmT1_PNSt15iterator_traitsISL_E10value_typeET2_T3_PNSM_ISR_E10value_typeET4_jRbjT5_SX_jjP12ihipStream_tbEUlT_E_NS1_11comp_targetILNS1_3genE5ELNS1_11target_archE942ELNS1_3gpuE9ELNS1_3repE0EEENS1_30default_config_static_selectorELNS0_4arch9wavefront6targetE0EEEvSL_.has_dyn_sized_stack, 0
	.set _ZN7rocprim17ROCPRIM_400000_NS6detail17trampoline_kernelINS0_14default_configENS1_36segmented_radix_sort_config_selectorI6__halflEEZNS1_25segmented_radix_sort_implIS3_Lb0EPKS5_PS5_PKlPlN2at6native12_GLOBAL__N_18offset_tEEE10hipError_tPvRmT1_PNSt15iterator_traitsISL_E10value_typeET2_T3_PNSM_ISR_E10value_typeET4_jRbjT5_SX_jjP12ihipStream_tbEUlT_E_NS1_11comp_targetILNS1_3genE5ELNS1_11target_archE942ELNS1_3gpuE9ELNS1_3repE0EEENS1_30default_config_static_selectorELNS0_4arch9wavefront6targetE0EEEvSL_.has_recursion, 0
	.set _ZN7rocprim17ROCPRIM_400000_NS6detail17trampoline_kernelINS0_14default_configENS1_36segmented_radix_sort_config_selectorI6__halflEEZNS1_25segmented_radix_sort_implIS3_Lb0EPKS5_PS5_PKlPlN2at6native12_GLOBAL__N_18offset_tEEE10hipError_tPvRmT1_PNSt15iterator_traitsISL_E10value_typeET2_T3_PNSM_ISR_E10value_typeET4_jRbjT5_SX_jjP12ihipStream_tbEUlT_E_NS1_11comp_targetILNS1_3genE5ELNS1_11target_archE942ELNS1_3gpuE9ELNS1_3repE0EEENS1_30default_config_static_selectorELNS0_4arch9wavefront6targetE0EEEvSL_.has_indirect_call, 0
	.section	.AMDGPU.csdata,"",@progbits
; Kernel info:
; codeLenInByte = 0
; TotalNumSgprs: 0
; NumVgprs: 0
; ScratchSize: 0
; MemoryBound: 0
; FloatMode: 240
; IeeeMode: 1
; LDSByteSize: 0 bytes/workgroup (compile time only)
; SGPRBlocks: 0
; VGPRBlocks: 0
; NumSGPRsForWavesPerEU: 1
; NumVGPRsForWavesPerEU: 1
; Occupancy: 16
; WaveLimiterHint : 0
; COMPUTE_PGM_RSRC2:SCRATCH_EN: 0
; COMPUTE_PGM_RSRC2:USER_SGPR: 6
; COMPUTE_PGM_RSRC2:TRAP_HANDLER: 0
; COMPUTE_PGM_RSRC2:TGID_X_EN: 1
; COMPUTE_PGM_RSRC2:TGID_Y_EN: 0
; COMPUTE_PGM_RSRC2:TGID_Z_EN: 0
; COMPUTE_PGM_RSRC2:TIDIG_COMP_CNT: 0
	.section	.text._ZN7rocprim17ROCPRIM_400000_NS6detail17trampoline_kernelINS0_14default_configENS1_36segmented_radix_sort_config_selectorI6__halflEEZNS1_25segmented_radix_sort_implIS3_Lb0EPKS5_PS5_PKlPlN2at6native12_GLOBAL__N_18offset_tEEE10hipError_tPvRmT1_PNSt15iterator_traitsISL_E10value_typeET2_T3_PNSM_ISR_E10value_typeET4_jRbjT5_SX_jjP12ihipStream_tbEUlT_E_NS1_11comp_targetILNS1_3genE4ELNS1_11target_archE910ELNS1_3gpuE8ELNS1_3repE0EEENS1_30default_config_static_selectorELNS0_4arch9wavefront6targetE0EEEvSL_,"axG",@progbits,_ZN7rocprim17ROCPRIM_400000_NS6detail17trampoline_kernelINS0_14default_configENS1_36segmented_radix_sort_config_selectorI6__halflEEZNS1_25segmented_radix_sort_implIS3_Lb0EPKS5_PS5_PKlPlN2at6native12_GLOBAL__N_18offset_tEEE10hipError_tPvRmT1_PNSt15iterator_traitsISL_E10value_typeET2_T3_PNSM_ISR_E10value_typeET4_jRbjT5_SX_jjP12ihipStream_tbEUlT_E_NS1_11comp_targetILNS1_3genE4ELNS1_11target_archE910ELNS1_3gpuE8ELNS1_3repE0EEENS1_30default_config_static_selectorELNS0_4arch9wavefront6targetE0EEEvSL_,comdat
	.globl	_ZN7rocprim17ROCPRIM_400000_NS6detail17trampoline_kernelINS0_14default_configENS1_36segmented_radix_sort_config_selectorI6__halflEEZNS1_25segmented_radix_sort_implIS3_Lb0EPKS5_PS5_PKlPlN2at6native12_GLOBAL__N_18offset_tEEE10hipError_tPvRmT1_PNSt15iterator_traitsISL_E10value_typeET2_T3_PNSM_ISR_E10value_typeET4_jRbjT5_SX_jjP12ihipStream_tbEUlT_E_NS1_11comp_targetILNS1_3genE4ELNS1_11target_archE910ELNS1_3gpuE8ELNS1_3repE0EEENS1_30default_config_static_selectorELNS0_4arch9wavefront6targetE0EEEvSL_ ; -- Begin function _ZN7rocprim17ROCPRIM_400000_NS6detail17trampoline_kernelINS0_14default_configENS1_36segmented_radix_sort_config_selectorI6__halflEEZNS1_25segmented_radix_sort_implIS3_Lb0EPKS5_PS5_PKlPlN2at6native12_GLOBAL__N_18offset_tEEE10hipError_tPvRmT1_PNSt15iterator_traitsISL_E10value_typeET2_T3_PNSM_ISR_E10value_typeET4_jRbjT5_SX_jjP12ihipStream_tbEUlT_E_NS1_11comp_targetILNS1_3genE4ELNS1_11target_archE910ELNS1_3gpuE8ELNS1_3repE0EEENS1_30default_config_static_selectorELNS0_4arch9wavefront6targetE0EEEvSL_
	.p2align	8
	.type	_ZN7rocprim17ROCPRIM_400000_NS6detail17trampoline_kernelINS0_14default_configENS1_36segmented_radix_sort_config_selectorI6__halflEEZNS1_25segmented_radix_sort_implIS3_Lb0EPKS5_PS5_PKlPlN2at6native12_GLOBAL__N_18offset_tEEE10hipError_tPvRmT1_PNSt15iterator_traitsISL_E10value_typeET2_T3_PNSM_ISR_E10value_typeET4_jRbjT5_SX_jjP12ihipStream_tbEUlT_E_NS1_11comp_targetILNS1_3genE4ELNS1_11target_archE910ELNS1_3gpuE8ELNS1_3repE0EEENS1_30default_config_static_selectorELNS0_4arch9wavefront6targetE0EEEvSL_,@function
_ZN7rocprim17ROCPRIM_400000_NS6detail17trampoline_kernelINS0_14default_configENS1_36segmented_radix_sort_config_selectorI6__halflEEZNS1_25segmented_radix_sort_implIS3_Lb0EPKS5_PS5_PKlPlN2at6native12_GLOBAL__N_18offset_tEEE10hipError_tPvRmT1_PNSt15iterator_traitsISL_E10value_typeET2_T3_PNSM_ISR_E10value_typeET4_jRbjT5_SX_jjP12ihipStream_tbEUlT_E_NS1_11comp_targetILNS1_3genE4ELNS1_11target_archE910ELNS1_3gpuE8ELNS1_3repE0EEENS1_30default_config_static_selectorELNS0_4arch9wavefront6targetE0EEEvSL_: ; @_ZN7rocprim17ROCPRIM_400000_NS6detail17trampoline_kernelINS0_14default_configENS1_36segmented_radix_sort_config_selectorI6__halflEEZNS1_25segmented_radix_sort_implIS3_Lb0EPKS5_PS5_PKlPlN2at6native12_GLOBAL__N_18offset_tEEE10hipError_tPvRmT1_PNSt15iterator_traitsISL_E10value_typeET2_T3_PNSM_ISR_E10value_typeET4_jRbjT5_SX_jjP12ihipStream_tbEUlT_E_NS1_11comp_targetILNS1_3genE4ELNS1_11target_archE910ELNS1_3gpuE8ELNS1_3repE0EEENS1_30default_config_static_selectorELNS0_4arch9wavefront6targetE0EEEvSL_
; %bb.0:
	.section	.rodata,"a",@progbits
	.p2align	6, 0x0
	.amdhsa_kernel _ZN7rocprim17ROCPRIM_400000_NS6detail17trampoline_kernelINS0_14default_configENS1_36segmented_radix_sort_config_selectorI6__halflEEZNS1_25segmented_radix_sort_implIS3_Lb0EPKS5_PS5_PKlPlN2at6native12_GLOBAL__N_18offset_tEEE10hipError_tPvRmT1_PNSt15iterator_traitsISL_E10value_typeET2_T3_PNSM_ISR_E10value_typeET4_jRbjT5_SX_jjP12ihipStream_tbEUlT_E_NS1_11comp_targetILNS1_3genE4ELNS1_11target_archE910ELNS1_3gpuE8ELNS1_3repE0EEENS1_30default_config_static_selectorELNS0_4arch9wavefront6targetE0EEEvSL_
		.amdhsa_group_segment_fixed_size 0
		.amdhsa_private_segment_fixed_size 0
		.amdhsa_kernarg_size 96
		.amdhsa_user_sgpr_count 6
		.amdhsa_user_sgpr_private_segment_buffer 1
		.amdhsa_user_sgpr_dispatch_ptr 0
		.amdhsa_user_sgpr_queue_ptr 0
		.amdhsa_user_sgpr_kernarg_segment_ptr 1
		.amdhsa_user_sgpr_dispatch_id 0
		.amdhsa_user_sgpr_flat_scratch_init 0
		.amdhsa_user_sgpr_private_segment_size 0
		.amdhsa_wavefront_size32 1
		.amdhsa_uses_dynamic_stack 0
		.amdhsa_system_sgpr_private_segment_wavefront_offset 0
		.amdhsa_system_sgpr_workgroup_id_x 1
		.amdhsa_system_sgpr_workgroup_id_y 0
		.amdhsa_system_sgpr_workgroup_id_z 0
		.amdhsa_system_sgpr_workgroup_info 0
		.amdhsa_system_vgpr_workitem_id 0
		.amdhsa_next_free_vgpr 1
		.amdhsa_next_free_sgpr 1
		.amdhsa_reserve_vcc 0
		.amdhsa_reserve_flat_scratch 0
		.amdhsa_float_round_mode_32 0
		.amdhsa_float_round_mode_16_64 0
		.amdhsa_float_denorm_mode_32 3
		.amdhsa_float_denorm_mode_16_64 3
		.amdhsa_dx10_clamp 1
		.amdhsa_ieee_mode 1
		.amdhsa_fp16_overflow 0
		.amdhsa_workgroup_processor_mode 1
		.amdhsa_memory_ordered 1
		.amdhsa_forward_progress 1
		.amdhsa_shared_vgpr_count 0
		.amdhsa_exception_fp_ieee_invalid_op 0
		.amdhsa_exception_fp_denorm_src 0
		.amdhsa_exception_fp_ieee_div_zero 0
		.amdhsa_exception_fp_ieee_overflow 0
		.amdhsa_exception_fp_ieee_underflow 0
		.amdhsa_exception_fp_ieee_inexact 0
		.amdhsa_exception_int_div_zero 0
	.end_amdhsa_kernel
	.section	.text._ZN7rocprim17ROCPRIM_400000_NS6detail17trampoline_kernelINS0_14default_configENS1_36segmented_radix_sort_config_selectorI6__halflEEZNS1_25segmented_radix_sort_implIS3_Lb0EPKS5_PS5_PKlPlN2at6native12_GLOBAL__N_18offset_tEEE10hipError_tPvRmT1_PNSt15iterator_traitsISL_E10value_typeET2_T3_PNSM_ISR_E10value_typeET4_jRbjT5_SX_jjP12ihipStream_tbEUlT_E_NS1_11comp_targetILNS1_3genE4ELNS1_11target_archE910ELNS1_3gpuE8ELNS1_3repE0EEENS1_30default_config_static_selectorELNS0_4arch9wavefront6targetE0EEEvSL_,"axG",@progbits,_ZN7rocprim17ROCPRIM_400000_NS6detail17trampoline_kernelINS0_14default_configENS1_36segmented_radix_sort_config_selectorI6__halflEEZNS1_25segmented_radix_sort_implIS3_Lb0EPKS5_PS5_PKlPlN2at6native12_GLOBAL__N_18offset_tEEE10hipError_tPvRmT1_PNSt15iterator_traitsISL_E10value_typeET2_T3_PNSM_ISR_E10value_typeET4_jRbjT5_SX_jjP12ihipStream_tbEUlT_E_NS1_11comp_targetILNS1_3genE4ELNS1_11target_archE910ELNS1_3gpuE8ELNS1_3repE0EEENS1_30default_config_static_selectorELNS0_4arch9wavefront6targetE0EEEvSL_,comdat
.Lfunc_end1834:
	.size	_ZN7rocprim17ROCPRIM_400000_NS6detail17trampoline_kernelINS0_14default_configENS1_36segmented_radix_sort_config_selectorI6__halflEEZNS1_25segmented_radix_sort_implIS3_Lb0EPKS5_PS5_PKlPlN2at6native12_GLOBAL__N_18offset_tEEE10hipError_tPvRmT1_PNSt15iterator_traitsISL_E10value_typeET2_T3_PNSM_ISR_E10value_typeET4_jRbjT5_SX_jjP12ihipStream_tbEUlT_E_NS1_11comp_targetILNS1_3genE4ELNS1_11target_archE910ELNS1_3gpuE8ELNS1_3repE0EEENS1_30default_config_static_selectorELNS0_4arch9wavefront6targetE0EEEvSL_, .Lfunc_end1834-_ZN7rocprim17ROCPRIM_400000_NS6detail17trampoline_kernelINS0_14default_configENS1_36segmented_radix_sort_config_selectorI6__halflEEZNS1_25segmented_radix_sort_implIS3_Lb0EPKS5_PS5_PKlPlN2at6native12_GLOBAL__N_18offset_tEEE10hipError_tPvRmT1_PNSt15iterator_traitsISL_E10value_typeET2_T3_PNSM_ISR_E10value_typeET4_jRbjT5_SX_jjP12ihipStream_tbEUlT_E_NS1_11comp_targetILNS1_3genE4ELNS1_11target_archE910ELNS1_3gpuE8ELNS1_3repE0EEENS1_30default_config_static_selectorELNS0_4arch9wavefront6targetE0EEEvSL_
                                        ; -- End function
	.set _ZN7rocprim17ROCPRIM_400000_NS6detail17trampoline_kernelINS0_14default_configENS1_36segmented_radix_sort_config_selectorI6__halflEEZNS1_25segmented_radix_sort_implIS3_Lb0EPKS5_PS5_PKlPlN2at6native12_GLOBAL__N_18offset_tEEE10hipError_tPvRmT1_PNSt15iterator_traitsISL_E10value_typeET2_T3_PNSM_ISR_E10value_typeET4_jRbjT5_SX_jjP12ihipStream_tbEUlT_E_NS1_11comp_targetILNS1_3genE4ELNS1_11target_archE910ELNS1_3gpuE8ELNS1_3repE0EEENS1_30default_config_static_selectorELNS0_4arch9wavefront6targetE0EEEvSL_.num_vgpr, 0
	.set _ZN7rocprim17ROCPRIM_400000_NS6detail17trampoline_kernelINS0_14default_configENS1_36segmented_radix_sort_config_selectorI6__halflEEZNS1_25segmented_radix_sort_implIS3_Lb0EPKS5_PS5_PKlPlN2at6native12_GLOBAL__N_18offset_tEEE10hipError_tPvRmT1_PNSt15iterator_traitsISL_E10value_typeET2_T3_PNSM_ISR_E10value_typeET4_jRbjT5_SX_jjP12ihipStream_tbEUlT_E_NS1_11comp_targetILNS1_3genE4ELNS1_11target_archE910ELNS1_3gpuE8ELNS1_3repE0EEENS1_30default_config_static_selectorELNS0_4arch9wavefront6targetE0EEEvSL_.num_agpr, 0
	.set _ZN7rocprim17ROCPRIM_400000_NS6detail17trampoline_kernelINS0_14default_configENS1_36segmented_radix_sort_config_selectorI6__halflEEZNS1_25segmented_radix_sort_implIS3_Lb0EPKS5_PS5_PKlPlN2at6native12_GLOBAL__N_18offset_tEEE10hipError_tPvRmT1_PNSt15iterator_traitsISL_E10value_typeET2_T3_PNSM_ISR_E10value_typeET4_jRbjT5_SX_jjP12ihipStream_tbEUlT_E_NS1_11comp_targetILNS1_3genE4ELNS1_11target_archE910ELNS1_3gpuE8ELNS1_3repE0EEENS1_30default_config_static_selectorELNS0_4arch9wavefront6targetE0EEEvSL_.numbered_sgpr, 0
	.set _ZN7rocprim17ROCPRIM_400000_NS6detail17trampoline_kernelINS0_14default_configENS1_36segmented_radix_sort_config_selectorI6__halflEEZNS1_25segmented_radix_sort_implIS3_Lb0EPKS5_PS5_PKlPlN2at6native12_GLOBAL__N_18offset_tEEE10hipError_tPvRmT1_PNSt15iterator_traitsISL_E10value_typeET2_T3_PNSM_ISR_E10value_typeET4_jRbjT5_SX_jjP12ihipStream_tbEUlT_E_NS1_11comp_targetILNS1_3genE4ELNS1_11target_archE910ELNS1_3gpuE8ELNS1_3repE0EEENS1_30default_config_static_selectorELNS0_4arch9wavefront6targetE0EEEvSL_.num_named_barrier, 0
	.set _ZN7rocprim17ROCPRIM_400000_NS6detail17trampoline_kernelINS0_14default_configENS1_36segmented_radix_sort_config_selectorI6__halflEEZNS1_25segmented_radix_sort_implIS3_Lb0EPKS5_PS5_PKlPlN2at6native12_GLOBAL__N_18offset_tEEE10hipError_tPvRmT1_PNSt15iterator_traitsISL_E10value_typeET2_T3_PNSM_ISR_E10value_typeET4_jRbjT5_SX_jjP12ihipStream_tbEUlT_E_NS1_11comp_targetILNS1_3genE4ELNS1_11target_archE910ELNS1_3gpuE8ELNS1_3repE0EEENS1_30default_config_static_selectorELNS0_4arch9wavefront6targetE0EEEvSL_.private_seg_size, 0
	.set _ZN7rocprim17ROCPRIM_400000_NS6detail17trampoline_kernelINS0_14default_configENS1_36segmented_radix_sort_config_selectorI6__halflEEZNS1_25segmented_radix_sort_implIS3_Lb0EPKS5_PS5_PKlPlN2at6native12_GLOBAL__N_18offset_tEEE10hipError_tPvRmT1_PNSt15iterator_traitsISL_E10value_typeET2_T3_PNSM_ISR_E10value_typeET4_jRbjT5_SX_jjP12ihipStream_tbEUlT_E_NS1_11comp_targetILNS1_3genE4ELNS1_11target_archE910ELNS1_3gpuE8ELNS1_3repE0EEENS1_30default_config_static_selectorELNS0_4arch9wavefront6targetE0EEEvSL_.uses_vcc, 0
	.set _ZN7rocprim17ROCPRIM_400000_NS6detail17trampoline_kernelINS0_14default_configENS1_36segmented_radix_sort_config_selectorI6__halflEEZNS1_25segmented_radix_sort_implIS3_Lb0EPKS5_PS5_PKlPlN2at6native12_GLOBAL__N_18offset_tEEE10hipError_tPvRmT1_PNSt15iterator_traitsISL_E10value_typeET2_T3_PNSM_ISR_E10value_typeET4_jRbjT5_SX_jjP12ihipStream_tbEUlT_E_NS1_11comp_targetILNS1_3genE4ELNS1_11target_archE910ELNS1_3gpuE8ELNS1_3repE0EEENS1_30default_config_static_selectorELNS0_4arch9wavefront6targetE0EEEvSL_.uses_flat_scratch, 0
	.set _ZN7rocprim17ROCPRIM_400000_NS6detail17trampoline_kernelINS0_14default_configENS1_36segmented_radix_sort_config_selectorI6__halflEEZNS1_25segmented_radix_sort_implIS3_Lb0EPKS5_PS5_PKlPlN2at6native12_GLOBAL__N_18offset_tEEE10hipError_tPvRmT1_PNSt15iterator_traitsISL_E10value_typeET2_T3_PNSM_ISR_E10value_typeET4_jRbjT5_SX_jjP12ihipStream_tbEUlT_E_NS1_11comp_targetILNS1_3genE4ELNS1_11target_archE910ELNS1_3gpuE8ELNS1_3repE0EEENS1_30default_config_static_selectorELNS0_4arch9wavefront6targetE0EEEvSL_.has_dyn_sized_stack, 0
	.set _ZN7rocprim17ROCPRIM_400000_NS6detail17trampoline_kernelINS0_14default_configENS1_36segmented_radix_sort_config_selectorI6__halflEEZNS1_25segmented_radix_sort_implIS3_Lb0EPKS5_PS5_PKlPlN2at6native12_GLOBAL__N_18offset_tEEE10hipError_tPvRmT1_PNSt15iterator_traitsISL_E10value_typeET2_T3_PNSM_ISR_E10value_typeET4_jRbjT5_SX_jjP12ihipStream_tbEUlT_E_NS1_11comp_targetILNS1_3genE4ELNS1_11target_archE910ELNS1_3gpuE8ELNS1_3repE0EEENS1_30default_config_static_selectorELNS0_4arch9wavefront6targetE0EEEvSL_.has_recursion, 0
	.set _ZN7rocprim17ROCPRIM_400000_NS6detail17trampoline_kernelINS0_14default_configENS1_36segmented_radix_sort_config_selectorI6__halflEEZNS1_25segmented_radix_sort_implIS3_Lb0EPKS5_PS5_PKlPlN2at6native12_GLOBAL__N_18offset_tEEE10hipError_tPvRmT1_PNSt15iterator_traitsISL_E10value_typeET2_T3_PNSM_ISR_E10value_typeET4_jRbjT5_SX_jjP12ihipStream_tbEUlT_E_NS1_11comp_targetILNS1_3genE4ELNS1_11target_archE910ELNS1_3gpuE8ELNS1_3repE0EEENS1_30default_config_static_selectorELNS0_4arch9wavefront6targetE0EEEvSL_.has_indirect_call, 0
	.section	.AMDGPU.csdata,"",@progbits
; Kernel info:
; codeLenInByte = 0
; TotalNumSgprs: 0
; NumVgprs: 0
; ScratchSize: 0
; MemoryBound: 0
; FloatMode: 240
; IeeeMode: 1
; LDSByteSize: 0 bytes/workgroup (compile time only)
; SGPRBlocks: 0
; VGPRBlocks: 0
; NumSGPRsForWavesPerEU: 1
; NumVGPRsForWavesPerEU: 1
; Occupancy: 16
; WaveLimiterHint : 0
; COMPUTE_PGM_RSRC2:SCRATCH_EN: 0
; COMPUTE_PGM_RSRC2:USER_SGPR: 6
; COMPUTE_PGM_RSRC2:TRAP_HANDLER: 0
; COMPUTE_PGM_RSRC2:TGID_X_EN: 1
; COMPUTE_PGM_RSRC2:TGID_Y_EN: 0
; COMPUTE_PGM_RSRC2:TGID_Z_EN: 0
; COMPUTE_PGM_RSRC2:TIDIG_COMP_CNT: 0
	.section	.text._ZN7rocprim17ROCPRIM_400000_NS6detail17trampoline_kernelINS0_14default_configENS1_36segmented_radix_sort_config_selectorI6__halflEEZNS1_25segmented_radix_sort_implIS3_Lb0EPKS5_PS5_PKlPlN2at6native12_GLOBAL__N_18offset_tEEE10hipError_tPvRmT1_PNSt15iterator_traitsISL_E10value_typeET2_T3_PNSM_ISR_E10value_typeET4_jRbjT5_SX_jjP12ihipStream_tbEUlT_E_NS1_11comp_targetILNS1_3genE3ELNS1_11target_archE908ELNS1_3gpuE7ELNS1_3repE0EEENS1_30default_config_static_selectorELNS0_4arch9wavefront6targetE0EEEvSL_,"axG",@progbits,_ZN7rocprim17ROCPRIM_400000_NS6detail17trampoline_kernelINS0_14default_configENS1_36segmented_radix_sort_config_selectorI6__halflEEZNS1_25segmented_radix_sort_implIS3_Lb0EPKS5_PS5_PKlPlN2at6native12_GLOBAL__N_18offset_tEEE10hipError_tPvRmT1_PNSt15iterator_traitsISL_E10value_typeET2_T3_PNSM_ISR_E10value_typeET4_jRbjT5_SX_jjP12ihipStream_tbEUlT_E_NS1_11comp_targetILNS1_3genE3ELNS1_11target_archE908ELNS1_3gpuE7ELNS1_3repE0EEENS1_30default_config_static_selectorELNS0_4arch9wavefront6targetE0EEEvSL_,comdat
	.globl	_ZN7rocprim17ROCPRIM_400000_NS6detail17trampoline_kernelINS0_14default_configENS1_36segmented_radix_sort_config_selectorI6__halflEEZNS1_25segmented_radix_sort_implIS3_Lb0EPKS5_PS5_PKlPlN2at6native12_GLOBAL__N_18offset_tEEE10hipError_tPvRmT1_PNSt15iterator_traitsISL_E10value_typeET2_T3_PNSM_ISR_E10value_typeET4_jRbjT5_SX_jjP12ihipStream_tbEUlT_E_NS1_11comp_targetILNS1_3genE3ELNS1_11target_archE908ELNS1_3gpuE7ELNS1_3repE0EEENS1_30default_config_static_selectorELNS0_4arch9wavefront6targetE0EEEvSL_ ; -- Begin function _ZN7rocprim17ROCPRIM_400000_NS6detail17trampoline_kernelINS0_14default_configENS1_36segmented_radix_sort_config_selectorI6__halflEEZNS1_25segmented_radix_sort_implIS3_Lb0EPKS5_PS5_PKlPlN2at6native12_GLOBAL__N_18offset_tEEE10hipError_tPvRmT1_PNSt15iterator_traitsISL_E10value_typeET2_T3_PNSM_ISR_E10value_typeET4_jRbjT5_SX_jjP12ihipStream_tbEUlT_E_NS1_11comp_targetILNS1_3genE3ELNS1_11target_archE908ELNS1_3gpuE7ELNS1_3repE0EEENS1_30default_config_static_selectorELNS0_4arch9wavefront6targetE0EEEvSL_
	.p2align	8
	.type	_ZN7rocprim17ROCPRIM_400000_NS6detail17trampoline_kernelINS0_14default_configENS1_36segmented_radix_sort_config_selectorI6__halflEEZNS1_25segmented_radix_sort_implIS3_Lb0EPKS5_PS5_PKlPlN2at6native12_GLOBAL__N_18offset_tEEE10hipError_tPvRmT1_PNSt15iterator_traitsISL_E10value_typeET2_T3_PNSM_ISR_E10value_typeET4_jRbjT5_SX_jjP12ihipStream_tbEUlT_E_NS1_11comp_targetILNS1_3genE3ELNS1_11target_archE908ELNS1_3gpuE7ELNS1_3repE0EEENS1_30default_config_static_selectorELNS0_4arch9wavefront6targetE0EEEvSL_,@function
_ZN7rocprim17ROCPRIM_400000_NS6detail17trampoline_kernelINS0_14default_configENS1_36segmented_radix_sort_config_selectorI6__halflEEZNS1_25segmented_radix_sort_implIS3_Lb0EPKS5_PS5_PKlPlN2at6native12_GLOBAL__N_18offset_tEEE10hipError_tPvRmT1_PNSt15iterator_traitsISL_E10value_typeET2_T3_PNSM_ISR_E10value_typeET4_jRbjT5_SX_jjP12ihipStream_tbEUlT_E_NS1_11comp_targetILNS1_3genE3ELNS1_11target_archE908ELNS1_3gpuE7ELNS1_3repE0EEENS1_30default_config_static_selectorELNS0_4arch9wavefront6targetE0EEEvSL_: ; @_ZN7rocprim17ROCPRIM_400000_NS6detail17trampoline_kernelINS0_14default_configENS1_36segmented_radix_sort_config_selectorI6__halflEEZNS1_25segmented_radix_sort_implIS3_Lb0EPKS5_PS5_PKlPlN2at6native12_GLOBAL__N_18offset_tEEE10hipError_tPvRmT1_PNSt15iterator_traitsISL_E10value_typeET2_T3_PNSM_ISR_E10value_typeET4_jRbjT5_SX_jjP12ihipStream_tbEUlT_E_NS1_11comp_targetILNS1_3genE3ELNS1_11target_archE908ELNS1_3gpuE7ELNS1_3repE0EEENS1_30default_config_static_selectorELNS0_4arch9wavefront6targetE0EEEvSL_
; %bb.0:
	.section	.rodata,"a",@progbits
	.p2align	6, 0x0
	.amdhsa_kernel _ZN7rocprim17ROCPRIM_400000_NS6detail17trampoline_kernelINS0_14default_configENS1_36segmented_radix_sort_config_selectorI6__halflEEZNS1_25segmented_radix_sort_implIS3_Lb0EPKS5_PS5_PKlPlN2at6native12_GLOBAL__N_18offset_tEEE10hipError_tPvRmT1_PNSt15iterator_traitsISL_E10value_typeET2_T3_PNSM_ISR_E10value_typeET4_jRbjT5_SX_jjP12ihipStream_tbEUlT_E_NS1_11comp_targetILNS1_3genE3ELNS1_11target_archE908ELNS1_3gpuE7ELNS1_3repE0EEENS1_30default_config_static_selectorELNS0_4arch9wavefront6targetE0EEEvSL_
		.amdhsa_group_segment_fixed_size 0
		.amdhsa_private_segment_fixed_size 0
		.amdhsa_kernarg_size 96
		.amdhsa_user_sgpr_count 6
		.amdhsa_user_sgpr_private_segment_buffer 1
		.amdhsa_user_sgpr_dispatch_ptr 0
		.amdhsa_user_sgpr_queue_ptr 0
		.amdhsa_user_sgpr_kernarg_segment_ptr 1
		.amdhsa_user_sgpr_dispatch_id 0
		.amdhsa_user_sgpr_flat_scratch_init 0
		.amdhsa_user_sgpr_private_segment_size 0
		.amdhsa_wavefront_size32 1
		.amdhsa_uses_dynamic_stack 0
		.amdhsa_system_sgpr_private_segment_wavefront_offset 0
		.amdhsa_system_sgpr_workgroup_id_x 1
		.amdhsa_system_sgpr_workgroup_id_y 0
		.amdhsa_system_sgpr_workgroup_id_z 0
		.amdhsa_system_sgpr_workgroup_info 0
		.amdhsa_system_vgpr_workitem_id 0
		.amdhsa_next_free_vgpr 1
		.amdhsa_next_free_sgpr 1
		.amdhsa_reserve_vcc 0
		.amdhsa_reserve_flat_scratch 0
		.amdhsa_float_round_mode_32 0
		.amdhsa_float_round_mode_16_64 0
		.amdhsa_float_denorm_mode_32 3
		.amdhsa_float_denorm_mode_16_64 3
		.amdhsa_dx10_clamp 1
		.amdhsa_ieee_mode 1
		.amdhsa_fp16_overflow 0
		.amdhsa_workgroup_processor_mode 1
		.amdhsa_memory_ordered 1
		.amdhsa_forward_progress 1
		.amdhsa_shared_vgpr_count 0
		.amdhsa_exception_fp_ieee_invalid_op 0
		.amdhsa_exception_fp_denorm_src 0
		.amdhsa_exception_fp_ieee_div_zero 0
		.amdhsa_exception_fp_ieee_overflow 0
		.amdhsa_exception_fp_ieee_underflow 0
		.amdhsa_exception_fp_ieee_inexact 0
		.amdhsa_exception_int_div_zero 0
	.end_amdhsa_kernel
	.section	.text._ZN7rocprim17ROCPRIM_400000_NS6detail17trampoline_kernelINS0_14default_configENS1_36segmented_radix_sort_config_selectorI6__halflEEZNS1_25segmented_radix_sort_implIS3_Lb0EPKS5_PS5_PKlPlN2at6native12_GLOBAL__N_18offset_tEEE10hipError_tPvRmT1_PNSt15iterator_traitsISL_E10value_typeET2_T3_PNSM_ISR_E10value_typeET4_jRbjT5_SX_jjP12ihipStream_tbEUlT_E_NS1_11comp_targetILNS1_3genE3ELNS1_11target_archE908ELNS1_3gpuE7ELNS1_3repE0EEENS1_30default_config_static_selectorELNS0_4arch9wavefront6targetE0EEEvSL_,"axG",@progbits,_ZN7rocprim17ROCPRIM_400000_NS6detail17trampoline_kernelINS0_14default_configENS1_36segmented_radix_sort_config_selectorI6__halflEEZNS1_25segmented_radix_sort_implIS3_Lb0EPKS5_PS5_PKlPlN2at6native12_GLOBAL__N_18offset_tEEE10hipError_tPvRmT1_PNSt15iterator_traitsISL_E10value_typeET2_T3_PNSM_ISR_E10value_typeET4_jRbjT5_SX_jjP12ihipStream_tbEUlT_E_NS1_11comp_targetILNS1_3genE3ELNS1_11target_archE908ELNS1_3gpuE7ELNS1_3repE0EEENS1_30default_config_static_selectorELNS0_4arch9wavefront6targetE0EEEvSL_,comdat
.Lfunc_end1835:
	.size	_ZN7rocprim17ROCPRIM_400000_NS6detail17trampoline_kernelINS0_14default_configENS1_36segmented_radix_sort_config_selectorI6__halflEEZNS1_25segmented_radix_sort_implIS3_Lb0EPKS5_PS5_PKlPlN2at6native12_GLOBAL__N_18offset_tEEE10hipError_tPvRmT1_PNSt15iterator_traitsISL_E10value_typeET2_T3_PNSM_ISR_E10value_typeET4_jRbjT5_SX_jjP12ihipStream_tbEUlT_E_NS1_11comp_targetILNS1_3genE3ELNS1_11target_archE908ELNS1_3gpuE7ELNS1_3repE0EEENS1_30default_config_static_selectorELNS0_4arch9wavefront6targetE0EEEvSL_, .Lfunc_end1835-_ZN7rocprim17ROCPRIM_400000_NS6detail17trampoline_kernelINS0_14default_configENS1_36segmented_radix_sort_config_selectorI6__halflEEZNS1_25segmented_radix_sort_implIS3_Lb0EPKS5_PS5_PKlPlN2at6native12_GLOBAL__N_18offset_tEEE10hipError_tPvRmT1_PNSt15iterator_traitsISL_E10value_typeET2_T3_PNSM_ISR_E10value_typeET4_jRbjT5_SX_jjP12ihipStream_tbEUlT_E_NS1_11comp_targetILNS1_3genE3ELNS1_11target_archE908ELNS1_3gpuE7ELNS1_3repE0EEENS1_30default_config_static_selectorELNS0_4arch9wavefront6targetE0EEEvSL_
                                        ; -- End function
	.set _ZN7rocprim17ROCPRIM_400000_NS6detail17trampoline_kernelINS0_14default_configENS1_36segmented_radix_sort_config_selectorI6__halflEEZNS1_25segmented_radix_sort_implIS3_Lb0EPKS5_PS5_PKlPlN2at6native12_GLOBAL__N_18offset_tEEE10hipError_tPvRmT1_PNSt15iterator_traitsISL_E10value_typeET2_T3_PNSM_ISR_E10value_typeET4_jRbjT5_SX_jjP12ihipStream_tbEUlT_E_NS1_11comp_targetILNS1_3genE3ELNS1_11target_archE908ELNS1_3gpuE7ELNS1_3repE0EEENS1_30default_config_static_selectorELNS0_4arch9wavefront6targetE0EEEvSL_.num_vgpr, 0
	.set _ZN7rocprim17ROCPRIM_400000_NS6detail17trampoline_kernelINS0_14default_configENS1_36segmented_radix_sort_config_selectorI6__halflEEZNS1_25segmented_radix_sort_implIS3_Lb0EPKS5_PS5_PKlPlN2at6native12_GLOBAL__N_18offset_tEEE10hipError_tPvRmT1_PNSt15iterator_traitsISL_E10value_typeET2_T3_PNSM_ISR_E10value_typeET4_jRbjT5_SX_jjP12ihipStream_tbEUlT_E_NS1_11comp_targetILNS1_3genE3ELNS1_11target_archE908ELNS1_3gpuE7ELNS1_3repE0EEENS1_30default_config_static_selectorELNS0_4arch9wavefront6targetE0EEEvSL_.num_agpr, 0
	.set _ZN7rocprim17ROCPRIM_400000_NS6detail17trampoline_kernelINS0_14default_configENS1_36segmented_radix_sort_config_selectorI6__halflEEZNS1_25segmented_radix_sort_implIS3_Lb0EPKS5_PS5_PKlPlN2at6native12_GLOBAL__N_18offset_tEEE10hipError_tPvRmT1_PNSt15iterator_traitsISL_E10value_typeET2_T3_PNSM_ISR_E10value_typeET4_jRbjT5_SX_jjP12ihipStream_tbEUlT_E_NS1_11comp_targetILNS1_3genE3ELNS1_11target_archE908ELNS1_3gpuE7ELNS1_3repE0EEENS1_30default_config_static_selectorELNS0_4arch9wavefront6targetE0EEEvSL_.numbered_sgpr, 0
	.set _ZN7rocprim17ROCPRIM_400000_NS6detail17trampoline_kernelINS0_14default_configENS1_36segmented_radix_sort_config_selectorI6__halflEEZNS1_25segmented_radix_sort_implIS3_Lb0EPKS5_PS5_PKlPlN2at6native12_GLOBAL__N_18offset_tEEE10hipError_tPvRmT1_PNSt15iterator_traitsISL_E10value_typeET2_T3_PNSM_ISR_E10value_typeET4_jRbjT5_SX_jjP12ihipStream_tbEUlT_E_NS1_11comp_targetILNS1_3genE3ELNS1_11target_archE908ELNS1_3gpuE7ELNS1_3repE0EEENS1_30default_config_static_selectorELNS0_4arch9wavefront6targetE0EEEvSL_.num_named_barrier, 0
	.set _ZN7rocprim17ROCPRIM_400000_NS6detail17trampoline_kernelINS0_14default_configENS1_36segmented_radix_sort_config_selectorI6__halflEEZNS1_25segmented_radix_sort_implIS3_Lb0EPKS5_PS5_PKlPlN2at6native12_GLOBAL__N_18offset_tEEE10hipError_tPvRmT1_PNSt15iterator_traitsISL_E10value_typeET2_T3_PNSM_ISR_E10value_typeET4_jRbjT5_SX_jjP12ihipStream_tbEUlT_E_NS1_11comp_targetILNS1_3genE3ELNS1_11target_archE908ELNS1_3gpuE7ELNS1_3repE0EEENS1_30default_config_static_selectorELNS0_4arch9wavefront6targetE0EEEvSL_.private_seg_size, 0
	.set _ZN7rocprim17ROCPRIM_400000_NS6detail17trampoline_kernelINS0_14default_configENS1_36segmented_radix_sort_config_selectorI6__halflEEZNS1_25segmented_radix_sort_implIS3_Lb0EPKS5_PS5_PKlPlN2at6native12_GLOBAL__N_18offset_tEEE10hipError_tPvRmT1_PNSt15iterator_traitsISL_E10value_typeET2_T3_PNSM_ISR_E10value_typeET4_jRbjT5_SX_jjP12ihipStream_tbEUlT_E_NS1_11comp_targetILNS1_3genE3ELNS1_11target_archE908ELNS1_3gpuE7ELNS1_3repE0EEENS1_30default_config_static_selectorELNS0_4arch9wavefront6targetE0EEEvSL_.uses_vcc, 0
	.set _ZN7rocprim17ROCPRIM_400000_NS6detail17trampoline_kernelINS0_14default_configENS1_36segmented_radix_sort_config_selectorI6__halflEEZNS1_25segmented_radix_sort_implIS3_Lb0EPKS5_PS5_PKlPlN2at6native12_GLOBAL__N_18offset_tEEE10hipError_tPvRmT1_PNSt15iterator_traitsISL_E10value_typeET2_T3_PNSM_ISR_E10value_typeET4_jRbjT5_SX_jjP12ihipStream_tbEUlT_E_NS1_11comp_targetILNS1_3genE3ELNS1_11target_archE908ELNS1_3gpuE7ELNS1_3repE0EEENS1_30default_config_static_selectorELNS0_4arch9wavefront6targetE0EEEvSL_.uses_flat_scratch, 0
	.set _ZN7rocprim17ROCPRIM_400000_NS6detail17trampoline_kernelINS0_14default_configENS1_36segmented_radix_sort_config_selectorI6__halflEEZNS1_25segmented_radix_sort_implIS3_Lb0EPKS5_PS5_PKlPlN2at6native12_GLOBAL__N_18offset_tEEE10hipError_tPvRmT1_PNSt15iterator_traitsISL_E10value_typeET2_T3_PNSM_ISR_E10value_typeET4_jRbjT5_SX_jjP12ihipStream_tbEUlT_E_NS1_11comp_targetILNS1_3genE3ELNS1_11target_archE908ELNS1_3gpuE7ELNS1_3repE0EEENS1_30default_config_static_selectorELNS0_4arch9wavefront6targetE0EEEvSL_.has_dyn_sized_stack, 0
	.set _ZN7rocprim17ROCPRIM_400000_NS6detail17trampoline_kernelINS0_14default_configENS1_36segmented_radix_sort_config_selectorI6__halflEEZNS1_25segmented_radix_sort_implIS3_Lb0EPKS5_PS5_PKlPlN2at6native12_GLOBAL__N_18offset_tEEE10hipError_tPvRmT1_PNSt15iterator_traitsISL_E10value_typeET2_T3_PNSM_ISR_E10value_typeET4_jRbjT5_SX_jjP12ihipStream_tbEUlT_E_NS1_11comp_targetILNS1_3genE3ELNS1_11target_archE908ELNS1_3gpuE7ELNS1_3repE0EEENS1_30default_config_static_selectorELNS0_4arch9wavefront6targetE0EEEvSL_.has_recursion, 0
	.set _ZN7rocprim17ROCPRIM_400000_NS6detail17trampoline_kernelINS0_14default_configENS1_36segmented_radix_sort_config_selectorI6__halflEEZNS1_25segmented_radix_sort_implIS3_Lb0EPKS5_PS5_PKlPlN2at6native12_GLOBAL__N_18offset_tEEE10hipError_tPvRmT1_PNSt15iterator_traitsISL_E10value_typeET2_T3_PNSM_ISR_E10value_typeET4_jRbjT5_SX_jjP12ihipStream_tbEUlT_E_NS1_11comp_targetILNS1_3genE3ELNS1_11target_archE908ELNS1_3gpuE7ELNS1_3repE0EEENS1_30default_config_static_selectorELNS0_4arch9wavefront6targetE0EEEvSL_.has_indirect_call, 0
	.section	.AMDGPU.csdata,"",@progbits
; Kernel info:
; codeLenInByte = 0
; TotalNumSgprs: 0
; NumVgprs: 0
; ScratchSize: 0
; MemoryBound: 0
; FloatMode: 240
; IeeeMode: 1
; LDSByteSize: 0 bytes/workgroup (compile time only)
; SGPRBlocks: 0
; VGPRBlocks: 0
; NumSGPRsForWavesPerEU: 1
; NumVGPRsForWavesPerEU: 1
; Occupancy: 16
; WaveLimiterHint : 0
; COMPUTE_PGM_RSRC2:SCRATCH_EN: 0
; COMPUTE_PGM_RSRC2:USER_SGPR: 6
; COMPUTE_PGM_RSRC2:TRAP_HANDLER: 0
; COMPUTE_PGM_RSRC2:TGID_X_EN: 1
; COMPUTE_PGM_RSRC2:TGID_Y_EN: 0
; COMPUTE_PGM_RSRC2:TGID_Z_EN: 0
; COMPUTE_PGM_RSRC2:TIDIG_COMP_CNT: 0
	.section	.text._ZN7rocprim17ROCPRIM_400000_NS6detail17trampoline_kernelINS0_14default_configENS1_36segmented_radix_sort_config_selectorI6__halflEEZNS1_25segmented_radix_sort_implIS3_Lb0EPKS5_PS5_PKlPlN2at6native12_GLOBAL__N_18offset_tEEE10hipError_tPvRmT1_PNSt15iterator_traitsISL_E10value_typeET2_T3_PNSM_ISR_E10value_typeET4_jRbjT5_SX_jjP12ihipStream_tbEUlT_E_NS1_11comp_targetILNS1_3genE2ELNS1_11target_archE906ELNS1_3gpuE6ELNS1_3repE0EEENS1_30default_config_static_selectorELNS0_4arch9wavefront6targetE0EEEvSL_,"axG",@progbits,_ZN7rocprim17ROCPRIM_400000_NS6detail17trampoline_kernelINS0_14default_configENS1_36segmented_radix_sort_config_selectorI6__halflEEZNS1_25segmented_radix_sort_implIS3_Lb0EPKS5_PS5_PKlPlN2at6native12_GLOBAL__N_18offset_tEEE10hipError_tPvRmT1_PNSt15iterator_traitsISL_E10value_typeET2_T3_PNSM_ISR_E10value_typeET4_jRbjT5_SX_jjP12ihipStream_tbEUlT_E_NS1_11comp_targetILNS1_3genE2ELNS1_11target_archE906ELNS1_3gpuE6ELNS1_3repE0EEENS1_30default_config_static_selectorELNS0_4arch9wavefront6targetE0EEEvSL_,comdat
	.globl	_ZN7rocprim17ROCPRIM_400000_NS6detail17trampoline_kernelINS0_14default_configENS1_36segmented_radix_sort_config_selectorI6__halflEEZNS1_25segmented_radix_sort_implIS3_Lb0EPKS5_PS5_PKlPlN2at6native12_GLOBAL__N_18offset_tEEE10hipError_tPvRmT1_PNSt15iterator_traitsISL_E10value_typeET2_T3_PNSM_ISR_E10value_typeET4_jRbjT5_SX_jjP12ihipStream_tbEUlT_E_NS1_11comp_targetILNS1_3genE2ELNS1_11target_archE906ELNS1_3gpuE6ELNS1_3repE0EEENS1_30default_config_static_selectorELNS0_4arch9wavefront6targetE0EEEvSL_ ; -- Begin function _ZN7rocprim17ROCPRIM_400000_NS6detail17trampoline_kernelINS0_14default_configENS1_36segmented_radix_sort_config_selectorI6__halflEEZNS1_25segmented_radix_sort_implIS3_Lb0EPKS5_PS5_PKlPlN2at6native12_GLOBAL__N_18offset_tEEE10hipError_tPvRmT1_PNSt15iterator_traitsISL_E10value_typeET2_T3_PNSM_ISR_E10value_typeET4_jRbjT5_SX_jjP12ihipStream_tbEUlT_E_NS1_11comp_targetILNS1_3genE2ELNS1_11target_archE906ELNS1_3gpuE6ELNS1_3repE0EEENS1_30default_config_static_selectorELNS0_4arch9wavefront6targetE0EEEvSL_
	.p2align	8
	.type	_ZN7rocprim17ROCPRIM_400000_NS6detail17trampoline_kernelINS0_14default_configENS1_36segmented_radix_sort_config_selectorI6__halflEEZNS1_25segmented_radix_sort_implIS3_Lb0EPKS5_PS5_PKlPlN2at6native12_GLOBAL__N_18offset_tEEE10hipError_tPvRmT1_PNSt15iterator_traitsISL_E10value_typeET2_T3_PNSM_ISR_E10value_typeET4_jRbjT5_SX_jjP12ihipStream_tbEUlT_E_NS1_11comp_targetILNS1_3genE2ELNS1_11target_archE906ELNS1_3gpuE6ELNS1_3repE0EEENS1_30default_config_static_selectorELNS0_4arch9wavefront6targetE0EEEvSL_,@function
_ZN7rocprim17ROCPRIM_400000_NS6detail17trampoline_kernelINS0_14default_configENS1_36segmented_radix_sort_config_selectorI6__halflEEZNS1_25segmented_radix_sort_implIS3_Lb0EPKS5_PS5_PKlPlN2at6native12_GLOBAL__N_18offset_tEEE10hipError_tPvRmT1_PNSt15iterator_traitsISL_E10value_typeET2_T3_PNSM_ISR_E10value_typeET4_jRbjT5_SX_jjP12ihipStream_tbEUlT_E_NS1_11comp_targetILNS1_3genE2ELNS1_11target_archE906ELNS1_3gpuE6ELNS1_3repE0EEENS1_30default_config_static_selectorELNS0_4arch9wavefront6targetE0EEEvSL_: ; @_ZN7rocprim17ROCPRIM_400000_NS6detail17trampoline_kernelINS0_14default_configENS1_36segmented_radix_sort_config_selectorI6__halflEEZNS1_25segmented_radix_sort_implIS3_Lb0EPKS5_PS5_PKlPlN2at6native12_GLOBAL__N_18offset_tEEE10hipError_tPvRmT1_PNSt15iterator_traitsISL_E10value_typeET2_T3_PNSM_ISR_E10value_typeET4_jRbjT5_SX_jjP12ihipStream_tbEUlT_E_NS1_11comp_targetILNS1_3genE2ELNS1_11target_archE906ELNS1_3gpuE6ELNS1_3repE0EEENS1_30default_config_static_selectorELNS0_4arch9wavefront6targetE0EEEvSL_
; %bb.0:
	.section	.rodata,"a",@progbits
	.p2align	6, 0x0
	.amdhsa_kernel _ZN7rocprim17ROCPRIM_400000_NS6detail17trampoline_kernelINS0_14default_configENS1_36segmented_radix_sort_config_selectorI6__halflEEZNS1_25segmented_radix_sort_implIS3_Lb0EPKS5_PS5_PKlPlN2at6native12_GLOBAL__N_18offset_tEEE10hipError_tPvRmT1_PNSt15iterator_traitsISL_E10value_typeET2_T3_PNSM_ISR_E10value_typeET4_jRbjT5_SX_jjP12ihipStream_tbEUlT_E_NS1_11comp_targetILNS1_3genE2ELNS1_11target_archE906ELNS1_3gpuE6ELNS1_3repE0EEENS1_30default_config_static_selectorELNS0_4arch9wavefront6targetE0EEEvSL_
		.amdhsa_group_segment_fixed_size 0
		.amdhsa_private_segment_fixed_size 0
		.amdhsa_kernarg_size 96
		.amdhsa_user_sgpr_count 6
		.amdhsa_user_sgpr_private_segment_buffer 1
		.amdhsa_user_sgpr_dispatch_ptr 0
		.amdhsa_user_sgpr_queue_ptr 0
		.amdhsa_user_sgpr_kernarg_segment_ptr 1
		.amdhsa_user_sgpr_dispatch_id 0
		.amdhsa_user_sgpr_flat_scratch_init 0
		.amdhsa_user_sgpr_private_segment_size 0
		.amdhsa_wavefront_size32 1
		.amdhsa_uses_dynamic_stack 0
		.amdhsa_system_sgpr_private_segment_wavefront_offset 0
		.amdhsa_system_sgpr_workgroup_id_x 1
		.amdhsa_system_sgpr_workgroup_id_y 0
		.amdhsa_system_sgpr_workgroup_id_z 0
		.amdhsa_system_sgpr_workgroup_info 0
		.amdhsa_system_vgpr_workitem_id 0
		.amdhsa_next_free_vgpr 1
		.amdhsa_next_free_sgpr 1
		.amdhsa_reserve_vcc 0
		.amdhsa_reserve_flat_scratch 0
		.amdhsa_float_round_mode_32 0
		.amdhsa_float_round_mode_16_64 0
		.amdhsa_float_denorm_mode_32 3
		.amdhsa_float_denorm_mode_16_64 3
		.amdhsa_dx10_clamp 1
		.amdhsa_ieee_mode 1
		.amdhsa_fp16_overflow 0
		.amdhsa_workgroup_processor_mode 1
		.amdhsa_memory_ordered 1
		.amdhsa_forward_progress 1
		.amdhsa_shared_vgpr_count 0
		.amdhsa_exception_fp_ieee_invalid_op 0
		.amdhsa_exception_fp_denorm_src 0
		.amdhsa_exception_fp_ieee_div_zero 0
		.amdhsa_exception_fp_ieee_overflow 0
		.amdhsa_exception_fp_ieee_underflow 0
		.amdhsa_exception_fp_ieee_inexact 0
		.amdhsa_exception_int_div_zero 0
	.end_amdhsa_kernel
	.section	.text._ZN7rocprim17ROCPRIM_400000_NS6detail17trampoline_kernelINS0_14default_configENS1_36segmented_radix_sort_config_selectorI6__halflEEZNS1_25segmented_radix_sort_implIS3_Lb0EPKS5_PS5_PKlPlN2at6native12_GLOBAL__N_18offset_tEEE10hipError_tPvRmT1_PNSt15iterator_traitsISL_E10value_typeET2_T3_PNSM_ISR_E10value_typeET4_jRbjT5_SX_jjP12ihipStream_tbEUlT_E_NS1_11comp_targetILNS1_3genE2ELNS1_11target_archE906ELNS1_3gpuE6ELNS1_3repE0EEENS1_30default_config_static_selectorELNS0_4arch9wavefront6targetE0EEEvSL_,"axG",@progbits,_ZN7rocprim17ROCPRIM_400000_NS6detail17trampoline_kernelINS0_14default_configENS1_36segmented_radix_sort_config_selectorI6__halflEEZNS1_25segmented_radix_sort_implIS3_Lb0EPKS5_PS5_PKlPlN2at6native12_GLOBAL__N_18offset_tEEE10hipError_tPvRmT1_PNSt15iterator_traitsISL_E10value_typeET2_T3_PNSM_ISR_E10value_typeET4_jRbjT5_SX_jjP12ihipStream_tbEUlT_E_NS1_11comp_targetILNS1_3genE2ELNS1_11target_archE906ELNS1_3gpuE6ELNS1_3repE0EEENS1_30default_config_static_selectorELNS0_4arch9wavefront6targetE0EEEvSL_,comdat
.Lfunc_end1836:
	.size	_ZN7rocprim17ROCPRIM_400000_NS6detail17trampoline_kernelINS0_14default_configENS1_36segmented_radix_sort_config_selectorI6__halflEEZNS1_25segmented_radix_sort_implIS3_Lb0EPKS5_PS5_PKlPlN2at6native12_GLOBAL__N_18offset_tEEE10hipError_tPvRmT1_PNSt15iterator_traitsISL_E10value_typeET2_T3_PNSM_ISR_E10value_typeET4_jRbjT5_SX_jjP12ihipStream_tbEUlT_E_NS1_11comp_targetILNS1_3genE2ELNS1_11target_archE906ELNS1_3gpuE6ELNS1_3repE0EEENS1_30default_config_static_selectorELNS0_4arch9wavefront6targetE0EEEvSL_, .Lfunc_end1836-_ZN7rocprim17ROCPRIM_400000_NS6detail17trampoline_kernelINS0_14default_configENS1_36segmented_radix_sort_config_selectorI6__halflEEZNS1_25segmented_radix_sort_implIS3_Lb0EPKS5_PS5_PKlPlN2at6native12_GLOBAL__N_18offset_tEEE10hipError_tPvRmT1_PNSt15iterator_traitsISL_E10value_typeET2_T3_PNSM_ISR_E10value_typeET4_jRbjT5_SX_jjP12ihipStream_tbEUlT_E_NS1_11comp_targetILNS1_3genE2ELNS1_11target_archE906ELNS1_3gpuE6ELNS1_3repE0EEENS1_30default_config_static_selectorELNS0_4arch9wavefront6targetE0EEEvSL_
                                        ; -- End function
	.set _ZN7rocprim17ROCPRIM_400000_NS6detail17trampoline_kernelINS0_14default_configENS1_36segmented_radix_sort_config_selectorI6__halflEEZNS1_25segmented_radix_sort_implIS3_Lb0EPKS5_PS5_PKlPlN2at6native12_GLOBAL__N_18offset_tEEE10hipError_tPvRmT1_PNSt15iterator_traitsISL_E10value_typeET2_T3_PNSM_ISR_E10value_typeET4_jRbjT5_SX_jjP12ihipStream_tbEUlT_E_NS1_11comp_targetILNS1_3genE2ELNS1_11target_archE906ELNS1_3gpuE6ELNS1_3repE0EEENS1_30default_config_static_selectorELNS0_4arch9wavefront6targetE0EEEvSL_.num_vgpr, 0
	.set _ZN7rocprim17ROCPRIM_400000_NS6detail17trampoline_kernelINS0_14default_configENS1_36segmented_radix_sort_config_selectorI6__halflEEZNS1_25segmented_radix_sort_implIS3_Lb0EPKS5_PS5_PKlPlN2at6native12_GLOBAL__N_18offset_tEEE10hipError_tPvRmT1_PNSt15iterator_traitsISL_E10value_typeET2_T3_PNSM_ISR_E10value_typeET4_jRbjT5_SX_jjP12ihipStream_tbEUlT_E_NS1_11comp_targetILNS1_3genE2ELNS1_11target_archE906ELNS1_3gpuE6ELNS1_3repE0EEENS1_30default_config_static_selectorELNS0_4arch9wavefront6targetE0EEEvSL_.num_agpr, 0
	.set _ZN7rocprim17ROCPRIM_400000_NS6detail17trampoline_kernelINS0_14default_configENS1_36segmented_radix_sort_config_selectorI6__halflEEZNS1_25segmented_radix_sort_implIS3_Lb0EPKS5_PS5_PKlPlN2at6native12_GLOBAL__N_18offset_tEEE10hipError_tPvRmT1_PNSt15iterator_traitsISL_E10value_typeET2_T3_PNSM_ISR_E10value_typeET4_jRbjT5_SX_jjP12ihipStream_tbEUlT_E_NS1_11comp_targetILNS1_3genE2ELNS1_11target_archE906ELNS1_3gpuE6ELNS1_3repE0EEENS1_30default_config_static_selectorELNS0_4arch9wavefront6targetE0EEEvSL_.numbered_sgpr, 0
	.set _ZN7rocprim17ROCPRIM_400000_NS6detail17trampoline_kernelINS0_14default_configENS1_36segmented_radix_sort_config_selectorI6__halflEEZNS1_25segmented_radix_sort_implIS3_Lb0EPKS5_PS5_PKlPlN2at6native12_GLOBAL__N_18offset_tEEE10hipError_tPvRmT1_PNSt15iterator_traitsISL_E10value_typeET2_T3_PNSM_ISR_E10value_typeET4_jRbjT5_SX_jjP12ihipStream_tbEUlT_E_NS1_11comp_targetILNS1_3genE2ELNS1_11target_archE906ELNS1_3gpuE6ELNS1_3repE0EEENS1_30default_config_static_selectorELNS0_4arch9wavefront6targetE0EEEvSL_.num_named_barrier, 0
	.set _ZN7rocprim17ROCPRIM_400000_NS6detail17trampoline_kernelINS0_14default_configENS1_36segmented_radix_sort_config_selectorI6__halflEEZNS1_25segmented_radix_sort_implIS3_Lb0EPKS5_PS5_PKlPlN2at6native12_GLOBAL__N_18offset_tEEE10hipError_tPvRmT1_PNSt15iterator_traitsISL_E10value_typeET2_T3_PNSM_ISR_E10value_typeET4_jRbjT5_SX_jjP12ihipStream_tbEUlT_E_NS1_11comp_targetILNS1_3genE2ELNS1_11target_archE906ELNS1_3gpuE6ELNS1_3repE0EEENS1_30default_config_static_selectorELNS0_4arch9wavefront6targetE0EEEvSL_.private_seg_size, 0
	.set _ZN7rocprim17ROCPRIM_400000_NS6detail17trampoline_kernelINS0_14default_configENS1_36segmented_radix_sort_config_selectorI6__halflEEZNS1_25segmented_radix_sort_implIS3_Lb0EPKS5_PS5_PKlPlN2at6native12_GLOBAL__N_18offset_tEEE10hipError_tPvRmT1_PNSt15iterator_traitsISL_E10value_typeET2_T3_PNSM_ISR_E10value_typeET4_jRbjT5_SX_jjP12ihipStream_tbEUlT_E_NS1_11comp_targetILNS1_3genE2ELNS1_11target_archE906ELNS1_3gpuE6ELNS1_3repE0EEENS1_30default_config_static_selectorELNS0_4arch9wavefront6targetE0EEEvSL_.uses_vcc, 0
	.set _ZN7rocprim17ROCPRIM_400000_NS6detail17trampoline_kernelINS0_14default_configENS1_36segmented_radix_sort_config_selectorI6__halflEEZNS1_25segmented_radix_sort_implIS3_Lb0EPKS5_PS5_PKlPlN2at6native12_GLOBAL__N_18offset_tEEE10hipError_tPvRmT1_PNSt15iterator_traitsISL_E10value_typeET2_T3_PNSM_ISR_E10value_typeET4_jRbjT5_SX_jjP12ihipStream_tbEUlT_E_NS1_11comp_targetILNS1_3genE2ELNS1_11target_archE906ELNS1_3gpuE6ELNS1_3repE0EEENS1_30default_config_static_selectorELNS0_4arch9wavefront6targetE0EEEvSL_.uses_flat_scratch, 0
	.set _ZN7rocprim17ROCPRIM_400000_NS6detail17trampoline_kernelINS0_14default_configENS1_36segmented_radix_sort_config_selectorI6__halflEEZNS1_25segmented_radix_sort_implIS3_Lb0EPKS5_PS5_PKlPlN2at6native12_GLOBAL__N_18offset_tEEE10hipError_tPvRmT1_PNSt15iterator_traitsISL_E10value_typeET2_T3_PNSM_ISR_E10value_typeET4_jRbjT5_SX_jjP12ihipStream_tbEUlT_E_NS1_11comp_targetILNS1_3genE2ELNS1_11target_archE906ELNS1_3gpuE6ELNS1_3repE0EEENS1_30default_config_static_selectorELNS0_4arch9wavefront6targetE0EEEvSL_.has_dyn_sized_stack, 0
	.set _ZN7rocprim17ROCPRIM_400000_NS6detail17trampoline_kernelINS0_14default_configENS1_36segmented_radix_sort_config_selectorI6__halflEEZNS1_25segmented_radix_sort_implIS3_Lb0EPKS5_PS5_PKlPlN2at6native12_GLOBAL__N_18offset_tEEE10hipError_tPvRmT1_PNSt15iterator_traitsISL_E10value_typeET2_T3_PNSM_ISR_E10value_typeET4_jRbjT5_SX_jjP12ihipStream_tbEUlT_E_NS1_11comp_targetILNS1_3genE2ELNS1_11target_archE906ELNS1_3gpuE6ELNS1_3repE0EEENS1_30default_config_static_selectorELNS0_4arch9wavefront6targetE0EEEvSL_.has_recursion, 0
	.set _ZN7rocprim17ROCPRIM_400000_NS6detail17trampoline_kernelINS0_14default_configENS1_36segmented_radix_sort_config_selectorI6__halflEEZNS1_25segmented_radix_sort_implIS3_Lb0EPKS5_PS5_PKlPlN2at6native12_GLOBAL__N_18offset_tEEE10hipError_tPvRmT1_PNSt15iterator_traitsISL_E10value_typeET2_T3_PNSM_ISR_E10value_typeET4_jRbjT5_SX_jjP12ihipStream_tbEUlT_E_NS1_11comp_targetILNS1_3genE2ELNS1_11target_archE906ELNS1_3gpuE6ELNS1_3repE0EEENS1_30default_config_static_selectorELNS0_4arch9wavefront6targetE0EEEvSL_.has_indirect_call, 0
	.section	.AMDGPU.csdata,"",@progbits
; Kernel info:
; codeLenInByte = 0
; TotalNumSgprs: 0
; NumVgprs: 0
; ScratchSize: 0
; MemoryBound: 0
; FloatMode: 240
; IeeeMode: 1
; LDSByteSize: 0 bytes/workgroup (compile time only)
; SGPRBlocks: 0
; VGPRBlocks: 0
; NumSGPRsForWavesPerEU: 1
; NumVGPRsForWavesPerEU: 1
; Occupancy: 16
; WaveLimiterHint : 0
; COMPUTE_PGM_RSRC2:SCRATCH_EN: 0
; COMPUTE_PGM_RSRC2:USER_SGPR: 6
; COMPUTE_PGM_RSRC2:TRAP_HANDLER: 0
; COMPUTE_PGM_RSRC2:TGID_X_EN: 1
; COMPUTE_PGM_RSRC2:TGID_Y_EN: 0
; COMPUTE_PGM_RSRC2:TGID_Z_EN: 0
; COMPUTE_PGM_RSRC2:TIDIG_COMP_CNT: 0
	.section	.text._ZN7rocprim17ROCPRIM_400000_NS6detail17trampoline_kernelINS0_14default_configENS1_36segmented_radix_sort_config_selectorI6__halflEEZNS1_25segmented_radix_sort_implIS3_Lb0EPKS5_PS5_PKlPlN2at6native12_GLOBAL__N_18offset_tEEE10hipError_tPvRmT1_PNSt15iterator_traitsISL_E10value_typeET2_T3_PNSM_ISR_E10value_typeET4_jRbjT5_SX_jjP12ihipStream_tbEUlT_E_NS1_11comp_targetILNS1_3genE10ELNS1_11target_archE1201ELNS1_3gpuE5ELNS1_3repE0EEENS1_30default_config_static_selectorELNS0_4arch9wavefront6targetE0EEEvSL_,"axG",@progbits,_ZN7rocprim17ROCPRIM_400000_NS6detail17trampoline_kernelINS0_14default_configENS1_36segmented_radix_sort_config_selectorI6__halflEEZNS1_25segmented_radix_sort_implIS3_Lb0EPKS5_PS5_PKlPlN2at6native12_GLOBAL__N_18offset_tEEE10hipError_tPvRmT1_PNSt15iterator_traitsISL_E10value_typeET2_T3_PNSM_ISR_E10value_typeET4_jRbjT5_SX_jjP12ihipStream_tbEUlT_E_NS1_11comp_targetILNS1_3genE10ELNS1_11target_archE1201ELNS1_3gpuE5ELNS1_3repE0EEENS1_30default_config_static_selectorELNS0_4arch9wavefront6targetE0EEEvSL_,comdat
	.globl	_ZN7rocprim17ROCPRIM_400000_NS6detail17trampoline_kernelINS0_14default_configENS1_36segmented_radix_sort_config_selectorI6__halflEEZNS1_25segmented_radix_sort_implIS3_Lb0EPKS5_PS5_PKlPlN2at6native12_GLOBAL__N_18offset_tEEE10hipError_tPvRmT1_PNSt15iterator_traitsISL_E10value_typeET2_T3_PNSM_ISR_E10value_typeET4_jRbjT5_SX_jjP12ihipStream_tbEUlT_E_NS1_11comp_targetILNS1_3genE10ELNS1_11target_archE1201ELNS1_3gpuE5ELNS1_3repE0EEENS1_30default_config_static_selectorELNS0_4arch9wavefront6targetE0EEEvSL_ ; -- Begin function _ZN7rocprim17ROCPRIM_400000_NS6detail17trampoline_kernelINS0_14default_configENS1_36segmented_radix_sort_config_selectorI6__halflEEZNS1_25segmented_radix_sort_implIS3_Lb0EPKS5_PS5_PKlPlN2at6native12_GLOBAL__N_18offset_tEEE10hipError_tPvRmT1_PNSt15iterator_traitsISL_E10value_typeET2_T3_PNSM_ISR_E10value_typeET4_jRbjT5_SX_jjP12ihipStream_tbEUlT_E_NS1_11comp_targetILNS1_3genE10ELNS1_11target_archE1201ELNS1_3gpuE5ELNS1_3repE0EEENS1_30default_config_static_selectorELNS0_4arch9wavefront6targetE0EEEvSL_
	.p2align	8
	.type	_ZN7rocprim17ROCPRIM_400000_NS6detail17trampoline_kernelINS0_14default_configENS1_36segmented_radix_sort_config_selectorI6__halflEEZNS1_25segmented_radix_sort_implIS3_Lb0EPKS5_PS5_PKlPlN2at6native12_GLOBAL__N_18offset_tEEE10hipError_tPvRmT1_PNSt15iterator_traitsISL_E10value_typeET2_T3_PNSM_ISR_E10value_typeET4_jRbjT5_SX_jjP12ihipStream_tbEUlT_E_NS1_11comp_targetILNS1_3genE10ELNS1_11target_archE1201ELNS1_3gpuE5ELNS1_3repE0EEENS1_30default_config_static_selectorELNS0_4arch9wavefront6targetE0EEEvSL_,@function
_ZN7rocprim17ROCPRIM_400000_NS6detail17trampoline_kernelINS0_14default_configENS1_36segmented_radix_sort_config_selectorI6__halflEEZNS1_25segmented_radix_sort_implIS3_Lb0EPKS5_PS5_PKlPlN2at6native12_GLOBAL__N_18offset_tEEE10hipError_tPvRmT1_PNSt15iterator_traitsISL_E10value_typeET2_T3_PNSM_ISR_E10value_typeET4_jRbjT5_SX_jjP12ihipStream_tbEUlT_E_NS1_11comp_targetILNS1_3genE10ELNS1_11target_archE1201ELNS1_3gpuE5ELNS1_3repE0EEENS1_30default_config_static_selectorELNS0_4arch9wavefront6targetE0EEEvSL_: ; @_ZN7rocprim17ROCPRIM_400000_NS6detail17trampoline_kernelINS0_14default_configENS1_36segmented_radix_sort_config_selectorI6__halflEEZNS1_25segmented_radix_sort_implIS3_Lb0EPKS5_PS5_PKlPlN2at6native12_GLOBAL__N_18offset_tEEE10hipError_tPvRmT1_PNSt15iterator_traitsISL_E10value_typeET2_T3_PNSM_ISR_E10value_typeET4_jRbjT5_SX_jjP12ihipStream_tbEUlT_E_NS1_11comp_targetILNS1_3genE10ELNS1_11target_archE1201ELNS1_3gpuE5ELNS1_3repE0EEENS1_30default_config_static_selectorELNS0_4arch9wavefront6targetE0EEEvSL_
; %bb.0:
	.section	.rodata,"a",@progbits
	.p2align	6, 0x0
	.amdhsa_kernel _ZN7rocprim17ROCPRIM_400000_NS6detail17trampoline_kernelINS0_14default_configENS1_36segmented_radix_sort_config_selectorI6__halflEEZNS1_25segmented_radix_sort_implIS3_Lb0EPKS5_PS5_PKlPlN2at6native12_GLOBAL__N_18offset_tEEE10hipError_tPvRmT1_PNSt15iterator_traitsISL_E10value_typeET2_T3_PNSM_ISR_E10value_typeET4_jRbjT5_SX_jjP12ihipStream_tbEUlT_E_NS1_11comp_targetILNS1_3genE10ELNS1_11target_archE1201ELNS1_3gpuE5ELNS1_3repE0EEENS1_30default_config_static_selectorELNS0_4arch9wavefront6targetE0EEEvSL_
		.amdhsa_group_segment_fixed_size 0
		.amdhsa_private_segment_fixed_size 0
		.amdhsa_kernarg_size 96
		.amdhsa_user_sgpr_count 6
		.amdhsa_user_sgpr_private_segment_buffer 1
		.amdhsa_user_sgpr_dispatch_ptr 0
		.amdhsa_user_sgpr_queue_ptr 0
		.amdhsa_user_sgpr_kernarg_segment_ptr 1
		.amdhsa_user_sgpr_dispatch_id 0
		.amdhsa_user_sgpr_flat_scratch_init 0
		.amdhsa_user_sgpr_private_segment_size 0
		.amdhsa_wavefront_size32 1
		.amdhsa_uses_dynamic_stack 0
		.amdhsa_system_sgpr_private_segment_wavefront_offset 0
		.amdhsa_system_sgpr_workgroup_id_x 1
		.amdhsa_system_sgpr_workgroup_id_y 0
		.amdhsa_system_sgpr_workgroup_id_z 0
		.amdhsa_system_sgpr_workgroup_info 0
		.amdhsa_system_vgpr_workitem_id 0
		.amdhsa_next_free_vgpr 1
		.amdhsa_next_free_sgpr 1
		.amdhsa_reserve_vcc 0
		.amdhsa_reserve_flat_scratch 0
		.amdhsa_float_round_mode_32 0
		.amdhsa_float_round_mode_16_64 0
		.amdhsa_float_denorm_mode_32 3
		.amdhsa_float_denorm_mode_16_64 3
		.amdhsa_dx10_clamp 1
		.amdhsa_ieee_mode 1
		.amdhsa_fp16_overflow 0
		.amdhsa_workgroup_processor_mode 1
		.amdhsa_memory_ordered 1
		.amdhsa_forward_progress 1
		.amdhsa_shared_vgpr_count 0
		.amdhsa_exception_fp_ieee_invalid_op 0
		.amdhsa_exception_fp_denorm_src 0
		.amdhsa_exception_fp_ieee_div_zero 0
		.amdhsa_exception_fp_ieee_overflow 0
		.amdhsa_exception_fp_ieee_underflow 0
		.amdhsa_exception_fp_ieee_inexact 0
		.amdhsa_exception_int_div_zero 0
	.end_amdhsa_kernel
	.section	.text._ZN7rocprim17ROCPRIM_400000_NS6detail17trampoline_kernelINS0_14default_configENS1_36segmented_radix_sort_config_selectorI6__halflEEZNS1_25segmented_radix_sort_implIS3_Lb0EPKS5_PS5_PKlPlN2at6native12_GLOBAL__N_18offset_tEEE10hipError_tPvRmT1_PNSt15iterator_traitsISL_E10value_typeET2_T3_PNSM_ISR_E10value_typeET4_jRbjT5_SX_jjP12ihipStream_tbEUlT_E_NS1_11comp_targetILNS1_3genE10ELNS1_11target_archE1201ELNS1_3gpuE5ELNS1_3repE0EEENS1_30default_config_static_selectorELNS0_4arch9wavefront6targetE0EEEvSL_,"axG",@progbits,_ZN7rocprim17ROCPRIM_400000_NS6detail17trampoline_kernelINS0_14default_configENS1_36segmented_radix_sort_config_selectorI6__halflEEZNS1_25segmented_radix_sort_implIS3_Lb0EPKS5_PS5_PKlPlN2at6native12_GLOBAL__N_18offset_tEEE10hipError_tPvRmT1_PNSt15iterator_traitsISL_E10value_typeET2_T3_PNSM_ISR_E10value_typeET4_jRbjT5_SX_jjP12ihipStream_tbEUlT_E_NS1_11comp_targetILNS1_3genE10ELNS1_11target_archE1201ELNS1_3gpuE5ELNS1_3repE0EEENS1_30default_config_static_selectorELNS0_4arch9wavefront6targetE0EEEvSL_,comdat
.Lfunc_end1837:
	.size	_ZN7rocprim17ROCPRIM_400000_NS6detail17trampoline_kernelINS0_14default_configENS1_36segmented_radix_sort_config_selectorI6__halflEEZNS1_25segmented_radix_sort_implIS3_Lb0EPKS5_PS5_PKlPlN2at6native12_GLOBAL__N_18offset_tEEE10hipError_tPvRmT1_PNSt15iterator_traitsISL_E10value_typeET2_T3_PNSM_ISR_E10value_typeET4_jRbjT5_SX_jjP12ihipStream_tbEUlT_E_NS1_11comp_targetILNS1_3genE10ELNS1_11target_archE1201ELNS1_3gpuE5ELNS1_3repE0EEENS1_30default_config_static_selectorELNS0_4arch9wavefront6targetE0EEEvSL_, .Lfunc_end1837-_ZN7rocprim17ROCPRIM_400000_NS6detail17trampoline_kernelINS0_14default_configENS1_36segmented_radix_sort_config_selectorI6__halflEEZNS1_25segmented_radix_sort_implIS3_Lb0EPKS5_PS5_PKlPlN2at6native12_GLOBAL__N_18offset_tEEE10hipError_tPvRmT1_PNSt15iterator_traitsISL_E10value_typeET2_T3_PNSM_ISR_E10value_typeET4_jRbjT5_SX_jjP12ihipStream_tbEUlT_E_NS1_11comp_targetILNS1_3genE10ELNS1_11target_archE1201ELNS1_3gpuE5ELNS1_3repE0EEENS1_30default_config_static_selectorELNS0_4arch9wavefront6targetE0EEEvSL_
                                        ; -- End function
	.set _ZN7rocprim17ROCPRIM_400000_NS6detail17trampoline_kernelINS0_14default_configENS1_36segmented_radix_sort_config_selectorI6__halflEEZNS1_25segmented_radix_sort_implIS3_Lb0EPKS5_PS5_PKlPlN2at6native12_GLOBAL__N_18offset_tEEE10hipError_tPvRmT1_PNSt15iterator_traitsISL_E10value_typeET2_T3_PNSM_ISR_E10value_typeET4_jRbjT5_SX_jjP12ihipStream_tbEUlT_E_NS1_11comp_targetILNS1_3genE10ELNS1_11target_archE1201ELNS1_3gpuE5ELNS1_3repE0EEENS1_30default_config_static_selectorELNS0_4arch9wavefront6targetE0EEEvSL_.num_vgpr, 0
	.set _ZN7rocprim17ROCPRIM_400000_NS6detail17trampoline_kernelINS0_14default_configENS1_36segmented_radix_sort_config_selectorI6__halflEEZNS1_25segmented_radix_sort_implIS3_Lb0EPKS5_PS5_PKlPlN2at6native12_GLOBAL__N_18offset_tEEE10hipError_tPvRmT1_PNSt15iterator_traitsISL_E10value_typeET2_T3_PNSM_ISR_E10value_typeET4_jRbjT5_SX_jjP12ihipStream_tbEUlT_E_NS1_11comp_targetILNS1_3genE10ELNS1_11target_archE1201ELNS1_3gpuE5ELNS1_3repE0EEENS1_30default_config_static_selectorELNS0_4arch9wavefront6targetE0EEEvSL_.num_agpr, 0
	.set _ZN7rocprim17ROCPRIM_400000_NS6detail17trampoline_kernelINS0_14default_configENS1_36segmented_radix_sort_config_selectorI6__halflEEZNS1_25segmented_radix_sort_implIS3_Lb0EPKS5_PS5_PKlPlN2at6native12_GLOBAL__N_18offset_tEEE10hipError_tPvRmT1_PNSt15iterator_traitsISL_E10value_typeET2_T3_PNSM_ISR_E10value_typeET4_jRbjT5_SX_jjP12ihipStream_tbEUlT_E_NS1_11comp_targetILNS1_3genE10ELNS1_11target_archE1201ELNS1_3gpuE5ELNS1_3repE0EEENS1_30default_config_static_selectorELNS0_4arch9wavefront6targetE0EEEvSL_.numbered_sgpr, 0
	.set _ZN7rocprim17ROCPRIM_400000_NS6detail17trampoline_kernelINS0_14default_configENS1_36segmented_radix_sort_config_selectorI6__halflEEZNS1_25segmented_radix_sort_implIS3_Lb0EPKS5_PS5_PKlPlN2at6native12_GLOBAL__N_18offset_tEEE10hipError_tPvRmT1_PNSt15iterator_traitsISL_E10value_typeET2_T3_PNSM_ISR_E10value_typeET4_jRbjT5_SX_jjP12ihipStream_tbEUlT_E_NS1_11comp_targetILNS1_3genE10ELNS1_11target_archE1201ELNS1_3gpuE5ELNS1_3repE0EEENS1_30default_config_static_selectorELNS0_4arch9wavefront6targetE0EEEvSL_.num_named_barrier, 0
	.set _ZN7rocprim17ROCPRIM_400000_NS6detail17trampoline_kernelINS0_14default_configENS1_36segmented_radix_sort_config_selectorI6__halflEEZNS1_25segmented_radix_sort_implIS3_Lb0EPKS5_PS5_PKlPlN2at6native12_GLOBAL__N_18offset_tEEE10hipError_tPvRmT1_PNSt15iterator_traitsISL_E10value_typeET2_T3_PNSM_ISR_E10value_typeET4_jRbjT5_SX_jjP12ihipStream_tbEUlT_E_NS1_11comp_targetILNS1_3genE10ELNS1_11target_archE1201ELNS1_3gpuE5ELNS1_3repE0EEENS1_30default_config_static_selectorELNS0_4arch9wavefront6targetE0EEEvSL_.private_seg_size, 0
	.set _ZN7rocprim17ROCPRIM_400000_NS6detail17trampoline_kernelINS0_14default_configENS1_36segmented_radix_sort_config_selectorI6__halflEEZNS1_25segmented_radix_sort_implIS3_Lb0EPKS5_PS5_PKlPlN2at6native12_GLOBAL__N_18offset_tEEE10hipError_tPvRmT1_PNSt15iterator_traitsISL_E10value_typeET2_T3_PNSM_ISR_E10value_typeET4_jRbjT5_SX_jjP12ihipStream_tbEUlT_E_NS1_11comp_targetILNS1_3genE10ELNS1_11target_archE1201ELNS1_3gpuE5ELNS1_3repE0EEENS1_30default_config_static_selectorELNS0_4arch9wavefront6targetE0EEEvSL_.uses_vcc, 0
	.set _ZN7rocprim17ROCPRIM_400000_NS6detail17trampoline_kernelINS0_14default_configENS1_36segmented_radix_sort_config_selectorI6__halflEEZNS1_25segmented_radix_sort_implIS3_Lb0EPKS5_PS5_PKlPlN2at6native12_GLOBAL__N_18offset_tEEE10hipError_tPvRmT1_PNSt15iterator_traitsISL_E10value_typeET2_T3_PNSM_ISR_E10value_typeET4_jRbjT5_SX_jjP12ihipStream_tbEUlT_E_NS1_11comp_targetILNS1_3genE10ELNS1_11target_archE1201ELNS1_3gpuE5ELNS1_3repE0EEENS1_30default_config_static_selectorELNS0_4arch9wavefront6targetE0EEEvSL_.uses_flat_scratch, 0
	.set _ZN7rocprim17ROCPRIM_400000_NS6detail17trampoline_kernelINS0_14default_configENS1_36segmented_radix_sort_config_selectorI6__halflEEZNS1_25segmented_radix_sort_implIS3_Lb0EPKS5_PS5_PKlPlN2at6native12_GLOBAL__N_18offset_tEEE10hipError_tPvRmT1_PNSt15iterator_traitsISL_E10value_typeET2_T3_PNSM_ISR_E10value_typeET4_jRbjT5_SX_jjP12ihipStream_tbEUlT_E_NS1_11comp_targetILNS1_3genE10ELNS1_11target_archE1201ELNS1_3gpuE5ELNS1_3repE0EEENS1_30default_config_static_selectorELNS0_4arch9wavefront6targetE0EEEvSL_.has_dyn_sized_stack, 0
	.set _ZN7rocprim17ROCPRIM_400000_NS6detail17trampoline_kernelINS0_14default_configENS1_36segmented_radix_sort_config_selectorI6__halflEEZNS1_25segmented_radix_sort_implIS3_Lb0EPKS5_PS5_PKlPlN2at6native12_GLOBAL__N_18offset_tEEE10hipError_tPvRmT1_PNSt15iterator_traitsISL_E10value_typeET2_T3_PNSM_ISR_E10value_typeET4_jRbjT5_SX_jjP12ihipStream_tbEUlT_E_NS1_11comp_targetILNS1_3genE10ELNS1_11target_archE1201ELNS1_3gpuE5ELNS1_3repE0EEENS1_30default_config_static_selectorELNS0_4arch9wavefront6targetE0EEEvSL_.has_recursion, 0
	.set _ZN7rocprim17ROCPRIM_400000_NS6detail17trampoline_kernelINS0_14default_configENS1_36segmented_radix_sort_config_selectorI6__halflEEZNS1_25segmented_radix_sort_implIS3_Lb0EPKS5_PS5_PKlPlN2at6native12_GLOBAL__N_18offset_tEEE10hipError_tPvRmT1_PNSt15iterator_traitsISL_E10value_typeET2_T3_PNSM_ISR_E10value_typeET4_jRbjT5_SX_jjP12ihipStream_tbEUlT_E_NS1_11comp_targetILNS1_3genE10ELNS1_11target_archE1201ELNS1_3gpuE5ELNS1_3repE0EEENS1_30default_config_static_selectorELNS0_4arch9wavefront6targetE0EEEvSL_.has_indirect_call, 0
	.section	.AMDGPU.csdata,"",@progbits
; Kernel info:
; codeLenInByte = 0
; TotalNumSgprs: 0
; NumVgprs: 0
; ScratchSize: 0
; MemoryBound: 0
; FloatMode: 240
; IeeeMode: 1
; LDSByteSize: 0 bytes/workgroup (compile time only)
; SGPRBlocks: 0
; VGPRBlocks: 0
; NumSGPRsForWavesPerEU: 1
; NumVGPRsForWavesPerEU: 1
; Occupancy: 16
; WaveLimiterHint : 0
; COMPUTE_PGM_RSRC2:SCRATCH_EN: 0
; COMPUTE_PGM_RSRC2:USER_SGPR: 6
; COMPUTE_PGM_RSRC2:TRAP_HANDLER: 0
; COMPUTE_PGM_RSRC2:TGID_X_EN: 1
; COMPUTE_PGM_RSRC2:TGID_Y_EN: 0
; COMPUTE_PGM_RSRC2:TGID_Z_EN: 0
; COMPUTE_PGM_RSRC2:TIDIG_COMP_CNT: 0
	.section	.text._ZN7rocprim17ROCPRIM_400000_NS6detail17trampoline_kernelINS0_14default_configENS1_36segmented_radix_sort_config_selectorI6__halflEEZNS1_25segmented_radix_sort_implIS3_Lb0EPKS5_PS5_PKlPlN2at6native12_GLOBAL__N_18offset_tEEE10hipError_tPvRmT1_PNSt15iterator_traitsISL_E10value_typeET2_T3_PNSM_ISR_E10value_typeET4_jRbjT5_SX_jjP12ihipStream_tbEUlT_E_NS1_11comp_targetILNS1_3genE10ELNS1_11target_archE1200ELNS1_3gpuE4ELNS1_3repE0EEENS1_30default_config_static_selectorELNS0_4arch9wavefront6targetE0EEEvSL_,"axG",@progbits,_ZN7rocprim17ROCPRIM_400000_NS6detail17trampoline_kernelINS0_14default_configENS1_36segmented_radix_sort_config_selectorI6__halflEEZNS1_25segmented_radix_sort_implIS3_Lb0EPKS5_PS5_PKlPlN2at6native12_GLOBAL__N_18offset_tEEE10hipError_tPvRmT1_PNSt15iterator_traitsISL_E10value_typeET2_T3_PNSM_ISR_E10value_typeET4_jRbjT5_SX_jjP12ihipStream_tbEUlT_E_NS1_11comp_targetILNS1_3genE10ELNS1_11target_archE1200ELNS1_3gpuE4ELNS1_3repE0EEENS1_30default_config_static_selectorELNS0_4arch9wavefront6targetE0EEEvSL_,comdat
	.globl	_ZN7rocprim17ROCPRIM_400000_NS6detail17trampoline_kernelINS0_14default_configENS1_36segmented_radix_sort_config_selectorI6__halflEEZNS1_25segmented_radix_sort_implIS3_Lb0EPKS5_PS5_PKlPlN2at6native12_GLOBAL__N_18offset_tEEE10hipError_tPvRmT1_PNSt15iterator_traitsISL_E10value_typeET2_T3_PNSM_ISR_E10value_typeET4_jRbjT5_SX_jjP12ihipStream_tbEUlT_E_NS1_11comp_targetILNS1_3genE10ELNS1_11target_archE1200ELNS1_3gpuE4ELNS1_3repE0EEENS1_30default_config_static_selectorELNS0_4arch9wavefront6targetE0EEEvSL_ ; -- Begin function _ZN7rocprim17ROCPRIM_400000_NS6detail17trampoline_kernelINS0_14default_configENS1_36segmented_radix_sort_config_selectorI6__halflEEZNS1_25segmented_radix_sort_implIS3_Lb0EPKS5_PS5_PKlPlN2at6native12_GLOBAL__N_18offset_tEEE10hipError_tPvRmT1_PNSt15iterator_traitsISL_E10value_typeET2_T3_PNSM_ISR_E10value_typeET4_jRbjT5_SX_jjP12ihipStream_tbEUlT_E_NS1_11comp_targetILNS1_3genE10ELNS1_11target_archE1200ELNS1_3gpuE4ELNS1_3repE0EEENS1_30default_config_static_selectorELNS0_4arch9wavefront6targetE0EEEvSL_
	.p2align	8
	.type	_ZN7rocprim17ROCPRIM_400000_NS6detail17trampoline_kernelINS0_14default_configENS1_36segmented_radix_sort_config_selectorI6__halflEEZNS1_25segmented_radix_sort_implIS3_Lb0EPKS5_PS5_PKlPlN2at6native12_GLOBAL__N_18offset_tEEE10hipError_tPvRmT1_PNSt15iterator_traitsISL_E10value_typeET2_T3_PNSM_ISR_E10value_typeET4_jRbjT5_SX_jjP12ihipStream_tbEUlT_E_NS1_11comp_targetILNS1_3genE10ELNS1_11target_archE1200ELNS1_3gpuE4ELNS1_3repE0EEENS1_30default_config_static_selectorELNS0_4arch9wavefront6targetE0EEEvSL_,@function
_ZN7rocprim17ROCPRIM_400000_NS6detail17trampoline_kernelINS0_14default_configENS1_36segmented_radix_sort_config_selectorI6__halflEEZNS1_25segmented_radix_sort_implIS3_Lb0EPKS5_PS5_PKlPlN2at6native12_GLOBAL__N_18offset_tEEE10hipError_tPvRmT1_PNSt15iterator_traitsISL_E10value_typeET2_T3_PNSM_ISR_E10value_typeET4_jRbjT5_SX_jjP12ihipStream_tbEUlT_E_NS1_11comp_targetILNS1_3genE10ELNS1_11target_archE1200ELNS1_3gpuE4ELNS1_3repE0EEENS1_30default_config_static_selectorELNS0_4arch9wavefront6targetE0EEEvSL_: ; @_ZN7rocprim17ROCPRIM_400000_NS6detail17trampoline_kernelINS0_14default_configENS1_36segmented_radix_sort_config_selectorI6__halflEEZNS1_25segmented_radix_sort_implIS3_Lb0EPKS5_PS5_PKlPlN2at6native12_GLOBAL__N_18offset_tEEE10hipError_tPvRmT1_PNSt15iterator_traitsISL_E10value_typeET2_T3_PNSM_ISR_E10value_typeET4_jRbjT5_SX_jjP12ihipStream_tbEUlT_E_NS1_11comp_targetILNS1_3genE10ELNS1_11target_archE1200ELNS1_3gpuE4ELNS1_3repE0EEENS1_30default_config_static_selectorELNS0_4arch9wavefront6targetE0EEEvSL_
; %bb.0:
	.section	.rodata,"a",@progbits
	.p2align	6, 0x0
	.amdhsa_kernel _ZN7rocprim17ROCPRIM_400000_NS6detail17trampoline_kernelINS0_14default_configENS1_36segmented_radix_sort_config_selectorI6__halflEEZNS1_25segmented_radix_sort_implIS3_Lb0EPKS5_PS5_PKlPlN2at6native12_GLOBAL__N_18offset_tEEE10hipError_tPvRmT1_PNSt15iterator_traitsISL_E10value_typeET2_T3_PNSM_ISR_E10value_typeET4_jRbjT5_SX_jjP12ihipStream_tbEUlT_E_NS1_11comp_targetILNS1_3genE10ELNS1_11target_archE1200ELNS1_3gpuE4ELNS1_3repE0EEENS1_30default_config_static_selectorELNS0_4arch9wavefront6targetE0EEEvSL_
		.amdhsa_group_segment_fixed_size 0
		.amdhsa_private_segment_fixed_size 0
		.amdhsa_kernarg_size 96
		.amdhsa_user_sgpr_count 6
		.amdhsa_user_sgpr_private_segment_buffer 1
		.amdhsa_user_sgpr_dispatch_ptr 0
		.amdhsa_user_sgpr_queue_ptr 0
		.amdhsa_user_sgpr_kernarg_segment_ptr 1
		.amdhsa_user_sgpr_dispatch_id 0
		.amdhsa_user_sgpr_flat_scratch_init 0
		.amdhsa_user_sgpr_private_segment_size 0
		.amdhsa_wavefront_size32 1
		.amdhsa_uses_dynamic_stack 0
		.amdhsa_system_sgpr_private_segment_wavefront_offset 0
		.amdhsa_system_sgpr_workgroup_id_x 1
		.amdhsa_system_sgpr_workgroup_id_y 0
		.amdhsa_system_sgpr_workgroup_id_z 0
		.amdhsa_system_sgpr_workgroup_info 0
		.amdhsa_system_vgpr_workitem_id 0
		.amdhsa_next_free_vgpr 1
		.amdhsa_next_free_sgpr 1
		.amdhsa_reserve_vcc 0
		.amdhsa_reserve_flat_scratch 0
		.amdhsa_float_round_mode_32 0
		.amdhsa_float_round_mode_16_64 0
		.amdhsa_float_denorm_mode_32 3
		.amdhsa_float_denorm_mode_16_64 3
		.amdhsa_dx10_clamp 1
		.amdhsa_ieee_mode 1
		.amdhsa_fp16_overflow 0
		.amdhsa_workgroup_processor_mode 1
		.amdhsa_memory_ordered 1
		.amdhsa_forward_progress 1
		.amdhsa_shared_vgpr_count 0
		.amdhsa_exception_fp_ieee_invalid_op 0
		.amdhsa_exception_fp_denorm_src 0
		.amdhsa_exception_fp_ieee_div_zero 0
		.amdhsa_exception_fp_ieee_overflow 0
		.amdhsa_exception_fp_ieee_underflow 0
		.amdhsa_exception_fp_ieee_inexact 0
		.amdhsa_exception_int_div_zero 0
	.end_amdhsa_kernel
	.section	.text._ZN7rocprim17ROCPRIM_400000_NS6detail17trampoline_kernelINS0_14default_configENS1_36segmented_radix_sort_config_selectorI6__halflEEZNS1_25segmented_radix_sort_implIS3_Lb0EPKS5_PS5_PKlPlN2at6native12_GLOBAL__N_18offset_tEEE10hipError_tPvRmT1_PNSt15iterator_traitsISL_E10value_typeET2_T3_PNSM_ISR_E10value_typeET4_jRbjT5_SX_jjP12ihipStream_tbEUlT_E_NS1_11comp_targetILNS1_3genE10ELNS1_11target_archE1200ELNS1_3gpuE4ELNS1_3repE0EEENS1_30default_config_static_selectorELNS0_4arch9wavefront6targetE0EEEvSL_,"axG",@progbits,_ZN7rocprim17ROCPRIM_400000_NS6detail17trampoline_kernelINS0_14default_configENS1_36segmented_radix_sort_config_selectorI6__halflEEZNS1_25segmented_radix_sort_implIS3_Lb0EPKS5_PS5_PKlPlN2at6native12_GLOBAL__N_18offset_tEEE10hipError_tPvRmT1_PNSt15iterator_traitsISL_E10value_typeET2_T3_PNSM_ISR_E10value_typeET4_jRbjT5_SX_jjP12ihipStream_tbEUlT_E_NS1_11comp_targetILNS1_3genE10ELNS1_11target_archE1200ELNS1_3gpuE4ELNS1_3repE0EEENS1_30default_config_static_selectorELNS0_4arch9wavefront6targetE0EEEvSL_,comdat
.Lfunc_end1838:
	.size	_ZN7rocprim17ROCPRIM_400000_NS6detail17trampoline_kernelINS0_14default_configENS1_36segmented_radix_sort_config_selectorI6__halflEEZNS1_25segmented_radix_sort_implIS3_Lb0EPKS5_PS5_PKlPlN2at6native12_GLOBAL__N_18offset_tEEE10hipError_tPvRmT1_PNSt15iterator_traitsISL_E10value_typeET2_T3_PNSM_ISR_E10value_typeET4_jRbjT5_SX_jjP12ihipStream_tbEUlT_E_NS1_11comp_targetILNS1_3genE10ELNS1_11target_archE1200ELNS1_3gpuE4ELNS1_3repE0EEENS1_30default_config_static_selectorELNS0_4arch9wavefront6targetE0EEEvSL_, .Lfunc_end1838-_ZN7rocprim17ROCPRIM_400000_NS6detail17trampoline_kernelINS0_14default_configENS1_36segmented_radix_sort_config_selectorI6__halflEEZNS1_25segmented_radix_sort_implIS3_Lb0EPKS5_PS5_PKlPlN2at6native12_GLOBAL__N_18offset_tEEE10hipError_tPvRmT1_PNSt15iterator_traitsISL_E10value_typeET2_T3_PNSM_ISR_E10value_typeET4_jRbjT5_SX_jjP12ihipStream_tbEUlT_E_NS1_11comp_targetILNS1_3genE10ELNS1_11target_archE1200ELNS1_3gpuE4ELNS1_3repE0EEENS1_30default_config_static_selectorELNS0_4arch9wavefront6targetE0EEEvSL_
                                        ; -- End function
	.set _ZN7rocprim17ROCPRIM_400000_NS6detail17trampoline_kernelINS0_14default_configENS1_36segmented_radix_sort_config_selectorI6__halflEEZNS1_25segmented_radix_sort_implIS3_Lb0EPKS5_PS5_PKlPlN2at6native12_GLOBAL__N_18offset_tEEE10hipError_tPvRmT1_PNSt15iterator_traitsISL_E10value_typeET2_T3_PNSM_ISR_E10value_typeET4_jRbjT5_SX_jjP12ihipStream_tbEUlT_E_NS1_11comp_targetILNS1_3genE10ELNS1_11target_archE1200ELNS1_3gpuE4ELNS1_3repE0EEENS1_30default_config_static_selectorELNS0_4arch9wavefront6targetE0EEEvSL_.num_vgpr, 0
	.set _ZN7rocprim17ROCPRIM_400000_NS6detail17trampoline_kernelINS0_14default_configENS1_36segmented_radix_sort_config_selectorI6__halflEEZNS1_25segmented_radix_sort_implIS3_Lb0EPKS5_PS5_PKlPlN2at6native12_GLOBAL__N_18offset_tEEE10hipError_tPvRmT1_PNSt15iterator_traitsISL_E10value_typeET2_T3_PNSM_ISR_E10value_typeET4_jRbjT5_SX_jjP12ihipStream_tbEUlT_E_NS1_11comp_targetILNS1_3genE10ELNS1_11target_archE1200ELNS1_3gpuE4ELNS1_3repE0EEENS1_30default_config_static_selectorELNS0_4arch9wavefront6targetE0EEEvSL_.num_agpr, 0
	.set _ZN7rocprim17ROCPRIM_400000_NS6detail17trampoline_kernelINS0_14default_configENS1_36segmented_radix_sort_config_selectorI6__halflEEZNS1_25segmented_radix_sort_implIS3_Lb0EPKS5_PS5_PKlPlN2at6native12_GLOBAL__N_18offset_tEEE10hipError_tPvRmT1_PNSt15iterator_traitsISL_E10value_typeET2_T3_PNSM_ISR_E10value_typeET4_jRbjT5_SX_jjP12ihipStream_tbEUlT_E_NS1_11comp_targetILNS1_3genE10ELNS1_11target_archE1200ELNS1_3gpuE4ELNS1_3repE0EEENS1_30default_config_static_selectorELNS0_4arch9wavefront6targetE0EEEvSL_.numbered_sgpr, 0
	.set _ZN7rocprim17ROCPRIM_400000_NS6detail17trampoline_kernelINS0_14default_configENS1_36segmented_radix_sort_config_selectorI6__halflEEZNS1_25segmented_radix_sort_implIS3_Lb0EPKS5_PS5_PKlPlN2at6native12_GLOBAL__N_18offset_tEEE10hipError_tPvRmT1_PNSt15iterator_traitsISL_E10value_typeET2_T3_PNSM_ISR_E10value_typeET4_jRbjT5_SX_jjP12ihipStream_tbEUlT_E_NS1_11comp_targetILNS1_3genE10ELNS1_11target_archE1200ELNS1_3gpuE4ELNS1_3repE0EEENS1_30default_config_static_selectorELNS0_4arch9wavefront6targetE0EEEvSL_.num_named_barrier, 0
	.set _ZN7rocprim17ROCPRIM_400000_NS6detail17trampoline_kernelINS0_14default_configENS1_36segmented_radix_sort_config_selectorI6__halflEEZNS1_25segmented_radix_sort_implIS3_Lb0EPKS5_PS5_PKlPlN2at6native12_GLOBAL__N_18offset_tEEE10hipError_tPvRmT1_PNSt15iterator_traitsISL_E10value_typeET2_T3_PNSM_ISR_E10value_typeET4_jRbjT5_SX_jjP12ihipStream_tbEUlT_E_NS1_11comp_targetILNS1_3genE10ELNS1_11target_archE1200ELNS1_3gpuE4ELNS1_3repE0EEENS1_30default_config_static_selectorELNS0_4arch9wavefront6targetE0EEEvSL_.private_seg_size, 0
	.set _ZN7rocprim17ROCPRIM_400000_NS6detail17trampoline_kernelINS0_14default_configENS1_36segmented_radix_sort_config_selectorI6__halflEEZNS1_25segmented_radix_sort_implIS3_Lb0EPKS5_PS5_PKlPlN2at6native12_GLOBAL__N_18offset_tEEE10hipError_tPvRmT1_PNSt15iterator_traitsISL_E10value_typeET2_T3_PNSM_ISR_E10value_typeET4_jRbjT5_SX_jjP12ihipStream_tbEUlT_E_NS1_11comp_targetILNS1_3genE10ELNS1_11target_archE1200ELNS1_3gpuE4ELNS1_3repE0EEENS1_30default_config_static_selectorELNS0_4arch9wavefront6targetE0EEEvSL_.uses_vcc, 0
	.set _ZN7rocprim17ROCPRIM_400000_NS6detail17trampoline_kernelINS0_14default_configENS1_36segmented_radix_sort_config_selectorI6__halflEEZNS1_25segmented_radix_sort_implIS3_Lb0EPKS5_PS5_PKlPlN2at6native12_GLOBAL__N_18offset_tEEE10hipError_tPvRmT1_PNSt15iterator_traitsISL_E10value_typeET2_T3_PNSM_ISR_E10value_typeET4_jRbjT5_SX_jjP12ihipStream_tbEUlT_E_NS1_11comp_targetILNS1_3genE10ELNS1_11target_archE1200ELNS1_3gpuE4ELNS1_3repE0EEENS1_30default_config_static_selectorELNS0_4arch9wavefront6targetE0EEEvSL_.uses_flat_scratch, 0
	.set _ZN7rocprim17ROCPRIM_400000_NS6detail17trampoline_kernelINS0_14default_configENS1_36segmented_radix_sort_config_selectorI6__halflEEZNS1_25segmented_radix_sort_implIS3_Lb0EPKS5_PS5_PKlPlN2at6native12_GLOBAL__N_18offset_tEEE10hipError_tPvRmT1_PNSt15iterator_traitsISL_E10value_typeET2_T3_PNSM_ISR_E10value_typeET4_jRbjT5_SX_jjP12ihipStream_tbEUlT_E_NS1_11comp_targetILNS1_3genE10ELNS1_11target_archE1200ELNS1_3gpuE4ELNS1_3repE0EEENS1_30default_config_static_selectorELNS0_4arch9wavefront6targetE0EEEvSL_.has_dyn_sized_stack, 0
	.set _ZN7rocprim17ROCPRIM_400000_NS6detail17trampoline_kernelINS0_14default_configENS1_36segmented_radix_sort_config_selectorI6__halflEEZNS1_25segmented_radix_sort_implIS3_Lb0EPKS5_PS5_PKlPlN2at6native12_GLOBAL__N_18offset_tEEE10hipError_tPvRmT1_PNSt15iterator_traitsISL_E10value_typeET2_T3_PNSM_ISR_E10value_typeET4_jRbjT5_SX_jjP12ihipStream_tbEUlT_E_NS1_11comp_targetILNS1_3genE10ELNS1_11target_archE1200ELNS1_3gpuE4ELNS1_3repE0EEENS1_30default_config_static_selectorELNS0_4arch9wavefront6targetE0EEEvSL_.has_recursion, 0
	.set _ZN7rocprim17ROCPRIM_400000_NS6detail17trampoline_kernelINS0_14default_configENS1_36segmented_radix_sort_config_selectorI6__halflEEZNS1_25segmented_radix_sort_implIS3_Lb0EPKS5_PS5_PKlPlN2at6native12_GLOBAL__N_18offset_tEEE10hipError_tPvRmT1_PNSt15iterator_traitsISL_E10value_typeET2_T3_PNSM_ISR_E10value_typeET4_jRbjT5_SX_jjP12ihipStream_tbEUlT_E_NS1_11comp_targetILNS1_3genE10ELNS1_11target_archE1200ELNS1_3gpuE4ELNS1_3repE0EEENS1_30default_config_static_selectorELNS0_4arch9wavefront6targetE0EEEvSL_.has_indirect_call, 0
	.section	.AMDGPU.csdata,"",@progbits
; Kernel info:
; codeLenInByte = 0
; TotalNumSgprs: 0
; NumVgprs: 0
; ScratchSize: 0
; MemoryBound: 0
; FloatMode: 240
; IeeeMode: 1
; LDSByteSize: 0 bytes/workgroup (compile time only)
; SGPRBlocks: 0
; VGPRBlocks: 0
; NumSGPRsForWavesPerEU: 1
; NumVGPRsForWavesPerEU: 1
; Occupancy: 16
; WaveLimiterHint : 0
; COMPUTE_PGM_RSRC2:SCRATCH_EN: 0
; COMPUTE_PGM_RSRC2:USER_SGPR: 6
; COMPUTE_PGM_RSRC2:TRAP_HANDLER: 0
; COMPUTE_PGM_RSRC2:TGID_X_EN: 1
; COMPUTE_PGM_RSRC2:TGID_Y_EN: 0
; COMPUTE_PGM_RSRC2:TGID_Z_EN: 0
; COMPUTE_PGM_RSRC2:TIDIG_COMP_CNT: 0
	.section	.text._ZN7rocprim17ROCPRIM_400000_NS6detail17trampoline_kernelINS0_14default_configENS1_36segmented_radix_sort_config_selectorI6__halflEEZNS1_25segmented_radix_sort_implIS3_Lb0EPKS5_PS5_PKlPlN2at6native12_GLOBAL__N_18offset_tEEE10hipError_tPvRmT1_PNSt15iterator_traitsISL_E10value_typeET2_T3_PNSM_ISR_E10value_typeET4_jRbjT5_SX_jjP12ihipStream_tbEUlT_E_NS1_11comp_targetILNS1_3genE9ELNS1_11target_archE1100ELNS1_3gpuE3ELNS1_3repE0EEENS1_30default_config_static_selectorELNS0_4arch9wavefront6targetE0EEEvSL_,"axG",@progbits,_ZN7rocprim17ROCPRIM_400000_NS6detail17trampoline_kernelINS0_14default_configENS1_36segmented_radix_sort_config_selectorI6__halflEEZNS1_25segmented_radix_sort_implIS3_Lb0EPKS5_PS5_PKlPlN2at6native12_GLOBAL__N_18offset_tEEE10hipError_tPvRmT1_PNSt15iterator_traitsISL_E10value_typeET2_T3_PNSM_ISR_E10value_typeET4_jRbjT5_SX_jjP12ihipStream_tbEUlT_E_NS1_11comp_targetILNS1_3genE9ELNS1_11target_archE1100ELNS1_3gpuE3ELNS1_3repE0EEENS1_30default_config_static_selectorELNS0_4arch9wavefront6targetE0EEEvSL_,comdat
	.globl	_ZN7rocprim17ROCPRIM_400000_NS6detail17trampoline_kernelINS0_14default_configENS1_36segmented_radix_sort_config_selectorI6__halflEEZNS1_25segmented_radix_sort_implIS3_Lb0EPKS5_PS5_PKlPlN2at6native12_GLOBAL__N_18offset_tEEE10hipError_tPvRmT1_PNSt15iterator_traitsISL_E10value_typeET2_T3_PNSM_ISR_E10value_typeET4_jRbjT5_SX_jjP12ihipStream_tbEUlT_E_NS1_11comp_targetILNS1_3genE9ELNS1_11target_archE1100ELNS1_3gpuE3ELNS1_3repE0EEENS1_30default_config_static_selectorELNS0_4arch9wavefront6targetE0EEEvSL_ ; -- Begin function _ZN7rocprim17ROCPRIM_400000_NS6detail17trampoline_kernelINS0_14default_configENS1_36segmented_radix_sort_config_selectorI6__halflEEZNS1_25segmented_radix_sort_implIS3_Lb0EPKS5_PS5_PKlPlN2at6native12_GLOBAL__N_18offset_tEEE10hipError_tPvRmT1_PNSt15iterator_traitsISL_E10value_typeET2_T3_PNSM_ISR_E10value_typeET4_jRbjT5_SX_jjP12ihipStream_tbEUlT_E_NS1_11comp_targetILNS1_3genE9ELNS1_11target_archE1100ELNS1_3gpuE3ELNS1_3repE0EEENS1_30default_config_static_selectorELNS0_4arch9wavefront6targetE0EEEvSL_
	.p2align	8
	.type	_ZN7rocprim17ROCPRIM_400000_NS6detail17trampoline_kernelINS0_14default_configENS1_36segmented_radix_sort_config_selectorI6__halflEEZNS1_25segmented_radix_sort_implIS3_Lb0EPKS5_PS5_PKlPlN2at6native12_GLOBAL__N_18offset_tEEE10hipError_tPvRmT1_PNSt15iterator_traitsISL_E10value_typeET2_T3_PNSM_ISR_E10value_typeET4_jRbjT5_SX_jjP12ihipStream_tbEUlT_E_NS1_11comp_targetILNS1_3genE9ELNS1_11target_archE1100ELNS1_3gpuE3ELNS1_3repE0EEENS1_30default_config_static_selectorELNS0_4arch9wavefront6targetE0EEEvSL_,@function
_ZN7rocprim17ROCPRIM_400000_NS6detail17trampoline_kernelINS0_14default_configENS1_36segmented_radix_sort_config_selectorI6__halflEEZNS1_25segmented_radix_sort_implIS3_Lb0EPKS5_PS5_PKlPlN2at6native12_GLOBAL__N_18offset_tEEE10hipError_tPvRmT1_PNSt15iterator_traitsISL_E10value_typeET2_T3_PNSM_ISR_E10value_typeET4_jRbjT5_SX_jjP12ihipStream_tbEUlT_E_NS1_11comp_targetILNS1_3genE9ELNS1_11target_archE1100ELNS1_3gpuE3ELNS1_3repE0EEENS1_30default_config_static_selectorELNS0_4arch9wavefront6targetE0EEEvSL_: ; @_ZN7rocprim17ROCPRIM_400000_NS6detail17trampoline_kernelINS0_14default_configENS1_36segmented_radix_sort_config_selectorI6__halflEEZNS1_25segmented_radix_sort_implIS3_Lb0EPKS5_PS5_PKlPlN2at6native12_GLOBAL__N_18offset_tEEE10hipError_tPvRmT1_PNSt15iterator_traitsISL_E10value_typeET2_T3_PNSM_ISR_E10value_typeET4_jRbjT5_SX_jjP12ihipStream_tbEUlT_E_NS1_11comp_targetILNS1_3genE9ELNS1_11target_archE1100ELNS1_3gpuE3ELNS1_3repE0EEENS1_30default_config_static_selectorELNS0_4arch9wavefront6targetE0EEEvSL_
; %bb.0:
	.section	.rodata,"a",@progbits
	.p2align	6, 0x0
	.amdhsa_kernel _ZN7rocprim17ROCPRIM_400000_NS6detail17trampoline_kernelINS0_14default_configENS1_36segmented_radix_sort_config_selectorI6__halflEEZNS1_25segmented_radix_sort_implIS3_Lb0EPKS5_PS5_PKlPlN2at6native12_GLOBAL__N_18offset_tEEE10hipError_tPvRmT1_PNSt15iterator_traitsISL_E10value_typeET2_T3_PNSM_ISR_E10value_typeET4_jRbjT5_SX_jjP12ihipStream_tbEUlT_E_NS1_11comp_targetILNS1_3genE9ELNS1_11target_archE1100ELNS1_3gpuE3ELNS1_3repE0EEENS1_30default_config_static_selectorELNS0_4arch9wavefront6targetE0EEEvSL_
		.amdhsa_group_segment_fixed_size 0
		.amdhsa_private_segment_fixed_size 0
		.amdhsa_kernarg_size 96
		.amdhsa_user_sgpr_count 6
		.amdhsa_user_sgpr_private_segment_buffer 1
		.amdhsa_user_sgpr_dispatch_ptr 0
		.amdhsa_user_sgpr_queue_ptr 0
		.amdhsa_user_sgpr_kernarg_segment_ptr 1
		.amdhsa_user_sgpr_dispatch_id 0
		.amdhsa_user_sgpr_flat_scratch_init 0
		.amdhsa_user_sgpr_private_segment_size 0
		.amdhsa_wavefront_size32 1
		.amdhsa_uses_dynamic_stack 0
		.amdhsa_system_sgpr_private_segment_wavefront_offset 0
		.amdhsa_system_sgpr_workgroup_id_x 1
		.amdhsa_system_sgpr_workgroup_id_y 0
		.amdhsa_system_sgpr_workgroup_id_z 0
		.amdhsa_system_sgpr_workgroup_info 0
		.amdhsa_system_vgpr_workitem_id 0
		.amdhsa_next_free_vgpr 1
		.amdhsa_next_free_sgpr 1
		.amdhsa_reserve_vcc 0
		.amdhsa_reserve_flat_scratch 0
		.amdhsa_float_round_mode_32 0
		.amdhsa_float_round_mode_16_64 0
		.amdhsa_float_denorm_mode_32 3
		.amdhsa_float_denorm_mode_16_64 3
		.amdhsa_dx10_clamp 1
		.amdhsa_ieee_mode 1
		.amdhsa_fp16_overflow 0
		.amdhsa_workgroup_processor_mode 1
		.amdhsa_memory_ordered 1
		.amdhsa_forward_progress 1
		.amdhsa_shared_vgpr_count 0
		.amdhsa_exception_fp_ieee_invalid_op 0
		.amdhsa_exception_fp_denorm_src 0
		.amdhsa_exception_fp_ieee_div_zero 0
		.amdhsa_exception_fp_ieee_overflow 0
		.amdhsa_exception_fp_ieee_underflow 0
		.amdhsa_exception_fp_ieee_inexact 0
		.amdhsa_exception_int_div_zero 0
	.end_amdhsa_kernel
	.section	.text._ZN7rocprim17ROCPRIM_400000_NS6detail17trampoline_kernelINS0_14default_configENS1_36segmented_radix_sort_config_selectorI6__halflEEZNS1_25segmented_radix_sort_implIS3_Lb0EPKS5_PS5_PKlPlN2at6native12_GLOBAL__N_18offset_tEEE10hipError_tPvRmT1_PNSt15iterator_traitsISL_E10value_typeET2_T3_PNSM_ISR_E10value_typeET4_jRbjT5_SX_jjP12ihipStream_tbEUlT_E_NS1_11comp_targetILNS1_3genE9ELNS1_11target_archE1100ELNS1_3gpuE3ELNS1_3repE0EEENS1_30default_config_static_selectorELNS0_4arch9wavefront6targetE0EEEvSL_,"axG",@progbits,_ZN7rocprim17ROCPRIM_400000_NS6detail17trampoline_kernelINS0_14default_configENS1_36segmented_radix_sort_config_selectorI6__halflEEZNS1_25segmented_radix_sort_implIS3_Lb0EPKS5_PS5_PKlPlN2at6native12_GLOBAL__N_18offset_tEEE10hipError_tPvRmT1_PNSt15iterator_traitsISL_E10value_typeET2_T3_PNSM_ISR_E10value_typeET4_jRbjT5_SX_jjP12ihipStream_tbEUlT_E_NS1_11comp_targetILNS1_3genE9ELNS1_11target_archE1100ELNS1_3gpuE3ELNS1_3repE0EEENS1_30default_config_static_selectorELNS0_4arch9wavefront6targetE0EEEvSL_,comdat
.Lfunc_end1839:
	.size	_ZN7rocprim17ROCPRIM_400000_NS6detail17trampoline_kernelINS0_14default_configENS1_36segmented_radix_sort_config_selectorI6__halflEEZNS1_25segmented_radix_sort_implIS3_Lb0EPKS5_PS5_PKlPlN2at6native12_GLOBAL__N_18offset_tEEE10hipError_tPvRmT1_PNSt15iterator_traitsISL_E10value_typeET2_T3_PNSM_ISR_E10value_typeET4_jRbjT5_SX_jjP12ihipStream_tbEUlT_E_NS1_11comp_targetILNS1_3genE9ELNS1_11target_archE1100ELNS1_3gpuE3ELNS1_3repE0EEENS1_30default_config_static_selectorELNS0_4arch9wavefront6targetE0EEEvSL_, .Lfunc_end1839-_ZN7rocprim17ROCPRIM_400000_NS6detail17trampoline_kernelINS0_14default_configENS1_36segmented_radix_sort_config_selectorI6__halflEEZNS1_25segmented_radix_sort_implIS3_Lb0EPKS5_PS5_PKlPlN2at6native12_GLOBAL__N_18offset_tEEE10hipError_tPvRmT1_PNSt15iterator_traitsISL_E10value_typeET2_T3_PNSM_ISR_E10value_typeET4_jRbjT5_SX_jjP12ihipStream_tbEUlT_E_NS1_11comp_targetILNS1_3genE9ELNS1_11target_archE1100ELNS1_3gpuE3ELNS1_3repE0EEENS1_30default_config_static_selectorELNS0_4arch9wavefront6targetE0EEEvSL_
                                        ; -- End function
	.set _ZN7rocprim17ROCPRIM_400000_NS6detail17trampoline_kernelINS0_14default_configENS1_36segmented_radix_sort_config_selectorI6__halflEEZNS1_25segmented_radix_sort_implIS3_Lb0EPKS5_PS5_PKlPlN2at6native12_GLOBAL__N_18offset_tEEE10hipError_tPvRmT1_PNSt15iterator_traitsISL_E10value_typeET2_T3_PNSM_ISR_E10value_typeET4_jRbjT5_SX_jjP12ihipStream_tbEUlT_E_NS1_11comp_targetILNS1_3genE9ELNS1_11target_archE1100ELNS1_3gpuE3ELNS1_3repE0EEENS1_30default_config_static_selectorELNS0_4arch9wavefront6targetE0EEEvSL_.num_vgpr, 0
	.set _ZN7rocprim17ROCPRIM_400000_NS6detail17trampoline_kernelINS0_14default_configENS1_36segmented_radix_sort_config_selectorI6__halflEEZNS1_25segmented_radix_sort_implIS3_Lb0EPKS5_PS5_PKlPlN2at6native12_GLOBAL__N_18offset_tEEE10hipError_tPvRmT1_PNSt15iterator_traitsISL_E10value_typeET2_T3_PNSM_ISR_E10value_typeET4_jRbjT5_SX_jjP12ihipStream_tbEUlT_E_NS1_11comp_targetILNS1_3genE9ELNS1_11target_archE1100ELNS1_3gpuE3ELNS1_3repE0EEENS1_30default_config_static_selectorELNS0_4arch9wavefront6targetE0EEEvSL_.num_agpr, 0
	.set _ZN7rocprim17ROCPRIM_400000_NS6detail17trampoline_kernelINS0_14default_configENS1_36segmented_radix_sort_config_selectorI6__halflEEZNS1_25segmented_radix_sort_implIS3_Lb0EPKS5_PS5_PKlPlN2at6native12_GLOBAL__N_18offset_tEEE10hipError_tPvRmT1_PNSt15iterator_traitsISL_E10value_typeET2_T3_PNSM_ISR_E10value_typeET4_jRbjT5_SX_jjP12ihipStream_tbEUlT_E_NS1_11comp_targetILNS1_3genE9ELNS1_11target_archE1100ELNS1_3gpuE3ELNS1_3repE0EEENS1_30default_config_static_selectorELNS0_4arch9wavefront6targetE0EEEvSL_.numbered_sgpr, 0
	.set _ZN7rocprim17ROCPRIM_400000_NS6detail17trampoline_kernelINS0_14default_configENS1_36segmented_radix_sort_config_selectorI6__halflEEZNS1_25segmented_radix_sort_implIS3_Lb0EPKS5_PS5_PKlPlN2at6native12_GLOBAL__N_18offset_tEEE10hipError_tPvRmT1_PNSt15iterator_traitsISL_E10value_typeET2_T3_PNSM_ISR_E10value_typeET4_jRbjT5_SX_jjP12ihipStream_tbEUlT_E_NS1_11comp_targetILNS1_3genE9ELNS1_11target_archE1100ELNS1_3gpuE3ELNS1_3repE0EEENS1_30default_config_static_selectorELNS0_4arch9wavefront6targetE0EEEvSL_.num_named_barrier, 0
	.set _ZN7rocprim17ROCPRIM_400000_NS6detail17trampoline_kernelINS0_14default_configENS1_36segmented_radix_sort_config_selectorI6__halflEEZNS1_25segmented_radix_sort_implIS3_Lb0EPKS5_PS5_PKlPlN2at6native12_GLOBAL__N_18offset_tEEE10hipError_tPvRmT1_PNSt15iterator_traitsISL_E10value_typeET2_T3_PNSM_ISR_E10value_typeET4_jRbjT5_SX_jjP12ihipStream_tbEUlT_E_NS1_11comp_targetILNS1_3genE9ELNS1_11target_archE1100ELNS1_3gpuE3ELNS1_3repE0EEENS1_30default_config_static_selectorELNS0_4arch9wavefront6targetE0EEEvSL_.private_seg_size, 0
	.set _ZN7rocprim17ROCPRIM_400000_NS6detail17trampoline_kernelINS0_14default_configENS1_36segmented_radix_sort_config_selectorI6__halflEEZNS1_25segmented_radix_sort_implIS3_Lb0EPKS5_PS5_PKlPlN2at6native12_GLOBAL__N_18offset_tEEE10hipError_tPvRmT1_PNSt15iterator_traitsISL_E10value_typeET2_T3_PNSM_ISR_E10value_typeET4_jRbjT5_SX_jjP12ihipStream_tbEUlT_E_NS1_11comp_targetILNS1_3genE9ELNS1_11target_archE1100ELNS1_3gpuE3ELNS1_3repE0EEENS1_30default_config_static_selectorELNS0_4arch9wavefront6targetE0EEEvSL_.uses_vcc, 0
	.set _ZN7rocprim17ROCPRIM_400000_NS6detail17trampoline_kernelINS0_14default_configENS1_36segmented_radix_sort_config_selectorI6__halflEEZNS1_25segmented_radix_sort_implIS3_Lb0EPKS5_PS5_PKlPlN2at6native12_GLOBAL__N_18offset_tEEE10hipError_tPvRmT1_PNSt15iterator_traitsISL_E10value_typeET2_T3_PNSM_ISR_E10value_typeET4_jRbjT5_SX_jjP12ihipStream_tbEUlT_E_NS1_11comp_targetILNS1_3genE9ELNS1_11target_archE1100ELNS1_3gpuE3ELNS1_3repE0EEENS1_30default_config_static_selectorELNS0_4arch9wavefront6targetE0EEEvSL_.uses_flat_scratch, 0
	.set _ZN7rocprim17ROCPRIM_400000_NS6detail17trampoline_kernelINS0_14default_configENS1_36segmented_radix_sort_config_selectorI6__halflEEZNS1_25segmented_radix_sort_implIS3_Lb0EPKS5_PS5_PKlPlN2at6native12_GLOBAL__N_18offset_tEEE10hipError_tPvRmT1_PNSt15iterator_traitsISL_E10value_typeET2_T3_PNSM_ISR_E10value_typeET4_jRbjT5_SX_jjP12ihipStream_tbEUlT_E_NS1_11comp_targetILNS1_3genE9ELNS1_11target_archE1100ELNS1_3gpuE3ELNS1_3repE0EEENS1_30default_config_static_selectorELNS0_4arch9wavefront6targetE0EEEvSL_.has_dyn_sized_stack, 0
	.set _ZN7rocprim17ROCPRIM_400000_NS6detail17trampoline_kernelINS0_14default_configENS1_36segmented_radix_sort_config_selectorI6__halflEEZNS1_25segmented_radix_sort_implIS3_Lb0EPKS5_PS5_PKlPlN2at6native12_GLOBAL__N_18offset_tEEE10hipError_tPvRmT1_PNSt15iterator_traitsISL_E10value_typeET2_T3_PNSM_ISR_E10value_typeET4_jRbjT5_SX_jjP12ihipStream_tbEUlT_E_NS1_11comp_targetILNS1_3genE9ELNS1_11target_archE1100ELNS1_3gpuE3ELNS1_3repE0EEENS1_30default_config_static_selectorELNS0_4arch9wavefront6targetE0EEEvSL_.has_recursion, 0
	.set _ZN7rocprim17ROCPRIM_400000_NS6detail17trampoline_kernelINS0_14default_configENS1_36segmented_radix_sort_config_selectorI6__halflEEZNS1_25segmented_radix_sort_implIS3_Lb0EPKS5_PS5_PKlPlN2at6native12_GLOBAL__N_18offset_tEEE10hipError_tPvRmT1_PNSt15iterator_traitsISL_E10value_typeET2_T3_PNSM_ISR_E10value_typeET4_jRbjT5_SX_jjP12ihipStream_tbEUlT_E_NS1_11comp_targetILNS1_3genE9ELNS1_11target_archE1100ELNS1_3gpuE3ELNS1_3repE0EEENS1_30default_config_static_selectorELNS0_4arch9wavefront6targetE0EEEvSL_.has_indirect_call, 0
	.section	.AMDGPU.csdata,"",@progbits
; Kernel info:
; codeLenInByte = 0
; TotalNumSgprs: 0
; NumVgprs: 0
; ScratchSize: 0
; MemoryBound: 0
; FloatMode: 240
; IeeeMode: 1
; LDSByteSize: 0 bytes/workgroup (compile time only)
; SGPRBlocks: 0
; VGPRBlocks: 0
; NumSGPRsForWavesPerEU: 1
; NumVGPRsForWavesPerEU: 1
; Occupancy: 16
; WaveLimiterHint : 0
; COMPUTE_PGM_RSRC2:SCRATCH_EN: 0
; COMPUTE_PGM_RSRC2:USER_SGPR: 6
; COMPUTE_PGM_RSRC2:TRAP_HANDLER: 0
; COMPUTE_PGM_RSRC2:TGID_X_EN: 1
; COMPUTE_PGM_RSRC2:TGID_Y_EN: 0
; COMPUTE_PGM_RSRC2:TGID_Z_EN: 0
; COMPUTE_PGM_RSRC2:TIDIG_COMP_CNT: 0
	.text
	.p2align	2                               ; -- Begin function _ZN7rocprim17ROCPRIM_400000_NS6detail40segmented_radix_sort_single_block_helperI6__halflLj256ELj8ELb0EE4sortIPKS3_PS3_PKlPlEEbT_T0_T1_T2_jjjjRNS4_12storage_typeE
	.type	_ZN7rocprim17ROCPRIM_400000_NS6detail40segmented_radix_sort_single_block_helperI6__halflLj256ELj8ELb0EE4sortIPKS3_PS3_PKlPlEEbT_T0_T1_T2_jjjjRNS4_12storage_typeE,@function
_ZN7rocprim17ROCPRIM_400000_NS6detail40segmented_radix_sort_single_block_helperI6__halflLj256ELj8ELb0EE4sortIPKS3_PS3_PKlPlEEbT_T0_T1_T2_jjjjRNS4_12storage_typeE: ; @_ZN7rocprim17ROCPRIM_400000_NS6detail40segmented_radix_sort_single_block_helperI6__halflLj256ELj8ELb0EE4sortIPKS3_PS3_PKlPlEEbT_T0_T1_T2_jjjjRNS4_12storage_typeE
; %bb.0:
	s_waitcnt vmcnt(0) expcnt(0) lgkmcnt(0)
	v_sub_nc_u32_e32 v128, v9, v8
	s_mov_b32 s22, exec_lo
	v_cmpx_gt_u32_e32 0x801, v128
	s_cbranch_execz .LBB1840_199
; %bb.1:
	v_bfe_u32 v14, v31, 10, 10
	v_bfe_u32 v15, v31, 20, 10
	v_and_b32_e32 v30, 0x3ff, v31
	v_mbcnt_lo_u32_b32 v66, -1, 0
	s_mov_b32 s4, exec_lo
	v_cmpx_lt_u32_e32 0x400, v128
	s_xor_b32 s23, exec_lo, s4
	s_cbranch_execz .LBB1840_79
; %bb.2:
	s_load_dwordx2 s[4:5], s[8:9], 0x0
	v_mov_b32_e32 v9, 0
	v_lshlrev_b64 v[26:27], 1, v[8:9]
	v_add_co_u32 v18, vcc_lo, v0, v26
	v_add_co_ci_u32_e64 v19, null, v1, v27, vcc_lo
	s_waitcnt lgkmcnt(0)
	s_cmp_lt_u32 s13, s5
	s_cselect_b32 s5, 14, 20
	s_add_u32 s6, s8, s5
	s_addc_u32 s7, s9, 0
	s_cmp_lt_u32 s12, s4
	global_load_ushort v16, v9, s[6:7]
	s_cselect_b32 s4, 12, 18
	s_add_u32 s4, s8, s4
	s_addc_u32 s5, s9, 0
	global_load_ushort v17, v9, s[4:5]
	s_waitcnt vmcnt(1)
	v_mad_u32_u24 v14, v15, v16, v14
	v_mov_b32_e32 v15, v9
	v_mov_b32_e32 v16, 0x7fff
	s_waitcnt vmcnt(0)
	v_mad_u64_u32 v[24:25], null, v14, v17, v[30:31]
	v_lshlrev_b32_e32 v17, 1, v66
	v_add_co_u32 v17, vcc_lo, v18, v17
	v_lshlrev_b32_e32 v14, 3, v24
	v_add_co_ci_u32_e64 v18, null, 0, v19, vcc_lo
	v_and_b32_e32 v14, 0xffffff00, v14
	v_lshlrev_b64 v[0:1], 1, v[14:15]
	v_or_b32_e32 v25, v14, v66
	v_cmp_lt_u32_e32 vcc_lo, v25, v128
	v_add_co_u32 v0, s4, v17, v0
	v_add_co_ci_u32_e64 v1, null, v18, v1, s4
	v_mov_b32_e32 v17, 0x7fff
	s_and_saveexec_b32 s4, vcc_lo
	s_cbranch_execz .LBB1840_4
; %bb.3:
	flat_load_ushort v17, v[0:1]
.LBB1840_4:
	s_or_b32 exec_lo, exec_lo, s4
	v_or_b32_e32 v18, 32, v25
	v_cmp_lt_u32_e64 s4, v18, v128
	s_and_saveexec_b32 s5, s4
	s_cbranch_execz .LBB1840_6
; %bb.5:
	flat_load_ushort v16, v[0:1] offset:64
.LBB1840_6:
	s_or_b32 exec_lo, exec_lo, s5
	v_or_b32_e32 v19, 64, v25
	v_mov_b32_e32 v18, 0x7fff
	v_cmp_lt_u32_e64 s5, v19, v128
	v_mov_b32_e32 v19, 0x7fff
	s_and_saveexec_b32 s6, s5
	s_cbranch_execz .LBB1840_8
; %bb.7:
	flat_load_ushort v19, v[0:1] offset:128
.LBB1840_8:
	s_or_b32 exec_lo, exec_lo, s6
	v_or_b32_e32 v20, 0x60, v25
	v_cmp_lt_u32_e64 s6, v20, v128
	s_and_saveexec_b32 s7, s6
	s_cbranch_execz .LBB1840_10
; %bb.9:
	flat_load_ushort v18, v[0:1] offset:192
.LBB1840_10:
	s_or_b32 exec_lo, exec_lo, s7
	v_or_b32_e32 v21, 0x80, v25
	v_mov_b32_e32 v20, 0x7fff
	v_cmp_lt_u32_e64 s7, v21, v128
	v_mov_b32_e32 v21, 0x7fff
	s_and_saveexec_b32 s10, s7
	s_cbranch_execz .LBB1840_12
; %bb.11:
	flat_load_ushort v21, v[0:1] offset:256
.LBB1840_12:
	;; [unrolled: 18-line block ×3, first 2 shown]
	s_or_b32 exec_lo, exec_lo, s14
	v_or_b32_e32 v25, 0xe0, v25
	v_cmp_lt_u32_e64 s14, v25, v128
	s_and_saveexec_b32 s15, s14
	s_cbranch_execz .LBB1840_18
; %bb.17:
	flat_load_ushort v22, v[0:1] offset:448
.LBB1840_18:
	s_or_b32 exec_lo, exec_lo, s15
	v_lshlrev_b64 v[0:1], 3, v[8:9]
	v_lshlrev_b32_e32 v8, 3, v66
                                        ; implicit-def: $vgpr33_vgpr34
	v_add_co_u32 v9, s15, v4, v0
	v_add_co_ci_u32_e64 v25, null, v5, v1, s15
	v_lshlrev_b64 v[4:5], 3, v[14:15]
	v_add_co_u32 v8, s15, v9, v8
	v_add_co_ci_u32_e64 v9, null, 0, v25, s15
	v_add_co_u32 v4, s15, v8, v4
	v_add_co_ci_u32_e64 v5, null, v9, v5, s15
	s_and_saveexec_b32 s15, vcc_lo
	s_cbranch_execnz .LBB1840_112
; %bb.19:
	s_or_b32 exec_lo, exec_lo, s15
                                        ; implicit-def: $vgpr35_vgpr36
	s_and_saveexec_b32 s15, s4
	s_cbranch_execnz .LBB1840_113
.LBB1840_20:
	s_or_b32 exec_lo, exec_lo, s15
                                        ; implicit-def: $vgpr37_vgpr38
	s_and_saveexec_b32 s4, s5
	s_cbranch_execnz .LBB1840_114
.LBB1840_21:
	s_or_b32 exec_lo, exec_lo, s4
                                        ; implicit-def: $vgpr48_vgpr49
	s_and_saveexec_b32 s4, s6
	s_cbranch_execnz .LBB1840_115
.LBB1840_22:
	s_or_b32 exec_lo, exec_lo, s4
                                        ; implicit-def: $vgpr50_vgpr51
	s_and_saveexec_b32 s4, s7
	s_cbranch_execnz .LBB1840_116
.LBB1840_23:
	s_or_b32 exec_lo, exec_lo, s4
                                        ; implicit-def: $vgpr52_vgpr53
	s_and_saveexec_b32 s4, s10
	s_cbranch_execnz .LBB1840_117
.LBB1840_24:
	s_or_b32 exec_lo, exec_lo, s4
                                        ; implicit-def: $vgpr54_vgpr55
	s_and_saveexec_b32 s4, s11
	s_cbranch_execnz .LBB1840_118
.LBB1840_25:
	s_or_b32 exec_lo, exec_lo, s4
                                        ; implicit-def: $vgpr64_vgpr65
	s_and_saveexec_b32 s4, s14
	s_cbranch_execz .LBB1840_27
.LBB1840_26:
	flat_load_dwordx2 v[64:65], v[4:5] offset:1792
.LBB1840_27:
	s_or_b32 exec_lo, exec_lo, s4
	s_waitcnt vmcnt(0) lgkmcnt(0)
	v_cmp_lt_i16_e32 vcc_lo, -1, v17
	s_getpc_b64 s[4:5]
	s_add_u32 s4, s4, _ZN7rocprim17ROCPRIM_400000_NS16block_radix_sortI6__halfLj256ELj8ElLj1ELj1ELj8ELNS0_26block_radix_rank_algorithmE2ELNS0_18block_padding_hintE2ELNS0_4arch9wavefront6targetE0EE19radix_bits_per_passE@rel32@lo+4
	s_addc_u32 s5, s5, _ZN7rocprim17ROCPRIM_400000_NS16block_radix_sortI6__halfLj256ELj8ElLj1ELj1ELj8ELNS0_26block_radix_rank_algorithmE2ELNS0_18block_padding_hintE2ELNS0_4arch9wavefront6targetE0EE19radix_bits_per_passE@rel32@hi+12
	v_lshrrev_b32_e32 v135, 5, v24
	s_load_dword s24, s[4:5], 0x0
	v_cmp_gt_u32_e64 s14, 8, v30
	v_cndmask_b32_e64 v4, -1, 0xffff8000, vcc_lo
	v_cmp_lt_i16_e32 vcc_lo, -1, v16
	v_cmp_lt_u32_e64 s15, 31, v30
	v_cmp_eq_u32_e64 s16, 0, v30
	v_lshl_add_u32 v147, v30, 2, v12
	v_xor_b32_e32 v183, v4, v17
	v_cndmask_b32_e64 v5, -1, 0xffff8000, vcc_lo
	v_cmp_lt_i16_e32 vcc_lo, -1, v19
	v_sub_nc_u32_e32 v166, v11, v10
	s_mov_b32 s25, 0
	s_waitcnt lgkmcnt(0)
	s_waitcnt_vscnt null, 0x0
	v_xor_b32_e32 v83, v5, v16
	v_cndmask_b32_e64 v8, -1, 0xffff8000, vcc_lo
	v_cmp_lt_i16_e32 vcc_lo, -1, v18
	s_barrier
	buffer_gl0_inv
	v_xor_b32_e32 v85, v8, v19
	v_cndmask_b32_e64 v9, -1, 0xffff8000, vcc_lo
	v_cmp_lt_i16_e32 vcc_lo, -1, v21
	v_xor_b32_e32 v87, v9, v18
	v_cndmask_b32_e64 v14, -1, 0xffff8000, vcc_lo
	v_cmp_lt_i16_e32 vcc_lo, -1, v20
	v_and_b32_e32 v9, 16, v66
	v_xor_b32_e32 v81, v14, v21
	v_cndmask_b32_e64 v4, -1, 0xffff8000, vcc_lo
	v_cmp_lt_i16_e32 vcc_lo, -1, v23
	v_sub_co_u32 v14, s6, v66, 1
	v_cmp_eq_u32_e64 s10, 0, v9
	v_xor_b32_e32 v67, v4, v20
	v_lshl_add_u32 v4, v30, 5, v12
	v_cndmask_b32_e64 v5, -1, 0xffff8000, vcc_lo
	v_cmp_lt_i16_e32 vcc_lo, -1, v22
	v_cmp_gt_i32_e64 s11, 0, v14
	v_add_nc_u32_e32 v25, 32, v4
	v_add_nc_u32_e32 v39, 36, v4
	;; [unrolled: 1-line block ×8, first 2 shown]
	v_and_b32_e32 v4, 0x3e0, v30
	v_cndmask_b32_e64 v8, -1, 0xffff8000, vcc_lo
	v_xor_b32_e32 v71, v5, v23
	v_lshlrev_b32_e32 v5, 3, v30
	v_cndmask_b32_e64 v9, v14, v66, s11
	v_min_u32_e32 v4, 0xe0, v4
	v_xor_b32_e32 v69, v8, v22
	v_and_b32_e32 v8, 15, v66
	v_lshlrev_b32_e32 v144, 2, v9
	v_or_b32_e32 v4, 31, v4
	v_cmp_eq_u32_e32 vcc_lo, 0, v8
	v_cmp_lt_u32_e64 s4, 1, v8
	v_cmp_lt_u32_e64 s5, 3, v8
	v_cmp_eq_u32_e64 s11, v30, v4
	v_and_or_b32 v4, 0x1f00, v5, v66
	v_cmp_lt_u32_e64 s7, 7, v8
	v_lshrrev_b32_e32 v8, 3, v30
	v_lshl_add_u32 v145, v4, 1, v12
	v_mul_u32_u24_e32 v4, 6, v4
	v_and_b32_e32 v5, 0x7c, v8
	v_and_b32_e32 v8, 7, v66
	v_add_nc_u32_e32 v149, 0x180, v145
	v_add_nc_u32_e32 v148, v145, v4
	v_add_nc_u32_e32 v146, v12, v5
	v_mov_b32_e32 v5, 0
	v_cmp_eq_u32_e64 s17, 0, v8
	v_cmp_lt_u32_e64 s18, 1, v8
	v_cmp_lt_u32_e64 s19, 3, v8
	v_add_nc_u32_e32 v150, 0x1c0, v145
	v_add_nc_u32_e32 v151, 0x100, v148
	;; [unrolled: 1-line block ×8, first 2 shown]
	s_branch .LBB1840_29
.LBB1840_28:                            ;   in Loop: Header=BB1840_29 Depth=1
	s_or_b32 exec_lo, exec_lo, s21
	s_and_b32 s20, exec_lo, s26
	s_or_b32 s25, s20, s25
	s_andn2_b32 exec_lo, exec_lo, s25
	s_cbranch_execz .LBB1840_53
.LBB1840_29:                            ; =>This Inner Loop Header: Depth=1
	v_mov_b32_e32 v167, v183
	v_min_u32_e32 v4, s24, v166
	v_mov_b32_e32 v28, v35
	v_mov_b32_e32 v29, v36
	;; [unrolled: 1-line block ×3, first 2 shown]
	v_cmp_ne_u16_e64 s20, 0x7fff, v167
	v_lshlrev_b32_e64 v4, v4, -1
	v_mov_b32_e32 v32, v34
	v_mov_b32_e32 v22, v37
	;; [unrolled: 1-line block ×3, first 2 shown]
	v_cndmask_b32_e64 v8, 0xffff8000, v167, s20
	v_not_b32_e32 v36, v4
	v_mov_b32_e32 v18, v50
	v_mov_b32_e32 v19, v51
	;; [unrolled: 1-line block ×3, first 2 shown]
	v_lshrrev_b32_sdwa v4, v10, v8 dst_sel:DWORD dst_unused:UNUSED_PAD src0_sel:DWORD src1_sel:WORD_0
	v_mov_b32_e32 v21, v49
	v_mov_b32_e32 v16, v52
	;; [unrolled: 1-line block ×4, first 2 shown]
	v_and_b32_e32 v4, v4, v36
	v_mov_b32_e32 v17, v53
	v_mov_b32_e32 v15, v55
	;; [unrolled: 1-line block ×4, first 2 shown]
	v_and_b32_e32 v33, 1, v4
	v_lshlrev_b32_e32 v34, 30, v4
	v_lshlrev_b32_e32 v35, 29, v4
	;; [unrolled: 1-line block ×4, first 2 shown]
	v_add_co_u32 v33, s20, v33, -1
	v_cndmask_b32_e64 v37, 0, 1, s20
	v_not_b32_e32 v50, v34
	v_cmp_gt_i32_e64 s21, 0, v34
	v_not_b32_e32 v34, v35
	v_lshlrev_b32_e32 v49, 26, v4
	v_cmp_ne_u32_e64 s20, 0, v37
	v_ashrrev_i32_e32 v50, 31, v50
	v_lshlrev_b32_e32 v37, 25, v4
	v_ashrrev_i32_e32 v34, 31, v34
	v_mov_b32_e32 v177, v85
	v_xor_b32_e32 v33, s20, v33
	v_cmp_gt_i32_e64 s20, 0, v35
	v_not_b32_e32 v35, v38
	v_xor_b32_e32 v50, s21, v50
	v_cmp_gt_i32_e64 s21, 0, v38
	v_and_b32_e32 v33, exec_lo, v33
	v_not_b32_e32 v38, v48
	v_ashrrev_i32_e32 v35, 31, v35
	v_xor_b32_e32 v34, s20, v34
	v_cmp_gt_i32_e64 s20, 0, v48
	v_and_b32_e32 v33, v33, v50
	v_not_b32_e32 v48, v49
	v_ashrrev_i32_e32 v38, 31, v38
	v_xor_b32_e32 v35, s21, v35
	v_cmp_gt_i32_e64 s21, 0, v49
	v_and_b32_e32 v33, v33, v34
	;; [unrolled: 5-line block ×3, first 2 shown]
	v_lshlrev_b32_e32 v35, 24, v4
	v_ashrrev_i32_e32 v34, 31, v34
	v_xor_b32_e32 v37, s21, v48
	v_lshlrev_b32_e32 v4, 3, v4
	v_and_b32_e32 v33, v33, v38
	v_not_b32_e32 v38, v35
	v_xor_b32_e32 v34, s20, v34
	v_cmp_gt_i32_e64 s20, 0, v35
	v_mov_b32_e32 v176, v87
	v_and_b32_e32 v33, v33, v37
	v_ashrrev_i32_e32 v35, 31, v38
	v_mov_b32_e32 v179, v81
	v_mov_b32_e32 v180, v67
	;; [unrolled: 1-line block ×3, first 2 shown]
	v_and_b32_e32 v33, v33, v34
	v_xor_b32_e32 v34, s20, v35
	v_mov_b32_e32 v182, v69
	ds_write_b32 v25, v5
	ds_write_b32 v39, v5
	;; [unrolled: 1-line block ×5, first 2 shown]
	v_and_b32_e32 v34, v33, v34
	v_add_lshl_u32 v33, v4, v135, 2
	ds_write_b32 v132, v5
	ds_write_b32 v133, v5
	ds_write_b32 v134, v5
	s_waitcnt lgkmcnt(0)
	v_mbcnt_lo_u32_b32 v4, v34, 0
	v_add_co_u32 v33, null, v12, v33
	v_cmp_ne_u32_e64 s21, 0, v34
	s_barrier
	v_cmp_eq_u32_e64 s20, 0, v4
	v_add_co_u32 v33, null, v33, 32
	buffer_gl0_inv
	s_and_b32 s21, s21, s20
	; wave barrier
	s_and_saveexec_b32 s20, s21
; %bb.30:                               ;   in Loop: Header=BB1840_29 Depth=1
	v_bcnt_u32_b32 v34, v34, 0
	ds_write_b32 v33, v34
; %bb.31:                               ;   in Loop: Header=BB1840_29 Depth=1
	s_or_b32 exec_lo, exec_lo, s20
	v_cmp_ne_u16_e64 s20, 0x7fff, v178
	; wave barrier
	v_cndmask_b32_e64 v34, 0xffff8000, v178, s20
	v_lshrrev_b32_sdwa v34, v10, v34 dst_sel:DWORD dst_unused:UNUSED_PAD src0_sel:DWORD src1_sel:WORD_0
	v_and_b32_e32 v34, v34, v36
	v_and_b32_e32 v35, 1, v34
	v_lshlrev_b32_e32 v37, 30, v34
	v_lshlrev_b32_e32 v38, 29, v34
	;; [unrolled: 1-line block ×4, first 2 shown]
	v_add_co_u32 v35, s20, v35, -1
	v_cndmask_b32_e64 v49, 0, 1, s20
	v_not_b32_e32 v53, v37
	v_cmp_gt_i32_e64 s21, 0, v37
	v_not_b32_e32 v37, v38
	v_lshlrev_b32_e32 v51, 26, v34
	v_cmp_ne_u32_e64 s20, 0, v49
	v_ashrrev_i32_e32 v53, 31, v53
	v_lshlrev_b32_e32 v52, 25, v34
	v_ashrrev_i32_e32 v37, 31, v37
	v_lshlrev_b32_e32 v49, 24, v34
	v_xor_b32_e32 v35, s20, v35
	v_cmp_gt_i32_e64 s20, 0, v38
	v_not_b32_e32 v38, v48
	v_xor_b32_e32 v53, s21, v53
	v_cmp_gt_i32_e64 s21, 0, v48
	v_and_b32_e32 v35, exec_lo, v35
	v_not_b32_e32 v48, v50
	v_ashrrev_i32_e32 v38, 31, v38
	v_xor_b32_e32 v37, s20, v37
	v_cmp_gt_i32_e64 s20, 0, v50
	v_and_b32_e32 v35, v35, v53
	v_not_b32_e32 v50, v51
	v_ashrrev_i32_e32 v48, 31, v48
	v_xor_b32_e32 v38, s21, v38
	v_cmp_gt_i32_e64 s21, 0, v51
	v_and_b32_e32 v35, v35, v37
	;; [unrolled: 5-line block ×3, first 2 shown]
	v_not_b32_e32 v38, v49
	v_ashrrev_i32_e32 v37, 31, v37
	v_xor_b32_e32 v50, s21, v50
	v_lshl_add_u32 v34, v34, 3, v135
	v_and_b32_e32 v35, v35, v48
	v_cmp_gt_i32_e64 s21, 0, v49
	v_ashrrev_i32_e32 v38, 31, v38
	v_xor_b32_e32 v37, s20, v37
	v_lshl_add_u32 v48, v34, 2, v12
	v_and_b32_e32 v35, v35, v50
	v_xor_b32_e32 v38, s21, v38
	ds_read_b32 v34, v48 offset:32
	v_and_b32_e32 v35, v35, v37
	v_add_nc_u32_e32 v37, 32, v48
	; wave barrier
	v_and_b32_e32 v38, v35, v38
	v_mbcnt_lo_u32_b32 v35, v38, 0
	v_cmp_ne_u32_e64 s21, 0, v38
	v_cmp_eq_u32_e64 s20, 0, v35
	s_and_b32 s21, s21, s20
	s_and_saveexec_b32 s20, s21
	s_cbranch_execz .LBB1840_33
; %bb.32:                               ;   in Loop: Header=BB1840_29 Depth=1
	s_waitcnt lgkmcnt(0)
	v_bcnt_u32_b32 v38, v38, v34
	ds_write_b32 v37, v38
.LBB1840_33:                            ;   in Loop: Header=BB1840_29 Depth=1
	s_or_b32 exec_lo, exec_lo, s20
	v_cmp_ne_u16_e64 s20, 0x7fff, v177
	; wave barrier
	v_cndmask_b32_e64 v38, 0xffff8000, v177, s20
	v_lshrrev_b32_sdwa v38, v10, v38 dst_sel:DWORD dst_unused:UNUSED_PAD src0_sel:DWORD src1_sel:WORD_0
	v_and_b32_e32 v38, v38, v36
	v_and_b32_e32 v48, 1, v38
	v_lshlrev_b32_e32 v49, 30, v38
	v_lshlrev_b32_e32 v50, 29, v38
	;; [unrolled: 1-line block ×4, first 2 shown]
	v_add_co_u32 v48, s20, v48, -1
	v_cndmask_b32_e64 v52, 0, 1, s20
	v_not_b32_e32 v64, v49
	v_cmp_gt_i32_e64 s21, 0, v49
	v_not_b32_e32 v49, v50
	v_lshlrev_b32_e32 v54, 26, v38
	v_cmp_ne_u32_e64 s20, 0, v52
	v_ashrrev_i32_e32 v64, 31, v64
	v_lshlrev_b32_e32 v55, 25, v38
	v_ashrrev_i32_e32 v49, 31, v49
	v_lshlrev_b32_e32 v52, 24, v38
	v_xor_b32_e32 v48, s20, v48
	v_cmp_gt_i32_e64 s20, 0, v50
	v_not_b32_e32 v50, v51
	v_xor_b32_e32 v64, s21, v64
	v_cmp_gt_i32_e64 s21, 0, v51
	v_and_b32_e32 v48, exec_lo, v48
	v_not_b32_e32 v51, v53
	v_ashrrev_i32_e32 v50, 31, v50
	v_xor_b32_e32 v49, s20, v49
	v_cmp_gt_i32_e64 s20, 0, v53
	v_and_b32_e32 v48, v48, v64
	v_not_b32_e32 v53, v54
	v_ashrrev_i32_e32 v51, 31, v51
	v_xor_b32_e32 v50, s21, v50
	v_cmp_gt_i32_e64 s21, 0, v54
	v_and_b32_e32 v48, v48, v49
	;; [unrolled: 5-line block ×3, first 2 shown]
	v_not_b32_e32 v50, v52
	v_ashrrev_i32_e32 v49, 31, v49
	v_xor_b32_e32 v53, s21, v53
	v_lshl_add_u32 v38, v38, 3, v135
	v_and_b32_e32 v48, v48, v51
	v_cmp_gt_i32_e64 s21, 0, v52
	v_ashrrev_i32_e32 v50, 31, v50
	v_xor_b32_e32 v49, s20, v49
	v_lshl_add_u32 v51, v38, 2, v12
	v_and_b32_e32 v48, v48, v53
	v_xor_b32_e32 v50, s21, v50
	ds_read_b32 v38, v51 offset:32
	v_and_b32_e32 v48, v48, v49
	v_add_nc_u32_e32 v49, 32, v51
	; wave barrier
	v_and_b32_e32 v50, v48, v50
	v_mbcnt_lo_u32_b32 v48, v50, 0
	v_cmp_ne_u32_e64 s21, 0, v50
	v_cmp_eq_u32_e64 s20, 0, v48
	s_and_b32 s21, s21, s20
	s_and_saveexec_b32 s20, s21
	s_cbranch_execz .LBB1840_35
; %bb.34:                               ;   in Loop: Header=BB1840_29 Depth=1
	s_waitcnt lgkmcnt(0)
	v_bcnt_u32_b32 v50, v50, v38
	ds_write_b32 v49, v50
.LBB1840_35:                            ;   in Loop: Header=BB1840_29 Depth=1
	s_or_b32 exec_lo, exec_lo, s20
	v_cmp_ne_u16_e64 s20, 0x7fff, v176
	; wave barrier
	v_cndmask_b32_e64 v50, 0xffff8000, v176, s20
	v_lshrrev_b32_sdwa v50, v10, v50 dst_sel:DWORD dst_unused:UNUSED_PAD src0_sel:DWORD src1_sel:WORD_0
	v_and_b32_e32 v50, v50, v36
	v_and_b32_e32 v51, 1, v50
	v_lshlrev_b32_e32 v52, 30, v50
	v_lshlrev_b32_e32 v53, 29, v50
	;; [unrolled: 1-line block ×4, first 2 shown]
	v_add_co_u32 v51, s20, v51, -1
	v_cndmask_b32_e64 v55, 0, 1, s20
	v_not_b32_e32 v67, v52
	v_cmp_gt_i32_e64 s21, 0, v52
	v_not_b32_e32 v52, v53
	v_lshlrev_b32_e32 v65, 26, v50
	v_cmp_ne_u32_e64 s20, 0, v55
	v_ashrrev_i32_e32 v67, 31, v67
	v_lshlrev_b32_e32 v66, 25, v50
	v_ashrrev_i32_e32 v52, 31, v52
	v_lshlrev_b32_e32 v55, 24, v50
	v_xor_b32_e32 v51, s20, v51
	v_cmp_gt_i32_e64 s20, 0, v53
	v_not_b32_e32 v53, v54
	v_xor_b32_e32 v67, s21, v67
	v_cmp_gt_i32_e64 s21, 0, v54
	v_and_b32_e32 v51, exec_lo, v51
	v_not_b32_e32 v54, v64
	v_ashrrev_i32_e32 v53, 31, v53
	v_xor_b32_e32 v52, s20, v52
	v_cmp_gt_i32_e64 s20, 0, v64
	v_and_b32_e32 v51, v51, v67
	v_not_b32_e32 v64, v65
	v_ashrrev_i32_e32 v54, 31, v54
	v_xor_b32_e32 v53, s21, v53
	v_cmp_gt_i32_e64 s21, 0, v65
	v_and_b32_e32 v51, v51, v52
	;; [unrolled: 5-line block ×3, first 2 shown]
	v_not_b32_e32 v53, v55
	v_ashrrev_i32_e32 v52, 31, v52
	v_xor_b32_e32 v64, s21, v64
	v_lshl_add_u32 v50, v50, 3, v135
	v_and_b32_e32 v51, v51, v54
	v_cmp_gt_i32_e64 s21, 0, v55
	v_ashrrev_i32_e32 v53, 31, v53
	v_xor_b32_e32 v52, s20, v52
	v_lshl_add_u32 v54, v50, 2, v12
	v_and_b32_e32 v51, v51, v64
	v_xor_b32_e32 v53, s21, v53
	ds_read_b32 v50, v54 offset:32
	v_and_b32_e32 v51, v51, v52
	v_add_nc_u32_e32 v52, 32, v54
	; wave barrier
	v_and_b32_e32 v53, v51, v53
	v_mbcnt_lo_u32_b32 v51, v53, 0
	v_cmp_ne_u32_e64 s21, 0, v53
	v_cmp_eq_u32_e64 s20, 0, v51
	s_and_b32 s21, s21, s20
	s_and_saveexec_b32 s20, s21
	s_cbranch_execz .LBB1840_37
; %bb.36:                               ;   in Loop: Header=BB1840_29 Depth=1
	s_waitcnt lgkmcnt(0)
	v_bcnt_u32_b32 v53, v53, v50
	ds_write_b32 v52, v53
.LBB1840_37:                            ;   in Loop: Header=BB1840_29 Depth=1
	s_or_b32 exec_lo, exec_lo, s20
	v_cmp_ne_u16_e64 s20, 0x7fff, v179
	; wave barrier
	v_cndmask_b32_e64 v53, 0xffff8000, v179, s20
	v_lshrrev_b32_sdwa v53, v10, v53 dst_sel:DWORD dst_unused:UNUSED_PAD src0_sel:DWORD src1_sel:WORD_0
	v_and_b32_e32 v53, v53, v36
	v_and_b32_e32 v54, 1, v53
	v_lshlrev_b32_e32 v55, 30, v53
	v_lshlrev_b32_e32 v64, 29, v53
	;; [unrolled: 1-line block ×4, first 2 shown]
	v_add_co_u32 v54, s20, v54, -1
	v_cndmask_b32_e64 v66, 0, 1, s20
	v_not_b32_e32 v70, v55
	v_cmp_gt_i32_e64 s21, 0, v55
	v_not_b32_e32 v55, v64
	v_lshlrev_b32_e32 v68, 26, v53
	v_cmp_ne_u32_e64 s20, 0, v66
	v_ashrrev_i32_e32 v70, 31, v70
	v_lshlrev_b32_e32 v69, 25, v53
	v_ashrrev_i32_e32 v55, 31, v55
	v_lshlrev_b32_e32 v66, 24, v53
	v_xor_b32_e32 v54, s20, v54
	v_cmp_gt_i32_e64 s20, 0, v64
	v_not_b32_e32 v64, v65
	v_xor_b32_e32 v70, s21, v70
	v_cmp_gt_i32_e64 s21, 0, v65
	v_and_b32_e32 v54, exec_lo, v54
	v_not_b32_e32 v65, v67
	v_ashrrev_i32_e32 v64, 31, v64
	v_xor_b32_e32 v55, s20, v55
	v_cmp_gt_i32_e64 s20, 0, v67
	v_and_b32_e32 v54, v54, v70
	v_not_b32_e32 v67, v68
	v_ashrrev_i32_e32 v65, 31, v65
	v_xor_b32_e32 v64, s21, v64
	v_cmp_gt_i32_e64 s21, 0, v68
	v_and_b32_e32 v54, v54, v55
	;; [unrolled: 5-line block ×3, first 2 shown]
	v_not_b32_e32 v64, v66
	v_ashrrev_i32_e32 v55, 31, v55
	v_xor_b32_e32 v67, s21, v67
	v_lshl_add_u32 v53, v53, 3, v135
	v_and_b32_e32 v54, v54, v65
	v_cmp_gt_i32_e64 s21, 0, v66
	v_ashrrev_i32_e32 v64, 31, v64
	v_xor_b32_e32 v55, s20, v55
	v_lshl_add_u32 v65, v53, 2, v12
	v_and_b32_e32 v54, v54, v67
	v_xor_b32_e32 v64, s21, v64
	ds_read_b32 v53, v65 offset:32
	v_and_b32_e32 v54, v54, v55
	v_add_nc_u32_e32 v55, 32, v65
	; wave barrier
	v_and_b32_e32 v64, v54, v64
	v_mbcnt_lo_u32_b32 v54, v64, 0
	v_cmp_ne_u32_e64 s21, 0, v64
	v_cmp_eq_u32_e64 s20, 0, v54
	s_and_b32 s21, s21, s20
	s_and_saveexec_b32 s20, s21
	s_cbranch_execz .LBB1840_39
; %bb.38:                               ;   in Loop: Header=BB1840_29 Depth=1
	s_waitcnt lgkmcnt(0)
	v_bcnt_u32_b32 v64, v64, v53
	ds_write_b32 v55, v64
.LBB1840_39:                            ;   in Loop: Header=BB1840_29 Depth=1
	s_or_b32 exec_lo, exec_lo, s20
	v_cmp_ne_u16_e64 s20, 0x7fff, v180
	; wave barrier
	v_cndmask_b32_e64 v64, 0xffff8000, v180, s20
	v_lshrrev_b32_sdwa v64, v10, v64 dst_sel:DWORD dst_unused:UNUSED_PAD src0_sel:DWORD src1_sel:WORD_0
	v_and_b32_e32 v64, v64, v36
	v_and_b32_e32 v65, 1, v64
	v_lshlrev_b32_e32 v66, 30, v64
	v_lshlrev_b32_e32 v67, 29, v64
	;; [unrolled: 1-line block ×4, first 2 shown]
	v_add_co_u32 v65, s20, v65, -1
	v_cndmask_b32_e64 v69, 0, 1, s20
	v_not_b32_e32 v81, v66
	v_cmp_gt_i32_e64 s21, 0, v66
	v_not_b32_e32 v66, v67
	v_lshlrev_b32_e32 v71, 26, v64
	v_cmp_ne_u32_e64 s20, 0, v69
	v_ashrrev_i32_e32 v81, 31, v81
	v_lshlrev_b32_e32 v80, 25, v64
	v_ashrrev_i32_e32 v66, 31, v66
	v_lshlrev_b32_e32 v69, 24, v64
	v_xor_b32_e32 v65, s20, v65
	v_cmp_gt_i32_e64 s20, 0, v67
	v_not_b32_e32 v67, v68
	v_xor_b32_e32 v81, s21, v81
	v_cmp_gt_i32_e64 s21, 0, v68
	v_and_b32_e32 v65, exec_lo, v65
	v_not_b32_e32 v68, v70
	v_ashrrev_i32_e32 v67, 31, v67
	v_xor_b32_e32 v66, s20, v66
	v_cmp_gt_i32_e64 s20, 0, v70
	v_and_b32_e32 v65, v65, v81
	v_not_b32_e32 v70, v71
	v_ashrrev_i32_e32 v68, 31, v68
	v_xor_b32_e32 v67, s21, v67
	v_cmp_gt_i32_e64 s21, 0, v71
	v_and_b32_e32 v65, v65, v66
	;; [unrolled: 5-line block ×3, first 2 shown]
	v_not_b32_e32 v67, v69
	v_ashrrev_i32_e32 v66, 31, v66
	v_xor_b32_e32 v70, s21, v70
	v_lshl_add_u32 v64, v64, 3, v135
	v_and_b32_e32 v65, v65, v68
	v_cmp_gt_i32_e64 s21, 0, v69
	v_ashrrev_i32_e32 v67, 31, v67
	v_xor_b32_e32 v66, s20, v66
	v_lshl_add_u32 v68, v64, 2, v12
	v_and_b32_e32 v65, v65, v70
	v_xor_b32_e32 v67, s21, v67
	ds_read_b32 v64, v68 offset:32
	v_and_b32_e32 v65, v65, v66
	v_add_nc_u32_e32 v66, 32, v68
	; wave barrier
	v_and_b32_e32 v67, v65, v67
	v_mbcnt_lo_u32_b32 v65, v67, 0
	v_cmp_ne_u32_e64 s21, 0, v67
	v_cmp_eq_u32_e64 s20, 0, v65
	s_and_b32 s21, s21, s20
	s_and_saveexec_b32 s20, s21
	s_cbranch_execz .LBB1840_41
; %bb.40:                               ;   in Loop: Header=BB1840_29 Depth=1
	s_waitcnt lgkmcnt(0)
	v_bcnt_u32_b32 v67, v67, v64
	ds_write_b32 v66, v67
.LBB1840_41:                            ;   in Loop: Header=BB1840_29 Depth=1
	s_or_b32 exec_lo, exec_lo, s20
	v_cmp_ne_u16_e64 s20, 0x7fff, v181
	; wave barrier
	v_cndmask_b32_e64 v67, 0xffff8000, v181, s20
	v_lshrrev_b32_sdwa v67, v10, v67 dst_sel:DWORD dst_unused:UNUSED_PAD src0_sel:DWORD src1_sel:WORD_0
	v_and_b32_e32 v67, v67, v36
	v_and_b32_e32 v68, 1, v67
	v_lshlrev_b32_e32 v69, 30, v67
	v_lshlrev_b32_e32 v70, 29, v67
	;; [unrolled: 1-line block ×4, first 2 shown]
	v_add_co_u32 v68, s20, v68, -1
	v_cndmask_b32_e64 v80, 0, 1, s20
	v_not_b32_e32 v84, v69
	v_cmp_gt_i32_e64 s21, 0, v69
	v_not_b32_e32 v69, v70
	v_lshlrev_b32_e32 v82, 26, v67
	v_cmp_ne_u32_e64 s20, 0, v80
	v_ashrrev_i32_e32 v84, 31, v84
	v_lshlrev_b32_e32 v83, 25, v67
	v_ashrrev_i32_e32 v69, 31, v69
	v_lshlrev_b32_e32 v80, 24, v67
	v_xor_b32_e32 v68, s20, v68
	v_cmp_gt_i32_e64 s20, 0, v70
	v_not_b32_e32 v70, v71
	v_xor_b32_e32 v84, s21, v84
	v_cmp_gt_i32_e64 s21, 0, v71
	v_and_b32_e32 v68, exec_lo, v68
	v_not_b32_e32 v71, v81
	v_ashrrev_i32_e32 v70, 31, v70
	v_xor_b32_e32 v69, s20, v69
	v_cmp_gt_i32_e64 s20, 0, v81
	v_and_b32_e32 v68, v68, v84
	v_not_b32_e32 v81, v82
	v_ashrrev_i32_e32 v71, 31, v71
	v_xor_b32_e32 v70, s21, v70
	v_cmp_gt_i32_e64 s21, 0, v82
	v_and_b32_e32 v68, v68, v69
	;; [unrolled: 5-line block ×3, first 2 shown]
	v_not_b32_e32 v70, v80
	v_ashrrev_i32_e32 v69, 31, v69
	v_xor_b32_e32 v81, s21, v81
	v_lshl_add_u32 v67, v67, 3, v135
	v_and_b32_e32 v68, v68, v71
	v_cmp_gt_i32_e64 s21, 0, v80
	v_ashrrev_i32_e32 v70, 31, v70
	v_xor_b32_e32 v69, s20, v69
	v_lshl_add_u32 v67, v67, 2, v12
	v_and_b32_e32 v68, v68, v81
	v_xor_b32_e32 v70, s21, v70
	ds_read_b32 v84, v67 offset:32
	v_and_b32_e32 v68, v68, v69
	v_add_nc_u32_e32 v67, 32, v67
	; wave barrier
	v_and_b32_e32 v68, v68, v70
	v_mbcnt_lo_u32_b32 v86, v68, 0
	v_cmp_ne_u32_e64 s21, 0, v68
	v_cmp_eq_u32_e64 s20, 0, v86
	s_and_b32 s21, s21, s20
	s_and_saveexec_b32 s20, s21
	s_cbranch_execz .LBB1840_43
; %bb.42:                               ;   in Loop: Header=BB1840_29 Depth=1
	s_waitcnt lgkmcnt(0)
	v_bcnt_u32_b32 v68, v68, v84
	ds_write_b32 v67, v68
.LBB1840_43:                            ;   in Loop: Header=BB1840_29 Depth=1
	s_or_b32 exec_lo, exec_lo, s20
	v_cmp_ne_u16_e64 s20, 0x7fff, v182
	; wave barrier
	v_cndmask_b32_e64 v68, 0xffff8000, v182, s20
	v_lshrrev_b32_sdwa v68, v10, v68 dst_sel:DWORD dst_unused:UNUSED_PAD src0_sel:DWORD src1_sel:WORD_0
	v_and_b32_e32 v36, v68, v36
	v_and_b32_e32 v68, 1, v36
	v_lshlrev_b32_e32 v69, 30, v36
	v_lshlrev_b32_e32 v70, 29, v36
	;; [unrolled: 1-line block ×4, first 2 shown]
	v_add_co_u32 v68, s20, v68, -1
	v_cndmask_b32_e64 v80, 0, 1, s20
	v_not_b32_e32 v85, v69
	v_cmp_gt_i32_e64 s21, 0, v69
	v_not_b32_e32 v69, v70
	v_lshlrev_b32_e32 v82, 26, v36
	v_cmp_ne_u32_e64 s20, 0, v80
	v_ashrrev_i32_e32 v85, 31, v85
	v_lshlrev_b32_e32 v83, 25, v36
	v_ashrrev_i32_e32 v69, 31, v69
	v_lshlrev_b32_e32 v80, 24, v36
	v_xor_b32_e32 v68, s20, v68
	v_cmp_gt_i32_e64 s20, 0, v70
	v_not_b32_e32 v70, v71
	v_xor_b32_e32 v85, s21, v85
	v_cmp_gt_i32_e64 s21, 0, v71
	v_and_b32_e32 v68, exec_lo, v68
	v_not_b32_e32 v71, v81
	v_ashrrev_i32_e32 v70, 31, v70
	v_xor_b32_e32 v69, s20, v69
	v_cmp_gt_i32_e64 s20, 0, v81
	v_and_b32_e32 v68, v68, v85
	v_not_b32_e32 v81, v82
	v_ashrrev_i32_e32 v71, 31, v71
	v_xor_b32_e32 v70, s21, v70
	v_cmp_gt_i32_e64 s21, 0, v82
	v_and_b32_e32 v68, v68, v69
	;; [unrolled: 5-line block ×3, first 2 shown]
	v_not_b32_e32 v70, v80
	v_ashrrev_i32_e32 v69, 31, v69
	v_xor_b32_e32 v81, s21, v81
	v_lshl_add_u32 v36, v36, 3, v135
	v_and_b32_e32 v68, v68, v71
	v_cmp_gt_i32_e64 s21, 0, v80
	v_ashrrev_i32_e32 v70, 31, v70
	v_xor_b32_e32 v69, s20, v69
	v_lshl_add_u32 v71, v36, 2, v12
	v_and_b32_e32 v68, v68, v81
	v_xor_b32_e32 v70, s21, v70
	ds_read_b32 v36, v71 offset:32
	v_and_b32_e32 v68, v68, v69
	; wave barrier
	v_and_b32_e32 v69, v68, v70
	v_add_nc_u32_e32 v68, 32, v71
	v_mbcnt_lo_u32_b32 v96, v69, 0
	v_cmp_ne_u32_e64 s21, 0, v69
	v_cmp_eq_u32_e64 s20, 0, v96
	s_and_b32 s21, s21, s20
	s_and_saveexec_b32 s20, s21
	s_cbranch_execz .LBB1840_45
; %bb.44:                               ;   in Loop: Header=BB1840_29 Depth=1
	s_waitcnt lgkmcnt(0)
	v_bcnt_u32_b32 v69, v69, v36
	ds_write_b32 v68, v69
.LBB1840_45:                            ;   in Loop: Header=BB1840_29 Depth=1
	s_or_b32 exec_lo, exec_lo, s20
	; wave barrier
	s_waitcnt lgkmcnt(0)
	s_barrier
	buffer_gl0_inv
	ds_read_b32 v70, v25
	ds_read_b32 v71, v39
	;; [unrolled: 1-line block ×8, first 2 shown]
	s_waitcnt lgkmcnt(6)
	v_add_nc_u32_e32 v87, v71, v70
	s_waitcnt lgkmcnt(4)
	v_add3_u32 v87, v87, v80, v81
	s_waitcnt lgkmcnt(2)
	v_add3_u32 v87, v87, v82, v83
	;; [unrolled: 2-line block ×3, first 2 shown]
	v_mov_b32_dpp v87, v85 row_shr:1 row_mask:0xf bank_mask:0xf
	v_cndmask_b32_e64 v87, v87, 0, vcc_lo
	v_add_nc_u32_e32 v85, v87, v85
	v_mov_b32_dpp v87, v85 row_shr:2 row_mask:0xf bank_mask:0xf
	v_cndmask_b32_e64 v87, 0, v87, s4
	v_add_nc_u32_e32 v85, v85, v87
	v_mov_b32_dpp v87, v85 row_shr:4 row_mask:0xf bank_mask:0xf
	v_cndmask_b32_e64 v87, 0, v87, s5
	;; [unrolled: 3-line block ×3, first 2 shown]
	v_add_nc_u32_e32 v85, v85, v87
	ds_swizzle_b32 v87, v85 offset:swizzle(BROADCAST,32,15)
	s_waitcnt lgkmcnt(0)
	v_cndmask_b32_e64 v87, v87, 0, s10
	v_add_nc_u32_e32 v85, v85, v87
	s_and_saveexec_b32 s20, s11
; %bb.46:                               ;   in Loop: Header=BB1840_29 Depth=1
	ds_write_b32 v146, v85
; %bb.47:                               ;   in Loop: Header=BB1840_29 Depth=1
	s_or_b32 exec_lo, exec_lo, s20
	s_waitcnt lgkmcnt(0)
	s_barrier
	buffer_gl0_inv
	s_and_saveexec_b32 s20, s14
	s_cbranch_execz .LBB1840_49
; %bb.48:                               ;   in Loop: Header=BB1840_29 Depth=1
	ds_read_b32 v87, v147
	s_waitcnt lgkmcnt(0)
	v_mov_b32_dpp v97, v87 row_shr:1 row_mask:0xf bank_mask:0xf
	v_cndmask_b32_e64 v97, v97, 0, s17
	v_add_nc_u32_e32 v87, v97, v87
	v_mov_b32_dpp v97, v87 row_shr:2 row_mask:0xf bank_mask:0xf
	v_cndmask_b32_e64 v97, 0, v97, s18
	v_add_nc_u32_e32 v87, v87, v97
	;; [unrolled: 3-line block ×3, first 2 shown]
	ds_write_b32 v147, v87
.LBB1840_49:                            ;   in Loop: Header=BB1840_29 Depth=1
	s_or_b32 exec_lo, exec_lo, s20
	v_mov_b32_e32 v87, 0
	s_waitcnt lgkmcnt(0)
	s_barrier
	buffer_gl0_inv
	s_and_saveexec_b32 s20, s15
; %bb.50:                               ;   in Loop: Header=BB1840_29 Depth=1
	v_add_nc_u32_e32 v87, -4, v146
	ds_read_b32 v87, v87
; %bb.51:                               ;   in Loop: Header=BB1840_29 Depth=1
	s_or_b32 exec_lo, exec_lo, s20
	s_waitcnt lgkmcnt(0)
	v_add_nc_u32_e32 v85, v87, v85
	v_add_nc_u32_e32 v10, 8, v10
	s_mov_b32 s26, -1
                                        ; implicit-def: $vgpr183
	ds_bpermute_b32 v85, v144, v85
	v_cmp_lt_u32_e64 s20, v10, v11
	s_waitcnt lgkmcnt(0)
	v_cndmask_b32_e64 v85, v85, v87, s6
	v_mov_b32_e32 v87, v5
	v_cndmask_b32_e64 v85, v85, 0, s16
	v_add_nc_u32_e32 v70, v85, v70
	v_add_nc_u32_e32 v71, v70, v71
	ds_write_b32 v25, v85
	ds_write_b32 v39, v70
	;; [unrolled: 1-line block ×3, first 2 shown]
	v_mov_b32_e32 v85, v5
	v_add_nc_u32_e32 v80, v71, v80
	v_mov_b32_e32 v71, v5
	v_add_nc_u32_e32 v81, v80, v81
	v_add_nc_u32_e32 v82, v81, v82
	;; [unrolled: 1-line block ×4, first 2 shown]
	ds_write_b32 v130, v80
	ds_write_b32 v131, v81
	;; [unrolled: 1-line block ×5, first 2 shown]
	s_waitcnt lgkmcnt(0)
	s_barrier
	buffer_gl0_inv
	ds_read_b32 v33, v33
	ds_read_b32 v37, v37
	;; [unrolled: 1-line block ×8, first 2 shown]
	v_mov_b32_e32 v67, v5
	v_mov_b32_e32 v69, v5
	;; [unrolled: 1-line block ×4, first 2 shown]
	s_waitcnt lgkmcnt(0)
	v_add_nc_u32_e32 v4, v33, v4
	v_add3_u32 v70, v35, v34, v37
	v_add3_u32 v66, v48, v38, v49
	;; [unrolled: 1-line block ×4, first 2 shown]
	v_lshlrev_b64 v[33:34], 1, v[4:5]
	v_add3_u32 v84, v86, v84, v97
	v_add3_u32 v86, v96, v36, v98
	v_lshlrev_b64 v[35:36], 1, v[70:71]
	v_lshlrev_b64 v[37:38], 1, v[66:67]
	v_add3_u32 v82, v65, v64, v82
	v_lshlrev_b64 v[48:49], 1, v[68:69]
	v_add_co_u32 v116, s21, v12, v33
	v_lshlrev_b64 v[50:51], 1, v[80:81]
	v_add_co_ci_u32_e64 v117, null, v13, v34, s21
	v_add_co_u32 v118, s21, v12, v35
	v_lshlrev_b64 v[52:53], 1, v[82:83]
	v_add_co_ci_u32_e64 v119, null, v13, v36, s21
	;; [unrolled: 3-line block ×4, first 2 shown]
	v_add_co_u32 v100, s21, v12, v50
	v_add_co_ci_u32_e64 v101, null, v13, v51, s21
	v_add_co_u32 v102, s21, v12, v52
	v_add_co_ci_u32_e64 v103, null, v13, v53, s21
	;; [unrolled: 2-line block ×4, first 2 shown]
                                        ; implicit-def: $vgpr33_vgpr34
                                        ; implicit-def: $vgpr35_vgpr36
                                        ; implicit-def: $vgpr37_vgpr38
                                        ; implicit-def: $vgpr48_vgpr49
                                        ; implicit-def: $vgpr50_vgpr51
                                        ; implicit-def: $vgpr52_vgpr53
                                        ; implicit-def: $vgpr54_vgpr55
                                        ; implicit-def: $vgpr64_vgpr65
                                        ; implicit-def: $vgpr83
                                        ; implicit-def: $vgpr85
                                        ; implicit-def: $vgpr87
                                        ; implicit-def: $vgpr81
                                        ; implicit-def: $vgpr67
                                        ; implicit-def: $vgpr71
                                        ; implicit-def: $vgpr69
	s_and_saveexec_b32 s21, s20
	s_cbranch_execz .LBB1840_28
; %bb.52:                               ;   in Loop: Header=BB1840_29 Depth=1
	v_add_nc_u32_e32 v33, 64, v145
	v_add_nc_u32_e32 v34, 0x80, v145
	;; [unrolled: 1-line block ×5, first 2 shown]
	s_barrier
	buffer_gl0_inv
	ds_write_b16 v116, v167
	ds_write_b16 v118, v178
	;; [unrolled: 1-line block ×8, first 2 shown]
	s_waitcnt lgkmcnt(0)
	s_barrier
	buffer_gl0_inv
	ds_read_u16 v183, v145
	ds_read_u16 v83, v33
	;; [unrolled: 1-line block ×8, first 2 shown]
	v_mad_u64_u32 v[33:34], null, v4, 6, v[116:117]
	v_mad_u64_u32 v[34:35], null, v70, 6, v[118:119]
	;; [unrolled: 1-line block ×8, first 2 shown]
	s_waitcnt lgkmcnt(0)
	s_barrier
	buffer_gl0_inv
	ds_write_b64 v33, v[31:32]
	ds_write_b64 v34, v[28:29]
	;; [unrolled: 1-line block ×8, first 2 shown]
	s_waitcnt lgkmcnt(0)
	s_barrier
	buffer_gl0_inv
	ds_read_b64 v[33:34], v148
	ds_read_b64 v[35:36], v151
	ds_read_b64 v[37:38], v160
	ds_read_b64 v[48:49], v161
	ds_read_b64 v[50:51], v162
	ds_read_b64 v[52:53], v163
	ds_read_b64 v[54:55], v164
	ds_read_b64 v[64:65], v165
	v_add_nc_u32_e32 v166, -8, v166
	s_xor_b32 s26, exec_lo, -1
	s_waitcnt lgkmcnt(0)
	s_barrier
	buffer_gl0_inv
	s_branch .LBB1840_28
.LBB1840_53:
	s_or_b32 exec_lo, exec_lo, s25
	v_mad_u64_u32 v[10:11], null, v4, 6, v[116:117]
	v_lshl_add_u32 v25, v30, 1, v12
	v_mad_u64_u32 v[11:12], null, v70, 6, v[118:119]
	s_barrier
	buffer_gl0_inv
	ds_write_b16 v116, v167
	ds_write_b16 v118, v178
	;; [unrolled: 1-line block ×8, first 2 shown]
	s_waitcnt lgkmcnt(0)
	s_barrier
	buffer_gl0_inv
	ds_read_u16 v38, v25
	ds_read_u16 v37, v25 offset:512
	ds_read_u16 v36, v25 offset:1024
	;; [unrolled: 1-line block ×7, first 2 shown]
	s_waitcnt lgkmcnt(0)
	s_barrier
	buffer_gl0_inv
	ds_write_b64 v10, v[31:32]
	ds_write_b64 v11, v[28:29]
	v_mad_u64_u32 v[10:11], null, v66, 6, v[96:97]
	v_mad_u64_u32 v[11:12], null, v68, 6, v[98:99]
	;; [unrolled: 1-line block ×4, first 2 shown]
	ds_write_b64 v10, v[22:23]
	v_mul_u32_u24_e32 v10, 6, v30
	v_mad_u64_u32 v[28:29], null, v82, 6, v[102:103]
	v_mad_u64_u32 v[31:32], null, v84, 6, v[112:113]
	v_add_nc_u32_e32 v10, v25, v10
	ds_write_b64 v11, v[20:21]
	ds_write_b64 v12, v[18:19]
	;; [unrolled: 1-line block ×5, first 2 shown]
	s_waitcnt lgkmcnt(0)
	s_barrier
	buffer_gl0_inv
	ds_read2st64_b64 v[20:23], v10 offset1:4
	ds_read2st64_b64 v[16:19], v10 offset0:8 offset1:12
	ds_read2st64_b64 v[12:15], v10 offset0:16 offset1:20
	;; [unrolled: 1-line block ×3, first 2 shown]
	v_mov_b32_e32 v25, 0
	v_add_co_u32 v2, vcc_lo, v2, v26
	v_add_co_ci_u32_e64 v3, null, v3, v27, vcc_lo
	v_lshlrev_b64 v[28:29], 1, v[24:25]
	s_waitcnt lgkmcnt(0)
	s_barrier
	buffer_gl0_inv
	v_add_co_u32 v2, vcc_lo, v2, v28
	v_add_co_ci_u32_e64 v3, null, v3, v29, vcc_lo
	v_cmp_lt_u32_e32 vcc_lo, v24, v128
	s_and_saveexec_b32 s5, vcc_lo
	s_cbranch_execz .LBB1840_55
; %bb.54:
	v_cmp_lt_i16_e64 s4, -1, v38
	v_cndmask_b32_e64 v26, 0xffff8000, -1, s4
	v_xor_b32_e32 v26, v26, v38
	flat_store_short v[2:3], v26
.LBB1840_55:
	s_or_b32 exec_lo, exec_lo, s5
	v_add_nc_u32_e32 v26, 0x100, v24
	v_cmp_lt_u32_e64 s4, v26, v128
	s_and_saveexec_b32 s6, s4
	s_cbranch_execz .LBB1840_57
; %bb.56:
	v_cmp_lt_i16_e64 s5, -1, v37
	v_cndmask_b32_e64 v26, 0xffff8000, -1, s5
	v_xor_b32_e32 v26, v26, v37
	flat_store_short v[2:3], v26 offset:512
.LBB1840_57:
	s_or_b32 exec_lo, exec_lo, s6
	v_add_nc_u32_e32 v26, 0x200, v24
	v_cmp_lt_u32_e64 s5, v26, v128
	s_and_saveexec_b32 s7, s5
	s_cbranch_execz .LBB1840_59
; %bb.58:
	v_cmp_lt_i16_e64 s6, -1, v36
	v_cndmask_b32_e64 v26, 0xffff8000, -1, s6
	v_xor_b32_e32 v26, v26, v36
	flat_store_short v[2:3], v26 offset:1024
.LBB1840_59:
	s_or_b32 exec_lo, exec_lo, s7
	v_add_nc_u32_e32 v26, 0x300, v24
	v_cmp_lt_u32_e64 s6, v26, v128
	s_and_saveexec_b32 s10, s6
	s_cbranch_execz .LBB1840_61
; %bb.60:
	v_cmp_lt_i16_e64 s7, -1, v35
	v_cndmask_b32_e64 v26, 0xffff8000, -1, s7
	v_xor_b32_e32 v26, v26, v35
	flat_store_short v[2:3], v26 offset:1536
.LBB1840_61:
	s_or_b32 exec_lo, exec_lo, s10
	v_add_nc_u32_e32 v26, 0x400, v24
	v_cmp_lt_u32_e64 s7, v26, v128
	s_and_saveexec_b32 s11, s7
	s_cbranch_execz .LBB1840_63
; %bb.62:
	v_cmp_lt_i16_e64 s10, -1, v34
	v_cndmask_b32_e64 v26, 0xffff8000, -1, s10
	v_xor_b32_e32 v28, v26, v34
	v_add_co_u32 v26, s10, 0x800, v2
	v_add_co_ci_u32_e64 v27, null, 0, v3, s10
	flat_store_short v[26:27], v28
.LBB1840_63:
	s_or_b32 exec_lo, exec_lo, s11
	v_add_nc_u32_e32 v26, 0x500, v24
	v_cmp_lt_u32_e64 s10, v26, v128
	s_and_saveexec_b32 s14, s10
	s_cbranch_execz .LBB1840_65
; %bb.64:
	v_cmp_lt_i16_e64 s11, -1, v33
	v_cndmask_b32_e64 v26, 0xffff8000, -1, s11
	v_xor_b32_e32 v28, v26, v33
	v_add_co_u32 v26, s11, 0x800, v2
	v_add_co_ci_u32_e64 v27, null, 0, v3, s11
	flat_store_short v[26:27], v28 offset:512
.LBB1840_65:
	s_or_b32 exec_lo, exec_lo, s14
	v_add_nc_u32_e32 v26, 0x600, v24
	v_cmp_lt_u32_e64 s11, v26, v128
	s_and_saveexec_b32 s15, s11
	s_cbranch_execz .LBB1840_67
; %bb.66:
	v_cmp_lt_i16_e64 s14, -1, v5
	v_cndmask_b32_e64 v26, 0xffff8000, -1, s14
	v_xor_b32_e32 v5, v26, v5
	v_add_co_u32 v26, s14, 0x800, v2
	v_add_co_ci_u32_e64 v27, null, 0, v3, s14
	flat_store_short v[26:27], v5 offset:1024
.LBB1840_67:
	s_or_b32 exec_lo, exec_lo, s15
	v_add_nc_u32_e32 v5, 0x700, v24
	v_cmp_lt_u32_e64 s14, v5, v128
	s_and_saveexec_b32 s16, s14
	s_cbranch_execz .LBB1840_69
; %bb.68:
	v_cmp_lt_i16_e64 s15, -1, v4
	v_cndmask_b32_e64 v5, 0xffff8000, -1, s15
	v_add_co_u32 v2, s15, 0x800, v2
	v_add_co_ci_u32_e64 v3, null, 0, v3, s15
	v_xor_b32_e32 v4, v5, v4
	flat_store_short v[2:3], v4 offset:1536
.LBB1840_69:
	s_or_b32 exec_lo, exec_lo, s16
	v_lshlrev_b64 v[2:3], 3, v[24:25]
	v_add_co_u32 v0, s15, v6, v0
	v_add_co_ci_u32_e64 v1, null, v7, v1, s15
	v_add_co_u32 v0, s15, v0, v2
	v_add_co_ci_u32_e64 v1, null, v1, v3, s15
	s_and_saveexec_b32 s15, vcc_lo
	s_cbranch_execnz .LBB1840_119
; %bb.70:
	s_or_b32 exec_lo, exec_lo, s15
	s_and_saveexec_b32 s15, s4
	s_cbranch_execnz .LBB1840_120
.LBB1840_71:
	s_or_b32 exec_lo, exec_lo, s15
	s_and_saveexec_b32 s4, s5
	s_cbranch_execnz .LBB1840_121
.LBB1840_72:
	s_or_b32 exec_lo, exec_lo, s4
	s_and_saveexec_b32 s4, s6
	s_cbranch_execnz .LBB1840_122
.LBB1840_73:
	s_or_b32 exec_lo, exec_lo, s4
	s_and_saveexec_b32 s4, s7
	s_cbranch_execnz .LBB1840_123
.LBB1840_74:
	s_or_b32 exec_lo, exec_lo, s4
	s_and_saveexec_b32 s4, s10
	s_cbranch_execnz .LBB1840_124
.LBB1840_75:
	s_or_b32 exec_lo, exec_lo, s4
	s_and_saveexec_b32 s4, s11
	s_cbranch_execnz .LBB1840_125
.LBB1840_76:
	s_or_b32 exec_lo, exec_lo, s4
	s_and_saveexec_b32 s4, s14
	s_cbranch_execz .LBB1840_78
.LBB1840_77:
	v_add_co_u32 v0, vcc_lo, 0x3800, v0
	v_add_co_ci_u32_e64 v1, null, 0, v1, vcc_lo
	flat_store_dwordx2 v[0:1], v[10:11]
.LBB1840_78:
	s_or_b32 exec_lo, exec_lo, s4
                                        ; implicit-def: $vgpr128
                                        ; implicit-def: $vgpr0
                                        ; implicit-def: $vgpr1
                                        ; implicit-def: $vgpr2
                                        ; implicit-def: $vgpr3
                                        ; implicit-def: $vgpr4
                                        ; implicit-def: $vgpr5
                                        ; implicit-def: $vgpr6
                                        ; implicit-def: $vgpr7
                                        ; implicit-def: $vgpr8
                                        ; implicit-def: $vgpr10
                                        ; implicit-def: $vgpr11
                                        ; implicit-def: $vgpr12
                                        ; implicit-def: $vgpr13
                                        ; implicit-def: $vgpr14
                                        ; implicit-def: $vgpr15
                                        ; implicit-def: $vgpr30
                                        ; implicit-def: $vgpr66
.LBB1840_79:
	s_andn2_saveexec_b32 s4, s23
	s_cbranch_execz .LBB1840_199
; %bb.80:
	s_mov_b32 s4, exec_lo
	v_cmpx_lt_u32_e32 0x200, v128
	s_xor_b32 s23, exec_lo, s4
	s_cbranch_execz .LBB1840_140
; %bb.81:
	s_load_dwordx2 s[4:5], s[8:9], 0x0
	v_mov_b32_e32 v9, 0
	v_lshlrev_b64 v[33:34], 1, v[8:9]
	v_add_co_u32 v18, vcc_lo, v0, v33
	v_add_co_ci_u32_e64 v19, null, v1, v34, vcc_lo
	s_waitcnt lgkmcnt(0)
	s_cmp_lt_u32 s13, s5
	s_cselect_b32 s5, 14, 20
	s_add_u32 s6, s8, s5
	s_addc_u32 s7, s9, 0
	s_cmp_lt_u32 s12, s4
	global_load_ushort v16, v9, s[6:7]
	s_cselect_b32 s4, 12, 18
	s_add_u32 s4, s8, s4
	s_addc_u32 s5, s9, 0
	global_load_ushort v17, v9, s[4:5]
	s_waitcnt vmcnt(1)
	v_mad_u32_u24 v14, v15, v16, v14
	v_mov_b32_e32 v15, v9
	v_mov_b32_e32 v16, 0x7fff
	s_waitcnt vmcnt(0)
	v_mad_u64_u32 v[31:32], null, v14, v17, v[30:31]
	v_lshlrev_b32_e32 v17, 1, v66
	v_add_co_u32 v17, vcc_lo, v18, v17
	v_lshlrev_b32_e32 v14, 2, v31
	v_add_co_ci_u32_e64 v18, null, 0, v19, vcc_lo
	v_and_b32_e32 v14, 0xffffff80, v14
	v_lshlrev_b64 v[0:1], 1, v[14:15]
	v_or_b32_e32 v20, v14, v66
	v_cmp_lt_u32_e64 s6, v20, v128
	v_add_co_u32 v0, vcc_lo, v17, v0
	v_add_co_ci_u32_e64 v1, null, v18, v1, vcc_lo
	v_mov_b32_e32 v17, 0x7fff
	s_and_saveexec_b32 s4, s6
	s_cbranch_execz .LBB1840_83
; %bb.82:
	flat_load_ushort v17, v[0:1]
.LBB1840_83:
	s_or_b32 exec_lo, exec_lo, s4
	v_or_b32_e32 v18, 32, v20
	v_cmp_lt_u32_e64 s4, v18, v128
	s_and_saveexec_b32 s5, s4
	s_cbranch_execz .LBB1840_85
; %bb.84:
	flat_load_ushort v16, v[0:1] offset:64
.LBB1840_85:
	s_or_b32 exec_lo, exec_lo, s5
	v_or_b32_e32 v19, 64, v20
	v_mov_b32_e32 v18, 0x7fff
	v_cmp_lt_u32_e64 s5, v19, v128
	v_mov_b32_e32 v19, 0x7fff
	s_and_saveexec_b32 s7, s5
	s_cbranch_execz .LBB1840_87
; %bb.86:
	flat_load_ushort v19, v[0:1] offset:128
.LBB1840_87:
	s_or_b32 exec_lo, exec_lo, s7
	v_or_b32_e32 v20, 0x60, v20
	v_cmp_lt_u32_e32 vcc_lo, v20, v128
	s_and_saveexec_b32 s7, vcc_lo
	s_cbranch_execz .LBB1840_89
; %bb.88:
	flat_load_ushort v18, v[0:1] offset:192
.LBB1840_89:
	s_or_b32 exec_lo, exec_lo, s7
	v_lshlrev_b64 v[0:1], 3, v[8:9]
	v_lshlrev_b32_e32 v8, 3, v66
	v_mov_b32_e32 v22, 0
	v_add_co_u32 v9, s7, v4, v0
	v_add_co_ci_u32_e64 v20, null, v5, v1, s7
	v_lshlrev_b64 v[4:5], 3, v[14:15]
	v_add_co_u32 v8, s7, v9, v8
	v_add_co_ci_u32_e64 v9, null, 0, v20, s7
	v_mov_b32_e32 v23, v22
	v_add_co_u32 v4, s7, v8, v4
	v_add_co_ci_u32_e64 v5, null, v9, v5, s7
	v_mov_b32_e32 v24, v22
	v_mov_b32_e32 v25, v22
	;; [unrolled: 1-line block ×6, first 2 shown]
	s_and_saveexec_b32 s7, s6
	s_cbranch_execnz .LBB1840_164
; %bb.90:
	s_or_b32 exec_lo, exec_lo, s7
	s_and_saveexec_b32 s6, s4
	s_cbranch_execnz .LBB1840_165
.LBB1840_91:
	s_or_b32 exec_lo, exec_lo, s6
	s_and_saveexec_b32 s4, s5
	s_cbranch_execnz .LBB1840_166
.LBB1840_92:
	s_or_b32 exec_lo, exec_lo, s4
	s_and_saveexec_b32 s4, vcc_lo
	s_cbranch_execz .LBB1840_94
.LBB1840_93:
	flat_load_dwordx2 v[28:29], v[4:5] offset:768
.LBB1840_94:
	s_or_b32 exec_lo, exec_lo, s4
	s_waitcnt vmcnt(0) lgkmcnt(0)
	v_cmp_lt_i16_e32 vcc_lo, -1, v17
	v_lshl_add_u32 v14, v30, 5, v12
	s_getpc_b64 s[4:5]
	s_add_u32 s4, s4, _ZN7rocprim17ROCPRIM_400000_NS16block_radix_sortI6__halfLj256ELj4ElLj1ELj1ELj8ELNS0_26block_radix_rank_algorithmE2ELNS0_18block_padding_hintE2ELNS0_4arch9wavefront6targetE0EE19radix_bits_per_passE@rel32@lo+4
	s_addc_u32 s5, s5, _ZN7rocprim17ROCPRIM_400000_NS16block_radix_sortI6__halfLj256ELj4ElLj1ELj1ELj8ELNS0_26block_radix_rank_algorithmE2ELNS0_18block_padding_hintE2ELNS0_4arch9wavefront6targetE0EE19radix_bits_per_passE@rel32@hi+12
	v_lshrrev_b32_e32 v70, 5, v31
	s_load_dword s24, s[4:5], 0x0
	v_cndmask_b32_e64 v4, -1, 0xffff8000, vcc_lo
	v_cmp_lt_i16_e32 vcc_lo, -1, v16
	v_add_nc_u32_e32 v32, 32, v14
	v_add_nc_u32_e32 v54, 36, v14
	;; [unrolled: 1-line block ×3, first 2 shown]
	v_xor_b32_e32 v9, v4, v17
	v_cndmask_b32_e64 v5, -1, 0xffff8000, vcc_lo
	v_cmp_lt_i16_e32 vcc_lo, -1, v19
	v_add_nc_u32_e32 v64, 44, v14
	v_add_nc_u32_e32 v65, 48, v14
	v_add_nc_u32_e32 v67, 52, v14
	v_add_nc_u32_e32 v68, 56, v14
	v_cndmask_b32_e64 v4, -1, 0xffff8000, vcc_lo
	v_cmp_lt_i16_e32 vcc_lo, -1, v18
	v_add_nc_u32_e32 v69, 60, v14
	v_sub_co_u32 v14, s6, v66, 1
	v_xor_b32_e32 v36, v4, v19
	v_and_b32_e32 v4, 0x3e0, v30
	v_cndmask_b32_e64 v8, -1, 0xffff8000, vcc_lo
	v_xor_b32_e32 v112, v5, v16
	v_and_b32_e32 v5, 15, v66
	v_cmp_gt_i32_e64 s14, 0, v14
	v_min_u32_e32 v4, 0xe0, v4
	v_xor_b32_e32 v103, v8, v18
	v_and_b32_e32 v8, 16, v66
	v_cmp_eq_u32_e32 vcc_lo, 0, v5
	v_cmp_lt_u32_e64 s4, 1, v5
	v_or_b32_e32 v4, 31, v4
	v_cmp_lt_u32_e64 s5, 3, v5
	v_cmp_eq_u32_e64 s10, 0, v8
	v_lshlrev_b32_e32 v8, 2, v30
	v_cmp_lt_u32_e64 s7, 7, v5
	v_cmp_eq_u32_e64 s11, v30, v4
	v_lshrrev_b32_e32 v4, 3, v30
	v_cndmask_b32_e64 v5, v14, v66, s14
	v_and_or_b32 v14, 0xf80, v8, v66
	v_cmp_gt_u32_e64 s14, 8, v30
	v_cmp_lt_u32_e64 s15, 31, v30
	v_and_b32_e32 v4, 0x7c, v4
	v_lshlrev_b32_e32 v71, 2, v5
	v_cmp_eq_u32_e64 s16, 0, v30
	v_mov_b32_e32 v5, 0
	v_add_nc_u32_e32 v81, v12, v8
	v_add_nc_u32_e32 v80, v12, v4
	v_and_b32_e32 v4, 7, v66
	v_lshl_add_u32 v66, v14, 1, v12
	v_mul_u32_u24_e32 v14, 6, v14
	v_sub_nc_u32_e32 v98, v11, v10
	v_add_nc_u32_e32 v83, -4, v80
	v_cmp_eq_u32_e64 s17, 0, v4
	v_cmp_lt_u32_e64 s18, 1, v4
	v_add_nc_u32_e32 v82, v66, v14
	v_cmp_lt_u32_e64 s19, 3, v4
	v_add_nc_u32_e32 v84, 64, v66
	v_add_nc_u32_e32 v85, 0x80, v66
	;; [unrolled: 1-line block ×6, first 2 shown]
	s_mov_b32 s25, 0
	s_waitcnt lgkmcnt(0)
	s_waitcnt_vscnt null, 0x0
	s_barrier
	buffer_gl0_inv
	s_branch .LBB1840_96
.LBB1840_95:                            ;   in Loop: Header=BB1840_96 Depth=1
	s_or_b32 exec_lo, exec_lo, s21
	s_and_b32 s20, exec_lo, s26
	s_or_b32 s25, s20, s25
	s_andn2_b32 exec_lo, exec_lo, s25
	s_cbranch_execz .LBB1840_126
.LBB1840_96:                            ; =>This Inner Loop Header: Depth=1
	v_mov_b32_e32 v99, v9
	v_min_u32_e32 v4, s24, v98
	v_mov_b32_e32 v14, v22
	v_mov_b32_e32 v15, v23
	;; [unrolled: 1-line block ×3, first 2 shown]
	v_cmp_ne_u16_e64 s20, 0x7fff, v99
	v_lshlrev_b32_e64 v4, v4, -1
	v_mov_b32_e32 v17, v25
	v_mov_b32_e32 v18, v26
	;; [unrolled: 1-line block ×3, first 2 shown]
	v_cndmask_b32_e64 v8, 0xffff8000, v99, s20
	v_not_b32_e32 v9, v4
	v_mov_b32_e32 v20, v28
	v_mov_b32_e32 v21, v29
	v_mov_b32_e32 v100, v112
	v_lshrrev_b32_sdwa v4, v10, v8 dst_sel:DWORD dst_unused:UNUSED_PAD src0_sel:DWORD src1_sel:WORD_0
	v_mov_b32_e32 v102, v36
	v_mov_b32_e32 v101, v103
	ds_write_b32 v32, v5
	ds_write_b32 v54, v5
	ds_write_b32 v55, v5
	ds_write_b32 v64, v5
	v_and_b32_e32 v4, v4, v9
	ds_write_b32 v65, v5
	ds_write_b32 v67, v5
	;; [unrolled: 1-line block ×4, first 2 shown]
	s_waitcnt lgkmcnt(0)
	v_and_b32_e32 v8, 1, v4
	v_lshlrev_b32_e32 v22, 30, v4
	v_lshlrev_b32_e32 v23, 29, v4
	;; [unrolled: 1-line block ×4, first 2 shown]
	v_add_co_u32 v8, s20, v8, -1
	v_cndmask_b32_e64 v25, 0, 1, s20
	v_not_b32_e32 v29, v22
	v_cmp_gt_i32_e64 s21, 0, v22
	v_not_b32_e32 v22, v23
	v_lshlrev_b32_e32 v27, 26, v4
	v_cmp_ne_u32_e64 s20, 0, v25
	v_ashrrev_i32_e32 v29, 31, v29
	v_lshlrev_b32_e32 v28, 25, v4
	v_ashrrev_i32_e32 v22, 31, v22
	v_lshlrev_b32_e32 v25, 24, v4
	v_xor_b32_e32 v8, s20, v8
	v_cmp_gt_i32_e64 s20, 0, v23
	v_not_b32_e32 v23, v24
	v_xor_b32_e32 v29, s21, v29
	v_cmp_gt_i32_e64 s21, 0, v24
	v_and_b32_e32 v8, exec_lo, v8
	v_not_b32_e32 v24, v26
	v_ashrrev_i32_e32 v23, 31, v23
	v_xor_b32_e32 v22, s20, v22
	v_cmp_gt_i32_e64 s20, 0, v26
	v_and_b32_e32 v8, v8, v29
	v_not_b32_e32 v26, v27
	v_ashrrev_i32_e32 v24, 31, v24
	v_xor_b32_e32 v23, s21, v23
	v_cmp_gt_i32_e64 s21, 0, v27
	v_and_b32_e32 v8, v8, v22
	;; [unrolled: 5-line block ×4, first 2 shown]
	v_ashrrev_i32_e32 v23, 31, v23
	v_xor_b32_e32 v22, s20, v22
	v_lshlrev_b32_e32 v4, 3, v4
	s_barrier
	v_and_b32_e32 v8, v8, v26
	v_xor_b32_e32 v23, s21, v23
	buffer_gl0_inv
	; wave barrier
	v_and_b32_e32 v8, v8, v22
	v_and_b32_e32 v22, v8, v23
	v_add_lshl_u32 v8, v4, v70, 2
	v_mbcnt_lo_u32_b32 v4, v22, 0
	v_add_co_u32 v8, null, v12, v8
	v_cmp_ne_u32_e64 s21, 0, v22
	v_cmp_eq_u32_e64 s20, 0, v4
	v_add_co_u32 v8, null, v8, 32
	s_and_b32 s21, s21, s20
	s_and_saveexec_b32 s20, s21
; %bb.97:                               ;   in Loop: Header=BB1840_96 Depth=1
	v_bcnt_u32_b32 v22, v22, 0
	ds_write_b32 v8, v22
; %bb.98:                               ;   in Loop: Header=BB1840_96 Depth=1
	s_or_b32 exec_lo, exec_lo, s20
	v_cmp_ne_u16_e64 s20, 0x7fff, v100
	; wave barrier
	v_cndmask_b32_e64 v22, 0xffff8000, v100, s20
	v_lshrrev_b32_sdwa v22, v10, v22 dst_sel:DWORD dst_unused:UNUSED_PAD src0_sel:DWORD src1_sel:WORD_0
	v_and_b32_e32 v22, v22, v9
	v_and_b32_e32 v23, 1, v22
	v_lshlrev_b32_e32 v24, 30, v22
	v_lshlrev_b32_e32 v25, 29, v22
	;; [unrolled: 1-line block ×4, first 2 shown]
	v_add_co_u32 v23, s20, v23, -1
	v_cndmask_b32_e64 v27, 0, 1, s20
	v_not_b32_e32 v36, v24
	v_cmp_gt_i32_e64 s21, 0, v24
	v_not_b32_e32 v24, v25
	v_lshlrev_b32_e32 v29, 26, v22
	v_cmp_ne_u32_e64 s20, 0, v27
	v_ashrrev_i32_e32 v36, 31, v36
	v_lshlrev_b32_e32 v35, 25, v22
	v_ashrrev_i32_e32 v24, 31, v24
	v_lshlrev_b32_e32 v27, 24, v22
	v_xor_b32_e32 v23, s20, v23
	v_cmp_gt_i32_e64 s20, 0, v25
	v_not_b32_e32 v25, v26
	v_xor_b32_e32 v36, s21, v36
	v_cmp_gt_i32_e64 s21, 0, v26
	v_and_b32_e32 v23, exec_lo, v23
	v_not_b32_e32 v26, v28
	v_ashrrev_i32_e32 v25, 31, v25
	v_xor_b32_e32 v24, s20, v24
	v_cmp_gt_i32_e64 s20, 0, v28
	v_and_b32_e32 v23, v23, v36
	v_not_b32_e32 v28, v29
	v_ashrrev_i32_e32 v26, 31, v26
	v_xor_b32_e32 v25, s21, v25
	v_cmp_gt_i32_e64 s21, 0, v29
	v_and_b32_e32 v23, v23, v24
	;; [unrolled: 5-line block ×3, first 2 shown]
	v_not_b32_e32 v25, v27
	v_ashrrev_i32_e32 v24, 31, v24
	v_xor_b32_e32 v28, s21, v28
	v_lshl_add_u32 v22, v22, 3, v70
	v_and_b32_e32 v23, v23, v26
	v_cmp_gt_i32_e64 s21, 0, v27
	v_ashrrev_i32_e32 v25, 31, v25
	v_xor_b32_e32 v24, s20, v24
	v_lshl_add_u32 v26, v22, 2, v12
	v_and_b32_e32 v23, v23, v28
	v_xor_b32_e32 v25, s21, v25
	ds_read_b32 v22, v26 offset:32
	v_and_b32_e32 v23, v23, v24
	v_add_nc_u32_e32 v24, 32, v26
	; wave barrier
	v_and_b32_e32 v25, v23, v25
	v_mbcnt_lo_u32_b32 v23, v25, 0
	v_cmp_ne_u32_e64 s21, 0, v25
	v_cmp_eq_u32_e64 s20, 0, v23
	s_and_b32 s21, s21, s20
	s_and_saveexec_b32 s20, s21
	s_cbranch_execz .LBB1840_100
; %bb.99:                               ;   in Loop: Header=BB1840_96 Depth=1
	s_waitcnt lgkmcnt(0)
	v_bcnt_u32_b32 v25, v25, v22
	ds_write_b32 v24, v25
.LBB1840_100:                           ;   in Loop: Header=BB1840_96 Depth=1
	s_or_b32 exec_lo, exec_lo, s20
	v_cmp_ne_u16_e64 s20, 0x7fff, v102
	; wave barrier
	v_cndmask_b32_e64 v25, 0xffff8000, v102, s20
	v_lshrrev_b32_sdwa v25, v10, v25 dst_sel:DWORD dst_unused:UNUSED_PAD src0_sel:DWORD src1_sel:WORD_0
	v_and_b32_e32 v25, v25, v9
	v_and_b32_e32 v26, 1, v25
	v_lshlrev_b32_e32 v27, 30, v25
	v_lshlrev_b32_e32 v28, 29, v25
	;; [unrolled: 1-line block ×4, first 2 shown]
	v_add_co_u32 v26, s20, v26, -1
	v_cndmask_b32_e64 v35, 0, 1, s20
	v_not_b32_e32 v39, v27
	v_cmp_gt_i32_e64 s21, 0, v27
	v_not_b32_e32 v27, v28
	v_lshlrev_b32_e32 v37, 26, v25
	v_cmp_ne_u32_e64 s20, 0, v35
	v_ashrrev_i32_e32 v39, 31, v39
	v_lshlrev_b32_e32 v38, 25, v25
	v_ashrrev_i32_e32 v27, 31, v27
	v_lshlrev_b32_e32 v35, 24, v25
	v_xor_b32_e32 v26, s20, v26
	v_cmp_gt_i32_e64 s20, 0, v28
	v_not_b32_e32 v28, v29
	v_xor_b32_e32 v39, s21, v39
	v_cmp_gt_i32_e64 s21, 0, v29
	v_and_b32_e32 v26, exec_lo, v26
	v_not_b32_e32 v29, v36
	v_ashrrev_i32_e32 v28, 31, v28
	v_xor_b32_e32 v27, s20, v27
	v_cmp_gt_i32_e64 s20, 0, v36
	v_and_b32_e32 v26, v26, v39
	v_not_b32_e32 v36, v37
	v_ashrrev_i32_e32 v29, 31, v29
	v_xor_b32_e32 v28, s21, v28
	v_cmp_gt_i32_e64 s21, 0, v37
	v_and_b32_e32 v26, v26, v27
	;; [unrolled: 5-line block ×3, first 2 shown]
	v_not_b32_e32 v28, v35
	v_ashrrev_i32_e32 v27, 31, v27
	v_xor_b32_e32 v36, s21, v36
	v_lshl_add_u32 v25, v25, 3, v70
	v_and_b32_e32 v26, v26, v29
	v_cmp_gt_i32_e64 s21, 0, v35
	v_ashrrev_i32_e32 v28, 31, v28
	v_xor_b32_e32 v27, s20, v27
	v_lshl_add_u32 v29, v25, 2, v12
	v_and_b32_e32 v26, v26, v36
	v_xor_b32_e32 v28, s21, v28
	ds_read_b32 v25, v29 offset:32
	v_and_b32_e32 v26, v26, v27
	v_add_nc_u32_e32 v27, 32, v29
	; wave barrier
	v_and_b32_e32 v28, v26, v28
	v_mbcnt_lo_u32_b32 v26, v28, 0
	v_cmp_ne_u32_e64 s21, 0, v28
	v_cmp_eq_u32_e64 s20, 0, v26
	s_and_b32 s21, s21, s20
	s_and_saveexec_b32 s20, s21
	s_cbranch_execz .LBB1840_102
; %bb.101:                              ;   in Loop: Header=BB1840_96 Depth=1
	s_waitcnt lgkmcnt(0)
	v_bcnt_u32_b32 v28, v28, v25
	ds_write_b32 v27, v28
.LBB1840_102:                           ;   in Loop: Header=BB1840_96 Depth=1
	s_or_b32 exec_lo, exec_lo, s20
	v_cmp_ne_u16_e64 s20, 0x7fff, v101
	; wave barrier
	v_cndmask_b32_e64 v28, 0xffff8000, v101, s20
	v_lshrrev_b32_sdwa v28, v10, v28 dst_sel:DWORD dst_unused:UNUSED_PAD src0_sel:DWORD src1_sel:WORD_0
	v_and_b32_e32 v9, v28, v9
	v_and_b32_e32 v28, 1, v9
	v_lshlrev_b32_e32 v29, 30, v9
	v_lshlrev_b32_e32 v35, 29, v9
	;; [unrolled: 1-line block ×4, first 2 shown]
	v_add_co_u32 v28, s20, v28, -1
	v_cndmask_b32_e64 v37, 0, 1, s20
	v_not_b32_e32 v49, v29
	v_cmp_gt_i32_e64 s21, 0, v29
	v_not_b32_e32 v29, v35
	v_lshlrev_b32_e32 v39, 26, v9
	v_cmp_ne_u32_e64 s20, 0, v37
	v_ashrrev_i32_e32 v49, 31, v49
	v_lshlrev_b32_e32 v48, 25, v9
	v_ashrrev_i32_e32 v29, 31, v29
	v_lshlrev_b32_e32 v37, 24, v9
	v_xor_b32_e32 v28, s20, v28
	v_cmp_gt_i32_e64 s20, 0, v35
	v_not_b32_e32 v35, v36
	v_xor_b32_e32 v49, s21, v49
	v_cmp_gt_i32_e64 s21, 0, v36
	v_and_b32_e32 v28, exec_lo, v28
	v_not_b32_e32 v36, v38
	v_ashrrev_i32_e32 v35, 31, v35
	v_xor_b32_e32 v29, s20, v29
	v_cmp_gt_i32_e64 s20, 0, v38
	v_and_b32_e32 v28, v28, v49
	v_not_b32_e32 v38, v39
	v_ashrrev_i32_e32 v36, 31, v36
	v_xor_b32_e32 v35, s21, v35
	v_cmp_gt_i32_e64 s21, 0, v39
	v_and_b32_e32 v28, v28, v29
	;; [unrolled: 5-line block ×3, first 2 shown]
	v_not_b32_e32 v35, v37
	v_ashrrev_i32_e32 v29, 31, v29
	v_xor_b32_e32 v38, s21, v38
	v_lshl_add_u32 v9, v9, 3, v70
	v_and_b32_e32 v28, v28, v36
	v_cmp_gt_i32_e64 s21, 0, v37
	v_ashrrev_i32_e32 v35, 31, v35
	v_xor_b32_e32 v29, s20, v29
	v_lshl_add_u32 v9, v9, 2, v12
	v_and_b32_e32 v28, v28, v38
	v_xor_b32_e32 v35, s21, v35
	v_and_b32_e32 v29, v28, v29
	ds_read_b32 v28, v9 offset:32
	v_add_nc_u32_e32 v9, 32, v9
	; wave barrier
	v_and_b32_e32 v35, v29, v35
	v_mbcnt_lo_u32_b32 v29, v35, 0
	v_cmp_ne_u32_e64 s21, 0, v35
	v_cmp_eq_u32_e64 s20, 0, v29
	s_and_b32 s21, s21, s20
	s_and_saveexec_b32 s20, s21
	s_cbranch_execz .LBB1840_104
; %bb.103:                              ;   in Loop: Header=BB1840_96 Depth=1
	s_waitcnt lgkmcnt(0)
	v_bcnt_u32_b32 v35, v35, v28
	ds_write_b32 v9, v35
.LBB1840_104:                           ;   in Loop: Header=BB1840_96 Depth=1
	s_or_b32 exec_lo, exec_lo, s20
	; wave barrier
	s_waitcnt lgkmcnt(0)
	s_barrier
	buffer_gl0_inv
	ds_read_b32 v36, v32
	ds_read_b32 v37, v54
	ds_read_b32 v38, v55
	ds_read_b32 v39, v64
	ds_read_b32 v48, v65
	ds_read_b32 v49, v67
	ds_read_b32 v35, v68
	ds_read_b32 v50, v69
	s_waitcnt lgkmcnt(6)
	v_add_nc_u32_e32 v51, v37, v36
	s_waitcnt lgkmcnt(4)
	v_add3_u32 v51, v51, v38, v39
	s_waitcnt lgkmcnt(2)
	v_add3_u32 v51, v51, v48, v49
	;; [unrolled: 2-line block ×3, first 2 shown]
	v_mov_b32_dpp v51, v50 row_shr:1 row_mask:0xf bank_mask:0xf
	v_cndmask_b32_e64 v51, v51, 0, vcc_lo
	v_add_nc_u32_e32 v50, v51, v50
	v_mov_b32_dpp v51, v50 row_shr:2 row_mask:0xf bank_mask:0xf
	v_cndmask_b32_e64 v51, 0, v51, s4
	v_add_nc_u32_e32 v50, v50, v51
	v_mov_b32_dpp v51, v50 row_shr:4 row_mask:0xf bank_mask:0xf
	v_cndmask_b32_e64 v51, 0, v51, s5
	;; [unrolled: 3-line block ×3, first 2 shown]
	v_add_nc_u32_e32 v50, v50, v51
	ds_swizzle_b32 v51, v50 offset:swizzle(BROADCAST,32,15)
	s_waitcnt lgkmcnt(0)
	v_cndmask_b32_e64 v51, v51, 0, s10
	v_add_nc_u32_e32 v50, v50, v51
	s_and_saveexec_b32 s20, s11
; %bb.105:                              ;   in Loop: Header=BB1840_96 Depth=1
	ds_write_b32 v80, v50
; %bb.106:                              ;   in Loop: Header=BB1840_96 Depth=1
	s_or_b32 exec_lo, exec_lo, s20
	s_waitcnt lgkmcnt(0)
	s_barrier
	buffer_gl0_inv
	s_and_saveexec_b32 s20, s14
	s_cbranch_execz .LBB1840_108
; %bb.107:                              ;   in Loop: Header=BB1840_96 Depth=1
	ds_read_b32 v51, v81
	s_waitcnt lgkmcnt(0)
	v_mov_b32_dpp v52, v51 row_shr:1 row_mask:0xf bank_mask:0xf
	v_cndmask_b32_e64 v52, v52, 0, s17
	v_add_nc_u32_e32 v51, v52, v51
	v_mov_b32_dpp v52, v51 row_shr:2 row_mask:0xf bank_mask:0xf
	v_cndmask_b32_e64 v52, 0, v52, s18
	v_add_nc_u32_e32 v51, v51, v52
	;; [unrolled: 3-line block ×3, first 2 shown]
	ds_write_b32 v81, v51
.LBB1840_108:                           ;   in Loop: Header=BB1840_96 Depth=1
	s_or_b32 exec_lo, exec_lo, s20
	v_mov_b32_e32 v51, 0
	s_waitcnt lgkmcnt(0)
	s_barrier
	buffer_gl0_inv
	s_and_saveexec_b32 s20, s15
; %bb.109:                              ;   in Loop: Header=BB1840_96 Depth=1
	ds_read_b32 v51, v83
; %bb.110:                              ;   in Loop: Header=BB1840_96 Depth=1
	s_or_b32 exec_lo, exec_lo, s20
	s_waitcnt lgkmcnt(0)
	v_add_nc_u32_e32 v50, v51, v50
	v_add_nc_u32_e32 v10, 8, v10
	s_mov_b32 s26, -1
                                        ; implicit-def: $vgpr112
                                        ; implicit-def: $vgpr103
	ds_bpermute_b32 v50, v71, v50
	s_waitcnt lgkmcnt(0)
	v_cndmask_b32_e64 v50, v50, v51, s6
	v_cndmask_b32_e64 v50, v50, 0, s16
	v_add_nc_u32_e32 v36, v50, v36
	v_add_nc_u32_e32 v37, v36, v37
	ds_write_b32 v32, v50
	ds_write_b32 v54, v36
	;; [unrolled: 1-line block ×3, first 2 shown]
	v_mov_b32_e32 v36, v5
	v_add_nc_u32_e32 v38, v37, v38
	v_add_nc_u32_e32 v39, v38, v39
	;; [unrolled: 1-line block ×5, first 2 shown]
	ds_write_b32 v64, v38
	ds_write_b32 v65, v39
	;; [unrolled: 1-line block ×5, first 2 shown]
	s_waitcnt lgkmcnt(0)
	s_barrier
	buffer_gl0_inv
	ds_read_b32 v8, v8
	ds_read_b32 v24, v24
	;; [unrolled: 1-line block ×4, first 2 shown]
	v_mov_b32_e32 v9, v5
	v_mov_b32_e32 v38, v5
	s_waitcnt lgkmcnt(0)
	v_add_nc_u32_e32 v4, v8, v4
	v_add3_u32 v8, v23, v22, v24
	v_add3_u32 v35, v26, v25, v27
	;; [unrolled: 1-line block ×3, first 2 shown]
	v_lshlrev_b64 v[22:23], 1, v[4:5]
	v_lshlrev_b64 v[24:25], 1, v[8:9]
	;; [unrolled: 1-line block ×4, first 2 shown]
                                        ; implicit-def: $vgpr9
                                        ; implicit-def: $vgpr36
	v_add_co_u32 v52, s21, v12, v22
	v_add_co_ci_u32_e64 v53, null, v13, v23, s21
	v_add_co_u32 v50, s21, v12, v24
	v_add_co_ci_u32_e64 v51, null, v13, v25, s21
	;; [unrolled: 2-line block ×4, first 2 shown]
	s_mov_b32 s21, exec_lo
                                        ; implicit-def: $vgpr22_vgpr23_vgpr24_vgpr25_vgpr26_vgpr27_vgpr28_vgpr29
	v_cmpx_lt_u32_e64 v10, v11
	s_cbranch_execz .LBB1840_95
; %bb.111:                              ;   in Loop: Header=BB1840_96 Depth=1
	v_mad_u64_u32 v[22:23], null, v4, 6, v[52:53]
	v_mad_u64_u32 v[23:24], null, v8, 6, v[50:51]
	;; [unrolled: 1-line block ×4, first 2 shown]
	s_barrier
	buffer_gl0_inv
	ds_write_b16 v52, v99
	ds_write_b16 v50, v100
	;; [unrolled: 1-line block ×4, first 2 shown]
	s_waitcnt lgkmcnt(0)
	s_barrier
	buffer_gl0_inv
	ds_read_u16 v9, v66
	ds_read_u16 v112, v84
	;; [unrolled: 1-line block ×4, first 2 shown]
	s_waitcnt lgkmcnt(0)
	s_barrier
	buffer_gl0_inv
	ds_write_b64 v22, v[14:15]
	ds_write_b64 v23, v[16:17]
	;; [unrolled: 1-line block ×4, first 2 shown]
	s_waitcnt lgkmcnt(0)
	s_barrier
	buffer_gl0_inv
	ds_read_b64 v[22:23], v82
	ds_read_b64 v[24:25], v87
	ds_read_b64 v[26:27], v96
	ds_read_b64 v[28:29], v97
	v_add_nc_u32_e32 v98, -8, v98
	s_xor_b32 s26, exec_lo, -1
	s_waitcnt lgkmcnt(0)
	s_barrier
	buffer_gl0_inv
	s_branch .LBB1840_95
.LBB1840_112:
	flat_load_dwordx2 v[33:34], v[4:5]
	s_or_b32 exec_lo, exec_lo, s15
                                        ; implicit-def: $vgpr35_vgpr36
	s_and_saveexec_b32 s15, s4
	s_cbranch_execz .LBB1840_20
.LBB1840_113:
	flat_load_dwordx2 v[35:36], v[4:5] offset:256
	s_or_b32 exec_lo, exec_lo, s15
                                        ; implicit-def: $vgpr37_vgpr38
	s_and_saveexec_b32 s4, s5
	s_cbranch_execz .LBB1840_21
.LBB1840_114:
	flat_load_dwordx2 v[37:38], v[4:5] offset:512
	s_or_b32 exec_lo, exec_lo, s4
                                        ; implicit-def: $vgpr48_vgpr49
	s_and_saveexec_b32 s4, s6
	s_cbranch_execz .LBB1840_22
.LBB1840_115:
	flat_load_dwordx2 v[48:49], v[4:5] offset:768
	s_or_b32 exec_lo, exec_lo, s4
                                        ; implicit-def: $vgpr50_vgpr51
	s_and_saveexec_b32 s4, s7
	s_cbranch_execz .LBB1840_23
.LBB1840_116:
	flat_load_dwordx2 v[50:51], v[4:5] offset:1024
	s_or_b32 exec_lo, exec_lo, s4
                                        ; implicit-def: $vgpr52_vgpr53
	s_and_saveexec_b32 s4, s10
	s_cbranch_execz .LBB1840_24
.LBB1840_117:
	flat_load_dwordx2 v[52:53], v[4:5] offset:1280
	s_or_b32 exec_lo, exec_lo, s4
                                        ; implicit-def: $vgpr54_vgpr55
	s_and_saveexec_b32 s4, s11
	s_cbranch_execz .LBB1840_25
.LBB1840_118:
	flat_load_dwordx2 v[54:55], v[4:5] offset:1536
	s_or_b32 exec_lo, exec_lo, s4
                                        ; implicit-def: $vgpr64_vgpr65
	s_and_saveexec_b32 s4, s14
	s_cbranch_execnz .LBB1840_26
	s_branch .LBB1840_27
.LBB1840_119:
	flat_store_dwordx2 v[0:1], v[20:21]
	s_or_b32 exec_lo, exec_lo, s15
	s_and_saveexec_b32 s15, s4
	s_cbranch_execz .LBB1840_71
.LBB1840_120:
	v_add_co_u32 v2, vcc_lo, 0x800, v0
	v_add_co_ci_u32_e64 v3, null, 0, v1, vcc_lo
	flat_store_dwordx2 v[2:3], v[22:23]
	s_or_b32 exec_lo, exec_lo, s15
	s_and_saveexec_b32 s4, s5
	s_cbranch_execz .LBB1840_72
.LBB1840_121:
	v_add_co_u32 v2, vcc_lo, 0x1000, v0
	v_add_co_ci_u32_e64 v3, null, 0, v1, vcc_lo
	flat_store_dwordx2 v[2:3], v[16:17]
	s_or_b32 exec_lo, exec_lo, s4
	s_and_saveexec_b32 s4, s6
	s_cbranch_execz .LBB1840_73
.LBB1840_122:
	v_add_co_u32 v2, vcc_lo, 0x1800, v0
	v_add_co_ci_u32_e64 v3, null, 0, v1, vcc_lo
	flat_store_dwordx2 v[2:3], v[18:19]
	s_or_b32 exec_lo, exec_lo, s4
	s_and_saveexec_b32 s4, s7
	s_cbranch_execz .LBB1840_74
.LBB1840_123:
	v_add_co_u32 v2, vcc_lo, 0x2000, v0
	v_add_co_ci_u32_e64 v3, null, 0, v1, vcc_lo
	flat_store_dwordx2 v[2:3], v[12:13]
	s_or_b32 exec_lo, exec_lo, s4
	s_and_saveexec_b32 s4, s10
	s_cbranch_execz .LBB1840_75
.LBB1840_124:
	v_add_co_u32 v2, vcc_lo, 0x2800, v0
	v_add_co_ci_u32_e64 v3, null, 0, v1, vcc_lo
	flat_store_dwordx2 v[2:3], v[14:15]
	s_or_b32 exec_lo, exec_lo, s4
	s_and_saveexec_b32 s4, s11
	s_cbranch_execz .LBB1840_76
.LBB1840_125:
	v_add_co_u32 v2, vcc_lo, 0x3000, v0
	v_add_co_ci_u32_e64 v3, null, 0, v1, vcc_lo
	flat_store_dwordx2 v[2:3], v[8:9]
	s_or_b32 exec_lo, exec_lo, s4
	s_and_saveexec_b32 s4, s14
	s_cbranch_execnz .LBB1840_77
	s_branch .LBB1840_78
.LBB1840_126:
	s_or_b32 exec_lo, exec_lo, s25
	v_mad_u64_u32 v[9:10], null, v4, 6, v[52:53]
	v_lshl_add_u32 v25, v30, 1, v12
	v_mad_u64_u32 v[10:11], null, v8, 6, v[50:51]
	v_mul_u32_u24_e32 v4, 6, v30
	v_mad_u64_u32 v[11:12], null, v35, 6, v[48:49]
	v_mad_u64_u32 v[12:13], null, v37, 6, v[38:39]
	v_add_nc_u32_e32 v4, v25, v4
	s_barrier
	buffer_gl0_inv
	ds_write_b16 v52, v99
	ds_write_b16 v50, v100
	ds_write_b16 v48, v102
	ds_write_b16 v38, v101
	s_waitcnt lgkmcnt(0)
	s_barrier
	buffer_gl0_inv
	ds_read_u16 v24, v25
	ds_read_u16 v23, v25 offset:512
	ds_read_u16 v22, v25 offset:1024
	;; [unrolled: 1-line block ×3, first 2 shown]
	s_waitcnt lgkmcnt(0)
	s_barrier
	buffer_gl0_inv
	ds_write_b64 v9, v[14:15]
	ds_write_b64 v10, v[16:17]
	;; [unrolled: 1-line block ×4, first 2 shown]
	s_waitcnt lgkmcnt(0)
	s_barrier
	buffer_gl0_inv
	ds_read2st64_b64 v[12:15], v4 offset1:4
	ds_read2st64_b64 v[8:11], v4 offset0:8 offset1:12
	v_mov_b32_e32 v32, 0
	v_add_co_u32 v2, vcc_lo, v2, v33
	v_add_co_ci_u32_e64 v3, null, v3, v34, vcc_lo
	v_lshlrev_b64 v[16:17], 1, v[31:32]
	s_waitcnt lgkmcnt(0)
	s_barrier
	buffer_gl0_inv
	v_add_co_u32 v2, vcc_lo, v2, v16
	v_add_co_ci_u32_e64 v3, null, v3, v17, vcc_lo
	v_cmp_lt_u32_e32 vcc_lo, v31, v128
	s_and_saveexec_b32 s5, vcc_lo
	s_cbranch_execz .LBB1840_128
; %bb.127:
	v_cmp_lt_i16_e64 s4, -1, v24
	v_cndmask_b32_e64 v4, 0xffff8000, -1, s4
	v_xor_b32_e32 v4, v4, v24
	flat_store_short v[2:3], v4
.LBB1840_128:
	s_or_b32 exec_lo, exec_lo, s5
	v_add_nc_u32_e32 v4, 0x100, v31
	v_cmp_lt_u32_e64 s4, v4, v128
	s_and_saveexec_b32 s6, s4
	s_cbranch_execz .LBB1840_130
; %bb.129:
	v_cmp_lt_i16_e64 s5, -1, v23
	v_cndmask_b32_e64 v4, 0xffff8000, -1, s5
	v_xor_b32_e32 v4, v4, v23
	flat_store_short v[2:3], v4 offset:512
.LBB1840_130:
	s_or_b32 exec_lo, exec_lo, s6
	v_add_nc_u32_e32 v4, 0x200, v31
	v_cmp_lt_u32_e64 s5, v4, v128
	s_and_saveexec_b32 s7, s5
	s_cbranch_execz .LBB1840_132
; %bb.131:
	v_cmp_lt_i16_e64 s6, -1, v22
	v_cndmask_b32_e64 v4, 0xffff8000, -1, s6
	v_xor_b32_e32 v4, v4, v22
	flat_store_short v[2:3], v4 offset:1024
.LBB1840_132:
	s_or_b32 exec_lo, exec_lo, s7
	v_add_nc_u32_e32 v4, 0x300, v31
	v_cmp_lt_u32_e64 s6, v4, v128
	s_and_saveexec_b32 s10, s6
	s_cbranch_execz .LBB1840_134
; %bb.133:
	v_cmp_lt_i16_e64 s7, -1, v5
	v_cndmask_b32_e64 v4, 0xffff8000, -1, s7
	v_xor_b32_e32 v4, v4, v5
	flat_store_short v[2:3], v4 offset:1536
.LBB1840_134:
	s_or_b32 exec_lo, exec_lo, s10
	v_lshlrev_b64 v[2:3], 3, v[31:32]
	v_add_co_u32 v0, s7, v6, v0
	v_add_co_ci_u32_e64 v1, null, v7, v1, s7
	v_add_co_u32 v0, s7, v0, v2
	v_add_co_ci_u32_e64 v1, null, v1, v3, s7
	s_and_saveexec_b32 s7, vcc_lo
	s_cbranch_execnz .LBB1840_167
; %bb.135:
	s_or_b32 exec_lo, exec_lo, s7
	s_and_saveexec_b32 s7, s4
	s_cbranch_execnz .LBB1840_168
.LBB1840_136:
	s_or_b32 exec_lo, exec_lo, s7
	s_and_saveexec_b32 s4, s5
	s_cbranch_execnz .LBB1840_169
.LBB1840_137:
	s_or_b32 exec_lo, exec_lo, s4
	s_and_saveexec_b32 s4, s6
	s_cbranch_execz .LBB1840_139
.LBB1840_138:
	v_add_co_u32 v0, vcc_lo, 0x1800, v0
	v_add_co_ci_u32_e64 v1, null, 0, v1, vcc_lo
	flat_store_dwordx2 v[0:1], v[10:11]
.LBB1840_139:
	s_or_b32 exec_lo, exec_lo, s4
                                        ; implicit-def: $vgpr128
                                        ; implicit-def: $vgpr0
                                        ; implicit-def: $vgpr1
                                        ; implicit-def: $vgpr2
                                        ; implicit-def: $vgpr3
                                        ; implicit-def: $vgpr4
                                        ; implicit-def: $vgpr5
                                        ; implicit-def: $vgpr6
                                        ; implicit-def: $vgpr7
                                        ; implicit-def: $vgpr8
                                        ; implicit-def: $vgpr10
                                        ; implicit-def: $vgpr11
                                        ; implicit-def: $vgpr12
                                        ; implicit-def: $vgpr13
                                        ; implicit-def: $vgpr14
                                        ; implicit-def: $vgpr15
                                        ; implicit-def: $vgpr30
                                        ; implicit-def: $vgpr66
.LBB1840_140:
	s_andn2_saveexec_b32 s4, s23
	s_cbranch_execz .LBB1840_199
; %bb.141:
	s_load_dwordx2 s[4:5], s[8:9], 0x0
	v_mov_b32_e32 v9, 0
	s_waitcnt lgkmcnt(0)
	s_cmp_lt_u32 s13, s5
	s_cselect_b32 s5, 14, 20
	s_add_u32 s6, s8, s5
	s_addc_u32 s7, s9, 0
	s_cmp_lt_u32 s12, s4
	global_load_ushort v16, v9, s[6:7]
	s_cselect_b32 s4, 12, 18
	s_add_u32 s4, s8, s4
	s_addc_u32 s5, s9, 0
	global_load_ushort v17, v9, s[4:5]
	s_mov_b32 s4, exec_lo
	s_waitcnt vmcnt(1)
	v_mad_u32_u24 v14, v15, v16, v14
	s_waitcnt vmcnt(0)
	v_mad_u64_u32 v[14:15], null, v14, v17, v[30:31]
	v_lshlrev_b64 v[16:17], 1, v[8:9]
	v_cmpx_lt_u32_e32 0x100, v128
	s_xor_b32 s18, exec_lo, s4
	s_cbranch_execz .LBB1840_179
; %bb.142:
	v_lshlrev_b32_e32 v15, 1, v14
	v_mov_b32_e32 v19, v9
	v_lshlrev_b32_e32 v20, 1, v66
	v_mov_b32_e32 v24, 0x7fff
	v_and_b32_e32 v18, 0xffffffc0, v15
	v_add_co_u32 v15, vcc_lo, v0, v16
	v_add_co_ci_u32_e64 v21, null, v1, v17, vcc_lo
	v_lshlrev_b64 v[0:1], 1, v[18:19]
	v_add_co_u32 v15, vcc_lo, v15, v20
	v_add_co_ci_u32_e64 v21, null, 0, v21, vcc_lo
	v_or_b32_e32 v20, v66, v18
	v_add_co_u32 v0, vcc_lo, v15, v0
	v_add_co_ci_u32_e64 v1, null, v21, v1, vcc_lo
	v_cmp_lt_u32_e32 vcc_lo, v20, v128
	v_mov_b32_e32 v15, 0x7fff
	s_and_saveexec_b32 s4, vcc_lo
	s_cbranch_execz .LBB1840_144
; %bb.143:
	flat_load_ushort v24, v[0:1]
.LBB1840_144:
	s_or_b32 exec_lo, exec_lo, s4
	v_or_b32_e32 v20, 32, v20
	v_cmp_lt_u32_e64 s4, v20, v128
	s_and_saveexec_b32 s5, s4
	s_cbranch_execz .LBB1840_146
; %bb.145:
	flat_load_ushort v15, v[0:1] offset:64
.LBB1840_146:
	s_or_b32 exec_lo, exec_lo, s5
	v_lshlrev_b64 v[0:1], 3, v[8:9]
	v_lshlrev_b32_e32 v20, 3, v66
	v_lshlrev_b64 v[8:9], 3, v[18:19]
	v_mov_b32_e32 v22, 0
	v_mov_b32_e32 v23, 0
	v_add_co_u32 v4, s5, v4, v0
	v_add_co_ci_u32_e64 v5, null, v5, v1, s5
	v_add_co_u32 v4, s5, v4, v20
	v_add_co_ci_u32_e64 v5, null, 0, v5, s5
	v_mov_b32_e32 v20, 0
	v_add_co_u32 v4, s5, v4, v8
	v_mov_b32_e32 v21, 0
	v_add_co_ci_u32_e64 v5, null, v5, v9, s5
	s_and_saveexec_b32 s5, vcc_lo
	s_cbranch_execz .LBB1840_148
; %bb.147:
	flat_load_dwordx2 v[20:21], v[4:5]
.LBB1840_148:
	s_or_b32 exec_lo, exec_lo, s5
	s_and_saveexec_b32 s5, s4
	s_cbranch_execz .LBB1840_150
; %bb.149:
	flat_load_dwordx2 v[22:23], v[4:5] offset:256
.LBB1840_150:
	s_or_b32 exec_lo, exec_lo, s5
	s_waitcnt vmcnt(0) lgkmcnt(0)
	v_cmp_lt_i16_e32 vcc_lo, -1, v24
	v_lshl_add_u32 v8, v30, 5, v12
	v_sub_co_u32 v9, s6, v66, 1
	s_getpc_b64 s[4:5]
	s_add_u32 s4, s4, _ZN7rocprim17ROCPRIM_400000_NS16block_radix_sortI6__halfLj256ELj2ElLj1ELj1ELj8ELNS0_26block_radix_rank_algorithmE2ELNS0_18block_padding_hintE2ELNS0_4arch9wavefront6targetE0EE19radix_bits_per_passE@rel32@lo+4
	s_addc_u32 s5, s5, _ZN7rocprim17ROCPRIM_400000_NS16block_radix_sortI6__halfLj256ELj2ElLj1ELj1ELj8ELNS0_26block_radix_rank_algorithmE2ELNS0_18block_padding_hintE2ELNS0_4arch9wavefront6targetE0EE19radix_bits_per_passE@rel32@hi+12
	v_cndmask_b32_e64 v4, -1, 0xffff8000, vcc_lo
	v_cmp_lt_i16_e32 vcc_lo, -1, v15
	v_add_nc_u32_e32 v29, 36, v8
	v_add_nc_u32_e32 v31, 40, v8
	;; [unrolled: 1-line block ×3, first 2 shown]
	v_xor_b32_e32 v67, v4, v24
	v_and_b32_e32 v4, 0x3e0, v30
	v_cndmask_b32_e64 v5, -1, 0xffff8000, vcc_lo
	v_add_nc_u32_e32 v33, 48, v8
	v_add_nc_u32_e32 v34, 52, v8
	;; [unrolled: 1-line block ×3, first 2 shown]
	v_min_u32_e32 v4, 0xe0, v4
	v_xor_b32_e32 v65, v5, v15
	v_add_nc_u32_e32 v15, 32, v8
	v_and_b32_e32 v5, 15, v66
	v_add_nc_u32_e32 v36, 60, v8
	v_or_b32_e32 v4, 31, v4
	v_and_b32_e32 v8, 16, v66
	v_cmp_gt_i32_e64 s10, 0, v9
	s_load_dword s19, s[4:5], 0x0
	v_cmp_eq_u32_e32 vcc_lo, 0, v5
	v_cmp_eq_u32_e64 s9, v30, v4
	v_lshlrev_b32_e32 v4, 1, v30
	v_cmp_lt_u32_e64 s4, 1, v5
	v_cmp_lt_u32_e64 s5, 3, v5
	;; [unrolled: 1-line block ×3, first 2 shown]
	v_cmp_eq_u32_e64 s8, 0, v8
	v_cndmask_b32_e64 v5, v9, v66, s10
	v_lshrrev_b32_e32 v8, 3, v30
	v_and_or_b32 v4, 0x7c0, v4, v66
	v_lshrrev_b32_e32 v37, 5, v14
	v_cmp_gt_u32_e64 s10, 8, v30
	v_lshlrev_b32_e32 v38, 2, v5
	v_and_b32_e32 v5, 0x7c, v8
	v_lshl_add_u32 v39, v4, 1, v12
	v_mul_u32_u24_e32 v4, 6, v4
	v_and_b32_e32 v8, 7, v66
	v_cmp_lt_u32_e64 s11, 31, v30
	v_add_nc_u32_e32 v48, v12, v5
	v_cmp_eq_u32_e64 s12, 0, v30
	v_add_nc_u32_e32 v50, v39, v4
	v_mov_b32_e32 v5, 0
	v_lshl_add_u32 v49, v30, 2, v12
	v_cmp_eq_u32_e64 s13, 0, v8
	v_cmp_lt_u32_e64 s14, 1, v8
	v_cmp_lt_u32_e64 s15, 3, v8
	v_add_nc_u32_e32 v51, -4, v48
	v_add_nc_u32_e32 v52, 64, v39
	v_add_nc_u32_e32 v53, 0x100, v50
	v_sub_nc_u32_e32 v54, v11, v10
	s_mov_b32 s20, 0
	s_waitcnt lgkmcnt(0)
	s_waitcnt_vscnt null, 0x0
	s_barrier
	buffer_gl0_inv
	s_branch .LBB1840_152
.LBB1840_151:                           ;   in Loop: Header=BB1840_152 Depth=1
	s_or_b32 exec_lo, exec_lo, s17
	s_and_b32 s16, exec_lo, s21
	s_or_b32 s20, s16, s20
	s_andn2_b32 exec_lo, exec_lo, s20
	s_cbranch_execz .LBB1840_170
.LBB1840_152:                           ; =>This Inner Loop Header: Depth=1
	v_mov_b32_e32 v55, v67
	v_min_u32_e32 v4, s19, v54
	ds_write_b32 v15, v5
	ds_write_b32 v29, v5
	;; [unrolled: 1-line block ×5, first 2 shown]
	v_cmp_ne_u16_e64 s16, 0x7fff, v55
	v_lshlrev_b32_e64 v4, v4, -1
	ds_write_b32 v34, v5
	ds_write_b32 v35, v5
	;; [unrolled: 1-line block ×3, first 2 shown]
	s_waitcnt lgkmcnt(0)
	v_cndmask_b32_e64 v8, 0xffff8000, v55, s16
	v_not_b32_e32 v24, v4
	s_barrier
	buffer_gl0_inv
	v_lshrrev_b32_sdwa v4, v10, v8 dst_sel:DWORD dst_unused:UNUSED_PAD src0_sel:DWORD src1_sel:WORD_0
	v_mov_b32_e32 v8, v22
	v_mov_b32_e32 v9, v23
	; wave barrier
	v_and_b32_e32 v4, v4, v24
	v_and_b32_e32 v18, 1, v4
	v_lshlrev_b32_e32 v19, 30, v4
	v_lshlrev_b32_e32 v22, 29, v4
	;; [unrolled: 1-line block ×4, first 2 shown]
	v_add_co_u32 v18, s16, v18, -1
	v_cndmask_b32_e64 v25, 0, 1, s16
	v_not_b32_e32 v64, v19
	v_cmp_gt_i32_e64 s17, 0, v19
	v_not_b32_e32 v19, v22
	v_lshlrev_b32_e32 v27, 26, v4
	v_cmp_ne_u32_e64 s16, 0, v25
	v_ashrrev_i32_e32 v64, 31, v64
	v_lshlrev_b32_e32 v28, 25, v4
	v_ashrrev_i32_e32 v19, 31, v19
	v_lshlrev_b32_e32 v25, 24, v4
	v_xor_b32_e32 v18, s16, v18
	v_cmp_gt_i32_e64 s16, 0, v22
	v_not_b32_e32 v22, v23
	v_xor_b32_e32 v64, s17, v64
	v_cmp_gt_i32_e64 s17, 0, v23
	v_and_b32_e32 v18, exec_lo, v18
	v_not_b32_e32 v23, v26
	v_ashrrev_i32_e32 v22, 31, v22
	v_xor_b32_e32 v19, s16, v19
	v_cmp_gt_i32_e64 s16, 0, v26
	v_and_b32_e32 v18, v18, v64
	v_not_b32_e32 v26, v27
	v_ashrrev_i32_e32 v23, 31, v23
	v_xor_b32_e32 v22, s17, v22
	v_cmp_gt_i32_e64 s17, 0, v27
	v_and_b32_e32 v18, v18, v19
	v_not_b32_e32 v19, v28
	v_ashrrev_i32_e32 v26, 31, v26
	v_xor_b32_e32 v23, s16, v23
	v_cmp_gt_i32_e64 s16, 0, v28
	v_and_b32_e32 v18, v18, v22
	v_not_b32_e32 v22, v25
	v_ashrrev_i32_e32 v27, 31, v19
	v_xor_b32_e32 v26, s17, v26
	v_cmp_gt_i32_e64 s17, 0, v25
	v_and_b32_e32 v23, v18, v23
	v_mov_b32_e32 v18, v20
	v_mov_b32_e32 v19, v21
	v_ashrrev_i32_e32 v20, 31, v22
	v_xor_b32_e32 v21, s16, v27
	v_and_b32_e32 v22, v23, v26
	v_lshlrev_b32_e32 v4, 3, v4
	v_mov_b32_e32 v64, v65
	v_xor_b32_e32 v20, s17, v20
	v_and_b32_e32 v21, v22, v21
	v_and_b32_e32 v21, v21, v20
	v_add_lshl_u32 v20, v4, v37, 2
	v_mbcnt_lo_u32_b32 v4, v21, 0
	v_add_co_u32 v20, null, v12, v20
	v_cmp_ne_u32_e64 s17, 0, v21
	v_cmp_eq_u32_e64 s16, 0, v4
	v_add_co_u32 v20, null, v20, 32
	s_and_b32 s17, s17, s16
	s_and_saveexec_b32 s16, s17
; %bb.153:                              ;   in Loop: Header=BB1840_152 Depth=1
	v_bcnt_u32_b32 v21, v21, 0
	ds_write_b32 v20, v21
; %bb.154:                              ;   in Loop: Header=BB1840_152 Depth=1
	s_or_b32 exec_lo, exec_lo, s16
	v_cmp_ne_u16_e64 s16, 0x7fff, v64
	; wave barrier
	v_cndmask_b32_e64 v21, 0xffff8000, v64, s16
	v_lshrrev_b32_sdwa v21, v10, v21 dst_sel:DWORD dst_unused:UNUSED_PAD src0_sel:DWORD src1_sel:WORD_0
	v_and_b32_e32 v21, v21, v24
	v_and_b32_e32 v22, 1, v21
	v_lshlrev_b32_e32 v23, 30, v21
	v_lshlrev_b32_e32 v24, 29, v21
	;; [unrolled: 1-line block ×4, first 2 shown]
	v_add_co_u32 v22, s16, v22, -1
	v_cndmask_b32_e64 v26, 0, 1, s16
	v_not_b32_e32 v66, v23
	v_cmp_gt_i32_e64 s17, 0, v23
	v_not_b32_e32 v23, v24
	v_lshlrev_b32_e32 v28, 26, v21
	v_cmp_ne_u32_e64 s16, 0, v26
	v_ashrrev_i32_e32 v66, 31, v66
	v_lshlrev_b32_e32 v65, 25, v21
	v_ashrrev_i32_e32 v23, 31, v23
	v_lshlrev_b32_e32 v26, 24, v21
	v_xor_b32_e32 v22, s16, v22
	v_cmp_gt_i32_e64 s16, 0, v24
	v_not_b32_e32 v24, v25
	v_xor_b32_e32 v66, s17, v66
	v_cmp_gt_i32_e64 s17, 0, v25
	v_and_b32_e32 v22, exec_lo, v22
	v_not_b32_e32 v25, v27
	v_ashrrev_i32_e32 v24, 31, v24
	v_xor_b32_e32 v23, s16, v23
	v_cmp_gt_i32_e64 s16, 0, v27
	v_and_b32_e32 v22, v22, v66
	v_not_b32_e32 v27, v28
	v_ashrrev_i32_e32 v25, 31, v25
	v_xor_b32_e32 v24, s17, v24
	v_cmp_gt_i32_e64 s17, 0, v28
	v_and_b32_e32 v22, v22, v23
	;; [unrolled: 5-line block ×3, first 2 shown]
	v_not_b32_e32 v24, v26
	v_ashrrev_i32_e32 v23, 31, v23
	v_xor_b32_e32 v27, s17, v27
	v_lshl_add_u32 v21, v21, 3, v37
	v_and_b32_e32 v22, v22, v25
	v_cmp_gt_i32_e64 s17, 0, v26
	v_ashrrev_i32_e32 v24, 31, v24
	v_xor_b32_e32 v23, s16, v23
	v_lshl_add_u32 v25, v21, 2, v12
	v_and_b32_e32 v22, v22, v27
	v_xor_b32_e32 v24, s17, v24
	ds_read_b32 v21, v25 offset:32
	v_and_b32_e32 v22, v22, v23
	v_add_nc_u32_e32 v23, 32, v25
	; wave barrier
	v_and_b32_e32 v24, v22, v24
	v_mbcnt_lo_u32_b32 v22, v24, 0
	v_cmp_ne_u32_e64 s17, 0, v24
	v_cmp_eq_u32_e64 s16, 0, v22
	s_and_b32 s17, s17, s16
	s_and_saveexec_b32 s16, s17
	s_cbranch_execz .LBB1840_156
; %bb.155:                              ;   in Loop: Header=BB1840_152 Depth=1
	s_waitcnt lgkmcnt(0)
	v_bcnt_u32_b32 v24, v24, v21
	ds_write_b32 v23, v24
.LBB1840_156:                           ;   in Loop: Header=BB1840_152 Depth=1
	s_or_b32 exec_lo, exec_lo, s16
	; wave barrier
	s_waitcnt lgkmcnt(0)
	s_barrier
	buffer_gl0_inv
	ds_read_b32 v25, v15
	ds_read_b32 v26, v29
	;; [unrolled: 1-line block ×8, first 2 shown]
	s_waitcnt lgkmcnt(6)
	v_add_nc_u32_e32 v68, v26, v25
	s_waitcnt lgkmcnt(4)
	v_add3_u32 v68, v68, v27, v28
	s_waitcnt lgkmcnt(2)
	v_add3_u32 v68, v68, v65, v66
	;; [unrolled: 2-line block ×3, first 2 shown]
	v_mov_b32_dpp v68, v67 row_shr:1 row_mask:0xf bank_mask:0xf
	v_cndmask_b32_e64 v68, v68, 0, vcc_lo
	v_add_nc_u32_e32 v67, v68, v67
	v_mov_b32_dpp v68, v67 row_shr:2 row_mask:0xf bank_mask:0xf
	v_cndmask_b32_e64 v68, 0, v68, s4
	v_add_nc_u32_e32 v67, v67, v68
	v_mov_b32_dpp v68, v67 row_shr:4 row_mask:0xf bank_mask:0xf
	v_cndmask_b32_e64 v68, 0, v68, s5
	;; [unrolled: 3-line block ×3, first 2 shown]
	v_add_nc_u32_e32 v67, v67, v68
	ds_swizzle_b32 v68, v67 offset:swizzle(BROADCAST,32,15)
	s_waitcnt lgkmcnt(0)
	v_cndmask_b32_e64 v68, v68, 0, s8
	v_add_nc_u32_e32 v67, v67, v68
	s_and_saveexec_b32 s16, s9
; %bb.157:                              ;   in Loop: Header=BB1840_152 Depth=1
	ds_write_b32 v48, v67
; %bb.158:                              ;   in Loop: Header=BB1840_152 Depth=1
	s_or_b32 exec_lo, exec_lo, s16
	s_waitcnt lgkmcnt(0)
	s_barrier
	buffer_gl0_inv
	s_and_saveexec_b32 s16, s10
	s_cbranch_execz .LBB1840_160
; %bb.159:                              ;   in Loop: Header=BB1840_152 Depth=1
	ds_read_b32 v68, v49
	s_waitcnt lgkmcnt(0)
	v_mov_b32_dpp v69, v68 row_shr:1 row_mask:0xf bank_mask:0xf
	v_cndmask_b32_e64 v69, v69, 0, s13
	v_add_nc_u32_e32 v68, v69, v68
	v_mov_b32_dpp v69, v68 row_shr:2 row_mask:0xf bank_mask:0xf
	v_cndmask_b32_e64 v69, 0, v69, s14
	v_add_nc_u32_e32 v68, v68, v69
	;; [unrolled: 3-line block ×3, first 2 shown]
	ds_write_b32 v49, v68
.LBB1840_160:                           ;   in Loop: Header=BB1840_152 Depth=1
	s_or_b32 exec_lo, exec_lo, s16
	v_mov_b32_e32 v68, 0
	s_waitcnt lgkmcnt(0)
	s_barrier
	buffer_gl0_inv
	s_and_saveexec_b32 s16, s11
; %bb.161:                              ;   in Loop: Header=BB1840_152 Depth=1
	ds_read_b32 v68, v51
; %bb.162:                              ;   in Loop: Header=BB1840_152 Depth=1
	s_or_b32 exec_lo, exec_lo, s16
	s_waitcnt lgkmcnt(0)
	v_add_nc_u32_e32 v67, v68, v67
	v_add_nc_u32_e32 v10, 8, v10
	s_mov_b32 s21, -1
	ds_bpermute_b32 v67, v38, v67
	s_waitcnt lgkmcnt(0)
	v_cndmask_b32_e64 v67, v67, v68, s6
	v_cndmask_b32_e64 v67, v67, 0, s12
	v_add_nc_u32_e32 v25, v67, v25
	v_add_nc_u32_e32 v26, v25, v26
	ds_write_b32 v15, v67
	ds_write_b32 v29, v25
	;; [unrolled: 1-line block ×3, first 2 shown]
	v_mov_b32_e32 v25, v5
	v_add_nc_u32_e32 v27, v26, v27
                                        ; implicit-def: $vgpr67
	v_add_nc_u32_e32 v28, v27, v28
	v_add_nc_u32_e32 v65, v28, v65
	;; [unrolled: 1-line block ×4, first 2 shown]
	ds_write_b32 v32, v27
	ds_write_b32 v33, v28
	;; [unrolled: 1-line block ×5, first 2 shown]
	s_waitcnt lgkmcnt(0)
	s_barrier
	buffer_gl0_inv
	ds_read_b32 v20, v20
	ds_read_b32 v23, v23
	s_waitcnt lgkmcnt(0)
                                        ; implicit-def: $vgpr65
	v_add_nc_u32_e32 v4, v20, v4
	v_add3_u32 v24, v22, v21, v23
	v_lshlrev_b64 v[20:21], 1, v[4:5]
	v_lshlrev_b64 v[22:23], 1, v[24:25]
	v_add_co_u32 v25, s17, v12, v20
	v_add_co_ci_u32_e64 v26, null, v13, v21, s17
	v_add_co_u32 v27, s17, v12, v22
	v_add_co_ci_u32_e64 v28, null, v13, v23, s17
	s_mov_b32 s17, exec_lo
                                        ; implicit-def: $vgpr22_vgpr23
                                        ; implicit-def: $vgpr20_vgpr21
	v_cmpx_lt_u32_e64 v10, v11
	s_cbranch_execz .LBB1840_151
; %bb.163:                              ;   in Loop: Header=BB1840_152 Depth=1
	v_mad_u64_u32 v[20:21], null, v4, 6, v[25:26]
	v_mad_u64_u32 v[21:22], null, v24, 6, v[27:28]
	s_barrier
	buffer_gl0_inv
	ds_write_b16 v25, v55
	ds_write_b16 v27, v64
	s_waitcnt lgkmcnt(0)
	s_barrier
	buffer_gl0_inv
	ds_read_u16 v67, v39
	ds_read_u16 v65, v52
	s_waitcnt lgkmcnt(0)
	s_barrier
	buffer_gl0_inv
	ds_write_b64 v20, v[18:19]
	ds_write_b64 v21, v[8:9]
	s_waitcnt lgkmcnt(0)
	s_barrier
	buffer_gl0_inv
	ds_read_b64 v[20:21], v50
	ds_read_b64 v[22:23], v53
	v_add_nc_u32_e32 v54, -8, v54
	s_xor_b32 s21, exec_lo, -1
	s_waitcnt lgkmcnt(0)
	s_barrier
	buffer_gl0_inv
	s_branch .LBB1840_151
.LBB1840_164:
	flat_load_dwordx2 v[48:49], v[4:5]
	v_mov_b32_e32 v50, v22
	v_mov_b32_e32 v51, v22
	;; [unrolled: 1-line block ×6, first 2 shown]
	s_waitcnt vmcnt(0) lgkmcnt(0)
	v_mov_b32_e32 v22, v48
	v_mov_b32_e32 v23, v49
	;; [unrolled: 1-line block ×8, first 2 shown]
	s_or_b32 exec_lo, exec_lo, s7
	s_and_saveexec_b32 s6, s4
	s_cbranch_execz .LBB1840_91
.LBB1840_165:
	flat_load_dwordx2 v[24:25], v[4:5] offset:256
	s_or_b32 exec_lo, exec_lo, s6
	s_and_saveexec_b32 s4, s5
	s_cbranch_execz .LBB1840_92
.LBB1840_166:
	flat_load_dwordx2 v[26:27], v[4:5] offset:512
	s_or_b32 exec_lo, exec_lo, s4
	s_and_saveexec_b32 s4, vcc_lo
	s_cbranch_execnz .LBB1840_93
	s_branch .LBB1840_94
.LBB1840_167:
	flat_store_dwordx2 v[0:1], v[12:13]
	s_or_b32 exec_lo, exec_lo, s7
	s_and_saveexec_b32 s7, s4
	s_cbranch_execz .LBB1840_136
.LBB1840_168:
	v_add_co_u32 v2, vcc_lo, 0x800, v0
	v_add_co_ci_u32_e64 v3, null, 0, v1, vcc_lo
	flat_store_dwordx2 v[2:3], v[14:15]
	s_or_b32 exec_lo, exec_lo, s7
	s_and_saveexec_b32 s4, s5
	s_cbranch_execz .LBB1840_137
.LBB1840_169:
	v_add_co_u32 v2, vcc_lo, 0x1000, v0
	v_add_co_ci_u32_e64 v3, null, 0, v1, vcc_lo
	flat_store_dwordx2 v[2:3], v[8:9]
	s_or_b32 exec_lo, exec_lo, s4
	s_and_saveexec_b32 s4, s6
	s_cbranch_execnz .LBB1840_138
	s_branch .LBB1840_139
.LBB1840_170:
	s_or_b32 exec_lo, exec_lo, s20
	v_mad_u64_u32 v[10:11], null, v4, 6, v[25:26]
	v_lshl_add_u32 v13, v30, 1, v12
	v_mad_u64_u32 v[11:12], null, v24, 6, v[27:28]
	v_mul_u32_u24_e32 v12, 6, v30
	s_barrier
	buffer_gl0_inv
	ds_write_b16 v25, v55
	ds_write_b16 v27, v64
	s_waitcnt lgkmcnt(0)
	s_barrier
	buffer_gl0_inv
	ds_read_u16 v5, v13
	ds_read_u16 v4, v13 offset:512
	s_waitcnt lgkmcnt(0)
	s_barrier
	buffer_gl0_inv
	ds_write_b64 v10, v[18:19]
	v_add_nc_u32_e32 v10, v13, v12
	ds_write_b64 v11, v[8:9]
	s_waitcnt lgkmcnt(0)
	s_barrier
	buffer_gl0_inv
	ds_read2st64_b64 v[8:11], v10 offset1:4
	v_mov_b32_e32 v15, 0
	v_add_co_u32 v2, vcc_lo, v2, v16
	v_add_co_ci_u32_e64 v3, null, v3, v17, vcc_lo
	v_lshlrev_b64 v[12:13], 1, v[14:15]
	s_waitcnt lgkmcnt(0)
	s_barrier
	buffer_gl0_inv
	v_add_co_u32 v2, vcc_lo, v2, v12
	v_add_co_ci_u32_e64 v3, null, v3, v13, vcc_lo
	v_cmp_lt_u32_e32 vcc_lo, v14, v128
	s_and_saveexec_b32 s5, vcc_lo
	s_cbranch_execz .LBB1840_172
; %bb.171:
	v_cmp_lt_i16_e64 s4, -1, v5
	v_cndmask_b32_e64 v12, 0xffff8000, -1, s4
	v_xor_b32_e32 v5, v12, v5
	flat_store_short v[2:3], v5
.LBB1840_172:
	s_or_b32 exec_lo, exec_lo, s5
	v_add_nc_u32_e32 v5, 0x100, v14
	v_cmp_lt_u32_e64 s4, v5, v128
	s_and_saveexec_b32 s6, s4
	s_cbranch_execz .LBB1840_174
; %bb.173:
	v_cmp_lt_i16_e64 s5, -1, v4
	v_cndmask_b32_e64 v5, 0xffff8000, -1, s5
	v_xor_b32_e32 v4, v5, v4
	flat_store_short v[2:3], v4 offset:512
.LBB1840_174:
	s_or_b32 exec_lo, exec_lo, s6
	v_lshlrev_b64 v[2:3], 3, v[14:15]
	v_add_co_u32 v0, s5, v6, v0
	v_add_co_ci_u32_e64 v1, null, v7, v1, s5
	v_add_co_u32 v0, s5, v0, v2
	v_add_co_ci_u32_e64 v1, null, v1, v3, s5
	s_and_saveexec_b32 s5, vcc_lo
	s_cbranch_execz .LBB1840_176
; %bb.175:
	flat_store_dwordx2 v[0:1], v[8:9]
.LBB1840_176:
	s_or_b32 exec_lo, exec_lo, s5
	s_and_saveexec_b32 s5, s4
	s_cbranch_execz .LBB1840_178
; %bb.177:
	v_add_co_u32 v0, vcc_lo, 0x800, v0
	v_add_co_ci_u32_e64 v1, null, 0, v1, vcc_lo
	flat_store_dwordx2 v[0:1], v[10:11]
.LBB1840_178:
	s_or_b32 exec_lo, exec_lo, s5
                                        ; implicit-def: $vgpr14_vgpr15
                                        ; implicit-def: $vgpr8_vgpr9
                                        ; implicit-def: $vgpr16_vgpr17
                                        ; implicit-def: $vgpr128
                                        ; implicit-def: $vgpr0
                                        ; implicit-def: $vgpr1
                                        ; implicit-def: $vgpr2
                                        ; implicit-def: $vgpr3
                                        ; implicit-def: $vgpr4
                                        ; implicit-def: $vgpr5
                                        ; implicit-def: $vgpr6
                                        ; implicit-def: $vgpr7
                                        ; implicit-def: $vgpr10
                                        ; implicit-def: $vgpr11
                                        ; implicit-def: $vgpr12
                                        ; implicit-def: $vgpr13
                                        ; implicit-def: $vgpr30
                                        ; implicit-def: $vgpr66
.LBB1840_179:
	s_andn2_saveexec_b32 s4, s18
	s_cbranch_execz .LBB1840_199
; %bb.180:
	v_and_b32_e32 v20, 0xffffffe0, v14
	v_or_b32_e32 v15, v66, v20
	v_cmp_lt_u32_e32 vcc_lo, v15, v128
	v_mov_b32_e32 v15, 0x7fff
	s_and_saveexec_b32 s5, vcc_lo
	s_cbranch_execz .LBB1840_182
; %bb.181:
	v_mov_b32_e32 v21, 0
	v_lshlrev_b32_e32 v15, 1, v66
	v_add_co_u32 v18, s4, v0, v16
	v_add_co_ci_u32_e64 v19, null, v1, v17, s4
	v_lshlrev_b64 v[0:1], 1, v[20:21]
	v_add_co_u32 v15, s4, v18, v15
	v_add_co_ci_u32_e64 v18, null, 0, v19, s4
	v_add_co_u32 v0, s4, v15, v0
	v_add_co_ci_u32_e64 v1, null, v18, v1, s4
	flat_load_ushort v15, v[0:1]
.LBB1840_182:
	s_or_b32 exec_lo, exec_lo, s5
	v_lshlrev_b64 v[0:1], 3, v[8:9]
                                        ; implicit-def: $vgpr18_vgpr19
	s_and_saveexec_b32 s4, vcc_lo
	s_cbranch_execz .LBB1840_184
; %bb.183:
	v_mov_b32_e32 v21, 0
	v_lshlrev_b32_e32 v8, 3, v66
	v_add_co_u32 v9, vcc_lo, v4, v0
	v_add_co_ci_u32_e64 v18, null, v5, v1, vcc_lo
	v_lshlrev_b64 v[4:5], 3, v[20:21]
	v_add_co_u32 v8, vcc_lo, v9, v8
	v_add_co_ci_u32_e64 v9, null, 0, v18, vcc_lo
	v_add_co_u32 v4, vcc_lo, v8, v4
	v_add_co_ci_u32_e64 v5, null, v9, v5, vcc_lo
	flat_load_dwordx2 v[18:19], v[4:5]
.LBB1840_184:
	s_or_b32 exec_lo, exec_lo, s4
	s_waitcnt vmcnt(0) lgkmcnt(0)
	v_cmp_lt_i16_e32 vcc_lo, -1, v15
	v_lshl_add_u32 v5, v30, 5, v12
	v_sub_co_u32 v20, s6, v66, 1
	s_getpc_b64 s[4:5]
	s_add_u32 s4, s4, _ZN7rocprim17ROCPRIM_400000_NS16block_radix_sortI6__halfLj256ELj1ElLj1ELj1ELj8ELNS0_26block_radix_rank_algorithmE2ELNS0_18block_padding_hintE2ELNS0_4arch9wavefront6targetE0EE19radix_bits_per_passE@rel32@lo+4
	s_addc_u32 s5, s5, _ZN7rocprim17ROCPRIM_400000_NS16block_radix_sortI6__halfLj256ELj1ElLj1ELj1ELj8ELNS0_26block_radix_rank_algorithmE2ELNS0_18block_padding_hintE2ELNS0_4arch9wavefront6targetE0EE19radix_bits_per_passE@rel32@hi+12
	v_cndmask_b32_e64 v4, -1, 0xffff8000, vcc_lo
	v_add_nc_u32_e32 v22, 36, v5
	v_add_nc_u32_e32 v23, 40, v5
	;; [unrolled: 1-line block ×4, first 2 shown]
	v_xor_b32_e32 v39, v4, v15
	v_add_nc_u32_e32 v15, 32, v5
	v_add_nc_u32_e32 v26, 52, v5
	;; [unrolled: 1-line block ×4, first 2 shown]
	v_and_b32_e32 v5, 0x3e0, v30
	v_and_b32_e32 v4, 15, v66
	s_load_dword s18, s[4:5], 0x0
	v_and_b32_e32 v9, 16, v66
	v_cmp_gt_i32_e64 s9, 0, v20
	v_min_u32_e32 v8, 0xe0, v5
	v_cmp_eq_u32_e32 vcc_lo, 0, v4
	v_cmp_lt_u32_e64 s4, 1, v4
	v_cmp_lt_u32_e64 s5, 3, v4
	;; [unrolled: 1-line block ×3, first 2 shown]
	v_or_b32_e32 v4, 31, v8
	v_lshrrev_b32_e32 v8, 3, v30
	v_cmp_eq_u32_e64 s8, 0, v9
	v_cndmask_b32_e64 v9, v20, v66, s9
	v_lshrrev_b32_e32 v29, 5, v14
	v_cmp_eq_u32_e64 s9, v30, v4
	v_and_b32_e32 v4, 0x7c, v8
	v_or_b32_e32 v8, v66, v5
	v_cmp_gt_u32_e64 s10, 8, v30
	v_cmp_lt_u32_e64 s11, 31, v30
	v_lshlrev_b32_e32 v31, 2, v9
	v_add_nc_u32_e32 v32, v12, v4
	v_and_b32_e32 v4, 7, v66
	v_lshl_add_u32 v34, v8, 1, v12
	v_mul_u32_u24_e32 v8, 6, v8
	v_cmp_eq_u32_e64 s12, 0, v30
	v_mov_b32_e32 v5, 0
	v_lshl_add_u32 v33, v30, 2, v12
	v_cmp_eq_u32_e64 s13, 0, v4
	v_cmp_lt_u32_e64 s14, 1, v4
	v_cmp_lt_u32_e64 s15, 3, v4
	v_add_nc_u32_e32 v35, -4, v32
	v_add_nc_u32_e32 v36, v34, v8
	v_sub_nc_u32_e32 v37, v11, v10
	s_mov_b32 s19, 0
	s_waitcnt lgkmcnt(0)
	s_waitcnt_vscnt null, 0x0
	s_barrier
	buffer_gl0_inv
	s_branch .LBB1840_186
.LBB1840_185:                           ;   in Loop: Header=BB1840_186 Depth=1
	s_or_b32 exec_lo, exec_lo, s17
	s_and_b32 s16, exec_lo, s20
	s_or_b32 s19, s16, s19
	s_andn2_b32 exec_lo, exec_lo, s19
	s_cbranch_execz .LBB1840_196
.LBB1840_186:                           ; =>This Inner Loop Header: Depth=1
	v_mov_b32_e32 v38, v39
	v_min_u32_e32 v8, s18, v37
	ds_write_b32 v15, v5
	ds_write_b32 v22, v5
	;; [unrolled: 1-line block ×5, first 2 shown]
	v_cmp_ne_u16_e64 s16, 0x7fff, v38
	ds_write_b32 v26, v5
	ds_write_b32 v27, v5
	;; [unrolled: 1-line block ×3, first 2 shown]
	s_waitcnt lgkmcnt(0)
	s_barrier
	v_cndmask_b32_e64 v4, 0xffff8000, v38, s16
	buffer_gl0_inv
	; wave barrier
	v_lshrrev_b32_sdwa v4, v10, v4 dst_sel:DWORD dst_unused:UNUSED_PAD src0_sel:DWORD src1_sel:WORD_0
	v_bfe_u32 v4, v4, 0, v8
	v_and_b32_e32 v8, 1, v4
	v_lshlrev_b32_e32 v9, 30, v4
	v_lshlrev_b32_e32 v20, 29, v4
	;; [unrolled: 1-line block ×4, first 2 shown]
	v_add_co_u32 v8, s16, v8, -1
	v_cndmask_b32_e64 v39, 0, 1, s16
	v_not_b32_e32 v51, v9
	v_cmp_gt_i32_e64 s17, 0, v9
	v_not_b32_e32 v9, v20
	v_lshlrev_b32_e32 v49, 26, v4
	v_cmp_ne_u32_e64 s16, 0, v39
	v_ashrrev_i32_e32 v51, 31, v51
	v_lshlrev_b32_e32 v50, 25, v4
	v_ashrrev_i32_e32 v9, 31, v9
	v_lshlrev_b32_e32 v39, 24, v4
	v_xor_b32_e32 v8, s16, v8
	v_cmp_gt_i32_e64 s16, 0, v20
	v_not_b32_e32 v20, v21
	v_xor_b32_e32 v51, s17, v51
	v_cmp_gt_i32_e64 s17, 0, v21
	v_and_b32_e32 v8, exec_lo, v8
	v_not_b32_e32 v21, v48
	v_ashrrev_i32_e32 v20, 31, v20
	v_xor_b32_e32 v9, s16, v9
	v_cmp_gt_i32_e64 s16, 0, v48
	v_and_b32_e32 v8, v8, v51
	v_not_b32_e32 v48, v49
	v_ashrrev_i32_e32 v21, 31, v21
	v_xor_b32_e32 v20, s17, v20
	v_cmp_gt_i32_e64 s17, 0, v49
	v_and_b32_e32 v8, v8, v9
	;; [unrolled: 5-line block ×4, first 2 shown]
	v_ashrrev_i32_e32 v20, 31, v20
	v_xor_b32_e32 v21, s16, v9
	v_lshlrev_b32_e32 v4, 3, v4
	v_and_b32_e32 v39, v8, v48
	v_mov_b32_e32 v8, v18
	v_mov_b32_e32 v9, v19
	v_xor_b32_e32 v18, s17, v20
	v_and_b32_e32 v19, v39, v21
	v_and_b32_e32 v19, v19, v18
	v_add_lshl_u32 v18, v4, v29, 2
	v_mbcnt_lo_u32_b32 v4, v19, 0
	v_add_co_u32 v18, null, v12, v18
	v_cmp_ne_u32_e64 s17, 0, v19
	v_cmp_eq_u32_e64 s16, 0, v4
	v_add_co_u32 v18, null, v18, 32
	s_and_b32 s17, s17, s16
	s_and_saveexec_b32 s16, s17
; %bb.187:                              ;   in Loop: Header=BB1840_186 Depth=1
	v_bcnt_u32_b32 v19, v19, 0
	ds_write_b32 v18, v19
; %bb.188:                              ;   in Loop: Header=BB1840_186 Depth=1
	s_or_b32 exec_lo, exec_lo, s16
	; wave barrier
	s_waitcnt lgkmcnt(0)
	s_barrier
	buffer_gl0_inv
	ds_read_b32 v20, v15
	ds_read_b32 v21, v22
	;; [unrolled: 1-line block ×8, first 2 shown]
	s_waitcnt lgkmcnt(6)
	v_add_nc_u32_e32 v52, v21, v20
	s_waitcnt lgkmcnt(4)
	v_add3_u32 v52, v52, v39, v48
	s_waitcnt lgkmcnt(2)
	v_add3_u32 v52, v52, v49, v50
	;; [unrolled: 2-line block ×3, first 2 shown]
	v_mov_b32_dpp v52, v51 row_shr:1 row_mask:0xf bank_mask:0xf
	v_cndmask_b32_e64 v52, v52, 0, vcc_lo
	v_add_nc_u32_e32 v51, v52, v51
	v_mov_b32_dpp v52, v51 row_shr:2 row_mask:0xf bank_mask:0xf
	v_cndmask_b32_e64 v52, 0, v52, s4
	v_add_nc_u32_e32 v51, v51, v52
	v_mov_b32_dpp v52, v51 row_shr:4 row_mask:0xf bank_mask:0xf
	v_cndmask_b32_e64 v52, 0, v52, s5
	;; [unrolled: 3-line block ×3, first 2 shown]
	v_add_nc_u32_e32 v51, v51, v52
	ds_swizzle_b32 v52, v51 offset:swizzle(BROADCAST,32,15)
	s_waitcnt lgkmcnt(0)
	v_cndmask_b32_e64 v52, v52, 0, s8
	v_add_nc_u32_e32 v51, v51, v52
	s_and_saveexec_b32 s16, s9
; %bb.189:                              ;   in Loop: Header=BB1840_186 Depth=1
	ds_write_b32 v32, v51
; %bb.190:                              ;   in Loop: Header=BB1840_186 Depth=1
	s_or_b32 exec_lo, exec_lo, s16
	s_waitcnt lgkmcnt(0)
	s_barrier
	buffer_gl0_inv
	s_and_saveexec_b32 s16, s10
	s_cbranch_execz .LBB1840_192
; %bb.191:                              ;   in Loop: Header=BB1840_186 Depth=1
	ds_read_b32 v52, v33
	s_waitcnt lgkmcnt(0)
	v_mov_b32_dpp v53, v52 row_shr:1 row_mask:0xf bank_mask:0xf
	v_cndmask_b32_e64 v53, v53, 0, s13
	v_add_nc_u32_e32 v52, v53, v52
	v_mov_b32_dpp v53, v52 row_shr:2 row_mask:0xf bank_mask:0xf
	v_cndmask_b32_e64 v53, 0, v53, s14
	v_add_nc_u32_e32 v52, v52, v53
	;; [unrolled: 3-line block ×3, first 2 shown]
	ds_write_b32 v33, v52
.LBB1840_192:                           ;   in Loop: Header=BB1840_186 Depth=1
	s_or_b32 exec_lo, exec_lo, s16
	v_mov_b32_e32 v52, 0
	s_waitcnt lgkmcnt(0)
	s_barrier
	buffer_gl0_inv
	s_and_saveexec_b32 s16, s11
; %bb.193:                              ;   in Loop: Header=BB1840_186 Depth=1
	ds_read_b32 v52, v35
; %bb.194:                              ;   in Loop: Header=BB1840_186 Depth=1
	s_or_b32 exec_lo, exec_lo, s16
	s_waitcnt lgkmcnt(0)
	v_add_nc_u32_e32 v51, v52, v51
	v_add_nc_u32_e32 v10, 8, v10
	s_mov_b32 s20, -1
	ds_bpermute_b32 v51, v31, v51
	s_waitcnt lgkmcnt(0)
	v_cndmask_b32_e64 v51, v51, v52, s6
	v_cndmask_b32_e64 v51, v51, 0, s12
	v_add_nc_u32_e32 v20, v51, v20
	v_add_nc_u32_e32 v21, v20, v21
	ds_write_b32 v15, v51
	ds_write_b32 v22, v20
	;; [unrolled: 1-line block ×3, first 2 shown]
	v_add_nc_u32_e32 v39, v21, v39
	v_add_nc_u32_e32 v48, v39, v48
	v_add_nc_u32_e32 v49, v48, v49
	v_add_nc_u32_e32 v50, v49, v50
	v_add_nc_u32_e32 v19, v50, v19
	ds_write_b32 v24, v39
	ds_write_b32 v25, v48
	;; [unrolled: 1-line block ×5, first 2 shown]
	s_waitcnt lgkmcnt(0)
	s_barrier
	buffer_gl0_inv
	ds_read_b32 v18, v18
	s_waitcnt lgkmcnt(0)
                                        ; implicit-def: $vgpr39
	v_add_nc_u32_e32 v4, v18, v4
	v_lshlrev_b64 v[18:19], 1, v[4:5]
	v_add_co_u32 v20, s17, v12, v18
	v_add_co_ci_u32_e64 v21, null, v13, v19, s17
	s_mov_b32 s17, exec_lo
                                        ; implicit-def: $vgpr18_vgpr19
	v_cmpx_lt_u32_e64 v10, v11
	s_cbranch_execz .LBB1840_185
; %bb.195:                              ;   in Loop: Header=BB1840_186 Depth=1
	v_mad_u64_u32 v[18:19], null, v4, 6, v[20:21]
	s_barrier
	buffer_gl0_inv
	ds_write_b16 v20, v38
	s_waitcnt lgkmcnt(0)
	s_barrier
	buffer_gl0_inv
	ds_read_u16 v39, v34
	s_waitcnt lgkmcnt(0)
	s_barrier
	buffer_gl0_inv
	ds_write_b64 v18, v[8:9]
	s_waitcnt lgkmcnt(0)
	s_barrier
	buffer_gl0_inv
	ds_read_b64 v[18:19], v36
	v_add_nc_u32_e32 v37, -8, v37
	s_xor_b32 s20, exec_lo, -1
	s_waitcnt lgkmcnt(0)
	s_barrier
	buffer_gl0_inv
	s_branch .LBB1840_185
.LBB1840_196:
	s_or_b32 exec_lo, exec_lo, s19
	v_mad_u64_u32 v[4:5], null, v4, 6, v[20:21]
	v_lshl_add_u32 v11, v30, 1, v12
	v_mul_u32_u24_e32 v5, 6, v30
	s_barrier
	buffer_gl0_inv
	ds_write_b16 v20, v38
	s_waitcnt lgkmcnt(0)
	v_add_nc_u32_e32 v5, v11, v5
	s_barrier
	buffer_gl0_inv
	ds_read_u16 v10, v11
	s_waitcnt lgkmcnt(0)
	s_barrier
	buffer_gl0_inv
	ds_write_b64 v4, v[8:9]
	s_waitcnt lgkmcnt(0)
	s_barrier
	buffer_gl0_inv
	ds_read_b64 v[4:5], v5
	s_mov_b32 s4, exec_lo
	s_waitcnt lgkmcnt(0)
	s_barrier
	buffer_gl0_inv
	v_cmpx_lt_u32_e64 v14, v128
	s_cbranch_execz .LBB1840_198
; %bb.197:
	v_add_co_u32 v8, vcc_lo, v6, v0
	v_mov_b32_e32 v15, 0
	v_add_co_ci_u32_e64 v9, null, v7, v1, vcc_lo
	v_cmp_lt_i16_e32 vcc_lo, -1, v10
	v_lshlrev_b64 v[6:7], 1, v[14:15]
	v_lshlrev_b64 v[0:1], 3, v[14:15]
	v_cndmask_b32_e64 v11, 0xffff8000, -1, vcc_lo
	v_add_co_u32 v2, vcc_lo, v2, v16
	v_add_co_ci_u32_e64 v3, null, v3, v17, vcc_lo
	v_xor_b32_e32 v10, v11, v10
	v_add_co_u32 v2, vcc_lo, v2, v6
	v_add_co_ci_u32_e64 v3, null, v3, v7, vcc_lo
	v_add_co_u32 v0, vcc_lo, v8, v0
	v_add_co_ci_u32_e64 v1, null, v9, v1, vcc_lo
	flat_store_short v[2:3], v10
	flat_store_dwordx2 v[0:1], v[4:5]
.LBB1840_198:
	s_or_b32 exec_lo, exec_lo, s4
.LBB1840_199:
	s_or_b32 exec_lo, exec_lo, s22
	s_waitcnt lgkmcnt(0)
	s_setpc_b64 s[30:31]
.Lfunc_end1840:
	.size	_ZN7rocprim17ROCPRIM_400000_NS6detail40segmented_radix_sort_single_block_helperI6__halflLj256ELj8ELb0EE4sortIPKS3_PS3_PKlPlEEbT_T0_T1_T2_jjjjRNS4_12storage_typeE, .Lfunc_end1840-_ZN7rocprim17ROCPRIM_400000_NS6detail40segmented_radix_sort_single_block_helperI6__halflLj256ELj8ELb0EE4sortIPKS3_PS3_PKlPlEEbT_T0_T1_T2_jjjjRNS4_12storage_typeE
                                        ; -- End function
	.set .L_ZN7rocprim17ROCPRIM_400000_NS6detail40segmented_radix_sort_single_block_helperI6__halflLj256ELj8ELb0EE4sortIPKS3_PS3_PKlPlEEbT_T0_T1_T2_jjjjRNS4_12storage_typeE.num_vgpr, 184
	.set .L_ZN7rocprim17ROCPRIM_400000_NS6detail40segmented_radix_sort_single_block_helperI6__halflLj256ELj8ELb0EE4sortIPKS3_PS3_PKlPlEEbT_T0_T1_T2_jjjjRNS4_12storage_typeE.num_agpr, 0
	.set .L_ZN7rocprim17ROCPRIM_400000_NS6detail40segmented_radix_sort_single_block_helperI6__halflLj256ELj8ELb0EE4sortIPKS3_PS3_PKlPlEEbT_T0_T1_T2_jjjjRNS4_12storage_typeE.numbered_sgpr, 32
	.set .L_ZN7rocprim17ROCPRIM_400000_NS6detail40segmented_radix_sort_single_block_helperI6__halflLj256ELj8ELb0EE4sortIPKS3_PS3_PKlPlEEbT_T0_T1_T2_jjjjRNS4_12storage_typeE.num_named_barrier, 0
	.set .L_ZN7rocprim17ROCPRIM_400000_NS6detail40segmented_radix_sort_single_block_helperI6__halflLj256ELj8ELb0EE4sortIPKS3_PS3_PKlPlEEbT_T0_T1_T2_jjjjRNS4_12storage_typeE.private_seg_size, 0
	.set .L_ZN7rocprim17ROCPRIM_400000_NS6detail40segmented_radix_sort_single_block_helperI6__halflLj256ELj8ELb0EE4sortIPKS3_PS3_PKlPlEEbT_T0_T1_T2_jjjjRNS4_12storage_typeE.uses_vcc, 1
	.set .L_ZN7rocprim17ROCPRIM_400000_NS6detail40segmented_radix_sort_single_block_helperI6__halflLj256ELj8ELb0EE4sortIPKS3_PS3_PKlPlEEbT_T0_T1_T2_jjjjRNS4_12storage_typeE.uses_flat_scratch, 0
	.set .L_ZN7rocprim17ROCPRIM_400000_NS6detail40segmented_radix_sort_single_block_helperI6__halflLj256ELj8ELb0EE4sortIPKS3_PS3_PKlPlEEbT_T0_T1_T2_jjjjRNS4_12storage_typeE.has_dyn_sized_stack, 0
	.set .L_ZN7rocprim17ROCPRIM_400000_NS6detail40segmented_radix_sort_single_block_helperI6__halflLj256ELj8ELb0EE4sortIPKS3_PS3_PKlPlEEbT_T0_T1_T2_jjjjRNS4_12storage_typeE.has_recursion, 0
	.set .L_ZN7rocprim17ROCPRIM_400000_NS6detail40segmented_radix_sort_single_block_helperI6__halflLj256ELj8ELb0EE4sortIPKS3_PS3_PKlPlEEbT_T0_T1_T2_jjjjRNS4_12storage_typeE.has_indirect_call, 0
	.section	.AMDGPU.csdata,"",@progbits
; Function info:
; codeLenInByte = 16500
; TotalNumSgprs: 34
; NumVgprs: 184
; ScratchSize: 0
; MemoryBound: 1
	.section	.text._ZN7rocprim17ROCPRIM_400000_NS6detail17trampoline_kernelINS0_14default_configENS1_36segmented_radix_sort_config_selectorI6__halflEEZNS1_25segmented_radix_sort_implIS3_Lb0EPKS5_PS5_PKlPlN2at6native12_GLOBAL__N_18offset_tEEE10hipError_tPvRmT1_PNSt15iterator_traitsISL_E10value_typeET2_T3_PNSM_ISR_E10value_typeET4_jRbjT5_SX_jjP12ihipStream_tbEUlT_E_NS1_11comp_targetILNS1_3genE8ELNS1_11target_archE1030ELNS1_3gpuE2ELNS1_3repE0EEENS1_30default_config_static_selectorELNS0_4arch9wavefront6targetE0EEEvSL_,"axG",@progbits,_ZN7rocprim17ROCPRIM_400000_NS6detail17trampoline_kernelINS0_14default_configENS1_36segmented_radix_sort_config_selectorI6__halflEEZNS1_25segmented_radix_sort_implIS3_Lb0EPKS5_PS5_PKlPlN2at6native12_GLOBAL__N_18offset_tEEE10hipError_tPvRmT1_PNSt15iterator_traitsISL_E10value_typeET2_T3_PNSM_ISR_E10value_typeET4_jRbjT5_SX_jjP12ihipStream_tbEUlT_E_NS1_11comp_targetILNS1_3genE8ELNS1_11target_archE1030ELNS1_3gpuE2ELNS1_3repE0EEENS1_30default_config_static_selectorELNS0_4arch9wavefront6targetE0EEEvSL_,comdat
	.globl	_ZN7rocprim17ROCPRIM_400000_NS6detail17trampoline_kernelINS0_14default_configENS1_36segmented_radix_sort_config_selectorI6__halflEEZNS1_25segmented_radix_sort_implIS3_Lb0EPKS5_PS5_PKlPlN2at6native12_GLOBAL__N_18offset_tEEE10hipError_tPvRmT1_PNSt15iterator_traitsISL_E10value_typeET2_T3_PNSM_ISR_E10value_typeET4_jRbjT5_SX_jjP12ihipStream_tbEUlT_E_NS1_11comp_targetILNS1_3genE8ELNS1_11target_archE1030ELNS1_3gpuE2ELNS1_3repE0EEENS1_30default_config_static_selectorELNS0_4arch9wavefront6targetE0EEEvSL_ ; -- Begin function _ZN7rocprim17ROCPRIM_400000_NS6detail17trampoline_kernelINS0_14default_configENS1_36segmented_radix_sort_config_selectorI6__halflEEZNS1_25segmented_radix_sort_implIS3_Lb0EPKS5_PS5_PKlPlN2at6native12_GLOBAL__N_18offset_tEEE10hipError_tPvRmT1_PNSt15iterator_traitsISL_E10value_typeET2_T3_PNSM_ISR_E10value_typeET4_jRbjT5_SX_jjP12ihipStream_tbEUlT_E_NS1_11comp_targetILNS1_3genE8ELNS1_11target_archE1030ELNS1_3gpuE2ELNS1_3repE0EEENS1_30default_config_static_selectorELNS0_4arch9wavefront6targetE0EEEvSL_
	.p2align	8
	.type	_ZN7rocprim17ROCPRIM_400000_NS6detail17trampoline_kernelINS0_14default_configENS1_36segmented_radix_sort_config_selectorI6__halflEEZNS1_25segmented_radix_sort_implIS3_Lb0EPKS5_PS5_PKlPlN2at6native12_GLOBAL__N_18offset_tEEE10hipError_tPvRmT1_PNSt15iterator_traitsISL_E10value_typeET2_T3_PNSM_ISR_E10value_typeET4_jRbjT5_SX_jjP12ihipStream_tbEUlT_E_NS1_11comp_targetILNS1_3genE8ELNS1_11target_archE1030ELNS1_3gpuE2ELNS1_3repE0EEENS1_30default_config_static_selectorELNS0_4arch9wavefront6targetE0EEEvSL_,@function
_ZN7rocprim17ROCPRIM_400000_NS6detail17trampoline_kernelINS0_14default_configENS1_36segmented_radix_sort_config_selectorI6__halflEEZNS1_25segmented_radix_sort_implIS3_Lb0EPKS5_PS5_PKlPlN2at6native12_GLOBAL__N_18offset_tEEE10hipError_tPvRmT1_PNSt15iterator_traitsISL_E10value_typeET2_T3_PNSM_ISR_E10value_typeET4_jRbjT5_SX_jjP12ihipStream_tbEUlT_E_NS1_11comp_targetILNS1_3genE8ELNS1_11target_archE1030ELNS1_3gpuE2ELNS1_3repE0EEENS1_30default_config_static_selectorELNS0_4arch9wavefront6targetE0EEEvSL_: ; @_ZN7rocprim17ROCPRIM_400000_NS6detail17trampoline_kernelINS0_14default_configENS1_36segmented_radix_sort_config_selectorI6__halflEEZNS1_25segmented_radix_sort_implIS3_Lb0EPKS5_PS5_PKlPlN2at6native12_GLOBAL__N_18offset_tEEE10hipError_tPvRmT1_PNSt15iterator_traitsISL_E10value_typeET2_T3_PNSM_ISR_E10value_typeET4_jRbjT5_SX_jjP12ihipStream_tbEUlT_E_NS1_11comp_targetILNS1_3genE8ELNS1_11target_archE1030ELNS1_3gpuE2ELNS1_3repE0EEENS1_30default_config_static_selectorELNS0_4arch9wavefront6targetE0EEEvSL_
; %bb.0:
	s_load_dwordx2 s[12:13], s[4:5], 0x38
	s_mov_b32 s27, s7
	s_mov_b32 s7, 0
	s_add_u32 s0, s0, s8
	s_addc_u32 s1, s1, 0
	s_lshl_b64 s[14:15], s[6:7], 2
	s_load_dwordx4 s[8:11], s[4:5], 0x40
	s_mov_b32 s32, 0
	s_waitcnt lgkmcnt(0)
	s_add_u32 s12, s12, s14
	s_addc_u32 s13, s13, s15
	s_load_dword s7, s[12:13], 0x0
	s_waitcnt lgkmcnt(0)
	s_add_i32 s29, s7, s9
	s_add_i32 s33, s7, s11
	s_mul_i32 s29, s29, s8
	s_mul_i32 s33, s33, s10
	s_cmp_le_u32 s33, s29
	s_cbranch_scc1 .LBB1841_670
; %bb.1:
	s_clause 0x3
	s_load_dword s7, s[4:5], 0x30
	s_load_dwordx4 s[44:47], s[4:5], 0x20
	s_load_dwordx4 s[48:51], s[4:5], 0x50
	s_load_dwordx8 s[36:43], s[4:5], 0x0
	s_waitcnt lgkmcnt(0)
	s_bitcmp1_b32 s7, 0
	s_mov_b32 s7, -1
	s_cselect_b32 s51, -1, 0
	s_sub_i32 s52, s33, s29
	s_cmpk_lt_u32 s52, 0x801
	s_cbranch_scc0 .LBB1841_7
; %bb.2:
	v_cndmask_b32_e64 v3, 0, 1, s51
	s_and_b32 s7, s48, 1
	v_lshlrev_b32_e32 v41, 20, v2
	v_lshlrev_b32_e32 v42, 10, v1
	v_cmp_ne_u32_e32 vcc_lo, s7, v3
	s_mov_b32 s7, -1
	s_cbranch_vccnz .LBB1841_4
; %bb.3:
	s_mov_b64 s[10:11], src_shared_base
	v_or3_b32 v31, v0, v42, v41
	v_mov_b32_e32 v40, v0
	v_mov_b32_e32 v0, s36
	;; [unrolled: 1-line block ×17, first 2 shown]
	s_add_u32 s8, s4, 0x60
	s_addc_u32 s9, s5, 0
	s_getpc_b64 s[14:15]
	s_add_u32 s14, s14, _ZN7rocprim17ROCPRIM_400000_NS6detail40segmented_radix_sort_single_block_helperI6__halflLj256ELj8ELb0EE4sortIPKS3_PS3_PKlPlEEbT_T0_T1_T2_jjjjRNS4_12storage_typeE@rel32@lo+4
	s_addc_u32 s15, s15, _ZN7rocprim17ROCPRIM_400000_NS6detail40segmented_radix_sort_single_block_helperI6__halflLj256ELj8ELb0EE4sortIPKS3_PS3_PKlPlEEbT_T0_T1_T2_jjjjRNS4_12storage_typeE@rel32@hi+12
	s_mov_b32 s12, s6
	s_mov_b32 s13, s27
	;; [unrolled: 1-line block ×3, first 2 shown]
	s_mov_b64 s[34:35], s[4:5]
	s_swappc_b64 s[30:31], s[14:15]
	v_mov_b32_e32 v1, v43
	v_mov_b32_e32 v2, v44
	;; [unrolled: 1-line block ×3, first 2 shown]
	s_mov_b64 s[4:5], s[34:35]
	s_mov_b32 s6, s28
	s_mov_b32 s7, 0
.LBB1841_4:
	s_andn2_b32 vcc_lo, exec_lo, s7
	s_cbranch_vccnz .LBB1841_6
; %bb.5:
	s_mov_b64 s[10:11], src_shared_base
	v_or3_b32 v31, v0, v42, v41
	v_mov_b32_e32 v40, v0
	v_mov_b32_e32 v0, s36
	;; [unrolled: 1-line block ×17, first 2 shown]
	s_add_u32 s8, s4, 0x60
	s_addc_u32 s9, s5, 0
	s_getpc_b64 s[14:15]
	s_add_u32 s14, s14, _ZN7rocprim17ROCPRIM_400000_NS6detail40segmented_radix_sort_single_block_helperI6__halflLj256ELj8ELb0EE4sortIPKS3_PS3_PKlPlEEbT_T0_T1_T2_jjjjRNS4_12storage_typeE@rel32@lo+4
	s_addc_u32 s15, s15, _ZN7rocprim17ROCPRIM_400000_NS6detail40segmented_radix_sort_single_block_helperI6__halflLj256ELj8ELb0EE4sortIPKS3_PS3_PKlPlEEbT_T0_T1_T2_jjjjRNS4_12storage_typeE@rel32@hi+12
	s_mov_b32 s12, s6
	s_mov_b32 s13, s27
	;; [unrolled: 1-line block ×3, first 2 shown]
	s_mov_b64 s[34:35], s[4:5]
	s_swappc_b64 s[30:31], s[14:15]
	v_mov_b32_e32 v1, v41
	v_mov_b32_e32 v2, v42
	;; [unrolled: 1-line block ×3, first 2 shown]
	s_mov_b64 s[4:5], s[34:35]
	s_mov_b32 s6, s28
.LBB1841_6:
	s_mov_b32 s7, 0
.LBB1841_7:
	s_andn2_b32 vcc_lo, exec_lo, s7
	s_cbranch_vccnz .LBB1841_670
; %bb.8:
	s_cmp_ge_u32 s49, s50
	s_cbranch_scc1 .LBB1841_670
; %bb.9:
	v_lshlrev_b32_e32 v29, 2, v0
	v_and_b32_e32 v4, 3, v0
	v_lshrrev_b32_e32 v5, 3, v0
	v_or_b32_e32 v6, 31, v0
	v_lshlrev_b32_e32 v3, 1, v0
	v_mad_u32_u24 v41, v0, 12, v29
	v_lshlrev_b32_e32 v40, 2, v4
	v_lshlrev_b32_e32 v4, 3, v0
	v_and_b32_e32 v39, 28, v5
	v_lshlrev_b32_e32 v5, 5, v0
	v_mad_u32_u24 v44, v0, 20, v41
	v_cmp_eq_u32_e64 s8, v0, v6
	v_and_b32_e32 v4, 0x700, v4
	v_mbcnt_lo_u32_b32 v59, -1, 0
	v_or_b32_e32 v35, 0x400, v0
	v_sub_nc_u32_e32 v46, v44, v5
	v_or_b32_e32 v36, 0x500, v0
	v_lshlrev_b32_e32 v5, 3, v4
	v_lshlrev_b32_e32 v6, 1, v4
	;; [unrolled: 1-line block ×4, first 2 shown]
	v_or_b32_e32 v37, 0x600, v0
	v_add_co_u32 v7, s12, s46, v5
	v_add_co_ci_u32_e64 v8, null, s47, 0, s12
	v_add_co_u32 v9, s12, s40, v6
	v_add_co_ci_u32_e64 v10, null, s41, 0, s12
	;; [unrolled: 2-line block ×5, first 2 shown]
	v_add_co_u32 v55, s12, s36, v3
	v_or_b32_e32 v38, 0x700, v0
	v_or_b32_e32 v66, v59, v4
	v_add_co_ci_u32_e64 v56, null, s37, 0, s12
	v_add_co_u32 v57, s12, s42, v5
	v_add_co_u32 v83, vcc_lo, v7, v69
	v_add_co_u32 v33, s7, s40, v3
	v_add_co_ci_u32_e64 v58, null, s43, 0, s12
	v_add_co_u32 v60, s12, s36, v6
	v_add_co_ci_u32_e64 v84, null, 0, v8, vcc_lo
	v_add_co_u32 v85, vcc_lo, v9, v77
	v_or_b32_e32 v30, 0x100, v0
	v_or_b32_e32 v31, 0x200, v0
	;; [unrolled: 1-line block ×3, first 2 shown]
	v_add_co_ci_u32_e64 v34, null, s41, 0, s7
	v_cmp_gt_u32_e64 s7, 0x100, v0
	v_or_b32_e32 v42, 0x4400, v39
	v_cmp_gt_u32_e64 s9, 8, v0
	v_or_b32_e32 v43, 0x4400, v29
	v_cmp_lt_u32_e64 s10, 31, v0
	v_add_nc_u32_e32 v45, 0x43fc, v39
	s_add_u32 s30, s4, 0x60
	v_cmp_eq_u32_e64 s4, 0, v0
	v_cmp_ne_u32_e64 s11, 0xff, v0
	v_sub_nc_u32_e32 v47, v46, v3
	v_mul_u32_u24_e32 v48, 6, v0
	v_add_co_ci_u32_e64 v61, null, s37, 0, s12
	v_mov_b32_e32 v62, 1
	v_and_b32_e32 v63, 15, v59
	v_bfe_i32 v64, v59, 4, 1
	v_and_b32_e32 v65, 16, v59
	v_and_b32_e32 v67, 7, v59
	v_sub_co_u32 v68, s12, v59, 1
	v_or_b32_e32 v70, 32, v66
	v_or_b32_e32 v71, 64, v66
	;; [unrolled: 1-line block ×7, first 2 shown]
	v_add_nc_u32_e32 v78, 0x420, v44
	v_lshlrev_b32_e32 v79, 1, v0
	v_lshlrev_b32_e32 v80, 1, v35
	;; [unrolled: 1-line block ×4, first 2 shown]
	v_add_co_ci_u32_e64 v86, null, 0, v10, vcc_lo
	v_lshlrev_b32_e32 v87, 1, v38
	v_add_nc_u32_e32 v88, 0x428, v44
	v_add_nc_u32_e32 v89, 0x430, v44
	;; [unrolled: 1-line block ×3, first 2 shown]
	v_mov_b32_e32 v4, 0
	s_addc_u32 s31, s5, 0
	s_mov_b32 s35, 0
	s_mov_b32 s42, s49
	s_branch .LBB1841_12
.LBB1841_10:                            ;   in Loop: Header=BB1841_12 Depth=1
	s_waitcnt lgkmcnt(0)
	s_barrier
.LBB1841_11:                            ;   in Loop: Header=BB1841_12 Depth=1
	s_add_i32 s42, s42, 8
	buffer_gl0_inv
	s_cmp_ge_u32 s42, s50
	s_cbranch_scc1 .LBB1841_670
.LBB1841_12:                            ; =>This Loop Header: Depth=1
                                        ;     Child Loop BB1841_16 Depth 2
                                        ;     Child Loop BB1841_64 Depth 2
	;; [unrolled: 1-line block ×8, first 2 shown]
	s_sub_i32 s5, s50, s42
	s_xor_b32 s51, s51, -1
	s_min_u32 s5, s5, 8
	ds_write2st64_b32 v29, v4, v4 offset1:4
	s_lshl_b32 s5, -1, s5
	ds_write2st64_b32 v29, v4, v4 offset0:8 offset1:12
	s_not_b32 s43, s5
	s_cmp_lg_u32 s42, s49
	s_mov_b32 s5, -1
	s_waitcnt lgkmcnt(0)
	s_waitcnt_vscnt null, 0x0
	s_cbranch_scc0 .LBB1841_342
; %bb.13:                               ;   in Loop: Header=BB1841_12 Depth=1
	s_and_b32 vcc_lo, exec_lo, s51
	s_cbranch_vccz .LBB1841_177
; %bb.14:                               ;   in Loop: Header=BB1841_12 Depth=1
	s_mov_b32 s5, s52
	s_mov_b32 s34, s29
	s_barrier
	buffer_gl0_inv
                                        ; implicit-def: $vgpr3
                                        ; implicit-def: $vgpr5
                                        ; implicit-def: $vgpr6
                                        ; implicit-def: $vgpr7
                                        ; implicit-def: $vgpr8
                                        ; implicit-def: $vgpr9
                                        ; implicit-def: $vgpr10
                                        ; implicit-def: $vgpr11
	s_branch .LBB1841_16
.LBB1841_15:                            ;   in Loop: Header=BB1841_16 Depth=2
	s_or_b32 exec_lo, exec_lo, s14
	s_addk_i32 s5, 0xf800
	s_cmp_ge_u32 s13, s33
	s_mov_b32 s34, s13
	s_cbranch_scc1 .LBB1841_52
.LBB1841_16:                            ;   Parent Loop BB1841_12 Depth=1
                                        ; =>  This Inner Loop Header: Depth=2
	s_add_i32 s13, s34, 0x800
	s_mov_b32 s14, -1
	s_cmp_gt_u32 s13, s33
                                        ; implicit-def: $vgpr12
                                        ; implicit-def: $vgpr13
                                        ; implicit-def: $vgpr14
                                        ; implicit-def: $vgpr15
                                        ; implicit-def: $vgpr16
                                        ; implicit-def: $vgpr17
                                        ; implicit-def: $vgpr18
                                        ; implicit-def: $vgpr19
	s_cbranch_scc1 .LBB1841_18
; %bb.17:                               ;   in Loop: Header=BB1841_16 Depth=2
	s_lshl_b64 s[14:15], s[34:35], 1
	v_add_co_u32 v15, vcc_lo, v33, s14
	v_add_co_ci_u32_e64 v16, null, s15, v34, vcc_lo
	s_mov_b32 s14, 0
	v_add_co_u32 v19, vcc_lo, 0x800, v15
	v_add_co_ci_u32_e64 v20, null, 0, v16, vcc_lo
	s_clause 0x7
	global_load_ushort v12, v[15:16], off
	global_load_ushort v13, v[15:16], off offset:512
	global_load_ushort v14, v[15:16], off offset:1024
	;; [unrolled: 1-line block ×3, first 2 shown]
	global_load_ushort v16, v[19:20], off
	global_load_ushort v17, v[19:20], off offset:512
	global_load_ushort v18, v[19:20], off offset:1024
	;; [unrolled: 1-line block ×3, first 2 shown]
.LBB1841_18:                            ;   in Loop: Header=BB1841_16 Depth=2
	s_andn2_b32 vcc_lo, exec_lo, s14
	s_movk_i32 s14, 0x800
	s_cbranch_vccnz .LBB1841_29
; %bb.19:                               ;   in Loop: Header=BB1841_16 Depth=2
	s_lshl_b64 s[14:15], s[34:35], 1
	s_mov_b32 s16, exec_lo
	s_add_u32 s14, s40, s14
	s_addc_u32 s15, s41, s15
	v_cmpx_gt_u32_e64 s5, v0
	s_cbranch_execnz .LBB1841_45
; %bb.20:                               ;   in Loop: Header=BB1841_16 Depth=2
	s_or_b32 exec_lo, exec_lo, s16
	s_mov_b32 s16, exec_lo
	v_cmpx_gt_u32_e64 s5, v30
	s_cbranch_execnz .LBB1841_46
.LBB1841_21:                            ;   in Loop: Header=BB1841_16 Depth=2
	s_or_b32 exec_lo, exec_lo, s16
	s_mov_b32 s16, exec_lo
	v_cmpx_gt_u32_e64 s5, v31
	s_cbranch_execnz .LBB1841_47
.LBB1841_22:                            ;   in Loop: Header=BB1841_16 Depth=2
	s_or_b32 exec_lo, exec_lo, s16
	s_mov_b32 s16, exec_lo
	v_cmpx_gt_u32_e64 s5, v32
	s_cbranch_execnz .LBB1841_48
.LBB1841_23:                            ;   in Loop: Header=BB1841_16 Depth=2
	s_or_b32 exec_lo, exec_lo, s16
	s_mov_b32 s16, exec_lo
	v_cmpx_gt_u32_e64 s5, v35
	s_cbranch_execnz .LBB1841_49
.LBB1841_24:                            ;   in Loop: Header=BB1841_16 Depth=2
	s_or_b32 exec_lo, exec_lo, s16
	s_mov_b32 s16, exec_lo
	v_cmpx_gt_u32_e64 s5, v36
	s_cbranch_execnz .LBB1841_50
.LBB1841_25:                            ;   in Loop: Header=BB1841_16 Depth=2
	s_or_b32 exec_lo, exec_lo, s16
	s_mov_b32 s16, exec_lo
	v_cmpx_gt_u32_e64 s5, v37
	s_cbranch_execnz .LBB1841_51
.LBB1841_26:                            ;   in Loop: Header=BB1841_16 Depth=2
	s_or_b32 exec_lo, exec_lo, s16
	s_mov_b32 s16, exec_lo
	v_cmpx_gt_u32_e64 s5, v38
	s_cbranch_execz .LBB1841_28
.LBB1841_27:                            ;   in Loop: Header=BB1841_16 Depth=2
	global_load_ushort v3, v87, s[14:15]
.LBB1841_28:                            ;   in Loop: Header=BB1841_16 Depth=2
	s_or_b32 exec_lo, exec_lo, s16
	s_waitcnt vmcnt(0)
	v_mov_b32_e32 v12, v11
	v_mov_b32_e32 v13, v10
	;; [unrolled: 1-line block ×8, first 2 shown]
	s_mov_b32 s14, s5
.LBB1841_29:                            ;   in Loop: Header=BB1841_16 Depth=2
	s_waitcnt vmcnt(0)
	v_mov_b32_e32 v3, v19
	v_mov_b32_e32 v5, v18
	;; [unrolled: 1-line block ×8, first 2 shown]
	s_mov_b32 s15, exec_lo
	v_cmpx_gt_u32_e64 s14, v0
	s_cbranch_execnz .LBB1841_37
; %bb.30:                               ;   in Loop: Header=BB1841_16 Depth=2
	s_or_b32 exec_lo, exec_lo, s15
	s_mov_b32 s15, exec_lo
	v_cmpx_gt_u32_e64 s14, v30
	s_cbranch_execnz .LBB1841_38
.LBB1841_31:                            ;   in Loop: Header=BB1841_16 Depth=2
	s_or_b32 exec_lo, exec_lo, s15
	s_mov_b32 s15, exec_lo
	v_cmpx_gt_u32_e64 s14, v31
	s_cbranch_execnz .LBB1841_39
.LBB1841_32:                            ;   in Loop: Header=BB1841_16 Depth=2
	s_or_b32 exec_lo, exec_lo, s15
	s_mov_b32 s15, exec_lo
	v_cmpx_gt_u32_e64 s14, v32
	s_cbranch_execnz .LBB1841_40
.LBB1841_33:                            ;   in Loop: Header=BB1841_16 Depth=2
	s_or_b32 exec_lo, exec_lo, s15
	s_mov_b32 s15, exec_lo
	v_cmpx_gt_u32_e64 s14, v35
	s_cbranch_execnz .LBB1841_41
.LBB1841_34:                            ;   in Loop: Header=BB1841_16 Depth=2
	s_or_b32 exec_lo, exec_lo, s15
	s_mov_b32 s15, exec_lo
	v_cmpx_gt_u32_e64 s14, v36
	s_cbranch_execnz .LBB1841_42
.LBB1841_35:                            ;   in Loop: Header=BB1841_16 Depth=2
	s_or_b32 exec_lo, exec_lo, s15
	s_mov_b32 s15, exec_lo
	v_cmpx_gt_u32_e64 s14, v37
	s_cbranch_execnz .LBB1841_43
.LBB1841_36:                            ;   in Loop: Header=BB1841_16 Depth=2
	s_or_b32 exec_lo, exec_lo, s15
	v_cmp_gt_u32_e32 vcc_lo, s14, v38
	s_and_saveexec_b32 s14, vcc_lo
	s_cbranch_execz .LBB1841_15
	s_branch .LBB1841_44
.LBB1841_37:                            ;   in Loop: Header=BB1841_16 Depth=2
	v_cmp_lt_i16_e32 vcc_lo, -1, v11
	v_cndmask_b32_e64 v12, -1, 0xffff8000, vcc_lo
	v_xor_b32_e32 v12, v12, v11
	v_cmp_ne_u16_e32 vcc_lo, 0x7fff, v12
	v_cndmask_b32_e32 v12, 0xffff8000, v12, vcc_lo
	v_lshrrev_b32_sdwa v12, s42, v12 dst_sel:DWORD dst_unused:UNUSED_PAD src0_sel:DWORD src1_sel:WORD_0
	v_and_b32_e32 v12, s43, v12
	v_lshl_or_b32 v12, v12, 4, v40
	ds_add_u32 v12, v62
	s_or_b32 exec_lo, exec_lo, s15
	s_mov_b32 s15, exec_lo
	v_cmpx_gt_u32_e64 s14, v30
	s_cbranch_execz .LBB1841_31
.LBB1841_38:                            ;   in Loop: Header=BB1841_16 Depth=2
	v_cmp_lt_i16_e32 vcc_lo, -1, v10
	v_cndmask_b32_e64 v12, -1, 0xffff8000, vcc_lo
	v_xor_b32_e32 v12, v12, v10
	v_cmp_ne_u16_e32 vcc_lo, 0x7fff, v12
	v_cndmask_b32_e32 v12, 0xffff8000, v12, vcc_lo
	v_lshrrev_b32_sdwa v12, s42, v12 dst_sel:DWORD dst_unused:UNUSED_PAD src0_sel:DWORD src1_sel:WORD_0
	v_and_b32_e32 v12, s43, v12
	v_lshl_or_b32 v12, v12, 4, v40
	ds_add_u32 v12, v62
	s_or_b32 exec_lo, exec_lo, s15
	s_mov_b32 s15, exec_lo
	v_cmpx_gt_u32_e64 s14, v31
	s_cbranch_execz .LBB1841_32
.LBB1841_39:                            ;   in Loop: Header=BB1841_16 Depth=2
	v_cmp_lt_i16_e32 vcc_lo, -1, v9
	v_cndmask_b32_e64 v12, -1, 0xffff8000, vcc_lo
	v_xor_b32_e32 v12, v12, v9
	v_cmp_ne_u16_e32 vcc_lo, 0x7fff, v12
	v_cndmask_b32_e32 v12, 0xffff8000, v12, vcc_lo
	v_lshrrev_b32_sdwa v12, s42, v12 dst_sel:DWORD dst_unused:UNUSED_PAD src0_sel:DWORD src1_sel:WORD_0
	v_and_b32_e32 v12, s43, v12
	v_lshl_or_b32 v12, v12, 4, v40
	ds_add_u32 v12, v62
	s_or_b32 exec_lo, exec_lo, s15
	s_mov_b32 s15, exec_lo
	v_cmpx_gt_u32_e64 s14, v32
	s_cbranch_execz .LBB1841_33
.LBB1841_40:                            ;   in Loop: Header=BB1841_16 Depth=2
	v_cmp_lt_i16_e32 vcc_lo, -1, v8
	v_cndmask_b32_e64 v12, -1, 0xffff8000, vcc_lo
	v_xor_b32_e32 v12, v12, v8
	v_cmp_ne_u16_e32 vcc_lo, 0x7fff, v12
	v_cndmask_b32_e32 v12, 0xffff8000, v12, vcc_lo
	v_lshrrev_b32_sdwa v12, s42, v12 dst_sel:DWORD dst_unused:UNUSED_PAD src0_sel:DWORD src1_sel:WORD_0
	v_and_b32_e32 v12, s43, v12
	v_lshl_or_b32 v12, v12, 4, v40
	ds_add_u32 v12, v62
	s_or_b32 exec_lo, exec_lo, s15
	s_mov_b32 s15, exec_lo
	v_cmpx_gt_u32_e64 s14, v35
	s_cbranch_execz .LBB1841_34
.LBB1841_41:                            ;   in Loop: Header=BB1841_16 Depth=2
	v_cmp_lt_i16_e32 vcc_lo, -1, v7
	v_cndmask_b32_e64 v12, -1, 0xffff8000, vcc_lo
	v_xor_b32_e32 v12, v12, v7
	v_cmp_ne_u16_e32 vcc_lo, 0x7fff, v12
	v_cndmask_b32_e32 v12, 0xffff8000, v12, vcc_lo
	v_lshrrev_b32_sdwa v12, s42, v12 dst_sel:DWORD dst_unused:UNUSED_PAD src0_sel:DWORD src1_sel:WORD_0
	v_and_b32_e32 v12, s43, v12
	v_lshl_or_b32 v12, v12, 4, v40
	ds_add_u32 v12, v62
	s_or_b32 exec_lo, exec_lo, s15
	s_mov_b32 s15, exec_lo
	v_cmpx_gt_u32_e64 s14, v36
	s_cbranch_execz .LBB1841_35
.LBB1841_42:                            ;   in Loop: Header=BB1841_16 Depth=2
	v_cmp_lt_i16_e32 vcc_lo, -1, v6
	v_cndmask_b32_e64 v12, -1, 0xffff8000, vcc_lo
	v_xor_b32_e32 v12, v12, v6
	v_cmp_ne_u16_e32 vcc_lo, 0x7fff, v12
	v_cndmask_b32_e32 v12, 0xffff8000, v12, vcc_lo
	v_lshrrev_b32_sdwa v12, s42, v12 dst_sel:DWORD dst_unused:UNUSED_PAD src0_sel:DWORD src1_sel:WORD_0
	v_and_b32_e32 v12, s43, v12
	v_lshl_or_b32 v12, v12, 4, v40
	ds_add_u32 v12, v62
	s_or_b32 exec_lo, exec_lo, s15
	s_mov_b32 s15, exec_lo
	v_cmpx_gt_u32_e64 s14, v37
	s_cbranch_execz .LBB1841_36
.LBB1841_43:                            ;   in Loop: Header=BB1841_16 Depth=2
	v_cmp_lt_i16_e32 vcc_lo, -1, v5
	v_cndmask_b32_e64 v12, -1, 0xffff8000, vcc_lo
	v_xor_b32_e32 v12, v12, v5
	v_cmp_ne_u16_e32 vcc_lo, 0x7fff, v12
	v_cndmask_b32_e32 v12, 0xffff8000, v12, vcc_lo
	v_lshrrev_b32_sdwa v12, s42, v12 dst_sel:DWORD dst_unused:UNUSED_PAD src0_sel:DWORD src1_sel:WORD_0
	v_and_b32_e32 v12, s43, v12
	v_lshl_or_b32 v12, v12, 4, v40
	ds_add_u32 v12, v62
	s_or_b32 exec_lo, exec_lo, s15
	v_cmp_gt_u32_e32 vcc_lo, s14, v38
	s_and_saveexec_b32 s14, vcc_lo
	s_cbranch_execz .LBB1841_15
.LBB1841_44:                            ;   in Loop: Header=BB1841_16 Depth=2
	v_cmp_lt_i16_e32 vcc_lo, -1, v3
	v_cndmask_b32_e64 v12, -1, 0xffff8000, vcc_lo
	v_xor_b32_e32 v12, v12, v3
	v_cmp_ne_u16_e32 vcc_lo, 0x7fff, v12
	v_cndmask_b32_e32 v12, 0xffff8000, v12, vcc_lo
	v_lshrrev_b32_sdwa v12, s42, v12 dst_sel:DWORD dst_unused:UNUSED_PAD src0_sel:DWORD src1_sel:WORD_0
	v_and_b32_e32 v12, s43, v12
	v_lshl_or_b32 v12, v12, 4, v40
	ds_add_u32 v12, v62
	s_branch .LBB1841_15
.LBB1841_45:                            ;   in Loop: Header=BB1841_16 Depth=2
	global_load_ushort v11, v79, s[14:15]
	s_or_b32 exec_lo, exec_lo, s16
	s_mov_b32 s16, exec_lo
	v_cmpx_gt_u32_e64 s5, v30
	s_cbranch_execz .LBB1841_21
.LBB1841_46:                            ;   in Loop: Header=BB1841_16 Depth=2
	global_load_ushort v10, v79, s[14:15] offset:512
	s_or_b32 exec_lo, exec_lo, s16
	s_mov_b32 s16, exec_lo
	v_cmpx_gt_u32_e64 s5, v31
	s_cbranch_execz .LBB1841_22
.LBB1841_47:                            ;   in Loop: Header=BB1841_16 Depth=2
	global_load_ushort v9, v79, s[14:15] offset:1024
	s_or_b32 exec_lo, exec_lo, s16
	s_mov_b32 s16, exec_lo
	v_cmpx_gt_u32_e64 s5, v32
	s_cbranch_execz .LBB1841_23
.LBB1841_48:                            ;   in Loop: Header=BB1841_16 Depth=2
	global_load_ushort v8, v79, s[14:15] offset:1536
	s_or_b32 exec_lo, exec_lo, s16
	s_mov_b32 s16, exec_lo
	v_cmpx_gt_u32_e64 s5, v35
	s_cbranch_execz .LBB1841_24
.LBB1841_49:                            ;   in Loop: Header=BB1841_16 Depth=2
	global_load_ushort v7, v80, s[14:15]
	s_or_b32 exec_lo, exec_lo, s16
	s_mov_b32 s16, exec_lo
	v_cmpx_gt_u32_e64 s5, v36
	s_cbranch_execz .LBB1841_25
.LBB1841_50:                            ;   in Loop: Header=BB1841_16 Depth=2
	global_load_ushort v6, v81, s[14:15]
	s_or_b32 exec_lo, exec_lo, s16
	s_mov_b32 s16, exec_lo
	v_cmpx_gt_u32_e64 s5, v37
	s_cbranch_execz .LBB1841_26
.LBB1841_51:                            ;   in Loop: Header=BB1841_16 Depth=2
	global_load_ushort v5, v82, s[14:15]
	s_or_b32 exec_lo, exec_lo, s16
	s_mov_b32 s16, exec_lo
	v_cmpx_gt_u32_e64 s5, v38
	s_cbranch_execnz .LBB1841_27
	s_branch .LBB1841_28
.LBB1841_52:                            ;   in Loop: Header=BB1841_12 Depth=1
	v_mov_b32_e32 v3, 0
	s_waitcnt lgkmcnt(0)
	s_barrier
	buffer_gl0_inv
	s_and_saveexec_b32 s5, s7
	s_cbranch_execz .LBB1841_54
; %bb.53:                               ;   in Loop: Header=BB1841_12 Depth=1
	ds_read2_b64 v[5:8], v41 offset1:1
	s_waitcnt lgkmcnt(0)
	v_add_nc_u32_e32 v3, v6, v5
	v_add3_u32 v3, v3, v7, v8
.LBB1841_54:                            ;   in Loop: Header=BB1841_12 Depth=1
	s_or_b32 exec_lo, exec_lo, s5
	v_mov_b32_dpp v5, v3 row_shr:1 row_mask:0xf bank_mask:0xf
	v_cmp_eq_u32_e64 s5, 0, v63
	v_cmp_lt_u32_e64 s13, 1, v63
	v_cmp_lt_u32_e64 s14, 3, v63
	;; [unrolled: 1-line block ×3, first 2 shown]
	v_cmp_eq_u32_e64 s16, 0, v65
	v_cndmask_b32_e64 v5, v5, 0, s5
	v_add_nc_u32_e32 v3, v5, v3
	v_mov_b32_dpp v5, v3 row_shr:2 row_mask:0xf bank_mask:0xf
	v_cndmask_b32_e64 v5, 0, v5, s13
	v_add_nc_u32_e32 v3, v3, v5
	v_mov_b32_dpp v5, v3 row_shr:4 row_mask:0xf bank_mask:0xf
	;; [unrolled: 3-line block ×3, first 2 shown]
	v_cndmask_b32_e64 v5, 0, v5, s15
	v_add_nc_u32_e32 v3, v3, v5
	ds_swizzle_b32 v5, v3 offset:swizzle(BROADCAST,32,15)
	s_waitcnt lgkmcnt(0)
	v_and_b32_e32 v5, v64, v5
	v_add_nc_u32_e32 v3, v3, v5
	s_and_saveexec_b32 s17, s8
; %bb.55:                               ;   in Loop: Header=BB1841_12 Depth=1
	ds_write_b32 v42, v3
; %bb.56:                               ;   in Loop: Header=BB1841_12 Depth=1
	s_or_b32 exec_lo, exec_lo, s17
	s_waitcnt lgkmcnt(0)
	s_barrier
	buffer_gl0_inv
	s_and_saveexec_b32 s17, s9
	s_cbranch_execz .LBB1841_58
; %bb.57:                               ;   in Loop: Header=BB1841_12 Depth=1
	ds_read_b32 v5, v43
	v_cmp_ne_u32_e32 vcc_lo, 0, v67
	s_waitcnt lgkmcnt(0)
	v_mov_b32_dpp v6, v5 row_shr:1 row_mask:0xf bank_mask:0xf
	v_cndmask_b32_e32 v6, 0, v6, vcc_lo
	v_cmp_lt_u32_e32 vcc_lo, 1, v67
	v_add_nc_u32_e32 v5, v6, v5
	v_mov_b32_dpp v6, v5 row_shr:2 row_mask:0xf bank_mask:0xf
	v_cndmask_b32_e32 v6, 0, v6, vcc_lo
	v_cmp_lt_u32_e32 vcc_lo, 3, v67
	v_add_nc_u32_e32 v5, v5, v6
	v_mov_b32_dpp v6, v5 row_shr:4 row_mask:0xf bank_mask:0xf
	v_cndmask_b32_e32 v6, 0, v6, vcc_lo
	v_add_nc_u32_e32 v5, v5, v6
	ds_write_b32 v43, v5
.LBB1841_58:                            ;   in Loop: Header=BB1841_12 Depth=1
	s_or_b32 exec_lo, exec_lo, s17
	v_mov_b32_e32 v5, 0
	s_waitcnt lgkmcnt(0)
	s_barrier
	buffer_gl0_inv
	s_and_saveexec_b32 s17, s10
; %bb.59:                               ;   in Loop: Header=BB1841_12 Depth=1
	ds_read_b32 v5, v45
; %bb.60:                               ;   in Loop: Header=BB1841_12 Depth=1
	s_or_b32 exec_lo, exec_lo, s17
	v_cmp_gt_i32_e32 vcc_lo, 0, v68
	s_waitcnt lgkmcnt(0)
	v_add_nc_u32_e32 v3, v5, v3
	s_barrier
	buffer_gl0_inv
	v_cndmask_b32_e32 v6, v68, v59, vcc_lo
	v_lshlrev_b32_e32 v91, 2, v6
	ds_bpermute_b32 v3, v91, v3
	s_and_saveexec_b32 s17, s7
	s_cbranch_execz .LBB1841_62
; %bb.61:                               ;   in Loop: Header=BB1841_12 Depth=1
	s_waitcnt lgkmcnt(0)
	v_cndmask_b32_e64 v3, v3, v5, s12
	v_add_nc_u32_e32 v3, s29, v3
	ds_write_b32 v29, v3
.LBB1841_62:                            ;   in Loop: Header=BB1841_12 Depth=1
	s_or_b32 exec_lo, exec_lo, s17
	s_clause 0x1
	s_load_dword s17, s[30:31], 0x4
	s_load_dword s20, s[30:31], 0xc
	s_mov_b32 s48, s52
	s_mov_b32 s34, s29
                                        ; implicit-def: $vgpr7_vgpr8
                                        ; implicit-def: $vgpr9_vgpr10
                                        ; implicit-def: $vgpr11_vgpr12
                                        ; implicit-def: $vgpr13_vgpr14
                                        ; implicit-def: $vgpr15_vgpr16
                                        ; implicit-def: $vgpr17_vgpr18
                                        ; implicit-def: $vgpr19_vgpr20
                                        ; implicit-def: $vgpr93
                                        ; implicit-def: $vgpr94
                                        ; implicit-def: $vgpr95
                                        ; implicit-def: $vgpr96
                                        ; implicit-def: $vgpr97
                                        ; implicit-def: $vgpr98
                                        ; implicit-def: $vgpr99
                                        ; implicit-def: $vgpr100
	s_waitcnt lgkmcnt(0)
	s_cmp_lt_u32 s27, s17
	s_cselect_b32 s17, 14, 20
	s_add_u32 s18, s30, s17
	s_addc_u32 s19, s31, 0
	s_and_b32 s17, s20, 0xffff
	global_load_ushort v3, v4, s[18:19]
	v_cmp_lt_u32_e64 s18, 1, v67
	v_cmp_lt_u32_e64 s19, 3, v67
	s_waitcnt vmcnt(0)
	v_mad_u32_u24 v3, v2, v3, v1
	v_mad_u64_u32 v[5:6], null, v3, s17, v[0:1]
	v_cmp_eq_u32_e64 s17, 0, v67
	v_lshrrev_b32_e32 v3, 3, v5
                                        ; implicit-def: $vgpr5_vgpr6
	v_and_b32_e32 v92, 0x1ffffffc, v3
	s_branch .LBB1841_64
.LBB1841_63:                            ;   in Loop: Header=BB1841_64 Depth=2
	s_or_b32 exec_lo, exec_lo, s20
	s_addk_i32 s48, 0xf800
	s_cmp_lt_u32 s53, s33
	s_mov_b32 s34, s53
	s_cbranch_scc0 .LBB1841_176
.LBB1841_64:                            ;   Parent Loop BB1841_12 Depth=1
                                        ; =>  This Inner Loop Header: Depth=2
	s_add_i32 s53, s34, 0x800
	s_cmp_gt_u32 s53, s33
	s_cbranch_scc1 .LBB1841_66
; %bb.65:                               ;   in Loop: Header=BB1841_64 Depth=2
	s_lshl_b64 s[20:21], s[34:35], 1
	v_add_co_u32 v21, vcc_lo, v85, s20
	v_add_co_ci_u32_e64 v22, null, s21, v86, vcc_lo
	s_mov_b32 s20, -1
	s_clause 0x6
	global_load_ushort v3, v[21:22], off
	global_load_ushort v28, v[21:22], off offset:64
	global_load_ushort v27, v[21:22], off offset:128
	;; [unrolled: 1-line block ×6, first 2 shown]
	s_movk_i32 s21, 0x800
	s_cbranch_execz .LBB1841_67
	s_branch .LBB1841_82
.LBB1841_66:                            ;   in Loop: Header=BB1841_64 Depth=2
	s_mov_b32 s20, 0
                                        ; implicit-def: $vgpr3
                                        ; implicit-def: $vgpr28
                                        ; implicit-def: $vgpr27
                                        ; implicit-def: $vgpr26
                                        ; implicit-def: $vgpr25
                                        ; implicit-def: $vgpr24
                                        ; implicit-def: $vgpr23
	s_movk_i32 s21, 0x800
.LBB1841_67:                            ;   in Loop: Header=BB1841_64 Depth=2
	s_lshl_b64 s[20:21], s[34:35], 1
	s_waitcnt vmcnt(5)
	v_mov_b32_e32 v28, 0x7fff
	v_add_co_u32 v21, vcc_lo, v85, s20
	v_add_co_ci_u32_e64 v22, null, s21, v86, vcc_lo
	v_mov_b32_e32 v3, 0x7fff
	s_mov_b32 s20, exec_lo
	v_cmpx_gt_u32_e64 s48, v66
	s_cbranch_execz .LBB1841_69
; %bb.68:                               ;   in Loop: Header=BB1841_64 Depth=2
	global_load_ushort v3, v[21:22], off
.LBB1841_69:                            ;   in Loop: Header=BB1841_64 Depth=2
	s_or_b32 exec_lo, exec_lo, s20
	s_mov_b32 s20, exec_lo
	v_cmpx_gt_u32_e64 s48, v70
	s_cbranch_execz .LBB1841_71
; %bb.70:                               ;   in Loop: Header=BB1841_64 Depth=2
	global_load_ushort v28, v[21:22], off offset:64
.LBB1841_71:                            ;   in Loop: Header=BB1841_64 Depth=2
	s_or_b32 exec_lo, exec_lo, s20
	s_waitcnt vmcnt(3)
	v_mov_b32_e32 v26, 0x7fff
	v_mov_b32_e32 v27, 0x7fff
	s_mov_b32 s20, exec_lo
	v_cmpx_gt_u32_e64 s48, v71
	s_cbranch_execz .LBB1841_73
; %bb.72:                               ;   in Loop: Header=BB1841_64 Depth=2
	global_load_ushort v27, v[21:22], off offset:128
.LBB1841_73:                            ;   in Loop: Header=BB1841_64 Depth=2
	s_or_b32 exec_lo, exec_lo, s20
	s_mov_b32 s20, exec_lo
	v_cmpx_gt_u32_e64 s48, v72
	s_cbranch_execz .LBB1841_75
; %bb.74:                               ;   in Loop: Header=BB1841_64 Depth=2
	global_load_ushort v26, v[21:22], off offset:192
.LBB1841_75:                            ;   in Loop: Header=BB1841_64 Depth=2
	s_or_b32 exec_lo, exec_lo, s20
	s_waitcnt vmcnt(1)
	v_mov_b32_e32 v24, 0x7fff
	v_mov_b32_e32 v25, 0x7fff
	s_mov_b32 s20, exec_lo
	v_cmpx_gt_u32_e64 s48, v73
	s_cbranch_execz .LBB1841_77
; %bb.76:                               ;   in Loop: Header=BB1841_64 Depth=2
	global_load_ushort v25, v[21:22], off offset:256
.LBB1841_77:                            ;   in Loop: Header=BB1841_64 Depth=2
	s_or_b32 exec_lo, exec_lo, s20
	s_mov_b32 s20, exec_lo
	v_cmpx_gt_u32_e64 s48, v74
	s_cbranch_execz .LBB1841_79
; %bb.78:                               ;   in Loop: Header=BB1841_64 Depth=2
	global_load_ushort v24, v[21:22], off offset:320
.LBB1841_79:                            ;   in Loop: Header=BB1841_64 Depth=2
	s_or_b32 exec_lo, exec_lo, s20
	s_waitcnt vmcnt(0)
	v_mov_b32_e32 v23, 0x7fff
	s_mov_b32 s20, exec_lo
	v_cmpx_gt_u32_e64 s48, v75
	s_cbranch_execz .LBB1841_81
; %bb.80:                               ;   in Loop: Header=BB1841_64 Depth=2
	global_load_ushort v23, v[21:22], off offset:384
.LBB1841_81:                            ;   in Loop: Header=BB1841_64 Depth=2
	s_or_b32 exec_lo, exec_lo, s20
	v_cmp_gt_u32_e64 s20, s48, v76
	s_sub_i32 s21, s33, s34
.LBB1841_82:                            ;   in Loop: Header=BB1841_64 Depth=2
	v_mov_b32_e32 v21, 0x7fff
	v_mov_b32_e32 v101, s48
	s_and_saveexec_b32 s22, s20
	s_cbranch_execz .LBB1841_84
; %bb.83:                               ;   in Loop: Header=BB1841_64 Depth=2
	s_lshl_b64 s[24:25], s[34:35], 1
	v_mov_b32_e32 v101, s21
	v_add_co_u32 v21, vcc_lo, v85, s24
	v_add_co_ci_u32_e64 v22, null, s25, v86, vcc_lo
	global_load_ushort v21, v[21:22], off offset:448
.LBB1841_84:                            ;   in Loop: Header=BB1841_64 Depth=2
	s_or_b32 exec_lo, exec_lo, s22
	s_waitcnt vmcnt(6)
	v_cmp_lt_i16_e32 vcc_lo, -1, v3
	ds_write2_b32 v78, v4, v4 offset1:1
	ds_write2_b32 v88, v4, v4 offset1:1
	;; [unrolled: 1-line block ×4, first 2 shown]
	ds_write_b32 v44, v4 offset:1088
	s_waitcnt vmcnt(0) lgkmcnt(0)
	s_barrier
	v_cndmask_b32_e64 v22, -1, 0xffff8000, vcc_lo
	buffer_gl0_inv
	; wave barrier
	v_xor_b32_e32 v3, v22, v3
	v_cmp_ne_u16_e32 vcc_lo, 0x7fff, v3
	v_cndmask_b32_e32 v22, 0xffff8000, v3, vcc_lo
	v_lshrrev_b32_sdwa v22, s42, v22 dst_sel:DWORD dst_unused:UNUSED_PAD src0_sel:DWORD src1_sel:WORD_0
	v_and_b32_e32 v103, s43, v22
	v_and_b32_e32 v22, 1, v103
	v_lshlrev_b32_e32 v102, 30, v103
	v_lshlrev_b32_e32 v104, 29, v103
	;; [unrolled: 1-line block ×4, first 2 shown]
	v_add_co_u32 v22, s20, v22, -1
	v_cndmask_b32_e64 v106, 0, 1, s20
	v_not_b32_e32 v110, v102
	v_cmp_gt_i32_e64 s20, 0, v102
	v_not_b32_e32 v102, v104
	v_lshlrev_b32_e32 v108, 26, v103
	v_cmp_ne_u32_e32 vcc_lo, 0, v106
	v_ashrrev_i32_e32 v110, 31, v110
	v_lshlrev_b32_e32 v109, 25, v103
	v_ashrrev_i32_e32 v102, 31, v102
	v_lshlrev_b32_e32 v106, 24, v103
	v_xor_b32_e32 v22, vcc_lo, v22
	v_cmp_gt_i32_e32 vcc_lo, 0, v104
	v_not_b32_e32 v104, v105
	v_xor_b32_e32 v110, s20, v110
	v_cmp_gt_i32_e64 s20, 0, v105
	v_and_b32_e32 v22, exec_lo, v22
	v_not_b32_e32 v105, v107
	v_ashrrev_i32_e32 v104, 31, v104
	v_xor_b32_e32 v102, vcc_lo, v102
	v_cmp_gt_i32_e32 vcc_lo, 0, v107
	v_and_b32_e32 v22, v22, v110
	v_not_b32_e32 v107, v108
	v_ashrrev_i32_e32 v105, 31, v105
	v_xor_b32_e32 v104, s20, v104
	v_cmp_gt_i32_e64 s20, 0, v108
	v_and_b32_e32 v22, v22, v102
	v_not_b32_e32 v102, v109
	v_ashrrev_i32_e32 v107, 31, v107
	v_xor_b32_e32 v105, vcc_lo, v105
	v_cmp_gt_i32_e32 vcc_lo, 0, v109
	v_and_b32_e32 v22, v22, v104
	v_not_b32_e32 v104, v106
	v_ashrrev_i32_e32 v102, 31, v102
	v_xor_b32_e32 v107, s20, v107
	v_cmp_gt_i32_e64 s20, 0, v106
	v_and_b32_e32 v22, v22, v105
	v_ashrrev_i32_e32 v104, 31, v104
	v_xor_b32_e32 v102, vcc_lo, v102
	v_mul_u32_u24_e32 v103, 36, v103
	v_and_b32_e32 v22, v22, v107
	v_xor_b32_e32 v104, s20, v104
	v_and_b32_e32 v22, v22, v102
	v_and_b32_e32 v22, v22, v104
	v_add_nc_u32_e32 v104, v92, v103
	v_mbcnt_lo_u32_b32 v102, v22, 0
	v_cmp_ne_u32_e64 s20, 0, v22
	v_cmp_eq_u32_e32 vcc_lo, 0, v102
	s_and_b32 s21, s20, vcc_lo
	s_and_saveexec_b32 s20, s21
; %bb.85:                               ;   in Loop: Header=BB1841_64 Depth=2
	v_bcnt_u32_b32 v22, v22, 0
	ds_write_b32 v104, v22 offset:1056
; %bb.86:                               ;   in Loop: Header=BB1841_64 Depth=2
	s_or_b32 exec_lo, exec_lo, s20
	v_cmp_lt_i16_e32 vcc_lo, -1, v28
	; wave barrier
	v_cndmask_b32_e64 v22, -1, 0xffff8000, vcc_lo
	v_xor_b32_e32 v103, v22, v28
	v_cmp_ne_u16_e32 vcc_lo, 0x7fff, v103
	v_cndmask_b32_e32 v22, 0xffff8000, v103, vcc_lo
	v_lshrrev_b32_sdwa v22, s42, v22 dst_sel:DWORD dst_unused:UNUSED_PAD src0_sel:DWORD src1_sel:WORD_0
	v_and_b32_e32 v28, s43, v22
	v_and_b32_e32 v22, 1, v28
	v_lshlrev_b32_e32 v105, 30, v28
	v_lshlrev_b32_e32 v106, 29, v28
	;; [unrolled: 1-line block ×4, first 2 shown]
	v_add_co_u32 v22, s20, v22, -1
	v_cndmask_b32_e64 v108, 0, 1, s20
	v_not_b32_e32 v112, v105
	v_cmp_gt_i32_e64 s20, 0, v105
	v_not_b32_e32 v105, v106
	v_lshlrev_b32_e32 v110, 26, v28
	v_cmp_ne_u32_e32 vcc_lo, 0, v108
	v_ashrrev_i32_e32 v112, 31, v112
	v_lshlrev_b32_e32 v111, 25, v28
	v_ashrrev_i32_e32 v105, 31, v105
	v_lshlrev_b32_e32 v108, 24, v28
	v_xor_b32_e32 v22, vcc_lo, v22
	v_cmp_gt_i32_e32 vcc_lo, 0, v106
	v_not_b32_e32 v106, v107
	v_xor_b32_e32 v112, s20, v112
	v_cmp_gt_i32_e64 s20, 0, v107
	v_and_b32_e32 v22, exec_lo, v22
	v_not_b32_e32 v107, v109
	v_ashrrev_i32_e32 v106, 31, v106
	v_xor_b32_e32 v105, vcc_lo, v105
	v_cmp_gt_i32_e32 vcc_lo, 0, v109
	v_and_b32_e32 v22, v22, v112
	v_not_b32_e32 v109, v110
	v_ashrrev_i32_e32 v107, 31, v107
	v_xor_b32_e32 v106, s20, v106
	v_cmp_gt_i32_e64 s20, 0, v110
	v_and_b32_e32 v22, v22, v105
	v_not_b32_e32 v105, v111
	v_ashrrev_i32_e32 v109, 31, v109
	v_xor_b32_e32 v107, vcc_lo, v107
	v_cmp_gt_i32_e32 vcc_lo, 0, v111
	v_and_b32_e32 v22, v22, v106
	v_not_b32_e32 v106, v108
	v_ashrrev_i32_e32 v105, 31, v105
	v_xor_b32_e32 v109, s20, v109
	v_cmp_gt_i32_e64 s20, 0, v108
	v_and_b32_e32 v22, v22, v107
	v_ashrrev_i32_e32 v106, 31, v106
	v_xor_b32_e32 v105, vcc_lo, v105
	v_mad_u32_u24 v107, v28, 36, v92
	v_mul_u32_u24_e32 v28, 36, v28
	v_and_b32_e32 v22, v22, v109
	v_xor_b32_e32 v106, s20, v106
	v_add_nc_u32_e32 v108, v92, v28
	v_and_b32_e32 v22, v22, v105
	ds_read_b32 v105, v107 offset:1056
	; wave barrier
	v_and_b32_e32 v22, v22, v106
	v_mbcnt_lo_u32_b32 v106, v22, 0
	v_cmp_ne_u32_e64 s20, 0, v22
	v_cmp_eq_u32_e32 vcc_lo, 0, v106
	s_and_b32 s21, s20, vcc_lo
	s_and_saveexec_b32 s20, s21
	s_cbranch_execz .LBB1841_88
; %bb.87:                               ;   in Loop: Header=BB1841_64 Depth=2
	s_waitcnt lgkmcnt(0)
	v_bcnt_u32_b32 v22, v22, v105
	ds_write_b32 v108, v22 offset:1056
.LBB1841_88:                            ;   in Loop: Header=BB1841_64 Depth=2
	s_or_b32 exec_lo, exec_lo, s20
	v_cmp_lt_i16_e32 vcc_lo, -1, v27
	; wave barrier
	v_cndmask_b32_e64 v22, -1, 0xffff8000, vcc_lo
	v_xor_b32_e32 v107, v22, v27
	v_cmp_ne_u16_e32 vcc_lo, 0x7fff, v107
	v_cndmask_b32_e32 v22, 0xffff8000, v107, vcc_lo
	v_lshrrev_b32_sdwa v22, s42, v22 dst_sel:DWORD dst_unused:UNUSED_PAD src0_sel:DWORD src1_sel:WORD_0
	v_and_b32_e32 v27, s43, v22
	v_and_b32_e32 v22, 1, v27
	v_lshlrev_b32_e32 v28, 30, v27
	v_lshlrev_b32_e32 v109, 29, v27
	;; [unrolled: 1-line block ×4, first 2 shown]
	v_add_co_u32 v22, s20, v22, -1
	v_cndmask_b32_e64 v111, 0, 1, s20
	v_not_b32_e32 v115, v28
	v_cmp_gt_i32_e64 s20, 0, v28
	v_not_b32_e32 v28, v109
	v_lshlrev_b32_e32 v113, 26, v27
	v_cmp_ne_u32_e32 vcc_lo, 0, v111
	v_ashrrev_i32_e32 v115, 31, v115
	v_lshlrev_b32_e32 v114, 25, v27
	v_ashrrev_i32_e32 v28, 31, v28
	v_lshlrev_b32_e32 v111, 24, v27
	v_xor_b32_e32 v22, vcc_lo, v22
	v_cmp_gt_i32_e32 vcc_lo, 0, v109
	v_not_b32_e32 v109, v110
	v_xor_b32_e32 v115, s20, v115
	v_cmp_gt_i32_e64 s20, 0, v110
	v_and_b32_e32 v22, exec_lo, v22
	v_not_b32_e32 v110, v112
	v_ashrrev_i32_e32 v109, 31, v109
	v_xor_b32_e32 v28, vcc_lo, v28
	v_cmp_gt_i32_e32 vcc_lo, 0, v112
	v_and_b32_e32 v22, v22, v115
	v_not_b32_e32 v112, v113
	v_ashrrev_i32_e32 v110, 31, v110
	v_xor_b32_e32 v109, s20, v109
	v_cmp_gt_i32_e64 s20, 0, v113
	v_and_b32_e32 v22, v22, v28
	v_not_b32_e32 v28, v114
	v_ashrrev_i32_e32 v112, 31, v112
	v_xor_b32_e32 v110, vcc_lo, v110
	v_cmp_gt_i32_e32 vcc_lo, 0, v114
	v_and_b32_e32 v22, v22, v109
	v_not_b32_e32 v109, v111
	v_ashrrev_i32_e32 v28, 31, v28
	v_xor_b32_e32 v112, s20, v112
	v_cmp_gt_i32_e64 s20, 0, v111
	v_and_b32_e32 v22, v22, v110
	v_ashrrev_i32_e32 v109, 31, v109
	v_xor_b32_e32 v28, vcc_lo, v28
	v_mad_u32_u24 v110, v27, 36, v92
	v_mul_u32_u24_e32 v27, 36, v27
	v_and_b32_e32 v22, v22, v112
	v_xor_b32_e32 v111, s20, v109
	ds_read_b32 v109, v110 offset:1056
	v_add_nc_u32_e32 v112, v92, v27
	v_and_b32_e32 v22, v22, v28
	; wave barrier
	v_and_b32_e32 v22, v22, v111
	v_mbcnt_lo_u32_b32 v111, v22, 0
	v_cmp_ne_u32_e64 s20, 0, v22
	v_cmp_eq_u32_e32 vcc_lo, 0, v111
	s_and_b32 s21, s20, vcc_lo
	s_and_saveexec_b32 s20, s21
	s_cbranch_execz .LBB1841_90
; %bb.89:                               ;   in Loop: Header=BB1841_64 Depth=2
	s_waitcnt lgkmcnt(0)
	v_bcnt_u32_b32 v22, v22, v109
	ds_write_b32 v112, v22 offset:1056
.LBB1841_90:                            ;   in Loop: Header=BB1841_64 Depth=2
	s_or_b32 exec_lo, exec_lo, s20
	v_cmp_lt_i16_e32 vcc_lo, -1, v26
	; wave barrier
	v_cndmask_b32_e64 v22, -1, 0xffff8000, vcc_lo
	v_xor_b32_e32 v110, v22, v26
	v_cmp_ne_u16_e32 vcc_lo, 0x7fff, v110
	v_cndmask_b32_e32 v22, 0xffff8000, v110, vcc_lo
	v_lshrrev_b32_sdwa v22, s42, v22 dst_sel:DWORD dst_unused:UNUSED_PAD src0_sel:DWORD src1_sel:WORD_0
	v_and_b32_e32 v26, s43, v22
	v_and_b32_e32 v22, 1, v26
	v_lshlrev_b32_e32 v27, 30, v26
	v_lshlrev_b32_e32 v28, 29, v26
	;; [unrolled: 1-line block ×4, first 2 shown]
	v_add_co_u32 v22, s20, v22, -1
	v_cndmask_b32_e64 v114, 0, 1, s20
	v_not_b32_e32 v118, v27
	v_cmp_gt_i32_e64 s20, 0, v27
	v_not_b32_e32 v27, v28
	v_lshlrev_b32_e32 v116, 26, v26
	v_cmp_ne_u32_e32 vcc_lo, 0, v114
	v_ashrrev_i32_e32 v118, 31, v118
	v_lshlrev_b32_e32 v117, 25, v26
	v_ashrrev_i32_e32 v27, 31, v27
	v_lshlrev_b32_e32 v114, 24, v26
	v_xor_b32_e32 v22, vcc_lo, v22
	v_cmp_gt_i32_e32 vcc_lo, 0, v28
	v_not_b32_e32 v28, v113
	v_xor_b32_e32 v118, s20, v118
	v_cmp_gt_i32_e64 s20, 0, v113
	v_and_b32_e32 v22, exec_lo, v22
	v_not_b32_e32 v113, v115
	v_ashrrev_i32_e32 v28, 31, v28
	v_xor_b32_e32 v27, vcc_lo, v27
	v_cmp_gt_i32_e32 vcc_lo, 0, v115
	v_and_b32_e32 v22, v22, v118
	v_not_b32_e32 v115, v116
	v_ashrrev_i32_e32 v113, 31, v113
	v_xor_b32_e32 v28, s20, v28
	v_cmp_gt_i32_e64 s20, 0, v116
	v_and_b32_e32 v22, v22, v27
	v_not_b32_e32 v27, v117
	v_ashrrev_i32_e32 v115, 31, v115
	v_xor_b32_e32 v113, vcc_lo, v113
	v_cmp_gt_i32_e32 vcc_lo, 0, v117
	v_and_b32_e32 v22, v22, v28
	v_not_b32_e32 v28, v114
	v_ashrrev_i32_e32 v27, 31, v27
	v_xor_b32_e32 v115, s20, v115
	v_cmp_gt_i32_e64 s20, 0, v114
	v_and_b32_e32 v22, v22, v113
	v_ashrrev_i32_e32 v28, 31, v28
	v_xor_b32_e32 v27, vcc_lo, v27
	v_mad_u32_u24 v113, v26, 36, v92
	v_mul_u32_u24_e32 v26, 36, v26
	v_and_b32_e32 v22, v22, v115
	v_xor_b32_e32 v28, s20, v28
	ds_read_b32 v113, v113 offset:1056
	v_add_nc_u32_e32 v116, v92, v26
	v_and_b32_e32 v22, v22, v27
	; wave barrier
	v_and_b32_e32 v22, v22, v28
	v_mbcnt_lo_u32_b32 v115, v22, 0
	v_cmp_ne_u32_e64 s20, 0, v22
	v_cmp_eq_u32_e32 vcc_lo, 0, v115
	s_and_b32 s21, s20, vcc_lo
	s_and_saveexec_b32 s20, s21
	s_cbranch_execz .LBB1841_92
; %bb.91:                               ;   in Loop: Header=BB1841_64 Depth=2
	s_waitcnt lgkmcnt(0)
	v_bcnt_u32_b32 v22, v22, v113
	ds_write_b32 v116, v22 offset:1056
.LBB1841_92:                            ;   in Loop: Header=BB1841_64 Depth=2
	s_or_b32 exec_lo, exec_lo, s20
	v_cmp_lt_i16_e32 vcc_lo, -1, v25
	; wave barrier
	v_cndmask_b32_e64 v22, -1, 0xffff8000, vcc_lo
	v_xor_b32_e32 v114, v22, v25
	v_cmp_ne_u16_e32 vcc_lo, 0x7fff, v114
	v_cndmask_b32_e32 v22, 0xffff8000, v114, vcc_lo
	v_lshrrev_b32_sdwa v22, s42, v22 dst_sel:DWORD dst_unused:UNUSED_PAD src0_sel:DWORD src1_sel:WORD_0
	v_and_b32_e32 v25, s43, v22
	v_and_b32_e32 v22, 1, v25
	v_lshlrev_b32_e32 v26, 30, v25
	v_lshlrev_b32_e32 v27, 29, v25
	;; [unrolled: 1-line block ×4, first 2 shown]
	v_add_co_u32 v22, s20, v22, -1
	v_cndmask_b32_e64 v117, 0, 1, s20
	v_not_b32_e32 v121, v26
	v_cmp_gt_i32_e64 s20, 0, v26
	v_not_b32_e32 v26, v27
	v_lshlrev_b32_e32 v119, 26, v25
	v_cmp_ne_u32_e32 vcc_lo, 0, v117
	v_ashrrev_i32_e32 v121, 31, v121
	v_lshlrev_b32_e32 v120, 25, v25
	v_ashrrev_i32_e32 v26, 31, v26
	v_lshlrev_b32_e32 v117, 24, v25
	v_xor_b32_e32 v22, vcc_lo, v22
	v_cmp_gt_i32_e32 vcc_lo, 0, v27
	v_not_b32_e32 v27, v28
	v_xor_b32_e32 v121, s20, v121
	v_cmp_gt_i32_e64 s20, 0, v28
	v_and_b32_e32 v22, exec_lo, v22
	v_not_b32_e32 v28, v118
	v_ashrrev_i32_e32 v27, 31, v27
	v_xor_b32_e32 v26, vcc_lo, v26
	v_cmp_gt_i32_e32 vcc_lo, 0, v118
	v_and_b32_e32 v22, v22, v121
	v_not_b32_e32 v118, v119
	v_ashrrev_i32_e32 v28, 31, v28
	v_xor_b32_e32 v27, s20, v27
	v_cmp_gt_i32_e64 s20, 0, v119
	v_and_b32_e32 v22, v22, v26
	v_not_b32_e32 v26, v120
	v_ashrrev_i32_e32 v118, 31, v118
	v_xor_b32_e32 v28, vcc_lo, v28
	v_cmp_gt_i32_e32 vcc_lo, 0, v120
	v_and_b32_e32 v22, v22, v27
	v_not_b32_e32 v27, v117
	v_ashrrev_i32_e32 v26, 31, v26
	v_xor_b32_e32 v118, s20, v118
	v_cmp_gt_i32_e64 s20, 0, v117
	v_and_b32_e32 v22, v22, v28
	v_ashrrev_i32_e32 v27, 31, v27
	v_xor_b32_e32 v26, vcc_lo, v26
	v_mad_u32_u24 v28, v25, 36, v92
	v_mul_u32_u24_e32 v25, 36, v25
	v_and_b32_e32 v22, v22, v118
	v_xor_b32_e32 v27, s20, v27
	ds_read_b32 v117, v28 offset:1056
	v_add_nc_u32_e32 v120, v92, v25
	v_and_b32_e32 v22, v22, v26
	; wave barrier
	v_and_b32_e32 v22, v22, v27
	v_mbcnt_lo_u32_b32 v119, v22, 0
	v_cmp_ne_u32_e64 s20, 0, v22
	v_cmp_eq_u32_e32 vcc_lo, 0, v119
	s_and_b32 s21, s20, vcc_lo
	s_and_saveexec_b32 s20, s21
	s_cbranch_execz .LBB1841_94
; %bb.93:                               ;   in Loop: Header=BB1841_64 Depth=2
	s_waitcnt lgkmcnt(0)
	v_bcnt_u32_b32 v22, v22, v117
	ds_write_b32 v120, v22 offset:1056
.LBB1841_94:                            ;   in Loop: Header=BB1841_64 Depth=2
	s_or_b32 exec_lo, exec_lo, s20
	v_cmp_lt_i16_e32 vcc_lo, -1, v24
	; wave barrier
	v_cndmask_b32_e64 v22, -1, 0xffff8000, vcc_lo
	v_xor_b32_e32 v118, v22, v24
	v_cmp_ne_u16_e32 vcc_lo, 0x7fff, v118
	v_cndmask_b32_e32 v22, 0xffff8000, v118, vcc_lo
	v_lshrrev_b32_sdwa v22, s42, v22 dst_sel:DWORD dst_unused:UNUSED_PAD src0_sel:DWORD src1_sel:WORD_0
	v_and_b32_e32 v24, s43, v22
	v_and_b32_e32 v22, 1, v24
	v_lshlrev_b32_e32 v25, 30, v24
	v_lshlrev_b32_e32 v26, 29, v24
	v_lshlrev_b32_e32 v27, 28, v24
	v_lshlrev_b32_e32 v121, 27, v24
	v_add_co_u32 v22, s20, v22, -1
	v_cndmask_b32_e64 v28, 0, 1, s20
	v_not_b32_e32 v124, v25
	v_cmp_gt_i32_e64 s20, 0, v25
	v_not_b32_e32 v25, v26
	v_lshlrev_b32_e32 v122, 26, v24
	v_cmp_ne_u32_e32 vcc_lo, 0, v28
	v_ashrrev_i32_e32 v124, 31, v124
	v_lshlrev_b32_e32 v123, 25, v24
	v_ashrrev_i32_e32 v25, 31, v25
	v_lshlrev_b32_e32 v28, 24, v24
	v_xor_b32_e32 v22, vcc_lo, v22
	v_cmp_gt_i32_e32 vcc_lo, 0, v26
	v_not_b32_e32 v26, v27
	v_xor_b32_e32 v124, s20, v124
	v_cmp_gt_i32_e64 s20, 0, v27
	v_and_b32_e32 v22, exec_lo, v22
	v_not_b32_e32 v27, v121
	v_ashrrev_i32_e32 v26, 31, v26
	v_xor_b32_e32 v25, vcc_lo, v25
	v_cmp_gt_i32_e32 vcc_lo, 0, v121
	v_and_b32_e32 v22, v22, v124
	v_not_b32_e32 v121, v122
	v_ashrrev_i32_e32 v27, 31, v27
	v_xor_b32_e32 v26, s20, v26
	v_cmp_gt_i32_e64 s20, 0, v122
	v_and_b32_e32 v22, v22, v25
	v_not_b32_e32 v25, v123
	v_ashrrev_i32_e32 v121, 31, v121
	v_xor_b32_e32 v27, vcc_lo, v27
	v_cmp_gt_i32_e32 vcc_lo, 0, v123
	v_and_b32_e32 v22, v22, v26
	v_not_b32_e32 v26, v28
	v_ashrrev_i32_e32 v25, 31, v25
	v_xor_b32_e32 v121, s20, v121
	v_cmp_gt_i32_e64 s20, 0, v28
	v_and_b32_e32 v22, v22, v27
	v_ashrrev_i32_e32 v26, 31, v26
	v_xor_b32_e32 v25, vcc_lo, v25
	v_mad_u32_u24 v27, v24, 36, v92
	v_mul_u32_u24_e32 v24, 36, v24
	v_and_b32_e32 v22, v22, v121
	v_xor_b32_e32 v26, s20, v26
	ds_read_b32 v121, v27 offset:1056
	v_add_nc_u32_e32 v124, v92, v24
	v_and_b32_e32 v22, v22, v25
	; wave barrier
	v_and_b32_e32 v22, v22, v26
	v_mbcnt_lo_u32_b32 v123, v22, 0
	v_cmp_ne_u32_e64 s20, 0, v22
	v_cmp_eq_u32_e32 vcc_lo, 0, v123
	s_and_b32 s21, s20, vcc_lo
	s_and_saveexec_b32 s20, s21
	s_cbranch_execz .LBB1841_96
; %bb.95:                               ;   in Loop: Header=BB1841_64 Depth=2
	s_waitcnt lgkmcnt(0)
	v_bcnt_u32_b32 v22, v22, v121
	ds_write_b32 v124, v22 offset:1056
.LBB1841_96:                            ;   in Loop: Header=BB1841_64 Depth=2
	s_or_b32 exec_lo, exec_lo, s20
	v_cmp_lt_i16_e32 vcc_lo, -1, v23
	; wave barrier
	v_cndmask_b32_e64 v22, -1, 0xffff8000, vcc_lo
	v_xor_b32_e32 v122, v22, v23
	v_cmp_ne_u16_e32 vcc_lo, 0x7fff, v122
	v_cndmask_b32_e32 v22, 0xffff8000, v122, vcc_lo
	v_lshrrev_b32_sdwa v22, s42, v22 dst_sel:DWORD dst_unused:UNUSED_PAD src0_sel:DWORD src1_sel:WORD_0
	v_and_b32_e32 v23, s43, v22
	v_and_b32_e32 v22, 1, v23
	v_lshlrev_b32_e32 v24, 30, v23
	v_lshlrev_b32_e32 v25, 29, v23
	v_lshlrev_b32_e32 v26, 28, v23
	v_lshlrev_b32_e32 v28, 27, v23
	v_add_co_u32 v22, s20, v22, -1
	v_cndmask_b32_e64 v27, 0, 1, s20
	v_not_b32_e32 v127, v24
	v_cmp_gt_i32_e64 s20, 0, v24
	v_not_b32_e32 v24, v25
	v_lshlrev_b32_e32 v125, 26, v23
	v_cmp_ne_u32_e32 vcc_lo, 0, v27
	v_ashrrev_i32_e32 v127, 31, v127
	v_lshlrev_b32_e32 v126, 25, v23
	v_ashrrev_i32_e32 v24, 31, v24
	v_lshlrev_b32_e32 v27, 24, v23
	v_xor_b32_e32 v22, vcc_lo, v22
	v_cmp_gt_i32_e32 vcc_lo, 0, v25
	v_not_b32_e32 v25, v26
	v_xor_b32_e32 v127, s20, v127
	v_cmp_gt_i32_e64 s20, 0, v26
	v_and_b32_e32 v22, exec_lo, v22
	v_not_b32_e32 v26, v28
	v_ashrrev_i32_e32 v25, 31, v25
	v_xor_b32_e32 v24, vcc_lo, v24
	v_cmp_gt_i32_e32 vcc_lo, 0, v28
	v_and_b32_e32 v22, v22, v127
	v_not_b32_e32 v28, v125
	v_ashrrev_i32_e32 v26, 31, v26
	v_xor_b32_e32 v25, s20, v25
	v_cmp_gt_i32_e64 s20, 0, v125
	v_and_b32_e32 v22, v22, v24
	v_not_b32_e32 v24, v126
	v_ashrrev_i32_e32 v28, 31, v28
	v_xor_b32_e32 v26, vcc_lo, v26
	v_cmp_gt_i32_e32 vcc_lo, 0, v126
	v_and_b32_e32 v22, v22, v25
	v_not_b32_e32 v25, v27
	v_ashrrev_i32_e32 v24, 31, v24
	v_xor_b32_e32 v28, s20, v28
	v_cmp_gt_i32_e64 s20, 0, v27
	v_and_b32_e32 v22, v22, v26
	v_ashrrev_i32_e32 v25, 31, v25
	v_xor_b32_e32 v24, vcc_lo, v24
	v_mad_u32_u24 v26, v23, 36, v92
	v_mul_u32_u24_e32 v23, 36, v23
	v_and_b32_e32 v22, v22, v28
	v_xor_b32_e32 v25, s20, v25
	ds_read_b32 v125, v26 offset:1056
	v_add_nc_u32_e32 v128, v92, v23
	v_and_b32_e32 v22, v22, v24
	; wave barrier
	v_and_b32_e32 v22, v22, v25
	v_mbcnt_lo_u32_b32 v127, v22, 0
	v_cmp_ne_u32_e64 s20, 0, v22
	v_cmp_eq_u32_e32 vcc_lo, 0, v127
	s_and_b32 s21, s20, vcc_lo
	s_and_saveexec_b32 s20, s21
	s_cbranch_execz .LBB1841_98
; %bb.97:                               ;   in Loop: Header=BB1841_64 Depth=2
	s_waitcnt lgkmcnt(0)
	v_bcnt_u32_b32 v22, v22, v125
	ds_write_b32 v128, v22 offset:1056
.LBB1841_98:                            ;   in Loop: Header=BB1841_64 Depth=2
	s_or_b32 exec_lo, exec_lo, s20
	v_cmp_lt_i16_e32 vcc_lo, -1, v21
	; wave barrier
	v_cndmask_b32_e64 v22, -1, 0xffff8000, vcc_lo
	v_xor_b32_e32 v126, v22, v21
	v_cmp_ne_u16_e32 vcc_lo, 0x7fff, v126
	v_cndmask_b32_e32 v21, 0xffff8000, v126, vcc_lo
	v_lshrrev_b32_sdwa v21, s42, v21 dst_sel:DWORD dst_unused:UNUSED_PAD src0_sel:DWORD src1_sel:WORD_0
	v_and_b32_e32 v22, s43, v21
	v_and_b32_e32 v21, 1, v22
	v_lshlrev_b32_e32 v23, 30, v22
	v_lshlrev_b32_e32 v24, 29, v22
	;; [unrolled: 1-line block ×4, first 2 shown]
	v_add_co_u32 v21, s20, v21, -1
	v_cndmask_b32_e64 v26, 0, 1, s20
	v_not_b32_e32 v130, v23
	v_cmp_gt_i32_e64 s20, 0, v23
	v_not_b32_e32 v23, v24
	v_lshlrev_b32_e32 v28, 26, v22
	v_cmp_ne_u32_e32 vcc_lo, 0, v26
	v_ashrrev_i32_e32 v130, 31, v130
	v_lshlrev_b32_e32 v129, 25, v22
	v_ashrrev_i32_e32 v23, 31, v23
	v_lshlrev_b32_e32 v26, 24, v22
	v_xor_b32_e32 v21, vcc_lo, v21
	v_cmp_gt_i32_e32 vcc_lo, 0, v24
	v_not_b32_e32 v24, v25
	v_xor_b32_e32 v130, s20, v130
	v_cmp_gt_i32_e64 s20, 0, v25
	v_and_b32_e32 v21, exec_lo, v21
	v_not_b32_e32 v25, v27
	v_ashrrev_i32_e32 v24, 31, v24
	v_xor_b32_e32 v23, vcc_lo, v23
	v_cmp_gt_i32_e32 vcc_lo, 0, v27
	v_and_b32_e32 v21, v21, v130
	v_not_b32_e32 v27, v28
	v_ashrrev_i32_e32 v25, 31, v25
	v_xor_b32_e32 v24, s20, v24
	v_cmp_gt_i32_e64 s20, 0, v28
	v_and_b32_e32 v21, v21, v23
	v_not_b32_e32 v23, v129
	v_ashrrev_i32_e32 v27, 31, v27
	v_xor_b32_e32 v25, vcc_lo, v25
	v_cmp_gt_i32_e32 vcc_lo, 0, v129
	v_and_b32_e32 v21, v21, v24
	v_not_b32_e32 v24, v26
	v_ashrrev_i32_e32 v23, 31, v23
	v_xor_b32_e32 v27, s20, v27
	v_cmp_gt_i32_e64 s20, 0, v26
	v_and_b32_e32 v21, v21, v25
	v_ashrrev_i32_e32 v24, 31, v24
	v_xor_b32_e32 v23, vcc_lo, v23
	v_mad_u32_u24 v25, v22, 36, v92
	v_mul_u32_u24_e32 v22, 36, v22
	v_and_b32_e32 v21, v21, v27
	v_xor_b32_e32 v24, s20, v24
	ds_read_b32 v129, v25 offset:1056
	v_add_nc_u32_e32 v131, v92, v22
	v_and_b32_e32 v21, v21, v23
	; wave barrier
	v_and_b32_e32 v21, v21, v24
	v_mbcnt_lo_u32_b32 v130, v21, 0
	v_cmp_ne_u32_e64 s20, 0, v21
	v_cmp_eq_u32_e32 vcc_lo, 0, v130
	s_and_b32 s21, s20, vcc_lo
	s_and_saveexec_b32 s20, s21
	s_cbranch_execz .LBB1841_100
; %bb.99:                               ;   in Loop: Header=BB1841_64 Depth=2
	s_waitcnt lgkmcnt(0)
	v_bcnt_u32_b32 v21, v21, v129
	ds_write_b32 v131, v21 offset:1056
.LBB1841_100:                           ;   in Loop: Header=BB1841_64 Depth=2
	s_or_b32 exec_lo, exec_lo, s20
	; wave barrier
	s_waitcnt lgkmcnt(0)
	s_barrier
	buffer_gl0_inv
	ds_read2_b32 v[27:28], v78 offset1:1
	ds_read2_b32 v[25:26], v88 offset1:1
	;; [unrolled: 1-line block ×4, first 2 shown]
	ds_read_b32 v132, v44 offset:1088
	s_waitcnt lgkmcnt(3)
	v_add3_u32 v133, v28, v27, v25
	s_waitcnt lgkmcnt(2)
	v_add3_u32 v133, v133, v26, v23
	;; [unrolled: 2-line block ×4, first 2 shown]
	v_mov_b32_dpp v133, v132 row_shr:1 row_mask:0xf bank_mask:0xf
	v_cndmask_b32_e64 v133, v133, 0, s5
	v_add_nc_u32_e32 v132, v133, v132
	v_mov_b32_dpp v133, v132 row_shr:2 row_mask:0xf bank_mask:0xf
	v_cndmask_b32_e64 v133, 0, v133, s13
	v_add_nc_u32_e32 v132, v132, v133
	;; [unrolled: 3-line block ×4, first 2 shown]
	ds_swizzle_b32 v133, v132 offset:swizzle(BROADCAST,32,15)
	s_waitcnt lgkmcnt(0)
	v_cndmask_b32_e64 v133, v133, 0, s16
	v_add_nc_u32_e32 v132, v132, v133
	s_and_saveexec_b32 s20, s8
; %bb.101:                              ;   in Loop: Header=BB1841_64 Depth=2
	ds_write_b32 v39, v132 offset:1024
; %bb.102:                              ;   in Loop: Header=BB1841_64 Depth=2
	s_or_b32 exec_lo, exec_lo, s20
	s_waitcnt lgkmcnt(0)
	s_barrier
	buffer_gl0_inv
	s_and_saveexec_b32 s20, s9
	s_cbranch_execz .LBB1841_104
; %bb.103:                              ;   in Loop: Header=BB1841_64 Depth=2
	ds_read_b32 v133, v46 offset:1024
	s_waitcnt lgkmcnt(0)
	v_mov_b32_dpp v134, v133 row_shr:1 row_mask:0xf bank_mask:0xf
	v_cndmask_b32_e64 v134, v134, 0, s17
	v_add_nc_u32_e32 v133, v134, v133
	v_mov_b32_dpp v134, v133 row_shr:2 row_mask:0xf bank_mask:0xf
	v_cndmask_b32_e64 v134, 0, v134, s18
	v_add_nc_u32_e32 v133, v133, v134
	;; [unrolled: 3-line block ×3, first 2 shown]
	ds_write_b32 v46, v133 offset:1024
.LBB1841_104:                           ;   in Loop: Header=BB1841_64 Depth=2
	s_or_b32 exec_lo, exec_lo, s20
	v_mov_b32_e32 v133, 0
	s_waitcnt lgkmcnt(0)
	s_barrier
	buffer_gl0_inv
	s_and_saveexec_b32 s20, s10
; %bb.105:                              ;   in Loop: Header=BB1841_64 Depth=2
	ds_read_b32 v133, v39 offset:1020
; %bb.106:                              ;   in Loop: Header=BB1841_64 Depth=2
	s_or_b32 exec_lo, exec_lo, s20
	s_waitcnt lgkmcnt(0)
	v_add_nc_u32_e32 v132, v133, v132
	ds_bpermute_b32 v132, v91, v132
	s_waitcnt lgkmcnt(0)
	v_cndmask_b32_e64 v132, v132, v133, s12
	v_cndmask_b32_e64 v132, v132, 0, s4
	v_add_nc_u32_e32 v27, v132, v27
	v_add_nc_u32_e32 v28, v27, v28
	;; [unrolled: 1-line block ×8, first 2 shown]
	ds_write2_b32 v78, v132, v27 offset1:1
	ds_write2_b32 v88, v28, v25 offset1:1
	;; [unrolled: 1-line block ×4, first 2 shown]
	ds_write_b32 v44, v22 offset:1088
	s_waitcnt lgkmcnt(0)
	s_barrier
	buffer_gl0_inv
	ds_read_b32 v24, v104 offset:1056
	ds_read_b32 v25, v108 offset:1056
	;; [unrolled: 1-line block ×9, first 2 shown]
	v_mov_b32_e32 v23, 0x800
	s_and_saveexec_b32 s20, s11
; %bb.107:                              ;   in Loop: Header=BB1841_64 Depth=2
	ds_read_b32 v23, v44 offset:1092
; %bb.108:                              ;   in Loop: Header=BB1841_64 Depth=2
	s_or_b32 exec_lo, exec_lo, s20
	s_waitcnt lgkmcnt(0)
	s_barrier
	buffer_gl0_inv
	s_and_saveexec_b32 s20, s7
	s_cbranch_execz .LBB1841_110
; %bb.109:                              ;   in Loop: Header=BB1841_64 Depth=2
	ds_read_b32 v108, v29
	s_waitcnt lgkmcnt(0)
	v_sub_nc_u32_e32 v104, v108, v104
	ds_write_b32 v29, v104
.LBB1841_110:                           ;   in Loop: Header=BB1841_64 Depth=2
	s_or_b32 exec_lo, exec_lo, s20
	v_add_nc_u32_e32 v108, v24, v102
	v_add3_u32 v104, v106, v105, v25
	v_add3_u32 v102, v111, v109, v26
	v_add3_u32 v26, v115, v113, v27
	v_add3_u32 v25, v119, v117, v28
	v_lshlrev_b32_e32 v105, 1, v108
	v_lshlrev_b32_e32 v106, 1, v104
	v_add3_u32 v27, v127, v125, v22
	v_lshlrev_b32_e32 v22, 1, v102
	v_add3_u32 v28, v130, v129, v21
	ds_write_b16 v105, v3 offset:1024
	ds_write_b16 v106, v103 offset:1024
	v_lshlrev_b32_e32 v3, 1, v26
	v_add3_u32 v24, v123, v121, v112
	ds_write_b16 v22, v107 offset:1024
	v_lshlrev_b32_e32 v21, 1, v25
	v_cmp_lt_u32_e32 vcc_lo, v0, v101
	ds_write_b16 v3, v110 offset:1024
	v_lshlrev_b32_e32 v3, 1, v28
	v_lshlrev_b32_e32 v22, 1, v24
	;; [unrolled: 1-line block ×3, first 2 shown]
	ds_write_b16 v21, v114 offset:1024
	ds_write_b16 v22, v118 offset:1024
	;; [unrolled: 1-line block ×4, first 2 shown]
	s_waitcnt lgkmcnt(0)
	s_barrier
	buffer_gl0_inv
	s_and_saveexec_b32 s21, vcc_lo
	s_cbranch_execnz .LBB1841_147
; %bb.111:                              ;   in Loop: Header=BB1841_64 Depth=2
	s_or_b32 exec_lo, exec_lo, s21
	v_cmp_lt_u32_e64 s20, v30, v101
	s_and_saveexec_b32 s22, s20
	s_cbranch_execnz .LBB1841_148
.LBB1841_112:                           ;   in Loop: Header=BB1841_64 Depth=2
	s_or_b32 exec_lo, exec_lo, s22
	v_cmp_lt_u32_e64 s21, v31, v101
	s_and_saveexec_b32 s23, s21
	s_cbranch_execnz .LBB1841_149
.LBB1841_113:                           ;   in Loop: Header=BB1841_64 Depth=2
	s_or_b32 exec_lo, exec_lo, s23
	v_cmp_lt_u32_e64 s22, v32, v101
	s_and_saveexec_b32 s24, s22
	s_cbranch_execnz .LBB1841_150
.LBB1841_114:                           ;   in Loop: Header=BB1841_64 Depth=2
	s_or_b32 exec_lo, exec_lo, s24
	v_cmp_lt_u32_e64 s23, v35, v101
	s_and_saveexec_b32 s25, s23
	s_cbranch_execnz .LBB1841_151
.LBB1841_115:                           ;   in Loop: Header=BB1841_64 Depth=2
	s_or_b32 exec_lo, exec_lo, s25
	v_cmp_lt_u32_e64 s24, v36, v101
	s_and_saveexec_b32 s26, s24
	s_cbranch_execnz .LBB1841_152
.LBB1841_116:                           ;   in Loop: Header=BB1841_64 Depth=2
	s_or_b32 exec_lo, exec_lo, s26
	v_cmp_lt_u32_e64 s25, v37, v101
	s_and_saveexec_b32 s28, s25
	s_cbranch_execnz .LBB1841_153
.LBB1841_117:                           ;   in Loop: Header=BB1841_64 Depth=2
	s_or_b32 exec_lo, exec_lo, s28
	v_cmp_lt_u32_e64 s26, v38, v101
	s_and_saveexec_b32 s54, s26
	s_cbranch_execz .LBB1841_119
.LBB1841_118:                           ;   in Loop: Header=BB1841_64 Depth=2
	ds_read_u16 v103, v47 offset:4608
	s_waitcnt lgkmcnt(0)
	v_cmp_ne_u16_e64 s28, 0x7fff, v103
	v_cndmask_b32_e64 v3, 0xffff8000, v103, s28
	v_cmp_lt_i16_e64 s28, -1, v103
	v_lshrrev_b32_sdwa v3, s42, v3 dst_sel:DWORD dst_unused:UNUSED_PAD src0_sel:DWORD src1_sel:WORD_0
	v_cndmask_b32_e64 v105, 0xffff8000, -1, s28
	v_and_b32_e32 v3, s43, v3
	v_lshlrev_b32_e32 v3, 2, v3
	ds_read_b32 v3, v3
	s_waitcnt lgkmcnt(0)
	v_add_nc_u32_e32 v3, v3, v38
	v_lshlrev_b64 v[21:22], 1, v[3:4]
	v_xor_b32_e32 v3, v105, v103
	v_add_co_u32 v21, s28, s38, v21
	v_add_co_ci_u32_e64 v22, null, s39, v22, s28
	global_store_short v[21:22], v3, off
.LBB1841_119:                           ;   in Loop: Header=BB1841_64 Depth=2
	s_or_b32 exec_lo, exec_lo, s54
	s_lshl_b64 s[54:55], s[34:35], 3
	v_add_co_u32 v21, s28, v83, s54
	v_add_co_ci_u32_e64 v22, null, s55, v84, s28
	v_cmp_lt_u32_e64 s28, v66, v101
	s_and_saveexec_b32 s34, s28
	s_xor_b32 s28, exec_lo, s34
	s_cbranch_execnz .LBB1841_154
; %bb.120:                              ;   in Loop: Header=BB1841_64 Depth=2
	s_or_b32 exec_lo, exec_lo, s28
	s_mov_b32 s34, exec_lo
	v_cmpx_lt_u32_e64 v70, v101
	s_cbranch_execnz .LBB1841_155
.LBB1841_121:                           ;   in Loop: Header=BB1841_64 Depth=2
	s_or_b32 exec_lo, exec_lo, s34
	s_mov_b32 s34, exec_lo
	v_cmpx_lt_u32_e64 v71, v101
	s_cbranch_execnz .LBB1841_156
.LBB1841_122:                           ;   in Loop: Header=BB1841_64 Depth=2
	s_or_b32 exec_lo, exec_lo, s34
	s_mov_b32 s34, exec_lo
	v_cmpx_lt_u32_e64 v72, v101
	s_cbranch_execnz .LBB1841_157
.LBB1841_123:                           ;   in Loop: Header=BB1841_64 Depth=2
	s_or_b32 exec_lo, exec_lo, s34
	s_mov_b32 s34, exec_lo
	v_cmpx_lt_u32_e64 v73, v101
	s_cbranch_execnz .LBB1841_158
.LBB1841_124:                           ;   in Loop: Header=BB1841_64 Depth=2
	s_or_b32 exec_lo, exec_lo, s34
	s_mov_b32 s34, exec_lo
	v_cmpx_lt_u32_e64 v74, v101
	s_cbranch_execnz .LBB1841_159
.LBB1841_125:                           ;   in Loop: Header=BB1841_64 Depth=2
	s_or_b32 exec_lo, exec_lo, s34
	s_mov_b32 s34, exec_lo
	v_cmpx_lt_u32_e64 v75, v101
	s_cbranch_execnz .LBB1841_160
.LBB1841_126:                           ;   in Loop: Header=BB1841_64 Depth=2
	s_or_b32 exec_lo, exec_lo, s34
	s_mov_b32 s34, exec_lo
	v_cmpx_lt_u32_e64 v76, v101
	s_cbranch_execnz .LBB1841_161
.LBB1841_127:                           ;   in Loop: Header=BB1841_64 Depth=2
	s_or_b32 exec_lo, exec_lo, s34
	s_and_saveexec_b32 s34, vcc_lo
	s_cbranch_execnz .LBB1841_162
.LBB1841_128:                           ;   in Loop: Header=BB1841_64 Depth=2
	s_or_b32 exec_lo, exec_lo, s34
	s_and_saveexec_b32 s34, s20
	s_cbranch_execnz .LBB1841_163
.LBB1841_129:                           ;   in Loop: Header=BB1841_64 Depth=2
	s_or_b32 exec_lo, exec_lo, s34
	s_and_saveexec_b32 s34, s21
	s_cbranch_execnz .LBB1841_164
.LBB1841_130:                           ;   in Loop: Header=BB1841_64 Depth=2
	s_or_b32 exec_lo, exec_lo, s34
	s_and_saveexec_b32 s34, s22
	s_cbranch_execnz .LBB1841_165
.LBB1841_131:                           ;   in Loop: Header=BB1841_64 Depth=2
	s_or_b32 exec_lo, exec_lo, s34
	s_and_saveexec_b32 s34, s23
	s_cbranch_execnz .LBB1841_166
.LBB1841_132:                           ;   in Loop: Header=BB1841_64 Depth=2
	s_or_b32 exec_lo, exec_lo, s34
	s_and_saveexec_b32 s34, s24
	s_cbranch_execnz .LBB1841_167
.LBB1841_133:                           ;   in Loop: Header=BB1841_64 Depth=2
	s_or_b32 exec_lo, exec_lo, s34
	s_and_saveexec_b32 s34, s25
	s_cbranch_execnz .LBB1841_168
.LBB1841_134:                           ;   in Loop: Header=BB1841_64 Depth=2
	s_or_b32 exec_lo, exec_lo, s34
	s_and_saveexec_b32 s34, s26
	s_cbranch_execz .LBB1841_136
.LBB1841_135:                           ;   in Loop: Header=BB1841_64 Depth=2
	ds_read_u16 v3, v47 offset:4608
	s_waitcnt lgkmcnt(0)
	v_cmp_ne_u16_e64 s28, 0x7fff, v3
	v_cndmask_b32_e64 v3, 0xffff8000, v3, s28
	v_lshrrev_b32_sdwa v3, s42, v3 dst_sel:DWORD dst_unused:UNUSED_PAD src0_sel:DWORD src1_sel:WORD_0
	v_and_b32_e32 v93, s43, v3
.LBB1841_136:                           ;   in Loop: Header=BB1841_64 Depth=2
	s_or_b32 exec_lo, exec_lo, s34
	v_lshlrev_b32_e32 v3, 3, v108
	v_lshlrev_b32_e32 v21, 3, v104
	;; [unrolled: 1-line block ×3, first 2 shown]
	s_waitcnt vmcnt(0)
	s_waitcnt_vscnt null, 0x0
	s_barrier
	buffer_gl0_inv
	ds_write_b64 v3, v[19:20] offset:1024
	ds_write_b64 v21, v[17:18] offset:1024
	;; [unrolled: 1-line block ×3, first 2 shown]
	v_lshlrev_b32_e32 v3, 3, v26
	v_lshlrev_b32_e32 v21, 3, v25
	;; [unrolled: 1-line block ×5, first 2 shown]
	ds_write_b64 v3, v[13:14] offset:1024
	ds_write_b64 v21, v[11:12] offset:1024
	;; [unrolled: 1-line block ×5, first 2 shown]
	s_waitcnt lgkmcnt(0)
	s_barrier
	buffer_gl0_inv
	s_and_saveexec_b32 s28, vcc_lo
	s_cbranch_execnz .LBB1841_169
; %bb.137:                              ;   in Loop: Header=BB1841_64 Depth=2
	s_or_b32 exec_lo, exec_lo, s28
	s_and_saveexec_b32 s28, s20
	s_cbranch_execnz .LBB1841_170
.LBB1841_138:                           ;   in Loop: Header=BB1841_64 Depth=2
	s_or_b32 exec_lo, exec_lo, s28
	s_and_saveexec_b32 s20, s21
	s_cbranch_execnz .LBB1841_171
.LBB1841_139:                           ;   in Loop: Header=BB1841_64 Depth=2
	s_or_b32 exec_lo, exec_lo, s20
	s_and_saveexec_b32 s20, s22
	s_cbranch_execnz .LBB1841_172
.LBB1841_140:                           ;   in Loop: Header=BB1841_64 Depth=2
	s_or_b32 exec_lo, exec_lo, s20
	s_and_saveexec_b32 s20, s23
	s_cbranch_execnz .LBB1841_173
.LBB1841_141:                           ;   in Loop: Header=BB1841_64 Depth=2
	s_or_b32 exec_lo, exec_lo, s20
	s_and_saveexec_b32 s20, s24
	s_cbranch_execnz .LBB1841_174
.LBB1841_142:                           ;   in Loop: Header=BB1841_64 Depth=2
	s_or_b32 exec_lo, exec_lo, s20
	s_and_saveexec_b32 s20, s25
	s_cbranch_execnz .LBB1841_175
.LBB1841_143:                           ;   in Loop: Header=BB1841_64 Depth=2
	s_or_b32 exec_lo, exec_lo, s20
	s_and_saveexec_b32 s20, s26
	s_cbranch_execz .LBB1841_145
.LBB1841_144:                           ;   in Loop: Header=BB1841_64 Depth=2
	v_lshlrev_b32_e32 v3, 2, v93
	v_add_nc_u32_e32 v21, v47, v48
	ds_read_b32 v3, v3
	ds_read_b64 v[21:22], v21 offset:15360
	s_waitcnt lgkmcnt(1)
	v_add_nc_u32_e32 v3, v3, v38
	v_lshlrev_b64 v[24:25], 3, v[3:4]
	v_add_co_u32 v24, vcc_lo, s44, v24
	v_add_co_ci_u32_e64 v25, null, s45, v25, vcc_lo
	s_waitcnt lgkmcnt(0)
	global_store_dwordx2 v[24:25], v[21:22], off
.LBB1841_145:                           ;   in Loop: Header=BB1841_64 Depth=2
	s_or_b32 exec_lo, exec_lo, s20
	s_waitcnt_vscnt null, 0x0
	s_barrier
	buffer_gl0_inv
	s_and_saveexec_b32 s20, s7
	s_cbranch_execz .LBB1841_63
; %bb.146:                              ;   in Loop: Header=BB1841_64 Depth=2
	ds_read_b32 v3, v29
	s_waitcnt lgkmcnt(0)
	v_add_nc_u32_e32 v3, v3, v23
	ds_write_b32 v29, v3
	s_branch .LBB1841_63
.LBB1841_147:                           ;   in Loop: Header=BB1841_64 Depth=2
	ds_read_u16 v103, v47 offset:1024
	s_waitcnt lgkmcnt(0)
	v_cmp_ne_u16_e64 s20, 0x7fff, v103
	v_cndmask_b32_e64 v3, 0xffff8000, v103, s20
	v_cmp_lt_i16_e64 s20, -1, v103
	v_lshrrev_b32_sdwa v3, s42, v3 dst_sel:DWORD dst_unused:UNUSED_PAD src0_sel:DWORD src1_sel:WORD_0
	v_cndmask_b32_e64 v105, 0xffff8000, -1, s20
	v_and_b32_e32 v3, s43, v3
	v_lshlrev_b32_e32 v3, 2, v3
	ds_read_b32 v3, v3
	s_waitcnt lgkmcnt(0)
	v_add_nc_u32_e32 v3, v3, v0
	v_lshlrev_b64 v[21:22], 1, v[3:4]
	v_xor_b32_e32 v3, v105, v103
	v_add_co_u32 v21, s20, s38, v21
	v_add_co_ci_u32_e64 v22, null, s39, v22, s20
	global_store_short v[21:22], v3, off
	s_or_b32 exec_lo, exec_lo, s21
	v_cmp_lt_u32_e64 s20, v30, v101
	s_and_saveexec_b32 s22, s20
	s_cbranch_execz .LBB1841_112
.LBB1841_148:                           ;   in Loop: Header=BB1841_64 Depth=2
	ds_read_u16 v103, v47 offset:1536
	s_waitcnt lgkmcnt(0)
	v_cmp_ne_u16_e64 s21, 0x7fff, v103
	v_cndmask_b32_e64 v3, 0xffff8000, v103, s21
	v_cmp_lt_i16_e64 s21, -1, v103
	v_lshrrev_b32_sdwa v3, s42, v3 dst_sel:DWORD dst_unused:UNUSED_PAD src0_sel:DWORD src1_sel:WORD_0
	v_cndmask_b32_e64 v105, 0xffff8000, -1, s21
	v_and_b32_e32 v3, s43, v3
	v_lshlrev_b32_e32 v3, 2, v3
	ds_read_b32 v3, v3
	s_waitcnt lgkmcnt(0)
	v_add_nc_u32_e32 v3, v3, v30
	v_lshlrev_b64 v[21:22], 1, v[3:4]
	v_xor_b32_e32 v3, v105, v103
	v_add_co_u32 v21, s21, s38, v21
	v_add_co_ci_u32_e64 v22, null, s39, v22, s21
	global_store_short v[21:22], v3, off
	s_or_b32 exec_lo, exec_lo, s22
	v_cmp_lt_u32_e64 s21, v31, v101
	s_and_saveexec_b32 s23, s21
	s_cbranch_execz .LBB1841_113
.LBB1841_149:                           ;   in Loop: Header=BB1841_64 Depth=2
	ds_read_u16 v103, v47 offset:2048
	s_waitcnt lgkmcnt(0)
	v_cmp_ne_u16_e64 s22, 0x7fff, v103
	v_cndmask_b32_e64 v3, 0xffff8000, v103, s22
	v_cmp_lt_i16_e64 s22, -1, v103
	v_lshrrev_b32_sdwa v3, s42, v3 dst_sel:DWORD dst_unused:UNUSED_PAD src0_sel:DWORD src1_sel:WORD_0
	v_cndmask_b32_e64 v105, 0xffff8000, -1, s22
	v_and_b32_e32 v3, s43, v3
	v_lshlrev_b32_e32 v3, 2, v3
	ds_read_b32 v3, v3
	s_waitcnt lgkmcnt(0)
	v_add_nc_u32_e32 v3, v3, v31
	v_lshlrev_b64 v[21:22], 1, v[3:4]
	v_xor_b32_e32 v3, v105, v103
	v_add_co_u32 v21, s22, s38, v21
	v_add_co_ci_u32_e64 v22, null, s39, v22, s22
	global_store_short v[21:22], v3, off
	s_or_b32 exec_lo, exec_lo, s23
	v_cmp_lt_u32_e64 s22, v32, v101
	s_and_saveexec_b32 s24, s22
	s_cbranch_execz .LBB1841_114
.LBB1841_150:                           ;   in Loop: Header=BB1841_64 Depth=2
	ds_read_u16 v103, v47 offset:2560
	s_waitcnt lgkmcnt(0)
	v_cmp_ne_u16_e64 s23, 0x7fff, v103
	v_cndmask_b32_e64 v3, 0xffff8000, v103, s23
	v_cmp_lt_i16_e64 s23, -1, v103
	v_lshrrev_b32_sdwa v3, s42, v3 dst_sel:DWORD dst_unused:UNUSED_PAD src0_sel:DWORD src1_sel:WORD_0
	v_cndmask_b32_e64 v105, 0xffff8000, -1, s23
	v_and_b32_e32 v3, s43, v3
	v_lshlrev_b32_e32 v3, 2, v3
	ds_read_b32 v3, v3
	s_waitcnt lgkmcnt(0)
	v_add_nc_u32_e32 v3, v3, v32
	v_lshlrev_b64 v[21:22], 1, v[3:4]
	v_xor_b32_e32 v3, v105, v103
	v_add_co_u32 v21, s23, s38, v21
	v_add_co_ci_u32_e64 v22, null, s39, v22, s23
	global_store_short v[21:22], v3, off
	s_or_b32 exec_lo, exec_lo, s24
	v_cmp_lt_u32_e64 s23, v35, v101
	s_and_saveexec_b32 s25, s23
	s_cbranch_execz .LBB1841_115
.LBB1841_151:                           ;   in Loop: Header=BB1841_64 Depth=2
	ds_read_u16 v103, v47 offset:3072
	s_waitcnt lgkmcnt(0)
	v_cmp_ne_u16_e64 s24, 0x7fff, v103
	v_cndmask_b32_e64 v3, 0xffff8000, v103, s24
	v_cmp_lt_i16_e64 s24, -1, v103
	v_lshrrev_b32_sdwa v3, s42, v3 dst_sel:DWORD dst_unused:UNUSED_PAD src0_sel:DWORD src1_sel:WORD_0
	v_cndmask_b32_e64 v105, 0xffff8000, -1, s24
	v_and_b32_e32 v3, s43, v3
	v_lshlrev_b32_e32 v3, 2, v3
	ds_read_b32 v3, v3
	s_waitcnt lgkmcnt(0)
	v_add_nc_u32_e32 v3, v3, v35
	v_lshlrev_b64 v[21:22], 1, v[3:4]
	v_xor_b32_e32 v3, v105, v103
	v_add_co_u32 v21, s24, s38, v21
	v_add_co_ci_u32_e64 v22, null, s39, v22, s24
	global_store_short v[21:22], v3, off
	s_or_b32 exec_lo, exec_lo, s25
	v_cmp_lt_u32_e64 s24, v36, v101
	s_and_saveexec_b32 s26, s24
	s_cbranch_execz .LBB1841_116
.LBB1841_152:                           ;   in Loop: Header=BB1841_64 Depth=2
	ds_read_u16 v103, v47 offset:3584
	s_waitcnt lgkmcnt(0)
	v_cmp_ne_u16_e64 s25, 0x7fff, v103
	v_cndmask_b32_e64 v3, 0xffff8000, v103, s25
	v_cmp_lt_i16_e64 s25, -1, v103
	v_lshrrev_b32_sdwa v3, s42, v3 dst_sel:DWORD dst_unused:UNUSED_PAD src0_sel:DWORD src1_sel:WORD_0
	v_cndmask_b32_e64 v105, 0xffff8000, -1, s25
	v_and_b32_e32 v3, s43, v3
	v_lshlrev_b32_e32 v3, 2, v3
	ds_read_b32 v3, v3
	s_waitcnt lgkmcnt(0)
	v_add_nc_u32_e32 v3, v3, v36
	v_lshlrev_b64 v[21:22], 1, v[3:4]
	v_xor_b32_e32 v3, v105, v103
	v_add_co_u32 v21, s25, s38, v21
	v_add_co_ci_u32_e64 v22, null, s39, v22, s25
	global_store_short v[21:22], v3, off
	s_or_b32 exec_lo, exec_lo, s26
	v_cmp_lt_u32_e64 s25, v37, v101
	s_and_saveexec_b32 s28, s25
	s_cbranch_execz .LBB1841_117
.LBB1841_153:                           ;   in Loop: Header=BB1841_64 Depth=2
	ds_read_u16 v103, v47 offset:4096
	s_waitcnt lgkmcnt(0)
	v_cmp_ne_u16_e64 s26, 0x7fff, v103
	v_cndmask_b32_e64 v3, 0xffff8000, v103, s26
	v_cmp_lt_i16_e64 s26, -1, v103
	v_lshrrev_b32_sdwa v3, s42, v3 dst_sel:DWORD dst_unused:UNUSED_PAD src0_sel:DWORD src1_sel:WORD_0
	v_cndmask_b32_e64 v105, 0xffff8000, -1, s26
	v_and_b32_e32 v3, s43, v3
	v_lshlrev_b32_e32 v3, 2, v3
	ds_read_b32 v3, v3
	s_waitcnt lgkmcnt(0)
	v_add_nc_u32_e32 v3, v3, v37
	v_lshlrev_b64 v[21:22], 1, v[3:4]
	v_xor_b32_e32 v3, v105, v103
	v_add_co_u32 v21, s26, s38, v21
	v_add_co_ci_u32_e64 v22, null, s39, v22, s26
	global_store_short v[21:22], v3, off
	s_or_b32 exec_lo, exec_lo, s28
	v_cmp_lt_u32_e64 s26, v38, v101
	s_and_saveexec_b32 s54, s26
	s_cbranch_execnz .LBB1841_118
	s_branch .LBB1841_119
.LBB1841_154:                           ;   in Loop: Header=BB1841_64 Depth=2
	global_load_dwordx2 v[19:20], v[21:22], off
	s_or_b32 exec_lo, exec_lo, s28
	s_mov_b32 s34, exec_lo
	v_cmpx_lt_u32_e64 v70, v101
	s_cbranch_execz .LBB1841_121
.LBB1841_155:                           ;   in Loop: Header=BB1841_64 Depth=2
	global_load_dwordx2 v[17:18], v[21:22], off offset:256
	s_or_b32 exec_lo, exec_lo, s34
	s_mov_b32 s34, exec_lo
	v_cmpx_lt_u32_e64 v71, v101
	s_cbranch_execz .LBB1841_122
.LBB1841_156:                           ;   in Loop: Header=BB1841_64 Depth=2
	global_load_dwordx2 v[15:16], v[21:22], off offset:512
	s_or_b32 exec_lo, exec_lo, s34
	s_mov_b32 s34, exec_lo
	v_cmpx_lt_u32_e64 v72, v101
	s_cbranch_execz .LBB1841_123
.LBB1841_157:                           ;   in Loop: Header=BB1841_64 Depth=2
	global_load_dwordx2 v[13:14], v[21:22], off offset:768
	s_or_b32 exec_lo, exec_lo, s34
	s_mov_b32 s34, exec_lo
	v_cmpx_lt_u32_e64 v73, v101
	s_cbranch_execz .LBB1841_124
.LBB1841_158:                           ;   in Loop: Header=BB1841_64 Depth=2
	global_load_dwordx2 v[11:12], v[21:22], off offset:1024
	s_or_b32 exec_lo, exec_lo, s34
	s_mov_b32 s34, exec_lo
	v_cmpx_lt_u32_e64 v74, v101
	s_cbranch_execz .LBB1841_125
.LBB1841_159:                           ;   in Loop: Header=BB1841_64 Depth=2
	global_load_dwordx2 v[9:10], v[21:22], off offset:1280
	s_or_b32 exec_lo, exec_lo, s34
	s_mov_b32 s34, exec_lo
	v_cmpx_lt_u32_e64 v75, v101
	s_cbranch_execz .LBB1841_126
.LBB1841_160:                           ;   in Loop: Header=BB1841_64 Depth=2
	global_load_dwordx2 v[7:8], v[21:22], off offset:1536
	s_or_b32 exec_lo, exec_lo, s34
	s_mov_b32 s34, exec_lo
	v_cmpx_lt_u32_e64 v76, v101
	s_cbranch_execz .LBB1841_127
.LBB1841_161:                           ;   in Loop: Header=BB1841_64 Depth=2
	global_load_dwordx2 v[5:6], v[21:22], off offset:1792
	s_or_b32 exec_lo, exec_lo, s34
	s_and_saveexec_b32 s34, vcc_lo
	s_cbranch_execz .LBB1841_128
.LBB1841_162:                           ;   in Loop: Header=BB1841_64 Depth=2
	ds_read_u16 v3, v47 offset:1024
	s_waitcnt lgkmcnt(0)
	v_cmp_ne_u16_e64 s28, 0x7fff, v3
	v_cndmask_b32_e64 v3, 0xffff8000, v3, s28
	v_lshrrev_b32_sdwa v3, s42, v3 dst_sel:DWORD dst_unused:UNUSED_PAD src0_sel:DWORD src1_sel:WORD_0
	v_and_b32_e32 v100, s43, v3
	s_or_b32 exec_lo, exec_lo, s34
	s_and_saveexec_b32 s34, s20
	s_cbranch_execz .LBB1841_129
.LBB1841_163:                           ;   in Loop: Header=BB1841_64 Depth=2
	ds_read_u16 v3, v47 offset:1536
	s_waitcnt lgkmcnt(0)
	v_cmp_ne_u16_e64 s28, 0x7fff, v3
	v_cndmask_b32_e64 v3, 0xffff8000, v3, s28
	v_lshrrev_b32_sdwa v3, s42, v3 dst_sel:DWORD dst_unused:UNUSED_PAD src0_sel:DWORD src1_sel:WORD_0
	v_and_b32_e32 v99, s43, v3
	s_or_b32 exec_lo, exec_lo, s34
	s_and_saveexec_b32 s34, s21
	s_cbranch_execz .LBB1841_130
.LBB1841_164:                           ;   in Loop: Header=BB1841_64 Depth=2
	ds_read_u16 v3, v47 offset:2048
	s_waitcnt lgkmcnt(0)
	v_cmp_ne_u16_e64 s28, 0x7fff, v3
	v_cndmask_b32_e64 v3, 0xffff8000, v3, s28
	v_lshrrev_b32_sdwa v3, s42, v3 dst_sel:DWORD dst_unused:UNUSED_PAD src0_sel:DWORD src1_sel:WORD_0
	v_and_b32_e32 v98, s43, v3
	s_or_b32 exec_lo, exec_lo, s34
	s_and_saveexec_b32 s34, s22
	s_cbranch_execz .LBB1841_131
.LBB1841_165:                           ;   in Loop: Header=BB1841_64 Depth=2
	ds_read_u16 v3, v47 offset:2560
	s_waitcnt lgkmcnt(0)
	v_cmp_ne_u16_e64 s28, 0x7fff, v3
	v_cndmask_b32_e64 v3, 0xffff8000, v3, s28
	v_lshrrev_b32_sdwa v3, s42, v3 dst_sel:DWORD dst_unused:UNUSED_PAD src0_sel:DWORD src1_sel:WORD_0
	v_and_b32_e32 v97, s43, v3
	s_or_b32 exec_lo, exec_lo, s34
	s_and_saveexec_b32 s34, s23
	s_cbranch_execz .LBB1841_132
.LBB1841_166:                           ;   in Loop: Header=BB1841_64 Depth=2
	ds_read_u16 v3, v47 offset:3072
	s_waitcnt lgkmcnt(0)
	v_cmp_ne_u16_e64 s28, 0x7fff, v3
	v_cndmask_b32_e64 v3, 0xffff8000, v3, s28
	v_lshrrev_b32_sdwa v3, s42, v3 dst_sel:DWORD dst_unused:UNUSED_PAD src0_sel:DWORD src1_sel:WORD_0
	v_and_b32_e32 v96, s43, v3
	s_or_b32 exec_lo, exec_lo, s34
	s_and_saveexec_b32 s34, s24
	s_cbranch_execz .LBB1841_133
.LBB1841_167:                           ;   in Loop: Header=BB1841_64 Depth=2
	ds_read_u16 v3, v47 offset:3584
	s_waitcnt lgkmcnt(0)
	v_cmp_ne_u16_e64 s28, 0x7fff, v3
	v_cndmask_b32_e64 v3, 0xffff8000, v3, s28
	v_lshrrev_b32_sdwa v3, s42, v3 dst_sel:DWORD dst_unused:UNUSED_PAD src0_sel:DWORD src1_sel:WORD_0
	v_and_b32_e32 v95, s43, v3
	s_or_b32 exec_lo, exec_lo, s34
	s_and_saveexec_b32 s34, s25
	s_cbranch_execz .LBB1841_134
.LBB1841_168:                           ;   in Loop: Header=BB1841_64 Depth=2
	ds_read_u16 v3, v47 offset:4096
	s_waitcnt lgkmcnt(0)
	v_cmp_ne_u16_e64 s28, 0x7fff, v3
	v_cndmask_b32_e64 v3, 0xffff8000, v3, s28
	v_lshrrev_b32_sdwa v3, s42, v3 dst_sel:DWORD dst_unused:UNUSED_PAD src0_sel:DWORD src1_sel:WORD_0
	v_and_b32_e32 v94, s43, v3
	s_or_b32 exec_lo, exec_lo, s34
	s_and_saveexec_b32 s34, s26
	s_cbranch_execnz .LBB1841_135
	s_branch .LBB1841_136
.LBB1841_169:                           ;   in Loop: Header=BB1841_64 Depth=2
	v_lshlrev_b32_e32 v3, 2, v100
	v_add_nc_u32_e32 v21, v47, v48
	ds_read_b32 v3, v3
	ds_read_b64 v[21:22], v21 offset:1024
	s_waitcnt lgkmcnt(1)
	v_add_nc_u32_e32 v3, v3, v0
	v_lshlrev_b64 v[24:25], 3, v[3:4]
	v_add_co_u32 v24, vcc_lo, s44, v24
	v_add_co_ci_u32_e64 v25, null, s45, v25, vcc_lo
	s_waitcnt lgkmcnt(0)
	global_store_dwordx2 v[24:25], v[21:22], off
	s_or_b32 exec_lo, exec_lo, s28
	s_and_saveexec_b32 s28, s20
	s_cbranch_execz .LBB1841_138
.LBB1841_170:                           ;   in Loop: Header=BB1841_64 Depth=2
	v_lshlrev_b32_e32 v3, 2, v99
	v_add_nc_u32_e32 v21, v47, v48
	ds_read_b32 v3, v3
	ds_read_b64 v[21:22], v21 offset:3072
	s_waitcnt lgkmcnt(1)
	v_add_nc_u32_e32 v3, v3, v30
	v_lshlrev_b64 v[24:25], 3, v[3:4]
	v_add_co_u32 v24, vcc_lo, s44, v24
	v_add_co_ci_u32_e64 v25, null, s45, v25, vcc_lo
	s_waitcnt lgkmcnt(0)
	global_store_dwordx2 v[24:25], v[21:22], off
	s_or_b32 exec_lo, exec_lo, s28
	s_and_saveexec_b32 s20, s21
	s_cbranch_execz .LBB1841_139
.LBB1841_171:                           ;   in Loop: Header=BB1841_64 Depth=2
	v_lshlrev_b32_e32 v3, 2, v98
	v_add_nc_u32_e32 v21, v47, v48
	ds_read_b32 v3, v3
	ds_read_b64 v[21:22], v21 offset:5120
	s_waitcnt lgkmcnt(1)
	v_add_nc_u32_e32 v3, v3, v31
	v_lshlrev_b64 v[24:25], 3, v[3:4]
	v_add_co_u32 v24, vcc_lo, s44, v24
	v_add_co_ci_u32_e64 v25, null, s45, v25, vcc_lo
	s_waitcnt lgkmcnt(0)
	global_store_dwordx2 v[24:25], v[21:22], off
	s_or_b32 exec_lo, exec_lo, s20
	s_and_saveexec_b32 s20, s22
	s_cbranch_execz .LBB1841_140
.LBB1841_172:                           ;   in Loop: Header=BB1841_64 Depth=2
	v_lshlrev_b32_e32 v3, 2, v97
	v_add_nc_u32_e32 v21, v47, v48
	ds_read_b32 v3, v3
	ds_read_b64 v[21:22], v21 offset:7168
	s_waitcnt lgkmcnt(1)
	v_add_nc_u32_e32 v3, v3, v32
	v_lshlrev_b64 v[24:25], 3, v[3:4]
	v_add_co_u32 v24, vcc_lo, s44, v24
	v_add_co_ci_u32_e64 v25, null, s45, v25, vcc_lo
	s_waitcnt lgkmcnt(0)
	global_store_dwordx2 v[24:25], v[21:22], off
	s_or_b32 exec_lo, exec_lo, s20
	s_and_saveexec_b32 s20, s23
	s_cbranch_execz .LBB1841_141
.LBB1841_173:                           ;   in Loop: Header=BB1841_64 Depth=2
	v_lshlrev_b32_e32 v3, 2, v96
	v_add_nc_u32_e32 v21, v47, v48
	ds_read_b32 v3, v3
	ds_read_b64 v[21:22], v21 offset:9216
	s_waitcnt lgkmcnt(1)
	v_add_nc_u32_e32 v3, v3, v35
	v_lshlrev_b64 v[24:25], 3, v[3:4]
	v_add_co_u32 v24, vcc_lo, s44, v24
	v_add_co_ci_u32_e64 v25, null, s45, v25, vcc_lo
	s_waitcnt lgkmcnt(0)
	global_store_dwordx2 v[24:25], v[21:22], off
	s_or_b32 exec_lo, exec_lo, s20
	s_and_saveexec_b32 s20, s24
	s_cbranch_execz .LBB1841_142
.LBB1841_174:                           ;   in Loop: Header=BB1841_64 Depth=2
	v_lshlrev_b32_e32 v3, 2, v95
	v_add_nc_u32_e32 v21, v47, v48
	ds_read_b32 v3, v3
	ds_read_b64 v[21:22], v21 offset:11264
	s_waitcnt lgkmcnt(1)
	v_add_nc_u32_e32 v3, v3, v36
	v_lshlrev_b64 v[24:25], 3, v[3:4]
	v_add_co_u32 v24, vcc_lo, s44, v24
	v_add_co_ci_u32_e64 v25, null, s45, v25, vcc_lo
	s_waitcnt lgkmcnt(0)
	global_store_dwordx2 v[24:25], v[21:22], off
	s_or_b32 exec_lo, exec_lo, s20
	s_and_saveexec_b32 s20, s25
	s_cbranch_execz .LBB1841_143
.LBB1841_175:                           ;   in Loop: Header=BB1841_64 Depth=2
	v_lshlrev_b32_e32 v3, 2, v94
	v_add_nc_u32_e32 v21, v47, v48
	ds_read_b32 v3, v3
	ds_read_b64 v[21:22], v21 offset:13312
	s_waitcnt lgkmcnt(1)
	v_add_nc_u32_e32 v3, v3, v37
	v_lshlrev_b64 v[24:25], 3, v[3:4]
	v_add_co_u32 v24, vcc_lo, s44, v24
	v_add_co_ci_u32_e64 v25, null, s45, v25, vcc_lo
	s_waitcnt lgkmcnt(0)
	global_store_dwordx2 v[24:25], v[21:22], off
	s_or_b32 exec_lo, exec_lo, s20
	s_and_saveexec_b32 s20, s26
	s_cbranch_execnz .LBB1841_144
	s_branch .LBB1841_145
.LBB1841_176:                           ;   in Loop: Header=BB1841_12 Depth=1
	s_waitcnt lgkmcnt(0)
	s_mov_b32 s5, 0
	s_barrier
.LBB1841_177:                           ;   in Loop: Header=BB1841_12 Depth=1
	s_and_b32 vcc_lo, exec_lo, s5
	s_cbranch_vccz .LBB1841_341
; %bb.178:                              ;   in Loop: Header=BB1841_12 Depth=1
	s_mov_b32 s5, s52
	s_mov_b32 s34, s29
	s_barrier
	buffer_gl0_inv
                                        ; implicit-def: $vgpr3
                                        ; implicit-def: $vgpr5
                                        ; implicit-def: $vgpr6
                                        ; implicit-def: $vgpr7
                                        ; implicit-def: $vgpr8
                                        ; implicit-def: $vgpr9
                                        ; implicit-def: $vgpr10
                                        ; implicit-def: $vgpr11
	s_branch .LBB1841_180
.LBB1841_179:                           ;   in Loop: Header=BB1841_180 Depth=2
	s_or_b32 exec_lo, exec_lo, s14
	s_addk_i32 s5, 0xf800
	s_cmp_ge_u32 s13, s33
	s_mov_b32 s34, s13
	s_cbranch_scc1 .LBB1841_216
.LBB1841_180:                           ;   Parent Loop BB1841_12 Depth=1
                                        ; =>  This Inner Loop Header: Depth=2
	s_add_i32 s13, s34, 0x800
	s_mov_b32 s14, -1
	s_cmp_gt_u32 s13, s33
                                        ; implicit-def: $vgpr12
                                        ; implicit-def: $vgpr13
                                        ; implicit-def: $vgpr14
                                        ; implicit-def: $vgpr15
                                        ; implicit-def: $vgpr16
                                        ; implicit-def: $vgpr17
                                        ; implicit-def: $vgpr18
                                        ; implicit-def: $vgpr19
	s_cbranch_scc1 .LBB1841_182
; %bb.181:                              ;   in Loop: Header=BB1841_180 Depth=2
	s_lshl_b64 s[14:15], s[34:35], 1
	v_add_co_u32 v15, vcc_lo, v49, s14
	v_add_co_ci_u32_e64 v16, null, s15, v50, vcc_lo
	s_mov_b32 s14, 0
	v_add_co_u32 v19, vcc_lo, 0x800, v15
	v_add_co_ci_u32_e64 v20, null, 0, v16, vcc_lo
	s_clause 0x7
	global_load_ushort v12, v[15:16], off
	global_load_ushort v13, v[15:16], off offset:512
	global_load_ushort v14, v[15:16], off offset:1024
	;; [unrolled: 1-line block ×3, first 2 shown]
	global_load_ushort v16, v[19:20], off
	global_load_ushort v17, v[19:20], off offset:512
	global_load_ushort v18, v[19:20], off offset:1024
	;; [unrolled: 1-line block ×3, first 2 shown]
.LBB1841_182:                           ;   in Loop: Header=BB1841_180 Depth=2
	s_andn2_b32 vcc_lo, exec_lo, s14
	s_movk_i32 s14, 0x800
	s_cbranch_vccnz .LBB1841_193
; %bb.183:                              ;   in Loop: Header=BB1841_180 Depth=2
	s_lshl_b64 s[14:15], s[34:35], 1
	s_mov_b32 s16, exec_lo
	s_add_u32 s14, s38, s14
	s_addc_u32 s15, s39, s15
	v_cmpx_gt_u32_e64 s5, v0
	s_cbranch_execnz .LBB1841_209
; %bb.184:                              ;   in Loop: Header=BB1841_180 Depth=2
	s_or_b32 exec_lo, exec_lo, s16
	s_mov_b32 s16, exec_lo
	v_cmpx_gt_u32_e64 s5, v30
	s_cbranch_execnz .LBB1841_210
.LBB1841_185:                           ;   in Loop: Header=BB1841_180 Depth=2
	s_or_b32 exec_lo, exec_lo, s16
	s_mov_b32 s16, exec_lo
	v_cmpx_gt_u32_e64 s5, v31
	s_cbranch_execnz .LBB1841_211
.LBB1841_186:                           ;   in Loop: Header=BB1841_180 Depth=2
	s_or_b32 exec_lo, exec_lo, s16
	s_mov_b32 s16, exec_lo
	v_cmpx_gt_u32_e64 s5, v32
	s_cbranch_execnz .LBB1841_212
.LBB1841_187:                           ;   in Loop: Header=BB1841_180 Depth=2
	s_or_b32 exec_lo, exec_lo, s16
	s_mov_b32 s16, exec_lo
	v_cmpx_gt_u32_e64 s5, v35
	s_cbranch_execnz .LBB1841_213
.LBB1841_188:                           ;   in Loop: Header=BB1841_180 Depth=2
	s_or_b32 exec_lo, exec_lo, s16
	s_mov_b32 s16, exec_lo
	v_cmpx_gt_u32_e64 s5, v36
	s_cbranch_execnz .LBB1841_214
.LBB1841_189:                           ;   in Loop: Header=BB1841_180 Depth=2
	s_or_b32 exec_lo, exec_lo, s16
	s_mov_b32 s16, exec_lo
	v_cmpx_gt_u32_e64 s5, v37
	s_cbranch_execnz .LBB1841_215
.LBB1841_190:                           ;   in Loop: Header=BB1841_180 Depth=2
	s_or_b32 exec_lo, exec_lo, s16
	s_mov_b32 s16, exec_lo
	v_cmpx_gt_u32_e64 s5, v38
	s_cbranch_execz .LBB1841_192
.LBB1841_191:                           ;   in Loop: Header=BB1841_180 Depth=2
	global_load_ushort v3, v87, s[14:15]
.LBB1841_192:                           ;   in Loop: Header=BB1841_180 Depth=2
	s_or_b32 exec_lo, exec_lo, s16
	s_waitcnt vmcnt(0)
	v_mov_b32_e32 v12, v11
	v_mov_b32_e32 v13, v10
	;; [unrolled: 1-line block ×8, first 2 shown]
	s_mov_b32 s14, s5
.LBB1841_193:                           ;   in Loop: Header=BB1841_180 Depth=2
	s_waitcnt vmcnt(0)
	v_mov_b32_e32 v3, v19
	v_mov_b32_e32 v5, v18
	v_mov_b32_e32 v6, v17
	v_mov_b32_e32 v7, v16
	v_mov_b32_e32 v8, v15
	v_mov_b32_e32 v9, v14
	v_mov_b32_e32 v10, v13
	v_mov_b32_e32 v11, v12
	s_mov_b32 s15, exec_lo
	v_cmpx_gt_u32_e64 s14, v0
	s_cbranch_execnz .LBB1841_201
; %bb.194:                              ;   in Loop: Header=BB1841_180 Depth=2
	s_or_b32 exec_lo, exec_lo, s15
	s_mov_b32 s15, exec_lo
	v_cmpx_gt_u32_e64 s14, v30
	s_cbranch_execnz .LBB1841_202
.LBB1841_195:                           ;   in Loop: Header=BB1841_180 Depth=2
	s_or_b32 exec_lo, exec_lo, s15
	s_mov_b32 s15, exec_lo
	v_cmpx_gt_u32_e64 s14, v31
	s_cbranch_execnz .LBB1841_203
.LBB1841_196:                           ;   in Loop: Header=BB1841_180 Depth=2
	s_or_b32 exec_lo, exec_lo, s15
	s_mov_b32 s15, exec_lo
	v_cmpx_gt_u32_e64 s14, v32
	s_cbranch_execnz .LBB1841_204
.LBB1841_197:                           ;   in Loop: Header=BB1841_180 Depth=2
	s_or_b32 exec_lo, exec_lo, s15
	s_mov_b32 s15, exec_lo
	v_cmpx_gt_u32_e64 s14, v35
	s_cbranch_execnz .LBB1841_205
.LBB1841_198:                           ;   in Loop: Header=BB1841_180 Depth=2
	s_or_b32 exec_lo, exec_lo, s15
	s_mov_b32 s15, exec_lo
	v_cmpx_gt_u32_e64 s14, v36
	s_cbranch_execnz .LBB1841_206
.LBB1841_199:                           ;   in Loop: Header=BB1841_180 Depth=2
	s_or_b32 exec_lo, exec_lo, s15
	s_mov_b32 s15, exec_lo
	v_cmpx_gt_u32_e64 s14, v37
	s_cbranch_execnz .LBB1841_207
.LBB1841_200:                           ;   in Loop: Header=BB1841_180 Depth=2
	s_or_b32 exec_lo, exec_lo, s15
	v_cmp_gt_u32_e32 vcc_lo, s14, v38
	s_and_saveexec_b32 s14, vcc_lo
	s_cbranch_execz .LBB1841_179
	s_branch .LBB1841_208
.LBB1841_201:                           ;   in Loop: Header=BB1841_180 Depth=2
	v_cmp_lt_i16_e32 vcc_lo, -1, v11
	v_cndmask_b32_e64 v12, -1, 0xffff8000, vcc_lo
	v_xor_b32_e32 v12, v12, v11
	v_cmp_ne_u16_e32 vcc_lo, 0x7fff, v12
	v_cndmask_b32_e32 v12, 0xffff8000, v12, vcc_lo
	v_lshrrev_b32_sdwa v12, s42, v12 dst_sel:DWORD dst_unused:UNUSED_PAD src0_sel:DWORD src1_sel:WORD_0
	v_and_b32_e32 v12, s43, v12
	v_lshl_or_b32 v12, v12, 4, v40
	ds_add_u32 v12, v62
	s_or_b32 exec_lo, exec_lo, s15
	s_mov_b32 s15, exec_lo
	v_cmpx_gt_u32_e64 s14, v30
	s_cbranch_execz .LBB1841_195
.LBB1841_202:                           ;   in Loop: Header=BB1841_180 Depth=2
	v_cmp_lt_i16_e32 vcc_lo, -1, v10
	v_cndmask_b32_e64 v12, -1, 0xffff8000, vcc_lo
	v_xor_b32_e32 v12, v12, v10
	v_cmp_ne_u16_e32 vcc_lo, 0x7fff, v12
	v_cndmask_b32_e32 v12, 0xffff8000, v12, vcc_lo
	v_lshrrev_b32_sdwa v12, s42, v12 dst_sel:DWORD dst_unused:UNUSED_PAD src0_sel:DWORD src1_sel:WORD_0
	v_and_b32_e32 v12, s43, v12
	v_lshl_or_b32 v12, v12, 4, v40
	ds_add_u32 v12, v62
	s_or_b32 exec_lo, exec_lo, s15
	s_mov_b32 s15, exec_lo
	v_cmpx_gt_u32_e64 s14, v31
	s_cbranch_execz .LBB1841_196
.LBB1841_203:                           ;   in Loop: Header=BB1841_180 Depth=2
	v_cmp_lt_i16_e32 vcc_lo, -1, v9
	v_cndmask_b32_e64 v12, -1, 0xffff8000, vcc_lo
	v_xor_b32_e32 v12, v12, v9
	v_cmp_ne_u16_e32 vcc_lo, 0x7fff, v12
	v_cndmask_b32_e32 v12, 0xffff8000, v12, vcc_lo
	v_lshrrev_b32_sdwa v12, s42, v12 dst_sel:DWORD dst_unused:UNUSED_PAD src0_sel:DWORD src1_sel:WORD_0
	v_and_b32_e32 v12, s43, v12
	v_lshl_or_b32 v12, v12, 4, v40
	ds_add_u32 v12, v62
	s_or_b32 exec_lo, exec_lo, s15
	s_mov_b32 s15, exec_lo
	v_cmpx_gt_u32_e64 s14, v32
	s_cbranch_execz .LBB1841_197
.LBB1841_204:                           ;   in Loop: Header=BB1841_180 Depth=2
	v_cmp_lt_i16_e32 vcc_lo, -1, v8
	v_cndmask_b32_e64 v12, -1, 0xffff8000, vcc_lo
	v_xor_b32_e32 v12, v12, v8
	v_cmp_ne_u16_e32 vcc_lo, 0x7fff, v12
	v_cndmask_b32_e32 v12, 0xffff8000, v12, vcc_lo
	v_lshrrev_b32_sdwa v12, s42, v12 dst_sel:DWORD dst_unused:UNUSED_PAD src0_sel:DWORD src1_sel:WORD_0
	v_and_b32_e32 v12, s43, v12
	v_lshl_or_b32 v12, v12, 4, v40
	ds_add_u32 v12, v62
	s_or_b32 exec_lo, exec_lo, s15
	s_mov_b32 s15, exec_lo
	v_cmpx_gt_u32_e64 s14, v35
	s_cbranch_execz .LBB1841_198
.LBB1841_205:                           ;   in Loop: Header=BB1841_180 Depth=2
	v_cmp_lt_i16_e32 vcc_lo, -1, v7
	v_cndmask_b32_e64 v12, -1, 0xffff8000, vcc_lo
	v_xor_b32_e32 v12, v12, v7
	v_cmp_ne_u16_e32 vcc_lo, 0x7fff, v12
	v_cndmask_b32_e32 v12, 0xffff8000, v12, vcc_lo
	v_lshrrev_b32_sdwa v12, s42, v12 dst_sel:DWORD dst_unused:UNUSED_PAD src0_sel:DWORD src1_sel:WORD_0
	v_and_b32_e32 v12, s43, v12
	v_lshl_or_b32 v12, v12, 4, v40
	ds_add_u32 v12, v62
	s_or_b32 exec_lo, exec_lo, s15
	s_mov_b32 s15, exec_lo
	v_cmpx_gt_u32_e64 s14, v36
	s_cbranch_execz .LBB1841_199
.LBB1841_206:                           ;   in Loop: Header=BB1841_180 Depth=2
	v_cmp_lt_i16_e32 vcc_lo, -1, v6
	v_cndmask_b32_e64 v12, -1, 0xffff8000, vcc_lo
	v_xor_b32_e32 v12, v12, v6
	v_cmp_ne_u16_e32 vcc_lo, 0x7fff, v12
	v_cndmask_b32_e32 v12, 0xffff8000, v12, vcc_lo
	v_lshrrev_b32_sdwa v12, s42, v12 dst_sel:DWORD dst_unused:UNUSED_PAD src0_sel:DWORD src1_sel:WORD_0
	v_and_b32_e32 v12, s43, v12
	v_lshl_or_b32 v12, v12, 4, v40
	ds_add_u32 v12, v62
	s_or_b32 exec_lo, exec_lo, s15
	s_mov_b32 s15, exec_lo
	v_cmpx_gt_u32_e64 s14, v37
	s_cbranch_execz .LBB1841_200
.LBB1841_207:                           ;   in Loop: Header=BB1841_180 Depth=2
	v_cmp_lt_i16_e32 vcc_lo, -1, v5
	v_cndmask_b32_e64 v12, -1, 0xffff8000, vcc_lo
	v_xor_b32_e32 v12, v12, v5
	v_cmp_ne_u16_e32 vcc_lo, 0x7fff, v12
	v_cndmask_b32_e32 v12, 0xffff8000, v12, vcc_lo
	v_lshrrev_b32_sdwa v12, s42, v12 dst_sel:DWORD dst_unused:UNUSED_PAD src0_sel:DWORD src1_sel:WORD_0
	v_and_b32_e32 v12, s43, v12
	v_lshl_or_b32 v12, v12, 4, v40
	ds_add_u32 v12, v62
	s_or_b32 exec_lo, exec_lo, s15
	v_cmp_gt_u32_e32 vcc_lo, s14, v38
	s_and_saveexec_b32 s14, vcc_lo
	s_cbranch_execz .LBB1841_179
.LBB1841_208:                           ;   in Loop: Header=BB1841_180 Depth=2
	v_cmp_lt_i16_e32 vcc_lo, -1, v3
	v_cndmask_b32_e64 v12, -1, 0xffff8000, vcc_lo
	v_xor_b32_e32 v12, v12, v3
	v_cmp_ne_u16_e32 vcc_lo, 0x7fff, v12
	v_cndmask_b32_e32 v12, 0xffff8000, v12, vcc_lo
	v_lshrrev_b32_sdwa v12, s42, v12 dst_sel:DWORD dst_unused:UNUSED_PAD src0_sel:DWORD src1_sel:WORD_0
	v_and_b32_e32 v12, s43, v12
	v_lshl_or_b32 v12, v12, 4, v40
	ds_add_u32 v12, v62
	s_branch .LBB1841_179
.LBB1841_209:                           ;   in Loop: Header=BB1841_180 Depth=2
	global_load_ushort v11, v79, s[14:15]
	s_or_b32 exec_lo, exec_lo, s16
	s_mov_b32 s16, exec_lo
	v_cmpx_gt_u32_e64 s5, v30
	s_cbranch_execz .LBB1841_185
.LBB1841_210:                           ;   in Loop: Header=BB1841_180 Depth=2
	global_load_ushort v10, v79, s[14:15] offset:512
	s_or_b32 exec_lo, exec_lo, s16
	s_mov_b32 s16, exec_lo
	v_cmpx_gt_u32_e64 s5, v31
	s_cbranch_execz .LBB1841_186
.LBB1841_211:                           ;   in Loop: Header=BB1841_180 Depth=2
	global_load_ushort v9, v79, s[14:15] offset:1024
	s_or_b32 exec_lo, exec_lo, s16
	s_mov_b32 s16, exec_lo
	v_cmpx_gt_u32_e64 s5, v32
	s_cbranch_execz .LBB1841_187
.LBB1841_212:                           ;   in Loop: Header=BB1841_180 Depth=2
	global_load_ushort v8, v79, s[14:15] offset:1536
	s_or_b32 exec_lo, exec_lo, s16
	s_mov_b32 s16, exec_lo
	v_cmpx_gt_u32_e64 s5, v35
	s_cbranch_execz .LBB1841_188
.LBB1841_213:                           ;   in Loop: Header=BB1841_180 Depth=2
	global_load_ushort v7, v80, s[14:15]
	s_or_b32 exec_lo, exec_lo, s16
	s_mov_b32 s16, exec_lo
	v_cmpx_gt_u32_e64 s5, v36
	s_cbranch_execz .LBB1841_189
.LBB1841_214:                           ;   in Loop: Header=BB1841_180 Depth=2
	global_load_ushort v6, v81, s[14:15]
	s_or_b32 exec_lo, exec_lo, s16
	s_mov_b32 s16, exec_lo
	v_cmpx_gt_u32_e64 s5, v37
	s_cbranch_execz .LBB1841_190
.LBB1841_215:                           ;   in Loop: Header=BB1841_180 Depth=2
	global_load_ushort v5, v82, s[14:15]
	s_or_b32 exec_lo, exec_lo, s16
	s_mov_b32 s16, exec_lo
	v_cmpx_gt_u32_e64 s5, v38
	s_cbranch_execnz .LBB1841_191
	s_branch .LBB1841_192
.LBB1841_216:                           ;   in Loop: Header=BB1841_12 Depth=1
	v_mov_b32_e32 v3, 0
	s_waitcnt lgkmcnt(0)
	s_barrier
	buffer_gl0_inv
	s_and_saveexec_b32 s5, s7
	s_cbranch_execz .LBB1841_218
; %bb.217:                              ;   in Loop: Header=BB1841_12 Depth=1
	ds_read2_b64 v[5:8], v41 offset1:1
	s_waitcnt lgkmcnt(0)
	v_add_nc_u32_e32 v3, v6, v5
	v_add3_u32 v3, v3, v7, v8
.LBB1841_218:                           ;   in Loop: Header=BB1841_12 Depth=1
	s_or_b32 exec_lo, exec_lo, s5
	v_mov_b32_dpp v5, v3 row_shr:1 row_mask:0xf bank_mask:0xf
	v_cmp_eq_u32_e64 s5, 0, v63
	v_cmp_lt_u32_e64 s13, 1, v63
	v_cmp_lt_u32_e64 s14, 3, v63
	;; [unrolled: 1-line block ×3, first 2 shown]
	v_cmp_eq_u32_e64 s16, 0, v65
	v_cndmask_b32_e64 v5, v5, 0, s5
	v_add_nc_u32_e32 v3, v5, v3
	v_mov_b32_dpp v5, v3 row_shr:2 row_mask:0xf bank_mask:0xf
	v_cndmask_b32_e64 v5, 0, v5, s13
	v_add_nc_u32_e32 v3, v3, v5
	v_mov_b32_dpp v5, v3 row_shr:4 row_mask:0xf bank_mask:0xf
	;; [unrolled: 3-line block ×3, first 2 shown]
	v_cndmask_b32_e64 v5, 0, v5, s15
	v_add_nc_u32_e32 v3, v3, v5
	ds_swizzle_b32 v5, v3 offset:swizzle(BROADCAST,32,15)
	s_waitcnt lgkmcnt(0)
	v_and_b32_e32 v5, v64, v5
	v_add_nc_u32_e32 v3, v3, v5
	s_and_saveexec_b32 s17, s8
; %bb.219:                              ;   in Loop: Header=BB1841_12 Depth=1
	ds_write_b32 v42, v3
; %bb.220:                              ;   in Loop: Header=BB1841_12 Depth=1
	s_or_b32 exec_lo, exec_lo, s17
	s_waitcnt lgkmcnt(0)
	s_barrier
	buffer_gl0_inv
	s_and_saveexec_b32 s17, s9
	s_cbranch_execz .LBB1841_222
; %bb.221:                              ;   in Loop: Header=BB1841_12 Depth=1
	ds_read_b32 v5, v43
	v_cmp_ne_u32_e32 vcc_lo, 0, v67
	s_waitcnt lgkmcnt(0)
	v_mov_b32_dpp v6, v5 row_shr:1 row_mask:0xf bank_mask:0xf
	v_cndmask_b32_e32 v6, 0, v6, vcc_lo
	v_cmp_lt_u32_e32 vcc_lo, 1, v67
	v_add_nc_u32_e32 v5, v6, v5
	v_mov_b32_dpp v6, v5 row_shr:2 row_mask:0xf bank_mask:0xf
	v_cndmask_b32_e32 v6, 0, v6, vcc_lo
	v_cmp_lt_u32_e32 vcc_lo, 3, v67
	v_add_nc_u32_e32 v5, v5, v6
	v_mov_b32_dpp v6, v5 row_shr:4 row_mask:0xf bank_mask:0xf
	v_cndmask_b32_e32 v6, 0, v6, vcc_lo
	v_add_nc_u32_e32 v5, v5, v6
	ds_write_b32 v43, v5
.LBB1841_222:                           ;   in Loop: Header=BB1841_12 Depth=1
	s_or_b32 exec_lo, exec_lo, s17
	v_mov_b32_e32 v5, 0
	s_waitcnt lgkmcnt(0)
	s_barrier
	buffer_gl0_inv
	s_and_saveexec_b32 s17, s10
; %bb.223:                              ;   in Loop: Header=BB1841_12 Depth=1
	ds_read_b32 v5, v45
; %bb.224:                              ;   in Loop: Header=BB1841_12 Depth=1
	s_or_b32 exec_lo, exec_lo, s17
	v_cmp_gt_i32_e32 vcc_lo, 0, v68
	s_waitcnt lgkmcnt(0)
	v_add_nc_u32_e32 v3, v5, v3
	s_barrier
	buffer_gl0_inv
	v_cndmask_b32_e32 v6, v68, v59, vcc_lo
	v_lshlrev_b32_e32 v91, 2, v6
	ds_bpermute_b32 v3, v91, v3
	s_and_saveexec_b32 s17, s7
	s_cbranch_execz .LBB1841_226
; %bb.225:                              ;   in Loop: Header=BB1841_12 Depth=1
	s_waitcnt lgkmcnt(0)
	v_cndmask_b32_e64 v3, v3, v5, s12
	v_add_nc_u32_e32 v3, s29, v3
	ds_write_b32 v29, v3
.LBB1841_226:                           ;   in Loop: Header=BB1841_12 Depth=1
	s_or_b32 exec_lo, exec_lo, s17
	s_load_dwordx2 s[18:19], s[30:31], 0x0
	v_add_co_u32 v92, vcc_lo, v51, v69
	v_add_co_ci_u32_e64 v93, null, 0, v52, vcc_lo
	v_add_co_u32 v94, vcc_lo, v53, v77
	v_add_co_ci_u32_e64 v95, null, 0, v54, vcc_lo
	s_mov_b32 s48, s52
	s_mov_b32 s34, s29
                                        ; implicit-def: $vgpr7_vgpr8
                                        ; implicit-def: $vgpr9_vgpr10
                                        ; implicit-def: $vgpr11_vgpr12
                                        ; implicit-def: $vgpr13_vgpr14
                                        ; implicit-def: $vgpr15_vgpr16
                                        ; implicit-def: $vgpr17_vgpr18
                                        ; implicit-def: $vgpr19_vgpr20
                                        ; implicit-def: $vgpr97
                                        ; implicit-def: $vgpr98
                                        ; implicit-def: $vgpr99
                                        ; implicit-def: $vgpr100
                                        ; implicit-def: $vgpr101
                                        ; implicit-def: $vgpr102
                                        ; implicit-def: $vgpr103
                                        ; implicit-def: $vgpr104
	s_waitcnt lgkmcnt(0)
	s_cmp_lt_u32 s27, s19
	s_cselect_b32 s17, 14, 20
	s_add_u32 s20, s30, s17
	s_addc_u32 s21, s31, 0
	s_cmp_lt_u32 s6, s18
	global_load_ushort v3, v4, s[20:21]
	s_cselect_b32 s17, 12, 18
	s_add_u32 s18, s30, s17
	s_addc_u32 s19, s31, 0
	v_cmp_eq_u32_e64 s17, 0, v67
	global_load_ushort v5, v4, s[18:19]
	v_cmp_lt_u32_e64 s18, 1, v67
	v_cmp_lt_u32_e64 s19, 3, v67
	s_waitcnt vmcnt(1)
	v_mad_u32_u24 v3, v2, v3, v1
	s_waitcnt vmcnt(0)
	v_mad_u64_u32 v[5:6], null, v3, v5, v[0:1]
	v_lshrrev_b32_e32 v3, 3, v5
                                        ; implicit-def: $vgpr5_vgpr6
	v_and_b32_e32 v96, 0x1ffffffc, v3
	s_branch .LBB1841_228
.LBB1841_227:                           ;   in Loop: Header=BB1841_228 Depth=2
	s_or_b32 exec_lo, exec_lo, s20
	s_addk_i32 s48, 0xf800
	s_cmp_lt_u32 s53, s33
	s_mov_b32 s34, s53
	s_cbranch_scc0 .LBB1841_340
.LBB1841_228:                           ;   Parent Loop BB1841_12 Depth=1
                                        ; =>  This Inner Loop Header: Depth=2
	s_add_i32 s53, s34, 0x800
	s_cmp_gt_u32 s53, s33
	s_cbranch_scc1 .LBB1841_230
; %bb.229:                              ;   in Loop: Header=BB1841_228 Depth=2
	s_lshl_b64 s[20:21], s[34:35], 1
	v_add_co_u32 v21, vcc_lo, v94, s20
	v_add_co_ci_u32_e64 v22, null, s21, v95, vcc_lo
	s_mov_b32 s20, -1
	s_clause 0x6
	global_load_ushort v3, v[21:22], off
	global_load_ushort v28, v[21:22], off offset:64
	global_load_ushort v27, v[21:22], off offset:128
	;; [unrolled: 1-line block ×6, first 2 shown]
	s_movk_i32 s21, 0x800
	s_cbranch_execz .LBB1841_231
	s_branch .LBB1841_246
.LBB1841_230:                           ;   in Loop: Header=BB1841_228 Depth=2
	s_mov_b32 s20, 0
                                        ; implicit-def: $vgpr3
                                        ; implicit-def: $vgpr28
                                        ; implicit-def: $vgpr27
                                        ; implicit-def: $vgpr26
                                        ; implicit-def: $vgpr25
                                        ; implicit-def: $vgpr24
                                        ; implicit-def: $vgpr23
	s_movk_i32 s21, 0x800
.LBB1841_231:                           ;   in Loop: Header=BB1841_228 Depth=2
	s_lshl_b64 s[20:21], s[34:35], 1
	s_waitcnt vmcnt(5)
	v_mov_b32_e32 v28, 0x7fff
	v_add_co_u32 v21, vcc_lo, v94, s20
	v_add_co_ci_u32_e64 v22, null, s21, v95, vcc_lo
	v_mov_b32_e32 v3, 0x7fff
	s_mov_b32 s20, exec_lo
	v_cmpx_gt_u32_e64 s48, v66
	s_cbranch_execz .LBB1841_233
; %bb.232:                              ;   in Loop: Header=BB1841_228 Depth=2
	global_load_ushort v3, v[21:22], off
.LBB1841_233:                           ;   in Loop: Header=BB1841_228 Depth=2
	s_or_b32 exec_lo, exec_lo, s20
	s_mov_b32 s20, exec_lo
	v_cmpx_gt_u32_e64 s48, v70
	s_cbranch_execz .LBB1841_235
; %bb.234:                              ;   in Loop: Header=BB1841_228 Depth=2
	global_load_ushort v28, v[21:22], off offset:64
.LBB1841_235:                           ;   in Loop: Header=BB1841_228 Depth=2
	s_or_b32 exec_lo, exec_lo, s20
	s_waitcnt vmcnt(3)
	v_mov_b32_e32 v26, 0x7fff
	v_mov_b32_e32 v27, 0x7fff
	s_mov_b32 s20, exec_lo
	v_cmpx_gt_u32_e64 s48, v71
	s_cbranch_execz .LBB1841_237
; %bb.236:                              ;   in Loop: Header=BB1841_228 Depth=2
	global_load_ushort v27, v[21:22], off offset:128
.LBB1841_237:                           ;   in Loop: Header=BB1841_228 Depth=2
	s_or_b32 exec_lo, exec_lo, s20
	s_mov_b32 s20, exec_lo
	v_cmpx_gt_u32_e64 s48, v72
	s_cbranch_execz .LBB1841_239
; %bb.238:                              ;   in Loop: Header=BB1841_228 Depth=2
	global_load_ushort v26, v[21:22], off offset:192
.LBB1841_239:                           ;   in Loop: Header=BB1841_228 Depth=2
	s_or_b32 exec_lo, exec_lo, s20
	s_waitcnt vmcnt(1)
	v_mov_b32_e32 v24, 0x7fff
	v_mov_b32_e32 v25, 0x7fff
	s_mov_b32 s20, exec_lo
	v_cmpx_gt_u32_e64 s48, v73
	s_cbranch_execz .LBB1841_241
; %bb.240:                              ;   in Loop: Header=BB1841_228 Depth=2
	global_load_ushort v25, v[21:22], off offset:256
.LBB1841_241:                           ;   in Loop: Header=BB1841_228 Depth=2
	s_or_b32 exec_lo, exec_lo, s20
	s_mov_b32 s20, exec_lo
	v_cmpx_gt_u32_e64 s48, v74
	s_cbranch_execz .LBB1841_243
; %bb.242:                              ;   in Loop: Header=BB1841_228 Depth=2
	global_load_ushort v24, v[21:22], off offset:320
.LBB1841_243:                           ;   in Loop: Header=BB1841_228 Depth=2
	s_or_b32 exec_lo, exec_lo, s20
	s_waitcnt vmcnt(0)
	v_mov_b32_e32 v23, 0x7fff
	s_mov_b32 s20, exec_lo
	v_cmpx_gt_u32_e64 s48, v75
	s_cbranch_execz .LBB1841_245
; %bb.244:                              ;   in Loop: Header=BB1841_228 Depth=2
	global_load_ushort v23, v[21:22], off offset:384
.LBB1841_245:                           ;   in Loop: Header=BB1841_228 Depth=2
	s_or_b32 exec_lo, exec_lo, s20
	v_cmp_gt_u32_e64 s20, s48, v76
	s_sub_i32 s21, s33, s34
.LBB1841_246:                           ;   in Loop: Header=BB1841_228 Depth=2
	v_mov_b32_e32 v21, 0x7fff
	v_mov_b32_e32 v105, s48
	s_and_saveexec_b32 s22, s20
	s_cbranch_execz .LBB1841_248
; %bb.247:                              ;   in Loop: Header=BB1841_228 Depth=2
	s_lshl_b64 s[24:25], s[34:35], 1
	v_mov_b32_e32 v105, s21
	v_add_co_u32 v21, vcc_lo, v94, s24
	v_add_co_ci_u32_e64 v22, null, s25, v95, vcc_lo
	global_load_ushort v21, v[21:22], off offset:448
.LBB1841_248:                           ;   in Loop: Header=BB1841_228 Depth=2
	s_or_b32 exec_lo, exec_lo, s22
	s_waitcnt vmcnt(6)
	v_cmp_lt_i16_e32 vcc_lo, -1, v3
	ds_write2_b32 v78, v4, v4 offset1:1
	ds_write2_b32 v88, v4, v4 offset1:1
	ds_write2_b32 v89, v4, v4 offset1:1
	ds_write2_b32 v90, v4, v4 offset1:1
	ds_write_b32 v44, v4 offset:1088
	s_waitcnt vmcnt(0) lgkmcnt(0)
	s_barrier
	v_cndmask_b32_e64 v22, -1, 0xffff8000, vcc_lo
	buffer_gl0_inv
	; wave barrier
	v_xor_b32_e32 v3, v22, v3
	v_cmp_ne_u16_e32 vcc_lo, 0x7fff, v3
	v_cndmask_b32_e32 v22, 0xffff8000, v3, vcc_lo
	v_lshrrev_b32_sdwa v22, s42, v22 dst_sel:DWORD dst_unused:UNUSED_PAD src0_sel:DWORD src1_sel:WORD_0
	v_and_b32_e32 v107, s43, v22
	v_and_b32_e32 v22, 1, v107
	v_lshlrev_b32_e32 v106, 30, v107
	v_lshlrev_b32_e32 v108, 29, v107
	;; [unrolled: 1-line block ×4, first 2 shown]
	v_add_co_u32 v22, s20, v22, -1
	v_cndmask_b32_e64 v110, 0, 1, s20
	v_not_b32_e32 v114, v106
	v_cmp_gt_i32_e64 s20, 0, v106
	v_not_b32_e32 v106, v108
	v_lshlrev_b32_e32 v112, 26, v107
	v_cmp_ne_u32_e32 vcc_lo, 0, v110
	v_ashrrev_i32_e32 v114, 31, v114
	v_lshlrev_b32_e32 v113, 25, v107
	v_ashrrev_i32_e32 v106, 31, v106
	v_lshlrev_b32_e32 v110, 24, v107
	v_xor_b32_e32 v22, vcc_lo, v22
	v_cmp_gt_i32_e32 vcc_lo, 0, v108
	v_not_b32_e32 v108, v109
	v_xor_b32_e32 v114, s20, v114
	v_cmp_gt_i32_e64 s20, 0, v109
	v_and_b32_e32 v22, exec_lo, v22
	v_not_b32_e32 v109, v111
	v_ashrrev_i32_e32 v108, 31, v108
	v_xor_b32_e32 v106, vcc_lo, v106
	v_cmp_gt_i32_e32 vcc_lo, 0, v111
	v_and_b32_e32 v22, v22, v114
	v_not_b32_e32 v111, v112
	v_ashrrev_i32_e32 v109, 31, v109
	v_xor_b32_e32 v108, s20, v108
	v_cmp_gt_i32_e64 s20, 0, v112
	v_and_b32_e32 v22, v22, v106
	v_not_b32_e32 v106, v113
	v_ashrrev_i32_e32 v111, 31, v111
	v_xor_b32_e32 v109, vcc_lo, v109
	v_cmp_gt_i32_e32 vcc_lo, 0, v113
	v_and_b32_e32 v22, v22, v108
	v_not_b32_e32 v108, v110
	v_ashrrev_i32_e32 v106, 31, v106
	v_xor_b32_e32 v111, s20, v111
	v_cmp_gt_i32_e64 s20, 0, v110
	v_and_b32_e32 v22, v22, v109
	v_ashrrev_i32_e32 v108, 31, v108
	v_xor_b32_e32 v106, vcc_lo, v106
	v_mul_u32_u24_e32 v107, 36, v107
	v_and_b32_e32 v22, v22, v111
	v_xor_b32_e32 v108, s20, v108
	v_and_b32_e32 v22, v22, v106
	v_and_b32_e32 v22, v22, v108
	v_add_nc_u32_e32 v108, v96, v107
	v_mbcnt_lo_u32_b32 v106, v22, 0
	v_cmp_ne_u32_e64 s20, 0, v22
	v_cmp_eq_u32_e32 vcc_lo, 0, v106
	s_and_b32 s21, s20, vcc_lo
	s_and_saveexec_b32 s20, s21
; %bb.249:                              ;   in Loop: Header=BB1841_228 Depth=2
	v_bcnt_u32_b32 v22, v22, 0
	ds_write_b32 v108, v22 offset:1056
; %bb.250:                              ;   in Loop: Header=BB1841_228 Depth=2
	s_or_b32 exec_lo, exec_lo, s20
	v_cmp_lt_i16_e32 vcc_lo, -1, v28
	; wave barrier
	v_cndmask_b32_e64 v22, -1, 0xffff8000, vcc_lo
	v_xor_b32_e32 v107, v22, v28
	v_cmp_ne_u16_e32 vcc_lo, 0x7fff, v107
	v_cndmask_b32_e32 v22, 0xffff8000, v107, vcc_lo
	v_lshrrev_b32_sdwa v22, s42, v22 dst_sel:DWORD dst_unused:UNUSED_PAD src0_sel:DWORD src1_sel:WORD_0
	v_and_b32_e32 v28, s43, v22
	v_and_b32_e32 v22, 1, v28
	v_lshlrev_b32_e32 v109, 30, v28
	v_lshlrev_b32_e32 v110, 29, v28
	;; [unrolled: 1-line block ×4, first 2 shown]
	v_add_co_u32 v22, s20, v22, -1
	v_cndmask_b32_e64 v112, 0, 1, s20
	v_not_b32_e32 v116, v109
	v_cmp_gt_i32_e64 s20, 0, v109
	v_not_b32_e32 v109, v110
	v_lshlrev_b32_e32 v114, 26, v28
	v_cmp_ne_u32_e32 vcc_lo, 0, v112
	v_ashrrev_i32_e32 v116, 31, v116
	v_lshlrev_b32_e32 v115, 25, v28
	v_ashrrev_i32_e32 v109, 31, v109
	v_lshlrev_b32_e32 v112, 24, v28
	v_xor_b32_e32 v22, vcc_lo, v22
	v_cmp_gt_i32_e32 vcc_lo, 0, v110
	v_not_b32_e32 v110, v111
	v_xor_b32_e32 v116, s20, v116
	v_cmp_gt_i32_e64 s20, 0, v111
	v_and_b32_e32 v22, exec_lo, v22
	v_not_b32_e32 v111, v113
	v_ashrrev_i32_e32 v110, 31, v110
	v_xor_b32_e32 v109, vcc_lo, v109
	v_cmp_gt_i32_e32 vcc_lo, 0, v113
	v_and_b32_e32 v22, v22, v116
	v_not_b32_e32 v113, v114
	v_ashrrev_i32_e32 v111, 31, v111
	v_xor_b32_e32 v110, s20, v110
	v_cmp_gt_i32_e64 s20, 0, v114
	v_and_b32_e32 v22, v22, v109
	v_not_b32_e32 v109, v115
	v_ashrrev_i32_e32 v113, 31, v113
	v_xor_b32_e32 v111, vcc_lo, v111
	v_cmp_gt_i32_e32 vcc_lo, 0, v115
	v_and_b32_e32 v22, v22, v110
	v_not_b32_e32 v110, v112
	v_ashrrev_i32_e32 v109, 31, v109
	v_xor_b32_e32 v113, s20, v113
	v_cmp_gt_i32_e64 s20, 0, v112
	v_and_b32_e32 v22, v22, v111
	v_ashrrev_i32_e32 v110, 31, v110
	v_xor_b32_e32 v109, vcc_lo, v109
	v_mad_u32_u24 v111, v28, 36, v96
	v_mul_u32_u24_e32 v28, 36, v28
	v_and_b32_e32 v22, v22, v113
	v_xor_b32_e32 v110, s20, v110
	v_add_nc_u32_e32 v112, v96, v28
	v_and_b32_e32 v22, v22, v109
	ds_read_b32 v109, v111 offset:1056
	; wave barrier
	v_and_b32_e32 v22, v22, v110
	v_mbcnt_lo_u32_b32 v110, v22, 0
	v_cmp_ne_u32_e64 s20, 0, v22
	v_cmp_eq_u32_e32 vcc_lo, 0, v110
	s_and_b32 s21, s20, vcc_lo
	s_and_saveexec_b32 s20, s21
	s_cbranch_execz .LBB1841_252
; %bb.251:                              ;   in Loop: Header=BB1841_228 Depth=2
	s_waitcnt lgkmcnt(0)
	v_bcnt_u32_b32 v22, v22, v109
	ds_write_b32 v112, v22 offset:1056
.LBB1841_252:                           ;   in Loop: Header=BB1841_228 Depth=2
	s_or_b32 exec_lo, exec_lo, s20
	v_cmp_lt_i16_e32 vcc_lo, -1, v27
	; wave barrier
	v_cndmask_b32_e64 v22, -1, 0xffff8000, vcc_lo
	v_xor_b32_e32 v111, v22, v27
	v_cmp_ne_u16_e32 vcc_lo, 0x7fff, v111
	v_cndmask_b32_e32 v22, 0xffff8000, v111, vcc_lo
	v_lshrrev_b32_sdwa v22, s42, v22 dst_sel:DWORD dst_unused:UNUSED_PAD src0_sel:DWORD src1_sel:WORD_0
	v_and_b32_e32 v27, s43, v22
	v_and_b32_e32 v22, 1, v27
	v_lshlrev_b32_e32 v28, 30, v27
	v_lshlrev_b32_e32 v113, 29, v27
	;; [unrolled: 1-line block ×4, first 2 shown]
	v_add_co_u32 v22, s20, v22, -1
	v_cndmask_b32_e64 v115, 0, 1, s20
	v_not_b32_e32 v119, v28
	v_cmp_gt_i32_e64 s20, 0, v28
	v_not_b32_e32 v28, v113
	v_lshlrev_b32_e32 v117, 26, v27
	v_cmp_ne_u32_e32 vcc_lo, 0, v115
	v_ashrrev_i32_e32 v119, 31, v119
	v_lshlrev_b32_e32 v118, 25, v27
	v_ashrrev_i32_e32 v28, 31, v28
	v_lshlrev_b32_e32 v115, 24, v27
	v_xor_b32_e32 v22, vcc_lo, v22
	v_cmp_gt_i32_e32 vcc_lo, 0, v113
	v_not_b32_e32 v113, v114
	v_xor_b32_e32 v119, s20, v119
	v_cmp_gt_i32_e64 s20, 0, v114
	v_and_b32_e32 v22, exec_lo, v22
	v_not_b32_e32 v114, v116
	v_ashrrev_i32_e32 v113, 31, v113
	v_xor_b32_e32 v28, vcc_lo, v28
	v_cmp_gt_i32_e32 vcc_lo, 0, v116
	v_and_b32_e32 v22, v22, v119
	v_not_b32_e32 v116, v117
	v_ashrrev_i32_e32 v114, 31, v114
	v_xor_b32_e32 v113, s20, v113
	v_cmp_gt_i32_e64 s20, 0, v117
	v_and_b32_e32 v22, v22, v28
	v_not_b32_e32 v28, v118
	v_ashrrev_i32_e32 v116, 31, v116
	v_xor_b32_e32 v114, vcc_lo, v114
	v_cmp_gt_i32_e32 vcc_lo, 0, v118
	v_and_b32_e32 v22, v22, v113
	v_not_b32_e32 v113, v115
	v_ashrrev_i32_e32 v28, 31, v28
	v_xor_b32_e32 v116, s20, v116
	v_cmp_gt_i32_e64 s20, 0, v115
	v_and_b32_e32 v22, v22, v114
	v_ashrrev_i32_e32 v113, 31, v113
	v_xor_b32_e32 v28, vcc_lo, v28
	v_mad_u32_u24 v114, v27, 36, v96
	v_mul_u32_u24_e32 v27, 36, v27
	v_and_b32_e32 v22, v22, v116
	v_xor_b32_e32 v115, s20, v113
	ds_read_b32 v113, v114 offset:1056
	v_add_nc_u32_e32 v116, v96, v27
	v_and_b32_e32 v22, v22, v28
	; wave barrier
	v_and_b32_e32 v22, v22, v115
	v_mbcnt_lo_u32_b32 v115, v22, 0
	v_cmp_ne_u32_e64 s20, 0, v22
	v_cmp_eq_u32_e32 vcc_lo, 0, v115
	s_and_b32 s21, s20, vcc_lo
	s_and_saveexec_b32 s20, s21
	s_cbranch_execz .LBB1841_254
; %bb.253:                              ;   in Loop: Header=BB1841_228 Depth=2
	s_waitcnt lgkmcnt(0)
	v_bcnt_u32_b32 v22, v22, v113
	ds_write_b32 v116, v22 offset:1056
.LBB1841_254:                           ;   in Loop: Header=BB1841_228 Depth=2
	s_or_b32 exec_lo, exec_lo, s20
	v_cmp_lt_i16_e32 vcc_lo, -1, v26
	; wave barrier
	v_cndmask_b32_e64 v22, -1, 0xffff8000, vcc_lo
	v_xor_b32_e32 v114, v22, v26
	v_cmp_ne_u16_e32 vcc_lo, 0x7fff, v114
	v_cndmask_b32_e32 v22, 0xffff8000, v114, vcc_lo
	v_lshrrev_b32_sdwa v22, s42, v22 dst_sel:DWORD dst_unused:UNUSED_PAD src0_sel:DWORD src1_sel:WORD_0
	v_and_b32_e32 v26, s43, v22
	v_and_b32_e32 v22, 1, v26
	v_lshlrev_b32_e32 v27, 30, v26
	v_lshlrev_b32_e32 v28, 29, v26
	;; [unrolled: 1-line block ×4, first 2 shown]
	v_add_co_u32 v22, s20, v22, -1
	v_cndmask_b32_e64 v118, 0, 1, s20
	v_not_b32_e32 v122, v27
	v_cmp_gt_i32_e64 s20, 0, v27
	v_not_b32_e32 v27, v28
	v_lshlrev_b32_e32 v120, 26, v26
	v_cmp_ne_u32_e32 vcc_lo, 0, v118
	v_ashrrev_i32_e32 v122, 31, v122
	v_lshlrev_b32_e32 v121, 25, v26
	v_ashrrev_i32_e32 v27, 31, v27
	v_lshlrev_b32_e32 v118, 24, v26
	v_xor_b32_e32 v22, vcc_lo, v22
	v_cmp_gt_i32_e32 vcc_lo, 0, v28
	v_not_b32_e32 v28, v117
	v_xor_b32_e32 v122, s20, v122
	v_cmp_gt_i32_e64 s20, 0, v117
	v_and_b32_e32 v22, exec_lo, v22
	v_not_b32_e32 v117, v119
	v_ashrrev_i32_e32 v28, 31, v28
	v_xor_b32_e32 v27, vcc_lo, v27
	v_cmp_gt_i32_e32 vcc_lo, 0, v119
	v_and_b32_e32 v22, v22, v122
	v_not_b32_e32 v119, v120
	v_ashrrev_i32_e32 v117, 31, v117
	v_xor_b32_e32 v28, s20, v28
	v_cmp_gt_i32_e64 s20, 0, v120
	v_and_b32_e32 v22, v22, v27
	v_not_b32_e32 v27, v121
	v_ashrrev_i32_e32 v119, 31, v119
	v_xor_b32_e32 v117, vcc_lo, v117
	v_cmp_gt_i32_e32 vcc_lo, 0, v121
	v_and_b32_e32 v22, v22, v28
	v_not_b32_e32 v28, v118
	v_ashrrev_i32_e32 v27, 31, v27
	v_xor_b32_e32 v119, s20, v119
	v_cmp_gt_i32_e64 s20, 0, v118
	v_and_b32_e32 v22, v22, v117
	v_ashrrev_i32_e32 v28, 31, v28
	v_xor_b32_e32 v27, vcc_lo, v27
	v_mad_u32_u24 v117, v26, 36, v96
	v_mul_u32_u24_e32 v26, 36, v26
	v_and_b32_e32 v22, v22, v119
	v_xor_b32_e32 v28, s20, v28
	ds_read_b32 v117, v117 offset:1056
	v_add_nc_u32_e32 v120, v96, v26
	v_and_b32_e32 v22, v22, v27
	; wave barrier
	v_and_b32_e32 v22, v22, v28
	v_mbcnt_lo_u32_b32 v119, v22, 0
	v_cmp_ne_u32_e64 s20, 0, v22
	v_cmp_eq_u32_e32 vcc_lo, 0, v119
	s_and_b32 s21, s20, vcc_lo
	s_and_saveexec_b32 s20, s21
	s_cbranch_execz .LBB1841_256
; %bb.255:                              ;   in Loop: Header=BB1841_228 Depth=2
	s_waitcnt lgkmcnt(0)
	v_bcnt_u32_b32 v22, v22, v117
	ds_write_b32 v120, v22 offset:1056
.LBB1841_256:                           ;   in Loop: Header=BB1841_228 Depth=2
	s_or_b32 exec_lo, exec_lo, s20
	v_cmp_lt_i16_e32 vcc_lo, -1, v25
	; wave barrier
	v_cndmask_b32_e64 v22, -1, 0xffff8000, vcc_lo
	v_xor_b32_e32 v118, v22, v25
	v_cmp_ne_u16_e32 vcc_lo, 0x7fff, v118
	v_cndmask_b32_e32 v22, 0xffff8000, v118, vcc_lo
	v_lshrrev_b32_sdwa v22, s42, v22 dst_sel:DWORD dst_unused:UNUSED_PAD src0_sel:DWORD src1_sel:WORD_0
	v_and_b32_e32 v25, s43, v22
	v_and_b32_e32 v22, 1, v25
	v_lshlrev_b32_e32 v26, 30, v25
	v_lshlrev_b32_e32 v27, 29, v25
	;; [unrolled: 1-line block ×4, first 2 shown]
	v_add_co_u32 v22, s20, v22, -1
	v_cndmask_b32_e64 v121, 0, 1, s20
	v_not_b32_e32 v125, v26
	v_cmp_gt_i32_e64 s20, 0, v26
	v_not_b32_e32 v26, v27
	v_lshlrev_b32_e32 v123, 26, v25
	v_cmp_ne_u32_e32 vcc_lo, 0, v121
	v_ashrrev_i32_e32 v125, 31, v125
	v_lshlrev_b32_e32 v124, 25, v25
	v_ashrrev_i32_e32 v26, 31, v26
	v_lshlrev_b32_e32 v121, 24, v25
	v_xor_b32_e32 v22, vcc_lo, v22
	v_cmp_gt_i32_e32 vcc_lo, 0, v27
	v_not_b32_e32 v27, v28
	v_xor_b32_e32 v125, s20, v125
	v_cmp_gt_i32_e64 s20, 0, v28
	v_and_b32_e32 v22, exec_lo, v22
	v_not_b32_e32 v28, v122
	v_ashrrev_i32_e32 v27, 31, v27
	v_xor_b32_e32 v26, vcc_lo, v26
	v_cmp_gt_i32_e32 vcc_lo, 0, v122
	v_and_b32_e32 v22, v22, v125
	v_not_b32_e32 v122, v123
	v_ashrrev_i32_e32 v28, 31, v28
	v_xor_b32_e32 v27, s20, v27
	v_cmp_gt_i32_e64 s20, 0, v123
	v_and_b32_e32 v22, v22, v26
	v_not_b32_e32 v26, v124
	v_ashrrev_i32_e32 v122, 31, v122
	v_xor_b32_e32 v28, vcc_lo, v28
	v_cmp_gt_i32_e32 vcc_lo, 0, v124
	v_and_b32_e32 v22, v22, v27
	v_not_b32_e32 v27, v121
	v_ashrrev_i32_e32 v26, 31, v26
	v_xor_b32_e32 v122, s20, v122
	v_cmp_gt_i32_e64 s20, 0, v121
	v_and_b32_e32 v22, v22, v28
	v_ashrrev_i32_e32 v27, 31, v27
	v_xor_b32_e32 v26, vcc_lo, v26
	v_mad_u32_u24 v28, v25, 36, v96
	v_mul_u32_u24_e32 v25, 36, v25
	v_and_b32_e32 v22, v22, v122
	v_xor_b32_e32 v27, s20, v27
	ds_read_b32 v121, v28 offset:1056
	v_add_nc_u32_e32 v124, v96, v25
	v_and_b32_e32 v22, v22, v26
	; wave barrier
	v_and_b32_e32 v22, v22, v27
	v_mbcnt_lo_u32_b32 v123, v22, 0
	v_cmp_ne_u32_e64 s20, 0, v22
	v_cmp_eq_u32_e32 vcc_lo, 0, v123
	s_and_b32 s21, s20, vcc_lo
	s_and_saveexec_b32 s20, s21
	s_cbranch_execz .LBB1841_258
; %bb.257:                              ;   in Loop: Header=BB1841_228 Depth=2
	s_waitcnt lgkmcnt(0)
	v_bcnt_u32_b32 v22, v22, v121
	ds_write_b32 v124, v22 offset:1056
.LBB1841_258:                           ;   in Loop: Header=BB1841_228 Depth=2
	s_or_b32 exec_lo, exec_lo, s20
	v_cmp_lt_i16_e32 vcc_lo, -1, v24
	; wave barrier
	v_cndmask_b32_e64 v22, -1, 0xffff8000, vcc_lo
	v_xor_b32_e32 v122, v22, v24
	v_cmp_ne_u16_e32 vcc_lo, 0x7fff, v122
	v_cndmask_b32_e32 v22, 0xffff8000, v122, vcc_lo
	v_lshrrev_b32_sdwa v22, s42, v22 dst_sel:DWORD dst_unused:UNUSED_PAD src0_sel:DWORD src1_sel:WORD_0
	v_and_b32_e32 v24, s43, v22
	v_and_b32_e32 v22, 1, v24
	v_lshlrev_b32_e32 v25, 30, v24
	v_lshlrev_b32_e32 v26, 29, v24
	;; [unrolled: 1-line block ×4, first 2 shown]
	v_add_co_u32 v22, s20, v22, -1
	v_cndmask_b32_e64 v28, 0, 1, s20
	v_not_b32_e32 v128, v25
	v_cmp_gt_i32_e64 s20, 0, v25
	v_not_b32_e32 v25, v26
	v_lshlrev_b32_e32 v126, 26, v24
	v_cmp_ne_u32_e32 vcc_lo, 0, v28
	v_ashrrev_i32_e32 v128, 31, v128
	v_lshlrev_b32_e32 v127, 25, v24
	v_ashrrev_i32_e32 v25, 31, v25
	v_lshlrev_b32_e32 v28, 24, v24
	v_xor_b32_e32 v22, vcc_lo, v22
	v_cmp_gt_i32_e32 vcc_lo, 0, v26
	v_not_b32_e32 v26, v27
	v_xor_b32_e32 v128, s20, v128
	v_cmp_gt_i32_e64 s20, 0, v27
	v_and_b32_e32 v22, exec_lo, v22
	v_not_b32_e32 v27, v125
	v_ashrrev_i32_e32 v26, 31, v26
	v_xor_b32_e32 v25, vcc_lo, v25
	v_cmp_gt_i32_e32 vcc_lo, 0, v125
	v_and_b32_e32 v22, v22, v128
	v_not_b32_e32 v125, v126
	v_ashrrev_i32_e32 v27, 31, v27
	v_xor_b32_e32 v26, s20, v26
	v_cmp_gt_i32_e64 s20, 0, v126
	v_and_b32_e32 v22, v22, v25
	v_not_b32_e32 v25, v127
	v_ashrrev_i32_e32 v125, 31, v125
	v_xor_b32_e32 v27, vcc_lo, v27
	v_cmp_gt_i32_e32 vcc_lo, 0, v127
	v_and_b32_e32 v22, v22, v26
	v_not_b32_e32 v26, v28
	v_ashrrev_i32_e32 v25, 31, v25
	v_xor_b32_e32 v125, s20, v125
	v_cmp_gt_i32_e64 s20, 0, v28
	v_and_b32_e32 v22, v22, v27
	v_ashrrev_i32_e32 v26, 31, v26
	v_xor_b32_e32 v25, vcc_lo, v25
	v_mad_u32_u24 v27, v24, 36, v96
	v_mul_u32_u24_e32 v24, 36, v24
	v_and_b32_e32 v22, v22, v125
	v_xor_b32_e32 v26, s20, v26
	ds_read_b32 v125, v27 offset:1056
	v_add_nc_u32_e32 v128, v96, v24
	v_and_b32_e32 v22, v22, v25
	; wave barrier
	v_and_b32_e32 v22, v22, v26
	v_mbcnt_lo_u32_b32 v127, v22, 0
	v_cmp_ne_u32_e64 s20, 0, v22
	v_cmp_eq_u32_e32 vcc_lo, 0, v127
	s_and_b32 s21, s20, vcc_lo
	s_and_saveexec_b32 s20, s21
	s_cbranch_execz .LBB1841_260
; %bb.259:                              ;   in Loop: Header=BB1841_228 Depth=2
	s_waitcnt lgkmcnt(0)
	v_bcnt_u32_b32 v22, v22, v125
	ds_write_b32 v128, v22 offset:1056
.LBB1841_260:                           ;   in Loop: Header=BB1841_228 Depth=2
	s_or_b32 exec_lo, exec_lo, s20
	v_cmp_lt_i16_e32 vcc_lo, -1, v23
	; wave barrier
	v_cndmask_b32_e64 v22, -1, 0xffff8000, vcc_lo
	v_xor_b32_e32 v126, v22, v23
	v_cmp_ne_u16_e32 vcc_lo, 0x7fff, v126
	v_cndmask_b32_e32 v22, 0xffff8000, v126, vcc_lo
	v_lshrrev_b32_sdwa v22, s42, v22 dst_sel:DWORD dst_unused:UNUSED_PAD src0_sel:DWORD src1_sel:WORD_0
	v_and_b32_e32 v23, s43, v22
	v_and_b32_e32 v22, 1, v23
	v_lshlrev_b32_e32 v24, 30, v23
	v_lshlrev_b32_e32 v25, 29, v23
	;; [unrolled: 1-line block ×4, first 2 shown]
	v_add_co_u32 v22, s20, v22, -1
	v_cndmask_b32_e64 v27, 0, 1, s20
	v_not_b32_e32 v131, v24
	v_cmp_gt_i32_e64 s20, 0, v24
	v_not_b32_e32 v24, v25
	v_lshlrev_b32_e32 v129, 26, v23
	v_cmp_ne_u32_e32 vcc_lo, 0, v27
	v_ashrrev_i32_e32 v131, 31, v131
	v_lshlrev_b32_e32 v130, 25, v23
	v_ashrrev_i32_e32 v24, 31, v24
	v_lshlrev_b32_e32 v27, 24, v23
	v_xor_b32_e32 v22, vcc_lo, v22
	v_cmp_gt_i32_e32 vcc_lo, 0, v25
	v_not_b32_e32 v25, v26
	v_xor_b32_e32 v131, s20, v131
	v_cmp_gt_i32_e64 s20, 0, v26
	v_and_b32_e32 v22, exec_lo, v22
	v_not_b32_e32 v26, v28
	v_ashrrev_i32_e32 v25, 31, v25
	v_xor_b32_e32 v24, vcc_lo, v24
	v_cmp_gt_i32_e32 vcc_lo, 0, v28
	v_and_b32_e32 v22, v22, v131
	v_not_b32_e32 v28, v129
	v_ashrrev_i32_e32 v26, 31, v26
	v_xor_b32_e32 v25, s20, v25
	v_cmp_gt_i32_e64 s20, 0, v129
	v_and_b32_e32 v22, v22, v24
	v_not_b32_e32 v24, v130
	v_ashrrev_i32_e32 v28, 31, v28
	v_xor_b32_e32 v26, vcc_lo, v26
	v_cmp_gt_i32_e32 vcc_lo, 0, v130
	v_and_b32_e32 v22, v22, v25
	v_not_b32_e32 v25, v27
	v_ashrrev_i32_e32 v24, 31, v24
	v_xor_b32_e32 v28, s20, v28
	v_cmp_gt_i32_e64 s20, 0, v27
	v_and_b32_e32 v22, v22, v26
	v_ashrrev_i32_e32 v25, 31, v25
	v_xor_b32_e32 v24, vcc_lo, v24
	v_mad_u32_u24 v26, v23, 36, v96
	v_mul_u32_u24_e32 v23, 36, v23
	v_and_b32_e32 v22, v22, v28
	v_xor_b32_e32 v25, s20, v25
	ds_read_b32 v129, v26 offset:1056
	v_add_nc_u32_e32 v132, v96, v23
	v_and_b32_e32 v22, v22, v24
	; wave barrier
	v_and_b32_e32 v22, v22, v25
	v_mbcnt_lo_u32_b32 v131, v22, 0
	v_cmp_ne_u32_e64 s20, 0, v22
	v_cmp_eq_u32_e32 vcc_lo, 0, v131
	s_and_b32 s21, s20, vcc_lo
	s_and_saveexec_b32 s20, s21
	s_cbranch_execz .LBB1841_262
; %bb.261:                              ;   in Loop: Header=BB1841_228 Depth=2
	s_waitcnt lgkmcnt(0)
	v_bcnt_u32_b32 v22, v22, v129
	ds_write_b32 v132, v22 offset:1056
.LBB1841_262:                           ;   in Loop: Header=BB1841_228 Depth=2
	s_or_b32 exec_lo, exec_lo, s20
	v_cmp_lt_i16_e32 vcc_lo, -1, v21
	; wave barrier
	v_cndmask_b32_e64 v22, -1, 0xffff8000, vcc_lo
	v_xor_b32_e32 v130, v22, v21
	v_cmp_ne_u16_e32 vcc_lo, 0x7fff, v130
	v_cndmask_b32_e32 v21, 0xffff8000, v130, vcc_lo
	v_lshrrev_b32_sdwa v21, s42, v21 dst_sel:DWORD dst_unused:UNUSED_PAD src0_sel:DWORD src1_sel:WORD_0
	v_and_b32_e32 v22, s43, v21
	v_and_b32_e32 v21, 1, v22
	v_lshlrev_b32_e32 v23, 30, v22
	v_lshlrev_b32_e32 v24, 29, v22
	;; [unrolled: 1-line block ×4, first 2 shown]
	v_add_co_u32 v21, s20, v21, -1
	v_cndmask_b32_e64 v26, 0, 1, s20
	v_not_b32_e32 v134, v23
	v_cmp_gt_i32_e64 s20, 0, v23
	v_not_b32_e32 v23, v24
	v_lshlrev_b32_e32 v28, 26, v22
	v_cmp_ne_u32_e32 vcc_lo, 0, v26
	v_ashrrev_i32_e32 v134, 31, v134
	v_lshlrev_b32_e32 v133, 25, v22
	v_ashrrev_i32_e32 v23, 31, v23
	v_lshlrev_b32_e32 v26, 24, v22
	v_xor_b32_e32 v21, vcc_lo, v21
	v_cmp_gt_i32_e32 vcc_lo, 0, v24
	v_not_b32_e32 v24, v25
	v_xor_b32_e32 v134, s20, v134
	v_cmp_gt_i32_e64 s20, 0, v25
	v_and_b32_e32 v21, exec_lo, v21
	v_not_b32_e32 v25, v27
	v_ashrrev_i32_e32 v24, 31, v24
	v_xor_b32_e32 v23, vcc_lo, v23
	v_cmp_gt_i32_e32 vcc_lo, 0, v27
	v_and_b32_e32 v21, v21, v134
	v_not_b32_e32 v27, v28
	v_ashrrev_i32_e32 v25, 31, v25
	v_xor_b32_e32 v24, s20, v24
	v_cmp_gt_i32_e64 s20, 0, v28
	v_and_b32_e32 v21, v21, v23
	v_not_b32_e32 v23, v133
	v_ashrrev_i32_e32 v27, 31, v27
	v_xor_b32_e32 v25, vcc_lo, v25
	v_cmp_gt_i32_e32 vcc_lo, 0, v133
	v_and_b32_e32 v21, v21, v24
	v_not_b32_e32 v24, v26
	v_ashrrev_i32_e32 v23, 31, v23
	v_xor_b32_e32 v27, s20, v27
	v_cmp_gt_i32_e64 s20, 0, v26
	v_and_b32_e32 v21, v21, v25
	v_ashrrev_i32_e32 v24, 31, v24
	v_xor_b32_e32 v23, vcc_lo, v23
	v_mad_u32_u24 v25, v22, 36, v96
	v_mul_u32_u24_e32 v22, 36, v22
	v_and_b32_e32 v21, v21, v27
	v_xor_b32_e32 v24, s20, v24
	ds_read_b32 v133, v25 offset:1056
	v_add_nc_u32_e32 v135, v96, v22
	v_and_b32_e32 v21, v21, v23
	; wave barrier
	v_and_b32_e32 v21, v21, v24
	v_mbcnt_lo_u32_b32 v134, v21, 0
	v_cmp_ne_u32_e64 s20, 0, v21
	v_cmp_eq_u32_e32 vcc_lo, 0, v134
	s_and_b32 s21, s20, vcc_lo
	s_and_saveexec_b32 s20, s21
	s_cbranch_execz .LBB1841_264
; %bb.263:                              ;   in Loop: Header=BB1841_228 Depth=2
	s_waitcnt lgkmcnt(0)
	v_bcnt_u32_b32 v21, v21, v133
	ds_write_b32 v135, v21 offset:1056
.LBB1841_264:                           ;   in Loop: Header=BB1841_228 Depth=2
	s_or_b32 exec_lo, exec_lo, s20
	; wave barrier
	s_waitcnt lgkmcnt(0)
	s_barrier
	buffer_gl0_inv
	ds_read2_b32 v[27:28], v78 offset1:1
	ds_read2_b32 v[25:26], v88 offset1:1
	;; [unrolled: 1-line block ×4, first 2 shown]
	ds_read_b32 v136, v44 offset:1088
	s_waitcnt lgkmcnt(3)
	v_add3_u32 v137, v28, v27, v25
	s_waitcnt lgkmcnt(2)
	v_add3_u32 v137, v137, v26, v23
	;; [unrolled: 2-line block ×4, first 2 shown]
	v_mov_b32_dpp v137, v136 row_shr:1 row_mask:0xf bank_mask:0xf
	v_cndmask_b32_e64 v137, v137, 0, s5
	v_add_nc_u32_e32 v136, v137, v136
	v_mov_b32_dpp v137, v136 row_shr:2 row_mask:0xf bank_mask:0xf
	v_cndmask_b32_e64 v137, 0, v137, s13
	v_add_nc_u32_e32 v136, v136, v137
	;; [unrolled: 3-line block ×4, first 2 shown]
	ds_swizzle_b32 v137, v136 offset:swizzle(BROADCAST,32,15)
	s_waitcnt lgkmcnt(0)
	v_cndmask_b32_e64 v137, v137, 0, s16
	v_add_nc_u32_e32 v136, v136, v137
	s_and_saveexec_b32 s20, s8
; %bb.265:                              ;   in Loop: Header=BB1841_228 Depth=2
	ds_write_b32 v39, v136 offset:1024
; %bb.266:                              ;   in Loop: Header=BB1841_228 Depth=2
	s_or_b32 exec_lo, exec_lo, s20
	s_waitcnt lgkmcnt(0)
	s_barrier
	buffer_gl0_inv
	s_and_saveexec_b32 s20, s9
	s_cbranch_execz .LBB1841_268
; %bb.267:                              ;   in Loop: Header=BB1841_228 Depth=2
	ds_read_b32 v137, v46 offset:1024
	s_waitcnt lgkmcnt(0)
	v_mov_b32_dpp v138, v137 row_shr:1 row_mask:0xf bank_mask:0xf
	v_cndmask_b32_e64 v138, v138, 0, s17
	v_add_nc_u32_e32 v137, v138, v137
	v_mov_b32_dpp v138, v137 row_shr:2 row_mask:0xf bank_mask:0xf
	v_cndmask_b32_e64 v138, 0, v138, s18
	v_add_nc_u32_e32 v137, v137, v138
	;; [unrolled: 3-line block ×3, first 2 shown]
	ds_write_b32 v46, v137 offset:1024
.LBB1841_268:                           ;   in Loop: Header=BB1841_228 Depth=2
	s_or_b32 exec_lo, exec_lo, s20
	v_mov_b32_e32 v137, 0
	s_waitcnt lgkmcnt(0)
	s_barrier
	buffer_gl0_inv
	s_and_saveexec_b32 s20, s10
; %bb.269:                              ;   in Loop: Header=BB1841_228 Depth=2
	ds_read_b32 v137, v39 offset:1020
; %bb.270:                              ;   in Loop: Header=BB1841_228 Depth=2
	s_or_b32 exec_lo, exec_lo, s20
	s_waitcnt lgkmcnt(0)
	v_add_nc_u32_e32 v136, v137, v136
	ds_bpermute_b32 v136, v91, v136
	s_waitcnt lgkmcnt(0)
	v_cndmask_b32_e64 v136, v136, v137, s12
	v_cndmask_b32_e64 v136, v136, 0, s4
	v_add_nc_u32_e32 v27, v136, v27
	v_add_nc_u32_e32 v28, v27, v28
	;; [unrolled: 1-line block ×8, first 2 shown]
	ds_write2_b32 v78, v136, v27 offset1:1
	ds_write2_b32 v88, v28, v25 offset1:1
	;; [unrolled: 1-line block ×4, first 2 shown]
	ds_write_b32 v44, v22 offset:1088
	s_waitcnt lgkmcnt(0)
	s_barrier
	buffer_gl0_inv
	ds_read_b32 v24, v108 offset:1056
	ds_read_b32 v25, v112 offset:1056
	;; [unrolled: 1-line block ×9, first 2 shown]
	v_mov_b32_e32 v23, 0x800
	s_and_saveexec_b32 s20, s11
; %bb.271:                              ;   in Loop: Header=BB1841_228 Depth=2
	ds_read_b32 v23, v44 offset:1092
; %bb.272:                              ;   in Loop: Header=BB1841_228 Depth=2
	s_or_b32 exec_lo, exec_lo, s20
	s_waitcnt lgkmcnt(0)
	s_barrier
	buffer_gl0_inv
	s_and_saveexec_b32 s20, s7
	s_cbranch_execz .LBB1841_274
; %bb.273:                              ;   in Loop: Header=BB1841_228 Depth=2
	ds_read_b32 v112, v29
	s_waitcnt lgkmcnt(0)
	v_sub_nc_u32_e32 v108, v112, v108
	ds_write_b32 v29, v108
.LBB1841_274:                           ;   in Loop: Header=BB1841_228 Depth=2
	s_or_b32 exec_lo, exec_lo, s20
	v_add_nc_u32_e32 v112, v24, v106
	v_add3_u32 v108, v110, v109, v25
	v_add3_u32 v106, v115, v113, v26
	;; [unrolled: 1-line block ×4, first 2 shown]
	v_lshlrev_b32_e32 v109, 1, v112
	v_lshlrev_b32_e32 v110, 1, v108
	v_add3_u32 v27, v131, v129, v22
	v_lshlrev_b32_e32 v22, 1, v106
	v_add3_u32 v28, v134, v133, v21
	ds_write_b16 v109, v3 offset:1024
	ds_write_b16 v110, v107 offset:1024
	v_lshlrev_b32_e32 v3, 1, v26
	v_add3_u32 v24, v127, v125, v116
	ds_write_b16 v22, v111 offset:1024
	v_lshlrev_b32_e32 v21, 1, v25
	v_cmp_lt_u32_e32 vcc_lo, v0, v105
	ds_write_b16 v3, v114 offset:1024
	v_lshlrev_b32_e32 v3, 1, v28
	v_lshlrev_b32_e32 v22, 1, v24
	;; [unrolled: 1-line block ×3, first 2 shown]
	ds_write_b16 v21, v118 offset:1024
	ds_write_b16 v22, v122 offset:1024
	;; [unrolled: 1-line block ×4, first 2 shown]
	s_waitcnt lgkmcnt(0)
	s_barrier
	buffer_gl0_inv
	s_and_saveexec_b32 s21, vcc_lo
	s_cbranch_execnz .LBB1841_311
; %bb.275:                              ;   in Loop: Header=BB1841_228 Depth=2
	s_or_b32 exec_lo, exec_lo, s21
	v_cmp_lt_u32_e64 s20, v30, v105
	s_and_saveexec_b32 s22, s20
	s_cbranch_execnz .LBB1841_312
.LBB1841_276:                           ;   in Loop: Header=BB1841_228 Depth=2
	s_or_b32 exec_lo, exec_lo, s22
	v_cmp_lt_u32_e64 s21, v31, v105
	s_and_saveexec_b32 s23, s21
	s_cbranch_execnz .LBB1841_313
.LBB1841_277:                           ;   in Loop: Header=BB1841_228 Depth=2
	s_or_b32 exec_lo, exec_lo, s23
	v_cmp_lt_u32_e64 s22, v32, v105
	s_and_saveexec_b32 s24, s22
	s_cbranch_execnz .LBB1841_314
.LBB1841_278:                           ;   in Loop: Header=BB1841_228 Depth=2
	s_or_b32 exec_lo, exec_lo, s24
	v_cmp_lt_u32_e64 s23, v35, v105
	s_and_saveexec_b32 s25, s23
	s_cbranch_execnz .LBB1841_315
.LBB1841_279:                           ;   in Loop: Header=BB1841_228 Depth=2
	s_or_b32 exec_lo, exec_lo, s25
	v_cmp_lt_u32_e64 s24, v36, v105
	s_and_saveexec_b32 s26, s24
	s_cbranch_execnz .LBB1841_316
.LBB1841_280:                           ;   in Loop: Header=BB1841_228 Depth=2
	s_or_b32 exec_lo, exec_lo, s26
	v_cmp_lt_u32_e64 s25, v37, v105
	s_and_saveexec_b32 s28, s25
	s_cbranch_execnz .LBB1841_317
.LBB1841_281:                           ;   in Loop: Header=BB1841_228 Depth=2
	s_or_b32 exec_lo, exec_lo, s28
	v_cmp_lt_u32_e64 s26, v38, v105
	s_and_saveexec_b32 s54, s26
	s_cbranch_execz .LBB1841_283
.LBB1841_282:                           ;   in Loop: Header=BB1841_228 Depth=2
	ds_read_u16 v107, v47 offset:4608
	s_waitcnt lgkmcnt(0)
	v_cmp_ne_u16_e64 s28, 0x7fff, v107
	v_cndmask_b32_e64 v3, 0xffff8000, v107, s28
	v_cmp_lt_i16_e64 s28, -1, v107
	v_lshrrev_b32_sdwa v3, s42, v3 dst_sel:DWORD dst_unused:UNUSED_PAD src0_sel:DWORD src1_sel:WORD_0
	v_cndmask_b32_e64 v109, 0xffff8000, -1, s28
	v_and_b32_e32 v3, s43, v3
	v_lshlrev_b32_e32 v3, 2, v3
	ds_read_b32 v3, v3
	s_waitcnt lgkmcnt(0)
	v_add_nc_u32_e32 v3, v3, v38
	v_lshlrev_b64 v[21:22], 1, v[3:4]
	v_xor_b32_e32 v3, v109, v107
	v_add_co_u32 v21, s28, s40, v21
	v_add_co_ci_u32_e64 v22, null, s41, v22, s28
	global_store_short v[21:22], v3, off
.LBB1841_283:                           ;   in Loop: Header=BB1841_228 Depth=2
	s_or_b32 exec_lo, exec_lo, s54
	s_lshl_b64 s[54:55], s[34:35], 3
	v_add_co_u32 v21, s28, v92, s54
	v_add_co_ci_u32_e64 v22, null, s55, v93, s28
	v_cmp_lt_u32_e64 s28, v66, v105
	s_and_saveexec_b32 s34, s28
	s_xor_b32 s28, exec_lo, s34
	s_cbranch_execnz .LBB1841_318
; %bb.284:                              ;   in Loop: Header=BB1841_228 Depth=2
	s_or_b32 exec_lo, exec_lo, s28
	s_mov_b32 s34, exec_lo
	v_cmpx_lt_u32_e64 v70, v105
	s_cbranch_execnz .LBB1841_319
.LBB1841_285:                           ;   in Loop: Header=BB1841_228 Depth=2
	s_or_b32 exec_lo, exec_lo, s34
	s_mov_b32 s34, exec_lo
	v_cmpx_lt_u32_e64 v71, v105
	s_cbranch_execnz .LBB1841_320
.LBB1841_286:                           ;   in Loop: Header=BB1841_228 Depth=2
	s_or_b32 exec_lo, exec_lo, s34
	s_mov_b32 s34, exec_lo
	v_cmpx_lt_u32_e64 v72, v105
	s_cbranch_execnz .LBB1841_321
.LBB1841_287:                           ;   in Loop: Header=BB1841_228 Depth=2
	s_or_b32 exec_lo, exec_lo, s34
	s_mov_b32 s34, exec_lo
	v_cmpx_lt_u32_e64 v73, v105
	s_cbranch_execnz .LBB1841_322
.LBB1841_288:                           ;   in Loop: Header=BB1841_228 Depth=2
	s_or_b32 exec_lo, exec_lo, s34
	s_mov_b32 s34, exec_lo
	v_cmpx_lt_u32_e64 v74, v105
	s_cbranch_execnz .LBB1841_323
.LBB1841_289:                           ;   in Loop: Header=BB1841_228 Depth=2
	s_or_b32 exec_lo, exec_lo, s34
	s_mov_b32 s34, exec_lo
	v_cmpx_lt_u32_e64 v75, v105
	s_cbranch_execnz .LBB1841_324
.LBB1841_290:                           ;   in Loop: Header=BB1841_228 Depth=2
	s_or_b32 exec_lo, exec_lo, s34
	s_mov_b32 s34, exec_lo
	v_cmpx_lt_u32_e64 v76, v105
	s_cbranch_execnz .LBB1841_325
.LBB1841_291:                           ;   in Loop: Header=BB1841_228 Depth=2
	s_or_b32 exec_lo, exec_lo, s34
	s_and_saveexec_b32 s34, vcc_lo
	s_cbranch_execnz .LBB1841_326
.LBB1841_292:                           ;   in Loop: Header=BB1841_228 Depth=2
	s_or_b32 exec_lo, exec_lo, s34
	s_and_saveexec_b32 s34, s20
	s_cbranch_execnz .LBB1841_327
.LBB1841_293:                           ;   in Loop: Header=BB1841_228 Depth=2
	s_or_b32 exec_lo, exec_lo, s34
	s_and_saveexec_b32 s34, s21
	s_cbranch_execnz .LBB1841_328
.LBB1841_294:                           ;   in Loop: Header=BB1841_228 Depth=2
	s_or_b32 exec_lo, exec_lo, s34
	s_and_saveexec_b32 s34, s22
	s_cbranch_execnz .LBB1841_329
.LBB1841_295:                           ;   in Loop: Header=BB1841_228 Depth=2
	s_or_b32 exec_lo, exec_lo, s34
	s_and_saveexec_b32 s34, s23
	s_cbranch_execnz .LBB1841_330
.LBB1841_296:                           ;   in Loop: Header=BB1841_228 Depth=2
	s_or_b32 exec_lo, exec_lo, s34
	s_and_saveexec_b32 s34, s24
	s_cbranch_execnz .LBB1841_331
.LBB1841_297:                           ;   in Loop: Header=BB1841_228 Depth=2
	s_or_b32 exec_lo, exec_lo, s34
	s_and_saveexec_b32 s34, s25
	s_cbranch_execnz .LBB1841_332
.LBB1841_298:                           ;   in Loop: Header=BB1841_228 Depth=2
	s_or_b32 exec_lo, exec_lo, s34
	s_and_saveexec_b32 s34, s26
	s_cbranch_execz .LBB1841_300
.LBB1841_299:                           ;   in Loop: Header=BB1841_228 Depth=2
	ds_read_u16 v3, v47 offset:4608
	s_waitcnt lgkmcnt(0)
	v_cmp_ne_u16_e64 s28, 0x7fff, v3
	v_cndmask_b32_e64 v3, 0xffff8000, v3, s28
	v_lshrrev_b32_sdwa v3, s42, v3 dst_sel:DWORD dst_unused:UNUSED_PAD src0_sel:DWORD src1_sel:WORD_0
	v_and_b32_e32 v97, s43, v3
.LBB1841_300:                           ;   in Loop: Header=BB1841_228 Depth=2
	s_or_b32 exec_lo, exec_lo, s34
	v_lshlrev_b32_e32 v3, 3, v112
	v_lshlrev_b32_e32 v21, 3, v108
	;; [unrolled: 1-line block ×3, first 2 shown]
	s_waitcnt vmcnt(0)
	s_waitcnt_vscnt null, 0x0
	s_barrier
	buffer_gl0_inv
	ds_write_b64 v3, v[19:20] offset:1024
	ds_write_b64 v21, v[17:18] offset:1024
	;; [unrolled: 1-line block ×3, first 2 shown]
	v_lshlrev_b32_e32 v3, 3, v26
	v_lshlrev_b32_e32 v21, 3, v25
	;; [unrolled: 1-line block ×5, first 2 shown]
	ds_write_b64 v3, v[13:14] offset:1024
	ds_write_b64 v21, v[11:12] offset:1024
	;; [unrolled: 1-line block ×5, first 2 shown]
	s_waitcnt lgkmcnt(0)
	s_barrier
	buffer_gl0_inv
	s_and_saveexec_b32 s28, vcc_lo
	s_cbranch_execnz .LBB1841_333
; %bb.301:                              ;   in Loop: Header=BB1841_228 Depth=2
	s_or_b32 exec_lo, exec_lo, s28
	s_and_saveexec_b32 s28, s20
	s_cbranch_execnz .LBB1841_334
.LBB1841_302:                           ;   in Loop: Header=BB1841_228 Depth=2
	s_or_b32 exec_lo, exec_lo, s28
	s_and_saveexec_b32 s20, s21
	s_cbranch_execnz .LBB1841_335
.LBB1841_303:                           ;   in Loop: Header=BB1841_228 Depth=2
	s_or_b32 exec_lo, exec_lo, s20
	s_and_saveexec_b32 s20, s22
	s_cbranch_execnz .LBB1841_336
.LBB1841_304:                           ;   in Loop: Header=BB1841_228 Depth=2
	s_or_b32 exec_lo, exec_lo, s20
	s_and_saveexec_b32 s20, s23
	s_cbranch_execnz .LBB1841_337
.LBB1841_305:                           ;   in Loop: Header=BB1841_228 Depth=2
	s_or_b32 exec_lo, exec_lo, s20
	s_and_saveexec_b32 s20, s24
	s_cbranch_execnz .LBB1841_338
.LBB1841_306:                           ;   in Loop: Header=BB1841_228 Depth=2
	s_or_b32 exec_lo, exec_lo, s20
	s_and_saveexec_b32 s20, s25
	s_cbranch_execnz .LBB1841_339
.LBB1841_307:                           ;   in Loop: Header=BB1841_228 Depth=2
	s_or_b32 exec_lo, exec_lo, s20
	s_and_saveexec_b32 s20, s26
	s_cbranch_execz .LBB1841_309
.LBB1841_308:                           ;   in Loop: Header=BB1841_228 Depth=2
	v_lshlrev_b32_e32 v3, 2, v97
	v_add_nc_u32_e32 v21, v47, v48
	ds_read_b32 v3, v3
	ds_read_b64 v[21:22], v21 offset:15360
	s_waitcnt lgkmcnt(1)
	v_add_nc_u32_e32 v3, v3, v38
	v_lshlrev_b64 v[24:25], 3, v[3:4]
	v_add_co_u32 v24, vcc_lo, s46, v24
	v_add_co_ci_u32_e64 v25, null, s47, v25, vcc_lo
	s_waitcnt lgkmcnt(0)
	global_store_dwordx2 v[24:25], v[21:22], off
.LBB1841_309:                           ;   in Loop: Header=BB1841_228 Depth=2
	s_or_b32 exec_lo, exec_lo, s20
	s_waitcnt_vscnt null, 0x0
	s_barrier
	buffer_gl0_inv
	s_and_saveexec_b32 s20, s7
	s_cbranch_execz .LBB1841_227
; %bb.310:                              ;   in Loop: Header=BB1841_228 Depth=2
	ds_read_b32 v3, v29
	s_waitcnt lgkmcnt(0)
	v_add_nc_u32_e32 v3, v3, v23
	ds_write_b32 v29, v3
	s_branch .LBB1841_227
.LBB1841_311:                           ;   in Loop: Header=BB1841_228 Depth=2
	ds_read_u16 v107, v47 offset:1024
	s_waitcnt lgkmcnt(0)
	v_cmp_ne_u16_e64 s20, 0x7fff, v107
	v_cndmask_b32_e64 v3, 0xffff8000, v107, s20
	v_cmp_lt_i16_e64 s20, -1, v107
	v_lshrrev_b32_sdwa v3, s42, v3 dst_sel:DWORD dst_unused:UNUSED_PAD src0_sel:DWORD src1_sel:WORD_0
	v_cndmask_b32_e64 v109, 0xffff8000, -1, s20
	v_and_b32_e32 v3, s43, v3
	v_lshlrev_b32_e32 v3, 2, v3
	ds_read_b32 v3, v3
	s_waitcnt lgkmcnt(0)
	v_add_nc_u32_e32 v3, v3, v0
	v_lshlrev_b64 v[21:22], 1, v[3:4]
	v_xor_b32_e32 v3, v109, v107
	v_add_co_u32 v21, s20, s40, v21
	v_add_co_ci_u32_e64 v22, null, s41, v22, s20
	global_store_short v[21:22], v3, off
	s_or_b32 exec_lo, exec_lo, s21
	v_cmp_lt_u32_e64 s20, v30, v105
	s_and_saveexec_b32 s22, s20
	s_cbranch_execz .LBB1841_276
.LBB1841_312:                           ;   in Loop: Header=BB1841_228 Depth=2
	ds_read_u16 v107, v47 offset:1536
	s_waitcnt lgkmcnt(0)
	v_cmp_ne_u16_e64 s21, 0x7fff, v107
	v_cndmask_b32_e64 v3, 0xffff8000, v107, s21
	v_cmp_lt_i16_e64 s21, -1, v107
	v_lshrrev_b32_sdwa v3, s42, v3 dst_sel:DWORD dst_unused:UNUSED_PAD src0_sel:DWORD src1_sel:WORD_0
	v_cndmask_b32_e64 v109, 0xffff8000, -1, s21
	v_and_b32_e32 v3, s43, v3
	v_lshlrev_b32_e32 v3, 2, v3
	ds_read_b32 v3, v3
	s_waitcnt lgkmcnt(0)
	v_add_nc_u32_e32 v3, v3, v30
	v_lshlrev_b64 v[21:22], 1, v[3:4]
	v_xor_b32_e32 v3, v109, v107
	v_add_co_u32 v21, s21, s40, v21
	v_add_co_ci_u32_e64 v22, null, s41, v22, s21
	global_store_short v[21:22], v3, off
	s_or_b32 exec_lo, exec_lo, s22
	v_cmp_lt_u32_e64 s21, v31, v105
	s_and_saveexec_b32 s23, s21
	s_cbranch_execz .LBB1841_277
.LBB1841_313:                           ;   in Loop: Header=BB1841_228 Depth=2
	ds_read_u16 v107, v47 offset:2048
	s_waitcnt lgkmcnt(0)
	v_cmp_ne_u16_e64 s22, 0x7fff, v107
	v_cndmask_b32_e64 v3, 0xffff8000, v107, s22
	v_cmp_lt_i16_e64 s22, -1, v107
	v_lshrrev_b32_sdwa v3, s42, v3 dst_sel:DWORD dst_unused:UNUSED_PAD src0_sel:DWORD src1_sel:WORD_0
	v_cndmask_b32_e64 v109, 0xffff8000, -1, s22
	v_and_b32_e32 v3, s43, v3
	v_lshlrev_b32_e32 v3, 2, v3
	ds_read_b32 v3, v3
	s_waitcnt lgkmcnt(0)
	v_add_nc_u32_e32 v3, v3, v31
	v_lshlrev_b64 v[21:22], 1, v[3:4]
	v_xor_b32_e32 v3, v109, v107
	v_add_co_u32 v21, s22, s40, v21
	v_add_co_ci_u32_e64 v22, null, s41, v22, s22
	global_store_short v[21:22], v3, off
	s_or_b32 exec_lo, exec_lo, s23
	v_cmp_lt_u32_e64 s22, v32, v105
	s_and_saveexec_b32 s24, s22
	s_cbranch_execz .LBB1841_278
.LBB1841_314:                           ;   in Loop: Header=BB1841_228 Depth=2
	ds_read_u16 v107, v47 offset:2560
	s_waitcnt lgkmcnt(0)
	v_cmp_ne_u16_e64 s23, 0x7fff, v107
	v_cndmask_b32_e64 v3, 0xffff8000, v107, s23
	v_cmp_lt_i16_e64 s23, -1, v107
	v_lshrrev_b32_sdwa v3, s42, v3 dst_sel:DWORD dst_unused:UNUSED_PAD src0_sel:DWORD src1_sel:WORD_0
	v_cndmask_b32_e64 v109, 0xffff8000, -1, s23
	v_and_b32_e32 v3, s43, v3
	v_lshlrev_b32_e32 v3, 2, v3
	ds_read_b32 v3, v3
	s_waitcnt lgkmcnt(0)
	v_add_nc_u32_e32 v3, v3, v32
	v_lshlrev_b64 v[21:22], 1, v[3:4]
	v_xor_b32_e32 v3, v109, v107
	v_add_co_u32 v21, s23, s40, v21
	v_add_co_ci_u32_e64 v22, null, s41, v22, s23
	global_store_short v[21:22], v3, off
	s_or_b32 exec_lo, exec_lo, s24
	v_cmp_lt_u32_e64 s23, v35, v105
	s_and_saveexec_b32 s25, s23
	s_cbranch_execz .LBB1841_279
.LBB1841_315:                           ;   in Loop: Header=BB1841_228 Depth=2
	ds_read_u16 v107, v47 offset:3072
	s_waitcnt lgkmcnt(0)
	v_cmp_ne_u16_e64 s24, 0x7fff, v107
	v_cndmask_b32_e64 v3, 0xffff8000, v107, s24
	v_cmp_lt_i16_e64 s24, -1, v107
	v_lshrrev_b32_sdwa v3, s42, v3 dst_sel:DWORD dst_unused:UNUSED_PAD src0_sel:DWORD src1_sel:WORD_0
	v_cndmask_b32_e64 v109, 0xffff8000, -1, s24
	v_and_b32_e32 v3, s43, v3
	v_lshlrev_b32_e32 v3, 2, v3
	ds_read_b32 v3, v3
	s_waitcnt lgkmcnt(0)
	v_add_nc_u32_e32 v3, v3, v35
	v_lshlrev_b64 v[21:22], 1, v[3:4]
	v_xor_b32_e32 v3, v109, v107
	v_add_co_u32 v21, s24, s40, v21
	v_add_co_ci_u32_e64 v22, null, s41, v22, s24
	global_store_short v[21:22], v3, off
	s_or_b32 exec_lo, exec_lo, s25
	v_cmp_lt_u32_e64 s24, v36, v105
	s_and_saveexec_b32 s26, s24
	s_cbranch_execz .LBB1841_280
.LBB1841_316:                           ;   in Loop: Header=BB1841_228 Depth=2
	ds_read_u16 v107, v47 offset:3584
	s_waitcnt lgkmcnt(0)
	v_cmp_ne_u16_e64 s25, 0x7fff, v107
	v_cndmask_b32_e64 v3, 0xffff8000, v107, s25
	v_cmp_lt_i16_e64 s25, -1, v107
	v_lshrrev_b32_sdwa v3, s42, v3 dst_sel:DWORD dst_unused:UNUSED_PAD src0_sel:DWORD src1_sel:WORD_0
	v_cndmask_b32_e64 v109, 0xffff8000, -1, s25
	v_and_b32_e32 v3, s43, v3
	v_lshlrev_b32_e32 v3, 2, v3
	ds_read_b32 v3, v3
	s_waitcnt lgkmcnt(0)
	v_add_nc_u32_e32 v3, v3, v36
	v_lshlrev_b64 v[21:22], 1, v[3:4]
	v_xor_b32_e32 v3, v109, v107
	v_add_co_u32 v21, s25, s40, v21
	v_add_co_ci_u32_e64 v22, null, s41, v22, s25
	global_store_short v[21:22], v3, off
	s_or_b32 exec_lo, exec_lo, s26
	v_cmp_lt_u32_e64 s25, v37, v105
	s_and_saveexec_b32 s28, s25
	s_cbranch_execz .LBB1841_281
.LBB1841_317:                           ;   in Loop: Header=BB1841_228 Depth=2
	ds_read_u16 v107, v47 offset:4096
	s_waitcnt lgkmcnt(0)
	v_cmp_ne_u16_e64 s26, 0x7fff, v107
	v_cndmask_b32_e64 v3, 0xffff8000, v107, s26
	v_cmp_lt_i16_e64 s26, -1, v107
	v_lshrrev_b32_sdwa v3, s42, v3 dst_sel:DWORD dst_unused:UNUSED_PAD src0_sel:DWORD src1_sel:WORD_0
	v_cndmask_b32_e64 v109, 0xffff8000, -1, s26
	v_and_b32_e32 v3, s43, v3
	v_lshlrev_b32_e32 v3, 2, v3
	ds_read_b32 v3, v3
	s_waitcnt lgkmcnt(0)
	v_add_nc_u32_e32 v3, v3, v37
	v_lshlrev_b64 v[21:22], 1, v[3:4]
	v_xor_b32_e32 v3, v109, v107
	v_add_co_u32 v21, s26, s40, v21
	v_add_co_ci_u32_e64 v22, null, s41, v22, s26
	global_store_short v[21:22], v3, off
	s_or_b32 exec_lo, exec_lo, s28
	v_cmp_lt_u32_e64 s26, v38, v105
	s_and_saveexec_b32 s54, s26
	s_cbranch_execnz .LBB1841_282
	s_branch .LBB1841_283
.LBB1841_318:                           ;   in Loop: Header=BB1841_228 Depth=2
	global_load_dwordx2 v[19:20], v[21:22], off
	s_or_b32 exec_lo, exec_lo, s28
	s_mov_b32 s34, exec_lo
	v_cmpx_lt_u32_e64 v70, v105
	s_cbranch_execz .LBB1841_285
.LBB1841_319:                           ;   in Loop: Header=BB1841_228 Depth=2
	global_load_dwordx2 v[17:18], v[21:22], off offset:256
	s_or_b32 exec_lo, exec_lo, s34
	s_mov_b32 s34, exec_lo
	v_cmpx_lt_u32_e64 v71, v105
	s_cbranch_execz .LBB1841_286
.LBB1841_320:                           ;   in Loop: Header=BB1841_228 Depth=2
	global_load_dwordx2 v[15:16], v[21:22], off offset:512
	s_or_b32 exec_lo, exec_lo, s34
	s_mov_b32 s34, exec_lo
	v_cmpx_lt_u32_e64 v72, v105
	s_cbranch_execz .LBB1841_287
.LBB1841_321:                           ;   in Loop: Header=BB1841_228 Depth=2
	global_load_dwordx2 v[13:14], v[21:22], off offset:768
	s_or_b32 exec_lo, exec_lo, s34
	s_mov_b32 s34, exec_lo
	v_cmpx_lt_u32_e64 v73, v105
	s_cbranch_execz .LBB1841_288
.LBB1841_322:                           ;   in Loop: Header=BB1841_228 Depth=2
	global_load_dwordx2 v[11:12], v[21:22], off offset:1024
	s_or_b32 exec_lo, exec_lo, s34
	s_mov_b32 s34, exec_lo
	v_cmpx_lt_u32_e64 v74, v105
	s_cbranch_execz .LBB1841_289
.LBB1841_323:                           ;   in Loop: Header=BB1841_228 Depth=2
	global_load_dwordx2 v[9:10], v[21:22], off offset:1280
	s_or_b32 exec_lo, exec_lo, s34
	s_mov_b32 s34, exec_lo
	v_cmpx_lt_u32_e64 v75, v105
	s_cbranch_execz .LBB1841_290
.LBB1841_324:                           ;   in Loop: Header=BB1841_228 Depth=2
	global_load_dwordx2 v[7:8], v[21:22], off offset:1536
	s_or_b32 exec_lo, exec_lo, s34
	s_mov_b32 s34, exec_lo
	v_cmpx_lt_u32_e64 v76, v105
	s_cbranch_execz .LBB1841_291
.LBB1841_325:                           ;   in Loop: Header=BB1841_228 Depth=2
	global_load_dwordx2 v[5:6], v[21:22], off offset:1792
	s_or_b32 exec_lo, exec_lo, s34
	s_and_saveexec_b32 s34, vcc_lo
	s_cbranch_execz .LBB1841_292
.LBB1841_326:                           ;   in Loop: Header=BB1841_228 Depth=2
	ds_read_u16 v3, v47 offset:1024
	s_waitcnt lgkmcnt(0)
	v_cmp_ne_u16_e64 s28, 0x7fff, v3
	v_cndmask_b32_e64 v3, 0xffff8000, v3, s28
	v_lshrrev_b32_sdwa v3, s42, v3 dst_sel:DWORD dst_unused:UNUSED_PAD src0_sel:DWORD src1_sel:WORD_0
	v_and_b32_e32 v104, s43, v3
	s_or_b32 exec_lo, exec_lo, s34
	s_and_saveexec_b32 s34, s20
	s_cbranch_execz .LBB1841_293
.LBB1841_327:                           ;   in Loop: Header=BB1841_228 Depth=2
	ds_read_u16 v3, v47 offset:1536
	s_waitcnt lgkmcnt(0)
	v_cmp_ne_u16_e64 s28, 0x7fff, v3
	v_cndmask_b32_e64 v3, 0xffff8000, v3, s28
	v_lshrrev_b32_sdwa v3, s42, v3 dst_sel:DWORD dst_unused:UNUSED_PAD src0_sel:DWORD src1_sel:WORD_0
	v_and_b32_e32 v103, s43, v3
	s_or_b32 exec_lo, exec_lo, s34
	s_and_saveexec_b32 s34, s21
	s_cbranch_execz .LBB1841_294
.LBB1841_328:                           ;   in Loop: Header=BB1841_228 Depth=2
	ds_read_u16 v3, v47 offset:2048
	s_waitcnt lgkmcnt(0)
	v_cmp_ne_u16_e64 s28, 0x7fff, v3
	v_cndmask_b32_e64 v3, 0xffff8000, v3, s28
	v_lshrrev_b32_sdwa v3, s42, v3 dst_sel:DWORD dst_unused:UNUSED_PAD src0_sel:DWORD src1_sel:WORD_0
	v_and_b32_e32 v102, s43, v3
	s_or_b32 exec_lo, exec_lo, s34
	s_and_saveexec_b32 s34, s22
	s_cbranch_execz .LBB1841_295
.LBB1841_329:                           ;   in Loop: Header=BB1841_228 Depth=2
	ds_read_u16 v3, v47 offset:2560
	s_waitcnt lgkmcnt(0)
	v_cmp_ne_u16_e64 s28, 0x7fff, v3
	v_cndmask_b32_e64 v3, 0xffff8000, v3, s28
	v_lshrrev_b32_sdwa v3, s42, v3 dst_sel:DWORD dst_unused:UNUSED_PAD src0_sel:DWORD src1_sel:WORD_0
	v_and_b32_e32 v101, s43, v3
	s_or_b32 exec_lo, exec_lo, s34
	s_and_saveexec_b32 s34, s23
	s_cbranch_execz .LBB1841_296
.LBB1841_330:                           ;   in Loop: Header=BB1841_228 Depth=2
	ds_read_u16 v3, v47 offset:3072
	s_waitcnt lgkmcnt(0)
	v_cmp_ne_u16_e64 s28, 0x7fff, v3
	v_cndmask_b32_e64 v3, 0xffff8000, v3, s28
	v_lshrrev_b32_sdwa v3, s42, v3 dst_sel:DWORD dst_unused:UNUSED_PAD src0_sel:DWORD src1_sel:WORD_0
	v_and_b32_e32 v100, s43, v3
	s_or_b32 exec_lo, exec_lo, s34
	s_and_saveexec_b32 s34, s24
	s_cbranch_execz .LBB1841_297
.LBB1841_331:                           ;   in Loop: Header=BB1841_228 Depth=2
	ds_read_u16 v3, v47 offset:3584
	s_waitcnt lgkmcnt(0)
	v_cmp_ne_u16_e64 s28, 0x7fff, v3
	v_cndmask_b32_e64 v3, 0xffff8000, v3, s28
	v_lshrrev_b32_sdwa v3, s42, v3 dst_sel:DWORD dst_unused:UNUSED_PAD src0_sel:DWORD src1_sel:WORD_0
	v_and_b32_e32 v99, s43, v3
	s_or_b32 exec_lo, exec_lo, s34
	s_and_saveexec_b32 s34, s25
	s_cbranch_execz .LBB1841_298
.LBB1841_332:                           ;   in Loop: Header=BB1841_228 Depth=2
	ds_read_u16 v3, v47 offset:4096
	s_waitcnt lgkmcnt(0)
	v_cmp_ne_u16_e64 s28, 0x7fff, v3
	v_cndmask_b32_e64 v3, 0xffff8000, v3, s28
	v_lshrrev_b32_sdwa v3, s42, v3 dst_sel:DWORD dst_unused:UNUSED_PAD src0_sel:DWORD src1_sel:WORD_0
	v_and_b32_e32 v98, s43, v3
	s_or_b32 exec_lo, exec_lo, s34
	s_and_saveexec_b32 s34, s26
	s_cbranch_execnz .LBB1841_299
	s_branch .LBB1841_300
.LBB1841_333:                           ;   in Loop: Header=BB1841_228 Depth=2
	v_lshlrev_b32_e32 v3, 2, v104
	v_add_nc_u32_e32 v21, v47, v48
	ds_read_b32 v3, v3
	ds_read_b64 v[21:22], v21 offset:1024
	s_waitcnt lgkmcnt(1)
	v_add_nc_u32_e32 v3, v3, v0
	v_lshlrev_b64 v[24:25], 3, v[3:4]
	v_add_co_u32 v24, vcc_lo, s46, v24
	v_add_co_ci_u32_e64 v25, null, s47, v25, vcc_lo
	s_waitcnt lgkmcnt(0)
	global_store_dwordx2 v[24:25], v[21:22], off
	s_or_b32 exec_lo, exec_lo, s28
	s_and_saveexec_b32 s28, s20
	s_cbranch_execz .LBB1841_302
.LBB1841_334:                           ;   in Loop: Header=BB1841_228 Depth=2
	v_lshlrev_b32_e32 v3, 2, v103
	v_add_nc_u32_e32 v21, v47, v48
	ds_read_b32 v3, v3
	ds_read_b64 v[21:22], v21 offset:3072
	s_waitcnt lgkmcnt(1)
	v_add_nc_u32_e32 v3, v3, v30
	v_lshlrev_b64 v[24:25], 3, v[3:4]
	v_add_co_u32 v24, vcc_lo, s46, v24
	v_add_co_ci_u32_e64 v25, null, s47, v25, vcc_lo
	s_waitcnt lgkmcnt(0)
	global_store_dwordx2 v[24:25], v[21:22], off
	s_or_b32 exec_lo, exec_lo, s28
	s_and_saveexec_b32 s20, s21
	s_cbranch_execz .LBB1841_303
.LBB1841_335:                           ;   in Loop: Header=BB1841_228 Depth=2
	v_lshlrev_b32_e32 v3, 2, v102
	v_add_nc_u32_e32 v21, v47, v48
	ds_read_b32 v3, v3
	ds_read_b64 v[21:22], v21 offset:5120
	s_waitcnt lgkmcnt(1)
	v_add_nc_u32_e32 v3, v3, v31
	v_lshlrev_b64 v[24:25], 3, v[3:4]
	v_add_co_u32 v24, vcc_lo, s46, v24
	v_add_co_ci_u32_e64 v25, null, s47, v25, vcc_lo
	s_waitcnt lgkmcnt(0)
	global_store_dwordx2 v[24:25], v[21:22], off
	s_or_b32 exec_lo, exec_lo, s20
	s_and_saveexec_b32 s20, s22
	s_cbranch_execz .LBB1841_304
.LBB1841_336:                           ;   in Loop: Header=BB1841_228 Depth=2
	v_lshlrev_b32_e32 v3, 2, v101
	v_add_nc_u32_e32 v21, v47, v48
	ds_read_b32 v3, v3
	ds_read_b64 v[21:22], v21 offset:7168
	s_waitcnt lgkmcnt(1)
	v_add_nc_u32_e32 v3, v3, v32
	v_lshlrev_b64 v[24:25], 3, v[3:4]
	v_add_co_u32 v24, vcc_lo, s46, v24
	v_add_co_ci_u32_e64 v25, null, s47, v25, vcc_lo
	s_waitcnt lgkmcnt(0)
	global_store_dwordx2 v[24:25], v[21:22], off
	s_or_b32 exec_lo, exec_lo, s20
	s_and_saveexec_b32 s20, s23
	s_cbranch_execz .LBB1841_305
.LBB1841_337:                           ;   in Loop: Header=BB1841_228 Depth=2
	v_lshlrev_b32_e32 v3, 2, v100
	v_add_nc_u32_e32 v21, v47, v48
	ds_read_b32 v3, v3
	ds_read_b64 v[21:22], v21 offset:9216
	s_waitcnt lgkmcnt(1)
	v_add_nc_u32_e32 v3, v3, v35
	v_lshlrev_b64 v[24:25], 3, v[3:4]
	v_add_co_u32 v24, vcc_lo, s46, v24
	v_add_co_ci_u32_e64 v25, null, s47, v25, vcc_lo
	s_waitcnt lgkmcnt(0)
	global_store_dwordx2 v[24:25], v[21:22], off
	s_or_b32 exec_lo, exec_lo, s20
	s_and_saveexec_b32 s20, s24
	s_cbranch_execz .LBB1841_306
.LBB1841_338:                           ;   in Loop: Header=BB1841_228 Depth=2
	v_lshlrev_b32_e32 v3, 2, v99
	v_add_nc_u32_e32 v21, v47, v48
	ds_read_b32 v3, v3
	ds_read_b64 v[21:22], v21 offset:11264
	s_waitcnt lgkmcnt(1)
	v_add_nc_u32_e32 v3, v3, v36
	v_lshlrev_b64 v[24:25], 3, v[3:4]
	v_add_co_u32 v24, vcc_lo, s46, v24
	v_add_co_ci_u32_e64 v25, null, s47, v25, vcc_lo
	s_waitcnt lgkmcnt(0)
	global_store_dwordx2 v[24:25], v[21:22], off
	s_or_b32 exec_lo, exec_lo, s20
	s_and_saveexec_b32 s20, s25
	s_cbranch_execz .LBB1841_307
.LBB1841_339:                           ;   in Loop: Header=BB1841_228 Depth=2
	v_lshlrev_b32_e32 v3, 2, v98
	v_add_nc_u32_e32 v21, v47, v48
	ds_read_b32 v3, v3
	ds_read_b64 v[21:22], v21 offset:13312
	s_waitcnt lgkmcnt(1)
	v_add_nc_u32_e32 v3, v3, v37
	v_lshlrev_b64 v[24:25], 3, v[3:4]
	v_add_co_u32 v24, vcc_lo, s46, v24
	v_add_co_ci_u32_e64 v25, null, s47, v25, vcc_lo
	s_waitcnt lgkmcnt(0)
	global_store_dwordx2 v[24:25], v[21:22], off
	s_or_b32 exec_lo, exec_lo, s20
	s_and_saveexec_b32 s20, s26
	s_cbranch_execnz .LBB1841_308
	s_branch .LBB1841_309
.LBB1841_340:                           ;   in Loop: Header=BB1841_12 Depth=1
	s_waitcnt lgkmcnt(0)
	s_barrier
.LBB1841_341:                           ;   in Loop: Header=BB1841_12 Depth=1
	s_mov_b32 s5, 0
.LBB1841_342:                           ;   in Loop: Header=BB1841_12 Depth=1
	s_andn2_b32 vcc_lo, exec_lo, s5
	s_cbranch_vccnz .LBB1841_11
; %bb.343:                              ;   in Loop: Header=BB1841_12 Depth=1
	s_and_b32 vcc_lo, exec_lo, s51
	s_mov_b32 s5, -1
	s_cbranch_vccz .LBB1841_507
; %bb.344:                              ;   in Loop: Header=BB1841_12 Depth=1
	s_mov_b32 s5, s52
	s_mov_b32 s34, s29
	s_barrier
	buffer_gl0_inv
                                        ; implicit-def: $vgpr3
                                        ; implicit-def: $vgpr5
                                        ; implicit-def: $vgpr6
                                        ; implicit-def: $vgpr7
                                        ; implicit-def: $vgpr8
                                        ; implicit-def: $vgpr9
                                        ; implicit-def: $vgpr10
                                        ; implicit-def: $vgpr11
	s_branch .LBB1841_346
.LBB1841_345:                           ;   in Loop: Header=BB1841_346 Depth=2
	s_or_b32 exec_lo, exec_lo, s14
	s_addk_i32 s5, 0xf800
	s_cmp_ge_u32 s13, s33
	s_mov_b32 s34, s13
	s_cbranch_scc1 .LBB1841_382
.LBB1841_346:                           ;   Parent Loop BB1841_12 Depth=1
                                        ; =>  This Inner Loop Header: Depth=2
	s_add_i32 s13, s34, 0x800
	s_mov_b32 s14, -1
	s_cmp_gt_u32 s13, s33
                                        ; implicit-def: $vgpr12
                                        ; implicit-def: $vgpr13
                                        ; implicit-def: $vgpr14
                                        ; implicit-def: $vgpr15
                                        ; implicit-def: $vgpr16
                                        ; implicit-def: $vgpr17
                                        ; implicit-def: $vgpr18
                                        ; implicit-def: $vgpr19
	s_cbranch_scc1 .LBB1841_348
; %bb.347:                              ;   in Loop: Header=BB1841_346 Depth=2
	s_lshl_b64 s[14:15], s[34:35], 1
	v_add_co_u32 v15, vcc_lo, v55, s14
	v_add_co_ci_u32_e64 v16, null, s15, v56, vcc_lo
	s_mov_b32 s14, 0
	v_add_co_u32 v19, vcc_lo, 0x800, v15
	v_add_co_ci_u32_e64 v20, null, 0, v16, vcc_lo
	s_clause 0x7
	global_load_ushort v12, v[15:16], off
	global_load_ushort v13, v[15:16], off offset:512
	global_load_ushort v14, v[15:16], off offset:1024
	;; [unrolled: 1-line block ×3, first 2 shown]
	global_load_ushort v16, v[19:20], off
	global_load_ushort v17, v[19:20], off offset:512
	global_load_ushort v18, v[19:20], off offset:1024
	global_load_ushort v19, v[19:20], off offset:1536
.LBB1841_348:                           ;   in Loop: Header=BB1841_346 Depth=2
	s_andn2_b32 vcc_lo, exec_lo, s14
	s_movk_i32 s14, 0x800
	s_cbranch_vccnz .LBB1841_359
; %bb.349:                              ;   in Loop: Header=BB1841_346 Depth=2
	s_lshl_b64 s[14:15], s[34:35], 1
	s_mov_b32 s16, exec_lo
	s_add_u32 s14, s36, s14
	s_addc_u32 s15, s37, s15
	v_cmpx_gt_u32_e64 s5, v0
	s_cbranch_execnz .LBB1841_375
; %bb.350:                              ;   in Loop: Header=BB1841_346 Depth=2
	s_or_b32 exec_lo, exec_lo, s16
	s_mov_b32 s16, exec_lo
	v_cmpx_gt_u32_e64 s5, v30
	s_cbranch_execnz .LBB1841_376
.LBB1841_351:                           ;   in Loop: Header=BB1841_346 Depth=2
	s_or_b32 exec_lo, exec_lo, s16
	s_mov_b32 s16, exec_lo
	v_cmpx_gt_u32_e64 s5, v31
	s_cbranch_execnz .LBB1841_377
.LBB1841_352:                           ;   in Loop: Header=BB1841_346 Depth=2
	s_or_b32 exec_lo, exec_lo, s16
	s_mov_b32 s16, exec_lo
	v_cmpx_gt_u32_e64 s5, v32
	s_cbranch_execnz .LBB1841_378
.LBB1841_353:                           ;   in Loop: Header=BB1841_346 Depth=2
	s_or_b32 exec_lo, exec_lo, s16
	s_mov_b32 s16, exec_lo
	v_cmpx_gt_u32_e64 s5, v35
	s_cbranch_execnz .LBB1841_379
.LBB1841_354:                           ;   in Loop: Header=BB1841_346 Depth=2
	s_or_b32 exec_lo, exec_lo, s16
	s_mov_b32 s16, exec_lo
	v_cmpx_gt_u32_e64 s5, v36
	s_cbranch_execnz .LBB1841_380
.LBB1841_355:                           ;   in Loop: Header=BB1841_346 Depth=2
	s_or_b32 exec_lo, exec_lo, s16
	s_mov_b32 s16, exec_lo
	v_cmpx_gt_u32_e64 s5, v37
	s_cbranch_execnz .LBB1841_381
.LBB1841_356:                           ;   in Loop: Header=BB1841_346 Depth=2
	s_or_b32 exec_lo, exec_lo, s16
	s_mov_b32 s16, exec_lo
	v_cmpx_gt_u32_e64 s5, v38
	s_cbranch_execz .LBB1841_358
.LBB1841_357:                           ;   in Loop: Header=BB1841_346 Depth=2
	global_load_ushort v3, v87, s[14:15]
.LBB1841_358:                           ;   in Loop: Header=BB1841_346 Depth=2
	s_or_b32 exec_lo, exec_lo, s16
	s_waitcnt vmcnt(0)
	v_mov_b32_e32 v12, v11
	v_mov_b32_e32 v13, v10
	;; [unrolled: 1-line block ×8, first 2 shown]
	s_mov_b32 s14, s5
.LBB1841_359:                           ;   in Loop: Header=BB1841_346 Depth=2
	s_waitcnt vmcnt(0)
	v_mov_b32_e32 v3, v19
	v_mov_b32_e32 v5, v18
	;; [unrolled: 1-line block ×8, first 2 shown]
	s_mov_b32 s15, exec_lo
	v_cmpx_gt_u32_e64 s14, v0
	s_cbranch_execnz .LBB1841_367
; %bb.360:                              ;   in Loop: Header=BB1841_346 Depth=2
	s_or_b32 exec_lo, exec_lo, s15
	s_mov_b32 s15, exec_lo
	v_cmpx_gt_u32_e64 s14, v30
	s_cbranch_execnz .LBB1841_368
.LBB1841_361:                           ;   in Loop: Header=BB1841_346 Depth=2
	s_or_b32 exec_lo, exec_lo, s15
	s_mov_b32 s15, exec_lo
	v_cmpx_gt_u32_e64 s14, v31
	s_cbranch_execnz .LBB1841_369
.LBB1841_362:                           ;   in Loop: Header=BB1841_346 Depth=2
	s_or_b32 exec_lo, exec_lo, s15
	s_mov_b32 s15, exec_lo
	v_cmpx_gt_u32_e64 s14, v32
	s_cbranch_execnz .LBB1841_370
.LBB1841_363:                           ;   in Loop: Header=BB1841_346 Depth=2
	s_or_b32 exec_lo, exec_lo, s15
	s_mov_b32 s15, exec_lo
	v_cmpx_gt_u32_e64 s14, v35
	s_cbranch_execnz .LBB1841_371
.LBB1841_364:                           ;   in Loop: Header=BB1841_346 Depth=2
	s_or_b32 exec_lo, exec_lo, s15
	s_mov_b32 s15, exec_lo
	v_cmpx_gt_u32_e64 s14, v36
	s_cbranch_execnz .LBB1841_372
.LBB1841_365:                           ;   in Loop: Header=BB1841_346 Depth=2
	s_or_b32 exec_lo, exec_lo, s15
	s_mov_b32 s15, exec_lo
	v_cmpx_gt_u32_e64 s14, v37
	s_cbranch_execnz .LBB1841_373
.LBB1841_366:                           ;   in Loop: Header=BB1841_346 Depth=2
	s_or_b32 exec_lo, exec_lo, s15
	v_cmp_gt_u32_e32 vcc_lo, s14, v38
	s_and_saveexec_b32 s14, vcc_lo
	s_cbranch_execz .LBB1841_345
	s_branch .LBB1841_374
.LBB1841_367:                           ;   in Loop: Header=BB1841_346 Depth=2
	v_cmp_lt_i16_e32 vcc_lo, -1, v11
	v_cndmask_b32_e64 v12, -1, 0xffff8000, vcc_lo
	v_xor_b32_e32 v12, v12, v11
	v_cmp_ne_u16_e32 vcc_lo, 0x7fff, v12
	v_cndmask_b32_e32 v12, 0xffff8000, v12, vcc_lo
	v_lshrrev_b32_sdwa v12, s49, v12 dst_sel:DWORD dst_unused:UNUSED_PAD src0_sel:DWORD src1_sel:WORD_0
	v_and_b32_e32 v12, s43, v12
	v_lshl_or_b32 v12, v12, 4, v40
	ds_add_u32 v12, v62
	s_or_b32 exec_lo, exec_lo, s15
	s_mov_b32 s15, exec_lo
	v_cmpx_gt_u32_e64 s14, v30
	s_cbranch_execz .LBB1841_361
.LBB1841_368:                           ;   in Loop: Header=BB1841_346 Depth=2
	v_cmp_lt_i16_e32 vcc_lo, -1, v10
	v_cndmask_b32_e64 v12, -1, 0xffff8000, vcc_lo
	v_xor_b32_e32 v12, v12, v10
	v_cmp_ne_u16_e32 vcc_lo, 0x7fff, v12
	v_cndmask_b32_e32 v12, 0xffff8000, v12, vcc_lo
	v_lshrrev_b32_sdwa v12, s49, v12 dst_sel:DWORD dst_unused:UNUSED_PAD src0_sel:DWORD src1_sel:WORD_0
	v_and_b32_e32 v12, s43, v12
	v_lshl_or_b32 v12, v12, 4, v40
	ds_add_u32 v12, v62
	s_or_b32 exec_lo, exec_lo, s15
	s_mov_b32 s15, exec_lo
	v_cmpx_gt_u32_e64 s14, v31
	s_cbranch_execz .LBB1841_362
.LBB1841_369:                           ;   in Loop: Header=BB1841_346 Depth=2
	v_cmp_lt_i16_e32 vcc_lo, -1, v9
	v_cndmask_b32_e64 v12, -1, 0xffff8000, vcc_lo
	v_xor_b32_e32 v12, v12, v9
	v_cmp_ne_u16_e32 vcc_lo, 0x7fff, v12
	v_cndmask_b32_e32 v12, 0xffff8000, v12, vcc_lo
	v_lshrrev_b32_sdwa v12, s49, v12 dst_sel:DWORD dst_unused:UNUSED_PAD src0_sel:DWORD src1_sel:WORD_0
	v_and_b32_e32 v12, s43, v12
	v_lshl_or_b32 v12, v12, 4, v40
	ds_add_u32 v12, v62
	s_or_b32 exec_lo, exec_lo, s15
	s_mov_b32 s15, exec_lo
	v_cmpx_gt_u32_e64 s14, v32
	s_cbranch_execz .LBB1841_363
.LBB1841_370:                           ;   in Loop: Header=BB1841_346 Depth=2
	v_cmp_lt_i16_e32 vcc_lo, -1, v8
	v_cndmask_b32_e64 v12, -1, 0xffff8000, vcc_lo
	v_xor_b32_e32 v12, v12, v8
	v_cmp_ne_u16_e32 vcc_lo, 0x7fff, v12
	v_cndmask_b32_e32 v12, 0xffff8000, v12, vcc_lo
	v_lshrrev_b32_sdwa v12, s49, v12 dst_sel:DWORD dst_unused:UNUSED_PAD src0_sel:DWORD src1_sel:WORD_0
	v_and_b32_e32 v12, s43, v12
	v_lshl_or_b32 v12, v12, 4, v40
	ds_add_u32 v12, v62
	s_or_b32 exec_lo, exec_lo, s15
	s_mov_b32 s15, exec_lo
	v_cmpx_gt_u32_e64 s14, v35
	s_cbranch_execz .LBB1841_364
.LBB1841_371:                           ;   in Loop: Header=BB1841_346 Depth=2
	v_cmp_lt_i16_e32 vcc_lo, -1, v7
	v_cndmask_b32_e64 v12, -1, 0xffff8000, vcc_lo
	v_xor_b32_e32 v12, v12, v7
	v_cmp_ne_u16_e32 vcc_lo, 0x7fff, v12
	v_cndmask_b32_e32 v12, 0xffff8000, v12, vcc_lo
	v_lshrrev_b32_sdwa v12, s49, v12 dst_sel:DWORD dst_unused:UNUSED_PAD src0_sel:DWORD src1_sel:WORD_0
	v_and_b32_e32 v12, s43, v12
	v_lshl_or_b32 v12, v12, 4, v40
	ds_add_u32 v12, v62
	s_or_b32 exec_lo, exec_lo, s15
	s_mov_b32 s15, exec_lo
	v_cmpx_gt_u32_e64 s14, v36
	s_cbranch_execz .LBB1841_365
.LBB1841_372:                           ;   in Loop: Header=BB1841_346 Depth=2
	v_cmp_lt_i16_e32 vcc_lo, -1, v6
	v_cndmask_b32_e64 v12, -1, 0xffff8000, vcc_lo
	v_xor_b32_e32 v12, v12, v6
	v_cmp_ne_u16_e32 vcc_lo, 0x7fff, v12
	v_cndmask_b32_e32 v12, 0xffff8000, v12, vcc_lo
	v_lshrrev_b32_sdwa v12, s49, v12 dst_sel:DWORD dst_unused:UNUSED_PAD src0_sel:DWORD src1_sel:WORD_0
	v_and_b32_e32 v12, s43, v12
	v_lshl_or_b32 v12, v12, 4, v40
	ds_add_u32 v12, v62
	s_or_b32 exec_lo, exec_lo, s15
	s_mov_b32 s15, exec_lo
	v_cmpx_gt_u32_e64 s14, v37
	s_cbranch_execz .LBB1841_366
.LBB1841_373:                           ;   in Loop: Header=BB1841_346 Depth=2
	v_cmp_lt_i16_e32 vcc_lo, -1, v5
	v_cndmask_b32_e64 v12, -1, 0xffff8000, vcc_lo
	v_xor_b32_e32 v12, v12, v5
	v_cmp_ne_u16_e32 vcc_lo, 0x7fff, v12
	v_cndmask_b32_e32 v12, 0xffff8000, v12, vcc_lo
	v_lshrrev_b32_sdwa v12, s49, v12 dst_sel:DWORD dst_unused:UNUSED_PAD src0_sel:DWORD src1_sel:WORD_0
	v_and_b32_e32 v12, s43, v12
	v_lshl_or_b32 v12, v12, 4, v40
	ds_add_u32 v12, v62
	s_or_b32 exec_lo, exec_lo, s15
	v_cmp_gt_u32_e32 vcc_lo, s14, v38
	s_and_saveexec_b32 s14, vcc_lo
	s_cbranch_execz .LBB1841_345
.LBB1841_374:                           ;   in Loop: Header=BB1841_346 Depth=2
	v_cmp_lt_i16_e32 vcc_lo, -1, v3
	v_cndmask_b32_e64 v12, -1, 0xffff8000, vcc_lo
	v_xor_b32_e32 v12, v12, v3
	v_cmp_ne_u16_e32 vcc_lo, 0x7fff, v12
	v_cndmask_b32_e32 v12, 0xffff8000, v12, vcc_lo
	v_lshrrev_b32_sdwa v12, s49, v12 dst_sel:DWORD dst_unused:UNUSED_PAD src0_sel:DWORD src1_sel:WORD_0
	v_and_b32_e32 v12, s43, v12
	v_lshl_or_b32 v12, v12, 4, v40
	ds_add_u32 v12, v62
	s_branch .LBB1841_345
.LBB1841_375:                           ;   in Loop: Header=BB1841_346 Depth=2
	global_load_ushort v11, v79, s[14:15]
	s_or_b32 exec_lo, exec_lo, s16
	s_mov_b32 s16, exec_lo
	v_cmpx_gt_u32_e64 s5, v30
	s_cbranch_execz .LBB1841_351
.LBB1841_376:                           ;   in Loop: Header=BB1841_346 Depth=2
	global_load_ushort v10, v79, s[14:15] offset:512
	s_or_b32 exec_lo, exec_lo, s16
	s_mov_b32 s16, exec_lo
	v_cmpx_gt_u32_e64 s5, v31
	s_cbranch_execz .LBB1841_352
.LBB1841_377:                           ;   in Loop: Header=BB1841_346 Depth=2
	global_load_ushort v9, v79, s[14:15] offset:1024
	s_or_b32 exec_lo, exec_lo, s16
	s_mov_b32 s16, exec_lo
	v_cmpx_gt_u32_e64 s5, v32
	s_cbranch_execz .LBB1841_353
.LBB1841_378:                           ;   in Loop: Header=BB1841_346 Depth=2
	global_load_ushort v8, v79, s[14:15] offset:1536
	s_or_b32 exec_lo, exec_lo, s16
	s_mov_b32 s16, exec_lo
	v_cmpx_gt_u32_e64 s5, v35
	s_cbranch_execz .LBB1841_354
.LBB1841_379:                           ;   in Loop: Header=BB1841_346 Depth=2
	global_load_ushort v7, v80, s[14:15]
	s_or_b32 exec_lo, exec_lo, s16
	s_mov_b32 s16, exec_lo
	v_cmpx_gt_u32_e64 s5, v36
	s_cbranch_execz .LBB1841_355
.LBB1841_380:                           ;   in Loop: Header=BB1841_346 Depth=2
	global_load_ushort v6, v81, s[14:15]
	s_or_b32 exec_lo, exec_lo, s16
	s_mov_b32 s16, exec_lo
	v_cmpx_gt_u32_e64 s5, v37
	s_cbranch_execz .LBB1841_356
.LBB1841_381:                           ;   in Loop: Header=BB1841_346 Depth=2
	global_load_ushort v5, v82, s[14:15]
	s_or_b32 exec_lo, exec_lo, s16
	s_mov_b32 s16, exec_lo
	v_cmpx_gt_u32_e64 s5, v38
	s_cbranch_execnz .LBB1841_357
	s_branch .LBB1841_358
.LBB1841_382:                           ;   in Loop: Header=BB1841_12 Depth=1
	v_mov_b32_e32 v3, 0
	s_waitcnt lgkmcnt(0)
	s_barrier
	buffer_gl0_inv
	s_and_saveexec_b32 s5, s7
	s_cbranch_execz .LBB1841_384
; %bb.383:                              ;   in Loop: Header=BB1841_12 Depth=1
	ds_read2_b64 v[5:8], v41 offset1:1
	s_waitcnt lgkmcnt(0)
	v_add_nc_u32_e32 v3, v6, v5
	v_add3_u32 v3, v3, v7, v8
.LBB1841_384:                           ;   in Loop: Header=BB1841_12 Depth=1
	s_or_b32 exec_lo, exec_lo, s5
	v_mov_b32_dpp v5, v3 row_shr:1 row_mask:0xf bank_mask:0xf
	v_cmp_eq_u32_e64 s5, 0, v63
	v_cmp_lt_u32_e64 s13, 1, v63
	v_cmp_lt_u32_e64 s14, 3, v63
	;; [unrolled: 1-line block ×3, first 2 shown]
	v_cmp_eq_u32_e64 s16, 0, v65
	v_cndmask_b32_e64 v5, v5, 0, s5
	v_add_nc_u32_e32 v3, v5, v3
	v_mov_b32_dpp v5, v3 row_shr:2 row_mask:0xf bank_mask:0xf
	v_cndmask_b32_e64 v5, 0, v5, s13
	v_add_nc_u32_e32 v3, v3, v5
	v_mov_b32_dpp v5, v3 row_shr:4 row_mask:0xf bank_mask:0xf
	;; [unrolled: 3-line block ×3, first 2 shown]
	v_cndmask_b32_e64 v5, 0, v5, s15
	v_add_nc_u32_e32 v3, v3, v5
	ds_swizzle_b32 v5, v3 offset:swizzle(BROADCAST,32,15)
	s_waitcnt lgkmcnt(0)
	v_and_b32_e32 v5, v64, v5
	v_add_nc_u32_e32 v3, v3, v5
	s_and_saveexec_b32 s17, s8
; %bb.385:                              ;   in Loop: Header=BB1841_12 Depth=1
	ds_write_b32 v42, v3
; %bb.386:                              ;   in Loop: Header=BB1841_12 Depth=1
	s_or_b32 exec_lo, exec_lo, s17
	s_waitcnt lgkmcnt(0)
	s_barrier
	buffer_gl0_inv
	s_and_saveexec_b32 s17, s9
	s_cbranch_execz .LBB1841_388
; %bb.387:                              ;   in Loop: Header=BB1841_12 Depth=1
	ds_read_b32 v5, v43
	v_cmp_ne_u32_e32 vcc_lo, 0, v67
	s_waitcnt lgkmcnt(0)
	v_mov_b32_dpp v6, v5 row_shr:1 row_mask:0xf bank_mask:0xf
	v_cndmask_b32_e32 v6, 0, v6, vcc_lo
	v_cmp_lt_u32_e32 vcc_lo, 1, v67
	v_add_nc_u32_e32 v5, v6, v5
	v_mov_b32_dpp v6, v5 row_shr:2 row_mask:0xf bank_mask:0xf
	v_cndmask_b32_e32 v6, 0, v6, vcc_lo
	v_cmp_lt_u32_e32 vcc_lo, 3, v67
	v_add_nc_u32_e32 v5, v5, v6
	v_mov_b32_dpp v6, v5 row_shr:4 row_mask:0xf bank_mask:0xf
	v_cndmask_b32_e32 v6, 0, v6, vcc_lo
	v_add_nc_u32_e32 v5, v5, v6
	ds_write_b32 v43, v5
.LBB1841_388:                           ;   in Loop: Header=BB1841_12 Depth=1
	s_or_b32 exec_lo, exec_lo, s17
	v_mov_b32_e32 v5, 0
	s_waitcnt lgkmcnt(0)
	s_barrier
	buffer_gl0_inv
	s_and_saveexec_b32 s17, s10
; %bb.389:                              ;   in Loop: Header=BB1841_12 Depth=1
	ds_read_b32 v5, v45
; %bb.390:                              ;   in Loop: Header=BB1841_12 Depth=1
	s_or_b32 exec_lo, exec_lo, s17
	v_cmp_gt_i32_e32 vcc_lo, 0, v68
	s_waitcnt lgkmcnt(0)
	v_add_nc_u32_e32 v3, v5, v3
	s_barrier
	buffer_gl0_inv
	v_cndmask_b32_e32 v6, v68, v59, vcc_lo
	v_lshlrev_b32_e32 v91, 2, v6
	ds_bpermute_b32 v3, v91, v3
	s_and_saveexec_b32 s17, s7
	s_cbranch_execz .LBB1841_392
; %bb.391:                              ;   in Loop: Header=BB1841_12 Depth=1
	s_waitcnt lgkmcnt(0)
	v_cndmask_b32_e64 v3, v3, v5, s12
	v_add_nc_u32_e32 v3, s29, v3
	ds_write_b32 v29, v3
.LBB1841_392:                           ;   in Loop: Header=BB1841_12 Depth=1
	s_or_b32 exec_lo, exec_lo, s17
	s_load_dwordx2 s[18:19], s[30:31], 0x0
	v_add_co_u32 v92, vcc_lo, v57, v69
	v_add_co_ci_u32_e64 v93, null, 0, v58, vcc_lo
	v_add_co_u32 v94, vcc_lo, v60, v77
	v_add_co_ci_u32_e64 v95, null, 0, v61, vcc_lo
	s_mov_b32 s48, s52
	s_mov_b32 s34, s29
                                        ; implicit-def: $vgpr7_vgpr8
                                        ; implicit-def: $vgpr9_vgpr10
                                        ; implicit-def: $vgpr11_vgpr12
                                        ; implicit-def: $vgpr13_vgpr14
                                        ; implicit-def: $vgpr15_vgpr16
                                        ; implicit-def: $vgpr17_vgpr18
                                        ; implicit-def: $vgpr19_vgpr20
                                        ; implicit-def: $vgpr97
                                        ; implicit-def: $vgpr98
                                        ; implicit-def: $vgpr99
                                        ; implicit-def: $vgpr100
                                        ; implicit-def: $vgpr101
                                        ; implicit-def: $vgpr102
                                        ; implicit-def: $vgpr103
                                        ; implicit-def: $vgpr104
	s_waitcnt lgkmcnt(0)
	s_cmp_lt_u32 s27, s19
	s_cselect_b32 s17, 14, 20
	s_add_u32 s20, s30, s17
	s_addc_u32 s21, s31, 0
	s_cmp_lt_u32 s6, s18
	global_load_ushort v3, v4, s[20:21]
	s_cselect_b32 s17, 12, 18
	s_add_u32 s18, s30, s17
	s_addc_u32 s19, s31, 0
	v_cmp_eq_u32_e64 s17, 0, v67
	global_load_ushort v5, v4, s[18:19]
	v_cmp_lt_u32_e64 s18, 1, v67
	v_cmp_lt_u32_e64 s19, 3, v67
	s_waitcnt vmcnt(1)
	v_mad_u32_u24 v3, v2, v3, v1
	s_waitcnt vmcnt(0)
	v_mad_u64_u32 v[5:6], null, v3, v5, v[0:1]
	v_lshrrev_b32_e32 v3, 3, v5
                                        ; implicit-def: $vgpr5_vgpr6
	v_and_b32_e32 v96, 0x1ffffffc, v3
	s_branch .LBB1841_394
.LBB1841_393:                           ;   in Loop: Header=BB1841_394 Depth=2
	s_or_b32 exec_lo, exec_lo, s20
	s_addk_i32 s48, 0xf800
	s_cmp_lt_u32 s53, s33
	s_mov_b32 s34, s53
	s_cbranch_scc0 .LBB1841_506
.LBB1841_394:                           ;   Parent Loop BB1841_12 Depth=1
                                        ; =>  This Inner Loop Header: Depth=2
	s_add_i32 s53, s34, 0x800
	s_cmp_gt_u32 s53, s33
	s_cbranch_scc1 .LBB1841_396
; %bb.395:                              ;   in Loop: Header=BB1841_394 Depth=2
	s_lshl_b64 s[20:21], s[34:35], 1
	v_add_co_u32 v21, vcc_lo, v94, s20
	v_add_co_ci_u32_e64 v22, null, s21, v95, vcc_lo
	s_mov_b32 s20, -1
	s_clause 0x6
	global_load_ushort v3, v[21:22], off
	global_load_ushort v28, v[21:22], off offset:64
	global_load_ushort v27, v[21:22], off offset:128
	;; [unrolled: 1-line block ×6, first 2 shown]
	s_movk_i32 s21, 0x800
	s_cbranch_execz .LBB1841_397
	s_branch .LBB1841_412
.LBB1841_396:                           ;   in Loop: Header=BB1841_394 Depth=2
	s_mov_b32 s20, 0
                                        ; implicit-def: $vgpr3
                                        ; implicit-def: $vgpr28
                                        ; implicit-def: $vgpr27
                                        ; implicit-def: $vgpr26
                                        ; implicit-def: $vgpr25
                                        ; implicit-def: $vgpr24
                                        ; implicit-def: $vgpr23
	s_movk_i32 s21, 0x800
.LBB1841_397:                           ;   in Loop: Header=BB1841_394 Depth=2
	s_lshl_b64 s[20:21], s[34:35], 1
	s_waitcnt vmcnt(5)
	v_mov_b32_e32 v28, 0x7fff
	v_add_co_u32 v21, vcc_lo, v94, s20
	v_add_co_ci_u32_e64 v22, null, s21, v95, vcc_lo
	v_mov_b32_e32 v3, 0x7fff
	s_mov_b32 s20, exec_lo
	v_cmpx_gt_u32_e64 s48, v66
	s_cbranch_execz .LBB1841_399
; %bb.398:                              ;   in Loop: Header=BB1841_394 Depth=2
	global_load_ushort v3, v[21:22], off
.LBB1841_399:                           ;   in Loop: Header=BB1841_394 Depth=2
	s_or_b32 exec_lo, exec_lo, s20
	s_mov_b32 s20, exec_lo
	v_cmpx_gt_u32_e64 s48, v70
	s_cbranch_execz .LBB1841_401
; %bb.400:                              ;   in Loop: Header=BB1841_394 Depth=2
	global_load_ushort v28, v[21:22], off offset:64
.LBB1841_401:                           ;   in Loop: Header=BB1841_394 Depth=2
	s_or_b32 exec_lo, exec_lo, s20
	s_waitcnt vmcnt(3)
	v_mov_b32_e32 v26, 0x7fff
	v_mov_b32_e32 v27, 0x7fff
	s_mov_b32 s20, exec_lo
	v_cmpx_gt_u32_e64 s48, v71
	s_cbranch_execz .LBB1841_403
; %bb.402:                              ;   in Loop: Header=BB1841_394 Depth=2
	global_load_ushort v27, v[21:22], off offset:128
.LBB1841_403:                           ;   in Loop: Header=BB1841_394 Depth=2
	s_or_b32 exec_lo, exec_lo, s20
	s_mov_b32 s20, exec_lo
	v_cmpx_gt_u32_e64 s48, v72
	s_cbranch_execz .LBB1841_405
; %bb.404:                              ;   in Loop: Header=BB1841_394 Depth=2
	global_load_ushort v26, v[21:22], off offset:192
.LBB1841_405:                           ;   in Loop: Header=BB1841_394 Depth=2
	s_or_b32 exec_lo, exec_lo, s20
	s_waitcnt vmcnt(1)
	v_mov_b32_e32 v24, 0x7fff
	v_mov_b32_e32 v25, 0x7fff
	s_mov_b32 s20, exec_lo
	v_cmpx_gt_u32_e64 s48, v73
	s_cbranch_execz .LBB1841_407
; %bb.406:                              ;   in Loop: Header=BB1841_394 Depth=2
	global_load_ushort v25, v[21:22], off offset:256
.LBB1841_407:                           ;   in Loop: Header=BB1841_394 Depth=2
	s_or_b32 exec_lo, exec_lo, s20
	s_mov_b32 s20, exec_lo
	v_cmpx_gt_u32_e64 s48, v74
	s_cbranch_execz .LBB1841_409
; %bb.408:                              ;   in Loop: Header=BB1841_394 Depth=2
	global_load_ushort v24, v[21:22], off offset:320
.LBB1841_409:                           ;   in Loop: Header=BB1841_394 Depth=2
	s_or_b32 exec_lo, exec_lo, s20
	s_waitcnt vmcnt(0)
	v_mov_b32_e32 v23, 0x7fff
	s_mov_b32 s20, exec_lo
	v_cmpx_gt_u32_e64 s48, v75
	s_cbranch_execz .LBB1841_411
; %bb.410:                              ;   in Loop: Header=BB1841_394 Depth=2
	global_load_ushort v23, v[21:22], off offset:384
.LBB1841_411:                           ;   in Loop: Header=BB1841_394 Depth=2
	s_or_b32 exec_lo, exec_lo, s20
	v_cmp_gt_u32_e64 s20, s48, v76
	s_sub_i32 s21, s33, s34
.LBB1841_412:                           ;   in Loop: Header=BB1841_394 Depth=2
	v_mov_b32_e32 v21, 0x7fff
	v_mov_b32_e32 v105, s48
	s_and_saveexec_b32 s22, s20
	s_cbranch_execz .LBB1841_414
; %bb.413:                              ;   in Loop: Header=BB1841_394 Depth=2
	s_lshl_b64 s[24:25], s[34:35], 1
	v_mov_b32_e32 v105, s21
	v_add_co_u32 v21, vcc_lo, v94, s24
	v_add_co_ci_u32_e64 v22, null, s25, v95, vcc_lo
	global_load_ushort v21, v[21:22], off offset:448
.LBB1841_414:                           ;   in Loop: Header=BB1841_394 Depth=2
	s_or_b32 exec_lo, exec_lo, s22
	s_waitcnt vmcnt(6)
	v_cmp_lt_i16_e32 vcc_lo, -1, v3
	ds_write2_b32 v78, v4, v4 offset1:1
	ds_write2_b32 v88, v4, v4 offset1:1
	;; [unrolled: 1-line block ×4, first 2 shown]
	ds_write_b32 v44, v4 offset:1088
	s_waitcnt vmcnt(0) lgkmcnt(0)
	s_barrier
	v_cndmask_b32_e64 v22, -1, 0xffff8000, vcc_lo
	buffer_gl0_inv
	; wave barrier
	v_xor_b32_e32 v3, v22, v3
	v_cmp_ne_u16_e32 vcc_lo, 0x7fff, v3
	v_cndmask_b32_e32 v22, 0xffff8000, v3, vcc_lo
	v_lshrrev_b32_sdwa v22, s49, v22 dst_sel:DWORD dst_unused:UNUSED_PAD src0_sel:DWORD src1_sel:WORD_0
	v_and_b32_e32 v107, s43, v22
	v_and_b32_e32 v22, 1, v107
	v_lshlrev_b32_e32 v106, 30, v107
	v_lshlrev_b32_e32 v108, 29, v107
	;; [unrolled: 1-line block ×4, first 2 shown]
	v_add_co_u32 v22, s20, v22, -1
	v_cndmask_b32_e64 v110, 0, 1, s20
	v_not_b32_e32 v114, v106
	v_cmp_gt_i32_e64 s20, 0, v106
	v_not_b32_e32 v106, v108
	v_lshlrev_b32_e32 v112, 26, v107
	v_cmp_ne_u32_e32 vcc_lo, 0, v110
	v_ashrrev_i32_e32 v114, 31, v114
	v_lshlrev_b32_e32 v113, 25, v107
	v_ashrrev_i32_e32 v106, 31, v106
	v_lshlrev_b32_e32 v110, 24, v107
	v_xor_b32_e32 v22, vcc_lo, v22
	v_cmp_gt_i32_e32 vcc_lo, 0, v108
	v_not_b32_e32 v108, v109
	v_xor_b32_e32 v114, s20, v114
	v_cmp_gt_i32_e64 s20, 0, v109
	v_and_b32_e32 v22, exec_lo, v22
	v_not_b32_e32 v109, v111
	v_ashrrev_i32_e32 v108, 31, v108
	v_xor_b32_e32 v106, vcc_lo, v106
	v_cmp_gt_i32_e32 vcc_lo, 0, v111
	v_and_b32_e32 v22, v22, v114
	v_not_b32_e32 v111, v112
	v_ashrrev_i32_e32 v109, 31, v109
	v_xor_b32_e32 v108, s20, v108
	v_cmp_gt_i32_e64 s20, 0, v112
	v_and_b32_e32 v22, v22, v106
	v_not_b32_e32 v106, v113
	v_ashrrev_i32_e32 v111, 31, v111
	v_xor_b32_e32 v109, vcc_lo, v109
	v_cmp_gt_i32_e32 vcc_lo, 0, v113
	v_and_b32_e32 v22, v22, v108
	v_not_b32_e32 v108, v110
	v_ashrrev_i32_e32 v106, 31, v106
	v_xor_b32_e32 v111, s20, v111
	v_cmp_gt_i32_e64 s20, 0, v110
	v_and_b32_e32 v22, v22, v109
	v_ashrrev_i32_e32 v108, 31, v108
	v_xor_b32_e32 v106, vcc_lo, v106
	v_mul_u32_u24_e32 v107, 36, v107
	v_and_b32_e32 v22, v22, v111
	v_xor_b32_e32 v108, s20, v108
	v_and_b32_e32 v22, v22, v106
	v_and_b32_e32 v22, v22, v108
	v_add_nc_u32_e32 v108, v96, v107
	v_mbcnt_lo_u32_b32 v106, v22, 0
	v_cmp_ne_u32_e64 s20, 0, v22
	v_cmp_eq_u32_e32 vcc_lo, 0, v106
	s_and_b32 s21, s20, vcc_lo
	s_and_saveexec_b32 s20, s21
; %bb.415:                              ;   in Loop: Header=BB1841_394 Depth=2
	v_bcnt_u32_b32 v22, v22, 0
	ds_write_b32 v108, v22 offset:1056
; %bb.416:                              ;   in Loop: Header=BB1841_394 Depth=2
	s_or_b32 exec_lo, exec_lo, s20
	v_cmp_lt_i16_e32 vcc_lo, -1, v28
	; wave barrier
	v_cndmask_b32_e64 v22, -1, 0xffff8000, vcc_lo
	v_xor_b32_e32 v107, v22, v28
	v_cmp_ne_u16_e32 vcc_lo, 0x7fff, v107
	v_cndmask_b32_e32 v22, 0xffff8000, v107, vcc_lo
	v_lshrrev_b32_sdwa v22, s49, v22 dst_sel:DWORD dst_unused:UNUSED_PAD src0_sel:DWORD src1_sel:WORD_0
	v_and_b32_e32 v28, s43, v22
	v_and_b32_e32 v22, 1, v28
	v_lshlrev_b32_e32 v109, 30, v28
	v_lshlrev_b32_e32 v110, 29, v28
	;; [unrolled: 1-line block ×4, first 2 shown]
	v_add_co_u32 v22, s20, v22, -1
	v_cndmask_b32_e64 v112, 0, 1, s20
	v_not_b32_e32 v116, v109
	v_cmp_gt_i32_e64 s20, 0, v109
	v_not_b32_e32 v109, v110
	v_lshlrev_b32_e32 v114, 26, v28
	v_cmp_ne_u32_e32 vcc_lo, 0, v112
	v_ashrrev_i32_e32 v116, 31, v116
	v_lshlrev_b32_e32 v115, 25, v28
	v_ashrrev_i32_e32 v109, 31, v109
	v_lshlrev_b32_e32 v112, 24, v28
	v_xor_b32_e32 v22, vcc_lo, v22
	v_cmp_gt_i32_e32 vcc_lo, 0, v110
	v_not_b32_e32 v110, v111
	v_xor_b32_e32 v116, s20, v116
	v_cmp_gt_i32_e64 s20, 0, v111
	v_and_b32_e32 v22, exec_lo, v22
	v_not_b32_e32 v111, v113
	v_ashrrev_i32_e32 v110, 31, v110
	v_xor_b32_e32 v109, vcc_lo, v109
	v_cmp_gt_i32_e32 vcc_lo, 0, v113
	v_and_b32_e32 v22, v22, v116
	v_not_b32_e32 v113, v114
	v_ashrrev_i32_e32 v111, 31, v111
	v_xor_b32_e32 v110, s20, v110
	v_cmp_gt_i32_e64 s20, 0, v114
	v_and_b32_e32 v22, v22, v109
	v_not_b32_e32 v109, v115
	v_ashrrev_i32_e32 v113, 31, v113
	v_xor_b32_e32 v111, vcc_lo, v111
	v_cmp_gt_i32_e32 vcc_lo, 0, v115
	v_and_b32_e32 v22, v22, v110
	v_not_b32_e32 v110, v112
	v_ashrrev_i32_e32 v109, 31, v109
	v_xor_b32_e32 v113, s20, v113
	v_cmp_gt_i32_e64 s20, 0, v112
	v_and_b32_e32 v22, v22, v111
	v_ashrrev_i32_e32 v110, 31, v110
	v_xor_b32_e32 v109, vcc_lo, v109
	v_mad_u32_u24 v111, v28, 36, v96
	v_mul_u32_u24_e32 v28, 36, v28
	v_and_b32_e32 v22, v22, v113
	v_xor_b32_e32 v110, s20, v110
	v_add_nc_u32_e32 v112, v96, v28
	v_and_b32_e32 v22, v22, v109
	ds_read_b32 v109, v111 offset:1056
	; wave barrier
	v_and_b32_e32 v22, v22, v110
	v_mbcnt_lo_u32_b32 v110, v22, 0
	v_cmp_ne_u32_e64 s20, 0, v22
	v_cmp_eq_u32_e32 vcc_lo, 0, v110
	s_and_b32 s21, s20, vcc_lo
	s_and_saveexec_b32 s20, s21
	s_cbranch_execz .LBB1841_418
; %bb.417:                              ;   in Loop: Header=BB1841_394 Depth=2
	s_waitcnt lgkmcnt(0)
	v_bcnt_u32_b32 v22, v22, v109
	ds_write_b32 v112, v22 offset:1056
.LBB1841_418:                           ;   in Loop: Header=BB1841_394 Depth=2
	s_or_b32 exec_lo, exec_lo, s20
	v_cmp_lt_i16_e32 vcc_lo, -1, v27
	; wave barrier
	v_cndmask_b32_e64 v22, -1, 0xffff8000, vcc_lo
	v_xor_b32_e32 v111, v22, v27
	v_cmp_ne_u16_e32 vcc_lo, 0x7fff, v111
	v_cndmask_b32_e32 v22, 0xffff8000, v111, vcc_lo
	v_lshrrev_b32_sdwa v22, s49, v22 dst_sel:DWORD dst_unused:UNUSED_PAD src0_sel:DWORD src1_sel:WORD_0
	v_and_b32_e32 v27, s43, v22
	v_and_b32_e32 v22, 1, v27
	v_lshlrev_b32_e32 v28, 30, v27
	v_lshlrev_b32_e32 v113, 29, v27
	;; [unrolled: 1-line block ×4, first 2 shown]
	v_add_co_u32 v22, s20, v22, -1
	v_cndmask_b32_e64 v115, 0, 1, s20
	v_not_b32_e32 v119, v28
	v_cmp_gt_i32_e64 s20, 0, v28
	v_not_b32_e32 v28, v113
	v_lshlrev_b32_e32 v117, 26, v27
	v_cmp_ne_u32_e32 vcc_lo, 0, v115
	v_ashrrev_i32_e32 v119, 31, v119
	v_lshlrev_b32_e32 v118, 25, v27
	v_ashrrev_i32_e32 v28, 31, v28
	v_lshlrev_b32_e32 v115, 24, v27
	v_xor_b32_e32 v22, vcc_lo, v22
	v_cmp_gt_i32_e32 vcc_lo, 0, v113
	v_not_b32_e32 v113, v114
	v_xor_b32_e32 v119, s20, v119
	v_cmp_gt_i32_e64 s20, 0, v114
	v_and_b32_e32 v22, exec_lo, v22
	v_not_b32_e32 v114, v116
	v_ashrrev_i32_e32 v113, 31, v113
	v_xor_b32_e32 v28, vcc_lo, v28
	v_cmp_gt_i32_e32 vcc_lo, 0, v116
	v_and_b32_e32 v22, v22, v119
	v_not_b32_e32 v116, v117
	v_ashrrev_i32_e32 v114, 31, v114
	v_xor_b32_e32 v113, s20, v113
	v_cmp_gt_i32_e64 s20, 0, v117
	v_and_b32_e32 v22, v22, v28
	v_not_b32_e32 v28, v118
	v_ashrrev_i32_e32 v116, 31, v116
	v_xor_b32_e32 v114, vcc_lo, v114
	v_cmp_gt_i32_e32 vcc_lo, 0, v118
	v_and_b32_e32 v22, v22, v113
	v_not_b32_e32 v113, v115
	v_ashrrev_i32_e32 v28, 31, v28
	v_xor_b32_e32 v116, s20, v116
	v_cmp_gt_i32_e64 s20, 0, v115
	v_and_b32_e32 v22, v22, v114
	v_ashrrev_i32_e32 v113, 31, v113
	v_xor_b32_e32 v28, vcc_lo, v28
	v_mad_u32_u24 v114, v27, 36, v96
	v_mul_u32_u24_e32 v27, 36, v27
	v_and_b32_e32 v22, v22, v116
	v_xor_b32_e32 v115, s20, v113
	ds_read_b32 v113, v114 offset:1056
	v_add_nc_u32_e32 v116, v96, v27
	v_and_b32_e32 v22, v22, v28
	; wave barrier
	v_and_b32_e32 v22, v22, v115
	v_mbcnt_lo_u32_b32 v115, v22, 0
	v_cmp_ne_u32_e64 s20, 0, v22
	v_cmp_eq_u32_e32 vcc_lo, 0, v115
	s_and_b32 s21, s20, vcc_lo
	s_and_saveexec_b32 s20, s21
	s_cbranch_execz .LBB1841_420
; %bb.419:                              ;   in Loop: Header=BB1841_394 Depth=2
	s_waitcnt lgkmcnt(0)
	v_bcnt_u32_b32 v22, v22, v113
	ds_write_b32 v116, v22 offset:1056
.LBB1841_420:                           ;   in Loop: Header=BB1841_394 Depth=2
	s_or_b32 exec_lo, exec_lo, s20
	v_cmp_lt_i16_e32 vcc_lo, -1, v26
	; wave barrier
	v_cndmask_b32_e64 v22, -1, 0xffff8000, vcc_lo
	v_xor_b32_e32 v114, v22, v26
	v_cmp_ne_u16_e32 vcc_lo, 0x7fff, v114
	v_cndmask_b32_e32 v22, 0xffff8000, v114, vcc_lo
	v_lshrrev_b32_sdwa v22, s49, v22 dst_sel:DWORD dst_unused:UNUSED_PAD src0_sel:DWORD src1_sel:WORD_0
	v_and_b32_e32 v26, s43, v22
	v_and_b32_e32 v22, 1, v26
	v_lshlrev_b32_e32 v27, 30, v26
	v_lshlrev_b32_e32 v28, 29, v26
	;; [unrolled: 1-line block ×4, first 2 shown]
	v_add_co_u32 v22, s20, v22, -1
	v_cndmask_b32_e64 v118, 0, 1, s20
	v_not_b32_e32 v122, v27
	v_cmp_gt_i32_e64 s20, 0, v27
	v_not_b32_e32 v27, v28
	v_lshlrev_b32_e32 v120, 26, v26
	v_cmp_ne_u32_e32 vcc_lo, 0, v118
	v_ashrrev_i32_e32 v122, 31, v122
	v_lshlrev_b32_e32 v121, 25, v26
	v_ashrrev_i32_e32 v27, 31, v27
	v_lshlrev_b32_e32 v118, 24, v26
	v_xor_b32_e32 v22, vcc_lo, v22
	v_cmp_gt_i32_e32 vcc_lo, 0, v28
	v_not_b32_e32 v28, v117
	v_xor_b32_e32 v122, s20, v122
	v_cmp_gt_i32_e64 s20, 0, v117
	v_and_b32_e32 v22, exec_lo, v22
	v_not_b32_e32 v117, v119
	v_ashrrev_i32_e32 v28, 31, v28
	v_xor_b32_e32 v27, vcc_lo, v27
	v_cmp_gt_i32_e32 vcc_lo, 0, v119
	v_and_b32_e32 v22, v22, v122
	v_not_b32_e32 v119, v120
	v_ashrrev_i32_e32 v117, 31, v117
	v_xor_b32_e32 v28, s20, v28
	v_cmp_gt_i32_e64 s20, 0, v120
	v_and_b32_e32 v22, v22, v27
	v_not_b32_e32 v27, v121
	v_ashrrev_i32_e32 v119, 31, v119
	v_xor_b32_e32 v117, vcc_lo, v117
	v_cmp_gt_i32_e32 vcc_lo, 0, v121
	v_and_b32_e32 v22, v22, v28
	v_not_b32_e32 v28, v118
	v_ashrrev_i32_e32 v27, 31, v27
	v_xor_b32_e32 v119, s20, v119
	v_cmp_gt_i32_e64 s20, 0, v118
	v_and_b32_e32 v22, v22, v117
	v_ashrrev_i32_e32 v28, 31, v28
	v_xor_b32_e32 v27, vcc_lo, v27
	v_mad_u32_u24 v117, v26, 36, v96
	v_mul_u32_u24_e32 v26, 36, v26
	v_and_b32_e32 v22, v22, v119
	v_xor_b32_e32 v28, s20, v28
	ds_read_b32 v117, v117 offset:1056
	v_add_nc_u32_e32 v120, v96, v26
	v_and_b32_e32 v22, v22, v27
	; wave barrier
	v_and_b32_e32 v22, v22, v28
	v_mbcnt_lo_u32_b32 v119, v22, 0
	v_cmp_ne_u32_e64 s20, 0, v22
	v_cmp_eq_u32_e32 vcc_lo, 0, v119
	s_and_b32 s21, s20, vcc_lo
	s_and_saveexec_b32 s20, s21
	s_cbranch_execz .LBB1841_422
; %bb.421:                              ;   in Loop: Header=BB1841_394 Depth=2
	s_waitcnt lgkmcnt(0)
	v_bcnt_u32_b32 v22, v22, v117
	ds_write_b32 v120, v22 offset:1056
.LBB1841_422:                           ;   in Loop: Header=BB1841_394 Depth=2
	s_or_b32 exec_lo, exec_lo, s20
	v_cmp_lt_i16_e32 vcc_lo, -1, v25
	; wave barrier
	v_cndmask_b32_e64 v22, -1, 0xffff8000, vcc_lo
	v_xor_b32_e32 v118, v22, v25
	v_cmp_ne_u16_e32 vcc_lo, 0x7fff, v118
	v_cndmask_b32_e32 v22, 0xffff8000, v118, vcc_lo
	v_lshrrev_b32_sdwa v22, s49, v22 dst_sel:DWORD dst_unused:UNUSED_PAD src0_sel:DWORD src1_sel:WORD_0
	v_and_b32_e32 v25, s43, v22
	v_and_b32_e32 v22, 1, v25
	v_lshlrev_b32_e32 v26, 30, v25
	v_lshlrev_b32_e32 v27, 29, v25
	;; [unrolled: 1-line block ×4, first 2 shown]
	v_add_co_u32 v22, s20, v22, -1
	v_cndmask_b32_e64 v121, 0, 1, s20
	v_not_b32_e32 v125, v26
	v_cmp_gt_i32_e64 s20, 0, v26
	v_not_b32_e32 v26, v27
	v_lshlrev_b32_e32 v123, 26, v25
	v_cmp_ne_u32_e32 vcc_lo, 0, v121
	v_ashrrev_i32_e32 v125, 31, v125
	v_lshlrev_b32_e32 v124, 25, v25
	v_ashrrev_i32_e32 v26, 31, v26
	v_lshlrev_b32_e32 v121, 24, v25
	v_xor_b32_e32 v22, vcc_lo, v22
	v_cmp_gt_i32_e32 vcc_lo, 0, v27
	v_not_b32_e32 v27, v28
	v_xor_b32_e32 v125, s20, v125
	v_cmp_gt_i32_e64 s20, 0, v28
	v_and_b32_e32 v22, exec_lo, v22
	v_not_b32_e32 v28, v122
	v_ashrrev_i32_e32 v27, 31, v27
	v_xor_b32_e32 v26, vcc_lo, v26
	v_cmp_gt_i32_e32 vcc_lo, 0, v122
	v_and_b32_e32 v22, v22, v125
	v_not_b32_e32 v122, v123
	v_ashrrev_i32_e32 v28, 31, v28
	v_xor_b32_e32 v27, s20, v27
	v_cmp_gt_i32_e64 s20, 0, v123
	v_and_b32_e32 v22, v22, v26
	v_not_b32_e32 v26, v124
	v_ashrrev_i32_e32 v122, 31, v122
	v_xor_b32_e32 v28, vcc_lo, v28
	v_cmp_gt_i32_e32 vcc_lo, 0, v124
	v_and_b32_e32 v22, v22, v27
	v_not_b32_e32 v27, v121
	v_ashrrev_i32_e32 v26, 31, v26
	v_xor_b32_e32 v122, s20, v122
	v_cmp_gt_i32_e64 s20, 0, v121
	v_and_b32_e32 v22, v22, v28
	v_ashrrev_i32_e32 v27, 31, v27
	v_xor_b32_e32 v26, vcc_lo, v26
	v_mad_u32_u24 v28, v25, 36, v96
	v_mul_u32_u24_e32 v25, 36, v25
	v_and_b32_e32 v22, v22, v122
	v_xor_b32_e32 v27, s20, v27
	ds_read_b32 v121, v28 offset:1056
	v_add_nc_u32_e32 v124, v96, v25
	v_and_b32_e32 v22, v22, v26
	; wave barrier
	v_and_b32_e32 v22, v22, v27
	v_mbcnt_lo_u32_b32 v123, v22, 0
	v_cmp_ne_u32_e64 s20, 0, v22
	v_cmp_eq_u32_e32 vcc_lo, 0, v123
	s_and_b32 s21, s20, vcc_lo
	s_and_saveexec_b32 s20, s21
	s_cbranch_execz .LBB1841_424
; %bb.423:                              ;   in Loop: Header=BB1841_394 Depth=2
	s_waitcnt lgkmcnt(0)
	v_bcnt_u32_b32 v22, v22, v121
	ds_write_b32 v124, v22 offset:1056
.LBB1841_424:                           ;   in Loop: Header=BB1841_394 Depth=2
	s_or_b32 exec_lo, exec_lo, s20
	v_cmp_lt_i16_e32 vcc_lo, -1, v24
	; wave barrier
	v_cndmask_b32_e64 v22, -1, 0xffff8000, vcc_lo
	v_xor_b32_e32 v122, v22, v24
	v_cmp_ne_u16_e32 vcc_lo, 0x7fff, v122
	v_cndmask_b32_e32 v22, 0xffff8000, v122, vcc_lo
	v_lshrrev_b32_sdwa v22, s49, v22 dst_sel:DWORD dst_unused:UNUSED_PAD src0_sel:DWORD src1_sel:WORD_0
	v_and_b32_e32 v24, s43, v22
	v_and_b32_e32 v22, 1, v24
	v_lshlrev_b32_e32 v25, 30, v24
	v_lshlrev_b32_e32 v26, 29, v24
	;; [unrolled: 1-line block ×4, first 2 shown]
	v_add_co_u32 v22, s20, v22, -1
	v_cndmask_b32_e64 v28, 0, 1, s20
	v_not_b32_e32 v128, v25
	v_cmp_gt_i32_e64 s20, 0, v25
	v_not_b32_e32 v25, v26
	v_lshlrev_b32_e32 v126, 26, v24
	v_cmp_ne_u32_e32 vcc_lo, 0, v28
	v_ashrrev_i32_e32 v128, 31, v128
	v_lshlrev_b32_e32 v127, 25, v24
	v_ashrrev_i32_e32 v25, 31, v25
	v_lshlrev_b32_e32 v28, 24, v24
	v_xor_b32_e32 v22, vcc_lo, v22
	v_cmp_gt_i32_e32 vcc_lo, 0, v26
	v_not_b32_e32 v26, v27
	v_xor_b32_e32 v128, s20, v128
	v_cmp_gt_i32_e64 s20, 0, v27
	v_and_b32_e32 v22, exec_lo, v22
	v_not_b32_e32 v27, v125
	v_ashrrev_i32_e32 v26, 31, v26
	v_xor_b32_e32 v25, vcc_lo, v25
	v_cmp_gt_i32_e32 vcc_lo, 0, v125
	v_and_b32_e32 v22, v22, v128
	v_not_b32_e32 v125, v126
	v_ashrrev_i32_e32 v27, 31, v27
	v_xor_b32_e32 v26, s20, v26
	v_cmp_gt_i32_e64 s20, 0, v126
	v_and_b32_e32 v22, v22, v25
	v_not_b32_e32 v25, v127
	v_ashrrev_i32_e32 v125, 31, v125
	v_xor_b32_e32 v27, vcc_lo, v27
	v_cmp_gt_i32_e32 vcc_lo, 0, v127
	v_and_b32_e32 v22, v22, v26
	v_not_b32_e32 v26, v28
	v_ashrrev_i32_e32 v25, 31, v25
	v_xor_b32_e32 v125, s20, v125
	v_cmp_gt_i32_e64 s20, 0, v28
	v_and_b32_e32 v22, v22, v27
	v_ashrrev_i32_e32 v26, 31, v26
	v_xor_b32_e32 v25, vcc_lo, v25
	v_mad_u32_u24 v27, v24, 36, v96
	v_mul_u32_u24_e32 v24, 36, v24
	v_and_b32_e32 v22, v22, v125
	v_xor_b32_e32 v26, s20, v26
	ds_read_b32 v125, v27 offset:1056
	v_add_nc_u32_e32 v128, v96, v24
	v_and_b32_e32 v22, v22, v25
	; wave barrier
	v_and_b32_e32 v22, v22, v26
	v_mbcnt_lo_u32_b32 v127, v22, 0
	v_cmp_ne_u32_e64 s20, 0, v22
	v_cmp_eq_u32_e32 vcc_lo, 0, v127
	s_and_b32 s21, s20, vcc_lo
	s_and_saveexec_b32 s20, s21
	s_cbranch_execz .LBB1841_426
; %bb.425:                              ;   in Loop: Header=BB1841_394 Depth=2
	s_waitcnt lgkmcnt(0)
	v_bcnt_u32_b32 v22, v22, v125
	ds_write_b32 v128, v22 offset:1056
.LBB1841_426:                           ;   in Loop: Header=BB1841_394 Depth=2
	s_or_b32 exec_lo, exec_lo, s20
	v_cmp_lt_i16_e32 vcc_lo, -1, v23
	; wave barrier
	v_cndmask_b32_e64 v22, -1, 0xffff8000, vcc_lo
	v_xor_b32_e32 v126, v22, v23
	v_cmp_ne_u16_e32 vcc_lo, 0x7fff, v126
	v_cndmask_b32_e32 v22, 0xffff8000, v126, vcc_lo
	v_lshrrev_b32_sdwa v22, s49, v22 dst_sel:DWORD dst_unused:UNUSED_PAD src0_sel:DWORD src1_sel:WORD_0
	v_and_b32_e32 v23, s43, v22
	v_and_b32_e32 v22, 1, v23
	v_lshlrev_b32_e32 v24, 30, v23
	v_lshlrev_b32_e32 v25, 29, v23
	;; [unrolled: 1-line block ×4, first 2 shown]
	v_add_co_u32 v22, s20, v22, -1
	v_cndmask_b32_e64 v27, 0, 1, s20
	v_not_b32_e32 v131, v24
	v_cmp_gt_i32_e64 s20, 0, v24
	v_not_b32_e32 v24, v25
	v_lshlrev_b32_e32 v129, 26, v23
	v_cmp_ne_u32_e32 vcc_lo, 0, v27
	v_ashrrev_i32_e32 v131, 31, v131
	v_lshlrev_b32_e32 v130, 25, v23
	v_ashrrev_i32_e32 v24, 31, v24
	v_lshlrev_b32_e32 v27, 24, v23
	v_xor_b32_e32 v22, vcc_lo, v22
	v_cmp_gt_i32_e32 vcc_lo, 0, v25
	v_not_b32_e32 v25, v26
	v_xor_b32_e32 v131, s20, v131
	v_cmp_gt_i32_e64 s20, 0, v26
	v_and_b32_e32 v22, exec_lo, v22
	v_not_b32_e32 v26, v28
	v_ashrrev_i32_e32 v25, 31, v25
	v_xor_b32_e32 v24, vcc_lo, v24
	v_cmp_gt_i32_e32 vcc_lo, 0, v28
	v_and_b32_e32 v22, v22, v131
	v_not_b32_e32 v28, v129
	v_ashrrev_i32_e32 v26, 31, v26
	v_xor_b32_e32 v25, s20, v25
	v_cmp_gt_i32_e64 s20, 0, v129
	v_and_b32_e32 v22, v22, v24
	v_not_b32_e32 v24, v130
	v_ashrrev_i32_e32 v28, 31, v28
	v_xor_b32_e32 v26, vcc_lo, v26
	v_cmp_gt_i32_e32 vcc_lo, 0, v130
	v_and_b32_e32 v22, v22, v25
	v_not_b32_e32 v25, v27
	v_ashrrev_i32_e32 v24, 31, v24
	v_xor_b32_e32 v28, s20, v28
	v_cmp_gt_i32_e64 s20, 0, v27
	v_and_b32_e32 v22, v22, v26
	v_ashrrev_i32_e32 v25, 31, v25
	v_xor_b32_e32 v24, vcc_lo, v24
	v_mad_u32_u24 v26, v23, 36, v96
	v_mul_u32_u24_e32 v23, 36, v23
	v_and_b32_e32 v22, v22, v28
	v_xor_b32_e32 v25, s20, v25
	ds_read_b32 v129, v26 offset:1056
	v_add_nc_u32_e32 v132, v96, v23
	v_and_b32_e32 v22, v22, v24
	; wave barrier
	v_and_b32_e32 v22, v22, v25
	v_mbcnt_lo_u32_b32 v131, v22, 0
	v_cmp_ne_u32_e64 s20, 0, v22
	v_cmp_eq_u32_e32 vcc_lo, 0, v131
	s_and_b32 s21, s20, vcc_lo
	s_and_saveexec_b32 s20, s21
	s_cbranch_execz .LBB1841_428
; %bb.427:                              ;   in Loop: Header=BB1841_394 Depth=2
	s_waitcnt lgkmcnt(0)
	v_bcnt_u32_b32 v22, v22, v129
	ds_write_b32 v132, v22 offset:1056
.LBB1841_428:                           ;   in Loop: Header=BB1841_394 Depth=2
	s_or_b32 exec_lo, exec_lo, s20
	v_cmp_lt_i16_e32 vcc_lo, -1, v21
	; wave barrier
	v_cndmask_b32_e64 v22, -1, 0xffff8000, vcc_lo
	v_xor_b32_e32 v130, v22, v21
	v_cmp_ne_u16_e32 vcc_lo, 0x7fff, v130
	v_cndmask_b32_e32 v21, 0xffff8000, v130, vcc_lo
	v_lshrrev_b32_sdwa v21, s49, v21 dst_sel:DWORD dst_unused:UNUSED_PAD src0_sel:DWORD src1_sel:WORD_0
	v_and_b32_e32 v22, s43, v21
	v_and_b32_e32 v21, 1, v22
	v_lshlrev_b32_e32 v23, 30, v22
	v_lshlrev_b32_e32 v24, 29, v22
	;; [unrolled: 1-line block ×4, first 2 shown]
	v_add_co_u32 v21, s20, v21, -1
	v_cndmask_b32_e64 v26, 0, 1, s20
	v_not_b32_e32 v134, v23
	v_cmp_gt_i32_e64 s20, 0, v23
	v_not_b32_e32 v23, v24
	v_lshlrev_b32_e32 v28, 26, v22
	v_cmp_ne_u32_e32 vcc_lo, 0, v26
	v_ashrrev_i32_e32 v134, 31, v134
	v_lshlrev_b32_e32 v133, 25, v22
	v_ashrrev_i32_e32 v23, 31, v23
	v_lshlrev_b32_e32 v26, 24, v22
	v_xor_b32_e32 v21, vcc_lo, v21
	v_cmp_gt_i32_e32 vcc_lo, 0, v24
	v_not_b32_e32 v24, v25
	v_xor_b32_e32 v134, s20, v134
	v_cmp_gt_i32_e64 s20, 0, v25
	v_and_b32_e32 v21, exec_lo, v21
	v_not_b32_e32 v25, v27
	v_ashrrev_i32_e32 v24, 31, v24
	v_xor_b32_e32 v23, vcc_lo, v23
	v_cmp_gt_i32_e32 vcc_lo, 0, v27
	v_and_b32_e32 v21, v21, v134
	v_not_b32_e32 v27, v28
	v_ashrrev_i32_e32 v25, 31, v25
	v_xor_b32_e32 v24, s20, v24
	v_cmp_gt_i32_e64 s20, 0, v28
	v_and_b32_e32 v21, v21, v23
	v_not_b32_e32 v23, v133
	v_ashrrev_i32_e32 v27, 31, v27
	v_xor_b32_e32 v25, vcc_lo, v25
	v_cmp_gt_i32_e32 vcc_lo, 0, v133
	v_and_b32_e32 v21, v21, v24
	v_not_b32_e32 v24, v26
	v_ashrrev_i32_e32 v23, 31, v23
	v_xor_b32_e32 v27, s20, v27
	v_cmp_gt_i32_e64 s20, 0, v26
	v_and_b32_e32 v21, v21, v25
	v_ashrrev_i32_e32 v24, 31, v24
	v_xor_b32_e32 v23, vcc_lo, v23
	v_mad_u32_u24 v25, v22, 36, v96
	v_mul_u32_u24_e32 v22, 36, v22
	v_and_b32_e32 v21, v21, v27
	v_xor_b32_e32 v24, s20, v24
	ds_read_b32 v133, v25 offset:1056
	v_add_nc_u32_e32 v135, v96, v22
	v_and_b32_e32 v21, v21, v23
	; wave barrier
	v_and_b32_e32 v21, v21, v24
	v_mbcnt_lo_u32_b32 v134, v21, 0
	v_cmp_ne_u32_e64 s20, 0, v21
	v_cmp_eq_u32_e32 vcc_lo, 0, v134
	s_and_b32 s21, s20, vcc_lo
	s_and_saveexec_b32 s20, s21
	s_cbranch_execz .LBB1841_430
; %bb.429:                              ;   in Loop: Header=BB1841_394 Depth=2
	s_waitcnt lgkmcnt(0)
	v_bcnt_u32_b32 v21, v21, v133
	ds_write_b32 v135, v21 offset:1056
.LBB1841_430:                           ;   in Loop: Header=BB1841_394 Depth=2
	s_or_b32 exec_lo, exec_lo, s20
	; wave barrier
	s_waitcnt lgkmcnt(0)
	s_barrier
	buffer_gl0_inv
	ds_read2_b32 v[27:28], v78 offset1:1
	ds_read2_b32 v[25:26], v88 offset1:1
	;; [unrolled: 1-line block ×4, first 2 shown]
	ds_read_b32 v136, v44 offset:1088
	s_waitcnt lgkmcnt(3)
	v_add3_u32 v137, v28, v27, v25
	s_waitcnt lgkmcnt(2)
	v_add3_u32 v137, v137, v26, v23
	;; [unrolled: 2-line block ×4, first 2 shown]
	v_mov_b32_dpp v137, v136 row_shr:1 row_mask:0xf bank_mask:0xf
	v_cndmask_b32_e64 v137, v137, 0, s5
	v_add_nc_u32_e32 v136, v137, v136
	v_mov_b32_dpp v137, v136 row_shr:2 row_mask:0xf bank_mask:0xf
	v_cndmask_b32_e64 v137, 0, v137, s13
	v_add_nc_u32_e32 v136, v136, v137
	;; [unrolled: 3-line block ×4, first 2 shown]
	ds_swizzle_b32 v137, v136 offset:swizzle(BROADCAST,32,15)
	s_waitcnt lgkmcnt(0)
	v_cndmask_b32_e64 v137, v137, 0, s16
	v_add_nc_u32_e32 v136, v136, v137
	s_and_saveexec_b32 s20, s8
; %bb.431:                              ;   in Loop: Header=BB1841_394 Depth=2
	ds_write_b32 v39, v136 offset:1024
; %bb.432:                              ;   in Loop: Header=BB1841_394 Depth=2
	s_or_b32 exec_lo, exec_lo, s20
	s_waitcnt lgkmcnt(0)
	s_barrier
	buffer_gl0_inv
	s_and_saveexec_b32 s20, s9
	s_cbranch_execz .LBB1841_434
; %bb.433:                              ;   in Loop: Header=BB1841_394 Depth=2
	ds_read_b32 v137, v46 offset:1024
	s_waitcnt lgkmcnt(0)
	v_mov_b32_dpp v138, v137 row_shr:1 row_mask:0xf bank_mask:0xf
	v_cndmask_b32_e64 v138, v138, 0, s17
	v_add_nc_u32_e32 v137, v138, v137
	v_mov_b32_dpp v138, v137 row_shr:2 row_mask:0xf bank_mask:0xf
	v_cndmask_b32_e64 v138, 0, v138, s18
	v_add_nc_u32_e32 v137, v137, v138
	v_mov_b32_dpp v138, v137 row_shr:4 row_mask:0xf bank_mask:0xf
	v_cndmask_b32_e64 v138, 0, v138, s19
	v_add_nc_u32_e32 v137, v137, v138
	ds_write_b32 v46, v137 offset:1024
.LBB1841_434:                           ;   in Loop: Header=BB1841_394 Depth=2
	s_or_b32 exec_lo, exec_lo, s20
	v_mov_b32_e32 v137, 0
	s_waitcnt lgkmcnt(0)
	s_barrier
	buffer_gl0_inv
	s_and_saveexec_b32 s20, s10
; %bb.435:                              ;   in Loop: Header=BB1841_394 Depth=2
	ds_read_b32 v137, v39 offset:1020
; %bb.436:                              ;   in Loop: Header=BB1841_394 Depth=2
	s_or_b32 exec_lo, exec_lo, s20
	s_waitcnt lgkmcnt(0)
	v_add_nc_u32_e32 v136, v137, v136
	ds_bpermute_b32 v136, v91, v136
	s_waitcnt lgkmcnt(0)
	v_cndmask_b32_e64 v136, v136, v137, s12
	v_cndmask_b32_e64 v136, v136, 0, s4
	v_add_nc_u32_e32 v27, v136, v27
	v_add_nc_u32_e32 v28, v27, v28
	;; [unrolled: 1-line block ×8, first 2 shown]
	ds_write2_b32 v78, v136, v27 offset1:1
	ds_write2_b32 v88, v28, v25 offset1:1
	;; [unrolled: 1-line block ×4, first 2 shown]
	ds_write_b32 v44, v22 offset:1088
	s_waitcnt lgkmcnt(0)
	s_barrier
	buffer_gl0_inv
	ds_read_b32 v24, v108 offset:1056
	ds_read_b32 v25, v112 offset:1056
	;; [unrolled: 1-line block ×9, first 2 shown]
	v_mov_b32_e32 v23, 0x800
	s_and_saveexec_b32 s20, s11
; %bb.437:                              ;   in Loop: Header=BB1841_394 Depth=2
	ds_read_b32 v23, v44 offset:1092
; %bb.438:                              ;   in Loop: Header=BB1841_394 Depth=2
	s_or_b32 exec_lo, exec_lo, s20
	s_waitcnt lgkmcnt(0)
	s_barrier
	buffer_gl0_inv
	s_and_saveexec_b32 s20, s7
	s_cbranch_execz .LBB1841_440
; %bb.439:                              ;   in Loop: Header=BB1841_394 Depth=2
	ds_read_b32 v112, v29
	s_waitcnt lgkmcnt(0)
	v_sub_nc_u32_e32 v108, v112, v108
	ds_write_b32 v29, v108
.LBB1841_440:                           ;   in Loop: Header=BB1841_394 Depth=2
	s_or_b32 exec_lo, exec_lo, s20
	v_add_nc_u32_e32 v112, v24, v106
	v_add3_u32 v108, v110, v109, v25
	v_add3_u32 v106, v115, v113, v26
	v_add3_u32 v26, v119, v117, v27
	v_add3_u32 v25, v123, v121, v28
	v_lshlrev_b32_e32 v109, 1, v112
	v_lshlrev_b32_e32 v110, 1, v108
	v_add3_u32 v27, v131, v129, v22
	v_lshlrev_b32_e32 v22, 1, v106
	v_add3_u32 v28, v134, v133, v21
	ds_write_b16 v109, v3 offset:1024
	ds_write_b16 v110, v107 offset:1024
	v_lshlrev_b32_e32 v3, 1, v26
	v_add3_u32 v24, v127, v125, v116
	ds_write_b16 v22, v111 offset:1024
	v_lshlrev_b32_e32 v21, 1, v25
	v_cmp_lt_u32_e32 vcc_lo, v0, v105
	ds_write_b16 v3, v114 offset:1024
	v_lshlrev_b32_e32 v3, 1, v28
	v_lshlrev_b32_e32 v22, 1, v24
	;; [unrolled: 1-line block ×3, first 2 shown]
	ds_write_b16 v21, v118 offset:1024
	ds_write_b16 v22, v122 offset:1024
	;; [unrolled: 1-line block ×4, first 2 shown]
	s_waitcnt lgkmcnt(0)
	s_barrier
	buffer_gl0_inv
	s_and_saveexec_b32 s21, vcc_lo
	s_cbranch_execnz .LBB1841_477
; %bb.441:                              ;   in Loop: Header=BB1841_394 Depth=2
	s_or_b32 exec_lo, exec_lo, s21
	v_cmp_lt_u32_e64 s20, v30, v105
	s_and_saveexec_b32 s22, s20
	s_cbranch_execnz .LBB1841_478
.LBB1841_442:                           ;   in Loop: Header=BB1841_394 Depth=2
	s_or_b32 exec_lo, exec_lo, s22
	v_cmp_lt_u32_e64 s21, v31, v105
	s_and_saveexec_b32 s23, s21
	s_cbranch_execnz .LBB1841_479
.LBB1841_443:                           ;   in Loop: Header=BB1841_394 Depth=2
	s_or_b32 exec_lo, exec_lo, s23
	v_cmp_lt_u32_e64 s22, v32, v105
	s_and_saveexec_b32 s24, s22
	s_cbranch_execnz .LBB1841_480
.LBB1841_444:                           ;   in Loop: Header=BB1841_394 Depth=2
	s_or_b32 exec_lo, exec_lo, s24
	v_cmp_lt_u32_e64 s23, v35, v105
	s_and_saveexec_b32 s25, s23
	s_cbranch_execnz .LBB1841_481
.LBB1841_445:                           ;   in Loop: Header=BB1841_394 Depth=2
	s_or_b32 exec_lo, exec_lo, s25
	v_cmp_lt_u32_e64 s24, v36, v105
	s_and_saveexec_b32 s26, s24
	s_cbranch_execnz .LBB1841_482
.LBB1841_446:                           ;   in Loop: Header=BB1841_394 Depth=2
	s_or_b32 exec_lo, exec_lo, s26
	v_cmp_lt_u32_e64 s25, v37, v105
	s_and_saveexec_b32 s28, s25
	s_cbranch_execnz .LBB1841_483
.LBB1841_447:                           ;   in Loop: Header=BB1841_394 Depth=2
	s_or_b32 exec_lo, exec_lo, s28
	v_cmp_lt_u32_e64 s26, v38, v105
	s_and_saveexec_b32 s54, s26
	s_cbranch_execz .LBB1841_449
.LBB1841_448:                           ;   in Loop: Header=BB1841_394 Depth=2
	ds_read_u16 v107, v47 offset:4608
	s_waitcnt lgkmcnt(0)
	v_cmp_ne_u16_e64 s28, 0x7fff, v107
	v_cndmask_b32_e64 v3, 0xffff8000, v107, s28
	v_cmp_lt_i16_e64 s28, -1, v107
	v_lshrrev_b32_sdwa v3, s49, v3 dst_sel:DWORD dst_unused:UNUSED_PAD src0_sel:DWORD src1_sel:WORD_0
	v_cndmask_b32_e64 v109, 0xffff8000, -1, s28
	v_and_b32_e32 v3, s43, v3
	v_lshlrev_b32_e32 v3, 2, v3
	ds_read_b32 v3, v3
	s_waitcnt lgkmcnt(0)
	v_add_nc_u32_e32 v3, v3, v38
	v_lshlrev_b64 v[21:22], 1, v[3:4]
	v_xor_b32_e32 v3, v109, v107
	v_add_co_u32 v21, s28, s38, v21
	v_add_co_ci_u32_e64 v22, null, s39, v22, s28
	global_store_short v[21:22], v3, off
.LBB1841_449:                           ;   in Loop: Header=BB1841_394 Depth=2
	s_or_b32 exec_lo, exec_lo, s54
	s_lshl_b64 s[54:55], s[34:35], 3
	v_add_co_u32 v21, s28, v92, s54
	v_add_co_ci_u32_e64 v22, null, s55, v93, s28
	v_cmp_lt_u32_e64 s28, v66, v105
	s_and_saveexec_b32 s34, s28
	s_xor_b32 s28, exec_lo, s34
	s_cbranch_execnz .LBB1841_484
; %bb.450:                              ;   in Loop: Header=BB1841_394 Depth=2
	s_or_b32 exec_lo, exec_lo, s28
	s_mov_b32 s34, exec_lo
	v_cmpx_lt_u32_e64 v70, v105
	s_cbranch_execnz .LBB1841_485
.LBB1841_451:                           ;   in Loop: Header=BB1841_394 Depth=2
	s_or_b32 exec_lo, exec_lo, s34
	s_mov_b32 s34, exec_lo
	v_cmpx_lt_u32_e64 v71, v105
	s_cbranch_execnz .LBB1841_486
.LBB1841_452:                           ;   in Loop: Header=BB1841_394 Depth=2
	s_or_b32 exec_lo, exec_lo, s34
	s_mov_b32 s34, exec_lo
	v_cmpx_lt_u32_e64 v72, v105
	s_cbranch_execnz .LBB1841_487
.LBB1841_453:                           ;   in Loop: Header=BB1841_394 Depth=2
	s_or_b32 exec_lo, exec_lo, s34
	s_mov_b32 s34, exec_lo
	v_cmpx_lt_u32_e64 v73, v105
	s_cbranch_execnz .LBB1841_488
.LBB1841_454:                           ;   in Loop: Header=BB1841_394 Depth=2
	s_or_b32 exec_lo, exec_lo, s34
	s_mov_b32 s34, exec_lo
	v_cmpx_lt_u32_e64 v74, v105
	s_cbranch_execnz .LBB1841_489
.LBB1841_455:                           ;   in Loop: Header=BB1841_394 Depth=2
	s_or_b32 exec_lo, exec_lo, s34
	s_mov_b32 s34, exec_lo
	v_cmpx_lt_u32_e64 v75, v105
	s_cbranch_execnz .LBB1841_490
.LBB1841_456:                           ;   in Loop: Header=BB1841_394 Depth=2
	s_or_b32 exec_lo, exec_lo, s34
	s_mov_b32 s34, exec_lo
	v_cmpx_lt_u32_e64 v76, v105
	s_cbranch_execnz .LBB1841_491
.LBB1841_457:                           ;   in Loop: Header=BB1841_394 Depth=2
	s_or_b32 exec_lo, exec_lo, s34
	s_and_saveexec_b32 s34, vcc_lo
	s_cbranch_execnz .LBB1841_492
.LBB1841_458:                           ;   in Loop: Header=BB1841_394 Depth=2
	s_or_b32 exec_lo, exec_lo, s34
	s_and_saveexec_b32 s34, s20
	s_cbranch_execnz .LBB1841_493
.LBB1841_459:                           ;   in Loop: Header=BB1841_394 Depth=2
	s_or_b32 exec_lo, exec_lo, s34
	s_and_saveexec_b32 s34, s21
	s_cbranch_execnz .LBB1841_494
.LBB1841_460:                           ;   in Loop: Header=BB1841_394 Depth=2
	s_or_b32 exec_lo, exec_lo, s34
	s_and_saveexec_b32 s34, s22
	s_cbranch_execnz .LBB1841_495
.LBB1841_461:                           ;   in Loop: Header=BB1841_394 Depth=2
	s_or_b32 exec_lo, exec_lo, s34
	s_and_saveexec_b32 s34, s23
	s_cbranch_execnz .LBB1841_496
.LBB1841_462:                           ;   in Loop: Header=BB1841_394 Depth=2
	s_or_b32 exec_lo, exec_lo, s34
	s_and_saveexec_b32 s34, s24
	s_cbranch_execnz .LBB1841_497
.LBB1841_463:                           ;   in Loop: Header=BB1841_394 Depth=2
	s_or_b32 exec_lo, exec_lo, s34
	s_and_saveexec_b32 s34, s25
	s_cbranch_execnz .LBB1841_498
.LBB1841_464:                           ;   in Loop: Header=BB1841_394 Depth=2
	s_or_b32 exec_lo, exec_lo, s34
	s_and_saveexec_b32 s34, s26
	s_cbranch_execz .LBB1841_466
.LBB1841_465:                           ;   in Loop: Header=BB1841_394 Depth=2
	ds_read_u16 v3, v47 offset:4608
	s_waitcnt lgkmcnt(0)
	v_cmp_ne_u16_e64 s28, 0x7fff, v3
	v_cndmask_b32_e64 v3, 0xffff8000, v3, s28
	v_lshrrev_b32_sdwa v3, s49, v3 dst_sel:DWORD dst_unused:UNUSED_PAD src0_sel:DWORD src1_sel:WORD_0
	v_and_b32_e32 v97, s43, v3
.LBB1841_466:                           ;   in Loop: Header=BB1841_394 Depth=2
	s_or_b32 exec_lo, exec_lo, s34
	v_lshlrev_b32_e32 v3, 3, v112
	v_lshlrev_b32_e32 v21, 3, v108
	;; [unrolled: 1-line block ×3, first 2 shown]
	s_waitcnt vmcnt(0)
	s_waitcnt_vscnt null, 0x0
	s_barrier
	buffer_gl0_inv
	ds_write_b64 v3, v[19:20] offset:1024
	ds_write_b64 v21, v[17:18] offset:1024
	;; [unrolled: 1-line block ×3, first 2 shown]
	v_lshlrev_b32_e32 v3, 3, v26
	v_lshlrev_b32_e32 v21, 3, v25
	;; [unrolled: 1-line block ×5, first 2 shown]
	ds_write_b64 v3, v[13:14] offset:1024
	ds_write_b64 v21, v[11:12] offset:1024
	;; [unrolled: 1-line block ×5, first 2 shown]
	s_waitcnt lgkmcnt(0)
	s_barrier
	buffer_gl0_inv
	s_and_saveexec_b32 s28, vcc_lo
	s_cbranch_execnz .LBB1841_499
; %bb.467:                              ;   in Loop: Header=BB1841_394 Depth=2
	s_or_b32 exec_lo, exec_lo, s28
	s_and_saveexec_b32 s28, s20
	s_cbranch_execnz .LBB1841_500
.LBB1841_468:                           ;   in Loop: Header=BB1841_394 Depth=2
	s_or_b32 exec_lo, exec_lo, s28
	s_and_saveexec_b32 s20, s21
	s_cbranch_execnz .LBB1841_501
.LBB1841_469:                           ;   in Loop: Header=BB1841_394 Depth=2
	s_or_b32 exec_lo, exec_lo, s20
	s_and_saveexec_b32 s20, s22
	s_cbranch_execnz .LBB1841_502
.LBB1841_470:                           ;   in Loop: Header=BB1841_394 Depth=2
	s_or_b32 exec_lo, exec_lo, s20
	s_and_saveexec_b32 s20, s23
	s_cbranch_execnz .LBB1841_503
.LBB1841_471:                           ;   in Loop: Header=BB1841_394 Depth=2
	s_or_b32 exec_lo, exec_lo, s20
	s_and_saveexec_b32 s20, s24
	s_cbranch_execnz .LBB1841_504
.LBB1841_472:                           ;   in Loop: Header=BB1841_394 Depth=2
	s_or_b32 exec_lo, exec_lo, s20
	s_and_saveexec_b32 s20, s25
	s_cbranch_execnz .LBB1841_505
.LBB1841_473:                           ;   in Loop: Header=BB1841_394 Depth=2
	s_or_b32 exec_lo, exec_lo, s20
	s_and_saveexec_b32 s20, s26
	s_cbranch_execz .LBB1841_475
.LBB1841_474:                           ;   in Loop: Header=BB1841_394 Depth=2
	v_lshlrev_b32_e32 v3, 2, v97
	v_add_nc_u32_e32 v21, v47, v48
	ds_read_b32 v3, v3
	ds_read_b64 v[21:22], v21 offset:15360
	s_waitcnt lgkmcnt(1)
	v_add_nc_u32_e32 v3, v3, v38
	v_lshlrev_b64 v[24:25], 3, v[3:4]
	v_add_co_u32 v24, vcc_lo, s44, v24
	v_add_co_ci_u32_e64 v25, null, s45, v25, vcc_lo
	s_waitcnt lgkmcnt(0)
	global_store_dwordx2 v[24:25], v[21:22], off
.LBB1841_475:                           ;   in Loop: Header=BB1841_394 Depth=2
	s_or_b32 exec_lo, exec_lo, s20
	s_waitcnt_vscnt null, 0x0
	s_barrier
	buffer_gl0_inv
	s_and_saveexec_b32 s20, s7
	s_cbranch_execz .LBB1841_393
; %bb.476:                              ;   in Loop: Header=BB1841_394 Depth=2
	ds_read_b32 v3, v29
	s_waitcnt lgkmcnt(0)
	v_add_nc_u32_e32 v3, v3, v23
	ds_write_b32 v29, v3
	s_branch .LBB1841_393
.LBB1841_477:                           ;   in Loop: Header=BB1841_394 Depth=2
	ds_read_u16 v107, v47 offset:1024
	s_waitcnt lgkmcnt(0)
	v_cmp_ne_u16_e64 s20, 0x7fff, v107
	v_cndmask_b32_e64 v3, 0xffff8000, v107, s20
	v_cmp_lt_i16_e64 s20, -1, v107
	v_lshrrev_b32_sdwa v3, s49, v3 dst_sel:DWORD dst_unused:UNUSED_PAD src0_sel:DWORD src1_sel:WORD_0
	v_cndmask_b32_e64 v109, 0xffff8000, -1, s20
	v_and_b32_e32 v3, s43, v3
	v_lshlrev_b32_e32 v3, 2, v3
	ds_read_b32 v3, v3
	s_waitcnt lgkmcnt(0)
	v_add_nc_u32_e32 v3, v3, v0
	v_lshlrev_b64 v[21:22], 1, v[3:4]
	v_xor_b32_e32 v3, v109, v107
	v_add_co_u32 v21, s20, s38, v21
	v_add_co_ci_u32_e64 v22, null, s39, v22, s20
	global_store_short v[21:22], v3, off
	s_or_b32 exec_lo, exec_lo, s21
	v_cmp_lt_u32_e64 s20, v30, v105
	s_and_saveexec_b32 s22, s20
	s_cbranch_execz .LBB1841_442
.LBB1841_478:                           ;   in Loop: Header=BB1841_394 Depth=2
	ds_read_u16 v107, v47 offset:1536
	s_waitcnt lgkmcnt(0)
	v_cmp_ne_u16_e64 s21, 0x7fff, v107
	v_cndmask_b32_e64 v3, 0xffff8000, v107, s21
	v_cmp_lt_i16_e64 s21, -1, v107
	v_lshrrev_b32_sdwa v3, s49, v3 dst_sel:DWORD dst_unused:UNUSED_PAD src0_sel:DWORD src1_sel:WORD_0
	v_cndmask_b32_e64 v109, 0xffff8000, -1, s21
	v_and_b32_e32 v3, s43, v3
	v_lshlrev_b32_e32 v3, 2, v3
	ds_read_b32 v3, v3
	s_waitcnt lgkmcnt(0)
	v_add_nc_u32_e32 v3, v3, v30
	v_lshlrev_b64 v[21:22], 1, v[3:4]
	v_xor_b32_e32 v3, v109, v107
	v_add_co_u32 v21, s21, s38, v21
	v_add_co_ci_u32_e64 v22, null, s39, v22, s21
	global_store_short v[21:22], v3, off
	s_or_b32 exec_lo, exec_lo, s22
	v_cmp_lt_u32_e64 s21, v31, v105
	s_and_saveexec_b32 s23, s21
	s_cbranch_execz .LBB1841_443
.LBB1841_479:                           ;   in Loop: Header=BB1841_394 Depth=2
	ds_read_u16 v107, v47 offset:2048
	s_waitcnt lgkmcnt(0)
	v_cmp_ne_u16_e64 s22, 0x7fff, v107
	v_cndmask_b32_e64 v3, 0xffff8000, v107, s22
	v_cmp_lt_i16_e64 s22, -1, v107
	v_lshrrev_b32_sdwa v3, s49, v3 dst_sel:DWORD dst_unused:UNUSED_PAD src0_sel:DWORD src1_sel:WORD_0
	v_cndmask_b32_e64 v109, 0xffff8000, -1, s22
	v_and_b32_e32 v3, s43, v3
	v_lshlrev_b32_e32 v3, 2, v3
	ds_read_b32 v3, v3
	s_waitcnt lgkmcnt(0)
	v_add_nc_u32_e32 v3, v3, v31
	v_lshlrev_b64 v[21:22], 1, v[3:4]
	v_xor_b32_e32 v3, v109, v107
	v_add_co_u32 v21, s22, s38, v21
	v_add_co_ci_u32_e64 v22, null, s39, v22, s22
	global_store_short v[21:22], v3, off
	s_or_b32 exec_lo, exec_lo, s23
	v_cmp_lt_u32_e64 s22, v32, v105
	s_and_saveexec_b32 s24, s22
	s_cbranch_execz .LBB1841_444
.LBB1841_480:                           ;   in Loop: Header=BB1841_394 Depth=2
	ds_read_u16 v107, v47 offset:2560
	s_waitcnt lgkmcnt(0)
	v_cmp_ne_u16_e64 s23, 0x7fff, v107
	v_cndmask_b32_e64 v3, 0xffff8000, v107, s23
	v_cmp_lt_i16_e64 s23, -1, v107
	v_lshrrev_b32_sdwa v3, s49, v3 dst_sel:DWORD dst_unused:UNUSED_PAD src0_sel:DWORD src1_sel:WORD_0
	v_cndmask_b32_e64 v109, 0xffff8000, -1, s23
	v_and_b32_e32 v3, s43, v3
	v_lshlrev_b32_e32 v3, 2, v3
	ds_read_b32 v3, v3
	s_waitcnt lgkmcnt(0)
	v_add_nc_u32_e32 v3, v3, v32
	v_lshlrev_b64 v[21:22], 1, v[3:4]
	v_xor_b32_e32 v3, v109, v107
	v_add_co_u32 v21, s23, s38, v21
	v_add_co_ci_u32_e64 v22, null, s39, v22, s23
	global_store_short v[21:22], v3, off
	s_or_b32 exec_lo, exec_lo, s24
	v_cmp_lt_u32_e64 s23, v35, v105
	s_and_saveexec_b32 s25, s23
	s_cbranch_execz .LBB1841_445
.LBB1841_481:                           ;   in Loop: Header=BB1841_394 Depth=2
	ds_read_u16 v107, v47 offset:3072
	s_waitcnt lgkmcnt(0)
	v_cmp_ne_u16_e64 s24, 0x7fff, v107
	v_cndmask_b32_e64 v3, 0xffff8000, v107, s24
	v_cmp_lt_i16_e64 s24, -1, v107
	v_lshrrev_b32_sdwa v3, s49, v3 dst_sel:DWORD dst_unused:UNUSED_PAD src0_sel:DWORD src1_sel:WORD_0
	v_cndmask_b32_e64 v109, 0xffff8000, -1, s24
	v_and_b32_e32 v3, s43, v3
	v_lshlrev_b32_e32 v3, 2, v3
	ds_read_b32 v3, v3
	s_waitcnt lgkmcnt(0)
	v_add_nc_u32_e32 v3, v3, v35
	v_lshlrev_b64 v[21:22], 1, v[3:4]
	v_xor_b32_e32 v3, v109, v107
	v_add_co_u32 v21, s24, s38, v21
	v_add_co_ci_u32_e64 v22, null, s39, v22, s24
	global_store_short v[21:22], v3, off
	s_or_b32 exec_lo, exec_lo, s25
	v_cmp_lt_u32_e64 s24, v36, v105
	s_and_saveexec_b32 s26, s24
	s_cbranch_execz .LBB1841_446
.LBB1841_482:                           ;   in Loop: Header=BB1841_394 Depth=2
	ds_read_u16 v107, v47 offset:3584
	s_waitcnt lgkmcnt(0)
	v_cmp_ne_u16_e64 s25, 0x7fff, v107
	v_cndmask_b32_e64 v3, 0xffff8000, v107, s25
	v_cmp_lt_i16_e64 s25, -1, v107
	v_lshrrev_b32_sdwa v3, s49, v3 dst_sel:DWORD dst_unused:UNUSED_PAD src0_sel:DWORD src1_sel:WORD_0
	v_cndmask_b32_e64 v109, 0xffff8000, -1, s25
	v_and_b32_e32 v3, s43, v3
	v_lshlrev_b32_e32 v3, 2, v3
	ds_read_b32 v3, v3
	s_waitcnt lgkmcnt(0)
	v_add_nc_u32_e32 v3, v3, v36
	v_lshlrev_b64 v[21:22], 1, v[3:4]
	v_xor_b32_e32 v3, v109, v107
	v_add_co_u32 v21, s25, s38, v21
	v_add_co_ci_u32_e64 v22, null, s39, v22, s25
	global_store_short v[21:22], v3, off
	s_or_b32 exec_lo, exec_lo, s26
	v_cmp_lt_u32_e64 s25, v37, v105
	s_and_saveexec_b32 s28, s25
	s_cbranch_execz .LBB1841_447
.LBB1841_483:                           ;   in Loop: Header=BB1841_394 Depth=2
	ds_read_u16 v107, v47 offset:4096
	s_waitcnt lgkmcnt(0)
	v_cmp_ne_u16_e64 s26, 0x7fff, v107
	v_cndmask_b32_e64 v3, 0xffff8000, v107, s26
	v_cmp_lt_i16_e64 s26, -1, v107
	v_lshrrev_b32_sdwa v3, s49, v3 dst_sel:DWORD dst_unused:UNUSED_PAD src0_sel:DWORD src1_sel:WORD_0
	v_cndmask_b32_e64 v109, 0xffff8000, -1, s26
	v_and_b32_e32 v3, s43, v3
	v_lshlrev_b32_e32 v3, 2, v3
	ds_read_b32 v3, v3
	s_waitcnt lgkmcnt(0)
	v_add_nc_u32_e32 v3, v3, v37
	v_lshlrev_b64 v[21:22], 1, v[3:4]
	v_xor_b32_e32 v3, v109, v107
	v_add_co_u32 v21, s26, s38, v21
	v_add_co_ci_u32_e64 v22, null, s39, v22, s26
	global_store_short v[21:22], v3, off
	s_or_b32 exec_lo, exec_lo, s28
	v_cmp_lt_u32_e64 s26, v38, v105
	s_and_saveexec_b32 s54, s26
	s_cbranch_execnz .LBB1841_448
	s_branch .LBB1841_449
.LBB1841_484:                           ;   in Loop: Header=BB1841_394 Depth=2
	global_load_dwordx2 v[19:20], v[21:22], off
	s_or_b32 exec_lo, exec_lo, s28
	s_mov_b32 s34, exec_lo
	v_cmpx_lt_u32_e64 v70, v105
	s_cbranch_execz .LBB1841_451
.LBB1841_485:                           ;   in Loop: Header=BB1841_394 Depth=2
	global_load_dwordx2 v[17:18], v[21:22], off offset:256
	s_or_b32 exec_lo, exec_lo, s34
	s_mov_b32 s34, exec_lo
	v_cmpx_lt_u32_e64 v71, v105
	s_cbranch_execz .LBB1841_452
.LBB1841_486:                           ;   in Loop: Header=BB1841_394 Depth=2
	global_load_dwordx2 v[15:16], v[21:22], off offset:512
	s_or_b32 exec_lo, exec_lo, s34
	s_mov_b32 s34, exec_lo
	v_cmpx_lt_u32_e64 v72, v105
	s_cbranch_execz .LBB1841_453
.LBB1841_487:                           ;   in Loop: Header=BB1841_394 Depth=2
	global_load_dwordx2 v[13:14], v[21:22], off offset:768
	s_or_b32 exec_lo, exec_lo, s34
	s_mov_b32 s34, exec_lo
	v_cmpx_lt_u32_e64 v73, v105
	s_cbranch_execz .LBB1841_454
.LBB1841_488:                           ;   in Loop: Header=BB1841_394 Depth=2
	global_load_dwordx2 v[11:12], v[21:22], off offset:1024
	s_or_b32 exec_lo, exec_lo, s34
	s_mov_b32 s34, exec_lo
	v_cmpx_lt_u32_e64 v74, v105
	s_cbranch_execz .LBB1841_455
.LBB1841_489:                           ;   in Loop: Header=BB1841_394 Depth=2
	global_load_dwordx2 v[9:10], v[21:22], off offset:1280
	s_or_b32 exec_lo, exec_lo, s34
	s_mov_b32 s34, exec_lo
	v_cmpx_lt_u32_e64 v75, v105
	s_cbranch_execz .LBB1841_456
.LBB1841_490:                           ;   in Loop: Header=BB1841_394 Depth=2
	global_load_dwordx2 v[7:8], v[21:22], off offset:1536
	s_or_b32 exec_lo, exec_lo, s34
	s_mov_b32 s34, exec_lo
	v_cmpx_lt_u32_e64 v76, v105
	s_cbranch_execz .LBB1841_457
.LBB1841_491:                           ;   in Loop: Header=BB1841_394 Depth=2
	global_load_dwordx2 v[5:6], v[21:22], off offset:1792
	s_or_b32 exec_lo, exec_lo, s34
	s_and_saveexec_b32 s34, vcc_lo
	s_cbranch_execz .LBB1841_458
.LBB1841_492:                           ;   in Loop: Header=BB1841_394 Depth=2
	ds_read_u16 v3, v47 offset:1024
	s_waitcnt lgkmcnt(0)
	v_cmp_ne_u16_e64 s28, 0x7fff, v3
	v_cndmask_b32_e64 v3, 0xffff8000, v3, s28
	v_lshrrev_b32_sdwa v3, s49, v3 dst_sel:DWORD dst_unused:UNUSED_PAD src0_sel:DWORD src1_sel:WORD_0
	v_and_b32_e32 v104, s43, v3
	s_or_b32 exec_lo, exec_lo, s34
	s_and_saveexec_b32 s34, s20
	s_cbranch_execz .LBB1841_459
.LBB1841_493:                           ;   in Loop: Header=BB1841_394 Depth=2
	ds_read_u16 v3, v47 offset:1536
	s_waitcnt lgkmcnt(0)
	v_cmp_ne_u16_e64 s28, 0x7fff, v3
	v_cndmask_b32_e64 v3, 0xffff8000, v3, s28
	v_lshrrev_b32_sdwa v3, s49, v3 dst_sel:DWORD dst_unused:UNUSED_PAD src0_sel:DWORD src1_sel:WORD_0
	v_and_b32_e32 v103, s43, v3
	s_or_b32 exec_lo, exec_lo, s34
	s_and_saveexec_b32 s34, s21
	s_cbranch_execz .LBB1841_460
.LBB1841_494:                           ;   in Loop: Header=BB1841_394 Depth=2
	ds_read_u16 v3, v47 offset:2048
	s_waitcnt lgkmcnt(0)
	v_cmp_ne_u16_e64 s28, 0x7fff, v3
	v_cndmask_b32_e64 v3, 0xffff8000, v3, s28
	v_lshrrev_b32_sdwa v3, s49, v3 dst_sel:DWORD dst_unused:UNUSED_PAD src0_sel:DWORD src1_sel:WORD_0
	v_and_b32_e32 v102, s43, v3
	s_or_b32 exec_lo, exec_lo, s34
	s_and_saveexec_b32 s34, s22
	s_cbranch_execz .LBB1841_461
.LBB1841_495:                           ;   in Loop: Header=BB1841_394 Depth=2
	ds_read_u16 v3, v47 offset:2560
	s_waitcnt lgkmcnt(0)
	v_cmp_ne_u16_e64 s28, 0x7fff, v3
	v_cndmask_b32_e64 v3, 0xffff8000, v3, s28
	v_lshrrev_b32_sdwa v3, s49, v3 dst_sel:DWORD dst_unused:UNUSED_PAD src0_sel:DWORD src1_sel:WORD_0
	v_and_b32_e32 v101, s43, v3
	s_or_b32 exec_lo, exec_lo, s34
	s_and_saveexec_b32 s34, s23
	s_cbranch_execz .LBB1841_462
.LBB1841_496:                           ;   in Loop: Header=BB1841_394 Depth=2
	ds_read_u16 v3, v47 offset:3072
	s_waitcnt lgkmcnt(0)
	v_cmp_ne_u16_e64 s28, 0x7fff, v3
	v_cndmask_b32_e64 v3, 0xffff8000, v3, s28
	v_lshrrev_b32_sdwa v3, s49, v3 dst_sel:DWORD dst_unused:UNUSED_PAD src0_sel:DWORD src1_sel:WORD_0
	v_and_b32_e32 v100, s43, v3
	s_or_b32 exec_lo, exec_lo, s34
	s_and_saveexec_b32 s34, s24
	s_cbranch_execz .LBB1841_463
.LBB1841_497:                           ;   in Loop: Header=BB1841_394 Depth=2
	ds_read_u16 v3, v47 offset:3584
	s_waitcnt lgkmcnt(0)
	v_cmp_ne_u16_e64 s28, 0x7fff, v3
	v_cndmask_b32_e64 v3, 0xffff8000, v3, s28
	v_lshrrev_b32_sdwa v3, s49, v3 dst_sel:DWORD dst_unused:UNUSED_PAD src0_sel:DWORD src1_sel:WORD_0
	v_and_b32_e32 v99, s43, v3
	s_or_b32 exec_lo, exec_lo, s34
	s_and_saveexec_b32 s34, s25
	s_cbranch_execz .LBB1841_464
.LBB1841_498:                           ;   in Loop: Header=BB1841_394 Depth=2
	ds_read_u16 v3, v47 offset:4096
	s_waitcnt lgkmcnt(0)
	v_cmp_ne_u16_e64 s28, 0x7fff, v3
	v_cndmask_b32_e64 v3, 0xffff8000, v3, s28
	v_lshrrev_b32_sdwa v3, s49, v3 dst_sel:DWORD dst_unused:UNUSED_PAD src0_sel:DWORD src1_sel:WORD_0
	v_and_b32_e32 v98, s43, v3
	s_or_b32 exec_lo, exec_lo, s34
	s_and_saveexec_b32 s34, s26
	s_cbranch_execnz .LBB1841_465
	s_branch .LBB1841_466
.LBB1841_499:                           ;   in Loop: Header=BB1841_394 Depth=2
	v_lshlrev_b32_e32 v3, 2, v104
	v_add_nc_u32_e32 v21, v47, v48
	ds_read_b32 v3, v3
	ds_read_b64 v[21:22], v21 offset:1024
	s_waitcnt lgkmcnt(1)
	v_add_nc_u32_e32 v3, v3, v0
	v_lshlrev_b64 v[24:25], 3, v[3:4]
	v_add_co_u32 v24, vcc_lo, s44, v24
	v_add_co_ci_u32_e64 v25, null, s45, v25, vcc_lo
	s_waitcnt lgkmcnt(0)
	global_store_dwordx2 v[24:25], v[21:22], off
	s_or_b32 exec_lo, exec_lo, s28
	s_and_saveexec_b32 s28, s20
	s_cbranch_execz .LBB1841_468
.LBB1841_500:                           ;   in Loop: Header=BB1841_394 Depth=2
	v_lshlrev_b32_e32 v3, 2, v103
	v_add_nc_u32_e32 v21, v47, v48
	ds_read_b32 v3, v3
	ds_read_b64 v[21:22], v21 offset:3072
	s_waitcnt lgkmcnt(1)
	v_add_nc_u32_e32 v3, v3, v30
	v_lshlrev_b64 v[24:25], 3, v[3:4]
	v_add_co_u32 v24, vcc_lo, s44, v24
	v_add_co_ci_u32_e64 v25, null, s45, v25, vcc_lo
	s_waitcnt lgkmcnt(0)
	global_store_dwordx2 v[24:25], v[21:22], off
	s_or_b32 exec_lo, exec_lo, s28
	s_and_saveexec_b32 s20, s21
	s_cbranch_execz .LBB1841_469
.LBB1841_501:                           ;   in Loop: Header=BB1841_394 Depth=2
	v_lshlrev_b32_e32 v3, 2, v102
	v_add_nc_u32_e32 v21, v47, v48
	ds_read_b32 v3, v3
	ds_read_b64 v[21:22], v21 offset:5120
	s_waitcnt lgkmcnt(1)
	v_add_nc_u32_e32 v3, v3, v31
	v_lshlrev_b64 v[24:25], 3, v[3:4]
	v_add_co_u32 v24, vcc_lo, s44, v24
	v_add_co_ci_u32_e64 v25, null, s45, v25, vcc_lo
	s_waitcnt lgkmcnt(0)
	global_store_dwordx2 v[24:25], v[21:22], off
	s_or_b32 exec_lo, exec_lo, s20
	s_and_saveexec_b32 s20, s22
	s_cbranch_execz .LBB1841_470
.LBB1841_502:                           ;   in Loop: Header=BB1841_394 Depth=2
	v_lshlrev_b32_e32 v3, 2, v101
	v_add_nc_u32_e32 v21, v47, v48
	ds_read_b32 v3, v3
	ds_read_b64 v[21:22], v21 offset:7168
	s_waitcnt lgkmcnt(1)
	v_add_nc_u32_e32 v3, v3, v32
	v_lshlrev_b64 v[24:25], 3, v[3:4]
	v_add_co_u32 v24, vcc_lo, s44, v24
	v_add_co_ci_u32_e64 v25, null, s45, v25, vcc_lo
	s_waitcnt lgkmcnt(0)
	global_store_dwordx2 v[24:25], v[21:22], off
	s_or_b32 exec_lo, exec_lo, s20
	s_and_saveexec_b32 s20, s23
	s_cbranch_execz .LBB1841_471
.LBB1841_503:                           ;   in Loop: Header=BB1841_394 Depth=2
	v_lshlrev_b32_e32 v3, 2, v100
	v_add_nc_u32_e32 v21, v47, v48
	ds_read_b32 v3, v3
	ds_read_b64 v[21:22], v21 offset:9216
	s_waitcnt lgkmcnt(1)
	v_add_nc_u32_e32 v3, v3, v35
	v_lshlrev_b64 v[24:25], 3, v[3:4]
	v_add_co_u32 v24, vcc_lo, s44, v24
	v_add_co_ci_u32_e64 v25, null, s45, v25, vcc_lo
	s_waitcnt lgkmcnt(0)
	global_store_dwordx2 v[24:25], v[21:22], off
	s_or_b32 exec_lo, exec_lo, s20
	s_and_saveexec_b32 s20, s24
	s_cbranch_execz .LBB1841_472
.LBB1841_504:                           ;   in Loop: Header=BB1841_394 Depth=2
	v_lshlrev_b32_e32 v3, 2, v99
	v_add_nc_u32_e32 v21, v47, v48
	ds_read_b32 v3, v3
	ds_read_b64 v[21:22], v21 offset:11264
	s_waitcnt lgkmcnt(1)
	v_add_nc_u32_e32 v3, v3, v36
	v_lshlrev_b64 v[24:25], 3, v[3:4]
	v_add_co_u32 v24, vcc_lo, s44, v24
	v_add_co_ci_u32_e64 v25, null, s45, v25, vcc_lo
	s_waitcnt lgkmcnt(0)
	global_store_dwordx2 v[24:25], v[21:22], off
	s_or_b32 exec_lo, exec_lo, s20
	s_and_saveexec_b32 s20, s25
	s_cbranch_execz .LBB1841_473
.LBB1841_505:                           ;   in Loop: Header=BB1841_394 Depth=2
	v_lshlrev_b32_e32 v3, 2, v98
	v_add_nc_u32_e32 v21, v47, v48
	ds_read_b32 v3, v3
	ds_read_b64 v[21:22], v21 offset:13312
	s_waitcnt lgkmcnt(1)
	v_add_nc_u32_e32 v3, v3, v37
	v_lshlrev_b64 v[24:25], 3, v[3:4]
	v_add_co_u32 v24, vcc_lo, s44, v24
	v_add_co_ci_u32_e64 v25, null, s45, v25, vcc_lo
	s_waitcnt lgkmcnt(0)
	global_store_dwordx2 v[24:25], v[21:22], off
	s_or_b32 exec_lo, exec_lo, s20
	s_and_saveexec_b32 s20, s26
	s_cbranch_execnz .LBB1841_474
	s_branch .LBB1841_475
.LBB1841_506:                           ;   in Loop: Header=BB1841_12 Depth=1
	s_waitcnt lgkmcnt(0)
	s_mov_b32 s5, 0
	s_barrier
.LBB1841_507:                           ;   in Loop: Header=BB1841_12 Depth=1
	s_and_b32 vcc_lo, exec_lo, s5
	s_cbranch_vccz .LBB1841_11
; %bb.508:                              ;   in Loop: Header=BB1841_12 Depth=1
	s_mov_b32 s5, s52
	s_mov_b32 s34, s29
	s_barrier
	buffer_gl0_inv
                                        ; implicit-def: $vgpr3
                                        ; implicit-def: $vgpr5
                                        ; implicit-def: $vgpr6
                                        ; implicit-def: $vgpr7
                                        ; implicit-def: $vgpr8
                                        ; implicit-def: $vgpr9
                                        ; implicit-def: $vgpr10
                                        ; implicit-def: $vgpr11
	s_branch .LBB1841_510
.LBB1841_509:                           ;   in Loop: Header=BB1841_510 Depth=2
	s_or_b32 exec_lo, exec_lo, s14
	s_addk_i32 s5, 0xf800
	s_cmp_ge_u32 s13, s33
	s_mov_b32 s34, s13
	s_cbranch_scc1 .LBB1841_546
.LBB1841_510:                           ;   Parent Loop BB1841_12 Depth=1
                                        ; =>  This Inner Loop Header: Depth=2
	s_add_i32 s13, s34, 0x800
	s_mov_b32 s14, -1
	s_cmp_gt_u32 s13, s33
                                        ; implicit-def: $vgpr12
                                        ; implicit-def: $vgpr13
                                        ; implicit-def: $vgpr14
                                        ; implicit-def: $vgpr15
                                        ; implicit-def: $vgpr16
                                        ; implicit-def: $vgpr17
                                        ; implicit-def: $vgpr18
                                        ; implicit-def: $vgpr19
	s_cbranch_scc1 .LBB1841_512
; %bb.511:                              ;   in Loop: Header=BB1841_510 Depth=2
	s_lshl_b64 s[14:15], s[34:35], 1
	v_add_co_u32 v15, vcc_lo, v55, s14
	v_add_co_ci_u32_e64 v16, null, s15, v56, vcc_lo
	s_mov_b32 s14, 0
	v_add_co_u32 v19, vcc_lo, 0x800, v15
	v_add_co_ci_u32_e64 v20, null, 0, v16, vcc_lo
	s_clause 0x7
	global_load_ushort v12, v[15:16], off
	global_load_ushort v13, v[15:16], off offset:512
	global_load_ushort v14, v[15:16], off offset:1024
	;; [unrolled: 1-line block ×3, first 2 shown]
	global_load_ushort v16, v[19:20], off
	global_load_ushort v17, v[19:20], off offset:512
	global_load_ushort v18, v[19:20], off offset:1024
	;; [unrolled: 1-line block ×3, first 2 shown]
.LBB1841_512:                           ;   in Loop: Header=BB1841_510 Depth=2
	s_andn2_b32 vcc_lo, exec_lo, s14
	s_movk_i32 s14, 0x800
	s_cbranch_vccnz .LBB1841_523
; %bb.513:                              ;   in Loop: Header=BB1841_510 Depth=2
	s_lshl_b64 s[14:15], s[34:35], 1
	s_mov_b32 s16, exec_lo
	s_add_u32 s14, s36, s14
	s_addc_u32 s15, s37, s15
	v_cmpx_gt_u32_e64 s5, v0
	s_cbranch_execnz .LBB1841_539
; %bb.514:                              ;   in Loop: Header=BB1841_510 Depth=2
	s_or_b32 exec_lo, exec_lo, s16
	s_mov_b32 s16, exec_lo
	v_cmpx_gt_u32_e64 s5, v30
	s_cbranch_execnz .LBB1841_540
.LBB1841_515:                           ;   in Loop: Header=BB1841_510 Depth=2
	s_or_b32 exec_lo, exec_lo, s16
	s_mov_b32 s16, exec_lo
	v_cmpx_gt_u32_e64 s5, v31
	s_cbranch_execnz .LBB1841_541
.LBB1841_516:                           ;   in Loop: Header=BB1841_510 Depth=2
	s_or_b32 exec_lo, exec_lo, s16
	s_mov_b32 s16, exec_lo
	v_cmpx_gt_u32_e64 s5, v32
	s_cbranch_execnz .LBB1841_542
.LBB1841_517:                           ;   in Loop: Header=BB1841_510 Depth=2
	s_or_b32 exec_lo, exec_lo, s16
	s_mov_b32 s16, exec_lo
	v_cmpx_gt_u32_e64 s5, v35
	s_cbranch_execnz .LBB1841_543
.LBB1841_518:                           ;   in Loop: Header=BB1841_510 Depth=2
	s_or_b32 exec_lo, exec_lo, s16
	s_mov_b32 s16, exec_lo
	v_cmpx_gt_u32_e64 s5, v36
	s_cbranch_execnz .LBB1841_544
.LBB1841_519:                           ;   in Loop: Header=BB1841_510 Depth=2
	s_or_b32 exec_lo, exec_lo, s16
	s_mov_b32 s16, exec_lo
	v_cmpx_gt_u32_e64 s5, v37
	s_cbranch_execnz .LBB1841_545
.LBB1841_520:                           ;   in Loop: Header=BB1841_510 Depth=2
	s_or_b32 exec_lo, exec_lo, s16
	s_mov_b32 s16, exec_lo
	v_cmpx_gt_u32_e64 s5, v38
	s_cbranch_execz .LBB1841_522
.LBB1841_521:                           ;   in Loop: Header=BB1841_510 Depth=2
	global_load_ushort v3, v87, s[14:15]
.LBB1841_522:                           ;   in Loop: Header=BB1841_510 Depth=2
	s_or_b32 exec_lo, exec_lo, s16
	s_waitcnt vmcnt(0)
	v_mov_b32_e32 v12, v11
	v_mov_b32_e32 v13, v10
	;; [unrolled: 1-line block ×8, first 2 shown]
	s_mov_b32 s14, s5
.LBB1841_523:                           ;   in Loop: Header=BB1841_510 Depth=2
	s_waitcnt vmcnt(0)
	v_mov_b32_e32 v3, v19
	v_mov_b32_e32 v5, v18
	;; [unrolled: 1-line block ×8, first 2 shown]
	s_mov_b32 s15, exec_lo
	v_cmpx_gt_u32_e64 s14, v0
	s_cbranch_execnz .LBB1841_531
; %bb.524:                              ;   in Loop: Header=BB1841_510 Depth=2
	s_or_b32 exec_lo, exec_lo, s15
	s_mov_b32 s15, exec_lo
	v_cmpx_gt_u32_e64 s14, v30
	s_cbranch_execnz .LBB1841_532
.LBB1841_525:                           ;   in Loop: Header=BB1841_510 Depth=2
	s_or_b32 exec_lo, exec_lo, s15
	s_mov_b32 s15, exec_lo
	v_cmpx_gt_u32_e64 s14, v31
	s_cbranch_execnz .LBB1841_533
.LBB1841_526:                           ;   in Loop: Header=BB1841_510 Depth=2
	s_or_b32 exec_lo, exec_lo, s15
	s_mov_b32 s15, exec_lo
	v_cmpx_gt_u32_e64 s14, v32
	s_cbranch_execnz .LBB1841_534
.LBB1841_527:                           ;   in Loop: Header=BB1841_510 Depth=2
	s_or_b32 exec_lo, exec_lo, s15
	s_mov_b32 s15, exec_lo
	v_cmpx_gt_u32_e64 s14, v35
	s_cbranch_execnz .LBB1841_535
.LBB1841_528:                           ;   in Loop: Header=BB1841_510 Depth=2
	s_or_b32 exec_lo, exec_lo, s15
	s_mov_b32 s15, exec_lo
	v_cmpx_gt_u32_e64 s14, v36
	s_cbranch_execnz .LBB1841_536
.LBB1841_529:                           ;   in Loop: Header=BB1841_510 Depth=2
	s_or_b32 exec_lo, exec_lo, s15
	s_mov_b32 s15, exec_lo
	v_cmpx_gt_u32_e64 s14, v37
	s_cbranch_execnz .LBB1841_537
.LBB1841_530:                           ;   in Loop: Header=BB1841_510 Depth=2
	s_or_b32 exec_lo, exec_lo, s15
	v_cmp_gt_u32_e32 vcc_lo, s14, v38
	s_and_saveexec_b32 s14, vcc_lo
	s_cbranch_execz .LBB1841_509
	s_branch .LBB1841_538
.LBB1841_531:                           ;   in Loop: Header=BB1841_510 Depth=2
	v_cmp_lt_i16_e32 vcc_lo, -1, v11
	v_cndmask_b32_e64 v12, -1, 0xffff8000, vcc_lo
	v_xor_b32_e32 v12, v12, v11
	v_cmp_ne_u16_e32 vcc_lo, 0x7fff, v12
	v_cndmask_b32_e32 v12, 0xffff8000, v12, vcc_lo
	v_lshrrev_b32_sdwa v12, s49, v12 dst_sel:DWORD dst_unused:UNUSED_PAD src0_sel:DWORD src1_sel:WORD_0
	v_and_b32_e32 v12, s43, v12
	v_lshl_or_b32 v12, v12, 4, v40
	ds_add_u32 v12, v62
	s_or_b32 exec_lo, exec_lo, s15
	s_mov_b32 s15, exec_lo
	v_cmpx_gt_u32_e64 s14, v30
	s_cbranch_execz .LBB1841_525
.LBB1841_532:                           ;   in Loop: Header=BB1841_510 Depth=2
	v_cmp_lt_i16_e32 vcc_lo, -1, v10
	v_cndmask_b32_e64 v12, -1, 0xffff8000, vcc_lo
	v_xor_b32_e32 v12, v12, v10
	v_cmp_ne_u16_e32 vcc_lo, 0x7fff, v12
	v_cndmask_b32_e32 v12, 0xffff8000, v12, vcc_lo
	v_lshrrev_b32_sdwa v12, s49, v12 dst_sel:DWORD dst_unused:UNUSED_PAD src0_sel:DWORD src1_sel:WORD_0
	v_and_b32_e32 v12, s43, v12
	v_lshl_or_b32 v12, v12, 4, v40
	ds_add_u32 v12, v62
	s_or_b32 exec_lo, exec_lo, s15
	s_mov_b32 s15, exec_lo
	v_cmpx_gt_u32_e64 s14, v31
	s_cbranch_execz .LBB1841_526
.LBB1841_533:                           ;   in Loop: Header=BB1841_510 Depth=2
	v_cmp_lt_i16_e32 vcc_lo, -1, v9
	v_cndmask_b32_e64 v12, -1, 0xffff8000, vcc_lo
	v_xor_b32_e32 v12, v12, v9
	v_cmp_ne_u16_e32 vcc_lo, 0x7fff, v12
	v_cndmask_b32_e32 v12, 0xffff8000, v12, vcc_lo
	v_lshrrev_b32_sdwa v12, s49, v12 dst_sel:DWORD dst_unused:UNUSED_PAD src0_sel:DWORD src1_sel:WORD_0
	v_and_b32_e32 v12, s43, v12
	v_lshl_or_b32 v12, v12, 4, v40
	ds_add_u32 v12, v62
	s_or_b32 exec_lo, exec_lo, s15
	s_mov_b32 s15, exec_lo
	v_cmpx_gt_u32_e64 s14, v32
	s_cbranch_execz .LBB1841_527
.LBB1841_534:                           ;   in Loop: Header=BB1841_510 Depth=2
	v_cmp_lt_i16_e32 vcc_lo, -1, v8
	v_cndmask_b32_e64 v12, -1, 0xffff8000, vcc_lo
	v_xor_b32_e32 v12, v12, v8
	v_cmp_ne_u16_e32 vcc_lo, 0x7fff, v12
	v_cndmask_b32_e32 v12, 0xffff8000, v12, vcc_lo
	v_lshrrev_b32_sdwa v12, s49, v12 dst_sel:DWORD dst_unused:UNUSED_PAD src0_sel:DWORD src1_sel:WORD_0
	v_and_b32_e32 v12, s43, v12
	v_lshl_or_b32 v12, v12, 4, v40
	ds_add_u32 v12, v62
	s_or_b32 exec_lo, exec_lo, s15
	s_mov_b32 s15, exec_lo
	v_cmpx_gt_u32_e64 s14, v35
	s_cbranch_execz .LBB1841_528
.LBB1841_535:                           ;   in Loop: Header=BB1841_510 Depth=2
	v_cmp_lt_i16_e32 vcc_lo, -1, v7
	v_cndmask_b32_e64 v12, -1, 0xffff8000, vcc_lo
	v_xor_b32_e32 v12, v12, v7
	v_cmp_ne_u16_e32 vcc_lo, 0x7fff, v12
	v_cndmask_b32_e32 v12, 0xffff8000, v12, vcc_lo
	v_lshrrev_b32_sdwa v12, s49, v12 dst_sel:DWORD dst_unused:UNUSED_PAD src0_sel:DWORD src1_sel:WORD_0
	v_and_b32_e32 v12, s43, v12
	v_lshl_or_b32 v12, v12, 4, v40
	ds_add_u32 v12, v62
	s_or_b32 exec_lo, exec_lo, s15
	s_mov_b32 s15, exec_lo
	v_cmpx_gt_u32_e64 s14, v36
	s_cbranch_execz .LBB1841_529
.LBB1841_536:                           ;   in Loop: Header=BB1841_510 Depth=2
	v_cmp_lt_i16_e32 vcc_lo, -1, v6
	v_cndmask_b32_e64 v12, -1, 0xffff8000, vcc_lo
	v_xor_b32_e32 v12, v12, v6
	v_cmp_ne_u16_e32 vcc_lo, 0x7fff, v12
	v_cndmask_b32_e32 v12, 0xffff8000, v12, vcc_lo
	v_lshrrev_b32_sdwa v12, s49, v12 dst_sel:DWORD dst_unused:UNUSED_PAD src0_sel:DWORD src1_sel:WORD_0
	v_and_b32_e32 v12, s43, v12
	v_lshl_or_b32 v12, v12, 4, v40
	ds_add_u32 v12, v62
	s_or_b32 exec_lo, exec_lo, s15
	s_mov_b32 s15, exec_lo
	v_cmpx_gt_u32_e64 s14, v37
	s_cbranch_execz .LBB1841_530
.LBB1841_537:                           ;   in Loop: Header=BB1841_510 Depth=2
	v_cmp_lt_i16_e32 vcc_lo, -1, v5
	v_cndmask_b32_e64 v12, -1, 0xffff8000, vcc_lo
	v_xor_b32_e32 v12, v12, v5
	v_cmp_ne_u16_e32 vcc_lo, 0x7fff, v12
	v_cndmask_b32_e32 v12, 0xffff8000, v12, vcc_lo
	v_lshrrev_b32_sdwa v12, s49, v12 dst_sel:DWORD dst_unused:UNUSED_PAD src0_sel:DWORD src1_sel:WORD_0
	v_and_b32_e32 v12, s43, v12
	v_lshl_or_b32 v12, v12, 4, v40
	ds_add_u32 v12, v62
	s_or_b32 exec_lo, exec_lo, s15
	v_cmp_gt_u32_e32 vcc_lo, s14, v38
	s_and_saveexec_b32 s14, vcc_lo
	s_cbranch_execz .LBB1841_509
.LBB1841_538:                           ;   in Loop: Header=BB1841_510 Depth=2
	v_cmp_lt_i16_e32 vcc_lo, -1, v3
	v_cndmask_b32_e64 v12, -1, 0xffff8000, vcc_lo
	v_xor_b32_e32 v12, v12, v3
	v_cmp_ne_u16_e32 vcc_lo, 0x7fff, v12
	v_cndmask_b32_e32 v12, 0xffff8000, v12, vcc_lo
	v_lshrrev_b32_sdwa v12, s49, v12 dst_sel:DWORD dst_unused:UNUSED_PAD src0_sel:DWORD src1_sel:WORD_0
	v_and_b32_e32 v12, s43, v12
	v_lshl_or_b32 v12, v12, 4, v40
	ds_add_u32 v12, v62
	s_branch .LBB1841_509
.LBB1841_539:                           ;   in Loop: Header=BB1841_510 Depth=2
	global_load_ushort v11, v79, s[14:15]
	s_or_b32 exec_lo, exec_lo, s16
	s_mov_b32 s16, exec_lo
	v_cmpx_gt_u32_e64 s5, v30
	s_cbranch_execz .LBB1841_515
.LBB1841_540:                           ;   in Loop: Header=BB1841_510 Depth=2
	global_load_ushort v10, v79, s[14:15] offset:512
	s_or_b32 exec_lo, exec_lo, s16
	s_mov_b32 s16, exec_lo
	v_cmpx_gt_u32_e64 s5, v31
	s_cbranch_execz .LBB1841_516
.LBB1841_541:                           ;   in Loop: Header=BB1841_510 Depth=2
	global_load_ushort v9, v79, s[14:15] offset:1024
	s_or_b32 exec_lo, exec_lo, s16
	s_mov_b32 s16, exec_lo
	v_cmpx_gt_u32_e64 s5, v32
	s_cbranch_execz .LBB1841_517
.LBB1841_542:                           ;   in Loop: Header=BB1841_510 Depth=2
	global_load_ushort v8, v79, s[14:15] offset:1536
	s_or_b32 exec_lo, exec_lo, s16
	s_mov_b32 s16, exec_lo
	v_cmpx_gt_u32_e64 s5, v35
	s_cbranch_execz .LBB1841_518
.LBB1841_543:                           ;   in Loop: Header=BB1841_510 Depth=2
	global_load_ushort v7, v80, s[14:15]
	s_or_b32 exec_lo, exec_lo, s16
	s_mov_b32 s16, exec_lo
	v_cmpx_gt_u32_e64 s5, v36
	s_cbranch_execz .LBB1841_519
.LBB1841_544:                           ;   in Loop: Header=BB1841_510 Depth=2
	global_load_ushort v6, v81, s[14:15]
	s_or_b32 exec_lo, exec_lo, s16
	s_mov_b32 s16, exec_lo
	v_cmpx_gt_u32_e64 s5, v37
	s_cbranch_execz .LBB1841_520
.LBB1841_545:                           ;   in Loop: Header=BB1841_510 Depth=2
	global_load_ushort v5, v82, s[14:15]
	s_or_b32 exec_lo, exec_lo, s16
	s_mov_b32 s16, exec_lo
	v_cmpx_gt_u32_e64 s5, v38
	s_cbranch_execnz .LBB1841_521
	s_branch .LBB1841_522
.LBB1841_546:                           ;   in Loop: Header=BB1841_12 Depth=1
	v_mov_b32_e32 v3, 0
	s_waitcnt lgkmcnt(0)
	s_barrier
	buffer_gl0_inv
	s_and_saveexec_b32 s5, s7
	s_cbranch_execz .LBB1841_548
; %bb.547:                              ;   in Loop: Header=BB1841_12 Depth=1
	ds_read2_b64 v[5:8], v41 offset1:1
	s_waitcnt lgkmcnt(0)
	v_add_nc_u32_e32 v3, v6, v5
	v_add3_u32 v3, v3, v7, v8
.LBB1841_548:                           ;   in Loop: Header=BB1841_12 Depth=1
	s_or_b32 exec_lo, exec_lo, s5
	v_mov_b32_dpp v5, v3 row_shr:1 row_mask:0xf bank_mask:0xf
	v_cmp_eq_u32_e64 s5, 0, v63
	v_cmp_lt_u32_e64 s13, 1, v63
	v_cmp_lt_u32_e64 s14, 3, v63
	;; [unrolled: 1-line block ×3, first 2 shown]
	v_cmp_eq_u32_e64 s16, 0, v65
	v_cndmask_b32_e64 v5, v5, 0, s5
	v_add_nc_u32_e32 v3, v5, v3
	v_mov_b32_dpp v5, v3 row_shr:2 row_mask:0xf bank_mask:0xf
	v_cndmask_b32_e64 v5, 0, v5, s13
	v_add_nc_u32_e32 v3, v3, v5
	v_mov_b32_dpp v5, v3 row_shr:4 row_mask:0xf bank_mask:0xf
	;; [unrolled: 3-line block ×3, first 2 shown]
	v_cndmask_b32_e64 v5, 0, v5, s15
	v_add_nc_u32_e32 v3, v3, v5
	ds_swizzle_b32 v5, v3 offset:swizzle(BROADCAST,32,15)
	s_waitcnt lgkmcnt(0)
	v_and_b32_e32 v5, v64, v5
	v_add_nc_u32_e32 v3, v3, v5
	s_and_saveexec_b32 s17, s8
; %bb.549:                              ;   in Loop: Header=BB1841_12 Depth=1
	ds_write_b32 v42, v3
; %bb.550:                              ;   in Loop: Header=BB1841_12 Depth=1
	s_or_b32 exec_lo, exec_lo, s17
	s_waitcnt lgkmcnt(0)
	s_barrier
	buffer_gl0_inv
	s_and_saveexec_b32 s17, s9
	s_cbranch_execz .LBB1841_552
; %bb.551:                              ;   in Loop: Header=BB1841_12 Depth=1
	ds_read_b32 v5, v43
	v_cmp_ne_u32_e32 vcc_lo, 0, v67
	s_waitcnt lgkmcnt(0)
	v_mov_b32_dpp v6, v5 row_shr:1 row_mask:0xf bank_mask:0xf
	v_cndmask_b32_e32 v6, 0, v6, vcc_lo
	v_cmp_lt_u32_e32 vcc_lo, 1, v67
	v_add_nc_u32_e32 v5, v6, v5
	v_mov_b32_dpp v6, v5 row_shr:2 row_mask:0xf bank_mask:0xf
	v_cndmask_b32_e32 v6, 0, v6, vcc_lo
	v_cmp_lt_u32_e32 vcc_lo, 3, v67
	v_add_nc_u32_e32 v5, v5, v6
	v_mov_b32_dpp v6, v5 row_shr:4 row_mask:0xf bank_mask:0xf
	v_cndmask_b32_e32 v6, 0, v6, vcc_lo
	v_add_nc_u32_e32 v5, v5, v6
	ds_write_b32 v43, v5
.LBB1841_552:                           ;   in Loop: Header=BB1841_12 Depth=1
	s_or_b32 exec_lo, exec_lo, s17
	v_mov_b32_e32 v5, 0
	s_waitcnt lgkmcnt(0)
	s_barrier
	buffer_gl0_inv
	s_and_saveexec_b32 s17, s10
; %bb.553:                              ;   in Loop: Header=BB1841_12 Depth=1
	ds_read_b32 v5, v45
; %bb.554:                              ;   in Loop: Header=BB1841_12 Depth=1
	s_or_b32 exec_lo, exec_lo, s17
	v_cmp_gt_i32_e32 vcc_lo, 0, v68
	s_waitcnt lgkmcnt(0)
	v_add_nc_u32_e32 v3, v5, v3
	s_barrier
	buffer_gl0_inv
	v_cndmask_b32_e32 v6, v68, v59, vcc_lo
	v_lshlrev_b32_e32 v91, 2, v6
	ds_bpermute_b32 v3, v91, v3
	s_and_saveexec_b32 s17, s7
	s_cbranch_execz .LBB1841_556
; %bb.555:                              ;   in Loop: Header=BB1841_12 Depth=1
	s_waitcnt lgkmcnt(0)
	v_cndmask_b32_e64 v3, v3, v5, s12
	v_add_nc_u32_e32 v3, s29, v3
	ds_write_b32 v29, v3
.LBB1841_556:                           ;   in Loop: Header=BB1841_12 Depth=1
	s_or_b32 exec_lo, exec_lo, s17
	s_load_dwordx2 s[18:19], s[30:31], 0x0
	v_add_co_u32 v92, vcc_lo, v57, v69
	v_add_co_ci_u32_e64 v93, null, 0, v58, vcc_lo
	v_add_co_u32 v94, vcc_lo, v60, v77
	v_add_co_ci_u32_e64 v95, null, 0, v61, vcc_lo
	s_mov_b32 s48, s52
	s_mov_b32 s34, s29
                                        ; implicit-def: $vgpr7_vgpr8
                                        ; implicit-def: $vgpr9_vgpr10
                                        ; implicit-def: $vgpr11_vgpr12
                                        ; implicit-def: $vgpr13_vgpr14
                                        ; implicit-def: $vgpr15_vgpr16
                                        ; implicit-def: $vgpr17_vgpr18
                                        ; implicit-def: $vgpr19_vgpr20
                                        ; implicit-def: $vgpr97
                                        ; implicit-def: $vgpr98
                                        ; implicit-def: $vgpr99
                                        ; implicit-def: $vgpr100
                                        ; implicit-def: $vgpr101
                                        ; implicit-def: $vgpr102
                                        ; implicit-def: $vgpr103
                                        ; implicit-def: $vgpr104
	s_waitcnt lgkmcnt(0)
	s_cmp_lt_u32 s27, s19
	s_cselect_b32 s17, 14, 20
	s_add_u32 s20, s30, s17
	s_addc_u32 s21, s31, 0
	s_cmp_lt_u32 s6, s18
	global_load_ushort v3, v4, s[20:21]
	s_cselect_b32 s17, 12, 18
	s_add_u32 s18, s30, s17
	s_addc_u32 s19, s31, 0
	v_cmp_eq_u32_e64 s17, 0, v67
	global_load_ushort v5, v4, s[18:19]
	v_cmp_lt_u32_e64 s18, 1, v67
	v_cmp_lt_u32_e64 s19, 3, v67
	s_waitcnt vmcnt(1)
	v_mad_u32_u24 v3, v2, v3, v1
	s_waitcnt vmcnt(0)
	v_mad_u64_u32 v[5:6], null, v3, v5, v[0:1]
	v_lshrrev_b32_e32 v3, 3, v5
                                        ; implicit-def: $vgpr5_vgpr6
	v_and_b32_e32 v96, 0x1ffffffc, v3
	s_branch .LBB1841_558
.LBB1841_557:                           ;   in Loop: Header=BB1841_558 Depth=2
	s_or_b32 exec_lo, exec_lo, s20
	s_addk_i32 s48, 0xf800
	s_cmp_lt_u32 s53, s33
	s_mov_b32 s34, s53
	s_cbranch_scc0 .LBB1841_10
.LBB1841_558:                           ;   Parent Loop BB1841_12 Depth=1
                                        ; =>  This Inner Loop Header: Depth=2
	s_add_i32 s53, s34, 0x800
	s_cmp_gt_u32 s53, s33
	s_cbranch_scc1 .LBB1841_560
; %bb.559:                              ;   in Loop: Header=BB1841_558 Depth=2
	s_lshl_b64 s[20:21], s[34:35], 1
	v_add_co_u32 v21, vcc_lo, v94, s20
	v_add_co_ci_u32_e64 v22, null, s21, v95, vcc_lo
	s_mov_b32 s20, -1
	s_clause 0x6
	global_load_ushort v3, v[21:22], off
	global_load_ushort v28, v[21:22], off offset:64
	global_load_ushort v27, v[21:22], off offset:128
	global_load_ushort v26, v[21:22], off offset:192
	global_load_ushort v25, v[21:22], off offset:256
	global_load_ushort v24, v[21:22], off offset:320
	global_load_ushort v23, v[21:22], off offset:384
	s_movk_i32 s21, 0x800
	s_cbranch_execz .LBB1841_561
	s_branch .LBB1841_576
.LBB1841_560:                           ;   in Loop: Header=BB1841_558 Depth=2
	s_mov_b32 s20, 0
                                        ; implicit-def: $vgpr3
                                        ; implicit-def: $vgpr28
                                        ; implicit-def: $vgpr27
                                        ; implicit-def: $vgpr26
                                        ; implicit-def: $vgpr25
                                        ; implicit-def: $vgpr24
                                        ; implicit-def: $vgpr23
	s_movk_i32 s21, 0x800
.LBB1841_561:                           ;   in Loop: Header=BB1841_558 Depth=2
	s_lshl_b64 s[20:21], s[34:35], 1
	s_waitcnt vmcnt(5)
	v_mov_b32_e32 v28, 0x7fff
	v_add_co_u32 v21, vcc_lo, v94, s20
	v_add_co_ci_u32_e64 v22, null, s21, v95, vcc_lo
	v_mov_b32_e32 v3, 0x7fff
	s_mov_b32 s20, exec_lo
	v_cmpx_gt_u32_e64 s48, v66
	s_cbranch_execz .LBB1841_563
; %bb.562:                              ;   in Loop: Header=BB1841_558 Depth=2
	global_load_ushort v3, v[21:22], off
.LBB1841_563:                           ;   in Loop: Header=BB1841_558 Depth=2
	s_or_b32 exec_lo, exec_lo, s20
	s_mov_b32 s20, exec_lo
	v_cmpx_gt_u32_e64 s48, v70
	s_cbranch_execz .LBB1841_565
; %bb.564:                              ;   in Loop: Header=BB1841_558 Depth=2
	global_load_ushort v28, v[21:22], off offset:64
.LBB1841_565:                           ;   in Loop: Header=BB1841_558 Depth=2
	s_or_b32 exec_lo, exec_lo, s20
	s_waitcnt vmcnt(3)
	v_mov_b32_e32 v26, 0x7fff
	v_mov_b32_e32 v27, 0x7fff
	s_mov_b32 s20, exec_lo
	v_cmpx_gt_u32_e64 s48, v71
	s_cbranch_execz .LBB1841_567
; %bb.566:                              ;   in Loop: Header=BB1841_558 Depth=2
	global_load_ushort v27, v[21:22], off offset:128
.LBB1841_567:                           ;   in Loop: Header=BB1841_558 Depth=2
	s_or_b32 exec_lo, exec_lo, s20
	s_mov_b32 s20, exec_lo
	v_cmpx_gt_u32_e64 s48, v72
	s_cbranch_execz .LBB1841_569
; %bb.568:                              ;   in Loop: Header=BB1841_558 Depth=2
	global_load_ushort v26, v[21:22], off offset:192
.LBB1841_569:                           ;   in Loop: Header=BB1841_558 Depth=2
	s_or_b32 exec_lo, exec_lo, s20
	s_waitcnt vmcnt(1)
	v_mov_b32_e32 v24, 0x7fff
	v_mov_b32_e32 v25, 0x7fff
	s_mov_b32 s20, exec_lo
	v_cmpx_gt_u32_e64 s48, v73
	s_cbranch_execz .LBB1841_571
; %bb.570:                              ;   in Loop: Header=BB1841_558 Depth=2
	global_load_ushort v25, v[21:22], off offset:256
.LBB1841_571:                           ;   in Loop: Header=BB1841_558 Depth=2
	s_or_b32 exec_lo, exec_lo, s20
	s_mov_b32 s20, exec_lo
	v_cmpx_gt_u32_e64 s48, v74
	s_cbranch_execz .LBB1841_573
; %bb.572:                              ;   in Loop: Header=BB1841_558 Depth=2
	global_load_ushort v24, v[21:22], off offset:320
.LBB1841_573:                           ;   in Loop: Header=BB1841_558 Depth=2
	s_or_b32 exec_lo, exec_lo, s20
	s_waitcnt vmcnt(0)
	v_mov_b32_e32 v23, 0x7fff
	s_mov_b32 s20, exec_lo
	v_cmpx_gt_u32_e64 s48, v75
	s_cbranch_execz .LBB1841_575
; %bb.574:                              ;   in Loop: Header=BB1841_558 Depth=2
	global_load_ushort v23, v[21:22], off offset:384
.LBB1841_575:                           ;   in Loop: Header=BB1841_558 Depth=2
	s_or_b32 exec_lo, exec_lo, s20
	v_cmp_gt_u32_e64 s20, s48, v76
	s_sub_i32 s21, s33, s34
.LBB1841_576:                           ;   in Loop: Header=BB1841_558 Depth=2
	v_mov_b32_e32 v21, 0x7fff
	v_mov_b32_e32 v105, s48
	s_and_saveexec_b32 s22, s20
	s_cbranch_execz .LBB1841_578
; %bb.577:                              ;   in Loop: Header=BB1841_558 Depth=2
	s_lshl_b64 s[24:25], s[34:35], 1
	v_mov_b32_e32 v105, s21
	v_add_co_u32 v21, vcc_lo, v94, s24
	v_add_co_ci_u32_e64 v22, null, s25, v95, vcc_lo
	global_load_ushort v21, v[21:22], off offset:448
.LBB1841_578:                           ;   in Loop: Header=BB1841_558 Depth=2
	s_or_b32 exec_lo, exec_lo, s22
	s_waitcnt vmcnt(6)
	v_cmp_lt_i16_e32 vcc_lo, -1, v3
	ds_write2_b32 v78, v4, v4 offset1:1
	ds_write2_b32 v88, v4, v4 offset1:1
	;; [unrolled: 1-line block ×4, first 2 shown]
	ds_write_b32 v44, v4 offset:1088
	s_waitcnt vmcnt(0) lgkmcnt(0)
	s_barrier
	v_cndmask_b32_e64 v22, -1, 0xffff8000, vcc_lo
	buffer_gl0_inv
	; wave barrier
	v_xor_b32_e32 v3, v22, v3
	v_cmp_ne_u16_e32 vcc_lo, 0x7fff, v3
	v_cndmask_b32_e32 v22, 0xffff8000, v3, vcc_lo
	v_lshrrev_b32_sdwa v22, s49, v22 dst_sel:DWORD dst_unused:UNUSED_PAD src0_sel:DWORD src1_sel:WORD_0
	v_and_b32_e32 v107, s43, v22
	v_and_b32_e32 v22, 1, v107
	v_lshlrev_b32_e32 v106, 30, v107
	v_lshlrev_b32_e32 v108, 29, v107
	v_lshlrev_b32_e32 v109, 28, v107
	v_lshlrev_b32_e32 v111, 27, v107
	v_add_co_u32 v22, s20, v22, -1
	v_cndmask_b32_e64 v110, 0, 1, s20
	v_not_b32_e32 v114, v106
	v_cmp_gt_i32_e64 s20, 0, v106
	v_not_b32_e32 v106, v108
	v_lshlrev_b32_e32 v112, 26, v107
	v_cmp_ne_u32_e32 vcc_lo, 0, v110
	v_ashrrev_i32_e32 v114, 31, v114
	v_lshlrev_b32_e32 v113, 25, v107
	v_ashrrev_i32_e32 v106, 31, v106
	v_lshlrev_b32_e32 v110, 24, v107
	v_xor_b32_e32 v22, vcc_lo, v22
	v_cmp_gt_i32_e32 vcc_lo, 0, v108
	v_not_b32_e32 v108, v109
	v_xor_b32_e32 v114, s20, v114
	v_cmp_gt_i32_e64 s20, 0, v109
	v_and_b32_e32 v22, exec_lo, v22
	v_not_b32_e32 v109, v111
	v_ashrrev_i32_e32 v108, 31, v108
	v_xor_b32_e32 v106, vcc_lo, v106
	v_cmp_gt_i32_e32 vcc_lo, 0, v111
	v_and_b32_e32 v22, v22, v114
	v_not_b32_e32 v111, v112
	v_ashrrev_i32_e32 v109, 31, v109
	v_xor_b32_e32 v108, s20, v108
	v_cmp_gt_i32_e64 s20, 0, v112
	v_and_b32_e32 v22, v22, v106
	v_not_b32_e32 v106, v113
	v_ashrrev_i32_e32 v111, 31, v111
	v_xor_b32_e32 v109, vcc_lo, v109
	v_cmp_gt_i32_e32 vcc_lo, 0, v113
	v_and_b32_e32 v22, v22, v108
	v_not_b32_e32 v108, v110
	v_ashrrev_i32_e32 v106, 31, v106
	v_xor_b32_e32 v111, s20, v111
	v_cmp_gt_i32_e64 s20, 0, v110
	v_and_b32_e32 v22, v22, v109
	v_ashrrev_i32_e32 v108, 31, v108
	v_xor_b32_e32 v106, vcc_lo, v106
	v_mul_u32_u24_e32 v107, 36, v107
	v_and_b32_e32 v22, v22, v111
	v_xor_b32_e32 v108, s20, v108
	v_and_b32_e32 v22, v22, v106
	v_and_b32_e32 v22, v22, v108
	v_add_nc_u32_e32 v108, v96, v107
	v_mbcnt_lo_u32_b32 v106, v22, 0
	v_cmp_ne_u32_e64 s20, 0, v22
	v_cmp_eq_u32_e32 vcc_lo, 0, v106
	s_and_b32 s21, s20, vcc_lo
	s_and_saveexec_b32 s20, s21
; %bb.579:                              ;   in Loop: Header=BB1841_558 Depth=2
	v_bcnt_u32_b32 v22, v22, 0
	ds_write_b32 v108, v22 offset:1056
; %bb.580:                              ;   in Loop: Header=BB1841_558 Depth=2
	s_or_b32 exec_lo, exec_lo, s20
	v_cmp_lt_i16_e32 vcc_lo, -1, v28
	; wave barrier
	v_cndmask_b32_e64 v22, -1, 0xffff8000, vcc_lo
	v_xor_b32_e32 v107, v22, v28
	v_cmp_ne_u16_e32 vcc_lo, 0x7fff, v107
	v_cndmask_b32_e32 v22, 0xffff8000, v107, vcc_lo
	v_lshrrev_b32_sdwa v22, s49, v22 dst_sel:DWORD dst_unused:UNUSED_PAD src0_sel:DWORD src1_sel:WORD_0
	v_and_b32_e32 v28, s43, v22
	v_and_b32_e32 v22, 1, v28
	v_lshlrev_b32_e32 v109, 30, v28
	v_lshlrev_b32_e32 v110, 29, v28
	;; [unrolled: 1-line block ×4, first 2 shown]
	v_add_co_u32 v22, s20, v22, -1
	v_cndmask_b32_e64 v112, 0, 1, s20
	v_not_b32_e32 v116, v109
	v_cmp_gt_i32_e64 s20, 0, v109
	v_not_b32_e32 v109, v110
	v_lshlrev_b32_e32 v114, 26, v28
	v_cmp_ne_u32_e32 vcc_lo, 0, v112
	v_ashrrev_i32_e32 v116, 31, v116
	v_lshlrev_b32_e32 v115, 25, v28
	v_ashrrev_i32_e32 v109, 31, v109
	v_lshlrev_b32_e32 v112, 24, v28
	v_xor_b32_e32 v22, vcc_lo, v22
	v_cmp_gt_i32_e32 vcc_lo, 0, v110
	v_not_b32_e32 v110, v111
	v_xor_b32_e32 v116, s20, v116
	v_cmp_gt_i32_e64 s20, 0, v111
	v_and_b32_e32 v22, exec_lo, v22
	v_not_b32_e32 v111, v113
	v_ashrrev_i32_e32 v110, 31, v110
	v_xor_b32_e32 v109, vcc_lo, v109
	v_cmp_gt_i32_e32 vcc_lo, 0, v113
	v_and_b32_e32 v22, v22, v116
	v_not_b32_e32 v113, v114
	v_ashrrev_i32_e32 v111, 31, v111
	v_xor_b32_e32 v110, s20, v110
	v_cmp_gt_i32_e64 s20, 0, v114
	v_and_b32_e32 v22, v22, v109
	v_not_b32_e32 v109, v115
	v_ashrrev_i32_e32 v113, 31, v113
	v_xor_b32_e32 v111, vcc_lo, v111
	v_cmp_gt_i32_e32 vcc_lo, 0, v115
	v_and_b32_e32 v22, v22, v110
	v_not_b32_e32 v110, v112
	v_ashrrev_i32_e32 v109, 31, v109
	v_xor_b32_e32 v113, s20, v113
	v_cmp_gt_i32_e64 s20, 0, v112
	v_and_b32_e32 v22, v22, v111
	v_ashrrev_i32_e32 v110, 31, v110
	v_xor_b32_e32 v109, vcc_lo, v109
	v_mad_u32_u24 v111, v28, 36, v96
	v_mul_u32_u24_e32 v28, 36, v28
	v_and_b32_e32 v22, v22, v113
	v_xor_b32_e32 v110, s20, v110
	v_add_nc_u32_e32 v112, v96, v28
	v_and_b32_e32 v22, v22, v109
	ds_read_b32 v109, v111 offset:1056
	; wave barrier
	v_and_b32_e32 v22, v22, v110
	v_mbcnt_lo_u32_b32 v110, v22, 0
	v_cmp_ne_u32_e64 s20, 0, v22
	v_cmp_eq_u32_e32 vcc_lo, 0, v110
	s_and_b32 s21, s20, vcc_lo
	s_and_saveexec_b32 s20, s21
	s_cbranch_execz .LBB1841_582
; %bb.581:                              ;   in Loop: Header=BB1841_558 Depth=2
	s_waitcnt lgkmcnt(0)
	v_bcnt_u32_b32 v22, v22, v109
	ds_write_b32 v112, v22 offset:1056
.LBB1841_582:                           ;   in Loop: Header=BB1841_558 Depth=2
	s_or_b32 exec_lo, exec_lo, s20
	v_cmp_lt_i16_e32 vcc_lo, -1, v27
	; wave barrier
	v_cndmask_b32_e64 v22, -1, 0xffff8000, vcc_lo
	v_xor_b32_e32 v111, v22, v27
	v_cmp_ne_u16_e32 vcc_lo, 0x7fff, v111
	v_cndmask_b32_e32 v22, 0xffff8000, v111, vcc_lo
	v_lshrrev_b32_sdwa v22, s49, v22 dst_sel:DWORD dst_unused:UNUSED_PAD src0_sel:DWORD src1_sel:WORD_0
	v_and_b32_e32 v27, s43, v22
	v_and_b32_e32 v22, 1, v27
	v_lshlrev_b32_e32 v28, 30, v27
	v_lshlrev_b32_e32 v113, 29, v27
	v_lshlrev_b32_e32 v114, 28, v27
	v_lshlrev_b32_e32 v116, 27, v27
	v_add_co_u32 v22, s20, v22, -1
	v_cndmask_b32_e64 v115, 0, 1, s20
	v_not_b32_e32 v119, v28
	v_cmp_gt_i32_e64 s20, 0, v28
	v_not_b32_e32 v28, v113
	v_lshlrev_b32_e32 v117, 26, v27
	v_cmp_ne_u32_e32 vcc_lo, 0, v115
	v_ashrrev_i32_e32 v119, 31, v119
	v_lshlrev_b32_e32 v118, 25, v27
	v_ashrrev_i32_e32 v28, 31, v28
	v_lshlrev_b32_e32 v115, 24, v27
	v_xor_b32_e32 v22, vcc_lo, v22
	v_cmp_gt_i32_e32 vcc_lo, 0, v113
	v_not_b32_e32 v113, v114
	v_xor_b32_e32 v119, s20, v119
	v_cmp_gt_i32_e64 s20, 0, v114
	v_and_b32_e32 v22, exec_lo, v22
	v_not_b32_e32 v114, v116
	v_ashrrev_i32_e32 v113, 31, v113
	v_xor_b32_e32 v28, vcc_lo, v28
	v_cmp_gt_i32_e32 vcc_lo, 0, v116
	v_and_b32_e32 v22, v22, v119
	v_not_b32_e32 v116, v117
	v_ashrrev_i32_e32 v114, 31, v114
	v_xor_b32_e32 v113, s20, v113
	v_cmp_gt_i32_e64 s20, 0, v117
	v_and_b32_e32 v22, v22, v28
	v_not_b32_e32 v28, v118
	v_ashrrev_i32_e32 v116, 31, v116
	v_xor_b32_e32 v114, vcc_lo, v114
	v_cmp_gt_i32_e32 vcc_lo, 0, v118
	v_and_b32_e32 v22, v22, v113
	v_not_b32_e32 v113, v115
	v_ashrrev_i32_e32 v28, 31, v28
	v_xor_b32_e32 v116, s20, v116
	v_cmp_gt_i32_e64 s20, 0, v115
	v_and_b32_e32 v22, v22, v114
	v_ashrrev_i32_e32 v113, 31, v113
	v_xor_b32_e32 v28, vcc_lo, v28
	v_mad_u32_u24 v114, v27, 36, v96
	v_mul_u32_u24_e32 v27, 36, v27
	v_and_b32_e32 v22, v22, v116
	v_xor_b32_e32 v115, s20, v113
	ds_read_b32 v113, v114 offset:1056
	v_add_nc_u32_e32 v116, v96, v27
	v_and_b32_e32 v22, v22, v28
	; wave barrier
	v_and_b32_e32 v22, v22, v115
	v_mbcnt_lo_u32_b32 v115, v22, 0
	v_cmp_ne_u32_e64 s20, 0, v22
	v_cmp_eq_u32_e32 vcc_lo, 0, v115
	s_and_b32 s21, s20, vcc_lo
	s_and_saveexec_b32 s20, s21
	s_cbranch_execz .LBB1841_584
; %bb.583:                              ;   in Loop: Header=BB1841_558 Depth=2
	s_waitcnt lgkmcnt(0)
	v_bcnt_u32_b32 v22, v22, v113
	ds_write_b32 v116, v22 offset:1056
.LBB1841_584:                           ;   in Loop: Header=BB1841_558 Depth=2
	s_or_b32 exec_lo, exec_lo, s20
	v_cmp_lt_i16_e32 vcc_lo, -1, v26
	; wave barrier
	v_cndmask_b32_e64 v22, -1, 0xffff8000, vcc_lo
	v_xor_b32_e32 v114, v22, v26
	v_cmp_ne_u16_e32 vcc_lo, 0x7fff, v114
	v_cndmask_b32_e32 v22, 0xffff8000, v114, vcc_lo
	v_lshrrev_b32_sdwa v22, s49, v22 dst_sel:DWORD dst_unused:UNUSED_PAD src0_sel:DWORD src1_sel:WORD_0
	v_and_b32_e32 v26, s43, v22
	v_and_b32_e32 v22, 1, v26
	v_lshlrev_b32_e32 v27, 30, v26
	v_lshlrev_b32_e32 v28, 29, v26
	;; [unrolled: 1-line block ×4, first 2 shown]
	v_add_co_u32 v22, s20, v22, -1
	v_cndmask_b32_e64 v118, 0, 1, s20
	v_not_b32_e32 v122, v27
	v_cmp_gt_i32_e64 s20, 0, v27
	v_not_b32_e32 v27, v28
	v_lshlrev_b32_e32 v120, 26, v26
	v_cmp_ne_u32_e32 vcc_lo, 0, v118
	v_ashrrev_i32_e32 v122, 31, v122
	v_lshlrev_b32_e32 v121, 25, v26
	v_ashrrev_i32_e32 v27, 31, v27
	v_lshlrev_b32_e32 v118, 24, v26
	v_xor_b32_e32 v22, vcc_lo, v22
	v_cmp_gt_i32_e32 vcc_lo, 0, v28
	v_not_b32_e32 v28, v117
	v_xor_b32_e32 v122, s20, v122
	v_cmp_gt_i32_e64 s20, 0, v117
	v_and_b32_e32 v22, exec_lo, v22
	v_not_b32_e32 v117, v119
	v_ashrrev_i32_e32 v28, 31, v28
	v_xor_b32_e32 v27, vcc_lo, v27
	v_cmp_gt_i32_e32 vcc_lo, 0, v119
	v_and_b32_e32 v22, v22, v122
	v_not_b32_e32 v119, v120
	v_ashrrev_i32_e32 v117, 31, v117
	v_xor_b32_e32 v28, s20, v28
	v_cmp_gt_i32_e64 s20, 0, v120
	v_and_b32_e32 v22, v22, v27
	v_not_b32_e32 v27, v121
	v_ashrrev_i32_e32 v119, 31, v119
	v_xor_b32_e32 v117, vcc_lo, v117
	v_cmp_gt_i32_e32 vcc_lo, 0, v121
	v_and_b32_e32 v22, v22, v28
	v_not_b32_e32 v28, v118
	v_ashrrev_i32_e32 v27, 31, v27
	v_xor_b32_e32 v119, s20, v119
	v_cmp_gt_i32_e64 s20, 0, v118
	v_and_b32_e32 v22, v22, v117
	v_ashrrev_i32_e32 v28, 31, v28
	v_xor_b32_e32 v27, vcc_lo, v27
	v_mad_u32_u24 v117, v26, 36, v96
	v_mul_u32_u24_e32 v26, 36, v26
	v_and_b32_e32 v22, v22, v119
	v_xor_b32_e32 v28, s20, v28
	ds_read_b32 v117, v117 offset:1056
	v_add_nc_u32_e32 v120, v96, v26
	v_and_b32_e32 v22, v22, v27
	; wave barrier
	v_and_b32_e32 v22, v22, v28
	v_mbcnt_lo_u32_b32 v119, v22, 0
	v_cmp_ne_u32_e64 s20, 0, v22
	v_cmp_eq_u32_e32 vcc_lo, 0, v119
	s_and_b32 s21, s20, vcc_lo
	s_and_saveexec_b32 s20, s21
	s_cbranch_execz .LBB1841_586
; %bb.585:                              ;   in Loop: Header=BB1841_558 Depth=2
	s_waitcnt lgkmcnt(0)
	v_bcnt_u32_b32 v22, v22, v117
	ds_write_b32 v120, v22 offset:1056
.LBB1841_586:                           ;   in Loop: Header=BB1841_558 Depth=2
	s_or_b32 exec_lo, exec_lo, s20
	v_cmp_lt_i16_e32 vcc_lo, -1, v25
	; wave barrier
	v_cndmask_b32_e64 v22, -1, 0xffff8000, vcc_lo
	v_xor_b32_e32 v118, v22, v25
	v_cmp_ne_u16_e32 vcc_lo, 0x7fff, v118
	v_cndmask_b32_e32 v22, 0xffff8000, v118, vcc_lo
	v_lshrrev_b32_sdwa v22, s49, v22 dst_sel:DWORD dst_unused:UNUSED_PAD src0_sel:DWORD src1_sel:WORD_0
	v_and_b32_e32 v25, s43, v22
	v_and_b32_e32 v22, 1, v25
	v_lshlrev_b32_e32 v26, 30, v25
	v_lshlrev_b32_e32 v27, 29, v25
	;; [unrolled: 1-line block ×4, first 2 shown]
	v_add_co_u32 v22, s20, v22, -1
	v_cndmask_b32_e64 v121, 0, 1, s20
	v_not_b32_e32 v125, v26
	v_cmp_gt_i32_e64 s20, 0, v26
	v_not_b32_e32 v26, v27
	v_lshlrev_b32_e32 v123, 26, v25
	v_cmp_ne_u32_e32 vcc_lo, 0, v121
	v_ashrrev_i32_e32 v125, 31, v125
	v_lshlrev_b32_e32 v124, 25, v25
	v_ashrrev_i32_e32 v26, 31, v26
	v_lshlrev_b32_e32 v121, 24, v25
	v_xor_b32_e32 v22, vcc_lo, v22
	v_cmp_gt_i32_e32 vcc_lo, 0, v27
	v_not_b32_e32 v27, v28
	v_xor_b32_e32 v125, s20, v125
	v_cmp_gt_i32_e64 s20, 0, v28
	v_and_b32_e32 v22, exec_lo, v22
	v_not_b32_e32 v28, v122
	v_ashrrev_i32_e32 v27, 31, v27
	v_xor_b32_e32 v26, vcc_lo, v26
	v_cmp_gt_i32_e32 vcc_lo, 0, v122
	v_and_b32_e32 v22, v22, v125
	v_not_b32_e32 v122, v123
	v_ashrrev_i32_e32 v28, 31, v28
	v_xor_b32_e32 v27, s20, v27
	v_cmp_gt_i32_e64 s20, 0, v123
	v_and_b32_e32 v22, v22, v26
	v_not_b32_e32 v26, v124
	v_ashrrev_i32_e32 v122, 31, v122
	v_xor_b32_e32 v28, vcc_lo, v28
	v_cmp_gt_i32_e32 vcc_lo, 0, v124
	v_and_b32_e32 v22, v22, v27
	v_not_b32_e32 v27, v121
	v_ashrrev_i32_e32 v26, 31, v26
	v_xor_b32_e32 v122, s20, v122
	v_cmp_gt_i32_e64 s20, 0, v121
	v_and_b32_e32 v22, v22, v28
	v_ashrrev_i32_e32 v27, 31, v27
	v_xor_b32_e32 v26, vcc_lo, v26
	v_mad_u32_u24 v28, v25, 36, v96
	v_mul_u32_u24_e32 v25, 36, v25
	v_and_b32_e32 v22, v22, v122
	v_xor_b32_e32 v27, s20, v27
	ds_read_b32 v121, v28 offset:1056
	v_add_nc_u32_e32 v124, v96, v25
	v_and_b32_e32 v22, v22, v26
	; wave barrier
	v_and_b32_e32 v22, v22, v27
	v_mbcnt_lo_u32_b32 v123, v22, 0
	v_cmp_ne_u32_e64 s20, 0, v22
	v_cmp_eq_u32_e32 vcc_lo, 0, v123
	s_and_b32 s21, s20, vcc_lo
	s_and_saveexec_b32 s20, s21
	s_cbranch_execz .LBB1841_588
; %bb.587:                              ;   in Loop: Header=BB1841_558 Depth=2
	s_waitcnt lgkmcnt(0)
	v_bcnt_u32_b32 v22, v22, v121
	ds_write_b32 v124, v22 offset:1056
.LBB1841_588:                           ;   in Loop: Header=BB1841_558 Depth=2
	s_or_b32 exec_lo, exec_lo, s20
	v_cmp_lt_i16_e32 vcc_lo, -1, v24
	; wave barrier
	v_cndmask_b32_e64 v22, -1, 0xffff8000, vcc_lo
	v_xor_b32_e32 v122, v22, v24
	v_cmp_ne_u16_e32 vcc_lo, 0x7fff, v122
	v_cndmask_b32_e32 v22, 0xffff8000, v122, vcc_lo
	v_lshrrev_b32_sdwa v22, s49, v22 dst_sel:DWORD dst_unused:UNUSED_PAD src0_sel:DWORD src1_sel:WORD_0
	v_and_b32_e32 v24, s43, v22
	v_and_b32_e32 v22, 1, v24
	v_lshlrev_b32_e32 v25, 30, v24
	v_lshlrev_b32_e32 v26, 29, v24
	;; [unrolled: 1-line block ×4, first 2 shown]
	v_add_co_u32 v22, s20, v22, -1
	v_cndmask_b32_e64 v28, 0, 1, s20
	v_not_b32_e32 v128, v25
	v_cmp_gt_i32_e64 s20, 0, v25
	v_not_b32_e32 v25, v26
	v_lshlrev_b32_e32 v126, 26, v24
	v_cmp_ne_u32_e32 vcc_lo, 0, v28
	v_ashrrev_i32_e32 v128, 31, v128
	v_lshlrev_b32_e32 v127, 25, v24
	v_ashrrev_i32_e32 v25, 31, v25
	v_lshlrev_b32_e32 v28, 24, v24
	v_xor_b32_e32 v22, vcc_lo, v22
	v_cmp_gt_i32_e32 vcc_lo, 0, v26
	v_not_b32_e32 v26, v27
	v_xor_b32_e32 v128, s20, v128
	v_cmp_gt_i32_e64 s20, 0, v27
	v_and_b32_e32 v22, exec_lo, v22
	v_not_b32_e32 v27, v125
	v_ashrrev_i32_e32 v26, 31, v26
	v_xor_b32_e32 v25, vcc_lo, v25
	v_cmp_gt_i32_e32 vcc_lo, 0, v125
	v_and_b32_e32 v22, v22, v128
	v_not_b32_e32 v125, v126
	v_ashrrev_i32_e32 v27, 31, v27
	v_xor_b32_e32 v26, s20, v26
	v_cmp_gt_i32_e64 s20, 0, v126
	v_and_b32_e32 v22, v22, v25
	v_not_b32_e32 v25, v127
	v_ashrrev_i32_e32 v125, 31, v125
	v_xor_b32_e32 v27, vcc_lo, v27
	v_cmp_gt_i32_e32 vcc_lo, 0, v127
	v_and_b32_e32 v22, v22, v26
	v_not_b32_e32 v26, v28
	v_ashrrev_i32_e32 v25, 31, v25
	v_xor_b32_e32 v125, s20, v125
	v_cmp_gt_i32_e64 s20, 0, v28
	v_and_b32_e32 v22, v22, v27
	v_ashrrev_i32_e32 v26, 31, v26
	v_xor_b32_e32 v25, vcc_lo, v25
	v_mad_u32_u24 v27, v24, 36, v96
	v_mul_u32_u24_e32 v24, 36, v24
	v_and_b32_e32 v22, v22, v125
	v_xor_b32_e32 v26, s20, v26
	ds_read_b32 v125, v27 offset:1056
	v_add_nc_u32_e32 v128, v96, v24
	v_and_b32_e32 v22, v22, v25
	; wave barrier
	v_and_b32_e32 v22, v22, v26
	v_mbcnt_lo_u32_b32 v127, v22, 0
	v_cmp_ne_u32_e64 s20, 0, v22
	v_cmp_eq_u32_e32 vcc_lo, 0, v127
	s_and_b32 s21, s20, vcc_lo
	s_and_saveexec_b32 s20, s21
	s_cbranch_execz .LBB1841_590
; %bb.589:                              ;   in Loop: Header=BB1841_558 Depth=2
	s_waitcnt lgkmcnt(0)
	v_bcnt_u32_b32 v22, v22, v125
	ds_write_b32 v128, v22 offset:1056
.LBB1841_590:                           ;   in Loop: Header=BB1841_558 Depth=2
	s_or_b32 exec_lo, exec_lo, s20
	v_cmp_lt_i16_e32 vcc_lo, -1, v23
	; wave barrier
	v_cndmask_b32_e64 v22, -1, 0xffff8000, vcc_lo
	v_xor_b32_e32 v126, v22, v23
	v_cmp_ne_u16_e32 vcc_lo, 0x7fff, v126
	v_cndmask_b32_e32 v22, 0xffff8000, v126, vcc_lo
	v_lshrrev_b32_sdwa v22, s49, v22 dst_sel:DWORD dst_unused:UNUSED_PAD src0_sel:DWORD src1_sel:WORD_0
	v_and_b32_e32 v23, s43, v22
	v_and_b32_e32 v22, 1, v23
	v_lshlrev_b32_e32 v24, 30, v23
	v_lshlrev_b32_e32 v25, 29, v23
	;; [unrolled: 1-line block ×4, first 2 shown]
	v_add_co_u32 v22, s20, v22, -1
	v_cndmask_b32_e64 v27, 0, 1, s20
	v_not_b32_e32 v131, v24
	v_cmp_gt_i32_e64 s20, 0, v24
	v_not_b32_e32 v24, v25
	v_lshlrev_b32_e32 v129, 26, v23
	v_cmp_ne_u32_e32 vcc_lo, 0, v27
	v_ashrrev_i32_e32 v131, 31, v131
	v_lshlrev_b32_e32 v130, 25, v23
	v_ashrrev_i32_e32 v24, 31, v24
	v_lshlrev_b32_e32 v27, 24, v23
	v_xor_b32_e32 v22, vcc_lo, v22
	v_cmp_gt_i32_e32 vcc_lo, 0, v25
	v_not_b32_e32 v25, v26
	v_xor_b32_e32 v131, s20, v131
	v_cmp_gt_i32_e64 s20, 0, v26
	v_and_b32_e32 v22, exec_lo, v22
	v_not_b32_e32 v26, v28
	v_ashrrev_i32_e32 v25, 31, v25
	v_xor_b32_e32 v24, vcc_lo, v24
	v_cmp_gt_i32_e32 vcc_lo, 0, v28
	v_and_b32_e32 v22, v22, v131
	v_not_b32_e32 v28, v129
	v_ashrrev_i32_e32 v26, 31, v26
	v_xor_b32_e32 v25, s20, v25
	v_cmp_gt_i32_e64 s20, 0, v129
	v_and_b32_e32 v22, v22, v24
	v_not_b32_e32 v24, v130
	v_ashrrev_i32_e32 v28, 31, v28
	v_xor_b32_e32 v26, vcc_lo, v26
	v_cmp_gt_i32_e32 vcc_lo, 0, v130
	v_and_b32_e32 v22, v22, v25
	v_not_b32_e32 v25, v27
	v_ashrrev_i32_e32 v24, 31, v24
	v_xor_b32_e32 v28, s20, v28
	v_cmp_gt_i32_e64 s20, 0, v27
	v_and_b32_e32 v22, v22, v26
	v_ashrrev_i32_e32 v25, 31, v25
	v_xor_b32_e32 v24, vcc_lo, v24
	v_mad_u32_u24 v26, v23, 36, v96
	v_mul_u32_u24_e32 v23, 36, v23
	v_and_b32_e32 v22, v22, v28
	v_xor_b32_e32 v25, s20, v25
	ds_read_b32 v129, v26 offset:1056
	v_add_nc_u32_e32 v132, v96, v23
	v_and_b32_e32 v22, v22, v24
	; wave barrier
	v_and_b32_e32 v22, v22, v25
	v_mbcnt_lo_u32_b32 v131, v22, 0
	v_cmp_ne_u32_e64 s20, 0, v22
	v_cmp_eq_u32_e32 vcc_lo, 0, v131
	s_and_b32 s21, s20, vcc_lo
	s_and_saveexec_b32 s20, s21
	s_cbranch_execz .LBB1841_592
; %bb.591:                              ;   in Loop: Header=BB1841_558 Depth=2
	s_waitcnt lgkmcnt(0)
	v_bcnt_u32_b32 v22, v22, v129
	ds_write_b32 v132, v22 offset:1056
.LBB1841_592:                           ;   in Loop: Header=BB1841_558 Depth=2
	s_or_b32 exec_lo, exec_lo, s20
	v_cmp_lt_i16_e32 vcc_lo, -1, v21
	; wave barrier
	v_cndmask_b32_e64 v22, -1, 0xffff8000, vcc_lo
	v_xor_b32_e32 v130, v22, v21
	v_cmp_ne_u16_e32 vcc_lo, 0x7fff, v130
	v_cndmask_b32_e32 v21, 0xffff8000, v130, vcc_lo
	v_lshrrev_b32_sdwa v21, s49, v21 dst_sel:DWORD dst_unused:UNUSED_PAD src0_sel:DWORD src1_sel:WORD_0
	v_and_b32_e32 v22, s43, v21
	v_and_b32_e32 v21, 1, v22
	v_lshlrev_b32_e32 v23, 30, v22
	v_lshlrev_b32_e32 v24, 29, v22
	;; [unrolled: 1-line block ×4, first 2 shown]
	v_add_co_u32 v21, s20, v21, -1
	v_cndmask_b32_e64 v26, 0, 1, s20
	v_not_b32_e32 v134, v23
	v_cmp_gt_i32_e64 s20, 0, v23
	v_not_b32_e32 v23, v24
	v_lshlrev_b32_e32 v28, 26, v22
	v_cmp_ne_u32_e32 vcc_lo, 0, v26
	v_ashrrev_i32_e32 v134, 31, v134
	v_lshlrev_b32_e32 v133, 25, v22
	v_ashrrev_i32_e32 v23, 31, v23
	v_lshlrev_b32_e32 v26, 24, v22
	v_xor_b32_e32 v21, vcc_lo, v21
	v_cmp_gt_i32_e32 vcc_lo, 0, v24
	v_not_b32_e32 v24, v25
	v_xor_b32_e32 v134, s20, v134
	v_cmp_gt_i32_e64 s20, 0, v25
	v_and_b32_e32 v21, exec_lo, v21
	v_not_b32_e32 v25, v27
	v_ashrrev_i32_e32 v24, 31, v24
	v_xor_b32_e32 v23, vcc_lo, v23
	v_cmp_gt_i32_e32 vcc_lo, 0, v27
	v_and_b32_e32 v21, v21, v134
	v_not_b32_e32 v27, v28
	v_ashrrev_i32_e32 v25, 31, v25
	v_xor_b32_e32 v24, s20, v24
	v_cmp_gt_i32_e64 s20, 0, v28
	v_and_b32_e32 v21, v21, v23
	v_not_b32_e32 v23, v133
	v_ashrrev_i32_e32 v27, 31, v27
	v_xor_b32_e32 v25, vcc_lo, v25
	v_cmp_gt_i32_e32 vcc_lo, 0, v133
	v_and_b32_e32 v21, v21, v24
	v_not_b32_e32 v24, v26
	v_ashrrev_i32_e32 v23, 31, v23
	v_xor_b32_e32 v27, s20, v27
	v_cmp_gt_i32_e64 s20, 0, v26
	v_and_b32_e32 v21, v21, v25
	v_ashrrev_i32_e32 v24, 31, v24
	v_xor_b32_e32 v23, vcc_lo, v23
	v_mad_u32_u24 v25, v22, 36, v96
	v_mul_u32_u24_e32 v22, 36, v22
	v_and_b32_e32 v21, v21, v27
	v_xor_b32_e32 v24, s20, v24
	ds_read_b32 v133, v25 offset:1056
	v_add_nc_u32_e32 v135, v96, v22
	v_and_b32_e32 v21, v21, v23
	; wave barrier
	v_and_b32_e32 v21, v21, v24
	v_mbcnt_lo_u32_b32 v134, v21, 0
	v_cmp_ne_u32_e64 s20, 0, v21
	v_cmp_eq_u32_e32 vcc_lo, 0, v134
	s_and_b32 s21, s20, vcc_lo
	s_and_saveexec_b32 s20, s21
	s_cbranch_execz .LBB1841_594
; %bb.593:                              ;   in Loop: Header=BB1841_558 Depth=2
	s_waitcnt lgkmcnt(0)
	v_bcnt_u32_b32 v21, v21, v133
	ds_write_b32 v135, v21 offset:1056
.LBB1841_594:                           ;   in Loop: Header=BB1841_558 Depth=2
	s_or_b32 exec_lo, exec_lo, s20
	; wave barrier
	s_waitcnt lgkmcnt(0)
	s_barrier
	buffer_gl0_inv
	ds_read2_b32 v[27:28], v78 offset1:1
	ds_read2_b32 v[25:26], v88 offset1:1
	;; [unrolled: 1-line block ×4, first 2 shown]
	ds_read_b32 v136, v44 offset:1088
	s_waitcnt lgkmcnt(3)
	v_add3_u32 v137, v28, v27, v25
	s_waitcnt lgkmcnt(2)
	v_add3_u32 v137, v137, v26, v23
	;; [unrolled: 2-line block ×4, first 2 shown]
	v_mov_b32_dpp v137, v136 row_shr:1 row_mask:0xf bank_mask:0xf
	v_cndmask_b32_e64 v137, v137, 0, s5
	v_add_nc_u32_e32 v136, v137, v136
	v_mov_b32_dpp v137, v136 row_shr:2 row_mask:0xf bank_mask:0xf
	v_cndmask_b32_e64 v137, 0, v137, s13
	v_add_nc_u32_e32 v136, v136, v137
	;; [unrolled: 3-line block ×4, first 2 shown]
	ds_swizzle_b32 v137, v136 offset:swizzle(BROADCAST,32,15)
	s_waitcnt lgkmcnt(0)
	v_cndmask_b32_e64 v137, v137, 0, s16
	v_add_nc_u32_e32 v136, v136, v137
	s_and_saveexec_b32 s20, s8
; %bb.595:                              ;   in Loop: Header=BB1841_558 Depth=2
	ds_write_b32 v39, v136 offset:1024
; %bb.596:                              ;   in Loop: Header=BB1841_558 Depth=2
	s_or_b32 exec_lo, exec_lo, s20
	s_waitcnt lgkmcnt(0)
	s_barrier
	buffer_gl0_inv
	s_and_saveexec_b32 s20, s9
	s_cbranch_execz .LBB1841_598
; %bb.597:                              ;   in Loop: Header=BB1841_558 Depth=2
	ds_read_b32 v137, v46 offset:1024
	s_waitcnt lgkmcnt(0)
	v_mov_b32_dpp v138, v137 row_shr:1 row_mask:0xf bank_mask:0xf
	v_cndmask_b32_e64 v138, v138, 0, s17
	v_add_nc_u32_e32 v137, v138, v137
	v_mov_b32_dpp v138, v137 row_shr:2 row_mask:0xf bank_mask:0xf
	v_cndmask_b32_e64 v138, 0, v138, s18
	v_add_nc_u32_e32 v137, v137, v138
	;; [unrolled: 3-line block ×3, first 2 shown]
	ds_write_b32 v46, v137 offset:1024
.LBB1841_598:                           ;   in Loop: Header=BB1841_558 Depth=2
	s_or_b32 exec_lo, exec_lo, s20
	v_mov_b32_e32 v137, 0
	s_waitcnt lgkmcnt(0)
	s_barrier
	buffer_gl0_inv
	s_and_saveexec_b32 s20, s10
; %bb.599:                              ;   in Loop: Header=BB1841_558 Depth=2
	ds_read_b32 v137, v39 offset:1020
; %bb.600:                              ;   in Loop: Header=BB1841_558 Depth=2
	s_or_b32 exec_lo, exec_lo, s20
	s_waitcnt lgkmcnt(0)
	v_add_nc_u32_e32 v136, v137, v136
	ds_bpermute_b32 v136, v91, v136
	s_waitcnt lgkmcnt(0)
	v_cndmask_b32_e64 v136, v136, v137, s12
	v_cndmask_b32_e64 v136, v136, 0, s4
	v_add_nc_u32_e32 v27, v136, v27
	v_add_nc_u32_e32 v28, v27, v28
	;; [unrolled: 1-line block ×8, first 2 shown]
	ds_write2_b32 v78, v136, v27 offset1:1
	ds_write2_b32 v88, v28, v25 offset1:1
	;; [unrolled: 1-line block ×4, first 2 shown]
	ds_write_b32 v44, v22 offset:1088
	s_waitcnt lgkmcnt(0)
	s_barrier
	buffer_gl0_inv
	ds_read_b32 v24, v108 offset:1056
	ds_read_b32 v25, v112 offset:1056
	;; [unrolled: 1-line block ×9, first 2 shown]
	v_mov_b32_e32 v23, 0x800
	s_and_saveexec_b32 s20, s11
; %bb.601:                              ;   in Loop: Header=BB1841_558 Depth=2
	ds_read_b32 v23, v44 offset:1092
; %bb.602:                              ;   in Loop: Header=BB1841_558 Depth=2
	s_or_b32 exec_lo, exec_lo, s20
	s_waitcnt lgkmcnt(0)
	s_barrier
	buffer_gl0_inv
	s_and_saveexec_b32 s20, s7
	s_cbranch_execz .LBB1841_604
; %bb.603:                              ;   in Loop: Header=BB1841_558 Depth=2
	ds_read_b32 v112, v29
	s_waitcnt lgkmcnt(0)
	v_sub_nc_u32_e32 v108, v112, v108
	ds_write_b32 v29, v108
.LBB1841_604:                           ;   in Loop: Header=BB1841_558 Depth=2
	s_or_b32 exec_lo, exec_lo, s20
	v_add_nc_u32_e32 v112, v24, v106
	v_add3_u32 v108, v110, v109, v25
	v_add3_u32 v106, v115, v113, v26
	;; [unrolled: 1-line block ×4, first 2 shown]
	v_lshlrev_b32_e32 v109, 1, v112
	v_lshlrev_b32_e32 v110, 1, v108
	v_add3_u32 v27, v131, v129, v22
	v_lshlrev_b32_e32 v22, 1, v106
	v_add3_u32 v28, v134, v133, v21
	ds_write_b16 v109, v3 offset:1024
	ds_write_b16 v110, v107 offset:1024
	v_lshlrev_b32_e32 v3, 1, v26
	v_add3_u32 v24, v127, v125, v116
	ds_write_b16 v22, v111 offset:1024
	v_lshlrev_b32_e32 v21, 1, v25
	v_cmp_lt_u32_e32 vcc_lo, v0, v105
	ds_write_b16 v3, v114 offset:1024
	v_lshlrev_b32_e32 v3, 1, v28
	v_lshlrev_b32_e32 v22, 1, v24
	;; [unrolled: 1-line block ×3, first 2 shown]
	ds_write_b16 v21, v118 offset:1024
	ds_write_b16 v22, v122 offset:1024
	;; [unrolled: 1-line block ×4, first 2 shown]
	s_waitcnt lgkmcnt(0)
	s_barrier
	buffer_gl0_inv
	s_and_saveexec_b32 s21, vcc_lo
	s_cbranch_execnz .LBB1841_641
; %bb.605:                              ;   in Loop: Header=BB1841_558 Depth=2
	s_or_b32 exec_lo, exec_lo, s21
	v_cmp_lt_u32_e64 s20, v30, v105
	s_and_saveexec_b32 s22, s20
	s_cbranch_execnz .LBB1841_642
.LBB1841_606:                           ;   in Loop: Header=BB1841_558 Depth=2
	s_or_b32 exec_lo, exec_lo, s22
	v_cmp_lt_u32_e64 s21, v31, v105
	s_and_saveexec_b32 s23, s21
	s_cbranch_execnz .LBB1841_643
.LBB1841_607:                           ;   in Loop: Header=BB1841_558 Depth=2
	s_or_b32 exec_lo, exec_lo, s23
	v_cmp_lt_u32_e64 s22, v32, v105
	s_and_saveexec_b32 s24, s22
	s_cbranch_execnz .LBB1841_644
.LBB1841_608:                           ;   in Loop: Header=BB1841_558 Depth=2
	s_or_b32 exec_lo, exec_lo, s24
	v_cmp_lt_u32_e64 s23, v35, v105
	s_and_saveexec_b32 s25, s23
	s_cbranch_execnz .LBB1841_645
.LBB1841_609:                           ;   in Loop: Header=BB1841_558 Depth=2
	s_or_b32 exec_lo, exec_lo, s25
	v_cmp_lt_u32_e64 s24, v36, v105
	s_and_saveexec_b32 s26, s24
	s_cbranch_execnz .LBB1841_646
.LBB1841_610:                           ;   in Loop: Header=BB1841_558 Depth=2
	s_or_b32 exec_lo, exec_lo, s26
	v_cmp_lt_u32_e64 s25, v37, v105
	s_and_saveexec_b32 s28, s25
	s_cbranch_execnz .LBB1841_647
.LBB1841_611:                           ;   in Loop: Header=BB1841_558 Depth=2
	s_or_b32 exec_lo, exec_lo, s28
	v_cmp_lt_u32_e64 s26, v38, v105
	s_and_saveexec_b32 s54, s26
	s_cbranch_execz .LBB1841_613
.LBB1841_612:                           ;   in Loop: Header=BB1841_558 Depth=2
	ds_read_u16 v107, v47 offset:4608
	s_waitcnt lgkmcnt(0)
	v_cmp_ne_u16_e64 s28, 0x7fff, v107
	v_cndmask_b32_e64 v3, 0xffff8000, v107, s28
	v_cmp_lt_i16_e64 s28, -1, v107
	v_lshrrev_b32_sdwa v3, s49, v3 dst_sel:DWORD dst_unused:UNUSED_PAD src0_sel:DWORD src1_sel:WORD_0
	v_cndmask_b32_e64 v109, 0xffff8000, -1, s28
	v_and_b32_e32 v3, s43, v3
	v_lshlrev_b32_e32 v3, 2, v3
	ds_read_b32 v3, v3
	s_waitcnt lgkmcnt(0)
	v_add_nc_u32_e32 v3, v3, v38
	v_lshlrev_b64 v[21:22], 1, v[3:4]
	v_xor_b32_e32 v3, v109, v107
	v_add_co_u32 v21, s28, s40, v21
	v_add_co_ci_u32_e64 v22, null, s41, v22, s28
	global_store_short v[21:22], v3, off
.LBB1841_613:                           ;   in Loop: Header=BB1841_558 Depth=2
	s_or_b32 exec_lo, exec_lo, s54
	s_lshl_b64 s[54:55], s[34:35], 3
	v_add_co_u32 v21, s28, v92, s54
	v_add_co_ci_u32_e64 v22, null, s55, v93, s28
	v_cmp_lt_u32_e64 s28, v66, v105
	s_and_saveexec_b32 s34, s28
	s_xor_b32 s28, exec_lo, s34
	s_cbranch_execnz .LBB1841_648
; %bb.614:                              ;   in Loop: Header=BB1841_558 Depth=2
	s_or_b32 exec_lo, exec_lo, s28
	s_mov_b32 s34, exec_lo
	v_cmpx_lt_u32_e64 v70, v105
	s_cbranch_execnz .LBB1841_649
.LBB1841_615:                           ;   in Loop: Header=BB1841_558 Depth=2
	s_or_b32 exec_lo, exec_lo, s34
	s_mov_b32 s34, exec_lo
	v_cmpx_lt_u32_e64 v71, v105
	s_cbranch_execnz .LBB1841_650
.LBB1841_616:                           ;   in Loop: Header=BB1841_558 Depth=2
	s_or_b32 exec_lo, exec_lo, s34
	s_mov_b32 s34, exec_lo
	v_cmpx_lt_u32_e64 v72, v105
	s_cbranch_execnz .LBB1841_651
.LBB1841_617:                           ;   in Loop: Header=BB1841_558 Depth=2
	s_or_b32 exec_lo, exec_lo, s34
	s_mov_b32 s34, exec_lo
	v_cmpx_lt_u32_e64 v73, v105
	s_cbranch_execnz .LBB1841_652
.LBB1841_618:                           ;   in Loop: Header=BB1841_558 Depth=2
	s_or_b32 exec_lo, exec_lo, s34
	s_mov_b32 s34, exec_lo
	v_cmpx_lt_u32_e64 v74, v105
	s_cbranch_execnz .LBB1841_653
.LBB1841_619:                           ;   in Loop: Header=BB1841_558 Depth=2
	s_or_b32 exec_lo, exec_lo, s34
	s_mov_b32 s34, exec_lo
	v_cmpx_lt_u32_e64 v75, v105
	s_cbranch_execnz .LBB1841_654
.LBB1841_620:                           ;   in Loop: Header=BB1841_558 Depth=2
	s_or_b32 exec_lo, exec_lo, s34
	s_mov_b32 s34, exec_lo
	v_cmpx_lt_u32_e64 v76, v105
	s_cbranch_execnz .LBB1841_655
.LBB1841_621:                           ;   in Loop: Header=BB1841_558 Depth=2
	s_or_b32 exec_lo, exec_lo, s34
	s_and_saveexec_b32 s34, vcc_lo
	s_cbranch_execnz .LBB1841_656
.LBB1841_622:                           ;   in Loop: Header=BB1841_558 Depth=2
	s_or_b32 exec_lo, exec_lo, s34
	s_and_saveexec_b32 s34, s20
	s_cbranch_execnz .LBB1841_657
.LBB1841_623:                           ;   in Loop: Header=BB1841_558 Depth=2
	s_or_b32 exec_lo, exec_lo, s34
	s_and_saveexec_b32 s34, s21
	s_cbranch_execnz .LBB1841_658
.LBB1841_624:                           ;   in Loop: Header=BB1841_558 Depth=2
	s_or_b32 exec_lo, exec_lo, s34
	s_and_saveexec_b32 s34, s22
	s_cbranch_execnz .LBB1841_659
.LBB1841_625:                           ;   in Loop: Header=BB1841_558 Depth=2
	s_or_b32 exec_lo, exec_lo, s34
	s_and_saveexec_b32 s34, s23
	s_cbranch_execnz .LBB1841_660
.LBB1841_626:                           ;   in Loop: Header=BB1841_558 Depth=2
	s_or_b32 exec_lo, exec_lo, s34
	s_and_saveexec_b32 s34, s24
	s_cbranch_execnz .LBB1841_661
.LBB1841_627:                           ;   in Loop: Header=BB1841_558 Depth=2
	s_or_b32 exec_lo, exec_lo, s34
	s_and_saveexec_b32 s34, s25
	s_cbranch_execnz .LBB1841_662
.LBB1841_628:                           ;   in Loop: Header=BB1841_558 Depth=2
	s_or_b32 exec_lo, exec_lo, s34
	s_and_saveexec_b32 s34, s26
	s_cbranch_execz .LBB1841_630
.LBB1841_629:                           ;   in Loop: Header=BB1841_558 Depth=2
	ds_read_u16 v3, v47 offset:4608
	s_waitcnt lgkmcnt(0)
	v_cmp_ne_u16_e64 s28, 0x7fff, v3
	v_cndmask_b32_e64 v3, 0xffff8000, v3, s28
	v_lshrrev_b32_sdwa v3, s49, v3 dst_sel:DWORD dst_unused:UNUSED_PAD src0_sel:DWORD src1_sel:WORD_0
	v_and_b32_e32 v97, s43, v3
.LBB1841_630:                           ;   in Loop: Header=BB1841_558 Depth=2
	s_or_b32 exec_lo, exec_lo, s34
	v_lshlrev_b32_e32 v3, 3, v112
	v_lshlrev_b32_e32 v21, 3, v108
	;; [unrolled: 1-line block ×3, first 2 shown]
	s_waitcnt vmcnt(0)
	s_waitcnt_vscnt null, 0x0
	s_barrier
	buffer_gl0_inv
	ds_write_b64 v3, v[19:20] offset:1024
	ds_write_b64 v21, v[17:18] offset:1024
	v_lshlrev_b32_e32 v3, 3, v26
	v_lshlrev_b32_e32 v21, 3, v25
	ds_write_b64 v22, v[15:16] offset:1024
	v_lshlrev_b32_e32 v22, 3, v24
	v_lshlrev_b32_e32 v24, 3, v27
	ds_write_b64 v3, v[13:14] offset:1024
	v_lshlrev_b32_e32 v3, 3, v28
	ds_write_b64 v21, v[11:12] offset:1024
	ds_write_b64 v22, v[9:10] offset:1024
	ds_write_b64 v24, v[7:8] offset:1024
	v_add_nc_u32_e32 v21, v47, v48
	ds_write_b64 v3, v[5:6] offset:1024
	s_waitcnt lgkmcnt(0)
	s_barrier
	buffer_gl0_inv
	s_and_saveexec_b32 s28, vcc_lo
	s_cbranch_execnz .LBB1841_663
; %bb.631:                              ;   in Loop: Header=BB1841_558 Depth=2
	s_or_b32 exec_lo, exec_lo, s28
	s_and_saveexec_b32 s28, s20
	s_cbranch_execnz .LBB1841_664
.LBB1841_632:                           ;   in Loop: Header=BB1841_558 Depth=2
	s_or_b32 exec_lo, exec_lo, s28
	s_and_saveexec_b32 s20, s21
	s_cbranch_execnz .LBB1841_665
.LBB1841_633:                           ;   in Loop: Header=BB1841_558 Depth=2
	s_or_b32 exec_lo, exec_lo, s20
	s_and_saveexec_b32 s20, s22
	s_cbranch_execnz .LBB1841_666
.LBB1841_634:                           ;   in Loop: Header=BB1841_558 Depth=2
	s_or_b32 exec_lo, exec_lo, s20
	s_and_saveexec_b32 s20, s23
	s_cbranch_execnz .LBB1841_667
.LBB1841_635:                           ;   in Loop: Header=BB1841_558 Depth=2
	s_or_b32 exec_lo, exec_lo, s20
	s_and_saveexec_b32 s20, s24
	s_cbranch_execnz .LBB1841_668
.LBB1841_636:                           ;   in Loop: Header=BB1841_558 Depth=2
	s_or_b32 exec_lo, exec_lo, s20
	s_and_saveexec_b32 s20, s25
	s_cbranch_execnz .LBB1841_669
.LBB1841_637:                           ;   in Loop: Header=BB1841_558 Depth=2
	s_or_b32 exec_lo, exec_lo, s20
	s_and_saveexec_b32 s20, s26
	s_cbranch_execz .LBB1841_639
.LBB1841_638:                           ;   in Loop: Header=BB1841_558 Depth=2
	v_lshlrev_b32_e32 v3, 2, v97
	ds_read_b32 v3, v3
	ds_read_b64 v[21:22], v21 offset:15360
	s_waitcnt lgkmcnt(1)
	v_add_nc_u32_e32 v3, v3, v38
	v_lshlrev_b64 v[24:25], 3, v[3:4]
	v_add_co_u32 v24, vcc_lo, s46, v24
	v_add_co_ci_u32_e64 v25, null, s47, v25, vcc_lo
	s_waitcnt lgkmcnt(0)
	global_store_dwordx2 v[24:25], v[21:22], off
.LBB1841_639:                           ;   in Loop: Header=BB1841_558 Depth=2
	s_or_b32 exec_lo, exec_lo, s20
	s_waitcnt_vscnt null, 0x0
	s_barrier
	buffer_gl0_inv
	s_and_saveexec_b32 s20, s7
	s_cbranch_execz .LBB1841_557
; %bb.640:                              ;   in Loop: Header=BB1841_558 Depth=2
	ds_read_b32 v3, v29
	s_waitcnt lgkmcnt(0)
	v_add_nc_u32_e32 v3, v3, v23
	ds_write_b32 v29, v3
	s_branch .LBB1841_557
.LBB1841_641:                           ;   in Loop: Header=BB1841_558 Depth=2
	ds_read_u16 v107, v47 offset:1024
	s_waitcnt lgkmcnt(0)
	v_cmp_ne_u16_e64 s20, 0x7fff, v107
	v_cndmask_b32_e64 v3, 0xffff8000, v107, s20
	v_cmp_lt_i16_e64 s20, -1, v107
	v_lshrrev_b32_sdwa v3, s49, v3 dst_sel:DWORD dst_unused:UNUSED_PAD src0_sel:DWORD src1_sel:WORD_0
	v_cndmask_b32_e64 v109, 0xffff8000, -1, s20
	v_and_b32_e32 v3, s43, v3
	v_lshlrev_b32_e32 v3, 2, v3
	ds_read_b32 v3, v3
	s_waitcnt lgkmcnt(0)
	v_add_nc_u32_e32 v3, v3, v0
	v_lshlrev_b64 v[21:22], 1, v[3:4]
	v_xor_b32_e32 v3, v109, v107
	v_add_co_u32 v21, s20, s40, v21
	v_add_co_ci_u32_e64 v22, null, s41, v22, s20
	global_store_short v[21:22], v3, off
	s_or_b32 exec_lo, exec_lo, s21
	v_cmp_lt_u32_e64 s20, v30, v105
	s_and_saveexec_b32 s22, s20
	s_cbranch_execz .LBB1841_606
.LBB1841_642:                           ;   in Loop: Header=BB1841_558 Depth=2
	ds_read_u16 v107, v47 offset:1536
	s_waitcnt lgkmcnt(0)
	v_cmp_ne_u16_e64 s21, 0x7fff, v107
	v_cndmask_b32_e64 v3, 0xffff8000, v107, s21
	v_cmp_lt_i16_e64 s21, -1, v107
	v_lshrrev_b32_sdwa v3, s49, v3 dst_sel:DWORD dst_unused:UNUSED_PAD src0_sel:DWORD src1_sel:WORD_0
	v_cndmask_b32_e64 v109, 0xffff8000, -1, s21
	v_and_b32_e32 v3, s43, v3
	v_lshlrev_b32_e32 v3, 2, v3
	ds_read_b32 v3, v3
	s_waitcnt lgkmcnt(0)
	v_add_nc_u32_e32 v3, v3, v30
	v_lshlrev_b64 v[21:22], 1, v[3:4]
	v_xor_b32_e32 v3, v109, v107
	v_add_co_u32 v21, s21, s40, v21
	v_add_co_ci_u32_e64 v22, null, s41, v22, s21
	global_store_short v[21:22], v3, off
	s_or_b32 exec_lo, exec_lo, s22
	v_cmp_lt_u32_e64 s21, v31, v105
	s_and_saveexec_b32 s23, s21
	s_cbranch_execz .LBB1841_607
.LBB1841_643:                           ;   in Loop: Header=BB1841_558 Depth=2
	ds_read_u16 v107, v47 offset:2048
	s_waitcnt lgkmcnt(0)
	v_cmp_ne_u16_e64 s22, 0x7fff, v107
	v_cndmask_b32_e64 v3, 0xffff8000, v107, s22
	v_cmp_lt_i16_e64 s22, -1, v107
	v_lshrrev_b32_sdwa v3, s49, v3 dst_sel:DWORD dst_unused:UNUSED_PAD src0_sel:DWORD src1_sel:WORD_0
	v_cndmask_b32_e64 v109, 0xffff8000, -1, s22
	v_and_b32_e32 v3, s43, v3
	v_lshlrev_b32_e32 v3, 2, v3
	ds_read_b32 v3, v3
	s_waitcnt lgkmcnt(0)
	v_add_nc_u32_e32 v3, v3, v31
	v_lshlrev_b64 v[21:22], 1, v[3:4]
	v_xor_b32_e32 v3, v109, v107
	v_add_co_u32 v21, s22, s40, v21
	v_add_co_ci_u32_e64 v22, null, s41, v22, s22
	global_store_short v[21:22], v3, off
	s_or_b32 exec_lo, exec_lo, s23
	v_cmp_lt_u32_e64 s22, v32, v105
	s_and_saveexec_b32 s24, s22
	s_cbranch_execz .LBB1841_608
.LBB1841_644:                           ;   in Loop: Header=BB1841_558 Depth=2
	ds_read_u16 v107, v47 offset:2560
	s_waitcnt lgkmcnt(0)
	v_cmp_ne_u16_e64 s23, 0x7fff, v107
	v_cndmask_b32_e64 v3, 0xffff8000, v107, s23
	v_cmp_lt_i16_e64 s23, -1, v107
	v_lshrrev_b32_sdwa v3, s49, v3 dst_sel:DWORD dst_unused:UNUSED_PAD src0_sel:DWORD src1_sel:WORD_0
	v_cndmask_b32_e64 v109, 0xffff8000, -1, s23
	v_and_b32_e32 v3, s43, v3
	v_lshlrev_b32_e32 v3, 2, v3
	ds_read_b32 v3, v3
	s_waitcnt lgkmcnt(0)
	v_add_nc_u32_e32 v3, v3, v32
	v_lshlrev_b64 v[21:22], 1, v[3:4]
	v_xor_b32_e32 v3, v109, v107
	v_add_co_u32 v21, s23, s40, v21
	v_add_co_ci_u32_e64 v22, null, s41, v22, s23
	global_store_short v[21:22], v3, off
	s_or_b32 exec_lo, exec_lo, s24
	v_cmp_lt_u32_e64 s23, v35, v105
	s_and_saveexec_b32 s25, s23
	s_cbranch_execz .LBB1841_609
.LBB1841_645:                           ;   in Loop: Header=BB1841_558 Depth=2
	ds_read_u16 v107, v47 offset:3072
	s_waitcnt lgkmcnt(0)
	v_cmp_ne_u16_e64 s24, 0x7fff, v107
	v_cndmask_b32_e64 v3, 0xffff8000, v107, s24
	v_cmp_lt_i16_e64 s24, -1, v107
	v_lshrrev_b32_sdwa v3, s49, v3 dst_sel:DWORD dst_unused:UNUSED_PAD src0_sel:DWORD src1_sel:WORD_0
	v_cndmask_b32_e64 v109, 0xffff8000, -1, s24
	v_and_b32_e32 v3, s43, v3
	v_lshlrev_b32_e32 v3, 2, v3
	ds_read_b32 v3, v3
	s_waitcnt lgkmcnt(0)
	v_add_nc_u32_e32 v3, v3, v35
	v_lshlrev_b64 v[21:22], 1, v[3:4]
	v_xor_b32_e32 v3, v109, v107
	v_add_co_u32 v21, s24, s40, v21
	v_add_co_ci_u32_e64 v22, null, s41, v22, s24
	global_store_short v[21:22], v3, off
	s_or_b32 exec_lo, exec_lo, s25
	v_cmp_lt_u32_e64 s24, v36, v105
	s_and_saveexec_b32 s26, s24
	s_cbranch_execz .LBB1841_610
.LBB1841_646:                           ;   in Loop: Header=BB1841_558 Depth=2
	ds_read_u16 v107, v47 offset:3584
	s_waitcnt lgkmcnt(0)
	v_cmp_ne_u16_e64 s25, 0x7fff, v107
	v_cndmask_b32_e64 v3, 0xffff8000, v107, s25
	v_cmp_lt_i16_e64 s25, -1, v107
	v_lshrrev_b32_sdwa v3, s49, v3 dst_sel:DWORD dst_unused:UNUSED_PAD src0_sel:DWORD src1_sel:WORD_0
	v_cndmask_b32_e64 v109, 0xffff8000, -1, s25
	v_and_b32_e32 v3, s43, v3
	v_lshlrev_b32_e32 v3, 2, v3
	ds_read_b32 v3, v3
	s_waitcnt lgkmcnt(0)
	v_add_nc_u32_e32 v3, v3, v36
	v_lshlrev_b64 v[21:22], 1, v[3:4]
	v_xor_b32_e32 v3, v109, v107
	v_add_co_u32 v21, s25, s40, v21
	v_add_co_ci_u32_e64 v22, null, s41, v22, s25
	global_store_short v[21:22], v3, off
	s_or_b32 exec_lo, exec_lo, s26
	v_cmp_lt_u32_e64 s25, v37, v105
	s_and_saveexec_b32 s28, s25
	s_cbranch_execz .LBB1841_611
.LBB1841_647:                           ;   in Loop: Header=BB1841_558 Depth=2
	ds_read_u16 v107, v47 offset:4096
	s_waitcnt lgkmcnt(0)
	v_cmp_ne_u16_e64 s26, 0x7fff, v107
	v_cndmask_b32_e64 v3, 0xffff8000, v107, s26
	v_cmp_lt_i16_e64 s26, -1, v107
	v_lshrrev_b32_sdwa v3, s49, v3 dst_sel:DWORD dst_unused:UNUSED_PAD src0_sel:DWORD src1_sel:WORD_0
	v_cndmask_b32_e64 v109, 0xffff8000, -1, s26
	v_and_b32_e32 v3, s43, v3
	v_lshlrev_b32_e32 v3, 2, v3
	ds_read_b32 v3, v3
	s_waitcnt lgkmcnt(0)
	v_add_nc_u32_e32 v3, v3, v37
	v_lshlrev_b64 v[21:22], 1, v[3:4]
	v_xor_b32_e32 v3, v109, v107
	v_add_co_u32 v21, s26, s40, v21
	v_add_co_ci_u32_e64 v22, null, s41, v22, s26
	global_store_short v[21:22], v3, off
	s_or_b32 exec_lo, exec_lo, s28
	v_cmp_lt_u32_e64 s26, v38, v105
	s_and_saveexec_b32 s54, s26
	s_cbranch_execnz .LBB1841_612
	s_branch .LBB1841_613
.LBB1841_648:                           ;   in Loop: Header=BB1841_558 Depth=2
	global_load_dwordx2 v[19:20], v[21:22], off
	s_or_b32 exec_lo, exec_lo, s28
	s_mov_b32 s34, exec_lo
	v_cmpx_lt_u32_e64 v70, v105
	s_cbranch_execz .LBB1841_615
.LBB1841_649:                           ;   in Loop: Header=BB1841_558 Depth=2
	global_load_dwordx2 v[17:18], v[21:22], off offset:256
	s_or_b32 exec_lo, exec_lo, s34
	s_mov_b32 s34, exec_lo
	v_cmpx_lt_u32_e64 v71, v105
	s_cbranch_execz .LBB1841_616
.LBB1841_650:                           ;   in Loop: Header=BB1841_558 Depth=2
	global_load_dwordx2 v[15:16], v[21:22], off offset:512
	s_or_b32 exec_lo, exec_lo, s34
	s_mov_b32 s34, exec_lo
	v_cmpx_lt_u32_e64 v72, v105
	s_cbranch_execz .LBB1841_617
.LBB1841_651:                           ;   in Loop: Header=BB1841_558 Depth=2
	global_load_dwordx2 v[13:14], v[21:22], off offset:768
	s_or_b32 exec_lo, exec_lo, s34
	s_mov_b32 s34, exec_lo
	v_cmpx_lt_u32_e64 v73, v105
	s_cbranch_execz .LBB1841_618
.LBB1841_652:                           ;   in Loop: Header=BB1841_558 Depth=2
	global_load_dwordx2 v[11:12], v[21:22], off offset:1024
	s_or_b32 exec_lo, exec_lo, s34
	s_mov_b32 s34, exec_lo
	v_cmpx_lt_u32_e64 v74, v105
	s_cbranch_execz .LBB1841_619
.LBB1841_653:                           ;   in Loop: Header=BB1841_558 Depth=2
	global_load_dwordx2 v[9:10], v[21:22], off offset:1280
	s_or_b32 exec_lo, exec_lo, s34
	s_mov_b32 s34, exec_lo
	v_cmpx_lt_u32_e64 v75, v105
	s_cbranch_execz .LBB1841_620
.LBB1841_654:                           ;   in Loop: Header=BB1841_558 Depth=2
	global_load_dwordx2 v[7:8], v[21:22], off offset:1536
	s_or_b32 exec_lo, exec_lo, s34
	s_mov_b32 s34, exec_lo
	v_cmpx_lt_u32_e64 v76, v105
	s_cbranch_execz .LBB1841_621
.LBB1841_655:                           ;   in Loop: Header=BB1841_558 Depth=2
	global_load_dwordx2 v[5:6], v[21:22], off offset:1792
	s_or_b32 exec_lo, exec_lo, s34
	s_and_saveexec_b32 s34, vcc_lo
	s_cbranch_execz .LBB1841_622
.LBB1841_656:                           ;   in Loop: Header=BB1841_558 Depth=2
	ds_read_u16 v3, v47 offset:1024
	s_waitcnt lgkmcnt(0)
	v_cmp_ne_u16_e64 s28, 0x7fff, v3
	v_cndmask_b32_e64 v3, 0xffff8000, v3, s28
	v_lshrrev_b32_sdwa v3, s49, v3 dst_sel:DWORD dst_unused:UNUSED_PAD src0_sel:DWORD src1_sel:WORD_0
	v_and_b32_e32 v104, s43, v3
	s_or_b32 exec_lo, exec_lo, s34
	s_and_saveexec_b32 s34, s20
	s_cbranch_execz .LBB1841_623
.LBB1841_657:                           ;   in Loop: Header=BB1841_558 Depth=2
	ds_read_u16 v3, v47 offset:1536
	s_waitcnt lgkmcnt(0)
	v_cmp_ne_u16_e64 s28, 0x7fff, v3
	v_cndmask_b32_e64 v3, 0xffff8000, v3, s28
	v_lshrrev_b32_sdwa v3, s49, v3 dst_sel:DWORD dst_unused:UNUSED_PAD src0_sel:DWORD src1_sel:WORD_0
	v_and_b32_e32 v103, s43, v3
	s_or_b32 exec_lo, exec_lo, s34
	s_and_saveexec_b32 s34, s21
	s_cbranch_execz .LBB1841_624
.LBB1841_658:                           ;   in Loop: Header=BB1841_558 Depth=2
	ds_read_u16 v3, v47 offset:2048
	s_waitcnt lgkmcnt(0)
	v_cmp_ne_u16_e64 s28, 0x7fff, v3
	v_cndmask_b32_e64 v3, 0xffff8000, v3, s28
	v_lshrrev_b32_sdwa v3, s49, v3 dst_sel:DWORD dst_unused:UNUSED_PAD src0_sel:DWORD src1_sel:WORD_0
	v_and_b32_e32 v102, s43, v3
	s_or_b32 exec_lo, exec_lo, s34
	s_and_saveexec_b32 s34, s22
	s_cbranch_execz .LBB1841_625
.LBB1841_659:                           ;   in Loop: Header=BB1841_558 Depth=2
	ds_read_u16 v3, v47 offset:2560
	s_waitcnt lgkmcnt(0)
	v_cmp_ne_u16_e64 s28, 0x7fff, v3
	v_cndmask_b32_e64 v3, 0xffff8000, v3, s28
	v_lshrrev_b32_sdwa v3, s49, v3 dst_sel:DWORD dst_unused:UNUSED_PAD src0_sel:DWORD src1_sel:WORD_0
	v_and_b32_e32 v101, s43, v3
	s_or_b32 exec_lo, exec_lo, s34
	s_and_saveexec_b32 s34, s23
	s_cbranch_execz .LBB1841_626
.LBB1841_660:                           ;   in Loop: Header=BB1841_558 Depth=2
	ds_read_u16 v3, v47 offset:3072
	s_waitcnt lgkmcnt(0)
	v_cmp_ne_u16_e64 s28, 0x7fff, v3
	v_cndmask_b32_e64 v3, 0xffff8000, v3, s28
	v_lshrrev_b32_sdwa v3, s49, v3 dst_sel:DWORD dst_unused:UNUSED_PAD src0_sel:DWORD src1_sel:WORD_0
	v_and_b32_e32 v100, s43, v3
	s_or_b32 exec_lo, exec_lo, s34
	s_and_saveexec_b32 s34, s24
	s_cbranch_execz .LBB1841_627
.LBB1841_661:                           ;   in Loop: Header=BB1841_558 Depth=2
	ds_read_u16 v3, v47 offset:3584
	s_waitcnt lgkmcnt(0)
	v_cmp_ne_u16_e64 s28, 0x7fff, v3
	v_cndmask_b32_e64 v3, 0xffff8000, v3, s28
	v_lshrrev_b32_sdwa v3, s49, v3 dst_sel:DWORD dst_unused:UNUSED_PAD src0_sel:DWORD src1_sel:WORD_0
	v_and_b32_e32 v99, s43, v3
	s_or_b32 exec_lo, exec_lo, s34
	s_and_saveexec_b32 s34, s25
	s_cbranch_execz .LBB1841_628
.LBB1841_662:                           ;   in Loop: Header=BB1841_558 Depth=2
	ds_read_u16 v3, v47 offset:4096
	s_waitcnt lgkmcnt(0)
	v_cmp_ne_u16_e64 s28, 0x7fff, v3
	v_cndmask_b32_e64 v3, 0xffff8000, v3, s28
	v_lshrrev_b32_sdwa v3, s49, v3 dst_sel:DWORD dst_unused:UNUSED_PAD src0_sel:DWORD src1_sel:WORD_0
	v_and_b32_e32 v98, s43, v3
	s_or_b32 exec_lo, exec_lo, s34
	s_and_saveexec_b32 s34, s26
	s_cbranch_execnz .LBB1841_629
	s_branch .LBB1841_630
.LBB1841_663:                           ;   in Loop: Header=BB1841_558 Depth=2
	v_lshlrev_b32_e32 v3, 2, v104
	ds_read_b32 v3, v3
	ds_read_b64 v[24:25], v21 offset:1024
	s_waitcnt lgkmcnt(1)
	v_add_nc_u32_e32 v3, v3, v0
	v_lshlrev_b64 v[26:27], 3, v[3:4]
	v_add_co_u32 v26, vcc_lo, s46, v26
	v_add_co_ci_u32_e64 v27, null, s47, v27, vcc_lo
	s_waitcnt lgkmcnt(0)
	global_store_dwordx2 v[26:27], v[24:25], off
	s_or_b32 exec_lo, exec_lo, s28
	s_and_saveexec_b32 s28, s20
	s_cbranch_execz .LBB1841_632
.LBB1841_664:                           ;   in Loop: Header=BB1841_558 Depth=2
	v_lshlrev_b32_e32 v3, 2, v103
	ds_read_b32 v3, v3
	ds_read_b64 v[24:25], v21 offset:3072
	s_waitcnt lgkmcnt(1)
	v_add_nc_u32_e32 v3, v3, v30
	v_lshlrev_b64 v[26:27], 3, v[3:4]
	v_add_co_u32 v26, vcc_lo, s46, v26
	v_add_co_ci_u32_e64 v27, null, s47, v27, vcc_lo
	s_waitcnt lgkmcnt(0)
	global_store_dwordx2 v[26:27], v[24:25], off
	s_or_b32 exec_lo, exec_lo, s28
	s_and_saveexec_b32 s20, s21
	s_cbranch_execz .LBB1841_633
.LBB1841_665:                           ;   in Loop: Header=BB1841_558 Depth=2
	v_lshlrev_b32_e32 v3, 2, v102
	ds_read_b32 v3, v3
	ds_read_b64 v[24:25], v21 offset:5120
	s_waitcnt lgkmcnt(1)
	v_add_nc_u32_e32 v3, v3, v31
	v_lshlrev_b64 v[26:27], 3, v[3:4]
	v_add_co_u32 v26, vcc_lo, s46, v26
	v_add_co_ci_u32_e64 v27, null, s47, v27, vcc_lo
	s_waitcnt lgkmcnt(0)
	global_store_dwordx2 v[26:27], v[24:25], off
	s_or_b32 exec_lo, exec_lo, s20
	s_and_saveexec_b32 s20, s22
	s_cbranch_execz .LBB1841_634
.LBB1841_666:                           ;   in Loop: Header=BB1841_558 Depth=2
	v_lshlrev_b32_e32 v3, 2, v101
	ds_read_b32 v3, v3
	ds_read_b64 v[24:25], v21 offset:7168
	s_waitcnt lgkmcnt(1)
	v_add_nc_u32_e32 v3, v3, v32
	v_lshlrev_b64 v[26:27], 3, v[3:4]
	v_add_co_u32 v26, vcc_lo, s46, v26
	v_add_co_ci_u32_e64 v27, null, s47, v27, vcc_lo
	s_waitcnt lgkmcnt(0)
	global_store_dwordx2 v[26:27], v[24:25], off
	s_or_b32 exec_lo, exec_lo, s20
	s_and_saveexec_b32 s20, s23
	s_cbranch_execz .LBB1841_635
.LBB1841_667:                           ;   in Loop: Header=BB1841_558 Depth=2
	v_lshlrev_b32_e32 v3, 2, v100
	ds_read_b32 v3, v3
	ds_read_b64 v[24:25], v21 offset:9216
	s_waitcnt lgkmcnt(1)
	v_add_nc_u32_e32 v3, v3, v35
	v_lshlrev_b64 v[26:27], 3, v[3:4]
	v_add_co_u32 v26, vcc_lo, s46, v26
	v_add_co_ci_u32_e64 v27, null, s47, v27, vcc_lo
	s_waitcnt lgkmcnt(0)
	global_store_dwordx2 v[26:27], v[24:25], off
	s_or_b32 exec_lo, exec_lo, s20
	s_and_saveexec_b32 s20, s24
	s_cbranch_execz .LBB1841_636
.LBB1841_668:                           ;   in Loop: Header=BB1841_558 Depth=2
	v_lshlrev_b32_e32 v3, 2, v99
	ds_read_b32 v3, v3
	ds_read_b64 v[24:25], v21 offset:11264
	s_waitcnt lgkmcnt(1)
	v_add_nc_u32_e32 v3, v3, v36
	v_lshlrev_b64 v[26:27], 3, v[3:4]
	v_add_co_u32 v26, vcc_lo, s46, v26
	v_add_co_ci_u32_e64 v27, null, s47, v27, vcc_lo
	s_waitcnt lgkmcnt(0)
	global_store_dwordx2 v[26:27], v[24:25], off
	s_or_b32 exec_lo, exec_lo, s20
	s_and_saveexec_b32 s20, s25
	s_cbranch_execz .LBB1841_637
.LBB1841_669:                           ;   in Loop: Header=BB1841_558 Depth=2
	v_lshlrev_b32_e32 v3, 2, v98
	ds_read_b32 v3, v3
	ds_read_b64 v[24:25], v21 offset:13312
	s_waitcnt lgkmcnt(1)
	v_add_nc_u32_e32 v3, v3, v37
	v_lshlrev_b64 v[26:27], 3, v[3:4]
	v_add_co_u32 v26, vcc_lo, s46, v26
	v_add_co_ci_u32_e64 v27, null, s47, v27, vcc_lo
	s_waitcnt lgkmcnt(0)
	global_store_dwordx2 v[26:27], v[24:25], off
	s_or_b32 exec_lo, exec_lo, s20
	s_and_saveexec_b32 s20, s26
	s_cbranch_execnz .LBB1841_638
	s_branch .LBB1841_639
.LBB1841_670:
	s_endpgm
	.section	.rodata,"a",@progbits
	.p2align	6, 0x0
	.amdhsa_kernel _ZN7rocprim17ROCPRIM_400000_NS6detail17trampoline_kernelINS0_14default_configENS1_36segmented_radix_sort_config_selectorI6__halflEEZNS1_25segmented_radix_sort_implIS3_Lb0EPKS5_PS5_PKlPlN2at6native12_GLOBAL__N_18offset_tEEE10hipError_tPvRmT1_PNSt15iterator_traitsISL_E10value_typeET2_T3_PNSM_ISR_E10value_typeET4_jRbjT5_SX_jjP12ihipStream_tbEUlT_E_NS1_11comp_targetILNS1_3genE8ELNS1_11target_archE1030ELNS1_3gpuE2ELNS1_3repE0EEENS1_30default_config_static_selectorELNS0_4arch9wavefront6targetE0EEEvSL_
		.amdhsa_group_segment_fixed_size 17440
		.amdhsa_private_segment_fixed_size 0
		.amdhsa_kernarg_size 352
		.amdhsa_user_sgpr_count 6
		.amdhsa_user_sgpr_private_segment_buffer 1
		.amdhsa_user_sgpr_dispatch_ptr 0
		.amdhsa_user_sgpr_queue_ptr 0
		.amdhsa_user_sgpr_kernarg_segment_ptr 1
		.amdhsa_user_sgpr_dispatch_id 0
		.amdhsa_user_sgpr_flat_scratch_init 0
		.amdhsa_user_sgpr_private_segment_size 0
		.amdhsa_wavefront_size32 1
		.amdhsa_uses_dynamic_stack 0
		.amdhsa_system_sgpr_private_segment_wavefront_offset 0
		.amdhsa_system_sgpr_workgroup_id_x 1
		.amdhsa_system_sgpr_workgroup_id_y 1
		.amdhsa_system_sgpr_workgroup_id_z 0
		.amdhsa_system_sgpr_workgroup_info 0
		.amdhsa_system_vgpr_workitem_id 2
		.amdhsa_next_free_vgpr 184
		.amdhsa_next_free_sgpr 56
		.amdhsa_reserve_vcc 1
		.amdhsa_reserve_flat_scratch 0
		.amdhsa_float_round_mode_32 0
		.amdhsa_float_round_mode_16_64 0
		.amdhsa_float_denorm_mode_32 3
		.amdhsa_float_denorm_mode_16_64 3
		.amdhsa_dx10_clamp 1
		.amdhsa_ieee_mode 1
		.amdhsa_fp16_overflow 0
		.amdhsa_workgroup_processor_mode 1
		.amdhsa_memory_ordered 1
		.amdhsa_forward_progress 1
		.amdhsa_shared_vgpr_count 0
		.amdhsa_exception_fp_ieee_invalid_op 0
		.amdhsa_exception_fp_denorm_src 0
		.amdhsa_exception_fp_ieee_div_zero 0
		.amdhsa_exception_fp_ieee_overflow 0
		.amdhsa_exception_fp_ieee_underflow 0
		.amdhsa_exception_fp_ieee_inexact 0
		.amdhsa_exception_int_div_zero 0
	.end_amdhsa_kernel
	.section	.text._ZN7rocprim17ROCPRIM_400000_NS6detail17trampoline_kernelINS0_14default_configENS1_36segmented_radix_sort_config_selectorI6__halflEEZNS1_25segmented_radix_sort_implIS3_Lb0EPKS5_PS5_PKlPlN2at6native12_GLOBAL__N_18offset_tEEE10hipError_tPvRmT1_PNSt15iterator_traitsISL_E10value_typeET2_T3_PNSM_ISR_E10value_typeET4_jRbjT5_SX_jjP12ihipStream_tbEUlT_E_NS1_11comp_targetILNS1_3genE8ELNS1_11target_archE1030ELNS1_3gpuE2ELNS1_3repE0EEENS1_30default_config_static_selectorELNS0_4arch9wavefront6targetE0EEEvSL_,"axG",@progbits,_ZN7rocprim17ROCPRIM_400000_NS6detail17trampoline_kernelINS0_14default_configENS1_36segmented_radix_sort_config_selectorI6__halflEEZNS1_25segmented_radix_sort_implIS3_Lb0EPKS5_PS5_PKlPlN2at6native12_GLOBAL__N_18offset_tEEE10hipError_tPvRmT1_PNSt15iterator_traitsISL_E10value_typeET2_T3_PNSM_ISR_E10value_typeET4_jRbjT5_SX_jjP12ihipStream_tbEUlT_E_NS1_11comp_targetILNS1_3genE8ELNS1_11target_archE1030ELNS1_3gpuE2ELNS1_3repE0EEENS1_30default_config_static_selectorELNS0_4arch9wavefront6targetE0EEEvSL_,comdat
.Lfunc_end1841:
	.size	_ZN7rocprim17ROCPRIM_400000_NS6detail17trampoline_kernelINS0_14default_configENS1_36segmented_radix_sort_config_selectorI6__halflEEZNS1_25segmented_radix_sort_implIS3_Lb0EPKS5_PS5_PKlPlN2at6native12_GLOBAL__N_18offset_tEEE10hipError_tPvRmT1_PNSt15iterator_traitsISL_E10value_typeET2_T3_PNSM_ISR_E10value_typeET4_jRbjT5_SX_jjP12ihipStream_tbEUlT_E_NS1_11comp_targetILNS1_3genE8ELNS1_11target_archE1030ELNS1_3gpuE2ELNS1_3repE0EEENS1_30default_config_static_selectorELNS0_4arch9wavefront6targetE0EEEvSL_, .Lfunc_end1841-_ZN7rocprim17ROCPRIM_400000_NS6detail17trampoline_kernelINS0_14default_configENS1_36segmented_radix_sort_config_selectorI6__halflEEZNS1_25segmented_radix_sort_implIS3_Lb0EPKS5_PS5_PKlPlN2at6native12_GLOBAL__N_18offset_tEEE10hipError_tPvRmT1_PNSt15iterator_traitsISL_E10value_typeET2_T3_PNSM_ISR_E10value_typeET4_jRbjT5_SX_jjP12ihipStream_tbEUlT_E_NS1_11comp_targetILNS1_3genE8ELNS1_11target_archE1030ELNS1_3gpuE2ELNS1_3repE0EEENS1_30default_config_static_selectorELNS0_4arch9wavefront6targetE0EEEvSL_
                                        ; -- End function
	.set _ZN7rocprim17ROCPRIM_400000_NS6detail17trampoline_kernelINS0_14default_configENS1_36segmented_radix_sort_config_selectorI6__halflEEZNS1_25segmented_radix_sort_implIS3_Lb0EPKS5_PS5_PKlPlN2at6native12_GLOBAL__N_18offset_tEEE10hipError_tPvRmT1_PNSt15iterator_traitsISL_E10value_typeET2_T3_PNSM_ISR_E10value_typeET4_jRbjT5_SX_jjP12ihipStream_tbEUlT_E_NS1_11comp_targetILNS1_3genE8ELNS1_11target_archE1030ELNS1_3gpuE2ELNS1_3repE0EEENS1_30default_config_static_selectorELNS0_4arch9wavefront6targetE0EEEvSL_.num_vgpr, max(139, .L_ZN7rocprim17ROCPRIM_400000_NS6detail40segmented_radix_sort_single_block_helperI6__halflLj256ELj8ELb0EE4sortIPKS3_PS3_PKlPlEEbT_T0_T1_T2_jjjjRNS4_12storage_typeE.num_vgpr)
	.set _ZN7rocprim17ROCPRIM_400000_NS6detail17trampoline_kernelINS0_14default_configENS1_36segmented_radix_sort_config_selectorI6__halflEEZNS1_25segmented_radix_sort_implIS3_Lb0EPKS5_PS5_PKlPlN2at6native12_GLOBAL__N_18offset_tEEE10hipError_tPvRmT1_PNSt15iterator_traitsISL_E10value_typeET2_T3_PNSM_ISR_E10value_typeET4_jRbjT5_SX_jjP12ihipStream_tbEUlT_E_NS1_11comp_targetILNS1_3genE8ELNS1_11target_archE1030ELNS1_3gpuE2ELNS1_3repE0EEENS1_30default_config_static_selectorELNS0_4arch9wavefront6targetE0EEEvSL_.num_agpr, max(0, .L_ZN7rocprim17ROCPRIM_400000_NS6detail40segmented_radix_sort_single_block_helperI6__halflLj256ELj8ELb0EE4sortIPKS3_PS3_PKlPlEEbT_T0_T1_T2_jjjjRNS4_12storage_typeE.num_agpr)
	.set _ZN7rocprim17ROCPRIM_400000_NS6detail17trampoline_kernelINS0_14default_configENS1_36segmented_radix_sort_config_selectorI6__halflEEZNS1_25segmented_radix_sort_implIS3_Lb0EPKS5_PS5_PKlPlN2at6native12_GLOBAL__N_18offset_tEEE10hipError_tPvRmT1_PNSt15iterator_traitsISL_E10value_typeET2_T3_PNSM_ISR_E10value_typeET4_jRbjT5_SX_jjP12ihipStream_tbEUlT_E_NS1_11comp_targetILNS1_3genE8ELNS1_11target_archE1030ELNS1_3gpuE2ELNS1_3repE0EEENS1_30default_config_static_selectorELNS0_4arch9wavefront6targetE0EEEvSL_.numbered_sgpr, max(56, .L_ZN7rocprim17ROCPRIM_400000_NS6detail40segmented_radix_sort_single_block_helperI6__halflLj256ELj8ELb0EE4sortIPKS3_PS3_PKlPlEEbT_T0_T1_T2_jjjjRNS4_12storage_typeE.numbered_sgpr)
	.set _ZN7rocprim17ROCPRIM_400000_NS6detail17trampoline_kernelINS0_14default_configENS1_36segmented_radix_sort_config_selectorI6__halflEEZNS1_25segmented_radix_sort_implIS3_Lb0EPKS5_PS5_PKlPlN2at6native12_GLOBAL__N_18offset_tEEE10hipError_tPvRmT1_PNSt15iterator_traitsISL_E10value_typeET2_T3_PNSM_ISR_E10value_typeET4_jRbjT5_SX_jjP12ihipStream_tbEUlT_E_NS1_11comp_targetILNS1_3genE8ELNS1_11target_archE1030ELNS1_3gpuE2ELNS1_3repE0EEENS1_30default_config_static_selectorELNS0_4arch9wavefront6targetE0EEEvSL_.num_named_barrier, max(0, .L_ZN7rocprim17ROCPRIM_400000_NS6detail40segmented_radix_sort_single_block_helperI6__halflLj256ELj8ELb0EE4sortIPKS3_PS3_PKlPlEEbT_T0_T1_T2_jjjjRNS4_12storage_typeE.num_named_barrier)
	.set _ZN7rocprim17ROCPRIM_400000_NS6detail17trampoline_kernelINS0_14default_configENS1_36segmented_radix_sort_config_selectorI6__halflEEZNS1_25segmented_radix_sort_implIS3_Lb0EPKS5_PS5_PKlPlN2at6native12_GLOBAL__N_18offset_tEEE10hipError_tPvRmT1_PNSt15iterator_traitsISL_E10value_typeET2_T3_PNSM_ISR_E10value_typeET4_jRbjT5_SX_jjP12ihipStream_tbEUlT_E_NS1_11comp_targetILNS1_3genE8ELNS1_11target_archE1030ELNS1_3gpuE2ELNS1_3repE0EEENS1_30default_config_static_selectorELNS0_4arch9wavefront6targetE0EEEvSL_.private_seg_size, 0+max(.L_ZN7rocprim17ROCPRIM_400000_NS6detail40segmented_radix_sort_single_block_helperI6__halflLj256ELj8ELb0EE4sortIPKS3_PS3_PKlPlEEbT_T0_T1_T2_jjjjRNS4_12storage_typeE.private_seg_size)
	.set _ZN7rocprim17ROCPRIM_400000_NS6detail17trampoline_kernelINS0_14default_configENS1_36segmented_radix_sort_config_selectorI6__halflEEZNS1_25segmented_radix_sort_implIS3_Lb0EPKS5_PS5_PKlPlN2at6native12_GLOBAL__N_18offset_tEEE10hipError_tPvRmT1_PNSt15iterator_traitsISL_E10value_typeET2_T3_PNSM_ISR_E10value_typeET4_jRbjT5_SX_jjP12ihipStream_tbEUlT_E_NS1_11comp_targetILNS1_3genE8ELNS1_11target_archE1030ELNS1_3gpuE2ELNS1_3repE0EEENS1_30default_config_static_selectorELNS0_4arch9wavefront6targetE0EEEvSL_.uses_vcc, or(1, .L_ZN7rocprim17ROCPRIM_400000_NS6detail40segmented_radix_sort_single_block_helperI6__halflLj256ELj8ELb0EE4sortIPKS3_PS3_PKlPlEEbT_T0_T1_T2_jjjjRNS4_12storage_typeE.uses_vcc)
	.set _ZN7rocprim17ROCPRIM_400000_NS6detail17trampoline_kernelINS0_14default_configENS1_36segmented_radix_sort_config_selectorI6__halflEEZNS1_25segmented_radix_sort_implIS3_Lb0EPKS5_PS5_PKlPlN2at6native12_GLOBAL__N_18offset_tEEE10hipError_tPvRmT1_PNSt15iterator_traitsISL_E10value_typeET2_T3_PNSM_ISR_E10value_typeET4_jRbjT5_SX_jjP12ihipStream_tbEUlT_E_NS1_11comp_targetILNS1_3genE8ELNS1_11target_archE1030ELNS1_3gpuE2ELNS1_3repE0EEENS1_30default_config_static_selectorELNS0_4arch9wavefront6targetE0EEEvSL_.uses_flat_scratch, or(0, .L_ZN7rocprim17ROCPRIM_400000_NS6detail40segmented_radix_sort_single_block_helperI6__halflLj256ELj8ELb0EE4sortIPKS3_PS3_PKlPlEEbT_T0_T1_T2_jjjjRNS4_12storage_typeE.uses_flat_scratch)
	.set _ZN7rocprim17ROCPRIM_400000_NS6detail17trampoline_kernelINS0_14default_configENS1_36segmented_radix_sort_config_selectorI6__halflEEZNS1_25segmented_radix_sort_implIS3_Lb0EPKS5_PS5_PKlPlN2at6native12_GLOBAL__N_18offset_tEEE10hipError_tPvRmT1_PNSt15iterator_traitsISL_E10value_typeET2_T3_PNSM_ISR_E10value_typeET4_jRbjT5_SX_jjP12ihipStream_tbEUlT_E_NS1_11comp_targetILNS1_3genE8ELNS1_11target_archE1030ELNS1_3gpuE2ELNS1_3repE0EEENS1_30default_config_static_selectorELNS0_4arch9wavefront6targetE0EEEvSL_.has_dyn_sized_stack, or(0, .L_ZN7rocprim17ROCPRIM_400000_NS6detail40segmented_radix_sort_single_block_helperI6__halflLj256ELj8ELb0EE4sortIPKS3_PS3_PKlPlEEbT_T0_T1_T2_jjjjRNS4_12storage_typeE.has_dyn_sized_stack)
	.set _ZN7rocprim17ROCPRIM_400000_NS6detail17trampoline_kernelINS0_14default_configENS1_36segmented_radix_sort_config_selectorI6__halflEEZNS1_25segmented_radix_sort_implIS3_Lb0EPKS5_PS5_PKlPlN2at6native12_GLOBAL__N_18offset_tEEE10hipError_tPvRmT1_PNSt15iterator_traitsISL_E10value_typeET2_T3_PNSM_ISR_E10value_typeET4_jRbjT5_SX_jjP12ihipStream_tbEUlT_E_NS1_11comp_targetILNS1_3genE8ELNS1_11target_archE1030ELNS1_3gpuE2ELNS1_3repE0EEENS1_30default_config_static_selectorELNS0_4arch9wavefront6targetE0EEEvSL_.has_recursion, or(0, .L_ZN7rocprim17ROCPRIM_400000_NS6detail40segmented_radix_sort_single_block_helperI6__halflLj256ELj8ELb0EE4sortIPKS3_PS3_PKlPlEEbT_T0_T1_T2_jjjjRNS4_12storage_typeE.has_recursion)
	.set _ZN7rocprim17ROCPRIM_400000_NS6detail17trampoline_kernelINS0_14default_configENS1_36segmented_radix_sort_config_selectorI6__halflEEZNS1_25segmented_radix_sort_implIS3_Lb0EPKS5_PS5_PKlPlN2at6native12_GLOBAL__N_18offset_tEEE10hipError_tPvRmT1_PNSt15iterator_traitsISL_E10value_typeET2_T3_PNSM_ISR_E10value_typeET4_jRbjT5_SX_jjP12ihipStream_tbEUlT_E_NS1_11comp_targetILNS1_3genE8ELNS1_11target_archE1030ELNS1_3gpuE2ELNS1_3repE0EEENS1_30default_config_static_selectorELNS0_4arch9wavefront6targetE0EEEvSL_.has_indirect_call, or(0, .L_ZN7rocprim17ROCPRIM_400000_NS6detail40segmented_radix_sort_single_block_helperI6__halflLj256ELj8ELb0EE4sortIPKS3_PS3_PKlPlEEbT_T0_T1_T2_jjjjRNS4_12storage_typeE.has_indirect_call)
	.section	.AMDGPU.csdata,"",@progbits
; Kernel info:
; codeLenInByte = 38456
; TotalNumSgprs: 58
; NumVgprs: 184
; ScratchSize: 0
; MemoryBound: 0
; FloatMode: 240
; IeeeMode: 1
; LDSByteSize: 17440 bytes/workgroup (compile time only)
; SGPRBlocks: 0
; VGPRBlocks: 22
; NumSGPRsForWavesPerEU: 58
; NumVGPRsForWavesPerEU: 184
; Occupancy: 5
; WaveLimiterHint : 1
; COMPUTE_PGM_RSRC2:SCRATCH_EN: 0
; COMPUTE_PGM_RSRC2:USER_SGPR: 6
; COMPUTE_PGM_RSRC2:TRAP_HANDLER: 0
; COMPUTE_PGM_RSRC2:TGID_X_EN: 1
; COMPUTE_PGM_RSRC2:TGID_Y_EN: 1
; COMPUTE_PGM_RSRC2:TGID_Z_EN: 0
; COMPUTE_PGM_RSRC2:TIDIG_COMP_CNT: 2
	.section	.text._ZN7rocprim17ROCPRIM_400000_NS6detail17trampoline_kernelINS0_14default_configENS1_36segmented_radix_sort_config_selectorI6__halflEEZNS1_25segmented_radix_sort_implIS3_Lb0EPKS5_PS5_PKlPlN2at6native12_GLOBAL__N_18offset_tEEE10hipError_tPvRmT1_PNSt15iterator_traitsISL_E10value_typeET2_T3_PNSM_ISR_E10value_typeET4_jRbjT5_SX_jjP12ihipStream_tbEUlT_E0_NS1_11comp_targetILNS1_3genE0ELNS1_11target_archE4294967295ELNS1_3gpuE0ELNS1_3repE0EEENS1_60segmented_radix_sort_warp_sort_medium_config_static_selectorELNS0_4arch9wavefront6targetE0EEEvSL_,"axG",@progbits,_ZN7rocprim17ROCPRIM_400000_NS6detail17trampoline_kernelINS0_14default_configENS1_36segmented_radix_sort_config_selectorI6__halflEEZNS1_25segmented_radix_sort_implIS3_Lb0EPKS5_PS5_PKlPlN2at6native12_GLOBAL__N_18offset_tEEE10hipError_tPvRmT1_PNSt15iterator_traitsISL_E10value_typeET2_T3_PNSM_ISR_E10value_typeET4_jRbjT5_SX_jjP12ihipStream_tbEUlT_E0_NS1_11comp_targetILNS1_3genE0ELNS1_11target_archE4294967295ELNS1_3gpuE0ELNS1_3repE0EEENS1_60segmented_radix_sort_warp_sort_medium_config_static_selectorELNS0_4arch9wavefront6targetE0EEEvSL_,comdat
	.globl	_ZN7rocprim17ROCPRIM_400000_NS6detail17trampoline_kernelINS0_14default_configENS1_36segmented_radix_sort_config_selectorI6__halflEEZNS1_25segmented_radix_sort_implIS3_Lb0EPKS5_PS5_PKlPlN2at6native12_GLOBAL__N_18offset_tEEE10hipError_tPvRmT1_PNSt15iterator_traitsISL_E10value_typeET2_T3_PNSM_ISR_E10value_typeET4_jRbjT5_SX_jjP12ihipStream_tbEUlT_E0_NS1_11comp_targetILNS1_3genE0ELNS1_11target_archE4294967295ELNS1_3gpuE0ELNS1_3repE0EEENS1_60segmented_radix_sort_warp_sort_medium_config_static_selectorELNS0_4arch9wavefront6targetE0EEEvSL_ ; -- Begin function _ZN7rocprim17ROCPRIM_400000_NS6detail17trampoline_kernelINS0_14default_configENS1_36segmented_radix_sort_config_selectorI6__halflEEZNS1_25segmented_radix_sort_implIS3_Lb0EPKS5_PS5_PKlPlN2at6native12_GLOBAL__N_18offset_tEEE10hipError_tPvRmT1_PNSt15iterator_traitsISL_E10value_typeET2_T3_PNSM_ISR_E10value_typeET4_jRbjT5_SX_jjP12ihipStream_tbEUlT_E0_NS1_11comp_targetILNS1_3genE0ELNS1_11target_archE4294967295ELNS1_3gpuE0ELNS1_3repE0EEENS1_60segmented_radix_sort_warp_sort_medium_config_static_selectorELNS0_4arch9wavefront6targetE0EEEvSL_
	.p2align	8
	.type	_ZN7rocprim17ROCPRIM_400000_NS6detail17trampoline_kernelINS0_14default_configENS1_36segmented_radix_sort_config_selectorI6__halflEEZNS1_25segmented_radix_sort_implIS3_Lb0EPKS5_PS5_PKlPlN2at6native12_GLOBAL__N_18offset_tEEE10hipError_tPvRmT1_PNSt15iterator_traitsISL_E10value_typeET2_T3_PNSM_ISR_E10value_typeET4_jRbjT5_SX_jjP12ihipStream_tbEUlT_E0_NS1_11comp_targetILNS1_3genE0ELNS1_11target_archE4294967295ELNS1_3gpuE0ELNS1_3repE0EEENS1_60segmented_radix_sort_warp_sort_medium_config_static_selectorELNS0_4arch9wavefront6targetE0EEEvSL_,@function
_ZN7rocprim17ROCPRIM_400000_NS6detail17trampoline_kernelINS0_14default_configENS1_36segmented_radix_sort_config_selectorI6__halflEEZNS1_25segmented_radix_sort_implIS3_Lb0EPKS5_PS5_PKlPlN2at6native12_GLOBAL__N_18offset_tEEE10hipError_tPvRmT1_PNSt15iterator_traitsISL_E10value_typeET2_T3_PNSM_ISR_E10value_typeET4_jRbjT5_SX_jjP12ihipStream_tbEUlT_E0_NS1_11comp_targetILNS1_3genE0ELNS1_11target_archE4294967295ELNS1_3gpuE0ELNS1_3repE0EEENS1_60segmented_radix_sort_warp_sort_medium_config_static_selectorELNS0_4arch9wavefront6targetE0EEEvSL_: ; @_ZN7rocprim17ROCPRIM_400000_NS6detail17trampoline_kernelINS0_14default_configENS1_36segmented_radix_sort_config_selectorI6__halflEEZNS1_25segmented_radix_sort_implIS3_Lb0EPKS5_PS5_PKlPlN2at6native12_GLOBAL__N_18offset_tEEE10hipError_tPvRmT1_PNSt15iterator_traitsISL_E10value_typeET2_T3_PNSM_ISR_E10value_typeET4_jRbjT5_SX_jjP12ihipStream_tbEUlT_E0_NS1_11comp_targetILNS1_3genE0ELNS1_11target_archE4294967295ELNS1_3gpuE0ELNS1_3repE0EEENS1_60segmented_radix_sort_warp_sort_medium_config_static_selectorELNS0_4arch9wavefront6targetE0EEEvSL_
; %bb.0:
	.section	.rodata,"a",@progbits
	.p2align	6, 0x0
	.amdhsa_kernel _ZN7rocprim17ROCPRIM_400000_NS6detail17trampoline_kernelINS0_14default_configENS1_36segmented_radix_sort_config_selectorI6__halflEEZNS1_25segmented_radix_sort_implIS3_Lb0EPKS5_PS5_PKlPlN2at6native12_GLOBAL__N_18offset_tEEE10hipError_tPvRmT1_PNSt15iterator_traitsISL_E10value_typeET2_T3_PNSM_ISR_E10value_typeET4_jRbjT5_SX_jjP12ihipStream_tbEUlT_E0_NS1_11comp_targetILNS1_3genE0ELNS1_11target_archE4294967295ELNS1_3gpuE0ELNS1_3repE0EEENS1_60segmented_radix_sort_warp_sort_medium_config_static_selectorELNS0_4arch9wavefront6targetE0EEEvSL_
		.amdhsa_group_segment_fixed_size 0
		.amdhsa_private_segment_fixed_size 0
		.amdhsa_kernarg_size 88
		.amdhsa_user_sgpr_count 6
		.amdhsa_user_sgpr_private_segment_buffer 1
		.amdhsa_user_sgpr_dispatch_ptr 0
		.amdhsa_user_sgpr_queue_ptr 0
		.amdhsa_user_sgpr_kernarg_segment_ptr 1
		.amdhsa_user_sgpr_dispatch_id 0
		.amdhsa_user_sgpr_flat_scratch_init 0
		.amdhsa_user_sgpr_private_segment_size 0
		.amdhsa_wavefront_size32 1
		.amdhsa_uses_dynamic_stack 0
		.amdhsa_system_sgpr_private_segment_wavefront_offset 0
		.amdhsa_system_sgpr_workgroup_id_x 1
		.amdhsa_system_sgpr_workgroup_id_y 0
		.amdhsa_system_sgpr_workgroup_id_z 0
		.amdhsa_system_sgpr_workgroup_info 0
		.amdhsa_system_vgpr_workitem_id 0
		.amdhsa_next_free_vgpr 1
		.amdhsa_next_free_sgpr 1
		.amdhsa_reserve_vcc 0
		.amdhsa_reserve_flat_scratch 0
		.amdhsa_float_round_mode_32 0
		.amdhsa_float_round_mode_16_64 0
		.amdhsa_float_denorm_mode_32 3
		.amdhsa_float_denorm_mode_16_64 3
		.amdhsa_dx10_clamp 1
		.amdhsa_ieee_mode 1
		.amdhsa_fp16_overflow 0
		.amdhsa_workgroup_processor_mode 1
		.amdhsa_memory_ordered 1
		.amdhsa_forward_progress 1
		.amdhsa_shared_vgpr_count 0
		.amdhsa_exception_fp_ieee_invalid_op 0
		.amdhsa_exception_fp_denorm_src 0
		.amdhsa_exception_fp_ieee_div_zero 0
		.amdhsa_exception_fp_ieee_overflow 0
		.amdhsa_exception_fp_ieee_underflow 0
		.amdhsa_exception_fp_ieee_inexact 0
		.amdhsa_exception_int_div_zero 0
	.end_amdhsa_kernel
	.section	.text._ZN7rocprim17ROCPRIM_400000_NS6detail17trampoline_kernelINS0_14default_configENS1_36segmented_radix_sort_config_selectorI6__halflEEZNS1_25segmented_radix_sort_implIS3_Lb0EPKS5_PS5_PKlPlN2at6native12_GLOBAL__N_18offset_tEEE10hipError_tPvRmT1_PNSt15iterator_traitsISL_E10value_typeET2_T3_PNSM_ISR_E10value_typeET4_jRbjT5_SX_jjP12ihipStream_tbEUlT_E0_NS1_11comp_targetILNS1_3genE0ELNS1_11target_archE4294967295ELNS1_3gpuE0ELNS1_3repE0EEENS1_60segmented_radix_sort_warp_sort_medium_config_static_selectorELNS0_4arch9wavefront6targetE0EEEvSL_,"axG",@progbits,_ZN7rocprim17ROCPRIM_400000_NS6detail17trampoline_kernelINS0_14default_configENS1_36segmented_radix_sort_config_selectorI6__halflEEZNS1_25segmented_radix_sort_implIS3_Lb0EPKS5_PS5_PKlPlN2at6native12_GLOBAL__N_18offset_tEEE10hipError_tPvRmT1_PNSt15iterator_traitsISL_E10value_typeET2_T3_PNSM_ISR_E10value_typeET4_jRbjT5_SX_jjP12ihipStream_tbEUlT_E0_NS1_11comp_targetILNS1_3genE0ELNS1_11target_archE4294967295ELNS1_3gpuE0ELNS1_3repE0EEENS1_60segmented_radix_sort_warp_sort_medium_config_static_selectorELNS0_4arch9wavefront6targetE0EEEvSL_,comdat
.Lfunc_end1842:
	.size	_ZN7rocprim17ROCPRIM_400000_NS6detail17trampoline_kernelINS0_14default_configENS1_36segmented_radix_sort_config_selectorI6__halflEEZNS1_25segmented_radix_sort_implIS3_Lb0EPKS5_PS5_PKlPlN2at6native12_GLOBAL__N_18offset_tEEE10hipError_tPvRmT1_PNSt15iterator_traitsISL_E10value_typeET2_T3_PNSM_ISR_E10value_typeET4_jRbjT5_SX_jjP12ihipStream_tbEUlT_E0_NS1_11comp_targetILNS1_3genE0ELNS1_11target_archE4294967295ELNS1_3gpuE0ELNS1_3repE0EEENS1_60segmented_radix_sort_warp_sort_medium_config_static_selectorELNS0_4arch9wavefront6targetE0EEEvSL_, .Lfunc_end1842-_ZN7rocprim17ROCPRIM_400000_NS6detail17trampoline_kernelINS0_14default_configENS1_36segmented_radix_sort_config_selectorI6__halflEEZNS1_25segmented_radix_sort_implIS3_Lb0EPKS5_PS5_PKlPlN2at6native12_GLOBAL__N_18offset_tEEE10hipError_tPvRmT1_PNSt15iterator_traitsISL_E10value_typeET2_T3_PNSM_ISR_E10value_typeET4_jRbjT5_SX_jjP12ihipStream_tbEUlT_E0_NS1_11comp_targetILNS1_3genE0ELNS1_11target_archE4294967295ELNS1_3gpuE0ELNS1_3repE0EEENS1_60segmented_radix_sort_warp_sort_medium_config_static_selectorELNS0_4arch9wavefront6targetE0EEEvSL_
                                        ; -- End function
	.set _ZN7rocprim17ROCPRIM_400000_NS6detail17trampoline_kernelINS0_14default_configENS1_36segmented_radix_sort_config_selectorI6__halflEEZNS1_25segmented_radix_sort_implIS3_Lb0EPKS5_PS5_PKlPlN2at6native12_GLOBAL__N_18offset_tEEE10hipError_tPvRmT1_PNSt15iterator_traitsISL_E10value_typeET2_T3_PNSM_ISR_E10value_typeET4_jRbjT5_SX_jjP12ihipStream_tbEUlT_E0_NS1_11comp_targetILNS1_3genE0ELNS1_11target_archE4294967295ELNS1_3gpuE0ELNS1_3repE0EEENS1_60segmented_radix_sort_warp_sort_medium_config_static_selectorELNS0_4arch9wavefront6targetE0EEEvSL_.num_vgpr, 0
	.set _ZN7rocprim17ROCPRIM_400000_NS6detail17trampoline_kernelINS0_14default_configENS1_36segmented_radix_sort_config_selectorI6__halflEEZNS1_25segmented_radix_sort_implIS3_Lb0EPKS5_PS5_PKlPlN2at6native12_GLOBAL__N_18offset_tEEE10hipError_tPvRmT1_PNSt15iterator_traitsISL_E10value_typeET2_T3_PNSM_ISR_E10value_typeET4_jRbjT5_SX_jjP12ihipStream_tbEUlT_E0_NS1_11comp_targetILNS1_3genE0ELNS1_11target_archE4294967295ELNS1_3gpuE0ELNS1_3repE0EEENS1_60segmented_radix_sort_warp_sort_medium_config_static_selectorELNS0_4arch9wavefront6targetE0EEEvSL_.num_agpr, 0
	.set _ZN7rocprim17ROCPRIM_400000_NS6detail17trampoline_kernelINS0_14default_configENS1_36segmented_radix_sort_config_selectorI6__halflEEZNS1_25segmented_radix_sort_implIS3_Lb0EPKS5_PS5_PKlPlN2at6native12_GLOBAL__N_18offset_tEEE10hipError_tPvRmT1_PNSt15iterator_traitsISL_E10value_typeET2_T3_PNSM_ISR_E10value_typeET4_jRbjT5_SX_jjP12ihipStream_tbEUlT_E0_NS1_11comp_targetILNS1_3genE0ELNS1_11target_archE4294967295ELNS1_3gpuE0ELNS1_3repE0EEENS1_60segmented_radix_sort_warp_sort_medium_config_static_selectorELNS0_4arch9wavefront6targetE0EEEvSL_.numbered_sgpr, 0
	.set _ZN7rocprim17ROCPRIM_400000_NS6detail17trampoline_kernelINS0_14default_configENS1_36segmented_radix_sort_config_selectorI6__halflEEZNS1_25segmented_radix_sort_implIS3_Lb0EPKS5_PS5_PKlPlN2at6native12_GLOBAL__N_18offset_tEEE10hipError_tPvRmT1_PNSt15iterator_traitsISL_E10value_typeET2_T3_PNSM_ISR_E10value_typeET4_jRbjT5_SX_jjP12ihipStream_tbEUlT_E0_NS1_11comp_targetILNS1_3genE0ELNS1_11target_archE4294967295ELNS1_3gpuE0ELNS1_3repE0EEENS1_60segmented_radix_sort_warp_sort_medium_config_static_selectorELNS0_4arch9wavefront6targetE0EEEvSL_.num_named_barrier, 0
	.set _ZN7rocprim17ROCPRIM_400000_NS6detail17trampoline_kernelINS0_14default_configENS1_36segmented_radix_sort_config_selectorI6__halflEEZNS1_25segmented_radix_sort_implIS3_Lb0EPKS5_PS5_PKlPlN2at6native12_GLOBAL__N_18offset_tEEE10hipError_tPvRmT1_PNSt15iterator_traitsISL_E10value_typeET2_T3_PNSM_ISR_E10value_typeET4_jRbjT5_SX_jjP12ihipStream_tbEUlT_E0_NS1_11comp_targetILNS1_3genE0ELNS1_11target_archE4294967295ELNS1_3gpuE0ELNS1_3repE0EEENS1_60segmented_radix_sort_warp_sort_medium_config_static_selectorELNS0_4arch9wavefront6targetE0EEEvSL_.private_seg_size, 0
	.set _ZN7rocprim17ROCPRIM_400000_NS6detail17trampoline_kernelINS0_14default_configENS1_36segmented_radix_sort_config_selectorI6__halflEEZNS1_25segmented_radix_sort_implIS3_Lb0EPKS5_PS5_PKlPlN2at6native12_GLOBAL__N_18offset_tEEE10hipError_tPvRmT1_PNSt15iterator_traitsISL_E10value_typeET2_T3_PNSM_ISR_E10value_typeET4_jRbjT5_SX_jjP12ihipStream_tbEUlT_E0_NS1_11comp_targetILNS1_3genE0ELNS1_11target_archE4294967295ELNS1_3gpuE0ELNS1_3repE0EEENS1_60segmented_radix_sort_warp_sort_medium_config_static_selectorELNS0_4arch9wavefront6targetE0EEEvSL_.uses_vcc, 0
	.set _ZN7rocprim17ROCPRIM_400000_NS6detail17trampoline_kernelINS0_14default_configENS1_36segmented_radix_sort_config_selectorI6__halflEEZNS1_25segmented_radix_sort_implIS3_Lb0EPKS5_PS5_PKlPlN2at6native12_GLOBAL__N_18offset_tEEE10hipError_tPvRmT1_PNSt15iterator_traitsISL_E10value_typeET2_T3_PNSM_ISR_E10value_typeET4_jRbjT5_SX_jjP12ihipStream_tbEUlT_E0_NS1_11comp_targetILNS1_3genE0ELNS1_11target_archE4294967295ELNS1_3gpuE0ELNS1_3repE0EEENS1_60segmented_radix_sort_warp_sort_medium_config_static_selectorELNS0_4arch9wavefront6targetE0EEEvSL_.uses_flat_scratch, 0
	.set _ZN7rocprim17ROCPRIM_400000_NS6detail17trampoline_kernelINS0_14default_configENS1_36segmented_radix_sort_config_selectorI6__halflEEZNS1_25segmented_radix_sort_implIS3_Lb0EPKS5_PS5_PKlPlN2at6native12_GLOBAL__N_18offset_tEEE10hipError_tPvRmT1_PNSt15iterator_traitsISL_E10value_typeET2_T3_PNSM_ISR_E10value_typeET4_jRbjT5_SX_jjP12ihipStream_tbEUlT_E0_NS1_11comp_targetILNS1_3genE0ELNS1_11target_archE4294967295ELNS1_3gpuE0ELNS1_3repE0EEENS1_60segmented_radix_sort_warp_sort_medium_config_static_selectorELNS0_4arch9wavefront6targetE0EEEvSL_.has_dyn_sized_stack, 0
	.set _ZN7rocprim17ROCPRIM_400000_NS6detail17trampoline_kernelINS0_14default_configENS1_36segmented_radix_sort_config_selectorI6__halflEEZNS1_25segmented_radix_sort_implIS3_Lb0EPKS5_PS5_PKlPlN2at6native12_GLOBAL__N_18offset_tEEE10hipError_tPvRmT1_PNSt15iterator_traitsISL_E10value_typeET2_T3_PNSM_ISR_E10value_typeET4_jRbjT5_SX_jjP12ihipStream_tbEUlT_E0_NS1_11comp_targetILNS1_3genE0ELNS1_11target_archE4294967295ELNS1_3gpuE0ELNS1_3repE0EEENS1_60segmented_radix_sort_warp_sort_medium_config_static_selectorELNS0_4arch9wavefront6targetE0EEEvSL_.has_recursion, 0
	.set _ZN7rocprim17ROCPRIM_400000_NS6detail17trampoline_kernelINS0_14default_configENS1_36segmented_radix_sort_config_selectorI6__halflEEZNS1_25segmented_radix_sort_implIS3_Lb0EPKS5_PS5_PKlPlN2at6native12_GLOBAL__N_18offset_tEEE10hipError_tPvRmT1_PNSt15iterator_traitsISL_E10value_typeET2_T3_PNSM_ISR_E10value_typeET4_jRbjT5_SX_jjP12ihipStream_tbEUlT_E0_NS1_11comp_targetILNS1_3genE0ELNS1_11target_archE4294967295ELNS1_3gpuE0ELNS1_3repE0EEENS1_60segmented_radix_sort_warp_sort_medium_config_static_selectorELNS0_4arch9wavefront6targetE0EEEvSL_.has_indirect_call, 0
	.section	.AMDGPU.csdata,"",@progbits
; Kernel info:
; codeLenInByte = 0
; TotalNumSgprs: 0
; NumVgprs: 0
; ScratchSize: 0
; MemoryBound: 0
; FloatMode: 240
; IeeeMode: 1
; LDSByteSize: 0 bytes/workgroup (compile time only)
; SGPRBlocks: 0
; VGPRBlocks: 0
; NumSGPRsForWavesPerEU: 1
; NumVGPRsForWavesPerEU: 1
; Occupancy: 16
; WaveLimiterHint : 0
; COMPUTE_PGM_RSRC2:SCRATCH_EN: 0
; COMPUTE_PGM_RSRC2:USER_SGPR: 6
; COMPUTE_PGM_RSRC2:TRAP_HANDLER: 0
; COMPUTE_PGM_RSRC2:TGID_X_EN: 1
; COMPUTE_PGM_RSRC2:TGID_Y_EN: 0
; COMPUTE_PGM_RSRC2:TGID_Z_EN: 0
; COMPUTE_PGM_RSRC2:TIDIG_COMP_CNT: 0
	.section	.text._ZN7rocprim17ROCPRIM_400000_NS6detail17trampoline_kernelINS0_14default_configENS1_36segmented_radix_sort_config_selectorI6__halflEEZNS1_25segmented_radix_sort_implIS3_Lb0EPKS5_PS5_PKlPlN2at6native12_GLOBAL__N_18offset_tEEE10hipError_tPvRmT1_PNSt15iterator_traitsISL_E10value_typeET2_T3_PNSM_ISR_E10value_typeET4_jRbjT5_SX_jjP12ihipStream_tbEUlT_E0_NS1_11comp_targetILNS1_3genE5ELNS1_11target_archE942ELNS1_3gpuE9ELNS1_3repE0EEENS1_60segmented_radix_sort_warp_sort_medium_config_static_selectorELNS0_4arch9wavefront6targetE0EEEvSL_,"axG",@progbits,_ZN7rocprim17ROCPRIM_400000_NS6detail17trampoline_kernelINS0_14default_configENS1_36segmented_radix_sort_config_selectorI6__halflEEZNS1_25segmented_radix_sort_implIS3_Lb0EPKS5_PS5_PKlPlN2at6native12_GLOBAL__N_18offset_tEEE10hipError_tPvRmT1_PNSt15iterator_traitsISL_E10value_typeET2_T3_PNSM_ISR_E10value_typeET4_jRbjT5_SX_jjP12ihipStream_tbEUlT_E0_NS1_11comp_targetILNS1_3genE5ELNS1_11target_archE942ELNS1_3gpuE9ELNS1_3repE0EEENS1_60segmented_radix_sort_warp_sort_medium_config_static_selectorELNS0_4arch9wavefront6targetE0EEEvSL_,comdat
	.globl	_ZN7rocprim17ROCPRIM_400000_NS6detail17trampoline_kernelINS0_14default_configENS1_36segmented_radix_sort_config_selectorI6__halflEEZNS1_25segmented_radix_sort_implIS3_Lb0EPKS5_PS5_PKlPlN2at6native12_GLOBAL__N_18offset_tEEE10hipError_tPvRmT1_PNSt15iterator_traitsISL_E10value_typeET2_T3_PNSM_ISR_E10value_typeET4_jRbjT5_SX_jjP12ihipStream_tbEUlT_E0_NS1_11comp_targetILNS1_3genE5ELNS1_11target_archE942ELNS1_3gpuE9ELNS1_3repE0EEENS1_60segmented_radix_sort_warp_sort_medium_config_static_selectorELNS0_4arch9wavefront6targetE0EEEvSL_ ; -- Begin function _ZN7rocprim17ROCPRIM_400000_NS6detail17trampoline_kernelINS0_14default_configENS1_36segmented_radix_sort_config_selectorI6__halflEEZNS1_25segmented_radix_sort_implIS3_Lb0EPKS5_PS5_PKlPlN2at6native12_GLOBAL__N_18offset_tEEE10hipError_tPvRmT1_PNSt15iterator_traitsISL_E10value_typeET2_T3_PNSM_ISR_E10value_typeET4_jRbjT5_SX_jjP12ihipStream_tbEUlT_E0_NS1_11comp_targetILNS1_3genE5ELNS1_11target_archE942ELNS1_3gpuE9ELNS1_3repE0EEENS1_60segmented_radix_sort_warp_sort_medium_config_static_selectorELNS0_4arch9wavefront6targetE0EEEvSL_
	.p2align	8
	.type	_ZN7rocprim17ROCPRIM_400000_NS6detail17trampoline_kernelINS0_14default_configENS1_36segmented_radix_sort_config_selectorI6__halflEEZNS1_25segmented_radix_sort_implIS3_Lb0EPKS5_PS5_PKlPlN2at6native12_GLOBAL__N_18offset_tEEE10hipError_tPvRmT1_PNSt15iterator_traitsISL_E10value_typeET2_T3_PNSM_ISR_E10value_typeET4_jRbjT5_SX_jjP12ihipStream_tbEUlT_E0_NS1_11comp_targetILNS1_3genE5ELNS1_11target_archE942ELNS1_3gpuE9ELNS1_3repE0EEENS1_60segmented_radix_sort_warp_sort_medium_config_static_selectorELNS0_4arch9wavefront6targetE0EEEvSL_,@function
_ZN7rocprim17ROCPRIM_400000_NS6detail17trampoline_kernelINS0_14default_configENS1_36segmented_radix_sort_config_selectorI6__halflEEZNS1_25segmented_radix_sort_implIS3_Lb0EPKS5_PS5_PKlPlN2at6native12_GLOBAL__N_18offset_tEEE10hipError_tPvRmT1_PNSt15iterator_traitsISL_E10value_typeET2_T3_PNSM_ISR_E10value_typeET4_jRbjT5_SX_jjP12ihipStream_tbEUlT_E0_NS1_11comp_targetILNS1_3genE5ELNS1_11target_archE942ELNS1_3gpuE9ELNS1_3repE0EEENS1_60segmented_radix_sort_warp_sort_medium_config_static_selectorELNS0_4arch9wavefront6targetE0EEEvSL_: ; @_ZN7rocprim17ROCPRIM_400000_NS6detail17trampoline_kernelINS0_14default_configENS1_36segmented_radix_sort_config_selectorI6__halflEEZNS1_25segmented_radix_sort_implIS3_Lb0EPKS5_PS5_PKlPlN2at6native12_GLOBAL__N_18offset_tEEE10hipError_tPvRmT1_PNSt15iterator_traitsISL_E10value_typeET2_T3_PNSM_ISR_E10value_typeET4_jRbjT5_SX_jjP12ihipStream_tbEUlT_E0_NS1_11comp_targetILNS1_3genE5ELNS1_11target_archE942ELNS1_3gpuE9ELNS1_3repE0EEENS1_60segmented_radix_sort_warp_sort_medium_config_static_selectorELNS0_4arch9wavefront6targetE0EEEvSL_
; %bb.0:
	.section	.rodata,"a",@progbits
	.p2align	6, 0x0
	.amdhsa_kernel _ZN7rocprim17ROCPRIM_400000_NS6detail17trampoline_kernelINS0_14default_configENS1_36segmented_radix_sort_config_selectorI6__halflEEZNS1_25segmented_radix_sort_implIS3_Lb0EPKS5_PS5_PKlPlN2at6native12_GLOBAL__N_18offset_tEEE10hipError_tPvRmT1_PNSt15iterator_traitsISL_E10value_typeET2_T3_PNSM_ISR_E10value_typeET4_jRbjT5_SX_jjP12ihipStream_tbEUlT_E0_NS1_11comp_targetILNS1_3genE5ELNS1_11target_archE942ELNS1_3gpuE9ELNS1_3repE0EEENS1_60segmented_radix_sort_warp_sort_medium_config_static_selectorELNS0_4arch9wavefront6targetE0EEEvSL_
		.amdhsa_group_segment_fixed_size 0
		.amdhsa_private_segment_fixed_size 0
		.amdhsa_kernarg_size 88
		.amdhsa_user_sgpr_count 6
		.amdhsa_user_sgpr_private_segment_buffer 1
		.amdhsa_user_sgpr_dispatch_ptr 0
		.amdhsa_user_sgpr_queue_ptr 0
		.amdhsa_user_sgpr_kernarg_segment_ptr 1
		.amdhsa_user_sgpr_dispatch_id 0
		.amdhsa_user_sgpr_flat_scratch_init 0
		.amdhsa_user_sgpr_private_segment_size 0
		.amdhsa_wavefront_size32 1
		.amdhsa_uses_dynamic_stack 0
		.amdhsa_system_sgpr_private_segment_wavefront_offset 0
		.amdhsa_system_sgpr_workgroup_id_x 1
		.amdhsa_system_sgpr_workgroup_id_y 0
		.amdhsa_system_sgpr_workgroup_id_z 0
		.amdhsa_system_sgpr_workgroup_info 0
		.amdhsa_system_vgpr_workitem_id 0
		.amdhsa_next_free_vgpr 1
		.amdhsa_next_free_sgpr 1
		.amdhsa_reserve_vcc 0
		.amdhsa_reserve_flat_scratch 0
		.amdhsa_float_round_mode_32 0
		.amdhsa_float_round_mode_16_64 0
		.amdhsa_float_denorm_mode_32 3
		.amdhsa_float_denorm_mode_16_64 3
		.amdhsa_dx10_clamp 1
		.amdhsa_ieee_mode 1
		.amdhsa_fp16_overflow 0
		.amdhsa_workgroup_processor_mode 1
		.amdhsa_memory_ordered 1
		.amdhsa_forward_progress 1
		.amdhsa_shared_vgpr_count 0
		.amdhsa_exception_fp_ieee_invalid_op 0
		.amdhsa_exception_fp_denorm_src 0
		.amdhsa_exception_fp_ieee_div_zero 0
		.amdhsa_exception_fp_ieee_overflow 0
		.amdhsa_exception_fp_ieee_underflow 0
		.amdhsa_exception_fp_ieee_inexact 0
		.amdhsa_exception_int_div_zero 0
	.end_amdhsa_kernel
	.section	.text._ZN7rocprim17ROCPRIM_400000_NS6detail17trampoline_kernelINS0_14default_configENS1_36segmented_radix_sort_config_selectorI6__halflEEZNS1_25segmented_radix_sort_implIS3_Lb0EPKS5_PS5_PKlPlN2at6native12_GLOBAL__N_18offset_tEEE10hipError_tPvRmT1_PNSt15iterator_traitsISL_E10value_typeET2_T3_PNSM_ISR_E10value_typeET4_jRbjT5_SX_jjP12ihipStream_tbEUlT_E0_NS1_11comp_targetILNS1_3genE5ELNS1_11target_archE942ELNS1_3gpuE9ELNS1_3repE0EEENS1_60segmented_radix_sort_warp_sort_medium_config_static_selectorELNS0_4arch9wavefront6targetE0EEEvSL_,"axG",@progbits,_ZN7rocprim17ROCPRIM_400000_NS6detail17trampoline_kernelINS0_14default_configENS1_36segmented_radix_sort_config_selectorI6__halflEEZNS1_25segmented_radix_sort_implIS3_Lb0EPKS5_PS5_PKlPlN2at6native12_GLOBAL__N_18offset_tEEE10hipError_tPvRmT1_PNSt15iterator_traitsISL_E10value_typeET2_T3_PNSM_ISR_E10value_typeET4_jRbjT5_SX_jjP12ihipStream_tbEUlT_E0_NS1_11comp_targetILNS1_3genE5ELNS1_11target_archE942ELNS1_3gpuE9ELNS1_3repE0EEENS1_60segmented_radix_sort_warp_sort_medium_config_static_selectorELNS0_4arch9wavefront6targetE0EEEvSL_,comdat
.Lfunc_end1843:
	.size	_ZN7rocprim17ROCPRIM_400000_NS6detail17trampoline_kernelINS0_14default_configENS1_36segmented_radix_sort_config_selectorI6__halflEEZNS1_25segmented_radix_sort_implIS3_Lb0EPKS5_PS5_PKlPlN2at6native12_GLOBAL__N_18offset_tEEE10hipError_tPvRmT1_PNSt15iterator_traitsISL_E10value_typeET2_T3_PNSM_ISR_E10value_typeET4_jRbjT5_SX_jjP12ihipStream_tbEUlT_E0_NS1_11comp_targetILNS1_3genE5ELNS1_11target_archE942ELNS1_3gpuE9ELNS1_3repE0EEENS1_60segmented_radix_sort_warp_sort_medium_config_static_selectorELNS0_4arch9wavefront6targetE0EEEvSL_, .Lfunc_end1843-_ZN7rocprim17ROCPRIM_400000_NS6detail17trampoline_kernelINS0_14default_configENS1_36segmented_radix_sort_config_selectorI6__halflEEZNS1_25segmented_radix_sort_implIS3_Lb0EPKS5_PS5_PKlPlN2at6native12_GLOBAL__N_18offset_tEEE10hipError_tPvRmT1_PNSt15iterator_traitsISL_E10value_typeET2_T3_PNSM_ISR_E10value_typeET4_jRbjT5_SX_jjP12ihipStream_tbEUlT_E0_NS1_11comp_targetILNS1_3genE5ELNS1_11target_archE942ELNS1_3gpuE9ELNS1_3repE0EEENS1_60segmented_radix_sort_warp_sort_medium_config_static_selectorELNS0_4arch9wavefront6targetE0EEEvSL_
                                        ; -- End function
	.set _ZN7rocprim17ROCPRIM_400000_NS6detail17trampoline_kernelINS0_14default_configENS1_36segmented_radix_sort_config_selectorI6__halflEEZNS1_25segmented_radix_sort_implIS3_Lb0EPKS5_PS5_PKlPlN2at6native12_GLOBAL__N_18offset_tEEE10hipError_tPvRmT1_PNSt15iterator_traitsISL_E10value_typeET2_T3_PNSM_ISR_E10value_typeET4_jRbjT5_SX_jjP12ihipStream_tbEUlT_E0_NS1_11comp_targetILNS1_3genE5ELNS1_11target_archE942ELNS1_3gpuE9ELNS1_3repE0EEENS1_60segmented_radix_sort_warp_sort_medium_config_static_selectorELNS0_4arch9wavefront6targetE0EEEvSL_.num_vgpr, 0
	.set _ZN7rocprim17ROCPRIM_400000_NS6detail17trampoline_kernelINS0_14default_configENS1_36segmented_radix_sort_config_selectorI6__halflEEZNS1_25segmented_radix_sort_implIS3_Lb0EPKS5_PS5_PKlPlN2at6native12_GLOBAL__N_18offset_tEEE10hipError_tPvRmT1_PNSt15iterator_traitsISL_E10value_typeET2_T3_PNSM_ISR_E10value_typeET4_jRbjT5_SX_jjP12ihipStream_tbEUlT_E0_NS1_11comp_targetILNS1_3genE5ELNS1_11target_archE942ELNS1_3gpuE9ELNS1_3repE0EEENS1_60segmented_radix_sort_warp_sort_medium_config_static_selectorELNS0_4arch9wavefront6targetE0EEEvSL_.num_agpr, 0
	.set _ZN7rocprim17ROCPRIM_400000_NS6detail17trampoline_kernelINS0_14default_configENS1_36segmented_radix_sort_config_selectorI6__halflEEZNS1_25segmented_radix_sort_implIS3_Lb0EPKS5_PS5_PKlPlN2at6native12_GLOBAL__N_18offset_tEEE10hipError_tPvRmT1_PNSt15iterator_traitsISL_E10value_typeET2_T3_PNSM_ISR_E10value_typeET4_jRbjT5_SX_jjP12ihipStream_tbEUlT_E0_NS1_11comp_targetILNS1_3genE5ELNS1_11target_archE942ELNS1_3gpuE9ELNS1_3repE0EEENS1_60segmented_radix_sort_warp_sort_medium_config_static_selectorELNS0_4arch9wavefront6targetE0EEEvSL_.numbered_sgpr, 0
	.set _ZN7rocprim17ROCPRIM_400000_NS6detail17trampoline_kernelINS0_14default_configENS1_36segmented_radix_sort_config_selectorI6__halflEEZNS1_25segmented_radix_sort_implIS3_Lb0EPKS5_PS5_PKlPlN2at6native12_GLOBAL__N_18offset_tEEE10hipError_tPvRmT1_PNSt15iterator_traitsISL_E10value_typeET2_T3_PNSM_ISR_E10value_typeET4_jRbjT5_SX_jjP12ihipStream_tbEUlT_E0_NS1_11comp_targetILNS1_3genE5ELNS1_11target_archE942ELNS1_3gpuE9ELNS1_3repE0EEENS1_60segmented_radix_sort_warp_sort_medium_config_static_selectorELNS0_4arch9wavefront6targetE0EEEvSL_.num_named_barrier, 0
	.set _ZN7rocprim17ROCPRIM_400000_NS6detail17trampoline_kernelINS0_14default_configENS1_36segmented_radix_sort_config_selectorI6__halflEEZNS1_25segmented_radix_sort_implIS3_Lb0EPKS5_PS5_PKlPlN2at6native12_GLOBAL__N_18offset_tEEE10hipError_tPvRmT1_PNSt15iterator_traitsISL_E10value_typeET2_T3_PNSM_ISR_E10value_typeET4_jRbjT5_SX_jjP12ihipStream_tbEUlT_E0_NS1_11comp_targetILNS1_3genE5ELNS1_11target_archE942ELNS1_3gpuE9ELNS1_3repE0EEENS1_60segmented_radix_sort_warp_sort_medium_config_static_selectorELNS0_4arch9wavefront6targetE0EEEvSL_.private_seg_size, 0
	.set _ZN7rocprim17ROCPRIM_400000_NS6detail17trampoline_kernelINS0_14default_configENS1_36segmented_radix_sort_config_selectorI6__halflEEZNS1_25segmented_radix_sort_implIS3_Lb0EPKS5_PS5_PKlPlN2at6native12_GLOBAL__N_18offset_tEEE10hipError_tPvRmT1_PNSt15iterator_traitsISL_E10value_typeET2_T3_PNSM_ISR_E10value_typeET4_jRbjT5_SX_jjP12ihipStream_tbEUlT_E0_NS1_11comp_targetILNS1_3genE5ELNS1_11target_archE942ELNS1_3gpuE9ELNS1_3repE0EEENS1_60segmented_radix_sort_warp_sort_medium_config_static_selectorELNS0_4arch9wavefront6targetE0EEEvSL_.uses_vcc, 0
	.set _ZN7rocprim17ROCPRIM_400000_NS6detail17trampoline_kernelINS0_14default_configENS1_36segmented_radix_sort_config_selectorI6__halflEEZNS1_25segmented_radix_sort_implIS3_Lb0EPKS5_PS5_PKlPlN2at6native12_GLOBAL__N_18offset_tEEE10hipError_tPvRmT1_PNSt15iterator_traitsISL_E10value_typeET2_T3_PNSM_ISR_E10value_typeET4_jRbjT5_SX_jjP12ihipStream_tbEUlT_E0_NS1_11comp_targetILNS1_3genE5ELNS1_11target_archE942ELNS1_3gpuE9ELNS1_3repE0EEENS1_60segmented_radix_sort_warp_sort_medium_config_static_selectorELNS0_4arch9wavefront6targetE0EEEvSL_.uses_flat_scratch, 0
	.set _ZN7rocprim17ROCPRIM_400000_NS6detail17trampoline_kernelINS0_14default_configENS1_36segmented_radix_sort_config_selectorI6__halflEEZNS1_25segmented_radix_sort_implIS3_Lb0EPKS5_PS5_PKlPlN2at6native12_GLOBAL__N_18offset_tEEE10hipError_tPvRmT1_PNSt15iterator_traitsISL_E10value_typeET2_T3_PNSM_ISR_E10value_typeET4_jRbjT5_SX_jjP12ihipStream_tbEUlT_E0_NS1_11comp_targetILNS1_3genE5ELNS1_11target_archE942ELNS1_3gpuE9ELNS1_3repE0EEENS1_60segmented_radix_sort_warp_sort_medium_config_static_selectorELNS0_4arch9wavefront6targetE0EEEvSL_.has_dyn_sized_stack, 0
	.set _ZN7rocprim17ROCPRIM_400000_NS6detail17trampoline_kernelINS0_14default_configENS1_36segmented_radix_sort_config_selectorI6__halflEEZNS1_25segmented_radix_sort_implIS3_Lb0EPKS5_PS5_PKlPlN2at6native12_GLOBAL__N_18offset_tEEE10hipError_tPvRmT1_PNSt15iterator_traitsISL_E10value_typeET2_T3_PNSM_ISR_E10value_typeET4_jRbjT5_SX_jjP12ihipStream_tbEUlT_E0_NS1_11comp_targetILNS1_3genE5ELNS1_11target_archE942ELNS1_3gpuE9ELNS1_3repE0EEENS1_60segmented_radix_sort_warp_sort_medium_config_static_selectorELNS0_4arch9wavefront6targetE0EEEvSL_.has_recursion, 0
	.set _ZN7rocprim17ROCPRIM_400000_NS6detail17trampoline_kernelINS0_14default_configENS1_36segmented_radix_sort_config_selectorI6__halflEEZNS1_25segmented_radix_sort_implIS3_Lb0EPKS5_PS5_PKlPlN2at6native12_GLOBAL__N_18offset_tEEE10hipError_tPvRmT1_PNSt15iterator_traitsISL_E10value_typeET2_T3_PNSM_ISR_E10value_typeET4_jRbjT5_SX_jjP12ihipStream_tbEUlT_E0_NS1_11comp_targetILNS1_3genE5ELNS1_11target_archE942ELNS1_3gpuE9ELNS1_3repE0EEENS1_60segmented_radix_sort_warp_sort_medium_config_static_selectorELNS0_4arch9wavefront6targetE0EEEvSL_.has_indirect_call, 0
	.section	.AMDGPU.csdata,"",@progbits
; Kernel info:
; codeLenInByte = 0
; TotalNumSgprs: 0
; NumVgprs: 0
; ScratchSize: 0
; MemoryBound: 0
; FloatMode: 240
; IeeeMode: 1
; LDSByteSize: 0 bytes/workgroup (compile time only)
; SGPRBlocks: 0
; VGPRBlocks: 0
; NumSGPRsForWavesPerEU: 1
; NumVGPRsForWavesPerEU: 1
; Occupancy: 16
; WaveLimiterHint : 0
; COMPUTE_PGM_RSRC2:SCRATCH_EN: 0
; COMPUTE_PGM_RSRC2:USER_SGPR: 6
; COMPUTE_PGM_RSRC2:TRAP_HANDLER: 0
; COMPUTE_PGM_RSRC2:TGID_X_EN: 1
; COMPUTE_PGM_RSRC2:TGID_Y_EN: 0
; COMPUTE_PGM_RSRC2:TGID_Z_EN: 0
; COMPUTE_PGM_RSRC2:TIDIG_COMP_CNT: 0
	.section	.text._ZN7rocprim17ROCPRIM_400000_NS6detail17trampoline_kernelINS0_14default_configENS1_36segmented_radix_sort_config_selectorI6__halflEEZNS1_25segmented_radix_sort_implIS3_Lb0EPKS5_PS5_PKlPlN2at6native12_GLOBAL__N_18offset_tEEE10hipError_tPvRmT1_PNSt15iterator_traitsISL_E10value_typeET2_T3_PNSM_ISR_E10value_typeET4_jRbjT5_SX_jjP12ihipStream_tbEUlT_E0_NS1_11comp_targetILNS1_3genE4ELNS1_11target_archE910ELNS1_3gpuE8ELNS1_3repE0EEENS1_60segmented_radix_sort_warp_sort_medium_config_static_selectorELNS0_4arch9wavefront6targetE0EEEvSL_,"axG",@progbits,_ZN7rocprim17ROCPRIM_400000_NS6detail17trampoline_kernelINS0_14default_configENS1_36segmented_radix_sort_config_selectorI6__halflEEZNS1_25segmented_radix_sort_implIS3_Lb0EPKS5_PS5_PKlPlN2at6native12_GLOBAL__N_18offset_tEEE10hipError_tPvRmT1_PNSt15iterator_traitsISL_E10value_typeET2_T3_PNSM_ISR_E10value_typeET4_jRbjT5_SX_jjP12ihipStream_tbEUlT_E0_NS1_11comp_targetILNS1_3genE4ELNS1_11target_archE910ELNS1_3gpuE8ELNS1_3repE0EEENS1_60segmented_radix_sort_warp_sort_medium_config_static_selectorELNS0_4arch9wavefront6targetE0EEEvSL_,comdat
	.globl	_ZN7rocprim17ROCPRIM_400000_NS6detail17trampoline_kernelINS0_14default_configENS1_36segmented_radix_sort_config_selectorI6__halflEEZNS1_25segmented_radix_sort_implIS3_Lb0EPKS5_PS5_PKlPlN2at6native12_GLOBAL__N_18offset_tEEE10hipError_tPvRmT1_PNSt15iterator_traitsISL_E10value_typeET2_T3_PNSM_ISR_E10value_typeET4_jRbjT5_SX_jjP12ihipStream_tbEUlT_E0_NS1_11comp_targetILNS1_3genE4ELNS1_11target_archE910ELNS1_3gpuE8ELNS1_3repE0EEENS1_60segmented_radix_sort_warp_sort_medium_config_static_selectorELNS0_4arch9wavefront6targetE0EEEvSL_ ; -- Begin function _ZN7rocprim17ROCPRIM_400000_NS6detail17trampoline_kernelINS0_14default_configENS1_36segmented_radix_sort_config_selectorI6__halflEEZNS1_25segmented_radix_sort_implIS3_Lb0EPKS5_PS5_PKlPlN2at6native12_GLOBAL__N_18offset_tEEE10hipError_tPvRmT1_PNSt15iterator_traitsISL_E10value_typeET2_T3_PNSM_ISR_E10value_typeET4_jRbjT5_SX_jjP12ihipStream_tbEUlT_E0_NS1_11comp_targetILNS1_3genE4ELNS1_11target_archE910ELNS1_3gpuE8ELNS1_3repE0EEENS1_60segmented_radix_sort_warp_sort_medium_config_static_selectorELNS0_4arch9wavefront6targetE0EEEvSL_
	.p2align	8
	.type	_ZN7rocprim17ROCPRIM_400000_NS6detail17trampoline_kernelINS0_14default_configENS1_36segmented_radix_sort_config_selectorI6__halflEEZNS1_25segmented_radix_sort_implIS3_Lb0EPKS5_PS5_PKlPlN2at6native12_GLOBAL__N_18offset_tEEE10hipError_tPvRmT1_PNSt15iterator_traitsISL_E10value_typeET2_T3_PNSM_ISR_E10value_typeET4_jRbjT5_SX_jjP12ihipStream_tbEUlT_E0_NS1_11comp_targetILNS1_3genE4ELNS1_11target_archE910ELNS1_3gpuE8ELNS1_3repE0EEENS1_60segmented_radix_sort_warp_sort_medium_config_static_selectorELNS0_4arch9wavefront6targetE0EEEvSL_,@function
_ZN7rocprim17ROCPRIM_400000_NS6detail17trampoline_kernelINS0_14default_configENS1_36segmented_radix_sort_config_selectorI6__halflEEZNS1_25segmented_radix_sort_implIS3_Lb0EPKS5_PS5_PKlPlN2at6native12_GLOBAL__N_18offset_tEEE10hipError_tPvRmT1_PNSt15iterator_traitsISL_E10value_typeET2_T3_PNSM_ISR_E10value_typeET4_jRbjT5_SX_jjP12ihipStream_tbEUlT_E0_NS1_11comp_targetILNS1_3genE4ELNS1_11target_archE910ELNS1_3gpuE8ELNS1_3repE0EEENS1_60segmented_radix_sort_warp_sort_medium_config_static_selectorELNS0_4arch9wavefront6targetE0EEEvSL_: ; @_ZN7rocprim17ROCPRIM_400000_NS6detail17trampoline_kernelINS0_14default_configENS1_36segmented_radix_sort_config_selectorI6__halflEEZNS1_25segmented_radix_sort_implIS3_Lb0EPKS5_PS5_PKlPlN2at6native12_GLOBAL__N_18offset_tEEE10hipError_tPvRmT1_PNSt15iterator_traitsISL_E10value_typeET2_T3_PNSM_ISR_E10value_typeET4_jRbjT5_SX_jjP12ihipStream_tbEUlT_E0_NS1_11comp_targetILNS1_3genE4ELNS1_11target_archE910ELNS1_3gpuE8ELNS1_3repE0EEENS1_60segmented_radix_sort_warp_sort_medium_config_static_selectorELNS0_4arch9wavefront6targetE0EEEvSL_
; %bb.0:
	.section	.rodata,"a",@progbits
	.p2align	6, 0x0
	.amdhsa_kernel _ZN7rocprim17ROCPRIM_400000_NS6detail17trampoline_kernelINS0_14default_configENS1_36segmented_radix_sort_config_selectorI6__halflEEZNS1_25segmented_radix_sort_implIS3_Lb0EPKS5_PS5_PKlPlN2at6native12_GLOBAL__N_18offset_tEEE10hipError_tPvRmT1_PNSt15iterator_traitsISL_E10value_typeET2_T3_PNSM_ISR_E10value_typeET4_jRbjT5_SX_jjP12ihipStream_tbEUlT_E0_NS1_11comp_targetILNS1_3genE4ELNS1_11target_archE910ELNS1_3gpuE8ELNS1_3repE0EEENS1_60segmented_radix_sort_warp_sort_medium_config_static_selectorELNS0_4arch9wavefront6targetE0EEEvSL_
		.amdhsa_group_segment_fixed_size 0
		.amdhsa_private_segment_fixed_size 0
		.amdhsa_kernarg_size 88
		.amdhsa_user_sgpr_count 6
		.amdhsa_user_sgpr_private_segment_buffer 1
		.amdhsa_user_sgpr_dispatch_ptr 0
		.amdhsa_user_sgpr_queue_ptr 0
		.amdhsa_user_sgpr_kernarg_segment_ptr 1
		.amdhsa_user_sgpr_dispatch_id 0
		.amdhsa_user_sgpr_flat_scratch_init 0
		.amdhsa_user_sgpr_private_segment_size 0
		.amdhsa_wavefront_size32 1
		.amdhsa_uses_dynamic_stack 0
		.amdhsa_system_sgpr_private_segment_wavefront_offset 0
		.amdhsa_system_sgpr_workgroup_id_x 1
		.amdhsa_system_sgpr_workgroup_id_y 0
		.amdhsa_system_sgpr_workgroup_id_z 0
		.amdhsa_system_sgpr_workgroup_info 0
		.amdhsa_system_vgpr_workitem_id 0
		.amdhsa_next_free_vgpr 1
		.amdhsa_next_free_sgpr 1
		.amdhsa_reserve_vcc 0
		.amdhsa_reserve_flat_scratch 0
		.amdhsa_float_round_mode_32 0
		.amdhsa_float_round_mode_16_64 0
		.amdhsa_float_denorm_mode_32 3
		.amdhsa_float_denorm_mode_16_64 3
		.amdhsa_dx10_clamp 1
		.amdhsa_ieee_mode 1
		.amdhsa_fp16_overflow 0
		.amdhsa_workgroup_processor_mode 1
		.amdhsa_memory_ordered 1
		.amdhsa_forward_progress 1
		.amdhsa_shared_vgpr_count 0
		.amdhsa_exception_fp_ieee_invalid_op 0
		.amdhsa_exception_fp_denorm_src 0
		.amdhsa_exception_fp_ieee_div_zero 0
		.amdhsa_exception_fp_ieee_overflow 0
		.amdhsa_exception_fp_ieee_underflow 0
		.amdhsa_exception_fp_ieee_inexact 0
		.amdhsa_exception_int_div_zero 0
	.end_amdhsa_kernel
	.section	.text._ZN7rocprim17ROCPRIM_400000_NS6detail17trampoline_kernelINS0_14default_configENS1_36segmented_radix_sort_config_selectorI6__halflEEZNS1_25segmented_radix_sort_implIS3_Lb0EPKS5_PS5_PKlPlN2at6native12_GLOBAL__N_18offset_tEEE10hipError_tPvRmT1_PNSt15iterator_traitsISL_E10value_typeET2_T3_PNSM_ISR_E10value_typeET4_jRbjT5_SX_jjP12ihipStream_tbEUlT_E0_NS1_11comp_targetILNS1_3genE4ELNS1_11target_archE910ELNS1_3gpuE8ELNS1_3repE0EEENS1_60segmented_radix_sort_warp_sort_medium_config_static_selectorELNS0_4arch9wavefront6targetE0EEEvSL_,"axG",@progbits,_ZN7rocprim17ROCPRIM_400000_NS6detail17trampoline_kernelINS0_14default_configENS1_36segmented_radix_sort_config_selectorI6__halflEEZNS1_25segmented_radix_sort_implIS3_Lb0EPKS5_PS5_PKlPlN2at6native12_GLOBAL__N_18offset_tEEE10hipError_tPvRmT1_PNSt15iterator_traitsISL_E10value_typeET2_T3_PNSM_ISR_E10value_typeET4_jRbjT5_SX_jjP12ihipStream_tbEUlT_E0_NS1_11comp_targetILNS1_3genE4ELNS1_11target_archE910ELNS1_3gpuE8ELNS1_3repE0EEENS1_60segmented_radix_sort_warp_sort_medium_config_static_selectorELNS0_4arch9wavefront6targetE0EEEvSL_,comdat
.Lfunc_end1844:
	.size	_ZN7rocprim17ROCPRIM_400000_NS6detail17trampoline_kernelINS0_14default_configENS1_36segmented_radix_sort_config_selectorI6__halflEEZNS1_25segmented_radix_sort_implIS3_Lb0EPKS5_PS5_PKlPlN2at6native12_GLOBAL__N_18offset_tEEE10hipError_tPvRmT1_PNSt15iterator_traitsISL_E10value_typeET2_T3_PNSM_ISR_E10value_typeET4_jRbjT5_SX_jjP12ihipStream_tbEUlT_E0_NS1_11comp_targetILNS1_3genE4ELNS1_11target_archE910ELNS1_3gpuE8ELNS1_3repE0EEENS1_60segmented_radix_sort_warp_sort_medium_config_static_selectorELNS0_4arch9wavefront6targetE0EEEvSL_, .Lfunc_end1844-_ZN7rocprim17ROCPRIM_400000_NS6detail17trampoline_kernelINS0_14default_configENS1_36segmented_radix_sort_config_selectorI6__halflEEZNS1_25segmented_radix_sort_implIS3_Lb0EPKS5_PS5_PKlPlN2at6native12_GLOBAL__N_18offset_tEEE10hipError_tPvRmT1_PNSt15iterator_traitsISL_E10value_typeET2_T3_PNSM_ISR_E10value_typeET4_jRbjT5_SX_jjP12ihipStream_tbEUlT_E0_NS1_11comp_targetILNS1_3genE4ELNS1_11target_archE910ELNS1_3gpuE8ELNS1_3repE0EEENS1_60segmented_radix_sort_warp_sort_medium_config_static_selectorELNS0_4arch9wavefront6targetE0EEEvSL_
                                        ; -- End function
	.set _ZN7rocprim17ROCPRIM_400000_NS6detail17trampoline_kernelINS0_14default_configENS1_36segmented_radix_sort_config_selectorI6__halflEEZNS1_25segmented_radix_sort_implIS3_Lb0EPKS5_PS5_PKlPlN2at6native12_GLOBAL__N_18offset_tEEE10hipError_tPvRmT1_PNSt15iterator_traitsISL_E10value_typeET2_T3_PNSM_ISR_E10value_typeET4_jRbjT5_SX_jjP12ihipStream_tbEUlT_E0_NS1_11comp_targetILNS1_3genE4ELNS1_11target_archE910ELNS1_3gpuE8ELNS1_3repE0EEENS1_60segmented_radix_sort_warp_sort_medium_config_static_selectorELNS0_4arch9wavefront6targetE0EEEvSL_.num_vgpr, 0
	.set _ZN7rocprim17ROCPRIM_400000_NS6detail17trampoline_kernelINS0_14default_configENS1_36segmented_radix_sort_config_selectorI6__halflEEZNS1_25segmented_radix_sort_implIS3_Lb0EPKS5_PS5_PKlPlN2at6native12_GLOBAL__N_18offset_tEEE10hipError_tPvRmT1_PNSt15iterator_traitsISL_E10value_typeET2_T3_PNSM_ISR_E10value_typeET4_jRbjT5_SX_jjP12ihipStream_tbEUlT_E0_NS1_11comp_targetILNS1_3genE4ELNS1_11target_archE910ELNS1_3gpuE8ELNS1_3repE0EEENS1_60segmented_radix_sort_warp_sort_medium_config_static_selectorELNS0_4arch9wavefront6targetE0EEEvSL_.num_agpr, 0
	.set _ZN7rocprim17ROCPRIM_400000_NS6detail17trampoline_kernelINS0_14default_configENS1_36segmented_radix_sort_config_selectorI6__halflEEZNS1_25segmented_radix_sort_implIS3_Lb0EPKS5_PS5_PKlPlN2at6native12_GLOBAL__N_18offset_tEEE10hipError_tPvRmT1_PNSt15iterator_traitsISL_E10value_typeET2_T3_PNSM_ISR_E10value_typeET4_jRbjT5_SX_jjP12ihipStream_tbEUlT_E0_NS1_11comp_targetILNS1_3genE4ELNS1_11target_archE910ELNS1_3gpuE8ELNS1_3repE0EEENS1_60segmented_radix_sort_warp_sort_medium_config_static_selectorELNS0_4arch9wavefront6targetE0EEEvSL_.numbered_sgpr, 0
	.set _ZN7rocprim17ROCPRIM_400000_NS6detail17trampoline_kernelINS0_14default_configENS1_36segmented_radix_sort_config_selectorI6__halflEEZNS1_25segmented_radix_sort_implIS3_Lb0EPKS5_PS5_PKlPlN2at6native12_GLOBAL__N_18offset_tEEE10hipError_tPvRmT1_PNSt15iterator_traitsISL_E10value_typeET2_T3_PNSM_ISR_E10value_typeET4_jRbjT5_SX_jjP12ihipStream_tbEUlT_E0_NS1_11comp_targetILNS1_3genE4ELNS1_11target_archE910ELNS1_3gpuE8ELNS1_3repE0EEENS1_60segmented_radix_sort_warp_sort_medium_config_static_selectorELNS0_4arch9wavefront6targetE0EEEvSL_.num_named_barrier, 0
	.set _ZN7rocprim17ROCPRIM_400000_NS6detail17trampoline_kernelINS0_14default_configENS1_36segmented_radix_sort_config_selectorI6__halflEEZNS1_25segmented_radix_sort_implIS3_Lb0EPKS5_PS5_PKlPlN2at6native12_GLOBAL__N_18offset_tEEE10hipError_tPvRmT1_PNSt15iterator_traitsISL_E10value_typeET2_T3_PNSM_ISR_E10value_typeET4_jRbjT5_SX_jjP12ihipStream_tbEUlT_E0_NS1_11comp_targetILNS1_3genE4ELNS1_11target_archE910ELNS1_3gpuE8ELNS1_3repE0EEENS1_60segmented_radix_sort_warp_sort_medium_config_static_selectorELNS0_4arch9wavefront6targetE0EEEvSL_.private_seg_size, 0
	.set _ZN7rocprim17ROCPRIM_400000_NS6detail17trampoline_kernelINS0_14default_configENS1_36segmented_radix_sort_config_selectorI6__halflEEZNS1_25segmented_radix_sort_implIS3_Lb0EPKS5_PS5_PKlPlN2at6native12_GLOBAL__N_18offset_tEEE10hipError_tPvRmT1_PNSt15iterator_traitsISL_E10value_typeET2_T3_PNSM_ISR_E10value_typeET4_jRbjT5_SX_jjP12ihipStream_tbEUlT_E0_NS1_11comp_targetILNS1_3genE4ELNS1_11target_archE910ELNS1_3gpuE8ELNS1_3repE0EEENS1_60segmented_radix_sort_warp_sort_medium_config_static_selectorELNS0_4arch9wavefront6targetE0EEEvSL_.uses_vcc, 0
	.set _ZN7rocprim17ROCPRIM_400000_NS6detail17trampoline_kernelINS0_14default_configENS1_36segmented_radix_sort_config_selectorI6__halflEEZNS1_25segmented_radix_sort_implIS3_Lb0EPKS5_PS5_PKlPlN2at6native12_GLOBAL__N_18offset_tEEE10hipError_tPvRmT1_PNSt15iterator_traitsISL_E10value_typeET2_T3_PNSM_ISR_E10value_typeET4_jRbjT5_SX_jjP12ihipStream_tbEUlT_E0_NS1_11comp_targetILNS1_3genE4ELNS1_11target_archE910ELNS1_3gpuE8ELNS1_3repE0EEENS1_60segmented_radix_sort_warp_sort_medium_config_static_selectorELNS0_4arch9wavefront6targetE0EEEvSL_.uses_flat_scratch, 0
	.set _ZN7rocprim17ROCPRIM_400000_NS6detail17trampoline_kernelINS0_14default_configENS1_36segmented_radix_sort_config_selectorI6__halflEEZNS1_25segmented_radix_sort_implIS3_Lb0EPKS5_PS5_PKlPlN2at6native12_GLOBAL__N_18offset_tEEE10hipError_tPvRmT1_PNSt15iterator_traitsISL_E10value_typeET2_T3_PNSM_ISR_E10value_typeET4_jRbjT5_SX_jjP12ihipStream_tbEUlT_E0_NS1_11comp_targetILNS1_3genE4ELNS1_11target_archE910ELNS1_3gpuE8ELNS1_3repE0EEENS1_60segmented_radix_sort_warp_sort_medium_config_static_selectorELNS0_4arch9wavefront6targetE0EEEvSL_.has_dyn_sized_stack, 0
	.set _ZN7rocprim17ROCPRIM_400000_NS6detail17trampoline_kernelINS0_14default_configENS1_36segmented_radix_sort_config_selectorI6__halflEEZNS1_25segmented_radix_sort_implIS3_Lb0EPKS5_PS5_PKlPlN2at6native12_GLOBAL__N_18offset_tEEE10hipError_tPvRmT1_PNSt15iterator_traitsISL_E10value_typeET2_T3_PNSM_ISR_E10value_typeET4_jRbjT5_SX_jjP12ihipStream_tbEUlT_E0_NS1_11comp_targetILNS1_3genE4ELNS1_11target_archE910ELNS1_3gpuE8ELNS1_3repE0EEENS1_60segmented_radix_sort_warp_sort_medium_config_static_selectorELNS0_4arch9wavefront6targetE0EEEvSL_.has_recursion, 0
	.set _ZN7rocprim17ROCPRIM_400000_NS6detail17trampoline_kernelINS0_14default_configENS1_36segmented_radix_sort_config_selectorI6__halflEEZNS1_25segmented_radix_sort_implIS3_Lb0EPKS5_PS5_PKlPlN2at6native12_GLOBAL__N_18offset_tEEE10hipError_tPvRmT1_PNSt15iterator_traitsISL_E10value_typeET2_T3_PNSM_ISR_E10value_typeET4_jRbjT5_SX_jjP12ihipStream_tbEUlT_E0_NS1_11comp_targetILNS1_3genE4ELNS1_11target_archE910ELNS1_3gpuE8ELNS1_3repE0EEENS1_60segmented_radix_sort_warp_sort_medium_config_static_selectorELNS0_4arch9wavefront6targetE0EEEvSL_.has_indirect_call, 0
	.section	.AMDGPU.csdata,"",@progbits
; Kernel info:
; codeLenInByte = 0
; TotalNumSgprs: 0
; NumVgprs: 0
; ScratchSize: 0
; MemoryBound: 0
; FloatMode: 240
; IeeeMode: 1
; LDSByteSize: 0 bytes/workgroup (compile time only)
; SGPRBlocks: 0
; VGPRBlocks: 0
; NumSGPRsForWavesPerEU: 1
; NumVGPRsForWavesPerEU: 1
; Occupancy: 16
; WaveLimiterHint : 0
; COMPUTE_PGM_RSRC2:SCRATCH_EN: 0
; COMPUTE_PGM_RSRC2:USER_SGPR: 6
; COMPUTE_PGM_RSRC2:TRAP_HANDLER: 0
; COMPUTE_PGM_RSRC2:TGID_X_EN: 1
; COMPUTE_PGM_RSRC2:TGID_Y_EN: 0
; COMPUTE_PGM_RSRC2:TGID_Z_EN: 0
; COMPUTE_PGM_RSRC2:TIDIG_COMP_CNT: 0
	.section	.text._ZN7rocprim17ROCPRIM_400000_NS6detail17trampoline_kernelINS0_14default_configENS1_36segmented_radix_sort_config_selectorI6__halflEEZNS1_25segmented_radix_sort_implIS3_Lb0EPKS5_PS5_PKlPlN2at6native12_GLOBAL__N_18offset_tEEE10hipError_tPvRmT1_PNSt15iterator_traitsISL_E10value_typeET2_T3_PNSM_ISR_E10value_typeET4_jRbjT5_SX_jjP12ihipStream_tbEUlT_E0_NS1_11comp_targetILNS1_3genE3ELNS1_11target_archE908ELNS1_3gpuE7ELNS1_3repE0EEENS1_60segmented_radix_sort_warp_sort_medium_config_static_selectorELNS0_4arch9wavefront6targetE0EEEvSL_,"axG",@progbits,_ZN7rocprim17ROCPRIM_400000_NS6detail17trampoline_kernelINS0_14default_configENS1_36segmented_radix_sort_config_selectorI6__halflEEZNS1_25segmented_radix_sort_implIS3_Lb0EPKS5_PS5_PKlPlN2at6native12_GLOBAL__N_18offset_tEEE10hipError_tPvRmT1_PNSt15iterator_traitsISL_E10value_typeET2_T3_PNSM_ISR_E10value_typeET4_jRbjT5_SX_jjP12ihipStream_tbEUlT_E0_NS1_11comp_targetILNS1_3genE3ELNS1_11target_archE908ELNS1_3gpuE7ELNS1_3repE0EEENS1_60segmented_radix_sort_warp_sort_medium_config_static_selectorELNS0_4arch9wavefront6targetE0EEEvSL_,comdat
	.globl	_ZN7rocprim17ROCPRIM_400000_NS6detail17trampoline_kernelINS0_14default_configENS1_36segmented_radix_sort_config_selectorI6__halflEEZNS1_25segmented_radix_sort_implIS3_Lb0EPKS5_PS5_PKlPlN2at6native12_GLOBAL__N_18offset_tEEE10hipError_tPvRmT1_PNSt15iterator_traitsISL_E10value_typeET2_T3_PNSM_ISR_E10value_typeET4_jRbjT5_SX_jjP12ihipStream_tbEUlT_E0_NS1_11comp_targetILNS1_3genE3ELNS1_11target_archE908ELNS1_3gpuE7ELNS1_3repE0EEENS1_60segmented_radix_sort_warp_sort_medium_config_static_selectorELNS0_4arch9wavefront6targetE0EEEvSL_ ; -- Begin function _ZN7rocprim17ROCPRIM_400000_NS6detail17trampoline_kernelINS0_14default_configENS1_36segmented_radix_sort_config_selectorI6__halflEEZNS1_25segmented_radix_sort_implIS3_Lb0EPKS5_PS5_PKlPlN2at6native12_GLOBAL__N_18offset_tEEE10hipError_tPvRmT1_PNSt15iterator_traitsISL_E10value_typeET2_T3_PNSM_ISR_E10value_typeET4_jRbjT5_SX_jjP12ihipStream_tbEUlT_E0_NS1_11comp_targetILNS1_3genE3ELNS1_11target_archE908ELNS1_3gpuE7ELNS1_3repE0EEENS1_60segmented_radix_sort_warp_sort_medium_config_static_selectorELNS0_4arch9wavefront6targetE0EEEvSL_
	.p2align	8
	.type	_ZN7rocprim17ROCPRIM_400000_NS6detail17trampoline_kernelINS0_14default_configENS1_36segmented_radix_sort_config_selectorI6__halflEEZNS1_25segmented_radix_sort_implIS3_Lb0EPKS5_PS5_PKlPlN2at6native12_GLOBAL__N_18offset_tEEE10hipError_tPvRmT1_PNSt15iterator_traitsISL_E10value_typeET2_T3_PNSM_ISR_E10value_typeET4_jRbjT5_SX_jjP12ihipStream_tbEUlT_E0_NS1_11comp_targetILNS1_3genE3ELNS1_11target_archE908ELNS1_3gpuE7ELNS1_3repE0EEENS1_60segmented_radix_sort_warp_sort_medium_config_static_selectorELNS0_4arch9wavefront6targetE0EEEvSL_,@function
_ZN7rocprim17ROCPRIM_400000_NS6detail17trampoline_kernelINS0_14default_configENS1_36segmented_radix_sort_config_selectorI6__halflEEZNS1_25segmented_radix_sort_implIS3_Lb0EPKS5_PS5_PKlPlN2at6native12_GLOBAL__N_18offset_tEEE10hipError_tPvRmT1_PNSt15iterator_traitsISL_E10value_typeET2_T3_PNSM_ISR_E10value_typeET4_jRbjT5_SX_jjP12ihipStream_tbEUlT_E0_NS1_11comp_targetILNS1_3genE3ELNS1_11target_archE908ELNS1_3gpuE7ELNS1_3repE0EEENS1_60segmented_radix_sort_warp_sort_medium_config_static_selectorELNS0_4arch9wavefront6targetE0EEEvSL_: ; @_ZN7rocprim17ROCPRIM_400000_NS6detail17trampoline_kernelINS0_14default_configENS1_36segmented_radix_sort_config_selectorI6__halflEEZNS1_25segmented_radix_sort_implIS3_Lb0EPKS5_PS5_PKlPlN2at6native12_GLOBAL__N_18offset_tEEE10hipError_tPvRmT1_PNSt15iterator_traitsISL_E10value_typeET2_T3_PNSM_ISR_E10value_typeET4_jRbjT5_SX_jjP12ihipStream_tbEUlT_E0_NS1_11comp_targetILNS1_3genE3ELNS1_11target_archE908ELNS1_3gpuE7ELNS1_3repE0EEENS1_60segmented_radix_sort_warp_sort_medium_config_static_selectorELNS0_4arch9wavefront6targetE0EEEvSL_
; %bb.0:
	.section	.rodata,"a",@progbits
	.p2align	6, 0x0
	.amdhsa_kernel _ZN7rocprim17ROCPRIM_400000_NS6detail17trampoline_kernelINS0_14default_configENS1_36segmented_radix_sort_config_selectorI6__halflEEZNS1_25segmented_radix_sort_implIS3_Lb0EPKS5_PS5_PKlPlN2at6native12_GLOBAL__N_18offset_tEEE10hipError_tPvRmT1_PNSt15iterator_traitsISL_E10value_typeET2_T3_PNSM_ISR_E10value_typeET4_jRbjT5_SX_jjP12ihipStream_tbEUlT_E0_NS1_11comp_targetILNS1_3genE3ELNS1_11target_archE908ELNS1_3gpuE7ELNS1_3repE0EEENS1_60segmented_radix_sort_warp_sort_medium_config_static_selectorELNS0_4arch9wavefront6targetE0EEEvSL_
		.amdhsa_group_segment_fixed_size 0
		.amdhsa_private_segment_fixed_size 0
		.amdhsa_kernarg_size 88
		.amdhsa_user_sgpr_count 6
		.amdhsa_user_sgpr_private_segment_buffer 1
		.amdhsa_user_sgpr_dispatch_ptr 0
		.amdhsa_user_sgpr_queue_ptr 0
		.amdhsa_user_sgpr_kernarg_segment_ptr 1
		.amdhsa_user_sgpr_dispatch_id 0
		.amdhsa_user_sgpr_flat_scratch_init 0
		.amdhsa_user_sgpr_private_segment_size 0
		.amdhsa_wavefront_size32 1
		.amdhsa_uses_dynamic_stack 0
		.amdhsa_system_sgpr_private_segment_wavefront_offset 0
		.amdhsa_system_sgpr_workgroup_id_x 1
		.amdhsa_system_sgpr_workgroup_id_y 0
		.amdhsa_system_sgpr_workgroup_id_z 0
		.amdhsa_system_sgpr_workgroup_info 0
		.amdhsa_system_vgpr_workitem_id 0
		.amdhsa_next_free_vgpr 1
		.amdhsa_next_free_sgpr 1
		.amdhsa_reserve_vcc 0
		.amdhsa_reserve_flat_scratch 0
		.amdhsa_float_round_mode_32 0
		.amdhsa_float_round_mode_16_64 0
		.amdhsa_float_denorm_mode_32 3
		.amdhsa_float_denorm_mode_16_64 3
		.amdhsa_dx10_clamp 1
		.amdhsa_ieee_mode 1
		.amdhsa_fp16_overflow 0
		.amdhsa_workgroup_processor_mode 1
		.amdhsa_memory_ordered 1
		.amdhsa_forward_progress 1
		.amdhsa_shared_vgpr_count 0
		.amdhsa_exception_fp_ieee_invalid_op 0
		.amdhsa_exception_fp_denorm_src 0
		.amdhsa_exception_fp_ieee_div_zero 0
		.amdhsa_exception_fp_ieee_overflow 0
		.amdhsa_exception_fp_ieee_underflow 0
		.amdhsa_exception_fp_ieee_inexact 0
		.amdhsa_exception_int_div_zero 0
	.end_amdhsa_kernel
	.section	.text._ZN7rocprim17ROCPRIM_400000_NS6detail17trampoline_kernelINS0_14default_configENS1_36segmented_radix_sort_config_selectorI6__halflEEZNS1_25segmented_radix_sort_implIS3_Lb0EPKS5_PS5_PKlPlN2at6native12_GLOBAL__N_18offset_tEEE10hipError_tPvRmT1_PNSt15iterator_traitsISL_E10value_typeET2_T3_PNSM_ISR_E10value_typeET4_jRbjT5_SX_jjP12ihipStream_tbEUlT_E0_NS1_11comp_targetILNS1_3genE3ELNS1_11target_archE908ELNS1_3gpuE7ELNS1_3repE0EEENS1_60segmented_radix_sort_warp_sort_medium_config_static_selectorELNS0_4arch9wavefront6targetE0EEEvSL_,"axG",@progbits,_ZN7rocprim17ROCPRIM_400000_NS6detail17trampoline_kernelINS0_14default_configENS1_36segmented_radix_sort_config_selectorI6__halflEEZNS1_25segmented_radix_sort_implIS3_Lb0EPKS5_PS5_PKlPlN2at6native12_GLOBAL__N_18offset_tEEE10hipError_tPvRmT1_PNSt15iterator_traitsISL_E10value_typeET2_T3_PNSM_ISR_E10value_typeET4_jRbjT5_SX_jjP12ihipStream_tbEUlT_E0_NS1_11comp_targetILNS1_3genE3ELNS1_11target_archE908ELNS1_3gpuE7ELNS1_3repE0EEENS1_60segmented_radix_sort_warp_sort_medium_config_static_selectorELNS0_4arch9wavefront6targetE0EEEvSL_,comdat
.Lfunc_end1845:
	.size	_ZN7rocprim17ROCPRIM_400000_NS6detail17trampoline_kernelINS0_14default_configENS1_36segmented_radix_sort_config_selectorI6__halflEEZNS1_25segmented_radix_sort_implIS3_Lb0EPKS5_PS5_PKlPlN2at6native12_GLOBAL__N_18offset_tEEE10hipError_tPvRmT1_PNSt15iterator_traitsISL_E10value_typeET2_T3_PNSM_ISR_E10value_typeET4_jRbjT5_SX_jjP12ihipStream_tbEUlT_E0_NS1_11comp_targetILNS1_3genE3ELNS1_11target_archE908ELNS1_3gpuE7ELNS1_3repE0EEENS1_60segmented_radix_sort_warp_sort_medium_config_static_selectorELNS0_4arch9wavefront6targetE0EEEvSL_, .Lfunc_end1845-_ZN7rocprim17ROCPRIM_400000_NS6detail17trampoline_kernelINS0_14default_configENS1_36segmented_radix_sort_config_selectorI6__halflEEZNS1_25segmented_radix_sort_implIS3_Lb0EPKS5_PS5_PKlPlN2at6native12_GLOBAL__N_18offset_tEEE10hipError_tPvRmT1_PNSt15iterator_traitsISL_E10value_typeET2_T3_PNSM_ISR_E10value_typeET4_jRbjT5_SX_jjP12ihipStream_tbEUlT_E0_NS1_11comp_targetILNS1_3genE3ELNS1_11target_archE908ELNS1_3gpuE7ELNS1_3repE0EEENS1_60segmented_radix_sort_warp_sort_medium_config_static_selectorELNS0_4arch9wavefront6targetE0EEEvSL_
                                        ; -- End function
	.set _ZN7rocprim17ROCPRIM_400000_NS6detail17trampoline_kernelINS0_14default_configENS1_36segmented_radix_sort_config_selectorI6__halflEEZNS1_25segmented_radix_sort_implIS3_Lb0EPKS5_PS5_PKlPlN2at6native12_GLOBAL__N_18offset_tEEE10hipError_tPvRmT1_PNSt15iterator_traitsISL_E10value_typeET2_T3_PNSM_ISR_E10value_typeET4_jRbjT5_SX_jjP12ihipStream_tbEUlT_E0_NS1_11comp_targetILNS1_3genE3ELNS1_11target_archE908ELNS1_3gpuE7ELNS1_3repE0EEENS1_60segmented_radix_sort_warp_sort_medium_config_static_selectorELNS0_4arch9wavefront6targetE0EEEvSL_.num_vgpr, 0
	.set _ZN7rocprim17ROCPRIM_400000_NS6detail17trampoline_kernelINS0_14default_configENS1_36segmented_radix_sort_config_selectorI6__halflEEZNS1_25segmented_radix_sort_implIS3_Lb0EPKS5_PS5_PKlPlN2at6native12_GLOBAL__N_18offset_tEEE10hipError_tPvRmT1_PNSt15iterator_traitsISL_E10value_typeET2_T3_PNSM_ISR_E10value_typeET4_jRbjT5_SX_jjP12ihipStream_tbEUlT_E0_NS1_11comp_targetILNS1_3genE3ELNS1_11target_archE908ELNS1_3gpuE7ELNS1_3repE0EEENS1_60segmented_radix_sort_warp_sort_medium_config_static_selectorELNS0_4arch9wavefront6targetE0EEEvSL_.num_agpr, 0
	.set _ZN7rocprim17ROCPRIM_400000_NS6detail17trampoline_kernelINS0_14default_configENS1_36segmented_radix_sort_config_selectorI6__halflEEZNS1_25segmented_radix_sort_implIS3_Lb0EPKS5_PS5_PKlPlN2at6native12_GLOBAL__N_18offset_tEEE10hipError_tPvRmT1_PNSt15iterator_traitsISL_E10value_typeET2_T3_PNSM_ISR_E10value_typeET4_jRbjT5_SX_jjP12ihipStream_tbEUlT_E0_NS1_11comp_targetILNS1_3genE3ELNS1_11target_archE908ELNS1_3gpuE7ELNS1_3repE0EEENS1_60segmented_radix_sort_warp_sort_medium_config_static_selectorELNS0_4arch9wavefront6targetE0EEEvSL_.numbered_sgpr, 0
	.set _ZN7rocprim17ROCPRIM_400000_NS6detail17trampoline_kernelINS0_14default_configENS1_36segmented_radix_sort_config_selectorI6__halflEEZNS1_25segmented_radix_sort_implIS3_Lb0EPKS5_PS5_PKlPlN2at6native12_GLOBAL__N_18offset_tEEE10hipError_tPvRmT1_PNSt15iterator_traitsISL_E10value_typeET2_T3_PNSM_ISR_E10value_typeET4_jRbjT5_SX_jjP12ihipStream_tbEUlT_E0_NS1_11comp_targetILNS1_3genE3ELNS1_11target_archE908ELNS1_3gpuE7ELNS1_3repE0EEENS1_60segmented_radix_sort_warp_sort_medium_config_static_selectorELNS0_4arch9wavefront6targetE0EEEvSL_.num_named_barrier, 0
	.set _ZN7rocprim17ROCPRIM_400000_NS6detail17trampoline_kernelINS0_14default_configENS1_36segmented_radix_sort_config_selectorI6__halflEEZNS1_25segmented_radix_sort_implIS3_Lb0EPKS5_PS5_PKlPlN2at6native12_GLOBAL__N_18offset_tEEE10hipError_tPvRmT1_PNSt15iterator_traitsISL_E10value_typeET2_T3_PNSM_ISR_E10value_typeET4_jRbjT5_SX_jjP12ihipStream_tbEUlT_E0_NS1_11comp_targetILNS1_3genE3ELNS1_11target_archE908ELNS1_3gpuE7ELNS1_3repE0EEENS1_60segmented_radix_sort_warp_sort_medium_config_static_selectorELNS0_4arch9wavefront6targetE0EEEvSL_.private_seg_size, 0
	.set _ZN7rocprim17ROCPRIM_400000_NS6detail17trampoline_kernelINS0_14default_configENS1_36segmented_radix_sort_config_selectorI6__halflEEZNS1_25segmented_radix_sort_implIS3_Lb0EPKS5_PS5_PKlPlN2at6native12_GLOBAL__N_18offset_tEEE10hipError_tPvRmT1_PNSt15iterator_traitsISL_E10value_typeET2_T3_PNSM_ISR_E10value_typeET4_jRbjT5_SX_jjP12ihipStream_tbEUlT_E0_NS1_11comp_targetILNS1_3genE3ELNS1_11target_archE908ELNS1_3gpuE7ELNS1_3repE0EEENS1_60segmented_radix_sort_warp_sort_medium_config_static_selectorELNS0_4arch9wavefront6targetE0EEEvSL_.uses_vcc, 0
	.set _ZN7rocprim17ROCPRIM_400000_NS6detail17trampoline_kernelINS0_14default_configENS1_36segmented_radix_sort_config_selectorI6__halflEEZNS1_25segmented_radix_sort_implIS3_Lb0EPKS5_PS5_PKlPlN2at6native12_GLOBAL__N_18offset_tEEE10hipError_tPvRmT1_PNSt15iterator_traitsISL_E10value_typeET2_T3_PNSM_ISR_E10value_typeET4_jRbjT5_SX_jjP12ihipStream_tbEUlT_E0_NS1_11comp_targetILNS1_3genE3ELNS1_11target_archE908ELNS1_3gpuE7ELNS1_3repE0EEENS1_60segmented_radix_sort_warp_sort_medium_config_static_selectorELNS0_4arch9wavefront6targetE0EEEvSL_.uses_flat_scratch, 0
	.set _ZN7rocprim17ROCPRIM_400000_NS6detail17trampoline_kernelINS0_14default_configENS1_36segmented_radix_sort_config_selectorI6__halflEEZNS1_25segmented_radix_sort_implIS3_Lb0EPKS5_PS5_PKlPlN2at6native12_GLOBAL__N_18offset_tEEE10hipError_tPvRmT1_PNSt15iterator_traitsISL_E10value_typeET2_T3_PNSM_ISR_E10value_typeET4_jRbjT5_SX_jjP12ihipStream_tbEUlT_E0_NS1_11comp_targetILNS1_3genE3ELNS1_11target_archE908ELNS1_3gpuE7ELNS1_3repE0EEENS1_60segmented_radix_sort_warp_sort_medium_config_static_selectorELNS0_4arch9wavefront6targetE0EEEvSL_.has_dyn_sized_stack, 0
	.set _ZN7rocprim17ROCPRIM_400000_NS6detail17trampoline_kernelINS0_14default_configENS1_36segmented_radix_sort_config_selectorI6__halflEEZNS1_25segmented_radix_sort_implIS3_Lb0EPKS5_PS5_PKlPlN2at6native12_GLOBAL__N_18offset_tEEE10hipError_tPvRmT1_PNSt15iterator_traitsISL_E10value_typeET2_T3_PNSM_ISR_E10value_typeET4_jRbjT5_SX_jjP12ihipStream_tbEUlT_E0_NS1_11comp_targetILNS1_3genE3ELNS1_11target_archE908ELNS1_3gpuE7ELNS1_3repE0EEENS1_60segmented_radix_sort_warp_sort_medium_config_static_selectorELNS0_4arch9wavefront6targetE0EEEvSL_.has_recursion, 0
	.set _ZN7rocprim17ROCPRIM_400000_NS6detail17trampoline_kernelINS0_14default_configENS1_36segmented_radix_sort_config_selectorI6__halflEEZNS1_25segmented_radix_sort_implIS3_Lb0EPKS5_PS5_PKlPlN2at6native12_GLOBAL__N_18offset_tEEE10hipError_tPvRmT1_PNSt15iterator_traitsISL_E10value_typeET2_T3_PNSM_ISR_E10value_typeET4_jRbjT5_SX_jjP12ihipStream_tbEUlT_E0_NS1_11comp_targetILNS1_3genE3ELNS1_11target_archE908ELNS1_3gpuE7ELNS1_3repE0EEENS1_60segmented_radix_sort_warp_sort_medium_config_static_selectorELNS0_4arch9wavefront6targetE0EEEvSL_.has_indirect_call, 0
	.section	.AMDGPU.csdata,"",@progbits
; Kernel info:
; codeLenInByte = 0
; TotalNumSgprs: 0
; NumVgprs: 0
; ScratchSize: 0
; MemoryBound: 0
; FloatMode: 240
; IeeeMode: 1
; LDSByteSize: 0 bytes/workgroup (compile time only)
; SGPRBlocks: 0
; VGPRBlocks: 0
; NumSGPRsForWavesPerEU: 1
; NumVGPRsForWavesPerEU: 1
; Occupancy: 16
; WaveLimiterHint : 0
; COMPUTE_PGM_RSRC2:SCRATCH_EN: 0
; COMPUTE_PGM_RSRC2:USER_SGPR: 6
; COMPUTE_PGM_RSRC2:TRAP_HANDLER: 0
; COMPUTE_PGM_RSRC2:TGID_X_EN: 1
; COMPUTE_PGM_RSRC2:TGID_Y_EN: 0
; COMPUTE_PGM_RSRC2:TGID_Z_EN: 0
; COMPUTE_PGM_RSRC2:TIDIG_COMP_CNT: 0
	.section	.text._ZN7rocprim17ROCPRIM_400000_NS6detail17trampoline_kernelINS0_14default_configENS1_36segmented_radix_sort_config_selectorI6__halflEEZNS1_25segmented_radix_sort_implIS3_Lb0EPKS5_PS5_PKlPlN2at6native12_GLOBAL__N_18offset_tEEE10hipError_tPvRmT1_PNSt15iterator_traitsISL_E10value_typeET2_T3_PNSM_ISR_E10value_typeET4_jRbjT5_SX_jjP12ihipStream_tbEUlT_E0_NS1_11comp_targetILNS1_3genE2ELNS1_11target_archE906ELNS1_3gpuE6ELNS1_3repE0EEENS1_60segmented_radix_sort_warp_sort_medium_config_static_selectorELNS0_4arch9wavefront6targetE0EEEvSL_,"axG",@progbits,_ZN7rocprim17ROCPRIM_400000_NS6detail17trampoline_kernelINS0_14default_configENS1_36segmented_radix_sort_config_selectorI6__halflEEZNS1_25segmented_radix_sort_implIS3_Lb0EPKS5_PS5_PKlPlN2at6native12_GLOBAL__N_18offset_tEEE10hipError_tPvRmT1_PNSt15iterator_traitsISL_E10value_typeET2_T3_PNSM_ISR_E10value_typeET4_jRbjT5_SX_jjP12ihipStream_tbEUlT_E0_NS1_11comp_targetILNS1_3genE2ELNS1_11target_archE906ELNS1_3gpuE6ELNS1_3repE0EEENS1_60segmented_radix_sort_warp_sort_medium_config_static_selectorELNS0_4arch9wavefront6targetE0EEEvSL_,comdat
	.globl	_ZN7rocprim17ROCPRIM_400000_NS6detail17trampoline_kernelINS0_14default_configENS1_36segmented_radix_sort_config_selectorI6__halflEEZNS1_25segmented_radix_sort_implIS3_Lb0EPKS5_PS5_PKlPlN2at6native12_GLOBAL__N_18offset_tEEE10hipError_tPvRmT1_PNSt15iterator_traitsISL_E10value_typeET2_T3_PNSM_ISR_E10value_typeET4_jRbjT5_SX_jjP12ihipStream_tbEUlT_E0_NS1_11comp_targetILNS1_3genE2ELNS1_11target_archE906ELNS1_3gpuE6ELNS1_3repE0EEENS1_60segmented_radix_sort_warp_sort_medium_config_static_selectorELNS0_4arch9wavefront6targetE0EEEvSL_ ; -- Begin function _ZN7rocprim17ROCPRIM_400000_NS6detail17trampoline_kernelINS0_14default_configENS1_36segmented_radix_sort_config_selectorI6__halflEEZNS1_25segmented_radix_sort_implIS3_Lb0EPKS5_PS5_PKlPlN2at6native12_GLOBAL__N_18offset_tEEE10hipError_tPvRmT1_PNSt15iterator_traitsISL_E10value_typeET2_T3_PNSM_ISR_E10value_typeET4_jRbjT5_SX_jjP12ihipStream_tbEUlT_E0_NS1_11comp_targetILNS1_3genE2ELNS1_11target_archE906ELNS1_3gpuE6ELNS1_3repE0EEENS1_60segmented_radix_sort_warp_sort_medium_config_static_selectorELNS0_4arch9wavefront6targetE0EEEvSL_
	.p2align	8
	.type	_ZN7rocprim17ROCPRIM_400000_NS6detail17trampoline_kernelINS0_14default_configENS1_36segmented_radix_sort_config_selectorI6__halflEEZNS1_25segmented_radix_sort_implIS3_Lb0EPKS5_PS5_PKlPlN2at6native12_GLOBAL__N_18offset_tEEE10hipError_tPvRmT1_PNSt15iterator_traitsISL_E10value_typeET2_T3_PNSM_ISR_E10value_typeET4_jRbjT5_SX_jjP12ihipStream_tbEUlT_E0_NS1_11comp_targetILNS1_3genE2ELNS1_11target_archE906ELNS1_3gpuE6ELNS1_3repE0EEENS1_60segmented_radix_sort_warp_sort_medium_config_static_selectorELNS0_4arch9wavefront6targetE0EEEvSL_,@function
_ZN7rocprim17ROCPRIM_400000_NS6detail17trampoline_kernelINS0_14default_configENS1_36segmented_radix_sort_config_selectorI6__halflEEZNS1_25segmented_radix_sort_implIS3_Lb0EPKS5_PS5_PKlPlN2at6native12_GLOBAL__N_18offset_tEEE10hipError_tPvRmT1_PNSt15iterator_traitsISL_E10value_typeET2_T3_PNSM_ISR_E10value_typeET4_jRbjT5_SX_jjP12ihipStream_tbEUlT_E0_NS1_11comp_targetILNS1_3genE2ELNS1_11target_archE906ELNS1_3gpuE6ELNS1_3repE0EEENS1_60segmented_radix_sort_warp_sort_medium_config_static_selectorELNS0_4arch9wavefront6targetE0EEEvSL_: ; @_ZN7rocprim17ROCPRIM_400000_NS6detail17trampoline_kernelINS0_14default_configENS1_36segmented_radix_sort_config_selectorI6__halflEEZNS1_25segmented_radix_sort_implIS3_Lb0EPKS5_PS5_PKlPlN2at6native12_GLOBAL__N_18offset_tEEE10hipError_tPvRmT1_PNSt15iterator_traitsISL_E10value_typeET2_T3_PNSM_ISR_E10value_typeET4_jRbjT5_SX_jjP12ihipStream_tbEUlT_E0_NS1_11comp_targetILNS1_3genE2ELNS1_11target_archE906ELNS1_3gpuE6ELNS1_3repE0EEENS1_60segmented_radix_sort_warp_sort_medium_config_static_selectorELNS0_4arch9wavefront6targetE0EEEvSL_
; %bb.0:
	.section	.rodata,"a",@progbits
	.p2align	6, 0x0
	.amdhsa_kernel _ZN7rocprim17ROCPRIM_400000_NS6detail17trampoline_kernelINS0_14default_configENS1_36segmented_radix_sort_config_selectorI6__halflEEZNS1_25segmented_radix_sort_implIS3_Lb0EPKS5_PS5_PKlPlN2at6native12_GLOBAL__N_18offset_tEEE10hipError_tPvRmT1_PNSt15iterator_traitsISL_E10value_typeET2_T3_PNSM_ISR_E10value_typeET4_jRbjT5_SX_jjP12ihipStream_tbEUlT_E0_NS1_11comp_targetILNS1_3genE2ELNS1_11target_archE906ELNS1_3gpuE6ELNS1_3repE0EEENS1_60segmented_radix_sort_warp_sort_medium_config_static_selectorELNS0_4arch9wavefront6targetE0EEEvSL_
		.amdhsa_group_segment_fixed_size 0
		.amdhsa_private_segment_fixed_size 0
		.amdhsa_kernarg_size 88
		.amdhsa_user_sgpr_count 6
		.amdhsa_user_sgpr_private_segment_buffer 1
		.amdhsa_user_sgpr_dispatch_ptr 0
		.amdhsa_user_sgpr_queue_ptr 0
		.amdhsa_user_sgpr_kernarg_segment_ptr 1
		.amdhsa_user_sgpr_dispatch_id 0
		.amdhsa_user_sgpr_flat_scratch_init 0
		.amdhsa_user_sgpr_private_segment_size 0
		.amdhsa_wavefront_size32 1
		.amdhsa_uses_dynamic_stack 0
		.amdhsa_system_sgpr_private_segment_wavefront_offset 0
		.amdhsa_system_sgpr_workgroup_id_x 1
		.amdhsa_system_sgpr_workgroup_id_y 0
		.amdhsa_system_sgpr_workgroup_id_z 0
		.amdhsa_system_sgpr_workgroup_info 0
		.amdhsa_system_vgpr_workitem_id 0
		.amdhsa_next_free_vgpr 1
		.amdhsa_next_free_sgpr 1
		.amdhsa_reserve_vcc 0
		.amdhsa_reserve_flat_scratch 0
		.amdhsa_float_round_mode_32 0
		.amdhsa_float_round_mode_16_64 0
		.amdhsa_float_denorm_mode_32 3
		.amdhsa_float_denorm_mode_16_64 3
		.amdhsa_dx10_clamp 1
		.amdhsa_ieee_mode 1
		.amdhsa_fp16_overflow 0
		.amdhsa_workgroup_processor_mode 1
		.amdhsa_memory_ordered 1
		.amdhsa_forward_progress 1
		.amdhsa_shared_vgpr_count 0
		.amdhsa_exception_fp_ieee_invalid_op 0
		.amdhsa_exception_fp_denorm_src 0
		.amdhsa_exception_fp_ieee_div_zero 0
		.amdhsa_exception_fp_ieee_overflow 0
		.amdhsa_exception_fp_ieee_underflow 0
		.amdhsa_exception_fp_ieee_inexact 0
		.amdhsa_exception_int_div_zero 0
	.end_amdhsa_kernel
	.section	.text._ZN7rocprim17ROCPRIM_400000_NS6detail17trampoline_kernelINS0_14default_configENS1_36segmented_radix_sort_config_selectorI6__halflEEZNS1_25segmented_radix_sort_implIS3_Lb0EPKS5_PS5_PKlPlN2at6native12_GLOBAL__N_18offset_tEEE10hipError_tPvRmT1_PNSt15iterator_traitsISL_E10value_typeET2_T3_PNSM_ISR_E10value_typeET4_jRbjT5_SX_jjP12ihipStream_tbEUlT_E0_NS1_11comp_targetILNS1_3genE2ELNS1_11target_archE906ELNS1_3gpuE6ELNS1_3repE0EEENS1_60segmented_radix_sort_warp_sort_medium_config_static_selectorELNS0_4arch9wavefront6targetE0EEEvSL_,"axG",@progbits,_ZN7rocprim17ROCPRIM_400000_NS6detail17trampoline_kernelINS0_14default_configENS1_36segmented_radix_sort_config_selectorI6__halflEEZNS1_25segmented_radix_sort_implIS3_Lb0EPKS5_PS5_PKlPlN2at6native12_GLOBAL__N_18offset_tEEE10hipError_tPvRmT1_PNSt15iterator_traitsISL_E10value_typeET2_T3_PNSM_ISR_E10value_typeET4_jRbjT5_SX_jjP12ihipStream_tbEUlT_E0_NS1_11comp_targetILNS1_3genE2ELNS1_11target_archE906ELNS1_3gpuE6ELNS1_3repE0EEENS1_60segmented_radix_sort_warp_sort_medium_config_static_selectorELNS0_4arch9wavefront6targetE0EEEvSL_,comdat
.Lfunc_end1846:
	.size	_ZN7rocprim17ROCPRIM_400000_NS6detail17trampoline_kernelINS0_14default_configENS1_36segmented_radix_sort_config_selectorI6__halflEEZNS1_25segmented_radix_sort_implIS3_Lb0EPKS5_PS5_PKlPlN2at6native12_GLOBAL__N_18offset_tEEE10hipError_tPvRmT1_PNSt15iterator_traitsISL_E10value_typeET2_T3_PNSM_ISR_E10value_typeET4_jRbjT5_SX_jjP12ihipStream_tbEUlT_E0_NS1_11comp_targetILNS1_3genE2ELNS1_11target_archE906ELNS1_3gpuE6ELNS1_3repE0EEENS1_60segmented_radix_sort_warp_sort_medium_config_static_selectorELNS0_4arch9wavefront6targetE0EEEvSL_, .Lfunc_end1846-_ZN7rocprim17ROCPRIM_400000_NS6detail17trampoline_kernelINS0_14default_configENS1_36segmented_radix_sort_config_selectorI6__halflEEZNS1_25segmented_radix_sort_implIS3_Lb0EPKS5_PS5_PKlPlN2at6native12_GLOBAL__N_18offset_tEEE10hipError_tPvRmT1_PNSt15iterator_traitsISL_E10value_typeET2_T3_PNSM_ISR_E10value_typeET4_jRbjT5_SX_jjP12ihipStream_tbEUlT_E0_NS1_11comp_targetILNS1_3genE2ELNS1_11target_archE906ELNS1_3gpuE6ELNS1_3repE0EEENS1_60segmented_radix_sort_warp_sort_medium_config_static_selectorELNS0_4arch9wavefront6targetE0EEEvSL_
                                        ; -- End function
	.set _ZN7rocprim17ROCPRIM_400000_NS6detail17trampoline_kernelINS0_14default_configENS1_36segmented_radix_sort_config_selectorI6__halflEEZNS1_25segmented_radix_sort_implIS3_Lb0EPKS5_PS5_PKlPlN2at6native12_GLOBAL__N_18offset_tEEE10hipError_tPvRmT1_PNSt15iterator_traitsISL_E10value_typeET2_T3_PNSM_ISR_E10value_typeET4_jRbjT5_SX_jjP12ihipStream_tbEUlT_E0_NS1_11comp_targetILNS1_3genE2ELNS1_11target_archE906ELNS1_3gpuE6ELNS1_3repE0EEENS1_60segmented_radix_sort_warp_sort_medium_config_static_selectorELNS0_4arch9wavefront6targetE0EEEvSL_.num_vgpr, 0
	.set _ZN7rocprim17ROCPRIM_400000_NS6detail17trampoline_kernelINS0_14default_configENS1_36segmented_radix_sort_config_selectorI6__halflEEZNS1_25segmented_radix_sort_implIS3_Lb0EPKS5_PS5_PKlPlN2at6native12_GLOBAL__N_18offset_tEEE10hipError_tPvRmT1_PNSt15iterator_traitsISL_E10value_typeET2_T3_PNSM_ISR_E10value_typeET4_jRbjT5_SX_jjP12ihipStream_tbEUlT_E0_NS1_11comp_targetILNS1_3genE2ELNS1_11target_archE906ELNS1_3gpuE6ELNS1_3repE0EEENS1_60segmented_radix_sort_warp_sort_medium_config_static_selectorELNS0_4arch9wavefront6targetE0EEEvSL_.num_agpr, 0
	.set _ZN7rocprim17ROCPRIM_400000_NS6detail17trampoline_kernelINS0_14default_configENS1_36segmented_radix_sort_config_selectorI6__halflEEZNS1_25segmented_radix_sort_implIS3_Lb0EPKS5_PS5_PKlPlN2at6native12_GLOBAL__N_18offset_tEEE10hipError_tPvRmT1_PNSt15iterator_traitsISL_E10value_typeET2_T3_PNSM_ISR_E10value_typeET4_jRbjT5_SX_jjP12ihipStream_tbEUlT_E0_NS1_11comp_targetILNS1_3genE2ELNS1_11target_archE906ELNS1_3gpuE6ELNS1_3repE0EEENS1_60segmented_radix_sort_warp_sort_medium_config_static_selectorELNS0_4arch9wavefront6targetE0EEEvSL_.numbered_sgpr, 0
	.set _ZN7rocprim17ROCPRIM_400000_NS6detail17trampoline_kernelINS0_14default_configENS1_36segmented_radix_sort_config_selectorI6__halflEEZNS1_25segmented_radix_sort_implIS3_Lb0EPKS5_PS5_PKlPlN2at6native12_GLOBAL__N_18offset_tEEE10hipError_tPvRmT1_PNSt15iterator_traitsISL_E10value_typeET2_T3_PNSM_ISR_E10value_typeET4_jRbjT5_SX_jjP12ihipStream_tbEUlT_E0_NS1_11comp_targetILNS1_3genE2ELNS1_11target_archE906ELNS1_3gpuE6ELNS1_3repE0EEENS1_60segmented_radix_sort_warp_sort_medium_config_static_selectorELNS0_4arch9wavefront6targetE0EEEvSL_.num_named_barrier, 0
	.set _ZN7rocprim17ROCPRIM_400000_NS6detail17trampoline_kernelINS0_14default_configENS1_36segmented_radix_sort_config_selectorI6__halflEEZNS1_25segmented_radix_sort_implIS3_Lb0EPKS5_PS5_PKlPlN2at6native12_GLOBAL__N_18offset_tEEE10hipError_tPvRmT1_PNSt15iterator_traitsISL_E10value_typeET2_T3_PNSM_ISR_E10value_typeET4_jRbjT5_SX_jjP12ihipStream_tbEUlT_E0_NS1_11comp_targetILNS1_3genE2ELNS1_11target_archE906ELNS1_3gpuE6ELNS1_3repE0EEENS1_60segmented_radix_sort_warp_sort_medium_config_static_selectorELNS0_4arch9wavefront6targetE0EEEvSL_.private_seg_size, 0
	.set _ZN7rocprim17ROCPRIM_400000_NS6detail17trampoline_kernelINS0_14default_configENS1_36segmented_radix_sort_config_selectorI6__halflEEZNS1_25segmented_radix_sort_implIS3_Lb0EPKS5_PS5_PKlPlN2at6native12_GLOBAL__N_18offset_tEEE10hipError_tPvRmT1_PNSt15iterator_traitsISL_E10value_typeET2_T3_PNSM_ISR_E10value_typeET4_jRbjT5_SX_jjP12ihipStream_tbEUlT_E0_NS1_11comp_targetILNS1_3genE2ELNS1_11target_archE906ELNS1_3gpuE6ELNS1_3repE0EEENS1_60segmented_radix_sort_warp_sort_medium_config_static_selectorELNS0_4arch9wavefront6targetE0EEEvSL_.uses_vcc, 0
	.set _ZN7rocprim17ROCPRIM_400000_NS6detail17trampoline_kernelINS0_14default_configENS1_36segmented_radix_sort_config_selectorI6__halflEEZNS1_25segmented_radix_sort_implIS3_Lb0EPKS5_PS5_PKlPlN2at6native12_GLOBAL__N_18offset_tEEE10hipError_tPvRmT1_PNSt15iterator_traitsISL_E10value_typeET2_T3_PNSM_ISR_E10value_typeET4_jRbjT5_SX_jjP12ihipStream_tbEUlT_E0_NS1_11comp_targetILNS1_3genE2ELNS1_11target_archE906ELNS1_3gpuE6ELNS1_3repE0EEENS1_60segmented_radix_sort_warp_sort_medium_config_static_selectorELNS0_4arch9wavefront6targetE0EEEvSL_.uses_flat_scratch, 0
	.set _ZN7rocprim17ROCPRIM_400000_NS6detail17trampoline_kernelINS0_14default_configENS1_36segmented_radix_sort_config_selectorI6__halflEEZNS1_25segmented_radix_sort_implIS3_Lb0EPKS5_PS5_PKlPlN2at6native12_GLOBAL__N_18offset_tEEE10hipError_tPvRmT1_PNSt15iterator_traitsISL_E10value_typeET2_T3_PNSM_ISR_E10value_typeET4_jRbjT5_SX_jjP12ihipStream_tbEUlT_E0_NS1_11comp_targetILNS1_3genE2ELNS1_11target_archE906ELNS1_3gpuE6ELNS1_3repE0EEENS1_60segmented_radix_sort_warp_sort_medium_config_static_selectorELNS0_4arch9wavefront6targetE0EEEvSL_.has_dyn_sized_stack, 0
	.set _ZN7rocprim17ROCPRIM_400000_NS6detail17trampoline_kernelINS0_14default_configENS1_36segmented_radix_sort_config_selectorI6__halflEEZNS1_25segmented_radix_sort_implIS3_Lb0EPKS5_PS5_PKlPlN2at6native12_GLOBAL__N_18offset_tEEE10hipError_tPvRmT1_PNSt15iterator_traitsISL_E10value_typeET2_T3_PNSM_ISR_E10value_typeET4_jRbjT5_SX_jjP12ihipStream_tbEUlT_E0_NS1_11comp_targetILNS1_3genE2ELNS1_11target_archE906ELNS1_3gpuE6ELNS1_3repE0EEENS1_60segmented_radix_sort_warp_sort_medium_config_static_selectorELNS0_4arch9wavefront6targetE0EEEvSL_.has_recursion, 0
	.set _ZN7rocprim17ROCPRIM_400000_NS6detail17trampoline_kernelINS0_14default_configENS1_36segmented_radix_sort_config_selectorI6__halflEEZNS1_25segmented_radix_sort_implIS3_Lb0EPKS5_PS5_PKlPlN2at6native12_GLOBAL__N_18offset_tEEE10hipError_tPvRmT1_PNSt15iterator_traitsISL_E10value_typeET2_T3_PNSM_ISR_E10value_typeET4_jRbjT5_SX_jjP12ihipStream_tbEUlT_E0_NS1_11comp_targetILNS1_3genE2ELNS1_11target_archE906ELNS1_3gpuE6ELNS1_3repE0EEENS1_60segmented_radix_sort_warp_sort_medium_config_static_selectorELNS0_4arch9wavefront6targetE0EEEvSL_.has_indirect_call, 0
	.section	.AMDGPU.csdata,"",@progbits
; Kernel info:
; codeLenInByte = 0
; TotalNumSgprs: 0
; NumVgprs: 0
; ScratchSize: 0
; MemoryBound: 0
; FloatMode: 240
; IeeeMode: 1
; LDSByteSize: 0 bytes/workgroup (compile time only)
; SGPRBlocks: 0
; VGPRBlocks: 0
; NumSGPRsForWavesPerEU: 1
; NumVGPRsForWavesPerEU: 1
; Occupancy: 16
; WaveLimiterHint : 0
; COMPUTE_PGM_RSRC2:SCRATCH_EN: 0
; COMPUTE_PGM_RSRC2:USER_SGPR: 6
; COMPUTE_PGM_RSRC2:TRAP_HANDLER: 0
; COMPUTE_PGM_RSRC2:TGID_X_EN: 1
; COMPUTE_PGM_RSRC2:TGID_Y_EN: 0
; COMPUTE_PGM_RSRC2:TGID_Z_EN: 0
; COMPUTE_PGM_RSRC2:TIDIG_COMP_CNT: 0
	.section	.text._ZN7rocprim17ROCPRIM_400000_NS6detail17trampoline_kernelINS0_14default_configENS1_36segmented_radix_sort_config_selectorI6__halflEEZNS1_25segmented_radix_sort_implIS3_Lb0EPKS5_PS5_PKlPlN2at6native12_GLOBAL__N_18offset_tEEE10hipError_tPvRmT1_PNSt15iterator_traitsISL_E10value_typeET2_T3_PNSM_ISR_E10value_typeET4_jRbjT5_SX_jjP12ihipStream_tbEUlT_E0_NS1_11comp_targetILNS1_3genE10ELNS1_11target_archE1201ELNS1_3gpuE5ELNS1_3repE0EEENS1_60segmented_radix_sort_warp_sort_medium_config_static_selectorELNS0_4arch9wavefront6targetE0EEEvSL_,"axG",@progbits,_ZN7rocprim17ROCPRIM_400000_NS6detail17trampoline_kernelINS0_14default_configENS1_36segmented_radix_sort_config_selectorI6__halflEEZNS1_25segmented_radix_sort_implIS3_Lb0EPKS5_PS5_PKlPlN2at6native12_GLOBAL__N_18offset_tEEE10hipError_tPvRmT1_PNSt15iterator_traitsISL_E10value_typeET2_T3_PNSM_ISR_E10value_typeET4_jRbjT5_SX_jjP12ihipStream_tbEUlT_E0_NS1_11comp_targetILNS1_3genE10ELNS1_11target_archE1201ELNS1_3gpuE5ELNS1_3repE0EEENS1_60segmented_radix_sort_warp_sort_medium_config_static_selectorELNS0_4arch9wavefront6targetE0EEEvSL_,comdat
	.globl	_ZN7rocprim17ROCPRIM_400000_NS6detail17trampoline_kernelINS0_14default_configENS1_36segmented_radix_sort_config_selectorI6__halflEEZNS1_25segmented_radix_sort_implIS3_Lb0EPKS5_PS5_PKlPlN2at6native12_GLOBAL__N_18offset_tEEE10hipError_tPvRmT1_PNSt15iterator_traitsISL_E10value_typeET2_T3_PNSM_ISR_E10value_typeET4_jRbjT5_SX_jjP12ihipStream_tbEUlT_E0_NS1_11comp_targetILNS1_3genE10ELNS1_11target_archE1201ELNS1_3gpuE5ELNS1_3repE0EEENS1_60segmented_radix_sort_warp_sort_medium_config_static_selectorELNS0_4arch9wavefront6targetE0EEEvSL_ ; -- Begin function _ZN7rocprim17ROCPRIM_400000_NS6detail17trampoline_kernelINS0_14default_configENS1_36segmented_radix_sort_config_selectorI6__halflEEZNS1_25segmented_radix_sort_implIS3_Lb0EPKS5_PS5_PKlPlN2at6native12_GLOBAL__N_18offset_tEEE10hipError_tPvRmT1_PNSt15iterator_traitsISL_E10value_typeET2_T3_PNSM_ISR_E10value_typeET4_jRbjT5_SX_jjP12ihipStream_tbEUlT_E0_NS1_11comp_targetILNS1_3genE10ELNS1_11target_archE1201ELNS1_3gpuE5ELNS1_3repE0EEENS1_60segmented_radix_sort_warp_sort_medium_config_static_selectorELNS0_4arch9wavefront6targetE0EEEvSL_
	.p2align	8
	.type	_ZN7rocprim17ROCPRIM_400000_NS6detail17trampoline_kernelINS0_14default_configENS1_36segmented_radix_sort_config_selectorI6__halflEEZNS1_25segmented_radix_sort_implIS3_Lb0EPKS5_PS5_PKlPlN2at6native12_GLOBAL__N_18offset_tEEE10hipError_tPvRmT1_PNSt15iterator_traitsISL_E10value_typeET2_T3_PNSM_ISR_E10value_typeET4_jRbjT5_SX_jjP12ihipStream_tbEUlT_E0_NS1_11comp_targetILNS1_3genE10ELNS1_11target_archE1201ELNS1_3gpuE5ELNS1_3repE0EEENS1_60segmented_radix_sort_warp_sort_medium_config_static_selectorELNS0_4arch9wavefront6targetE0EEEvSL_,@function
_ZN7rocprim17ROCPRIM_400000_NS6detail17trampoline_kernelINS0_14default_configENS1_36segmented_radix_sort_config_selectorI6__halflEEZNS1_25segmented_radix_sort_implIS3_Lb0EPKS5_PS5_PKlPlN2at6native12_GLOBAL__N_18offset_tEEE10hipError_tPvRmT1_PNSt15iterator_traitsISL_E10value_typeET2_T3_PNSM_ISR_E10value_typeET4_jRbjT5_SX_jjP12ihipStream_tbEUlT_E0_NS1_11comp_targetILNS1_3genE10ELNS1_11target_archE1201ELNS1_3gpuE5ELNS1_3repE0EEENS1_60segmented_radix_sort_warp_sort_medium_config_static_selectorELNS0_4arch9wavefront6targetE0EEEvSL_: ; @_ZN7rocprim17ROCPRIM_400000_NS6detail17trampoline_kernelINS0_14default_configENS1_36segmented_radix_sort_config_selectorI6__halflEEZNS1_25segmented_radix_sort_implIS3_Lb0EPKS5_PS5_PKlPlN2at6native12_GLOBAL__N_18offset_tEEE10hipError_tPvRmT1_PNSt15iterator_traitsISL_E10value_typeET2_T3_PNSM_ISR_E10value_typeET4_jRbjT5_SX_jjP12ihipStream_tbEUlT_E0_NS1_11comp_targetILNS1_3genE10ELNS1_11target_archE1201ELNS1_3gpuE5ELNS1_3repE0EEENS1_60segmented_radix_sort_warp_sort_medium_config_static_selectorELNS0_4arch9wavefront6targetE0EEEvSL_
; %bb.0:
	.section	.rodata,"a",@progbits
	.p2align	6, 0x0
	.amdhsa_kernel _ZN7rocprim17ROCPRIM_400000_NS6detail17trampoline_kernelINS0_14default_configENS1_36segmented_radix_sort_config_selectorI6__halflEEZNS1_25segmented_radix_sort_implIS3_Lb0EPKS5_PS5_PKlPlN2at6native12_GLOBAL__N_18offset_tEEE10hipError_tPvRmT1_PNSt15iterator_traitsISL_E10value_typeET2_T3_PNSM_ISR_E10value_typeET4_jRbjT5_SX_jjP12ihipStream_tbEUlT_E0_NS1_11comp_targetILNS1_3genE10ELNS1_11target_archE1201ELNS1_3gpuE5ELNS1_3repE0EEENS1_60segmented_radix_sort_warp_sort_medium_config_static_selectorELNS0_4arch9wavefront6targetE0EEEvSL_
		.amdhsa_group_segment_fixed_size 0
		.amdhsa_private_segment_fixed_size 0
		.amdhsa_kernarg_size 88
		.amdhsa_user_sgpr_count 6
		.amdhsa_user_sgpr_private_segment_buffer 1
		.amdhsa_user_sgpr_dispatch_ptr 0
		.amdhsa_user_sgpr_queue_ptr 0
		.amdhsa_user_sgpr_kernarg_segment_ptr 1
		.amdhsa_user_sgpr_dispatch_id 0
		.amdhsa_user_sgpr_flat_scratch_init 0
		.amdhsa_user_sgpr_private_segment_size 0
		.amdhsa_wavefront_size32 1
		.amdhsa_uses_dynamic_stack 0
		.amdhsa_system_sgpr_private_segment_wavefront_offset 0
		.amdhsa_system_sgpr_workgroup_id_x 1
		.amdhsa_system_sgpr_workgroup_id_y 0
		.amdhsa_system_sgpr_workgroup_id_z 0
		.amdhsa_system_sgpr_workgroup_info 0
		.amdhsa_system_vgpr_workitem_id 0
		.amdhsa_next_free_vgpr 1
		.amdhsa_next_free_sgpr 1
		.amdhsa_reserve_vcc 0
		.amdhsa_reserve_flat_scratch 0
		.amdhsa_float_round_mode_32 0
		.amdhsa_float_round_mode_16_64 0
		.amdhsa_float_denorm_mode_32 3
		.amdhsa_float_denorm_mode_16_64 3
		.amdhsa_dx10_clamp 1
		.amdhsa_ieee_mode 1
		.amdhsa_fp16_overflow 0
		.amdhsa_workgroup_processor_mode 1
		.amdhsa_memory_ordered 1
		.amdhsa_forward_progress 1
		.amdhsa_shared_vgpr_count 0
		.amdhsa_exception_fp_ieee_invalid_op 0
		.amdhsa_exception_fp_denorm_src 0
		.amdhsa_exception_fp_ieee_div_zero 0
		.amdhsa_exception_fp_ieee_overflow 0
		.amdhsa_exception_fp_ieee_underflow 0
		.amdhsa_exception_fp_ieee_inexact 0
		.amdhsa_exception_int_div_zero 0
	.end_amdhsa_kernel
	.section	.text._ZN7rocprim17ROCPRIM_400000_NS6detail17trampoline_kernelINS0_14default_configENS1_36segmented_radix_sort_config_selectorI6__halflEEZNS1_25segmented_radix_sort_implIS3_Lb0EPKS5_PS5_PKlPlN2at6native12_GLOBAL__N_18offset_tEEE10hipError_tPvRmT1_PNSt15iterator_traitsISL_E10value_typeET2_T3_PNSM_ISR_E10value_typeET4_jRbjT5_SX_jjP12ihipStream_tbEUlT_E0_NS1_11comp_targetILNS1_3genE10ELNS1_11target_archE1201ELNS1_3gpuE5ELNS1_3repE0EEENS1_60segmented_radix_sort_warp_sort_medium_config_static_selectorELNS0_4arch9wavefront6targetE0EEEvSL_,"axG",@progbits,_ZN7rocprim17ROCPRIM_400000_NS6detail17trampoline_kernelINS0_14default_configENS1_36segmented_radix_sort_config_selectorI6__halflEEZNS1_25segmented_radix_sort_implIS3_Lb0EPKS5_PS5_PKlPlN2at6native12_GLOBAL__N_18offset_tEEE10hipError_tPvRmT1_PNSt15iterator_traitsISL_E10value_typeET2_T3_PNSM_ISR_E10value_typeET4_jRbjT5_SX_jjP12ihipStream_tbEUlT_E0_NS1_11comp_targetILNS1_3genE10ELNS1_11target_archE1201ELNS1_3gpuE5ELNS1_3repE0EEENS1_60segmented_radix_sort_warp_sort_medium_config_static_selectorELNS0_4arch9wavefront6targetE0EEEvSL_,comdat
.Lfunc_end1847:
	.size	_ZN7rocprim17ROCPRIM_400000_NS6detail17trampoline_kernelINS0_14default_configENS1_36segmented_radix_sort_config_selectorI6__halflEEZNS1_25segmented_radix_sort_implIS3_Lb0EPKS5_PS5_PKlPlN2at6native12_GLOBAL__N_18offset_tEEE10hipError_tPvRmT1_PNSt15iterator_traitsISL_E10value_typeET2_T3_PNSM_ISR_E10value_typeET4_jRbjT5_SX_jjP12ihipStream_tbEUlT_E0_NS1_11comp_targetILNS1_3genE10ELNS1_11target_archE1201ELNS1_3gpuE5ELNS1_3repE0EEENS1_60segmented_radix_sort_warp_sort_medium_config_static_selectorELNS0_4arch9wavefront6targetE0EEEvSL_, .Lfunc_end1847-_ZN7rocprim17ROCPRIM_400000_NS6detail17trampoline_kernelINS0_14default_configENS1_36segmented_radix_sort_config_selectorI6__halflEEZNS1_25segmented_radix_sort_implIS3_Lb0EPKS5_PS5_PKlPlN2at6native12_GLOBAL__N_18offset_tEEE10hipError_tPvRmT1_PNSt15iterator_traitsISL_E10value_typeET2_T3_PNSM_ISR_E10value_typeET4_jRbjT5_SX_jjP12ihipStream_tbEUlT_E0_NS1_11comp_targetILNS1_3genE10ELNS1_11target_archE1201ELNS1_3gpuE5ELNS1_3repE0EEENS1_60segmented_radix_sort_warp_sort_medium_config_static_selectorELNS0_4arch9wavefront6targetE0EEEvSL_
                                        ; -- End function
	.set _ZN7rocprim17ROCPRIM_400000_NS6detail17trampoline_kernelINS0_14default_configENS1_36segmented_radix_sort_config_selectorI6__halflEEZNS1_25segmented_radix_sort_implIS3_Lb0EPKS5_PS5_PKlPlN2at6native12_GLOBAL__N_18offset_tEEE10hipError_tPvRmT1_PNSt15iterator_traitsISL_E10value_typeET2_T3_PNSM_ISR_E10value_typeET4_jRbjT5_SX_jjP12ihipStream_tbEUlT_E0_NS1_11comp_targetILNS1_3genE10ELNS1_11target_archE1201ELNS1_3gpuE5ELNS1_3repE0EEENS1_60segmented_radix_sort_warp_sort_medium_config_static_selectorELNS0_4arch9wavefront6targetE0EEEvSL_.num_vgpr, 0
	.set _ZN7rocprim17ROCPRIM_400000_NS6detail17trampoline_kernelINS0_14default_configENS1_36segmented_radix_sort_config_selectorI6__halflEEZNS1_25segmented_radix_sort_implIS3_Lb0EPKS5_PS5_PKlPlN2at6native12_GLOBAL__N_18offset_tEEE10hipError_tPvRmT1_PNSt15iterator_traitsISL_E10value_typeET2_T3_PNSM_ISR_E10value_typeET4_jRbjT5_SX_jjP12ihipStream_tbEUlT_E0_NS1_11comp_targetILNS1_3genE10ELNS1_11target_archE1201ELNS1_3gpuE5ELNS1_3repE0EEENS1_60segmented_radix_sort_warp_sort_medium_config_static_selectorELNS0_4arch9wavefront6targetE0EEEvSL_.num_agpr, 0
	.set _ZN7rocprim17ROCPRIM_400000_NS6detail17trampoline_kernelINS0_14default_configENS1_36segmented_radix_sort_config_selectorI6__halflEEZNS1_25segmented_radix_sort_implIS3_Lb0EPKS5_PS5_PKlPlN2at6native12_GLOBAL__N_18offset_tEEE10hipError_tPvRmT1_PNSt15iterator_traitsISL_E10value_typeET2_T3_PNSM_ISR_E10value_typeET4_jRbjT5_SX_jjP12ihipStream_tbEUlT_E0_NS1_11comp_targetILNS1_3genE10ELNS1_11target_archE1201ELNS1_3gpuE5ELNS1_3repE0EEENS1_60segmented_radix_sort_warp_sort_medium_config_static_selectorELNS0_4arch9wavefront6targetE0EEEvSL_.numbered_sgpr, 0
	.set _ZN7rocprim17ROCPRIM_400000_NS6detail17trampoline_kernelINS0_14default_configENS1_36segmented_radix_sort_config_selectorI6__halflEEZNS1_25segmented_radix_sort_implIS3_Lb0EPKS5_PS5_PKlPlN2at6native12_GLOBAL__N_18offset_tEEE10hipError_tPvRmT1_PNSt15iterator_traitsISL_E10value_typeET2_T3_PNSM_ISR_E10value_typeET4_jRbjT5_SX_jjP12ihipStream_tbEUlT_E0_NS1_11comp_targetILNS1_3genE10ELNS1_11target_archE1201ELNS1_3gpuE5ELNS1_3repE0EEENS1_60segmented_radix_sort_warp_sort_medium_config_static_selectorELNS0_4arch9wavefront6targetE0EEEvSL_.num_named_barrier, 0
	.set _ZN7rocprim17ROCPRIM_400000_NS6detail17trampoline_kernelINS0_14default_configENS1_36segmented_radix_sort_config_selectorI6__halflEEZNS1_25segmented_radix_sort_implIS3_Lb0EPKS5_PS5_PKlPlN2at6native12_GLOBAL__N_18offset_tEEE10hipError_tPvRmT1_PNSt15iterator_traitsISL_E10value_typeET2_T3_PNSM_ISR_E10value_typeET4_jRbjT5_SX_jjP12ihipStream_tbEUlT_E0_NS1_11comp_targetILNS1_3genE10ELNS1_11target_archE1201ELNS1_3gpuE5ELNS1_3repE0EEENS1_60segmented_radix_sort_warp_sort_medium_config_static_selectorELNS0_4arch9wavefront6targetE0EEEvSL_.private_seg_size, 0
	.set _ZN7rocprim17ROCPRIM_400000_NS6detail17trampoline_kernelINS0_14default_configENS1_36segmented_radix_sort_config_selectorI6__halflEEZNS1_25segmented_radix_sort_implIS3_Lb0EPKS5_PS5_PKlPlN2at6native12_GLOBAL__N_18offset_tEEE10hipError_tPvRmT1_PNSt15iterator_traitsISL_E10value_typeET2_T3_PNSM_ISR_E10value_typeET4_jRbjT5_SX_jjP12ihipStream_tbEUlT_E0_NS1_11comp_targetILNS1_3genE10ELNS1_11target_archE1201ELNS1_3gpuE5ELNS1_3repE0EEENS1_60segmented_radix_sort_warp_sort_medium_config_static_selectorELNS0_4arch9wavefront6targetE0EEEvSL_.uses_vcc, 0
	.set _ZN7rocprim17ROCPRIM_400000_NS6detail17trampoline_kernelINS0_14default_configENS1_36segmented_radix_sort_config_selectorI6__halflEEZNS1_25segmented_radix_sort_implIS3_Lb0EPKS5_PS5_PKlPlN2at6native12_GLOBAL__N_18offset_tEEE10hipError_tPvRmT1_PNSt15iterator_traitsISL_E10value_typeET2_T3_PNSM_ISR_E10value_typeET4_jRbjT5_SX_jjP12ihipStream_tbEUlT_E0_NS1_11comp_targetILNS1_3genE10ELNS1_11target_archE1201ELNS1_3gpuE5ELNS1_3repE0EEENS1_60segmented_radix_sort_warp_sort_medium_config_static_selectorELNS0_4arch9wavefront6targetE0EEEvSL_.uses_flat_scratch, 0
	.set _ZN7rocprim17ROCPRIM_400000_NS6detail17trampoline_kernelINS0_14default_configENS1_36segmented_radix_sort_config_selectorI6__halflEEZNS1_25segmented_radix_sort_implIS3_Lb0EPKS5_PS5_PKlPlN2at6native12_GLOBAL__N_18offset_tEEE10hipError_tPvRmT1_PNSt15iterator_traitsISL_E10value_typeET2_T3_PNSM_ISR_E10value_typeET4_jRbjT5_SX_jjP12ihipStream_tbEUlT_E0_NS1_11comp_targetILNS1_3genE10ELNS1_11target_archE1201ELNS1_3gpuE5ELNS1_3repE0EEENS1_60segmented_radix_sort_warp_sort_medium_config_static_selectorELNS0_4arch9wavefront6targetE0EEEvSL_.has_dyn_sized_stack, 0
	.set _ZN7rocprim17ROCPRIM_400000_NS6detail17trampoline_kernelINS0_14default_configENS1_36segmented_radix_sort_config_selectorI6__halflEEZNS1_25segmented_radix_sort_implIS3_Lb0EPKS5_PS5_PKlPlN2at6native12_GLOBAL__N_18offset_tEEE10hipError_tPvRmT1_PNSt15iterator_traitsISL_E10value_typeET2_T3_PNSM_ISR_E10value_typeET4_jRbjT5_SX_jjP12ihipStream_tbEUlT_E0_NS1_11comp_targetILNS1_3genE10ELNS1_11target_archE1201ELNS1_3gpuE5ELNS1_3repE0EEENS1_60segmented_radix_sort_warp_sort_medium_config_static_selectorELNS0_4arch9wavefront6targetE0EEEvSL_.has_recursion, 0
	.set _ZN7rocprim17ROCPRIM_400000_NS6detail17trampoline_kernelINS0_14default_configENS1_36segmented_radix_sort_config_selectorI6__halflEEZNS1_25segmented_radix_sort_implIS3_Lb0EPKS5_PS5_PKlPlN2at6native12_GLOBAL__N_18offset_tEEE10hipError_tPvRmT1_PNSt15iterator_traitsISL_E10value_typeET2_T3_PNSM_ISR_E10value_typeET4_jRbjT5_SX_jjP12ihipStream_tbEUlT_E0_NS1_11comp_targetILNS1_3genE10ELNS1_11target_archE1201ELNS1_3gpuE5ELNS1_3repE0EEENS1_60segmented_radix_sort_warp_sort_medium_config_static_selectorELNS0_4arch9wavefront6targetE0EEEvSL_.has_indirect_call, 0
	.section	.AMDGPU.csdata,"",@progbits
; Kernel info:
; codeLenInByte = 0
; TotalNumSgprs: 0
; NumVgprs: 0
; ScratchSize: 0
; MemoryBound: 0
; FloatMode: 240
; IeeeMode: 1
; LDSByteSize: 0 bytes/workgroup (compile time only)
; SGPRBlocks: 0
; VGPRBlocks: 0
; NumSGPRsForWavesPerEU: 1
; NumVGPRsForWavesPerEU: 1
; Occupancy: 16
; WaveLimiterHint : 0
; COMPUTE_PGM_RSRC2:SCRATCH_EN: 0
; COMPUTE_PGM_RSRC2:USER_SGPR: 6
; COMPUTE_PGM_RSRC2:TRAP_HANDLER: 0
; COMPUTE_PGM_RSRC2:TGID_X_EN: 1
; COMPUTE_PGM_RSRC2:TGID_Y_EN: 0
; COMPUTE_PGM_RSRC2:TGID_Z_EN: 0
; COMPUTE_PGM_RSRC2:TIDIG_COMP_CNT: 0
	.section	.text._ZN7rocprim17ROCPRIM_400000_NS6detail17trampoline_kernelINS0_14default_configENS1_36segmented_radix_sort_config_selectorI6__halflEEZNS1_25segmented_radix_sort_implIS3_Lb0EPKS5_PS5_PKlPlN2at6native12_GLOBAL__N_18offset_tEEE10hipError_tPvRmT1_PNSt15iterator_traitsISL_E10value_typeET2_T3_PNSM_ISR_E10value_typeET4_jRbjT5_SX_jjP12ihipStream_tbEUlT_E0_NS1_11comp_targetILNS1_3genE10ELNS1_11target_archE1200ELNS1_3gpuE4ELNS1_3repE0EEENS1_60segmented_radix_sort_warp_sort_medium_config_static_selectorELNS0_4arch9wavefront6targetE0EEEvSL_,"axG",@progbits,_ZN7rocprim17ROCPRIM_400000_NS6detail17trampoline_kernelINS0_14default_configENS1_36segmented_radix_sort_config_selectorI6__halflEEZNS1_25segmented_radix_sort_implIS3_Lb0EPKS5_PS5_PKlPlN2at6native12_GLOBAL__N_18offset_tEEE10hipError_tPvRmT1_PNSt15iterator_traitsISL_E10value_typeET2_T3_PNSM_ISR_E10value_typeET4_jRbjT5_SX_jjP12ihipStream_tbEUlT_E0_NS1_11comp_targetILNS1_3genE10ELNS1_11target_archE1200ELNS1_3gpuE4ELNS1_3repE0EEENS1_60segmented_radix_sort_warp_sort_medium_config_static_selectorELNS0_4arch9wavefront6targetE0EEEvSL_,comdat
	.globl	_ZN7rocprim17ROCPRIM_400000_NS6detail17trampoline_kernelINS0_14default_configENS1_36segmented_radix_sort_config_selectorI6__halflEEZNS1_25segmented_radix_sort_implIS3_Lb0EPKS5_PS5_PKlPlN2at6native12_GLOBAL__N_18offset_tEEE10hipError_tPvRmT1_PNSt15iterator_traitsISL_E10value_typeET2_T3_PNSM_ISR_E10value_typeET4_jRbjT5_SX_jjP12ihipStream_tbEUlT_E0_NS1_11comp_targetILNS1_3genE10ELNS1_11target_archE1200ELNS1_3gpuE4ELNS1_3repE0EEENS1_60segmented_radix_sort_warp_sort_medium_config_static_selectorELNS0_4arch9wavefront6targetE0EEEvSL_ ; -- Begin function _ZN7rocprim17ROCPRIM_400000_NS6detail17trampoline_kernelINS0_14default_configENS1_36segmented_radix_sort_config_selectorI6__halflEEZNS1_25segmented_radix_sort_implIS3_Lb0EPKS5_PS5_PKlPlN2at6native12_GLOBAL__N_18offset_tEEE10hipError_tPvRmT1_PNSt15iterator_traitsISL_E10value_typeET2_T3_PNSM_ISR_E10value_typeET4_jRbjT5_SX_jjP12ihipStream_tbEUlT_E0_NS1_11comp_targetILNS1_3genE10ELNS1_11target_archE1200ELNS1_3gpuE4ELNS1_3repE0EEENS1_60segmented_radix_sort_warp_sort_medium_config_static_selectorELNS0_4arch9wavefront6targetE0EEEvSL_
	.p2align	8
	.type	_ZN7rocprim17ROCPRIM_400000_NS6detail17trampoline_kernelINS0_14default_configENS1_36segmented_radix_sort_config_selectorI6__halflEEZNS1_25segmented_radix_sort_implIS3_Lb0EPKS5_PS5_PKlPlN2at6native12_GLOBAL__N_18offset_tEEE10hipError_tPvRmT1_PNSt15iterator_traitsISL_E10value_typeET2_T3_PNSM_ISR_E10value_typeET4_jRbjT5_SX_jjP12ihipStream_tbEUlT_E0_NS1_11comp_targetILNS1_3genE10ELNS1_11target_archE1200ELNS1_3gpuE4ELNS1_3repE0EEENS1_60segmented_radix_sort_warp_sort_medium_config_static_selectorELNS0_4arch9wavefront6targetE0EEEvSL_,@function
_ZN7rocprim17ROCPRIM_400000_NS6detail17trampoline_kernelINS0_14default_configENS1_36segmented_radix_sort_config_selectorI6__halflEEZNS1_25segmented_radix_sort_implIS3_Lb0EPKS5_PS5_PKlPlN2at6native12_GLOBAL__N_18offset_tEEE10hipError_tPvRmT1_PNSt15iterator_traitsISL_E10value_typeET2_T3_PNSM_ISR_E10value_typeET4_jRbjT5_SX_jjP12ihipStream_tbEUlT_E0_NS1_11comp_targetILNS1_3genE10ELNS1_11target_archE1200ELNS1_3gpuE4ELNS1_3repE0EEENS1_60segmented_radix_sort_warp_sort_medium_config_static_selectorELNS0_4arch9wavefront6targetE0EEEvSL_: ; @_ZN7rocprim17ROCPRIM_400000_NS6detail17trampoline_kernelINS0_14default_configENS1_36segmented_radix_sort_config_selectorI6__halflEEZNS1_25segmented_radix_sort_implIS3_Lb0EPKS5_PS5_PKlPlN2at6native12_GLOBAL__N_18offset_tEEE10hipError_tPvRmT1_PNSt15iterator_traitsISL_E10value_typeET2_T3_PNSM_ISR_E10value_typeET4_jRbjT5_SX_jjP12ihipStream_tbEUlT_E0_NS1_11comp_targetILNS1_3genE10ELNS1_11target_archE1200ELNS1_3gpuE4ELNS1_3repE0EEENS1_60segmented_radix_sort_warp_sort_medium_config_static_selectorELNS0_4arch9wavefront6targetE0EEEvSL_
; %bb.0:
	.section	.rodata,"a",@progbits
	.p2align	6, 0x0
	.amdhsa_kernel _ZN7rocprim17ROCPRIM_400000_NS6detail17trampoline_kernelINS0_14default_configENS1_36segmented_radix_sort_config_selectorI6__halflEEZNS1_25segmented_radix_sort_implIS3_Lb0EPKS5_PS5_PKlPlN2at6native12_GLOBAL__N_18offset_tEEE10hipError_tPvRmT1_PNSt15iterator_traitsISL_E10value_typeET2_T3_PNSM_ISR_E10value_typeET4_jRbjT5_SX_jjP12ihipStream_tbEUlT_E0_NS1_11comp_targetILNS1_3genE10ELNS1_11target_archE1200ELNS1_3gpuE4ELNS1_3repE0EEENS1_60segmented_radix_sort_warp_sort_medium_config_static_selectorELNS0_4arch9wavefront6targetE0EEEvSL_
		.amdhsa_group_segment_fixed_size 0
		.amdhsa_private_segment_fixed_size 0
		.amdhsa_kernarg_size 88
		.amdhsa_user_sgpr_count 6
		.amdhsa_user_sgpr_private_segment_buffer 1
		.amdhsa_user_sgpr_dispatch_ptr 0
		.amdhsa_user_sgpr_queue_ptr 0
		.amdhsa_user_sgpr_kernarg_segment_ptr 1
		.amdhsa_user_sgpr_dispatch_id 0
		.amdhsa_user_sgpr_flat_scratch_init 0
		.amdhsa_user_sgpr_private_segment_size 0
		.amdhsa_wavefront_size32 1
		.amdhsa_uses_dynamic_stack 0
		.amdhsa_system_sgpr_private_segment_wavefront_offset 0
		.amdhsa_system_sgpr_workgroup_id_x 1
		.amdhsa_system_sgpr_workgroup_id_y 0
		.amdhsa_system_sgpr_workgroup_id_z 0
		.amdhsa_system_sgpr_workgroup_info 0
		.amdhsa_system_vgpr_workitem_id 0
		.amdhsa_next_free_vgpr 1
		.amdhsa_next_free_sgpr 1
		.amdhsa_reserve_vcc 0
		.amdhsa_reserve_flat_scratch 0
		.amdhsa_float_round_mode_32 0
		.amdhsa_float_round_mode_16_64 0
		.amdhsa_float_denorm_mode_32 3
		.amdhsa_float_denorm_mode_16_64 3
		.amdhsa_dx10_clamp 1
		.amdhsa_ieee_mode 1
		.amdhsa_fp16_overflow 0
		.amdhsa_workgroup_processor_mode 1
		.amdhsa_memory_ordered 1
		.amdhsa_forward_progress 1
		.amdhsa_shared_vgpr_count 0
		.amdhsa_exception_fp_ieee_invalid_op 0
		.amdhsa_exception_fp_denorm_src 0
		.amdhsa_exception_fp_ieee_div_zero 0
		.amdhsa_exception_fp_ieee_overflow 0
		.amdhsa_exception_fp_ieee_underflow 0
		.amdhsa_exception_fp_ieee_inexact 0
		.amdhsa_exception_int_div_zero 0
	.end_amdhsa_kernel
	.section	.text._ZN7rocprim17ROCPRIM_400000_NS6detail17trampoline_kernelINS0_14default_configENS1_36segmented_radix_sort_config_selectorI6__halflEEZNS1_25segmented_radix_sort_implIS3_Lb0EPKS5_PS5_PKlPlN2at6native12_GLOBAL__N_18offset_tEEE10hipError_tPvRmT1_PNSt15iterator_traitsISL_E10value_typeET2_T3_PNSM_ISR_E10value_typeET4_jRbjT5_SX_jjP12ihipStream_tbEUlT_E0_NS1_11comp_targetILNS1_3genE10ELNS1_11target_archE1200ELNS1_3gpuE4ELNS1_3repE0EEENS1_60segmented_radix_sort_warp_sort_medium_config_static_selectorELNS0_4arch9wavefront6targetE0EEEvSL_,"axG",@progbits,_ZN7rocprim17ROCPRIM_400000_NS6detail17trampoline_kernelINS0_14default_configENS1_36segmented_radix_sort_config_selectorI6__halflEEZNS1_25segmented_radix_sort_implIS3_Lb0EPKS5_PS5_PKlPlN2at6native12_GLOBAL__N_18offset_tEEE10hipError_tPvRmT1_PNSt15iterator_traitsISL_E10value_typeET2_T3_PNSM_ISR_E10value_typeET4_jRbjT5_SX_jjP12ihipStream_tbEUlT_E0_NS1_11comp_targetILNS1_3genE10ELNS1_11target_archE1200ELNS1_3gpuE4ELNS1_3repE0EEENS1_60segmented_radix_sort_warp_sort_medium_config_static_selectorELNS0_4arch9wavefront6targetE0EEEvSL_,comdat
.Lfunc_end1848:
	.size	_ZN7rocprim17ROCPRIM_400000_NS6detail17trampoline_kernelINS0_14default_configENS1_36segmented_radix_sort_config_selectorI6__halflEEZNS1_25segmented_radix_sort_implIS3_Lb0EPKS5_PS5_PKlPlN2at6native12_GLOBAL__N_18offset_tEEE10hipError_tPvRmT1_PNSt15iterator_traitsISL_E10value_typeET2_T3_PNSM_ISR_E10value_typeET4_jRbjT5_SX_jjP12ihipStream_tbEUlT_E0_NS1_11comp_targetILNS1_3genE10ELNS1_11target_archE1200ELNS1_3gpuE4ELNS1_3repE0EEENS1_60segmented_radix_sort_warp_sort_medium_config_static_selectorELNS0_4arch9wavefront6targetE0EEEvSL_, .Lfunc_end1848-_ZN7rocprim17ROCPRIM_400000_NS6detail17trampoline_kernelINS0_14default_configENS1_36segmented_radix_sort_config_selectorI6__halflEEZNS1_25segmented_radix_sort_implIS3_Lb0EPKS5_PS5_PKlPlN2at6native12_GLOBAL__N_18offset_tEEE10hipError_tPvRmT1_PNSt15iterator_traitsISL_E10value_typeET2_T3_PNSM_ISR_E10value_typeET4_jRbjT5_SX_jjP12ihipStream_tbEUlT_E0_NS1_11comp_targetILNS1_3genE10ELNS1_11target_archE1200ELNS1_3gpuE4ELNS1_3repE0EEENS1_60segmented_radix_sort_warp_sort_medium_config_static_selectorELNS0_4arch9wavefront6targetE0EEEvSL_
                                        ; -- End function
	.set _ZN7rocprim17ROCPRIM_400000_NS6detail17trampoline_kernelINS0_14default_configENS1_36segmented_radix_sort_config_selectorI6__halflEEZNS1_25segmented_radix_sort_implIS3_Lb0EPKS5_PS5_PKlPlN2at6native12_GLOBAL__N_18offset_tEEE10hipError_tPvRmT1_PNSt15iterator_traitsISL_E10value_typeET2_T3_PNSM_ISR_E10value_typeET4_jRbjT5_SX_jjP12ihipStream_tbEUlT_E0_NS1_11comp_targetILNS1_3genE10ELNS1_11target_archE1200ELNS1_3gpuE4ELNS1_3repE0EEENS1_60segmented_radix_sort_warp_sort_medium_config_static_selectorELNS0_4arch9wavefront6targetE0EEEvSL_.num_vgpr, 0
	.set _ZN7rocprim17ROCPRIM_400000_NS6detail17trampoline_kernelINS0_14default_configENS1_36segmented_radix_sort_config_selectorI6__halflEEZNS1_25segmented_radix_sort_implIS3_Lb0EPKS5_PS5_PKlPlN2at6native12_GLOBAL__N_18offset_tEEE10hipError_tPvRmT1_PNSt15iterator_traitsISL_E10value_typeET2_T3_PNSM_ISR_E10value_typeET4_jRbjT5_SX_jjP12ihipStream_tbEUlT_E0_NS1_11comp_targetILNS1_3genE10ELNS1_11target_archE1200ELNS1_3gpuE4ELNS1_3repE0EEENS1_60segmented_radix_sort_warp_sort_medium_config_static_selectorELNS0_4arch9wavefront6targetE0EEEvSL_.num_agpr, 0
	.set _ZN7rocprim17ROCPRIM_400000_NS6detail17trampoline_kernelINS0_14default_configENS1_36segmented_radix_sort_config_selectorI6__halflEEZNS1_25segmented_radix_sort_implIS3_Lb0EPKS5_PS5_PKlPlN2at6native12_GLOBAL__N_18offset_tEEE10hipError_tPvRmT1_PNSt15iterator_traitsISL_E10value_typeET2_T3_PNSM_ISR_E10value_typeET4_jRbjT5_SX_jjP12ihipStream_tbEUlT_E0_NS1_11comp_targetILNS1_3genE10ELNS1_11target_archE1200ELNS1_3gpuE4ELNS1_3repE0EEENS1_60segmented_radix_sort_warp_sort_medium_config_static_selectorELNS0_4arch9wavefront6targetE0EEEvSL_.numbered_sgpr, 0
	.set _ZN7rocprim17ROCPRIM_400000_NS6detail17trampoline_kernelINS0_14default_configENS1_36segmented_radix_sort_config_selectorI6__halflEEZNS1_25segmented_radix_sort_implIS3_Lb0EPKS5_PS5_PKlPlN2at6native12_GLOBAL__N_18offset_tEEE10hipError_tPvRmT1_PNSt15iterator_traitsISL_E10value_typeET2_T3_PNSM_ISR_E10value_typeET4_jRbjT5_SX_jjP12ihipStream_tbEUlT_E0_NS1_11comp_targetILNS1_3genE10ELNS1_11target_archE1200ELNS1_3gpuE4ELNS1_3repE0EEENS1_60segmented_radix_sort_warp_sort_medium_config_static_selectorELNS0_4arch9wavefront6targetE0EEEvSL_.num_named_barrier, 0
	.set _ZN7rocprim17ROCPRIM_400000_NS6detail17trampoline_kernelINS0_14default_configENS1_36segmented_radix_sort_config_selectorI6__halflEEZNS1_25segmented_radix_sort_implIS3_Lb0EPKS5_PS5_PKlPlN2at6native12_GLOBAL__N_18offset_tEEE10hipError_tPvRmT1_PNSt15iterator_traitsISL_E10value_typeET2_T3_PNSM_ISR_E10value_typeET4_jRbjT5_SX_jjP12ihipStream_tbEUlT_E0_NS1_11comp_targetILNS1_3genE10ELNS1_11target_archE1200ELNS1_3gpuE4ELNS1_3repE0EEENS1_60segmented_radix_sort_warp_sort_medium_config_static_selectorELNS0_4arch9wavefront6targetE0EEEvSL_.private_seg_size, 0
	.set _ZN7rocprim17ROCPRIM_400000_NS6detail17trampoline_kernelINS0_14default_configENS1_36segmented_radix_sort_config_selectorI6__halflEEZNS1_25segmented_radix_sort_implIS3_Lb0EPKS5_PS5_PKlPlN2at6native12_GLOBAL__N_18offset_tEEE10hipError_tPvRmT1_PNSt15iterator_traitsISL_E10value_typeET2_T3_PNSM_ISR_E10value_typeET4_jRbjT5_SX_jjP12ihipStream_tbEUlT_E0_NS1_11comp_targetILNS1_3genE10ELNS1_11target_archE1200ELNS1_3gpuE4ELNS1_3repE0EEENS1_60segmented_radix_sort_warp_sort_medium_config_static_selectorELNS0_4arch9wavefront6targetE0EEEvSL_.uses_vcc, 0
	.set _ZN7rocprim17ROCPRIM_400000_NS6detail17trampoline_kernelINS0_14default_configENS1_36segmented_radix_sort_config_selectorI6__halflEEZNS1_25segmented_radix_sort_implIS3_Lb0EPKS5_PS5_PKlPlN2at6native12_GLOBAL__N_18offset_tEEE10hipError_tPvRmT1_PNSt15iterator_traitsISL_E10value_typeET2_T3_PNSM_ISR_E10value_typeET4_jRbjT5_SX_jjP12ihipStream_tbEUlT_E0_NS1_11comp_targetILNS1_3genE10ELNS1_11target_archE1200ELNS1_3gpuE4ELNS1_3repE0EEENS1_60segmented_radix_sort_warp_sort_medium_config_static_selectorELNS0_4arch9wavefront6targetE0EEEvSL_.uses_flat_scratch, 0
	.set _ZN7rocprim17ROCPRIM_400000_NS6detail17trampoline_kernelINS0_14default_configENS1_36segmented_radix_sort_config_selectorI6__halflEEZNS1_25segmented_radix_sort_implIS3_Lb0EPKS5_PS5_PKlPlN2at6native12_GLOBAL__N_18offset_tEEE10hipError_tPvRmT1_PNSt15iterator_traitsISL_E10value_typeET2_T3_PNSM_ISR_E10value_typeET4_jRbjT5_SX_jjP12ihipStream_tbEUlT_E0_NS1_11comp_targetILNS1_3genE10ELNS1_11target_archE1200ELNS1_3gpuE4ELNS1_3repE0EEENS1_60segmented_radix_sort_warp_sort_medium_config_static_selectorELNS0_4arch9wavefront6targetE0EEEvSL_.has_dyn_sized_stack, 0
	.set _ZN7rocprim17ROCPRIM_400000_NS6detail17trampoline_kernelINS0_14default_configENS1_36segmented_radix_sort_config_selectorI6__halflEEZNS1_25segmented_radix_sort_implIS3_Lb0EPKS5_PS5_PKlPlN2at6native12_GLOBAL__N_18offset_tEEE10hipError_tPvRmT1_PNSt15iterator_traitsISL_E10value_typeET2_T3_PNSM_ISR_E10value_typeET4_jRbjT5_SX_jjP12ihipStream_tbEUlT_E0_NS1_11comp_targetILNS1_3genE10ELNS1_11target_archE1200ELNS1_3gpuE4ELNS1_3repE0EEENS1_60segmented_radix_sort_warp_sort_medium_config_static_selectorELNS0_4arch9wavefront6targetE0EEEvSL_.has_recursion, 0
	.set _ZN7rocprim17ROCPRIM_400000_NS6detail17trampoline_kernelINS0_14default_configENS1_36segmented_radix_sort_config_selectorI6__halflEEZNS1_25segmented_radix_sort_implIS3_Lb0EPKS5_PS5_PKlPlN2at6native12_GLOBAL__N_18offset_tEEE10hipError_tPvRmT1_PNSt15iterator_traitsISL_E10value_typeET2_T3_PNSM_ISR_E10value_typeET4_jRbjT5_SX_jjP12ihipStream_tbEUlT_E0_NS1_11comp_targetILNS1_3genE10ELNS1_11target_archE1200ELNS1_3gpuE4ELNS1_3repE0EEENS1_60segmented_radix_sort_warp_sort_medium_config_static_selectorELNS0_4arch9wavefront6targetE0EEEvSL_.has_indirect_call, 0
	.section	.AMDGPU.csdata,"",@progbits
; Kernel info:
; codeLenInByte = 0
; TotalNumSgprs: 0
; NumVgprs: 0
; ScratchSize: 0
; MemoryBound: 0
; FloatMode: 240
; IeeeMode: 1
; LDSByteSize: 0 bytes/workgroup (compile time only)
; SGPRBlocks: 0
; VGPRBlocks: 0
; NumSGPRsForWavesPerEU: 1
; NumVGPRsForWavesPerEU: 1
; Occupancy: 16
; WaveLimiterHint : 0
; COMPUTE_PGM_RSRC2:SCRATCH_EN: 0
; COMPUTE_PGM_RSRC2:USER_SGPR: 6
; COMPUTE_PGM_RSRC2:TRAP_HANDLER: 0
; COMPUTE_PGM_RSRC2:TGID_X_EN: 1
; COMPUTE_PGM_RSRC2:TGID_Y_EN: 0
; COMPUTE_PGM_RSRC2:TGID_Z_EN: 0
; COMPUTE_PGM_RSRC2:TIDIG_COMP_CNT: 0
	.section	.text._ZN7rocprim17ROCPRIM_400000_NS6detail17trampoline_kernelINS0_14default_configENS1_36segmented_radix_sort_config_selectorI6__halflEEZNS1_25segmented_radix_sort_implIS3_Lb0EPKS5_PS5_PKlPlN2at6native12_GLOBAL__N_18offset_tEEE10hipError_tPvRmT1_PNSt15iterator_traitsISL_E10value_typeET2_T3_PNSM_ISR_E10value_typeET4_jRbjT5_SX_jjP12ihipStream_tbEUlT_E0_NS1_11comp_targetILNS1_3genE9ELNS1_11target_archE1100ELNS1_3gpuE3ELNS1_3repE0EEENS1_60segmented_radix_sort_warp_sort_medium_config_static_selectorELNS0_4arch9wavefront6targetE0EEEvSL_,"axG",@progbits,_ZN7rocprim17ROCPRIM_400000_NS6detail17trampoline_kernelINS0_14default_configENS1_36segmented_radix_sort_config_selectorI6__halflEEZNS1_25segmented_radix_sort_implIS3_Lb0EPKS5_PS5_PKlPlN2at6native12_GLOBAL__N_18offset_tEEE10hipError_tPvRmT1_PNSt15iterator_traitsISL_E10value_typeET2_T3_PNSM_ISR_E10value_typeET4_jRbjT5_SX_jjP12ihipStream_tbEUlT_E0_NS1_11comp_targetILNS1_3genE9ELNS1_11target_archE1100ELNS1_3gpuE3ELNS1_3repE0EEENS1_60segmented_radix_sort_warp_sort_medium_config_static_selectorELNS0_4arch9wavefront6targetE0EEEvSL_,comdat
	.globl	_ZN7rocprim17ROCPRIM_400000_NS6detail17trampoline_kernelINS0_14default_configENS1_36segmented_radix_sort_config_selectorI6__halflEEZNS1_25segmented_radix_sort_implIS3_Lb0EPKS5_PS5_PKlPlN2at6native12_GLOBAL__N_18offset_tEEE10hipError_tPvRmT1_PNSt15iterator_traitsISL_E10value_typeET2_T3_PNSM_ISR_E10value_typeET4_jRbjT5_SX_jjP12ihipStream_tbEUlT_E0_NS1_11comp_targetILNS1_3genE9ELNS1_11target_archE1100ELNS1_3gpuE3ELNS1_3repE0EEENS1_60segmented_radix_sort_warp_sort_medium_config_static_selectorELNS0_4arch9wavefront6targetE0EEEvSL_ ; -- Begin function _ZN7rocprim17ROCPRIM_400000_NS6detail17trampoline_kernelINS0_14default_configENS1_36segmented_radix_sort_config_selectorI6__halflEEZNS1_25segmented_radix_sort_implIS3_Lb0EPKS5_PS5_PKlPlN2at6native12_GLOBAL__N_18offset_tEEE10hipError_tPvRmT1_PNSt15iterator_traitsISL_E10value_typeET2_T3_PNSM_ISR_E10value_typeET4_jRbjT5_SX_jjP12ihipStream_tbEUlT_E0_NS1_11comp_targetILNS1_3genE9ELNS1_11target_archE1100ELNS1_3gpuE3ELNS1_3repE0EEENS1_60segmented_radix_sort_warp_sort_medium_config_static_selectorELNS0_4arch9wavefront6targetE0EEEvSL_
	.p2align	8
	.type	_ZN7rocprim17ROCPRIM_400000_NS6detail17trampoline_kernelINS0_14default_configENS1_36segmented_radix_sort_config_selectorI6__halflEEZNS1_25segmented_radix_sort_implIS3_Lb0EPKS5_PS5_PKlPlN2at6native12_GLOBAL__N_18offset_tEEE10hipError_tPvRmT1_PNSt15iterator_traitsISL_E10value_typeET2_T3_PNSM_ISR_E10value_typeET4_jRbjT5_SX_jjP12ihipStream_tbEUlT_E0_NS1_11comp_targetILNS1_3genE9ELNS1_11target_archE1100ELNS1_3gpuE3ELNS1_3repE0EEENS1_60segmented_radix_sort_warp_sort_medium_config_static_selectorELNS0_4arch9wavefront6targetE0EEEvSL_,@function
_ZN7rocprim17ROCPRIM_400000_NS6detail17trampoline_kernelINS0_14default_configENS1_36segmented_radix_sort_config_selectorI6__halflEEZNS1_25segmented_radix_sort_implIS3_Lb0EPKS5_PS5_PKlPlN2at6native12_GLOBAL__N_18offset_tEEE10hipError_tPvRmT1_PNSt15iterator_traitsISL_E10value_typeET2_T3_PNSM_ISR_E10value_typeET4_jRbjT5_SX_jjP12ihipStream_tbEUlT_E0_NS1_11comp_targetILNS1_3genE9ELNS1_11target_archE1100ELNS1_3gpuE3ELNS1_3repE0EEENS1_60segmented_radix_sort_warp_sort_medium_config_static_selectorELNS0_4arch9wavefront6targetE0EEEvSL_: ; @_ZN7rocprim17ROCPRIM_400000_NS6detail17trampoline_kernelINS0_14default_configENS1_36segmented_radix_sort_config_selectorI6__halflEEZNS1_25segmented_radix_sort_implIS3_Lb0EPKS5_PS5_PKlPlN2at6native12_GLOBAL__N_18offset_tEEE10hipError_tPvRmT1_PNSt15iterator_traitsISL_E10value_typeET2_T3_PNSM_ISR_E10value_typeET4_jRbjT5_SX_jjP12ihipStream_tbEUlT_E0_NS1_11comp_targetILNS1_3genE9ELNS1_11target_archE1100ELNS1_3gpuE3ELNS1_3repE0EEENS1_60segmented_radix_sort_warp_sort_medium_config_static_selectorELNS0_4arch9wavefront6targetE0EEEvSL_
; %bb.0:
	.section	.rodata,"a",@progbits
	.p2align	6, 0x0
	.amdhsa_kernel _ZN7rocprim17ROCPRIM_400000_NS6detail17trampoline_kernelINS0_14default_configENS1_36segmented_radix_sort_config_selectorI6__halflEEZNS1_25segmented_radix_sort_implIS3_Lb0EPKS5_PS5_PKlPlN2at6native12_GLOBAL__N_18offset_tEEE10hipError_tPvRmT1_PNSt15iterator_traitsISL_E10value_typeET2_T3_PNSM_ISR_E10value_typeET4_jRbjT5_SX_jjP12ihipStream_tbEUlT_E0_NS1_11comp_targetILNS1_3genE9ELNS1_11target_archE1100ELNS1_3gpuE3ELNS1_3repE0EEENS1_60segmented_radix_sort_warp_sort_medium_config_static_selectorELNS0_4arch9wavefront6targetE0EEEvSL_
		.amdhsa_group_segment_fixed_size 0
		.amdhsa_private_segment_fixed_size 0
		.amdhsa_kernarg_size 88
		.amdhsa_user_sgpr_count 6
		.amdhsa_user_sgpr_private_segment_buffer 1
		.amdhsa_user_sgpr_dispatch_ptr 0
		.amdhsa_user_sgpr_queue_ptr 0
		.amdhsa_user_sgpr_kernarg_segment_ptr 1
		.amdhsa_user_sgpr_dispatch_id 0
		.amdhsa_user_sgpr_flat_scratch_init 0
		.amdhsa_user_sgpr_private_segment_size 0
		.amdhsa_wavefront_size32 1
		.amdhsa_uses_dynamic_stack 0
		.amdhsa_system_sgpr_private_segment_wavefront_offset 0
		.amdhsa_system_sgpr_workgroup_id_x 1
		.amdhsa_system_sgpr_workgroup_id_y 0
		.amdhsa_system_sgpr_workgroup_id_z 0
		.amdhsa_system_sgpr_workgroup_info 0
		.amdhsa_system_vgpr_workitem_id 0
		.amdhsa_next_free_vgpr 1
		.amdhsa_next_free_sgpr 1
		.amdhsa_reserve_vcc 0
		.amdhsa_reserve_flat_scratch 0
		.amdhsa_float_round_mode_32 0
		.amdhsa_float_round_mode_16_64 0
		.amdhsa_float_denorm_mode_32 3
		.amdhsa_float_denorm_mode_16_64 3
		.amdhsa_dx10_clamp 1
		.amdhsa_ieee_mode 1
		.amdhsa_fp16_overflow 0
		.amdhsa_workgroup_processor_mode 1
		.amdhsa_memory_ordered 1
		.amdhsa_forward_progress 1
		.amdhsa_shared_vgpr_count 0
		.amdhsa_exception_fp_ieee_invalid_op 0
		.amdhsa_exception_fp_denorm_src 0
		.amdhsa_exception_fp_ieee_div_zero 0
		.amdhsa_exception_fp_ieee_overflow 0
		.amdhsa_exception_fp_ieee_underflow 0
		.amdhsa_exception_fp_ieee_inexact 0
		.amdhsa_exception_int_div_zero 0
	.end_amdhsa_kernel
	.section	.text._ZN7rocprim17ROCPRIM_400000_NS6detail17trampoline_kernelINS0_14default_configENS1_36segmented_radix_sort_config_selectorI6__halflEEZNS1_25segmented_radix_sort_implIS3_Lb0EPKS5_PS5_PKlPlN2at6native12_GLOBAL__N_18offset_tEEE10hipError_tPvRmT1_PNSt15iterator_traitsISL_E10value_typeET2_T3_PNSM_ISR_E10value_typeET4_jRbjT5_SX_jjP12ihipStream_tbEUlT_E0_NS1_11comp_targetILNS1_3genE9ELNS1_11target_archE1100ELNS1_3gpuE3ELNS1_3repE0EEENS1_60segmented_radix_sort_warp_sort_medium_config_static_selectorELNS0_4arch9wavefront6targetE0EEEvSL_,"axG",@progbits,_ZN7rocprim17ROCPRIM_400000_NS6detail17trampoline_kernelINS0_14default_configENS1_36segmented_radix_sort_config_selectorI6__halflEEZNS1_25segmented_radix_sort_implIS3_Lb0EPKS5_PS5_PKlPlN2at6native12_GLOBAL__N_18offset_tEEE10hipError_tPvRmT1_PNSt15iterator_traitsISL_E10value_typeET2_T3_PNSM_ISR_E10value_typeET4_jRbjT5_SX_jjP12ihipStream_tbEUlT_E0_NS1_11comp_targetILNS1_3genE9ELNS1_11target_archE1100ELNS1_3gpuE3ELNS1_3repE0EEENS1_60segmented_radix_sort_warp_sort_medium_config_static_selectorELNS0_4arch9wavefront6targetE0EEEvSL_,comdat
.Lfunc_end1849:
	.size	_ZN7rocprim17ROCPRIM_400000_NS6detail17trampoline_kernelINS0_14default_configENS1_36segmented_radix_sort_config_selectorI6__halflEEZNS1_25segmented_radix_sort_implIS3_Lb0EPKS5_PS5_PKlPlN2at6native12_GLOBAL__N_18offset_tEEE10hipError_tPvRmT1_PNSt15iterator_traitsISL_E10value_typeET2_T3_PNSM_ISR_E10value_typeET4_jRbjT5_SX_jjP12ihipStream_tbEUlT_E0_NS1_11comp_targetILNS1_3genE9ELNS1_11target_archE1100ELNS1_3gpuE3ELNS1_3repE0EEENS1_60segmented_radix_sort_warp_sort_medium_config_static_selectorELNS0_4arch9wavefront6targetE0EEEvSL_, .Lfunc_end1849-_ZN7rocprim17ROCPRIM_400000_NS6detail17trampoline_kernelINS0_14default_configENS1_36segmented_radix_sort_config_selectorI6__halflEEZNS1_25segmented_radix_sort_implIS3_Lb0EPKS5_PS5_PKlPlN2at6native12_GLOBAL__N_18offset_tEEE10hipError_tPvRmT1_PNSt15iterator_traitsISL_E10value_typeET2_T3_PNSM_ISR_E10value_typeET4_jRbjT5_SX_jjP12ihipStream_tbEUlT_E0_NS1_11comp_targetILNS1_3genE9ELNS1_11target_archE1100ELNS1_3gpuE3ELNS1_3repE0EEENS1_60segmented_radix_sort_warp_sort_medium_config_static_selectorELNS0_4arch9wavefront6targetE0EEEvSL_
                                        ; -- End function
	.set _ZN7rocprim17ROCPRIM_400000_NS6detail17trampoline_kernelINS0_14default_configENS1_36segmented_radix_sort_config_selectorI6__halflEEZNS1_25segmented_radix_sort_implIS3_Lb0EPKS5_PS5_PKlPlN2at6native12_GLOBAL__N_18offset_tEEE10hipError_tPvRmT1_PNSt15iterator_traitsISL_E10value_typeET2_T3_PNSM_ISR_E10value_typeET4_jRbjT5_SX_jjP12ihipStream_tbEUlT_E0_NS1_11comp_targetILNS1_3genE9ELNS1_11target_archE1100ELNS1_3gpuE3ELNS1_3repE0EEENS1_60segmented_radix_sort_warp_sort_medium_config_static_selectorELNS0_4arch9wavefront6targetE0EEEvSL_.num_vgpr, 0
	.set _ZN7rocprim17ROCPRIM_400000_NS6detail17trampoline_kernelINS0_14default_configENS1_36segmented_radix_sort_config_selectorI6__halflEEZNS1_25segmented_radix_sort_implIS3_Lb0EPKS5_PS5_PKlPlN2at6native12_GLOBAL__N_18offset_tEEE10hipError_tPvRmT1_PNSt15iterator_traitsISL_E10value_typeET2_T3_PNSM_ISR_E10value_typeET4_jRbjT5_SX_jjP12ihipStream_tbEUlT_E0_NS1_11comp_targetILNS1_3genE9ELNS1_11target_archE1100ELNS1_3gpuE3ELNS1_3repE0EEENS1_60segmented_radix_sort_warp_sort_medium_config_static_selectorELNS0_4arch9wavefront6targetE0EEEvSL_.num_agpr, 0
	.set _ZN7rocprim17ROCPRIM_400000_NS6detail17trampoline_kernelINS0_14default_configENS1_36segmented_radix_sort_config_selectorI6__halflEEZNS1_25segmented_radix_sort_implIS3_Lb0EPKS5_PS5_PKlPlN2at6native12_GLOBAL__N_18offset_tEEE10hipError_tPvRmT1_PNSt15iterator_traitsISL_E10value_typeET2_T3_PNSM_ISR_E10value_typeET4_jRbjT5_SX_jjP12ihipStream_tbEUlT_E0_NS1_11comp_targetILNS1_3genE9ELNS1_11target_archE1100ELNS1_3gpuE3ELNS1_3repE0EEENS1_60segmented_radix_sort_warp_sort_medium_config_static_selectorELNS0_4arch9wavefront6targetE0EEEvSL_.numbered_sgpr, 0
	.set _ZN7rocprim17ROCPRIM_400000_NS6detail17trampoline_kernelINS0_14default_configENS1_36segmented_radix_sort_config_selectorI6__halflEEZNS1_25segmented_radix_sort_implIS3_Lb0EPKS5_PS5_PKlPlN2at6native12_GLOBAL__N_18offset_tEEE10hipError_tPvRmT1_PNSt15iterator_traitsISL_E10value_typeET2_T3_PNSM_ISR_E10value_typeET4_jRbjT5_SX_jjP12ihipStream_tbEUlT_E0_NS1_11comp_targetILNS1_3genE9ELNS1_11target_archE1100ELNS1_3gpuE3ELNS1_3repE0EEENS1_60segmented_radix_sort_warp_sort_medium_config_static_selectorELNS0_4arch9wavefront6targetE0EEEvSL_.num_named_barrier, 0
	.set _ZN7rocprim17ROCPRIM_400000_NS6detail17trampoline_kernelINS0_14default_configENS1_36segmented_radix_sort_config_selectorI6__halflEEZNS1_25segmented_radix_sort_implIS3_Lb0EPKS5_PS5_PKlPlN2at6native12_GLOBAL__N_18offset_tEEE10hipError_tPvRmT1_PNSt15iterator_traitsISL_E10value_typeET2_T3_PNSM_ISR_E10value_typeET4_jRbjT5_SX_jjP12ihipStream_tbEUlT_E0_NS1_11comp_targetILNS1_3genE9ELNS1_11target_archE1100ELNS1_3gpuE3ELNS1_3repE0EEENS1_60segmented_radix_sort_warp_sort_medium_config_static_selectorELNS0_4arch9wavefront6targetE0EEEvSL_.private_seg_size, 0
	.set _ZN7rocprim17ROCPRIM_400000_NS6detail17trampoline_kernelINS0_14default_configENS1_36segmented_radix_sort_config_selectorI6__halflEEZNS1_25segmented_radix_sort_implIS3_Lb0EPKS5_PS5_PKlPlN2at6native12_GLOBAL__N_18offset_tEEE10hipError_tPvRmT1_PNSt15iterator_traitsISL_E10value_typeET2_T3_PNSM_ISR_E10value_typeET4_jRbjT5_SX_jjP12ihipStream_tbEUlT_E0_NS1_11comp_targetILNS1_3genE9ELNS1_11target_archE1100ELNS1_3gpuE3ELNS1_3repE0EEENS1_60segmented_radix_sort_warp_sort_medium_config_static_selectorELNS0_4arch9wavefront6targetE0EEEvSL_.uses_vcc, 0
	.set _ZN7rocprim17ROCPRIM_400000_NS6detail17trampoline_kernelINS0_14default_configENS1_36segmented_radix_sort_config_selectorI6__halflEEZNS1_25segmented_radix_sort_implIS3_Lb0EPKS5_PS5_PKlPlN2at6native12_GLOBAL__N_18offset_tEEE10hipError_tPvRmT1_PNSt15iterator_traitsISL_E10value_typeET2_T3_PNSM_ISR_E10value_typeET4_jRbjT5_SX_jjP12ihipStream_tbEUlT_E0_NS1_11comp_targetILNS1_3genE9ELNS1_11target_archE1100ELNS1_3gpuE3ELNS1_3repE0EEENS1_60segmented_radix_sort_warp_sort_medium_config_static_selectorELNS0_4arch9wavefront6targetE0EEEvSL_.uses_flat_scratch, 0
	.set _ZN7rocprim17ROCPRIM_400000_NS6detail17trampoline_kernelINS0_14default_configENS1_36segmented_radix_sort_config_selectorI6__halflEEZNS1_25segmented_radix_sort_implIS3_Lb0EPKS5_PS5_PKlPlN2at6native12_GLOBAL__N_18offset_tEEE10hipError_tPvRmT1_PNSt15iterator_traitsISL_E10value_typeET2_T3_PNSM_ISR_E10value_typeET4_jRbjT5_SX_jjP12ihipStream_tbEUlT_E0_NS1_11comp_targetILNS1_3genE9ELNS1_11target_archE1100ELNS1_3gpuE3ELNS1_3repE0EEENS1_60segmented_radix_sort_warp_sort_medium_config_static_selectorELNS0_4arch9wavefront6targetE0EEEvSL_.has_dyn_sized_stack, 0
	.set _ZN7rocprim17ROCPRIM_400000_NS6detail17trampoline_kernelINS0_14default_configENS1_36segmented_radix_sort_config_selectorI6__halflEEZNS1_25segmented_radix_sort_implIS3_Lb0EPKS5_PS5_PKlPlN2at6native12_GLOBAL__N_18offset_tEEE10hipError_tPvRmT1_PNSt15iterator_traitsISL_E10value_typeET2_T3_PNSM_ISR_E10value_typeET4_jRbjT5_SX_jjP12ihipStream_tbEUlT_E0_NS1_11comp_targetILNS1_3genE9ELNS1_11target_archE1100ELNS1_3gpuE3ELNS1_3repE0EEENS1_60segmented_radix_sort_warp_sort_medium_config_static_selectorELNS0_4arch9wavefront6targetE0EEEvSL_.has_recursion, 0
	.set _ZN7rocprim17ROCPRIM_400000_NS6detail17trampoline_kernelINS0_14default_configENS1_36segmented_radix_sort_config_selectorI6__halflEEZNS1_25segmented_radix_sort_implIS3_Lb0EPKS5_PS5_PKlPlN2at6native12_GLOBAL__N_18offset_tEEE10hipError_tPvRmT1_PNSt15iterator_traitsISL_E10value_typeET2_T3_PNSM_ISR_E10value_typeET4_jRbjT5_SX_jjP12ihipStream_tbEUlT_E0_NS1_11comp_targetILNS1_3genE9ELNS1_11target_archE1100ELNS1_3gpuE3ELNS1_3repE0EEENS1_60segmented_radix_sort_warp_sort_medium_config_static_selectorELNS0_4arch9wavefront6targetE0EEEvSL_.has_indirect_call, 0
	.section	.AMDGPU.csdata,"",@progbits
; Kernel info:
; codeLenInByte = 0
; TotalNumSgprs: 0
; NumVgprs: 0
; ScratchSize: 0
; MemoryBound: 0
; FloatMode: 240
; IeeeMode: 1
; LDSByteSize: 0 bytes/workgroup (compile time only)
; SGPRBlocks: 0
; VGPRBlocks: 0
; NumSGPRsForWavesPerEU: 1
; NumVGPRsForWavesPerEU: 1
; Occupancy: 16
; WaveLimiterHint : 0
; COMPUTE_PGM_RSRC2:SCRATCH_EN: 0
; COMPUTE_PGM_RSRC2:USER_SGPR: 6
; COMPUTE_PGM_RSRC2:TRAP_HANDLER: 0
; COMPUTE_PGM_RSRC2:TGID_X_EN: 1
; COMPUTE_PGM_RSRC2:TGID_Y_EN: 0
; COMPUTE_PGM_RSRC2:TGID_Z_EN: 0
; COMPUTE_PGM_RSRC2:TIDIG_COMP_CNT: 0
	.text
	.p2align	2                               ; -- Begin function _ZN7rocprim17ROCPRIM_400000_NS6detail26segmented_warp_sort_helperINS1_20WarpSortHelperConfigILj16ELj8ELj256EEE6__halflLi256ELb0EvE4sortIPKS5_PS5_PKlPlEEvT_T0_T1_T2_jjjjRNS6_12storage_typeE
	.type	_ZN7rocprim17ROCPRIM_400000_NS6detail26segmented_warp_sort_helperINS1_20WarpSortHelperConfigILj16ELj8ELj256EEE6__halflLi256ELb0EvE4sortIPKS5_PS5_PKlPlEEvT_T0_T1_T2_jjjjRNS6_12storage_typeE,@function
_ZN7rocprim17ROCPRIM_400000_NS6detail26segmented_warp_sort_helperINS1_20WarpSortHelperConfigILj16ELj8ELj256EEE6__halflLi256ELb0EvE4sortIPKS5_PS5_PKlPlEEvT_T0_T1_T2_jjjjRNS6_12storage_typeE: ; @_ZN7rocprim17ROCPRIM_400000_NS6detail26segmented_warp_sort_helperINS1_20WarpSortHelperConfigILj16ELj8ELj256EEE6__halflLi256ELb0EvE4sortIPKS5_PS5_PKlPlEEvT_T0_T1_T2_jjjjRNS6_12storage_typeE
; %bb.0:
	s_waitcnt vmcnt(0) expcnt(0) lgkmcnt(0)
	v_mov_b32_e32 v10, v9
	v_mbcnt_lo_u32_b32 v9, -1, 0
	v_mov_b32_e32 v39, 0x7fff
	v_mov_b32_e32 v36, 0x7fff
	v_sub_nc_u32_e32 v10, v10, v8
	v_lshlrev_b32_e32 v35, 3, v9
	v_mov_b32_e32 v9, 0
	v_and_b32_e32 v34, 0x78, v35
	v_lshlrev_b64 v[11:12], 1, v[8:9]
	v_lshlrev_b32_e32 v32, 1, v34
	v_add_co_u32 v0, vcc_lo, v0, v11
	v_add_co_ci_u32_e64 v1, null, v1, v12, vcc_lo
	v_add_co_u32 v0, vcc_lo, v0, v32
	v_add_co_ci_u32_e64 v1, null, 0, v1, vcc_lo
	v_cmp_lt_u32_e32 vcc_lo, v34, v10
	s_and_saveexec_b32 s4, vcc_lo
	s_cbranch_execz .LBB1850_2
; %bb.1:
	flat_load_ushort v36, v[0:1]
.LBB1850_2:
	s_or_b32 exec_lo, exec_lo, s4
	v_or_b32_e32 v13, 1, v34
	v_cmp_lt_u32_e64 s4, v13, v10
	s_and_saveexec_b32 s5, s4
	s_cbranch_execz .LBB1850_4
; %bb.3:
	flat_load_ushort v39, v[0:1] offset:2
.LBB1850_4:
	s_or_b32 exec_lo, exec_lo, s5
	v_or_b32_e32 v13, 2, v34
	v_mov_b32_e32 v51, 0x7fff
	v_mov_b32_e32 v48, 0x7fff
	v_cmp_lt_u32_e64 s5, v13, v10
	s_and_saveexec_b32 s6, s5
	s_cbranch_execz .LBB1850_6
; %bb.5:
	flat_load_ushort v48, v[0:1] offset:4
.LBB1850_6:
	s_or_b32 exec_lo, exec_lo, s6
	v_or_b32_e32 v13, 3, v34
	v_cmp_lt_u32_e64 s6, v13, v10
	s_and_saveexec_b32 s7, s6
	s_cbranch_execz .LBB1850_8
; %bb.7:
	flat_load_ushort v51, v[0:1] offset:6
.LBB1850_8:
	s_or_b32 exec_lo, exec_lo, s7
	v_or_b32_e32 v13, 4, v34
	v_mov_b32_e32 v38, 0x7fff
	v_mov_b32_e32 v49, 0x7fff
	v_cmp_lt_u32_e64 s7, v13, v10
	s_and_saveexec_b32 s10, s7
	s_cbranch_execz .LBB1850_10
; %bb.9:
	flat_load_ushort v49, v[0:1] offset:8
.LBB1850_10:
	s_or_b32 exec_lo, exec_lo, s10
	v_or_b32_e32 v13, 5, v34
	v_cmp_lt_u32_e64 s10, v13, v10
	s_and_saveexec_b32 s11, s10
	s_cbranch_execz .LBB1850_12
; %bb.11:
	flat_load_ushort v38, v[0:1] offset:10
.LBB1850_12:
	s_or_b32 exec_lo, exec_lo, s11
	v_or_b32_e32 v13, 6, v34
	v_mov_b32_e32 v37, 0x7fff
	v_mov_b32_e32 v50, 0x7fff
	v_cmp_lt_u32_e64 s11, v13, v10
	s_and_saveexec_b32 s14, s11
	s_cbranch_execz .LBB1850_14
; %bb.13:
	flat_load_ushort v50, v[0:1] offset:12
.LBB1850_14:
	s_or_b32 exec_lo, exec_lo, s14
	v_or_b32_e32 v13, 7, v34
	v_cmp_lt_u32_e64 s14, v13, v10
	s_and_saveexec_b32 s15, s14
	s_cbranch_execz .LBB1850_16
; %bb.15:
	flat_load_ushort v37, v[0:1] offset:14
.LBB1850_16:
	s_or_b32 exec_lo, exec_lo, s15
	v_lshlrev_b64 v[0:1], 3, v[8:9]
	v_lshlrev_b32_e32 v33, 3, v34
	; wave barrier
	v_add_co_u32 v4, s15, v4, v0
	v_add_co_ci_u32_e64 v5, null, v5, v1, s15
	v_add_co_u32 v13, s15, v4, v33
	v_add_co_ci_u32_e64 v14, null, 0, v5, s15
                                        ; implicit-def: $vgpr4_vgpr5
	s_and_saveexec_b32 s15, vcc_lo
	s_cbranch_execnz .LBB1850_261
; %bb.17:
	s_or_b32 exec_lo, exec_lo, s15
                                        ; implicit-def: $vgpr8_vgpr9
	s_and_saveexec_b32 s15, s4
	s_cbranch_execnz .LBB1850_262
.LBB1850_18:
	s_or_b32 exec_lo, exec_lo, s15
                                        ; implicit-def: $vgpr15_vgpr16
	s_and_saveexec_b32 s15, s5
	s_cbranch_execnz .LBB1850_263
.LBB1850_19:
	s_or_b32 exec_lo, exec_lo, s15
                                        ; implicit-def: $vgpr17_vgpr18
	s_and_saveexec_b32 s15, s6
	s_cbranch_execnz .LBB1850_264
.LBB1850_20:
	s_or_b32 exec_lo, exec_lo, s15
                                        ; implicit-def: $vgpr19_vgpr20
	s_and_saveexec_b32 s15, s7
	s_cbranch_execnz .LBB1850_265
.LBB1850_21:
	s_or_b32 exec_lo, exec_lo, s15
                                        ; implicit-def: $vgpr23_vgpr24
	s_and_saveexec_b32 s15, s10
	s_cbranch_execnz .LBB1850_266
.LBB1850_22:
	s_or_b32 exec_lo, exec_lo, s15
                                        ; implicit-def: $vgpr21_vgpr22
	s_and_saveexec_b32 s15, s11
	s_cbranch_execnz .LBB1850_267
.LBB1850_23:
	s_or_b32 exec_lo, exec_lo, s15
                                        ; implicit-def: $vgpr25_vgpr26
	s_and_saveexec_b32 s15, s14
	s_cbranch_execz .LBB1850_25
.LBB1850_24:
	flat_load_dwordx2 v[25:26], v[13:14] offset:56
.LBB1850_25:
	s_or_b32 exec_lo, exec_lo, s15
	; wave barrier
	s_load_dwordx2 s[16:17], s[8:9], 0x0
	v_mov_b32_e32 v10, 0
	v_bfe_u32 v14, v31, 10, 10
	v_bfe_u32 v27, v31, 20, 10
	s_waitcnt lgkmcnt(0)
	s_cmp_lt_u32 s13, s17
	s_cselect_b32 s13, 14, 20
	s_add_u32 s18, s8, s13
	s_addc_u32 s19, s9, 0
	s_cmp_lt_u32 s12, s16
	global_load_ushort v13, v10, s[18:19]
	s_cselect_b32 s12, 12, 18
	s_add_u32 s8, s8, s12
	s_addc_u32 s9, s9, 0
	global_load_ushort v10, v10, s[8:9]
	s_mov_b32 s9, exec_lo
	s_waitcnt vmcnt(1)
	v_mad_u32_u24 v13, v27, v13, v14
	s_waitcnt vmcnt(0)
	v_mul_lo_u32 v10, v13, v10
	v_and_b32_e32 v13, 0x3ff, v31
	v_add_lshl_u32 v10, v10, v13, 3
	v_cmpx_gt_u32_e32 0x800, v10
	s_cbranch_execz .LBB1850_83
; %bb.26:
	v_add_f16_e32 v13, 0, v36
	v_add_f16_e32 v14, 0, v39
	v_mov_b32_e32 v31, v39
	s_mov_b32 s12, exec_lo
	v_cmp_lt_i16_e64 s8, -1, v13
	v_cndmask_b32_e64 v27, -1, 0xffff8000, s8
	v_cmp_lt_i16_e64 s8, -1, v14
	v_xor_b32_e32 v13, v27, v13
	v_cndmask_b32_e64 v28, -1, 0xffff8000, s8
	v_xor_b32_e32 v14, v28, v14
	v_mov_b32_e32 v28, v9
	v_mov_b32_e32 v27, v8
	v_cmpx_gt_u16_e64 v13, v14
; %bb.27:
	v_mov_b32_e32 v28, v5
	v_mov_b32_e32 v27, v4
	;; [unrolled: 1-line block ×6, first 2 shown]
; %bb.28:
	s_or_b32 exec_lo, exec_lo, s12
	v_add_f16_e32 v8, 0, v48
	v_add_f16_e32 v9, 0, v51
	v_mov_b32_e32 v30, v18
	v_mov_b32_e32 v52, v51
	v_mov_b32_e32 v29, v17
	v_cmp_lt_i16_e64 s8, -1, v8
	s_mov_b32 s12, exec_lo
	v_cndmask_b32_e64 v13, -1, 0xffff8000, s8
	v_cmp_lt_i16_e64 s8, -1, v9
	v_xor_b32_e32 v8, v13, v8
	v_cndmask_b32_e64 v14, -1, 0xffff8000, s8
	v_xor_b32_e32 v9, v14, v9
	v_cmpx_gt_u16_e64 v8, v9
; %bb.29:
	v_mov_b32_e32 v30, v16
	v_mov_b32_e32 v29, v15
	;; [unrolled: 1-line block ×6, first 2 shown]
; %bb.30:
	s_or_b32 exec_lo, exec_lo, s12
	v_add_f16_e32 v8, 0, v49
	v_add_f16_e32 v9, 0, v38
	v_mov_b32_e32 v51, v49
	s_mov_b32 s12, exec_lo
	v_cmp_lt_i16_e64 s8, -1, v8
	v_cndmask_b32_e64 v13, -1, 0xffff8000, s8
	v_cmp_lt_i16_e64 s8, -1, v9
	v_xor_b32_e32 v8, v13, v8
	v_cndmask_b32_e64 v14, -1, 0xffff8000, s8
	v_xor_b32_e32 v9, v14, v9
	v_mov_b32_e32 v13, v23
	v_mov_b32_e32 v14, v24
	v_cmpx_gt_u16_e64 v8, v9
; %bb.31:
	v_mov_b32_e32 v13, v19
	v_mov_b32_e32 v14, v20
	;; [unrolled: 1-line block ×6, first 2 shown]
; %bb.32:
	s_or_b32 exec_lo, exec_lo, s12
	v_add_f16_e32 v8, 0, v50
	v_add_f16_e32 v9, 0, v37
	v_mov_b32_e32 v49, v50
	s_mov_b32 s12, exec_lo
	v_cmp_lt_i16_e64 s8, -1, v8
	v_cndmask_b32_e64 v17, -1, 0xffff8000, s8
	v_cmp_lt_i16_e64 s8, -1, v9
	v_xor_b32_e32 v17, v17, v8
	v_cndmask_b32_e64 v18, -1, 0xffff8000, s8
	v_xor_b32_e32 v18, v18, v9
	v_mov_b32_e32 v8, v25
	v_mov_b32_e32 v9, v26
	v_cmpx_gt_u16_e64 v17, v18
; %bb.33:
	v_mov_b32_e32 v8, v21
	v_mov_b32_e32 v9, v22
	;; [unrolled: 1-line block ×6, first 2 shown]
; %bb.34:
	s_or_b32 exec_lo, exec_lo, s12
	v_add_f16_e32 v17, 0, v31
	v_add_f16_e32 v18, 0, v48
	v_mov_b32_e32 v39, v48
	v_cmp_lt_i16_e64 s8, -1, v17
	v_cndmask_b32_e64 v23, -1, 0xffff8000, s8
	v_cmp_lt_i16_e64 s8, -1, v18
	v_xor_b32_e32 v17, v23, v17
	v_cndmask_b32_e64 v24, -1, 0xffff8000, s8
	v_xor_b32_e32 v18, v24, v18
	v_mov_b32_e32 v24, v16
	v_mov_b32_e32 v23, v15
	v_cmp_gt_u16_e64 s8, v17, v18
	s_and_saveexec_b32 s12, s8
	s_xor_b32 s8, exec_lo, s12
; %bb.35:
	v_mov_b32_e32 v23, v27
	v_mov_b32_e32 v24, v28
	;; [unrolled: 1-line block ×6, first 2 shown]
; %bb.36:
	s_or_b32 exec_lo, exec_lo, s8
	v_add_f16_e32 v15, 0, v52
	v_add_f16_e32 v16, 0, v51
	v_mov_b32_e32 v26, v20
	v_mov_b32_e32 v25, v19
	s_mov_b32 s12, exec_lo
	v_cmp_lt_i16_e64 s8, -1, v15
	v_cndmask_b32_e64 v17, -1, 0xffff8000, s8
	v_cmp_lt_i16_e64 s8, -1, v16
	v_xor_b32_e32 v15, v17, v15
	v_cndmask_b32_e64 v18, -1, 0xffff8000, s8
	v_mov_b32_e32 v17, v52
	v_xor_b32_e32 v16, v18, v16
	v_cmpx_gt_u16_e64 v15, v16
; %bb.37:
	v_mov_b32_e32 v25, v29
	v_mov_b32_e32 v26, v30
	;; [unrolled: 1-line block ×6, first 2 shown]
; %bb.38:
	s_or_b32 exec_lo, exec_lo, s12
	v_add_f16_e32 v15, 0, v38
	v_add_f16_e32 v16, 0, v49
	v_mov_b32_e32 v48, v38
	s_mov_b32 s12, exec_lo
	v_cmp_lt_i16_e64 s8, -1, v15
	v_cndmask_b32_e64 v18, -1, 0xffff8000, s8
	v_cmp_lt_i16_e64 s8, -1, v16
	v_xor_b32_e32 v18, v18, v15
	v_cndmask_b32_e64 v19, -1, 0xffff8000, s8
	v_xor_b32_e32 v19, v19, v16
	v_mov_b32_e32 v15, v21
	v_mov_b32_e32 v16, v22
	v_cmpx_gt_u16_e64 v18, v19
; %bb.39:
	v_mov_b32_e32 v16, v14
	v_mov_b32_e32 v15, v13
	;; [unrolled: 1-line block ×6, first 2 shown]
; %bb.40:
	s_or_b32 exec_lo, exec_lo, s12
	v_add_f16_e32 v18, 0, v36
	v_add_f16_e32 v19, 0, v31
	v_mov_b32_e32 v38, v31
	v_cmp_lt_i16_e64 s8, -1, v18
	v_cndmask_b32_e64 v20, -1, 0xffff8000, s8
	v_cmp_lt_i16_e64 s8, -1, v19
	v_xor_b32_e32 v18, v20, v18
	v_cndmask_b32_e64 v21, -1, 0xffff8000, s8
	v_xor_b32_e32 v19, v21, v19
	v_cmp_gt_u16_e64 s8, v18, v19
	v_mov_b32_e32 v19, v27
	v_mov_b32_e32 v20, v28
	s_and_saveexec_b32 s12, s8
; %bb.41:
	v_mov_b32_e32 v20, v5
	v_mov_b32_e32 v19, v4
	v_mov_b32_e32 v4, v27
	v_mov_b32_e32 v38, v36
	v_mov_b32_e32 v36, v31
	v_mov_b32_e32 v5, v28
; %bb.42:
	s_or_b32 exec_lo, exec_lo, s12
	v_add_f16_e32 v18, 0, v39
	v_add_f16_e32 v21, 0, v17
	v_mov_b32_e32 v53, v17
	s_mov_b32 s12, exec_lo
	v_cmp_lt_i16_e64 s8, -1, v18
	v_cndmask_b32_e64 v22, -1, 0xffff8000, s8
	v_cmp_lt_i16_e64 s8, -1, v21
	v_xor_b32_e32 v18, v22, v18
	v_cndmask_b32_e64 v27, -1, 0xffff8000, s8
	v_xor_b32_e32 v21, v27, v21
	v_mov_b32_e32 v27, v29
	v_mov_b32_e32 v28, v30
	v_cmpx_gt_u16_e64 v18, v21
; %bb.43:
	v_mov_b32_e32 v28, v24
	v_mov_b32_e32 v27, v23
	v_mov_b32_e32 v23, v29
	v_mov_b32_e32 v53, v39
	v_mov_b32_e32 v39, v17
	v_mov_b32_e32 v24, v30
; %bb.44:
	s_or_b32 exec_lo, exec_lo, s12
	v_add_f16_e32 v17, 0, v51
	v_add_f16_e32 v18, 0, v48
	v_mov_b32_e32 v52, v51
	s_mov_b32 s12, exec_lo
	v_cmp_lt_i16_e64 s8, -1, v17
	v_cndmask_b32_e64 v21, -1, 0xffff8000, s8
	v_cmp_lt_i16_e64 s8, -1, v18
	v_xor_b32_e32 v21, v21, v17
	v_cndmask_b32_e64 v22, -1, 0xffff8000, s8
	v_xor_b32_e32 v22, v22, v18
	v_mov_b32_e32 v18, v14
	v_mov_b32_e32 v17, v13
	v_cmpx_gt_u16_e64 v21, v22
	;; [unrolled: 22-line block ×3, first 2 shown]
; %bb.47:
	v_mov_b32_e32 v13, v15
	v_mov_b32_e32 v14, v16
	;; [unrolled: 1-line block ×6, first 2 shown]
; %bb.48:
	s_or_b32 exec_lo, exec_lo, s12
	v_add_f16_e32 v8, 0, v38
	v_add_f16_e32 v9, 0, v39
	v_mov_b32_e32 v30, v24
	v_mov_b32_e32 v31, v39
	;; [unrolled: 1-line block ×3, first 2 shown]
	v_cmp_lt_i16_e64 s8, -1, v8
	s_mov_b32 s12, exec_lo
	v_cndmask_b32_e64 v21, -1, 0xffff8000, s8
	v_cmp_lt_i16_e64 s8, -1, v9
	v_xor_b32_e32 v8, v21, v8
	v_cndmask_b32_e64 v22, -1, 0xffff8000, s8
	v_xor_b32_e32 v9, v22, v9
	v_cmpx_gt_u16_e64 v8, v9
; %bb.49:
	v_mov_b32_e32 v30, v20
	v_mov_b32_e32 v29, v19
	v_mov_b32_e32 v19, v23
	v_mov_b32_e32 v31, v38
	v_mov_b32_e32 v38, v39
	v_mov_b32_e32 v20, v24
; %bb.50:
	s_or_b32 exec_lo, exec_lo, s12
	v_add_f16_e32 v8, 0, v53
	v_add_f16_e32 v9, 0, v52
	v_mov_b32_e32 v49, v53
	s_mov_b32 s12, exec_lo
	v_cmp_lt_i16_e64 s8, -1, v8
	v_cndmask_b32_e64 v21, -1, 0xffff8000, s8
	v_cmp_lt_i16_e64 s8, -1, v9
	v_xor_b32_e32 v8, v21, v8
	v_cndmask_b32_e64 v22, -1, 0xffff8000, s8
	v_xor_b32_e32 v9, v22, v9
	v_mov_b32_e32 v21, v25
	v_mov_b32_e32 v22, v26
	v_cmpx_gt_u16_e64 v8, v9
; %bb.51:
	v_mov_b32_e32 v21, v27
	v_mov_b32_e32 v22, v28
	v_mov_b32_e32 v28, v26
	v_mov_b32_e32 v49, v52
	v_mov_b32_e32 v27, v25
	v_mov_b32_e32 v52, v53
; %bb.52:
	s_or_b32 exec_lo, exec_lo, s12
	v_add_f16_e32 v8, 0, v48
	v_add_f16_e32 v9, 0, v50
	v_mov_b32_e32 v39, v48
	s_mov_b32 s12, exec_lo
	v_cmp_lt_i16_e64 s8, -1, v8
	v_cndmask_b32_e64 v23, -1, 0xffff8000, s8
	v_cmp_lt_i16_e64 s8, -1, v9
	v_xor_b32_e32 v23, v23, v8
	v_cndmask_b32_e64 v24, -1, 0xffff8000, s8
	v_xor_b32_e32 v24, v24, v9
	v_mov_b32_e32 v8, v15
	v_mov_b32_e32 v9, v16
	;; [unrolled: 22-line block ×3, first 2 shown]
	v_cmpx_gt_u16_e64 v15, v16
; %bb.55:
	v_mov_b32_e32 v24, v5
	v_mov_b32_e32 v23, v4
	;; [unrolled: 1-line block ×6, first 2 shown]
; %bb.56:
	s_or_b32 exec_lo, exec_lo, s12
	v_add_f16_e32 v15, 0, v31
	v_add_f16_e32 v16, 0, v49
	v_mov_b32_e32 v25, v27
	v_mov_b32_e32 v38, v49
	;; [unrolled: 1-line block ×3, first 2 shown]
	v_cmp_lt_i16_e64 s8, -1, v15
	s_mov_b32 s12, exec_lo
	v_cndmask_b32_e64 v19, -1, 0xffff8000, s8
	v_cmp_lt_i16_e64 s8, -1, v16
	v_xor_b32_e32 v15, v19, v15
	v_cndmask_b32_e64 v20, -1, 0xffff8000, s8
	v_xor_b32_e32 v16, v20, v16
	v_cmpx_gt_u16_e64 v15, v16
; %bb.57:
	v_mov_b32_e32 v25, v29
	v_mov_b32_e32 v26, v30
	;; [unrolled: 1-line block ×6, first 2 shown]
; %bb.58:
	s_or_b32 exec_lo, exec_lo, s12
	v_add_f16_e32 v15, 0, v52
	v_add_f16_e32 v16, 0, v39
	v_mov_b32_e32 v53, v52
	s_mov_b32 s12, exec_lo
	v_cmp_lt_i16_e64 s8, -1, v15
	v_cndmask_b32_e64 v19, -1, 0xffff8000, s8
	v_cmp_lt_i16_e64 s8, -1, v16
	v_xor_b32_e32 v15, v19, v15
	v_cndmask_b32_e64 v20, -1, 0xffff8000, s8
	v_xor_b32_e32 v16, v20, v16
	v_mov_b32_e32 v20, v18
	v_mov_b32_e32 v19, v17
	v_cmpx_gt_u16_e64 v15, v16
; %bb.59:
	v_mov_b32_e32 v19, v21
	v_mov_b32_e32 v20, v22
	;; [unrolled: 1-line block ×6, first 2 shown]
; %bb.60:
	s_or_b32 exec_lo, exec_lo, s12
	v_add_f16_e32 v15, 0, v50
	v_add_f16_e32 v16, 0, v37
	v_mov_b32_e32 v51, v50
	s_mov_b32 s12, exec_lo
	v_cmp_lt_i16_e64 s8, -1, v15
	v_cndmask_b32_e64 v17, -1, 0xffff8000, s8
	v_cmp_lt_i16_e64 s8, -1, v16
	v_xor_b32_e32 v17, v17, v15
	v_cndmask_b32_e64 v18, -1, 0xffff8000, s8
	v_xor_b32_e32 v18, v18, v16
	v_mov_b32_e32 v16, v14
	v_mov_b32_e32 v15, v13
	v_cmpx_gt_u16_e64 v17, v18
; %bb.61:
	v_mov_b32_e32 v16, v9
	v_mov_b32_e32 v15, v8
	;; [unrolled: 1-line block ×6, first 2 shown]
; %bb.62:
	s_or_b32 exec_lo, exec_lo, s12
	v_add_f16_e32 v13, 0, v48
	v_add_f16_e32 v14, 0, v31
	v_mov_b32_e32 v27, v29
	v_mov_b32_e32 v50, v31
	;; [unrolled: 1-line block ×3, first 2 shown]
	v_cmp_lt_i16_e64 s8, -1, v13
	s_mov_b32 s12, exec_lo
	v_cndmask_b32_e64 v17, -1, 0xffff8000, s8
	v_cmp_lt_i16_e64 s8, -1, v14
	v_xor_b32_e32 v13, v17, v13
	v_cndmask_b32_e64 v18, -1, 0xffff8000, s8
	v_xor_b32_e32 v14, v18, v14
	v_cmpx_gt_u16_e64 v13, v14
; %bb.63:
	v_mov_b32_e32 v28, v24
	v_mov_b32_e32 v27, v23
	;; [unrolled: 1-line block ×6, first 2 shown]
; %bb.64:
	s_or_b32 exec_lo, exec_lo, s12
	v_add_f16_e32 v13, 0, v38
	v_add_f16_e32 v14, 0, v53
	v_mov_b32_e32 v29, v38
	v_cmp_lt_i16_e64 s8, -1, v13
	v_cndmask_b32_e64 v17, -1, 0xffff8000, s8
	v_cmp_lt_i16_e64 s8, -1, v14
	v_xor_b32_e32 v13, v17, v13
	v_cndmask_b32_e64 v18, -1, 0xffff8000, s8
	v_xor_b32_e32 v14, v18, v14
	v_cmp_gt_u16_e64 s8, v13, v14
	v_mov_b32_e32 v13, v21
	v_mov_b32_e32 v14, v22
	s_and_saveexec_b32 s12, s8
; %bb.65:
	v_mov_b32_e32 v13, v25
	v_mov_b32_e32 v14, v26
	v_mov_b32_e32 v26, v22
	v_mov_b32_e32 v29, v53
	v_mov_b32_e32 v25, v21
	v_mov_b32_e32 v53, v38
; %bb.66:
	s_or_b32 exec_lo, exec_lo, s12
	v_add_f16_e32 v17, 0, v39
	v_add_f16_e32 v18, 0, v51
	v_mov_b32_e32 v38, v39
	s_mov_b32 s12, exec_lo
	v_cmp_lt_i16_e64 s8, -1, v17
	v_cndmask_b32_e64 v21, -1, 0xffff8000, s8
	v_cmp_lt_i16_e64 s8, -1, v18
	v_xor_b32_e32 v17, v21, v17
	v_cndmask_b32_e64 v22, -1, 0xffff8000, s8
	v_xor_b32_e32 v18, v22, v18
	v_mov_b32_e32 v22, v9
	v_mov_b32_e32 v21, v8
	v_cmpx_gt_u16_e64 v17, v18
; %bb.67:
	v_mov_b32_e32 v22, v20
	v_mov_b32_e32 v21, v19
	v_mov_b32_e32 v20, v9
	v_mov_b32_e32 v19, v8
	v_mov_b32_e32 v38, v51
	v_mov_b32_e32 v51, v39
; %bb.68:
	s_or_b32 exec_lo, exec_lo, s12
	v_add_f16_e32 v8, 0, v36
	v_add_f16_e32 v9, 0, v48
	v_mov_b32_e32 v39, v48
	v_cmp_lt_i16_e64 s8, -1, v8
	v_cndmask_b32_e64 v17, -1, 0xffff8000, s8
	v_cmp_lt_i16_e64 s8, -1, v9
	v_xor_b32_e32 v8, v17, v8
	v_cndmask_b32_e64 v18, -1, 0xffff8000, s8
	v_xor_b32_e32 v9, v18, v9
	v_cmp_gt_u16_e64 s8, v8, v9
	v_mov_b32_e32 v8, v23
	v_mov_b32_e32 v9, v24
	s_and_saveexec_b32 s12, s8
; %bb.69:
	v_mov_b32_e32 v9, v5
	v_mov_b32_e32 v8, v4
	;; [unrolled: 1-line block ×6, first 2 shown]
; %bb.70:
	s_or_b32 exec_lo, exec_lo, s12
	v_add_f16_e32 v17, 0, v50
	v_add_f16_e32 v18, 0, v29
	v_cmp_lt_i16_e64 s8, -1, v17
	v_cndmask_b32_e64 v23, -1, 0xffff8000, s8
	v_cmp_lt_i16_e64 s8, -1, v18
	v_xor_b32_e32 v17, v23, v17
	v_cndmask_b32_e64 v24, -1, 0xffff8000, s8
	v_mov_b32_e32 v23, v29
	v_xor_b32_e32 v18, v24, v18
	v_cmp_gt_u16_e64 s8, v17, v18
	v_mov_b32_e32 v17, v25
	v_mov_b32_e32 v18, v26
	s_and_saveexec_b32 s12, s8
; %bb.71:
	v_mov_b32_e32 v17, v27
	v_mov_b32_e32 v18, v28
	;; [unrolled: 1-line block ×6, first 2 shown]
; %bb.72:
	s_or_b32 exec_lo, exec_lo, s12
	v_add_f16_e32 v24, 0, v53
	v_add_f16_e32 v25, 0, v38
	v_mov_b32_e32 v49, v53
	s_mov_b32 s12, exec_lo
	v_cmp_lt_i16_e64 s8, -1, v24
	v_cndmask_b32_e64 v26, -1, 0xffff8000, s8
	v_cmp_lt_i16_e64 s8, -1, v25
	v_xor_b32_e32 v24, v26, v24
	v_cndmask_b32_e64 v29, -1, 0xffff8000, s8
	v_xor_b32_e32 v25, v29, v25
	v_mov_b32_e32 v30, v20
	v_mov_b32_e32 v29, v19
	v_cmpx_gt_u16_e64 v24, v25
; %bb.73:
	v_mov_b32_e32 v30, v14
	v_mov_b32_e32 v29, v13
	;; [unrolled: 1-line block ×6, first 2 shown]
; %bb.74:
	s_or_b32 exec_lo, exec_lo, s12
	v_add_f16_e32 v19, 0, v51
	v_add_f16_e32 v20, 0, v37
	v_mov_b32_e32 v31, v51
	s_mov_b32 s12, exec_lo
	v_cmp_lt_i16_e64 s8, -1, v19
	v_cndmask_b32_e64 v24, -1, 0xffff8000, s8
	v_cmp_lt_i16_e64 s8, -1, v20
	v_xor_b32_e32 v19, v24, v19
	v_cndmask_b32_e64 v25, -1, 0xffff8000, s8
	v_xor_b32_e32 v20, v25, v20
	v_mov_b32_e32 v26, v16
	v_mov_b32_e32 v25, v15
	v_cmpx_gt_u16_e64 v19, v20
; %bb.75:
	v_mov_b32_e32 v26, v22
	v_mov_b32_e32 v25, v21
	v_mov_b32_e32 v22, v16
	v_mov_b32_e32 v21, v15
	v_mov_b32_e32 v31, v37
	v_mov_b32_e32 v37, v51
; %bb.76:
	s_or_b32 exec_lo, exec_lo, s12
	v_add_f16_e32 v15, 0, v39
	v_add_f16_e32 v16, 0, v50
	v_mov_b32_e32 v48, v50
	v_cmp_lt_i16_e64 s8, -1, v15
	v_cndmask_b32_e64 v19, -1, 0xffff8000, s8
	v_cmp_lt_i16_e64 s8, -1, v16
	v_xor_b32_e32 v15, v19, v15
	v_cndmask_b32_e64 v20, -1, 0xffff8000, s8
	v_xor_b32_e32 v16, v20, v16
	v_cmp_gt_u16_e64 s8, v15, v16
	v_mov_b32_e32 v15, v27
	v_mov_b32_e32 v16, v28
	s_and_saveexec_b32 s12, s8
; %bb.77:
	v_mov_b32_e32 v16, v9
	v_mov_b32_e32 v15, v8
	v_mov_b32_e32 v8, v27
	v_mov_b32_e32 v48, v39
	v_mov_b32_e32 v39, v50
	v_mov_b32_e32 v9, v28
; %bb.78:
	s_or_b32 exec_lo, exec_lo, s12
	v_add_f16_e32 v19, 0, v23
	v_add_f16_e32 v20, 0, v49
	v_mov_b32_e32 v51, v23
	v_cmp_lt_i16_e64 s8, -1, v19
	v_cndmask_b32_e64 v24, -1, 0xffff8000, s8
	v_cmp_lt_i16_e64 s8, -1, v20
	v_xor_b32_e32 v19, v24, v19
	v_cndmask_b32_e64 v27, -1, 0xffff8000, s8
	v_xor_b32_e32 v20, v27, v20
	v_cmp_gt_u16_e64 s8, v19, v20
	v_mov_b32_e32 v20, v14
	v_mov_b32_e32 v19, v13
	s_and_saveexec_b32 s12, s8
; %bb.79:
	v_mov_b32_e32 v20, v18
	v_mov_b32_e32 v19, v17
	;; [unrolled: 1-line block ×6, first 2 shown]
; %bb.80:
	s_or_b32 exec_lo, exec_lo, s12
	v_add_f16_e32 v13, 0, v38
	v_add_f16_e32 v14, 0, v31
	v_mov_b32_e32 v50, v31
	s_mov_b32 s12, exec_lo
	v_cmp_lt_i16_e64 s8, -1, v13
	v_cndmask_b32_e64 v23, -1, 0xffff8000, s8
	v_cmp_lt_i16_e64 s8, -1, v14
	v_xor_b32_e32 v13, v23, v13
	v_cndmask_b32_e64 v24, -1, 0xffff8000, s8
	v_xor_b32_e32 v14, v24, v14
	v_mov_b32_e32 v23, v29
	v_mov_b32_e32 v24, v30
	v_cmpx_gt_u16_e64 v13, v14
; %bb.81:
	v_mov_b32_e32 v24, v22
	v_mov_b32_e32 v23, v21
	v_mov_b32_e32 v21, v29
	v_mov_b32_e32 v50, v38
	v_mov_b32_e32 v38, v31
	v_mov_b32_e32 v22, v30
; %bb.82:
	s_or_b32 exec_lo, exec_lo, s12
.LBB1850_83:
	s_or_b32 exec_lo, exec_lo, s9
	v_and_b32_e32 v13, 0xffffff00, v10
	v_or_b32_e32 v27, 8, v35
	v_and_b32_e32 v30, 8, v35
	v_and_b32_e32 v31, 0xf0, v35
	s_mov_b32 s9, exec_lo
	v_sub_nc_u32_e64 v28, 0x800, v13 clamp
	v_lshlrev_b32_e32 v10, 1, v13
	v_min_u32_e32 v29, v28, v27
	v_min_u32_e32 v54, v28, v30
	v_mad_u64_u32 v[13:14], null, v13, 6, v[10:11]
	v_lshl_or_b32 v14, v35, 1, v10
	v_add_nc_u32_e32 v52, 8, v29
	v_sub_nc_u32_e32 v53, v29, v31
	ds_write_b16 v14, v36
	v_min_u32_e32 v30, v28, v52
	v_lshl_add_u32 v27, v35, 3, v13
	v_min_u32_e32 v55, v54, v53
	v_lshl_or_b32 v53, v31, 1, v10
	ds_write_b64 v27, v[4:5] offset:4096
	ds_write_b16 v14, v39 offset:2
	ds_write_b64 v27, v[8:9] offset:4104
	ds_write_b16 v14, v48 offset:4
	ds_write_b64 v27, v[15:16] offset:4112
	ds_write_b16 v14, v51 offset:6
	v_sub_nc_u32_e32 v52, v30, v29
	ds_write_b64 v27, v[17:18] offset:4120
	ds_write_b16 v14, v49 offset:8
	ds_write_b64 v27, v[19:20] offset:4128
	ds_write_b16 v14, v38 offset:10
	;; [unrolled: 2-line block ×4, first 2 shown]
	ds_write_b64 v27, v[25:26] offset:4152
	v_sub_nc_u32_e64 v52, v54, v52 clamp
	; wave barrier
	v_cmpx_lt_u32_e64 v52, v55
	s_cbranch_execz .LBB1850_87
; %bb.84:
	v_lshlrev_b32_e32 v64, 1, v29
	v_lshlrev_b32_e32 v65, 1, v54
	s_mov_b32 s12, 0
	v_add3_u32 v64, v10, v64, v65
	s_inst_prefetch 0x1
	.p2align	6
.LBB1850_85:                            ; =>This Inner Loop Header: Depth=1
	v_add_nc_u32_e32 v65, v55, v52
	v_lshrrev_b32_e32 v66, 1, v65
	v_and_b32_e32 v65, -2, v65
	v_not_b32_e32 v67, v66
	v_add_nc_u32_e32 v65, v53, v65
	v_lshl_add_u32 v67, v67, 1, v64
	ds_read_u16 v65, v65
	ds_read_u16 v67, v67
	s_waitcnt lgkmcnt(1)
	v_add_f16_e32 v65, 0, v65
	s_waitcnt lgkmcnt(0)
	v_add_f16_e32 v67, 0, v67
	v_cmp_lt_i16_e64 s8, -1, v65
	v_cndmask_b32_e64 v68, -1, 0xffff8000, s8
	v_cmp_lt_i16_e64 s8, -1, v67
	v_xor_b32_e32 v65, v68, v65
	v_cndmask_b32_e64 v69, -1, 0xffff8000, s8
	v_add_nc_u32_e32 v68, 1, v66
	v_xor_b32_e32 v67, v69, v67
	v_cmp_gt_u16_e64 s8, v65, v67
	v_cndmask_b32_e64 v55, v55, v66, s8
	v_cndmask_b32_e64 v52, v68, v52, s8
	v_cmp_ge_u32_e64 s8, v52, v55
	s_or_b32 s12, s8, s12
	s_andn2_b32 exec_lo, exec_lo, s12
	s_cbranch_execnz .LBB1850_85
; %bb.86:
	s_inst_prefetch 0x2
	s_or_b32 exec_lo, exec_lo, s12
.LBB1850_87:
	s_or_b32 exec_lo, exec_lo, s9
	v_add_nc_u32_e32 v55, v29, v54
	v_add_nc_u32_e32 v54, v52, v31
	v_sub_nc_u32_e32 v55, v55, v52
	v_cmp_le_u32_e64 s8, v54, v29
	v_cmp_le_u32_e64 s9, v55, v30
	s_or_b32 s8, s8, s9
	s_and_saveexec_b32 s12, s8
	s_cbranch_execz .LBB1850_123
; %bb.88:
	v_cmp_ge_u32_e64 s8, v54, v29
	s_mov_b32 s13, exec_lo
                                        ; implicit-def: $vgpr31
	v_cmpx_lt_u32_e64 v54, v29
; %bb.89:
	v_lshl_add_u32 v4, v52, 1, v53
	ds_read_u16 v31, v4
; %bb.90:
	s_or_b32 exec_lo, exec_lo, s13
	v_cmp_ge_u32_e64 s13, v55, v30
	s_mov_b32 s15, exec_lo
                                        ; implicit-def: $vgpr36
	v_cmpx_lt_u32_e64 v55, v30
; %bb.91:
	v_lshl_add_u32 v4, v55, 1, v10
	ds_read_u16 v36, v4
; %bb.92:
	s_or_b32 exec_lo, exec_lo, s15
	s_nor_b32 s8, s8, s13
	s_and_saveexec_b32 s9, s8
	s_cbranch_execz .LBB1850_94
; %bb.93:
	s_waitcnt lgkmcnt(0)
	v_add_f16_e32 v4, 0, v31
	v_add_f16_e32 v5, 0, v36
	s_andn2_b32 s13, s13, exec_lo
	v_cmp_lt_i16_e64 s8, -1, v4
	v_cndmask_b32_e64 v8, -1, 0xffff8000, s8
	v_cmp_lt_i16_e64 s8, -1, v5
	v_xor_b32_e32 v4, v8, v4
	v_cndmask_b32_e64 v9, -1, 0xffff8000, s8
	v_xor_b32_e32 v5, v9, v5
	v_cmp_le_u16_e64 s8, v4, v5
	s_and_b32 s8, s8, exec_lo
	s_or_b32 s13, s13, s8
.LBB1850_94:
	s_or_b32 exec_lo, exec_lo, s9
	v_cndmask_b32_e64 v4, v55, v54, s13
	v_cndmask_b32_e64 v5, v30, v29, s13
	s_mov_b32 s15, -1
	s_mov_b32 s9, -1
	s_mov_b32 s16, exec_lo
	v_add_nc_u32_e32 v8, 1, v4
	v_add_nc_u32_e32 v5, -1, v5
	v_lshl_add_u32 v4, v4, 3, v13
	v_cndmask_b32_e64 v15, v8, v55, s13
	v_min_u32_e32 v5, v8, v5
	v_cndmask_b32_e64 v16, v54, v8, s13
	v_lshl_add_u32 v5, v5, 1, v10
	ds_read_u16 v9, v5
	ds_read_b64 v[4:5], v4 offset:4096
	s_waitcnt lgkmcnt(1)
	v_cndmask_b32_e64 v37, v9, v36, s13
	v_cndmask_b32_e64 v39, v31, v9, s13
	v_cmpx_lt_u32_e64 v15, v30
	s_cbranch_execz .LBB1850_98
; %bb.95:
	s_mov_b32 s17, 0
	s_mov_b32 s9, exec_lo
	v_cmpx_lt_u32_e64 v16, v29
	s_cbranch_execz .LBB1850_97
; %bb.96:
	v_add_f16_e32 v8, 0, v39
	v_add_f16_e32 v9, 0, v37
	v_cmp_lt_i16_e64 s8, -1, v8
	v_cndmask_b32_e64 v17, -1, 0xffff8000, s8
	v_cmp_lt_i16_e64 s8, -1, v9
	v_xor_b32_e32 v8, v17, v8
	v_cndmask_b32_e64 v18, -1, 0xffff8000, s8
	v_xor_b32_e32 v9, v18, v9
	v_cmp_le_u16_e64 s8, v8, v9
	s_and_b32 s17, s8, exec_lo
.LBB1850_97:
	s_or_b32 exec_lo, exec_lo, s9
	s_orn2_b32 s9, s17, exec_lo
.LBB1850_98:
	s_or_b32 exec_lo, exec_lo, s16
	v_cndmask_b32_e64 v8, v15, v16, s9
	v_cndmask_b32_e64 v9, v30, v29, s9
	s_mov_b32 s16, exec_lo
	v_add_nc_u32_e32 v18, 1, v8
	v_add_nc_u32_e32 v9, -1, v9
	v_lshl_add_u32 v8, v8, 3, v13
	v_cndmask_b32_e64 v17, v18, v15, s9
	v_min_u32_e32 v9, v18, v9
	v_cndmask_b32_e64 v18, v16, v18, s9
	v_lshl_add_u32 v9, v9, 1, v10
	ds_read_u16 v19, v9
	ds_read_b64 v[8:9], v8 offset:4096
	s_waitcnt lgkmcnt(1)
	v_cndmask_b32_e64 v48, v19, v37, s9
	v_cndmask_b32_e64 v52, v39, v19, s9
	v_cmpx_lt_u32_e64 v17, v30
	s_cbranch_execz .LBB1850_102
; %bb.99:
	s_mov_b32 s17, 0
	s_mov_b32 s15, exec_lo
	v_cmpx_lt_u32_e64 v18, v29
	s_cbranch_execz .LBB1850_101
; %bb.100:
	v_add_f16_e32 v15, 0, v52
	v_add_f16_e32 v16, 0, v48
	v_cmp_lt_i16_e64 s8, -1, v15
	v_cndmask_b32_e64 v19, -1, 0xffff8000, s8
	v_cmp_lt_i16_e64 s8, -1, v16
	v_xor_b32_e32 v15, v19, v15
	v_cndmask_b32_e64 v20, -1, 0xffff8000, s8
	v_xor_b32_e32 v16, v20, v16
	v_cmp_le_u16_e64 s8, v15, v16
	s_and_b32 s17, s8, exec_lo
.LBB1850_101:
	s_or_b32 exec_lo, exec_lo, s15
	s_orn2_b32 s15, s17, exec_lo
.LBB1850_102:
	s_or_b32 exec_lo, exec_lo, s16
	v_cndmask_b32_e64 v15, v17, v18, s15
	v_cndmask_b32_e64 v16, v30, v29, s15
	s_mov_b32 s17, -1
	s_mov_b32 s16, -1
	s_mov_b32 s18, exec_lo
	v_add_nc_u32_e32 v20, 1, v15
	v_add_nc_u32_e32 v16, -1, v16
	v_lshl_add_u32 v15, v15, 3, v13
	v_cndmask_b32_e64 v19, v20, v17, s15
	v_min_u32_e32 v16, v20, v16
	v_cndmask_b32_e64 v20, v18, v20, s15
	v_lshl_add_u32 v16, v16, 1, v10
	ds_read_u16 v21, v16
	ds_read_b64 v[15:16], v15 offset:4096
	s_waitcnt lgkmcnt(1)
	v_cndmask_b32_e64 v51, v21, v48, s15
	v_cndmask_b32_e64 v53, v52, v21, s15
	v_cmpx_lt_u32_e64 v19, v30
	s_cbranch_execz .LBB1850_106
; %bb.103:
	s_mov_b32 s19, 0
	s_mov_b32 s16, exec_lo
	v_cmpx_lt_u32_e64 v20, v29
	s_cbranch_execz .LBB1850_105
; %bb.104:
	v_add_f16_e32 v17, 0, v53
	v_add_f16_e32 v18, 0, v51
	v_cmp_lt_i16_e64 s8, -1, v17
	v_cndmask_b32_e64 v21, -1, 0xffff8000, s8
	v_cmp_lt_i16_e64 s8, -1, v18
	v_xor_b32_e32 v17, v21, v17
	v_cndmask_b32_e64 v22, -1, 0xffff8000, s8
	v_xor_b32_e32 v18, v22, v18
	v_cmp_le_u16_e64 s8, v17, v18
	s_and_b32 s19, s8, exec_lo
.LBB1850_105:
	s_or_b32 exec_lo, exec_lo, s16
	s_orn2_b32 s16, s19, exec_lo
.LBB1850_106:
	s_or_b32 exec_lo, exec_lo, s18
	v_cndmask_b32_e64 v17, v19, v20, s16
	v_cndmask_b32_e64 v18, v30, v29, s16
	s_mov_b32 s18, exec_lo
	v_add_nc_u32_e32 v22, 1, v17
	v_add_nc_u32_e32 v18, -1, v18
	v_lshl_add_u32 v17, v17, 3, v13
	v_cndmask_b32_e64 v21, v22, v19, s16
	v_min_u32_e32 v18, v22, v18
	v_cndmask_b32_e64 v22, v20, v22, s16
	v_lshl_add_u32 v18, v18, 1, v10
	ds_read_u16 v23, v18
	ds_read_b64 v[17:18], v17 offset:4096
	s_waitcnt lgkmcnt(1)
	v_cndmask_b32_e64 v49, v23, v51, s16
	v_cndmask_b32_e64 v54, v53, v23, s16
	v_cmpx_lt_u32_e64 v21, v30
	s_cbranch_execz .LBB1850_110
; %bb.107:
	s_mov_b32 s19, 0
	s_mov_b32 s17, exec_lo
	v_cmpx_lt_u32_e64 v22, v29
	s_cbranch_execz .LBB1850_109
; %bb.108:
	v_add_f16_e32 v19, 0, v54
	v_add_f16_e32 v20, 0, v49
	v_cmp_lt_i16_e64 s8, -1, v19
	v_cndmask_b32_e64 v23, -1, 0xffff8000, s8
	v_cmp_lt_i16_e64 s8, -1, v20
	v_xor_b32_e32 v19, v23, v19
	v_cndmask_b32_e64 v24, -1, 0xffff8000, s8
	v_xor_b32_e32 v20, v24, v20
	v_cmp_le_u16_e64 s8, v19, v20
	s_and_b32 s19, s8, exec_lo
.LBB1850_109:
	s_or_b32 exec_lo, exec_lo, s17
	s_orn2_b32 s17, s19, exec_lo
.LBB1850_110:
	s_or_b32 exec_lo, exec_lo, s18
	v_cndmask_b32_e64 v19, v21, v22, s17
	v_cndmask_b32_e64 v20, v30, v29, s17
	s_mov_b32 s19, -1
	s_mov_b32 s18, -1
	s_mov_b32 s20, exec_lo
	v_add_nc_u32_e32 v23, 1, v19
	v_add_nc_u32_e32 v20, -1, v20
	v_lshl_add_u32 v19, v19, 3, v13
	v_cndmask_b32_e64 v21, v23, v21, s17
	v_min_u32_e32 v20, v23, v20
	v_cndmask_b32_e64 v22, v22, v23, s17
	v_lshl_add_u32 v20, v20, 1, v10
	ds_read_u16 v24, v20
	ds_read_b64 v[19:20], v19 offset:4096
	s_waitcnt lgkmcnt(1)
	v_cndmask_b32_e64 v38, v24, v49, s17
	v_cndmask_b32_e64 v55, v54, v24, s17
	v_cmpx_lt_u32_e64 v21, v30
	s_cbranch_execz .LBB1850_114
; %bb.111:
	s_mov_b32 s21, 0
	s_mov_b32 s18, exec_lo
	v_cmpx_lt_u32_e64 v22, v29
	s_cbranch_execz .LBB1850_113
; %bb.112:
	v_add_f16_e32 v23, 0, v55
	v_add_f16_e32 v24, 0, v38
	v_cmp_lt_i16_e64 s8, -1, v23
	v_cndmask_b32_e64 v25, -1, 0xffff8000, s8
	v_cmp_lt_i16_e64 s8, -1, v24
	v_xor_b32_e32 v23, v25, v23
	v_cndmask_b32_e64 v26, -1, 0xffff8000, s8
	v_xor_b32_e32 v24, v26, v24
	v_cmp_le_u16_e64 s8, v23, v24
	s_and_b32 s21, s8, exec_lo
.LBB1850_113:
	s_or_b32 exec_lo, exec_lo, s18
	s_orn2_b32 s18, s21, exec_lo
.LBB1850_114:
	s_or_b32 exec_lo, exec_lo, s20
	v_cndmask_b32_e64 v23, v21, v22, s18
	v_cndmask_b32_e64 v24, v30, v29, s18
	s_mov_b32 s20, exec_lo
	v_add_nc_u32_e32 v26, 1, v23
	v_add_nc_u32_e32 v24, -1, v24
	v_lshl_add_u32 v23, v23, 3, v13
	v_cndmask_b32_e64 v25, v26, v21, s18
	v_min_u32_e32 v24, v26, v24
	v_cndmask_b32_e64 v26, v22, v26, s18
	v_lshl_add_u32 v24, v24, 1, v10
	ds_read_u16 v64, v24
	ds_read_b64 v[23:24], v23 offset:4096
	s_waitcnt lgkmcnt(1)
	v_cndmask_b32_e64 v50, v64, v38, s18
	v_cndmask_b32_e64 v64, v55, v64, s18
	v_cmpx_lt_u32_e64 v25, v30
	s_cbranch_execz .LBB1850_118
; %bb.115:
	s_mov_b32 s21, 0
	s_mov_b32 s19, exec_lo
	v_cmpx_lt_u32_e64 v26, v29
	s_cbranch_execz .LBB1850_117
; %bb.116:
	v_add_f16_e32 v21, 0, v64
	v_add_f16_e32 v22, 0, v50
	v_cmp_lt_i16_e64 s8, -1, v21
	v_cndmask_b32_e64 v65, -1, 0xffff8000, s8
	v_cmp_lt_i16_e64 s8, -1, v22
	v_xor_b32_e32 v21, v65, v21
	v_cndmask_b32_e64 v66, -1, 0xffff8000, s8
	v_xor_b32_e32 v22, v66, v22
	v_cmp_le_u16_e64 s8, v21, v22
	s_and_b32 s21, s8, exec_lo
.LBB1850_117:
	s_or_b32 exec_lo, exec_lo, s19
	s_orn2_b32 s19, s21, exec_lo
.LBB1850_118:
	s_or_b32 exec_lo, exec_lo, s20
	v_cndmask_b32_e64 v21, v25, v26, s19
	v_cndmask_b32_e64 v22, v30, v29, s19
	s_mov_b32 s21, -1
	s_mov_b32 s20, exec_lo
	v_add_nc_u32_e32 v65, 1, v21
	v_add_nc_u32_e32 v22, -1, v22
	v_lshl_add_u32 v21, v21, 3, v13
	v_cndmask_b32_e64 v25, v65, v25, s19
	v_min_u32_e32 v22, v65, v22
	v_cndmask_b32_e64 v26, v26, v65, s19
	v_lshl_add_u32 v22, v22, 1, v10
	ds_read_u16 v66, v22
	ds_read_b64 v[21:22], v21 offset:4096
	s_waitcnt lgkmcnt(1)
	v_cndmask_b32_e64 v65, v66, v50, s19
	v_cndmask_b32_e64 v66, v64, v66, s19
	v_cmpx_lt_u32_e64 v25, v30
	s_cbranch_execz .LBB1850_122
; %bb.119:
	s_mov_b32 s22, 0
	s_mov_b32 s21, exec_lo
	v_cmpx_lt_u32_e64 v26, v29
	s_cbranch_execz .LBB1850_121
; %bb.120:
	v_add_f16_e32 v29, 0, v66
	v_add_f16_e32 v30, 0, v65
	v_cmp_lt_i16_e64 s8, -1, v29
	v_cndmask_b32_e64 v67, -1, 0xffff8000, s8
	v_cmp_lt_i16_e64 s8, -1, v30
	v_xor_b32_e32 v29, v67, v29
	v_cndmask_b32_e64 v68, -1, 0xffff8000, s8
	v_xor_b32_e32 v30, v68, v30
	v_cmp_le_u16_e64 s8, v29, v30
	s_and_b32 s22, s8, exec_lo
.LBB1850_121:
	s_or_b32 exec_lo, exec_lo, s21
	s_orn2_b32 s21, s22, exec_lo
.LBB1850_122:
	s_or_b32 exec_lo, exec_lo, s20
	v_cndmask_b32_e64 v25, v25, v26, s21
	v_cndmask_b32_e64 v50, v50, v64, s19
	;; [unrolled: 1-line block ×5, first 2 shown]
	v_lshl_add_u32 v25, v25, 3, v13
	v_cndmask_b32_e64 v48, v48, v52, s15
	v_cndmask_b32_e64 v39, v37, v39, s9
	;; [unrolled: 1-line block ×4, first 2 shown]
	ds_read_b64 v[25:26], v25 offset:4096
.LBB1850_123:
	s_or_b32 exec_lo, exec_lo, s12
	v_and_b32_e32 v31, 0xe0, v35
	v_and_b32_e32 v52, 24, v35
	s_mov_b32 s9, exec_lo
	; wave barrier
	v_or_b32_e32 v29, 16, v31
	v_min_u32_e32 v54, v28, v52
	ds_write_b16 v14, v36
	ds_write_b64 v27, v[4:5] offset:4096
	ds_write_b16 v14, v39 offset:2
	ds_write_b64 v27, v[8:9] offset:4104
	ds_write_b16 v14, v48 offset:4
	;; [unrolled: 2-line block ×3, first 2 shown]
	ds_write_b64 v27, v[17:18] offset:4120
	v_min_u32_e32 v29, v28, v29
	ds_write_b16 v14, v49 offset:8
	ds_write_b64 v27, v[19:20] offset:4128
	ds_write_b16 v14, v38 offset:10
	ds_write_b64 v27, v[23:24] offset:4136
	ds_write_b16 v14, v50 offset:12
	s_waitcnt lgkmcnt(14)
	ds_write_b64 v27, v[21:22] offset:4144
	ds_write_b16 v14, v37 offset:14
	s_waitcnt lgkmcnt(15)
	ds_write_b64 v27, v[25:26] offset:4152
	v_add_nc_u32_e32 v30, 16, v29
	v_sub_nc_u32_e32 v53, v29, v31
	; wave barrier
	v_min_u32_e32 v30, v28, v30
	v_min_u32_e32 v55, v54, v53
	v_lshl_add_u32 v53, v31, 1, v10
	v_sub_nc_u32_e32 v52, v30, v29
	v_sub_nc_u32_e64 v52, v54, v52 clamp
	v_cmpx_lt_u32_e64 v52, v55
	s_cbranch_execz .LBB1850_127
; %bb.124:
	v_lshlrev_b32_e32 v64, 1, v29
	v_lshlrev_b32_e32 v65, 1, v54
	s_mov_b32 s12, 0
	v_add3_u32 v64, v10, v64, v65
	s_inst_prefetch 0x1
	.p2align	6
.LBB1850_125:                           ; =>This Inner Loop Header: Depth=1
	v_add_nc_u32_e32 v65, v55, v52
	v_lshrrev_b32_e32 v66, 1, v65
	v_and_b32_e32 v65, -2, v65
	v_not_b32_e32 v67, v66
	v_add_nc_u32_e32 v65, v53, v65
	v_lshl_add_u32 v67, v67, 1, v64
	ds_read_u16 v65, v65
	ds_read_u16 v67, v67
	s_waitcnt lgkmcnt(1)
	v_add_f16_e32 v65, 0, v65
	s_waitcnt lgkmcnt(0)
	v_add_f16_e32 v67, 0, v67
	v_cmp_lt_i16_e64 s8, -1, v65
	v_cndmask_b32_e64 v68, -1, 0xffff8000, s8
	v_cmp_lt_i16_e64 s8, -1, v67
	v_xor_b32_e32 v65, v68, v65
	v_cndmask_b32_e64 v69, -1, 0xffff8000, s8
	v_add_nc_u32_e32 v68, 1, v66
	v_xor_b32_e32 v67, v69, v67
	v_cmp_gt_u16_e64 s8, v65, v67
	v_cndmask_b32_e64 v55, v55, v66, s8
	v_cndmask_b32_e64 v52, v68, v52, s8
	v_cmp_ge_u32_e64 s8, v52, v55
	s_or_b32 s12, s8, s12
	s_andn2_b32 exec_lo, exec_lo, s12
	s_cbranch_execnz .LBB1850_125
; %bb.126:
	s_inst_prefetch 0x2
	s_or_b32 exec_lo, exec_lo, s12
.LBB1850_127:
	s_or_b32 exec_lo, exec_lo, s9
	v_add_nc_u32_e32 v55, v29, v54
	v_add_nc_u32_e32 v54, v52, v31
	v_sub_nc_u32_e32 v55, v55, v52
	v_cmp_le_u32_e64 s8, v54, v29
	v_cmp_le_u32_e64 s9, v55, v30
	s_or_b32 s8, s8, s9
	s_and_saveexec_b32 s12, s8
	s_cbranch_execz .LBB1850_163
; %bb.128:
	v_cmp_ge_u32_e64 s8, v54, v29
	s_mov_b32 s13, exec_lo
                                        ; implicit-def: $vgpr31
	v_cmpx_lt_u32_e64 v54, v29
; %bb.129:
	v_lshl_add_u32 v4, v52, 1, v53
	ds_read_u16 v31, v4
; %bb.130:
	s_or_b32 exec_lo, exec_lo, s13
	v_cmp_ge_u32_e64 s13, v55, v30
	s_mov_b32 s15, exec_lo
                                        ; implicit-def: $vgpr36
	v_cmpx_lt_u32_e64 v55, v30
; %bb.131:
	v_lshl_add_u32 v4, v55, 1, v10
	ds_read_u16 v36, v4
; %bb.132:
	s_or_b32 exec_lo, exec_lo, s15
	s_nor_b32 s8, s8, s13
	s_and_saveexec_b32 s9, s8
	s_cbranch_execz .LBB1850_134
; %bb.133:
	s_waitcnt lgkmcnt(0)
	v_add_f16_e32 v4, 0, v31
	v_add_f16_e32 v5, 0, v36
	s_andn2_b32 s13, s13, exec_lo
	v_cmp_lt_i16_e64 s8, -1, v4
	v_cndmask_b32_e64 v8, -1, 0xffff8000, s8
	v_cmp_lt_i16_e64 s8, -1, v5
	v_xor_b32_e32 v4, v8, v4
	v_cndmask_b32_e64 v9, -1, 0xffff8000, s8
	v_xor_b32_e32 v5, v9, v5
	v_cmp_le_u16_e64 s8, v4, v5
	s_and_b32 s8, s8, exec_lo
	s_or_b32 s13, s13, s8
.LBB1850_134:
	s_or_b32 exec_lo, exec_lo, s9
	v_cndmask_b32_e64 v4, v55, v54, s13
	v_cndmask_b32_e64 v5, v30, v29, s13
	s_mov_b32 s15, -1
	s_mov_b32 s9, -1
	s_mov_b32 s16, exec_lo
	v_add_nc_u32_e32 v8, 1, v4
	v_add_nc_u32_e32 v5, -1, v5
	v_lshl_add_u32 v4, v4, 3, v13
	v_cndmask_b32_e64 v15, v8, v55, s13
	v_min_u32_e32 v5, v8, v5
	v_cndmask_b32_e64 v16, v54, v8, s13
	v_lshl_add_u32 v5, v5, 1, v10
	ds_read_u16 v9, v5
	ds_read_b64 v[4:5], v4 offset:4096
	s_waitcnt lgkmcnt(1)
	v_cndmask_b32_e64 v37, v9, v36, s13
	v_cndmask_b32_e64 v39, v31, v9, s13
	v_cmpx_lt_u32_e64 v15, v30
	s_cbranch_execz .LBB1850_138
; %bb.135:
	s_mov_b32 s17, 0
	s_mov_b32 s9, exec_lo
	v_cmpx_lt_u32_e64 v16, v29
	s_cbranch_execz .LBB1850_137
; %bb.136:
	v_add_f16_e32 v8, 0, v39
	v_add_f16_e32 v9, 0, v37
	v_cmp_lt_i16_e64 s8, -1, v8
	v_cndmask_b32_e64 v17, -1, 0xffff8000, s8
	v_cmp_lt_i16_e64 s8, -1, v9
	v_xor_b32_e32 v8, v17, v8
	v_cndmask_b32_e64 v18, -1, 0xffff8000, s8
	v_xor_b32_e32 v9, v18, v9
	v_cmp_le_u16_e64 s8, v8, v9
	s_and_b32 s17, s8, exec_lo
.LBB1850_137:
	s_or_b32 exec_lo, exec_lo, s9
	s_orn2_b32 s9, s17, exec_lo
.LBB1850_138:
	s_or_b32 exec_lo, exec_lo, s16
	v_cndmask_b32_e64 v8, v15, v16, s9
	v_cndmask_b32_e64 v9, v30, v29, s9
	s_mov_b32 s16, exec_lo
	v_add_nc_u32_e32 v18, 1, v8
	v_add_nc_u32_e32 v9, -1, v9
	v_lshl_add_u32 v8, v8, 3, v13
	v_cndmask_b32_e64 v17, v18, v15, s9
	v_min_u32_e32 v9, v18, v9
	v_cndmask_b32_e64 v18, v16, v18, s9
	v_lshl_add_u32 v9, v9, 1, v10
	ds_read_u16 v19, v9
	ds_read_b64 v[8:9], v8 offset:4096
	s_waitcnt lgkmcnt(1)
	v_cndmask_b32_e64 v48, v19, v37, s9
	v_cndmask_b32_e64 v52, v39, v19, s9
	v_cmpx_lt_u32_e64 v17, v30
	s_cbranch_execz .LBB1850_142
; %bb.139:
	s_mov_b32 s17, 0
	s_mov_b32 s15, exec_lo
	v_cmpx_lt_u32_e64 v18, v29
	s_cbranch_execz .LBB1850_141
; %bb.140:
	v_add_f16_e32 v15, 0, v52
	v_add_f16_e32 v16, 0, v48
	v_cmp_lt_i16_e64 s8, -1, v15
	v_cndmask_b32_e64 v19, -1, 0xffff8000, s8
	v_cmp_lt_i16_e64 s8, -1, v16
	v_xor_b32_e32 v15, v19, v15
	v_cndmask_b32_e64 v20, -1, 0xffff8000, s8
	v_xor_b32_e32 v16, v20, v16
	v_cmp_le_u16_e64 s8, v15, v16
	s_and_b32 s17, s8, exec_lo
.LBB1850_141:
	s_or_b32 exec_lo, exec_lo, s15
	s_orn2_b32 s15, s17, exec_lo
.LBB1850_142:
	s_or_b32 exec_lo, exec_lo, s16
	v_cndmask_b32_e64 v15, v17, v18, s15
	v_cndmask_b32_e64 v16, v30, v29, s15
	s_mov_b32 s17, -1
	s_mov_b32 s16, -1
	s_mov_b32 s18, exec_lo
	v_add_nc_u32_e32 v20, 1, v15
	v_add_nc_u32_e32 v16, -1, v16
	v_lshl_add_u32 v15, v15, 3, v13
	v_cndmask_b32_e64 v19, v20, v17, s15
	v_min_u32_e32 v16, v20, v16
	v_cndmask_b32_e64 v20, v18, v20, s15
	v_lshl_add_u32 v16, v16, 1, v10
	ds_read_u16 v21, v16
	ds_read_b64 v[15:16], v15 offset:4096
	s_waitcnt lgkmcnt(1)
	v_cndmask_b32_e64 v51, v21, v48, s15
	v_cndmask_b32_e64 v53, v52, v21, s15
	v_cmpx_lt_u32_e64 v19, v30
	s_cbranch_execz .LBB1850_146
; %bb.143:
	s_mov_b32 s19, 0
	s_mov_b32 s16, exec_lo
	v_cmpx_lt_u32_e64 v20, v29
	s_cbranch_execz .LBB1850_145
; %bb.144:
	v_add_f16_e32 v17, 0, v53
	v_add_f16_e32 v18, 0, v51
	v_cmp_lt_i16_e64 s8, -1, v17
	v_cndmask_b32_e64 v21, -1, 0xffff8000, s8
	v_cmp_lt_i16_e64 s8, -1, v18
	v_xor_b32_e32 v17, v21, v17
	v_cndmask_b32_e64 v22, -1, 0xffff8000, s8
	v_xor_b32_e32 v18, v22, v18
	v_cmp_le_u16_e64 s8, v17, v18
	s_and_b32 s19, s8, exec_lo
.LBB1850_145:
	s_or_b32 exec_lo, exec_lo, s16
	s_orn2_b32 s16, s19, exec_lo
.LBB1850_146:
	s_or_b32 exec_lo, exec_lo, s18
	v_cndmask_b32_e64 v17, v19, v20, s16
	v_cndmask_b32_e64 v18, v30, v29, s16
	s_mov_b32 s18, exec_lo
	v_add_nc_u32_e32 v22, 1, v17
	v_add_nc_u32_e32 v18, -1, v18
	v_lshl_add_u32 v17, v17, 3, v13
	v_cndmask_b32_e64 v21, v22, v19, s16
	v_min_u32_e32 v18, v22, v18
	v_cndmask_b32_e64 v22, v20, v22, s16
	v_lshl_add_u32 v18, v18, 1, v10
	ds_read_u16 v23, v18
	ds_read_b64 v[17:18], v17 offset:4096
	s_waitcnt lgkmcnt(1)
	v_cndmask_b32_e64 v49, v23, v51, s16
	v_cndmask_b32_e64 v54, v53, v23, s16
	v_cmpx_lt_u32_e64 v21, v30
	s_cbranch_execz .LBB1850_150
; %bb.147:
	s_mov_b32 s19, 0
	s_mov_b32 s17, exec_lo
	v_cmpx_lt_u32_e64 v22, v29
	s_cbranch_execz .LBB1850_149
; %bb.148:
	v_add_f16_e32 v19, 0, v54
	v_add_f16_e32 v20, 0, v49
	v_cmp_lt_i16_e64 s8, -1, v19
	v_cndmask_b32_e64 v23, -1, 0xffff8000, s8
	v_cmp_lt_i16_e64 s8, -1, v20
	v_xor_b32_e32 v19, v23, v19
	v_cndmask_b32_e64 v24, -1, 0xffff8000, s8
	v_xor_b32_e32 v20, v24, v20
	v_cmp_le_u16_e64 s8, v19, v20
	s_and_b32 s19, s8, exec_lo
.LBB1850_149:
	s_or_b32 exec_lo, exec_lo, s17
	s_orn2_b32 s17, s19, exec_lo
.LBB1850_150:
	s_or_b32 exec_lo, exec_lo, s18
	v_cndmask_b32_e64 v19, v21, v22, s17
	v_cndmask_b32_e64 v20, v30, v29, s17
	s_mov_b32 s19, -1
	s_mov_b32 s18, -1
	s_mov_b32 s20, exec_lo
	v_add_nc_u32_e32 v23, 1, v19
	v_add_nc_u32_e32 v20, -1, v20
	v_lshl_add_u32 v19, v19, 3, v13
	v_cndmask_b32_e64 v21, v23, v21, s17
	v_min_u32_e32 v20, v23, v20
	v_cndmask_b32_e64 v22, v22, v23, s17
	v_lshl_add_u32 v20, v20, 1, v10
	ds_read_u16 v24, v20
	ds_read_b64 v[19:20], v19 offset:4096
	s_waitcnt lgkmcnt(1)
	v_cndmask_b32_e64 v38, v24, v49, s17
	v_cndmask_b32_e64 v55, v54, v24, s17
	v_cmpx_lt_u32_e64 v21, v30
	s_cbranch_execz .LBB1850_154
; %bb.151:
	s_mov_b32 s21, 0
	s_mov_b32 s18, exec_lo
	v_cmpx_lt_u32_e64 v22, v29
	s_cbranch_execz .LBB1850_153
; %bb.152:
	v_add_f16_e32 v23, 0, v55
	v_add_f16_e32 v24, 0, v38
	v_cmp_lt_i16_e64 s8, -1, v23
	v_cndmask_b32_e64 v25, -1, 0xffff8000, s8
	v_cmp_lt_i16_e64 s8, -1, v24
	v_xor_b32_e32 v23, v25, v23
	v_cndmask_b32_e64 v26, -1, 0xffff8000, s8
	v_xor_b32_e32 v24, v26, v24
	v_cmp_le_u16_e64 s8, v23, v24
	s_and_b32 s21, s8, exec_lo
.LBB1850_153:
	s_or_b32 exec_lo, exec_lo, s18
	s_orn2_b32 s18, s21, exec_lo
.LBB1850_154:
	s_or_b32 exec_lo, exec_lo, s20
	v_cndmask_b32_e64 v23, v21, v22, s18
	v_cndmask_b32_e64 v24, v30, v29, s18
	s_mov_b32 s20, exec_lo
	v_add_nc_u32_e32 v26, 1, v23
	v_add_nc_u32_e32 v24, -1, v24
	v_lshl_add_u32 v23, v23, 3, v13
	v_cndmask_b32_e64 v25, v26, v21, s18
	v_min_u32_e32 v24, v26, v24
	v_cndmask_b32_e64 v26, v22, v26, s18
	v_lshl_add_u32 v24, v24, 1, v10
	ds_read_u16 v64, v24
	ds_read_b64 v[23:24], v23 offset:4096
	s_waitcnt lgkmcnt(1)
	v_cndmask_b32_e64 v50, v64, v38, s18
	v_cndmask_b32_e64 v64, v55, v64, s18
	v_cmpx_lt_u32_e64 v25, v30
	s_cbranch_execz .LBB1850_158
; %bb.155:
	s_mov_b32 s21, 0
	s_mov_b32 s19, exec_lo
	v_cmpx_lt_u32_e64 v26, v29
	s_cbranch_execz .LBB1850_157
; %bb.156:
	v_add_f16_e32 v21, 0, v64
	v_add_f16_e32 v22, 0, v50
	v_cmp_lt_i16_e64 s8, -1, v21
	v_cndmask_b32_e64 v65, -1, 0xffff8000, s8
	v_cmp_lt_i16_e64 s8, -1, v22
	v_xor_b32_e32 v21, v65, v21
	v_cndmask_b32_e64 v66, -1, 0xffff8000, s8
	v_xor_b32_e32 v22, v66, v22
	v_cmp_le_u16_e64 s8, v21, v22
	s_and_b32 s21, s8, exec_lo
.LBB1850_157:
	s_or_b32 exec_lo, exec_lo, s19
	s_orn2_b32 s19, s21, exec_lo
.LBB1850_158:
	s_or_b32 exec_lo, exec_lo, s20
	v_cndmask_b32_e64 v21, v25, v26, s19
	v_cndmask_b32_e64 v22, v30, v29, s19
	s_mov_b32 s21, -1
	s_mov_b32 s20, exec_lo
	v_add_nc_u32_e32 v65, 1, v21
	v_add_nc_u32_e32 v22, -1, v22
	v_lshl_add_u32 v21, v21, 3, v13
	v_cndmask_b32_e64 v25, v65, v25, s19
	v_min_u32_e32 v22, v65, v22
	v_cndmask_b32_e64 v26, v26, v65, s19
	v_lshl_add_u32 v22, v22, 1, v10
	ds_read_u16 v66, v22
	ds_read_b64 v[21:22], v21 offset:4096
	s_waitcnt lgkmcnt(1)
	v_cndmask_b32_e64 v65, v66, v50, s19
	v_cndmask_b32_e64 v66, v64, v66, s19
	v_cmpx_lt_u32_e64 v25, v30
	s_cbranch_execz .LBB1850_162
; %bb.159:
	s_mov_b32 s22, 0
	s_mov_b32 s21, exec_lo
	v_cmpx_lt_u32_e64 v26, v29
	s_cbranch_execz .LBB1850_161
; %bb.160:
	v_add_f16_e32 v29, 0, v66
	v_add_f16_e32 v30, 0, v65
	v_cmp_lt_i16_e64 s8, -1, v29
	v_cndmask_b32_e64 v67, -1, 0xffff8000, s8
	v_cmp_lt_i16_e64 s8, -1, v30
	v_xor_b32_e32 v29, v67, v29
	v_cndmask_b32_e64 v68, -1, 0xffff8000, s8
	v_xor_b32_e32 v30, v68, v30
	v_cmp_le_u16_e64 s8, v29, v30
	s_and_b32 s22, s8, exec_lo
.LBB1850_161:
	s_or_b32 exec_lo, exec_lo, s21
	s_orn2_b32 s21, s22, exec_lo
.LBB1850_162:
	s_or_b32 exec_lo, exec_lo, s20
	v_cndmask_b32_e64 v25, v25, v26, s21
	v_cndmask_b32_e64 v50, v50, v64, s19
	;; [unrolled: 1-line block ×5, first 2 shown]
	v_lshl_add_u32 v25, v25, 3, v13
	v_cndmask_b32_e64 v48, v48, v52, s15
	v_cndmask_b32_e64 v39, v37, v39, s9
	;; [unrolled: 1-line block ×4, first 2 shown]
	ds_read_b64 v[25:26], v25 offset:4096
.LBB1850_163:
	s_or_b32 exec_lo, exec_lo, s12
	v_and_b32_e32 v31, 0xc0, v35
	v_and_b32_e32 v52, 56, v35
	s_mov_b32 s9, exec_lo
	; wave barrier
	v_or_b32_e32 v29, 32, v31
	v_min_u32_e32 v54, v28, v52
	ds_write_b16 v14, v36
	ds_write_b64 v27, v[4:5] offset:4096
	ds_write_b16 v14, v39 offset:2
	ds_write_b64 v27, v[8:9] offset:4104
	ds_write_b16 v14, v48 offset:4
	;; [unrolled: 2-line block ×3, first 2 shown]
	ds_write_b64 v27, v[17:18] offset:4120
	v_min_u32_e32 v29, v28, v29
	ds_write_b16 v14, v49 offset:8
	ds_write_b64 v27, v[19:20] offset:4128
	ds_write_b16 v14, v38 offset:10
	ds_write_b64 v27, v[23:24] offset:4136
	ds_write_b16 v14, v50 offset:12
	s_waitcnt lgkmcnt(14)
	ds_write_b64 v27, v[21:22] offset:4144
	ds_write_b16 v14, v37 offset:14
	s_waitcnt lgkmcnt(15)
	ds_write_b64 v27, v[25:26] offset:4152
	v_add_nc_u32_e32 v30, 32, v29
	v_sub_nc_u32_e32 v53, v29, v31
	; wave barrier
	v_min_u32_e32 v30, v28, v30
	v_min_u32_e32 v55, v54, v53
	v_lshl_add_u32 v53, v31, 1, v10
	v_sub_nc_u32_e32 v52, v30, v29
	v_sub_nc_u32_e64 v52, v54, v52 clamp
	v_cmpx_lt_u32_e64 v52, v55
	s_cbranch_execz .LBB1850_167
; %bb.164:
	v_lshlrev_b32_e32 v64, 1, v29
	v_lshlrev_b32_e32 v65, 1, v54
	s_mov_b32 s12, 0
	v_add3_u32 v64, v10, v64, v65
	s_inst_prefetch 0x1
	.p2align	6
.LBB1850_165:                           ; =>This Inner Loop Header: Depth=1
	v_add_nc_u32_e32 v65, v55, v52
	v_lshrrev_b32_e32 v66, 1, v65
	v_and_b32_e32 v65, -2, v65
	v_not_b32_e32 v67, v66
	v_add_nc_u32_e32 v65, v53, v65
	v_lshl_add_u32 v67, v67, 1, v64
	ds_read_u16 v65, v65
	ds_read_u16 v67, v67
	s_waitcnt lgkmcnt(1)
	v_add_f16_e32 v65, 0, v65
	s_waitcnt lgkmcnt(0)
	v_add_f16_e32 v67, 0, v67
	v_cmp_lt_i16_e64 s8, -1, v65
	v_cndmask_b32_e64 v68, -1, 0xffff8000, s8
	v_cmp_lt_i16_e64 s8, -1, v67
	v_xor_b32_e32 v65, v68, v65
	v_cndmask_b32_e64 v69, -1, 0xffff8000, s8
	v_add_nc_u32_e32 v68, 1, v66
	v_xor_b32_e32 v67, v69, v67
	v_cmp_gt_u16_e64 s8, v65, v67
	v_cndmask_b32_e64 v55, v55, v66, s8
	v_cndmask_b32_e64 v52, v68, v52, s8
	v_cmp_ge_u32_e64 s8, v52, v55
	s_or_b32 s12, s8, s12
	s_andn2_b32 exec_lo, exec_lo, s12
	s_cbranch_execnz .LBB1850_165
; %bb.166:
	s_inst_prefetch 0x2
	s_or_b32 exec_lo, exec_lo, s12
.LBB1850_167:
	s_or_b32 exec_lo, exec_lo, s9
	v_add_nc_u32_e32 v55, v29, v54
	v_add_nc_u32_e32 v54, v52, v31
	v_sub_nc_u32_e32 v55, v55, v52
	v_cmp_le_u32_e64 s8, v54, v29
	v_cmp_le_u32_e64 s9, v55, v30
	s_or_b32 s8, s8, s9
	s_and_saveexec_b32 s12, s8
	s_cbranch_execz .LBB1850_203
; %bb.168:
	v_cmp_ge_u32_e64 s8, v54, v29
	s_mov_b32 s13, exec_lo
                                        ; implicit-def: $vgpr31
	v_cmpx_lt_u32_e64 v54, v29
; %bb.169:
	v_lshl_add_u32 v4, v52, 1, v53
	ds_read_u16 v31, v4
; %bb.170:
	s_or_b32 exec_lo, exec_lo, s13
	v_cmp_ge_u32_e64 s13, v55, v30
	s_mov_b32 s15, exec_lo
                                        ; implicit-def: $vgpr36
	v_cmpx_lt_u32_e64 v55, v30
; %bb.171:
	v_lshl_add_u32 v4, v55, 1, v10
	ds_read_u16 v36, v4
; %bb.172:
	s_or_b32 exec_lo, exec_lo, s15
	s_nor_b32 s8, s8, s13
	s_and_saveexec_b32 s9, s8
	s_cbranch_execz .LBB1850_174
; %bb.173:
	s_waitcnt lgkmcnt(0)
	v_add_f16_e32 v4, 0, v31
	v_add_f16_e32 v5, 0, v36
	s_andn2_b32 s13, s13, exec_lo
	v_cmp_lt_i16_e64 s8, -1, v4
	v_cndmask_b32_e64 v8, -1, 0xffff8000, s8
	v_cmp_lt_i16_e64 s8, -1, v5
	v_xor_b32_e32 v4, v8, v4
	v_cndmask_b32_e64 v9, -1, 0xffff8000, s8
	v_xor_b32_e32 v5, v9, v5
	v_cmp_le_u16_e64 s8, v4, v5
	s_and_b32 s8, s8, exec_lo
	s_or_b32 s13, s13, s8
.LBB1850_174:
	s_or_b32 exec_lo, exec_lo, s9
	v_cndmask_b32_e64 v4, v55, v54, s13
	v_cndmask_b32_e64 v5, v30, v29, s13
	s_mov_b32 s15, -1
	s_mov_b32 s9, -1
	s_mov_b32 s16, exec_lo
	v_add_nc_u32_e32 v8, 1, v4
	v_add_nc_u32_e32 v5, -1, v5
	v_lshl_add_u32 v4, v4, 3, v13
	v_cndmask_b32_e64 v15, v8, v55, s13
	v_min_u32_e32 v5, v8, v5
	v_cndmask_b32_e64 v16, v54, v8, s13
	v_lshl_add_u32 v5, v5, 1, v10
	ds_read_u16 v9, v5
	ds_read_b64 v[4:5], v4 offset:4096
	s_waitcnt lgkmcnt(1)
	v_cndmask_b32_e64 v37, v9, v36, s13
	v_cndmask_b32_e64 v39, v31, v9, s13
	v_cmpx_lt_u32_e64 v15, v30
	s_cbranch_execz .LBB1850_178
; %bb.175:
	s_mov_b32 s17, 0
	s_mov_b32 s9, exec_lo
	v_cmpx_lt_u32_e64 v16, v29
	s_cbranch_execz .LBB1850_177
; %bb.176:
	v_add_f16_e32 v8, 0, v39
	v_add_f16_e32 v9, 0, v37
	v_cmp_lt_i16_e64 s8, -1, v8
	v_cndmask_b32_e64 v17, -1, 0xffff8000, s8
	v_cmp_lt_i16_e64 s8, -1, v9
	v_xor_b32_e32 v8, v17, v8
	v_cndmask_b32_e64 v18, -1, 0xffff8000, s8
	v_xor_b32_e32 v9, v18, v9
	v_cmp_le_u16_e64 s8, v8, v9
	s_and_b32 s17, s8, exec_lo
.LBB1850_177:
	s_or_b32 exec_lo, exec_lo, s9
	s_orn2_b32 s9, s17, exec_lo
.LBB1850_178:
	s_or_b32 exec_lo, exec_lo, s16
	v_cndmask_b32_e64 v8, v15, v16, s9
	v_cndmask_b32_e64 v9, v30, v29, s9
	s_mov_b32 s16, exec_lo
	v_add_nc_u32_e32 v18, 1, v8
	v_add_nc_u32_e32 v9, -1, v9
	v_lshl_add_u32 v8, v8, 3, v13
	v_cndmask_b32_e64 v17, v18, v15, s9
	v_min_u32_e32 v9, v18, v9
	v_cndmask_b32_e64 v18, v16, v18, s9
	v_lshl_add_u32 v9, v9, 1, v10
	ds_read_u16 v19, v9
	ds_read_b64 v[8:9], v8 offset:4096
	s_waitcnt lgkmcnt(1)
	v_cndmask_b32_e64 v48, v19, v37, s9
	v_cndmask_b32_e64 v52, v39, v19, s9
	v_cmpx_lt_u32_e64 v17, v30
	s_cbranch_execz .LBB1850_182
; %bb.179:
	s_mov_b32 s17, 0
	s_mov_b32 s15, exec_lo
	v_cmpx_lt_u32_e64 v18, v29
	s_cbranch_execz .LBB1850_181
; %bb.180:
	v_add_f16_e32 v15, 0, v52
	v_add_f16_e32 v16, 0, v48
	v_cmp_lt_i16_e64 s8, -1, v15
	v_cndmask_b32_e64 v19, -1, 0xffff8000, s8
	v_cmp_lt_i16_e64 s8, -1, v16
	v_xor_b32_e32 v15, v19, v15
	v_cndmask_b32_e64 v20, -1, 0xffff8000, s8
	v_xor_b32_e32 v16, v20, v16
	v_cmp_le_u16_e64 s8, v15, v16
	s_and_b32 s17, s8, exec_lo
.LBB1850_181:
	s_or_b32 exec_lo, exec_lo, s15
	s_orn2_b32 s15, s17, exec_lo
.LBB1850_182:
	s_or_b32 exec_lo, exec_lo, s16
	v_cndmask_b32_e64 v15, v17, v18, s15
	v_cndmask_b32_e64 v16, v30, v29, s15
	s_mov_b32 s17, -1
	s_mov_b32 s16, -1
	s_mov_b32 s18, exec_lo
	v_add_nc_u32_e32 v20, 1, v15
	v_add_nc_u32_e32 v16, -1, v16
	v_lshl_add_u32 v15, v15, 3, v13
	v_cndmask_b32_e64 v19, v20, v17, s15
	v_min_u32_e32 v16, v20, v16
	v_cndmask_b32_e64 v20, v18, v20, s15
	v_lshl_add_u32 v16, v16, 1, v10
	ds_read_u16 v21, v16
	ds_read_b64 v[15:16], v15 offset:4096
	s_waitcnt lgkmcnt(1)
	v_cndmask_b32_e64 v51, v21, v48, s15
	v_cndmask_b32_e64 v53, v52, v21, s15
	v_cmpx_lt_u32_e64 v19, v30
	s_cbranch_execz .LBB1850_186
; %bb.183:
	s_mov_b32 s19, 0
	s_mov_b32 s16, exec_lo
	v_cmpx_lt_u32_e64 v20, v29
	s_cbranch_execz .LBB1850_185
; %bb.184:
	v_add_f16_e32 v17, 0, v53
	v_add_f16_e32 v18, 0, v51
	v_cmp_lt_i16_e64 s8, -1, v17
	v_cndmask_b32_e64 v21, -1, 0xffff8000, s8
	v_cmp_lt_i16_e64 s8, -1, v18
	v_xor_b32_e32 v17, v21, v17
	v_cndmask_b32_e64 v22, -1, 0xffff8000, s8
	v_xor_b32_e32 v18, v22, v18
	v_cmp_le_u16_e64 s8, v17, v18
	s_and_b32 s19, s8, exec_lo
.LBB1850_185:
	s_or_b32 exec_lo, exec_lo, s16
	s_orn2_b32 s16, s19, exec_lo
.LBB1850_186:
	s_or_b32 exec_lo, exec_lo, s18
	v_cndmask_b32_e64 v17, v19, v20, s16
	v_cndmask_b32_e64 v18, v30, v29, s16
	s_mov_b32 s18, exec_lo
	v_add_nc_u32_e32 v22, 1, v17
	v_add_nc_u32_e32 v18, -1, v18
	v_lshl_add_u32 v17, v17, 3, v13
	v_cndmask_b32_e64 v21, v22, v19, s16
	v_min_u32_e32 v18, v22, v18
	v_cndmask_b32_e64 v22, v20, v22, s16
	v_lshl_add_u32 v18, v18, 1, v10
	ds_read_u16 v23, v18
	ds_read_b64 v[17:18], v17 offset:4096
	s_waitcnt lgkmcnt(1)
	v_cndmask_b32_e64 v49, v23, v51, s16
	v_cndmask_b32_e64 v54, v53, v23, s16
	v_cmpx_lt_u32_e64 v21, v30
	s_cbranch_execz .LBB1850_190
; %bb.187:
	s_mov_b32 s19, 0
	s_mov_b32 s17, exec_lo
	v_cmpx_lt_u32_e64 v22, v29
	s_cbranch_execz .LBB1850_189
; %bb.188:
	v_add_f16_e32 v19, 0, v54
	v_add_f16_e32 v20, 0, v49
	v_cmp_lt_i16_e64 s8, -1, v19
	v_cndmask_b32_e64 v23, -1, 0xffff8000, s8
	v_cmp_lt_i16_e64 s8, -1, v20
	v_xor_b32_e32 v19, v23, v19
	v_cndmask_b32_e64 v24, -1, 0xffff8000, s8
	v_xor_b32_e32 v20, v24, v20
	v_cmp_le_u16_e64 s8, v19, v20
	s_and_b32 s19, s8, exec_lo
.LBB1850_189:
	s_or_b32 exec_lo, exec_lo, s17
	s_orn2_b32 s17, s19, exec_lo
.LBB1850_190:
	s_or_b32 exec_lo, exec_lo, s18
	v_cndmask_b32_e64 v19, v21, v22, s17
	v_cndmask_b32_e64 v20, v30, v29, s17
	s_mov_b32 s19, -1
	s_mov_b32 s18, -1
	s_mov_b32 s20, exec_lo
	v_add_nc_u32_e32 v23, 1, v19
	v_add_nc_u32_e32 v20, -1, v20
	v_lshl_add_u32 v19, v19, 3, v13
	v_cndmask_b32_e64 v21, v23, v21, s17
	v_min_u32_e32 v20, v23, v20
	v_cndmask_b32_e64 v22, v22, v23, s17
	v_lshl_add_u32 v20, v20, 1, v10
	ds_read_u16 v24, v20
	ds_read_b64 v[19:20], v19 offset:4096
	s_waitcnt lgkmcnt(1)
	v_cndmask_b32_e64 v38, v24, v49, s17
	v_cndmask_b32_e64 v55, v54, v24, s17
	v_cmpx_lt_u32_e64 v21, v30
	s_cbranch_execz .LBB1850_194
; %bb.191:
	s_mov_b32 s21, 0
	s_mov_b32 s18, exec_lo
	v_cmpx_lt_u32_e64 v22, v29
	s_cbranch_execz .LBB1850_193
; %bb.192:
	v_add_f16_e32 v23, 0, v55
	v_add_f16_e32 v24, 0, v38
	v_cmp_lt_i16_e64 s8, -1, v23
	v_cndmask_b32_e64 v25, -1, 0xffff8000, s8
	v_cmp_lt_i16_e64 s8, -1, v24
	v_xor_b32_e32 v23, v25, v23
	v_cndmask_b32_e64 v26, -1, 0xffff8000, s8
	v_xor_b32_e32 v24, v26, v24
	v_cmp_le_u16_e64 s8, v23, v24
	s_and_b32 s21, s8, exec_lo
.LBB1850_193:
	s_or_b32 exec_lo, exec_lo, s18
	s_orn2_b32 s18, s21, exec_lo
.LBB1850_194:
	s_or_b32 exec_lo, exec_lo, s20
	v_cndmask_b32_e64 v23, v21, v22, s18
	v_cndmask_b32_e64 v24, v30, v29, s18
	s_mov_b32 s20, exec_lo
	v_add_nc_u32_e32 v26, 1, v23
	v_add_nc_u32_e32 v24, -1, v24
	v_lshl_add_u32 v23, v23, 3, v13
	v_cndmask_b32_e64 v25, v26, v21, s18
	v_min_u32_e32 v24, v26, v24
	v_cndmask_b32_e64 v26, v22, v26, s18
	v_lshl_add_u32 v24, v24, 1, v10
	ds_read_u16 v64, v24
	ds_read_b64 v[23:24], v23 offset:4096
	s_waitcnt lgkmcnt(1)
	v_cndmask_b32_e64 v50, v64, v38, s18
	v_cndmask_b32_e64 v64, v55, v64, s18
	v_cmpx_lt_u32_e64 v25, v30
	s_cbranch_execz .LBB1850_198
; %bb.195:
	s_mov_b32 s21, 0
	s_mov_b32 s19, exec_lo
	v_cmpx_lt_u32_e64 v26, v29
	s_cbranch_execz .LBB1850_197
; %bb.196:
	v_add_f16_e32 v21, 0, v64
	v_add_f16_e32 v22, 0, v50
	v_cmp_lt_i16_e64 s8, -1, v21
	v_cndmask_b32_e64 v65, -1, 0xffff8000, s8
	v_cmp_lt_i16_e64 s8, -1, v22
	v_xor_b32_e32 v21, v65, v21
	v_cndmask_b32_e64 v66, -1, 0xffff8000, s8
	v_xor_b32_e32 v22, v66, v22
	v_cmp_le_u16_e64 s8, v21, v22
	s_and_b32 s21, s8, exec_lo
.LBB1850_197:
	s_or_b32 exec_lo, exec_lo, s19
	s_orn2_b32 s19, s21, exec_lo
.LBB1850_198:
	s_or_b32 exec_lo, exec_lo, s20
	v_cndmask_b32_e64 v21, v25, v26, s19
	v_cndmask_b32_e64 v22, v30, v29, s19
	s_mov_b32 s21, -1
	s_mov_b32 s20, exec_lo
	v_add_nc_u32_e32 v65, 1, v21
	v_add_nc_u32_e32 v22, -1, v22
	v_lshl_add_u32 v21, v21, 3, v13
	v_cndmask_b32_e64 v25, v65, v25, s19
	v_min_u32_e32 v22, v65, v22
	v_cndmask_b32_e64 v26, v26, v65, s19
	v_lshl_add_u32 v22, v22, 1, v10
	ds_read_u16 v66, v22
	ds_read_b64 v[21:22], v21 offset:4096
	s_waitcnt lgkmcnt(1)
	v_cndmask_b32_e64 v65, v66, v50, s19
	v_cndmask_b32_e64 v66, v64, v66, s19
	v_cmpx_lt_u32_e64 v25, v30
	s_cbranch_execz .LBB1850_202
; %bb.199:
	s_mov_b32 s22, 0
	s_mov_b32 s21, exec_lo
	v_cmpx_lt_u32_e64 v26, v29
	s_cbranch_execz .LBB1850_201
; %bb.200:
	v_add_f16_e32 v29, 0, v66
	v_add_f16_e32 v30, 0, v65
	v_cmp_lt_i16_e64 s8, -1, v29
	v_cndmask_b32_e64 v67, -1, 0xffff8000, s8
	v_cmp_lt_i16_e64 s8, -1, v30
	v_xor_b32_e32 v29, v67, v29
	v_cndmask_b32_e64 v68, -1, 0xffff8000, s8
	v_xor_b32_e32 v30, v68, v30
	v_cmp_le_u16_e64 s8, v29, v30
	s_and_b32 s22, s8, exec_lo
.LBB1850_201:
	s_or_b32 exec_lo, exec_lo, s21
	s_orn2_b32 s21, s22, exec_lo
.LBB1850_202:
	s_or_b32 exec_lo, exec_lo, s20
	v_cndmask_b32_e64 v25, v25, v26, s21
	v_cndmask_b32_e64 v50, v50, v64, s19
	v_cndmask_b32_e64 v38, v38, v55, s18
	v_cndmask_b32_e64 v49, v49, v54, s17
	v_cndmask_b32_e64 v51, v51, v53, s16
	v_lshl_add_u32 v25, v25, 3, v13
	v_cndmask_b32_e64 v48, v48, v52, s15
	v_cndmask_b32_e64 v39, v37, v39, s9
	;; [unrolled: 1-line block ×4, first 2 shown]
	ds_read_b64 v[25:26], v25 offset:4096
.LBB1850_203:
	s_or_b32 exec_lo, exec_lo, s12
	v_and_b32_e32 v35, 0x80, v35
	v_min_u32_e32 v34, v28, v34
	s_mov_b32 s9, exec_lo
	; wave barrier
	v_or_b32_e32 v29, 64, v35
	ds_write_b16 v14, v36
	ds_write_b64 v27, v[4:5] offset:4096
	ds_write_b16 v14, v39 offset:2
	ds_write_b64 v27, v[8:9] offset:4104
	ds_write_b16 v14, v48 offset:4
	;; [unrolled: 2-line block ×5, first 2 shown]
	v_min_u32_e32 v29, v28, v29
	ds_write_b64 v27, v[23:24] offset:4136
	ds_write_b16 v14, v50 offset:12
	s_waitcnt lgkmcnt(14)
	ds_write_b64 v27, v[21:22] offset:4144
	ds_write_b16 v14, v37 offset:14
	s_waitcnt lgkmcnt(15)
	ds_write_b64 v27, v[25:26] offset:4152
	; wave barrier
	v_add_nc_u32_e32 v30, 64, v29
	v_sub_nc_u32_e32 v31, v29, v35
	v_min_u32_e32 v30, v28, v30
	v_min_u32_e32 v52, v34, v31
	v_lshl_add_u32 v31, v35, 1, v10
	v_sub_nc_u32_e32 v28, v30, v29
	v_sub_nc_u32_e64 v28, v34, v28 clamp
	v_cmpx_lt_u32_e64 v28, v52
	s_cbranch_execz .LBB1850_207
; %bb.204:
	v_lshlrev_b32_e32 v14, 1, v29
	v_lshlrev_b32_e32 v27, 1, v34
	s_mov_b32 s12, 0
	v_add3_u32 v14, v10, v14, v27
	s_inst_prefetch 0x1
	.p2align	6
.LBB1850_205:                           ; =>This Inner Loop Header: Depth=1
	v_add_nc_u32_e32 v27, v52, v28
	v_lshrrev_b32_e32 v53, 1, v27
	v_and_b32_e32 v27, -2, v27
	v_not_b32_e32 v54, v53
	v_add_nc_u32_e32 v27, v31, v27
	v_lshl_add_u32 v54, v54, 1, v14
	ds_read_u16 v27, v27
	ds_read_u16 v54, v54
	s_waitcnt lgkmcnt(1)
	v_add_f16_e32 v27, 0, v27
	s_waitcnt lgkmcnt(0)
	v_add_f16_e32 v54, 0, v54
	v_cmp_lt_i16_e64 s8, -1, v27
	v_cndmask_b32_e64 v55, -1, 0xffff8000, s8
	v_cmp_lt_i16_e64 s8, -1, v54
	v_xor_b32_e32 v27, v55, v27
	v_cndmask_b32_e64 v64, -1, 0xffff8000, s8
	v_add_nc_u32_e32 v55, 1, v53
	v_xor_b32_e32 v54, v64, v54
	v_cmp_gt_u16_e64 s8, v27, v54
	v_cndmask_b32_e64 v52, v52, v53, s8
	v_cndmask_b32_e64 v28, v55, v28, s8
	v_cmp_ge_u32_e64 s8, v28, v52
	s_or_b32 s12, s8, s12
	s_andn2_b32 exec_lo, exec_lo, s12
	s_cbranch_execnz .LBB1850_205
; %bb.206:
	s_inst_prefetch 0x2
	s_or_b32 exec_lo, exec_lo, s12
.LBB1850_207:
	s_or_b32 exec_lo, exec_lo, s9
	v_add_nc_u32_e32 v14, v29, v34
	v_add_nc_u32_e32 v34, v28, v35
	v_sub_nc_u32_e32 v35, v14, v28
	v_cmp_le_u32_e64 s8, v34, v29
	v_cmp_le_u32_e64 s9, v35, v30
	s_or_b32 s8, s8, s9
	s_and_saveexec_b32 s12, s8
	s_cbranch_execz .LBB1850_243
; %bb.208:
	v_cmp_ge_u32_e64 s8, v34, v29
	s_mov_b32 s13, exec_lo
                                        ; implicit-def: $vgpr14
	v_cmpx_lt_u32_e64 v34, v29
; %bb.209:
	v_lshl_add_u32 v4, v28, 1, v31
	ds_read_u16 v14, v4
; %bb.210:
	s_or_b32 exec_lo, exec_lo, s13
	v_cmp_ge_u32_e64 s13, v35, v30
	s_mov_b32 s15, exec_lo
                                        ; implicit-def: $vgpr27
	v_cmpx_lt_u32_e64 v35, v30
; %bb.211:
	v_lshl_add_u32 v4, v35, 1, v10
	ds_read_u16 v27, v4
; %bb.212:
	s_or_b32 exec_lo, exec_lo, s15
	s_nor_b32 s8, s8, s13
	s_and_saveexec_b32 s9, s8
	s_cbranch_execz .LBB1850_214
; %bb.213:
	s_waitcnt lgkmcnt(0)
	v_add_f16_e32 v4, 0, v14
	v_add_f16_e32 v5, 0, v27
	s_andn2_b32 s13, s13, exec_lo
	v_cmp_lt_i16_e64 s8, -1, v4
	v_cndmask_b32_e64 v8, -1, 0xffff8000, s8
	v_cmp_lt_i16_e64 s8, -1, v5
	v_xor_b32_e32 v4, v8, v4
	v_cndmask_b32_e64 v9, -1, 0xffff8000, s8
	v_xor_b32_e32 v5, v9, v5
	v_cmp_le_u16_e64 s8, v4, v5
	s_and_b32 s8, s8, exec_lo
	s_or_b32 s13, s13, s8
.LBB1850_214:
	s_or_b32 exec_lo, exec_lo, s9
	v_cndmask_b32_e64 v4, v35, v34, s13
	v_cndmask_b32_e64 v5, v30, v29, s13
	s_mov_b32 s15, -1
	s_mov_b32 s9, -1
	s_mov_b32 s16, exec_lo
	v_add_nc_u32_e32 v8, 1, v4
	v_add_nc_u32_e32 v5, -1, v5
	v_lshl_add_u32 v4, v4, 3, v13
	v_cndmask_b32_e64 v15, v8, v35, s13
	v_min_u32_e32 v5, v8, v5
	v_cndmask_b32_e64 v16, v34, v8, s13
	v_lshl_add_u32 v5, v5, 1, v10
	ds_read_u16 v9, v5
	ds_read_b64 v[4:5], v4 offset:4096
	s_waitcnt lgkmcnt(1)
	v_cndmask_b32_e64 v28, v9, v27, s13
	v_cndmask_b32_e64 v31, v14, v9, s13
	v_cmpx_lt_u32_e64 v15, v30
	s_cbranch_execz .LBB1850_218
; %bb.215:
	s_mov_b32 s17, 0
	s_mov_b32 s9, exec_lo
	v_cmpx_lt_u32_e64 v16, v29
	s_cbranch_execz .LBB1850_217
; %bb.216:
	v_add_f16_e32 v8, 0, v31
	v_add_f16_e32 v9, 0, v28
	v_cmp_lt_i16_e64 s8, -1, v8
	v_cndmask_b32_e64 v17, -1, 0xffff8000, s8
	v_cmp_lt_i16_e64 s8, -1, v9
	v_xor_b32_e32 v8, v17, v8
	v_cndmask_b32_e64 v18, -1, 0xffff8000, s8
	v_xor_b32_e32 v9, v18, v9
	v_cmp_le_u16_e64 s8, v8, v9
	s_and_b32 s17, s8, exec_lo
.LBB1850_217:
	s_or_b32 exec_lo, exec_lo, s9
	s_orn2_b32 s9, s17, exec_lo
.LBB1850_218:
	s_or_b32 exec_lo, exec_lo, s16
	v_cndmask_b32_e64 v8, v15, v16, s9
	v_cndmask_b32_e64 v9, v30, v29, s9
	s_mov_b32 s16, exec_lo
	v_add_nc_u32_e32 v18, 1, v8
	v_add_nc_u32_e32 v9, -1, v9
	v_lshl_add_u32 v8, v8, 3, v13
	v_cndmask_b32_e64 v17, v18, v15, s9
	v_min_u32_e32 v9, v18, v9
	v_cndmask_b32_e64 v18, v16, v18, s9
	v_lshl_add_u32 v9, v9, 1, v10
	ds_read_u16 v19, v9
	ds_read_b64 v[8:9], v8 offset:4096
	s_waitcnt lgkmcnt(1)
	v_cndmask_b32_e64 v34, v19, v28, s9
	v_cndmask_b32_e64 v35, v31, v19, s9
	v_cmpx_lt_u32_e64 v17, v30
	s_cbranch_execz .LBB1850_222
; %bb.219:
	s_mov_b32 s17, 0
	s_mov_b32 s15, exec_lo
	v_cmpx_lt_u32_e64 v18, v29
	s_cbranch_execz .LBB1850_221
; %bb.220:
	v_add_f16_e32 v15, 0, v35
	v_add_f16_e32 v16, 0, v34
	v_cmp_lt_i16_e64 s8, -1, v15
	v_cndmask_b32_e64 v19, -1, 0xffff8000, s8
	v_cmp_lt_i16_e64 s8, -1, v16
	v_xor_b32_e32 v15, v19, v15
	v_cndmask_b32_e64 v20, -1, 0xffff8000, s8
	v_xor_b32_e32 v16, v20, v16
	v_cmp_le_u16_e64 s8, v15, v16
	s_and_b32 s17, s8, exec_lo
.LBB1850_221:
	s_or_b32 exec_lo, exec_lo, s15
	s_orn2_b32 s15, s17, exec_lo
.LBB1850_222:
	s_or_b32 exec_lo, exec_lo, s16
	v_cndmask_b32_e64 v15, v17, v18, s15
	v_cndmask_b32_e64 v16, v30, v29, s15
	s_mov_b32 s17, -1
	s_mov_b32 s16, -1
	s_mov_b32 s18, exec_lo
	v_add_nc_u32_e32 v20, 1, v15
	v_add_nc_u32_e32 v16, -1, v16
	v_lshl_add_u32 v15, v15, 3, v13
	v_cndmask_b32_e64 v19, v20, v17, s15
	v_min_u32_e32 v16, v20, v16
	v_cndmask_b32_e64 v20, v18, v20, s15
	v_lshl_add_u32 v16, v16, 1, v10
	ds_read_u16 v21, v16
	ds_read_b64 v[15:16], v15 offset:4096
	s_waitcnt lgkmcnt(1)
	v_cndmask_b32_e64 v36, v21, v34, s15
	v_cndmask_b32_e64 v37, v35, v21, s15
	v_cmpx_lt_u32_e64 v19, v30
	s_cbranch_execz .LBB1850_226
; %bb.223:
	s_mov_b32 s19, 0
	s_mov_b32 s16, exec_lo
	v_cmpx_lt_u32_e64 v20, v29
	s_cbranch_execz .LBB1850_225
; %bb.224:
	v_add_f16_e32 v17, 0, v37
	v_add_f16_e32 v18, 0, v36
	v_cmp_lt_i16_e64 s8, -1, v17
	v_cndmask_b32_e64 v21, -1, 0xffff8000, s8
	v_cmp_lt_i16_e64 s8, -1, v18
	v_xor_b32_e32 v17, v21, v17
	v_cndmask_b32_e64 v22, -1, 0xffff8000, s8
	v_xor_b32_e32 v18, v22, v18
	v_cmp_le_u16_e64 s8, v17, v18
	s_and_b32 s19, s8, exec_lo
.LBB1850_225:
	s_or_b32 exec_lo, exec_lo, s16
	s_orn2_b32 s16, s19, exec_lo
.LBB1850_226:
	s_or_b32 exec_lo, exec_lo, s18
	v_cndmask_b32_e64 v17, v19, v20, s16
	v_cndmask_b32_e64 v18, v30, v29, s16
	s_mov_b32 s18, exec_lo
	v_add_nc_u32_e32 v22, 1, v17
	v_add_nc_u32_e32 v18, -1, v18
	v_lshl_add_u32 v17, v17, 3, v13
	v_cndmask_b32_e64 v21, v22, v19, s16
	v_min_u32_e32 v18, v22, v18
	v_cndmask_b32_e64 v22, v20, v22, s16
	v_lshl_add_u32 v18, v18, 1, v10
	ds_read_u16 v23, v18
	ds_read_b64 v[17:18], v17 offset:4096
	s_waitcnt lgkmcnt(1)
	v_cndmask_b32_e64 v39, v23, v36, s16
	v_cndmask_b32_e64 v48, v37, v23, s16
	v_cmpx_lt_u32_e64 v21, v30
	s_cbranch_execz .LBB1850_230
; %bb.227:
	s_mov_b32 s19, 0
	s_mov_b32 s17, exec_lo
	v_cmpx_lt_u32_e64 v22, v29
	s_cbranch_execz .LBB1850_229
; %bb.228:
	v_add_f16_e32 v19, 0, v48
	v_add_f16_e32 v20, 0, v39
	v_cmp_lt_i16_e64 s8, -1, v19
	v_cndmask_b32_e64 v23, -1, 0xffff8000, s8
	v_cmp_lt_i16_e64 s8, -1, v20
	v_xor_b32_e32 v19, v23, v19
	v_cndmask_b32_e64 v24, -1, 0xffff8000, s8
	v_xor_b32_e32 v20, v24, v20
	v_cmp_le_u16_e64 s8, v19, v20
	s_and_b32 s19, s8, exec_lo
.LBB1850_229:
	s_or_b32 exec_lo, exec_lo, s17
	s_orn2_b32 s17, s19, exec_lo
.LBB1850_230:
	s_or_b32 exec_lo, exec_lo, s18
	v_cndmask_b32_e64 v19, v21, v22, s17
	v_cndmask_b32_e64 v20, v30, v29, s17
	s_mov_b32 s19, -1
	s_mov_b32 s18, -1
	s_mov_b32 s20, exec_lo
	v_add_nc_u32_e32 v23, 1, v19
	v_add_nc_u32_e32 v20, -1, v20
	v_lshl_add_u32 v19, v19, 3, v13
	v_cndmask_b32_e64 v21, v23, v21, s17
	v_min_u32_e32 v20, v23, v20
	v_cndmask_b32_e64 v22, v22, v23, s17
	v_lshl_add_u32 v20, v20, 1, v10
	ds_read_u16 v24, v20
	ds_read_b64 v[19:20], v19 offset:4096
	s_waitcnt lgkmcnt(1)
	v_cndmask_b32_e64 v38, v24, v39, s17
	v_cndmask_b32_e64 v49, v48, v24, s17
	v_cmpx_lt_u32_e64 v21, v30
	s_cbranch_execz .LBB1850_234
; %bb.231:
	s_mov_b32 s21, 0
	s_mov_b32 s18, exec_lo
	v_cmpx_lt_u32_e64 v22, v29
	s_cbranch_execz .LBB1850_233
; %bb.232:
	v_add_f16_e32 v23, 0, v49
	v_add_f16_e32 v24, 0, v38
	v_cmp_lt_i16_e64 s8, -1, v23
	v_cndmask_b32_e64 v25, -1, 0xffff8000, s8
	v_cmp_lt_i16_e64 s8, -1, v24
	v_xor_b32_e32 v23, v25, v23
	v_cndmask_b32_e64 v26, -1, 0xffff8000, s8
	v_xor_b32_e32 v24, v26, v24
	v_cmp_le_u16_e64 s8, v23, v24
	s_and_b32 s21, s8, exec_lo
.LBB1850_233:
	s_or_b32 exec_lo, exec_lo, s18
	s_orn2_b32 s18, s21, exec_lo
.LBB1850_234:
	s_or_b32 exec_lo, exec_lo, s20
	v_cndmask_b32_e64 v23, v21, v22, s18
	v_cndmask_b32_e64 v24, v30, v29, s18
	s_mov_b32 s20, exec_lo
	v_add_nc_u32_e32 v26, 1, v23
	v_add_nc_u32_e32 v24, -1, v24
	v_lshl_add_u32 v23, v23, 3, v13
	v_cndmask_b32_e64 v25, v26, v21, s18
	v_min_u32_e32 v24, v26, v24
	v_cndmask_b32_e64 v26, v22, v26, s18
	v_lshl_add_u32 v24, v24, 1, v10
	ds_read_u16 v51, v24
	ds_read_b64 v[23:24], v23 offset:4096
	s_waitcnt lgkmcnt(1)
	v_cndmask_b32_e64 v50, v51, v38, s18
	v_cndmask_b32_e64 v51, v49, v51, s18
	v_cmpx_lt_u32_e64 v25, v30
	s_cbranch_execz .LBB1850_238
; %bb.235:
	s_mov_b32 s21, 0
	s_mov_b32 s19, exec_lo
	v_cmpx_lt_u32_e64 v26, v29
	s_cbranch_execz .LBB1850_237
; %bb.236:
	v_add_f16_e32 v21, 0, v51
	v_add_f16_e32 v22, 0, v50
	v_cmp_lt_i16_e64 s8, -1, v21
	v_cndmask_b32_e64 v52, -1, 0xffff8000, s8
	v_cmp_lt_i16_e64 s8, -1, v22
	v_xor_b32_e32 v21, v52, v21
	v_cndmask_b32_e64 v53, -1, 0xffff8000, s8
	v_xor_b32_e32 v22, v53, v22
	v_cmp_le_u16_e64 s8, v21, v22
	s_and_b32 s21, s8, exec_lo
.LBB1850_237:
	s_or_b32 exec_lo, exec_lo, s19
	s_orn2_b32 s19, s21, exec_lo
.LBB1850_238:
	s_or_b32 exec_lo, exec_lo, s20
	v_cndmask_b32_e64 v21, v25, v26, s19
	v_cndmask_b32_e64 v22, v30, v29, s19
	s_mov_b32 s21, -1
	s_mov_b32 s20, exec_lo
	v_add_nc_u32_e32 v52, 1, v21
	v_add_nc_u32_e32 v22, -1, v22
	v_cndmask_b32_e64 v25, v52, v25, s19
	v_min_u32_e32 v22, v52, v22
	v_cndmask_b32_e64 v26, v26, v52, s19
	v_lshl_add_u32 v10, v22, 1, v10
	ds_read_u16 v53, v10
	v_lshl_add_u32 v10, v21, 3, v13
	ds_read_b64 v[21:22], v10 offset:4096
	s_waitcnt lgkmcnt(1)
	v_cndmask_b32_e64 v10, v53, v50, s19
	v_cndmask_b32_e64 v52, v51, v53, s19
	v_cmpx_lt_u32_e64 v25, v30
	s_cbranch_execz .LBB1850_242
; %bb.239:
	s_mov_b32 s22, 0
	s_mov_b32 s21, exec_lo
	v_cmpx_lt_u32_e64 v26, v29
	s_cbranch_execz .LBB1850_241
; %bb.240:
	v_add_f16_e32 v29, 0, v52
	v_add_f16_e32 v30, 0, v10
	v_cmp_lt_i16_e64 s8, -1, v29
	v_cndmask_b32_e64 v53, -1, 0xffff8000, s8
	v_cmp_lt_i16_e64 s8, -1, v30
	v_xor_b32_e32 v29, v53, v29
	v_cndmask_b32_e64 v54, -1, 0xffff8000, s8
	v_xor_b32_e32 v30, v54, v30
	v_cmp_le_u16_e64 s8, v29, v30
	s_and_b32 s22, s8, exec_lo
.LBB1850_241:
	s_or_b32 exec_lo, exec_lo, s21
	s_orn2_b32 s21, s22, exec_lo
.LBB1850_242:
	s_or_b32 exec_lo, exec_lo, s20
	v_cndmask_b32_e64 v25, v25, v26, s21
	v_cndmask_b32_e64 v50, v50, v51, s19
	;; [unrolled: 1-line block ×5, first 2 shown]
	v_lshl_add_u32 v13, v25, 3, v13
	v_cndmask_b32_e64 v48, v34, v35, s15
	v_cndmask_b32_e64 v39, v28, v31, s9
	;; [unrolled: 1-line block ×4, first 2 shown]
	ds_read_b64 v[25:26], v13 offset:4096
.LBB1850_243:
	s_or_b32 exec_lo, exec_lo, s12
	v_add_co_u32 v2, s8, v2, v11
	v_add_co_ci_u32_e64 v3, null, v3, v12, s8
	v_add_co_u32 v2, s8, v2, v32
	v_add_co_ci_u32_e64 v3, null, 0, v3, s8
	; wave barrier
	s_waitcnt lgkmcnt(0)
	s_waitcnt_vscnt null, 0x0
	s_barrier
	buffer_gl0_inv
	; wave barrier
	s_and_saveexec_b32 s8, vcc_lo
	s_cbranch_execnz .LBB1850_268
; %bb.244:
	s_or_b32 exec_lo, exec_lo, s8
	s_and_saveexec_b32 s8, s4
	s_cbranch_execnz .LBB1850_269
.LBB1850_245:
	s_or_b32 exec_lo, exec_lo, s8
	s_and_saveexec_b32 s8, s5
	s_cbranch_execnz .LBB1850_270
.LBB1850_246:
	s_or_b32 exec_lo, exec_lo, s8
	s_and_saveexec_b32 s8, s6
	s_cbranch_execnz .LBB1850_271
.LBB1850_247:
	s_or_b32 exec_lo, exec_lo, s8
	s_and_saveexec_b32 s8, s7
	s_cbranch_execnz .LBB1850_272
.LBB1850_248:
	s_or_b32 exec_lo, exec_lo, s8
	s_and_saveexec_b32 s8, s10
	s_cbranch_execnz .LBB1850_273
.LBB1850_249:
	s_or_b32 exec_lo, exec_lo, s8
	s_and_saveexec_b32 s8, s11
	s_cbranch_execnz .LBB1850_274
.LBB1850_250:
	s_or_b32 exec_lo, exec_lo, s8
	s_and_saveexec_b32 s8, s14
	s_cbranch_execz .LBB1850_252
.LBB1850_251:
	flat_store_short v[2:3], v37 offset:14
.LBB1850_252:
	s_or_b32 exec_lo, exec_lo, s8
	v_add_co_u32 v0, s8, v6, v0
	v_add_co_ci_u32_e64 v1, null, v7, v1, s8
	v_add_co_u32 v0, s8, v0, v33
	v_add_co_ci_u32_e64 v1, null, 0, v1, s8
	; wave barrier
	s_and_saveexec_b32 s8, vcc_lo
	s_cbranch_execnz .LBB1850_275
; %bb.253:
	s_or_b32 exec_lo, exec_lo, s8
	s_and_saveexec_b32 s8, s4
	s_cbranch_execnz .LBB1850_276
.LBB1850_254:
	s_or_b32 exec_lo, exec_lo, s8
	s_and_saveexec_b32 s4, s5
	s_cbranch_execnz .LBB1850_277
.LBB1850_255:
	s_or_b32 exec_lo, exec_lo, s4
	s_and_saveexec_b32 s4, s6
	s_cbranch_execnz .LBB1850_278
.LBB1850_256:
	s_or_b32 exec_lo, exec_lo, s4
	s_and_saveexec_b32 s4, s7
	s_cbranch_execnz .LBB1850_279
.LBB1850_257:
	s_or_b32 exec_lo, exec_lo, s4
	s_and_saveexec_b32 s4, s10
	s_cbranch_execnz .LBB1850_280
.LBB1850_258:
	s_or_b32 exec_lo, exec_lo, s4
	s_and_saveexec_b32 s4, s11
	s_cbranch_execnz .LBB1850_281
.LBB1850_259:
	s_or_b32 exec_lo, exec_lo, s4
	s_and_saveexec_b32 s4, s14
	s_cbranch_execnz .LBB1850_282
.LBB1850_260:
	s_or_b32 exec_lo, exec_lo, s4
	s_waitcnt lgkmcnt(0)
	s_setpc_b64 s[30:31]
.LBB1850_261:
	flat_load_dwordx2 v[4:5], v[13:14]
	s_or_b32 exec_lo, exec_lo, s15
                                        ; implicit-def: $vgpr8_vgpr9
	s_and_saveexec_b32 s15, s4
	s_cbranch_execz .LBB1850_18
.LBB1850_262:
	flat_load_dwordx2 v[8:9], v[13:14] offset:8
	s_or_b32 exec_lo, exec_lo, s15
                                        ; implicit-def: $vgpr15_vgpr16
	s_and_saveexec_b32 s15, s5
	s_cbranch_execz .LBB1850_19
.LBB1850_263:
	flat_load_dwordx2 v[15:16], v[13:14] offset:16
	s_or_b32 exec_lo, exec_lo, s15
                                        ; implicit-def: $vgpr17_vgpr18
	s_and_saveexec_b32 s15, s6
	s_cbranch_execz .LBB1850_20
.LBB1850_264:
	flat_load_dwordx2 v[17:18], v[13:14] offset:24
	s_or_b32 exec_lo, exec_lo, s15
                                        ; implicit-def: $vgpr19_vgpr20
	s_and_saveexec_b32 s15, s7
	s_cbranch_execz .LBB1850_21
.LBB1850_265:
	flat_load_dwordx2 v[19:20], v[13:14] offset:32
	s_or_b32 exec_lo, exec_lo, s15
                                        ; implicit-def: $vgpr23_vgpr24
	s_and_saveexec_b32 s15, s10
	s_cbranch_execz .LBB1850_22
.LBB1850_266:
	flat_load_dwordx2 v[23:24], v[13:14] offset:40
	s_or_b32 exec_lo, exec_lo, s15
                                        ; implicit-def: $vgpr21_vgpr22
	s_and_saveexec_b32 s15, s11
	s_cbranch_execz .LBB1850_23
.LBB1850_267:
	flat_load_dwordx2 v[21:22], v[13:14] offset:48
	s_or_b32 exec_lo, exec_lo, s15
                                        ; implicit-def: $vgpr25_vgpr26
	s_and_saveexec_b32 s15, s14
	s_cbranch_execnz .LBB1850_24
	s_branch .LBB1850_25
.LBB1850_268:
	flat_store_short v[2:3], v36
	s_or_b32 exec_lo, exec_lo, s8
	s_and_saveexec_b32 s8, s4
	s_cbranch_execz .LBB1850_245
.LBB1850_269:
	flat_store_short v[2:3], v39 offset:2
	s_or_b32 exec_lo, exec_lo, s8
	s_and_saveexec_b32 s8, s5
	s_cbranch_execz .LBB1850_246
.LBB1850_270:
	flat_store_short v[2:3], v48 offset:4
	s_or_b32 exec_lo, exec_lo, s8
	s_and_saveexec_b32 s8, s6
	s_cbranch_execz .LBB1850_247
.LBB1850_271:
	flat_store_short v[2:3], v51 offset:6
	s_or_b32 exec_lo, exec_lo, s8
	s_and_saveexec_b32 s8, s7
	s_cbranch_execz .LBB1850_248
.LBB1850_272:
	flat_store_short v[2:3], v49 offset:8
	s_or_b32 exec_lo, exec_lo, s8
	s_and_saveexec_b32 s8, s10
	s_cbranch_execz .LBB1850_249
.LBB1850_273:
	flat_store_short v[2:3], v38 offset:10
	s_or_b32 exec_lo, exec_lo, s8
	s_and_saveexec_b32 s8, s11
	s_cbranch_execz .LBB1850_250
.LBB1850_274:
	flat_store_short v[2:3], v50 offset:12
	s_or_b32 exec_lo, exec_lo, s8
	s_and_saveexec_b32 s8, s14
	s_cbranch_execnz .LBB1850_251
	s_branch .LBB1850_252
.LBB1850_275:
	flat_store_dwordx2 v[0:1], v[4:5]
	s_or_b32 exec_lo, exec_lo, s8
	s_and_saveexec_b32 s8, s4
	s_cbranch_execz .LBB1850_254
.LBB1850_276:
	flat_store_dwordx2 v[0:1], v[8:9] offset:8
	s_or_b32 exec_lo, exec_lo, s8
	s_and_saveexec_b32 s4, s5
	s_cbranch_execz .LBB1850_255
.LBB1850_277:
	flat_store_dwordx2 v[0:1], v[15:16] offset:16
	s_or_b32 exec_lo, exec_lo, s4
	s_and_saveexec_b32 s4, s6
	s_cbranch_execz .LBB1850_256
.LBB1850_278:
	flat_store_dwordx2 v[0:1], v[17:18] offset:24
	s_or_b32 exec_lo, exec_lo, s4
	s_and_saveexec_b32 s4, s7
	s_cbranch_execz .LBB1850_257
.LBB1850_279:
	flat_store_dwordx2 v[0:1], v[19:20] offset:32
	s_or_b32 exec_lo, exec_lo, s4
	s_and_saveexec_b32 s4, s10
	s_cbranch_execz .LBB1850_258
.LBB1850_280:
	flat_store_dwordx2 v[0:1], v[23:24] offset:40
	s_or_b32 exec_lo, exec_lo, s4
	s_and_saveexec_b32 s4, s11
	s_cbranch_execz .LBB1850_259
.LBB1850_281:
	flat_store_dwordx2 v[0:1], v[21:22] offset:48
	s_or_b32 exec_lo, exec_lo, s4
	s_and_saveexec_b32 s4, s14
	s_cbranch_execz .LBB1850_260
.LBB1850_282:
	flat_store_dwordx2 v[0:1], v[25:26] offset:56
	s_or_b32 exec_lo, exec_lo, s4
	s_waitcnt lgkmcnt(0)
	s_setpc_b64 s[30:31]
.Lfunc_end1850:
	.size	_ZN7rocprim17ROCPRIM_400000_NS6detail26segmented_warp_sort_helperINS1_20WarpSortHelperConfigILj16ELj8ELj256EEE6__halflLi256ELb0EvE4sortIPKS5_PS5_PKlPlEEvT_T0_T1_T2_jjjjRNS6_12storage_typeE, .Lfunc_end1850-_ZN7rocprim17ROCPRIM_400000_NS6detail26segmented_warp_sort_helperINS1_20WarpSortHelperConfigILj16ELj8ELj256EEE6__halflLi256ELb0EvE4sortIPKS5_PS5_PKlPlEEvT_T0_T1_T2_jjjjRNS6_12storage_typeE
                                        ; -- End function
	.set .L_ZN7rocprim17ROCPRIM_400000_NS6detail26segmented_warp_sort_helperINS1_20WarpSortHelperConfigILj16ELj8ELj256EEE6__halflLi256ELb0EvE4sortIPKS5_PS5_PKlPlEEvT_T0_T1_T2_jjjjRNS6_12storage_typeE.num_vgpr, 70
	.set .L_ZN7rocprim17ROCPRIM_400000_NS6detail26segmented_warp_sort_helperINS1_20WarpSortHelperConfigILj16ELj8ELj256EEE6__halflLi256ELb0EvE4sortIPKS5_PS5_PKlPlEEvT_T0_T1_T2_jjjjRNS6_12storage_typeE.num_agpr, 0
	.set .L_ZN7rocprim17ROCPRIM_400000_NS6detail26segmented_warp_sort_helperINS1_20WarpSortHelperConfigILj16ELj8ELj256EEE6__halflLi256ELb0EvE4sortIPKS5_PS5_PKlPlEEvT_T0_T1_T2_jjjjRNS6_12storage_typeE.numbered_sgpr, 32
	.set .L_ZN7rocprim17ROCPRIM_400000_NS6detail26segmented_warp_sort_helperINS1_20WarpSortHelperConfigILj16ELj8ELj256EEE6__halflLi256ELb0EvE4sortIPKS5_PS5_PKlPlEEvT_T0_T1_T2_jjjjRNS6_12storage_typeE.num_named_barrier, 0
	.set .L_ZN7rocprim17ROCPRIM_400000_NS6detail26segmented_warp_sort_helperINS1_20WarpSortHelperConfigILj16ELj8ELj256EEE6__halflLi256ELb0EvE4sortIPKS5_PS5_PKlPlEEvT_T0_T1_T2_jjjjRNS6_12storage_typeE.private_seg_size, 0
	.set .L_ZN7rocprim17ROCPRIM_400000_NS6detail26segmented_warp_sort_helperINS1_20WarpSortHelperConfigILj16ELj8ELj256EEE6__halflLi256ELb0EvE4sortIPKS5_PS5_PKlPlEEvT_T0_T1_T2_jjjjRNS6_12storage_typeE.uses_vcc, 1
	.set .L_ZN7rocprim17ROCPRIM_400000_NS6detail26segmented_warp_sort_helperINS1_20WarpSortHelperConfigILj16ELj8ELj256EEE6__halflLi256ELb0EvE4sortIPKS5_PS5_PKlPlEEvT_T0_T1_T2_jjjjRNS6_12storage_typeE.uses_flat_scratch, 0
	.set .L_ZN7rocprim17ROCPRIM_400000_NS6detail26segmented_warp_sort_helperINS1_20WarpSortHelperConfigILj16ELj8ELj256EEE6__halflLi256ELb0EvE4sortIPKS5_PS5_PKlPlEEvT_T0_T1_T2_jjjjRNS6_12storage_typeE.has_dyn_sized_stack, 0
	.set .L_ZN7rocprim17ROCPRIM_400000_NS6detail26segmented_warp_sort_helperINS1_20WarpSortHelperConfigILj16ELj8ELj256EEE6__halflLi256ELb0EvE4sortIPKS5_PS5_PKlPlEEvT_T0_T1_T2_jjjjRNS6_12storage_typeE.has_recursion, 0
	.set .L_ZN7rocprim17ROCPRIM_400000_NS6detail26segmented_warp_sort_helperINS1_20WarpSortHelperConfigILj16ELj8ELj256EEE6__halflLi256ELb0EvE4sortIPKS5_PS5_PKlPlEEvT_T0_T1_T2_jjjjRNS6_12storage_typeE.has_indirect_call, 0
	.section	.AMDGPU.csdata,"",@progbits
; Function info:
; codeLenInByte = 13480
; TotalNumSgprs: 34
; NumVgprs: 70
; ScratchSize: 0
; MemoryBound: 0
	.section	.text._ZN7rocprim17ROCPRIM_400000_NS6detail17trampoline_kernelINS0_14default_configENS1_36segmented_radix_sort_config_selectorI6__halflEEZNS1_25segmented_radix_sort_implIS3_Lb0EPKS5_PS5_PKlPlN2at6native12_GLOBAL__N_18offset_tEEE10hipError_tPvRmT1_PNSt15iterator_traitsISL_E10value_typeET2_T3_PNSM_ISR_E10value_typeET4_jRbjT5_SX_jjP12ihipStream_tbEUlT_E0_NS1_11comp_targetILNS1_3genE8ELNS1_11target_archE1030ELNS1_3gpuE2ELNS1_3repE0EEENS1_60segmented_radix_sort_warp_sort_medium_config_static_selectorELNS0_4arch9wavefront6targetE0EEEvSL_,"axG",@progbits,_ZN7rocprim17ROCPRIM_400000_NS6detail17trampoline_kernelINS0_14default_configENS1_36segmented_radix_sort_config_selectorI6__halflEEZNS1_25segmented_radix_sort_implIS3_Lb0EPKS5_PS5_PKlPlN2at6native12_GLOBAL__N_18offset_tEEE10hipError_tPvRmT1_PNSt15iterator_traitsISL_E10value_typeET2_T3_PNSM_ISR_E10value_typeET4_jRbjT5_SX_jjP12ihipStream_tbEUlT_E0_NS1_11comp_targetILNS1_3genE8ELNS1_11target_archE1030ELNS1_3gpuE2ELNS1_3repE0EEENS1_60segmented_radix_sort_warp_sort_medium_config_static_selectorELNS0_4arch9wavefront6targetE0EEEvSL_,comdat
	.globl	_ZN7rocprim17ROCPRIM_400000_NS6detail17trampoline_kernelINS0_14default_configENS1_36segmented_radix_sort_config_selectorI6__halflEEZNS1_25segmented_radix_sort_implIS3_Lb0EPKS5_PS5_PKlPlN2at6native12_GLOBAL__N_18offset_tEEE10hipError_tPvRmT1_PNSt15iterator_traitsISL_E10value_typeET2_T3_PNSM_ISR_E10value_typeET4_jRbjT5_SX_jjP12ihipStream_tbEUlT_E0_NS1_11comp_targetILNS1_3genE8ELNS1_11target_archE1030ELNS1_3gpuE2ELNS1_3repE0EEENS1_60segmented_radix_sort_warp_sort_medium_config_static_selectorELNS0_4arch9wavefront6targetE0EEEvSL_ ; -- Begin function _ZN7rocprim17ROCPRIM_400000_NS6detail17trampoline_kernelINS0_14default_configENS1_36segmented_radix_sort_config_selectorI6__halflEEZNS1_25segmented_radix_sort_implIS3_Lb0EPKS5_PS5_PKlPlN2at6native12_GLOBAL__N_18offset_tEEE10hipError_tPvRmT1_PNSt15iterator_traitsISL_E10value_typeET2_T3_PNSM_ISR_E10value_typeET4_jRbjT5_SX_jjP12ihipStream_tbEUlT_E0_NS1_11comp_targetILNS1_3genE8ELNS1_11target_archE1030ELNS1_3gpuE2ELNS1_3repE0EEENS1_60segmented_radix_sort_warp_sort_medium_config_static_selectorELNS0_4arch9wavefront6targetE0EEEvSL_
	.p2align	8
	.type	_ZN7rocprim17ROCPRIM_400000_NS6detail17trampoline_kernelINS0_14default_configENS1_36segmented_radix_sort_config_selectorI6__halflEEZNS1_25segmented_radix_sort_implIS3_Lb0EPKS5_PS5_PKlPlN2at6native12_GLOBAL__N_18offset_tEEE10hipError_tPvRmT1_PNSt15iterator_traitsISL_E10value_typeET2_T3_PNSM_ISR_E10value_typeET4_jRbjT5_SX_jjP12ihipStream_tbEUlT_E0_NS1_11comp_targetILNS1_3genE8ELNS1_11target_archE1030ELNS1_3gpuE2ELNS1_3repE0EEENS1_60segmented_radix_sort_warp_sort_medium_config_static_selectorELNS0_4arch9wavefront6targetE0EEEvSL_,@function
_ZN7rocprim17ROCPRIM_400000_NS6detail17trampoline_kernelINS0_14default_configENS1_36segmented_radix_sort_config_selectorI6__halflEEZNS1_25segmented_radix_sort_implIS3_Lb0EPKS5_PS5_PKlPlN2at6native12_GLOBAL__N_18offset_tEEE10hipError_tPvRmT1_PNSt15iterator_traitsISL_E10value_typeET2_T3_PNSM_ISR_E10value_typeET4_jRbjT5_SX_jjP12ihipStream_tbEUlT_E0_NS1_11comp_targetILNS1_3genE8ELNS1_11target_archE1030ELNS1_3gpuE2ELNS1_3repE0EEENS1_60segmented_radix_sort_warp_sort_medium_config_static_selectorELNS0_4arch9wavefront6targetE0EEEvSL_: ; @_ZN7rocprim17ROCPRIM_400000_NS6detail17trampoline_kernelINS0_14default_configENS1_36segmented_radix_sort_config_selectorI6__halflEEZNS1_25segmented_radix_sort_implIS3_Lb0EPKS5_PS5_PKlPlN2at6native12_GLOBAL__N_18offset_tEEE10hipError_tPvRmT1_PNSt15iterator_traitsISL_E10value_typeET2_T3_PNSM_ISR_E10value_typeET4_jRbjT5_SX_jjP12ihipStream_tbEUlT_E0_NS1_11comp_targetILNS1_3genE8ELNS1_11target_archE1030ELNS1_3gpuE2ELNS1_3repE0EEENS1_60segmented_radix_sort_warp_sort_medium_config_static_selectorELNS0_4arch9wavefront6targetE0EEEvSL_
; %bb.0:
	s_add_u32 s0, s0, s8
	s_load_dword s8, s[4:5], 0x64
	s_addc_u32 s1, s1, 0
	s_mov_b32 s32, 0
	s_waitcnt lgkmcnt(0)
	s_lshr_b32 s9, s8, 16
	s_and_b32 s8, s8, 0xffff
	v_mad_u32_u24 v3, v2, s9, v1
	s_load_dword s9, s[4:5], 0x34
	v_mad_u64_u32 v[3:4], null, v3, s8, v[0:1]
	s_mov_b32 s8, exec_lo
	v_lshrrev_b32_e32 v3, 4, v3
	v_lshl_add_u32 v3, s6, 4, v3
	s_waitcnt lgkmcnt(0)
	v_cmpx_gt_u32_e64 s9, v3
	s_cbranch_execz .LBB1851_6
; %bb.1:
	s_clause 0x1
	s_load_dwordx2 s[12:13], s[4:5], 0x38
	s_load_dwordx4 s[8:11], s[4:5], 0x40
	v_mov_b32_e32 v4, 0
	v_lshlrev_b64 v[3:4], 2, v[3:4]
	s_waitcnt lgkmcnt(0)
	v_add_co_u32 v3, vcc_lo, s12, v3
	v_add_co_ci_u32_e64 v4, null, s13, v4, vcc_lo
	global_load_dword v3, v[3:4], off
	s_waitcnt vmcnt(0)
	v_add_nc_u32_e32 v4, s9, v3
	v_add_nc_u32_e32 v3, s11, v3
	v_mul_lo_u32 v40, v4, s8
	v_mul_lo_u32 v41, v3, s10
	v_cmp_gt_u32_e32 vcc_lo, v41, v40
	s_and_b32 exec_lo, exec_lo, vcc_lo
	s_cbranch_execz .LBB1851_6
; %bb.2:
	s_clause 0x2
	s_load_dword s8, s[4:5], 0x30
	s_load_dwordx4 s[24:27], s[4:5], 0x20
	s_load_dwordx8 s[36:43], s[4:5], 0x0
	v_lshlrev_b32_e32 v43, 20, v2
	v_lshlrev_b32_e32 v44, 10, v1
	s_waitcnt lgkmcnt(0)
	s_bitcmp0_b32 s8, 0
	s_mov_b32 s8, -1
	s_cbranch_scc0 .LBB1851_4
; %bb.3:
	v_or3_b32 v31, v0, v44, v43
	v_mov_b32_e32 v42, v0
	v_mov_b32_e32 v0, s36
	;; [unrolled: 1-line block ×11, first 2 shown]
	s_add_u32 s8, s4, 0x58
	s_addc_u32 s9, s5, 0
	s_getpc_b64 s[10:11]
	s_add_u32 s10, s10, _ZN7rocprim17ROCPRIM_400000_NS6detail26segmented_warp_sort_helperINS1_20WarpSortHelperConfigILj16ELj8ELj256EEE6__halflLi256ELb0EvE4sortIPKS5_PS5_PKlPlEEvT_T0_T1_T2_jjjjRNS6_12storage_typeE@rel32@lo+4
	s_addc_u32 s11, s11, _ZN7rocprim17ROCPRIM_400000_NS6detail26segmented_warp_sort_helperINS1_20WarpSortHelperConfigILj16ELj8ELj256EEE6__halflLi256ELb0EvE4sortIPKS5_PS5_PKlPlEEvT_T0_T1_T2_jjjjRNS6_12storage_typeE@rel32@hi+12
	s_mov_b32 s12, s6
	s_mov_b32 s13, s7
	s_mov_b64 s[24:25], s[4:5]
	s_mov_b32 s23, s7
	s_mov_b32 s28, s6
	s_swappc_b64 s[30:31], s[10:11]
	v_mov_b32_e32 v0, v42
	s_mov_b32 s6, s28
	s_mov_b32 s7, s23
	s_mov_b64 s[4:5], s[24:25]
	s_mov_b32 s8, 0
.LBB1851_4:
	s_andn2_b32 vcc_lo, exec_lo, s8
	s_cbranch_vccnz .LBB1851_6
; %bb.5:
	v_or3_b32 v31, v0, v44, v43
	v_mov_b32_e32 v0, s36
	v_mov_b32_e32 v1, s37
	;; [unrolled: 1-line block ×10, first 2 shown]
	s_add_u32 s8, s4, 0x58
	s_addc_u32 s9, s5, 0
	s_getpc_b64 s[4:5]
	s_add_u32 s4, s4, _ZN7rocprim17ROCPRIM_400000_NS6detail26segmented_warp_sort_helperINS1_20WarpSortHelperConfigILj16ELj8ELj256EEE6__halflLi256ELb0EvE4sortIPKS5_PS5_PKlPlEEvT_T0_T1_T2_jjjjRNS6_12storage_typeE@rel32@lo+4
	s_addc_u32 s5, s5, _ZN7rocprim17ROCPRIM_400000_NS6detail26segmented_warp_sort_helperINS1_20WarpSortHelperConfigILj16ELj8ELj256EEE6__halflLi256ELb0EvE4sortIPKS5_PS5_PKlPlEEvT_T0_T1_T2_jjjjRNS6_12storage_typeE@rel32@hi+12
	s_mov_b32 s12, s6
	s_mov_b32 s13, s7
	s_swappc_b64 s[30:31], s[4:5]
.LBB1851_6:
	s_endpgm
	.section	.rodata,"a",@progbits
	.p2align	6, 0x0
	.amdhsa_kernel _ZN7rocprim17ROCPRIM_400000_NS6detail17trampoline_kernelINS0_14default_configENS1_36segmented_radix_sort_config_selectorI6__halflEEZNS1_25segmented_radix_sort_implIS3_Lb0EPKS5_PS5_PKlPlN2at6native12_GLOBAL__N_18offset_tEEE10hipError_tPvRmT1_PNSt15iterator_traitsISL_E10value_typeET2_T3_PNSM_ISR_E10value_typeET4_jRbjT5_SX_jjP12ihipStream_tbEUlT_E0_NS1_11comp_targetILNS1_3genE8ELNS1_11target_archE1030ELNS1_3gpuE2ELNS1_3repE0EEENS1_60segmented_radix_sort_warp_sort_medium_config_static_selectorELNS0_4arch9wavefront6targetE0EEEvSL_
		.amdhsa_group_segment_fixed_size 20480
		.amdhsa_private_segment_fixed_size 0
		.amdhsa_kernarg_size 344
		.amdhsa_user_sgpr_count 6
		.amdhsa_user_sgpr_private_segment_buffer 1
		.amdhsa_user_sgpr_dispatch_ptr 0
		.amdhsa_user_sgpr_queue_ptr 0
		.amdhsa_user_sgpr_kernarg_segment_ptr 1
		.amdhsa_user_sgpr_dispatch_id 0
		.amdhsa_user_sgpr_flat_scratch_init 0
		.amdhsa_user_sgpr_private_segment_size 0
		.amdhsa_wavefront_size32 1
		.amdhsa_uses_dynamic_stack 0
		.amdhsa_system_sgpr_private_segment_wavefront_offset 0
		.amdhsa_system_sgpr_workgroup_id_x 1
		.amdhsa_system_sgpr_workgroup_id_y 1
		.amdhsa_system_sgpr_workgroup_id_z 0
		.amdhsa_system_sgpr_workgroup_info 0
		.amdhsa_system_vgpr_workitem_id 2
		.amdhsa_next_free_vgpr 70
		.amdhsa_next_free_sgpr 44
		.amdhsa_reserve_vcc 1
		.amdhsa_reserve_flat_scratch 0
		.amdhsa_float_round_mode_32 0
		.amdhsa_float_round_mode_16_64 0
		.amdhsa_float_denorm_mode_32 3
		.amdhsa_float_denorm_mode_16_64 3
		.amdhsa_dx10_clamp 1
		.amdhsa_ieee_mode 1
		.amdhsa_fp16_overflow 0
		.amdhsa_workgroup_processor_mode 1
		.amdhsa_memory_ordered 1
		.amdhsa_forward_progress 1
		.amdhsa_shared_vgpr_count 0
		.amdhsa_exception_fp_ieee_invalid_op 0
		.amdhsa_exception_fp_denorm_src 0
		.amdhsa_exception_fp_ieee_div_zero 0
		.amdhsa_exception_fp_ieee_overflow 0
		.amdhsa_exception_fp_ieee_underflow 0
		.amdhsa_exception_fp_ieee_inexact 0
		.amdhsa_exception_int_div_zero 0
	.end_amdhsa_kernel
	.section	.text._ZN7rocprim17ROCPRIM_400000_NS6detail17trampoline_kernelINS0_14default_configENS1_36segmented_radix_sort_config_selectorI6__halflEEZNS1_25segmented_radix_sort_implIS3_Lb0EPKS5_PS5_PKlPlN2at6native12_GLOBAL__N_18offset_tEEE10hipError_tPvRmT1_PNSt15iterator_traitsISL_E10value_typeET2_T3_PNSM_ISR_E10value_typeET4_jRbjT5_SX_jjP12ihipStream_tbEUlT_E0_NS1_11comp_targetILNS1_3genE8ELNS1_11target_archE1030ELNS1_3gpuE2ELNS1_3repE0EEENS1_60segmented_radix_sort_warp_sort_medium_config_static_selectorELNS0_4arch9wavefront6targetE0EEEvSL_,"axG",@progbits,_ZN7rocprim17ROCPRIM_400000_NS6detail17trampoline_kernelINS0_14default_configENS1_36segmented_radix_sort_config_selectorI6__halflEEZNS1_25segmented_radix_sort_implIS3_Lb0EPKS5_PS5_PKlPlN2at6native12_GLOBAL__N_18offset_tEEE10hipError_tPvRmT1_PNSt15iterator_traitsISL_E10value_typeET2_T3_PNSM_ISR_E10value_typeET4_jRbjT5_SX_jjP12ihipStream_tbEUlT_E0_NS1_11comp_targetILNS1_3genE8ELNS1_11target_archE1030ELNS1_3gpuE2ELNS1_3repE0EEENS1_60segmented_radix_sort_warp_sort_medium_config_static_selectorELNS0_4arch9wavefront6targetE0EEEvSL_,comdat
.Lfunc_end1851:
	.size	_ZN7rocprim17ROCPRIM_400000_NS6detail17trampoline_kernelINS0_14default_configENS1_36segmented_radix_sort_config_selectorI6__halflEEZNS1_25segmented_radix_sort_implIS3_Lb0EPKS5_PS5_PKlPlN2at6native12_GLOBAL__N_18offset_tEEE10hipError_tPvRmT1_PNSt15iterator_traitsISL_E10value_typeET2_T3_PNSM_ISR_E10value_typeET4_jRbjT5_SX_jjP12ihipStream_tbEUlT_E0_NS1_11comp_targetILNS1_3genE8ELNS1_11target_archE1030ELNS1_3gpuE2ELNS1_3repE0EEENS1_60segmented_radix_sort_warp_sort_medium_config_static_selectorELNS0_4arch9wavefront6targetE0EEEvSL_, .Lfunc_end1851-_ZN7rocprim17ROCPRIM_400000_NS6detail17trampoline_kernelINS0_14default_configENS1_36segmented_radix_sort_config_selectorI6__halflEEZNS1_25segmented_radix_sort_implIS3_Lb0EPKS5_PS5_PKlPlN2at6native12_GLOBAL__N_18offset_tEEE10hipError_tPvRmT1_PNSt15iterator_traitsISL_E10value_typeET2_T3_PNSM_ISR_E10value_typeET4_jRbjT5_SX_jjP12ihipStream_tbEUlT_E0_NS1_11comp_targetILNS1_3genE8ELNS1_11target_archE1030ELNS1_3gpuE2ELNS1_3repE0EEENS1_60segmented_radix_sort_warp_sort_medium_config_static_selectorELNS0_4arch9wavefront6targetE0EEEvSL_
                                        ; -- End function
	.set _ZN7rocprim17ROCPRIM_400000_NS6detail17trampoline_kernelINS0_14default_configENS1_36segmented_radix_sort_config_selectorI6__halflEEZNS1_25segmented_radix_sort_implIS3_Lb0EPKS5_PS5_PKlPlN2at6native12_GLOBAL__N_18offset_tEEE10hipError_tPvRmT1_PNSt15iterator_traitsISL_E10value_typeET2_T3_PNSM_ISR_E10value_typeET4_jRbjT5_SX_jjP12ihipStream_tbEUlT_E0_NS1_11comp_targetILNS1_3genE8ELNS1_11target_archE1030ELNS1_3gpuE2ELNS1_3repE0EEENS1_60segmented_radix_sort_warp_sort_medium_config_static_selectorELNS0_4arch9wavefront6targetE0EEEvSL_.num_vgpr, max(45, .L_ZN7rocprim17ROCPRIM_400000_NS6detail26segmented_warp_sort_helperINS1_20WarpSortHelperConfigILj16ELj8ELj256EEE6__halflLi256ELb0EvE4sortIPKS5_PS5_PKlPlEEvT_T0_T1_T2_jjjjRNS6_12storage_typeE.num_vgpr)
	.set _ZN7rocprim17ROCPRIM_400000_NS6detail17trampoline_kernelINS0_14default_configENS1_36segmented_radix_sort_config_selectorI6__halflEEZNS1_25segmented_radix_sort_implIS3_Lb0EPKS5_PS5_PKlPlN2at6native12_GLOBAL__N_18offset_tEEE10hipError_tPvRmT1_PNSt15iterator_traitsISL_E10value_typeET2_T3_PNSM_ISR_E10value_typeET4_jRbjT5_SX_jjP12ihipStream_tbEUlT_E0_NS1_11comp_targetILNS1_3genE8ELNS1_11target_archE1030ELNS1_3gpuE2ELNS1_3repE0EEENS1_60segmented_radix_sort_warp_sort_medium_config_static_selectorELNS0_4arch9wavefront6targetE0EEEvSL_.num_agpr, max(0, .L_ZN7rocprim17ROCPRIM_400000_NS6detail26segmented_warp_sort_helperINS1_20WarpSortHelperConfigILj16ELj8ELj256EEE6__halflLi256ELb0EvE4sortIPKS5_PS5_PKlPlEEvT_T0_T1_T2_jjjjRNS6_12storage_typeE.num_agpr)
	.set _ZN7rocprim17ROCPRIM_400000_NS6detail17trampoline_kernelINS0_14default_configENS1_36segmented_radix_sort_config_selectorI6__halflEEZNS1_25segmented_radix_sort_implIS3_Lb0EPKS5_PS5_PKlPlN2at6native12_GLOBAL__N_18offset_tEEE10hipError_tPvRmT1_PNSt15iterator_traitsISL_E10value_typeET2_T3_PNSM_ISR_E10value_typeET4_jRbjT5_SX_jjP12ihipStream_tbEUlT_E0_NS1_11comp_targetILNS1_3genE8ELNS1_11target_archE1030ELNS1_3gpuE2ELNS1_3repE0EEENS1_60segmented_radix_sort_warp_sort_medium_config_static_selectorELNS0_4arch9wavefront6targetE0EEEvSL_.numbered_sgpr, max(44, .L_ZN7rocprim17ROCPRIM_400000_NS6detail26segmented_warp_sort_helperINS1_20WarpSortHelperConfigILj16ELj8ELj256EEE6__halflLi256ELb0EvE4sortIPKS5_PS5_PKlPlEEvT_T0_T1_T2_jjjjRNS6_12storage_typeE.numbered_sgpr)
	.set _ZN7rocprim17ROCPRIM_400000_NS6detail17trampoline_kernelINS0_14default_configENS1_36segmented_radix_sort_config_selectorI6__halflEEZNS1_25segmented_radix_sort_implIS3_Lb0EPKS5_PS5_PKlPlN2at6native12_GLOBAL__N_18offset_tEEE10hipError_tPvRmT1_PNSt15iterator_traitsISL_E10value_typeET2_T3_PNSM_ISR_E10value_typeET4_jRbjT5_SX_jjP12ihipStream_tbEUlT_E0_NS1_11comp_targetILNS1_3genE8ELNS1_11target_archE1030ELNS1_3gpuE2ELNS1_3repE0EEENS1_60segmented_radix_sort_warp_sort_medium_config_static_selectorELNS0_4arch9wavefront6targetE0EEEvSL_.num_named_barrier, max(0, .L_ZN7rocprim17ROCPRIM_400000_NS6detail26segmented_warp_sort_helperINS1_20WarpSortHelperConfigILj16ELj8ELj256EEE6__halflLi256ELb0EvE4sortIPKS5_PS5_PKlPlEEvT_T0_T1_T2_jjjjRNS6_12storage_typeE.num_named_barrier)
	.set _ZN7rocprim17ROCPRIM_400000_NS6detail17trampoline_kernelINS0_14default_configENS1_36segmented_radix_sort_config_selectorI6__halflEEZNS1_25segmented_radix_sort_implIS3_Lb0EPKS5_PS5_PKlPlN2at6native12_GLOBAL__N_18offset_tEEE10hipError_tPvRmT1_PNSt15iterator_traitsISL_E10value_typeET2_T3_PNSM_ISR_E10value_typeET4_jRbjT5_SX_jjP12ihipStream_tbEUlT_E0_NS1_11comp_targetILNS1_3genE8ELNS1_11target_archE1030ELNS1_3gpuE2ELNS1_3repE0EEENS1_60segmented_radix_sort_warp_sort_medium_config_static_selectorELNS0_4arch9wavefront6targetE0EEEvSL_.private_seg_size, 0+max(.L_ZN7rocprim17ROCPRIM_400000_NS6detail26segmented_warp_sort_helperINS1_20WarpSortHelperConfigILj16ELj8ELj256EEE6__halflLi256ELb0EvE4sortIPKS5_PS5_PKlPlEEvT_T0_T1_T2_jjjjRNS6_12storage_typeE.private_seg_size)
	.set _ZN7rocprim17ROCPRIM_400000_NS6detail17trampoline_kernelINS0_14default_configENS1_36segmented_radix_sort_config_selectorI6__halflEEZNS1_25segmented_radix_sort_implIS3_Lb0EPKS5_PS5_PKlPlN2at6native12_GLOBAL__N_18offset_tEEE10hipError_tPvRmT1_PNSt15iterator_traitsISL_E10value_typeET2_T3_PNSM_ISR_E10value_typeET4_jRbjT5_SX_jjP12ihipStream_tbEUlT_E0_NS1_11comp_targetILNS1_3genE8ELNS1_11target_archE1030ELNS1_3gpuE2ELNS1_3repE0EEENS1_60segmented_radix_sort_warp_sort_medium_config_static_selectorELNS0_4arch9wavefront6targetE0EEEvSL_.uses_vcc, or(1, .L_ZN7rocprim17ROCPRIM_400000_NS6detail26segmented_warp_sort_helperINS1_20WarpSortHelperConfigILj16ELj8ELj256EEE6__halflLi256ELb0EvE4sortIPKS5_PS5_PKlPlEEvT_T0_T1_T2_jjjjRNS6_12storage_typeE.uses_vcc)
	.set _ZN7rocprim17ROCPRIM_400000_NS6detail17trampoline_kernelINS0_14default_configENS1_36segmented_radix_sort_config_selectorI6__halflEEZNS1_25segmented_radix_sort_implIS3_Lb0EPKS5_PS5_PKlPlN2at6native12_GLOBAL__N_18offset_tEEE10hipError_tPvRmT1_PNSt15iterator_traitsISL_E10value_typeET2_T3_PNSM_ISR_E10value_typeET4_jRbjT5_SX_jjP12ihipStream_tbEUlT_E0_NS1_11comp_targetILNS1_3genE8ELNS1_11target_archE1030ELNS1_3gpuE2ELNS1_3repE0EEENS1_60segmented_radix_sort_warp_sort_medium_config_static_selectorELNS0_4arch9wavefront6targetE0EEEvSL_.uses_flat_scratch, or(0, .L_ZN7rocprim17ROCPRIM_400000_NS6detail26segmented_warp_sort_helperINS1_20WarpSortHelperConfigILj16ELj8ELj256EEE6__halflLi256ELb0EvE4sortIPKS5_PS5_PKlPlEEvT_T0_T1_T2_jjjjRNS6_12storage_typeE.uses_flat_scratch)
	.set _ZN7rocprim17ROCPRIM_400000_NS6detail17trampoline_kernelINS0_14default_configENS1_36segmented_radix_sort_config_selectorI6__halflEEZNS1_25segmented_radix_sort_implIS3_Lb0EPKS5_PS5_PKlPlN2at6native12_GLOBAL__N_18offset_tEEE10hipError_tPvRmT1_PNSt15iterator_traitsISL_E10value_typeET2_T3_PNSM_ISR_E10value_typeET4_jRbjT5_SX_jjP12ihipStream_tbEUlT_E0_NS1_11comp_targetILNS1_3genE8ELNS1_11target_archE1030ELNS1_3gpuE2ELNS1_3repE0EEENS1_60segmented_radix_sort_warp_sort_medium_config_static_selectorELNS0_4arch9wavefront6targetE0EEEvSL_.has_dyn_sized_stack, or(0, .L_ZN7rocprim17ROCPRIM_400000_NS6detail26segmented_warp_sort_helperINS1_20WarpSortHelperConfigILj16ELj8ELj256EEE6__halflLi256ELb0EvE4sortIPKS5_PS5_PKlPlEEvT_T0_T1_T2_jjjjRNS6_12storage_typeE.has_dyn_sized_stack)
	.set _ZN7rocprim17ROCPRIM_400000_NS6detail17trampoline_kernelINS0_14default_configENS1_36segmented_radix_sort_config_selectorI6__halflEEZNS1_25segmented_radix_sort_implIS3_Lb0EPKS5_PS5_PKlPlN2at6native12_GLOBAL__N_18offset_tEEE10hipError_tPvRmT1_PNSt15iterator_traitsISL_E10value_typeET2_T3_PNSM_ISR_E10value_typeET4_jRbjT5_SX_jjP12ihipStream_tbEUlT_E0_NS1_11comp_targetILNS1_3genE8ELNS1_11target_archE1030ELNS1_3gpuE2ELNS1_3repE0EEENS1_60segmented_radix_sort_warp_sort_medium_config_static_selectorELNS0_4arch9wavefront6targetE0EEEvSL_.has_recursion, or(0, .L_ZN7rocprim17ROCPRIM_400000_NS6detail26segmented_warp_sort_helperINS1_20WarpSortHelperConfigILj16ELj8ELj256EEE6__halflLi256ELb0EvE4sortIPKS5_PS5_PKlPlEEvT_T0_T1_T2_jjjjRNS6_12storage_typeE.has_recursion)
	.set _ZN7rocprim17ROCPRIM_400000_NS6detail17trampoline_kernelINS0_14default_configENS1_36segmented_radix_sort_config_selectorI6__halflEEZNS1_25segmented_radix_sort_implIS3_Lb0EPKS5_PS5_PKlPlN2at6native12_GLOBAL__N_18offset_tEEE10hipError_tPvRmT1_PNSt15iterator_traitsISL_E10value_typeET2_T3_PNSM_ISR_E10value_typeET4_jRbjT5_SX_jjP12ihipStream_tbEUlT_E0_NS1_11comp_targetILNS1_3genE8ELNS1_11target_archE1030ELNS1_3gpuE2ELNS1_3repE0EEENS1_60segmented_radix_sort_warp_sort_medium_config_static_selectorELNS0_4arch9wavefront6targetE0EEEvSL_.has_indirect_call, or(0, .L_ZN7rocprim17ROCPRIM_400000_NS6detail26segmented_warp_sort_helperINS1_20WarpSortHelperConfigILj16ELj8ELj256EEE6__halflLi256ELb0EvE4sortIPKS5_PS5_PKlPlEEvT_T0_T1_T2_jjjjRNS6_12storage_typeE.has_indirect_call)
	.section	.AMDGPU.csdata,"",@progbits
; Kernel info:
; codeLenInByte = 476
; TotalNumSgprs: 46
; NumVgprs: 70
; ScratchSize: 0
; MemoryBound: 0
; FloatMode: 240
; IeeeMode: 1
; LDSByteSize: 20480 bytes/workgroup (compile time only)
; SGPRBlocks: 0
; VGPRBlocks: 8
; NumSGPRsForWavesPerEU: 46
; NumVGPRsForWavesPerEU: 70
; Occupancy: 12
; WaveLimiterHint : 0
; COMPUTE_PGM_RSRC2:SCRATCH_EN: 0
; COMPUTE_PGM_RSRC2:USER_SGPR: 6
; COMPUTE_PGM_RSRC2:TRAP_HANDLER: 0
; COMPUTE_PGM_RSRC2:TGID_X_EN: 1
; COMPUTE_PGM_RSRC2:TGID_Y_EN: 1
; COMPUTE_PGM_RSRC2:TGID_Z_EN: 0
; COMPUTE_PGM_RSRC2:TIDIG_COMP_CNT: 2
	.section	.text._ZN7rocprim17ROCPRIM_400000_NS6detail17trampoline_kernelINS0_14default_configENS1_36segmented_radix_sort_config_selectorI6__halflEEZNS1_25segmented_radix_sort_implIS3_Lb0EPKS5_PS5_PKlPlN2at6native12_GLOBAL__N_18offset_tEEE10hipError_tPvRmT1_PNSt15iterator_traitsISL_E10value_typeET2_T3_PNSM_ISR_E10value_typeET4_jRbjT5_SX_jjP12ihipStream_tbEUlT_E1_NS1_11comp_targetILNS1_3genE0ELNS1_11target_archE4294967295ELNS1_3gpuE0ELNS1_3repE0EEENS1_59segmented_radix_sort_warp_sort_small_config_static_selectorELNS0_4arch9wavefront6targetE0EEEvSL_,"axG",@progbits,_ZN7rocprim17ROCPRIM_400000_NS6detail17trampoline_kernelINS0_14default_configENS1_36segmented_radix_sort_config_selectorI6__halflEEZNS1_25segmented_radix_sort_implIS3_Lb0EPKS5_PS5_PKlPlN2at6native12_GLOBAL__N_18offset_tEEE10hipError_tPvRmT1_PNSt15iterator_traitsISL_E10value_typeET2_T3_PNSM_ISR_E10value_typeET4_jRbjT5_SX_jjP12ihipStream_tbEUlT_E1_NS1_11comp_targetILNS1_3genE0ELNS1_11target_archE4294967295ELNS1_3gpuE0ELNS1_3repE0EEENS1_59segmented_radix_sort_warp_sort_small_config_static_selectorELNS0_4arch9wavefront6targetE0EEEvSL_,comdat
	.globl	_ZN7rocprim17ROCPRIM_400000_NS6detail17trampoline_kernelINS0_14default_configENS1_36segmented_radix_sort_config_selectorI6__halflEEZNS1_25segmented_radix_sort_implIS3_Lb0EPKS5_PS5_PKlPlN2at6native12_GLOBAL__N_18offset_tEEE10hipError_tPvRmT1_PNSt15iterator_traitsISL_E10value_typeET2_T3_PNSM_ISR_E10value_typeET4_jRbjT5_SX_jjP12ihipStream_tbEUlT_E1_NS1_11comp_targetILNS1_3genE0ELNS1_11target_archE4294967295ELNS1_3gpuE0ELNS1_3repE0EEENS1_59segmented_radix_sort_warp_sort_small_config_static_selectorELNS0_4arch9wavefront6targetE0EEEvSL_ ; -- Begin function _ZN7rocprim17ROCPRIM_400000_NS6detail17trampoline_kernelINS0_14default_configENS1_36segmented_radix_sort_config_selectorI6__halflEEZNS1_25segmented_radix_sort_implIS3_Lb0EPKS5_PS5_PKlPlN2at6native12_GLOBAL__N_18offset_tEEE10hipError_tPvRmT1_PNSt15iterator_traitsISL_E10value_typeET2_T3_PNSM_ISR_E10value_typeET4_jRbjT5_SX_jjP12ihipStream_tbEUlT_E1_NS1_11comp_targetILNS1_3genE0ELNS1_11target_archE4294967295ELNS1_3gpuE0ELNS1_3repE0EEENS1_59segmented_radix_sort_warp_sort_small_config_static_selectorELNS0_4arch9wavefront6targetE0EEEvSL_
	.p2align	8
	.type	_ZN7rocprim17ROCPRIM_400000_NS6detail17trampoline_kernelINS0_14default_configENS1_36segmented_radix_sort_config_selectorI6__halflEEZNS1_25segmented_radix_sort_implIS3_Lb0EPKS5_PS5_PKlPlN2at6native12_GLOBAL__N_18offset_tEEE10hipError_tPvRmT1_PNSt15iterator_traitsISL_E10value_typeET2_T3_PNSM_ISR_E10value_typeET4_jRbjT5_SX_jjP12ihipStream_tbEUlT_E1_NS1_11comp_targetILNS1_3genE0ELNS1_11target_archE4294967295ELNS1_3gpuE0ELNS1_3repE0EEENS1_59segmented_radix_sort_warp_sort_small_config_static_selectorELNS0_4arch9wavefront6targetE0EEEvSL_,@function
_ZN7rocprim17ROCPRIM_400000_NS6detail17trampoline_kernelINS0_14default_configENS1_36segmented_radix_sort_config_selectorI6__halflEEZNS1_25segmented_radix_sort_implIS3_Lb0EPKS5_PS5_PKlPlN2at6native12_GLOBAL__N_18offset_tEEE10hipError_tPvRmT1_PNSt15iterator_traitsISL_E10value_typeET2_T3_PNSM_ISR_E10value_typeET4_jRbjT5_SX_jjP12ihipStream_tbEUlT_E1_NS1_11comp_targetILNS1_3genE0ELNS1_11target_archE4294967295ELNS1_3gpuE0ELNS1_3repE0EEENS1_59segmented_radix_sort_warp_sort_small_config_static_selectorELNS0_4arch9wavefront6targetE0EEEvSL_: ; @_ZN7rocprim17ROCPRIM_400000_NS6detail17trampoline_kernelINS0_14default_configENS1_36segmented_radix_sort_config_selectorI6__halflEEZNS1_25segmented_radix_sort_implIS3_Lb0EPKS5_PS5_PKlPlN2at6native12_GLOBAL__N_18offset_tEEE10hipError_tPvRmT1_PNSt15iterator_traitsISL_E10value_typeET2_T3_PNSM_ISR_E10value_typeET4_jRbjT5_SX_jjP12ihipStream_tbEUlT_E1_NS1_11comp_targetILNS1_3genE0ELNS1_11target_archE4294967295ELNS1_3gpuE0ELNS1_3repE0EEENS1_59segmented_radix_sort_warp_sort_small_config_static_selectorELNS0_4arch9wavefront6targetE0EEEvSL_
; %bb.0:
	.section	.rodata,"a",@progbits
	.p2align	6, 0x0
	.amdhsa_kernel _ZN7rocprim17ROCPRIM_400000_NS6detail17trampoline_kernelINS0_14default_configENS1_36segmented_radix_sort_config_selectorI6__halflEEZNS1_25segmented_radix_sort_implIS3_Lb0EPKS5_PS5_PKlPlN2at6native12_GLOBAL__N_18offset_tEEE10hipError_tPvRmT1_PNSt15iterator_traitsISL_E10value_typeET2_T3_PNSM_ISR_E10value_typeET4_jRbjT5_SX_jjP12ihipStream_tbEUlT_E1_NS1_11comp_targetILNS1_3genE0ELNS1_11target_archE4294967295ELNS1_3gpuE0ELNS1_3repE0EEENS1_59segmented_radix_sort_warp_sort_small_config_static_selectorELNS0_4arch9wavefront6targetE0EEEvSL_
		.amdhsa_group_segment_fixed_size 0
		.amdhsa_private_segment_fixed_size 0
		.amdhsa_kernarg_size 88
		.amdhsa_user_sgpr_count 6
		.amdhsa_user_sgpr_private_segment_buffer 1
		.amdhsa_user_sgpr_dispatch_ptr 0
		.amdhsa_user_sgpr_queue_ptr 0
		.amdhsa_user_sgpr_kernarg_segment_ptr 1
		.amdhsa_user_sgpr_dispatch_id 0
		.amdhsa_user_sgpr_flat_scratch_init 0
		.amdhsa_user_sgpr_private_segment_size 0
		.amdhsa_wavefront_size32 1
		.amdhsa_uses_dynamic_stack 0
		.amdhsa_system_sgpr_private_segment_wavefront_offset 0
		.amdhsa_system_sgpr_workgroup_id_x 1
		.amdhsa_system_sgpr_workgroup_id_y 0
		.amdhsa_system_sgpr_workgroup_id_z 0
		.amdhsa_system_sgpr_workgroup_info 0
		.amdhsa_system_vgpr_workitem_id 0
		.amdhsa_next_free_vgpr 1
		.amdhsa_next_free_sgpr 1
		.amdhsa_reserve_vcc 0
		.amdhsa_reserve_flat_scratch 0
		.amdhsa_float_round_mode_32 0
		.amdhsa_float_round_mode_16_64 0
		.amdhsa_float_denorm_mode_32 3
		.amdhsa_float_denorm_mode_16_64 3
		.amdhsa_dx10_clamp 1
		.amdhsa_ieee_mode 1
		.amdhsa_fp16_overflow 0
		.amdhsa_workgroup_processor_mode 1
		.amdhsa_memory_ordered 1
		.amdhsa_forward_progress 1
		.amdhsa_shared_vgpr_count 0
		.amdhsa_exception_fp_ieee_invalid_op 0
		.amdhsa_exception_fp_denorm_src 0
		.amdhsa_exception_fp_ieee_div_zero 0
		.amdhsa_exception_fp_ieee_overflow 0
		.amdhsa_exception_fp_ieee_underflow 0
		.amdhsa_exception_fp_ieee_inexact 0
		.amdhsa_exception_int_div_zero 0
	.end_amdhsa_kernel
	.section	.text._ZN7rocprim17ROCPRIM_400000_NS6detail17trampoline_kernelINS0_14default_configENS1_36segmented_radix_sort_config_selectorI6__halflEEZNS1_25segmented_radix_sort_implIS3_Lb0EPKS5_PS5_PKlPlN2at6native12_GLOBAL__N_18offset_tEEE10hipError_tPvRmT1_PNSt15iterator_traitsISL_E10value_typeET2_T3_PNSM_ISR_E10value_typeET4_jRbjT5_SX_jjP12ihipStream_tbEUlT_E1_NS1_11comp_targetILNS1_3genE0ELNS1_11target_archE4294967295ELNS1_3gpuE0ELNS1_3repE0EEENS1_59segmented_radix_sort_warp_sort_small_config_static_selectorELNS0_4arch9wavefront6targetE0EEEvSL_,"axG",@progbits,_ZN7rocprim17ROCPRIM_400000_NS6detail17trampoline_kernelINS0_14default_configENS1_36segmented_radix_sort_config_selectorI6__halflEEZNS1_25segmented_radix_sort_implIS3_Lb0EPKS5_PS5_PKlPlN2at6native12_GLOBAL__N_18offset_tEEE10hipError_tPvRmT1_PNSt15iterator_traitsISL_E10value_typeET2_T3_PNSM_ISR_E10value_typeET4_jRbjT5_SX_jjP12ihipStream_tbEUlT_E1_NS1_11comp_targetILNS1_3genE0ELNS1_11target_archE4294967295ELNS1_3gpuE0ELNS1_3repE0EEENS1_59segmented_radix_sort_warp_sort_small_config_static_selectorELNS0_4arch9wavefront6targetE0EEEvSL_,comdat
.Lfunc_end1852:
	.size	_ZN7rocprim17ROCPRIM_400000_NS6detail17trampoline_kernelINS0_14default_configENS1_36segmented_radix_sort_config_selectorI6__halflEEZNS1_25segmented_radix_sort_implIS3_Lb0EPKS5_PS5_PKlPlN2at6native12_GLOBAL__N_18offset_tEEE10hipError_tPvRmT1_PNSt15iterator_traitsISL_E10value_typeET2_T3_PNSM_ISR_E10value_typeET4_jRbjT5_SX_jjP12ihipStream_tbEUlT_E1_NS1_11comp_targetILNS1_3genE0ELNS1_11target_archE4294967295ELNS1_3gpuE0ELNS1_3repE0EEENS1_59segmented_radix_sort_warp_sort_small_config_static_selectorELNS0_4arch9wavefront6targetE0EEEvSL_, .Lfunc_end1852-_ZN7rocprim17ROCPRIM_400000_NS6detail17trampoline_kernelINS0_14default_configENS1_36segmented_radix_sort_config_selectorI6__halflEEZNS1_25segmented_radix_sort_implIS3_Lb0EPKS5_PS5_PKlPlN2at6native12_GLOBAL__N_18offset_tEEE10hipError_tPvRmT1_PNSt15iterator_traitsISL_E10value_typeET2_T3_PNSM_ISR_E10value_typeET4_jRbjT5_SX_jjP12ihipStream_tbEUlT_E1_NS1_11comp_targetILNS1_3genE0ELNS1_11target_archE4294967295ELNS1_3gpuE0ELNS1_3repE0EEENS1_59segmented_radix_sort_warp_sort_small_config_static_selectorELNS0_4arch9wavefront6targetE0EEEvSL_
                                        ; -- End function
	.set _ZN7rocprim17ROCPRIM_400000_NS6detail17trampoline_kernelINS0_14default_configENS1_36segmented_radix_sort_config_selectorI6__halflEEZNS1_25segmented_radix_sort_implIS3_Lb0EPKS5_PS5_PKlPlN2at6native12_GLOBAL__N_18offset_tEEE10hipError_tPvRmT1_PNSt15iterator_traitsISL_E10value_typeET2_T3_PNSM_ISR_E10value_typeET4_jRbjT5_SX_jjP12ihipStream_tbEUlT_E1_NS1_11comp_targetILNS1_3genE0ELNS1_11target_archE4294967295ELNS1_3gpuE0ELNS1_3repE0EEENS1_59segmented_radix_sort_warp_sort_small_config_static_selectorELNS0_4arch9wavefront6targetE0EEEvSL_.num_vgpr, 0
	.set _ZN7rocprim17ROCPRIM_400000_NS6detail17trampoline_kernelINS0_14default_configENS1_36segmented_radix_sort_config_selectorI6__halflEEZNS1_25segmented_radix_sort_implIS3_Lb0EPKS5_PS5_PKlPlN2at6native12_GLOBAL__N_18offset_tEEE10hipError_tPvRmT1_PNSt15iterator_traitsISL_E10value_typeET2_T3_PNSM_ISR_E10value_typeET4_jRbjT5_SX_jjP12ihipStream_tbEUlT_E1_NS1_11comp_targetILNS1_3genE0ELNS1_11target_archE4294967295ELNS1_3gpuE0ELNS1_3repE0EEENS1_59segmented_radix_sort_warp_sort_small_config_static_selectorELNS0_4arch9wavefront6targetE0EEEvSL_.num_agpr, 0
	.set _ZN7rocprim17ROCPRIM_400000_NS6detail17trampoline_kernelINS0_14default_configENS1_36segmented_radix_sort_config_selectorI6__halflEEZNS1_25segmented_radix_sort_implIS3_Lb0EPKS5_PS5_PKlPlN2at6native12_GLOBAL__N_18offset_tEEE10hipError_tPvRmT1_PNSt15iterator_traitsISL_E10value_typeET2_T3_PNSM_ISR_E10value_typeET4_jRbjT5_SX_jjP12ihipStream_tbEUlT_E1_NS1_11comp_targetILNS1_3genE0ELNS1_11target_archE4294967295ELNS1_3gpuE0ELNS1_3repE0EEENS1_59segmented_radix_sort_warp_sort_small_config_static_selectorELNS0_4arch9wavefront6targetE0EEEvSL_.numbered_sgpr, 0
	.set _ZN7rocprim17ROCPRIM_400000_NS6detail17trampoline_kernelINS0_14default_configENS1_36segmented_radix_sort_config_selectorI6__halflEEZNS1_25segmented_radix_sort_implIS3_Lb0EPKS5_PS5_PKlPlN2at6native12_GLOBAL__N_18offset_tEEE10hipError_tPvRmT1_PNSt15iterator_traitsISL_E10value_typeET2_T3_PNSM_ISR_E10value_typeET4_jRbjT5_SX_jjP12ihipStream_tbEUlT_E1_NS1_11comp_targetILNS1_3genE0ELNS1_11target_archE4294967295ELNS1_3gpuE0ELNS1_3repE0EEENS1_59segmented_radix_sort_warp_sort_small_config_static_selectorELNS0_4arch9wavefront6targetE0EEEvSL_.num_named_barrier, 0
	.set _ZN7rocprim17ROCPRIM_400000_NS6detail17trampoline_kernelINS0_14default_configENS1_36segmented_radix_sort_config_selectorI6__halflEEZNS1_25segmented_radix_sort_implIS3_Lb0EPKS5_PS5_PKlPlN2at6native12_GLOBAL__N_18offset_tEEE10hipError_tPvRmT1_PNSt15iterator_traitsISL_E10value_typeET2_T3_PNSM_ISR_E10value_typeET4_jRbjT5_SX_jjP12ihipStream_tbEUlT_E1_NS1_11comp_targetILNS1_3genE0ELNS1_11target_archE4294967295ELNS1_3gpuE0ELNS1_3repE0EEENS1_59segmented_radix_sort_warp_sort_small_config_static_selectorELNS0_4arch9wavefront6targetE0EEEvSL_.private_seg_size, 0
	.set _ZN7rocprim17ROCPRIM_400000_NS6detail17trampoline_kernelINS0_14default_configENS1_36segmented_radix_sort_config_selectorI6__halflEEZNS1_25segmented_radix_sort_implIS3_Lb0EPKS5_PS5_PKlPlN2at6native12_GLOBAL__N_18offset_tEEE10hipError_tPvRmT1_PNSt15iterator_traitsISL_E10value_typeET2_T3_PNSM_ISR_E10value_typeET4_jRbjT5_SX_jjP12ihipStream_tbEUlT_E1_NS1_11comp_targetILNS1_3genE0ELNS1_11target_archE4294967295ELNS1_3gpuE0ELNS1_3repE0EEENS1_59segmented_radix_sort_warp_sort_small_config_static_selectorELNS0_4arch9wavefront6targetE0EEEvSL_.uses_vcc, 0
	.set _ZN7rocprim17ROCPRIM_400000_NS6detail17trampoline_kernelINS0_14default_configENS1_36segmented_radix_sort_config_selectorI6__halflEEZNS1_25segmented_radix_sort_implIS3_Lb0EPKS5_PS5_PKlPlN2at6native12_GLOBAL__N_18offset_tEEE10hipError_tPvRmT1_PNSt15iterator_traitsISL_E10value_typeET2_T3_PNSM_ISR_E10value_typeET4_jRbjT5_SX_jjP12ihipStream_tbEUlT_E1_NS1_11comp_targetILNS1_3genE0ELNS1_11target_archE4294967295ELNS1_3gpuE0ELNS1_3repE0EEENS1_59segmented_radix_sort_warp_sort_small_config_static_selectorELNS0_4arch9wavefront6targetE0EEEvSL_.uses_flat_scratch, 0
	.set _ZN7rocprim17ROCPRIM_400000_NS6detail17trampoline_kernelINS0_14default_configENS1_36segmented_radix_sort_config_selectorI6__halflEEZNS1_25segmented_radix_sort_implIS3_Lb0EPKS5_PS5_PKlPlN2at6native12_GLOBAL__N_18offset_tEEE10hipError_tPvRmT1_PNSt15iterator_traitsISL_E10value_typeET2_T3_PNSM_ISR_E10value_typeET4_jRbjT5_SX_jjP12ihipStream_tbEUlT_E1_NS1_11comp_targetILNS1_3genE0ELNS1_11target_archE4294967295ELNS1_3gpuE0ELNS1_3repE0EEENS1_59segmented_radix_sort_warp_sort_small_config_static_selectorELNS0_4arch9wavefront6targetE0EEEvSL_.has_dyn_sized_stack, 0
	.set _ZN7rocprim17ROCPRIM_400000_NS6detail17trampoline_kernelINS0_14default_configENS1_36segmented_radix_sort_config_selectorI6__halflEEZNS1_25segmented_radix_sort_implIS3_Lb0EPKS5_PS5_PKlPlN2at6native12_GLOBAL__N_18offset_tEEE10hipError_tPvRmT1_PNSt15iterator_traitsISL_E10value_typeET2_T3_PNSM_ISR_E10value_typeET4_jRbjT5_SX_jjP12ihipStream_tbEUlT_E1_NS1_11comp_targetILNS1_3genE0ELNS1_11target_archE4294967295ELNS1_3gpuE0ELNS1_3repE0EEENS1_59segmented_radix_sort_warp_sort_small_config_static_selectorELNS0_4arch9wavefront6targetE0EEEvSL_.has_recursion, 0
	.set _ZN7rocprim17ROCPRIM_400000_NS6detail17trampoline_kernelINS0_14default_configENS1_36segmented_radix_sort_config_selectorI6__halflEEZNS1_25segmented_radix_sort_implIS3_Lb0EPKS5_PS5_PKlPlN2at6native12_GLOBAL__N_18offset_tEEE10hipError_tPvRmT1_PNSt15iterator_traitsISL_E10value_typeET2_T3_PNSM_ISR_E10value_typeET4_jRbjT5_SX_jjP12ihipStream_tbEUlT_E1_NS1_11comp_targetILNS1_3genE0ELNS1_11target_archE4294967295ELNS1_3gpuE0ELNS1_3repE0EEENS1_59segmented_radix_sort_warp_sort_small_config_static_selectorELNS0_4arch9wavefront6targetE0EEEvSL_.has_indirect_call, 0
	.section	.AMDGPU.csdata,"",@progbits
; Kernel info:
; codeLenInByte = 0
; TotalNumSgprs: 0
; NumVgprs: 0
; ScratchSize: 0
; MemoryBound: 0
; FloatMode: 240
; IeeeMode: 1
; LDSByteSize: 0 bytes/workgroup (compile time only)
; SGPRBlocks: 0
; VGPRBlocks: 0
; NumSGPRsForWavesPerEU: 1
; NumVGPRsForWavesPerEU: 1
; Occupancy: 16
; WaveLimiterHint : 0
; COMPUTE_PGM_RSRC2:SCRATCH_EN: 0
; COMPUTE_PGM_RSRC2:USER_SGPR: 6
; COMPUTE_PGM_RSRC2:TRAP_HANDLER: 0
; COMPUTE_PGM_RSRC2:TGID_X_EN: 1
; COMPUTE_PGM_RSRC2:TGID_Y_EN: 0
; COMPUTE_PGM_RSRC2:TGID_Z_EN: 0
; COMPUTE_PGM_RSRC2:TIDIG_COMP_CNT: 0
	.section	.text._ZN7rocprim17ROCPRIM_400000_NS6detail17trampoline_kernelINS0_14default_configENS1_36segmented_radix_sort_config_selectorI6__halflEEZNS1_25segmented_radix_sort_implIS3_Lb0EPKS5_PS5_PKlPlN2at6native12_GLOBAL__N_18offset_tEEE10hipError_tPvRmT1_PNSt15iterator_traitsISL_E10value_typeET2_T3_PNSM_ISR_E10value_typeET4_jRbjT5_SX_jjP12ihipStream_tbEUlT_E1_NS1_11comp_targetILNS1_3genE5ELNS1_11target_archE942ELNS1_3gpuE9ELNS1_3repE0EEENS1_59segmented_radix_sort_warp_sort_small_config_static_selectorELNS0_4arch9wavefront6targetE0EEEvSL_,"axG",@progbits,_ZN7rocprim17ROCPRIM_400000_NS6detail17trampoline_kernelINS0_14default_configENS1_36segmented_radix_sort_config_selectorI6__halflEEZNS1_25segmented_radix_sort_implIS3_Lb0EPKS5_PS5_PKlPlN2at6native12_GLOBAL__N_18offset_tEEE10hipError_tPvRmT1_PNSt15iterator_traitsISL_E10value_typeET2_T3_PNSM_ISR_E10value_typeET4_jRbjT5_SX_jjP12ihipStream_tbEUlT_E1_NS1_11comp_targetILNS1_3genE5ELNS1_11target_archE942ELNS1_3gpuE9ELNS1_3repE0EEENS1_59segmented_radix_sort_warp_sort_small_config_static_selectorELNS0_4arch9wavefront6targetE0EEEvSL_,comdat
	.globl	_ZN7rocprim17ROCPRIM_400000_NS6detail17trampoline_kernelINS0_14default_configENS1_36segmented_radix_sort_config_selectorI6__halflEEZNS1_25segmented_radix_sort_implIS3_Lb0EPKS5_PS5_PKlPlN2at6native12_GLOBAL__N_18offset_tEEE10hipError_tPvRmT1_PNSt15iterator_traitsISL_E10value_typeET2_T3_PNSM_ISR_E10value_typeET4_jRbjT5_SX_jjP12ihipStream_tbEUlT_E1_NS1_11comp_targetILNS1_3genE5ELNS1_11target_archE942ELNS1_3gpuE9ELNS1_3repE0EEENS1_59segmented_radix_sort_warp_sort_small_config_static_selectorELNS0_4arch9wavefront6targetE0EEEvSL_ ; -- Begin function _ZN7rocprim17ROCPRIM_400000_NS6detail17trampoline_kernelINS0_14default_configENS1_36segmented_radix_sort_config_selectorI6__halflEEZNS1_25segmented_radix_sort_implIS3_Lb0EPKS5_PS5_PKlPlN2at6native12_GLOBAL__N_18offset_tEEE10hipError_tPvRmT1_PNSt15iterator_traitsISL_E10value_typeET2_T3_PNSM_ISR_E10value_typeET4_jRbjT5_SX_jjP12ihipStream_tbEUlT_E1_NS1_11comp_targetILNS1_3genE5ELNS1_11target_archE942ELNS1_3gpuE9ELNS1_3repE0EEENS1_59segmented_radix_sort_warp_sort_small_config_static_selectorELNS0_4arch9wavefront6targetE0EEEvSL_
	.p2align	8
	.type	_ZN7rocprim17ROCPRIM_400000_NS6detail17trampoline_kernelINS0_14default_configENS1_36segmented_radix_sort_config_selectorI6__halflEEZNS1_25segmented_radix_sort_implIS3_Lb0EPKS5_PS5_PKlPlN2at6native12_GLOBAL__N_18offset_tEEE10hipError_tPvRmT1_PNSt15iterator_traitsISL_E10value_typeET2_T3_PNSM_ISR_E10value_typeET4_jRbjT5_SX_jjP12ihipStream_tbEUlT_E1_NS1_11comp_targetILNS1_3genE5ELNS1_11target_archE942ELNS1_3gpuE9ELNS1_3repE0EEENS1_59segmented_radix_sort_warp_sort_small_config_static_selectorELNS0_4arch9wavefront6targetE0EEEvSL_,@function
_ZN7rocprim17ROCPRIM_400000_NS6detail17trampoline_kernelINS0_14default_configENS1_36segmented_radix_sort_config_selectorI6__halflEEZNS1_25segmented_radix_sort_implIS3_Lb0EPKS5_PS5_PKlPlN2at6native12_GLOBAL__N_18offset_tEEE10hipError_tPvRmT1_PNSt15iterator_traitsISL_E10value_typeET2_T3_PNSM_ISR_E10value_typeET4_jRbjT5_SX_jjP12ihipStream_tbEUlT_E1_NS1_11comp_targetILNS1_3genE5ELNS1_11target_archE942ELNS1_3gpuE9ELNS1_3repE0EEENS1_59segmented_radix_sort_warp_sort_small_config_static_selectorELNS0_4arch9wavefront6targetE0EEEvSL_: ; @_ZN7rocprim17ROCPRIM_400000_NS6detail17trampoline_kernelINS0_14default_configENS1_36segmented_radix_sort_config_selectorI6__halflEEZNS1_25segmented_radix_sort_implIS3_Lb0EPKS5_PS5_PKlPlN2at6native12_GLOBAL__N_18offset_tEEE10hipError_tPvRmT1_PNSt15iterator_traitsISL_E10value_typeET2_T3_PNSM_ISR_E10value_typeET4_jRbjT5_SX_jjP12ihipStream_tbEUlT_E1_NS1_11comp_targetILNS1_3genE5ELNS1_11target_archE942ELNS1_3gpuE9ELNS1_3repE0EEENS1_59segmented_radix_sort_warp_sort_small_config_static_selectorELNS0_4arch9wavefront6targetE0EEEvSL_
; %bb.0:
	.section	.rodata,"a",@progbits
	.p2align	6, 0x0
	.amdhsa_kernel _ZN7rocprim17ROCPRIM_400000_NS6detail17trampoline_kernelINS0_14default_configENS1_36segmented_radix_sort_config_selectorI6__halflEEZNS1_25segmented_radix_sort_implIS3_Lb0EPKS5_PS5_PKlPlN2at6native12_GLOBAL__N_18offset_tEEE10hipError_tPvRmT1_PNSt15iterator_traitsISL_E10value_typeET2_T3_PNSM_ISR_E10value_typeET4_jRbjT5_SX_jjP12ihipStream_tbEUlT_E1_NS1_11comp_targetILNS1_3genE5ELNS1_11target_archE942ELNS1_3gpuE9ELNS1_3repE0EEENS1_59segmented_radix_sort_warp_sort_small_config_static_selectorELNS0_4arch9wavefront6targetE0EEEvSL_
		.amdhsa_group_segment_fixed_size 0
		.amdhsa_private_segment_fixed_size 0
		.amdhsa_kernarg_size 88
		.amdhsa_user_sgpr_count 6
		.amdhsa_user_sgpr_private_segment_buffer 1
		.amdhsa_user_sgpr_dispatch_ptr 0
		.amdhsa_user_sgpr_queue_ptr 0
		.amdhsa_user_sgpr_kernarg_segment_ptr 1
		.amdhsa_user_sgpr_dispatch_id 0
		.amdhsa_user_sgpr_flat_scratch_init 0
		.amdhsa_user_sgpr_private_segment_size 0
		.amdhsa_wavefront_size32 1
		.amdhsa_uses_dynamic_stack 0
		.amdhsa_system_sgpr_private_segment_wavefront_offset 0
		.amdhsa_system_sgpr_workgroup_id_x 1
		.amdhsa_system_sgpr_workgroup_id_y 0
		.amdhsa_system_sgpr_workgroup_id_z 0
		.amdhsa_system_sgpr_workgroup_info 0
		.amdhsa_system_vgpr_workitem_id 0
		.amdhsa_next_free_vgpr 1
		.amdhsa_next_free_sgpr 1
		.amdhsa_reserve_vcc 0
		.amdhsa_reserve_flat_scratch 0
		.amdhsa_float_round_mode_32 0
		.amdhsa_float_round_mode_16_64 0
		.amdhsa_float_denorm_mode_32 3
		.amdhsa_float_denorm_mode_16_64 3
		.amdhsa_dx10_clamp 1
		.amdhsa_ieee_mode 1
		.amdhsa_fp16_overflow 0
		.amdhsa_workgroup_processor_mode 1
		.amdhsa_memory_ordered 1
		.amdhsa_forward_progress 1
		.amdhsa_shared_vgpr_count 0
		.amdhsa_exception_fp_ieee_invalid_op 0
		.amdhsa_exception_fp_denorm_src 0
		.amdhsa_exception_fp_ieee_div_zero 0
		.amdhsa_exception_fp_ieee_overflow 0
		.amdhsa_exception_fp_ieee_underflow 0
		.amdhsa_exception_fp_ieee_inexact 0
		.amdhsa_exception_int_div_zero 0
	.end_amdhsa_kernel
	.section	.text._ZN7rocprim17ROCPRIM_400000_NS6detail17trampoline_kernelINS0_14default_configENS1_36segmented_radix_sort_config_selectorI6__halflEEZNS1_25segmented_radix_sort_implIS3_Lb0EPKS5_PS5_PKlPlN2at6native12_GLOBAL__N_18offset_tEEE10hipError_tPvRmT1_PNSt15iterator_traitsISL_E10value_typeET2_T3_PNSM_ISR_E10value_typeET4_jRbjT5_SX_jjP12ihipStream_tbEUlT_E1_NS1_11comp_targetILNS1_3genE5ELNS1_11target_archE942ELNS1_3gpuE9ELNS1_3repE0EEENS1_59segmented_radix_sort_warp_sort_small_config_static_selectorELNS0_4arch9wavefront6targetE0EEEvSL_,"axG",@progbits,_ZN7rocprim17ROCPRIM_400000_NS6detail17trampoline_kernelINS0_14default_configENS1_36segmented_radix_sort_config_selectorI6__halflEEZNS1_25segmented_radix_sort_implIS3_Lb0EPKS5_PS5_PKlPlN2at6native12_GLOBAL__N_18offset_tEEE10hipError_tPvRmT1_PNSt15iterator_traitsISL_E10value_typeET2_T3_PNSM_ISR_E10value_typeET4_jRbjT5_SX_jjP12ihipStream_tbEUlT_E1_NS1_11comp_targetILNS1_3genE5ELNS1_11target_archE942ELNS1_3gpuE9ELNS1_3repE0EEENS1_59segmented_radix_sort_warp_sort_small_config_static_selectorELNS0_4arch9wavefront6targetE0EEEvSL_,comdat
.Lfunc_end1853:
	.size	_ZN7rocprim17ROCPRIM_400000_NS6detail17trampoline_kernelINS0_14default_configENS1_36segmented_radix_sort_config_selectorI6__halflEEZNS1_25segmented_radix_sort_implIS3_Lb0EPKS5_PS5_PKlPlN2at6native12_GLOBAL__N_18offset_tEEE10hipError_tPvRmT1_PNSt15iterator_traitsISL_E10value_typeET2_T3_PNSM_ISR_E10value_typeET4_jRbjT5_SX_jjP12ihipStream_tbEUlT_E1_NS1_11comp_targetILNS1_3genE5ELNS1_11target_archE942ELNS1_3gpuE9ELNS1_3repE0EEENS1_59segmented_radix_sort_warp_sort_small_config_static_selectorELNS0_4arch9wavefront6targetE0EEEvSL_, .Lfunc_end1853-_ZN7rocprim17ROCPRIM_400000_NS6detail17trampoline_kernelINS0_14default_configENS1_36segmented_radix_sort_config_selectorI6__halflEEZNS1_25segmented_radix_sort_implIS3_Lb0EPKS5_PS5_PKlPlN2at6native12_GLOBAL__N_18offset_tEEE10hipError_tPvRmT1_PNSt15iterator_traitsISL_E10value_typeET2_T3_PNSM_ISR_E10value_typeET4_jRbjT5_SX_jjP12ihipStream_tbEUlT_E1_NS1_11comp_targetILNS1_3genE5ELNS1_11target_archE942ELNS1_3gpuE9ELNS1_3repE0EEENS1_59segmented_radix_sort_warp_sort_small_config_static_selectorELNS0_4arch9wavefront6targetE0EEEvSL_
                                        ; -- End function
	.set _ZN7rocprim17ROCPRIM_400000_NS6detail17trampoline_kernelINS0_14default_configENS1_36segmented_radix_sort_config_selectorI6__halflEEZNS1_25segmented_radix_sort_implIS3_Lb0EPKS5_PS5_PKlPlN2at6native12_GLOBAL__N_18offset_tEEE10hipError_tPvRmT1_PNSt15iterator_traitsISL_E10value_typeET2_T3_PNSM_ISR_E10value_typeET4_jRbjT5_SX_jjP12ihipStream_tbEUlT_E1_NS1_11comp_targetILNS1_3genE5ELNS1_11target_archE942ELNS1_3gpuE9ELNS1_3repE0EEENS1_59segmented_radix_sort_warp_sort_small_config_static_selectorELNS0_4arch9wavefront6targetE0EEEvSL_.num_vgpr, 0
	.set _ZN7rocprim17ROCPRIM_400000_NS6detail17trampoline_kernelINS0_14default_configENS1_36segmented_radix_sort_config_selectorI6__halflEEZNS1_25segmented_radix_sort_implIS3_Lb0EPKS5_PS5_PKlPlN2at6native12_GLOBAL__N_18offset_tEEE10hipError_tPvRmT1_PNSt15iterator_traitsISL_E10value_typeET2_T3_PNSM_ISR_E10value_typeET4_jRbjT5_SX_jjP12ihipStream_tbEUlT_E1_NS1_11comp_targetILNS1_3genE5ELNS1_11target_archE942ELNS1_3gpuE9ELNS1_3repE0EEENS1_59segmented_radix_sort_warp_sort_small_config_static_selectorELNS0_4arch9wavefront6targetE0EEEvSL_.num_agpr, 0
	.set _ZN7rocprim17ROCPRIM_400000_NS6detail17trampoline_kernelINS0_14default_configENS1_36segmented_radix_sort_config_selectorI6__halflEEZNS1_25segmented_radix_sort_implIS3_Lb0EPKS5_PS5_PKlPlN2at6native12_GLOBAL__N_18offset_tEEE10hipError_tPvRmT1_PNSt15iterator_traitsISL_E10value_typeET2_T3_PNSM_ISR_E10value_typeET4_jRbjT5_SX_jjP12ihipStream_tbEUlT_E1_NS1_11comp_targetILNS1_3genE5ELNS1_11target_archE942ELNS1_3gpuE9ELNS1_3repE0EEENS1_59segmented_radix_sort_warp_sort_small_config_static_selectorELNS0_4arch9wavefront6targetE0EEEvSL_.numbered_sgpr, 0
	.set _ZN7rocprim17ROCPRIM_400000_NS6detail17trampoline_kernelINS0_14default_configENS1_36segmented_radix_sort_config_selectorI6__halflEEZNS1_25segmented_radix_sort_implIS3_Lb0EPKS5_PS5_PKlPlN2at6native12_GLOBAL__N_18offset_tEEE10hipError_tPvRmT1_PNSt15iterator_traitsISL_E10value_typeET2_T3_PNSM_ISR_E10value_typeET4_jRbjT5_SX_jjP12ihipStream_tbEUlT_E1_NS1_11comp_targetILNS1_3genE5ELNS1_11target_archE942ELNS1_3gpuE9ELNS1_3repE0EEENS1_59segmented_radix_sort_warp_sort_small_config_static_selectorELNS0_4arch9wavefront6targetE0EEEvSL_.num_named_barrier, 0
	.set _ZN7rocprim17ROCPRIM_400000_NS6detail17trampoline_kernelINS0_14default_configENS1_36segmented_radix_sort_config_selectorI6__halflEEZNS1_25segmented_radix_sort_implIS3_Lb0EPKS5_PS5_PKlPlN2at6native12_GLOBAL__N_18offset_tEEE10hipError_tPvRmT1_PNSt15iterator_traitsISL_E10value_typeET2_T3_PNSM_ISR_E10value_typeET4_jRbjT5_SX_jjP12ihipStream_tbEUlT_E1_NS1_11comp_targetILNS1_3genE5ELNS1_11target_archE942ELNS1_3gpuE9ELNS1_3repE0EEENS1_59segmented_radix_sort_warp_sort_small_config_static_selectorELNS0_4arch9wavefront6targetE0EEEvSL_.private_seg_size, 0
	.set _ZN7rocprim17ROCPRIM_400000_NS6detail17trampoline_kernelINS0_14default_configENS1_36segmented_radix_sort_config_selectorI6__halflEEZNS1_25segmented_radix_sort_implIS3_Lb0EPKS5_PS5_PKlPlN2at6native12_GLOBAL__N_18offset_tEEE10hipError_tPvRmT1_PNSt15iterator_traitsISL_E10value_typeET2_T3_PNSM_ISR_E10value_typeET4_jRbjT5_SX_jjP12ihipStream_tbEUlT_E1_NS1_11comp_targetILNS1_3genE5ELNS1_11target_archE942ELNS1_3gpuE9ELNS1_3repE0EEENS1_59segmented_radix_sort_warp_sort_small_config_static_selectorELNS0_4arch9wavefront6targetE0EEEvSL_.uses_vcc, 0
	.set _ZN7rocprim17ROCPRIM_400000_NS6detail17trampoline_kernelINS0_14default_configENS1_36segmented_radix_sort_config_selectorI6__halflEEZNS1_25segmented_radix_sort_implIS3_Lb0EPKS5_PS5_PKlPlN2at6native12_GLOBAL__N_18offset_tEEE10hipError_tPvRmT1_PNSt15iterator_traitsISL_E10value_typeET2_T3_PNSM_ISR_E10value_typeET4_jRbjT5_SX_jjP12ihipStream_tbEUlT_E1_NS1_11comp_targetILNS1_3genE5ELNS1_11target_archE942ELNS1_3gpuE9ELNS1_3repE0EEENS1_59segmented_radix_sort_warp_sort_small_config_static_selectorELNS0_4arch9wavefront6targetE0EEEvSL_.uses_flat_scratch, 0
	.set _ZN7rocprim17ROCPRIM_400000_NS6detail17trampoline_kernelINS0_14default_configENS1_36segmented_radix_sort_config_selectorI6__halflEEZNS1_25segmented_radix_sort_implIS3_Lb0EPKS5_PS5_PKlPlN2at6native12_GLOBAL__N_18offset_tEEE10hipError_tPvRmT1_PNSt15iterator_traitsISL_E10value_typeET2_T3_PNSM_ISR_E10value_typeET4_jRbjT5_SX_jjP12ihipStream_tbEUlT_E1_NS1_11comp_targetILNS1_3genE5ELNS1_11target_archE942ELNS1_3gpuE9ELNS1_3repE0EEENS1_59segmented_radix_sort_warp_sort_small_config_static_selectorELNS0_4arch9wavefront6targetE0EEEvSL_.has_dyn_sized_stack, 0
	.set _ZN7rocprim17ROCPRIM_400000_NS6detail17trampoline_kernelINS0_14default_configENS1_36segmented_radix_sort_config_selectorI6__halflEEZNS1_25segmented_radix_sort_implIS3_Lb0EPKS5_PS5_PKlPlN2at6native12_GLOBAL__N_18offset_tEEE10hipError_tPvRmT1_PNSt15iterator_traitsISL_E10value_typeET2_T3_PNSM_ISR_E10value_typeET4_jRbjT5_SX_jjP12ihipStream_tbEUlT_E1_NS1_11comp_targetILNS1_3genE5ELNS1_11target_archE942ELNS1_3gpuE9ELNS1_3repE0EEENS1_59segmented_radix_sort_warp_sort_small_config_static_selectorELNS0_4arch9wavefront6targetE0EEEvSL_.has_recursion, 0
	.set _ZN7rocprim17ROCPRIM_400000_NS6detail17trampoline_kernelINS0_14default_configENS1_36segmented_radix_sort_config_selectorI6__halflEEZNS1_25segmented_radix_sort_implIS3_Lb0EPKS5_PS5_PKlPlN2at6native12_GLOBAL__N_18offset_tEEE10hipError_tPvRmT1_PNSt15iterator_traitsISL_E10value_typeET2_T3_PNSM_ISR_E10value_typeET4_jRbjT5_SX_jjP12ihipStream_tbEUlT_E1_NS1_11comp_targetILNS1_3genE5ELNS1_11target_archE942ELNS1_3gpuE9ELNS1_3repE0EEENS1_59segmented_radix_sort_warp_sort_small_config_static_selectorELNS0_4arch9wavefront6targetE0EEEvSL_.has_indirect_call, 0
	.section	.AMDGPU.csdata,"",@progbits
; Kernel info:
; codeLenInByte = 0
; TotalNumSgprs: 0
; NumVgprs: 0
; ScratchSize: 0
; MemoryBound: 0
; FloatMode: 240
; IeeeMode: 1
; LDSByteSize: 0 bytes/workgroup (compile time only)
; SGPRBlocks: 0
; VGPRBlocks: 0
; NumSGPRsForWavesPerEU: 1
; NumVGPRsForWavesPerEU: 1
; Occupancy: 16
; WaveLimiterHint : 0
; COMPUTE_PGM_RSRC2:SCRATCH_EN: 0
; COMPUTE_PGM_RSRC2:USER_SGPR: 6
; COMPUTE_PGM_RSRC2:TRAP_HANDLER: 0
; COMPUTE_PGM_RSRC2:TGID_X_EN: 1
; COMPUTE_PGM_RSRC2:TGID_Y_EN: 0
; COMPUTE_PGM_RSRC2:TGID_Z_EN: 0
; COMPUTE_PGM_RSRC2:TIDIG_COMP_CNT: 0
	.section	.text._ZN7rocprim17ROCPRIM_400000_NS6detail17trampoline_kernelINS0_14default_configENS1_36segmented_radix_sort_config_selectorI6__halflEEZNS1_25segmented_radix_sort_implIS3_Lb0EPKS5_PS5_PKlPlN2at6native12_GLOBAL__N_18offset_tEEE10hipError_tPvRmT1_PNSt15iterator_traitsISL_E10value_typeET2_T3_PNSM_ISR_E10value_typeET4_jRbjT5_SX_jjP12ihipStream_tbEUlT_E1_NS1_11comp_targetILNS1_3genE4ELNS1_11target_archE910ELNS1_3gpuE8ELNS1_3repE0EEENS1_59segmented_radix_sort_warp_sort_small_config_static_selectorELNS0_4arch9wavefront6targetE0EEEvSL_,"axG",@progbits,_ZN7rocprim17ROCPRIM_400000_NS6detail17trampoline_kernelINS0_14default_configENS1_36segmented_radix_sort_config_selectorI6__halflEEZNS1_25segmented_radix_sort_implIS3_Lb0EPKS5_PS5_PKlPlN2at6native12_GLOBAL__N_18offset_tEEE10hipError_tPvRmT1_PNSt15iterator_traitsISL_E10value_typeET2_T3_PNSM_ISR_E10value_typeET4_jRbjT5_SX_jjP12ihipStream_tbEUlT_E1_NS1_11comp_targetILNS1_3genE4ELNS1_11target_archE910ELNS1_3gpuE8ELNS1_3repE0EEENS1_59segmented_radix_sort_warp_sort_small_config_static_selectorELNS0_4arch9wavefront6targetE0EEEvSL_,comdat
	.globl	_ZN7rocprim17ROCPRIM_400000_NS6detail17trampoline_kernelINS0_14default_configENS1_36segmented_radix_sort_config_selectorI6__halflEEZNS1_25segmented_radix_sort_implIS3_Lb0EPKS5_PS5_PKlPlN2at6native12_GLOBAL__N_18offset_tEEE10hipError_tPvRmT1_PNSt15iterator_traitsISL_E10value_typeET2_T3_PNSM_ISR_E10value_typeET4_jRbjT5_SX_jjP12ihipStream_tbEUlT_E1_NS1_11comp_targetILNS1_3genE4ELNS1_11target_archE910ELNS1_3gpuE8ELNS1_3repE0EEENS1_59segmented_radix_sort_warp_sort_small_config_static_selectorELNS0_4arch9wavefront6targetE0EEEvSL_ ; -- Begin function _ZN7rocprim17ROCPRIM_400000_NS6detail17trampoline_kernelINS0_14default_configENS1_36segmented_radix_sort_config_selectorI6__halflEEZNS1_25segmented_radix_sort_implIS3_Lb0EPKS5_PS5_PKlPlN2at6native12_GLOBAL__N_18offset_tEEE10hipError_tPvRmT1_PNSt15iterator_traitsISL_E10value_typeET2_T3_PNSM_ISR_E10value_typeET4_jRbjT5_SX_jjP12ihipStream_tbEUlT_E1_NS1_11comp_targetILNS1_3genE4ELNS1_11target_archE910ELNS1_3gpuE8ELNS1_3repE0EEENS1_59segmented_radix_sort_warp_sort_small_config_static_selectorELNS0_4arch9wavefront6targetE0EEEvSL_
	.p2align	8
	.type	_ZN7rocprim17ROCPRIM_400000_NS6detail17trampoline_kernelINS0_14default_configENS1_36segmented_radix_sort_config_selectorI6__halflEEZNS1_25segmented_radix_sort_implIS3_Lb0EPKS5_PS5_PKlPlN2at6native12_GLOBAL__N_18offset_tEEE10hipError_tPvRmT1_PNSt15iterator_traitsISL_E10value_typeET2_T3_PNSM_ISR_E10value_typeET4_jRbjT5_SX_jjP12ihipStream_tbEUlT_E1_NS1_11comp_targetILNS1_3genE4ELNS1_11target_archE910ELNS1_3gpuE8ELNS1_3repE0EEENS1_59segmented_radix_sort_warp_sort_small_config_static_selectorELNS0_4arch9wavefront6targetE0EEEvSL_,@function
_ZN7rocprim17ROCPRIM_400000_NS6detail17trampoline_kernelINS0_14default_configENS1_36segmented_radix_sort_config_selectorI6__halflEEZNS1_25segmented_radix_sort_implIS3_Lb0EPKS5_PS5_PKlPlN2at6native12_GLOBAL__N_18offset_tEEE10hipError_tPvRmT1_PNSt15iterator_traitsISL_E10value_typeET2_T3_PNSM_ISR_E10value_typeET4_jRbjT5_SX_jjP12ihipStream_tbEUlT_E1_NS1_11comp_targetILNS1_3genE4ELNS1_11target_archE910ELNS1_3gpuE8ELNS1_3repE0EEENS1_59segmented_radix_sort_warp_sort_small_config_static_selectorELNS0_4arch9wavefront6targetE0EEEvSL_: ; @_ZN7rocprim17ROCPRIM_400000_NS6detail17trampoline_kernelINS0_14default_configENS1_36segmented_radix_sort_config_selectorI6__halflEEZNS1_25segmented_radix_sort_implIS3_Lb0EPKS5_PS5_PKlPlN2at6native12_GLOBAL__N_18offset_tEEE10hipError_tPvRmT1_PNSt15iterator_traitsISL_E10value_typeET2_T3_PNSM_ISR_E10value_typeET4_jRbjT5_SX_jjP12ihipStream_tbEUlT_E1_NS1_11comp_targetILNS1_3genE4ELNS1_11target_archE910ELNS1_3gpuE8ELNS1_3repE0EEENS1_59segmented_radix_sort_warp_sort_small_config_static_selectorELNS0_4arch9wavefront6targetE0EEEvSL_
; %bb.0:
	.section	.rodata,"a",@progbits
	.p2align	6, 0x0
	.amdhsa_kernel _ZN7rocprim17ROCPRIM_400000_NS6detail17trampoline_kernelINS0_14default_configENS1_36segmented_radix_sort_config_selectorI6__halflEEZNS1_25segmented_radix_sort_implIS3_Lb0EPKS5_PS5_PKlPlN2at6native12_GLOBAL__N_18offset_tEEE10hipError_tPvRmT1_PNSt15iterator_traitsISL_E10value_typeET2_T3_PNSM_ISR_E10value_typeET4_jRbjT5_SX_jjP12ihipStream_tbEUlT_E1_NS1_11comp_targetILNS1_3genE4ELNS1_11target_archE910ELNS1_3gpuE8ELNS1_3repE0EEENS1_59segmented_radix_sort_warp_sort_small_config_static_selectorELNS0_4arch9wavefront6targetE0EEEvSL_
		.amdhsa_group_segment_fixed_size 0
		.amdhsa_private_segment_fixed_size 0
		.amdhsa_kernarg_size 88
		.amdhsa_user_sgpr_count 6
		.amdhsa_user_sgpr_private_segment_buffer 1
		.amdhsa_user_sgpr_dispatch_ptr 0
		.amdhsa_user_sgpr_queue_ptr 0
		.amdhsa_user_sgpr_kernarg_segment_ptr 1
		.amdhsa_user_sgpr_dispatch_id 0
		.amdhsa_user_sgpr_flat_scratch_init 0
		.amdhsa_user_sgpr_private_segment_size 0
		.amdhsa_wavefront_size32 1
		.amdhsa_uses_dynamic_stack 0
		.amdhsa_system_sgpr_private_segment_wavefront_offset 0
		.amdhsa_system_sgpr_workgroup_id_x 1
		.amdhsa_system_sgpr_workgroup_id_y 0
		.amdhsa_system_sgpr_workgroup_id_z 0
		.amdhsa_system_sgpr_workgroup_info 0
		.amdhsa_system_vgpr_workitem_id 0
		.amdhsa_next_free_vgpr 1
		.amdhsa_next_free_sgpr 1
		.amdhsa_reserve_vcc 0
		.amdhsa_reserve_flat_scratch 0
		.amdhsa_float_round_mode_32 0
		.amdhsa_float_round_mode_16_64 0
		.amdhsa_float_denorm_mode_32 3
		.amdhsa_float_denorm_mode_16_64 3
		.amdhsa_dx10_clamp 1
		.amdhsa_ieee_mode 1
		.amdhsa_fp16_overflow 0
		.amdhsa_workgroup_processor_mode 1
		.amdhsa_memory_ordered 1
		.amdhsa_forward_progress 1
		.amdhsa_shared_vgpr_count 0
		.amdhsa_exception_fp_ieee_invalid_op 0
		.amdhsa_exception_fp_denorm_src 0
		.amdhsa_exception_fp_ieee_div_zero 0
		.amdhsa_exception_fp_ieee_overflow 0
		.amdhsa_exception_fp_ieee_underflow 0
		.amdhsa_exception_fp_ieee_inexact 0
		.amdhsa_exception_int_div_zero 0
	.end_amdhsa_kernel
	.section	.text._ZN7rocprim17ROCPRIM_400000_NS6detail17trampoline_kernelINS0_14default_configENS1_36segmented_radix_sort_config_selectorI6__halflEEZNS1_25segmented_radix_sort_implIS3_Lb0EPKS5_PS5_PKlPlN2at6native12_GLOBAL__N_18offset_tEEE10hipError_tPvRmT1_PNSt15iterator_traitsISL_E10value_typeET2_T3_PNSM_ISR_E10value_typeET4_jRbjT5_SX_jjP12ihipStream_tbEUlT_E1_NS1_11comp_targetILNS1_3genE4ELNS1_11target_archE910ELNS1_3gpuE8ELNS1_3repE0EEENS1_59segmented_radix_sort_warp_sort_small_config_static_selectorELNS0_4arch9wavefront6targetE0EEEvSL_,"axG",@progbits,_ZN7rocprim17ROCPRIM_400000_NS6detail17trampoline_kernelINS0_14default_configENS1_36segmented_radix_sort_config_selectorI6__halflEEZNS1_25segmented_radix_sort_implIS3_Lb0EPKS5_PS5_PKlPlN2at6native12_GLOBAL__N_18offset_tEEE10hipError_tPvRmT1_PNSt15iterator_traitsISL_E10value_typeET2_T3_PNSM_ISR_E10value_typeET4_jRbjT5_SX_jjP12ihipStream_tbEUlT_E1_NS1_11comp_targetILNS1_3genE4ELNS1_11target_archE910ELNS1_3gpuE8ELNS1_3repE0EEENS1_59segmented_radix_sort_warp_sort_small_config_static_selectorELNS0_4arch9wavefront6targetE0EEEvSL_,comdat
.Lfunc_end1854:
	.size	_ZN7rocprim17ROCPRIM_400000_NS6detail17trampoline_kernelINS0_14default_configENS1_36segmented_radix_sort_config_selectorI6__halflEEZNS1_25segmented_radix_sort_implIS3_Lb0EPKS5_PS5_PKlPlN2at6native12_GLOBAL__N_18offset_tEEE10hipError_tPvRmT1_PNSt15iterator_traitsISL_E10value_typeET2_T3_PNSM_ISR_E10value_typeET4_jRbjT5_SX_jjP12ihipStream_tbEUlT_E1_NS1_11comp_targetILNS1_3genE4ELNS1_11target_archE910ELNS1_3gpuE8ELNS1_3repE0EEENS1_59segmented_radix_sort_warp_sort_small_config_static_selectorELNS0_4arch9wavefront6targetE0EEEvSL_, .Lfunc_end1854-_ZN7rocprim17ROCPRIM_400000_NS6detail17trampoline_kernelINS0_14default_configENS1_36segmented_radix_sort_config_selectorI6__halflEEZNS1_25segmented_radix_sort_implIS3_Lb0EPKS5_PS5_PKlPlN2at6native12_GLOBAL__N_18offset_tEEE10hipError_tPvRmT1_PNSt15iterator_traitsISL_E10value_typeET2_T3_PNSM_ISR_E10value_typeET4_jRbjT5_SX_jjP12ihipStream_tbEUlT_E1_NS1_11comp_targetILNS1_3genE4ELNS1_11target_archE910ELNS1_3gpuE8ELNS1_3repE0EEENS1_59segmented_radix_sort_warp_sort_small_config_static_selectorELNS0_4arch9wavefront6targetE0EEEvSL_
                                        ; -- End function
	.set _ZN7rocprim17ROCPRIM_400000_NS6detail17trampoline_kernelINS0_14default_configENS1_36segmented_radix_sort_config_selectorI6__halflEEZNS1_25segmented_radix_sort_implIS3_Lb0EPKS5_PS5_PKlPlN2at6native12_GLOBAL__N_18offset_tEEE10hipError_tPvRmT1_PNSt15iterator_traitsISL_E10value_typeET2_T3_PNSM_ISR_E10value_typeET4_jRbjT5_SX_jjP12ihipStream_tbEUlT_E1_NS1_11comp_targetILNS1_3genE4ELNS1_11target_archE910ELNS1_3gpuE8ELNS1_3repE0EEENS1_59segmented_radix_sort_warp_sort_small_config_static_selectorELNS0_4arch9wavefront6targetE0EEEvSL_.num_vgpr, 0
	.set _ZN7rocprim17ROCPRIM_400000_NS6detail17trampoline_kernelINS0_14default_configENS1_36segmented_radix_sort_config_selectorI6__halflEEZNS1_25segmented_radix_sort_implIS3_Lb0EPKS5_PS5_PKlPlN2at6native12_GLOBAL__N_18offset_tEEE10hipError_tPvRmT1_PNSt15iterator_traitsISL_E10value_typeET2_T3_PNSM_ISR_E10value_typeET4_jRbjT5_SX_jjP12ihipStream_tbEUlT_E1_NS1_11comp_targetILNS1_3genE4ELNS1_11target_archE910ELNS1_3gpuE8ELNS1_3repE0EEENS1_59segmented_radix_sort_warp_sort_small_config_static_selectorELNS0_4arch9wavefront6targetE0EEEvSL_.num_agpr, 0
	.set _ZN7rocprim17ROCPRIM_400000_NS6detail17trampoline_kernelINS0_14default_configENS1_36segmented_radix_sort_config_selectorI6__halflEEZNS1_25segmented_radix_sort_implIS3_Lb0EPKS5_PS5_PKlPlN2at6native12_GLOBAL__N_18offset_tEEE10hipError_tPvRmT1_PNSt15iterator_traitsISL_E10value_typeET2_T3_PNSM_ISR_E10value_typeET4_jRbjT5_SX_jjP12ihipStream_tbEUlT_E1_NS1_11comp_targetILNS1_3genE4ELNS1_11target_archE910ELNS1_3gpuE8ELNS1_3repE0EEENS1_59segmented_radix_sort_warp_sort_small_config_static_selectorELNS0_4arch9wavefront6targetE0EEEvSL_.numbered_sgpr, 0
	.set _ZN7rocprim17ROCPRIM_400000_NS6detail17trampoline_kernelINS0_14default_configENS1_36segmented_radix_sort_config_selectorI6__halflEEZNS1_25segmented_radix_sort_implIS3_Lb0EPKS5_PS5_PKlPlN2at6native12_GLOBAL__N_18offset_tEEE10hipError_tPvRmT1_PNSt15iterator_traitsISL_E10value_typeET2_T3_PNSM_ISR_E10value_typeET4_jRbjT5_SX_jjP12ihipStream_tbEUlT_E1_NS1_11comp_targetILNS1_3genE4ELNS1_11target_archE910ELNS1_3gpuE8ELNS1_3repE0EEENS1_59segmented_radix_sort_warp_sort_small_config_static_selectorELNS0_4arch9wavefront6targetE0EEEvSL_.num_named_barrier, 0
	.set _ZN7rocprim17ROCPRIM_400000_NS6detail17trampoline_kernelINS0_14default_configENS1_36segmented_radix_sort_config_selectorI6__halflEEZNS1_25segmented_radix_sort_implIS3_Lb0EPKS5_PS5_PKlPlN2at6native12_GLOBAL__N_18offset_tEEE10hipError_tPvRmT1_PNSt15iterator_traitsISL_E10value_typeET2_T3_PNSM_ISR_E10value_typeET4_jRbjT5_SX_jjP12ihipStream_tbEUlT_E1_NS1_11comp_targetILNS1_3genE4ELNS1_11target_archE910ELNS1_3gpuE8ELNS1_3repE0EEENS1_59segmented_radix_sort_warp_sort_small_config_static_selectorELNS0_4arch9wavefront6targetE0EEEvSL_.private_seg_size, 0
	.set _ZN7rocprim17ROCPRIM_400000_NS6detail17trampoline_kernelINS0_14default_configENS1_36segmented_radix_sort_config_selectorI6__halflEEZNS1_25segmented_radix_sort_implIS3_Lb0EPKS5_PS5_PKlPlN2at6native12_GLOBAL__N_18offset_tEEE10hipError_tPvRmT1_PNSt15iterator_traitsISL_E10value_typeET2_T3_PNSM_ISR_E10value_typeET4_jRbjT5_SX_jjP12ihipStream_tbEUlT_E1_NS1_11comp_targetILNS1_3genE4ELNS1_11target_archE910ELNS1_3gpuE8ELNS1_3repE0EEENS1_59segmented_radix_sort_warp_sort_small_config_static_selectorELNS0_4arch9wavefront6targetE0EEEvSL_.uses_vcc, 0
	.set _ZN7rocprim17ROCPRIM_400000_NS6detail17trampoline_kernelINS0_14default_configENS1_36segmented_radix_sort_config_selectorI6__halflEEZNS1_25segmented_radix_sort_implIS3_Lb0EPKS5_PS5_PKlPlN2at6native12_GLOBAL__N_18offset_tEEE10hipError_tPvRmT1_PNSt15iterator_traitsISL_E10value_typeET2_T3_PNSM_ISR_E10value_typeET4_jRbjT5_SX_jjP12ihipStream_tbEUlT_E1_NS1_11comp_targetILNS1_3genE4ELNS1_11target_archE910ELNS1_3gpuE8ELNS1_3repE0EEENS1_59segmented_radix_sort_warp_sort_small_config_static_selectorELNS0_4arch9wavefront6targetE0EEEvSL_.uses_flat_scratch, 0
	.set _ZN7rocprim17ROCPRIM_400000_NS6detail17trampoline_kernelINS0_14default_configENS1_36segmented_radix_sort_config_selectorI6__halflEEZNS1_25segmented_radix_sort_implIS3_Lb0EPKS5_PS5_PKlPlN2at6native12_GLOBAL__N_18offset_tEEE10hipError_tPvRmT1_PNSt15iterator_traitsISL_E10value_typeET2_T3_PNSM_ISR_E10value_typeET4_jRbjT5_SX_jjP12ihipStream_tbEUlT_E1_NS1_11comp_targetILNS1_3genE4ELNS1_11target_archE910ELNS1_3gpuE8ELNS1_3repE0EEENS1_59segmented_radix_sort_warp_sort_small_config_static_selectorELNS0_4arch9wavefront6targetE0EEEvSL_.has_dyn_sized_stack, 0
	.set _ZN7rocprim17ROCPRIM_400000_NS6detail17trampoline_kernelINS0_14default_configENS1_36segmented_radix_sort_config_selectorI6__halflEEZNS1_25segmented_radix_sort_implIS3_Lb0EPKS5_PS5_PKlPlN2at6native12_GLOBAL__N_18offset_tEEE10hipError_tPvRmT1_PNSt15iterator_traitsISL_E10value_typeET2_T3_PNSM_ISR_E10value_typeET4_jRbjT5_SX_jjP12ihipStream_tbEUlT_E1_NS1_11comp_targetILNS1_3genE4ELNS1_11target_archE910ELNS1_3gpuE8ELNS1_3repE0EEENS1_59segmented_radix_sort_warp_sort_small_config_static_selectorELNS0_4arch9wavefront6targetE0EEEvSL_.has_recursion, 0
	.set _ZN7rocprim17ROCPRIM_400000_NS6detail17trampoline_kernelINS0_14default_configENS1_36segmented_radix_sort_config_selectorI6__halflEEZNS1_25segmented_radix_sort_implIS3_Lb0EPKS5_PS5_PKlPlN2at6native12_GLOBAL__N_18offset_tEEE10hipError_tPvRmT1_PNSt15iterator_traitsISL_E10value_typeET2_T3_PNSM_ISR_E10value_typeET4_jRbjT5_SX_jjP12ihipStream_tbEUlT_E1_NS1_11comp_targetILNS1_3genE4ELNS1_11target_archE910ELNS1_3gpuE8ELNS1_3repE0EEENS1_59segmented_radix_sort_warp_sort_small_config_static_selectorELNS0_4arch9wavefront6targetE0EEEvSL_.has_indirect_call, 0
	.section	.AMDGPU.csdata,"",@progbits
; Kernel info:
; codeLenInByte = 0
; TotalNumSgprs: 0
; NumVgprs: 0
; ScratchSize: 0
; MemoryBound: 0
; FloatMode: 240
; IeeeMode: 1
; LDSByteSize: 0 bytes/workgroup (compile time only)
; SGPRBlocks: 0
; VGPRBlocks: 0
; NumSGPRsForWavesPerEU: 1
; NumVGPRsForWavesPerEU: 1
; Occupancy: 16
; WaveLimiterHint : 0
; COMPUTE_PGM_RSRC2:SCRATCH_EN: 0
; COMPUTE_PGM_RSRC2:USER_SGPR: 6
; COMPUTE_PGM_RSRC2:TRAP_HANDLER: 0
; COMPUTE_PGM_RSRC2:TGID_X_EN: 1
; COMPUTE_PGM_RSRC2:TGID_Y_EN: 0
; COMPUTE_PGM_RSRC2:TGID_Z_EN: 0
; COMPUTE_PGM_RSRC2:TIDIG_COMP_CNT: 0
	.section	.text._ZN7rocprim17ROCPRIM_400000_NS6detail17trampoline_kernelINS0_14default_configENS1_36segmented_radix_sort_config_selectorI6__halflEEZNS1_25segmented_radix_sort_implIS3_Lb0EPKS5_PS5_PKlPlN2at6native12_GLOBAL__N_18offset_tEEE10hipError_tPvRmT1_PNSt15iterator_traitsISL_E10value_typeET2_T3_PNSM_ISR_E10value_typeET4_jRbjT5_SX_jjP12ihipStream_tbEUlT_E1_NS1_11comp_targetILNS1_3genE3ELNS1_11target_archE908ELNS1_3gpuE7ELNS1_3repE0EEENS1_59segmented_radix_sort_warp_sort_small_config_static_selectorELNS0_4arch9wavefront6targetE0EEEvSL_,"axG",@progbits,_ZN7rocprim17ROCPRIM_400000_NS6detail17trampoline_kernelINS0_14default_configENS1_36segmented_radix_sort_config_selectorI6__halflEEZNS1_25segmented_radix_sort_implIS3_Lb0EPKS5_PS5_PKlPlN2at6native12_GLOBAL__N_18offset_tEEE10hipError_tPvRmT1_PNSt15iterator_traitsISL_E10value_typeET2_T3_PNSM_ISR_E10value_typeET4_jRbjT5_SX_jjP12ihipStream_tbEUlT_E1_NS1_11comp_targetILNS1_3genE3ELNS1_11target_archE908ELNS1_3gpuE7ELNS1_3repE0EEENS1_59segmented_radix_sort_warp_sort_small_config_static_selectorELNS0_4arch9wavefront6targetE0EEEvSL_,comdat
	.globl	_ZN7rocprim17ROCPRIM_400000_NS6detail17trampoline_kernelINS0_14default_configENS1_36segmented_radix_sort_config_selectorI6__halflEEZNS1_25segmented_radix_sort_implIS3_Lb0EPKS5_PS5_PKlPlN2at6native12_GLOBAL__N_18offset_tEEE10hipError_tPvRmT1_PNSt15iterator_traitsISL_E10value_typeET2_T3_PNSM_ISR_E10value_typeET4_jRbjT5_SX_jjP12ihipStream_tbEUlT_E1_NS1_11comp_targetILNS1_3genE3ELNS1_11target_archE908ELNS1_3gpuE7ELNS1_3repE0EEENS1_59segmented_radix_sort_warp_sort_small_config_static_selectorELNS0_4arch9wavefront6targetE0EEEvSL_ ; -- Begin function _ZN7rocprim17ROCPRIM_400000_NS6detail17trampoline_kernelINS0_14default_configENS1_36segmented_radix_sort_config_selectorI6__halflEEZNS1_25segmented_radix_sort_implIS3_Lb0EPKS5_PS5_PKlPlN2at6native12_GLOBAL__N_18offset_tEEE10hipError_tPvRmT1_PNSt15iterator_traitsISL_E10value_typeET2_T3_PNSM_ISR_E10value_typeET4_jRbjT5_SX_jjP12ihipStream_tbEUlT_E1_NS1_11comp_targetILNS1_3genE3ELNS1_11target_archE908ELNS1_3gpuE7ELNS1_3repE0EEENS1_59segmented_radix_sort_warp_sort_small_config_static_selectorELNS0_4arch9wavefront6targetE0EEEvSL_
	.p2align	8
	.type	_ZN7rocprim17ROCPRIM_400000_NS6detail17trampoline_kernelINS0_14default_configENS1_36segmented_radix_sort_config_selectorI6__halflEEZNS1_25segmented_radix_sort_implIS3_Lb0EPKS5_PS5_PKlPlN2at6native12_GLOBAL__N_18offset_tEEE10hipError_tPvRmT1_PNSt15iterator_traitsISL_E10value_typeET2_T3_PNSM_ISR_E10value_typeET4_jRbjT5_SX_jjP12ihipStream_tbEUlT_E1_NS1_11comp_targetILNS1_3genE3ELNS1_11target_archE908ELNS1_3gpuE7ELNS1_3repE0EEENS1_59segmented_radix_sort_warp_sort_small_config_static_selectorELNS0_4arch9wavefront6targetE0EEEvSL_,@function
_ZN7rocprim17ROCPRIM_400000_NS6detail17trampoline_kernelINS0_14default_configENS1_36segmented_radix_sort_config_selectorI6__halflEEZNS1_25segmented_radix_sort_implIS3_Lb0EPKS5_PS5_PKlPlN2at6native12_GLOBAL__N_18offset_tEEE10hipError_tPvRmT1_PNSt15iterator_traitsISL_E10value_typeET2_T3_PNSM_ISR_E10value_typeET4_jRbjT5_SX_jjP12ihipStream_tbEUlT_E1_NS1_11comp_targetILNS1_3genE3ELNS1_11target_archE908ELNS1_3gpuE7ELNS1_3repE0EEENS1_59segmented_radix_sort_warp_sort_small_config_static_selectorELNS0_4arch9wavefront6targetE0EEEvSL_: ; @_ZN7rocprim17ROCPRIM_400000_NS6detail17trampoline_kernelINS0_14default_configENS1_36segmented_radix_sort_config_selectorI6__halflEEZNS1_25segmented_radix_sort_implIS3_Lb0EPKS5_PS5_PKlPlN2at6native12_GLOBAL__N_18offset_tEEE10hipError_tPvRmT1_PNSt15iterator_traitsISL_E10value_typeET2_T3_PNSM_ISR_E10value_typeET4_jRbjT5_SX_jjP12ihipStream_tbEUlT_E1_NS1_11comp_targetILNS1_3genE3ELNS1_11target_archE908ELNS1_3gpuE7ELNS1_3repE0EEENS1_59segmented_radix_sort_warp_sort_small_config_static_selectorELNS0_4arch9wavefront6targetE0EEEvSL_
; %bb.0:
	.section	.rodata,"a",@progbits
	.p2align	6, 0x0
	.amdhsa_kernel _ZN7rocprim17ROCPRIM_400000_NS6detail17trampoline_kernelINS0_14default_configENS1_36segmented_radix_sort_config_selectorI6__halflEEZNS1_25segmented_radix_sort_implIS3_Lb0EPKS5_PS5_PKlPlN2at6native12_GLOBAL__N_18offset_tEEE10hipError_tPvRmT1_PNSt15iterator_traitsISL_E10value_typeET2_T3_PNSM_ISR_E10value_typeET4_jRbjT5_SX_jjP12ihipStream_tbEUlT_E1_NS1_11comp_targetILNS1_3genE3ELNS1_11target_archE908ELNS1_3gpuE7ELNS1_3repE0EEENS1_59segmented_radix_sort_warp_sort_small_config_static_selectorELNS0_4arch9wavefront6targetE0EEEvSL_
		.amdhsa_group_segment_fixed_size 0
		.amdhsa_private_segment_fixed_size 0
		.amdhsa_kernarg_size 88
		.amdhsa_user_sgpr_count 6
		.amdhsa_user_sgpr_private_segment_buffer 1
		.amdhsa_user_sgpr_dispatch_ptr 0
		.amdhsa_user_sgpr_queue_ptr 0
		.amdhsa_user_sgpr_kernarg_segment_ptr 1
		.amdhsa_user_sgpr_dispatch_id 0
		.amdhsa_user_sgpr_flat_scratch_init 0
		.amdhsa_user_sgpr_private_segment_size 0
		.amdhsa_wavefront_size32 1
		.amdhsa_uses_dynamic_stack 0
		.amdhsa_system_sgpr_private_segment_wavefront_offset 0
		.amdhsa_system_sgpr_workgroup_id_x 1
		.amdhsa_system_sgpr_workgroup_id_y 0
		.amdhsa_system_sgpr_workgroup_id_z 0
		.amdhsa_system_sgpr_workgroup_info 0
		.amdhsa_system_vgpr_workitem_id 0
		.amdhsa_next_free_vgpr 1
		.amdhsa_next_free_sgpr 1
		.amdhsa_reserve_vcc 0
		.amdhsa_reserve_flat_scratch 0
		.amdhsa_float_round_mode_32 0
		.amdhsa_float_round_mode_16_64 0
		.amdhsa_float_denorm_mode_32 3
		.amdhsa_float_denorm_mode_16_64 3
		.amdhsa_dx10_clamp 1
		.amdhsa_ieee_mode 1
		.amdhsa_fp16_overflow 0
		.amdhsa_workgroup_processor_mode 1
		.amdhsa_memory_ordered 1
		.amdhsa_forward_progress 1
		.amdhsa_shared_vgpr_count 0
		.amdhsa_exception_fp_ieee_invalid_op 0
		.amdhsa_exception_fp_denorm_src 0
		.amdhsa_exception_fp_ieee_div_zero 0
		.amdhsa_exception_fp_ieee_overflow 0
		.amdhsa_exception_fp_ieee_underflow 0
		.amdhsa_exception_fp_ieee_inexact 0
		.amdhsa_exception_int_div_zero 0
	.end_amdhsa_kernel
	.section	.text._ZN7rocprim17ROCPRIM_400000_NS6detail17trampoline_kernelINS0_14default_configENS1_36segmented_radix_sort_config_selectorI6__halflEEZNS1_25segmented_radix_sort_implIS3_Lb0EPKS5_PS5_PKlPlN2at6native12_GLOBAL__N_18offset_tEEE10hipError_tPvRmT1_PNSt15iterator_traitsISL_E10value_typeET2_T3_PNSM_ISR_E10value_typeET4_jRbjT5_SX_jjP12ihipStream_tbEUlT_E1_NS1_11comp_targetILNS1_3genE3ELNS1_11target_archE908ELNS1_3gpuE7ELNS1_3repE0EEENS1_59segmented_radix_sort_warp_sort_small_config_static_selectorELNS0_4arch9wavefront6targetE0EEEvSL_,"axG",@progbits,_ZN7rocprim17ROCPRIM_400000_NS6detail17trampoline_kernelINS0_14default_configENS1_36segmented_radix_sort_config_selectorI6__halflEEZNS1_25segmented_radix_sort_implIS3_Lb0EPKS5_PS5_PKlPlN2at6native12_GLOBAL__N_18offset_tEEE10hipError_tPvRmT1_PNSt15iterator_traitsISL_E10value_typeET2_T3_PNSM_ISR_E10value_typeET4_jRbjT5_SX_jjP12ihipStream_tbEUlT_E1_NS1_11comp_targetILNS1_3genE3ELNS1_11target_archE908ELNS1_3gpuE7ELNS1_3repE0EEENS1_59segmented_radix_sort_warp_sort_small_config_static_selectorELNS0_4arch9wavefront6targetE0EEEvSL_,comdat
.Lfunc_end1855:
	.size	_ZN7rocprim17ROCPRIM_400000_NS6detail17trampoline_kernelINS0_14default_configENS1_36segmented_radix_sort_config_selectorI6__halflEEZNS1_25segmented_radix_sort_implIS3_Lb0EPKS5_PS5_PKlPlN2at6native12_GLOBAL__N_18offset_tEEE10hipError_tPvRmT1_PNSt15iterator_traitsISL_E10value_typeET2_T3_PNSM_ISR_E10value_typeET4_jRbjT5_SX_jjP12ihipStream_tbEUlT_E1_NS1_11comp_targetILNS1_3genE3ELNS1_11target_archE908ELNS1_3gpuE7ELNS1_3repE0EEENS1_59segmented_radix_sort_warp_sort_small_config_static_selectorELNS0_4arch9wavefront6targetE0EEEvSL_, .Lfunc_end1855-_ZN7rocprim17ROCPRIM_400000_NS6detail17trampoline_kernelINS0_14default_configENS1_36segmented_radix_sort_config_selectorI6__halflEEZNS1_25segmented_radix_sort_implIS3_Lb0EPKS5_PS5_PKlPlN2at6native12_GLOBAL__N_18offset_tEEE10hipError_tPvRmT1_PNSt15iterator_traitsISL_E10value_typeET2_T3_PNSM_ISR_E10value_typeET4_jRbjT5_SX_jjP12ihipStream_tbEUlT_E1_NS1_11comp_targetILNS1_3genE3ELNS1_11target_archE908ELNS1_3gpuE7ELNS1_3repE0EEENS1_59segmented_radix_sort_warp_sort_small_config_static_selectorELNS0_4arch9wavefront6targetE0EEEvSL_
                                        ; -- End function
	.set _ZN7rocprim17ROCPRIM_400000_NS6detail17trampoline_kernelINS0_14default_configENS1_36segmented_radix_sort_config_selectorI6__halflEEZNS1_25segmented_radix_sort_implIS3_Lb0EPKS5_PS5_PKlPlN2at6native12_GLOBAL__N_18offset_tEEE10hipError_tPvRmT1_PNSt15iterator_traitsISL_E10value_typeET2_T3_PNSM_ISR_E10value_typeET4_jRbjT5_SX_jjP12ihipStream_tbEUlT_E1_NS1_11comp_targetILNS1_3genE3ELNS1_11target_archE908ELNS1_3gpuE7ELNS1_3repE0EEENS1_59segmented_radix_sort_warp_sort_small_config_static_selectorELNS0_4arch9wavefront6targetE0EEEvSL_.num_vgpr, 0
	.set _ZN7rocprim17ROCPRIM_400000_NS6detail17trampoline_kernelINS0_14default_configENS1_36segmented_radix_sort_config_selectorI6__halflEEZNS1_25segmented_radix_sort_implIS3_Lb0EPKS5_PS5_PKlPlN2at6native12_GLOBAL__N_18offset_tEEE10hipError_tPvRmT1_PNSt15iterator_traitsISL_E10value_typeET2_T3_PNSM_ISR_E10value_typeET4_jRbjT5_SX_jjP12ihipStream_tbEUlT_E1_NS1_11comp_targetILNS1_3genE3ELNS1_11target_archE908ELNS1_3gpuE7ELNS1_3repE0EEENS1_59segmented_radix_sort_warp_sort_small_config_static_selectorELNS0_4arch9wavefront6targetE0EEEvSL_.num_agpr, 0
	.set _ZN7rocprim17ROCPRIM_400000_NS6detail17trampoline_kernelINS0_14default_configENS1_36segmented_radix_sort_config_selectorI6__halflEEZNS1_25segmented_radix_sort_implIS3_Lb0EPKS5_PS5_PKlPlN2at6native12_GLOBAL__N_18offset_tEEE10hipError_tPvRmT1_PNSt15iterator_traitsISL_E10value_typeET2_T3_PNSM_ISR_E10value_typeET4_jRbjT5_SX_jjP12ihipStream_tbEUlT_E1_NS1_11comp_targetILNS1_3genE3ELNS1_11target_archE908ELNS1_3gpuE7ELNS1_3repE0EEENS1_59segmented_radix_sort_warp_sort_small_config_static_selectorELNS0_4arch9wavefront6targetE0EEEvSL_.numbered_sgpr, 0
	.set _ZN7rocprim17ROCPRIM_400000_NS6detail17trampoline_kernelINS0_14default_configENS1_36segmented_radix_sort_config_selectorI6__halflEEZNS1_25segmented_radix_sort_implIS3_Lb0EPKS5_PS5_PKlPlN2at6native12_GLOBAL__N_18offset_tEEE10hipError_tPvRmT1_PNSt15iterator_traitsISL_E10value_typeET2_T3_PNSM_ISR_E10value_typeET4_jRbjT5_SX_jjP12ihipStream_tbEUlT_E1_NS1_11comp_targetILNS1_3genE3ELNS1_11target_archE908ELNS1_3gpuE7ELNS1_3repE0EEENS1_59segmented_radix_sort_warp_sort_small_config_static_selectorELNS0_4arch9wavefront6targetE0EEEvSL_.num_named_barrier, 0
	.set _ZN7rocprim17ROCPRIM_400000_NS6detail17trampoline_kernelINS0_14default_configENS1_36segmented_radix_sort_config_selectorI6__halflEEZNS1_25segmented_radix_sort_implIS3_Lb0EPKS5_PS5_PKlPlN2at6native12_GLOBAL__N_18offset_tEEE10hipError_tPvRmT1_PNSt15iterator_traitsISL_E10value_typeET2_T3_PNSM_ISR_E10value_typeET4_jRbjT5_SX_jjP12ihipStream_tbEUlT_E1_NS1_11comp_targetILNS1_3genE3ELNS1_11target_archE908ELNS1_3gpuE7ELNS1_3repE0EEENS1_59segmented_radix_sort_warp_sort_small_config_static_selectorELNS0_4arch9wavefront6targetE0EEEvSL_.private_seg_size, 0
	.set _ZN7rocprim17ROCPRIM_400000_NS6detail17trampoline_kernelINS0_14default_configENS1_36segmented_radix_sort_config_selectorI6__halflEEZNS1_25segmented_radix_sort_implIS3_Lb0EPKS5_PS5_PKlPlN2at6native12_GLOBAL__N_18offset_tEEE10hipError_tPvRmT1_PNSt15iterator_traitsISL_E10value_typeET2_T3_PNSM_ISR_E10value_typeET4_jRbjT5_SX_jjP12ihipStream_tbEUlT_E1_NS1_11comp_targetILNS1_3genE3ELNS1_11target_archE908ELNS1_3gpuE7ELNS1_3repE0EEENS1_59segmented_radix_sort_warp_sort_small_config_static_selectorELNS0_4arch9wavefront6targetE0EEEvSL_.uses_vcc, 0
	.set _ZN7rocprim17ROCPRIM_400000_NS6detail17trampoline_kernelINS0_14default_configENS1_36segmented_radix_sort_config_selectorI6__halflEEZNS1_25segmented_radix_sort_implIS3_Lb0EPKS5_PS5_PKlPlN2at6native12_GLOBAL__N_18offset_tEEE10hipError_tPvRmT1_PNSt15iterator_traitsISL_E10value_typeET2_T3_PNSM_ISR_E10value_typeET4_jRbjT5_SX_jjP12ihipStream_tbEUlT_E1_NS1_11comp_targetILNS1_3genE3ELNS1_11target_archE908ELNS1_3gpuE7ELNS1_3repE0EEENS1_59segmented_radix_sort_warp_sort_small_config_static_selectorELNS0_4arch9wavefront6targetE0EEEvSL_.uses_flat_scratch, 0
	.set _ZN7rocprim17ROCPRIM_400000_NS6detail17trampoline_kernelINS0_14default_configENS1_36segmented_radix_sort_config_selectorI6__halflEEZNS1_25segmented_radix_sort_implIS3_Lb0EPKS5_PS5_PKlPlN2at6native12_GLOBAL__N_18offset_tEEE10hipError_tPvRmT1_PNSt15iterator_traitsISL_E10value_typeET2_T3_PNSM_ISR_E10value_typeET4_jRbjT5_SX_jjP12ihipStream_tbEUlT_E1_NS1_11comp_targetILNS1_3genE3ELNS1_11target_archE908ELNS1_3gpuE7ELNS1_3repE0EEENS1_59segmented_radix_sort_warp_sort_small_config_static_selectorELNS0_4arch9wavefront6targetE0EEEvSL_.has_dyn_sized_stack, 0
	.set _ZN7rocprim17ROCPRIM_400000_NS6detail17trampoline_kernelINS0_14default_configENS1_36segmented_radix_sort_config_selectorI6__halflEEZNS1_25segmented_radix_sort_implIS3_Lb0EPKS5_PS5_PKlPlN2at6native12_GLOBAL__N_18offset_tEEE10hipError_tPvRmT1_PNSt15iterator_traitsISL_E10value_typeET2_T3_PNSM_ISR_E10value_typeET4_jRbjT5_SX_jjP12ihipStream_tbEUlT_E1_NS1_11comp_targetILNS1_3genE3ELNS1_11target_archE908ELNS1_3gpuE7ELNS1_3repE0EEENS1_59segmented_radix_sort_warp_sort_small_config_static_selectorELNS0_4arch9wavefront6targetE0EEEvSL_.has_recursion, 0
	.set _ZN7rocprim17ROCPRIM_400000_NS6detail17trampoline_kernelINS0_14default_configENS1_36segmented_radix_sort_config_selectorI6__halflEEZNS1_25segmented_radix_sort_implIS3_Lb0EPKS5_PS5_PKlPlN2at6native12_GLOBAL__N_18offset_tEEE10hipError_tPvRmT1_PNSt15iterator_traitsISL_E10value_typeET2_T3_PNSM_ISR_E10value_typeET4_jRbjT5_SX_jjP12ihipStream_tbEUlT_E1_NS1_11comp_targetILNS1_3genE3ELNS1_11target_archE908ELNS1_3gpuE7ELNS1_3repE0EEENS1_59segmented_radix_sort_warp_sort_small_config_static_selectorELNS0_4arch9wavefront6targetE0EEEvSL_.has_indirect_call, 0
	.section	.AMDGPU.csdata,"",@progbits
; Kernel info:
; codeLenInByte = 0
; TotalNumSgprs: 0
; NumVgprs: 0
; ScratchSize: 0
; MemoryBound: 0
; FloatMode: 240
; IeeeMode: 1
; LDSByteSize: 0 bytes/workgroup (compile time only)
; SGPRBlocks: 0
; VGPRBlocks: 0
; NumSGPRsForWavesPerEU: 1
; NumVGPRsForWavesPerEU: 1
; Occupancy: 16
; WaveLimiterHint : 0
; COMPUTE_PGM_RSRC2:SCRATCH_EN: 0
; COMPUTE_PGM_RSRC2:USER_SGPR: 6
; COMPUTE_PGM_RSRC2:TRAP_HANDLER: 0
; COMPUTE_PGM_RSRC2:TGID_X_EN: 1
; COMPUTE_PGM_RSRC2:TGID_Y_EN: 0
; COMPUTE_PGM_RSRC2:TGID_Z_EN: 0
; COMPUTE_PGM_RSRC2:TIDIG_COMP_CNT: 0
	.section	.text._ZN7rocprim17ROCPRIM_400000_NS6detail17trampoline_kernelINS0_14default_configENS1_36segmented_radix_sort_config_selectorI6__halflEEZNS1_25segmented_radix_sort_implIS3_Lb0EPKS5_PS5_PKlPlN2at6native12_GLOBAL__N_18offset_tEEE10hipError_tPvRmT1_PNSt15iterator_traitsISL_E10value_typeET2_T3_PNSM_ISR_E10value_typeET4_jRbjT5_SX_jjP12ihipStream_tbEUlT_E1_NS1_11comp_targetILNS1_3genE2ELNS1_11target_archE906ELNS1_3gpuE6ELNS1_3repE0EEENS1_59segmented_radix_sort_warp_sort_small_config_static_selectorELNS0_4arch9wavefront6targetE0EEEvSL_,"axG",@progbits,_ZN7rocprim17ROCPRIM_400000_NS6detail17trampoline_kernelINS0_14default_configENS1_36segmented_radix_sort_config_selectorI6__halflEEZNS1_25segmented_radix_sort_implIS3_Lb0EPKS5_PS5_PKlPlN2at6native12_GLOBAL__N_18offset_tEEE10hipError_tPvRmT1_PNSt15iterator_traitsISL_E10value_typeET2_T3_PNSM_ISR_E10value_typeET4_jRbjT5_SX_jjP12ihipStream_tbEUlT_E1_NS1_11comp_targetILNS1_3genE2ELNS1_11target_archE906ELNS1_3gpuE6ELNS1_3repE0EEENS1_59segmented_radix_sort_warp_sort_small_config_static_selectorELNS0_4arch9wavefront6targetE0EEEvSL_,comdat
	.globl	_ZN7rocprim17ROCPRIM_400000_NS6detail17trampoline_kernelINS0_14default_configENS1_36segmented_radix_sort_config_selectorI6__halflEEZNS1_25segmented_radix_sort_implIS3_Lb0EPKS5_PS5_PKlPlN2at6native12_GLOBAL__N_18offset_tEEE10hipError_tPvRmT1_PNSt15iterator_traitsISL_E10value_typeET2_T3_PNSM_ISR_E10value_typeET4_jRbjT5_SX_jjP12ihipStream_tbEUlT_E1_NS1_11comp_targetILNS1_3genE2ELNS1_11target_archE906ELNS1_3gpuE6ELNS1_3repE0EEENS1_59segmented_radix_sort_warp_sort_small_config_static_selectorELNS0_4arch9wavefront6targetE0EEEvSL_ ; -- Begin function _ZN7rocprim17ROCPRIM_400000_NS6detail17trampoline_kernelINS0_14default_configENS1_36segmented_radix_sort_config_selectorI6__halflEEZNS1_25segmented_radix_sort_implIS3_Lb0EPKS5_PS5_PKlPlN2at6native12_GLOBAL__N_18offset_tEEE10hipError_tPvRmT1_PNSt15iterator_traitsISL_E10value_typeET2_T3_PNSM_ISR_E10value_typeET4_jRbjT5_SX_jjP12ihipStream_tbEUlT_E1_NS1_11comp_targetILNS1_3genE2ELNS1_11target_archE906ELNS1_3gpuE6ELNS1_3repE0EEENS1_59segmented_radix_sort_warp_sort_small_config_static_selectorELNS0_4arch9wavefront6targetE0EEEvSL_
	.p2align	8
	.type	_ZN7rocprim17ROCPRIM_400000_NS6detail17trampoline_kernelINS0_14default_configENS1_36segmented_radix_sort_config_selectorI6__halflEEZNS1_25segmented_radix_sort_implIS3_Lb0EPKS5_PS5_PKlPlN2at6native12_GLOBAL__N_18offset_tEEE10hipError_tPvRmT1_PNSt15iterator_traitsISL_E10value_typeET2_T3_PNSM_ISR_E10value_typeET4_jRbjT5_SX_jjP12ihipStream_tbEUlT_E1_NS1_11comp_targetILNS1_3genE2ELNS1_11target_archE906ELNS1_3gpuE6ELNS1_3repE0EEENS1_59segmented_radix_sort_warp_sort_small_config_static_selectorELNS0_4arch9wavefront6targetE0EEEvSL_,@function
_ZN7rocprim17ROCPRIM_400000_NS6detail17trampoline_kernelINS0_14default_configENS1_36segmented_radix_sort_config_selectorI6__halflEEZNS1_25segmented_radix_sort_implIS3_Lb0EPKS5_PS5_PKlPlN2at6native12_GLOBAL__N_18offset_tEEE10hipError_tPvRmT1_PNSt15iterator_traitsISL_E10value_typeET2_T3_PNSM_ISR_E10value_typeET4_jRbjT5_SX_jjP12ihipStream_tbEUlT_E1_NS1_11comp_targetILNS1_3genE2ELNS1_11target_archE906ELNS1_3gpuE6ELNS1_3repE0EEENS1_59segmented_radix_sort_warp_sort_small_config_static_selectorELNS0_4arch9wavefront6targetE0EEEvSL_: ; @_ZN7rocprim17ROCPRIM_400000_NS6detail17trampoline_kernelINS0_14default_configENS1_36segmented_radix_sort_config_selectorI6__halflEEZNS1_25segmented_radix_sort_implIS3_Lb0EPKS5_PS5_PKlPlN2at6native12_GLOBAL__N_18offset_tEEE10hipError_tPvRmT1_PNSt15iterator_traitsISL_E10value_typeET2_T3_PNSM_ISR_E10value_typeET4_jRbjT5_SX_jjP12ihipStream_tbEUlT_E1_NS1_11comp_targetILNS1_3genE2ELNS1_11target_archE906ELNS1_3gpuE6ELNS1_3repE0EEENS1_59segmented_radix_sort_warp_sort_small_config_static_selectorELNS0_4arch9wavefront6targetE0EEEvSL_
; %bb.0:
	.section	.rodata,"a",@progbits
	.p2align	6, 0x0
	.amdhsa_kernel _ZN7rocprim17ROCPRIM_400000_NS6detail17trampoline_kernelINS0_14default_configENS1_36segmented_radix_sort_config_selectorI6__halflEEZNS1_25segmented_radix_sort_implIS3_Lb0EPKS5_PS5_PKlPlN2at6native12_GLOBAL__N_18offset_tEEE10hipError_tPvRmT1_PNSt15iterator_traitsISL_E10value_typeET2_T3_PNSM_ISR_E10value_typeET4_jRbjT5_SX_jjP12ihipStream_tbEUlT_E1_NS1_11comp_targetILNS1_3genE2ELNS1_11target_archE906ELNS1_3gpuE6ELNS1_3repE0EEENS1_59segmented_radix_sort_warp_sort_small_config_static_selectorELNS0_4arch9wavefront6targetE0EEEvSL_
		.amdhsa_group_segment_fixed_size 0
		.amdhsa_private_segment_fixed_size 0
		.amdhsa_kernarg_size 88
		.amdhsa_user_sgpr_count 6
		.amdhsa_user_sgpr_private_segment_buffer 1
		.amdhsa_user_sgpr_dispatch_ptr 0
		.amdhsa_user_sgpr_queue_ptr 0
		.amdhsa_user_sgpr_kernarg_segment_ptr 1
		.amdhsa_user_sgpr_dispatch_id 0
		.amdhsa_user_sgpr_flat_scratch_init 0
		.amdhsa_user_sgpr_private_segment_size 0
		.amdhsa_wavefront_size32 1
		.amdhsa_uses_dynamic_stack 0
		.amdhsa_system_sgpr_private_segment_wavefront_offset 0
		.amdhsa_system_sgpr_workgroup_id_x 1
		.amdhsa_system_sgpr_workgroup_id_y 0
		.amdhsa_system_sgpr_workgroup_id_z 0
		.amdhsa_system_sgpr_workgroup_info 0
		.amdhsa_system_vgpr_workitem_id 0
		.amdhsa_next_free_vgpr 1
		.amdhsa_next_free_sgpr 1
		.amdhsa_reserve_vcc 0
		.amdhsa_reserve_flat_scratch 0
		.amdhsa_float_round_mode_32 0
		.amdhsa_float_round_mode_16_64 0
		.amdhsa_float_denorm_mode_32 3
		.amdhsa_float_denorm_mode_16_64 3
		.amdhsa_dx10_clamp 1
		.amdhsa_ieee_mode 1
		.amdhsa_fp16_overflow 0
		.amdhsa_workgroup_processor_mode 1
		.amdhsa_memory_ordered 1
		.amdhsa_forward_progress 1
		.amdhsa_shared_vgpr_count 0
		.amdhsa_exception_fp_ieee_invalid_op 0
		.amdhsa_exception_fp_denorm_src 0
		.amdhsa_exception_fp_ieee_div_zero 0
		.amdhsa_exception_fp_ieee_overflow 0
		.amdhsa_exception_fp_ieee_underflow 0
		.amdhsa_exception_fp_ieee_inexact 0
		.amdhsa_exception_int_div_zero 0
	.end_amdhsa_kernel
	.section	.text._ZN7rocprim17ROCPRIM_400000_NS6detail17trampoline_kernelINS0_14default_configENS1_36segmented_radix_sort_config_selectorI6__halflEEZNS1_25segmented_radix_sort_implIS3_Lb0EPKS5_PS5_PKlPlN2at6native12_GLOBAL__N_18offset_tEEE10hipError_tPvRmT1_PNSt15iterator_traitsISL_E10value_typeET2_T3_PNSM_ISR_E10value_typeET4_jRbjT5_SX_jjP12ihipStream_tbEUlT_E1_NS1_11comp_targetILNS1_3genE2ELNS1_11target_archE906ELNS1_3gpuE6ELNS1_3repE0EEENS1_59segmented_radix_sort_warp_sort_small_config_static_selectorELNS0_4arch9wavefront6targetE0EEEvSL_,"axG",@progbits,_ZN7rocprim17ROCPRIM_400000_NS6detail17trampoline_kernelINS0_14default_configENS1_36segmented_radix_sort_config_selectorI6__halflEEZNS1_25segmented_radix_sort_implIS3_Lb0EPKS5_PS5_PKlPlN2at6native12_GLOBAL__N_18offset_tEEE10hipError_tPvRmT1_PNSt15iterator_traitsISL_E10value_typeET2_T3_PNSM_ISR_E10value_typeET4_jRbjT5_SX_jjP12ihipStream_tbEUlT_E1_NS1_11comp_targetILNS1_3genE2ELNS1_11target_archE906ELNS1_3gpuE6ELNS1_3repE0EEENS1_59segmented_radix_sort_warp_sort_small_config_static_selectorELNS0_4arch9wavefront6targetE0EEEvSL_,comdat
.Lfunc_end1856:
	.size	_ZN7rocprim17ROCPRIM_400000_NS6detail17trampoline_kernelINS0_14default_configENS1_36segmented_radix_sort_config_selectorI6__halflEEZNS1_25segmented_radix_sort_implIS3_Lb0EPKS5_PS5_PKlPlN2at6native12_GLOBAL__N_18offset_tEEE10hipError_tPvRmT1_PNSt15iterator_traitsISL_E10value_typeET2_T3_PNSM_ISR_E10value_typeET4_jRbjT5_SX_jjP12ihipStream_tbEUlT_E1_NS1_11comp_targetILNS1_3genE2ELNS1_11target_archE906ELNS1_3gpuE6ELNS1_3repE0EEENS1_59segmented_radix_sort_warp_sort_small_config_static_selectorELNS0_4arch9wavefront6targetE0EEEvSL_, .Lfunc_end1856-_ZN7rocprim17ROCPRIM_400000_NS6detail17trampoline_kernelINS0_14default_configENS1_36segmented_radix_sort_config_selectorI6__halflEEZNS1_25segmented_radix_sort_implIS3_Lb0EPKS5_PS5_PKlPlN2at6native12_GLOBAL__N_18offset_tEEE10hipError_tPvRmT1_PNSt15iterator_traitsISL_E10value_typeET2_T3_PNSM_ISR_E10value_typeET4_jRbjT5_SX_jjP12ihipStream_tbEUlT_E1_NS1_11comp_targetILNS1_3genE2ELNS1_11target_archE906ELNS1_3gpuE6ELNS1_3repE0EEENS1_59segmented_radix_sort_warp_sort_small_config_static_selectorELNS0_4arch9wavefront6targetE0EEEvSL_
                                        ; -- End function
	.set _ZN7rocprim17ROCPRIM_400000_NS6detail17trampoline_kernelINS0_14default_configENS1_36segmented_radix_sort_config_selectorI6__halflEEZNS1_25segmented_radix_sort_implIS3_Lb0EPKS5_PS5_PKlPlN2at6native12_GLOBAL__N_18offset_tEEE10hipError_tPvRmT1_PNSt15iterator_traitsISL_E10value_typeET2_T3_PNSM_ISR_E10value_typeET4_jRbjT5_SX_jjP12ihipStream_tbEUlT_E1_NS1_11comp_targetILNS1_3genE2ELNS1_11target_archE906ELNS1_3gpuE6ELNS1_3repE0EEENS1_59segmented_radix_sort_warp_sort_small_config_static_selectorELNS0_4arch9wavefront6targetE0EEEvSL_.num_vgpr, 0
	.set _ZN7rocprim17ROCPRIM_400000_NS6detail17trampoline_kernelINS0_14default_configENS1_36segmented_radix_sort_config_selectorI6__halflEEZNS1_25segmented_radix_sort_implIS3_Lb0EPKS5_PS5_PKlPlN2at6native12_GLOBAL__N_18offset_tEEE10hipError_tPvRmT1_PNSt15iterator_traitsISL_E10value_typeET2_T3_PNSM_ISR_E10value_typeET4_jRbjT5_SX_jjP12ihipStream_tbEUlT_E1_NS1_11comp_targetILNS1_3genE2ELNS1_11target_archE906ELNS1_3gpuE6ELNS1_3repE0EEENS1_59segmented_radix_sort_warp_sort_small_config_static_selectorELNS0_4arch9wavefront6targetE0EEEvSL_.num_agpr, 0
	.set _ZN7rocprim17ROCPRIM_400000_NS6detail17trampoline_kernelINS0_14default_configENS1_36segmented_radix_sort_config_selectorI6__halflEEZNS1_25segmented_radix_sort_implIS3_Lb0EPKS5_PS5_PKlPlN2at6native12_GLOBAL__N_18offset_tEEE10hipError_tPvRmT1_PNSt15iterator_traitsISL_E10value_typeET2_T3_PNSM_ISR_E10value_typeET4_jRbjT5_SX_jjP12ihipStream_tbEUlT_E1_NS1_11comp_targetILNS1_3genE2ELNS1_11target_archE906ELNS1_3gpuE6ELNS1_3repE0EEENS1_59segmented_radix_sort_warp_sort_small_config_static_selectorELNS0_4arch9wavefront6targetE0EEEvSL_.numbered_sgpr, 0
	.set _ZN7rocprim17ROCPRIM_400000_NS6detail17trampoline_kernelINS0_14default_configENS1_36segmented_radix_sort_config_selectorI6__halflEEZNS1_25segmented_radix_sort_implIS3_Lb0EPKS5_PS5_PKlPlN2at6native12_GLOBAL__N_18offset_tEEE10hipError_tPvRmT1_PNSt15iterator_traitsISL_E10value_typeET2_T3_PNSM_ISR_E10value_typeET4_jRbjT5_SX_jjP12ihipStream_tbEUlT_E1_NS1_11comp_targetILNS1_3genE2ELNS1_11target_archE906ELNS1_3gpuE6ELNS1_3repE0EEENS1_59segmented_radix_sort_warp_sort_small_config_static_selectorELNS0_4arch9wavefront6targetE0EEEvSL_.num_named_barrier, 0
	.set _ZN7rocprim17ROCPRIM_400000_NS6detail17trampoline_kernelINS0_14default_configENS1_36segmented_radix_sort_config_selectorI6__halflEEZNS1_25segmented_radix_sort_implIS3_Lb0EPKS5_PS5_PKlPlN2at6native12_GLOBAL__N_18offset_tEEE10hipError_tPvRmT1_PNSt15iterator_traitsISL_E10value_typeET2_T3_PNSM_ISR_E10value_typeET4_jRbjT5_SX_jjP12ihipStream_tbEUlT_E1_NS1_11comp_targetILNS1_3genE2ELNS1_11target_archE906ELNS1_3gpuE6ELNS1_3repE0EEENS1_59segmented_radix_sort_warp_sort_small_config_static_selectorELNS0_4arch9wavefront6targetE0EEEvSL_.private_seg_size, 0
	.set _ZN7rocprim17ROCPRIM_400000_NS6detail17trampoline_kernelINS0_14default_configENS1_36segmented_radix_sort_config_selectorI6__halflEEZNS1_25segmented_radix_sort_implIS3_Lb0EPKS5_PS5_PKlPlN2at6native12_GLOBAL__N_18offset_tEEE10hipError_tPvRmT1_PNSt15iterator_traitsISL_E10value_typeET2_T3_PNSM_ISR_E10value_typeET4_jRbjT5_SX_jjP12ihipStream_tbEUlT_E1_NS1_11comp_targetILNS1_3genE2ELNS1_11target_archE906ELNS1_3gpuE6ELNS1_3repE0EEENS1_59segmented_radix_sort_warp_sort_small_config_static_selectorELNS0_4arch9wavefront6targetE0EEEvSL_.uses_vcc, 0
	.set _ZN7rocprim17ROCPRIM_400000_NS6detail17trampoline_kernelINS0_14default_configENS1_36segmented_radix_sort_config_selectorI6__halflEEZNS1_25segmented_radix_sort_implIS3_Lb0EPKS5_PS5_PKlPlN2at6native12_GLOBAL__N_18offset_tEEE10hipError_tPvRmT1_PNSt15iterator_traitsISL_E10value_typeET2_T3_PNSM_ISR_E10value_typeET4_jRbjT5_SX_jjP12ihipStream_tbEUlT_E1_NS1_11comp_targetILNS1_3genE2ELNS1_11target_archE906ELNS1_3gpuE6ELNS1_3repE0EEENS1_59segmented_radix_sort_warp_sort_small_config_static_selectorELNS0_4arch9wavefront6targetE0EEEvSL_.uses_flat_scratch, 0
	.set _ZN7rocprim17ROCPRIM_400000_NS6detail17trampoline_kernelINS0_14default_configENS1_36segmented_radix_sort_config_selectorI6__halflEEZNS1_25segmented_radix_sort_implIS3_Lb0EPKS5_PS5_PKlPlN2at6native12_GLOBAL__N_18offset_tEEE10hipError_tPvRmT1_PNSt15iterator_traitsISL_E10value_typeET2_T3_PNSM_ISR_E10value_typeET4_jRbjT5_SX_jjP12ihipStream_tbEUlT_E1_NS1_11comp_targetILNS1_3genE2ELNS1_11target_archE906ELNS1_3gpuE6ELNS1_3repE0EEENS1_59segmented_radix_sort_warp_sort_small_config_static_selectorELNS0_4arch9wavefront6targetE0EEEvSL_.has_dyn_sized_stack, 0
	.set _ZN7rocprim17ROCPRIM_400000_NS6detail17trampoline_kernelINS0_14default_configENS1_36segmented_radix_sort_config_selectorI6__halflEEZNS1_25segmented_radix_sort_implIS3_Lb0EPKS5_PS5_PKlPlN2at6native12_GLOBAL__N_18offset_tEEE10hipError_tPvRmT1_PNSt15iterator_traitsISL_E10value_typeET2_T3_PNSM_ISR_E10value_typeET4_jRbjT5_SX_jjP12ihipStream_tbEUlT_E1_NS1_11comp_targetILNS1_3genE2ELNS1_11target_archE906ELNS1_3gpuE6ELNS1_3repE0EEENS1_59segmented_radix_sort_warp_sort_small_config_static_selectorELNS0_4arch9wavefront6targetE0EEEvSL_.has_recursion, 0
	.set _ZN7rocprim17ROCPRIM_400000_NS6detail17trampoline_kernelINS0_14default_configENS1_36segmented_radix_sort_config_selectorI6__halflEEZNS1_25segmented_radix_sort_implIS3_Lb0EPKS5_PS5_PKlPlN2at6native12_GLOBAL__N_18offset_tEEE10hipError_tPvRmT1_PNSt15iterator_traitsISL_E10value_typeET2_T3_PNSM_ISR_E10value_typeET4_jRbjT5_SX_jjP12ihipStream_tbEUlT_E1_NS1_11comp_targetILNS1_3genE2ELNS1_11target_archE906ELNS1_3gpuE6ELNS1_3repE0EEENS1_59segmented_radix_sort_warp_sort_small_config_static_selectorELNS0_4arch9wavefront6targetE0EEEvSL_.has_indirect_call, 0
	.section	.AMDGPU.csdata,"",@progbits
; Kernel info:
; codeLenInByte = 0
; TotalNumSgprs: 0
; NumVgprs: 0
; ScratchSize: 0
; MemoryBound: 0
; FloatMode: 240
; IeeeMode: 1
; LDSByteSize: 0 bytes/workgroup (compile time only)
; SGPRBlocks: 0
; VGPRBlocks: 0
; NumSGPRsForWavesPerEU: 1
; NumVGPRsForWavesPerEU: 1
; Occupancy: 16
; WaveLimiterHint : 0
; COMPUTE_PGM_RSRC2:SCRATCH_EN: 0
; COMPUTE_PGM_RSRC2:USER_SGPR: 6
; COMPUTE_PGM_RSRC2:TRAP_HANDLER: 0
; COMPUTE_PGM_RSRC2:TGID_X_EN: 1
; COMPUTE_PGM_RSRC2:TGID_Y_EN: 0
; COMPUTE_PGM_RSRC2:TGID_Z_EN: 0
; COMPUTE_PGM_RSRC2:TIDIG_COMP_CNT: 0
	.section	.text._ZN7rocprim17ROCPRIM_400000_NS6detail17trampoline_kernelINS0_14default_configENS1_36segmented_radix_sort_config_selectorI6__halflEEZNS1_25segmented_radix_sort_implIS3_Lb0EPKS5_PS5_PKlPlN2at6native12_GLOBAL__N_18offset_tEEE10hipError_tPvRmT1_PNSt15iterator_traitsISL_E10value_typeET2_T3_PNSM_ISR_E10value_typeET4_jRbjT5_SX_jjP12ihipStream_tbEUlT_E1_NS1_11comp_targetILNS1_3genE10ELNS1_11target_archE1201ELNS1_3gpuE5ELNS1_3repE0EEENS1_59segmented_radix_sort_warp_sort_small_config_static_selectorELNS0_4arch9wavefront6targetE0EEEvSL_,"axG",@progbits,_ZN7rocprim17ROCPRIM_400000_NS6detail17trampoline_kernelINS0_14default_configENS1_36segmented_radix_sort_config_selectorI6__halflEEZNS1_25segmented_radix_sort_implIS3_Lb0EPKS5_PS5_PKlPlN2at6native12_GLOBAL__N_18offset_tEEE10hipError_tPvRmT1_PNSt15iterator_traitsISL_E10value_typeET2_T3_PNSM_ISR_E10value_typeET4_jRbjT5_SX_jjP12ihipStream_tbEUlT_E1_NS1_11comp_targetILNS1_3genE10ELNS1_11target_archE1201ELNS1_3gpuE5ELNS1_3repE0EEENS1_59segmented_radix_sort_warp_sort_small_config_static_selectorELNS0_4arch9wavefront6targetE0EEEvSL_,comdat
	.globl	_ZN7rocprim17ROCPRIM_400000_NS6detail17trampoline_kernelINS0_14default_configENS1_36segmented_radix_sort_config_selectorI6__halflEEZNS1_25segmented_radix_sort_implIS3_Lb0EPKS5_PS5_PKlPlN2at6native12_GLOBAL__N_18offset_tEEE10hipError_tPvRmT1_PNSt15iterator_traitsISL_E10value_typeET2_T3_PNSM_ISR_E10value_typeET4_jRbjT5_SX_jjP12ihipStream_tbEUlT_E1_NS1_11comp_targetILNS1_3genE10ELNS1_11target_archE1201ELNS1_3gpuE5ELNS1_3repE0EEENS1_59segmented_radix_sort_warp_sort_small_config_static_selectorELNS0_4arch9wavefront6targetE0EEEvSL_ ; -- Begin function _ZN7rocprim17ROCPRIM_400000_NS6detail17trampoline_kernelINS0_14default_configENS1_36segmented_radix_sort_config_selectorI6__halflEEZNS1_25segmented_radix_sort_implIS3_Lb0EPKS5_PS5_PKlPlN2at6native12_GLOBAL__N_18offset_tEEE10hipError_tPvRmT1_PNSt15iterator_traitsISL_E10value_typeET2_T3_PNSM_ISR_E10value_typeET4_jRbjT5_SX_jjP12ihipStream_tbEUlT_E1_NS1_11comp_targetILNS1_3genE10ELNS1_11target_archE1201ELNS1_3gpuE5ELNS1_3repE0EEENS1_59segmented_radix_sort_warp_sort_small_config_static_selectorELNS0_4arch9wavefront6targetE0EEEvSL_
	.p2align	8
	.type	_ZN7rocprim17ROCPRIM_400000_NS6detail17trampoline_kernelINS0_14default_configENS1_36segmented_radix_sort_config_selectorI6__halflEEZNS1_25segmented_radix_sort_implIS3_Lb0EPKS5_PS5_PKlPlN2at6native12_GLOBAL__N_18offset_tEEE10hipError_tPvRmT1_PNSt15iterator_traitsISL_E10value_typeET2_T3_PNSM_ISR_E10value_typeET4_jRbjT5_SX_jjP12ihipStream_tbEUlT_E1_NS1_11comp_targetILNS1_3genE10ELNS1_11target_archE1201ELNS1_3gpuE5ELNS1_3repE0EEENS1_59segmented_radix_sort_warp_sort_small_config_static_selectorELNS0_4arch9wavefront6targetE0EEEvSL_,@function
_ZN7rocprim17ROCPRIM_400000_NS6detail17trampoline_kernelINS0_14default_configENS1_36segmented_radix_sort_config_selectorI6__halflEEZNS1_25segmented_radix_sort_implIS3_Lb0EPKS5_PS5_PKlPlN2at6native12_GLOBAL__N_18offset_tEEE10hipError_tPvRmT1_PNSt15iterator_traitsISL_E10value_typeET2_T3_PNSM_ISR_E10value_typeET4_jRbjT5_SX_jjP12ihipStream_tbEUlT_E1_NS1_11comp_targetILNS1_3genE10ELNS1_11target_archE1201ELNS1_3gpuE5ELNS1_3repE0EEENS1_59segmented_radix_sort_warp_sort_small_config_static_selectorELNS0_4arch9wavefront6targetE0EEEvSL_: ; @_ZN7rocprim17ROCPRIM_400000_NS6detail17trampoline_kernelINS0_14default_configENS1_36segmented_radix_sort_config_selectorI6__halflEEZNS1_25segmented_radix_sort_implIS3_Lb0EPKS5_PS5_PKlPlN2at6native12_GLOBAL__N_18offset_tEEE10hipError_tPvRmT1_PNSt15iterator_traitsISL_E10value_typeET2_T3_PNSM_ISR_E10value_typeET4_jRbjT5_SX_jjP12ihipStream_tbEUlT_E1_NS1_11comp_targetILNS1_3genE10ELNS1_11target_archE1201ELNS1_3gpuE5ELNS1_3repE0EEENS1_59segmented_radix_sort_warp_sort_small_config_static_selectorELNS0_4arch9wavefront6targetE0EEEvSL_
; %bb.0:
	.section	.rodata,"a",@progbits
	.p2align	6, 0x0
	.amdhsa_kernel _ZN7rocprim17ROCPRIM_400000_NS6detail17trampoline_kernelINS0_14default_configENS1_36segmented_radix_sort_config_selectorI6__halflEEZNS1_25segmented_radix_sort_implIS3_Lb0EPKS5_PS5_PKlPlN2at6native12_GLOBAL__N_18offset_tEEE10hipError_tPvRmT1_PNSt15iterator_traitsISL_E10value_typeET2_T3_PNSM_ISR_E10value_typeET4_jRbjT5_SX_jjP12ihipStream_tbEUlT_E1_NS1_11comp_targetILNS1_3genE10ELNS1_11target_archE1201ELNS1_3gpuE5ELNS1_3repE0EEENS1_59segmented_radix_sort_warp_sort_small_config_static_selectorELNS0_4arch9wavefront6targetE0EEEvSL_
		.amdhsa_group_segment_fixed_size 0
		.amdhsa_private_segment_fixed_size 0
		.amdhsa_kernarg_size 88
		.amdhsa_user_sgpr_count 6
		.amdhsa_user_sgpr_private_segment_buffer 1
		.amdhsa_user_sgpr_dispatch_ptr 0
		.amdhsa_user_sgpr_queue_ptr 0
		.amdhsa_user_sgpr_kernarg_segment_ptr 1
		.amdhsa_user_sgpr_dispatch_id 0
		.amdhsa_user_sgpr_flat_scratch_init 0
		.amdhsa_user_sgpr_private_segment_size 0
		.amdhsa_wavefront_size32 1
		.amdhsa_uses_dynamic_stack 0
		.amdhsa_system_sgpr_private_segment_wavefront_offset 0
		.amdhsa_system_sgpr_workgroup_id_x 1
		.amdhsa_system_sgpr_workgroup_id_y 0
		.amdhsa_system_sgpr_workgroup_id_z 0
		.amdhsa_system_sgpr_workgroup_info 0
		.amdhsa_system_vgpr_workitem_id 0
		.amdhsa_next_free_vgpr 1
		.amdhsa_next_free_sgpr 1
		.amdhsa_reserve_vcc 0
		.amdhsa_reserve_flat_scratch 0
		.amdhsa_float_round_mode_32 0
		.amdhsa_float_round_mode_16_64 0
		.amdhsa_float_denorm_mode_32 3
		.amdhsa_float_denorm_mode_16_64 3
		.amdhsa_dx10_clamp 1
		.amdhsa_ieee_mode 1
		.amdhsa_fp16_overflow 0
		.amdhsa_workgroup_processor_mode 1
		.amdhsa_memory_ordered 1
		.amdhsa_forward_progress 1
		.amdhsa_shared_vgpr_count 0
		.amdhsa_exception_fp_ieee_invalid_op 0
		.amdhsa_exception_fp_denorm_src 0
		.amdhsa_exception_fp_ieee_div_zero 0
		.amdhsa_exception_fp_ieee_overflow 0
		.amdhsa_exception_fp_ieee_underflow 0
		.amdhsa_exception_fp_ieee_inexact 0
		.amdhsa_exception_int_div_zero 0
	.end_amdhsa_kernel
	.section	.text._ZN7rocprim17ROCPRIM_400000_NS6detail17trampoline_kernelINS0_14default_configENS1_36segmented_radix_sort_config_selectorI6__halflEEZNS1_25segmented_radix_sort_implIS3_Lb0EPKS5_PS5_PKlPlN2at6native12_GLOBAL__N_18offset_tEEE10hipError_tPvRmT1_PNSt15iterator_traitsISL_E10value_typeET2_T3_PNSM_ISR_E10value_typeET4_jRbjT5_SX_jjP12ihipStream_tbEUlT_E1_NS1_11comp_targetILNS1_3genE10ELNS1_11target_archE1201ELNS1_3gpuE5ELNS1_3repE0EEENS1_59segmented_radix_sort_warp_sort_small_config_static_selectorELNS0_4arch9wavefront6targetE0EEEvSL_,"axG",@progbits,_ZN7rocprim17ROCPRIM_400000_NS6detail17trampoline_kernelINS0_14default_configENS1_36segmented_radix_sort_config_selectorI6__halflEEZNS1_25segmented_radix_sort_implIS3_Lb0EPKS5_PS5_PKlPlN2at6native12_GLOBAL__N_18offset_tEEE10hipError_tPvRmT1_PNSt15iterator_traitsISL_E10value_typeET2_T3_PNSM_ISR_E10value_typeET4_jRbjT5_SX_jjP12ihipStream_tbEUlT_E1_NS1_11comp_targetILNS1_3genE10ELNS1_11target_archE1201ELNS1_3gpuE5ELNS1_3repE0EEENS1_59segmented_radix_sort_warp_sort_small_config_static_selectorELNS0_4arch9wavefront6targetE0EEEvSL_,comdat
.Lfunc_end1857:
	.size	_ZN7rocprim17ROCPRIM_400000_NS6detail17trampoline_kernelINS0_14default_configENS1_36segmented_radix_sort_config_selectorI6__halflEEZNS1_25segmented_radix_sort_implIS3_Lb0EPKS5_PS5_PKlPlN2at6native12_GLOBAL__N_18offset_tEEE10hipError_tPvRmT1_PNSt15iterator_traitsISL_E10value_typeET2_T3_PNSM_ISR_E10value_typeET4_jRbjT5_SX_jjP12ihipStream_tbEUlT_E1_NS1_11comp_targetILNS1_3genE10ELNS1_11target_archE1201ELNS1_3gpuE5ELNS1_3repE0EEENS1_59segmented_radix_sort_warp_sort_small_config_static_selectorELNS0_4arch9wavefront6targetE0EEEvSL_, .Lfunc_end1857-_ZN7rocprim17ROCPRIM_400000_NS6detail17trampoline_kernelINS0_14default_configENS1_36segmented_radix_sort_config_selectorI6__halflEEZNS1_25segmented_radix_sort_implIS3_Lb0EPKS5_PS5_PKlPlN2at6native12_GLOBAL__N_18offset_tEEE10hipError_tPvRmT1_PNSt15iterator_traitsISL_E10value_typeET2_T3_PNSM_ISR_E10value_typeET4_jRbjT5_SX_jjP12ihipStream_tbEUlT_E1_NS1_11comp_targetILNS1_3genE10ELNS1_11target_archE1201ELNS1_3gpuE5ELNS1_3repE0EEENS1_59segmented_radix_sort_warp_sort_small_config_static_selectorELNS0_4arch9wavefront6targetE0EEEvSL_
                                        ; -- End function
	.set _ZN7rocprim17ROCPRIM_400000_NS6detail17trampoline_kernelINS0_14default_configENS1_36segmented_radix_sort_config_selectorI6__halflEEZNS1_25segmented_radix_sort_implIS3_Lb0EPKS5_PS5_PKlPlN2at6native12_GLOBAL__N_18offset_tEEE10hipError_tPvRmT1_PNSt15iterator_traitsISL_E10value_typeET2_T3_PNSM_ISR_E10value_typeET4_jRbjT5_SX_jjP12ihipStream_tbEUlT_E1_NS1_11comp_targetILNS1_3genE10ELNS1_11target_archE1201ELNS1_3gpuE5ELNS1_3repE0EEENS1_59segmented_radix_sort_warp_sort_small_config_static_selectorELNS0_4arch9wavefront6targetE0EEEvSL_.num_vgpr, 0
	.set _ZN7rocprim17ROCPRIM_400000_NS6detail17trampoline_kernelINS0_14default_configENS1_36segmented_radix_sort_config_selectorI6__halflEEZNS1_25segmented_radix_sort_implIS3_Lb0EPKS5_PS5_PKlPlN2at6native12_GLOBAL__N_18offset_tEEE10hipError_tPvRmT1_PNSt15iterator_traitsISL_E10value_typeET2_T3_PNSM_ISR_E10value_typeET4_jRbjT5_SX_jjP12ihipStream_tbEUlT_E1_NS1_11comp_targetILNS1_3genE10ELNS1_11target_archE1201ELNS1_3gpuE5ELNS1_3repE0EEENS1_59segmented_radix_sort_warp_sort_small_config_static_selectorELNS0_4arch9wavefront6targetE0EEEvSL_.num_agpr, 0
	.set _ZN7rocprim17ROCPRIM_400000_NS6detail17trampoline_kernelINS0_14default_configENS1_36segmented_radix_sort_config_selectorI6__halflEEZNS1_25segmented_radix_sort_implIS3_Lb0EPKS5_PS5_PKlPlN2at6native12_GLOBAL__N_18offset_tEEE10hipError_tPvRmT1_PNSt15iterator_traitsISL_E10value_typeET2_T3_PNSM_ISR_E10value_typeET4_jRbjT5_SX_jjP12ihipStream_tbEUlT_E1_NS1_11comp_targetILNS1_3genE10ELNS1_11target_archE1201ELNS1_3gpuE5ELNS1_3repE0EEENS1_59segmented_radix_sort_warp_sort_small_config_static_selectorELNS0_4arch9wavefront6targetE0EEEvSL_.numbered_sgpr, 0
	.set _ZN7rocprim17ROCPRIM_400000_NS6detail17trampoline_kernelINS0_14default_configENS1_36segmented_radix_sort_config_selectorI6__halflEEZNS1_25segmented_radix_sort_implIS3_Lb0EPKS5_PS5_PKlPlN2at6native12_GLOBAL__N_18offset_tEEE10hipError_tPvRmT1_PNSt15iterator_traitsISL_E10value_typeET2_T3_PNSM_ISR_E10value_typeET4_jRbjT5_SX_jjP12ihipStream_tbEUlT_E1_NS1_11comp_targetILNS1_3genE10ELNS1_11target_archE1201ELNS1_3gpuE5ELNS1_3repE0EEENS1_59segmented_radix_sort_warp_sort_small_config_static_selectorELNS0_4arch9wavefront6targetE0EEEvSL_.num_named_barrier, 0
	.set _ZN7rocprim17ROCPRIM_400000_NS6detail17trampoline_kernelINS0_14default_configENS1_36segmented_radix_sort_config_selectorI6__halflEEZNS1_25segmented_radix_sort_implIS3_Lb0EPKS5_PS5_PKlPlN2at6native12_GLOBAL__N_18offset_tEEE10hipError_tPvRmT1_PNSt15iterator_traitsISL_E10value_typeET2_T3_PNSM_ISR_E10value_typeET4_jRbjT5_SX_jjP12ihipStream_tbEUlT_E1_NS1_11comp_targetILNS1_3genE10ELNS1_11target_archE1201ELNS1_3gpuE5ELNS1_3repE0EEENS1_59segmented_radix_sort_warp_sort_small_config_static_selectorELNS0_4arch9wavefront6targetE0EEEvSL_.private_seg_size, 0
	.set _ZN7rocprim17ROCPRIM_400000_NS6detail17trampoline_kernelINS0_14default_configENS1_36segmented_radix_sort_config_selectorI6__halflEEZNS1_25segmented_radix_sort_implIS3_Lb0EPKS5_PS5_PKlPlN2at6native12_GLOBAL__N_18offset_tEEE10hipError_tPvRmT1_PNSt15iterator_traitsISL_E10value_typeET2_T3_PNSM_ISR_E10value_typeET4_jRbjT5_SX_jjP12ihipStream_tbEUlT_E1_NS1_11comp_targetILNS1_3genE10ELNS1_11target_archE1201ELNS1_3gpuE5ELNS1_3repE0EEENS1_59segmented_radix_sort_warp_sort_small_config_static_selectorELNS0_4arch9wavefront6targetE0EEEvSL_.uses_vcc, 0
	.set _ZN7rocprim17ROCPRIM_400000_NS6detail17trampoline_kernelINS0_14default_configENS1_36segmented_radix_sort_config_selectorI6__halflEEZNS1_25segmented_radix_sort_implIS3_Lb0EPKS5_PS5_PKlPlN2at6native12_GLOBAL__N_18offset_tEEE10hipError_tPvRmT1_PNSt15iterator_traitsISL_E10value_typeET2_T3_PNSM_ISR_E10value_typeET4_jRbjT5_SX_jjP12ihipStream_tbEUlT_E1_NS1_11comp_targetILNS1_3genE10ELNS1_11target_archE1201ELNS1_3gpuE5ELNS1_3repE0EEENS1_59segmented_radix_sort_warp_sort_small_config_static_selectorELNS0_4arch9wavefront6targetE0EEEvSL_.uses_flat_scratch, 0
	.set _ZN7rocprim17ROCPRIM_400000_NS6detail17trampoline_kernelINS0_14default_configENS1_36segmented_radix_sort_config_selectorI6__halflEEZNS1_25segmented_radix_sort_implIS3_Lb0EPKS5_PS5_PKlPlN2at6native12_GLOBAL__N_18offset_tEEE10hipError_tPvRmT1_PNSt15iterator_traitsISL_E10value_typeET2_T3_PNSM_ISR_E10value_typeET4_jRbjT5_SX_jjP12ihipStream_tbEUlT_E1_NS1_11comp_targetILNS1_3genE10ELNS1_11target_archE1201ELNS1_3gpuE5ELNS1_3repE0EEENS1_59segmented_radix_sort_warp_sort_small_config_static_selectorELNS0_4arch9wavefront6targetE0EEEvSL_.has_dyn_sized_stack, 0
	.set _ZN7rocprim17ROCPRIM_400000_NS6detail17trampoline_kernelINS0_14default_configENS1_36segmented_radix_sort_config_selectorI6__halflEEZNS1_25segmented_radix_sort_implIS3_Lb0EPKS5_PS5_PKlPlN2at6native12_GLOBAL__N_18offset_tEEE10hipError_tPvRmT1_PNSt15iterator_traitsISL_E10value_typeET2_T3_PNSM_ISR_E10value_typeET4_jRbjT5_SX_jjP12ihipStream_tbEUlT_E1_NS1_11comp_targetILNS1_3genE10ELNS1_11target_archE1201ELNS1_3gpuE5ELNS1_3repE0EEENS1_59segmented_radix_sort_warp_sort_small_config_static_selectorELNS0_4arch9wavefront6targetE0EEEvSL_.has_recursion, 0
	.set _ZN7rocprim17ROCPRIM_400000_NS6detail17trampoline_kernelINS0_14default_configENS1_36segmented_radix_sort_config_selectorI6__halflEEZNS1_25segmented_radix_sort_implIS3_Lb0EPKS5_PS5_PKlPlN2at6native12_GLOBAL__N_18offset_tEEE10hipError_tPvRmT1_PNSt15iterator_traitsISL_E10value_typeET2_T3_PNSM_ISR_E10value_typeET4_jRbjT5_SX_jjP12ihipStream_tbEUlT_E1_NS1_11comp_targetILNS1_3genE10ELNS1_11target_archE1201ELNS1_3gpuE5ELNS1_3repE0EEENS1_59segmented_radix_sort_warp_sort_small_config_static_selectorELNS0_4arch9wavefront6targetE0EEEvSL_.has_indirect_call, 0
	.section	.AMDGPU.csdata,"",@progbits
; Kernel info:
; codeLenInByte = 0
; TotalNumSgprs: 0
; NumVgprs: 0
; ScratchSize: 0
; MemoryBound: 0
; FloatMode: 240
; IeeeMode: 1
; LDSByteSize: 0 bytes/workgroup (compile time only)
; SGPRBlocks: 0
; VGPRBlocks: 0
; NumSGPRsForWavesPerEU: 1
; NumVGPRsForWavesPerEU: 1
; Occupancy: 16
; WaveLimiterHint : 0
; COMPUTE_PGM_RSRC2:SCRATCH_EN: 0
; COMPUTE_PGM_RSRC2:USER_SGPR: 6
; COMPUTE_PGM_RSRC2:TRAP_HANDLER: 0
; COMPUTE_PGM_RSRC2:TGID_X_EN: 1
; COMPUTE_PGM_RSRC2:TGID_Y_EN: 0
; COMPUTE_PGM_RSRC2:TGID_Z_EN: 0
; COMPUTE_PGM_RSRC2:TIDIG_COMP_CNT: 0
	.section	.text._ZN7rocprim17ROCPRIM_400000_NS6detail17trampoline_kernelINS0_14default_configENS1_36segmented_radix_sort_config_selectorI6__halflEEZNS1_25segmented_radix_sort_implIS3_Lb0EPKS5_PS5_PKlPlN2at6native12_GLOBAL__N_18offset_tEEE10hipError_tPvRmT1_PNSt15iterator_traitsISL_E10value_typeET2_T3_PNSM_ISR_E10value_typeET4_jRbjT5_SX_jjP12ihipStream_tbEUlT_E1_NS1_11comp_targetILNS1_3genE10ELNS1_11target_archE1200ELNS1_3gpuE4ELNS1_3repE0EEENS1_59segmented_radix_sort_warp_sort_small_config_static_selectorELNS0_4arch9wavefront6targetE0EEEvSL_,"axG",@progbits,_ZN7rocprim17ROCPRIM_400000_NS6detail17trampoline_kernelINS0_14default_configENS1_36segmented_radix_sort_config_selectorI6__halflEEZNS1_25segmented_radix_sort_implIS3_Lb0EPKS5_PS5_PKlPlN2at6native12_GLOBAL__N_18offset_tEEE10hipError_tPvRmT1_PNSt15iterator_traitsISL_E10value_typeET2_T3_PNSM_ISR_E10value_typeET4_jRbjT5_SX_jjP12ihipStream_tbEUlT_E1_NS1_11comp_targetILNS1_3genE10ELNS1_11target_archE1200ELNS1_3gpuE4ELNS1_3repE0EEENS1_59segmented_radix_sort_warp_sort_small_config_static_selectorELNS0_4arch9wavefront6targetE0EEEvSL_,comdat
	.globl	_ZN7rocprim17ROCPRIM_400000_NS6detail17trampoline_kernelINS0_14default_configENS1_36segmented_radix_sort_config_selectorI6__halflEEZNS1_25segmented_radix_sort_implIS3_Lb0EPKS5_PS5_PKlPlN2at6native12_GLOBAL__N_18offset_tEEE10hipError_tPvRmT1_PNSt15iterator_traitsISL_E10value_typeET2_T3_PNSM_ISR_E10value_typeET4_jRbjT5_SX_jjP12ihipStream_tbEUlT_E1_NS1_11comp_targetILNS1_3genE10ELNS1_11target_archE1200ELNS1_3gpuE4ELNS1_3repE0EEENS1_59segmented_radix_sort_warp_sort_small_config_static_selectorELNS0_4arch9wavefront6targetE0EEEvSL_ ; -- Begin function _ZN7rocprim17ROCPRIM_400000_NS6detail17trampoline_kernelINS0_14default_configENS1_36segmented_radix_sort_config_selectorI6__halflEEZNS1_25segmented_radix_sort_implIS3_Lb0EPKS5_PS5_PKlPlN2at6native12_GLOBAL__N_18offset_tEEE10hipError_tPvRmT1_PNSt15iterator_traitsISL_E10value_typeET2_T3_PNSM_ISR_E10value_typeET4_jRbjT5_SX_jjP12ihipStream_tbEUlT_E1_NS1_11comp_targetILNS1_3genE10ELNS1_11target_archE1200ELNS1_3gpuE4ELNS1_3repE0EEENS1_59segmented_radix_sort_warp_sort_small_config_static_selectorELNS0_4arch9wavefront6targetE0EEEvSL_
	.p2align	8
	.type	_ZN7rocprim17ROCPRIM_400000_NS6detail17trampoline_kernelINS0_14default_configENS1_36segmented_radix_sort_config_selectorI6__halflEEZNS1_25segmented_radix_sort_implIS3_Lb0EPKS5_PS5_PKlPlN2at6native12_GLOBAL__N_18offset_tEEE10hipError_tPvRmT1_PNSt15iterator_traitsISL_E10value_typeET2_T3_PNSM_ISR_E10value_typeET4_jRbjT5_SX_jjP12ihipStream_tbEUlT_E1_NS1_11comp_targetILNS1_3genE10ELNS1_11target_archE1200ELNS1_3gpuE4ELNS1_3repE0EEENS1_59segmented_radix_sort_warp_sort_small_config_static_selectorELNS0_4arch9wavefront6targetE0EEEvSL_,@function
_ZN7rocprim17ROCPRIM_400000_NS6detail17trampoline_kernelINS0_14default_configENS1_36segmented_radix_sort_config_selectorI6__halflEEZNS1_25segmented_radix_sort_implIS3_Lb0EPKS5_PS5_PKlPlN2at6native12_GLOBAL__N_18offset_tEEE10hipError_tPvRmT1_PNSt15iterator_traitsISL_E10value_typeET2_T3_PNSM_ISR_E10value_typeET4_jRbjT5_SX_jjP12ihipStream_tbEUlT_E1_NS1_11comp_targetILNS1_3genE10ELNS1_11target_archE1200ELNS1_3gpuE4ELNS1_3repE0EEENS1_59segmented_radix_sort_warp_sort_small_config_static_selectorELNS0_4arch9wavefront6targetE0EEEvSL_: ; @_ZN7rocprim17ROCPRIM_400000_NS6detail17trampoline_kernelINS0_14default_configENS1_36segmented_radix_sort_config_selectorI6__halflEEZNS1_25segmented_radix_sort_implIS3_Lb0EPKS5_PS5_PKlPlN2at6native12_GLOBAL__N_18offset_tEEE10hipError_tPvRmT1_PNSt15iterator_traitsISL_E10value_typeET2_T3_PNSM_ISR_E10value_typeET4_jRbjT5_SX_jjP12ihipStream_tbEUlT_E1_NS1_11comp_targetILNS1_3genE10ELNS1_11target_archE1200ELNS1_3gpuE4ELNS1_3repE0EEENS1_59segmented_radix_sort_warp_sort_small_config_static_selectorELNS0_4arch9wavefront6targetE0EEEvSL_
; %bb.0:
	.section	.rodata,"a",@progbits
	.p2align	6, 0x0
	.amdhsa_kernel _ZN7rocprim17ROCPRIM_400000_NS6detail17trampoline_kernelINS0_14default_configENS1_36segmented_radix_sort_config_selectorI6__halflEEZNS1_25segmented_radix_sort_implIS3_Lb0EPKS5_PS5_PKlPlN2at6native12_GLOBAL__N_18offset_tEEE10hipError_tPvRmT1_PNSt15iterator_traitsISL_E10value_typeET2_T3_PNSM_ISR_E10value_typeET4_jRbjT5_SX_jjP12ihipStream_tbEUlT_E1_NS1_11comp_targetILNS1_3genE10ELNS1_11target_archE1200ELNS1_3gpuE4ELNS1_3repE0EEENS1_59segmented_radix_sort_warp_sort_small_config_static_selectorELNS0_4arch9wavefront6targetE0EEEvSL_
		.amdhsa_group_segment_fixed_size 0
		.amdhsa_private_segment_fixed_size 0
		.amdhsa_kernarg_size 88
		.amdhsa_user_sgpr_count 6
		.amdhsa_user_sgpr_private_segment_buffer 1
		.amdhsa_user_sgpr_dispatch_ptr 0
		.amdhsa_user_sgpr_queue_ptr 0
		.amdhsa_user_sgpr_kernarg_segment_ptr 1
		.amdhsa_user_sgpr_dispatch_id 0
		.amdhsa_user_sgpr_flat_scratch_init 0
		.amdhsa_user_sgpr_private_segment_size 0
		.amdhsa_wavefront_size32 1
		.amdhsa_uses_dynamic_stack 0
		.amdhsa_system_sgpr_private_segment_wavefront_offset 0
		.amdhsa_system_sgpr_workgroup_id_x 1
		.amdhsa_system_sgpr_workgroup_id_y 0
		.amdhsa_system_sgpr_workgroup_id_z 0
		.amdhsa_system_sgpr_workgroup_info 0
		.amdhsa_system_vgpr_workitem_id 0
		.amdhsa_next_free_vgpr 1
		.amdhsa_next_free_sgpr 1
		.amdhsa_reserve_vcc 0
		.amdhsa_reserve_flat_scratch 0
		.amdhsa_float_round_mode_32 0
		.amdhsa_float_round_mode_16_64 0
		.amdhsa_float_denorm_mode_32 3
		.amdhsa_float_denorm_mode_16_64 3
		.amdhsa_dx10_clamp 1
		.amdhsa_ieee_mode 1
		.amdhsa_fp16_overflow 0
		.amdhsa_workgroup_processor_mode 1
		.amdhsa_memory_ordered 1
		.amdhsa_forward_progress 1
		.amdhsa_shared_vgpr_count 0
		.amdhsa_exception_fp_ieee_invalid_op 0
		.amdhsa_exception_fp_denorm_src 0
		.amdhsa_exception_fp_ieee_div_zero 0
		.amdhsa_exception_fp_ieee_overflow 0
		.amdhsa_exception_fp_ieee_underflow 0
		.amdhsa_exception_fp_ieee_inexact 0
		.amdhsa_exception_int_div_zero 0
	.end_amdhsa_kernel
	.section	.text._ZN7rocprim17ROCPRIM_400000_NS6detail17trampoline_kernelINS0_14default_configENS1_36segmented_radix_sort_config_selectorI6__halflEEZNS1_25segmented_radix_sort_implIS3_Lb0EPKS5_PS5_PKlPlN2at6native12_GLOBAL__N_18offset_tEEE10hipError_tPvRmT1_PNSt15iterator_traitsISL_E10value_typeET2_T3_PNSM_ISR_E10value_typeET4_jRbjT5_SX_jjP12ihipStream_tbEUlT_E1_NS1_11comp_targetILNS1_3genE10ELNS1_11target_archE1200ELNS1_3gpuE4ELNS1_3repE0EEENS1_59segmented_radix_sort_warp_sort_small_config_static_selectorELNS0_4arch9wavefront6targetE0EEEvSL_,"axG",@progbits,_ZN7rocprim17ROCPRIM_400000_NS6detail17trampoline_kernelINS0_14default_configENS1_36segmented_radix_sort_config_selectorI6__halflEEZNS1_25segmented_radix_sort_implIS3_Lb0EPKS5_PS5_PKlPlN2at6native12_GLOBAL__N_18offset_tEEE10hipError_tPvRmT1_PNSt15iterator_traitsISL_E10value_typeET2_T3_PNSM_ISR_E10value_typeET4_jRbjT5_SX_jjP12ihipStream_tbEUlT_E1_NS1_11comp_targetILNS1_3genE10ELNS1_11target_archE1200ELNS1_3gpuE4ELNS1_3repE0EEENS1_59segmented_radix_sort_warp_sort_small_config_static_selectorELNS0_4arch9wavefront6targetE0EEEvSL_,comdat
.Lfunc_end1858:
	.size	_ZN7rocprim17ROCPRIM_400000_NS6detail17trampoline_kernelINS0_14default_configENS1_36segmented_radix_sort_config_selectorI6__halflEEZNS1_25segmented_radix_sort_implIS3_Lb0EPKS5_PS5_PKlPlN2at6native12_GLOBAL__N_18offset_tEEE10hipError_tPvRmT1_PNSt15iterator_traitsISL_E10value_typeET2_T3_PNSM_ISR_E10value_typeET4_jRbjT5_SX_jjP12ihipStream_tbEUlT_E1_NS1_11comp_targetILNS1_3genE10ELNS1_11target_archE1200ELNS1_3gpuE4ELNS1_3repE0EEENS1_59segmented_radix_sort_warp_sort_small_config_static_selectorELNS0_4arch9wavefront6targetE0EEEvSL_, .Lfunc_end1858-_ZN7rocprim17ROCPRIM_400000_NS6detail17trampoline_kernelINS0_14default_configENS1_36segmented_radix_sort_config_selectorI6__halflEEZNS1_25segmented_radix_sort_implIS3_Lb0EPKS5_PS5_PKlPlN2at6native12_GLOBAL__N_18offset_tEEE10hipError_tPvRmT1_PNSt15iterator_traitsISL_E10value_typeET2_T3_PNSM_ISR_E10value_typeET4_jRbjT5_SX_jjP12ihipStream_tbEUlT_E1_NS1_11comp_targetILNS1_3genE10ELNS1_11target_archE1200ELNS1_3gpuE4ELNS1_3repE0EEENS1_59segmented_radix_sort_warp_sort_small_config_static_selectorELNS0_4arch9wavefront6targetE0EEEvSL_
                                        ; -- End function
	.set _ZN7rocprim17ROCPRIM_400000_NS6detail17trampoline_kernelINS0_14default_configENS1_36segmented_radix_sort_config_selectorI6__halflEEZNS1_25segmented_radix_sort_implIS3_Lb0EPKS5_PS5_PKlPlN2at6native12_GLOBAL__N_18offset_tEEE10hipError_tPvRmT1_PNSt15iterator_traitsISL_E10value_typeET2_T3_PNSM_ISR_E10value_typeET4_jRbjT5_SX_jjP12ihipStream_tbEUlT_E1_NS1_11comp_targetILNS1_3genE10ELNS1_11target_archE1200ELNS1_3gpuE4ELNS1_3repE0EEENS1_59segmented_radix_sort_warp_sort_small_config_static_selectorELNS0_4arch9wavefront6targetE0EEEvSL_.num_vgpr, 0
	.set _ZN7rocprim17ROCPRIM_400000_NS6detail17trampoline_kernelINS0_14default_configENS1_36segmented_radix_sort_config_selectorI6__halflEEZNS1_25segmented_radix_sort_implIS3_Lb0EPKS5_PS5_PKlPlN2at6native12_GLOBAL__N_18offset_tEEE10hipError_tPvRmT1_PNSt15iterator_traitsISL_E10value_typeET2_T3_PNSM_ISR_E10value_typeET4_jRbjT5_SX_jjP12ihipStream_tbEUlT_E1_NS1_11comp_targetILNS1_3genE10ELNS1_11target_archE1200ELNS1_3gpuE4ELNS1_3repE0EEENS1_59segmented_radix_sort_warp_sort_small_config_static_selectorELNS0_4arch9wavefront6targetE0EEEvSL_.num_agpr, 0
	.set _ZN7rocprim17ROCPRIM_400000_NS6detail17trampoline_kernelINS0_14default_configENS1_36segmented_radix_sort_config_selectorI6__halflEEZNS1_25segmented_radix_sort_implIS3_Lb0EPKS5_PS5_PKlPlN2at6native12_GLOBAL__N_18offset_tEEE10hipError_tPvRmT1_PNSt15iterator_traitsISL_E10value_typeET2_T3_PNSM_ISR_E10value_typeET4_jRbjT5_SX_jjP12ihipStream_tbEUlT_E1_NS1_11comp_targetILNS1_3genE10ELNS1_11target_archE1200ELNS1_3gpuE4ELNS1_3repE0EEENS1_59segmented_radix_sort_warp_sort_small_config_static_selectorELNS0_4arch9wavefront6targetE0EEEvSL_.numbered_sgpr, 0
	.set _ZN7rocprim17ROCPRIM_400000_NS6detail17trampoline_kernelINS0_14default_configENS1_36segmented_radix_sort_config_selectorI6__halflEEZNS1_25segmented_radix_sort_implIS3_Lb0EPKS5_PS5_PKlPlN2at6native12_GLOBAL__N_18offset_tEEE10hipError_tPvRmT1_PNSt15iterator_traitsISL_E10value_typeET2_T3_PNSM_ISR_E10value_typeET4_jRbjT5_SX_jjP12ihipStream_tbEUlT_E1_NS1_11comp_targetILNS1_3genE10ELNS1_11target_archE1200ELNS1_3gpuE4ELNS1_3repE0EEENS1_59segmented_radix_sort_warp_sort_small_config_static_selectorELNS0_4arch9wavefront6targetE0EEEvSL_.num_named_barrier, 0
	.set _ZN7rocprim17ROCPRIM_400000_NS6detail17trampoline_kernelINS0_14default_configENS1_36segmented_radix_sort_config_selectorI6__halflEEZNS1_25segmented_radix_sort_implIS3_Lb0EPKS5_PS5_PKlPlN2at6native12_GLOBAL__N_18offset_tEEE10hipError_tPvRmT1_PNSt15iterator_traitsISL_E10value_typeET2_T3_PNSM_ISR_E10value_typeET4_jRbjT5_SX_jjP12ihipStream_tbEUlT_E1_NS1_11comp_targetILNS1_3genE10ELNS1_11target_archE1200ELNS1_3gpuE4ELNS1_3repE0EEENS1_59segmented_radix_sort_warp_sort_small_config_static_selectorELNS0_4arch9wavefront6targetE0EEEvSL_.private_seg_size, 0
	.set _ZN7rocprim17ROCPRIM_400000_NS6detail17trampoline_kernelINS0_14default_configENS1_36segmented_radix_sort_config_selectorI6__halflEEZNS1_25segmented_radix_sort_implIS3_Lb0EPKS5_PS5_PKlPlN2at6native12_GLOBAL__N_18offset_tEEE10hipError_tPvRmT1_PNSt15iterator_traitsISL_E10value_typeET2_T3_PNSM_ISR_E10value_typeET4_jRbjT5_SX_jjP12ihipStream_tbEUlT_E1_NS1_11comp_targetILNS1_3genE10ELNS1_11target_archE1200ELNS1_3gpuE4ELNS1_3repE0EEENS1_59segmented_radix_sort_warp_sort_small_config_static_selectorELNS0_4arch9wavefront6targetE0EEEvSL_.uses_vcc, 0
	.set _ZN7rocprim17ROCPRIM_400000_NS6detail17trampoline_kernelINS0_14default_configENS1_36segmented_radix_sort_config_selectorI6__halflEEZNS1_25segmented_radix_sort_implIS3_Lb0EPKS5_PS5_PKlPlN2at6native12_GLOBAL__N_18offset_tEEE10hipError_tPvRmT1_PNSt15iterator_traitsISL_E10value_typeET2_T3_PNSM_ISR_E10value_typeET4_jRbjT5_SX_jjP12ihipStream_tbEUlT_E1_NS1_11comp_targetILNS1_3genE10ELNS1_11target_archE1200ELNS1_3gpuE4ELNS1_3repE0EEENS1_59segmented_radix_sort_warp_sort_small_config_static_selectorELNS0_4arch9wavefront6targetE0EEEvSL_.uses_flat_scratch, 0
	.set _ZN7rocprim17ROCPRIM_400000_NS6detail17trampoline_kernelINS0_14default_configENS1_36segmented_radix_sort_config_selectorI6__halflEEZNS1_25segmented_radix_sort_implIS3_Lb0EPKS5_PS5_PKlPlN2at6native12_GLOBAL__N_18offset_tEEE10hipError_tPvRmT1_PNSt15iterator_traitsISL_E10value_typeET2_T3_PNSM_ISR_E10value_typeET4_jRbjT5_SX_jjP12ihipStream_tbEUlT_E1_NS1_11comp_targetILNS1_3genE10ELNS1_11target_archE1200ELNS1_3gpuE4ELNS1_3repE0EEENS1_59segmented_radix_sort_warp_sort_small_config_static_selectorELNS0_4arch9wavefront6targetE0EEEvSL_.has_dyn_sized_stack, 0
	.set _ZN7rocprim17ROCPRIM_400000_NS6detail17trampoline_kernelINS0_14default_configENS1_36segmented_radix_sort_config_selectorI6__halflEEZNS1_25segmented_radix_sort_implIS3_Lb0EPKS5_PS5_PKlPlN2at6native12_GLOBAL__N_18offset_tEEE10hipError_tPvRmT1_PNSt15iterator_traitsISL_E10value_typeET2_T3_PNSM_ISR_E10value_typeET4_jRbjT5_SX_jjP12ihipStream_tbEUlT_E1_NS1_11comp_targetILNS1_3genE10ELNS1_11target_archE1200ELNS1_3gpuE4ELNS1_3repE0EEENS1_59segmented_radix_sort_warp_sort_small_config_static_selectorELNS0_4arch9wavefront6targetE0EEEvSL_.has_recursion, 0
	.set _ZN7rocprim17ROCPRIM_400000_NS6detail17trampoline_kernelINS0_14default_configENS1_36segmented_radix_sort_config_selectorI6__halflEEZNS1_25segmented_radix_sort_implIS3_Lb0EPKS5_PS5_PKlPlN2at6native12_GLOBAL__N_18offset_tEEE10hipError_tPvRmT1_PNSt15iterator_traitsISL_E10value_typeET2_T3_PNSM_ISR_E10value_typeET4_jRbjT5_SX_jjP12ihipStream_tbEUlT_E1_NS1_11comp_targetILNS1_3genE10ELNS1_11target_archE1200ELNS1_3gpuE4ELNS1_3repE0EEENS1_59segmented_radix_sort_warp_sort_small_config_static_selectorELNS0_4arch9wavefront6targetE0EEEvSL_.has_indirect_call, 0
	.section	.AMDGPU.csdata,"",@progbits
; Kernel info:
; codeLenInByte = 0
; TotalNumSgprs: 0
; NumVgprs: 0
; ScratchSize: 0
; MemoryBound: 0
; FloatMode: 240
; IeeeMode: 1
; LDSByteSize: 0 bytes/workgroup (compile time only)
; SGPRBlocks: 0
; VGPRBlocks: 0
; NumSGPRsForWavesPerEU: 1
; NumVGPRsForWavesPerEU: 1
; Occupancy: 16
; WaveLimiterHint : 0
; COMPUTE_PGM_RSRC2:SCRATCH_EN: 0
; COMPUTE_PGM_RSRC2:USER_SGPR: 6
; COMPUTE_PGM_RSRC2:TRAP_HANDLER: 0
; COMPUTE_PGM_RSRC2:TGID_X_EN: 1
; COMPUTE_PGM_RSRC2:TGID_Y_EN: 0
; COMPUTE_PGM_RSRC2:TGID_Z_EN: 0
; COMPUTE_PGM_RSRC2:TIDIG_COMP_CNT: 0
	.section	.text._ZN7rocprim17ROCPRIM_400000_NS6detail17trampoline_kernelINS0_14default_configENS1_36segmented_radix_sort_config_selectorI6__halflEEZNS1_25segmented_radix_sort_implIS3_Lb0EPKS5_PS5_PKlPlN2at6native12_GLOBAL__N_18offset_tEEE10hipError_tPvRmT1_PNSt15iterator_traitsISL_E10value_typeET2_T3_PNSM_ISR_E10value_typeET4_jRbjT5_SX_jjP12ihipStream_tbEUlT_E1_NS1_11comp_targetILNS1_3genE9ELNS1_11target_archE1100ELNS1_3gpuE3ELNS1_3repE0EEENS1_59segmented_radix_sort_warp_sort_small_config_static_selectorELNS0_4arch9wavefront6targetE0EEEvSL_,"axG",@progbits,_ZN7rocprim17ROCPRIM_400000_NS6detail17trampoline_kernelINS0_14default_configENS1_36segmented_radix_sort_config_selectorI6__halflEEZNS1_25segmented_radix_sort_implIS3_Lb0EPKS5_PS5_PKlPlN2at6native12_GLOBAL__N_18offset_tEEE10hipError_tPvRmT1_PNSt15iterator_traitsISL_E10value_typeET2_T3_PNSM_ISR_E10value_typeET4_jRbjT5_SX_jjP12ihipStream_tbEUlT_E1_NS1_11comp_targetILNS1_3genE9ELNS1_11target_archE1100ELNS1_3gpuE3ELNS1_3repE0EEENS1_59segmented_radix_sort_warp_sort_small_config_static_selectorELNS0_4arch9wavefront6targetE0EEEvSL_,comdat
	.globl	_ZN7rocprim17ROCPRIM_400000_NS6detail17trampoline_kernelINS0_14default_configENS1_36segmented_radix_sort_config_selectorI6__halflEEZNS1_25segmented_radix_sort_implIS3_Lb0EPKS5_PS5_PKlPlN2at6native12_GLOBAL__N_18offset_tEEE10hipError_tPvRmT1_PNSt15iterator_traitsISL_E10value_typeET2_T3_PNSM_ISR_E10value_typeET4_jRbjT5_SX_jjP12ihipStream_tbEUlT_E1_NS1_11comp_targetILNS1_3genE9ELNS1_11target_archE1100ELNS1_3gpuE3ELNS1_3repE0EEENS1_59segmented_radix_sort_warp_sort_small_config_static_selectorELNS0_4arch9wavefront6targetE0EEEvSL_ ; -- Begin function _ZN7rocprim17ROCPRIM_400000_NS6detail17trampoline_kernelINS0_14default_configENS1_36segmented_radix_sort_config_selectorI6__halflEEZNS1_25segmented_radix_sort_implIS3_Lb0EPKS5_PS5_PKlPlN2at6native12_GLOBAL__N_18offset_tEEE10hipError_tPvRmT1_PNSt15iterator_traitsISL_E10value_typeET2_T3_PNSM_ISR_E10value_typeET4_jRbjT5_SX_jjP12ihipStream_tbEUlT_E1_NS1_11comp_targetILNS1_3genE9ELNS1_11target_archE1100ELNS1_3gpuE3ELNS1_3repE0EEENS1_59segmented_radix_sort_warp_sort_small_config_static_selectorELNS0_4arch9wavefront6targetE0EEEvSL_
	.p2align	8
	.type	_ZN7rocprim17ROCPRIM_400000_NS6detail17trampoline_kernelINS0_14default_configENS1_36segmented_radix_sort_config_selectorI6__halflEEZNS1_25segmented_radix_sort_implIS3_Lb0EPKS5_PS5_PKlPlN2at6native12_GLOBAL__N_18offset_tEEE10hipError_tPvRmT1_PNSt15iterator_traitsISL_E10value_typeET2_T3_PNSM_ISR_E10value_typeET4_jRbjT5_SX_jjP12ihipStream_tbEUlT_E1_NS1_11comp_targetILNS1_3genE9ELNS1_11target_archE1100ELNS1_3gpuE3ELNS1_3repE0EEENS1_59segmented_radix_sort_warp_sort_small_config_static_selectorELNS0_4arch9wavefront6targetE0EEEvSL_,@function
_ZN7rocprim17ROCPRIM_400000_NS6detail17trampoline_kernelINS0_14default_configENS1_36segmented_radix_sort_config_selectorI6__halflEEZNS1_25segmented_radix_sort_implIS3_Lb0EPKS5_PS5_PKlPlN2at6native12_GLOBAL__N_18offset_tEEE10hipError_tPvRmT1_PNSt15iterator_traitsISL_E10value_typeET2_T3_PNSM_ISR_E10value_typeET4_jRbjT5_SX_jjP12ihipStream_tbEUlT_E1_NS1_11comp_targetILNS1_3genE9ELNS1_11target_archE1100ELNS1_3gpuE3ELNS1_3repE0EEENS1_59segmented_radix_sort_warp_sort_small_config_static_selectorELNS0_4arch9wavefront6targetE0EEEvSL_: ; @_ZN7rocprim17ROCPRIM_400000_NS6detail17trampoline_kernelINS0_14default_configENS1_36segmented_radix_sort_config_selectorI6__halflEEZNS1_25segmented_radix_sort_implIS3_Lb0EPKS5_PS5_PKlPlN2at6native12_GLOBAL__N_18offset_tEEE10hipError_tPvRmT1_PNSt15iterator_traitsISL_E10value_typeET2_T3_PNSM_ISR_E10value_typeET4_jRbjT5_SX_jjP12ihipStream_tbEUlT_E1_NS1_11comp_targetILNS1_3genE9ELNS1_11target_archE1100ELNS1_3gpuE3ELNS1_3repE0EEENS1_59segmented_radix_sort_warp_sort_small_config_static_selectorELNS0_4arch9wavefront6targetE0EEEvSL_
; %bb.0:
	.section	.rodata,"a",@progbits
	.p2align	6, 0x0
	.amdhsa_kernel _ZN7rocprim17ROCPRIM_400000_NS6detail17trampoline_kernelINS0_14default_configENS1_36segmented_radix_sort_config_selectorI6__halflEEZNS1_25segmented_radix_sort_implIS3_Lb0EPKS5_PS5_PKlPlN2at6native12_GLOBAL__N_18offset_tEEE10hipError_tPvRmT1_PNSt15iterator_traitsISL_E10value_typeET2_T3_PNSM_ISR_E10value_typeET4_jRbjT5_SX_jjP12ihipStream_tbEUlT_E1_NS1_11comp_targetILNS1_3genE9ELNS1_11target_archE1100ELNS1_3gpuE3ELNS1_3repE0EEENS1_59segmented_radix_sort_warp_sort_small_config_static_selectorELNS0_4arch9wavefront6targetE0EEEvSL_
		.amdhsa_group_segment_fixed_size 0
		.amdhsa_private_segment_fixed_size 0
		.amdhsa_kernarg_size 88
		.amdhsa_user_sgpr_count 6
		.amdhsa_user_sgpr_private_segment_buffer 1
		.amdhsa_user_sgpr_dispatch_ptr 0
		.amdhsa_user_sgpr_queue_ptr 0
		.amdhsa_user_sgpr_kernarg_segment_ptr 1
		.amdhsa_user_sgpr_dispatch_id 0
		.amdhsa_user_sgpr_flat_scratch_init 0
		.amdhsa_user_sgpr_private_segment_size 0
		.amdhsa_wavefront_size32 1
		.amdhsa_uses_dynamic_stack 0
		.amdhsa_system_sgpr_private_segment_wavefront_offset 0
		.amdhsa_system_sgpr_workgroup_id_x 1
		.amdhsa_system_sgpr_workgroup_id_y 0
		.amdhsa_system_sgpr_workgroup_id_z 0
		.amdhsa_system_sgpr_workgroup_info 0
		.amdhsa_system_vgpr_workitem_id 0
		.amdhsa_next_free_vgpr 1
		.amdhsa_next_free_sgpr 1
		.amdhsa_reserve_vcc 0
		.amdhsa_reserve_flat_scratch 0
		.amdhsa_float_round_mode_32 0
		.amdhsa_float_round_mode_16_64 0
		.amdhsa_float_denorm_mode_32 3
		.amdhsa_float_denorm_mode_16_64 3
		.amdhsa_dx10_clamp 1
		.amdhsa_ieee_mode 1
		.amdhsa_fp16_overflow 0
		.amdhsa_workgroup_processor_mode 1
		.amdhsa_memory_ordered 1
		.amdhsa_forward_progress 1
		.amdhsa_shared_vgpr_count 0
		.amdhsa_exception_fp_ieee_invalid_op 0
		.amdhsa_exception_fp_denorm_src 0
		.amdhsa_exception_fp_ieee_div_zero 0
		.amdhsa_exception_fp_ieee_overflow 0
		.amdhsa_exception_fp_ieee_underflow 0
		.amdhsa_exception_fp_ieee_inexact 0
		.amdhsa_exception_int_div_zero 0
	.end_amdhsa_kernel
	.section	.text._ZN7rocprim17ROCPRIM_400000_NS6detail17trampoline_kernelINS0_14default_configENS1_36segmented_radix_sort_config_selectorI6__halflEEZNS1_25segmented_radix_sort_implIS3_Lb0EPKS5_PS5_PKlPlN2at6native12_GLOBAL__N_18offset_tEEE10hipError_tPvRmT1_PNSt15iterator_traitsISL_E10value_typeET2_T3_PNSM_ISR_E10value_typeET4_jRbjT5_SX_jjP12ihipStream_tbEUlT_E1_NS1_11comp_targetILNS1_3genE9ELNS1_11target_archE1100ELNS1_3gpuE3ELNS1_3repE0EEENS1_59segmented_radix_sort_warp_sort_small_config_static_selectorELNS0_4arch9wavefront6targetE0EEEvSL_,"axG",@progbits,_ZN7rocprim17ROCPRIM_400000_NS6detail17trampoline_kernelINS0_14default_configENS1_36segmented_radix_sort_config_selectorI6__halflEEZNS1_25segmented_radix_sort_implIS3_Lb0EPKS5_PS5_PKlPlN2at6native12_GLOBAL__N_18offset_tEEE10hipError_tPvRmT1_PNSt15iterator_traitsISL_E10value_typeET2_T3_PNSM_ISR_E10value_typeET4_jRbjT5_SX_jjP12ihipStream_tbEUlT_E1_NS1_11comp_targetILNS1_3genE9ELNS1_11target_archE1100ELNS1_3gpuE3ELNS1_3repE0EEENS1_59segmented_radix_sort_warp_sort_small_config_static_selectorELNS0_4arch9wavefront6targetE0EEEvSL_,comdat
.Lfunc_end1859:
	.size	_ZN7rocprim17ROCPRIM_400000_NS6detail17trampoline_kernelINS0_14default_configENS1_36segmented_radix_sort_config_selectorI6__halflEEZNS1_25segmented_radix_sort_implIS3_Lb0EPKS5_PS5_PKlPlN2at6native12_GLOBAL__N_18offset_tEEE10hipError_tPvRmT1_PNSt15iterator_traitsISL_E10value_typeET2_T3_PNSM_ISR_E10value_typeET4_jRbjT5_SX_jjP12ihipStream_tbEUlT_E1_NS1_11comp_targetILNS1_3genE9ELNS1_11target_archE1100ELNS1_3gpuE3ELNS1_3repE0EEENS1_59segmented_radix_sort_warp_sort_small_config_static_selectorELNS0_4arch9wavefront6targetE0EEEvSL_, .Lfunc_end1859-_ZN7rocprim17ROCPRIM_400000_NS6detail17trampoline_kernelINS0_14default_configENS1_36segmented_radix_sort_config_selectorI6__halflEEZNS1_25segmented_radix_sort_implIS3_Lb0EPKS5_PS5_PKlPlN2at6native12_GLOBAL__N_18offset_tEEE10hipError_tPvRmT1_PNSt15iterator_traitsISL_E10value_typeET2_T3_PNSM_ISR_E10value_typeET4_jRbjT5_SX_jjP12ihipStream_tbEUlT_E1_NS1_11comp_targetILNS1_3genE9ELNS1_11target_archE1100ELNS1_3gpuE3ELNS1_3repE0EEENS1_59segmented_radix_sort_warp_sort_small_config_static_selectorELNS0_4arch9wavefront6targetE0EEEvSL_
                                        ; -- End function
	.set _ZN7rocprim17ROCPRIM_400000_NS6detail17trampoline_kernelINS0_14default_configENS1_36segmented_radix_sort_config_selectorI6__halflEEZNS1_25segmented_radix_sort_implIS3_Lb0EPKS5_PS5_PKlPlN2at6native12_GLOBAL__N_18offset_tEEE10hipError_tPvRmT1_PNSt15iterator_traitsISL_E10value_typeET2_T3_PNSM_ISR_E10value_typeET4_jRbjT5_SX_jjP12ihipStream_tbEUlT_E1_NS1_11comp_targetILNS1_3genE9ELNS1_11target_archE1100ELNS1_3gpuE3ELNS1_3repE0EEENS1_59segmented_radix_sort_warp_sort_small_config_static_selectorELNS0_4arch9wavefront6targetE0EEEvSL_.num_vgpr, 0
	.set _ZN7rocprim17ROCPRIM_400000_NS6detail17trampoline_kernelINS0_14default_configENS1_36segmented_radix_sort_config_selectorI6__halflEEZNS1_25segmented_radix_sort_implIS3_Lb0EPKS5_PS5_PKlPlN2at6native12_GLOBAL__N_18offset_tEEE10hipError_tPvRmT1_PNSt15iterator_traitsISL_E10value_typeET2_T3_PNSM_ISR_E10value_typeET4_jRbjT5_SX_jjP12ihipStream_tbEUlT_E1_NS1_11comp_targetILNS1_3genE9ELNS1_11target_archE1100ELNS1_3gpuE3ELNS1_3repE0EEENS1_59segmented_radix_sort_warp_sort_small_config_static_selectorELNS0_4arch9wavefront6targetE0EEEvSL_.num_agpr, 0
	.set _ZN7rocprim17ROCPRIM_400000_NS6detail17trampoline_kernelINS0_14default_configENS1_36segmented_radix_sort_config_selectorI6__halflEEZNS1_25segmented_radix_sort_implIS3_Lb0EPKS5_PS5_PKlPlN2at6native12_GLOBAL__N_18offset_tEEE10hipError_tPvRmT1_PNSt15iterator_traitsISL_E10value_typeET2_T3_PNSM_ISR_E10value_typeET4_jRbjT5_SX_jjP12ihipStream_tbEUlT_E1_NS1_11comp_targetILNS1_3genE9ELNS1_11target_archE1100ELNS1_3gpuE3ELNS1_3repE0EEENS1_59segmented_radix_sort_warp_sort_small_config_static_selectorELNS0_4arch9wavefront6targetE0EEEvSL_.numbered_sgpr, 0
	.set _ZN7rocprim17ROCPRIM_400000_NS6detail17trampoline_kernelINS0_14default_configENS1_36segmented_radix_sort_config_selectorI6__halflEEZNS1_25segmented_radix_sort_implIS3_Lb0EPKS5_PS5_PKlPlN2at6native12_GLOBAL__N_18offset_tEEE10hipError_tPvRmT1_PNSt15iterator_traitsISL_E10value_typeET2_T3_PNSM_ISR_E10value_typeET4_jRbjT5_SX_jjP12ihipStream_tbEUlT_E1_NS1_11comp_targetILNS1_3genE9ELNS1_11target_archE1100ELNS1_3gpuE3ELNS1_3repE0EEENS1_59segmented_radix_sort_warp_sort_small_config_static_selectorELNS0_4arch9wavefront6targetE0EEEvSL_.num_named_barrier, 0
	.set _ZN7rocprim17ROCPRIM_400000_NS6detail17trampoline_kernelINS0_14default_configENS1_36segmented_radix_sort_config_selectorI6__halflEEZNS1_25segmented_radix_sort_implIS3_Lb0EPKS5_PS5_PKlPlN2at6native12_GLOBAL__N_18offset_tEEE10hipError_tPvRmT1_PNSt15iterator_traitsISL_E10value_typeET2_T3_PNSM_ISR_E10value_typeET4_jRbjT5_SX_jjP12ihipStream_tbEUlT_E1_NS1_11comp_targetILNS1_3genE9ELNS1_11target_archE1100ELNS1_3gpuE3ELNS1_3repE0EEENS1_59segmented_radix_sort_warp_sort_small_config_static_selectorELNS0_4arch9wavefront6targetE0EEEvSL_.private_seg_size, 0
	.set _ZN7rocprim17ROCPRIM_400000_NS6detail17trampoline_kernelINS0_14default_configENS1_36segmented_radix_sort_config_selectorI6__halflEEZNS1_25segmented_radix_sort_implIS3_Lb0EPKS5_PS5_PKlPlN2at6native12_GLOBAL__N_18offset_tEEE10hipError_tPvRmT1_PNSt15iterator_traitsISL_E10value_typeET2_T3_PNSM_ISR_E10value_typeET4_jRbjT5_SX_jjP12ihipStream_tbEUlT_E1_NS1_11comp_targetILNS1_3genE9ELNS1_11target_archE1100ELNS1_3gpuE3ELNS1_3repE0EEENS1_59segmented_radix_sort_warp_sort_small_config_static_selectorELNS0_4arch9wavefront6targetE0EEEvSL_.uses_vcc, 0
	.set _ZN7rocprim17ROCPRIM_400000_NS6detail17trampoline_kernelINS0_14default_configENS1_36segmented_radix_sort_config_selectorI6__halflEEZNS1_25segmented_radix_sort_implIS3_Lb0EPKS5_PS5_PKlPlN2at6native12_GLOBAL__N_18offset_tEEE10hipError_tPvRmT1_PNSt15iterator_traitsISL_E10value_typeET2_T3_PNSM_ISR_E10value_typeET4_jRbjT5_SX_jjP12ihipStream_tbEUlT_E1_NS1_11comp_targetILNS1_3genE9ELNS1_11target_archE1100ELNS1_3gpuE3ELNS1_3repE0EEENS1_59segmented_radix_sort_warp_sort_small_config_static_selectorELNS0_4arch9wavefront6targetE0EEEvSL_.uses_flat_scratch, 0
	.set _ZN7rocprim17ROCPRIM_400000_NS6detail17trampoline_kernelINS0_14default_configENS1_36segmented_radix_sort_config_selectorI6__halflEEZNS1_25segmented_radix_sort_implIS3_Lb0EPKS5_PS5_PKlPlN2at6native12_GLOBAL__N_18offset_tEEE10hipError_tPvRmT1_PNSt15iterator_traitsISL_E10value_typeET2_T3_PNSM_ISR_E10value_typeET4_jRbjT5_SX_jjP12ihipStream_tbEUlT_E1_NS1_11comp_targetILNS1_3genE9ELNS1_11target_archE1100ELNS1_3gpuE3ELNS1_3repE0EEENS1_59segmented_radix_sort_warp_sort_small_config_static_selectorELNS0_4arch9wavefront6targetE0EEEvSL_.has_dyn_sized_stack, 0
	.set _ZN7rocprim17ROCPRIM_400000_NS6detail17trampoline_kernelINS0_14default_configENS1_36segmented_radix_sort_config_selectorI6__halflEEZNS1_25segmented_radix_sort_implIS3_Lb0EPKS5_PS5_PKlPlN2at6native12_GLOBAL__N_18offset_tEEE10hipError_tPvRmT1_PNSt15iterator_traitsISL_E10value_typeET2_T3_PNSM_ISR_E10value_typeET4_jRbjT5_SX_jjP12ihipStream_tbEUlT_E1_NS1_11comp_targetILNS1_3genE9ELNS1_11target_archE1100ELNS1_3gpuE3ELNS1_3repE0EEENS1_59segmented_radix_sort_warp_sort_small_config_static_selectorELNS0_4arch9wavefront6targetE0EEEvSL_.has_recursion, 0
	.set _ZN7rocprim17ROCPRIM_400000_NS6detail17trampoline_kernelINS0_14default_configENS1_36segmented_radix_sort_config_selectorI6__halflEEZNS1_25segmented_radix_sort_implIS3_Lb0EPKS5_PS5_PKlPlN2at6native12_GLOBAL__N_18offset_tEEE10hipError_tPvRmT1_PNSt15iterator_traitsISL_E10value_typeET2_T3_PNSM_ISR_E10value_typeET4_jRbjT5_SX_jjP12ihipStream_tbEUlT_E1_NS1_11comp_targetILNS1_3genE9ELNS1_11target_archE1100ELNS1_3gpuE3ELNS1_3repE0EEENS1_59segmented_radix_sort_warp_sort_small_config_static_selectorELNS0_4arch9wavefront6targetE0EEEvSL_.has_indirect_call, 0
	.section	.AMDGPU.csdata,"",@progbits
; Kernel info:
; codeLenInByte = 0
; TotalNumSgprs: 0
; NumVgprs: 0
; ScratchSize: 0
; MemoryBound: 0
; FloatMode: 240
; IeeeMode: 1
; LDSByteSize: 0 bytes/workgroup (compile time only)
; SGPRBlocks: 0
; VGPRBlocks: 0
; NumSGPRsForWavesPerEU: 1
; NumVGPRsForWavesPerEU: 1
; Occupancy: 16
; WaveLimiterHint : 0
; COMPUTE_PGM_RSRC2:SCRATCH_EN: 0
; COMPUTE_PGM_RSRC2:USER_SGPR: 6
; COMPUTE_PGM_RSRC2:TRAP_HANDLER: 0
; COMPUTE_PGM_RSRC2:TGID_X_EN: 1
; COMPUTE_PGM_RSRC2:TGID_Y_EN: 0
; COMPUTE_PGM_RSRC2:TGID_Z_EN: 0
; COMPUTE_PGM_RSRC2:TIDIG_COMP_CNT: 0
	.text
	.p2align	2                               ; -- Begin function _ZN7rocprim17ROCPRIM_400000_NS6detail26segmented_warp_sort_helperINS1_20WarpSortHelperConfigILj8ELj4ELj256EEE6__halflLi256ELb0EvE4sortIPKS5_PS5_PKlPlEEvT_SA_T0_T1_SD_T2_bjjjjRNS6_12storage_typeE
	.type	_ZN7rocprim17ROCPRIM_400000_NS6detail26segmented_warp_sort_helperINS1_20WarpSortHelperConfigILj8ELj4ELj256EEE6__halflLi256ELb0EvE4sortIPKS5_PS5_PKlPlEEvT_SA_T0_T1_SD_T2_bjjjjRNS6_12storage_typeE,@function
_ZN7rocprim17ROCPRIM_400000_NS6detail26segmented_warp_sort_helperINS1_20WarpSortHelperConfigILj8ELj4ELj256EEE6__halflLi256ELb0EvE4sortIPKS5_PS5_PKlPlEEvT_SA_T0_T1_SD_T2_bjjjjRNS6_12storage_typeE: ; @_ZN7rocprim17ROCPRIM_400000_NS6detail26segmented_warp_sort_helperINS1_20WarpSortHelperConfigILj8ELj4ELj256EEE6__halflLi256ELb0EvE4sortIPKS5_PS5_PKlPlEEvT_SA_T0_T1_SD_T2_bjjjjRNS6_12storage_typeE
; %bb.0:
	s_waitcnt vmcnt(0) expcnt(0) lgkmcnt(0)
	v_mov_b32_e32 v16, v14
	v_mbcnt_lo_u32_b32 v14, -1, 0
	v_and_b32_e32 v17, 1, v12
	s_mov_b32 s10, 0
	v_sub_nc_u32_e32 v24, v16, v13
	v_lshlrev_b32_e32 v35, 2, v14
	v_mov_b32_e32 v14, 0
	v_cmp_ne_u32_e64 s4, 1, v17
                                        ; implicit-def: $vgpr16_vgpr17_vgpr18_vgpr19_vgpr20_vgpr21_vgpr22_vgpr23
	v_and_b32_e32 v12, 28, v35
	v_lshlrev_b64 v[32:33], 1, v[13:14]
	v_lshlrev_b32_e32 v34, 1, v12
	v_add_co_u32 v0, vcc_lo, v0, v32
	v_add_co_ci_u32_e64 v1, null, v1, v33, vcc_lo
	v_add_co_u32 v0, vcc_lo, v0, v34
	v_add_co_ci_u32_e64 v1, null, 0, v1, vcc_lo
	v_cmp_lt_u32_e32 vcc_lo, v12, v24
	s_and_saveexec_b32 s5, s4
	s_xor_b32 s11, exec_lo, s5
	s_cbranch_execnz .LBB1860_4
; %bb.1:
	s_andn2_saveexec_b32 s11, s11
	s_cbranch_execnz .LBB1860_109
.LBB1860_2:
	s_or_b32 exec_lo, exec_lo, s11
	s_and_saveexec_b32 s4, s10
	s_cbranch_execnz .LBB1860_214
.LBB1860_3:
	s_or_b32 exec_lo, exec_lo, s4
	s_waitcnt lgkmcnt(0)
	s_setpc_b64 s[30:31]
.LBB1860_4:
	v_mov_b32_e32 v36, 0x7fff
	v_mov_b32_e32 v37, 0x7fff
	s_and_saveexec_b32 s4, vcc_lo
	s_cbranch_execz .LBB1860_6
; %bb.5:
	flat_load_ushort v37, v[0:1]
.LBB1860_6:
	s_or_b32 exec_lo, exec_lo, s4
	v_or_b32_e32 v4, 1, v12
	v_cmp_lt_u32_e64 s4, v4, v24
	s_and_saveexec_b32 s5, s4
	s_cbranch_execz .LBB1860_8
; %bb.7:
	flat_load_ushort v36, v[0:1] offset:2
.LBB1860_8:
	s_or_b32 exec_lo, exec_lo, s5
	v_or_b32_e32 v4, 2, v12
	v_mov_b32_e32 v11, 0x7fff
	v_mov_b32_e32 v38, 0x7fff
	v_cmp_lt_u32_e64 s5, v4, v24
	s_and_saveexec_b32 s6, s5
	s_cbranch_execz .LBB1860_10
; %bb.9:
	flat_load_ushort v38, v[0:1] offset:4
.LBB1860_10:
	s_or_b32 exec_lo, exec_lo, s6
	v_or_b32_e32 v4, 3, v12
	v_cmp_lt_u32_e64 s6, v4, v24
	s_and_saveexec_b32 s7, s6
	s_cbranch_execz .LBB1860_12
; %bb.11:
	flat_load_ushort v11, v[0:1] offset:6
.LBB1860_12:
	s_or_b32 exec_lo, exec_lo, s7
	v_lshlrev_b64 v[0:1], 3, v[13:14]
	v_lshlrev_b32_e32 v10, 3, v12
	v_mov_b32_e32 v16, 0
	; wave barrier
	v_add_co_u32 v4, s7, v6, v0
	v_add_co_ci_u32_e64 v5, null, v7, v1, s7
	v_mov_b32_e32 v17, v16
	v_add_co_u32 v4, s7, v4, v10
	v_add_co_ci_u32_e64 v5, null, 0, v5, s7
	v_mov_b32_e32 v18, v16
	v_mov_b32_e32 v19, v16
	;; [unrolled: 1-line block ×6, first 2 shown]
	s_and_saveexec_b32 s7, vcc_lo
	s_cbranch_execnz .LBB1860_215
; %bb.13:
	s_or_b32 exec_lo, exec_lo, s7
	s_and_saveexec_b32 s7, s4
	s_cbranch_execnz .LBB1860_216
.LBB1860_14:
	s_or_b32 exec_lo, exec_lo, s7
	s_and_saveexec_b32 s7, s5
	s_cbranch_execnz .LBB1860_217
.LBB1860_15:
	s_or_b32 exec_lo, exec_lo, s7
	s_and_saveexec_b32 s7, s6
	s_cbranch_execz .LBB1860_17
.LBB1860_16:
	flat_load_dwordx2 v[22:23], v[4:5] offset:24
.LBB1860_17:
	s_or_b32 exec_lo, exec_lo, s7
	; wave barrier
	s_load_dwordx2 s[14:15], s[8:9], 0x0
	v_mov_b32_e32 v4, 0
	v_bfe_u32 v6, v31, 10, 10
	v_bfe_u32 v7, v31, 20, 10
	s_waitcnt lgkmcnt(0)
	s_cmp_lt_u32 s13, s15
	s_cselect_b32 s7, 14, 20
	s_add_u32 s16, s8, s7
	s_addc_u32 s17, s9, 0
	s_cmp_lt_u32 s12, s14
	global_load_ushort v5, v4, s[16:17]
	s_cselect_b32 s7, 12, 18
	s_add_u32 s14, s8, s7
	s_addc_u32 s15, s9, 0
	global_load_ushort v4, v4, s[14:15]
	s_mov_b32 s14, exec_lo
	s_waitcnt vmcnt(1)
	v_mad_u32_u24 v5, v7, v5, v6
	s_waitcnt vmcnt(0)
	v_mul_lo_u32 v4, v5, v4
	v_and_b32_e32 v5, 0x3ff, v31
	v_add_lshl_u32 v4, v4, v5, 2
	v_cmpx_gt_u32_e32 0x400, v4
	s_cbranch_execz .LBB1860_27
; %bb.18:
	v_add_f16_e32 v5, 0, v37
	v_add_f16_e32 v6, 0, v36
	;; [unrolled: 1-line block ×4, first 2 shown]
	v_mov_b32_e32 v29, v21
	v_cmp_lt_i16_e64 s7, -1, v5
	v_mov_b32_e32 v31, v23
	v_mov_b32_e32 v28, v20
	;; [unrolled: 1-line block ×3, first 2 shown]
	s_mov_b32 s15, exec_lo
	v_cndmask_b32_e64 v24, -1, 0xffff8000, s7
	v_cmp_lt_i16_e64 s7, -1, v6
	v_xor_b32_e32 v5, v24, v5
	v_cndmask_b32_e64 v25, -1, 0xffff8000, s7
	v_cmp_lt_i16_e64 s7, -1, v7
	v_xor_b32_e32 v6, v25, v6
	v_cndmask_b32_e64 v24, -1, 0xffff8000, s7
	v_cmp_lt_i16_e64 s7, -1, v39
	v_cndmask_b32_e64 v25, -1, 0xffff8000, s7
	v_cmp_gt_u16_e64 s7, v5, v6
	v_xor_b32_e32 v6, v24, v7
	v_mov_b32_e32 v5, v38
	v_xor_b32_e32 v48, v25, v39
	v_cndmask_b32_e64 v27, v19, v17, s7
	v_cndmask_b32_e64 v26, v18, v16, s7
	;; [unrolled: 1-line block ×4, first 2 shown]
	v_cmpx_gt_u16_e64 v6, v48
	s_cbranch_execz .LBB1860_20
; %bb.19:
	v_mov_b32_e32 v29, v23
	v_mov_b32_e32 v31, v21
	;; [unrolled: 1-line block ×8, first 2 shown]
.LBB1860_20:
	s_or_b32 exec_lo, exec_lo, s15
	v_cndmask_b32_e64 v18, v36, v37, s7
	v_add_f16_e32 v16, 0, v18
	v_cmp_lt_i16_e64 s10, -1, v16
	v_cndmask_b32_e64 v17, -1, 0xffff8000, s10
	v_xor_b32_e32 v19, v17, v16
	v_mov_b32_e32 v17, v7
	v_cmp_gt_u16_e64 s10, v19, v6
	v_mov_b32_e32 v6, v18
	s_and_saveexec_b32 s15, s10
	s_xor_b32 s10, exec_lo, s15
	s_cbranch_execz .LBB1860_22
; %bb.21:
	v_mov_b32_e32 v55, v31
	v_mov_b32_e32 v54, v30
	;; [unrolled: 1-line block ×26, first 2 shown]
.LBB1860_22:
	s_or_b32 exec_lo, exec_lo, s10
	v_cndmask_b32_e64 v7, v37, v36, s7
	v_cmp_lt_i16_e64 s7, -1, v16
	v_add_f16_e32 v21, 0, v11
	s_mov_b32 s15, exec_lo
	v_add_f16_e32 v18, 0, v7
	v_cndmask_b32_e64 v19, -1, 0xffff8000, s7
	v_cmp_lt_i16_e64 s7, -1, v18
	v_xor_b32_e32 v16, v19, v16
	v_cndmask_b32_e64 v20, -1, 0xffff8000, s7
	v_cmp_lt_i16_e64 s7, -1, v17
	v_xor_b32_e32 v18, v20, v18
	v_cndmask_b32_e64 v22, -1, 0xffff8000, s7
	v_cmp_lt_i16_e64 s7, -1, v21
	v_mov_b32_e32 v20, v28
	v_xor_b32_e32 v37, v22, v17
	v_cndmask_b32_e64 v23, -1, 0xffff8000, s7
	v_cmp_gt_u16_e64 s7, v18, v16
	v_mov_b32_e32 v22, v30
	v_xor_b32_e32 v36, v23, v21
	v_mov_b32_e32 v21, v29
	v_mov_b32_e32 v23, v31
	v_cndmask_b32_e64 v19, v27, v25, s7
	v_cndmask_b32_e64 v18, v26, v24, s7
	;; [unrolled: 1-line block ×4, first 2 shown]
	v_mov_b32_e32 v24, v5
	v_cmpx_gt_u16_e64 v37, v36
	s_cbranch_execz .LBB1860_24
; %bb.23:
	v_mov_b32_e32 v20, v30
	v_mov_b32_e32 v21, v31
	;; [unrolled: 1-line block ×7, first 2 shown]
.LBB1860_24:
	s_or_b32 exec_lo, exec_lo, s15
	v_cndmask_b32_e64 v36, v6, v7, s7
	v_mov_b32_e32 v38, v24
	s_mov_b32 s15, exec_lo
	v_add_f16_e32 v5, 0, v36
	v_cmp_lt_i16_e64 s10, -1, v5
	v_cndmask_b32_e64 v25, -1, 0xffff8000, s10
	v_xor_b32_e32 v5, v25, v5
	v_cmpx_gt_u16_e64 v5, v37
	s_cbranch_execz .LBB1860_26
; %bb.25:
	v_mov_b32_e32 v48, v16
	v_mov_b32_e32 v49, v17
	;; [unrolled: 1-line block ×18, first 2 shown]
.LBB1860_26:
	s_or_b32 exec_lo, exec_lo, s15
	v_cndmask_b32_e64 v37, v7, v6, s7
.LBB1860_27:
	s_or_b32 exec_lo, exec_lo, s14
	v_and_b32_e32 v4, 0xffffff80, v4
	v_or_b32_e32 v7, 4, v35
	v_mov_b32_e32 v5, 0
	v_and_b32_e32 v39, 0x78, v35
	s_mov_b32 s10, exec_lo
	v_sub_nc_u32_e64 v6, 0x400, v4 clamp
	v_lshlrev_b64 v[24:25], 3, v[4:5]
	v_lshlrev_b64 v[4:5], 1, v[4:5]
	v_min_u32_e32 v30, v6, v7
	v_and_b32_e32 v7, 4, v35
	v_add_co_u32 v24, null, v15, v24
	v_add_nc_u32_e32 v25, 4, v30
	v_add_co_u32 v5, null, v15, v4
	v_add_co_u32 v4, null, 0x800, v24
	v_min_u32_e32 v31, v6, v25
	v_min_u32_e32 v48, v6, v7
	v_sub_nc_u32_e32 v25, v30, v39
	v_lshl_add_u32 v7, v35, 1, v5
	v_lshl_add_u32 v15, v35, 3, v4
	v_sub_nc_u32_e32 v24, v31, v30
	ds_write_b16 v7, v37
	ds_write_b64 v15, v[16:17]
	ds_write_b16 v7, v36 offset:2
	ds_write_b64 v15, v[18:19] offset:8
	ds_write_b16 v7, v38 offset:4
	ds_write_b64 v15, v[20:21] offset:16
	;; [unrolled: 2-line block ×3, first 2 shown]
	v_sub_nc_u32_e64 v49, v48, v24 clamp
	v_min_u32_e32 v24, v48, v25
	; wave barrier
	v_cmpx_lt_u32_e64 v49, v24
	s_cbranch_execz .LBB1860_31
; %bb.28:
	v_lshlrev_b32_e32 v25, 1, v39
	v_lshlrev_b32_e32 v26, 1, v30
	s_mov_b32 s14, 0
	v_add_co_u32 v25, null, v5, v25
	v_add_co_u32 v26, null, v5, v26
	s_inst_prefetch 0x1
	.p2align	6
.LBB1860_29:                            ; =>This Inner Loop Header: Depth=1
	v_add_nc_u32_e32 v27, v24, v49
	v_lshrrev_b32_e32 v28, 1, v27
	v_and_b32_e32 v27, -2, v27
	v_xad_u32 v29, v28, -1, v48
	v_add_nc_u32_e32 v27, v25, v27
	v_lshl_add_u32 v29, v29, 1, v26
	ds_read_u16 v27, v27
	ds_read_u16 v29, v29
	s_waitcnt lgkmcnt(1)
	v_add_f16_e32 v27, 0, v27
	s_waitcnt lgkmcnt(0)
	v_add_f16_e32 v29, 0, v29
	v_cmp_lt_i16_e64 s7, -1, v27
	v_cndmask_b32_e64 v50, -1, 0xffff8000, s7
	v_cmp_lt_i16_e64 s7, -1, v29
	v_xor_b32_e32 v27, v50, v27
	v_cndmask_b32_e64 v51, -1, 0xffff8000, s7
	v_add_nc_u32_e32 v50, 1, v28
	v_xor_b32_e32 v29, v51, v29
	v_cmp_gt_u16_e64 s7, v27, v29
	v_cndmask_b32_e64 v24, v24, v28, s7
	v_cndmask_b32_e64 v49, v50, v49, s7
	v_cmp_ge_u32_e64 s7, v49, v24
	s_or_b32 s14, s7, s14
	s_andn2_b32 exec_lo, exec_lo, s14
	s_cbranch_execnz .LBB1860_29
; %bb.30:
	s_inst_prefetch 0x2
	s_or_b32 exec_lo, exec_lo, s14
.LBB1860_31:
	s_or_b32 exec_lo, exec_lo, s10
	v_add_nc_u32_e32 v48, v30, v48
	v_add_nc_u32_e32 v39, v49, v39
	v_add_nc_u32_e32 v24, 2, v7
	v_add_nc_u32_e32 v25, 8, v15
	v_add_nc_u32_e32 v26, 4, v7
	v_sub_nc_u32_e32 v48, v48, v49
	v_cmp_le_u32_e64 s7, v39, v30
	v_add_nc_u32_e32 v28, 16, v15
	v_add_nc_u32_e32 v27, 6, v7
	;; [unrolled: 1-line block ×3, first 2 shown]
	v_cmp_le_u32_e64 s10, v48, v31
	s_or_b32 s7, s7, s10
	s_and_saveexec_b32 s14, s7
	s_cbranch_execz .LBB1860_51
; %bb.32:
	v_cmp_ge_u32_e64 s7, v39, v30
	s_mov_b32 s15, exec_lo
                                        ; implicit-def: $vgpr11
	v_cmpx_lt_u32_e64 v39, v30
; %bb.33:
	v_lshl_add_u32 v11, v39, 1, v5
	ds_read_u16 v11, v11
; %bb.34:
	s_or_b32 exec_lo, exec_lo, s15
	v_cmp_ge_u32_e64 s15, v48, v31
	s_mov_b32 s16, exec_lo
                                        ; implicit-def: $vgpr37
	v_cmpx_lt_u32_e64 v48, v31
; %bb.35:
	v_lshl_add_u32 v16, v48, 1, v5
	ds_read_u16 v37, v16
; %bb.36:
	s_or_b32 exec_lo, exec_lo, s16
	s_nor_b32 s7, s7, s15
	s_and_saveexec_b32 s10, s7
	s_cbranch_execz .LBB1860_38
; %bb.37:
	s_waitcnt lgkmcnt(0)
	v_add_f16_e32 v16, 0, v11
	v_add_f16_e32 v17, 0, v37
	s_andn2_b32 s15, s15, exec_lo
	v_cmp_lt_i16_e64 s7, -1, v16
	v_cndmask_b32_e64 v18, -1, 0xffff8000, s7
	v_cmp_lt_i16_e64 s7, -1, v17
	v_xor_b32_e32 v16, v18, v16
	v_cndmask_b32_e64 v19, -1, 0xffff8000, s7
	v_xor_b32_e32 v17, v19, v17
	v_cmp_le_u16_e64 s7, v16, v17
	s_and_b32 s7, s7, exec_lo
	s_or_b32 s15, s15, s7
.LBB1860_38:
	s_or_b32 exec_lo, exec_lo, s10
	v_cndmask_b32_e64 v16, v48, v39, s15
	v_cndmask_b32_e64 v17, v31, v30, s15
	s_mov_b32 s16, -1
	s_mov_b32 s10, -1
	s_mov_b32 s17, exec_lo
	v_add_nc_u32_e32 v18, 1, v16
	v_add_nc_u32_e32 v17, -1, v17
	v_lshl_add_u32 v16, v16, 3, v4
	v_cndmask_b32_e64 v20, v18, v48, s15
	v_min_u32_e32 v17, v18, v17
	v_cndmask_b32_e64 v21, v39, v18, s15
	v_lshl_add_u32 v17, v17, 1, v5
	ds_read_u16 v19, v17
	ds_read_b64 v[16:17], v16
	s_waitcnt lgkmcnt(1)
	v_cndmask_b32_e64 v36, v19, v37, s15
	v_cndmask_b32_e64 v39, v11, v19, s15
	v_cmpx_lt_u32_e64 v20, v31
	s_cbranch_execz .LBB1860_42
; %bb.39:
	s_mov_b32 s18, 0
	s_mov_b32 s10, exec_lo
	v_cmpx_lt_u32_e64 v21, v30
	s_cbranch_execz .LBB1860_41
; %bb.40:
	v_add_f16_e32 v18, 0, v39
	v_add_f16_e32 v19, 0, v36
	v_cmp_lt_i16_e64 s7, -1, v18
	v_cndmask_b32_e64 v22, -1, 0xffff8000, s7
	v_cmp_lt_i16_e64 s7, -1, v19
	v_xor_b32_e32 v18, v22, v18
	v_cndmask_b32_e64 v23, -1, 0xffff8000, s7
	v_xor_b32_e32 v19, v23, v19
	v_cmp_le_u16_e64 s7, v18, v19
	s_and_b32 s18, s7, exec_lo
.LBB1860_41:
	s_or_b32 exec_lo, exec_lo, s10
	s_orn2_b32 s10, s18, exec_lo
.LBB1860_42:
	s_or_b32 exec_lo, exec_lo, s17
	v_cndmask_b32_e64 v18, v20, v21, s10
	v_cndmask_b32_e64 v19, v31, v30, s10
	s_mov_b32 s17, exec_lo
	v_add_nc_u32_e32 v23, 1, v18
	v_add_nc_u32_e32 v19, -1, v19
	v_lshl_add_u32 v18, v18, 3, v4
	v_cndmask_b32_e64 v22, v23, v20, s10
	v_min_u32_e32 v19, v23, v19
	v_cndmask_b32_e64 v23, v21, v23, s10
	v_lshl_add_u32 v19, v19, 1, v5
	ds_read_u16 v48, v19
	ds_read_b64 v[18:19], v18
	s_waitcnt lgkmcnt(1)
	v_cndmask_b32_e64 v38, v48, v36, s10
	v_cndmask_b32_e64 v48, v39, v48, s10
	v_cmpx_lt_u32_e64 v22, v31
	s_cbranch_execz .LBB1860_46
; %bb.43:
	s_mov_b32 s18, 0
	s_mov_b32 s16, exec_lo
	v_cmpx_lt_u32_e64 v23, v30
	s_cbranch_execz .LBB1860_45
; %bb.44:
	v_add_f16_e32 v20, 0, v48
	v_add_f16_e32 v21, 0, v38
	v_cmp_lt_i16_e64 s7, -1, v20
	v_cndmask_b32_e64 v49, -1, 0xffff8000, s7
	v_cmp_lt_i16_e64 s7, -1, v21
	v_xor_b32_e32 v20, v49, v20
	v_cndmask_b32_e64 v50, -1, 0xffff8000, s7
	v_xor_b32_e32 v21, v50, v21
	v_cmp_le_u16_e64 s7, v20, v21
	s_and_b32 s18, s7, exec_lo
.LBB1860_45:
	s_or_b32 exec_lo, exec_lo, s16
	s_orn2_b32 s16, s18, exec_lo
.LBB1860_46:
	s_or_b32 exec_lo, exec_lo, s17
	v_cndmask_b32_e64 v20, v22, v23, s16
	v_cndmask_b32_e64 v21, v31, v30, s16
	s_mov_b32 s18, -1
	s_mov_b32 s17, exec_lo
	v_add_nc_u32_e32 v49, 1, v20
	v_add_nc_u32_e32 v21, -1, v21
	v_lshl_add_u32 v20, v20, 3, v4
	v_cndmask_b32_e64 v22, v49, v22, s16
	v_min_u32_e32 v21, v49, v21
	v_cndmask_b32_e64 v23, v23, v49, s16
	v_lshl_add_u32 v21, v21, 1, v5
	ds_read_u16 v50, v21
	ds_read_b64 v[20:21], v20
	s_waitcnt lgkmcnt(1)
	v_cndmask_b32_e64 v49, v50, v38, s16
	v_cndmask_b32_e64 v50, v48, v50, s16
	v_cmpx_lt_u32_e64 v22, v31
	s_cbranch_execz .LBB1860_50
; %bb.47:
	s_mov_b32 s19, 0
	s_mov_b32 s18, exec_lo
	v_cmpx_lt_u32_e64 v23, v30
	s_cbranch_execz .LBB1860_49
; %bb.48:
	v_add_f16_e32 v30, 0, v50
	v_add_f16_e32 v31, 0, v49
	v_cmp_lt_i16_e64 s7, -1, v30
	v_cndmask_b32_e64 v51, -1, 0xffff8000, s7
	v_cmp_lt_i16_e64 s7, -1, v31
	v_xor_b32_e32 v30, v51, v30
	v_cndmask_b32_e64 v52, -1, 0xffff8000, s7
	v_xor_b32_e32 v31, v52, v31
	v_cmp_le_u16_e64 s7, v30, v31
	s_and_b32 s19, s7, exec_lo
.LBB1860_49:
	s_or_b32 exec_lo, exec_lo, s18
	s_orn2_b32 s18, s19, exec_lo
.LBB1860_50:
	s_or_b32 exec_lo, exec_lo, s17
	v_cndmask_b32_e64 v22, v22, v23, s18
	v_cndmask_b32_e64 v38, v38, v48, s16
	;; [unrolled: 1-line block ×5, first 2 shown]
	v_lshl_add_u32 v22, v22, 3, v4
	ds_read_b64 v[22:23], v22
.LBB1860_51:
	s_or_b32 exec_lo, exec_lo, s14
	v_and_b32_e32 v39, 0x70, v35
	v_and_b32_e32 v48, 12, v35
	s_mov_b32 s10, exec_lo
	; wave barrier
	v_or_b32_e32 v30, 8, v39
	v_min_u32_e32 v48, v6, v48
	ds_write_b16 v7, v37
	ds_write_b64 v15, v[16:17]
	ds_write_b16 v24, v36
	ds_write_b64 v25, v[18:19]
	ds_write_b16 v26, v38
	s_waitcnt lgkmcnt(6)
	ds_write_b64 v28, v[20:21]
	ds_write_b16 v27, v11
	s_waitcnt lgkmcnt(7)
	ds_write_b64 v29, v[22:23]
	v_min_u32_e32 v30, v6, v30
	; wave barrier
	v_add_nc_u32_e32 v31, 8, v30
	v_sub_nc_u32_e32 v50, v30, v39
	v_min_u32_e32 v31, v6, v31
	v_min_u32_e32 v50, v48, v50
	v_sub_nc_u32_e32 v49, v31, v30
	v_sub_nc_u32_e64 v49, v48, v49 clamp
	v_cmpx_lt_u32_e64 v49, v50
	s_cbranch_execz .LBB1860_55
; %bb.52:
	v_lshlrev_b32_e32 v51, 1, v39
	v_lshlrev_b32_e32 v52, 1, v30
	s_mov_b32 s14, 0
	v_add_co_u32 v51, null, v5, v51
	v_add_co_u32 v52, null, v5, v52
	s_inst_prefetch 0x1
	.p2align	6
.LBB1860_53:                            ; =>This Inner Loop Header: Depth=1
	v_add_nc_u32_e32 v53, v50, v49
	v_lshrrev_b32_e32 v54, 1, v53
	v_and_b32_e32 v53, -2, v53
	v_xad_u32 v55, v54, -1, v48
	v_add_nc_u32_e32 v53, v51, v53
	v_lshl_add_u32 v55, v55, 1, v52
	ds_read_u16 v53, v53
	ds_read_u16 v55, v55
	s_waitcnt lgkmcnt(1)
	v_add_f16_e32 v53, 0, v53
	s_waitcnt lgkmcnt(0)
	v_add_f16_e32 v55, 0, v55
	v_cmp_lt_i16_e64 s7, -1, v53
	v_cndmask_b32_e64 v64, -1, 0xffff8000, s7
	v_cmp_lt_i16_e64 s7, -1, v55
	v_xor_b32_e32 v53, v64, v53
	v_cndmask_b32_e64 v65, -1, 0xffff8000, s7
	v_add_nc_u32_e32 v64, 1, v54
	v_xor_b32_e32 v55, v65, v55
	v_cmp_gt_u16_e64 s7, v53, v55
	v_cndmask_b32_e64 v50, v50, v54, s7
	v_cndmask_b32_e64 v49, v64, v49, s7
	v_cmp_ge_u32_e64 s7, v49, v50
	s_or_b32 s14, s7, s14
	s_andn2_b32 exec_lo, exec_lo, s14
	s_cbranch_execnz .LBB1860_53
; %bb.54:
	s_inst_prefetch 0x2
	s_or_b32 exec_lo, exec_lo, s14
.LBB1860_55:
	s_or_b32 exec_lo, exec_lo, s10
	v_add_nc_u32_e32 v48, v30, v48
	v_add_nc_u32_e32 v39, v49, v39
	v_sub_nc_u32_e32 v48, v48, v49
	v_cmp_le_u32_e64 s7, v39, v30
	v_cmp_le_u32_e64 s10, v48, v31
	s_or_b32 s7, s7, s10
	s_and_saveexec_b32 s14, s7
	s_cbranch_execz .LBB1860_75
; %bb.56:
	v_cmp_ge_u32_e64 s7, v39, v30
	s_mov_b32 s15, exec_lo
                                        ; implicit-def: $vgpr11
	v_cmpx_lt_u32_e64 v39, v30
; %bb.57:
	v_lshl_add_u32 v11, v39, 1, v5
	ds_read_u16 v11, v11
; %bb.58:
	s_or_b32 exec_lo, exec_lo, s15
	v_cmp_ge_u32_e64 s15, v48, v31
	s_mov_b32 s16, exec_lo
                                        ; implicit-def: $vgpr37
	v_cmpx_lt_u32_e64 v48, v31
; %bb.59:
	v_lshl_add_u32 v16, v48, 1, v5
	ds_read_u16 v37, v16
; %bb.60:
	s_or_b32 exec_lo, exec_lo, s16
	s_nor_b32 s7, s7, s15
	s_and_saveexec_b32 s10, s7
	s_cbranch_execz .LBB1860_62
; %bb.61:
	s_waitcnt lgkmcnt(0)
	v_add_f16_e32 v16, 0, v11
	v_add_f16_e32 v17, 0, v37
	s_andn2_b32 s15, s15, exec_lo
	v_cmp_lt_i16_e64 s7, -1, v16
	v_cndmask_b32_e64 v18, -1, 0xffff8000, s7
	v_cmp_lt_i16_e64 s7, -1, v17
	v_xor_b32_e32 v16, v18, v16
	v_cndmask_b32_e64 v19, -1, 0xffff8000, s7
	v_xor_b32_e32 v17, v19, v17
	v_cmp_le_u16_e64 s7, v16, v17
	s_and_b32 s7, s7, exec_lo
	s_or_b32 s15, s15, s7
.LBB1860_62:
	s_or_b32 exec_lo, exec_lo, s10
	v_cndmask_b32_e64 v16, v48, v39, s15
	v_cndmask_b32_e64 v17, v31, v30, s15
	s_mov_b32 s16, -1
	s_mov_b32 s10, -1
	s_mov_b32 s17, exec_lo
	v_add_nc_u32_e32 v18, 1, v16
	v_add_nc_u32_e32 v17, -1, v17
	v_lshl_add_u32 v16, v16, 3, v4
	v_cndmask_b32_e64 v20, v18, v48, s15
	v_min_u32_e32 v17, v18, v17
	v_cndmask_b32_e64 v21, v39, v18, s15
	v_lshl_add_u32 v17, v17, 1, v5
	ds_read_u16 v19, v17
	ds_read_b64 v[16:17], v16
	s_waitcnt lgkmcnt(1)
	v_cndmask_b32_e64 v36, v19, v37, s15
	v_cndmask_b32_e64 v39, v11, v19, s15
	v_cmpx_lt_u32_e64 v20, v31
	s_cbranch_execz .LBB1860_66
; %bb.63:
	s_mov_b32 s18, 0
	s_mov_b32 s10, exec_lo
	v_cmpx_lt_u32_e64 v21, v30
	s_cbranch_execz .LBB1860_65
; %bb.64:
	v_add_f16_e32 v18, 0, v39
	v_add_f16_e32 v19, 0, v36
	v_cmp_lt_i16_e64 s7, -1, v18
	v_cndmask_b32_e64 v22, -1, 0xffff8000, s7
	v_cmp_lt_i16_e64 s7, -1, v19
	v_xor_b32_e32 v18, v22, v18
	v_cndmask_b32_e64 v23, -1, 0xffff8000, s7
	v_xor_b32_e32 v19, v23, v19
	v_cmp_le_u16_e64 s7, v18, v19
	s_and_b32 s18, s7, exec_lo
.LBB1860_65:
	s_or_b32 exec_lo, exec_lo, s10
	s_orn2_b32 s10, s18, exec_lo
.LBB1860_66:
	s_or_b32 exec_lo, exec_lo, s17
	v_cndmask_b32_e64 v18, v20, v21, s10
	v_cndmask_b32_e64 v19, v31, v30, s10
	s_mov_b32 s17, exec_lo
	v_add_nc_u32_e32 v23, 1, v18
	v_add_nc_u32_e32 v19, -1, v19
	v_lshl_add_u32 v18, v18, 3, v4
	v_cndmask_b32_e64 v22, v23, v20, s10
	v_min_u32_e32 v19, v23, v19
	v_cndmask_b32_e64 v23, v21, v23, s10
	v_lshl_add_u32 v19, v19, 1, v5
	ds_read_u16 v48, v19
	ds_read_b64 v[18:19], v18
	s_waitcnt lgkmcnt(1)
	v_cndmask_b32_e64 v38, v48, v36, s10
	v_cndmask_b32_e64 v48, v39, v48, s10
	v_cmpx_lt_u32_e64 v22, v31
	s_cbranch_execz .LBB1860_70
; %bb.67:
	s_mov_b32 s18, 0
	s_mov_b32 s16, exec_lo
	v_cmpx_lt_u32_e64 v23, v30
	s_cbranch_execz .LBB1860_69
; %bb.68:
	v_add_f16_e32 v20, 0, v48
	v_add_f16_e32 v21, 0, v38
	v_cmp_lt_i16_e64 s7, -1, v20
	v_cndmask_b32_e64 v49, -1, 0xffff8000, s7
	v_cmp_lt_i16_e64 s7, -1, v21
	v_xor_b32_e32 v20, v49, v20
	v_cndmask_b32_e64 v50, -1, 0xffff8000, s7
	v_xor_b32_e32 v21, v50, v21
	v_cmp_le_u16_e64 s7, v20, v21
	s_and_b32 s18, s7, exec_lo
.LBB1860_69:
	s_or_b32 exec_lo, exec_lo, s16
	s_orn2_b32 s16, s18, exec_lo
.LBB1860_70:
	s_or_b32 exec_lo, exec_lo, s17
	v_cndmask_b32_e64 v20, v22, v23, s16
	v_cndmask_b32_e64 v21, v31, v30, s16
	s_mov_b32 s18, -1
	s_mov_b32 s17, exec_lo
	v_add_nc_u32_e32 v49, 1, v20
	v_add_nc_u32_e32 v21, -1, v21
	v_lshl_add_u32 v20, v20, 3, v4
	v_cndmask_b32_e64 v22, v49, v22, s16
	v_min_u32_e32 v21, v49, v21
	v_cndmask_b32_e64 v23, v23, v49, s16
	v_lshl_add_u32 v21, v21, 1, v5
	ds_read_u16 v50, v21
	ds_read_b64 v[20:21], v20
	s_waitcnt lgkmcnt(1)
	v_cndmask_b32_e64 v49, v50, v38, s16
	v_cndmask_b32_e64 v50, v48, v50, s16
	v_cmpx_lt_u32_e64 v22, v31
	s_cbranch_execz .LBB1860_74
; %bb.71:
	s_mov_b32 s19, 0
	s_mov_b32 s18, exec_lo
	v_cmpx_lt_u32_e64 v23, v30
	s_cbranch_execz .LBB1860_73
; %bb.72:
	v_add_f16_e32 v30, 0, v50
	v_add_f16_e32 v31, 0, v49
	v_cmp_lt_i16_e64 s7, -1, v30
	v_cndmask_b32_e64 v51, -1, 0xffff8000, s7
	v_cmp_lt_i16_e64 s7, -1, v31
	v_xor_b32_e32 v30, v51, v30
	v_cndmask_b32_e64 v52, -1, 0xffff8000, s7
	v_xor_b32_e32 v31, v52, v31
	v_cmp_le_u16_e64 s7, v30, v31
	s_and_b32 s19, s7, exec_lo
.LBB1860_73:
	s_or_b32 exec_lo, exec_lo, s18
	s_orn2_b32 s18, s19, exec_lo
.LBB1860_74:
	s_or_b32 exec_lo, exec_lo, s17
	v_cndmask_b32_e64 v22, v22, v23, s18
	v_cndmask_b32_e64 v38, v38, v48, s16
	;; [unrolled: 1-line block ×5, first 2 shown]
	v_lshl_add_u32 v22, v22, 3, v4
	ds_read_b64 v[22:23], v22
.LBB1860_75:
	s_or_b32 exec_lo, exec_lo, s14
	v_and_b32_e32 v35, 0x60, v35
	; wave barrier
	ds_write_b16 v7, v37
	ds_write_b64 v15, v[16:17]
	s_mov_b32 s10, exec_lo
	v_or_b32_e32 v30, 16, v35
	ds_write_b16 v24, v36
	ds_write_b64 v25, v[18:19]
	ds_write_b16 v26, v38
	s_waitcnt lgkmcnt(6)
	ds_write_b64 v28, v[20:21]
	ds_write_b16 v27, v11
	s_waitcnt lgkmcnt(7)
	ds_write_b64 v29, v[22:23]
	; wave barrier
	v_min_u32_e32 v30, v6, v30
	v_add_nc_u32_e32 v31, 16, v30
	v_sub_nc_u32_e32 v48, v30, v35
	v_min_u32_e32 v31, v6, v31
	v_min_u32_e32 v6, v6, v12
	v_sub_nc_u32_e32 v39, v31, v30
	v_min_u32_e32 v15, v6, v48
	v_sub_nc_u32_e64 v7, v6, v39 clamp
	v_cmpx_lt_u32_e64 v7, v15
	s_cbranch_execz .LBB1860_79
; %bb.76:
	v_lshlrev_b32_e32 v24, 1, v35
	v_lshlrev_b32_e32 v25, 1, v30
	s_mov_b32 s14, 0
	v_add_co_u32 v24, null, v5, v24
	v_add_co_u32 v25, null, v5, v25
	s_inst_prefetch 0x1
	.p2align	6
.LBB1860_77:                            ; =>This Inner Loop Header: Depth=1
	v_add_nc_u32_e32 v26, v15, v7
	v_lshrrev_b32_e32 v27, 1, v26
	v_and_b32_e32 v26, -2, v26
	v_xad_u32 v28, v27, -1, v6
	v_add_nc_u32_e32 v26, v24, v26
	v_lshl_add_u32 v28, v28, 1, v25
	ds_read_u16 v26, v26
	ds_read_u16 v28, v28
	s_waitcnt lgkmcnt(1)
	v_add_f16_e32 v26, 0, v26
	s_waitcnt lgkmcnt(0)
	v_add_f16_e32 v28, 0, v28
	v_cmp_lt_i16_e64 s7, -1, v26
	v_cndmask_b32_e64 v29, -1, 0xffff8000, s7
	v_cmp_lt_i16_e64 s7, -1, v28
	v_xor_b32_e32 v26, v29, v26
	v_cndmask_b32_e64 v39, -1, 0xffff8000, s7
	v_add_nc_u32_e32 v29, 1, v27
	v_xor_b32_e32 v28, v39, v28
	v_cmp_gt_u16_e64 s7, v26, v28
	v_cndmask_b32_e64 v15, v15, v27, s7
	v_cndmask_b32_e64 v7, v29, v7, s7
	v_cmp_ge_u32_e64 s7, v7, v15
	s_or_b32 s14, s7, s14
	s_andn2_b32 exec_lo, exec_lo, s14
	s_cbranch_execnz .LBB1860_77
; %bb.78:
	s_inst_prefetch 0x2
	s_or_b32 exec_lo, exec_lo, s14
.LBB1860_79:
	s_or_b32 exec_lo, exec_lo, s10
	v_add_nc_u32_e32 v6, v30, v6
	v_add_nc_u32_e32 v15, v7, v35
	v_sub_nc_u32_e32 v24, v6, v7
	v_cmp_le_u32_e64 s7, v15, v30
	v_cmp_le_u32_e64 s10, v24, v31
	s_or_b32 s7, s7, s10
	s_and_saveexec_b32 s14, s7
	s_cbranch_execz .LBB1860_99
; %bb.80:
	v_cmp_ge_u32_e64 s7, v15, v30
	s_mov_b32 s15, exec_lo
                                        ; implicit-def: $vgpr6
	v_cmpx_lt_u32_e64 v15, v30
; %bb.81:
	v_lshl_add_u32 v6, v15, 1, v5
	ds_read_u16 v6, v6
; %bb.82:
	s_or_b32 exec_lo, exec_lo, s15
	v_cmp_ge_u32_e64 s15, v24, v31
	s_mov_b32 s16, exec_lo
                                        ; implicit-def: $vgpr7
	v_cmpx_lt_u32_e64 v24, v31
; %bb.83:
	v_lshl_add_u32 v7, v24, 1, v5
	ds_read_u16 v7, v7
; %bb.84:
	s_or_b32 exec_lo, exec_lo, s16
	s_nor_b32 s7, s7, s15
	s_and_saveexec_b32 s10, s7
	s_cbranch_execz .LBB1860_86
; %bb.85:
	s_waitcnt lgkmcnt(0)
	v_add_f16_e32 v11, 0, v6
	v_add_f16_e32 v16, 0, v7
	s_andn2_b32 s15, s15, exec_lo
	v_cmp_lt_i16_e64 s7, -1, v11
	v_cndmask_b32_e64 v17, -1, 0xffff8000, s7
	v_cmp_lt_i16_e64 s7, -1, v16
	v_xor_b32_e32 v11, v17, v11
	v_cndmask_b32_e64 v18, -1, 0xffff8000, s7
	v_xor_b32_e32 v16, v18, v16
	v_cmp_le_u16_e64 s7, v11, v16
	s_and_b32 s7, s7, exec_lo
	s_or_b32 s15, s15, s7
.LBB1860_86:
	s_or_b32 exec_lo, exec_lo, s10
	v_cndmask_b32_e64 v11, v24, v15, s15
	v_cndmask_b32_e64 v16, v31, v30, s15
	s_mov_b32 s16, -1
	s_mov_b32 s10, -1
	s_mov_b32 s17, exec_lo
	v_add_nc_u32_e32 v18, 1, v11
	v_add_nc_u32_e32 v16, -1, v16
	v_lshl_add_u32 v11, v11, 3, v4
	v_cndmask_b32_e64 v20, v18, v24, s15
	v_min_u32_e32 v16, v18, v16
	v_cndmask_b32_e64 v21, v15, v18, s15
	v_lshl_add_u32 v16, v16, 1, v5
	ds_read_u16 v19, v16
	ds_read_b64 v[16:17], v11
	s_waitcnt lgkmcnt(1)
	v_cndmask_b32_e64 v11, v19, v7, s15
	v_cndmask_b32_e64 v15, v6, v19, s15
	v_cmpx_lt_u32_e64 v20, v31
	s_cbranch_execz .LBB1860_90
; %bb.87:
	s_mov_b32 s18, 0
	s_mov_b32 s10, exec_lo
	v_cmpx_lt_u32_e64 v21, v30
	s_cbranch_execz .LBB1860_89
; %bb.88:
	v_add_f16_e32 v18, 0, v15
	v_add_f16_e32 v19, 0, v11
	v_cmp_lt_i16_e64 s7, -1, v18
	v_cndmask_b32_e64 v22, -1, 0xffff8000, s7
	v_cmp_lt_i16_e64 s7, -1, v19
	v_xor_b32_e32 v18, v22, v18
	v_cndmask_b32_e64 v23, -1, 0xffff8000, s7
	v_xor_b32_e32 v19, v23, v19
	v_cmp_le_u16_e64 s7, v18, v19
	s_and_b32 s18, s7, exec_lo
.LBB1860_89:
	s_or_b32 exec_lo, exec_lo, s10
	s_orn2_b32 s10, s18, exec_lo
.LBB1860_90:
	s_or_b32 exec_lo, exec_lo, s17
	v_cndmask_b32_e64 v18, v20, v21, s10
	v_cndmask_b32_e64 v19, v31, v30, s10
	s_mov_b32 s17, exec_lo
	v_add_nc_u32_e32 v23, 1, v18
	v_add_nc_u32_e32 v19, -1, v19
	v_lshl_add_u32 v18, v18, 3, v4
	v_cndmask_b32_e64 v22, v23, v20, s10
	v_min_u32_e32 v19, v23, v19
	v_cndmask_b32_e64 v23, v21, v23, s10
	v_lshl_add_u32 v19, v19, 1, v5
	ds_read_u16 v25, v19
	ds_read_b64 v[18:19], v18
	s_waitcnt lgkmcnt(1)
	v_cndmask_b32_e64 v24, v25, v11, s10
	v_cndmask_b32_e64 v25, v15, v25, s10
	v_cmpx_lt_u32_e64 v22, v31
	s_cbranch_execz .LBB1860_94
; %bb.91:
	s_mov_b32 s18, 0
	s_mov_b32 s16, exec_lo
	v_cmpx_lt_u32_e64 v23, v30
	s_cbranch_execz .LBB1860_93
; %bb.92:
	v_add_f16_e32 v20, 0, v25
	v_add_f16_e32 v21, 0, v24
	v_cmp_lt_i16_e64 s7, -1, v20
	v_cndmask_b32_e64 v26, -1, 0xffff8000, s7
	v_cmp_lt_i16_e64 s7, -1, v21
	v_xor_b32_e32 v20, v26, v20
	v_cndmask_b32_e64 v27, -1, 0xffff8000, s7
	v_xor_b32_e32 v21, v27, v21
	v_cmp_le_u16_e64 s7, v20, v21
	s_and_b32 s18, s7, exec_lo
.LBB1860_93:
	s_or_b32 exec_lo, exec_lo, s16
	s_orn2_b32 s16, s18, exec_lo
.LBB1860_94:
	s_or_b32 exec_lo, exec_lo, s17
	v_cndmask_b32_e64 v20, v22, v23, s16
	v_cndmask_b32_e64 v21, v31, v30, s16
	s_mov_b32 s18, -1
	s_mov_b32 s17, exec_lo
	v_add_nc_u32_e32 v26, 1, v20
	v_add_nc_u32_e32 v21, -1, v21
	v_cndmask_b32_e64 v22, v26, v22, s16
	v_min_u32_e32 v21, v26, v21
	v_cndmask_b32_e64 v23, v23, v26, s16
	v_lshl_add_u32 v5, v21, 1, v5
	ds_read_u16 v27, v5
	v_lshl_add_u32 v5, v20, 3, v4
	ds_read_b64 v[20:21], v5
	s_waitcnt lgkmcnt(1)
	v_cndmask_b32_e64 v5, v27, v24, s16
	v_cndmask_b32_e64 v26, v25, v27, s16
	v_cmpx_lt_u32_e64 v22, v31
	s_cbranch_execz .LBB1860_98
; %bb.95:
	s_mov_b32 s19, 0
	s_mov_b32 s18, exec_lo
	v_cmpx_lt_u32_e64 v23, v30
	s_cbranch_execz .LBB1860_97
; %bb.96:
	v_add_f16_e32 v27, 0, v26
	v_add_f16_e32 v28, 0, v5
	v_cmp_lt_i16_e64 s7, -1, v27
	v_cndmask_b32_e64 v29, -1, 0xffff8000, s7
	v_cmp_lt_i16_e64 s7, -1, v28
	v_xor_b32_e32 v27, v29, v27
	v_cndmask_b32_e64 v30, -1, 0xffff8000, s7
	v_xor_b32_e32 v28, v30, v28
	v_cmp_le_u16_e64 s7, v27, v28
	s_and_b32 s19, s7, exec_lo
.LBB1860_97:
	s_or_b32 exec_lo, exec_lo, s18
	s_orn2_b32 s18, s19, exec_lo
.LBB1860_98:
	s_or_b32 exec_lo, exec_lo, s17
	v_cndmask_b32_e64 v22, v22, v23, s18
	v_cndmask_b32_e64 v38, v24, v25, s16
	v_cndmask_b32_e64 v36, v11, v15, s10
	v_cndmask_b32_e64 v37, v7, v6, s15
	v_cndmask_b32_e64 v11, v5, v26, s18
	v_lshl_add_u32 v4, v22, 3, v4
	ds_read_b64 v[22:23], v4
.LBB1860_99:
	s_or_b32 exec_lo, exec_lo, s14
	v_add_co_u32 v2, s7, v2, v32
	v_add_co_ci_u32_e64 v3, null, v3, v33, s7
	v_add_co_u32 v2, s7, v2, v34
	v_add_co_ci_u32_e64 v3, null, 0, v3, s7
	; wave barrier
	s_waitcnt lgkmcnt(0)
	s_waitcnt_vscnt null, 0x0
	s_barrier
	buffer_gl0_inv
	; wave barrier
	s_and_saveexec_b32 s7, vcc_lo
	s_cbranch_execnz .LBB1860_218
; %bb.100:
	s_or_b32 exec_lo, exec_lo, s7
	s_and_saveexec_b32 s7, s4
	s_cbranch_execnz .LBB1860_219
.LBB1860_101:
	s_or_b32 exec_lo, exec_lo, s7
	s_and_saveexec_b32 s7, s5
	s_cbranch_execnz .LBB1860_220
.LBB1860_102:
	s_or_b32 exec_lo, exec_lo, s7
	s_and_saveexec_b32 s7, s6
	s_cbranch_execz .LBB1860_104
.LBB1860_103:
	flat_store_short v[2:3], v11 offset:6
.LBB1860_104:
	s_or_b32 exec_lo, exec_lo, s7
	v_add_co_u32 v0, s7, v8, v0
	v_add_co_ci_u32_e64 v1, null, v9, v1, s7
	v_add_co_u32 v0, s7, v0, v10
	v_add_co_ci_u32_e64 v1, null, 0, v1, s7
	; wave barrier
	s_and_saveexec_b32 s7, vcc_lo
	s_cbranch_execnz .LBB1860_221
; %bb.105:
	s_or_b32 exec_lo, exec_lo, s7
	s_and_saveexec_b32 s7, s4
	s_cbranch_execnz .LBB1860_222
.LBB1860_106:
	s_or_b32 exec_lo, exec_lo, s7
	s_and_saveexec_b32 s4, s5
	s_cbranch_execz .LBB1860_108
.LBB1860_107:
	flat_store_dwordx2 v[0:1], v[20:21] offset:16
.LBB1860_108:
	s_or_b32 exec_lo, exec_lo, s4
	s_and_b32 s10, s6, exec_lo
                                        ; implicit-def: $vgpr24
                                        ; implicit-def: $vgpr35
                                        ; implicit-def: $vgpr0_vgpr1
                                        ; implicit-def: $vgpr4
                                        ; implicit-def: $vgpr5
                                        ; implicit-def: $vgpr6
                                        ; implicit-def: $vgpr7
                                        ; implicit-def: $vgpr10
                                        ; implicit-def: $vgpr15
                                        ; implicit-def: $vgpr32_vgpr33
                                        ; implicit-def: $vgpr34
                                        ; implicit-def: $vgpr31
	s_andn2_saveexec_b32 s11, s11
	s_cbranch_execz .LBB1860_2
.LBB1860_109:
	v_mov_b32_e32 v36, 0x7fff
	v_mov_b32_e32 v37, 0x7fff
	s_and_saveexec_b32 s4, vcc_lo
	s_cbranch_execz .LBB1860_111
; %bb.110:
	flat_load_ushort v37, v[0:1]
.LBB1860_111:
	s_or_b32 exec_lo, exec_lo, s4
	v_or_b32_e32 v2, 1, v12
	v_cmp_lt_u32_e64 s4, v2, v24
	s_and_saveexec_b32 s5, s4
	s_cbranch_execz .LBB1860_113
; %bb.112:
	flat_load_ushort v36, v[0:1] offset:2
.LBB1860_113:
	s_or_b32 exec_lo, exec_lo, s5
	v_or_b32_e32 v2, 2, v12
	v_mov_b32_e32 v9, 0x7fff
	v_mov_b32_e32 v38, 0x7fff
	v_cmp_lt_u32_e64 s6, v2, v24
	s_and_saveexec_b32 s5, s6
	s_cbranch_execz .LBB1860_115
; %bb.114:
	flat_load_ushort v38, v[0:1] offset:4
.LBB1860_115:
	s_or_b32 exec_lo, exec_lo, s5
	v_or_b32_e32 v2, 3, v12
	v_cmp_lt_u32_e64 s5, v2, v24
	s_and_saveexec_b32 s7, s5
	s_cbranch_execz .LBB1860_117
; %bb.116:
	flat_load_ushort v9, v[0:1] offset:6
.LBB1860_117:
	s_or_b32 exec_lo, exec_lo, s7
	v_lshlrev_b64 v[0:1], 3, v[13:14]
	v_lshlrev_b32_e32 v8, 3, v12
	v_mov_b32_e32 v16, 0
	; wave barrier
	v_add_co_u32 v2, s7, v6, v0
	v_add_co_ci_u32_e64 v3, null, v7, v1, s7
	v_mov_b32_e32 v17, v16
	v_add_co_u32 v2, s7, v2, v8
	v_add_co_ci_u32_e64 v3, null, 0, v3, s7
	v_mov_b32_e32 v18, v16
	v_mov_b32_e32 v19, v16
	;; [unrolled: 1-line block ×6, first 2 shown]
	s_and_saveexec_b32 s7, vcc_lo
	s_cbranch_execnz .LBB1860_223
; %bb.118:
	s_or_b32 exec_lo, exec_lo, s7
	s_and_saveexec_b32 s7, s4
	s_cbranch_execnz .LBB1860_224
.LBB1860_119:
	s_or_b32 exec_lo, exec_lo, s7
	s_and_saveexec_b32 s7, s6
	s_cbranch_execnz .LBB1860_225
.LBB1860_120:
	s_or_b32 exec_lo, exec_lo, s7
	s_and_saveexec_b32 s7, s5
	s_cbranch_execz .LBB1860_122
.LBB1860_121:
	flat_load_dwordx2 v[22:23], v[2:3] offset:24
.LBB1860_122:
	s_or_b32 exec_lo, exec_lo, s7
	; wave barrier
	s_load_dwordx2 s[14:15], s[8:9], 0x0
	v_mov_b32_e32 v2, 0
	v_bfe_u32 v6, v31, 10, 10
	v_bfe_u32 v7, v31, 20, 10
	s_waitcnt lgkmcnt(0)
	s_cmp_lt_u32 s13, s15
	s_cselect_b32 s7, 14, 20
	s_add_u32 s16, s8, s7
	s_addc_u32 s17, s9, 0
	s_cmp_lt_u32 s12, s14
	global_load_ushort v3, v2, s[16:17]
	s_cselect_b32 s7, 12, 18
	s_add_u32 s8, s8, s7
	s_addc_u32 s9, s9, 0
	global_load_ushort v2, v2, s[8:9]
	s_mov_b32 s9, exec_lo
	s_waitcnt vmcnt(1)
	v_mad_u32_u24 v3, v7, v3, v6
	s_waitcnt vmcnt(0)
	v_mul_lo_u32 v2, v3, v2
	v_and_b32_e32 v3, 0x3ff, v31
	v_add_lshl_u32 v2, v2, v3, 2
	v_cmpx_gt_u32_e32 0x400, v2
	s_cbranch_execz .LBB1860_132
; %bb.123:
	v_add_f16_e32 v3, 0, v37
	v_add_f16_e32 v6, 0, v36
	v_add_f16_e32 v7, 0, v38
	v_add_f16_e32 v39, 0, v9
	v_mov_b32_e32 v29, v21
	v_cmp_lt_i16_e64 s7, -1, v3
	v_mov_b32_e32 v31, v23
	v_mov_b32_e32 v28, v20
	;; [unrolled: 1-line block ×3, first 2 shown]
	s_mov_b32 s12, exec_lo
	v_cndmask_b32_e64 v24, -1, 0xffff8000, s7
	v_cmp_lt_i16_e64 s7, -1, v6
	v_xor_b32_e32 v3, v24, v3
	v_cndmask_b32_e64 v25, -1, 0xffff8000, s7
	v_cmp_lt_i16_e64 s7, -1, v7
	v_xor_b32_e32 v6, v25, v6
	v_cndmask_b32_e64 v24, -1, 0xffff8000, s7
	v_cmp_lt_i16_e64 s7, -1, v39
	v_cndmask_b32_e64 v25, -1, 0xffff8000, s7
	v_cmp_gt_u16_e64 s7, v3, v6
	v_xor_b32_e32 v6, v24, v7
	v_mov_b32_e32 v3, v38
	v_xor_b32_e32 v48, v25, v39
	v_cndmask_b32_e64 v27, v19, v17, s7
	v_cndmask_b32_e64 v26, v18, v16, s7
	;; [unrolled: 1-line block ×4, first 2 shown]
	v_cmpx_gt_u16_e64 v6, v48
	s_cbranch_execz .LBB1860_125
; %bb.124:
	v_mov_b32_e32 v29, v23
	v_mov_b32_e32 v31, v21
	;; [unrolled: 1-line block ×8, first 2 shown]
.LBB1860_125:
	s_or_b32 exec_lo, exec_lo, s12
	v_cndmask_b32_e64 v18, v36, v37, s7
	v_add_f16_e32 v16, 0, v18
	v_cmp_lt_i16_e64 s8, -1, v16
	v_cndmask_b32_e64 v17, -1, 0xffff8000, s8
	v_xor_b32_e32 v19, v17, v16
	v_mov_b32_e32 v17, v7
	v_cmp_gt_u16_e64 s8, v19, v6
	v_mov_b32_e32 v6, v18
	s_and_saveexec_b32 s12, s8
	s_xor_b32 s8, exec_lo, s12
	s_cbranch_execz .LBB1860_127
; %bb.126:
	v_mov_b32_e32 v55, v31
	v_mov_b32_e32 v54, v30
	;; [unrolled: 1-line block ×26, first 2 shown]
.LBB1860_127:
	s_or_b32 exec_lo, exec_lo, s8
	v_cndmask_b32_e64 v7, v37, v36, s7
	v_cmp_lt_i16_e64 s7, -1, v16
	v_add_f16_e32 v21, 0, v9
	s_mov_b32 s12, exec_lo
	v_add_f16_e32 v18, 0, v7
	v_cndmask_b32_e64 v19, -1, 0xffff8000, s7
	v_cmp_lt_i16_e64 s7, -1, v18
	v_xor_b32_e32 v16, v19, v16
	v_cndmask_b32_e64 v20, -1, 0xffff8000, s7
	v_cmp_lt_i16_e64 s7, -1, v17
	v_xor_b32_e32 v18, v20, v18
	v_cndmask_b32_e64 v22, -1, 0xffff8000, s7
	v_cmp_lt_i16_e64 s7, -1, v21
	v_mov_b32_e32 v20, v28
	v_xor_b32_e32 v37, v22, v17
	v_cndmask_b32_e64 v23, -1, 0xffff8000, s7
	v_cmp_gt_u16_e64 s7, v18, v16
	v_mov_b32_e32 v22, v30
	v_xor_b32_e32 v36, v23, v21
	v_mov_b32_e32 v21, v29
	v_mov_b32_e32 v23, v31
	v_cndmask_b32_e64 v19, v27, v25, s7
	v_cndmask_b32_e64 v18, v26, v24, s7
	;; [unrolled: 1-line block ×4, first 2 shown]
	v_mov_b32_e32 v24, v3
	v_cmpx_gt_u16_e64 v37, v36
	s_cbranch_execz .LBB1860_129
; %bb.128:
	v_mov_b32_e32 v20, v30
	v_mov_b32_e32 v21, v31
	;; [unrolled: 1-line block ×7, first 2 shown]
.LBB1860_129:
	s_or_b32 exec_lo, exec_lo, s12
	v_cndmask_b32_e64 v36, v6, v7, s7
	v_mov_b32_e32 v38, v24
	s_mov_b32 s12, exec_lo
	v_add_f16_e32 v3, 0, v36
	v_cmp_lt_i16_e64 s8, -1, v3
	v_cndmask_b32_e64 v25, -1, 0xffff8000, s8
	v_xor_b32_e32 v3, v25, v3
	v_cmpx_gt_u16_e64 v3, v37
	s_cbranch_execz .LBB1860_131
; %bb.130:
	v_mov_b32_e32 v48, v16
	v_mov_b32_e32 v49, v17
	;; [unrolled: 1-line block ×18, first 2 shown]
.LBB1860_131:
	s_or_b32 exec_lo, exec_lo, s12
	v_cndmask_b32_e64 v37, v7, v6, s7
.LBB1860_132:
	s_or_b32 exec_lo, exec_lo, s9
	v_and_b32_e32 v2, 0xffffff80, v2
	v_or_b32_e32 v7, 4, v35
	v_mov_b32_e32 v3, 0
	v_and_b32_e32 v39, 0x78, v35
	s_mov_b32 s8, exec_lo
	v_sub_nc_u32_e64 v6, 0x400, v2 clamp
	v_lshlrev_b64 v[24:25], 3, v[2:3]
	v_lshlrev_b64 v[2:3], 1, v[2:3]
	v_min_u32_e32 v30, v6, v7
	v_and_b32_e32 v7, 4, v35
	v_add_co_u32 v24, null, v15, v24
	v_add_nc_u32_e32 v25, 4, v30
	v_add_co_u32 v3, null, v15, v2
	v_add_co_u32 v2, null, 0x800, v24
	v_min_u32_e32 v31, v6, v25
	v_min_u32_e32 v48, v6, v7
	v_sub_nc_u32_e32 v25, v30, v39
	v_lshl_add_u32 v7, v35, 1, v3
	v_lshl_add_u32 v15, v35, 3, v2
	v_sub_nc_u32_e32 v24, v31, v30
	ds_write_b16 v7, v37
	ds_write_b64 v15, v[16:17]
	ds_write_b16 v7, v36 offset:2
	ds_write_b64 v15, v[18:19] offset:8
	ds_write_b16 v7, v38 offset:4
	ds_write_b64 v15, v[20:21] offset:16
	;; [unrolled: 2-line block ×3, first 2 shown]
	v_sub_nc_u32_e64 v49, v48, v24 clamp
	v_min_u32_e32 v24, v48, v25
	; wave barrier
	v_cmpx_lt_u32_e64 v49, v24
	s_cbranch_execz .LBB1860_136
; %bb.133:
	v_lshlrev_b32_e32 v25, 1, v39
	v_lshlrev_b32_e32 v26, 1, v30
	s_mov_b32 s9, 0
	v_add_co_u32 v25, null, v3, v25
	v_add_co_u32 v26, null, v3, v26
	s_inst_prefetch 0x1
	.p2align	6
.LBB1860_134:                           ; =>This Inner Loop Header: Depth=1
	v_add_nc_u32_e32 v27, v24, v49
	v_lshrrev_b32_e32 v28, 1, v27
	v_and_b32_e32 v27, -2, v27
	v_xad_u32 v29, v28, -1, v48
	v_add_nc_u32_e32 v27, v25, v27
	v_lshl_add_u32 v29, v29, 1, v26
	ds_read_u16 v27, v27
	ds_read_u16 v29, v29
	s_waitcnt lgkmcnt(1)
	v_add_f16_e32 v27, 0, v27
	s_waitcnt lgkmcnt(0)
	v_add_f16_e32 v29, 0, v29
	v_cmp_lt_i16_e64 s7, -1, v27
	v_cndmask_b32_e64 v50, -1, 0xffff8000, s7
	v_cmp_lt_i16_e64 s7, -1, v29
	v_xor_b32_e32 v27, v50, v27
	v_cndmask_b32_e64 v51, -1, 0xffff8000, s7
	v_add_nc_u32_e32 v50, 1, v28
	v_xor_b32_e32 v29, v51, v29
	v_cmp_gt_u16_e64 s7, v27, v29
	v_cndmask_b32_e64 v24, v24, v28, s7
	v_cndmask_b32_e64 v49, v50, v49, s7
	v_cmp_ge_u32_e64 s7, v49, v24
	s_or_b32 s9, s7, s9
	s_andn2_b32 exec_lo, exec_lo, s9
	s_cbranch_execnz .LBB1860_134
; %bb.135:
	s_inst_prefetch 0x2
	s_or_b32 exec_lo, exec_lo, s9
.LBB1860_136:
	s_or_b32 exec_lo, exec_lo, s8
	v_add_nc_u32_e32 v48, v30, v48
	v_add_nc_u32_e32 v39, v49, v39
	;; [unrolled: 1-line block ×5, first 2 shown]
	v_sub_nc_u32_e32 v48, v48, v49
	v_cmp_le_u32_e64 s7, v39, v30
	v_add_nc_u32_e32 v28, 16, v15
	v_add_nc_u32_e32 v27, 6, v7
	;; [unrolled: 1-line block ×3, first 2 shown]
	v_cmp_le_u32_e64 s8, v48, v31
	s_or_b32 s7, s7, s8
	s_and_saveexec_b32 s9, s7
	s_cbranch_execz .LBB1860_156
; %bb.137:
	v_cmp_ge_u32_e64 s7, v39, v30
	s_mov_b32 s12, exec_lo
                                        ; implicit-def: $vgpr9
	v_cmpx_lt_u32_e64 v39, v30
; %bb.138:
	v_lshl_add_u32 v9, v39, 1, v3
	ds_read_u16 v9, v9
; %bb.139:
	s_or_b32 exec_lo, exec_lo, s12
	v_cmp_ge_u32_e64 s12, v48, v31
	s_mov_b32 s13, exec_lo
                                        ; implicit-def: $vgpr37
	v_cmpx_lt_u32_e64 v48, v31
; %bb.140:
	v_lshl_add_u32 v16, v48, 1, v3
	ds_read_u16 v37, v16
; %bb.141:
	s_or_b32 exec_lo, exec_lo, s13
	s_nor_b32 s7, s7, s12
	s_and_saveexec_b32 s8, s7
	s_cbranch_execz .LBB1860_143
; %bb.142:
	s_waitcnt lgkmcnt(0)
	v_add_f16_e32 v16, 0, v9
	v_add_f16_e32 v17, 0, v37
	s_andn2_b32 s12, s12, exec_lo
	v_cmp_lt_i16_e64 s7, -1, v16
	v_cndmask_b32_e64 v18, -1, 0xffff8000, s7
	v_cmp_lt_i16_e64 s7, -1, v17
	v_xor_b32_e32 v16, v18, v16
	v_cndmask_b32_e64 v19, -1, 0xffff8000, s7
	v_xor_b32_e32 v17, v19, v17
	v_cmp_le_u16_e64 s7, v16, v17
	s_and_b32 s7, s7, exec_lo
	s_or_b32 s12, s12, s7
.LBB1860_143:
	s_or_b32 exec_lo, exec_lo, s8
	v_cndmask_b32_e64 v16, v48, v39, s12
	v_cndmask_b32_e64 v17, v31, v30, s12
	s_mov_b32 s13, -1
	s_mov_b32 s8, -1
	s_mov_b32 s14, exec_lo
	v_add_nc_u32_e32 v18, 1, v16
	v_add_nc_u32_e32 v17, -1, v17
	v_lshl_add_u32 v16, v16, 3, v2
	v_cndmask_b32_e64 v20, v18, v48, s12
	v_min_u32_e32 v17, v18, v17
	v_cndmask_b32_e64 v21, v39, v18, s12
	v_lshl_add_u32 v17, v17, 1, v3
	ds_read_u16 v19, v17
	ds_read_b64 v[16:17], v16
	s_waitcnt lgkmcnt(1)
	v_cndmask_b32_e64 v36, v19, v37, s12
	v_cndmask_b32_e64 v39, v9, v19, s12
	v_cmpx_lt_u32_e64 v20, v31
	s_cbranch_execz .LBB1860_147
; %bb.144:
	s_mov_b32 s15, 0
	s_mov_b32 s8, exec_lo
	v_cmpx_lt_u32_e64 v21, v30
	s_cbranch_execz .LBB1860_146
; %bb.145:
	v_add_f16_e32 v18, 0, v39
	v_add_f16_e32 v19, 0, v36
	v_cmp_lt_i16_e64 s7, -1, v18
	v_cndmask_b32_e64 v22, -1, 0xffff8000, s7
	v_cmp_lt_i16_e64 s7, -1, v19
	v_xor_b32_e32 v18, v22, v18
	v_cndmask_b32_e64 v23, -1, 0xffff8000, s7
	v_xor_b32_e32 v19, v23, v19
	v_cmp_le_u16_e64 s7, v18, v19
	s_and_b32 s15, s7, exec_lo
.LBB1860_146:
	s_or_b32 exec_lo, exec_lo, s8
	s_orn2_b32 s8, s15, exec_lo
.LBB1860_147:
	s_or_b32 exec_lo, exec_lo, s14
	v_cndmask_b32_e64 v18, v20, v21, s8
	v_cndmask_b32_e64 v19, v31, v30, s8
	s_mov_b32 s14, exec_lo
	v_add_nc_u32_e32 v23, 1, v18
	v_add_nc_u32_e32 v19, -1, v19
	v_lshl_add_u32 v18, v18, 3, v2
	v_cndmask_b32_e64 v22, v23, v20, s8
	v_min_u32_e32 v19, v23, v19
	v_cndmask_b32_e64 v23, v21, v23, s8
	v_lshl_add_u32 v19, v19, 1, v3
	ds_read_u16 v48, v19
	ds_read_b64 v[18:19], v18
	s_waitcnt lgkmcnt(1)
	v_cndmask_b32_e64 v38, v48, v36, s8
	v_cndmask_b32_e64 v48, v39, v48, s8
	v_cmpx_lt_u32_e64 v22, v31
	s_cbranch_execz .LBB1860_151
; %bb.148:
	s_mov_b32 s15, 0
	s_mov_b32 s13, exec_lo
	v_cmpx_lt_u32_e64 v23, v30
	s_cbranch_execz .LBB1860_150
; %bb.149:
	v_add_f16_e32 v20, 0, v48
	v_add_f16_e32 v21, 0, v38
	v_cmp_lt_i16_e64 s7, -1, v20
	v_cndmask_b32_e64 v49, -1, 0xffff8000, s7
	v_cmp_lt_i16_e64 s7, -1, v21
	v_xor_b32_e32 v20, v49, v20
	v_cndmask_b32_e64 v50, -1, 0xffff8000, s7
	v_xor_b32_e32 v21, v50, v21
	v_cmp_le_u16_e64 s7, v20, v21
	s_and_b32 s15, s7, exec_lo
.LBB1860_150:
	s_or_b32 exec_lo, exec_lo, s13
	s_orn2_b32 s13, s15, exec_lo
.LBB1860_151:
	s_or_b32 exec_lo, exec_lo, s14
	v_cndmask_b32_e64 v20, v22, v23, s13
	v_cndmask_b32_e64 v21, v31, v30, s13
	s_mov_b32 s15, -1
	s_mov_b32 s14, exec_lo
	v_add_nc_u32_e32 v49, 1, v20
	v_add_nc_u32_e32 v21, -1, v21
	v_lshl_add_u32 v20, v20, 3, v2
	v_cndmask_b32_e64 v22, v49, v22, s13
	v_min_u32_e32 v21, v49, v21
	v_cndmask_b32_e64 v23, v23, v49, s13
	v_lshl_add_u32 v21, v21, 1, v3
	ds_read_u16 v50, v21
	ds_read_b64 v[20:21], v20
	s_waitcnt lgkmcnt(1)
	v_cndmask_b32_e64 v49, v50, v38, s13
	v_cndmask_b32_e64 v50, v48, v50, s13
	v_cmpx_lt_u32_e64 v22, v31
	s_cbranch_execz .LBB1860_155
; %bb.152:
	s_mov_b32 s16, 0
	s_mov_b32 s15, exec_lo
	v_cmpx_lt_u32_e64 v23, v30
	s_cbranch_execz .LBB1860_154
; %bb.153:
	v_add_f16_e32 v30, 0, v50
	v_add_f16_e32 v31, 0, v49
	v_cmp_lt_i16_e64 s7, -1, v30
	v_cndmask_b32_e64 v51, -1, 0xffff8000, s7
	v_cmp_lt_i16_e64 s7, -1, v31
	v_xor_b32_e32 v30, v51, v30
	v_cndmask_b32_e64 v52, -1, 0xffff8000, s7
	v_xor_b32_e32 v31, v52, v31
	v_cmp_le_u16_e64 s7, v30, v31
	s_and_b32 s16, s7, exec_lo
.LBB1860_154:
	s_or_b32 exec_lo, exec_lo, s15
	s_orn2_b32 s15, s16, exec_lo
.LBB1860_155:
	s_or_b32 exec_lo, exec_lo, s14
	v_cndmask_b32_e64 v22, v22, v23, s15
	v_cndmask_b32_e64 v38, v38, v48, s13
	;; [unrolled: 1-line block ×5, first 2 shown]
	v_lshl_add_u32 v22, v22, 3, v2
	ds_read_b64 v[22:23], v22
.LBB1860_156:
	s_or_b32 exec_lo, exec_lo, s9
	v_and_b32_e32 v39, 0x70, v35
	v_and_b32_e32 v48, 12, v35
	s_mov_b32 s8, exec_lo
	; wave barrier
	v_or_b32_e32 v30, 8, v39
	v_min_u32_e32 v48, v6, v48
	ds_write_b16 v7, v37
	ds_write_b64 v15, v[16:17]
	ds_write_b16 v24, v36
	ds_write_b64 v25, v[18:19]
	ds_write_b16 v26, v38
	s_waitcnt lgkmcnt(6)
	ds_write_b64 v28, v[20:21]
	ds_write_b16 v27, v9
	s_waitcnt lgkmcnt(7)
	ds_write_b64 v29, v[22:23]
	v_min_u32_e32 v30, v6, v30
	; wave barrier
	v_add_nc_u32_e32 v31, 8, v30
	v_sub_nc_u32_e32 v50, v30, v39
	v_min_u32_e32 v31, v6, v31
	v_min_u32_e32 v50, v48, v50
	v_sub_nc_u32_e32 v49, v31, v30
	v_sub_nc_u32_e64 v49, v48, v49 clamp
	v_cmpx_lt_u32_e64 v49, v50
	s_cbranch_execz .LBB1860_160
; %bb.157:
	v_lshlrev_b32_e32 v51, 1, v39
	v_lshlrev_b32_e32 v52, 1, v30
	s_mov_b32 s9, 0
	v_add_co_u32 v51, null, v3, v51
	v_add_co_u32 v52, null, v3, v52
	s_inst_prefetch 0x1
	.p2align	6
.LBB1860_158:                           ; =>This Inner Loop Header: Depth=1
	v_add_nc_u32_e32 v53, v50, v49
	v_lshrrev_b32_e32 v54, 1, v53
	v_and_b32_e32 v53, -2, v53
	v_xad_u32 v55, v54, -1, v48
	v_add_nc_u32_e32 v53, v51, v53
	v_lshl_add_u32 v55, v55, 1, v52
	ds_read_u16 v53, v53
	ds_read_u16 v55, v55
	s_waitcnt lgkmcnt(1)
	v_add_f16_e32 v53, 0, v53
	s_waitcnt lgkmcnt(0)
	v_add_f16_e32 v55, 0, v55
	v_cmp_lt_i16_e64 s7, -1, v53
	v_cndmask_b32_e64 v64, -1, 0xffff8000, s7
	v_cmp_lt_i16_e64 s7, -1, v55
	v_xor_b32_e32 v53, v64, v53
	v_cndmask_b32_e64 v65, -1, 0xffff8000, s7
	v_add_nc_u32_e32 v64, 1, v54
	v_xor_b32_e32 v55, v65, v55
	v_cmp_gt_u16_e64 s7, v53, v55
	v_cndmask_b32_e64 v50, v50, v54, s7
	v_cndmask_b32_e64 v49, v64, v49, s7
	v_cmp_ge_u32_e64 s7, v49, v50
	s_or_b32 s9, s7, s9
	s_andn2_b32 exec_lo, exec_lo, s9
	s_cbranch_execnz .LBB1860_158
; %bb.159:
	s_inst_prefetch 0x2
	s_or_b32 exec_lo, exec_lo, s9
.LBB1860_160:
	s_or_b32 exec_lo, exec_lo, s8
	v_add_nc_u32_e32 v48, v30, v48
	v_add_nc_u32_e32 v39, v49, v39
	v_sub_nc_u32_e32 v48, v48, v49
	v_cmp_le_u32_e64 s7, v39, v30
	v_cmp_le_u32_e64 s8, v48, v31
	s_or_b32 s7, s7, s8
	s_and_saveexec_b32 s9, s7
	s_cbranch_execz .LBB1860_180
; %bb.161:
	v_cmp_ge_u32_e64 s7, v39, v30
	s_mov_b32 s12, exec_lo
                                        ; implicit-def: $vgpr9
	v_cmpx_lt_u32_e64 v39, v30
; %bb.162:
	v_lshl_add_u32 v9, v39, 1, v3
	ds_read_u16 v9, v9
; %bb.163:
	s_or_b32 exec_lo, exec_lo, s12
	v_cmp_ge_u32_e64 s12, v48, v31
	s_mov_b32 s13, exec_lo
                                        ; implicit-def: $vgpr37
	v_cmpx_lt_u32_e64 v48, v31
; %bb.164:
	v_lshl_add_u32 v16, v48, 1, v3
	ds_read_u16 v37, v16
; %bb.165:
	s_or_b32 exec_lo, exec_lo, s13
	s_nor_b32 s7, s7, s12
	s_and_saveexec_b32 s8, s7
	s_cbranch_execz .LBB1860_167
; %bb.166:
	s_waitcnt lgkmcnt(0)
	v_add_f16_e32 v16, 0, v9
	v_add_f16_e32 v17, 0, v37
	s_andn2_b32 s12, s12, exec_lo
	v_cmp_lt_i16_e64 s7, -1, v16
	v_cndmask_b32_e64 v18, -1, 0xffff8000, s7
	v_cmp_lt_i16_e64 s7, -1, v17
	v_xor_b32_e32 v16, v18, v16
	v_cndmask_b32_e64 v19, -1, 0xffff8000, s7
	v_xor_b32_e32 v17, v19, v17
	v_cmp_le_u16_e64 s7, v16, v17
	s_and_b32 s7, s7, exec_lo
	s_or_b32 s12, s12, s7
.LBB1860_167:
	s_or_b32 exec_lo, exec_lo, s8
	v_cndmask_b32_e64 v16, v48, v39, s12
	v_cndmask_b32_e64 v17, v31, v30, s12
	s_mov_b32 s13, -1
	s_mov_b32 s8, -1
	s_mov_b32 s14, exec_lo
	v_add_nc_u32_e32 v18, 1, v16
	v_add_nc_u32_e32 v17, -1, v17
	v_lshl_add_u32 v16, v16, 3, v2
	v_cndmask_b32_e64 v20, v18, v48, s12
	v_min_u32_e32 v17, v18, v17
	v_cndmask_b32_e64 v21, v39, v18, s12
	v_lshl_add_u32 v17, v17, 1, v3
	ds_read_u16 v19, v17
	ds_read_b64 v[16:17], v16
	s_waitcnt lgkmcnt(1)
	v_cndmask_b32_e64 v36, v19, v37, s12
	v_cndmask_b32_e64 v39, v9, v19, s12
	v_cmpx_lt_u32_e64 v20, v31
	s_cbranch_execz .LBB1860_171
; %bb.168:
	s_mov_b32 s15, 0
	s_mov_b32 s8, exec_lo
	v_cmpx_lt_u32_e64 v21, v30
	s_cbranch_execz .LBB1860_170
; %bb.169:
	v_add_f16_e32 v18, 0, v39
	v_add_f16_e32 v19, 0, v36
	v_cmp_lt_i16_e64 s7, -1, v18
	v_cndmask_b32_e64 v22, -1, 0xffff8000, s7
	v_cmp_lt_i16_e64 s7, -1, v19
	v_xor_b32_e32 v18, v22, v18
	v_cndmask_b32_e64 v23, -1, 0xffff8000, s7
	v_xor_b32_e32 v19, v23, v19
	v_cmp_le_u16_e64 s7, v18, v19
	s_and_b32 s15, s7, exec_lo
.LBB1860_170:
	s_or_b32 exec_lo, exec_lo, s8
	s_orn2_b32 s8, s15, exec_lo
.LBB1860_171:
	s_or_b32 exec_lo, exec_lo, s14
	v_cndmask_b32_e64 v18, v20, v21, s8
	v_cndmask_b32_e64 v19, v31, v30, s8
	s_mov_b32 s14, exec_lo
	v_add_nc_u32_e32 v23, 1, v18
	v_add_nc_u32_e32 v19, -1, v19
	v_lshl_add_u32 v18, v18, 3, v2
	v_cndmask_b32_e64 v22, v23, v20, s8
	v_min_u32_e32 v19, v23, v19
	v_cndmask_b32_e64 v23, v21, v23, s8
	v_lshl_add_u32 v19, v19, 1, v3
	ds_read_u16 v48, v19
	ds_read_b64 v[18:19], v18
	s_waitcnt lgkmcnt(1)
	v_cndmask_b32_e64 v38, v48, v36, s8
	v_cndmask_b32_e64 v48, v39, v48, s8
	v_cmpx_lt_u32_e64 v22, v31
	s_cbranch_execz .LBB1860_175
; %bb.172:
	s_mov_b32 s15, 0
	s_mov_b32 s13, exec_lo
	v_cmpx_lt_u32_e64 v23, v30
	s_cbranch_execz .LBB1860_174
; %bb.173:
	v_add_f16_e32 v20, 0, v48
	v_add_f16_e32 v21, 0, v38
	v_cmp_lt_i16_e64 s7, -1, v20
	v_cndmask_b32_e64 v49, -1, 0xffff8000, s7
	v_cmp_lt_i16_e64 s7, -1, v21
	v_xor_b32_e32 v20, v49, v20
	v_cndmask_b32_e64 v50, -1, 0xffff8000, s7
	v_xor_b32_e32 v21, v50, v21
	v_cmp_le_u16_e64 s7, v20, v21
	s_and_b32 s15, s7, exec_lo
.LBB1860_174:
	s_or_b32 exec_lo, exec_lo, s13
	s_orn2_b32 s13, s15, exec_lo
.LBB1860_175:
	s_or_b32 exec_lo, exec_lo, s14
	v_cndmask_b32_e64 v20, v22, v23, s13
	v_cndmask_b32_e64 v21, v31, v30, s13
	s_mov_b32 s15, -1
	s_mov_b32 s14, exec_lo
	v_add_nc_u32_e32 v49, 1, v20
	v_add_nc_u32_e32 v21, -1, v21
	v_lshl_add_u32 v20, v20, 3, v2
	v_cndmask_b32_e64 v22, v49, v22, s13
	v_min_u32_e32 v21, v49, v21
	v_cndmask_b32_e64 v23, v23, v49, s13
	v_lshl_add_u32 v21, v21, 1, v3
	ds_read_u16 v50, v21
	ds_read_b64 v[20:21], v20
	s_waitcnt lgkmcnt(1)
	v_cndmask_b32_e64 v49, v50, v38, s13
	v_cndmask_b32_e64 v50, v48, v50, s13
	v_cmpx_lt_u32_e64 v22, v31
	s_cbranch_execz .LBB1860_179
; %bb.176:
	s_mov_b32 s16, 0
	s_mov_b32 s15, exec_lo
	v_cmpx_lt_u32_e64 v23, v30
	s_cbranch_execz .LBB1860_178
; %bb.177:
	v_add_f16_e32 v30, 0, v50
	v_add_f16_e32 v31, 0, v49
	v_cmp_lt_i16_e64 s7, -1, v30
	v_cndmask_b32_e64 v51, -1, 0xffff8000, s7
	v_cmp_lt_i16_e64 s7, -1, v31
	v_xor_b32_e32 v30, v51, v30
	v_cndmask_b32_e64 v52, -1, 0xffff8000, s7
	v_xor_b32_e32 v31, v52, v31
	v_cmp_le_u16_e64 s7, v30, v31
	s_and_b32 s16, s7, exec_lo
.LBB1860_178:
	s_or_b32 exec_lo, exec_lo, s15
	s_orn2_b32 s15, s16, exec_lo
.LBB1860_179:
	s_or_b32 exec_lo, exec_lo, s14
	v_cndmask_b32_e64 v22, v22, v23, s15
	v_cndmask_b32_e64 v38, v38, v48, s13
	;; [unrolled: 1-line block ×5, first 2 shown]
	v_lshl_add_u32 v22, v22, 3, v2
	ds_read_b64 v[22:23], v22
.LBB1860_180:
	s_or_b32 exec_lo, exec_lo, s9
	v_and_b32_e32 v35, 0x60, v35
	; wave barrier
	ds_write_b16 v7, v37
	ds_write_b64 v15, v[16:17]
	s_mov_b32 s8, exec_lo
	v_or_b32_e32 v30, 16, v35
	ds_write_b16 v24, v36
	ds_write_b64 v25, v[18:19]
	ds_write_b16 v26, v38
	s_waitcnt lgkmcnt(6)
	ds_write_b64 v28, v[20:21]
	ds_write_b16 v27, v9
	s_waitcnt lgkmcnt(7)
	ds_write_b64 v29, v[22:23]
	; wave barrier
	v_min_u32_e32 v30, v6, v30
	v_add_nc_u32_e32 v31, 16, v30
	v_sub_nc_u32_e32 v48, v30, v35
	v_min_u32_e32 v31, v6, v31
	v_min_u32_e32 v6, v6, v12
	v_sub_nc_u32_e32 v39, v31, v30
	v_min_u32_e32 v15, v6, v48
	v_sub_nc_u32_e64 v7, v6, v39 clamp
	v_cmpx_lt_u32_e64 v7, v15
	s_cbranch_execz .LBB1860_184
; %bb.181:
	v_lshlrev_b32_e32 v24, 1, v35
	v_lshlrev_b32_e32 v25, 1, v30
	s_mov_b32 s9, 0
	v_add_co_u32 v24, null, v3, v24
	v_add_co_u32 v25, null, v3, v25
	s_inst_prefetch 0x1
	.p2align	6
.LBB1860_182:                           ; =>This Inner Loop Header: Depth=1
	v_add_nc_u32_e32 v26, v15, v7
	v_lshrrev_b32_e32 v27, 1, v26
	v_and_b32_e32 v26, -2, v26
	v_xad_u32 v28, v27, -1, v6
	v_add_nc_u32_e32 v26, v24, v26
	v_lshl_add_u32 v28, v28, 1, v25
	ds_read_u16 v26, v26
	ds_read_u16 v28, v28
	s_waitcnt lgkmcnt(1)
	v_add_f16_e32 v26, 0, v26
	s_waitcnt lgkmcnt(0)
	v_add_f16_e32 v28, 0, v28
	v_cmp_lt_i16_e64 s7, -1, v26
	v_cndmask_b32_e64 v29, -1, 0xffff8000, s7
	v_cmp_lt_i16_e64 s7, -1, v28
	v_xor_b32_e32 v26, v29, v26
	v_cndmask_b32_e64 v39, -1, 0xffff8000, s7
	v_add_nc_u32_e32 v29, 1, v27
	v_xor_b32_e32 v28, v39, v28
	v_cmp_gt_u16_e64 s7, v26, v28
	v_cndmask_b32_e64 v15, v15, v27, s7
	v_cndmask_b32_e64 v7, v29, v7, s7
	v_cmp_ge_u32_e64 s7, v7, v15
	s_or_b32 s9, s7, s9
	s_andn2_b32 exec_lo, exec_lo, s9
	s_cbranch_execnz .LBB1860_182
; %bb.183:
	s_inst_prefetch 0x2
	s_or_b32 exec_lo, exec_lo, s9
.LBB1860_184:
	s_or_b32 exec_lo, exec_lo, s8
	v_add_nc_u32_e32 v6, v30, v6
	v_add_nc_u32_e32 v15, v7, v35
	v_sub_nc_u32_e32 v24, v6, v7
	v_cmp_le_u32_e64 s7, v15, v30
	v_cmp_le_u32_e64 s8, v24, v31
	s_or_b32 s7, s7, s8
	s_and_saveexec_b32 s9, s7
	s_cbranch_execz .LBB1860_204
; %bb.185:
	v_cmp_ge_u32_e64 s7, v15, v30
	s_mov_b32 s12, exec_lo
                                        ; implicit-def: $vgpr6
	v_cmpx_lt_u32_e64 v15, v30
; %bb.186:
	v_lshl_add_u32 v6, v15, 1, v3
	ds_read_u16 v6, v6
; %bb.187:
	s_or_b32 exec_lo, exec_lo, s12
	v_cmp_ge_u32_e64 s12, v24, v31
	s_mov_b32 s13, exec_lo
                                        ; implicit-def: $vgpr7
	v_cmpx_lt_u32_e64 v24, v31
; %bb.188:
	v_lshl_add_u32 v7, v24, 1, v3
	ds_read_u16 v7, v7
; %bb.189:
	s_or_b32 exec_lo, exec_lo, s13
	s_nor_b32 s7, s7, s12
	s_and_saveexec_b32 s8, s7
	s_cbranch_execz .LBB1860_191
; %bb.190:
	s_waitcnt lgkmcnt(0)
	v_add_f16_e32 v9, 0, v6
	v_add_f16_e32 v16, 0, v7
	s_andn2_b32 s12, s12, exec_lo
	v_cmp_lt_i16_e64 s7, -1, v9
	v_cndmask_b32_e64 v17, -1, 0xffff8000, s7
	v_cmp_lt_i16_e64 s7, -1, v16
	v_xor_b32_e32 v9, v17, v9
	v_cndmask_b32_e64 v18, -1, 0xffff8000, s7
	v_xor_b32_e32 v16, v18, v16
	v_cmp_le_u16_e64 s7, v9, v16
	s_and_b32 s7, s7, exec_lo
	s_or_b32 s12, s12, s7
.LBB1860_191:
	s_or_b32 exec_lo, exec_lo, s8
	v_cndmask_b32_e64 v9, v24, v15, s12
	v_cndmask_b32_e64 v16, v31, v30, s12
	s_mov_b32 s13, -1
	s_mov_b32 s8, -1
	s_mov_b32 s14, exec_lo
	v_add_nc_u32_e32 v18, 1, v9
	v_add_nc_u32_e32 v16, -1, v16
	v_lshl_add_u32 v9, v9, 3, v2
	v_cndmask_b32_e64 v20, v18, v24, s12
	v_min_u32_e32 v16, v18, v16
	v_cndmask_b32_e64 v21, v15, v18, s12
	v_lshl_add_u32 v16, v16, 1, v3
	ds_read_u16 v19, v16
	ds_read_b64 v[16:17], v9
	s_waitcnt lgkmcnt(1)
	v_cndmask_b32_e64 v9, v19, v7, s12
	v_cndmask_b32_e64 v15, v6, v19, s12
	v_cmpx_lt_u32_e64 v20, v31
	s_cbranch_execz .LBB1860_195
; %bb.192:
	s_mov_b32 s15, 0
	s_mov_b32 s8, exec_lo
	v_cmpx_lt_u32_e64 v21, v30
	s_cbranch_execz .LBB1860_194
; %bb.193:
	v_add_f16_e32 v18, 0, v15
	v_add_f16_e32 v19, 0, v9
	v_cmp_lt_i16_e64 s7, -1, v18
	v_cndmask_b32_e64 v22, -1, 0xffff8000, s7
	v_cmp_lt_i16_e64 s7, -1, v19
	v_xor_b32_e32 v18, v22, v18
	v_cndmask_b32_e64 v23, -1, 0xffff8000, s7
	v_xor_b32_e32 v19, v23, v19
	v_cmp_le_u16_e64 s7, v18, v19
	s_and_b32 s15, s7, exec_lo
.LBB1860_194:
	s_or_b32 exec_lo, exec_lo, s8
	s_orn2_b32 s8, s15, exec_lo
.LBB1860_195:
	s_or_b32 exec_lo, exec_lo, s14
	v_cndmask_b32_e64 v18, v20, v21, s8
	v_cndmask_b32_e64 v19, v31, v30, s8
	s_mov_b32 s14, exec_lo
	v_add_nc_u32_e32 v23, 1, v18
	v_add_nc_u32_e32 v19, -1, v19
	v_lshl_add_u32 v18, v18, 3, v2
	v_cndmask_b32_e64 v22, v23, v20, s8
	v_min_u32_e32 v19, v23, v19
	v_cndmask_b32_e64 v23, v21, v23, s8
	v_lshl_add_u32 v19, v19, 1, v3
	ds_read_u16 v25, v19
	ds_read_b64 v[18:19], v18
	s_waitcnt lgkmcnt(1)
	v_cndmask_b32_e64 v24, v25, v9, s8
	v_cndmask_b32_e64 v25, v15, v25, s8
	v_cmpx_lt_u32_e64 v22, v31
	s_cbranch_execz .LBB1860_199
; %bb.196:
	s_mov_b32 s15, 0
	s_mov_b32 s13, exec_lo
	v_cmpx_lt_u32_e64 v23, v30
	s_cbranch_execz .LBB1860_198
; %bb.197:
	v_add_f16_e32 v20, 0, v25
	v_add_f16_e32 v21, 0, v24
	v_cmp_lt_i16_e64 s7, -1, v20
	v_cndmask_b32_e64 v26, -1, 0xffff8000, s7
	v_cmp_lt_i16_e64 s7, -1, v21
	v_xor_b32_e32 v20, v26, v20
	v_cndmask_b32_e64 v27, -1, 0xffff8000, s7
	v_xor_b32_e32 v21, v27, v21
	v_cmp_le_u16_e64 s7, v20, v21
	s_and_b32 s15, s7, exec_lo
.LBB1860_198:
	s_or_b32 exec_lo, exec_lo, s13
	s_orn2_b32 s13, s15, exec_lo
.LBB1860_199:
	s_or_b32 exec_lo, exec_lo, s14
	v_cndmask_b32_e64 v20, v22, v23, s13
	v_cndmask_b32_e64 v21, v31, v30, s13
	s_mov_b32 s15, -1
	s_mov_b32 s14, exec_lo
	v_add_nc_u32_e32 v26, 1, v20
	v_add_nc_u32_e32 v21, -1, v21
	v_cndmask_b32_e64 v22, v26, v22, s13
	v_min_u32_e32 v21, v26, v21
	v_cndmask_b32_e64 v23, v23, v26, s13
	v_lshl_add_u32 v3, v21, 1, v3
	ds_read_u16 v27, v3
	v_lshl_add_u32 v3, v20, 3, v2
	ds_read_b64 v[20:21], v3
	s_waitcnt lgkmcnt(1)
	v_cndmask_b32_e64 v3, v27, v24, s13
	v_cndmask_b32_e64 v26, v25, v27, s13
	v_cmpx_lt_u32_e64 v22, v31
	s_cbranch_execz .LBB1860_203
; %bb.200:
	s_mov_b32 s16, 0
	s_mov_b32 s15, exec_lo
	v_cmpx_lt_u32_e64 v23, v30
	s_cbranch_execz .LBB1860_202
; %bb.201:
	v_add_f16_e32 v27, 0, v26
	v_add_f16_e32 v28, 0, v3
	v_cmp_lt_i16_e64 s7, -1, v27
	v_cndmask_b32_e64 v29, -1, 0xffff8000, s7
	v_cmp_lt_i16_e64 s7, -1, v28
	v_xor_b32_e32 v27, v29, v27
	v_cndmask_b32_e64 v30, -1, 0xffff8000, s7
	v_xor_b32_e32 v28, v30, v28
	v_cmp_le_u16_e64 s7, v27, v28
	s_and_b32 s16, s7, exec_lo
.LBB1860_202:
	s_or_b32 exec_lo, exec_lo, s15
	s_orn2_b32 s15, s16, exec_lo
.LBB1860_203:
	s_or_b32 exec_lo, exec_lo, s14
	v_cndmask_b32_e64 v22, v22, v23, s15
	v_cndmask_b32_e64 v38, v24, v25, s13
	;; [unrolled: 1-line block ×5, first 2 shown]
	v_lshl_add_u32 v2, v22, 3, v2
	ds_read_b64 v[22:23], v2
.LBB1860_204:
	s_or_b32 exec_lo, exec_lo, s9
	v_add_co_u32 v2, s7, v4, v32
	v_add_co_ci_u32_e64 v3, null, v5, v33, s7
	v_add_co_u32 v2, s7, v2, v34
	v_add_co_ci_u32_e64 v3, null, 0, v3, s7
	; wave barrier
	s_waitcnt lgkmcnt(0)
	s_waitcnt_vscnt null, 0x0
	s_barrier
	buffer_gl0_inv
	; wave barrier
	s_and_saveexec_b32 s7, vcc_lo
	s_cbranch_execnz .LBB1860_226
; %bb.205:
	s_or_b32 exec_lo, exec_lo, s7
	s_and_saveexec_b32 s7, s4
	s_cbranch_execnz .LBB1860_227
.LBB1860_206:
	s_or_b32 exec_lo, exec_lo, s7
	s_and_saveexec_b32 s7, s6
	s_cbranch_execnz .LBB1860_228
.LBB1860_207:
	s_or_b32 exec_lo, exec_lo, s7
	s_and_saveexec_b32 s7, s5
	s_cbranch_execz .LBB1860_209
.LBB1860_208:
	flat_store_short v[2:3], v9 offset:6
.LBB1860_209:
	s_or_b32 exec_lo, exec_lo, s7
	v_add_co_u32 v0, s7, v10, v0
	v_add_co_ci_u32_e64 v1, null, v11, v1, s7
	v_add_co_u32 v0, s7, v0, v8
	v_add_co_ci_u32_e64 v1, null, 0, v1, s7
	; wave barrier
	s_and_saveexec_b32 s7, vcc_lo
	s_cbranch_execnz .LBB1860_229
; %bb.210:
	s_or_b32 exec_lo, exec_lo, s7
	s_and_saveexec_b32 s7, s4
	s_cbranch_execnz .LBB1860_230
.LBB1860_211:
	s_or_b32 exec_lo, exec_lo, s7
	s_and_saveexec_b32 s4, s6
	s_cbranch_execz .LBB1860_213
.LBB1860_212:
	flat_store_dwordx2 v[0:1], v[20:21] offset:16
.LBB1860_213:
	s_or_b32 exec_lo, exec_lo, s4
	v_mov_b32_e32 v8, v10
	v_mov_b32_e32 v9, v11
	s_andn2_b32 s4, s10, exec_lo
	s_and_b32 s5, s5, exec_lo
	s_or_b32 s10, s4, s5
	s_or_b32 exec_lo, exec_lo, s11
	s_and_saveexec_b32 s4, s10
	s_cbranch_execz .LBB1860_3
.LBB1860_214:
	v_lshlrev_b64 v[0:1], 3, v[13:14]
	v_lshlrev_b32_e32 v2, 3, v12
	v_add_co_u32 v0, vcc_lo, v8, v0
	v_add_co_ci_u32_e64 v1, null, v9, v1, vcc_lo
	v_add_co_u32 v0, vcc_lo, v0, v2
	v_add_co_ci_u32_e64 v1, null, 0, v1, vcc_lo
	flat_store_dwordx2 v[0:1], v[22:23] offset:24
	s_or_b32 exec_lo, exec_lo, s4
	s_waitcnt lgkmcnt(0)
	s_setpc_b64 s[30:31]
.LBB1860_215:
	flat_load_dwordx2 v[17:18], v[4:5]
	v_mov_b32_e32 v24, v16
	v_mov_b32_e32 v19, v16
	;; [unrolled: 1-line block ×6, first 2 shown]
	s_waitcnt vmcnt(0) lgkmcnt(0)
	v_mov_b32_e32 v16, v17
	v_mov_b32_e32 v17, v18
	;; [unrolled: 1-line block ×8, first 2 shown]
	s_or_b32 exec_lo, exec_lo, s7
	s_and_saveexec_b32 s7, s4
	s_cbranch_execz .LBB1860_14
.LBB1860_216:
	flat_load_dwordx2 v[18:19], v[4:5] offset:8
	s_or_b32 exec_lo, exec_lo, s7
	s_and_saveexec_b32 s7, s5
	s_cbranch_execz .LBB1860_15
.LBB1860_217:
	flat_load_dwordx2 v[20:21], v[4:5] offset:16
	s_or_b32 exec_lo, exec_lo, s7
	s_and_saveexec_b32 s7, s6
	s_cbranch_execnz .LBB1860_16
	s_branch .LBB1860_17
.LBB1860_218:
	flat_store_short v[2:3], v37
	s_or_b32 exec_lo, exec_lo, s7
	s_and_saveexec_b32 s7, s4
	s_cbranch_execz .LBB1860_101
.LBB1860_219:
	flat_store_short v[2:3], v36 offset:2
	s_or_b32 exec_lo, exec_lo, s7
	s_and_saveexec_b32 s7, s5
	s_cbranch_execz .LBB1860_102
.LBB1860_220:
	flat_store_short v[2:3], v38 offset:4
	s_or_b32 exec_lo, exec_lo, s7
	s_and_saveexec_b32 s7, s6
	s_cbranch_execnz .LBB1860_103
	s_branch .LBB1860_104
.LBB1860_221:
	flat_store_dwordx2 v[0:1], v[16:17]
	s_or_b32 exec_lo, exec_lo, s7
	s_and_saveexec_b32 s7, s4
	s_cbranch_execz .LBB1860_106
.LBB1860_222:
	flat_store_dwordx2 v[0:1], v[18:19] offset:8
	s_or_b32 exec_lo, exec_lo, s7
	s_and_saveexec_b32 s4, s5
	s_cbranch_execnz .LBB1860_107
	s_branch .LBB1860_108
.LBB1860_223:
	flat_load_dwordx2 v[17:18], v[2:3]
	v_mov_b32_e32 v24, v16
	v_mov_b32_e32 v19, v16
	;; [unrolled: 1-line block ×6, first 2 shown]
	s_waitcnt vmcnt(0) lgkmcnt(0)
	v_mov_b32_e32 v16, v17
	v_mov_b32_e32 v17, v18
	;; [unrolled: 1-line block ×8, first 2 shown]
	s_or_b32 exec_lo, exec_lo, s7
	s_and_saveexec_b32 s7, s4
	s_cbranch_execz .LBB1860_119
.LBB1860_224:
	flat_load_dwordx2 v[18:19], v[2:3] offset:8
	s_or_b32 exec_lo, exec_lo, s7
	s_and_saveexec_b32 s7, s6
	s_cbranch_execz .LBB1860_120
.LBB1860_225:
	flat_load_dwordx2 v[20:21], v[2:3] offset:16
	s_or_b32 exec_lo, exec_lo, s7
	s_and_saveexec_b32 s7, s5
	s_cbranch_execnz .LBB1860_121
	s_branch .LBB1860_122
.LBB1860_226:
	flat_store_short v[2:3], v37
	s_or_b32 exec_lo, exec_lo, s7
	s_and_saveexec_b32 s7, s4
	s_cbranch_execz .LBB1860_206
.LBB1860_227:
	flat_store_short v[2:3], v36 offset:2
	s_or_b32 exec_lo, exec_lo, s7
	s_and_saveexec_b32 s7, s6
	s_cbranch_execz .LBB1860_207
.LBB1860_228:
	flat_store_short v[2:3], v38 offset:4
	s_or_b32 exec_lo, exec_lo, s7
	s_and_saveexec_b32 s7, s5
	s_cbranch_execnz .LBB1860_208
	s_branch .LBB1860_209
.LBB1860_229:
	flat_store_dwordx2 v[0:1], v[16:17]
	s_or_b32 exec_lo, exec_lo, s7
	s_and_saveexec_b32 s7, s4
	s_cbranch_execz .LBB1860_211
.LBB1860_230:
	flat_store_dwordx2 v[0:1], v[18:19] offset:8
	s_or_b32 exec_lo, exec_lo, s7
	s_and_saveexec_b32 s4, s6
	s_cbranch_execnz .LBB1860_212
	s_branch .LBB1860_213
.Lfunc_end1860:
	.size	_ZN7rocprim17ROCPRIM_400000_NS6detail26segmented_warp_sort_helperINS1_20WarpSortHelperConfigILj8ELj4ELj256EEE6__halflLi256ELb0EvE4sortIPKS5_PS5_PKlPlEEvT_SA_T0_T1_SD_T2_bjjjjRNS6_12storage_typeE, .Lfunc_end1860-_ZN7rocprim17ROCPRIM_400000_NS6detail26segmented_warp_sort_helperINS1_20WarpSortHelperConfigILj8ELj4ELj256EEE6__halflLi256ELb0EvE4sortIPKS5_PS5_PKlPlEEvT_SA_T0_T1_SD_T2_bjjjjRNS6_12storage_typeE
                                        ; -- End function
	.set .L_ZN7rocprim17ROCPRIM_400000_NS6detail26segmented_warp_sort_helperINS1_20WarpSortHelperConfigILj8ELj4ELj256EEE6__halflLi256ELb0EvE4sortIPKS5_PS5_PKlPlEEvT_SA_T0_T1_SD_T2_bjjjjRNS6_12storage_typeE.num_vgpr, 66
	.set .L_ZN7rocprim17ROCPRIM_400000_NS6detail26segmented_warp_sort_helperINS1_20WarpSortHelperConfigILj8ELj4ELj256EEE6__halflLi256ELb0EvE4sortIPKS5_PS5_PKlPlEEvT_SA_T0_T1_SD_T2_bjjjjRNS6_12storage_typeE.num_agpr, 0
	.set .L_ZN7rocprim17ROCPRIM_400000_NS6detail26segmented_warp_sort_helperINS1_20WarpSortHelperConfigILj8ELj4ELj256EEE6__halflLi256ELb0EvE4sortIPKS5_PS5_PKlPlEEvT_SA_T0_T1_SD_T2_bjjjjRNS6_12storage_typeE.numbered_sgpr, 32
	.set .L_ZN7rocprim17ROCPRIM_400000_NS6detail26segmented_warp_sort_helperINS1_20WarpSortHelperConfigILj8ELj4ELj256EEE6__halflLi256ELb0EvE4sortIPKS5_PS5_PKlPlEEvT_SA_T0_T1_SD_T2_bjjjjRNS6_12storage_typeE.num_named_barrier, 0
	.set .L_ZN7rocprim17ROCPRIM_400000_NS6detail26segmented_warp_sort_helperINS1_20WarpSortHelperConfigILj8ELj4ELj256EEE6__halflLi256ELb0EvE4sortIPKS5_PS5_PKlPlEEvT_SA_T0_T1_SD_T2_bjjjjRNS6_12storage_typeE.private_seg_size, 0
	.set .L_ZN7rocprim17ROCPRIM_400000_NS6detail26segmented_warp_sort_helperINS1_20WarpSortHelperConfigILj8ELj4ELj256EEE6__halflLi256ELb0EvE4sortIPKS5_PS5_PKlPlEEvT_SA_T0_T1_SD_T2_bjjjjRNS6_12storage_typeE.uses_vcc, 1
	.set .L_ZN7rocprim17ROCPRIM_400000_NS6detail26segmented_warp_sort_helperINS1_20WarpSortHelperConfigILj8ELj4ELj256EEE6__halflLi256ELb0EvE4sortIPKS5_PS5_PKlPlEEvT_SA_T0_T1_SD_T2_bjjjjRNS6_12storage_typeE.uses_flat_scratch, 0
	.set .L_ZN7rocprim17ROCPRIM_400000_NS6detail26segmented_warp_sort_helperINS1_20WarpSortHelperConfigILj8ELj4ELj256EEE6__halflLi256ELb0EvE4sortIPKS5_PS5_PKlPlEEvT_SA_T0_T1_SD_T2_bjjjjRNS6_12storage_typeE.has_dyn_sized_stack, 0
	.set .L_ZN7rocprim17ROCPRIM_400000_NS6detail26segmented_warp_sort_helperINS1_20WarpSortHelperConfigILj8ELj4ELj256EEE6__halflLi256ELb0EvE4sortIPKS5_PS5_PKlPlEEvT_SA_T0_T1_SD_T2_bjjjjRNS6_12storage_typeE.has_recursion, 0
	.set .L_ZN7rocprim17ROCPRIM_400000_NS6detail26segmented_warp_sort_helperINS1_20WarpSortHelperConfigILj8ELj4ELj256EEE6__halflLi256ELb0EvE4sortIPKS5_PS5_PKlPlEEvT_SA_T0_T1_SD_T2_bjjjjRNS6_12storage_typeE.has_indirect_call, 0
	.section	.AMDGPU.csdata,"",@progbits
; Function info:
; codeLenInByte = 11440
; TotalNumSgprs: 34
; NumVgprs: 66
; ScratchSize: 0
; MemoryBound: 1
	.section	.text._ZN7rocprim17ROCPRIM_400000_NS6detail17trampoline_kernelINS0_14default_configENS1_36segmented_radix_sort_config_selectorI6__halflEEZNS1_25segmented_radix_sort_implIS3_Lb0EPKS5_PS5_PKlPlN2at6native12_GLOBAL__N_18offset_tEEE10hipError_tPvRmT1_PNSt15iterator_traitsISL_E10value_typeET2_T3_PNSM_ISR_E10value_typeET4_jRbjT5_SX_jjP12ihipStream_tbEUlT_E1_NS1_11comp_targetILNS1_3genE8ELNS1_11target_archE1030ELNS1_3gpuE2ELNS1_3repE0EEENS1_59segmented_radix_sort_warp_sort_small_config_static_selectorELNS0_4arch9wavefront6targetE0EEEvSL_,"axG",@progbits,_ZN7rocprim17ROCPRIM_400000_NS6detail17trampoline_kernelINS0_14default_configENS1_36segmented_radix_sort_config_selectorI6__halflEEZNS1_25segmented_radix_sort_implIS3_Lb0EPKS5_PS5_PKlPlN2at6native12_GLOBAL__N_18offset_tEEE10hipError_tPvRmT1_PNSt15iterator_traitsISL_E10value_typeET2_T3_PNSM_ISR_E10value_typeET4_jRbjT5_SX_jjP12ihipStream_tbEUlT_E1_NS1_11comp_targetILNS1_3genE8ELNS1_11target_archE1030ELNS1_3gpuE2ELNS1_3repE0EEENS1_59segmented_radix_sort_warp_sort_small_config_static_selectorELNS0_4arch9wavefront6targetE0EEEvSL_,comdat
	.globl	_ZN7rocprim17ROCPRIM_400000_NS6detail17trampoline_kernelINS0_14default_configENS1_36segmented_radix_sort_config_selectorI6__halflEEZNS1_25segmented_radix_sort_implIS3_Lb0EPKS5_PS5_PKlPlN2at6native12_GLOBAL__N_18offset_tEEE10hipError_tPvRmT1_PNSt15iterator_traitsISL_E10value_typeET2_T3_PNSM_ISR_E10value_typeET4_jRbjT5_SX_jjP12ihipStream_tbEUlT_E1_NS1_11comp_targetILNS1_3genE8ELNS1_11target_archE1030ELNS1_3gpuE2ELNS1_3repE0EEENS1_59segmented_radix_sort_warp_sort_small_config_static_selectorELNS0_4arch9wavefront6targetE0EEEvSL_ ; -- Begin function _ZN7rocprim17ROCPRIM_400000_NS6detail17trampoline_kernelINS0_14default_configENS1_36segmented_radix_sort_config_selectorI6__halflEEZNS1_25segmented_radix_sort_implIS3_Lb0EPKS5_PS5_PKlPlN2at6native12_GLOBAL__N_18offset_tEEE10hipError_tPvRmT1_PNSt15iterator_traitsISL_E10value_typeET2_T3_PNSM_ISR_E10value_typeET4_jRbjT5_SX_jjP12ihipStream_tbEUlT_E1_NS1_11comp_targetILNS1_3genE8ELNS1_11target_archE1030ELNS1_3gpuE2ELNS1_3repE0EEENS1_59segmented_radix_sort_warp_sort_small_config_static_selectorELNS0_4arch9wavefront6targetE0EEEvSL_
	.p2align	8
	.type	_ZN7rocprim17ROCPRIM_400000_NS6detail17trampoline_kernelINS0_14default_configENS1_36segmented_radix_sort_config_selectorI6__halflEEZNS1_25segmented_radix_sort_implIS3_Lb0EPKS5_PS5_PKlPlN2at6native12_GLOBAL__N_18offset_tEEE10hipError_tPvRmT1_PNSt15iterator_traitsISL_E10value_typeET2_T3_PNSM_ISR_E10value_typeET4_jRbjT5_SX_jjP12ihipStream_tbEUlT_E1_NS1_11comp_targetILNS1_3genE8ELNS1_11target_archE1030ELNS1_3gpuE2ELNS1_3repE0EEENS1_59segmented_radix_sort_warp_sort_small_config_static_selectorELNS0_4arch9wavefront6targetE0EEEvSL_,@function
_ZN7rocprim17ROCPRIM_400000_NS6detail17trampoline_kernelINS0_14default_configENS1_36segmented_radix_sort_config_selectorI6__halflEEZNS1_25segmented_radix_sort_implIS3_Lb0EPKS5_PS5_PKlPlN2at6native12_GLOBAL__N_18offset_tEEE10hipError_tPvRmT1_PNSt15iterator_traitsISL_E10value_typeET2_T3_PNSM_ISR_E10value_typeET4_jRbjT5_SX_jjP12ihipStream_tbEUlT_E1_NS1_11comp_targetILNS1_3genE8ELNS1_11target_archE1030ELNS1_3gpuE2ELNS1_3repE0EEENS1_59segmented_radix_sort_warp_sort_small_config_static_selectorELNS0_4arch9wavefront6targetE0EEEvSL_: ; @_ZN7rocprim17ROCPRIM_400000_NS6detail17trampoline_kernelINS0_14default_configENS1_36segmented_radix_sort_config_selectorI6__halflEEZNS1_25segmented_radix_sort_implIS3_Lb0EPKS5_PS5_PKlPlN2at6native12_GLOBAL__N_18offset_tEEE10hipError_tPvRmT1_PNSt15iterator_traitsISL_E10value_typeET2_T3_PNSM_ISR_E10value_typeET4_jRbjT5_SX_jjP12ihipStream_tbEUlT_E1_NS1_11comp_targetILNS1_3genE8ELNS1_11target_archE1030ELNS1_3gpuE2ELNS1_3repE0EEENS1_59segmented_radix_sort_warp_sort_small_config_static_selectorELNS0_4arch9wavefront6targetE0EEEvSL_
; %bb.0:
	s_add_u32 s0, s0, s8
	s_load_dword s8, s[4:5], 0x64
	s_addc_u32 s1, s1, 0
	s_mov_b32 s32, 0
	s_waitcnt lgkmcnt(0)
	s_lshr_b32 s9, s8, 16
	s_and_b32 s8, s8, 0xffff
	v_mad_u32_u24 v3, v2, s9, v1
	s_load_dword s9, s[4:5], 0x34
	v_mad_u64_u32 v[3:4], null, v3, s8, v[0:1]
	s_mov_b32 s8, exec_lo
	v_lshrrev_b32_e32 v3, 3, v3
	v_lshl_add_u32 v3, s6, 5, v3
	s_waitcnt lgkmcnt(0)
	v_cmpx_gt_u32_e64 s9, v3
	s_cbranch_execz .LBB1861_3
; %bb.1:
	s_clause 0x1
	s_load_dwordx2 s[12:13], s[4:5], 0x38
	s_load_dwordx4 s[8:11], s[4:5], 0x40
	v_mov_b32_e32 v4, 0
	v_lshlrev_b64 v[3:4], 2, v[3:4]
	s_waitcnt lgkmcnt(0)
	v_sub_co_u32 v3, vcc_lo, s12, v3
	v_sub_co_ci_u32_e64 v4, null, s13, v4, vcc_lo
	global_load_dword v3, v[3:4], off offset:-4
	s_waitcnt vmcnt(0)
	v_add_nc_u32_e32 v4, s9, v3
	v_add_nc_u32_e32 v3, s11, v3
	v_mul_lo_u32 v13, v4, s8
	v_mul_lo_u32 v14, v3, s10
	v_cmp_gt_u32_e32 vcc_lo, v14, v13
	s_and_b32 exec_lo, exec_lo, vcc_lo
	s_cbranch_execz .LBB1861_3
; %bb.2:
	s_clause 0x2
	s_load_dword s8, s[4:5], 0x30
	s_load_dwordx8 s[12:19], s[4:5], 0x0
	s_load_dwordx4 s[20:23], s[4:5], 0x20
	v_lshlrev_b32_e32 v2, 20, v2
	v_lshlrev_b32_e32 v1, 10, v1
	s_mov_b64 s[10:11], src_shared_base
	v_mov_b32_e32 v15, 0
	v_mov_b32_e32 v16, s11
	v_or3_b32 v31, v0, v1, v2
	s_waitcnt lgkmcnt(0)
	s_and_b32 s10, s8, 0xff
	v_mov_b32_e32 v0, s12
	v_mov_b32_e32 v1, s13
	;; [unrolled: 1-line block ×13, first 2 shown]
	s_add_u32 s8, s4, 0x58
	s_addc_u32 s9, s5, 0
	s_getpc_b64 s[4:5]
	s_add_u32 s4, s4, _ZN7rocprim17ROCPRIM_400000_NS6detail26segmented_warp_sort_helperINS1_20WarpSortHelperConfigILj8ELj4ELj256EEE6__halflLi256ELb0EvE4sortIPKS5_PS5_PKlPlEEvT_SA_T0_T1_SD_T2_bjjjjRNS6_12storage_typeE@rel32@lo+4
	s_addc_u32 s5, s5, _ZN7rocprim17ROCPRIM_400000_NS6detail26segmented_warp_sort_helperINS1_20WarpSortHelperConfigILj8ELj4ELj256EEE6__halflLi256ELb0EvE4sortIPKS5_PS5_PKlPlEEvT_SA_T0_T1_SD_T2_bjjjjRNS6_12storage_typeE@rel32@hi+12
	s_mov_b32 s12, s6
	s_mov_b32 s13, s7
	s_swappc_b64 s[30:31], s[4:5]
.LBB1861_3:
	s_endpgm
	.section	.rodata,"a",@progbits
	.p2align	6, 0x0
	.amdhsa_kernel _ZN7rocprim17ROCPRIM_400000_NS6detail17trampoline_kernelINS0_14default_configENS1_36segmented_radix_sort_config_selectorI6__halflEEZNS1_25segmented_radix_sort_implIS3_Lb0EPKS5_PS5_PKlPlN2at6native12_GLOBAL__N_18offset_tEEE10hipError_tPvRmT1_PNSt15iterator_traitsISL_E10value_typeET2_T3_PNSM_ISR_E10value_typeET4_jRbjT5_SX_jjP12ihipStream_tbEUlT_E1_NS1_11comp_targetILNS1_3genE8ELNS1_11target_archE1030ELNS1_3gpuE2ELNS1_3repE0EEENS1_59segmented_radix_sort_warp_sort_small_config_static_selectorELNS0_4arch9wavefront6targetE0EEEvSL_
		.amdhsa_group_segment_fixed_size 10240
		.amdhsa_private_segment_fixed_size 0
		.amdhsa_kernarg_size 344
		.amdhsa_user_sgpr_count 6
		.amdhsa_user_sgpr_private_segment_buffer 1
		.amdhsa_user_sgpr_dispatch_ptr 0
		.amdhsa_user_sgpr_queue_ptr 0
		.amdhsa_user_sgpr_kernarg_segment_ptr 1
		.amdhsa_user_sgpr_dispatch_id 0
		.amdhsa_user_sgpr_flat_scratch_init 0
		.amdhsa_user_sgpr_private_segment_size 0
		.amdhsa_wavefront_size32 1
		.amdhsa_uses_dynamic_stack 0
		.amdhsa_system_sgpr_private_segment_wavefront_offset 0
		.amdhsa_system_sgpr_workgroup_id_x 1
		.amdhsa_system_sgpr_workgroup_id_y 1
		.amdhsa_system_sgpr_workgroup_id_z 0
		.amdhsa_system_sgpr_workgroup_info 0
		.amdhsa_system_vgpr_workitem_id 2
		.amdhsa_next_free_vgpr 66
		.amdhsa_next_free_sgpr 33
		.amdhsa_reserve_vcc 1
		.amdhsa_reserve_flat_scratch 0
		.amdhsa_float_round_mode_32 0
		.amdhsa_float_round_mode_16_64 0
		.amdhsa_float_denorm_mode_32 3
		.amdhsa_float_denorm_mode_16_64 3
		.amdhsa_dx10_clamp 1
		.amdhsa_ieee_mode 1
		.amdhsa_fp16_overflow 0
		.amdhsa_workgroup_processor_mode 1
		.amdhsa_memory_ordered 1
		.amdhsa_forward_progress 1
		.amdhsa_shared_vgpr_count 0
		.amdhsa_exception_fp_ieee_invalid_op 0
		.amdhsa_exception_fp_denorm_src 0
		.amdhsa_exception_fp_ieee_div_zero 0
		.amdhsa_exception_fp_ieee_overflow 0
		.amdhsa_exception_fp_ieee_underflow 0
		.amdhsa_exception_fp_ieee_inexact 0
		.amdhsa_exception_int_div_zero 0
	.end_amdhsa_kernel
	.section	.text._ZN7rocprim17ROCPRIM_400000_NS6detail17trampoline_kernelINS0_14default_configENS1_36segmented_radix_sort_config_selectorI6__halflEEZNS1_25segmented_radix_sort_implIS3_Lb0EPKS5_PS5_PKlPlN2at6native12_GLOBAL__N_18offset_tEEE10hipError_tPvRmT1_PNSt15iterator_traitsISL_E10value_typeET2_T3_PNSM_ISR_E10value_typeET4_jRbjT5_SX_jjP12ihipStream_tbEUlT_E1_NS1_11comp_targetILNS1_3genE8ELNS1_11target_archE1030ELNS1_3gpuE2ELNS1_3repE0EEENS1_59segmented_radix_sort_warp_sort_small_config_static_selectorELNS0_4arch9wavefront6targetE0EEEvSL_,"axG",@progbits,_ZN7rocprim17ROCPRIM_400000_NS6detail17trampoline_kernelINS0_14default_configENS1_36segmented_radix_sort_config_selectorI6__halflEEZNS1_25segmented_radix_sort_implIS3_Lb0EPKS5_PS5_PKlPlN2at6native12_GLOBAL__N_18offset_tEEE10hipError_tPvRmT1_PNSt15iterator_traitsISL_E10value_typeET2_T3_PNSM_ISR_E10value_typeET4_jRbjT5_SX_jjP12ihipStream_tbEUlT_E1_NS1_11comp_targetILNS1_3genE8ELNS1_11target_archE1030ELNS1_3gpuE2ELNS1_3repE0EEENS1_59segmented_radix_sort_warp_sort_small_config_static_selectorELNS0_4arch9wavefront6targetE0EEEvSL_,comdat
.Lfunc_end1861:
	.size	_ZN7rocprim17ROCPRIM_400000_NS6detail17trampoline_kernelINS0_14default_configENS1_36segmented_radix_sort_config_selectorI6__halflEEZNS1_25segmented_radix_sort_implIS3_Lb0EPKS5_PS5_PKlPlN2at6native12_GLOBAL__N_18offset_tEEE10hipError_tPvRmT1_PNSt15iterator_traitsISL_E10value_typeET2_T3_PNSM_ISR_E10value_typeET4_jRbjT5_SX_jjP12ihipStream_tbEUlT_E1_NS1_11comp_targetILNS1_3genE8ELNS1_11target_archE1030ELNS1_3gpuE2ELNS1_3repE0EEENS1_59segmented_radix_sort_warp_sort_small_config_static_selectorELNS0_4arch9wavefront6targetE0EEEvSL_, .Lfunc_end1861-_ZN7rocprim17ROCPRIM_400000_NS6detail17trampoline_kernelINS0_14default_configENS1_36segmented_radix_sort_config_selectorI6__halflEEZNS1_25segmented_radix_sort_implIS3_Lb0EPKS5_PS5_PKlPlN2at6native12_GLOBAL__N_18offset_tEEE10hipError_tPvRmT1_PNSt15iterator_traitsISL_E10value_typeET2_T3_PNSM_ISR_E10value_typeET4_jRbjT5_SX_jjP12ihipStream_tbEUlT_E1_NS1_11comp_targetILNS1_3genE8ELNS1_11target_archE1030ELNS1_3gpuE2ELNS1_3repE0EEENS1_59segmented_radix_sort_warp_sort_small_config_static_selectorELNS0_4arch9wavefront6targetE0EEEvSL_
                                        ; -- End function
	.set _ZN7rocprim17ROCPRIM_400000_NS6detail17trampoline_kernelINS0_14default_configENS1_36segmented_radix_sort_config_selectorI6__halflEEZNS1_25segmented_radix_sort_implIS3_Lb0EPKS5_PS5_PKlPlN2at6native12_GLOBAL__N_18offset_tEEE10hipError_tPvRmT1_PNSt15iterator_traitsISL_E10value_typeET2_T3_PNSM_ISR_E10value_typeET4_jRbjT5_SX_jjP12ihipStream_tbEUlT_E1_NS1_11comp_targetILNS1_3genE8ELNS1_11target_archE1030ELNS1_3gpuE2ELNS1_3repE0EEENS1_59segmented_radix_sort_warp_sort_small_config_static_selectorELNS0_4arch9wavefront6targetE0EEEvSL_.num_vgpr, max(32, .L_ZN7rocprim17ROCPRIM_400000_NS6detail26segmented_warp_sort_helperINS1_20WarpSortHelperConfigILj8ELj4ELj256EEE6__halflLi256ELb0EvE4sortIPKS5_PS5_PKlPlEEvT_SA_T0_T1_SD_T2_bjjjjRNS6_12storage_typeE.num_vgpr)
	.set _ZN7rocprim17ROCPRIM_400000_NS6detail17trampoline_kernelINS0_14default_configENS1_36segmented_radix_sort_config_selectorI6__halflEEZNS1_25segmented_radix_sort_implIS3_Lb0EPKS5_PS5_PKlPlN2at6native12_GLOBAL__N_18offset_tEEE10hipError_tPvRmT1_PNSt15iterator_traitsISL_E10value_typeET2_T3_PNSM_ISR_E10value_typeET4_jRbjT5_SX_jjP12ihipStream_tbEUlT_E1_NS1_11comp_targetILNS1_3genE8ELNS1_11target_archE1030ELNS1_3gpuE2ELNS1_3repE0EEENS1_59segmented_radix_sort_warp_sort_small_config_static_selectorELNS0_4arch9wavefront6targetE0EEEvSL_.num_agpr, max(0, .L_ZN7rocprim17ROCPRIM_400000_NS6detail26segmented_warp_sort_helperINS1_20WarpSortHelperConfigILj8ELj4ELj256EEE6__halflLi256ELb0EvE4sortIPKS5_PS5_PKlPlEEvT_SA_T0_T1_SD_T2_bjjjjRNS6_12storage_typeE.num_agpr)
	.set _ZN7rocprim17ROCPRIM_400000_NS6detail17trampoline_kernelINS0_14default_configENS1_36segmented_radix_sort_config_selectorI6__halflEEZNS1_25segmented_radix_sort_implIS3_Lb0EPKS5_PS5_PKlPlN2at6native12_GLOBAL__N_18offset_tEEE10hipError_tPvRmT1_PNSt15iterator_traitsISL_E10value_typeET2_T3_PNSM_ISR_E10value_typeET4_jRbjT5_SX_jjP12ihipStream_tbEUlT_E1_NS1_11comp_targetILNS1_3genE8ELNS1_11target_archE1030ELNS1_3gpuE2ELNS1_3repE0EEENS1_59segmented_radix_sort_warp_sort_small_config_static_selectorELNS0_4arch9wavefront6targetE0EEEvSL_.numbered_sgpr, max(33, .L_ZN7rocprim17ROCPRIM_400000_NS6detail26segmented_warp_sort_helperINS1_20WarpSortHelperConfigILj8ELj4ELj256EEE6__halflLi256ELb0EvE4sortIPKS5_PS5_PKlPlEEvT_SA_T0_T1_SD_T2_bjjjjRNS6_12storage_typeE.numbered_sgpr)
	.set _ZN7rocprim17ROCPRIM_400000_NS6detail17trampoline_kernelINS0_14default_configENS1_36segmented_radix_sort_config_selectorI6__halflEEZNS1_25segmented_radix_sort_implIS3_Lb0EPKS5_PS5_PKlPlN2at6native12_GLOBAL__N_18offset_tEEE10hipError_tPvRmT1_PNSt15iterator_traitsISL_E10value_typeET2_T3_PNSM_ISR_E10value_typeET4_jRbjT5_SX_jjP12ihipStream_tbEUlT_E1_NS1_11comp_targetILNS1_3genE8ELNS1_11target_archE1030ELNS1_3gpuE2ELNS1_3repE0EEENS1_59segmented_radix_sort_warp_sort_small_config_static_selectorELNS0_4arch9wavefront6targetE0EEEvSL_.num_named_barrier, max(0, .L_ZN7rocprim17ROCPRIM_400000_NS6detail26segmented_warp_sort_helperINS1_20WarpSortHelperConfigILj8ELj4ELj256EEE6__halflLi256ELb0EvE4sortIPKS5_PS5_PKlPlEEvT_SA_T0_T1_SD_T2_bjjjjRNS6_12storage_typeE.num_named_barrier)
	.set _ZN7rocprim17ROCPRIM_400000_NS6detail17trampoline_kernelINS0_14default_configENS1_36segmented_radix_sort_config_selectorI6__halflEEZNS1_25segmented_radix_sort_implIS3_Lb0EPKS5_PS5_PKlPlN2at6native12_GLOBAL__N_18offset_tEEE10hipError_tPvRmT1_PNSt15iterator_traitsISL_E10value_typeET2_T3_PNSM_ISR_E10value_typeET4_jRbjT5_SX_jjP12ihipStream_tbEUlT_E1_NS1_11comp_targetILNS1_3genE8ELNS1_11target_archE1030ELNS1_3gpuE2ELNS1_3repE0EEENS1_59segmented_radix_sort_warp_sort_small_config_static_selectorELNS0_4arch9wavefront6targetE0EEEvSL_.private_seg_size, 0+max(.L_ZN7rocprim17ROCPRIM_400000_NS6detail26segmented_warp_sort_helperINS1_20WarpSortHelperConfigILj8ELj4ELj256EEE6__halflLi256ELb0EvE4sortIPKS5_PS5_PKlPlEEvT_SA_T0_T1_SD_T2_bjjjjRNS6_12storage_typeE.private_seg_size)
	.set _ZN7rocprim17ROCPRIM_400000_NS6detail17trampoline_kernelINS0_14default_configENS1_36segmented_radix_sort_config_selectorI6__halflEEZNS1_25segmented_radix_sort_implIS3_Lb0EPKS5_PS5_PKlPlN2at6native12_GLOBAL__N_18offset_tEEE10hipError_tPvRmT1_PNSt15iterator_traitsISL_E10value_typeET2_T3_PNSM_ISR_E10value_typeET4_jRbjT5_SX_jjP12ihipStream_tbEUlT_E1_NS1_11comp_targetILNS1_3genE8ELNS1_11target_archE1030ELNS1_3gpuE2ELNS1_3repE0EEENS1_59segmented_radix_sort_warp_sort_small_config_static_selectorELNS0_4arch9wavefront6targetE0EEEvSL_.uses_vcc, or(1, .L_ZN7rocprim17ROCPRIM_400000_NS6detail26segmented_warp_sort_helperINS1_20WarpSortHelperConfigILj8ELj4ELj256EEE6__halflLi256ELb0EvE4sortIPKS5_PS5_PKlPlEEvT_SA_T0_T1_SD_T2_bjjjjRNS6_12storage_typeE.uses_vcc)
	.set _ZN7rocprim17ROCPRIM_400000_NS6detail17trampoline_kernelINS0_14default_configENS1_36segmented_radix_sort_config_selectorI6__halflEEZNS1_25segmented_radix_sort_implIS3_Lb0EPKS5_PS5_PKlPlN2at6native12_GLOBAL__N_18offset_tEEE10hipError_tPvRmT1_PNSt15iterator_traitsISL_E10value_typeET2_T3_PNSM_ISR_E10value_typeET4_jRbjT5_SX_jjP12ihipStream_tbEUlT_E1_NS1_11comp_targetILNS1_3genE8ELNS1_11target_archE1030ELNS1_3gpuE2ELNS1_3repE0EEENS1_59segmented_radix_sort_warp_sort_small_config_static_selectorELNS0_4arch9wavefront6targetE0EEEvSL_.uses_flat_scratch, or(0, .L_ZN7rocprim17ROCPRIM_400000_NS6detail26segmented_warp_sort_helperINS1_20WarpSortHelperConfigILj8ELj4ELj256EEE6__halflLi256ELb0EvE4sortIPKS5_PS5_PKlPlEEvT_SA_T0_T1_SD_T2_bjjjjRNS6_12storage_typeE.uses_flat_scratch)
	.set _ZN7rocprim17ROCPRIM_400000_NS6detail17trampoline_kernelINS0_14default_configENS1_36segmented_radix_sort_config_selectorI6__halflEEZNS1_25segmented_radix_sort_implIS3_Lb0EPKS5_PS5_PKlPlN2at6native12_GLOBAL__N_18offset_tEEE10hipError_tPvRmT1_PNSt15iterator_traitsISL_E10value_typeET2_T3_PNSM_ISR_E10value_typeET4_jRbjT5_SX_jjP12ihipStream_tbEUlT_E1_NS1_11comp_targetILNS1_3genE8ELNS1_11target_archE1030ELNS1_3gpuE2ELNS1_3repE0EEENS1_59segmented_radix_sort_warp_sort_small_config_static_selectorELNS0_4arch9wavefront6targetE0EEEvSL_.has_dyn_sized_stack, or(0, .L_ZN7rocprim17ROCPRIM_400000_NS6detail26segmented_warp_sort_helperINS1_20WarpSortHelperConfigILj8ELj4ELj256EEE6__halflLi256ELb0EvE4sortIPKS5_PS5_PKlPlEEvT_SA_T0_T1_SD_T2_bjjjjRNS6_12storage_typeE.has_dyn_sized_stack)
	.set _ZN7rocprim17ROCPRIM_400000_NS6detail17trampoline_kernelINS0_14default_configENS1_36segmented_radix_sort_config_selectorI6__halflEEZNS1_25segmented_radix_sort_implIS3_Lb0EPKS5_PS5_PKlPlN2at6native12_GLOBAL__N_18offset_tEEE10hipError_tPvRmT1_PNSt15iterator_traitsISL_E10value_typeET2_T3_PNSM_ISR_E10value_typeET4_jRbjT5_SX_jjP12ihipStream_tbEUlT_E1_NS1_11comp_targetILNS1_3genE8ELNS1_11target_archE1030ELNS1_3gpuE2ELNS1_3repE0EEENS1_59segmented_radix_sort_warp_sort_small_config_static_selectorELNS0_4arch9wavefront6targetE0EEEvSL_.has_recursion, or(0, .L_ZN7rocprim17ROCPRIM_400000_NS6detail26segmented_warp_sort_helperINS1_20WarpSortHelperConfigILj8ELj4ELj256EEE6__halflLi256ELb0EvE4sortIPKS5_PS5_PKlPlEEvT_SA_T0_T1_SD_T2_bjjjjRNS6_12storage_typeE.has_recursion)
	.set _ZN7rocprim17ROCPRIM_400000_NS6detail17trampoline_kernelINS0_14default_configENS1_36segmented_radix_sort_config_selectorI6__halflEEZNS1_25segmented_radix_sort_implIS3_Lb0EPKS5_PS5_PKlPlN2at6native12_GLOBAL__N_18offset_tEEE10hipError_tPvRmT1_PNSt15iterator_traitsISL_E10value_typeET2_T3_PNSM_ISR_E10value_typeET4_jRbjT5_SX_jjP12ihipStream_tbEUlT_E1_NS1_11comp_targetILNS1_3genE8ELNS1_11target_archE1030ELNS1_3gpuE2ELNS1_3repE0EEENS1_59segmented_radix_sort_warp_sort_small_config_static_selectorELNS0_4arch9wavefront6targetE0EEEvSL_.has_indirect_call, or(0, .L_ZN7rocprim17ROCPRIM_400000_NS6detail26segmented_warp_sort_helperINS1_20WarpSortHelperConfigILj8ELj4ELj256EEE6__halflLi256ELb0EvE4sortIPKS5_PS5_PKlPlEEvT_SA_T0_T1_SD_T2_bjjjjRNS6_12storage_typeE.has_indirect_call)
	.section	.AMDGPU.csdata,"",@progbits
; Kernel info:
; codeLenInByte = 360
; TotalNumSgprs: 35
; NumVgprs: 66
; ScratchSize: 0
; MemoryBound: 0
; FloatMode: 240
; IeeeMode: 1
; LDSByteSize: 10240 bytes/workgroup (compile time only)
; SGPRBlocks: 0
; VGPRBlocks: 8
; NumSGPRsForWavesPerEU: 35
; NumVGPRsForWavesPerEU: 66
; Occupancy: 12
; WaveLimiterHint : 0
; COMPUTE_PGM_RSRC2:SCRATCH_EN: 0
; COMPUTE_PGM_RSRC2:USER_SGPR: 6
; COMPUTE_PGM_RSRC2:TRAP_HANDLER: 0
; COMPUTE_PGM_RSRC2:TGID_X_EN: 1
; COMPUTE_PGM_RSRC2:TGID_Y_EN: 1
; COMPUTE_PGM_RSRC2:TGID_Z_EN: 0
; COMPUTE_PGM_RSRC2:TIDIG_COMP_CNT: 2
	.section	.text._ZN7rocprim17ROCPRIM_400000_NS6detail17trampoline_kernelINS0_14default_configENS1_36segmented_radix_sort_config_selectorI6__halflEEZNS1_25segmented_radix_sort_implIS3_Lb0EPKS5_PS5_PKlPlN2at6native12_GLOBAL__N_18offset_tEEE10hipError_tPvRmT1_PNSt15iterator_traitsISL_E10value_typeET2_T3_PNSM_ISR_E10value_typeET4_jRbjT5_SX_jjP12ihipStream_tbEUlT_E2_NS1_11comp_targetILNS1_3genE0ELNS1_11target_archE4294967295ELNS1_3gpuE0ELNS1_3repE0EEENS1_30default_config_static_selectorELNS0_4arch9wavefront6targetE0EEEvSL_,"axG",@progbits,_ZN7rocprim17ROCPRIM_400000_NS6detail17trampoline_kernelINS0_14default_configENS1_36segmented_radix_sort_config_selectorI6__halflEEZNS1_25segmented_radix_sort_implIS3_Lb0EPKS5_PS5_PKlPlN2at6native12_GLOBAL__N_18offset_tEEE10hipError_tPvRmT1_PNSt15iterator_traitsISL_E10value_typeET2_T3_PNSM_ISR_E10value_typeET4_jRbjT5_SX_jjP12ihipStream_tbEUlT_E2_NS1_11comp_targetILNS1_3genE0ELNS1_11target_archE4294967295ELNS1_3gpuE0ELNS1_3repE0EEENS1_30default_config_static_selectorELNS0_4arch9wavefront6targetE0EEEvSL_,comdat
	.globl	_ZN7rocprim17ROCPRIM_400000_NS6detail17trampoline_kernelINS0_14default_configENS1_36segmented_radix_sort_config_selectorI6__halflEEZNS1_25segmented_radix_sort_implIS3_Lb0EPKS5_PS5_PKlPlN2at6native12_GLOBAL__N_18offset_tEEE10hipError_tPvRmT1_PNSt15iterator_traitsISL_E10value_typeET2_T3_PNSM_ISR_E10value_typeET4_jRbjT5_SX_jjP12ihipStream_tbEUlT_E2_NS1_11comp_targetILNS1_3genE0ELNS1_11target_archE4294967295ELNS1_3gpuE0ELNS1_3repE0EEENS1_30default_config_static_selectorELNS0_4arch9wavefront6targetE0EEEvSL_ ; -- Begin function _ZN7rocprim17ROCPRIM_400000_NS6detail17trampoline_kernelINS0_14default_configENS1_36segmented_radix_sort_config_selectorI6__halflEEZNS1_25segmented_radix_sort_implIS3_Lb0EPKS5_PS5_PKlPlN2at6native12_GLOBAL__N_18offset_tEEE10hipError_tPvRmT1_PNSt15iterator_traitsISL_E10value_typeET2_T3_PNSM_ISR_E10value_typeET4_jRbjT5_SX_jjP12ihipStream_tbEUlT_E2_NS1_11comp_targetILNS1_3genE0ELNS1_11target_archE4294967295ELNS1_3gpuE0ELNS1_3repE0EEENS1_30default_config_static_selectorELNS0_4arch9wavefront6targetE0EEEvSL_
	.p2align	8
	.type	_ZN7rocprim17ROCPRIM_400000_NS6detail17trampoline_kernelINS0_14default_configENS1_36segmented_radix_sort_config_selectorI6__halflEEZNS1_25segmented_radix_sort_implIS3_Lb0EPKS5_PS5_PKlPlN2at6native12_GLOBAL__N_18offset_tEEE10hipError_tPvRmT1_PNSt15iterator_traitsISL_E10value_typeET2_T3_PNSM_ISR_E10value_typeET4_jRbjT5_SX_jjP12ihipStream_tbEUlT_E2_NS1_11comp_targetILNS1_3genE0ELNS1_11target_archE4294967295ELNS1_3gpuE0ELNS1_3repE0EEENS1_30default_config_static_selectorELNS0_4arch9wavefront6targetE0EEEvSL_,@function
_ZN7rocprim17ROCPRIM_400000_NS6detail17trampoline_kernelINS0_14default_configENS1_36segmented_radix_sort_config_selectorI6__halflEEZNS1_25segmented_radix_sort_implIS3_Lb0EPKS5_PS5_PKlPlN2at6native12_GLOBAL__N_18offset_tEEE10hipError_tPvRmT1_PNSt15iterator_traitsISL_E10value_typeET2_T3_PNSM_ISR_E10value_typeET4_jRbjT5_SX_jjP12ihipStream_tbEUlT_E2_NS1_11comp_targetILNS1_3genE0ELNS1_11target_archE4294967295ELNS1_3gpuE0ELNS1_3repE0EEENS1_30default_config_static_selectorELNS0_4arch9wavefront6targetE0EEEvSL_: ; @_ZN7rocprim17ROCPRIM_400000_NS6detail17trampoline_kernelINS0_14default_configENS1_36segmented_radix_sort_config_selectorI6__halflEEZNS1_25segmented_radix_sort_implIS3_Lb0EPKS5_PS5_PKlPlN2at6native12_GLOBAL__N_18offset_tEEE10hipError_tPvRmT1_PNSt15iterator_traitsISL_E10value_typeET2_T3_PNSM_ISR_E10value_typeET4_jRbjT5_SX_jjP12ihipStream_tbEUlT_E2_NS1_11comp_targetILNS1_3genE0ELNS1_11target_archE4294967295ELNS1_3gpuE0ELNS1_3repE0EEENS1_30default_config_static_selectorELNS0_4arch9wavefront6targetE0EEEvSL_
; %bb.0:
	.section	.rodata,"a",@progbits
	.p2align	6, 0x0
	.amdhsa_kernel _ZN7rocprim17ROCPRIM_400000_NS6detail17trampoline_kernelINS0_14default_configENS1_36segmented_radix_sort_config_selectorI6__halflEEZNS1_25segmented_radix_sort_implIS3_Lb0EPKS5_PS5_PKlPlN2at6native12_GLOBAL__N_18offset_tEEE10hipError_tPvRmT1_PNSt15iterator_traitsISL_E10value_typeET2_T3_PNSM_ISR_E10value_typeET4_jRbjT5_SX_jjP12ihipStream_tbEUlT_E2_NS1_11comp_targetILNS1_3genE0ELNS1_11target_archE4294967295ELNS1_3gpuE0ELNS1_3repE0EEENS1_30default_config_static_selectorELNS0_4arch9wavefront6targetE0EEEvSL_
		.amdhsa_group_segment_fixed_size 0
		.amdhsa_private_segment_fixed_size 0
		.amdhsa_kernarg_size 80
		.amdhsa_user_sgpr_count 6
		.amdhsa_user_sgpr_private_segment_buffer 1
		.amdhsa_user_sgpr_dispatch_ptr 0
		.amdhsa_user_sgpr_queue_ptr 0
		.amdhsa_user_sgpr_kernarg_segment_ptr 1
		.amdhsa_user_sgpr_dispatch_id 0
		.amdhsa_user_sgpr_flat_scratch_init 0
		.amdhsa_user_sgpr_private_segment_size 0
		.amdhsa_wavefront_size32 1
		.amdhsa_uses_dynamic_stack 0
		.amdhsa_system_sgpr_private_segment_wavefront_offset 0
		.amdhsa_system_sgpr_workgroup_id_x 1
		.amdhsa_system_sgpr_workgroup_id_y 0
		.amdhsa_system_sgpr_workgroup_id_z 0
		.amdhsa_system_sgpr_workgroup_info 0
		.amdhsa_system_vgpr_workitem_id 0
		.amdhsa_next_free_vgpr 1
		.amdhsa_next_free_sgpr 1
		.amdhsa_reserve_vcc 0
		.amdhsa_reserve_flat_scratch 0
		.amdhsa_float_round_mode_32 0
		.amdhsa_float_round_mode_16_64 0
		.amdhsa_float_denorm_mode_32 3
		.amdhsa_float_denorm_mode_16_64 3
		.amdhsa_dx10_clamp 1
		.amdhsa_ieee_mode 1
		.amdhsa_fp16_overflow 0
		.amdhsa_workgroup_processor_mode 1
		.amdhsa_memory_ordered 1
		.amdhsa_forward_progress 1
		.amdhsa_shared_vgpr_count 0
		.amdhsa_exception_fp_ieee_invalid_op 0
		.amdhsa_exception_fp_denorm_src 0
		.amdhsa_exception_fp_ieee_div_zero 0
		.amdhsa_exception_fp_ieee_overflow 0
		.amdhsa_exception_fp_ieee_underflow 0
		.amdhsa_exception_fp_ieee_inexact 0
		.amdhsa_exception_int_div_zero 0
	.end_amdhsa_kernel
	.section	.text._ZN7rocprim17ROCPRIM_400000_NS6detail17trampoline_kernelINS0_14default_configENS1_36segmented_radix_sort_config_selectorI6__halflEEZNS1_25segmented_radix_sort_implIS3_Lb0EPKS5_PS5_PKlPlN2at6native12_GLOBAL__N_18offset_tEEE10hipError_tPvRmT1_PNSt15iterator_traitsISL_E10value_typeET2_T3_PNSM_ISR_E10value_typeET4_jRbjT5_SX_jjP12ihipStream_tbEUlT_E2_NS1_11comp_targetILNS1_3genE0ELNS1_11target_archE4294967295ELNS1_3gpuE0ELNS1_3repE0EEENS1_30default_config_static_selectorELNS0_4arch9wavefront6targetE0EEEvSL_,"axG",@progbits,_ZN7rocprim17ROCPRIM_400000_NS6detail17trampoline_kernelINS0_14default_configENS1_36segmented_radix_sort_config_selectorI6__halflEEZNS1_25segmented_radix_sort_implIS3_Lb0EPKS5_PS5_PKlPlN2at6native12_GLOBAL__N_18offset_tEEE10hipError_tPvRmT1_PNSt15iterator_traitsISL_E10value_typeET2_T3_PNSM_ISR_E10value_typeET4_jRbjT5_SX_jjP12ihipStream_tbEUlT_E2_NS1_11comp_targetILNS1_3genE0ELNS1_11target_archE4294967295ELNS1_3gpuE0ELNS1_3repE0EEENS1_30default_config_static_selectorELNS0_4arch9wavefront6targetE0EEEvSL_,comdat
.Lfunc_end1862:
	.size	_ZN7rocprim17ROCPRIM_400000_NS6detail17trampoline_kernelINS0_14default_configENS1_36segmented_radix_sort_config_selectorI6__halflEEZNS1_25segmented_radix_sort_implIS3_Lb0EPKS5_PS5_PKlPlN2at6native12_GLOBAL__N_18offset_tEEE10hipError_tPvRmT1_PNSt15iterator_traitsISL_E10value_typeET2_T3_PNSM_ISR_E10value_typeET4_jRbjT5_SX_jjP12ihipStream_tbEUlT_E2_NS1_11comp_targetILNS1_3genE0ELNS1_11target_archE4294967295ELNS1_3gpuE0ELNS1_3repE0EEENS1_30default_config_static_selectorELNS0_4arch9wavefront6targetE0EEEvSL_, .Lfunc_end1862-_ZN7rocprim17ROCPRIM_400000_NS6detail17trampoline_kernelINS0_14default_configENS1_36segmented_radix_sort_config_selectorI6__halflEEZNS1_25segmented_radix_sort_implIS3_Lb0EPKS5_PS5_PKlPlN2at6native12_GLOBAL__N_18offset_tEEE10hipError_tPvRmT1_PNSt15iterator_traitsISL_E10value_typeET2_T3_PNSM_ISR_E10value_typeET4_jRbjT5_SX_jjP12ihipStream_tbEUlT_E2_NS1_11comp_targetILNS1_3genE0ELNS1_11target_archE4294967295ELNS1_3gpuE0ELNS1_3repE0EEENS1_30default_config_static_selectorELNS0_4arch9wavefront6targetE0EEEvSL_
                                        ; -- End function
	.set _ZN7rocprim17ROCPRIM_400000_NS6detail17trampoline_kernelINS0_14default_configENS1_36segmented_radix_sort_config_selectorI6__halflEEZNS1_25segmented_radix_sort_implIS3_Lb0EPKS5_PS5_PKlPlN2at6native12_GLOBAL__N_18offset_tEEE10hipError_tPvRmT1_PNSt15iterator_traitsISL_E10value_typeET2_T3_PNSM_ISR_E10value_typeET4_jRbjT5_SX_jjP12ihipStream_tbEUlT_E2_NS1_11comp_targetILNS1_3genE0ELNS1_11target_archE4294967295ELNS1_3gpuE0ELNS1_3repE0EEENS1_30default_config_static_selectorELNS0_4arch9wavefront6targetE0EEEvSL_.num_vgpr, 0
	.set _ZN7rocprim17ROCPRIM_400000_NS6detail17trampoline_kernelINS0_14default_configENS1_36segmented_radix_sort_config_selectorI6__halflEEZNS1_25segmented_radix_sort_implIS3_Lb0EPKS5_PS5_PKlPlN2at6native12_GLOBAL__N_18offset_tEEE10hipError_tPvRmT1_PNSt15iterator_traitsISL_E10value_typeET2_T3_PNSM_ISR_E10value_typeET4_jRbjT5_SX_jjP12ihipStream_tbEUlT_E2_NS1_11comp_targetILNS1_3genE0ELNS1_11target_archE4294967295ELNS1_3gpuE0ELNS1_3repE0EEENS1_30default_config_static_selectorELNS0_4arch9wavefront6targetE0EEEvSL_.num_agpr, 0
	.set _ZN7rocprim17ROCPRIM_400000_NS6detail17trampoline_kernelINS0_14default_configENS1_36segmented_radix_sort_config_selectorI6__halflEEZNS1_25segmented_radix_sort_implIS3_Lb0EPKS5_PS5_PKlPlN2at6native12_GLOBAL__N_18offset_tEEE10hipError_tPvRmT1_PNSt15iterator_traitsISL_E10value_typeET2_T3_PNSM_ISR_E10value_typeET4_jRbjT5_SX_jjP12ihipStream_tbEUlT_E2_NS1_11comp_targetILNS1_3genE0ELNS1_11target_archE4294967295ELNS1_3gpuE0ELNS1_3repE0EEENS1_30default_config_static_selectorELNS0_4arch9wavefront6targetE0EEEvSL_.numbered_sgpr, 0
	.set _ZN7rocprim17ROCPRIM_400000_NS6detail17trampoline_kernelINS0_14default_configENS1_36segmented_radix_sort_config_selectorI6__halflEEZNS1_25segmented_radix_sort_implIS3_Lb0EPKS5_PS5_PKlPlN2at6native12_GLOBAL__N_18offset_tEEE10hipError_tPvRmT1_PNSt15iterator_traitsISL_E10value_typeET2_T3_PNSM_ISR_E10value_typeET4_jRbjT5_SX_jjP12ihipStream_tbEUlT_E2_NS1_11comp_targetILNS1_3genE0ELNS1_11target_archE4294967295ELNS1_3gpuE0ELNS1_3repE0EEENS1_30default_config_static_selectorELNS0_4arch9wavefront6targetE0EEEvSL_.num_named_barrier, 0
	.set _ZN7rocprim17ROCPRIM_400000_NS6detail17trampoline_kernelINS0_14default_configENS1_36segmented_radix_sort_config_selectorI6__halflEEZNS1_25segmented_radix_sort_implIS3_Lb0EPKS5_PS5_PKlPlN2at6native12_GLOBAL__N_18offset_tEEE10hipError_tPvRmT1_PNSt15iterator_traitsISL_E10value_typeET2_T3_PNSM_ISR_E10value_typeET4_jRbjT5_SX_jjP12ihipStream_tbEUlT_E2_NS1_11comp_targetILNS1_3genE0ELNS1_11target_archE4294967295ELNS1_3gpuE0ELNS1_3repE0EEENS1_30default_config_static_selectorELNS0_4arch9wavefront6targetE0EEEvSL_.private_seg_size, 0
	.set _ZN7rocprim17ROCPRIM_400000_NS6detail17trampoline_kernelINS0_14default_configENS1_36segmented_radix_sort_config_selectorI6__halflEEZNS1_25segmented_radix_sort_implIS3_Lb0EPKS5_PS5_PKlPlN2at6native12_GLOBAL__N_18offset_tEEE10hipError_tPvRmT1_PNSt15iterator_traitsISL_E10value_typeET2_T3_PNSM_ISR_E10value_typeET4_jRbjT5_SX_jjP12ihipStream_tbEUlT_E2_NS1_11comp_targetILNS1_3genE0ELNS1_11target_archE4294967295ELNS1_3gpuE0ELNS1_3repE0EEENS1_30default_config_static_selectorELNS0_4arch9wavefront6targetE0EEEvSL_.uses_vcc, 0
	.set _ZN7rocprim17ROCPRIM_400000_NS6detail17trampoline_kernelINS0_14default_configENS1_36segmented_radix_sort_config_selectorI6__halflEEZNS1_25segmented_radix_sort_implIS3_Lb0EPKS5_PS5_PKlPlN2at6native12_GLOBAL__N_18offset_tEEE10hipError_tPvRmT1_PNSt15iterator_traitsISL_E10value_typeET2_T3_PNSM_ISR_E10value_typeET4_jRbjT5_SX_jjP12ihipStream_tbEUlT_E2_NS1_11comp_targetILNS1_3genE0ELNS1_11target_archE4294967295ELNS1_3gpuE0ELNS1_3repE0EEENS1_30default_config_static_selectorELNS0_4arch9wavefront6targetE0EEEvSL_.uses_flat_scratch, 0
	.set _ZN7rocprim17ROCPRIM_400000_NS6detail17trampoline_kernelINS0_14default_configENS1_36segmented_radix_sort_config_selectorI6__halflEEZNS1_25segmented_radix_sort_implIS3_Lb0EPKS5_PS5_PKlPlN2at6native12_GLOBAL__N_18offset_tEEE10hipError_tPvRmT1_PNSt15iterator_traitsISL_E10value_typeET2_T3_PNSM_ISR_E10value_typeET4_jRbjT5_SX_jjP12ihipStream_tbEUlT_E2_NS1_11comp_targetILNS1_3genE0ELNS1_11target_archE4294967295ELNS1_3gpuE0ELNS1_3repE0EEENS1_30default_config_static_selectorELNS0_4arch9wavefront6targetE0EEEvSL_.has_dyn_sized_stack, 0
	.set _ZN7rocprim17ROCPRIM_400000_NS6detail17trampoline_kernelINS0_14default_configENS1_36segmented_radix_sort_config_selectorI6__halflEEZNS1_25segmented_radix_sort_implIS3_Lb0EPKS5_PS5_PKlPlN2at6native12_GLOBAL__N_18offset_tEEE10hipError_tPvRmT1_PNSt15iterator_traitsISL_E10value_typeET2_T3_PNSM_ISR_E10value_typeET4_jRbjT5_SX_jjP12ihipStream_tbEUlT_E2_NS1_11comp_targetILNS1_3genE0ELNS1_11target_archE4294967295ELNS1_3gpuE0ELNS1_3repE0EEENS1_30default_config_static_selectorELNS0_4arch9wavefront6targetE0EEEvSL_.has_recursion, 0
	.set _ZN7rocprim17ROCPRIM_400000_NS6detail17trampoline_kernelINS0_14default_configENS1_36segmented_radix_sort_config_selectorI6__halflEEZNS1_25segmented_radix_sort_implIS3_Lb0EPKS5_PS5_PKlPlN2at6native12_GLOBAL__N_18offset_tEEE10hipError_tPvRmT1_PNSt15iterator_traitsISL_E10value_typeET2_T3_PNSM_ISR_E10value_typeET4_jRbjT5_SX_jjP12ihipStream_tbEUlT_E2_NS1_11comp_targetILNS1_3genE0ELNS1_11target_archE4294967295ELNS1_3gpuE0ELNS1_3repE0EEENS1_30default_config_static_selectorELNS0_4arch9wavefront6targetE0EEEvSL_.has_indirect_call, 0
	.section	.AMDGPU.csdata,"",@progbits
; Kernel info:
; codeLenInByte = 0
; TotalNumSgprs: 0
; NumVgprs: 0
; ScratchSize: 0
; MemoryBound: 0
; FloatMode: 240
; IeeeMode: 1
; LDSByteSize: 0 bytes/workgroup (compile time only)
; SGPRBlocks: 0
; VGPRBlocks: 0
; NumSGPRsForWavesPerEU: 1
; NumVGPRsForWavesPerEU: 1
; Occupancy: 16
; WaveLimiterHint : 0
; COMPUTE_PGM_RSRC2:SCRATCH_EN: 0
; COMPUTE_PGM_RSRC2:USER_SGPR: 6
; COMPUTE_PGM_RSRC2:TRAP_HANDLER: 0
; COMPUTE_PGM_RSRC2:TGID_X_EN: 1
; COMPUTE_PGM_RSRC2:TGID_Y_EN: 0
; COMPUTE_PGM_RSRC2:TGID_Z_EN: 0
; COMPUTE_PGM_RSRC2:TIDIG_COMP_CNT: 0
	.section	.text._ZN7rocprim17ROCPRIM_400000_NS6detail17trampoline_kernelINS0_14default_configENS1_36segmented_radix_sort_config_selectorI6__halflEEZNS1_25segmented_radix_sort_implIS3_Lb0EPKS5_PS5_PKlPlN2at6native12_GLOBAL__N_18offset_tEEE10hipError_tPvRmT1_PNSt15iterator_traitsISL_E10value_typeET2_T3_PNSM_ISR_E10value_typeET4_jRbjT5_SX_jjP12ihipStream_tbEUlT_E2_NS1_11comp_targetILNS1_3genE5ELNS1_11target_archE942ELNS1_3gpuE9ELNS1_3repE0EEENS1_30default_config_static_selectorELNS0_4arch9wavefront6targetE0EEEvSL_,"axG",@progbits,_ZN7rocprim17ROCPRIM_400000_NS6detail17trampoline_kernelINS0_14default_configENS1_36segmented_radix_sort_config_selectorI6__halflEEZNS1_25segmented_radix_sort_implIS3_Lb0EPKS5_PS5_PKlPlN2at6native12_GLOBAL__N_18offset_tEEE10hipError_tPvRmT1_PNSt15iterator_traitsISL_E10value_typeET2_T3_PNSM_ISR_E10value_typeET4_jRbjT5_SX_jjP12ihipStream_tbEUlT_E2_NS1_11comp_targetILNS1_3genE5ELNS1_11target_archE942ELNS1_3gpuE9ELNS1_3repE0EEENS1_30default_config_static_selectorELNS0_4arch9wavefront6targetE0EEEvSL_,comdat
	.globl	_ZN7rocprim17ROCPRIM_400000_NS6detail17trampoline_kernelINS0_14default_configENS1_36segmented_radix_sort_config_selectorI6__halflEEZNS1_25segmented_radix_sort_implIS3_Lb0EPKS5_PS5_PKlPlN2at6native12_GLOBAL__N_18offset_tEEE10hipError_tPvRmT1_PNSt15iterator_traitsISL_E10value_typeET2_T3_PNSM_ISR_E10value_typeET4_jRbjT5_SX_jjP12ihipStream_tbEUlT_E2_NS1_11comp_targetILNS1_3genE5ELNS1_11target_archE942ELNS1_3gpuE9ELNS1_3repE0EEENS1_30default_config_static_selectorELNS0_4arch9wavefront6targetE0EEEvSL_ ; -- Begin function _ZN7rocprim17ROCPRIM_400000_NS6detail17trampoline_kernelINS0_14default_configENS1_36segmented_radix_sort_config_selectorI6__halflEEZNS1_25segmented_radix_sort_implIS3_Lb0EPKS5_PS5_PKlPlN2at6native12_GLOBAL__N_18offset_tEEE10hipError_tPvRmT1_PNSt15iterator_traitsISL_E10value_typeET2_T3_PNSM_ISR_E10value_typeET4_jRbjT5_SX_jjP12ihipStream_tbEUlT_E2_NS1_11comp_targetILNS1_3genE5ELNS1_11target_archE942ELNS1_3gpuE9ELNS1_3repE0EEENS1_30default_config_static_selectorELNS0_4arch9wavefront6targetE0EEEvSL_
	.p2align	8
	.type	_ZN7rocprim17ROCPRIM_400000_NS6detail17trampoline_kernelINS0_14default_configENS1_36segmented_radix_sort_config_selectorI6__halflEEZNS1_25segmented_radix_sort_implIS3_Lb0EPKS5_PS5_PKlPlN2at6native12_GLOBAL__N_18offset_tEEE10hipError_tPvRmT1_PNSt15iterator_traitsISL_E10value_typeET2_T3_PNSM_ISR_E10value_typeET4_jRbjT5_SX_jjP12ihipStream_tbEUlT_E2_NS1_11comp_targetILNS1_3genE5ELNS1_11target_archE942ELNS1_3gpuE9ELNS1_3repE0EEENS1_30default_config_static_selectorELNS0_4arch9wavefront6targetE0EEEvSL_,@function
_ZN7rocprim17ROCPRIM_400000_NS6detail17trampoline_kernelINS0_14default_configENS1_36segmented_radix_sort_config_selectorI6__halflEEZNS1_25segmented_radix_sort_implIS3_Lb0EPKS5_PS5_PKlPlN2at6native12_GLOBAL__N_18offset_tEEE10hipError_tPvRmT1_PNSt15iterator_traitsISL_E10value_typeET2_T3_PNSM_ISR_E10value_typeET4_jRbjT5_SX_jjP12ihipStream_tbEUlT_E2_NS1_11comp_targetILNS1_3genE5ELNS1_11target_archE942ELNS1_3gpuE9ELNS1_3repE0EEENS1_30default_config_static_selectorELNS0_4arch9wavefront6targetE0EEEvSL_: ; @_ZN7rocprim17ROCPRIM_400000_NS6detail17trampoline_kernelINS0_14default_configENS1_36segmented_radix_sort_config_selectorI6__halflEEZNS1_25segmented_radix_sort_implIS3_Lb0EPKS5_PS5_PKlPlN2at6native12_GLOBAL__N_18offset_tEEE10hipError_tPvRmT1_PNSt15iterator_traitsISL_E10value_typeET2_T3_PNSM_ISR_E10value_typeET4_jRbjT5_SX_jjP12ihipStream_tbEUlT_E2_NS1_11comp_targetILNS1_3genE5ELNS1_11target_archE942ELNS1_3gpuE9ELNS1_3repE0EEENS1_30default_config_static_selectorELNS0_4arch9wavefront6targetE0EEEvSL_
; %bb.0:
	.section	.rodata,"a",@progbits
	.p2align	6, 0x0
	.amdhsa_kernel _ZN7rocprim17ROCPRIM_400000_NS6detail17trampoline_kernelINS0_14default_configENS1_36segmented_radix_sort_config_selectorI6__halflEEZNS1_25segmented_radix_sort_implIS3_Lb0EPKS5_PS5_PKlPlN2at6native12_GLOBAL__N_18offset_tEEE10hipError_tPvRmT1_PNSt15iterator_traitsISL_E10value_typeET2_T3_PNSM_ISR_E10value_typeET4_jRbjT5_SX_jjP12ihipStream_tbEUlT_E2_NS1_11comp_targetILNS1_3genE5ELNS1_11target_archE942ELNS1_3gpuE9ELNS1_3repE0EEENS1_30default_config_static_selectorELNS0_4arch9wavefront6targetE0EEEvSL_
		.amdhsa_group_segment_fixed_size 0
		.amdhsa_private_segment_fixed_size 0
		.amdhsa_kernarg_size 80
		.amdhsa_user_sgpr_count 6
		.amdhsa_user_sgpr_private_segment_buffer 1
		.amdhsa_user_sgpr_dispatch_ptr 0
		.amdhsa_user_sgpr_queue_ptr 0
		.amdhsa_user_sgpr_kernarg_segment_ptr 1
		.amdhsa_user_sgpr_dispatch_id 0
		.amdhsa_user_sgpr_flat_scratch_init 0
		.amdhsa_user_sgpr_private_segment_size 0
		.amdhsa_wavefront_size32 1
		.amdhsa_uses_dynamic_stack 0
		.amdhsa_system_sgpr_private_segment_wavefront_offset 0
		.amdhsa_system_sgpr_workgroup_id_x 1
		.amdhsa_system_sgpr_workgroup_id_y 0
		.amdhsa_system_sgpr_workgroup_id_z 0
		.amdhsa_system_sgpr_workgroup_info 0
		.amdhsa_system_vgpr_workitem_id 0
		.amdhsa_next_free_vgpr 1
		.amdhsa_next_free_sgpr 1
		.amdhsa_reserve_vcc 0
		.amdhsa_reserve_flat_scratch 0
		.amdhsa_float_round_mode_32 0
		.amdhsa_float_round_mode_16_64 0
		.amdhsa_float_denorm_mode_32 3
		.amdhsa_float_denorm_mode_16_64 3
		.amdhsa_dx10_clamp 1
		.amdhsa_ieee_mode 1
		.amdhsa_fp16_overflow 0
		.amdhsa_workgroup_processor_mode 1
		.amdhsa_memory_ordered 1
		.amdhsa_forward_progress 1
		.amdhsa_shared_vgpr_count 0
		.amdhsa_exception_fp_ieee_invalid_op 0
		.amdhsa_exception_fp_denorm_src 0
		.amdhsa_exception_fp_ieee_div_zero 0
		.amdhsa_exception_fp_ieee_overflow 0
		.amdhsa_exception_fp_ieee_underflow 0
		.amdhsa_exception_fp_ieee_inexact 0
		.amdhsa_exception_int_div_zero 0
	.end_amdhsa_kernel
	.section	.text._ZN7rocprim17ROCPRIM_400000_NS6detail17trampoline_kernelINS0_14default_configENS1_36segmented_radix_sort_config_selectorI6__halflEEZNS1_25segmented_radix_sort_implIS3_Lb0EPKS5_PS5_PKlPlN2at6native12_GLOBAL__N_18offset_tEEE10hipError_tPvRmT1_PNSt15iterator_traitsISL_E10value_typeET2_T3_PNSM_ISR_E10value_typeET4_jRbjT5_SX_jjP12ihipStream_tbEUlT_E2_NS1_11comp_targetILNS1_3genE5ELNS1_11target_archE942ELNS1_3gpuE9ELNS1_3repE0EEENS1_30default_config_static_selectorELNS0_4arch9wavefront6targetE0EEEvSL_,"axG",@progbits,_ZN7rocprim17ROCPRIM_400000_NS6detail17trampoline_kernelINS0_14default_configENS1_36segmented_radix_sort_config_selectorI6__halflEEZNS1_25segmented_radix_sort_implIS3_Lb0EPKS5_PS5_PKlPlN2at6native12_GLOBAL__N_18offset_tEEE10hipError_tPvRmT1_PNSt15iterator_traitsISL_E10value_typeET2_T3_PNSM_ISR_E10value_typeET4_jRbjT5_SX_jjP12ihipStream_tbEUlT_E2_NS1_11comp_targetILNS1_3genE5ELNS1_11target_archE942ELNS1_3gpuE9ELNS1_3repE0EEENS1_30default_config_static_selectorELNS0_4arch9wavefront6targetE0EEEvSL_,comdat
.Lfunc_end1863:
	.size	_ZN7rocprim17ROCPRIM_400000_NS6detail17trampoline_kernelINS0_14default_configENS1_36segmented_radix_sort_config_selectorI6__halflEEZNS1_25segmented_radix_sort_implIS3_Lb0EPKS5_PS5_PKlPlN2at6native12_GLOBAL__N_18offset_tEEE10hipError_tPvRmT1_PNSt15iterator_traitsISL_E10value_typeET2_T3_PNSM_ISR_E10value_typeET4_jRbjT5_SX_jjP12ihipStream_tbEUlT_E2_NS1_11comp_targetILNS1_3genE5ELNS1_11target_archE942ELNS1_3gpuE9ELNS1_3repE0EEENS1_30default_config_static_selectorELNS0_4arch9wavefront6targetE0EEEvSL_, .Lfunc_end1863-_ZN7rocprim17ROCPRIM_400000_NS6detail17trampoline_kernelINS0_14default_configENS1_36segmented_radix_sort_config_selectorI6__halflEEZNS1_25segmented_radix_sort_implIS3_Lb0EPKS5_PS5_PKlPlN2at6native12_GLOBAL__N_18offset_tEEE10hipError_tPvRmT1_PNSt15iterator_traitsISL_E10value_typeET2_T3_PNSM_ISR_E10value_typeET4_jRbjT5_SX_jjP12ihipStream_tbEUlT_E2_NS1_11comp_targetILNS1_3genE5ELNS1_11target_archE942ELNS1_3gpuE9ELNS1_3repE0EEENS1_30default_config_static_selectorELNS0_4arch9wavefront6targetE0EEEvSL_
                                        ; -- End function
	.set _ZN7rocprim17ROCPRIM_400000_NS6detail17trampoline_kernelINS0_14default_configENS1_36segmented_radix_sort_config_selectorI6__halflEEZNS1_25segmented_radix_sort_implIS3_Lb0EPKS5_PS5_PKlPlN2at6native12_GLOBAL__N_18offset_tEEE10hipError_tPvRmT1_PNSt15iterator_traitsISL_E10value_typeET2_T3_PNSM_ISR_E10value_typeET4_jRbjT5_SX_jjP12ihipStream_tbEUlT_E2_NS1_11comp_targetILNS1_3genE5ELNS1_11target_archE942ELNS1_3gpuE9ELNS1_3repE0EEENS1_30default_config_static_selectorELNS0_4arch9wavefront6targetE0EEEvSL_.num_vgpr, 0
	.set _ZN7rocprim17ROCPRIM_400000_NS6detail17trampoline_kernelINS0_14default_configENS1_36segmented_radix_sort_config_selectorI6__halflEEZNS1_25segmented_radix_sort_implIS3_Lb0EPKS5_PS5_PKlPlN2at6native12_GLOBAL__N_18offset_tEEE10hipError_tPvRmT1_PNSt15iterator_traitsISL_E10value_typeET2_T3_PNSM_ISR_E10value_typeET4_jRbjT5_SX_jjP12ihipStream_tbEUlT_E2_NS1_11comp_targetILNS1_3genE5ELNS1_11target_archE942ELNS1_3gpuE9ELNS1_3repE0EEENS1_30default_config_static_selectorELNS0_4arch9wavefront6targetE0EEEvSL_.num_agpr, 0
	.set _ZN7rocprim17ROCPRIM_400000_NS6detail17trampoline_kernelINS0_14default_configENS1_36segmented_radix_sort_config_selectorI6__halflEEZNS1_25segmented_radix_sort_implIS3_Lb0EPKS5_PS5_PKlPlN2at6native12_GLOBAL__N_18offset_tEEE10hipError_tPvRmT1_PNSt15iterator_traitsISL_E10value_typeET2_T3_PNSM_ISR_E10value_typeET4_jRbjT5_SX_jjP12ihipStream_tbEUlT_E2_NS1_11comp_targetILNS1_3genE5ELNS1_11target_archE942ELNS1_3gpuE9ELNS1_3repE0EEENS1_30default_config_static_selectorELNS0_4arch9wavefront6targetE0EEEvSL_.numbered_sgpr, 0
	.set _ZN7rocprim17ROCPRIM_400000_NS6detail17trampoline_kernelINS0_14default_configENS1_36segmented_radix_sort_config_selectorI6__halflEEZNS1_25segmented_radix_sort_implIS3_Lb0EPKS5_PS5_PKlPlN2at6native12_GLOBAL__N_18offset_tEEE10hipError_tPvRmT1_PNSt15iterator_traitsISL_E10value_typeET2_T3_PNSM_ISR_E10value_typeET4_jRbjT5_SX_jjP12ihipStream_tbEUlT_E2_NS1_11comp_targetILNS1_3genE5ELNS1_11target_archE942ELNS1_3gpuE9ELNS1_3repE0EEENS1_30default_config_static_selectorELNS0_4arch9wavefront6targetE0EEEvSL_.num_named_barrier, 0
	.set _ZN7rocprim17ROCPRIM_400000_NS6detail17trampoline_kernelINS0_14default_configENS1_36segmented_radix_sort_config_selectorI6__halflEEZNS1_25segmented_radix_sort_implIS3_Lb0EPKS5_PS5_PKlPlN2at6native12_GLOBAL__N_18offset_tEEE10hipError_tPvRmT1_PNSt15iterator_traitsISL_E10value_typeET2_T3_PNSM_ISR_E10value_typeET4_jRbjT5_SX_jjP12ihipStream_tbEUlT_E2_NS1_11comp_targetILNS1_3genE5ELNS1_11target_archE942ELNS1_3gpuE9ELNS1_3repE0EEENS1_30default_config_static_selectorELNS0_4arch9wavefront6targetE0EEEvSL_.private_seg_size, 0
	.set _ZN7rocprim17ROCPRIM_400000_NS6detail17trampoline_kernelINS0_14default_configENS1_36segmented_radix_sort_config_selectorI6__halflEEZNS1_25segmented_radix_sort_implIS3_Lb0EPKS5_PS5_PKlPlN2at6native12_GLOBAL__N_18offset_tEEE10hipError_tPvRmT1_PNSt15iterator_traitsISL_E10value_typeET2_T3_PNSM_ISR_E10value_typeET4_jRbjT5_SX_jjP12ihipStream_tbEUlT_E2_NS1_11comp_targetILNS1_3genE5ELNS1_11target_archE942ELNS1_3gpuE9ELNS1_3repE0EEENS1_30default_config_static_selectorELNS0_4arch9wavefront6targetE0EEEvSL_.uses_vcc, 0
	.set _ZN7rocprim17ROCPRIM_400000_NS6detail17trampoline_kernelINS0_14default_configENS1_36segmented_radix_sort_config_selectorI6__halflEEZNS1_25segmented_radix_sort_implIS3_Lb0EPKS5_PS5_PKlPlN2at6native12_GLOBAL__N_18offset_tEEE10hipError_tPvRmT1_PNSt15iterator_traitsISL_E10value_typeET2_T3_PNSM_ISR_E10value_typeET4_jRbjT5_SX_jjP12ihipStream_tbEUlT_E2_NS1_11comp_targetILNS1_3genE5ELNS1_11target_archE942ELNS1_3gpuE9ELNS1_3repE0EEENS1_30default_config_static_selectorELNS0_4arch9wavefront6targetE0EEEvSL_.uses_flat_scratch, 0
	.set _ZN7rocprim17ROCPRIM_400000_NS6detail17trampoline_kernelINS0_14default_configENS1_36segmented_radix_sort_config_selectorI6__halflEEZNS1_25segmented_radix_sort_implIS3_Lb0EPKS5_PS5_PKlPlN2at6native12_GLOBAL__N_18offset_tEEE10hipError_tPvRmT1_PNSt15iterator_traitsISL_E10value_typeET2_T3_PNSM_ISR_E10value_typeET4_jRbjT5_SX_jjP12ihipStream_tbEUlT_E2_NS1_11comp_targetILNS1_3genE5ELNS1_11target_archE942ELNS1_3gpuE9ELNS1_3repE0EEENS1_30default_config_static_selectorELNS0_4arch9wavefront6targetE0EEEvSL_.has_dyn_sized_stack, 0
	.set _ZN7rocprim17ROCPRIM_400000_NS6detail17trampoline_kernelINS0_14default_configENS1_36segmented_radix_sort_config_selectorI6__halflEEZNS1_25segmented_radix_sort_implIS3_Lb0EPKS5_PS5_PKlPlN2at6native12_GLOBAL__N_18offset_tEEE10hipError_tPvRmT1_PNSt15iterator_traitsISL_E10value_typeET2_T3_PNSM_ISR_E10value_typeET4_jRbjT5_SX_jjP12ihipStream_tbEUlT_E2_NS1_11comp_targetILNS1_3genE5ELNS1_11target_archE942ELNS1_3gpuE9ELNS1_3repE0EEENS1_30default_config_static_selectorELNS0_4arch9wavefront6targetE0EEEvSL_.has_recursion, 0
	.set _ZN7rocprim17ROCPRIM_400000_NS6detail17trampoline_kernelINS0_14default_configENS1_36segmented_radix_sort_config_selectorI6__halflEEZNS1_25segmented_radix_sort_implIS3_Lb0EPKS5_PS5_PKlPlN2at6native12_GLOBAL__N_18offset_tEEE10hipError_tPvRmT1_PNSt15iterator_traitsISL_E10value_typeET2_T3_PNSM_ISR_E10value_typeET4_jRbjT5_SX_jjP12ihipStream_tbEUlT_E2_NS1_11comp_targetILNS1_3genE5ELNS1_11target_archE942ELNS1_3gpuE9ELNS1_3repE0EEENS1_30default_config_static_selectorELNS0_4arch9wavefront6targetE0EEEvSL_.has_indirect_call, 0
	.section	.AMDGPU.csdata,"",@progbits
; Kernel info:
; codeLenInByte = 0
; TotalNumSgprs: 0
; NumVgprs: 0
; ScratchSize: 0
; MemoryBound: 0
; FloatMode: 240
; IeeeMode: 1
; LDSByteSize: 0 bytes/workgroup (compile time only)
; SGPRBlocks: 0
; VGPRBlocks: 0
; NumSGPRsForWavesPerEU: 1
; NumVGPRsForWavesPerEU: 1
; Occupancy: 16
; WaveLimiterHint : 0
; COMPUTE_PGM_RSRC2:SCRATCH_EN: 0
; COMPUTE_PGM_RSRC2:USER_SGPR: 6
; COMPUTE_PGM_RSRC2:TRAP_HANDLER: 0
; COMPUTE_PGM_RSRC2:TGID_X_EN: 1
; COMPUTE_PGM_RSRC2:TGID_Y_EN: 0
; COMPUTE_PGM_RSRC2:TGID_Z_EN: 0
; COMPUTE_PGM_RSRC2:TIDIG_COMP_CNT: 0
	.section	.text._ZN7rocprim17ROCPRIM_400000_NS6detail17trampoline_kernelINS0_14default_configENS1_36segmented_radix_sort_config_selectorI6__halflEEZNS1_25segmented_radix_sort_implIS3_Lb0EPKS5_PS5_PKlPlN2at6native12_GLOBAL__N_18offset_tEEE10hipError_tPvRmT1_PNSt15iterator_traitsISL_E10value_typeET2_T3_PNSM_ISR_E10value_typeET4_jRbjT5_SX_jjP12ihipStream_tbEUlT_E2_NS1_11comp_targetILNS1_3genE4ELNS1_11target_archE910ELNS1_3gpuE8ELNS1_3repE0EEENS1_30default_config_static_selectorELNS0_4arch9wavefront6targetE0EEEvSL_,"axG",@progbits,_ZN7rocprim17ROCPRIM_400000_NS6detail17trampoline_kernelINS0_14default_configENS1_36segmented_radix_sort_config_selectorI6__halflEEZNS1_25segmented_radix_sort_implIS3_Lb0EPKS5_PS5_PKlPlN2at6native12_GLOBAL__N_18offset_tEEE10hipError_tPvRmT1_PNSt15iterator_traitsISL_E10value_typeET2_T3_PNSM_ISR_E10value_typeET4_jRbjT5_SX_jjP12ihipStream_tbEUlT_E2_NS1_11comp_targetILNS1_3genE4ELNS1_11target_archE910ELNS1_3gpuE8ELNS1_3repE0EEENS1_30default_config_static_selectorELNS0_4arch9wavefront6targetE0EEEvSL_,comdat
	.globl	_ZN7rocprim17ROCPRIM_400000_NS6detail17trampoline_kernelINS0_14default_configENS1_36segmented_radix_sort_config_selectorI6__halflEEZNS1_25segmented_radix_sort_implIS3_Lb0EPKS5_PS5_PKlPlN2at6native12_GLOBAL__N_18offset_tEEE10hipError_tPvRmT1_PNSt15iterator_traitsISL_E10value_typeET2_T3_PNSM_ISR_E10value_typeET4_jRbjT5_SX_jjP12ihipStream_tbEUlT_E2_NS1_11comp_targetILNS1_3genE4ELNS1_11target_archE910ELNS1_3gpuE8ELNS1_3repE0EEENS1_30default_config_static_selectorELNS0_4arch9wavefront6targetE0EEEvSL_ ; -- Begin function _ZN7rocprim17ROCPRIM_400000_NS6detail17trampoline_kernelINS0_14default_configENS1_36segmented_radix_sort_config_selectorI6__halflEEZNS1_25segmented_radix_sort_implIS3_Lb0EPKS5_PS5_PKlPlN2at6native12_GLOBAL__N_18offset_tEEE10hipError_tPvRmT1_PNSt15iterator_traitsISL_E10value_typeET2_T3_PNSM_ISR_E10value_typeET4_jRbjT5_SX_jjP12ihipStream_tbEUlT_E2_NS1_11comp_targetILNS1_3genE4ELNS1_11target_archE910ELNS1_3gpuE8ELNS1_3repE0EEENS1_30default_config_static_selectorELNS0_4arch9wavefront6targetE0EEEvSL_
	.p2align	8
	.type	_ZN7rocprim17ROCPRIM_400000_NS6detail17trampoline_kernelINS0_14default_configENS1_36segmented_radix_sort_config_selectorI6__halflEEZNS1_25segmented_radix_sort_implIS3_Lb0EPKS5_PS5_PKlPlN2at6native12_GLOBAL__N_18offset_tEEE10hipError_tPvRmT1_PNSt15iterator_traitsISL_E10value_typeET2_T3_PNSM_ISR_E10value_typeET4_jRbjT5_SX_jjP12ihipStream_tbEUlT_E2_NS1_11comp_targetILNS1_3genE4ELNS1_11target_archE910ELNS1_3gpuE8ELNS1_3repE0EEENS1_30default_config_static_selectorELNS0_4arch9wavefront6targetE0EEEvSL_,@function
_ZN7rocprim17ROCPRIM_400000_NS6detail17trampoline_kernelINS0_14default_configENS1_36segmented_radix_sort_config_selectorI6__halflEEZNS1_25segmented_radix_sort_implIS3_Lb0EPKS5_PS5_PKlPlN2at6native12_GLOBAL__N_18offset_tEEE10hipError_tPvRmT1_PNSt15iterator_traitsISL_E10value_typeET2_T3_PNSM_ISR_E10value_typeET4_jRbjT5_SX_jjP12ihipStream_tbEUlT_E2_NS1_11comp_targetILNS1_3genE4ELNS1_11target_archE910ELNS1_3gpuE8ELNS1_3repE0EEENS1_30default_config_static_selectorELNS0_4arch9wavefront6targetE0EEEvSL_: ; @_ZN7rocprim17ROCPRIM_400000_NS6detail17trampoline_kernelINS0_14default_configENS1_36segmented_radix_sort_config_selectorI6__halflEEZNS1_25segmented_radix_sort_implIS3_Lb0EPKS5_PS5_PKlPlN2at6native12_GLOBAL__N_18offset_tEEE10hipError_tPvRmT1_PNSt15iterator_traitsISL_E10value_typeET2_T3_PNSM_ISR_E10value_typeET4_jRbjT5_SX_jjP12ihipStream_tbEUlT_E2_NS1_11comp_targetILNS1_3genE4ELNS1_11target_archE910ELNS1_3gpuE8ELNS1_3repE0EEENS1_30default_config_static_selectorELNS0_4arch9wavefront6targetE0EEEvSL_
; %bb.0:
	.section	.rodata,"a",@progbits
	.p2align	6, 0x0
	.amdhsa_kernel _ZN7rocprim17ROCPRIM_400000_NS6detail17trampoline_kernelINS0_14default_configENS1_36segmented_radix_sort_config_selectorI6__halflEEZNS1_25segmented_radix_sort_implIS3_Lb0EPKS5_PS5_PKlPlN2at6native12_GLOBAL__N_18offset_tEEE10hipError_tPvRmT1_PNSt15iterator_traitsISL_E10value_typeET2_T3_PNSM_ISR_E10value_typeET4_jRbjT5_SX_jjP12ihipStream_tbEUlT_E2_NS1_11comp_targetILNS1_3genE4ELNS1_11target_archE910ELNS1_3gpuE8ELNS1_3repE0EEENS1_30default_config_static_selectorELNS0_4arch9wavefront6targetE0EEEvSL_
		.amdhsa_group_segment_fixed_size 0
		.amdhsa_private_segment_fixed_size 0
		.amdhsa_kernarg_size 80
		.amdhsa_user_sgpr_count 6
		.amdhsa_user_sgpr_private_segment_buffer 1
		.amdhsa_user_sgpr_dispatch_ptr 0
		.amdhsa_user_sgpr_queue_ptr 0
		.amdhsa_user_sgpr_kernarg_segment_ptr 1
		.amdhsa_user_sgpr_dispatch_id 0
		.amdhsa_user_sgpr_flat_scratch_init 0
		.amdhsa_user_sgpr_private_segment_size 0
		.amdhsa_wavefront_size32 1
		.amdhsa_uses_dynamic_stack 0
		.amdhsa_system_sgpr_private_segment_wavefront_offset 0
		.amdhsa_system_sgpr_workgroup_id_x 1
		.amdhsa_system_sgpr_workgroup_id_y 0
		.amdhsa_system_sgpr_workgroup_id_z 0
		.amdhsa_system_sgpr_workgroup_info 0
		.amdhsa_system_vgpr_workitem_id 0
		.amdhsa_next_free_vgpr 1
		.amdhsa_next_free_sgpr 1
		.amdhsa_reserve_vcc 0
		.amdhsa_reserve_flat_scratch 0
		.amdhsa_float_round_mode_32 0
		.amdhsa_float_round_mode_16_64 0
		.amdhsa_float_denorm_mode_32 3
		.amdhsa_float_denorm_mode_16_64 3
		.amdhsa_dx10_clamp 1
		.amdhsa_ieee_mode 1
		.amdhsa_fp16_overflow 0
		.amdhsa_workgroup_processor_mode 1
		.amdhsa_memory_ordered 1
		.amdhsa_forward_progress 1
		.amdhsa_shared_vgpr_count 0
		.amdhsa_exception_fp_ieee_invalid_op 0
		.amdhsa_exception_fp_denorm_src 0
		.amdhsa_exception_fp_ieee_div_zero 0
		.amdhsa_exception_fp_ieee_overflow 0
		.amdhsa_exception_fp_ieee_underflow 0
		.amdhsa_exception_fp_ieee_inexact 0
		.amdhsa_exception_int_div_zero 0
	.end_amdhsa_kernel
	.section	.text._ZN7rocprim17ROCPRIM_400000_NS6detail17trampoline_kernelINS0_14default_configENS1_36segmented_radix_sort_config_selectorI6__halflEEZNS1_25segmented_radix_sort_implIS3_Lb0EPKS5_PS5_PKlPlN2at6native12_GLOBAL__N_18offset_tEEE10hipError_tPvRmT1_PNSt15iterator_traitsISL_E10value_typeET2_T3_PNSM_ISR_E10value_typeET4_jRbjT5_SX_jjP12ihipStream_tbEUlT_E2_NS1_11comp_targetILNS1_3genE4ELNS1_11target_archE910ELNS1_3gpuE8ELNS1_3repE0EEENS1_30default_config_static_selectorELNS0_4arch9wavefront6targetE0EEEvSL_,"axG",@progbits,_ZN7rocprim17ROCPRIM_400000_NS6detail17trampoline_kernelINS0_14default_configENS1_36segmented_radix_sort_config_selectorI6__halflEEZNS1_25segmented_radix_sort_implIS3_Lb0EPKS5_PS5_PKlPlN2at6native12_GLOBAL__N_18offset_tEEE10hipError_tPvRmT1_PNSt15iterator_traitsISL_E10value_typeET2_T3_PNSM_ISR_E10value_typeET4_jRbjT5_SX_jjP12ihipStream_tbEUlT_E2_NS1_11comp_targetILNS1_3genE4ELNS1_11target_archE910ELNS1_3gpuE8ELNS1_3repE0EEENS1_30default_config_static_selectorELNS0_4arch9wavefront6targetE0EEEvSL_,comdat
.Lfunc_end1864:
	.size	_ZN7rocprim17ROCPRIM_400000_NS6detail17trampoline_kernelINS0_14default_configENS1_36segmented_radix_sort_config_selectorI6__halflEEZNS1_25segmented_radix_sort_implIS3_Lb0EPKS5_PS5_PKlPlN2at6native12_GLOBAL__N_18offset_tEEE10hipError_tPvRmT1_PNSt15iterator_traitsISL_E10value_typeET2_T3_PNSM_ISR_E10value_typeET4_jRbjT5_SX_jjP12ihipStream_tbEUlT_E2_NS1_11comp_targetILNS1_3genE4ELNS1_11target_archE910ELNS1_3gpuE8ELNS1_3repE0EEENS1_30default_config_static_selectorELNS0_4arch9wavefront6targetE0EEEvSL_, .Lfunc_end1864-_ZN7rocprim17ROCPRIM_400000_NS6detail17trampoline_kernelINS0_14default_configENS1_36segmented_radix_sort_config_selectorI6__halflEEZNS1_25segmented_radix_sort_implIS3_Lb0EPKS5_PS5_PKlPlN2at6native12_GLOBAL__N_18offset_tEEE10hipError_tPvRmT1_PNSt15iterator_traitsISL_E10value_typeET2_T3_PNSM_ISR_E10value_typeET4_jRbjT5_SX_jjP12ihipStream_tbEUlT_E2_NS1_11comp_targetILNS1_3genE4ELNS1_11target_archE910ELNS1_3gpuE8ELNS1_3repE0EEENS1_30default_config_static_selectorELNS0_4arch9wavefront6targetE0EEEvSL_
                                        ; -- End function
	.set _ZN7rocprim17ROCPRIM_400000_NS6detail17trampoline_kernelINS0_14default_configENS1_36segmented_radix_sort_config_selectorI6__halflEEZNS1_25segmented_radix_sort_implIS3_Lb0EPKS5_PS5_PKlPlN2at6native12_GLOBAL__N_18offset_tEEE10hipError_tPvRmT1_PNSt15iterator_traitsISL_E10value_typeET2_T3_PNSM_ISR_E10value_typeET4_jRbjT5_SX_jjP12ihipStream_tbEUlT_E2_NS1_11comp_targetILNS1_3genE4ELNS1_11target_archE910ELNS1_3gpuE8ELNS1_3repE0EEENS1_30default_config_static_selectorELNS0_4arch9wavefront6targetE0EEEvSL_.num_vgpr, 0
	.set _ZN7rocprim17ROCPRIM_400000_NS6detail17trampoline_kernelINS0_14default_configENS1_36segmented_radix_sort_config_selectorI6__halflEEZNS1_25segmented_radix_sort_implIS3_Lb0EPKS5_PS5_PKlPlN2at6native12_GLOBAL__N_18offset_tEEE10hipError_tPvRmT1_PNSt15iterator_traitsISL_E10value_typeET2_T3_PNSM_ISR_E10value_typeET4_jRbjT5_SX_jjP12ihipStream_tbEUlT_E2_NS1_11comp_targetILNS1_3genE4ELNS1_11target_archE910ELNS1_3gpuE8ELNS1_3repE0EEENS1_30default_config_static_selectorELNS0_4arch9wavefront6targetE0EEEvSL_.num_agpr, 0
	.set _ZN7rocprim17ROCPRIM_400000_NS6detail17trampoline_kernelINS0_14default_configENS1_36segmented_radix_sort_config_selectorI6__halflEEZNS1_25segmented_radix_sort_implIS3_Lb0EPKS5_PS5_PKlPlN2at6native12_GLOBAL__N_18offset_tEEE10hipError_tPvRmT1_PNSt15iterator_traitsISL_E10value_typeET2_T3_PNSM_ISR_E10value_typeET4_jRbjT5_SX_jjP12ihipStream_tbEUlT_E2_NS1_11comp_targetILNS1_3genE4ELNS1_11target_archE910ELNS1_3gpuE8ELNS1_3repE0EEENS1_30default_config_static_selectorELNS0_4arch9wavefront6targetE0EEEvSL_.numbered_sgpr, 0
	.set _ZN7rocprim17ROCPRIM_400000_NS6detail17trampoline_kernelINS0_14default_configENS1_36segmented_radix_sort_config_selectorI6__halflEEZNS1_25segmented_radix_sort_implIS3_Lb0EPKS5_PS5_PKlPlN2at6native12_GLOBAL__N_18offset_tEEE10hipError_tPvRmT1_PNSt15iterator_traitsISL_E10value_typeET2_T3_PNSM_ISR_E10value_typeET4_jRbjT5_SX_jjP12ihipStream_tbEUlT_E2_NS1_11comp_targetILNS1_3genE4ELNS1_11target_archE910ELNS1_3gpuE8ELNS1_3repE0EEENS1_30default_config_static_selectorELNS0_4arch9wavefront6targetE0EEEvSL_.num_named_barrier, 0
	.set _ZN7rocprim17ROCPRIM_400000_NS6detail17trampoline_kernelINS0_14default_configENS1_36segmented_radix_sort_config_selectorI6__halflEEZNS1_25segmented_radix_sort_implIS3_Lb0EPKS5_PS5_PKlPlN2at6native12_GLOBAL__N_18offset_tEEE10hipError_tPvRmT1_PNSt15iterator_traitsISL_E10value_typeET2_T3_PNSM_ISR_E10value_typeET4_jRbjT5_SX_jjP12ihipStream_tbEUlT_E2_NS1_11comp_targetILNS1_3genE4ELNS1_11target_archE910ELNS1_3gpuE8ELNS1_3repE0EEENS1_30default_config_static_selectorELNS0_4arch9wavefront6targetE0EEEvSL_.private_seg_size, 0
	.set _ZN7rocprim17ROCPRIM_400000_NS6detail17trampoline_kernelINS0_14default_configENS1_36segmented_radix_sort_config_selectorI6__halflEEZNS1_25segmented_radix_sort_implIS3_Lb0EPKS5_PS5_PKlPlN2at6native12_GLOBAL__N_18offset_tEEE10hipError_tPvRmT1_PNSt15iterator_traitsISL_E10value_typeET2_T3_PNSM_ISR_E10value_typeET4_jRbjT5_SX_jjP12ihipStream_tbEUlT_E2_NS1_11comp_targetILNS1_3genE4ELNS1_11target_archE910ELNS1_3gpuE8ELNS1_3repE0EEENS1_30default_config_static_selectorELNS0_4arch9wavefront6targetE0EEEvSL_.uses_vcc, 0
	.set _ZN7rocprim17ROCPRIM_400000_NS6detail17trampoline_kernelINS0_14default_configENS1_36segmented_radix_sort_config_selectorI6__halflEEZNS1_25segmented_radix_sort_implIS3_Lb0EPKS5_PS5_PKlPlN2at6native12_GLOBAL__N_18offset_tEEE10hipError_tPvRmT1_PNSt15iterator_traitsISL_E10value_typeET2_T3_PNSM_ISR_E10value_typeET4_jRbjT5_SX_jjP12ihipStream_tbEUlT_E2_NS1_11comp_targetILNS1_3genE4ELNS1_11target_archE910ELNS1_3gpuE8ELNS1_3repE0EEENS1_30default_config_static_selectorELNS0_4arch9wavefront6targetE0EEEvSL_.uses_flat_scratch, 0
	.set _ZN7rocprim17ROCPRIM_400000_NS6detail17trampoline_kernelINS0_14default_configENS1_36segmented_radix_sort_config_selectorI6__halflEEZNS1_25segmented_radix_sort_implIS3_Lb0EPKS5_PS5_PKlPlN2at6native12_GLOBAL__N_18offset_tEEE10hipError_tPvRmT1_PNSt15iterator_traitsISL_E10value_typeET2_T3_PNSM_ISR_E10value_typeET4_jRbjT5_SX_jjP12ihipStream_tbEUlT_E2_NS1_11comp_targetILNS1_3genE4ELNS1_11target_archE910ELNS1_3gpuE8ELNS1_3repE0EEENS1_30default_config_static_selectorELNS0_4arch9wavefront6targetE0EEEvSL_.has_dyn_sized_stack, 0
	.set _ZN7rocprim17ROCPRIM_400000_NS6detail17trampoline_kernelINS0_14default_configENS1_36segmented_radix_sort_config_selectorI6__halflEEZNS1_25segmented_radix_sort_implIS3_Lb0EPKS5_PS5_PKlPlN2at6native12_GLOBAL__N_18offset_tEEE10hipError_tPvRmT1_PNSt15iterator_traitsISL_E10value_typeET2_T3_PNSM_ISR_E10value_typeET4_jRbjT5_SX_jjP12ihipStream_tbEUlT_E2_NS1_11comp_targetILNS1_3genE4ELNS1_11target_archE910ELNS1_3gpuE8ELNS1_3repE0EEENS1_30default_config_static_selectorELNS0_4arch9wavefront6targetE0EEEvSL_.has_recursion, 0
	.set _ZN7rocprim17ROCPRIM_400000_NS6detail17trampoline_kernelINS0_14default_configENS1_36segmented_radix_sort_config_selectorI6__halflEEZNS1_25segmented_radix_sort_implIS3_Lb0EPKS5_PS5_PKlPlN2at6native12_GLOBAL__N_18offset_tEEE10hipError_tPvRmT1_PNSt15iterator_traitsISL_E10value_typeET2_T3_PNSM_ISR_E10value_typeET4_jRbjT5_SX_jjP12ihipStream_tbEUlT_E2_NS1_11comp_targetILNS1_3genE4ELNS1_11target_archE910ELNS1_3gpuE8ELNS1_3repE0EEENS1_30default_config_static_selectorELNS0_4arch9wavefront6targetE0EEEvSL_.has_indirect_call, 0
	.section	.AMDGPU.csdata,"",@progbits
; Kernel info:
; codeLenInByte = 0
; TotalNumSgprs: 0
; NumVgprs: 0
; ScratchSize: 0
; MemoryBound: 0
; FloatMode: 240
; IeeeMode: 1
; LDSByteSize: 0 bytes/workgroup (compile time only)
; SGPRBlocks: 0
; VGPRBlocks: 0
; NumSGPRsForWavesPerEU: 1
; NumVGPRsForWavesPerEU: 1
; Occupancy: 16
; WaveLimiterHint : 0
; COMPUTE_PGM_RSRC2:SCRATCH_EN: 0
; COMPUTE_PGM_RSRC2:USER_SGPR: 6
; COMPUTE_PGM_RSRC2:TRAP_HANDLER: 0
; COMPUTE_PGM_RSRC2:TGID_X_EN: 1
; COMPUTE_PGM_RSRC2:TGID_Y_EN: 0
; COMPUTE_PGM_RSRC2:TGID_Z_EN: 0
; COMPUTE_PGM_RSRC2:TIDIG_COMP_CNT: 0
	.section	.text._ZN7rocprim17ROCPRIM_400000_NS6detail17trampoline_kernelINS0_14default_configENS1_36segmented_radix_sort_config_selectorI6__halflEEZNS1_25segmented_radix_sort_implIS3_Lb0EPKS5_PS5_PKlPlN2at6native12_GLOBAL__N_18offset_tEEE10hipError_tPvRmT1_PNSt15iterator_traitsISL_E10value_typeET2_T3_PNSM_ISR_E10value_typeET4_jRbjT5_SX_jjP12ihipStream_tbEUlT_E2_NS1_11comp_targetILNS1_3genE3ELNS1_11target_archE908ELNS1_3gpuE7ELNS1_3repE0EEENS1_30default_config_static_selectorELNS0_4arch9wavefront6targetE0EEEvSL_,"axG",@progbits,_ZN7rocprim17ROCPRIM_400000_NS6detail17trampoline_kernelINS0_14default_configENS1_36segmented_radix_sort_config_selectorI6__halflEEZNS1_25segmented_radix_sort_implIS3_Lb0EPKS5_PS5_PKlPlN2at6native12_GLOBAL__N_18offset_tEEE10hipError_tPvRmT1_PNSt15iterator_traitsISL_E10value_typeET2_T3_PNSM_ISR_E10value_typeET4_jRbjT5_SX_jjP12ihipStream_tbEUlT_E2_NS1_11comp_targetILNS1_3genE3ELNS1_11target_archE908ELNS1_3gpuE7ELNS1_3repE0EEENS1_30default_config_static_selectorELNS0_4arch9wavefront6targetE0EEEvSL_,comdat
	.globl	_ZN7rocprim17ROCPRIM_400000_NS6detail17trampoline_kernelINS0_14default_configENS1_36segmented_radix_sort_config_selectorI6__halflEEZNS1_25segmented_radix_sort_implIS3_Lb0EPKS5_PS5_PKlPlN2at6native12_GLOBAL__N_18offset_tEEE10hipError_tPvRmT1_PNSt15iterator_traitsISL_E10value_typeET2_T3_PNSM_ISR_E10value_typeET4_jRbjT5_SX_jjP12ihipStream_tbEUlT_E2_NS1_11comp_targetILNS1_3genE3ELNS1_11target_archE908ELNS1_3gpuE7ELNS1_3repE0EEENS1_30default_config_static_selectorELNS0_4arch9wavefront6targetE0EEEvSL_ ; -- Begin function _ZN7rocprim17ROCPRIM_400000_NS6detail17trampoline_kernelINS0_14default_configENS1_36segmented_radix_sort_config_selectorI6__halflEEZNS1_25segmented_radix_sort_implIS3_Lb0EPKS5_PS5_PKlPlN2at6native12_GLOBAL__N_18offset_tEEE10hipError_tPvRmT1_PNSt15iterator_traitsISL_E10value_typeET2_T3_PNSM_ISR_E10value_typeET4_jRbjT5_SX_jjP12ihipStream_tbEUlT_E2_NS1_11comp_targetILNS1_3genE3ELNS1_11target_archE908ELNS1_3gpuE7ELNS1_3repE0EEENS1_30default_config_static_selectorELNS0_4arch9wavefront6targetE0EEEvSL_
	.p2align	8
	.type	_ZN7rocprim17ROCPRIM_400000_NS6detail17trampoline_kernelINS0_14default_configENS1_36segmented_radix_sort_config_selectorI6__halflEEZNS1_25segmented_radix_sort_implIS3_Lb0EPKS5_PS5_PKlPlN2at6native12_GLOBAL__N_18offset_tEEE10hipError_tPvRmT1_PNSt15iterator_traitsISL_E10value_typeET2_T3_PNSM_ISR_E10value_typeET4_jRbjT5_SX_jjP12ihipStream_tbEUlT_E2_NS1_11comp_targetILNS1_3genE3ELNS1_11target_archE908ELNS1_3gpuE7ELNS1_3repE0EEENS1_30default_config_static_selectorELNS0_4arch9wavefront6targetE0EEEvSL_,@function
_ZN7rocprim17ROCPRIM_400000_NS6detail17trampoline_kernelINS0_14default_configENS1_36segmented_radix_sort_config_selectorI6__halflEEZNS1_25segmented_radix_sort_implIS3_Lb0EPKS5_PS5_PKlPlN2at6native12_GLOBAL__N_18offset_tEEE10hipError_tPvRmT1_PNSt15iterator_traitsISL_E10value_typeET2_T3_PNSM_ISR_E10value_typeET4_jRbjT5_SX_jjP12ihipStream_tbEUlT_E2_NS1_11comp_targetILNS1_3genE3ELNS1_11target_archE908ELNS1_3gpuE7ELNS1_3repE0EEENS1_30default_config_static_selectorELNS0_4arch9wavefront6targetE0EEEvSL_: ; @_ZN7rocprim17ROCPRIM_400000_NS6detail17trampoline_kernelINS0_14default_configENS1_36segmented_radix_sort_config_selectorI6__halflEEZNS1_25segmented_radix_sort_implIS3_Lb0EPKS5_PS5_PKlPlN2at6native12_GLOBAL__N_18offset_tEEE10hipError_tPvRmT1_PNSt15iterator_traitsISL_E10value_typeET2_T3_PNSM_ISR_E10value_typeET4_jRbjT5_SX_jjP12ihipStream_tbEUlT_E2_NS1_11comp_targetILNS1_3genE3ELNS1_11target_archE908ELNS1_3gpuE7ELNS1_3repE0EEENS1_30default_config_static_selectorELNS0_4arch9wavefront6targetE0EEEvSL_
; %bb.0:
	.section	.rodata,"a",@progbits
	.p2align	6, 0x0
	.amdhsa_kernel _ZN7rocprim17ROCPRIM_400000_NS6detail17trampoline_kernelINS0_14default_configENS1_36segmented_radix_sort_config_selectorI6__halflEEZNS1_25segmented_radix_sort_implIS3_Lb0EPKS5_PS5_PKlPlN2at6native12_GLOBAL__N_18offset_tEEE10hipError_tPvRmT1_PNSt15iterator_traitsISL_E10value_typeET2_T3_PNSM_ISR_E10value_typeET4_jRbjT5_SX_jjP12ihipStream_tbEUlT_E2_NS1_11comp_targetILNS1_3genE3ELNS1_11target_archE908ELNS1_3gpuE7ELNS1_3repE0EEENS1_30default_config_static_selectorELNS0_4arch9wavefront6targetE0EEEvSL_
		.amdhsa_group_segment_fixed_size 0
		.amdhsa_private_segment_fixed_size 0
		.amdhsa_kernarg_size 80
		.amdhsa_user_sgpr_count 6
		.amdhsa_user_sgpr_private_segment_buffer 1
		.amdhsa_user_sgpr_dispatch_ptr 0
		.amdhsa_user_sgpr_queue_ptr 0
		.amdhsa_user_sgpr_kernarg_segment_ptr 1
		.amdhsa_user_sgpr_dispatch_id 0
		.amdhsa_user_sgpr_flat_scratch_init 0
		.amdhsa_user_sgpr_private_segment_size 0
		.amdhsa_wavefront_size32 1
		.amdhsa_uses_dynamic_stack 0
		.amdhsa_system_sgpr_private_segment_wavefront_offset 0
		.amdhsa_system_sgpr_workgroup_id_x 1
		.amdhsa_system_sgpr_workgroup_id_y 0
		.amdhsa_system_sgpr_workgroup_id_z 0
		.amdhsa_system_sgpr_workgroup_info 0
		.amdhsa_system_vgpr_workitem_id 0
		.amdhsa_next_free_vgpr 1
		.amdhsa_next_free_sgpr 1
		.amdhsa_reserve_vcc 0
		.amdhsa_reserve_flat_scratch 0
		.amdhsa_float_round_mode_32 0
		.amdhsa_float_round_mode_16_64 0
		.amdhsa_float_denorm_mode_32 3
		.amdhsa_float_denorm_mode_16_64 3
		.amdhsa_dx10_clamp 1
		.amdhsa_ieee_mode 1
		.amdhsa_fp16_overflow 0
		.amdhsa_workgroup_processor_mode 1
		.amdhsa_memory_ordered 1
		.amdhsa_forward_progress 1
		.amdhsa_shared_vgpr_count 0
		.amdhsa_exception_fp_ieee_invalid_op 0
		.amdhsa_exception_fp_denorm_src 0
		.amdhsa_exception_fp_ieee_div_zero 0
		.amdhsa_exception_fp_ieee_overflow 0
		.amdhsa_exception_fp_ieee_underflow 0
		.amdhsa_exception_fp_ieee_inexact 0
		.amdhsa_exception_int_div_zero 0
	.end_amdhsa_kernel
	.section	.text._ZN7rocprim17ROCPRIM_400000_NS6detail17trampoline_kernelINS0_14default_configENS1_36segmented_radix_sort_config_selectorI6__halflEEZNS1_25segmented_radix_sort_implIS3_Lb0EPKS5_PS5_PKlPlN2at6native12_GLOBAL__N_18offset_tEEE10hipError_tPvRmT1_PNSt15iterator_traitsISL_E10value_typeET2_T3_PNSM_ISR_E10value_typeET4_jRbjT5_SX_jjP12ihipStream_tbEUlT_E2_NS1_11comp_targetILNS1_3genE3ELNS1_11target_archE908ELNS1_3gpuE7ELNS1_3repE0EEENS1_30default_config_static_selectorELNS0_4arch9wavefront6targetE0EEEvSL_,"axG",@progbits,_ZN7rocprim17ROCPRIM_400000_NS6detail17trampoline_kernelINS0_14default_configENS1_36segmented_radix_sort_config_selectorI6__halflEEZNS1_25segmented_radix_sort_implIS3_Lb0EPKS5_PS5_PKlPlN2at6native12_GLOBAL__N_18offset_tEEE10hipError_tPvRmT1_PNSt15iterator_traitsISL_E10value_typeET2_T3_PNSM_ISR_E10value_typeET4_jRbjT5_SX_jjP12ihipStream_tbEUlT_E2_NS1_11comp_targetILNS1_3genE3ELNS1_11target_archE908ELNS1_3gpuE7ELNS1_3repE0EEENS1_30default_config_static_selectorELNS0_4arch9wavefront6targetE0EEEvSL_,comdat
.Lfunc_end1865:
	.size	_ZN7rocprim17ROCPRIM_400000_NS6detail17trampoline_kernelINS0_14default_configENS1_36segmented_radix_sort_config_selectorI6__halflEEZNS1_25segmented_radix_sort_implIS3_Lb0EPKS5_PS5_PKlPlN2at6native12_GLOBAL__N_18offset_tEEE10hipError_tPvRmT1_PNSt15iterator_traitsISL_E10value_typeET2_T3_PNSM_ISR_E10value_typeET4_jRbjT5_SX_jjP12ihipStream_tbEUlT_E2_NS1_11comp_targetILNS1_3genE3ELNS1_11target_archE908ELNS1_3gpuE7ELNS1_3repE0EEENS1_30default_config_static_selectorELNS0_4arch9wavefront6targetE0EEEvSL_, .Lfunc_end1865-_ZN7rocprim17ROCPRIM_400000_NS6detail17trampoline_kernelINS0_14default_configENS1_36segmented_radix_sort_config_selectorI6__halflEEZNS1_25segmented_radix_sort_implIS3_Lb0EPKS5_PS5_PKlPlN2at6native12_GLOBAL__N_18offset_tEEE10hipError_tPvRmT1_PNSt15iterator_traitsISL_E10value_typeET2_T3_PNSM_ISR_E10value_typeET4_jRbjT5_SX_jjP12ihipStream_tbEUlT_E2_NS1_11comp_targetILNS1_3genE3ELNS1_11target_archE908ELNS1_3gpuE7ELNS1_3repE0EEENS1_30default_config_static_selectorELNS0_4arch9wavefront6targetE0EEEvSL_
                                        ; -- End function
	.set _ZN7rocprim17ROCPRIM_400000_NS6detail17trampoline_kernelINS0_14default_configENS1_36segmented_radix_sort_config_selectorI6__halflEEZNS1_25segmented_radix_sort_implIS3_Lb0EPKS5_PS5_PKlPlN2at6native12_GLOBAL__N_18offset_tEEE10hipError_tPvRmT1_PNSt15iterator_traitsISL_E10value_typeET2_T3_PNSM_ISR_E10value_typeET4_jRbjT5_SX_jjP12ihipStream_tbEUlT_E2_NS1_11comp_targetILNS1_3genE3ELNS1_11target_archE908ELNS1_3gpuE7ELNS1_3repE0EEENS1_30default_config_static_selectorELNS0_4arch9wavefront6targetE0EEEvSL_.num_vgpr, 0
	.set _ZN7rocprim17ROCPRIM_400000_NS6detail17trampoline_kernelINS0_14default_configENS1_36segmented_radix_sort_config_selectorI6__halflEEZNS1_25segmented_radix_sort_implIS3_Lb0EPKS5_PS5_PKlPlN2at6native12_GLOBAL__N_18offset_tEEE10hipError_tPvRmT1_PNSt15iterator_traitsISL_E10value_typeET2_T3_PNSM_ISR_E10value_typeET4_jRbjT5_SX_jjP12ihipStream_tbEUlT_E2_NS1_11comp_targetILNS1_3genE3ELNS1_11target_archE908ELNS1_3gpuE7ELNS1_3repE0EEENS1_30default_config_static_selectorELNS0_4arch9wavefront6targetE0EEEvSL_.num_agpr, 0
	.set _ZN7rocprim17ROCPRIM_400000_NS6detail17trampoline_kernelINS0_14default_configENS1_36segmented_radix_sort_config_selectorI6__halflEEZNS1_25segmented_radix_sort_implIS3_Lb0EPKS5_PS5_PKlPlN2at6native12_GLOBAL__N_18offset_tEEE10hipError_tPvRmT1_PNSt15iterator_traitsISL_E10value_typeET2_T3_PNSM_ISR_E10value_typeET4_jRbjT5_SX_jjP12ihipStream_tbEUlT_E2_NS1_11comp_targetILNS1_3genE3ELNS1_11target_archE908ELNS1_3gpuE7ELNS1_3repE0EEENS1_30default_config_static_selectorELNS0_4arch9wavefront6targetE0EEEvSL_.numbered_sgpr, 0
	.set _ZN7rocprim17ROCPRIM_400000_NS6detail17trampoline_kernelINS0_14default_configENS1_36segmented_radix_sort_config_selectorI6__halflEEZNS1_25segmented_radix_sort_implIS3_Lb0EPKS5_PS5_PKlPlN2at6native12_GLOBAL__N_18offset_tEEE10hipError_tPvRmT1_PNSt15iterator_traitsISL_E10value_typeET2_T3_PNSM_ISR_E10value_typeET4_jRbjT5_SX_jjP12ihipStream_tbEUlT_E2_NS1_11comp_targetILNS1_3genE3ELNS1_11target_archE908ELNS1_3gpuE7ELNS1_3repE0EEENS1_30default_config_static_selectorELNS0_4arch9wavefront6targetE0EEEvSL_.num_named_barrier, 0
	.set _ZN7rocprim17ROCPRIM_400000_NS6detail17trampoline_kernelINS0_14default_configENS1_36segmented_radix_sort_config_selectorI6__halflEEZNS1_25segmented_radix_sort_implIS3_Lb0EPKS5_PS5_PKlPlN2at6native12_GLOBAL__N_18offset_tEEE10hipError_tPvRmT1_PNSt15iterator_traitsISL_E10value_typeET2_T3_PNSM_ISR_E10value_typeET4_jRbjT5_SX_jjP12ihipStream_tbEUlT_E2_NS1_11comp_targetILNS1_3genE3ELNS1_11target_archE908ELNS1_3gpuE7ELNS1_3repE0EEENS1_30default_config_static_selectorELNS0_4arch9wavefront6targetE0EEEvSL_.private_seg_size, 0
	.set _ZN7rocprim17ROCPRIM_400000_NS6detail17trampoline_kernelINS0_14default_configENS1_36segmented_radix_sort_config_selectorI6__halflEEZNS1_25segmented_radix_sort_implIS3_Lb0EPKS5_PS5_PKlPlN2at6native12_GLOBAL__N_18offset_tEEE10hipError_tPvRmT1_PNSt15iterator_traitsISL_E10value_typeET2_T3_PNSM_ISR_E10value_typeET4_jRbjT5_SX_jjP12ihipStream_tbEUlT_E2_NS1_11comp_targetILNS1_3genE3ELNS1_11target_archE908ELNS1_3gpuE7ELNS1_3repE0EEENS1_30default_config_static_selectorELNS0_4arch9wavefront6targetE0EEEvSL_.uses_vcc, 0
	.set _ZN7rocprim17ROCPRIM_400000_NS6detail17trampoline_kernelINS0_14default_configENS1_36segmented_radix_sort_config_selectorI6__halflEEZNS1_25segmented_radix_sort_implIS3_Lb0EPKS5_PS5_PKlPlN2at6native12_GLOBAL__N_18offset_tEEE10hipError_tPvRmT1_PNSt15iterator_traitsISL_E10value_typeET2_T3_PNSM_ISR_E10value_typeET4_jRbjT5_SX_jjP12ihipStream_tbEUlT_E2_NS1_11comp_targetILNS1_3genE3ELNS1_11target_archE908ELNS1_3gpuE7ELNS1_3repE0EEENS1_30default_config_static_selectorELNS0_4arch9wavefront6targetE0EEEvSL_.uses_flat_scratch, 0
	.set _ZN7rocprim17ROCPRIM_400000_NS6detail17trampoline_kernelINS0_14default_configENS1_36segmented_radix_sort_config_selectorI6__halflEEZNS1_25segmented_radix_sort_implIS3_Lb0EPKS5_PS5_PKlPlN2at6native12_GLOBAL__N_18offset_tEEE10hipError_tPvRmT1_PNSt15iterator_traitsISL_E10value_typeET2_T3_PNSM_ISR_E10value_typeET4_jRbjT5_SX_jjP12ihipStream_tbEUlT_E2_NS1_11comp_targetILNS1_3genE3ELNS1_11target_archE908ELNS1_3gpuE7ELNS1_3repE0EEENS1_30default_config_static_selectorELNS0_4arch9wavefront6targetE0EEEvSL_.has_dyn_sized_stack, 0
	.set _ZN7rocprim17ROCPRIM_400000_NS6detail17trampoline_kernelINS0_14default_configENS1_36segmented_radix_sort_config_selectorI6__halflEEZNS1_25segmented_radix_sort_implIS3_Lb0EPKS5_PS5_PKlPlN2at6native12_GLOBAL__N_18offset_tEEE10hipError_tPvRmT1_PNSt15iterator_traitsISL_E10value_typeET2_T3_PNSM_ISR_E10value_typeET4_jRbjT5_SX_jjP12ihipStream_tbEUlT_E2_NS1_11comp_targetILNS1_3genE3ELNS1_11target_archE908ELNS1_3gpuE7ELNS1_3repE0EEENS1_30default_config_static_selectorELNS0_4arch9wavefront6targetE0EEEvSL_.has_recursion, 0
	.set _ZN7rocprim17ROCPRIM_400000_NS6detail17trampoline_kernelINS0_14default_configENS1_36segmented_radix_sort_config_selectorI6__halflEEZNS1_25segmented_radix_sort_implIS3_Lb0EPKS5_PS5_PKlPlN2at6native12_GLOBAL__N_18offset_tEEE10hipError_tPvRmT1_PNSt15iterator_traitsISL_E10value_typeET2_T3_PNSM_ISR_E10value_typeET4_jRbjT5_SX_jjP12ihipStream_tbEUlT_E2_NS1_11comp_targetILNS1_3genE3ELNS1_11target_archE908ELNS1_3gpuE7ELNS1_3repE0EEENS1_30default_config_static_selectorELNS0_4arch9wavefront6targetE0EEEvSL_.has_indirect_call, 0
	.section	.AMDGPU.csdata,"",@progbits
; Kernel info:
; codeLenInByte = 0
; TotalNumSgprs: 0
; NumVgprs: 0
; ScratchSize: 0
; MemoryBound: 0
; FloatMode: 240
; IeeeMode: 1
; LDSByteSize: 0 bytes/workgroup (compile time only)
; SGPRBlocks: 0
; VGPRBlocks: 0
; NumSGPRsForWavesPerEU: 1
; NumVGPRsForWavesPerEU: 1
; Occupancy: 16
; WaveLimiterHint : 0
; COMPUTE_PGM_RSRC2:SCRATCH_EN: 0
; COMPUTE_PGM_RSRC2:USER_SGPR: 6
; COMPUTE_PGM_RSRC2:TRAP_HANDLER: 0
; COMPUTE_PGM_RSRC2:TGID_X_EN: 1
; COMPUTE_PGM_RSRC2:TGID_Y_EN: 0
; COMPUTE_PGM_RSRC2:TGID_Z_EN: 0
; COMPUTE_PGM_RSRC2:TIDIG_COMP_CNT: 0
	.section	.text._ZN7rocprim17ROCPRIM_400000_NS6detail17trampoline_kernelINS0_14default_configENS1_36segmented_radix_sort_config_selectorI6__halflEEZNS1_25segmented_radix_sort_implIS3_Lb0EPKS5_PS5_PKlPlN2at6native12_GLOBAL__N_18offset_tEEE10hipError_tPvRmT1_PNSt15iterator_traitsISL_E10value_typeET2_T3_PNSM_ISR_E10value_typeET4_jRbjT5_SX_jjP12ihipStream_tbEUlT_E2_NS1_11comp_targetILNS1_3genE2ELNS1_11target_archE906ELNS1_3gpuE6ELNS1_3repE0EEENS1_30default_config_static_selectorELNS0_4arch9wavefront6targetE0EEEvSL_,"axG",@progbits,_ZN7rocprim17ROCPRIM_400000_NS6detail17trampoline_kernelINS0_14default_configENS1_36segmented_radix_sort_config_selectorI6__halflEEZNS1_25segmented_radix_sort_implIS3_Lb0EPKS5_PS5_PKlPlN2at6native12_GLOBAL__N_18offset_tEEE10hipError_tPvRmT1_PNSt15iterator_traitsISL_E10value_typeET2_T3_PNSM_ISR_E10value_typeET4_jRbjT5_SX_jjP12ihipStream_tbEUlT_E2_NS1_11comp_targetILNS1_3genE2ELNS1_11target_archE906ELNS1_3gpuE6ELNS1_3repE0EEENS1_30default_config_static_selectorELNS0_4arch9wavefront6targetE0EEEvSL_,comdat
	.globl	_ZN7rocprim17ROCPRIM_400000_NS6detail17trampoline_kernelINS0_14default_configENS1_36segmented_radix_sort_config_selectorI6__halflEEZNS1_25segmented_radix_sort_implIS3_Lb0EPKS5_PS5_PKlPlN2at6native12_GLOBAL__N_18offset_tEEE10hipError_tPvRmT1_PNSt15iterator_traitsISL_E10value_typeET2_T3_PNSM_ISR_E10value_typeET4_jRbjT5_SX_jjP12ihipStream_tbEUlT_E2_NS1_11comp_targetILNS1_3genE2ELNS1_11target_archE906ELNS1_3gpuE6ELNS1_3repE0EEENS1_30default_config_static_selectorELNS0_4arch9wavefront6targetE0EEEvSL_ ; -- Begin function _ZN7rocprim17ROCPRIM_400000_NS6detail17trampoline_kernelINS0_14default_configENS1_36segmented_radix_sort_config_selectorI6__halflEEZNS1_25segmented_radix_sort_implIS3_Lb0EPKS5_PS5_PKlPlN2at6native12_GLOBAL__N_18offset_tEEE10hipError_tPvRmT1_PNSt15iterator_traitsISL_E10value_typeET2_T3_PNSM_ISR_E10value_typeET4_jRbjT5_SX_jjP12ihipStream_tbEUlT_E2_NS1_11comp_targetILNS1_3genE2ELNS1_11target_archE906ELNS1_3gpuE6ELNS1_3repE0EEENS1_30default_config_static_selectorELNS0_4arch9wavefront6targetE0EEEvSL_
	.p2align	8
	.type	_ZN7rocprim17ROCPRIM_400000_NS6detail17trampoline_kernelINS0_14default_configENS1_36segmented_radix_sort_config_selectorI6__halflEEZNS1_25segmented_radix_sort_implIS3_Lb0EPKS5_PS5_PKlPlN2at6native12_GLOBAL__N_18offset_tEEE10hipError_tPvRmT1_PNSt15iterator_traitsISL_E10value_typeET2_T3_PNSM_ISR_E10value_typeET4_jRbjT5_SX_jjP12ihipStream_tbEUlT_E2_NS1_11comp_targetILNS1_3genE2ELNS1_11target_archE906ELNS1_3gpuE6ELNS1_3repE0EEENS1_30default_config_static_selectorELNS0_4arch9wavefront6targetE0EEEvSL_,@function
_ZN7rocprim17ROCPRIM_400000_NS6detail17trampoline_kernelINS0_14default_configENS1_36segmented_radix_sort_config_selectorI6__halflEEZNS1_25segmented_radix_sort_implIS3_Lb0EPKS5_PS5_PKlPlN2at6native12_GLOBAL__N_18offset_tEEE10hipError_tPvRmT1_PNSt15iterator_traitsISL_E10value_typeET2_T3_PNSM_ISR_E10value_typeET4_jRbjT5_SX_jjP12ihipStream_tbEUlT_E2_NS1_11comp_targetILNS1_3genE2ELNS1_11target_archE906ELNS1_3gpuE6ELNS1_3repE0EEENS1_30default_config_static_selectorELNS0_4arch9wavefront6targetE0EEEvSL_: ; @_ZN7rocprim17ROCPRIM_400000_NS6detail17trampoline_kernelINS0_14default_configENS1_36segmented_radix_sort_config_selectorI6__halflEEZNS1_25segmented_radix_sort_implIS3_Lb0EPKS5_PS5_PKlPlN2at6native12_GLOBAL__N_18offset_tEEE10hipError_tPvRmT1_PNSt15iterator_traitsISL_E10value_typeET2_T3_PNSM_ISR_E10value_typeET4_jRbjT5_SX_jjP12ihipStream_tbEUlT_E2_NS1_11comp_targetILNS1_3genE2ELNS1_11target_archE906ELNS1_3gpuE6ELNS1_3repE0EEENS1_30default_config_static_selectorELNS0_4arch9wavefront6targetE0EEEvSL_
; %bb.0:
	.section	.rodata,"a",@progbits
	.p2align	6, 0x0
	.amdhsa_kernel _ZN7rocprim17ROCPRIM_400000_NS6detail17trampoline_kernelINS0_14default_configENS1_36segmented_radix_sort_config_selectorI6__halflEEZNS1_25segmented_radix_sort_implIS3_Lb0EPKS5_PS5_PKlPlN2at6native12_GLOBAL__N_18offset_tEEE10hipError_tPvRmT1_PNSt15iterator_traitsISL_E10value_typeET2_T3_PNSM_ISR_E10value_typeET4_jRbjT5_SX_jjP12ihipStream_tbEUlT_E2_NS1_11comp_targetILNS1_3genE2ELNS1_11target_archE906ELNS1_3gpuE6ELNS1_3repE0EEENS1_30default_config_static_selectorELNS0_4arch9wavefront6targetE0EEEvSL_
		.amdhsa_group_segment_fixed_size 0
		.amdhsa_private_segment_fixed_size 0
		.amdhsa_kernarg_size 80
		.amdhsa_user_sgpr_count 6
		.amdhsa_user_sgpr_private_segment_buffer 1
		.amdhsa_user_sgpr_dispatch_ptr 0
		.amdhsa_user_sgpr_queue_ptr 0
		.amdhsa_user_sgpr_kernarg_segment_ptr 1
		.amdhsa_user_sgpr_dispatch_id 0
		.amdhsa_user_sgpr_flat_scratch_init 0
		.amdhsa_user_sgpr_private_segment_size 0
		.amdhsa_wavefront_size32 1
		.amdhsa_uses_dynamic_stack 0
		.amdhsa_system_sgpr_private_segment_wavefront_offset 0
		.amdhsa_system_sgpr_workgroup_id_x 1
		.amdhsa_system_sgpr_workgroup_id_y 0
		.amdhsa_system_sgpr_workgroup_id_z 0
		.amdhsa_system_sgpr_workgroup_info 0
		.amdhsa_system_vgpr_workitem_id 0
		.amdhsa_next_free_vgpr 1
		.amdhsa_next_free_sgpr 1
		.amdhsa_reserve_vcc 0
		.amdhsa_reserve_flat_scratch 0
		.amdhsa_float_round_mode_32 0
		.amdhsa_float_round_mode_16_64 0
		.amdhsa_float_denorm_mode_32 3
		.amdhsa_float_denorm_mode_16_64 3
		.amdhsa_dx10_clamp 1
		.amdhsa_ieee_mode 1
		.amdhsa_fp16_overflow 0
		.amdhsa_workgroup_processor_mode 1
		.amdhsa_memory_ordered 1
		.amdhsa_forward_progress 1
		.amdhsa_shared_vgpr_count 0
		.amdhsa_exception_fp_ieee_invalid_op 0
		.amdhsa_exception_fp_denorm_src 0
		.amdhsa_exception_fp_ieee_div_zero 0
		.amdhsa_exception_fp_ieee_overflow 0
		.amdhsa_exception_fp_ieee_underflow 0
		.amdhsa_exception_fp_ieee_inexact 0
		.amdhsa_exception_int_div_zero 0
	.end_amdhsa_kernel
	.section	.text._ZN7rocprim17ROCPRIM_400000_NS6detail17trampoline_kernelINS0_14default_configENS1_36segmented_radix_sort_config_selectorI6__halflEEZNS1_25segmented_radix_sort_implIS3_Lb0EPKS5_PS5_PKlPlN2at6native12_GLOBAL__N_18offset_tEEE10hipError_tPvRmT1_PNSt15iterator_traitsISL_E10value_typeET2_T3_PNSM_ISR_E10value_typeET4_jRbjT5_SX_jjP12ihipStream_tbEUlT_E2_NS1_11comp_targetILNS1_3genE2ELNS1_11target_archE906ELNS1_3gpuE6ELNS1_3repE0EEENS1_30default_config_static_selectorELNS0_4arch9wavefront6targetE0EEEvSL_,"axG",@progbits,_ZN7rocprim17ROCPRIM_400000_NS6detail17trampoline_kernelINS0_14default_configENS1_36segmented_radix_sort_config_selectorI6__halflEEZNS1_25segmented_radix_sort_implIS3_Lb0EPKS5_PS5_PKlPlN2at6native12_GLOBAL__N_18offset_tEEE10hipError_tPvRmT1_PNSt15iterator_traitsISL_E10value_typeET2_T3_PNSM_ISR_E10value_typeET4_jRbjT5_SX_jjP12ihipStream_tbEUlT_E2_NS1_11comp_targetILNS1_3genE2ELNS1_11target_archE906ELNS1_3gpuE6ELNS1_3repE0EEENS1_30default_config_static_selectorELNS0_4arch9wavefront6targetE0EEEvSL_,comdat
.Lfunc_end1866:
	.size	_ZN7rocprim17ROCPRIM_400000_NS6detail17trampoline_kernelINS0_14default_configENS1_36segmented_radix_sort_config_selectorI6__halflEEZNS1_25segmented_radix_sort_implIS3_Lb0EPKS5_PS5_PKlPlN2at6native12_GLOBAL__N_18offset_tEEE10hipError_tPvRmT1_PNSt15iterator_traitsISL_E10value_typeET2_T3_PNSM_ISR_E10value_typeET4_jRbjT5_SX_jjP12ihipStream_tbEUlT_E2_NS1_11comp_targetILNS1_3genE2ELNS1_11target_archE906ELNS1_3gpuE6ELNS1_3repE0EEENS1_30default_config_static_selectorELNS0_4arch9wavefront6targetE0EEEvSL_, .Lfunc_end1866-_ZN7rocprim17ROCPRIM_400000_NS6detail17trampoline_kernelINS0_14default_configENS1_36segmented_radix_sort_config_selectorI6__halflEEZNS1_25segmented_radix_sort_implIS3_Lb0EPKS5_PS5_PKlPlN2at6native12_GLOBAL__N_18offset_tEEE10hipError_tPvRmT1_PNSt15iterator_traitsISL_E10value_typeET2_T3_PNSM_ISR_E10value_typeET4_jRbjT5_SX_jjP12ihipStream_tbEUlT_E2_NS1_11comp_targetILNS1_3genE2ELNS1_11target_archE906ELNS1_3gpuE6ELNS1_3repE0EEENS1_30default_config_static_selectorELNS0_4arch9wavefront6targetE0EEEvSL_
                                        ; -- End function
	.set _ZN7rocprim17ROCPRIM_400000_NS6detail17trampoline_kernelINS0_14default_configENS1_36segmented_radix_sort_config_selectorI6__halflEEZNS1_25segmented_radix_sort_implIS3_Lb0EPKS5_PS5_PKlPlN2at6native12_GLOBAL__N_18offset_tEEE10hipError_tPvRmT1_PNSt15iterator_traitsISL_E10value_typeET2_T3_PNSM_ISR_E10value_typeET4_jRbjT5_SX_jjP12ihipStream_tbEUlT_E2_NS1_11comp_targetILNS1_3genE2ELNS1_11target_archE906ELNS1_3gpuE6ELNS1_3repE0EEENS1_30default_config_static_selectorELNS0_4arch9wavefront6targetE0EEEvSL_.num_vgpr, 0
	.set _ZN7rocprim17ROCPRIM_400000_NS6detail17trampoline_kernelINS0_14default_configENS1_36segmented_radix_sort_config_selectorI6__halflEEZNS1_25segmented_radix_sort_implIS3_Lb0EPKS5_PS5_PKlPlN2at6native12_GLOBAL__N_18offset_tEEE10hipError_tPvRmT1_PNSt15iterator_traitsISL_E10value_typeET2_T3_PNSM_ISR_E10value_typeET4_jRbjT5_SX_jjP12ihipStream_tbEUlT_E2_NS1_11comp_targetILNS1_3genE2ELNS1_11target_archE906ELNS1_3gpuE6ELNS1_3repE0EEENS1_30default_config_static_selectorELNS0_4arch9wavefront6targetE0EEEvSL_.num_agpr, 0
	.set _ZN7rocprim17ROCPRIM_400000_NS6detail17trampoline_kernelINS0_14default_configENS1_36segmented_radix_sort_config_selectorI6__halflEEZNS1_25segmented_radix_sort_implIS3_Lb0EPKS5_PS5_PKlPlN2at6native12_GLOBAL__N_18offset_tEEE10hipError_tPvRmT1_PNSt15iterator_traitsISL_E10value_typeET2_T3_PNSM_ISR_E10value_typeET4_jRbjT5_SX_jjP12ihipStream_tbEUlT_E2_NS1_11comp_targetILNS1_3genE2ELNS1_11target_archE906ELNS1_3gpuE6ELNS1_3repE0EEENS1_30default_config_static_selectorELNS0_4arch9wavefront6targetE0EEEvSL_.numbered_sgpr, 0
	.set _ZN7rocprim17ROCPRIM_400000_NS6detail17trampoline_kernelINS0_14default_configENS1_36segmented_radix_sort_config_selectorI6__halflEEZNS1_25segmented_radix_sort_implIS3_Lb0EPKS5_PS5_PKlPlN2at6native12_GLOBAL__N_18offset_tEEE10hipError_tPvRmT1_PNSt15iterator_traitsISL_E10value_typeET2_T3_PNSM_ISR_E10value_typeET4_jRbjT5_SX_jjP12ihipStream_tbEUlT_E2_NS1_11comp_targetILNS1_3genE2ELNS1_11target_archE906ELNS1_3gpuE6ELNS1_3repE0EEENS1_30default_config_static_selectorELNS0_4arch9wavefront6targetE0EEEvSL_.num_named_barrier, 0
	.set _ZN7rocprim17ROCPRIM_400000_NS6detail17trampoline_kernelINS0_14default_configENS1_36segmented_radix_sort_config_selectorI6__halflEEZNS1_25segmented_radix_sort_implIS3_Lb0EPKS5_PS5_PKlPlN2at6native12_GLOBAL__N_18offset_tEEE10hipError_tPvRmT1_PNSt15iterator_traitsISL_E10value_typeET2_T3_PNSM_ISR_E10value_typeET4_jRbjT5_SX_jjP12ihipStream_tbEUlT_E2_NS1_11comp_targetILNS1_3genE2ELNS1_11target_archE906ELNS1_3gpuE6ELNS1_3repE0EEENS1_30default_config_static_selectorELNS0_4arch9wavefront6targetE0EEEvSL_.private_seg_size, 0
	.set _ZN7rocprim17ROCPRIM_400000_NS6detail17trampoline_kernelINS0_14default_configENS1_36segmented_radix_sort_config_selectorI6__halflEEZNS1_25segmented_radix_sort_implIS3_Lb0EPKS5_PS5_PKlPlN2at6native12_GLOBAL__N_18offset_tEEE10hipError_tPvRmT1_PNSt15iterator_traitsISL_E10value_typeET2_T3_PNSM_ISR_E10value_typeET4_jRbjT5_SX_jjP12ihipStream_tbEUlT_E2_NS1_11comp_targetILNS1_3genE2ELNS1_11target_archE906ELNS1_3gpuE6ELNS1_3repE0EEENS1_30default_config_static_selectorELNS0_4arch9wavefront6targetE0EEEvSL_.uses_vcc, 0
	.set _ZN7rocprim17ROCPRIM_400000_NS6detail17trampoline_kernelINS0_14default_configENS1_36segmented_radix_sort_config_selectorI6__halflEEZNS1_25segmented_radix_sort_implIS3_Lb0EPKS5_PS5_PKlPlN2at6native12_GLOBAL__N_18offset_tEEE10hipError_tPvRmT1_PNSt15iterator_traitsISL_E10value_typeET2_T3_PNSM_ISR_E10value_typeET4_jRbjT5_SX_jjP12ihipStream_tbEUlT_E2_NS1_11comp_targetILNS1_3genE2ELNS1_11target_archE906ELNS1_3gpuE6ELNS1_3repE0EEENS1_30default_config_static_selectorELNS0_4arch9wavefront6targetE0EEEvSL_.uses_flat_scratch, 0
	.set _ZN7rocprim17ROCPRIM_400000_NS6detail17trampoline_kernelINS0_14default_configENS1_36segmented_radix_sort_config_selectorI6__halflEEZNS1_25segmented_radix_sort_implIS3_Lb0EPKS5_PS5_PKlPlN2at6native12_GLOBAL__N_18offset_tEEE10hipError_tPvRmT1_PNSt15iterator_traitsISL_E10value_typeET2_T3_PNSM_ISR_E10value_typeET4_jRbjT5_SX_jjP12ihipStream_tbEUlT_E2_NS1_11comp_targetILNS1_3genE2ELNS1_11target_archE906ELNS1_3gpuE6ELNS1_3repE0EEENS1_30default_config_static_selectorELNS0_4arch9wavefront6targetE0EEEvSL_.has_dyn_sized_stack, 0
	.set _ZN7rocprim17ROCPRIM_400000_NS6detail17trampoline_kernelINS0_14default_configENS1_36segmented_radix_sort_config_selectorI6__halflEEZNS1_25segmented_radix_sort_implIS3_Lb0EPKS5_PS5_PKlPlN2at6native12_GLOBAL__N_18offset_tEEE10hipError_tPvRmT1_PNSt15iterator_traitsISL_E10value_typeET2_T3_PNSM_ISR_E10value_typeET4_jRbjT5_SX_jjP12ihipStream_tbEUlT_E2_NS1_11comp_targetILNS1_3genE2ELNS1_11target_archE906ELNS1_3gpuE6ELNS1_3repE0EEENS1_30default_config_static_selectorELNS0_4arch9wavefront6targetE0EEEvSL_.has_recursion, 0
	.set _ZN7rocprim17ROCPRIM_400000_NS6detail17trampoline_kernelINS0_14default_configENS1_36segmented_radix_sort_config_selectorI6__halflEEZNS1_25segmented_radix_sort_implIS3_Lb0EPKS5_PS5_PKlPlN2at6native12_GLOBAL__N_18offset_tEEE10hipError_tPvRmT1_PNSt15iterator_traitsISL_E10value_typeET2_T3_PNSM_ISR_E10value_typeET4_jRbjT5_SX_jjP12ihipStream_tbEUlT_E2_NS1_11comp_targetILNS1_3genE2ELNS1_11target_archE906ELNS1_3gpuE6ELNS1_3repE0EEENS1_30default_config_static_selectorELNS0_4arch9wavefront6targetE0EEEvSL_.has_indirect_call, 0
	.section	.AMDGPU.csdata,"",@progbits
; Kernel info:
; codeLenInByte = 0
; TotalNumSgprs: 0
; NumVgprs: 0
; ScratchSize: 0
; MemoryBound: 0
; FloatMode: 240
; IeeeMode: 1
; LDSByteSize: 0 bytes/workgroup (compile time only)
; SGPRBlocks: 0
; VGPRBlocks: 0
; NumSGPRsForWavesPerEU: 1
; NumVGPRsForWavesPerEU: 1
; Occupancy: 16
; WaveLimiterHint : 0
; COMPUTE_PGM_RSRC2:SCRATCH_EN: 0
; COMPUTE_PGM_RSRC2:USER_SGPR: 6
; COMPUTE_PGM_RSRC2:TRAP_HANDLER: 0
; COMPUTE_PGM_RSRC2:TGID_X_EN: 1
; COMPUTE_PGM_RSRC2:TGID_Y_EN: 0
; COMPUTE_PGM_RSRC2:TGID_Z_EN: 0
; COMPUTE_PGM_RSRC2:TIDIG_COMP_CNT: 0
	.section	.text._ZN7rocprim17ROCPRIM_400000_NS6detail17trampoline_kernelINS0_14default_configENS1_36segmented_radix_sort_config_selectorI6__halflEEZNS1_25segmented_radix_sort_implIS3_Lb0EPKS5_PS5_PKlPlN2at6native12_GLOBAL__N_18offset_tEEE10hipError_tPvRmT1_PNSt15iterator_traitsISL_E10value_typeET2_T3_PNSM_ISR_E10value_typeET4_jRbjT5_SX_jjP12ihipStream_tbEUlT_E2_NS1_11comp_targetILNS1_3genE10ELNS1_11target_archE1201ELNS1_3gpuE5ELNS1_3repE0EEENS1_30default_config_static_selectorELNS0_4arch9wavefront6targetE0EEEvSL_,"axG",@progbits,_ZN7rocprim17ROCPRIM_400000_NS6detail17trampoline_kernelINS0_14default_configENS1_36segmented_radix_sort_config_selectorI6__halflEEZNS1_25segmented_radix_sort_implIS3_Lb0EPKS5_PS5_PKlPlN2at6native12_GLOBAL__N_18offset_tEEE10hipError_tPvRmT1_PNSt15iterator_traitsISL_E10value_typeET2_T3_PNSM_ISR_E10value_typeET4_jRbjT5_SX_jjP12ihipStream_tbEUlT_E2_NS1_11comp_targetILNS1_3genE10ELNS1_11target_archE1201ELNS1_3gpuE5ELNS1_3repE0EEENS1_30default_config_static_selectorELNS0_4arch9wavefront6targetE0EEEvSL_,comdat
	.globl	_ZN7rocprim17ROCPRIM_400000_NS6detail17trampoline_kernelINS0_14default_configENS1_36segmented_radix_sort_config_selectorI6__halflEEZNS1_25segmented_radix_sort_implIS3_Lb0EPKS5_PS5_PKlPlN2at6native12_GLOBAL__N_18offset_tEEE10hipError_tPvRmT1_PNSt15iterator_traitsISL_E10value_typeET2_T3_PNSM_ISR_E10value_typeET4_jRbjT5_SX_jjP12ihipStream_tbEUlT_E2_NS1_11comp_targetILNS1_3genE10ELNS1_11target_archE1201ELNS1_3gpuE5ELNS1_3repE0EEENS1_30default_config_static_selectorELNS0_4arch9wavefront6targetE0EEEvSL_ ; -- Begin function _ZN7rocprim17ROCPRIM_400000_NS6detail17trampoline_kernelINS0_14default_configENS1_36segmented_radix_sort_config_selectorI6__halflEEZNS1_25segmented_radix_sort_implIS3_Lb0EPKS5_PS5_PKlPlN2at6native12_GLOBAL__N_18offset_tEEE10hipError_tPvRmT1_PNSt15iterator_traitsISL_E10value_typeET2_T3_PNSM_ISR_E10value_typeET4_jRbjT5_SX_jjP12ihipStream_tbEUlT_E2_NS1_11comp_targetILNS1_3genE10ELNS1_11target_archE1201ELNS1_3gpuE5ELNS1_3repE0EEENS1_30default_config_static_selectorELNS0_4arch9wavefront6targetE0EEEvSL_
	.p2align	8
	.type	_ZN7rocprim17ROCPRIM_400000_NS6detail17trampoline_kernelINS0_14default_configENS1_36segmented_radix_sort_config_selectorI6__halflEEZNS1_25segmented_radix_sort_implIS3_Lb0EPKS5_PS5_PKlPlN2at6native12_GLOBAL__N_18offset_tEEE10hipError_tPvRmT1_PNSt15iterator_traitsISL_E10value_typeET2_T3_PNSM_ISR_E10value_typeET4_jRbjT5_SX_jjP12ihipStream_tbEUlT_E2_NS1_11comp_targetILNS1_3genE10ELNS1_11target_archE1201ELNS1_3gpuE5ELNS1_3repE0EEENS1_30default_config_static_selectorELNS0_4arch9wavefront6targetE0EEEvSL_,@function
_ZN7rocprim17ROCPRIM_400000_NS6detail17trampoline_kernelINS0_14default_configENS1_36segmented_radix_sort_config_selectorI6__halflEEZNS1_25segmented_radix_sort_implIS3_Lb0EPKS5_PS5_PKlPlN2at6native12_GLOBAL__N_18offset_tEEE10hipError_tPvRmT1_PNSt15iterator_traitsISL_E10value_typeET2_T3_PNSM_ISR_E10value_typeET4_jRbjT5_SX_jjP12ihipStream_tbEUlT_E2_NS1_11comp_targetILNS1_3genE10ELNS1_11target_archE1201ELNS1_3gpuE5ELNS1_3repE0EEENS1_30default_config_static_selectorELNS0_4arch9wavefront6targetE0EEEvSL_: ; @_ZN7rocprim17ROCPRIM_400000_NS6detail17trampoline_kernelINS0_14default_configENS1_36segmented_radix_sort_config_selectorI6__halflEEZNS1_25segmented_radix_sort_implIS3_Lb0EPKS5_PS5_PKlPlN2at6native12_GLOBAL__N_18offset_tEEE10hipError_tPvRmT1_PNSt15iterator_traitsISL_E10value_typeET2_T3_PNSM_ISR_E10value_typeET4_jRbjT5_SX_jjP12ihipStream_tbEUlT_E2_NS1_11comp_targetILNS1_3genE10ELNS1_11target_archE1201ELNS1_3gpuE5ELNS1_3repE0EEENS1_30default_config_static_selectorELNS0_4arch9wavefront6targetE0EEEvSL_
; %bb.0:
	.section	.rodata,"a",@progbits
	.p2align	6, 0x0
	.amdhsa_kernel _ZN7rocprim17ROCPRIM_400000_NS6detail17trampoline_kernelINS0_14default_configENS1_36segmented_radix_sort_config_selectorI6__halflEEZNS1_25segmented_radix_sort_implIS3_Lb0EPKS5_PS5_PKlPlN2at6native12_GLOBAL__N_18offset_tEEE10hipError_tPvRmT1_PNSt15iterator_traitsISL_E10value_typeET2_T3_PNSM_ISR_E10value_typeET4_jRbjT5_SX_jjP12ihipStream_tbEUlT_E2_NS1_11comp_targetILNS1_3genE10ELNS1_11target_archE1201ELNS1_3gpuE5ELNS1_3repE0EEENS1_30default_config_static_selectorELNS0_4arch9wavefront6targetE0EEEvSL_
		.amdhsa_group_segment_fixed_size 0
		.amdhsa_private_segment_fixed_size 0
		.amdhsa_kernarg_size 80
		.amdhsa_user_sgpr_count 6
		.amdhsa_user_sgpr_private_segment_buffer 1
		.amdhsa_user_sgpr_dispatch_ptr 0
		.amdhsa_user_sgpr_queue_ptr 0
		.amdhsa_user_sgpr_kernarg_segment_ptr 1
		.amdhsa_user_sgpr_dispatch_id 0
		.amdhsa_user_sgpr_flat_scratch_init 0
		.amdhsa_user_sgpr_private_segment_size 0
		.amdhsa_wavefront_size32 1
		.amdhsa_uses_dynamic_stack 0
		.amdhsa_system_sgpr_private_segment_wavefront_offset 0
		.amdhsa_system_sgpr_workgroup_id_x 1
		.amdhsa_system_sgpr_workgroup_id_y 0
		.amdhsa_system_sgpr_workgroup_id_z 0
		.amdhsa_system_sgpr_workgroup_info 0
		.amdhsa_system_vgpr_workitem_id 0
		.amdhsa_next_free_vgpr 1
		.amdhsa_next_free_sgpr 1
		.amdhsa_reserve_vcc 0
		.amdhsa_reserve_flat_scratch 0
		.amdhsa_float_round_mode_32 0
		.amdhsa_float_round_mode_16_64 0
		.amdhsa_float_denorm_mode_32 3
		.amdhsa_float_denorm_mode_16_64 3
		.amdhsa_dx10_clamp 1
		.amdhsa_ieee_mode 1
		.amdhsa_fp16_overflow 0
		.amdhsa_workgroup_processor_mode 1
		.amdhsa_memory_ordered 1
		.amdhsa_forward_progress 1
		.amdhsa_shared_vgpr_count 0
		.amdhsa_exception_fp_ieee_invalid_op 0
		.amdhsa_exception_fp_denorm_src 0
		.amdhsa_exception_fp_ieee_div_zero 0
		.amdhsa_exception_fp_ieee_overflow 0
		.amdhsa_exception_fp_ieee_underflow 0
		.amdhsa_exception_fp_ieee_inexact 0
		.amdhsa_exception_int_div_zero 0
	.end_amdhsa_kernel
	.section	.text._ZN7rocprim17ROCPRIM_400000_NS6detail17trampoline_kernelINS0_14default_configENS1_36segmented_radix_sort_config_selectorI6__halflEEZNS1_25segmented_radix_sort_implIS3_Lb0EPKS5_PS5_PKlPlN2at6native12_GLOBAL__N_18offset_tEEE10hipError_tPvRmT1_PNSt15iterator_traitsISL_E10value_typeET2_T3_PNSM_ISR_E10value_typeET4_jRbjT5_SX_jjP12ihipStream_tbEUlT_E2_NS1_11comp_targetILNS1_3genE10ELNS1_11target_archE1201ELNS1_3gpuE5ELNS1_3repE0EEENS1_30default_config_static_selectorELNS0_4arch9wavefront6targetE0EEEvSL_,"axG",@progbits,_ZN7rocprim17ROCPRIM_400000_NS6detail17trampoline_kernelINS0_14default_configENS1_36segmented_radix_sort_config_selectorI6__halflEEZNS1_25segmented_radix_sort_implIS3_Lb0EPKS5_PS5_PKlPlN2at6native12_GLOBAL__N_18offset_tEEE10hipError_tPvRmT1_PNSt15iterator_traitsISL_E10value_typeET2_T3_PNSM_ISR_E10value_typeET4_jRbjT5_SX_jjP12ihipStream_tbEUlT_E2_NS1_11comp_targetILNS1_3genE10ELNS1_11target_archE1201ELNS1_3gpuE5ELNS1_3repE0EEENS1_30default_config_static_selectorELNS0_4arch9wavefront6targetE0EEEvSL_,comdat
.Lfunc_end1867:
	.size	_ZN7rocprim17ROCPRIM_400000_NS6detail17trampoline_kernelINS0_14default_configENS1_36segmented_radix_sort_config_selectorI6__halflEEZNS1_25segmented_radix_sort_implIS3_Lb0EPKS5_PS5_PKlPlN2at6native12_GLOBAL__N_18offset_tEEE10hipError_tPvRmT1_PNSt15iterator_traitsISL_E10value_typeET2_T3_PNSM_ISR_E10value_typeET4_jRbjT5_SX_jjP12ihipStream_tbEUlT_E2_NS1_11comp_targetILNS1_3genE10ELNS1_11target_archE1201ELNS1_3gpuE5ELNS1_3repE0EEENS1_30default_config_static_selectorELNS0_4arch9wavefront6targetE0EEEvSL_, .Lfunc_end1867-_ZN7rocprim17ROCPRIM_400000_NS6detail17trampoline_kernelINS0_14default_configENS1_36segmented_radix_sort_config_selectorI6__halflEEZNS1_25segmented_radix_sort_implIS3_Lb0EPKS5_PS5_PKlPlN2at6native12_GLOBAL__N_18offset_tEEE10hipError_tPvRmT1_PNSt15iterator_traitsISL_E10value_typeET2_T3_PNSM_ISR_E10value_typeET4_jRbjT5_SX_jjP12ihipStream_tbEUlT_E2_NS1_11comp_targetILNS1_3genE10ELNS1_11target_archE1201ELNS1_3gpuE5ELNS1_3repE0EEENS1_30default_config_static_selectorELNS0_4arch9wavefront6targetE0EEEvSL_
                                        ; -- End function
	.set _ZN7rocprim17ROCPRIM_400000_NS6detail17trampoline_kernelINS0_14default_configENS1_36segmented_radix_sort_config_selectorI6__halflEEZNS1_25segmented_radix_sort_implIS3_Lb0EPKS5_PS5_PKlPlN2at6native12_GLOBAL__N_18offset_tEEE10hipError_tPvRmT1_PNSt15iterator_traitsISL_E10value_typeET2_T3_PNSM_ISR_E10value_typeET4_jRbjT5_SX_jjP12ihipStream_tbEUlT_E2_NS1_11comp_targetILNS1_3genE10ELNS1_11target_archE1201ELNS1_3gpuE5ELNS1_3repE0EEENS1_30default_config_static_selectorELNS0_4arch9wavefront6targetE0EEEvSL_.num_vgpr, 0
	.set _ZN7rocprim17ROCPRIM_400000_NS6detail17trampoline_kernelINS0_14default_configENS1_36segmented_radix_sort_config_selectorI6__halflEEZNS1_25segmented_radix_sort_implIS3_Lb0EPKS5_PS5_PKlPlN2at6native12_GLOBAL__N_18offset_tEEE10hipError_tPvRmT1_PNSt15iterator_traitsISL_E10value_typeET2_T3_PNSM_ISR_E10value_typeET4_jRbjT5_SX_jjP12ihipStream_tbEUlT_E2_NS1_11comp_targetILNS1_3genE10ELNS1_11target_archE1201ELNS1_3gpuE5ELNS1_3repE0EEENS1_30default_config_static_selectorELNS0_4arch9wavefront6targetE0EEEvSL_.num_agpr, 0
	.set _ZN7rocprim17ROCPRIM_400000_NS6detail17trampoline_kernelINS0_14default_configENS1_36segmented_radix_sort_config_selectorI6__halflEEZNS1_25segmented_radix_sort_implIS3_Lb0EPKS5_PS5_PKlPlN2at6native12_GLOBAL__N_18offset_tEEE10hipError_tPvRmT1_PNSt15iterator_traitsISL_E10value_typeET2_T3_PNSM_ISR_E10value_typeET4_jRbjT5_SX_jjP12ihipStream_tbEUlT_E2_NS1_11comp_targetILNS1_3genE10ELNS1_11target_archE1201ELNS1_3gpuE5ELNS1_3repE0EEENS1_30default_config_static_selectorELNS0_4arch9wavefront6targetE0EEEvSL_.numbered_sgpr, 0
	.set _ZN7rocprim17ROCPRIM_400000_NS6detail17trampoline_kernelINS0_14default_configENS1_36segmented_radix_sort_config_selectorI6__halflEEZNS1_25segmented_radix_sort_implIS3_Lb0EPKS5_PS5_PKlPlN2at6native12_GLOBAL__N_18offset_tEEE10hipError_tPvRmT1_PNSt15iterator_traitsISL_E10value_typeET2_T3_PNSM_ISR_E10value_typeET4_jRbjT5_SX_jjP12ihipStream_tbEUlT_E2_NS1_11comp_targetILNS1_3genE10ELNS1_11target_archE1201ELNS1_3gpuE5ELNS1_3repE0EEENS1_30default_config_static_selectorELNS0_4arch9wavefront6targetE0EEEvSL_.num_named_barrier, 0
	.set _ZN7rocprim17ROCPRIM_400000_NS6detail17trampoline_kernelINS0_14default_configENS1_36segmented_radix_sort_config_selectorI6__halflEEZNS1_25segmented_radix_sort_implIS3_Lb0EPKS5_PS5_PKlPlN2at6native12_GLOBAL__N_18offset_tEEE10hipError_tPvRmT1_PNSt15iterator_traitsISL_E10value_typeET2_T3_PNSM_ISR_E10value_typeET4_jRbjT5_SX_jjP12ihipStream_tbEUlT_E2_NS1_11comp_targetILNS1_3genE10ELNS1_11target_archE1201ELNS1_3gpuE5ELNS1_3repE0EEENS1_30default_config_static_selectorELNS0_4arch9wavefront6targetE0EEEvSL_.private_seg_size, 0
	.set _ZN7rocprim17ROCPRIM_400000_NS6detail17trampoline_kernelINS0_14default_configENS1_36segmented_radix_sort_config_selectorI6__halflEEZNS1_25segmented_radix_sort_implIS3_Lb0EPKS5_PS5_PKlPlN2at6native12_GLOBAL__N_18offset_tEEE10hipError_tPvRmT1_PNSt15iterator_traitsISL_E10value_typeET2_T3_PNSM_ISR_E10value_typeET4_jRbjT5_SX_jjP12ihipStream_tbEUlT_E2_NS1_11comp_targetILNS1_3genE10ELNS1_11target_archE1201ELNS1_3gpuE5ELNS1_3repE0EEENS1_30default_config_static_selectorELNS0_4arch9wavefront6targetE0EEEvSL_.uses_vcc, 0
	.set _ZN7rocprim17ROCPRIM_400000_NS6detail17trampoline_kernelINS0_14default_configENS1_36segmented_radix_sort_config_selectorI6__halflEEZNS1_25segmented_radix_sort_implIS3_Lb0EPKS5_PS5_PKlPlN2at6native12_GLOBAL__N_18offset_tEEE10hipError_tPvRmT1_PNSt15iterator_traitsISL_E10value_typeET2_T3_PNSM_ISR_E10value_typeET4_jRbjT5_SX_jjP12ihipStream_tbEUlT_E2_NS1_11comp_targetILNS1_3genE10ELNS1_11target_archE1201ELNS1_3gpuE5ELNS1_3repE0EEENS1_30default_config_static_selectorELNS0_4arch9wavefront6targetE0EEEvSL_.uses_flat_scratch, 0
	.set _ZN7rocprim17ROCPRIM_400000_NS6detail17trampoline_kernelINS0_14default_configENS1_36segmented_radix_sort_config_selectorI6__halflEEZNS1_25segmented_radix_sort_implIS3_Lb0EPKS5_PS5_PKlPlN2at6native12_GLOBAL__N_18offset_tEEE10hipError_tPvRmT1_PNSt15iterator_traitsISL_E10value_typeET2_T3_PNSM_ISR_E10value_typeET4_jRbjT5_SX_jjP12ihipStream_tbEUlT_E2_NS1_11comp_targetILNS1_3genE10ELNS1_11target_archE1201ELNS1_3gpuE5ELNS1_3repE0EEENS1_30default_config_static_selectorELNS0_4arch9wavefront6targetE0EEEvSL_.has_dyn_sized_stack, 0
	.set _ZN7rocprim17ROCPRIM_400000_NS6detail17trampoline_kernelINS0_14default_configENS1_36segmented_radix_sort_config_selectorI6__halflEEZNS1_25segmented_radix_sort_implIS3_Lb0EPKS5_PS5_PKlPlN2at6native12_GLOBAL__N_18offset_tEEE10hipError_tPvRmT1_PNSt15iterator_traitsISL_E10value_typeET2_T3_PNSM_ISR_E10value_typeET4_jRbjT5_SX_jjP12ihipStream_tbEUlT_E2_NS1_11comp_targetILNS1_3genE10ELNS1_11target_archE1201ELNS1_3gpuE5ELNS1_3repE0EEENS1_30default_config_static_selectorELNS0_4arch9wavefront6targetE0EEEvSL_.has_recursion, 0
	.set _ZN7rocprim17ROCPRIM_400000_NS6detail17trampoline_kernelINS0_14default_configENS1_36segmented_radix_sort_config_selectorI6__halflEEZNS1_25segmented_radix_sort_implIS3_Lb0EPKS5_PS5_PKlPlN2at6native12_GLOBAL__N_18offset_tEEE10hipError_tPvRmT1_PNSt15iterator_traitsISL_E10value_typeET2_T3_PNSM_ISR_E10value_typeET4_jRbjT5_SX_jjP12ihipStream_tbEUlT_E2_NS1_11comp_targetILNS1_3genE10ELNS1_11target_archE1201ELNS1_3gpuE5ELNS1_3repE0EEENS1_30default_config_static_selectorELNS0_4arch9wavefront6targetE0EEEvSL_.has_indirect_call, 0
	.section	.AMDGPU.csdata,"",@progbits
; Kernel info:
; codeLenInByte = 0
; TotalNumSgprs: 0
; NumVgprs: 0
; ScratchSize: 0
; MemoryBound: 0
; FloatMode: 240
; IeeeMode: 1
; LDSByteSize: 0 bytes/workgroup (compile time only)
; SGPRBlocks: 0
; VGPRBlocks: 0
; NumSGPRsForWavesPerEU: 1
; NumVGPRsForWavesPerEU: 1
; Occupancy: 16
; WaveLimiterHint : 0
; COMPUTE_PGM_RSRC2:SCRATCH_EN: 0
; COMPUTE_PGM_RSRC2:USER_SGPR: 6
; COMPUTE_PGM_RSRC2:TRAP_HANDLER: 0
; COMPUTE_PGM_RSRC2:TGID_X_EN: 1
; COMPUTE_PGM_RSRC2:TGID_Y_EN: 0
; COMPUTE_PGM_RSRC2:TGID_Z_EN: 0
; COMPUTE_PGM_RSRC2:TIDIG_COMP_CNT: 0
	.section	.text._ZN7rocprim17ROCPRIM_400000_NS6detail17trampoline_kernelINS0_14default_configENS1_36segmented_radix_sort_config_selectorI6__halflEEZNS1_25segmented_radix_sort_implIS3_Lb0EPKS5_PS5_PKlPlN2at6native12_GLOBAL__N_18offset_tEEE10hipError_tPvRmT1_PNSt15iterator_traitsISL_E10value_typeET2_T3_PNSM_ISR_E10value_typeET4_jRbjT5_SX_jjP12ihipStream_tbEUlT_E2_NS1_11comp_targetILNS1_3genE10ELNS1_11target_archE1200ELNS1_3gpuE4ELNS1_3repE0EEENS1_30default_config_static_selectorELNS0_4arch9wavefront6targetE0EEEvSL_,"axG",@progbits,_ZN7rocprim17ROCPRIM_400000_NS6detail17trampoline_kernelINS0_14default_configENS1_36segmented_radix_sort_config_selectorI6__halflEEZNS1_25segmented_radix_sort_implIS3_Lb0EPKS5_PS5_PKlPlN2at6native12_GLOBAL__N_18offset_tEEE10hipError_tPvRmT1_PNSt15iterator_traitsISL_E10value_typeET2_T3_PNSM_ISR_E10value_typeET4_jRbjT5_SX_jjP12ihipStream_tbEUlT_E2_NS1_11comp_targetILNS1_3genE10ELNS1_11target_archE1200ELNS1_3gpuE4ELNS1_3repE0EEENS1_30default_config_static_selectorELNS0_4arch9wavefront6targetE0EEEvSL_,comdat
	.globl	_ZN7rocprim17ROCPRIM_400000_NS6detail17trampoline_kernelINS0_14default_configENS1_36segmented_radix_sort_config_selectorI6__halflEEZNS1_25segmented_radix_sort_implIS3_Lb0EPKS5_PS5_PKlPlN2at6native12_GLOBAL__N_18offset_tEEE10hipError_tPvRmT1_PNSt15iterator_traitsISL_E10value_typeET2_T3_PNSM_ISR_E10value_typeET4_jRbjT5_SX_jjP12ihipStream_tbEUlT_E2_NS1_11comp_targetILNS1_3genE10ELNS1_11target_archE1200ELNS1_3gpuE4ELNS1_3repE0EEENS1_30default_config_static_selectorELNS0_4arch9wavefront6targetE0EEEvSL_ ; -- Begin function _ZN7rocprim17ROCPRIM_400000_NS6detail17trampoline_kernelINS0_14default_configENS1_36segmented_radix_sort_config_selectorI6__halflEEZNS1_25segmented_radix_sort_implIS3_Lb0EPKS5_PS5_PKlPlN2at6native12_GLOBAL__N_18offset_tEEE10hipError_tPvRmT1_PNSt15iterator_traitsISL_E10value_typeET2_T3_PNSM_ISR_E10value_typeET4_jRbjT5_SX_jjP12ihipStream_tbEUlT_E2_NS1_11comp_targetILNS1_3genE10ELNS1_11target_archE1200ELNS1_3gpuE4ELNS1_3repE0EEENS1_30default_config_static_selectorELNS0_4arch9wavefront6targetE0EEEvSL_
	.p2align	8
	.type	_ZN7rocprim17ROCPRIM_400000_NS6detail17trampoline_kernelINS0_14default_configENS1_36segmented_radix_sort_config_selectorI6__halflEEZNS1_25segmented_radix_sort_implIS3_Lb0EPKS5_PS5_PKlPlN2at6native12_GLOBAL__N_18offset_tEEE10hipError_tPvRmT1_PNSt15iterator_traitsISL_E10value_typeET2_T3_PNSM_ISR_E10value_typeET4_jRbjT5_SX_jjP12ihipStream_tbEUlT_E2_NS1_11comp_targetILNS1_3genE10ELNS1_11target_archE1200ELNS1_3gpuE4ELNS1_3repE0EEENS1_30default_config_static_selectorELNS0_4arch9wavefront6targetE0EEEvSL_,@function
_ZN7rocprim17ROCPRIM_400000_NS6detail17trampoline_kernelINS0_14default_configENS1_36segmented_radix_sort_config_selectorI6__halflEEZNS1_25segmented_radix_sort_implIS3_Lb0EPKS5_PS5_PKlPlN2at6native12_GLOBAL__N_18offset_tEEE10hipError_tPvRmT1_PNSt15iterator_traitsISL_E10value_typeET2_T3_PNSM_ISR_E10value_typeET4_jRbjT5_SX_jjP12ihipStream_tbEUlT_E2_NS1_11comp_targetILNS1_3genE10ELNS1_11target_archE1200ELNS1_3gpuE4ELNS1_3repE0EEENS1_30default_config_static_selectorELNS0_4arch9wavefront6targetE0EEEvSL_: ; @_ZN7rocprim17ROCPRIM_400000_NS6detail17trampoline_kernelINS0_14default_configENS1_36segmented_radix_sort_config_selectorI6__halflEEZNS1_25segmented_radix_sort_implIS3_Lb0EPKS5_PS5_PKlPlN2at6native12_GLOBAL__N_18offset_tEEE10hipError_tPvRmT1_PNSt15iterator_traitsISL_E10value_typeET2_T3_PNSM_ISR_E10value_typeET4_jRbjT5_SX_jjP12ihipStream_tbEUlT_E2_NS1_11comp_targetILNS1_3genE10ELNS1_11target_archE1200ELNS1_3gpuE4ELNS1_3repE0EEENS1_30default_config_static_selectorELNS0_4arch9wavefront6targetE0EEEvSL_
; %bb.0:
	.section	.rodata,"a",@progbits
	.p2align	6, 0x0
	.amdhsa_kernel _ZN7rocprim17ROCPRIM_400000_NS6detail17trampoline_kernelINS0_14default_configENS1_36segmented_radix_sort_config_selectorI6__halflEEZNS1_25segmented_radix_sort_implIS3_Lb0EPKS5_PS5_PKlPlN2at6native12_GLOBAL__N_18offset_tEEE10hipError_tPvRmT1_PNSt15iterator_traitsISL_E10value_typeET2_T3_PNSM_ISR_E10value_typeET4_jRbjT5_SX_jjP12ihipStream_tbEUlT_E2_NS1_11comp_targetILNS1_3genE10ELNS1_11target_archE1200ELNS1_3gpuE4ELNS1_3repE0EEENS1_30default_config_static_selectorELNS0_4arch9wavefront6targetE0EEEvSL_
		.amdhsa_group_segment_fixed_size 0
		.amdhsa_private_segment_fixed_size 0
		.amdhsa_kernarg_size 80
		.amdhsa_user_sgpr_count 6
		.amdhsa_user_sgpr_private_segment_buffer 1
		.amdhsa_user_sgpr_dispatch_ptr 0
		.amdhsa_user_sgpr_queue_ptr 0
		.amdhsa_user_sgpr_kernarg_segment_ptr 1
		.amdhsa_user_sgpr_dispatch_id 0
		.amdhsa_user_sgpr_flat_scratch_init 0
		.amdhsa_user_sgpr_private_segment_size 0
		.amdhsa_wavefront_size32 1
		.amdhsa_uses_dynamic_stack 0
		.amdhsa_system_sgpr_private_segment_wavefront_offset 0
		.amdhsa_system_sgpr_workgroup_id_x 1
		.amdhsa_system_sgpr_workgroup_id_y 0
		.amdhsa_system_sgpr_workgroup_id_z 0
		.amdhsa_system_sgpr_workgroup_info 0
		.amdhsa_system_vgpr_workitem_id 0
		.amdhsa_next_free_vgpr 1
		.amdhsa_next_free_sgpr 1
		.amdhsa_reserve_vcc 0
		.amdhsa_reserve_flat_scratch 0
		.amdhsa_float_round_mode_32 0
		.amdhsa_float_round_mode_16_64 0
		.amdhsa_float_denorm_mode_32 3
		.amdhsa_float_denorm_mode_16_64 3
		.amdhsa_dx10_clamp 1
		.amdhsa_ieee_mode 1
		.amdhsa_fp16_overflow 0
		.amdhsa_workgroup_processor_mode 1
		.amdhsa_memory_ordered 1
		.amdhsa_forward_progress 1
		.amdhsa_shared_vgpr_count 0
		.amdhsa_exception_fp_ieee_invalid_op 0
		.amdhsa_exception_fp_denorm_src 0
		.amdhsa_exception_fp_ieee_div_zero 0
		.amdhsa_exception_fp_ieee_overflow 0
		.amdhsa_exception_fp_ieee_underflow 0
		.amdhsa_exception_fp_ieee_inexact 0
		.amdhsa_exception_int_div_zero 0
	.end_amdhsa_kernel
	.section	.text._ZN7rocprim17ROCPRIM_400000_NS6detail17trampoline_kernelINS0_14default_configENS1_36segmented_radix_sort_config_selectorI6__halflEEZNS1_25segmented_radix_sort_implIS3_Lb0EPKS5_PS5_PKlPlN2at6native12_GLOBAL__N_18offset_tEEE10hipError_tPvRmT1_PNSt15iterator_traitsISL_E10value_typeET2_T3_PNSM_ISR_E10value_typeET4_jRbjT5_SX_jjP12ihipStream_tbEUlT_E2_NS1_11comp_targetILNS1_3genE10ELNS1_11target_archE1200ELNS1_3gpuE4ELNS1_3repE0EEENS1_30default_config_static_selectorELNS0_4arch9wavefront6targetE0EEEvSL_,"axG",@progbits,_ZN7rocprim17ROCPRIM_400000_NS6detail17trampoline_kernelINS0_14default_configENS1_36segmented_radix_sort_config_selectorI6__halflEEZNS1_25segmented_radix_sort_implIS3_Lb0EPKS5_PS5_PKlPlN2at6native12_GLOBAL__N_18offset_tEEE10hipError_tPvRmT1_PNSt15iterator_traitsISL_E10value_typeET2_T3_PNSM_ISR_E10value_typeET4_jRbjT5_SX_jjP12ihipStream_tbEUlT_E2_NS1_11comp_targetILNS1_3genE10ELNS1_11target_archE1200ELNS1_3gpuE4ELNS1_3repE0EEENS1_30default_config_static_selectorELNS0_4arch9wavefront6targetE0EEEvSL_,comdat
.Lfunc_end1868:
	.size	_ZN7rocprim17ROCPRIM_400000_NS6detail17trampoline_kernelINS0_14default_configENS1_36segmented_radix_sort_config_selectorI6__halflEEZNS1_25segmented_radix_sort_implIS3_Lb0EPKS5_PS5_PKlPlN2at6native12_GLOBAL__N_18offset_tEEE10hipError_tPvRmT1_PNSt15iterator_traitsISL_E10value_typeET2_T3_PNSM_ISR_E10value_typeET4_jRbjT5_SX_jjP12ihipStream_tbEUlT_E2_NS1_11comp_targetILNS1_3genE10ELNS1_11target_archE1200ELNS1_3gpuE4ELNS1_3repE0EEENS1_30default_config_static_selectorELNS0_4arch9wavefront6targetE0EEEvSL_, .Lfunc_end1868-_ZN7rocprim17ROCPRIM_400000_NS6detail17trampoline_kernelINS0_14default_configENS1_36segmented_radix_sort_config_selectorI6__halflEEZNS1_25segmented_radix_sort_implIS3_Lb0EPKS5_PS5_PKlPlN2at6native12_GLOBAL__N_18offset_tEEE10hipError_tPvRmT1_PNSt15iterator_traitsISL_E10value_typeET2_T3_PNSM_ISR_E10value_typeET4_jRbjT5_SX_jjP12ihipStream_tbEUlT_E2_NS1_11comp_targetILNS1_3genE10ELNS1_11target_archE1200ELNS1_3gpuE4ELNS1_3repE0EEENS1_30default_config_static_selectorELNS0_4arch9wavefront6targetE0EEEvSL_
                                        ; -- End function
	.set _ZN7rocprim17ROCPRIM_400000_NS6detail17trampoline_kernelINS0_14default_configENS1_36segmented_radix_sort_config_selectorI6__halflEEZNS1_25segmented_radix_sort_implIS3_Lb0EPKS5_PS5_PKlPlN2at6native12_GLOBAL__N_18offset_tEEE10hipError_tPvRmT1_PNSt15iterator_traitsISL_E10value_typeET2_T3_PNSM_ISR_E10value_typeET4_jRbjT5_SX_jjP12ihipStream_tbEUlT_E2_NS1_11comp_targetILNS1_3genE10ELNS1_11target_archE1200ELNS1_3gpuE4ELNS1_3repE0EEENS1_30default_config_static_selectorELNS0_4arch9wavefront6targetE0EEEvSL_.num_vgpr, 0
	.set _ZN7rocprim17ROCPRIM_400000_NS6detail17trampoline_kernelINS0_14default_configENS1_36segmented_radix_sort_config_selectorI6__halflEEZNS1_25segmented_radix_sort_implIS3_Lb0EPKS5_PS5_PKlPlN2at6native12_GLOBAL__N_18offset_tEEE10hipError_tPvRmT1_PNSt15iterator_traitsISL_E10value_typeET2_T3_PNSM_ISR_E10value_typeET4_jRbjT5_SX_jjP12ihipStream_tbEUlT_E2_NS1_11comp_targetILNS1_3genE10ELNS1_11target_archE1200ELNS1_3gpuE4ELNS1_3repE0EEENS1_30default_config_static_selectorELNS0_4arch9wavefront6targetE0EEEvSL_.num_agpr, 0
	.set _ZN7rocprim17ROCPRIM_400000_NS6detail17trampoline_kernelINS0_14default_configENS1_36segmented_radix_sort_config_selectorI6__halflEEZNS1_25segmented_radix_sort_implIS3_Lb0EPKS5_PS5_PKlPlN2at6native12_GLOBAL__N_18offset_tEEE10hipError_tPvRmT1_PNSt15iterator_traitsISL_E10value_typeET2_T3_PNSM_ISR_E10value_typeET4_jRbjT5_SX_jjP12ihipStream_tbEUlT_E2_NS1_11comp_targetILNS1_3genE10ELNS1_11target_archE1200ELNS1_3gpuE4ELNS1_3repE0EEENS1_30default_config_static_selectorELNS0_4arch9wavefront6targetE0EEEvSL_.numbered_sgpr, 0
	.set _ZN7rocprim17ROCPRIM_400000_NS6detail17trampoline_kernelINS0_14default_configENS1_36segmented_radix_sort_config_selectorI6__halflEEZNS1_25segmented_radix_sort_implIS3_Lb0EPKS5_PS5_PKlPlN2at6native12_GLOBAL__N_18offset_tEEE10hipError_tPvRmT1_PNSt15iterator_traitsISL_E10value_typeET2_T3_PNSM_ISR_E10value_typeET4_jRbjT5_SX_jjP12ihipStream_tbEUlT_E2_NS1_11comp_targetILNS1_3genE10ELNS1_11target_archE1200ELNS1_3gpuE4ELNS1_3repE0EEENS1_30default_config_static_selectorELNS0_4arch9wavefront6targetE0EEEvSL_.num_named_barrier, 0
	.set _ZN7rocprim17ROCPRIM_400000_NS6detail17trampoline_kernelINS0_14default_configENS1_36segmented_radix_sort_config_selectorI6__halflEEZNS1_25segmented_radix_sort_implIS3_Lb0EPKS5_PS5_PKlPlN2at6native12_GLOBAL__N_18offset_tEEE10hipError_tPvRmT1_PNSt15iterator_traitsISL_E10value_typeET2_T3_PNSM_ISR_E10value_typeET4_jRbjT5_SX_jjP12ihipStream_tbEUlT_E2_NS1_11comp_targetILNS1_3genE10ELNS1_11target_archE1200ELNS1_3gpuE4ELNS1_3repE0EEENS1_30default_config_static_selectorELNS0_4arch9wavefront6targetE0EEEvSL_.private_seg_size, 0
	.set _ZN7rocprim17ROCPRIM_400000_NS6detail17trampoline_kernelINS0_14default_configENS1_36segmented_radix_sort_config_selectorI6__halflEEZNS1_25segmented_radix_sort_implIS3_Lb0EPKS5_PS5_PKlPlN2at6native12_GLOBAL__N_18offset_tEEE10hipError_tPvRmT1_PNSt15iterator_traitsISL_E10value_typeET2_T3_PNSM_ISR_E10value_typeET4_jRbjT5_SX_jjP12ihipStream_tbEUlT_E2_NS1_11comp_targetILNS1_3genE10ELNS1_11target_archE1200ELNS1_3gpuE4ELNS1_3repE0EEENS1_30default_config_static_selectorELNS0_4arch9wavefront6targetE0EEEvSL_.uses_vcc, 0
	.set _ZN7rocprim17ROCPRIM_400000_NS6detail17trampoline_kernelINS0_14default_configENS1_36segmented_radix_sort_config_selectorI6__halflEEZNS1_25segmented_radix_sort_implIS3_Lb0EPKS5_PS5_PKlPlN2at6native12_GLOBAL__N_18offset_tEEE10hipError_tPvRmT1_PNSt15iterator_traitsISL_E10value_typeET2_T3_PNSM_ISR_E10value_typeET4_jRbjT5_SX_jjP12ihipStream_tbEUlT_E2_NS1_11comp_targetILNS1_3genE10ELNS1_11target_archE1200ELNS1_3gpuE4ELNS1_3repE0EEENS1_30default_config_static_selectorELNS0_4arch9wavefront6targetE0EEEvSL_.uses_flat_scratch, 0
	.set _ZN7rocprim17ROCPRIM_400000_NS6detail17trampoline_kernelINS0_14default_configENS1_36segmented_radix_sort_config_selectorI6__halflEEZNS1_25segmented_radix_sort_implIS3_Lb0EPKS5_PS5_PKlPlN2at6native12_GLOBAL__N_18offset_tEEE10hipError_tPvRmT1_PNSt15iterator_traitsISL_E10value_typeET2_T3_PNSM_ISR_E10value_typeET4_jRbjT5_SX_jjP12ihipStream_tbEUlT_E2_NS1_11comp_targetILNS1_3genE10ELNS1_11target_archE1200ELNS1_3gpuE4ELNS1_3repE0EEENS1_30default_config_static_selectorELNS0_4arch9wavefront6targetE0EEEvSL_.has_dyn_sized_stack, 0
	.set _ZN7rocprim17ROCPRIM_400000_NS6detail17trampoline_kernelINS0_14default_configENS1_36segmented_radix_sort_config_selectorI6__halflEEZNS1_25segmented_radix_sort_implIS3_Lb0EPKS5_PS5_PKlPlN2at6native12_GLOBAL__N_18offset_tEEE10hipError_tPvRmT1_PNSt15iterator_traitsISL_E10value_typeET2_T3_PNSM_ISR_E10value_typeET4_jRbjT5_SX_jjP12ihipStream_tbEUlT_E2_NS1_11comp_targetILNS1_3genE10ELNS1_11target_archE1200ELNS1_3gpuE4ELNS1_3repE0EEENS1_30default_config_static_selectorELNS0_4arch9wavefront6targetE0EEEvSL_.has_recursion, 0
	.set _ZN7rocprim17ROCPRIM_400000_NS6detail17trampoline_kernelINS0_14default_configENS1_36segmented_radix_sort_config_selectorI6__halflEEZNS1_25segmented_radix_sort_implIS3_Lb0EPKS5_PS5_PKlPlN2at6native12_GLOBAL__N_18offset_tEEE10hipError_tPvRmT1_PNSt15iterator_traitsISL_E10value_typeET2_T3_PNSM_ISR_E10value_typeET4_jRbjT5_SX_jjP12ihipStream_tbEUlT_E2_NS1_11comp_targetILNS1_3genE10ELNS1_11target_archE1200ELNS1_3gpuE4ELNS1_3repE0EEENS1_30default_config_static_selectorELNS0_4arch9wavefront6targetE0EEEvSL_.has_indirect_call, 0
	.section	.AMDGPU.csdata,"",@progbits
; Kernel info:
; codeLenInByte = 0
; TotalNumSgprs: 0
; NumVgprs: 0
; ScratchSize: 0
; MemoryBound: 0
; FloatMode: 240
; IeeeMode: 1
; LDSByteSize: 0 bytes/workgroup (compile time only)
; SGPRBlocks: 0
; VGPRBlocks: 0
; NumSGPRsForWavesPerEU: 1
; NumVGPRsForWavesPerEU: 1
; Occupancy: 16
; WaveLimiterHint : 0
; COMPUTE_PGM_RSRC2:SCRATCH_EN: 0
; COMPUTE_PGM_RSRC2:USER_SGPR: 6
; COMPUTE_PGM_RSRC2:TRAP_HANDLER: 0
; COMPUTE_PGM_RSRC2:TGID_X_EN: 1
; COMPUTE_PGM_RSRC2:TGID_Y_EN: 0
; COMPUTE_PGM_RSRC2:TGID_Z_EN: 0
; COMPUTE_PGM_RSRC2:TIDIG_COMP_CNT: 0
	.section	.text._ZN7rocprim17ROCPRIM_400000_NS6detail17trampoline_kernelINS0_14default_configENS1_36segmented_radix_sort_config_selectorI6__halflEEZNS1_25segmented_radix_sort_implIS3_Lb0EPKS5_PS5_PKlPlN2at6native12_GLOBAL__N_18offset_tEEE10hipError_tPvRmT1_PNSt15iterator_traitsISL_E10value_typeET2_T3_PNSM_ISR_E10value_typeET4_jRbjT5_SX_jjP12ihipStream_tbEUlT_E2_NS1_11comp_targetILNS1_3genE9ELNS1_11target_archE1100ELNS1_3gpuE3ELNS1_3repE0EEENS1_30default_config_static_selectorELNS0_4arch9wavefront6targetE0EEEvSL_,"axG",@progbits,_ZN7rocprim17ROCPRIM_400000_NS6detail17trampoline_kernelINS0_14default_configENS1_36segmented_radix_sort_config_selectorI6__halflEEZNS1_25segmented_radix_sort_implIS3_Lb0EPKS5_PS5_PKlPlN2at6native12_GLOBAL__N_18offset_tEEE10hipError_tPvRmT1_PNSt15iterator_traitsISL_E10value_typeET2_T3_PNSM_ISR_E10value_typeET4_jRbjT5_SX_jjP12ihipStream_tbEUlT_E2_NS1_11comp_targetILNS1_3genE9ELNS1_11target_archE1100ELNS1_3gpuE3ELNS1_3repE0EEENS1_30default_config_static_selectorELNS0_4arch9wavefront6targetE0EEEvSL_,comdat
	.globl	_ZN7rocprim17ROCPRIM_400000_NS6detail17trampoline_kernelINS0_14default_configENS1_36segmented_radix_sort_config_selectorI6__halflEEZNS1_25segmented_radix_sort_implIS3_Lb0EPKS5_PS5_PKlPlN2at6native12_GLOBAL__N_18offset_tEEE10hipError_tPvRmT1_PNSt15iterator_traitsISL_E10value_typeET2_T3_PNSM_ISR_E10value_typeET4_jRbjT5_SX_jjP12ihipStream_tbEUlT_E2_NS1_11comp_targetILNS1_3genE9ELNS1_11target_archE1100ELNS1_3gpuE3ELNS1_3repE0EEENS1_30default_config_static_selectorELNS0_4arch9wavefront6targetE0EEEvSL_ ; -- Begin function _ZN7rocprim17ROCPRIM_400000_NS6detail17trampoline_kernelINS0_14default_configENS1_36segmented_radix_sort_config_selectorI6__halflEEZNS1_25segmented_radix_sort_implIS3_Lb0EPKS5_PS5_PKlPlN2at6native12_GLOBAL__N_18offset_tEEE10hipError_tPvRmT1_PNSt15iterator_traitsISL_E10value_typeET2_T3_PNSM_ISR_E10value_typeET4_jRbjT5_SX_jjP12ihipStream_tbEUlT_E2_NS1_11comp_targetILNS1_3genE9ELNS1_11target_archE1100ELNS1_3gpuE3ELNS1_3repE0EEENS1_30default_config_static_selectorELNS0_4arch9wavefront6targetE0EEEvSL_
	.p2align	8
	.type	_ZN7rocprim17ROCPRIM_400000_NS6detail17trampoline_kernelINS0_14default_configENS1_36segmented_radix_sort_config_selectorI6__halflEEZNS1_25segmented_radix_sort_implIS3_Lb0EPKS5_PS5_PKlPlN2at6native12_GLOBAL__N_18offset_tEEE10hipError_tPvRmT1_PNSt15iterator_traitsISL_E10value_typeET2_T3_PNSM_ISR_E10value_typeET4_jRbjT5_SX_jjP12ihipStream_tbEUlT_E2_NS1_11comp_targetILNS1_3genE9ELNS1_11target_archE1100ELNS1_3gpuE3ELNS1_3repE0EEENS1_30default_config_static_selectorELNS0_4arch9wavefront6targetE0EEEvSL_,@function
_ZN7rocprim17ROCPRIM_400000_NS6detail17trampoline_kernelINS0_14default_configENS1_36segmented_radix_sort_config_selectorI6__halflEEZNS1_25segmented_radix_sort_implIS3_Lb0EPKS5_PS5_PKlPlN2at6native12_GLOBAL__N_18offset_tEEE10hipError_tPvRmT1_PNSt15iterator_traitsISL_E10value_typeET2_T3_PNSM_ISR_E10value_typeET4_jRbjT5_SX_jjP12ihipStream_tbEUlT_E2_NS1_11comp_targetILNS1_3genE9ELNS1_11target_archE1100ELNS1_3gpuE3ELNS1_3repE0EEENS1_30default_config_static_selectorELNS0_4arch9wavefront6targetE0EEEvSL_: ; @_ZN7rocprim17ROCPRIM_400000_NS6detail17trampoline_kernelINS0_14default_configENS1_36segmented_radix_sort_config_selectorI6__halflEEZNS1_25segmented_radix_sort_implIS3_Lb0EPKS5_PS5_PKlPlN2at6native12_GLOBAL__N_18offset_tEEE10hipError_tPvRmT1_PNSt15iterator_traitsISL_E10value_typeET2_T3_PNSM_ISR_E10value_typeET4_jRbjT5_SX_jjP12ihipStream_tbEUlT_E2_NS1_11comp_targetILNS1_3genE9ELNS1_11target_archE1100ELNS1_3gpuE3ELNS1_3repE0EEENS1_30default_config_static_selectorELNS0_4arch9wavefront6targetE0EEEvSL_
; %bb.0:
	.section	.rodata,"a",@progbits
	.p2align	6, 0x0
	.amdhsa_kernel _ZN7rocprim17ROCPRIM_400000_NS6detail17trampoline_kernelINS0_14default_configENS1_36segmented_radix_sort_config_selectorI6__halflEEZNS1_25segmented_radix_sort_implIS3_Lb0EPKS5_PS5_PKlPlN2at6native12_GLOBAL__N_18offset_tEEE10hipError_tPvRmT1_PNSt15iterator_traitsISL_E10value_typeET2_T3_PNSM_ISR_E10value_typeET4_jRbjT5_SX_jjP12ihipStream_tbEUlT_E2_NS1_11comp_targetILNS1_3genE9ELNS1_11target_archE1100ELNS1_3gpuE3ELNS1_3repE0EEENS1_30default_config_static_selectorELNS0_4arch9wavefront6targetE0EEEvSL_
		.amdhsa_group_segment_fixed_size 0
		.amdhsa_private_segment_fixed_size 0
		.amdhsa_kernarg_size 80
		.amdhsa_user_sgpr_count 6
		.amdhsa_user_sgpr_private_segment_buffer 1
		.amdhsa_user_sgpr_dispatch_ptr 0
		.amdhsa_user_sgpr_queue_ptr 0
		.amdhsa_user_sgpr_kernarg_segment_ptr 1
		.amdhsa_user_sgpr_dispatch_id 0
		.amdhsa_user_sgpr_flat_scratch_init 0
		.amdhsa_user_sgpr_private_segment_size 0
		.amdhsa_wavefront_size32 1
		.amdhsa_uses_dynamic_stack 0
		.amdhsa_system_sgpr_private_segment_wavefront_offset 0
		.amdhsa_system_sgpr_workgroup_id_x 1
		.amdhsa_system_sgpr_workgroup_id_y 0
		.amdhsa_system_sgpr_workgroup_id_z 0
		.amdhsa_system_sgpr_workgroup_info 0
		.amdhsa_system_vgpr_workitem_id 0
		.amdhsa_next_free_vgpr 1
		.amdhsa_next_free_sgpr 1
		.amdhsa_reserve_vcc 0
		.amdhsa_reserve_flat_scratch 0
		.amdhsa_float_round_mode_32 0
		.amdhsa_float_round_mode_16_64 0
		.amdhsa_float_denorm_mode_32 3
		.amdhsa_float_denorm_mode_16_64 3
		.amdhsa_dx10_clamp 1
		.amdhsa_ieee_mode 1
		.amdhsa_fp16_overflow 0
		.amdhsa_workgroup_processor_mode 1
		.amdhsa_memory_ordered 1
		.amdhsa_forward_progress 1
		.amdhsa_shared_vgpr_count 0
		.amdhsa_exception_fp_ieee_invalid_op 0
		.amdhsa_exception_fp_denorm_src 0
		.amdhsa_exception_fp_ieee_div_zero 0
		.amdhsa_exception_fp_ieee_overflow 0
		.amdhsa_exception_fp_ieee_underflow 0
		.amdhsa_exception_fp_ieee_inexact 0
		.amdhsa_exception_int_div_zero 0
	.end_amdhsa_kernel
	.section	.text._ZN7rocprim17ROCPRIM_400000_NS6detail17trampoline_kernelINS0_14default_configENS1_36segmented_radix_sort_config_selectorI6__halflEEZNS1_25segmented_radix_sort_implIS3_Lb0EPKS5_PS5_PKlPlN2at6native12_GLOBAL__N_18offset_tEEE10hipError_tPvRmT1_PNSt15iterator_traitsISL_E10value_typeET2_T3_PNSM_ISR_E10value_typeET4_jRbjT5_SX_jjP12ihipStream_tbEUlT_E2_NS1_11comp_targetILNS1_3genE9ELNS1_11target_archE1100ELNS1_3gpuE3ELNS1_3repE0EEENS1_30default_config_static_selectorELNS0_4arch9wavefront6targetE0EEEvSL_,"axG",@progbits,_ZN7rocprim17ROCPRIM_400000_NS6detail17trampoline_kernelINS0_14default_configENS1_36segmented_radix_sort_config_selectorI6__halflEEZNS1_25segmented_radix_sort_implIS3_Lb0EPKS5_PS5_PKlPlN2at6native12_GLOBAL__N_18offset_tEEE10hipError_tPvRmT1_PNSt15iterator_traitsISL_E10value_typeET2_T3_PNSM_ISR_E10value_typeET4_jRbjT5_SX_jjP12ihipStream_tbEUlT_E2_NS1_11comp_targetILNS1_3genE9ELNS1_11target_archE1100ELNS1_3gpuE3ELNS1_3repE0EEENS1_30default_config_static_selectorELNS0_4arch9wavefront6targetE0EEEvSL_,comdat
.Lfunc_end1869:
	.size	_ZN7rocprim17ROCPRIM_400000_NS6detail17trampoline_kernelINS0_14default_configENS1_36segmented_radix_sort_config_selectorI6__halflEEZNS1_25segmented_radix_sort_implIS3_Lb0EPKS5_PS5_PKlPlN2at6native12_GLOBAL__N_18offset_tEEE10hipError_tPvRmT1_PNSt15iterator_traitsISL_E10value_typeET2_T3_PNSM_ISR_E10value_typeET4_jRbjT5_SX_jjP12ihipStream_tbEUlT_E2_NS1_11comp_targetILNS1_3genE9ELNS1_11target_archE1100ELNS1_3gpuE3ELNS1_3repE0EEENS1_30default_config_static_selectorELNS0_4arch9wavefront6targetE0EEEvSL_, .Lfunc_end1869-_ZN7rocprim17ROCPRIM_400000_NS6detail17trampoline_kernelINS0_14default_configENS1_36segmented_radix_sort_config_selectorI6__halflEEZNS1_25segmented_radix_sort_implIS3_Lb0EPKS5_PS5_PKlPlN2at6native12_GLOBAL__N_18offset_tEEE10hipError_tPvRmT1_PNSt15iterator_traitsISL_E10value_typeET2_T3_PNSM_ISR_E10value_typeET4_jRbjT5_SX_jjP12ihipStream_tbEUlT_E2_NS1_11comp_targetILNS1_3genE9ELNS1_11target_archE1100ELNS1_3gpuE3ELNS1_3repE0EEENS1_30default_config_static_selectorELNS0_4arch9wavefront6targetE0EEEvSL_
                                        ; -- End function
	.set _ZN7rocprim17ROCPRIM_400000_NS6detail17trampoline_kernelINS0_14default_configENS1_36segmented_radix_sort_config_selectorI6__halflEEZNS1_25segmented_radix_sort_implIS3_Lb0EPKS5_PS5_PKlPlN2at6native12_GLOBAL__N_18offset_tEEE10hipError_tPvRmT1_PNSt15iterator_traitsISL_E10value_typeET2_T3_PNSM_ISR_E10value_typeET4_jRbjT5_SX_jjP12ihipStream_tbEUlT_E2_NS1_11comp_targetILNS1_3genE9ELNS1_11target_archE1100ELNS1_3gpuE3ELNS1_3repE0EEENS1_30default_config_static_selectorELNS0_4arch9wavefront6targetE0EEEvSL_.num_vgpr, 0
	.set _ZN7rocprim17ROCPRIM_400000_NS6detail17trampoline_kernelINS0_14default_configENS1_36segmented_radix_sort_config_selectorI6__halflEEZNS1_25segmented_radix_sort_implIS3_Lb0EPKS5_PS5_PKlPlN2at6native12_GLOBAL__N_18offset_tEEE10hipError_tPvRmT1_PNSt15iterator_traitsISL_E10value_typeET2_T3_PNSM_ISR_E10value_typeET4_jRbjT5_SX_jjP12ihipStream_tbEUlT_E2_NS1_11comp_targetILNS1_3genE9ELNS1_11target_archE1100ELNS1_3gpuE3ELNS1_3repE0EEENS1_30default_config_static_selectorELNS0_4arch9wavefront6targetE0EEEvSL_.num_agpr, 0
	.set _ZN7rocprim17ROCPRIM_400000_NS6detail17trampoline_kernelINS0_14default_configENS1_36segmented_radix_sort_config_selectorI6__halflEEZNS1_25segmented_radix_sort_implIS3_Lb0EPKS5_PS5_PKlPlN2at6native12_GLOBAL__N_18offset_tEEE10hipError_tPvRmT1_PNSt15iterator_traitsISL_E10value_typeET2_T3_PNSM_ISR_E10value_typeET4_jRbjT5_SX_jjP12ihipStream_tbEUlT_E2_NS1_11comp_targetILNS1_3genE9ELNS1_11target_archE1100ELNS1_3gpuE3ELNS1_3repE0EEENS1_30default_config_static_selectorELNS0_4arch9wavefront6targetE0EEEvSL_.numbered_sgpr, 0
	.set _ZN7rocprim17ROCPRIM_400000_NS6detail17trampoline_kernelINS0_14default_configENS1_36segmented_radix_sort_config_selectorI6__halflEEZNS1_25segmented_radix_sort_implIS3_Lb0EPKS5_PS5_PKlPlN2at6native12_GLOBAL__N_18offset_tEEE10hipError_tPvRmT1_PNSt15iterator_traitsISL_E10value_typeET2_T3_PNSM_ISR_E10value_typeET4_jRbjT5_SX_jjP12ihipStream_tbEUlT_E2_NS1_11comp_targetILNS1_3genE9ELNS1_11target_archE1100ELNS1_3gpuE3ELNS1_3repE0EEENS1_30default_config_static_selectorELNS0_4arch9wavefront6targetE0EEEvSL_.num_named_barrier, 0
	.set _ZN7rocprim17ROCPRIM_400000_NS6detail17trampoline_kernelINS0_14default_configENS1_36segmented_radix_sort_config_selectorI6__halflEEZNS1_25segmented_radix_sort_implIS3_Lb0EPKS5_PS5_PKlPlN2at6native12_GLOBAL__N_18offset_tEEE10hipError_tPvRmT1_PNSt15iterator_traitsISL_E10value_typeET2_T3_PNSM_ISR_E10value_typeET4_jRbjT5_SX_jjP12ihipStream_tbEUlT_E2_NS1_11comp_targetILNS1_3genE9ELNS1_11target_archE1100ELNS1_3gpuE3ELNS1_3repE0EEENS1_30default_config_static_selectorELNS0_4arch9wavefront6targetE0EEEvSL_.private_seg_size, 0
	.set _ZN7rocprim17ROCPRIM_400000_NS6detail17trampoline_kernelINS0_14default_configENS1_36segmented_radix_sort_config_selectorI6__halflEEZNS1_25segmented_radix_sort_implIS3_Lb0EPKS5_PS5_PKlPlN2at6native12_GLOBAL__N_18offset_tEEE10hipError_tPvRmT1_PNSt15iterator_traitsISL_E10value_typeET2_T3_PNSM_ISR_E10value_typeET4_jRbjT5_SX_jjP12ihipStream_tbEUlT_E2_NS1_11comp_targetILNS1_3genE9ELNS1_11target_archE1100ELNS1_3gpuE3ELNS1_3repE0EEENS1_30default_config_static_selectorELNS0_4arch9wavefront6targetE0EEEvSL_.uses_vcc, 0
	.set _ZN7rocprim17ROCPRIM_400000_NS6detail17trampoline_kernelINS0_14default_configENS1_36segmented_radix_sort_config_selectorI6__halflEEZNS1_25segmented_radix_sort_implIS3_Lb0EPKS5_PS5_PKlPlN2at6native12_GLOBAL__N_18offset_tEEE10hipError_tPvRmT1_PNSt15iterator_traitsISL_E10value_typeET2_T3_PNSM_ISR_E10value_typeET4_jRbjT5_SX_jjP12ihipStream_tbEUlT_E2_NS1_11comp_targetILNS1_3genE9ELNS1_11target_archE1100ELNS1_3gpuE3ELNS1_3repE0EEENS1_30default_config_static_selectorELNS0_4arch9wavefront6targetE0EEEvSL_.uses_flat_scratch, 0
	.set _ZN7rocprim17ROCPRIM_400000_NS6detail17trampoline_kernelINS0_14default_configENS1_36segmented_radix_sort_config_selectorI6__halflEEZNS1_25segmented_radix_sort_implIS3_Lb0EPKS5_PS5_PKlPlN2at6native12_GLOBAL__N_18offset_tEEE10hipError_tPvRmT1_PNSt15iterator_traitsISL_E10value_typeET2_T3_PNSM_ISR_E10value_typeET4_jRbjT5_SX_jjP12ihipStream_tbEUlT_E2_NS1_11comp_targetILNS1_3genE9ELNS1_11target_archE1100ELNS1_3gpuE3ELNS1_3repE0EEENS1_30default_config_static_selectorELNS0_4arch9wavefront6targetE0EEEvSL_.has_dyn_sized_stack, 0
	.set _ZN7rocprim17ROCPRIM_400000_NS6detail17trampoline_kernelINS0_14default_configENS1_36segmented_radix_sort_config_selectorI6__halflEEZNS1_25segmented_radix_sort_implIS3_Lb0EPKS5_PS5_PKlPlN2at6native12_GLOBAL__N_18offset_tEEE10hipError_tPvRmT1_PNSt15iterator_traitsISL_E10value_typeET2_T3_PNSM_ISR_E10value_typeET4_jRbjT5_SX_jjP12ihipStream_tbEUlT_E2_NS1_11comp_targetILNS1_3genE9ELNS1_11target_archE1100ELNS1_3gpuE3ELNS1_3repE0EEENS1_30default_config_static_selectorELNS0_4arch9wavefront6targetE0EEEvSL_.has_recursion, 0
	.set _ZN7rocprim17ROCPRIM_400000_NS6detail17trampoline_kernelINS0_14default_configENS1_36segmented_radix_sort_config_selectorI6__halflEEZNS1_25segmented_radix_sort_implIS3_Lb0EPKS5_PS5_PKlPlN2at6native12_GLOBAL__N_18offset_tEEE10hipError_tPvRmT1_PNSt15iterator_traitsISL_E10value_typeET2_T3_PNSM_ISR_E10value_typeET4_jRbjT5_SX_jjP12ihipStream_tbEUlT_E2_NS1_11comp_targetILNS1_3genE9ELNS1_11target_archE1100ELNS1_3gpuE3ELNS1_3repE0EEENS1_30default_config_static_selectorELNS0_4arch9wavefront6targetE0EEEvSL_.has_indirect_call, 0
	.section	.AMDGPU.csdata,"",@progbits
; Kernel info:
; codeLenInByte = 0
; TotalNumSgprs: 0
; NumVgprs: 0
; ScratchSize: 0
; MemoryBound: 0
; FloatMode: 240
; IeeeMode: 1
; LDSByteSize: 0 bytes/workgroup (compile time only)
; SGPRBlocks: 0
; VGPRBlocks: 0
; NumSGPRsForWavesPerEU: 1
; NumVGPRsForWavesPerEU: 1
; Occupancy: 16
; WaveLimiterHint : 0
; COMPUTE_PGM_RSRC2:SCRATCH_EN: 0
; COMPUTE_PGM_RSRC2:USER_SGPR: 6
; COMPUTE_PGM_RSRC2:TRAP_HANDLER: 0
; COMPUTE_PGM_RSRC2:TGID_X_EN: 1
; COMPUTE_PGM_RSRC2:TGID_Y_EN: 0
; COMPUTE_PGM_RSRC2:TGID_Z_EN: 0
; COMPUTE_PGM_RSRC2:TIDIG_COMP_CNT: 0
	.section	.text._ZN7rocprim17ROCPRIM_400000_NS6detail17trampoline_kernelINS0_14default_configENS1_36segmented_radix_sort_config_selectorI6__halflEEZNS1_25segmented_radix_sort_implIS3_Lb0EPKS5_PS5_PKlPlN2at6native12_GLOBAL__N_18offset_tEEE10hipError_tPvRmT1_PNSt15iterator_traitsISL_E10value_typeET2_T3_PNSM_ISR_E10value_typeET4_jRbjT5_SX_jjP12ihipStream_tbEUlT_E2_NS1_11comp_targetILNS1_3genE8ELNS1_11target_archE1030ELNS1_3gpuE2ELNS1_3repE0EEENS1_30default_config_static_selectorELNS0_4arch9wavefront6targetE0EEEvSL_,"axG",@progbits,_ZN7rocprim17ROCPRIM_400000_NS6detail17trampoline_kernelINS0_14default_configENS1_36segmented_radix_sort_config_selectorI6__halflEEZNS1_25segmented_radix_sort_implIS3_Lb0EPKS5_PS5_PKlPlN2at6native12_GLOBAL__N_18offset_tEEE10hipError_tPvRmT1_PNSt15iterator_traitsISL_E10value_typeET2_T3_PNSM_ISR_E10value_typeET4_jRbjT5_SX_jjP12ihipStream_tbEUlT_E2_NS1_11comp_targetILNS1_3genE8ELNS1_11target_archE1030ELNS1_3gpuE2ELNS1_3repE0EEENS1_30default_config_static_selectorELNS0_4arch9wavefront6targetE0EEEvSL_,comdat
	.globl	_ZN7rocprim17ROCPRIM_400000_NS6detail17trampoline_kernelINS0_14default_configENS1_36segmented_radix_sort_config_selectorI6__halflEEZNS1_25segmented_radix_sort_implIS3_Lb0EPKS5_PS5_PKlPlN2at6native12_GLOBAL__N_18offset_tEEE10hipError_tPvRmT1_PNSt15iterator_traitsISL_E10value_typeET2_T3_PNSM_ISR_E10value_typeET4_jRbjT5_SX_jjP12ihipStream_tbEUlT_E2_NS1_11comp_targetILNS1_3genE8ELNS1_11target_archE1030ELNS1_3gpuE2ELNS1_3repE0EEENS1_30default_config_static_selectorELNS0_4arch9wavefront6targetE0EEEvSL_ ; -- Begin function _ZN7rocprim17ROCPRIM_400000_NS6detail17trampoline_kernelINS0_14default_configENS1_36segmented_radix_sort_config_selectorI6__halflEEZNS1_25segmented_radix_sort_implIS3_Lb0EPKS5_PS5_PKlPlN2at6native12_GLOBAL__N_18offset_tEEE10hipError_tPvRmT1_PNSt15iterator_traitsISL_E10value_typeET2_T3_PNSM_ISR_E10value_typeET4_jRbjT5_SX_jjP12ihipStream_tbEUlT_E2_NS1_11comp_targetILNS1_3genE8ELNS1_11target_archE1030ELNS1_3gpuE2ELNS1_3repE0EEENS1_30default_config_static_selectorELNS0_4arch9wavefront6targetE0EEEvSL_
	.p2align	8
	.type	_ZN7rocprim17ROCPRIM_400000_NS6detail17trampoline_kernelINS0_14default_configENS1_36segmented_radix_sort_config_selectorI6__halflEEZNS1_25segmented_radix_sort_implIS3_Lb0EPKS5_PS5_PKlPlN2at6native12_GLOBAL__N_18offset_tEEE10hipError_tPvRmT1_PNSt15iterator_traitsISL_E10value_typeET2_T3_PNSM_ISR_E10value_typeET4_jRbjT5_SX_jjP12ihipStream_tbEUlT_E2_NS1_11comp_targetILNS1_3genE8ELNS1_11target_archE1030ELNS1_3gpuE2ELNS1_3repE0EEENS1_30default_config_static_selectorELNS0_4arch9wavefront6targetE0EEEvSL_,@function
_ZN7rocprim17ROCPRIM_400000_NS6detail17trampoline_kernelINS0_14default_configENS1_36segmented_radix_sort_config_selectorI6__halflEEZNS1_25segmented_radix_sort_implIS3_Lb0EPKS5_PS5_PKlPlN2at6native12_GLOBAL__N_18offset_tEEE10hipError_tPvRmT1_PNSt15iterator_traitsISL_E10value_typeET2_T3_PNSM_ISR_E10value_typeET4_jRbjT5_SX_jjP12ihipStream_tbEUlT_E2_NS1_11comp_targetILNS1_3genE8ELNS1_11target_archE1030ELNS1_3gpuE2ELNS1_3repE0EEENS1_30default_config_static_selectorELNS0_4arch9wavefront6targetE0EEEvSL_: ; @_ZN7rocprim17ROCPRIM_400000_NS6detail17trampoline_kernelINS0_14default_configENS1_36segmented_radix_sort_config_selectorI6__halflEEZNS1_25segmented_radix_sort_implIS3_Lb0EPKS5_PS5_PKlPlN2at6native12_GLOBAL__N_18offset_tEEE10hipError_tPvRmT1_PNSt15iterator_traitsISL_E10value_typeET2_T3_PNSM_ISR_E10value_typeET4_jRbjT5_SX_jjP12ihipStream_tbEUlT_E2_NS1_11comp_targetILNS1_3genE8ELNS1_11target_archE1030ELNS1_3gpuE2ELNS1_3repE0EEENS1_30default_config_static_selectorELNS0_4arch9wavefront6targetE0EEEvSL_
; %bb.0:
	s_add_u32 s0, s0, s8
	s_load_dwordx4 s[8:11], s[4:5], 0x34
	s_addc_u32 s1, s1, 0
	s_mov_b32 s32, 0
	s_waitcnt lgkmcnt(0)
	s_add_i32 s33, s9, s6
	s_add_i32 s52, s11, s6
	s_mul_i32 s33, s33, s8
	s_mul_i32 s52, s52, s10
	s_cmp_le_u32 s52, s33
	s_cbranch_scc1 .LBB1870_675
; %bb.1:
	s_clause 0x3
	s_load_dword s8, s[4:5], 0x30
	s_load_dwordx4 s[44:47], s[4:5], 0x20
	s_load_dwordx4 s[48:51], s[4:5], 0x44
	s_load_dwordx8 s[36:43], s[4:5], 0x0
	s_waitcnt lgkmcnt(0)
	s_bitcmp1_b32 s8, 0
	s_mov_b32 s8, -1
	s_cselect_b32 s51, -1, 0
	s_sub_i32 s53, s52, s33
	s_cmpk_lt_u32 s53, 0x801
	s_cbranch_scc0 .LBB1870_12
; %bb.2:
	s_cmp_lt_u32 s53, 33
	s_cbranch_scc0 .LBB1870_6
; %bb.3:
	s_load_dword s8, s[4:5], 0x5c
	s_mov_b32 s22, exec_lo
	s_waitcnt lgkmcnt(0)
	s_lshr_b32 s9, s8, 16
	s_and_b32 s8, s8, 0xffff
	v_mad_u32_u24 v3, v2, s9, v1
	v_mad_u64_u32 v[3:4], null, v3, s8, v[0:1]
	v_cmpx_gt_u32_e32 8, v3
	s_cbranch_execz .LBB1870_5
; %bb.4:
	s_bitcmp1_b32 s48, 0
	v_lshlrev_b32_e32 v3, 20, v2
	s_cselect_b32 s8, -1, 0
	v_lshlrev_b32_e32 v4, 10, v1
	s_xor_b32 s8, s51, s8
	s_mov_b64 s[10:11], src_shared_base
	s_xor_b32 s10, s8, -1
	v_mov_b32_e32 v40, v0
	v_or3_b32 v31, v0, v4, v3
	v_cndmask_b32_e64 v12, 0, 1, s10
	v_mov_b32_e32 v0, s36
	v_mov_b32_e32 v41, v1
	;; [unrolled: 1-line block ×18, first 2 shown]
	s_add_u32 s8, s4, 0x50
	s_addc_u32 s9, s5, 0
	s_getpc_b64 s[14:15]
	s_add_u32 s14, s14, _ZN7rocprim17ROCPRIM_400000_NS6detail26segmented_warp_sort_helperINS1_20WarpSortHelperConfigILj8ELj4ELj256EEE6__halflLi256ELb0EvE4sortIPKS5_PS5_PKlPlEEvT_SA_T0_T1_SD_T2_bjjjjRNS6_12storage_typeE@rel32@lo+4
	s_addc_u32 s15, s15, _ZN7rocprim17ROCPRIM_400000_NS6detail26segmented_warp_sort_helperINS1_20WarpSortHelperConfigILj8ELj4ELj256EEE6__halflLi256ELb0EvE4sortIPKS5_PS5_PKlPlEEvT_SA_T0_T1_SD_T2_bjjjjRNS6_12storage_typeE@rel32@hi+12
	s_mov_b32 s12, s6
	s_mov_b32 s13, s7
	s_mov_b64 s[20:21], s[4:5]
	s_mov_b32 s24, s7
	s_mov_b32 s23, s6
	s_swappc_b64 s[30:31], s[14:15]
	v_mov_b32_e32 v1, v41
	v_mov_b32_e32 v2, v42
	;; [unrolled: 1-line block ×3, first 2 shown]
	s_mov_b32 s6, s23
	s_mov_b32 s7, s24
	s_mov_b64 s[4:5], s[20:21]
.LBB1870_5:
	s_or_b32 exec_lo, exec_lo, s22
	s_mov_b32 s8, 0
.LBB1870_6:
	s_andn2_b32 vcc_lo, exec_lo, s8
	s_cbranch_vccnz .LBB1870_11
; %bb.7:
	v_cndmask_b32_e64 v3, 0, 1, s51
	s_and_b32 s8, s48, 1
	v_lshlrev_b32_e32 v41, 20, v2
	v_lshlrev_b32_e32 v42, 10, v1
	v_cmp_ne_u32_e32 vcc_lo, s8, v3
	s_mov_b32 s8, -1
	s_cbranch_vccnz .LBB1870_9
; %bb.8:
	s_mov_b64 s[10:11], src_shared_base
	v_or3_b32 v31, v0, v42, v41
	v_mov_b32_e32 v40, v0
	v_mov_b32_e32 v0, s36
	;; [unrolled: 1-line block ×17, first 2 shown]
	s_add_u32 s8, s4, 0x50
	s_addc_u32 s9, s5, 0
	s_getpc_b64 s[14:15]
	s_add_u32 s14, s14, _ZN7rocprim17ROCPRIM_400000_NS6detail40segmented_radix_sort_single_block_helperI6__halflLj256ELj8ELb0EE4sortIPKS3_PS3_PKlPlEEbT_T0_T1_T2_jjjjRNS4_12storage_typeE@rel32@lo+4
	s_addc_u32 s15, s15, _ZN7rocprim17ROCPRIM_400000_NS6detail40segmented_radix_sort_single_block_helperI6__halflLj256ELj8ELb0EE4sortIPKS3_PS3_PKlPlEEbT_T0_T1_T2_jjjjRNS4_12storage_typeE@rel32@hi+12
	s_mov_b32 s12, s6
	s_mov_b32 s13, s7
	s_mov_b64 s[28:29], s[4:5]
	s_mov_b32 s27, s7
	s_mov_b32 s34, s6
	s_swappc_b64 s[30:31], s[14:15]
	v_mov_b32_e32 v1, v43
	v_mov_b32_e32 v2, v44
	;; [unrolled: 1-line block ×3, first 2 shown]
	s_mov_b32 s6, s34
	s_mov_b32 s7, s27
	s_mov_b64 s[4:5], s[28:29]
	s_mov_b32 s8, 0
.LBB1870_9:
	s_andn2_b32 vcc_lo, exec_lo, s8
	s_cbranch_vccnz .LBB1870_11
; %bb.10:
	s_mov_b64 s[10:11], src_shared_base
	v_or3_b32 v31, v0, v42, v41
	v_mov_b32_e32 v40, v0
	v_mov_b32_e32 v0, s36
	;; [unrolled: 1-line block ×17, first 2 shown]
	s_add_u32 s8, s4, 0x50
	s_addc_u32 s9, s5, 0
	s_getpc_b64 s[14:15]
	s_add_u32 s14, s14, _ZN7rocprim17ROCPRIM_400000_NS6detail40segmented_radix_sort_single_block_helperI6__halflLj256ELj8ELb0EE4sortIPKS3_PS3_PKlPlEEbT_T0_T1_T2_jjjjRNS4_12storage_typeE@rel32@lo+4
	s_addc_u32 s15, s15, _ZN7rocprim17ROCPRIM_400000_NS6detail40segmented_radix_sort_single_block_helperI6__halflLj256ELj8ELb0EE4sortIPKS3_PS3_PKlPlEEbT_T0_T1_T2_jjjjRNS4_12storage_typeE@rel32@hi+12
	s_mov_b32 s12, s6
	s_mov_b32 s13, s7
	s_mov_b64 s[28:29], s[4:5]
	s_mov_b32 s34, s7
	s_mov_b32 s27, s6
	s_swappc_b64 s[30:31], s[14:15]
	v_mov_b32_e32 v1, v41
	v_mov_b32_e32 v2, v42
	;; [unrolled: 1-line block ×3, first 2 shown]
	s_mov_b32 s6, s27
	s_mov_b32 s7, s34
	s_mov_b64 s[4:5], s[28:29]
.LBB1870_11:
	s_mov_b32 s8, 0
.LBB1870_12:
	s_andn2_b32 vcc_lo, exec_lo, s8
	s_cbranch_vccnz .LBB1870_675
; %bb.13:
	s_cmp_ge_u32 s49, s50
	s_cbranch_scc1 .LBB1870_675
; %bb.14:
	v_lshlrev_b32_e32 v29, 2, v0
	v_and_b32_e32 v4, 3, v0
	v_lshrrev_b32_e32 v5, 3, v0
	v_or_b32_e32 v6, 31, v0
	v_lshlrev_b32_e32 v3, 1, v0
	v_mad_u32_u24 v41, v0, 12, v29
	v_lshlrev_b32_e32 v40, 2, v4
	v_lshlrev_b32_e32 v4, 3, v0
	v_and_b32_e32 v39, 28, v5
	v_lshlrev_b32_e32 v5, 5, v0
	v_mad_u32_u24 v44, v0, 20, v41
	v_cmp_eq_u32_e64 s9, v0, v6
	v_and_b32_e32 v4, 0x700, v4
	v_mbcnt_lo_u32_b32 v59, -1, 0
	v_or_b32_e32 v35, 0x400, v0
	v_sub_nc_u32_e32 v46, v44, v5
	v_or_b32_e32 v36, 0x500, v0
	v_lshlrev_b32_e32 v5, 3, v4
	v_lshlrev_b32_e32 v6, 1, v4
	v_lshlrev_b32_e32 v69, 3, v59
	v_lshlrev_b32_e32 v77, 1, v59
	v_or_b32_e32 v37, 0x600, v0
	v_add_co_u32 v7, s13, s46, v5
	v_add_co_ci_u32_e64 v8, null, s47, 0, s13
	v_add_co_u32 v9, s13, s40, v6
	v_add_co_ci_u32_e64 v10, null, s41, 0, s13
	;; [unrolled: 2-line block ×5, first 2 shown]
	v_add_co_u32 v55, s13, s36, v3
	v_or_b32_e32 v38, 0x700, v0
	v_or_b32_e32 v66, v59, v4
	v_add_co_ci_u32_e64 v56, null, s37, 0, s13
	v_add_co_u32 v57, s13, s42, v5
	v_add_co_u32 v83, vcc_lo, v7, v69
	v_add_co_u32 v33, s8, s40, v3
	v_add_co_ci_u32_e64 v58, null, s43, 0, s13
	v_add_co_u32 v60, s13, s36, v6
	v_add_co_ci_u32_e64 v84, null, 0, v8, vcc_lo
	v_add_co_u32 v85, vcc_lo, v9, v77
	v_or_b32_e32 v30, 0x100, v0
	v_or_b32_e32 v31, 0x200, v0
	;; [unrolled: 1-line block ×3, first 2 shown]
	v_add_co_ci_u32_e64 v34, null, s41, 0, s8
	v_cmp_gt_u32_e64 s8, 0x100, v0
	v_or_b32_e32 v42, 0x4400, v39
	v_cmp_gt_u32_e64 s10, 8, v0
	v_or_b32_e32 v43, 0x4400, v29
	v_cmp_lt_u32_e64 s11, 31, v0
	v_add_nc_u32_e32 v45, 0x43fc, v39
	s_add_u32 s30, s4, 0x50
	v_cmp_eq_u32_e64 s4, 0, v0
	v_cmp_ne_u32_e64 s12, 0xff, v0
	v_sub_nc_u32_e32 v47, v46, v3
	v_mul_u32_u24_e32 v48, 6, v0
	v_add_co_ci_u32_e64 v61, null, s37, 0, s13
	v_mov_b32_e32 v62, 1
	v_and_b32_e32 v63, 15, v59
	v_bfe_i32 v64, v59, 4, 1
	v_and_b32_e32 v65, 16, v59
	v_and_b32_e32 v67, 7, v59
	v_sub_co_u32 v68, s13, v59, 1
	v_or_b32_e32 v70, 32, v66
	v_or_b32_e32 v71, 64, v66
	;; [unrolled: 1-line block ×7, first 2 shown]
	v_add_nc_u32_e32 v78, 0x420, v44
	v_lshlrev_b32_e32 v79, 1, v0
	v_lshlrev_b32_e32 v80, 1, v35
	;; [unrolled: 1-line block ×4, first 2 shown]
	v_add_co_ci_u32_e64 v86, null, 0, v10, vcc_lo
	v_lshlrev_b32_e32 v87, 1, v38
	v_add_nc_u32_e32 v88, 0x428, v44
	v_add_nc_u32_e32 v89, 0x430, v44
	;; [unrolled: 1-line block ×3, first 2 shown]
	v_mov_b32_e32 v4, 0
	s_addc_u32 s31, s5, 0
	s_mov_b32 s35, 0
	s_mov_b32 s29, s49
	s_branch .LBB1870_17
.LBB1870_15:                            ;   in Loop: Header=BB1870_17 Depth=1
	s_waitcnt lgkmcnt(0)
	s_barrier
.LBB1870_16:                            ;   in Loop: Header=BB1870_17 Depth=1
	s_add_i32 s29, s29, 8
	buffer_gl0_inv
	s_cmp_ge_u32 s29, s50
	s_cbranch_scc1 .LBB1870_675
.LBB1870_17:                            ; =>This Loop Header: Depth=1
                                        ;     Child Loop BB1870_21 Depth 2
                                        ;     Child Loop BB1870_69 Depth 2
	;; [unrolled: 1-line block ×8, first 2 shown]
	s_sub_i32 s5, s50, s29
	s_xor_b32 s51, s51, -1
	s_min_u32 s5, s5, 8
	ds_write2st64_b32 v29, v4, v4 offset1:4
	s_lshl_b32 s5, -1, s5
	ds_write2st64_b32 v29, v4, v4 offset0:8 offset1:12
	s_not_b32 s42, s5
	s_cmp_lg_u32 s29, s49
	s_mov_b32 s5, -1
	s_waitcnt lgkmcnt(0)
	s_waitcnt_vscnt null, 0x0
	s_cbranch_scc0 .LBB1870_347
; %bb.18:                               ;   in Loop: Header=BB1870_17 Depth=1
	s_and_b32 vcc_lo, exec_lo, s51
	s_cbranch_vccz .LBB1870_182
; %bb.19:                               ;   in Loop: Header=BB1870_17 Depth=1
	s_mov_b32 s5, s53
	s_mov_b32 s34, s33
	s_barrier
	buffer_gl0_inv
                                        ; implicit-def: $vgpr3
                                        ; implicit-def: $vgpr5
                                        ; implicit-def: $vgpr6
                                        ; implicit-def: $vgpr7
                                        ; implicit-def: $vgpr8
                                        ; implicit-def: $vgpr9
                                        ; implicit-def: $vgpr10
                                        ; implicit-def: $vgpr11
	s_branch .LBB1870_21
.LBB1870_20:                            ;   in Loop: Header=BB1870_21 Depth=2
	s_or_b32 exec_lo, exec_lo, s14
	s_addk_i32 s5, 0xf800
	s_cmp_ge_u32 s16, s52
	s_mov_b32 s34, s16
	s_cbranch_scc1 .LBB1870_57
.LBB1870_21:                            ;   Parent Loop BB1870_17 Depth=1
                                        ; =>  This Inner Loop Header: Depth=2
	s_add_i32 s16, s34, 0x800
	s_mov_b32 s14, -1
	s_cmp_gt_u32 s16, s52
                                        ; implicit-def: $vgpr12
                                        ; implicit-def: $vgpr13
                                        ; implicit-def: $vgpr14
                                        ; implicit-def: $vgpr15
                                        ; implicit-def: $vgpr16
                                        ; implicit-def: $vgpr17
                                        ; implicit-def: $vgpr18
                                        ; implicit-def: $vgpr19
	s_cbranch_scc1 .LBB1870_23
; %bb.22:                               ;   in Loop: Header=BB1870_21 Depth=2
	s_lshl_b64 s[14:15], s[34:35], 1
	v_add_co_u32 v15, vcc_lo, v33, s14
	v_add_co_ci_u32_e64 v16, null, s15, v34, vcc_lo
	s_mov_b32 s14, 0
	v_add_co_u32 v19, vcc_lo, 0x800, v15
	v_add_co_ci_u32_e64 v20, null, 0, v16, vcc_lo
	s_clause 0x7
	global_load_ushort v12, v[15:16], off
	global_load_ushort v13, v[15:16], off offset:512
	global_load_ushort v14, v[15:16], off offset:1024
	;; [unrolled: 1-line block ×3, first 2 shown]
	global_load_ushort v16, v[19:20], off
	global_load_ushort v17, v[19:20], off offset:512
	global_load_ushort v18, v[19:20], off offset:1024
	;; [unrolled: 1-line block ×3, first 2 shown]
.LBB1870_23:                            ;   in Loop: Header=BB1870_21 Depth=2
	s_andn2_b32 vcc_lo, exec_lo, s14
	s_movk_i32 s14, 0x800
	s_cbranch_vccnz .LBB1870_34
; %bb.24:                               ;   in Loop: Header=BB1870_21 Depth=2
	s_lshl_b64 s[14:15], s[34:35], 1
	s_mov_b32 s17, exec_lo
	s_add_u32 s14, s40, s14
	s_addc_u32 s15, s41, s15
	v_cmpx_gt_u32_e64 s5, v0
	s_cbranch_execnz .LBB1870_50
; %bb.25:                               ;   in Loop: Header=BB1870_21 Depth=2
	s_or_b32 exec_lo, exec_lo, s17
	s_mov_b32 s17, exec_lo
	v_cmpx_gt_u32_e64 s5, v30
	s_cbranch_execnz .LBB1870_51
.LBB1870_26:                            ;   in Loop: Header=BB1870_21 Depth=2
	s_or_b32 exec_lo, exec_lo, s17
	s_mov_b32 s17, exec_lo
	v_cmpx_gt_u32_e64 s5, v31
	s_cbranch_execnz .LBB1870_52
.LBB1870_27:                            ;   in Loop: Header=BB1870_21 Depth=2
	s_or_b32 exec_lo, exec_lo, s17
	s_mov_b32 s17, exec_lo
	v_cmpx_gt_u32_e64 s5, v32
	s_cbranch_execnz .LBB1870_53
.LBB1870_28:                            ;   in Loop: Header=BB1870_21 Depth=2
	s_or_b32 exec_lo, exec_lo, s17
	s_mov_b32 s17, exec_lo
	v_cmpx_gt_u32_e64 s5, v35
	s_cbranch_execnz .LBB1870_54
.LBB1870_29:                            ;   in Loop: Header=BB1870_21 Depth=2
	s_or_b32 exec_lo, exec_lo, s17
	s_mov_b32 s17, exec_lo
	v_cmpx_gt_u32_e64 s5, v36
	s_cbranch_execnz .LBB1870_55
.LBB1870_30:                            ;   in Loop: Header=BB1870_21 Depth=2
	s_or_b32 exec_lo, exec_lo, s17
	s_mov_b32 s17, exec_lo
	v_cmpx_gt_u32_e64 s5, v37
	s_cbranch_execnz .LBB1870_56
.LBB1870_31:                            ;   in Loop: Header=BB1870_21 Depth=2
	s_or_b32 exec_lo, exec_lo, s17
	s_mov_b32 s17, exec_lo
	v_cmpx_gt_u32_e64 s5, v38
	s_cbranch_execz .LBB1870_33
.LBB1870_32:                            ;   in Loop: Header=BB1870_21 Depth=2
	global_load_ushort v3, v87, s[14:15]
.LBB1870_33:                            ;   in Loop: Header=BB1870_21 Depth=2
	s_or_b32 exec_lo, exec_lo, s17
	s_waitcnt vmcnt(0)
	v_mov_b32_e32 v12, v11
	v_mov_b32_e32 v13, v10
	;; [unrolled: 1-line block ×8, first 2 shown]
	s_mov_b32 s14, s5
.LBB1870_34:                            ;   in Loop: Header=BB1870_21 Depth=2
	s_waitcnt vmcnt(0)
	v_mov_b32_e32 v3, v19
	v_mov_b32_e32 v5, v18
	;; [unrolled: 1-line block ×8, first 2 shown]
	s_mov_b32 s15, exec_lo
	v_cmpx_gt_u32_e64 s14, v0
	s_cbranch_execnz .LBB1870_42
; %bb.35:                               ;   in Loop: Header=BB1870_21 Depth=2
	s_or_b32 exec_lo, exec_lo, s15
	s_mov_b32 s15, exec_lo
	v_cmpx_gt_u32_e64 s14, v30
	s_cbranch_execnz .LBB1870_43
.LBB1870_36:                            ;   in Loop: Header=BB1870_21 Depth=2
	s_or_b32 exec_lo, exec_lo, s15
	s_mov_b32 s15, exec_lo
	v_cmpx_gt_u32_e64 s14, v31
	s_cbranch_execnz .LBB1870_44
.LBB1870_37:                            ;   in Loop: Header=BB1870_21 Depth=2
	s_or_b32 exec_lo, exec_lo, s15
	s_mov_b32 s15, exec_lo
	v_cmpx_gt_u32_e64 s14, v32
	s_cbranch_execnz .LBB1870_45
.LBB1870_38:                            ;   in Loop: Header=BB1870_21 Depth=2
	s_or_b32 exec_lo, exec_lo, s15
	s_mov_b32 s15, exec_lo
	v_cmpx_gt_u32_e64 s14, v35
	s_cbranch_execnz .LBB1870_46
.LBB1870_39:                            ;   in Loop: Header=BB1870_21 Depth=2
	s_or_b32 exec_lo, exec_lo, s15
	s_mov_b32 s15, exec_lo
	v_cmpx_gt_u32_e64 s14, v36
	s_cbranch_execnz .LBB1870_47
.LBB1870_40:                            ;   in Loop: Header=BB1870_21 Depth=2
	s_or_b32 exec_lo, exec_lo, s15
	s_mov_b32 s15, exec_lo
	v_cmpx_gt_u32_e64 s14, v37
	s_cbranch_execnz .LBB1870_48
.LBB1870_41:                            ;   in Loop: Header=BB1870_21 Depth=2
	s_or_b32 exec_lo, exec_lo, s15
	v_cmp_gt_u32_e32 vcc_lo, s14, v38
	s_and_saveexec_b32 s14, vcc_lo
	s_cbranch_execz .LBB1870_20
	s_branch .LBB1870_49
.LBB1870_42:                            ;   in Loop: Header=BB1870_21 Depth=2
	v_cmp_lt_i16_e32 vcc_lo, -1, v11
	v_cndmask_b32_e64 v12, -1, 0xffff8000, vcc_lo
	v_xor_b32_e32 v12, v12, v11
	v_cmp_ne_u16_e32 vcc_lo, 0x7fff, v12
	v_cndmask_b32_e32 v12, 0xffff8000, v12, vcc_lo
	v_lshrrev_b32_sdwa v12, s29, v12 dst_sel:DWORD dst_unused:UNUSED_PAD src0_sel:DWORD src1_sel:WORD_0
	v_and_b32_e32 v12, s42, v12
	v_lshl_or_b32 v12, v12, 4, v40
	ds_add_u32 v12, v62
	s_or_b32 exec_lo, exec_lo, s15
	s_mov_b32 s15, exec_lo
	v_cmpx_gt_u32_e64 s14, v30
	s_cbranch_execz .LBB1870_36
.LBB1870_43:                            ;   in Loop: Header=BB1870_21 Depth=2
	v_cmp_lt_i16_e32 vcc_lo, -1, v10
	v_cndmask_b32_e64 v12, -1, 0xffff8000, vcc_lo
	v_xor_b32_e32 v12, v12, v10
	v_cmp_ne_u16_e32 vcc_lo, 0x7fff, v12
	v_cndmask_b32_e32 v12, 0xffff8000, v12, vcc_lo
	v_lshrrev_b32_sdwa v12, s29, v12 dst_sel:DWORD dst_unused:UNUSED_PAD src0_sel:DWORD src1_sel:WORD_0
	v_and_b32_e32 v12, s42, v12
	v_lshl_or_b32 v12, v12, 4, v40
	ds_add_u32 v12, v62
	s_or_b32 exec_lo, exec_lo, s15
	s_mov_b32 s15, exec_lo
	v_cmpx_gt_u32_e64 s14, v31
	s_cbranch_execz .LBB1870_37
.LBB1870_44:                            ;   in Loop: Header=BB1870_21 Depth=2
	v_cmp_lt_i16_e32 vcc_lo, -1, v9
	v_cndmask_b32_e64 v12, -1, 0xffff8000, vcc_lo
	v_xor_b32_e32 v12, v12, v9
	v_cmp_ne_u16_e32 vcc_lo, 0x7fff, v12
	v_cndmask_b32_e32 v12, 0xffff8000, v12, vcc_lo
	v_lshrrev_b32_sdwa v12, s29, v12 dst_sel:DWORD dst_unused:UNUSED_PAD src0_sel:DWORD src1_sel:WORD_0
	v_and_b32_e32 v12, s42, v12
	v_lshl_or_b32 v12, v12, 4, v40
	ds_add_u32 v12, v62
	s_or_b32 exec_lo, exec_lo, s15
	s_mov_b32 s15, exec_lo
	v_cmpx_gt_u32_e64 s14, v32
	s_cbranch_execz .LBB1870_38
.LBB1870_45:                            ;   in Loop: Header=BB1870_21 Depth=2
	v_cmp_lt_i16_e32 vcc_lo, -1, v8
	v_cndmask_b32_e64 v12, -1, 0xffff8000, vcc_lo
	v_xor_b32_e32 v12, v12, v8
	v_cmp_ne_u16_e32 vcc_lo, 0x7fff, v12
	v_cndmask_b32_e32 v12, 0xffff8000, v12, vcc_lo
	v_lshrrev_b32_sdwa v12, s29, v12 dst_sel:DWORD dst_unused:UNUSED_PAD src0_sel:DWORD src1_sel:WORD_0
	v_and_b32_e32 v12, s42, v12
	v_lshl_or_b32 v12, v12, 4, v40
	ds_add_u32 v12, v62
	s_or_b32 exec_lo, exec_lo, s15
	s_mov_b32 s15, exec_lo
	v_cmpx_gt_u32_e64 s14, v35
	s_cbranch_execz .LBB1870_39
.LBB1870_46:                            ;   in Loop: Header=BB1870_21 Depth=2
	v_cmp_lt_i16_e32 vcc_lo, -1, v7
	v_cndmask_b32_e64 v12, -1, 0xffff8000, vcc_lo
	v_xor_b32_e32 v12, v12, v7
	v_cmp_ne_u16_e32 vcc_lo, 0x7fff, v12
	v_cndmask_b32_e32 v12, 0xffff8000, v12, vcc_lo
	v_lshrrev_b32_sdwa v12, s29, v12 dst_sel:DWORD dst_unused:UNUSED_PAD src0_sel:DWORD src1_sel:WORD_0
	v_and_b32_e32 v12, s42, v12
	v_lshl_or_b32 v12, v12, 4, v40
	ds_add_u32 v12, v62
	s_or_b32 exec_lo, exec_lo, s15
	s_mov_b32 s15, exec_lo
	v_cmpx_gt_u32_e64 s14, v36
	s_cbranch_execz .LBB1870_40
.LBB1870_47:                            ;   in Loop: Header=BB1870_21 Depth=2
	v_cmp_lt_i16_e32 vcc_lo, -1, v6
	v_cndmask_b32_e64 v12, -1, 0xffff8000, vcc_lo
	v_xor_b32_e32 v12, v12, v6
	v_cmp_ne_u16_e32 vcc_lo, 0x7fff, v12
	v_cndmask_b32_e32 v12, 0xffff8000, v12, vcc_lo
	v_lshrrev_b32_sdwa v12, s29, v12 dst_sel:DWORD dst_unused:UNUSED_PAD src0_sel:DWORD src1_sel:WORD_0
	v_and_b32_e32 v12, s42, v12
	v_lshl_or_b32 v12, v12, 4, v40
	ds_add_u32 v12, v62
	s_or_b32 exec_lo, exec_lo, s15
	s_mov_b32 s15, exec_lo
	v_cmpx_gt_u32_e64 s14, v37
	s_cbranch_execz .LBB1870_41
.LBB1870_48:                            ;   in Loop: Header=BB1870_21 Depth=2
	v_cmp_lt_i16_e32 vcc_lo, -1, v5
	v_cndmask_b32_e64 v12, -1, 0xffff8000, vcc_lo
	v_xor_b32_e32 v12, v12, v5
	v_cmp_ne_u16_e32 vcc_lo, 0x7fff, v12
	v_cndmask_b32_e32 v12, 0xffff8000, v12, vcc_lo
	v_lshrrev_b32_sdwa v12, s29, v12 dst_sel:DWORD dst_unused:UNUSED_PAD src0_sel:DWORD src1_sel:WORD_0
	v_and_b32_e32 v12, s42, v12
	v_lshl_or_b32 v12, v12, 4, v40
	ds_add_u32 v12, v62
	s_or_b32 exec_lo, exec_lo, s15
	v_cmp_gt_u32_e32 vcc_lo, s14, v38
	s_and_saveexec_b32 s14, vcc_lo
	s_cbranch_execz .LBB1870_20
.LBB1870_49:                            ;   in Loop: Header=BB1870_21 Depth=2
	v_cmp_lt_i16_e32 vcc_lo, -1, v3
	v_cndmask_b32_e64 v12, -1, 0xffff8000, vcc_lo
	v_xor_b32_e32 v12, v12, v3
	v_cmp_ne_u16_e32 vcc_lo, 0x7fff, v12
	v_cndmask_b32_e32 v12, 0xffff8000, v12, vcc_lo
	v_lshrrev_b32_sdwa v12, s29, v12 dst_sel:DWORD dst_unused:UNUSED_PAD src0_sel:DWORD src1_sel:WORD_0
	v_and_b32_e32 v12, s42, v12
	v_lshl_or_b32 v12, v12, 4, v40
	ds_add_u32 v12, v62
	s_branch .LBB1870_20
.LBB1870_50:                            ;   in Loop: Header=BB1870_21 Depth=2
	global_load_ushort v11, v79, s[14:15]
	s_or_b32 exec_lo, exec_lo, s17
	s_mov_b32 s17, exec_lo
	v_cmpx_gt_u32_e64 s5, v30
	s_cbranch_execz .LBB1870_26
.LBB1870_51:                            ;   in Loop: Header=BB1870_21 Depth=2
	global_load_ushort v10, v79, s[14:15] offset:512
	s_or_b32 exec_lo, exec_lo, s17
	s_mov_b32 s17, exec_lo
	v_cmpx_gt_u32_e64 s5, v31
	s_cbranch_execz .LBB1870_27
.LBB1870_52:                            ;   in Loop: Header=BB1870_21 Depth=2
	global_load_ushort v9, v79, s[14:15] offset:1024
	s_or_b32 exec_lo, exec_lo, s17
	s_mov_b32 s17, exec_lo
	v_cmpx_gt_u32_e64 s5, v32
	s_cbranch_execz .LBB1870_28
.LBB1870_53:                            ;   in Loop: Header=BB1870_21 Depth=2
	global_load_ushort v8, v79, s[14:15] offset:1536
	s_or_b32 exec_lo, exec_lo, s17
	s_mov_b32 s17, exec_lo
	v_cmpx_gt_u32_e64 s5, v35
	s_cbranch_execz .LBB1870_29
.LBB1870_54:                            ;   in Loop: Header=BB1870_21 Depth=2
	global_load_ushort v7, v80, s[14:15]
	s_or_b32 exec_lo, exec_lo, s17
	s_mov_b32 s17, exec_lo
	v_cmpx_gt_u32_e64 s5, v36
	s_cbranch_execz .LBB1870_30
.LBB1870_55:                            ;   in Loop: Header=BB1870_21 Depth=2
	global_load_ushort v6, v81, s[14:15]
	s_or_b32 exec_lo, exec_lo, s17
	s_mov_b32 s17, exec_lo
	v_cmpx_gt_u32_e64 s5, v37
	s_cbranch_execz .LBB1870_31
.LBB1870_56:                            ;   in Loop: Header=BB1870_21 Depth=2
	global_load_ushort v5, v82, s[14:15]
	s_or_b32 exec_lo, exec_lo, s17
	s_mov_b32 s17, exec_lo
	v_cmpx_gt_u32_e64 s5, v38
	s_cbranch_execnz .LBB1870_32
	s_branch .LBB1870_33
.LBB1870_57:                            ;   in Loop: Header=BB1870_17 Depth=1
	v_mov_b32_e32 v3, 0
	s_waitcnt lgkmcnt(0)
	s_barrier
	buffer_gl0_inv
	s_and_saveexec_b32 s5, s8
	s_cbranch_execz .LBB1870_59
; %bb.58:                               ;   in Loop: Header=BB1870_17 Depth=1
	ds_read2_b64 v[5:8], v41 offset1:1
	s_waitcnt lgkmcnt(0)
	v_add_nc_u32_e32 v3, v6, v5
	v_add3_u32 v3, v3, v7, v8
.LBB1870_59:                            ;   in Loop: Header=BB1870_17 Depth=1
	s_or_b32 exec_lo, exec_lo, s5
	v_mov_b32_dpp v5, v3 row_shr:1 row_mask:0xf bank_mask:0xf
	v_cmp_eq_u32_e64 s5, 0, v63
	v_cmp_lt_u32_e64 s14, 1, v63
	v_cmp_lt_u32_e64 s15, 3, v63
	;; [unrolled: 1-line block ×3, first 2 shown]
	v_cmp_eq_u32_e64 s17, 0, v65
	v_cndmask_b32_e64 v5, v5, 0, s5
	v_add_nc_u32_e32 v3, v5, v3
	v_mov_b32_dpp v5, v3 row_shr:2 row_mask:0xf bank_mask:0xf
	v_cndmask_b32_e64 v5, 0, v5, s14
	v_add_nc_u32_e32 v3, v3, v5
	v_mov_b32_dpp v5, v3 row_shr:4 row_mask:0xf bank_mask:0xf
	;; [unrolled: 3-line block ×3, first 2 shown]
	v_cndmask_b32_e64 v5, 0, v5, s16
	v_add_nc_u32_e32 v3, v3, v5
	ds_swizzle_b32 v5, v3 offset:swizzle(BROADCAST,32,15)
	s_waitcnt lgkmcnt(0)
	v_and_b32_e32 v5, v64, v5
	v_add_nc_u32_e32 v3, v3, v5
	s_and_saveexec_b32 s18, s9
; %bb.60:                               ;   in Loop: Header=BB1870_17 Depth=1
	ds_write_b32 v42, v3
; %bb.61:                               ;   in Loop: Header=BB1870_17 Depth=1
	s_or_b32 exec_lo, exec_lo, s18
	s_waitcnt lgkmcnt(0)
	s_barrier
	buffer_gl0_inv
	s_and_saveexec_b32 s18, s10
	s_cbranch_execz .LBB1870_63
; %bb.62:                               ;   in Loop: Header=BB1870_17 Depth=1
	ds_read_b32 v5, v43
	v_cmp_ne_u32_e32 vcc_lo, 0, v67
	s_waitcnt lgkmcnt(0)
	v_mov_b32_dpp v6, v5 row_shr:1 row_mask:0xf bank_mask:0xf
	v_cndmask_b32_e32 v6, 0, v6, vcc_lo
	v_cmp_lt_u32_e32 vcc_lo, 1, v67
	v_add_nc_u32_e32 v5, v6, v5
	v_mov_b32_dpp v6, v5 row_shr:2 row_mask:0xf bank_mask:0xf
	v_cndmask_b32_e32 v6, 0, v6, vcc_lo
	v_cmp_lt_u32_e32 vcc_lo, 3, v67
	v_add_nc_u32_e32 v5, v5, v6
	v_mov_b32_dpp v6, v5 row_shr:4 row_mask:0xf bank_mask:0xf
	v_cndmask_b32_e32 v6, 0, v6, vcc_lo
	v_add_nc_u32_e32 v5, v5, v6
	ds_write_b32 v43, v5
.LBB1870_63:                            ;   in Loop: Header=BB1870_17 Depth=1
	s_or_b32 exec_lo, exec_lo, s18
	v_mov_b32_e32 v5, 0
	s_waitcnt lgkmcnt(0)
	s_barrier
	buffer_gl0_inv
	s_and_saveexec_b32 s18, s11
; %bb.64:                               ;   in Loop: Header=BB1870_17 Depth=1
	ds_read_b32 v5, v45
; %bb.65:                               ;   in Loop: Header=BB1870_17 Depth=1
	s_or_b32 exec_lo, exec_lo, s18
	v_cmp_gt_i32_e32 vcc_lo, 0, v68
	s_waitcnt lgkmcnt(0)
	v_add_nc_u32_e32 v3, v5, v3
	s_barrier
	buffer_gl0_inv
	v_cndmask_b32_e32 v6, v68, v59, vcc_lo
	v_lshlrev_b32_e32 v91, 2, v6
	ds_bpermute_b32 v3, v91, v3
	s_and_saveexec_b32 s18, s8
	s_cbranch_execz .LBB1870_67
; %bb.66:                               ;   in Loop: Header=BB1870_17 Depth=1
	s_waitcnt lgkmcnt(0)
	v_cndmask_b32_e64 v3, v3, v5, s13
	v_add_nc_u32_e32 v3, s33, v3
	ds_write_b32 v29, v3
.LBB1870_67:                            ;   in Loop: Header=BB1870_17 Depth=1
	s_or_b32 exec_lo, exec_lo, s18
	s_clause 0x1
	s_load_dword s18, s[30:31], 0x4
	s_load_dword s20, s[30:31], 0xc
	s_mov_b32 s43, s53
	s_mov_b32 s34, s33
                                        ; implicit-def: $vgpr7_vgpr8
                                        ; implicit-def: $vgpr9_vgpr10
                                        ; implicit-def: $vgpr11_vgpr12
                                        ; implicit-def: $vgpr13_vgpr14
                                        ; implicit-def: $vgpr15_vgpr16
                                        ; implicit-def: $vgpr17_vgpr18
                                        ; implicit-def: $vgpr19_vgpr20
                                        ; implicit-def: $vgpr93
                                        ; implicit-def: $vgpr94
                                        ; implicit-def: $vgpr95
                                        ; implicit-def: $vgpr96
                                        ; implicit-def: $vgpr97
                                        ; implicit-def: $vgpr98
                                        ; implicit-def: $vgpr99
                                        ; implicit-def: $vgpr100
	s_waitcnt lgkmcnt(0)
	s_cmp_lt_u32 s7, s18
	s_cselect_b32 s18, 14, 20
	s_add_u32 s18, s30, s18
	s_addc_u32 s19, s31, 0
	global_load_ushort v3, v4, s[18:19]
	s_and_b32 s18, s20, 0xffff
	v_cmp_lt_u32_e64 s19, 1, v67
	v_cmp_lt_u32_e64 s20, 3, v67
	s_waitcnt vmcnt(0)
	v_mad_u32_u24 v3, v2, v3, v1
	v_mad_u64_u32 v[5:6], null, v3, s18, v[0:1]
	v_cmp_eq_u32_e64 s18, 0, v67
	v_lshrrev_b32_e32 v3, 3, v5
                                        ; implicit-def: $vgpr5_vgpr6
	v_and_b32_e32 v92, 0x1ffffffc, v3
	s_branch .LBB1870_69
.LBB1870_68:                            ;   in Loop: Header=BB1870_69 Depth=2
	s_or_b32 exec_lo, exec_lo, s21
	s_addk_i32 s43, 0xf800
	s_cmp_lt_u32 s48, s52
	s_mov_b32 s34, s48
	s_cbranch_scc0 .LBB1870_181
.LBB1870_69:                            ;   Parent Loop BB1870_17 Depth=1
                                        ; =>  This Inner Loop Header: Depth=2
	s_add_i32 s48, s34, 0x800
	s_cmp_gt_u32 s48, s52
	s_cbranch_scc1 .LBB1870_71
; %bb.70:                               ;   in Loop: Header=BB1870_69 Depth=2
	s_lshl_b64 s[22:23], s[34:35], 1
	s_mov_b32 s21, -1
	v_add_co_u32 v21, vcc_lo, v85, s22
	v_add_co_ci_u32_e64 v22, null, s23, v86, vcc_lo
	s_clause 0x6
	global_load_ushort v3, v[21:22], off
	global_load_ushort v28, v[21:22], off offset:64
	global_load_ushort v27, v[21:22], off offset:128
	;; [unrolled: 1-line block ×6, first 2 shown]
	s_movk_i32 s22, 0x800
	s_cbranch_execz .LBB1870_72
	s_branch .LBB1870_87
.LBB1870_71:                            ;   in Loop: Header=BB1870_69 Depth=2
	s_mov_b32 s21, 0
                                        ; implicit-def: $vgpr3
                                        ; implicit-def: $vgpr28
                                        ; implicit-def: $vgpr27
                                        ; implicit-def: $vgpr26
                                        ; implicit-def: $vgpr25
                                        ; implicit-def: $vgpr24
                                        ; implicit-def: $vgpr23
	s_movk_i32 s22, 0x800
.LBB1870_72:                            ;   in Loop: Header=BB1870_69 Depth=2
	s_lshl_b64 s[22:23], s[34:35], 1
	s_waitcnt vmcnt(5)
	v_mov_b32_e32 v28, 0x7fff
	v_add_co_u32 v21, vcc_lo, v85, s22
	v_add_co_ci_u32_e64 v22, null, s23, v86, vcc_lo
	v_mov_b32_e32 v3, 0x7fff
	s_mov_b32 s21, exec_lo
	v_cmpx_gt_u32_e64 s43, v66
	s_cbranch_execz .LBB1870_74
; %bb.73:                               ;   in Loop: Header=BB1870_69 Depth=2
	global_load_ushort v3, v[21:22], off
.LBB1870_74:                            ;   in Loop: Header=BB1870_69 Depth=2
	s_or_b32 exec_lo, exec_lo, s21
	s_mov_b32 s21, exec_lo
	v_cmpx_gt_u32_e64 s43, v70
	s_cbranch_execz .LBB1870_76
; %bb.75:                               ;   in Loop: Header=BB1870_69 Depth=2
	global_load_ushort v28, v[21:22], off offset:64
.LBB1870_76:                            ;   in Loop: Header=BB1870_69 Depth=2
	s_or_b32 exec_lo, exec_lo, s21
	s_waitcnt vmcnt(3)
	v_mov_b32_e32 v26, 0x7fff
	v_mov_b32_e32 v27, 0x7fff
	s_mov_b32 s21, exec_lo
	v_cmpx_gt_u32_e64 s43, v71
	s_cbranch_execz .LBB1870_78
; %bb.77:                               ;   in Loop: Header=BB1870_69 Depth=2
	global_load_ushort v27, v[21:22], off offset:128
.LBB1870_78:                            ;   in Loop: Header=BB1870_69 Depth=2
	s_or_b32 exec_lo, exec_lo, s21
	s_mov_b32 s21, exec_lo
	v_cmpx_gt_u32_e64 s43, v72
	s_cbranch_execz .LBB1870_80
; %bb.79:                               ;   in Loop: Header=BB1870_69 Depth=2
	global_load_ushort v26, v[21:22], off offset:192
.LBB1870_80:                            ;   in Loop: Header=BB1870_69 Depth=2
	s_or_b32 exec_lo, exec_lo, s21
	s_waitcnt vmcnt(1)
	v_mov_b32_e32 v24, 0x7fff
	v_mov_b32_e32 v25, 0x7fff
	s_mov_b32 s21, exec_lo
	v_cmpx_gt_u32_e64 s43, v73
	s_cbranch_execz .LBB1870_82
; %bb.81:                               ;   in Loop: Header=BB1870_69 Depth=2
	global_load_ushort v25, v[21:22], off offset:256
.LBB1870_82:                            ;   in Loop: Header=BB1870_69 Depth=2
	s_or_b32 exec_lo, exec_lo, s21
	s_mov_b32 s21, exec_lo
	v_cmpx_gt_u32_e64 s43, v74
	s_cbranch_execz .LBB1870_84
; %bb.83:                               ;   in Loop: Header=BB1870_69 Depth=2
	global_load_ushort v24, v[21:22], off offset:320
.LBB1870_84:                            ;   in Loop: Header=BB1870_69 Depth=2
	s_or_b32 exec_lo, exec_lo, s21
	s_waitcnt vmcnt(0)
	v_mov_b32_e32 v23, 0x7fff
	s_mov_b32 s21, exec_lo
	v_cmpx_gt_u32_e64 s43, v75
	s_cbranch_execz .LBB1870_86
; %bb.85:                               ;   in Loop: Header=BB1870_69 Depth=2
	global_load_ushort v23, v[21:22], off offset:384
.LBB1870_86:                            ;   in Loop: Header=BB1870_69 Depth=2
	s_or_b32 exec_lo, exec_lo, s21
	v_cmp_gt_u32_e64 s21, s43, v76
	s_sub_i32 s22, s52, s34
.LBB1870_87:                            ;   in Loop: Header=BB1870_69 Depth=2
	v_mov_b32_e32 v21, 0x7fff
	v_mov_b32_e32 v101, s43
	s_and_saveexec_b32 s23, s21
	s_cbranch_execz .LBB1870_89
; %bb.88:                               ;   in Loop: Header=BB1870_69 Depth=2
	s_lshl_b64 s[24:25], s[34:35], 1
	v_mov_b32_e32 v101, s22
	v_add_co_u32 v21, vcc_lo, v85, s24
	v_add_co_ci_u32_e64 v22, null, s25, v86, vcc_lo
	global_load_ushort v21, v[21:22], off offset:448
.LBB1870_89:                            ;   in Loop: Header=BB1870_69 Depth=2
	s_or_b32 exec_lo, exec_lo, s23
	s_waitcnt vmcnt(6)
	v_cmp_lt_i16_e32 vcc_lo, -1, v3
	ds_write2_b32 v78, v4, v4 offset1:1
	ds_write2_b32 v88, v4, v4 offset1:1
	;; [unrolled: 1-line block ×4, first 2 shown]
	ds_write_b32 v44, v4 offset:1088
	s_waitcnt vmcnt(0) lgkmcnt(0)
	s_barrier
	v_cndmask_b32_e64 v22, -1, 0xffff8000, vcc_lo
	buffer_gl0_inv
	; wave barrier
	v_xor_b32_e32 v3, v22, v3
	v_cmp_ne_u16_e32 vcc_lo, 0x7fff, v3
	v_cndmask_b32_e32 v22, 0xffff8000, v3, vcc_lo
	v_lshrrev_b32_sdwa v22, s29, v22 dst_sel:DWORD dst_unused:UNUSED_PAD src0_sel:DWORD src1_sel:WORD_0
	v_and_b32_e32 v103, s42, v22
	v_and_b32_e32 v22, 1, v103
	v_lshlrev_b32_e32 v102, 30, v103
	v_lshlrev_b32_e32 v104, 29, v103
	;; [unrolled: 1-line block ×4, first 2 shown]
	v_add_co_u32 v22, s21, v22, -1
	v_cndmask_b32_e64 v106, 0, 1, s21
	v_not_b32_e32 v110, v102
	v_cmp_gt_i32_e64 s21, 0, v102
	v_not_b32_e32 v102, v104
	v_lshlrev_b32_e32 v108, 26, v103
	v_cmp_ne_u32_e32 vcc_lo, 0, v106
	v_ashrrev_i32_e32 v110, 31, v110
	v_lshlrev_b32_e32 v109, 25, v103
	v_ashrrev_i32_e32 v102, 31, v102
	v_lshlrev_b32_e32 v106, 24, v103
	v_xor_b32_e32 v22, vcc_lo, v22
	v_cmp_gt_i32_e32 vcc_lo, 0, v104
	v_not_b32_e32 v104, v105
	v_xor_b32_e32 v110, s21, v110
	v_cmp_gt_i32_e64 s21, 0, v105
	v_and_b32_e32 v22, exec_lo, v22
	v_not_b32_e32 v105, v107
	v_ashrrev_i32_e32 v104, 31, v104
	v_xor_b32_e32 v102, vcc_lo, v102
	v_cmp_gt_i32_e32 vcc_lo, 0, v107
	v_and_b32_e32 v22, v22, v110
	v_not_b32_e32 v107, v108
	v_ashrrev_i32_e32 v105, 31, v105
	v_xor_b32_e32 v104, s21, v104
	v_cmp_gt_i32_e64 s21, 0, v108
	v_and_b32_e32 v22, v22, v102
	v_not_b32_e32 v102, v109
	v_ashrrev_i32_e32 v107, 31, v107
	v_xor_b32_e32 v105, vcc_lo, v105
	v_cmp_gt_i32_e32 vcc_lo, 0, v109
	v_and_b32_e32 v22, v22, v104
	v_not_b32_e32 v104, v106
	v_ashrrev_i32_e32 v102, 31, v102
	v_xor_b32_e32 v107, s21, v107
	v_cmp_gt_i32_e64 s21, 0, v106
	v_and_b32_e32 v22, v22, v105
	v_ashrrev_i32_e32 v104, 31, v104
	v_xor_b32_e32 v102, vcc_lo, v102
	v_mul_u32_u24_e32 v103, 36, v103
	v_and_b32_e32 v22, v22, v107
	v_xor_b32_e32 v104, s21, v104
	v_and_b32_e32 v22, v22, v102
	v_and_b32_e32 v22, v22, v104
	v_add_nc_u32_e32 v104, v92, v103
	v_mbcnt_lo_u32_b32 v102, v22, 0
	v_cmp_ne_u32_e64 s21, 0, v22
	v_cmp_eq_u32_e32 vcc_lo, 0, v102
	s_and_b32 s22, s21, vcc_lo
	s_and_saveexec_b32 s21, s22
; %bb.90:                               ;   in Loop: Header=BB1870_69 Depth=2
	v_bcnt_u32_b32 v22, v22, 0
	ds_write_b32 v104, v22 offset:1056
; %bb.91:                               ;   in Loop: Header=BB1870_69 Depth=2
	s_or_b32 exec_lo, exec_lo, s21
	v_cmp_lt_i16_e32 vcc_lo, -1, v28
	; wave barrier
	v_cndmask_b32_e64 v22, -1, 0xffff8000, vcc_lo
	v_xor_b32_e32 v103, v22, v28
	v_cmp_ne_u16_e32 vcc_lo, 0x7fff, v103
	v_cndmask_b32_e32 v22, 0xffff8000, v103, vcc_lo
	v_lshrrev_b32_sdwa v22, s29, v22 dst_sel:DWORD dst_unused:UNUSED_PAD src0_sel:DWORD src1_sel:WORD_0
	v_and_b32_e32 v28, s42, v22
	v_and_b32_e32 v22, 1, v28
	v_lshlrev_b32_e32 v105, 30, v28
	v_lshlrev_b32_e32 v106, 29, v28
	;; [unrolled: 1-line block ×4, first 2 shown]
	v_add_co_u32 v22, s21, v22, -1
	v_cndmask_b32_e64 v108, 0, 1, s21
	v_not_b32_e32 v112, v105
	v_cmp_gt_i32_e64 s21, 0, v105
	v_not_b32_e32 v105, v106
	v_lshlrev_b32_e32 v110, 26, v28
	v_cmp_ne_u32_e32 vcc_lo, 0, v108
	v_ashrrev_i32_e32 v112, 31, v112
	v_lshlrev_b32_e32 v111, 25, v28
	v_ashrrev_i32_e32 v105, 31, v105
	v_lshlrev_b32_e32 v108, 24, v28
	v_xor_b32_e32 v22, vcc_lo, v22
	v_cmp_gt_i32_e32 vcc_lo, 0, v106
	v_not_b32_e32 v106, v107
	v_xor_b32_e32 v112, s21, v112
	v_cmp_gt_i32_e64 s21, 0, v107
	v_and_b32_e32 v22, exec_lo, v22
	v_not_b32_e32 v107, v109
	v_ashrrev_i32_e32 v106, 31, v106
	v_xor_b32_e32 v105, vcc_lo, v105
	v_cmp_gt_i32_e32 vcc_lo, 0, v109
	v_and_b32_e32 v22, v22, v112
	v_not_b32_e32 v109, v110
	v_ashrrev_i32_e32 v107, 31, v107
	v_xor_b32_e32 v106, s21, v106
	v_cmp_gt_i32_e64 s21, 0, v110
	v_and_b32_e32 v22, v22, v105
	v_not_b32_e32 v105, v111
	v_ashrrev_i32_e32 v109, 31, v109
	v_xor_b32_e32 v107, vcc_lo, v107
	v_cmp_gt_i32_e32 vcc_lo, 0, v111
	v_and_b32_e32 v22, v22, v106
	v_not_b32_e32 v106, v108
	v_ashrrev_i32_e32 v105, 31, v105
	v_xor_b32_e32 v109, s21, v109
	v_cmp_gt_i32_e64 s21, 0, v108
	v_and_b32_e32 v22, v22, v107
	v_ashrrev_i32_e32 v106, 31, v106
	v_xor_b32_e32 v105, vcc_lo, v105
	v_mad_u32_u24 v107, v28, 36, v92
	v_mul_u32_u24_e32 v28, 36, v28
	v_and_b32_e32 v22, v22, v109
	v_xor_b32_e32 v106, s21, v106
	v_add_nc_u32_e32 v108, v92, v28
	v_and_b32_e32 v22, v22, v105
	ds_read_b32 v105, v107 offset:1056
	; wave barrier
	v_and_b32_e32 v22, v22, v106
	v_mbcnt_lo_u32_b32 v106, v22, 0
	v_cmp_ne_u32_e64 s21, 0, v22
	v_cmp_eq_u32_e32 vcc_lo, 0, v106
	s_and_b32 s22, s21, vcc_lo
	s_and_saveexec_b32 s21, s22
	s_cbranch_execz .LBB1870_93
; %bb.92:                               ;   in Loop: Header=BB1870_69 Depth=2
	s_waitcnt lgkmcnt(0)
	v_bcnt_u32_b32 v22, v22, v105
	ds_write_b32 v108, v22 offset:1056
.LBB1870_93:                            ;   in Loop: Header=BB1870_69 Depth=2
	s_or_b32 exec_lo, exec_lo, s21
	v_cmp_lt_i16_e32 vcc_lo, -1, v27
	; wave barrier
	v_cndmask_b32_e64 v22, -1, 0xffff8000, vcc_lo
	v_xor_b32_e32 v107, v22, v27
	v_cmp_ne_u16_e32 vcc_lo, 0x7fff, v107
	v_cndmask_b32_e32 v22, 0xffff8000, v107, vcc_lo
	v_lshrrev_b32_sdwa v22, s29, v22 dst_sel:DWORD dst_unused:UNUSED_PAD src0_sel:DWORD src1_sel:WORD_0
	v_and_b32_e32 v27, s42, v22
	v_and_b32_e32 v22, 1, v27
	v_lshlrev_b32_e32 v28, 30, v27
	v_lshlrev_b32_e32 v109, 29, v27
	;; [unrolled: 1-line block ×4, first 2 shown]
	v_add_co_u32 v22, s21, v22, -1
	v_cndmask_b32_e64 v111, 0, 1, s21
	v_not_b32_e32 v115, v28
	v_cmp_gt_i32_e64 s21, 0, v28
	v_not_b32_e32 v28, v109
	v_lshlrev_b32_e32 v113, 26, v27
	v_cmp_ne_u32_e32 vcc_lo, 0, v111
	v_ashrrev_i32_e32 v115, 31, v115
	v_lshlrev_b32_e32 v114, 25, v27
	v_ashrrev_i32_e32 v28, 31, v28
	v_lshlrev_b32_e32 v111, 24, v27
	v_xor_b32_e32 v22, vcc_lo, v22
	v_cmp_gt_i32_e32 vcc_lo, 0, v109
	v_not_b32_e32 v109, v110
	v_xor_b32_e32 v115, s21, v115
	v_cmp_gt_i32_e64 s21, 0, v110
	v_and_b32_e32 v22, exec_lo, v22
	v_not_b32_e32 v110, v112
	v_ashrrev_i32_e32 v109, 31, v109
	v_xor_b32_e32 v28, vcc_lo, v28
	v_cmp_gt_i32_e32 vcc_lo, 0, v112
	v_and_b32_e32 v22, v22, v115
	v_not_b32_e32 v112, v113
	v_ashrrev_i32_e32 v110, 31, v110
	v_xor_b32_e32 v109, s21, v109
	v_cmp_gt_i32_e64 s21, 0, v113
	v_and_b32_e32 v22, v22, v28
	v_not_b32_e32 v28, v114
	v_ashrrev_i32_e32 v112, 31, v112
	v_xor_b32_e32 v110, vcc_lo, v110
	v_cmp_gt_i32_e32 vcc_lo, 0, v114
	v_and_b32_e32 v22, v22, v109
	v_not_b32_e32 v109, v111
	v_ashrrev_i32_e32 v28, 31, v28
	v_xor_b32_e32 v112, s21, v112
	v_cmp_gt_i32_e64 s21, 0, v111
	v_and_b32_e32 v22, v22, v110
	v_ashrrev_i32_e32 v109, 31, v109
	v_xor_b32_e32 v28, vcc_lo, v28
	v_mad_u32_u24 v110, v27, 36, v92
	v_mul_u32_u24_e32 v27, 36, v27
	v_and_b32_e32 v22, v22, v112
	v_xor_b32_e32 v111, s21, v109
	ds_read_b32 v109, v110 offset:1056
	v_add_nc_u32_e32 v112, v92, v27
	v_and_b32_e32 v22, v22, v28
	; wave barrier
	v_and_b32_e32 v22, v22, v111
	v_mbcnt_lo_u32_b32 v111, v22, 0
	v_cmp_ne_u32_e64 s21, 0, v22
	v_cmp_eq_u32_e32 vcc_lo, 0, v111
	s_and_b32 s22, s21, vcc_lo
	s_and_saveexec_b32 s21, s22
	s_cbranch_execz .LBB1870_95
; %bb.94:                               ;   in Loop: Header=BB1870_69 Depth=2
	s_waitcnt lgkmcnt(0)
	v_bcnt_u32_b32 v22, v22, v109
	ds_write_b32 v112, v22 offset:1056
.LBB1870_95:                            ;   in Loop: Header=BB1870_69 Depth=2
	s_or_b32 exec_lo, exec_lo, s21
	v_cmp_lt_i16_e32 vcc_lo, -1, v26
	; wave barrier
	v_cndmask_b32_e64 v22, -1, 0xffff8000, vcc_lo
	v_xor_b32_e32 v110, v22, v26
	v_cmp_ne_u16_e32 vcc_lo, 0x7fff, v110
	v_cndmask_b32_e32 v22, 0xffff8000, v110, vcc_lo
	v_lshrrev_b32_sdwa v22, s29, v22 dst_sel:DWORD dst_unused:UNUSED_PAD src0_sel:DWORD src1_sel:WORD_0
	v_and_b32_e32 v26, s42, v22
	v_and_b32_e32 v22, 1, v26
	v_lshlrev_b32_e32 v27, 30, v26
	v_lshlrev_b32_e32 v28, 29, v26
	;; [unrolled: 1-line block ×4, first 2 shown]
	v_add_co_u32 v22, s21, v22, -1
	v_cndmask_b32_e64 v114, 0, 1, s21
	v_not_b32_e32 v118, v27
	v_cmp_gt_i32_e64 s21, 0, v27
	v_not_b32_e32 v27, v28
	v_lshlrev_b32_e32 v116, 26, v26
	v_cmp_ne_u32_e32 vcc_lo, 0, v114
	v_ashrrev_i32_e32 v118, 31, v118
	v_lshlrev_b32_e32 v117, 25, v26
	v_ashrrev_i32_e32 v27, 31, v27
	v_lshlrev_b32_e32 v114, 24, v26
	v_xor_b32_e32 v22, vcc_lo, v22
	v_cmp_gt_i32_e32 vcc_lo, 0, v28
	v_not_b32_e32 v28, v113
	v_xor_b32_e32 v118, s21, v118
	v_cmp_gt_i32_e64 s21, 0, v113
	v_and_b32_e32 v22, exec_lo, v22
	v_not_b32_e32 v113, v115
	v_ashrrev_i32_e32 v28, 31, v28
	v_xor_b32_e32 v27, vcc_lo, v27
	v_cmp_gt_i32_e32 vcc_lo, 0, v115
	v_and_b32_e32 v22, v22, v118
	v_not_b32_e32 v115, v116
	v_ashrrev_i32_e32 v113, 31, v113
	v_xor_b32_e32 v28, s21, v28
	v_cmp_gt_i32_e64 s21, 0, v116
	v_and_b32_e32 v22, v22, v27
	v_not_b32_e32 v27, v117
	v_ashrrev_i32_e32 v115, 31, v115
	v_xor_b32_e32 v113, vcc_lo, v113
	v_cmp_gt_i32_e32 vcc_lo, 0, v117
	v_and_b32_e32 v22, v22, v28
	v_not_b32_e32 v28, v114
	v_ashrrev_i32_e32 v27, 31, v27
	v_xor_b32_e32 v115, s21, v115
	v_cmp_gt_i32_e64 s21, 0, v114
	v_and_b32_e32 v22, v22, v113
	v_ashrrev_i32_e32 v28, 31, v28
	v_xor_b32_e32 v27, vcc_lo, v27
	v_mad_u32_u24 v113, v26, 36, v92
	v_mul_u32_u24_e32 v26, 36, v26
	v_and_b32_e32 v22, v22, v115
	v_xor_b32_e32 v28, s21, v28
	ds_read_b32 v113, v113 offset:1056
	v_add_nc_u32_e32 v116, v92, v26
	v_and_b32_e32 v22, v22, v27
	; wave barrier
	v_and_b32_e32 v22, v22, v28
	v_mbcnt_lo_u32_b32 v115, v22, 0
	v_cmp_ne_u32_e64 s21, 0, v22
	v_cmp_eq_u32_e32 vcc_lo, 0, v115
	s_and_b32 s22, s21, vcc_lo
	s_and_saveexec_b32 s21, s22
	s_cbranch_execz .LBB1870_97
; %bb.96:                               ;   in Loop: Header=BB1870_69 Depth=2
	s_waitcnt lgkmcnt(0)
	v_bcnt_u32_b32 v22, v22, v113
	ds_write_b32 v116, v22 offset:1056
.LBB1870_97:                            ;   in Loop: Header=BB1870_69 Depth=2
	s_or_b32 exec_lo, exec_lo, s21
	v_cmp_lt_i16_e32 vcc_lo, -1, v25
	; wave barrier
	v_cndmask_b32_e64 v22, -1, 0xffff8000, vcc_lo
	v_xor_b32_e32 v114, v22, v25
	v_cmp_ne_u16_e32 vcc_lo, 0x7fff, v114
	v_cndmask_b32_e32 v22, 0xffff8000, v114, vcc_lo
	v_lshrrev_b32_sdwa v22, s29, v22 dst_sel:DWORD dst_unused:UNUSED_PAD src0_sel:DWORD src1_sel:WORD_0
	v_and_b32_e32 v25, s42, v22
	v_and_b32_e32 v22, 1, v25
	v_lshlrev_b32_e32 v26, 30, v25
	v_lshlrev_b32_e32 v27, 29, v25
	;; [unrolled: 1-line block ×4, first 2 shown]
	v_add_co_u32 v22, s21, v22, -1
	v_cndmask_b32_e64 v117, 0, 1, s21
	v_not_b32_e32 v121, v26
	v_cmp_gt_i32_e64 s21, 0, v26
	v_not_b32_e32 v26, v27
	v_lshlrev_b32_e32 v119, 26, v25
	v_cmp_ne_u32_e32 vcc_lo, 0, v117
	v_ashrrev_i32_e32 v121, 31, v121
	v_lshlrev_b32_e32 v120, 25, v25
	v_ashrrev_i32_e32 v26, 31, v26
	v_lshlrev_b32_e32 v117, 24, v25
	v_xor_b32_e32 v22, vcc_lo, v22
	v_cmp_gt_i32_e32 vcc_lo, 0, v27
	v_not_b32_e32 v27, v28
	v_xor_b32_e32 v121, s21, v121
	v_cmp_gt_i32_e64 s21, 0, v28
	v_and_b32_e32 v22, exec_lo, v22
	v_not_b32_e32 v28, v118
	v_ashrrev_i32_e32 v27, 31, v27
	v_xor_b32_e32 v26, vcc_lo, v26
	v_cmp_gt_i32_e32 vcc_lo, 0, v118
	v_and_b32_e32 v22, v22, v121
	v_not_b32_e32 v118, v119
	v_ashrrev_i32_e32 v28, 31, v28
	v_xor_b32_e32 v27, s21, v27
	v_cmp_gt_i32_e64 s21, 0, v119
	v_and_b32_e32 v22, v22, v26
	v_not_b32_e32 v26, v120
	v_ashrrev_i32_e32 v118, 31, v118
	v_xor_b32_e32 v28, vcc_lo, v28
	v_cmp_gt_i32_e32 vcc_lo, 0, v120
	v_and_b32_e32 v22, v22, v27
	v_not_b32_e32 v27, v117
	v_ashrrev_i32_e32 v26, 31, v26
	v_xor_b32_e32 v118, s21, v118
	v_cmp_gt_i32_e64 s21, 0, v117
	v_and_b32_e32 v22, v22, v28
	v_ashrrev_i32_e32 v27, 31, v27
	v_xor_b32_e32 v26, vcc_lo, v26
	v_mad_u32_u24 v28, v25, 36, v92
	v_mul_u32_u24_e32 v25, 36, v25
	v_and_b32_e32 v22, v22, v118
	v_xor_b32_e32 v27, s21, v27
	ds_read_b32 v117, v28 offset:1056
	v_add_nc_u32_e32 v120, v92, v25
	v_and_b32_e32 v22, v22, v26
	; wave barrier
	v_and_b32_e32 v22, v22, v27
	v_mbcnt_lo_u32_b32 v119, v22, 0
	v_cmp_ne_u32_e64 s21, 0, v22
	v_cmp_eq_u32_e32 vcc_lo, 0, v119
	s_and_b32 s22, s21, vcc_lo
	s_and_saveexec_b32 s21, s22
	s_cbranch_execz .LBB1870_99
; %bb.98:                               ;   in Loop: Header=BB1870_69 Depth=2
	s_waitcnt lgkmcnt(0)
	v_bcnt_u32_b32 v22, v22, v117
	ds_write_b32 v120, v22 offset:1056
.LBB1870_99:                            ;   in Loop: Header=BB1870_69 Depth=2
	s_or_b32 exec_lo, exec_lo, s21
	v_cmp_lt_i16_e32 vcc_lo, -1, v24
	; wave barrier
	v_cndmask_b32_e64 v22, -1, 0xffff8000, vcc_lo
	v_xor_b32_e32 v118, v22, v24
	v_cmp_ne_u16_e32 vcc_lo, 0x7fff, v118
	v_cndmask_b32_e32 v22, 0xffff8000, v118, vcc_lo
	v_lshrrev_b32_sdwa v22, s29, v22 dst_sel:DWORD dst_unused:UNUSED_PAD src0_sel:DWORD src1_sel:WORD_0
	v_and_b32_e32 v24, s42, v22
	v_and_b32_e32 v22, 1, v24
	v_lshlrev_b32_e32 v25, 30, v24
	v_lshlrev_b32_e32 v26, 29, v24
	;; [unrolled: 1-line block ×4, first 2 shown]
	v_add_co_u32 v22, s21, v22, -1
	v_cndmask_b32_e64 v28, 0, 1, s21
	v_not_b32_e32 v124, v25
	v_cmp_gt_i32_e64 s21, 0, v25
	v_not_b32_e32 v25, v26
	v_lshlrev_b32_e32 v122, 26, v24
	v_cmp_ne_u32_e32 vcc_lo, 0, v28
	v_ashrrev_i32_e32 v124, 31, v124
	v_lshlrev_b32_e32 v123, 25, v24
	v_ashrrev_i32_e32 v25, 31, v25
	v_lshlrev_b32_e32 v28, 24, v24
	v_xor_b32_e32 v22, vcc_lo, v22
	v_cmp_gt_i32_e32 vcc_lo, 0, v26
	v_not_b32_e32 v26, v27
	v_xor_b32_e32 v124, s21, v124
	v_cmp_gt_i32_e64 s21, 0, v27
	v_and_b32_e32 v22, exec_lo, v22
	v_not_b32_e32 v27, v121
	v_ashrrev_i32_e32 v26, 31, v26
	v_xor_b32_e32 v25, vcc_lo, v25
	v_cmp_gt_i32_e32 vcc_lo, 0, v121
	v_and_b32_e32 v22, v22, v124
	v_not_b32_e32 v121, v122
	v_ashrrev_i32_e32 v27, 31, v27
	v_xor_b32_e32 v26, s21, v26
	v_cmp_gt_i32_e64 s21, 0, v122
	v_and_b32_e32 v22, v22, v25
	v_not_b32_e32 v25, v123
	v_ashrrev_i32_e32 v121, 31, v121
	v_xor_b32_e32 v27, vcc_lo, v27
	v_cmp_gt_i32_e32 vcc_lo, 0, v123
	v_and_b32_e32 v22, v22, v26
	v_not_b32_e32 v26, v28
	v_ashrrev_i32_e32 v25, 31, v25
	v_xor_b32_e32 v121, s21, v121
	v_cmp_gt_i32_e64 s21, 0, v28
	v_and_b32_e32 v22, v22, v27
	v_ashrrev_i32_e32 v26, 31, v26
	v_xor_b32_e32 v25, vcc_lo, v25
	v_mad_u32_u24 v27, v24, 36, v92
	v_mul_u32_u24_e32 v24, 36, v24
	v_and_b32_e32 v22, v22, v121
	v_xor_b32_e32 v26, s21, v26
	ds_read_b32 v121, v27 offset:1056
	v_add_nc_u32_e32 v124, v92, v24
	v_and_b32_e32 v22, v22, v25
	; wave barrier
	v_and_b32_e32 v22, v22, v26
	v_mbcnt_lo_u32_b32 v123, v22, 0
	v_cmp_ne_u32_e64 s21, 0, v22
	v_cmp_eq_u32_e32 vcc_lo, 0, v123
	s_and_b32 s22, s21, vcc_lo
	s_and_saveexec_b32 s21, s22
	s_cbranch_execz .LBB1870_101
; %bb.100:                              ;   in Loop: Header=BB1870_69 Depth=2
	s_waitcnt lgkmcnt(0)
	v_bcnt_u32_b32 v22, v22, v121
	ds_write_b32 v124, v22 offset:1056
.LBB1870_101:                           ;   in Loop: Header=BB1870_69 Depth=2
	s_or_b32 exec_lo, exec_lo, s21
	v_cmp_lt_i16_e32 vcc_lo, -1, v23
	; wave barrier
	v_cndmask_b32_e64 v22, -1, 0xffff8000, vcc_lo
	v_xor_b32_e32 v122, v22, v23
	v_cmp_ne_u16_e32 vcc_lo, 0x7fff, v122
	v_cndmask_b32_e32 v22, 0xffff8000, v122, vcc_lo
	v_lshrrev_b32_sdwa v22, s29, v22 dst_sel:DWORD dst_unused:UNUSED_PAD src0_sel:DWORD src1_sel:WORD_0
	v_and_b32_e32 v23, s42, v22
	v_and_b32_e32 v22, 1, v23
	v_lshlrev_b32_e32 v24, 30, v23
	v_lshlrev_b32_e32 v25, 29, v23
	;; [unrolled: 1-line block ×4, first 2 shown]
	v_add_co_u32 v22, s21, v22, -1
	v_cndmask_b32_e64 v27, 0, 1, s21
	v_not_b32_e32 v127, v24
	v_cmp_gt_i32_e64 s21, 0, v24
	v_not_b32_e32 v24, v25
	v_lshlrev_b32_e32 v125, 26, v23
	v_cmp_ne_u32_e32 vcc_lo, 0, v27
	v_ashrrev_i32_e32 v127, 31, v127
	v_lshlrev_b32_e32 v126, 25, v23
	v_ashrrev_i32_e32 v24, 31, v24
	v_lshlrev_b32_e32 v27, 24, v23
	v_xor_b32_e32 v22, vcc_lo, v22
	v_cmp_gt_i32_e32 vcc_lo, 0, v25
	v_not_b32_e32 v25, v26
	v_xor_b32_e32 v127, s21, v127
	v_cmp_gt_i32_e64 s21, 0, v26
	v_and_b32_e32 v22, exec_lo, v22
	v_not_b32_e32 v26, v28
	v_ashrrev_i32_e32 v25, 31, v25
	v_xor_b32_e32 v24, vcc_lo, v24
	v_cmp_gt_i32_e32 vcc_lo, 0, v28
	v_and_b32_e32 v22, v22, v127
	v_not_b32_e32 v28, v125
	v_ashrrev_i32_e32 v26, 31, v26
	v_xor_b32_e32 v25, s21, v25
	v_cmp_gt_i32_e64 s21, 0, v125
	v_and_b32_e32 v22, v22, v24
	v_not_b32_e32 v24, v126
	v_ashrrev_i32_e32 v28, 31, v28
	v_xor_b32_e32 v26, vcc_lo, v26
	v_cmp_gt_i32_e32 vcc_lo, 0, v126
	v_and_b32_e32 v22, v22, v25
	v_not_b32_e32 v25, v27
	v_ashrrev_i32_e32 v24, 31, v24
	v_xor_b32_e32 v28, s21, v28
	v_cmp_gt_i32_e64 s21, 0, v27
	v_and_b32_e32 v22, v22, v26
	v_ashrrev_i32_e32 v25, 31, v25
	v_xor_b32_e32 v24, vcc_lo, v24
	v_mad_u32_u24 v26, v23, 36, v92
	v_mul_u32_u24_e32 v23, 36, v23
	v_and_b32_e32 v22, v22, v28
	v_xor_b32_e32 v25, s21, v25
	ds_read_b32 v125, v26 offset:1056
	v_add_nc_u32_e32 v128, v92, v23
	v_and_b32_e32 v22, v22, v24
	; wave barrier
	v_and_b32_e32 v22, v22, v25
	v_mbcnt_lo_u32_b32 v127, v22, 0
	v_cmp_ne_u32_e64 s21, 0, v22
	v_cmp_eq_u32_e32 vcc_lo, 0, v127
	s_and_b32 s22, s21, vcc_lo
	s_and_saveexec_b32 s21, s22
	s_cbranch_execz .LBB1870_103
; %bb.102:                              ;   in Loop: Header=BB1870_69 Depth=2
	s_waitcnt lgkmcnt(0)
	v_bcnt_u32_b32 v22, v22, v125
	ds_write_b32 v128, v22 offset:1056
.LBB1870_103:                           ;   in Loop: Header=BB1870_69 Depth=2
	s_or_b32 exec_lo, exec_lo, s21
	v_cmp_lt_i16_e32 vcc_lo, -1, v21
	; wave barrier
	v_cndmask_b32_e64 v22, -1, 0xffff8000, vcc_lo
	v_xor_b32_e32 v126, v22, v21
	v_cmp_ne_u16_e32 vcc_lo, 0x7fff, v126
	v_cndmask_b32_e32 v21, 0xffff8000, v126, vcc_lo
	v_lshrrev_b32_sdwa v21, s29, v21 dst_sel:DWORD dst_unused:UNUSED_PAD src0_sel:DWORD src1_sel:WORD_0
	v_and_b32_e32 v22, s42, v21
	v_and_b32_e32 v21, 1, v22
	v_lshlrev_b32_e32 v23, 30, v22
	v_lshlrev_b32_e32 v24, 29, v22
	;; [unrolled: 1-line block ×4, first 2 shown]
	v_add_co_u32 v21, s21, v21, -1
	v_cndmask_b32_e64 v26, 0, 1, s21
	v_not_b32_e32 v130, v23
	v_cmp_gt_i32_e64 s21, 0, v23
	v_not_b32_e32 v23, v24
	v_lshlrev_b32_e32 v28, 26, v22
	v_cmp_ne_u32_e32 vcc_lo, 0, v26
	v_ashrrev_i32_e32 v130, 31, v130
	v_lshlrev_b32_e32 v129, 25, v22
	v_ashrrev_i32_e32 v23, 31, v23
	v_lshlrev_b32_e32 v26, 24, v22
	v_xor_b32_e32 v21, vcc_lo, v21
	v_cmp_gt_i32_e32 vcc_lo, 0, v24
	v_not_b32_e32 v24, v25
	v_xor_b32_e32 v130, s21, v130
	v_cmp_gt_i32_e64 s21, 0, v25
	v_and_b32_e32 v21, exec_lo, v21
	v_not_b32_e32 v25, v27
	v_ashrrev_i32_e32 v24, 31, v24
	v_xor_b32_e32 v23, vcc_lo, v23
	v_cmp_gt_i32_e32 vcc_lo, 0, v27
	v_and_b32_e32 v21, v21, v130
	v_not_b32_e32 v27, v28
	v_ashrrev_i32_e32 v25, 31, v25
	v_xor_b32_e32 v24, s21, v24
	v_cmp_gt_i32_e64 s21, 0, v28
	v_and_b32_e32 v21, v21, v23
	v_not_b32_e32 v23, v129
	v_ashrrev_i32_e32 v27, 31, v27
	v_xor_b32_e32 v25, vcc_lo, v25
	v_cmp_gt_i32_e32 vcc_lo, 0, v129
	v_and_b32_e32 v21, v21, v24
	v_not_b32_e32 v24, v26
	v_ashrrev_i32_e32 v23, 31, v23
	v_xor_b32_e32 v27, s21, v27
	v_cmp_gt_i32_e64 s21, 0, v26
	v_and_b32_e32 v21, v21, v25
	v_ashrrev_i32_e32 v24, 31, v24
	v_xor_b32_e32 v23, vcc_lo, v23
	v_mad_u32_u24 v25, v22, 36, v92
	v_mul_u32_u24_e32 v22, 36, v22
	v_and_b32_e32 v21, v21, v27
	v_xor_b32_e32 v24, s21, v24
	ds_read_b32 v129, v25 offset:1056
	v_add_nc_u32_e32 v131, v92, v22
	v_and_b32_e32 v21, v21, v23
	; wave barrier
	v_and_b32_e32 v21, v21, v24
	v_mbcnt_lo_u32_b32 v130, v21, 0
	v_cmp_ne_u32_e64 s21, 0, v21
	v_cmp_eq_u32_e32 vcc_lo, 0, v130
	s_and_b32 s22, s21, vcc_lo
	s_and_saveexec_b32 s21, s22
	s_cbranch_execz .LBB1870_105
; %bb.104:                              ;   in Loop: Header=BB1870_69 Depth=2
	s_waitcnt lgkmcnt(0)
	v_bcnt_u32_b32 v21, v21, v129
	ds_write_b32 v131, v21 offset:1056
.LBB1870_105:                           ;   in Loop: Header=BB1870_69 Depth=2
	s_or_b32 exec_lo, exec_lo, s21
	; wave barrier
	s_waitcnt lgkmcnt(0)
	s_barrier
	buffer_gl0_inv
	ds_read2_b32 v[27:28], v78 offset1:1
	ds_read2_b32 v[25:26], v88 offset1:1
	;; [unrolled: 1-line block ×4, first 2 shown]
	ds_read_b32 v132, v44 offset:1088
	s_waitcnt lgkmcnt(3)
	v_add3_u32 v133, v28, v27, v25
	s_waitcnt lgkmcnt(2)
	v_add3_u32 v133, v133, v26, v23
	;; [unrolled: 2-line block ×4, first 2 shown]
	v_mov_b32_dpp v133, v132 row_shr:1 row_mask:0xf bank_mask:0xf
	v_cndmask_b32_e64 v133, v133, 0, s5
	v_add_nc_u32_e32 v132, v133, v132
	v_mov_b32_dpp v133, v132 row_shr:2 row_mask:0xf bank_mask:0xf
	v_cndmask_b32_e64 v133, 0, v133, s14
	v_add_nc_u32_e32 v132, v132, v133
	;; [unrolled: 3-line block ×4, first 2 shown]
	ds_swizzle_b32 v133, v132 offset:swizzle(BROADCAST,32,15)
	s_waitcnt lgkmcnt(0)
	v_cndmask_b32_e64 v133, v133, 0, s17
	v_add_nc_u32_e32 v132, v132, v133
	s_and_saveexec_b32 s21, s9
; %bb.106:                              ;   in Loop: Header=BB1870_69 Depth=2
	ds_write_b32 v39, v132 offset:1024
; %bb.107:                              ;   in Loop: Header=BB1870_69 Depth=2
	s_or_b32 exec_lo, exec_lo, s21
	s_waitcnt lgkmcnt(0)
	s_barrier
	buffer_gl0_inv
	s_and_saveexec_b32 s21, s10
	s_cbranch_execz .LBB1870_109
; %bb.108:                              ;   in Loop: Header=BB1870_69 Depth=2
	ds_read_b32 v133, v46 offset:1024
	s_waitcnt lgkmcnt(0)
	v_mov_b32_dpp v134, v133 row_shr:1 row_mask:0xf bank_mask:0xf
	v_cndmask_b32_e64 v134, v134, 0, s18
	v_add_nc_u32_e32 v133, v134, v133
	v_mov_b32_dpp v134, v133 row_shr:2 row_mask:0xf bank_mask:0xf
	v_cndmask_b32_e64 v134, 0, v134, s19
	v_add_nc_u32_e32 v133, v133, v134
	;; [unrolled: 3-line block ×3, first 2 shown]
	ds_write_b32 v46, v133 offset:1024
.LBB1870_109:                           ;   in Loop: Header=BB1870_69 Depth=2
	s_or_b32 exec_lo, exec_lo, s21
	v_mov_b32_e32 v133, 0
	s_waitcnt lgkmcnt(0)
	s_barrier
	buffer_gl0_inv
	s_and_saveexec_b32 s21, s11
; %bb.110:                              ;   in Loop: Header=BB1870_69 Depth=2
	ds_read_b32 v133, v39 offset:1020
; %bb.111:                              ;   in Loop: Header=BB1870_69 Depth=2
	s_or_b32 exec_lo, exec_lo, s21
	s_waitcnt lgkmcnt(0)
	v_add_nc_u32_e32 v132, v133, v132
	ds_bpermute_b32 v132, v91, v132
	s_waitcnt lgkmcnt(0)
	v_cndmask_b32_e64 v132, v132, v133, s13
	v_cndmask_b32_e64 v132, v132, 0, s4
	v_add_nc_u32_e32 v27, v132, v27
	v_add_nc_u32_e32 v28, v27, v28
	;; [unrolled: 1-line block ×8, first 2 shown]
	ds_write2_b32 v78, v132, v27 offset1:1
	ds_write2_b32 v88, v28, v25 offset1:1
	;; [unrolled: 1-line block ×4, first 2 shown]
	ds_write_b32 v44, v22 offset:1088
	s_waitcnt lgkmcnt(0)
	s_barrier
	buffer_gl0_inv
	ds_read_b32 v24, v104 offset:1056
	ds_read_b32 v25, v108 offset:1056
	;; [unrolled: 1-line block ×9, first 2 shown]
	v_mov_b32_e32 v23, 0x800
	s_and_saveexec_b32 s21, s12
; %bb.112:                              ;   in Loop: Header=BB1870_69 Depth=2
	ds_read_b32 v23, v44 offset:1092
; %bb.113:                              ;   in Loop: Header=BB1870_69 Depth=2
	s_or_b32 exec_lo, exec_lo, s21
	s_waitcnt lgkmcnt(0)
	s_barrier
	buffer_gl0_inv
	s_and_saveexec_b32 s21, s8
	s_cbranch_execz .LBB1870_115
; %bb.114:                              ;   in Loop: Header=BB1870_69 Depth=2
	ds_read_b32 v108, v29
	s_waitcnt lgkmcnt(0)
	v_sub_nc_u32_e32 v104, v108, v104
	ds_write_b32 v29, v104
.LBB1870_115:                           ;   in Loop: Header=BB1870_69 Depth=2
	s_or_b32 exec_lo, exec_lo, s21
	v_add_nc_u32_e32 v108, v24, v102
	v_add3_u32 v104, v106, v105, v25
	v_add3_u32 v102, v111, v109, v26
	;; [unrolled: 1-line block ×4, first 2 shown]
	v_lshlrev_b32_e32 v105, 1, v108
	v_lshlrev_b32_e32 v106, 1, v104
	v_add3_u32 v27, v127, v125, v22
	v_lshlrev_b32_e32 v22, 1, v102
	v_add3_u32 v28, v130, v129, v21
	ds_write_b16 v105, v3 offset:1024
	ds_write_b16 v106, v103 offset:1024
	v_lshlrev_b32_e32 v3, 1, v26
	v_add3_u32 v24, v123, v121, v112
	ds_write_b16 v22, v107 offset:1024
	v_lshlrev_b32_e32 v21, 1, v25
	v_cmp_lt_u32_e32 vcc_lo, v0, v101
	ds_write_b16 v3, v110 offset:1024
	v_lshlrev_b32_e32 v3, 1, v28
	v_lshlrev_b32_e32 v22, 1, v24
	;; [unrolled: 1-line block ×3, first 2 shown]
	ds_write_b16 v21, v114 offset:1024
	ds_write_b16 v22, v118 offset:1024
	;; [unrolled: 1-line block ×4, first 2 shown]
	s_waitcnt lgkmcnt(0)
	s_barrier
	buffer_gl0_inv
	s_and_saveexec_b32 s22, vcc_lo
	s_cbranch_execnz .LBB1870_152
; %bb.116:                              ;   in Loop: Header=BB1870_69 Depth=2
	s_or_b32 exec_lo, exec_lo, s22
	v_cmp_lt_u32_e64 s21, v30, v101
	s_and_saveexec_b32 s23, s21
	s_cbranch_execnz .LBB1870_153
.LBB1870_117:                           ;   in Loop: Header=BB1870_69 Depth=2
	s_or_b32 exec_lo, exec_lo, s23
	v_cmp_lt_u32_e64 s22, v31, v101
	s_and_saveexec_b32 s24, s22
	s_cbranch_execnz .LBB1870_154
.LBB1870_118:                           ;   in Loop: Header=BB1870_69 Depth=2
	s_or_b32 exec_lo, exec_lo, s24
	v_cmp_lt_u32_e64 s23, v32, v101
	s_and_saveexec_b32 s25, s23
	s_cbranch_execnz .LBB1870_155
.LBB1870_119:                           ;   in Loop: Header=BB1870_69 Depth=2
	s_or_b32 exec_lo, exec_lo, s25
	v_cmp_lt_u32_e64 s24, v35, v101
	s_and_saveexec_b32 s26, s24
	s_cbranch_execnz .LBB1870_156
.LBB1870_120:                           ;   in Loop: Header=BB1870_69 Depth=2
	s_or_b32 exec_lo, exec_lo, s26
	v_cmp_lt_u32_e64 s25, v36, v101
	s_and_saveexec_b32 s27, s25
	s_cbranch_execnz .LBB1870_157
.LBB1870_121:                           ;   in Loop: Header=BB1870_69 Depth=2
	s_or_b32 exec_lo, exec_lo, s27
	v_cmp_lt_u32_e64 s26, v37, v101
	s_and_saveexec_b32 s28, s26
	s_cbranch_execnz .LBB1870_158
.LBB1870_122:                           ;   in Loop: Header=BB1870_69 Depth=2
	s_or_b32 exec_lo, exec_lo, s28
	v_cmp_lt_u32_e64 s27, v38, v101
	s_and_saveexec_b32 s54, s27
	s_cbranch_execz .LBB1870_124
.LBB1870_123:                           ;   in Loop: Header=BB1870_69 Depth=2
	ds_read_u16 v103, v47 offset:4608
	s_waitcnt lgkmcnt(0)
	v_cmp_ne_u16_e64 s28, 0x7fff, v103
	v_cndmask_b32_e64 v3, 0xffff8000, v103, s28
	v_cmp_lt_i16_e64 s28, -1, v103
	v_lshrrev_b32_sdwa v3, s29, v3 dst_sel:DWORD dst_unused:UNUSED_PAD src0_sel:DWORD src1_sel:WORD_0
	v_cndmask_b32_e64 v105, 0xffff8000, -1, s28
	v_and_b32_e32 v3, s42, v3
	v_lshlrev_b32_e32 v3, 2, v3
	ds_read_b32 v3, v3
	s_waitcnt lgkmcnt(0)
	v_add_nc_u32_e32 v3, v3, v38
	v_lshlrev_b64 v[21:22], 1, v[3:4]
	v_xor_b32_e32 v3, v105, v103
	v_add_co_u32 v21, s28, s38, v21
	v_add_co_ci_u32_e64 v22, null, s39, v22, s28
	global_store_short v[21:22], v3, off
.LBB1870_124:                           ;   in Loop: Header=BB1870_69 Depth=2
	s_or_b32 exec_lo, exec_lo, s54
	s_lshl_b64 s[54:55], s[34:35], 3
	v_add_co_u32 v21, s28, v83, s54
	v_add_co_ci_u32_e64 v22, null, s55, v84, s28
	v_cmp_lt_u32_e64 s28, v66, v101
	s_and_saveexec_b32 s34, s28
	s_xor_b32 s28, exec_lo, s34
	s_cbranch_execnz .LBB1870_159
; %bb.125:                              ;   in Loop: Header=BB1870_69 Depth=2
	s_or_b32 exec_lo, exec_lo, s28
	s_mov_b32 s34, exec_lo
	v_cmpx_lt_u32_e64 v70, v101
	s_cbranch_execnz .LBB1870_160
.LBB1870_126:                           ;   in Loop: Header=BB1870_69 Depth=2
	s_or_b32 exec_lo, exec_lo, s34
	s_mov_b32 s34, exec_lo
	v_cmpx_lt_u32_e64 v71, v101
	s_cbranch_execnz .LBB1870_161
.LBB1870_127:                           ;   in Loop: Header=BB1870_69 Depth=2
	s_or_b32 exec_lo, exec_lo, s34
	s_mov_b32 s34, exec_lo
	v_cmpx_lt_u32_e64 v72, v101
	s_cbranch_execnz .LBB1870_162
.LBB1870_128:                           ;   in Loop: Header=BB1870_69 Depth=2
	s_or_b32 exec_lo, exec_lo, s34
	s_mov_b32 s34, exec_lo
	v_cmpx_lt_u32_e64 v73, v101
	s_cbranch_execnz .LBB1870_163
.LBB1870_129:                           ;   in Loop: Header=BB1870_69 Depth=2
	s_or_b32 exec_lo, exec_lo, s34
	s_mov_b32 s34, exec_lo
	v_cmpx_lt_u32_e64 v74, v101
	s_cbranch_execnz .LBB1870_164
.LBB1870_130:                           ;   in Loop: Header=BB1870_69 Depth=2
	s_or_b32 exec_lo, exec_lo, s34
	s_mov_b32 s34, exec_lo
	v_cmpx_lt_u32_e64 v75, v101
	s_cbranch_execnz .LBB1870_165
.LBB1870_131:                           ;   in Loop: Header=BB1870_69 Depth=2
	s_or_b32 exec_lo, exec_lo, s34
	s_mov_b32 s34, exec_lo
	v_cmpx_lt_u32_e64 v76, v101
	s_cbranch_execnz .LBB1870_166
.LBB1870_132:                           ;   in Loop: Header=BB1870_69 Depth=2
	s_or_b32 exec_lo, exec_lo, s34
	s_and_saveexec_b32 s34, vcc_lo
	s_cbranch_execnz .LBB1870_167
.LBB1870_133:                           ;   in Loop: Header=BB1870_69 Depth=2
	s_or_b32 exec_lo, exec_lo, s34
	s_and_saveexec_b32 s34, s21
	s_cbranch_execnz .LBB1870_168
.LBB1870_134:                           ;   in Loop: Header=BB1870_69 Depth=2
	s_or_b32 exec_lo, exec_lo, s34
	s_and_saveexec_b32 s34, s22
	s_cbranch_execnz .LBB1870_169
.LBB1870_135:                           ;   in Loop: Header=BB1870_69 Depth=2
	s_or_b32 exec_lo, exec_lo, s34
	s_and_saveexec_b32 s34, s23
	s_cbranch_execnz .LBB1870_170
.LBB1870_136:                           ;   in Loop: Header=BB1870_69 Depth=2
	s_or_b32 exec_lo, exec_lo, s34
	s_and_saveexec_b32 s34, s24
	s_cbranch_execnz .LBB1870_171
.LBB1870_137:                           ;   in Loop: Header=BB1870_69 Depth=2
	s_or_b32 exec_lo, exec_lo, s34
	s_and_saveexec_b32 s34, s25
	s_cbranch_execnz .LBB1870_172
.LBB1870_138:                           ;   in Loop: Header=BB1870_69 Depth=2
	s_or_b32 exec_lo, exec_lo, s34
	s_and_saveexec_b32 s34, s26
	s_cbranch_execnz .LBB1870_173
.LBB1870_139:                           ;   in Loop: Header=BB1870_69 Depth=2
	s_or_b32 exec_lo, exec_lo, s34
	s_and_saveexec_b32 s34, s27
	s_cbranch_execz .LBB1870_141
.LBB1870_140:                           ;   in Loop: Header=BB1870_69 Depth=2
	ds_read_u16 v3, v47 offset:4608
	s_waitcnt lgkmcnt(0)
	v_cmp_ne_u16_e64 s28, 0x7fff, v3
	v_cndmask_b32_e64 v3, 0xffff8000, v3, s28
	v_lshrrev_b32_sdwa v3, s29, v3 dst_sel:DWORD dst_unused:UNUSED_PAD src0_sel:DWORD src1_sel:WORD_0
	v_and_b32_e32 v93, s42, v3
.LBB1870_141:                           ;   in Loop: Header=BB1870_69 Depth=2
	s_or_b32 exec_lo, exec_lo, s34
	v_lshlrev_b32_e32 v3, 3, v108
	v_lshlrev_b32_e32 v21, 3, v104
	;; [unrolled: 1-line block ×3, first 2 shown]
	s_waitcnt vmcnt(0)
	s_waitcnt_vscnt null, 0x0
	s_barrier
	buffer_gl0_inv
	ds_write_b64 v3, v[19:20] offset:1024
	ds_write_b64 v21, v[17:18] offset:1024
	ds_write_b64 v22, v[15:16] offset:1024
	v_lshlrev_b32_e32 v3, 3, v26
	v_lshlrev_b32_e32 v21, 3, v25
	;; [unrolled: 1-line block ×5, first 2 shown]
	ds_write_b64 v3, v[13:14] offset:1024
	ds_write_b64 v21, v[11:12] offset:1024
	ds_write_b64 v22, v[9:10] offset:1024
	ds_write_b64 v24, v[7:8] offset:1024
	ds_write_b64 v25, v[5:6] offset:1024
	s_waitcnt lgkmcnt(0)
	s_barrier
	buffer_gl0_inv
	s_and_saveexec_b32 s28, vcc_lo
	s_cbranch_execnz .LBB1870_174
; %bb.142:                              ;   in Loop: Header=BB1870_69 Depth=2
	s_or_b32 exec_lo, exec_lo, s28
	s_and_saveexec_b32 s28, s21
	s_cbranch_execnz .LBB1870_175
.LBB1870_143:                           ;   in Loop: Header=BB1870_69 Depth=2
	s_or_b32 exec_lo, exec_lo, s28
	s_and_saveexec_b32 s21, s22
	s_cbranch_execnz .LBB1870_176
.LBB1870_144:                           ;   in Loop: Header=BB1870_69 Depth=2
	s_or_b32 exec_lo, exec_lo, s21
	s_and_saveexec_b32 s21, s23
	s_cbranch_execnz .LBB1870_177
.LBB1870_145:                           ;   in Loop: Header=BB1870_69 Depth=2
	s_or_b32 exec_lo, exec_lo, s21
	s_and_saveexec_b32 s21, s24
	s_cbranch_execnz .LBB1870_178
.LBB1870_146:                           ;   in Loop: Header=BB1870_69 Depth=2
	s_or_b32 exec_lo, exec_lo, s21
	s_and_saveexec_b32 s21, s25
	s_cbranch_execnz .LBB1870_179
.LBB1870_147:                           ;   in Loop: Header=BB1870_69 Depth=2
	s_or_b32 exec_lo, exec_lo, s21
	s_and_saveexec_b32 s21, s26
	s_cbranch_execnz .LBB1870_180
.LBB1870_148:                           ;   in Loop: Header=BB1870_69 Depth=2
	s_or_b32 exec_lo, exec_lo, s21
	s_and_saveexec_b32 s21, s27
	s_cbranch_execz .LBB1870_150
.LBB1870_149:                           ;   in Loop: Header=BB1870_69 Depth=2
	v_lshlrev_b32_e32 v3, 2, v93
	v_add_nc_u32_e32 v21, v47, v48
	ds_read_b32 v3, v3
	ds_read_b64 v[21:22], v21 offset:15360
	s_waitcnt lgkmcnt(1)
	v_add_nc_u32_e32 v3, v3, v38
	v_lshlrev_b64 v[24:25], 3, v[3:4]
	v_add_co_u32 v24, vcc_lo, s44, v24
	v_add_co_ci_u32_e64 v25, null, s45, v25, vcc_lo
	s_waitcnt lgkmcnt(0)
	global_store_dwordx2 v[24:25], v[21:22], off
.LBB1870_150:                           ;   in Loop: Header=BB1870_69 Depth=2
	s_or_b32 exec_lo, exec_lo, s21
	s_waitcnt_vscnt null, 0x0
	s_barrier
	buffer_gl0_inv
	s_and_saveexec_b32 s21, s8
	s_cbranch_execz .LBB1870_68
; %bb.151:                              ;   in Loop: Header=BB1870_69 Depth=2
	ds_read_b32 v3, v29
	s_waitcnt lgkmcnt(0)
	v_add_nc_u32_e32 v3, v3, v23
	ds_write_b32 v29, v3
	s_branch .LBB1870_68
.LBB1870_152:                           ;   in Loop: Header=BB1870_69 Depth=2
	ds_read_u16 v103, v47 offset:1024
	s_waitcnt lgkmcnt(0)
	v_cmp_ne_u16_e64 s21, 0x7fff, v103
	v_cndmask_b32_e64 v3, 0xffff8000, v103, s21
	v_cmp_lt_i16_e64 s21, -1, v103
	v_lshrrev_b32_sdwa v3, s29, v3 dst_sel:DWORD dst_unused:UNUSED_PAD src0_sel:DWORD src1_sel:WORD_0
	v_cndmask_b32_e64 v105, 0xffff8000, -1, s21
	v_and_b32_e32 v3, s42, v3
	v_lshlrev_b32_e32 v3, 2, v3
	ds_read_b32 v3, v3
	s_waitcnt lgkmcnt(0)
	v_add_nc_u32_e32 v3, v3, v0
	v_lshlrev_b64 v[21:22], 1, v[3:4]
	v_xor_b32_e32 v3, v105, v103
	v_add_co_u32 v21, s21, s38, v21
	v_add_co_ci_u32_e64 v22, null, s39, v22, s21
	global_store_short v[21:22], v3, off
	s_or_b32 exec_lo, exec_lo, s22
	v_cmp_lt_u32_e64 s21, v30, v101
	s_and_saveexec_b32 s23, s21
	s_cbranch_execz .LBB1870_117
.LBB1870_153:                           ;   in Loop: Header=BB1870_69 Depth=2
	ds_read_u16 v103, v47 offset:1536
	s_waitcnt lgkmcnt(0)
	v_cmp_ne_u16_e64 s22, 0x7fff, v103
	v_cndmask_b32_e64 v3, 0xffff8000, v103, s22
	v_cmp_lt_i16_e64 s22, -1, v103
	v_lshrrev_b32_sdwa v3, s29, v3 dst_sel:DWORD dst_unused:UNUSED_PAD src0_sel:DWORD src1_sel:WORD_0
	v_cndmask_b32_e64 v105, 0xffff8000, -1, s22
	v_and_b32_e32 v3, s42, v3
	v_lshlrev_b32_e32 v3, 2, v3
	ds_read_b32 v3, v3
	s_waitcnt lgkmcnt(0)
	v_add_nc_u32_e32 v3, v3, v30
	v_lshlrev_b64 v[21:22], 1, v[3:4]
	v_xor_b32_e32 v3, v105, v103
	v_add_co_u32 v21, s22, s38, v21
	v_add_co_ci_u32_e64 v22, null, s39, v22, s22
	global_store_short v[21:22], v3, off
	s_or_b32 exec_lo, exec_lo, s23
	v_cmp_lt_u32_e64 s22, v31, v101
	s_and_saveexec_b32 s24, s22
	s_cbranch_execz .LBB1870_118
.LBB1870_154:                           ;   in Loop: Header=BB1870_69 Depth=2
	ds_read_u16 v103, v47 offset:2048
	s_waitcnt lgkmcnt(0)
	v_cmp_ne_u16_e64 s23, 0x7fff, v103
	v_cndmask_b32_e64 v3, 0xffff8000, v103, s23
	v_cmp_lt_i16_e64 s23, -1, v103
	v_lshrrev_b32_sdwa v3, s29, v3 dst_sel:DWORD dst_unused:UNUSED_PAD src0_sel:DWORD src1_sel:WORD_0
	v_cndmask_b32_e64 v105, 0xffff8000, -1, s23
	v_and_b32_e32 v3, s42, v3
	v_lshlrev_b32_e32 v3, 2, v3
	ds_read_b32 v3, v3
	s_waitcnt lgkmcnt(0)
	v_add_nc_u32_e32 v3, v3, v31
	v_lshlrev_b64 v[21:22], 1, v[3:4]
	v_xor_b32_e32 v3, v105, v103
	v_add_co_u32 v21, s23, s38, v21
	v_add_co_ci_u32_e64 v22, null, s39, v22, s23
	global_store_short v[21:22], v3, off
	s_or_b32 exec_lo, exec_lo, s24
	v_cmp_lt_u32_e64 s23, v32, v101
	s_and_saveexec_b32 s25, s23
	s_cbranch_execz .LBB1870_119
.LBB1870_155:                           ;   in Loop: Header=BB1870_69 Depth=2
	ds_read_u16 v103, v47 offset:2560
	s_waitcnt lgkmcnt(0)
	v_cmp_ne_u16_e64 s24, 0x7fff, v103
	v_cndmask_b32_e64 v3, 0xffff8000, v103, s24
	v_cmp_lt_i16_e64 s24, -1, v103
	v_lshrrev_b32_sdwa v3, s29, v3 dst_sel:DWORD dst_unused:UNUSED_PAD src0_sel:DWORD src1_sel:WORD_0
	v_cndmask_b32_e64 v105, 0xffff8000, -1, s24
	v_and_b32_e32 v3, s42, v3
	v_lshlrev_b32_e32 v3, 2, v3
	ds_read_b32 v3, v3
	s_waitcnt lgkmcnt(0)
	v_add_nc_u32_e32 v3, v3, v32
	v_lshlrev_b64 v[21:22], 1, v[3:4]
	v_xor_b32_e32 v3, v105, v103
	v_add_co_u32 v21, s24, s38, v21
	v_add_co_ci_u32_e64 v22, null, s39, v22, s24
	global_store_short v[21:22], v3, off
	s_or_b32 exec_lo, exec_lo, s25
	v_cmp_lt_u32_e64 s24, v35, v101
	s_and_saveexec_b32 s26, s24
	s_cbranch_execz .LBB1870_120
.LBB1870_156:                           ;   in Loop: Header=BB1870_69 Depth=2
	ds_read_u16 v103, v47 offset:3072
	s_waitcnt lgkmcnt(0)
	v_cmp_ne_u16_e64 s25, 0x7fff, v103
	v_cndmask_b32_e64 v3, 0xffff8000, v103, s25
	v_cmp_lt_i16_e64 s25, -1, v103
	v_lshrrev_b32_sdwa v3, s29, v3 dst_sel:DWORD dst_unused:UNUSED_PAD src0_sel:DWORD src1_sel:WORD_0
	v_cndmask_b32_e64 v105, 0xffff8000, -1, s25
	v_and_b32_e32 v3, s42, v3
	v_lshlrev_b32_e32 v3, 2, v3
	ds_read_b32 v3, v3
	s_waitcnt lgkmcnt(0)
	v_add_nc_u32_e32 v3, v3, v35
	v_lshlrev_b64 v[21:22], 1, v[3:4]
	v_xor_b32_e32 v3, v105, v103
	v_add_co_u32 v21, s25, s38, v21
	v_add_co_ci_u32_e64 v22, null, s39, v22, s25
	global_store_short v[21:22], v3, off
	s_or_b32 exec_lo, exec_lo, s26
	v_cmp_lt_u32_e64 s25, v36, v101
	s_and_saveexec_b32 s27, s25
	s_cbranch_execz .LBB1870_121
.LBB1870_157:                           ;   in Loop: Header=BB1870_69 Depth=2
	ds_read_u16 v103, v47 offset:3584
	s_waitcnt lgkmcnt(0)
	v_cmp_ne_u16_e64 s26, 0x7fff, v103
	v_cndmask_b32_e64 v3, 0xffff8000, v103, s26
	v_cmp_lt_i16_e64 s26, -1, v103
	v_lshrrev_b32_sdwa v3, s29, v3 dst_sel:DWORD dst_unused:UNUSED_PAD src0_sel:DWORD src1_sel:WORD_0
	v_cndmask_b32_e64 v105, 0xffff8000, -1, s26
	v_and_b32_e32 v3, s42, v3
	v_lshlrev_b32_e32 v3, 2, v3
	ds_read_b32 v3, v3
	s_waitcnt lgkmcnt(0)
	v_add_nc_u32_e32 v3, v3, v36
	v_lshlrev_b64 v[21:22], 1, v[3:4]
	v_xor_b32_e32 v3, v105, v103
	v_add_co_u32 v21, s26, s38, v21
	v_add_co_ci_u32_e64 v22, null, s39, v22, s26
	global_store_short v[21:22], v3, off
	s_or_b32 exec_lo, exec_lo, s27
	v_cmp_lt_u32_e64 s26, v37, v101
	s_and_saveexec_b32 s28, s26
	s_cbranch_execz .LBB1870_122
.LBB1870_158:                           ;   in Loop: Header=BB1870_69 Depth=2
	ds_read_u16 v103, v47 offset:4096
	s_waitcnt lgkmcnt(0)
	v_cmp_ne_u16_e64 s27, 0x7fff, v103
	v_cndmask_b32_e64 v3, 0xffff8000, v103, s27
	v_cmp_lt_i16_e64 s27, -1, v103
	v_lshrrev_b32_sdwa v3, s29, v3 dst_sel:DWORD dst_unused:UNUSED_PAD src0_sel:DWORD src1_sel:WORD_0
	v_cndmask_b32_e64 v105, 0xffff8000, -1, s27
	v_and_b32_e32 v3, s42, v3
	v_lshlrev_b32_e32 v3, 2, v3
	ds_read_b32 v3, v3
	s_waitcnt lgkmcnt(0)
	v_add_nc_u32_e32 v3, v3, v37
	v_lshlrev_b64 v[21:22], 1, v[3:4]
	v_xor_b32_e32 v3, v105, v103
	v_add_co_u32 v21, s27, s38, v21
	v_add_co_ci_u32_e64 v22, null, s39, v22, s27
	global_store_short v[21:22], v3, off
	s_or_b32 exec_lo, exec_lo, s28
	v_cmp_lt_u32_e64 s27, v38, v101
	s_and_saveexec_b32 s54, s27
	s_cbranch_execnz .LBB1870_123
	s_branch .LBB1870_124
.LBB1870_159:                           ;   in Loop: Header=BB1870_69 Depth=2
	global_load_dwordx2 v[19:20], v[21:22], off
	s_or_b32 exec_lo, exec_lo, s28
	s_mov_b32 s34, exec_lo
	v_cmpx_lt_u32_e64 v70, v101
	s_cbranch_execz .LBB1870_126
.LBB1870_160:                           ;   in Loop: Header=BB1870_69 Depth=2
	global_load_dwordx2 v[17:18], v[21:22], off offset:256
	s_or_b32 exec_lo, exec_lo, s34
	s_mov_b32 s34, exec_lo
	v_cmpx_lt_u32_e64 v71, v101
	s_cbranch_execz .LBB1870_127
.LBB1870_161:                           ;   in Loop: Header=BB1870_69 Depth=2
	global_load_dwordx2 v[15:16], v[21:22], off offset:512
	s_or_b32 exec_lo, exec_lo, s34
	s_mov_b32 s34, exec_lo
	v_cmpx_lt_u32_e64 v72, v101
	s_cbranch_execz .LBB1870_128
.LBB1870_162:                           ;   in Loop: Header=BB1870_69 Depth=2
	global_load_dwordx2 v[13:14], v[21:22], off offset:768
	s_or_b32 exec_lo, exec_lo, s34
	s_mov_b32 s34, exec_lo
	v_cmpx_lt_u32_e64 v73, v101
	s_cbranch_execz .LBB1870_129
.LBB1870_163:                           ;   in Loop: Header=BB1870_69 Depth=2
	global_load_dwordx2 v[11:12], v[21:22], off offset:1024
	s_or_b32 exec_lo, exec_lo, s34
	s_mov_b32 s34, exec_lo
	v_cmpx_lt_u32_e64 v74, v101
	s_cbranch_execz .LBB1870_130
.LBB1870_164:                           ;   in Loop: Header=BB1870_69 Depth=2
	global_load_dwordx2 v[9:10], v[21:22], off offset:1280
	s_or_b32 exec_lo, exec_lo, s34
	s_mov_b32 s34, exec_lo
	v_cmpx_lt_u32_e64 v75, v101
	s_cbranch_execz .LBB1870_131
.LBB1870_165:                           ;   in Loop: Header=BB1870_69 Depth=2
	global_load_dwordx2 v[7:8], v[21:22], off offset:1536
	s_or_b32 exec_lo, exec_lo, s34
	s_mov_b32 s34, exec_lo
	v_cmpx_lt_u32_e64 v76, v101
	s_cbranch_execz .LBB1870_132
.LBB1870_166:                           ;   in Loop: Header=BB1870_69 Depth=2
	global_load_dwordx2 v[5:6], v[21:22], off offset:1792
	s_or_b32 exec_lo, exec_lo, s34
	s_and_saveexec_b32 s34, vcc_lo
	s_cbranch_execz .LBB1870_133
.LBB1870_167:                           ;   in Loop: Header=BB1870_69 Depth=2
	ds_read_u16 v3, v47 offset:1024
	s_waitcnt lgkmcnt(0)
	v_cmp_ne_u16_e64 s28, 0x7fff, v3
	v_cndmask_b32_e64 v3, 0xffff8000, v3, s28
	v_lshrrev_b32_sdwa v3, s29, v3 dst_sel:DWORD dst_unused:UNUSED_PAD src0_sel:DWORD src1_sel:WORD_0
	v_and_b32_e32 v100, s42, v3
	s_or_b32 exec_lo, exec_lo, s34
	s_and_saveexec_b32 s34, s21
	s_cbranch_execz .LBB1870_134
.LBB1870_168:                           ;   in Loop: Header=BB1870_69 Depth=2
	ds_read_u16 v3, v47 offset:1536
	s_waitcnt lgkmcnt(0)
	v_cmp_ne_u16_e64 s28, 0x7fff, v3
	v_cndmask_b32_e64 v3, 0xffff8000, v3, s28
	v_lshrrev_b32_sdwa v3, s29, v3 dst_sel:DWORD dst_unused:UNUSED_PAD src0_sel:DWORD src1_sel:WORD_0
	v_and_b32_e32 v99, s42, v3
	s_or_b32 exec_lo, exec_lo, s34
	s_and_saveexec_b32 s34, s22
	s_cbranch_execz .LBB1870_135
.LBB1870_169:                           ;   in Loop: Header=BB1870_69 Depth=2
	ds_read_u16 v3, v47 offset:2048
	s_waitcnt lgkmcnt(0)
	v_cmp_ne_u16_e64 s28, 0x7fff, v3
	v_cndmask_b32_e64 v3, 0xffff8000, v3, s28
	v_lshrrev_b32_sdwa v3, s29, v3 dst_sel:DWORD dst_unused:UNUSED_PAD src0_sel:DWORD src1_sel:WORD_0
	v_and_b32_e32 v98, s42, v3
	s_or_b32 exec_lo, exec_lo, s34
	s_and_saveexec_b32 s34, s23
	s_cbranch_execz .LBB1870_136
.LBB1870_170:                           ;   in Loop: Header=BB1870_69 Depth=2
	ds_read_u16 v3, v47 offset:2560
	s_waitcnt lgkmcnt(0)
	v_cmp_ne_u16_e64 s28, 0x7fff, v3
	v_cndmask_b32_e64 v3, 0xffff8000, v3, s28
	v_lshrrev_b32_sdwa v3, s29, v3 dst_sel:DWORD dst_unused:UNUSED_PAD src0_sel:DWORD src1_sel:WORD_0
	v_and_b32_e32 v97, s42, v3
	s_or_b32 exec_lo, exec_lo, s34
	s_and_saveexec_b32 s34, s24
	s_cbranch_execz .LBB1870_137
.LBB1870_171:                           ;   in Loop: Header=BB1870_69 Depth=2
	ds_read_u16 v3, v47 offset:3072
	s_waitcnt lgkmcnt(0)
	v_cmp_ne_u16_e64 s28, 0x7fff, v3
	v_cndmask_b32_e64 v3, 0xffff8000, v3, s28
	v_lshrrev_b32_sdwa v3, s29, v3 dst_sel:DWORD dst_unused:UNUSED_PAD src0_sel:DWORD src1_sel:WORD_0
	v_and_b32_e32 v96, s42, v3
	s_or_b32 exec_lo, exec_lo, s34
	s_and_saveexec_b32 s34, s25
	s_cbranch_execz .LBB1870_138
.LBB1870_172:                           ;   in Loop: Header=BB1870_69 Depth=2
	ds_read_u16 v3, v47 offset:3584
	s_waitcnt lgkmcnt(0)
	v_cmp_ne_u16_e64 s28, 0x7fff, v3
	v_cndmask_b32_e64 v3, 0xffff8000, v3, s28
	v_lshrrev_b32_sdwa v3, s29, v3 dst_sel:DWORD dst_unused:UNUSED_PAD src0_sel:DWORD src1_sel:WORD_0
	v_and_b32_e32 v95, s42, v3
	s_or_b32 exec_lo, exec_lo, s34
	s_and_saveexec_b32 s34, s26
	s_cbranch_execz .LBB1870_139
.LBB1870_173:                           ;   in Loop: Header=BB1870_69 Depth=2
	ds_read_u16 v3, v47 offset:4096
	s_waitcnt lgkmcnt(0)
	v_cmp_ne_u16_e64 s28, 0x7fff, v3
	v_cndmask_b32_e64 v3, 0xffff8000, v3, s28
	v_lshrrev_b32_sdwa v3, s29, v3 dst_sel:DWORD dst_unused:UNUSED_PAD src0_sel:DWORD src1_sel:WORD_0
	v_and_b32_e32 v94, s42, v3
	s_or_b32 exec_lo, exec_lo, s34
	s_and_saveexec_b32 s34, s27
	s_cbranch_execnz .LBB1870_140
	s_branch .LBB1870_141
.LBB1870_174:                           ;   in Loop: Header=BB1870_69 Depth=2
	v_lshlrev_b32_e32 v3, 2, v100
	v_add_nc_u32_e32 v21, v47, v48
	ds_read_b32 v3, v3
	ds_read_b64 v[21:22], v21 offset:1024
	s_waitcnt lgkmcnt(1)
	v_add_nc_u32_e32 v3, v3, v0
	v_lshlrev_b64 v[24:25], 3, v[3:4]
	v_add_co_u32 v24, vcc_lo, s44, v24
	v_add_co_ci_u32_e64 v25, null, s45, v25, vcc_lo
	s_waitcnt lgkmcnt(0)
	global_store_dwordx2 v[24:25], v[21:22], off
	s_or_b32 exec_lo, exec_lo, s28
	s_and_saveexec_b32 s28, s21
	s_cbranch_execz .LBB1870_143
.LBB1870_175:                           ;   in Loop: Header=BB1870_69 Depth=2
	v_lshlrev_b32_e32 v3, 2, v99
	v_add_nc_u32_e32 v21, v47, v48
	ds_read_b32 v3, v3
	ds_read_b64 v[21:22], v21 offset:3072
	s_waitcnt lgkmcnt(1)
	v_add_nc_u32_e32 v3, v3, v30
	v_lshlrev_b64 v[24:25], 3, v[3:4]
	v_add_co_u32 v24, vcc_lo, s44, v24
	v_add_co_ci_u32_e64 v25, null, s45, v25, vcc_lo
	s_waitcnt lgkmcnt(0)
	global_store_dwordx2 v[24:25], v[21:22], off
	s_or_b32 exec_lo, exec_lo, s28
	s_and_saveexec_b32 s21, s22
	s_cbranch_execz .LBB1870_144
.LBB1870_176:                           ;   in Loop: Header=BB1870_69 Depth=2
	v_lshlrev_b32_e32 v3, 2, v98
	v_add_nc_u32_e32 v21, v47, v48
	ds_read_b32 v3, v3
	ds_read_b64 v[21:22], v21 offset:5120
	s_waitcnt lgkmcnt(1)
	v_add_nc_u32_e32 v3, v3, v31
	v_lshlrev_b64 v[24:25], 3, v[3:4]
	v_add_co_u32 v24, vcc_lo, s44, v24
	v_add_co_ci_u32_e64 v25, null, s45, v25, vcc_lo
	s_waitcnt lgkmcnt(0)
	global_store_dwordx2 v[24:25], v[21:22], off
	s_or_b32 exec_lo, exec_lo, s21
	s_and_saveexec_b32 s21, s23
	s_cbranch_execz .LBB1870_145
.LBB1870_177:                           ;   in Loop: Header=BB1870_69 Depth=2
	v_lshlrev_b32_e32 v3, 2, v97
	v_add_nc_u32_e32 v21, v47, v48
	ds_read_b32 v3, v3
	ds_read_b64 v[21:22], v21 offset:7168
	s_waitcnt lgkmcnt(1)
	v_add_nc_u32_e32 v3, v3, v32
	v_lshlrev_b64 v[24:25], 3, v[3:4]
	v_add_co_u32 v24, vcc_lo, s44, v24
	v_add_co_ci_u32_e64 v25, null, s45, v25, vcc_lo
	s_waitcnt lgkmcnt(0)
	global_store_dwordx2 v[24:25], v[21:22], off
	s_or_b32 exec_lo, exec_lo, s21
	s_and_saveexec_b32 s21, s24
	s_cbranch_execz .LBB1870_146
.LBB1870_178:                           ;   in Loop: Header=BB1870_69 Depth=2
	v_lshlrev_b32_e32 v3, 2, v96
	v_add_nc_u32_e32 v21, v47, v48
	ds_read_b32 v3, v3
	ds_read_b64 v[21:22], v21 offset:9216
	s_waitcnt lgkmcnt(1)
	v_add_nc_u32_e32 v3, v3, v35
	v_lshlrev_b64 v[24:25], 3, v[3:4]
	v_add_co_u32 v24, vcc_lo, s44, v24
	v_add_co_ci_u32_e64 v25, null, s45, v25, vcc_lo
	s_waitcnt lgkmcnt(0)
	global_store_dwordx2 v[24:25], v[21:22], off
	s_or_b32 exec_lo, exec_lo, s21
	s_and_saveexec_b32 s21, s25
	s_cbranch_execz .LBB1870_147
.LBB1870_179:                           ;   in Loop: Header=BB1870_69 Depth=2
	v_lshlrev_b32_e32 v3, 2, v95
	v_add_nc_u32_e32 v21, v47, v48
	ds_read_b32 v3, v3
	ds_read_b64 v[21:22], v21 offset:11264
	s_waitcnt lgkmcnt(1)
	v_add_nc_u32_e32 v3, v3, v36
	v_lshlrev_b64 v[24:25], 3, v[3:4]
	v_add_co_u32 v24, vcc_lo, s44, v24
	v_add_co_ci_u32_e64 v25, null, s45, v25, vcc_lo
	s_waitcnt lgkmcnt(0)
	global_store_dwordx2 v[24:25], v[21:22], off
	s_or_b32 exec_lo, exec_lo, s21
	s_and_saveexec_b32 s21, s26
	s_cbranch_execz .LBB1870_148
.LBB1870_180:                           ;   in Loop: Header=BB1870_69 Depth=2
	v_lshlrev_b32_e32 v3, 2, v94
	v_add_nc_u32_e32 v21, v47, v48
	ds_read_b32 v3, v3
	ds_read_b64 v[21:22], v21 offset:13312
	s_waitcnt lgkmcnt(1)
	v_add_nc_u32_e32 v3, v3, v37
	v_lshlrev_b64 v[24:25], 3, v[3:4]
	v_add_co_u32 v24, vcc_lo, s44, v24
	v_add_co_ci_u32_e64 v25, null, s45, v25, vcc_lo
	s_waitcnt lgkmcnt(0)
	global_store_dwordx2 v[24:25], v[21:22], off
	s_or_b32 exec_lo, exec_lo, s21
	s_and_saveexec_b32 s21, s27
	s_cbranch_execnz .LBB1870_149
	s_branch .LBB1870_150
.LBB1870_181:                           ;   in Loop: Header=BB1870_17 Depth=1
	s_waitcnt lgkmcnt(0)
	s_mov_b32 s5, 0
	s_barrier
.LBB1870_182:                           ;   in Loop: Header=BB1870_17 Depth=1
	s_and_b32 vcc_lo, exec_lo, s5
	s_cbranch_vccz .LBB1870_346
; %bb.183:                              ;   in Loop: Header=BB1870_17 Depth=1
	s_mov_b32 s5, s53
	s_mov_b32 s34, s33
	s_barrier
	buffer_gl0_inv
                                        ; implicit-def: $vgpr3
                                        ; implicit-def: $vgpr5
                                        ; implicit-def: $vgpr6
                                        ; implicit-def: $vgpr7
                                        ; implicit-def: $vgpr8
                                        ; implicit-def: $vgpr9
                                        ; implicit-def: $vgpr10
                                        ; implicit-def: $vgpr11
	s_branch .LBB1870_185
.LBB1870_184:                           ;   in Loop: Header=BB1870_185 Depth=2
	s_or_b32 exec_lo, exec_lo, s14
	s_addk_i32 s5, 0xf800
	s_cmp_ge_u32 s16, s52
	s_mov_b32 s34, s16
	s_cbranch_scc1 .LBB1870_221
.LBB1870_185:                           ;   Parent Loop BB1870_17 Depth=1
                                        ; =>  This Inner Loop Header: Depth=2
	s_add_i32 s16, s34, 0x800
	s_mov_b32 s14, -1
	s_cmp_gt_u32 s16, s52
                                        ; implicit-def: $vgpr12
                                        ; implicit-def: $vgpr13
                                        ; implicit-def: $vgpr14
                                        ; implicit-def: $vgpr15
                                        ; implicit-def: $vgpr16
                                        ; implicit-def: $vgpr17
                                        ; implicit-def: $vgpr18
                                        ; implicit-def: $vgpr19
	s_cbranch_scc1 .LBB1870_187
; %bb.186:                              ;   in Loop: Header=BB1870_185 Depth=2
	s_lshl_b64 s[14:15], s[34:35], 1
	v_add_co_u32 v15, vcc_lo, v49, s14
	v_add_co_ci_u32_e64 v16, null, s15, v50, vcc_lo
	s_mov_b32 s14, 0
	v_add_co_u32 v19, vcc_lo, 0x800, v15
	v_add_co_ci_u32_e64 v20, null, 0, v16, vcc_lo
	s_clause 0x7
	global_load_ushort v12, v[15:16], off
	global_load_ushort v13, v[15:16], off offset:512
	global_load_ushort v14, v[15:16], off offset:1024
	;; [unrolled: 1-line block ×3, first 2 shown]
	global_load_ushort v16, v[19:20], off
	global_load_ushort v17, v[19:20], off offset:512
	global_load_ushort v18, v[19:20], off offset:1024
	;; [unrolled: 1-line block ×3, first 2 shown]
.LBB1870_187:                           ;   in Loop: Header=BB1870_185 Depth=2
	s_andn2_b32 vcc_lo, exec_lo, s14
	s_movk_i32 s14, 0x800
	s_cbranch_vccnz .LBB1870_198
; %bb.188:                              ;   in Loop: Header=BB1870_185 Depth=2
	s_lshl_b64 s[14:15], s[34:35], 1
	s_mov_b32 s17, exec_lo
	s_add_u32 s14, s38, s14
	s_addc_u32 s15, s39, s15
	v_cmpx_gt_u32_e64 s5, v0
	s_cbranch_execnz .LBB1870_214
; %bb.189:                              ;   in Loop: Header=BB1870_185 Depth=2
	s_or_b32 exec_lo, exec_lo, s17
	s_mov_b32 s17, exec_lo
	v_cmpx_gt_u32_e64 s5, v30
	s_cbranch_execnz .LBB1870_215
.LBB1870_190:                           ;   in Loop: Header=BB1870_185 Depth=2
	s_or_b32 exec_lo, exec_lo, s17
	s_mov_b32 s17, exec_lo
	v_cmpx_gt_u32_e64 s5, v31
	s_cbranch_execnz .LBB1870_216
.LBB1870_191:                           ;   in Loop: Header=BB1870_185 Depth=2
	s_or_b32 exec_lo, exec_lo, s17
	s_mov_b32 s17, exec_lo
	v_cmpx_gt_u32_e64 s5, v32
	s_cbranch_execnz .LBB1870_217
.LBB1870_192:                           ;   in Loop: Header=BB1870_185 Depth=2
	s_or_b32 exec_lo, exec_lo, s17
	s_mov_b32 s17, exec_lo
	v_cmpx_gt_u32_e64 s5, v35
	s_cbranch_execnz .LBB1870_218
.LBB1870_193:                           ;   in Loop: Header=BB1870_185 Depth=2
	s_or_b32 exec_lo, exec_lo, s17
	s_mov_b32 s17, exec_lo
	v_cmpx_gt_u32_e64 s5, v36
	s_cbranch_execnz .LBB1870_219
.LBB1870_194:                           ;   in Loop: Header=BB1870_185 Depth=2
	s_or_b32 exec_lo, exec_lo, s17
	s_mov_b32 s17, exec_lo
	v_cmpx_gt_u32_e64 s5, v37
	s_cbranch_execnz .LBB1870_220
.LBB1870_195:                           ;   in Loop: Header=BB1870_185 Depth=2
	s_or_b32 exec_lo, exec_lo, s17
	s_mov_b32 s17, exec_lo
	v_cmpx_gt_u32_e64 s5, v38
	s_cbranch_execz .LBB1870_197
.LBB1870_196:                           ;   in Loop: Header=BB1870_185 Depth=2
	global_load_ushort v3, v87, s[14:15]
.LBB1870_197:                           ;   in Loop: Header=BB1870_185 Depth=2
	s_or_b32 exec_lo, exec_lo, s17
	s_waitcnt vmcnt(0)
	v_mov_b32_e32 v12, v11
	v_mov_b32_e32 v13, v10
	;; [unrolled: 1-line block ×8, first 2 shown]
	s_mov_b32 s14, s5
.LBB1870_198:                           ;   in Loop: Header=BB1870_185 Depth=2
	s_waitcnt vmcnt(0)
	v_mov_b32_e32 v3, v19
	v_mov_b32_e32 v5, v18
	;; [unrolled: 1-line block ×8, first 2 shown]
	s_mov_b32 s15, exec_lo
	v_cmpx_gt_u32_e64 s14, v0
	s_cbranch_execnz .LBB1870_206
; %bb.199:                              ;   in Loop: Header=BB1870_185 Depth=2
	s_or_b32 exec_lo, exec_lo, s15
	s_mov_b32 s15, exec_lo
	v_cmpx_gt_u32_e64 s14, v30
	s_cbranch_execnz .LBB1870_207
.LBB1870_200:                           ;   in Loop: Header=BB1870_185 Depth=2
	s_or_b32 exec_lo, exec_lo, s15
	s_mov_b32 s15, exec_lo
	v_cmpx_gt_u32_e64 s14, v31
	s_cbranch_execnz .LBB1870_208
.LBB1870_201:                           ;   in Loop: Header=BB1870_185 Depth=2
	s_or_b32 exec_lo, exec_lo, s15
	s_mov_b32 s15, exec_lo
	v_cmpx_gt_u32_e64 s14, v32
	s_cbranch_execnz .LBB1870_209
.LBB1870_202:                           ;   in Loop: Header=BB1870_185 Depth=2
	s_or_b32 exec_lo, exec_lo, s15
	s_mov_b32 s15, exec_lo
	v_cmpx_gt_u32_e64 s14, v35
	s_cbranch_execnz .LBB1870_210
.LBB1870_203:                           ;   in Loop: Header=BB1870_185 Depth=2
	s_or_b32 exec_lo, exec_lo, s15
	s_mov_b32 s15, exec_lo
	v_cmpx_gt_u32_e64 s14, v36
	s_cbranch_execnz .LBB1870_211
.LBB1870_204:                           ;   in Loop: Header=BB1870_185 Depth=2
	s_or_b32 exec_lo, exec_lo, s15
	s_mov_b32 s15, exec_lo
	v_cmpx_gt_u32_e64 s14, v37
	s_cbranch_execnz .LBB1870_212
.LBB1870_205:                           ;   in Loop: Header=BB1870_185 Depth=2
	s_or_b32 exec_lo, exec_lo, s15
	v_cmp_gt_u32_e32 vcc_lo, s14, v38
	s_and_saveexec_b32 s14, vcc_lo
	s_cbranch_execz .LBB1870_184
	s_branch .LBB1870_213
.LBB1870_206:                           ;   in Loop: Header=BB1870_185 Depth=2
	v_cmp_lt_i16_e32 vcc_lo, -1, v11
	v_cndmask_b32_e64 v12, -1, 0xffff8000, vcc_lo
	v_xor_b32_e32 v12, v12, v11
	v_cmp_ne_u16_e32 vcc_lo, 0x7fff, v12
	v_cndmask_b32_e32 v12, 0xffff8000, v12, vcc_lo
	v_lshrrev_b32_sdwa v12, s29, v12 dst_sel:DWORD dst_unused:UNUSED_PAD src0_sel:DWORD src1_sel:WORD_0
	v_and_b32_e32 v12, s42, v12
	v_lshl_or_b32 v12, v12, 4, v40
	ds_add_u32 v12, v62
	s_or_b32 exec_lo, exec_lo, s15
	s_mov_b32 s15, exec_lo
	v_cmpx_gt_u32_e64 s14, v30
	s_cbranch_execz .LBB1870_200
.LBB1870_207:                           ;   in Loop: Header=BB1870_185 Depth=2
	v_cmp_lt_i16_e32 vcc_lo, -1, v10
	v_cndmask_b32_e64 v12, -1, 0xffff8000, vcc_lo
	v_xor_b32_e32 v12, v12, v10
	v_cmp_ne_u16_e32 vcc_lo, 0x7fff, v12
	v_cndmask_b32_e32 v12, 0xffff8000, v12, vcc_lo
	v_lshrrev_b32_sdwa v12, s29, v12 dst_sel:DWORD dst_unused:UNUSED_PAD src0_sel:DWORD src1_sel:WORD_0
	v_and_b32_e32 v12, s42, v12
	v_lshl_or_b32 v12, v12, 4, v40
	ds_add_u32 v12, v62
	s_or_b32 exec_lo, exec_lo, s15
	s_mov_b32 s15, exec_lo
	v_cmpx_gt_u32_e64 s14, v31
	s_cbranch_execz .LBB1870_201
.LBB1870_208:                           ;   in Loop: Header=BB1870_185 Depth=2
	v_cmp_lt_i16_e32 vcc_lo, -1, v9
	v_cndmask_b32_e64 v12, -1, 0xffff8000, vcc_lo
	v_xor_b32_e32 v12, v12, v9
	v_cmp_ne_u16_e32 vcc_lo, 0x7fff, v12
	v_cndmask_b32_e32 v12, 0xffff8000, v12, vcc_lo
	v_lshrrev_b32_sdwa v12, s29, v12 dst_sel:DWORD dst_unused:UNUSED_PAD src0_sel:DWORD src1_sel:WORD_0
	v_and_b32_e32 v12, s42, v12
	v_lshl_or_b32 v12, v12, 4, v40
	ds_add_u32 v12, v62
	s_or_b32 exec_lo, exec_lo, s15
	s_mov_b32 s15, exec_lo
	v_cmpx_gt_u32_e64 s14, v32
	s_cbranch_execz .LBB1870_202
.LBB1870_209:                           ;   in Loop: Header=BB1870_185 Depth=2
	v_cmp_lt_i16_e32 vcc_lo, -1, v8
	v_cndmask_b32_e64 v12, -1, 0xffff8000, vcc_lo
	v_xor_b32_e32 v12, v12, v8
	v_cmp_ne_u16_e32 vcc_lo, 0x7fff, v12
	v_cndmask_b32_e32 v12, 0xffff8000, v12, vcc_lo
	v_lshrrev_b32_sdwa v12, s29, v12 dst_sel:DWORD dst_unused:UNUSED_PAD src0_sel:DWORD src1_sel:WORD_0
	v_and_b32_e32 v12, s42, v12
	v_lshl_or_b32 v12, v12, 4, v40
	ds_add_u32 v12, v62
	s_or_b32 exec_lo, exec_lo, s15
	s_mov_b32 s15, exec_lo
	v_cmpx_gt_u32_e64 s14, v35
	s_cbranch_execz .LBB1870_203
.LBB1870_210:                           ;   in Loop: Header=BB1870_185 Depth=2
	v_cmp_lt_i16_e32 vcc_lo, -1, v7
	v_cndmask_b32_e64 v12, -1, 0xffff8000, vcc_lo
	v_xor_b32_e32 v12, v12, v7
	v_cmp_ne_u16_e32 vcc_lo, 0x7fff, v12
	v_cndmask_b32_e32 v12, 0xffff8000, v12, vcc_lo
	v_lshrrev_b32_sdwa v12, s29, v12 dst_sel:DWORD dst_unused:UNUSED_PAD src0_sel:DWORD src1_sel:WORD_0
	v_and_b32_e32 v12, s42, v12
	v_lshl_or_b32 v12, v12, 4, v40
	ds_add_u32 v12, v62
	s_or_b32 exec_lo, exec_lo, s15
	s_mov_b32 s15, exec_lo
	v_cmpx_gt_u32_e64 s14, v36
	s_cbranch_execz .LBB1870_204
.LBB1870_211:                           ;   in Loop: Header=BB1870_185 Depth=2
	v_cmp_lt_i16_e32 vcc_lo, -1, v6
	v_cndmask_b32_e64 v12, -1, 0xffff8000, vcc_lo
	v_xor_b32_e32 v12, v12, v6
	v_cmp_ne_u16_e32 vcc_lo, 0x7fff, v12
	v_cndmask_b32_e32 v12, 0xffff8000, v12, vcc_lo
	v_lshrrev_b32_sdwa v12, s29, v12 dst_sel:DWORD dst_unused:UNUSED_PAD src0_sel:DWORD src1_sel:WORD_0
	v_and_b32_e32 v12, s42, v12
	v_lshl_or_b32 v12, v12, 4, v40
	ds_add_u32 v12, v62
	s_or_b32 exec_lo, exec_lo, s15
	s_mov_b32 s15, exec_lo
	v_cmpx_gt_u32_e64 s14, v37
	s_cbranch_execz .LBB1870_205
.LBB1870_212:                           ;   in Loop: Header=BB1870_185 Depth=2
	v_cmp_lt_i16_e32 vcc_lo, -1, v5
	v_cndmask_b32_e64 v12, -1, 0xffff8000, vcc_lo
	v_xor_b32_e32 v12, v12, v5
	v_cmp_ne_u16_e32 vcc_lo, 0x7fff, v12
	v_cndmask_b32_e32 v12, 0xffff8000, v12, vcc_lo
	v_lshrrev_b32_sdwa v12, s29, v12 dst_sel:DWORD dst_unused:UNUSED_PAD src0_sel:DWORD src1_sel:WORD_0
	v_and_b32_e32 v12, s42, v12
	v_lshl_or_b32 v12, v12, 4, v40
	ds_add_u32 v12, v62
	s_or_b32 exec_lo, exec_lo, s15
	v_cmp_gt_u32_e32 vcc_lo, s14, v38
	s_and_saveexec_b32 s14, vcc_lo
	s_cbranch_execz .LBB1870_184
.LBB1870_213:                           ;   in Loop: Header=BB1870_185 Depth=2
	v_cmp_lt_i16_e32 vcc_lo, -1, v3
	v_cndmask_b32_e64 v12, -1, 0xffff8000, vcc_lo
	v_xor_b32_e32 v12, v12, v3
	v_cmp_ne_u16_e32 vcc_lo, 0x7fff, v12
	v_cndmask_b32_e32 v12, 0xffff8000, v12, vcc_lo
	v_lshrrev_b32_sdwa v12, s29, v12 dst_sel:DWORD dst_unused:UNUSED_PAD src0_sel:DWORD src1_sel:WORD_0
	v_and_b32_e32 v12, s42, v12
	v_lshl_or_b32 v12, v12, 4, v40
	ds_add_u32 v12, v62
	s_branch .LBB1870_184
.LBB1870_214:                           ;   in Loop: Header=BB1870_185 Depth=2
	global_load_ushort v11, v79, s[14:15]
	s_or_b32 exec_lo, exec_lo, s17
	s_mov_b32 s17, exec_lo
	v_cmpx_gt_u32_e64 s5, v30
	s_cbranch_execz .LBB1870_190
.LBB1870_215:                           ;   in Loop: Header=BB1870_185 Depth=2
	global_load_ushort v10, v79, s[14:15] offset:512
	s_or_b32 exec_lo, exec_lo, s17
	s_mov_b32 s17, exec_lo
	v_cmpx_gt_u32_e64 s5, v31
	s_cbranch_execz .LBB1870_191
.LBB1870_216:                           ;   in Loop: Header=BB1870_185 Depth=2
	global_load_ushort v9, v79, s[14:15] offset:1024
	s_or_b32 exec_lo, exec_lo, s17
	s_mov_b32 s17, exec_lo
	v_cmpx_gt_u32_e64 s5, v32
	s_cbranch_execz .LBB1870_192
.LBB1870_217:                           ;   in Loop: Header=BB1870_185 Depth=2
	global_load_ushort v8, v79, s[14:15] offset:1536
	s_or_b32 exec_lo, exec_lo, s17
	s_mov_b32 s17, exec_lo
	v_cmpx_gt_u32_e64 s5, v35
	s_cbranch_execz .LBB1870_193
.LBB1870_218:                           ;   in Loop: Header=BB1870_185 Depth=2
	global_load_ushort v7, v80, s[14:15]
	s_or_b32 exec_lo, exec_lo, s17
	s_mov_b32 s17, exec_lo
	v_cmpx_gt_u32_e64 s5, v36
	s_cbranch_execz .LBB1870_194
.LBB1870_219:                           ;   in Loop: Header=BB1870_185 Depth=2
	global_load_ushort v6, v81, s[14:15]
	s_or_b32 exec_lo, exec_lo, s17
	s_mov_b32 s17, exec_lo
	v_cmpx_gt_u32_e64 s5, v37
	s_cbranch_execz .LBB1870_195
.LBB1870_220:                           ;   in Loop: Header=BB1870_185 Depth=2
	global_load_ushort v5, v82, s[14:15]
	s_or_b32 exec_lo, exec_lo, s17
	s_mov_b32 s17, exec_lo
	v_cmpx_gt_u32_e64 s5, v38
	s_cbranch_execnz .LBB1870_196
	s_branch .LBB1870_197
.LBB1870_221:                           ;   in Loop: Header=BB1870_17 Depth=1
	v_mov_b32_e32 v3, 0
	s_waitcnt lgkmcnt(0)
	s_barrier
	buffer_gl0_inv
	s_and_saveexec_b32 s5, s8
	s_cbranch_execz .LBB1870_223
; %bb.222:                              ;   in Loop: Header=BB1870_17 Depth=1
	ds_read2_b64 v[5:8], v41 offset1:1
	s_waitcnt lgkmcnt(0)
	v_add_nc_u32_e32 v3, v6, v5
	v_add3_u32 v3, v3, v7, v8
.LBB1870_223:                           ;   in Loop: Header=BB1870_17 Depth=1
	s_or_b32 exec_lo, exec_lo, s5
	v_mov_b32_dpp v5, v3 row_shr:1 row_mask:0xf bank_mask:0xf
	v_cmp_eq_u32_e64 s5, 0, v63
	v_cmp_lt_u32_e64 s14, 1, v63
	v_cmp_lt_u32_e64 s15, 3, v63
	;; [unrolled: 1-line block ×3, first 2 shown]
	v_cmp_eq_u32_e64 s17, 0, v65
	v_cndmask_b32_e64 v5, v5, 0, s5
	v_add_nc_u32_e32 v3, v5, v3
	v_mov_b32_dpp v5, v3 row_shr:2 row_mask:0xf bank_mask:0xf
	v_cndmask_b32_e64 v5, 0, v5, s14
	v_add_nc_u32_e32 v3, v3, v5
	v_mov_b32_dpp v5, v3 row_shr:4 row_mask:0xf bank_mask:0xf
	;; [unrolled: 3-line block ×3, first 2 shown]
	v_cndmask_b32_e64 v5, 0, v5, s16
	v_add_nc_u32_e32 v3, v3, v5
	ds_swizzle_b32 v5, v3 offset:swizzle(BROADCAST,32,15)
	s_waitcnt lgkmcnt(0)
	v_and_b32_e32 v5, v64, v5
	v_add_nc_u32_e32 v3, v3, v5
	s_and_saveexec_b32 s18, s9
; %bb.224:                              ;   in Loop: Header=BB1870_17 Depth=1
	ds_write_b32 v42, v3
; %bb.225:                              ;   in Loop: Header=BB1870_17 Depth=1
	s_or_b32 exec_lo, exec_lo, s18
	s_waitcnt lgkmcnt(0)
	s_barrier
	buffer_gl0_inv
	s_and_saveexec_b32 s18, s10
	s_cbranch_execz .LBB1870_227
; %bb.226:                              ;   in Loop: Header=BB1870_17 Depth=1
	ds_read_b32 v5, v43
	v_cmp_ne_u32_e32 vcc_lo, 0, v67
	s_waitcnt lgkmcnt(0)
	v_mov_b32_dpp v6, v5 row_shr:1 row_mask:0xf bank_mask:0xf
	v_cndmask_b32_e32 v6, 0, v6, vcc_lo
	v_cmp_lt_u32_e32 vcc_lo, 1, v67
	v_add_nc_u32_e32 v5, v6, v5
	v_mov_b32_dpp v6, v5 row_shr:2 row_mask:0xf bank_mask:0xf
	v_cndmask_b32_e32 v6, 0, v6, vcc_lo
	v_cmp_lt_u32_e32 vcc_lo, 3, v67
	v_add_nc_u32_e32 v5, v5, v6
	v_mov_b32_dpp v6, v5 row_shr:4 row_mask:0xf bank_mask:0xf
	v_cndmask_b32_e32 v6, 0, v6, vcc_lo
	v_add_nc_u32_e32 v5, v5, v6
	ds_write_b32 v43, v5
.LBB1870_227:                           ;   in Loop: Header=BB1870_17 Depth=1
	s_or_b32 exec_lo, exec_lo, s18
	v_mov_b32_e32 v5, 0
	s_waitcnt lgkmcnt(0)
	s_barrier
	buffer_gl0_inv
	s_and_saveexec_b32 s18, s11
; %bb.228:                              ;   in Loop: Header=BB1870_17 Depth=1
	ds_read_b32 v5, v45
; %bb.229:                              ;   in Loop: Header=BB1870_17 Depth=1
	s_or_b32 exec_lo, exec_lo, s18
	v_cmp_gt_i32_e32 vcc_lo, 0, v68
	s_waitcnt lgkmcnt(0)
	v_add_nc_u32_e32 v3, v5, v3
	s_barrier
	buffer_gl0_inv
	v_cndmask_b32_e32 v6, v68, v59, vcc_lo
	v_lshlrev_b32_e32 v91, 2, v6
	ds_bpermute_b32 v3, v91, v3
	s_and_saveexec_b32 s18, s8
	s_cbranch_execz .LBB1870_231
; %bb.230:                              ;   in Loop: Header=BB1870_17 Depth=1
	s_waitcnt lgkmcnt(0)
	v_cndmask_b32_e64 v3, v3, v5, s13
	v_add_nc_u32_e32 v3, s33, v3
	ds_write_b32 v29, v3
.LBB1870_231:                           ;   in Loop: Header=BB1870_17 Depth=1
	s_or_b32 exec_lo, exec_lo, s18
	s_load_dwordx2 s[18:19], s[30:31], 0x0
	v_add_co_u32 v92, vcc_lo, v51, v69
	v_add_co_ci_u32_e64 v93, null, 0, v52, vcc_lo
	v_add_co_u32 v94, vcc_lo, v53, v77
	v_add_co_ci_u32_e64 v95, null, 0, v54, vcc_lo
	s_mov_b32 s43, s53
	s_mov_b32 s34, s33
                                        ; implicit-def: $vgpr7_vgpr8
                                        ; implicit-def: $vgpr9_vgpr10
                                        ; implicit-def: $vgpr11_vgpr12
                                        ; implicit-def: $vgpr13_vgpr14
                                        ; implicit-def: $vgpr15_vgpr16
                                        ; implicit-def: $vgpr17_vgpr18
                                        ; implicit-def: $vgpr19_vgpr20
                                        ; implicit-def: $vgpr97
                                        ; implicit-def: $vgpr98
                                        ; implicit-def: $vgpr99
                                        ; implicit-def: $vgpr100
                                        ; implicit-def: $vgpr101
                                        ; implicit-def: $vgpr102
                                        ; implicit-def: $vgpr103
                                        ; implicit-def: $vgpr104
	s_waitcnt lgkmcnt(0)
	s_cmp_lt_u32 s7, s19
	s_cselect_b32 s19, 14, 20
	s_add_u32 s20, s30, s19
	s_addc_u32 s21, s31, 0
	s_cmp_lt_u32 s6, s18
	global_load_ushort v3, v4, s[20:21]
	s_cselect_b32 s18, 12, 18
	s_add_u32 s18, s30, s18
	s_addc_u32 s19, s31, 0
	global_load_ushort v5, v4, s[18:19]
	v_cmp_eq_u32_e64 s18, 0, v67
	v_cmp_lt_u32_e64 s19, 1, v67
	v_cmp_lt_u32_e64 s20, 3, v67
	s_waitcnt vmcnt(1)
	v_mad_u32_u24 v3, v2, v3, v1
	s_waitcnt vmcnt(0)
	v_mad_u64_u32 v[5:6], null, v3, v5, v[0:1]
	v_lshrrev_b32_e32 v3, 3, v5
                                        ; implicit-def: $vgpr5_vgpr6
	v_and_b32_e32 v96, 0x1ffffffc, v3
	s_branch .LBB1870_233
.LBB1870_232:                           ;   in Loop: Header=BB1870_233 Depth=2
	s_or_b32 exec_lo, exec_lo, s21
	s_addk_i32 s43, 0xf800
	s_cmp_lt_u32 s48, s52
	s_mov_b32 s34, s48
	s_cbranch_scc0 .LBB1870_345
.LBB1870_233:                           ;   Parent Loop BB1870_17 Depth=1
                                        ; =>  This Inner Loop Header: Depth=2
	s_add_i32 s48, s34, 0x800
	s_cmp_gt_u32 s48, s52
	s_cbranch_scc1 .LBB1870_235
; %bb.234:                              ;   in Loop: Header=BB1870_233 Depth=2
	s_lshl_b64 s[22:23], s[34:35], 1
	s_mov_b32 s21, -1
	v_add_co_u32 v21, vcc_lo, v94, s22
	v_add_co_ci_u32_e64 v22, null, s23, v95, vcc_lo
	s_clause 0x6
	global_load_ushort v3, v[21:22], off
	global_load_ushort v28, v[21:22], off offset:64
	global_load_ushort v27, v[21:22], off offset:128
	;; [unrolled: 1-line block ×6, first 2 shown]
	s_movk_i32 s22, 0x800
	s_cbranch_execz .LBB1870_236
	s_branch .LBB1870_251
.LBB1870_235:                           ;   in Loop: Header=BB1870_233 Depth=2
	s_mov_b32 s21, 0
                                        ; implicit-def: $vgpr3
                                        ; implicit-def: $vgpr28
                                        ; implicit-def: $vgpr27
                                        ; implicit-def: $vgpr26
                                        ; implicit-def: $vgpr25
                                        ; implicit-def: $vgpr24
                                        ; implicit-def: $vgpr23
	s_movk_i32 s22, 0x800
.LBB1870_236:                           ;   in Loop: Header=BB1870_233 Depth=2
	s_lshl_b64 s[22:23], s[34:35], 1
	s_waitcnt vmcnt(5)
	v_mov_b32_e32 v28, 0x7fff
	v_add_co_u32 v21, vcc_lo, v94, s22
	v_add_co_ci_u32_e64 v22, null, s23, v95, vcc_lo
	v_mov_b32_e32 v3, 0x7fff
	s_mov_b32 s21, exec_lo
	v_cmpx_gt_u32_e64 s43, v66
	s_cbranch_execz .LBB1870_238
; %bb.237:                              ;   in Loop: Header=BB1870_233 Depth=2
	global_load_ushort v3, v[21:22], off
.LBB1870_238:                           ;   in Loop: Header=BB1870_233 Depth=2
	s_or_b32 exec_lo, exec_lo, s21
	s_mov_b32 s21, exec_lo
	v_cmpx_gt_u32_e64 s43, v70
	s_cbranch_execz .LBB1870_240
; %bb.239:                              ;   in Loop: Header=BB1870_233 Depth=2
	global_load_ushort v28, v[21:22], off offset:64
.LBB1870_240:                           ;   in Loop: Header=BB1870_233 Depth=2
	s_or_b32 exec_lo, exec_lo, s21
	s_waitcnt vmcnt(3)
	v_mov_b32_e32 v26, 0x7fff
	v_mov_b32_e32 v27, 0x7fff
	s_mov_b32 s21, exec_lo
	v_cmpx_gt_u32_e64 s43, v71
	s_cbranch_execz .LBB1870_242
; %bb.241:                              ;   in Loop: Header=BB1870_233 Depth=2
	global_load_ushort v27, v[21:22], off offset:128
.LBB1870_242:                           ;   in Loop: Header=BB1870_233 Depth=2
	s_or_b32 exec_lo, exec_lo, s21
	s_mov_b32 s21, exec_lo
	v_cmpx_gt_u32_e64 s43, v72
	s_cbranch_execz .LBB1870_244
; %bb.243:                              ;   in Loop: Header=BB1870_233 Depth=2
	global_load_ushort v26, v[21:22], off offset:192
.LBB1870_244:                           ;   in Loop: Header=BB1870_233 Depth=2
	s_or_b32 exec_lo, exec_lo, s21
	s_waitcnt vmcnt(1)
	v_mov_b32_e32 v24, 0x7fff
	v_mov_b32_e32 v25, 0x7fff
	s_mov_b32 s21, exec_lo
	v_cmpx_gt_u32_e64 s43, v73
	s_cbranch_execz .LBB1870_246
; %bb.245:                              ;   in Loop: Header=BB1870_233 Depth=2
	global_load_ushort v25, v[21:22], off offset:256
.LBB1870_246:                           ;   in Loop: Header=BB1870_233 Depth=2
	s_or_b32 exec_lo, exec_lo, s21
	s_mov_b32 s21, exec_lo
	v_cmpx_gt_u32_e64 s43, v74
	s_cbranch_execz .LBB1870_248
; %bb.247:                              ;   in Loop: Header=BB1870_233 Depth=2
	global_load_ushort v24, v[21:22], off offset:320
.LBB1870_248:                           ;   in Loop: Header=BB1870_233 Depth=2
	s_or_b32 exec_lo, exec_lo, s21
	s_waitcnt vmcnt(0)
	v_mov_b32_e32 v23, 0x7fff
	s_mov_b32 s21, exec_lo
	v_cmpx_gt_u32_e64 s43, v75
	s_cbranch_execz .LBB1870_250
; %bb.249:                              ;   in Loop: Header=BB1870_233 Depth=2
	global_load_ushort v23, v[21:22], off offset:384
.LBB1870_250:                           ;   in Loop: Header=BB1870_233 Depth=2
	s_or_b32 exec_lo, exec_lo, s21
	v_cmp_gt_u32_e64 s21, s43, v76
	s_sub_i32 s22, s52, s34
.LBB1870_251:                           ;   in Loop: Header=BB1870_233 Depth=2
	v_mov_b32_e32 v21, 0x7fff
	v_mov_b32_e32 v105, s43
	s_and_saveexec_b32 s23, s21
	s_cbranch_execz .LBB1870_253
; %bb.252:                              ;   in Loop: Header=BB1870_233 Depth=2
	s_lshl_b64 s[24:25], s[34:35], 1
	v_mov_b32_e32 v105, s22
	v_add_co_u32 v21, vcc_lo, v94, s24
	v_add_co_ci_u32_e64 v22, null, s25, v95, vcc_lo
	global_load_ushort v21, v[21:22], off offset:448
.LBB1870_253:                           ;   in Loop: Header=BB1870_233 Depth=2
	s_or_b32 exec_lo, exec_lo, s23
	s_waitcnt vmcnt(6)
	v_cmp_lt_i16_e32 vcc_lo, -1, v3
	ds_write2_b32 v78, v4, v4 offset1:1
	ds_write2_b32 v88, v4, v4 offset1:1
	;; [unrolled: 1-line block ×4, first 2 shown]
	ds_write_b32 v44, v4 offset:1088
	s_waitcnt vmcnt(0) lgkmcnt(0)
	s_barrier
	v_cndmask_b32_e64 v22, -1, 0xffff8000, vcc_lo
	buffer_gl0_inv
	; wave barrier
	v_xor_b32_e32 v3, v22, v3
	v_cmp_ne_u16_e32 vcc_lo, 0x7fff, v3
	v_cndmask_b32_e32 v22, 0xffff8000, v3, vcc_lo
	v_lshrrev_b32_sdwa v22, s29, v22 dst_sel:DWORD dst_unused:UNUSED_PAD src0_sel:DWORD src1_sel:WORD_0
	v_and_b32_e32 v107, s42, v22
	v_and_b32_e32 v22, 1, v107
	v_lshlrev_b32_e32 v106, 30, v107
	v_lshlrev_b32_e32 v108, 29, v107
	;; [unrolled: 1-line block ×4, first 2 shown]
	v_add_co_u32 v22, s21, v22, -1
	v_cndmask_b32_e64 v110, 0, 1, s21
	v_not_b32_e32 v114, v106
	v_cmp_gt_i32_e64 s21, 0, v106
	v_not_b32_e32 v106, v108
	v_lshlrev_b32_e32 v112, 26, v107
	v_cmp_ne_u32_e32 vcc_lo, 0, v110
	v_ashrrev_i32_e32 v114, 31, v114
	v_lshlrev_b32_e32 v113, 25, v107
	v_ashrrev_i32_e32 v106, 31, v106
	v_lshlrev_b32_e32 v110, 24, v107
	v_xor_b32_e32 v22, vcc_lo, v22
	v_cmp_gt_i32_e32 vcc_lo, 0, v108
	v_not_b32_e32 v108, v109
	v_xor_b32_e32 v114, s21, v114
	v_cmp_gt_i32_e64 s21, 0, v109
	v_and_b32_e32 v22, exec_lo, v22
	v_not_b32_e32 v109, v111
	v_ashrrev_i32_e32 v108, 31, v108
	v_xor_b32_e32 v106, vcc_lo, v106
	v_cmp_gt_i32_e32 vcc_lo, 0, v111
	v_and_b32_e32 v22, v22, v114
	v_not_b32_e32 v111, v112
	v_ashrrev_i32_e32 v109, 31, v109
	v_xor_b32_e32 v108, s21, v108
	v_cmp_gt_i32_e64 s21, 0, v112
	v_and_b32_e32 v22, v22, v106
	v_not_b32_e32 v106, v113
	v_ashrrev_i32_e32 v111, 31, v111
	v_xor_b32_e32 v109, vcc_lo, v109
	v_cmp_gt_i32_e32 vcc_lo, 0, v113
	v_and_b32_e32 v22, v22, v108
	v_not_b32_e32 v108, v110
	v_ashrrev_i32_e32 v106, 31, v106
	v_xor_b32_e32 v111, s21, v111
	v_cmp_gt_i32_e64 s21, 0, v110
	v_and_b32_e32 v22, v22, v109
	v_ashrrev_i32_e32 v108, 31, v108
	v_xor_b32_e32 v106, vcc_lo, v106
	v_mul_u32_u24_e32 v107, 36, v107
	v_and_b32_e32 v22, v22, v111
	v_xor_b32_e32 v108, s21, v108
	v_and_b32_e32 v22, v22, v106
	v_and_b32_e32 v22, v22, v108
	v_add_nc_u32_e32 v108, v96, v107
	v_mbcnt_lo_u32_b32 v106, v22, 0
	v_cmp_ne_u32_e64 s21, 0, v22
	v_cmp_eq_u32_e32 vcc_lo, 0, v106
	s_and_b32 s22, s21, vcc_lo
	s_and_saveexec_b32 s21, s22
; %bb.254:                              ;   in Loop: Header=BB1870_233 Depth=2
	v_bcnt_u32_b32 v22, v22, 0
	ds_write_b32 v108, v22 offset:1056
; %bb.255:                              ;   in Loop: Header=BB1870_233 Depth=2
	s_or_b32 exec_lo, exec_lo, s21
	v_cmp_lt_i16_e32 vcc_lo, -1, v28
	; wave barrier
	v_cndmask_b32_e64 v22, -1, 0xffff8000, vcc_lo
	v_xor_b32_e32 v107, v22, v28
	v_cmp_ne_u16_e32 vcc_lo, 0x7fff, v107
	v_cndmask_b32_e32 v22, 0xffff8000, v107, vcc_lo
	v_lshrrev_b32_sdwa v22, s29, v22 dst_sel:DWORD dst_unused:UNUSED_PAD src0_sel:DWORD src1_sel:WORD_0
	v_and_b32_e32 v28, s42, v22
	v_and_b32_e32 v22, 1, v28
	v_lshlrev_b32_e32 v109, 30, v28
	v_lshlrev_b32_e32 v110, 29, v28
	;; [unrolled: 1-line block ×4, first 2 shown]
	v_add_co_u32 v22, s21, v22, -1
	v_cndmask_b32_e64 v112, 0, 1, s21
	v_not_b32_e32 v116, v109
	v_cmp_gt_i32_e64 s21, 0, v109
	v_not_b32_e32 v109, v110
	v_lshlrev_b32_e32 v114, 26, v28
	v_cmp_ne_u32_e32 vcc_lo, 0, v112
	v_ashrrev_i32_e32 v116, 31, v116
	v_lshlrev_b32_e32 v115, 25, v28
	v_ashrrev_i32_e32 v109, 31, v109
	v_lshlrev_b32_e32 v112, 24, v28
	v_xor_b32_e32 v22, vcc_lo, v22
	v_cmp_gt_i32_e32 vcc_lo, 0, v110
	v_not_b32_e32 v110, v111
	v_xor_b32_e32 v116, s21, v116
	v_cmp_gt_i32_e64 s21, 0, v111
	v_and_b32_e32 v22, exec_lo, v22
	v_not_b32_e32 v111, v113
	v_ashrrev_i32_e32 v110, 31, v110
	v_xor_b32_e32 v109, vcc_lo, v109
	v_cmp_gt_i32_e32 vcc_lo, 0, v113
	v_and_b32_e32 v22, v22, v116
	v_not_b32_e32 v113, v114
	v_ashrrev_i32_e32 v111, 31, v111
	v_xor_b32_e32 v110, s21, v110
	v_cmp_gt_i32_e64 s21, 0, v114
	v_and_b32_e32 v22, v22, v109
	v_not_b32_e32 v109, v115
	v_ashrrev_i32_e32 v113, 31, v113
	v_xor_b32_e32 v111, vcc_lo, v111
	v_cmp_gt_i32_e32 vcc_lo, 0, v115
	v_and_b32_e32 v22, v22, v110
	v_not_b32_e32 v110, v112
	v_ashrrev_i32_e32 v109, 31, v109
	v_xor_b32_e32 v113, s21, v113
	v_cmp_gt_i32_e64 s21, 0, v112
	v_and_b32_e32 v22, v22, v111
	v_ashrrev_i32_e32 v110, 31, v110
	v_xor_b32_e32 v109, vcc_lo, v109
	v_mad_u32_u24 v111, v28, 36, v96
	v_mul_u32_u24_e32 v28, 36, v28
	v_and_b32_e32 v22, v22, v113
	v_xor_b32_e32 v110, s21, v110
	v_add_nc_u32_e32 v112, v96, v28
	v_and_b32_e32 v22, v22, v109
	ds_read_b32 v109, v111 offset:1056
	; wave barrier
	v_and_b32_e32 v22, v22, v110
	v_mbcnt_lo_u32_b32 v110, v22, 0
	v_cmp_ne_u32_e64 s21, 0, v22
	v_cmp_eq_u32_e32 vcc_lo, 0, v110
	s_and_b32 s22, s21, vcc_lo
	s_and_saveexec_b32 s21, s22
	s_cbranch_execz .LBB1870_257
; %bb.256:                              ;   in Loop: Header=BB1870_233 Depth=2
	s_waitcnt lgkmcnt(0)
	v_bcnt_u32_b32 v22, v22, v109
	ds_write_b32 v112, v22 offset:1056
.LBB1870_257:                           ;   in Loop: Header=BB1870_233 Depth=2
	s_or_b32 exec_lo, exec_lo, s21
	v_cmp_lt_i16_e32 vcc_lo, -1, v27
	; wave barrier
	v_cndmask_b32_e64 v22, -1, 0xffff8000, vcc_lo
	v_xor_b32_e32 v111, v22, v27
	v_cmp_ne_u16_e32 vcc_lo, 0x7fff, v111
	v_cndmask_b32_e32 v22, 0xffff8000, v111, vcc_lo
	v_lshrrev_b32_sdwa v22, s29, v22 dst_sel:DWORD dst_unused:UNUSED_PAD src0_sel:DWORD src1_sel:WORD_0
	v_and_b32_e32 v27, s42, v22
	v_and_b32_e32 v22, 1, v27
	v_lshlrev_b32_e32 v28, 30, v27
	v_lshlrev_b32_e32 v113, 29, v27
	;; [unrolled: 1-line block ×4, first 2 shown]
	v_add_co_u32 v22, s21, v22, -1
	v_cndmask_b32_e64 v115, 0, 1, s21
	v_not_b32_e32 v119, v28
	v_cmp_gt_i32_e64 s21, 0, v28
	v_not_b32_e32 v28, v113
	v_lshlrev_b32_e32 v117, 26, v27
	v_cmp_ne_u32_e32 vcc_lo, 0, v115
	v_ashrrev_i32_e32 v119, 31, v119
	v_lshlrev_b32_e32 v118, 25, v27
	v_ashrrev_i32_e32 v28, 31, v28
	v_lshlrev_b32_e32 v115, 24, v27
	v_xor_b32_e32 v22, vcc_lo, v22
	v_cmp_gt_i32_e32 vcc_lo, 0, v113
	v_not_b32_e32 v113, v114
	v_xor_b32_e32 v119, s21, v119
	v_cmp_gt_i32_e64 s21, 0, v114
	v_and_b32_e32 v22, exec_lo, v22
	v_not_b32_e32 v114, v116
	v_ashrrev_i32_e32 v113, 31, v113
	v_xor_b32_e32 v28, vcc_lo, v28
	v_cmp_gt_i32_e32 vcc_lo, 0, v116
	v_and_b32_e32 v22, v22, v119
	v_not_b32_e32 v116, v117
	v_ashrrev_i32_e32 v114, 31, v114
	v_xor_b32_e32 v113, s21, v113
	v_cmp_gt_i32_e64 s21, 0, v117
	v_and_b32_e32 v22, v22, v28
	v_not_b32_e32 v28, v118
	v_ashrrev_i32_e32 v116, 31, v116
	v_xor_b32_e32 v114, vcc_lo, v114
	v_cmp_gt_i32_e32 vcc_lo, 0, v118
	v_and_b32_e32 v22, v22, v113
	v_not_b32_e32 v113, v115
	v_ashrrev_i32_e32 v28, 31, v28
	v_xor_b32_e32 v116, s21, v116
	v_cmp_gt_i32_e64 s21, 0, v115
	v_and_b32_e32 v22, v22, v114
	v_ashrrev_i32_e32 v113, 31, v113
	v_xor_b32_e32 v28, vcc_lo, v28
	v_mad_u32_u24 v114, v27, 36, v96
	v_mul_u32_u24_e32 v27, 36, v27
	v_and_b32_e32 v22, v22, v116
	v_xor_b32_e32 v115, s21, v113
	ds_read_b32 v113, v114 offset:1056
	v_add_nc_u32_e32 v116, v96, v27
	v_and_b32_e32 v22, v22, v28
	; wave barrier
	v_and_b32_e32 v22, v22, v115
	v_mbcnt_lo_u32_b32 v115, v22, 0
	v_cmp_ne_u32_e64 s21, 0, v22
	v_cmp_eq_u32_e32 vcc_lo, 0, v115
	s_and_b32 s22, s21, vcc_lo
	s_and_saveexec_b32 s21, s22
	s_cbranch_execz .LBB1870_259
; %bb.258:                              ;   in Loop: Header=BB1870_233 Depth=2
	s_waitcnt lgkmcnt(0)
	v_bcnt_u32_b32 v22, v22, v113
	ds_write_b32 v116, v22 offset:1056
.LBB1870_259:                           ;   in Loop: Header=BB1870_233 Depth=2
	s_or_b32 exec_lo, exec_lo, s21
	v_cmp_lt_i16_e32 vcc_lo, -1, v26
	; wave barrier
	v_cndmask_b32_e64 v22, -1, 0xffff8000, vcc_lo
	v_xor_b32_e32 v114, v22, v26
	v_cmp_ne_u16_e32 vcc_lo, 0x7fff, v114
	v_cndmask_b32_e32 v22, 0xffff8000, v114, vcc_lo
	v_lshrrev_b32_sdwa v22, s29, v22 dst_sel:DWORD dst_unused:UNUSED_PAD src0_sel:DWORD src1_sel:WORD_0
	v_and_b32_e32 v26, s42, v22
	v_and_b32_e32 v22, 1, v26
	v_lshlrev_b32_e32 v27, 30, v26
	v_lshlrev_b32_e32 v28, 29, v26
	;; [unrolled: 1-line block ×4, first 2 shown]
	v_add_co_u32 v22, s21, v22, -1
	v_cndmask_b32_e64 v118, 0, 1, s21
	v_not_b32_e32 v122, v27
	v_cmp_gt_i32_e64 s21, 0, v27
	v_not_b32_e32 v27, v28
	v_lshlrev_b32_e32 v120, 26, v26
	v_cmp_ne_u32_e32 vcc_lo, 0, v118
	v_ashrrev_i32_e32 v122, 31, v122
	v_lshlrev_b32_e32 v121, 25, v26
	v_ashrrev_i32_e32 v27, 31, v27
	v_lshlrev_b32_e32 v118, 24, v26
	v_xor_b32_e32 v22, vcc_lo, v22
	v_cmp_gt_i32_e32 vcc_lo, 0, v28
	v_not_b32_e32 v28, v117
	v_xor_b32_e32 v122, s21, v122
	v_cmp_gt_i32_e64 s21, 0, v117
	v_and_b32_e32 v22, exec_lo, v22
	v_not_b32_e32 v117, v119
	v_ashrrev_i32_e32 v28, 31, v28
	v_xor_b32_e32 v27, vcc_lo, v27
	v_cmp_gt_i32_e32 vcc_lo, 0, v119
	v_and_b32_e32 v22, v22, v122
	v_not_b32_e32 v119, v120
	v_ashrrev_i32_e32 v117, 31, v117
	v_xor_b32_e32 v28, s21, v28
	v_cmp_gt_i32_e64 s21, 0, v120
	v_and_b32_e32 v22, v22, v27
	v_not_b32_e32 v27, v121
	v_ashrrev_i32_e32 v119, 31, v119
	v_xor_b32_e32 v117, vcc_lo, v117
	v_cmp_gt_i32_e32 vcc_lo, 0, v121
	v_and_b32_e32 v22, v22, v28
	v_not_b32_e32 v28, v118
	v_ashrrev_i32_e32 v27, 31, v27
	v_xor_b32_e32 v119, s21, v119
	v_cmp_gt_i32_e64 s21, 0, v118
	v_and_b32_e32 v22, v22, v117
	v_ashrrev_i32_e32 v28, 31, v28
	v_xor_b32_e32 v27, vcc_lo, v27
	v_mad_u32_u24 v117, v26, 36, v96
	v_mul_u32_u24_e32 v26, 36, v26
	v_and_b32_e32 v22, v22, v119
	v_xor_b32_e32 v28, s21, v28
	ds_read_b32 v117, v117 offset:1056
	v_add_nc_u32_e32 v120, v96, v26
	v_and_b32_e32 v22, v22, v27
	; wave barrier
	v_and_b32_e32 v22, v22, v28
	v_mbcnt_lo_u32_b32 v119, v22, 0
	v_cmp_ne_u32_e64 s21, 0, v22
	v_cmp_eq_u32_e32 vcc_lo, 0, v119
	s_and_b32 s22, s21, vcc_lo
	s_and_saveexec_b32 s21, s22
	s_cbranch_execz .LBB1870_261
; %bb.260:                              ;   in Loop: Header=BB1870_233 Depth=2
	s_waitcnt lgkmcnt(0)
	v_bcnt_u32_b32 v22, v22, v117
	ds_write_b32 v120, v22 offset:1056
.LBB1870_261:                           ;   in Loop: Header=BB1870_233 Depth=2
	s_or_b32 exec_lo, exec_lo, s21
	v_cmp_lt_i16_e32 vcc_lo, -1, v25
	; wave barrier
	v_cndmask_b32_e64 v22, -1, 0xffff8000, vcc_lo
	v_xor_b32_e32 v118, v22, v25
	v_cmp_ne_u16_e32 vcc_lo, 0x7fff, v118
	v_cndmask_b32_e32 v22, 0xffff8000, v118, vcc_lo
	v_lshrrev_b32_sdwa v22, s29, v22 dst_sel:DWORD dst_unused:UNUSED_PAD src0_sel:DWORD src1_sel:WORD_0
	v_and_b32_e32 v25, s42, v22
	v_and_b32_e32 v22, 1, v25
	v_lshlrev_b32_e32 v26, 30, v25
	v_lshlrev_b32_e32 v27, 29, v25
	;; [unrolled: 1-line block ×4, first 2 shown]
	v_add_co_u32 v22, s21, v22, -1
	v_cndmask_b32_e64 v121, 0, 1, s21
	v_not_b32_e32 v125, v26
	v_cmp_gt_i32_e64 s21, 0, v26
	v_not_b32_e32 v26, v27
	v_lshlrev_b32_e32 v123, 26, v25
	v_cmp_ne_u32_e32 vcc_lo, 0, v121
	v_ashrrev_i32_e32 v125, 31, v125
	v_lshlrev_b32_e32 v124, 25, v25
	v_ashrrev_i32_e32 v26, 31, v26
	v_lshlrev_b32_e32 v121, 24, v25
	v_xor_b32_e32 v22, vcc_lo, v22
	v_cmp_gt_i32_e32 vcc_lo, 0, v27
	v_not_b32_e32 v27, v28
	v_xor_b32_e32 v125, s21, v125
	v_cmp_gt_i32_e64 s21, 0, v28
	v_and_b32_e32 v22, exec_lo, v22
	v_not_b32_e32 v28, v122
	v_ashrrev_i32_e32 v27, 31, v27
	v_xor_b32_e32 v26, vcc_lo, v26
	v_cmp_gt_i32_e32 vcc_lo, 0, v122
	v_and_b32_e32 v22, v22, v125
	v_not_b32_e32 v122, v123
	v_ashrrev_i32_e32 v28, 31, v28
	v_xor_b32_e32 v27, s21, v27
	v_cmp_gt_i32_e64 s21, 0, v123
	v_and_b32_e32 v22, v22, v26
	v_not_b32_e32 v26, v124
	v_ashrrev_i32_e32 v122, 31, v122
	v_xor_b32_e32 v28, vcc_lo, v28
	v_cmp_gt_i32_e32 vcc_lo, 0, v124
	v_and_b32_e32 v22, v22, v27
	v_not_b32_e32 v27, v121
	v_ashrrev_i32_e32 v26, 31, v26
	v_xor_b32_e32 v122, s21, v122
	v_cmp_gt_i32_e64 s21, 0, v121
	v_and_b32_e32 v22, v22, v28
	v_ashrrev_i32_e32 v27, 31, v27
	v_xor_b32_e32 v26, vcc_lo, v26
	v_mad_u32_u24 v28, v25, 36, v96
	v_mul_u32_u24_e32 v25, 36, v25
	v_and_b32_e32 v22, v22, v122
	v_xor_b32_e32 v27, s21, v27
	ds_read_b32 v121, v28 offset:1056
	v_add_nc_u32_e32 v124, v96, v25
	v_and_b32_e32 v22, v22, v26
	; wave barrier
	v_and_b32_e32 v22, v22, v27
	v_mbcnt_lo_u32_b32 v123, v22, 0
	v_cmp_ne_u32_e64 s21, 0, v22
	v_cmp_eq_u32_e32 vcc_lo, 0, v123
	s_and_b32 s22, s21, vcc_lo
	s_and_saveexec_b32 s21, s22
	s_cbranch_execz .LBB1870_263
; %bb.262:                              ;   in Loop: Header=BB1870_233 Depth=2
	s_waitcnt lgkmcnt(0)
	v_bcnt_u32_b32 v22, v22, v121
	ds_write_b32 v124, v22 offset:1056
.LBB1870_263:                           ;   in Loop: Header=BB1870_233 Depth=2
	s_or_b32 exec_lo, exec_lo, s21
	v_cmp_lt_i16_e32 vcc_lo, -1, v24
	; wave barrier
	v_cndmask_b32_e64 v22, -1, 0xffff8000, vcc_lo
	v_xor_b32_e32 v122, v22, v24
	v_cmp_ne_u16_e32 vcc_lo, 0x7fff, v122
	v_cndmask_b32_e32 v22, 0xffff8000, v122, vcc_lo
	v_lshrrev_b32_sdwa v22, s29, v22 dst_sel:DWORD dst_unused:UNUSED_PAD src0_sel:DWORD src1_sel:WORD_0
	v_and_b32_e32 v24, s42, v22
	v_and_b32_e32 v22, 1, v24
	v_lshlrev_b32_e32 v25, 30, v24
	v_lshlrev_b32_e32 v26, 29, v24
	;; [unrolled: 1-line block ×4, first 2 shown]
	v_add_co_u32 v22, s21, v22, -1
	v_cndmask_b32_e64 v28, 0, 1, s21
	v_not_b32_e32 v128, v25
	v_cmp_gt_i32_e64 s21, 0, v25
	v_not_b32_e32 v25, v26
	v_lshlrev_b32_e32 v126, 26, v24
	v_cmp_ne_u32_e32 vcc_lo, 0, v28
	v_ashrrev_i32_e32 v128, 31, v128
	v_lshlrev_b32_e32 v127, 25, v24
	v_ashrrev_i32_e32 v25, 31, v25
	v_lshlrev_b32_e32 v28, 24, v24
	v_xor_b32_e32 v22, vcc_lo, v22
	v_cmp_gt_i32_e32 vcc_lo, 0, v26
	v_not_b32_e32 v26, v27
	v_xor_b32_e32 v128, s21, v128
	v_cmp_gt_i32_e64 s21, 0, v27
	v_and_b32_e32 v22, exec_lo, v22
	v_not_b32_e32 v27, v125
	v_ashrrev_i32_e32 v26, 31, v26
	v_xor_b32_e32 v25, vcc_lo, v25
	v_cmp_gt_i32_e32 vcc_lo, 0, v125
	v_and_b32_e32 v22, v22, v128
	v_not_b32_e32 v125, v126
	v_ashrrev_i32_e32 v27, 31, v27
	v_xor_b32_e32 v26, s21, v26
	v_cmp_gt_i32_e64 s21, 0, v126
	v_and_b32_e32 v22, v22, v25
	v_not_b32_e32 v25, v127
	v_ashrrev_i32_e32 v125, 31, v125
	v_xor_b32_e32 v27, vcc_lo, v27
	v_cmp_gt_i32_e32 vcc_lo, 0, v127
	v_and_b32_e32 v22, v22, v26
	v_not_b32_e32 v26, v28
	v_ashrrev_i32_e32 v25, 31, v25
	v_xor_b32_e32 v125, s21, v125
	v_cmp_gt_i32_e64 s21, 0, v28
	v_and_b32_e32 v22, v22, v27
	v_ashrrev_i32_e32 v26, 31, v26
	v_xor_b32_e32 v25, vcc_lo, v25
	v_mad_u32_u24 v27, v24, 36, v96
	v_mul_u32_u24_e32 v24, 36, v24
	v_and_b32_e32 v22, v22, v125
	v_xor_b32_e32 v26, s21, v26
	ds_read_b32 v125, v27 offset:1056
	v_add_nc_u32_e32 v128, v96, v24
	v_and_b32_e32 v22, v22, v25
	; wave barrier
	v_and_b32_e32 v22, v22, v26
	v_mbcnt_lo_u32_b32 v127, v22, 0
	v_cmp_ne_u32_e64 s21, 0, v22
	v_cmp_eq_u32_e32 vcc_lo, 0, v127
	s_and_b32 s22, s21, vcc_lo
	s_and_saveexec_b32 s21, s22
	s_cbranch_execz .LBB1870_265
; %bb.264:                              ;   in Loop: Header=BB1870_233 Depth=2
	s_waitcnt lgkmcnt(0)
	v_bcnt_u32_b32 v22, v22, v125
	ds_write_b32 v128, v22 offset:1056
.LBB1870_265:                           ;   in Loop: Header=BB1870_233 Depth=2
	s_or_b32 exec_lo, exec_lo, s21
	v_cmp_lt_i16_e32 vcc_lo, -1, v23
	; wave barrier
	v_cndmask_b32_e64 v22, -1, 0xffff8000, vcc_lo
	v_xor_b32_e32 v126, v22, v23
	v_cmp_ne_u16_e32 vcc_lo, 0x7fff, v126
	v_cndmask_b32_e32 v22, 0xffff8000, v126, vcc_lo
	v_lshrrev_b32_sdwa v22, s29, v22 dst_sel:DWORD dst_unused:UNUSED_PAD src0_sel:DWORD src1_sel:WORD_0
	v_and_b32_e32 v23, s42, v22
	v_and_b32_e32 v22, 1, v23
	v_lshlrev_b32_e32 v24, 30, v23
	v_lshlrev_b32_e32 v25, 29, v23
	;; [unrolled: 1-line block ×4, first 2 shown]
	v_add_co_u32 v22, s21, v22, -1
	v_cndmask_b32_e64 v27, 0, 1, s21
	v_not_b32_e32 v131, v24
	v_cmp_gt_i32_e64 s21, 0, v24
	v_not_b32_e32 v24, v25
	v_lshlrev_b32_e32 v129, 26, v23
	v_cmp_ne_u32_e32 vcc_lo, 0, v27
	v_ashrrev_i32_e32 v131, 31, v131
	v_lshlrev_b32_e32 v130, 25, v23
	v_ashrrev_i32_e32 v24, 31, v24
	v_lshlrev_b32_e32 v27, 24, v23
	v_xor_b32_e32 v22, vcc_lo, v22
	v_cmp_gt_i32_e32 vcc_lo, 0, v25
	v_not_b32_e32 v25, v26
	v_xor_b32_e32 v131, s21, v131
	v_cmp_gt_i32_e64 s21, 0, v26
	v_and_b32_e32 v22, exec_lo, v22
	v_not_b32_e32 v26, v28
	v_ashrrev_i32_e32 v25, 31, v25
	v_xor_b32_e32 v24, vcc_lo, v24
	v_cmp_gt_i32_e32 vcc_lo, 0, v28
	v_and_b32_e32 v22, v22, v131
	v_not_b32_e32 v28, v129
	v_ashrrev_i32_e32 v26, 31, v26
	v_xor_b32_e32 v25, s21, v25
	v_cmp_gt_i32_e64 s21, 0, v129
	v_and_b32_e32 v22, v22, v24
	v_not_b32_e32 v24, v130
	v_ashrrev_i32_e32 v28, 31, v28
	v_xor_b32_e32 v26, vcc_lo, v26
	v_cmp_gt_i32_e32 vcc_lo, 0, v130
	v_and_b32_e32 v22, v22, v25
	v_not_b32_e32 v25, v27
	v_ashrrev_i32_e32 v24, 31, v24
	v_xor_b32_e32 v28, s21, v28
	v_cmp_gt_i32_e64 s21, 0, v27
	v_and_b32_e32 v22, v22, v26
	v_ashrrev_i32_e32 v25, 31, v25
	v_xor_b32_e32 v24, vcc_lo, v24
	v_mad_u32_u24 v26, v23, 36, v96
	v_mul_u32_u24_e32 v23, 36, v23
	v_and_b32_e32 v22, v22, v28
	v_xor_b32_e32 v25, s21, v25
	ds_read_b32 v129, v26 offset:1056
	v_add_nc_u32_e32 v132, v96, v23
	v_and_b32_e32 v22, v22, v24
	; wave barrier
	v_and_b32_e32 v22, v22, v25
	v_mbcnt_lo_u32_b32 v131, v22, 0
	v_cmp_ne_u32_e64 s21, 0, v22
	v_cmp_eq_u32_e32 vcc_lo, 0, v131
	s_and_b32 s22, s21, vcc_lo
	s_and_saveexec_b32 s21, s22
	s_cbranch_execz .LBB1870_267
; %bb.266:                              ;   in Loop: Header=BB1870_233 Depth=2
	s_waitcnt lgkmcnt(0)
	v_bcnt_u32_b32 v22, v22, v129
	ds_write_b32 v132, v22 offset:1056
.LBB1870_267:                           ;   in Loop: Header=BB1870_233 Depth=2
	s_or_b32 exec_lo, exec_lo, s21
	v_cmp_lt_i16_e32 vcc_lo, -1, v21
	; wave barrier
	v_cndmask_b32_e64 v22, -1, 0xffff8000, vcc_lo
	v_xor_b32_e32 v130, v22, v21
	v_cmp_ne_u16_e32 vcc_lo, 0x7fff, v130
	v_cndmask_b32_e32 v21, 0xffff8000, v130, vcc_lo
	v_lshrrev_b32_sdwa v21, s29, v21 dst_sel:DWORD dst_unused:UNUSED_PAD src0_sel:DWORD src1_sel:WORD_0
	v_and_b32_e32 v22, s42, v21
	v_and_b32_e32 v21, 1, v22
	v_lshlrev_b32_e32 v23, 30, v22
	v_lshlrev_b32_e32 v24, 29, v22
	;; [unrolled: 1-line block ×4, first 2 shown]
	v_add_co_u32 v21, s21, v21, -1
	v_cndmask_b32_e64 v26, 0, 1, s21
	v_not_b32_e32 v134, v23
	v_cmp_gt_i32_e64 s21, 0, v23
	v_not_b32_e32 v23, v24
	v_lshlrev_b32_e32 v28, 26, v22
	v_cmp_ne_u32_e32 vcc_lo, 0, v26
	v_ashrrev_i32_e32 v134, 31, v134
	v_lshlrev_b32_e32 v133, 25, v22
	v_ashrrev_i32_e32 v23, 31, v23
	v_lshlrev_b32_e32 v26, 24, v22
	v_xor_b32_e32 v21, vcc_lo, v21
	v_cmp_gt_i32_e32 vcc_lo, 0, v24
	v_not_b32_e32 v24, v25
	v_xor_b32_e32 v134, s21, v134
	v_cmp_gt_i32_e64 s21, 0, v25
	v_and_b32_e32 v21, exec_lo, v21
	v_not_b32_e32 v25, v27
	v_ashrrev_i32_e32 v24, 31, v24
	v_xor_b32_e32 v23, vcc_lo, v23
	v_cmp_gt_i32_e32 vcc_lo, 0, v27
	v_and_b32_e32 v21, v21, v134
	v_not_b32_e32 v27, v28
	v_ashrrev_i32_e32 v25, 31, v25
	v_xor_b32_e32 v24, s21, v24
	v_cmp_gt_i32_e64 s21, 0, v28
	v_and_b32_e32 v21, v21, v23
	v_not_b32_e32 v23, v133
	v_ashrrev_i32_e32 v27, 31, v27
	v_xor_b32_e32 v25, vcc_lo, v25
	v_cmp_gt_i32_e32 vcc_lo, 0, v133
	v_and_b32_e32 v21, v21, v24
	v_not_b32_e32 v24, v26
	v_ashrrev_i32_e32 v23, 31, v23
	v_xor_b32_e32 v27, s21, v27
	v_cmp_gt_i32_e64 s21, 0, v26
	v_and_b32_e32 v21, v21, v25
	v_ashrrev_i32_e32 v24, 31, v24
	v_xor_b32_e32 v23, vcc_lo, v23
	v_mad_u32_u24 v25, v22, 36, v96
	v_mul_u32_u24_e32 v22, 36, v22
	v_and_b32_e32 v21, v21, v27
	v_xor_b32_e32 v24, s21, v24
	ds_read_b32 v133, v25 offset:1056
	v_add_nc_u32_e32 v135, v96, v22
	v_and_b32_e32 v21, v21, v23
	; wave barrier
	v_and_b32_e32 v21, v21, v24
	v_mbcnt_lo_u32_b32 v134, v21, 0
	v_cmp_ne_u32_e64 s21, 0, v21
	v_cmp_eq_u32_e32 vcc_lo, 0, v134
	s_and_b32 s22, s21, vcc_lo
	s_and_saveexec_b32 s21, s22
	s_cbranch_execz .LBB1870_269
; %bb.268:                              ;   in Loop: Header=BB1870_233 Depth=2
	s_waitcnt lgkmcnt(0)
	v_bcnt_u32_b32 v21, v21, v133
	ds_write_b32 v135, v21 offset:1056
.LBB1870_269:                           ;   in Loop: Header=BB1870_233 Depth=2
	s_or_b32 exec_lo, exec_lo, s21
	; wave barrier
	s_waitcnt lgkmcnt(0)
	s_barrier
	buffer_gl0_inv
	ds_read2_b32 v[27:28], v78 offset1:1
	ds_read2_b32 v[25:26], v88 offset1:1
	;; [unrolled: 1-line block ×4, first 2 shown]
	ds_read_b32 v136, v44 offset:1088
	s_waitcnt lgkmcnt(3)
	v_add3_u32 v137, v28, v27, v25
	s_waitcnt lgkmcnt(2)
	v_add3_u32 v137, v137, v26, v23
	;; [unrolled: 2-line block ×4, first 2 shown]
	v_mov_b32_dpp v137, v136 row_shr:1 row_mask:0xf bank_mask:0xf
	v_cndmask_b32_e64 v137, v137, 0, s5
	v_add_nc_u32_e32 v136, v137, v136
	v_mov_b32_dpp v137, v136 row_shr:2 row_mask:0xf bank_mask:0xf
	v_cndmask_b32_e64 v137, 0, v137, s14
	v_add_nc_u32_e32 v136, v136, v137
	v_mov_b32_dpp v137, v136 row_shr:4 row_mask:0xf bank_mask:0xf
	v_cndmask_b32_e64 v137, 0, v137, s15
	v_add_nc_u32_e32 v136, v136, v137
	v_mov_b32_dpp v137, v136 row_shr:8 row_mask:0xf bank_mask:0xf
	v_cndmask_b32_e64 v137, 0, v137, s16
	v_add_nc_u32_e32 v136, v136, v137
	ds_swizzle_b32 v137, v136 offset:swizzle(BROADCAST,32,15)
	s_waitcnt lgkmcnt(0)
	v_cndmask_b32_e64 v137, v137, 0, s17
	v_add_nc_u32_e32 v136, v136, v137
	s_and_saveexec_b32 s21, s9
; %bb.270:                              ;   in Loop: Header=BB1870_233 Depth=2
	ds_write_b32 v39, v136 offset:1024
; %bb.271:                              ;   in Loop: Header=BB1870_233 Depth=2
	s_or_b32 exec_lo, exec_lo, s21
	s_waitcnt lgkmcnt(0)
	s_barrier
	buffer_gl0_inv
	s_and_saveexec_b32 s21, s10
	s_cbranch_execz .LBB1870_273
; %bb.272:                              ;   in Loop: Header=BB1870_233 Depth=2
	ds_read_b32 v137, v46 offset:1024
	s_waitcnt lgkmcnt(0)
	v_mov_b32_dpp v138, v137 row_shr:1 row_mask:0xf bank_mask:0xf
	v_cndmask_b32_e64 v138, v138, 0, s18
	v_add_nc_u32_e32 v137, v138, v137
	v_mov_b32_dpp v138, v137 row_shr:2 row_mask:0xf bank_mask:0xf
	v_cndmask_b32_e64 v138, 0, v138, s19
	v_add_nc_u32_e32 v137, v137, v138
	v_mov_b32_dpp v138, v137 row_shr:4 row_mask:0xf bank_mask:0xf
	v_cndmask_b32_e64 v138, 0, v138, s20
	v_add_nc_u32_e32 v137, v137, v138
	ds_write_b32 v46, v137 offset:1024
.LBB1870_273:                           ;   in Loop: Header=BB1870_233 Depth=2
	s_or_b32 exec_lo, exec_lo, s21
	v_mov_b32_e32 v137, 0
	s_waitcnt lgkmcnt(0)
	s_barrier
	buffer_gl0_inv
	s_and_saveexec_b32 s21, s11
; %bb.274:                              ;   in Loop: Header=BB1870_233 Depth=2
	ds_read_b32 v137, v39 offset:1020
; %bb.275:                              ;   in Loop: Header=BB1870_233 Depth=2
	s_or_b32 exec_lo, exec_lo, s21
	s_waitcnt lgkmcnt(0)
	v_add_nc_u32_e32 v136, v137, v136
	ds_bpermute_b32 v136, v91, v136
	s_waitcnt lgkmcnt(0)
	v_cndmask_b32_e64 v136, v136, v137, s13
	v_cndmask_b32_e64 v136, v136, 0, s4
	v_add_nc_u32_e32 v27, v136, v27
	v_add_nc_u32_e32 v28, v27, v28
	;; [unrolled: 1-line block ×8, first 2 shown]
	ds_write2_b32 v78, v136, v27 offset1:1
	ds_write2_b32 v88, v28, v25 offset1:1
	;; [unrolled: 1-line block ×4, first 2 shown]
	ds_write_b32 v44, v22 offset:1088
	s_waitcnt lgkmcnt(0)
	s_barrier
	buffer_gl0_inv
	ds_read_b32 v24, v108 offset:1056
	ds_read_b32 v25, v112 offset:1056
	ds_read_b32 v26, v116 offset:1056
	ds_read_b32 v27, v120 offset:1056
	ds_read_b32 v28, v124 offset:1056
	ds_read_b32 v116, v128 offset:1056
	ds_read_b32 v22, v132 offset:1056
	ds_read_b32 v21, v135 offset:1056
	ds_read_b32 v108, v44 offset:1056
	v_mov_b32_e32 v23, 0x800
	s_and_saveexec_b32 s21, s12
; %bb.276:                              ;   in Loop: Header=BB1870_233 Depth=2
	ds_read_b32 v23, v44 offset:1092
; %bb.277:                              ;   in Loop: Header=BB1870_233 Depth=2
	s_or_b32 exec_lo, exec_lo, s21
	s_waitcnt lgkmcnt(0)
	s_barrier
	buffer_gl0_inv
	s_and_saveexec_b32 s21, s8
	s_cbranch_execz .LBB1870_279
; %bb.278:                              ;   in Loop: Header=BB1870_233 Depth=2
	ds_read_b32 v112, v29
	s_waitcnt lgkmcnt(0)
	v_sub_nc_u32_e32 v108, v112, v108
	ds_write_b32 v29, v108
.LBB1870_279:                           ;   in Loop: Header=BB1870_233 Depth=2
	s_or_b32 exec_lo, exec_lo, s21
	v_add_nc_u32_e32 v112, v24, v106
	v_add3_u32 v108, v110, v109, v25
	v_add3_u32 v106, v115, v113, v26
	;; [unrolled: 1-line block ×4, first 2 shown]
	v_lshlrev_b32_e32 v109, 1, v112
	v_lshlrev_b32_e32 v110, 1, v108
	v_add3_u32 v27, v131, v129, v22
	v_lshlrev_b32_e32 v22, 1, v106
	v_add3_u32 v28, v134, v133, v21
	ds_write_b16 v109, v3 offset:1024
	ds_write_b16 v110, v107 offset:1024
	v_lshlrev_b32_e32 v3, 1, v26
	v_add3_u32 v24, v127, v125, v116
	ds_write_b16 v22, v111 offset:1024
	v_lshlrev_b32_e32 v21, 1, v25
	v_cmp_lt_u32_e32 vcc_lo, v0, v105
	ds_write_b16 v3, v114 offset:1024
	v_lshlrev_b32_e32 v3, 1, v28
	v_lshlrev_b32_e32 v22, 1, v24
	;; [unrolled: 1-line block ×3, first 2 shown]
	ds_write_b16 v21, v118 offset:1024
	ds_write_b16 v22, v122 offset:1024
	;; [unrolled: 1-line block ×4, first 2 shown]
	s_waitcnt lgkmcnt(0)
	s_barrier
	buffer_gl0_inv
	s_and_saveexec_b32 s22, vcc_lo
	s_cbranch_execnz .LBB1870_316
; %bb.280:                              ;   in Loop: Header=BB1870_233 Depth=2
	s_or_b32 exec_lo, exec_lo, s22
	v_cmp_lt_u32_e64 s21, v30, v105
	s_and_saveexec_b32 s23, s21
	s_cbranch_execnz .LBB1870_317
.LBB1870_281:                           ;   in Loop: Header=BB1870_233 Depth=2
	s_or_b32 exec_lo, exec_lo, s23
	v_cmp_lt_u32_e64 s22, v31, v105
	s_and_saveexec_b32 s24, s22
	s_cbranch_execnz .LBB1870_318
.LBB1870_282:                           ;   in Loop: Header=BB1870_233 Depth=2
	s_or_b32 exec_lo, exec_lo, s24
	v_cmp_lt_u32_e64 s23, v32, v105
	s_and_saveexec_b32 s25, s23
	s_cbranch_execnz .LBB1870_319
.LBB1870_283:                           ;   in Loop: Header=BB1870_233 Depth=2
	s_or_b32 exec_lo, exec_lo, s25
	v_cmp_lt_u32_e64 s24, v35, v105
	s_and_saveexec_b32 s26, s24
	s_cbranch_execnz .LBB1870_320
.LBB1870_284:                           ;   in Loop: Header=BB1870_233 Depth=2
	s_or_b32 exec_lo, exec_lo, s26
	v_cmp_lt_u32_e64 s25, v36, v105
	s_and_saveexec_b32 s27, s25
	s_cbranch_execnz .LBB1870_321
.LBB1870_285:                           ;   in Loop: Header=BB1870_233 Depth=2
	s_or_b32 exec_lo, exec_lo, s27
	v_cmp_lt_u32_e64 s26, v37, v105
	s_and_saveexec_b32 s28, s26
	s_cbranch_execnz .LBB1870_322
.LBB1870_286:                           ;   in Loop: Header=BB1870_233 Depth=2
	s_or_b32 exec_lo, exec_lo, s28
	v_cmp_lt_u32_e64 s27, v38, v105
	s_and_saveexec_b32 s54, s27
	s_cbranch_execz .LBB1870_288
.LBB1870_287:                           ;   in Loop: Header=BB1870_233 Depth=2
	ds_read_u16 v107, v47 offset:4608
	s_waitcnt lgkmcnt(0)
	v_cmp_ne_u16_e64 s28, 0x7fff, v107
	v_cndmask_b32_e64 v3, 0xffff8000, v107, s28
	v_cmp_lt_i16_e64 s28, -1, v107
	v_lshrrev_b32_sdwa v3, s29, v3 dst_sel:DWORD dst_unused:UNUSED_PAD src0_sel:DWORD src1_sel:WORD_0
	v_cndmask_b32_e64 v109, 0xffff8000, -1, s28
	v_and_b32_e32 v3, s42, v3
	v_lshlrev_b32_e32 v3, 2, v3
	ds_read_b32 v3, v3
	s_waitcnt lgkmcnt(0)
	v_add_nc_u32_e32 v3, v3, v38
	v_lshlrev_b64 v[21:22], 1, v[3:4]
	v_xor_b32_e32 v3, v109, v107
	v_add_co_u32 v21, s28, s40, v21
	v_add_co_ci_u32_e64 v22, null, s41, v22, s28
	global_store_short v[21:22], v3, off
.LBB1870_288:                           ;   in Loop: Header=BB1870_233 Depth=2
	s_or_b32 exec_lo, exec_lo, s54
	s_lshl_b64 s[54:55], s[34:35], 3
	v_add_co_u32 v21, s28, v92, s54
	v_add_co_ci_u32_e64 v22, null, s55, v93, s28
	v_cmp_lt_u32_e64 s28, v66, v105
	s_and_saveexec_b32 s34, s28
	s_xor_b32 s28, exec_lo, s34
	s_cbranch_execnz .LBB1870_323
; %bb.289:                              ;   in Loop: Header=BB1870_233 Depth=2
	s_or_b32 exec_lo, exec_lo, s28
	s_mov_b32 s34, exec_lo
	v_cmpx_lt_u32_e64 v70, v105
	s_cbranch_execnz .LBB1870_324
.LBB1870_290:                           ;   in Loop: Header=BB1870_233 Depth=2
	s_or_b32 exec_lo, exec_lo, s34
	s_mov_b32 s34, exec_lo
	v_cmpx_lt_u32_e64 v71, v105
	s_cbranch_execnz .LBB1870_325
.LBB1870_291:                           ;   in Loop: Header=BB1870_233 Depth=2
	s_or_b32 exec_lo, exec_lo, s34
	s_mov_b32 s34, exec_lo
	v_cmpx_lt_u32_e64 v72, v105
	s_cbranch_execnz .LBB1870_326
.LBB1870_292:                           ;   in Loop: Header=BB1870_233 Depth=2
	s_or_b32 exec_lo, exec_lo, s34
	s_mov_b32 s34, exec_lo
	v_cmpx_lt_u32_e64 v73, v105
	s_cbranch_execnz .LBB1870_327
.LBB1870_293:                           ;   in Loop: Header=BB1870_233 Depth=2
	s_or_b32 exec_lo, exec_lo, s34
	s_mov_b32 s34, exec_lo
	v_cmpx_lt_u32_e64 v74, v105
	s_cbranch_execnz .LBB1870_328
.LBB1870_294:                           ;   in Loop: Header=BB1870_233 Depth=2
	s_or_b32 exec_lo, exec_lo, s34
	s_mov_b32 s34, exec_lo
	v_cmpx_lt_u32_e64 v75, v105
	s_cbranch_execnz .LBB1870_329
.LBB1870_295:                           ;   in Loop: Header=BB1870_233 Depth=2
	s_or_b32 exec_lo, exec_lo, s34
	s_mov_b32 s34, exec_lo
	v_cmpx_lt_u32_e64 v76, v105
	s_cbranch_execnz .LBB1870_330
.LBB1870_296:                           ;   in Loop: Header=BB1870_233 Depth=2
	s_or_b32 exec_lo, exec_lo, s34
	s_and_saveexec_b32 s34, vcc_lo
	s_cbranch_execnz .LBB1870_331
.LBB1870_297:                           ;   in Loop: Header=BB1870_233 Depth=2
	s_or_b32 exec_lo, exec_lo, s34
	s_and_saveexec_b32 s34, s21
	s_cbranch_execnz .LBB1870_332
.LBB1870_298:                           ;   in Loop: Header=BB1870_233 Depth=2
	s_or_b32 exec_lo, exec_lo, s34
	s_and_saveexec_b32 s34, s22
	s_cbranch_execnz .LBB1870_333
.LBB1870_299:                           ;   in Loop: Header=BB1870_233 Depth=2
	s_or_b32 exec_lo, exec_lo, s34
	s_and_saveexec_b32 s34, s23
	s_cbranch_execnz .LBB1870_334
.LBB1870_300:                           ;   in Loop: Header=BB1870_233 Depth=2
	s_or_b32 exec_lo, exec_lo, s34
	s_and_saveexec_b32 s34, s24
	s_cbranch_execnz .LBB1870_335
.LBB1870_301:                           ;   in Loop: Header=BB1870_233 Depth=2
	s_or_b32 exec_lo, exec_lo, s34
	s_and_saveexec_b32 s34, s25
	s_cbranch_execnz .LBB1870_336
.LBB1870_302:                           ;   in Loop: Header=BB1870_233 Depth=2
	s_or_b32 exec_lo, exec_lo, s34
	s_and_saveexec_b32 s34, s26
	s_cbranch_execnz .LBB1870_337
.LBB1870_303:                           ;   in Loop: Header=BB1870_233 Depth=2
	s_or_b32 exec_lo, exec_lo, s34
	s_and_saveexec_b32 s34, s27
	s_cbranch_execz .LBB1870_305
.LBB1870_304:                           ;   in Loop: Header=BB1870_233 Depth=2
	ds_read_u16 v3, v47 offset:4608
	s_waitcnt lgkmcnt(0)
	v_cmp_ne_u16_e64 s28, 0x7fff, v3
	v_cndmask_b32_e64 v3, 0xffff8000, v3, s28
	v_lshrrev_b32_sdwa v3, s29, v3 dst_sel:DWORD dst_unused:UNUSED_PAD src0_sel:DWORD src1_sel:WORD_0
	v_and_b32_e32 v97, s42, v3
.LBB1870_305:                           ;   in Loop: Header=BB1870_233 Depth=2
	s_or_b32 exec_lo, exec_lo, s34
	v_lshlrev_b32_e32 v3, 3, v112
	v_lshlrev_b32_e32 v21, 3, v108
	;; [unrolled: 1-line block ×3, first 2 shown]
	s_waitcnt vmcnt(0)
	s_waitcnt_vscnt null, 0x0
	s_barrier
	buffer_gl0_inv
	ds_write_b64 v3, v[19:20] offset:1024
	ds_write_b64 v21, v[17:18] offset:1024
	;; [unrolled: 1-line block ×3, first 2 shown]
	v_lshlrev_b32_e32 v3, 3, v26
	v_lshlrev_b32_e32 v21, 3, v25
	;; [unrolled: 1-line block ×5, first 2 shown]
	ds_write_b64 v3, v[13:14] offset:1024
	ds_write_b64 v21, v[11:12] offset:1024
	;; [unrolled: 1-line block ×5, first 2 shown]
	s_waitcnt lgkmcnt(0)
	s_barrier
	buffer_gl0_inv
	s_and_saveexec_b32 s28, vcc_lo
	s_cbranch_execnz .LBB1870_338
; %bb.306:                              ;   in Loop: Header=BB1870_233 Depth=2
	s_or_b32 exec_lo, exec_lo, s28
	s_and_saveexec_b32 s28, s21
	s_cbranch_execnz .LBB1870_339
.LBB1870_307:                           ;   in Loop: Header=BB1870_233 Depth=2
	s_or_b32 exec_lo, exec_lo, s28
	s_and_saveexec_b32 s21, s22
	s_cbranch_execnz .LBB1870_340
.LBB1870_308:                           ;   in Loop: Header=BB1870_233 Depth=2
	s_or_b32 exec_lo, exec_lo, s21
	s_and_saveexec_b32 s21, s23
	s_cbranch_execnz .LBB1870_341
.LBB1870_309:                           ;   in Loop: Header=BB1870_233 Depth=2
	s_or_b32 exec_lo, exec_lo, s21
	s_and_saveexec_b32 s21, s24
	s_cbranch_execnz .LBB1870_342
.LBB1870_310:                           ;   in Loop: Header=BB1870_233 Depth=2
	s_or_b32 exec_lo, exec_lo, s21
	s_and_saveexec_b32 s21, s25
	s_cbranch_execnz .LBB1870_343
.LBB1870_311:                           ;   in Loop: Header=BB1870_233 Depth=2
	s_or_b32 exec_lo, exec_lo, s21
	s_and_saveexec_b32 s21, s26
	s_cbranch_execnz .LBB1870_344
.LBB1870_312:                           ;   in Loop: Header=BB1870_233 Depth=2
	s_or_b32 exec_lo, exec_lo, s21
	s_and_saveexec_b32 s21, s27
	s_cbranch_execz .LBB1870_314
.LBB1870_313:                           ;   in Loop: Header=BB1870_233 Depth=2
	v_lshlrev_b32_e32 v3, 2, v97
	v_add_nc_u32_e32 v21, v47, v48
	ds_read_b32 v3, v3
	ds_read_b64 v[21:22], v21 offset:15360
	s_waitcnt lgkmcnt(1)
	v_add_nc_u32_e32 v3, v3, v38
	v_lshlrev_b64 v[24:25], 3, v[3:4]
	v_add_co_u32 v24, vcc_lo, s46, v24
	v_add_co_ci_u32_e64 v25, null, s47, v25, vcc_lo
	s_waitcnt lgkmcnt(0)
	global_store_dwordx2 v[24:25], v[21:22], off
.LBB1870_314:                           ;   in Loop: Header=BB1870_233 Depth=2
	s_or_b32 exec_lo, exec_lo, s21
	s_waitcnt_vscnt null, 0x0
	s_barrier
	buffer_gl0_inv
	s_and_saveexec_b32 s21, s8
	s_cbranch_execz .LBB1870_232
; %bb.315:                              ;   in Loop: Header=BB1870_233 Depth=2
	ds_read_b32 v3, v29
	s_waitcnt lgkmcnt(0)
	v_add_nc_u32_e32 v3, v3, v23
	ds_write_b32 v29, v3
	s_branch .LBB1870_232
.LBB1870_316:                           ;   in Loop: Header=BB1870_233 Depth=2
	ds_read_u16 v107, v47 offset:1024
	s_waitcnt lgkmcnt(0)
	v_cmp_ne_u16_e64 s21, 0x7fff, v107
	v_cndmask_b32_e64 v3, 0xffff8000, v107, s21
	v_cmp_lt_i16_e64 s21, -1, v107
	v_lshrrev_b32_sdwa v3, s29, v3 dst_sel:DWORD dst_unused:UNUSED_PAD src0_sel:DWORD src1_sel:WORD_0
	v_cndmask_b32_e64 v109, 0xffff8000, -1, s21
	v_and_b32_e32 v3, s42, v3
	v_lshlrev_b32_e32 v3, 2, v3
	ds_read_b32 v3, v3
	s_waitcnt lgkmcnt(0)
	v_add_nc_u32_e32 v3, v3, v0
	v_lshlrev_b64 v[21:22], 1, v[3:4]
	v_xor_b32_e32 v3, v109, v107
	v_add_co_u32 v21, s21, s40, v21
	v_add_co_ci_u32_e64 v22, null, s41, v22, s21
	global_store_short v[21:22], v3, off
	s_or_b32 exec_lo, exec_lo, s22
	v_cmp_lt_u32_e64 s21, v30, v105
	s_and_saveexec_b32 s23, s21
	s_cbranch_execz .LBB1870_281
.LBB1870_317:                           ;   in Loop: Header=BB1870_233 Depth=2
	ds_read_u16 v107, v47 offset:1536
	s_waitcnt lgkmcnt(0)
	v_cmp_ne_u16_e64 s22, 0x7fff, v107
	v_cndmask_b32_e64 v3, 0xffff8000, v107, s22
	v_cmp_lt_i16_e64 s22, -1, v107
	v_lshrrev_b32_sdwa v3, s29, v3 dst_sel:DWORD dst_unused:UNUSED_PAD src0_sel:DWORD src1_sel:WORD_0
	v_cndmask_b32_e64 v109, 0xffff8000, -1, s22
	v_and_b32_e32 v3, s42, v3
	v_lshlrev_b32_e32 v3, 2, v3
	ds_read_b32 v3, v3
	s_waitcnt lgkmcnt(0)
	v_add_nc_u32_e32 v3, v3, v30
	v_lshlrev_b64 v[21:22], 1, v[3:4]
	v_xor_b32_e32 v3, v109, v107
	v_add_co_u32 v21, s22, s40, v21
	v_add_co_ci_u32_e64 v22, null, s41, v22, s22
	global_store_short v[21:22], v3, off
	s_or_b32 exec_lo, exec_lo, s23
	v_cmp_lt_u32_e64 s22, v31, v105
	s_and_saveexec_b32 s24, s22
	s_cbranch_execz .LBB1870_282
.LBB1870_318:                           ;   in Loop: Header=BB1870_233 Depth=2
	ds_read_u16 v107, v47 offset:2048
	s_waitcnt lgkmcnt(0)
	v_cmp_ne_u16_e64 s23, 0x7fff, v107
	v_cndmask_b32_e64 v3, 0xffff8000, v107, s23
	v_cmp_lt_i16_e64 s23, -1, v107
	v_lshrrev_b32_sdwa v3, s29, v3 dst_sel:DWORD dst_unused:UNUSED_PAD src0_sel:DWORD src1_sel:WORD_0
	v_cndmask_b32_e64 v109, 0xffff8000, -1, s23
	v_and_b32_e32 v3, s42, v3
	v_lshlrev_b32_e32 v3, 2, v3
	ds_read_b32 v3, v3
	s_waitcnt lgkmcnt(0)
	v_add_nc_u32_e32 v3, v3, v31
	v_lshlrev_b64 v[21:22], 1, v[3:4]
	v_xor_b32_e32 v3, v109, v107
	v_add_co_u32 v21, s23, s40, v21
	v_add_co_ci_u32_e64 v22, null, s41, v22, s23
	global_store_short v[21:22], v3, off
	s_or_b32 exec_lo, exec_lo, s24
	v_cmp_lt_u32_e64 s23, v32, v105
	s_and_saveexec_b32 s25, s23
	s_cbranch_execz .LBB1870_283
.LBB1870_319:                           ;   in Loop: Header=BB1870_233 Depth=2
	ds_read_u16 v107, v47 offset:2560
	s_waitcnt lgkmcnt(0)
	v_cmp_ne_u16_e64 s24, 0x7fff, v107
	v_cndmask_b32_e64 v3, 0xffff8000, v107, s24
	v_cmp_lt_i16_e64 s24, -1, v107
	v_lshrrev_b32_sdwa v3, s29, v3 dst_sel:DWORD dst_unused:UNUSED_PAD src0_sel:DWORD src1_sel:WORD_0
	v_cndmask_b32_e64 v109, 0xffff8000, -1, s24
	v_and_b32_e32 v3, s42, v3
	v_lshlrev_b32_e32 v3, 2, v3
	ds_read_b32 v3, v3
	s_waitcnt lgkmcnt(0)
	v_add_nc_u32_e32 v3, v3, v32
	v_lshlrev_b64 v[21:22], 1, v[3:4]
	v_xor_b32_e32 v3, v109, v107
	v_add_co_u32 v21, s24, s40, v21
	v_add_co_ci_u32_e64 v22, null, s41, v22, s24
	global_store_short v[21:22], v3, off
	s_or_b32 exec_lo, exec_lo, s25
	v_cmp_lt_u32_e64 s24, v35, v105
	s_and_saveexec_b32 s26, s24
	s_cbranch_execz .LBB1870_284
.LBB1870_320:                           ;   in Loop: Header=BB1870_233 Depth=2
	ds_read_u16 v107, v47 offset:3072
	s_waitcnt lgkmcnt(0)
	v_cmp_ne_u16_e64 s25, 0x7fff, v107
	v_cndmask_b32_e64 v3, 0xffff8000, v107, s25
	v_cmp_lt_i16_e64 s25, -1, v107
	v_lshrrev_b32_sdwa v3, s29, v3 dst_sel:DWORD dst_unused:UNUSED_PAD src0_sel:DWORD src1_sel:WORD_0
	v_cndmask_b32_e64 v109, 0xffff8000, -1, s25
	v_and_b32_e32 v3, s42, v3
	v_lshlrev_b32_e32 v3, 2, v3
	ds_read_b32 v3, v3
	s_waitcnt lgkmcnt(0)
	v_add_nc_u32_e32 v3, v3, v35
	v_lshlrev_b64 v[21:22], 1, v[3:4]
	v_xor_b32_e32 v3, v109, v107
	v_add_co_u32 v21, s25, s40, v21
	v_add_co_ci_u32_e64 v22, null, s41, v22, s25
	global_store_short v[21:22], v3, off
	s_or_b32 exec_lo, exec_lo, s26
	v_cmp_lt_u32_e64 s25, v36, v105
	s_and_saveexec_b32 s27, s25
	s_cbranch_execz .LBB1870_285
.LBB1870_321:                           ;   in Loop: Header=BB1870_233 Depth=2
	ds_read_u16 v107, v47 offset:3584
	s_waitcnt lgkmcnt(0)
	v_cmp_ne_u16_e64 s26, 0x7fff, v107
	v_cndmask_b32_e64 v3, 0xffff8000, v107, s26
	v_cmp_lt_i16_e64 s26, -1, v107
	v_lshrrev_b32_sdwa v3, s29, v3 dst_sel:DWORD dst_unused:UNUSED_PAD src0_sel:DWORD src1_sel:WORD_0
	v_cndmask_b32_e64 v109, 0xffff8000, -1, s26
	v_and_b32_e32 v3, s42, v3
	v_lshlrev_b32_e32 v3, 2, v3
	ds_read_b32 v3, v3
	s_waitcnt lgkmcnt(0)
	v_add_nc_u32_e32 v3, v3, v36
	v_lshlrev_b64 v[21:22], 1, v[3:4]
	v_xor_b32_e32 v3, v109, v107
	v_add_co_u32 v21, s26, s40, v21
	v_add_co_ci_u32_e64 v22, null, s41, v22, s26
	global_store_short v[21:22], v3, off
	s_or_b32 exec_lo, exec_lo, s27
	v_cmp_lt_u32_e64 s26, v37, v105
	s_and_saveexec_b32 s28, s26
	s_cbranch_execz .LBB1870_286
.LBB1870_322:                           ;   in Loop: Header=BB1870_233 Depth=2
	ds_read_u16 v107, v47 offset:4096
	s_waitcnt lgkmcnt(0)
	v_cmp_ne_u16_e64 s27, 0x7fff, v107
	v_cndmask_b32_e64 v3, 0xffff8000, v107, s27
	v_cmp_lt_i16_e64 s27, -1, v107
	v_lshrrev_b32_sdwa v3, s29, v3 dst_sel:DWORD dst_unused:UNUSED_PAD src0_sel:DWORD src1_sel:WORD_0
	v_cndmask_b32_e64 v109, 0xffff8000, -1, s27
	v_and_b32_e32 v3, s42, v3
	v_lshlrev_b32_e32 v3, 2, v3
	ds_read_b32 v3, v3
	s_waitcnt lgkmcnt(0)
	v_add_nc_u32_e32 v3, v3, v37
	v_lshlrev_b64 v[21:22], 1, v[3:4]
	v_xor_b32_e32 v3, v109, v107
	v_add_co_u32 v21, s27, s40, v21
	v_add_co_ci_u32_e64 v22, null, s41, v22, s27
	global_store_short v[21:22], v3, off
	s_or_b32 exec_lo, exec_lo, s28
	v_cmp_lt_u32_e64 s27, v38, v105
	s_and_saveexec_b32 s54, s27
	s_cbranch_execnz .LBB1870_287
	s_branch .LBB1870_288
.LBB1870_323:                           ;   in Loop: Header=BB1870_233 Depth=2
	global_load_dwordx2 v[19:20], v[21:22], off
	s_or_b32 exec_lo, exec_lo, s28
	s_mov_b32 s34, exec_lo
	v_cmpx_lt_u32_e64 v70, v105
	s_cbranch_execz .LBB1870_290
.LBB1870_324:                           ;   in Loop: Header=BB1870_233 Depth=2
	global_load_dwordx2 v[17:18], v[21:22], off offset:256
	s_or_b32 exec_lo, exec_lo, s34
	s_mov_b32 s34, exec_lo
	v_cmpx_lt_u32_e64 v71, v105
	s_cbranch_execz .LBB1870_291
.LBB1870_325:                           ;   in Loop: Header=BB1870_233 Depth=2
	global_load_dwordx2 v[15:16], v[21:22], off offset:512
	s_or_b32 exec_lo, exec_lo, s34
	s_mov_b32 s34, exec_lo
	v_cmpx_lt_u32_e64 v72, v105
	s_cbranch_execz .LBB1870_292
.LBB1870_326:                           ;   in Loop: Header=BB1870_233 Depth=2
	global_load_dwordx2 v[13:14], v[21:22], off offset:768
	s_or_b32 exec_lo, exec_lo, s34
	s_mov_b32 s34, exec_lo
	v_cmpx_lt_u32_e64 v73, v105
	s_cbranch_execz .LBB1870_293
.LBB1870_327:                           ;   in Loop: Header=BB1870_233 Depth=2
	global_load_dwordx2 v[11:12], v[21:22], off offset:1024
	s_or_b32 exec_lo, exec_lo, s34
	s_mov_b32 s34, exec_lo
	v_cmpx_lt_u32_e64 v74, v105
	s_cbranch_execz .LBB1870_294
.LBB1870_328:                           ;   in Loop: Header=BB1870_233 Depth=2
	global_load_dwordx2 v[9:10], v[21:22], off offset:1280
	s_or_b32 exec_lo, exec_lo, s34
	s_mov_b32 s34, exec_lo
	v_cmpx_lt_u32_e64 v75, v105
	s_cbranch_execz .LBB1870_295
.LBB1870_329:                           ;   in Loop: Header=BB1870_233 Depth=2
	global_load_dwordx2 v[7:8], v[21:22], off offset:1536
	s_or_b32 exec_lo, exec_lo, s34
	s_mov_b32 s34, exec_lo
	v_cmpx_lt_u32_e64 v76, v105
	s_cbranch_execz .LBB1870_296
.LBB1870_330:                           ;   in Loop: Header=BB1870_233 Depth=2
	global_load_dwordx2 v[5:6], v[21:22], off offset:1792
	s_or_b32 exec_lo, exec_lo, s34
	s_and_saveexec_b32 s34, vcc_lo
	s_cbranch_execz .LBB1870_297
.LBB1870_331:                           ;   in Loop: Header=BB1870_233 Depth=2
	ds_read_u16 v3, v47 offset:1024
	s_waitcnt lgkmcnt(0)
	v_cmp_ne_u16_e64 s28, 0x7fff, v3
	v_cndmask_b32_e64 v3, 0xffff8000, v3, s28
	v_lshrrev_b32_sdwa v3, s29, v3 dst_sel:DWORD dst_unused:UNUSED_PAD src0_sel:DWORD src1_sel:WORD_0
	v_and_b32_e32 v104, s42, v3
	s_or_b32 exec_lo, exec_lo, s34
	s_and_saveexec_b32 s34, s21
	s_cbranch_execz .LBB1870_298
.LBB1870_332:                           ;   in Loop: Header=BB1870_233 Depth=2
	ds_read_u16 v3, v47 offset:1536
	s_waitcnt lgkmcnt(0)
	v_cmp_ne_u16_e64 s28, 0x7fff, v3
	v_cndmask_b32_e64 v3, 0xffff8000, v3, s28
	v_lshrrev_b32_sdwa v3, s29, v3 dst_sel:DWORD dst_unused:UNUSED_PAD src0_sel:DWORD src1_sel:WORD_0
	v_and_b32_e32 v103, s42, v3
	s_or_b32 exec_lo, exec_lo, s34
	s_and_saveexec_b32 s34, s22
	s_cbranch_execz .LBB1870_299
.LBB1870_333:                           ;   in Loop: Header=BB1870_233 Depth=2
	ds_read_u16 v3, v47 offset:2048
	s_waitcnt lgkmcnt(0)
	v_cmp_ne_u16_e64 s28, 0x7fff, v3
	v_cndmask_b32_e64 v3, 0xffff8000, v3, s28
	v_lshrrev_b32_sdwa v3, s29, v3 dst_sel:DWORD dst_unused:UNUSED_PAD src0_sel:DWORD src1_sel:WORD_0
	v_and_b32_e32 v102, s42, v3
	s_or_b32 exec_lo, exec_lo, s34
	s_and_saveexec_b32 s34, s23
	s_cbranch_execz .LBB1870_300
.LBB1870_334:                           ;   in Loop: Header=BB1870_233 Depth=2
	ds_read_u16 v3, v47 offset:2560
	s_waitcnt lgkmcnt(0)
	v_cmp_ne_u16_e64 s28, 0x7fff, v3
	v_cndmask_b32_e64 v3, 0xffff8000, v3, s28
	v_lshrrev_b32_sdwa v3, s29, v3 dst_sel:DWORD dst_unused:UNUSED_PAD src0_sel:DWORD src1_sel:WORD_0
	v_and_b32_e32 v101, s42, v3
	s_or_b32 exec_lo, exec_lo, s34
	s_and_saveexec_b32 s34, s24
	s_cbranch_execz .LBB1870_301
.LBB1870_335:                           ;   in Loop: Header=BB1870_233 Depth=2
	ds_read_u16 v3, v47 offset:3072
	s_waitcnt lgkmcnt(0)
	v_cmp_ne_u16_e64 s28, 0x7fff, v3
	v_cndmask_b32_e64 v3, 0xffff8000, v3, s28
	v_lshrrev_b32_sdwa v3, s29, v3 dst_sel:DWORD dst_unused:UNUSED_PAD src0_sel:DWORD src1_sel:WORD_0
	v_and_b32_e32 v100, s42, v3
	s_or_b32 exec_lo, exec_lo, s34
	s_and_saveexec_b32 s34, s25
	s_cbranch_execz .LBB1870_302
.LBB1870_336:                           ;   in Loop: Header=BB1870_233 Depth=2
	ds_read_u16 v3, v47 offset:3584
	s_waitcnt lgkmcnt(0)
	v_cmp_ne_u16_e64 s28, 0x7fff, v3
	v_cndmask_b32_e64 v3, 0xffff8000, v3, s28
	v_lshrrev_b32_sdwa v3, s29, v3 dst_sel:DWORD dst_unused:UNUSED_PAD src0_sel:DWORD src1_sel:WORD_0
	v_and_b32_e32 v99, s42, v3
	s_or_b32 exec_lo, exec_lo, s34
	s_and_saveexec_b32 s34, s26
	s_cbranch_execz .LBB1870_303
.LBB1870_337:                           ;   in Loop: Header=BB1870_233 Depth=2
	ds_read_u16 v3, v47 offset:4096
	s_waitcnt lgkmcnt(0)
	v_cmp_ne_u16_e64 s28, 0x7fff, v3
	v_cndmask_b32_e64 v3, 0xffff8000, v3, s28
	v_lshrrev_b32_sdwa v3, s29, v3 dst_sel:DWORD dst_unused:UNUSED_PAD src0_sel:DWORD src1_sel:WORD_0
	v_and_b32_e32 v98, s42, v3
	s_or_b32 exec_lo, exec_lo, s34
	s_and_saveexec_b32 s34, s27
	s_cbranch_execnz .LBB1870_304
	s_branch .LBB1870_305
.LBB1870_338:                           ;   in Loop: Header=BB1870_233 Depth=2
	v_lshlrev_b32_e32 v3, 2, v104
	v_add_nc_u32_e32 v21, v47, v48
	ds_read_b32 v3, v3
	ds_read_b64 v[21:22], v21 offset:1024
	s_waitcnt lgkmcnt(1)
	v_add_nc_u32_e32 v3, v3, v0
	v_lshlrev_b64 v[24:25], 3, v[3:4]
	v_add_co_u32 v24, vcc_lo, s46, v24
	v_add_co_ci_u32_e64 v25, null, s47, v25, vcc_lo
	s_waitcnt lgkmcnt(0)
	global_store_dwordx2 v[24:25], v[21:22], off
	s_or_b32 exec_lo, exec_lo, s28
	s_and_saveexec_b32 s28, s21
	s_cbranch_execz .LBB1870_307
.LBB1870_339:                           ;   in Loop: Header=BB1870_233 Depth=2
	v_lshlrev_b32_e32 v3, 2, v103
	v_add_nc_u32_e32 v21, v47, v48
	ds_read_b32 v3, v3
	ds_read_b64 v[21:22], v21 offset:3072
	s_waitcnt lgkmcnt(1)
	v_add_nc_u32_e32 v3, v3, v30
	v_lshlrev_b64 v[24:25], 3, v[3:4]
	v_add_co_u32 v24, vcc_lo, s46, v24
	v_add_co_ci_u32_e64 v25, null, s47, v25, vcc_lo
	s_waitcnt lgkmcnt(0)
	global_store_dwordx2 v[24:25], v[21:22], off
	s_or_b32 exec_lo, exec_lo, s28
	s_and_saveexec_b32 s21, s22
	s_cbranch_execz .LBB1870_308
.LBB1870_340:                           ;   in Loop: Header=BB1870_233 Depth=2
	v_lshlrev_b32_e32 v3, 2, v102
	v_add_nc_u32_e32 v21, v47, v48
	ds_read_b32 v3, v3
	ds_read_b64 v[21:22], v21 offset:5120
	s_waitcnt lgkmcnt(1)
	v_add_nc_u32_e32 v3, v3, v31
	v_lshlrev_b64 v[24:25], 3, v[3:4]
	v_add_co_u32 v24, vcc_lo, s46, v24
	v_add_co_ci_u32_e64 v25, null, s47, v25, vcc_lo
	s_waitcnt lgkmcnt(0)
	global_store_dwordx2 v[24:25], v[21:22], off
	s_or_b32 exec_lo, exec_lo, s21
	s_and_saveexec_b32 s21, s23
	s_cbranch_execz .LBB1870_309
.LBB1870_341:                           ;   in Loop: Header=BB1870_233 Depth=2
	v_lshlrev_b32_e32 v3, 2, v101
	v_add_nc_u32_e32 v21, v47, v48
	ds_read_b32 v3, v3
	ds_read_b64 v[21:22], v21 offset:7168
	s_waitcnt lgkmcnt(1)
	v_add_nc_u32_e32 v3, v3, v32
	v_lshlrev_b64 v[24:25], 3, v[3:4]
	v_add_co_u32 v24, vcc_lo, s46, v24
	v_add_co_ci_u32_e64 v25, null, s47, v25, vcc_lo
	s_waitcnt lgkmcnt(0)
	global_store_dwordx2 v[24:25], v[21:22], off
	s_or_b32 exec_lo, exec_lo, s21
	s_and_saveexec_b32 s21, s24
	s_cbranch_execz .LBB1870_310
.LBB1870_342:                           ;   in Loop: Header=BB1870_233 Depth=2
	v_lshlrev_b32_e32 v3, 2, v100
	v_add_nc_u32_e32 v21, v47, v48
	ds_read_b32 v3, v3
	ds_read_b64 v[21:22], v21 offset:9216
	s_waitcnt lgkmcnt(1)
	v_add_nc_u32_e32 v3, v3, v35
	v_lshlrev_b64 v[24:25], 3, v[3:4]
	v_add_co_u32 v24, vcc_lo, s46, v24
	v_add_co_ci_u32_e64 v25, null, s47, v25, vcc_lo
	s_waitcnt lgkmcnt(0)
	global_store_dwordx2 v[24:25], v[21:22], off
	s_or_b32 exec_lo, exec_lo, s21
	s_and_saveexec_b32 s21, s25
	s_cbranch_execz .LBB1870_311
.LBB1870_343:                           ;   in Loop: Header=BB1870_233 Depth=2
	v_lshlrev_b32_e32 v3, 2, v99
	v_add_nc_u32_e32 v21, v47, v48
	ds_read_b32 v3, v3
	ds_read_b64 v[21:22], v21 offset:11264
	s_waitcnt lgkmcnt(1)
	v_add_nc_u32_e32 v3, v3, v36
	v_lshlrev_b64 v[24:25], 3, v[3:4]
	v_add_co_u32 v24, vcc_lo, s46, v24
	v_add_co_ci_u32_e64 v25, null, s47, v25, vcc_lo
	s_waitcnt lgkmcnt(0)
	global_store_dwordx2 v[24:25], v[21:22], off
	s_or_b32 exec_lo, exec_lo, s21
	s_and_saveexec_b32 s21, s26
	s_cbranch_execz .LBB1870_312
.LBB1870_344:                           ;   in Loop: Header=BB1870_233 Depth=2
	v_lshlrev_b32_e32 v3, 2, v98
	v_add_nc_u32_e32 v21, v47, v48
	ds_read_b32 v3, v3
	ds_read_b64 v[21:22], v21 offset:13312
	s_waitcnt lgkmcnt(1)
	v_add_nc_u32_e32 v3, v3, v37
	v_lshlrev_b64 v[24:25], 3, v[3:4]
	v_add_co_u32 v24, vcc_lo, s46, v24
	v_add_co_ci_u32_e64 v25, null, s47, v25, vcc_lo
	s_waitcnt lgkmcnt(0)
	global_store_dwordx2 v[24:25], v[21:22], off
	s_or_b32 exec_lo, exec_lo, s21
	s_and_saveexec_b32 s21, s27
	s_cbranch_execnz .LBB1870_313
	s_branch .LBB1870_314
.LBB1870_345:                           ;   in Loop: Header=BB1870_17 Depth=1
	s_waitcnt lgkmcnt(0)
	s_barrier
.LBB1870_346:                           ;   in Loop: Header=BB1870_17 Depth=1
	s_mov_b32 s5, 0
.LBB1870_347:                           ;   in Loop: Header=BB1870_17 Depth=1
	s_andn2_b32 vcc_lo, exec_lo, s5
	s_cbranch_vccnz .LBB1870_16
; %bb.348:                              ;   in Loop: Header=BB1870_17 Depth=1
	s_and_b32 vcc_lo, exec_lo, s51
	s_mov_b32 s5, -1
	s_cbranch_vccz .LBB1870_512
; %bb.349:                              ;   in Loop: Header=BB1870_17 Depth=1
	s_mov_b32 s5, s53
	s_mov_b32 s34, s33
	s_barrier
	buffer_gl0_inv
                                        ; implicit-def: $vgpr3
                                        ; implicit-def: $vgpr5
                                        ; implicit-def: $vgpr6
                                        ; implicit-def: $vgpr7
                                        ; implicit-def: $vgpr8
                                        ; implicit-def: $vgpr9
                                        ; implicit-def: $vgpr10
                                        ; implicit-def: $vgpr11
	s_branch .LBB1870_351
.LBB1870_350:                           ;   in Loop: Header=BB1870_351 Depth=2
	s_or_b32 exec_lo, exec_lo, s14
	s_addk_i32 s5, 0xf800
	s_cmp_ge_u32 s16, s52
	s_mov_b32 s34, s16
	s_cbranch_scc1 .LBB1870_387
.LBB1870_351:                           ;   Parent Loop BB1870_17 Depth=1
                                        ; =>  This Inner Loop Header: Depth=2
	s_add_i32 s16, s34, 0x800
	s_mov_b32 s14, -1
	s_cmp_gt_u32 s16, s52
                                        ; implicit-def: $vgpr12
                                        ; implicit-def: $vgpr13
                                        ; implicit-def: $vgpr14
                                        ; implicit-def: $vgpr15
                                        ; implicit-def: $vgpr16
                                        ; implicit-def: $vgpr17
                                        ; implicit-def: $vgpr18
                                        ; implicit-def: $vgpr19
	s_cbranch_scc1 .LBB1870_353
; %bb.352:                              ;   in Loop: Header=BB1870_351 Depth=2
	s_lshl_b64 s[14:15], s[34:35], 1
	v_add_co_u32 v15, vcc_lo, v55, s14
	v_add_co_ci_u32_e64 v16, null, s15, v56, vcc_lo
	s_mov_b32 s14, 0
	v_add_co_u32 v19, vcc_lo, 0x800, v15
	v_add_co_ci_u32_e64 v20, null, 0, v16, vcc_lo
	s_clause 0x7
	global_load_ushort v12, v[15:16], off
	global_load_ushort v13, v[15:16], off offset:512
	global_load_ushort v14, v[15:16], off offset:1024
	;; [unrolled: 1-line block ×3, first 2 shown]
	global_load_ushort v16, v[19:20], off
	global_load_ushort v17, v[19:20], off offset:512
	global_load_ushort v18, v[19:20], off offset:1024
	;; [unrolled: 1-line block ×3, first 2 shown]
.LBB1870_353:                           ;   in Loop: Header=BB1870_351 Depth=2
	s_andn2_b32 vcc_lo, exec_lo, s14
	s_movk_i32 s14, 0x800
	s_cbranch_vccnz .LBB1870_364
; %bb.354:                              ;   in Loop: Header=BB1870_351 Depth=2
	s_lshl_b64 s[14:15], s[34:35], 1
	s_mov_b32 s17, exec_lo
	s_add_u32 s14, s36, s14
	s_addc_u32 s15, s37, s15
	v_cmpx_gt_u32_e64 s5, v0
	s_cbranch_execnz .LBB1870_380
; %bb.355:                              ;   in Loop: Header=BB1870_351 Depth=2
	s_or_b32 exec_lo, exec_lo, s17
	s_mov_b32 s17, exec_lo
	v_cmpx_gt_u32_e64 s5, v30
	s_cbranch_execnz .LBB1870_381
.LBB1870_356:                           ;   in Loop: Header=BB1870_351 Depth=2
	s_or_b32 exec_lo, exec_lo, s17
	s_mov_b32 s17, exec_lo
	v_cmpx_gt_u32_e64 s5, v31
	s_cbranch_execnz .LBB1870_382
.LBB1870_357:                           ;   in Loop: Header=BB1870_351 Depth=2
	s_or_b32 exec_lo, exec_lo, s17
	s_mov_b32 s17, exec_lo
	v_cmpx_gt_u32_e64 s5, v32
	s_cbranch_execnz .LBB1870_383
.LBB1870_358:                           ;   in Loop: Header=BB1870_351 Depth=2
	s_or_b32 exec_lo, exec_lo, s17
	s_mov_b32 s17, exec_lo
	v_cmpx_gt_u32_e64 s5, v35
	s_cbranch_execnz .LBB1870_384
.LBB1870_359:                           ;   in Loop: Header=BB1870_351 Depth=2
	s_or_b32 exec_lo, exec_lo, s17
	s_mov_b32 s17, exec_lo
	v_cmpx_gt_u32_e64 s5, v36
	s_cbranch_execnz .LBB1870_385
.LBB1870_360:                           ;   in Loop: Header=BB1870_351 Depth=2
	s_or_b32 exec_lo, exec_lo, s17
	s_mov_b32 s17, exec_lo
	v_cmpx_gt_u32_e64 s5, v37
	s_cbranch_execnz .LBB1870_386
.LBB1870_361:                           ;   in Loop: Header=BB1870_351 Depth=2
	s_or_b32 exec_lo, exec_lo, s17
	s_mov_b32 s17, exec_lo
	v_cmpx_gt_u32_e64 s5, v38
	s_cbranch_execz .LBB1870_363
.LBB1870_362:                           ;   in Loop: Header=BB1870_351 Depth=2
	global_load_ushort v3, v87, s[14:15]
.LBB1870_363:                           ;   in Loop: Header=BB1870_351 Depth=2
	s_or_b32 exec_lo, exec_lo, s17
	s_waitcnt vmcnt(0)
	v_mov_b32_e32 v12, v11
	v_mov_b32_e32 v13, v10
	;; [unrolled: 1-line block ×8, first 2 shown]
	s_mov_b32 s14, s5
.LBB1870_364:                           ;   in Loop: Header=BB1870_351 Depth=2
	s_waitcnt vmcnt(0)
	v_mov_b32_e32 v3, v19
	v_mov_b32_e32 v5, v18
	;; [unrolled: 1-line block ×8, first 2 shown]
	s_mov_b32 s15, exec_lo
	v_cmpx_gt_u32_e64 s14, v0
	s_cbranch_execnz .LBB1870_372
; %bb.365:                              ;   in Loop: Header=BB1870_351 Depth=2
	s_or_b32 exec_lo, exec_lo, s15
	s_mov_b32 s15, exec_lo
	v_cmpx_gt_u32_e64 s14, v30
	s_cbranch_execnz .LBB1870_373
.LBB1870_366:                           ;   in Loop: Header=BB1870_351 Depth=2
	s_or_b32 exec_lo, exec_lo, s15
	s_mov_b32 s15, exec_lo
	v_cmpx_gt_u32_e64 s14, v31
	s_cbranch_execnz .LBB1870_374
.LBB1870_367:                           ;   in Loop: Header=BB1870_351 Depth=2
	s_or_b32 exec_lo, exec_lo, s15
	s_mov_b32 s15, exec_lo
	v_cmpx_gt_u32_e64 s14, v32
	s_cbranch_execnz .LBB1870_375
.LBB1870_368:                           ;   in Loop: Header=BB1870_351 Depth=2
	s_or_b32 exec_lo, exec_lo, s15
	s_mov_b32 s15, exec_lo
	v_cmpx_gt_u32_e64 s14, v35
	s_cbranch_execnz .LBB1870_376
.LBB1870_369:                           ;   in Loop: Header=BB1870_351 Depth=2
	s_or_b32 exec_lo, exec_lo, s15
	s_mov_b32 s15, exec_lo
	v_cmpx_gt_u32_e64 s14, v36
	s_cbranch_execnz .LBB1870_377
.LBB1870_370:                           ;   in Loop: Header=BB1870_351 Depth=2
	s_or_b32 exec_lo, exec_lo, s15
	s_mov_b32 s15, exec_lo
	v_cmpx_gt_u32_e64 s14, v37
	s_cbranch_execnz .LBB1870_378
.LBB1870_371:                           ;   in Loop: Header=BB1870_351 Depth=2
	s_or_b32 exec_lo, exec_lo, s15
	v_cmp_gt_u32_e32 vcc_lo, s14, v38
	s_and_saveexec_b32 s14, vcc_lo
	s_cbranch_execz .LBB1870_350
	s_branch .LBB1870_379
.LBB1870_372:                           ;   in Loop: Header=BB1870_351 Depth=2
	v_cmp_lt_i16_e32 vcc_lo, -1, v11
	v_cndmask_b32_e64 v12, -1, 0xffff8000, vcc_lo
	v_xor_b32_e32 v12, v12, v11
	v_cmp_ne_u16_e32 vcc_lo, 0x7fff, v12
	v_cndmask_b32_e32 v12, 0xffff8000, v12, vcc_lo
	v_lshrrev_b32_sdwa v12, s49, v12 dst_sel:DWORD dst_unused:UNUSED_PAD src0_sel:DWORD src1_sel:WORD_0
	v_and_b32_e32 v12, s42, v12
	v_lshl_or_b32 v12, v12, 4, v40
	ds_add_u32 v12, v62
	s_or_b32 exec_lo, exec_lo, s15
	s_mov_b32 s15, exec_lo
	v_cmpx_gt_u32_e64 s14, v30
	s_cbranch_execz .LBB1870_366
.LBB1870_373:                           ;   in Loop: Header=BB1870_351 Depth=2
	v_cmp_lt_i16_e32 vcc_lo, -1, v10
	v_cndmask_b32_e64 v12, -1, 0xffff8000, vcc_lo
	v_xor_b32_e32 v12, v12, v10
	v_cmp_ne_u16_e32 vcc_lo, 0x7fff, v12
	v_cndmask_b32_e32 v12, 0xffff8000, v12, vcc_lo
	v_lshrrev_b32_sdwa v12, s49, v12 dst_sel:DWORD dst_unused:UNUSED_PAD src0_sel:DWORD src1_sel:WORD_0
	v_and_b32_e32 v12, s42, v12
	v_lshl_or_b32 v12, v12, 4, v40
	ds_add_u32 v12, v62
	s_or_b32 exec_lo, exec_lo, s15
	s_mov_b32 s15, exec_lo
	v_cmpx_gt_u32_e64 s14, v31
	s_cbranch_execz .LBB1870_367
.LBB1870_374:                           ;   in Loop: Header=BB1870_351 Depth=2
	v_cmp_lt_i16_e32 vcc_lo, -1, v9
	v_cndmask_b32_e64 v12, -1, 0xffff8000, vcc_lo
	v_xor_b32_e32 v12, v12, v9
	v_cmp_ne_u16_e32 vcc_lo, 0x7fff, v12
	v_cndmask_b32_e32 v12, 0xffff8000, v12, vcc_lo
	v_lshrrev_b32_sdwa v12, s49, v12 dst_sel:DWORD dst_unused:UNUSED_PAD src0_sel:DWORD src1_sel:WORD_0
	v_and_b32_e32 v12, s42, v12
	v_lshl_or_b32 v12, v12, 4, v40
	ds_add_u32 v12, v62
	s_or_b32 exec_lo, exec_lo, s15
	s_mov_b32 s15, exec_lo
	v_cmpx_gt_u32_e64 s14, v32
	s_cbranch_execz .LBB1870_368
.LBB1870_375:                           ;   in Loop: Header=BB1870_351 Depth=2
	v_cmp_lt_i16_e32 vcc_lo, -1, v8
	v_cndmask_b32_e64 v12, -1, 0xffff8000, vcc_lo
	v_xor_b32_e32 v12, v12, v8
	v_cmp_ne_u16_e32 vcc_lo, 0x7fff, v12
	v_cndmask_b32_e32 v12, 0xffff8000, v12, vcc_lo
	v_lshrrev_b32_sdwa v12, s49, v12 dst_sel:DWORD dst_unused:UNUSED_PAD src0_sel:DWORD src1_sel:WORD_0
	v_and_b32_e32 v12, s42, v12
	v_lshl_or_b32 v12, v12, 4, v40
	ds_add_u32 v12, v62
	s_or_b32 exec_lo, exec_lo, s15
	s_mov_b32 s15, exec_lo
	v_cmpx_gt_u32_e64 s14, v35
	s_cbranch_execz .LBB1870_369
.LBB1870_376:                           ;   in Loop: Header=BB1870_351 Depth=2
	v_cmp_lt_i16_e32 vcc_lo, -1, v7
	v_cndmask_b32_e64 v12, -1, 0xffff8000, vcc_lo
	v_xor_b32_e32 v12, v12, v7
	v_cmp_ne_u16_e32 vcc_lo, 0x7fff, v12
	v_cndmask_b32_e32 v12, 0xffff8000, v12, vcc_lo
	v_lshrrev_b32_sdwa v12, s49, v12 dst_sel:DWORD dst_unused:UNUSED_PAD src0_sel:DWORD src1_sel:WORD_0
	v_and_b32_e32 v12, s42, v12
	v_lshl_or_b32 v12, v12, 4, v40
	ds_add_u32 v12, v62
	s_or_b32 exec_lo, exec_lo, s15
	s_mov_b32 s15, exec_lo
	v_cmpx_gt_u32_e64 s14, v36
	s_cbranch_execz .LBB1870_370
.LBB1870_377:                           ;   in Loop: Header=BB1870_351 Depth=2
	v_cmp_lt_i16_e32 vcc_lo, -1, v6
	v_cndmask_b32_e64 v12, -1, 0xffff8000, vcc_lo
	v_xor_b32_e32 v12, v12, v6
	v_cmp_ne_u16_e32 vcc_lo, 0x7fff, v12
	v_cndmask_b32_e32 v12, 0xffff8000, v12, vcc_lo
	v_lshrrev_b32_sdwa v12, s49, v12 dst_sel:DWORD dst_unused:UNUSED_PAD src0_sel:DWORD src1_sel:WORD_0
	v_and_b32_e32 v12, s42, v12
	v_lshl_or_b32 v12, v12, 4, v40
	ds_add_u32 v12, v62
	s_or_b32 exec_lo, exec_lo, s15
	s_mov_b32 s15, exec_lo
	v_cmpx_gt_u32_e64 s14, v37
	s_cbranch_execz .LBB1870_371
.LBB1870_378:                           ;   in Loop: Header=BB1870_351 Depth=2
	v_cmp_lt_i16_e32 vcc_lo, -1, v5
	v_cndmask_b32_e64 v12, -1, 0xffff8000, vcc_lo
	v_xor_b32_e32 v12, v12, v5
	v_cmp_ne_u16_e32 vcc_lo, 0x7fff, v12
	v_cndmask_b32_e32 v12, 0xffff8000, v12, vcc_lo
	v_lshrrev_b32_sdwa v12, s49, v12 dst_sel:DWORD dst_unused:UNUSED_PAD src0_sel:DWORD src1_sel:WORD_0
	v_and_b32_e32 v12, s42, v12
	v_lshl_or_b32 v12, v12, 4, v40
	ds_add_u32 v12, v62
	s_or_b32 exec_lo, exec_lo, s15
	v_cmp_gt_u32_e32 vcc_lo, s14, v38
	s_and_saveexec_b32 s14, vcc_lo
	s_cbranch_execz .LBB1870_350
.LBB1870_379:                           ;   in Loop: Header=BB1870_351 Depth=2
	v_cmp_lt_i16_e32 vcc_lo, -1, v3
	v_cndmask_b32_e64 v12, -1, 0xffff8000, vcc_lo
	v_xor_b32_e32 v12, v12, v3
	v_cmp_ne_u16_e32 vcc_lo, 0x7fff, v12
	v_cndmask_b32_e32 v12, 0xffff8000, v12, vcc_lo
	v_lshrrev_b32_sdwa v12, s49, v12 dst_sel:DWORD dst_unused:UNUSED_PAD src0_sel:DWORD src1_sel:WORD_0
	v_and_b32_e32 v12, s42, v12
	v_lshl_or_b32 v12, v12, 4, v40
	ds_add_u32 v12, v62
	s_branch .LBB1870_350
.LBB1870_380:                           ;   in Loop: Header=BB1870_351 Depth=2
	global_load_ushort v11, v79, s[14:15]
	s_or_b32 exec_lo, exec_lo, s17
	s_mov_b32 s17, exec_lo
	v_cmpx_gt_u32_e64 s5, v30
	s_cbranch_execz .LBB1870_356
.LBB1870_381:                           ;   in Loop: Header=BB1870_351 Depth=2
	global_load_ushort v10, v79, s[14:15] offset:512
	s_or_b32 exec_lo, exec_lo, s17
	s_mov_b32 s17, exec_lo
	v_cmpx_gt_u32_e64 s5, v31
	s_cbranch_execz .LBB1870_357
.LBB1870_382:                           ;   in Loop: Header=BB1870_351 Depth=2
	global_load_ushort v9, v79, s[14:15] offset:1024
	s_or_b32 exec_lo, exec_lo, s17
	s_mov_b32 s17, exec_lo
	v_cmpx_gt_u32_e64 s5, v32
	s_cbranch_execz .LBB1870_358
.LBB1870_383:                           ;   in Loop: Header=BB1870_351 Depth=2
	global_load_ushort v8, v79, s[14:15] offset:1536
	s_or_b32 exec_lo, exec_lo, s17
	s_mov_b32 s17, exec_lo
	v_cmpx_gt_u32_e64 s5, v35
	s_cbranch_execz .LBB1870_359
.LBB1870_384:                           ;   in Loop: Header=BB1870_351 Depth=2
	global_load_ushort v7, v80, s[14:15]
	s_or_b32 exec_lo, exec_lo, s17
	s_mov_b32 s17, exec_lo
	v_cmpx_gt_u32_e64 s5, v36
	s_cbranch_execz .LBB1870_360
.LBB1870_385:                           ;   in Loop: Header=BB1870_351 Depth=2
	global_load_ushort v6, v81, s[14:15]
	s_or_b32 exec_lo, exec_lo, s17
	s_mov_b32 s17, exec_lo
	v_cmpx_gt_u32_e64 s5, v37
	s_cbranch_execz .LBB1870_361
.LBB1870_386:                           ;   in Loop: Header=BB1870_351 Depth=2
	global_load_ushort v5, v82, s[14:15]
	s_or_b32 exec_lo, exec_lo, s17
	s_mov_b32 s17, exec_lo
	v_cmpx_gt_u32_e64 s5, v38
	s_cbranch_execnz .LBB1870_362
	s_branch .LBB1870_363
.LBB1870_387:                           ;   in Loop: Header=BB1870_17 Depth=1
	v_mov_b32_e32 v3, 0
	s_waitcnt lgkmcnt(0)
	s_barrier
	buffer_gl0_inv
	s_and_saveexec_b32 s5, s8
	s_cbranch_execz .LBB1870_389
; %bb.388:                              ;   in Loop: Header=BB1870_17 Depth=1
	ds_read2_b64 v[5:8], v41 offset1:1
	s_waitcnt lgkmcnt(0)
	v_add_nc_u32_e32 v3, v6, v5
	v_add3_u32 v3, v3, v7, v8
.LBB1870_389:                           ;   in Loop: Header=BB1870_17 Depth=1
	s_or_b32 exec_lo, exec_lo, s5
	v_mov_b32_dpp v5, v3 row_shr:1 row_mask:0xf bank_mask:0xf
	v_cmp_eq_u32_e64 s5, 0, v63
	v_cmp_lt_u32_e64 s14, 1, v63
	v_cmp_lt_u32_e64 s15, 3, v63
	;; [unrolled: 1-line block ×3, first 2 shown]
	v_cmp_eq_u32_e64 s17, 0, v65
	v_cndmask_b32_e64 v5, v5, 0, s5
	v_add_nc_u32_e32 v3, v5, v3
	v_mov_b32_dpp v5, v3 row_shr:2 row_mask:0xf bank_mask:0xf
	v_cndmask_b32_e64 v5, 0, v5, s14
	v_add_nc_u32_e32 v3, v3, v5
	v_mov_b32_dpp v5, v3 row_shr:4 row_mask:0xf bank_mask:0xf
	;; [unrolled: 3-line block ×3, first 2 shown]
	v_cndmask_b32_e64 v5, 0, v5, s16
	v_add_nc_u32_e32 v3, v3, v5
	ds_swizzle_b32 v5, v3 offset:swizzle(BROADCAST,32,15)
	s_waitcnt lgkmcnt(0)
	v_and_b32_e32 v5, v64, v5
	v_add_nc_u32_e32 v3, v3, v5
	s_and_saveexec_b32 s18, s9
; %bb.390:                              ;   in Loop: Header=BB1870_17 Depth=1
	ds_write_b32 v42, v3
; %bb.391:                              ;   in Loop: Header=BB1870_17 Depth=1
	s_or_b32 exec_lo, exec_lo, s18
	s_waitcnt lgkmcnt(0)
	s_barrier
	buffer_gl0_inv
	s_and_saveexec_b32 s18, s10
	s_cbranch_execz .LBB1870_393
; %bb.392:                              ;   in Loop: Header=BB1870_17 Depth=1
	ds_read_b32 v5, v43
	v_cmp_ne_u32_e32 vcc_lo, 0, v67
	s_waitcnt lgkmcnt(0)
	v_mov_b32_dpp v6, v5 row_shr:1 row_mask:0xf bank_mask:0xf
	v_cndmask_b32_e32 v6, 0, v6, vcc_lo
	v_cmp_lt_u32_e32 vcc_lo, 1, v67
	v_add_nc_u32_e32 v5, v6, v5
	v_mov_b32_dpp v6, v5 row_shr:2 row_mask:0xf bank_mask:0xf
	v_cndmask_b32_e32 v6, 0, v6, vcc_lo
	v_cmp_lt_u32_e32 vcc_lo, 3, v67
	v_add_nc_u32_e32 v5, v5, v6
	v_mov_b32_dpp v6, v5 row_shr:4 row_mask:0xf bank_mask:0xf
	v_cndmask_b32_e32 v6, 0, v6, vcc_lo
	v_add_nc_u32_e32 v5, v5, v6
	ds_write_b32 v43, v5
.LBB1870_393:                           ;   in Loop: Header=BB1870_17 Depth=1
	s_or_b32 exec_lo, exec_lo, s18
	v_mov_b32_e32 v5, 0
	s_waitcnt lgkmcnt(0)
	s_barrier
	buffer_gl0_inv
	s_and_saveexec_b32 s18, s11
; %bb.394:                              ;   in Loop: Header=BB1870_17 Depth=1
	ds_read_b32 v5, v45
; %bb.395:                              ;   in Loop: Header=BB1870_17 Depth=1
	s_or_b32 exec_lo, exec_lo, s18
	v_cmp_gt_i32_e32 vcc_lo, 0, v68
	s_waitcnt lgkmcnt(0)
	v_add_nc_u32_e32 v3, v5, v3
	s_barrier
	buffer_gl0_inv
	v_cndmask_b32_e32 v6, v68, v59, vcc_lo
	v_lshlrev_b32_e32 v91, 2, v6
	ds_bpermute_b32 v3, v91, v3
	s_and_saveexec_b32 s18, s8
	s_cbranch_execz .LBB1870_397
; %bb.396:                              ;   in Loop: Header=BB1870_17 Depth=1
	s_waitcnt lgkmcnt(0)
	v_cndmask_b32_e64 v3, v3, v5, s13
	v_add_nc_u32_e32 v3, s33, v3
	ds_write_b32 v29, v3
.LBB1870_397:                           ;   in Loop: Header=BB1870_17 Depth=1
	s_or_b32 exec_lo, exec_lo, s18
	s_load_dwordx2 s[18:19], s[30:31], 0x0
	v_add_co_u32 v92, vcc_lo, v57, v69
	v_add_co_ci_u32_e64 v93, null, 0, v58, vcc_lo
	v_add_co_u32 v94, vcc_lo, v60, v77
	v_add_co_ci_u32_e64 v95, null, 0, v61, vcc_lo
	s_mov_b32 s43, s53
	s_mov_b32 s34, s33
                                        ; implicit-def: $vgpr7_vgpr8
                                        ; implicit-def: $vgpr9_vgpr10
                                        ; implicit-def: $vgpr11_vgpr12
                                        ; implicit-def: $vgpr13_vgpr14
                                        ; implicit-def: $vgpr15_vgpr16
                                        ; implicit-def: $vgpr17_vgpr18
                                        ; implicit-def: $vgpr19_vgpr20
                                        ; implicit-def: $vgpr97
                                        ; implicit-def: $vgpr98
                                        ; implicit-def: $vgpr99
                                        ; implicit-def: $vgpr100
                                        ; implicit-def: $vgpr101
                                        ; implicit-def: $vgpr102
                                        ; implicit-def: $vgpr103
                                        ; implicit-def: $vgpr104
	s_waitcnt lgkmcnt(0)
	s_cmp_lt_u32 s7, s19
	s_cselect_b32 s19, 14, 20
	s_add_u32 s20, s30, s19
	s_addc_u32 s21, s31, 0
	s_cmp_lt_u32 s6, s18
	global_load_ushort v3, v4, s[20:21]
	s_cselect_b32 s18, 12, 18
	s_add_u32 s18, s30, s18
	s_addc_u32 s19, s31, 0
	global_load_ushort v5, v4, s[18:19]
	v_cmp_eq_u32_e64 s18, 0, v67
	v_cmp_lt_u32_e64 s19, 1, v67
	v_cmp_lt_u32_e64 s20, 3, v67
	s_waitcnt vmcnt(1)
	v_mad_u32_u24 v3, v2, v3, v1
	s_waitcnt vmcnt(0)
	v_mad_u64_u32 v[5:6], null, v3, v5, v[0:1]
	v_lshrrev_b32_e32 v3, 3, v5
                                        ; implicit-def: $vgpr5_vgpr6
	v_and_b32_e32 v96, 0x1ffffffc, v3
	s_branch .LBB1870_399
.LBB1870_398:                           ;   in Loop: Header=BB1870_399 Depth=2
	s_or_b32 exec_lo, exec_lo, s21
	s_addk_i32 s43, 0xf800
	s_cmp_lt_u32 s48, s52
	s_mov_b32 s34, s48
	s_cbranch_scc0 .LBB1870_511
.LBB1870_399:                           ;   Parent Loop BB1870_17 Depth=1
                                        ; =>  This Inner Loop Header: Depth=2
	s_add_i32 s48, s34, 0x800
	s_cmp_gt_u32 s48, s52
	s_cbranch_scc1 .LBB1870_401
; %bb.400:                              ;   in Loop: Header=BB1870_399 Depth=2
	s_lshl_b64 s[22:23], s[34:35], 1
	s_mov_b32 s21, -1
	v_add_co_u32 v21, vcc_lo, v94, s22
	v_add_co_ci_u32_e64 v22, null, s23, v95, vcc_lo
	s_clause 0x6
	global_load_ushort v3, v[21:22], off
	global_load_ushort v28, v[21:22], off offset:64
	global_load_ushort v27, v[21:22], off offset:128
	global_load_ushort v26, v[21:22], off offset:192
	global_load_ushort v25, v[21:22], off offset:256
	global_load_ushort v24, v[21:22], off offset:320
	global_load_ushort v23, v[21:22], off offset:384
	s_movk_i32 s22, 0x800
	s_cbranch_execz .LBB1870_402
	s_branch .LBB1870_417
.LBB1870_401:                           ;   in Loop: Header=BB1870_399 Depth=2
	s_mov_b32 s21, 0
                                        ; implicit-def: $vgpr3
                                        ; implicit-def: $vgpr28
                                        ; implicit-def: $vgpr27
                                        ; implicit-def: $vgpr26
                                        ; implicit-def: $vgpr25
                                        ; implicit-def: $vgpr24
                                        ; implicit-def: $vgpr23
	s_movk_i32 s22, 0x800
.LBB1870_402:                           ;   in Loop: Header=BB1870_399 Depth=2
	s_lshl_b64 s[22:23], s[34:35], 1
	s_waitcnt vmcnt(5)
	v_mov_b32_e32 v28, 0x7fff
	v_add_co_u32 v21, vcc_lo, v94, s22
	v_add_co_ci_u32_e64 v22, null, s23, v95, vcc_lo
	v_mov_b32_e32 v3, 0x7fff
	s_mov_b32 s21, exec_lo
	v_cmpx_gt_u32_e64 s43, v66
	s_cbranch_execz .LBB1870_404
; %bb.403:                              ;   in Loop: Header=BB1870_399 Depth=2
	global_load_ushort v3, v[21:22], off
.LBB1870_404:                           ;   in Loop: Header=BB1870_399 Depth=2
	s_or_b32 exec_lo, exec_lo, s21
	s_mov_b32 s21, exec_lo
	v_cmpx_gt_u32_e64 s43, v70
	s_cbranch_execz .LBB1870_406
; %bb.405:                              ;   in Loop: Header=BB1870_399 Depth=2
	global_load_ushort v28, v[21:22], off offset:64
.LBB1870_406:                           ;   in Loop: Header=BB1870_399 Depth=2
	s_or_b32 exec_lo, exec_lo, s21
	s_waitcnt vmcnt(3)
	v_mov_b32_e32 v26, 0x7fff
	v_mov_b32_e32 v27, 0x7fff
	s_mov_b32 s21, exec_lo
	v_cmpx_gt_u32_e64 s43, v71
	s_cbranch_execz .LBB1870_408
; %bb.407:                              ;   in Loop: Header=BB1870_399 Depth=2
	global_load_ushort v27, v[21:22], off offset:128
.LBB1870_408:                           ;   in Loop: Header=BB1870_399 Depth=2
	s_or_b32 exec_lo, exec_lo, s21
	s_mov_b32 s21, exec_lo
	v_cmpx_gt_u32_e64 s43, v72
	s_cbranch_execz .LBB1870_410
; %bb.409:                              ;   in Loop: Header=BB1870_399 Depth=2
	global_load_ushort v26, v[21:22], off offset:192
.LBB1870_410:                           ;   in Loop: Header=BB1870_399 Depth=2
	s_or_b32 exec_lo, exec_lo, s21
	s_waitcnt vmcnt(1)
	v_mov_b32_e32 v24, 0x7fff
	v_mov_b32_e32 v25, 0x7fff
	s_mov_b32 s21, exec_lo
	v_cmpx_gt_u32_e64 s43, v73
	s_cbranch_execz .LBB1870_412
; %bb.411:                              ;   in Loop: Header=BB1870_399 Depth=2
	global_load_ushort v25, v[21:22], off offset:256
.LBB1870_412:                           ;   in Loop: Header=BB1870_399 Depth=2
	s_or_b32 exec_lo, exec_lo, s21
	s_mov_b32 s21, exec_lo
	v_cmpx_gt_u32_e64 s43, v74
	s_cbranch_execz .LBB1870_414
; %bb.413:                              ;   in Loop: Header=BB1870_399 Depth=2
	global_load_ushort v24, v[21:22], off offset:320
.LBB1870_414:                           ;   in Loop: Header=BB1870_399 Depth=2
	s_or_b32 exec_lo, exec_lo, s21
	s_waitcnt vmcnt(0)
	v_mov_b32_e32 v23, 0x7fff
	s_mov_b32 s21, exec_lo
	v_cmpx_gt_u32_e64 s43, v75
	s_cbranch_execz .LBB1870_416
; %bb.415:                              ;   in Loop: Header=BB1870_399 Depth=2
	global_load_ushort v23, v[21:22], off offset:384
.LBB1870_416:                           ;   in Loop: Header=BB1870_399 Depth=2
	s_or_b32 exec_lo, exec_lo, s21
	v_cmp_gt_u32_e64 s21, s43, v76
	s_sub_i32 s22, s52, s34
.LBB1870_417:                           ;   in Loop: Header=BB1870_399 Depth=2
	v_mov_b32_e32 v21, 0x7fff
	v_mov_b32_e32 v105, s43
	s_and_saveexec_b32 s23, s21
	s_cbranch_execz .LBB1870_419
; %bb.418:                              ;   in Loop: Header=BB1870_399 Depth=2
	s_lshl_b64 s[24:25], s[34:35], 1
	v_mov_b32_e32 v105, s22
	v_add_co_u32 v21, vcc_lo, v94, s24
	v_add_co_ci_u32_e64 v22, null, s25, v95, vcc_lo
	global_load_ushort v21, v[21:22], off offset:448
.LBB1870_419:                           ;   in Loop: Header=BB1870_399 Depth=2
	s_or_b32 exec_lo, exec_lo, s23
	s_waitcnt vmcnt(6)
	v_cmp_lt_i16_e32 vcc_lo, -1, v3
	ds_write2_b32 v78, v4, v4 offset1:1
	ds_write2_b32 v88, v4, v4 offset1:1
	ds_write2_b32 v89, v4, v4 offset1:1
	ds_write2_b32 v90, v4, v4 offset1:1
	ds_write_b32 v44, v4 offset:1088
	s_waitcnt vmcnt(0) lgkmcnt(0)
	s_barrier
	v_cndmask_b32_e64 v22, -1, 0xffff8000, vcc_lo
	buffer_gl0_inv
	; wave barrier
	v_xor_b32_e32 v3, v22, v3
	v_cmp_ne_u16_e32 vcc_lo, 0x7fff, v3
	v_cndmask_b32_e32 v22, 0xffff8000, v3, vcc_lo
	v_lshrrev_b32_sdwa v22, s49, v22 dst_sel:DWORD dst_unused:UNUSED_PAD src0_sel:DWORD src1_sel:WORD_0
	v_and_b32_e32 v107, s42, v22
	v_and_b32_e32 v22, 1, v107
	v_lshlrev_b32_e32 v106, 30, v107
	v_lshlrev_b32_e32 v108, 29, v107
	;; [unrolled: 1-line block ×4, first 2 shown]
	v_add_co_u32 v22, s21, v22, -1
	v_cndmask_b32_e64 v110, 0, 1, s21
	v_not_b32_e32 v114, v106
	v_cmp_gt_i32_e64 s21, 0, v106
	v_not_b32_e32 v106, v108
	v_lshlrev_b32_e32 v112, 26, v107
	v_cmp_ne_u32_e32 vcc_lo, 0, v110
	v_ashrrev_i32_e32 v114, 31, v114
	v_lshlrev_b32_e32 v113, 25, v107
	v_ashrrev_i32_e32 v106, 31, v106
	v_lshlrev_b32_e32 v110, 24, v107
	v_xor_b32_e32 v22, vcc_lo, v22
	v_cmp_gt_i32_e32 vcc_lo, 0, v108
	v_not_b32_e32 v108, v109
	v_xor_b32_e32 v114, s21, v114
	v_cmp_gt_i32_e64 s21, 0, v109
	v_and_b32_e32 v22, exec_lo, v22
	v_not_b32_e32 v109, v111
	v_ashrrev_i32_e32 v108, 31, v108
	v_xor_b32_e32 v106, vcc_lo, v106
	v_cmp_gt_i32_e32 vcc_lo, 0, v111
	v_and_b32_e32 v22, v22, v114
	v_not_b32_e32 v111, v112
	v_ashrrev_i32_e32 v109, 31, v109
	v_xor_b32_e32 v108, s21, v108
	v_cmp_gt_i32_e64 s21, 0, v112
	v_and_b32_e32 v22, v22, v106
	v_not_b32_e32 v106, v113
	v_ashrrev_i32_e32 v111, 31, v111
	v_xor_b32_e32 v109, vcc_lo, v109
	v_cmp_gt_i32_e32 vcc_lo, 0, v113
	v_and_b32_e32 v22, v22, v108
	v_not_b32_e32 v108, v110
	v_ashrrev_i32_e32 v106, 31, v106
	v_xor_b32_e32 v111, s21, v111
	v_cmp_gt_i32_e64 s21, 0, v110
	v_and_b32_e32 v22, v22, v109
	v_ashrrev_i32_e32 v108, 31, v108
	v_xor_b32_e32 v106, vcc_lo, v106
	v_mul_u32_u24_e32 v107, 36, v107
	v_and_b32_e32 v22, v22, v111
	v_xor_b32_e32 v108, s21, v108
	v_and_b32_e32 v22, v22, v106
	v_and_b32_e32 v22, v22, v108
	v_add_nc_u32_e32 v108, v96, v107
	v_mbcnt_lo_u32_b32 v106, v22, 0
	v_cmp_ne_u32_e64 s21, 0, v22
	v_cmp_eq_u32_e32 vcc_lo, 0, v106
	s_and_b32 s22, s21, vcc_lo
	s_and_saveexec_b32 s21, s22
; %bb.420:                              ;   in Loop: Header=BB1870_399 Depth=2
	v_bcnt_u32_b32 v22, v22, 0
	ds_write_b32 v108, v22 offset:1056
; %bb.421:                              ;   in Loop: Header=BB1870_399 Depth=2
	s_or_b32 exec_lo, exec_lo, s21
	v_cmp_lt_i16_e32 vcc_lo, -1, v28
	; wave barrier
	v_cndmask_b32_e64 v22, -1, 0xffff8000, vcc_lo
	v_xor_b32_e32 v107, v22, v28
	v_cmp_ne_u16_e32 vcc_lo, 0x7fff, v107
	v_cndmask_b32_e32 v22, 0xffff8000, v107, vcc_lo
	v_lshrrev_b32_sdwa v22, s49, v22 dst_sel:DWORD dst_unused:UNUSED_PAD src0_sel:DWORD src1_sel:WORD_0
	v_and_b32_e32 v28, s42, v22
	v_and_b32_e32 v22, 1, v28
	v_lshlrev_b32_e32 v109, 30, v28
	v_lshlrev_b32_e32 v110, 29, v28
	;; [unrolled: 1-line block ×4, first 2 shown]
	v_add_co_u32 v22, s21, v22, -1
	v_cndmask_b32_e64 v112, 0, 1, s21
	v_not_b32_e32 v116, v109
	v_cmp_gt_i32_e64 s21, 0, v109
	v_not_b32_e32 v109, v110
	v_lshlrev_b32_e32 v114, 26, v28
	v_cmp_ne_u32_e32 vcc_lo, 0, v112
	v_ashrrev_i32_e32 v116, 31, v116
	v_lshlrev_b32_e32 v115, 25, v28
	v_ashrrev_i32_e32 v109, 31, v109
	v_lshlrev_b32_e32 v112, 24, v28
	v_xor_b32_e32 v22, vcc_lo, v22
	v_cmp_gt_i32_e32 vcc_lo, 0, v110
	v_not_b32_e32 v110, v111
	v_xor_b32_e32 v116, s21, v116
	v_cmp_gt_i32_e64 s21, 0, v111
	v_and_b32_e32 v22, exec_lo, v22
	v_not_b32_e32 v111, v113
	v_ashrrev_i32_e32 v110, 31, v110
	v_xor_b32_e32 v109, vcc_lo, v109
	v_cmp_gt_i32_e32 vcc_lo, 0, v113
	v_and_b32_e32 v22, v22, v116
	v_not_b32_e32 v113, v114
	v_ashrrev_i32_e32 v111, 31, v111
	v_xor_b32_e32 v110, s21, v110
	v_cmp_gt_i32_e64 s21, 0, v114
	v_and_b32_e32 v22, v22, v109
	v_not_b32_e32 v109, v115
	v_ashrrev_i32_e32 v113, 31, v113
	v_xor_b32_e32 v111, vcc_lo, v111
	v_cmp_gt_i32_e32 vcc_lo, 0, v115
	v_and_b32_e32 v22, v22, v110
	v_not_b32_e32 v110, v112
	v_ashrrev_i32_e32 v109, 31, v109
	v_xor_b32_e32 v113, s21, v113
	v_cmp_gt_i32_e64 s21, 0, v112
	v_and_b32_e32 v22, v22, v111
	v_ashrrev_i32_e32 v110, 31, v110
	v_xor_b32_e32 v109, vcc_lo, v109
	v_mad_u32_u24 v111, v28, 36, v96
	v_mul_u32_u24_e32 v28, 36, v28
	v_and_b32_e32 v22, v22, v113
	v_xor_b32_e32 v110, s21, v110
	v_add_nc_u32_e32 v112, v96, v28
	v_and_b32_e32 v22, v22, v109
	ds_read_b32 v109, v111 offset:1056
	; wave barrier
	v_and_b32_e32 v22, v22, v110
	v_mbcnt_lo_u32_b32 v110, v22, 0
	v_cmp_ne_u32_e64 s21, 0, v22
	v_cmp_eq_u32_e32 vcc_lo, 0, v110
	s_and_b32 s22, s21, vcc_lo
	s_and_saveexec_b32 s21, s22
	s_cbranch_execz .LBB1870_423
; %bb.422:                              ;   in Loop: Header=BB1870_399 Depth=2
	s_waitcnt lgkmcnt(0)
	v_bcnt_u32_b32 v22, v22, v109
	ds_write_b32 v112, v22 offset:1056
.LBB1870_423:                           ;   in Loop: Header=BB1870_399 Depth=2
	s_or_b32 exec_lo, exec_lo, s21
	v_cmp_lt_i16_e32 vcc_lo, -1, v27
	; wave barrier
	v_cndmask_b32_e64 v22, -1, 0xffff8000, vcc_lo
	v_xor_b32_e32 v111, v22, v27
	v_cmp_ne_u16_e32 vcc_lo, 0x7fff, v111
	v_cndmask_b32_e32 v22, 0xffff8000, v111, vcc_lo
	v_lshrrev_b32_sdwa v22, s49, v22 dst_sel:DWORD dst_unused:UNUSED_PAD src0_sel:DWORD src1_sel:WORD_0
	v_and_b32_e32 v27, s42, v22
	v_and_b32_e32 v22, 1, v27
	v_lshlrev_b32_e32 v28, 30, v27
	v_lshlrev_b32_e32 v113, 29, v27
	;; [unrolled: 1-line block ×4, first 2 shown]
	v_add_co_u32 v22, s21, v22, -1
	v_cndmask_b32_e64 v115, 0, 1, s21
	v_not_b32_e32 v119, v28
	v_cmp_gt_i32_e64 s21, 0, v28
	v_not_b32_e32 v28, v113
	v_lshlrev_b32_e32 v117, 26, v27
	v_cmp_ne_u32_e32 vcc_lo, 0, v115
	v_ashrrev_i32_e32 v119, 31, v119
	v_lshlrev_b32_e32 v118, 25, v27
	v_ashrrev_i32_e32 v28, 31, v28
	v_lshlrev_b32_e32 v115, 24, v27
	v_xor_b32_e32 v22, vcc_lo, v22
	v_cmp_gt_i32_e32 vcc_lo, 0, v113
	v_not_b32_e32 v113, v114
	v_xor_b32_e32 v119, s21, v119
	v_cmp_gt_i32_e64 s21, 0, v114
	v_and_b32_e32 v22, exec_lo, v22
	v_not_b32_e32 v114, v116
	v_ashrrev_i32_e32 v113, 31, v113
	v_xor_b32_e32 v28, vcc_lo, v28
	v_cmp_gt_i32_e32 vcc_lo, 0, v116
	v_and_b32_e32 v22, v22, v119
	v_not_b32_e32 v116, v117
	v_ashrrev_i32_e32 v114, 31, v114
	v_xor_b32_e32 v113, s21, v113
	v_cmp_gt_i32_e64 s21, 0, v117
	v_and_b32_e32 v22, v22, v28
	v_not_b32_e32 v28, v118
	v_ashrrev_i32_e32 v116, 31, v116
	v_xor_b32_e32 v114, vcc_lo, v114
	v_cmp_gt_i32_e32 vcc_lo, 0, v118
	v_and_b32_e32 v22, v22, v113
	v_not_b32_e32 v113, v115
	v_ashrrev_i32_e32 v28, 31, v28
	v_xor_b32_e32 v116, s21, v116
	v_cmp_gt_i32_e64 s21, 0, v115
	v_and_b32_e32 v22, v22, v114
	v_ashrrev_i32_e32 v113, 31, v113
	v_xor_b32_e32 v28, vcc_lo, v28
	v_mad_u32_u24 v114, v27, 36, v96
	v_mul_u32_u24_e32 v27, 36, v27
	v_and_b32_e32 v22, v22, v116
	v_xor_b32_e32 v115, s21, v113
	ds_read_b32 v113, v114 offset:1056
	v_add_nc_u32_e32 v116, v96, v27
	v_and_b32_e32 v22, v22, v28
	; wave barrier
	v_and_b32_e32 v22, v22, v115
	v_mbcnt_lo_u32_b32 v115, v22, 0
	v_cmp_ne_u32_e64 s21, 0, v22
	v_cmp_eq_u32_e32 vcc_lo, 0, v115
	s_and_b32 s22, s21, vcc_lo
	s_and_saveexec_b32 s21, s22
	s_cbranch_execz .LBB1870_425
; %bb.424:                              ;   in Loop: Header=BB1870_399 Depth=2
	s_waitcnt lgkmcnt(0)
	v_bcnt_u32_b32 v22, v22, v113
	ds_write_b32 v116, v22 offset:1056
.LBB1870_425:                           ;   in Loop: Header=BB1870_399 Depth=2
	s_or_b32 exec_lo, exec_lo, s21
	v_cmp_lt_i16_e32 vcc_lo, -1, v26
	; wave barrier
	v_cndmask_b32_e64 v22, -1, 0xffff8000, vcc_lo
	v_xor_b32_e32 v114, v22, v26
	v_cmp_ne_u16_e32 vcc_lo, 0x7fff, v114
	v_cndmask_b32_e32 v22, 0xffff8000, v114, vcc_lo
	v_lshrrev_b32_sdwa v22, s49, v22 dst_sel:DWORD dst_unused:UNUSED_PAD src0_sel:DWORD src1_sel:WORD_0
	v_and_b32_e32 v26, s42, v22
	v_and_b32_e32 v22, 1, v26
	v_lshlrev_b32_e32 v27, 30, v26
	v_lshlrev_b32_e32 v28, 29, v26
	v_lshlrev_b32_e32 v117, 28, v26
	v_lshlrev_b32_e32 v119, 27, v26
	v_add_co_u32 v22, s21, v22, -1
	v_cndmask_b32_e64 v118, 0, 1, s21
	v_not_b32_e32 v122, v27
	v_cmp_gt_i32_e64 s21, 0, v27
	v_not_b32_e32 v27, v28
	v_lshlrev_b32_e32 v120, 26, v26
	v_cmp_ne_u32_e32 vcc_lo, 0, v118
	v_ashrrev_i32_e32 v122, 31, v122
	v_lshlrev_b32_e32 v121, 25, v26
	v_ashrrev_i32_e32 v27, 31, v27
	v_lshlrev_b32_e32 v118, 24, v26
	v_xor_b32_e32 v22, vcc_lo, v22
	v_cmp_gt_i32_e32 vcc_lo, 0, v28
	v_not_b32_e32 v28, v117
	v_xor_b32_e32 v122, s21, v122
	v_cmp_gt_i32_e64 s21, 0, v117
	v_and_b32_e32 v22, exec_lo, v22
	v_not_b32_e32 v117, v119
	v_ashrrev_i32_e32 v28, 31, v28
	v_xor_b32_e32 v27, vcc_lo, v27
	v_cmp_gt_i32_e32 vcc_lo, 0, v119
	v_and_b32_e32 v22, v22, v122
	v_not_b32_e32 v119, v120
	v_ashrrev_i32_e32 v117, 31, v117
	v_xor_b32_e32 v28, s21, v28
	v_cmp_gt_i32_e64 s21, 0, v120
	v_and_b32_e32 v22, v22, v27
	v_not_b32_e32 v27, v121
	v_ashrrev_i32_e32 v119, 31, v119
	v_xor_b32_e32 v117, vcc_lo, v117
	v_cmp_gt_i32_e32 vcc_lo, 0, v121
	v_and_b32_e32 v22, v22, v28
	v_not_b32_e32 v28, v118
	v_ashrrev_i32_e32 v27, 31, v27
	v_xor_b32_e32 v119, s21, v119
	v_cmp_gt_i32_e64 s21, 0, v118
	v_and_b32_e32 v22, v22, v117
	v_ashrrev_i32_e32 v28, 31, v28
	v_xor_b32_e32 v27, vcc_lo, v27
	v_mad_u32_u24 v117, v26, 36, v96
	v_mul_u32_u24_e32 v26, 36, v26
	v_and_b32_e32 v22, v22, v119
	v_xor_b32_e32 v28, s21, v28
	ds_read_b32 v117, v117 offset:1056
	v_add_nc_u32_e32 v120, v96, v26
	v_and_b32_e32 v22, v22, v27
	; wave barrier
	v_and_b32_e32 v22, v22, v28
	v_mbcnt_lo_u32_b32 v119, v22, 0
	v_cmp_ne_u32_e64 s21, 0, v22
	v_cmp_eq_u32_e32 vcc_lo, 0, v119
	s_and_b32 s22, s21, vcc_lo
	s_and_saveexec_b32 s21, s22
	s_cbranch_execz .LBB1870_427
; %bb.426:                              ;   in Loop: Header=BB1870_399 Depth=2
	s_waitcnt lgkmcnt(0)
	v_bcnt_u32_b32 v22, v22, v117
	ds_write_b32 v120, v22 offset:1056
.LBB1870_427:                           ;   in Loop: Header=BB1870_399 Depth=2
	s_or_b32 exec_lo, exec_lo, s21
	v_cmp_lt_i16_e32 vcc_lo, -1, v25
	; wave barrier
	v_cndmask_b32_e64 v22, -1, 0xffff8000, vcc_lo
	v_xor_b32_e32 v118, v22, v25
	v_cmp_ne_u16_e32 vcc_lo, 0x7fff, v118
	v_cndmask_b32_e32 v22, 0xffff8000, v118, vcc_lo
	v_lshrrev_b32_sdwa v22, s49, v22 dst_sel:DWORD dst_unused:UNUSED_PAD src0_sel:DWORD src1_sel:WORD_0
	v_and_b32_e32 v25, s42, v22
	v_and_b32_e32 v22, 1, v25
	v_lshlrev_b32_e32 v26, 30, v25
	v_lshlrev_b32_e32 v27, 29, v25
	;; [unrolled: 1-line block ×4, first 2 shown]
	v_add_co_u32 v22, s21, v22, -1
	v_cndmask_b32_e64 v121, 0, 1, s21
	v_not_b32_e32 v125, v26
	v_cmp_gt_i32_e64 s21, 0, v26
	v_not_b32_e32 v26, v27
	v_lshlrev_b32_e32 v123, 26, v25
	v_cmp_ne_u32_e32 vcc_lo, 0, v121
	v_ashrrev_i32_e32 v125, 31, v125
	v_lshlrev_b32_e32 v124, 25, v25
	v_ashrrev_i32_e32 v26, 31, v26
	v_lshlrev_b32_e32 v121, 24, v25
	v_xor_b32_e32 v22, vcc_lo, v22
	v_cmp_gt_i32_e32 vcc_lo, 0, v27
	v_not_b32_e32 v27, v28
	v_xor_b32_e32 v125, s21, v125
	v_cmp_gt_i32_e64 s21, 0, v28
	v_and_b32_e32 v22, exec_lo, v22
	v_not_b32_e32 v28, v122
	v_ashrrev_i32_e32 v27, 31, v27
	v_xor_b32_e32 v26, vcc_lo, v26
	v_cmp_gt_i32_e32 vcc_lo, 0, v122
	v_and_b32_e32 v22, v22, v125
	v_not_b32_e32 v122, v123
	v_ashrrev_i32_e32 v28, 31, v28
	v_xor_b32_e32 v27, s21, v27
	v_cmp_gt_i32_e64 s21, 0, v123
	v_and_b32_e32 v22, v22, v26
	v_not_b32_e32 v26, v124
	v_ashrrev_i32_e32 v122, 31, v122
	v_xor_b32_e32 v28, vcc_lo, v28
	v_cmp_gt_i32_e32 vcc_lo, 0, v124
	v_and_b32_e32 v22, v22, v27
	v_not_b32_e32 v27, v121
	v_ashrrev_i32_e32 v26, 31, v26
	v_xor_b32_e32 v122, s21, v122
	v_cmp_gt_i32_e64 s21, 0, v121
	v_and_b32_e32 v22, v22, v28
	v_ashrrev_i32_e32 v27, 31, v27
	v_xor_b32_e32 v26, vcc_lo, v26
	v_mad_u32_u24 v28, v25, 36, v96
	v_mul_u32_u24_e32 v25, 36, v25
	v_and_b32_e32 v22, v22, v122
	v_xor_b32_e32 v27, s21, v27
	ds_read_b32 v121, v28 offset:1056
	v_add_nc_u32_e32 v124, v96, v25
	v_and_b32_e32 v22, v22, v26
	; wave barrier
	v_and_b32_e32 v22, v22, v27
	v_mbcnt_lo_u32_b32 v123, v22, 0
	v_cmp_ne_u32_e64 s21, 0, v22
	v_cmp_eq_u32_e32 vcc_lo, 0, v123
	s_and_b32 s22, s21, vcc_lo
	s_and_saveexec_b32 s21, s22
	s_cbranch_execz .LBB1870_429
; %bb.428:                              ;   in Loop: Header=BB1870_399 Depth=2
	s_waitcnt lgkmcnt(0)
	v_bcnt_u32_b32 v22, v22, v121
	ds_write_b32 v124, v22 offset:1056
.LBB1870_429:                           ;   in Loop: Header=BB1870_399 Depth=2
	s_or_b32 exec_lo, exec_lo, s21
	v_cmp_lt_i16_e32 vcc_lo, -1, v24
	; wave barrier
	v_cndmask_b32_e64 v22, -1, 0xffff8000, vcc_lo
	v_xor_b32_e32 v122, v22, v24
	v_cmp_ne_u16_e32 vcc_lo, 0x7fff, v122
	v_cndmask_b32_e32 v22, 0xffff8000, v122, vcc_lo
	v_lshrrev_b32_sdwa v22, s49, v22 dst_sel:DWORD dst_unused:UNUSED_PAD src0_sel:DWORD src1_sel:WORD_0
	v_and_b32_e32 v24, s42, v22
	v_and_b32_e32 v22, 1, v24
	v_lshlrev_b32_e32 v25, 30, v24
	v_lshlrev_b32_e32 v26, 29, v24
	;; [unrolled: 1-line block ×4, first 2 shown]
	v_add_co_u32 v22, s21, v22, -1
	v_cndmask_b32_e64 v28, 0, 1, s21
	v_not_b32_e32 v128, v25
	v_cmp_gt_i32_e64 s21, 0, v25
	v_not_b32_e32 v25, v26
	v_lshlrev_b32_e32 v126, 26, v24
	v_cmp_ne_u32_e32 vcc_lo, 0, v28
	v_ashrrev_i32_e32 v128, 31, v128
	v_lshlrev_b32_e32 v127, 25, v24
	v_ashrrev_i32_e32 v25, 31, v25
	v_lshlrev_b32_e32 v28, 24, v24
	v_xor_b32_e32 v22, vcc_lo, v22
	v_cmp_gt_i32_e32 vcc_lo, 0, v26
	v_not_b32_e32 v26, v27
	v_xor_b32_e32 v128, s21, v128
	v_cmp_gt_i32_e64 s21, 0, v27
	v_and_b32_e32 v22, exec_lo, v22
	v_not_b32_e32 v27, v125
	v_ashrrev_i32_e32 v26, 31, v26
	v_xor_b32_e32 v25, vcc_lo, v25
	v_cmp_gt_i32_e32 vcc_lo, 0, v125
	v_and_b32_e32 v22, v22, v128
	v_not_b32_e32 v125, v126
	v_ashrrev_i32_e32 v27, 31, v27
	v_xor_b32_e32 v26, s21, v26
	v_cmp_gt_i32_e64 s21, 0, v126
	v_and_b32_e32 v22, v22, v25
	v_not_b32_e32 v25, v127
	v_ashrrev_i32_e32 v125, 31, v125
	v_xor_b32_e32 v27, vcc_lo, v27
	v_cmp_gt_i32_e32 vcc_lo, 0, v127
	v_and_b32_e32 v22, v22, v26
	v_not_b32_e32 v26, v28
	v_ashrrev_i32_e32 v25, 31, v25
	v_xor_b32_e32 v125, s21, v125
	v_cmp_gt_i32_e64 s21, 0, v28
	v_and_b32_e32 v22, v22, v27
	v_ashrrev_i32_e32 v26, 31, v26
	v_xor_b32_e32 v25, vcc_lo, v25
	v_mad_u32_u24 v27, v24, 36, v96
	v_mul_u32_u24_e32 v24, 36, v24
	v_and_b32_e32 v22, v22, v125
	v_xor_b32_e32 v26, s21, v26
	ds_read_b32 v125, v27 offset:1056
	v_add_nc_u32_e32 v128, v96, v24
	v_and_b32_e32 v22, v22, v25
	; wave barrier
	v_and_b32_e32 v22, v22, v26
	v_mbcnt_lo_u32_b32 v127, v22, 0
	v_cmp_ne_u32_e64 s21, 0, v22
	v_cmp_eq_u32_e32 vcc_lo, 0, v127
	s_and_b32 s22, s21, vcc_lo
	s_and_saveexec_b32 s21, s22
	s_cbranch_execz .LBB1870_431
; %bb.430:                              ;   in Loop: Header=BB1870_399 Depth=2
	s_waitcnt lgkmcnt(0)
	v_bcnt_u32_b32 v22, v22, v125
	ds_write_b32 v128, v22 offset:1056
.LBB1870_431:                           ;   in Loop: Header=BB1870_399 Depth=2
	s_or_b32 exec_lo, exec_lo, s21
	v_cmp_lt_i16_e32 vcc_lo, -1, v23
	; wave barrier
	v_cndmask_b32_e64 v22, -1, 0xffff8000, vcc_lo
	v_xor_b32_e32 v126, v22, v23
	v_cmp_ne_u16_e32 vcc_lo, 0x7fff, v126
	v_cndmask_b32_e32 v22, 0xffff8000, v126, vcc_lo
	v_lshrrev_b32_sdwa v22, s49, v22 dst_sel:DWORD dst_unused:UNUSED_PAD src0_sel:DWORD src1_sel:WORD_0
	v_and_b32_e32 v23, s42, v22
	v_and_b32_e32 v22, 1, v23
	v_lshlrev_b32_e32 v24, 30, v23
	v_lshlrev_b32_e32 v25, 29, v23
	;; [unrolled: 1-line block ×4, first 2 shown]
	v_add_co_u32 v22, s21, v22, -1
	v_cndmask_b32_e64 v27, 0, 1, s21
	v_not_b32_e32 v131, v24
	v_cmp_gt_i32_e64 s21, 0, v24
	v_not_b32_e32 v24, v25
	v_lshlrev_b32_e32 v129, 26, v23
	v_cmp_ne_u32_e32 vcc_lo, 0, v27
	v_ashrrev_i32_e32 v131, 31, v131
	v_lshlrev_b32_e32 v130, 25, v23
	v_ashrrev_i32_e32 v24, 31, v24
	v_lshlrev_b32_e32 v27, 24, v23
	v_xor_b32_e32 v22, vcc_lo, v22
	v_cmp_gt_i32_e32 vcc_lo, 0, v25
	v_not_b32_e32 v25, v26
	v_xor_b32_e32 v131, s21, v131
	v_cmp_gt_i32_e64 s21, 0, v26
	v_and_b32_e32 v22, exec_lo, v22
	v_not_b32_e32 v26, v28
	v_ashrrev_i32_e32 v25, 31, v25
	v_xor_b32_e32 v24, vcc_lo, v24
	v_cmp_gt_i32_e32 vcc_lo, 0, v28
	v_and_b32_e32 v22, v22, v131
	v_not_b32_e32 v28, v129
	v_ashrrev_i32_e32 v26, 31, v26
	v_xor_b32_e32 v25, s21, v25
	v_cmp_gt_i32_e64 s21, 0, v129
	v_and_b32_e32 v22, v22, v24
	v_not_b32_e32 v24, v130
	v_ashrrev_i32_e32 v28, 31, v28
	v_xor_b32_e32 v26, vcc_lo, v26
	v_cmp_gt_i32_e32 vcc_lo, 0, v130
	v_and_b32_e32 v22, v22, v25
	v_not_b32_e32 v25, v27
	v_ashrrev_i32_e32 v24, 31, v24
	v_xor_b32_e32 v28, s21, v28
	v_cmp_gt_i32_e64 s21, 0, v27
	v_and_b32_e32 v22, v22, v26
	v_ashrrev_i32_e32 v25, 31, v25
	v_xor_b32_e32 v24, vcc_lo, v24
	v_mad_u32_u24 v26, v23, 36, v96
	v_mul_u32_u24_e32 v23, 36, v23
	v_and_b32_e32 v22, v22, v28
	v_xor_b32_e32 v25, s21, v25
	ds_read_b32 v129, v26 offset:1056
	v_add_nc_u32_e32 v132, v96, v23
	v_and_b32_e32 v22, v22, v24
	; wave barrier
	v_and_b32_e32 v22, v22, v25
	v_mbcnt_lo_u32_b32 v131, v22, 0
	v_cmp_ne_u32_e64 s21, 0, v22
	v_cmp_eq_u32_e32 vcc_lo, 0, v131
	s_and_b32 s22, s21, vcc_lo
	s_and_saveexec_b32 s21, s22
	s_cbranch_execz .LBB1870_433
; %bb.432:                              ;   in Loop: Header=BB1870_399 Depth=2
	s_waitcnt lgkmcnt(0)
	v_bcnt_u32_b32 v22, v22, v129
	ds_write_b32 v132, v22 offset:1056
.LBB1870_433:                           ;   in Loop: Header=BB1870_399 Depth=2
	s_or_b32 exec_lo, exec_lo, s21
	v_cmp_lt_i16_e32 vcc_lo, -1, v21
	; wave barrier
	v_cndmask_b32_e64 v22, -1, 0xffff8000, vcc_lo
	v_xor_b32_e32 v130, v22, v21
	v_cmp_ne_u16_e32 vcc_lo, 0x7fff, v130
	v_cndmask_b32_e32 v21, 0xffff8000, v130, vcc_lo
	v_lshrrev_b32_sdwa v21, s49, v21 dst_sel:DWORD dst_unused:UNUSED_PAD src0_sel:DWORD src1_sel:WORD_0
	v_and_b32_e32 v22, s42, v21
	v_and_b32_e32 v21, 1, v22
	v_lshlrev_b32_e32 v23, 30, v22
	v_lshlrev_b32_e32 v24, 29, v22
	;; [unrolled: 1-line block ×4, first 2 shown]
	v_add_co_u32 v21, s21, v21, -1
	v_cndmask_b32_e64 v26, 0, 1, s21
	v_not_b32_e32 v134, v23
	v_cmp_gt_i32_e64 s21, 0, v23
	v_not_b32_e32 v23, v24
	v_lshlrev_b32_e32 v28, 26, v22
	v_cmp_ne_u32_e32 vcc_lo, 0, v26
	v_ashrrev_i32_e32 v134, 31, v134
	v_lshlrev_b32_e32 v133, 25, v22
	v_ashrrev_i32_e32 v23, 31, v23
	v_lshlrev_b32_e32 v26, 24, v22
	v_xor_b32_e32 v21, vcc_lo, v21
	v_cmp_gt_i32_e32 vcc_lo, 0, v24
	v_not_b32_e32 v24, v25
	v_xor_b32_e32 v134, s21, v134
	v_cmp_gt_i32_e64 s21, 0, v25
	v_and_b32_e32 v21, exec_lo, v21
	v_not_b32_e32 v25, v27
	v_ashrrev_i32_e32 v24, 31, v24
	v_xor_b32_e32 v23, vcc_lo, v23
	v_cmp_gt_i32_e32 vcc_lo, 0, v27
	v_and_b32_e32 v21, v21, v134
	v_not_b32_e32 v27, v28
	v_ashrrev_i32_e32 v25, 31, v25
	v_xor_b32_e32 v24, s21, v24
	v_cmp_gt_i32_e64 s21, 0, v28
	v_and_b32_e32 v21, v21, v23
	v_not_b32_e32 v23, v133
	v_ashrrev_i32_e32 v27, 31, v27
	v_xor_b32_e32 v25, vcc_lo, v25
	v_cmp_gt_i32_e32 vcc_lo, 0, v133
	v_and_b32_e32 v21, v21, v24
	v_not_b32_e32 v24, v26
	v_ashrrev_i32_e32 v23, 31, v23
	v_xor_b32_e32 v27, s21, v27
	v_cmp_gt_i32_e64 s21, 0, v26
	v_and_b32_e32 v21, v21, v25
	v_ashrrev_i32_e32 v24, 31, v24
	v_xor_b32_e32 v23, vcc_lo, v23
	v_mad_u32_u24 v25, v22, 36, v96
	v_mul_u32_u24_e32 v22, 36, v22
	v_and_b32_e32 v21, v21, v27
	v_xor_b32_e32 v24, s21, v24
	ds_read_b32 v133, v25 offset:1056
	v_add_nc_u32_e32 v135, v96, v22
	v_and_b32_e32 v21, v21, v23
	; wave barrier
	v_and_b32_e32 v21, v21, v24
	v_mbcnt_lo_u32_b32 v134, v21, 0
	v_cmp_ne_u32_e64 s21, 0, v21
	v_cmp_eq_u32_e32 vcc_lo, 0, v134
	s_and_b32 s22, s21, vcc_lo
	s_and_saveexec_b32 s21, s22
	s_cbranch_execz .LBB1870_435
; %bb.434:                              ;   in Loop: Header=BB1870_399 Depth=2
	s_waitcnt lgkmcnt(0)
	v_bcnt_u32_b32 v21, v21, v133
	ds_write_b32 v135, v21 offset:1056
.LBB1870_435:                           ;   in Loop: Header=BB1870_399 Depth=2
	s_or_b32 exec_lo, exec_lo, s21
	; wave barrier
	s_waitcnt lgkmcnt(0)
	s_barrier
	buffer_gl0_inv
	ds_read2_b32 v[27:28], v78 offset1:1
	ds_read2_b32 v[25:26], v88 offset1:1
	;; [unrolled: 1-line block ×4, first 2 shown]
	ds_read_b32 v136, v44 offset:1088
	s_waitcnt lgkmcnt(3)
	v_add3_u32 v137, v28, v27, v25
	s_waitcnt lgkmcnt(2)
	v_add3_u32 v137, v137, v26, v23
	;; [unrolled: 2-line block ×4, first 2 shown]
	v_mov_b32_dpp v137, v136 row_shr:1 row_mask:0xf bank_mask:0xf
	v_cndmask_b32_e64 v137, v137, 0, s5
	v_add_nc_u32_e32 v136, v137, v136
	v_mov_b32_dpp v137, v136 row_shr:2 row_mask:0xf bank_mask:0xf
	v_cndmask_b32_e64 v137, 0, v137, s14
	v_add_nc_u32_e32 v136, v136, v137
	;; [unrolled: 3-line block ×4, first 2 shown]
	ds_swizzle_b32 v137, v136 offset:swizzle(BROADCAST,32,15)
	s_waitcnt lgkmcnt(0)
	v_cndmask_b32_e64 v137, v137, 0, s17
	v_add_nc_u32_e32 v136, v136, v137
	s_and_saveexec_b32 s21, s9
; %bb.436:                              ;   in Loop: Header=BB1870_399 Depth=2
	ds_write_b32 v39, v136 offset:1024
; %bb.437:                              ;   in Loop: Header=BB1870_399 Depth=2
	s_or_b32 exec_lo, exec_lo, s21
	s_waitcnt lgkmcnt(0)
	s_barrier
	buffer_gl0_inv
	s_and_saveexec_b32 s21, s10
	s_cbranch_execz .LBB1870_439
; %bb.438:                              ;   in Loop: Header=BB1870_399 Depth=2
	ds_read_b32 v137, v46 offset:1024
	s_waitcnt lgkmcnt(0)
	v_mov_b32_dpp v138, v137 row_shr:1 row_mask:0xf bank_mask:0xf
	v_cndmask_b32_e64 v138, v138, 0, s18
	v_add_nc_u32_e32 v137, v138, v137
	v_mov_b32_dpp v138, v137 row_shr:2 row_mask:0xf bank_mask:0xf
	v_cndmask_b32_e64 v138, 0, v138, s19
	v_add_nc_u32_e32 v137, v137, v138
	;; [unrolled: 3-line block ×3, first 2 shown]
	ds_write_b32 v46, v137 offset:1024
.LBB1870_439:                           ;   in Loop: Header=BB1870_399 Depth=2
	s_or_b32 exec_lo, exec_lo, s21
	v_mov_b32_e32 v137, 0
	s_waitcnt lgkmcnt(0)
	s_barrier
	buffer_gl0_inv
	s_and_saveexec_b32 s21, s11
; %bb.440:                              ;   in Loop: Header=BB1870_399 Depth=2
	ds_read_b32 v137, v39 offset:1020
; %bb.441:                              ;   in Loop: Header=BB1870_399 Depth=2
	s_or_b32 exec_lo, exec_lo, s21
	s_waitcnt lgkmcnt(0)
	v_add_nc_u32_e32 v136, v137, v136
	ds_bpermute_b32 v136, v91, v136
	s_waitcnt lgkmcnt(0)
	v_cndmask_b32_e64 v136, v136, v137, s13
	v_cndmask_b32_e64 v136, v136, 0, s4
	v_add_nc_u32_e32 v27, v136, v27
	v_add_nc_u32_e32 v28, v27, v28
	;; [unrolled: 1-line block ×8, first 2 shown]
	ds_write2_b32 v78, v136, v27 offset1:1
	ds_write2_b32 v88, v28, v25 offset1:1
	;; [unrolled: 1-line block ×4, first 2 shown]
	ds_write_b32 v44, v22 offset:1088
	s_waitcnt lgkmcnt(0)
	s_barrier
	buffer_gl0_inv
	ds_read_b32 v24, v108 offset:1056
	ds_read_b32 v25, v112 offset:1056
	;; [unrolled: 1-line block ×9, first 2 shown]
	v_mov_b32_e32 v23, 0x800
	s_and_saveexec_b32 s21, s12
; %bb.442:                              ;   in Loop: Header=BB1870_399 Depth=2
	ds_read_b32 v23, v44 offset:1092
; %bb.443:                              ;   in Loop: Header=BB1870_399 Depth=2
	s_or_b32 exec_lo, exec_lo, s21
	s_waitcnt lgkmcnt(0)
	s_barrier
	buffer_gl0_inv
	s_and_saveexec_b32 s21, s8
	s_cbranch_execz .LBB1870_445
; %bb.444:                              ;   in Loop: Header=BB1870_399 Depth=2
	ds_read_b32 v112, v29
	s_waitcnt lgkmcnt(0)
	v_sub_nc_u32_e32 v108, v112, v108
	ds_write_b32 v29, v108
.LBB1870_445:                           ;   in Loop: Header=BB1870_399 Depth=2
	s_or_b32 exec_lo, exec_lo, s21
	v_add_nc_u32_e32 v112, v24, v106
	v_add3_u32 v108, v110, v109, v25
	v_add3_u32 v106, v115, v113, v26
	;; [unrolled: 1-line block ×4, first 2 shown]
	v_lshlrev_b32_e32 v109, 1, v112
	v_lshlrev_b32_e32 v110, 1, v108
	v_add3_u32 v27, v131, v129, v22
	v_lshlrev_b32_e32 v22, 1, v106
	v_add3_u32 v28, v134, v133, v21
	ds_write_b16 v109, v3 offset:1024
	ds_write_b16 v110, v107 offset:1024
	v_lshlrev_b32_e32 v3, 1, v26
	v_add3_u32 v24, v127, v125, v116
	ds_write_b16 v22, v111 offset:1024
	v_lshlrev_b32_e32 v21, 1, v25
	v_cmp_lt_u32_e32 vcc_lo, v0, v105
	ds_write_b16 v3, v114 offset:1024
	v_lshlrev_b32_e32 v3, 1, v28
	v_lshlrev_b32_e32 v22, 1, v24
	;; [unrolled: 1-line block ×3, first 2 shown]
	ds_write_b16 v21, v118 offset:1024
	ds_write_b16 v22, v122 offset:1024
	ds_write_b16 v107, v126 offset:1024
	ds_write_b16 v3, v130 offset:1024
	s_waitcnt lgkmcnt(0)
	s_barrier
	buffer_gl0_inv
	s_and_saveexec_b32 s22, vcc_lo
	s_cbranch_execnz .LBB1870_482
; %bb.446:                              ;   in Loop: Header=BB1870_399 Depth=2
	s_or_b32 exec_lo, exec_lo, s22
	v_cmp_lt_u32_e64 s21, v30, v105
	s_and_saveexec_b32 s23, s21
	s_cbranch_execnz .LBB1870_483
.LBB1870_447:                           ;   in Loop: Header=BB1870_399 Depth=2
	s_or_b32 exec_lo, exec_lo, s23
	v_cmp_lt_u32_e64 s22, v31, v105
	s_and_saveexec_b32 s24, s22
	s_cbranch_execnz .LBB1870_484
.LBB1870_448:                           ;   in Loop: Header=BB1870_399 Depth=2
	s_or_b32 exec_lo, exec_lo, s24
	v_cmp_lt_u32_e64 s23, v32, v105
	s_and_saveexec_b32 s25, s23
	s_cbranch_execnz .LBB1870_485
.LBB1870_449:                           ;   in Loop: Header=BB1870_399 Depth=2
	s_or_b32 exec_lo, exec_lo, s25
	v_cmp_lt_u32_e64 s24, v35, v105
	s_and_saveexec_b32 s26, s24
	s_cbranch_execnz .LBB1870_486
.LBB1870_450:                           ;   in Loop: Header=BB1870_399 Depth=2
	s_or_b32 exec_lo, exec_lo, s26
	v_cmp_lt_u32_e64 s25, v36, v105
	s_and_saveexec_b32 s27, s25
	s_cbranch_execnz .LBB1870_487
.LBB1870_451:                           ;   in Loop: Header=BB1870_399 Depth=2
	s_or_b32 exec_lo, exec_lo, s27
	v_cmp_lt_u32_e64 s26, v37, v105
	s_and_saveexec_b32 s28, s26
	s_cbranch_execnz .LBB1870_488
.LBB1870_452:                           ;   in Loop: Header=BB1870_399 Depth=2
	s_or_b32 exec_lo, exec_lo, s28
	v_cmp_lt_u32_e64 s27, v38, v105
	s_and_saveexec_b32 s54, s27
	s_cbranch_execz .LBB1870_454
.LBB1870_453:                           ;   in Loop: Header=BB1870_399 Depth=2
	ds_read_u16 v107, v47 offset:4608
	s_waitcnt lgkmcnt(0)
	v_cmp_ne_u16_e64 s28, 0x7fff, v107
	v_cndmask_b32_e64 v3, 0xffff8000, v107, s28
	v_cmp_lt_i16_e64 s28, -1, v107
	v_lshrrev_b32_sdwa v3, s49, v3 dst_sel:DWORD dst_unused:UNUSED_PAD src0_sel:DWORD src1_sel:WORD_0
	v_cndmask_b32_e64 v109, 0xffff8000, -1, s28
	v_and_b32_e32 v3, s42, v3
	v_lshlrev_b32_e32 v3, 2, v3
	ds_read_b32 v3, v3
	s_waitcnt lgkmcnt(0)
	v_add_nc_u32_e32 v3, v3, v38
	v_lshlrev_b64 v[21:22], 1, v[3:4]
	v_xor_b32_e32 v3, v109, v107
	v_add_co_u32 v21, s28, s38, v21
	v_add_co_ci_u32_e64 v22, null, s39, v22, s28
	global_store_short v[21:22], v3, off
.LBB1870_454:                           ;   in Loop: Header=BB1870_399 Depth=2
	s_or_b32 exec_lo, exec_lo, s54
	s_lshl_b64 s[54:55], s[34:35], 3
	v_add_co_u32 v21, s28, v92, s54
	v_add_co_ci_u32_e64 v22, null, s55, v93, s28
	v_cmp_lt_u32_e64 s28, v66, v105
	s_and_saveexec_b32 s34, s28
	s_xor_b32 s28, exec_lo, s34
	s_cbranch_execnz .LBB1870_489
; %bb.455:                              ;   in Loop: Header=BB1870_399 Depth=2
	s_or_b32 exec_lo, exec_lo, s28
	s_mov_b32 s34, exec_lo
	v_cmpx_lt_u32_e64 v70, v105
	s_cbranch_execnz .LBB1870_490
.LBB1870_456:                           ;   in Loop: Header=BB1870_399 Depth=2
	s_or_b32 exec_lo, exec_lo, s34
	s_mov_b32 s34, exec_lo
	v_cmpx_lt_u32_e64 v71, v105
	s_cbranch_execnz .LBB1870_491
.LBB1870_457:                           ;   in Loop: Header=BB1870_399 Depth=2
	s_or_b32 exec_lo, exec_lo, s34
	s_mov_b32 s34, exec_lo
	v_cmpx_lt_u32_e64 v72, v105
	s_cbranch_execnz .LBB1870_492
.LBB1870_458:                           ;   in Loop: Header=BB1870_399 Depth=2
	s_or_b32 exec_lo, exec_lo, s34
	s_mov_b32 s34, exec_lo
	v_cmpx_lt_u32_e64 v73, v105
	s_cbranch_execnz .LBB1870_493
.LBB1870_459:                           ;   in Loop: Header=BB1870_399 Depth=2
	s_or_b32 exec_lo, exec_lo, s34
	s_mov_b32 s34, exec_lo
	v_cmpx_lt_u32_e64 v74, v105
	s_cbranch_execnz .LBB1870_494
.LBB1870_460:                           ;   in Loop: Header=BB1870_399 Depth=2
	s_or_b32 exec_lo, exec_lo, s34
	s_mov_b32 s34, exec_lo
	v_cmpx_lt_u32_e64 v75, v105
	s_cbranch_execnz .LBB1870_495
.LBB1870_461:                           ;   in Loop: Header=BB1870_399 Depth=2
	s_or_b32 exec_lo, exec_lo, s34
	s_mov_b32 s34, exec_lo
	v_cmpx_lt_u32_e64 v76, v105
	s_cbranch_execnz .LBB1870_496
.LBB1870_462:                           ;   in Loop: Header=BB1870_399 Depth=2
	s_or_b32 exec_lo, exec_lo, s34
	s_and_saveexec_b32 s34, vcc_lo
	s_cbranch_execnz .LBB1870_497
.LBB1870_463:                           ;   in Loop: Header=BB1870_399 Depth=2
	s_or_b32 exec_lo, exec_lo, s34
	s_and_saveexec_b32 s34, s21
	s_cbranch_execnz .LBB1870_498
.LBB1870_464:                           ;   in Loop: Header=BB1870_399 Depth=2
	s_or_b32 exec_lo, exec_lo, s34
	s_and_saveexec_b32 s34, s22
	s_cbranch_execnz .LBB1870_499
.LBB1870_465:                           ;   in Loop: Header=BB1870_399 Depth=2
	s_or_b32 exec_lo, exec_lo, s34
	s_and_saveexec_b32 s34, s23
	s_cbranch_execnz .LBB1870_500
.LBB1870_466:                           ;   in Loop: Header=BB1870_399 Depth=2
	s_or_b32 exec_lo, exec_lo, s34
	s_and_saveexec_b32 s34, s24
	s_cbranch_execnz .LBB1870_501
.LBB1870_467:                           ;   in Loop: Header=BB1870_399 Depth=2
	s_or_b32 exec_lo, exec_lo, s34
	s_and_saveexec_b32 s34, s25
	s_cbranch_execnz .LBB1870_502
.LBB1870_468:                           ;   in Loop: Header=BB1870_399 Depth=2
	s_or_b32 exec_lo, exec_lo, s34
	s_and_saveexec_b32 s34, s26
	s_cbranch_execnz .LBB1870_503
.LBB1870_469:                           ;   in Loop: Header=BB1870_399 Depth=2
	s_or_b32 exec_lo, exec_lo, s34
	s_and_saveexec_b32 s34, s27
	s_cbranch_execz .LBB1870_471
.LBB1870_470:                           ;   in Loop: Header=BB1870_399 Depth=2
	ds_read_u16 v3, v47 offset:4608
	s_waitcnt lgkmcnt(0)
	v_cmp_ne_u16_e64 s28, 0x7fff, v3
	v_cndmask_b32_e64 v3, 0xffff8000, v3, s28
	v_lshrrev_b32_sdwa v3, s49, v3 dst_sel:DWORD dst_unused:UNUSED_PAD src0_sel:DWORD src1_sel:WORD_0
	v_and_b32_e32 v97, s42, v3
.LBB1870_471:                           ;   in Loop: Header=BB1870_399 Depth=2
	s_or_b32 exec_lo, exec_lo, s34
	v_lshlrev_b32_e32 v3, 3, v112
	v_lshlrev_b32_e32 v21, 3, v108
	;; [unrolled: 1-line block ×3, first 2 shown]
	s_waitcnt vmcnt(0)
	s_waitcnt_vscnt null, 0x0
	s_barrier
	buffer_gl0_inv
	ds_write_b64 v3, v[19:20] offset:1024
	ds_write_b64 v21, v[17:18] offset:1024
	;; [unrolled: 1-line block ×3, first 2 shown]
	v_lshlrev_b32_e32 v3, 3, v26
	v_lshlrev_b32_e32 v21, 3, v25
	;; [unrolled: 1-line block ×5, first 2 shown]
	ds_write_b64 v3, v[13:14] offset:1024
	ds_write_b64 v21, v[11:12] offset:1024
	;; [unrolled: 1-line block ×5, first 2 shown]
	s_waitcnt lgkmcnt(0)
	s_barrier
	buffer_gl0_inv
	s_and_saveexec_b32 s28, vcc_lo
	s_cbranch_execnz .LBB1870_504
; %bb.472:                              ;   in Loop: Header=BB1870_399 Depth=2
	s_or_b32 exec_lo, exec_lo, s28
	s_and_saveexec_b32 s28, s21
	s_cbranch_execnz .LBB1870_505
.LBB1870_473:                           ;   in Loop: Header=BB1870_399 Depth=2
	s_or_b32 exec_lo, exec_lo, s28
	s_and_saveexec_b32 s21, s22
	s_cbranch_execnz .LBB1870_506
.LBB1870_474:                           ;   in Loop: Header=BB1870_399 Depth=2
	s_or_b32 exec_lo, exec_lo, s21
	s_and_saveexec_b32 s21, s23
	s_cbranch_execnz .LBB1870_507
.LBB1870_475:                           ;   in Loop: Header=BB1870_399 Depth=2
	s_or_b32 exec_lo, exec_lo, s21
	s_and_saveexec_b32 s21, s24
	s_cbranch_execnz .LBB1870_508
.LBB1870_476:                           ;   in Loop: Header=BB1870_399 Depth=2
	s_or_b32 exec_lo, exec_lo, s21
	s_and_saveexec_b32 s21, s25
	s_cbranch_execnz .LBB1870_509
.LBB1870_477:                           ;   in Loop: Header=BB1870_399 Depth=2
	s_or_b32 exec_lo, exec_lo, s21
	s_and_saveexec_b32 s21, s26
	s_cbranch_execnz .LBB1870_510
.LBB1870_478:                           ;   in Loop: Header=BB1870_399 Depth=2
	s_or_b32 exec_lo, exec_lo, s21
	s_and_saveexec_b32 s21, s27
	s_cbranch_execz .LBB1870_480
.LBB1870_479:                           ;   in Loop: Header=BB1870_399 Depth=2
	v_lshlrev_b32_e32 v3, 2, v97
	v_add_nc_u32_e32 v21, v47, v48
	ds_read_b32 v3, v3
	ds_read_b64 v[21:22], v21 offset:15360
	s_waitcnt lgkmcnt(1)
	v_add_nc_u32_e32 v3, v3, v38
	v_lshlrev_b64 v[24:25], 3, v[3:4]
	v_add_co_u32 v24, vcc_lo, s44, v24
	v_add_co_ci_u32_e64 v25, null, s45, v25, vcc_lo
	s_waitcnt lgkmcnt(0)
	global_store_dwordx2 v[24:25], v[21:22], off
.LBB1870_480:                           ;   in Loop: Header=BB1870_399 Depth=2
	s_or_b32 exec_lo, exec_lo, s21
	s_waitcnt_vscnt null, 0x0
	s_barrier
	buffer_gl0_inv
	s_and_saveexec_b32 s21, s8
	s_cbranch_execz .LBB1870_398
; %bb.481:                              ;   in Loop: Header=BB1870_399 Depth=2
	ds_read_b32 v3, v29
	s_waitcnt lgkmcnt(0)
	v_add_nc_u32_e32 v3, v3, v23
	ds_write_b32 v29, v3
	s_branch .LBB1870_398
.LBB1870_482:                           ;   in Loop: Header=BB1870_399 Depth=2
	ds_read_u16 v107, v47 offset:1024
	s_waitcnt lgkmcnt(0)
	v_cmp_ne_u16_e64 s21, 0x7fff, v107
	v_cndmask_b32_e64 v3, 0xffff8000, v107, s21
	v_cmp_lt_i16_e64 s21, -1, v107
	v_lshrrev_b32_sdwa v3, s49, v3 dst_sel:DWORD dst_unused:UNUSED_PAD src0_sel:DWORD src1_sel:WORD_0
	v_cndmask_b32_e64 v109, 0xffff8000, -1, s21
	v_and_b32_e32 v3, s42, v3
	v_lshlrev_b32_e32 v3, 2, v3
	ds_read_b32 v3, v3
	s_waitcnt lgkmcnt(0)
	v_add_nc_u32_e32 v3, v3, v0
	v_lshlrev_b64 v[21:22], 1, v[3:4]
	v_xor_b32_e32 v3, v109, v107
	v_add_co_u32 v21, s21, s38, v21
	v_add_co_ci_u32_e64 v22, null, s39, v22, s21
	global_store_short v[21:22], v3, off
	s_or_b32 exec_lo, exec_lo, s22
	v_cmp_lt_u32_e64 s21, v30, v105
	s_and_saveexec_b32 s23, s21
	s_cbranch_execz .LBB1870_447
.LBB1870_483:                           ;   in Loop: Header=BB1870_399 Depth=2
	ds_read_u16 v107, v47 offset:1536
	s_waitcnt lgkmcnt(0)
	v_cmp_ne_u16_e64 s22, 0x7fff, v107
	v_cndmask_b32_e64 v3, 0xffff8000, v107, s22
	v_cmp_lt_i16_e64 s22, -1, v107
	v_lshrrev_b32_sdwa v3, s49, v3 dst_sel:DWORD dst_unused:UNUSED_PAD src0_sel:DWORD src1_sel:WORD_0
	v_cndmask_b32_e64 v109, 0xffff8000, -1, s22
	v_and_b32_e32 v3, s42, v3
	v_lshlrev_b32_e32 v3, 2, v3
	ds_read_b32 v3, v3
	s_waitcnt lgkmcnt(0)
	v_add_nc_u32_e32 v3, v3, v30
	v_lshlrev_b64 v[21:22], 1, v[3:4]
	v_xor_b32_e32 v3, v109, v107
	v_add_co_u32 v21, s22, s38, v21
	v_add_co_ci_u32_e64 v22, null, s39, v22, s22
	global_store_short v[21:22], v3, off
	s_or_b32 exec_lo, exec_lo, s23
	v_cmp_lt_u32_e64 s22, v31, v105
	s_and_saveexec_b32 s24, s22
	s_cbranch_execz .LBB1870_448
.LBB1870_484:                           ;   in Loop: Header=BB1870_399 Depth=2
	ds_read_u16 v107, v47 offset:2048
	s_waitcnt lgkmcnt(0)
	v_cmp_ne_u16_e64 s23, 0x7fff, v107
	v_cndmask_b32_e64 v3, 0xffff8000, v107, s23
	v_cmp_lt_i16_e64 s23, -1, v107
	v_lshrrev_b32_sdwa v3, s49, v3 dst_sel:DWORD dst_unused:UNUSED_PAD src0_sel:DWORD src1_sel:WORD_0
	v_cndmask_b32_e64 v109, 0xffff8000, -1, s23
	v_and_b32_e32 v3, s42, v3
	v_lshlrev_b32_e32 v3, 2, v3
	ds_read_b32 v3, v3
	s_waitcnt lgkmcnt(0)
	v_add_nc_u32_e32 v3, v3, v31
	v_lshlrev_b64 v[21:22], 1, v[3:4]
	v_xor_b32_e32 v3, v109, v107
	v_add_co_u32 v21, s23, s38, v21
	v_add_co_ci_u32_e64 v22, null, s39, v22, s23
	global_store_short v[21:22], v3, off
	s_or_b32 exec_lo, exec_lo, s24
	v_cmp_lt_u32_e64 s23, v32, v105
	s_and_saveexec_b32 s25, s23
	s_cbranch_execz .LBB1870_449
.LBB1870_485:                           ;   in Loop: Header=BB1870_399 Depth=2
	ds_read_u16 v107, v47 offset:2560
	s_waitcnt lgkmcnt(0)
	v_cmp_ne_u16_e64 s24, 0x7fff, v107
	v_cndmask_b32_e64 v3, 0xffff8000, v107, s24
	v_cmp_lt_i16_e64 s24, -1, v107
	v_lshrrev_b32_sdwa v3, s49, v3 dst_sel:DWORD dst_unused:UNUSED_PAD src0_sel:DWORD src1_sel:WORD_0
	v_cndmask_b32_e64 v109, 0xffff8000, -1, s24
	v_and_b32_e32 v3, s42, v3
	v_lshlrev_b32_e32 v3, 2, v3
	ds_read_b32 v3, v3
	s_waitcnt lgkmcnt(0)
	v_add_nc_u32_e32 v3, v3, v32
	v_lshlrev_b64 v[21:22], 1, v[3:4]
	v_xor_b32_e32 v3, v109, v107
	v_add_co_u32 v21, s24, s38, v21
	v_add_co_ci_u32_e64 v22, null, s39, v22, s24
	global_store_short v[21:22], v3, off
	s_or_b32 exec_lo, exec_lo, s25
	v_cmp_lt_u32_e64 s24, v35, v105
	s_and_saveexec_b32 s26, s24
	s_cbranch_execz .LBB1870_450
.LBB1870_486:                           ;   in Loop: Header=BB1870_399 Depth=2
	ds_read_u16 v107, v47 offset:3072
	s_waitcnt lgkmcnt(0)
	v_cmp_ne_u16_e64 s25, 0x7fff, v107
	v_cndmask_b32_e64 v3, 0xffff8000, v107, s25
	v_cmp_lt_i16_e64 s25, -1, v107
	v_lshrrev_b32_sdwa v3, s49, v3 dst_sel:DWORD dst_unused:UNUSED_PAD src0_sel:DWORD src1_sel:WORD_0
	v_cndmask_b32_e64 v109, 0xffff8000, -1, s25
	v_and_b32_e32 v3, s42, v3
	v_lshlrev_b32_e32 v3, 2, v3
	ds_read_b32 v3, v3
	s_waitcnt lgkmcnt(0)
	v_add_nc_u32_e32 v3, v3, v35
	v_lshlrev_b64 v[21:22], 1, v[3:4]
	v_xor_b32_e32 v3, v109, v107
	v_add_co_u32 v21, s25, s38, v21
	v_add_co_ci_u32_e64 v22, null, s39, v22, s25
	global_store_short v[21:22], v3, off
	s_or_b32 exec_lo, exec_lo, s26
	v_cmp_lt_u32_e64 s25, v36, v105
	s_and_saveexec_b32 s27, s25
	s_cbranch_execz .LBB1870_451
.LBB1870_487:                           ;   in Loop: Header=BB1870_399 Depth=2
	ds_read_u16 v107, v47 offset:3584
	s_waitcnt lgkmcnt(0)
	v_cmp_ne_u16_e64 s26, 0x7fff, v107
	v_cndmask_b32_e64 v3, 0xffff8000, v107, s26
	v_cmp_lt_i16_e64 s26, -1, v107
	v_lshrrev_b32_sdwa v3, s49, v3 dst_sel:DWORD dst_unused:UNUSED_PAD src0_sel:DWORD src1_sel:WORD_0
	v_cndmask_b32_e64 v109, 0xffff8000, -1, s26
	v_and_b32_e32 v3, s42, v3
	v_lshlrev_b32_e32 v3, 2, v3
	ds_read_b32 v3, v3
	s_waitcnt lgkmcnt(0)
	v_add_nc_u32_e32 v3, v3, v36
	v_lshlrev_b64 v[21:22], 1, v[3:4]
	v_xor_b32_e32 v3, v109, v107
	v_add_co_u32 v21, s26, s38, v21
	v_add_co_ci_u32_e64 v22, null, s39, v22, s26
	global_store_short v[21:22], v3, off
	s_or_b32 exec_lo, exec_lo, s27
	v_cmp_lt_u32_e64 s26, v37, v105
	s_and_saveexec_b32 s28, s26
	s_cbranch_execz .LBB1870_452
.LBB1870_488:                           ;   in Loop: Header=BB1870_399 Depth=2
	ds_read_u16 v107, v47 offset:4096
	s_waitcnt lgkmcnt(0)
	v_cmp_ne_u16_e64 s27, 0x7fff, v107
	v_cndmask_b32_e64 v3, 0xffff8000, v107, s27
	v_cmp_lt_i16_e64 s27, -1, v107
	v_lshrrev_b32_sdwa v3, s49, v3 dst_sel:DWORD dst_unused:UNUSED_PAD src0_sel:DWORD src1_sel:WORD_0
	v_cndmask_b32_e64 v109, 0xffff8000, -1, s27
	v_and_b32_e32 v3, s42, v3
	v_lshlrev_b32_e32 v3, 2, v3
	ds_read_b32 v3, v3
	s_waitcnt lgkmcnt(0)
	v_add_nc_u32_e32 v3, v3, v37
	v_lshlrev_b64 v[21:22], 1, v[3:4]
	v_xor_b32_e32 v3, v109, v107
	v_add_co_u32 v21, s27, s38, v21
	v_add_co_ci_u32_e64 v22, null, s39, v22, s27
	global_store_short v[21:22], v3, off
	s_or_b32 exec_lo, exec_lo, s28
	v_cmp_lt_u32_e64 s27, v38, v105
	s_and_saveexec_b32 s54, s27
	s_cbranch_execnz .LBB1870_453
	s_branch .LBB1870_454
.LBB1870_489:                           ;   in Loop: Header=BB1870_399 Depth=2
	global_load_dwordx2 v[19:20], v[21:22], off
	s_or_b32 exec_lo, exec_lo, s28
	s_mov_b32 s34, exec_lo
	v_cmpx_lt_u32_e64 v70, v105
	s_cbranch_execz .LBB1870_456
.LBB1870_490:                           ;   in Loop: Header=BB1870_399 Depth=2
	global_load_dwordx2 v[17:18], v[21:22], off offset:256
	s_or_b32 exec_lo, exec_lo, s34
	s_mov_b32 s34, exec_lo
	v_cmpx_lt_u32_e64 v71, v105
	s_cbranch_execz .LBB1870_457
.LBB1870_491:                           ;   in Loop: Header=BB1870_399 Depth=2
	global_load_dwordx2 v[15:16], v[21:22], off offset:512
	s_or_b32 exec_lo, exec_lo, s34
	s_mov_b32 s34, exec_lo
	v_cmpx_lt_u32_e64 v72, v105
	s_cbranch_execz .LBB1870_458
.LBB1870_492:                           ;   in Loop: Header=BB1870_399 Depth=2
	global_load_dwordx2 v[13:14], v[21:22], off offset:768
	s_or_b32 exec_lo, exec_lo, s34
	s_mov_b32 s34, exec_lo
	v_cmpx_lt_u32_e64 v73, v105
	s_cbranch_execz .LBB1870_459
.LBB1870_493:                           ;   in Loop: Header=BB1870_399 Depth=2
	global_load_dwordx2 v[11:12], v[21:22], off offset:1024
	s_or_b32 exec_lo, exec_lo, s34
	s_mov_b32 s34, exec_lo
	v_cmpx_lt_u32_e64 v74, v105
	s_cbranch_execz .LBB1870_460
.LBB1870_494:                           ;   in Loop: Header=BB1870_399 Depth=2
	global_load_dwordx2 v[9:10], v[21:22], off offset:1280
	s_or_b32 exec_lo, exec_lo, s34
	s_mov_b32 s34, exec_lo
	v_cmpx_lt_u32_e64 v75, v105
	s_cbranch_execz .LBB1870_461
.LBB1870_495:                           ;   in Loop: Header=BB1870_399 Depth=2
	global_load_dwordx2 v[7:8], v[21:22], off offset:1536
	s_or_b32 exec_lo, exec_lo, s34
	s_mov_b32 s34, exec_lo
	v_cmpx_lt_u32_e64 v76, v105
	s_cbranch_execz .LBB1870_462
.LBB1870_496:                           ;   in Loop: Header=BB1870_399 Depth=2
	global_load_dwordx2 v[5:6], v[21:22], off offset:1792
	s_or_b32 exec_lo, exec_lo, s34
	s_and_saveexec_b32 s34, vcc_lo
	s_cbranch_execz .LBB1870_463
.LBB1870_497:                           ;   in Loop: Header=BB1870_399 Depth=2
	ds_read_u16 v3, v47 offset:1024
	s_waitcnt lgkmcnt(0)
	v_cmp_ne_u16_e64 s28, 0x7fff, v3
	v_cndmask_b32_e64 v3, 0xffff8000, v3, s28
	v_lshrrev_b32_sdwa v3, s49, v3 dst_sel:DWORD dst_unused:UNUSED_PAD src0_sel:DWORD src1_sel:WORD_0
	v_and_b32_e32 v104, s42, v3
	s_or_b32 exec_lo, exec_lo, s34
	s_and_saveexec_b32 s34, s21
	s_cbranch_execz .LBB1870_464
.LBB1870_498:                           ;   in Loop: Header=BB1870_399 Depth=2
	ds_read_u16 v3, v47 offset:1536
	s_waitcnt lgkmcnt(0)
	v_cmp_ne_u16_e64 s28, 0x7fff, v3
	v_cndmask_b32_e64 v3, 0xffff8000, v3, s28
	v_lshrrev_b32_sdwa v3, s49, v3 dst_sel:DWORD dst_unused:UNUSED_PAD src0_sel:DWORD src1_sel:WORD_0
	v_and_b32_e32 v103, s42, v3
	s_or_b32 exec_lo, exec_lo, s34
	s_and_saveexec_b32 s34, s22
	s_cbranch_execz .LBB1870_465
.LBB1870_499:                           ;   in Loop: Header=BB1870_399 Depth=2
	ds_read_u16 v3, v47 offset:2048
	s_waitcnt lgkmcnt(0)
	v_cmp_ne_u16_e64 s28, 0x7fff, v3
	v_cndmask_b32_e64 v3, 0xffff8000, v3, s28
	v_lshrrev_b32_sdwa v3, s49, v3 dst_sel:DWORD dst_unused:UNUSED_PAD src0_sel:DWORD src1_sel:WORD_0
	v_and_b32_e32 v102, s42, v3
	s_or_b32 exec_lo, exec_lo, s34
	s_and_saveexec_b32 s34, s23
	s_cbranch_execz .LBB1870_466
.LBB1870_500:                           ;   in Loop: Header=BB1870_399 Depth=2
	ds_read_u16 v3, v47 offset:2560
	s_waitcnt lgkmcnt(0)
	v_cmp_ne_u16_e64 s28, 0x7fff, v3
	v_cndmask_b32_e64 v3, 0xffff8000, v3, s28
	v_lshrrev_b32_sdwa v3, s49, v3 dst_sel:DWORD dst_unused:UNUSED_PAD src0_sel:DWORD src1_sel:WORD_0
	v_and_b32_e32 v101, s42, v3
	s_or_b32 exec_lo, exec_lo, s34
	s_and_saveexec_b32 s34, s24
	s_cbranch_execz .LBB1870_467
.LBB1870_501:                           ;   in Loop: Header=BB1870_399 Depth=2
	ds_read_u16 v3, v47 offset:3072
	s_waitcnt lgkmcnt(0)
	v_cmp_ne_u16_e64 s28, 0x7fff, v3
	v_cndmask_b32_e64 v3, 0xffff8000, v3, s28
	v_lshrrev_b32_sdwa v3, s49, v3 dst_sel:DWORD dst_unused:UNUSED_PAD src0_sel:DWORD src1_sel:WORD_0
	v_and_b32_e32 v100, s42, v3
	s_or_b32 exec_lo, exec_lo, s34
	s_and_saveexec_b32 s34, s25
	s_cbranch_execz .LBB1870_468
.LBB1870_502:                           ;   in Loop: Header=BB1870_399 Depth=2
	ds_read_u16 v3, v47 offset:3584
	s_waitcnt lgkmcnt(0)
	v_cmp_ne_u16_e64 s28, 0x7fff, v3
	v_cndmask_b32_e64 v3, 0xffff8000, v3, s28
	v_lshrrev_b32_sdwa v3, s49, v3 dst_sel:DWORD dst_unused:UNUSED_PAD src0_sel:DWORD src1_sel:WORD_0
	v_and_b32_e32 v99, s42, v3
	s_or_b32 exec_lo, exec_lo, s34
	s_and_saveexec_b32 s34, s26
	s_cbranch_execz .LBB1870_469
.LBB1870_503:                           ;   in Loop: Header=BB1870_399 Depth=2
	ds_read_u16 v3, v47 offset:4096
	s_waitcnt lgkmcnt(0)
	v_cmp_ne_u16_e64 s28, 0x7fff, v3
	v_cndmask_b32_e64 v3, 0xffff8000, v3, s28
	v_lshrrev_b32_sdwa v3, s49, v3 dst_sel:DWORD dst_unused:UNUSED_PAD src0_sel:DWORD src1_sel:WORD_0
	v_and_b32_e32 v98, s42, v3
	s_or_b32 exec_lo, exec_lo, s34
	s_and_saveexec_b32 s34, s27
	s_cbranch_execnz .LBB1870_470
	s_branch .LBB1870_471
.LBB1870_504:                           ;   in Loop: Header=BB1870_399 Depth=2
	v_lshlrev_b32_e32 v3, 2, v104
	v_add_nc_u32_e32 v21, v47, v48
	ds_read_b32 v3, v3
	ds_read_b64 v[21:22], v21 offset:1024
	s_waitcnt lgkmcnt(1)
	v_add_nc_u32_e32 v3, v3, v0
	v_lshlrev_b64 v[24:25], 3, v[3:4]
	v_add_co_u32 v24, vcc_lo, s44, v24
	v_add_co_ci_u32_e64 v25, null, s45, v25, vcc_lo
	s_waitcnt lgkmcnt(0)
	global_store_dwordx2 v[24:25], v[21:22], off
	s_or_b32 exec_lo, exec_lo, s28
	s_and_saveexec_b32 s28, s21
	s_cbranch_execz .LBB1870_473
.LBB1870_505:                           ;   in Loop: Header=BB1870_399 Depth=2
	v_lshlrev_b32_e32 v3, 2, v103
	v_add_nc_u32_e32 v21, v47, v48
	ds_read_b32 v3, v3
	ds_read_b64 v[21:22], v21 offset:3072
	s_waitcnt lgkmcnt(1)
	v_add_nc_u32_e32 v3, v3, v30
	v_lshlrev_b64 v[24:25], 3, v[3:4]
	v_add_co_u32 v24, vcc_lo, s44, v24
	v_add_co_ci_u32_e64 v25, null, s45, v25, vcc_lo
	s_waitcnt lgkmcnt(0)
	global_store_dwordx2 v[24:25], v[21:22], off
	s_or_b32 exec_lo, exec_lo, s28
	s_and_saveexec_b32 s21, s22
	s_cbranch_execz .LBB1870_474
.LBB1870_506:                           ;   in Loop: Header=BB1870_399 Depth=2
	v_lshlrev_b32_e32 v3, 2, v102
	v_add_nc_u32_e32 v21, v47, v48
	ds_read_b32 v3, v3
	ds_read_b64 v[21:22], v21 offset:5120
	s_waitcnt lgkmcnt(1)
	v_add_nc_u32_e32 v3, v3, v31
	v_lshlrev_b64 v[24:25], 3, v[3:4]
	v_add_co_u32 v24, vcc_lo, s44, v24
	v_add_co_ci_u32_e64 v25, null, s45, v25, vcc_lo
	s_waitcnt lgkmcnt(0)
	global_store_dwordx2 v[24:25], v[21:22], off
	s_or_b32 exec_lo, exec_lo, s21
	s_and_saveexec_b32 s21, s23
	s_cbranch_execz .LBB1870_475
.LBB1870_507:                           ;   in Loop: Header=BB1870_399 Depth=2
	v_lshlrev_b32_e32 v3, 2, v101
	v_add_nc_u32_e32 v21, v47, v48
	ds_read_b32 v3, v3
	ds_read_b64 v[21:22], v21 offset:7168
	s_waitcnt lgkmcnt(1)
	v_add_nc_u32_e32 v3, v3, v32
	v_lshlrev_b64 v[24:25], 3, v[3:4]
	v_add_co_u32 v24, vcc_lo, s44, v24
	v_add_co_ci_u32_e64 v25, null, s45, v25, vcc_lo
	s_waitcnt lgkmcnt(0)
	global_store_dwordx2 v[24:25], v[21:22], off
	s_or_b32 exec_lo, exec_lo, s21
	s_and_saveexec_b32 s21, s24
	s_cbranch_execz .LBB1870_476
.LBB1870_508:                           ;   in Loop: Header=BB1870_399 Depth=2
	v_lshlrev_b32_e32 v3, 2, v100
	v_add_nc_u32_e32 v21, v47, v48
	ds_read_b32 v3, v3
	ds_read_b64 v[21:22], v21 offset:9216
	s_waitcnt lgkmcnt(1)
	v_add_nc_u32_e32 v3, v3, v35
	v_lshlrev_b64 v[24:25], 3, v[3:4]
	v_add_co_u32 v24, vcc_lo, s44, v24
	v_add_co_ci_u32_e64 v25, null, s45, v25, vcc_lo
	s_waitcnt lgkmcnt(0)
	global_store_dwordx2 v[24:25], v[21:22], off
	s_or_b32 exec_lo, exec_lo, s21
	s_and_saveexec_b32 s21, s25
	s_cbranch_execz .LBB1870_477
.LBB1870_509:                           ;   in Loop: Header=BB1870_399 Depth=2
	v_lshlrev_b32_e32 v3, 2, v99
	v_add_nc_u32_e32 v21, v47, v48
	ds_read_b32 v3, v3
	ds_read_b64 v[21:22], v21 offset:11264
	s_waitcnt lgkmcnt(1)
	v_add_nc_u32_e32 v3, v3, v36
	v_lshlrev_b64 v[24:25], 3, v[3:4]
	v_add_co_u32 v24, vcc_lo, s44, v24
	v_add_co_ci_u32_e64 v25, null, s45, v25, vcc_lo
	s_waitcnt lgkmcnt(0)
	global_store_dwordx2 v[24:25], v[21:22], off
	s_or_b32 exec_lo, exec_lo, s21
	s_and_saveexec_b32 s21, s26
	s_cbranch_execz .LBB1870_478
.LBB1870_510:                           ;   in Loop: Header=BB1870_399 Depth=2
	v_lshlrev_b32_e32 v3, 2, v98
	v_add_nc_u32_e32 v21, v47, v48
	ds_read_b32 v3, v3
	ds_read_b64 v[21:22], v21 offset:13312
	s_waitcnt lgkmcnt(1)
	v_add_nc_u32_e32 v3, v3, v37
	v_lshlrev_b64 v[24:25], 3, v[3:4]
	v_add_co_u32 v24, vcc_lo, s44, v24
	v_add_co_ci_u32_e64 v25, null, s45, v25, vcc_lo
	s_waitcnt lgkmcnt(0)
	global_store_dwordx2 v[24:25], v[21:22], off
	s_or_b32 exec_lo, exec_lo, s21
	s_and_saveexec_b32 s21, s27
	s_cbranch_execnz .LBB1870_479
	s_branch .LBB1870_480
.LBB1870_511:                           ;   in Loop: Header=BB1870_17 Depth=1
	s_waitcnt lgkmcnt(0)
	s_mov_b32 s5, 0
	s_barrier
.LBB1870_512:                           ;   in Loop: Header=BB1870_17 Depth=1
	s_and_b32 vcc_lo, exec_lo, s5
	s_cbranch_vccz .LBB1870_16
; %bb.513:                              ;   in Loop: Header=BB1870_17 Depth=1
	s_mov_b32 s5, s53
	s_mov_b32 s34, s33
	s_barrier
	buffer_gl0_inv
                                        ; implicit-def: $vgpr3
                                        ; implicit-def: $vgpr5
                                        ; implicit-def: $vgpr6
                                        ; implicit-def: $vgpr7
                                        ; implicit-def: $vgpr8
                                        ; implicit-def: $vgpr9
                                        ; implicit-def: $vgpr10
                                        ; implicit-def: $vgpr11
	s_branch .LBB1870_515
.LBB1870_514:                           ;   in Loop: Header=BB1870_515 Depth=2
	s_or_b32 exec_lo, exec_lo, s14
	s_addk_i32 s5, 0xf800
	s_cmp_ge_u32 s16, s52
	s_mov_b32 s34, s16
	s_cbranch_scc1 .LBB1870_551
.LBB1870_515:                           ;   Parent Loop BB1870_17 Depth=1
                                        ; =>  This Inner Loop Header: Depth=2
	s_add_i32 s16, s34, 0x800
	s_mov_b32 s14, -1
	s_cmp_gt_u32 s16, s52
                                        ; implicit-def: $vgpr12
                                        ; implicit-def: $vgpr13
                                        ; implicit-def: $vgpr14
                                        ; implicit-def: $vgpr15
                                        ; implicit-def: $vgpr16
                                        ; implicit-def: $vgpr17
                                        ; implicit-def: $vgpr18
                                        ; implicit-def: $vgpr19
	s_cbranch_scc1 .LBB1870_517
; %bb.516:                              ;   in Loop: Header=BB1870_515 Depth=2
	s_lshl_b64 s[14:15], s[34:35], 1
	v_add_co_u32 v15, vcc_lo, v55, s14
	v_add_co_ci_u32_e64 v16, null, s15, v56, vcc_lo
	s_mov_b32 s14, 0
	v_add_co_u32 v19, vcc_lo, 0x800, v15
	v_add_co_ci_u32_e64 v20, null, 0, v16, vcc_lo
	s_clause 0x7
	global_load_ushort v12, v[15:16], off
	global_load_ushort v13, v[15:16], off offset:512
	global_load_ushort v14, v[15:16], off offset:1024
	;; [unrolled: 1-line block ×3, first 2 shown]
	global_load_ushort v16, v[19:20], off
	global_load_ushort v17, v[19:20], off offset:512
	global_load_ushort v18, v[19:20], off offset:1024
	;; [unrolled: 1-line block ×3, first 2 shown]
.LBB1870_517:                           ;   in Loop: Header=BB1870_515 Depth=2
	s_andn2_b32 vcc_lo, exec_lo, s14
	s_movk_i32 s14, 0x800
	s_cbranch_vccnz .LBB1870_528
; %bb.518:                              ;   in Loop: Header=BB1870_515 Depth=2
	s_lshl_b64 s[14:15], s[34:35], 1
	s_mov_b32 s17, exec_lo
	s_add_u32 s14, s36, s14
	s_addc_u32 s15, s37, s15
	v_cmpx_gt_u32_e64 s5, v0
	s_cbranch_execnz .LBB1870_544
; %bb.519:                              ;   in Loop: Header=BB1870_515 Depth=2
	s_or_b32 exec_lo, exec_lo, s17
	s_mov_b32 s17, exec_lo
	v_cmpx_gt_u32_e64 s5, v30
	s_cbranch_execnz .LBB1870_545
.LBB1870_520:                           ;   in Loop: Header=BB1870_515 Depth=2
	s_or_b32 exec_lo, exec_lo, s17
	s_mov_b32 s17, exec_lo
	v_cmpx_gt_u32_e64 s5, v31
	s_cbranch_execnz .LBB1870_546
.LBB1870_521:                           ;   in Loop: Header=BB1870_515 Depth=2
	s_or_b32 exec_lo, exec_lo, s17
	s_mov_b32 s17, exec_lo
	v_cmpx_gt_u32_e64 s5, v32
	s_cbranch_execnz .LBB1870_547
.LBB1870_522:                           ;   in Loop: Header=BB1870_515 Depth=2
	s_or_b32 exec_lo, exec_lo, s17
	s_mov_b32 s17, exec_lo
	v_cmpx_gt_u32_e64 s5, v35
	s_cbranch_execnz .LBB1870_548
.LBB1870_523:                           ;   in Loop: Header=BB1870_515 Depth=2
	s_or_b32 exec_lo, exec_lo, s17
	s_mov_b32 s17, exec_lo
	v_cmpx_gt_u32_e64 s5, v36
	s_cbranch_execnz .LBB1870_549
.LBB1870_524:                           ;   in Loop: Header=BB1870_515 Depth=2
	s_or_b32 exec_lo, exec_lo, s17
	s_mov_b32 s17, exec_lo
	v_cmpx_gt_u32_e64 s5, v37
	s_cbranch_execnz .LBB1870_550
.LBB1870_525:                           ;   in Loop: Header=BB1870_515 Depth=2
	s_or_b32 exec_lo, exec_lo, s17
	s_mov_b32 s17, exec_lo
	v_cmpx_gt_u32_e64 s5, v38
	s_cbranch_execz .LBB1870_527
.LBB1870_526:                           ;   in Loop: Header=BB1870_515 Depth=2
	global_load_ushort v3, v87, s[14:15]
.LBB1870_527:                           ;   in Loop: Header=BB1870_515 Depth=2
	s_or_b32 exec_lo, exec_lo, s17
	s_waitcnt vmcnt(0)
	v_mov_b32_e32 v12, v11
	v_mov_b32_e32 v13, v10
	;; [unrolled: 1-line block ×8, first 2 shown]
	s_mov_b32 s14, s5
.LBB1870_528:                           ;   in Loop: Header=BB1870_515 Depth=2
	s_waitcnt vmcnt(0)
	v_mov_b32_e32 v3, v19
	v_mov_b32_e32 v5, v18
	v_mov_b32_e32 v6, v17
	v_mov_b32_e32 v7, v16
	v_mov_b32_e32 v8, v15
	v_mov_b32_e32 v9, v14
	v_mov_b32_e32 v10, v13
	v_mov_b32_e32 v11, v12
	s_mov_b32 s15, exec_lo
	v_cmpx_gt_u32_e64 s14, v0
	s_cbranch_execnz .LBB1870_536
; %bb.529:                              ;   in Loop: Header=BB1870_515 Depth=2
	s_or_b32 exec_lo, exec_lo, s15
	s_mov_b32 s15, exec_lo
	v_cmpx_gt_u32_e64 s14, v30
	s_cbranch_execnz .LBB1870_537
.LBB1870_530:                           ;   in Loop: Header=BB1870_515 Depth=2
	s_or_b32 exec_lo, exec_lo, s15
	s_mov_b32 s15, exec_lo
	v_cmpx_gt_u32_e64 s14, v31
	s_cbranch_execnz .LBB1870_538
.LBB1870_531:                           ;   in Loop: Header=BB1870_515 Depth=2
	s_or_b32 exec_lo, exec_lo, s15
	s_mov_b32 s15, exec_lo
	v_cmpx_gt_u32_e64 s14, v32
	s_cbranch_execnz .LBB1870_539
.LBB1870_532:                           ;   in Loop: Header=BB1870_515 Depth=2
	s_or_b32 exec_lo, exec_lo, s15
	s_mov_b32 s15, exec_lo
	v_cmpx_gt_u32_e64 s14, v35
	s_cbranch_execnz .LBB1870_540
.LBB1870_533:                           ;   in Loop: Header=BB1870_515 Depth=2
	s_or_b32 exec_lo, exec_lo, s15
	s_mov_b32 s15, exec_lo
	v_cmpx_gt_u32_e64 s14, v36
	s_cbranch_execnz .LBB1870_541
.LBB1870_534:                           ;   in Loop: Header=BB1870_515 Depth=2
	s_or_b32 exec_lo, exec_lo, s15
	s_mov_b32 s15, exec_lo
	v_cmpx_gt_u32_e64 s14, v37
	s_cbranch_execnz .LBB1870_542
.LBB1870_535:                           ;   in Loop: Header=BB1870_515 Depth=2
	s_or_b32 exec_lo, exec_lo, s15
	v_cmp_gt_u32_e32 vcc_lo, s14, v38
	s_and_saveexec_b32 s14, vcc_lo
	s_cbranch_execz .LBB1870_514
	s_branch .LBB1870_543
.LBB1870_536:                           ;   in Loop: Header=BB1870_515 Depth=2
	v_cmp_lt_i16_e32 vcc_lo, -1, v11
	v_cndmask_b32_e64 v12, -1, 0xffff8000, vcc_lo
	v_xor_b32_e32 v12, v12, v11
	v_cmp_ne_u16_e32 vcc_lo, 0x7fff, v12
	v_cndmask_b32_e32 v12, 0xffff8000, v12, vcc_lo
	v_lshrrev_b32_sdwa v12, s49, v12 dst_sel:DWORD dst_unused:UNUSED_PAD src0_sel:DWORD src1_sel:WORD_0
	v_and_b32_e32 v12, s42, v12
	v_lshl_or_b32 v12, v12, 4, v40
	ds_add_u32 v12, v62
	s_or_b32 exec_lo, exec_lo, s15
	s_mov_b32 s15, exec_lo
	v_cmpx_gt_u32_e64 s14, v30
	s_cbranch_execz .LBB1870_530
.LBB1870_537:                           ;   in Loop: Header=BB1870_515 Depth=2
	v_cmp_lt_i16_e32 vcc_lo, -1, v10
	v_cndmask_b32_e64 v12, -1, 0xffff8000, vcc_lo
	v_xor_b32_e32 v12, v12, v10
	v_cmp_ne_u16_e32 vcc_lo, 0x7fff, v12
	v_cndmask_b32_e32 v12, 0xffff8000, v12, vcc_lo
	v_lshrrev_b32_sdwa v12, s49, v12 dst_sel:DWORD dst_unused:UNUSED_PAD src0_sel:DWORD src1_sel:WORD_0
	v_and_b32_e32 v12, s42, v12
	v_lshl_or_b32 v12, v12, 4, v40
	ds_add_u32 v12, v62
	s_or_b32 exec_lo, exec_lo, s15
	s_mov_b32 s15, exec_lo
	v_cmpx_gt_u32_e64 s14, v31
	s_cbranch_execz .LBB1870_531
.LBB1870_538:                           ;   in Loop: Header=BB1870_515 Depth=2
	v_cmp_lt_i16_e32 vcc_lo, -1, v9
	v_cndmask_b32_e64 v12, -1, 0xffff8000, vcc_lo
	v_xor_b32_e32 v12, v12, v9
	v_cmp_ne_u16_e32 vcc_lo, 0x7fff, v12
	v_cndmask_b32_e32 v12, 0xffff8000, v12, vcc_lo
	v_lshrrev_b32_sdwa v12, s49, v12 dst_sel:DWORD dst_unused:UNUSED_PAD src0_sel:DWORD src1_sel:WORD_0
	v_and_b32_e32 v12, s42, v12
	v_lshl_or_b32 v12, v12, 4, v40
	ds_add_u32 v12, v62
	s_or_b32 exec_lo, exec_lo, s15
	s_mov_b32 s15, exec_lo
	v_cmpx_gt_u32_e64 s14, v32
	s_cbranch_execz .LBB1870_532
.LBB1870_539:                           ;   in Loop: Header=BB1870_515 Depth=2
	v_cmp_lt_i16_e32 vcc_lo, -1, v8
	v_cndmask_b32_e64 v12, -1, 0xffff8000, vcc_lo
	v_xor_b32_e32 v12, v12, v8
	v_cmp_ne_u16_e32 vcc_lo, 0x7fff, v12
	v_cndmask_b32_e32 v12, 0xffff8000, v12, vcc_lo
	v_lshrrev_b32_sdwa v12, s49, v12 dst_sel:DWORD dst_unused:UNUSED_PAD src0_sel:DWORD src1_sel:WORD_0
	v_and_b32_e32 v12, s42, v12
	v_lshl_or_b32 v12, v12, 4, v40
	ds_add_u32 v12, v62
	s_or_b32 exec_lo, exec_lo, s15
	s_mov_b32 s15, exec_lo
	v_cmpx_gt_u32_e64 s14, v35
	s_cbranch_execz .LBB1870_533
.LBB1870_540:                           ;   in Loop: Header=BB1870_515 Depth=2
	v_cmp_lt_i16_e32 vcc_lo, -1, v7
	v_cndmask_b32_e64 v12, -1, 0xffff8000, vcc_lo
	v_xor_b32_e32 v12, v12, v7
	v_cmp_ne_u16_e32 vcc_lo, 0x7fff, v12
	v_cndmask_b32_e32 v12, 0xffff8000, v12, vcc_lo
	v_lshrrev_b32_sdwa v12, s49, v12 dst_sel:DWORD dst_unused:UNUSED_PAD src0_sel:DWORD src1_sel:WORD_0
	v_and_b32_e32 v12, s42, v12
	v_lshl_or_b32 v12, v12, 4, v40
	ds_add_u32 v12, v62
	s_or_b32 exec_lo, exec_lo, s15
	s_mov_b32 s15, exec_lo
	v_cmpx_gt_u32_e64 s14, v36
	s_cbranch_execz .LBB1870_534
.LBB1870_541:                           ;   in Loop: Header=BB1870_515 Depth=2
	v_cmp_lt_i16_e32 vcc_lo, -1, v6
	v_cndmask_b32_e64 v12, -1, 0xffff8000, vcc_lo
	v_xor_b32_e32 v12, v12, v6
	v_cmp_ne_u16_e32 vcc_lo, 0x7fff, v12
	v_cndmask_b32_e32 v12, 0xffff8000, v12, vcc_lo
	v_lshrrev_b32_sdwa v12, s49, v12 dst_sel:DWORD dst_unused:UNUSED_PAD src0_sel:DWORD src1_sel:WORD_0
	v_and_b32_e32 v12, s42, v12
	v_lshl_or_b32 v12, v12, 4, v40
	ds_add_u32 v12, v62
	s_or_b32 exec_lo, exec_lo, s15
	s_mov_b32 s15, exec_lo
	v_cmpx_gt_u32_e64 s14, v37
	s_cbranch_execz .LBB1870_535
.LBB1870_542:                           ;   in Loop: Header=BB1870_515 Depth=2
	v_cmp_lt_i16_e32 vcc_lo, -1, v5
	v_cndmask_b32_e64 v12, -1, 0xffff8000, vcc_lo
	v_xor_b32_e32 v12, v12, v5
	v_cmp_ne_u16_e32 vcc_lo, 0x7fff, v12
	v_cndmask_b32_e32 v12, 0xffff8000, v12, vcc_lo
	v_lshrrev_b32_sdwa v12, s49, v12 dst_sel:DWORD dst_unused:UNUSED_PAD src0_sel:DWORD src1_sel:WORD_0
	v_and_b32_e32 v12, s42, v12
	v_lshl_or_b32 v12, v12, 4, v40
	ds_add_u32 v12, v62
	s_or_b32 exec_lo, exec_lo, s15
	v_cmp_gt_u32_e32 vcc_lo, s14, v38
	s_and_saveexec_b32 s14, vcc_lo
	s_cbranch_execz .LBB1870_514
.LBB1870_543:                           ;   in Loop: Header=BB1870_515 Depth=2
	v_cmp_lt_i16_e32 vcc_lo, -1, v3
	v_cndmask_b32_e64 v12, -1, 0xffff8000, vcc_lo
	v_xor_b32_e32 v12, v12, v3
	v_cmp_ne_u16_e32 vcc_lo, 0x7fff, v12
	v_cndmask_b32_e32 v12, 0xffff8000, v12, vcc_lo
	v_lshrrev_b32_sdwa v12, s49, v12 dst_sel:DWORD dst_unused:UNUSED_PAD src0_sel:DWORD src1_sel:WORD_0
	v_and_b32_e32 v12, s42, v12
	v_lshl_or_b32 v12, v12, 4, v40
	ds_add_u32 v12, v62
	s_branch .LBB1870_514
.LBB1870_544:                           ;   in Loop: Header=BB1870_515 Depth=2
	global_load_ushort v11, v79, s[14:15]
	s_or_b32 exec_lo, exec_lo, s17
	s_mov_b32 s17, exec_lo
	v_cmpx_gt_u32_e64 s5, v30
	s_cbranch_execz .LBB1870_520
.LBB1870_545:                           ;   in Loop: Header=BB1870_515 Depth=2
	global_load_ushort v10, v79, s[14:15] offset:512
	s_or_b32 exec_lo, exec_lo, s17
	s_mov_b32 s17, exec_lo
	v_cmpx_gt_u32_e64 s5, v31
	s_cbranch_execz .LBB1870_521
.LBB1870_546:                           ;   in Loop: Header=BB1870_515 Depth=2
	global_load_ushort v9, v79, s[14:15] offset:1024
	s_or_b32 exec_lo, exec_lo, s17
	s_mov_b32 s17, exec_lo
	v_cmpx_gt_u32_e64 s5, v32
	s_cbranch_execz .LBB1870_522
.LBB1870_547:                           ;   in Loop: Header=BB1870_515 Depth=2
	global_load_ushort v8, v79, s[14:15] offset:1536
	s_or_b32 exec_lo, exec_lo, s17
	s_mov_b32 s17, exec_lo
	v_cmpx_gt_u32_e64 s5, v35
	s_cbranch_execz .LBB1870_523
.LBB1870_548:                           ;   in Loop: Header=BB1870_515 Depth=2
	global_load_ushort v7, v80, s[14:15]
	s_or_b32 exec_lo, exec_lo, s17
	s_mov_b32 s17, exec_lo
	v_cmpx_gt_u32_e64 s5, v36
	s_cbranch_execz .LBB1870_524
.LBB1870_549:                           ;   in Loop: Header=BB1870_515 Depth=2
	global_load_ushort v6, v81, s[14:15]
	s_or_b32 exec_lo, exec_lo, s17
	s_mov_b32 s17, exec_lo
	v_cmpx_gt_u32_e64 s5, v37
	s_cbranch_execz .LBB1870_525
.LBB1870_550:                           ;   in Loop: Header=BB1870_515 Depth=2
	global_load_ushort v5, v82, s[14:15]
	s_or_b32 exec_lo, exec_lo, s17
	s_mov_b32 s17, exec_lo
	v_cmpx_gt_u32_e64 s5, v38
	s_cbranch_execnz .LBB1870_526
	s_branch .LBB1870_527
.LBB1870_551:                           ;   in Loop: Header=BB1870_17 Depth=1
	v_mov_b32_e32 v3, 0
	s_waitcnt lgkmcnt(0)
	s_barrier
	buffer_gl0_inv
	s_and_saveexec_b32 s5, s8
	s_cbranch_execz .LBB1870_553
; %bb.552:                              ;   in Loop: Header=BB1870_17 Depth=1
	ds_read2_b64 v[5:8], v41 offset1:1
	s_waitcnt lgkmcnt(0)
	v_add_nc_u32_e32 v3, v6, v5
	v_add3_u32 v3, v3, v7, v8
.LBB1870_553:                           ;   in Loop: Header=BB1870_17 Depth=1
	s_or_b32 exec_lo, exec_lo, s5
	v_mov_b32_dpp v5, v3 row_shr:1 row_mask:0xf bank_mask:0xf
	v_cmp_eq_u32_e64 s5, 0, v63
	v_cmp_lt_u32_e64 s14, 1, v63
	v_cmp_lt_u32_e64 s15, 3, v63
	;; [unrolled: 1-line block ×3, first 2 shown]
	v_cmp_eq_u32_e64 s17, 0, v65
	v_cndmask_b32_e64 v5, v5, 0, s5
	v_add_nc_u32_e32 v3, v5, v3
	v_mov_b32_dpp v5, v3 row_shr:2 row_mask:0xf bank_mask:0xf
	v_cndmask_b32_e64 v5, 0, v5, s14
	v_add_nc_u32_e32 v3, v3, v5
	v_mov_b32_dpp v5, v3 row_shr:4 row_mask:0xf bank_mask:0xf
	;; [unrolled: 3-line block ×3, first 2 shown]
	v_cndmask_b32_e64 v5, 0, v5, s16
	v_add_nc_u32_e32 v3, v3, v5
	ds_swizzle_b32 v5, v3 offset:swizzle(BROADCAST,32,15)
	s_waitcnt lgkmcnt(0)
	v_and_b32_e32 v5, v64, v5
	v_add_nc_u32_e32 v3, v3, v5
	s_and_saveexec_b32 s18, s9
; %bb.554:                              ;   in Loop: Header=BB1870_17 Depth=1
	ds_write_b32 v42, v3
; %bb.555:                              ;   in Loop: Header=BB1870_17 Depth=1
	s_or_b32 exec_lo, exec_lo, s18
	s_waitcnt lgkmcnt(0)
	s_barrier
	buffer_gl0_inv
	s_and_saveexec_b32 s18, s10
	s_cbranch_execz .LBB1870_557
; %bb.556:                              ;   in Loop: Header=BB1870_17 Depth=1
	ds_read_b32 v5, v43
	v_cmp_ne_u32_e32 vcc_lo, 0, v67
	s_waitcnt lgkmcnt(0)
	v_mov_b32_dpp v6, v5 row_shr:1 row_mask:0xf bank_mask:0xf
	v_cndmask_b32_e32 v6, 0, v6, vcc_lo
	v_cmp_lt_u32_e32 vcc_lo, 1, v67
	v_add_nc_u32_e32 v5, v6, v5
	v_mov_b32_dpp v6, v5 row_shr:2 row_mask:0xf bank_mask:0xf
	v_cndmask_b32_e32 v6, 0, v6, vcc_lo
	v_cmp_lt_u32_e32 vcc_lo, 3, v67
	v_add_nc_u32_e32 v5, v5, v6
	v_mov_b32_dpp v6, v5 row_shr:4 row_mask:0xf bank_mask:0xf
	v_cndmask_b32_e32 v6, 0, v6, vcc_lo
	v_add_nc_u32_e32 v5, v5, v6
	ds_write_b32 v43, v5
.LBB1870_557:                           ;   in Loop: Header=BB1870_17 Depth=1
	s_or_b32 exec_lo, exec_lo, s18
	v_mov_b32_e32 v5, 0
	s_waitcnt lgkmcnt(0)
	s_barrier
	buffer_gl0_inv
	s_and_saveexec_b32 s18, s11
; %bb.558:                              ;   in Loop: Header=BB1870_17 Depth=1
	ds_read_b32 v5, v45
; %bb.559:                              ;   in Loop: Header=BB1870_17 Depth=1
	s_or_b32 exec_lo, exec_lo, s18
	v_cmp_gt_i32_e32 vcc_lo, 0, v68
	s_waitcnt lgkmcnt(0)
	v_add_nc_u32_e32 v3, v5, v3
	s_barrier
	buffer_gl0_inv
	v_cndmask_b32_e32 v6, v68, v59, vcc_lo
	v_lshlrev_b32_e32 v91, 2, v6
	ds_bpermute_b32 v3, v91, v3
	s_and_saveexec_b32 s18, s8
	s_cbranch_execz .LBB1870_561
; %bb.560:                              ;   in Loop: Header=BB1870_17 Depth=1
	s_waitcnt lgkmcnt(0)
	v_cndmask_b32_e64 v3, v3, v5, s13
	v_add_nc_u32_e32 v3, s33, v3
	ds_write_b32 v29, v3
.LBB1870_561:                           ;   in Loop: Header=BB1870_17 Depth=1
	s_or_b32 exec_lo, exec_lo, s18
	s_load_dwordx2 s[18:19], s[30:31], 0x0
	v_add_co_u32 v92, vcc_lo, v57, v69
	v_add_co_ci_u32_e64 v93, null, 0, v58, vcc_lo
	v_add_co_u32 v94, vcc_lo, v60, v77
	v_add_co_ci_u32_e64 v95, null, 0, v61, vcc_lo
	s_mov_b32 s43, s53
	s_mov_b32 s34, s33
                                        ; implicit-def: $vgpr7_vgpr8
                                        ; implicit-def: $vgpr9_vgpr10
                                        ; implicit-def: $vgpr11_vgpr12
                                        ; implicit-def: $vgpr13_vgpr14
                                        ; implicit-def: $vgpr15_vgpr16
                                        ; implicit-def: $vgpr17_vgpr18
                                        ; implicit-def: $vgpr19_vgpr20
                                        ; implicit-def: $vgpr97
                                        ; implicit-def: $vgpr98
                                        ; implicit-def: $vgpr99
                                        ; implicit-def: $vgpr100
                                        ; implicit-def: $vgpr101
                                        ; implicit-def: $vgpr102
                                        ; implicit-def: $vgpr103
                                        ; implicit-def: $vgpr104
	s_waitcnt lgkmcnt(0)
	s_cmp_lt_u32 s7, s19
	s_cselect_b32 s19, 14, 20
	s_add_u32 s20, s30, s19
	s_addc_u32 s21, s31, 0
	s_cmp_lt_u32 s6, s18
	global_load_ushort v3, v4, s[20:21]
	s_cselect_b32 s18, 12, 18
	s_add_u32 s18, s30, s18
	s_addc_u32 s19, s31, 0
	global_load_ushort v5, v4, s[18:19]
	v_cmp_eq_u32_e64 s18, 0, v67
	v_cmp_lt_u32_e64 s19, 1, v67
	v_cmp_lt_u32_e64 s20, 3, v67
	s_waitcnt vmcnt(1)
	v_mad_u32_u24 v3, v2, v3, v1
	s_waitcnt vmcnt(0)
	v_mad_u64_u32 v[5:6], null, v3, v5, v[0:1]
	v_lshrrev_b32_e32 v3, 3, v5
                                        ; implicit-def: $vgpr5_vgpr6
	v_and_b32_e32 v96, 0x1ffffffc, v3
	s_branch .LBB1870_563
.LBB1870_562:                           ;   in Loop: Header=BB1870_563 Depth=2
	s_or_b32 exec_lo, exec_lo, s21
	s_addk_i32 s43, 0xf800
	s_cmp_lt_u32 s48, s52
	s_mov_b32 s34, s48
	s_cbranch_scc0 .LBB1870_15
.LBB1870_563:                           ;   Parent Loop BB1870_17 Depth=1
                                        ; =>  This Inner Loop Header: Depth=2
	s_add_i32 s48, s34, 0x800
	s_cmp_gt_u32 s48, s52
	s_cbranch_scc1 .LBB1870_565
; %bb.564:                              ;   in Loop: Header=BB1870_563 Depth=2
	s_lshl_b64 s[22:23], s[34:35], 1
	s_mov_b32 s21, -1
	v_add_co_u32 v21, vcc_lo, v94, s22
	v_add_co_ci_u32_e64 v22, null, s23, v95, vcc_lo
	s_clause 0x6
	global_load_ushort v3, v[21:22], off
	global_load_ushort v28, v[21:22], off offset:64
	global_load_ushort v27, v[21:22], off offset:128
	;; [unrolled: 1-line block ×6, first 2 shown]
	s_movk_i32 s22, 0x800
	s_cbranch_execz .LBB1870_566
	s_branch .LBB1870_581
.LBB1870_565:                           ;   in Loop: Header=BB1870_563 Depth=2
	s_mov_b32 s21, 0
                                        ; implicit-def: $vgpr3
                                        ; implicit-def: $vgpr28
                                        ; implicit-def: $vgpr27
                                        ; implicit-def: $vgpr26
                                        ; implicit-def: $vgpr25
                                        ; implicit-def: $vgpr24
                                        ; implicit-def: $vgpr23
	s_movk_i32 s22, 0x800
.LBB1870_566:                           ;   in Loop: Header=BB1870_563 Depth=2
	s_lshl_b64 s[22:23], s[34:35], 1
	s_waitcnt vmcnt(5)
	v_mov_b32_e32 v28, 0x7fff
	v_add_co_u32 v21, vcc_lo, v94, s22
	v_add_co_ci_u32_e64 v22, null, s23, v95, vcc_lo
	v_mov_b32_e32 v3, 0x7fff
	s_mov_b32 s21, exec_lo
	v_cmpx_gt_u32_e64 s43, v66
	s_cbranch_execz .LBB1870_568
; %bb.567:                              ;   in Loop: Header=BB1870_563 Depth=2
	global_load_ushort v3, v[21:22], off
.LBB1870_568:                           ;   in Loop: Header=BB1870_563 Depth=2
	s_or_b32 exec_lo, exec_lo, s21
	s_mov_b32 s21, exec_lo
	v_cmpx_gt_u32_e64 s43, v70
	s_cbranch_execz .LBB1870_570
; %bb.569:                              ;   in Loop: Header=BB1870_563 Depth=2
	global_load_ushort v28, v[21:22], off offset:64
.LBB1870_570:                           ;   in Loop: Header=BB1870_563 Depth=2
	s_or_b32 exec_lo, exec_lo, s21
	s_waitcnt vmcnt(3)
	v_mov_b32_e32 v26, 0x7fff
	v_mov_b32_e32 v27, 0x7fff
	s_mov_b32 s21, exec_lo
	v_cmpx_gt_u32_e64 s43, v71
	s_cbranch_execz .LBB1870_572
; %bb.571:                              ;   in Loop: Header=BB1870_563 Depth=2
	global_load_ushort v27, v[21:22], off offset:128
.LBB1870_572:                           ;   in Loop: Header=BB1870_563 Depth=2
	s_or_b32 exec_lo, exec_lo, s21
	s_mov_b32 s21, exec_lo
	v_cmpx_gt_u32_e64 s43, v72
	s_cbranch_execz .LBB1870_574
; %bb.573:                              ;   in Loop: Header=BB1870_563 Depth=2
	global_load_ushort v26, v[21:22], off offset:192
.LBB1870_574:                           ;   in Loop: Header=BB1870_563 Depth=2
	s_or_b32 exec_lo, exec_lo, s21
	s_waitcnt vmcnt(1)
	v_mov_b32_e32 v24, 0x7fff
	v_mov_b32_e32 v25, 0x7fff
	s_mov_b32 s21, exec_lo
	v_cmpx_gt_u32_e64 s43, v73
	s_cbranch_execz .LBB1870_576
; %bb.575:                              ;   in Loop: Header=BB1870_563 Depth=2
	global_load_ushort v25, v[21:22], off offset:256
.LBB1870_576:                           ;   in Loop: Header=BB1870_563 Depth=2
	s_or_b32 exec_lo, exec_lo, s21
	s_mov_b32 s21, exec_lo
	v_cmpx_gt_u32_e64 s43, v74
	s_cbranch_execz .LBB1870_578
; %bb.577:                              ;   in Loop: Header=BB1870_563 Depth=2
	global_load_ushort v24, v[21:22], off offset:320
.LBB1870_578:                           ;   in Loop: Header=BB1870_563 Depth=2
	s_or_b32 exec_lo, exec_lo, s21
	s_waitcnt vmcnt(0)
	v_mov_b32_e32 v23, 0x7fff
	s_mov_b32 s21, exec_lo
	v_cmpx_gt_u32_e64 s43, v75
	s_cbranch_execz .LBB1870_580
; %bb.579:                              ;   in Loop: Header=BB1870_563 Depth=2
	global_load_ushort v23, v[21:22], off offset:384
.LBB1870_580:                           ;   in Loop: Header=BB1870_563 Depth=2
	s_or_b32 exec_lo, exec_lo, s21
	v_cmp_gt_u32_e64 s21, s43, v76
	s_sub_i32 s22, s52, s34
.LBB1870_581:                           ;   in Loop: Header=BB1870_563 Depth=2
	v_mov_b32_e32 v21, 0x7fff
	v_mov_b32_e32 v105, s43
	s_and_saveexec_b32 s23, s21
	s_cbranch_execz .LBB1870_583
; %bb.582:                              ;   in Loop: Header=BB1870_563 Depth=2
	s_lshl_b64 s[24:25], s[34:35], 1
	v_mov_b32_e32 v105, s22
	v_add_co_u32 v21, vcc_lo, v94, s24
	v_add_co_ci_u32_e64 v22, null, s25, v95, vcc_lo
	global_load_ushort v21, v[21:22], off offset:448
.LBB1870_583:                           ;   in Loop: Header=BB1870_563 Depth=2
	s_or_b32 exec_lo, exec_lo, s23
	s_waitcnt vmcnt(6)
	v_cmp_lt_i16_e32 vcc_lo, -1, v3
	ds_write2_b32 v78, v4, v4 offset1:1
	ds_write2_b32 v88, v4, v4 offset1:1
	;; [unrolled: 1-line block ×4, first 2 shown]
	ds_write_b32 v44, v4 offset:1088
	s_waitcnt vmcnt(0) lgkmcnt(0)
	s_barrier
	v_cndmask_b32_e64 v22, -1, 0xffff8000, vcc_lo
	buffer_gl0_inv
	; wave barrier
	v_xor_b32_e32 v3, v22, v3
	v_cmp_ne_u16_e32 vcc_lo, 0x7fff, v3
	v_cndmask_b32_e32 v22, 0xffff8000, v3, vcc_lo
	v_lshrrev_b32_sdwa v22, s49, v22 dst_sel:DWORD dst_unused:UNUSED_PAD src0_sel:DWORD src1_sel:WORD_0
	v_and_b32_e32 v107, s42, v22
	v_and_b32_e32 v22, 1, v107
	v_lshlrev_b32_e32 v106, 30, v107
	v_lshlrev_b32_e32 v108, 29, v107
	;; [unrolled: 1-line block ×4, first 2 shown]
	v_add_co_u32 v22, s21, v22, -1
	v_cndmask_b32_e64 v110, 0, 1, s21
	v_not_b32_e32 v114, v106
	v_cmp_gt_i32_e64 s21, 0, v106
	v_not_b32_e32 v106, v108
	v_lshlrev_b32_e32 v112, 26, v107
	v_cmp_ne_u32_e32 vcc_lo, 0, v110
	v_ashrrev_i32_e32 v114, 31, v114
	v_lshlrev_b32_e32 v113, 25, v107
	v_ashrrev_i32_e32 v106, 31, v106
	v_lshlrev_b32_e32 v110, 24, v107
	v_xor_b32_e32 v22, vcc_lo, v22
	v_cmp_gt_i32_e32 vcc_lo, 0, v108
	v_not_b32_e32 v108, v109
	v_xor_b32_e32 v114, s21, v114
	v_cmp_gt_i32_e64 s21, 0, v109
	v_and_b32_e32 v22, exec_lo, v22
	v_not_b32_e32 v109, v111
	v_ashrrev_i32_e32 v108, 31, v108
	v_xor_b32_e32 v106, vcc_lo, v106
	v_cmp_gt_i32_e32 vcc_lo, 0, v111
	v_and_b32_e32 v22, v22, v114
	v_not_b32_e32 v111, v112
	v_ashrrev_i32_e32 v109, 31, v109
	v_xor_b32_e32 v108, s21, v108
	v_cmp_gt_i32_e64 s21, 0, v112
	v_and_b32_e32 v22, v22, v106
	v_not_b32_e32 v106, v113
	v_ashrrev_i32_e32 v111, 31, v111
	v_xor_b32_e32 v109, vcc_lo, v109
	v_cmp_gt_i32_e32 vcc_lo, 0, v113
	v_and_b32_e32 v22, v22, v108
	v_not_b32_e32 v108, v110
	v_ashrrev_i32_e32 v106, 31, v106
	v_xor_b32_e32 v111, s21, v111
	v_cmp_gt_i32_e64 s21, 0, v110
	v_and_b32_e32 v22, v22, v109
	v_ashrrev_i32_e32 v108, 31, v108
	v_xor_b32_e32 v106, vcc_lo, v106
	v_mul_u32_u24_e32 v107, 36, v107
	v_and_b32_e32 v22, v22, v111
	v_xor_b32_e32 v108, s21, v108
	v_and_b32_e32 v22, v22, v106
	v_and_b32_e32 v22, v22, v108
	v_add_nc_u32_e32 v108, v96, v107
	v_mbcnt_lo_u32_b32 v106, v22, 0
	v_cmp_ne_u32_e64 s21, 0, v22
	v_cmp_eq_u32_e32 vcc_lo, 0, v106
	s_and_b32 s22, s21, vcc_lo
	s_and_saveexec_b32 s21, s22
; %bb.584:                              ;   in Loop: Header=BB1870_563 Depth=2
	v_bcnt_u32_b32 v22, v22, 0
	ds_write_b32 v108, v22 offset:1056
; %bb.585:                              ;   in Loop: Header=BB1870_563 Depth=2
	s_or_b32 exec_lo, exec_lo, s21
	v_cmp_lt_i16_e32 vcc_lo, -1, v28
	; wave barrier
	v_cndmask_b32_e64 v22, -1, 0xffff8000, vcc_lo
	v_xor_b32_e32 v107, v22, v28
	v_cmp_ne_u16_e32 vcc_lo, 0x7fff, v107
	v_cndmask_b32_e32 v22, 0xffff8000, v107, vcc_lo
	v_lshrrev_b32_sdwa v22, s49, v22 dst_sel:DWORD dst_unused:UNUSED_PAD src0_sel:DWORD src1_sel:WORD_0
	v_and_b32_e32 v28, s42, v22
	v_and_b32_e32 v22, 1, v28
	v_lshlrev_b32_e32 v109, 30, v28
	v_lshlrev_b32_e32 v110, 29, v28
	;; [unrolled: 1-line block ×4, first 2 shown]
	v_add_co_u32 v22, s21, v22, -1
	v_cndmask_b32_e64 v112, 0, 1, s21
	v_not_b32_e32 v116, v109
	v_cmp_gt_i32_e64 s21, 0, v109
	v_not_b32_e32 v109, v110
	v_lshlrev_b32_e32 v114, 26, v28
	v_cmp_ne_u32_e32 vcc_lo, 0, v112
	v_ashrrev_i32_e32 v116, 31, v116
	v_lshlrev_b32_e32 v115, 25, v28
	v_ashrrev_i32_e32 v109, 31, v109
	v_lshlrev_b32_e32 v112, 24, v28
	v_xor_b32_e32 v22, vcc_lo, v22
	v_cmp_gt_i32_e32 vcc_lo, 0, v110
	v_not_b32_e32 v110, v111
	v_xor_b32_e32 v116, s21, v116
	v_cmp_gt_i32_e64 s21, 0, v111
	v_and_b32_e32 v22, exec_lo, v22
	v_not_b32_e32 v111, v113
	v_ashrrev_i32_e32 v110, 31, v110
	v_xor_b32_e32 v109, vcc_lo, v109
	v_cmp_gt_i32_e32 vcc_lo, 0, v113
	v_and_b32_e32 v22, v22, v116
	v_not_b32_e32 v113, v114
	v_ashrrev_i32_e32 v111, 31, v111
	v_xor_b32_e32 v110, s21, v110
	v_cmp_gt_i32_e64 s21, 0, v114
	v_and_b32_e32 v22, v22, v109
	v_not_b32_e32 v109, v115
	v_ashrrev_i32_e32 v113, 31, v113
	v_xor_b32_e32 v111, vcc_lo, v111
	v_cmp_gt_i32_e32 vcc_lo, 0, v115
	v_and_b32_e32 v22, v22, v110
	v_not_b32_e32 v110, v112
	v_ashrrev_i32_e32 v109, 31, v109
	v_xor_b32_e32 v113, s21, v113
	v_cmp_gt_i32_e64 s21, 0, v112
	v_and_b32_e32 v22, v22, v111
	v_ashrrev_i32_e32 v110, 31, v110
	v_xor_b32_e32 v109, vcc_lo, v109
	v_mad_u32_u24 v111, v28, 36, v96
	v_mul_u32_u24_e32 v28, 36, v28
	v_and_b32_e32 v22, v22, v113
	v_xor_b32_e32 v110, s21, v110
	v_add_nc_u32_e32 v112, v96, v28
	v_and_b32_e32 v22, v22, v109
	ds_read_b32 v109, v111 offset:1056
	; wave barrier
	v_and_b32_e32 v22, v22, v110
	v_mbcnt_lo_u32_b32 v110, v22, 0
	v_cmp_ne_u32_e64 s21, 0, v22
	v_cmp_eq_u32_e32 vcc_lo, 0, v110
	s_and_b32 s22, s21, vcc_lo
	s_and_saveexec_b32 s21, s22
	s_cbranch_execz .LBB1870_587
; %bb.586:                              ;   in Loop: Header=BB1870_563 Depth=2
	s_waitcnt lgkmcnt(0)
	v_bcnt_u32_b32 v22, v22, v109
	ds_write_b32 v112, v22 offset:1056
.LBB1870_587:                           ;   in Loop: Header=BB1870_563 Depth=2
	s_or_b32 exec_lo, exec_lo, s21
	v_cmp_lt_i16_e32 vcc_lo, -1, v27
	; wave barrier
	v_cndmask_b32_e64 v22, -1, 0xffff8000, vcc_lo
	v_xor_b32_e32 v111, v22, v27
	v_cmp_ne_u16_e32 vcc_lo, 0x7fff, v111
	v_cndmask_b32_e32 v22, 0xffff8000, v111, vcc_lo
	v_lshrrev_b32_sdwa v22, s49, v22 dst_sel:DWORD dst_unused:UNUSED_PAD src0_sel:DWORD src1_sel:WORD_0
	v_and_b32_e32 v27, s42, v22
	v_and_b32_e32 v22, 1, v27
	v_lshlrev_b32_e32 v28, 30, v27
	v_lshlrev_b32_e32 v113, 29, v27
	;; [unrolled: 1-line block ×4, first 2 shown]
	v_add_co_u32 v22, s21, v22, -1
	v_cndmask_b32_e64 v115, 0, 1, s21
	v_not_b32_e32 v119, v28
	v_cmp_gt_i32_e64 s21, 0, v28
	v_not_b32_e32 v28, v113
	v_lshlrev_b32_e32 v117, 26, v27
	v_cmp_ne_u32_e32 vcc_lo, 0, v115
	v_ashrrev_i32_e32 v119, 31, v119
	v_lshlrev_b32_e32 v118, 25, v27
	v_ashrrev_i32_e32 v28, 31, v28
	v_lshlrev_b32_e32 v115, 24, v27
	v_xor_b32_e32 v22, vcc_lo, v22
	v_cmp_gt_i32_e32 vcc_lo, 0, v113
	v_not_b32_e32 v113, v114
	v_xor_b32_e32 v119, s21, v119
	v_cmp_gt_i32_e64 s21, 0, v114
	v_and_b32_e32 v22, exec_lo, v22
	v_not_b32_e32 v114, v116
	v_ashrrev_i32_e32 v113, 31, v113
	v_xor_b32_e32 v28, vcc_lo, v28
	v_cmp_gt_i32_e32 vcc_lo, 0, v116
	v_and_b32_e32 v22, v22, v119
	v_not_b32_e32 v116, v117
	v_ashrrev_i32_e32 v114, 31, v114
	v_xor_b32_e32 v113, s21, v113
	v_cmp_gt_i32_e64 s21, 0, v117
	v_and_b32_e32 v22, v22, v28
	v_not_b32_e32 v28, v118
	v_ashrrev_i32_e32 v116, 31, v116
	v_xor_b32_e32 v114, vcc_lo, v114
	v_cmp_gt_i32_e32 vcc_lo, 0, v118
	v_and_b32_e32 v22, v22, v113
	v_not_b32_e32 v113, v115
	v_ashrrev_i32_e32 v28, 31, v28
	v_xor_b32_e32 v116, s21, v116
	v_cmp_gt_i32_e64 s21, 0, v115
	v_and_b32_e32 v22, v22, v114
	v_ashrrev_i32_e32 v113, 31, v113
	v_xor_b32_e32 v28, vcc_lo, v28
	v_mad_u32_u24 v114, v27, 36, v96
	v_mul_u32_u24_e32 v27, 36, v27
	v_and_b32_e32 v22, v22, v116
	v_xor_b32_e32 v115, s21, v113
	ds_read_b32 v113, v114 offset:1056
	v_add_nc_u32_e32 v116, v96, v27
	v_and_b32_e32 v22, v22, v28
	; wave barrier
	v_and_b32_e32 v22, v22, v115
	v_mbcnt_lo_u32_b32 v115, v22, 0
	v_cmp_ne_u32_e64 s21, 0, v22
	v_cmp_eq_u32_e32 vcc_lo, 0, v115
	s_and_b32 s22, s21, vcc_lo
	s_and_saveexec_b32 s21, s22
	s_cbranch_execz .LBB1870_589
; %bb.588:                              ;   in Loop: Header=BB1870_563 Depth=2
	s_waitcnt lgkmcnt(0)
	v_bcnt_u32_b32 v22, v22, v113
	ds_write_b32 v116, v22 offset:1056
.LBB1870_589:                           ;   in Loop: Header=BB1870_563 Depth=2
	s_or_b32 exec_lo, exec_lo, s21
	v_cmp_lt_i16_e32 vcc_lo, -1, v26
	; wave barrier
	v_cndmask_b32_e64 v22, -1, 0xffff8000, vcc_lo
	v_xor_b32_e32 v114, v22, v26
	v_cmp_ne_u16_e32 vcc_lo, 0x7fff, v114
	v_cndmask_b32_e32 v22, 0xffff8000, v114, vcc_lo
	v_lshrrev_b32_sdwa v22, s49, v22 dst_sel:DWORD dst_unused:UNUSED_PAD src0_sel:DWORD src1_sel:WORD_0
	v_and_b32_e32 v26, s42, v22
	v_and_b32_e32 v22, 1, v26
	v_lshlrev_b32_e32 v27, 30, v26
	v_lshlrev_b32_e32 v28, 29, v26
	;; [unrolled: 1-line block ×4, first 2 shown]
	v_add_co_u32 v22, s21, v22, -1
	v_cndmask_b32_e64 v118, 0, 1, s21
	v_not_b32_e32 v122, v27
	v_cmp_gt_i32_e64 s21, 0, v27
	v_not_b32_e32 v27, v28
	v_lshlrev_b32_e32 v120, 26, v26
	v_cmp_ne_u32_e32 vcc_lo, 0, v118
	v_ashrrev_i32_e32 v122, 31, v122
	v_lshlrev_b32_e32 v121, 25, v26
	v_ashrrev_i32_e32 v27, 31, v27
	v_lshlrev_b32_e32 v118, 24, v26
	v_xor_b32_e32 v22, vcc_lo, v22
	v_cmp_gt_i32_e32 vcc_lo, 0, v28
	v_not_b32_e32 v28, v117
	v_xor_b32_e32 v122, s21, v122
	v_cmp_gt_i32_e64 s21, 0, v117
	v_and_b32_e32 v22, exec_lo, v22
	v_not_b32_e32 v117, v119
	v_ashrrev_i32_e32 v28, 31, v28
	v_xor_b32_e32 v27, vcc_lo, v27
	v_cmp_gt_i32_e32 vcc_lo, 0, v119
	v_and_b32_e32 v22, v22, v122
	v_not_b32_e32 v119, v120
	v_ashrrev_i32_e32 v117, 31, v117
	v_xor_b32_e32 v28, s21, v28
	v_cmp_gt_i32_e64 s21, 0, v120
	v_and_b32_e32 v22, v22, v27
	v_not_b32_e32 v27, v121
	v_ashrrev_i32_e32 v119, 31, v119
	v_xor_b32_e32 v117, vcc_lo, v117
	v_cmp_gt_i32_e32 vcc_lo, 0, v121
	v_and_b32_e32 v22, v22, v28
	v_not_b32_e32 v28, v118
	v_ashrrev_i32_e32 v27, 31, v27
	v_xor_b32_e32 v119, s21, v119
	v_cmp_gt_i32_e64 s21, 0, v118
	v_and_b32_e32 v22, v22, v117
	v_ashrrev_i32_e32 v28, 31, v28
	v_xor_b32_e32 v27, vcc_lo, v27
	v_mad_u32_u24 v117, v26, 36, v96
	v_mul_u32_u24_e32 v26, 36, v26
	v_and_b32_e32 v22, v22, v119
	v_xor_b32_e32 v28, s21, v28
	ds_read_b32 v117, v117 offset:1056
	v_add_nc_u32_e32 v120, v96, v26
	v_and_b32_e32 v22, v22, v27
	; wave barrier
	v_and_b32_e32 v22, v22, v28
	v_mbcnt_lo_u32_b32 v119, v22, 0
	v_cmp_ne_u32_e64 s21, 0, v22
	v_cmp_eq_u32_e32 vcc_lo, 0, v119
	s_and_b32 s22, s21, vcc_lo
	s_and_saveexec_b32 s21, s22
	s_cbranch_execz .LBB1870_591
; %bb.590:                              ;   in Loop: Header=BB1870_563 Depth=2
	s_waitcnt lgkmcnt(0)
	v_bcnt_u32_b32 v22, v22, v117
	ds_write_b32 v120, v22 offset:1056
.LBB1870_591:                           ;   in Loop: Header=BB1870_563 Depth=2
	s_or_b32 exec_lo, exec_lo, s21
	v_cmp_lt_i16_e32 vcc_lo, -1, v25
	; wave barrier
	v_cndmask_b32_e64 v22, -1, 0xffff8000, vcc_lo
	v_xor_b32_e32 v118, v22, v25
	v_cmp_ne_u16_e32 vcc_lo, 0x7fff, v118
	v_cndmask_b32_e32 v22, 0xffff8000, v118, vcc_lo
	v_lshrrev_b32_sdwa v22, s49, v22 dst_sel:DWORD dst_unused:UNUSED_PAD src0_sel:DWORD src1_sel:WORD_0
	v_and_b32_e32 v25, s42, v22
	v_and_b32_e32 v22, 1, v25
	v_lshlrev_b32_e32 v26, 30, v25
	v_lshlrev_b32_e32 v27, 29, v25
	;; [unrolled: 1-line block ×4, first 2 shown]
	v_add_co_u32 v22, s21, v22, -1
	v_cndmask_b32_e64 v121, 0, 1, s21
	v_not_b32_e32 v125, v26
	v_cmp_gt_i32_e64 s21, 0, v26
	v_not_b32_e32 v26, v27
	v_lshlrev_b32_e32 v123, 26, v25
	v_cmp_ne_u32_e32 vcc_lo, 0, v121
	v_ashrrev_i32_e32 v125, 31, v125
	v_lshlrev_b32_e32 v124, 25, v25
	v_ashrrev_i32_e32 v26, 31, v26
	v_lshlrev_b32_e32 v121, 24, v25
	v_xor_b32_e32 v22, vcc_lo, v22
	v_cmp_gt_i32_e32 vcc_lo, 0, v27
	v_not_b32_e32 v27, v28
	v_xor_b32_e32 v125, s21, v125
	v_cmp_gt_i32_e64 s21, 0, v28
	v_and_b32_e32 v22, exec_lo, v22
	v_not_b32_e32 v28, v122
	v_ashrrev_i32_e32 v27, 31, v27
	v_xor_b32_e32 v26, vcc_lo, v26
	v_cmp_gt_i32_e32 vcc_lo, 0, v122
	v_and_b32_e32 v22, v22, v125
	v_not_b32_e32 v122, v123
	v_ashrrev_i32_e32 v28, 31, v28
	v_xor_b32_e32 v27, s21, v27
	v_cmp_gt_i32_e64 s21, 0, v123
	v_and_b32_e32 v22, v22, v26
	v_not_b32_e32 v26, v124
	v_ashrrev_i32_e32 v122, 31, v122
	v_xor_b32_e32 v28, vcc_lo, v28
	v_cmp_gt_i32_e32 vcc_lo, 0, v124
	v_and_b32_e32 v22, v22, v27
	v_not_b32_e32 v27, v121
	v_ashrrev_i32_e32 v26, 31, v26
	v_xor_b32_e32 v122, s21, v122
	v_cmp_gt_i32_e64 s21, 0, v121
	v_and_b32_e32 v22, v22, v28
	v_ashrrev_i32_e32 v27, 31, v27
	v_xor_b32_e32 v26, vcc_lo, v26
	v_mad_u32_u24 v28, v25, 36, v96
	v_mul_u32_u24_e32 v25, 36, v25
	v_and_b32_e32 v22, v22, v122
	v_xor_b32_e32 v27, s21, v27
	ds_read_b32 v121, v28 offset:1056
	v_add_nc_u32_e32 v124, v96, v25
	v_and_b32_e32 v22, v22, v26
	; wave barrier
	v_and_b32_e32 v22, v22, v27
	v_mbcnt_lo_u32_b32 v123, v22, 0
	v_cmp_ne_u32_e64 s21, 0, v22
	v_cmp_eq_u32_e32 vcc_lo, 0, v123
	s_and_b32 s22, s21, vcc_lo
	s_and_saveexec_b32 s21, s22
	s_cbranch_execz .LBB1870_593
; %bb.592:                              ;   in Loop: Header=BB1870_563 Depth=2
	s_waitcnt lgkmcnt(0)
	v_bcnt_u32_b32 v22, v22, v121
	ds_write_b32 v124, v22 offset:1056
.LBB1870_593:                           ;   in Loop: Header=BB1870_563 Depth=2
	s_or_b32 exec_lo, exec_lo, s21
	v_cmp_lt_i16_e32 vcc_lo, -1, v24
	; wave barrier
	v_cndmask_b32_e64 v22, -1, 0xffff8000, vcc_lo
	v_xor_b32_e32 v122, v22, v24
	v_cmp_ne_u16_e32 vcc_lo, 0x7fff, v122
	v_cndmask_b32_e32 v22, 0xffff8000, v122, vcc_lo
	v_lshrrev_b32_sdwa v22, s49, v22 dst_sel:DWORD dst_unused:UNUSED_PAD src0_sel:DWORD src1_sel:WORD_0
	v_and_b32_e32 v24, s42, v22
	v_and_b32_e32 v22, 1, v24
	v_lshlrev_b32_e32 v25, 30, v24
	v_lshlrev_b32_e32 v26, 29, v24
	;; [unrolled: 1-line block ×4, first 2 shown]
	v_add_co_u32 v22, s21, v22, -1
	v_cndmask_b32_e64 v28, 0, 1, s21
	v_not_b32_e32 v128, v25
	v_cmp_gt_i32_e64 s21, 0, v25
	v_not_b32_e32 v25, v26
	v_lshlrev_b32_e32 v126, 26, v24
	v_cmp_ne_u32_e32 vcc_lo, 0, v28
	v_ashrrev_i32_e32 v128, 31, v128
	v_lshlrev_b32_e32 v127, 25, v24
	v_ashrrev_i32_e32 v25, 31, v25
	v_lshlrev_b32_e32 v28, 24, v24
	v_xor_b32_e32 v22, vcc_lo, v22
	v_cmp_gt_i32_e32 vcc_lo, 0, v26
	v_not_b32_e32 v26, v27
	v_xor_b32_e32 v128, s21, v128
	v_cmp_gt_i32_e64 s21, 0, v27
	v_and_b32_e32 v22, exec_lo, v22
	v_not_b32_e32 v27, v125
	v_ashrrev_i32_e32 v26, 31, v26
	v_xor_b32_e32 v25, vcc_lo, v25
	v_cmp_gt_i32_e32 vcc_lo, 0, v125
	v_and_b32_e32 v22, v22, v128
	v_not_b32_e32 v125, v126
	v_ashrrev_i32_e32 v27, 31, v27
	v_xor_b32_e32 v26, s21, v26
	v_cmp_gt_i32_e64 s21, 0, v126
	v_and_b32_e32 v22, v22, v25
	v_not_b32_e32 v25, v127
	v_ashrrev_i32_e32 v125, 31, v125
	v_xor_b32_e32 v27, vcc_lo, v27
	v_cmp_gt_i32_e32 vcc_lo, 0, v127
	v_and_b32_e32 v22, v22, v26
	v_not_b32_e32 v26, v28
	v_ashrrev_i32_e32 v25, 31, v25
	v_xor_b32_e32 v125, s21, v125
	v_cmp_gt_i32_e64 s21, 0, v28
	v_and_b32_e32 v22, v22, v27
	v_ashrrev_i32_e32 v26, 31, v26
	v_xor_b32_e32 v25, vcc_lo, v25
	v_mad_u32_u24 v27, v24, 36, v96
	v_mul_u32_u24_e32 v24, 36, v24
	v_and_b32_e32 v22, v22, v125
	v_xor_b32_e32 v26, s21, v26
	ds_read_b32 v125, v27 offset:1056
	v_add_nc_u32_e32 v128, v96, v24
	v_and_b32_e32 v22, v22, v25
	; wave barrier
	v_and_b32_e32 v22, v22, v26
	v_mbcnt_lo_u32_b32 v127, v22, 0
	v_cmp_ne_u32_e64 s21, 0, v22
	v_cmp_eq_u32_e32 vcc_lo, 0, v127
	s_and_b32 s22, s21, vcc_lo
	s_and_saveexec_b32 s21, s22
	s_cbranch_execz .LBB1870_595
; %bb.594:                              ;   in Loop: Header=BB1870_563 Depth=2
	s_waitcnt lgkmcnt(0)
	v_bcnt_u32_b32 v22, v22, v125
	ds_write_b32 v128, v22 offset:1056
.LBB1870_595:                           ;   in Loop: Header=BB1870_563 Depth=2
	s_or_b32 exec_lo, exec_lo, s21
	v_cmp_lt_i16_e32 vcc_lo, -1, v23
	; wave barrier
	v_cndmask_b32_e64 v22, -1, 0xffff8000, vcc_lo
	v_xor_b32_e32 v126, v22, v23
	v_cmp_ne_u16_e32 vcc_lo, 0x7fff, v126
	v_cndmask_b32_e32 v22, 0xffff8000, v126, vcc_lo
	v_lshrrev_b32_sdwa v22, s49, v22 dst_sel:DWORD dst_unused:UNUSED_PAD src0_sel:DWORD src1_sel:WORD_0
	v_and_b32_e32 v23, s42, v22
	v_and_b32_e32 v22, 1, v23
	v_lshlrev_b32_e32 v24, 30, v23
	v_lshlrev_b32_e32 v25, 29, v23
	;; [unrolled: 1-line block ×4, first 2 shown]
	v_add_co_u32 v22, s21, v22, -1
	v_cndmask_b32_e64 v27, 0, 1, s21
	v_not_b32_e32 v131, v24
	v_cmp_gt_i32_e64 s21, 0, v24
	v_not_b32_e32 v24, v25
	v_lshlrev_b32_e32 v129, 26, v23
	v_cmp_ne_u32_e32 vcc_lo, 0, v27
	v_ashrrev_i32_e32 v131, 31, v131
	v_lshlrev_b32_e32 v130, 25, v23
	v_ashrrev_i32_e32 v24, 31, v24
	v_lshlrev_b32_e32 v27, 24, v23
	v_xor_b32_e32 v22, vcc_lo, v22
	v_cmp_gt_i32_e32 vcc_lo, 0, v25
	v_not_b32_e32 v25, v26
	v_xor_b32_e32 v131, s21, v131
	v_cmp_gt_i32_e64 s21, 0, v26
	v_and_b32_e32 v22, exec_lo, v22
	v_not_b32_e32 v26, v28
	v_ashrrev_i32_e32 v25, 31, v25
	v_xor_b32_e32 v24, vcc_lo, v24
	v_cmp_gt_i32_e32 vcc_lo, 0, v28
	v_and_b32_e32 v22, v22, v131
	v_not_b32_e32 v28, v129
	v_ashrrev_i32_e32 v26, 31, v26
	v_xor_b32_e32 v25, s21, v25
	v_cmp_gt_i32_e64 s21, 0, v129
	v_and_b32_e32 v22, v22, v24
	v_not_b32_e32 v24, v130
	v_ashrrev_i32_e32 v28, 31, v28
	v_xor_b32_e32 v26, vcc_lo, v26
	v_cmp_gt_i32_e32 vcc_lo, 0, v130
	v_and_b32_e32 v22, v22, v25
	v_not_b32_e32 v25, v27
	v_ashrrev_i32_e32 v24, 31, v24
	v_xor_b32_e32 v28, s21, v28
	v_cmp_gt_i32_e64 s21, 0, v27
	v_and_b32_e32 v22, v22, v26
	v_ashrrev_i32_e32 v25, 31, v25
	v_xor_b32_e32 v24, vcc_lo, v24
	v_mad_u32_u24 v26, v23, 36, v96
	v_mul_u32_u24_e32 v23, 36, v23
	v_and_b32_e32 v22, v22, v28
	v_xor_b32_e32 v25, s21, v25
	ds_read_b32 v129, v26 offset:1056
	v_add_nc_u32_e32 v132, v96, v23
	v_and_b32_e32 v22, v22, v24
	; wave barrier
	v_and_b32_e32 v22, v22, v25
	v_mbcnt_lo_u32_b32 v131, v22, 0
	v_cmp_ne_u32_e64 s21, 0, v22
	v_cmp_eq_u32_e32 vcc_lo, 0, v131
	s_and_b32 s22, s21, vcc_lo
	s_and_saveexec_b32 s21, s22
	s_cbranch_execz .LBB1870_597
; %bb.596:                              ;   in Loop: Header=BB1870_563 Depth=2
	s_waitcnt lgkmcnt(0)
	v_bcnt_u32_b32 v22, v22, v129
	ds_write_b32 v132, v22 offset:1056
.LBB1870_597:                           ;   in Loop: Header=BB1870_563 Depth=2
	s_or_b32 exec_lo, exec_lo, s21
	v_cmp_lt_i16_e32 vcc_lo, -1, v21
	; wave barrier
	v_cndmask_b32_e64 v22, -1, 0xffff8000, vcc_lo
	v_xor_b32_e32 v130, v22, v21
	v_cmp_ne_u16_e32 vcc_lo, 0x7fff, v130
	v_cndmask_b32_e32 v21, 0xffff8000, v130, vcc_lo
	v_lshrrev_b32_sdwa v21, s49, v21 dst_sel:DWORD dst_unused:UNUSED_PAD src0_sel:DWORD src1_sel:WORD_0
	v_and_b32_e32 v22, s42, v21
	v_and_b32_e32 v21, 1, v22
	v_lshlrev_b32_e32 v23, 30, v22
	v_lshlrev_b32_e32 v24, 29, v22
	;; [unrolled: 1-line block ×4, first 2 shown]
	v_add_co_u32 v21, s21, v21, -1
	v_cndmask_b32_e64 v26, 0, 1, s21
	v_not_b32_e32 v134, v23
	v_cmp_gt_i32_e64 s21, 0, v23
	v_not_b32_e32 v23, v24
	v_lshlrev_b32_e32 v28, 26, v22
	v_cmp_ne_u32_e32 vcc_lo, 0, v26
	v_ashrrev_i32_e32 v134, 31, v134
	v_lshlrev_b32_e32 v133, 25, v22
	v_ashrrev_i32_e32 v23, 31, v23
	v_lshlrev_b32_e32 v26, 24, v22
	v_xor_b32_e32 v21, vcc_lo, v21
	v_cmp_gt_i32_e32 vcc_lo, 0, v24
	v_not_b32_e32 v24, v25
	v_xor_b32_e32 v134, s21, v134
	v_cmp_gt_i32_e64 s21, 0, v25
	v_and_b32_e32 v21, exec_lo, v21
	v_not_b32_e32 v25, v27
	v_ashrrev_i32_e32 v24, 31, v24
	v_xor_b32_e32 v23, vcc_lo, v23
	v_cmp_gt_i32_e32 vcc_lo, 0, v27
	v_and_b32_e32 v21, v21, v134
	v_not_b32_e32 v27, v28
	v_ashrrev_i32_e32 v25, 31, v25
	v_xor_b32_e32 v24, s21, v24
	v_cmp_gt_i32_e64 s21, 0, v28
	v_and_b32_e32 v21, v21, v23
	v_not_b32_e32 v23, v133
	v_ashrrev_i32_e32 v27, 31, v27
	v_xor_b32_e32 v25, vcc_lo, v25
	v_cmp_gt_i32_e32 vcc_lo, 0, v133
	v_and_b32_e32 v21, v21, v24
	v_not_b32_e32 v24, v26
	v_ashrrev_i32_e32 v23, 31, v23
	v_xor_b32_e32 v27, s21, v27
	v_cmp_gt_i32_e64 s21, 0, v26
	v_and_b32_e32 v21, v21, v25
	v_ashrrev_i32_e32 v24, 31, v24
	v_xor_b32_e32 v23, vcc_lo, v23
	v_mad_u32_u24 v25, v22, 36, v96
	v_mul_u32_u24_e32 v22, 36, v22
	v_and_b32_e32 v21, v21, v27
	v_xor_b32_e32 v24, s21, v24
	ds_read_b32 v133, v25 offset:1056
	v_add_nc_u32_e32 v135, v96, v22
	v_and_b32_e32 v21, v21, v23
	; wave barrier
	v_and_b32_e32 v21, v21, v24
	v_mbcnt_lo_u32_b32 v134, v21, 0
	v_cmp_ne_u32_e64 s21, 0, v21
	v_cmp_eq_u32_e32 vcc_lo, 0, v134
	s_and_b32 s22, s21, vcc_lo
	s_and_saveexec_b32 s21, s22
	s_cbranch_execz .LBB1870_599
; %bb.598:                              ;   in Loop: Header=BB1870_563 Depth=2
	s_waitcnt lgkmcnt(0)
	v_bcnt_u32_b32 v21, v21, v133
	ds_write_b32 v135, v21 offset:1056
.LBB1870_599:                           ;   in Loop: Header=BB1870_563 Depth=2
	s_or_b32 exec_lo, exec_lo, s21
	; wave barrier
	s_waitcnt lgkmcnt(0)
	s_barrier
	buffer_gl0_inv
	ds_read2_b32 v[27:28], v78 offset1:1
	ds_read2_b32 v[25:26], v88 offset1:1
	;; [unrolled: 1-line block ×4, first 2 shown]
	ds_read_b32 v136, v44 offset:1088
	s_waitcnt lgkmcnt(3)
	v_add3_u32 v137, v28, v27, v25
	s_waitcnt lgkmcnt(2)
	v_add3_u32 v137, v137, v26, v23
	s_waitcnt lgkmcnt(1)
	v_add3_u32 v137, v137, v24, v21
	s_waitcnt lgkmcnt(0)
	v_add3_u32 v136, v137, v22, v136
	v_mov_b32_dpp v137, v136 row_shr:1 row_mask:0xf bank_mask:0xf
	v_cndmask_b32_e64 v137, v137, 0, s5
	v_add_nc_u32_e32 v136, v137, v136
	v_mov_b32_dpp v137, v136 row_shr:2 row_mask:0xf bank_mask:0xf
	v_cndmask_b32_e64 v137, 0, v137, s14
	v_add_nc_u32_e32 v136, v136, v137
	;; [unrolled: 3-line block ×4, first 2 shown]
	ds_swizzle_b32 v137, v136 offset:swizzle(BROADCAST,32,15)
	s_waitcnt lgkmcnt(0)
	v_cndmask_b32_e64 v137, v137, 0, s17
	v_add_nc_u32_e32 v136, v136, v137
	s_and_saveexec_b32 s21, s9
; %bb.600:                              ;   in Loop: Header=BB1870_563 Depth=2
	ds_write_b32 v39, v136 offset:1024
; %bb.601:                              ;   in Loop: Header=BB1870_563 Depth=2
	s_or_b32 exec_lo, exec_lo, s21
	s_waitcnt lgkmcnt(0)
	s_barrier
	buffer_gl0_inv
	s_and_saveexec_b32 s21, s10
	s_cbranch_execz .LBB1870_603
; %bb.602:                              ;   in Loop: Header=BB1870_563 Depth=2
	ds_read_b32 v137, v46 offset:1024
	s_waitcnt lgkmcnt(0)
	v_mov_b32_dpp v138, v137 row_shr:1 row_mask:0xf bank_mask:0xf
	v_cndmask_b32_e64 v138, v138, 0, s18
	v_add_nc_u32_e32 v137, v138, v137
	v_mov_b32_dpp v138, v137 row_shr:2 row_mask:0xf bank_mask:0xf
	v_cndmask_b32_e64 v138, 0, v138, s19
	v_add_nc_u32_e32 v137, v137, v138
	v_mov_b32_dpp v138, v137 row_shr:4 row_mask:0xf bank_mask:0xf
	v_cndmask_b32_e64 v138, 0, v138, s20
	v_add_nc_u32_e32 v137, v137, v138
	ds_write_b32 v46, v137 offset:1024
.LBB1870_603:                           ;   in Loop: Header=BB1870_563 Depth=2
	s_or_b32 exec_lo, exec_lo, s21
	v_mov_b32_e32 v137, 0
	s_waitcnt lgkmcnt(0)
	s_barrier
	buffer_gl0_inv
	s_and_saveexec_b32 s21, s11
; %bb.604:                              ;   in Loop: Header=BB1870_563 Depth=2
	ds_read_b32 v137, v39 offset:1020
; %bb.605:                              ;   in Loop: Header=BB1870_563 Depth=2
	s_or_b32 exec_lo, exec_lo, s21
	s_waitcnt lgkmcnt(0)
	v_add_nc_u32_e32 v136, v137, v136
	ds_bpermute_b32 v136, v91, v136
	s_waitcnt lgkmcnt(0)
	v_cndmask_b32_e64 v136, v136, v137, s13
	v_cndmask_b32_e64 v136, v136, 0, s4
	v_add_nc_u32_e32 v27, v136, v27
	v_add_nc_u32_e32 v28, v27, v28
	;; [unrolled: 1-line block ×8, first 2 shown]
	ds_write2_b32 v78, v136, v27 offset1:1
	ds_write2_b32 v88, v28, v25 offset1:1
	;; [unrolled: 1-line block ×4, first 2 shown]
	ds_write_b32 v44, v22 offset:1088
	s_waitcnt lgkmcnt(0)
	s_barrier
	buffer_gl0_inv
	ds_read_b32 v24, v108 offset:1056
	ds_read_b32 v25, v112 offset:1056
	;; [unrolled: 1-line block ×9, first 2 shown]
	v_mov_b32_e32 v23, 0x800
	s_and_saveexec_b32 s21, s12
; %bb.606:                              ;   in Loop: Header=BB1870_563 Depth=2
	ds_read_b32 v23, v44 offset:1092
; %bb.607:                              ;   in Loop: Header=BB1870_563 Depth=2
	s_or_b32 exec_lo, exec_lo, s21
	s_waitcnt lgkmcnt(0)
	s_barrier
	buffer_gl0_inv
	s_and_saveexec_b32 s21, s8
	s_cbranch_execz .LBB1870_609
; %bb.608:                              ;   in Loop: Header=BB1870_563 Depth=2
	ds_read_b32 v112, v29
	s_waitcnt lgkmcnt(0)
	v_sub_nc_u32_e32 v108, v112, v108
	ds_write_b32 v29, v108
.LBB1870_609:                           ;   in Loop: Header=BB1870_563 Depth=2
	s_or_b32 exec_lo, exec_lo, s21
	v_add_nc_u32_e32 v112, v24, v106
	v_add3_u32 v108, v110, v109, v25
	v_add3_u32 v106, v115, v113, v26
	;; [unrolled: 1-line block ×4, first 2 shown]
	v_lshlrev_b32_e32 v109, 1, v112
	v_lshlrev_b32_e32 v110, 1, v108
	v_add3_u32 v27, v131, v129, v22
	v_lshlrev_b32_e32 v22, 1, v106
	v_add3_u32 v28, v134, v133, v21
	ds_write_b16 v109, v3 offset:1024
	ds_write_b16 v110, v107 offset:1024
	v_lshlrev_b32_e32 v3, 1, v26
	v_add3_u32 v24, v127, v125, v116
	ds_write_b16 v22, v111 offset:1024
	v_lshlrev_b32_e32 v21, 1, v25
	v_cmp_lt_u32_e32 vcc_lo, v0, v105
	ds_write_b16 v3, v114 offset:1024
	v_lshlrev_b32_e32 v3, 1, v28
	v_lshlrev_b32_e32 v22, 1, v24
	;; [unrolled: 1-line block ×3, first 2 shown]
	ds_write_b16 v21, v118 offset:1024
	ds_write_b16 v22, v122 offset:1024
	;; [unrolled: 1-line block ×4, first 2 shown]
	s_waitcnt lgkmcnt(0)
	s_barrier
	buffer_gl0_inv
	s_and_saveexec_b32 s22, vcc_lo
	s_cbranch_execnz .LBB1870_646
; %bb.610:                              ;   in Loop: Header=BB1870_563 Depth=2
	s_or_b32 exec_lo, exec_lo, s22
	v_cmp_lt_u32_e64 s21, v30, v105
	s_and_saveexec_b32 s23, s21
	s_cbranch_execnz .LBB1870_647
.LBB1870_611:                           ;   in Loop: Header=BB1870_563 Depth=2
	s_or_b32 exec_lo, exec_lo, s23
	v_cmp_lt_u32_e64 s22, v31, v105
	s_and_saveexec_b32 s24, s22
	s_cbranch_execnz .LBB1870_648
.LBB1870_612:                           ;   in Loop: Header=BB1870_563 Depth=2
	s_or_b32 exec_lo, exec_lo, s24
	v_cmp_lt_u32_e64 s23, v32, v105
	s_and_saveexec_b32 s25, s23
	s_cbranch_execnz .LBB1870_649
.LBB1870_613:                           ;   in Loop: Header=BB1870_563 Depth=2
	s_or_b32 exec_lo, exec_lo, s25
	v_cmp_lt_u32_e64 s24, v35, v105
	s_and_saveexec_b32 s26, s24
	s_cbranch_execnz .LBB1870_650
.LBB1870_614:                           ;   in Loop: Header=BB1870_563 Depth=2
	s_or_b32 exec_lo, exec_lo, s26
	v_cmp_lt_u32_e64 s25, v36, v105
	s_and_saveexec_b32 s27, s25
	s_cbranch_execnz .LBB1870_651
.LBB1870_615:                           ;   in Loop: Header=BB1870_563 Depth=2
	s_or_b32 exec_lo, exec_lo, s27
	v_cmp_lt_u32_e64 s26, v37, v105
	s_and_saveexec_b32 s28, s26
	s_cbranch_execnz .LBB1870_652
.LBB1870_616:                           ;   in Loop: Header=BB1870_563 Depth=2
	s_or_b32 exec_lo, exec_lo, s28
	v_cmp_lt_u32_e64 s27, v38, v105
	s_and_saveexec_b32 s54, s27
	s_cbranch_execz .LBB1870_618
.LBB1870_617:                           ;   in Loop: Header=BB1870_563 Depth=2
	ds_read_u16 v107, v47 offset:4608
	s_waitcnt lgkmcnt(0)
	v_cmp_ne_u16_e64 s28, 0x7fff, v107
	v_cndmask_b32_e64 v3, 0xffff8000, v107, s28
	v_cmp_lt_i16_e64 s28, -1, v107
	v_lshrrev_b32_sdwa v3, s49, v3 dst_sel:DWORD dst_unused:UNUSED_PAD src0_sel:DWORD src1_sel:WORD_0
	v_cndmask_b32_e64 v109, 0xffff8000, -1, s28
	v_and_b32_e32 v3, s42, v3
	v_lshlrev_b32_e32 v3, 2, v3
	ds_read_b32 v3, v3
	s_waitcnt lgkmcnt(0)
	v_add_nc_u32_e32 v3, v3, v38
	v_lshlrev_b64 v[21:22], 1, v[3:4]
	v_xor_b32_e32 v3, v109, v107
	v_add_co_u32 v21, s28, s40, v21
	v_add_co_ci_u32_e64 v22, null, s41, v22, s28
	global_store_short v[21:22], v3, off
.LBB1870_618:                           ;   in Loop: Header=BB1870_563 Depth=2
	s_or_b32 exec_lo, exec_lo, s54
	s_lshl_b64 s[54:55], s[34:35], 3
	v_add_co_u32 v21, s28, v92, s54
	v_add_co_ci_u32_e64 v22, null, s55, v93, s28
	v_cmp_lt_u32_e64 s28, v66, v105
	s_and_saveexec_b32 s34, s28
	s_xor_b32 s28, exec_lo, s34
	s_cbranch_execnz .LBB1870_653
; %bb.619:                              ;   in Loop: Header=BB1870_563 Depth=2
	s_or_b32 exec_lo, exec_lo, s28
	s_mov_b32 s34, exec_lo
	v_cmpx_lt_u32_e64 v70, v105
	s_cbranch_execnz .LBB1870_654
.LBB1870_620:                           ;   in Loop: Header=BB1870_563 Depth=2
	s_or_b32 exec_lo, exec_lo, s34
	s_mov_b32 s34, exec_lo
	v_cmpx_lt_u32_e64 v71, v105
	s_cbranch_execnz .LBB1870_655
.LBB1870_621:                           ;   in Loop: Header=BB1870_563 Depth=2
	s_or_b32 exec_lo, exec_lo, s34
	s_mov_b32 s34, exec_lo
	v_cmpx_lt_u32_e64 v72, v105
	s_cbranch_execnz .LBB1870_656
.LBB1870_622:                           ;   in Loop: Header=BB1870_563 Depth=2
	s_or_b32 exec_lo, exec_lo, s34
	s_mov_b32 s34, exec_lo
	v_cmpx_lt_u32_e64 v73, v105
	s_cbranch_execnz .LBB1870_657
.LBB1870_623:                           ;   in Loop: Header=BB1870_563 Depth=2
	s_or_b32 exec_lo, exec_lo, s34
	s_mov_b32 s34, exec_lo
	v_cmpx_lt_u32_e64 v74, v105
	s_cbranch_execnz .LBB1870_658
.LBB1870_624:                           ;   in Loop: Header=BB1870_563 Depth=2
	s_or_b32 exec_lo, exec_lo, s34
	s_mov_b32 s34, exec_lo
	v_cmpx_lt_u32_e64 v75, v105
	s_cbranch_execnz .LBB1870_659
.LBB1870_625:                           ;   in Loop: Header=BB1870_563 Depth=2
	s_or_b32 exec_lo, exec_lo, s34
	s_mov_b32 s34, exec_lo
	v_cmpx_lt_u32_e64 v76, v105
	s_cbranch_execnz .LBB1870_660
.LBB1870_626:                           ;   in Loop: Header=BB1870_563 Depth=2
	s_or_b32 exec_lo, exec_lo, s34
	s_and_saveexec_b32 s34, vcc_lo
	s_cbranch_execnz .LBB1870_661
.LBB1870_627:                           ;   in Loop: Header=BB1870_563 Depth=2
	s_or_b32 exec_lo, exec_lo, s34
	s_and_saveexec_b32 s34, s21
	s_cbranch_execnz .LBB1870_662
.LBB1870_628:                           ;   in Loop: Header=BB1870_563 Depth=2
	s_or_b32 exec_lo, exec_lo, s34
	s_and_saveexec_b32 s34, s22
	s_cbranch_execnz .LBB1870_663
.LBB1870_629:                           ;   in Loop: Header=BB1870_563 Depth=2
	s_or_b32 exec_lo, exec_lo, s34
	s_and_saveexec_b32 s34, s23
	s_cbranch_execnz .LBB1870_664
.LBB1870_630:                           ;   in Loop: Header=BB1870_563 Depth=2
	s_or_b32 exec_lo, exec_lo, s34
	s_and_saveexec_b32 s34, s24
	s_cbranch_execnz .LBB1870_665
.LBB1870_631:                           ;   in Loop: Header=BB1870_563 Depth=2
	s_or_b32 exec_lo, exec_lo, s34
	s_and_saveexec_b32 s34, s25
	s_cbranch_execnz .LBB1870_666
.LBB1870_632:                           ;   in Loop: Header=BB1870_563 Depth=2
	s_or_b32 exec_lo, exec_lo, s34
	s_and_saveexec_b32 s34, s26
	s_cbranch_execnz .LBB1870_667
.LBB1870_633:                           ;   in Loop: Header=BB1870_563 Depth=2
	s_or_b32 exec_lo, exec_lo, s34
	s_and_saveexec_b32 s34, s27
	s_cbranch_execz .LBB1870_635
.LBB1870_634:                           ;   in Loop: Header=BB1870_563 Depth=2
	ds_read_u16 v3, v47 offset:4608
	s_waitcnt lgkmcnt(0)
	v_cmp_ne_u16_e64 s28, 0x7fff, v3
	v_cndmask_b32_e64 v3, 0xffff8000, v3, s28
	v_lshrrev_b32_sdwa v3, s49, v3 dst_sel:DWORD dst_unused:UNUSED_PAD src0_sel:DWORD src1_sel:WORD_0
	v_and_b32_e32 v97, s42, v3
.LBB1870_635:                           ;   in Loop: Header=BB1870_563 Depth=2
	s_or_b32 exec_lo, exec_lo, s34
	v_lshlrev_b32_e32 v3, 3, v112
	v_lshlrev_b32_e32 v21, 3, v108
	v_lshlrev_b32_e32 v22, 3, v106
	s_waitcnt vmcnt(0)
	s_waitcnt_vscnt null, 0x0
	s_barrier
	buffer_gl0_inv
	ds_write_b64 v3, v[19:20] offset:1024
	ds_write_b64 v21, v[17:18] offset:1024
	v_lshlrev_b32_e32 v3, 3, v26
	v_lshlrev_b32_e32 v21, 3, v25
	ds_write_b64 v22, v[15:16] offset:1024
	v_lshlrev_b32_e32 v22, 3, v24
	v_lshlrev_b32_e32 v24, 3, v27
	ds_write_b64 v3, v[13:14] offset:1024
	v_lshlrev_b32_e32 v3, 3, v28
	ds_write_b64 v21, v[11:12] offset:1024
	ds_write_b64 v22, v[9:10] offset:1024
	ds_write_b64 v24, v[7:8] offset:1024
	v_add_nc_u32_e32 v21, v47, v48
	ds_write_b64 v3, v[5:6] offset:1024
	s_waitcnt lgkmcnt(0)
	s_barrier
	buffer_gl0_inv
	s_and_saveexec_b32 s28, vcc_lo
	s_cbranch_execnz .LBB1870_668
; %bb.636:                              ;   in Loop: Header=BB1870_563 Depth=2
	s_or_b32 exec_lo, exec_lo, s28
	s_and_saveexec_b32 s28, s21
	s_cbranch_execnz .LBB1870_669
.LBB1870_637:                           ;   in Loop: Header=BB1870_563 Depth=2
	s_or_b32 exec_lo, exec_lo, s28
	s_and_saveexec_b32 s21, s22
	s_cbranch_execnz .LBB1870_670
.LBB1870_638:                           ;   in Loop: Header=BB1870_563 Depth=2
	s_or_b32 exec_lo, exec_lo, s21
	s_and_saveexec_b32 s21, s23
	s_cbranch_execnz .LBB1870_671
.LBB1870_639:                           ;   in Loop: Header=BB1870_563 Depth=2
	s_or_b32 exec_lo, exec_lo, s21
	s_and_saveexec_b32 s21, s24
	s_cbranch_execnz .LBB1870_672
.LBB1870_640:                           ;   in Loop: Header=BB1870_563 Depth=2
	s_or_b32 exec_lo, exec_lo, s21
	s_and_saveexec_b32 s21, s25
	s_cbranch_execnz .LBB1870_673
.LBB1870_641:                           ;   in Loop: Header=BB1870_563 Depth=2
	s_or_b32 exec_lo, exec_lo, s21
	s_and_saveexec_b32 s21, s26
	s_cbranch_execnz .LBB1870_674
.LBB1870_642:                           ;   in Loop: Header=BB1870_563 Depth=2
	s_or_b32 exec_lo, exec_lo, s21
	s_and_saveexec_b32 s21, s27
	s_cbranch_execz .LBB1870_644
.LBB1870_643:                           ;   in Loop: Header=BB1870_563 Depth=2
	v_lshlrev_b32_e32 v3, 2, v97
	ds_read_b32 v3, v3
	ds_read_b64 v[21:22], v21 offset:15360
	s_waitcnt lgkmcnt(1)
	v_add_nc_u32_e32 v3, v3, v38
	v_lshlrev_b64 v[24:25], 3, v[3:4]
	v_add_co_u32 v24, vcc_lo, s46, v24
	v_add_co_ci_u32_e64 v25, null, s47, v25, vcc_lo
	s_waitcnt lgkmcnt(0)
	global_store_dwordx2 v[24:25], v[21:22], off
.LBB1870_644:                           ;   in Loop: Header=BB1870_563 Depth=2
	s_or_b32 exec_lo, exec_lo, s21
	s_waitcnt_vscnt null, 0x0
	s_barrier
	buffer_gl0_inv
	s_and_saveexec_b32 s21, s8
	s_cbranch_execz .LBB1870_562
; %bb.645:                              ;   in Loop: Header=BB1870_563 Depth=2
	ds_read_b32 v3, v29
	s_waitcnt lgkmcnt(0)
	v_add_nc_u32_e32 v3, v3, v23
	ds_write_b32 v29, v3
	s_branch .LBB1870_562
.LBB1870_646:                           ;   in Loop: Header=BB1870_563 Depth=2
	ds_read_u16 v107, v47 offset:1024
	s_waitcnt lgkmcnt(0)
	v_cmp_ne_u16_e64 s21, 0x7fff, v107
	v_cndmask_b32_e64 v3, 0xffff8000, v107, s21
	v_cmp_lt_i16_e64 s21, -1, v107
	v_lshrrev_b32_sdwa v3, s49, v3 dst_sel:DWORD dst_unused:UNUSED_PAD src0_sel:DWORD src1_sel:WORD_0
	v_cndmask_b32_e64 v109, 0xffff8000, -1, s21
	v_and_b32_e32 v3, s42, v3
	v_lshlrev_b32_e32 v3, 2, v3
	ds_read_b32 v3, v3
	s_waitcnt lgkmcnt(0)
	v_add_nc_u32_e32 v3, v3, v0
	v_lshlrev_b64 v[21:22], 1, v[3:4]
	v_xor_b32_e32 v3, v109, v107
	v_add_co_u32 v21, s21, s40, v21
	v_add_co_ci_u32_e64 v22, null, s41, v22, s21
	global_store_short v[21:22], v3, off
	s_or_b32 exec_lo, exec_lo, s22
	v_cmp_lt_u32_e64 s21, v30, v105
	s_and_saveexec_b32 s23, s21
	s_cbranch_execz .LBB1870_611
.LBB1870_647:                           ;   in Loop: Header=BB1870_563 Depth=2
	ds_read_u16 v107, v47 offset:1536
	s_waitcnt lgkmcnt(0)
	v_cmp_ne_u16_e64 s22, 0x7fff, v107
	v_cndmask_b32_e64 v3, 0xffff8000, v107, s22
	v_cmp_lt_i16_e64 s22, -1, v107
	v_lshrrev_b32_sdwa v3, s49, v3 dst_sel:DWORD dst_unused:UNUSED_PAD src0_sel:DWORD src1_sel:WORD_0
	v_cndmask_b32_e64 v109, 0xffff8000, -1, s22
	v_and_b32_e32 v3, s42, v3
	v_lshlrev_b32_e32 v3, 2, v3
	ds_read_b32 v3, v3
	s_waitcnt lgkmcnt(0)
	v_add_nc_u32_e32 v3, v3, v30
	v_lshlrev_b64 v[21:22], 1, v[3:4]
	v_xor_b32_e32 v3, v109, v107
	v_add_co_u32 v21, s22, s40, v21
	v_add_co_ci_u32_e64 v22, null, s41, v22, s22
	global_store_short v[21:22], v3, off
	s_or_b32 exec_lo, exec_lo, s23
	v_cmp_lt_u32_e64 s22, v31, v105
	s_and_saveexec_b32 s24, s22
	s_cbranch_execz .LBB1870_612
.LBB1870_648:                           ;   in Loop: Header=BB1870_563 Depth=2
	ds_read_u16 v107, v47 offset:2048
	s_waitcnt lgkmcnt(0)
	v_cmp_ne_u16_e64 s23, 0x7fff, v107
	v_cndmask_b32_e64 v3, 0xffff8000, v107, s23
	v_cmp_lt_i16_e64 s23, -1, v107
	v_lshrrev_b32_sdwa v3, s49, v3 dst_sel:DWORD dst_unused:UNUSED_PAD src0_sel:DWORD src1_sel:WORD_0
	v_cndmask_b32_e64 v109, 0xffff8000, -1, s23
	v_and_b32_e32 v3, s42, v3
	v_lshlrev_b32_e32 v3, 2, v3
	ds_read_b32 v3, v3
	s_waitcnt lgkmcnt(0)
	v_add_nc_u32_e32 v3, v3, v31
	v_lshlrev_b64 v[21:22], 1, v[3:4]
	v_xor_b32_e32 v3, v109, v107
	v_add_co_u32 v21, s23, s40, v21
	v_add_co_ci_u32_e64 v22, null, s41, v22, s23
	global_store_short v[21:22], v3, off
	s_or_b32 exec_lo, exec_lo, s24
	v_cmp_lt_u32_e64 s23, v32, v105
	s_and_saveexec_b32 s25, s23
	s_cbranch_execz .LBB1870_613
.LBB1870_649:                           ;   in Loop: Header=BB1870_563 Depth=2
	ds_read_u16 v107, v47 offset:2560
	s_waitcnt lgkmcnt(0)
	v_cmp_ne_u16_e64 s24, 0x7fff, v107
	v_cndmask_b32_e64 v3, 0xffff8000, v107, s24
	v_cmp_lt_i16_e64 s24, -1, v107
	v_lshrrev_b32_sdwa v3, s49, v3 dst_sel:DWORD dst_unused:UNUSED_PAD src0_sel:DWORD src1_sel:WORD_0
	v_cndmask_b32_e64 v109, 0xffff8000, -1, s24
	v_and_b32_e32 v3, s42, v3
	v_lshlrev_b32_e32 v3, 2, v3
	ds_read_b32 v3, v3
	s_waitcnt lgkmcnt(0)
	v_add_nc_u32_e32 v3, v3, v32
	v_lshlrev_b64 v[21:22], 1, v[3:4]
	v_xor_b32_e32 v3, v109, v107
	v_add_co_u32 v21, s24, s40, v21
	v_add_co_ci_u32_e64 v22, null, s41, v22, s24
	global_store_short v[21:22], v3, off
	s_or_b32 exec_lo, exec_lo, s25
	v_cmp_lt_u32_e64 s24, v35, v105
	s_and_saveexec_b32 s26, s24
	s_cbranch_execz .LBB1870_614
.LBB1870_650:                           ;   in Loop: Header=BB1870_563 Depth=2
	ds_read_u16 v107, v47 offset:3072
	s_waitcnt lgkmcnt(0)
	v_cmp_ne_u16_e64 s25, 0x7fff, v107
	v_cndmask_b32_e64 v3, 0xffff8000, v107, s25
	v_cmp_lt_i16_e64 s25, -1, v107
	v_lshrrev_b32_sdwa v3, s49, v3 dst_sel:DWORD dst_unused:UNUSED_PAD src0_sel:DWORD src1_sel:WORD_0
	v_cndmask_b32_e64 v109, 0xffff8000, -1, s25
	v_and_b32_e32 v3, s42, v3
	v_lshlrev_b32_e32 v3, 2, v3
	ds_read_b32 v3, v3
	s_waitcnt lgkmcnt(0)
	v_add_nc_u32_e32 v3, v3, v35
	v_lshlrev_b64 v[21:22], 1, v[3:4]
	v_xor_b32_e32 v3, v109, v107
	v_add_co_u32 v21, s25, s40, v21
	v_add_co_ci_u32_e64 v22, null, s41, v22, s25
	global_store_short v[21:22], v3, off
	s_or_b32 exec_lo, exec_lo, s26
	v_cmp_lt_u32_e64 s25, v36, v105
	s_and_saveexec_b32 s27, s25
	s_cbranch_execz .LBB1870_615
.LBB1870_651:                           ;   in Loop: Header=BB1870_563 Depth=2
	ds_read_u16 v107, v47 offset:3584
	s_waitcnt lgkmcnt(0)
	v_cmp_ne_u16_e64 s26, 0x7fff, v107
	v_cndmask_b32_e64 v3, 0xffff8000, v107, s26
	v_cmp_lt_i16_e64 s26, -1, v107
	v_lshrrev_b32_sdwa v3, s49, v3 dst_sel:DWORD dst_unused:UNUSED_PAD src0_sel:DWORD src1_sel:WORD_0
	v_cndmask_b32_e64 v109, 0xffff8000, -1, s26
	v_and_b32_e32 v3, s42, v3
	v_lshlrev_b32_e32 v3, 2, v3
	ds_read_b32 v3, v3
	s_waitcnt lgkmcnt(0)
	v_add_nc_u32_e32 v3, v3, v36
	v_lshlrev_b64 v[21:22], 1, v[3:4]
	v_xor_b32_e32 v3, v109, v107
	v_add_co_u32 v21, s26, s40, v21
	v_add_co_ci_u32_e64 v22, null, s41, v22, s26
	global_store_short v[21:22], v3, off
	s_or_b32 exec_lo, exec_lo, s27
	v_cmp_lt_u32_e64 s26, v37, v105
	s_and_saveexec_b32 s28, s26
	s_cbranch_execz .LBB1870_616
.LBB1870_652:                           ;   in Loop: Header=BB1870_563 Depth=2
	ds_read_u16 v107, v47 offset:4096
	s_waitcnt lgkmcnt(0)
	v_cmp_ne_u16_e64 s27, 0x7fff, v107
	v_cndmask_b32_e64 v3, 0xffff8000, v107, s27
	v_cmp_lt_i16_e64 s27, -1, v107
	v_lshrrev_b32_sdwa v3, s49, v3 dst_sel:DWORD dst_unused:UNUSED_PAD src0_sel:DWORD src1_sel:WORD_0
	v_cndmask_b32_e64 v109, 0xffff8000, -1, s27
	v_and_b32_e32 v3, s42, v3
	v_lshlrev_b32_e32 v3, 2, v3
	ds_read_b32 v3, v3
	s_waitcnt lgkmcnt(0)
	v_add_nc_u32_e32 v3, v3, v37
	v_lshlrev_b64 v[21:22], 1, v[3:4]
	v_xor_b32_e32 v3, v109, v107
	v_add_co_u32 v21, s27, s40, v21
	v_add_co_ci_u32_e64 v22, null, s41, v22, s27
	global_store_short v[21:22], v3, off
	s_or_b32 exec_lo, exec_lo, s28
	v_cmp_lt_u32_e64 s27, v38, v105
	s_and_saveexec_b32 s54, s27
	s_cbranch_execnz .LBB1870_617
	s_branch .LBB1870_618
.LBB1870_653:                           ;   in Loop: Header=BB1870_563 Depth=2
	global_load_dwordx2 v[19:20], v[21:22], off
	s_or_b32 exec_lo, exec_lo, s28
	s_mov_b32 s34, exec_lo
	v_cmpx_lt_u32_e64 v70, v105
	s_cbranch_execz .LBB1870_620
.LBB1870_654:                           ;   in Loop: Header=BB1870_563 Depth=2
	global_load_dwordx2 v[17:18], v[21:22], off offset:256
	s_or_b32 exec_lo, exec_lo, s34
	s_mov_b32 s34, exec_lo
	v_cmpx_lt_u32_e64 v71, v105
	s_cbranch_execz .LBB1870_621
.LBB1870_655:                           ;   in Loop: Header=BB1870_563 Depth=2
	global_load_dwordx2 v[15:16], v[21:22], off offset:512
	s_or_b32 exec_lo, exec_lo, s34
	s_mov_b32 s34, exec_lo
	v_cmpx_lt_u32_e64 v72, v105
	s_cbranch_execz .LBB1870_622
.LBB1870_656:                           ;   in Loop: Header=BB1870_563 Depth=2
	global_load_dwordx2 v[13:14], v[21:22], off offset:768
	s_or_b32 exec_lo, exec_lo, s34
	s_mov_b32 s34, exec_lo
	v_cmpx_lt_u32_e64 v73, v105
	s_cbranch_execz .LBB1870_623
.LBB1870_657:                           ;   in Loop: Header=BB1870_563 Depth=2
	global_load_dwordx2 v[11:12], v[21:22], off offset:1024
	s_or_b32 exec_lo, exec_lo, s34
	s_mov_b32 s34, exec_lo
	v_cmpx_lt_u32_e64 v74, v105
	s_cbranch_execz .LBB1870_624
.LBB1870_658:                           ;   in Loop: Header=BB1870_563 Depth=2
	global_load_dwordx2 v[9:10], v[21:22], off offset:1280
	s_or_b32 exec_lo, exec_lo, s34
	s_mov_b32 s34, exec_lo
	v_cmpx_lt_u32_e64 v75, v105
	s_cbranch_execz .LBB1870_625
.LBB1870_659:                           ;   in Loop: Header=BB1870_563 Depth=2
	global_load_dwordx2 v[7:8], v[21:22], off offset:1536
	s_or_b32 exec_lo, exec_lo, s34
	s_mov_b32 s34, exec_lo
	v_cmpx_lt_u32_e64 v76, v105
	s_cbranch_execz .LBB1870_626
.LBB1870_660:                           ;   in Loop: Header=BB1870_563 Depth=2
	global_load_dwordx2 v[5:6], v[21:22], off offset:1792
	s_or_b32 exec_lo, exec_lo, s34
	s_and_saveexec_b32 s34, vcc_lo
	s_cbranch_execz .LBB1870_627
.LBB1870_661:                           ;   in Loop: Header=BB1870_563 Depth=2
	ds_read_u16 v3, v47 offset:1024
	s_waitcnt lgkmcnt(0)
	v_cmp_ne_u16_e64 s28, 0x7fff, v3
	v_cndmask_b32_e64 v3, 0xffff8000, v3, s28
	v_lshrrev_b32_sdwa v3, s49, v3 dst_sel:DWORD dst_unused:UNUSED_PAD src0_sel:DWORD src1_sel:WORD_0
	v_and_b32_e32 v104, s42, v3
	s_or_b32 exec_lo, exec_lo, s34
	s_and_saveexec_b32 s34, s21
	s_cbranch_execz .LBB1870_628
.LBB1870_662:                           ;   in Loop: Header=BB1870_563 Depth=2
	ds_read_u16 v3, v47 offset:1536
	s_waitcnt lgkmcnt(0)
	v_cmp_ne_u16_e64 s28, 0x7fff, v3
	v_cndmask_b32_e64 v3, 0xffff8000, v3, s28
	v_lshrrev_b32_sdwa v3, s49, v3 dst_sel:DWORD dst_unused:UNUSED_PAD src0_sel:DWORD src1_sel:WORD_0
	v_and_b32_e32 v103, s42, v3
	s_or_b32 exec_lo, exec_lo, s34
	s_and_saveexec_b32 s34, s22
	s_cbranch_execz .LBB1870_629
.LBB1870_663:                           ;   in Loop: Header=BB1870_563 Depth=2
	ds_read_u16 v3, v47 offset:2048
	s_waitcnt lgkmcnt(0)
	v_cmp_ne_u16_e64 s28, 0x7fff, v3
	v_cndmask_b32_e64 v3, 0xffff8000, v3, s28
	v_lshrrev_b32_sdwa v3, s49, v3 dst_sel:DWORD dst_unused:UNUSED_PAD src0_sel:DWORD src1_sel:WORD_0
	v_and_b32_e32 v102, s42, v3
	s_or_b32 exec_lo, exec_lo, s34
	s_and_saveexec_b32 s34, s23
	s_cbranch_execz .LBB1870_630
.LBB1870_664:                           ;   in Loop: Header=BB1870_563 Depth=2
	ds_read_u16 v3, v47 offset:2560
	s_waitcnt lgkmcnt(0)
	v_cmp_ne_u16_e64 s28, 0x7fff, v3
	v_cndmask_b32_e64 v3, 0xffff8000, v3, s28
	v_lshrrev_b32_sdwa v3, s49, v3 dst_sel:DWORD dst_unused:UNUSED_PAD src0_sel:DWORD src1_sel:WORD_0
	v_and_b32_e32 v101, s42, v3
	s_or_b32 exec_lo, exec_lo, s34
	s_and_saveexec_b32 s34, s24
	s_cbranch_execz .LBB1870_631
.LBB1870_665:                           ;   in Loop: Header=BB1870_563 Depth=2
	ds_read_u16 v3, v47 offset:3072
	s_waitcnt lgkmcnt(0)
	v_cmp_ne_u16_e64 s28, 0x7fff, v3
	v_cndmask_b32_e64 v3, 0xffff8000, v3, s28
	v_lshrrev_b32_sdwa v3, s49, v3 dst_sel:DWORD dst_unused:UNUSED_PAD src0_sel:DWORD src1_sel:WORD_0
	v_and_b32_e32 v100, s42, v3
	s_or_b32 exec_lo, exec_lo, s34
	s_and_saveexec_b32 s34, s25
	s_cbranch_execz .LBB1870_632
.LBB1870_666:                           ;   in Loop: Header=BB1870_563 Depth=2
	ds_read_u16 v3, v47 offset:3584
	s_waitcnt lgkmcnt(0)
	v_cmp_ne_u16_e64 s28, 0x7fff, v3
	v_cndmask_b32_e64 v3, 0xffff8000, v3, s28
	v_lshrrev_b32_sdwa v3, s49, v3 dst_sel:DWORD dst_unused:UNUSED_PAD src0_sel:DWORD src1_sel:WORD_0
	v_and_b32_e32 v99, s42, v3
	s_or_b32 exec_lo, exec_lo, s34
	s_and_saveexec_b32 s34, s26
	s_cbranch_execz .LBB1870_633
.LBB1870_667:                           ;   in Loop: Header=BB1870_563 Depth=2
	ds_read_u16 v3, v47 offset:4096
	s_waitcnt lgkmcnt(0)
	v_cmp_ne_u16_e64 s28, 0x7fff, v3
	v_cndmask_b32_e64 v3, 0xffff8000, v3, s28
	v_lshrrev_b32_sdwa v3, s49, v3 dst_sel:DWORD dst_unused:UNUSED_PAD src0_sel:DWORD src1_sel:WORD_0
	v_and_b32_e32 v98, s42, v3
	s_or_b32 exec_lo, exec_lo, s34
	s_and_saveexec_b32 s34, s27
	s_cbranch_execnz .LBB1870_634
	s_branch .LBB1870_635
.LBB1870_668:                           ;   in Loop: Header=BB1870_563 Depth=2
	v_lshlrev_b32_e32 v3, 2, v104
	ds_read_b32 v3, v3
	ds_read_b64 v[24:25], v21 offset:1024
	s_waitcnt lgkmcnt(1)
	v_add_nc_u32_e32 v3, v3, v0
	v_lshlrev_b64 v[26:27], 3, v[3:4]
	v_add_co_u32 v26, vcc_lo, s46, v26
	v_add_co_ci_u32_e64 v27, null, s47, v27, vcc_lo
	s_waitcnt lgkmcnt(0)
	global_store_dwordx2 v[26:27], v[24:25], off
	s_or_b32 exec_lo, exec_lo, s28
	s_and_saveexec_b32 s28, s21
	s_cbranch_execz .LBB1870_637
.LBB1870_669:                           ;   in Loop: Header=BB1870_563 Depth=2
	v_lshlrev_b32_e32 v3, 2, v103
	ds_read_b32 v3, v3
	ds_read_b64 v[24:25], v21 offset:3072
	s_waitcnt lgkmcnt(1)
	v_add_nc_u32_e32 v3, v3, v30
	v_lshlrev_b64 v[26:27], 3, v[3:4]
	v_add_co_u32 v26, vcc_lo, s46, v26
	v_add_co_ci_u32_e64 v27, null, s47, v27, vcc_lo
	s_waitcnt lgkmcnt(0)
	global_store_dwordx2 v[26:27], v[24:25], off
	s_or_b32 exec_lo, exec_lo, s28
	s_and_saveexec_b32 s21, s22
	s_cbranch_execz .LBB1870_638
.LBB1870_670:                           ;   in Loop: Header=BB1870_563 Depth=2
	v_lshlrev_b32_e32 v3, 2, v102
	ds_read_b32 v3, v3
	ds_read_b64 v[24:25], v21 offset:5120
	s_waitcnt lgkmcnt(1)
	v_add_nc_u32_e32 v3, v3, v31
	v_lshlrev_b64 v[26:27], 3, v[3:4]
	v_add_co_u32 v26, vcc_lo, s46, v26
	v_add_co_ci_u32_e64 v27, null, s47, v27, vcc_lo
	s_waitcnt lgkmcnt(0)
	global_store_dwordx2 v[26:27], v[24:25], off
	s_or_b32 exec_lo, exec_lo, s21
	s_and_saveexec_b32 s21, s23
	s_cbranch_execz .LBB1870_639
.LBB1870_671:                           ;   in Loop: Header=BB1870_563 Depth=2
	v_lshlrev_b32_e32 v3, 2, v101
	ds_read_b32 v3, v3
	ds_read_b64 v[24:25], v21 offset:7168
	s_waitcnt lgkmcnt(1)
	v_add_nc_u32_e32 v3, v3, v32
	v_lshlrev_b64 v[26:27], 3, v[3:4]
	v_add_co_u32 v26, vcc_lo, s46, v26
	v_add_co_ci_u32_e64 v27, null, s47, v27, vcc_lo
	s_waitcnt lgkmcnt(0)
	global_store_dwordx2 v[26:27], v[24:25], off
	s_or_b32 exec_lo, exec_lo, s21
	s_and_saveexec_b32 s21, s24
	s_cbranch_execz .LBB1870_640
.LBB1870_672:                           ;   in Loop: Header=BB1870_563 Depth=2
	v_lshlrev_b32_e32 v3, 2, v100
	ds_read_b32 v3, v3
	ds_read_b64 v[24:25], v21 offset:9216
	s_waitcnt lgkmcnt(1)
	v_add_nc_u32_e32 v3, v3, v35
	v_lshlrev_b64 v[26:27], 3, v[3:4]
	v_add_co_u32 v26, vcc_lo, s46, v26
	v_add_co_ci_u32_e64 v27, null, s47, v27, vcc_lo
	s_waitcnt lgkmcnt(0)
	global_store_dwordx2 v[26:27], v[24:25], off
	s_or_b32 exec_lo, exec_lo, s21
	s_and_saveexec_b32 s21, s25
	s_cbranch_execz .LBB1870_641
.LBB1870_673:                           ;   in Loop: Header=BB1870_563 Depth=2
	v_lshlrev_b32_e32 v3, 2, v99
	ds_read_b32 v3, v3
	ds_read_b64 v[24:25], v21 offset:11264
	s_waitcnt lgkmcnt(1)
	v_add_nc_u32_e32 v3, v3, v36
	v_lshlrev_b64 v[26:27], 3, v[3:4]
	v_add_co_u32 v26, vcc_lo, s46, v26
	v_add_co_ci_u32_e64 v27, null, s47, v27, vcc_lo
	s_waitcnt lgkmcnt(0)
	global_store_dwordx2 v[26:27], v[24:25], off
	s_or_b32 exec_lo, exec_lo, s21
	s_and_saveexec_b32 s21, s26
	s_cbranch_execz .LBB1870_642
.LBB1870_674:                           ;   in Loop: Header=BB1870_563 Depth=2
	v_lshlrev_b32_e32 v3, 2, v98
	ds_read_b32 v3, v3
	ds_read_b64 v[24:25], v21 offset:13312
	s_waitcnt lgkmcnt(1)
	v_add_nc_u32_e32 v3, v3, v37
	v_lshlrev_b64 v[26:27], 3, v[3:4]
	v_add_co_u32 v26, vcc_lo, s46, v26
	v_add_co_ci_u32_e64 v27, null, s47, v27, vcc_lo
	s_waitcnt lgkmcnt(0)
	global_store_dwordx2 v[26:27], v[24:25], off
	s_or_b32 exec_lo, exec_lo, s21
	s_and_saveexec_b32 s21, s27
	s_cbranch_execnz .LBB1870_643
	s_branch .LBB1870_644
.LBB1870_675:
	s_endpgm
	.section	.rodata,"a",@progbits
	.p2align	6, 0x0
	.amdhsa_kernel _ZN7rocprim17ROCPRIM_400000_NS6detail17trampoline_kernelINS0_14default_configENS1_36segmented_radix_sort_config_selectorI6__halflEEZNS1_25segmented_radix_sort_implIS3_Lb0EPKS5_PS5_PKlPlN2at6native12_GLOBAL__N_18offset_tEEE10hipError_tPvRmT1_PNSt15iterator_traitsISL_E10value_typeET2_T3_PNSM_ISR_E10value_typeET4_jRbjT5_SX_jjP12ihipStream_tbEUlT_E2_NS1_11comp_targetILNS1_3genE8ELNS1_11target_archE1030ELNS1_3gpuE2ELNS1_3repE0EEENS1_30default_config_static_selectorELNS0_4arch9wavefront6targetE0EEEvSL_
		.amdhsa_group_segment_fixed_size 17440
		.amdhsa_private_segment_fixed_size 0
		.amdhsa_kernarg_size 336
		.amdhsa_user_sgpr_count 6
		.amdhsa_user_sgpr_private_segment_buffer 1
		.amdhsa_user_sgpr_dispatch_ptr 0
		.amdhsa_user_sgpr_queue_ptr 0
		.amdhsa_user_sgpr_kernarg_segment_ptr 1
		.amdhsa_user_sgpr_dispatch_id 0
		.amdhsa_user_sgpr_flat_scratch_init 0
		.amdhsa_user_sgpr_private_segment_size 0
		.amdhsa_wavefront_size32 1
		.amdhsa_uses_dynamic_stack 0
		.amdhsa_system_sgpr_private_segment_wavefront_offset 0
		.amdhsa_system_sgpr_workgroup_id_x 1
		.amdhsa_system_sgpr_workgroup_id_y 1
		.amdhsa_system_sgpr_workgroup_id_z 0
		.amdhsa_system_sgpr_workgroup_info 0
		.amdhsa_system_vgpr_workitem_id 2
		.amdhsa_next_free_vgpr 184
		.amdhsa_next_free_sgpr 56
		.amdhsa_reserve_vcc 1
		.amdhsa_reserve_flat_scratch 0
		.amdhsa_float_round_mode_32 0
		.amdhsa_float_round_mode_16_64 0
		.amdhsa_float_denorm_mode_32 3
		.amdhsa_float_denorm_mode_16_64 3
		.amdhsa_dx10_clamp 1
		.amdhsa_ieee_mode 1
		.amdhsa_fp16_overflow 0
		.amdhsa_workgroup_processor_mode 1
		.amdhsa_memory_ordered 1
		.amdhsa_forward_progress 1
		.amdhsa_shared_vgpr_count 0
		.amdhsa_exception_fp_ieee_invalid_op 0
		.amdhsa_exception_fp_denorm_src 0
		.amdhsa_exception_fp_ieee_div_zero 0
		.amdhsa_exception_fp_ieee_overflow 0
		.amdhsa_exception_fp_ieee_underflow 0
		.amdhsa_exception_fp_ieee_inexact 0
		.amdhsa_exception_int_div_zero 0
	.end_amdhsa_kernel
	.section	.text._ZN7rocprim17ROCPRIM_400000_NS6detail17trampoline_kernelINS0_14default_configENS1_36segmented_radix_sort_config_selectorI6__halflEEZNS1_25segmented_radix_sort_implIS3_Lb0EPKS5_PS5_PKlPlN2at6native12_GLOBAL__N_18offset_tEEE10hipError_tPvRmT1_PNSt15iterator_traitsISL_E10value_typeET2_T3_PNSM_ISR_E10value_typeET4_jRbjT5_SX_jjP12ihipStream_tbEUlT_E2_NS1_11comp_targetILNS1_3genE8ELNS1_11target_archE1030ELNS1_3gpuE2ELNS1_3repE0EEENS1_30default_config_static_selectorELNS0_4arch9wavefront6targetE0EEEvSL_,"axG",@progbits,_ZN7rocprim17ROCPRIM_400000_NS6detail17trampoline_kernelINS0_14default_configENS1_36segmented_radix_sort_config_selectorI6__halflEEZNS1_25segmented_radix_sort_implIS3_Lb0EPKS5_PS5_PKlPlN2at6native12_GLOBAL__N_18offset_tEEE10hipError_tPvRmT1_PNSt15iterator_traitsISL_E10value_typeET2_T3_PNSM_ISR_E10value_typeET4_jRbjT5_SX_jjP12ihipStream_tbEUlT_E2_NS1_11comp_targetILNS1_3genE8ELNS1_11target_archE1030ELNS1_3gpuE2ELNS1_3repE0EEENS1_30default_config_static_selectorELNS0_4arch9wavefront6targetE0EEEvSL_,comdat
.Lfunc_end1870:
	.size	_ZN7rocprim17ROCPRIM_400000_NS6detail17trampoline_kernelINS0_14default_configENS1_36segmented_radix_sort_config_selectorI6__halflEEZNS1_25segmented_radix_sort_implIS3_Lb0EPKS5_PS5_PKlPlN2at6native12_GLOBAL__N_18offset_tEEE10hipError_tPvRmT1_PNSt15iterator_traitsISL_E10value_typeET2_T3_PNSM_ISR_E10value_typeET4_jRbjT5_SX_jjP12ihipStream_tbEUlT_E2_NS1_11comp_targetILNS1_3genE8ELNS1_11target_archE1030ELNS1_3gpuE2ELNS1_3repE0EEENS1_30default_config_static_selectorELNS0_4arch9wavefront6targetE0EEEvSL_, .Lfunc_end1870-_ZN7rocprim17ROCPRIM_400000_NS6detail17trampoline_kernelINS0_14default_configENS1_36segmented_radix_sort_config_selectorI6__halflEEZNS1_25segmented_radix_sort_implIS3_Lb0EPKS5_PS5_PKlPlN2at6native12_GLOBAL__N_18offset_tEEE10hipError_tPvRmT1_PNSt15iterator_traitsISL_E10value_typeET2_T3_PNSM_ISR_E10value_typeET4_jRbjT5_SX_jjP12ihipStream_tbEUlT_E2_NS1_11comp_targetILNS1_3genE8ELNS1_11target_archE1030ELNS1_3gpuE2ELNS1_3repE0EEENS1_30default_config_static_selectorELNS0_4arch9wavefront6targetE0EEEvSL_
                                        ; -- End function
	.set _ZN7rocprim17ROCPRIM_400000_NS6detail17trampoline_kernelINS0_14default_configENS1_36segmented_radix_sort_config_selectorI6__halflEEZNS1_25segmented_radix_sort_implIS3_Lb0EPKS5_PS5_PKlPlN2at6native12_GLOBAL__N_18offset_tEEE10hipError_tPvRmT1_PNSt15iterator_traitsISL_E10value_typeET2_T3_PNSM_ISR_E10value_typeET4_jRbjT5_SX_jjP12ihipStream_tbEUlT_E2_NS1_11comp_targetILNS1_3genE8ELNS1_11target_archE1030ELNS1_3gpuE2ELNS1_3repE0EEENS1_30default_config_static_selectorELNS0_4arch9wavefront6targetE0EEEvSL_.num_vgpr, max(139, .L_ZN7rocprim17ROCPRIM_400000_NS6detail26segmented_warp_sort_helperINS1_20WarpSortHelperConfigILj8ELj4ELj256EEE6__halflLi256ELb0EvE4sortIPKS5_PS5_PKlPlEEvT_SA_T0_T1_SD_T2_bjjjjRNS6_12storage_typeE.num_vgpr, .L_ZN7rocprim17ROCPRIM_400000_NS6detail40segmented_radix_sort_single_block_helperI6__halflLj256ELj8ELb0EE4sortIPKS3_PS3_PKlPlEEbT_T0_T1_T2_jjjjRNS4_12storage_typeE.num_vgpr)
	.set _ZN7rocprim17ROCPRIM_400000_NS6detail17trampoline_kernelINS0_14default_configENS1_36segmented_radix_sort_config_selectorI6__halflEEZNS1_25segmented_radix_sort_implIS3_Lb0EPKS5_PS5_PKlPlN2at6native12_GLOBAL__N_18offset_tEEE10hipError_tPvRmT1_PNSt15iterator_traitsISL_E10value_typeET2_T3_PNSM_ISR_E10value_typeET4_jRbjT5_SX_jjP12ihipStream_tbEUlT_E2_NS1_11comp_targetILNS1_3genE8ELNS1_11target_archE1030ELNS1_3gpuE2ELNS1_3repE0EEENS1_30default_config_static_selectorELNS0_4arch9wavefront6targetE0EEEvSL_.num_agpr, max(0, .L_ZN7rocprim17ROCPRIM_400000_NS6detail26segmented_warp_sort_helperINS1_20WarpSortHelperConfigILj8ELj4ELj256EEE6__halflLi256ELb0EvE4sortIPKS5_PS5_PKlPlEEvT_SA_T0_T1_SD_T2_bjjjjRNS6_12storage_typeE.num_agpr, .L_ZN7rocprim17ROCPRIM_400000_NS6detail40segmented_radix_sort_single_block_helperI6__halflLj256ELj8ELb0EE4sortIPKS3_PS3_PKlPlEEbT_T0_T1_T2_jjjjRNS4_12storage_typeE.num_agpr)
	.set _ZN7rocprim17ROCPRIM_400000_NS6detail17trampoline_kernelINS0_14default_configENS1_36segmented_radix_sort_config_selectorI6__halflEEZNS1_25segmented_radix_sort_implIS3_Lb0EPKS5_PS5_PKlPlN2at6native12_GLOBAL__N_18offset_tEEE10hipError_tPvRmT1_PNSt15iterator_traitsISL_E10value_typeET2_T3_PNSM_ISR_E10value_typeET4_jRbjT5_SX_jjP12ihipStream_tbEUlT_E2_NS1_11comp_targetILNS1_3genE8ELNS1_11target_archE1030ELNS1_3gpuE2ELNS1_3repE0EEENS1_30default_config_static_selectorELNS0_4arch9wavefront6targetE0EEEvSL_.numbered_sgpr, max(56, .L_ZN7rocprim17ROCPRIM_400000_NS6detail26segmented_warp_sort_helperINS1_20WarpSortHelperConfigILj8ELj4ELj256EEE6__halflLi256ELb0EvE4sortIPKS5_PS5_PKlPlEEvT_SA_T0_T1_SD_T2_bjjjjRNS6_12storage_typeE.numbered_sgpr, .L_ZN7rocprim17ROCPRIM_400000_NS6detail40segmented_radix_sort_single_block_helperI6__halflLj256ELj8ELb0EE4sortIPKS3_PS3_PKlPlEEbT_T0_T1_T2_jjjjRNS4_12storage_typeE.numbered_sgpr)
	.set _ZN7rocprim17ROCPRIM_400000_NS6detail17trampoline_kernelINS0_14default_configENS1_36segmented_radix_sort_config_selectorI6__halflEEZNS1_25segmented_radix_sort_implIS3_Lb0EPKS5_PS5_PKlPlN2at6native12_GLOBAL__N_18offset_tEEE10hipError_tPvRmT1_PNSt15iterator_traitsISL_E10value_typeET2_T3_PNSM_ISR_E10value_typeET4_jRbjT5_SX_jjP12ihipStream_tbEUlT_E2_NS1_11comp_targetILNS1_3genE8ELNS1_11target_archE1030ELNS1_3gpuE2ELNS1_3repE0EEENS1_30default_config_static_selectorELNS0_4arch9wavefront6targetE0EEEvSL_.num_named_barrier, max(0, .L_ZN7rocprim17ROCPRIM_400000_NS6detail26segmented_warp_sort_helperINS1_20WarpSortHelperConfigILj8ELj4ELj256EEE6__halflLi256ELb0EvE4sortIPKS5_PS5_PKlPlEEvT_SA_T0_T1_SD_T2_bjjjjRNS6_12storage_typeE.num_named_barrier, .L_ZN7rocprim17ROCPRIM_400000_NS6detail40segmented_radix_sort_single_block_helperI6__halflLj256ELj8ELb0EE4sortIPKS3_PS3_PKlPlEEbT_T0_T1_T2_jjjjRNS4_12storage_typeE.num_named_barrier)
	.set _ZN7rocprim17ROCPRIM_400000_NS6detail17trampoline_kernelINS0_14default_configENS1_36segmented_radix_sort_config_selectorI6__halflEEZNS1_25segmented_radix_sort_implIS3_Lb0EPKS5_PS5_PKlPlN2at6native12_GLOBAL__N_18offset_tEEE10hipError_tPvRmT1_PNSt15iterator_traitsISL_E10value_typeET2_T3_PNSM_ISR_E10value_typeET4_jRbjT5_SX_jjP12ihipStream_tbEUlT_E2_NS1_11comp_targetILNS1_3genE8ELNS1_11target_archE1030ELNS1_3gpuE2ELNS1_3repE0EEENS1_30default_config_static_selectorELNS0_4arch9wavefront6targetE0EEEvSL_.private_seg_size, 0+max(.L_ZN7rocprim17ROCPRIM_400000_NS6detail26segmented_warp_sort_helperINS1_20WarpSortHelperConfigILj8ELj4ELj256EEE6__halflLi256ELb0EvE4sortIPKS5_PS5_PKlPlEEvT_SA_T0_T1_SD_T2_bjjjjRNS6_12storage_typeE.private_seg_size, .L_ZN7rocprim17ROCPRIM_400000_NS6detail40segmented_radix_sort_single_block_helperI6__halflLj256ELj8ELb0EE4sortIPKS3_PS3_PKlPlEEbT_T0_T1_T2_jjjjRNS4_12storage_typeE.private_seg_size)
	.set _ZN7rocprim17ROCPRIM_400000_NS6detail17trampoline_kernelINS0_14default_configENS1_36segmented_radix_sort_config_selectorI6__halflEEZNS1_25segmented_radix_sort_implIS3_Lb0EPKS5_PS5_PKlPlN2at6native12_GLOBAL__N_18offset_tEEE10hipError_tPvRmT1_PNSt15iterator_traitsISL_E10value_typeET2_T3_PNSM_ISR_E10value_typeET4_jRbjT5_SX_jjP12ihipStream_tbEUlT_E2_NS1_11comp_targetILNS1_3genE8ELNS1_11target_archE1030ELNS1_3gpuE2ELNS1_3repE0EEENS1_30default_config_static_selectorELNS0_4arch9wavefront6targetE0EEEvSL_.uses_vcc, or(1, .L_ZN7rocprim17ROCPRIM_400000_NS6detail26segmented_warp_sort_helperINS1_20WarpSortHelperConfigILj8ELj4ELj256EEE6__halflLi256ELb0EvE4sortIPKS5_PS5_PKlPlEEvT_SA_T0_T1_SD_T2_bjjjjRNS6_12storage_typeE.uses_vcc, .L_ZN7rocprim17ROCPRIM_400000_NS6detail40segmented_radix_sort_single_block_helperI6__halflLj256ELj8ELb0EE4sortIPKS3_PS3_PKlPlEEbT_T0_T1_T2_jjjjRNS4_12storage_typeE.uses_vcc)
	.set _ZN7rocprim17ROCPRIM_400000_NS6detail17trampoline_kernelINS0_14default_configENS1_36segmented_radix_sort_config_selectorI6__halflEEZNS1_25segmented_radix_sort_implIS3_Lb0EPKS5_PS5_PKlPlN2at6native12_GLOBAL__N_18offset_tEEE10hipError_tPvRmT1_PNSt15iterator_traitsISL_E10value_typeET2_T3_PNSM_ISR_E10value_typeET4_jRbjT5_SX_jjP12ihipStream_tbEUlT_E2_NS1_11comp_targetILNS1_3genE8ELNS1_11target_archE1030ELNS1_3gpuE2ELNS1_3repE0EEENS1_30default_config_static_selectorELNS0_4arch9wavefront6targetE0EEEvSL_.uses_flat_scratch, or(0, .L_ZN7rocprim17ROCPRIM_400000_NS6detail26segmented_warp_sort_helperINS1_20WarpSortHelperConfigILj8ELj4ELj256EEE6__halflLi256ELb0EvE4sortIPKS5_PS5_PKlPlEEvT_SA_T0_T1_SD_T2_bjjjjRNS6_12storage_typeE.uses_flat_scratch, .L_ZN7rocprim17ROCPRIM_400000_NS6detail40segmented_radix_sort_single_block_helperI6__halflLj256ELj8ELb0EE4sortIPKS3_PS3_PKlPlEEbT_T0_T1_T2_jjjjRNS4_12storage_typeE.uses_flat_scratch)
	.set _ZN7rocprim17ROCPRIM_400000_NS6detail17trampoline_kernelINS0_14default_configENS1_36segmented_radix_sort_config_selectorI6__halflEEZNS1_25segmented_radix_sort_implIS3_Lb0EPKS5_PS5_PKlPlN2at6native12_GLOBAL__N_18offset_tEEE10hipError_tPvRmT1_PNSt15iterator_traitsISL_E10value_typeET2_T3_PNSM_ISR_E10value_typeET4_jRbjT5_SX_jjP12ihipStream_tbEUlT_E2_NS1_11comp_targetILNS1_3genE8ELNS1_11target_archE1030ELNS1_3gpuE2ELNS1_3repE0EEENS1_30default_config_static_selectorELNS0_4arch9wavefront6targetE0EEEvSL_.has_dyn_sized_stack, or(0, .L_ZN7rocprim17ROCPRIM_400000_NS6detail26segmented_warp_sort_helperINS1_20WarpSortHelperConfigILj8ELj4ELj256EEE6__halflLi256ELb0EvE4sortIPKS5_PS5_PKlPlEEvT_SA_T0_T1_SD_T2_bjjjjRNS6_12storage_typeE.has_dyn_sized_stack, .L_ZN7rocprim17ROCPRIM_400000_NS6detail40segmented_radix_sort_single_block_helperI6__halflLj256ELj8ELb0EE4sortIPKS3_PS3_PKlPlEEbT_T0_T1_T2_jjjjRNS4_12storage_typeE.has_dyn_sized_stack)
	.set _ZN7rocprim17ROCPRIM_400000_NS6detail17trampoline_kernelINS0_14default_configENS1_36segmented_radix_sort_config_selectorI6__halflEEZNS1_25segmented_radix_sort_implIS3_Lb0EPKS5_PS5_PKlPlN2at6native12_GLOBAL__N_18offset_tEEE10hipError_tPvRmT1_PNSt15iterator_traitsISL_E10value_typeET2_T3_PNSM_ISR_E10value_typeET4_jRbjT5_SX_jjP12ihipStream_tbEUlT_E2_NS1_11comp_targetILNS1_3genE8ELNS1_11target_archE1030ELNS1_3gpuE2ELNS1_3repE0EEENS1_30default_config_static_selectorELNS0_4arch9wavefront6targetE0EEEvSL_.has_recursion, or(0, .L_ZN7rocprim17ROCPRIM_400000_NS6detail26segmented_warp_sort_helperINS1_20WarpSortHelperConfigILj8ELj4ELj256EEE6__halflLi256ELb0EvE4sortIPKS5_PS5_PKlPlEEvT_SA_T0_T1_SD_T2_bjjjjRNS6_12storage_typeE.has_recursion, .L_ZN7rocprim17ROCPRIM_400000_NS6detail40segmented_radix_sort_single_block_helperI6__halflLj256ELj8ELb0EE4sortIPKS3_PS3_PKlPlEEbT_T0_T1_T2_jjjjRNS4_12storage_typeE.has_recursion)
	.set _ZN7rocprim17ROCPRIM_400000_NS6detail17trampoline_kernelINS0_14default_configENS1_36segmented_radix_sort_config_selectorI6__halflEEZNS1_25segmented_radix_sort_implIS3_Lb0EPKS5_PS5_PKlPlN2at6native12_GLOBAL__N_18offset_tEEE10hipError_tPvRmT1_PNSt15iterator_traitsISL_E10value_typeET2_T3_PNSM_ISR_E10value_typeET4_jRbjT5_SX_jjP12ihipStream_tbEUlT_E2_NS1_11comp_targetILNS1_3genE8ELNS1_11target_archE1030ELNS1_3gpuE2ELNS1_3repE0EEENS1_30default_config_static_selectorELNS0_4arch9wavefront6targetE0EEEvSL_.has_indirect_call, or(0, .L_ZN7rocprim17ROCPRIM_400000_NS6detail26segmented_warp_sort_helperINS1_20WarpSortHelperConfigILj8ELj4ELj256EEE6__halflLi256ELb0EvE4sortIPKS5_PS5_PKlPlEEvT_SA_T0_T1_SD_T2_bjjjjRNS6_12storage_typeE.has_indirect_call, .L_ZN7rocprim17ROCPRIM_400000_NS6detail40segmented_radix_sort_single_block_helperI6__halflLj256ELj8ELb0EE4sortIPKS3_PS3_PKlPlEEbT_T0_T1_T2_jjjjRNS4_12storage_typeE.has_indirect_call)
	.section	.AMDGPU.csdata,"",@progbits
; Kernel info:
; codeLenInByte = 38708
; TotalNumSgprs: 58
; NumVgprs: 184
; ScratchSize: 0
; MemoryBound: 0
; FloatMode: 240
; IeeeMode: 1
; LDSByteSize: 17440 bytes/workgroup (compile time only)
; SGPRBlocks: 0
; VGPRBlocks: 22
; NumSGPRsForWavesPerEU: 58
; NumVGPRsForWavesPerEU: 184
; Occupancy: 5
; WaveLimiterHint : 1
; COMPUTE_PGM_RSRC2:SCRATCH_EN: 0
; COMPUTE_PGM_RSRC2:USER_SGPR: 6
; COMPUTE_PGM_RSRC2:TRAP_HANDLER: 0
; COMPUTE_PGM_RSRC2:TGID_X_EN: 1
; COMPUTE_PGM_RSRC2:TGID_Y_EN: 1
; COMPUTE_PGM_RSRC2:TGID_Z_EN: 0
; COMPUTE_PGM_RSRC2:TIDIG_COMP_CNT: 2
	.section	.text._ZN2at6native12_GLOBAL__N_123sort_postprocess_kernelIN3c108BFloat16EEEvPKT_PS5_PlPK15HIP_vector_typeIiLj2EEii,"axG",@progbits,_ZN2at6native12_GLOBAL__N_123sort_postprocess_kernelIN3c108BFloat16EEEvPKT_PS5_PlPK15HIP_vector_typeIiLj2EEii,comdat
	.globl	_ZN2at6native12_GLOBAL__N_123sort_postprocess_kernelIN3c108BFloat16EEEvPKT_PS5_PlPK15HIP_vector_typeIiLj2EEii ; -- Begin function _ZN2at6native12_GLOBAL__N_123sort_postprocess_kernelIN3c108BFloat16EEEvPKT_PS5_PlPK15HIP_vector_typeIiLj2EEii
	.p2align	8
	.type	_ZN2at6native12_GLOBAL__N_123sort_postprocess_kernelIN3c108BFloat16EEEvPKT_PS5_PlPK15HIP_vector_typeIiLj2EEii,@function
_ZN2at6native12_GLOBAL__N_123sort_postprocess_kernelIN3c108BFloat16EEEvPKT_PS5_PlPK15HIP_vector_typeIiLj2EEii: ; @_ZN2at6native12_GLOBAL__N_123sort_postprocess_kernelIN3c108BFloat16EEEvPKT_PS5_PlPK15HIP_vector_typeIiLj2EEii
; %bb.0:
	s_clause 0x1
	s_load_dword s2, s[4:5], 0x34
	s_load_dwordx2 s[8:9], s[4:5], 0x20
	s_add_u32 s0, s4, 40
	s_addc_u32 s1, s5, 0
	s_waitcnt lgkmcnt(0)
	s_and_b32 s15, s2, 0xffff
	s_mul_i32 s13, s15, s6
	s_mul_hi_u32 s12, s15, s6
	v_add_co_u32 v1, s2, s13, v0
	v_add_co_ci_u32_e64 v2, null, s12, 0, s2
	s_mul_i32 s2, s9, s8
	s_ashr_i32 s3, s2, 31
	v_cmp_gt_i64_e32 vcc_lo, s[2:3], v[1:2]
	v_mov_b32_e32 v1, 0
	s_and_saveexec_b32 s6, vcc_lo
	s_cbranch_execz .LBB1871_3
; %bb.1:
	s_abs_i32 s14, s9
	s_load_dword s0, s[0:1], 0x0
	v_cvt_f32_u32_e32 v2, s14
	s_sub_i32 s1, 0, s14
	s_load_dwordx8 s[4:11], s[4:5], 0x0
	v_rcp_iflag_f32_e32 v2, v2
	v_mul_f32_e32 v2, 0x4f7ffffe, v2
	v_cvt_u32_f32_e32 v2, v2
	v_mul_lo_u32 v3, s1, v2
	s_waitcnt lgkmcnt(0)
	s_mul_i32 s1, s0, s15
	s_mov_b32 s15, 0
	v_mul_hi_u32 v3, v2, v3
	v_add_nc_u32_e32 v2, v2, v3
.LBB1871_2:                             ; =>This Inner Loop Header: Depth=1
	v_add_nc_u32_e32 v3, s13, v0
	v_sub_nc_u32_e32 v4, 0, v3
	v_ashrrev_i32_e32 v6, 31, v3
	v_max_i32_e32 v4, v3, v4
	v_add_nc_u32_e32 v3, v3, v6
	v_mul_hi_u32 v5, v4, v2
	v_mul_lo_u32 v5, v5, s14
	v_sub_nc_u32_e32 v4, v4, v5
	v_subrev_nc_u32_e32 v5, s14, v4
	v_cmp_le_u32_e32 vcc_lo, s14, v4
	v_cndmask_b32_e32 v4, v4, v5, vcc_lo
	v_subrev_nc_u32_e32 v5, s14, v4
	v_cmp_le_u32_e32 vcc_lo, s14, v4
	v_cndmask_b32_e32 v4, v4, v5, vcc_lo
	v_xor_b32_e32 v4, v4, v6
	v_sub_nc_u32_e32 v3, v3, v4
	v_sub_nc_u32_e32 v5, v4, v6
	v_ashrrev_i32_e32 v4, 31, v3
	v_ashrrev_i32_e32 v6, 31, v5
	v_lshlrev_b64 v[7:8], 3, v[3:4]
	v_lshlrev_b64 v[9:10], 3, v[5:6]
	;; [unrolled: 1-line block ×4, first 2 shown]
	v_add_co_u32 v11, vcc_lo, s10, v7
	v_add_co_ci_u32_e64 v12, null, s11, v8, vcc_lo
	v_add_co_u32 v7, s0, s8, v7
	v_add_co_u32 v11, vcc_lo, v11, v9
	v_add_co_ci_u32_e64 v12, null, v12, v10, vcc_lo
	v_add_co_u32 v15, vcc_lo, s4, v3
	v_add_co_ci_u32_e64 v16, null, s5, v4, vcc_lo
	global_load_dword v11, v[11:12], off offset:4
	v_add_co_ci_u32_e64 v8, null, s9, v8, s0
	s_waitcnt vmcnt(0)
	v_ashrrev_i32_e32 v12, 31, v11
	v_lshlrev_b64 v[13:14], 1, v[11:12]
	v_add_co_u32 v13, vcc_lo, v15, v13
	v_add_co_ci_u32_e64 v14, null, v16, v14, vcc_lo
	v_add_co_u32 v0, vcc_lo, v0, s1
	v_add_co_ci_u32_e64 v1, null, 0, v1, vcc_lo
	global_load_ushort v15, v[13:14], off
	v_add_co_u32 v13, vcc_lo, s13, v0
	v_add_co_ci_u32_e64 v14, null, s12, v1, vcc_lo
	v_cmp_le_i64_e32 vcc_lo, s[2:3], v[13:14]
	v_add_co_u32 v13, s0, s6, v3
	v_add_co_ci_u32_e64 v14, null, s7, v4, s0
	v_add_co_u32 v3, s0, v7, v9
	v_add_co_ci_u32_e64 v4, null, v8, v10, s0
	;; [unrolled: 2-line block ×3, first 2 shown]
	s_or_b32 s15, vcc_lo, s15
	global_store_dwordx2 v[3:4], v[11:12], off
	s_waitcnt vmcnt(0)
	global_store_short v[5:6], v15, off
	s_andn2_b32 exec_lo, exec_lo, s15
	s_cbranch_execnz .LBB1871_2
.LBB1871_3:
	s_endpgm
	.section	.rodata,"a",@progbits
	.p2align	6, 0x0
	.amdhsa_kernel _ZN2at6native12_GLOBAL__N_123sort_postprocess_kernelIN3c108BFloat16EEEvPKT_PS5_PlPK15HIP_vector_typeIiLj2EEii
		.amdhsa_group_segment_fixed_size 0
		.amdhsa_private_segment_fixed_size 0
		.amdhsa_kernarg_size 296
		.amdhsa_user_sgpr_count 6
		.amdhsa_user_sgpr_private_segment_buffer 1
		.amdhsa_user_sgpr_dispatch_ptr 0
		.amdhsa_user_sgpr_queue_ptr 0
		.amdhsa_user_sgpr_kernarg_segment_ptr 1
		.amdhsa_user_sgpr_dispatch_id 0
		.amdhsa_user_sgpr_flat_scratch_init 0
		.amdhsa_user_sgpr_private_segment_size 0
		.amdhsa_wavefront_size32 1
		.amdhsa_uses_dynamic_stack 0
		.amdhsa_system_sgpr_private_segment_wavefront_offset 0
		.amdhsa_system_sgpr_workgroup_id_x 1
		.amdhsa_system_sgpr_workgroup_id_y 0
		.amdhsa_system_sgpr_workgroup_id_z 0
		.amdhsa_system_sgpr_workgroup_info 0
		.amdhsa_system_vgpr_workitem_id 0
		.amdhsa_next_free_vgpr 17
		.amdhsa_next_free_sgpr 16
		.amdhsa_reserve_vcc 1
		.amdhsa_reserve_flat_scratch 0
		.amdhsa_float_round_mode_32 0
		.amdhsa_float_round_mode_16_64 0
		.amdhsa_float_denorm_mode_32 3
		.amdhsa_float_denorm_mode_16_64 3
		.amdhsa_dx10_clamp 1
		.amdhsa_ieee_mode 1
		.amdhsa_fp16_overflow 0
		.amdhsa_workgroup_processor_mode 1
		.amdhsa_memory_ordered 1
		.amdhsa_forward_progress 1
		.amdhsa_shared_vgpr_count 0
		.amdhsa_exception_fp_ieee_invalid_op 0
		.amdhsa_exception_fp_denorm_src 0
		.amdhsa_exception_fp_ieee_div_zero 0
		.amdhsa_exception_fp_ieee_overflow 0
		.amdhsa_exception_fp_ieee_underflow 0
		.amdhsa_exception_fp_ieee_inexact 0
		.amdhsa_exception_int_div_zero 0
	.end_amdhsa_kernel
	.section	.text._ZN2at6native12_GLOBAL__N_123sort_postprocess_kernelIN3c108BFloat16EEEvPKT_PS5_PlPK15HIP_vector_typeIiLj2EEii,"axG",@progbits,_ZN2at6native12_GLOBAL__N_123sort_postprocess_kernelIN3c108BFloat16EEEvPKT_PS5_PlPK15HIP_vector_typeIiLj2EEii,comdat
.Lfunc_end1871:
	.size	_ZN2at6native12_GLOBAL__N_123sort_postprocess_kernelIN3c108BFloat16EEEvPKT_PS5_PlPK15HIP_vector_typeIiLj2EEii, .Lfunc_end1871-_ZN2at6native12_GLOBAL__N_123sort_postprocess_kernelIN3c108BFloat16EEEvPKT_PS5_PlPK15HIP_vector_typeIiLj2EEii
                                        ; -- End function
	.set _ZN2at6native12_GLOBAL__N_123sort_postprocess_kernelIN3c108BFloat16EEEvPKT_PS5_PlPK15HIP_vector_typeIiLj2EEii.num_vgpr, 17
	.set _ZN2at6native12_GLOBAL__N_123sort_postprocess_kernelIN3c108BFloat16EEEvPKT_PS5_PlPK15HIP_vector_typeIiLj2EEii.num_agpr, 0
	.set _ZN2at6native12_GLOBAL__N_123sort_postprocess_kernelIN3c108BFloat16EEEvPKT_PS5_PlPK15HIP_vector_typeIiLj2EEii.numbered_sgpr, 16
	.set _ZN2at6native12_GLOBAL__N_123sort_postprocess_kernelIN3c108BFloat16EEEvPKT_PS5_PlPK15HIP_vector_typeIiLj2EEii.num_named_barrier, 0
	.set _ZN2at6native12_GLOBAL__N_123sort_postprocess_kernelIN3c108BFloat16EEEvPKT_PS5_PlPK15HIP_vector_typeIiLj2EEii.private_seg_size, 0
	.set _ZN2at6native12_GLOBAL__N_123sort_postprocess_kernelIN3c108BFloat16EEEvPKT_PS5_PlPK15HIP_vector_typeIiLj2EEii.uses_vcc, 1
	.set _ZN2at6native12_GLOBAL__N_123sort_postprocess_kernelIN3c108BFloat16EEEvPKT_PS5_PlPK15HIP_vector_typeIiLj2EEii.uses_flat_scratch, 0
	.set _ZN2at6native12_GLOBAL__N_123sort_postprocess_kernelIN3c108BFloat16EEEvPKT_PS5_PlPK15HIP_vector_typeIiLj2EEii.has_dyn_sized_stack, 0
	.set _ZN2at6native12_GLOBAL__N_123sort_postprocess_kernelIN3c108BFloat16EEEvPKT_PS5_PlPK15HIP_vector_typeIiLj2EEii.has_recursion, 0
	.set _ZN2at6native12_GLOBAL__N_123sort_postprocess_kernelIN3c108BFloat16EEEvPKT_PS5_PlPK15HIP_vector_typeIiLj2EEii.has_indirect_call, 0
	.section	.AMDGPU.csdata,"",@progbits
; Kernel info:
; codeLenInByte = 512
; TotalNumSgprs: 18
; NumVgprs: 17
; ScratchSize: 0
; MemoryBound: 0
; FloatMode: 240
; IeeeMode: 1
; LDSByteSize: 0 bytes/workgroup (compile time only)
; SGPRBlocks: 0
; VGPRBlocks: 2
; NumSGPRsForWavesPerEU: 18
; NumVGPRsForWavesPerEU: 17
; Occupancy: 16
; WaveLimiterHint : 1
; COMPUTE_PGM_RSRC2:SCRATCH_EN: 0
; COMPUTE_PGM_RSRC2:USER_SGPR: 6
; COMPUTE_PGM_RSRC2:TRAP_HANDLER: 0
; COMPUTE_PGM_RSRC2:TGID_X_EN: 1
; COMPUTE_PGM_RSRC2:TGID_Y_EN: 0
; COMPUTE_PGM_RSRC2:TGID_Z_EN: 0
; COMPUTE_PGM_RSRC2:TIDIG_COMP_CNT: 0
	.section	.text._ZN7rocprim17ROCPRIM_400000_NS6detail17trampoline_kernelINS0_13select_configILj256ELj13ELNS0_17block_load_methodE3ELS4_3ELS4_3ELNS0_20block_scan_algorithmE0ELj4294967295EEENS1_25partition_config_selectorILNS1_17partition_subalgoE4EjNS0_10empty_typeEbEEZZNS1_14partition_implILS8_4ELb0ES6_15HIP_vector_typeIjLj2EENS0_17counting_iteratorIjlEEPS9_SG_NS0_5tupleIJPjSI_NS0_16reverse_iteratorISI_EEEEENSH_IJSG_SG_SG_EEES9_SI_JZNS1_25segmented_radix_sort_implINS0_14default_configELb1EPK12hip_bfloat16PSP_PKlPlN2at6native12_GLOBAL__N_18offset_tEEE10hipError_tPvRmT1_PNSt15iterator_traitsIS13_E10value_typeET2_T3_PNS14_IS19_E10value_typeET4_jRbjT5_S1F_jjP12ihipStream_tbEUljE_ZNSN_ISO_Lb1ESR_SS_SU_SV_SZ_EES10_S11_S12_S13_S17_S18_S19_S1C_S1D_jS1E_jS1F_S1F_jjS1H_bEUljE0_EEES10_S11_S12_S19_S1D_S1F_T6_T7_T9_mT8_S1H_bDpT10_ENKUlT_T0_E_clISt17integral_constantIbLb0EES1V_EEDaS1Q_S1R_EUlS1Q_E_NS1_11comp_targetILNS1_3genE0ELNS1_11target_archE4294967295ELNS1_3gpuE0ELNS1_3repE0EEENS1_30default_config_static_selectorELNS0_4arch9wavefront6targetE0EEEvS13_,"axG",@progbits,_ZN7rocprim17ROCPRIM_400000_NS6detail17trampoline_kernelINS0_13select_configILj256ELj13ELNS0_17block_load_methodE3ELS4_3ELS4_3ELNS0_20block_scan_algorithmE0ELj4294967295EEENS1_25partition_config_selectorILNS1_17partition_subalgoE4EjNS0_10empty_typeEbEEZZNS1_14partition_implILS8_4ELb0ES6_15HIP_vector_typeIjLj2EENS0_17counting_iteratorIjlEEPS9_SG_NS0_5tupleIJPjSI_NS0_16reverse_iteratorISI_EEEEENSH_IJSG_SG_SG_EEES9_SI_JZNS1_25segmented_radix_sort_implINS0_14default_configELb1EPK12hip_bfloat16PSP_PKlPlN2at6native12_GLOBAL__N_18offset_tEEE10hipError_tPvRmT1_PNSt15iterator_traitsIS13_E10value_typeET2_T3_PNS14_IS19_E10value_typeET4_jRbjT5_S1F_jjP12ihipStream_tbEUljE_ZNSN_ISO_Lb1ESR_SS_SU_SV_SZ_EES10_S11_S12_S13_S17_S18_S19_S1C_S1D_jS1E_jS1F_S1F_jjS1H_bEUljE0_EEES10_S11_S12_S19_S1D_S1F_T6_T7_T9_mT8_S1H_bDpT10_ENKUlT_T0_E_clISt17integral_constantIbLb0EES1V_EEDaS1Q_S1R_EUlS1Q_E_NS1_11comp_targetILNS1_3genE0ELNS1_11target_archE4294967295ELNS1_3gpuE0ELNS1_3repE0EEENS1_30default_config_static_selectorELNS0_4arch9wavefront6targetE0EEEvS13_,comdat
	.globl	_ZN7rocprim17ROCPRIM_400000_NS6detail17trampoline_kernelINS0_13select_configILj256ELj13ELNS0_17block_load_methodE3ELS4_3ELS4_3ELNS0_20block_scan_algorithmE0ELj4294967295EEENS1_25partition_config_selectorILNS1_17partition_subalgoE4EjNS0_10empty_typeEbEEZZNS1_14partition_implILS8_4ELb0ES6_15HIP_vector_typeIjLj2EENS0_17counting_iteratorIjlEEPS9_SG_NS0_5tupleIJPjSI_NS0_16reverse_iteratorISI_EEEEENSH_IJSG_SG_SG_EEES9_SI_JZNS1_25segmented_radix_sort_implINS0_14default_configELb1EPK12hip_bfloat16PSP_PKlPlN2at6native12_GLOBAL__N_18offset_tEEE10hipError_tPvRmT1_PNSt15iterator_traitsIS13_E10value_typeET2_T3_PNS14_IS19_E10value_typeET4_jRbjT5_S1F_jjP12ihipStream_tbEUljE_ZNSN_ISO_Lb1ESR_SS_SU_SV_SZ_EES10_S11_S12_S13_S17_S18_S19_S1C_S1D_jS1E_jS1F_S1F_jjS1H_bEUljE0_EEES10_S11_S12_S19_S1D_S1F_T6_T7_T9_mT8_S1H_bDpT10_ENKUlT_T0_E_clISt17integral_constantIbLb0EES1V_EEDaS1Q_S1R_EUlS1Q_E_NS1_11comp_targetILNS1_3genE0ELNS1_11target_archE4294967295ELNS1_3gpuE0ELNS1_3repE0EEENS1_30default_config_static_selectorELNS0_4arch9wavefront6targetE0EEEvS13_ ; -- Begin function _ZN7rocprim17ROCPRIM_400000_NS6detail17trampoline_kernelINS0_13select_configILj256ELj13ELNS0_17block_load_methodE3ELS4_3ELS4_3ELNS0_20block_scan_algorithmE0ELj4294967295EEENS1_25partition_config_selectorILNS1_17partition_subalgoE4EjNS0_10empty_typeEbEEZZNS1_14partition_implILS8_4ELb0ES6_15HIP_vector_typeIjLj2EENS0_17counting_iteratorIjlEEPS9_SG_NS0_5tupleIJPjSI_NS0_16reverse_iteratorISI_EEEEENSH_IJSG_SG_SG_EEES9_SI_JZNS1_25segmented_radix_sort_implINS0_14default_configELb1EPK12hip_bfloat16PSP_PKlPlN2at6native12_GLOBAL__N_18offset_tEEE10hipError_tPvRmT1_PNSt15iterator_traitsIS13_E10value_typeET2_T3_PNS14_IS19_E10value_typeET4_jRbjT5_S1F_jjP12ihipStream_tbEUljE_ZNSN_ISO_Lb1ESR_SS_SU_SV_SZ_EES10_S11_S12_S13_S17_S18_S19_S1C_S1D_jS1E_jS1F_S1F_jjS1H_bEUljE0_EEES10_S11_S12_S19_S1D_S1F_T6_T7_T9_mT8_S1H_bDpT10_ENKUlT_T0_E_clISt17integral_constantIbLb0EES1V_EEDaS1Q_S1R_EUlS1Q_E_NS1_11comp_targetILNS1_3genE0ELNS1_11target_archE4294967295ELNS1_3gpuE0ELNS1_3repE0EEENS1_30default_config_static_selectorELNS0_4arch9wavefront6targetE0EEEvS13_
	.p2align	8
	.type	_ZN7rocprim17ROCPRIM_400000_NS6detail17trampoline_kernelINS0_13select_configILj256ELj13ELNS0_17block_load_methodE3ELS4_3ELS4_3ELNS0_20block_scan_algorithmE0ELj4294967295EEENS1_25partition_config_selectorILNS1_17partition_subalgoE4EjNS0_10empty_typeEbEEZZNS1_14partition_implILS8_4ELb0ES6_15HIP_vector_typeIjLj2EENS0_17counting_iteratorIjlEEPS9_SG_NS0_5tupleIJPjSI_NS0_16reverse_iteratorISI_EEEEENSH_IJSG_SG_SG_EEES9_SI_JZNS1_25segmented_radix_sort_implINS0_14default_configELb1EPK12hip_bfloat16PSP_PKlPlN2at6native12_GLOBAL__N_18offset_tEEE10hipError_tPvRmT1_PNSt15iterator_traitsIS13_E10value_typeET2_T3_PNS14_IS19_E10value_typeET4_jRbjT5_S1F_jjP12ihipStream_tbEUljE_ZNSN_ISO_Lb1ESR_SS_SU_SV_SZ_EES10_S11_S12_S13_S17_S18_S19_S1C_S1D_jS1E_jS1F_S1F_jjS1H_bEUljE0_EEES10_S11_S12_S19_S1D_S1F_T6_T7_T9_mT8_S1H_bDpT10_ENKUlT_T0_E_clISt17integral_constantIbLb0EES1V_EEDaS1Q_S1R_EUlS1Q_E_NS1_11comp_targetILNS1_3genE0ELNS1_11target_archE4294967295ELNS1_3gpuE0ELNS1_3repE0EEENS1_30default_config_static_selectorELNS0_4arch9wavefront6targetE0EEEvS13_,@function
_ZN7rocprim17ROCPRIM_400000_NS6detail17trampoline_kernelINS0_13select_configILj256ELj13ELNS0_17block_load_methodE3ELS4_3ELS4_3ELNS0_20block_scan_algorithmE0ELj4294967295EEENS1_25partition_config_selectorILNS1_17partition_subalgoE4EjNS0_10empty_typeEbEEZZNS1_14partition_implILS8_4ELb0ES6_15HIP_vector_typeIjLj2EENS0_17counting_iteratorIjlEEPS9_SG_NS0_5tupleIJPjSI_NS0_16reverse_iteratorISI_EEEEENSH_IJSG_SG_SG_EEES9_SI_JZNS1_25segmented_radix_sort_implINS0_14default_configELb1EPK12hip_bfloat16PSP_PKlPlN2at6native12_GLOBAL__N_18offset_tEEE10hipError_tPvRmT1_PNSt15iterator_traitsIS13_E10value_typeET2_T3_PNS14_IS19_E10value_typeET4_jRbjT5_S1F_jjP12ihipStream_tbEUljE_ZNSN_ISO_Lb1ESR_SS_SU_SV_SZ_EES10_S11_S12_S13_S17_S18_S19_S1C_S1D_jS1E_jS1F_S1F_jjS1H_bEUljE0_EEES10_S11_S12_S19_S1D_S1F_T6_T7_T9_mT8_S1H_bDpT10_ENKUlT_T0_E_clISt17integral_constantIbLb0EES1V_EEDaS1Q_S1R_EUlS1Q_E_NS1_11comp_targetILNS1_3genE0ELNS1_11target_archE4294967295ELNS1_3gpuE0ELNS1_3repE0EEENS1_30default_config_static_selectorELNS0_4arch9wavefront6targetE0EEEvS13_: ; @_ZN7rocprim17ROCPRIM_400000_NS6detail17trampoline_kernelINS0_13select_configILj256ELj13ELNS0_17block_load_methodE3ELS4_3ELS4_3ELNS0_20block_scan_algorithmE0ELj4294967295EEENS1_25partition_config_selectorILNS1_17partition_subalgoE4EjNS0_10empty_typeEbEEZZNS1_14partition_implILS8_4ELb0ES6_15HIP_vector_typeIjLj2EENS0_17counting_iteratorIjlEEPS9_SG_NS0_5tupleIJPjSI_NS0_16reverse_iteratorISI_EEEEENSH_IJSG_SG_SG_EEES9_SI_JZNS1_25segmented_radix_sort_implINS0_14default_configELb1EPK12hip_bfloat16PSP_PKlPlN2at6native12_GLOBAL__N_18offset_tEEE10hipError_tPvRmT1_PNSt15iterator_traitsIS13_E10value_typeET2_T3_PNS14_IS19_E10value_typeET4_jRbjT5_S1F_jjP12ihipStream_tbEUljE_ZNSN_ISO_Lb1ESR_SS_SU_SV_SZ_EES10_S11_S12_S13_S17_S18_S19_S1C_S1D_jS1E_jS1F_S1F_jjS1H_bEUljE0_EEES10_S11_S12_S19_S1D_S1F_T6_T7_T9_mT8_S1H_bDpT10_ENKUlT_T0_E_clISt17integral_constantIbLb0EES1V_EEDaS1Q_S1R_EUlS1Q_E_NS1_11comp_targetILNS1_3genE0ELNS1_11target_archE4294967295ELNS1_3gpuE0ELNS1_3repE0EEENS1_30default_config_static_selectorELNS0_4arch9wavefront6targetE0EEEvS13_
; %bb.0:
	.section	.rodata,"a",@progbits
	.p2align	6, 0x0
	.amdhsa_kernel _ZN7rocprim17ROCPRIM_400000_NS6detail17trampoline_kernelINS0_13select_configILj256ELj13ELNS0_17block_load_methodE3ELS4_3ELS4_3ELNS0_20block_scan_algorithmE0ELj4294967295EEENS1_25partition_config_selectorILNS1_17partition_subalgoE4EjNS0_10empty_typeEbEEZZNS1_14partition_implILS8_4ELb0ES6_15HIP_vector_typeIjLj2EENS0_17counting_iteratorIjlEEPS9_SG_NS0_5tupleIJPjSI_NS0_16reverse_iteratorISI_EEEEENSH_IJSG_SG_SG_EEES9_SI_JZNS1_25segmented_radix_sort_implINS0_14default_configELb1EPK12hip_bfloat16PSP_PKlPlN2at6native12_GLOBAL__N_18offset_tEEE10hipError_tPvRmT1_PNSt15iterator_traitsIS13_E10value_typeET2_T3_PNS14_IS19_E10value_typeET4_jRbjT5_S1F_jjP12ihipStream_tbEUljE_ZNSN_ISO_Lb1ESR_SS_SU_SV_SZ_EES10_S11_S12_S13_S17_S18_S19_S1C_S1D_jS1E_jS1F_S1F_jjS1H_bEUljE0_EEES10_S11_S12_S19_S1D_S1F_T6_T7_T9_mT8_S1H_bDpT10_ENKUlT_T0_E_clISt17integral_constantIbLb0EES1V_EEDaS1Q_S1R_EUlS1Q_E_NS1_11comp_targetILNS1_3genE0ELNS1_11target_archE4294967295ELNS1_3gpuE0ELNS1_3repE0EEENS1_30default_config_static_selectorELNS0_4arch9wavefront6targetE0EEEvS13_
		.amdhsa_group_segment_fixed_size 0
		.amdhsa_private_segment_fixed_size 0
		.amdhsa_kernarg_size 176
		.amdhsa_user_sgpr_count 6
		.amdhsa_user_sgpr_private_segment_buffer 1
		.amdhsa_user_sgpr_dispatch_ptr 0
		.amdhsa_user_sgpr_queue_ptr 0
		.amdhsa_user_sgpr_kernarg_segment_ptr 1
		.amdhsa_user_sgpr_dispatch_id 0
		.amdhsa_user_sgpr_flat_scratch_init 0
		.amdhsa_user_sgpr_private_segment_size 0
		.amdhsa_wavefront_size32 1
		.amdhsa_uses_dynamic_stack 0
		.amdhsa_system_sgpr_private_segment_wavefront_offset 0
		.amdhsa_system_sgpr_workgroup_id_x 1
		.amdhsa_system_sgpr_workgroup_id_y 0
		.amdhsa_system_sgpr_workgroup_id_z 0
		.amdhsa_system_sgpr_workgroup_info 0
		.amdhsa_system_vgpr_workitem_id 0
		.amdhsa_next_free_vgpr 1
		.amdhsa_next_free_sgpr 1
		.amdhsa_reserve_vcc 0
		.amdhsa_reserve_flat_scratch 0
		.amdhsa_float_round_mode_32 0
		.amdhsa_float_round_mode_16_64 0
		.amdhsa_float_denorm_mode_32 3
		.amdhsa_float_denorm_mode_16_64 3
		.amdhsa_dx10_clamp 1
		.amdhsa_ieee_mode 1
		.amdhsa_fp16_overflow 0
		.amdhsa_workgroup_processor_mode 1
		.amdhsa_memory_ordered 1
		.amdhsa_forward_progress 1
		.amdhsa_shared_vgpr_count 0
		.amdhsa_exception_fp_ieee_invalid_op 0
		.amdhsa_exception_fp_denorm_src 0
		.amdhsa_exception_fp_ieee_div_zero 0
		.amdhsa_exception_fp_ieee_overflow 0
		.amdhsa_exception_fp_ieee_underflow 0
		.amdhsa_exception_fp_ieee_inexact 0
		.amdhsa_exception_int_div_zero 0
	.end_amdhsa_kernel
	.section	.text._ZN7rocprim17ROCPRIM_400000_NS6detail17trampoline_kernelINS0_13select_configILj256ELj13ELNS0_17block_load_methodE3ELS4_3ELS4_3ELNS0_20block_scan_algorithmE0ELj4294967295EEENS1_25partition_config_selectorILNS1_17partition_subalgoE4EjNS0_10empty_typeEbEEZZNS1_14partition_implILS8_4ELb0ES6_15HIP_vector_typeIjLj2EENS0_17counting_iteratorIjlEEPS9_SG_NS0_5tupleIJPjSI_NS0_16reverse_iteratorISI_EEEEENSH_IJSG_SG_SG_EEES9_SI_JZNS1_25segmented_radix_sort_implINS0_14default_configELb1EPK12hip_bfloat16PSP_PKlPlN2at6native12_GLOBAL__N_18offset_tEEE10hipError_tPvRmT1_PNSt15iterator_traitsIS13_E10value_typeET2_T3_PNS14_IS19_E10value_typeET4_jRbjT5_S1F_jjP12ihipStream_tbEUljE_ZNSN_ISO_Lb1ESR_SS_SU_SV_SZ_EES10_S11_S12_S13_S17_S18_S19_S1C_S1D_jS1E_jS1F_S1F_jjS1H_bEUljE0_EEES10_S11_S12_S19_S1D_S1F_T6_T7_T9_mT8_S1H_bDpT10_ENKUlT_T0_E_clISt17integral_constantIbLb0EES1V_EEDaS1Q_S1R_EUlS1Q_E_NS1_11comp_targetILNS1_3genE0ELNS1_11target_archE4294967295ELNS1_3gpuE0ELNS1_3repE0EEENS1_30default_config_static_selectorELNS0_4arch9wavefront6targetE0EEEvS13_,"axG",@progbits,_ZN7rocprim17ROCPRIM_400000_NS6detail17trampoline_kernelINS0_13select_configILj256ELj13ELNS0_17block_load_methodE3ELS4_3ELS4_3ELNS0_20block_scan_algorithmE0ELj4294967295EEENS1_25partition_config_selectorILNS1_17partition_subalgoE4EjNS0_10empty_typeEbEEZZNS1_14partition_implILS8_4ELb0ES6_15HIP_vector_typeIjLj2EENS0_17counting_iteratorIjlEEPS9_SG_NS0_5tupleIJPjSI_NS0_16reverse_iteratorISI_EEEEENSH_IJSG_SG_SG_EEES9_SI_JZNS1_25segmented_radix_sort_implINS0_14default_configELb1EPK12hip_bfloat16PSP_PKlPlN2at6native12_GLOBAL__N_18offset_tEEE10hipError_tPvRmT1_PNSt15iterator_traitsIS13_E10value_typeET2_T3_PNS14_IS19_E10value_typeET4_jRbjT5_S1F_jjP12ihipStream_tbEUljE_ZNSN_ISO_Lb1ESR_SS_SU_SV_SZ_EES10_S11_S12_S13_S17_S18_S19_S1C_S1D_jS1E_jS1F_S1F_jjS1H_bEUljE0_EEES10_S11_S12_S19_S1D_S1F_T6_T7_T9_mT8_S1H_bDpT10_ENKUlT_T0_E_clISt17integral_constantIbLb0EES1V_EEDaS1Q_S1R_EUlS1Q_E_NS1_11comp_targetILNS1_3genE0ELNS1_11target_archE4294967295ELNS1_3gpuE0ELNS1_3repE0EEENS1_30default_config_static_selectorELNS0_4arch9wavefront6targetE0EEEvS13_,comdat
.Lfunc_end1872:
	.size	_ZN7rocprim17ROCPRIM_400000_NS6detail17trampoline_kernelINS0_13select_configILj256ELj13ELNS0_17block_load_methodE3ELS4_3ELS4_3ELNS0_20block_scan_algorithmE0ELj4294967295EEENS1_25partition_config_selectorILNS1_17partition_subalgoE4EjNS0_10empty_typeEbEEZZNS1_14partition_implILS8_4ELb0ES6_15HIP_vector_typeIjLj2EENS0_17counting_iteratorIjlEEPS9_SG_NS0_5tupleIJPjSI_NS0_16reverse_iteratorISI_EEEEENSH_IJSG_SG_SG_EEES9_SI_JZNS1_25segmented_radix_sort_implINS0_14default_configELb1EPK12hip_bfloat16PSP_PKlPlN2at6native12_GLOBAL__N_18offset_tEEE10hipError_tPvRmT1_PNSt15iterator_traitsIS13_E10value_typeET2_T3_PNS14_IS19_E10value_typeET4_jRbjT5_S1F_jjP12ihipStream_tbEUljE_ZNSN_ISO_Lb1ESR_SS_SU_SV_SZ_EES10_S11_S12_S13_S17_S18_S19_S1C_S1D_jS1E_jS1F_S1F_jjS1H_bEUljE0_EEES10_S11_S12_S19_S1D_S1F_T6_T7_T9_mT8_S1H_bDpT10_ENKUlT_T0_E_clISt17integral_constantIbLb0EES1V_EEDaS1Q_S1R_EUlS1Q_E_NS1_11comp_targetILNS1_3genE0ELNS1_11target_archE4294967295ELNS1_3gpuE0ELNS1_3repE0EEENS1_30default_config_static_selectorELNS0_4arch9wavefront6targetE0EEEvS13_, .Lfunc_end1872-_ZN7rocprim17ROCPRIM_400000_NS6detail17trampoline_kernelINS0_13select_configILj256ELj13ELNS0_17block_load_methodE3ELS4_3ELS4_3ELNS0_20block_scan_algorithmE0ELj4294967295EEENS1_25partition_config_selectorILNS1_17partition_subalgoE4EjNS0_10empty_typeEbEEZZNS1_14partition_implILS8_4ELb0ES6_15HIP_vector_typeIjLj2EENS0_17counting_iteratorIjlEEPS9_SG_NS0_5tupleIJPjSI_NS0_16reverse_iteratorISI_EEEEENSH_IJSG_SG_SG_EEES9_SI_JZNS1_25segmented_radix_sort_implINS0_14default_configELb1EPK12hip_bfloat16PSP_PKlPlN2at6native12_GLOBAL__N_18offset_tEEE10hipError_tPvRmT1_PNSt15iterator_traitsIS13_E10value_typeET2_T3_PNS14_IS19_E10value_typeET4_jRbjT5_S1F_jjP12ihipStream_tbEUljE_ZNSN_ISO_Lb1ESR_SS_SU_SV_SZ_EES10_S11_S12_S13_S17_S18_S19_S1C_S1D_jS1E_jS1F_S1F_jjS1H_bEUljE0_EEES10_S11_S12_S19_S1D_S1F_T6_T7_T9_mT8_S1H_bDpT10_ENKUlT_T0_E_clISt17integral_constantIbLb0EES1V_EEDaS1Q_S1R_EUlS1Q_E_NS1_11comp_targetILNS1_3genE0ELNS1_11target_archE4294967295ELNS1_3gpuE0ELNS1_3repE0EEENS1_30default_config_static_selectorELNS0_4arch9wavefront6targetE0EEEvS13_
                                        ; -- End function
	.set _ZN7rocprim17ROCPRIM_400000_NS6detail17trampoline_kernelINS0_13select_configILj256ELj13ELNS0_17block_load_methodE3ELS4_3ELS4_3ELNS0_20block_scan_algorithmE0ELj4294967295EEENS1_25partition_config_selectorILNS1_17partition_subalgoE4EjNS0_10empty_typeEbEEZZNS1_14partition_implILS8_4ELb0ES6_15HIP_vector_typeIjLj2EENS0_17counting_iteratorIjlEEPS9_SG_NS0_5tupleIJPjSI_NS0_16reverse_iteratorISI_EEEEENSH_IJSG_SG_SG_EEES9_SI_JZNS1_25segmented_radix_sort_implINS0_14default_configELb1EPK12hip_bfloat16PSP_PKlPlN2at6native12_GLOBAL__N_18offset_tEEE10hipError_tPvRmT1_PNSt15iterator_traitsIS13_E10value_typeET2_T3_PNS14_IS19_E10value_typeET4_jRbjT5_S1F_jjP12ihipStream_tbEUljE_ZNSN_ISO_Lb1ESR_SS_SU_SV_SZ_EES10_S11_S12_S13_S17_S18_S19_S1C_S1D_jS1E_jS1F_S1F_jjS1H_bEUljE0_EEES10_S11_S12_S19_S1D_S1F_T6_T7_T9_mT8_S1H_bDpT10_ENKUlT_T0_E_clISt17integral_constantIbLb0EES1V_EEDaS1Q_S1R_EUlS1Q_E_NS1_11comp_targetILNS1_3genE0ELNS1_11target_archE4294967295ELNS1_3gpuE0ELNS1_3repE0EEENS1_30default_config_static_selectorELNS0_4arch9wavefront6targetE0EEEvS13_.num_vgpr, 0
	.set _ZN7rocprim17ROCPRIM_400000_NS6detail17trampoline_kernelINS0_13select_configILj256ELj13ELNS0_17block_load_methodE3ELS4_3ELS4_3ELNS0_20block_scan_algorithmE0ELj4294967295EEENS1_25partition_config_selectorILNS1_17partition_subalgoE4EjNS0_10empty_typeEbEEZZNS1_14partition_implILS8_4ELb0ES6_15HIP_vector_typeIjLj2EENS0_17counting_iteratorIjlEEPS9_SG_NS0_5tupleIJPjSI_NS0_16reverse_iteratorISI_EEEEENSH_IJSG_SG_SG_EEES9_SI_JZNS1_25segmented_radix_sort_implINS0_14default_configELb1EPK12hip_bfloat16PSP_PKlPlN2at6native12_GLOBAL__N_18offset_tEEE10hipError_tPvRmT1_PNSt15iterator_traitsIS13_E10value_typeET2_T3_PNS14_IS19_E10value_typeET4_jRbjT5_S1F_jjP12ihipStream_tbEUljE_ZNSN_ISO_Lb1ESR_SS_SU_SV_SZ_EES10_S11_S12_S13_S17_S18_S19_S1C_S1D_jS1E_jS1F_S1F_jjS1H_bEUljE0_EEES10_S11_S12_S19_S1D_S1F_T6_T7_T9_mT8_S1H_bDpT10_ENKUlT_T0_E_clISt17integral_constantIbLb0EES1V_EEDaS1Q_S1R_EUlS1Q_E_NS1_11comp_targetILNS1_3genE0ELNS1_11target_archE4294967295ELNS1_3gpuE0ELNS1_3repE0EEENS1_30default_config_static_selectorELNS0_4arch9wavefront6targetE0EEEvS13_.num_agpr, 0
	.set _ZN7rocprim17ROCPRIM_400000_NS6detail17trampoline_kernelINS0_13select_configILj256ELj13ELNS0_17block_load_methodE3ELS4_3ELS4_3ELNS0_20block_scan_algorithmE0ELj4294967295EEENS1_25partition_config_selectorILNS1_17partition_subalgoE4EjNS0_10empty_typeEbEEZZNS1_14partition_implILS8_4ELb0ES6_15HIP_vector_typeIjLj2EENS0_17counting_iteratorIjlEEPS9_SG_NS0_5tupleIJPjSI_NS0_16reverse_iteratorISI_EEEEENSH_IJSG_SG_SG_EEES9_SI_JZNS1_25segmented_radix_sort_implINS0_14default_configELb1EPK12hip_bfloat16PSP_PKlPlN2at6native12_GLOBAL__N_18offset_tEEE10hipError_tPvRmT1_PNSt15iterator_traitsIS13_E10value_typeET2_T3_PNS14_IS19_E10value_typeET4_jRbjT5_S1F_jjP12ihipStream_tbEUljE_ZNSN_ISO_Lb1ESR_SS_SU_SV_SZ_EES10_S11_S12_S13_S17_S18_S19_S1C_S1D_jS1E_jS1F_S1F_jjS1H_bEUljE0_EEES10_S11_S12_S19_S1D_S1F_T6_T7_T9_mT8_S1H_bDpT10_ENKUlT_T0_E_clISt17integral_constantIbLb0EES1V_EEDaS1Q_S1R_EUlS1Q_E_NS1_11comp_targetILNS1_3genE0ELNS1_11target_archE4294967295ELNS1_3gpuE0ELNS1_3repE0EEENS1_30default_config_static_selectorELNS0_4arch9wavefront6targetE0EEEvS13_.numbered_sgpr, 0
	.set _ZN7rocprim17ROCPRIM_400000_NS6detail17trampoline_kernelINS0_13select_configILj256ELj13ELNS0_17block_load_methodE3ELS4_3ELS4_3ELNS0_20block_scan_algorithmE0ELj4294967295EEENS1_25partition_config_selectorILNS1_17partition_subalgoE4EjNS0_10empty_typeEbEEZZNS1_14partition_implILS8_4ELb0ES6_15HIP_vector_typeIjLj2EENS0_17counting_iteratorIjlEEPS9_SG_NS0_5tupleIJPjSI_NS0_16reverse_iteratorISI_EEEEENSH_IJSG_SG_SG_EEES9_SI_JZNS1_25segmented_radix_sort_implINS0_14default_configELb1EPK12hip_bfloat16PSP_PKlPlN2at6native12_GLOBAL__N_18offset_tEEE10hipError_tPvRmT1_PNSt15iterator_traitsIS13_E10value_typeET2_T3_PNS14_IS19_E10value_typeET4_jRbjT5_S1F_jjP12ihipStream_tbEUljE_ZNSN_ISO_Lb1ESR_SS_SU_SV_SZ_EES10_S11_S12_S13_S17_S18_S19_S1C_S1D_jS1E_jS1F_S1F_jjS1H_bEUljE0_EEES10_S11_S12_S19_S1D_S1F_T6_T7_T9_mT8_S1H_bDpT10_ENKUlT_T0_E_clISt17integral_constantIbLb0EES1V_EEDaS1Q_S1R_EUlS1Q_E_NS1_11comp_targetILNS1_3genE0ELNS1_11target_archE4294967295ELNS1_3gpuE0ELNS1_3repE0EEENS1_30default_config_static_selectorELNS0_4arch9wavefront6targetE0EEEvS13_.num_named_barrier, 0
	.set _ZN7rocprim17ROCPRIM_400000_NS6detail17trampoline_kernelINS0_13select_configILj256ELj13ELNS0_17block_load_methodE3ELS4_3ELS4_3ELNS0_20block_scan_algorithmE0ELj4294967295EEENS1_25partition_config_selectorILNS1_17partition_subalgoE4EjNS0_10empty_typeEbEEZZNS1_14partition_implILS8_4ELb0ES6_15HIP_vector_typeIjLj2EENS0_17counting_iteratorIjlEEPS9_SG_NS0_5tupleIJPjSI_NS0_16reverse_iteratorISI_EEEEENSH_IJSG_SG_SG_EEES9_SI_JZNS1_25segmented_radix_sort_implINS0_14default_configELb1EPK12hip_bfloat16PSP_PKlPlN2at6native12_GLOBAL__N_18offset_tEEE10hipError_tPvRmT1_PNSt15iterator_traitsIS13_E10value_typeET2_T3_PNS14_IS19_E10value_typeET4_jRbjT5_S1F_jjP12ihipStream_tbEUljE_ZNSN_ISO_Lb1ESR_SS_SU_SV_SZ_EES10_S11_S12_S13_S17_S18_S19_S1C_S1D_jS1E_jS1F_S1F_jjS1H_bEUljE0_EEES10_S11_S12_S19_S1D_S1F_T6_T7_T9_mT8_S1H_bDpT10_ENKUlT_T0_E_clISt17integral_constantIbLb0EES1V_EEDaS1Q_S1R_EUlS1Q_E_NS1_11comp_targetILNS1_3genE0ELNS1_11target_archE4294967295ELNS1_3gpuE0ELNS1_3repE0EEENS1_30default_config_static_selectorELNS0_4arch9wavefront6targetE0EEEvS13_.private_seg_size, 0
	.set _ZN7rocprim17ROCPRIM_400000_NS6detail17trampoline_kernelINS0_13select_configILj256ELj13ELNS0_17block_load_methodE3ELS4_3ELS4_3ELNS0_20block_scan_algorithmE0ELj4294967295EEENS1_25partition_config_selectorILNS1_17partition_subalgoE4EjNS0_10empty_typeEbEEZZNS1_14partition_implILS8_4ELb0ES6_15HIP_vector_typeIjLj2EENS0_17counting_iteratorIjlEEPS9_SG_NS0_5tupleIJPjSI_NS0_16reverse_iteratorISI_EEEEENSH_IJSG_SG_SG_EEES9_SI_JZNS1_25segmented_radix_sort_implINS0_14default_configELb1EPK12hip_bfloat16PSP_PKlPlN2at6native12_GLOBAL__N_18offset_tEEE10hipError_tPvRmT1_PNSt15iterator_traitsIS13_E10value_typeET2_T3_PNS14_IS19_E10value_typeET4_jRbjT5_S1F_jjP12ihipStream_tbEUljE_ZNSN_ISO_Lb1ESR_SS_SU_SV_SZ_EES10_S11_S12_S13_S17_S18_S19_S1C_S1D_jS1E_jS1F_S1F_jjS1H_bEUljE0_EEES10_S11_S12_S19_S1D_S1F_T6_T7_T9_mT8_S1H_bDpT10_ENKUlT_T0_E_clISt17integral_constantIbLb0EES1V_EEDaS1Q_S1R_EUlS1Q_E_NS1_11comp_targetILNS1_3genE0ELNS1_11target_archE4294967295ELNS1_3gpuE0ELNS1_3repE0EEENS1_30default_config_static_selectorELNS0_4arch9wavefront6targetE0EEEvS13_.uses_vcc, 0
	.set _ZN7rocprim17ROCPRIM_400000_NS6detail17trampoline_kernelINS0_13select_configILj256ELj13ELNS0_17block_load_methodE3ELS4_3ELS4_3ELNS0_20block_scan_algorithmE0ELj4294967295EEENS1_25partition_config_selectorILNS1_17partition_subalgoE4EjNS0_10empty_typeEbEEZZNS1_14partition_implILS8_4ELb0ES6_15HIP_vector_typeIjLj2EENS0_17counting_iteratorIjlEEPS9_SG_NS0_5tupleIJPjSI_NS0_16reverse_iteratorISI_EEEEENSH_IJSG_SG_SG_EEES9_SI_JZNS1_25segmented_radix_sort_implINS0_14default_configELb1EPK12hip_bfloat16PSP_PKlPlN2at6native12_GLOBAL__N_18offset_tEEE10hipError_tPvRmT1_PNSt15iterator_traitsIS13_E10value_typeET2_T3_PNS14_IS19_E10value_typeET4_jRbjT5_S1F_jjP12ihipStream_tbEUljE_ZNSN_ISO_Lb1ESR_SS_SU_SV_SZ_EES10_S11_S12_S13_S17_S18_S19_S1C_S1D_jS1E_jS1F_S1F_jjS1H_bEUljE0_EEES10_S11_S12_S19_S1D_S1F_T6_T7_T9_mT8_S1H_bDpT10_ENKUlT_T0_E_clISt17integral_constantIbLb0EES1V_EEDaS1Q_S1R_EUlS1Q_E_NS1_11comp_targetILNS1_3genE0ELNS1_11target_archE4294967295ELNS1_3gpuE0ELNS1_3repE0EEENS1_30default_config_static_selectorELNS0_4arch9wavefront6targetE0EEEvS13_.uses_flat_scratch, 0
	.set _ZN7rocprim17ROCPRIM_400000_NS6detail17trampoline_kernelINS0_13select_configILj256ELj13ELNS0_17block_load_methodE3ELS4_3ELS4_3ELNS0_20block_scan_algorithmE0ELj4294967295EEENS1_25partition_config_selectorILNS1_17partition_subalgoE4EjNS0_10empty_typeEbEEZZNS1_14partition_implILS8_4ELb0ES6_15HIP_vector_typeIjLj2EENS0_17counting_iteratorIjlEEPS9_SG_NS0_5tupleIJPjSI_NS0_16reverse_iteratorISI_EEEEENSH_IJSG_SG_SG_EEES9_SI_JZNS1_25segmented_radix_sort_implINS0_14default_configELb1EPK12hip_bfloat16PSP_PKlPlN2at6native12_GLOBAL__N_18offset_tEEE10hipError_tPvRmT1_PNSt15iterator_traitsIS13_E10value_typeET2_T3_PNS14_IS19_E10value_typeET4_jRbjT5_S1F_jjP12ihipStream_tbEUljE_ZNSN_ISO_Lb1ESR_SS_SU_SV_SZ_EES10_S11_S12_S13_S17_S18_S19_S1C_S1D_jS1E_jS1F_S1F_jjS1H_bEUljE0_EEES10_S11_S12_S19_S1D_S1F_T6_T7_T9_mT8_S1H_bDpT10_ENKUlT_T0_E_clISt17integral_constantIbLb0EES1V_EEDaS1Q_S1R_EUlS1Q_E_NS1_11comp_targetILNS1_3genE0ELNS1_11target_archE4294967295ELNS1_3gpuE0ELNS1_3repE0EEENS1_30default_config_static_selectorELNS0_4arch9wavefront6targetE0EEEvS13_.has_dyn_sized_stack, 0
	.set _ZN7rocprim17ROCPRIM_400000_NS6detail17trampoline_kernelINS0_13select_configILj256ELj13ELNS0_17block_load_methodE3ELS4_3ELS4_3ELNS0_20block_scan_algorithmE0ELj4294967295EEENS1_25partition_config_selectorILNS1_17partition_subalgoE4EjNS0_10empty_typeEbEEZZNS1_14partition_implILS8_4ELb0ES6_15HIP_vector_typeIjLj2EENS0_17counting_iteratorIjlEEPS9_SG_NS0_5tupleIJPjSI_NS0_16reverse_iteratorISI_EEEEENSH_IJSG_SG_SG_EEES9_SI_JZNS1_25segmented_radix_sort_implINS0_14default_configELb1EPK12hip_bfloat16PSP_PKlPlN2at6native12_GLOBAL__N_18offset_tEEE10hipError_tPvRmT1_PNSt15iterator_traitsIS13_E10value_typeET2_T3_PNS14_IS19_E10value_typeET4_jRbjT5_S1F_jjP12ihipStream_tbEUljE_ZNSN_ISO_Lb1ESR_SS_SU_SV_SZ_EES10_S11_S12_S13_S17_S18_S19_S1C_S1D_jS1E_jS1F_S1F_jjS1H_bEUljE0_EEES10_S11_S12_S19_S1D_S1F_T6_T7_T9_mT8_S1H_bDpT10_ENKUlT_T0_E_clISt17integral_constantIbLb0EES1V_EEDaS1Q_S1R_EUlS1Q_E_NS1_11comp_targetILNS1_3genE0ELNS1_11target_archE4294967295ELNS1_3gpuE0ELNS1_3repE0EEENS1_30default_config_static_selectorELNS0_4arch9wavefront6targetE0EEEvS13_.has_recursion, 0
	.set _ZN7rocprim17ROCPRIM_400000_NS6detail17trampoline_kernelINS0_13select_configILj256ELj13ELNS0_17block_load_methodE3ELS4_3ELS4_3ELNS0_20block_scan_algorithmE0ELj4294967295EEENS1_25partition_config_selectorILNS1_17partition_subalgoE4EjNS0_10empty_typeEbEEZZNS1_14partition_implILS8_4ELb0ES6_15HIP_vector_typeIjLj2EENS0_17counting_iteratorIjlEEPS9_SG_NS0_5tupleIJPjSI_NS0_16reverse_iteratorISI_EEEEENSH_IJSG_SG_SG_EEES9_SI_JZNS1_25segmented_radix_sort_implINS0_14default_configELb1EPK12hip_bfloat16PSP_PKlPlN2at6native12_GLOBAL__N_18offset_tEEE10hipError_tPvRmT1_PNSt15iterator_traitsIS13_E10value_typeET2_T3_PNS14_IS19_E10value_typeET4_jRbjT5_S1F_jjP12ihipStream_tbEUljE_ZNSN_ISO_Lb1ESR_SS_SU_SV_SZ_EES10_S11_S12_S13_S17_S18_S19_S1C_S1D_jS1E_jS1F_S1F_jjS1H_bEUljE0_EEES10_S11_S12_S19_S1D_S1F_T6_T7_T9_mT8_S1H_bDpT10_ENKUlT_T0_E_clISt17integral_constantIbLb0EES1V_EEDaS1Q_S1R_EUlS1Q_E_NS1_11comp_targetILNS1_3genE0ELNS1_11target_archE4294967295ELNS1_3gpuE0ELNS1_3repE0EEENS1_30default_config_static_selectorELNS0_4arch9wavefront6targetE0EEEvS13_.has_indirect_call, 0
	.section	.AMDGPU.csdata,"",@progbits
; Kernel info:
; codeLenInByte = 0
; TotalNumSgprs: 0
; NumVgprs: 0
; ScratchSize: 0
; MemoryBound: 0
; FloatMode: 240
; IeeeMode: 1
; LDSByteSize: 0 bytes/workgroup (compile time only)
; SGPRBlocks: 0
; VGPRBlocks: 0
; NumSGPRsForWavesPerEU: 1
; NumVGPRsForWavesPerEU: 1
; Occupancy: 16
; WaveLimiterHint : 0
; COMPUTE_PGM_RSRC2:SCRATCH_EN: 0
; COMPUTE_PGM_RSRC2:USER_SGPR: 6
; COMPUTE_PGM_RSRC2:TRAP_HANDLER: 0
; COMPUTE_PGM_RSRC2:TGID_X_EN: 1
; COMPUTE_PGM_RSRC2:TGID_Y_EN: 0
; COMPUTE_PGM_RSRC2:TGID_Z_EN: 0
; COMPUTE_PGM_RSRC2:TIDIG_COMP_CNT: 0
	.section	.text._ZN7rocprim17ROCPRIM_400000_NS6detail17trampoline_kernelINS0_13select_configILj256ELj13ELNS0_17block_load_methodE3ELS4_3ELS4_3ELNS0_20block_scan_algorithmE0ELj4294967295EEENS1_25partition_config_selectorILNS1_17partition_subalgoE4EjNS0_10empty_typeEbEEZZNS1_14partition_implILS8_4ELb0ES6_15HIP_vector_typeIjLj2EENS0_17counting_iteratorIjlEEPS9_SG_NS0_5tupleIJPjSI_NS0_16reverse_iteratorISI_EEEEENSH_IJSG_SG_SG_EEES9_SI_JZNS1_25segmented_radix_sort_implINS0_14default_configELb1EPK12hip_bfloat16PSP_PKlPlN2at6native12_GLOBAL__N_18offset_tEEE10hipError_tPvRmT1_PNSt15iterator_traitsIS13_E10value_typeET2_T3_PNS14_IS19_E10value_typeET4_jRbjT5_S1F_jjP12ihipStream_tbEUljE_ZNSN_ISO_Lb1ESR_SS_SU_SV_SZ_EES10_S11_S12_S13_S17_S18_S19_S1C_S1D_jS1E_jS1F_S1F_jjS1H_bEUljE0_EEES10_S11_S12_S19_S1D_S1F_T6_T7_T9_mT8_S1H_bDpT10_ENKUlT_T0_E_clISt17integral_constantIbLb0EES1V_EEDaS1Q_S1R_EUlS1Q_E_NS1_11comp_targetILNS1_3genE5ELNS1_11target_archE942ELNS1_3gpuE9ELNS1_3repE0EEENS1_30default_config_static_selectorELNS0_4arch9wavefront6targetE0EEEvS13_,"axG",@progbits,_ZN7rocprim17ROCPRIM_400000_NS6detail17trampoline_kernelINS0_13select_configILj256ELj13ELNS0_17block_load_methodE3ELS4_3ELS4_3ELNS0_20block_scan_algorithmE0ELj4294967295EEENS1_25partition_config_selectorILNS1_17partition_subalgoE4EjNS0_10empty_typeEbEEZZNS1_14partition_implILS8_4ELb0ES6_15HIP_vector_typeIjLj2EENS0_17counting_iteratorIjlEEPS9_SG_NS0_5tupleIJPjSI_NS0_16reverse_iteratorISI_EEEEENSH_IJSG_SG_SG_EEES9_SI_JZNS1_25segmented_radix_sort_implINS0_14default_configELb1EPK12hip_bfloat16PSP_PKlPlN2at6native12_GLOBAL__N_18offset_tEEE10hipError_tPvRmT1_PNSt15iterator_traitsIS13_E10value_typeET2_T3_PNS14_IS19_E10value_typeET4_jRbjT5_S1F_jjP12ihipStream_tbEUljE_ZNSN_ISO_Lb1ESR_SS_SU_SV_SZ_EES10_S11_S12_S13_S17_S18_S19_S1C_S1D_jS1E_jS1F_S1F_jjS1H_bEUljE0_EEES10_S11_S12_S19_S1D_S1F_T6_T7_T9_mT8_S1H_bDpT10_ENKUlT_T0_E_clISt17integral_constantIbLb0EES1V_EEDaS1Q_S1R_EUlS1Q_E_NS1_11comp_targetILNS1_3genE5ELNS1_11target_archE942ELNS1_3gpuE9ELNS1_3repE0EEENS1_30default_config_static_selectorELNS0_4arch9wavefront6targetE0EEEvS13_,comdat
	.globl	_ZN7rocprim17ROCPRIM_400000_NS6detail17trampoline_kernelINS0_13select_configILj256ELj13ELNS0_17block_load_methodE3ELS4_3ELS4_3ELNS0_20block_scan_algorithmE0ELj4294967295EEENS1_25partition_config_selectorILNS1_17partition_subalgoE4EjNS0_10empty_typeEbEEZZNS1_14partition_implILS8_4ELb0ES6_15HIP_vector_typeIjLj2EENS0_17counting_iteratorIjlEEPS9_SG_NS0_5tupleIJPjSI_NS0_16reverse_iteratorISI_EEEEENSH_IJSG_SG_SG_EEES9_SI_JZNS1_25segmented_radix_sort_implINS0_14default_configELb1EPK12hip_bfloat16PSP_PKlPlN2at6native12_GLOBAL__N_18offset_tEEE10hipError_tPvRmT1_PNSt15iterator_traitsIS13_E10value_typeET2_T3_PNS14_IS19_E10value_typeET4_jRbjT5_S1F_jjP12ihipStream_tbEUljE_ZNSN_ISO_Lb1ESR_SS_SU_SV_SZ_EES10_S11_S12_S13_S17_S18_S19_S1C_S1D_jS1E_jS1F_S1F_jjS1H_bEUljE0_EEES10_S11_S12_S19_S1D_S1F_T6_T7_T9_mT8_S1H_bDpT10_ENKUlT_T0_E_clISt17integral_constantIbLb0EES1V_EEDaS1Q_S1R_EUlS1Q_E_NS1_11comp_targetILNS1_3genE5ELNS1_11target_archE942ELNS1_3gpuE9ELNS1_3repE0EEENS1_30default_config_static_selectorELNS0_4arch9wavefront6targetE0EEEvS13_ ; -- Begin function _ZN7rocprim17ROCPRIM_400000_NS6detail17trampoline_kernelINS0_13select_configILj256ELj13ELNS0_17block_load_methodE3ELS4_3ELS4_3ELNS0_20block_scan_algorithmE0ELj4294967295EEENS1_25partition_config_selectorILNS1_17partition_subalgoE4EjNS0_10empty_typeEbEEZZNS1_14partition_implILS8_4ELb0ES6_15HIP_vector_typeIjLj2EENS0_17counting_iteratorIjlEEPS9_SG_NS0_5tupleIJPjSI_NS0_16reverse_iteratorISI_EEEEENSH_IJSG_SG_SG_EEES9_SI_JZNS1_25segmented_radix_sort_implINS0_14default_configELb1EPK12hip_bfloat16PSP_PKlPlN2at6native12_GLOBAL__N_18offset_tEEE10hipError_tPvRmT1_PNSt15iterator_traitsIS13_E10value_typeET2_T3_PNS14_IS19_E10value_typeET4_jRbjT5_S1F_jjP12ihipStream_tbEUljE_ZNSN_ISO_Lb1ESR_SS_SU_SV_SZ_EES10_S11_S12_S13_S17_S18_S19_S1C_S1D_jS1E_jS1F_S1F_jjS1H_bEUljE0_EEES10_S11_S12_S19_S1D_S1F_T6_T7_T9_mT8_S1H_bDpT10_ENKUlT_T0_E_clISt17integral_constantIbLb0EES1V_EEDaS1Q_S1R_EUlS1Q_E_NS1_11comp_targetILNS1_3genE5ELNS1_11target_archE942ELNS1_3gpuE9ELNS1_3repE0EEENS1_30default_config_static_selectorELNS0_4arch9wavefront6targetE0EEEvS13_
	.p2align	8
	.type	_ZN7rocprim17ROCPRIM_400000_NS6detail17trampoline_kernelINS0_13select_configILj256ELj13ELNS0_17block_load_methodE3ELS4_3ELS4_3ELNS0_20block_scan_algorithmE0ELj4294967295EEENS1_25partition_config_selectorILNS1_17partition_subalgoE4EjNS0_10empty_typeEbEEZZNS1_14partition_implILS8_4ELb0ES6_15HIP_vector_typeIjLj2EENS0_17counting_iteratorIjlEEPS9_SG_NS0_5tupleIJPjSI_NS0_16reverse_iteratorISI_EEEEENSH_IJSG_SG_SG_EEES9_SI_JZNS1_25segmented_radix_sort_implINS0_14default_configELb1EPK12hip_bfloat16PSP_PKlPlN2at6native12_GLOBAL__N_18offset_tEEE10hipError_tPvRmT1_PNSt15iterator_traitsIS13_E10value_typeET2_T3_PNS14_IS19_E10value_typeET4_jRbjT5_S1F_jjP12ihipStream_tbEUljE_ZNSN_ISO_Lb1ESR_SS_SU_SV_SZ_EES10_S11_S12_S13_S17_S18_S19_S1C_S1D_jS1E_jS1F_S1F_jjS1H_bEUljE0_EEES10_S11_S12_S19_S1D_S1F_T6_T7_T9_mT8_S1H_bDpT10_ENKUlT_T0_E_clISt17integral_constantIbLb0EES1V_EEDaS1Q_S1R_EUlS1Q_E_NS1_11comp_targetILNS1_3genE5ELNS1_11target_archE942ELNS1_3gpuE9ELNS1_3repE0EEENS1_30default_config_static_selectorELNS0_4arch9wavefront6targetE0EEEvS13_,@function
_ZN7rocprim17ROCPRIM_400000_NS6detail17trampoline_kernelINS0_13select_configILj256ELj13ELNS0_17block_load_methodE3ELS4_3ELS4_3ELNS0_20block_scan_algorithmE0ELj4294967295EEENS1_25partition_config_selectorILNS1_17partition_subalgoE4EjNS0_10empty_typeEbEEZZNS1_14partition_implILS8_4ELb0ES6_15HIP_vector_typeIjLj2EENS0_17counting_iteratorIjlEEPS9_SG_NS0_5tupleIJPjSI_NS0_16reverse_iteratorISI_EEEEENSH_IJSG_SG_SG_EEES9_SI_JZNS1_25segmented_radix_sort_implINS0_14default_configELb1EPK12hip_bfloat16PSP_PKlPlN2at6native12_GLOBAL__N_18offset_tEEE10hipError_tPvRmT1_PNSt15iterator_traitsIS13_E10value_typeET2_T3_PNS14_IS19_E10value_typeET4_jRbjT5_S1F_jjP12ihipStream_tbEUljE_ZNSN_ISO_Lb1ESR_SS_SU_SV_SZ_EES10_S11_S12_S13_S17_S18_S19_S1C_S1D_jS1E_jS1F_S1F_jjS1H_bEUljE0_EEES10_S11_S12_S19_S1D_S1F_T6_T7_T9_mT8_S1H_bDpT10_ENKUlT_T0_E_clISt17integral_constantIbLb0EES1V_EEDaS1Q_S1R_EUlS1Q_E_NS1_11comp_targetILNS1_3genE5ELNS1_11target_archE942ELNS1_3gpuE9ELNS1_3repE0EEENS1_30default_config_static_selectorELNS0_4arch9wavefront6targetE0EEEvS13_: ; @_ZN7rocprim17ROCPRIM_400000_NS6detail17trampoline_kernelINS0_13select_configILj256ELj13ELNS0_17block_load_methodE3ELS4_3ELS4_3ELNS0_20block_scan_algorithmE0ELj4294967295EEENS1_25partition_config_selectorILNS1_17partition_subalgoE4EjNS0_10empty_typeEbEEZZNS1_14partition_implILS8_4ELb0ES6_15HIP_vector_typeIjLj2EENS0_17counting_iteratorIjlEEPS9_SG_NS0_5tupleIJPjSI_NS0_16reverse_iteratorISI_EEEEENSH_IJSG_SG_SG_EEES9_SI_JZNS1_25segmented_radix_sort_implINS0_14default_configELb1EPK12hip_bfloat16PSP_PKlPlN2at6native12_GLOBAL__N_18offset_tEEE10hipError_tPvRmT1_PNSt15iterator_traitsIS13_E10value_typeET2_T3_PNS14_IS19_E10value_typeET4_jRbjT5_S1F_jjP12ihipStream_tbEUljE_ZNSN_ISO_Lb1ESR_SS_SU_SV_SZ_EES10_S11_S12_S13_S17_S18_S19_S1C_S1D_jS1E_jS1F_S1F_jjS1H_bEUljE0_EEES10_S11_S12_S19_S1D_S1F_T6_T7_T9_mT8_S1H_bDpT10_ENKUlT_T0_E_clISt17integral_constantIbLb0EES1V_EEDaS1Q_S1R_EUlS1Q_E_NS1_11comp_targetILNS1_3genE5ELNS1_11target_archE942ELNS1_3gpuE9ELNS1_3repE0EEENS1_30default_config_static_selectorELNS0_4arch9wavefront6targetE0EEEvS13_
; %bb.0:
	.section	.rodata,"a",@progbits
	.p2align	6, 0x0
	.amdhsa_kernel _ZN7rocprim17ROCPRIM_400000_NS6detail17trampoline_kernelINS0_13select_configILj256ELj13ELNS0_17block_load_methodE3ELS4_3ELS4_3ELNS0_20block_scan_algorithmE0ELj4294967295EEENS1_25partition_config_selectorILNS1_17partition_subalgoE4EjNS0_10empty_typeEbEEZZNS1_14partition_implILS8_4ELb0ES6_15HIP_vector_typeIjLj2EENS0_17counting_iteratorIjlEEPS9_SG_NS0_5tupleIJPjSI_NS0_16reverse_iteratorISI_EEEEENSH_IJSG_SG_SG_EEES9_SI_JZNS1_25segmented_radix_sort_implINS0_14default_configELb1EPK12hip_bfloat16PSP_PKlPlN2at6native12_GLOBAL__N_18offset_tEEE10hipError_tPvRmT1_PNSt15iterator_traitsIS13_E10value_typeET2_T3_PNS14_IS19_E10value_typeET4_jRbjT5_S1F_jjP12ihipStream_tbEUljE_ZNSN_ISO_Lb1ESR_SS_SU_SV_SZ_EES10_S11_S12_S13_S17_S18_S19_S1C_S1D_jS1E_jS1F_S1F_jjS1H_bEUljE0_EEES10_S11_S12_S19_S1D_S1F_T6_T7_T9_mT8_S1H_bDpT10_ENKUlT_T0_E_clISt17integral_constantIbLb0EES1V_EEDaS1Q_S1R_EUlS1Q_E_NS1_11comp_targetILNS1_3genE5ELNS1_11target_archE942ELNS1_3gpuE9ELNS1_3repE0EEENS1_30default_config_static_selectorELNS0_4arch9wavefront6targetE0EEEvS13_
		.amdhsa_group_segment_fixed_size 0
		.amdhsa_private_segment_fixed_size 0
		.amdhsa_kernarg_size 176
		.amdhsa_user_sgpr_count 6
		.amdhsa_user_sgpr_private_segment_buffer 1
		.amdhsa_user_sgpr_dispatch_ptr 0
		.amdhsa_user_sgpr_queue_ptr 0
		.amdhsa_user_sgpr_kernarg_segment_ptr 1
		.amdhsa_user_sgpr_dispatch_id 0
		.amdhsa_user_sgpr_flat_scratch_init 0
		.amdhsa_user_sgpr_private_segment_size 0
		.amdhsa_wavefront_size32 1
		.amdhsa_uses_dynamic_stack 0
		.amdhsa_system_sgpr_private_segment_wavefront_offset 0
		.amdhsa_system_sgpr_workgroup_id_x 1
		.amdhsa_system_sgpr_workgroup_id_y 0
		.amdhsa_system_sgpr_workgroup_id_z 0
		.amdhsa_system_sgpr_workgroup_info 0
		.amdhsa_system_vgpr_workitem_id 0
		.amdhsa_next_free_vgpr 1
		.amdhsa_next_free_sgpr 1
		.amdhsa_reserve_vcc 0
		.amdhsa_reserve_flat_scratch 0
		.amdhsa_float_round_mode_32 0
		.amdhsa_float_round_mode_16_64 0
		.amdhsa_float_denorm_mode_32 3
		.amdhsa_float_denorm_mode_16_64 3
		.amdhsa_dx10_clamp 1
		.amdhsa_ieee_mode 1
		.amdhsa_fp16_overflow 0
		.amdhsa_workgroup_processor_mode 1
		.amdhsa_memory_ordered 1
		.amdhsa_forward_progress 1
		.amdhsa_shared_vgpr_count 0
		.amdhsa_exception_fp_ieee_invalid_op 0
		.amdhsa_exception_fp_denorm_src 0
		.amdhsa_exception_fp_ieee_div_zero 0
		.amdhsa_exception_fp_ieee_overflow 0
		.amdhsa_exception_fp_ieee_underflow 0
		.amdhsa_exception_fp_ieee_inexact 0
		.amdhsa_exception_int_div_zero 0
	.end_amdhsa_kernel
	.section	.text._ZN7rocprim17ROCPRIM_400000_NS6detail17trampoline_kernelINS0_13select_configILj256ELj13ELNS0_17block_load_methodE3ELS4_3ELS4_3ELNS0_20block_scan_algorithmE0ELj4294967295EEENS1_25partition_config_selectorILNS1_17partition_subalgoE4EjNS0_10empty_typeEbEEZZNS1_14partition_implILS8_4ELb0ES6_15HIP_vector_typeIjLj2EENS0_17counting_iteratorIjlEEPS9_SG_NS0_5tupleIJPjSI_NS0_16reverse_iteratorISI_EEEEENSH_IJSG_SG_SG_EEES9_SI_JZNS1_25segmented_radix_sort_implINS0_14default_configELb1EPK12hip_bfloat16PSP_PKlPlN2at6native12_GLOBAL__N_18offset_tEEE10hipError_tPvRmT1_PNSt15iterator_traitsIS13_E10value_typeET2_T3_PNS14_IS19_E10value_typeET4_jRbjT5_S1F_jjP12ihipStream_tbEUljE_ZNSN_ISO_Lb1ESR_SS_SU_SV_SZ_EES10_S11_S12_S13_S17_S18_S19_S1C_S1D_jS1E_jS1F_S1F_jjS1H_bEUljE0_EEES10_S11_S12_S19_S1D_S1F_T6_T7_T9_mT8_S1H_bDpT10_ENKUlT_T0_E_clISt17integral_constantIbLb0EES1V_EEDaS1Q_S1R_EUlS1Q_E_NS1_11comp_targetILNS1_3genE5ELNS1_11target_archE942ELNS1_3gpuE9ELNS1_3repE0EEENS1_30default_config_static_selectorELNS0_4arch9wavefront6targetE0EEEvS13_,"axG",@progbits,_ZN7rocprim17ROCPRIM_400000_NS6detail17trampoline_kernelINS0_13select_configILj256ELj13ELNS0_17block_load_methodE3ELS4_3ELS4_3ELNS0_20block_scan_algorithmE0ELj4294967295EEENS1_25partition_config_selectorILNS1_17partition_subalgoE4EjNS0_10empty_typeEbEEZZNS1_14partition_implILS8_4ELb0ES6_15HIP_vector_typeIjLj2EENS0_17counting_iteratorIjlEEPS9_SG_NS0_5tupleIJPjSI_NS0_16reverse_iteratorISI_EEEEENSH_IJSG_SG_SG_EEES9_SI_JZNS1_25segmented_radix_sort_implINS0_14default_configELb1EPK12hip_bfloat16PSP_PKlPlN2at6native12_GLOBAL__N_18offset_tEEE10hipError_tPvRmT1_PNSt15iterator_traitsIS13_E10value_typeET2_T3_PNS14_IS19_E10value_typeET4_jRbjT5_S1F_jjP12ihipStream_tbEUljE_ZNSN_ISO_Lb1ESR_SS_SU_SV_SZ_EES10_S11_S12_S13_S17_S18_S19_S1C_S1D_jS1E_jS1F_S1F_jjS1H_bEUljE0_EEES10_S11_S12_S19_S1D_S1F_T6_T7_T9_mT8_S1H_bDpT10_ENKUlT_T0_E_clISt17integral_constantIbLb0EES1V_EEDaS1Q_S1R_EUlS1Q_E_NS1_11comp_targetILNS1_3genE5ELNS1_11target_archE942ELNS1_3gpuE9ELNS1_3repE0EEENS1_30default_config_static_selectorELNS0_4arch9wavefront6targetE0EEEvS13_,comdat
.Lfunc_end1873:
	.size	_ZN7rocprim17ROCPRIM_400000_NS6detail17trampoline_kernelINS0_13select_configILj256ELj13ELNS0_17block_load_methodE3ELS4_3ELS4_3ELNS0_20block_scan_algorithmE0ELj4294967295EEENS1_25partition_config_selectorILNS1_17partition_subalgoE4EjNS0_10empty_typeEbEEZZNS1_14partition_implILS8_4ELb0ES6_15HIP_vector_typeIjLj2EENS0_17counting_iteratorIjlEEPS9_SG_NS0_5tupleIJPjSI_NS0_16reverse_iteratorISI_EEEEENSH_IJSG_SG_SG_EEES9_SI_JZNS1_25segmented_radix_sort_implINS0_14default_configELb1EPK12hip_bfloat16PSP_PKlPlN2at6native12_GLOBAL__N_18offset_tEEE10hipError_tPvRmT1_PNSt15iterator_traitsIS13_E10value_typeET2_T3_PNS14_IS19_E10value_typeET4_jRbjT5_S1F_jjP12ihipStream_tbEUljE_ZNSN_ISO_Lb1ESR_SS_SU_SV_SZ_EES10_S11_S12_S13_S17_S18_S19_S1C_S1D_jS1E_jS1F_S1F_jjS1H_bEUljE0_EEES10_S11_S12_S19_S1D_S1F_T6_T7_T9_mT8_S1H_bDpT10_ENKUlT_T0_E_clISt17integral_constantIbLb0EES1V_EEDaS1Q_S1R_EUlS1Q_E_NS1_11comp_targetILNS1_3genE5ELNS1_11target_archE942ELNS1_3gpuE9ELNS1_3repE0EEENS1_30default_config_static_selectorELNS0_4arch9wavefront6targetE0EEEvS13_, .Lfunc_end1873-_ZN7rocprim17ROCPRIM_400000_NS6detail17trampoline_kernelINS0_13select_configILj256ELj13ELNS0_17block_load_methodE3ELS4_3ELS4_3ELNS0_20block_scan_algorithmE0ELj4294967295EEENS1_25partition_config_selectorILNS1_17partition_subalgoE4EjNS0_10empty_typeEbEEZZNS1_14partition_implILS8_4ELb0ES6_15HIP_vector_typeIjLj2EENS0_17counting_iteratorIjlEEPS9_SG_NS0_5tupleIJPjSI_NS0_16reverse_iteratorISI_EEEEENSH_IJSG_SG_SG_EEES9_SI_JZNS1_25segmented_radix_sort_implINS0_14default_configELb1EPK12hip_bfloat16PSP_PKlPlN2at6native12_GLOBAL__N_18offset_tEEE10hipError_tPvRmT1_PNSt15iterator_traitsIS13_E10value_typeET2_T3_PNS14_IS19_E10value_typeET4_jRbjT5_S1F_jjP12ihipStream_tbEUljE_ZNSN_ISO_Lb1ESR_SS_SU_SV_SZ_EES10_S11_S12_S13_S17_S18_S19_S1C_S1D_jS1E_jS1F_S1F_jjS1H_bEUljE0_EEES10_S11_S12_S19_S1D_S1F_T6_T7_T9_mT8_S1H_bDpT10_ENKUlT_T0_E_clISt17integral_constantIbLb0EES1V_EEDaS1Q_S1R_EUlS1Q_E_NS1_11comp_targetILNS1_3genE5ELNS1_11target_archE942ELNS1_3gpuE9ELNS1_3repE0EEENS1_30default_config_static_selectorELNS0_4arch9wavefront6targetE0EEEvS13_
                                        ; -- End function
	.set _ZN7rocprim17ROCPRIM_400000_NS6detail17trampoline_kernelINS0_13select_configILj256ELj13ELNS0_17block_load_methodE3ELS4_3ELS4_3ELNS0_20block_scan_algorithmE0ELj4294967295EEENS1_25partition_config_selectorILNS1_17partition_subalgoE4EjNS0_10empty_typeEbEEZZNS1_14partition_implILS8_4ELb0ES6_15HIP_vector_typeIjLj2EENS0_17counting_iteratorIjlEEPS9_SG_NS0_5tupleIJPjSI_NS0_16reverse_iteratorISI_EEEEENSH_IJSG_SG_SG_EEES9_SI_JZNS1_25segmented_radix_sort_implINS0_14default_configELb1EPK12hip_bfloat16PSP_PKlPlN2at6native12_GLOBAL__N_18offset_tEEE10hipError_tPvRmT1_PNSt15iterator_traitsIS13_E10value_typeET2_T3_PNS14_IS19_E10value_typeET4_jRbjT5_S1F_jjP12ihipStream_tbEUljE_ZNSN_ISO_Lb1ESR_SS_SU_SV_SZ_EES10_S11_S12_S13_S17_S18_S19_S1C_S1D_jS1E_jS1F_S1F_jjS1H_bEUljE0_EEES10_S11_S12_S19_S1D_S1F_T6_T7_T9_mT8_S1H_bDpT10_ENKUlT_T0_E_clISt17integral_constantIbLb0EES1V_EEDaS1Q_S1R_EUlS1Q_E_NS1_11comp_targetILNS1_3genE5ELNS1_11target_archE942ELNS1_3gpuE9ELNS1_3repE0EEENS1_30default_config_static_selectorELNS0_4arch9wavefront6targetE0EEEvS13_.num_vgpr, 0
	.set _ZN7rocprim17ROCPRIM_400000_NS6detail17trampoline_kernelINS0_13select_configILj256ELj13ELNS0_17block_load_methodE3ELS4_3ELS4_3ELNS0_20block_scan_algorithmE0ELj4294967295EEENS1_25partition_config_selectorILNS1_17partition_subalgoE4EjNS0_10empty_typeEbEEZZNS1_14partition_implILS8_4ELb0ES6_15HIP_vector_typeIjLj2EENS0_17counting_iteratorIjlEEPS9_SG_NS0_5tupleIJPjSI_NS0_16reverse_iteratorISI_EEEEENSH_IJSG_SG_SG_EEES9_SI_JZNS1_25segmented_radix_sort_implINS0_14default_configELb1EPK12hip_bfloat16PSP_PKlPlN2at6native12_GLOBAL__N_18offset_tEEE10hipError_tPvRmT1_PNSt15iterator_traitsIS13_E10value_typeET2_T3_PNS14_IS19_E10value_typeET4_jRbjT5_S1F_jjP12ihipStream_tbEUljE_ZNSN_ISO_Lb1ESR_SS_SU_SV_SZ_EES10_S11_S12_S13_S17_S18_S19_S1C_S1D_jS1E_jS1F_S1F_jjS1H_bEUljE0_EEES10_S11_S12_S19_S1D_S1F_T6_T7_T9_mT8_S1H_bDpT10_ENKUlT_T0_E_clISt17integral_constantIbLb0EES1V_EEDaS1Q_S1R_EUlS1Q_E_NS1_11comp_targetILNS1_3genE5ELNS1_11target_archE942ELNS1_3gpuE9ELNS1_3repE0EEENS1_30default_config_static_selectorELNS0_4arch9wavefront6targetE0EEEvS13_.num_agpr, 0
	.set _ZN7rocprim17ROCPRIM_400000_NS6detail17trampoline_kernelINS0_13select_configILj256ELj13ELNS0_17block_load_methodE3ELS4_3ELS4_3ELNS0_20block_scan_algorithmE0ELj4294967295EEENS1_25partition_config_selectorILNS1_17partition_subalgoE4EjNS0_10empty_typeEbEEZZNS1_14partition_implILS8_4ELb0ES6_15HIP_vector_typeIjLj2EENS0_17counting_iteratorIjlEEPS9_SG_NS0_5tupleIJPjSI_NS0_16reverse_iteratorISI_EEEEENSH_IJSG_SG_SG_EEES9_SI_JZNS1_25segmented_radix_sort_implINS0_14default_configELb1EPK12hip_bfloat16PSP_PKlPlN2at6native12_GLOBAL__N_18offset_tEEE10hipError_tPvRmT1_PNSt15iterator_traitsIS13_E10value_typeET2_T3_PNS14_IS19_E10value_typeET4_jRbjT5_S1F_jjP12ihipStream_tbEUljE_ZNSN_ISO_Lb1ESR_SS_SU_SV_SZ_EES10_S11_S12_S13_S17_S18_S19_S1C_S1D_jS1E_jS1F_S1F_jjS1H_bEUljE0_EEES10_S11_S12_S19_S1D_S1F_T6_T7_T9_mT8_S1H_bDpT10_ENKUlT_T0_E_clISt17integral_constantIbLb0EES1V_EEDaS1Q_S1R_EUlS1Q_E_NS1_11comp_targetILNS1_3genE5ELNS1_11target_archE942ELNS1_3gpuE9ELNS1_3repE0EEENS1_30default_config_static_selectorELNS0_4arch9wavefront6targetE0EEEvS13_.numbered_sgpr, 0
	.set _ZN7rocprim17ROCPRIM_400000_NS6detail17trampoline_kernelINS0_13select_configILj256ELj13ELNS0_17block_load_methodE3ELS4_3ELS4_3ELNS0_20block_scan_algorithmE0ELj4294967295EEENS1_25partition_config_selectorILNS1_17partition_subalgoE4EjNS0_10empty_typeEbEEZZNS1_14partition_implILS8_4ELb0ES6_15HIP_vector_typeIjLj2EENS0_17counting_iteratorIjlEEPS9_SG_NS0_5tupleIJPjSI_NS0_16reverse_iteratorISI_EEEEENSH_IJSG_SG_SG_EEES9_SI_JZNS1_25segmented_radix_sort_implINS0_14default_configELb1EPK12hip_bfloat16PSP_PKlPlN2at6native12_GLOBAL__N_18offset_tEEE10hipError_tPvRmT1_PNSt15iterator_traitsIS13_E10value_typeET2_T3_PNS14_IS19_E10value_typeET4_jRbjT5_S1F_jjP12ihipStream_tbEUljE_ZNSN_ISO_Lb1ESR_SS_SU_SV_SZ_EES10_S11_S12_S13_S17_S18_S19_S1C_S1D_jS1E_jS1F_S1F_jjS1H_bEUljE0_EEES10_S11_S12_S19_S1D_S1F_T6_T7_T9_mT8_S1H_bDpT10_ENKUlT_T0_E_clISt17integral_constantIbLb0EES1V_EEDaS1Q_S1R_EUlS1Q_E_NS1_11comp_targetILNS1_3genE5ELNS1_11target_archE942ELNS1_3gpuE9ELNS1_3repE0EEENS1_30default_config_static_selectorELNS0_4arch9wavefront6targetE0EEEvS13_.num_named_barrier, 0
	.set _ZN7rocprim17ROCPRIM_400000_NS6detail17trampoline_kernelINS0_13select_configILj256ELj13ELNS0_17block_load_methodE3ELS4_3ELS4_3ELNS0_20block_scan_algorithmE0ELj4294967295EEENS1_25partition_config_selectorILNS1_17partition_subalgoE4EjNS0_10empty_typeEbEEZZNS1_14partition_implILS8_4ELb0ES6_15HIP_vector_typeIjLj2EENS0_17counting_iteratorIjlEEPS9_SG_NS0_5tupleIJPjSI_NS0_16reverse_iteratorISI_EEEEENSH_IJSG_SG_SG_EEES9_SI_JZNS1_25segmented_radix_sort_implINS0_14default_configELb1EPK12hip_bfloat16PSP_PKlPlN2at6native12_GLOBAL__N_18offset_tEEE10hipError_tPvRmT1_PNSt15iterator_traitsIS13_E10value_typeET2_T3_PNS14_IS19_E10value_typeET4_jRbjT5_S1F_jjP12ihipStream_tbEUljE_ZNSN_ISO_Lb1ESR_SS_SU_SV_SZ_EES10_S11_S12_S13_S17_S18_S19_S1C_S1D_jS1E_jS1F_S1F_jjS1H_bEUljE0_EEES10_S11_S12_S19_S1D_S1F_T6_T7_T9_mT8_S1H_bDpT10_ENKUlT_T0_E_clISt17integral_constantIbLb0EES1V_EEDaS1Q_S1R_EUlS1Q_E_NS1_11comp_targetILNS1_3genE5ELNS1_11target_archE942ELNS1_3gpuE9ELNS1_3repE0EEENS1_30default_config_static_selectorELNS0_4arch9wavefront6targetE0EEEvS13_.private_seg_size, 0
	.set _ZN7rocprim17ROCPRIM_400000_NS6detail17trampoline_kernelINS0_13select_configILj256ELj13ELNS0_17block_load_methodE3ELS4_3ELS4_3ELNS0_20block_scan_algorithmE0ELj4294967295EEENS1_25partition_config_selectorILNS1_17partition_subalgoE4EjNS0_10empty_typeEbEEZZNS1_14partition_implILS8_4ELb0ES6_15HIP_vector_typeIjLj2EENS0_17counting_iteratorIjlEEPS9_SG_NS0_5tupleIJPjSI_NS0_16reverse_iteratorISI_EEEEENSH_IJSG_SG_SG_EEES9_SI_JZNS1_25segmented_radix_sort_implINS0_14default_configELb1EPK12hip_bfloat16PSP_PKlPlN2at6native12_GLOBAL__N_18offset_tEEE10hipError_tPvRmT1_PNSt15iterator_traitsIS13_E10value_typeET2_T3_PNS14_IS19_E10value_typeET4_jRbjT5_S1F_jjP12ihipStream_tbEUljE_ZNSN_ISO_Lb1ESR_SS_SU_SV_SZ_EES10_S11_S12_S13_S17_S18_S19_S1C_S1D_jS1E_jS1F_S1F_jjS1H_bEUljE0_EEES10_S11_S12_S19_S1D_S1F_T6_T7_T9_mT8_S1H_bDpT10_ENKUlT_T0_E_clISt17integral_constantIbLb0EES1V_EEDaS1Q_S1R_EUlS1Q_E_NS1_11comp_targetILNS1_3genE5ELNS1_11target_archE942ELNS1_3gpuE9ELNS1_3repE0EEENS1_30default_config_static_selectorELNS0_4arch9wavefront6targetE0EEEvS13_.uses_vcc, 0
	.set _ZN7rocprim17ROCPRIM_400000_NS6detail17trampoline_kernelINS0_13select_configILj256ELj13ELNS0_17block_load_methodE3ELS4_3ELS4_3ELNS0_20block_scan_algorithmE0ELj4294967295EEENS1_25partition_config_selectorILNS1_17partition_subalgoE4EjNS0_10empty_typeEbEEZZNS1_14partition_implILS8_4ELb0ES6_15HIP_vector_typeIjLj2EENS0_17counting_iteratorIjlEEPS9_SG_NS0_5tupleIJPjSI_NS0_16reverse_iteratorISI_EEEEENSH_IJSG_SG_SG_EEES9_SI_JZNS1_25segmented_radix_sort_implINS0_14default_configELb1EPK12hip_bfloat16PSP_PKlPlN2at6native12_GLOBAL__N_18offset_tEEE10hipError_tPvRmT1_PNSt15iterator_traitsIS13_E10value_typeET2_T3_PNS14_IS19_E10value_typeET4_jRbjT5_S1F_jjP12ihipStream_tbEUljE_ZNSN_ISO_Lb1ESR_SS_SU_SV_SZ_EES10_S11_S12_S13_S17_S18_S19_S1C_S1D_jS1E_jS1F_S1F_jjS1H_bEUljE0_EEES10_S11_S12_S19_S1D_S1F_T6_T7_T9_mT8_S1H_bDpT10_ENKUlT_T0_E_clISt17integral_constantIbLb0EES1V_EEDaS1Q_S1R_EUlS1Q_E_NS1_11comp_targetILNS1_3genE5ELNS1_11target_archE942ELNS1_3gpuE9ELNS1_3repE0EEENS1_30default_config_static_selectorELNS0_4arch9wavefront6targetE0EEEvS13_.uses_flat_scratch, 0
	.set _ZN7rocprim17ROCPRIM_400000_NS6detail17trampoline_kernelINS0_13select_configILj256ELj13ELNS0_17block_load_methodE3ELS4_3ELS4_3ELNS0_20block_scan_algorithmE0ELj4294967295EEENS1_25partition_config_selectorILNS1_17partition_subalgoE4EjNS0_10empty_typeEbEEZZNS1_14partition_implILS8_4ELb0ES6_15HIP_vector_typeIjLj2EENS0_17counting_iteratorIjlEEPS9_SG_NS0_5tupleIJPjSI_NS0_16reverse_iteratorISI_EEEEENSH_IJSG_SG_SG_EEES9_SI_JZNS1_25segmented_radix_sort_implINS0_14default_configELb1EPK12hip_bfloat16PSP_PKlPlN2at6native12_GLOBAL__N_18offset_tEEE10hipError_tPvRmT1_PNSt15iterator_traitsIS13_E10value_typeET2_T3_PNS14_IS19_E10value_typeET4_jRbjT5_S1F_jjP12ihipStream_tbEUljE_ZNSN_ISO_Lb1ESR_SS_SU_SV_SZ_EES10_S11_S12_S13_S17_S18_S19_S1C_S1D_jS1E_jS1F_S1F_jjS1H_bEUljE0_EEES10_S11_S12_S19_S1D_S1F_T6_T7_T9_mT8_S1H_bDpT10_ENKUlT_T0_E_clISt17integral_constantIbLb0EES1V_EEDaS1Q_S1R_EUlS1Q_E_NS1_11comp_targetILNS1_3genE5ELNS1_11target_archE942ELNS1_3gpuE9ELNS1_3repE0EEENS1_30default_config_static_selectorELNS0_4arch9wavefront6targetE0EEEvS13_.has_dyn_sized_stack, 0
	.set _ZN7rocprim17ROCPRIM_400000_NS6detail17trampoline_kernelINS0_13select_configILj256ELj13ELNS0_17block_load_methodE3ELS4_3ELS4_3ELNS0_20block_scan_algorithmE0ELj4294967295EEENS1_25partition_config_selectorILNS1_17partition_subalgoE4EjNS0_10empty_typeEbEEZZNS1_14partition_implILS8_4ELb0ES6_15HIP_vector_typeIjLj2EENS0_17counting_iteratorIjlEEPS9_SG_NS0_5tupleIJPjSI_NS0_16reverse_iteratorISI_EEEEENSH_IJSG_SG_SG_EEES9_SI_JZNS1_25segmented_radix_sort_implINS0_14default_configELb1EPK12hip_bfloat16PSP_PKlPlN2at6native12_GLOBAL__N_18offset_tEEE10hipError_tPvRmT1_PNSt15iterator_traitsIS13_E10value_typeET2_T3_PNS14_IS19_E10value_typeET4_jRbjT5_S1F_jjP12ihipStream_tbEUljE_ZNSN_ISO_Lb1ESR_SS_SU_SV_SZ_EES10_S11_S12_S13_S17_S18_S19_S1C_S1D_jS1E_jS1F_S1F_jjS1H_bEUljE0_EEES10_S11_S12_S19_S1D_S1F_T6_T7_T9_mT8_S1H_bDpT10_ENKUlT_T0_E_clISt17integral_constantIbLb0EES1V_EEDaS1Q_S1R_EUlS1Q_E_NS1_11comp_targetILNS1_3genE5ELNS1_11target_archE942ELNS1_3gpuE9ELNS1_3repE0EEENS1_30default_config_static_selectorELNS0_4arch9wavefront6targetE0EEEvS13_.has_recursion, 0
	.set _ZN7rocprim17ROCPRIM_400000_NS6detail17trampoline_kernelINS0_13select_configILj256ELj13ELNS0_17block_load_methodE3ELS4_3ELS4_3ELNS0_20block_scan_algorithmE0ELj4294967295EEENS1_25partition_config_selectorILNS1_17partition_subalgoE4EjNS0_10empty_typeEbEEZZNS1_14partition_implILS8_4ELb0ES6_15HIP_vector_typeIjLj2EENS0_17counting_iteratorIjlEEPS9_SG_NS0_5tupleIJPjSI_NS0_16reverse_iteratorISI_EEEEENSH_IJSG_SG_SG_EEES9_SI_JZNS1_25segmented_radix_sort_implINS0_14default_configELb1EPK12hip_bfloat16PSP_PKlPlN2at6native12_GLOBAL__N_18offset_tEEE10hipError_tPvRmT1_PNSt15iterator_traitsIS13_E10value_typeET2_T3_PNS14_IS19_E10value_typeET4_jRbjT5_S1F_jjP12ihipStream_tbEUljE_ZNSN_ISO_Lb1ESR_SS_SU_SV_SZ_EES10_S11_S12_S13_S17_S18_S19_S1C_S1D_jS1E_jS1F_S1F_jjS1H_bEUljE0_EEES10_S11_S12_S19_S1D_S1F_T6_T7_T9_mT8_S1H_bDpT10_ENKUlT_T0_E_clISt17integral_constantIbLb0EES1V_EEDaS1Q_S1R_EUlS1Q_E_NS1_11comp_targetILNS1_3genE5ELNS1_11target_archE942ELNS1_3gpuE9ELNS1_3repE0EEENS1_30default_config_static_selectorELNS0_4arch9wavefront6targetE0EEEvS13_.has_indirect_call, 0
	.section	.AMDGPU.csdata,"",@progbits
; Kernel info:
; codeLenInByte = 0
; TotalNumSgprs: 0
; NumVgprs: 0
; ScratchSize: 0
; MemoryBound: 0
; FloatMode: 240
; IeeeMode: 1
; LDSByteSize: 0 bytes/workgroup (compile time only)
; SGPRBlocks: 0
; VGPRBlocks: 0
; NumSGPRsForWavesPerEU: 1
; NumVGPRsForWavesPerEU: 1
; Occupancy: 16
; WaveLimiterHint : 0
; COMPUTE_PGM_RSRC2:SCRATCH_EN: 0
; COMPUTE_PGM_RSRC2:USER_SGPR: 6
; COMPUTE_PGM_RSRC2:TRAP_HANDLER: 0
; COMPUTE_PGM_RSRC2:TGID_X_EN: 1
; COMPUTE_PGM_RSRC2:TGID_Y_EN: 0
; COMPUTE_PGM_RSRC2:TGID_Z_EN: 0
; COMPUTE_PGM_RSRC2:TIDIG_COMP_CNT: 0
	.section	.text._ZN7rocprim17ROCPRIM_400000_NS6detail17trampoline_kernelINS0_13select_configILj256ELj13ELNS0_17block_load_methodE3ELS4_3ELS4_3ELNS0_20block_scan_algorithmE0ELj4294967295EEENS1_25partition_config_selectorILNS1_17partition_subalgoE4EjNS0_10empty_typeEbEEZZNS1_14partition_implILS8_4ELb0ES6_15HIP_vector_typeIjLj2EENS0_17counting_iteratorIjlEEPS9_SG_NS0_5tupleIJPjSI_NS0_16reverse_iteratorISI_EEEEENSH_IJSG_SG_SG_EEES9_SI_JZNS1_25segmented_radix_sort_implINS0_14default_configELb1EPK12hip_bfloat16PSP_PKlPlN2at6native12_GLOBAL__N_18offset_tEEE10hipError_tPvRmT1_PNSt15iterator_traitsIS13_E10value_typeET2_T3_PNS14_IS19_E10value_typeET4_jRbjT5_S1F_jjP12ihipStream_tbEUljE_ZNSN_ISO_Lb1ESR_SS_SU_SV_SZ_EES10_S11_S12_S13_S17_S18_S19_S1C_S1D_jS1E_jS1F_S1F_jjS1H_bEUljE0_EEES10_S11_S12_S19_S1D_S1F_T6_T7_T9_mT8_S1H_bDpT10_ENKUlT_T0_E_clISt17integral_constantIbLb0EES1V_EEDaS1Q_S1R_EUlS1Q_E_NS1_11comp_targetILNS1_3genE4ELNS1_11target_archE910ELNS1_3gpuE8ELNS1_3repE0EEENS1_30default_config_static_selectorELNS0_4arch9wavefront6targetE0EEEvS13_,"axG",@progbits,_ZN7rocprim17ROCPRIM_400000_NS6detail17trampoline_kernelINS0_13select_configILj256ELj13ELNS0_17block_load_methodE3ELS4_3ELS4_3ELNS0_20block_scan_algorithmE0ELj4294967295EEENS1_25partition_config_selectorILNS1_17partition_subalgoE4EjNS0_10empty_typeEbEEZZNS1_14partition_implILS8_4ELb0ES6_15HIP_vector_typeIjLj2EENS0_17counting_iteratorIjlEEPS9_SG_NS0_5tupleIJPjSI_NS0_16reverse_iteratorISI_EEEEENSH_IJSG_SG_SG_EEES9_SI_JZNS1_25segmented_radix_sort_implINS0_14default_configELb1EPK12hip_bfloat16PSP_PKlPlN2at6native12_GLOBAL__N_18offset_tEEE10hipError_tPvRmT1_PNSt15iterator_traitsIS13_E10value_typeET2_T3_PNS14_IS19_E10value_typeET4_jRbjT5_S1F_jjP12ihipStream_tbEUljE_ZNSN_ISO_Lb1ESR_SS_SU_SV_SZ_EES10_S11_S12_S13_S17_S18_S19_S1C_S1D_jS1E_jS1F_S1F_jjS1H_bEUljE0_EEES10_S11_S12_S19_S1D_S1F_T6_T7_T9_mT8_S1H_bDpT10_ENKUlT_T0_E_clISt17integral_constantIbLb0EES1V_EEDaS1Q_S1R_EUlS1Q_E_NS1_11comp_targetILNS1_3genE4ELNS1_11target_archE910ELNS1_3gpuE8ELNS1_3repE0EEENS1_30default_config_static_selectorELNS0_4arch9wavefront6targetE0EEEvS13_,comdat
	.globl	_ZN7rocprim17ROCPRIM_400000_NS6detail17trampoline_kernelINS0_13select_configILj256ELj13ELNS0_17block_load_methodE3ELS4_3ELS4_3ELNS0_20block_scan_algorithmE0ELj4294967295EEENS1_25partition_config_selectorILNS1_17partition_subalgoE4EjNS0_10empty_typeEbEEZZNS1_14partition_implILS8_4ELb0ES6_15HIP_vector_typeIjLj2EENS0_17counting_iteratorIjlEEPS9_SG_NS0_5tupleIJPjSI_NS0_16reverse_iteratorISI_EEEEENSH_IJSG_SG_SG_EEES9_SI_JZNS1_25segmented_radix_sort_implINS0_14default_configELb1EPK12hip_bfloat16PSP_PKlPlN2at6native12_GLOBAL__N_18offset_tEEE10hipError_tPvRmT1_PNSt15iterator_traitsIS13_E10value_typeET2_T3_PNS14_IS19_E10value_typeET4_jRbjT5_S1F_jjP12ihipStream_tbEUljE_ZNSN_ISO_Lb1ESR_SS_SU_SV_SZ_EES10_S11_S12_S13_S17_S18_S19_S1C_S1D_jS1E_jS1F_S1F_jjS1H_bEUljE0_EEES10_S11_S12_S19_S1D_S1F_T6_T7_T9_mT8_S1H_bDpT10_ENKUlT_T0_E_clISt17integral_constantIbLb0EES1V_EEDaS1Q_S1R_EUlS1Q_E_NS1_11comp_targetILNS1_3genE4ELNS1_11target_archE910ELNS1_3gpuE8ELNS1_3repE0EEENS1_30default_config_static_selectorELNS0_4arch9wavefront6targetE0EEEvS13_ ; -- Begin function _ZN7rocprim17ROCPRIM_400000_NS6detail17trampoline_kernelINS0_13select_configILj256ELj13ELNS0_17block_load_methodE3ELS4_3ELS4_3ELNS0_20block_scan_algorithmE0ELj4294967295EEENS1_25partition_config_selectorILNS1_17partition_subalgoE4EjNS0_10empty_typeEbEEZZNS1_14partition_implILS8_4ELb0ES6_15HIP_vector_typeIjLj2EENS0_17counting_iteratorIjlEEPS9_SG_NS0_5tupleIJPjSI_NS0_16reverse_iteratorISI_EEEEENSH_IJSG_SG_SG_EEES9_SI_JZNS1_25segmented_radix_sort_implINS0_14default_configELb1EPK12hip_bfloat16PSP_PKlPlN2at6native12_GLOBAL__N_18offset_tEEE10hipError_tPvRmT1_PNSt15iterator_traitsIS13_E10value_typeET2_T3_PNS14_IS19_E10value_typeET4_jRbjT5_S1F_jjP12ihipStream_tbEUljE_ZNSN_ISO_Lb1ESR_SS_SU_SV_SZ_EES10_S11_S12_S13_S17_S18_S19_S1C_S1D_jS1E_jS1F_S1F_jjS1H_bEUljE0_EEES10_S11_S12_S19_S1D_S1F_T6_T7_T9_mT8_S1H_bDpT10_ENKUlT_T0_E_clISt17integral_constantIbLb0EES1V_EEDaS1Q_S1R_EUlS1Q_E_NS1_11comp_targetILNS1_3genE4ELNS1_11target_archE910ELNS1_3gpuE8ELNS1_3repE0EEENS1_30default_config_static_selectorELNS0_4arch9wavefront6targetE0EEEvS13_
	.p2align	8
	.type	_ZN7rocprim17ROCPRIM_400000_NS6detail17trampoline_kernelINS0_13select_configILj256ELj13ELNS0_17block_load_methodE3ELS4_3ELS4_3ELNS0_20block_scan_algorithmE0ELj4294967295EEENS1_25partition_config_selectorILNS1_17partition_subalgoE4EjNS0_10empty_typeEbEEZZNS1_14partition_implILS8_4ELb0ES6_15HIP_vector_typeIjLj2EENS0_17counting_iteratorIjlEEPS9_SG_NS0_5tupleIJPjSI_NS0_16reverse_iteratorISI_EEEEENSH_IJSG_SG_SG_EEES9_SI_JZNS1_25segmented_radix_sort_implINS0_14default_configELb1EPK12hip_bfloat16PSP_PKlPlN2at6native12_GLOBAL__N_18offset_tEEE10hipError_tPvRmT1_PNSt15iterator_traitsIS13_E10value_typeET2_T3_PNS14_IS19_E10value_typeET4_jRbjT5_S1F_jjP12ihipStream_tbEUljE_ZNSN_ISO_Lb1ESR_SS_SU_SV_SZ_EES10_S11_S12_S13_S17_S18_S19_S1C_S1D_jS1E_jS1F_S1F_jjS1H_bEUljE0_EEES10_S11_S12_S19_S1D_S1F_T6_T7_T9_mT8_S1H_bDpT10_ENKUlT_T0_E_clISt17integral_constantIbLb0EES1V_EEDaS1Q_S1R_EUlS1Q_E_NS1_11comp_targetILNS1_3genE4ELNS1_11target_archE910ELNS1_3gpuE8ELNS1_3repE0EEENS1_30default_config_static_selectorELNS0_4arch9wavefront6targetE0EEEvS13_,@function
_ZN7rocprim17ROCPRIM_400000_NS6detail17trampoline_kernelINS0_13select_configILj256ELj13ELNS0_17block_load_methodE3ELS4_3ELS4_3ELNS0_20block_scan_algorithmE0ELj4294967295EEENS1_25partition_config_selectorILNS1_17partition_subalgoE4EjNS0_10empty_typeEbEEZZNS1_14partition_implILS8_4ELb0ES6_15HIP_vector_typeIjLj2EENS0_17counting_iteratorIjlEEPS9_SG_NS0_5tupleIJPjSI_NS0_16reverse_iteratorISI_EEEEENSH_IJSG_SG_SG_EEES9_SI_JZNS1_25segmented_radix_sort_implINS0_14default_configELb1EPK12hip_bfloat16PSP_PKlPlN2at6native12_GLOBAL__N_18offset_tEEE10hipError_tPvRmT1_PNSt15iterator_traitsIS13_E10value_typeET2_T3_PNS14_IS19_E10value_typeET4_jRbjT5_S1F_jjP12ihipStream_tbEUljE_ZNSN_ISO_Lb1ESR_SS_SU_SV_SZ_EES10_S11_S12_S13_S17_S18_S19_S1C_S1D_jS1E_jS1F_S1F_jjS1H_bEUljE0_EEES10_S11_S12_S19_S1D_S1F_T6_T7_T9_mT8_S1H_bDpT10_ENKUlT_T0_E_clISt17integral_constantIbLb0EES1V_EEDaS1Q_S1R_EUlS1Q_E_NS1_11comp_targetILNS1_3genE4ELNS1_11target_archE910ELNS1_3gpuE8ELNS1_3repE0EEENS1_30default_config_static_selectorELNS0_4arch9wavefront6targetE0EEEvS13_: ; @_ZN7rocprim17ROCPRIM_400000_NS6detail17trampoline_kernelINS0_13select_configILj256ELj13ELNS0_17block_load_methodE3ELS4_3ELS4_3ELNS0_20block_scan_algorithmE0ELj4294967295EEENS1_25partition_config_selectorILNS1_17partition_subalgoE4EjNS0_10empty_typeEbEEZZNS1_14partition_implILS8_4ELb0ES6_15HIP_vector_typeIjLj2EENS0_17counting_iteratorIjlEEPS9_SG_NS0_5tupleIJPjSI_NS0_16reverse_iteratorISI_EEEEENSH_IJSG_SG_SG_EEES9_SI_JZNS1_25segmented_radix_sort_implINS0_14default_configELb1EPK12hip_bfloat16PSP_PKlPlN2at6native12_GLOBAL__N_18offset_tEEE10hipError_tPvRmT1_PNSt15iterator_traitsIS13_E10value_typeET2_T3_PNS14_IS19_E10value_typeET4_jRbjT5_S1F_jjP12ihipStream_tbEUljE_ZNSN_ISO_Lb1ESR_SS_SU_SV_SZ_EES10_S11_S12_S13_S17_S18_S19_S1C_S1D_jS1E_jS1F_S1F_jjS1H_bEUljE0_EEES10_S11_S12_S19_S1D_S1F_T6_T7_T9_mT8_S1H_bDpT10_ENKUlT_T0_E_clISt17integral_constantIbLb0EES1V_EEDaS1Q_S1R_EUlS1Q_E_NS1_11comp_targetILNS1_3genE4ELNS1_11target_archE910ELNS1_3gpuE8ELNS1_3repE0EEENS1_30default_config_static_selectorELNS0_4arch9wavefront6targetE0EEEvS13_
; %bb.0:
	.section	.rodata,"a",@progbits
	.p2align	6, 0x0
	.amdhsa_kernel _ZN7rocprim17ROCPRIM_400000_NS6detail17trampoline_kernelINS0_13select_configILj256ELj13ELNS0_17block_load_methodE3ELS4_3ELS4_3ELNS0_20block_scan_algorithmE0ELj4294967295EEENS1_25partition_config_selectorILNS1_17partition_subalgoE4EjNS0_10empty_typeEbEEZZNS1_14partition_implILS8_4ELb0ES6_15HIP_vector_typeIjLj2EENS0_17counting_iteratorIjlEEPS9_SG_NS0_5tupleIJPjSI_NS0_16reverse_iteratorISI_EEEEENSH_IJSG_SG_SG_EEES9_SI_JZNS1_25segmented_radix_sort_implINS0_14default_configELb1EPK12hip_bfloat16PSP_PKlPlN2at6native12_GLOBAL__N_18offset_tEEE10hipError_tPvRmT1_PNSt15iterator_traitsIS13_E10value_typeET2_T3_PNS14_IS19_E10value_typeET4_jRbjT5_S1F_jjP12ihipStream_tbEUljE_ZNSN_ISO_Lb1ESR_SS_SU_SV_SZ_EES10_S11_S12_S13_S17_S18_S19_S1C_S1D_jS1E_jS1F_S1F_jjS1H_bEUljE0_EEES10_S11_S12_S19_S1D_S1F_T6_T7_T9_mT8_S1H_bDpT10_ENKUlT_T0_E_clISt17integral_constantIbLb0EES1V_EEDaS1Q_S1R_EUlS1Q_E_NS1_11comp_targetILNS1_3genE4ELNS1_11target_archE910ELNS1_3gpuE8ELNS1_3repE0EEENS1_30default_config_static_selectorELNS0_4arch9wavefront6targetE0EEEvS13_
		.amdhsa_group_segment_fixed_size 0
		.amdhsa_private_segment_fixed_size 0
		.amdhsa_kernarg_size 176
		.amdhsa_user_sgpr_count 6
		.amdhsa_user_sgpr_private_segment_buffer 1
		.amdhsa_user_sgpr_dispatch_ptr 0
		.amdhsa_user_sgpr_queue_ptr 0
		.amdhsa_user_sgpr_kernarg_segment_ptr 1
		.amdhsa_user_sgpr_dispatch_id 0
		.amdhsa_user_sgpr_flat_scratch_init 0
		.amdhsa_user_sgpr_private_segment_size 0
		.amdhsa_wavefront_size32 1
		.amdhsa_uses_dynamic_stack 0
		.amdhsa_system_sgpr_private_segment_wavefront_offset 0
		.amdhsa_system_sgpr_workgroup_id_x 1
		.amdhsa_system_sgpr_workgroup_id_y 0
		.amdhsa_system_sgpr_workgroup_id_z 0
		.amdhsa_system_sgpr_workgroup_info 0
		.amdhsa_system_vgpr_workitem_id 0
		.amdhsa_next_free_vgpr 1
		.amdhsa_next_free_sgpr 1
		.amdhsa_reserve_vcc 0
		.amdhsa_reserve_flat_scratch 0
		.amdhsa_float_round_mode_32 0
		.amdhsa_float_round_mode_16_64 0
		.amdhsa_float_denorm_mode_32 3
		.amdhsa_float_denorm_mode_16_64 3
		.amdhsa_dx10_clamp 1
		.amdhsa_ieee_mode 1
		.amdhsa_fp16_overflow 0
		.amdhsa_workgroup_processor_mode 1
		.amdhsa_memory_ordered 1
		.amdhsa_forward_progress 1
		.amdhsa_shared_vgpr_count 0
		.amdhsa_exception_fp_ieee_invalid_op 0
		.amdhsa_exception_fp_denorm_src 0
		.amdhsa_exception_fp_ieee_div_zero 0
		.amdhsa_exception_fp_ieee_overflow 0
		.amdhsa_exception_fp_ieee_underflow 0
		.amdhsa_exception_fp_ieee_inexact 0
		.amdhsa_exception_int_div_zero 0
	.end_amdhsa_kernel
	.section	.text._ZN7rocprim17ROCPRIM_400000_NS6detail17trampoline_kernelINS0_13select_configILj256ELj13ELNS0_17block_load_methodE3ELS4_3ELS4_3ELNS0_20block_scan_algorithmE0ELj4294967295EEENS1_25partition_config_selectorILNS1_17partition_subalgoE4EjNS0_10empty_typeEbEEZZNS1_14partition_implILS8_4ELb0ES6_15HIP_vector_typeIjLj2EENS0_17counting_iteratorIjlEEPS9_SG_NS0_5tupleIJPjSI_NS0_16reverse_iteratorISI_EEEEENSH_IJSG_SG_SG_EEES9_SI_JZNS1_25segmented_radix_sort_implINS0_14default_configELb1EPK12hip_bfloat16PSP_PKlPlN2at6native12_GLOBAL__N_18offset_tEEE10hipError_tPvRmT1_PNSt15iterator_traitsIS13_E10value_typeET2_T3_PNS14_IS19_E10value_typeET4_jRbjT5_S1F_jjP12ihipStream_tbEUljE_ZNSN_ISO_Lb1ESR_SS_SU_SV_SZ_EES10_S11_S12_S13_S17_S18_S19_S1C_S1D_jS1E_jS1F_S1F_jjS1H_bEUljE0_EEES10_S11_S12_S19_S1D_S1F_T6_T7_T9_mT8_S1H_bDpT10_ENKUlT_T0_E_clISt17integral_constantIbLb0EES1V_EEDaS1Q_S1R_EUlS1Q_E_NS1_11comp_targetILNS1_3genE4ELNS1_11target_archE910ELNS1_3gpuE8ELNS1_3repE0EEENS1_30default_config_static_selectorELNS0_4arch9wavefront6targetE0EEEvS13_,"axG",@progbits,_ZN7rocprim17ROCPRIM_400000_NS6detail17trampoline_kernelINS0_13select_configILj256ELj13ELNS0_17block_load_methodE3ELS4_3ELS4_3ELNS0_20block_scan_algorithmE0ELj4294967295EEENS1_25partition_config_selectorILNS1_17partition_subalgoE4EjNS0_10empty_typeEbEEZZNS1_14partition_implILS8_4ELb0ES6_15HIP_vector_typeIjLj2EENS0_17counting_iteratorIjlEEPS9_SG_NS0_5tupleIJPjSI_NS0_16reverse_iteratorISI_EEEEENSH_IJSG_SG_SG_EEES9_SI_JZNS1_25segmented_radix_sort_implINS0_14default_configELb1EPK12hip_bfloat16PSP_PKlPlN2at6native12_GLOBAL__N_18offset_tEEE10hipError_tPvRmT1_PNSt15iterator_traitsIS13_E10value_typeET2_T3_PNS14_IS19_E10value_typeET4_jRbjT5_S1F_jjP12ihipStream_tbEUljE_ZNSN_ISO_Lb1ESR_SS_SU_SV_SZ_EES10_S11_S12_S13_S17_S18_S19_S1C_S1D_jS1E_jS1F_S1F_jjS1H_bEUljE0_EEES10_S11_S12_S19_S1D_S1F_T6_T7_T9_mT8_S1H_bDpT10_ENKUlT_T0_E_clISt17integral_constantIbLb0EES1V_EEDaS1Q_S1R_EUlS1Q_E_NS1_11comp_targetILNS1_3genE4ELNS1_11target_archE910ELNS1_3gpuE8ELNS1_3repE0EEENS1_30default_config_static_selectorELNS0_4arch9wavefront6targetE0EEEvS13_,comdat
.Lfunc_end1874:
	.size	_ZN7rocprim17ROCPRIM_400000_NS6detail17trampoline_kernelINS0_13select_configILj256ELj13ELNS0_17block_load_methodE3ELS4_3ELS4_3ELNS0_20block_scan_algorithmE0ELj4294967295EEENS1_25partition_config_selectorILNS1_17partition_subalgoE4EjNS0_10empty_typeEbEEZZNS1_14partition_implILS8_4ELb0ES6_15HIP_vector_typeIjLj2EENS0_17counting_iteratorIjlEEPS9_SG_NS0_5tupleIJPjSI_NS0_16reverse_iteratorISI_EEEEENSH_IJSG_SG_SG_EEES9_SI_JZNS1_25segmented_radix_sort_implINS0_14default_configELb1EPK12hip_bfloat16PSP_PKlPlN2at6native12_GLOBAL__N_18offset_tEEE10hipError_tPvRmT1_PNSt15iterator_traitsIS13_E10value_typeET2_T3_PNS14_IS19_E10value_typeET4_jRbjT5_S1F_jjP12ihipStream_tbEUljE_ZNSN_ISO_Lb1ESR_SS_SU_SV_SZ_EES10_S11_S12_S13_S17_S18_S19_S1C_S1D_jS1E_jS1F_S1F_jjS1H_bEUljE0_EEES10_S11_S12_S19_S1D_S1F_T6_T7_T9_mT8_S1H_bDpT10_ENKUlT_T0_E_clISt17integral_constantIbLb0EES1V_EEDaS1Q_S1R_EUlS1Q_E_NS1_11comp_targetILNS1_3genE4ELNS1_11target_archE910ELNS1_3gpuE8ELNS1_3repE0EEENS1_30default_config_static_selectorELNS0_4arch9wavefront6targetE0EEEvS13_, .Lfunc_end1874-_ZN7rocprim17ROCPRIM_400000_NS6detail17trampoline_kernelINS0_13select_configILj256ELj13ELNS0_17block_load_methodE3ELS4_3ELS4_3ELNS0_20block_scan_algorithmE0ELj4294967295EEENS1_25partition_config_selectorILNS1_17partition_subalgoE4EjNS0_10empty_typeEbEEZZNS1_14partition_implILS8_4ELb0ES6_15HIP_vector_typeIjLj2EENS0_17counting_iteratorIjlEEPS9_SG_NS0_5tupleIJPjSI_NS0_16reverse_iteratorISI_EEEEENSH_IJSG_SG_SG_EEES9_SI_JZNS1_25segmented_radix_sort_implINS0_14default_configELb1EPK12hip_bfloat16PSP_PKlPlN2at6native12_GLOBAL__N_18offset_tEEE10hipError_tPvRmT1_PNSt15iterator_traitsIS13_E10value_typeET2_T3_PNS14_IS19_E10value_typeET4_jRbjT5_S1F_jjP12ihipStream_tbEUljE_ZNSN_ISO_Lb1ESR_SS_SU_SV_SZ_EES10_S11_S12_S13_S17_S18_S19_S1C_S1D_jS1E_jS1F_S1F_jjS1H_bEUljE0_EEES10_S11_S12_S19_S1D_S1F_T6_T7_T9_mT8_S1H_bDpT10_ENKUlT_T0_E_clISt17integral_constantIbLb0EES1V_EEDaS1Q_S1R_EUlS1Q_E_NS1_11comp_targetILNS1_3genE4ELNS1_11target_archE910ELNS1_3gpuE8ELNS1_3repE0EEENS1_30default_config_static_selectorELNS0_4arch9wavefront6targetE0EEEvS13_
                                        ; -- End function
	.set _ZN7rocprim17ROCPRIM_400000_NS6detail17trampoline_kernelINS0_13select_configILj256ELj13ELNS0_17block_load_methodE3ELS4_3ELS4_3ELNS0_20block_scan_algorithmE0ELj4294967295EEENS1_25partition_config_selectorILNS1_17partition_subalgoE4EjNS0_10empty_typeEbEEZZNS1_14partition_implILS8_4ELb0ES6_15HIP_vector_typeIjLj2EENS0_17counting_iteratorIjlEEPS9_SG_NS0_5tupleIJPjSI_NS0_16reverse_iteratorISI_EEEEENSH_IJSG_SG_SG_EEES9_SI_JZNS1_25segmented_radix_sort_implINS0_14default_configELb1EPK12hip_bfloat16PSP_PKlPlN2at6native12_GLOBAL__N_18offset_tEEE10hipError_tPvRmT1_PNSt15iterator_traitsIS13_E10value_typeET2_T3_PNS14_IS19_E10value_typeET4_jRbjT5_S1F_jjP12ihipStream_tbEUljE_ZNSN_ISO_Lb1ESR_SS_SU_SV_SZ_EES10_S11_S12_S13_S17_S18_S19_S1C_S1D_jS1E_jS1F_S1F_jjS1H_bEUljE0_EEES10_S11_S12_S19_S1D_S1F_T6_T7_T9_mT8_S1H_bDpT10_ENKUlT_T0_E_clISt17integral_constantIbLb0EES1V_EEDaS1Q_S1R_EUlS1Q_E_NS1_11comp_targetILNS1_3genE4ELNS1_11target_archE910ELNS1_3gpuE8ELNS1_3repE0EEENS1_30default_config_static_selectorELNS0_4arch9wavefront6targetE0EEEvS13_.num_vgpr, 0
	.set _ZN7rocprim17ROCPRIM_400000_NS6detail17trampoline_kernelINS0_13select_configILj256ELj13ELNS0_17block_load_methodE3ELS4_3ELS4_3ELNS0_20block_scan_algorithmE0ELj4294967295EEENS1_25partition_config_selectorILNS1_17partition_subalgoE4EjNS0_10empty_typeEbEEZZNS1_14partition_implILS8_4ELb0ES6_15HIP_vector_typeIjLj2EENS0_17counting_iteratorIjlEEPS9_SG_NS0_5tupleIJPjSI_NS0_16reverse_iteratorISI_EEEEENSH_IJSG_SG_SG_EEES9_SI_JZNS1_25segmented_radix_sort_implINS0_14default_configELb1EPK12hip_bfloat16PSP_PKlPlN2at6native12_GLOBAL__N_18offset_tEEE10hipError_tPvRmT1_PNSt15iterator_traitsIS13_E10value_typeET2_T3_PNS14_IS19_E10value_typeET4_jRbjT5_S1F_jjP12ihipStream_tbEUljE_ZNSN_ISO_Lb1ESR_SS_SU_SV_SZ_EES10_S11_S12_S13_S17_S18_S19_S1C_S1D_jS1E_jS1F_S1F_jjS1H_bEUljE0_EEES10_S11_S12_S19_S1D_S1F_T6_T7_T9_mT8_S1H_bDpT10_ENKUlT_T0_E_clISt17integral_constantIbLb0EES1V_EEDaS1Q_S1R_EUlS1Q_E_NS1_11comp_targetILNS1_3genE4ELNS1_11target_archE910ELNS1_3gpuE8ELNS1_3repE0EEENS1_30default_config_static_selectorELNS0_4arch9wavefront6targetE0EEEvS13_.num_agpr, 0
	.set _ZN7rocprim17ROCPRIM_400000_NS6detail17trampoline_kernelINS0_13select_configILj256ELj13ELNS0_17block_load_methodE3ELS4_3ELS4_3ELNS0_20block_scan_algorithmE0ELj4294967295EEENS1_25partition_config_selectorILNS1_17partition_subalgoE4EjNS0_10empty_typeEbEEZZNS1_14partition_implILS8_4ELb0ES6_15HIP_vector_typeIjLj2EENS0_17counting_iteratorIjlEEPS9_SG_NS0_5tupleIJPjSI_NS0_16reverse_iteratorISI_EEEEENSH_IJSG_SG_SG_EEES9_SI_JZNS1_25segmented_radix_sort_implINS0_14default_configELb1EPK12hip_bfloat16PSP_PKlPlN2at6native12_GLOBAL__N_18offset_tEEE10hipError_tPvRmT1_PNSt15iterator_traitsIS13_E10value_typeET2_T3_PNS14_IS19_E10value_typeET4_jRbjT5_S1F_jjP12ihipStream_tbEUljE_ZNSN_ISO_Lb1ESR_SS_SU_SV_SZ_EES10_S11_S12_S13_S17_S18_S19_S1C_S1D_jS1E_jS1F_S1F_jjS1H_bEUljE0_EEES10_S11_S12_S19_S1D_S1F_T6_T7_T9_mT8_S1H_bDpT10_ENKUlT_T0_E_clISt17integral_constantIbLb0EES1V_EEDaS1Q_S1R_EUlS1Q_E_NS1_11comp_targetILNS1_3genE4ELNS1_11target_archE910ELNS1_3gpuE8ELNS1_3repE0EEENS1_30default_config_static_selectorELNS0_4arch9wavefront6targetE0EEEvS13_.numbered_sgpr, 0
	.set _ZN7rocprim17ROCPRIM_400000_NS6detail17trampoline_kernelINS0_13select_configILj256ELj13ELNS0_17block_load_methodE3ELS4_3ELS4_3ELNS0_20block_scan_algorithmE0ELj4294967295EEENS1_25partition_config_selectorILNS1_17partition_subalgoE4EjNS0_10empty_typeEbEEZZNS1_14partition_implILS8_4ELb0ES6_15HIP_vector_typeIjLj2EENS0_17counting_iteratorIjlEEPS9_SG_NS0_5tupleIJPjSI_NS0_16reverse_iteratorISI_EEEEENSH_IJSG_SG_SG_EEES9_SI_JZNS1_25segmented_radix_sort_implINS0_14default_configELb1EPK12hip_bfloat16PSP_PKlPlN2at6native12_GLOBAL__N_18offset_tEEE10hipError_tPvRmT1_PNSt15iterator_traitsIS13_E10value_typeET2_T3_PNS14_IS19_E10value_typeET4_jRbjT5_S1F_jjP12ihipStream_tbEUljE_ZNSN_ISO_Lb1ESR_SS_SU_SV_SZ_EES10_S11_S12_S13_S17_S18_S19_S1C_S1D_jS1E_jS1F_S1F_jjS1H_bEUljE0_EEES10_S11_S12_S19_S1D_S1F_T6_T7_T9_mT8_S1H_bDpT10_ENKUlT_T0_E_clISt17integral_constantIbLb0EES1V_EEDaS1Q_S1R_EUlS1Q_E_NS1_11comp_targetILNS1_3genE4ELNS1_11target_archE910ELNS1_3gpuE8ELNS1_3repE0EEENS1_30default_config_static_selectorELNS0_4arch9wavefront6targetE0EEEvS13_.num_named_barrier, 0
	.set _ZN7rocprim17ROCPRIM_400000_NS6detail17trampoline_kernelINS0_13select_configILj256ELj13ELNS0_17block_load_methodE3ELS4_3ELS4_3ELNS0_20block_scan_algorithmE0ELj4294967295EEENS1_25partition_config_selectorILNS1_17partition_subalgoE4EjNS0_10empty_typeEbEEZZNS1_14partition_implILS8_4ELb0ES6_15HIP_vector_typeIjLj2EENS0_17counting_iteratorIjlEEPS9_SG_NS0_5tupleIJPjSI_NS0_16reverse_iteratorISI_EEEEENSH_IJSG_SG_SG_EEES9_SI_JZNS1_25segmented_radix_sort_implINS0_14default_configELb1EPK12hip_bfloat16PSP_PKlPlN2at6native12_GLOBAL__N_18offset_tEEE10hipError_tPvRmT1_PNSt15iterator_traitsIS13_E10value_typeET2_T3_PNS14_IS19_E10value_typeET4_jRbjT5_S1F_jjP12ihipStream_tbEUljE_ZNSN_ISO_Lb1ESR_SS_SU_SV_SZ_EES10_S11_S12_S13_S17_S18_S19_S1C_S1D_jS1E_jS1F_S1F_jjS1H_bEUljE0_EEES10_S11_S12_S19_S1D_S1F_T6_T7_T9_mT8_S1H_bDpT10_ENKUlT_T0_E_clISt17integral_constantIbLb0EES1V_EEDaS1Q_S1R_EUlS1Q_E_NS1_11comp_targetILNS1_3genE4ELNS1_11target_archE910ELNS1_3gpuE8ELNS1_3repE0EEENS1_30default_config_static_selectorELNS0_4arch9wavefront6targetE0EEEvS13_.private_seg_size, 0
	.set _ZN7rocprim17ROCPRIM_400000_NS6detail17trampoline_kernelINS0_13select_configILj256ELj13ELNS0_17block_load_methodE3ELS4_3ELS4_3ELNS0_20block_scan_algorithmE0ELj4294967295EEENS1_25partition_config_selectorILNS1_17partition_subalgoE4EjNS0_10empty_typeEbEEZZNS1_14partition_implILS8_4ELb0ES6_15HIP_vector_typeIjLj2EENS0_17counting_iteratorIjlEEPS9_SG_NS0_5tupleIJPjSI_NS0_16reverse_iteratorISI_EEEEENSH_IJSG_SG_SG_EEES9_SI_JZNS1_25segmented_radix_sort_implINS0_14default_configELb1EPK12hip_bfloat16PSP_PKlPlN2at6native12_GLOBAL__N_18offset_tEEE10hipError_tPvRmT1_PNSt15iterator_traitsIS13_E10value_typeET2_T3_PNS14_IS19_E10value_typeET4_jRbjT5_S1F_jjP12ihipStream_tbEUljE_ZNSN_ISO_Lb1ESR_SS_SU_SV_SZ_EES10_S11_S12_S13_S17_S18_S19_S1C_S1D_jS1E_jS1F_S1F_jjS1H_bEUljE0_EEES10_S11_S12_S19_S1D_S1F_T6_T7_T9_mT8_S1H_bDpT10_ENKUlT_T0_E_clISt17integral_constantIbLb0EES1V_EEDaS1Q_S1R_EUlS1Q_E_NS1_11comp_targetILNS1_3genE4ELNS1_11target_archE910ELNS1_3gpuE8ELNS1_3repE0EEENS1_30default_config_static_selectorELNS0_4arch9wavefront6targetE0EEEvS13_.uses_vcc, 0
	.set _ZN7rocprim17ROCPRIM_400000_NS6detail17trampoline_kernelINS0_13select_configILj256ELj13ELNS0_17block_load_methodE3ELS4_3ELS4_3ELNS0_20block_scan_algorithmE0ELj4294967295EEENS1_25partition_config_selectorILNS1_17partition_subalgoE4EjNS0_10empty_typeEbEEZZNS1_14partition_implILS8_4ELb0ES6_15HIP_vector_typeIjLj2EENS0_17counting_iteratorIjlEEPS9_SG_NS0_5tupleIJPjSI_NS0_16reverse_iteratorISI_EEEEENSH_IJSG_SG_SG_EEES9_SI_JZNS1_25segmented_radix_sort_implINS0_14default_configELb1EPK12hip_bfloat16PSP_PKlPlN2at6native12_GLOBAL__N_18offset_tEEE10hipError_tPvRmT1_PNSt15iterator_traitsIS13_E10value_typeET2_T3_PNS14_IS19_E10value_typeET4_jRbjT5_S1F_jjP12ihipStream_tbEUljE_ZNSN_ISO_Lb1ESR_SS_SU_SV_SZ_EES10_S11_S12_S13_S17_S18_S19_S1C_S1D_jS1E_jS1F_S1F_jjS1H_bEUljE0_EEES10_S11_S12_S19_S1D_S1F_T6_T7_T9_mT8_S1H_bDpT10_ENKUlT_T0_E_clISt17integral_constantIbLb0EES1V_EEDaS1Q_S1R_EUlS1Q_E_NS1_11comp_targetILNS1_3genE4ELNS1_11target_archE910ELNS1_3gpuE8ELNS1_3repE0EEENS1_30default_config_static_selectorELNS0_4arch9wavefront6targetE0EEEvS13_.uses_flat_scratch, 0
	.set _ZN7rocprim17ROCPRIM_400000_NS6detail17trampoline_kernelINS0_13select_configILj256ELj13ELNS0_17block_load_methodE3ELS4_3ELS4_3ELNS0_20block_scan_algorithmE0ELj4294967295EEENS1_25partition_config_selectorILNS1_17partition_subalgoE4EjNS0_10empty_typeEbEEZZNS1_14partition_implILS8_4ELb0ES6_15HIP_vector_typeIjLj2EENS0_17counting_iteratorIjlEEPS9_SG_NS0_5tupleIJPjSI_NS0_16reverse_iteratorISI_EEEEENSH_IJSG_SG_SG_EEES9_SI_JZNS1_25segmented_radix_sort_implINS0_14default_configELb1EPK12hip_bfloat16PSP_PKlPlN2at6native12_GLOBAL__N_18offset_tEEE10hipError_tPvRmT1_PNSt15iterator_traitsIS13_E10value_typeET2_T3_PNS14_IS19_E10value_typeET4_jRbjT5_S1F_jjP12ihipStream_tbEUljE_ZNSN_ISO_Lb1ESR_SS_SU_SV_SZ_EES10_S11_S12_S13_S17_S18_S19_S1C_S1D_jS1E_jS1F_S1F_jjS1H_bEUljE0_EEES10_S11_S12_S19_S1D_S1F_T6_T7_T9_mT8_S1H_bDpT10_ENKUlT_T0_E_clISt17integral_constantIbLb0EES1V_EEDaS1Q_S1R_EUlS1Q_E_NS1_11comp_targetILNS1_3genE4ELNS1_11target_archE910ELNS1_3gpuE8ELNS1_3repE0EEENS1_30default_config_static_selectorELNS0_4arch9wavefront6targetE0EEEvS13_.has_dyn_sized_stack, 0
	.set _ZN7rocprim17ROCPRIM_400000_NS6detail17trampoline_kernelINS0_13select_configILj256ELj13ELNS0_17block_load_methodE3ELS4_3ELS4_3ELNS0_20block_scan_algorithmE0ELj4294967295EEENS1_25partition_config_selectorILNS1_17partition_subalgoE4EjNS0_10empty_typeEbEEZZNS1_14partition_implILS8_4ELb0ES6_15HIP_vector_typeIjLj2EENS0_17counting_iteratorIjlEEPS9_SG_NS0_5tupleIJPjSI_NS0_16reverse_iteratorISI_EEEEENSH_IJSG_SG_SG_EEES9_SI_JZNS1_25segmented_radix_sort_implINS0_14default_configELb1EPK12hip_bfloat16PSP_PKlPlN2at6native12_GLOBAL__N_18offset_tEEE10hipError_tPvRmT1_PNSt15iterator_traitsIS13_E10value_typeET2_T3_PNS14_IS19_E10value_typeET4_jRbjT5_S1F_jjP12ihipStream_tbEUljE_ZNSN_ISO_Lb1ESR_SS_SU_SV_SZ_EES10_S11_S12_S13_S17_S18_S19_S1C_S1D_jS1E_jS1F_S1F_jjS1H_bEUljE0_EEES10_S11_S12_S19_S1D_S1F_T6_T7_T9_mT8_S1H_bDpT10_ENKUlT_T0_E_clISt17integral_constantIbLb0EES1V_EEDaS1Q_S1R_EUlS1Q_E_NS1_11comp_targetILNS1_3genE4ELNS1_11target_archE910ELNS1_3gpuE8ELNS1_3repE0EEENS1_30default_config_static_selectorELNS0_4arch9wavefront6targetE0EEEvS13_.has_recursion, 0
	.set _ZN7rocprim17ROCPRIM_400000_NS6detail17trampoline_kernelINS0_13select_configILj256ELj13ELNS0_17block_load_methodE3ELS4_3ELS4_3ELNS0_20block_scan_algorithmE0ELj4294967295EEENS1_25partition_config_selectorILNS1_17partition_subalgoE4EjNS0_10empty_typeEbEEZZNS1_14partition_implILS8_4ELb0ES6_15HIP_vector_typeIjLj2EENS0_17counting_iteratorIjlEEPS9_SG_NS0_5tupleIJPjSI_NS0_16reverse_iteratorISI_EEEEENSH_IJSG_SG_SG_EEES9_SI_JZNS1_25segmented_radix_sort_implINS0_14default_configELb1EPK12hip_bfloat16PSP_PKlPlN2at6native12_GLOBAL__N_18offset_tEEE10hipError_tPvRmT1_PNSt15iterator_traitsIS13_E10value_typeET2_T3_PNS14_IS19_E10value_typeET4_jRbjT5_S1F_jjP12ihipStream_tbEUljE_ZNSN_ISO_Lb1ESR_SS_SU_SV_SZ_EES10_S11_S12_S13_S17_S18_S19_S1C_S1D_jS1E_jS1F_S1F_jjS1H_bEUljE0_EEES10_S11_S12_S19_S1D_S1F_T6_T7_T9_mT8_S1H_bDpT10_ENKUlT_T0_E_clISt17integral_constantIbLb0EES1V_EEDaS1Q_S1R_EUlS1Q_E_NS1_11comp_targetILNS1_3genE4ELNS1_11target_archE910ELNS1_3gpuE8ELNS1_3repE0EEENS1_30default_config_static_selectorELNS0_4arch9wavefront6targetE0EEEvS13_.has_indirect_call, 0
	.section	.AMDGPU.csdata,"",@progbits
; Kernel info:
; codeLenInByte = 0
; TotalNumSgprs: 0
; NumVgprs: 0
; ScratchSize: 0
; MemoryBound: 0
; FloatMode: 240
; IeeeMode: 1
; LDSByteSize: 0 bytes/workgroup (compile time only)
; SGPRBlocks: 0
; VGPRBlocks: 0
; NumSGPRsForWavesPerEU: 1
; NumVGPRsForWavesPerEU: 1
; Occupancy: 16
; WaveLimiterHint : 0
; COMPUTE_PGM_RSRC2:SCRATCH_EN: 0
; COMPUTE_PGM_RSRC2:USER_SGPR: 6
; COMPUTE_PGM_RSRC2:TRAP_HANDLER: 0
; COMPUTE_PGM_RSRC2:TGID_X_EN: 1
; COMPUTE_PGM_RSRC2:TGID_Y_EN: 0
; COMPUTE_PGM_RSRC2:TGID_Z_EN: 0
; COMPUTE_PGM_RSRC2:TIDIG_COMP_CNT: 0
	.section	.text._ZN7rocprim17ROCPRIM_400000_NS6detail17trampoline_kernelINS0_13select_configILj256ELj13ELNS0_17block_load_methodE3ELS4_3ELS4_3ELNS0_20block_scan_algorithmE0ELj4294967295EEENS1_25partition_config_selectorILNS1_17partition_subalgoE4EjNS0_10empty_typeEbEEZZNS1_14partition_implILS8_4ELb0ES6_15HIP_vector_typeIjLj2EENS0_17counting_iteratorIjlEEPS9_SG_NS0_5tupleIJPjSI_NS0_16reverse_iteratorISI_EEEEENSH_IJSG_SG_SG_EEES9_SI_JZNS1_25segmented_radix_sort_implINS0_14default_configELb1EPK12hip_bfloat16PSP_PKlPlN2at6native12_GLOBAL__N_18offset_tEEE10hipError_tPvRmT1_PNSt15iterator_traitsIS13_E10value_typeET2_T3_PNS14_IS19_E10value_typeET4_jRbjT5_S1F_jjP12ihipStream_tbEUljE_ZNSN_ISO_Lb1ESR_SS_SU_SV_SZ_EES10_S11_S12_S13_S17_S18_S19_S1C_S1D_jS1E_jS1F_S1F_jjS1H_bEUljE0_EEES10_S11_S12_S19_S1D_S1F_T6_T7_T9_mT8_S1H_bDpT10_ENKUlT_T0_E_clISt17integral_constantIbLb0EES1V_EEDaS1Q_S1R_EUlS1Q_E_NS1_11comp_targetILNS1_3genE3ELNS1_11target_archE908ELNS1_3gpuE7ELNS1_3repE0EEENS1_30default_config_static_selectorELNS0_4arch9wavefront6targetE0EEEvS13_,"axG",@progbits,_ZN7rocprim17ROCPRIM_400000_NS6detail17trampoline_kernelINS0_13select_configILj256ELj13ELNS0_17block_load_methodE3ELS4_3ELS4_3ELNS0_20block_scan_algorithmE0ELj4294967295EEENS1_25partition_config_selectorILNS1_17partition_subalgoE4EjNS0_10empty_typeEbEEZZNS1_14partition_implILS8_4ELb0ES6_15HIP_vector_typeIjLj2EENS0_17counting_iteratorIjlEEPS9_SG_NS0_5tupleIJPjSI_NS0_16reverse_iteratorISI_EEEEENSH_IJSG_SG_SG_EEES9_SI_JZNS1_25segmented_radix_sort_implINS0_14default_configELb1EPK12hip_bfloat16PSP_PKlPlN2at6native12_GLOBAL__N_18offset_tEEE10hipError_tPvRmT1_PNSt15iterator_traitsIS13_E10value_typeET2_T3_PNS14_IS19_E10value_typeET4_jRbjT5_S1F_jjP12ihipStream_tbEUljE_ZNSN_ISO_Lb1ESR_SS_SU_SV_SZ_EES10_S11_S12_S13_S17_S18_S19_S1C_S1D_jS1E_jS1F_S1F_jjS1H_bEUljE0_EEES10_S11_S12_S19_S1D_S1F_T6_T7_T9_mT8_S1H_bDpT10_ENKUlT_T0_E_clISt17integral_constantIbLb0EES1V_EEDaS1Q_S1R_EUlS1Q_E_NS1_11comp_targetILNS1_3genE3ELNS1_11target_archE908ELNS1_3gpuE7ELNS1_3repE0EEENS1_30default_config_static_selectorELNS0_4arch9wavefront6targetE0EEEvS13_,comdat
	.globl	_ZN7rocprim17ROCPRIM_400000_NS6detail17trampoline_kernelINS0_13select_configILj256ELj13ELNS0_17block_load_methodE3ELS4_3ELS4_3ELNS0_20block_scan_algorithmE0ELj4294967295EEENS1_25partition_config_selectorILNS1_17partition_subalgoE4EjNS0_10empty_typeEbEEZZNS1_14partition_implILS8_4ELb0ES6_15HIP_vector_typeIjLj2EENS0_17counting_iteratorIjlEEPS9_SG_NS0_5tupleIJPjSI_NS0_16reverse_iteratorISI_EEEEENSH_IJSG_SG_SG_EEES9_SI_JZNS1_25segmented_radix_sort_implINS0_14default_configELb1EPK12hip_bfloat16PSP_PKlPlN2at6native12_GLOBAL__N_18offset_tEEE10hipError_tPvRmT1_PNSt15iterator_traitsIS13_E10value_typeET2_T3_PNS14_IS19_E10value_typeET4_jRbjT5_S1F_jjP12ihipStream_tbEUljE_ZNSN_ISO_Lb1ESR_SS_SU_SV_SZ_EES10_S11_S12_S13_S17_S18_S19_S1C_S1D_jS1E_jS1F_S1F_jjS1H_bEUljE0_EEES10_S11_S12_S19_S1D_S1F_T6_T7_T9_mT8_S1H_bDpT10_ENKUlT_T0_E_clISt17integral_constantIbLb0EES1V_EEDaS1Q_S1R_EUlS1Q_E_NS1_11comp_targetILNS1_3genE3ELNS1_11target_archE908ELNS1_3gpuE7ELNS1_3repE0EEENS1_30default_config_static_selectorELNS0_4arch9wavefront6targetE0EEEvS13_ ; -- Begin function _ZN7rocprim17ROCPRIM_400000_NS6detail17trampoline_kernelINS0_13select_configILj256ELj13ELNS0_17block_load_methodE3ELS4_3ELS4_3ELNS0_20block_scan_algorithmE0ELj4294967295EEENS1_25partition_config_selectorILNS1_17partition_subalgoE4EjNS0_10empty_typeEbEEZZNS1_14partition_implILS8_4ELb0ES6_15HIP_vector_typeIjLj2EENS0_17counting_iteratorIjlEEPS9_SG_NS0_5tupleIJPjSI_NS0_16reverse_iteratorISI_EEEEENSH_IJSG_SG_SG_EEES9_SI_JZNS1_25segmented_radix_sort_implINS0_14default_configELb1EPK12hip_bfloat16PSP_PKlPlN2at6native12_GLOBAL__N_18offset_tEEE10hipError_tPvRmT1_PNSt15iterator_traitsIS13_E10value_typeET2_T3_PNS14_IS19_E10value_typeET4_jRbjT5_S1F_jjP12ihipStream_tbEUljE_ZNSN_ISO_Lb1ESR_SS_SU_SV_SZ_EES10_S11_S12_S13_S17_S18_S19_S1C_S1D_jS1E_jS1F_S1F_jjS1H_bEUljE0_EEES10_S11_S12_S19_S1D_S1F_T6_T7_T9_mT8_S1H_bDpT10_ENKUlT_T0_E_clISt17integral_constantIbLb0EES1V_EEDaS1Q_S1R_EUlS1Q_E_NS1_11comp_targetILNS1_3genE3ELNS1_11target_archE908ELNS1_3gpuE7ELNS1_3repE0EEENS1_30default_config_static_selectorELNS0_4arch9wavefront6targetE0EEEvS13_
	.p2align	8
	.type	_ZN7rocprim17ROCPRIM_400000_NS6detail17trampoline_kernelINS0_13select_configILj256ELj13ELNS0_17block_load_methodE3ELS4_3ELS4_3ELNS0_20block_scan_algorithmE0ELj4294967295EEENS1_25partition_config_selectorILNS1_17partition_subalgoE4EjNS0_10empty_typeEbEEZZNS1_14partition_implILS8_4ELb0ES6_15HIP_vector_typeIjLj2EENS0_17counting_iteratorIjlEEPS9_SG_NS0_5tupleIJPjSI_NS0_16reverse_iteratorISI_EEEEENSH_IJSG_SG_SG_EEES9_SI_JZNS1_25segmented_radix_sort_implINS0_14default_configELb1EPK12hip_bfloat16PSP_PKlPlN2at6native12_GLOBAL__N_18offset_tEEE10hipError_tPvRmT1_PNSt15iterator_traitsIS13_E10value_typeET2_T3_PNS14_IS19_E10value_typeET4_jRbjT5_S1F_jjP12ihipStream_tbEUljE_ZNSN_ISO_Lb1ESR_SS_SU_SV_SZ_EES10_S11_S12_S13_S17_S18_S19_S1C_S1D_jS1E_jS1F_S1F_jjS1H_bEUljE0_EEES10_S11_S12_S19_S1D_S1F_T6_T7_T9_mT8_S1H_bDpT10_ENKUlT_T0_E_clISt17integral_constantIbLb0EES1V_EEDaS1Q_S1R_EUlS1Q_E_NS1_11comp_targetILNS1_3genE3ELNS1_11target_archE908ELNS1_3gpuE7ELNS1_3repE0EEENS1_30default_config_static_selectorELNS0_4arch9wavefront6targetE0EEEvS13_,@function
_ZN7rocprim17ROCPRIM_400000_NS6detail17trampoline_kernelINS0_13select_configILj256ELj13ELNS0_17block_load_methodE3ELS4_3ELS4_3ELNS0_20block_scan_algorithmE0ELj4294967295EEENS1_25partition_config_selectorILNS1_17partition_subalgoE4EjNS0_10empty_typeEbEEZZNS1_14partition_implILS8_4ELb0ES6_15HIP_vector_typeIjLj2EENS0_17counting_iteratorIjlEEPS9_SG_NS0_5tupleIJPjSI_NS0_16reverse_iteratorISI_EEEEENSH_IJSG_SG_SG_EEES9_SI_JZNS1_25segmented_radix_sort_implINS0_14default_configELb1EPK12hip_bfloat16PSP_PKlPlN2at6native12_GLOBAL__N_18offset_tEEE10hipError_tPvRmT1_PNSt15iterator_traitsIS13_E10value_typeET2_T3_PNS14_IS19_E10value_typeET4_jRbjT5_S1F_jjP12ihipStream_tbEUljE_ZNSN_ISO_Lb1ESR_SS_SU_SV_SZ_EES10_S11_S12_S13_S17_S18_S19_S1C_S1D_jS1E_jS1F_S1F_jjS1H_bEUljE0_EEES10_S11_S12_S19_S1D_S1F_T6_T7_T9_mT8_S1H_bDpT10_ENKUlT_T0_E_clISt17integral_constantIbLb0EES1V_EEDaS1Q_S1R_EUlS1Q_E_NS1_11comp_targetILNS1_3genE3ELNS1_11target_archE908ELNS1_3gpuE7ELNS1_3repE0EEENS1_30default_config_static_selectorELNS0_4arch9wavefront6targetE0EEEvS13_: ; @_ZN7rocprim17ROCPRIM_400000_NS6detail17trampoline_kernelINS0_13select_configILj256ELj13ELNS0_17block_load_methodE3ELS4_3ELS4_3ELNS0_20block_scan_algorithmE0ELj4294967295EEENS1_25partition_config_selectorILNS1_17partition_subalgoE4EjNS0_10empty_typeEbEEZZNS1_14partition_implILS8_4ELb0ES6_15HIP_vector_typeIjLj2EENS0_17counting_iteratorIjlEEPS9_SG_NS0_5tupleIJPjSI_NS0_16reverse_iteratorISI_EEEEENSH_IJSG_SG_SG_EEES9_SI_JZNS1_25segmented_radix_sort_implINS0_14default_configELb1EPK12hip_bfloat16PSP_PKlPlN2at6native12_GLOBAL__N_18offset_tEEE10hipError_tPvRmT1_PNSt15iterator_traitsIS13_E10value_typeET2_T3_PNS14_IS19_E10value_typeET4_jRbjT5_S1F_jjP12ihipStream_tbEUljE_ZNSN_ISO_Lb1ESR_SS_SU_SV_SZ_EES10_S11_S12_S13_S17_S18_S19_S1C_S1D_jS1E_jS1F_S1F_jjS1H_bEUljE0_EEES10_S11_S12_S19_S1D_S1F_T6_T7_T9_mT8_S1H_bDpT10_ENKUlT_T0_E_clISt17integral_constantIbLb0EES1V_EEDaS1Q_S1R_EUlS1Q_E_NS1_11comp_targetILNS1_3genE3ELNS1_11target_archE908ELNS1_3gpuE7ELNS1_3repE0EEENS1_30default_config_static_selectorELNS0_4arch9wavefront6targetE0EEEvS13_
; %bb.0:
	.section	.rodata,"a",@progbits
	.p2align	6, 0x0
	.amdhsa_kernel _ZN7rocprim17ROCPRIM_400000_NS6detail17trampoline_kernelINS0_13select_configILj256ELj13ELNS0_17block_load_methodE3ELS4_3ELS4_3ELNS0_20block_scan_algorithmE0ELj4294967295EEENS1_25partition_config_selectorILNS1_17partition_subalgoE4EjNS0_10empty_typeEbEEZZNS1_14partition_implILS8_4ELb0ES6_15HIP_vector_typeIjLj2EENS0_17counting_iteratorIjlEEPS9_SG_NS0_5tupleIJPjSI_NS0_16reverse_iteratorISI_EEEEENSH_IJSG_SG_SG_EEES9_SI_JZNS1_25segmented_radix_sort_implINS0_14default_configELb1EPK12hip_bfloat16PSP_PKlPlN2at6native12_GLOBAL__N_18offset_tEEE10hipError_tPvRmT1_PNSt15iterator_traitsIS13_E10value_typeET2_T3_PNS14_IS19_E10value_typeET4_jRbjT5_S1F_jjP12ihipStream_tbEUljE_ZNSN_ISO_Lb1ESR_SS_SU_SV_SZ_EES10_S11_S12_S13_S17_S18_S19_S1C_S1D_jS1E_jS1F_S1F_jjS1H_bEUljE0_EEES10_S11_S12_S19_S1D_S1F_T6_T7_T9_mT8_S1H_bDpT10_ENKUlT_T0_E_clISt17integral_constantIbLb0EES1V_EEDaS1Q_S1R_EUlS1Q_E_NS1_11comp_targetILNS1_3genE3ELNS1_11target_archE908ELNS1_3gpuE7ELNS1_3repE0EEENS1_30default_config_static_selectorELNS0_4arch9wavefront6targetE0EEEvS13_
		.amdhsa_group_segment_fixed_size 0
		.amdhsa_private_segment_fixed_size 0
		.amdhsa_kernarg_size 176
		.amdhsa_user_sgpr_count 6
		.amdhsa_user_sgpr_private_segment_buffer 1
		.amdhsa_user_sgpr_dispatch_ptr 0
		.amdhsa_user_sgpr_queue_ptr 0
		.amdhsa_user_sgpr_kernarg_segment_ptr 1
		.amdhsa_user_sgpr_dispatch_id 0
		.amdhsa_user_sgpr_flat_scratch_init 0
		.amdhsa_user_sgpr_private_segment_size 0
		.amdhsa_wavefront_size32 1
		.amdhsa_uses_dynamic_stack 0
		.amdhsa_system_sgpr_private_segment_wavefront_offset 0
		.amdhsa_system_sgpr_workgroup_id_x 1
		.amdhsa_system_sgpr_workgroup_id_y 0
		.amdhsa_system_sgpr_workgroup_id_z 0
		.amdhsa_system_sgpr_workgroup_info 0
		.amdhsa_system_vgpr_workitem_id 0
		.amdhsa_next_free_vgpr 1
		.amdhsa_next_free_sgpr 1
		.amdhsa_reserve_vcc 0
		.amdhsa_reserve_flat_scratch 0
		.amdhsa_float_round_mode_32 0
		.amdhsa_float_round_mode_16_64 0
		.amdhsa_float_denorm_mode_32 3
		.amdhsa_float_denorm_mode_16_64 3
		.amdhsa_dx10_clamp 1
		.amdhsa_ieee_mode 1
		.amdhsa_fp16_overflow 0
		.amdhsa_workgroup_processor_mode 1
		.amdhsa_memory_ordered 1
		.amdhsa_forward_progress 1
		.amdhsa_shared_vgpr_count 0
		.amdhsa_exception_fp_ieee_invalid_op 0
		.amdhsa_exception_fp_denorm_src 0
		.amdhsa_exception_fp_ieee_div_zero 0
		.amdhsa_exception_fp_ieee_overflow 0
		.amdhsa_exception_fp_ieee_underflow 0
		.amdhsa_exception_fp_ieee_inexact 0
		.amdhsa_exception_int_div_zero 0
	.end_amdhsa_kernel
	.section	.text._ZN7rocprim17ROCPRIM_400000_NS6detail17trampoline_kernelINS0_13select_configILj256ELj13ELNS0_17block_load_methodE3ELS4_3ELS4_3ELNS0_20block_scan_algorithmE0ELj4294967295EEENS1_25partition_config_selectorILNS1_17partition_subalgoE4EjNS0_10empty_typeEbEEZZNS1_14partition_implILS8_4ELb0ES6_15HIP_vector_typeIjLj2EENS0_17counting_iteratorIjlEEPS9_SG_NS0_5tupleIJPjSI_NS0_16reverse_iteratorISI_EEEEENSH_IJSG_SG_SG_EEES9_SI_JZNS1_25segmented_radix_sort_implINS0_14default_configELb1EPK12hip_bfloat16PSP_PKlPlN2at6native12_GLOBAL__N_18offset_tEEE10hipError_tPvRmT1_PNSt15iterator_traitsIS13_E10value_typeET2_T3_PNS14_IS19_E10value_typeET4_jRbjT5_S1F_jjP12ihipStream_tbEUljE_ZNSN_ISO_Lb1ESR_SS_SU_SV_SZ_EES10_S11_S12_S13_S17_S18_S19_S1C_S1D_jS1E_jS1F_S1F_jjS1H_bEUljE0_EEES10_S11_S12_S19_S1D_S1F_T6_T7_T9_mT8_S1H_bDpT10_ENKUlT_T0_E_clISt17integral_constantIbLb0EES1V_EEDaS1Q_S1R_EUlS1Q_E_NS1_11comp_targetILNS1_3genE3ELNS1_11target_archE908ELNS1_3gpuE7ELNS1_3repE0EEENS1_30default_config_static_selectorELNS0_4arch9wavefront6targetE0EEEvS13_,"axG",@progbits,_ZN7rocprim17ROCPRIM_400000_NS6detail17trampoline_kernelINS0_13select_configILj256ELj13ELNS0_17block_load_methodE3ELS4_3ELS4_3ELNS0_20block_scan_algorithmE0ELj4294967295EEENS1_25partition_config_selectorILNS1_17partition_subalgoE4EjNS0_10empty_typeEbEEZZNS1_14partition_implILS8_4ELb0ES6_15HIP_vector_typeIjLj2EENS0_17counting_iteratorIjlEEPS9_SG_NS0_5tupleIJPjSI_NS0_16reverse_iteratorISI_EEEEENSH_IJSG_SG_SG_EEES9_SI_JZNS1_25segmented_radix_sort_implINS0_14default_configELb1EPK12hip_bfloat16PSP_PKlPlN2at6native12_GLOBAL__N_18offset_tEEE10hipError_tPvRmT1_PNSt15iterator_traitsIS13_E10value_typeET2_T3_PNS14_IS19_E10value_typeET4_jRbjT5_S1F_jjP12ihipStream_tbEUljE_ZNSN_ISO_Lb1ESR_SS_SU_SV_SZ_EES10_S11_S12_S13_S17_S18_S19_S1C_S1D_jS1E_jS1F_S1F_jjS1H_bEUljE0_EEES10_S11_S12_S19_S1D_S1F_T6_T7_T9_mT8_S1H_bDpT10_ENKUlT_T0_E_clISt17integral_constantIbLb0EES1V_EEDaS1Q_S1R_EUlS1Q_E_NS1_11comp_targetILNS1_3genE3ELNS1_11target_archE908ELNS1_3gpuE7ELNS1_3repE0EEENS1_30default_config_static_selectorELNS0_4arch9wavefront6targetE0EEEvS13_,comdat
.Lfunc_end1875:
	.size	_ZN7rocprim17ROCPRIM_400000_NS6detail17trampoline_kernelINS0_13select_configILj256ELj13ELNS0_17block_load_methodE3ELS4_3ELS4_3ELNS0_20block_scan_algorithmE0ELj4294967295EEENS1_25partition_config_selectorILNS1_17partition_subalgoE4EjNS0_10empty_typeEbEEZZNS1_14partition_implILS8_4ELb0ES6_15HIP_vector_typeIjLj2EENS0_17counting_iteratorIjlEEPS9_SG_NS0_5tupleIJPjSI_NS0_16reverse_iteratorISI_EEEEENSH_IJSG_SG_SG_EEES9_SI_JZNS1_25segmented_radix_sort_implINS0_14default_configELb1EPK12hip_bfloat16PSP_PKlPlN2at6native12_GLOBAL__N_18offset_tEEE10hipError_tPvRmT1_PNSt15iterator_traitsIS13_E10value_typeET2_T3_PNS14_IS19_E10value_typeET4_jRbjT5_S1F_jjP12ihipStream_tbEUljE_ZNSN_ISO_Lb1ESR_SS_SU_SV_SZ_EES10_S11_S12_S13_S17_S18_S19_S1C_S1D_jS1E_jS1F_S1F_jjS1H_bEUljE0_EEES10_S11_S12_S19_S1D_S1F_T6_T7_T9_mT8_S1H_bDpT10_ENKUlT_T0_E_clISt17integral_constantIbLb0EES1V_EEDaS1Q_S1R_EUlS1Q_E_NS1_11comp_targetILNS1_3genE3ELNS1_11target_archE908ELNS1_3gpuE7ELNS1_3repE0EEENS1_30default_config_static_selectorELNS0_4arch9wavefront6targetE0EEEvS13_, .Lfunc_end1875-_ZN7rocprim17ROCPRIM_400000_NS6detail17trampoline_kernelINS0_13select_configILj256ELj13ELNS0_17block_load_methodE3ELS4_3ELS4_3ELNS0_20block_scan_algorithmE0ELj4294967295EEENS1_25partition_config_selectorILNS1_17partition_subalgoE4EjNS0_10empty_typeEbEEZZNS1_14partition_implILS8_4ELb0ES6_15HIP_vector_typeIjLj2EENS0_17counting_iteratorIjlEEPS9_SG_NS0_5tupleIJPjSI_NS0_16reverse_iteratorISI_EEEEENSH_IJSG_SG_SG_EEES9_SI_JZNS1_25segmented_radix_sort_implINS0_14default_configELb1EPK12hip_bfloat16PSP_PKlPlN2at6native12_GLOBAL__N_18offset_tEEE10hipError_tPvRmT1_PNSt15iterator_traitsIS13_E10value_typeET2_T3_PNS14_IS19_E10value_typeET4_jRbjT5_S1F_jjP12ihipStream_tbEUljE_ZNSN_ISO_Lb1ESR_SS_SU_SV_SZ_EES10_S11_S12_S13_S17_S18_S19_S1C_S1D_jS1E_jS1F_S1F_jjS1H_bEUljE0_EEES10_S11_S12_S19_S1D_S1F_T6_T7_T9_mT8_S1H_bDpT10_ENKUlT_T0_E_clISt17integral_constantIbLb0EES1V_EEDaS1Q_S1R_EUlS1Q_E_NS1_11comp_targetILNS1_3genE3ELNS1_11target_archE908ELNS1_3gpuE7ELNS1_3repE0EEENS1_30default_config_static_selectorELNS0_4arch9wavefront6targetE0EEEvS13_
                                        ; -- End function
	.set _ZN7rocprim17ROCPRIM_400000_NS6detail17trampoline_kernelINS0_13select_configILj256ELj13ELNS0_17block_load_methodE3ELS4_3ELS4_3ELNS0_20block_scan_algorithmE0ELj4294967295EEENS1_25partition_config_selectorILNS1_17partition_subalgoE4EjNS0_10empty_typeEbEEZZNS1_14partition_implILS8_4ELb0ES6_15HIP_vector_typeIjLj2EENS0_17counting_iteratorIjlEEPS9_SG_NS0_5tupleIJPjSI_NS0_16reverse_iteratorISI_EEEEENSH_IJSG_SG_SG_EEES9_SI_JZNS1_25segmented_radix_sort_implINS0_14default_configELb1EPK12hip_bfloat16PSP_PKlPlN2at6native12_GLOBAL__N_18offset_tEEE10hipError_tPvRmT1_PNSt15iterator_traitsIS13_E10value_typeET2_T3_PNS14_IS19_E10value_typeET4_jRbjT5_S1F_jjP12ihipStream_tbEUljE_ZNSN_ISO_Lb1ESR_SS_SU_SV_SZ_EES10_S11_S12_S13_S17_S18_S19_S1C_S1D_jS1E_jS1F_S1F_jjS1H_bEUljE0_EEES10_S11_S12_S19_S1D_S1F_T6_T7_T9_mT8_S1H_bDpT10_ENKUlT_T0_E_clISt17integral_constantIbLb0EES1V_EEDaS1Q_S1R_EUlS1Q_E_NS1_11comp_targetILNS1_3genE3ELNS1_11target_archE908ELNS1_3gpuE7ELNS1_3repE0EEENS1_30default_config_static_selectorELNS0_4arch9wavefront6targetE0EEEvS13_.num_vgpr, 0
	.set _ZN7rocprim17ROCPRIM_400000_NS6detail17trampoline_kernelINS0_13select_configILj256ELj13ELNS0_17block_load_methodE3ELS4_3ELS4_3ELNS0_20block_scan_algorithmE0ELj4294967295EEENS1_25partition_config_selectorILNS1_17partition_subalgoE4EjNS0_10empty_typeEbEEZZNS1_14partition_implILS8_4ELb0ES6_15HIP_vector_typeIjLj2EENS0_17counting_iteratorIjlEEPS9_SG_NS0_5tupleIJPjSI_NS0_16reverse_iteratorISI_EEEEENSH_IJSG_SG_SG_EEES9_SI_JZNS1_25segmented_radix_sort_implINS0_14default_configELb1EPK12hip_bfloat16PSP_PKlPlN2at6native12_GLOBAL__N_18offset_tEEE10hipError_tPvRmT1_PNSt15iterator_traitsIS13_E10value_typeET2_T3_PNS14_IS19_E10value_typeET4_jRbjT5_S1F_jjP12ihipStream_tbEUljE_ZNSN_ISO_Lb1ESR_SS_SU_SV_SZ_EES10_S11_S12_S13_S17_S18_S19_S1C_S1D_jS1E_jS1F_S1F_jjS1H_bEUljE0_EEES10_S11_S12_S19_S1D_S1F_T6_T7_T9_mT8_S1H_bDpT10_ENKUlT_T0_E_clISt17integral_constantIbLb0EES1V_EEDaS1Q_S1R_EUlS1Q_E_NS1_11comp_targetILNS1_3genE3ELNS1_11target_archE908ELNS1_3gpuE7ELNS1_3repE0EEENS1_30default_config_static_selectorELNS0_4arch9wavefront6targetE0EEEvS13_.num_agpr, 0
	.set _ZN7rocprim17ROCPRIM_400000_NS6detail17trampoline_kernelINS0_13select_configILj256ELj13ELNS0_17block_load_methodE3ELS4_3ELS4_3ELNS0_20block_scan_algorithmE0ELj4294967295EEENS1_25partition_config_selectorILNS1_17partition_subalgoE4EjNS0_10empty_typeEbEEZZNS1_14partition_implILS8_4ELb0ES6_15HIP_vector_typeIjLj2EENS0_17counting_iteratorIjlEEPS9_SG_NS0_5tupleIJPjSI_NS0_16reverse_iteratorISI_EEEEENSH_IJSG_SG_SG_EEES9_SI_JZNS1_25segmented_radix_sort_implINS0_14default_configELb1EPK12hip_bfloat16PSP_PKlPlN2at6native12_GLOBAL__N_18offset_tEEE10hipError_tPvRmT1_PNSt15iterator_traitsIS13_E10value_typeET2_T3_PNS14_IS19_E10value_typeET4_jRbjT5_S1F_jjP12ihipStream_tbEUljE_ZNSN_ISO_Lb1ESR_SS_SU_SV_SZ_EES10_S11_S12_S13_S17_S18_S19_S1C_S1D_jS1E_jS1F_S1F_jjS1H_bEUljE0_EEES10_S11_S12_S19_S1D_S1F_T6_T7_T9_mT8_S1H_bDpT10_ENKUlT_T0_E_clISt17integral_constantIbLb0EES1V_EEDaS1Q_S1R_EUlS1Q_E_NS1_11comp_targetILNS1_3genE3ELNS1_11target_archE908ELNS1_3gpuE7ELNS1_3repE0EEENS1_30default_config_static_selectorELNS0_4arch9wavefront6targetE0EEEvS13_.numbered_sgpr, 0
	.set _ZN7rocprim17ROCPRIM_400000_NS6detail17trampoline_kernelINS0_13select_configILj256ELj13ELNS0_17block_load_methodE3ELS4_3ELS4_3ELNS0_20block_scan_algorithmE0ELj4294967295EEENS1_25partition_config_selectorILNS1_17partition_subalgoE4EjNS0_10empty_typeEbEEZZNS1_14partition_implILS8_4ELb0ES6_15HIP_vector_typeIjLj2EENS0_17counting_iteratorIjlEEPS9_SG_NS0_5tupleIJPjSI_NS0_16reverse_iteratorISI_EEEEENSH_IJSG_SG_SG_EEES9_SI_JZNS1_25segmented_radix_sort_implINS0_14default_configELb1EPK12hip_bfloat16PSP_PKlPlN2at6native12_GLOBAL__N_18offset_tEEE10hipError_tPvRmT1_PNSt15iterator_traitsIS13_E10value_typeET2_T3_PNS14_IS19_E10value_typeET4_jRbjT5_S1F_jjP12ihipStream_tbEUljE_ZNSN_ISO_Lb1ESR_SS_SU_SV_SZ_EES10_S11_S12_S13_S17_S18_S19_S1C_S1D_jS1E_jS1F_S1F_jjS1H_bEUljE0_EEES10_S11_S12_S19_S1D_S1F_T6_T7_T9_mT8_S1H_bDpT10_ENKUlT_T0_E_clISt17integral_constantIbLb0EES1V_EEDaS1Q_S1R_EUlS1Q_E_NS1_11comp_targetILNS1_3genE3ELNS1_11target_archE908ELNS1_3gpuE7ELNS1_3repE0EEENS1_30default_config_static_selectorELNS0_4arch9wavefront6targetE0EEEvS13_.num_named_barrier, 0
	.set _ZN7rocprim17ROCPRIM_400000_NS6detail17trampoline_kernelINS0_13select_configILj256ELj13ELNS0_17block_load_methodE3ELS4_3ELS4_3ELNS0_20block_scan_algorithmE0ELj4294967295EEENS1_25partition_config_selectorILNS1_17partition_subalgoE4EjNS0_10empty_typeEbEEZZNS1_14partition_implILS8_4ELb0ES6_15HIP_vector_typeIjLj2EENS0_17counting_iteratorIjlEEPS9_SG_NS0_5tupleIJPjSI_NS0_16reverse_iteratorISI_EEEEENSH_IJSG_SG_SG_EEES9_SI_JZNS1_25segmented_radix_sort_implINS0_14default_configELb1EPK12hip_bfloat16PSP_PKlPlN2at6native12_GLOBAL__N_18offset_tEEE10hipError_tPvRmT1_PNSt15iterator_traitsIS13_E10value_typeET2_T3_PNS14_IS19_E10value_typeET4_jRbjT5_S1F_jjP12ihipStream_tbEUljE_ZNSN_ISO_Lb1ESR_SS_SU_SV_SZ_EES10_S11_S12_S13_S17_S18_S19_S1C_S1D_jS1E_jS1F_S1F_jjS1H_bEUljE0_EEES10_S11_S12_S19_S1D_S1F_T6_T7_T9_mT8_S1H_bDpT10_ENKUlT_T0_E_clISt17integral_constantIbLb0EES1V_EEDaS1Q_S1R_EUlS1Q_E_NS1_11comp_targetILNS1_3genE3ELNS1_11target_archE908ELNS1_3gpuE7ELNS1_3repE0EEENS1_30default_config_static_selectorELNS0_4arch9wavefront6targetE0EEEvS13_.private_seg_size, 0
	.set _ZN7rocprim17ROCPRIM_400000_NS6detail17trampoline_kernelINS0_13select_configILj256ELj13ELNS0_17block_load_methodE3ELS4_3ELS4_3ELNS0_20block_scan_algorithmE0ELj4294967295EEENS1_25partition_config_selectorILNS1_17partition_subalgoE4EjNS0_10empty_typeEbEEZZNS1_14partition_implILS8_4ELb0ES6_15HIP_vector_typeIjLj2EENS0_17counting_iteratorIjlEEPS9_SG_NS0_5tupleIJPjSI_NS0_16reverse_iteratorISI_EEEEENSH_IJSG_SG_SG_EEES9_SI_JZNS1_25segmented_radix_sort_implINS0_14default_configELb1EPK12hip_bfloat16PSP_PKlPlN2at6native12_GLOBAL__N_18offset_tEEE10hipError_tPvRmT1_PNSt15iterator_traitsIS13_E10value_typeET2_T3_PNS14_IS19_E10value_typeET4_jRbjT5_S1F_jjP12ihipStream_tbEUljE_ZNSN_ISO_Lb1ESR_SS_SU_SV_SZ_EES10_S11_S12_S13_S17_S18_S19_S1C_S1D_jS1E_jS1F_S1F_jjS1H_bEUljE0_EEES10_S11_S12_S19_S1D_S1F_T6_T7_T9_mT8_S1H_bDpT10_ENKUlT_T0_E_clISt17integral_constantIbLb0EES1V_EEDaS1Q_S1R_EUlS1Q_E_NS1_11comp_targetILNS1_3genE3ELNS1_11target_archE908ELNS1_3gpuE7ELNS1_3repE0EEENS1_30default_config_static_selectorELNS0_4arch9wavefront6targetE0EEEvS13_.uses_vcc, 0
	.set _ZN7rocprim17ROCPRIM_400000_NS6detail17trampoline_kernelINS0_13select_configILj256ELj13ELNS0_17block_load_methodE3ELS4_3ELS4_3ELNS0_20block_scan_algorithmE0ELj4294967295EEENS1_25partition_config_selectorILNS1_17partition_subalgoE4EjNS0_10empty_typeEbEEZZNS1_14partition_implILS8_4ELb0ES6_15HIP_vector_typeIjLj2EENS0_17counting_iteratorIjlEEPS9_SG_NS0_5tupleIJPjSI_NS0_16reverse_iteratorISI_EEEEENSH_IJSG_SG_SG_EEES9_SI_JZNS1_25segmented_radix_sort_implINS0_14default_configELb1EPK12hip_bfloat16PSP_PKlPlN2at6native12_GLOBAL__N_18offset_tEEE10hipError_tPvRmT1_PNSt15iterator_traitsIS13_E10value_typeET2_T3_PNS14_IS19_E10value_typeET4_jRbjT5_S1F_jjP12ihipStream_tbEUljE_ZNSN_ISO_Lb1ESR_SS_SU_SV_SZ_EES10_S11_S12_S13_S17_S18_S19_S1C_S1D_jS1E_jS1F_S1F_jjS1H_bEUljE0_EEES10_S11_S12_S19_S1D_S1F_T6_T7_T9_mT8_S1H_bDpT10_ENKUlT_T0_E_clISt17integral_constantIbLb0EES1V_EEDaS1Q_S1R_EUlS1Q_E_NS1_11comp_targetILNS1_3genE3ELNS1_11target_archE908ELNS1_3gpuE7ELNS1_3repE0EEENS1_30default_config_static_selectorELNS0_4arch9wavefront6targetE0EEEvS13_.uses_flat_scratch, 0
	.set _ZN7rocprim17ROCPRIM_400000_NS6detail17trampoline_kernelINS0_13select_configILj256ELj13ELNS0_17block_load_methodE3ELS4_3ELS4_3ELNS0_20block_scan_algorithmE0ELj4294967295EEENS1_25partition_config_selectorILNS1_17partition_subalgoE4EjNS0_10empty_typeEbEEZZNS1_14partition_implILS8_4ELb0ES6_15HIP_vector_typeIjLj2EENS0_17counting_iteratorIjlEEPS9_SG_NS0_5tupleIJPjSI_NS0_16reverse_iteratorISI_EEEEENSH_IJSG_SG_SG_EEES9_SI_JZNS1_25segmented_radix_sort_implINS0_14default_configELb1EPK12hip_bfloat16PSP_PKlPlN2at6native12_GLOBAL__N_18offset_tEEE10hipError_tPvRmT1_PNSt15iterator_traitsIS13_E10value_typeET2_T3_PNS14_IS19_E10value_typeET4_jRbjT5_S1F_jjP12ihipStream_tbEUljE_ZNSN_ISO_Lb1ESR_SS_SU_SV_SZ_EES10_S11_S12_S13_S17_S18_S19_S1C_S1D_jS1E_jS1F_S1F_jjS1H_bEUljE0_EEES10_S11_S12_S19_S1D_S1F_T6_T7_T9_mT8_S1H_bDpT10_ENKUlT_T0_E_clISt17integral_constantIbLb0EES1V_EEDaS1Q_S1R_EUlS1Q_E_NS1_11comp_targetILNS1_3genE3ELNS1_11target_archE908ELNS1_3gpuE7ELNS1_3repE0EEENS1_30default_config_static_selectorELNS0_4arch9wavefront6targetE0EEEvS13_.has_dyn_sized_stack, 0
	.set _ZN7rocprim17ROCPRIM_400000_NS6detail17trampoline_kernelINS0_13select_configILj256ELj13ELNS0_17block_load_methodE3ELS4_3ELS4_3ELNS0_20block_scan_algorithmE0ELj4294967295EEENS1_25partition_config_selectorILNS1_17partition_subalgoE4EjNS0_10empty_typeEbEEZZNS1_14partition_implILS8_4ELb0ES6_15HIP_vector_typeIjLj2EENS0_17counting_iteratorIjlEEPS9_SG_NS0_5tupleIJPjSI_NS0_16reverse_iteratorISI_EEEEENSH_IJSG_SG_SG_EEES9_SI_JZNS1_25segmented_radix_sort_implINS0_14default_configELb1EPK12hip_bfloat16PSP_PKlPlN2at6native12_GLOBAL__N_18offset_tEEE10hipError_tPvRmT1_PNSt15iterator_traitsIS13_E10value_typeET2_T3_PNS14_IS19_E10value_typeET4_jRbjT5_S1F_jjP12ihipStream_tbEUljE_ZNSN_ISO_Lb1ESR_SS_SU_SV_SZ_EES10_S11_S12_S13_S17_S18_S19_S1C_S1D_jS1E_jS1F_S1F_jjS1H_bEUljE0_EEES10_S11_S12_S19_S1D_S1F_T6_T7_T9_mT8_S1H_bDpT10_ENKUlT_T0_E_clISt17integral_constantIbLb0EES1V_EEDaS1Q_S1R_EUlS1Q_E_NS1_11comp_targetILNS1_3genE3ELNS1_11target_archE908ELNS1_3gpuE7ELNS1_3repE0EEENS1_30default_config_static_selectorELNS0_4arch9wavefront6targetE0EEEvS13_.has_recursion, 0
	.set _ZN7rocprim17ROCPRIM_400000_NS6detail17trampoline_kernelINS0_13select_configILj256ELj13ELNS0_17block_load_methodE3ELS4_3ELS4_3ELNS0_20block_scan_algorithmE0ELj4294967295EEENS1_25partition_config_selectorILNS1_17partition_subalgoE4EjNS0_10empty_typeEbEEZZNS1_14partition_implILS8_4ELb0ES6_15HIP_vector_typeIjLj2EENS0_17counting_iteratorIjlEEPS9_SG_NS0_5tupleIJPjSI_NS0_16reverse_iteratorISI_EEEEENSH_IJSG_SG_SG_EEES9_SI_JZNS1_25segmented_radix_sort_implINS0_14default_configELb1EPK12hip_bfloat16PSP_PKlPlN2at6native12_GLOBAL__N_18offset_tEEE10hipError_tPvRmT1_PNSt15iterator_traitsIS13_E10value_typeET2_T3_PNS14_IS19_E10value_typeET4_jRbjT5_S1F_jjP12ihipStream_tbEUljE_ZNSN_ISO_Lb1ESR_SS_SU_SV_SZ_EES10_S11_S12_S13_S17_S18_S19_S1C_S1D_jS1E_jS1F_S1F_jjS1H_bEUljE0_EEES10_S11_S12_S19_S1D_S1F_T6_T7_T9_mT8_S1H_bDpT10_ENKUlT_T0_E_clISt17integral_constantIbLb0EES1V_EEDaS1Q_S1R_EUlS1Q_E_NS1_11comp_targetILNS1_3genE3ELNS1_11target_archE908ELNS1_3gpuE7ELNS1_3repE0EEENS1_30default_config_static_selectorELNS0_4arch9wavefront6targetE0EEEvS13_.has_indirect_call, 0
	.section	.AMDGPU.csdata,"",@progbits
; Kernel info:
; codeLenInByte = 0
; TotalNumSgprs: 0
; NumVgprs: 0
; ScratchSize: 0
; MemoryBound: 0
; FloatMode: 240
; IeeeMode: 1
; LDSByteSize: 0 bytes/workgroup (compile time only)
; SGPRBlocks: 0
; VGPRBlocks: 0
; NumSGPRsForWavesPerEU: 1
; NumVGPRsForWavesPerEU: 1
; Occupancy: 16
; WaveLimiterHint : 0
; COMPUTE_PGM_RSRC2:SCRATCH_EN: 0
; COMPUTE_PGM_RSRC2:USER_SGPR: 6
; COMPUTE_PGM_RSRC2:TRAP_HANDLER: 0
; COMPUTE_PGM_RSRC2:TGID_X_EN: 1
; COMPUTE_PGM_RSRC2:TGID_Y_EN: 0
; COMPUTE_PGM_RSRC2:TGID_Z_EN: 0
; COMPUTE_PGM_RSRC2:TIDIG_COMP_CNT: 0
	.section	.text._ZN7rocprim17ROCPRIM_400000_NS6detail17trampoline_kernelINS0_13select_configILj256ELj13ELNS0_17block_load_methodE3ELS4_3ELS4_3ELNS0_20block_scan_algorithmE0ELj4294967295EEENS1_25partition_config_selectorILNS1_17partition_subalgoE4EjNS0_10empty_typeEbEEZZNS1_14partition_implILS8_4ELb0ES6_15HIP_vector_typeIjLj2EENS0_17counting_iteratorIjlEEPS9_SG_NS0_5tupleIJPjSI_NS0_16reverse_iteratorISI_EEEEENSH_IJSG_SG_SG_EEES9_SI_JZNS1_25segmented_radix_sort_implINS0_14default_configELb1EPK12hip_bfloat16PSP_PKlPlN2at6native12_GLOBAL__N_18offset_tEEE10hipError_tPvRmT1_PNSt15iterator_traitsIS13_E10value_typeET2_T3_PNS14_IS19_E10value_typeET4_jRbjT5_S1F_jjP12ihipStream_tbEUljE_ZNSN_ISO_Lb1ESR_SS_SU_SV_SZ_EES10_S11_S12_S13_S17_S18_S19_S1C_S1D_jS1E_jS1F_S1F_jjS1H_bEUljE0_EEES10_S11_S12_S19_S1D_S1F_T6_T7_T9_mT8_S1H_bDpT10_ENKUlT_T0_E_clISt17integral_constantIbLb0EES1V_EEDaS1Q_S1R_EUlS1Q_E_NS1_11comp_targetILNS1_3genE2ELNS1_11target_archE906ELNS1_3gpuE6ELNS1_3repE0EEENS1_30default_config_static_selectorELNS0_4arch9wavefront6targetE0EEEvS13_,"axG",@progbits,_ZN7rocprim17ROCPRIM_400000_NS6detail17trampoline_kernelINS0_13select_configILj256ELj13ELNS0_17block_load_methodE3ELS4_3ELS4_3ELNS0_20block_scan_algorithmE0ELj4294967295EEENS1_25partition_config_selectorILNS1_17partition_subalgoE4EjNS0_10empty_typeEbEEZZNS1_14partition_implILS8_4ELb0ES6_15HIP_vector_typeIjLj2EENS0_17counting_iteratorIjlEEPS9_SG_NS0_5tupleIJPjSI_NS0_16reverse_iteratorISI_EEEEENSH_IJSG_SG_SG_EEES9_SI_JZNS1_25segmented_radix_sort_implINS0_14default_configELb1EPK12hip_bfloat16PSP_PKlPlN2at6native12_GLOBAL__N_18offset_tEEE10hipError_tPvRmT1_PNSt15iterator_traitsIS13_E10value_typeET2_T3_PNS14_IS19_E10value_typeET4_jRbjT5_S1F_jjP12ihipStream_tbEUljE_ZNSN_ISO_Lb1ESR_SS_SU_SV_SZ_EES10_S11_S12_S13_S17_S18_S19_S1C_S1D_jS1E_jS1F_S1F_jjS1H_bEUljE0_EEES10_S11_S12_S19_S1D_S1F_T6_T7_T9_mT8_S1H_bDpT10_ENKUlT_T0_E_clISt17integral_constantIbLb0EES1V_EEDaS1Q_S1R_EUlS1Q_E_NS1_11comp_targetILNS1_3genE2ELNS1_11target_archE906ELNS1_3gpuE6ELNS1_3repE0EEENS1_30default_config_static_selectorELNS0_4arch9wavefront6targetE0EEEvS13_,comdat
	.globl	_ZN7rocprim17ROCPRIM_400000_NS6detail17trampoline_kernelINS0_13select_configILj256ELj13ELNS0_17block_load_methodE3ELS4_3ELS4_3ELNS0_20block_scan_algorithmE0ELj4294967295EEENS1_25partition_config_selectorILNS1_17partition_subalgoE4EjNS0_10empty_typeEbEEZZNS1_14partition_implILS8_4ELb0ES6_15HIP_vector_typeIjLj2EENS0_17counting_iteratorIjlEEPS9_SG_NS0_5tupleIJPjSI_NS0_16reverse_iteratorISI_EEEEENSH_IJSG_SG_SG_EEES9_SI_JZNS1_25segmented_radix_sort_implINS0_14default_configELb1EPK12hip_bfloat16PSP_PKlPlN2at6native12_GLOBAL__N_18offset_tEEE10hipError_tPvRmT1_PNSt15iterator_traitsIS13_E10value_typeET2_T3_PNS14_IS19_E10value_typeET4_jRbjT5_S1F_jjP12ihipStream_tbEUljE_ZNSN_ISO_Lb1ESR_SS_SU_SV_SZ_EES10_S11_S12_S13_S17_S18_S19_S1C_S1D_jS1E_jS1F_S1F_jjS1H_bEUljE0_EEES10_S11_S12_S19_S1D_S1F_T6_T7_T9_mT8_S1H_bDpT10_ENKUlT_T0_E_clISt17integral_constantIbLb0EES1V_EEDaS1Q_S1R_EUlS1Q_E_NS1_11comp_targetILNS1_3genE2ELNS1_11target_archE906ELNS1_3gpuE6ELNS1_3repE0EEENS1_30default_config_static_selectorELNS0_4arch9wavefront6targetE0EEEvS13_ ; -- Begin function _ZN7rocprim17ROCPRIM_400000_NS6detail17trampoline_kernelINS0_13select_configILj256ELj13ELNS0_17block_load_methodE3ELS4_3ELS4_3ELNS0_20block_scan_algorithmE0ELj4294967295EEENS1_25partition_config_selectorILNS1_17partition_subalgoE4EjNS0_10empty_typeEbEEZZNS1_14partition_implILS8_4ELb0ES6_15HIP_vector_typeIjLj2EENS0_17counting_iteratorIjlEEPS9_SG_NS0_5tupleIJPjSI_NS0_16reverse_iteratorISI_EEEEENSH_IJSG_SG_SG_EEES9_SI_JZNS1_25segmented_radix_sort_implINS0_14default_configELb1EPK12hip_bfloat16PSP_PKlPlN2at6native12_GLOBAL__N_18offset_tEEE10hipError_tPvRmT1_PNSt15iterator_traitsIS13_E10value_typeET2_T3_PNS14_IS19_E10value_typeET4_jRbjT5_S1F_jjP12ihipStream_tbEUljE_ZNSN_ISO_Lb1ESR_SS_SU_SV_SZ_EES10_S11_S12_S13_S17_S18_S19_S1C_S1D_jS1E_jS1F_S1F_jjS1H_bEUljE0_EEES10_S11_S12_S19_S1D_S1F_T6_T7_T9_mT8_S1H_bDpT10_ENKUlT_T0_E_clISt17integral_constantIbLb0EES1V_EEDaS1Q_S1R_EUlS1Q_E_NS1_11comp_targetILNS1_3genE2ELNS1_11target_archE906ELNS1_3gpuE6ELNS1_3repE0EEENS1_30default_config_static_selectorELNS0_4arch9wavefront6targetE0EEEvS13_
	.p2align	8
	.type	_ZN7rocprim17ROCPRIM_400000_NS6detail17trampoline_kernelINS0_13select_configILj256ELj13ELNS0_17block_load_methodE3ELS4_3ELS4_3ELNS0_20block_scan_algorithmE0ELj4294967295EEENS1_25partition_config_selectorILNS1_17partition_subalgoE4EjNS0_10empty_typeEbEEZZNS1_14partition_implILS8_4ELb0ES6_15HIP_vector_typeIjLj2EENS0_17counting_iteratorIjlEEPS9_SG_NS0_5tupleIJPjSI_NS0_16reverse_iteratorISI_EEEEENSH_IJSG_SG_SG_EEES9_SI_JZNS1_25segmented_radix_sort_implINS0_14default_configELb1EPK12hip_bfloat16PSP_PKlPlN2at6native12_GLOBAL__N_18offset_tEEE10hipError_tPvRmT1_PNSt15iterator_traitsIS13_E10value_typeET2_T3_PNS14_IS19_E10value_typeET4_jRbjT5_S1F_jjP12ihipStream_tbEUljE_ZNSN_ISO_Lb1ESR_SS_SU_SV_SZ_EES10_S11_S12_S13_S17_S18_S19_S1C_S1D_jS1E_jS1F_S1F_jjS1H_bEUljE0_EEES10_S11_S12_S19_S1D_S1F_T6_T7_T9_mT8_S1H_bDpT10_ENKUlT_T0_E_clISt17integral_constantIbLb0EES1V_EEDaS1Q_S1R_EUlS1Q_E_NS1_11comp_targetILNS1_3genE2ELNS1_11target_archE906ELNS1_3gpuE6ELNS1_3repE0EEENS1_30default_config_static_selectorELNS0_4arch9wavefront6targetE0EEEvS13_,@function
_ZN7rocprim17ROCPRIM_400000_NS6detail17trampoline_kernelINS0_13select_configILj256ELj13ELNS0_17block_load_methodE3ELS4_3ELS4_3ELNS0_20block_scan_algorithmE0ELj4294967295EEENS1_25partition_config_selectorILNS1_17partition_subalgoE4EjNS0_10empty_typeEbEEZZNS1_14partition_implILS8_4ELb0ES6_15HIP_vector_typeIjLj2EENS0_17counting_iteratorIjlEEPS9_SG_NS0_5tupleIJPjSI_NS0_16reverse_iteratorISI_EEEEENSH_IJSG_SG_SG_EEES9_SI_JZNS1_25segmented_radix_sort_implINS0_14default_configELb1EPK12hip_bfloat16PSP_PKlPlN2at6native12_GLOBAL__N_18offset_tEEE10hipError_tPvRmT1_PNSt15iterator_traitsIS13_E10value_typeET2_T3_PNS14_IS19_E10value_typeET4_jRbjT5_S1F_jjP12ihipStream_tbEUljE_ZNSN_ISO_Lb1ESR_SS_SU_SV_SZ_EES10_S11_S12_S13_S17_S18_S19_S1C_S1D_jS1E_jS1F_S1F_jjS1H_bEUljE0_EEES10_S11_S12_S19_S1D_S1F_T6_T7_T9_mT8_S1H_bDpT10_ENKUlT_T0_E_clISt17integral_constantIbLb0EES1V_EEDaS1Q_S1R_EUlS1Q_E_NS1_11comp_targetILNS1_3genE2ELNS1_11target_archE906ELNS1_3gpuE6ELNS1_3repE0EEENS1_30default_config_static_selectorELNS0_4arch9wavefront6targetE0EEEvS13_: ; @_ZN7rocprim17ROCPRIM_400000_NS6detail17trampoline_kernelINS0_13select_configILj256ELj13ELNS0_17block_load_methodE3ELS4_3ELS4_3ELNS0_20block_scan_algorithmE0ELj4294967295EEENS1_25partition_config_selectorILNS1_17partition_subalgoE4EjNS0_10empty_typeEbEEZZNS1_14partition_implILS8_4ELb0ES6_15HIP_vector_typeIjLj2EENS0_17counting_iteratorIjlEEPS9_SG_NS0_5tupleIJPjSI_NS0_16reverse_iteratorISI_EEEEENSH_IJSG_SG_SG_EEES9_SI_JZNS1_25segmented_radix_sort_implINS0_14default_configELb1EPK12hip_bfloat16PSP_PKlPlN2at6native12_GLOBAL__N_18offset_tEEE10hipError_tPvRmT1_PNSt15iterator_traitsIS13_E10value_typeET2_T3_PNS14_IS19_E10value_typeET4_jRbjT5_S1F_jjP12ihipStream_tbEUljE_ZNSN_ISO_Lb1ESR_SS_SU_SV_SZ_EES10_S11_S12_S13_S17_S18_S19_S1C_S1D_jS1E_jS1F_S1F_jjS1H_bEUljE0_EEES10_S11_S12_S19_S1D_S1F_T6_T7_T9_mT8_S1H_bDpT10_ENKUlT_T0_E_clISt17integral_constantIbLb0EES1V_EEDaS1Q_S1R_EUlS1Q_E_NS1_11comp_targetILNS1_3genE2ELNS1_11target_archE906ELNS1_3gpuE6ELNS1_3repE0EEENS1_30default_config_static_selectorELNS0_4arch9wavefront6targetE0EEEvS13_
; %bb.0:
	.section	.rodata,"a",@progbits
	.p2align	6, 0x0
	.amdhsa_kernel _ZN7rocprim17ROCPRIM_400000_NS6detail17trampoline_kernelINS0_13select_configILj256ELj13ELNS0_17block_load_methodE3ELS4_3ELS4_3ELNS0_20block_scan_algorithmE0ELj4294967295EEENS1_25partition_config_selectorILNS1_17partition_subalgoE4EjNS0_10empty_typeEbEEZZNS1_14partition_implILS8_4ELb0ES6_15HIP_vector_typeIjLj2EENS0_17counting_iteratorIjlEEPS9_SG_NS0_5tupleIJPjSI_NS0_16reverse_iteratorISI_EEEEENSH_IJSG_SG_SG_EEES9_SI_JZNS1_25segmented_radix_sort_implINS0_14default_configELb1EPK12hip_bfloat16PSP_PKlPlN2at6native12_GLOBAL__N_18offset_tEEE10hipError_tPvRmT1_PNSt15iterator_traitsIS13_E10value_typeET2_T3_PNS14_IS19_E10value_typeET4_jRbjT5_S1F_jjP12ihipStream_tbEUljE_ZNSN_ISO_Lb1ESR_SS_SU_SV_SZ_EES10_S11_S12_S13_S17_S18_S19_S1C_S1D_jS1E_jS1F_S1F_jjS1H_bEUljE0_EEES10_S11_S12_S19_S1D_S1F_T6_T7_T9_mT8_S1H_bDpT10_ENKUlT_T0_E_clISt17integral_constantIbLb0EES1V_EEDaS1Q_S1R_EUlS1Q_E_NS1_11comp_targetILNS1_3genE2ELNS1_11target_archE906ELNS1_3gpuE6ELNS1_3repE0EEENS1_30default_config_static_selectorELNS0_4arch9wavefront6targetE0EEEvS13_
		.amdhsa_group_segment_fixed_size 0
		.amdhsa_private_segment_fixed_size 0
		.amdhsa_kernarg_size 176
		.amdhsa_user_sgpr_count 6
		.amdhsa_user_sgpr_private_segment_buffer 1
		.amdhsa_user_sgpr_dispatch_ptr 0
		.amdhsa_user_sgpr_queue_ptr 0
		.amdhsa_user_sgpr_kernarg_segment_ptr 1
		.amdhsa_user_sgpr_dispatch_id 0
		.amdhsa_user_sgpr_flat_scratch_init 0
		.amdhsa_user_sgpr_private_segment_size 0
		.amdhsa_wavefront_size32 1
		.amdhsa_uses_dynamic_stack 0
		.amdhsa_system_sgpr_private_segment_wavefront_offset 0
		.amdhsa_system_sgpr_workgroup_id_x 1
		.amdhsa_system_sgpr_workgroup_id_y 0
		.amdhsa_system_sgpr_workgroup_id_z 0
		.amdhsa_system_sgpr_workgroup_info 0
		.amdhsa_system_vgpr_workitem_id 0
		.amdhsa_next_free_vgpr 1
		.amdhsa_next_free_sgpr 1
		.amdhsa_reserve_vcc 0
		.amdhsa_reserve_flat_scratch 0
		.amdhsa_float_round_mode_32 0
		.amdhsa_float_round_mode_16_64 0
		.amdhsa_float_denorm_mode_32 3
		.amdhsa_float_denorm_mode_16_64 3
		.amdhsa_dx10_clamp 1
		.amdhsa_ieee_mode 1
		.amdhsa_fp16_overflow 0
		.amdhsa_workgroup_processor_mode 1
		.amdhsa_memory_ordered 1
		.amdhsa_forward_progress 1
		.amdhsa_shared_vgpr_count 0
		.amdhsa_exception_fp_ieee_invalid_op 0
		.amdhsa_exception_fp_denorm_src 0
		.amdhsa_exception_fp_ieee_div_zero 0
		.amdhsa_exception_fp_ieee_overflow 0
		.amdhsa_exception_fp_ieee_underflow 0
		.amdhsa_exception_fp_ieee_inexact 0
		.amdhsa_exception_int_div_zero 0
	.end_amdhsa_kernel
	.section	.text._ZN7rocprim17ROCPRIM_400000_NS6detail17trampoline_kernelINS0_13select_configILj256ELj13ELNS0_17block_load_methodE3ELS4_3ELS4_3ELNS0_20block_scan_algorithmE0ELj4294967295EEENS1_25partition_config_selectorILNS1_17partition_subalgoE4EjNS0_10empty_typeEbEEZZNS1_14partition_implILS8_4ELb0ES6_15HIP_vector_typeIjLj2EENS0_17counting_iteratorIjlEEPS9_SG_NS0_5tupleIJPjSI_NS0_16reverse_iteratorISI_EEEEENSH_IJSG_SG_SG_EEES9_SI_JZNS1_25segmented_radix_sort_implINS0_14default_configELb1EPK12hip_bfloat16PSP_PKlPlN2at6native12_GLOBAL__N_18offset_tEEE10hipError_tPvRmT1_PNSt15iterator_traitsIS13_E10value_typeET2_T3_PNS14_IS19_E10value_typeET4_jRbjT5_S1F_jjP12ihipStream_tbEUljE_ZNSN_ISO_Lb1ESR_SS_SU_SV_SZ_EES10_S11_S12_S13_S17_S18_S19_S1C_S1D_jS1E_jS1F_S1F_jjS1H_bEUljE0_EEES10_S11_S12_S19_S1D_S1F_T6_T7_T9_mT8_S1H_bDpT10_ENKUlT_T0_E_clISt17integral_constantIbLb0EES1V_EEDaS1Q_S1R_EUlS1Q_E_NS1_11comp_targetILNS1_3genE2ELNS1_11target_archE906ELNS1_3gpuE6ELNS1_3repE0EEENS1_30default_config_static_selectorELNS0_4arch9wavefront6targetE0EEEvS13_,"axG",@progbits,_ZN7rocprim17ROCPRIM_400000_NS6detail17trampoline_kernelINS0_13select_configILj256ELj13ELNS0_17block_load_methodE3ELS4_3ELS4_3ELNS0_20block_scan_algorithmE0ELj4294967295EEENS1_25partition_config_selectorILNS1_17partition_subalgoE4EjNS0_10empty_typeEbEEZZNS1_14partition_implILS8_4ELb0ES6_15HIP_vector_typeIjLj2EENS0_17counting_iteratorIjlEEPS9_SG_NS0_5tupleIJPjSI_NS0_16reverse_iteratorISI_EEEEENSH_IJSG_SG_SG_EEES9_SI_JZNS1_25segmented_radix_sort_implINS0_14default_configELb1EPK12hip_bfloat16PSP_PKlPlN2at6native12_GLOBAL__N_18offset_tEEE10hipError_tPvRmT1_PNSt15iterator_traitsIS13_E10value_typeET2_T3_PNS14_IS19_E10value_typeET4_jRbjT5_S1F_jjP12ihipStream_tbEUljE_ZNSN_ISO_Lb1ESR_SS_SU_SV_SZ_EES10_S11_S12_S13_S17_S18_S19_S1C_S1D_jS1E_jS1F_S1F_jjS1H_bEUljE0_EEES10_S11_S12_S19_S1D_S1F_T6_T7_T9_mT8_S1H_bDpT10_ENKUlT_T0_E_clISt17integral_constantIbLb0EES1V_EEDaS1Q_S1R_EUlS1Q_E_NS1_11comp_targetILNS1_3genE2ELNS1_11target_archE906ELNS1_3gpuE6ELNS1_3repE0EEENS1_30default_config_static_selectorELNS0_4arch9wavefront6targetE0EEEvS13_,comdat
.Lfunc_end1876:
	.size	_ZN7rocprim17ROCPRIM_400000_NS6detail17trampoline_kernelINS0_13select_configILj256ELj13ELNS0_17block_load_methodE3ELS4_3ELS4_3ELNS0_20block_scan_algorithmE0ELj4294967295EEENS1_25partition_config_selectorILNS1_17partition_subalgoE4EjNS0_10empty_typeEbEEZZNS1_14partition_implILS8_4ELb0ES6_15HIP_vector_typeIjLj2EENS0_17counting_iteratorIjlEEPS9_SG_NS0_5tupleIJPjSI_NS0_16reverse_iteratorISI_EEEEENSH_IJSG_SG_SG_EEES9_SI_JZNS1_25segmented_radix_sort_implINS0_14default_configELb1EPK12hip_bfloat16PSP_PKlPlN2at6native12_GLOBAL__N_18offset_tEEE10hipError_tPvRmT1_PNSt15iterator_traitsIS13_E10value_typeET2_T3_PNS14_IS19_E10value_typeET4_jRbjT5_S1F_jjP12ihipStream_tbEUljE_ZNSN_ISO_Lb1ESR_SS_SU_SV_SZ_EES10_S11_S12_S13_S17_S18_S19_S1C_S1D_jS1E_jS1F_S1F_jjS1H_bEUljE0_EEES10_S11_S12_S19_S1D_S1F_T6_T7_T9_mT8_S1H_bDpT10_ENKUlT_T0_E_clISt17integral_constantIbLb0EES1V_EEDaS1Q_S1R_EUlS1Q_E_NS1_11comp_targetILNS1_3genE2ELNS1_11target_archE906ELNS1_3gpuE6ELNS1_3repE0EEENS1_30default_config_static_selectorELNS0_4arch9wavefront6targetE0EEEvS13_, .Lfunc_end1876-_ZN7rocprim17ROCPRIM_400000_NS6detail17trampoline_kernelINS0_13select_configILj256ELj13ELNS0_17block_load_methodE3ELS4_3ELS4_3ELNS0_20block_scan_algorithmE0ELj4294967295EEENS1_25partition_config_selectorILNS1_17partition_subalgoE4EjNS0_10empty_typeEbEEZZNS1_14partition_implILS8_4ELb0ES6_15HIP_vector_typeIjLj2EENS0_17counting_iteratorIjlEEPS9_SG_NS0_5tupleIJPjSI_NS0_16reverse_iteratorISI_EEEEENSH_IJSG_SG_SG_EEES9_SI_JZNS1_25segmented_radix_sort_implINS0_14default_configELb1EPK12hip_bfloat16PSP_PKlPlN2at6native12_GLOBAL__N_18offset_tEEE10hipError_tPvRmT1_PNSt15iterator_traitsIS13_E10value_typeET2_T3_PNS14_IS19_E10value_typeET4_jRbjT5_S1F_jjP12ihipStream_tbEUljE_ZNSN_ISO_Lb1ESR_SS_SU_SV_SZ_EES10_S11_S12_S13_S17_S18_S19_S1C_S1D_jS1E_jS1F_S1F_jjS1H_bEUljE0_EEES10_S11_S12_S19_S1D_S1F_T6_T7_T9_mT8_S1H_bDpT10_ENKUlT_T0_E_clISt17integral_constantIbLb0EES1V_EEDaS1Q_S1R_EUlS1Q_E_NS1_11comp_targetILNS1_3genE2ELNS1_11target_archE906ELNS1_3gpuE6ELNS1_3repE0EEENS1_30default_config_static_selectorELNS0_4arch9wavefront6targetE0EEEvS13_
                                        ; -- End function
	.set _ZN7rocprim17ROCPRIM_400000_NS6detail17trampoline_kernelINS0_13select_configILj256ELj13ELNS0_17block_load_methodE3ELS4_3ELS4_3ELNS0_20block_scan_algorithmE0ELj4294967295EEENS1_25partition_config_selectorILNS1_17partition_subalgoE4EjNS0_10empty_typeEbEEZZNS1_14partition_implILS8_4ELb0ES6_15HIP_vector_typeIjLj2EENS0_17counting_iteratorIjlEEPS9_SG_NS0_5tupleIJPjSI_NS0_16reverse_iteratorISI_EEEEENSH_IJSG_SG_SG_EEES9_SI_JZNS1_25segmented_radix_sort_implINS0_14default_configELb1EPK12hip_bfloat16PSP_PKlPlN2at6native12_GLOBAL__N_18offset_tEEE10hipError_tPvRmT1_PNSt15iterator_traitsIS13_E10value_typeET2_T3_PNS14_IS19_E10value_typeET4_jRbjT5_S1F_jjP12ihipStream_tbEUljE_ZNSN_ISO_Lb1ESR_SS_SU_SV_SZ_EES10_S11_S12_S13_S17_S18_S19_S1C_S1D_jS1E_jS1F_S1F_jjS1H_bEUljE0_EEES10_S11_S12_S19_S1D_S1F_T6_T7_T9_mT8_S1H_bDpT10_ENKUlT_T0_E_clISt17integral_constantIbLb0EES1V_EEDaS1Q_S1R_EUlS1Q_E_NS1_11comp_targetILNS1_3genE2ELNS1_11target_archE906ELNS1_3gpuE6ELNS1_3repE0EEENS1_30default_config_static_selectorELNS0_4arch9wavefront6targetE0EEEvS13_.num_vgpr, 0
	.set _ZN7rocprim17ROCPRIM_400000_NS6detail17trampoline_kernelINS0_13select_configILj256ELj13ELNS0_17block_load_methodE3ELS4_3ELS4_3ELNS0_20block_scan_algorithmE0ELj4294967295EEENS1_25partition_config_selectorILNS1_17partition_subalgoE4EjNS0_10empty_typeEbEEZZNS1_14partition_implILS8_4ELb0ES6_15HIP_vector_typeIjLj2EENS0_17counting_iteratorIjlEEPS9_SG_NS0_5tupleIJPjSI_NS0_16reverse_iteratorISI_EEEEENSH_IJSG_SG_SG_EEES9_SI_JZNS1_25segmented_radix_sort_implINS0_14default_configELb1EPK12hip_bfloat16PSP_PKlPlN2at6native12_GLOBAL__N_18offset_tEEE10hipError_tPvRmT1_PNSt15iterator_traitsIS13_E10value_typeET2_T3_PNS14_IS19_E10value_typeET4_jRbjT5_S1F_jjP12ihipStream_tbEUljE_ZNSN_ISO_Lb1ESR_SS_SU_SV_SZ_EES10_S11_S12_S13_S17_S18_S19_S1C_S1D_jS1E_jS1F_S1F_jjS1H_bEUljE0_EEES10_S11_S12_S19_S1D_S1F_T6_T7_T9_mT8_S1H_bDpT10_ENKUlT_T0_E_clISt17integral_constantIbLb0EES1V_EEDaS1Q_S1R_EUlS1Q_E_NS1_11comp_targetILNS1_3genE2ELNS1_11target_archE906ELNS1_3gpuE6ELNS1_3repE0EEENS1_30default_config_static_selectorELNS0_4arch9wavefront6targetE0EEEvS13_.num_agpr, 0
	.set _ZN7rocprim17ROCPRIM_400000_NS6detail17trampoline_kernelINS0_13select_configILj256ELj13ELNS0_17block_load_methodE3ELS4_3ELS4_3ELNS0_20block_scan_algorithmE0ELj4294967295EEENS1_25partition_config_selectorILNS1_17partition_subalgoE4EjNS0_10empty_typeEbEEZZNS1_14partition_implILS8_4ELb0ES6_15HIP_vector_typeIjLj2EENS0_17counting_iteratorIjlEEPS9_SG_NS0_5tupleIJPjSI_NS0_16reverse_iteratorISI_EEEEENSH_IJSG_SG_SG_EEES9_SI_JZNS1_25segmented_radix_sort_implINS0_14default_configELb1EPK12hip_bfloat16PSP_PKlPlN2at6native12_GLOBAL__N_18offset_tEEE10hipError_tPvRmT1_PNSt15iterator_traitsIS13_E10value_typeET2_T3_PNS14_IS19_E10value_typeET4_jRbjT5_S1F_jjP12ihipStream_tbEUljE_ZNSN_ISO_Lb1ESR_SS_SU_SV_SZ_EES10_S11_S12_S13_S17_S18_S19_S1C_S1D_jS1E_jS1F_S1F_jjS1H_bEUljE0_EEES10_S11_S12_S19_S1D_S1F_T6_T7_T9_mT8_S1H_bDpT10_ENKUlT_T0_E_clISt17integral_constantIbLb0EES1V_EEDaS1Q_S1R_EUlS1Q_E_NS1_11comp_targetILNS1_3genE2ELNS1_11target_archE906ELNS1_3gpuE6ELNS1_3repE0EEENS1_30default_config_static_selectorELNS0_4arch9wavefront6targetE0EEEvS13_.numbered_sgpr, 0
	.set _ZN7rocprim17ROCPRIM_400000_NS6detail17trampoline_kernelINS0_13select_configILj256ELj13ELNS0_17block_load_methodE3ELS4_3ELS4_3ELNS0_20block_scan_algorithmE0ELj4294967295EEENS1_25partition_config_selectorILNS1_17partition_subalgoE4EjNS0_10empty_typeEbEEZZNS1_14partition_implILS8_4ELb0ES6_15HIP_vector_typeIjLj2EENS0_17counting_iteratorIjlEEPS9_SG_NS0_5tupleIJPjSI_NS0_16reverse_iteratorISI_EEEEENSH_IJSG_SG_SG_EEES9_SI_JZNS1_25segmented_radix_sort_implINS0_14default_configELb1EPK12hip_bfloat16PSP_PKlPlN2at6native12_GLOBAL__N_18offset_tEEE10hipError_tPvRmT1_PNSt15iterator_traitsIS13_E10value_typeET2_T3_PNS14_IS19_E10value_typeET4_jRbjT5_S1F_jjP12ihipStream_tbEUljE_ZNSN_ISO_Lb1ESR_SS_SU_SV_SZ_EES10_S11_S12_S13_S17_S18_S19_S1C_S1D_jS1E_jS1F_S1F_jjS1H_bEUljE0_EEES10_S11_S12_S19_S1D_S1F_T6_T7_T9_mT8_S1H_bDpT10_ENKUlT_T0_E_clISt17integral_constantIbLb0EES1V_EEDaS1Q_S1R_EUlS1Q_E_NS1_11comp_targetILNS1_3genE2ELNS1_11target_archE906ELNS1_3gpuE6ELNS1_3repE0EEENS1_30default_config_static_selectorELNS0_4arch9wavefront6targetE0EEEvS13_.num_named_barrier, 0
	.set _ZN7rocprim17ROCPRIM_400000_NS6detail17trampoline_kernelINS0_13select_configILj256ELj13ELNS0_17block_load_methodE3ELS4_3ELS4_3ELNS0_20block_scan_algorithmE0ELj4294967295EEENS1_25partition_config_selectorILNS1_17partition_subalgoE4EjNS0_10empty_typeEbEEZZNS1_14partition_implILS8_4ELb0ES6_15HIP_vector_typeIjLj2EENS0_17counting_iteratorIjlEEPS9_SG_NS0_5tupleIJPjSI_NS0_16reverse_iteratorISI_EEEEENSH_IJSG_SG_SG_EEES9_SI_JZNS1_25segmented_radix_sort_implINS0_14default_configELb1EPK12hip_bfloat16PSP_PKlPlN2at6native12_GLOBAL__N_18offset_tEEE10hipError_tPvRmT1_PNSt15iterator_traitsIS13_E10value_typeET2_T3_PNS14_IS19_E10value_typeET4_jRbjT5_S1F_jjP12ihipStream_tbEUljE_ZNSN_ISO_Lb1ESR_SS_SU_SV_SZ_EES10_S11_S12_S13_S17_S18_S19_S1C_S1D_jS1E_jS1F_S1F_jjS1H_bEUljE0_EEES10_S11_S12_S19_S1D_S1F_T6_T7_T9_mT8_S1H_bDpT10_ENKUlT_T0_E_clISt17integral_constantIbLb0EES1V_EEDaS1Q_S1R_EUlS1Q_E_NS1_11comp_targetILNS1_3genE2ELNS1_11target_archE906ELNS1_3gpuE6ELNS1_3repE0EEENS1_30default_config_static_selectorELNS0_4arch9wavefront6targetE0EEEvS13_.private_seg_size, 0
	.set _ZN7rocprim17ROCPRIM_400000_NS6detail17trampoline_kernelINS0_13select_configILj256ELj13ELNS0_17block_load_methodE3ELS4_3ELS4_3ELNS0_20block_scan_algorithmE0ELj4294967295EEENS1_25partition_config_selectorILNS1_17partition_subalgoE4EjNS0_10empty_typeEbEEZZNS1_14partition_implILS8_4ELb0ES6_15HIP_vector_typeIjLj2EENS0_17counting_iteratorIjlEEPS9_SG_NS0_5tupleIJPjSI_NS0_16reverse_iteratorISI_EEEEENSH_IJSG_SG_SG_EEES9_SI_JZNS1_25segmented_radix_sort_implINS0_14default_configELb1EPK12hip_bfloat16PSP_PKlPlN2at6native12_GLOBAL__N_18offset_tEEE10hipError_tPvRmT1_PNSt15iterator_traitsIS13_E10value_typeET2_T3_PNS14_IS19_E10value_typeET4_jRbjT5_S1F_jjP12ihipStream_tbEUljE_ZNSN_ISO_Lb1ESR_SS_SU_SV_SZ_EES10_S11_S12_S13_S17_S18_S19_S1C_S1D_jS1E_jS1F_S1F_jjS1H_bEUljE0_EEES10_S11_S12_S19_S1D_S1F_T6_T7_T9_mT8_S1H_bDpT10_ENKUlT_T0_E_clISt17integral_constantIbLb0EES1V_EEDaS1Q_S1R_EUlS1Q_E_NS1_11comp_targetILNS1_3genE2ELNS1_11target_archE906ELNS1_3gpuE6ELNS1_3repE0EEENS1_30default_config_static_selectorELNS0_4arch9wavefront6targetE0EEEvS13_.uses_vcc, 0
	.set _ZN7rocprim17ROCPRIM_400000_NS6detail17trampoline_kernelINS0_13select_configILj256ELj13ELNS0_17block_load_methodE3ELS4_3ELS4_3ELNS0_20block_scan_algorithmE0ELj4294967295EEENS1_25partition_config_selectorILNS1_17partition_subalgoE4EjNS0_10empty_typeEbEEZZNS1_14partition_implILS8_4ELb0ES6_15HIP_vector_typeIjLj2EENS0_17counting_iteratorIjlEEPS9_SG_NS0_5tupleIJPjSI_NS0_16reverse_iteratorISI_EEEEENSH_IJSG_SG_SG_EEES9_SI_JZNS1_25segmented_radix_sort_implINS0_14default_configELb1EPK12hip_bfloat16PSP_PKlPlN2at6native12_GLOBAL__N_18offset_tEEE10hipError_tPvRmT1_PNSt15iterator_traitsIS13_E10value_typeET2_T3_PNS14_IS19_E10value_typeET4_jRbjT5_S1F_jjP12ihipStream_tbEUljE_ZNSN_ISO_Lb1ESR_SS_SU_SV_SZ_EES10_S11_S12_S13_S17_S18_S19_S1C_S1D_jS1E_jS1F_S1F_jjS1H_bEUljE0_EEES10_S11_S12_S19_S1D_S1F_T6_T7_T9_mT8_S1H_bDpT10_ENKUlT_T0_E_clISt17integral_constantIbLb0EES1V_EEDaS1Q_S1R_EUlS1Q_E_NS1_11comp_targetILNS1_3genE2ELNS1_11target_archE906ELNS1_3gpuE6ELNS1_3repE0EEENS1_30default_config_static_selectorELNS0_4arch9wavefront6targetE0EEEvS13_.uses_flat_scratch, 0
	.set _ZN7rocprim17ROCPRIM_400000_NS6detail17trampoline_kernelINS0_13select_configILj256ELj13ELNS0_17block_load_methodE3ELS4_3ELS4_3ELNS0_20block_scan_algorithmE0ELj4294967295EEENS1_25partition_config_selectorILNS1_17partition_subalgoE4EjNS0_10empty_typeEbEEZZNS1_14partition_implILS8_4ELb0ES6_15HIP_vector_typeIjLj2EENS0_17counting_iteratorIjlEEPS9_SG_NS0_5tupleIJPjSI_NS0_16reverse_iteratorISI_EEEEENSH_IJSG_SG_SG_EEES9_SI_JZNS1_25segmented_radix_sort_implINS0_14default_configELb1EPK12hip_bfloat16PSP_PKlPlN2at6native12_GLOBAL__N_18offset_tEEE10hipError_tPvRmT1_PNSt15iterator_traitsIS13_E10value_typeET2_T3_PNS14_IS19_E10value_typeET4_jRbjT5_S1F_jjP12ihipStream_tbEUljE_ZNSN_ISO_Lb1ESR_SS_SU_SV_SZ_EES10_S11_S12_S13_S17_S18_S19_S1C_S1D_jS1E_jS1F_S1F_jjS1H_bEUljE0_EEES10_S11_S12_S19_S1D_S1F_T6_T7_T9_mT8_S1H_bDpT10_ENKUlT_T0_E_clISt17integral_constantIbLb0EES1V_EEDaS1Q_S1R_EUlS1Q_E_NS1_11comp_targetILNS1_3genE2ELNS1_11target_archE906ELNS1_3gpuE6ELNS1_3repE0EEENS1_30default_config_static_selectorELNS0_4arch9wavefront6targetE0EEEvS13_.has_dyn_sized_stack, 0
	.set _ZN7rocprim17ROCPRIM_400000_NS6detail17trampoline_kernelINS0_13select_configILj256ELj13ELNS0_17block_load_methodE3ELS4_3ELS4_3ELNS0_20block_scan_algorithmE0ELj4294967295EEENS1_25partition_config_selectorILNS1_17partition_subalgoE4EjNS0_10empty_typeEbEEZZNS1_14partition_implILS8_4ELb0ES6_15HIP_vector_typeIjLj2EENS0_17counting_iteratorIjlEEPS9_SG_NS0_5tupleIJPjSI_NS0_16reverse_iteratorISI_EEEEENSH_IJSG_SG_SG_EEES9_SI_JZNS1_25segmented_radix_sort_implINS0_14default_configELb1EPK12hip_bfloat16PSP_PKlPlN2at6native12_GLOBAL__N_18offset_tEEE10hipError_tPvRmT1_PNSt15iterator_traitsIS13_E10value_typeET2_T3_PNS14_IS19_E10value_typeET4_jRbjT5_S1F_jjP12ihipStream_tbEUljE_ZNSN_ISO_Lb1ESR_SS_SU_SV_SZ_EES10_S11_S12_S13_S17_S18_S19_S1C_S1D_jS1E_jS1F_S1F_jjS1H_bEUljE0_EEES10_S11_S12_S19_S1D_S1F_T6_T7_T9_mT8_S1H_bDpT10_ENKUlT_T0_E_clISt17integral_constantIbLb0EES1V_EEDaS1Q_S1R_EUlS1Q_E_NS1_11comp_targetILNS1_3genE2ELNS1_11target_archE906ELNS1_3gpuE6ELNS1_3repE0EEENS1_30default_config_static_selectorELNS0_4arch9wavefront6targetE0EEEvS13_.has_recursion, 0
	.set _ZN7rocprim17ROCPRIM_400000_NS6detail17trampoline_kernelINS0_13select_configILj256ELj13ELNS0_17block_load_methodE3ELS4_3ELS4_3ELNS0_20block_scan_algorithmE0ELj4294967295EEENS1_25partition_config_selectorILNS1_17partition_subalgoE4EjNS0_10empty_typeEbEEZZNS1_14partition_implILS8_4ELb0ES6_15HIP_vector_typeIjLj2EENS0_17counting_iteratorIjlEEPS9_SG_NS0_5tupleIJPjSI_NS0_16reverse_iteratorISI_EEEEENSH_IJSG_SG_SG_EEES9_SI_JZNS1_25segmented_radix_sort_implINS0_14default_configELb1EPK12hip_bfloat16PSP_PKlPlN2at6native12_GLOBAL__N_18offset_tEEE10hipError_tPvRmT1_PNSt15iterator_traitsIS13_E10value_typeET2_T3_PNS14_IS19_E10value_typeET4_jRbjT5_S1F_jjP12ihipStream_tbEUljE_ZNSN_ISO_Lb1ESR_SS_SU_SV_SZ_EES10_S11_S12_S13_S17_S18_S19_S1C_S1D_jS1E_jS1F_S1F_jjS1H_bEUljE0_EEES10_S11_S12_S19_S1D_S1F_T6_T7_T9_mT8_S1H_bDpT10_ENKUlT_T0_E_clISt17integral_constantIbLb0EES1V_EEDaS1Q_S1R_EUlS1Q_E_NS1_11comp_targetILNS1_3genE2ELNS1_11target_archE906ELNS1_3gpuE6ELNS1_3repE0EEENS1_30default_config_static_selectorELNS0_4arch9wavefront6targetE0EEEvS13_.has_indirect_call, 0
	.section	.AMDGPU.csdata,"",@progbits
; Kernel info:
; codeLenInByte = 0
; TotalNumSgprs: 0
; NumVgprs: 0
; ScratchSize: 0
; MemoryBound: 0
; FloatMode: 240
; IeeeMode: 1
; LDSByteSize: 0 bytes/workgroup (compile time only)
; SGPRBlocks: 0
; VGPRBlocks: 0
; NumSGPRsForWavesPerEU: 1
; NumVGPRsForWavesPerEU: 1
; Occupancy: 16
; WaveLimiterHint : 0
; COMPUTE_PGM_RSRC2:SCRATCH_EN: 0
; COMPUTE_PGM_RSRC2:USER_SGPR: 6
; COMPUTE_PGM_RSRC2:TRAP_HANDLER: 0
; COMPUTE_PGM_RSRC2:TGID_X_EN: 1
; COMPUTE_PGM_RSRC2:TGID_Y_EN: 0
; COMPUTE_PGM_RSRC2:TGID_Z_EN: 0
; COMPUTE_PGM_RSRC2:TIDIG_COMP_CNT: 0
	.section	.text._ZN7rocprim17ROCPRIM_400000_NS6detail17trampoline_kernelINS0_13select_configILj256ELj13ELNS0_17block_load_methodE3ELS4_3ELS4_3ELNS0_20block_scan_algorithmE0ELj4294967295EEENS1_25partition_config_selectorILNS1_17partition_subalgoE4EjNS0_10empty_typeEbEEZZNS1_14partition_implILS8_4ELb0ES6_15HIP_vector_typeIjLj2EENS0_17counting_iteratorIjlEEPS9_SG_NS0_5tupleIJPjSI_NS0_16reverse_iteratorISI_EEEEENSH_IJSG_SG_SG_EEES9_SI_JZNS1_25segmented_radix_sort_implINS0_14default_configELb1EPK12hip_bfloat16PSP_PKlPlN2at6native12_GLOBAL__N_18offset_tEEE10hipError_tPvRmT1_PNSt15iterator_traitsIS13_E10value_typeET2_T3_PNS14_IS19_E10value_typeET4_jRbjT5_S1F_jjP12ihipStream_tbEUljE_ZNSN_ISO_Lb1ESR_SS_SU_SV_SZ_EES10_S11_S12_S13_S17_S18_S19_S1C_S1D_jS1E_jS1F_S1F_jjS1H_bEUljE0_EEES10_S11_S12_S19_S1D_S1F_T6_T7_T9_mT8_S1H_bDpT10_ENKUlT_T0_E_clISt17integral_constantIbLb0EES1V_EEDaS1Q_S1R_EUlS1Q_E_NS1_11comp_targetILNS1_3genE10ELNS1_11target_archE1200ELNS1_3gpuE4ELNS1_3repE0EEENS1_30default_config_static_selectorELNS0_4arch9wavefront6targetE0EEEvS13_,"axG",@progbits,_ZN7rocprim17ROCPRIM_400000_NS6detail17trampoline_kernelINS0_13select_configILj256ELj13ELNS0_17block_load_methodE3ELS4_3ELS4_3ELNS0_20block_scan_algorithmE0ELj4294967295EEENS1_25partition_config_selectorILNS1_17partition_subalgoE4EjNS0_10empty_typeEbEEZZNS1_14partition_implILS8_4ELb0ES6_15HIP_vector_typeIjLj2EENS0_17counting_iteratorIjlEEPS9_SG_NS0_5tupleIJPjSI_NS0_16reverse_iteratorISI_EEEEENSH_IJSG_SG_SG_EEES9_SI_JZNS1_25segmented_radix_sort_implINS0_14default_configELb1EPK12hip_bfloat16PSP_PKlPlN2at6native12_GLOBAL__N_18offset_tEEE10hipError_tPvRmT1_PNSt15iterator_traitsIS13_E10value_typeET2_T3_PNS14_IS19_E10value_typeET4_jRbjT5_S1F_jjP12ihipStream_tbEUljE_ZNSN_ISO_Lb1ESR_SS_SU_SV_SZ_EES10_S11_S12_S13_S17_S18_S19_S1C_S1D_jS1E_jS1F_S1F_jjS1H_bEUljE0_EEES10_S11_S12_S19_S1D_S1F_T6_T7_T9_mT8_S1H_bDpT10_ENKUlT_T0_E_clISt17integral_constantIbLb0EES1V_EEDaS1Q_S1R_EUlS1Q_E_NS1_11comp_targetILNS1_3genE10ELNS1_11target_archE1200ELNS1_3gpuE4ELNS1_3repE0EEENS1_30default_config_static_selectorELNS0_4arch9wavefront6targetE0EEEvS13_,comdat
	.globl	_ZN7rocprim17ROCPRIM_400000_NS6detail17trampoline_kernelINS0_13select_configILj256ELj13ELNS0_17block_load_methodE3ELS4_3ELS4_3ELNS0_20block_scan_algorithmE0ELj4294967295EEENS1_25partition_config_selectorILNS1_17partition_subalgoE4EjNS0_10empty_typeEbEEZZNS1_14partition_implILS8_4ELb0ES6_15HIP_vector_typeIjLj2EENS0_17counting_iteratorIjlEEPS9_SG_NS0_5tupleIJPjSI_NS0_16reverse_iteratorISI_EEEEENSH_IJSG_SG_SG_EEES9_SI_JZNS1_25segmented_radix_sort_implINS0_14default_configELb1EPK12hip_bfloat16PSP_PKlPlN2at6native12_GLOBAL__N_18offset_tEEE10hipError_tPvRmT1_PNSt15iterator_traitsIS13_E10value_typeET2_T3_PNS14_IS19_E10value_typeET4_jRbjT5_S1F_jjP12ihipStream_tbEUljE_ZNSN_ISO_Lb1ESR_SS_SU_SV_SZ_EES10_S11_S12_S13_S17_S18_S19_S1C_S1D_jS1E_jS1F_S1F_jjS1H_bEUljE0_EEES10_S11_S12_S19_S1D_S1F_T6_T7_T9_mT8_S1H_bDpT10_ENKUlT_T0_E_clISt17integral_constantIbLb0EES1V_EEDaS1Q_S1R_EUlS1Q_E_NS1_11comp_targetILNS1_3genE10ELNS1_11target_archE1200ELNS1_3gpuE4ELNS1_3repE0EEENS1_30default_config_static_selectorELNS0_4arch9wavefront6targetE0EEEvS13_ ; -- Begin function _ZN7rocprim17ROCPRIM_400000_NS6detail17trampoline_kernelINS0_13select_configILj256ELj13ELNS0_17block_load_methodE3ELS4_3ELS4_3ELNS0_20block_scan_algorithmE0ELj4294967295EEENS1_25partition_config_selectorILNS1_17partition_subalgoE4EjNS0_10empty_typeEbEEZZNS1_14partition_implILS8_4ELb0ES6_15HIP_vector_typeIjLj2EENS0_17counting_iteratorIjlEEPS9_SG_NS0_5tupleIJPjSI_NS0_16reverse_iteratorISI_EEEEENSH_IJSG_SG_SG_EEES9_SI_JZNS1_25segmented_radix_sort_implINS0_14default_configELb1EPK12hip_bfloat16PSP_PKlPlN2at6native12_GLOBAL__N_18offset_tEEE10hipError_tPvRmT1_PNSt15iterator_traitsIS13_E10value_typeET2_T3_PNS14_IS19_E10value_typeET4_jRbjT5_S1F_jjP12ihipStream_tbEUljE_ZNSN_ISO_Lb1ESR_SS_SU_SV_SZ_EES10_S11_S12_S13_S17_S18_S19_S1C_S1D_jS1E_jS1F_S1F_jjS1H_bEUljE0_EEES10_S11_S12_S19_S1D_S1F_T6_T7_T9_mT8_S1H_bDpT10_ENKUlT_T0_E_clISt17integral_constantIbLb0EES1V_EEDaS1Q_S1R_EUlS1Q_E_NS1_11comp_targetILNS1_3genE10ELNS1_11target_archE1200ELNS1_3gpuE4ELNS1_3repE0EEENS1_30default_config_static_selectorELNS0_4arch9wavefront6targetE0EEEvS13_
	.p2align	8
	.type	_ZN7rocprim17ROCPRIM_400000_NS6detail17trampoline_kernelINS0_13select_configILj256ELj13ELNS0_17block_load_methodE3ELS4_3ELS4_3ELNS0_20block_scan_algorithmE0ELj4294967295EEENS1_25partition_config_selectorILNS1_17partition_subalgoE4EjNS0_10empty_typeEbEEZZNS1_14partition_implILS8_4ELb0ES6_15HIP_vector_typeIjLj2EENS0_17counting_iteratorIjlEEPS9_SG_NS0_5tupleIJPjSI_NS0_16reverse_iteratorISI_EEEEENSH_IJSG_SG_SG_EEES9_SI_JZNS1_25segmented_radix_sort_implINS0_14default_configELb1EPK12hip_bfloat16PSP_PKlPlN2at6native12_GLOBAL__N_18offset_tEEE10hipError_tPvRmT1_PNSt15iterator_traitsIS13_E10value_typeET2_T3_PNS14_IS19_E10value_typeET4_jRbjT5_S1F_jjP12ihipStream_tbEUljE_ZNSN_ISO_Lb1ESR_SS_SU_SV_SZ_EES10_S11_S12_S13_S17_S18_S19_S1C_S1D_jS1E_jS1F_S1F_jjS1H_bEUljE0_EEES10_S11_S12_S19_S1D_S1F_T6_T7_T9_mT8_S1H_bDpT10_ENKUlT_T0_E_clISt17integral_constantIbLb0EES1V_EEDaS1Q_S1R_EUlS1Q_E_NS1_11comp_targetILNS1_3genE10ELNS1_11target_archE1200ELNS1_3gpuE4ELNS1_3repE0EEENS1_30default_config_static_selectorELNS0_4arch9wavefront6targetE0EEEvS13_,@function
_ZN7rocprim17ROCPRIM_400000_NS6detail17trampoline_kernelINS0_13select_configILj256ELj13ELNS0_17block_load_methodE3ELS4_3ELS4_3ELNS0_20block_scan_algorithmE0ELj4294967295EEENS1_25partition_config_selectorILNS1_17partition_subalgoE4EjNS0_10empty_typeEbEEZZNS1_14partition_implILS8_4ELb0ES6_15HIP_vector_typeIjLj2EENS0_17counting_iteratorIjlEEPS9_SG_NS0_5tupleIJPjSI_NS0_16reverse_iteratorISI_EEEEENSH_IJSG_SG_SG_EEES9_SI_JZNS1_25segmented_radix_sort_implINS0_14default_configELb1EPK12hip_bfloat16PSP_PKlPlN2at6native12_GLOBAL__N_18offset_tEEE10hipError_tPvRmT1_PNSt15iterator_traitsIS13_E10value_typeET2_T3_PNS14_IS19_E10value_typeET4_jRbjT5_S1F_jjP12ihipStream_tbEUljE_ZNSN_ISO_Lb1ESR_SS_SU_SV_SZ_EES10_S11_S12_S13_S17_S18_S19_S1C_S1D_jS1E_jS1F_S1F_jjS1H_bEUljE0_EEES10_S11_S12_S19_S1D_S1F_T6_T7_T9_mT8_S1H_bDpT10_ENKUlT_T0_E_clISt17integral_constantIbLb0EES1V_EEDaS1Q_S1R_EUlS1Q_E_NS1_11comp_targetILNS1_3genE10ELNS1_11target_archE1200ELNS1_3gpuE4ELNS1_3repE0EEENS1_30default_config_static_selectorELNS0_4arch9wavefront6targetE0EEEvS13_: ; @_ZN7rocprim17ROCPRIM_400000_NS6detail17trampoline_kernelINS0_13select_configILj256ELj13ELNS0_17block_load_methodE3ELS4_3ELS4_3ELNS0_20block_scan_algorithmE0ELj4294967295EEENS1_25partition_config_selectorILNS1_17partition_subalgoE4EjNS0_10empty_typeEbEEZZNS1_14partition_implILS8_4ELb0ES6_15HIP_vector_typeIjLj2EENS0_17counting_iteratorIjlEEPS9_SG_NS0_5tupleIJPjSI_NS0_16reverse_iteratorISI_EEEEENSH_IJSG_SG_SG_EEES9_SI_JZNS1_25segmented_radix_sort_implINS0_14default_configELb1EPK12hip_bfloat16PSP_PKlPlN2at6native12_GLOBAL__N_18offset_tEEE10hipError_tPvRmT1_PNSt15iterator_traitsIS13_E10value_typeET2_T3_PNS14_IS19_E10value_typeET4_jRbjT5_S1F_jjP12ihipStream_tbEUljE_ZNSN_ISO_Lb1ESR_SS_SU_SV_SZ_EES10_S11_S12_S13_S17_S18_S19_S1C_S1D_jS1E_jS1F_S1F_jjS1H_bEUljE0_EEES10_S11_S12_S19_S1D_S1F_T6_T7_T9_mT8_S1H_bDpT10_ENKUlT_T0_E_clISt17integral_constantIbLb0EES1V_EEDaS1Q_S1R_EUlS1Q_E_NS1_11comp_targetILNS1_3genE10ELNS1_11target_archE1200ELNS1_3gpuE4ELNS1_3repE0EEENS1_30default_config_static_selectorELNS0_4arch9wavefront6targetE0EEEvS13_
; %bb.0:
	.section	.rodata,"a",@progbits
	.p2align	6, 0x0
	.amdhsa_kernel _ZN7rocprim17ROCPRIM_400000_NS6detail17trampoline_kernelINS0_13select_configILj256ELj13ELNS0_17block_load_methodE3ELS4_3ELS4_3ELNS0_20block_scan_algorithmE0ELj4294967295EEENS1_25partition_config_selectorILNS1_17partition_subalgoE4EjNS0_10empty_typeEbEEZZNS1_14partition_implILS8_4ELb0ES6_15HIP_vector_typeIjLj2EENS0_17counting_iteratorIjlEEPS9_SG_NS0_5tupleIJPjSI_NS0_16reverse_iteratorISI_EEEEENSH_IJSG_SG_SG_EEES9_SI_JZNS1_25segmented_radix_sort_implINS0_14default_configELb1EPK12hip_bfloat16PSP_PKlPlN2at6native12_GLOBAL__N_18offset_tEEE10hipError_tPvRmT1_PNSt15iterator_traitsIS13_E10value_typeET2_T3_PNS14_IS19_E10value_typeET4_jRbjT5_S1F_jjP12ihipStream_tbEUljE_ZNSN_ISO_Lb1ESR_SS_SU_SV_SZ_EES10_S11_S12_S13_S17_S18_S19_S1C_S1D_jS1E_jS1F_S1F_jjS1H_bEUljE0_EEES10_S11_S12_S19_S1D_S1F_T6_T7_T9_mT8_S1H_bDpT10_ENKUlT_T0_E_clISt17integral_constantIbLb0EES1V_EEDaS1Q_S1R_EUlS1Q_E_NS1_11comp_targetILNS1_3genE10ELNS1_11target_archE1200ELNS1_3gpuE4ELNS1_3repE0EEENS1_30default_config_static_selectorELNS0_4arch9wavefront6targetE0EEEvS13_
		.amdhsa_group_segment_fixed_size 0
		.amdhsa_private_segment_fixed_size 0
		.amdhsa_kernarg_size 176
		.amdhsa_user_sgpr_count 6
		.amdhsa_user_sgpr_private_segment_buffer 1
		.amdhsa_user_sgpr_dispatch_ptr 0
		.amdhsa_user_sgpr_queue_ptr 0
		.amdhsa_user_sgpr_kernarg_segment_ptr 1
		.amdhsa_user_sgpr_dispatch_id 0
		.amdhsa_user_sgpr_flat_scratch_init 0
		.amdhsa_user_sgpr_private_segment_size 0
		.amdhsa_wavefront_size32 1
		.amdhsa_uses_dynamic_stack 0
		.amdhsa_system_sgpr_private_segment_wavefront_offset 0
		.amdhsa_system_sgpr_workgroup_id_x 1
		.amdhsa_system_sgpr_workgroup_id_y 0
		.amdhsa_system_sgpr_workgroup_id_z 0
		.amdhsa_system_sgpr_workgroup_info 0
		.amdhsa_system_vgpr_workitem_id 0
		.amdhsa_next_free_vgpr 1
		.amdhsa_next_free_sgpr 1
		.amdhsa_reserve_vcc 0
		.amdhsa_reserve_flat_scratch 0
		.amdhsa_float_round_mode_32 0
		.amdhsa_float_round_mode_16_64 0
		.amdhsa_float_denorm_mode_32 3
		.amdhsa_float_denorm_mode_16_64 3
		.amdhsa_dx10_clamp 1
		.amdhsa_ieee_mode 1
		.amdhsa_fp16_overflow 0
		.amdhsa_workgroup_processor_mode 1
		.amdhsa_memory_ordered 1
		.amdhsa_forward_progress 1
		.amdhsa_shared_vgpr_count 0
		.amdhsa_exception_fp_ieee_invalid_op 0
		.amdhsa_exception_fp_denorm_src 0
		.amdhsa_exception_fp_ieee_div_zero 0
		.amdhsa_exception_fp_ieee_overflow 0
		.amdhsa_exception_fp_ieee_underflow 0
		.amdhsa_exception_fp_ieee_inexact 0
		.amdhsa_exception_int_div_zero 0
	.end_amdhsa_kernel
	.section	.text._ZN7rocprim17ROCPRIM_400000_NS6detail17trampoline_kernelINS0_13select_configILj256ELj13ELNS0_17block_load_methodE3ELS4_3ELS4_3ELNS0_20block_scan_algorithmE0ELj4294967295EEENS1_25partition_config_selectorILNS1_17partition_subalgoE4EjNS0_10empty_typeEbEEZZNS1_14partition_implILS8_4ELb0ES6_15HIP_vector_typeIjLj2EENS0_17counting_iteratorIjlEEPS9_SG_NS0_5tupleIJPjSI_NS0_16reverse_iteratorISI_EEEEENSH_IJSG_SG_SG_EEES9_SI_JZNS1_25segmented_radix_sort_implINS0_14default_configELb1EPK12hip_bfloat16PSP_PKlPlN2at6native12_GLOBAL__N_18offset_tEEE10hipError_tPvRmT1_PNSt15iterator_traitsIS13_E10value_typeET2_T3_PNS14_IS19_E10value_typeET4_jRbjT5_S1F_jjP12ihipStream_tbEUljE_ZNSN_ISO_Lb1ESR_SS_SU_SV_SZ_EES10_S11_S12_S13_S17_S18_S19_S1C_S1D_jS1E_jS1F_S1F_jjS1H_bEUljE0_EEES10_S11_S12_S19_S1D_S1F_T6_T7_T9_mT8_S1H_bDpT10_ENKUlT_T0_E_clISt17integral_constantIbLb0EES1V_EEDaS1Q_S1R_EUlS1Q_E_NS1_11comp_targetILNS1_3genE10ELNS1_11target_archE1200ELNS1_3gpuE4ELNS1_3repE0EEENS1_30default_config_static_selectorELNS0_4arch9wavefront6targetE0EEEvS13_,"axG",@progbits,_ZN7rocprim17ROCPRIM_400000_NS6detail17trampoline_kernelINS0_13select_configILj256ELj13ELNS0_17block_load_methodE3ELS4_3ELS4_3ELNS0_20block_scan_algorithmE0ELj4294967295EEENS1_25partition_config_selectorILNS1_17partition_subalgoE4EjNS0_10empty_typeEbEEZZNS1_14partition_implILS8_4ELb0ES6_15HIP_vector_typeIjLj2EENS0_17counting_iteratorIjlEEPS9_SG_NS0_5tupleIJPjSI_NS0_16reverse_iteratorISI_EEEEENSH_IJSG_SG_SG_EEES9_SI_JZNS1_25segmented_radix_sort_implINS0_14default_configELb1EPK12hip_bfloat16PSP_PKlPlN2at6native12_GLOBAL__N_18offset_tEEE10hipError_tPvRmT1_PNSt15iterator_traitsIS13_E10value_typeET2_T3_PNS14_IS19_E10value_typeET4_jRbjT5_S1F_jjP12ihipStream_tbEUljE_ZNSN_ISO_Lb1ESR_SS_SU_SV_SZ_EES10_S11_S12_S13_S17_S18_S19_S1C_S1D_jS1E_jS1F_S1F_jjS1H_bEUljE0_EEES10_S11_S12_S19_S1D_S1F_T6_T7_T9_mT8_S1H_bDpT10_ENKUlT_T0_E_clISt17integral_constantIbLb0EES1V_EEDaS1Q_S1R_EUlS1Q_E_NS1_11comp_targetILNS1_3genE10ELNS1_11target_archE1200ELNS1_3gpuE4ELNS1_3repE0EEENS1_30default_config_static_selectorELNS0_4arch9wavefront6targetE0EEEvS13_,comdat
.Lfunc_end1877:
	.size	_ZN7rocprim17ROCPRIM_400000_NS6detail17trampoline_kernelINS0_13select_configILj256ELj13ELNS0_17block_load_methodE3ELS4_3ELS4_3ELNS0_20block_scan_algorithmE0ELj4294967295EEENS1_25partition_config_selectorILNS1_17partition_subalgoE4EjNS0_10empty_typeEbEEZZNS1_14partition_implILS8_4ELb0ES6_15HIP_vector_typeIjLj2EENS0_17counting_iteratorIjlEEPS9_SG_NS0_5tupleIJPjSI_NS0_16reverse_iteratorISI_EEEEENSH_IJSG_SG_SG_EEES9_SI_JZNS1_25segmented_radix_sort_implINS0_14default_configELb1EPK12hip_bfloat16PSP_PKlPlN2at6native12_GLOBAL__N_18offset_tEEE10hipError_tPvRmT1_PNSt15iterator_traitsIS13_E10value_typeET2_T3_PNS14_IS19_E10value_typeET4_jRbjT5_S1F_jjP12ihipStream_tbEUljE_ZNSN_ISO_Lb1ESR_SS_SU_SV_SZ_EES10_S11_S12_S13_S17_S18_S19_S1C_S1D_jS1E_jS1F_S1F_jjS1H_bEUljE0_EEES10_S11_S12_S19_S1D_S1F_T6_T7_T9_mT8_S1H_bDpT10_ENKUlT_T0_E_clISt17integral_constantIbLb0EES1V_EEDaS1Q_S1R_EUlS1Q_E_NS1_11comp_targetILNS1_3genE10ELNS1_11target_archE1200ELNS1_3gpuE4ELNS1_3repE0EEENS1_30default_config_static_selectorELNS0_4arch9wavefront6targetE0EEEvS13_, .Lfunc_end1877-_ZN7rocprim17ROCPRIM_400000_NS6detail17trampoline_kernelINS0_13select_configILj256ELj13ELNS0_17block_load_methodE3ELS4_3ELS4_3ELNS0_20block_scan_algorithmE0ELj4294967295EEENS1_25partition_config_selectorILNS1_17partition_subalgoE4EjNS0_10empty_typeEbEEZZNS1_14partition_implILS8_4ELb0ES6_15HIP_vector_typeIjLj2EENS0_17counting_iteratorIjlEEPS9_SG_NS0_5tupleIJPjSI_NS0_16reverse_iteratorISI_EEEEENSH_IJSG_SG_SG_EEES9_SI_JZNS1_25segmented_radix_sort_implINS0_14default_configELb1EPK12hip_bfloat16PSP_PKlPlN2at6native12_GLOBAL__N_18offset_tEEE10hipError_tPvRmT1_PNSt15iterator_traitsIS13_E10value_typeET2_T3_PNS14_IS19_E10value_typeET4_jRbjT5_S1F_jjP12ihipStream_tbEUljE_ZNSN_ISO_Lb1ESR_SS_SU_SV_SZ_EES10_S11_S12_S13_S17_S18_S19_S1C_S1D_jS1E_jS1F_S1F_jjS1H_bEUljE0_EEES10_S11_S12_S19_S1D_S1F_T6_T7_T9_mT8_S1H_bDpT10_ENKUlT_T0_E_clISt17integral_constantIbLb0EES1V_EEDaS1Q_S1R_EUlS1Q_E_NS1_11comp_targetILNS1_3genE10ELNS1_11target_archE1200ELNS1_3gpuE4ELNS1_3repE0EEENS1_30default_config_static_selectorELNS0_4arch9wavefront6targetE0EEEvS13_
                                        ; -- End function
	.set _ZN7rocprim17ROCPRIM_400000_NS6detail17trampoline_kernelINS0_13select_configILj256ELj13ELNS0_17block_load_methodE3ELS4_3ELS4_3ELNS0_20block_scan_algorithmE0ELj4294967295EEENS1_25partition_config_selectorILNS1_17partition_subalgoE4EjNS0_10empty_typeEbEEZZNS1_14partition_implILS8_4ELb0ES6_15HIP_vector_typeIjLj2EENS0_17counting_iteratorIjlEEPS9_SG_NS0_5tupleIJPjSI_NS0_16reverse_iteratorISI_EEEEENSH_IJSG_SG_SG_EEES9_SI_JZNS1_25segmented_radix_sort_implINS0_14default_configELb1EPK12hip_bfloat16PSP_PKlPlN2at6native12_GLOBAL__N_18offset_tEEE10hipError_tPvRmT1_PNSt15iterator_traitsIS13_E10value_typeET2_T3_PNS14_IS19_E10value_typeET4_jRbjT5_S1F_jjP12ihipStream_tbEUljE_ZNSN_ISO_Lb1ESR_SS_SU_SV_SZ_EES10_S11_S12_S13_S17_S18_S19_S1C_S1D_jS1E_jS1F_S1F_jjS1H_bEUljE0_EEES10_S11_S12_S19_S1D_S1F_T6_T7_T9_mT8_S1H_bDpT10_ENKUlT_T0_E_clISt17integral_constantIbLb0EES1V_EEDaS1Q_S1R_EUlS1Q_E_NS1_11comp_targetILNS1_3genE10ELNS1_11target_archE1200ELNS1_3gpuE4ELNS1_3repE0EEENS1_30default_config_static_selectorELNS0_4arch9wavefront6targetE0EEEvS13_.num_vgpr, 0
	.set _ZN7rocprim17ROCPRIM_400000_NS6detail17trampoline_kernelINS0_13select_configILj256ELj13ELNS0_17block_load_methodE3ELS4_3ELS4_3ELNS0_20block_scan_algorithmE0ELj4294967295EEENS1_25partition_config_selectorILNS1_17partition_subalgoE4EjNS0_10empty_typeEbEEZZNS1_14partition_implILS8_4ELb0ES6_15HIP_vector_typeIjLj2EENS0_17counting_iteratorIjlEEPS9_SG_NS0_5tupleIJPjSI_NS0_16reverse_iteratorISI_EEEEENSH_IJSG_SG_SG_EEES9_SI_JZNS1_25segmented_radix_sort_implINS0_14default_configELb1EPK12hip_bfloat16PSP_PKlPlN2at6native12_GLOBAL__N_18offset_tEEE10hipError_tPvRmT1_PNSt15iterator_traitsIS13_E10value_typeET2_T3_PNS14_IS19_E10value_typeET4_jRbjT5_S1F_jjP12ihipStream_tbEUljE_ZNSN_ISO_Lb1ESR_SS_SU_SV_SZ_EES10_S11_S12_S13_S17_S18_S19_S1C_S1D_jS1E_jS1F_S1F_jjS1H_bEUljE0_EEES10_S11_S12_S19_S1D_S1F_T6_T7_T9_mT8_S1H_bDpT10_ENKUlT_T0_E_clISt17integral_constantIbLb0EES1V_EEDaS1Q_S1R_EUlS1Q_E_NS1_11comp_targetILNS1_3genE10ELNS1_11target_archE1200ELNS1_3gpuE4ELNS1_3repE0EEENS1_30default_config_static_selectorELNS0_4arch9wavefront6targetE0EEEvS13_.num_agpr, 0
	.set _ZN7rocprim17ROCPRIM_400000_NS6detail17trampoline_kernelINS0_13select_configILj256ELj13ELNS0_17block_load_methodE3ELS4_3ELS4_3ELNS0_20block_scan_algorithmE0ELj4294967295EEENS1_25partition_config_selectorILNS1_17partition_subalgoE4EjNS0_10empty_typeEbEEZZNS1_14partition_implILS8_4ELb0ES6_15HIP_vector_typeIjLj2EENS0_17counting_iteratorIjlEEPS9_SG_NS0_5tupleIJPjSI_NS0_16reverse_iteratorISI_EEEEENSH_IJSG_SG_SG_EEES9_SI_JZNS1_25segmented_radix_sort_implINS0_14default_configELb1EPK12hip_bfloat16PSP_PKlPlN2at6native12_GLOBAL__N_18offset_tEEE10hipError_tPvRmT1_PNSt15iterator_traitsIS13_E10value_typeET2_T3_PNS14_IS19_E10value_typeET4_jRbjT5_S1F_jjP12ihipStream_tbEUljE_ZNSN_ISO_Lb1ESR_SS_SU_SV_SZ_EES10_S11_S12_S13_S17_S18_S19_S1C_S1D_jS1E_jS1F_S1F_jjS1H_bEUljE0_EEES10_S11_S12_S19_S1D_S1F_T6_T7_T9_mT8_S1H_bDpT10_ENKUlT_T0_E_clISt17integral_constantIbLb0EES1V_EEDaS1Q_S1R_EUlS1Q_E_NS1_11comp_targetILNS1_3genE10ELNS1_11target_archE1200ELNS1_3gpuE4ELNS1_3repE0EEENS1_30default_config_static_selectorELNS0_4arch9wavefront6targetE0EEEvS13_.numbered_sgpr, 0
	.set _ZN7rocprim17ROCPRIM_400000_NS6detail17trampoline_kernelINS0_13select_configILj256ELj13ELNS0_17block_load_methodE3ELS4_3ELS4_3ELNS0_20block_scan_algorithmE0ELj4294967295EEENS1_25partition_config_selectorILNS1_17partition_subalgoE4EjNS0_10empty_typeEbEEZZNS1_14partition_implILS8_4ELb0ES6_15HIP_vector_typeIjLj2EENS0_17counting_iteratorIjlEEPS9_SG_NS0_5tupleIJPjSI_NS0_16reverse_iteratorISI_EEEEENSH_IJSG_SG_SG_EEES9_SI_JZNS1_25segmented_radix_sort_implINS0_14default_configELb1EPK12hip_bfloat16PSP_PKlPlN2at6native12_GLOBAL__N_18offset_tEEE10hipError_tPvRmT1_PNSt15iterator_traitsIS13_E10value_typeET2_T3_PNS14_IS19_E10value_typeET4_jRbjT5_S1F_jjP12ihipStream_tbEUljE_ZNSN_ISO_Lb1ESR_SS_SU_SV_SZ_EES10_S11_S12_S13_S17_S18_S19_S1C_S1D_jS1E_jS1F_S1F_jjS1H_bEUljE0_EEES10_S11_S12_S19_S1D_S1F_T6_T7_T9_mT8_S1H_bDpT10_ENKUlT_T0_E_clISt17integral_constantIbLb0EES1V_EEDaS1Q_S1R_EUlS1Q_E_NS1_11comp_targetILNS1_3genE10ELNS1_11target_archE1200ELNS1_3gpuE4ELNS1_3repE0EEENS1_30default_config_static_selectorELNS0_4arch9wavefront6targetE0EEEvS13_.num_named_barrier, 0
	.set _ZN7rocprim17ROCPRIM_400000_NS6detail17trampoline_kernelINS0_13select_configILj256ELj13ELNS0_17block_load_methodE3ELS4_3ELS4_3ELNS0_20block_scan_algorithmE0ELj4294967295EEENS1_25partition_config_selectorILNS1_17partition_subalgoE4EjNS0_10empty_typeEbEEZZNS1_14partition_implILS8_4ELb0ES6_15HIP_vector_typeIjLj2EENS0_17counting_iteratorIjlEEPS9_SG_NS0_5tupleIJPjSI_NS0_16reverse_iteratorISI_EEEEENSH_IJSG_SG_SG_EEES9_SI_JZNS1_25segmented_radix_sort_implINS0_14default_configELb1EPK12hip_bfloat16PSP_PKlPlN2at6native12_GLOBAL__N_18offset_tEEE10hipError_tPvRmT1_PNSt15iterator_traitsIS13_E10value_typeET2_T3_PNS14_IS19_E10value_typeET4_jRbjT5_S1F_jjP12ihipStream_tbEUljE_ZNSN_ISO_Lb1ESR_SS_SU_SV_SZ_EES10_S11_S12_S13_S17_S18_S19_S1C_S1D_jS1E_jS1F_S1F_jjS1H_bEUljE0_EEES10_S11_S12_S19_S1D_S1F_T6_T7_T9_mT8_S1H_bDpT10_ENKUlT_T0_E_clISt17integral_constantIbLb0EES1V_EEDaS1Q_S1R_EUlS1Q_E_NS1_11comp_targetILNS1_3genE10ELNS1_11target_archE1200ELNS1_3gpuE4ELNS1_3repE0EEENS1_30default_config_static_selectorELNS0_4arch9wavefront6targetE0EEEvS13_.private_seg_size, 0
	.set _ZN7rocprim17ROCPRIM_400000_NS6detail17trampoline_kernelINS0_13select_configILj256ELj13ELNS0_17block_load_methodE3ELS4_3ELS4_3ELNS0_20block_scan_algorithmE0ELj4294967295EEENS1_25partition_config_selectorILNS1_17partition_subalgoE4EjNS0_10empty_typeEbEEZZNS1_14partition_implILS8_4ELb0ES6_15HIP_vector_typeIjLj2EENS0_17counting_iteratorIjlEEPS9_SG_NS0_5tupleIJPjSI_NS0_16reverse_iteratorISI_EEEEENSH_IJSG_SG_SG_EEES9_SI_JZNS1_25segmented_radix_sort_implINS0_14default_configELb1EPK12hip_bfloat16PSP_PKlPlN2at6native12_GLOBAL__N_18offset_tEEE10hipError_tPvRmT1_PNSt15iterator_traitsIS13_E10value_typeET2_T3_PNS14_IS19_E10value_typeET4_jRbjT5_S1F_jjP12ihipStream_tbEUljE_ZNSN_ISO_Lb1ESR_SS_SU_SV_SZ_EES10_S11_S12_S13_S17_S18_S19_S1C_S1D_jS1E_jS1F_S1F_jjS1H_bEUljE0_EEES10_S11_S12_S19_S1D_S1F_T6_T7_T9_mT8_S1H_bDpT10_ENKUlT_T0_E_clISt17integral_constantIbLb0EES1V_EEDaS1Q_S1R_EUlS1Q_E_NS1_11comp_targetILNS1_3genE10ELNS1_11target_archE1200ELNS1_3gpuE4ELNS1_3repE0EEENS1_30default_config_static_selectorELNS0_4arch9wavefront6targetE0EEEvS13_.uses_vcc, 0
	.set _ZN7rocprim17ROCPRIM_400000_NS6detail17trampoline_kernelINS0_13select_configILj256ELj13ELNS0_17block_load_methodE3ELS4_3ELS4_3ELNS0_20block_scan_algorithmE0ELj4294967295EEENS1_25partition_config_selectorILNS1_17partition_subalgoE4EjNS0_10empty_typeEbEEZZNS1_14partition_implILS8_4ELb0ES6_15HIP_vector_typeIjLj2EENS0_17counting_iteratorIjlEEPS9_SG_NS0_5tupleIJPjSI_NS0_16reverse_iteratorISI_EEEEENSH_IJSG_SG_SG_EEES9_SI_JZNS1_25segmented_radix_sort_implINS0_14default_configELb1EPK12hip_bfloat16PSP_PKlPlN2at6native12_GLOBAL__N_18offset_tEEE10hipError_tPvRmT1_PNSt15iterator_traitsIS13_E10value_typeET2_T3_PNS14_IS19_E10value_typeET4_jRbjT5_S1F_jjP12ihipStream_tbEUljE_ZNSN_ISO_Lb1ESR_SS_SU_SV_SZ_EES10_S11_S12_S13_S17_S18_S19_S1C_S1D_jS1E_jS1F_S1F_jjS1H_bEUljE0_EEES10_S11_S12_S19_S1D_S1F_T6_T7_T9_mT8_S1H_bDpT10_ENKUlT_T0_E_clISt17integral_constantIbLb0EES1V_EEDaS1Q_S1R_EUlS1Q_E_NS1_11comp_targetILNS1_3genE10ELNS1_11target_archE1200ELNS1_3gpuE4ELNS1_3repE0EEENS1_30default_config_static_selectorELNS0_4arch9wavefront6targetE0EEEvS13_.uses_flat_scratch, 0
	.set _ZN7rocprim17ROCPRIM_400000_NS6detail17trampoline_kernelINS0_13select_configILj256ELj13ELNS0_17block_load_methodE3ELS4_3ELS4_3ELNS0_20block_scan_algorithmE0ELj4294967295EEENS1_25partition_config_selectorILNS1_17partition_subalgoE4EjNS0_10empty_typeEbEEZZNS1_14partition_implILS8_4ELb0ES6_15HIP_vector_typeIjLj2EENS0_17counting_iteratorIjlEEPS9_SG_NS0_5tupleIJPjSI_NS0_16reverse_iteratorISI_EEEEENSH_IJSG_SG_SG_EEES9_SI_JZNS1_25segmented_radix_sort_implINS0_14default_configELb1EPK12hip_bfloat16PSP_PKlPlN2at6native12_GLOBAL__N_18offset_tEEE10hipError_tPvRmT1_PNSt15iterator_traitsIS13_E10value_typeET2_T3_PNS14_IS19_E10value_typeET4_jRbjT5_S1F_jjP12ihipStream_tbEUljE_ZNSN_ISO_Lb1ESR_SS_SU_SV_SZ_EES10_S11_S12_S13_S17_S18_S19_S1C_S1D_jS1E_jS1F_S1F_jjS1H_bEUljE0_EEES10_S11_S12_S19_S1D_S1F_T6_T7_T9_mT8_S1H_bDpT10_ENKUlT_T0_E_clISt17integral_constantIbLb0EES1V_EEDaS1Q_S1R_EUlS1Q_E_NS1_11comp_targetILNS1_3genE10ELNS1_11target_archE1200ELNS1_3gpuE4ELNS1_3repE0EEENS1_30default_config_static_selectorELNS0_4arch9wavefront6targetE0EEEvS13_.has_dyn_sized_stack, 0
	.set _ZN7rocprim17ROCPRIM_400000_NS6detail17trampoline_kernelINS0_13select_configILj256ELj13ELNS0_17block_load_methodE3ELS4_3ELS4_3ELNS0_20block_scan_algorithmE0ELj4294967295EEENS1_25partition_config_selectorILNS1_17partition_subalgoE4EjNS0_10empty_typeEbEEZZNS1_14partition_implILS8_4ELb0ES6_15HIP_vector_typeIjLj2EENS0_17counting_iteratorIjlEEPS9_SG_NS0_5tupleIJPjSI_NS0_16reverse_iteratorISI_EEEEENSH_IJSG_SG_SG_EEES9_SI_JZNS1_25segmented_radix_sort_implINS0_14default_configELb1EPK12hip_bfloat16PSP_PKlPlN2at6native12_GLOBAL__N_18offset_tEEE10hipError_tPvRmT1_PNSt15iterator_traitsIS13_E10value_typeET2_T3_PNS14_IS19_E10value_typeET4_jRbjT5_S1F_jjP12ihipStream_tbEUljE_ZNSN_ISO_Lb1ESR_SS_SU_SV_SZ_EES10_S11_S12_S13_S17_S18_S19_S1C_S1D_jS1E_jS1F_S1F_jjS1H_bEUljE0_EEES10_S11_S12_S19_S1D_S1F_T6_T7_T9_mT8_S1H_bDpT10_ENKUlT_T0_E_clISt17integral_constantIbLb0EES1V_EEDaS1Q_S1R_EUlS1Q_E_NS1_11comp_targetILNS1_3genE10ELNS1_11target_archE1200ELNS1_3gpuE4ELNS1_3repE0EEENS1_30default_config_static_selectorELNS0_4arch9wavefront6targetE0EEEvS13_.has_recursion, 0
	.set _ZN7rocprim17ROCPRIM_400000_NS6detail17trampoline_kernelINS0_13select_configILj256ELj13ELNS0_17block_load_methodE3ELS4_3ELS4_3ELNS0_20block_scan_algorithmE0ELj4294967295EEENS1_25partition_config_selectorILNS1_17partition_subalgoE4EjNS0_10empty_typeEbEEZZNS1_14partition_implILS8_4ELb0ES6_15HIP_vector_typeIjLj2EENS0_17counting_iteratorIjlEEPS9_SG_NS0_5tupleIJPjSI_NS0_16reverse_iteratorISI_EEEEENSH_IJSG_SG_SG_EEES9_SI_JZNS1_25segmented_radix_sort_implINS0_14default_configELb1EPK12hip_bfloat16PSP_PKlPlN2at6native12_GLOBAL__N_18offset_tEEE10hipError_tPvRmT1_PNSt15iterator_traitsIS13_E10value_typeET2_T3_PNS14_IS19_E10value_typeET4_jRbjT5_S1F_jjP12ihipStream_tbEUljE_ZNSN_ISO_Lb1ESR_SS_SU_SV_SZ_EES10_S11_S12_S13_S17_S18_S19_S1C_S1D_jS1E_jS1F_S1F_jjS1H_bEUljE0_EEES10_S11_S12_S19_S1D_S1F_T6_T7_T9_mT8_S1H_bDpT10_ENKUlT_T0_E_clISt17integral_constantIbLb0EES1V_EEDaS1Q_S1R_EUlS1Q_E_NS1_11comp_targetILNS1_3genE10ELNS1_11target_archE1200ELNS1_3gpuE4ELNS1_3repE0EEENS1_30default_config_static_selectorELNS0_4arch9wavefront6targetE0EEEvS13_.has_indirect_call, 0
	.section	.AMDGPU.csdata,"",@progbits
; Kernel info:
; codeLenInByte = 0
; TotalNumSgprs: 0
; NumVgprs: 0
; ScratchSize: 0
; MemoryBound: 0
; FloatMode: 240
; IeeeMode: 1
; LDSByteSize: 0 bytes/workgroup (compile time only)
; SGPRBlocks: 0
; VGPRBlocks: 0
; NumSGPRsForWavesPerEU: 1
; NumVGPRsForWavesPerEU: 1
; Occupancy: 16
; WaveLimiterHint : 0
; COMPUTE_PGM_RSRC2:SCRATCH_EN: 0
; COMPUTE_PGM_RSRC2:USER_SGPR: 6
; COMPUTE_PGM_RSRC2:TRAP_HANDLER: 0
; COMPUTE_PGM_RSRC2:TGID_X_EN: 1
; COMPUTE_PGM_RSRC2:TGID_Y_EN: 0
; COMPUTE_PGM_RSRC2:TGID_Z_EN: 0
; COMPUTE_PGM_RSRC2:TIDIG_COMP_CNT: 0
	.section	.text._ZN7rocprim17ROCPRIM_400000_NS6detail17trampoline_kernelINS0_13select_configILj256ELj13ELNS0_17block_load_methodE3ELS4_3ELS4_3ELNS0_20block_scan_algorithmE0ELj4294967295EEENS1_25partition_config_selectorILNS1_17partition_subalgoE4EjNS0_10empty_typeEbEEZZNS1_14partition_implILS8_4ELb0ES6_15HIP_vector_typeIjLj2EENS0_17counting_iteratorIjlEEPS9_SG_NS0_5tupleIJPjSI_NS0_16reverse_iteratorISI_EEEEENSH_IJSG_SG_SG_EEES9_SI_JZNS1_25segmented_radix_sort_implINS0_14default_configELb1EPK12hip_bfloat16PSP_PKlPlN2at6native12_GLOBAL__N_18offset_tEEE10hipError_tPvRmT1_PNSt15iterator_traitsIS13_E10value_typeET2_T3_PNS14_IS19_E10value_typeET4_jRbjT5_S1F_jjP12ihipStream_tbEUljE_ZNSN_ISO_Lb1ESR_SS_SU_SV_SZ_EES10_S11_S12_S13_S17_S18_S19_S1C_S1D_jS1E_jS1F_S1F_jjS1H_bEUljE0_EEES10_S11_S12_S19_S1D_S1F_T6_T7_T9_mT8_S1H_bDpT10_ENKUlT_T0_E_clISt17integral_constantIbLb0EES1V_EEDaS1Q_S1R_EUlS1Q_E_NS1_11comp_targetILNS1_3genE9ELNS1_11target_archE1100ELNS1_3gpuE3ELNS1_3repE0EEENS1_30default_config_static_selectorELNS0_4arch9wavefront6targetE0EEEvS13_,"axG",@progbits,_ZN7rocprim17ROCPRIM_400000_NS6detail17trampoline_kernelINS0_13select_configILj256ELj13ELNS0_17block_load_methodE3ELS4_3ELS4_3ELNS0_20block_scan_algorithmE0ELj4294967295EEENS1_25partition_config_selectorILNS1_17partition_subalgoE4EjNS0_10empty_typeEbEEZZNS1_14partition_implILS8_4ELb0ES6_15HIP_vector_typeIjLj2EENS0_17counting_iteratorIjlEEPS9_SG_NS0_5tupleIJPjSI_NS0_16reverse_iteratorISI_EEEEENSH_IJSG_SG_SG_EEES9_SI_JZNS1_25segmented_radix_sort_implINS0_14default_configELb1EPK12hip_bfloat16PSP_PKlPlN2at6native12_GLOBAL__N_18offset_tEEE10hipError_tPvRmT1_PNSt15iterator_traitsIS13_E10value_typeET2_T3_PNS14_IS19_E10value_typeET4_jRbjT5_S1F_jjP12ihipStream_tbEUljE_ZNSN_ISO_Lb1ESR_SS_SU_SV_SZ_EES10_S11_S12_S13_S17_S18_S19_S1C_S1D_jS1E_jS1F_S1F_jjS1H_bEUljE0_EEES10_S11_S12_S19_S1D_S1F_T6_T7_T9_mT8_S1H_bDpT10_ENKUlT_T0_E_clISt17integral_constantIbLb0EES1V_EEDaS1Q_S1R_EUlS1Q_E_NS1_11comp_targetILNS1_3genE9ELNS1_11target_archE1100ELNS1_3gpuE3ELNS1_3repE0EEENS1_30default_config_static_selectorELNS0_4arch9wavefront6targetE0EEEvS13_,comdat
	.globl	_ZN7rocprim17ROCPRIM_400000_NS6detail17trampoline_kernelINS0_13select_configILj256ELj13ELNS0_17block_load_methodE3ELS4_3ELS4_3ELNS0_20block_scan_algorithmE0ELj4294967295EEENS1_25partition_config_selectorILNS1_17partition_subalgoE4EjNS0_10empty_typeEbEEZZNS1_14partition_implILS8_4ELb0ES6_15HIP_vector_typeIjLj2EENS0_17counting_iteratorIjlEEPS9_SG_NS0_5tupleIJPjSI_NS0_16reverse_iteratorISI_EEEEENSH_IJSG_SG_SG_EEES9_SI_JZNS1_25segmented_radix_sort_implINS0_14default_configELb1EPK12hip_bfloat16PSP_PKlPlN2at6native12_GLOBAL__N_18offset_tEEE10hipError_tPvRmT1_PNSt15iterator_traitsIS13_E10value_typeET2_T3_PNS14_IS19_E10value_typeET4_jRbjT5_S1F_jjP12ihipStream_tbEUljE_ZNSN_ISO_Lb1ESR_SS_SU_SV_SZ_EES10_S11_S12_S13_S17_S18_S19_S1C_S1D_jS1E_jS1F_S1F_jjS1H_bEUljE0_EEES10_S11_S12_S19_S1D_S1F_T6_T7_T9_mT8_S1H_bDpT10_ENKUlT_T0_E_clISt17integral_constantIbLb0EES1V_EEDaS1Q_S1R_EUlS1Q_E_NS1_11comp_targetILNS1_3genE9ELNS1_11target_archE1100ELNS1_3gpuE3ELNS1_3repE0EEENS1_30default_config_static_selectorELNS0_4arch9wavefront6targetE0EEEvS13_ ; -- Begin function _ZN7rocprim17ROCPRIM_400000_NS6detail17trampoline_kernelINS0_13select_configILj256ELj13ELNS0_17block_load_methodE3ELS4_3ELS4_3ELNS0_20block_scan_algorithmE0ELj4294967295EEENS1_25partition_config_selectorILNS1_17partition_subalgoE4EjNS0_10empty_typeEbEEZZNS1_14partition_implILS8_4ELb0ES6_15HIP_vector_typeIjLj2EENS0_17counting_iteratorIjlEEPS9_SG_NS0_5tupleIJPjSI_NS0_16reverse_iteratorISI_EEEEENSH_IJSG_SG_SG_EEES9_SI_JZNS1_25segmented_radix_sort_implINS0_14default_configELb1EPK12hip_bfloat16PSP_PKlPlN2at6native12_GLOBAL__N_18offset_tEEE10hipError_tPvRmT1_PNSt15iterator_traitsIS13_E10value_typeET2_T3_PNS14_IS19_E10value_typeET4_jRbjT5_S1F_jjP12ihipStream_tbEUljE_ZNSN_ISO_Lb1ESR_SS_SU_SV_SZ_EES10_S11_S12_S13_S17_S18_S19_S1C_S1D_jS1E_jS1F_S1F_jjS1H_bEUljE0_EEES10_S11_S12_S19_S1D_S1F_T6_T7_T9_mT8_S1H_bDpT10_ENKUlT_T0_E_clISt17integral_constantIbLb0EES1V_EEDaS1Q_S1R_EUlS1Q_E_NS1_11comp_targetILNS1_3genE9ELNS1_11target_archE1100ELNS1_3gpuE3ELNS1_3repE0EEENS1_30default_config_static_selectorELNS0_4arch9wavefront6targetE0EEEvS13_
	.p2align	8
	.type	_ZN7rocprim17ROCPRIM_400000_NS6detail17trampoline_kernelINS0_13select_configILj256ELj13ELNS0_17block_load_methodE3ELS4_3ELS4_3ELNS0_20block_scan_algorithmE0ELj4294967295EEENS1_25partition_config_selectorILNS1_17partition_subalgoE4EjNS0_10empty_typeEbEEZZNS1_14partition_implILS8_4ELb0ES6_15HIP_vector_typeIjLj2EENS0_17counting_iteratorIjlEEPS9_SG_NS0_5tupleIJPjSI_NS0_16reverse_iteratorISI_EEEEENSH_IJSG_SG_SG_EEES9_SI_JZNS1_25segmented_radix_sort_implINS0_14default_configELb1EPK12hip_bfloat16PSP_PKlPlN2at6native12_GLOBAL__N_18offset_tEEE10hipError_tPvRmT1_PNSt15iterator_traitsIS13_E10value_typeET2_T3_PNS14_IS19_E10value_typeET4_jRbjT5_S1F_jjP12ihipStream_tbEUljE_ZNSN_ISO_Lb1ESR_SS_SU_SV_SZ_EES10_S11_S12_S13_S17_S18_S19_S1C_S1D_jS1E_jS1F_S1F_jjS1H_bEUljE0_EEES10_S11_S12_S19_S1D_S1F_T6_T7_T9_mT8_S1H_bDpT10_ENKUlT_T0_E_clISt17integral_constantIbLb0EES1V_EEDaS1Q_S1R_EUlS1Q_E_NS1_11comp_targetILNS1_3genE9ELNS1_11target_archE1100ELNS1_3gpuE3ELNS1_3repE0EEENS1_30default_config_static_selectorELNS0_4arch9wavefront6targetE0EEEvS13_,@function
_ZN7rocprim17ROCPRIM_400000_NS6detail17trampoline_kernelINS0_13select_configILj256ELj13ELNS0_17block_load_methodE3ELS4_3ELS4_3ELNS0_20block_scan_algorithmE0ELj4294967295EEENS1_25partition_config_selectorILNS1_17partition_subalgoE4EjNS0_10empty_typeEbEEZZNS1_14partition_implILS8_4ELb0ES6_15HIP_vector_typeIjLj2EENS0_17counting_iteratorIjlEEPS9_SG_NS0_5tupleIJPjSI_NS0_16reverse_iteratorISI_EEEEENSH_IJSG_SG_SG_EEES9_SI_JZNS1_25segmented_radix_sort_implINS0_14default_configELb1EPK12hip_bfloat16PSP_PKlPlN2at6native12_GLOBAL__N_18offset_tEEE10hipError_tPvRmT1_PNSt15iterator_traitsIS13_E10value_typeET2_T3_PNS14_IS19_E10value_typeET4_jRbjT5_S1F_jjP12ihipStream_tbEUljE_ZNSN_ISO_Lb1ESR_SS_SU_SV_SZ_EES10_S11_S12_S13_S17_S18_S19_S1C_S1D_jS1E_jS1F_S1F_jjS1H_bEUljE0_EEES10_S11_S12_S19_S1D_S1F_T6_T7_T9_mT8_S1H_bDpT10_ENKUlT_T0_E_clISt17integral_constantIbLb0EES1V_EEDaS1Q_S1R_EUlS1Q_E_NS1_11comp_targetILNS1_3genE9ELNS1_11target_archE1100ELNS1_3gpuE3ELNS1_3repE0EEENS1_30default_config_static_selectorELNS0_4arch9wavefront6targetE0EEEvS13_: ; @_ZN7rocprim17ROCPRIM_400000_NS6detail17trampoline_kernelINS0_13select_configILj256ELj13ELNS0_17block_load_methodE3ELS4_3ELS4_3ELNS0_20block_scan_algorithmE0ELj4294967295EEENS1_25partition_config_selectorILNS1_17partition_subalgoE4EjNS0_10empty_typeEbEEZZNS1_14partition_implILS8_4ELb0ES6_15HIP_vector_typeIjLj2EENS0_17counting_iteratorIjlEEPS9_SG_NS0_5tupleIJPjSI_NS0_16reverse_iteratorISI_EEEEENSH_IJSG_SG_SG_EEES9_SI_JZNS1_25segmented_radix_sort_implINS0_14default_configELb1EPK12hip_bfloat16PSP_PKlPlN2at6native12_GLOBAL__N_18offset_tEEE10hipError_tPvRmT1_PNSt15iterator_traitsIS13_E10value_typeET2_T3_PNS14_IS19_E10value_typeET4_jRbjT5_S1F_jjP12ihipStream_tbEUljE_ZNSN_ISO_Lb1ESR_SS_SU_SV_SZ_EES10_S11_S12_S13_S17_S18_S19_S1C_S1D_jS1E_jS1F_S1F_jjS1H_bEUljE0_EEES10_S11_S12_S19_S1D_S1F_T6_T7_T9_mT8_S1H_bDpT10_ENKUlT_T0_E_clISt17integral_constantIbLb0EES1V_EEDaS1Q_S1R_EUlS1Q_E_NS1_11comp_targetILNS1_3genE9ELNS1_11target_archE1100ELNS1_3gpuE3ELNS1_3repE0EEENS1_30default_config_static_selectorELNS0_4arch9wavefront6targetE0EEEvS13_
; %bb.0:
	.section	.rodata,"a",@progbits
	.p2align	6, 0x0
	.amdhsa_kernel _ZN7rocprim17ROCPRIM_400000_NS6detail17trampoline_kernelINS0_13select_configILj256ELj13ELNS0_17block_load_methodE3ELS4_3ELS4_3ELNS0_20block_scan_algorithmE0ELj4294967295EEENS1_25partition_config_selectorILNS1_17partition_subalgoE4EjNS0_10empty_typeEbEEZZNS1_14partition_implILS8_4ELb0ES6_15HIP_vector_typeIjLj2EENS0_17counting_iteratorIjlEEPS9_SG_NS0_5tupleIJPjSI_NS0_16reverse_iteratorISI_EEEEENSH_IJSG_SG_SG_EEES9_SI_JZNS1_25segmented_radix_sort_implINS0_14default_configELb1EPK12hip_bfloat16PSP_PKlPlN2at6native12_GLOBAL__N_18offset_tEEE10hipError_tPvRmT1_PNSt15iterator_traitsIS13_E10value_typeET2_T3_PNS14_IS19_E10value_typeET4_jRbjT5_S1F_jjP12ihipStream_tbEUljE_ZNSN_ISO_Lb1ESR_SS_SU_SV_SZ_EES10_S11_S12_S13_S17_S18_S19_S1C_S1D_jS1E_jS1F_S1F_jjS1H_bEUljE0_EEES10_S11_S12_S19_S1D_S1F_T6_T7_T9_mT8_S1H_bDpT10_ENKUlT_T0_E_clISt17integral_constantIbLb0EES1V_EEDaS1Q_S1R_EUlS1Q_E_NS1_11comp_targetILNS1_3genE9ELNS1_11target_archE1100ELNS1_3gpuE3ELNS1_3repE0EEENS1_30default_config_static_selectorELNS0_4arch9wavefront6targetE0EEEvS13_
		.amdhsa_group_segment_fixed_size 0
		.amdhsa_private_segment_fixed_size 0
		.amdhsa_kernarg_size 176
		.amdhsa_user_sgpr_count 6
		.amdhsa_user_sgpr_private_segment_buffer 1
		.amdhsa_user_sgpr_dispatch_ptr 0
		.amdhsa_user_sgpr_queue_ptr 0
		.amdhsa_user_sgpr_kernarg_segment_ptr 1
		.amdhsa_user_sgpr_dispatch_id 0
		.amdhsa_user_sgpr_flat_scratch_init 0
		.amdhsa_user_sgpr_private_segment_size 0
		.amdhsa_wavefront_size32 1
		.amdhsa_uses_dynamic_stack 0
		.amdhsa_system_sgpr_private_segment_wavefront_offset 0
		.amdhsa_system_sgpr_workgroup_id_x 1
		.amdhsa_system_sgpr_workgroup_id_y 0
		.amdhsa_system_sgpr_workgroup_id_z 0
		.amdhsa_system_sgpr_workgroup_info 0
		.amdhsa_system_vgpr_workitem_id 0
		.amdhsa_next_free_vgpr 1
		.amdhsa_next_free_sgpr 1
		.amdhsa_reserve_vcc 0
		.amdhsa_reserve_flat_scratch 0
		.amdhsa_float_round_mode_32 0
		.amdhsa_float_round_mode_16_64 0
		.amdhsa_float_denorm_mode_32 3
		.amdhsa_float_denorm_mode_16_64 3
		.amdhsa_dx10_clamp 1
		.amdhsa_ieee_mode 1
		.amdhsa_fp16_overflow 0
		.amdhsa_workgroup_processor_mode 1
		.amdhsa_memory_ordered 1
		.amdhsa_forward_progress 1
		.amdhsa_shared_vgpr_count 0
		.amdhsa_exception_fp_ieee_invalid_op 0
		.amdhsa_exception_fp_denorm_src 0
		.amdhsa_exception_fp_ieee_div_zero 0
		.amdhsa_exception_fp_ieee_overflow 0
		.amdhsa_exception_fp_ieee_underflow 0
		.amdhsa_exception_fp_ieee_inexact 0
		.amdhsa_exception_int_div_zero 0
	.end_amdhsa_kernel
	.section	.text._ZN7rocprim17ROCPRIM_400000_NS6detail17trampoline_kernelINS0_13select_configILj256ELj13ELNS0_17block_load_methodE3ELS4_3ELS4_3ELNS0_20block_scan_algorithmE0ELj4294967295EEENS1_25partition_config_selectorILNS1_17partition_subalgoE4EjNS0_10empty_typeEbEEZZNS1_14partition_implILS8_4ELb0ES6_15HIP_vector_typeIjLj2EENS0_17counting_iteratorIjlEEPS9_SG_NS0_5tupleIJPjSI_NS0_16reverse_iteratorISI_EEEEENSH_IJSG_SG_SG_EEES9_SI_JZNS1_25segmented_radix_sort_implINS0_14default_configELb1EPK12hip_bfloat16PSP_PKlPlN2at6native12_GLOBAL__N_18offset_tEEE10hipError_tPvRmT1_PNSt15iterator_traitsIS13_E10value_typeET2_T3_PNS14_IS19_E10value_typeET4_jRbjT5_S1F_jjP12ihipStream_tbEUljE_ZNSN_ISO_Lb1ESR_SS_SU_SV_SZ_EES10_S11_S12_S13_S17_S18_S19_S1C_S1D_jS1E_jS1F_S1F_jjS1H_bEUljE0_EEES10_S11_S12_S19_S1D_S1F_T6_T7_T9_mT8_S1H_bDpT10_ENKUlT_T0_E_clISt17integral_constantIbLb0EES1V_EEDaS1Q_S1R_EUlS1Q_E_NS1_11comp_targetILNS1_3genE9ELNS1_11target_archE1100ELNS1_3gpuE3ELNS1_3repE0EEENS1_30default_config_static_selectorELNS0_4arch9wavefront6targetE0EEEvS13_,"axG",@progbits,_ZN7rocprim17ROCPRIM_400000_NS6detail17trampoline_kernelINS0_13select_configILj256ELj13ELNS0_17block_load_methodE3ELS4_3ELS4_3ELNS0_20block_scan_algorithmE0ELj4294967295EEENS1_25partition_config_selectorILNS1_17partition_subalgoE4EjNS0_10empty_typeEbEEZZNS1_14partition_implILS8_4ELb0ES6_15HIP_vector_typeIjLj2EENS0_17counting_iteratorIjlEEPS9_SG_NS0_5tupleIJPjSI_NS0_16reverse_iteratorISI_EEEEENSH_IJSG_SG_SG_EEES9_SI_JZNS1_25segmented_radix_sort_implINS0_14default_configELb1EPK12hip_bfloat16PSP_PKlPlN2at6native12_GLOBAL__N_18offset_tEEE10hipError_tPvRmT1_PNSt15iterator_traitsIS13_E10value_typeET2_T3_PNS14_IS19_E10value_typeET4_jRbjT5_S1F_jjP12ihipStream_tbEUljE_ZNSN_ISO_Lb1ESR_SS_SU_SV_SZ_EES10_S11_S12_S13_S17_S18_S19_S1C_S1D_jS1E_jS1F_S1F_jjS1H_bEUljE0_EEES10_S11_S12_S19_S1D_S1F_T6_T7_T9_mT8_S1H_bDpT10_ENKUlT_T0_E_clISt17integral_constantIbLb0EES1V_EEDaS1Q_S1R_EUlS1Q_E_NS1_11comp_targetILNS1_3genE9ELNS1_11target_archE1100ELNS1_3gpuE3ELNS1_3repE0EEENS1_30default_config_static_selectorELNS0_4arch9wavefront6targetE0EEEvS13_,comdat
.Lfunc_end1878:
	.size	_ZN7rocprim17ROCPRIM_400000_NS6detail17trampoline_kernelINS0_13select_configILj256ELj13ELNS0_17block_load_methodE3ELS4_3ELS4_3ELNS0_20block_scan_algorithmE0ELj4294967295EEENS1_25partition_config_selectorILNS1_17partition_subalgoE4EjNS0_10empty_typeEbEEZZNS1_14partition_implILS8_4ELb0ES6_15HIP_vector_typeIjLj2EENS0_17counting_iteratorIjlEEPS9_SG_NS0_5tupleIJPjSI_NS0_16reverse_iteratorISI_EEEEENSH_IJSG_SG_SG_EEES9_SI_JZNS1_25segmented_radix_sort_implINS0_14default_configELb1EPK12hip_bfloat16PSP_PKlPlN2at6native12_GLOBAL__N_18offset_tEEE10hipError_tPvRmT1_PNSt15iterator_traitsIS13_E10value_typeET2_T3_PNS14_IS19_E10value_typeET4_jRbjT5_S1F_jjP12ihipStream_tbEUljE_ZNSN_ISO_Lb1ESR_SS_SU_SV_SZ_EES10_S11_S12_S13_S17_S18_S19_S1C_S1D_jS1E_jS1F_S1F_jjS1H_bEUljE0_EEES10_S11_S12_S19_S1D_S1F_T6_T7_T9_mT8_S1H_bDpT10_ENKUlT_T0_E_clISt17integral_constantIbLb0EES1V_EEDaS1Q_S1R_EUlS1Q_E_NS1_11comp_targetILNS1_3genE9ELNS1_11target_archE1100ELNS1_3gpuE3ELNS1_3repE0EEENS1_30default_config_static_selectorELNS0_4arch9wavefront6targetE0EEEvS13_, .Lfunc_end1878-_ZN7rocprim17ROCPRIM_400000_NS6detail17trampoline_kernelINS0_13select_configILj256ELj13ELNS0_17block_load_methodE3ELS4_3ELS4_3ELNS0_20block_scan_algorithmE0ELj4294967295EEENS1_25partition_config_selectorILNS1_17partition_subalgoE4EjNS0_10empty_typeEbEEZZNS1_14partition_implILS8_4ELb0ES6_15HIP_vector_typeIjLj2EENS0_17counting_iteratorIjlEEPS9_SG_NS0_5tupleIJPjSI_NS0_16reverse_iteratorISI_EEEEENSH_IJSG_SG_SG_EEES9_SI_JZNS1_25segmented_radix_sort_implINS0_14default_configELb1EPK12hip_bfloat16PSP_PKlPlN2at6native12_GLOBAL__N_18offset_tEEE10hipError_tPvRmT1_PNSt15iterator_traitsIS13_E10value_typeET2_T3_PNS14_IS19_E10value_typeET4_jRbjT5_S1F_jjP12ihipStream_tbEUljE_ZNSN_ISO_Lb1ESR_SS_SU_SV_SZ_EES10_S11_S12_S13_S17_S18_S19_S1C_S1D_jS1E_jS1F_S1F_jjS1H_bEUljE0_EEES10_S11_S12_S19_S1D_S1F_T6_T7_T9_mT8_S1H_bDpT10_ENKUlT_T0_E_clISt17integral_constantIbLb0EES1V_EEDaS1Q_S1R_EUlS1Q_E_NS1_11comp_targetILNS1_3genE9ELNS1_11target_archE1100ELNS1_3gpuE3ELNS1_3repE0EEENS1_30default_config_static_selectorELNS0_4arch9wavefront6targetE0EEEvS13_
                                        ; -- End function
	.set _ZN7rocprim17ROCPRIM_400000_NS6detail17trampoline_kernelINS0_13select_configILj256ELj13ELNS0_17block_load_methodE3ELS4_3ELS4_3ELNS0_20block_scan_algorithmE0ELj4294967295EEENS1_25partition_config_selectorILNS1_17partition_subalgoE4EjNS0_10empty_typeEbEEZZNS1_14partition_implILS8_4ELb0ES6_15HIP_vector_typeIjLj2EENS0_17counting_iteratorIjlEEPS9_SG_NS0_5tupleIJPjSI_NS0_16reverse_iteratorISI_EEEEENSH_IJSG_SG_SG_EEES9_SI_JZNS1_25segmented_radix_sort_implINS0_14default_configELb1EPK12hip_bfloat16PSP_PKlPlN2at6native12_GLOBAL__N_18offset_tEEE10hipError_tPvRmT1_PNSt15iterator_traitsIS13_E10value_typeET2_T3_PNS14_IS19_E10value_typeET4_jRbjT5_S1F_jjP12ihipStream_tbEUljE_ZNSN_ISO_Lb1ESR_SS_SU_SV_SZ_EES10_S11_S12_S13_S17_S18_S19_S1C_S1D_jS1E_jS1F_S1F_jjS1H_bEUljE0_EEES10_S11_S12_S19_S1D_S1F_T6_T7_T9_mT8_S1H_bDpT10_ENKUlT_T0_E_clISt17integral_constantIbLb0EES1V_EEDaS1Q_S1R_EUlS1Q_E_NS1_11comp_targetILNS1_3genE9ELNS1_11target_archE1100ELNS1_3gpuE3ELNS1_3repE0EEENS1_30default_config_static_selectorELNS0_4arch9wavefront6targetE0EEEvS13_.num_vgpr, 0
	.set _ZN7rocprim17ROCPRIM_400000_NS6detail17trampoline_kernelINS0_13select_configILj256ELj13ELNS0_17block_load_methodE3ELS4_3ELS4_3ELNS0_20block_scan_algorithmE0ELj4294967295EEENS1_25partition_config_selectorILNS1_17partition_subalgoE4EjNS0_10empty_typeEbEEZZNS1_14partition_implILS8_4ELb0ES6_15HIP_vector_typeIjLj2EENS0_17counting_iteratorIjlEEPS9_SG_NS0_5tupleIJPjSI_NS0_16reverse_iteratorISI_EEEEENSH_IJSG_SG_SG_EEES9_SI_JZNS1_25segmented_radix_sort_implINS0_14default_configELb1EPK12hip_bfloat16PSP_PKlPlN2at6native12_GLOBAL__N_18offset_tEEE10hipError_tPvRmT1_PNSt15iterator_traitsIS13_E10value_typeET2_T3_PNS14_IS19_E10value_typeET4_jRbjT5_S1F_jjP12ihipStream_tbEUljE_ZNSN_ISO_Lb1ESR_SS_SU_SV_SZ_EES10_S11_S12_S13_S17_S18_S19_S1C_S1D_jS1E_jS1F_S1F_jjS1H_bEUljE0_EEES10_S11_S12_S19_S1D_S1F_T6_T7_T9_mT8_S1H_bDpT10_ENKUlT_T0_E_clISt17integral_constantIbLb0EES1V_EEDaS1Q_S1R_EUlS1Q_E_NS1_11comp_targetILNS1_3genE9ELNS1_11target_archE1100ELNS1_3gpuE3ELNS1_3repE0EEENS1_30default_config_static_selectorELNS0_4arch9wavefront6targetE0EEEvS13_.num_agpr, 0
	.set _ZN7rocprim17ROCPRIM_400000_NS6detail17trampoline_kernelINS0_13select_configILj256ELj13ELNS0_17block_load_methodE3ELS4_3ELS4_3ELNS0_20block_scan_algorithmE0ELj4294967295EEENS1_25partition_config_selectorILNS1_17partition_subalgoE4EjNS0_10empty_typeEbEEZZNS1_14partition_implILS8_4ELb0ES6_15HIP_vector_typeIjLj2EENS0_17counting_iteratorIjlEEPS9_SG_NS0_5tupleIJPjSI_NS0_16reverse_iteratorISI_EEEEENSH_IJSG_SG_SG_EEES9_SI_JZNS1_25segmented_radix_sort_implINS0_14default_configELb1EPK12hip_bfloat16PSP_PKlPlN2at6native12_GLOBAL__N_18offset_tEEE10hipError_tPvRmT1_PNSt15iterator_traitsIS13_E10value_typeET2_T3_PNS14_IS19_E10value_typeET4_jRbjT5_S1F_jjP12ihipStream_tbEUljE_ZNSN_ISO_Lb1ESR_SS_SU_SV_SZ_EES10_S11_S12_S13_S17_S18_S19_S1C_S1D_jS1E_jS1F_S1F_jjS1H_bEUljE0_EEES10_S11_S12_S19_S1D_S1F_T6_T7_T9_mT8_S1H_bDpT10_ENKUlT_T0_E_clISt17integral_constantIbLb0EES1V_EEDaS1Q_S1R_EUlS1Q_E_NS1_11comp_targetILNS1_3genE9ELNS1_11target_archE1100ELNS1_3gpuE3ELNS1_3repE0EEENS1_30default_config_static_selectorELNS0_4arch9wavefront6targetE0EEEvS13_.numbered_sgpr, 0
	.set _ZN7rocprim17ROCPRIM_400000_NS6detail17trampoline_kernelINS0_13select_configILj256ELj13ELNS0_17block_load_methodE3ELS4_3ELS4_3ELNS0_20block_scan_algorithmE0ELj4294967295EEENS1_25partition_config_selectorILNS1_17partition_subalgoE4EjNS0_10empty_typeEbEEZZNS1_14partition_implILS8_4ELb0ES6_15HIP_vector_typeIjLj2EENS0_17counting_iteratorIjlEEPS9_SG_NS0_5tupleIJPjSI_NS0_16reverse_iteratorISI_EEEEENSH_IJSG_SG_SG_EEES9_SI_JZNS1_25segmented_radix_sort_implINS0_14default_configELb1EPK12hip_bfloat16PSP_PKlPlN2at6native12_GLOBAL__N_18offset_tEEE10hipError_tPvRmT1_PNSt15iterator_traitsIS13_E10value_typeET2_T3_PNS14_IS19_E10value_typeET4_jRbjT5_S1F_jjP12ihipStream_tbEUljE_ZNSN_ISO_Lb1ESR_SS_SU_SV_SZ_EES10_S11_S12_S13_S17_S18_S19_S1C_S1D_jS1E_jS1F_S1F_jjS1H_bEUljE0_EEES10_S11_S12_S19_S1D_S1F_T6_T7_T9_mT8_S1H_bDpT10_ENKUlT_T0_E_clISt17integral_constantIbLb0EES1V_EEDaS1Q_S1R_EUlS1Q_E_NS1_11comp_targetILNS1_3genE9ELNS1_11target_archE1100ELNS1_3gpuE3ELNS1_3repE0EEENS1_30default_config_static_selectorELNS0_4arch9wavefront6targetE0EEEvS13_.num_named_barrier, 0
	.set _ZN7rocprim17ROCPRIM_400000_NS6detail17trampoline_kernelINS0_13select_configILj256ELj13ELNS0_17block_load_methodE3ELS4_3ELS4_3ELNS0_20block_scan_algorithmE0ELj4294967295EEENS1_25partition_config_selectorILNS1_17partition_subalgoE4EjNS0_10empty_typeEbEEZZNS1_14partition_implILS8_4ELb0ES6_15HIP_vector_typeIjLj2EENS0_17counting_iteratorIjlEEPS9_SG_NS0_5tupleIJPjSI_NS0_16reverse_iteratorISI_EEEEENSH_IJSG_SG_SG_EEES9_SI_JZNS1_25segmented_radix_sort_implINS0_14default_configELb1EPK12hip_bfloat16PSP_PKlPlN2at6native12_GLOBAL__N_18offset_tEEE10hipError_tPvRmT1_PNSt15iterator_traitsIS13_E10value_typeET2_T3_PNS14_IS19_E10value_typeET4_jRbjT5_S1F_jjP12ihipStream_tbEUljE_ZNSN_ISO_Lb1ESR_SS_SU_SV_SZ_EES10_S11_S12_S13_S17_S18_S19_S1C_S1D_jS1E_jS1F_S1F_jjS1H_bEUljE0_EEES10_S11_S12_S19_S1D_S1F_T6_T7_T9_mT8_S1H_bDpT10_ENKUlT_T0_E_clISt17integral_constantIbLb0EES1V_EEDaS1Q_S1R_EUlS1Q_E_NS1_11comp_targetILNS1_3genE9ELNS1_11target_archE1100ELNS1_3gpuE3ELNS1_3repE0EEENS1_30default_config_static_selectorELNS0_4arch9wavefront6targetE0EEEvS13_.private_seg_size, 0
	.set _ZN7rocprim17ROCPRIM_400000_NS6detail17trampoline_kernelINS0_13select_configILj256ELj13ELNS0_17block_load_methodE3ELS4_3ELS4_3ELNS0_20block_scan_algorithmE0ELj4294967295EEENS1_25partition_config_selectorILNS1_17partition_subalgoE4EjNS0_10empty_typeEbEEZZNS1_14partition_implILS8_4ELb0ES6_15HIP_vector_typeIjLj2EENS0_17counting_iteratorIjlEEPS9_SG_NS0_5tupleIJPjSI_NS0_16reverse_iteratorISI_EEEEENSH_IJSG_SG_SG_EEES9_SI_JZNS1_25segmented_radix_sort_implINS0_14default_configELb1EPK12hip_bfloat16PSP_PKlPlN2at6native12_GLOBAL__N_18offset_tEEE10hipError_tPvRmT1_PNSt15iterator_traitsIS13_E10value_typeET2_T3_PNS14_IS19_E10value_typeET4_jRbjT5_S1F_jjP12ihipStream_tbEUljE_ZNSN_ISO_Lb1ESR_SS_SU_SV_SZ_EES10_S11_S12_S13_S17_S18_S19_S1C_S1D_jS1E_jS1F_S1F_jjS1H_bEUljE0_EEES10_S11_S12_S19_S1D_S1F_T6_T7_T9_mT8_S1H_bDpT10_ENKUlT_T0_E_clISt17integral_constantIbLb0EES1V_EEDaS1Q_S1R_EUlS1Q_E_NS1_11comp_targetILNS1_3genE9ELNS1_11target_archE1100ELNS1_3gpuE3ELNS1_3repE0EEENS1_30default_config_static_selectorELNS0_4arch9wavefront6targetE0EEEvS13_.uses_vcc, 0
	.set _ZN7rocprim17ROCPRIM_400000_NS6detail17trampoline_kernelINS0_13select_configILj256ELj13ELNS0_17block_load_methodE3ELS4_3ELS4_3ELNS0_20block_scan_algorithmE0ELj4294967295EEENS1_25partition_config_selectorILNS1_17partition_subalgoE4EjNS0_10empty_typeEbEEZZNS1_14partition_implILS8_4ELb0ES6_15HIP_vector_typeIjLj2EENS0_17counting_iteratorIjlEEPS9_SG_NS0_5tupleIJPjSI_NS0_16reverse_iteratorISI_EEEEENSH_IJSG_SG_SG_EEES9_SI_JZNS1_25segmented_radix_sort_implINS0_14default_configELb1EPK12hip_bfloat16PSP_PKlPlN2at6native12_GLOBAL__N_18offset_tEEE10hipError_tPvRmT1_PNSt15iterator_traitsIS13_E10value_typeET2_T3_PNS14_IS19_E10value_typeET4_jRbjT5_S1F_jjP12ihipStream_tbEUljE_ZNSN_ISO_Lb1ESR_SS_SU_SV_SZ_EES10_S11_S12_S13_S17_S18_S19_S1C_S1D_jS1E_jS1F_S1F_jjS1H_bEUljE0_EEES10_S11_S12_S19_S1D_S1F_T6_T7_T9_mT8_S1H_bDpT10_ENKUlT_T0_E_clISt17integral_constantIbLb0EES1V_EEDaS1Q_S1R_EUlS1Q_E_NS1_11comp_targetILNS1_3genE9ELNS1_11target_archE1100ELNS1_3gpuE3ELNS1_3repE0EEENS1_30default_config_static_selectorELNS0_4arch9wavefront6targetE0EEEvS13_.uses_flat_scratch, 0
	.set _ZN7rocprim17ROCPRIM_400000_NS6detail17trampoline_kernelINS0_13select_configILj256ELj13ELNS0_17block_load_methodE3ELS4_3ELS4_3ELNS0_20block_scan_algorithmE0ELj4294967295EEENS1_25partition_config_selectorILNS1_17partition_subalgoE4EjNS0_10empty_typeEbEEZZNS1_14partition_implILS8_4ELb0ES6_15HIP_vector_typeIjLj2EENS0_17counting_iteratorIjlEEPS9_SG_NS0_5tupleIJPjSI_NS0_16reverse_iteratorISI_EEEEENSH_IJSG_SG_SG_EEES9_SI_JZNS1_25segmented_radix_sort_implINS0_14default_configELb1EPK12hip_bfloat16PSP_PKlPlN2at6native12_GLOBAL__N_18offset_tEEE10hipError_tPvRmT1_PNSt15iterator_traitsIS13_E10value_typeET2_T3_PNS14_IS19_E10value_typeET4_jRbjT5_S1F_jjP12ihipStream_tbEUljE_ZNSN_ISO_Lb1ESR_SS_SU_SV_SZ_EES10_S11_S12_S13_S17_S18_S19_S1C_S1D_jS1E_jS1F_S1F_jjS1H_bEUljE0_EEES10_S11_S12_S19_S1D_S1F_T6_T7_T9_mT8_S1H_bDpT10_ENKUlT_T0_E_clISt17integral_constantIbLb0EES1V_EEDaS1Q_S1R_EUlS1Q_E_NS1_11comp_targetILNS1_3genE9ELNS1_11target_archE1100ELNS1_3gpuE3ELNS1_3repE0EEENS1_30default_config_static_selectorELNS0_4arch9wavefront6targetE0EEEvS13_.has_dyn_sized_stack, 0
	.set _ZN7rocprim17ROCPRIM_400000_NS6detail17trampoline_kernelINS0_13select_configILj256ELj13ELNS0_17block_load_methodE3ELS4_3ELS4_3ELNS0_20block_scan_algorithmE0ELj4294967295EEENS1_25partition_config_selectorILNS1_17partition_subalgoE4EjNS0_10empty_typeEbEEZZNS1_14partition_implILS8_4ELb0ES6_15HIP_vector_typeIjLj2EENS0_17counting_iteratorIjlEEPS9_SG_NS0_5tupleIJPjSI_NS0_16reverse_iteratorISI_EEEEENSH_IJSG_SG_SG_EEES9_SI_JZNS1_25segmented_radix_sort_implINS0_14default_configELb1EPK12hip_bfloat16PSP_PKlPlN2at6native12_GLOBAL__N_18offset_tEEE10hipError_tPvRmT1_PNSt15iterator_traitsIS13_E10value_typeET2_T3_PNS14_IS19_E10value_typeET4_jRbjT5_S1F_jjP12ihipStream_tbEUljE_ZNSN_ISO_Lb1ESR_SS_SU_SV_SZ_EES10_S11_S12_S13_S17_S18_S19_S1C_S1D_jS1E_jS1F_S1F_jjS1H_bEUljE0_EEES10_S11_S12_S19_S1D_S1F_T6_T7_T9_mT8_S1H_bDpT10_ENKUlT_T0_E_clISt17integral_constantIbLb0EES1V_EEDaS1Q_S1R_EUlS1Q_E_NS1_11comp_targetILNS1_3genE9ELNS1_11target_archE1100ELNS1_3gpuE3ELNS1_3repE0EEENS1_30default_config_static_selectorELNS0_4arch9wavefront6targetE0EEEvS13_.has_recursion, 0
	.set _ZN7rocprim17ROCPRIM_400000_NS6detail17trampoline_kernelINS0_13select_configILj256ELj13ELNS0_17block_load_methodE3ELS4_3ELS4_3ELNS0_20block_scan_algorithmE0ELj4294967295EEENS1_25partition_config_selectorILNS1_17partition_subalgoE4EjNS0_10empty_typeEbEEZZNS1_14partition_implILS8_4ELb0ES6_15HIP_vector_typeIjLj2EENS0_17counting_iteratorIjlEEPS9_SG_NS0_5tupleIJPjSI_NS0_16reverse_iteratorISI_EEEEENSH_IJSG_SG_SG_EEES9_SI_JZNS1_25segmented_radix_sort_implINS0_14default_configELb1EPK12hip_bfloat16PSP_PKlPlN2at6native12_GLOBAL__N_18offset_tEEE10hipError_tPvRmT1_PNSt15iterator_traitsIS13_E10value_typeET2_T3_PNS14_IS19_E10value_typeET4_jRbjT5_S1F_jjP12ihipStream_tbEUljE_ZNSN_ISO_Lb1ESR_SS_SU_SV_SZ_EES10_S11_S12_S13_S17_S18_S19_S1C_S1D_jS1E_jS1F_S1F_jjS1H_bEUljE0_EEES10_S11_S12_S19_S1D_S1F_T6_T7_T9_mT8_S1H_bDpT10_ENKUlT_T0_E_clISt17integral_constantIbLb0EES1V_EEDaS1Q_S1R_EUlS1Q_E_NS1_11comp_targetILNS1_3genE9ELNS1_11target_archE1100ELNS1_3gpuE3ELNS1_3repE0EEENS1_30default_config_static_selectorELNS0_4arch9wavefront6targetE0EEEvS13_.has_indirect_call, 0
	.section	.AMDGPU.csdata,"",@progbits
; Kernel info:
; codeLenInByte = 0
; TotalNumSgprs: 0
; NumVgprs: 0
; ScratchSize: 0
; MemoryBound: 0
; FloatMode: 240
; IeeeMode: 1
; LDSByteSize: 0 bytes/workgroup (compile time only)
; SGPRBlocks: 0
; VGPRBlocks: 0
; NumSGPRsForWavesPerEU: 1
; NumVGPRsForWavesPerEU: 1
; Occupancy: 16
; WaveLimiterHint : 0
; COMPUTE_PGM_RSRC2:SCRATCH_EN: 0
; COMPUTE_PGM_RSRC2:USER_SGPR: 6
; COMPUTE_PGM_RSRC2:TRAP_HANDLER: 0
; COMPUTE_PGM_RSRC2:TGID_X_EN: 1
; COMPUTE_PGM_RSRC2:TGID_Y_EN: 0
; COMPUTE_PGM_RSRC2:TGID_Z_EN: 0
; COMPUTE_PGM_RSRC2:TIDIG_COMP_CNT: 0
	.section	.text._ZN7rocprim17ROCPRIM_400000_NS6detail17trampoline_kernelINS0_13select_configILj256ELj13ELNS0_17block_load_methodE3ELS4_3ELS4_3ELNS0_20block_scan_algorithmE0ELj4294967295EEENS1_25partition_config_selectorILNS1_17partition_subalgoE4EjNS0_10empty_typeEbEEZZNS1_14partition_implILS8_4ELb0ES6_15HIP_vector_typeIjLj2EENS0_17counting_iteratorIjlEEPS9_SG_NS0_5tupleIJPjSI_NS0_16reverse_iteratorISI_EEEEENSH_IJSG_SG_SG_EEES9_SI_JZNS1_25segmented_radix_sort_implINS0_14default_configELb1EPK12hip_bfloat16PSP_PKlPlN2at6native12_GLOBAL__N_18offset_tEEE10hipError_tPvRmT1_PNSt15iterator_traitsIS13_E10value_typeET2_T3_PNS14_IS19_E10value_typeET4_jRbjT5_S1F_jjP12ihipStream_tbEUljE_ZNSN_ISO_Lb1ESR_SS_SU_SV_SZ_EES10_S11_S12_S13_S17_S18_S19_S1C_S1D_jS1E_jS1F_S1F_jjS1H_bEUljE0_EEES10_S11_S12_S19_S1D_S1F_T6_T7_T9_mT8_S1H_bDpT10_ENKUlT_T0_E_clISt17integral_constantIbLb0EES1V_EEDaS1Q_S1R_EUlS1Q_E_NS1_11comp_targetILNS1_3genE8ELNS1_11target_archE1030ELNS1_3gpuE2ELNS1_3repE0EEENS1_30default_config_static_selectorELNS0_4arch9wavefront6targetE0EEEvS13_,"axG",@progbits,_ZN7rocprim17ROCPRIM_400000_NS6detail17trampoline_kernelINS0_13select_configILj256ELj13ELNS0_17block_load_methodE3ELS4_3ELS4_3ELNS0_20block_scan_algorithmE0ELj4294967295EEENS1_25partition_config_selectorILNS1_17partition_subalgoE4EjNS0_10empty_typeEbEEZZNS1_14partition_implILS8_4ELb0ES6_15HIP_vector_typeIjLj2EENS0_17counting_iteratorIjlEEPS9_SG_NS0_5tupleIJPjSI_NS0_16reverse_iteratorISI_EEEEENSH_IJSG_SG_SG_EEES9_SI_JZNS1_25segmented_radix_sort_implINS0_14default_configELb1EPK12hip_bfloat16PSP_PKlPlN2at6native12_GLOBAL__N_18offset_tEEE10hipError_tPvRmT1_PNSt15iterator_traitsIS13_E10value_typeET2_T3_PNS14_IS19_E10value_typeET4_jRbjT5_S1F_jjP12ihipStream_tbEUljE_ZNSN_ISO_Lb1ESR_SS_SU_SV_SZ_EES10_S11_S12_S13_S17_S18_S19_S1C_S1D_jS1E_jS1F_S1F_jjS1H_bEUljE0_EEES10_S11_S12_S19_S1D_S1F_T6_T7_T9_mT8_S1H_bDpT10_ENKUlT_T0_E_clISt17integral_constantIbLb0EES1V_EEDaS1Q_S1R_EUlS1Q_E_NS1_11comp_targetILNS1_3genE8ELNS1_11target_archE1030ELNS1_3gpuE2ELNS1_3repE0EEENS1_30default_config_static_selectorELNS0_4arch9wavefront6targetE0EEEvS13_,comdat
	.globl	_ZN7rocprim17ROCPRIM_400000_NS6detail17trampoline_kernelINS0_13select_configILj256ELj13ELNS0_17block_load_methodE3ELS4_3ELS4_3ELNS0_20block_scan_algorithmE0ELj4294967295EEENS1_25partition_config_selectorILNS1_17partition_subalgoE4EjNS0_10empty_typeEbEEZZNS1_14partition_implILS8_4ELb0ES6_15HIP_vector_typeIjLj2EENS0_17counting_iteratorIjlEEPS9_SG_NS0_5tupleIJPjSI_NS0_16reverse_iteratorISI_EEEEENSH_IJSG_SG_SG_EEES9_SI_JZNS1_25segmented_radix_sort_implINS0_14default_configELb1EPK12hip_bfloat16PSP_PKlPlN2at6native12_GLOBAL__N_18offset_tEEE10hipError_tPvRmT1_PNSt15iterator_traitsIS13_E10value_typeET2_T3_PNS14_IS19_E10value_typeET4_jRbjT5_S1F_jjP12ihipStream_tbEUljE_ZNSN_ISO_Lb1ESR_SS_SU_SV_SZ_EES10_S11_S12_S13_S17_S18_S19_S1C_S1D_jS1E_jS1F_S1F_jjS1H_bEUljE0_EEES10_S11_S12_S19_S1D_S1F_T6_T7_T9_mT8_S1H_bDpT10_ENKUlT_T0_E_clISt17integral_constantIbLb0EES1V_EEDaS1Q_S1R_EUlS1Q_E_NS1_11comp_targetILNS1_3genE8ELNS1_11target_archE1030ELNS1_3gpuE2ELNS1_3repE0EEENS1_30default_config_static_selectorELNS0_4arch9wavefront6targetE0EEEvS13_ ; -- Begin function _ZN7rocprim17ROCPRIM_400000_NS6detail17trampoline_kernelINS0_13select_configILj256ELj13ELNS0_17block_load_methodE3ELS4_3ELS4_3ELNS0_20block_scan_algorithmE0ELj4294967295EEENS1_25partition_config_selectorILNS1_17partition_subalgoE4EjNS0_10empty_typeEbEEZZNS1_14partition_implILS8_4ELb0ES6_15HIP_vector_typeIjLj2EENS0_17counting_iteratorIjlEEPS9_SG_NS0_5tupleIJPjSI_NS0_16reverse_iteratorISI_EEEEENSH_IJSG_SG_SG_EEES9_SI_JZNS1_25segmented_radix_sort_implINS0_14default_configELb1EPK12hip_bfloat16PSP_PKlPlN2at6native12_GLOBAL__N_18offset_tEEE10hipError_tPvRmT1_PNSt15iterator_traitsIS13_E10value_typeET2_T3_PNS14_IS19_E10value_typeET4_jRbjT5_S1F_jjP12ihipStream_tbEUljE_ZNSN_ISO_Lb1ESR_SS_SU_SV_SZ_EES10_S11_S12_S13_S17_S18_S19_S1C_S1D_jS1E_jS1F_S1F_jjS1H_bEUljE0_EEES10_S11_S12_S19_S1D_S1F_T6_T7_T9_mT8_S1H_bDpT10_ENKUlT_T0_E_clISt17integral_constantIbLb0EES1V_EEDaS1Q_S1R_EUlS1Q_E_NS1_11comp_targetILNS1_3genE8ELNS1_11target_archE1030ELNS1_3gpuE2ELNS1_3repE0EEENS1_30default_config_static_selectorELNS0_4arch9wavefront6targetE0EEEvS13_
	.p2align	8
	.type	_ZN7rocprim17ROCPRIM_400000_NS6detail17trampoline_kernelINS0_13select_configILj256ELj13ELNS0_17block_load_methodE3ELS4_3ELS4_3ELNS0_20block_scan_algorithmE0ELj4294967295EEENS1_25partition_config_selectorILNS1_17partition_subalgoE4EjNS0_10empty_typeEbEEZZNS1_14partition_implILS8_4ELb0ES6_15HIP_vector_typeIjLj2EENS0_17counting_iteratorIjlEEPS9_SG_NS0_5tupleIJPjSI_NS0_16reverse_iteratorISI_EEEEENSH_IJSG_SG_SG_EEES9_SI_JZNS1_25segmented_radix_sort_implINS0_14default_configELb1EPK12hip_bfloat16PSP_PKlPlN2at6native12_GLOBAL__N_18offset_tEEE10hipError_tPvRmT1_PNSt15iterator_traitsIS13_E10value_typeET2_T3_PNS14_IS19_E10value_typeET4_jRbjT5_S1F_jjP12ihipStream_tbEUljE_ZNSN_ISO_Lb1ESR_SS_SU_SV_SZ_EES10_S11_S12_S13_S17_S18_S19_S1C_S1D_jS1E_jS1F_S1F_jjS1H_bEUljE0_EEES10_S11_S12_S19_S1D_S1F_T6_T7_T9_mT8_S1H_bDpT10_ENKUlT_T0_E_clISt17integral_constantIbLb0EES1V_EEDaS1Q_S1R_EUlS1Q_E_NS1_11comp_targetILNS1_3genE8ELNS1_11target_archE1030ELNS1_3gpuE2ELNS1_3repE0EEENS1_30default_config_static_selectorELNS0_4arch9wavefront6targetE0EEEvS13_,@function
_ZN7rocprim17ROCPRIM_400000_NS6detail17trampoline_kernelINS0_13select_configILj256ELj13ELNS0_17block_load_methodE3ELS4_3ELS4_3ELNS0_20block_scan_algorithmE0ELj4294967295EEENS1_25partition_config_selectorILNS1_17partition_subalgoE4EjNS0_10empty_typeEbEEZZNS1_14partition_implILS8_4ELb0ES6_15HIP_vector_typeIjLj2EENS0_17counting_iteratorIjlEEPS9_SG_NS0_5tupleIJPjSI_NS0_16reverse_iteratorISI_EEEEENSH_IJSG_SG_SG_EEES9_SI_JZNS1_25segmented_radix_sort_implINS0_14default_configELb1EPK12hip_bfloat16PSP_PKlPlN2at6native12_GLOBAL__N_18offset_tEEE10hipError_tPvRmT1_PNSt15iterator_traitsIS13_E10value_typeET2_T3_PNS14_IS19_E10value_typeET4_jRbjT5_S1F_jjP12ihipStream_tbEUljE_ZNSN_ISO_Lb1ESR_SS_SU_SV_SZ_EES10_S11_S12_S13_S17_S18_S19_S1C_S1D_jS1E_jS1F_S1F_jjS1H_bEUljE0_EEES10_S11_S12_S19_S1D_S1F_T6_T7_T9_mT8_S1H_bDpT10_ENKUlT_T0_E_clISt17integral_constantIbLb0EES1V_EEDaS1Q_S1R_EUlS1Q_E_NS1_11comp_targetILNS1_3genE8ELNS1_11target_archE1030ELNS1_3gpuE2ELNS1_3repE0EEENS1_30default_config_static_selectorELNS0_4arch9wavefront6targetE0EEEvS13_: ; @_ZN7rocprim17ROCPRIM_400000_NS6detail17trampoline_kernelINS0_13select_configILj256ELj13ELNS0_17block_load_methodE3ELS4_3ELS4_3ELNS0_20block_scan_algorithmE0ELj4294967295EEENS1_25partition_config_selectorILNS1_17partition_subalgoE4EjNS0_10empty_typeEbEEZZNS1_14partition_implILS8_4ELb0ES6_15HIP_vector_typeIjLj2EENS0_17counting_iteratorIjlEEPS9_SG_NS0_5tupleIJPjSI_NS0_16reverse_iteratorISI_EEEEENSH_IJSG_SG_SG_EEES9_SI_JZNS1_25segmented_radix_sort_implINS0_14default_configELb1EPK12hip_bfloat16PSP_PKlPlN2at6native12_GLOBAL__N_18offset_tEEE10hipError_tPvRmT1_PNSt15iterator_traitsIS13_E10value_typeET2_T3_PNS14_IS19_E10value_typeET4_jRbjT5_S1F_jjP12ihipStream_tbEUljE_ZNSN_ISO_Lb1ESR_SS_SU_SV_SZ_EES10_S11_S12_S13_S17_S18_S19_S1C_S1D_jS1E_jS1F_S1F_jjS1H_bEUljE0_EEES10_S11_S12_S19_S1D_S1F_T6_T7_T9_mT8_S1H_bDpT10_ENKUlT_T0_E_clISt17integral_constantIbLb0EES1V_EEDaS1Q_S1R_EUlS1Q_E_NS1_11comp_targetILNS1_3genE8ELNS1_11target_archE1030ELNS1_3gpuE2ELNS1_3repE0EEENS1_30default_config_static_selectorELNS0_4arch9wavefront6targetE0EEEvS13_
; %bb.0:
	s_clause 0x6
	s_load_dword s3, s[4:5], 0x80
	s_load_dwordx2 s[34:35], s[4:5], 0x10
	s_load_dwordx2 s[0:1], s[4:5], 0x68
	s_load_dword s7, s[4:5], 0x8
	s_load_dwordx4 s[24:27], s[4:5], 0x58
	s_load_dwordx2 s[40:41], s[4:5], 0xa8
	s_load_dwordx8 s[16:23], s[4:5], 0x88
	s_mul_i32 s42, s6, 0xd00
	s_waitcnt lgkmcnt(0)
	s_mul_i32 s2, s3, 0xd00
	s_add_i32 s3, s3, -1
	s_add_u32 s8, s34, s2
	s_addc_u32 s9, s35, 0
	s_load_dwordx4 s[28:31], s[26:27], 0x0
	s_cmp_eq_u32 s6, s3
	v_cmp_gt_u64_e64 s1, s[0:1], s[8:9]
	s_cselect_b32 s33, -1, 0
	s_cmp_lg_u32 s6, s3
	s_cselect_b32 s3, -1, 0
	s_add_i32 s7, s7, s42
	s_or_b32 s1, s3, s1
	s_add_i32 s7, s7, s34
	s_and_b32 vcc_lo, exec_lo, s1
	v_add_nc_u32_e32 v1, s7, v0
	s_mov_b32 s3, -1
	v_add_nc_u32_e32 v2, 0x100, v1
	v_add_nc_u32_e32 v3, 0x200, v1
	;; [unrolled: 1-line block ×12, first 2 shown]
	s_cbranch_vccz .LBB1879_2
; %bb.1:
	v_lshlrev_b32_e32 v14, 2, v0
	s_mov_b32 s3, 0
	ds_write2st64_b32 v14, v1, v2 offset1:4
	ds_write2st64_b32 v14, v3, v4 offset0:8 offset1:12
	ds_write2st64_b32 v14, v5, v6 offset0:16 offset1:20
	;; [unrolled: 1-line block ×5, first 2 shown]
	ds_write_b32 v14, v13 offset:12288
	s_waitcnt lgkmcnt(0)
	s_barrier
.LBB1879_2:
	s_andn2_b32 vcc_lo, exec_lo, s3
	s_add_i32 s2, s2, s34
	s_cbranch_vccnz .LBB1879_4
; %bb.3:
	v_lshlrev_b32_e32 v14, 2, v0
	ds_write2st64_b32 v14, v1, v2 offset1:4
	ds_write2st64_b32 v14, v3, v4 offset0:8 offset1:12
	ds_write2st64_b32 v14, v5, v6 offset0:16 offset1:20
	;; [unrolled: 1-line block ×5, first 2 shown]
	ds_write_b32 v14, v13 offset:12288
	s_waitcnt lgkmcnt(0)
	s_barrier
.LBB1879_4:
	v_mul_u32_u24_e32 v29, 13, v0
	s_clause 0x1
	s_load_dwordx4 s[36:39], s[4:5], 0x28
	s_load_dwordx2 s[26:27], s[4:5], 0x38
	s_waitcnt lgkmcnt(0)
	buffer_gl0_inv
	v_cndmask_b32_e64 v27, 0, 1, s1
	s_sub_i32 s43, s0, s2
	v_lshlrev_b32_e32 v1, 2, v29
	s_andn2_b32 vcc_lo, exec_lo, s1
	ds_read_b32 v28, v1 offset:48
	ds_read2_b32 v[9:10], v1 offset0:10 offset1:11
	ds_read2_b32 v[11:12], v1 offset0:8 offset1:9
	;; [unrolled: 1-line block ×4, first 2 shown]
	ds_read2_b32 v[19:20], v1 offset1:1
	ds_read2_b32 v[17:18], v1 offset0:2 offset1:3
	s_waitcnt lgkmcnt(0)
	s_barrier
	buffer_gl0_inv
	s_cbranch_vccnz .LBB1879_32
; %bb.5:
	v_add_nc_u32_e32 v1, s17, v19
	v_add_nc_u32_e32 v2, s19, v19
	s_mov_b32 s45, 0
	s_mov_b32 s44, 0
	s_mov_b32 s1, exec_lo
	v_mul_lo_u32 v1, v1, s16
	v_mul_lo_u32 v2, v2, s18
	v_sub_nc_u32_e32 v1, v1, v2
	v_cmp_lt_u32_e32 vcc_lo, s20, v1
	v_cmpx_ge_u32_e64 s20, v1
	s_cbranch_execz .LBB1879_7
; %bb.6:
	v_add_nc_u32_e32 v1, s22, v19
	v_add_nc_u32_e32 v2, s40, v19
	v_mul_lo_u32 v1, v1, s21
	v_mul_lo_u32 v2, v2, s23
	v_sub_nc_u32_e32 v1, v1, v2
	v_cmp_lt_u32_e64 s0, s41, v1
	s_and_b32 s44, s0, exec_lo
.LBB1879_7:
	s_or_b32 exec_lo, exec_lo, s1
	v_add_nc_u32_e32 v1, s17, v20
	v_add_nc_u32_e32 v2, s19, v20
	s_mov_b32 s2, exec_lo
	v_mul_lo_u32 v1, v1, s16
	v_mul_lo_u32 v2, v2, s18
	v_sub_nc_u32_e32 v1, v1, v2
	v_cmp_lt_u32_e64 s0, s20, v1
	v_cmpx_ge_u32_e64 s20, v1
	s_cbranch_execz .LBB1879_9
; %bb.8:
	v_add_nc_u32_e32 v1, s22, v20
	v_add_nc_u32_e32 v2, s40, v20
	v_mul_lo_u32 v1, v1, s21
	v_mul_lo_u32 v2, v2, s23
	v_sub_nc_u32_e32 v1, v1, v2
	v_cmp_lt_u32_e64 s1, s41, v1
	s_and_b32 s45, s1, exec_lo
.LBB1879_9:
	s_or_b32 exec_lo, exec_lo, s2
	v_add_nc_u32_e32 v1, s17, v17
	v_add_nc_u32_e32 v2, s19, v17
	s_mov_b32 s47, 0
	s_mov_b32 s46, 0
	s_mov_b32 s3, exec_lo
	v_mul_lo_u32 v1, v1, s16
	v_mul_lo_u32 v2, v2, s18
	v_sub_nc_u32_e32 v1, v1, v2
	v_cmp_lt_u32_e64 s1, s20, v1
	v_cmpx_ge_u32_e64 s20, v1
	s_cbranch_execz .LBB1879_11
; %bb.10:
	v_add_nc_u32_e32 v1, s22, v17
	v_add_nc_u32_e32 v2, s40, v17
	v_mul_lo_u32 v1, v1, s21
	v_mul_lo_u32 v2, v2, s23
	v_sub_nc_u32_e32 v1, v1, v2
	v_cmp_lt_u32_e64 s2, s41, v1
	s_and_b32 s46, s2, exec_lo
.LBB1879_11:
	s_or_b32 exec_lo, exec_lo, s3
	v_add_nc_u32_e32 v1, s17, v18
	v_add_nc_u32_e32 v2, s19, v18
	s_mov_b32 s7, exec_lo
	v_mul_lo_u32 v1, v1, s16
	v_mul_lo_u32 v2, v2, s18
	v_sub_nc_u32_e32 v1, v1, v2
	v_cmp_lt_u32_e64 s2, s20, v1
	v_cmpx_ge_u32_e64 s20, v1
	s_cbranch_execz .LBB1879_13
; %bb.12:
	v_add_nc_u32_e32 v1, s22, v18
	v_add_nc_u32_e32 v2, s40, v18
	v_mul_lo_u32 v1, v1, s21
	v_mul_lo_u32 v2, v2, s23
	v_sub_nc_u32_e32 v1, v1, v2
	v_cmp_lt_u32_e64 s3, s41, v1
	s_and_b32 s47, s3, exec_lo
.LBB1879_13:
	s_or_b32 exec_lo, exec_lo, s7
	v_add_nc_u32_e32 v1, s17, v15
	v_add_nc_u32_e32 v2, s19, v15
	s_mov_b32 s49, 0
	s_mov_b32 s48, 0
	s_mov_b32 s8, exec_lo
	v_mul_lo_u32 v1, v1, s16
	v_mul_lo_u32 v2, v2, s18
	v_sub_nc_u32_e32 v1, v1, v2
	v_cmp_lt_u32_e64 s3, s20, v1
	;; [unrolled: 40-line block ×6, first 2 shown]
	v_cmpx_ge_u32_e64 s20, v1
	s_cbranch_execz .LBB1879_31
; %bb.30:
	v_add_nc_u32_e32 v1, s22, v28
	v_add_nc_u32_e32 v2, s40, v28
	v_mul_lo_u32 v1, v1, s21
	v_mul_lo_u32 v2, v2, s23
	v_sub_nc_u32_e32 v1, v1, v2
	v_cmp_lt_u32_e64 s15, s41, v1
	s_and_b32 s57, s15, exec_lo
.LBB1879_31:
	s_or_b32 exec_lo, exec_lo, s58
	v_cndmask_b32_e64 v2, 0, 1, s0
	v_cndmask_b32_e64 v4, 0, 1, s2
	v_cndmask_b32_e64 v1, 0, 1, vcc_lo
	v_cndmask_b32_e64 v3, 0, 1, s1
	v_cndmask_b32_e64 v6, 0, 1, s7
	v_lshlrev_b16 v2, 8, v2
	v_lshlrev_b16 v4, 8, v4
	v_cndmask_b32_e64 v8, 0, 1, s9
	v_cndmask_b32_e64 v22, 0, 1, s11
	;; [unrolled: 1-line block ×3, first 2 shown]
	v_or_b32_e32 v1, v1, v2
	v_or_b32_sdwa v2, v3, v4 dst_sel:WORD_1 dst_unused:UNUSED_PAD src0_sel:DWORD src1_sel:DWORD
	v_cndmask_b32_e64 v3, 0, 1, s44
	v_cndmask_b32_e64 v5, 0, 1, s3
	;; [unrolled: 1-line block ×11, first 2 shown]
	v_or_b32_sdwa v30, v1, v2 dst_sel:DWORD dst_unused:UNUSED_PAD src0_sel:WORD_0 src1_sel:DWORD
	v_lshlrev_b16 v1, 8, v6
	v_lshlrev_b16 v2, 8, v8
	;; [unrolled: 1-line block ×5, first 2 shown]
	v_cndmask_b32_e64 v26, 0, 1, s53
	v_cndmask_b32_e64 v32, 0, 1, s51
	;; [unrolled: 1-line block ×5, first 2 shown]
	v_or_b32_e32 v1, v5, v1
	v_or_b32_sdwa v2, v7, v2 dst_sel:WORD_1 dst_unused:UNUSED_PAD src0_sel:DWORD src1_sel:DWORD
	v_or_b32_e32 v5, v21, v6
	v_or_b32_sdwa v6, v23, v8 dst_sel:WORD_1 dst_unused:UNUSED_PAD src0_sel:DWORD src1_sel:DWORD
	v_or_b32_e32 v3, v4, v3
	v_lshlrev_b16 v4, 8, v39
	v_lshlrev_b16 v7, 8, v36
	;; [unrolled: 1-line block ×5, first 2 shown]
	v_or_b32_sdwa v4, v40, v4 dst_sel:WORD_1 dst_unused:UNUSED_PAD src0_sel:DWORD src1_sel:DWORD
	v_or_b32_e32 v7, v38, v7
	v_or_b32_sdwa v8, v35, v8 dst_sel:WORD_1 dst_unused:UNUSED_PAD src0_sel:DWORD src1_sel:DWORD
	v_or_b32_e32 v21, v32, v21
	v_or_b32_sdwa v22, v26, v22 dst_sel:WORD_1 dst_unused:UNUSED_PAD src0_sel:DWORD src1_sel:DWORD
	v_cndmask_b32_e64 v34, 0, 1, s55
	v_cndmask_b32_e64 v37, 0, 1, s57
	v_or_b32_sdwa v32, v1, v2 dst_sel:DWORD dst_unused:UNUSED_PAD src0_sel:WORD_0 src1_sel:DWORD
	v_or_b32_sdwa v35, v5, v6 dst_sel:DWORD dst_unused:UNUSED_PAD src0_sel:WORD_0 src1_sel:DWORD
	;; [unrolled: 1-line block ×5, first 2 shown]
	s_load_dwordx2 s[4:5], s[4:5], 0x78
	s_and_b32 vcc_lo, exec_lo, s54
	s_add_i32 s7, s43, 0xd00
	s_cbranch_vccnz .LBB1879_33
	s_branch .LBB1879_110
.LBB1879_32:
                                        ; implicit-def: $vgpr37
                                        ; implicit-def: $vgpr34
                                        ; implicit-def: $vgpr33
                                        ; implicit-def: $vgpr31
                                        ; implicit-def: $vgpr36
                                        ; implicit-def: $vgpr35
                                        ; implicit-def: $vgpr32
                                        ; implicit-def: $vgpr30
	s_load_dwordx2 s[4:5], s[4:5], 0x78
	s_add_i32 s7, s43, 0xd00
	s_cbranch_execz .LBB1879_110
.LBB1879_33:
	v_mov_b32_e32 v2, 0
	v_mov_b32_e32 v1, 0
	s_mov_b32 s1, exec_lo
	v_cmpx_gt_u32_e64 s7, v29
	s_cbranch_execz .LBB1879_37
; %bb.34:
	v_add_nc_u32_e32 v1, s17, v19
	v_add_nc_u32_e32 v2, s19, v19
	s_mov_b32 s3, 0
	s_mov_b32 s2, exec_lo
	v_mul_lo_u32 v1, v1, s16
	v_mul_lo_u32 v2, v2, s18
	v_sub_nc_u32_e32 v1, v1, v2
	v_cmp_lt_u32_e32 vcc_lo, s20, v1
	v_cmpx_ge_u32_e64 s20, v1
	s_cbranch_execz .LBB1879_36
; %bb.35:
	v_add_nc_u32_e32 v1, s22, v19
	v_add_nc_u32_e32 v2, s40, v19
	v_mul_lo_u32 v1, v1, s21
	v_mul_lo_u32 v2, v2, s23
	v_sub_nc_u32_e32 v1, v1, v2
	v_cmp_lt_u32_e64 s0, s41, v1
	s_and_b32 s3, s0, exec_lo
.LBB1879_36:
	s_or_b32 exec_lo, exec_lo, s2
	v_cndmask_b32_e64 v2, 0, 1, s3
	v_cndmask_b32_e64 v1, 0, 1, vcc_lo
.LBB1879_37:
	s_or_b32 exec_lo, exec_lo, s1
	v_add_nc_u32_e32 v3, 1, v29
	v_lshlrev_b16 v21, 8, v2
	v_and_b32_e32 v6, 0xff, v1
	v_lshlrev_b16 v7, 8, 0
                                        ; implicit-def: $vgpr5
                                        ; implicit-def: $vgpr8
                                        ; implicit-def: $vgpr2
                                        ; implicit-def: $vgpr4
	v_cmp_le_u32_e32 vcc_lo, s7, v3
                                        ; implicit-def: $vgpr3
	s_and_saveexec_b32 s0, vcc_lo
	s_xor_b32 s0, exec_lo, s0
	s_cbranch_execz .LBB1879_39
; %bb.38:
	v_mov_b32_e32 v1, 8
	v_mov_b32_e32 v2, 0xff
	;; [unrolled: 1-line block ×3, first 2 shown]
	v_and_b32_e32 v4, 0xffff, v7
	v_and_b32_e32 v3, 0xffff, v7
	v_lshrrev_b32_sdwa v1, v1, v21 dst_sel:BYTE_1 dst_unused:UNUSED_PAD src0_sel:DWORD src1_sel:WORD_0
	v_and_b32_sdwa v2, v21, v2 dst_sel:DWORD dst_unused:UNUSED_PAD src0_sel:WORD_0 src1_sel:DWORD
                                        ; implicit-def: $vgpr21
	v_or_b32_e32 v1, v2, v1
	v_and_b32_e32 v2, 0xffff, v7
                                        ; implicit-def: $vgpr7
	v_and_b32_e32 v8, 0xffff, v1
                                        ; implicit-def: $vgpr1
.LBB1879_39:
	s_andn2_saveexec_b32 s1, s0
	s_cbranch_execz .LBB1879_43
; %bb.40:
	v_add_nc_u32_e32 v2, s17, v20
	v_add_nc_u32_e32 v3, s19, v20
	s_mov_b32 s2, 0
	s_mov_b32 s3, exec_lo
	v_mul_lo_u32 v2, v2, s16
	v_mul_lo_u32 v3, v3, s18
	v_sub_nc_u32_e32 v2, v2, v3
	v_cmp_lt_u32_e32 vcc_lo, s20, v2
	v_cmpx_ge_u32_e64 s20, v2
	s_cbranch_execz .LBB1879_42
; %bb.41:
	v_add_nc_u32_e32 v2, s22, v20
	v_add_nc_u32_e32 v3, s40, v20
	v_mul_lo_u32 v2, v2, s21
	v_mul_lo_u32 v3, v3, s23
	v_sub_nc_u32_e32 v2, v2, v3
	v_cmp_lt_u32_e64 s0, s41, v2
	s_and_b32 s2, s0, exec_lo
.LBB1879_42:
	s_or_b32 exec_lo, exec_lo, s3
	v_mov_b32_e32 v2, 0xff
	v_mov_b32_e32 v3, 8
	v_cndmask_b32_e64 v4, 0, 1, vcc_lo
	v_mov_b32_e32 v5, 0
	v_and_b32_sdwa v2, v21, v2 dst_sel:DWORD dst_unused:UNUSED_PAD src0_sel:WORD_0 src1_sel:DWORD
	v_lshrrev_b32_sdwa v3, v3, v21 dst_sel:BYTE_1 dst_unused:UNUSED_PAD src0_sel:DWORD src1_sel:WORD_0
	v_lshlrev_b16 v4, 8, v4
	v_or_b32_e32 v2, v2, v3
	v_cndmask_b32_e64 v3, 0, 1, s2
	v_or_b32_sdwa v1, v1, v4 dst_sel:DWORD dst_unused:UNUSED_PAD src0_sel:BYTE_0 src1_sel:DWORD
	v_and_b32_e32 v4, 0xffff, v7
	v_and_b32_e32 v8, 0xffff, v2
	v_mov_b32_e32 v2, 0
	v_and_b32_e32 v6, 0xffff, v1
	v_lshl_or_b32 v8, v3, 16, v8
	v_and_b32_e32 v3, 0xffff, v7
.LBB1879_43:
	s_or_b32 exec_lo, exec_lo, s1
	v_add_nc_u32_e32 v1, 2, v29
                                        ; implicit-def: $vgpr7
	v_cmp_le_u32_e32 vcc_lo, s7, v1
                                        ; implicit-def: $vgpr1
	s_and_saveexec_b32 s0, vcc_lo
	s_xor_b32 s0, exec_lo, s0
	s_cbranch_execz .LBB1879_45
; %bb.44:
	v_lshrrev_b32_e32 v1, 24, v6
	v_mov_b32_e32 v7, 8
	v_and_b32_e32 v21, 0xff0000, v8
	v_perm_b32 v4, v4, v4, 0x3060504
	v_perm_b32 v1, v1, v6, 0x40c0100
	v_lshrrev_b32_sdwa v6, v7, v1 dst_sel:BYTE_1 dst_unused:UNUSED_PAD src0_sel:DWORD src1_sel:DWORD
	v_or_b32_sdwa v6, v1, v6 dst_sel:DWORD dst_unused:UNUSED_PAD src0_sel:BYTE_0 src1_sel:DWORD
	v_and_b32_e32 v6, 0xffff, v6
	v_and_or_b32 v7, 0xff000000, v1, v6
	v_perm_b32 v1, v8, v21, 0x3020504
                                        ; implicit-def: $vgpr6
                                        ; implicit-def: $vgpr8
.LBB1879_45:
	s_andn2_saveexec_b32 s1, s0
	s_cbranch_execz .LBB1879_49
; %bb.46:
	v_add_nc_u32_e32 v1, s17, v17
	v_add_nc_u32_e32 v7, s19, v17
	s_mov_b32 s2, 0
	s_mov_b32 s3, exec_lo
	v_mul_lo_u32 v1, v1, s16
	v_mul_lo_u32 v7, v7, s18
	v_sub_nc_u32_e32 v1, v1, v7
	v_cmp_lt_u32_e32 vcc_lo, s20, v1
	v_cmpx_ge_u32_e64 s20, v1
	s_cbranch_execz .LBB1879_48
; %bb.47:
	v_add_nc_u32_e32 v1, s22, v17
	v_add_nc_u32_e32 v7, s40, v17
	v_mul_lo_u32 v1, v1, s21
	v_mul_lo_u32 v7, v7, s23
	v_sub_nc_u32_e32 v1, v1, v7
	v_cmp_lt_u32_e64 s0, s41, v1
	s_and_b32 s2, s0, exec_lo
.LBB1879_48:
	s_or_b32 exec_lo, exec_lo, s3
	v_mov_b32_e32 v1, 8
	v_mov_b32_e32 v7, 24
	v_cndmask_b32_e64 v22, 0, 1, s2
	v_mov_b32_e32 v23, 0xff
	v_cndmask_b32_e64 v21, 0, 1, vcc_lo
	v_lshrrev_b32_sdwa v24, v1, v6 dst_sel:BYTE_1 dst_unused:UNUSED_PAD src0_sel:DWORD src1_sel:DWORD
	v_lshrrev_b32_sdwa v7, v7, v6 dst_sel:BYTE_1 dst_unused:UNUSED_PAD src0_sel:DWORD src1_sel:DWORD
	;; [unrolled: 1-line block ×3, first 2 shown]
	v_lshlrev_b16 v22, 8, v22
	v_and_b32_sdwa v23, v8, v23 dst_sel:DWORD dst_unused:UNUSED_PAD src0_sel:WORD_1 src1_sel:DWORD
	v_or_b32_sdwa v6, v6, v24 dst_sel:DWORD dst_unused:UNUSED_PAD src0_sel:BYTE_0 src1_sel:DWORD
	v_or_b32_sdwa v7, v21, v7 dst_sel:WORD_1 dst_unused:UNUSED_PAD src0_sel:DWORD src1_sel:DWORD
	v_or_b32_sdwa v1, v8, v1 dst_sel:DWORD dst_unused:UNUSED_PAD src0_sel:BYTE_0 src1_sel:DWORD
	v_or_b32_sdwa v8, v23, v22 dst_sel:WORD_1 dst_unused:UNUSED_PAD src0_sel:DWORD src1_sel:DWORD
	v_or_b32_sdwa v7, v6, v7 dst_sel:DWORD dst_unused:UNUSED_PAD src0_sel:WORD_0 src1_sel:DWORD
	v_or_b32_sdwa v1, v1, v8 dst_sel:DWORD dst_unused:UNUSED_PAD src0_sel:WORD_0 src1_sel:DWORD
.LBB1879_49:
	s_or_b32 exec_lo, exec_lo, s1
	v_add_nc_u32_e32 v6, 3, v29
                                        ; implicit-def: $vgpr30
	v_cmp_le_u32_e32 vcc_lo, s7, v6
                                        ; implicit-def: $vgpr6
	s_and_saveexec_b32 s0, vcc_lo
	s_xor_b32 s0, exec_lo, s0
	s_cbranch_execz .LBB1879_51
; %bb.50:
	v_mov_b32_e32 v6, 24
	v_mov_b32_e32 v8, 0xff
	;; [unrolled: 1-line block ×3, first 2 shown]
	v_and_b32_e32 v22, 0xff0000, v7
	v_perm_b32 v4, v4, v4, 0x3060504
	v_lshrrev_b32_sdwa v6, v6, v5 dst_sel:BYTE_1 dst_unused:UNUSED_PAD src0_sel:DWORD src1_sel:DWORD
	v_and_b32_sdwa v8, v5, v8 dst_sel:DWORD dst_unused:UNUSED_PAD src0_sel:WORD_1 src1_sel:DWORD
	v_lshrrev_b32_sdwa v5, v21, v5 dst_sel:BYTE_1 dst_unused:UNUSED_PAD src0_sel:DWORD src1_sel:DWORD
	v_perm_b32 v30, v7, v22, 0x3020504
	v_perm_b32 v3, v3, v3, 0x3060504
                                        ; implicit-def: $vgpr7
	v_or_b32_sdwa v6, v8, v6 dst_sel:WORD_1 dst_unused:UNUSED_PAD src0_sel:DWORD src1_sel:DWORD
	v_or_b32_sdwa v6, v5, v6 dst_sel:DWORD dst_unused:UNUSED_PAD src0_sel:WORD_0 src1_sel:DWORD
                                        ; implicit-def: $vgpr5
.LBB1879_51:
	s_andn2_saveexec_b32 s1, s0
	s_cbranch_execz .LBB1879_55
; %bb.52:
	v_add_nc_u32_e32 v6, s17, v18
	v_add_nc_u32_e32 v8, s19, v18
	s_mov_b32 s2, 0
	s_mov_b32 s3, exec_lo
	v_mul_lo_u32 v6, v6, s16
	v_mul_lo_u32 v8, v8, s18
	v_sub_nc_u32_e32 v6, v6, v8
	v_cmp_lt_u32_e32 vcc_lo, s20, v6
	v_cmpx_ge_u32_e64 s20, v6
	s_cbranch_execz .LBB1879_54
; %bb.53:
	v_add_nc_u32_e32 v6, s22, v18
	v_add_nc_u32_e32 v8, s40, v18
	v_mul_lo_u32 v6, v6, s21
	v_mul_lo_u32 v8, v8, s23
	v_sub_nc_u32_e32 v6, v6, v8
	v_cmp_lt_u32_e64 s0, s41, v6
	s_and_b32 s2, s0, exec_lo
.LBB1879_54:
	s_or_b32 exec_lo, exec_lo, s3
	v_mov_b32_e32 v6, 8
	v_cndmask_b32_e64 v8, 0, 1, vcc_lo
	v_mov_b32_e32 v21, 0xff
	v_mov_b32_e32 v22, 24
	v_cndmask_b32_e64 v23, 0, 1, s2
	v_lshrrev_b32_sdwa v24, v6, v7 dst_sel:BYTE_1 dst_unused:UNUSED_PAD src0_sel:DWORD src1_sel:DWORD
	v_lshlrev_b16 v8, 8, v8
	v_and_b32_sdwa v25, v7, v21 dst_sel:DWORD dst_unused:UNUSED_PAD src0_sel:WORD_1 src1_sel:DWORD
	v_lshrrev_b32_sdwa v22, v22, v5 dst_sel:BYTE_1 dst_unused:UNUSED_PAD src0_sel:DWORD src1_sel:DWORD
	v_and_b32_sdwa v21, v5, v21 dst_sel:DWORD dst_unused:UNUSED_PAD src0_sel:WORD_1 src1_sel:DWORD
	v_lshrrev_b32_sdwa v5, v6, v5 dst_sel:BYTE_1 dst_unused:UNUSED_PAD src0_sel:DWORD src1_sel:DWORD
	v_or_b32_sdwa v6, v7, v24 dst_sel:DWORD dst_unused:UNUSED_PAD src0_sel:BYTE_0 src1_sel:DWORD
	v_or_b32_sdwa v7, v25, v8 dst_sel:WORD_1 dst_unused:UNUSED_PAD src0_sel:DWORD src1_sel:DWORD
	v_or_b32_sdwa v8, v21, v22 dst_sel:WORD_1 dst_unused:UNUSED_PAD src0_sel:DWORD src1_sel:DWORD
	v_or_b32_e32 v5, v23, v5
	v_or_b32_sdwa v30, v6, v7 dst_sel:DWORD dst_unused:UNUSED_PAD src0_sel:WORD_0 src1_sel:DWORD
	v_or_b32_sdwa v6, v5, v8 dst_sel:DWORD dst_unused:UNUSED_PAD src0_sel:WORD_0 src1_sel:DWORD
.LBB1879_55:
	s_or_b32 exec_lo, exec_lo, s1
	v_add_nc_u32_e32 v5, 4, v29
                                        ; implicit-def: $vgpr7
	v_cmp_le_u32_e32 vcc_lo, s7, v5
                                        ; implicit-def: $vgpr5
	s_and_saveexec_b32 s0, vcc_lo
	s_xor_b32 s0, exec_lo, s0
	s_cbranch_execz .LBB1879_57
; %bb.56:
	v_mov_b32_e32 v5, 24
	v_mov_b32_e32 v7, 0xff
	;; [unrolled: 1-line block ×3, first 2 shown]
	v_perm_b32 v3, v3, v3, 0x3060504
	v_lshrrev_b32_sdwa v21, v5, v4 dst_sel:BYTE_1 dst_unused:UNUSED_PAD src0_sel:DWORD src1_sel:DWORD
	v_and_b32_sdwa v22, v4, v7 dst_sel:DWORD dst_unused:UNUSED_PAD src0_sel:WORD_1 src1_sel:DWORD
	v_lshrrev_b32_sdwa v5, v5, v6 dst_sel:BYTE_1 dst_unused:UNUSED_PAD src0_sel:DWORD src1_sel:DWORD
	v_and_b32_sdwa v7, v6, v7 dst_sel:DWORD dst_unused:UNUSED_PAD src0_sel:WORD_1 src1_sel:DWORD
	v_lshrrev_b32_sdwa v4, v8, v4 dst_sel:BYTE_1 dst_unused:UNUSED_PAD src0_sel:DWORD src1_sel:DWORD
	v_or_b32_sdwa v8, v22, v21 dst_sel:WORD_1 dst_unused:UNUSED_PAD src0_sel:DWORD src1_sel:DWORD
	v_or_b32_e32 v7, v7, v5
	v_or_b32_sdwa v5, v4, v8 dst_sel:DWORD dst_unused:UNUSED_PAD src0_sel:WORD_0 src1_sel:DWORD
                                        ; implicit-def: $vgpr4
	v_perm_b32 v7, v7, v6, 0x5040c00
                                        ; implicit-def: $vgpr6
.LBB1879_57:
	s_andn2_saveexec_b32 s1, s0
	s_cbranch_execz .LBB1879_61
; %bb.58:
	v_add_nc_u32_e32 v5, s17, v15
	v_add_nc_u32_e32 v7, s19, v15
	s_mov_b32 s2, 0
	s_mov_b32 s3, exec_lo
	v_mul_lo_u32 v5, v5, s16
	v_mul_lo_u32 v7, v7, s18
	v_sub_nc_u32_e32 v5, v5, v7
	v_cmp_lt_u32_e32 vcc_lo, s20, v5
	v_cmpx_ge_u32_e64 s20, v5
	s_cbranch_execz .LBB1879_60
; %bb.59:
	v_add_nc_u32_e32 v5, s22, v15
	v_add_nc_u32_e32 v7, s40, v15
	v_mul_lo_u32 v5, v5, s21
	v_mul_lo_u32 v7, v7, s23
	v_sub_nc_u32_e32 v5, v5, v7
	v_cmp_lt_u32_e64 s0, s41, v5
	s_and_b32 s2, s0, exec_lo
.LBB1879_60:
	s_or_b32 exec_lo, exec_lo, s3
	v_mov_b32_e32 v5, 24
	v_mov_b32_e32 v7, 0xff
	;; [unrolled: 1-line block ×3, first 2 shown]
	v_cndmask_b32_e64 v21, 0, 1, s2
	v_cndmask_b32_e64 v22, 0, 1, vcc_lo
	v_lshrrev_b32_sdwa v23, v5, v4 dst_sel:BYTE_1 dst_unused:UNUSED_PAD src0_sel:DWORD src1_sel:DWORD
	v_and_b32_sdwa v24, v4, v7 dst_sel:DWORD dst_unused:UNUSED_PAD src0_sel:WORD_1 src1_sel:DWORD
	v_lshrrev_b32_sdwa v4, v8, v4 dst_sel:BYTE_1 dst_unused:UNUSED_PAD src0_sel:DWORD src1_sel:DWORD
	v_lshlrev_b16 v8, 8, v21
	v_lshrrev_b32_sdwa v5, v5, v6 dst_sel:BYTE_1 dst_unused:UNUSED_PAD src0_sel:DWORD src1_sel:DWORD
	v_and_b32_sdwa v7, v6, v7 dst_sel:DWORD dst_unused:UNUSED_PAD src0_sel:WORD_1 src1_sel:DWORD
	v_or_b32_sdwa v21, v24, v23 dst_sel:WORD_1 dst_unused:UNUSED_PAD src0_sel:DWORD src1_sel:DWORD
	v_or_b32_e32 v4, v22, v4
	v_or_b32_sdwa v6, v6, v8 dst_sel:DWORD dst_unused:UNUSED_PAD src0_sel:BYTE_0 src1_sel:DWORD
	v_or_b32_sdwa v7, v7, v5 dst_sel:WORD_1 dst_unused:UNUSED_PAD src0_sel:DWORD src1_sel:DWORD
	v_or_b32_sdwa v5, v4, v21 dst_sel:DWORD dst_unused:UNUSED_PAD src0_sel:WORD_0 src1_sel:DWORD
	v_or_b32_sdwa v7, v6, v7 dst_sel:DWORD dst_unused:UNUSED_PAD src0_sel:WORD_0 src1_sel:DWORD
.LBB1879_61:
	s_or_b32 exec_lo, exec_lo, s1
	v_add_nc_u32_e32 v4, 5, v29
                                        ; implicit-def: $vgpr6
	v_cmp_le_u32_e32 vcc_lo, s7, v4
                                        ; implicit-def: $vgpr4
	s_and_saveexec_b32 s0, vcc_lo
	s_xor_b32 s0, exec_lo, s0
	s_cbranch_execz .LBB1879_63
; %bb.62:
	v_lshrrev_b32_e32 v4, 24, v7
	v_mov_b32_e32 v6, 8
	v_mov_b32_e32 v8, 0xff
	v_perm_b32 v3, v3, v3, 0x3060504
	v_perm_b32 v4, v4, v7, 0x40c0100
	v_mov_b32_e32 v7, 24
	v_and_b32_sdwa v8, v5, v8 dst_sel:DWORD dst_unused:UNUSED_PAD src0_sel:WORD_1 src1_sel:DWORD
	v_lshrrev_b32_sdwa v6, v6, v4 dst_sel:BYTE_1 dst_unused:UNUSED_PAD src0_sel:DWORD src1_sel:DWORD
	v_lshrrev_b32_sdwa v7, v7, v5 dst_sel:BYTE_1 dst_unused:UNUSED_PAD src0_sel:DWORD src1_sel:DWORD
	v_or_b32_sdwa v6, v4, v6 dst_sel:DWORD dst_unused:UNUSED_PAD src0_sel:BYTE_0 src1_sel:DWORD
	v_or_b32_e32 v7, v8, v7
	v_and_b32_e32 v8, 0xffff, v6
	v_perm_b32 v6, v7, v5, 0x5040c00
                                        ; implicit-def: $vgpr5
                                        ; implicit-def: $vgpr7
	v_and_or_b32 v4, 0xff000000, v4, v8
.LBB1879_63:
	s_andn2_saveexec_b32 s1, s0
	s_cbranch_execz .LBB1879_67
; %bb.64:
	v_add_nc_u32_e32 v4, s17, v16
	v_add_nc_u32_e32 v6, s19, v16
	s_mov_b32 s2, 0
	s_mov_b32 s3, exec_lo
	v_mul_lo_u32 v4, v4, s16
	v_mul_lo_u32 v6, v6, s18
	v_sub_nc_u32_e32 v4, v4, v6
	v_cmp_lt_u32_e32 vcc_lo, s20, v4
	v_cmpx_ge_u32_e64 s20, v4
	s_cbranch_execz .LBB1879_66
; %bb.65:
	v_add_nc_u32_e32 v4, s22, v16
	v_add_nc_u32_e32 v6, s40, v16
	v_mul_lo_u32 v4, v4, s21
	v_mul_lo_u32 v6, v6, s23
	v_sub_nc_u32_e32 v4, v4, v6
	v_cmp_lt_u32_e64 s0, s41, v4
	s_and_b32 s2, s0, exec_lo
.LBB1879_66:
	s_or_b32 exec_lo, exec_lo, s3
	v_cndmask_b32_e64 v4, 0, 1, vcc_lo
	v_mov_b32_e32 v6, 24
	v_mov_b32_e32 v8, 0xff
	;; [unrolled: 1-line block ×3, first 2 shown]
	v_cndmask_b32_e64 v22, 0, 1, s2
	v_lshlrev_b16 v4, 8, v4
	v_lshrrev_b32_sdwa v23, v6, v5 dst_sel:BYTE_1 dst_unused:UNUSED_PAD src0_sel:DWORD src1_sel:DWORD
	v_and_b32_sdwa v8, v5, v8 dst_sel:DWORD dst_unused:UNUSED_PAD src0_sel:WORD_1 src1_sel:DWORD
	v_lshrrev_b32_sdwa v21, v21, v7 dst_sel:BYTE_1 dst_unused:UNUSED_PAD src0_sel:DWORD src1_sel:DWORD
	v_lshrrev_b32_sdwa v6, v6, v7 dst_sel:BYTE_1 dst_unused:UNUSED_PAD src0_sel:DWORD src1_sel:DWORD
	v_or_b32_sdwa v4, v5, v4 dst_sel:DWORD dst_unused:UNUSED_PAD src0_sel:BYTE_0 src1_sel:DWORD
	v_or_b32_sdwa v5, v8, v23 dst_sel:WORD_1 dst_unused:UNUSED_PAD src0_sel:DWORD src1_sel:DWORD
	v_or_b32_sdwa v7, v7, v21 dst_sel:DWORD dst_unused:UNUSED_PAD src0_sel:BYTE_0 src1_sel:DWORD
	v_or_b32_sdwa v8, v22, v6 dst_sel:WORD_1 dst_unused:UNUSED_PAD src0_sel:DWORD src1_sel:DWORD
	v_or_b32_sdwa v6, v4, v5 dst_sel:DWORD dst_unused:UNUSED_PAD src0_sel:WORD_0 src1_sel:DWORD
	v_or_b32_sdwa v4, v7, v8 dst_sel:DWORD dst_unused:UNUSED_PAD src0_sel:WORD_0 src1_sel:DWORD
.LBB1879_67:
	s_or_b32 exec_lo, exec_lo, s1
	v_add_nc_u32_e32 v5, 6, v29
                                        ; implicit-def: $vgpr31
	v_cmp_le_u32_e32 vcc_lo, s7, v5
                                        ; implicit-def: $vgpr5
	s_and_saveexec_b32 s0, vcc_lo
	s_xor_b32 s0, exec_lo, s0
	s_cbranch_execz .LBB1879_69
; %bb.68:
	v_lshrrev_b32_e32 v5, 24, v6
	v_mov_b32_e32 v7, 8
	v_perm_b32 v3, v3, v3, 0x3060504
	v_perm_b32 v5, v5, v6, 0x40c0100
	v_lshrrev_b32_sdwa v6, v7, v5 dst_sel:BYTE_1 dst_unused:UNUSED_PAD src0_sel:DWORD src1_sel:DWORD
	v_and_b32_e32 v7, 0xff0000, v4
	v_or_b32_sdwa v6, v5, v6 dst_sel:DWORD dst_unused:UNUSED_PAD src0_sel:BYTE_0 src1_sel:DWORD
	v_perm_b32 v31, v4, v7, 0x3020504
                                        ; implicit-def: $vgpr4
	v_and_b32_e32 v6, 0xffff, v6
	v_and_or_b32 v5, 0xff000000, v5, v6
                                        ; implicit-def: $vgpr6
.LBB1879_69:
	s_andn2_saveexec_b32 s1, s0
	s_cbranch_execz .LBB1879_73
; %bb.70:
	v_add_nc_u32_e32 v5, s17, v13
	v_add_nc_u32_e32 v7, s19, v13
	s_mov_b32 s2, 0
	s_mov_b32 s3, exec_lo
	v_mul_lo_u32 v5, v5, s16
	v_mul_lo_u32 v7, v7, s18
	v_sub_nc_u32_e32 v5, v5, v7
	v_cmp_lt_u32_e32 vcc_lo, s20, v5
	v_cmpx_ge_u32_e64 s20, v5
	s_cbranch_execz .LBB1879_72
; %bb.71:
	v_add_nc_u32_e32 v5, s22, v13
	v_add_nc_u32_e32 v7, s40, v13
	v_mul_lo_u32 v5, v5, s21
	v_mul_lo_u32 v7, v7, s23
	v_sub_nc_u32_e32 v5, v5, v7
	v_cmp_lt_u32_e64 s0, s41, v5
	s_and_b32 s2, s0, exec_lo
.LBB1879_72:
	s_or_b32 exec_lo, exec_lo, s3
	v_mov_b32_e32 v5, 8
	v_mov_b32_e32 v7, 24
	v_cndmask_b32_e64 v21, 0, 1, s2
	v_mov_b32_e32 v22, 0xff
	v_cndmask_b32_e64 v8, 0, 1, vcc_lo
	v_lshrrev_b32_sdwa v23, v5, v6 dst_sel:BYTE_1 dst_unused:UNUSED_PAD src0_sel:DWORD src1_sel:DWORD
	v_lshrrev_b32_sdwa v7, v7, v6 dst_sel:BYTE_1 dst_unused:UNUSED_PAD src0_sel:DWORD src1_sel:DWORD
	v_lshrrev_b32_sdwa v5, v5, v4 dst_sel:BYTE_1 dst_unused:UNUSED_PAD src0_sel:DWORD src1_sel:DWORD
	v_lshlrev_b16 v21, 8, v21
	v_and_b32_sdwa v22, v4, v22 dst_sel:DWORD dst_unused:UNUSED_PAD src0_sel:WORD_1 src1_sel:DWORD
	v_or_b32_sdwa v6, v6, v23 dst_sel:DWORD dst_unused:UNUSED_PAD src0_sel:BYTE_0 src1_sel:DWORD
	v_or_b32_sdwa v7, v8, v7 dst_sel:WORD_1 dst_unused:UNUSED_PAD src0_sel:DWORD src1_sel:DWORD
	v_or_b32_sdwa v4, v4, v5 dst_sel:DWORD dst_unused:UNUSED_PAD src0_sel:BYTE_0 src1_sel:DWORD
	v_or_b32_sdwa v8, v22, v21 dst_sel:WORD_1 dst_unused:UNUSED_PAD src0_sel:DWORD src1_sel:DWORD
	v_or_b32_sdwa v5, v6, v7 dst_sel:DWORD dst_unused:UNUSED_PAD src0_sel:WORD_0 src1_sel:DWORD
	v_or_b32_sdwa v31, v4, v8 dst_sel:DWORD dst_unused:UNUSED_PAD src0_sel:WORD_0 src1_sel:DWORD
.LBB1879_73:
	s_or_b32 exec_lo, exec_lo, s1
	v_add_nc_u32_e32 v4, 7, v29
                                        ; implicit-def: $vgpr32
	v_cmp_le_u32_e32 vcc_lo, s7, v4
                                        ; implicit-def: $vgpr4
	s_and_saveexec_b32 s0, vcc_lo
	s_xor_b32 s0, exec_lo, s0
	s_cbranch_execz .LBB1879_75
; %bb.74:
	v_mov_b32_e32 v4, 24
	v_mov_b32_e32 v6, 0xff
	;; [unrolled: 1-line block ×3, first 2 shown]
	v_lshrrev_b32_sdwa v4, v4, v3 dst_sel:BYTE_1 dst_unused:UNUSED_PAD src0_sel:DWORD src1_sel:DWORD
	v_and_b32_sdwa v6, v3, v6 dst_sel:DWORD dst_unused:UNUSED_PAD src0_sel:WORD_1 src1_sel:DWORD
	v_lshrrev_b32_sdwa v3, v7, v3 dst_sel:BYTE_1 dst_unused:UNUSED_PAD src0_sel:DWORD src1_sel:DWORD
	v_and_b32_e32 v7, 0xff0000, v5
	v_or_b32_sdwa v4, v6, v4 dst_sel:WORD_1 dst_unused:UNUSED_PAD src0_sel:DWORD src1_sel:DWORD
	v_perm_b32 v32, v5, v7, 0x3020504
                                        ; implicit-def: $vgpr5
	v_or_b32_sdwa v4, v3, v4 dst_sel:DWORD dst_unused:UNUSED_PAD src0_sel:WORD_0 src1_sel:DWORD
                                        ; implicit-def: $vgpr3
.LBB1879_75:
	s_andn2_saveexec_b32 s1, s0
	s_cbranch_execz .LBB1879_79
; %bb.76:
	v_add_nc_u32_e32 v4, s17, v14
	v_add_nc_u32_e32 v6, s19, v14
	s_mov_b32 s2, 0
	s_mov_b32 s3, exec_lo
	v_mul_lo_u32 v4, v4, s16
	v_mul_lo_u32 v6, v6, s18
	v_sub_nc_u32_e32 v4, v4, v6
	v_cmp_lt_u32_e32 vcc_lo, s20, v4
	v_cmpx_ge_u32_e64 s20, v4
	s_cbranch_execz .LBB1879_78
; %bb.77:
	v_add_nc_u32_e32 v4, s22, v14
	v_add_nc_u32_e32 v6, s40, v14
	v_mul_lo_u32 v4, v4, s21
	v_mul_lo_u32 v6, v6, s23
	v_sub_nc_u32_e32 v4, v4, v6
	v_cmp_lt_u32_e64 s0, s41, v4
	s_and_b32 s2, s0, exec_lo
.LBB1879_78:
	s_or_b32 exec_lo, exec_lo, s3
	v_mov_b32_e32 v4, 8
	v_cndmask_b32_e64 v6, 0, 1, vcc_lo
	v_mov_b32_e32 v7, 0xff
	v_mov_b32_e32 v8, 24
	v_cndmask_b32_e64 v21, 0, 1, s2
	v_lshrrev_b32_sdwa v22, v4, v5 dst_sel:BYTE_1 dst_unused:UNUSED_PAD src0_sel:DWORD src1_sel:DWORD
	v_lshlrev_b16 v6, 8, v6
	v_and_b32_sdwa v23, v5, v7 dst_sel:DWORD dst_unused:UNUSED_PAD src0_sel:WORD_1 src1_sel:DWORD
	v_lshrrev_b32_sdwa v8, v8, v3 dst_sel:BYTE_1 dst_unused:UNUSED_PAD src0_sel:DWORD src1_sel:DWORD
	v_and_b32_sdwa v7, v3, v7 dst_sel:DWORD dst_unused:UNUSED_PAD src0_sel:WORD_1 src1_sel:DWORD
	v_lshrrev_b32_sdwa v3, v4, v3 dst_sel:BYTE_1 dst_unused:UNUSED_PAD src0_sel:DWORD src1_sel:DWORD
	v_or_b32_sdwa v4, v5, v22 dst_sel:DWORD dst_unused:UNUSED_PAD src0_sel:BYTE_0 src1_sel:DWORD
	v_or_b32_sdwa v5, v23, v6 dst_sel:WORD_1 dst_unused:UNUSED_PAD src0_sel:DWORD src1_sel:DWORD
	v_or_b32_sdwa v6, v7, v8 dst_sel:WORD_1 dst_unused:UNUSED_PAD src0_sel:DWORD src1_sel:DWORD
	v_or_b32_e32 v3, v21, v3
	v_or_b32_sdwa v32, v4, v5 dst_sel:DWORD dst_unused:UNUSED_PAD src0_sel:WORD_0 src1_sel:DWORD
	v_or_b32_sdwa v4, v3, v6 dst_sel:DWORD dst_unused:UNUSED_PAD src0_sel:WORD_0 src1_sel:DWORD
.LBB1879_79:
	s_or_b32 exec_lo, exec_lo, s1
	v_add_nc_u32_e32 v3, 8, v29
                                        ; implicit-def: $vgpr5
	v_cmp_le_u32_e32 vcc_lo, s7, v3
                                        ; implicit-def: $vgpr3
	s_and_saveexec_b32 s0, vcc_lo
	s_xor_b32 s0, exec_lo, s0
	s_cbranch_execz .LBB1879_81
; %bb.80:
	v_mov_b32_e32 v3, 24
	v_mov_b32_e32 v5, 0xff
	;; [unrolled: 1-line block ×3, first 2 shown]
	v_perm_b32 v1, v1, v1, 0x3060504
	v_lshrrev_b32_sdwa v7, v3, v4 dst_sel:BYTE_1 dst_unused:UNUSED_PAD src0_sel:DWORD src1_sel:DWORD
	v_lshrrev_b32_sdwa v3, v3, v2 dst_sel:BYTE_1 dst_unused:UNUSED_PAD src0_sel:DWORD src1_sel:DWORD
	v_and_b32_sdwa v8, v2, v5 dst_sel:DWORD dst_unused:UNUSED_PAD src0_sel:WORD_1 src1_sel:DWORD
	v_and_b32_sdwa v5, v4, v5 dst_sel:DWORD dst_unused:UNUSED_PAD src0_sel:WORD_1 src1_sel:DWORD
	v_lshrrev_b32_sdwa v2, v6, v2 dst_sel:BYTE_1 dst_unused:UNUSED_PAD src0_sel:DWORD src1_sel:DWORD
	v_or_b32_sdwa v3, v8, v3 dst_sel:WORD_1 dst_unused:UNUSED_PAD src0_sel:DWORD src1_sel:DWORD
	v_or_b32_e32 v5, v5, v7
	v_or_b32_sdwa v3, v2, v3 dst_sel:DWORD dst_unused:UNUSED_PAD src0_sel:WORD_0 src1_sel:DWORD
	v_perm_b32 v5, v5, v4, 0x5040c00
                                        ; implicit-def: $vgpr2
                                        ; implicit-def: $vgpr4
.LBB1879_81:
	s_andn2_saveexec_b32 s1, s0
	s_cbranch_execz .LBB1879_85
; %bb.82:
	v_add_nc_u32_e32 v3, s17, v11
	v_add_nc_u32_e32 v5, s19, v11
	s_mov_b32 s2, 0
	s_mov_b32 s3, exec_lo
	v_mul_lo_u32 v3, v3, s16
	v_mul_lo_u32 v5, v5, s18
	v_sub_nc_u32_e32 v3, v3, v5
	v_cmp_lt_u32_e32 vcc_lo, s20, v3
	v_cmpx_ge_u32_e64 s20, v3
	s_cbranch_execz .LBB1879_84
; %bb.83:
	v_add_nc_u32_e32 v3, s22, v11
	v_add_nc_u32_e32 v5, s40, v11
	v_mul_lo_u32 v3, v3, s21
	v_mul_lo_u32 v5, v5, s23
	v_sub_nc_u32_e32 v3, v3, v5
	v_cmp_lt_u32_e64 s0, s41, v3
	s_and_b32 s2, s0, exec_lo
.LBB1879_84:
	s_or_b32 exec_lo, exec_lo, s3
	v_mov_b32_e32 v3, 24
	v_mov_b32_e32 v5, 0xff
	;; [unrolled: 1-line block ×3, first 2 shown]
	v_cndmask_b32_e64 v7, 0, 1, s2
	v_cndmask_b32_e64 v8, 0, 1, vcc_lo
	v_lshrrev_b32_sdwa v21, v3, v2 dst_sel:BYTE_1 dst_unused:UNUSED_PAD src0_sel:DWORD src1_sel:DWORD
	v_and_b32_sdwa v22, v2, v5 dst_sel:DWORD dst_unused:UNUSED_PAD src0_sel:WORD_1 src1_sel:DWORD
	v_lshrrev_b32_sdwa v2, v6, v2 dst_sel:BYTE_1 dst_unused:UNUSED_PAD src0_sel:DWORD src1_sel:DWORD
	v_lshlrev_b16 v6, 8, v7
	v_lshrrev_b32_sdwa v3, v3, v4 dst_sel:BYTE_1 dst_unused:UNUSED_PAD src0_sel:DWORD src1_sel:DWORD
	v_and_b32_sdwa v5, v4, v5 dst_sel:DWORD dst_unused:UNUSED_PAD src0_sel:WORD_1 src1_sel:DWORD
	v_or_b32_sdwa v7, v22, v21 dst_sel:WORD_1 dst_unused:UNUSED_PAD src0_sel:DWORD src1_sel:DWORD
	v_or_b32_e32 v2, v8, v2
	v_or_b32_sdwa v4, v4, v6 dst_sel:DWORD dst_unused:UNUSED_PAD src0_sel:BYTE_0 src1_sel:DWORD
	v_or_b32_sdwa v5, v5, v3 dst_sel:WORD_1 dst_unused:UNUSED_PAD src0_sel:DWORD src1_sel:DWORD
	v_or_b32_sdwa v3, v2, v7 dst_sel:DWORD dst_unused:UNUSED_PAD src0_sel:WORD_0 src1_sel:DWORD
	v_or_b32_sdwa v5, v4, v5 dst_sel:DWORD dst_unused:UNUSED_PAD src0_sel:WORD_0 src1_sel:DWORD
.LBB1879_85:
	s_or_b32 exec_lo, exec_lo, s1
	v_add_nc_u32_e32 v2, 9, v29
                                        ; implicit-def: $vgpr4
	v_cmp_le_u32_e32 vcc_lo, s7, v2
                                        ; implicit-def: $vgpr2
	s_and_saveexec_b32 s0, vcc_lo
	s_xor_b32 s0, exec_lo, s0
	s_cbranch_execz .LBB1879_87
; %bb.86:
	v_lshrrev_b32_e32 v2, 24, v5
	v_mov_b32_e32 v4, 8
	v_mov_b32_e32 v6, 0xff
	v_perm_b32 v1, v1, v1, 0x3060504
	v_perm_b32 v2, v2, v5, 0x40c0100
	v_mov_b32_e32 v5, 24
	v_and_b32_sdwa v6, v3, v6 dst_sel:DWORD dst_unused:UNUSED_PAD src0_sel:WORD_1 src1_sel:DWORD
	v_lshrrev_b32_sdwa v4, v4, v2 dst_sel:BYTE_1 dst_unused:UNUSED_PAD src0_sel:DWORD src1_sel:DWORD
	v_lshrrev_b32_sdwa v5, v5, v3 dst_sel:BYTE_1 dst_unused:UNUSED_PAD src0_sel:DWORD src1_sel:DWORD
	v_or_b32_sdwa v4, v2, v4 dst_sel:DWORD dst_unused:UNUSED_PAD src0_sel:BYTE_0 src1_sel:DWORD
	v_or_b32_e32 v5, v6, v5
	v_and_b32_e32 v6, 0xffff, v4
	v_perm_b32 v4, v5, v3, 0x5040c00
                                        ; implicit-def: $vgpr3
                                        ; implicit-def: $vgpr5
	v_and_or_b32 v2, 0xff000000, v2, v6
.LBB1879_87:
	s_andn2_saveexec_b32 s1, s0
	s_cbranch_execz .LBB1879_91
; %bb.88:
	v_add_nc_u32_e32 v2, s17, v12
	v_add_nc_u32_e32 v4, s19, v12
	s_mov_b32 s2, 0
	s_mov_b32 s3, exec_lo
	v_mul_lo_u32 v2, v2, s16
	v_mul_lo_u32 v4, v4, s18
	v_sub_nc_u32_e32 v2, v2, v4
	v_cmp_lt_u32_e32 vcc_lo, s20, v2
	v_cmpx_ge_u32_e64 s20, v2
	s_cbranch_execz .LBB1879_90
; %bb.89:
	v_add_nc_u32_e32 v2, s22, v12
	v_add_nc_u32_e32 v4, s40, v12
	v_mul_lo_u32 v2, v2, s21
	v_mul_lo_u32 v4, v4, s23
	v_sub_nc_u32_e32 v2, v2, v4
	v_cmp_lt_u32_e64 s0, s41, v2
	s_and_b32 s2, s0, exec_lo
.LBB1879_90:
	s_or_b32 exec_lo, exec_lo, s3
	v_cndmask_b32_e64 v2, 0, 1, vcc_lo
	v_mov_b32_e32 v4, 24
	v_mov_b32_e32 v6, 0xff
	;; [unrolled: 1-line block ×3, first 2 shown]
	v_cndmask_b32_e64 v8, 0, 1, s2
	v_lshlrev_b16 v2, 8, v2
	v_lshrrev_b32_sdwa v21, v4, v3 dst_sel:BYTE_1 dst_unused:UNUSED_PAD src0_sel:DWORD src1_sel:DWORD
	v_and_b32_sdwa v6, v3, v6 dst_sel:DWORD dst_unused:UNUSED_PAD src0_sel:WORD_1 src1_sel:DWORD
	v_lshrrev_b32_sdwa v7, v7, v5 dst_sel:BYTE_1 dst_unused:UNUSED_PAD src0_sel:DWORD src1_sel:DWORD
	v_lshrrev_b32_sdwa v4, v4, v5 dst_sel:BYTE_1 dst_unused:UNUSED_PAD src0_sel:DWORD src1_sel:DWORD
	v_or_b32_sdwa v2, v3, v2 dst_sel:DWORD dst_unused:UNUSED_PAD src0_sel:BYTE_0 src1_sel:DWORD
	v_or_b32_sdwa v3, v6, v21 dst_sel:WORD_1 dst_unused:UNUSED_PAD src0_sel:DWORD src1_sel:DWORD
	v_or_b32_sdwa v5, v5, v7 dst_sel:DWORD dst_unused:UNUSED_PAD src0_sel:BYTE_0 src1_sel:DWORD
	v_or_b32_sdwa v6, v8, v4 dst_sel:WORD_1 dst_unused:UNUSED_PAD src0_sel:DWORD src1_sel:DWORD
	v_or_b32_sdwa v4, v2, v3 dst_sel:DWORD dst_unused:UNUSED_PAD src0_sel:WORD_0 src1_sel:DWORD
	v_or_b32_sdwa v2, v5, v6 dst_sel:DWORD dst_unused:UNUSED_PAD src0_sel:WORD_0 src1_sel:DWORD
.LBB1879_91:
	s_or_b32 exec_lo, exec_lo, s1
	v_add_nc_u32_e32 v3, 10, v29
                                        ; implicit-def: $vgpr33
	v_cmp_le_u32_e32 vcc_lo, s7, v3
                                        ; implicit-def: $vgpr3
	s_and_saveexec_b32 s0, vcc_lo
	s_xor_b32 s0, exec_lo, s0
	s_cbranch_execz .LBB1879_93
; %bb.92:
	v_lshrrev_b32_e32 v3, 24, v4
	v_mov_b32_e32 v5, 8
	v_perm_b32 v1, v1, v1, 0x3060504
	v_perm_b32 v3, v3, v4, 0x40c0100
	v_lshrrev_b32_sdwa v4, v5, v3 dst_sel:BYTE_1 dst_unused:UNUSED_PAD src0_sel:DWORD src1_sel:DWORD
	v_and_b32_e32 v5, 0xff0000, v2
	v_or_b32_sdwa v4, v3, v4 dst_sel:DWORD dst_unused:UNUSED_PAD src0_sel:BYTE_0 src1_sel:DWORD
	v_perm_b32 v33, v2, v5, 0x3020504
                                        ; implicit-def: $vgpr2
	v_and_b32_e32 v4, 0xffff, v4
	v_and_or_b32 v3, 0xff000000, v3, v4
                                        ; implicit-def: $vgpr4
.LBB1879_93:
	s_andn2_saveexec_b32 s1, s0
	s_cbranch_execz .LBB1879_97
; %bb.94:
	v_add_nc_u32_e32 v3, s17, v9
	v_add_nc_u32_e32 v5, s19, v9
	s_mov_b32 s2, 0
	s_mov_b32 s3, exec_lo
	v_mul_lo_u32 v3, v3, s16
	v_mul_lo_u32 v5, v5, s18
	v_sub_nc_u32_e32 v3, v3, v5
	v_cmp_lt_u32_e32 vcc_lo, s20, v3
	v_cmpx_ge_u32_e64 s20, v3
	s_cbranch_execz .LBB1879_96
; %bb.95:
	v_add_nc_u32_e32 v3, s22, v9
	v_add_nc_u32_e32 v5, s40, v9
	v_mul_lo_u32 v3, v3, s21
	v_mul_lo_u32 v5, v5, s23
	v_sub_nc_u32_e32 v3, v3, v5
	v_cmp_lt_u32_e64 s0, s41, v3
	s_and_b32 s2, s0, exec_lo
.LBB1879_96:
	s_or_b32 exec_lo, exec_lo, s3
	v_mov_b32_e32 v3, 8
	v_mov_b32_e32 v5, 24
	v_cndmask_b32_e64 v7, 0, 1, s2
	v_mov_b32_e32 v8, 0xff
	v_cndmask_b32_e64 v6, 0, 1, vcc_lo
	v_lshrrev_b32_sdwa v21, v3, v4 dst_sel:BYTE_1 dst_unused:UNUSED_PAD src0_sel:DWORD src1_sel:DWORD
	v_lshrrev_b32_sdwa v5, v5, v4 dst_sel:BYTE_1 dst_unused:UNUSED_PAD src0_sel:DWORD src1_sel:DWORD
	;; [unrolled: 1-line block ×3, first 2 shown]
	v_lshlrev_b16 v7, 8, v7
	v_and_b32_sdwa v8, v2, v8 dst_sel:DWORD dst_unused:UNUSED_PAD src0_sel:WORD_1 src1_sel:DWORD
	v_or_b32_sdwa v4, v4, v21 dst_sel:DWORD dst_unused:UNUSED_PAD src0_sel:BYTE_0 src1_sel:DWORD
	v_or_b32_sdwa v5, v6, v5 dst_sel:WORD_1 dst_unused:UNUSED_PAD src0_sel:DWORD src1_sel:DWORD
	v_or_b32_sdwa v2, v2, v3 dst_sel:DWORD dst_unused:UNUSED_PAD src0_sel:BYTE_0 src1_sel:DWORD
	v_or_b32_sdwa v6, v8, v7 dst_sel:WORD_1 dst_unused:UNUSED_PAD src0_sel:DWORD src1_sel:DWORD
	v_or_b32_sdwa v3, v4, v5 dst_sel:DWORD dst_unused:UNUSED_PAD src0_sel:WORD_0 src1_sel:DWORD
	v_or_b32_sdwa v33, v2, v6 dst_sel:DWORD dst_unused:UNUSED_PAD src0_sel:WORD_0 src1_sel:DWORD
.LBB1879_97:
	s_or_b32 exec_lo, exec_lo, s1
	v_add_nc_u32_e32 v2, 11, v29
	v_mov_b32_e32 v34, 0
	s_mov_b32 s0, exec_lo
                                        ; implicit-def: $vgpr35
	v_cmpx_le_u32_e64 s7, v2
	s_xor_b32 s0, exec_lo, s0
; %bb.98:
	v_and_b32_e32 v2, 0xff0000, v3
	v_perm_b32 v1, v1, v1, 0x3060504
	v_perm_b32 v35, v3, v2, 0x3020504
                                        ; implicit-def: $vgpr3
; %bb.99:
	s_andn2_saveexec_b32 s1, s0
	s_cbranch_execz .LBB1879_103
; %bb.100:
	v_add_nc_u32_e32 v2, s17, v10
	v_add_nc_u32_e32 v4, s19, v10
	s_mov_b32 s2, 0
	s_mov_b32 s3, exec_lo
	v_mul_lo_u32 v2, v2, s16
	v_mul_lo_u32 v4, v4, s18
	v_sub_nc_u32_e32 v2, v2, v4
	v_cmp_lt_u32_e32 vcc_lo, s20, v2
	v_cmpx_ge_u32_e64 s20, v2
	s_cbranch_execz .LBB1879_102
; %bb.101:
	v_add_nc_u32_e32 v2, s22, v10
	v_add_nc_u32_e32 v4, s40, v10
	v_mul_lo_u32 v2, v2, s21
	v_mul_lo_u32 v4, v4, s23
	v_sub_nc_u32_e32 v2, v2, v4
	v_cmp_lt_u32_e64 s0, s41, v2
	s_and_b32 s2, s0, exec_lo
.LBB1879_102:
	s_or_b32 exec_lo, exec_lo, s3
	v_mov_b32_e32 v2, 8
	v_cndmask_b32_e64 v4, 0, 1, vcc_lo
	v_mov_b32_e32 v5, 0xff
	v_cndmask_b32_e64 v34, 0, 1, s2
	v_lshrrev_b32_sdwa v2, v2, v3 dst_sel:BYTE_1 dst_unused:UNUSED_PAD src0_sel:DWORD src1_sel:DWORD
	v_lshlrev_b16 v4, 8, v4
	v_and_b32_sdwa v5, v3, v5 dst_sel:DWORD dst_unused:UNUSED_PAD src0_sel:WORD_1 src1_sel:DWORD
	v_or_b32_sdwa v2, v3, v2 dst_sel:DWORD dst_unused:UNUSED_PAD src0_sel:BYTE_0 src1_sel:DWORD
	v_or_b32_sdwa v3, v5, v4 dst_sel:WORD_1 dst_unused:UNUSED_PAD src0_sel:DWORD src1_sel:DWORD
	v_or_b32_sdwa v35, v2, v3 dst_sel:DWORD dst_unused:UNUSED_PAD src0_sel:WORD_0 src1_sel:DWORD
.LBB1879_103:
	s_or_b32 exec_lo, exec_lo, s1
	v_add_nc_u32_e32 v2, 12, v29
	s_mov_b32 s0, exec_lo
                                        ; implicit-def: $vgpr36
	v_cmpx_le_u32_e64 s7, v2
	s_xor_b32 s0, exec_lo, s0
	s_cbranch_execz .LBB1879_105
; %bb.104:
	v_mov_b32_e32 v2, 24
	v_mov_b32_e32 v3, 0xff
	;; [unrolled: 1-line block ×3, first 2 shown]
	v_lshrrev_b32_sdwa v2, v2, v1 dst_sel:BYTE_1 dst_unused:UNUSED_PAD src0_sel:DWORD src1_sel:DWORD
	v_and_b32_sdwa v3, v1, v3 dst_sel:DWORD dst_unused:UNUSED_PAD src0_sel:WORD_1 src1_sel:DWORD
	v_lshrrev_b32_sdwa v1, v4, v1 dst_sel:BYTE_1 dst_unused:UNUSED_PAD src0_sel:DWORD src1_sel:DWORD
	v_or_b32_sdwa v2, v3, v2 dst_sel:WORD_1 dst_unused:UNUSED_PAD src0_sel:DWORD src1_sel:DWORD
	v_or_b32_sdwa v36, v1, v2 dst_sel:DWORD dst_unused:UNUSED_PAD src0_sel:WORD_0 src1_sel:DWORD
                                        ; implicit-def: $vgpr1
.LBB1879_105:
	s_or_saveexec_b32 s1, s0
	v_mov_b32_e32 v37, 0
	s_xor_b32 exec_lo, exec_lo, s1
	s_cbranch_execz .LBB1879_109
; %bb.106:
	v_add_nc_u32_e32 v2, s17, v28
	v_add_nc_u32_e32 v3, s19, v28
	s_mov_b32 s2, 0
	s_mov_b32 s3, exec_lo
	v_mul_lo_u32 v2, v2, s16
	v_mul_lo_u32 v3, v3, s18
	v_sub_nc_u32_e32 v2, v2, v3
	v_cmp_lt_u32_e32 vcc_lo, s20, v2
	v_cmpx_ge_u32_e64 s20, v2
	s_cbranch_execz .LBB1879_108
; %bb.107:
	v_add_nc_u32_e32 v2, s22, v28
	v_add_nc_u32_e32 v3, s40, v28
	v_mul_lo_u32 v2, v2, s21
	v_mul_lo_u32 v3, v3, s23
	v_sub_nc_u32_e32 v2, v2, v3
	v_cmp_lt_u32_e64 s0, s41, v2
	s_and_b32 s2, s0, exec_lo
.LBB1879_108:
	s_or_b32 exec_lo, exec_lo, s3
	v_mov_b32_e32 v2, 24
	v_mov_b32_e32 v3, 0xff
	;; [unrolled: 1-line block ×3, first 2 shown]
	v_cndmask_b32_e64 v5, 0, 1, vcc_lo
	v_cndmask_b32_e64 v37, 0, 1, s2
	v_lshrrev_b32_sdwa v2, v2, v1 dst_sel:BYTE_1 dst_unused:UNUSED_PAD src0_sel:DWORD src1_sel:DWORD
	v_and_b32_sdwa v3, v1, v3 dst_sel:DWORD dst_unused:UNUSED_PAD src0_sel:WORD_1 src1_sel:DWORD
	v_lshrrev_b32_sdwa v1, v4, v1 dst_sel:BYTE_1 dst_unused:UNUSED_PAD src0_sel:DWORD src1_sel:DWORD
	v_or_b32_sdwa v2, v3, v2 dst_sel:WORD_1 dst_unused:UNUSED_PAD src0_sel:DWORD src1_sel:DWORD
	v_or_b32_e32 v1, v5, v1
	v_or_b32_sdwa v36, v1, v2 dst_sel:DWORD dst_unused:UNUSED_PAD src0_sel:WORD_0 src1_sel:DWORD
.LBB1879_109:
	s_or_b32 exec_lo, exec_lo, s1
.LBB1879_110:
	v_and_b32_e32 v60, 0xff, v30
	v_bfe_u32 v61, v36, 8, 8
	v_bfe_u32 v57, v30, 8, 8
	;; [unrolled: 1-line block ×4, first 2 shown]
	v_lshrrev_b32_e32 v43, 24, v36
	v_lshrrev_b32_e32 v42, 24, v30
	v_and_b32_e32 v56, 0xff, v31
	v_and_b32_e32 v54, 0xff, v32
	v_bfe_u32 v55, v31, 8, 8
	v_add3_u32 v1, v57, v60, v59
	v_add3_u32 v2, v58, v61, v43
	v_bfe_u32 v52, v32, 8, 8
	v_bfe_u32 v53, v31, 16, 8
	;; [unrolled: 1-line block ×3, first 2 shown]
	v_lshrrev_b32_e32 v41, 24, v31
	v_add3_u32 v1, v1, v42, v54
	v_add3_u32 v2, v2, v56, v55
	v_lshrrev_b32_e32 v40, 24, v32
	v_and_b32_e32 v51, 0xff, v33
	v_and_b32_e32 v49, 0xff, v35
	v_bfe_u32 v50, v33, 8, 8
	v_add3_u32 v1, v1, v52, v46
	v_add3_u32 v2, v2, v53, v41
	v_bfe_u32 v47, v35, 8, 8
	v_bfe_u32 v48, v33, 16, 8
	;; [unrolled: 1-line block ×3, first 2 shown]
	v_lshrrev_b32_e32 v39, 24, v33
	v_add3_u32 v1, v1, v40, v49
	v_add3_u32 v2, v2, v51, v50
	v_mbcnt_lo_u32_b32 v62, -1, 0
	v_lshrrev_b32_e32 v38, 24, v35
	v_and_b32_e32 v44, 0xff, v34
	v_and_b32_e32 v3, 0xff, v36
	;; [unrolled: 1-line block ×3, first 2 shown]
	v_add3_u32 v1, v1, v47, v45
	v_add3_u32 v2, v2, v48, v39
	v_and_b32_e32 v64, 15, v62
	v_and_b32_e32 v66, 16, v62
	v_lshrrev_b32_e32 v63, 5, v0
	v_add3_u32 v67, v1, v38, v3
	v_add3_u32 v68, v2, v44, v4
	v_cmp_eq_u32_e64 s1, 0, v64
	v_cmp_lt_u32_e64 s0, 1, v64
	v_cmp_lt_u32_e64 s2, 3, v64
	v_or_b32_e32 v65, 31, v0
	s_cmp_lg_u32 s6, 0
	s_mov_b32 s3, -1
	v_cmp_lt_u32_e32 vcc_lo, 7, v64
	s_cbranch_scc0 .LBB1879_132
; %bb.111:
	v_mov_b32_dpp v1, v68 row_shr:1 row_mask:0xf bank_mask:0xf
	v_mov_b32_dpp v2, v67 row_shr:1 row_mask:0xf bank_mask:0xf
	s_mov_b32 s3, exec_lo
	v_add_nc_u32_e32 v1, v1, v68
	v_add_nc_u32_e32 v2, v2, v67
	v_cndmask_b32_e64 v1, v1, v68, s1
	v_cndmask_b32_e64 v2, v2, v67, s1
	v_mov_b32_dpp v3, v1 row_shr:2 row_mask:0xf bank_mask:0xf
	v_mov_b32_dpp v4, v2 row_shr:2 row_mask:0xf bank_mask:0xf
	v_add_nc_u32_e32 v3, v1, v3
	v_add_nc_u32_e32 v4, v2, v4
	v_cndmask_b32_e64 v1, v1, v3, s0
	v_cndmask_b32_e64 v2, v2, v4, s0
	v_mov_b32_dpp v3, v1 row_shr:4 row_mask:0xf bank_mask:0xf
	v_mov_b32_dpp v4, v2 row_shr:4 row_mask:0xf bank_mask:0xf
	;; [unrolled: 6-line block ×3, first 2 shown]
	v_add_nc_u32_e32 v3, v1, v3
	v_add_nc_u32_e32 v4, v2, v4
	v_cndmask_b32_e32 v1, v1, v3, vcc_lo
	v_cndmask_b32_e32 v2, v2, v4, vcc_lo
	v_cmp_eq_u32_e32 vcc_lo, 0, v66
	ds_swizzle_b32 v3, v1 offset:swizzle(BROADCAST,32,15)
	ds_swizzle_b32 v4, v2 offset:swizzle(BROADCAST,32,15)
	s_waitcnt lgkmcnt(0)
	v_add_nc_u32_e32 v3, v1, v3
	v_add_nc_u32_e32 v4, v2, v4
	v_cmpx_eq_u32_e64 v0, v65
	s_cbranch_execz .LBB1879_113
; %bb.112:
	v_lshlrev_b32_e32 v7, 3, v63
	v_cndmask_b32_e32 v6, v3, v1, vcc_lo
	v_cndmask_b32_e32 v5, v4, v2, vcc_lo
	ds_write_b64 v7, v[5:6]
.LBB1879_113:
	s_or_b32 exec_lo, exec_lo, s3
	s_mov_b32 s3, exec_lo
	s_waitcnt lgkmcnt(0)
	s_barrier
	buffer_gl0_inv
	v_cmpx_gt_u32_e32 8, v0
	s_cbranch_execz .LBB1879_115
; %bb.114:
	v_lshlrev_b32_e32 v7, 3, v0
	v_and_b32_e32 v22, 7, v62
	ds_read_b64 v[5:6], v7
	v_cmp_eq_u32_e64 s2, 0, v22
	s_waitcnt lgkmcnt(0)
	v_mov_b32_dpp v8, v5 row_shr:1 row_mask:0xf bank_mask:0xf
	v_mov_b32_dpp v21, v6 row_shr:1 row_mask:0xf bank_mask:0xf
	v_add_nc_u32_e32 v8, v8, v5
	v_add_nc_u32_e32 v21, v21, v6
	v_cndmask_b32_e64 v5, v8, v5, s2
	v_cndmask_b32_e64 v6, v21, v6, s2
	v_cmp_lt_u32_e64 s2, 1, v22
	v_mov_b32_dpp v8, v5 row_shr:2 row_mask:0xf bank_mask:0xf
	v_mov_b32_dpp v21, v6 row_shr:2 row_mask:0xf bank_mask:0xf
	v_add_nc_u32_e32 v8, v5, v8
	v_add_nc_u32_e32 v21, v6, v21
	v_cndmask_b32_e64 v5, v5, v8, s2
	v_cndmask_b32_e64 v6, v6, v21, s2
	v_cmp_lt_u32_e64 s2, 3, v22
	v_mov_b32_dpp v8, v5 row_shr:4 row_mask:0xf bank_mask:0xf
	v_mov_b32_dpp v21, v6 row_shr:4 row_mask:0xf bank_mask:0xf
	v_cndmask_b32_e64 v8, 0, v8, s2
	v_cndmask_b32_e64 v21, 0, v21, s2
	v_add_nc_u32_e32 v5, v8, v5
	v_add_nc_u32_e32 v6, v21, v6
	ds_write_b64 v7, v[5:6]
.LBB1879_115:
	s_or_b32 exec_lo, exec_lo, s3
	v_cndmask_b32_e32 v1, v3, v1, vcc_lo
	v_cndmask_b32_e32 v2, v4, v2, vcc_lo
	s_mov_b32 s3, exec_lo
	v_cmp_gt_u32_e32 vcc_lo, 32, v0
	s_waitcnt lgkmcnt(0)
	s_barrier
	buffer_gl0_inv
                                        ; implicit-def: $vgpr21
	v_cmpx_lt_u32_e32 31, v0
	s_cbranch_execz .LBB1879_117
; %bb.116:
	v_lshl_add_u32 v3, v63, 3, -8
	ds_read_b64 v[21:22], v3
	s_waitcnt lgkmcnt(0)
	v_add_nc_u32_e32 v1, v22, v1
	v_add_nc_u32_e32 v2, v21, v2
.LBB1879_117:
	s_or_b32 exec_lo, exec_lo, s3
	v_sub_co_u32 v3, s2, v62, 1
	v_cmp_gt_i32_e64 s3, 0, v3
	v_cndmask_b32_e64 v3, v3, v62, s3
	v_lshlrev_b32_e32 v3, 2, v3
	ds_bpermute_b32 v69, v3, v2
	ds_bpermute_b32 v70, v3, v1
	s_and_saveexec_b32 s3, vcc_lo
	s_cbranch_execz .LBB1879_137
; %bb.118:
	v_mov_b32_e32 v4, 0
	ds_read_b64 v[1:2], v4 offset:56
	s_and_saveexec_b32 s8, s2
	s_cbranch_execz .LBB1879_120
; %bb.119:
	s_add_i32 s10, s6, 32
	s_mov_b32 s11, 0
	v_mov_b32_e32 v3, 1
	s_lshl_b64 s[10:11], s[10:11], 4
	s_add_u32 s10, s4, s10
	s_addc_u32 s11, s5, s11
	v_mov_b32_e32 v5, s10
	v_mov_b32_e32 v6, s11
	s_waitcnt lgkmcnt(0)
	;;#ASMSTART
	global_store_dwordx4 v[5:6], v[1:4] off	
s_waitcnt vmcnt(0)
	;;#ASMEND
.LBB1879_120:
	s_or_b32 exec_lo, exec_lo, s8
	v_xad_u32 v23, v62, -1, s6
	s_mov_b32 s9, 0
	v_add_nc_u32_e32 v3, 32, v23
	v_lshlrev_b64 v[5:6], 4, v[3:4]
	v_add_co_u32 v24, vcc_lo, s4, v5
	v_add_co_ci_u32_e64 v25, null, s5, v6, vcc_lo
	;;#ASMSTART
	global_load_dwordx4 v[5:8], v[24:25] off glc dlc	
s_waitcnt vmcnt(0)
	;;#ASMEND
	v_cmp_eq_u16_sdwa s10, v7, v4 src0_sel:BYTE_0 src1_sel:DWORD
	s_and_saveexec_b32 s8, s10
	s_cbranch_execz .LBB1879_124
; %bb.121:
	v_mov_b32_e32 v3, 0
.LBB1879_122:                           ; =>This Inner Loop Header: Depth=1
	;;#ASMSTART
	global_load_dwordx4 v[5:8], v[24:25] off glc dlc	
s_waitcnt vmcnt(0)
	;;#ASMEND
	v_cmp_ne_u16_sdwa s10, v7, v3 src0_sel:BYTE_0 src1_sel:DWORD
	s_or_b32 s9, s10, s9
	s_andn2_b32 exec_lo, exec_lo, s9
	s_cbranch_execnz .LBB1879_122
; %bb.123:
	s_or_b32 exec_lo, exec_lo, s9
.LBB1879_124:
	s_or_b32 exec_lo, exec_lo, s8
	v_cmp_ne_u32_e32 vcc_lo, 31, v62
	v_mov_b32_e32 v72, 2
	v_lshlrev_b32_e64 v73, v62, -1
	v_add_nc_u32_e32 v75, 2, v62
	v_add_nc_u32_e32 v77, 4, v62
	v_add_co_ci_u32_e64 v3, null, 0, v62, vcc_lo
	v_cmp_eq_u16_sdwa s8, v7, v72 src0_sel:BYTE_0 src1_sel:DWORD
	v_cmp_gt_u32_e32 vcc_lo, 30, v62
	v_add_nc_u32_e32 v79, 8, v62
	v_lshlrev_b32_e32 v71, 2, v3
	v_lshl_or_b32 v80, v62, 2, 64
	v_and_b32_e32 v8, s8, v73
	v_cndmask_b32_e64 v24, 0, 2, vcc_lo
	v_add_nc_u32_e32 v81, 16, v62
	ds_bpermute_b32 v3, v71, v6
	ds_bpermute_b32 v4, v71, v5
	v_or_b32_e32 v8, 0x80000000, v8
	v_add_lshl_u32 v74, v24, v62, 2
	v_ffbl_b32_e32 v8, v8
	v_cmp_lt_u32_e32 vcc_lo, v62, v8
	s_waitcnt lgkmcnt(1)
	v_add_nc_u32_e32 v3, v3, v6
	s_waitcnt lgkmcnt(0)
	v_add_nc_u32_e32 v4, v4, v5
	v_cndmask_b32_e32 v3, v6, v3, vcc_lo
	v_cndmask_b32_e32 v4, v5, v4, vcc_lo
	v_cmp_gt_u32_e32 vcc_lo, 28, v62
	ds_bpermute_b32 v5, v74, v3
	ds_bpermute_b32 v6, v74, v4
	v_cndmask_b32_e64 v24, 0, 4, vcc_lo
	v_cmp_gt_u32_e32 vcc_lo, v75, v8
	v_add_lshl_u32 v76, v24, v62, 2
	s_waitcnt lgkmcnt(1)
	v_add_nc_u32_e32 v5, v3, v5
	s_waitcnt lgkmcnt(0)
	v_add_nc_u32_e32 v6, v4, v6
	v_cndmask_b32_e32 v3, v5, v3, vcc_lo
	v_cndmask_b32_e32 v4, v6, v4, vcc_lo
	v_cmp_gt_u32_e32 vcc_lo, 24, v62
	ds_bpermute_b32 v5, v76, v3
	ds_bpermute_b32 v6, v76, v4
	v_cndmask_b32_e64 v24, 0, 8, vcc_lo
	v_cmp_gt_u32_e32 vcc_lo, v77, v8
	v_add_lshl_u32 v78, v24, v62, 2
	v_mov_b32_e32 v24, 0
	s_waitcnt lgkmcnt(1)
	v_add_nc_u32_e32 v5, v3, v5
	s_waitcnt lgkmcnt(0)
	v_add_nc_u32_e32 v6, v4, v6
	v_cndmask_b32_e32 v3, v5, v3, vcc_lo
	v_cndmask_b32_e32 v4, v6, v4, vcc_lo
	v_cmp_gt_u32_e32 vcc_lo, v79, v8
	ds_bpermute_b32 v5, v78, v3
	ds_bpermute_b32 v6, v78, v4
	s_waitcnt lgkmcnt(1)
	v_add_nc_u32_e32 v5, v3, v5
	s_waitcnt lgkmcnt(0)
	v_add_nc_u32_e32 v6, v4, v6
	v_cndmask_b32_e32 v3, v5, v3, vcc_lo
	v_cndmask_b32_e32 v4, v6, v4, vcc_lo
	v_cmp_le_u32_e32 vcc_lo, v81, v8
	ds_bpermute_b32 v6, v80, v3
	ds_bpermute_b32 v5, v80, v4
	s_waitcnt lgkmcnt(1)
	v_cndmask_b32_e32 v6, 0, v6, vcc_lo
	s_waitcnt lgkmcnt(0)
	v_cndmask_b32_e32 v5, 0, v5, vcc_lo
	v_add_nc_u32_e32 v6, v6, v3
	v_add_nc_u32_e32 v5, v5, v4
	s_branch .LBB1879_128
.LBB1879_125:                           ;   in Loop: Header=BB1879_128 Depth=1
	s_or_b32 exec_lo, exec_lo, s9
.LBB1879_126:                           ;   in Loop: Header=BB1879_128 Depth=1
	s_or_b32 exec_lo, exec_lo, s8
	ds_bpermute_b32 v8, v71, v5
	ds_bpermute_b32 v25, v71, v6
	v_cmp_eq_u16_sdwa s8, v7, v72 src0_sel:BYTE_0 src1_sel:DWORD
	v_subrev_nc_u32_e32 v23, 32, v23
	v_and_or_b32 v26, s8, v73, 0x80000000
	s_mov_b32 s8, 0
	v_ffbl_b32_e32 v26, v26
	v_cmp_lt_u32_e32 vcc_lo, v62, v26
	s_waitcnt lgkmcnt(1)
	v_add_nc_u32_e32 v8, v8, v5
	s_waitcnt lgkmcnt(0)
	v_add_nc_u32_e32 v25, v25, v6
	v_cndmask_b32_e32 v5, v5, v8, vcc_lo
	v_cndmask_b32_e32 v6, v6, v25, vcc_lo
	v_cmp_gt_u32_e32 vcc_lo, v75, v26
	ds_bpermute_b32 v8, v74, v5
	ds_bpermute_b32 v25, v74, v6
	s_waitcnt lgkmcnt(1)
	v_add_nc_u32_e32 v8, v5, v8
	s_waitcnt lgkmcnt(0)
	v_add_nc_u32_e32 v25, v6, v25
	v_cndmask_b32_e32 v5, v8, v5, vcc_lo
	v_cndmask_b32_e32 v6, v25, v6, vcc_lo
	v_cmp_gt_u32_e32 vcc_lo, v77, v26
	ds_bpermute_b32 v8, v76, v5
	ds_bpermute_b32 v25, v76, v6
	;; [unrolled: 9-line block ×3, first 2 shown]
	s_waitcnt lgkmcnt(1)
	v_add_nc_u32_e32 v8, v5, v8
	s_waitcnt lgkmcnt(0)
	v_add_nc_u32_e32 v25, v6, v25
	v_cndmask_b32_e32 v5, v8, v5, vcc_lo
	v_cndmask_b32_e32 v6, v25, v6, vcc_lo
	v_cmp_le_u32_e32 vcc_lo, v81, v26
	ds_bpermute_b32 v8, v80, v5
	ds_bpermute_b32 v25, v80, v6
	s_waitcnt lgkmcnt(1)
	v_cndmask_b32_e32 v8, 0, v8, vcc_lo
	s_waitcnt lgkmcnt(0)
	v_cndmask_b32_e32 v25, 0, v25, vcc_lo
	v_add3_u32 v5, v5, v3, v8
	v_add3_u32 v6, v6, v4, v25
.LBB1879_127:                           ;   in Loop: Header=BB1879_128 Depth=1
	s_and_b32 vcc_lo, exec_lo, s8
	s_cbranch_vccnz .LBB1879_133
.LBB1879_128:                           ; =>This Loop Header: Depth=1
                                        ;     Child Loop BB1879_131 Depth 2
	v_cmp_ne_u16_sdwa s8, v7, v72 src0_sel:BYTE_0 src1_sel:DWORD
	v_mov_b32_e32 v3, v5
	v_mov_b32_e32 v4, v6
                                        ; implicit-def: $vgpr7
                                        ; implicit-def: $vgpr5_vgpr6
	s_cmp_lg_u32 s8, exec_lo
	s_mov_b32 s8, -1
	s_cbranch_scc1 .LBB1879_127
; %bb.129:                              ;   in Loop: Header=BB1879_128 Depth=1
	v_lshlrev_b64 v[5:6], 4, v[23:24]
	v_add_co_u32 v25, vcc_lo, s4, v5
	v_add_co_ci_u32_e64 v26, null, s5, v6, vcc_lo
	;;#ASMSTART
	global_load_dwordx4 v[5:8], v[25:26] off glc dlc	
s_waitcnt vmcnt(0)
	;;#ASMEND
	v_cmp_eq_u16_sdwa s9, v7, v24 src0_sel:BYTE_0 src1_sel:DWORD
	s_and_saveexec_b32 s8, s9
	s_cbranch_execz .LBB1879_126
; %bb.130:                              ;   in Loop: Header=BB1879_128 Depth=1
	s_mov_b32 s9, 0
.LBB1879_131:                           ;   Parent Loop BB1879_128 Depth=1
                                        ; =>  This Inner Loop Header: Depth=2
	;;#ASMSTART
	global_load_dwordx4 v[5:8], v[25:26] off glc dlc	
s_waitcnt vmcnt(0)
	;;#ASMEND
	v_cmp_ne_u16_sdwa s10, v7, v24 src0_sel:BYTE_0 src1_sel:DWORD
	s_or_b32 s9, s10, s9
	s_andn2_b32 exec_lo, exec_lo, s9
	s_cbranch_execnz .LBB1879_131
	s_branch .LBB1879_125
.LBB1879_132:
                                        ; implicit-def: $vgpr23
                                        ; implicit-def: $vgpr3
                                        ; implicit-def: $vgpr24
	s_and_b32 vcc_lo, exec_lo, s3
	s_cbranch_vccnz .LBB1879_138
	s_branch .LBB1879_147
.LBB1879_133:
	s_and_saveexec_b32 s8, s2
	s_cbranch_execnz .LBB1879_375
; %bb.134:
	s_or_b32 exec_lo, exec_lo, s8
	s_and_saveexec_b32 s6, s2
	s_cbranch_execnz .LBB1879_376
.LBB1879_135:
	s_or_b32 exec_lo, exec_lo, s6
	v_cmp_eq_u32_e32 vcc_lo, 0, v0
	s_and_b32 exec_lo, exec_lo, vcc_lo
.LBB1879_136:
	v_mov_b32_e32 v1, 0
	ds_write_b64 v1, v[3:4] offset:56
.LBB1879_137:
	s_or_b32 exec_lo, exec_lo, s3
	v_mov_b32_e32 v1, 0
	s_waitcnt lgkmcnt(0)
	s_barrier
	buffer_gl0_inv
	v_cndmask_b32_e64 v7, v69, v21, s2
	ds_read_b64 v[5:6], v1 offset:56
	s_waitcnt lgkmcnt(0)
	s_barrier
	buffer_gl0_inv
	ds_read_b128 v[1:4], v1 offset:13312
	v_cndmask_b32_e64 v8, v70, v22, s2
	v_cmp_eq_u32_e32 vcc_lo, 0, v0
	v_add_nc_u32_e32 v7, v5, v7
	v_add_nc_u32_e32 v8, v6, v8
	v_cndmask_b32_e32 v24, v7, v5, vcc_lo
	v_cndmask_b32_e32 v23, v8, v6, vcc_lo
	s_branch .LBB1879_147
.LBB1879_138:
	s_waitcnt lgkmcnt(0)
	v_mov_b32_dpp v1, v67 row_shr:1 row_mask:0xf bank_mask:0xf
	v_mov_b32_dpp v2, v68 row_shr:1 row_mask:0xf bank_mask:0xf
	v_cmp_lt_u32_e32 vcc_lo, 3, v64
	v_add_nc_u32_e32 v1, v1, v67
	v_add_nc_u32_e32 v2, v2, v68
	v_cndmask_b32_e64 v1, v1, v67, s1
	v_cndmask_b32_e64 v2, v2, v68, s1
	s_mov_b32 s1, exec_lo
	v_mov_b32_dpp v3, v1 row_shr:2 row_mask:0xf bank_mask:0xf
	v_mov_b32_dpp v4, v2 row_shr:2 row_mask:0xf bank_mask:0xf
	v_add_nc_u32_e32 v3, v1, v3
	v_add_nc_u32_e32 v4, v2, v4
	v_cndmask_b32_e64 v1, v1, v3, s0
	v_cndmask_b32_e64 v2, v2, v4, s0
	v_mov_b32_dpp v3, v1 row_shr:4 row_mask:0xf bank_mask:0xf
	v_mov_b32_dpp v4, v2 row_shr:4 row_mask:0xf bank_mask:0xf
	v_add_nc_u32_e32 v3, v1, v3
	v_add_nc_u32_e32 v4, v2, v4
	v_cndmask_b32_e32 v3, v1, v3, vcc_lo
	v_cndmask_b32_e32 v2, v2, v4, vcc_lo
	v_cmp_lt_u32_e32 vcc_lo, 7, v64
	v_mov_b32_dpp v1, v3 row_shr:8 row_mask:0xf bank_mask:0xf
	v_mov_b32_dpp v4, v2 row_shr:8 row_mask:0xf bank_mask:0xf
	v_add_nc_u32_e32 v5, v3, v1
	v_add_nc_u32_e32 v1, v2, v4
	v_cndmask_b32_e32 v1, v2, v1, vcc_lo
	v_cndmask_b32_e32 v2, v3, v5, vcc_lo
	v_cmp_eq_u32_e32 vcc_lo, 0, v66
	ds_swizzle_b32 v3, v1 offset:swizzle(BROADCAST,32,15)
	ds_swizzle_b32 v4, v2 offset:swizzle(BROADCAST,32,15)
	s_waitcnt lgkmcnt(1)
	v_add_nc_u32_e32 v3, v1, v3
	s_waitcnt lgkmcnt(0)
	v_add_nc_u32_e32 v4, v2, v4
	v_cmpx_eq_u32_e64 v0, v65
	s_cbranch_execz .LBB1879_140
; %bb.139:
	v_cndmask_b32_e32 v5, v4, v2, vcc_lo
	v_cndmask_b32_e32 v6, v3, v1, vcc_lo
	v_lshlrev_b32_e32 v7, 3, v63
	ds_write_b64 v7, v[5:6]
.LBB1879_140:
	s_or_b32 exec_lo, exec_lo, s1
	s_mov_b32 s1, exec_lo
	s_waitcnt lgkmcnt(0)
	s_barrier
	buffer_gl0_inv
	v_cmpx_gt_u32_e32 8, v0
	s_cbranch_execz .LBB1879_142
; %bb.141:
	v_lshlrev_b32_e32 v7, 3, v0
	v_and_b32_e32 v22, 7, v62
	ds_read_b64 v[5:6], v7
	v_cmp_eq_u32_e64 s0, 0, v22
	s_waitcnt lgkmcnt(0)
	v_mov_b32_dpp v8, v5 row_shr:1 row_mask:0xf bank_mask:0xf
	v_mov_b32_dpp v21, v6 row_shr:1 row_mask:0xf bank_mask:0xf
	v_add_nc_u32_e32 v8, v8, v5
	v_add_nc_u32_e32 v21, v21, v6
	v_cndmask_b32_e64 v5, v8, v5, s0
	v_cndmask_b32_e64 v6, v21, v6, s0
	v_cmp_lt_u32_e64 s0, 1, v22
	v_mov_b32_dpp v8, v5 row_shr:2 row_mask:0xf bank_mask:0xf
	v_mov_b32_dpp v21, v6 row_shr:2 row_mask:0xf bank_mask:0xf
	v_add_nc_u32_e32 v8, v5, v8
	v_add_nc_u32_e32 v21, v6, v21
	v_cndmask_b32_e64 v5, v5, v8, s0
	v_cndmask_b32_e64 v6, v6, v21, s0
	v_cmp_lt_u32_e64 s0, 3, v22
	v_mov_b32_dpp v8, v5 row_shr:4 row_mask:0xf bank_mask:0xf
	v_mov_b32_dpp v21, v6 row_shr:4 row_mask:0xf bank_mask:0xf
	v_cndmask_b32_e64 v8, 0, v8, s0
	v_cndmask_b32_e64 v21, 0, v21, s0
	v_add_nc_u32_e32 v5, v8, v5
	v_add_nc_u32_e32 v6, v21, v6
	ds_write_b64 v7, v[5:6]
.LBB1879_142:
	s_or_b32 exec_lo, exec_lo, s1
	v_mov_b32_e32 v7, 0
	v_mov_b32_e32 v5, 0
	;; [unrolled: 1-line block ×3, first 2 shown]
	s_mov_b32 s1, exec_lo
	s_waitcnt lgkmcnt(0)
	s_barrier
	buffer_gl0_inv
	v_cmpx_lt_u32_e32 31, v0
; %bb.143:
	v_lshl_add_u32 v5, v63, 3, -8
	ds_read_b64 v[5:6], v5
; %bb.144:
	s_or_b32 exec_lo, exec_lo, s1
	v_sub_co_u32 v8, s0, v62, 1
	v_cndmask_b32_e32 v2, v4, v2, vcc_lo
	v_cndmask_b32_e32 v1, v3, v1, vcc_lo
	v_cmp_eq_u32_e32 vcc_lo, 0, v0
	v_cmp_gt_i32_e64 s1, 0, v8
	s_waitcnt lgkmcnt(0)
	v_add_nc_u32_e32 v2, v5, v2
	v_add_nc_u32_e32 v1, v6, v1
	v_cndmask_b32_e64 v4, v8, v62, s1
	v_lshlrev_b32_e32 v3, 2, v4
	ds_bpermute_b32 v8, v3, v2
	ds_bpermute_b32 v21, v3, v1
	ds_read_b64 v[1:2], v7 offset:56
	s_and_saveexec_b32 s1, vcc_lo
	s_cbranch_execz .LBB1879_146
; %bb.145:
	s_add_u32 s2, s4, 0x200
	s_addc_u32 s3, s5, 0
	v_mov_b32_e32 v3, 2
	v_mov_b32_e32 v23, s3
	;; [unrolled: 1-line block ×4, first 2 shown]
	s_waitcnt lgkmcnt(0)
	;;#ASMSTART
	global_store_dwordx4 v[22:23], v[1:4] off	
s_waitcnt vmcnt(0)
	;;#ASMEND
.LBB1879_146:
	s_or_b32 exec_lo, exec_lo, s1
	s_waitcnt lgkmcnt(1)
	v_cndmask_b32_e64 v3, v21, v6, s0
	v_cndmask_b32_e64 v5, v8, v5, s0
	v_mov_b32_e32 v4, 0
	s_waitcnt lgkmcnt(0)
	s_barrier
	v_cndmask_b32_e64 v23, v3, 0, vcc_lo
	v_cndmask_b32_e64 v24, v5, 0, vcc_lo
	v_mov_b32_e32 v3, 0
	buffer_gl0_inv
.LBB1879_147:
	v_add_nc_u32_e32 v61, v23, v61
	v_add_nc_u32_e32 v60, v24, v60
	s_waitcnt lgkmcnt(0)
	v_sub_nc_u32_e32 v23, v23, v4
	v_lshrrev_b32_e32 v26, 8, v36
	v_lshlrev_b32_e32 v66, 1, v1
	v_add_nc_u32_e32 v58, v61, v58
	v_sub_nc_u32_e32 v61, v61, v4
	v_add_nc_u32_e32 v57, v60, v57
	v_sub_nc_u32_e32 v24, v24, v3
	v_sub_nc_u32_e32 v60, v60, v3
	v_add_nc_u32_e32 v23, v23, v1
	v_add_nc_u32_e32 v61, v61, v1
	v_and_b32_e32 v26, 1, v26
	v_mov_b32_e32 v68, 1
	v_add3_u32 v29, v66, v2, v29
	v_add_nc_u32_e32 v73, v24, v23
	v_add_nc_u32_e32 v72, v61, v60
	v_cmp_eq_u32_e32 vcc_lo, 1, v26
	v_and_b32_sdwa v71, v68, v36 dst_sel:DWORD dst_unused:UNUSED_PAD src0_sel:DWORD src1_sel:WORD_1
	v_lshrrev_b32_e32 v25, 8, v30
	v_sub_nc_u32_e32 v73, v29, v73
	v_sub_nc_u32_e32 v72, v29, v72
	v_and_b32_e32 v67, 1, v30
	v_add_nc_u32_e32 v62, v58, v43
	v_and_b32_e32 v25, 1, v25
	v_cndmask_b32_e32 v23, v73, v23, vcc_lo
	v_add_nc_u32_e32 v72, 1, v72
	v_cmp_eq_u32_e32 vcc_lo, 1, v71
	v_sub_nc_u32_e32 v58, v58, v4
	v_add_nc_u32_e32 v59, v57, v59
	v_sub_nc_u32_e32 v57, v57, v3
	v_add_co_u32 v5, s0, s28, v3
	v_cndmask_b32_e32 v26, v72, v61, vcc_lo
	v_cmp_eq_u32_e32 vcc_lo, 1, v67
	v_add_nc_u32_e32 v58, v58, v1
	v_add_co_ci_u32_e64 v6, null, s29, 0, s0
	v_sub_co_u32 v64, s0, s30, v1
	v_cndmask_b32_e32 v67, v23, v24, vcc_lo
	v_cmp_eq_u32_e32 vcc_lo, 1, v25
	v_sub_co_ci_u32_e64 v65, null, s31, 0, s0
	v_and_b32_e32 v43, 1, v43
	v_add_nc_u32_e32 v56, v62, v56
	v_cndmask_b32_e32 v25, v26, v60, vcc_lo
	v_add_nc_u32_e32 v26, v58, v57
	v_add_co_u32 v23, vcc_lo, v64, v4
	v_add_co_ci_u32_e64 v24, null, 0, v65, vcc_lo
	v_sub_nc_u32_e32 v26, v29, v26
	v_sub_nc_u32_e32 v62, v62, v4
	v_and_b32_sdwa v30, v68, v30 dst_sel:DWORD dst_unused:UNUSED_PAD src0_sel:DWORD src1_sel:WORD_1
	v_cmp_eq_u32_e32 vcc_lo, 1, v43
	v_add_nc_u32_e32 v63, v59, v42
	v_add_nc_u32_e32 v26, 2, v26
	v_sub_nc_u32_e32 v59, v59, v3
	v_add_nc_u32_e32 v62, v62, v1
	v_add_nc_u32_e32 v55, v56, v55
	v_lshlrev_b32_e32 v60, 2, v67
	v_cndmask_b32_e32 v26, v26, v58, vcc_lo
	v_cmp_eq_u32_e32 vcc_lo, 1, v30
	v_lshlrev_b32_e32 v25, 2, v25
	v_sub_nc_u32_e32 v56, v56, v4
	v_add_nc_u32_e32 v43, v59, v62
	v_sub_nc_u32_e32 v58, v63, v3
	v_cndmask_b32_e32 v26, v26, v57, vcc_lo
	ds_write_b32 v60, v19
	v_add_nc_u32_e32 v56, v56, v1
	v_sub_nc_u32_e32 v19, v29, v43
	ds_write_b32 v25, v20
	v_lshlrev_b32_e32 v25, 2, v26
	v_and_b32_e32 v26, 1, v31
	v_lshrrev_b32_e32 v22, 8, v31
	v_add_nc_u32_e32 v54, v63, v54
	v_add_nc_u32_e32 v20, v58, v56
	;; [unrolled: 1-line block ×3, first 2 shown]
	v_and_b32_e32 v30, 1, v42
	v_sub_nc_u32_e32 v42, v55, v4
	v_cmp_eq_u32_e32 vcc_lo, 1, v26
	v_sub_nc_u32_e32 v20, v29, v20
	v_and_b32_e32 v22, 1, v22
	v_sub_nc_u32_e32 v26, v54, v3
	v_add_nc_u32_e32 v42, v42, v1
	v_cndmask_b32_e32 v19, v19, v62, vcc_lo
	v_cmp_eq_u32_e32 vcc_lo, 1, v30
	v_add_nc_u32_e32 v20, 4, v20
	v_and_b32_e32 v30, 1, v32
	v_add_nc_u32_e32 v43, v26, v42
	v_lshrrev_b32_e32 v21, 8, v32
	v_cndmask_b32_e32 v19, v19, v59, vcc_lo
	v_cmp_eq_u32_e32 vcc_lo, 1, v22
	v_add_nc_u32_e32 v53, v55, v53
	ds_write_b32 v25, v17
	v_and_b32_sdwa v25, v68, v31 dst_sel:DWORD dst_unused:UNUSED_PAD src0_sel:DWORD src1_sel:WORD_1
	v_lshlrev_b32_e32 v17, 2, v19
	v_cndmask_b32_e32 v20, v20, v56, vcc_lo
	v_sub_nc_u32_e32 v19, v29, v43
	v_cmp_eq_u32_e32 vcc_lo, 1, v30
	v_add_nc_u32_e32 v52, v54, v52
	v_add_nc_u32_e32 v69, v53, v41
	v_and_b32_e32 v21, 1, v21
	v_sub_nc_u32_e32 v22, v53, v4
	v_cndmask_b32_e32 v20, v20, v58, vcc_lo
	v_add_nc_u32_e32 v19, 5, v19
	v_cmp_eq_u32_e32 vcc_lo, 1, v25
	v_add_nc_u32_e32 v46, v52, v46
	v_sub_nc_u32_e32 v30, v52, v3
	v_sub_nc_u32_e32 v31, v69, v4
	v_add_nc_u32_e32 v22, v22, v1
	v_cndmask_b32_e32 v19, v19, v42, vcc_lo
	v_cmp_eq_u32_e32 vcc_lo, 1, v21
	v_sub_nc_u32_e32 v25, v46, v3
	v_add_nc_u32_e32 v31, v31, v1
	v_lshlrev_b32_e32 v20, 2, v20
	v_add_nc_u32_e32 v42, v30, v22
	v_cndmask_b32_e32 v19, v19, v26, vcc_lo
	ds_write_b32 v17, v18
	v_add_nc_u32_e32 v21, v25, v31
	ds_write_b32 v20, v15
	v_sub_nc_u32_e32 v17, v29, v42
	v_lshlrev_b32_e32 v15, 2, v19
	v_and_b32_e32 v19, 1, v41
	v_sub_nc_u32_e32 v18, v29, v21
	v_and_b32_e32 v21, 1, v33
	v_add_nc_u32_e32 v17, 6, v17
	v_add_nc_u32_e32 v51, v69, v51
	v_cmp_eq_u32_e32 vcc_lo, 1, v19
	v_and_b32_sdwa v20, v68, v32 dst_sel:DWORD dst_unused:UNUSED_PAD src0_sel:DWORD src1_sel:WORD_1
	v_add_nc_u32_e32 v18, 7, v18
	v_add_nc_u32_e32 v70, v46, v40
	v_sub_nc_u32_e32 v19, v51, v4
	v_cndmask_b32_e32 v17, v17, v22, vcc_lo
	v_cmp_eq_u32_e32 vcc_lo, 1, v21
	v_and_b32_e32 v22, 1, v40
	v_add_nc_u32_e32 v50, v51, v50
	v_sub_nc_u32_e32 v21, v70, v3
	v_add_nc_u32_e32 v19, v19, v1
	v_cndmask_b32_e32 v18, v18, v31, vcc_lo
	v_cmp_eq_u32_e32 vcc_lo, 1, v20
	v_lshrrev_b32_e32 v8, 8, v33
	v_add_nc_u32_e32 v49, v70, v49
	v_add_nc_u32_e32 v20, v21, v19
	ds_write_b32 v15, v16
	v_cndmask_b32_e32 v17, v17, v30, vcc_lo
	v_cmp_eq_u32_e32 vcc_lo, 1, v22
	v_sub_nc_u32_e32 v15, v50, v4
	v_add_nc_u32_e32 v48, v50, v48
	v_and_b32_e32 v8, 1, v8
	v_lshlrev_b32_e32 v16, 2, v17
	v_cndmask_b32_e32 v18, v18, v25, vcc_lo
	v_add_nc_u32_e32 v15, v15, v1
	v_add_nc_u32_e32 v47, v49, v47
	v_cmp_eq_u32_e32 vcc_lo, 1, v8
	v_lshrrev_b32_e32 v7, 8, v35
	v_lshlrev_b32_e32 v17, 2, v18
	v_sub_nc_u32_e32 v18, v29, v20
	v_sub_nc_u32_e32 v20, v49, v3
	ds_write_b32 v16, v13
	ds_write_b32 v17, v14
	v_and_b32_e32 v16, 1, v35
	v_add_nc_u32_e32 v13, 8, v18
	v_add_nc_u32_e32 v14, v20, v15
	v_sub_nc_u32_e32 v17, v48, v4
	v_add_nc_u32_e32 v74, v48, v39
	v_add_nc_u32_e32 v45, v47, v45
	v_cndmask_b32_e32 v8, v13, v19, vcc_lo
	v_sub_nc_u32_e32 v13, v29, v14
	v_sub_nc_u32_e32 v14, v47, v3
	v_add_nc_u32_e32 v17, v17, v1
	v_cmp_eq_u32_e32 vcc_lo, 1, v16
	v_and_b32_sdwa v16, v68, v33 dst_sel:DWORD dst_unused:UNUSED_PAD src0_sel:DWORD src1_sel:WORD_1
	v_add_nc_u32_e32 v44, v74, v44
	v_add_nc_u32_e32 v13, 9, v13
	v_and_b32_e32 v7, 1, v7
	v_cndmask_b32_e32 v8, v8, v21, vcc_lo
	v_add_nc_u32_e32 v18, v14, v17
	v_sub_nc_u32_e32 v19, v74, v4
	v_cmp_eq_u32_e32 vcc_lo, 1, v16
	v_add_nc_u32_e32 v61, v45, v38
	v_and_b32_e32 v25, 1, v37
	v_sub_nc_u32_e32 v16, v29, v18
	v_sub_nc_u32_e32 v18, v45, v3
	v_cndmask_b32_e32 v13, v13, v15, vcc_lo
	v_sub_nc_u32_e32 v15, v44, v4
	v_add_nc_u32_e32 v19, v19, v1
	v_cmp_eq_u32_e32 vcc_lo, 1, v7
	v_sub_nc_u32_e32 v3, v61, v3
	v_add_nc_u32_e32 v16, 10, v16
	v_add_nc_u32_e32 v15, v15, v1
	v_and_b32_sdwa v22, v68, v35 dst_sel:DWORD dst_unused:UNUSED_PAD src0_sel:DWORD src1_sel:WORD_1
	v_cndmask_b32_e32 v7, v13, v20, vcc_lo
	v_add_nc_u32_e32 v13, v18, v19
	v_and_b32_e32 v20, 1, v39
	v_add_nc_u32_e32 v21, v3, v15
	v_lshlrev_b32_e32 v8, 2, v8
	v_lshlrev_b32_e32 v7, 2, v7
	v_sub_nc_u32_e32 v13, v29, v13
	v_cmp_eq_u32_e32 vcc_lo, 1, v20
	v_and_b32_e32 v20, 1, v34
	v_add_nc_u32_e32 v13, 11, v13
	v_cndmask_b32_e32 v16, v16, v17, vcc_lo
	v_sub_nc_u32_e32 v17, v29, v21
	v_cmp_eq_u32_e32 vcc_lo, 1, v20
	v_and_b32_e32 v21, 1, v38
	v_add_nc_u32_e32 v17, 12, v17
	v_cndmask_b32_e32 v13, v13, v19, vcc_lo
	v_cmp_eq_u32_e32 vcc_lo, 1, v25
	v_and_b32_e32 v19, 1, v36
	v_cndmask_b32_e32 v15, v17, v15, vcc_lo
	v_cmp_eq_u32_e32 vcc_lo, 1, v22
	v_cndmask_b32_e32 v14, v16, v14, vcc_lo
	v_cmp_eq_u32_e32 vcc_lo, 1, v21
	v_lshlrev_b32_e32 v14, 2, v14
	v_cndmask_b32_e32 v13, v13, v18, vcc_lo
	v_cmp_eq_u32_e32 vcc_lo, 1, v19
	v_lshlrev_b32_e32 v13, 2, v13
	v_cndmask_b32_e32 v3, v15, v3, vcc_lo
	v_lshlrev_b32_e32 v3, 2, v3
	ds_write_b32 v8, v11
	ds_write_b32 v7, v12
	ds_write_b32 v14, v9
	ds_write_b32 v13, v10
	ds_write_b32 v3, v28
	v_add_co_u32 v3, s0, v2, v66
	v_add_co_ci_u32_e64 v7, null, 0, 0, s0
	s_add_u32 s0, s34, s42
	v_add_co_u32 v3, vcc_lo, v3, v23
	v_add_co_ci_u32_e64 v7, null, v7, v24, vcc_lo
	s_addc_u32 s1, s35, 0
	v_add_co_u32 v3, vcc_lo, v3, v5
	v_add_co_ci_u32_e64 v9, null, v7, v6, vcc_lo
	v_lshlrev_b64 v[7:8], 2, v[23:24]
	v_sub_co_u32 v3, vcc_lo, s0, v3
	v_sub_co_ci_u32_e64 v11, null, s1, v9, vcc_lo
	v_lshlrev_b64 v[9:10], 2, v[5:6]
	v_add_co_u32 v7, vcc_lo, s38, v7
	v_add_co_ci_u32_e64 v8, null, s39, v8, vcc_lo
	v_cmp_ne_u32_e32 vcc_lo, 1, v27
	v_add_co_u32 v9, s0, s36, v9
	v_add_nc_u32_e32 v12, v1, v2
	v_add_co_ci_u32_e64 v10, null, s37, v10, s0
	s_and_b32 vcc_lo, exec_lo, vcc_lo
	s_mov_b32 s0, -1
	s_waitcnt lgkmcnt(0)
	s_barrier
	buffer_gl0_inv
	s_cbranch_vccz .LBB1879_151
; %bb.148:
	s_and_b32 vcc_lo, exec_lo, s0
	s_cbranch_vccnz .LBB1879_256
.LBB1879_149:
	v_cmp_eq_u32_e32 vcc_lo, 0, v0
	s_and_b32 s0, vcc_lo, s33
	s_and_saveexec_b32 s1, s0
	s_cbranch_execnz .LBB1879_374
.LBB1879_150:
	s_endpgm
.LBB1879_151:
	s_mov_b32 s0, exec_lo
	v_cmpx_ge_u32_e64 v0, v1
	s_xor_b32 s0, exec_lo, s0
	s_cbranch_execz .LBB1879_157
; %bb.152:
	s_mov_b32 s1, exec_lo
	v_cmpx_ge_u32_e64 v0, v12
	s_xor_b32 s1, exec_lo, s1
	s_cbranch_execz .LBB1879_154
; %bb.153:
	v_lshlrev_b32_e32 v13, 2, v0
	ds_read_b32 v15, v13
	v_add_co_u32 v13, vcc_lo, v3, v0
	v_add_co_ci_u32_e64 v14, null, 0, v11, vcc_lo
	v_lshlrev_b64 v[13:14], 2, v[13:14]
	v_sub_co_u32 v13, vcc_lo, s26, v13
	v_sub_co_ci_u32_e64 v14, null, s27, v14, vcc_lo
	s_waitcnt lgkmcnt(0)
	global_store_dword v[13:14], v15, off offset:-4
.LBB1879_154:
	s_andn2_saveexec_b32 s1, s1
	s_cbranch_execz .LBB1879_156
; %bb.155:
	v_lshlrev_b32_e32 v13, 2, v0
	v_readfirstlane_b32 s2, v7
	v_readfirstlane_b32 s3, v8
	ds_read_b32 v14, v13
	s_waitcnt lgkmcnt(0)
	global_store_dword v13, v14, s[2:3]
.LBB1879_156:
	s_or_b32 exec_lo, exec_lo, s1
.LBB1879_157:
	s_andn2_saveexec_b32 s0, s0
	s_cbranch_execz .LBB1879_159
; %bb.158:
	v_lshlrev_b32_e32 v13, 2, v0
	v_readfirstlane_b32 s2, v9
	v_readfirstlane_b32 s3, v10
	ds_read_b32 v14, v13
	s_waitcnt lgkmcnt(0)
	global_store_dword v13, v14, s[2:3]
.LBB1879_159:
	s_or_b32 exec_lo, exec_lo, s0
	v_or_b32_e32 v13, 0x100, v0
	s_mov_b32 s0, exec_lo
	v_cmpx_ge_u32_e64 v13, v1
	s_xor_b32 s0, exec_lo, s0
	s_cbranch_execz .LBB1879_165
; %bb.160:
	s_mov_b32 s1, exec_lo
	v_cmpx_ge_u32_e64 v13, v12
	s_xor_b32 s1, exec_lo, s1
	s_cbranch_execz .LBB1879_162
; %bb.161:
	v_lshlrev_b32_e32 v13, 2, v0
	ds_read_b32 v15, v13 offset:1024
	v_add_co_u32 v13, vcc_lo, v3, v0
	v_add_co_ci_u32_e64 v14, null, 0, v11, vcc_lo
	v_lshlrev_b64 v[13:14], 2, v[13:14]
	v_sub_co_u32 v13, vcc_lo, s26, v13
	v_sub_co_ci_u32_e64 v14, null, s27, v14, vcc_lo
	s_waitcnt lgkmcnt(0)
	global_store_dword v[13:14], v15, off offset:-1028
.LBB1879_162:
	s_andn2_saveexec_b32 s1, s1
	s_cbranch_execz .LBB1879_164
; %bb.163:
	v_lshlrev_b32_e32 v13, 2, v0
	v_readfirstlane_b32 s2, v7
	v_readfirstlane_b32 s3, v8
	ds_read_b32 v14, v13 offset:1024
	s_waitcnt lgkmcnt(0)
	global_store_dword v13, v14, s[2:3] offset:1024
.LBB1879_164:
	s_or_b32 exec_lo, exec_lo, s1
.LBB1879_165:
	s_andn2_saveexec_b32 s0, s0
	s_cbranch_execz .LBB1879_167
; %bb.166:
	v_lshlrev_b32_e32 v13, 2, v0
	v_readfirstlane_b32 s2, v9
	v_readfirstlane_b32 s3, v10
	ds_read_b32 v14, v13 offset:1024
	s_waitcnt lgkmcnt(0)
	global_store_dword v13, v14, s[2:3] offset:1024
.LBB1879_167:
	s_or_b32 exec_lo, exec_lo, s0
	v_or_b32_e32 v13, 0x200, v0
	s_mov_b32 s0, exec_lo
	v_cmpx_ge_u32_e64 v13, v1
	s_xor_b32 s0, exec_lo, s0
	s_cbranch_execz .LBB1879_173
; %bb.168:
	s_mov_b32 s1, exec_lo
	v_cmpx_ge_u32_e64 v13, v12
	s_xor_b32 s1, exec_lo, s1
	s_cbranch_execz .LBB1879_170
; %bb.169:
	v_lshlrev_b32_e32 v15, 2, v0
	v_add_co_u32 v13, vcc_lo, v3, v0
	v_add_co_ci_u32_e64 v14, null, 0, v11, vcc_lo
	ds_read_b32 v15, v15 offset:2048
	v_lshlrev_b64 v[13:14], 2, v[13:14]
	v_sub_co_u32 v13, vcc_lo, s26, v13
	v_sub_co_ci_u32_e64 v14, null, s27, v14, vcc_lo
	v_add_co_u32 v13, vcc_lo, 0xfffff800, v13
	v_add_co_ci_u32_e64 v14, null, -1, v14, vcc_lo
	s_waitcnt lgkmcnt(0)
	global_store_dword v[13:14], v15, off offset:-4
                                        ; implicit-def: $vgpr13
.LBB1879_170:
	s_andn2_saveexec_b32 s1, s1
	s_cbranch_execz .LBB1879_172
; %bb.171:
	v_lshlrev_b32_e32 v14, 2, v0
	v_lshlrev_b32_e32 v13, 2, v13
	v_readfirstlane_b32 s2, v7
	v_readfirstlane_b32 s3, v8
	ds_read_b32 v14, v14 offset:2048
	s_waitcnt lgkmcnt(0)
	global_store_dword v13, v14, s[2:3]
.LBB1879_172:
	s_or_b32 exec_lo, exec_lo, s1
                                        ; implicit-def: $vgpr13
.LBB1879_173:
	s_andn2_saveexec_b32 s0, s0
	s_cbranch_execz .LBB1879_175
; %bb.174:
	v_lshlrev_b32_e32 v14, 2, v0
	v_lshlrev_b32_e32 v13, 2, v13
	v_readfirstlane_b32 s2, v9
	v_readfirstlane_b32 s3, v10
	ds_read_b32 v14, v14 offset:2048
	s_waitcnt lgkmcnt(0)
	global_store_dword v13, v14, s[2:3]
.LBB1879_175:
	s_or_b32 exec_lo, exec_lo, s0
	v_or_b32_e32 v13, 0x300, v0
	s_mov_b32 s0, exec_lo
	v_cmpx_ge_u32_e64 v13, v1
	s_xor_b32 s0, exec_lo, s0
	s_cbranch_execz .LBB1879_181
; %bb.176:
	s_mov_b32 s1, exec_lo
	v_cmpx_ge_u32_e64 v13, v12
	s_xor_b32 s1, exec_lo, s1
	s_cbranch_execz .LBB1879_178
; %bb.177:
	v_lshlrev_b32_e32 v14, 2, v0
	v_add_co_u32 v13, vcc_lo, v3, v13
	ds_read_b32 v15, v14 offset:3072
	v_add_co_ci_u32_e64 v14, null, 0, v11, vcc_lo
	v_lshlrev_b64 v[13:14], 2, v[13:14]
	v_sub_co_u32 v13, vcc_lo, s26, v13
	v_sub_co_ci_u32_e64 v14, null, s27, v14, vcc_lo
	s_waitcnt lgkmcnt(0)
	global_store_dword v[13:14], v15, off offset:-4
                                        ; implicit-def: $vgpr13
.LBB1879_178:
	s_andn2_saveexec_b32 s1, s1
	s_cbranch_execz .LBB1879_180
; %bb.179:
	v_lshlrev_b32_e32 v14, 2, v0
	v_lshlrev_b32_e32 v13, 2, v13
	v_readfirstlane_b32 s2, v7
	v_readfirstlane_b32 s3, v8
	ds_read_b32 v14, v14 offset:3072
	s_waitcnt lgkmcnt(0)
	global_store_dword v13, v14, s[2:3]
.LBB1879_180:
	s_or_b32 exec_lo, exec_lo, s1
                                        ; implicit-def: $vgpr13
.LBB1879_181:
	s_andn2_saveexec_b32 s0, s0
	s_cbranch_execz .LBB1879_183
; %bb.182:
	v_lshlrev_b32_e32 v14, 2, v0
	v_lshlrev_b32_e32 v13, 2, v13
	v_readfirstlane_b32 s2, v9
	v_readfirstlane_b32 s3, v10
	ds_read_b32 v14, v14 offset:3072
	s_waitcnt lgkmcnt(0)
	global_store_dword v13, v14, s[2:3]
.LBB1879_183:
	s_or_b32 exec_lo, exec_lo, s0
	v_or_b32_e32 v13, 0x400, v0
	s_mov_b32 s0, exec_lo
	v_cmpx_ge_u32_e64 v13, v1
	s_xor_b32 s0, exec_lo, s0
	s_cbranch_execz .LBB1879_189
; %bb.184:
	s_mov_b32 s1, exec_lo
	v_cmpx_ge_u32_e64 v13, v12
	s_xor_b32 s1, exec_lo, s1
	s_cbranch_execz .LBB1879_186
; %bb.185:
	v_lshlrev_b32_e32 v14, 2, v0
	v_add_co_u32 v13, vcc_lo, v3, v13
	ds_read_b32 v15, v14 offset:4096
	v_add_co_ci_u32_e64 v14, null, 0, v11, vcc_lo
	v_lshlrev_b64 v[13:14], 2, v[13:14]
	v_sub_co_u32 v13, vcc_lo, s26, v13
	v_sub_co_ci_u32_e64 v14, null, s27, v14, vcc_lo
	s_waitcnt lgkmcnt(0)
	global_store_dword v[13:14], v15, off offset:-4
                                        ; implicit-def: $vgpr13
.LBB1879_186:
	s_andn2_saveexec_b32 s1, s1
	s_cbranch_execz .LBB1879_188
; %bb.187:
	v_lshlrev_b32_e32 v14, 2, v0
	v_lshlrev_b32_e32 v13, 2, v13
	v_readfirstlane_b32 s2, v7
	v_readfirstlane_b32 s3, v8
	ds_read_b32 v14, v14 offset:4096
	s_waitcnt lgkmcnt(0)
	global_store_dword v13, v14, s[2:3]
.LBB1879_188:
	s_or_b32 exec_lo, exec_lo, s1
                                        ; implicit-def: $vgpr13
.LBB1879_189:
	;; [unrolled: 48-line block ×10, first 2 shown]
	s_andn2_saveexec_b32 s0, s0
	s_cbranch_execz .LBB1879_255
; %bb.254:
	v_lshlrev_b32_e32 v14, 2, v0
	v_lshlrev_b32_e32 v13, 2, v13
	v_readfirstlane_b32 s2, v9
	v_readfirstlane_b32 s3, v10
	ds_read_b32 v14, v14 offset:12288
	s_waitcnt lgkmcnt(0)
	global_store_dword v13, v14, s[2:3]
.LBB1879_255:
	s_or_b32 exec_lo, exec_lo, s0
	s_branch .LBB1879_149
.LBB1879_256:
	s_mov_b32 s0, exec_lo
	v_cmpx_gt_u32_e64 s7, v0
	s_cbranch_execz .LBB1879_265
; %bb.257:
	s_mov_b32 s1, exec_lo
	v_cmpx_ge_u32_e64 v0, v1
	s_xor_b32 s1, exec_lo, s1
	s_cbranch_execz .LBB1879_263
; %bb.258:
	s_mov_b32 s2, exec_lo
	v_cmpx_ge_u32_e64 v0, v12
	s_xor_b32 s2, exec_lo, s2
	s_cbranch_execz .LBB1879_260
; %bb.259:
	v_lshlrev_b32_e32 v13, 2, v0
	ds_read_b32 v15, v13
	v_add_co_u32 v13, vcc_lo, v3, v0
	v_add_co_ci_u32_e64 v14, null, 0, v11, vcc_lo
	v_lshlrev_b64 v[13:14], 2, v[13:14]
	v_sub_co_u32 v13, vcc_lo, s26, v13
	v_sub_co_ci_u32_e64 v14, null, s27, v14, vcc_lo
	s_waitcnt lgkmcnt(0)
	global_store_dword v[13:14], v15, off offset:-4
.LBB1879_260:
	s_andn2_saveexec_b32 s2, s2
	s_cbranch_execz .LBB1879_262
; %bb.261:
	v_lshlrev_b32_e32 v13, 2, v0
	v_readfirstlane_b32 s4, v7
	v_readfirstlane_b32 s5, v8
	ds_read_b32 v14, v13
	s_waitcnt lgkmcnt(0)
	global_store_dword v13, v14, s[4:5]
.LBB1879_262:
	s_or_b32 exec_lo, exec_lo, s2
.LBB1879_263:
	s_andn2_saveexec_b32 s1, s1
	s_cbranch_execz .LBB1879_265
; %bb.264:
	v_lshlrev_b32_e32 v13, 2, v0
	v_readfirstlane_b32 s2, v9
	v_readfirstlane_b32 s3, v10
	ds_read_b32 v14, v13
	s_waitcnt lgkmcnt(0)
	global_store_dword v13, v14, s[2:3]
.LBB1879_265:
	s_or_b32 exec_lo, exec_lo, s0
	v_or_b32_e32 v13, 0x100, v0
	s_mov_b32 s0, exec_lo
	v_cmpx_gt_u32_e64 s7, v13
	s_cbranch_execz .LBB1879_274
; %bb.266:
	s_mov_b32 s1, exec_lo
	v_cmpx_ge_u32_e64 v13, v1
	s_xor_b32 s1, exec_lo, s1
	s_cbranch_execz .LBB1879_272
; %bb.267:
	s_mov_b32 s2, exec_lo
	v_cmpx_ge_u32_e64 v13, v12
	s_xor_b32 s2, exec_lo, s2
	s_cbranch_execz .LBB1879_269
; %bb.268:
	v_lshlrev_b32_e32 v13, 2, v0
	ds_read_b32 v15, v13 offset:1024
	v_add_co_u32 v13, vcc_lo, v3, v0
	v_add_co_ci_u32_e64 v14, null, 0, v11, vcc_lo
	v_lshlrev_b64 v[13:14], 2, v[13:14]
	v_sub_co_u32 v13, vcc_lo, s26, v13
	v_sub_co_ci_u32_e64 v14, null, s27, v14, vcc_lo
	s_waitcnt lgkmcnt(0)
	global_store_dword v[13:14], v15, off offset:-1028
.LBB1879_269:
	s_andn2_saveexec_b32 s2, s2
	s_cbranch_execz .LBB1879_271
; %bb.270:
	v_lshlrev_b32_e32 v13, 2, v0
	v_readfirstlane_b32 s4, v7
	v_readfirstlane_b32 s5, v8
	ds_read_b32 v14, v13 offset:1024
	s_waitcnt lgkmcnt(0)
	global_store_dword v13, v14, s[4:5] offset:1024
.LBB1879_271:
	s_or_b32 exec_lo, exec_lo, s2
.LBB1879_272:
	s_andn2_saveexec_b32 s1, s1
	s_cbranch_execz .LBB1879_274
; %bb.273:
	v_lshlrev_b32_e32 v13, 2, v0
	v_readfirstlane_b32 s2, v9
	v_readfirstlane_b32 s3, v10
	ds_read_b32 v14, v13 offset:1024
	s_waitcnt lgkmcnt(0)
	global_store_dword v13, v14, s[2:3] offset:1024
.LBB1879_274:
	s_or_b32 exec_lo, exec_lo, s0
	v_or_b32_e32 v13, 0x200, v0
	s_mov_b32 s0, exec_lo
	v_cmpx_gt_u32_e64 s7, v13
	s_cbranch_execz .LBB1879_283
; %bb.275:
	s_mov_b32 s1, exec_lo
	v_cmpx_ge_u32_e64 v13, v1
	s_xor_b32 s1, exec_lo, s1
	s_cbranch_execz .LBB1879_281
; %bb.276:
	s_mov_b32 s2, exec_lo
	v_cmpx_ge_u32_e64 v13, v12
	s_xor_b32 s2, exec_lo, s2
	s_cbranch_execz .LBB1879_278
; %bb.277:
	v_lshlrev_b32_e32 v15, 2, v0
	v_add_co_u32 v13, vcc_lo, v3, v0
	v_add_co_ci_u32_e64 v14, null, 0, v11, vcc_lo
	ds_read_b32 v15, v15 offset:2048
	v_lshlrev_b64 v[13:14], 2, v[13:14]
	v_sub_co_u32 v13, vcc_lo, s26, v13
	v_sub_co_ci_u32_e64 v14, null, s27, v14, vcc_lo
	v_add_co_u32 v13, vcc_lo, 0xfffff800, v13
	v_add_co_ci_u32_e64 v14, null, -1, v14, vcc_lo
	s_waitcnt lgkmcnt(0)
	global_store_dword v[13:14], v15, off offset:-4
                                        ; implicit-def: $vgpr13
.LBB1879_278:
	s_andn2_saveexec_b32 s2, s2
	s_cbranch_execz .LBB1879_280
; %bb.279:
	v_lshlrev_b32_e32 v14, 2, v0
	v_lshlrev_b32_e32 v13, 2, v13
	v_readfirstlane_b32 s4, v7
	v_readfirstlane_b32 s5, v8
	ds_read_b32 v14, v14 offset:2048
	s_waitcnt lgkmcnt(0)
	global_store_dword v13, v14, s[4:5]
.LBB1879_280:
	s_or_b32 exec_lo, exec_lo, s2
                                        ; implicit-def: $vgpr13
.LBB1879_281:
	s_andn2_saveexec_b32 s1, s1
	s_cbranch_execz .LBB1879_283
; %bb.282:
	v_lshlrev_b32_e32 v14, 2, v0
	v_lshlrev_b32_e32 v13, 2, v13
	v_readfirstlane_b32 s2, v9
	v_readfirstlane_b32 s3, v10
	ds_read_b32 v14, v14 offset:2048
	s_waitcnt lgkmcnt(0)
	global_store_dword v13, v14, s[2:3]
.LBB1879_283:
	s_or_b32 exec_lo, exec_lo, s0
	v_or_b32_e32 v13, 0x300, v0
	s_mov_b32 s0, exec_lo
	v_cmpx_gt_u32_e64 s7, v13
	s_cbranch_execz .LBB1879_292
; %bb.284:
	s_mov_b32 s1, exec_lo
	v_cmpx_ge_u32_e64 v13, v1
	s_xor_b32 s1, exec_lo, s1
	s_cbranch_execz .LBB1879_290
; %bb.285:
	s_mov_b32 s2, exec_lo
	v_cmpx_ge_u32_e64 v13, v12
	s_xor_b32 s2, exec_lo, s2
	s_cbranch_execz .LBB1879_287
; %bb.286:
	v_lshlrev_b32_e32 v14, 2, v0
	v_add_co_u32 v13, vcc_lo, v3, v13
	ds_read_b32 v15, v14 offset:3072
	v_add_co_ci_u32_e64 v14, null, 0, v11, vcc_lo
	v_lshlrev_b64 v[13:14], 2, v[13:14]
	v_sub_co_u32 v13, vcc_lo, s26, v13
	v_sub_co_ci_u32_e64 v14, null, s27, v14, vcc_lo
	s_waitcnt lgkmcnt(0)
	global_store_dword v[13:14], v15, off offset:-4
                                        ; implicit-def: $vgpr13
.LBB1879_287:
	s_andn2_saveexec_b32 s2, s2
	s_cbranch_execz .LBB1879_289
; %bb.288:
	v_lshlrev_b32_e32 v14, 2, v0
	v_lshlrev_b32_e32 v13, 2, v13
	v_readfirstlane_b32 s4, v7
	v_readfirstlane_b32 s5, v8
	ds_read_b32 v14, v14 offset:3072
	s_waitcnt lgkmcnt(0)
	global_store_dword v13, v14, s[4:5]
.LBB1879_289:
	s_or_b32 exec_lo, exec_lo, s2
                                        ; implicit-def: $vgpr13
.LBB1879_290:
	s_andn2_saveexec_b32 s1, s1
	s_cbranch_execz .LBB1879_292
; %bb.291:
	v_lshlrev_b32_e32 v14, 2, v0
	v_lshlrev_b32_e32 v13, 2, v13
	v_readfirstlane_b32 s2, v9
	v_readfirstlane_b32 s3, v10
	ds_read_b32 v14, v14 offset:3072
	s_waitcnt lgkmcnt(0)
	global_store_dword v13, v14, s[2:3]
.LBB1879_292:
	s_or_b32 exec_lo, exec_lo, s0
	v_or_b32_e32 v13, 0x400, v0
	s_mov_b32 s0, exec_lo
	v_cmpx_gt_u32_e64 s7, v13
	s_cbranch_execz .LBB1879_301
; %bb.293:
	s_mov_b32 s1, exec_lo
	v_cmpx_ge_u32_e64 v13, v1
	s_xor_b32 s1, exec_lo, s1
	s_cbranch_execz .LBB1879_299
; %bb.294:
	s_mov_b32 s2, exec_lo
	v_cmpx_ge_u32_e64 v13, v12
	s_xor_b32 s2, exec_lo, s2
	s_cbranch_execz .LBB1879_296
; %bb.295:
	v_lshlrev_b32_e32 v14, 2, v0
	v_add_co_u32 v13, vcc_lo, v3, v13
	ds_read_b32 v15, v14 offset:4096
	v_add_co_ci_u32_e64 v14, null, 0, v11, vcc_lo
	v_lshlrev_b64 v[13:14], 2, v[13:14]
	v_sub_co_u32 v13, vcc_lo, s26, v13
	v_sub_co_ci_u32_e64 v14, null, s27, v14, vcc_lo
	s_waitcnt lgkmcnt(0)
	global_store_dword v[13:14], v15, off offset:-4
                                        ; implicit-def: $vgpr13
.LBB1879_296:
	s_andn2_saveexec_b32 s2, s2
	s_cbranch_execz .LBB1879_298
; %bb.297:
	v_lshlrev_b32_e32 v14, 2, v0
	v_lshlrev_b32_e32 v13, 2, v13
	v_readfirstlane_b32 s4, v7
	v_readfirstlane_b32 s5, v8
	ds_read_b32 v14, v14 offset:4096
	s_waitcnt lgkmcnt(0)
	global_store_dword v13, v14, s[4:5]
.LBB1879_298:
	s_or_b32 exec_lo, exec_lo, s2
                                        ; implicit-def: $vgpr13
.LBB1879_299:
	s_andn2_saveexec_b32 s1, s1
	s_cbranch_execz .LBB1879_301
; %bb.300:
	v_lshlrev_b32_e32 v14, 2, v0
	v_lshlrev_b32_e32 v13, 2, v13
	v_readfirstlane_b32 s2, v9
	v_readfirstlane_b32 s3, v10
	ds_read_b32 v14, v14 offset:4096
	s_waitcnt lgkmcnt(0)
	global_store_dword v13, v14, s[2:3]
.LBB1879_301:
	;; [unrolled: 52-line block ×9, first 2 shown]
	s_or_b32 exec_lo, exec_lo, s0
	v_or_b32_e32 v13, 0xc00, v0
	s_mov_b32 s0, exec_lo
	v_cmpx_gt_u32_e64 s7, v13
	s_cbranch_execz .LBB1879_373
; %bb.365:
	s_mov_b32 s1, exec_lo
	v_cmpx_ge_u32_e64 v13, v1
	s_xor_b32 s1, exec_lo, s1
	s_cbranch_execz .LBB1879_371
; %bb.366:
	s_mov_b32 s2, exec_lo
	v_cmpx_ge_u32_e64 v13, v12
	s_xor_b32 s2, exec_lo, s2
	s_cbranch_execz .LBB1879_368
; %bb.367:
	v_lshlrev_b32_e32 v7, 2, v0
	ds_read_b32 v9, v7 offset:12288
	v_add_co_u32 v7, vcc_lo, v3, v13
	v_add_co_ci_u32_e64 v8, null, 0, v11, vcc_lo
                                        ; implicit-def: $vgpr13
	v_lshlrev_b64 v[7:8], 2, v[7:8]
	v_sub_co_u32 v7, vcc_lo, s26, v7
	v_sub_co_ci_u32_e64 v8, null, s27, v8, vcc_lo
	s_waitcnt lgkmcnt(0)
	global_store_dword v[7:8], v9, off offset:-4
                                        ; implicit-def: $vgpr7_vgpr8
.LBB1879_368:
	s_andn2_saveexec_b32 s2, s2
	s_cbranch_execz .LBB1879_370
; %bb.369:
	v_lshlrev_b32_e32 v3, 2, v0
	v_lshlrev_b32_e32 v9, 2, v13
	v_readfirstlane_b32 s4, v7
	v_readfirstlane_b32 s5, v8
	ds_read_b32 v3, v3 offset:12288
	s_waitcnt lgkmcnt(0)
	global_store_dword v9, v3, s[4:5]
.LBB1879_370:
	s_or_b32 exec_lo, exec_lo, s2
                                        ; implicit-def: $vgpr13
                                        ; implicit-def: $vgpr9_vgpr10
.LBB1879_371:
	s_andn2_saveexec_b32 s1, s1
	s_cbranch_execz .LBB1879_373
; %bb.372:
	v_lshlrev_b32_e32 v3, 2, v0
	v_lshlrev_b32_e32 v7, 2, v13
	v_readfirstlane_b32 s2, v9
	v_readfirstlane_b32 s3, v10
	ds_read_b32 v3, v3 offset:12288
	s_waitcnt lgkmcnt(0)
	global_store_dword v7, v3, s[2:3]
.LBB1879_373:
	s_or_b32 exec_lo, exec_lo, s0
	v_cmp_eq_u32_e32 vcc_lo, 0, v0
	s_and_b32 s0, vcc_lo, s33
	s_and_saveexec_b32 s1, s0
	s_cbranch_execz .LBB1879_150
.LBB1879_374:
	v_add_co_u32 v0, s0, s30, v2
	v_add_co_ci_u32_e64 v3, null, s31, 0, s0
	v_mov_b32_e32 v7, 0
	v_add_co_u32 v2, vcc_lo, v0, v4
	v_add_co_ci_u32_e64 v3, null, 0, v3, vcc_lo
	v_add_co_u32 v0, vcc_lo, v5, v1
	v_add_co_ci_u32_e64 v1, null, 0, v6, vcc_lo
	global_store_dwordx4 v7, v[0:3], s[24:25]
	s_endpgm
.LBB1879_375:
	s_add_i32 s10, s6, 32
	s_mov_b32 s11, 0
	v_add_nc_u32_e32 v6, v4, v2
	s_lshl_b64 s[10:11], s[10:11], 4
	v_add_nc_u32_e32 v5, v3, v1
	s_add_u32 s10, s4, s10
	s_addc_u32 s11, s5, s11
	v_mov_b32_e32 v7, 2
	v_mov_b32_e32 v24, s11
	;; [unrolled: 1-line block ×4, first 2 shown]
	;;#ASMSTART
	global_store_dwordx4 v[23:24], v[5:8] off	
s_waitcnt vmcnt(0)
	;;#ASMEND
	s_or_b32 exec_lo, exec_lo, s8
	s_and_saveexec_b32 s6, s2
	s_cbranch_execz .LBB1879_135
.LBB1879_376:
	v_mov_b32_e32 v5, 0
	ds_write_b128 v5, v[1:4] offset:13312
	s_or_b32 exec_lo, exec_lo, s6
	v_cmp_eq_u32_e32 vcc_lo, 0, v0
	s_and_b32 exec_lo, exec_lo, vcc_lo
	s_cbranch_execnz .LBB1879_136
	s_branch .LBB1879_137
	.section	.rodata,"a",@progbits
	.p2align	6, 0x0
	.amdhsa_kernel _ZN7rocprim17ROCPRIM_400000_NS6detail17trampoline_kernelINS0_13select_configILj256ELj13ELNS0_17block_load_methodE3ELS4_3ELS4_3ELNS0_20block_scan_algorithmE0ELj4294967295EEENS1_25partition_config_selectorILNS1_17partition_subalgoE4EjNS0_10empty_typeEbEEZZNS1_14partition_implILS8_4ELb0ES6_15HIP_vector_typeIjLj2EENS0_17counting_iteratorIjlEEPS9_SG_NS0_5tupleIJPjSI_NS0_16reverse_iteratorISI_EEEEENSH_IJSG_SG_SG_EEES9_SI_JZNS1_25segmented_radix_sort_implINS0_14default_configELb1EPK12hip_bfloat16PSP_PKlPlN2at6native12_GLOBAL__N_18offset_tEEE10hipError_tPvRmT1_PNSt15iterator_traitsIS13_E10value_typeET2_T3_PNS14_IS19_E10value_typeET4_jRbjT5_S1F_jjP12ihipStream_tbEUljE_ZNSN_ISO_Lb1ESR_SS_SU_SV_SZ_EES10_S11_S12_S13_S17_S18_S19_S1C_S1D_jS1E_jS1F_S1F_jjS1H_bEUljE0_EEES10_S11_S12_S19_S1D_S1F_T6_T7_T9_mT8_S1H_bDpT10_ENKUlT_T0_E_clISt17integral_constantIbLb0EES1V_EEDaS1Q_S1R_EUlS1Q_E_NS1_11comp_targetILNS1_3genE8ELNS1_11target_archE1030ELNS1_3gpuE2ELNS1_3repE0EEENS1_30default_config_static_selectorELNS0_4arch9wavefront6targetE0EEEvS13_
		.amdhsa_group_segment_fixed_size 13328
		.amdhsa_private_segment_fixed_size 0
		.amdhsa_kernarg_size 176
		.amdhsa_user_sgpr_count 6
		.amdhsa_user_sgpr_private_segment_buffer 1
		.amdhsa_user_sgpr_dispatch_ptr 0
		.amdhsa_user_sgpr_queue_ptr 0
		.amdhsa_user_sgpr_kernarg_segment_ptr 1
		.amdhsa_user_sgpr_dispatch_id 0
		.amdhsa_user_sgpr_flat_scratch_init 0
		.amdhsa_user_sgpr_private_segment_size 0
		.amdhsa_wavefront_size32 1
		.amdhsa_uses_dynamic_stack 0
		.amdhsa_system_sgpr_private_segment_wavefront_offset 0
		.amdhsa_system_sgpr_workgroup_id_x 1
		.amdhsa_system_sgpr_workgroup_id_y 0
		.amdhsa_system_sgpr_workgroup_id_z 0
		.amdhsa_system_sgpr_workgroup_info 0
		.amdhsa_system_vgpr_workitem_id 0
		.amdhsa_next_free_vgpr 82
		.amdhsa_next_free_sgpr 59
		.amdhsa_reserve_vcc 1
		.amdhsa_reserve_flat_scratch 0
		.amdhsa_float_round_mode_32 0
		.amdhsa_float_round_mode_16_64 0
		.amdhsa_float_denorm_mode_32 3
		.amdhsa_float_denorm_mode_16_64 3
		.amdhsa_dx10_clamp 1
		.amdhsa_ieee_mode 1
		.amdhsa_fp16_overflow 0
		.amdhsa_workgroup_processor_mode 1
		.amdhsa_memory_ordered 1
		.amdhsa_forward_progress 1
		.amdhsa_shared_vgpr_count 0
		.amdhsa_exception_fp_ieee_invalid_op 0
		.amdhsa_exception_fp_denorm_src 0
		.amdhsa_exception_fp_ieee_div_zero 0
		.amdhsa_exception_fp_ieee_overflow 0
		.amdhsa_exception_fp_ieee_underflow 0
		.amdhsa_exception_fp_ieee_inexact 0
		.amdhsa_exception_int_div_zero 0
	.end_amdhsa_kernel
	.section	.text._ZN7rocprim17ROCPRIM_400000_NS6detail17trampoline_kernelINS0_13select_configILj256ELj13ELNS0_17block_load_methodE3ELS4_3ELS4_3ELNS0_20block_scan_algorithmE0ELj4294967295EEENS1_25partition_config_selectorILNS1_17partition_subalgoE4EjNS0_10empty_typeEbEEZZNS1_14partition_implILS8_4ELb0ES6_15HIP_vector_typeIjLj2EENS0_17counting_iteratorIjlEEPS9_SG_NS0_5tupleIJPjSI_NS0_16reverse_iteratorISI_EEEEENSH_IJSG_SG_SG_EEES9_SI_JZNS1_25segmented_radix_sort_implINS0_14default_configELb1EPK12hip_bfloat16PSP_PKlPlN2at6native12_GLOBAL__N_18offset_tEEE10hipError_tPvRmT1_PNSt15iterator_traitsIS13_E10value_typeET2_T3_PNS14_IS19_E10value_typeET4_jRbjT5_S1F_jjP12ihipStream_tbEUljE_ZNSN_ISO_Lb1ESR_SS_SU_SV_SZ_EES10_S11_S12_S13_S17_S18_S19_S1C_S1D_jS1E_jS1F_S1F_jjS1H_bEUljE0_EEES10_S11_S12_S19_S1D_S1F_T6_T7_T9_mT8_S1H_bDpT10_ENKUlT_T0_E_clISt17integral_constantIbLb0EES1V_EEDaS1Q_S1R_EUlS1Q_E_NS1_11comp_targetILNS1_3genE8ELNS1_11target_archE1030ELNS1_3gpuE2ELNS1_3repE0EEENS1_30default_config_static_selectorELNS0_4arch9wavefront6targetE0EEEvS13_,"axG",@progbits,_ZN7rocprim17ROCPRIM_400000_NS6detail17trampoline_kernelINS0_13select_configILj256ELj13ELNS0_17block_load_methodE3ELS4_3ELS4_3ELNS0_20block_scan_algorithmE0ELj4294967295EEENS1_25partition_config_selectorILNS1_17partition_subalgoE4EjNS0_10empty_typeEbEEZZNS1_14partition_implILS8_4ELb0ES6_15HIP_vector_typeIjLj2EENS0_17counting_iteratorIjlEEPS9_SG_NS0_5tupleIJPjSI_NS0_16reverse_iteratorISI_EEEEENSH_IJSG_SG_SG_EEES9_SI_JZNS1_25segmented_radix_sort_implINS0_14default_configELb1EPK12hip_bfloat16PSP_PKlPlN2at6native12_GLOBAL__N_18offset_tEEE10hipError_tPvRmT1_PNSt15iterator_traitsIS13_E10value_typeET2_T3_PNS14_IS19_E10value_typeET4_jRbjT5_S1F_jjP12ihipStream_tbEUljE_ZNSN_ISO_Lb1ESR_SS_SU_SV_SZ_EES10_S11_S12_S13_S17_S18_S19_S1C_S1D_jS1E_jS1F_S1F_jjS1H_bEUljE0_EEES10_S11_S12_S19_S1D_S1F_T6_T7_T9_mT8_S1H_bDpT10_ENKUlT_T0_E_clISt17integral_constantIbLb0EES1V_EEDaS1Q_S1R_EUlS1Q_E_NS1_11comp_targetILNS1_3genE8ELNS1_11target_archE1030ELNS1_3gpuE2ELNS1_3repE0EEENS1_30default_config_static_selectorELNS0_4arch9wavefront6targetE0EEEvS13_,comdat
.Lfunc_end1879:
	.size	_ZN7rocprim17ROCPRIM_400000_NS6detail17trampoline_kernelINS0_13select_configILj256ELj13ELNS0_17block_load_methodE3ELS4_3ELS4_3ELNS0_20block_scan_algorithmE0ELj4294967295EEENS1_25partition_config_selectorILNS1_17partition_subalgoE4EjNS0_10empty_typeEbEEZZNS1_14partition_implILS8_4ELb0ES6_15HIP_vector_typeIjLj2EENS0_17counting_iteratorIjlEEPS9_SG_NS0_5tupleIJPjSI_NS0_16reverse_iteratorISI_EEEEENSH_IJSG_SG_SG_EEES9_SI_JZNS1_25segmented_radix_sort_implINS0_14default_configELb1EPK12hip_bfloat16PSP_PKlPlN2at6native12_GLOBAL__N_18offset_tEEE10hipError_tPvRmT1_PNSt15iterator_traitsIS13_E10value_typeET2_T3_PNS14_IS19_E10value_typeET4_jRbjT5_S1F_jjP12ihipStream_tbEUljE_ZNSN_ISO_Lb1ESR_SS_SU_SV_SZ_EES10_S11_S12_S13_S17_S18_S19_S1C_S1D_jS1E_jS1F_S1F_jjS1H_bEUljE0_EEES10_S11_S12_S19_S1D_S1F_T6_T7_T9_mT8_S1H_bDpT10_ENKUlT_T0_E_clISt17integral_constantIbLb0EES1V_EEDaS1Q_S1R_EUlS1Q_E_NS1_11comp_targetILNS1_3genE8ELNS1_11target_archE1030ELNS1_3gpuE2ELNS1_3repE0EEENS1_30default_config_static_selectorELNS0_4arch9wavefront6targetE0EEEvS13_, .Lfunc_end1879-_ZN7rocprim17ROCPRIM_400000_NS6detail17trampoline_kernelINS0_13select_configILj256ELj13ELNS0_17block_load_methodE3ELS4_3ELS4_3ELNS0_20block_scan_algorithmE0ELj4294967295EEENS1_25partition_config_selectorILNS1_17partition_subalgoE4EjNS0_10empty_typeEbEEZZNS1_14partition_implILS8_4ELb0ES6_15HIP_vector_typeIjLj2EENS0_17counting_iteratorIjlEEPS9_SG_NS0_5tupleIJPjSI_NS0_16reverse_iteratorISI_EEEEENSH_IJSG_SG_SG_EEES9_SI_JZNS1_25segmented_radix_sort_implINS0_14default_configELb1EPK12hip_bfloat16PSP_PKlPlN2at6native12_GLOBAL__N_18offset_tEEE10hipError_tPvRmT1_PNSt15iterator_traitsIS13_E10value_typeET2_T3_PNS14_IS19_E10value_typeET4_jRbjT5_S1F_jjP12ihipStream_tbEUljE_ZNSN_ISO_Lb1ESR_SS_SU_SV_SZ_EES10_S11_S12_S13_S17_S18_S19_S1C_S1D_jS1E_jS1F_S1F_jjS1H_bEUljE0_EEES10_S11_S12_S19_S1D_S1F_T6_T7_T9_mT8_S1H_bDpT10_ENKUlT_T0_E_clISt17integral_constantIbLb0EES1V_EEDaS1Q_S1R_EUlS1Q_E_NS1_11comp_targetILNS1_3genE8ELNS1_11target_archE1030ELNS1_3gpuE2ELNS1_3repE0EEENS1_30default_config_static_selectorELNS0_4arch9wavefront6targetE0EEEvS13_
                                        ; -- End function
	.set _ZN7rocprim17ROCPRIM_400000_NS6detail17trampoline_kernelINS0_13select_configILj256ELj13ELNS0_17block_load_methodE3ELS4_3ELS4_3ELNS0_20block_scan_algorithmE0ELj4294967295EEENS1_25partition_config_selectorILNS1_17partition_subalgoE4EjNS0_10empty_typeEbEEZZNS1_14partition_implILS8_4ELb0ES6_15HIP_vector_typeIjLj2EENS0_17counting_iteratorIjlEEPS9_SG_NS0_5tupleIJPjSI_NS0_16reverse_iteratorISI_EEEEENSH_IJSG_SG_SG_EEES9_SI_JZNS1_25segmented_radix_sort_implINS0_14default_configELb1EPK12hip_bfloat16PSP_PKlPlN2at6native12_GLOBAL__N_18offset_tEEE10hipError_tPvRmT1_PNSt15iterator_traitsIS13_E10value_typeET2_T3_PNS14_IS19_E10value_typeET4_jRbjT5_S1F_jjP12ihipStream_tbEUljE_ZNSN_ISO_Lb1ESR_SS_SU_SV_SZ_EES10_S11_S12_S13_S17_S18_S19_S1C_S1D_jS1E_jS1F_S1F_jjS1H_bEUljE0_EEES10_S11_S12_S19_S1D_S1F_T6_T7_T9_mT8_S1H_bDpT10_ENKUlT_T0_E_clISt17integral_constantIbLb0EES1V_EEDaS1Q_S1R_EUlS1Q_E_NS1_11comp_targetILNS1_3genE8ELNS1_11target_archE1030ELNS1_3gpuE2ELNS1_3repE0EEENS1_30default_config_static_selectorELNS0_4arch9wavefront6targetE0EEEvS13_.num_vgpr, 82
	.set _ZN7rocprim17ROCPRIM_400000_NS6detail17trampoline_kernelINS0_13select_configILj256ELj13ELNS0_17block_load_methodE3ELS4_3ELS4_3ELNS0_20block_scan_algorithmE0ELj4294967295EEENS1_25partition_config_selectorILNS1_17partition_subalgoE4EjNS0_10empty_typeEbEEZZNS1_14partition_implILS8_4ELb0ES6_15HIP_vector_typeIjLj2EENS0_17counting_iteratorIjlEEPS9_SG_NS0_5tupleIJPjSI_NS0_16reverse_iteratorISI_EEEEENSH_IJSG_SG_SG_EEES9_SI_JZNS1_25segmented_radix_sort_implINS0_14default_configELb1EPK12hip_bfloat16PSP_PKlPlN2at6native12_GLOBAL__N_18offset_tEEE10hipError_tPvRmT1_PNSt15iterator_traitsIS13_E10value_typeET2_T3_PNS14_IS19_E10value_typeET4_jRbjT5_S1F_jjP12ihipStream_tbEUljE_ZNSN_ISO_Lb1ESR_SS_SU_SV_SZ_EES10_S11_S12_S13_S17_S18_S19_S1C_S1D_jS1E_jS1F_S1F_jjS1H_bEUljE0_EEES10_S11_S12_S19_S1D_S1F_T6_T7_T9_mT8_S1H_bDpT10_ENKUlT_T0_E_clISt17integral_constantIbLb0EES1V_EEDaS1Q_S1R_EUlS1Q_E_NS1_11comp_targetILNS1_3genE8ELNS1_11target_archE1030ELNS1_3gpuE2ELNS1_3repE0EEENS1_30default_config_static_selectorELNS0_4arch9wavefront6targetE0EEEvS13_.num_agpr, 0
	.set _ZN7rocprim17ROCPRIM_400000_NS6detail17trampoline_kernelINS0_13select_configILj256ELj13ELNS0_17block_load_methodE3ELS4_3ELS4_3ELNS0_20block_scan_algorithmE0ELj4294967295EEENS1_25partition_config_selectorILNS1_17partition_subalgoE4EjNS0_10empty_typeEbEEZZNS1_14partition_implILS8_4ELb0ES6_15HIP_vector_typeIjLj2EENS0_17counting_iteratorIjlEEPS9_SG_NS0_5tupleIJPjSI_NS0_16reverse_iteratorISI_EEEEENSH_IJSG_SG_SG_EEES9_SI_JZNS1_25segmented_radix_sort_implINS0_14default_configELb1EPK12hip_bfloat16PSP_PKlPlN2at6native12_GLOBAL__N_18offset_tEEE10hipError_tPvRmT1_PNSt15iterator_traitsIS13_E10value_typeET2_T3_PNS14_IS19_E10value_typeET4_jRbjT5_S1F_jjP12ihipStream_tbEUljE_ZNSN_ISO_Lb1ESR_SS_SU_SV_SZ_EES10_S11_S12_S13_S17_S18_S19_S1C_S1D_jS1E_jS1F_S1F_jjS1H_bEUljE0_EEES10_S11_S12_S19_S1D_S1F_T6_T7_T9_mT8_S1H_bDpT10_ENKUlT_T0_E_clISt17integral_constantIbLb0EES1V_EEDaS1Q_S1R_EUlS1Q_E_NS1_11comp_targetILNS1_3genE8ELNS1_11target_archE1030ELNS1_3gpuE2ELNS1_3repE0EEENS1_30default_config_static_selectorELNS0_4arch9wavefront6targetE0EEEvS13_.numbered_sgpr, 59
	.set _ZN7rocprim17ROCPRIM_400000_NS6detail17trampoline_kernelINS0_13select_configILj256ELj13ELNS0_17block_load_methodE3ELS4_3ELS4_3ELNS0_20block_scan_algorithmE0ELj4294967295EEENS1_25partition_config_selectorILNS1_17partition_subalgoE4EjNS0_10empty_typeEbEEZZNS1_14partition_implILS8_4ELb0ES6_15HIP_vector_typeIjLj2EENS0_17counting_iteratorIjlEEPS9_SG_NS0_5tupleIJPjSI_NS0_16reverse_iteratorISI_EEEEENSH_IJSG_SG_SG_EEES9_SI_JZNS1_25segmented_radix_sort_implINS0_14default_configELb1EPK12hip_bfloat16PSP_PKlPlN2at6native12_GLOBAL__N_18offset_tEEE10hipError_tPvRmT1_PNSt15iterator_traitsIS13_E10value_typeET2_T3_PNS14_IS19_E10value_typeET4_jRbjT5_S1F_jjP12ihipStream_tbEUljE_ZNSN_ISO_Lb1ESR_SS_SU_SV_SZ_EES10_S11_S12_S13_S17_S18_S19_S1C_S1D_jS1E_jS1F_S1F_jjS1H_bEUljE0_EEES10_S11_S12_S19_S1D_S1F_T6_T7_T9_mT8_S1H_bDpT10_ENKUlT_T0_E_clISt17integral_constantIbLb0EES1V_EEDaS1Q_S1R_EUlS1Q_E_NS1_11comp_targetILNS1_3genE8ELNS1_11target_archE1030ELNS1_3gpuE2ELNS1_3repE0EEENS1_30default_config_static_selectorELNS0_4arch9wavefront6targetE0EEEvS13_.num_named_barrier, 0
	.set _ZN7rocprim17ROCPRIM_400000_NS6detail17trampoline_kernelINS0_13select_configILj256ELj13ELNS0_17block_load_methodE3ELS4_3ELS4_3ELNS0_20block_scan_algorithmE0ELj4294967295EEENS1_25partition_config_selectorILNS1_17partition_subalgoE4EjNS0_10empty_typeEbEEZZNS1_14partition_implILS8_4ELb0ES6_15HIP_vector_typeIjLj2EENS0_17counting_iteratorIjlEEPS9_SG_NS0_5tupleIJPjSI_NS0_16reverse_iteratorISI_EEEEENSH_IJSG_SG_SG_EEES9_SI_JZNS1_25segmented_radix_sort_implINS0_14default_configELb1EPK12hip_bfloat16PSP_PKlPlN2at6native12_GLOBAL__N_18offset_tEEE10hipError_tPvRmT1_PNSt15iterator_traitsIS13_E10value_typeET2_T3_PNS14_IS19_E10value_typeET4_jRbjT5_S1F_jjP12ihipStream_tbEUljE_ZNSN_ISO_Lb1ESR_SS_SU_SV_SZ_EES10_S11_S12_S13_S17_S18_S19_S1C_S1D_jS1E_jS1F_S1F_jjS1H_bEUljE0_EEES10_S11_S12_S19_S1D_S1F_T6_T7_T9_mT8_S1H_bDpT10_ENKUlT_T0_E_clISt17integral_constantIbLb0EES1V_EEDaS1Q_S1R_EUlS1Q_E_NS1_11comp_targetILNS1_3genE8ELNS1_11target_archE1030ELNS1_3gpuE2ELNS1_3repE0EEENS1_30default_config_static_selectorELNS0_4arch9wavefront6targetE0EEEvS13_.private_seg_size, 0
	.set _ZN7rocprim17ROCPRIM_400000_NS6detail17trampoline_kernelINS0_13select_configILj256ELj13ELNS0_17block_load_methodE3ELS4_3ELS4_3ELNS0_20block_scan_algorithmE0ELj4294967295EEENS1_25partition_config_selectorILNS1_17partition_subalgoE4EjNS0_10empty_typeEbEEZZNS1_14partition_implILS8_4ELb0ES6_15HIP_vector_typeIjLj2EENS0_17counting_iteratorIjlEEPS9_SG_NS0_5tupleIJPjSI_NS0_16reverse_iteratorISI_EEEEENSH_IJSG_SG_SG_EEES9_SI_JZNS1_25segmented_radix_sort_implINS0_14default_configELb1EPK12hip_bfloat16PSP_PKlPlN2at6native12_GLOBAL__N_18offset_tEEE10hipError_tPvRmT1_PNSt15iterator_traitsIS13_E10value_typeET2_T3_PNS14_IS19_E10value_typeET4_jRbjT5_S1F_jjP12ihipStream_tbEUljE_ZNSN_ISO_Lb1ESR_SS_SU_SV_SZ_EES10_S11_S12_S13_S17_S18_S19_S1C_S1D_jS1E_jS1F_S1F_jjS1H_bEUljE0_EEES10_S11_S12_S19_S1D_S1F_T6_T7_T9_mT8_S1H_bDpT10_ENKUlT_T0_E_clISt17integral_constantIbLb0EES1V_EEDaS1Q_S1R_EUlS1Q_E_NS1_11comp_targetILNS1_3genE8ELNS1_11target_archE1030ELNS1_3gpuE2ELNS1_3repE0EEENS1_30default_config_static_selectorELNS0_4arch9wavefront6targetE0EEEvS13_.uses_vcc, 1
	.set _ZN7rocprim17ROCPRIM_400000_NS6detail17trampoline_kernelINS0_13select_configILj256ELj13ELNS0_17block_load_methodE3ELS4_3ELS4_3ELNS0_20block_scan_algorithmE0ELj4294967295EEENS1_25partition_config_selectorILNS1_17partition_subalgoE4EjNS0_10empty_typeEbEEZZNS1_14partition_implILS8_4ELb0ES6_15HIP_vector_typeIjLj2EENS0_17counting_iteratorIjlEEPS9_SG_NS0_5tupleIJPjSI_NS0_16reverse_iteratorISI_EEEEENSH_IJSG_SG_SG_EEES9_SI_JZNS1_25segmented_radix_sort_implINS0_14default_configELb1EPK12hip_bfloat16PSP_PKlPlN2at6native12_GLOBAL__N_18offset_tEEE10hipError_tPvRmT1_PNSt15iterator_traitsIS13_E10value_typeET2_T3_PNS14_IS19_E10value_typeET4_jRbjT5_S1F_jjP12ihipStream_tbEUljE_ZNSN_ISO_Lb1ESR_SS_SU_SV_SZ_EES10_S11_S12_S13_S17_S18_S19_S1C_S1D_jS1E_jS1F_S1F_jjS1H_bEUljE0_EEES10_S11_S12_S19_S1D_S1F_T6_T7_T9_mT8_S1H_bDpT10_ENKUlT_T0_E_clISt17integral_constantIbLb0EES1V_EEDaS1Q_S1R_EUlS1Q_E_NS1_11comp_targetILNS1_3genE8ELNS1_11target_archE1030ELNS1_3gpuE2ELNS1_3repE0EEENS1_30default_config_static_selectorELNS0_4arch9wavefront6targetE0EEEvS13_.uses_flat_scratch, 0
	.set _ZN7rocprim17ROCPRIM_400000_NS6detail17trampoline_kernelINS0_13select_configILj256ELj13ELNS0_17block_load_methodE3ELS4_3ELS4_3ELNS0_20block_scan_algorithmE0ELj4294967295EEENS1_25partition_config_selectorILNS1_17partition_subalgoE4EjNS0_10empty_typeEbEEZZNS1_14partition_implILS8_4ELb0ES6_15HIP_vector_typeIjLj2EENS0_17counting_iteratorIjlEEPS9_SG_NS0_5tupleIJPjSI_NS0_16reverse_iteratorISI_EEEEENSH_IJSG_SG_SG_EEES9_SI_JZNS1_25segmented_radix_sort_implINS0_14default_configELb1EPK12hip_bfloat16PSP_PKlPlN2at6native12_GLOBAL__N_18offset_tEEE10hipError_tPvRmT1_PNSt15iterator_traitsIS13_E10value_typeET2_T3_PNS14_IS19_E10value_typeET4_jRbjT5_S1F_jjP12ihipStream_tbEUljE_ZNSN_ISO_Lb1ESR_SS_SU_SV_SZ_EES10_S11_S12_S13_S17_S18_S19_S1C_S1D_jS1E_jS1F_S1F_jjS1H_bEUljE0_EEES10_S11_S12_S19_S1D_S1F_T6_T7_T9_mT8_S1H_bDpT10_ENKUlT_T0_E_clISt17integral_constantIbLb0EES1V_EEDaS1Q_S1R_EUlS1Q_E_NS1_11comp_targetILNS1_3genE8ELNS1_11target_archE1030ELNS1_3gpuE2ELNS1_3repE0EEENS1_30default_config_static_selectorELNS0_4arch9wavefront6targetE0EEEvS13_.has_dyn_sized_stack, 0
	.set _ZN7rocprim17ROCPRIM_400000_NS6detail17trampoline_kernelINS0_13select_configILj256ELj13ELNS0_17block_load_methodE3ELS4_3ELS4_3ELNS0_20block_scan_algorithmE0ELj4294967295EEENS1_25partition_config_selectorILNS1_17partition_subalgoE4EjNS0_10empty_typeEbEEZZNS1_14partition_implILS8_4ELb0ES6_15HIP_vector_typeIjLj2EENS0_17counting_iteratorIjlEEPS9_SG_NS0_5tupleIJPjSI_NS0_16reverse_iteratorISI_EEEEENSH_IJSG_SG_SG_EEES9_SI_JZNS1_25segmented_radix_sort_implINS0_14default_configELb1EPK12hip_bfloat16PSP_PKlPlN2at6native12_GLOBAL__N_18offset_tEEE10hipError_tPvRmT1_PNSt15iterator_traitsIS13_E10value_typeET2_T3_PNS14_IS19_E10value_typeET4_jRbjT5_S1F_jjP12ihipStream_tbEUljE_ZNSN_ISO_Lb1ESR_SS_SU_SV_SZ_EES10_S11_S12_S13_S17_S18_S19_S1C_S1D_jS1E_jS1F_S1F_jjS1H_bEUljE0_EEES10_S11_S12_S19_S1D_S1F_T6_T7_T9_mT8_S1H_bDpT10_ENKUlT_T0_E_clISt17integral_constantIbLb0EES1V_EEDaS1Q_S1R_EUlS1Q_E_NS1_11comp_targetILNS1_3genE8ELNS1_11target_archE1030ELNS1_3gpuE2ELNS1_3repE0EEENS1_30default_config_static_selectorELNS0_4arch9wavefront6targetE0EEEvS13_.has_recursion, 0
	.set _ZN7rocprim17ROCPRIM_400000_NS6detail17trampoline_kernelINS0_13select_configILj256ELj13ELNS0_17block_load_methodE3ELS4_3ELS4_3ELNS0_20block_scan_algorithmE0ELj4294967295EEENS1_25partition_config_selectorILNS1_17partition_subalgoE4EjNS0_10empty_typeEbEEZZNS1_14partition_implILS8_4ELb0ES6_15HIP_vector_typeIjLj2EENS0_17counting_iteratorIjlEEPS9_SG_NS0_5tupleIJPjSI_NS0_16reverse_iteratorISI_EEEEENSH_IJSG_SG_SG_EEES9_SI_JZNS1_25segmented_radix_sort_implINS0_14default_configELb1EPK12hip_bfloat16PSP_PKlPlN2at6native12_GLOBAL__N_18offset_tEEE10hipError_tPvRmT1_PNSt15iterator_traitsIS13_E10value_typeET2_T3_PNS14_IS19_E10value_typeET4_jRbjT5_S1F_jjP12ihipStream_tbEUljE_ZNSN_ISO_Lb1ESR_SS_SU_SV_SZ_EES10_S11_S12_S13_S17_S18_S19_S1C_S1D_jS1E_jS1F_S1F_jjS1H_bEUljE0_EEES10_S11_S12_S19_S1D_S1F_T6_T7_T9_mT8_S1H_bDpT10_ENKUlT_T0_E_clISt17integral_constantIbLb0EES1V_EEDaS1Q_S1R_EUlS1Q_E_NS1_11comp_targetILNS1_3genE8ELNS1_11target_archE1030ELNS1_3gpuE2ELNS1_3repE0EEENS1_30default_config_static_selectorELNS0_4arch9wavefront6targetE0EEEvS13_.has_indirect_call, 0
	.section	.AMDGPU.csdata,"",@progbits
; Kernel info:
; codeLenInByte = 16236
; TotalNumSgprs: 61
; NumVgprs: 82
; ScratchSize: 0
; MemoryBound: 0
; FloatMode: 240
; IeeeMode: 1
; LDSByteSize: 13328 bytes/workgroup (compile time only)
; SGPRBlocks: 0
; VGPRBlocks: 10
; NumSGPRsForWavesPerEU: 61
; NumVGPRsForWavesPerEU: 82
; Occupancy: 10
; WaveLimiterHint : 1
; COMPUTE_PGM_RSRC2:SCRATCH_EN: 0
; COMPUTE_PGM_RSRC2:USER_SGPR: 6
; COMPUTE_PGM_RSRC2:TRAP_HANDLER: 0
; COMPUTE_PGM_RSRC2:TGID_X_EN: 1
; COMPUTE_PGM_RSRC2:TGID_Y_EN: 0
; COMPUTE_PGM_RSRC2:TGID_Z_EN: 0
; COMPUTE_PGM_RSRC2:TIDIG_COMP_CNT: 0
	.section	.text._ZN7rocprim17ROCPRIM_400000_NS6detail17trampoline_kernelINS0_13select_configILj256ELj13ELNS0_17block_load_methodE3ELS4_3ELS4_3ELNS0_20block_scan_algorithmE0ELj4294967295EEENS1_25partition_config_selectorILNS1_17partition_subalgoE4EjNS0_10empty_typeEbEEZZNS1_14partition_implILS8_4ELb0ES6_15HIP_vector_typeIjLj2EENS0_17counting_iteratorIjlEEPS9_SG_NS0_5tupleIJPjSI_NS0_16reverse_iteratorISI_EEEEENSH_IJSG_SG_SG_EEES9_SI_JZNS1_25segmented_radix_sort_implINS0_14default_configELb1EPK12hip_bfloat16PSP_PKlPlN2at6native12_GLOBAL__N_18offset_tEEE10hipError_tPvRmT1_PNSt15iterator_traitsIS13_E10value_typeET2_T3_PNS14_IS19_E10value_typeET4_jRbjT5_S1F_jjP12ihipStream_tbEUljE_ZNSN_ISO_Lb1ESR_SS_SU_SV_SZ_EES10_S11_S12_S13_S17_S18_S19_S1C_S1D_jS1E_jS1F_S1F_jjS1H_bEUljE0_EEES10_S11_S12_S19_S1D_S1F_T6_T7_T9_mT8_S1H_bDpT10_ENKUlT_T0_E_clISt17integral_constantIbLb1EES1V_EEDaS1Q_S1R_EUlS1Q_E_NS1_11comp_targetILNS1_3genE0ELNS1_11target_archE4294967295ELNS1_3gpuE0ELNS1_3repE0EEENS1_30default_config_static_selectorELNS0_4arch9wavefront6targetE0EEEvS13_,"axG",@progbits,_ZN7rocprim17ROCPRIM_400000_NS6detail17trampoline_kernelINS0_13select_configILj256ELj13ELNS0_17block_load_methodE3ELS4_3ELS4_3ELNS0_20block_scan_algorithmE0ELj4294967295EEENS1_25partition_config_selectorILNS1_17partition_subalgoE4EjNS0_10empty_typeEbEEZZNS1_14partition_implILS8_4ELb0ES6_15HIP_vector_typeIjLj2EENS0_17counting_iteratorIjlEEPS9_SG_NS0_5tupleIJPjSI_NS0_16reverse_iteratorISI_EEEEENSH_IJSG_SG_SG_EEES9_SI_JZNS1_25segmented_radix_sort_implINS0_14default_configELb1EPK12hip_bfloat16PSP_PKlPlN2at6native12_GLOBAL__N_18offset_tEEE10hipError_tPvRmT1_PNSt15iterator_traitsIS13_E10value_typeET2_T3_PNS14_IS19_E10value_typeET4_jRbjT5_S1F_jjP12ihipStream_tbEUljE_ZNSN_ISO_Lb1ESR_SS_SU_SV_SZ_EES10_S11_S12_S13_S17_S18_S19_S1C_S1D_jS1E_jS1F_S1F_jjS1H_bEUljE0_EEES10_S11_S12_S19_S1D_S1F_T6_T7_T9_mT8_S1H_bDpT10_ENKUlT_T0_E_clISt17integral_constantIbLb1EES1V_EEDaS1Q_S1R_EUlS1Q_E_NS1_11comp_targetILNS1_3genE0ELNS1_11target_archE4294967295ELNS1_3gpuE0ELNS1_3repE0EEENS1_30default_config_static_selectorELNS0_4arch9wavefront6targetE0EEEvS13_,comdat
	.globl	_ZN7rocprim17ROCPRIM_400000_NS6detail17trampoline_kernelINS0_13select_configILj256ELj13ELNS0_17block_load_methodE3ELS4_3ELS4_3ELNS0_20block_scan_algorithmE0ELj4294967295EEENS1_25partition_config_selectorILNS1_17partition_subalgoE4EjNS0_10empty_typeEbEEZZNS1_14partition_implILS8_4ELb0ES6_15HIP_vector_typeIjLj2EENS0_17counting_iteratorIjlEEPS9_SG_NS0_5tupleIJPjSI_NS0_16reverse_iteratorISI_EEEEENSH_IJSG_SG_SG_EEES9_SI_JZNS1_25segmented_radix_sort_implINS0_14default_configELb1EPK12hip_bfloat16PSP_PKlPlN2at6native12_GLOBAL__N_18offset_tEEE10hipError_tPvRmT1_PNSt15iterator_traitsIS13_E10value_typeET2_T3_PNS14_IS19_E10value_typeET4_jRbjT5_S1F_jjP12ihipStream_tbEUljE_ZNSN_ISO_Lb1ESR_SS_SU_SV_SZ_EES10_S11_S12_S13_S17_S18_S19_S1C_S1D_jS1E_jS1F_S1F_jjS1H_bEUljE0_EEES10_S11_S12_S19_S1D_S1F_T6_T7_T9_mT8_S1H_bDpT10_ENKUlT_T0_E_clISt17integral_constantIbLb1EES1V_EEDaS1Q_S1R_EUlS1Q_E_NS1_11comp_targetILNS1_3genE0ELNS1_11target_archE4294967295ELNS1_3gpuE0ELNS1_3repE0EEENS1_30default_config_static_selectorELNS0_4arch9wavefront6targetE0EEEvS13_ ; -- Begin function _ZN7rocprim17ROCPRIM_400000_NS6detail17trampoline_kernelINS0_13select_configILj256ELj13ELNS0_17block_load_methodE3ELS4_3ELS4_3ELNS0_20block_scan_algorithmE0ELj4294967295EEENS1_25partition_config_selectorILNS1_17partition_subalgoE4EjNS0_10empty_typeEbEEZZNS1_14partition_implILS8_4ELb0ES6_15HIP_vector_typeIjLj2EENS0_17counting_iteratorIjlEEPS9_SG_NS0_5tupleIJPjSI_NS0_16reverse_iteratorISI_EEEEENSH_IJSG_SG_SG_EEES9_SI_JZNS1_25segmented_radix_sort_implINS0_14default_configELb1EPK12hip_bfloat16PSP_PKlPlN2at6native12_GLOBAL__N_18offset_tEEE10hipError_tPvRmT1_PNSt15iterator_traitsIS13_E10value_typeET2_T3_PNS14_IS19_E10value_typeET4_jRbjT5_S1F_jjP12ihipStream_tbEUljE_ZNSN_ISO_Lb1ESR_SS_SU_SV_SZ_EES10_S11_S12_S13_S17_S18_S19_S1C_S1D_jS1E_jS1F_S1F_jjS1H_bEUljE0_EEES10_S11_S12_S19_S1D_S1F_T6_T7_T9_mT8_S1H_bDpT10_ENKUlT_T0_E_clISt17integral_constantIbLb1EES1V_EEDaS1Q_S1R_EUlS1Q_E_NS1_11comp_targetILNS1_3genE0ELNS1_11target_archE4294967295ELNS1_3gpuE0ELNS1_3repE0EEENS1_30default_config_static_selectorELNS0_4arch9wavefront6targetE0EEEvS13_
	.p2align	8
	.type	_ZN7rocprim17ROCPRIM_400000_NS6detail17trampoline_kernelINS0_13select_configILj256ELj13ELNS0_17block_load_methodE3ELS4_3ELS4_3ELNS0_20block_scan_algorithmE0ELj4294967295EEENS1_25partition_config_selectorILNS1_17partition_subalgoE4EjNS0_10empty_typeEbEEZZNS1_14partition_implILS8_4ELb0ES6_15HIP_vector_typeIjLj2EENS0_17counting_iteratorIjlEEPS9_SG_NS0_5tupleIJPjSI_NS0_16reverse_iteratorISI_EEEEENSH_IJSG_SG_SG_EEES9_SI_JZNS1_25segmented_radix_sort_implINS0_14default_configELb1EPK12hip_bfloat16PSP_PKlPlN2at6native12_GLOBAL__N_18offset_tEEE10hipError_tPvRmT1_PNSt15iterator_traitsIS13_E10value_typeET2_T3_PNS14_IS19_E10value_typeET4_jRbjT5_S1F_jjP12ihipStream_tbEUljE_ZNSN_ISO_Lb1ESR_SS_SU_SV_SZ_EES10_S11_S12_S13_S17_S18_S19_S1C_S1D_jS1E_jS1F_S1F_jjS1H_bEUljE0_EEES10_S11_S12_S19_S1D_S1F_T6_T7_T9_mT8_S1H_bDpT10_ENKUlT_T0_E_clISt17integral_constantIbLb1EES1V_EEDaS1Q_S1R_EUlS1Q_E_NS1_11comp_targetILNS1_3genE0ELNS1_11target_archE4294967295ELNS1_3gpuE0ELNS1_3repE0EEENS1_30default_config_static_selectorELNS0_4arch9wavefront6targetE0EEEvS13_,@function
_ZN7rocprim17ROCPRIM_400000_NS6detail17trampoline_kernelINS0_13select_configILj256ELj13ELNS0_17block_load_methodE3ELS4_3ELS4_3ELNS0_20block_scan_algorithmE0ELj4294967295EEENS1_25partition_config_selectorILNS1_17partition_subalgoE4EjNS0_10empty_typeEbEEZZNS1_14partition_implILS8_4ELb0ES6_15HIP_vector_typeIjLj2EENS0_17counting_iteratorIjlEEPS9_SG_NS0_5tupleIJPjSI_NS0_16reverse_iteratorISI_EEEEENSH_IJSG_SG_SG_EEES9_SI_JZNS1_25segmented_radix_sort_implINS0_14default_configELb1EPK12hip_bfloat16PSP_PKlPlN2at6native12_GLOBAL__N_18offset_tEEE10hipError_tPvRmT1_PNSt15iterator_traitsIS13_E10value_typeET2_T3_PNS14_IS19_E10value_typeET4_jRbjT5_S1F_jjP12ihipStream_tbEUljE_ZNSN_ISO_Lb1ESR_SS_SU_SV_SZ_EES10_S11_S12_S13_S17_S18_S19_S1C_S1D_jS1E_jS1F_S1F_jjS1H_bEUljE0_EEES10_S11_S12_S19_S1D_S1F_T6_T7_T9_mT8_S1H_bDpT10_ENKUlT_T0_E_clISt17integral_constantIbLb1EES1V_EEDaS1Q_S1R_EUlS1Q_E_NS1_11comp_targetILNS1_3genE0ELNS1_11target_archE4294967295ELNS1_3gpuE0ELNS1_3repE0EEENS1_30default_config_static_selectorELNS0_4arch9wavefront6targetE0EEEvS13_: ; @_ZN7rocprim17ROCPRIM_400000_NS6detail17trampoline_kernelINS0_13select_configILj256ELj13ELNS0_17block_load_methodE3ELS4_3ELS4_3ELNS0_20block_scan_algorithmE0ELj4294967295EEENS1_25partition_config_selectorILNS1_17partition_subalgoE4EjNS0_10empty_typeEbEEZZNS1_14partition_implILS8_4ELb0ES6_15HIP_vector_typeIjLj2EENS0_17counting_iteratorIjlEEPS9_SG_NS0_5tupleIJPjSI_NS0_16reverse_iteratorISI_EEEEENSH_IJSG_SG_SG_EEES9_SI_JZNS1_25segmented_radix_sort_implINS0_14default_configELb1EPK12hip_bfloat16PSP_PKlPlN2at6native12_GLOBAL__N_18offset_tEEE10hipError_tPvRmT1_PNSt15iterator_traitsIS13_E10value_typeET2_T3_PNS14_IS19_E10value_typeET4_jRbjT5_S1F_jjP12ihipStream_tbEUljE_ZNSN_ISO_Lb1ESR_SS_SU_SV_SZ_EES10_S11_S12_S13_S17_S18_S19_S1C_S1D_jS1E_jS1F_S1F_jjS1H_bEUljE0_EEES10_S11_S12_S19_S1D_S1F_T6_T7_T9_mT8_S1H_bDpT10_ENKUlT_T0_E_clISt17integral_constantIbLb1EES1V_EEDaS1Q_S1R_EUlS1Q_E_NS1_11comp_targetILNS1_3genE0ELNS1_11target_archE4294967295ELNS1_3gpuE0ELNS1_3repE0EEENS1_30default_config_static_selectorELNS0_4arch9wavefront6targetE0EEEvS13_
; %bb.0:
	.section	.rodata,"a",@progbits
	.p2align	6, 0x0
	.amdhsa_kernel _ZN7rocprim17ROCPRIM_400000_NS6detail17trampoline_kernelINS0_13select_configILj256ELj13ELNS0_17block_load_methodE3ELS4_3ELS4_3ELNS0_20block_scan_algorithmE0ELj4294967295EEENS1_25partition_config_selectorILNS1_17partition_subalgoE4EjNS0_10empty_typeEbEEZZNS1_14partition_implILS8_4ELb0ES6_15HIP_vector_typeIjLj2EENS0_17counting_iteratorIjlEEPS9_SG_NS0_5tupleIJPjSI_NS0_16reverse_iteratorISI_EEEEENSH_IJSG_SG_SG_EEES9_SI_JZNS1_25segmented_radix_sort_implINS0_14default_configELb1EPK12hip_bfloat16PSP_PKlPlN2at6native12_GLOBAL__N_18offset_tEEE10hipError_tPvRmT1_PNSt15iterator_traitsIS13_E10value_typeET2_T3_PNS14_IS19_E10value_typeET4_jRbjT5_S1F_jjP12ihipStream_tbEUljE_ZNSN_ISO_Lb1ESR_SS_SU_SV_SZ_EES10_S11_S12_S13_S17_S18_S19_S1C_S1D_jS1E_jS1F_S1F_jjS1H_bEUljE0_EEES10_S11_S12_S19_S1D_S1F_T6_T7_T9_mT8_S1H_bDpT10_ENKUlT_T0_E_clISt17integral_constantIbLb1EES1V_EEDaS1Q_S1R_EUlS1Q_E_NS1_11comp_targetILNS1_3genE0ELNS1_11target_archE4294967295ELNS1_3gpuE0ELNS1_3repE0EEENS1_30default_config_static_selectorELNS0_4arch9wavefront6targetE0EEEvS13_
		.amdhsa_group_segment_fixed_size 0
		.amdhsa_private_segment_fixed_size 0
		.amdhsa_kernarg_size 184
		.amdhsa_user_sgpr_count 6
		.amdhsa_user_sgpr_private_segment_buffer 1
		.amdhsa_user_sgpr_dispatch_ptr 0
		.amdhsa_user_sgpr_queue_ptr 0
		.amdhsa_user_sgpr_kernarg_segment_ptr 1
		.amdhsa_user_sgpr_dispatch_id 0
		.amdhsa_user_sgpr_flat_scratch_init 0
		.amdhsa_user_sgpr_private_segment_size 0
		.amdhsa_wavefront_size32 1
		.amdhsa_uses_dynamic_stack 0
		.amdhsa_system_sgpr_private_segment_wavefront_offset 0
		.amdhsa_system_sgpr_workgroup_id_x 1
		.amdhsa_system_sgpr_workgroup_id_y 0
		.amdhsa_system_sgpr_workgroup_id_z 0
		.amdhsa_system_sgpr_workgroup_info 0
		.amdhsa_system_vgpr_workitem_id 0
		.amdhsa_next_free_vgpr 1
		.amdhsa_next_free_sgpr 1
		.amdhsa_reserve_vcc 0
		.amdhsa_reserve_flat_scratch 0
		.amdhsa_float_round_mode_32 0
		.amdhsa_float_round_mode_16_64 0
		.amdhsa_float_denorm_mode_32 3
		.amdhsa_float_denorm_mode_16_64 3
		.amdhsa_dx10_clamp 1
		.amdhsa_ieee_mode 1
		.amdhsa_fp16_overflow 0
		.amdhsa_workgroup_processor_mode 1
		.amdhsa_memory_ordered 1
		.amdhsa_forward_progress 1
		.amdhsa_shared_vgpr_count 0
		.amdhsa_exception_fp_ieee_invalid_op 0
		.amdhsa_exception_fp_denorm_src 0
		.amdhsa_exception_fp_ieee_div_zero 0
		.amdhsa_exception_fp_ieee_overflow 0
		.amdhsa_exception_fp_ieee_underflow 0
		.amdhsa_exception_fp_ieee_inexact 0
		.amdhsa_exception_int_div_zero 0
	.end_amdhsa_kernel
	.section	.text._ZN7rocprim17ROCPRIM_400000_NS6detail17trampoline_kernelINS0_13select_configILj256ELj13ELNS0_17block_load_methodE3ELS4_3ELS4_3ELNS0_20block_scan_algorithmE0ELj4294967295EEENS1_25partition_config_selectorILNS1_17partition_subalgoE4EjNS0_10empty_typeEbEEZZNS1_14partition_implILS8_4ELb0ES6_15HIP_vector_typeIjLj2EENS0_17counting_iteratorIjlEEPS9_SG_NS0_5tupleIJPjSI_NS0_16reverse_iteratorISI_EEEEENSH_IJSG_SG_SG_EEES9_SI_JZNS1_25segmented_radix_sort_implINS0_14default_configELb1EPK12hip_bfloat16PSP_PKlPlN2at6native12_GLOBAL__N_18offset_tEEE10hipError_tPvRmT1_PNSt15iterator_traitsIS13_E10value_typeET2_T3_PNS14_IS19_E10value_typeET4_jRbjT5_S1F_jjP12ihipStream_tbEUljE_ZNSN_ISO_Lb1ESR_SS_SU_SV_SZ_EES10_S11_S12_S13_S17_S18_S19_S1C_S1D_jS1E_jS1F_S1F_jjS1H_bEUljE0_EEES10_S11_S12_S19_S1D_S1F_T6_T7_T9_mT8_S1H_bDpT10_ENKUlT_T0_E_clISt17integral_constantIbLb1EES1V_EEDaS1Q_S1R_EUlS1Q_E_NS1_11comp_targetILNS1_3genE0ELNS1_11target_archE4294967295ELNS1_3gpuE0ELNS1_3repE0EEENS1_30default_config_static_selectorELNS0_4arch9wavefront6targetE0EEEvS13_,"axG",@progbits,_ZN7rocprim17ROCPRIM_400000_NS6detail17trampoline_kernelINS0_13select_configILj256ELj13ELNS0_17block_load_methodE3ELS4_3ELS4_3ELNS0_20block_scan_algorithmE0ELj4294967295EEENS1_25partition_config_selectorILNS1_17partition_subalgoE4EjNS0_10empty_typeEbEEZZNS1_14partition_implILS8_4ELb0ES6_15HIP_vector_typeIjLj2EENS0_17counting_iteratorIjlEEPS9_SG_NS0_5tupleIJPjSI_NS0_16reverse_iteratorISI_EEEEENSH_IJSG_SG_SG_EEES9_SI_JZNS1_25segmented_radix_sort_implINS0_14default_configELb1EPK12hip_bfloat16PSP_PKlPlN2at6native12_GLOBAL__N_18offset_tEEE10hipError_tPvRmT1_PNSt15iterator_traitsIS13_E10value_typeET2_T3_PNS14_IS19_E10value_typeET4_jRbjT5_S1F_jjP12ihipStream_tbEUljE_ZNSN_ISO_Lb1ESR_SS_SU_SV_SZ_EES10_S11_S12_S13_S17_S18_S19_S1C_S1D_jS1E_jS1F_S1F_jjS1H_bEUljE0_EEES10_S11_S12_S19_S1D_S1F_T6_T7_T9_mT8_S1H_bDpT10_ENKUlT_T0_E_clISt17integral_constantIbLb1EES1V_EEDaS1Q_S1R_EUlS1Q_E_NS1_11comp_targetILNS1_3genE0ELNS1_11target_archE4294967295ELNS1_3gpuE0ELNS1_3repE0EEENS1_30default_config_static_selectorELNS0_4arch9wavefront6targetE0EEEvS13_,comdat
.Lfunc_end1880:
	.size	_ZN7rocprim17ROCPRIM_400000_NS6detail17trampoline_kernelINS0_13select_configILj256ELj13ELNS0_17block_load_methodE3ELS4_3ELS4_3ELNS0_20block_scan_algorithmE0ELj4294967295EEENS1_25partition_config_selectorILNS1_17partition_subalgoE4EjNS0_10empty_typeEbEEZZNS1_14partition_implILS8_4ELb0ES6_15HIP_vector_typeIjLj2EENS0_17counting_iteratorIjlEEPS9_SG_NS0_5tupleIJPjSI_NS0_16reverse_iteratorISI_EEEEENSH_IJSG_SG_SG_EEES9_SI_JZNS1_25segmented_radix_sort_implINS0_14default_configELb1EPK12hip_bfloat16PSP_PKlPlN2at6native12_GLOBAL__N_18offset_tEEE10hipError_tPvRmT1_PNSt15iterator_traitsIS13_E10value_typeET2_T3_PNS14_IS19_E10value_typeET4_jRbjT5_S1F_jjP12ihipStream_tbEUljE_ZNSN_ISO_Lb1ESR_SS_SU_SV_SZ_EES10_S11_S12_S13_S17_S18_S19_S1C_S1D_jS1E_jS1F_S1F_jjS1H_bEUljE0_EEES10_S11_S12_S19_S1D_S1F_T6_T7_T9_mT8_S1H_bDpT10_ENKUlT_T0_E_clISt17integral_constantIbLb1EES1V_EEDaS1Q_S1R_EUlS1Q_E_NS1_11comp_targetILNS1_3genE0ELNS1_11target_archE4294967295ELNS1_3gpuE0ELNS1_3repE0EEENS1_30default_config_static_selectorELNS0_4arch9wavefront6targetE0EEEvS13_, .Lfunc_end1880-_ZN7rocprim17ROCPRIM_400000_NS6detail17trampoline_kernelINS0_13select_configILj256ELj13ELNS0_17block_load_methodE3ELS4_3ELS4_3ELNS0_20block_scan_algorithmE0ELj4294967295EEENS1_25partition_config_selectorILNS1_17partition_subalgoE4EjNS0_10empty_typeEbEEZZNS1_14partition_implILS8_4ELb0ES6_15HIP_vector_typeIjLj2EENS0_17counting_iteratorIjlEEPS9_SG_NS0_5tupleIJPjSI_NS0_16reverse_iteratorISI_EEEEENSH_IJSG_SG_SG_EEES9_SI_JZNS1_25segmented_radix_sort_implINS0_14default_configELb1EPK12hip_bfloat16PSP_PKlPlN2at6native12_GLOBAL__N_18offset_tEEE10hipError_tPvRmT1_PNSt15iterator_traitsIS13_E10value_typeET2_T3_PNS14_IS19_E10value_typeET4_jRbjT5_S1F_jjP12ihipStream_tbEUljE_ZNSN_ISO_Lb1ESR_SS_SU_SV_SZ_EES10_S11_S12_S13_S17_S18_S19_S1C_S1D_jS1E_jS1F_S1F_jjS1H_bEUljE0_EEES10_S11_S12_S19_S1D_S1F_T6_T7_T9_mT8_S1H_bDpT10_ENKUlT_T0_E_clISt17integral_constantIbLb1EES1V_EEDaS1Q_S1R_EUlS1Q_E_NS1_11comp_targetILNS1_3genE0ELNS1_11target_archE4294967295ELNS1_3gpuE0ELNS1_3repE0EEENS1_30default_config_static_selectorELNS0_4arch9wavefront6targetE0EEEvS13_
                                        ; -- End function
	.set _ZN7rocprim17ROCPRIM_400000_NS6detail17trampoline_kernelINS0_13select_configILj256ELj13ELNS0_17block_load_methodE3ELS4_3ELS4_3ELNS0_20block_scan_algorithmE0ELj4294967295EEENS1_25partition_config_selectorILNS1_17partition_subalgoE4EjNS0_10empty_typeEbEEZZNS1_14partition_implILS8_4ELb0ES6_15HIP_vector_typeIjLj2EENS0_17counting_iteratorIjlEEPS9_SG_NS0_5tupleIJPjSI_NS0_16reverse_iteratorISI_EEEEENSH_IJSG_SG_SG_EEES9_SI_JZNS1_25segmented_radix_sort_implINS0_14default_configELb1EPK12hip_bfloat16PSP_PKlPlN2at6native12_GLOBAL__N_18offset_tEEE10hipError_tPvRmT1_PNSt15iterator_traitsIS13_E10value_typeET2_T3_PNS14_IS19_E10value_typeET4_jRbjT5_S1F_jjP12ihipStream_tbEUljE_ZNSN_ISO_Lb1ESR_SS_SU_SV_SZ_EES10_S11_S12_S13_S17_S18_S19_S1C_S1D_jS1E_jS1F_S1F_jjS1H_bEUljE0_EEES10_S11_S12_S19_S1D_S1F_T6_T7_T9_mT8_S1H_bDpT10_ENKUlT_T0_E_clISt17integral_constantIbLb1EES1V_EEDaS1Q_S1R_EUlS1Q_E_NS1_11comp_targetILNS1_3genE0ELNS1_11target_archE4294967295ELNS1_3gpuE0ELNS1_3repE0EEENS1_30default_config_static_selectorELNS0_4arch9wavefront6targetE0EEEvS13_.num_vgpr, 0
	.set _ZN7rocprim17ROCPRIM_400000_NS6detail17trampoline_kernelINS0_13select_configILj256ELj13ELNS0_17block_load_methodE3ELS4_3ELS4_3ELNS0_20block_scan_algorithmE0ELj4294967295EEENS1_25partition_config_selectorILNS1_17partition_subalgoE4EjNS0_10empty_typeEbEEZZNS1_14partition_implILS8_4ELb0ES6_15HIP_vector_typeIjLj2EENS0_17counting_iteratorIjlEEPS9_SG_NS0_5tupleIJPjSI_NS0_16reverse_iteratorISI_EEEEENSH_IJSG_SG_SG_EEES9_SI_JZNS1_25segmented_radix_sort_implINS0_14default_configELb1EPK12hip_bfloat16PSP_PKlPlN2at6native12_GLOBAL__N_18offset_tEEE10hipError_tPvRmT1_PNSt15iterator_traitsIS13_E10value_typeET2_T3_PNS14_IS19_E10value_typeET4_jRbjT5_S1F_jjP12ihipStream_tbEUljE_ZNSN_ISO_Lb1ESR_SS_SU_SV_SZ_EES10_S11_S12_S13_S17_S18_S19_S1C_S1D_jS1E_jS1F_S1F_jjS1H_bEUljE0_EEES10_S11_S12_S19_S1D_S1F_T6_T7_T9_mT8_S1H_bDpT10_ENKUlT_T0_E_clISt17integral_constantIbLb1EES1V_EEDaS1Q_S1R_EUlS1Q_E_NS1_11comp_targetILNS1_3genE0ELNS1_11target_archE4294967295ELNS1_3gpuE0ELNS1_3repE0EEENS1_30default_config_static_selectorELNS0_4arch9wavefront6targetE0EEEvS13_.num_agpr, 0
	.set _ZN7rocprim17ROCPRIM_400000_NS6detail17trampoline_kernelINS0_13select_configILj256ELj13ELNS0_17block_load_methodE3ELS4_3ELS4_3ELNS0_20block_scan_algorithmE0ELj4294967295EEENS1_25partition_config_selectorILNS1_17partition_subalgoE4EjNS0_10empty_typeEbEEZZNS1_14partition_implILS8_4ELb0ES6_15HIP_vector_typeIjLj2EENS0_17counting_iteratorIjlEEPS9_SG_NS0_5tupleIJPjSI_NS0_16reverse_iteratorISI_EEEEENSH_IJSG_SG_SG_EEES9_SI_JZNS1_25segmented_radix_sort_implINS0_14default_configELb1EPK12hip_bfloat16PSP_PKlPlN2at6native12_GLOBAL__N_18offset_tEEE10hipError_tPvRmT1_PNSt15iterator_traitsIS13_E10value_typeET2_T3_PNS14_IS19_E10value_typeET4_jRbjT5_S1F_jjP12ihipStream_tbEUljE_ZNSN_ISO_Lb1ESR_SS_SU_SV_SZ_EES10_S11_S12_S13_S17_S18_S19_S1C_S1D_jS1E_jS1F_S1F_jjS1H_bEUljE0_EEES10_S11_S12_S19_S1D_S1F_T6_T7_T9_mT8_S1H_bDpT10_ENKUlT_T0_E_clISt17integral_constantIbLb1EES1V_EEDaS1Q_S1R_EUlS1Q_E_NS1_11comp_targetILNS1_3genE0ELNS1_11target_archE4294967295ELNS1_3gpuE0ELNS1_3repE0EEENS1_30default_config_static_selectorELNS0_4arch9wavefront6targetE0EEEvS13_.numbered_sgpr, 0
	.set _ZN7rocprim17ROCPRIM_400000_NS6detail17trampoline_kernelINS0_13select_configILj256ELj13ELNS0_17block_load_methodE3ELS4_3ELS4_3ELNS0_20block_scan_algorithmE0ELj4294967295EEENS1_25partition_config_selectorILNS1_17partition_subalgoE4EjNS0_10empty_typeEbEEZZNS1_14partition_implILS8_4ELb0ES6_15HIP_vector_typeIjLj2EENS0_17counting_iteratorIjlEEPS9_SG_NS0_5tupleIJPjSI_NS0_16reverse_iteratorISI_EEEEENSH_IJSG_SG_SG_EEES9_SI_JZNS1_25segmented_radix_sort_implINS0_14default_configELb1EPK12hip_bfloat16PSP_PKlPlN2at6native12_GLOBAL__N_18offset_tEEE10hipError_tPvRmT1_PNSt15iterator_traitsIS13_E10value_typeET2_T3_PNS14_IS19_E10value_typeET4_jRbjT5_S1F_jjP12ihipStream_tbEUljE_ZNSN_ISO_Lb1ESR_SS_SU_SV_SZ_EES10_S11_S12_S13_S17_S18_S19_S1C_S1D_jS1E_jS1F_S1F_jjS1H_bEUljE0_EEES10_S11_S12_S19_S1D_S1F_T6_T7_T9_mT8_S1H_bDpT10_ENKUlT_T0_E_clISt17integral_constantIbLb1EES1V_EEDaS1Q_S1R_EUlS1Q_E_NS1_11comp_targetILNS1_3genE0ELNS1_11target_archE4294967295ELNS1_3gpuE0ELNS1_3repE0EEENS1_30default_config_static_selectorELNS0_4arch9wavefront6targetE0EEEvS13_.num_named_barrier, 0
	.set _ZN7rocprim17ROCPRIM_400000_NS6detail17trampoline_kernelINS0_13select_configILj256ELj13ELNS0_17block_load_methodE3ELS4_3ELS4_3ELNS0_20block_scan_algorithmE0ELj4294967295EEENS1_25partition_config_selectorILNS1_17partition_subalgoE4EjNS0_10empty_typeEbEEZZNS1_14partition_implILS8_4ELb0ES6_15HIP_vector_typeIjLj2EENS0_17counting_iteratorIjlEEPS9_SG_NS0_5tupleIJPjSI_NS0_16reverse_iteratorISI_EEEEENSH_IJSG_SG_SG_EEES9_SI_JZNS1_25segmented_radix_sort_implINS0_14default_configELb1EPK12hip_bfloat16PSP_PKlPlN2at6native12_GLOBAL__N_18offset_tEEE10hipError_tPvRmT1_PNSt15iterator_traitsIS13_E10value_typeET2_T3_PNS14_IS19_E10value_typeET4_jRbjT5_S1F_jjP12ihipStream_tbEUljE_ZNSN_ISO_Lb1ESR_SS_SU_SV_SZ_EES10_S11_S12_S13_S17_S18_S19_S1C_S1D_jS1E_jS1F_S1F_jjS1H_bEUljE0_EEES10_S11_S12_S19_S1D_S1F_T6_T7_T9_mT8_S1H_bDpT10_ENKUlT_T0_E_clISt17integral_constantIbLb1EES1V_EEDaS1Q_S1R_EUlS1Q_E_NS1_11comp_targetILNS1_3genE0ELNS1_11target_archE4294967295ELNS1_3gpuE0ELNS1_3repE0EEENS1_30default_config_static_selectorELNS0_4arch9wavefront6targetE0EEEvS13_.private_seg_size, 0
	.set _ZN7rocprim17ROCPRIM_400000_NS6detail17trampoline_kernelINS0_13select_configILj256ELj13ELNS0_17block_load_methodE3ELS4_3ELS4_3ELNS0_20block_scan_algorithmE0ELj4294967295EEENS1_25partition_config_selectorILNS1_17partition_subalgoE4EjNS0_10empty_typeEbEEZZNS1_14partition_implILS8_4ELb0ES6_15HIP_vector_typeIjLj2EENS0_17counting_iteratorIjlEEPS9_SG_NS0_5tupleIJPjSI_NS0_16reverse_iteratorISI_EEEEENSH_IJSG_SG_SG_EEES9_SI_JZNS1_25segmented_radix_sort_implINS0_14default_configELb1EPK12hip_bfloat16PSP_PKlPlN2at6native12_GLOBAL__N_18offset_tEEE10hipError_tPvRmT1_PNSt15iterator_traitsIS13_E10value_typeET2_T3_PNS14_IS19_E10value_typeET4_jRbjT5_S1F_jjP12ihipStream_tbEUljE_ZNSN_ISO_Lb1ESR_SS_SU_SV_SZ_EES10_S11_S12_S13_S17_S18_S19_S1C_S1D_jS1E_jS1F_S1F_jjS1H_bEUljE0_EEES10_S11_S12_S19_S1D_S1F_T6_T7_T9_mT8_S1H_bDpT10_ENKUlT_T0_E_clISt17integral_constantIbLb1EES1V_EEDaS1Q_S1R_EUlS1Q_E_NS1_11comp_targetILNS1_3genE0ELNS1_11target_archE4294967295ELNS1_3gpuE0ELNS1_3repE0EEENS1_30default_config_static_selectorELNS0_4arch9wavefront6targetE0EEEvS13_.uses_vcc, 0
	.set _ZN7rocprim17ROCPRIM_400000_NS6detail17trampoline_kernelINS0_13select_configILj256ELj13ELNS0_17block_load_methodE3ELS4_3ELS4_3ELNS0_20block_scan_algorithmE0ELj4294967295EEENS1_25partition_config_selectorILNS1_17partition_subalgoE4EjNS0_10empty_typeEbEEZZNS1_14partition_implILS8_4ELb0ES6_15HIP_vector_typeIjLj2EENS0_17counting_iteratorIjlEEPS9_SG_NS0_5tupleIJPjSI_NS0_16reverse_iteratorISI_EEEEENSH_IJSG_SG_SG_EEES9_SI_JZNS1_25segmented_radix_sort_implINS0_14default_configELb1EPK12hip_bfloat16PSP_PKlPlN2at6native12_GLOBAL__N_18offset_tEEE10hipError_tPvRmT1_PNSt15iterator_traitsIS13_E10value_typeET2_T3_PNS14_IS19_E10value_typeET4_jRbjT5_S1F_jjP12ihipStream_tbEUljE_ZNSN_ISO_Lb1ESR_SS_SU_SV_SZ_EES10_S11_S12_S13_S17_S18_S19_S1C_S1D_jS1E_jS1F_S1F_jjS1H_bEUljE0_EEES10_S11_S12_S19_S1D_S1F_T6_T7_T9_mT8_S1H_bDpT10_ENKUlT_T0_E_clISt17integral_constantIbLb1EES1V_EEDaS1Q_S1R_EUlS1Q_E_NS1_11comp_targetILNS1_3genE0ELNS1_11target_archE4294967295ELNS1_3gpuE0ELNS1_3repE0EEENS1_30default_config_static_selectorELNS0_4arch9wavefront6targetE0EEEvS13_.uses_flat_scratch, 0
	.set _ZN7rocprim17ROCPRIM_400000_NS6detail17trampoline_kernelINS0_13select_configILj256ELj13ELNS0_17block_load_methodE3ELS4_3ELS4_3ELNS0_20block_scan_algorithmE0ELj4294967295EEENS1_25partition_config_selectorILNS1_17partition_subalgoE4EjNS0_10empty_typeEbEEZZNS1_14partition_implILS8_4ELb0ES6_15HIP_vector_typeIjLj2EENS0_17counting_iteratorIjlEEPS9_SG_NS0_5tupleIJPjSI_NS0_16reverse_iteratorISI_EEEEENSH_IJSG_SG_SG_EEES9_SI_JZNS1_25segmented_radix_sort_implINS0_14default_configELb1EPK12hip_bfloat16PSP_PKlPlN2at6native12_GLOBAL__N_18offset_tEEE10hipError_tPvRmT1_PNSt15iterator_traitsIS13_E10value_typeET2_T3_PNS14_IS19_E10value_typeET4_jRbjT5_S1F_jjP12ihipStream_tbEUljE_ZNSN_ISO_Lb1ESR_SS_SU_SV_SZ_EES10_S11_S12_S13_S17_S18_S19_S1C_S1D_jS1E_jS1F_S1F_jjS1H_bEUljE0_EEES10_S11_S12_S19_S1D_S1F_T6_T7_T9_mT8_S1H_bDpT10_ENKUlT_T0_E_clISt17integral_constantIbLb1EES1V_EEDaS1Q_S1R_EUlS1Q_E_NS1_11comp_targetILNS1_3genE0ELNS1_11target_archE4294967295ELNS1_3gpuE0ELNS1_3repE0EEENS1_30default_config_static_selectorELNS0_4arch9wavefront6targetE0EEEvS13_.has_dyn_sized_stack, 0
	.set _ZN7rocprim17ROCPRIM_400000_NS6detail17trampoline_kernelINS0_13select_configILj256ELj13ELNS0_17block_load_methodE3ELS4_3ELS4_3ELNS0_20block_scan_algorithmE0ELj4294967295EEENS1_25partition_config_selectorILNS1_17partition_subalgoE4EjNS0_10empty_typeEbEEZZNS1_14partition_implILS8_4ELb0ES6_15HIP_vector_typeIjLj2EENS0_17counting_iteratorIjlEEPS9_SG_NS0_5tupleIJPjSI_NS0_16reverse_iteratorISI_EEEEENSH_IJSG_SG_SG_EEES9_SI_JZNS1_25segmented_radix_sort_implINS0_14default_configELb1EPK12hip_bfloat16PSP_PKlPlN2at6native12_GLOBAL__N_18offset_tEEE10hipError_tPvRmT1_PNSt15iterator_traitsIS13_E10value_typeET2_T3_PNS14_IS19_E10value_typeET4_jRbjT5_S1F_jjP12ihipStream_tbEUljE_ZNSN_ISO_Lb1ESR_SS_SU_SV_SZ_EES10_S11_S12_S13_S17_S18_S19_S1C_S1D_jS1E_jS1F_S1F_jjS1H_bEUljE0_EEES10_S11_S12_S19_S1D_S1F_T6_T7_T9_mT8_S1H_bDpT10_ENKUlT_T0_E_clISt17integral_constantIbLb1EES1V_EEDaS1Q_S1R_EUlS1Q_E_NS1_11comp_targetILNS1_3genE0ELNS1_11target_archE4294967295ELNS1_3gpuE0ELNS1_3repE0EEENS1_30default_config_static_selectorELNS0_4arch9wavefront6targetE0EEEvS13_.has_recursion, 0
	.set _ZN7rocprim17ROCPRIM_400000_NS6detail17trampoline_kernelINS0_13select_configILj256ELj13ELNS0_17block_load_methodE3ELS4_3ELS4_3ELNS0_20block_scan_algorithmE0ELj4294967295EEENS1_25partition_config_selectorILNS1_17partition_subalgoE4EjNS0_10empty_typeEbEEZZNS1_14partition_implILS8_4ELb0ES6_15HIP_vector_typeIjLj2EENS0_17counting_iteratorIjlEEPS9_SG_NS0_5tupleIJPjSI_NS0_16reverse_iteratorISI_EEEEENSH_IJSG_SG_SG_EEES9_SI_JZNS1_25segmented_radix_sort_implINS0_14default_configELb1EPK12hip_bfloat16PSP_PKlPlN2at6native12_GLOBAL__N_18offset_tEEE10hipError_tPvRmT1_PNSt15iterator_traitsIS13_E10value_typeET2_T3_PNS14_IS19_E10value_typeET4_jRbjT5_S1F_jjP12ihipStream_tbEUljE_ZNSN_ISO_Lb1ESR_SS_SU_SV_SZ_EES10_S11_S12_S13_S17_S18_S19_S1C_S1D_jS1E_jS1F_S1F_jjS1H_bEUljE0_EEES10_S11_S12_S19_S1D_S1F_T6_T7_T9_mT8_S1H_bDpT10_ENKUlT_T0_E_clISt17integral_constantIbLb1EES1V_EEDaS1Q_S1R_EUlS1Q_E_NS1_11comp_targetILNS1_3genE0ELNS1_11target_archE4294967295ELNS1_3gpuE0ELNS1_3repE0EEENS1_30default_config_static_selectorELNS0_4arch9wavefront6targetE0EEEvS13_.has_indirect_call, 0
	.section	.AMDGPU.csdata,"",@progbits
; Kernel info:
; codeLenInByte = 0
; TotalNumSgprs: 0
; NumVgprs: 0
; ScratchSize: 0
; MemoryBound: 0
; FloatMode: 240
; IeeeMode: 1
; LDSByteSize: 0 bytes/workgroup (compile time only)
; SGPRBlocks: 0
; VGPRBlocks: 0
; NumSGPRsForWavesPerEU: 1
; NumVGPRsForWavesPerEU: 1
; Occupancy: 16
; WaveLimiterHint : 0
; COMPUTE_PGM_RSRC2:SCRATCH_EN: 0
; COMPUTE_PGM_RSRC2:USER_SGPR: 6
; COMPUTE_PGM_RSRC2:TRAP_HANDLER: 0
; COMPUTE_PGM_RSRC2:TGID_X_EN: 1
; COMPUTE_PGM_RSRC2:TGID_Y_EN: 0
; COMPUTE_PGM_RSRC2:TGID_Z_EN: 0
; COMPUTE_PGM_RSRC2:TIDIG_COMP_CNT: 0
	.section	.text._ZN7rocprim17ROCPRIM_400000_NS6detail17trampoline_kernelINS0_13select_configILj256ELj13ELNS0_17block_load_methodE3ELS4_3ELS4_3ELNS0_20block_scan_algorithmE0ELj4294967295EEENS1_25partition_config_selectorILNS1_17partition_subalgoE4EjNS0_10empty_typeEbEEZZNS1_14partition_implILS8_4ELb0ES6_15HIP_vector_typeIjLj2EENS0_17counting_iteratorIjlEEPS9_SG_NS0_5tupleIJPjSI_NS0_16reverse_iteratorISI_EEEEENSH_IJSG_SG_SG_EEES9_SI_JZNS1_25segmented_radix_sort_implINS0_14default_configELb1EPK12hip_bfloat16PSP_PKlPlN2at6native12_GLOBAL__N_18offset_tEEE10hipError_tPvRmT1_PNSt15iterator_traitsIS13_E10value_typeET2_T3_PNS14_IS19_E10value_typeET4_jRbjT5_S1F_jjP12ihipStream_tbEUljE_ZNSN_ISO_Lb1ESR_SS_SU_SV_SZ_EES10_S11_S12_S13_S17_S18_S19_S1C_S1D_jS1E_jS1F_S1F_jjS1H_bEUljE0_EEES10_S11_S12_S19_S1D_S1F_T6_T7_T9_mT8_S1H_bDpT10_ENKUlT_T0_E_clISt17integral_constantIbLb1EES1V_EEDaS1Q_S1R_EUlS1Q_E_NS1_11comp_targetILNS1_3genE5ELNS1_11target_archE942ELNS1_3gpuE9ELNS1_3repE0EEENS1_30default_config_static_selectorELNS0_4arch9wavefront6targetE0EEEvS13_,"axG",@progbits,_ZN7rocprim17ROCPRIM_400000_NS6detail17trampoline_kernelINS0_13select_configILj256ELj13ELNS0_17block_load_methodE3ELS4_3ELS4_3ELNS0_20block_scan_algorithmE0ELj4294967295EEENS1_25partition_config_selectorILNS1_17partition_subalgoE4EjNS0_10empty_typeEbEEZZNS1_14partition_implILS8_4ELb0ES6_15HIP_vector_typeIjLj2EENS0_17counting_iteratorIjlEEPS9_SG_NS0_5tupleIJPjSI_NS0_16reverse_iteratorISI_EEEEENSH_IJSG_SG_SG_EEES9_SI_JZNS1_25segmented_radix_sort_implINS0_14default_configELb1EPK12hip_bfloat16PSP_PKlPlN2at6native12_GLOBAL__N_18offset_tEEE10hipError_tPvRmT1_PNSt15iterator_traitsIS13_E10value_typeET2_T3_PNS14_IS19_E10value_typeET4_jRbjT5_S1F_jjP12ihipStream_tbEUljE_ZNSN_ISO_Lb1ESR_SS_SU_SV_SZ_EES10_S11_S12_S13_S17_S18_S19_S1C_S1D_jS1E_jS1F_S1F_jjS1H_bEUljE0_EEES10_S11_S12_S19_S1D_S1F_T6_T7_T9_mT8_S1H_bDpT10_ENKUlT_T0_E_clISt17integral_constantIbLb1EES1V_EEDaS1Q_S1R_EUlS1Q_E_NS1_11comp_targetILNS1_3genE5ELNS1_11target_archE942ELNS1_3gpuE9ELNS1_3repE0EEENS1_30default_config_static_selectorELNS0_4arch9wavefront6targetE0EEEvS13_,comdat
	.globl	_ZN7rocprim17ROCPRIM_400000_NS6detail17trampoline_kernelINS0_13select_configILj256ELj13ELNS0_17block_load_methodE3ELS4_3ELS4_3ELNS0_20block_scan_algorithmE0ELj4294967295EEENS1_25partition_config_selectorILNS1_17partition_subalgoE4EjNS0_10empty_typeEbEEZZNS1_14partition_implILS8_4ELb0ES6_15HIP_vector_typeIjLj2EENS0_17counting_iteratorIjlEEPS9_SG_NS0_5tupleIJPjSI_NS0_16reverse_iteratorISI_EEEEENSH_IJSG_SG_SG_EEES9_SI_JZNS1_25segmented_radix_sort_implINS0_14default_configELb1EPK12hip_bfloat16PSP_PKlPlN2at6native12_GLOBAL__N_18offset_tEEE10hipError_tPvRmT1_PNSt15iterator_traitsIS13_E10value_typeET2_T3_PNS14_IS19_E10value_typeET4_jRbjT5_S1F_jjP12ihipStream_tbEUljE_ZNSN_ISO_Lb1ESR_SS_SU_SV_SZ_EES10_S11_S12_S13_S17_S18_S19_S1C_S1D_jS1E_jS1F_S1F_jjS1H_bEUljE0_EEES10_S11_S12_S19_S1D_S1F_T6_T7_T9_mT8_S1H_bDpT10_ENKUlT_T0_E_clISt17integral_constantIbLb1EES1V_EEDaS1Q_S1R_EUlS1Q_E_NS1_11comp_targetILNS1_3genE5ELNS1_11target_archE942ELNS1_3gpuE9ELNS1_3repE0EEENS1_30default_config_static_selectorELNS0_4arch9wavefront6targetE0EEEvS13_ ; -- Begin function _ZN7rocprim17ROCPRIM_400000_NS6detail17trampoline_kernelINS0_13select_configILj256ELj13ELNS0_17block_load_methodE3ELS4_3ELS4_3ELNS0_20block_scan_algorithmE0ELj4294967295EEENS1_25partition_config_selectorILNS1_17partition_subalgoE4EjNS0_10empty_typeEbEEZZNS1_14partition_implILS8_4ELb0ES6_15HIP_vector_typeIjLj2EENS0_17counting_iteratorIjlEEPS9_SG_NS0_5tupleIJPjSI_NS0_16reverse_iteratorISI_EEEEENSH_IJSG_SG_SG_EEES9_SI_JZNS1_25segmented_radix_sort_implINS0_14default_configELb1EPK12hip_bfloat16PSP_PKlPlN2at6native12_GLOBAL__N_18offset_tEEE10hipError_tPvRmT1_PNSt15iterator_traitsIS13_E10value_typeET2_T3_PNS14_IS19_E10value_typeET4_jRbjT5_S1F_jjP12ihipStream_tbEUljE_ZNSN_ISO_Lb1ESR_SS_SU_SV_SZ_EES10_S11_S12_S13_S17_S18_S19_S1C_S1D_jS1E_jS1F_S1F_jjS1H_bEUljE0_EEES10_S11_S12_S19_S1D_S1F_T6_T7_T9_mT8_S1H_bDpT10_ENKUlT_T0_E_clISt17integral_constantIbLb1EES1V_EEDaS1Q_S1R_EUlS1Q_E_NS1_11comp_targetILNS1_3genE5ELNS1_11target_archE942ELNS1_3gpuE9ELNS1_3repE0EEENS1_30default_config_static_selectorELNS0_4arch9wavefront6targetE0EEEvS13_
	.p2align	8
	.type	_ZN7rocprim17ROCPRIM_400000_NS6detail17trampoline_kernelINS0_13select_configILj256ELj13ELNS0_17block_load_methodE3ELS4_3ELS4_3ELNS0_20block_scan_algorithmE0ELj4294967295EEENS1_25partition_config_selectorILNS1_17partition_subalgoE4EjNS0_10empty_typeEbEEZZNS1_14partition_implILS8_4ELb0ES6_15HIP_vector_typeIjLj2EENS0_17counting_iteratorIjlEEPS9_SG_NS0_5tupleIJPjSI_NS0_16reverse_iteratorISI_EEEEENSH_IJSG_SG_SG_EEES9_SI_JZNS1_25segmented_radix_sort_implINS0_14default_configELb1EPK12hip_bfloat16PSP_PKlPlN2at6native12_GLOBAL__N_18offset_tEEE10hipError_tPvRmT1_PNSt15iterator_traitsIS13_E10value_typeET2_T3_PNS14_IS19_E10value_typeET4_jRbjT5_S1F_jjP12ihipStream_tbEUljE_ZNSN_ISO_Lb1ESR_SS_SU_SV_SZ_EES10_S11_S12_S13_S17_S18_S19_S1C_S1D_jS1E_jS1F_S1F_jjS1H_bEUljE0_EEES10_S11_S12_S19_S1D_S1F_T6_T7_T9_mT8_S1H_bDpT10_ENKUlT_T0_E_clISt17integral_constantIbLb1EES1V_EEDaS1Q_S1R_EUlS1Q_E_NS1_11comp_targetILNS1_3genE5ELNS1_11target_archE942ELNS1_3gpuE9ELNS1_3repE0EEENS1_30default_config_static_selectorELNS0_4arch9wavefront6targetE0EEEvS13_,@function
_ZN7rocprim17ROCPRIM_400000_NS6detail17trampoline_kernelINS0_13select_configILj256ELj13ELNS0_17block_load_methodE3ELS4_3ELS4_3ELNS0_20block_scan_algorithmE0ELj4294967295EEENS1_25partition_config_selectorILNS1_17partition_subalgoE4EjNS0_10empty_typeEbEEZZNS1_14partition_implILS8_4ELb0ES6_15HIP_vector_typeIjLj2EENS0_17counting_iteratorIjlEEPS9_SG_NS0_5tupleIJPjSI_NS0_16reverse_iteratorISI_EEEEENSH_IJSG_SG_SG_EEES9_SI_JZNS1_25segmented_radix_sort_implINS0_14default_configELb1EPK12hip_bfloat16PSP_PKlPlN2at6native12_GLOBAL__N_18offset_tEEE10hipError_tPvRmT1_PNSt15iterator_traitsIS13_E10value_typeET2_T3_PNS14_IS19_E10value_typeET4_jRbjT5_S1F_jjP12ihipStream_tbEUljE_ZNSN_ISO_Lb1ESR_SS_SU_SV_SZ_EES10_S11_S12_S13_S17_S18_S19_S1C_S1D_jS1E_jS1F_S1F_jjS1H_bEUljE0_EEES10_S11_S12_S19_S1D_S1F_T6_T7_T9_mT8_S1H_bDpT10_ENKUlT_T0_E_clISt17integral_constantIbLb1EES1V_EEDaS1Q_S1R_EUlS1Q_E_NS1_11comp_targetILNS1_3genE5ELNS1_11target_archE942ELNS1_3gpuE9ELNS1_3repE0EEENS1_30default_config_static_selectorELNS0_4arch9wavefront6targetE0EEEvS13_: ; @_ZN7rocprim17ROCPRIM_400000_NS6detail17trampoline_kernelINS0_13select_configILj256ELj13ELNS0_17block_load_methodE3ELS4_3ELS4_3ELNS0_20block_scan_algorithmE0ELj4294967295EEENS1_25partition_config_selectorILNS1_17partition_subalgoE4EjNS0_10empty_typeEbEEZZNS1_14partition_implILS8_4ELb0ES6_15HIP_vector_typeIjLj2EENS0_17counting_iteratorIjlEEPS9_SG_NS0_5tupleIJPjSI_NS0_16reverse_iteratorISI_EEEEENSH_IJSG_SG_SG_EEES9_SI_JZNS1_25segmented_radix_sort_implINS0_14default_configELb1EPK12hip_bfloat16PSP_PKlPlN2at6native12_GLOBAL__N_18offset_tEEE10hipError_tPvRmT1_PNSt15iterator_traitsIS13_E10value_typeET2_T3_PNS14_IS19_E10value_typeET4_jRbjT5_S1F_jjP12ihipStream_tbEUljE_ZNSN_ISO_Lb1ESR_SS_SU_SV_SZ_EES10_S11_S12_S13_S17_S18_S19_S1C_S1D_jS1E_jS1F_S1F_jjS1H_bEUljE0_EEES10_S11_S12_S19_S1D_S1F_T6_T7_T9_mT8_S1H_bDpT10_ENKUlT_T0_E_clISt17integral_constantIbLb1EES1V_EEDaS1Q_S1R_EUlS1Q_E_NS1_11comp_targetILNS1_3genE5ELNS1_11target_archE942ELNS1_3gpuE9ELNS1_3repE0EEENS1_30default_config_static_selectorELNS0_4arch9wavefront6targetE0EEEvS13_
; %bb.0:
	.section	.rodata,"a",@progbits
	.p2align	6, 0x0
	.amdhsa_kernel _ZN7rocprim17ROCPRIM_400000_NS6detail17trampoline_kernelINS0_13select_configILj256ELj13ELNS0_17block_load_methodE3ELS4_3ELS4_3ELNS0_20block_scan_algorithmE0ELj4294967295EEENS1_25partition_config_selectorILNS1_17partition_subalgoE4EjNS0_10empty_typeEbEEZZNS1_14partition_implILS8_4ELb0ES6_15HIP_vector_typeIjLj2EENS0_17counting_iteratorIjlEEPS9_SG_NS0_5tupleIJPjSI_NS0_16reverse_iteratorISI_EEEEENSH_IJSG_SG_SG_EEES9_SI_JZNS1_25segmented_radix_sort_implINS0_14default_configELb1EPK12hip_bfloat16PSP_PKlPlN2at6native12_GLOBAL__N_18offset_tEEE10hipError_tPvRmT1_PNSt15iterator_traitsIS13_E10value_typeET2_T3_PNS14_IS19_E10value_typeET4_jRbjT5_S1F_jjP12ihipStream_tbEUljE_ZNSN_ISO_Lb1ESR_SS_SU_SV_SZ_EES10_S11_S12_S13_S17_S18_S19_S1C_S1D_jS1E_jS1F_S1F_jjS1H_bEUljE0_EEES10_S11_S12_S19_S1D_S1F_T6_T7_T9_mT8_S1H_bDpT10_ENKUlT_T0_E_clISt17integral_constantIbLb1EES1V_EEDaS1Q_S1R_EUlS1Q_E_NS1_11comp_targetILNS1_3genE5ELNS1_11target_archE942ELNS1_3gpuE9ELNS1_3repE0EEENS1_30default_config_static_selectorELNS0_4arch9wavefront6targetE0EEEvS13_
		.amdhsa_group_segment_fixed_size 0
		.amdhsa_private_segment_fixed_size 0
		.amdhsa_kernarg_size 184
		.amdhsa_user_sgpr_count 6
		.amdhsa_user_sgpr_private_segment_buffer 1
		.amdhsa_user_sgpr_dispatch_ptr 0
		.amdhsa_user_sgpr_queue_ptr 0
		.amdhsa_user_sgpr_kernarg_segment_ptr 1
		.amdhsa_user_sgpr_dispatch_id 0
		.amdhsa_user_sgpr_flat_scratch_init 0
		.amdhsa_user_sgpr_private_segment_size 0
		.amdhsa_wavefront_size32 1
		.amdhsa_uses_dynamic_stack 0
		.amdhsa_system_sgpr_private_segment_wavefront_offset 0
		.amdhsa_system_sgpr_workgroup_id_x 1
		.amdhsa_system_sgpr_workgroup_id_y 0
		.amdhsa_system_sgpr_workgroup_id_z 0
		.amdhsa_system_sgpr_workgroup_info 0
		.amdhsa_system_vgpr_workitem_id 0
		.amdhsa_next_free_vgpr 1
		.amdhsa_next_free_sgpr 1
		.amdhsa_reserve_vcc 0
		.amdhsa_reserve_flat_scratch 0
		.amdhsa_float_round_mode_32 0
		.amdhsa_float_round_mode_16_64 0
		.amdhsa_float_denorm_mode_32 3
		.amdhsa_float_denorm_mode_16_64 3
		.amdhsa_dx10_clamp 1
		.amdhsa_ieee_mode 1
		.amdhsa_fp16_overflow 0
		.amdhsa_workgroup_processor_mode 1
		.amdhsa_memory_ordered 1
		.amdhsa_forward_progress 1
		.amdhsa_shared_vgpr_count 0
		.amdhsa_exception_fp_ieee_invalid_op 0
		.amdhsa_exception_fp_denorm_src 0
		.amdhsa_exception_fp_ieee_div_zero 0
		.amdhsa_exception_fp_ieee_overflow 0
		.amdhsa_exception_fp_ieee_underflow 0
		.amdhsa_exception_fp_ieee_inexact 0
		.amdhsa_exception_int_div_zero 0
	.end_amdhsa_kernel
	.section	.text._ZN7rocprim17ROCPRIM_400000_NS6detail17trampoline_kernelINS0_13select_configILj256ELj13ELNS0_17block_load_methodE3ELS4_3ELS4_3ELNS0_20block_scan_algorithmE0ELj4294967295EEENS1_25partition_config_selectorILNS1_17partition_subalgoE4EjNS0_10empty_typeEbEEZZNS1_14partition_implILS8_4ELb0ES6_15HIP_vector_typeIjLj2EENS0_17counting_iteratorIjlEEPS9_SG_NS0_5tupleIJPjSI_NS0_16reverse_iteratorISI_EEEEENSH_IJSG_SG_SG_EEES9_SI_JZNS1_25segmented_radix_sort_implINS0_14default_configELb1EPK12hip_bfloat16PSP_PKlPlN2at6native12_GLOBAL__N_18offset_tEEE10hipError_tPvRmT1_PNSt15iterator_traitsIS13_E10value_typeET2_T3_PNS14_IS19_E10value_typeET4_jRbjT5_S1F_jjP12ihipStream_tbEUljE_ZNSN_ISO_Lb1ESR_SS_SU_SV_SZ_EES10_S11_S12_S13_S17_S18_S19_S1C_S1D_jS1E_jS1F_S1F_jjS1H_bEUljE0_EEES10_S11_S12_S19_S1D_S1F_T6_T7_T9_mT8_S1H_bDpT10_ENKUlT_T0_E_clISt17integral_constantIbLb1EES1V_EEDaS1Q_S1R_EUlS1Q_E_NS1_11comp_targetILNS1_3genE5ELNS1_11target_archE942ELNS1_3gpuE9ELNS1_3repE0EEENS1_30default_config_static_selectorELNS0_4arch9wavefront6targetE0EEEvS13_,"axG",@progbits,_ZN7rocprim17ROCPRIM_400000_NS6detail17trampoline_kernelINS0_13select_configILj256ELj13ELNS0_17block_load_methodE3ELS4_3ELS4_3ELNS0_20block_scan_algorithmE0ELj4294967295EEENS1_25partition_config_selectorILNS1_17partition_subalgoE4EjNS0_10empty_typeEbEEZZNS1_14partition_implILS8_4ELb0ES6_15HIP_vector_typeIjLj2EENS0_17counting_iteratorIjlEEPS9_SG_NS0_5tupleIJPjSI_NS0_16reverse_iteratorISI_EEEEENSH_IJSG_SG_SG_EEES9_SI_JZNS1_25segmented_radix_sort_implINS0_14default_configELb1EPK12hip_bfloat16PSP_PKlPlN2at6native12_GLOBAL__N_18offset_tEEE10hipError_tPvRmT1_PNSt15iterator_traitsIS13_E10value_typeET2_T3_PNS14_IS19_E10value_typeET4_jRbjT5_S1F_jjP12ihipStream_tbEUljE_ZNSN_ISO_Lb1ESR_SS_SU_SV_SZ_EES10_S11_S12_S13_S17_S18_S19_S1C_S1D_jS1E_jS1F_S1F_jjS1H_bEUljE0_EEES10_S11_S12_S19_S1D_S1F_T6_T7_T9_mT8_S1H_bDpT10_ENKUlT_T0_E_clISt17integral_constantIbLb1EES1V_EEDaS1Q_S1R_EUlS1Q_E_NS1_11comp_targetILNS1_3genE5ELNS1_11target_archE942ELNS1_3gpuE9ELNS1_3repE0EEENS1_30default_config_static_selectorELNS0_4arch9wavefront6targetE0EEEvS13_,comdat
.Lfunc_end1881:
	.size	_ZN7rocprim17ROCPRIM_400000_NS6detail17trampoline_kernelINS0_13select_configILj256ELj13ELNS0_17block_load_methodE3ELS4_3ELS4_3ELNS0_20block_scan_algorithmE0ELj4294967295EEENS1_25partition_config_selectorILNS1_17partition_subalgoE4EjNS0_10empty_typeEbEEZZNS1_14partition_implILS8_4ELb0ES6_15HIP_vector_typeIjLj2EENS0_17counting_iteratorIjlEEPS9_SG_NS0_5tupleIJPjSI_NS0_16reverse_iteratorISI_EEEEENSH_IJSG_SG_SG_EEES9_SI_JZNS1_25segmented_radix_sort_implINS0_14default_configELb1EPK12hip_bfloat16PSP_PKlPlN2at6native12_GLOBAL__N_18offset_tEEE10hipError_tPvRmT1_PNSt15iterator_traitsIS13_E10value_typeET2_T3_PNS14_IS19_E10value_typeET4_jRbjT5_S1F_jjP12ihipStream_tbEUljE_ZNSN_ISO_Lb1ESR_SS_SU_SV_SZ_EES10_S11_S12_S13_S17_S18_S19_S1C_S1D_jS1E_jS1F_S1F_jjS1H_bEUljE0_EEES10_S11_S12_S19_S1D_S1F_T6_T7_T9_mT8_S1H_bDpT10_ENKUlT_T0_E_clISt17integral_constantIbLb1EES1V_EEDaS1Q_S1R_EUlS1Q_E_NS1_11comp_targetILNS1_3genE5ELNS1_11target_archE942ELNS1_3gpuE9ELNS1_3repE0EEENS1_30default_config_static_selectorELNS0_4arch9wavefront6targetE0EEEvS13_, .Lfunc_end1881-_ZN7rocprim17ROCPRIM_400000_NS6detail17trampoline_kernelINS0_13select_configILj256ELj13ELNS0_17block_load_methodE3ELS4_3ELS4_3ELNS0_20block_scan_algorithmE0ELj4294967295EEENS1_25partition_config_selectorILNS1_17partition_subalgoE4EjNS0_10empty_typeEbEEZZNS1_14partition_implILS8_4ELb0ES6_15HIP_vector_typeIjLj2EENS0_17counting_iteratorIjlEEPS9_SG_NS0_5tupleIJPjSI_NS0_16reverse_iteratorISI_EEEEENSH_IJSG_SG_SG_EEES9_SI_JZNS1_25segmented_radix_sort_implINS0_14default_configELb1EPK12hip_bfloat16PSP_PKlPlN2at6native12_GLOBAL__N_18offset_tEEE10hipError_tPvRmT1_PNSt15iterator_traitsIS13_E10value_typeET2_T3_PNS14_IS19_E10value_typeET4_jRbjT5_S1F_jjP12ihipStream_tbEUljE_ZNSN_ISO_Lb1ESR_SS_SU_SV_SZ_EES10_S11_S12_S13_S17_S18_S19_S1C_S1D_jS1E_jS1F_S1F_jjS1H_bEUljE0_EEES10_S11_S12_S19_S1D_S1F_T6_T7_T9_mT8_S1H_bDpT10_ENKUlT_T0_E_clISt17integral_constantIbLb1EES1V_EEDaS1Q_S1R_EUlS1Q_E_NS1_11comp_targetILNS1_3genE5ELNS1_11target_archE942ELNS1_3gpuE9ELNS1_3repE0EEENS1_30default_config_static_selectorELNS0_4arch9wavefront6targetE0EEEvS13_
                                        ; -- End function
	.set _ZN7rocprim17ROCPRIM_400000_NS6detail17trampoline_kernelINS0_13select_configILj256ELj13ELNS0_17block_load_methodE3ELS4_3ELS4_3ELNS0_20block_scan_algorithmE0ELj4294967295EEENS1_25partition_config_selectorILNS1_17partition_subalgoE4EjNS0_10empty_typeEbEEZZNS1_14partition_implILS8_4ELb0ES6_15HIP_vector_typeIjLj2EENS0_17counting_iteratorIjlEEPS9_SG_NS0_5tupleIJPjSI_NS0_16reverse_iteratorISI_EEEEENSH_IJSG_SG_SG_EEES9_SI_JZNS1_25segmented_radix_sort_implINS0_14default_configELb1EPK12hip_bfloat16PSP_PKlPlN2at6native12_GLOBAL__N_18offset_tEEE10hipError_tPvRmT1_PNSt15iterator_traitsIS13_E10value_typeET2_T3_PNS14_IS19_E10value_typeET4_jRbjT5_S1F_jjP12ihipStream_tbEUljE_ZNSN_ISO_Lb1ESR_SS_SU_SV_SZ_EES10_S11_S12_S13_S17_S18_S19_S1C_S1D_jS1E_jS1F_S1F_jjS1H_bEUljE0_EEES10_S11_S12_S19_S1D_S1F_T6_T7_T9_mT8_S1H_bDpT10_ENKUlT_T0_E_clISt17integral_constantIbLb1EES1V_EEDaS1Q_S1R_EUlS1Q_E_NS1_11comp_targetILNS1_3genE5ELNS1_11target_archE942ELNS1_3gpuE9ELNS1_3repE0EEENS1_30default_config_static_selectorELNS0_4arch9wavefront6targetE0EEEvS13_.num_vgpr, 0
	.set _ZN7rocprim17ROCPRIM_400000_NS6detail17trampoline_kernelINS0_13select_configILj256ELj13ELNS0_17block_load_methodE3ELS4_3ELS4_3ELNS0_20block_scan_algorithmE0ELj4294967295EEENS1_25partition_config_selectorILNS1_17partition_subalgoE4EjNS0_10empty_typeEbEEZZNS1_14partition_implILS8_4ELb0ES6_15HIP_vector_typeIjLj2EENS0_17counting_iteratorIjlEEPS9_SG_NS0_5tupleIJPjSI_NS0_16reverse_iteratorISI_EEEEENSH_IJSG_SG_SG_EEES9_SI_JZNS1_25segmented_radix_sort_implINS0_14default_configELb1EPK12hip_bfloat16PSP_PKlPlN2at6native12_GLOBAL__N_18offset_tEEE10hipError_tPvRmT1_PNSt15iterator_traitsIS13_E10value_typeET2_T3_PNS14_IS19_E10value_typeET4_jRbjT5_S1F_jjP12ihipStream_tbEUljE_ZNSN_ISO_Lb1ESR_SS_SU_SV_SZ_EES10_S11_S12_S13_S17_S18_S19_S1C_S1D_jS1E_jS1F_S1F_jjS1H_bEUljE0_EEES10_S11_S12_S19_S1D_S1F_T6_T7_T9_mT8_S1H_bDpT10_ENKUlT_T0_E_clISt17integral_constantIbLb1EES1V_EEDaS1Q_S1R_EUlS1Q_E_NS1_11comp_targetILNS1_3genE5ELNS1_11target_archE942ELNS1_3gpuE9ELNS1_3repE0EEENS1_30default_config_static_selectorELNS0_4arch9wavefront6targetE0EEEvS13_.num_agpr, 0
	.set _ZN7rocprim17ROCPRIM_400000_NS6detail17trampoline_kernelINS0_13select_configILj256ELj13ELNS0_17block_load_methodE3ELS4_3ELS4_3ELNS0_20block_scan_algorithmE0ELj4294967295EEENS1_25partition_config_selectorILNS1_17partition_subalgoE4EjNS0_10empty_typeEbEEZZNS1_14partition_implILS8_4ELb0ES6_15HIP_vector_typeIjLj2EENS0_17counting_iteratorIjlEEPS9_SG_NS0_5tupleIJPjSI_NS0_16reverse_iteratorISI_EEEEENSH_IJSG_SG_SG_EEES9_SI_JZNS1_25segmented_radix_sort_implINS0_14default_configELb1EPK12hip_bfloat16PSP_PKlPlN2at6native12_GLOBAL__N_18offset_tEEE10hipError_tPvRmT1_PNSt15iterator_traitsIS13_E10value_typeET2_T3_PNS14_IS19_E10value_typeET4_jRbjT5_S1F_jjP12ihipStream_tbEUljE_ZNSN_ISO_Lb1ESR_SS_SU_SV_SZ_EES10_S11_S12_S13_S17_S18_S19_S1C_S1D_jS1E_jS1F_S1F_jjS1H_bEUljE0_EEES10_S11_S12_S19_S1D_S1F_T6_T7_T9_mT8_S1H_bDpT10_ENKUlT_T0_E_clISt17integral_constantIbLb1EES1V_EEDaS1Q_S1R_EUlS1Q_E_NS1_11comp_targetILNS1_3genE5ELNS1_11target_archE942ELNS1_3gpuE9ELNS1_3repE0EEENS1_30default_config_static_selectorELNS0_4arch9wavefront6targetE0EEEvS13_.numbered_sgpr, 0
	.set _ZN7rocprim17ROCPRIM_400000_NS6detail17trampoline_kernelINS0_13select_configILj256ELj13ELNS0_17block_load_methodE3ELS4_3ELS4_3ELNS0_20block_scan_algorithmE0ELj4294967295EEENS1_25partition_config_selectorILNS1_17partition_subalgoE4EjNS0_10empty_typeEbEEZZNS1_14partition_implILS8_4ELb0ES6_15HIP_vector_typeIjLj2EENS0_17counting_iteratorIjlEEPS9_SG_NS0_5tupleIJPjSI_NS0_16reverse_iteratorISI_EEEEENSH_IJSG_SG_SG_EEES9_SI_JZNS1_25segmented_radix_sort_implINS0_14default_configELb1EPK12hip_bfloat16PSP_PKlPlN2at6native12_GLOBAL__N_18offset_tEEE10hipError_tPvRmT1_PNSt15iterator_traitsIS13_E10value_typeET2_T3_PNS14_IS19_E10value_typeET4_jRbjT5_S1F_jjP12ihipStream_tbEUljE_ZNSN_ISO_Lb1ESR_SS_SU_SV_SZ_EES10_S11_S12_S13_S17_S18_S19_S1C_S1D_jS1E_jS1F_S1F_jjS1H_bEUljE0_EEES10_S11_S12_S19_S1D_S1F_T6_T7_T9_mT8_S1H_bDpT10_ENKUlT_T0_E_clISt17integral_constantIbLb1EES1V_EEDaS1Q_S1R_EUlS1Q_E_NS1_11comp_targetILNS1_3genE5ELNS1_11target_archE942ELNS1_3gpuE9ELNS1_3repE0EEENS1_30default_config_static_selectorELNS0_4arch9wavefront6targetE0EEEvS13_.num_named_barrier, 0
	.set _ZN7rocprim17ROCPRIM_400000_NS6detail17trampoline_kernelINS0_13select_configILj256ELj13ELNS0_17block_load_methodE3ELS4_3ELS4_3ELNS0_20block_scan_algorithmE0ELj4294967295EEENS1_25partition_config_selectorILNS1_17partition_subalgoE4EjNS0_10empty_typeEbEEZZNS1_14partition_implILS8_4ELb0ES6_15HIP_vector_typeIjLj2EENS0_17counting_iteratorIjlEEPS9_SG_NS0_5tupleIJPjSI_NS0_16reverse_iteratorISI_EEEEENSH_IJSG_SG_SG_EEES9_SI_JZNS1_25segmented_radix_sort_implINS0_14default_configELb1EPK12hip_bfloat16PSP_PKlPlN2at6native12_GLOBAL__N_18offset_tEEE10hipError_tPvRmT1_PNSt15iterator_traitsIS13_E10value_typeET2_T3_PNS14_IS19_E10value_typeET4_jRbjT5_S1F_jjP12ihipStream_tbEUljE_ZNSN_ISO_Lb1ESR_SS_SU_SV_SZ_EES10_S11_S12_S13_S17_S18_S19_S1C_S1D_jS1E_jS1F_S1F_jjS1H_bEUljE0_EEES10_S11_S12_S19_S1D_S1F_T6_T7_T9_mT8_S1H_bDpT10_ENKUlT_T0_E_clISt17integral_constantIbLb1EES1V_EEDaS1Q_S1R_EUlS1Q_E_NS1_11comp_targetILNS1_3genE5ELNS1_11target_archE942ELNS1_3gpuE9ELNS1_3repE0EEENS1_30default_config_static_selectorELNS0_4arch9wavefront6targetE0EEEvS13_.private_seg_size, 0
	.set _ZN7rocprim17ROCPRIM_400000_NS6detail17trampoline_kernelINS0_13select_configILj256ELj13ELNS0_17block_load_methodE3ELS4_3ELS4_3ELNS0_20block_scan_algorithmE0ELj4294967295EEENS1_25partition_config_selectorILNS1_17partition_subalgoE4EjNS0_10empty_typeEbEEZZNS1_14partition_implILS8_4ELb0ES6_15HIP_vector_typeIjLj2EENS0_17counting_iteratorIjlEEPS9_SG_NS0_5tupleIJPjSI_NS0_16reverse_iteratorISI_EEEEENSH_IJSG_SG_SG_EEES9_SI_JZNS1_25segmented_radix_sort_implINS0_14default_configELb1EPK12hip_bfloat16PSP_PKlPlN2at6native12_GLOBAL__N_18offset_tEEE10hipError_tPvRmT1_PNSt15iterator_traitsIS13_E10value_typeET2_T3_PNS14_IS19_E10value_typeET4_jRbjT5_S1F_jjP12ihipStream_tbEUljE_ZNSN_ISO_Lb1ESR_SS_SU_SV_SZ_EES10_S11_S12_S13_S17_S18_S19_S1C_S1D_jS1E_jS1F_S1F_jjS1H_bEUljE0_EEES10_S11_S12_S19_S1D_S1F_T6_T7_T9_mT8_S1H_bDpT10_ENKUlT_T0_E_clISt17integral_constantIbLb1EES1V_EEDaS1Q_S1R_EUlS1Q_E_NS1_11comp_targetILNS1_3genE5ELNS1_11target_archE942ELNS1_3gpuE9ELNS1_3repE0EEENS1_30default_config_static_selectorELNS0_4arch9wavefront6targetE0EEEvS13_.uses_vcc, 0
	.set _ZN7rocprim17ROCPRIM_400000_NS6detail17trampoline_kernelINS0_13select_configILj256ELj13ELNS0_17block_load_methodE3ELS4_3ELS4_3ELNS0_20block_scan_algorithmE0ELj4294967295EEENS1_25partition_config_selectorILNS1_17partition_subalgoE4EjNS0_10empty_typeEbEEZZNS1_14partition_implILS8_4ELb0ES6_15HIP_vector_typeIjLj2EENS0_17counting_iteratorIjlEEPS9_SG_NS0_5tupleIJPjSI_NS0_16reverse_iteratorISI_EEEEENSH_IJSG_SG_SG_EEES9_SI_JZNS1_25segmented_radix_sort_implINS0_14default_configELb1EPK12hip_bfloat16PSP_PKlPlN2at6native12_GLOBAL__N_18offset_tEEE10hipError_tPvRmT1_PNSt15iterator_traitsIS13_E10value_typeET2_T3_PNS14_IS19_E10value_typeET4_jRbjT5_S1F_jjP12ihipStream_tbEUljE_ZNSN_ISO_Lb1ESR_SS_SU_SV_SZ_EES10_S11_S12_S13_S17_S18_S19_S1C_S1D_jS1E_jS1F_S1F_jjS1H_bEUljE0_EEES10_S11_S12_S19_S1D_S1F_T6_T7_T9_mT8_S1H_bDpT10_ENKUlT_T0_E_clISt17integral_constantIbLb1EES1V_EEDaS1Q_S1R_EUlS1Q_E_NS1_11comp_targetILNS1_3genE5ELNS1_11target_archE942ELNS1_3gpuE9ELNS1_3repE0EEENS1_30default_config_static_selectorELNS0_4arch9wavefront6targetE0EEEvS13_.uses_flat_scratch, 0
	.set _ZN7rocprim17ROCPRIM_400000_NS6detail17trampoline_kernelINS0_13select_configILj256ELj13ELNS0_17block_load_methodE3ELS4_3ELS4_3ELNS0_20block_scan_algorithmE0ELj4294967295EEENS1_25partition_config_selectorILNS1_17partition_subalgoE4EjNS0_10empty_typeEbEEZZNS1_14partition_implILS8_4ELb0ES6_15HIP_vector_typeIjLj2EENS0_17counting_iteratorIjlEEPS9_SG_NS0_5tupleIJPjSI_NS0_16reverse_iteratorISI_EEEEENSH_IJSG_SG_SG_EEES9_SI_JZNS1_25segmented_radix_sort_implINS0_14default_configELb1EPK12hip_bfloat16PSP_PKlPlN2at6native12_GLOBAL__N_18offset_tEEE10hipError_tPvRmT1_PNSt15iterator_traitsIS13_E10value_typeET2_T3_PNS14_IS19_E10value_typeET4_jRbjT5_S1F_jjP12ihipStream_tbEUljE_ZNSN_ISO_Lb1ESR_SS_SU_SV_SZ_EES10_S11_S12_S13_S17_S18_S19_S1C_S1D_jS1E_jS1F_S1F_jjS1H_bEUljE0_EEES10_S11_S12_S19_S1D_S1F_T6_T7_T9_mT8_S1H_bDpT10_ENKUlT_T0_E_clISt17integral_constantIbLb1EES1V_EEDaS1Q_S1R_EUlS1Q_E_NS1_11comp_targetILNS1_3genE5ELNS1_11target_archE942ELNS1_3gpuE9ELNS1_3repE0EEENS1_30default_config_static_selectorELNS0_4arch9wavefront6targetE0EEEvS13_.has_dyn_sized_stack, 0
	.set _ZN7rocprim17ROCPRIM_400000_NS6detail17trampoline_kernelINS0_13select_configILj256ELj13ELNS0_17block_load_methodE3ELS4_3ELS4_3ELNS0_20block_scan_algorithmE0ELj4294967295EEENS1_25partition_config_selectorILNS1_17partition_subalgoE4EjNS0_10empty_typeEbEEZZNS1_14partition_implILS8_4ELb0ES6_15HIP_vector_typeIjLj2EENS0_17counting_iteratorIjlEEPS9_SG_NS0_5tupleIJPjSI_NS0_16reverse_iteratorISI_EEEEENSH_IJSG_SG_SG_EEES9_SI_JZNS1_25segmented_radix_sort_implINS0_14default_configELb1EPK12hip_bfloat16PSP_PKlPlN2at6native12_GLOBAL__N_18offset_tEEE10hipError_tPvRmT1_PNSt15iterator_traitsIS13_E10value_typeET2_T3_PNS14_IS19_E10value_typeET4_jRbjT5_S1F_jjP12ihipStream_tbEUljE_ZNSN_ISO_Lb1ESR_SS_SU_SV_SZ_EES10_S11_S12_S13_S17_S18_S19_S1C_S1D_jS1E_jS1F_S1F_jjS1H_bEUljE0_EEES10_S11_S12_S19_S1D_S1F_T6_T7_T9_mT8_S1H_bDpT10_ENKUlT_T0_E_clISt17integral_constantIbLb1EES1V_EEDaS1Q_S1R_EUlS1Q_E_NS1_11comp_targetILNS1_3genE5ELNS1_11target_archE942ELNS1_3gpuE9ELNS1_3repE0EEENS1_30default_config_static_selectorELNS0_4arch9wavefront6targetE0EEEvS13_.has_recursion, 0
	.set _ZN7rocprim17ROCPRIM_400000_NS6detail17trampoline_kernelINS0_13select_configILj256ELj13ELNS0_17block_load_methodE3ELS4_3ELS4_3ELNS0_20block_scan_algorithmE0ELj4294967295EEENS1_25partition_config_selectorILNS1_17partition_subalgoE4EjNS0_10empty_typeEbEEZZNS1_14partition_implILS8_4ELb0ES6_15HIP_vector_typeIjLj2EENS0_17counting_iteratorIjlEEPS9_SG_NS0_5tupleIJPjSI_NS0_16reverse_iteratorISI_EEEEENSH_IJSG_SG_SG_EEES9_SI_JZNS1_25segmented_radix_sort_implINS0_14default_configELb1EPK12hip_bfloat16PSP_PKlPlN2at6native12_GLOBAL__N_18offset_tEEE10hipError_tPvRmT1_PNSt15iterator_traitsIS13_E10value_typeET2_T3_PNS14_IS19_E10value_typeET4_jRbjT5_S1F_jjP12ihipStream_tbEUljE_ZNSN_ISO_Lb1ESR_SS_SU_SV_SZ_EES10_S11_S12_S13_S17_S18_S19_S1C_S1D_jS1E_jS1F_S1F_jjS1H_bEUljE0_EEES10_S11_S12_S19_S1D_S1F_T6_T7_T9_mT8_S1H_bDpT10_ENKUlT_T0_E_clISt17integral_constantIbLb1EES1V_EEDaS1Q_S1R_EUlS1Q_E_NS1_11comp_targetILNS1_3genE5ELNS1_11target_archE942ELNS1_3gpuE9ELNS1_3repE0EEENS1_30default_config_static_selectorELNS0_4arch9wavefront6targetE0EEEvS13_.has_indirect_call, 0
	.section	.AMDGPU.csdata,"",@progbits
; Kernel info:
; codeLenInByte = 0
; TotalNumSgprs: 0
; NumVgprs: 0
; ScratchSize: 0
; MemoryBound: 0
; FloatMode: 240
; IeeeMode: 1
; LDSByteSize: 0 bytes/workgroup (compile time only)
; SGPRBlocks: 0
; VGPRBlocks: 0
; NumSGPRsForWavesPerEU: 1
; NumVGPRsForWavesPerEU: 1
; Occupancy: 16
; WaveLimiterHint : 0
; COMPUTE_PGM_RSRC2:SCRATCH_EN: 0
; COMPUTE_PGM_RSRC2:USER_SGPR: 6
; COMPUTE_PGM_RSRC2:TRAP_HANDLER: 0
; COMPUTE_PGM_RSRC2:TGID_X_EN: 1
; COMPUTE_PGM_RSRC2:TGID_Y_EN: 0
; COMPUTE_PGM_RSRC2:TGID_Z_EN: 0
; COMPUTE_PGM_RSRC2:TIDIG_COMP_CNT: 0
	.section	.text._ZN7rocprim17ROCPRIM_400000_NS6detail17trampoline_kernelINS0_13select_configILj256ELj13ELNS0_17block_load_methodE3ELS4_3ELS4_3ELNS0_20block_scan_algorithmE0ELj4294967295EEENS1_25partition_config_selectorILNS1_17partition_subalgoE4EjNS0_10empty_typeEbEEZZNS1_14partition_implILS8_4ELb0ES6_15HIP_vector_typeIjLj2EENS0_17counting_iteratorIjlEEPS9_SG_NS0_5tupleIJPjSI_NS0_16reverse_iteratorISI_EEEEENSH_IJSG_SG_SG_EEES9_SI_JZNS1_25segmented_radix_sort_implINS0_14default_configELb1EPK12hip_bfloat16PSP_PKlPlN2at6native12_GLOBAL__N_18offset_tEEE10hipError_tPvRmT1_PNSt15iterator_traitsIS13_E10value_typeET2_T3_PNS14_IS19_E10value_typeET4_jRbjT5_S1F_jjP12ihipStream_tbEUljE_ZNSN_ISO_Lb1ESR_SS_SU_SV_SZ_EES10_S11_S12_S13_S17_S18_S19_S1C_S1D_jS1E_jS1F_S1F_jjS1H_bEUljE0_EEES10_S11_S12_S19_S1D_S1F_T6_T7_T9_mT8_S1H_bDpT10_ENKUlT_T0_E_clISt17integral_constantIbLb1EES1V_EEDaS1Q_S1R_EUlS1Q_E_NS1_11comp_targetILNS1_3genE4ELNS1_11target_archE910ELNS1_3gpuE8ELNS1_3repE0EEENS1_30default_config_static_selectorELNS0_4arch9wavefront6targetE0EEEvS13_,"axG",@progbits,_ZN7rocprim17ROCPRIM_400000_NS6detail17trampoline_kernelINS0_13select_configILj256ELj13ELNS0_17block_load_methodE3ELS4_3ELS4_3ELNS0_20block_scan_algorithmE0ELj4294967295EEENS1_25partition_config_selectorILNS1_17partition_subalgoE4EjNS0_10empty_typeEbEEZZNS1_14partition_implILS8_4ELb0ES6_15HIP_vector_typeIjLj2EENS0_17counting_iteratorIjlEEPS9_SG_NS0_5tupleIJPjSI_NS0_16reverse_iteratorISI_EEEEENSH_IJSG_SG_SG_EEES9_SI_JZNS1_25segmented_radix_sort_implINS0_14default_configELb1EPK12hip_bfloat16PSP_PKlPlN2at6native12_GLOBAL__N_18offset_tEEE10hipError_tPvRmT1_PNSt15iterator_traitsIS13_E10value_typeET2_T3_PNS14_IS19_E10value_typeET4_jRbjT5_S1F_jjP12ihipStream_tbEUljE_ZNSN_ISO_Lb1ESR_SS_SU_SV_SZ_EES10_S11_S12_S13_S17_S18_S19_S1C_S1D_jS1E_jS1F_S1F_jjS1H_bEUljE0_EEES10_S11_S12_S19_S1D_S1F_T6_T7_T9_mT8_S1H_bDpT10_ENKUlT_T0_E_clISt17integral_constantIbLb1EES1V_EEDaS1Q_S1R_EUlS1Q_E_NS1_11comp_targetILNS1_3genE4ELNS1_11target_archE910ELNS1_3gpuE8ELNS1_3repE0EEENS1_30default_config_static_selectorELNS0_4arch9wavefront6targetE0EEEvS13_,comdat
	.globl	_ZN7rocprim17ROCPRIM_400000_NS6detail17trampoline_kernelINS0_13select_configILj256ELj13ELNS0_17block_load_methodE3ELS4_3ELS4_3ELNS0_20block_scan_algorithmE0ELj4294967295EEENS1_25partition_config_selectorILNS1_17partition_subalgoE4EjNS0_10empty_typeEbEEZZNS1_14partition_implILS8_4ELb0ES6_15HIP_vector_typeIjLj2EENS0_17counting_iteratorIjlEEPS9_SG_NS0_5tupleIJPjSI_NS0_16reverse_iteratorISI_EEEEENSH_IJSG_SG_SG_EEES9_SI_JZNS1_25segmented_radix_sort_implINS0_14default_configELb1EPK12hip_bfloat16PSP_PKlPlN2at6native12_GLOBAL__N_18offset_tEEE10hipError_tPvRmT1_PNSt15iterator_traitsIS13_E10value_typeET2_T3_PNS14_IS19_E10value_typeET4_jRbjT5_S1F_jjP12ihipStream_tbEUljE_ZNSN_ISO_Lb1ESR_SS_SU_SV_SZ_EES10_S11_S12_S13_S17_S18_S19_S1C_S1D_jS1E_jS1F_S1F_jjS1H_bEUljE0_EEES10_S11_S12_S19_S1D_S1F_T6_T7_T9_mT8_S1H_bDpT10_ENKUlT_T0_E_clISt17integral_constantIbLb1EES1V_EEDaS1Q_S1R_EUlS1Q_E_NS1_11comp_targetILNS1_3genE4ELNS1_11target_archE910ELNS1_3gpuE8ELNS1_3repE0EEENS1_30default_config_static_selectorELNS0_4arch9wavefront6targetE0EEEvS13_ ; -- Begin function _ZN7rocprim17ROCPRIM_400000_NS6detail17trampoline_kernelINS0_13select_configILj256ELj13ELNS0_17block_load_methodE3ELS4_3ELS4_3ELNS0_20block_scan_algorithmE0ELj4294967295EEENS1_25partition_config_selectorILNS1_17partition_subalgoE4EjNS0_10empty_typeEbEEZZNS1_14partition_implILS8_4ELb0ES6_15HIP_vector_typeIjLj2EENS0_17counting_iteratorIjlEEPS9_SG_NS0_5tupleIJPjSI_NS0_16reverse_iteratorISI_EEEEENSH_IJSG_SG_SG_EEES9_SI_JZNS1_25segmented_radix_sort_implINS0_14default_configELb1EPK12hip_bfloat16PSP_PKlPlN2at6native12_GLOBAL__N_18offset_tEEE10hipError_tPvRmT1_PNSt15iterator_traitsIS13_E10value_typeET2_T3_PNS14_IS19_E10value_typeET4_jRbjT5_S1F_jjP12ihipStream_tbEUljE_ZNSN_ISO_Lb1ESR_SS_SU_SV_SZ_EES10_S11_S12_S13_S17_S18_S19_S1C_S1D_jS1E_jS1F_S1F_jjS1H_bEUljE0_EEES10_S11_S12_S19_S1D_S1F_T6_T7_T9_mT8_S1H_bDpT10_ENKUlT_T0_E_clISt17integral_constantIbLb1EES1V_EEDaS1Q_S1R_EUlS1Q_E_NS1_11comp_targetILNS1_3genE4ELNS1_11target_archE910ELNS1_3gpuE8ELNS1_3repE0EEENS1_30default_config_static_selectorELNS0_4arch9wavefront6targetE0EEEvS13_
	.p2align	8
	.type	_ZN7rocprim17ROCPRIM_400000_NS6detail17trampoline_kernelINS0_13select_configILj256ELj13ELNS0_17block_load_methodE3ELS4_3ELS4_3ELNS0_20block_scan_algorithmE0ELj4294967295EEENS1_25partition_config_selectorILNS1_17partition_subalgoE4EjNS0_10empty_typeEbEEZZNS1_14partition_implILS8_4ELb0ES6_15HIP_vector_typeIjLj2EENS0_17counting_iteratorIjlEEPS9_SG_NS0_5tupleIJPjSI_NS0_16reverse_iteratorISI_EEEEENSH_IJSG_SG_SG_EEES9_SI_JZNS1_25segmented_radix_sort_implINS0_14default_configELb1EPK12hip_bfloat16PSP_PKlPlN2at6native12_GLOBAL__N_18offset_tEEE10hipError_tPvRmT1_PNSt15iterator_traitsIS13_E10value_typeET2_T3_PNS14_IS19_E10value_typeET4_jRbjT5_S1F_jjP12ihipStream_tbEUljE_ZNSN_ISO_Lb1ESR_SS_SU_SV_SZ_EES10_S11_S12_S13_S17_S18_S19_S1C_S1D_jS1E_jS1F_S1F_jjS1H_bEUljE0_EEES10_S11_S12_S19_S1D_S1F_T6_T7_T9_mT8_S1H_bDpT10_ENKUlT_T0_E_clISt17integral_constantIbLb1EES1V_EEDaS1Q_S1R_EUlS1Q_E_NS1_11comp_targetILNS1_3genE4ELNS1_11target_archE910ELNS1_3gpuE8ELNS1_3repE0EEENS1_30default_config_static_selectorELNS0_4arch9wavefront6targetE0EEEvS13_,@function
_ZN7rocprim17ROCPRIM_400000_NS6detail17trampoline_kernelINS0_13select_configILj256ELj13ELNS0_17block_load_methodE3ELS4_3ELS4_3ELNS0_20block_scan_algorithmE0ELj4294967295EEENS1_25partition_config_selectorILNS1_17partition_subalgoE4EjNS0_10empty_typeEbEEZZNS1_14partition_implILS8_4ELb0ES6_15HIP_vector_typeIjLj2EENS0_17counting_iteratorIjlEEPS9_SG_NS0_5tupleIJPjSI_NS0_16reverse_iteratorISI_EEEEENSH_IJSG_SG_SG_EEES9_SI_JZNS1_25segmented_radix_sort_implINS0_14default_configELb1EPK12hip_bfloat16PSP_PKlPlN2at6native12_GLOBAL__N_18offset_tEEE10hipError_tPvRmT1_PNSt15iterator_traitsIS13_E10value_typeET2_T3_PNS14_IS19_E10value_typeET4_jRbjT5_S1F_jjP12ihipStream_tbEUljE_ZNSN_ISO_Lb1ESR_SS_SU_SV_SZ_EES10_S11_S12_S13_S17_S18_S19_S1C_S1D_jS1E_jS1F_S1F_jjS1H_bEUljE0_EEES10_S11_S12_S19_S1D_S1F_T6_T7_T9_mT8_S1H_bDpT10_ENKUlT_T0_E_clISt17integral_constantIbLb1EES1V_EEDaS1Q_S1R_EUlS1Q_E_NS1_11comp_targetILNS1_3genE4ELNS1_11target_archE910ELNS1_3gpuE8ELNS1_3repE0EEENS1_30default_config_static_selectorELNS0_4arch9wavefront6targetE0EEEvS13_: ; @_ZN7rocprim17ROCPRIM_400000_NS6detail17trampoline_kernelINS0_13select_configILj256ELj13ELNS0_17block_load_methodE3ELS4_3ELS4_3ELNS0_20block_scan_algorithmE0ELj4294967295EEENS1_25partition_config_selectorILNS1_17partition_subalgoE4EjNS0_10empty_typeEbEEZZNS1_14partition_implILS8_4ELb0ES6_15HIP_vector_typeIjLj2EENS0_17counting_iteratorIjlEEPS9_SG_NS0_5tupleIJPjSI_NS0_16reverse_iteratorISI_EEEEENSH_IJSG_SG_SG_EEES9_SI_JZNS1_25segmented_radix_sort_implINS0_14default_configELb1EPK12hip_bfloat16PSP_PKlPlN2at6native12_GLOBAL__N_18offset_tEEE10hipError_tPvRmT1_PNSt15iterator_traitsIS13_E10value_typeET2_T3_PNS14_IS19_E10value_typeET4_jRbjT5_S1F_jjP12ihipStream_tbEUljE_ZNSN_ISO_Lb1ESR_SS_SU_SV_SZ_EES10_S11_S12_S13_S17_S18_S19_S1C_S1D_jS1E_jS1F_S1F_jjS1H_bEUljE0_EEES10_S11_S12_S19_S1D_S1F_T6_T7_T9_mT8_S1H_bDpT10_ENKUlT_T0_E_clISt17integral_constantIbLb1EES1V_EEDaS1Q_S1R_EUlS1Q_E_NS1_11comp_targetILNS1_3genE4ELNS1_11target_archE910ELNS1_3gpuE8ELNS1_3repE0EEENS1_30default_config_static_selectorELNS0_4arch9wavefront6targetE0EEEvS13_
; %bb.0:
	.section	.rodata,"a",@progbits
	.p2align	6, 0x0
	.amdhsa_kernel _ZN7rocprim17ROCPRIM_400000_NS6detail17trampoline_kernelINS0_13select_configILj256ELj13ELNS0_17block_load_methodE3ELS4_3ELS4_3ELNS0_20block_scan_algorithmE0ELj4294967295EEENS1_25partition_config_selectorILNS1_17partition_subalgoE4EjNS0_10empty_typeEbEEZZNS1_14partition_implILS8_4ELb0ES6_15HIP_vector_typeIjLj2EENS0_17counting_iteratorIjlEEPS9_SG_NS0_5tupleIJPjSI_NS0_16reverse_iteratorISI_EEEEENSH_IJSG_SG_SG_EEES9_SI_JZNS1_25segmented_radix_sort_implINS0_14default_configELb1EPK12hip_bfloat16PSP_PKlPlN2at6native12_GLOBAL__N_18offset_tEEE10hipError_tPvRmT1_PNSt15iterator_traitsIS13_E10value_typeET2_T3_PNS14_IS19_E10value_typeET4_jRbjT5_S1F_jjP12ihipStream_tbEUljE_ZNSN_ISO_Lb1ESR_SS_SU_SV_SZ_EES10_S11_S12_S13_S17_S18_S19_S1C_S1D_jS1E_jS1F_S1F_jjS1H_bEUljE0_EEES10_S11_S12_S19_S1D_S1F_T6_T7_T9_mT8_S1H_bDpT10_ENKUlT_T0_E_clISt17integral_constantIbLb1EES1V_EEDaS1Q_S1R_EUlS1Q_E_NS1_11comp_targetILNS1_3genE4ELNS1_11target_archE910ELNS1_3gpuE8ELNS1_3repE0EEENS1_30default_config_static_selectorELNS0_4arch9wavefront6targetE0EEEvS13_
		.amdhsa_group_segment_fixed_size 0
		.amdhsa_private_segment_fixed_size 0
		.amdhsa_kernarg_size 184
		.amdhsa_user_sgpr_count 6
		.amdhsa_user_sgpr_private_segment_buffer 1
		.amdhsa_user_sgpr_dispatch_ptr 0
		.amdhsa_user_sgpr_queue_ptr 0
		.amdhsa_user_sgpr_kernarg_segment_ptr 1
		.amdhsa_user_sgpr_dispatch_id 0
		.amdhsa_user_sgpr_flat_scratch_init 0
		.amdhsa_user_sgpr_private_segment_size 0
		.amdhsa_wavefront_size32 1
		.amdhsa_uses_dynamic_stack 0
		.amdhsa_system_sgpr_private_segment_wavefront_offset 0
		.amdhsa_system_sgpr_workgroup_id_x 1
		.amdhsa_system_sgpr_workgroup_id_y 0
		.amdhsa_system_sgpr_workgroup_id_z 0
		.amdhsa_system_sgpr_workgroup_info 0
		.amdhsa_system_vgpr_workitem_id 0
		.amdhsa_next_free_vgpr 1
		.amdhsa_next_free_sgpr 1
		.amdhsa_reserve_vcc 0
		.amdhsa_reserve_flat_scratch 0
		.amdhsa_float_round_mode_32 0
		.amdhsa_float_round_mode_16_64 0
		.amdhsa_float_denorm_mode_32 3
		.amdhsa_float_denorm_mode_16_64 3
		.amdhsa_dx10_clamp 1
		.amdhsa_ieee_mode 1
		.amdhsa_fp16_overflow 0
		.amdhsa_workgroup_processor_mode 1
		.amdhsa_memory_ordered 1
		.amdhsa_forward_progress 1
		.amdhsa_shared_vgpr_count 0
		.amdhsa_exception_fp_ieee_invalid_op 0
		.amdhsa_exception_fp_denorm_src 0
		.amdhsa_exception_fp_ieee_div_zero 0
		.amdhsa_exception_fp_ieee_overflow 0
		.amdhsa_exception_fp_ieee_underflow 0
		.amdhsa_exception_fp_ieee_inexact 0
		.amdhsa_exception_int_div_zero 0
	.end_amdhsa_kernel
	.section	.text._ZN7rocprim17ROCPRIM_400000_NS6detail17trampoline_kernelINS0_13select_configILj256ELj13ELNS0_17block_load_methodE3ELS4_3ELS4_3ELNS0_20block_scan_algorithmE0ELj4294967295EEENS1_25partition_config_selectorILNS1_17partition_subalgoE4EjNS0_10empty_typeEbEEZZNS1_14partition_implILS8_4ELb0ES6_15HIP_vector_typeIjLj2EENS0_17counting_iteratorIjlEEPS9_SG_NS0_5tupleIJPjSI_NS0_16reverse_iteratorISI_EEEEENSH_IJSG_SG_SG_EEES9_SI_JZNS1_25segmented_radix_sort_implINS0_14default_configELb1EPK12hip_bfloat16PSP_PKlPlN2at6native12_GLOBAL__N_18offset_tEEE10hipError_tPvRmT1_PNSt15iterator_traitsIS13_E10value_typeET2_T3_PNS14_IS19_E10value_typeET4_jRbjT5_S1F_jjP12ihipStream_tbEUljE_ZNSN_ISO_Lb1ESR_SS_SU_SV_SZ_EES10_S11_S12_S13_S17_S18_S19_S1C_S1D_jS1E_jS1F_S1F_jjS1H_bEUljE0_EEES10_S11_S12_S19_S1D_S1F_T6_T7_T9_mT8_S1H_bDpT10_ENKUlT_T0_E_clISt17integral_constantIbLb1EES1V_EEDaS1Q_S1R_EUlS1Q_E_NS1_11comp_targetILNS1_3genE4ELNS1_11target_archE910ELNS1_3gpuE8ELNS1_3repE0EEENS1_30default_config_static_selectorELNS0_4arch9wavefront6targetE0EEEvS13_,"axG",@progbits,_ZN7rocprim17ROCPRIM_400000_NS6detail17trampoline_kernelINS0_13select_configILj256ELj13ELNS0_17block_load_methodE3ELS4_3ELS4_3ELNS0_20block_scan_algorithmE0ELj4294967295EEENS1_25partition_config_selectorILNS1_17partition_subalgoE4EjNS0_10empty_typeEbEEZZNS1_14partition_implILS8_4ELb0ES6_15HIP_vector_typeIjLj2EENS0_17counting_iteratorIjlEEPS9_SG_NS0_5tupleIJPjSI_NS0_16reverse_iteratorISI_EEEEENSH_IJSG_SG_SG_EEES9_SI_JZNS1_25segmented_radix_sort_implINS0_14default_configELb1EPK12hip_bfloat16PSP_PKlPlN2at6native12_GLOBAL__N_18offset_tEEE10hipError_tPvRmT1_PNSt15iterator_traitsIS13_E10value_typeET2_T3_PNS14_IS19_E10value_typeET4_jRbjT5_S1F_jjP12ihipStream_tbEUljE_ZNSN_ISO_Lb1ESR_SS_SU_SV_SZ_EES10_S11_S12_S13_S17_S18_S19_S1C_S1D_jS1E_jS1F_S1F_jjS1H_bEUljE0_EEES10_S11_S12_S19_S1D_S1F_T6_T7_T9_mT8_S1H_bDpT10_ENKUlT_T0_E_clISt17integral_constantIbLb1EES1V_EEDaS1Q_S1R_EUlS1Q_E_NS1_11comp_targetILNS1_3genE4ELNS1_11target_archE910ELNS1_3gpuE8ELNS1_3repE0EEENS1_30default_config_static_selectorELNS0_4arch9wavefront6targetE0EEEvS13_,comdat
.Lfunc_end1882:
	.size	_ZN7rocprim17ROCPRIM_400000_NS6detail17trampoline_kernelINS0_13select_configILj256ELj13ELNS0_17block_load_methodE3ELS4_3ELS4_3ELNS0_20block_scan_algorithmE0ELj4294967295EEENS1_25partition_config_selectorILNS1_17partition_subalgoE4EjNS0_10empty_typeEbEEZZNS1_14partition_implILS8_4ELb0ES6_15HIP_vector_typeIjLj2EENS0_17counting_iteratorIjlEEPS9_SG_NS0_5tupleIJPjSI_NS0_16reverse_iteratorISI_EEEEENSH_IJSG_SG_SG_EEES9_SI_JZNS1_25segmented_radix_sort_implINS0_14default_configELb1EPK12hip_bfloat16PSP_PKlPlN2at6native12_GLOBAL__N_18offset_tEEE10hipError_tPvRmT1_PNSt15iterator_traitsIS13_E10value_typeET2_T3_PNS14_IS19_E10value_typeET4_jRbjT5_S1F_jjP12ihipStream_tbEUljE_ZNSN_ISO_Lb1ESR_SS_SU_SV_SZ_EES10_S11_S12_S13_S17_S18_S19_S1C_S1D_jS1E_jS1F_S1F_jjS1H_bEUljE0_EEES10_S11_S12_S19_S1D_S1F_T6_T7_T9_mT8_S1H_bDpT10_ENKUlT_T0_E_clISt17integral_constantIbLb1EES1V_EEDaS1Q_S1R_EUlS1Q_E_NS1_11comp_targetILNS1_3genE4ELNS1_11target_archE910ELNS1_3gpuE8ELNS1_3repE0EEENS1_30default_config_static_selectorELNS0_4arch9wavefront6targetE0EEEvS13_, .Lfunc_end1882-_ZN7rocprim17ROCPRIM_400000_NS6detail17trampoline_kernelINS0_13select_configILj256ELj13ELNS0_17block_load_methodE3ELS4_3ELS4_3ELNS0_20block_scan_algorithmE0ELj4294967295EEENS1_25partition_config_selectorILNS1_17partition_subalgoE4EjNS0_10empty_typeEbEEZZNS1_14partition_implILS8_4ELb0ES6_15HIP_vector_typeIjLj2EENS0_17counting_iteratorIjlEEPS9_SG_NS0_5tupleIJPjSI_NS0_16reverse_iteratorISI_EEEEENSH_IJSG_SG_SG_EEES9_SI_JZNS1_25segmented_radix_sort_implINS0_14default_configELb1EPK12hip_bfloat16PSP_PKlPlN2at6native12_GLOBAL__N_18offset_tEEE10hipError_tPvRmT1_PNSt15iterator_traitsIS13_E10value_typeET2_T3_PNS14_IS19_E10value_typeET4_jRbjT5_S1F_jjP12ihipStream_tbEUljE_ZNSN_ISO_Lb1ESR_SS_SU_SV_SZ_EES10_S11_S12_S13_S17_S18_S19_S1C_S1D_jS1E_jS1F_S1F_jjS1H_bEUljE0_EEES10_S11_S12_S19_S1D_S1F_T6_T7_T9_mT8_S1H_bDpT10_ENKUlT_T0_E_clISt17integral_constantIbLb1EES1V_EEDaS1Q_S1R_EUlS1Q_E_NS1_11comp_targetILNS1_3genE4ELNS1_11target_archE910ELNS1_3gpuE8ELNS1_3repE0EEENS1_30default_config_static_selectorELNS0_4arch9wavefront6targetE0EEEvS13_
                                        ; -- End function
	.set _ZN7rocprim17ROCPRIM_400000_NS6detail17trampoline_kernelINS0_13select_configILj256ELj13ELNS0_17block_load_methodE3ELS4_3ELS4_3ELNS0_20block_scan_algorithmE0ELj4294967295EEENS1_25partition_config_selectorILNS1_17partition_subalgoE4EjNS0_10empty_typeEbEEZZNS1_14partition_implILS8_4ELb0ES6_15HIP_vector_typeIjLj2EENS0_17counting_iteratorIjlEEPS9_SG_NS0_5tupleIJPjSI_NS0_16reverse_iteratorISI_EEEEENSH_IJSG_SG_SG_EEES9_SI_JZNS1_25segmented_radix_sort_implINS0_14default_configELb1EPK12hip_bfloat16PSP_PKlPlN2at6native12_GLOBAL__N_18offset_tEEE10hipError_tPvRmT1_PNSt15iterator_traitsIS13_E10value_typeET2_T3_PNS14_IS19_E10value_typeET4_jRbjT5_S1F_jjP12ihipStream_tbEUljE_ZNSN_ISO_Lb1ESR_SS_SU_SV_SZ_EES10_S11_S12_S13_S17_S18_S19_S1C_S1D_jS1E_jS1F_S1F_jjS1H_bEUljE0_EEES10_S11_S12_S19_S1D_S1F_T6_T7_T9_mT8_S1H_bDpT10_ENKUlT_T0_E_clISt17integral_constantIbLb1EES1V_EEDaS1Q_S1R_EUlS1Q_E_NS1_11comp_targetILNS1_3genE4ELNS1_11target_archE910ELNS1_3gpuE8ELNS1_3repE0EEENS1_30default_config_static_selectorELNS0_4arch9wavefront6targetE0EEEvS13_.num_vgpr, 0
	.set _ZN7rocprim17ROCPRIM_400000_NS6detail17trampoline_kernelINS0_13select_configILj256ELj13ELNS0_17block_load_methodE3ELS4_3ELS4_3ELNS0_20block_scan_algorithmE0ELj4294967295EEENS1_25partition_config_selectorILNS1_17partition_subalgoE4EjNS0_10empty_typeEbEEZZNS1_14partition_implILS8_4ELb0ES6_15HIP_vector_typeIjLj2EENS0_17counting_iteratorIjlEEPS9_SG_NS0_5tupleIJPjSI_NS0_16reverse_iteratorISI_EEEEENSH_IJSG_SG_SG_EEES9_SI_JZNS1_25segmented_radix_sort_implINS0_14default_configELb1EPK12hip_bfloat16PSP_PKlPlN2at6native12_GLOBAL__N_18offset_tEEE10hipError_tPvRmT1_PNSt15iterator_traitsIS13_E10value_typeET2_T3_PNS14_IS19_E10value_typeET4_jRbjT5_S1F_jjP12ihipStream_tbEUljE_ZNSN_ISO_Lb1ESR_SS_SU_SV_SZ_EES10_S11_S12_S13_S17_S18_S19_S1C_S1D_jS1E_jS1F_S1F_jjS1H_bEUljE0_EEES10_S11_S12_S19_S1D_S1F_T6_T7_T9_mT8_S1H_bDpT10_ENKUlT_T0_E_clISt17integral_constantIbLb1EES1V_EEDaS1Q_S1R_EUlS1Q_E_NS1_11comp_targetILNS1_3genE4ELNS1_11target_archE910ELNS1_3gpuE8ELNS1_3repE0EEENS1_30default_config_static_selectorELNS0_4arch9wavefront6targetE0EEEvS13_.num_agpr, 0
	.set _ZN7rocprim17ROCPRIM_400000_NS6detail17trampoline_kernelINS0_13select_configILj256ELj13ELNS0_17block_load_methodE3ELS4_3ELS4_3ELNS0_20block_scan_algorithmE0ELj4294967295EEENS1_25partition_config_selectorILNS1_17partition_subalgoE4EjNS0_10empty_typeEbEEZZNS1_14partition_implILS8_4ELb0ES6_15HIP_vector_typeIjLj2EENS0_17counting_iteratorIjlEEPS9_SG_NS0_5tupleIJPjSI_NS0_16reverse_iteratorISI_EEEEENSH_IJSG_SG_SG_EEES9_SI_JZNS1_25segmented_radix_sort_implINS0_14default_configELb1EPK12hip_bfloat16PSP_PKlPlN2at6native12_GLOBAL__N_18offset_tEEE10hipError_tPvRmT1_PNSt15iterator_traitsIS13_E10value_typeET2_T3_PNS14_IS19_E10value_typeET4_jRbjT5_S1F_jjP12ihipStream_tbEUljE_ZNSN_ISO_Lb1ESR_SS_SU_SV_SZ_EES10_S11_S12_S13_S17_S18_S19_S1C_S1D_jS1E_jS1F_S1F_jjS1H_bEUljE0_EEES10_S11_S12_S19_S1D_S1F_T6_T7_T9_mT8_S1H_bDpT10_ENKUlT_T0_E_clISt17integral_constantIbLb1EES1V_EEDaS1Q_S1R_EUlS1Q_E_NS1_11comp_targetILNS1_3genE4ELNS1_11target_archE910ELNS1_3gpuE8ELNS1_3repE0EEENS1_30default_config_static_selectorELNS0_4arch9wavefront6targetE0EEEvS13_.numbered_sgpr, 0
	.set _ZN7rocprim17ROCPRIM_400000_NS6detail17trampoline_kernelINS0_13select_configILj256ELj13ELNS0_17block_load_methodE3ELS4_3ELS4_3ELNS0_20block_scan_algorithmE0ELj4294967295EEENS1_25partition_config_selectorILNS1_17partition_subalgoE4EjNS0_10empty_typeEbEEZZNS1_14partition_implILS8_4ELb0ES6_15HIP_vector_typeIjLj2EENS0_17counting_iteratorIjlEEPS9_SG_NS0_5tupleIJPjSI_NS0_16reverse_iteratorISI_EEEEENSH_IJSG_SG_SG_EEES9_SI_JZNS1_25segmented_radix_sort_implINS0_14default_configELb1EPK12hip_bfloat16PSP_PKlPlN2at6native12_GLOBAL__N_18offset_tEEE10hipError_tPvRmT1_PNSt15iterator_traitsIS13_E10value_typeET2_T3_PNS14_IS19_E10value_typeET4_jRbjT5_S1F_jjP12ihipStream_tbEUljE_ZNSN_ISO_Lb1ESR_SS_SU_SV_SZ_EES10_S11_S12_S13_S17_S18_S19_S1C_S1D_jS1E_jS1F_S1F_jjS1H_bEUljE0_EEES10_S11_S12_S19_S1D_S1F_T6_T7_T9_mT8_S1H_bDpT10_ENKUlT_T0_E_clISt17integral_constantIbLb1EES1V_EEDaS1Q_S1R_EUlS1Q_E_NS1_11comp_targetILNS1_3genE4ELNS1_11target_archE910ELNS1_3gpuE8ELNS1_3repE0EEENS1_30default_config_static_selectorELNS0_4arch9wavefront6targetE0EEEvS13_.num_named_barrier, 0
	.set _ZN7rocprim17ROCPRIM_400000_NS6detail17trampoline_kernelINS0_13select_configILj256ELj13ELNS0_17block_load_methodE3ELS4_3ELS4_3ELNS0_20block_scan_algorithmE0ELj4294967295EEENS1_25partition_config_selectorILNS1_17partition_subalgoE4EjNS0_10empty_typeEbEEZZNS1_14partition_implILS8_4ELb0ES6_15HIP_vector_typeIjLj2EENS0_17counting_iteratorIjlEEPS9_SG_NS0_5tupleIJPjSI_NS0_16reverse_iteratorISI_EEEEENSH_IJSG_SG_SG_EEES9_SI_JZNS1_25segmented_radix_sort_implINS0_14default_configELb1EPK12hip_bfloat16PSP_PKlPlN2at6native12_GLOBAL__N_18offset_tEEE10hipError_tPvRmT1_PNSt15iterator_traitsIS13_E10value_typeET2_T3_PNS14_IS19_E10value_typeET4_jRbjT5_S1F_jjP12ihipStream_tbEUljE_ZNSN_ISO_Lb1ESR_SS_SU_SV_SZ_EES10_S11_S12_S13_S17_S18_S19_S1C_S1D_jS1E_jS1F_S1F_jjS1H_bEUljE0_EEES10_S11_S12_S19_S1D_S1F_T6_T7_T9_mT8_S1H_bDpT10_ENKUlT_T0_E_clISt17integral_constantIbLb1EES1V_EEDaS1Q_S1R_EUlS1Q_E_NS1_11comp_targetILNS1_3genE4ELNS1_11target_archE910ELNS1_3gpuE8ELNS1_3repE0EEENS1_30default_config_static_selectorELNS0_4arch9wavefront6targetE0EEEvS13_.private_seg_size, 0
	.set _ZN7rocprim17ROCPRIM_400000_NS6detail17trampoline_kernelINS0_13select_configILj256ELj13ELNS0_17block_load_methodE3ELS4_3ELS4_3ELNS0_20block_scan_algorithmE0ELj4294967295EEENS1_25partition_config_selectorILNS1_17partition_subalgoE4EjNS0_10empty_typeEbEEZZNS1_14partition_implILS8_4ELb0ES6_15HIP_vector_typeIjLj2EENS0_17counting_iteratorIjlEEPS9_SG_NS0_5tupleIJPjSI_NS0_16reverse_iteratorISI_EEEEENSH_IJSG_SG_SG_EEES9_SI_JZNS1_25segmented_radix_sort_implINS0_14default_configELb1EPK12hip_bfloat16PSP_PKlPlN2at6native12_GLOBAL__N_18offset_tEEE10hipError_tPvRmT1_PNSt15iterator_traitsIS13_E10value_typeET2_T3_PNS14_IS19_E10value_typeET4_jRbjT5_S1F_jjP12ihipStream_tbEUljE_ZNSN_ISO_Lb1ESR_SS_SU_SV_SZ_EES10_S11_S12_S13_S17_S18_S19_S1C_S1D_jS1E_jS1F_S1F_jjS1H_bEUljE0_EEES10_S11_S12_S19_S1D_S1F_T6_T7_T9_mT8_S1H_bDpT10_ENKUlT_T0_E_clISt17integral_constantIbLb1EES1V_EEDaS1Q_S1R_EUlS1Q_E_NS1_11comp_targetILNS1_3genE4ELNS1_11target_archE910ELNS1_3gpuE8ELNS1_3repE0EEENS1_30default_config_static_selectorELNS0_4arch9wavefront6targetE0EEEvS13_.uses_vcc, 0
	.set _ZN7rocprim17ROCPRIM_400000_NS6detail17trampoline_kernelINS0_13select_configILj256ELj13ELNS0_17block_load_methodE3ELS4_3ELS4_3ELNS0_20block_scan_algorithmE0ELj4294967295EEENS1_25partition_config_selectorILNS1_17partition_subalgoE4EjNS0_10empty_typeEbEEZZNS1_14partition_implILS8_4ELb0ES6_15HIP_vector_typeIjLj2EENS0_17counting_iteratorIjlEEPS9_SG_NS0_5tupleIJPjSI_NS0_16reverse_iteratorISI_EEEEENSH_IJSG_SG_SG_EEES9_SI_JZNS1_25segmented_radix_sort_implINS0_14default_configELb1EPK12hip_bfloat16PSP_PKlPlN2at6native12_GLOBAL__N_18offset_tEEE10hipError_tPvRmT1_PNSt15iterator_traitsIS13_E10value_typeET2_T3_PNS14_IS19_E10value_typeET4_jRbjT5_S1F_jjP12ihipStream_tbEUljE_ZNSN_ISO_Lb1ESR_SS_SU_SV_SZ_EES10_S11_S12_S13_S17_S18_S19_S1C_S1D_jS1E_jS1F_S1F_jjS1H_bEUljE0_EEES10_S11_S12_S19_S1D_S1F_T6_T7_T9_mT8_S1H_bDpT10_ENKUlT_T0_E_clISt17integral_constantIbLb1EES1V_EEDaS1Q_S1R_EUlS1Q_E_NS1_11comp_targetILNS1_3genE4ELNS1_11target_archE910ELNS1_3gpuE8ELNS1_3repE0EEENS1_30default_config_static_selectorELNS0_4arch9wavefront6targetE0EEEvS13_.uses_flat_scratch, 0
	.set _ZN7rocprim17ROCPRIM_400000_NS6detail17trampoline_kernelINS0_13select_configILj256ELj13ELNS0_17block_load_methodE3ELS4_3ELS4_3ELNS0_20block_scan_algorithmE0ELj4294967295EEENS1_25partition_config_selectorILNS1_17partition_subalgoE4EjNS0_10empty_typeEbEEZZNS1_14partition_implILS8_4ELb0ES6_15HIP_vector_typeIjLj2EENS0_17counting_iteratorIjlEEPS9_SG_NS0_5tupleIJPjSI_NS0_16reverse_iteratorISI_EEEEENSH_IJSG_SG_SG_EEES9_SI_JZNS1_25segmented_radix_sort_implINS0_14default_configELb1EPK12hip_bfloat16PSP_PKlPlN2at6native12_GLOBAL__N_18offset_tEEE10hipError_tPvRmT1_PNSt15iterator_traitsIS13_E10value_typeET2_T3_PNS14_IS19_E10value_typeET4_jRbjT5_S1F_jjP12ihipStream_tbEUljE_ZNSN_ISO_Lb1ESR_SS_SU_SV_SZ_EES10_S11_S12_S13_S17_S18_S19_S1C_S1D_jS1E_jS1F_S1F_jjS1H_bEUljE0_EEES10_S11_S12_S19_S1D_S1F_T6_T7_T9_mT8_S1H_bDpT10_ENKUlT_T0_E_clISt17integral_constantIbLb1EES1V_EEDaS1Q_S1R_EUlS1Q_E_NS1_11comp_targetILNS1_3genE4ELNS1_11target_archE910ELNS1_3gpuE8ELNS1_3repE0EEENS1_30default_config_static_selectorELNS0_4arch9wavefront6targetE0EEEvS13_.has_dyn_sized_stack, 0
	.set _ZN7rocprim17ROCPRIM_400000_NS6detail17trampoline_kernelINS0_13select_configILj256ELj13ELNS0_17block_load_methodE3ELS4_3ELS4_3ELNS0_20block_scan_algorithmE0ELj4294967295EEENS1_25partition_config_selectorILNS1_17partition_subalgoE4EjNS0_10empty_typeEbEEZZNS1_14partition_implILS8_4ELb0ES6_15HIP_vector_typeIjLj2EENS0_17counting_iteratorIjlEEPS9_SG_NS0_5tupleIJPjSI_NS0_16reverse_iteratorISI_EEEEENSH_IJSG_SG_SG_EEES9_SI_JZNS1_25segmented_radix_sort_implINS0_14default_configELb1EPK12hip_bfloat16PSP_PKlPlN2at6native12_GLOBAL__N_18offset_tEEE10hipError_tPvRmT1_PNSt15iterator_traitsIS13_E10value_typeET2_T3_PNS14_IS19_E10value_typeET4_jRbjT5_S1F_jjP12ihipStream_tbEUljE_ZNSN_ISO_Lb1ESR_SS_SU_SV_SZ_EES10_S11_S12_S13_S17_S18_S19_S1C_S1D_jS1E_jS1F_S1F_jjS1H_bEUljE0_EEES10_S11_S12_S19_S1D_S1F_T6_T7_T9_mT8_S1H_bDpT10_ENKUlT_T0_E_clISt17integral_constantIbLb1EES1V_EEDaS1Q_S1R_EUlS1Q_E_NS1_11comp_targetILNS1_3genE4ELNS1_11target_archE910ELNS1_3gpuE8ELNS1_3repE0EEENS1_30default_config_static_selectorELNS0_4arch9wavefront6targetE0EEEvS13_.has_recursion, 0
	.set _ZN7rocprim17ROCPRIM_400000_NS6detail17trampoline_kernelINS0_13select_configILj256ELj13ELNS0_17block_load_methodE3ELS4_3ELS4_3ELNS0_20block_scan_algorithmE0ELj4294967295EEENS1_25partition_config_selectorILNS1_17partition_subalgoE4EjNS0_10empty_typeEbEEZZNS1_14partition_implILS8_4ELb0ES6_15HIP_vector_typeIjLj2EENS0_17counting_iteratorIjlEEPS9_SG_NS0_5tupleIJPjSI_NS0_16reverse_iteratorISI_EEEEENSH_IJSG_SG_SG_EEES9_SI_JZNS1_25segmented_radix_sort_implINS0_14default_configELb1EPK12hip_bfloat16PSP_PKlPlN2at6native12_GLOBAL__N_18offset_tEEE10hipError_tPvRmT1_PNSt15iterator_traitsIS13_E10value_typeET2_T3_PNS14_IS19_E10value_typeET4_jRbjT5_S1F_jjP12ihipStream_tbEUljE_ZNSN_ISO_Lb1ESR_SS_SU_SV_SZ_EES10_S11_S12_S13_S17_S18_S19_S1C_S1D_jS1E_jS1F_S1F_jjS1H_bEUljE0_EEES10_S11_S12_S19_S1D_S1F_T6_T7_T9_mT8_S1H_bDpT10_ENKUlT_T0_E_clISt17integral_constantIbLb1EES1V_EEDaS1Q_S1R_EUlS1Q_E_NS1_11comp_targetILNS1_3genE4ELNS1_11target_archE910ELNS1_3gpuE8ELNS1_3repE0EEENS1_30default_config_static_selectorELNS0_4arch9wavefront6targetE0EEEvS13_.has_indirect_call, 0
	.section	.AMDGPU.csdata,"",@progbits
; Kernel info:
; codeLenInByte = 0
; TotalNumSgprs: 0
; NumVgprs: 0
; ScratchSize: 0
; MemoryBound: 0
; FloatMode: 240
; IeeeMode: 1
; LDSByteSize: 0 bytes/workgroup (compile time only)
; SGPRBlocks: 0
; VGPRBlocks: 0
; NumSGPRsForWavesPerEU: 1
; NumVGPRsForWavesPerEU: 1
; Occupancy: 16
; WaveLimiterHint : 0
; COMPUTE_PGM_RSRC2:SCRATCH_EN: 0
; COMPUTE_PGM_RSRC2:USER_SGPR: 6
; COMPUTE_PGM_RSRC2:TRAP_HANDLER: 0
; COMPUTE_PGM_RSRC2:TGID_X_EN: 1
; COMPUTE_PGM_RSRC2:TGID_Y_EN: 0
; COMPUTE_PGM_RSRC2:TGID_Z_EN: 0
; COMPUTE_PGM_RSRC2:TIDIG_COMP_CNT: 0
	.section	.text._ZN7rocprim17ROCPRIM_400000_NS6detail17trampoline_kernelINS0_13select_configILj256ELj13ELNS0_17block_load_methodE3ELS4_3ELS4_3ELNS0_20block_scan_algorithmE0ELj4294967295EEENS1_25partition_config_selectorILNS1_17partition_subalgoE4EjNS0_10empty_typeEbEEZZNS1_14partition_implILS8_4ELb0ES6_15HIP_vector_typeIjLj2EENS0_17counting_iteratorIjlEEPS9_SG_NS0_5tupleIJPjSI_NS0_16reverse_iteratorISI_EEEEENSH_IJSG_SG_SG_EEES9_SI_JZNS1_25segmented_radix_sort_implINS0_14default_configELb1EPK12hip_bfloat16PSP_PKlPlN2at6native12_GLOBAL__N_18offset_tEEE10hipError_tPvRmT1_PNSt15iterator_traitsIS13_E10value_typeET2_T3_PNS14_IS19_E10value_typeET4_jRbjT5_S1F_jjP12ihipStream_tbEUljE_ZNSN_ISO_Lb1ESR_SS_SU_SV_SZ_EES10_S11_S12_S13_S17_S18_S19_S1C_S1D_jS1E_jS1F_S1F_jjS1H_bEUljE0_EEES10_S11_S12_S19_S1D_S1F_T6_T7_T9_mT8_S1H_bDpT10_ENKUlT_T0_E_clISt17integral_constantIbLb1EES1V_EEDaS1Q_S1R_EUlS1Q_E_NS1_11comp_targetILNS1_3genE3ELNS1_11target_archE908ELNS1_3gpuE7ELNS1_3repE0EEENS1_30default_config_static_selectorELNS0_4arch9wavefront6targetE0EEEvS13_,"axG",@progbits,_ZN7rocprim17ROCPRIM_400000_NS6detail17trampoline_kernelINS0_13select_configILj256ELj13ELNS0_17block_load_methodE3ELS4_3ELS4_3ELNS0_20block_scan_algorithmE0ELj4294967295EEENS1_25partition_config_selectorILNS1_17partition_subalgoE4EjNS0_10empty_typeEbEEZZNS1_14partition_implILS8_4ELb0ES6_15HIP_vector_typeIjLj2EENS0_17counting_iteratorIjlEEPS9_SG_NS0_5tupleIJPjSI_NS0_16reverse_iteratorISI_EEEEENSH_IJSG_SG_SG_EEES9_SI_JZNS1_25segmented_radix_sort_implINS0_14default_configELb1EPK12hip_bfloat16PSP_PKlPlN2at6native12_GLOBAL__N_18offset_tEEE10hipError_tPvRmT1_PNSt15iterator_traitsIS13_E10value_typeET2_T3_PNS14_IS19_E10value_typeET4_jRbjT5_S1F_jjP12ihipStream_tbEUljE_ZNSN_ISO_Lb1ESR_SS_SU_SV_SZ_EES10_S11_S12_S13_S17_S18_S19_S1C_S1D_jS1E_jS1F_S1F_jjS1H_bEUljE0_EEES10_S11_S12_S19_S1D_S1F_T6_T7_T9_mT8_S1H_bDpT10_ENKUlT_T0_E_clISt17integral_constantIbLb1EES1V_EEDaS1Q_S1R_EUlS1Q_E_NS1_11comp_targetILNS1_3genE3ELNS1_11target_archE908ELNS1_3gpuE7ELNS1_3repE0EEENS1_30default_config_static_selectorELNS0_4arch9wavefront6targetE0EEEvS13_,comdat
	.globl	_ZN7rocprim17ROCPRIM_400000_NS6detail17trampoline_kernelINS0_13select_configILj256ELj13ELNS0_17block_load_methodE3ELS4_3ELS4_3ELNS0_20block_scan_algorithmE0ELj4294967295EEENS1_25partition_config_selectorILNS1_17partition_subalgoE4EjNS0_10empty_typeEbEEZZNS1_14partition_implILS8_4ELb0ES6_15HIP_vector_typeIjLj2EENS0_17counting_iteratorIjlEEPS9_SG_NS0_5tupleIJPjSI_NS0_16reverse_iteratorISI_EEEEENSH_IJSG_SG_SG_EEES9_SI_JZNS1_25segmented_radix_sort_implINS0_14default_configELb1EPK12hip_bfloat16PSP_PKlPlN2at6native12_GLOBAL__N_18offset_tEEE10hipError_tPvRmT1_PNSt15iterator_traitsIS13_E10value_typeET2_T3_PNS14_IS19_E10value_typeET4_jRbjT5_S1F_jjP12ihipStream_tbEUljE_ZNSN_ISO_Lb1ESR_SS_SU_SV_SZ_EES10_S11_S12_S13_S17_S18_S19_S1C_S1D_jS1E_jS1F_S1F_jjS1H_bEUljE0_EEES10_S11_S12_S19_S1D_S1F_T6_T7_T9_mT8_S1H_bDpT10_ENKUlT_T0_E_clISt17integral_constantIbLb1EES1V_EEDaS1Q_S1R_EUlS1Q_E_NS1_11comp_targetILNS1_3genE3ELNS1_11target_archE908ELNS1_3gpuE7ELNS1_3repE0EEENS1_30default_config_static_selectorELNS0_4arch9wavefront6targetE0EEEvS13_ ; -- Begin function _ZN7rocprim17ROCPRIM_400000_NS6detail17trampoline_kernelINS0_13select_configILj256ELj13ELNS0_17block_load_methodE3ELS4_3ELS4_3ELNS0_20block_scan_algorithmE0ELj4294967295EEENS1_25partition_config_selectorILNS1_17partition_subalgoE4EjNS0_10empty_typeEbEEZZNS1_14partition_implILS8_4ELb0ES6_15HIP_vector_typeIjLj2EENS0_17counting_iteratorIjlEEPS9_SG_NS0_5tupleIJPjSI_NS0_16reverse_iteratorISI_EEEEENSH_IJSG_SG_SG_EEES9_SI_JZNS1_25segmented_radix_sort_implINS0_14default_configELb1EPK12hip_bfloat16PSP_PKlPlN2at6native12_GLOBAL__N_18offset_tEEE10hipError_tPvRmT1_PNSt15iterator_traitsIS13_E10value_typeET2_T3_PNS14_IS19_E10value_typeET4_jRbjT5_S1F_jjP12ihipStream_tbEUljE_ZNSN_ISO_Lb1ESR_SS_SU_SV_SZ_EES10_S11_S12_S13_S17_S18_S19_S1C_S1D_jS1E_jS1F_S1F_jjS1H_bEUljE0_EEES10_S11_S12_S19_S1D_S1F_T6_T7_T9_mT8_S1H_bDpT10_ENKUlT_T0_E_clISt17integral_constantIbLb1EES1V_EEDaS1Q_S1R_EUlS1Q_E_NS1_11comp_targetILNS1_3genE3ELNS1_11target_archE908ELNS1_3gpuE7ELNS1_3repE0EEENS1_30default_config_static_selectorELNS0_4arch9wavefront6targetE0EEEvS13_
	.p2align	8
	.type	_ZN7rocprim17ROCPRIM_400000_NS6detail17trampoline_kernelINS0_13select_configILj256ELj13ELNS0_17block_load_methodE3ELS4_3ELS4_3ELNS0_20block_scan_algorithmE0ELj4294967295EEENS1_25partition_config_selectorILNS1_17partition_subalgoE4EjNS0_10empty_typeEbEEZZNS1_14partition_implILS8_4ELb0ES6_15HIP_vector_typeIjLj2EENS0_17counting_iteratorIjlEEPS9_SG_NS0_5tupleIJPjSI_NS0_16reverse_iteratorISI_EEEEENSH_IJSG_SG_SG_EEES9_SI_JZNS1_25segmented_radix_sort_implINS0_14default_configELb1EPK12hip_bfloat16PSP_PKlPlN2at6native12_GLOBAL__N_18offset_tEEE10hipError_tPvRmT1_PNSt15iterator_traitsIS13_E10value_typeET2_T3_PNS14_IS19_E10value_typeET4_jRbjT5_S1F_jjP12ihipStream_tbEUljE_ZNSN_ISO_Lb1ESR_SS_SU_SV_SZ_EES10_S11_S12_S13_S17_S18_S19_S1C_S1D_jS1E_jS1F_S1F_jjS1H_bEUljE0_EEES10_S11_S12_S19_S1D_S1F_T6_T7_T9_mT8_S1H_bDpT10_ENKUlT_T0_E_clISt17integral_constantIbLb1EES1V_EEDaS1Q_S1R_EUlS1Q_E_NS1_11comp_targetILNS1_3genE3ELNS1_11target_archE908ELNS1_3gpuE7ELNS1_3repE0EEENS1_30default_config_static_selectorELNS0_4arch9wavefront6targetE0EEEvS13_,@function
_ZN7rocprim17ROCPRIM_400000_NS6detail17trampoline_kernelINS0_13select_configILj256ELj13ELNS0_17block_load_methodE3ELS4_3ELS4_3ELNS0_20block_scan_algorithmE0ELj4294967295EEENS1_25partition_config_selectorILNS1_17partition_subalgoE4EjNS0_10empty_typeEbEEZZNS1_14partition_implILS8_4ELb0ES6_15HIP_vector_typeIjLj2EENS0_17counting_iteratorIjlEEPS9_SG_NS0_5tupleIJPjSI_NS0_16reverse_iteratorISI_EEEEENSH_IJSG_SG_SG_EEES9_SI_JZNS1_25segmented_radix_sort_implINS0_14default_configELb1EPK12hip_bfloat16PSP_PKlPlN2at6native12_GLOBAL__N_18offset_tEEE10hipError_tPvRmT1_PNSt15iterator_traitsIS13_E10value_typeET2_T3_PNS14_IS19_E10value_typeET4_jRbjT5_S1F_jjP12ihipStream_tbEUljE_ZNSN_ISO_Lb1ESR_SS_SU_SV_SZ_EES10_S11_S12_S13_S17_S18_S19_S1C_S1D_jS1E_jS1F_S1F_jjS1H_bEUljE0_EEES10_S11_S12_S19_S1D_S1F_T6_T7_T9_mT8_S1H_bDpT10_ENKUlT_T0_E_clISt17integral_constantIbLb1EES1V_EEDaS1Q_S1R_EUlS1Q_E_NS1_11comp_targetILNS1_3genE3ELNS1_11target_archE908ELNS1_3gpuE7ELNS1_3repE0EEENS1_30default_config_static_selectorELNS0_4arch9wavefront6targetE0EEEvS13_: ; @_ZN7rocprim17ROCPRIM_400000_NS6detail17trampoline_kernelINS0_13select_configILj256ELj13ELNS0_17block_load_methodE3ELS4_3ELS4_3ELNS0_20block_scan_algorithmE0ELj4294967295EEENS1_25partition_config_selectorILNS1_17partition_subalgoE4EjNS0_10empty_typeEbEEZZNS1_14partition_implILS8_4ELb0ES6_15HIP_vector_typeIjLj2EENS0_17counting_iteratorIjlEEPS9_SG_NS0_5tupleIJPjSI_NS0_16reverse_iteratorISI_EEEEENSH_IJSG_SG_SG_EEES9_SI_JZNS1_25segmented_radix_sort_implINS0_14default_configELb1EPK12hip_bfloat16PSP_PKlPlN2at6native12_GLOBAL__N_18offset_tEEE10hipError_tPvRmT1_PNSt15iterator_traitsIS13_E10value_typeET2_T3_PNS14_IS19_E10value_typeET4_jRbjT5_S1F_jjP12ihipStream_tbEUljE_ZNSN_ISO_Lb1ESR_SS_SU_SV_SZ_EES10_S11_S12_S13_S17_S18_S19_S1C_S1D_jS1E_jS1F_S1F_jjS1H_bEUljE0_EEES10_S11_S12_S19_S1D_S1F_T6_T7_T9_mT8_S1H_bDpT10_ENKUlT_T0_E_clISt17integral_constantIbLb1EES1V_EEDaS1Q_S1R_EUlS1Q_E_NS1_11comp_targetILNS1_3genE3ELNS1_11target_archE908ELNS1_3gpuE7ELNS1_3repE0EEENS1_30default_config_static_selectorELNS0_4arch9wavefront6targetE0EEEvS13_
; %bb.0:
	.section	.rodata,"a",@progbits
	.p2align	6, 0x0
	.amdhsa_kernel _ZN7rocprim17ROCPRIM_400000_NS6detail17trampoline_kernelINS0_13select_configILj256ELj13ELNS0_17block_load_methodE3ELS4_3ELS4_3ELNS0_20block_scan_algorithmE0ELj4294967295EEENS1_25partition_config_selectorILNS1_17partition_subalgoE4EjNS0_10empty_typeEbEEZZNS1_14partition_implILS8_4ELb0ES6_15HIP_vector_typeIjLj2EENS0_17counting_iteratorIjlEEPS9_SG_NS0_5tupleIJPjSI_NS0_16reverse_iteratorISI_EEEEENSH_IJSG_SG_SG_EEES9_SI_JZNS1_25segmented_radix_sort_implINS0_14default_configELb1EPK12hip_bfloat16PSP_PKlPlN2at6native12_GLOBAL__N_18offset_tEEE10hipError_tPvRmT1_PNSt15iterator_traitsIS13_E10value_typeET2_T3_PNS14_IS19_E10value_typeET4_jRbjT5_S1F_jjP12ihipStream_tbEUljE_ZNSN_ISO_Lb1ESR_SS_SU_SV_SZ_EES10_S11_S12_S13_S17_S18_S19_S1C_S1D_jS1E_jS1F_S1F_jjS1H_bEUljE0_EEES10_S11_S12_S19_S1D_S1F_T6_T7_T9_mT8_S1H_bDpT10_ENKUlT_T0_E_clISt17integral_constantIbLb1EES1V_EEDaS1Q_S1R_EUlS1Q_E_NS1_11comp_targetILNS1_3genE3ELNS1_11target_archE908ELNS1_3gpuE7ELNS1_3repE0EEENS1_30default_config_static_selectorELNS0_4arch9wavefront6targetE0EEEvS13_
		.amdhsa_group_segment_fixed_size 0
		.amdhsa_private_segment_fixed_size 0
		.amdhsa_kernarg_size 184
		.amdhsa_user_sgpr_count 6
		.amdhsa_user_sgpr_private_segment_buffer 1
		.amdhsa_user_sgpr_dispatch_ptr 0
		.amdhsa_user_sgpr_queue_ptr 0
		.amdhsa_user_sgpr_kernarg_segment_ptr 1
		.amdhsa_user_sgpr_dispatch_id 0
		.amdhsa_user_sgpr_flat_scratch_init 0
		.amdhsa_user_sgpr_private_segment_size 0
		.amdhsa_wavefront_size32 1
		.amdhsa_uses_dynamic_stack 0
		.amdhsa_system_sgpr_private_segment_wavefront_offset 0
		.amdhsa_system_sgpr_workgroup_id_x 1
		.amdhsa_system_sgpr_workgroup_id_y 0
		.amdhsa_system_sgpr_workgroup_id_z 0
		.amdhsa_system_sgpr_workgroup_info 0
		.amdhsa_system_vgpr_workitem_id 0
		.amdhsa_next_free_vgpr 1
		.amdhsa_next_free_sgpr 1
		.amdhsa_reserve_vcc 0
		.amdhsa_reserve_flat_scratch 0
		.amdhsa_float_round_mode_32 0
		.amdhsa_float_round_mode_16_64 0
		.amdhsa_float_denorm_mode_32 3
		.amdhsa_float_denorm_mode_16_64 3
		.amdhsa_dx10_clamp 1
		.amdhsa_ieee_mode 1
		.amdhsa_fp16_overflow 0
		.amdhsa_workgroup_processor_mode 1
		.amdhsa_memory_ordered 1
		.amdhsa_forward_progress 1
		.amdhsa_shared_vgpr_count 0
		.amdhsa_exception_fp_ieee_invalid_op 0
		.amdhsa_exception_fp_denorm_src 0
		.amdhsa_exception_fp_ieee_div_zero 0
		.amdhsa_exception_fp_ieee_overflow 0
		.amdhsa_exception_fp_ieee_underflow 0
		.amdhsa_exception_fp_ieee_inexact 0
		.amdhsa_exception_int_div_zero 0
	.end_amdhsa_kernel
	.section	.text._ZN7rocprim17ROCPRIM_400000_NS6detail17trampoline_kernelINS0_13select_configILj256ELj13ELNS0_17block_load_methodE3ELS4_3ELS4_3ELNS0_20block_scan_algorithmE0ELj4294967295EEENS1_25partition_config_selectorILNS1_17partition_subalgoE4EjNS0_10empty_typeEbEEZZNS1_14partition_implILS8_4ELb0ES6_15HIP_vector_typeIjLj2EENS0_17counting_iteratorIjlEEPS9_SG_NS0_5tupleIJPjSI_NS0_16reverse_iteratorISI_EEEEENSH_IJSG_SG_SG_EEES9_SI_JZNS1_25segmented_radix_sort_implINS0_14default_configELb1EPK12hip_bfloat16PSP_PKlPlN2at6native12_GLOBAL__N_18offset_tEEE10hipError_tPvRmT1_PNSt15iterator_traitsIS13_E10value_typeET2_T3_PNS14_IS19_E10value_typeET4_jRbjT5_S1F_jjP12ihipStream_tbEUljE_ZNSN_ISO_Lb1ESR_SS_SU_SV_SZ_EES10_S11_S12_S13_S17_S18_S19_S1C_S1D_jS1E_jS1F_S1F_jjS1H_bEUljE0_EEES10_S11_S12_S19_S1D_S1F_T6_T7_T9_mT8_S1H_bDpT10_ENKUlT_T0_E_clISt17integral_constantIbLb1EES1V_EEDaS1Q_S1R_EUlS1Q_E_NS1_11comp_targetILNS1_3genE3ELNS1_11target_archE908ELNS1_3gpuE7ELNS1_3repE0EEENS1_30default_config_static_selectorELNS0_4arch9wavefront6targetE0EEEvS13_,"axG",@progbits,_ZN7rocprim17ROCPRIM_400000_NS6detail17trampoline_kernelINS0_13select_configILj256ELj13ELNS0_17block_load_methodE3ELS4_3ELS4_3ELNS0_20block_scan_algorithmE0ELj4294967295EEENS1_25partition_config_selectorILNS1_17partition_subalgoE4EjNS0_10empty_typeEbEEZZNS1_14partition_implILS8_4ELb0ES6_15HIP_vector_typeIjLj2EENS0_17counting_iteratorIjlEEPS9_SG_NS0_5tupleIJPjSI_NS0_16reverse_iteratorISI_EEEEENSH_IJSG_SG_SG_EEES9_SI_JZNS1_25segmented_radix_sort_implINS0_14default_configELb1EPK12hip_bfloat16PSP_PKlPlN2at6native12_GLOBAL__N_18offset_tEEE10hipError_tPvRmT1_PNSt15iterator_traitsIS13_E10value_typeET2_T3_PNS14_IS19_E10value_typeET4_jRbjT5_S1F_jjP12ihipStream_tbEUljE_ZNSN_ISO_Lb1ESR_SS_SU_SV_SZ_EES10_S11_S12_S13_S17_S18_S19_S1C_S1D_jS1E_jS1F_S1F_jjS1H_bEUljE0_EEES10_S11_S12_S19_S1D_S1F_T6_T7_T9_mT8_S1H_bDpT10_ENKUlT_T0_E_clISt17integral_constantIbLb1EES1V_EEDaS1Q_S1R_EUlS1Q_E_NS1_11comp_targetILNS1_3genE3ELNS1_11target_archE908ELNS1_3gpuE7ELNS1_3repE0EEENS1_30default_config_static_selectorELNS0_4arch9wavefront6targetE0EEEvS13_,comdat
.Lfunc_end1883:
	.size	_ZN7rocprim17ROCPRIM_400000_NS6detail17trampoline_kernelINS0_13select_configILj256ELj13ELNS0_17block_load_methodE3ELS4_3ELS4_3ELNS0_20block_scan_algorithmE0ELj4294967295EEENS1_25partition_config_selectorILNS1_17partition_subalgoE4EjNS0_10empty_typeEbEEZZNS1_14partition_implILS8_4ELb0ES6_15HIP_vector_typeIjLj2EENS0_17counting_iteratorIjlEEPS9_SG_NS0_5tupleIJPjSI_NS0_16reverse_iteratorISI_EEEEENSH_IJSG_SG_SG_EEES9_SI_JZNS1_25segmented_radix_sort_implINS0_14default_configELb1EPK12hip_bfloat16PSP_PKlPlN2at6native12_GLOBAL__N_18offset_tEEE10hipError_tPvRmT1_PNSt15iterator_traitsIS13_E10value_typeET2_T3_PNS14_IS19_E10value_typeET4_jRbjT5_S1F_jjP12ihipStream_tbEUljE_ZNSN_ISO_Lb1ESR_SS_SU_SV_SZ_EES10_S11_S12_S13_S17_S18_S19_S1C_S1D_jS1E_jS1F_S1F_jjS1H_bEUljE0_EEES10_S11_S12_S19_S1D_S1F_T6_T7_T9_mT8_S1H_bDpT10_ENKUlT_T0_E_clISt17integral_constantIbLb1EES1V_EEDaS1Q_S1R_EUlS1Q_E_NS1_11comp_targetILNS1_3genE3ELNS1_11target_archE908ELNS1_3gpuE7ELNS1_3repE0EEENS1_30default_config_static_selectorELNS0_4arch9wavefront6targetE0EEEvS13_, .Lfunc_end1883-_ZN7rocprim17ROCPRIM_400000_NS6detail17trampoline_kernelINS0_13select_configILj256ELj13ELNS0_17block_load_methodE3ELS4_3ELS4_3ELNS0_20block_scan_algorithmE0ELj4294967295EEENS1_25partition_config_selectorILNS1_17partition_subalgoE4EjNS0_10empty_typeEbEEZZNS1_14partition_implILS8_4ELb0ES6_15HIP_vector_typeIjLj2EENS0_17counting_iteratorIjlEEPS9_SG_NS0_5tupleIJPjSI_NS0_16reverse_iteratorISI_EEEEENSH_IJSG_SG_SG_EEES9_SI_JZNS1_25segmented_radix_sort_implINS0_14default_configELb1EPK12hip_bfloat16PSP_PKlPlN2at6native12_GLOBAL__N_18offset_tEEE10hipError_tPvRmT1_PNSt15iterator_traitsIS13_E10value_typeET2_T3_PNS14_IS19_E10value_typeET4_jRbjT5_S1F_jjP12ihipStream_tbEUljE_ZNSN_ISO_Lb1ESR_SS_SU_SV_SZ_EES10_S11_S12_S13_S17_S18_S19_S1C_S1D_jS1E_jS1F_S1F_jjS1H_bEUljE0_EEES10_S11_S12_S19_S1D_S1F_T6_T7_T9_mT8_S1H_bDpT10_ENKUlT_T0_E_clISt17integral_constantIbLb1EES1V_EEDaS1Q_S1R_EUlS1Q_E_NS1_11comp_targetILNS1_3genE3ELNS1_11target_archE908ELNS1_3gpuE7ELNS1_3repE0EEENS1_30default_config_static_selectorELNS0_4arch9wavefront6targetE0EEEvS13_
                                        ; -- End function
	.set _ZN7rocprim17ROCPRIM_400000_NS6detail17trampoline_kernelINS0_13select_configILj256ELj13ELNS0_17block_load_methodE3ELS4_3ELS4_3ELNS0_20block_scan_algorithmE0ELj4294967295EEENS1_25partition_config_selectorILNS1_17partition_subalgoE4EjNS0_10empty_typeEbEEZZNS1_14partition_implILS8_4ELb0ES6_15HIP_vector_typeIjLj2EENS0_17counting_iteratorIjlEEPS9_SG_NS0_5tupleIJPjSI_NS0_16reverse_iteratorISI_EEEEENSH_IJSG_SG_SG_EEES9_SI_JZNS1_25segmented_radix_sort_implINS0_14default_configELb1EPK12hip_bfloat16PSP_PKlPlN2at6native12_GLOBAL__N_18offset_tEEE10hipError_tPvRmT1_PNSt15iterator_traitsIS13_E10value_typeET2_T3_PNS14_IS19_E10value_typeET4_jRbjT5_S1F_jjP12ihipStream_tbEUljE_ZNSN_ISO_Lb1ESR_SS_SU_SV_SZ_EES10_S11_S12_S13_S17_S18_S19_S1C_S1D_jS1E_jS1F_S1F_jjS1H_bEUljE0_EEES10_S11_S12_S19_S1D_S1F_T6_T7_T9_mT8_S1H_bDpT10_ENKUlT_T0_E_clISt17integral_constantIbLb1EES1V_EEDaS1Q_S1R_EUlS1Q_E_NS1_11comp_targetILNS1_3genE3ELNS1_11target_archE908ELNS1_3gpuE7ELNS1_3repE0EEENS1_30default_config_static_selectorELNS0_4arch9wavefront6targetE0EEEvS13_.num_vgpr, 0
	.set _ZN7rocprim17ROCPRIM_400000_NS6detail17trampoline_kernelINS0_13select_configILj256ELj13ELNS0_17block_load_methodE3ELS4_3ELS4_3ELNS0_20block_scan_algorithmE0ELj4294967295EEENS1_25partition_config_selectorILNS1_17partition_subalgoE4EjNS0_10empty_typeEbEEZZNS1_14partition_implILS8_4ELb0ES6_15HIP_vector_typeIjLj2EENS0_17counting_iteratorIjlEEPS9_SG_NS0_5tupleIJPjSI_NS0_16reverse_iteratorISI_EEEEENSH_IJSG_SG_SG_EEES9_SI_JZNS1_25segmented_radix_sort_implINS0_14default_configELb1EPK12hip_bfloat16PSP_PKlPlN2at6native12_GLOBAL__N_18offset_tEEE10hipError_tPvRmT1_PNSt15iterator_traitsIS13_E10value_typeET2_T3_PNS14_IS19_E10value_typeET4_jRbjT5_S1F_jjP12ihipStream_tbEUljE_ZNSN_ISO_Lb1ESR_SS_SU_SV_SZ_EES10_S11_S12_S13_S17_S18_S19_S1C_S1D_jS1E_jS1F_S1F_jjS1H_bEUljE0_EEES10_S11_S12_S19_S1D_S1F_T6_T7_T9_mT8_S1H_bDpT10_ENKUlT_T0_E_clISt17integral_constantIbLb1EES1V_EEDaS1Q_S1R_EUlS1Q_E_NS1_11comp_targetILNS1_3genE3ELNS1_11target_archE908ELNS1_3gpuE7ELNS1_3repE0EEENS1_30default_config_static_selectorELNS0_4arch9wavefront6targetE0EEEvS13_.num_agpr, 0
	.set _ZN7rocprim17ROCPRIM_400000_NS6detail17trampoline_kernelINS0_13select_configILj256ELj13ELNS0_17block_load_methodE3ELS4_3ELS4_3ELNS0_20block_scan_algorithmE0ELj4294967295EEENS1_25partition_config_selectorILNS1_17partition_subalgoE4EjNS0_10empty_typeEbEEZZNS1_14partition_implILS8_4ELb0ES6_15HIP_vector_typeIjLj2EENS0_17counting_iteratorIjlEEPS9_SG_NS0_5tupleIJPjSI_NS0_16reverse_iteratorISI_EEEEENSH_IJSG_SG_SG_EEES9_SI_JZNS1_25segmented_radix_sort_implINS0_14default_configELb1EPK12hip_bfloat16PSP_PKlPlN2at6native12_GLOBAL__N_18offset_tEEE10hipError_tPvRmT1_PNSt15iterator_traitsIS13_E10value_typeET2_T3_PNS14_IS19_E10value_typeET4_jRbjT5_S1F_jjP12ihipStream_tbEUljE_ZNSN_ISO_Lb1ESR_SS_SU_SV_SZ_EES10_S11_S12_S13_S17_S18_S19_S1C_S1D_jS1E_jS1F_S1F_jjS1H_bEUljE0_EEES10_S11_S12_S19_S1D_S1F_T6_T7_T9_mT8_S1H_bDpT10_ENKUlT_T0_E_clISt17integral_constantIbLb1EES1V_EEDaS1Q_S1R_EUlS1Q_E_NS1_11comp_targetILNS1_3genE3ELNS1_11target_archE908ELNS1_3gpuE7ELNS1_3repE0EEENS1_30default_config_static_selectorELNS0_4arch9wavefront6targetE0EEEvS13_.numbered_sgpr, 0
	.set _ZN7rocprim17ROCPRIM_400000_NS6detail17trampoline_kernelINS0_13select_configILj256ELj13ELNS0_17block_load_methodE3ELS4_3ELS4_3ELNS0_20block_scan_algorithmE0ELj4294967295EEENS1_25partition_config_selectorILNS1_17partition_subalgoE4EjNS0_10empty_typeEbEEZZNS1_14partition_implILS8_4ELb0ES6_15HIP_vector_typeIjLj2EENS0_17counting_iteratorIjlEEPS9_SG_NS0_5tupleIJPjSI_NS0_16reverse_iteratorISI_EEEEENSH_IJSG_SG_SG_EEES9_SI_JZNS1_25segmented_radix_sort_implINS0_14default_configELb1EPK12hip_bfloat16PSP_PKlPlN2at6native12_GLOBAL__N_18offset_tEEE10hipError_tPvRmT1_PNSt15iterator_traitsIS13_E10value_typeET2_T3_PNS14_IS19_E10value_typeET4_jRbjT5_S1F_jjP12ihipStream_tbEUljE_ZNSN_ISO_Lb1ESR_SS_SU_SV_SZ_EES10_S11_S12_S13_S17_S18_S19_S1C_S1D_jS1E_jS1F_S1F_jjS1H_bEUljE0_EEES10_S11_S12_S19_S1D_S1F_T6_T7_T9_mT8_S1H_bDpT10_ENKUlT_T0_E_clISt17integral_constantIbLb1EES1V_EEDaS1Q_S1R_EUlS1Q_E_NS1_11comp_targetILNS1_3genE3ELNS1_11target_archE908ELNS1_3gpuE7ELNS1_3repE0EEENS1_30default_config_static_selectorELNS0_4arch9wavefront6targetE0EEEvS13_.num_named_barrier, 0
	.set _ZN7rocprim17ROCPRIM_400000_NS6detail17trampoline_kernelINS0_13select_configILj256ELj13ELNS0_17block_load_methodE3ELS4_3ELS4_3ELNS0_20block_scan_algorithmE0ELj4294967295EEENS1_25partition_config_selectorILNS1_17partition_subalgoE4EjNS0_10empty_typeEbEEZZNS1_14partition_implILS8_4ELb0ES6_15HIP_vector_typeIjLj2EENS0_17counting_iteratorIjlEEPS9_SG_NS0_5tupleIJPjSI_NS0_16reverse_iteratorISI_EEEEENSH_IJSG_SG_SG_EEES9_SI_JZNS1_25segmented_radix_sort_implINS0_14default_configELb1EPK12hip_bfloat16PSP_PKlPlN2at6native12_GLOBAL__N_18offset_tEEE10hipError_tPvRmT1_PNSt15iterator_traitsIS13_E10value_typeET2_T3_PNS14_IS19_E10value_typeET4_jRbjT5_S1F_jjP12ihipStream_tbEUljE_ZNSN_ISO_Lb1ESR_SS_SU_SV_SZ_EES10_S11_S12_S13_S17_S18_S19_S1C_S1D_jS1E_jS1F_S1F_jjS1H_bEUljE0_EEES10_S11_S12_S19_S1D_S1F_T6_T7_T9_mT8_S1H_bDpT10_ENKUlT_T0_E_clISt17integral_constantIbLb1EES1V_EEDaS1Q_S1R_EUlS1Q_E_NS1_11comp_targetILNS1_3genE3ELNS1_11target_archE908ELNS1_3gpuE7ELNS1_3repE0EEENS1_30default_config_static_selectorELNS0_4arch9wavefront6targetE0EEEvS13_.private_seg_size, 0
	.set _ZN7rocprim17ROCPRIM_400000_NS6detail17trampoline_kernelINS0_13select_configILj256ELj13ELNS0_17block_load_methodE3ELS4_3ELS4_3ELNS0_20block_scan_algorithmE0ELj4294967295EEENS1_25partition_config_selectorILNS1_17partition_subalgoE4EjNS0_10empty_typeEbEEZZNS1_14partition_implILS8_4ELb0ES6_15HIP_vector_typeIjLj2EENS0_17counting_iteratorIjlEEPS9_SG_NS0_5tupleIJPjSI_NS0_16reverse_iteratorISI_EEEEENSH_IJSG_SG_SG_EEES9_SI_JZNS1_25segmented_radix_sort_implINS0_14default_configELb1EPK12hip_bfloat16PSP_PKlPlN2at6native12_GLOBAL__N_18offset_tEEE10hipError_tPvRmT1_PNSt15iterator_traitsIS13_E10value_typeET2_T3_PNS14_IS19_E10value_typeET4_jRbjT5_S1F_jjP12ihipStream_tbEUljE_ZNSN_ISO_Lb1ESR_SS_SU_SV_SZ_EES10_S11_S12_S13_S17_S18_S19_S1C_S1D_jS1E_jS1F_S1F_jjS1H_bEUljE0_EEES10_S11_S12_S19_S1D_S1F_T6_T7_T9_mT8_S1H_bDpT10_ENKUlT_T0_E_clISt17integral_constantIbLb1EES1V_EEDaS1Q_S1R_EUlS1Q_E_NS1_11comp_targetILNS1_3genE3ELNS1_11target_archE908ELNS1_3gpuE7ELNS1_3repE0EEENS1_30default_config_static_selectorELNS0_4arch9wavefront6targetE0EEEvS13_.uses_vcc, 0
	.set _ZN7rocprim17ROCPRIM_400000_NS6detail17trampoline_kernelINS0_13select_configILj256ELj13ELNS0_17block_load_methodE3ELS4_3ELS4_3ELNS0_20block_scan_algorithmE0ELj4294967295EEENS1_25partition_config_selectorILNS1_17partition_subalgoE4EjNS0_10empty_typeEbEEZZNS1_14partition_implILS8_4ELb0ES6_15HIP_vector_typeIjLj2EENS0_17counting_iteratorIjlEEPS9_SG_NS0_5tupleIJPjSI_NS0_16reverse_iteratorISI_EEEEENSH_IJSG_SG_SG_EEES9_SI_JZNS1_25segmented_radix_sort_implINS0_14default_configELb1EPK12hip_bfloat16PSP_PKlPlN2at6native12_GLOBAL__N_18offset_tEEE10hipError_tPvRmT1_PNSt15iterator_traitsIS13_E10value_typeET2_T3_PNS14_IS19_E10value_typeET4_jRbjT5_S1F_jjP12ihipStream_tbEUljE_ZNSN_ISO_Lb1ESR_SS_SU_SV_SZ_EES10_S11_S12_S13_S17_S18_S19_S1C_S1D_jS1E_jS1F_S1F_jjS1H_bEUljE0_EEES10_S11_S12_S19_S1D_S1F_T6_T7_T9_mT8_S1H_bDpT10_ENKUlT_T0_E_clISt17integral_constantIbLb1EES1V_EEDaS1Q_S1R_EUlS1Q_E_NS1_11comp_targetILNS1_3genE3ELNS1_11target_archE908ELNS1_3gpuE7ELNS1_3repE0EEENS1_30default_config_static_selectorELNS0_4arch9wavefront6targetE0EEEvS13_.uses_flat_scratch, 0
	.set _ZN7rocprim17ROCPRIM_400000_NS6detail17trampoline_kernelINS0_13select_configILj256ELj13ELNS0_17block_load_methodE3ELS4_3ELS4_3ELNS0_20block_scan_algorithmE0ELj4294967295EEENS1_25partition_config_selectorILNS1_17partition_subalgoE4EjNS0_10empty_typeEbEEZZNS1_14partition_implILS8_4ELb0ES6_15HIP_vector_typeIjLj2EENS0_17counting_iteratorIjlEEPS9_SG_NS0_5tupleIJPjSI_NS0_16reverse_iteratorISI_EEEEENSH_IJSG_SG_SG_EEES9_SI_JZNS1_25segmented_radix_sort_implINS0_14default_configELb1EPK12hip_bfloat16PSP_PKlPlN2at6native12_GLOBAL__N_18offset_tEEE10hipError_tPvRmT1_PNSt15iterator_traitsIS13_E10value_typeET2_T3_PNS14_IS19_E10value_typeET4_jRbjT5_S1F_jjP12ihipStream_tbEUljE_ZNSN_ISO_Lb1ESR_SS_SU_SV_SZ_EES10_S11_S12_S13_S17_S18_S19_S1C_S1D_jS1E_jS1F_S1F_jjS1H_bEUljE0_EEES10_S11_S12_S19_S1D_S1F_T6_T7_T9_mT8_S1H_bDpT10_ENKUlT_T0_E_clISt17integral_constantIbLb1EES1V_EEDaS1Q_S1R_EUlS1Q_E_NS1_11comp_targetILNS1_3genE3ELNS1_11target_archE908ELNS1_3gpuE7ELNS1_3repE0EEENS1_30default_config_static_selectorELNS0_4arch9wavefront6targetE0EEEvS13_.has_dyn_sized_stack, 0
	.set _ZN7rocprim17ROCPRIM_400000_NS6detail17trampoline_kernelINS0_13select_configILj256ELj13ELNS0_17block_load_methodE3ELS4_3ELS4_3ELNS0_20block_scan_algorithmE0ELj4294967295EEENS1_25partition_config_selectorILNS1_17partition_subalgoE4EjNS0_10empty_typeEbEEZZNS1_14partition_implILS8_4ELb0ES6_15HIP_vector_typeIjLj2EENS0_17counting_iteratorIjlEEPS9_SG_NS0_5tupleIJPjSI_NS0_16reverse_iteratorISI_EEEEENSH_IJSG_SG_SG_EEES9_SI_JZNS1_25segmented_radix_sort_implINS0_14default_configELb1EPK12hip_bfloat16PSP_PKlPlN2at6native12_GLOBAL__N_18offset_tEEE10hipError_tPvRmT1_PNSt15iterator_traitsIS13_E10value_typeET2_T3_PNS14_IS19_E10value_typeET4_jRbjT5_S1F_jjP12ihipStream_tbEUljE_ZNSN_ISO_Lb1ESR_SS_SU_SV_SZ_EES10_S11_S12_S13_S17_S18_S19_S1C_S1D_jS1E_jS1F_S1F_jjS1H_bEUljE0_EEES10_S11_S12_S19_S1D_S1F_T6_T7_T9_mT8_S1H_bDpT10_ENKUlT_T0_E_clISt17integral_constantIbLb1EES1V_EEDaS1Q_S1R_EUlS1Q_E_NS1_11comp_targetILNS1_3genE3ELNS1_11target_archE908ELNS1_3gpuE7ELNS1_3repE0EEENS1_30default_config_static_selectorELNS0_4arch9wavefront6targetE0EEEvS13_.has_recursion, 0
	.set _ZN7rocprim17ROCPRIM_400000_NS6detail17trampoline_kernelINS0_13select_configILj256ELj13ELNS0_17block_load_methodE3ELS4_3ELS4_3ELNS0_20block_scan_algorithmE0ELj4294967295EEENS1_25partition_config_selectorILNS1_17partition_subalgoE4EjNS0_10empty_typeEbEEZZNS1_14partition_implILS8_4ELb0ES6_15HIP_vector_typeIjLj2EENS0_17counting_iteratorIjlEEPS9_SG_NS0_5tupleIJPjSI_NS0_16reverse_iteratorISI_EEEEENSH_IJSG_SG_SG_EEES9_SI_JZNS1_25segmented_radix_sort_implINS0_14default_configELb1EPK12hip_bfloat16PSP_PKlPlN2at6native12_GLOBAL__N_18offset_tEEE10hipError_tPvRmT1_PNSt15iterator_traitsIS13_E10value_typeET2_T3_PNS14_IS19_E10value_typeET4_jRbjT5_S1F_jjP12ihipStream_tbEUljE_ZNSN_ISO_Lb1ESR_SS_SU_SV_SZ_EES10_S11_S12_S13_S17_S18_S19_S1C_S1D_jS1E_jS1F_S1F_jjS1H_bEUljE0_EEES10_S11_S12_S19_S1D_S1F_T6_T7_T9_mT8_S1H_bDpT10_ENKUlT_T0_E_clISt17integral_constantIbLb1EES1V_EEDaS1Q_S1R_EUlS1Q_E_NS1_11comp_targetILNS1_3genE3ELNS1_11target_archE908ELNS1_3gpuE7ELNS1_3repE0EEENS1_30default_config_static_selectorELNS0_4arch9wavefront6targetE0EEEvS13_.has_indirect_call, 0
	.section	.AMDGPU.csdata,"",@progbits
; Kernel info:
; codeLenInByte = 0
; TotalNumSgprs: 0
; NumVgprs: 0
; ScratchSize: 0
; MemoryBound: 0
; FloatMode: 240
; IeeeMode: 1
; LDSByteSize: 0 bytes/workgroup (compile time only)
; SGPRBlocks: 0
; VGPRBlocks: 0
; NumSGPRsForWavesPerEU: 1
; NumVGPRsForWavesPerEU: 1
; Occupancy: 16
; WaveLimiterHint : 0
; COMPUTE_PGM_RSRC2:SCRATCH_EN: 0
; COMPUTE_PGM_RSRC2:USER_SGPR: 6
; COMPUTE_PGM_RSRC2:TRAP_HANDLER: 0
; COMPUTE_PGM_RSRC2:TGID_X_EN: 1
; COMPUTE_PGM_RSRC2:TGID_Y_EN: 0
; COMPUTE_PGM_RSRC2:TGID_Z_EN: 0
; COMPUTE_PGM_RSRC2:TIDIG_COMP_CNT: 0
	.section	.text._ZN7rocprim17ROCPRIM_400000_NS6detail17trampoline_kernelINS0_13select_configILj256ELj13ELNS0_17block_load_methodE3ELS4_3ELS4_3ELNS0_20block_scan_algorithmE0ELj4294967295EEENS1_25partition_config_selectorILNS1_17partition_subalgoE4EjNS0_10empty_typeEbEEZZNS1_14partition_implILS8_4ELb0ES6_15HIP_vector_typeIjLj2EENS0_17counting_iteratorIjlEEPS9_SG_NS0_5tupleIJPjSI_NS0_16reverse_iteratorISI_EEEEENSH_IJSG_SG_SG_EEES9_SI_JZNS1_25segmented_radix_sort_implINS0_14default_configELb1EPK12hip_bfloat16PSP_PKlPlN2at6native12_GLOBAL__N_18offset_tEEE10hipError_tPvRmT1_PNSt15iterator_traitsIS13_E10value_typeET2_T3_PNS14_IS19_E10value_typeET4_jRbjT5_S1F_jjP12ihipStream_tbEUljE_ZNSN_ISO_Lb1ESR_SS_SU_SV_SZ_EES10_S11_S12_S13_S17_S18_S19_S1C_S1D_jS1E_jS1F_S1F_jjS1H_bEUljE0_EEES10_S11_S12_S19_S1D_S1F_T6_T7_T9_mT8_S1H_bDpT10_ENKUlT_T0_E_clISt17integral_constantIbLb1EES1V_EEDaS1Q_S1R_EUlS1Q_E_NS1_11comp_targetILNS1_3genE2ELNS1_11target_archE906ELNS1_3gpuE6ELNS1_3repE0EEENS1_30default_config_static_selectorELNS0_4arch9wavefront6targetE0EEEvS13_,"axG",@progbits,_ZN7rocprim17ROCPRIM_400000_NS6detail17trampoline_kernelINS0_13select_configILj256ELj13ELNS0_17block_load_methodE3ELS4_3ELS4_3ELNS0_20block_scan_algorithmE0ELj4294967295EEENS1_25partition_config_selectorILNS1_17partition_subalgoE4EjNS0_10empty_typeEbEEZZNS1_14partition_implILS8_4ELb0ES6_15HIP_vector_typeIjLj2EENS0_17counting_iteratorIjlEEPS9_SG_NS0_5tupleIJPjSI_NS0_16reverse_iteratorISI_EEEEENSH_IJSG_SG_SG_EEES9_SI_JZNS1_25segmented_radix_sort_implINS0_14default_configELb1EPK12hip_bfloat16PSP_PKlPlN2at6native12_GLOBAL__N_18offset_tEEE10hipError_tPvRmT1_PNSt15iterator_traitsIS13_E10value_typeET2_T3_PNS14_IS19_E10value_typeET4_jRbjT5_S1F_jjP12ihipStream_tbEUljE_ZNSN_ISO_Lb1ESR_SS_SU_SV_SZ_EES10_S11_S12_S13_S17_S18_S19_S1C_S1D_jS1E_jS1F_S1F_jjS1H_bEUljE0_EEES10_S11_S12_S19_S1D_S1F_T6_T7_T9_mT8_S1H_bDpT10_ENKUlT_T0_E_clISt17integral_constantIbLb1EES1V_EEDaS1Q_S1R_EUlS1Q_E_NS1_11comp_targetILNS1_3genE2ELNS1_11target_archE906ELNS1_3gpuE6ELNS1_3repE0EEENS1_30default_config_static_selectorELNS0_4arch9wavefront6targetE0EEEvS13_,comdat
	.globl	_ZN7rocprim17ROCPRIM_400000_NS6detail17trampoline_kernelINS0_13select_configILj256ELj13ELNS0_17block_load_methodE3ELS4_3ELS4_3ELNS0_20block_scan_algorithmE0ELj4294967295EEENS1_25partition_config_selectorILNS1_17partition_subalgoE4EjNS0_10empty_typeEbEEZZNS1_14partition_implILS8_4ELb0ES6_15HIP_vector_typeIjLj2EENS0_17counting_iteratorIjlEEPS9_SG_NS0_5tupleIJPjSI_NS0_16reverse_iteratorISI_EEEEENSH_IJSG_SG_SG_EEES9_SI_JZNS1_25segmented_radix_sort_implINS0_14default_configELb1EPK12hip_bfloat16PSP_PKlPlN2at6native12_GLOBAL__N_18offset_tEEE10hipError_tPvRmT1_PNSt15iterator_traitsIS13_E10value_typeET2_T3_PNS14_IS19_E10value_typeET4_jRbjT5_S1F_jjP12ihipStream_tbEUljE_ZNSN_ISO_Lb1ESR_SS_SU_SV_SZ_EES10_S11_S12_S13_S17_S18_S19_S1C_S1D_jS1E_jS1F_S1F_jjS1H_bEUljE0_EEES10_S11_S12_S19_S1D_S1F_T6_T7_T9_mT8_S1H_bDpT10_ENKUlT_T0_E_clISt17integral_constantIbLb1EES1V_EEDaS1Q_S1R_EUlS1Q_E_NS1_11comp_targetILNS1_3genE2ELNS1_11target_archE906ELNS1_3gpuE6ELNS1_3repE0EEENS1_30default_config_static_selectorELNS0_4arch9wavefront6targetE0EEEvS13_ ; -- Begin function _ZN7rocprim17ROCPRIM_400000_NS6detail17trampoline_kernelINS0_13select_configILj256ELj13ELNS0_17block_load_methodE3ELS4_3ELS4_3ELNS0_20block_scan_algorithmE0ELj4294967295EEENS1_25partition_config_selectorILNS1_17partition_subalgoE4EjNS0_10empty_typeEbEEZZNS1_14partition_implILS8_4ELb0ES6_15HIP_vector_typeIjLj2EENS0_17counting_iteratorIjlEEPS9_SG_NS0_5tupleIJPjSI_NS0_16reverse_iteratorISI_EEEEENSH_IJSG_SG_SG_EEES9_SI_JZNS1_25segmented_radix_sort_implINS0_14default_configELb1EPK12hip_bfloat16PSP_PKlPlN2at6native12_GLOBAL__N_18offset_tEEE10hipError_tPvRmT1_PNSt15iterator_traitsIS13_E10value_typeET2_T3_PNS14_IS19_E10value_typeET4_jRbjT5_S1F_jjP12ihipStream_tbEUljE_ZNSN_ISO_Lb1ESR_SS_SU_SV_SZ_EES10_S11_S12_S13_S17_S18_S19_S1C_S1D_jS1E_jS1F_S1F_jjS1H_bEUljE0_EEES10_S11_S12_S19_S1D_S1F_T6_T7_T9_mT8_S1H_bDpT10_ENKUlT_T0_E_clISt17integral_constantIbLb1EES1V_EEDaS1Q_S1R_EUlS1Q_E_NS1_11comp_targetILNS1_3genE2ELNS1_11target_archE906ELNS1_3gpuE6ELNS1_3repE0EEENS1_30default_config_static_selectorELNS0_4arch9wavefront6targetE0EEEvS13_
	.p2align	8
	.type	_ZN7rocprim17ROCPRIM_400000_NS6detail17trampoline_kernelINS0_13select_configILj256ELj13ELNS0_17block_load_methodE3ELS4_3ELS4_3ELNS0_20block_scan_algorithmE0ELj4294967295EEENS1_25partition_config_selectorILNS1_17partition_subalgoE4EjNS0_10empty_typeEbEEZZNS1_14partition_implILS8_4ELb0ES6_15HIP_vector_typeIjLj2EENS0_17counting_iteratorIjlEEPS9_SG_NS0_5tupleIJPjSI_NS0_16reverse_iteratorISI_EEEEENSH_IJSG_SG_SG_EEES9_SI_JZNS1_25segmented_radix_sort_implINS0_14default_configELb1EPK12hip_bfloat16PSP_PKlPlN2at6native12_GLOBAL__N_18offset_tEEE10hipError_tPvRmT1_PNSt15iterator_traitsIS13_E10value_typeET2_T3_PNS14_IS19_E10value_typeET4_jRbjT5_S1F_jjP12ihipStream_tbEUljE_ZNSN_ISO_Lb1ESR_SS_SU_SV_SZ_EES10_S11_S12_S13_S17_S18_S19_S1C_S1D_jS1E_jS1F_S1F_jjS1H_bEUljE0_EEES10_S11_S12_S19_S1D_S1F_T6_T7_T9_mT8_S1H_bDpT10_ENKUlT_T0_E_clISt17integral_constantIbLb1EES1V_EEDaS1Q_S1R_EUlS1Q_E_NS1_11comp_targetILNS1_3genE2ELNS1_11target_archE906ELNS1_3gpuE6ELNS1_3repE0EEENS1_30default_config_static_selectorELNS0_4arch9wavefront6targetE0EEEvS13_,@function
_ZN7rocprim17ROCPRIM_400000_NS6detail17trampoline_kernelINS0_13select_configILj256ELj13ELNS0_17block_load_methodE3ELS4_3ELS4_3ELNS0_20block_scan_algorithmE0ELj4294967295EEENS1_25partition_config_selectorILNS1_17partition_subalgoE4EjNS0_10empty_typeEbEEZZNS1_14partition_implILS8_4ELb0ES6_15HIP_vector_typeIjLj2EENS0_17counting_iteratorIjlEEPS9_SG_NS0_5tupleIJPjSI_NS0_16reverse_iteratorISI_EEEEENSH_IJSG_SG_SG_EEES9_SI_JZNS1_25segmented_radix_sort_implINS0_14default_configELb1EPK12hip_bfloat16PSP_PKlPlN2at6native12_GLOBAL__N_18offset_tEEE10hipError_tPvRmT1_PNSt15iterator_traitsIS13_E10value_typeET2_T3_PNS14_IS19_E10value_typeET4_jRbjT5_S1F_jjP12ihipStream_tbEUljE_ZNSN_ISO_Lb1ESR_SS_SU_SV_SZ_EES10_S11_S12_S13_S17_S18_S19_S1C_S1D_jS1E_jS1F_S1F_jjS1H_bEUljE0_EEES10_S11_S12_S19_S1D_S1F_T6_T7_T9_mT8_S1H_bDpT10_ENKUlT_T0_E_clISt17integral_constantIbLb1EES1V_EEDaS1Q_S1R_EUlS1Q_E_NS1_11comp_targetILNS1_3genE2ELNS1_11target_archE906ELNS1_3gpuE6ELNS1_3repE0EEENS1_30default_config_static_selectorELNS0_4arch9wavefront6targetE0EEEvS13_: ; @_ZN7rocprim17ROCPRIM_400000_NS6detail17trampoline_kernelINS0_13select_configILj256ELj13ELNS0_17block_load_methodE3ELS4_3ELS4_3ELNS0_20block_scan_algorithmE0ELj4294967295EEENS1_25partition_config_selectorILNS1_17partition_subalgoE4EjNS0_10empty_typeEbEEZZNS1_14partition_implILS8_4ELb0ES6_15HIP_vector_typeIjLj2EENS0_17counting_iteratorIjlEEPS9_SG_NS0_5tupleIJPjSI_NS0_16reverse_iteratorISI_EEEEENSH_IJSG_SG_SG_EEES9_SI_JZNS1_25segmented_radix_sort_implINS0_14default_configELb1EPK12hip_bfloat16PSP_PKlPlN2at6native12_GLOBAL__N_18offset_tEEE10hipError_tPvRmT1_PNSt15iterator_traitsIS13_E10value_typeET2_T3_PNS14_IS19_E10value_typeET4_jRbjT5_S1F_jjP12ihipStream_tbEUljE_ZNSN_ISO_Lb1ESR_SS_SU_SV_SZ_EES10_S11_S12_S13_S17_S18_S19_S1C_S1D_jS1E_jS1F_S1F_jjS1H_bEUljE0_EEES10_S11_S12_S19_S1D_S1F_T6_T7_T9_mT8_S1H_bDpT10_ENKUlT_T0_E_clISt17integral_constantIbLb1EES1V_EEDaS1Q_S1R_EUlS1Q_E_NS1_11comp_targetILNS1_3genE2ELNS1_11target_archE906ELNS1_3gpuE6ELNS1_3repE0EEENS1_30default_config_static_selectorELNS0_4arch9wavefront6targetE0EEEvS13_
; %bb.0:
	.section	.rodata,"a",@progbits
	.p2align	6, 0x0
	.amdhsa_kernel _ZN7rocprim17ROCPRIM_400000_NS6detail17trampoline_kernelINS0_13select_configILj256ELj13ELNS0_17block_load_methodE3ELS4_3ELS4_3ELNS0_20block_scan_algorithmE0ELj4294967295EEENS1_25partition_config_selectorILNS1_17partition_subalgoE4EjNS0_10empty_typeEbEEZZNS1_14partition_implILS8_4ELb0ES6_15HIP_vector_typeIjLj2EENS0_17counting_iteratorIjlEEPS9_SG_NS0_5tupleIJPjSI_NS0_16reverse_iteratorISI_EEEEENSH_IJSG_SG_SG_EEES9_SI_JZNS1_25segmented_radix_sort_implINS0_14default_configELb1EPK12hip_bfloat16PSP_PKlPlN2at6native12_GLOBAL__N_18offset_tEEE10hipError_tPvRmT1_PNSt15iterator_traitsIS13_E10value_typeET2_T3_PNS14_IS19_E10value_typeET4_jRbjT5_S1F_jjP12ihipStream_tbEUljE_ZNSN_ISO_Lb1ESR_SS_SU_SV_SZ_EES10_S11_S12_S13_S17_S18_S19_S1C_S1D_jS1E_jS1F_S1F_jjS1H_bEUljE0_EEES10_S11_S12_S19_S1D_S1F_T6_T7_T9_mT8_S1H_bDpT10_ENKUlT_T0_E_clISt17integral_constantIbLb1EES1V_EEDaS1Q_S1R_EUlS1Q_E_NS1_11comp_targetILNS1_3genE2ELNS1_11target_archE906ELNS1_3gpuE6ELNS1_3repE0EEENS1_30default_config_static_selectorELNS0_4arch9wavefront6targetE0EEEvS13_
		.amdhsa_group_segment_fixed_size 0
		.amdhsa_private_segment_fixed_size 0
		.amdhsa_kernarg_size 184
		.amdhsa_user_sgpr_count 6
		.amdhsa_user_sgpr_private_segment_buffer 1
		.amdhsa_user_sgpr_dispatch_ptr 0
		.amdhsa_user_sgpr_queue_ptr 0
		.amdhsa_user_sgpr_kernarg_segment_ptr 1
		.amdhsa_user_sgpr_dispatch_id 0
		.amdhsa_user_sgpr_flat_scratch_init 0
		.amdhsa_user_sgpr_private_segment_size 0
		.amdhsa_wavefront_size32 1
		.amdhsa_uses_dynamic_stack 0
		.amdhsa_system_sgpr_private_segment_wavefront_offset 0
		.amdhsa_system_sgpr_workgroup_id_x 1
		.amdhsa_system_sgpr_workgroup_id_y 0
		.amdhsa_system_sgpr_workgroup_id_z 0
		.amdhsa_system_sgpr_workgroup_info 0
		.amdhsa_system_vgpr_workitem_id 0
		.amdhsa_next_free_vgpr 1
		.amdhsa_next_free_sgpr 1
		.amdhsa_reserve_vcc 0
		.amdhsa_reserve_flat_scratch 0
		.amdhsa_float_round_mode_32 0
		.amdhsa_float_round_mode_16_64 0
		.amdhsa_float_denorm_mode_32 3
		.amdhsa_float_denorm_mode_16_64 3
		.amdhsa_dx10_clamp 1
		.amdhsa_ieee_mode 1
		.amdhsa_fp16_overflow 0
		.amdhsa_workgroup_processor_mode 1
		.amdhsa_memory_ordered 1
		.amdhsa_forward_progress 1
		.amdhsa_shared_vgpr_count 0
		.amdhsa_exception_fp_ieee_invalid_op 0
		.amdhsa_exception_fp_denorm_src 0
		.amdhsa_exception_fp_ieee_div_zero 0
		.amdhsa_exception_fp_ieee_overflow 0
		.amdhsa_exception_fp_ieee_underflow 0
		.amdhsa_exception_fp_ieee_inexact 0
		.amdhsa_exception_int_div_zero 0
	.end_amdhsa_kernel
	.section	.text._ZN7rocprim17ROCPRIM_400000_NS6detail17trampoline_kernelINS0_13select_configILj256ELj13ELNS0_17block_load_methodE3ELS4_3ELS4_3ELNS0_20block_scan_algorithmE0ELj4294967295EEENS1_25partition_config_selectorILNS1_17partition_subalgoE4EjNS0_10empty_typeEbEEZZNS1_14partition_implILS8_4ELb0ES6_15HIP_vector_typeIjLj2EENS0_17counting_iteratorIjlEEPS9_SG_NS0_5tupleIJPjSI_NS0_16reverse_iteratorISI_EEEEENSH_IJSG_SG_SG_EEES9_SI_JZNS1_25segmented_radix_sort_implINS0_14default_configELb1EPK12hip_bfloat16PSP_PKlPlN2at6native12_GLOBAL__N_18offset_tEEE10hipError_tPvRmT1_PNSt15iterator_traitsIS13_E10value_typeET2_T3_PNS14_IS19_E10value_typeET4_jRbjT5_S1F_jjP12ihipStream_tbEUljE_ZNSN_ISO_Lb1ESR_SS_SU_SV_SZ_EES10_S11_S12_S13_S17_S18_S19_S1C_S1D_jS1E_jS1F_S1F_jjS1H_bEUljE0_EEES10_S11_S12_S19_S1D_S1F_T6_T7_T9_mT8_S1H_bDpT10_ENKUlT_T0_E_clISt17integral_constantIbLb1EES1V_EEDaS1Q_S1R_EUlS1Q_E_NS1_11comp_targetILNS1_3genE2ELNS1_11target_archE906ELNS1_3gpuE6ELNS1_3repE0EEENS1_30default_config_static_selectorELNS0_4arch9wavefront6targetE0EEEvS13_,"axG",@progbits,_ZN7rocprim17ROCPRIM_400000_NS6detail17trampoline_kernelINS0_13select_configILj256ELj13ELNS0_17block_load_methodE3ELS4_3ELS4_3ELNS0_20block_scan_algorithmE0ELj4294967295EEENS1_25partition_config_selectorILNS1_17partition_subalgoE4EjNS0_10empty_typeEbEEZZNS1_14partition_implILS8_4ELb0ES6_15HIP_vector_typeIjLj2EENS0_17counting_iteratorIjlEEPS9_SG_NS0_5tupleIJPjSI_NS0_16reverse_iteratorISI_EEEEENSH_IJSG_SG_SG_EEES9_SI_JZNS1_25segmented_radix_sort_implINS0_14default_configELb1EPK12hip_bfloat16PSP_PKlPlN2at6native12_GLOBAL__N_18offset_tEEE10hipError_tPvRmT1_PNSt15iterator_traitsIS13_E10value_typeET2_T3_PNS14_IS19_E10value_typeET4_jRbjT5_S1F_jjP12ihipStream_tbEUljE_ZNSN_ISO_Lb1ESR_SS_SU_SV_SZ_EES10_S11_S12_S13_S17_S18_S19_S1C_S1D_jS1E_jS1F_S1F_jjS1H_bEUljE0_EEES10_S11_S12_S19_S1D_S1F_T6_T7_T9_mT8_S1H_bDpT10_ENKUlT_T0_E_clISt17integral_constantIbLb1EES1V_EEDaS1Q_S1R_EUlS1Q_E_NS1_11comp_targetILNS1_3genE2ELNS1_11target_archE906ELNS1_3gpuE6ELNS1_3repE0EEENS1_30default_config_static_selectorELNS0_4arch9wavefront6targetE0EEEvS13_,comdat
.Lfunc_end1884:
	.size	_ZN7rocprim17ROCPRIM_400000_NS6detail17trampoline_kernelINS0_13select_configILj256ELj13ELNS0_17block_load_methodE3ELS4_3ELS4_3ELNS0_20block_scan_algorithmE0ELj4294967295EEENS1_25partition_config_selectorILNS1_17partition_subalgoE4EjNS0_10empty_typeEbEEZZNS1_14partition_implILS8_4ELb0ES6_15HIP_vector_typeIjLj2EENS0_17counting_iteratorIjlEEPS9_SG_NS0_5tupleIJPjSI_NS0_16reverse_iteratorISI_EEEEENSH_IJSG_SG_SG_EEES9_SI_JZNS1_25segmented_radix_sort_implINS0_14default_configELb1EPK12hip_bfloat16PSP_PKlPlN2at6native12_GLOBAL__N_18offset_tEEE10hipError_tPvRmT1_PNSt15iterator_traitsIS13_E10value_typeET2_T3_PNS14_IS19_E10value_typeET4_jRbjT5_S1F_jjP12ihipStream_tbEUljE_ZNSN_ISO_Lb1ESR_SS_SU_SV_SZ_EES10_S11_S12_S13_S17_S18_S19_S1C_S1D_jS1E_jS1F_S1F_jjS1H_bEUljE0_EEES10_S11_S12_S19_S1D_S1F_T6_T7_T9_mT8_S1H_bDpT10_ENKUlT_T0_E_clISt17integral_constantIbLb1EES1V_EEDaS1Q_S1R_EUlS1Q_E_NS1_11comp_targetILNS1_3genE2ELNS1_11target_archE906ELNS1_3gpuE6ELNS1_3repE0EEENS1_30default_config_static_selectorELNS0_4arch9wavefront6targetE0EEEvS13_, .Lfunc_end1884-_ZN7rocprim17ROCPRIM_400000_NS6detail17trampoline_kernelINS0_13select_configILj256ELj13ELNS0_17block_load_methodE3ELS4_3ELS4_3ELNS0_20block_scan_algorithmE0ELj4294967295EEENS1_25partition_config_selectorILNS1_17partition_subalgoE4EjNS0_10empty_typeEbEEZZNS1_14partition_implILS8_4ELb0ES6_15HIP_vector_typeIjLj2EENS0_17counting_iteratorIjlEEPS9_SG_NS0_5tupleIJPjSI_NS0_16reverse_iteratorISI_EEEEENSH_IJSG_SG_SG_EEES9_SI_JZNS1_25segmented_radix_sort_implINS0_14default_configELb1EPK12hip_bfloat16PSP_PKlPlN2at6native12_GLOBAL__N_18offset_tEEE10hipError_tPvRmT1_PNSt15iterator_traitsIS13_E10value_typeET2_T3_PNS14_IS19_E10value_typeET4_jRbjT5_S1F_jjP12ihipStream_tbEUljE_ZNSN_ISO_Lb1ESR_SS_SU_SV_SZ_EES10_S11_S12_S13_S17_S18_S19_S1C_S1D_jS1E_jS1F_S1F_jjS1H_bEUljE0_EEES10_S11_S12_S19_S1D_S1F_T6_T7_T9_mT8_S1H_bDpT10_ENKUlT_T0_E_clISt17integral_constantIbLb1EES1V_EEDaS1Q_S1R_EUlS1Q_E_NS1_11comp_targetILNS1_3genE2ELNS1_11target_archE906ELNS1_3gpuE6ELNS1_3repE0EEENS1_30default_config_static_selectorELNS0_4arch9wavefront6targetE0EEEvS13_
                                        ; -- End function
	.set _ZN7rocprim17ROCPRIM_400000_NS6detail17trampoline_kernelINS0_13select_configILj256ELj13ELNS0_17block_load_methodE3ELS4_3ELS4_3ELNS0_20block_scan_algorithmE0ELj4294967295EEENS1_25partition_config_selectorILNS1_17partition_subalgoE4EjNS0_10empty_typeEbEEZZNS1_14partition_implILS8_4ELb0ES6_15HIP_vector_typeIjLj2EENS0_17counting_iteratorIjlEEPS9_SG_NS0_5tupleIJPjSI_NS0_16reverse_iteratorISI_EEEEENSH_IJSG_SG_SG_EEES9_SI_JZNS1_25segmented_radix_sort_implINS0_14default_configELb1EPK12hip_bfloat16PSP_PKlPlN2at6native12_GLOBAL__N_18offset_tEEE10hipError_tPvRmT1_PNSt15iterator_traitsIS13_E10value_typeET2_T3_PNS14_IS19_E10value_typeET4_jRbjT5_S1F_jjP12ihipStream_tbEUljE_ZNSN_ISO_Lb1ESR_SS_SU_SV_SZ_EES10_S11_S12_S13_S17_S18_S19_S1C_S1D_jS1E_jS1F_S1F_jjS1H_bEUljE0_EEES10_S11_S12_S19_S1D_S1F_T6_T7_T9_mT8_S1H_bDpT10_ENKUlT_T0_E_clISt17integral_constantIbLb1EES1V_EEDaS1Q_S1R_EUlS1Q_E_NS1_11comp_targetILNS1_3genE2ELNS1_11target_archE906ELNS1_3gpuE6ELNS1_3repE0EEENS1_30default_config_static_selectorELNS0_4arch9wavefront6targetE0EEEvS13_.num_vgpr, 0
	.set _ZN7rocprim17ROCPRIM_400000_NS6detail17trampoline_kernelINS0_13select_configILj256ELj13ELNS0_17block_load_methodE3ELS4_3ELS4_3ELNS0_20block_scan_algorithmE0ELj4294967295EEENS1_25partition_config_selectorILNS1_17partition_subalgoE4EjNS0_10empty_typeEbEEZZNS1_14partition_implILS8_4ELb0ES6_15HIP_vector_typeIjLj2EENS0_17counting_iteratorIjlEEPS9_SG_NS0_5tupleIJPjSI_NS0_16reverse_iteratorISI_EEEEENSH_IJSG_SG_SG_EEES9_SI_JZNS1_25segmented_radix_sort_implINS0_14default_configELb1EPK12hip_bfloat16PSP_PKlPlN2at6native12_GLOBAL__N_18offset_tEEE10hipError_tPvRmT1_PNSt15iterator_traitsIS13_E10value_typeET2_T3_PNS14_IS19_E10value_typeET4_jRbjT5_S1F_jjP12ihipStream_tbEUljE_ZNSN_ISO_Lb1ESR_SS_SU_SV_SZ_EES10_S11_S12_S13_S17_S18_S19_S1C_S1D_jS1E_jS1F_S1F_jjS1H_bEUljE0_EEES10_S11_S12_S19_S1D_S1F_T6_T7_T9_mT8_S1H_bDpT10_ENKUlT_T0_E_clISt17integral_constantIbLb1EES1V_EEDaS1Q_S1R_EUlS1Q_E_NS1_11comp_targetILNS1_3genE2ELNS1_11target_archE906ELNS1_3gpuE6ELNS1_3repE0EEENS1_30default_config_static_selectorELNS0_4arch9wavefront6targetE0EEEvS13_.num_agpr, 0
	.set _ZN7rocprim17ROCPRIM_400000_NS6detail17trampoline_kernelINS0_13select_configILj256ELj13ELNS0_17block_load_methodE3ELS4_3ELS4_3ELNS0_20block_scan_algorithmE0ELj4294967295EEENS1_25partition_config_selectorILNS1_17partition_subalgoE4EjNS0_10empty_typeEbEEZZNS1_14partition_implILS8_4ELb0ES6_15HIP_vector_typeIjLj2EENS0_17counting_iteratorIjlEEPS9_SG_NS0_5tupleIJPjSI_NS0_16reverse_iteratorISI_EEEEENSH_IJSG_SG_SG_EEES9_SI_JZNS1_25segmented_radix_sort_implINS0_14default_configELb1EPK12hip_bfloat16PSP_PKlPlN2at6native12_GLOBAL__N_18offset_tEEE10hipError_tPvRmT1_PNSt15iterator_traitsIS13_E10value_typeET2_T3_PNS14_IS19_E10value_typeET4_jRbjT5_S1F_jjP12ihipStream_tbEUljE_ZNSN_ISO_Lb1ESR_SS_SU_SV_SZ_EES10_S11_S12_S13_S17_S18_S19_S1C_S1D_jS1E_jS1F_S1F_jjS1H_bEUljE0_EEES10_S11_S12_S19_S1D_S1F_T6_T7_T9_mT8_S1H_bDpT10_ENKUlT_T0_E_clISt17integral_constantIbLb1EES1V_EEDaS1Q_S1R_EUlS1Q_E_NS1_11comp_targetILNS1_3genE2ELNS1_11target_archE906ELNS1_3gpuE6ELNS1_3repE0EEENS1_30default_config_static_selectorELNS0_4arch9wavefront6targetE0EEEvS13_.numbered_sgpr, 0
	.set _ZN7rocprim17ROCPRIM_400000_NS6detail17trampoline_kernelINS0_13select_configILj256ELj13ELNS0_17block_load_methodE3ELS4_3ELS4_3ELNS0_20block_scan_algorithmE0ELj4294967295EEENS1_25partition_config_selectorILNS1_17partition_subalgoE4EjNS0_10empty_typeEbEEZZNS1_14partition_implILS8_4ELb0ES6_15HIP_vector_typeIjLj2EENS0_17counting_iteratorIjlEEPS9_SG_NS0_5tupleIJPjSI_NS0_16reverse_iteratorISI_EEEEENSH_IJSG_SG_SG_EEES9_SI_JZNS1_25segmented_radix_sort_implINS0_14default_configELb1EPK12hip_bfloat16PSP_PKlPlN2at6native12_GLOBAL__N_18offset_tEEE10hipError_tPvRmT1_PNSt15iterator_traitsIS13_E10value_typeET2_T3_PNS14_IS19_E10value_typeET4_jRbjT5_S1F_jjP12ihipStream_tbEUljE_ZNSN_ISO_Lb1ESR_SS_SU_SV_SZ_EES10_S11_S12_S13_S17_S18_S19_S1C_S1D_jS1E_jS1F_S1F_jjS1H_bEUljE0_EEES10_S11_S12_S19_S1D_S1F_T6_T7_T9_mT8_S1H_bDpT10_ENKUlT_T0_E_clISt17integral_constantIbLb1EES1V_EEDaS1Q_S1R_EUlS1Q_E_NS1_11comp_targetILNS1_3genE2ELNS1_11target_archE906ELNS1_3gpuE6ELNS1_3repE0EEENS1_30default_config_static_selectorELNS0_4arch9wavefront6targetE0EEEvS13_.num_named_barrier, 0
	.set _ZN7rocprim17ROCPRIM_400000_NS6detail17trampoline_kernelINS0_13select_configILj256ELj13ELNS0_17block_load_methodE3ELS4_3ELS4_3ELNS0_20block_scan_algorithmE0ELj4294967295EEENS1_25partition_config_selectorILNS1_17partition_subalgoE4EjNS0_10empty_typeEbEEZZNS1_14partition_implILS8_4ELb0ES6_15HIP_vector_typeIjLj2EENS0_17counting_iteratorIjlEEPS9_SG_NS0_5tupleIJPjSI_NS0_16reverse_iteratorISI_EEEEENSH_IJSG_SG_SG_EEES9_SI_JZNS1_25segmented_radix_sort_implINS0_14default_configELb1EPK12hip_bfloat16PSP_PKlPlN2at6native12_GLOBAL__N_18offset_tEEE10hipError_tPvRmT1_PNSt15iterator_traitsIS13_E10value_typeET2_T3_PNS14_IS19_E10value_typeET4_jRbjT5_S1F_jjP12ihipStream_tbEUljE_ZNSN_ISO_Lb1ESR_SS_SU_SV_SZ_EES10_S11_S12_S13_S17_S18_S19_S1C_S1D_jS1E_jS1F_S1F_jjS1H_bEUljE0_EEES10_S11_S12_S19_S1D_S1F_T6_T7_T9_mT8_S1H_bDpT10_ENKUlT_T0_E_clISt17integral_constantIbLb1EES1V_EEDaS1Q_S1R_EUlS1Q_E_NS1_11comp_targetILNS1_3genE2ELNS1_11target_archE906ELNS1_3gpuE6ELNS1_3repE0EEENS1_30default_config_static_selectorELNS0_4arch9wavefront6targetE0EEEvS13_.private_seg_size, 0
	.set _ZN7rocprim17ROCPRIM_400000_NS6detail17trampoline_kernelINS0_13select_configILj256ELj13ELNS0_17block_load_methodE3ELS4_3ELS4_3ELNS0_20block_scan_algorithmE0ELj4294967295EEENS1_25partition_config_selectorILNS1_17partition_subalgoE4EjNS0_10empty_typeEbEEZZNS1_14partition_implILS8_4ELb0ES6_15HIP_vector_typeIjLj2EENS0_17counting_iteratorIjlEEPS9_SG_NS0_5tupleIJPjSI_NS0_16reverse_iteratorISI_EEEEENSH_IJSG_SG_SG_EEES9_SI_JZNS1_25segmented_radix_sort_implINS0_14default_configELb1EPK12hip_bfloat16PSP_PKlPlN2at6native12_GLOBAL__N_18offset_tEEE10hipError_tPvRmT1_PNSt15iterator_traitsIS13_E10value_typeET2_T3_PNS14_IS19_E10value_typeET4_jRbjT5_S1F_jjP12ihipStream_tbEUljE_ZNSN_ISO_Lb1ESR_SS_SU_SV_SZ_EES10_S11_S12_S13_S17_S18_S19_S1C_S1D_jS1E_jS1F_S1F_jjS1H_bEUljE0_EEES10_S11_S12_S19_S1D_S1F_T6_T7_T9_mT8_S1H_bDpT10_ENKUlT_T0_E_clISt17integral_constantIbLb1EES1V_EEDaS1Q_S1R_EUlS1Q_E_NS1_11comp_targetILNS1_3genE2ELNS1_11target_archE906ELNS1_3gpuE6ELNS1_3repE0EEENS1_30default_config_static_selectorELNS0_4arch9wavefront6targetE0EEEvS13_.uses_vcc, 0
	.set _ZN7rocprim17ROCPRIM_400000_NS6detail17trampoline_kernelINS0_13select_configILj256ELj13ELNS0_17block_load_methodE3ELS4_3ELS4_3ELNS0_20block_scan_algorithmE0ELj4294967295EEENS1_25partition_config_selectorILNS1_17partition_subalgoE4EjNS0_10empty_typeEbEEZZNS1_14partition_implILS8_4ELb0ES6_15HIP_vector_typeIjLj2EENS0_17counting_iteratorIjlEEPS9_SG_NS0_5tupleIJPjSI_NS0_16reverse_iteratorISI_EEEEENSH_IJSG_SG_SG_EEES9_SI_JZNS1_25segmented_radix_sort_implINS0_14default_configELb1EPK12hip_bfloat16PSP_PKlPlN2at6native12_GLOBAL__N_18offset_tEEE10hipError_tPvRmT1_PNSt15iterator_traitsIS13_E10value_typeET2_T3_PNS14_IS19_E10value_typeET4_jRbjT5_S1F_jjP12ihipStream_tbEUljE_ZNSN_ISO_Lb1ESR_SS_SU_SV_SZ_EES10_S11_S12_S13_S17_S18_S19_S1C_S1D_jS1E_jS1F_S1F_jjS1H_bEUljE0_EEES10_S11_S12_S19_S1D_S1F_T6_T7_T9_mT8_S1H_bDpT10_ENKUlT_T0_E_clISt17integral_constantIbLb1EES1V_EEDaS1Q_S1R_EUlS1Q_E_NS1_11comp_targetILNS1_3genE2ELNS1_11target_archE906ELNS1_3gpuE6ELNS1_3repE0EEENS1_30default_config_static_selectorELNS0_4arch9wavefront6targetE0EEEvS13_.uses_flat_scratch, 0
	.set _ZN7rocprim17ROCPRIM_400000_NS6detail17trampoline_kernelINS0_13select_configILj256ELj13ELNS0_17block_load_methodE3ELS4_3ELS4_3ELNS0_20block_scan_algorithmE0ELj4294967295EEENS1_25partition_config_selectorILNS1_17partition_subalgoE4EjNS0_10empty_typeEbEEZZNS1_14partition_implILS8_4ELb0ES6_15HIP_vector_typeIjLj2EENS0_17counting_iteratorIjlEEPS9_SG_NS0_5tupleIJPjSI_NS0_16reverse_iteratorISI_EEEEENSH_IJSG_SG_SG_EEES9_SI_JZNS1_25segmented_radix_sort_implINS0_14default_configELb1EPK12hip_bfloat16PSP_PKlPlN2at6native12_GLOBAL__N_18offset_tEEE10hipError_tPvRmT1_PNSt15iterator_traitsIS13_E10value_typeET2_T3_PNS14_IS19_E10value_typeET4_jRbjT5_S1F_jjP12ihipStream_tbEUljE_ZNSN_ISO_Lb1ESR_SS_SU_SV_SZ_EES10_S11_S12_S13_S17_S18_S19_S1C_S1D_jS1E_jS1F_S1F_jjS1H_bEUljE0_EEES10_S11_S12_S19_S1D_S1F_T6_T7_T9_mT8_S1H_bDpT10_ENKUlT_T0_E_clISt17integral_constantIbLb1EES1V_EEDaS1Q_S1R_EUlS1Q_E_NS1_11comp_targetILNS1_3genE2ELNS1_11target_archE906ELNS1_3gpuE6ELNS1_3repE0EEENS1_30default_config_static_selectorELNS0_4arch9wavefront6targetE0EEEvS13_.has_dyn_sized_stack, 0
	.set _ZN7rocprim17ROCPRIM_400000_NS6detail17trampoline_kernelINS0_13select_configILj256ELj13ELNS0_17block_load_methodE3ELS4_3ELS4_3ELNS0_20block_scan_algorithmE0ELj4294967295EEENS1_25partition_config_selectorILNS1_17partition_subalgoE4EjNS0_10empty_typeEbEEZZNS1_14partition_implILS8_4ELb0ES6_15HIP_vector_typeIjLj2EENS0_17counting_iteratorIjlEEPS9_SG_NS0_5tupleIJPjSI_NS0_16reverse_iteratorISI_EEEEENSH_IJSG_SG_SG_EEES9_SI_JZNS1_25segmented_radix_sort_implINS0_14default_configELb1EPK12hip_bfloat16PSP_PKlPlN2at6native12_GLOBAL__N_18offset_tEEE10hipError_tPvRmT1_PNSt15iterator_traitsIS13_E10value_typeET2_T3_PNS14_IS19_E10value_typeET4_jRbjT5_S1F_jjP12ihipStream_tbEUljE_ZNSN_ISO_Lb1ESR_SS_SU_SV_SZ_EES10_S11_S12_S13_S17_S18_S19_S1C_S1D_jS1E_jS1F_S1F_jjS1H_bEUljE0_EEES10_S11_S12_S19_S1D_S1F_T6_T7_T9_mT8_S1H_bDpT10_ENKUlT_T0_E_clISt17integral_constantIbLb1EES1V_EEDaS1Q_S1R_EUlS1Q_E_NS1_11comp_targetILNS1_3genE2ELNS1_11target_archE906ELNS1_3gpuE6ELNS1_3repE0EEENS1_30default_config_static_selectorELNS0_4arch9wavefront6targetE0EEEvS13_.has_recursion, 0
	.set _ZN7rocprim17ROCPRIM_400000_NS6detail17trampoline_kernelINS0_13select_configILj256ELj13ELNS0_17block_load_methodE3ELS4_3ELS4_3ELNS0_20block_scan_algorithmE0ELj4294967295EEENS1_25partition_config_selectorILNS1_17partition_subalgoE4EjNS0_10empty_typeEbEEZZNS1_14partition_implILS8_4ELb0ES6_15HIP_vector_typeIjLj2EENS0_17counting_iteratorIjlEEPS9_SG_NS0_5tupleIJPjSI_NS0_16reverse_iteratorISI_EEEEENSH_IJSG_SG_SG_EEES9_SI_JZNS1_25segmented_radix_sort_implINS0_14default_configELb1EPK12hip_bfloat16PSP_PKlPlN2at6native12_GLOBAL__N_18offset_tEEE10hipError_tPvRmT1_PNSt15iterator_traitsIS13_E10value_typeET2_T3_PNS14_IS19_E10value_typeET4_jRbjT5_S1F_jjP12ihipStream_tbEUljE_ZNSN_ISO_Lb1ESR_SS_SU_SV_SZ_EES10_S11_S12_S13_S17_S18_S19_S1C_S1D_jS1E_jS1F_S1F_jjS1H_bEUljE0_EEES10_S11_S12_S19_S1D_S1F_T6_T7_T9_mT8_S1H_bDpT10_ENKUlT_T0_E_clISt17integral_constantIbLb1EES1V_EEDaS1Q_S1R_EUlS1Q_E_NS1_11comp_targetILNS1_3genE2ELNS1_11target_archE906ELNS1_3gpuE6ELNS1_3repE0EEENS1_30default_config_static_selectorELNS0_4arch9wavefront6targetE0EEEvS13_.has_indirect_call, 0
	.section	.AMDGPU.csdata,"",@progbits
; Kernel info:
; codeLenInByte = 0
; TotalNumSgprs: 0
; NumVgprs: 0
; ScratchSize: 0
; MemoryBound: 0
; FloatMode: 240
; IeeeMode: 1
; LDSByteSize: 0 bytes/workgroup (compile time only)
; SGPRBlocks: 0
; VGPRBlocks: 0
; NumSGPRsForWavesPerEU: 1
; NumVGPRsForWavesPerEU: 1
; Occupancy: 16
; WaveLimiterHint : 0
; COMPUTE_PGM_RSRC2:SCRATCH_EN: 0
; COMPUTE_PGM_RSRC2:USER_SGPR: 6
; COMPUTE_PGM_RSRC2:TRAP_HANDLER: 0
; COMPUTE_PGM_RSRC2:TGID_X_EN: 1
; COMPUTE_PGM_RSRC2:TGID_Y_EN: 0
; COMPUTE_PGM_RSRC2:TGID_Z_EN: 0
; COMPUTE_PGM_RSRC2:TIDIG_COMP_CNT: 0
	.section	.text._ZN7rocprim17ROCPRIM_400000_NS6detail17trampoline_kernelINS0_13select_configILj256ELj13ELNS0_17block_load_methodE3ELS4_3ELS4_3ELNS0_20block_scan_algorithmE0ELj4294967295EEENS1_25partition_config_selectorILNS1_17partition_subalgoE4EjNS0_10empty_typeEbEEZZNS1_14partition_implILS8_4ELb0ES6_15HIP_vector_typeIjLj2EENS0_17counting_iteratorIjlEEPS9_SG_NS0_5tupleIJPjSI_NS0_16reverse_iteratorISI_EEEEENSH_IJSG_SG_SG_EEES9_SI_JZNS1_25segmented_radix_sort_implINS0_14default_configELb1EPK12hip_bfloat16PSP_PKlPlN2at6native12_GLOBAL__N_18offset_tEEE10hipError_tPvRmT1_PNSt15iterator_traitsIS13_E10value_typeET2_T3_PNS14_IS19_E10value_typeET4_jRbjT5_S1F_jjP12ihipStream_tbEUljE_ZNSN_ISO_Lb1ESR_SS_SU_SV_SZ_EES10_S11_S12_S13_S17_S18_S19_S1C_S1D_jS1E_jS1F_S1F_jjS1H_bEUljE0_EEES10_S11_S12_S19_S1D_S1F_T6_T7_T9_mT8_S1H_bDpT10_ENKUlT_T0_E_clISt17integral_constantIbLb1EES1V_EEDaS1Q_S1R_EUlS1Q_E_NS1_11comp_targetILNS1_3genE10ELNS1_11target_archE1200ELNS1_3gpuE4ELNS1_3repE0EEENS1_30default_config_static_selectorELNS0_4arch9wavefront6targetE0EEEvS13_,"axG",@progbits,_ZN7rocprim17ROCPRIM_400000_NS6detail17trampoline_kernelINS0_13select_configILj256ELj13ELNS0_17block_load_methodE3ELS4_3ELS4_3ELNS0_20block_scan_algorithmE0ELj4294967295EEENS1_25partition_config_selectorILNS1_17partition_subalgoE4EjNS0_10empty_typeEbEEZZNS1_14partition_implILS8_4ELb0ES6_15HIP_vector_typeIjLj2EENS0_17counting_iteratorIjlEEPS9_SG_NS0_5tupleIJPjSI_NS0_16reverse_iteratorISI_EEEEENSH_IJSG_SG_SG_EEES9_SI_JZNS1_25segmented_radix_sort_implINS0_14default_configELb1EPK12hip_bfloat16PSP_PKlPlN2at6native12_GLOBAL__N_18offset_tEEE10hipError_tPvRmT1_PNSt15iterator_traitsIS13_E10value_typeET2_T3_PNS14_IS19_E10value_typeET4_jRbjT5_S1F_jjP12ihipStream_tbEUljE_ZNSN_ISO_Lb1ESR_SS_SU_SV_SZ_EES10_S11_S12_S13_S17_S18_S19_S1C_S1D_jS1E_jS1F_S1F_jjS1H_bEUljE0_EEES10_S11_S12_S19_S1D_S1F_T6_T7_T9_mT8_S1H_bDpT10_ENKUlT_T0_E_clISt17integral_constantIbLb1EES1V_EEDaS1Q_S1R_EUlS1Q_E_NS1_11comp_targetILNS1_3genE10ELNS1_11target_archE1200ELNS1_3gpuE4ELNS1_3repE0EEENS1_30default_config_static_selectorELNS0_4arch9wavefront6targetE0EEEvS13_,comdat
	.globl	_ZN7rocprim17ROCPRIM_400000_NS6detail17trampoline_kernelINS0_13select_configILj256ELj13ELNS0_17block_load_methodE3ELS4_3ELS4_3ELNS0_20block_scan_algorithmE0ELj4294967295EEENS1_25partition_config_selectorILNS1_17partition_subalgoE4EjNS0_10empty_typeEbEEZZNS1_14partition_implILS8_4ELb0ES6_15HIP_vector_typeIjLj2EENS0_17counting_iteratorIjlEEPS9_SG_NS0_5tupleIJPjSI_NS0_16reverse_iteratorISI_EEEEENSH_IJSG_SG_SG_EEES9_SI_JZNS1_25segmented_radix_sort_implINS0_14default_configELb1EPK12hip_bfloat16PSP_PKlPlN2at6native12_GLOBAL__N_18offset_tEEE10hipError_tPvRmT1_PNSt15iterator_traitsIS13_E10value_typeET2_T3_PNS14_IS19_E10value_typeET4_jRbjT5_S1F_jjP12ihipStream_tbEUljE_ZNSN_ISO_Lb1ESR_SS_SU_SV_SZ_EES10_S11_S12_S13_S17_S18_S19_S1C_S1D_jS1E_jS1F_S1F_jjS1H_bEUljE0_EEES10_S11_S12_S19_S1D_S1F_T6_T7_T9_mT8_S1H_bDpT10_ENKUlT_T0_E_clISt17integral_constantIbLb1EES1V_EEDaS1Q_S1R_EUlS1Q_E_NS1_11comp_targetILNS1_3genE10ELNS1_11target_archE1200ELNS1_3gpuE4ELNS1_3repE0EEENS1_30default_config_static_selectorELNS0_4arch9wavefront6targetE0EEEvS13_ ; -- Begin function _ZN7rocprim17ROCPRIM_400000_NS6detail17trampoline_kernelINS0_13select_configILj256ELj13ELNS0_17block_load_methodE3ELS4_3ELS4_3ELNS0_20block_scan_algorithmE0ELj4294967295EEENS1_25partition_config_selectorILNS1_17partition_subalgoE4EjNS0_10empty_typeEbEEZZNS1_14partition_implILS8_4ELb0ES6_15HIP_vector_typeIjLj2EENS0_17counting_iteratorIjlEEPS9_SG_NS0_5tupleIJPjSI_NS0_16reverse_iteratorISI_EEEEENSH_IJSG_SG_SG_EEES9_SI_JZNS1_25segmented_radix_sort_implINS0_14default_configELb1EPK12hip_bfloat16PSP_PKlPlN2at6native12_GLOBAL__N_18offset_tEEE10hipError_tPvRmT1_PNSt15iterator_traitsIS13_E10value_typeET2_T3_PNS14_IS19_E10value_typeET4_jRbjT5_S1F_jjP12ihipStream_tbEUljE_ZNSN_ISO_Lb1ESR_SS_SU_SV_SZ_EES10_S11_S12_S13_S17_S18_S19_S1C_S1D_jS1E_jS1F_S1F_jjS1H_bEUljE0_EEES10_S11_S12_S19_S1D_S1F_T6_T7_T9_mT8_S1H_bDpT10_ENKUlT_T0_E_clISt17integral_constantIbLb1EES1V_EEDaS1Q_S1R_EUlS1Q_E_NS1_11comp_targetILNS1_3genE10ELNS1_11target_archE1200ELNS1_3gpuE4ELNS1_3repE0EEENS1_30default_config_static_selectorELNS0_4arch9wavefront6targetE0EEEvS13_
	.p2align	8
	.type	_ZN7rocprim17ROCPRIM_400000_NS6detail17trampoline_kernelINS0_13select_configILj256ELj13ELNS0_17block_load_methodE3ELS4_3ELS4_3ELNS0_20block_scan_algorithmE0ELj4294967295EEENS1_25partition_config_selectorILNS1_17partition_subalgoE4EjNS0_10empty_typeEbEEZZNS1_14partition_implILS8_4ELb0ES6_15HIP_vector_typeIjLj2EENS0_17counting_iteratorIjlEEPS9_SG_NS0_5tupleIJPjSI_NS0_16reverse_iteratorISI_EEEEENSH_IJSG_SG_SG_EEES9_SI_JZNS1_25segmented_radix_sort_implINS0_14default_configELb1EPK12hip_bfloat16PSP_PKlPlN2at6native12_GLOBAL__N_18offset_tEEE10hipError_tPvRmT1_PNSt15iterator_traitsIS13_E10value_typeET2_T3_PNS14_IS19_E10value_typeET4_jRbjT5_S1F_jjP12ihipStream_tbEUljE_ZNSN_ISO_Lb1ESR_SS_SU_SV_SZ_EES10_S11_S12_S13_S17_S18_S19_S1C_S1D_jS1E_jS1F_S1F_jjS1H_bEUljE0_EEES10_S11_S12_S19_S1D_S1F_T6_T7_T9_mT8_S1H_bDpT10_ENKUlT_T0_E_clISt17integral_constantIbLb1EES1V_EEDaS1Q_S1R_EUlS1Q_E_NS1_11comp_targetILNS1_3genE10ELNS1_11target_archE1200ELNS1_3gpuE4ELNS1_3repE0EEENS1_30default_config_static_selectorELNS0_4arch9wavefront6targetE0EEEvS13_,@function
_ZN7rocprim17ROCPRIM_400000_NS6detail17trampoline_kernelINS0_13select_configILj256ELj13ELNS0_17block_load_methodE3ELS4_3ELS4_3ELNS0_20block_scan_algorithmE0ELj4294967295EEENS1_25partition_config_selectorILNS1_17partition_subalgoE4EjNS0_10empty_typeEbEEZZNS1_14partition_implILS8_4ELb0ES6_15HIP_vector_typeIjLj2EENS0_17counting_iteratorIjlEEPS9_SG_NS0_5tupleIJPjSI_NS0_16reverse_iteratorISI_EEEEENSH_IJSG_SG_SG_EEES9_SI_JZNS1_25segmented_radix_sort_implINS0_14default_configELb1EPK12hip_bfloat16PSP_PKlPlN2at6native12_GLOBAL__N_18offset_tEEE10hipError_tPvRmT1_PNSt15iterator_traitsIS13_E10value_typeET2_T3_PNS14_IS19_E10value_typeET4_jRbjT5_S1F_jjP12ihipStream_tbEUljE_ZNSN_ISO_Lb1ESR_SS_SU_SV_SZ_EES10_S11_S12_S13_S17_S18_S19_S1C_S1D_jS1E_jS1F_S1F_jjS1H_bEUljE0_EEES10_S11_S12_S19_S1D_S1F_T6_T7_T9_mT8_S1H_bDpT10_ENKUlT_T0_E_clISt17integral_constantIbLb1EES1V_EEDaS1Q_S1R_EUlS1Q_E_NS1_11comp_targetILNS1_3genE10ELNS1_11target_archE1200ELNS1_3gpuE4ELNS1_3repE0EEENS1_30default_config_static_selectorELNS0_4arch9wavefront6targetE0EEEvS13_: ; @_ZN7rocprim17ROCPRIM_400000_NS6detail17trampoline_kernelINS0_13select_configILj256ELj13ELNS0_17block_load_methodE3ELS4_3ELS4_3ELNS0_20block_scan_algorithmE0ELj4294967295EEENS1_25partition_config_selectorILNS1_17partition_subalgoE4EjNS0_10empty_typeEbEEZZNS1_14partition_implILS8_4ELb0ES6_15HIP_vector_typeIjLj2EENS0_17counting_iteratorIjlEEPS9_SG_NS0_5tupleIJPjSI_NS0_16reverse_iteratorISI_EEEEENSH_IJSG_SG_SG_EEES9_SI_JZNS1_25segmented_radix_sort_implINS0_14default_configELb1EPK12hip_bfloat16PSP_PKlPlN2at6native12_GLOBAL__N_18offset_tEEE10hipError_tPvRmT1_PNSt15iterator_traitsIS13_E10value_typeET2_T3_PNS14_IS19_E10value_typeET4_jRbjT5_S1F_jjP12ihipStream_tbEUljE_ZNSN_ISO_Lb1ESR_SS_SU_SV_SZ_EES10_S11_S12_S13_S17_S18_S19_S1C_S1D_jS1E_jS1F_S1F_jjS1H_bEUljE0_EEES10_S11_S12_S19_S1D_S1F_T6_T7_T9_mT8_S1H_bDpT10_ENKUlT_T0_E_clISt17integral_constantIbLb1EES1V_EEDaS1Q_S1R_EUlS1Q_E_NS1_11comp_targetILNS1_3genE10ELNS1_11target_archE1200ELNS1_3gpuE4ELNS1_3repE0EEENS1_30default_config_static_selectorELNS0_4arch9wavefront6targetE0EEEvS13_
; %bb.0:
	.section	.rodata,"a",@progbits
	.p2align	6, 0x0
	.amdhsa_kernel _ZN7rocprim17ROCPRIM_400000_NS6detail17trampoline_kernelINS0_13select_configILj256ELj13ELNS0_17block_load_methodE3ELS4_3ELS4_3ELNS0_20block_scan_algorithmE0ELj4294967295EEENS1_25partition_config_selectorILNS1_17partition_subalgoE4EjNS0_10empty_typeEbEEZZNS1_14partition_implILS8_4ELb0ES6_15HIP_vector_typeIjLj2EENS0_17counting_iteratorIjlEEPS9_SG_NS0_5tupleIJPjSI_NS0_16reverse_iteratorISI_EEEEENSH_IJSG_SG_SG_EEES9_SI_JZNS1_25segmented_radix_sort_implINS0_14default_configELb1EPK12hip_bfloat16PSP_PKlPlN2at6native12_GLOBAL__N_18offset_tEEE10hipError_tPvRmT1_PNSt15iterator_traitsIS13_E10value_typeET2_T3_PNS14_IS19_E10value_typeET4_jRbjT5_S1F_jjP12ihipStream_tbEUljE_ZNSN_ISO_Lb1ESR_SS_SU_SV_SZ_EES10_S11_S12_S13_S17_S18_S19_S1C_S1D_jS1E_jS1F_S1F_jjS1H_bEUljE0_EEES10_S11_S12_S19_S1D_S1F_T6_T7_T9_mT8_S1H_bDpT10_ENKUlT_T0_E_clISt17integral_constantIbLb1EES1V_EEDaS1Q_S1R_EUlS1Q_E_NS1_11comp_targetILNS1_3genE10ELNS1_11target_archE1200ELNS1_3gpuE4ELNS1_3repE0EEENS1_30default_config_static_selectorELNS0_4arch9wavefront6targetE0EEEvS13_
		.amdhsa_group_segment_fixed_size 0
		.amdhsa_private_segment_fixed_size 0
		.amdhsa_kernarg_size 184
		.amdhsa_user_sgpr_count 6
		.amdhsa_user_sgpr_private_segment_buffer 1
		.amdhsa_user_sgpr_dispatch_ptr 0
		.amdhsa_user_sgpr_queue_ptr 0
		.amdhsa_user_sgpr_kernarg_segment_ptr 1
		.amdhsa_user_sgpr_dispatch_id 0
		.amdhsa_user_sgpr_flat_scratch_init 0
		.amdhsa_user_sgpr_private_segment_size 0
		.amdhsa_wavefront_size32 1
		.amdhsa_uses_dynamic_stack 0
		.amdhsa_system_sgpr_private_segment_wavefront_offset 0
		.amdhsa_system_sgpr_workgroup_id_x 1
		.amdhsa_system_sgpr_workgroup_id_y 0
		.amdhsa_system_sgpr_workgroup_id_z 0
		.amdhsa_system_sgpr_workgroup_info 0
		.amdhsa_system_vgpr_workitem_id 0
		.amdhsa_next_free_vgpr 1
		.amdhsa_next_free_sgpr 1
		.amdhsa_reserve_vcc 0
		.amdhsa_reserve_flat_scratch 0
		.amdhsa_float_round_mode_32 0
		.amdhsa_float_round_mode_16_64 0
		.amdhsa_float_denorm_mode_32 3
		.amdhsa_float_denorm_mode_16_64 3
		.amdhsa_dx10_clamp 1
		.amdhsa_ieee_mode 1
		.amdhsa_fp16_overflow 0
		.amdhsa_workgroup_processor_mode 1
		.amdhsa_memory_ordered 1
		.amdhsa_forward_progress 1
		.amdhsa_shared_vgpr_count 0
		.amdhsa_exception_fp_ieee_invalid_op 0
		.amdhsa_exception_fp_denorm_src 0
		.amdhsa_exception_fp_ieee_div_zero 0
		.amdhsa_exception_fp_ieee_overflow 0
		.amdhsa_exception_fp_ieee_underflow 0
		.amdhsa_exception_fp_ieee_inexact 0
		.amdhsa_exception_int_div_zero 0
	.end_amdhsa_kernel
	.section	.text._ZN7rocprim17ROCPRIM_400000_NS6detail17trampoline_kernelINS0_13select_configILj256ELj13ELNS0_17block_load_methodE3ELS4_3ELS4_3ELNS0_20block_scan_algorithmE0ELj4294967295EEENS1_25partition_config_selectorILNS1_17partition_subalgoE4EjNS0_10empty_typeEbEEZZNS1_14partition_implILS8_4ELb0ES6_15HIP_vector_typeIjLj2EENS0_17counting_iteratorIjlEEPS9_SG_NS0_5tupleIJPjSI_NS0_16reverse_iteratorISI_EEEEENSH_IJSG_SG_SG_EEES9_SI_JZNS1_25segmented_radix_sort_implINS0_14default_configELb1EPK12hip_bfloat16PSP_PKlPlN2at6native12_GLOBAL__N_18offset_tEEE10hipError_tPvRmT1_PNSt15iterator_traitsIS13_E10value_typeET2_T3_PNS14_IS19_E10value_typeET4_jRbjT5_S1F_jjP12ihipStream_tbEUljE_ZNSN_ISO_Lb1ESR_SS_SU_SV_SZ_EES10_S11_S12_S13_S17_S18_S19_S1C_S1D_jS1E_jS1F_S1F_jjS1H_bEUljE0_EEES10_S11_S12_S19_S1D_S1F_T6_T7_T9_mT8_S1H_bDpT10_ENKUlT_T0_E_clISt17integral_constantIbLb1EES1V_EEDaS1Q_S1R_EUlS1Q_E_NS1_11comp_targetILNS1_3genE10ELNS1_11target_archE1200ELNS1_3gpuE4ELNS1_3repE0EEENS1_30default_config_static_selectorELNS0_4arch9wavefront6targetE0EEEvS13_,"axG",@progbits,_ZN7rocprim17ROCPRIM_400000_NS6detail17trampoline_kernelINS0_13select_configILj256ELj13ELNS0_17block_load_methodE3ELS4_3ELS4_3ELNS0_20block_scan_algorithmE0ELj4294967295EEENS1_25partition_config_selectorILNS1_17partition_subalgoE4EjNS0_10empty_typeEbEEZZNS1_14partition_implILS8_4ELb0ES6_15HIP_vector_typeIjLj2EENS0_17counting_iteratorIjlEEPS9_SG_NS0_5tupleIJPjSI_NS0_16reverse_iteratorISI_EEEEENSH_IJSG_SG_SG_EEES9_SI_JZNS1_25segmented_radix_sort_implINS0_14default_configELb1EPK12hip_bfloat16PSP_PKlPlN2at6native12_GLOBAL__N_18offset_tEEE10hipError_tPvRmT1_PNSt15iterator_traitsIS13_E10value_typeET2_T3_PNS14_IS19_E10value_typeET4_jRbjT5_S1F_jjP12ihipStream_tbEUljE_ZNSN_ISO_Lb1ESR_SS_SU_SV_SZ_EES10_S11_S12_S13_S17_S18_S19_S1C_S1D_jS1E_jS1F_S1F_jjS1H_bEUljE0_EEES10_S11_S12_S19_S1D_S1F_T6_T7_T9_mT8_S1H_bDpT10_ENKUlT_T0_E_clISt17integral_constantIbLb1EES1V_EEDaS1Q_S1R_EUlS1Q_E_NS1_11comp_targetILNS1_3genE10ELNS1_11target_archE1200ELNS1_3gpuE4ELNS1_3repE0EEENS1_30default_config_static_selectorELNS0_4arch9wavefront6targetE0EEEvS13_,comdat
.Lfunc_end1885:
	.size	_ZN7rocprim17ROCPRIM_400000_NS6detail17trampoline_kernelINS0_13select_configILj256ELj13ELNS0_17block_load_methodE3ELS4_3ELS4_3ELNS0_20block_scan_algorithmE0ELj4294967295EEENS1_25partition_config_selectorILNS1_17partition_subalgoE4EjNS0_10empty_typeEbEEZZNS1_14partition_implILS8_4ELb0ES6_15HIP_vector_typeIjLj2EENS0_17counting_iteratorIjlEEPS9_SG_NS0_5tupleIJPjSI_NS0_16reverse_iteratorISI_EEEEENSH_IJSG_SG_SG_EEES9_SI_JZNS1_25segmented_radix_sort_implINS0_14default_configELb1EPK12hip_bfloat16PSP_PKlPlN2at6native12_GLOBAL__N_18offset_tEEE10hipError_tPvRmT1_PNSt15iterator_traitsIS13_E10value_typeET2_T3_PNS14_IS19_E10value_typeET4_jRbjT5_S1F_jjP12ihipStream_tbEUljE_ZNSN_ISO_Lb1ESR_SS_SU_SV_SZ_EES10_S11_S12_S13_S17_S18_S19_S1C_S1D_jS1E_jS1F_S1F_jjS1H_bEUljE0_EEES10_S11_S12_S19_S1D_S1F_T6_T7_T9_mT8_S1H_bDpT10_ENKUlT_T0_E_clISt17integral_constantIbLb1EES1V_EEDaS1Q_S1R_EUlS1Q_E_NS1_11comp_targetILNS1_3genE10ELNS1_11target_archE1200ELNS1_3gpuE4ELNS1_3repE0EEENS1_30default_config_static_selectorELNS0_4arch9wavefront6targetE0EEEvS13_, .Lfunc_end1885-_ZN7rocprim17ROCPRIM_400000_NS6detail17trampoline_kernelINS0_13select_configILj256ELj13ELNS0_17block_load_methodE3ELS4_3ELS4_3ELNS0_20block_scan_algorithmE0ELj4294967295EEENS1_25partition_config_selectorILNS1_17partition_subalgoE4EjNS0_10empty_typeEbEEZZNS1_14partition_implILS8_4ELb0ES6_15HIP_vector_typeIjLj2EENS0_17counting_iteratorIjlEEPS9_SG_NS0_5tupleIJPjSI_NS0_16reverse_iteratorISI_EEEEENSH_IJSG_SG_SG_EEES9_SI_JZNS1_25segmented_radix_sort_implINS0_14default_configELb1EPK12hip_bfloat16PSP_PKlPlN2at6native12_GLOBAL__N_18offset_tEEE10hipError_tPvRmT1_PNSt15iterator_traitsIS13_E10value_typeET2_T3_PNS14_IS19_E10value_typeET4_jRbjT5_S1F_jjP12ihipStream_tbEUljE_ZNSN_ISO_Lb1ESR_SS_SU_SV_SZ_EES10_S11_S12_S13_S17_S18_S19_S1C_S1D_jS1E_jS1F_S1F_jjS1H_bEUljE0_EEES10_S11_S12_S19_S1D_S1F_T6_T7_T9_mT8_S1H_bDpT10_ENKUlT_T0_E_clISt17integral_constantIbLb1EES1V_EEDaS1Q_S1R_EUlS1Q_E_NS1_11comp_targetILNS1_3genE10ELNS1_11target_archE1200ELNS1_3gpuE4ELNS1_3repE0EEENS1_30default_config_static_selectorELNS0_4arch9wavefront6targetE0EEEvS13_
                                        ; -- End function
	.set _ZN7rocprim17ROCPRIM_400000_NS6detail17trampoline_kernelINS0_13select_configILj256ELj13ELNS0_17block_load_methodE3ELS4_3ELS4_3ELNS0_20block_scan_algorithmE0ELj4294967295EEENS1_25partition_config_selectorILNS1_17partition_subalgoE4EjNS0_10empty_typeEbEEZZNS1_14partition_implILS8_4ELb0ES6_15HIP_vector_typeIjLj2EENS0_17counting_iteratorIjlEEPS9_SG_NS0_5tupleIJPjSI_NS0_16reverse_iteratorISI_EEEEENSH_IJSG_SG_SG_EEES9_SI_JZNS1_25segmented_radix_sort_implINS0_14default_configELb1EPK12hip_bfloat16PSP_PKlPlN2at6native12_GLOBAL__N_18offset_tEEE10hipError_tPvRmT1_PNSt15iterator_traitsIS13_E10value_typeET2_T3_PNS14_IS19_E10value_typeET4_jRbjT5_S1F_jjP12ihipStream_tbEUljE_ZNSN_ISO_Lb1ESR_SS_SU_SV_SZ_EES10_S11_S12_S13_S17_S18_S19_S1C_S1D_jS1E_jS1F_S1F_jjS1H_bEUljE0_EEES10_S11_S12_S19_S1D_S1F_T6_T7_T9_mT8_S1H_bDpT10_ENKUlT_T0_E_clISt17integral_constantIbLb1EES1V_EEDaS1Q_S1R_EUlS1Q_E_NS1_11comp_targetILNS1_3genE10ELNS1_11target_archE1200ELNS1_3gpuE4ELNS1_3repE0EEENS1_30default_config_static_selectorELNS0_4arch9wavefront6targetE0EEEvS13_.num_vgpr, 0
	.set _ZN7rocprim17ROCPRIM_400000_NS6detail17trampoline_kernelINS0_13select_configILj256ELj13ELNS0_17block_load_methodE3ELS4_3ELS4_3ELNS0_20block_scan_algorithmE0ELj4294967295EEENS1_25partition_config_selectorILNS1_17partition_subalgoE4EjNS0_10empty_typeEbEEZZNS1_14partition_implILS8_4ELb0ES6_15HIP_vector_typeIjLj2EENS0_17counting_iteratorIjlEEPS9_SG_NS0_5tupleIJPjSI_NS0_16reverse_iteratorISI_EEEEENSH_IJSG_SG_SG_EEES9_SI_JZNS1_25segmented_radix_sort_implINS0_14default_configELb1EPK12hip_bfloat16PSP_PKlPlN2at6native12_GLOBAL__N_18offset_tEEE10hipError_tPvRmT1_PNSt15iterator_traitsIS13_E10value_typeET2_T3_PNS14_IS19_E10value_typeET4_jRbjT5_S1F_jjP12ihipStream_tbEUljE_ZNSN_ISO_Lb1ESR_SS_SU_SV_SZ_EES10_S11_S12_S13_S17_S18_S19_S1C_S1D_jS1E_jS1F_S1F_jjS1H_bEUljE0_EEES10_S11_S12_S19_S1D_S1F_T6_T7_T9_mT8_S1H_bDpT10_ENKUlT_T0_E_clISt17integral_constantIbLb1EES1V_EEDaS1Q_S1R_EUlS1Q_E_NS1_11comp_targetILNS1_3genE10ELNS1_11target_archE1200ELNS1_3gpuE4ELNS1_3repE0EEENS1_30default_config_static_selectorELNS0_4arch9wavefront6targetE0EEEvS13_.num_agpr, 0
	.set _ZN7rocprim17ROCPRIM_400000_NS6detail17trampoline_kernelINS0_13select_configILj256ELj13ELNS0_17block_load_methodE3ELS4_3ELS4_3ELNS0_20block_scan_algorithmE0ELj4294967295EEENS1_25partition_config_selectorILNS1_17partition_subalgoE4EjNS0_10empty_typeEbEEZZNS1_14partition_implILS8_4ELb0ES6_15HIP_vector_typeIjLj2EENS0_17counting_iteratorIjlEEPS9_SG_NS0_5tupleIJPjSI_NS0_16reverse_iteratorISI_EEEEENSH_IJSG_SG_SG_EEES9_SI_JZNS1_25segmented_radix_sort_implINS0_14default_configELb1EPK12hip_bfloat16PSP_PKlPlN2at6native12_GLOBAL__N_18offset_tEEE10hipError_tPvRmT1_PNSt15iterator_traitsIS13_E10value_typeET2_T3_PNS14_IS19_E10value_typeET4_jRbjT5_S1F_jjP12ihipStream_tbEUljE_ZNSN_ISO_Lb1ESR_SS_SU_SV_SZ_EES10_S11_S12_S13_S17_S18_S19_S1C_S1D_jS1E_jS1F_S1F_jjS1H_bEUljE0_EEES10_S11_S12_S19_S1D_S1F_T6_T7_T9_mT8_S1H_bDpT10_ENKUlT_T0_E_clISt17integral_constantIbLb1EES1V_EEDaS1Q_S1R_EUlS1Q_E_NS1_11comp_targetILNS1_3genE10ELNS1_11target_archE1200ELNS1_3gpuE4ELNS1_3repE0EEENS1_30default_config_static_selectorELNS0_4arch9wavefront6targetE0EEEvS13_.numbered_sgpr, 0
	.set _ZN7rocprim17ROCPRIM_400000_NS6detail17trampoline_kernelINS0_13select_configILj256ELj13ELNS0_17block_load_methodE3ELS4_3ELS4_3ELNS0_20block_scan_algorithmE0ELj4294967295EEENS1_25partition_config_selectorILNS1_17partition_subalgoE4EjNS0_10empty_typeEbEEZZNS1_14partition_implILS8_4ELb0ES6_15HIP_vector_typeIjLj2EENS0_17counting_iteratorIjlEEPS9_SG_NS0_5tupleIJPjSI_NS0_16reverse_iteratorISI_EEEEENSH_IJSG_SG_SG_EEES9_SI_JZNS1_25segmented_radix_sort_implINS0_14default_configELb1EPK12hip_bfloat16PSP_PKlPlN2at6native12_GLOBAL__N_18offset_tEEE10hipError_tPvRmT1_PNSt15iterator_traitsIS13_E10value_typeET2_T3_PNS14_IS19_E10value_typeET4_jRbjT5_S1F_jjP12ihipStream_tbEUljE_ZNSN_ISO_Lb1ESR_SS_SU_SV_SZ_EES10_S11_S12_S13_S17_S18_S19_S1C_S1D_jS1E_jS1F_S1F_jjS1H_bEUljE0_EEES10_S11_S12_S19_S1D_S1F_T6_T7_T9_mT8_S1H_bDpT10_ENKUlT_T0_E_clISt17integral_constantIbLb1EES1V_EEDaS1Q_S1R_EUlS1Q_E_NS1_11comp_targetILNS1_3genE10ELNS1_11target_archE1200ELNS1_3gpuE4ELNS1_3repE0EEENS1_30default_config_static_selectorELNS0_4arch9wavefront6targetE0EEEvS13_.num_named_barrier, 0
	.set _ZN7rocprim17ROCPRIM_400000_NS6detail17trampoline_kernelINS0_13select_configILj256ELj13ELNS0_17block_load_methodE3ELS4_3ELS4_3ELNS0_20block_scan_algorithmE0ELj4294967295EEENS1_25partition_config_selectorILNS1_17partition_subalgoE4EjNS0_10empty_typeEbEEZZNS1_14partition_implILS8_4ELb0ES6_15HIP_vector_typeIjLj2EENS0_17counting_iteratorIjlEEPS9_SG_NS0_5tupleIJPjSI_NS0_16reverse_iteratorISI_EEEEENSH_IJSG_SG_SG_EEES9_SI_JZNS1_25segmented_radix_sort_implINS0_14default_configELb1EPK12hip_bfloat16PSP_PKlPlN2at6native12_GLOBAL__N_18offset_tEEE10hipError_tPvRmT1_PNSt15iterator_traitsIS13_E10value_typeET2_T3_PNS14_IS19_E10value_typeET4_jRbjT5_S1F_jjP12ihipStream_tbEUljE_ZNSN_ISO_Lb1ESR_SS_SU_SV_SZ_EES10_S11_S12_S13_S17_S18_S19_S1C_S1D_jS1E_jS1F_S1F_jjS1H_bEUljE0_EEES10_S11_S12_S19_S1D_S1F_T6_T7_T9_mT8_S1H_bDpT10_ENKUlT_T0_E_clISt17integral_constantIbLb1EES1V_EEDaS1Q_S1R_EUlS1Q_E_NS1_11comp_targetILNS1_3genE10ELNS1_11target_archE1200ELNS1_3gpuE4ELNS1_3repE0EEENS1_30default_config_static_selectorELNS0_4arch9wavefront6targetE0EEEvS13_.private_seg_size, 0
	.set _ZN7rocprim17ROCPRIM_400000_NS6detail17trampoline_kernelINS0_13select_configILj256ELj13ELNS0_17block_load_methodE3ELS4_3ELS4_3ELNS0_20block_scan_algorithmE0ELj4294967295EEENS1_25partition_config_selectorILNS1_17partition_subalgoE4EjNS0_10empty_typeEbEEZZNS1_14partition_implILS8_4ELb0ES6_15HIP_vector_typeIjLj2EENS0_17counting_iteratorIjlEEPS9_SG_NS0_5tupleIJPjSI_NS0_16reverse_iteratorISI_EEEEENSH_IJSG_SG_SG_EEES9_SI_JZNS1_25segmented_radix_sort_implINS0_14default_configELb1EPK12hip_bfloat16PSP_PKlPlN2at6native12_GLOBAL__N_18offset_tEEE10hipError_tPvRmT1_PNSt15iterator_traitsIS13_E10value_typeET2_T3_PNS14_IS19_E10value_typeET4_jRbjT5_S1F_jjP12ihipStream_tbEUljE_ZNSN_ISO_Lb1ESR_SS_SU_SV_SZ_EES10_S11_S12_S13_S17_S18_S19_S1C_S1D_jS1E_jS1F_S1F_jjS1H_bEUljE0_EEES10_S11_S12_S19_S1D_S1F_T6_T7_T9_mT8_S1H_bDpT10_ENKUlT_T0_E_clISt17integral_constantIbLb1EES1V_EEDaS1Q_S1R_EUlS1Q_E_NS1_11comp_targetILNS1_3genE10ELNS1_11target_archE1200ELNS1_3gpuE4ELNS1_3repE0EEENS1_30default_config_static_selectorELNS0_4arch9wavefront6targetE0EEEvS13_.uses_vcc, 0
	.set _ZN7rocprim17ROCPRIM_400000_NS6detail17trampoline_kernelINS0_13select_configILj256ELj13ELNS0_17block_load_methodE3ELS4_3ELS4_3ELNS0_20block_scan_algorithmE0ELj4294967295EEENS1_25partition_config_selectorILNS1_17partition_subalgoE4EjNS0_10empty_typeEbEEZZNS1_14partition_implILS8_4ELb0ES6_15HIP_vector_typeIjLj2EENS0_17counting_iteratorIjlEEPS9_SG_NS0_5tupleIJPjSI_NS0_16reverse_iteratorISI_EEEEENSH_IJSG_SG_SG_EEES9_SI_JZNS1_25segmented_radix_sort_implINS0_14default_configELb1EPK12hip_bfloat16PSP_PKlPlN2at6native12_GLOBAL__N_18offset_tEEE10hipError_tPvRmT1_PNSt15iterator_traitsIS13_E10value_typeET2_T3_PNS14_IS19_E10value_typeET4_jRbjT5_S1F_jjP12ihipStream_tbEUljE_ZNSN_ISO_Lb1ESR_SS_SU_SV_SZ_EES10_S11_S12_S13_S17_S18_S19_S1C_S1D_jS1E_jS1F_S1F_jjS1H_bEUljE0_EEES10_S11_S12_S19_S1D_S1F_T6_T7_T9_mT8_S1H_bDpT10_ENKUlT_T0_E_clISt17integral_constantIbLb1EES1V_EEDaS1Q_S1R_EUlS1Q_E_NS1_11comp_targetILNS1_3genE10ELNS1_11target_archE1200ELNS1_3gpuE4ELNS1_3repE0EEENS1_30default_config_static_selectorELNS0_4arch9wavefront6targetE0EEEvS13_.uses_flat_scratch, 0
	.set _ZN7rocprim17ROCPRIM_400000_NS6detail17trampoline_kernelINS0_13select_configILj256ELj13ELNS0_17block_load_methodE3ELS4_3ELS4_3ELNS0_20block_scan_algorithmE0ELj4294967295EEENS1_25partition_config_selectorILNS1_17partition_subalgoE4EjNS0_10empty_typeEbEEZZNS1_14partition_implILS8_4ELb0ES6_15HIP_vector_typeIjLj2EENS0_17counting_iteratorIjlEEPS9_SG_NS0_5tupleIJPjSI_NS0_16reverse_iteratorISI_EEEEENSH_IJSG_SG_SG_EEES9_SI_JZNS1_25segmented_radix_sort_implINS0_14default_configELb1EPK12hip_bfloat16PSP_PKlPlN2at6native12_GLOBAL__N_18offset_tEEE10hipError_tPvRmT1_PNSt15iterator_traitsIS13_E10value_typeET2_T3_PNS14_IS19_E10value_typeET4_jRbjT5_S1F_jjP12ihipStream_tbEUljE_ZNSN_ISO_Lb1ESR_SS_SU_SV_SZ_EES10_S11_S12_S13_S17_S18_S19_S1C_S1D_jS1E_jS1F_S1F_jjS1H_bEUljE0_EEES10_S11_S12_S19_S1D_S1F_T6_T7_T9_mT8_S1H_bDpT10_ENKUlT_T0_E_clISt17integral_constantIbLb1EES1V_EEDaS1Q_S1R_EUlS1Q_E_NS1_11comp_targetILNS1_3genE10ELNS1_11target_archE1200ELNS1_3gpuE4ELNS1_3repE0EEENS1_30default_config_static_selectorELNS0_4arch9wavefront6targetE0EEEvS13_.has_dyn_sized_stack, 0
	.set _ZN7rocprim17ROCPRIM_400000_NS6detail17trampoline_kernelINS0_13select_configILj256ELj13ELNS0_17block_load_methodE3ELS4_3ELS4_3ELNS0_20block_scan_algorithmE0ELj4294967295EEENS1_25partition_config_selectorILNS1_17partition_subalgoE4EjNS0_10empty_typeEbEEZZNS1_14partition_implILS8_4ELb0ES6_15HIP_vector_typeIjLj2EENS0_17counting_iteratorIjlEEPS9_SG_NS0_5tupleIJPjSI_NS0_16reverse_iteratorISI_EEEEENSH_IJSG_SG_SG_EEES9_SI_JZNS1_25segmented_radix_sort_implINS0_14default_configELb1EPK12hip_bfloat16PSP_PKlPlN2at6native12_GLOBAL__N_18offset_tEEE10hipError_tPvRmT1_PNSt15iterator_traitsIS13_E10value_typeET2_T3_PNS14_IS19_E10value_typeET4_jRbjT5_S1F_jjP12ihipStream_tbEUljE_ZNSN_ISO_Lb1ESR_SS_SU_SV_SZ_EES10_S11_S12_S13_S17_S18_S19_S1C_S1D_jS1E_jS1F_S1F_jjS1H_bEUljE0_EEES10_S11_S12_S19_S1D_S1F_T6_T7_T9_mT8_S1H_bDpT10_ENKUlT_T0_E_clISt17integral_constantIbLb1EES1V_EEDaS1Q_S1R_EUlS1Q_E_NS1_11comp_targetILNS1_3genE10ELNS1_11target_archE1200ELNS1_3gpuE4ELNS1_3repE0EEENS1_30default_config_static_selectorELNS0_4arch9wavefront6targetE0EEEvS13_.has_recursion, 0
	.set _ZN7rocprim17ROCPRIM_400000_NS6detail17trampoline_kernelINS0_13select_configILj256ELj13ELNS0_17block_load_methodE3ELS4_3ELS4_3ELNS0_20block_scan_algorithmE0ELj4294967295EEENS1_25partition_config_selectorILNS1_17partition_subalgoE4EjNS0_10empty_typeEbEEZZNS1_14partition_implILS8_4ELb0ES6_15HIP_vector_typeIjLj2EENS0_17counting_iteratorIjlEEPS9_SG_NS0_5tupleIJPjSI_NS0_16reverse_iteratorISI_EEEEENSH_IJSG_SG_SG_EEES9_SI_JZNS1_25segmented_radix_sort_implINS0_14default_configELb1EPK12hip_bfloat16PSP_PKlPlN2at6native12_GLOBAL__N_18offset_tEEE10hipError_tPvRmT1_PNSt15iterator_traitsIS13_E10value_typeET2_T3_PNS14_IS19_E10value_typeET4_jRbjT5_S1F_jjP12ihipStream_tbEUljE_ZNSN_ISO_Lb1ESR_SS_SU_SV_SZ_EES10_S11_S12_S13_S17_S18_S19_S1C_S1D_jS1E_jS1F_S1F_jjS1H_bEUljE0_EEES10_S11_S12_S19_S1D_S1F_T6_T7_T9_mT8_S1H_bDpT10_ENKUlT_T0_E_clISt17integral_constantIbLb1EES1V_EEDaS1Q_S1R_EUlS1Q_E_NS1_11comp_targetILNS1_3genE10ELNS1_11target_archE1200ELNS1_3gpuE4ELNS1_3repE0EEENS1_30default_config_static_selectorELNS0_4arch9wavefront6targetE0EEEvS13_.has_indirect_call, 0
	.section	.AMDGPU.csdata,"",@progbits
; Kernel info:
; codeLenInByte = 0
; TotalNumSgprs: 0
; NumVgprs: 0
; ScratchSize: 0
; MemoryBound: 0
; FloatMode: 240
; IeeeMode: 1
; LDSByteSize: 0 bytes/workgroup (compile time only)
; SGPRBlocks: 0
; VGPRBlocks: 0
; NumSGPRsForWavesPerEU: 1
; NumVGPRsForWavesPerEU: 1
; Occupancy: 16
; WaveLimiterHint : 0
; COMPUTE_PGM_RSRC2:SCRATCH_EN: 0
; COMPUTE_PGM_RSRC2:USER_SGPR: 6
; COMPUTE_PGM_RSRC2:TRAP_HANDLER: 0
; COMPUTE_PGM_RSRC2:TGID_X_EN: 1
; COMPUTE_PGM_RSRC2:TGID_Y_EN: 0
; COMPUTE_PGM_RSRC2:TGID_Z_EN: 0
; COMPUTE_PGM_RSRC2:TIDIG_COMP_CNT: 0
	.section	.text._ZN7rocprim17ROCPRIM_400000_NS6detail17trampoline_kernelINS0_13select_configILj256ELj13ELNS0_17block_load_methodE3ELS4_3ELS4_3ELNS0_20block_scan_algorithmE0ELj4294967295EEENS1_25partition_config_selectorILNS1_17partition_subalgoE4EjNS0_10empty_typeEbEEZZNS1_14partition_implILS8_4ELb0ES6_15HIP_vector_typeIjLj2EENS0_17counting_iteratorIjlEEPS9_SG_NS0_5tupleIJPjSI_NS0_16reverse_iteratorISI_EEEEENSH_IJSG_SG_SG_EEES9_SI_JZNS1_25segmented_radix_sort_implINS0_14default_configELb1EPK12hip_bfloat16PSP_PKlPlN2at6native12_GLOBAL__N_18offset_tEEE10hipError_tPvRmT1_PNSt15iterator_traitsIS13_E10value_typeET2_T3_PNS14_IS19_E10value_typeET4_jRbjT5_S1F_jjP12ihipStream_tbEUljE_ZNSN_ISO_Lb1ESR_SS_SU_SV_SZ_EES10_S11_S12_S13_S17_S18_S19_S1C_S1D_jS1E_jS1F_S1F_jjS1H_bEUljE0_EEES10_S11_S12_S19_S1D_S1F_T6_T7_T9_mT8_S1H_bDpT10_ENKUlT_T0_E_clISt17integral_constantIbLb1EES1V_EEDaS1Q_S1R_EUlS1Q_E_NS1_11comp_targetILNS1_3genE9ELNS1_11target_archE1100ELNS1_3gpuE3ELNS1_3repE0EEENS1_30default_config_static_selectorELNS0_4arch9wavefront6targetE0EEEvS13_,"axG",@progbits,_ZN7rocprim17ROCPRIM_400000_NS6detail17trampoline_kernelINS0_13select_configILj256ELj13ELNS0_17block_load_methodE3ELS4_3ELS4_3ELNS0_20block_scan_algorithmE0ELj4294967295EEENS1_25partition_config_selectorILNS1_17partition_subalgoE4EjNS0_10empty_typeEbEEZZNS1_14partition_implILS8_4ELb0ES6_15HIP_vector_typeIjLj2EENS0_17counting_iteratorIjlEEPS9_SG_NS0_5tupleIJPjSI_NS0_16reverse_iteratorISI_EEEEENSH_IJSG_SG_SG_EEES9_SI_JZNS1_25segmented_radix_sort_implINS0_14default_configELb1EPK12hip_bfloat16PSP_PKlPlN2at6native12_GLOBAL__N_18offset_tEEE10hipError_tPvRmT1_PNSt15iterator_traitsIS13_E10value_typeET2_T3_PNS14_IS19_E10value_typeET4_jRbjT5_S1F_jjP12ihipStream_tbEUljE_ZNSN_ISO_Lb1ESR_SS_SU_SV_SZ_EES10_S11_S12_S13_S17_S18_S19_S1C_S1D_jS1E_jS1F_S1F_jjS1H_bEUljE0_EEES10_S11_S12_S19_S1D_S1F_T6_T7_T9_mT8_S1H_bDpT10_ENKUlT_T0_E_clISt17integral_constantIbLb1EES1V_EEDaS1Q_S1R_EUlS1Q_E_NS1_11comp_targetILNS1_3genE9ELNS1_11target_archE1100ELNS1_3gpuE3ELNS1_3repE0EEENS1_30default_config_static_selectorELNS0_4arch9wavefront6targetE0EEEvS13_,comdat
	.globl	_ZN7rocprim17ROCPRIM_400000_NS6detail17trampoline_kernelINS0_13select_configILj256ELj13ELNS0_17block_load_methodE3ELS4_3ELS4_3ELNS0_20block_scan_algorithmE0ELj4294967295EEENS1_25partition_config_selectorILNS1_17partition_subalgoE4EjNS0_10empty_typeEbEEZZNS1_14partition_implILS8_4ELb0ES6_15HIP_vector_typeIjLj2EENS0_17counting_iteratorIjlEEPS9_SG_NS0_5tupleIJPjSI_NS0_16reverse_iteratorISI_EEEEENSH_IJSG_SG_SG_EEES9_SI_JZNS1_25segmented_radix_sort_implINS0_14default_configELb1EPK12hip_bfloat16PSP_PKlPlN2at6native12_GLOBAL__N_18offset_tEEE10hipError_tPvRmT1_PNSt15iterator_traitsIS13_E10value_typeET2_T3_PNS14_IS19_E10value_typeET4_jRbjT5_S1F_jjP12ihipStream_tbEUljE_ZNSN_ISO_Lb1ESR_SS_SU_SV_SZ_EES10_S11_S12_S13_S17_S18_S19_S1C_S1D_jS1E_jS1F_S1F_jjS1H_bEUljE0_EEES10_S11_S12_S19_S1D_S1F_T6_T7_T9_mT8_S1H_bDpT10_ENKUlT_T0_E_clISt17integral_constantIbLb1EES1V_EEDaS1Q_S1R_EUlS1Q_E_NS1_11comp_targetILNS1_3genE9ELNS1_11target_archE1100ELNS1_3gpuE3ELNS1_3repE0EEENS1_30default_config_static_selectorELNS0_4arch9wavefront6targetE0EEEvS13_ ; -- Begin function _ZN7rocprim17ROCPRIM_400000_NS6detail17trampoline_kernelINS0_13select_configILj256ELj13ELNS0_17block_load_methodE3ELS4_3ELS4_3ELNS0_20block_scan_algorithmE0ELj4294967295EEENS1_25partition_config_selectorILNS1_17partition_subalgoE4EjNS0_10empty_typeEbEEZZNS1_14partition_implILS8_4ELb0ES6_15HIP_vector_typeIjLj2EENS0_17counting_iteratorIjlEEPS9_SG_NS0_5tupleIJPjSI_NS0_16reverse_iteratorISI_EEEEENSH_IJSG_SG_SG_EEES9_SI_JZNS1_25segmented_radix_sort_implINS0_14default_configELb1EPK12hip_bfloat16PSP_PKlPlN2at6native12_GLOBAL__N_18offset_tEEE10hipError_tPvRmT1_PNSt15iterator_traitsIS13_E10value_typeET2_T3_PNS14_IS19_E10value_typeET4_jRbjT5_S1F_jjP12ihipStream_tbEUljE_ZNSN_ISO_Lb1ESR_SS_SU_SV_SZ_EES10_S11_S12_S13_S17_S18_S19_S1C_S1D_jS1E_jS1F_S1F_jjS1H_bEUljE0_EEES10_S11_S12_S19_S1D_S1F_T6_T7_T9_mT8_S1H_bDpT10_ENKUlT_T0_E_clISt17integral_constantIbLb1EES1V_EEDaS1Q_S1R_EUlS1Q_E_NS1_11comp_targetILNS1_3genE9ELNS1_11target_archE1100ELNS1_3gpuE3ELNS1_3repE0EEENS1_30default_config_static_selectorELNS0_4arch9wavefront6targetE0EEEvS13_
	.p2align	8
	.type	_ZN7rocprim17ROCPRIM_400000_NS6detail17trampoline_kernelINS0_13select_configILj256ELj13ELNS0_17block_load_methodE3ELS4_3ELS4_3ELNS0_20block_scan_algorithmE0ELj4294967295EEENS1_25partition_config_selectorILNS1_17partition_subalgoE4EjNS0_10empty_typeEbEEZZNS1_14partition_implILS8_4ELb0ES6_15HIP_vector_typeIjLj2EENS0_17counting_iteratorIjlEEPS9_SG_NS0_5tupleIJPjSI_NS0_16reverse_iteratorISI_EEEEENSH_IJSG_SG_SG_EEES9_SI_JZNS1_25segmented_radix_sort_implINS0_14default_configELb1EPK12hip_bfloat16PSP_PKlPlN2at6native12_GLOBAL__N_18offset_tEEE10hipError_tPvRmT1_PNSt15iterator_traitsIS13_E10value_typeET2_T3_PNS14_IS19_E10value_typeET4_jRbjT5_S1F_jjP12ihipStream_tbEUljE_ZNSN_ISO_Lb1ESR_SS_SU_SV_SZ_EES10_S11_S12_S13_S17_S18_S19_S1C_S1D_jS1E_jS1F_S1F_jjS1H_bEUljE0_EEES10_S11_S12_S19_S1D_S1F_T6_T7_T9_mT8_S1H_bDpT10_ENKUlT_T0_E_clISt17integral_constantIbLb1EES1V_EEDaS1Q_S1R_EUlS1Q_E_NS1_11comp_targetILNS1_3genE9ELNS1_11target_archE1100ELNS1_3gpuE3ELNS1_3repE0EEENS1_30default_config_static_selectorELNS0_4arch9wavefront6targetE0EEEvS13_,@function
_ZN7rocprim17ROCPRIM_400000_NS6detail17trampoline_kernelINS0_13select_configILj256ELj13ELNS0_17block_load_methodE3ELS4_3ELS4_3ELNS0_20block_scan_algorithmE0ELj4294967295EEENS1_25partition_config_selectorILNS1_17partition_subalgoE4EjNS0_10empty_typeEbEEZZNS1_14partition_implILS8_4ELb0ES6_15HIP_vector_typeIjLj2EENS0_17counting_iteratorIjlEEPS9_SG_NS0_5tupleIJPjSI_NS0_16reverse_iteratorISI_EEEEENSH_IJSG_SG_SG_EEES9_SI_JZNS1_25segmented_radix_sort_implINS0_14default_configELb1EPK12hip_bfloat16PSP_PKlPlN2at6native12_GLOBAL__N_18offset_tEEE10hipError_tPvRmT1_PNSt15iterator_traitsIS13_E10value_typeET2_T3_PNS14_IS19_E10value_typeET4_jRbjT5_S1F_jjP12ihipStream_tbEUljE_ZNSN_ISO_Lb1ESR_SS_SU_SV_SZ_EES10_S11_S12_S13_S17_S18_S19_S1C_S1D_jS1E_jS1F_S1F_jjS1H_bEUljE0_EEES10_S11_S12_S19_S1D_S1F_T6_T7_T9_mT8_S1H_bDpT10_ENKUlT_T0_E_clISt17integral_constantIbLb1EES1V_EEDaS1Q_S1R_EUlS1Q_E_NS1_11comp_targetILNS1_3genE9ELNS1_11target_archE1100ELNS1_3gpuE3ELNS1_3repE0EEENS1_30default_config_static_selectorELNS0_4arch9wavefront6targetE0EEEvS13_: ; @_ZN7rocprim17ROCPRIM_400000_NS6detail17trampoline_kernelINS0_13select_configILj256ELj13ELNS0_17block_load_methodE3ELS4_3ELS4_3ELNS0_20block_scan_algorithmE0ELj4294967295EEENS1_25partition_config_selectorILNS1_17partition_subalgoE4EjNS0_10empty_typeEbEEZZNS1_14partition_implILS8_4ELb0ES6_15HIP_vector_typeIjLj2EENS0_17counting_iteratorIjlEEPS9_SG_NS0_5tupleIJPjSI_NS0_16reverse_iteratorISI_EEEEENSH_IJSG_SG_SG_EEES9_SI_JZNS1_25segmented_radix_sort_implINS0_14default_configELb1EPK12hip_bfloat16PSP_PKlPlN2at6native12_GLOBAL__N_18offset_tEEE10hipError_tPvRmT1_PNSt15iterator_traitsIS13_E10value_typeET2_T3_PNS14_IS19_E10value_typeET4_jRbjT5_S1F_jjP12ihipStream_tbEUljE_ZNSN_ISO_Lb1ESR_SS_SU_SV_SZ_EES10_S11_S12_S13_S17_S18_S19_S1C_S1D_jS1E_jS1F_S1F_jjS1H_bEUljE0_EEES10_S11_S12_S19_S1D_S1F_T6_T7_T9_mT8_S1H_bDpT10_ENKUlT_T0_E_clISt17integral_constantIbLb1EES1V_EEDaS1Q_S1R_EUlS1Q_E_NS1_11comp_targetILNS1_3genE9ELNS1_11target_archE1100ELNS1_3gpuE3ELNS1_3repE0EEENS1_30default_config_static_selectorELNS0_4arch9wavefront6targetE0EEEvS13_
; %bb.0:
	.section	.rodata,"a",@progbits
	.p2align	6, 0x0
	.amdhsa_kernel _ZN7rocprim17ROCPRIM_400000_NS6detail17trampoline_kernelINS0_13select_configILj256ELj13ELNS0_17block_load_methodE3ELS4_3ELS4_3ELNS0_20block_scan_algorithmE0ELj4294967295EEENS1_25partition_config_selectorILNS1_17partition_subalgoE4EjNS0_10empty_typeEbEEZZNS1_14partition_implILS8_4ELb0ES6_15HIP_vector_typeIjLj2EENS0_17counting_iteratorIjlEEPS9_SG_NS0_5tupleIJPjSI_NS0_16reverse_iteratorISI_EEEEENSH_IJSG_SG_SG_EEES9_SI_JZNS1_25segmented_radix_sort_implINS0_14default_configELb1EPK12hip_bfloat16PSP_PKlPlN2at6native12_GLOBAL__N_18offset_tEEE10hipError_tPvRmT1_PNSt15iterator_traitsIS13_E10value_typeET2_T3_PNS14_IS19_E10value_typeET4_jRbjT5_S1F_jjP12ihipStream_tbEUljE_ZNSN_ISO_Lb1ESR_SS_SU_SV_SZ_EES10_S11_S12_S13_S17_S18_S19_S1C_S1D_jS1E_jS1F_S1F_jjS1H_bEUljE0_EEES10_S11_S12_S19_S1D_S1F_T6_T7_T9_mT8_S1H_bDpT10_ENKUlT_T0_E_clISt17integral_constantIbLb1EES1V_EEDaS1Q_S1R_EUlS1Q_E_NS1_11comp_targetILNS1_3genE9ELNS1_11target_archE1100ELNS1_3gpuE3ELNS1_3repE0EEENS1_30default_config_static_selectorELNS0_4arch9wavefront6targetE0EEEvS13_
		.amdhsa_group_segment_fixed_size 0
		.amdhsa_private_segment_fixed_size 0
		.amdhsa_kernarg_size 184
		.amdhsa_user_sgpr_count 6
		.amdhsa_user_sgpr_private_segment_buffer 1
		.amdhsa_user_sgpr_dispatch_ptr 0
		.amdhsa_user_sgpr_queue_ptr 0
		.amdhsa_user_sgpr_kernarg_segment_ptr 1
		.amdhsa_user_sgpr_dispatch_id 0
		.amdhsa_user_sgpr_flat_scratch_init 0
		.amdhsa_user_sgpr_private_segment_size 0
		.amdhsa_wavefront_size32 1
		.amdhsa_uses_dynamic_stack 0
		.amdhsa_system_sgpr_private_segment_wavefront_offset 0
		.amdhsa_system_sgpr_workgroup_id_x 1
		.amdhsa_system_sgpr_workgroup_id_y 0
		.amdhsa_system_sgpr_workgroup_id_z 0
		.amdhsa_system_sgpr_workgroup_info 0
		.amdhsa_system_vgpr_workitem_id 0
		.amdhsa_next_free_vgpr 1
		.amdhsa_next_free_sgpr 1
		.amdhsa_reserve_vcc 0
		.amdhsa_reserve_flat_scratch 0
		.amdhsa_float_round_mode_32 0
		.amdhsa_float_round_mode_16_64 0
		.amdhsa_float_denorm_mode_32 3
		.amdhsa_float_denorm_mode_16_64 3
		.amdhsa_dx10_clamp 1
		.amdhsa_ieee_mode 1
		.amdhsa_fp16_overflow 0
		.amdhsa_workgroup_processor_mode 1
		.amdhsa_memory_ordered 1
		.amdhsa_forward_progress 1
		.amdhsa_shared_vgpr_count 0
		.amdhsa_exception_fp_ieee_invalid_op 0
		.amdhsa_exception_fp_denorm_src 0
		.amdhsa_exception_fp_ieee_div_zero 0
		.amdhsa_exception_fp_ieee_overflow 0
		.amdhsa_exception_fp_ieee_underflow 0
		.amdhsa_exception_fp_ieee_inexact 0
		.amdhsa_exception_int_div_zero 0
	.end_amdhsa_kernel
	.section	.text._ZN7rocprim17ROCPRIM_400000_NS6detail17trampoline_kernelINS0_13select_configILj256ELj13ELNS0_17block_load_methodE3ELS4_3ELS4_3ELNS0_20block_scan_algorithmE0ELj4294967295EEENS1_25partition_config_selectorILNS1_17partition_subalgoE4EjNS0_10empty_typeEbEEZZNS1_14partition_implILS8_4ELb0ES6_15HIP_vector_typeIjLj2EENS0_17counting_iteratorIjlEEPS9_SG_NS0_5tupleIJPjSI_NS0_16reverse_iteratorISI_EEEEENSH_IJSG_SG_SG_EEES9_SI_JZNS1_25segmented_radix_sort_implINS0_14default_configELb1EPK12hip_bfloat16PSP_PKlPlN2at6native12_GLOBAL__N_18offset_tEEE10hipError_tPvRmT1_PNSt15iterator_traitsIS13_E10value_typeET2_T3_PNS14_IS19_E10value_typeET4_jRbjT5_S1F_jjP12ihipStream_tbEUljE_ZNSN_ISO_Lb1ESR_SS_SU_SV_SZ_EES10_S11_S12_S13_S17_S18_S19_S1C_S1D_jS1E_jS1F_S1F_jjS1H_bEUljE0_EEES10_S11_S12_S19_S1D_S1F_T6_T7_T9_mT8_S1H_bDpT10_ENKUlT_T0_E_clISt17integral_constantIbLb1EES1V_EEDaS1Q_S1R_EUlS1Q_E_NS1_11comp_targetILNS1_3genE9ELNS1_11target_archE1100ELNS1_3gpuE3ELNS1_3repE0EEENS1_30default_config_static_selectorELNS0_4arch9wavefront6targetE0EEEvS13_,"axG",@progbits,_ZN7rocprim17ROCPRIM_400000_NS6detail17trampoline_kernelINS0_13select_configILj256ELj13ELNS0_17block_load_methodE3ELS4_3ELS4_3ELNS0_20block_scan_algorithmE0ELj4294967295EEENS1_25partition_config_selectorILNS1_17partition_subalgoE4EjNS0_10empty_typeEbEEZZNS1_14partition_implILS8_4ELb0ES6_15HIP_vector_typeIjLj2EENS0_17counting_iteratorIjlEEPS9_SG_NS0_5tupleIJPjSI_NS0_16reverse_iteratorISI_EEEEENSH_IJSG_SG_SG_EEES9_SI_JZNS1_25segmented_radix_sort_implINS0_14default_configELb1EPK12hip_bfloat16PSP_PKlPlN2at6native12_GLOBAL__N_18offset_tEEE10hipError_tPvRmT1_PNSt15iterator_traitsIS13_E10value_typeET2_T3_PNS14_IS19_E10value_typeET4_jRbjT5_S1F_jjP12ihipStream_tbEUljE_ZNSN_ISO_Lb1ESR_SS_SU_SV_SZ_EES10_S11_S12_S13_S17_S18_S19_S1C_S1D_jS1E_jS1F_S1F_jjS1H_bEUljE0_EEES10_S11_S12_S19_S1D_S1F_T6_T7_T9_mT8_S1H_bDpT10_ENKUlT_T0_E_clISt17integral_constantIbLb1EES1V_EEDaS1Q_S1R_EUlS1Q_E_NS1_11comp_targetILNS1_3genE9ELNS1_11target_archE1100ELNS1_3gpuE3ELNS1_3repE0EEENS1_30default_config_static_selectorELNS0_4arch9wavefront6targetE0EEEvS13_,comdat
.Lfunc_end1886:
	.size	_ZN7rocprim17ROCPRIM_400000_NS6detail17trampoline_kernelINS0_13select_configILj256ELj13ELNS0_17block_load_methodE3ELS4_3ELS4_3ELNS0_20block_scan_algorithmE0ELj4294967295EEENS1_25partition_config_selectorILNS1_17partition_subalgoE4EjNS0_10empty_typeEbEEZZNS1_14partition_implILS8_4ELb0ES6_15HIP_vector_typeIjLj2EENS0_17counting_iteratorIjlEEPS9_SG_NS0_5tupleIJPjSI_NS0_16reverse_iteratorISI_EEEEENSH_IJSG_SG_SG_EEES9_SI_JZNS1_25segmented_radix_sort_implINS0_14default_configELb1EPK12hip_bfloat16PSP_PKlPlN2at6native12_GLOBAL__N_18offset_tEEE10hipError_tPvRmT1_PNSt15iterator_traitsIS13_E10value_typeET2_T3_PNS14_IS19_E10value_typeET4_jRbjT5_S1F_jjP12ihipStream_tbEUljE_ZNSN_ISO_Lb1ESR_SS_SU_SV_SZ_EES10_S11_S12_S13_S17_S18_S19_S1C_S1D_jS1E_jS1F_S1F_jjS1H_bEUljE0_EEES10_S11_S12_S19_S1D_S1F_T6_T7_T9_mT8_S1H_bDpT10_ENKUlT_T0_E_clISt17integral_constantIbLb1EES1V_EEDaS1Q_S1R_EUlS1Q_E_NS1_11comp_targetILNS1_3genE9ELNS1_11target_archE1100ELNS1_3gpuE3ELNS1_3repE0EEENS1_30default_config_static_selectorELNS0_4arch9wavefront6targetE0EEEvS13_, .Lfunc_end1886-_ZN7rocprim17ROCPRIM_400000_NS6detail17trampoline_kernelINS0_13select_configILj256ELj13ELNS0_17block_load_methodE3ELS4_3ELS4_3ELNS0_20block_scan_algorithmE0ELj4294967295EEENS1_25partition_config_selectorILNS1_17partition_subalgoE4EjNS0_10empty_typeEbEEZZNS1_14partition_implILS8_4ELb0ES6_15HIP_vector_typeIjLj2EENS0_17counting_iteratorIjlEEPS9_SG_NS0_5tupleIJPjSI_NS0_16reverse_iteratorISI_EEEEENSH_IJSG_SG_SG_EEES9_SI_JZNS1_25segmented_radix_sort_implINS0_14default_configELb1EPK12hip_bfloat16PSP_PKlPlN2at6native12_GLOBAL__N_18offset_tEEE10hipError_tPvRmT1_PNSt15iterator_traitsIS13_E10value_typeET2_T3_PNS14_IS19_E10value_typeET4_jRbjT5_S1F_jjP12ihipStream_tbEUljE_ZNSN_ISO_Lb1ESR_SS_SU_SV_SZ_EES10_S11_S12_S13_S17_S18_S19_S1C_S1D_jS1E_jS1F_S1F_jjS1H_bEUljE0_EEES10_S11_S12_S19_S1D_S1F_T6_T7_T9_mT8_S1H_bDpT10_ENKUlT_T0_E_clISt17integral_constantIbLb1EES1V_EEDaS1Q_S1R_EUlS1Q_E_NS1_11comp_targetILNS1_3genE9ELNS1_11target_archE1100ELNS1_3gpuE3ELNS1_3repE0EEENS1_30default_config_static_selectorELNS0_4arch9wavefront6targetE0EEEvS13_
                                        ; -- End function
	.set _ZN7rocprim17ROCPRIM_400000_NS6detail17trampoline_kernelINS0_13select_configILj256ELj13ELNS0_17block_load_methodE3ELS4_3ELS4_3ELNS0_20block_scan_algorithmE0ELj4294967295EEENS1_25partition_config_selectorILNS1_17partition_subalgoE4EjNS0_10empty_typeEbEEZZNS1_14partition_implILS8_4ELb0ES6_15HIP_vector_typeIjLj2EENS0_17counting_iteratorIjlEEPS9_SG_NS0_5tupleIJPjSI_NS0_16reverse_iteratorISI_EEEEENSH_IJSG_SG_SG_EEES9_SI_JZNS1_25segmented_radix_sort_implINS0_14default_configELb1EPK12hip_bfloat16PSP_PKlPlN2at6native12_GLOBAL__N_18offset_tEEE10hipError_tPvRmT1_PNSt15iterator_traitsIS13_E10value_typeET2_T3_PNS14_IS19_E10value_typeET4_jRbjT5_S1F_jjP12ihipStream_tbEUljE_ZNSN_ISO_Lb1ESR_SS_SU_SV_SZ_EES10_S11_S12_S13_S17_S18_S19_S1C_S1D_jS1E_jS1F_S1F_jjS1H_bEUljE0_EEES10_S11_S12_S19_S1D_S1F_T6_T7_T9_mT8_S1H_bDpT10_ENKUlT_T0_E_clISt17integral_constantIbLb1EES1V_EEDaS1Q_S1R_EUlS1Q_E_NS1_11comp_targetILNS1_3genE9ELNS1_11target_archE1100ELNS1_3gpuE3ELNS1_3repE0EEENS1_30default_config_static_selectorELNS0_4arch9wavefront6targetE0EEEvS13_.num_vgpr, 0
	.set _ZN7rocprim17ROCPRIM_400000_NS6detail17trampoline_kernelINS0_13select_configILj256ELj13ELNS0_17block_load_methodE3ELS4_3ELS4_3ELNS0_20block_scan_algorithmE0ELj4294967295EEENS1_25partition_config_selectorILNS1_17partition_subalgoE4EjNS0_10empty_typeEbEEZZNS1_14partition_implILS8_4ELb0ES6_15HIP_vector_typeIjLj2EENS0_17counting_iteratorIjlEEPS9_SG_NS0_5tupleIJPjSI_NS0_16reverse_iteratorISI_EEEEENSH_IJSG_SG_SG_EEES9_SI_JZNS1_25segmented_radix_sort_implINS0_14default_configELb1EPK12hip_bfloat16PSP_PKlPlN2at6native12_GLOBAL__N_18offset_tEEE10hipError_tPvRmT1_PNSt15iterator_traitsIS13_E10value_typeET2_T3_PNS14_IS19_E10value_typeET4_jRbjT5_S1F_jjP12ihipStream_tbEUljE_ZNSN_ISO_Lb1ESR_SS_SU_SV_SZ_EES10_S11_S12_S13_S17_S18_S19_S1C_S1D_jS1E_jS1F_S1F_jjS1H_bEUljE0_EEES10_S11_S12_S19_S1D_S1F_T6_T7_T9_mT8_S1H_bDpT10_ENKUlT_T0_E_clISt17integral_constantIbLb1EES1V_EEDaS1Q_S1R_EUlS1Q_E_NS1_11comp_targetILNS1_3genE9ELNS1_11target_archE1100ELNS1_3gpuE3ELNS1_3repE0EEENS1_30default_config_static_selectorELNS0_4arch9wavefront6targetE0EEEvS13_.num_agpr, 0
	.set _ZN7rocprim17ROCPRIM_400000_NS6detail17trampoline_kernelINS0_13select_configILj256ELj13ELNS0_17block_load_methodE3ELS4_3ELS4_3ELNS0_20block_scan_algorithmE0ELj4294967295EEENS1_25partition_config_selectorILNS1_17partition_subalgoE4EjNS0_10empty_typeEbEEZZNS1_14partition_implILS8_4ELb0ES6_15HIP_vector_typeIjLj2EENS0_17counting_iteratorIjlEEPS9_SG_NS0_5tupleIJPjSI_NS0_16reverse_iteratorISI_EEEEENSH_IJSG_SG_SG_EEES9_SI_JZNS1_25segmented_radix_sort_implINS0_14default_configELb1EPK12hip_bfloat16PSP_PKlPlN2at6native12_GLOBAL__N_18offset_tEEE10hipError_tPvRmT1_PNSt15iterator_traitsIS13_E10value_typeET2_T3_PNS14_IS19_E10value_typeET4_jRbjT5_S1F_jjP12ihipStream_tbEUljE_ZNSN_ISO_Lb1ESR_SS_SU_SV_SZ_EES10_S11_S12_S13_S17_S18_S19_S1C_S1D_jS1E_jS1F_S1F_jjS1H_bEUljE0_EEES10_S11_S12_S19_S1D_S1F_T6_T7_T9_mT8_S1H_bDpT10_ENKUlT_T0_E_clISt17integral_constantIbLb1EES1V_EEDaS1Q_S1R_EUlS1Q_E_NS1_11comp_targetILNS1_3genE9ELNS1_11target_archE1100ELNS1_3gpuE3ELNS1_3repE0EEENS1_30default_config_static_selectorELNS0_4arch9wavefront6targetE0EEEvS13_.numbered_sgpr, 0
	.set _ZN7rocprim17ROCPRIM_400000_NS6detail17trampoline_kernelINS0_13select_configILj256ELj13ELNS0_17block_load_methodE3ELS4_3ELS4_3ELNS0_20block_scan_algorithmE0ELj4294967295EEENS1_25partition_config_selectorILNS1_17partition_subalgoE4EjNS0_10empty_typeEbEEZZNS1_14partition_implILS8_4ELb0ES6_15HIP_vector_typeIjLj2EENS0_17counting_iteratorIjlEEPS9_SG_NS0_5tupleIJPjSI_NS0_16reverse_iteratorISI_EEEEENSH_IJSG_SG_SG_EEES9_SI_JZNS1_25segmented_radix_sort_implINS0_14default_configELb1EPK12hip_bfloat16PSP_PKlPlN2at6native12_GLOBAL__N_18offset_tEEE10hipError_tPvRmT1_PNSt15iterator_traitsIS13_E10value_typeET2_T3_PNS14_IS19_E10value_typeET4_jRbjT5_S1F_jjP12ihipStream_tbEUljE_ZNSN_ISO_Lb1ESR_SS_SU_SV_SZ_EES10_S11_S12_S13_S17_S18_S19_S1C_S1D_jS1E_jS1F_S1F_jjS1H_bEUljE0_EEES10_S11_S12_S19_S1D_S1F_T6_T7_T9_mT8_S1H_bDpT10_ENKUlT_T0_E_clISt17integral_constantIbLb1EES1V_EEDaS1Q_S1R_EUlS1Q_E_NS1_11comp_targetILNS1_3genE9ELNS1_11target_archE1100ELNS1_3gpuE3ELNS1_3repE0EEENS1_30default_config_static_selectorELNS0_4arch9wavefront6targetE0EEEvS13_.num_named_barrier, 0
	.set _ZN7rocprim17ROCPRIM_400000_NS6detail17trampoline_kernelINS0_13select_configILj256ELj13ELNS0_17block_load_methodE3ELS4_3ELS4_3ELNS0_20block_scan_algorithmE0ELj4294967295EEENS1_25partition_config_selectorILNS1_17partition_subalgoE4EjNS0_10empty_typeEbEEZZNS1_14partition_implILS8_4ELb0ES6_15HIP_vector_typeIjLj2EENS0_17counting_iteratorIjlEEPS9_SG_NS0_5tupleIJPjSI_NS0_16reverse_iteratorISI_EEEEENSH_IJSG_SG_SG_EEES9_SI_JZNS1_25segmented_radix_sort_implINS0_14default_configELb1EPK12hip_bfloat16PSP_PKlPlN2at6native12_GLOBAL__N_18offset_tEEE10hipError_tPvRmT1_PNSt15iterator_traitsIS13_E10value_typeET2_T3_PNS14_IS19_E10value_typeET4_jRbjT5_S1F_jjP12ihipStream_tbEUljE_ZNSN_ISO_Lb1ESR_SS_SU_SV_SZ_EES10_S11_S12_S13_S17_S18_S19_S1C_S1D_jS1E_jS1F_S1F_jjS1H_bEUljE0_EEES10_S11_S12_S19_S1D_S1F_T6_T7_T9_mT8_S1H_bDpT10_ENKUlT_T0_E_clISt17integral_constantIbLb1EES1V_EEDaS1Q_S1R_EUlS1Q_E_NS1_11comp_targetILNS1_3genE9ELNS1_11target_archE1100ELNS1_3gpuE3ELNS1_3repE0EEENS1_30default_config_static_selectorELNS0_4arch9wavefront6targetE0EEEvS13_.private_seg_size, 0
	.set _ZN7rocprim17ROCPRIM_400000_NS6detail17trampoline_kernelINS0_13select_configILj256ELj13ELNS0_17block_load_methodE3ELS4_3ELS4_3ELNS0_20block_scan_algorithmE0ELj4294967295EEENS1_25partition_config_selectorILNS1_17partition_subalgoE4EjNS0_10empty_typeEbEEZZNS1_14partition_implILS8_4ELb0ES6_15HIP_vector_typeIjLj2EENS0_17counting_iteratorIjlEEPS9_SG_NS0_5tupleIJPjSI_NS0_16reverse_iteratorISI_EEEEENSH_IJSG_SG_SG_EEES9_SI_JZNS1_25segmented_radix_sort_implINS0_14default_configELb1EPK12hip_bfloat16PSP_PKlPlN2at6native12_GLOBAL__N_18offset_tEEE10hipError_tPvRmT1_PNSt15iterator_traitsIS13_E10value_typeET2_T3_PNS14_IS19_E10value_typeET4_jRbjT5_S1F_jjP12ihipStream_tbEUljE_ZNSN_ISO_Lb1ESR_SS_SU_SV_SZ_EES10_S11_S12_S13_S17_S18_S19_S1C_S1D_jS1E_jS1F_S1F_jjS1H_bEUljE0_EEES10_S11_S12_S19_S1D_S1F_T6_T7_T9_mT8_S1H_bDpT10_ENKUlT_T0_E_clISt17integral_constantIbLb1EES1V_EEDaS1Q_S1R_EUlS1Q_E_NS1_11comp_targetILNS1_3genE9ELNS1_11target_archE1100ELNS1_3gpuE3ELNS1_3repE0EEENS1_30default_config_static_selectorELNS0_4arch9wavefront6targetE0EEEvS13_.uses_vcc, 0
	.set _ZN7rocprim17ROCPRIM_400000_NS6detail17trampoline_kernelINS0_13select_configILj256ELj13ELNS0_17block_load_methodE3ELS4_3ELS4_3ELNS0_20block_scan_algorithmE0ELj4294967295EEENS1_25partition_config_selectorILNS1_17partition_subalgoE4EjNS0_10empty_typeEbEEZZNS1_14partition_implILS8_4ELb0ES6_15HIP_vector_typeIjLj2EENS0_17counting_iteratorIjlEEPS9_SG_NS0_5tupleIJPjSI_NS0_16reverse_iteratorISI_EEEEENSH_IJSG_SG_SG_EEES9_SI_JZNS1_25segmented_radix_sort_implINS0_14default_configELb1EPK12hip_bfloat16PSP_PKlPlN2at6native12_GLOBAL__N_18offset_tEEE10hipError_tPvRmT1_PNSt15iterator_traitsIS13_E10value_typeET2_T3_PNS14_IS19_E10value_typeET4_jRbjT5_S1F_jjP12ihipStream_tbEUljE_ZNSN_ISO_Lb1ESR_SS_SU_SV_SZ_EES10_S11_S12_S13_S17_S18_S19_S1C_S1D_jS1E_jS1F_S1F_jjS1H_bEUljE0_EEES10_S11_S12_S19_S1D_S1F_T6_T7_T9_mT8_S1H_bDpT10_ENKUlT_T0_E_clISt17integral_constantIbLb1EES1V_EEDaS1Q_S1R_EUlS1Q_E_NS1_11comp_targetILNS1_3genE9ELNS1_11target_archE1100ELNS1_3gpuE3ELNS1_3repE0EEENS1_30default_config_static_selectorELNS0_4arch9wavefront6targetE0EEEvS13_.uses_flat_scratch, 0
	.set _ZN7rocprim17ROCPRIM_400000_NS6detail17trampoline_kernelINS0_13select_configILj256ELj13ELNS0_17block_load_methodE3ELS4_3ELS4_3ELNS0_20block_scan_algorithmE0ELj4294967295EEENS1_25partition_config_selectorILNS1_17partition_subalgoE4EjNS0_10empty_typeEbEEZZNS1_14partition_implILS8_4ELb0ES6_15HIP_vector_typeIjLj2EENS0_17counting_iteratorIjlEEPS9_SG_NS0_5tupleIJPjSI_NS0_16reverse_iteratorISI_EEEEENSH_IJSG_SG_SG_EEES9_SI_JZNS1_25segmented_radix_sort_implINS0_14default_configELb1EPK12hip_bfloat16PSP_PKlPlN2at6native12_GLOBAL__N_18offset_tEEE10hipError_tPvRmT1_PNSt15iterator_traitsIS13_E10value_typeET2_T3_PNS14_IS19_E10value_typeET4_jRbjT5_S1F_jjP12ihipStream_tbEUljE_ZNSN_ISO_Lb1ESR_SS_SU_SV_SZ_EES10_S11_S12_S13_S17_S18_S19_S1C_S1D_jS1E_jS1F_S1F_jjS1H_bEUljE0_EEES10_S11_S12_S19_S1D_S1F_T6_T7_T9_mT8_S1H_bDpT10_ENKUlT_T0_E_clISt17integral_constantIbLb1EES1V_EEDaS1Q_S1R_EUlS1Q_E_NS1_11comp_targetILNS1_3genE9ELNS1_11target_archE1100ELNS1_3gpuE3ELNS1_3repE0EEENS1_30default_config_static_selectorELNS0_4arch9wavefront6targetE0EEEvS13_.has_dyn_sized_stack, 0
	.set _ZN7rocprim17ROCPRIM_400000_NS6detail17trampoline_kernelINS0_13select_configILj256ELj13ELNS0_17block_load_methodE3ELS4_3ELS4_3ELNS0_20block_scan_algorithmE0ELj4294967295EEENS1_25partition_config_selectorILNS1_17partition_subalgoE4EjNS0_10empty_typeEbEEZZNS1_14partition_implILS8_4ELb0ES6_15HIP_vector_typeIjLj2EENS0_17counting_iteratorIjlEEPS9_SG_NS0_5tupleIJPjSI_NS0_16reverse_iteratorISI_EEEEENSH_IJSG_SG_SG_EEES9_SI_JZNS1_25segmented_radix_sort_implINS0_14default_configELb1EPK12hip_bfloat16PSP_PKlPlN2at6native12_GLOBAL__N_18offset_tEEE10hipError_tPvRmT1_PNSt15iterator_traitsIS13_E10value_typeET2_T3_PNS14_IS19_E10value_typeET4_jRbjT5_S1F_jjP12ihipStream_tbEUljE_ZNSN_ISO_Lb1ESR_SS_SU_SV_SZ_EES10_S11_S12_S13_S17_S18_S19_S1C_S1D_jS1E_jS1F_S1F_jjS1H_bEUljE0_EEES10_S11_S12_S19_S1D_S1F_T6_T7_T9_mT8_S1H_bDpT10_ENKUlT_T0_E_clISt17integral_constantIbLb1EES1V_EEDaS1Q_S1R_EUlS1Q_E_NS1_11comp_targetILNS1_3genE9ELNS1_11target_archE1100ELNS1_3gpuE3ELNS1_3repE0EEENS1_30default_config_static_selectorELNS0_4arch9wavefront6targetE0EEEvS13_.has_recursion, 0
	.set _ZN7rocprim17ROCPRIM_400000_NS6detail17trampoline_kernelINS0_13select_configILj256ELj13ELNS0_17block_load_methodE3ELS4_3ELS4_3ELNS0_20block_scan_algorithmE0ELj4294967295EEENS1_25partition_config_selectorILNS1_17partition_subalgoE4EjNS0_10empty_typeEbEEZZNS1_14partition_implILS8_4ELb0ES6_15HIP_vector_typeIjLj2EENS0_17counting_iteratorIjlEEPS9_SG_NS0_5tupleIJPjSI_NS0_16reverse_iteratorISI_EEEEENSH_IJSG_SG_SG_EEES9_SI_JZNS1_25segmented_radix_sort_implINS0_14default_configELb1EPK12hip_bfloat16PSP_PKlPlN2at6native12_GLOBAL__N_18offset_tEEE10hipError_tPvRmT1_PNSt15iterator_traitsIS13_E10value_typeET2_T3_PNS14_IS19_E10value_typeET4_jRbjT5_S1F_jjP12ihipStream_tbEUljE_ZNSN_ISO_Lb1ESR_SS_SU_SV_SZ_EES10_S11_S12_S13_S17_S18_S19_S1C_S1D_jS1E_jS1F_S1F_jjS1H_bEUljE0_EEES10_S11_S12_S19_S1D_S1F_T6_T7_T9_mT8_S1H_bDpT10_ENKUlT_T0_E_clISt17integral_constantIbLb1EES1V_EEDaS1Q_S1R_EUlS1Q_E_NS1_11comp_targetILNS1_3genE9ELNS1_11target_archE1100ELNS1_3gpuE3ELNS1_3repE0EEENS1_30default_config_static_selectorELNS0_4arch9wavefront6targetE0EEEvS13_.has_indirect_call, 0
	.section	.AMDGPU.csdata,"",@progbits
; Kernel info:
; codeLenInByte = 0
; TotalNumSgprs: 0
; NumVgprs: 0
; ScratchSize: 0
; MemoryBound: 0
; FloatMode: 240
; IeeeMode: 1
; LDSByteSize: 0 bytes/workgroup (compile time only)
; SGPRBlocks: 0
; VGPRBlocks: 0
; NumSGPRsForWavesPerEU: 1
; NumVGPRsForWavesPerEU: 1
; Occupancy: 16
; WaveLimiterHint : 0
; COMPUTE_PGM_RSRC2:SCRATCH_EN: 0
; COMPUTE_PGM_RSRC2:USER_SGPR: 6
; COMPUTE_PGM_RSRC2:TRAP_HANDLER: 0
; COMPUTE_PGM_RSRC2:TGID_X_EN: 1
; COMPUTE_PGM_RSRC2:TGID_Y_EN: 0
; COMPUTE_PGM_RSRC2:TGID_Z_EN: 0
; COMPUTE_PGM_RSRC2:TIDIG_COMP_CNT: 0
	.section	.text._ZN7rocprim17ROCPRIM_400000_NS6detail17trampoline_kernelINS0_13select_configILj256ELj13ELNS0_17block_load_methodE3ELS4_3ELS4_3ELNS0_20block_scan_algorithmE0ELj4294967295EEENS1_25partition_config_selectorILNS1_17partition_subalgoE4EjNS0_10empty_typeEbEEZZNS1_14partition_implILS8_4ELb0ES6_15HIP_vector_typeIjLj2EENS0_17counting_iteratorIjlEEPS9_SG_NS0_5tupleIJPjSI_NS0_16reverse_iteratorISI_EEEEENSH_IJSG_SG_SG_EEES9_SI_JZNS1_25segmented_radix_sort_implINS0_14default_configELb1EPK12hip_bfloat16PSP_PKlPlN2at6native12_GLOBAL__N_18offset_tEEE10hipError_tPvRmT1_PNSt15iterator_traitsIS13_E10value_typeET2_T3_PNS14_IS19_E10value_typeET4_jRbjT5_S1F_jjP12ihipStream_tbEUljE_ZNSN_ISO_Lb1ESR_SS_SU_SV_SZ_EES10_S11_S12_S13_S17_S18_S19_S1C_S1D_jS1E_jS1F_S1F_jjS1H_bEUljE0_EEES10_S11_S12_S19_S1D_S1F_T6_T7_T9_mT8_S1H_bDpT10_ENKUlT_T0_E_clISt17integral_constantIbLb1EES1V_EEDaS1Q_S1R_EUlS1Q_E_NS1_11comp_targetILNS1_3genE8ELNS1_11target_archE1030ELNS1_3gpuE2ELNS1_3repE0EEENS1_30default_config_static_selectorELNS0_4arch9wavefront6targetE0EEEvS13_,"axG",@progbits,_ZN7rocprim17ROCPRIM_400000_NS6detail17trampoline_kernelINS0_13select_configILj256ELj13ELNS0_17block_load_methodE3ELS4_3ELS4_3ELNS0_20block_scan_algorithmE0ELj4294967295EEENS1_25partition_config_selectorILNS1_17partition_subalgoE4EjNS0_10empty_typeEbEEZZNS1_14partition_implILS8_4ELb0ES6_15HIP_vector_typeIjLj2EENS0_17counting_iteratorIjlEEPS9_SG_NS0_5tupleIJPjSI_NS0_16reverse_iteratorISI_EEEEENSH_IJSG_SG_SG_EEES9_SI_JZNS1_25segmented_radix_sort_implINS0_14default_configELb1EPK12hip_bfloat16PSP_PKlPlN2at6native12_GLOBAL__N_18offset_tEEE10hipError_tPvRmT1_PNSt15iterator_traitsIS13_E10value_typeET2_T3_PNS14_IS19_E10value_typeET4_jRbjT5_S1F_jjP12ihipStream_tbEUljE_ZNSN_ISO_Lb1ESR_SS_SU_SV_SZ_EES10_S11_S12_S13_S17_S18_S19_S1C_S1D_jS1E_jS1F_S1F_jjS1H_bEUljE0_EEES10_S11_S12_S19_S1D_S1F_T6_T7_T9_mT8_S1H_bDpT10_ENKUlT_T0_E_clISt17integral_constantIbLb1EES1V_EEDaS1Q_S1R_EUlS1Q_E_NS1_11comp_targetILNS1_3genE8ELNS1_11target_archE1030ELNS1_3gpuE2ELNS1_3repE0EEENS1_30default_config_static_selectorELNS0_4arch9wavefront6targetE0EEEvS13_,comdat
	.globl	_ZN7rocprim17ROCPRIM_400000_NS6detail17trampoline_kernelINS0_13select_configILj256ELj13ELNS0_17block_load_methodE3ELS4_3ELS4_3ELNS0_20block_scan_algorithmE0ELj4294967295EEENS1_25partition_config_selectorILNS1_17partition_subalgoE4EjNS0_10empty_typeEbEEZZNS1_14partition_implILS8_4ELb0ES6_15HIP_vector_typeIjLj2EENS0_17counting_iteratorIjlEEPS9_SG_NS0_5tupleIJPjSI_NS0_16reverse_iteratorISI_EEEEENSH_IJSG_SG_SG_EEES9_SI_JZNS1_25segmented_radix_sort_implINS0_14default_configELb1EPK12hip_bfloat16PSP_PKlPlN2at6native12_GLOBAL__N_18offset_tEEE10hipError_tPvRmT1_PNSt15iterator_traitsIS13_E10value_typeET2_T3_PNS14_IS19_E10value_typeET4_jRbjT5_S1F_jjP12ihipStream_tbEUljE_ZNSN_ISO_Lb1ESR_SS_SU_SV_SZ_EES10_S11_S12_S13_S17_S18_S19_S1C_S1D_jS1E_jS1F_S1F_jjS1H_bEUljE0_EEES10_S11_S12_S19_S1D_S1F_T6_T7_T9_mT8_S1H_bDpT10_ENKUlT_T0_E_clISt17integral_constantIbLb1EES1V_EEDaS1Q_S1R_EUlS1Q_E_NS1_11comp_targetILNS1_3genE8ELNS1_11target_archE1030ELNS1_3gpuE2ELNS1_3repE0EEENS1_30default_config_static_selectorELNS0_4arch9wavefront6targetE0EEEvS13_ ; -- Begin function _ZN7rocprim17ROCPRIM_400000_NS6detail17trampoline_kernelINS0_13select_configILj256ELj13ELNS0_17block_load_methodE3ELS4_3ELS4_3ELNS0_20block_scan_algorithmE0ELj4294967295EEENS1_25partition_config_selectorILNS1_17partition_subalgoE4EjNS0_10empty_typeEbEEZZNS1_14partition_implILS8_4ELb0ES6_15HIP_vector_typeIjLj2EENS0_17counting_iteratorIjlEEPS9_SG_NS0_5tupleIJPjSI_NS0_16reverse_iteratorISI_EEEEENSH_IJSG_SG_SG_EEES9_SI_JZNS1_25segmented_radix_sort_implINS0_14default_configELb1EPK12hip_bfloat16PSP_PKlPlN2at6native12_GLOBAL__N_18offset_tEEE10hipError_tPvRmT1_PNSt15iterator_traitsIS13_E10value_typeET2_T3_PNS14_IS19_E10value_typeET4_jRbjT5_S1F_jjP12ihipStream_tbEUljE_ZNSN_ISO_Lb1ESR_SS_SU_SV_SZ_EES10_S11_S12_S13_S17_S18_S19_S1C_S1D_jS1E_jS1F_S1F_jjS1H_bEUljE0_EEES10_S11_S12_S19_S1D_S1F_T6_T7_T9_mT8_S1H_bDpT10_ENKUlT_T0_E_clISt17integral_constantIbLb1EES1V_EEDaS1Q_S1R_EUlS1Q_E_NS1_11comp_targetILNS1_3genE8ELNS1_11target_archE1030ELNS1_3gpuE2ELNS1_3repE0EEENS1_30default_config_static_selectorELNS0_4arch9wavefront6targetE0EEEvS13_
	.p2align	8
	.type	_ZN7rocprim17ROCPRIM_400000_NS6detail17trampoline_kernelINS0_13select_configILj256ELj13ELNS0_17block_load_methodE3ELS4_3ELS4_3ELNS0_20block_scan_algorithmE0ELj4294967295EEENS1_25partition_config_selectorILNS1_17partition_subalgoE4EjNS0_10empty_typeEbEEZZNS1_14partition_implILS8_4ELb0ES6_15HIP_vector_typeIjLj2EENS0_17counting_iteratorIjlEEPS9_SG_NS0_5tupleIJPjSI_NS0_16reverse_iteratorISI_EEEEENSH_IJSG_SG_SG_EEES9_SI_JZNS1_25segmented_radix_sort_implINS0_14default_configELb1EPK12hip_bfloat16PSP_PKlPlN2at6native12_GLOBAL__N_18offset_tEEE10hipError_tPvRmT1_PNSt15iterator_traitsIS13_E10value_typeET2_T3_PNS14_IS19_E10value_typeET4_jRbjT5_S1F_jjP12ihipStream_tbEUljE_ZNSN_ISO_Lb1ESR_SS_SU_SV_SZ_EES10_S11_S12_S13_S17_S18_S19_S1C_S1D_jS1E_jS1F_S1F_jjS1H_bEUljE0_EEES10_S11_S12_S19_S1D_S1F_T6_T7_T9_mT8_S1H_bDpT10_ENKUlT_T0_E_clISt17integral_constantIbLb1EES1V_EEDaS1Q_S1R_EUlS1Q_E_NS1_11comp_targetILNS1_3genE8ELNS1_11target_archE1030ELNS1_3gpuE2ELNS1_3repE0EEENS1_30default_config_static_selectorELNS0_4arch9wavefront6targetE0EEEvS13_,@function
_ZN7rocprim17ROCPRIM_400000_NS6detail17trampoline_kernelINS0_13select_configILj256ELj13ELNS0_17block_load_methodE3ELS4_3ELS4_3ELNS0_20block_scan_algorithmE0ELj4294967295EEENS1_25partition_config_selectorILNS1_17partition_subalgoE4EjNS0_10empty_typeEbEEZZNS1_14partition_implILS8_4ELb0ES6_15HIP_vector_typeIjLj2EENS0_17counting_iteratorIjlEEPS9_SG_NS0_5tupleIJPjSI_NS0_16reverse_iteratorISI_EEEEENSH_IJSG_SG_SG_EEES9_SI_JZNS1_25segmented_radix_sort_implINS0_14default_configELb1EPK12hip_bfloat16PSP_PKlPlN2at6native12_GLOBAL__N_18offset_tEEE10hipError_tPvRmT1_PNSt15iterator_traitsIS13_E10value_typeET2_T3_PNS14_IS19_E10value_typeET4_jRbjT5_S1F_jjP12ihipStream_tbEUljE_ZNSN_ISO_Lb1ESR_SS_SU_SV_SZ_EES10_S11_S12_S13_S17_S18_S19_S1C_S1D_jS1E_jS1F_S1F_jjS1H_bEUljE0_EEES10_S11_S12_S19_S1D_S1F_T6_T7_T9_mT8_S1H_bDpT10_ENKUlT_T0_E_clISt17integral_constantIbLb1EES1V_EEDaS1Q_S1R_EUlS1Q_E_NS1_11comp_targetILNS1_3genE8ELNS1_11target_archE1030ELNS1_3gpuE2ELNS1_3repE0EEENS1_30default_config_static_selectorELNS0_4arch9wavefront6targetE0EEEvS13_: ; @_ZN7rocprim17ROCPRIM_400000_NS6detail17trampoline_kernelINS0_13select_configILj256ELj13ELNS0_17block_load_methodE3ELS4_3ELS4_3ELNS0_20block_scan_algorithmE0ELj4294967295EEENS1_25partition_config_selectorILNS1_17partition_subalgoE4EjNS0_10empty_typeEbEEZZNS1_14partition_implILS8_4ELb0ES6_15HIP_vector_typeIjLj2EENS0_17counting_iteratorIjlEEPS9_SG_NS0_5tupleIJPjSI_NS0_16reverse_iteratorISI_EEEEENSH_IJSG_SG_SG_EEES9_SI_JZNS1_25segmented_radix_sort_implINS0_14default_configELb1EPK12hip_bfloat16PSP_PKlPlN2at6native12_GLOBAL__N_18offset_tEEE10hipError_tPvRmT1_PNSt15iterator_traitsIS13_E10value_typeET2_T3_PNS14_IS19_E10value_typeET4_jRbjT5_S1F_jjP12ihipStream_tbEUljE_ZNSN_ISO_Lb1ESR_SS_SU_SV_SZ_EES10_S11_S12_S13_S17_S18_S19_S1C_S1D_jS1E_jS1F_S1F_jjS1H_bEUljE0_EEES10_S11_S12_S19_S1D_S1F_T6_T7_T9_mT8_S1H_bDpT10_ENKUlT_T0_E_clISt17integral_constantIbLb1EES1V_EEDaS1Q_S1R_EUlS1Q_E_NS1_11comp_targetILNS1_3genE8ELNS1_11target_archE1030ELNS1_3gpuE2ELNS1_3repE0EEENS1_30default_config_static_selectorELNS0_4arch9wavefront6targetE0EEEvS13_
; %bb.0:
	s_endpgm
	.section	.rodata,"a",@progbits
	.p2align	6, 0x0
	.amdhsa_kernel _ZN7rocprim17ROCPRIM_400000_NS6detail17trampoline_kernelINS0_13select_configILj256ELj13ELNS0_17block_load_methodE3ELS4_3ELS4_3ELNS0_20block_scan_algorithmE0ELj4294967295EEENS1_25partition_config_selectorILNS1_17partition_subalgoE4EjNS0_10empty_typeEbEEZZNS1_14partition_implILS8_4ELb0ES6_15HIP_vector_typeIjLj2EENS0_17counting_iteratorIjlEEPS9_SG_NS0_5tupleIJPjSI_NS0_16reverse_iteratorISI_EEEEENSH_IJSG_SG_SG_EEES9_SI_JZNS1_25segmented_radix_sort_implINS0_14default_configELb1EPK12hip_bfloat16PSP_PKlPlN2at6native12_GLOBAL__N_18offset_tEEE10hipError_tPvRmT1_PNSt15iterator_traitsIS13_E10value_typeET2_T3_PNS14_IS19_E10value_typeET4_jRbjT5_S1F_jjP12ihipStream_tbEUljE_ZNSN_ISO_Lb1ESR_SS_SU_SV_SZ_EES10_S11_S12_S13_S17_S18_S19_S1C_S1D_jS1E_jS1F_S1F_jjS1H_bEUljE0_EEES10_S11_S12_S19_S1D_S1F_T6_T7_T9_mT8_S1H_bDpT10_ENKUlT_T0_E_clISt17integral_constantIbLb1EES1V_EEDaS1Q_S1R_EUlS1Q_E_NS1_11comp_targetILNS1_3genE8ELNS1_11target_archE1030ELNS1_3gpuE2ELNS1_3repE0EEENS1_30default_config_static_selectorELNS0_4arch9wavefront6targetE0EEEvS13_
		.amdhsa_group_segment_fixed_size 0
		.amdhsa_private_segment_fixed_size 0
		.amdhsa_kernarg_size 184
		.amdhsa_user_sgpr_count 6
		.amdhsa_user_sgpr_private_segment_buffer 1
		.amdhsa_user_sgpr_dispatch_ptr 0
		.amdhsa_user_sgpr_queue_ptr 0
		.amdhsa_user_sgpr_kernarg_segment_ptr 1
		.amdhsa_user_sgpr_dispatch_id 0
		.amdhsa_user_sgpr_flat_scratch_init 0
		.amdhsa_user_sgpr_private_segment_size 0
		.amdhsa_wavefront_size32 1
		.amdhsa_uses_dynamic_stack 0
		.amdhsa_system_sgpr_private_segment_wavefront_offset 0
		.amdhsa_system_sgpr_workgroup_id_x 1
		.amdhsa_system_sgpr_workgroup_id_y 0
		.amdhsa_system_sgpr_workgroup_id_z 0
		.amdhsa_system_sgpr_workgroup_info 0
		.amdhsa_system_vgpr_workitem_id 0
		.amdhsa_next_free_vgpr 1
		.amdhsa_next_free_sgpr 1
		.amdhsa_reserve_vcc 0
		.amdhsa_reserve_flat_scratch 0
		.amdhsa_float_round_mode_32 0
		.amdhsa_float_round_mode_16_64 0
		.amdhsa_float_denorm_mode_32 3
		.amdhsa_float_denorm_mode_16_64 3
		.amdhsa_dx10_clamp 1
		.amdhsa_ieee_mode 1
		.amdhsa_fp16_overflow 0
		.amdhsa_workgroup_processor_mode 1
		.amdhsa_memory_ordered 1
		.amdhsa_forward_progress 1
		.amdhsa_shared_vgpr_count 0
		.amdhsa_exception_fp_ieee_invalid_op 0
		.amdhsa_exception_fp_denorm_src 0
		.amdhsa_exception_fp_ieee_div_zero 0
		.amdhsa_exception_fp_ieee_overflow 0
		.amdhsa_exception_fp_ieee_underflow 0
		.amdhsa_exception_fp_ieee_inexact 0
		.amdhsa_exception_int_div_zero 0
	.end_amdhsa_kernel
	.section	.text._ZN7rocprim17ROCPRIM_400000_NS6detail17trampoline_kernelINS0_13select_configILj256ELj13ELNS0_17block_load_methodE3ELS4_3ELS4_3ELNS0_20block_scan_algorithmE0ELj4294967295EEENS1_25partition_config_selectorILNS1_17partition_subalgoE4EjNS0_10empty_typeEbEEZZNS1_14partition_implILS8_4ELb0ES6_15HIP_vector_typeIjLj2EENS0_17counting_iteratorIjlEEPS9_SG_NS0_5tupleIJPjSI_NS0_16reverse_iteratorISI_EEEEENSH_IJSG_SG_SG_EEES9_SI_JZNS1_25segmented_radix_sort_implINS0_14default_configELb1EPK12hip_bfloat16PSP_PKlPlN2at6native12_GLOBAL__N_18offset_tEEE10hipError_tPvRmT1_PNSt15iterator_traitsIS13_E10value_typeET2_T3_PNS14_IS19_E10value_typeET4_jRbjT5_S1F_jjP12ihipStream_tbEUljE_ZNSN_ISO_Lb1ESR_SS_SU_SV_SZ_EES10_S11_S12_S13_S17_S18_S19_S1C_S1D_jS1E_jS1F_S1F_jjS1H_bEUljE0_EEES10_S11_S12_S19_S1D_S1F_T6_T7_T9_mT8_S1H_bDpT10_ENKUlT_T0_E_clISt17integral_constantIbLb1EES1V_EEDaS1Q_S1R_EUlS1Q_E_NS1_11comp_targetILNS1_3genE8ELNS1_11target_archE1030ELNS1_3gpuE2ELNS1_3repE0EEENS1_30default_config_static_selectorELNS0_4arch9wavefront6targetE0EEEvS13_,"axG",@progbits,_ZN7rocprim17ROCPRIM_400000_NS6detail17trampoline_kernelINS0_13select_configILj256ELj13ELNS0_17block_load_methodE3ELS4_3ELS4_3ELNS0_20block_scan_algorithmE0ELj4294967295EEENS1_25partition_config_selectorILNS1_17partition_subalgoE4EjNS0_10empty_typeEbEEZZNS1_14partition_implILS8_4ELb0ES6_15HIP_vector_typeIjLj2EENS0_17counting_iteratorIjlEEPS9_SG_NS0_5tupleIJPjSI_NS0_16reverse_iteratorISI_EEEEENSH_IJSG_SG_SG_EEES9_SI_JZNS1_25segmented_radix_sort_implINS0_14default_configELb1EPK12hip_bfloat16PSP_PKlPlN2at6native12_GLOBAL__N_18offset_tEEE10hipError_tPvRmT1_PNSt15iterator_traitsIS13_E10value_typeET2_T3_PNS14_IS19_E10value_typeET4_jRbjT5_S1F_jjP12ihipStream_tbEUljE_ZNSN_ISO_Lb1ESR_SS_SU_SV_SZ_EES10_S11_S12_S13_S17_S18_S19_S1C_S1D_jS1E_jS1F_S1F_jjS1H_bEUljE0_EEES10_S11_S12_S19_S1D_S1F_T6_T7_T9_mT8_S1H_bDpT10_ENKUlT_T0_E_clISt17integral_constantIbLb1EES1V_EEDaS1Q_S1R_EUlS1Q_E_NS1_11comp_targetILNS1_3genE8ELNS1_11target_archE1030ELNS1_3gpuE2ELNS1_3repE0EEENS1_30default_config_static_selectorELNS0_4arch9wavefront6targetE0EEEvS13_,comdat
.Lfunc_end1887:
	.size	_ZN7rocprim17ROCPRIM_400000_NS6detail17trampoline_kernelINS0_13select_configILj256ELj13ELNS0_17block_load_methodE3ELS4_3ELS4_3ELNS0_20block_scan_algorithmE0ELj4294967295EEENS1_25partition_config_selectorILNS1_17partition_subalgoE4EjNS0_10empty_typeEbEEZZNS1_14partition_implILS8_4ELb0ES6_15HIP_vector_typeIjLj2EENS0_17counting_iteratorIjlEEPS9_SG_NS0_5tupleIJPjSI_NS0_16reverse_iteratorISI_EEEEENSH_IJSG_SG_SG_EEES9_SI_JZNS1_25segmented_radix_sort_implINS0_14default_configELb1EPK12hip_bfloat16PSP_PKlPlN2at6native12_GLOBAL__N_18offset_tEEE10hipError_tPvRmT1_PNSt15iterator_traitsIS13_E10value_typeET2_T3_PNS14_IS19_E10value_typeET4_jRbjT5_S1F_jjP12ihipStream_tbEUljE_ZNSN_ISO_Lb1ESR_SS_SU_SV_SZ_EES10_S11_S12_S13_S17_S18_S19_S1C_S1D_jS1E_jS1F_S1F_jjS1H_bEUljE0_EEES10_S11_S12_S19_S1D_S1F_T6_T7_T9_mT8_S1H_bDpT10_ENKUlT_T0_E_clISt17integral_constantIbLb1EES1V_EEDaS1Q_S1R_EUlS1Q_E_NS1_11comp_targetILNS1_3genE8ELNS1_11target_archE1030ELNS1_3gpuE2ELNS1_3repE0EEENS1_30default_config_static_selectorELNS0_4arch9wavefront6targetE0EEEvS13_, .Lfunc_end1887-_ZN7rocprim17ROCPRIM_400000_NS6detail17trampoline_kernelINS0_13select_configILj256ELj13ELNS0_17block_load_methodE3ELS4_3ELS4_3ELNS0_20block_scan_algorithmE0ELj4294967295EEENS1_25partition_config_selectorILNS1_17partition_subalgoE4EjNS0_10empty_typeEbEEZZNS1_14partition_implILS8_4ELb0ES6_15HIP_vector_typeIjLj2EENS0_17counting_iteratorIjlEEPS9_SG_NS0_5tupleIJPjSI_NS0_16reverse_iteratorISI_EEEEENSH_IJSG_SG_SG_EEES9_SI_JZNS1_25segmented_radix_sort_implINS0_14default_configELb1EPK12hip_bfloat16PSP_PKlPlN2at6native12_GLOBAL__N_18offset_tEEE10hipError_tPvRmT1_PNSt15iterator_traitsIS13_E10value_typeET2_T3_PNS14_IS19_E10value_typeET4_jRbjT5_S1F_jjP12ihipStream_tbEUljE_ZNSN_ISO_Lb1ESR_SS_SU_SV_SZ_EES10_S11_S12_S13_S17_S18_S19_S1C_S1D_jS1E_jS1F_S1F_jjS1H_bEUljE0_EEES10_S11_S12_S19_S1D_S1F_T6_T7_T9_mT8_S1H_bDpT10_ENKUlT_T0_E_clISt17integral_constantIbLb1EES1V_EEDaS1Q_S1R_EUlS1Q_E_NS1_11comp_targetILNS1_3genE8ELNS1_11target_archE1030ELNS1_3gpuE2ELNS1_3repE0EEENS1_30default_config_static_selectorELNS0_4arch9wavefront6targetE0EEEvS13_
                                        ; -- End function
	.set _ZN7rocprim17ROCPRIM_400000_NS6detail17trampoline_kernelINS0_13select_configILj256ELj13ELNS0_17block_load_methodE3ELS4_3ELS4_3ELNS0_20block_scan_algorithmE0ELj4294967295EEENS1_25partition_config_selectorILNS1_17partition_subalgoE4EjNS0_10empty_typeEbEEZZNS1_14partition_implILS8_4ELb0ES6_15HIP_vector_typeIjLj2EENS0_17counting_iteratorIjlEEPS9_SG_NS0_5tupleIJPjSI_NS0_16reverse_iteratorISI_EEEEENSH_IJSG_SG_SG_EEES9_SI_JZNS1_25segmented_radix_sort_implINS0_14default_configELb1EPK12hip_bfloat16PSP_PKlPlN2at6native12_GLOBAL__N_18offset_tEEE10hipError_tPvRmT1_PNSt15iterator_traitsIS13_E10value_typeET2_T3_PNS14_IS19_E10value_typeET4_jRbjT5_S1F_jjP12ihipStream_tbEUljE_ZNSN_ISO_Lb1ESR_SS_SU_SV_SZ_EES10_S11_S12_S13_S17_S18_S19_S1C_S1D_jS1E_jS1F_S1F_jjS1H_bEUljE0_EEES10_S11_S12_S19_S1D_S1F_T6_T7_T9_mT8_S1H_bDpT10_ENKUlT_T0_E_clISt17integral_constantIbLb1EES1V_EEDaS1Q_S1R_EUlS1Q_E_NS1_11comp_targetILNS1_3genE8ELNS1_11target_archE1030ELNS1_3gpuE2ELNS1_3repE0EEENS1_30default_config_static_selectorELNS0_4arch9wavefront6targetE0EEEvS13_.num_vgpr, 0
	.set _ZN7rocprim17ROCPRIM_400000_NS6detail17trampoline_kernelINS0_13select_configILj256ELj13ELNS0_17block_load_methodE3ELS4_3ELS4_3ELNS0_20block_scan_algorithmE0ELj4294967295EEENS1_25partition_config_selectorILNS1_17partition_subalgoE4EjNS0_10empty_typeEbEEZZNS1_14partition_implILS8_4ELb0ES6_15HIP_vector_typeIjLj2EENS0_17counting_iteratorIjlEEPS9_SG_NS0_5tupleIJPjSI_NS0_16reverse_iteratorISI_EEEEENSH_IJSG_SG_SG_EEES9_SI_JZNS1_25segmented_radix_sort_implINS0_14default_configELb1EPK12hip_bfloat16PSP_PKlPlN2at6native12_GLOBAL__N_18offset_tEEE10hipError_tPvRmT1_PNSt15iterator_traitsIS13_E10value_typeET2_T3_PNS14_IS19_E10value_typeET4_jRbjT5_S1F_jjP12ihipStream_tbEUljE_ZNSN_ISO_Lb1ESR_SS_SU_SV_SZ_EES10_S11_S12_S13_S17_S18_S19_S1C_S1D_jS1E_jS1F_S1F_jjS1H_bEUljE0_EEES10_S11_S12_S19_S1D_S1F_T6_T7_T9_mT8_S1H_bDpT10_ENKUlT_T0_E_clISt17integral_constantIbLb1EES1V_EEDaS1Q_S1R_EUlS1Q_E_NS1_11comp_targetILNS1_3genE8ELNS1_11target_archE1030ELNS1_3gpuE2ELNS1_3repE0EEENS1_30default_config_static_selectorELNS0_4arch9wavefront6targetE0EEEvS13_.num_agpr, 0
	.set _ZN7rocprim17ROCPRIM_400000_NS6detail17trampoline_kernelINS0_13select_configILj256ELj13ELNS0_17block_load_methodE3ELS4_3ELS4_3ELNS0_20block_scan_algorithmE0ELj4294967295EEENS1_25partition_config_selectorILNS1_17partition_subalgoE4EjNS0_10empty_typeEbEEZZNS1_14partition_implILS8_4ELb0ES6_15HIP_vector_typeIjLj2EENS0_17counting_iteratorIjlEEPS9_SG_NS0_5tupleIJPjSI_NS0_16reverse_iteratorISI_EEEEENSH_IJSG_SG_SG_EEES9_SI_JZNS1_25segmented_radix_sort_implINS0_14default_configELb1EPK12hip_bfloat16PSP_PKlPlN2at6native12_GLOBAL__N_18offset_tEEE10hipError_tPvRmT1_PNSt15iterator_traitsIS13_E10value_typeET2_T3_PNS14_IS19_E10value_typeET4_jRbjT5_S1F_jjP12ihipStream_tbEUljE_ZNSN_ISO_Lb1ESR_SS_SU_SV_SZ_EES10_S11_S12_S13_S17_S18_S19_S1C_S1D_jS1E_jS1F_S1F_jjS1H_bEUljE0_EEES10_S11_S12_S19_S1D_S1F_T6_T7_T9_mT8_S1H_bDpT10_ENKUlT_T0_E_clISt17integral_constantIbLb1EES1V_EEDaS1Q_S1R_EUlS1Q_E_NS1_11comp_targetILNS1_3genE8ELNS1_11target_archE1030ELNS1_3gpuE2ELNS1_3repE0EEENS1_30default_config_static_selectorELNS0_4arch9wavefront6targetE0EEEvS13_.numbered_sgpr, 0
	.set _ZN7rocprim17ROCPRIM_400000_NS6detail17trampoline_kernelINS0_13select_configILj256ELj13ELNS0_17block_load_methodE3ELS4_3ELS4_3ELNS0_20block_scan_algorithmE0ELj4294967295EEENS1_25partition_config_selectorILNS1_17partition_subalgoE4EjNS0_10empty_typeEbEEZZNS1_14partition_implILS8_4ELb0ES6_15HIP_vector_typeIjLj2EENS0_17counting_iteratorIjlEEPS9_SG_NS0_5tupleIJPjSI_NS0_16reverse_iteratorISI_EEEEENSH_IJSG_SG_SG_EEES9_SI_JZNS1_25segmented_radix_sort_implINS0_14default_configELb1EPK12hip_bfloat16PSP_PKlPlN2at6native12_GLOBAL__N_18offset_tEEE10hipError_tPvRmT1_PNSt15iterator_traitsIS13_E10value_typeET2_T3_PNS14_IS19_E10value_typeET4_jRbjT5_S1F_jjP12ihipStream_tbEUljE_ZNSN_ISO_Lb1ESR_SS_SU_SV_SZ_EES10_S11_S12_S13_S17_S18_S19_S1C_S1D_jS1E_jS1F_S1F_jjS1H_bEUljE0_EEES10_S11_S12_S19_S1D_S1F_T6_T7_T9_mT8_S1H_bDpT10_ENKUlT_T0_E_clISt17integral_constantIbLb1EES1V_EEDaS1Q_S1R_EUlS1Q_E_NS1_11comp_targetILNS1_3genE8ELNS1_11target_archE1030ELNS1_3gpuE2ELNS1_3repE0EEENS1_30default_config_static_selectorELNS0_4arch9wavefront6targetE0EEEvS13_.num_named_barrier, 0
	.set _ZN7rocprim17ROCPRIM_400000_NS6detail17trampoline_kernelINS0_13select_configILj256ELj13ELNS0_17block_load_methodE3ELS4_3ELS4_3ELNS0_20block_scan_algorithmE0ELj4294967295EEENS1_25partition_config_selectorILNS1_17partition_subalgoE4EjNS0_10empty_typeEbEEZZNS1_14partition_implILS8_4ELb0ES6_15HIP_vector_typeIjLj2EENS0_17counting_iteratorIjlEEPS9_SG_NS0_5tupleIJPjSI_NS0_16reverse_iteratorISI_EEEEENSH_IJSG_SG_SG_EEES9_SI_JZNS1_25segmented_radix_sort_implINS0_14default_configELb1EPK12hip_bfloat16PSP_PKlPlN2at6native12_GLOBAL__N_18offset_tEEE10hipError_tPvRmT1_PNSt15iterator_traitsIS13_E10value_typeET2_T3_PNS14_IS19_E10value_typeET4_jRbjT5_S1F_jjP12ihipStream_tbEUljE_ZNSN_ISO_Lb1ESR_SS_SU_SV_SZ_EES10_S11_S12_S13_S17_S18_S19_S1C_S1D_jS1E_jS1F_S1F_jjS1H_bEUljE0_EEES10_S11_S12_S19_S1D_S1F_T6_T7_T9_mT8_S1H_bDpT10_ENKUlT_T0_E_clISt17integral_constantIbLb1EES1V_EEDaS1Q_S1R_EUlS1Q_E_NS1_11comp_targetILNS1_3genE8ELNS1_11target_archE1030ELNS1_3gpuE2ELNS1_3repE0EEENS1_30default_config_static_selectorELNS0_4arch9wavefront6targetE0EEEvS13_.private_seg_size, 0
	.set _ZN7rocprim17ROCPRIM_400000_NS6detail17trampoline_kernelINS0_13select_configILj256ELj13ELNS0_17block_load_methodE3ELS4_3ELS4_3ELNS0_20block_scan_algorithmE0ELj4294967295EEENS1_25partition_config_selectorILNS1_17partition_subalgoE4EjNS0_10empty_typeEbEEZZNS1_14partition_implILS8_4ELb0ES6_15HIP_vector_typeIjLj2EENS0_17counting_iteratorIjlEEPS9_SG_NS0_5tupleIJPjSI_NS0_16reverse_iteratorISI_EEEEENSH_IJSG_SG_SG_EEES9_SI_JZNS1_25segmented_radix_sort_implINS0_14default_configELb1EPK12hip_bfloat16PSP_PKlPlN2at6native12_GLOBAL__N_18offset_tEEE10hipError_tPvRmT1_PNSt15iterator_traitsIS13_E10value_typeET2_T3_PNS14_IS19_E10value_typeET4_jRbjT5_S1F_jjP12ihipStream_tbEUljE_ZNSN_ISO_Lb1ESR_SS_SU_SV_SZ_EES10_S11_S12_S13_S17_S18_S19_S1C_S1D_jS1E_jS1F_S1F_jjS1H_bEUljE0_EEES10_S11_S12_S19_S1D_S1F_T6_T7_T9_mT8_S1H_bDpT10_ENKUlT_T0_E_clISt17integral_constantIbLb1EES1V_EEDaS1Q_S1R_EUlS1Q_E_NS1_11comp_targetILNS1_3genE8ELNS1_11target_archE1030ELNS1_3gpuE2ELNS1_3repE0EEENS1_30default_config_static_selectorELNS0_4arch9wavefront6targetE0EEEvS13_.uses_vcc, 0
	.set _ZN7rocprim17ROCPRIM_400000_NS6detail17trampoline_kernelINS0_13select_configILj256ELj13ELNS0_17block_load_methodE3ELS4_3ELS4_3ELNS0_20block_scan_algorithmE0ELj4294967295EEENS1_25partition_config_selectorILNS1_17partition_subalgoE4EjNS0_10empty_typeEbEEZZNS1_14partition_implILS8_4ELb0ES6_15HIP_vector_typeIjLj2EENS0_17counting_iteratorIjlEEPS9_SG_NS0_5tupleIJPjSI_NS0_16reverse_iteratorISI_EEEEENSH_IJSG_SG_SG_EEES9_SI_JZNS1_25segmented_radix_sort_implINS0_14default_configELb1EPK12hip_bfloat16PSP_PKlPlN2at6native12_GLOBAL__N_18offset_tEEE10hipError_tPvRmT1_PNSt15iterator_traitsIS13_E10value_typeET2_T3_PNS14_IS19_E10value_typeET4_jRbjT5_S1F_jjP12ihipStream_tbEUljE_ZNSN_ISO_Lb1ESR_SS_SU_SV_SZ_EES10_S11_S12_S13_S17_S18_S19_S1C_S1D_jS1E_jS1F_S1F_jjS1H_bEUljE0_EEES10_S11_S12_S19_S1D_S1F_T6_T7_T9_mT8_S1H_bDpT10_ENKUlT_T0_E_clISt17integral_constantIbLb1EES1V_EEDaS1Q_S1R_EUlS1Q_E_NS1_11comp_targetILNS1_3genE8ELNS1_11target_archE1030ELNS1_3gpuE2ELNS1_3repE0EEENS1_30default_config_static_selectorELNS0_4arch9wavefront6targetE0EEEvS13_.uses_flat_scratch, 0
	.set _ZN7rocprim17ROCPRIM_400000_NS6detail17trampoline_kernelINS0_13select_configILj256ELj13ELNS0_17block_load_methodE3ELS4_3ELS4_3ELNS0_20block_scan_algorithmE0ELj4294967295EEENS1_25partition_config_selectorILNS1_17partition_subalgoE4EjNS0_10empty_typeEbEEZZNS1_14partition_implILS8_4ELb0ES6_15HIP_vector_typeIjLj2EENS0_17counting_iteratorIjlEEPS9_SG_NS0_5tupleIJPjSI_NS0_16reverse_iteratorISI_EEEEENSH_IJSG_SG_SG_EEES9_SI_JZNS1_25segmented_radix_sort_implINS0_14default_configELb1EPK12hip_bfloat16PSP_PKlPlN2at6native12_GLOBAL__N_18offset_tEEE10hipError_tPvRmT1_PNSt15iterator_traitsIS13_E10value_typeET2_T3_PNS14_IS19_E10value_typeET4_jRbjT5_S1F_jjP12ihipStream_tbEUljE_ZNSN_ISO_Lb1ESR_SS_SU_SV_SZ_EES10_S11_S12_S13_S17_S18_S19_S1C_S1D_jS1E_jS1F_S1F_jjS1H_bEUljE0_EEES10_S11_S12_S19_S1D_S1F_T6_T7_T9_mT8_S1H_bDpT10_ENKUlT_T0_E_clISt17integral_constantIbLb1EES1V_EEDaS1Q_S1R_EUlS1Q_E_NS1_11comp_targetILNS1_3genE8ELNS1_11target_archE1030ELNS1_3gpuE2ELNS1_3repE0EEENS1_30default_config_static_selectorELNS0_4arch9wavefront6targetE0EEEvS13_.has_dyn_sized_stack, 0
	.set _ZN7rocprim17ROCPRIM_400000_NS6detail17trampoline_kernelINS0_13select_configILj256ELj13ELNS0_17block_load_methodE3ELS4_3ELS4_3ELNS0_20block_scan_algorithmE0ELj4294967295EEENS1_25partition_config_selectorILNS1_17partition_subalgoE4EjNS0_10empty_typeEbEEZZNS1_14partition_implILS8_4ELb0ES6_15HIP_vector_typeIjLj2EENS0_17counting_iteratorIjlEEPS9_SG_NS0_5tupleIJPjSI_NS0_16reverse_iteratorISI_EEEEENSH_IJSG_SG_SG_EEES9_SI_JZNS1_25segmented_radix_sort_implINS0_14default_configELb1EPK12hip_bfloat16PSP_PKlPlN2at6native12_GLOBAL__N_18offset_tEEE10hipError_tPvRmT1_PNSt15iterator_traitsIS13_E10value_typeET2_T3_PNS14_IS19_E10value_typeET4_jRbjT5_S1F_jjP12ihipStream_tbEUljE_ZNSN_ISO_Lb1ESR_SS_SU_SV_SZ_EES10_S11_S12_S13_S17_S18_S19_S1C_S1D_jS1E_jS1F_S1F_jjS1H_bEUljE0_EEES10_S11_S12_S19_S1D_S1F_T6_T7_T9_mT8_S1H_bDpT10_ENKUlT_T0_E_clISt17integral_constantIbLb1EES1V_EEDaS1Q_S1R_EUlS1Q_E_NS1_11comp_targetILNS1_3genE8ELNS1_11target_archE1030ELNS1_3gpuE2ELNS1_3repE0EEENS1_30default_config_static_selectorELNS0_4arch9wavefront6targetE0EEEvS13_.has_recursion, 0
	.set _ZN7rocprim17ROCPRIM_400000_NS6detail17trampoline_kernelINS0_13select_configILj256ELj13ELNS0_17block_load_methodE3ELS4_3ELS4_3ELNS0_20block_scan_algorithmE0ELj4294967295EEENS1_25partition_config_selectorILNS1_17partition_subalgoE4EjNS0_10empty_typeEbEEZZNS1_14partition_implILS8_4ELb0ES6_15HIP_vector_typeIjLj2EENS0_17counting_iteratorIjlEEPS9_SG_NS0_5tupleIJPjSI_NS0_16reverse_iteratorISI_EEEEENSH_IJSG_SG_SG_EEES9_SI_JZNS1_25segmented_radix_sort_implINS0_14default_configELb1EPK12hip_bfloat16PSP_PKlPlN2at6native12_GLOBAL__N_18offset_tEEE10hipError_tPvRmT1_PNSt15iterator_traitsIS13_E10value_typeET2_T3_PNS14_IS19_E10value_typeET4_jRbjT5_S1F_jjP12ihipStream_tbEUljE_ZNSN_ISO_Lb1ESR_SS_SU_SV_SZ_EES10_S11_S12_S13_S17_S18_S19_S1C_S1D_jS1E_jS1F_S1F_jjS1H_bEUljE0_EEES10_S11_S12_S19_S1D_S1F_T6_T7_T9_mT8_S1H_bDpT10_ENKUlT_T0_E_clISt17integral_constantIbLb1EES1V_EEDaS1Q_S1R_EUlS1Q_E_NS1_11comp_targetILNS1_3genE8ELNS1_11target_archE1030ELNS1_3gpuE2ELNS1_3repE0EEENS1_30default_config_static_selectorELNS0_4arch9wavefront6targetE0EEEvS13_.has_indirect_call, 0
	.section	.AMDGPU.csdata,"",@progbits
; Kernel info:
; codeLenInByte = 4
; TotalNumSgprs: 0
; NumVgprs: 0
; ScratchSize: 0
; MemoryBound: 0
; FloatMode: 240
; IeeeMode: 1
; LDSByteSize: 0 bytes/workgroup (compile time only)
; SGPRBlocks: 0
; VGPRBlocks: 0
; NumSGPRsForWavesPerEU: 1
; NumVGPRsForWavesPerEU: 1
; Occupancy: 16
; WaveLimiterHint : 0
; COMPUTE_PGM_RSRC2:SCRATCH_EN: 0
; COMPUTE_PGM_RSRC2:USER_SGPR: 6
; COMPUTE_PGM_RSRC2:TRAP_HANDLER: 0
; COMPUTE_PGM_RSRC2:TGID_X_EN: 1
; COMPUTE_PGM_RSRC2:TGID_Y_EN: 0
; COMPUTE_PGM_RSRC2:TGID_Z_EN: 0
; COMPUTE_PGM_RSRC2:TIDIG_COMP_CNT: 0
	.section	.text._ZN7rocprim17ROCPRIM_400000_NS6detail17trampoline_kernelINS0_13select_configILj256ELj13ELNS0_17block_load_methodE3ELS4_3ELS4_3ELNS0_20block_scan_algorithmE0ELj4294967295EEENS1_25partition_config_selectorILNS1_17partition_subalgoE4EjNS0_10empty_typeEbEEZZNS1_14partition_implILS8_4ELb0ES6_15HIP_vector_typeIjLj2EENS0_17counting_iteratorIjlEEPS9_SG_NS0_5tupleIJPjSI_NS0_16reverse_iteratorISI_EEEEENSH_IJSG_SG_SG_EEES9_SI_JZNS1_25segmented_radix_sort_implINS0_14default_configELb1EPK12hip_bfloat16PSP_PKlPlN2at6native12_GLOBAL__N_18offset_tEEE10hipError_tPvRmT1_PNSt15iterator_traitsIS13_E10value_typeET2_T3_PNS14_IS19_E10value_typeET4_jRbjT5_S1F_jjP12ihipStream_tbEUljE_ZNSN_ISO_Lb1ESR_SS_SU_SV_SZ_EES10_S11_S12_S13_S17_S18_S19_S1C_S1D_jS1E_jS1F_S1F_jjS1H_bEUljE0_EEES10_S11_S12_S19_S1D_S1F_T6_T7_T9_mT8_S1H_bDpT10_ENKUlT_T0_E_clISt17integral_constantIbLb1EES1U_IbLb0EEEEDaS1Q_S1R_EUlS1Q_E_NS1_11comp_targetILNS1_3genE0ELNS1_11target_archE4294967295ELNS1_3gpuE0ELNS1_3repE0EEENS1_30default_config_static_selectorELNS0_4arch9wavefront6targetE0EEEvS13_,"axG",@progbits,_ZN7rocprim17ROCPRIM_400000_NS6detail17trampoline_kernelINS0_13select_configILj256ELj13ELNS0_17block_load_methodE3ELS4_3ELS4_3ELNS0_20block_scan_algorithmE0ELj4294967295EEENS1_25partition_config_selectorILNS1_17partition_subalgoE4EjNS0_10empty_typeEbEEZZNS1_14partition_implILS8_4ELb0ES6_15HIP_vector_typeIjLj2EENS0_17counting_iteratorIjlEEPS9_SG_NS0_5tupleIJPjSI_NS0_16reverse_iteratorISI_EEEEENSH_IJSG_SG_SG_EEES9_SI_JZNS1_25segmented_radix_sort_implINS0_14default_configELb1EPK12hip_bfloat16PSP_PKlPlN2at6native12_GLOBAL__N_18offset_tEEE10hipError_tPvRmT1_PNSt15iterator_traitsIS13_E10value_typeET2_T3_PNS14_IS19_E10value_typeET4_jRbjT5_S1F_jjP12ihipStream_tbEUljE_ZNSN_ISO_Lb1ESR_SS_SU_SV_SZ_EES10_S11_S12_S13_S17_S18_S19_S1C_S1D_jS1E_jS1F_S1F_jjS1H_bEUljE0_EEES10_S11_S12_S19_S1D_S1F_T6_T7_T9_mT8_S1H_bDpT10_ENKUlT_T0_E_clISt17integral_constantIbLb1EES1U_IbLb0EEEEDaS1Q_S1R_EUlS1Q_E_NS1_11comp_targetILNS1_3genE0ELNS1_11target_archE4294967295ELNS1_3gpuE0ELNS1_3repE0EEENS1_30default_config_static_selectorELNS0_4arch9wavefront6targetE0EEEvS13_,comdat
	.globl	_ZN7rocprim17ROCPRIM_400000_NS6detail17trampoline_kernelINS0_13select_configILj256ELj13ELNS0_17block_load_methodE3ELS4_3ELS4_3ELNS0_20block_scan_algorithmE0ELj4294967295EEENS1_25partition_config_selectorILNS1_17partition_subalgoE4EjNS0_10empty_typeEbEEZZNS1_14partition_implILS8_4ELb0ES6_15HIP_vector_typeIjLj2EENS0_17counting_iteratorIjlEEPS9_SG_NS0_5tupleIJPjSI_NS0_16reverse_iteratorISI_EEEEENSH_IJSG_SG_SG_EEES9_SI_JZNS1_25segmented_radix_sort_implINS0_14default_configELb1EPK12hip_bfloat16PSP_PKlPlN2at6native12_GLOBAL__N_18offset_tEEE10hipError_tPvRmT1_PNSt15iterator_traitsIS13_E10value_typeET2_T3_PNS14_IS19_E10value_typeET4_jRbjT5_S1F_jjP12ihipStream_tbEUljE_ZNSN_ISO_Lb1ESR_SS_SU_SV_SZ_EES10_S11_S12_S13_S17_S18_S19_S1C_S1D_jS1E_jS1F_S1F_jjS1H_bEUljE0_EEES10_S11_S12_S19_S1D_S1F_T6_T7_T9_mT8_S1H_bDpT10_ENKUlT_T0_E_clISt17integral_constantIbLb1EES1U_IbLb0EEEEDaS1Q_S1R_EUlS1Q_E_NS1_11comp_targetILNS1_3genE0ELNS1_11target_archE4294967295ELNS1_3gpuE0ELNS1_3repE0EEENS1_30default_config_static_selectorELNS0_4arch9wavefront6targetE0EEEvS13_ ; -- Begin function _ZN7rocprim17ROCPRIM_400000_NS6detail17trampoline_kernelINS0_13select_configILj256ELj13ELNS0_17block_load_methodE3ELS4_3ELS4_3ELNS0_20block_scan_algorithmE0ELj4294967295EEENS1_25partition_config_selectorILNS1_17partition_subalgoE4EjNS0_10empty_typeEbEEZZNS1_14partition_implILS8_4ELb0ES6_15HIP_vector_typeIjLj2EENS0_17counting_iteratorIjlEEPS9_SG_NS0_5tupleIJPjSI_NS0_16reverse_iteratorISI_EEEEENSH_IJSG_SG_SG_EEES9_SI_JZNS1_25segmented_radix_sort_implINS0_14default_configELb1EPK12hip_bfloat16PSP_PKlPlN2at6native12_GLOBAL__N_18offset_tEEE10hipError_tPvRmT1_PNSt15iterator_traitsIS13_E10value_typeET2_T3_PNS14_IS19_E10value_typeET4_jRbjT5_S1F_jjP12ihipStream_tbEUljE_ZNSN_ISO_Lb1ESR_SS_SU_SV_SZ_EES10_S11_S12_S13_S17_S18_S19_S1C_S1D_jS1E_jS1F_S1F_jjS1H_bEUljE0_EEES10_S11_S12_S19_S1D_S1F_T6_T7_T9_mT8_S1H_bDpT10_ENKUlT_T0_E_clISt17integral_constantIbLb1EES1U_IbLb0EEEEDaS1Q_S1R_EUlS1Q_E_NS1_11comp_targetILNS1_3genE0ELNS1_11target_archE4294967295ELNS1_3gpuE0ELNS1_3repE0EEENS1_30default_config_static_selectorELNS0_4arch9wavefront6targetE0EEEvS13_
	.p2align	8
	.type	_ZN7rocprim17ROCPRIM_400000_NS6detail17trampoline_kernelINS0_13select_configILj256ELj13ELNS0_17block_load_methodE3ELS4_3ELS4_3ELNS0_20block_scan_algorithmE0ELj4294967295EEENS1_25partition_config_selectorILNS1_17partition_subalgoE4EjNS0_10empty_typeEbEEZZNS1_14partition_implILS8_4ELb0ES6_15HIP_vector_typeIjLj2EENS0_17counting_iteratorIjlEEPS9_SG_NS0_5tupleIJPjSI_NS0_16reverse_iteratorISI_EEEEENSH_IJSG_SG_SG_EEES9_SI_JZNS1_25segmented_radix_sort_implINS0_14default_configELb1EPK12hip_bfloat16PSP_PKlPlN2at6native12_GLOBAL__N_18offset_tEEE10hipError_tPvRmT1_PNSt15iterator_traitsIS13_E10value_typeET2_T3_PNS14_IS19_E10value_typeET4_jRbjT5_S1F_jjP12ihipStream_tbEUljE_ZNSN_ISO_Lb1ESR_SS_SU_SV_SZ_EES10_S11_S12_S13_S17_S18_S19_S1C_S1D_jS1E_jS1F_S1F_jjS1H_bEUljE0_EEES10_S11_S12_S19_S1D_S1F_T6_T7_T9_mT8_S1H_bDpT10_ENKUlT_T0_E_clISt17integral_constantIbLb1EES1U_IbLb0EEEEDaS1Q_S1R_EUlS1Q_E_NS1_11comp_targetILNS1_3genE0ELNS1_11target_archE4294967295ELNS1_3gpuE0ELNS1_3repE0EEENS1_30default_config_static_selectorELNS0_4arch9wavefront6targetE0EEEvS13_,@function
_ZN7rocprim17ROCPRIM_400000_NS6detail17trampoline_kernelINS0_13select_configILj256ELj13ELNS0_17block_load_methodE3ELS4_3ELS4_3ELNS0_20block_scan_algorithmE0ELj4294967295EEENS1_25partition_config_selectorILNS1_17partition_subalgoE4EjNS0_10empty_typeEbEEZZNS1_14partition_implILS8_4ELb0ES6_15HIP_vector_typeIjLj2EENS0_17counting_iteratorIjlEEPS9_SG_NS0_5tupleIJPjSI_NS0_16reverse_iteratorISI_EEEEENSH_IJSG_SG_SG_EEES9_SI_JZNS1_25segmented_radix_sort_implINS0_14default_configELb1EPK12hip_bfloat16PSP_PKlPlN2at6native12_GLOBAL__N_18offset_tEEE10hipError_tPvRmT1_PNSt15iterator_traitsIS13_E10value_typeET2_T3_PNS14_IS19_E10value_typeET4_jRbjT5_S1F_jjP12ihipStream_tbEUljE_ZNSN_ISO_Lb1ESR_SS_SU_SV_SZ_EES10_S11_S12_S13_S17_S18_S19_S1C_S1D_jS1E_jS1F_S1F_jjS1H_bEUljE0_EEES10_S11_S12_S19_S1D_S1F_T6_T7_T9_mT8_S1H_bDpT10_ENKUlT_T0_E_clISt17integral_constantIbLb1EES1U_IbLb0EEEEDaS1Q_S1R_EUlS1Q_E_NS1_11comp_targetILNS1_3genE0ELNS1_11target_archE4294967295ELNS1_3gpuE0ELNS1_3repE0EEENS1_30default_config_static_selectorELNS0_4arch9wavefront6targetE0EEEvS13_: ; @_ZN7rocprim17ROCPRIM_400000_NS6detail17trampoline_kernelINS0_13select_configILj256ELj13ELNS0_17block_load_methodE3ELS4_3ELS4_3ELNS0_20block_scan_algorithmE0ELj4294967295EEENS1_25partition_config_selectorILNS1_17partition_subalgoE4EjNS0_10empty_typeEbEEZZNS1_14partition_implILS8_4ELb0ES6_15HIP_vector_typeIjLj2EENS0_17counting_iteratorIjlEEPS9_SG_NS0_5tupleIJPjSI_NS0_16reverse_iteratorISI_EEEEENSH_IJSG_SG_SG_EEES9_SI_JZNS1_25segmented_radix_sort_implINS0_14default_configELb1EPK12hip_bfloat16PSP_PKlPlN2at6native12_GLOBAL__N_18offset_tEEE10hipError_tPvRmT1_PNSt15iterator_traitsIS13_E10value_typeET2_T3_PNS14_IS19_E10value_typeET4_jRbjT5_S1F_jjP12ihipStream_tbEUljE_ZNSN_ISO_Lb1ESR_SS_SU_SV_SZ_EES10_S11_S12_S13_S17_S18_S19_S1C_S1D_jS1E_jS1F_S1F_jjS1H_bEUljE0_EEES10_S11_S12_S19_S1D_S1F_T6_T7_T9_mT8_S1H_bDpT10_ENKUlT_T0_E_clISt17integral_constantIbLb1EES1U_IbLb0EEEEDaS1Q_S1R_EUlS1Q_E_NS1_11comp_targetILNS1_3genE0ELNS1_11target_archE4294967295ELNS1_3gpuE0ELNS1_3repE0EEENS1_30default_config_static_selectorELNS0_4arch9wavefront6targetE0EEEvS13_
; %bb.0:
	.section	.rodata,"a",@progbits
	.p2align	6, 0x0
	.amdhsa_kernel _ZN7rocprim17ROCPRIM_400000_NS6detail17trampoline_kernelINS0_13select_configILj256ELj13ELNS0_17block_load_methodE3ELS4_3ELS4_3ELNS0_20block_scan_algorithmE0ELj4294967295EEENS1_25partition_config_selectorILNS1_17partition_subalgoE4EjNS0_10empty_typeEbEEZZNS1_14partition_implILS8_4ELb0ES6_15HIP_vector_typeIjLj2EENS0_17counting_iteratorIjlEEPS9_SG_NS0_5tupleIJPjSI_NS0_16reverse_iteratorISI_EEEEENSH_IJSG_SG_SG_EEES9_SI_JZNS1_25segmented_radix_sort_implINS0_14default_configELb1EPK12hip_bfloat16PSP_PKlPlN2at6native12_GLOBAL__N_18offset_tEEE10hipError_tPvRmT1_PNSt15iterator_traitsIS13_E10value_typeET2_T3_PNS14_IS19_E10value_typeET4_jRbjT5_S1F_jjP12ihipStream_tbEUljE_ZNSN_ISO_Lb1ESR_SS_SU_SV_SZ_EES10_S11_S12_S13_S17_S18_S19_S1C_S1D_jS1E_jS1F_S1F_jjS1H_bEUljE0_EEES10_S11_S12_S19_S1D_S1F_T6_T7_T9_mT8_S1H_bDpT10_ENKUlT_T0_E_clISt17integral_constantIbLb1EES1U_IbLb0EEEEDaS1Q_S1R_EUlS1Q_E_NS1_11comp_targetILNS1_3genE0ELNS1_11target_archE4294967295ELNS1_3gpuE0ELNS1_3repE0EEENS1_30default_config_static_selectorELNS0_4arch9wavefront6targetE0EEEvS13_
		.amdhsa_group_segment_fixed_size 0
		.amdhsa_private_segment_fixed_size 0
		.amdhsa_kernarg_size 176
		.amdhsa_user_sgpr_count 6
		.amdhsa_user_sgpr_private_segment_buffer 1
		.amdhsa_user_sgpr_dispatch_ptr 0
		.amdhsa_user_sgpr_queue_ptr 0
		.amdhsa_user_sgpr_kernarg_segment_ptr 1
		.amdhsa_user_sgpr_dispatch_id 0
		.amdhsa_user_sgpr_flat_scratch_init 0
		.amdhsa_user_sgpr_private_segment_size 0
		.amdhsa_wavefront_size32 1
		.amdhsa_uses_dynamic_stack 0
		.amdhsa_system_sgpr_private_segment_wavefront_offset 0
		.amdhsa_system_sgpr_workgroup_id_x 1
		.amdhsa_system_sgpr_workgroup_id_y 0
		.amdhsa_system_sgpr_workgroup_id_z 0
		.amdhsa_system_sgpr_workgroup_info 0
		.amdhsa_system_vgpr_workitem_id 0
		.amdhsa_next_free_vgpr 1
		.amdhsa_next_free_sgpr 1
		.amdhsa_reserve_vcc 0
		.amdhsa_reserve_flat_scratch 0
		.amdhsa_float_round_mode_32 0
		.amdhsa_float_round_mode_16_64 0
		.amdhsa_float_denorm_mode_32 3
		.amdhsa_float_denorm_mode_16_64 3
		.amdhsa_dx10_clamp 1
		.amdhsa_ieee_mode 1
		.amdhsa_fp16_overflow 0
		.amdhsa_workgroup_processor_mode 1
		.amdhsa_memory_ordered 1
		.amdhsa_forward_progress 1
		.amdhsa_shared_vgpr_count 0
		.amdhsa_exception_fp_ieee_invalid_op 0
		.amdhsa_exception_fp_denorm_src 0
		.amdhsa_exception_fp_ieee_div_zero 0
		.amdhsa_exception_fp_ieee_overflow 0
		.amdhsa_exception_fp_ieee_underflow 0
		.amdhsa_exception_fp_ieee_inexact 0
		.amdhsa_exception_int_div_zero 0
	.end_amdhsa_kernel
	.section	.text._ZN7rocprim17ROCPRIM_400000_NS6detail17trampoline_kernelINS0_13select_configILj256ELj13ELNS0_17block_load_methodE3ELS4_3ELS4_3ELNS0_20block_scan_algorithmE0ELj4294967295EEENS1_25partition_config_selectorILNS1_17partition_subalgoE4EjNS0_10empty_typeEbEEZZNS1_14partition_implILS8_4ELb0ES6_15HIP_vector_typeIjLj2EENS0_17counting_iteratorIjlEEPS9_SG_NS0_5tupleIJPjSI_NS0_16reverse_iteratorISI_EEEEENSH_IJSG_SG_SG_EEES9_SI_JZNS1_25segmented_radix_sort_implINS0_14default_configELb1EPK12hip_bfloat16PSP_PKlPlN2at6native12_GLOBAL__N_18offset_tEEE10hipError_tPvRmT1_PNSt15iterator_traitsIS13_E10value_typeET2_T3_PNS14_IS19_E10value_typeET4_jRbjT5_S1F_jjP12ihipStream_tbEUljE_ZNSN_ISO_Lb1ESR_SS_SU_SV_SZ_EES10_S11_S12_S13_S17_S18_S19_S1C_S1D_jS1E_jS1F_S1F_jjS1H_bEUljE0_EEES10_S11_S12_S19_S1D_S1F_T6_T7_T9_mT8_S1H_bDpT10_ENKUlT_T0_E_clISt17integral_constantIbLb1EES1U_IbLb0EEEEDaS1Q_S1R_EUlS1Q_E_NS1_11comp_targetILNS1_3genE0ELNS1_11target_archE4294967295ELNS1_3gpuE0ELNS1_3repE0EEENS1_30default_config_static_selectorELNS0_4arch9wavefront6targetE0EEEvS13_,"axG",@progbits,_ZN7rocprim17ROCPRIM_400000_NS6detail17trampoline_kernelINS0_13select_configILj256ELj13ELNS0_17block_load_methodE3ELS4_3ELS4_3ELNS0_20block_scan_algorithmE0ELj4294967295EEENS1_25partition_config_selectorILNS1_17partition_subalgoE4EjNS0_10empty_typeEbEEZZNS1_14partition_implILS8_4ELb0ES6_15HIP_vector_typeIjLj2EENS0_17counting_iteratorIjlEEPS9_SG_NS0_5tupleIJPjSI_NS0_16reverse_iteratorISI_EEEEENSH_IJSG_SG_SG_EEES9_SI_JZNS1_25segmented_radix_sort_implINS0_14default_configELb1EPK12hip_bfloat16PSP_PKlPlN2at6native12_GLOBAL__N_18offset_tEEE10hipError_tPvRmT1_PNSt15iterator_traitsIS13_E10value_typeET2_T3_PNS14_IS19_E10value_typeET4_jRbjT5_S1F_jjP12ihipStream_tbEUljE_ZNSN_ISO_Lb1ESR_SS_SU_SV_SZ_EES10_S11_S12_S13_S17_S18_S19_S1C_S1D_jS1E_jS1F_S1F_jjS1H_bEUljE0_EEES10_S11_S12_S19_S1D_S1F_T6_T7_T9_mT8_S1H_bDpT10_ENKUlT_T0_E_clISt17integral_constantIbLb1EES1U_IbLb0EEEEDaS1Q_S1R_EUlS1Q_E_NS1_11comp_targetILNS1_3genE0ELNS1_11target_archE4294967295ELNS1_3gpuE0ELNS1_3repE0EEENS1_30default_config_static_selectorELNS0_4arch9wavefront6targetE0EEEvS13_,comdat
.Lfunc_end1888:
	.size	_ZN7rocprim17ROCPRIM_400000_NS6detail17trampoline_kernelINS0_13select_configILj256ELj13ELNS0_17block_load_methodE3ELS4_3ELS4_3ELNS0_20block_scan_algorithmE0ELj4294967295EEENS1_25partition_config_selectorILNS1_17partition_subalgoE4EjNS0_10empty_typeEbEEZZNS1_14partition_implILS8_4ELb0ES6_15HIP_vector_typeIjLj2EENS0_17counting_iteratorIjlEEPS9_SG_NS0_5tupleIJPjSI_NS0_16reverse_iteratorISI_EEEEENSH_IJSG_SG_SG_EEES9_SI_JZNS1_25segmented_radix_sort_implINS0_14default_configELb1EPK12hip_bfloat16PSP_PKlPlN2at6native12_GLOBAL__N_18offset_tEEE10hipError_tPvRmT1_PNSt15iterator_traitsIS13_E10value_typeET2_T3_PNS14_IS19_E10value_typeET4_jRbjT5_S1F_jjP12ihipStream_tbEUljE_ZNSN_ISO_Lb1ESR_SS_SU_SV_SZ_EES10_S11_S12_S13_S17_S18_S19_S1C_S1D_jS1E_jS1F_S1F_jjS1H_bEUljE0_EEES10_S11_S12_S19_S1D_S1F_T6_T7_T9_mT8_S1H_bDpT10_ENKUlT_T0_E_clISt17integral_constantIbLb1EES1U_IbLb0EEEEDaS1Q_S1R_EUlS1Q_E_NS1_11comp_targetILNS1_3genE0ELNS1_11target_archE4294967295ELNS1_3gpuE0ELNS1_3repE0EEENS1_30default_config_static_selectorELNS0_4arch9wavefront6targetE0EEEvS13_, .Lfunc_end1888-_ZN7rocprim17ROCPRIM_400000_NS6detail17trampoline_kernelINS0_13select_configILj256ELj13ELNS0_17block_load_methodE3ELS4_3ELS4_3ELNS0_20block_scan_algorithmE0ELj4294967295EEENS1_25partition_config_selectorILNS1_17partition_subalgoE4EjNS0_10empty_typeEbEEZZNS1_14partition_implILS8_4ELb0ES6_15HIP_vector_typeIjLj2EENS0_17counting_iteratorIjlEEPS9_SG_NS0_5tupleIJPjSI_NS0_16reverse_iteratorISI_EEEEENSH_IJSG_SG_SG_EEES9_SI_JZNS1_25segmented_radix_sort_implINS0_14default_configELb1EPK12hip_bfloat16PSP_PKlPlN2at6native12_GLOBAL__N_18offset_tEEE10hipError_tPvRmT1_PNSt15iterator_traitsIS13_E10value_typeET2_T3_PNS14_IS19_E10value_typeET4_jRbjT5_S1F_jjP12ihipStream_tbEUljE_ZNSN_ISO_Lb1ESR_SS_SU_SV_SZ_EES10_S11_S12_S13_S17_S18_S19_S1C_S1D_jS1E_jS1F_S1F_jjS1H_bEUljE0_EEES10_S11_S12_S19_S1D_S1F_T6_T7_T9_mT8_S1H_bDpT10_ENKUlT_T0_E_clISt17integral_constantIbLb1EES1U_IbLb0EEEEDaS1Q_S1R_EUlS1Q_E_NS1_11comp_targetILNS1_3genE0ELNS1_11target_archE4294967295ELNS1_3gpuE0ELNS1_3repE0EEENS1_30default_config_static_selectorELNS0_4arch9wavefront6targetE0EEEvS13_
                                        ; -- End function
	.set _ZN7rocprim17ROCPRIM_400000_NS6detail17trampoline_kernelINS0_13select_configILj256ELj13ELNS0_17block_load_methodE3ELS4_3ELS4_3ELNS0_20block_scan_algorithmE0ELj4294967295EEENS1_25partition_config_selectorILNS1_17partition_subalgoE4EjNS0_10empty_typeEbEEZZNS1_14partition_implILS8_4ELb0ES6_15HIP_vector_typeIjLj2EENS0_17counting_iteratorIjlEEPS9_SG_NS0_5tupleIJPjSI_NS0_16reverse_iteratorISI_EEEEENSH_IJSG_SG_SG_EEES9_SI_JZNS1_25segmented_radix_sort_implINS0_14default_configELb1EPK12hip_bfloat16PSP_PKlPlN2at6native12_GLOBAL__N_18offset_tEEE10hipError_tPvRmT1_PNSt15iterator_traitsIS13_E10value_typeET2_T3_PNS14_IS19_E10value_typeET4_jRbjT5_S1F_jjP12ihipStream_tbEUljE_ZNSN_ISO_Lb1ESR_SS_SU_SV_SZ_EES10_S11_S12_S13_S17_S18_S19_S1C_S1D_jS1E_jS1F_S1F_jjS1H_bEUljE0_EEES10_S11_S12_S19_S1D_S1F_T6_T7_T9_mT8_S1H_bDpT10_ENKUlT_T0_E_clISt17integral_constantIbLb1EES1U_IbLb0EEEEDaS1Q_S1R_EUlS1Q_E_NS1_11comp_targetILNS1_3genE0ELNS1_11target_archE4294967295ELNS1_3gpuE0ELNS1_3repE0EEENS1_30default_config_static_selectorELNS0_4arch9wavefront6targetE0EEEvS13_.num_vgpr, 0
	.set _ZN7rocprim17ROCPRIM_400000_NS6detail17trampoline_kernelINS0_13select_configILj256ELj13ELNS0_17block_load_methodE3ELS4_3ELS4_3ELNS0_20block_scan_algorithmE0ELj4294967295EEENS1_25partition_config_selectorILNS1_17partition_subalgoE4EjNS0_10empty_typeEbEEZZNS1_14partition_implILS8_4ELb0ES6_15HIP_vector_typeIjLj2EENS0_17counting_iteratorIjlEEPS9_SG_NS0_5tupleIJPjSI_NS0_16reverse_iteratorISI_EEEEENSH_IJSG_SG_SG_EEES9_SI_JZNS1_25segmented_radix_sort_implINS0_14default_configELb1EPK12hip_bfloat16PSP_PKlPlN2at6native12_GLOBAL__N_18offset_tEEE10hipError_tPvRmT1_PNSt15iterator_traitsIS13_E10value_typeET2_T3_PNS14_IS19_E10value_typeET4_jRbjT5_S1F_jjP12ihipStream_tbEUljE_ZNSN_ISO_Lb1ESR_SS_SU_SV_SZ_EES10_S11_S12_S13_S17_S18_S19_S1C_S1D_jS1E_jS1F_S1F_jjS1H_bEUljE0_EEES10_S11_S12_S19_S1D_S1F_T6_T7_T9_mT8_S1H_bDpT10_ENKUlT_T0_E_clISt17integral_constantIbLb1EES1U_IbLb0EEEEDaS1Q_S1R_EUlS1Q_E_NS1_11comp_targetILNS1_3genE0ELNS1_11target_archE4294967295ELNS1_3gpuE0ELNS1_3repE0EEENS1_30default_config_static_selectorELNS0_4arch9wavefront6targetE0EEEvS13_.num_agpr, 0
	.set _ZN7rocprim17ROCPRIM_400000_NS6detail17trampoline_kernelINS0_13select_configILj256ELj13ELNS0_17block_load_methodE3ELS4_3ELS4_3ELNS0_20block_scan_algorithmE0ELj4294967295EEENS1_25partition_config_selectorILNS1_17partition_subalgoE4EjNS0_10empty_typeEbEEZZNS1_14partition_implILS8_4ELb0ES6_15HIP_vector_typeIjLj2EENS0_17counting_iteratorIjlEEPS9_SG_NS0_5tupleIJPjSI_NS0_16reverse_iteratorISI_EEEEENSH_IJSG_SG_SG_EEES9_SI_JZNS1_25segmented_radix_sort_implINS0_14default_configELb1EPK12hip_bfloat16PSP_PKlPlN2at6native12_GLOBAL__N_18offset_tEEE10hipError_tPvRmT1_PNSt15iterator_traitsIS13_E10value_typeET2_T3_PNS14_IS19_E10value_typeET4_jRbjT5_S1F_jjP12ihipStream_tbEUljE_ZNSN_ISO_Lb1ESR_SS_SU_SV_SZ_EES10_S11_S12_S13_S17_S18_S19_S1C_S1D_jS1E_jS1F_S1F_jjS1H_bEUljE0_EEES10_S11_S12_S19_S1D_S1F_T6_T7_T9_mT8_S1H_bDpT10_ENKUlT_T0_E_clISt17integral_constantIbLb1EES1U_IbLb0EEEEDaS1Q_S1R_EUlS1Q_E_NS1_11comp_targetILNS1_3genE0ELNS1_11target_archE4294967295ELNS1_3gpuE0ELNS1_3repE0EEENS1_30default_config_static_selectorELNS0_4arch9wavefront6targetE0EEEvS13_.numbered_sgpr, 0
	.set _ZN7rocprim17ROCPRIM_400000_NS6detail17trampoline_kernelINS0_13select_configILj256ELj13ELNS0_17block_load_methodE3ELS4_3ELS4_3ELNS0_20block_scan_algorithmE0ELj4294967295EEENS1_25partition_config_selectorILNS1_17partition_subalgoE4EjNS0_10empty_typeEbEEZZNS1_14partition_implILS8_4ELb0ES6_15HIP_vector_typeIjLj2EENS0_17counting_iteratorIjlEEPS9_SG_NS0_5tupleIJPjSI_NS0_16reverse_iteratorISI_EEEEENSH_IJSG_SG_SG_EEES9_SI_JZNS1_25segmented_radix_sort_implINS0_14default_configELb1EPK12hip_bfloat16PSP_PKlPlN2at6native12_GLOBAL__N_18offset_tEEE10hipError_tPvRmT1_PNSt15iterator_traitsIS13_E10value_typeET2_T3_PNS14_IS19_E10value_typeET4_jRbjT5_S1F_jjP12ihipStream_tbEUljE_ZNSN_ISO_Lb1ESR_SS_SU_SV_SZ_EES10_S11_S12_S13_S17_S18_S19_S1C_S1D_jS1E_jS1F_S1F_jjS1H_bEUljE0_EEES10_S11_S12_S19_S1D_S1F_T6_T7_T9_mT8_S1H_bDpT10_ENKUlT_T0_E_clISt17integral_constantIbLb1EES1U_IbLb0EEEEDaS1Q_S1R_EUlS1Q_E_NS1_11comp_targetILNS1_3genE0ELNS1_11target_archE4294967295ELNS1_3gpuE0ELNS1_3repE0EEENS1_30default_config_static_selectorELNS0_4arch9wavefront6targetE0EEEvS13_.num_named_barrier, 0
	.set _ZN7rocprim17ROCPRIM_400000_NS6detail17trampoline_kernelINS0_13select_configILj256ELj13ELNS0_17block_load_methodE3ELS4_3ELS4_3ELNS0_20block_scan_algorithmE0ELj4294967295EEENS1_25partition_config_selectorILNS1_17partition_subalgoE4EjNS0_10empty_typeEbEEZZNS1_14partition_implILS8_4ELb0ES6_15HIP_vector_typeIjLj2EENS0_17counting_iteratorIjlEEPS9_SG_NS0_5tupleIJPjSI_NS0_16reverse_iteratorISI_EEEEENSH_IJSG_SG_SG_EEES9_SI_JZNS1_25segmented_radix_sort_implINS0_14default_configELb1EPK12hip_bfloat16PSP_PKlPlN2at6native12_GLOBAL__N_18offset_tEEE10hipError_tPvRmT1_PNSt15iterator_traitsIS13_E10value_typeET2_T3_PNS14_IS19_E10value_typeET4_jRbjT5_S1F_jjP12ihipStream_tbEUljE_ZNSN_ISO_Lb1ESR_SS_SU_SV_SZ_EES10_S11_S12_S13_S17_S18_S19_S1C_S1D_jS1E_jS1F_S1F_jjS1H_bEUljE0_EEES10_S11_S12_S19_S1D_S1F_T6_T7_T9_mT8_S1H_bDpT10_ENKUlT_T0_E_clISt17integral_constantIbLb1EES1U_IbLb0EEEEDaS1Q_S1R_EUlS1Q_E_NS1_11comp_targetILNS1_3genE0ELNS1_11target_archE4294967295ELNS1_3gpuE0ELNS1_3repE0EEENS1_30default_config_static_selectorELNS0_4arch9wavefront6targetE0EEEvS13_.private_seg_size, 0
	.set _ZN7rocprim17ROCPRIM_400000_NS6detail17trampoline_kernelINS0_13select_configILj256ELj13ELNS0_17block_load_methodE3ELS4_3ELS4_3ELNS0_20block_scan_algorithmE0ELj4294967295EEENS1_25partition_config_selectorILNS1_17partition_subalgoE4EjNS0_10empty_typeEbEEZZNS1_14partition_implILS8_4ELb0ES6_15HIP_vector_typeIjLj2EENS0_17counting_iteratorIjlEEPS9_SG_NS0_5tupleIJPjSI_NS0_16reverse_iteratorISI_EEEEENSH_IJSG_SG_SG_EEES9_SI_JZNS1_25segmented_radix_sort_implINS0_14default_configELb1EPK12hip_bfloat16PSP_PKlPlN2at6native12_GLOBAL__N_18offset_tEEE10hipError_tPvRmT1_PNSt15iterator_traitsIS13_E10value_typeET2_T3_PNS14_IS19_E10value_typeET4_jRbjT5_S1F_jjP12ihipStream_tbEUljE_ZNSN_ISO_Lb1ESR_SS_SU_SV_SZ_EES10_S11_S12_S13_S17_S18_S19_S1C_S1D_jS1E_jS1F_S1F_jjS1H_bEUljE0_EEES10_S11_S12_S19_S1D_S1F_T6_T7_T9_mT8_S1H_bDpT10_ENKUlT_T0_E_clISt17integral_constantIbLb1EES1U_IbLb0EEEEDaS1Q_S1R_EUlS1Q_E_NS1_11comp_targetILNS1_3genE0ELNS1_11target_archE4294967295ELNS1_3gpuE0ELNS1_3repE0EEENS1_30default_config_static_selectorELNS0_4arch9wavefront6targetE0EEEvS13_.uses_vcc, 0
	.set _ZN7rocprim17ROCPRIM_400000_NS6detail17trampoline_kernelINS0_13select_configILj256ELj13ELNS0_17block_load_methodE3ELS4_3ELS4_3ELNS0_20block_scan_algorithmE0ELj4294967295EEENS1_25partition_config_selectorILNS1_17partition_subalgoE4EjNS0_10empty_typeEbEEZZNS1_14partition_implILS8_4ELb0ES6_15HIP_vector_typeIjLj2EENS0_17counting_iteratorIjlEEPS9_SG_NS0_5tupleIJPjSI_NS0_16reverse_iteratorISI_EEEEENSH_IJSG_SG_SG_EEES9_SI_JZNS1_25segmented_radix_sort_implINS0_14default_configELb1EPK12hip_bfloat16PSP_PKlPlN2at6native12_GLOBAL__N_18offset_tEEE10hipError_tPvRmT1_PNSt15iterator_traitsIS13_E10value_typeET2_T3_PNS14_IS19_E10value_typeET4_jRbjT5_S1F_jjP12ihipStream_tbEUljE_ZNSN_ISO_Lb1ESR_SS_SU_SV_SZ_EES10_S11_S12_S13_S17_S18_S19_S1C_S1D_jS1E_jS1F_S1F_jjS1H_bEUljE0_EEES10_S11_S12_S19_S1D_S1F_T6_T7_T9_mT8_S1H_bDpT10_ENKUlT_T0_E_clISt17integral_constantIbLb1EES1U_IbLb0EEEEDaS1Q_S1R_EUlS1Q_E_NS1_11comp_targetILNS1_3genE0ELNS1_11target_archE4294967295ELNS1_3gpuE0ELNS1_3repE0EEENS1_30default_config_static_selectorELNS0_4arch9wavefront6targetE0EEEvS13_.uses_flat_scratch, 0
	.set _ZN7rocprim17ROCPRIM_400000_NS6detail17trampoline_kernelINS0_13select_configILj256ELj13ELNS0_17block_load_methodE3ELS4_3ELS4_3ELNS0_20block_scan_algorithmE0ELj4294967295EEENS1_25partition_config_selectorILNS1_17partition_subalgoE4EjNS0_10empty_typeEbEEZZNS1_14partition_implILS8_4ELb0ES6_15HIP_vector_typeIjLj2EENS0_17counting_iteratorIjlEEPS9_SG_NS0_5tupleIJPjSI_NS0_16reverse_iteratorISI_EEEEENSH_IJSG_SG_SG_EEES9_SI_JZNS1_25segmented_radix_sort_implINS0_14default_configELb1EPK12hip_bfloat16PSP_PKlPlN2at6native12_GLOBAL__N_18offset_tEEE10hipError_tPvRmT1_PNSt15iterator_traitsIS13_E10value_typeET2_T3_PNS14_IS19_E10value_typeET4_jRbjT5_S1F_jjP12ihipStream_tbEUljE_ZNSN_ISO_Lb1ESR_SS_SU_SV_SZ_EES10_S11_S12_S13_S17_S18_S19_S1C_S1D_jS1E_jS1F_S1F_jjS1H_bEUljE0_EEES10_S11_S12_S19_S1D_S1F_T6_T7_T9_mT8_S1H_bDpT10_ENKUlT_T0_E_clISt17integral_constantIbLb1EES1U_IbLb0EEEEDaS1Q_S1R_EUlS1Q_E_NS1_11comp_targetILNS1_3genE0ELNS1_11target_archE4294967295ELNS1_3gpuE0ELNS1_3repE0EEENS1_30default_config_static_selectorELNS0_4arch9wavefront6targetE0EEEvS13_.has_dyn_sized_stack, 0
	.set _ZN7rocprim17ROCPRIM_400000_NS6detail17trampoline_kernelINS0_13select_configILj256ELj13ELNS0_17block_load_methodE3ELS4_3ELS4_3ELNS0_20block_scan_algorithmE0ELj4294967295EEENS1_25partition_config_selectorILNS1_17partition_subalgoE4EjNS0_10empty_typeEbEEZZNS1_14partition_implILS8_4ELb0ES6_15HIP_vector_typeIjLj2EENS0_17counting_iteratorIjlEEPS9_SG_NS0_5tupleIJPjSI_NS0_16reverse_iteratorISI_EEEEENSH_IJSG_SG_SG_EEES9_SI_JZNS1_25segmented_radix_sort_implINS0_14default_configELb1EPK12hip_bfloat16PSP_PKlPlN2at6native12_GLOBAL__N_18offset_tEEE10hipError_tPvRmT1_PNSt15iterator_traitsIS13_E10value_typeET2_T3_PNS14_IS19_E10value_typeET4_jRbjT5_S1F_jjP12ihipStream_tbEUljE_ZNSN_ISO_Lb1ESR_SS_SU_SV_SZ_EES10_S11_S12_S13_S17_S18_S19_S1C_S1D_jS1E_jS1F_S1F_jjS1H_bEUljE0_EEES10_S11_S12_S19_S1D_S1F_T6_T7_T9_mT8_S1H_bDpT10_ENKUlT_T0_E_clISt17integral_constantIbLb1EES1U_IbLb0EEEEDaS1Q_S1R_EUlS1Q_E_NS1_11comp_targetILNS1_3genE0ELNS1_11target_archE4294967295ELNS1_3gpuE0ELNS1_3repE0EEENS1_30default_config_static_selectorELNS0_4arch9wavefront6targetE0EEEvS13_.has_recursion, 0
	.set _ZN7rocprim17ROCPRIM_400000_NS6detail17trampoline_kernelINS0_13select_configILj256ELj13ELNS0_17block_load_methodE3ELS4_3ELS4_3ELNS0_20block_scan_algorithmE0ELj4294967295EEENS1_25partition_config_selectorILNS1_17partition_subalgoE4EjNS0_10empty_typeEbEEZZNS1_14partition_implILS8_4ELb0ES6_15HIP_vector_typeIjLj2EENS0_17counting_iteratorIjlEEPS9_SG_NS0_5tupleIJPjSI_NS0_16reverse_iteratorISI_EEEEENSH_IJSG_SG_SG_EEES9_SI_JZNS1_25segmented_radix_sort_implINS0_14default_configELb1EPK12hip_bfloat16PSP_PKlPlN2at6native12_GLOBAL__N_18offset_tEEE10hipError_tPvRmT1_PNSt15iterator_traitsIS13_E10value_typeET2_T3_PNS14_IS19_E10value_typeET4_jRbjT5_S1F_jjP12ihipStream_tbEUljE_ZNSN_ISO_Lb1ESR_SS_SU_SV_SZ_EES10_S11_S12_S13_S17_S18_S19_S1C_S1D_jS1E_jS1F_S1F_jjS1H_bEUljE0_EEES10_S11_S12_S19_S1D_S1F_T6_T7_T9_mT8_S1H_bDpT10_ENKUlT_T0_E_clISt17integral_constantIbLb1EES1U_IbLb0EEEEDaS1Q_S1R_EUlS1Q_E_NS1_11comp_targetILNS1_3genE0ELNS1_11target_archE4294967295ELNS1_3gpuE0ELNS1_3repE0EEENS1_30default_config_static_selectorELNS0_4arch9wavefront6targetE0EEEvS13_.has_indirect_call, 0
	.section	.AMDGPU.csdata,"",@progbits
; Kernel info:
; codeLenInByte = 0
; TotalNumSgprs: 0
; NumVgprs: 0
; ScratchSize: 0
; MemoryBound: 0
; FloatMode: 240
; IeeeMode: 1
; LDSByteSize: 0 bytes/workgroup (compile time only)
; SGPRBlocks: 0
; VGPRBlocks: 0
; NumSGPRsForWavesPerEU: 1
; NumVGPRsForWavesPerEU: 1
; Occupancy: 16
; WaveLimiterHint : 0
; COMPUTE_PGM_RSRC2:SCRATCH_EN: 0
; COMPUTE_PGM_RSRC2:USER_SGPR: 6
; COMPUTE_PGM_RSRC2:TRAP_HANDLER: 0
; COMPUTE_PGM_RSRC2:TGID_X_EN: 1
; COMPUTE_PGM_RSRC2:TGID_Y_EN: 0
; COMPUTE_PGM_RSRC2:TGID_Z_EN: 0
; COMPUTE_PGM_RSRC2:TIDIG_COMP_CNT: 0
	.section	.text._ZN7rocprim17ROCPRIM_400000_NS6detail17trampoline_kernelINS0_13select_configILj256ELj13ELNS0_17block_load_methodE3ELS4_3ELS4_3ELNS0_20block_scan_algorithmE0ELj4294967295EEENS1_25partition_config_selectorILNS1_17partition_subalgoE4EjNS0_10empty_typeEbEEZZNS1_14partition_implILS8_4ELb0ES6_15HIP_vector_typeIjLj2EENS0_17counting_iteratorIjlEEPS9_SG_NS0_5tupleIJPjSI_NS0_16reverse_iteratorISI_EEEEENSH_IJSG_SG_SG_EEES9_SI_JZNS1_25segmented_radix_sort_implINS0_14default_configELb1EPK12hip_bfloat16PSP_PKlPlN2at6native12_GLOBAL__N_18offset_tEEE10hipError_tPvRmT1_PNSt15iterator_traitsIS13_E10value_typeET2_T3_PNS14_IS19_E10value_typeET4_jRbjT5_S1F_jjP12ihipStream_tbEUljE_ZNSN_ISO_Lb1ESR_SS_SU_SV_SZ_EES10_S11_S12_S13_S17_S18_S19_S1C_S1D_jS1E_jS1F_S1F_jjS1H_bEUljE0_EEES10_S11_S12_S19_S1D_S1F_T6_T7_T9_mT8_S1H_bDpT10_ENKUlT_T0_E_clISt17integral_constantIbLb1EES1U_IbLb0EEEEDaS1Q_S1R_EUlS1Q_E_NS1_11comp_targetILNS1_3genE5ELNS1_11target_archE942ELNS1_3gpuE9ELNS1_3repE0EEENS1_30default_config_static_selectorELNS0_4arch9wavefront6targetE0EEEvS13_,"axG",@progbits,_ZN7rocprim17ROCPRIM_400000_NS6detail17trampoline_kernelINS0_13select_configILj256ELj13ELNS0_17block_load_methodE3ELS4_3ELS4_3ELNS0_20block_scan_algorithmE0ELj4294967295EEENS1_25partition_config_selectorILNS1_17partition_subalgoE4EjNS0_10empty_typeEbEEZZNS1_14partition_implILS8_4ELb0ES6_15HIP_vector_typeIjLj2EENS0_17counting_iteratorIjlEEPS9_SG_NS0_5tupleIJPjSI_NS0_16reverse_iteratorISI_EEEEENSH_IJSG_SG_SG_EEES9_SI_JZNS1_25segmented_radix_sort_implINS0_14default_configELb1EPK12hip_bfloat16PSP_PKlPlN2at6native12_GLOBAL__N_18offset_tEEE10hipError_tPvRmT1_PNSt15iterator_traitsIS13_E10value_typeET2_T3_PNS14_IS19_E10value_typeET4_jRbjT5_S1F_jjP12ihipStream_tbEUljE_ZNSN_ISO_Lb1ESR_SS_SU_SV_SZ_EES10_S11_S12_S13_S17_S18_S19_S1C_S1D_jS1E_jS1F_S1F_jjS1H_bEUljE0_EEES10_S11_S12_S19_S1D_S1F_T6_T7_T9_mT8_S1H_bDpT10_ENKUlT_T0_E_clISt17integral_constantIbLb1EES1U_IbLb0EEEEDaS1Q_S1R_EUlS1Q_E_NS1_11comp_targetILNS1_3genE5ELNS1_11target_archE942ELNS1_3gpuE9ELNS1_3repE0EEENS1_30default_config_static_selectorELNS0_4arch9wavefront6targetE0EEEvS13_,comdat
	.globl	_ZN7rocprim17ROCPRIM_400000_NS6detail17trampoline_kernelINS0_13select_configILj256ELj13ELNS0_17block_load_methodE3ELS4_3ELS4_3ELNS0_20block_scan_algorithmE0ELj4294967295EEENS1_25partition_config_selectorILNS1_17partition_subalgoE4EjNS0_10empty_typeEbEEZZNS1_14partition_implILS8_4ELb0ES6_15HIP_vector_typeIjLj2EENS0_17counting_iteratorIjlEEPS9_SG_NS0_5tupleIJPjSI_NS0_16reverse_iteratorISI_EEEEENSH_IJSG_SG_SG_EEES9_SI_JZNS1_25segmented_radix_sort_implINS0_14default_configELb1EPK12hip_bfloat16PSP_PKlPlN2at6native12_GLOBAL__N_18offset_tEEE10hipError_tPvRmT1_PNSt15iterator_traitsIS13_E10value_typeET2_T3_PNS14_IS19_E10value_typeET4_jRbjT5_S1F_jjP12ihipStream_tbEUljE_ZNSN_ISO_Lb1ESR_SS_SU_SV_SZ_EES10_S11_S12_S13_S17_S18_S19_S1C_S1D_jS1E_jS1F_S1F_jjS1H_bEUljE0_EEES10_S11_S12_S19_S1D_S1F_T6_T7_T9_mT8_S1H_bDpT10_ENKUlT_T0_E_clISt17integral_constantIbLb1EES1U_IbLb0EEEEDaS1Q_S1R_EUlS1Q_E_NS1_11comp_targetILNS1_3genE5ELNS1_11target_archE942ELNS1_3gpuE9ELNS1_3repE0EEENS1_30default_config_static_selectorELNS0_4arch9wavefront6targetE0EEEvS13_ ; -- Begin function _ZN7rocprim17ROCPRIM_400000_NS6detail17trampoline_kernelINS0_13select_configILj256ELj13ELNS0_17block_load_methodE3ELS4_3ELS4_3ELNS0_20block_scan_algorithmE0ELj4294967295EEENS1_25partition_config_selectorILNS1_17partition_subalgoE4EjNS0_10empty_typeEbEEZZNS1_14partition_implILS8_4ELb0ES6_15HIP_vector_typeIjLj2EENS0_17counting_iteratorIjlEEPS9_SG_NS0_5tupleIJPjSI_NS0_16reverse_iteratorISI_EEEEENSH_IJSG_SG_SG_EEES9_SI_JZNS1_25segmented_radix_sort_implINS0_14default_configELb1EPK12hip_bfloat16PSP_PKlPlN2at6native12_GLOBAL__N_18offset_tEEE10hipError_tPvRmT1_PNSt15iterator_traitsIS13_E10value_typeET2_T3_PNS14_IS19_E10value_typeET4_jRbjT5_S1F_jjP12ihipStream_tbEUljE_ZNSN_ISO_Lb1ESR_SS_SU_SV_SZ_EES10_S11_S12_S13_S17_S18_S19_S1C_S1D_jS1E_jS1F_S1F_jjS1H_bEUljE0_EEES10_S11_S12_S19_S1D_S1F_T6_T7_T9_mT8_S1H_bDpT10_ENKUlT_T0_E_clISt17integral_constantIbLb1EES1U_IbLb0EEEEDaS1Q_S1R_EUlS1Q_E_NS1_11comp_targetILNS1_3genE5ELNS1_11target_archE942ELNS1_3gpuE9ELNS1_3repE0EEENS1_30default_config_static_selectorELNS0_4arch9wavefront6targetE0EEEvS13_
	.p2align	8
	.type	_ZN7rocprim17ROCPRIM_400000_NS6detail17trampoline_kernelINS0_13select_configILj256ELj13ELNS0_17block_load_methodE3ELS4_3ELS4_3ELNS0_20block_scan_algorithmE0ELj4294967295EEENS1_25partition_config_selectorILNS1_17partition_subalgoE4EjNS0_10empty_typeEbEEZZNS1_14partition_implILS8_4ELb0ES6_15HIP_vector_typeIjLj2EENS0_17counting_iteratorIjlEEPS9_SG_NS0_5tupleIJPjSI_NS0_16reverse_iteratorISI_EEEEENSH_IJSG_SG_SG_EEES9_SI_JZNS1_25segmented_radix_sort_implINS0_14default_configELb1EPK12hip_bfloat16PSP_PKlPlN2at6native12_GLOBAL__N_18offset_tEEE10hipError_tPvRmT1_PNSt15iterator_traitsIS13_E10value_typeET2_T3_PNS14_IS19_E10value_typeET4_jRbjT5_S1F_jjP12ihipStream_tbEUljE_ZNSN_ISO_Lb1ESR_SS_SU_SV_SZ_EES10_S11_S12_S13_S17_S18_S19_S1C_S1D_jS1E_jS1F_S1F_jjS1H_bEUljE0_EEES10_S11_S12_S19_S1D_S1F_T6_T7_T9_mT8_S1H_bDpT10_ENKUlT_T0_E_clISt17integral_constantIbLb1EES1U_IbLb0EEEEDaS1Q_S1R_EUlS1Q_E_NS1_11comp_targetILNS1_3genE5ELNS1_11target_archE942ELNS1_3gpuE9ELNS1_3repE0EEENS1_30default_config_static_selectorELNS0_4arch9wavefront6targetE0EEEvS13_,@function
_ZN7rocprim17ROCPRIM_400000_NS6detail17trampoline_kernelINS0_13select_configILj256ELj13ELNS0_17block_load_methodE3ELS4_3ELS4_3ELNS0_20block_scan_algorithmE0ELj4294967295EEENS1_25partition_config_selectorILNS1_17partition_subalgoE4EjNS0_10empty_typeEbEEZZNS1_14partition_implILS8_4ELb0ES6_15HIP_vector_typeIjLj2EENS0_17counting_iteratorIjlEEPS9_SG_NS0_5tupleIJPjSI_NS0_16reverse_iteratorISI_EEEEENSH_IJSG_SG_SG_EEES9_SI_JZNS1_25segmented_radix_sort_implINS0_14default_configELb1EPK12hip_bfloat16PSP_PKlPlN2at6native12_GLOBAL__N_18offset_tEEE10hipError_tPvRmT1_PNSt15iterator_traitsIS13_E10value_typeET2_T3_PNS14_IS19_E10value_typeET4_jRbjT5_S1F_jjP12ihipStream_tbEUljE_ZNSN_ISO_Lb1ESR_SS_SU_SV_SZ_EES10_S11_S12_S13_S17_S18_S19_S1C_S1D_jS1E_jS1F_S1F_jjS1H_bEUljE0_EEES10_S11_S12_S19_S1D_S1F_T6_T7_T9_mT8_S1H_bDpT10_ENKUlT_T0_E_clISt17integral_constantIbLb1EES1U_IbLb0EEEEDaS1Q_S1R_EUlS1Q_E_NS1_11comp_targetILNS1_3genE5ELNS1_11target_archE942ELNS1_3gpuE9ELNS1_3repE0EEENS1_30default_config_static_selectorELNS0_4arch9wavefront6targetE0EEEvS13_: ; @_ZN7rocprim17ROCPRIM_400000_NS6detail17trampoline_kernelINS0_13select_configILj256ELj13ELNS0_17block_load_methodE3ELS4_3ELS4_3ELNS0_20block_scan_algorithmE0ELj4294967295EEENS1_25partition_config_selectorILNS1_17partition_subalgoE4EjNS0_10empty_typeEbEEZZNS1_14partition_implILS8_4ELb0ES6_15HIP_vector_typeIjLj2EENS0_17counting_iteratorIjlEEPS9_SG_NS0_5tupleIJPjSI_NS0_16reverse_iteratorISI_EEEEENSH_IJSG_SG_SG_EEES9_SI_JZNS1_25segmented_radix_sort_implINS0_14default_configELb1EPK12hip_bfloat16PSP_PKlPlN2at6native12_GLOBAL__N_18offset_tEEE10hipError_tPvRmT1_PNSt15iterator_traitsIS13_E10value_typeET2_T3_PNS14_IS19_E10value_typeET4_jRbjT5_S1F_jjP12ihipStream_tbEUljE_ZNSN_ISO_Lb1ESR_SS_SU_SV_SZ_EES10_S11_S12_S13_S17_S18_S19_S1C_S1D_jS1E_jS1F_S1F_jjS1H_bEUljE0_EEES10_S11_S12_S19_S1D_S1F_T6_T7_T9_mT8_S1H_bDpT10_ENKUlT_T0_E_clISt17integral_constantIbLb1EES1U_IbLb0EEEEDaS1Q_S1R_EUlS1Q_E_NS1_11comp_targetILNS1_3genE5ELNS1_11target_archE942ELNS1_3gpuE9ELNS1_3repE0EEENS1_30default_config_static_selectorELNS0_4arch9wavefront6targetE0EEEvS13_
; %bb.0:
	.section	.rodata,"a",@progbits
	.p2align	6, 0x0
	.amdhsa_kernel _ZN7rocprim17ROCPRIM_400000_NS6detail17trampoline_kernelINS0_13select_configILj256ELj13ELNS0_17block_load_methodE3ELS4_3ELS4_3ELNS0_20block_scan_algorithmE0ELj4294967295EEENS1_25partition_config_selectorILNS1_17partition_subalgoE4EjNS0_10empty_typeEbEEZZNS1_14partition_implILS8_4ELb0ES6_15HIP_vector_typeIjLj2EENS0_17counting_iteratorIjlEEPS9_SG_NS0_5tupleIJPjSI_NS0_16reverse_iteratorISI_EEEEENSH_IJSG_SG_SG_EEES9_SI_JZNS1_25segmented_radix_sort_implINS0_14default_configELb1EPK12hip_bfloat16PSP_PKlPlN2at6native12_GLOBAL__N_18offset_tEEE10hipError_tPvRmT1_PNSt15iterator_traitsIS13_E10value_typeET2_T3_PNS14_IS19_E10value_typeET4_jRbjT5_S1F_jjP12ihipStream_tbEUljE_ZNSN_ISO_Lb1ESR_SS_SU_SV_SZ_EES10_S11_S12_S13_S17_S18_S19_S1C_S1D_jS1E_jS1F_S1F_jjS1H_bEUljE0_EEES10_S11_S12_S19_S1D_S1F_T6_T7_T9_mT8_S1H_bDpT10_ENKUlT_T0_E_clISt17integral_constantIbLb1EES1U_IbLb0EEEEDaS1Q_S1R_EUlS1Q_E_NS1_11comp_targetILNS1_3genE5ELNS1_11target_archE942ELNS1_3gpuE9ELNS1_3repE0EEENS1_30default_config_static_selectorELNS0_4arch9wavefront6targetE0EEEvS13_
		.amdhsa_group_segment_fixed_size 0
		.amdhsa_private_segment_fixed_size 0
		.amdhsa_kernarg_size 176
		.amdhsa_user_sgpr_count 6
		.amdhsa_user_sgpr_private_segment_buffer 1
		.amdhsa_user_sgpr_dispatch_ptr 0
		.amdhsa_user_sgpr_queue_ptr 0
		.amdhsa_user_sgpr_kernarg_segment_ptr 1
		.amdhsa_user_sgpr_dispatch_id 0
		.amdhsa_user_sgpr_flat_scratch_init 0
		.amdhsa_user_sgpr_private_segment_size 0
		.amdhsa_wavefront_size32 1
		.amdhsa_uses_dynamic_stack 0
		.amdhsa_system_sgpr_private_segment_wavefront_offset 0
		.amdhsa_system_sgpr_workgroup_id_x 1
		.amdhsa_system_sgpr_workgroup_id_y 0
		.amdhsa_system_sgpr_workgroup_id_z 0
		.amdhsa_system_sgpr_workgroup_info 0
		.amdhsa_system_vgpr_workitem_id 0
		.amdhsa_next_free_vgpr 1
		.amdhsa_next_free_sgpr 1
		.amdhsa_reserve_vcc 0
		.amdhsa_reserve_flat_scratch 0
		.amdhsa_float_round_mode_32 0
		.amdhsa_float_round_mode_16_64 0
		.amdhsa_float_denorm_mode_32 3
		.amdhsa_float_denorm_mode_16_64 3
		.amdhsa_dx10_clamp 1
		.amdhsa_ieee_mode 1
		.amdhsa_fp16_overflow 0
		.amdhsa_workgroup_processor_mode 1
		.amdhsa_memory_ordered 1
		.amdhsa_forward_progress 1
		.amdhsa_shared_vgpr_count 0
		.amdhsa_exception_fp_ieee_invalid_op 0
		.amdhsa_exception_fp_denorm_src 0
		.amdhsa_exception_fp_ieee_div_zero 0
		.amdhsa_exception_fp_ieee_overflow 0
		.amdhsa_exception_fp_ieee_underflow 0
		.amdhsa_exception_fp_ieee_inexact 0
		.amdhsa_exception_int_div_zero 0
	.end_amdhsa_kernel
	.section	.text._ZN7rocprim17ROCPRIM_400000_NS6detail17trampoline_kernelINS0_13select_configILj256ELj13ELNS0_17block_load_methodE3ELS4_3ELS4_3ELNS0_20block_scan_algorithmE0ELj4294967295EEENS1_25partition_config_selectorILNS1_17partition_subalgoE4EjNS0_10empty_typeEbEEZZNS1_14partition_implILS8_4ELb0ES6_15HIP_vector_typeIjLj2EENS0_17counting_iteratorIjlEEPS9_SG_NS0_5tupleIJPjSI_NS0_16reverse_iteratorISI_EEEEENSH_IJSG_SG_SG_EEES9_SI_JZNS1_25segmented_radix_sort_implINS0_14default_configELb1EPK12hip_bfloat16PSP_PKlPlN2at6native12_GLOBAL__N_18offset_tEEE10hipError_tPvRmT1_PNSt15iterator_traitsIS13_E10value_typeET2_T3_PNS14_IS19_E10value_typeET4_jRbjT5_S1F_jjP12ihipStream_tbEUljE_ZNSN_ISO_Lb1ESR_SS_SU_SV_SZ_EES10_S11_S12_S13_S17_S18_S19_S1C_S1D_jS1E_jS1F_S1F_jjS1H_bEUljE0_EEES10_S11_S12_S19_S1D_S1F_T6_T7_T9_mT8_S1H_bDpT10_ENKUlT_T0_E_clISt17integral_constantIbLb1EES1U_IbLb0EEEEDaS1Q_S1R_EUlS1Q_E_NS1_11comp_targetILNS1_3genE5ELNS1_11target_archE942ELNS1_3gpuE9ELNS1_3repE0EEENS1_30default_config_static_selectorELNS0_4arch9wavefront6targetE0EEEvS13_,"axG",@progbits,_ZN7rocprim17ROCPRIM_400000_NS6detail17trampoline_kernelINS0_13select_configILj256ELj13ELNS0_17block_load_methodE3ELS4_3ELS4_3ELNS0_20block_scan_algorithmE0ELj4294967295EEENS1_25partition_config_selectorILNS1_17partition_subalgoE4EjNS0_10empty_typeEbEEZZNS1_14partition_implILS8_4ELb0ES6_15HIP_vector_typeIjLj2EENS0_17counting_iteratorIjlEEPS9_SG_NS0_5tupleIJPjSI_NS0_16reverse_iteratorISI_EEEEENSH_IJSG_SG_SG_EEES9_SI_JZNS1_25segmented_radix_sort_implINS0_14default_configELb1EPK12hip_bfloat16PSP_PKlPlN2at6native12_GLOBAL__N_18offset_tEEE10hipError_tPvRmT1_PNSt15iterator_traitsIS13_E10value_typeET2_T3_PNS14_IS19_E10value_typeET4_jRbjT5_S1F_jjP12ihipStream_tbEUljE_ZNSN_ISO_Lb1ESR_SS_SU_SV_SZ_EES10_S11_S12_S13_S17_S18_S19_S1C_S1D_jS1E_jS1F_S1F_jjS1H_bEUljE0_EEES10_S11_S12_S19_S1D_S1F_T6_T7_T9_mT8_S1H_bDpT10_ENKUlT_T0_E_clISt17integral_constantIbLb1EES1U_IbLb0EEEEDaS1Q_S1R_EUlS1Q_E_NS1_11comp_targetILNS1_3genE5ELNS1_11target_archE942ELNS1_3gpuE9ELNS1_3repE0EEENS1_30default_config_static_selectorELNS0_4arch9wavefront6targetE0EEEvS13_,comdat
.Lfunc_end1889:
	.size	_ZN7rocprim17ROCPRIM_400000_NS6detail17trampoline_kernelINS0_13select_configILj256ELj13ELNS0_17block_load_methodE3ELS4_3ELS4_3ELNS0_20block_scan_algorithmE0ELj4294967295EEENS1_25partition_config_selectorILNS1_17partition_subalgoE4EjNS0_10empty_typeEbEEZZNS1_14partition_implILS8_4ELb0ES6_15HIP_vector_typeIjLj2EENS0_17counting_iteratorIjlEEPS9_SG_NS0_5tupleIJPjSI_NS0_16reverse_iteratorISI_EEEEENSH_IJSG_SG_SG_EEES9_SI_JZNS1_25segmented_radix_sort_implINS0_14default_configELb1EPK12hip_bfloat16PSP_PKlPlN2at6native12_GLOBAL__N_18offset_tEEE10hipError_tPvRmT1_PNSt15iterator_traitsIS13_E10value_typeET2_T3_PNS14_IS19_E10value_typeET4_jRbjT5_S1F_jjP12ihipStream_tbEUljE_ZNSN_ISO_Lb1ESR_SS_SU_SV_SZ_EES10_S11_S12_S13_S17_S18_S19_S1C_S1D_jS1E_jS1F_S1F_jjS1H_bEUljE0_EEES10_S11_S12_S19_S1D_S1F_T6_T7_T9_mT8_S1H_bDpT10_ENKUlT_T0_E_clISt17integral_constantIbLb1EES1U_IbLb0EEEEDaS1Q_S1R_EUlS1Q_E_NS1_11comp_targetILNS1_3genE5ELNS1_11target_archE942ELNS1_3gpuE9ELNS1_3repE0EEENS1_30default_config_static_selectorELNS0_4arch9wavefront6targetE0EEEvS13_, .Lfunc_end1889-_ZN7rocprim17ROCPRIM_400000_NS6detail17trampoline_kernelINS0_13select_configILj256ELj13ELNS0_17block_load_methodE3ELS4_3ELS4_3ELNS0_20block_scan_algorithmE0ELj4294967295EEENS1_25partition_config_selectorILNS1_17partition_subalgoE4EjNS0_10empty_typeEbEEZZNS1_14partition_implILS8_4ELb0ES6_15HIP_vector_typeIjLj2EENS0_17counting_iteratorIjlEEPS9_SG_NS0_5tupleIJPjSI_NS0_16reverse_iteratorISI_EEEEENSH_IJSG_SG_SG_EEES9_SI_JZNS1_25segmented_radix_sort_implINS0_14default_configELb1EPK12hip_bfloat16PSP_PKlPlN2at6native12_GLOBAL__N_18offset_tEEE10hipError_tPvRmT1_PNSt15iterator_traitsIS13_E10value_typeET2_T3_PNS14_IS19_E10value_typeET4_jRbjT5_S1F_jjP12ihipStream_tbEUljE_ZNSN_ISO_Lb1ESR_SS_SU_SV_SZ_EES10_S11_S12_S13_S17_S18_S19_S1C_S1D_jS1E_jS1F_S1F_jjS1H_bEUljE0_EEES10_S11_S12_S19_S1D_S1F_T6_T7_T9_mT8_S1H_bDpT10_ENKUlT_T0_E_clISt17integral_constantIbLb1EES1U_IbLb0EEEEDaS1Q_S1R_EUlS1Q_E_NS1_11comp_targetILNS1_3genE5ELNS1_11target_archE942ELNS1_3gpuE9ELNS1_3repE0EEENS1_30default_config_static_selectorELNS0_4arch9wavefront6targetE0EEEvS13_
                                        ; -- End function
	.set _ZN7rocprim17ROCPRIM_400000_NS6detail17trampoline_kernelINS0_13select_configILj256ELj13ELNS0_17block_load_methodE3ELS4_3ELS4_3ELNS0_20block_scan_algorithmE0ELj4294967295EEENS1_25partition_config_selectorILNS1_17partition_subalgoE4EjNS0_10empty_typeEbEEZZNS1_14partition_implILS8_4ELb0ES6_15HIP_vector_typeIjLj2EENS0_17counting_iteratorIjlEEPS9_SG_NS0_5tupleIJPjSI_NS0_16reverse_iteratorISI_EEEEENSH_IJSG_SG_SG_EEES9_SI_JZNS1_25segmented_radix_sort_implINS0_14default_configELb1EPK12hip_bfloat16PSP_PKlPlN2at6native12_GLOBAL__N_18offset_tEEE10hipError_tPvRmT1_PNSt15iterator_traitsIS13_E10value_typeET2_T3_PNS14_IS19_E10value_typeET4_jRbjT5_S1F_jjP12ihipStream_tbEUljE_ZNSN_ISO_Lb1ESR_SS_SU_SV_SZ_EES10_S11_S12_S13_S17_S18_S19_S1C_S1D_jS1E_jS1F_S1F_jjS1H_bEUljE0_EEES10_S11_S12_S19_S1D_S1F_T6_T7_T9_mT8_S1H_bDpT10_ENKUlT_T0_E_clISt17integral_constantIbLb1EES1U_IbLb0EEEEDaS1Q_S1R_EUlS1Q_E_NS1_11comp_targetILNS1_3genE5ELNS1_11target_archE942ELNS1_3gpuE9ELNS1_3repE0EEENS1_30default_config_static_selectorELNS0_4arch9wavefront6targetE0EEEvS13_.num_vgpr, 0
	.set _ZN7rocprim17ROCPRIM_400000_NS6detail17trampoline_kernelINS0_13select_configILj256ELj13ELNS0_17block_load_methodE3ELS4_3ELS4_3ELNS0_20block_scan_algorithmE0ELj4294967295EEENS1_25partition_config_selectorILNS1_17partition_subalgoE4EjNS0_10empty_typeEbEEZZNS1_14partition_implILS8_4ELb0ES6_15HIP_vector_typeIjLj2EENS0_17counting_iteratorIjlEEPS9_SG_NS0_5tupleIJPjSI_NS0_16reverse_iteratorISI_EEEEENSH_IJSG_SG_SG_EEES9_SI_JZNS1_25segmented_radix_sort_implINS0_14default_configELb1EPK12hip_bfloat16PSP_PKlPlN2at6native12_GLOBAL__N_18offset_tEEE10hipError_tPvRmT1_PNSt15iterator_traitsIS13_E10value_typeET2_T3_PNS14_IS19_E10value_typeET4_jRbjT5_S1F_jjP12ihipStream_tbEUljE_ZNSN_ISO_Lb1ESR_SS_SU_SV_SZ_EES10_S11_S12_S13_S17_S18_S19_S1C_S1D_jS1E_jS1F_S1F_jjS1H_bEUljE0_EEES10_S11_S12_S19_S1D_S1F_T6_T7_T9_mT8_S1H_bDpT10_ENKUlT_T0_E_clISt17integral_constantIbLb1EES1U_IbLb0EEEEDaS1Q_S1R_EUlS1Q_E_NS1_11comp_targetILNS1_3genE5ELNS1_11target_archE942ELNS1_3gpuE9ELNS1_3repE0EEENS1_30default_config_static_selectorELNS0_4arch9wavefront6targetE0EEEvS13_.num_agpr, 0
	.set _ZN7rocprim17ROCPRIM_400000_NS6detail17trampoline_kernelINS0_13select_configILj256ELj13ELNS0_17block_load_methodE3ELS4_3ELS4_3ELNS0_20block_scan_algorithmE0ELj4294967295EEENS1_25partition_config_selectorILNS1_17partition_subalgoE4EjNS0_10empty_typeEbEEZZNS1_14partition_implILS8_4ELb0ES6_15HIP_vector_typeIjLj2EENS0_17counting_iteratorIjlEEPS9_SG_NS0_5tupleIJPjSI_NS0_16reverse_iteratorISI_EEEEENSH_IJSG_SG_SG_EEES9_SI_JZNS1_25segmented_radix_sort_implINS0_14default_configELb1EPK12hip_bfloat16PSP_PKlPlN2at6native12_GLOBAL__N_18offset_tEEE10hipError_tPvRmT1_PNSt15iterator_traitsIS13_E10value_typeET2_T3_PNS14_IS19_E10value_typeET4_jRbjT5_S1F_jjP12ihipStream_tbEUljE_ZNSN_ISO_Lb1ESR_SS_SU_SV_SZ_EES10_S11_S12_S13_S17_S18_S19_S1C_S1D_jS1E_jS1F_S1F_jjS1H_bEUljE0_EEES10_S11_S12_S19_S1D_S1F_T6_T7_T9_mT8_S1H_bDpT10_ENKUlT_T0_E_clISt17integral_constantIbLb1EES1U_IbLb0EEEEDaS1Q_S1R_EUlS1Q_E_NS1_11comp_targetILNS1_3genE5ELNS1_11target_archE942ELNS1_3gpuE9ELNS1_3repE0EEENS1_30default_config_static_selectorELNS0_4arch9wavefront6targetE0EEEvS13_.numbered_sgpr, 0
	.set _ZN7rocprim17ROCPRIM_400000_NS6detail17trampoline_kernelINS0_13select_configILj256ELj13ELNS0_17block_load_methodE3ELS4_3ELS4_3ELNS0_20block_scan_algorithmE0ELj4294967295EEENS1_25partition_config_selectorILNS1_17partition_subalgoE4EjNS0_10empty_typeEbEEZZNS1_14partition_implILS8_4ELb0ES6_15HIP_vector_typeIjLj2EENS0_17counting_iteratorIjlEEPS9_SG_NS0_5tupleIJPjSI_NS0_16reverse_iteratorISI_EEEEENSH_IJSG_SG_SG_EEES9_SI_JZNS1_25segmented_radix_sort_implINS0_14default_configELb1EPK12hip_bfloat16PSP_PKlPlN2at6native12_GLOBAL__N_18offset_tEEE10hipError_tPvRmT1_PNSt15iterator_traitsIS13_E10value_typeET2_T3_PNS14_IS19_E10value_typeET4_jRbjT5_S1F_jjP12ihipStream_tbEUljE_ZNSN_ISO_Lb1ESR_SS_SU_SV_SZ_EES10_S11_S12_S13_S17_S18_S19_S1C_S1D_jS1E_jS1F_S1F_jjS1H_bEUljE0_EEES10_S11_S12_S19_S1D_S1F_T6_T7_T9_mT8_S1H_bDpT10_ENKUlT_T0_E_clISt17integral_constantIbLb1EES1U_IbLb0EEEEDaS1Q_S1R_EUlS1Q_E_NS1_11comp_targetILNS1_3genE5ELNS1_11target_archE942ELNS1_3gpuE9ELNS1_3repE0EEENS1_30default_config_static_selectorELNS0_4arch9wavefront6targetE0EEEvS13_.num_named_barrier, 0
	.set _ZN7rocprim17ROCPRIM_400000_NS6detail17trampoline_kernelINS0_13select_configILj256ELj13ELNS0_17block_load_methodE3ELS4_3ELS4_3ELNS0_20block_scan_algorithmE0ELj4294967295EEENS1_25partition_config_selectorILNS1_17partition_subalgoE4EjNS0_10empty_typeEbEEZZNS1_14partition_implILS8_4ELb0ES6_15HIP_vector_typeIjLj2EENS0_17counting_iteratorIjlEEPS9_SG_NS0_5tupleIJPjSI_NS0_16reverse_iteratorISI_EEEEENSH_IJSG_SG_SG_EEES9_SI_JZNS1_25segmented_radix_sort_implINS0_14default_configELb1EPK12hip_bfloat16PSP_PKlPlN2at6native12_GLOBAL__N_18offset_tEEE10hipError_tPvRmT1_PNSt15iterator_traitsIS13_E10value_typeET2_T3_PNS14_IS19_E10value_typeET4_jRbjT5_S1F_jjP12ihipStream_tbEUljE_ZNSN_ISO_Lb1ESR_SS_SU_SV_SZ_EES10_S11_S12_S13_S17_S18_S19_S1C_S1D_jS1E_jS1F_S1F_jjS1H_bEUljE0_EEES10_S11_S12_S19_S1D_S1F_T6_T7_T9_mT8_S1H_bDpT10_ENKUlT_T0_E_clISt17integral_constantIbLb1EES1U_IbLb0EEEEDaS1Q_S1R_EUlS1Q_E_NS1_11comp_targetILNS1_3genE5ELNS1_11target_archE942ELNS1_3gpuE9ELNS1_3repE0EEENS1_30default_config_static_selectorELNS0_4arch9wavefront6targetE0EEEvS13_.private_seg_size, 0
	.set _ZN7rocprim17ROCPRIM_400000_NS6detail17trampoline_kernelINS0_13select_configILj256ELj13ELNS0_17block_load_methodE3ELS4_3ELS4_3ELNS0_20block_scan_algorithmE0ELj4294967295EEENS1_25partition_config_selectorILNS1_17partition_subalgoE4EjNS0_10empty_typeEbEEZZNS1_14partition_implILS8_4ELb0ES6_15HIP_vector_typeIjLj2EENS0_17counting_iteratorIjlEEPS9_SG_NS0_5tupleIJPjSI_NS0_16reverse_iteratorISI_EEEEENSH_IJSG_SG_SG_EEES9_SI_JZNS1_25segmented_radix_sort_implINS0_14default_configELb1EPK12hip_bfloat16PSP_PKlPlN2at6native12_GLOBAL__N_18offset_tEEE10hipError_tPvRmT1_PNSt15iterator_traitsIS13_E10value_typeET2_T3_PNS14_IS19_E10value_typeET4_jRbjT5_S1F_jjP12ihipStream_tbEUljE_ZNSN_ISO_Lb1ESR_SS_SU_SV_SZ_EES10_S11_S12_S13_S17_S18_S19_S1C_S1D_jS1E_jS1F_S1F_jjS1H_bEUljE0_EEES10_S11_S12_S19_S1D_S1F_T6_T7_T9_mT8_S1H_bDpT10_ENKUlT_T0_E_clISt17integral_constantIbLb1EES1U_IbLb0EEEEDaS1Q_S1R_EUlS1Q_E_NS1_11comp_targetILNS1_3genE5ELNS1_11target_archE942ELNS1_3gpuE9ELNS1_3repE0EEENS1_30default_config_static_selectorELNS0_4arch9wavefront6targetE0EEEvS13_.uses_vcc, 0
	.set _ZN7rocprim17ROCPRIM_400000_NS6detail17trampoline_kernelINS0_13select_configILj256ELj13ELNS0_17block_load_methodE3ELS4_3ELS4_3ELNS0_20block_scan_algorithmE0ELj4294967295EEENS1_25partition_config_selectorILNS1_17partition_subalgoE4EjNS0_10empty_typeEbEEZZNS1_14partition_implILS8_4ELb0ES6_15HIP_vector_typeIjLj2EENS0_17counting_iteratorIjlEEPS9_SG_NS0_5tupleIJPjSI_NS0_16reverse_iteratorISI_EEEEENSH_IJSG_SG_SG_EEES9_SI_JZNS1_25segmented_radix_sort_implINS0_14default_configELb1EPK12hip_bfloat16PSP_PKlPlN2at6native12_GLOBAL__N_18offset_tEEE10hipError_tPvRmT1_PNSt15iterator_traitsIS13_E10value_typeET2_T3_PNS14_IS19_E10value_typeET4_jRbjT5_S1F_jjP12ihipStream_tbEUljE_ZNSN_ISO_Lb1ESR_SS_SU_SV_SZ_EES10_S11_S12_S13_S17_S18_S19_S1C_S1D_jS1E_jS1F_S1F_jjS1H_bEUljE0_EEES10_S11_S12_S19_S1D_S1F_T6_T7_T9_mT8_S1H_bDpT10_ENKUlT_T0_E_clISt17integral_constantIbLb1EES1U_IbLb0EEEEDaS1Q_S1R_EUlS1Q_E_NS1_11comp_targetILNS1_3genE5ELNS1_11target_archE942ELNS1_3gpuE9ELNS1_3repE0EEENS1_30default_config_static_selectorELNS0_4arch9wavefront6targetE0EEEvS13_.uses_flat_scratch, 0
	.set _ZN7rocprim17ROCPRIM_400000_NS6detail17trampoline_kernelINS0_13select_configILj256ELj13ELNS0_17block_load_methodE3ELS4_3ELS4_3ELNS0_20block_scan_algorithmE0ELj4294967295EEENS1_25partition_config_selectorILNS1_17partition_subalgoE4EjNS0_10empty_typeEbEEZZNS1_14partition_implILS8_4ELb0ES6_15HIP_vector_typeIjLj2EENS0_17counting_iteratorIjlEEPS9_SG_NS0_5tupleIJPjSI_NS0_16reverse_iteratorISI_EEEEENSH_IJSG_SG_SG_EEES9_SI_JZNS1_25segmented_radix_sort_implINS0_14default_configELb1EPK12hip_bfloat16PSP_PKlPlN2at6native12_GLOBAL__N_18offset_tEEE10hipError_tPvRmT1_PNSt15iterator_traitsIS13_E10value_typeET2_T3_PNS14_IS19_E10value_typeET4_jRbjT5_S1F_jjP12ihipStream_tbEUljE_ZNSN_ISO_Lb1ESR_SS_SU_SV_SZ_EES10_S11_S12_S13_S17_S18_S19_S1C_S1D_jS1E_jS1F_S1F_jjS1H_bEUljE0_EEES10_S11_S12_S19_S1D_S1F_T6_T7_T9_mT8_S1H_bDpT10_ENKUlT_T0_E_clISt17integral_constantIbLb1EES1U_IbLb0EEEEDaS1Q_S1R_EUlS1Q_E_NS1_11comp_targetILNS1_3genE5ELNS1_11target_archE942ELNS1_3gpuE9ELNS1_3repE0EEENS1_30default_config_static_selectorELNS0_4arch9wavefront6targetE0EEEvS13_.has_dyn_sized_stack, 0
	.set _ZN7rocprim17ROCPRIM_400000_NS6detail17trampoline_kernelINS0_13select_configILj256ELj13ELNS0_17block_load_methodE3ELS4_3ELS4_3ELNS0_20block_scan_algorithmE0ELj4294967295EEENS1_25partition_config_selectorILNS1_17partition_subalgoE4EjNS0_10empty_typeEbEEZZNS1_14partition_implILS8_4ELb0ES6_15HIP_vector_typeIjLj2EENS0_17counting_iteratorIjlEEPS9_SG_NS0_5tupleIJPjSI_NS0_16reverse_iteratorISI_EEEEENSH_IJSG_SG_SG_EEES9_SI_JZNS1_25segmented_radix_sort_implINS0_14default_configELb1EPK12hip_bfloat16PSP_PKlPlN2at6native12_GLOBAL__N_18offset_tEEE10hipError_tPvRmT1_PNSt15iterator_traitsIS13_E10value_typeET2_T3_PNS14_IS19_E10value_typeET4_jRbjT5_S1F_jjP12ihipStream_tbEUljE_ZNSN_ISO_Lb1ESR_SS_SU_SV_SZ_EES10_S11_S12_S13_S17_S18_S19_S1C_S1D_jS1E_jS1F_S1F_jjS1H_bEUljE0_EEES10_S11_S12_S19_S1D_S1F_T6_T7_T9_mT8_S1H_bDpT10_ENKUlT_T0_E_clISt17integral_constantIbLb1EES1U_IbLb0EEEEDaS1Q_S1R_EUlS1Q_E_NS1_11comp_targetILNS1_3genE5ELNS1_11target_archE942ELNS1_3gpuE9ELNS1_3repE0EEENS1_30default_config_static_selectorELNS0_4arch9wavefront6targetE0EEEvS13_.has_recursion, 0
	.set _ZN7rocprim17ROCPRIM_400000_NS6detail17trampoline_kernelINS0_13select_configILj256ELj13ELNS0_17block_load_methodE3ELS4_3ELS4_3ELNS0_20block_scan_algorithmE0ELj4294967295EEENS1_25partition_config_selectorILNS1_17partition_subalgoE4EjNS0_10empty_typeEbEEZZNS1_14partition_implILS8_4ELb0ES6_15HIP_vector_typeIjLj2EENS0_17counting_iteratorIjlEEPS9_SG_NS0_5tupleIJPjSI_NS0_16reverse_iteratorISI_EEEEENSH_IJSG_SG_SG_EEES9_SI_JZNS1_25segmented_radix_sort_implINS0_14default_configELb1EPK12hip_bfloat16PSP_PKlPlN2at6native12_GLOBAL__N_18offset_tEEE10hipError_tPvRmT1_PNSt15iterator_traitsIS13_E10value_typeET2_T3_PNS14_IS19_E10value_typeET4_jRbjT5_S1F_jjP12ihipStream_tbEUljE_ZNSN_ISO_Lb1ESR_SS_SU_SV_SZ_EES10_S11_S12_S13_S17_S18_S19_S1C_S1D_jS1E_jS1F_S1F_jjS1H_bEUljE0_EEES10_S11_S12_S19_S1D_S1F_T6_T7_T9_mT8_S1H_bDpT10_ENKUlT_T0_E_clISt17integral_constantIbLb1EES1U_IbLb0EEEEDaS1Q_S1R_EUlS1Q_E_NS1_11comp_targetILNS1_3genE5ELNS1_11target_archE942ELNS1_3gpuE9ELNS1_3repE0EEENS1_30default_config_static_selectorELNS0_4arch9wavefront6targetE0EEEvS13_.has_indirect_call, 0
	.section	.AMDGPU.csdata,"",@progbits
; Kernel info:
; codeLenInByte = 0
; TotalNumSgprs: 0
; NumVgprs: 0
; ScratchSize: 0
; MemoryBound: 0
; FloatMode: 240
; IeeeMode: 1
; LDSByteSize: 0 bytes/workgroup (compile time only)
; SGPRBlocks: 0
; VGPRBlocks: 0
; NumSGPRsForWavesPerEU: 1
; NumVGPRsForWavesPerEU: 1
; Occupancy: 16
; WaveLimiterHint : 0
; COMPUTE_PGM_RSRC2:SCRATCH_EN: 0
; COMPUTE_PGM_RSRC2:USER_SGPR: 6
; COMPUTE_PGM_RSRC2:TRAP_HANDLER: 0
; COMPUTE_PGM_RSRC2:TGID_X_EN: 1
; COMPUTE_PGM_RSRC2:TGID_Y_EN: 0
; COMPUTE_PGM_RSRC2:TGID_Z_EN: 0
; COMPUTE_PGM_RSRC2:TIDIG_COMP_CNT: 0
	.section	.text._ZN7rocprim17ROCPRIM_400000_NS6detail17trampoline_kernelINS0_13select_configILj256ELj13ELNS0_17block_load_methodE3ELS4_3ELS4_3ELNS0_20block_scan_algorithmE0ELj4294967295EEENS1_25partition_config_selectorILNS1_17partition_subalgoE4EjNS0_10empty_typeEbEEZZNS1_14partition_implILS8_4ELb0ES6_15HIP_vector_typeIjLj2EENS0_17counting_iteratorIjlEEPS9_SG_NS0_5tupleIJPjSI_NS0_16reverse_iteratorISI_EEEEENSH_IJSG_SG_SG_EEES9_SI_JZNS1_25segmented_radix_sort_implINS0_14default_configELb1EPK12hip_bfloat16PSP_PKlPlN2at6native12_GLOBAL__N_18offset_tEEE10hipError_tPvRmT1_PNSt15iterator_traitsIS13_E10value_typeET2_T3_PNS14_IS19_E10value_typeET4_jRbjT5_S1F_jjP12ihipStream_tbEUljE_ZNSN_ISO_Lb1ESR_SS_SU_SV_SZ_EES10_S11_S12_S13_S17_S18_S19_S1C_S1D_jS1E_jS1F_S1F_jjS1H_bEUljE0_EEES10_S11_S12_S19_S1D_S1F_T6_T7_T9_mT8_S1H_bDpT10_ENKUlT_T0_E_clISt17integral_constantIbLb1EES1U_IbLb0EEEEDaS1Q_S1R_EUlS1Q_E_NS1_11comp_targetILNS1_3genE4ELNS1_11target_archE910ELNS1_3gpuE8ELNS1_3repE0EEENS1_30default_config_static_selectorELNS0_4arch9wavefront6targetE0EEEvS13_,"axG",@progbits,_ZN7rocprim17ROCPRIM_400000_NS6detail17trampoline_kernelINS0_13select_configILj256ELj13ELNS0_17block_load_methodE3ELS4_3ELS4_3ELNS0_20block_scan_algorithmE0ELj4294967295EEENS1_25partition_config_selectorILNS1_17partition_subalgoE4EjNS0_10empty_typeEbEEZZNS1_14partition_implILS8_4ELb0ES6_15HIP_vector_typeIjLj2EENS0_17counting_iteratorIjlEEPS9_SG_NS0_5tupleIJPjSI_NS0_16reverse_iteratorISI_EEEEENSH_IJSG_SG_SG_EEES9_SI_JZNS1_25segmented_radix_sort_implINS0_14default_configELb1EPK12hip_bfloat16PSP_PKlPlN2at6native12_GLOBAL__N_18offset_tEEE10hipError_tPvRmT1_PNSt15iterator_traitsIS13_E10value_typeET2_T3_PNS14_IS19_E10value_typeET4_jRbjT5_S1F_jjP12ihipStream_tbEUljE_ZNSN_ISO_Lb1ESR_SS_SU_SV_SZ_EES10_S11_S12_S13_S17_S18_S19_S1C_S1D_jS1E_jS1F_S1F_jjS1H_bEUljE0_EEES10_S11_S12_S19_S1D_S1F_T6_T7_T9_mT8_S1H_bDpT10_ENKUlT_T0_E_clISt17integral_constantIbLb1EES1U_IbLb0EEEEDaS1Q_S1R_EUlS1Q_E_NS1_11comp_targetILNS1_3genE4ELNS1_11target_archE910ELNS1_3gpuE8ELNS1_3repE0EEENS1_30default_config_static_selectorELNS0_4arch9wavefront6targetE0EEEvS13_,comdat
	.globl	_ZN7rocprim17ROCPRIM_400000_NS6detail17trampoline_kernelINS0_13select_configILj256ELj13ELNS0_17block_load_methodE3ELS4_3ELS4_3ELNS0_20block_scan_algorithmE0ELj4294967295EEENS1_25partition_config_selectorILNS1_17partition_subalgoE4EjNS0_10empty_typeEbEEZZNS1_14partition_implILS8_4ELb0ES6_15HIP_vector_typeIjLj2EENS0_17counting_iteratorIjlEEPS9_SG_NS0_5tupleIJPjSI_NS0_16reverse_iteratorISI_EEEEENSH_IJSG_SG_SG_EEES9_SI_JZNS1_25segmented_radix_sort_implINS0_14default_configELb1EPK12hip_bfloat16PSP_PKlPlN2at6native12_GLOBAL__N_18offset_tEEE10hipError_tPvRmT1_PNSt15iterator_traitsIS13_E10value_typeET2_T3_PNS14_IS19_E10value_typeET4_jRbjT5_S1F_jjP12ihipStream_tbEUljE_ZNSN_ISO_Lb1ESR_SS_SU_SV_SZ_EES10_S11_S12_S13_S17_S18_S19_S1C_S1D_jS1E_jS1F_S1F_jjS1H_bEUljE0_EEES10_S11_S12_S19_S1D_S1F_T6_T7_T9_mT8_S1H_bDpT10_ENKUlT_T0_E_clISt17integral_constantIbLb1EES1U_IbLb0EEEEDaS1Q_S1R_EUlS1Q_E_NS1_11comp_targetILNS1_3genE4ELNS1_11target_archE910ELNS1_3gpuE8ELNS1_3repE0EEENS1_30default_config_static_selectorELNS0_4arch9wavefront6targetE0EEEvS13_ ; -- Begin function _ZN7rocprim17ROCPRIM_400000_NS6detail17trampoline_kernelINS0_13select_configILj256ELj13ELNS0_17block_load_methodE3ELS4_3ELS4_3ELNS0_20block_scan_algorithmE0ELj4294967295EEENS1_25partition_config_selectorILNS1_17partition_subalgoE4EjNS0_10empty_typeEbEEZZNS1_14partition_implILS8_4ELb0ES6_15HIP_vector_typeIjLj2EENS0_17counting_iteratorIjlEEPS9_SG_NS0_5tupleIJPjSI_NS0_16reverse_iteratorISI_EEEEENSH_IJSG_SG_SG_EEES9_SI_JZNS1_25segmented_radix_sort_implINS0_14default_configELb1EPK12hip_bfloat16PSP_PKlPlN2at6native12_GLOBAL__N_18offset_tEEE10hipError_tPvRmT1_PNSt15iterator_traitsIS13_E10value_typeET2_T3_PNS14_IS19_E10value_typeET4_jRbjT5_S1F_jjP12ihipStream_tbEUljE_ZNSN_ISO_Lb1ESR_SS_SU_SV_SZ_EES10_S11_S12_S13_S17_S18_S19_S1C_S1D_jS1E_jS1F_S1F_jjS1H_bEUljE0_EEES10_S11_S12_S19_S1D_S1F_T6_T7_T9_mT8_S1H_bDpT10_ENKUlT_T0_E_clISt17integral_constantIbLb1EES1U_IbLb0EEEEDaS1Q_S1R_EUlS1Q_E_NS1_11comp_targetILNS1_3genE4ELNS1_11target_archE910ELNS1_3gpuE8ELNS1_3repE0EEENS1_30default_config_static_selectorELNS0_4arch9wavefront6targetE0EEEvS13_
	.p2align	8
	.type	_ZN7rocprim17ROCPRIM_400000_NS6detail17trampoline_kernelINS0_13select_configILj256ELj13ELNS0_17block_load_methodE3ELS4_3ELS4_3ELNS0_20block_scan_algorithmE0ELj4294967295EEENS1_25partition_config_selectorILNS1_17partition_subalgoE4EjNS0_10empty_typeEbEEZZNS1_14partition_implILS8_4ELb0ES6_15HIP_vector_typeIjLj2EENS0_17counting_iteratorIjlEEPS9_SG_NS0_5tupleIJPjSI_NS0_16reverse_iteratorISI_EEEEENSH_IJSG_SG_SG_EEES9_SI_JZNS1_25segmented_radix_sort_implINS0_14default_configELb1EPK12hip_bfloat16PSP_PKlPlN2at6native12_GLOBAL__N_18offset_tEEE10hipError_tPvRmT1_PNSt15iterator_traitsIS13_E10value_typeET2_T3_PNS14_IS19_E10value_typeET4_jRbjT5_S1F_jjP12ihipStream_tbEUljE_ZNSN_ISO_Lb1ESR_SS_SU_SV_SZ_EES10_S11_S12_S13_S17_S18_S19_S1C_S1D_jS1E_jS1F_S1F_jjS1H_bEUljE0_EEES10_S11_S12_S19_S1D_S1F_T6_T7_T9_mT8_S1H_bDpT10_ENKUlT_T0_E_clISt17integral_constantIbLb1EES1U_IbLb0EEEEDaS1Q_S1R_EUlS1Q_E_NS1_11comp_targetILNS1_3genE4ELNS1_11target_archE910ELNS1_3gpuE8ELNS1_3repE0EEENS1_30default_config_static_selectorELNS0_4arch9wavefront6targetE0EEEvS13_,@function
_ZN7rocprim17ROCPRIM_400000_NS6detail17trampoline_kernelINS0_13select_configILj256ELj13ELNS0_17block_load_methodE3ELS4_3ELS4_3ELNS0_20block_scan_algorithmE0ELj4294967295EEENS1_25partition_config_selectorILNS1_17partition_subalgoE4EjNS0_10empty_typeEbEEZZNS1_14partition_implILS8_4ELb0ES6_15HIP_vector_typeIjLj2EENS0_17counting_iteratorIjlEEPS9_SG_NS0_5tupleIJPjSI_NS0_16reverse_iteratorISI_EEEEENSH_IJSG_SG_SG_EEES9_SI_JZNS1_25segmented_radix_sort_implINS0_14default_configELb1EPK12hip_bfloat16PSP_PKlPlN2at6native12_GLOBAL__N_18offset_tEEE10hipError_tPvRmT1_PNSt15iterator_traitsIS13_E10value_typeET2_T3_PNS14_IS19_E10value_typeET4_jRbjT5_S1F_jjP12ihipStream_tbEUljE_ZNSN_ISO_Lb1ESR_SS_SU_SV_SZ_EES10_S11_S12_S13_S17_S18_S19_S1C_S1D_jS1E_jS1F_S1F_jjS1H_bEUljE0_EEES10_S11_S12_S19_S1D_S1F_T6_T7_T9_mT8_S1H_bDpT10_ENKUlT_T0_E_clISt17integral_constantIbLb1EES1U_IbLb0EEEEDaS1Q_S1R_EUlS1Q_E_NS1_11comp_targetILNS1_3genE4ELNS1_11target_archE910ELNS1_3gpuE8ELNS1_3repE0EEENS1_30default_config_static_selectorELNS0_4arch9wavefront6targetE0EEEvS13_: ; @_ZN7rocprim17ROCPRIM_400000_NS6detail17trampoline_kernelINS0_13select_configILj256ELj13ELNS0_17block_load_methodE3ELS4_3ELS4_3ELNS0_20block_scan_algorithmE0ELj4294967295EEENS1_25partition_config_selectorILNS1_17partition_subalgoE4EjNS0_10empty_typeEbEEZZNS1_14partition_implILS8_4ELb0ES6_15HIP_vector_typeIjLj2EENS0_17counting_iteratorIjlEEPS9_SG_NS0_5tupleIJPjSI_NS0_16reverse_iteratorISI_EEEEENSH_IJSG_SG_SG_EEES9_SI_JZNS1_25segmented_radix_sort_implINS0_14default_configELb1EPK12hip_bfloat16PSP_PKlPlN2at6native12_GLOBAL__N_18offset_tEEE10hipError_tPvRmT1_PNSt15iterator_traitsIS13_E10value_typeET2_T3_PNS14_IS19_E10value_typeET4_jRbjT5_S1F_jjP12ihipStream_tbEUljE_ZNSN_ISO_Lb1ESR_SS_SU_SV_SZ_EES10_S11_S12_S13_S17_S18_S19_S1C_S1D_jS1E_jS1F_S1F_jjS1H_bEUljE0_EEES10_S11_S12_S19_S1D_S1F_T6_T7_T9_mT8_S1H_bDpT10_ENKUlT_T0_E_clISt17integral_constantIbLb1EES1U_IbLb0EEEEDaS1Q_S1R_EUlS1Q_E_NS1_11comp_targetILNS1_3genE4ELNS1_11target_archE910ELNS1_3gpuE8ELNS1_3repE0EEENS1_30default_config_static_selectorELNS0_4arch9wavefront6targetE0EEEvS13_
; %bb.0:
	.section	.rodata,"a",@progbits
	.p2align	6, 0x0
	.amdhsa_kernel _ZN7rocprim17ROCPRIM_400000_NS6detail17trampoline_kernelINS0_13select_configILj256ELj13ELNS0_17block_load_methodE3ELS4_3ELS4_3ELNS0_20block_scan_algorithmE0ELj4294967295EEENS1_25partition_config_selectorILNS1_17partition_subalgoE4EjNS0_10empty_typeEbEEZZNS1_14partition_implILS8_4ELb0ES6_15HIP_vector_typeIjLj2EENS0_17counting_iteratorIjlEEPS9_SG_NS0_5tupleIJPjSI_NS0_16reverse_iteratorISI_EEEEENSH_IJSG_SG_SG_EEES9_SI_JZNS1_25segmented_radix_sort_implINS0_14default_configELb1EPK12hip_bfloat16PSP_PKlPlN2at6native12_GLOBAL__N_18offset_tEEE10hipError_tPvRmT1_PNSt15iterator_traitsIS13_E10value_typeET2_T3_PNS14_IS19_E10value_typeET4_jRbjT5_S1F_jjP12ihipStream_tbEUljE_ZNSN_ISO_Lb1ESR_SS_SU_SV_SZ_EES10_S11_S12_S13_S17_S18_S19_S1C_S1D_jS1E_jS1F_S1F_jjS1H_bEUljE0_EEES10_S11_S12_S19_S1D_S1F_T6_T7_T9_mT8_S1H_bDpT10_ENKUlT_T0_E_clISt17integral_constantIbLb1EES1U_IbLb0EEEEDaS1Q_S1R_EUlS1Q_E_NS1_11comp_targetILNS1_3genE4ELNS1_11target_archE910ELNS1_3gpuE8ELNS1_3repE0EEENS1_30default_config_static_selectorELNS0_4arch9wavefront6targetE0EEEvS13_
		.amdhsa_group_segment_fixed_size 0
		.amdhsa_private_segment_fixed_size 0
		.amdhsa_kernarg_size 176
		.amdhsa_user_sgpr_count 6
		.amdhsa_user_sgpr_private_segment_buffer 1
		.amdhsa_user_sgpr_dispatch_ptr 0
		.amdhsa_user_sgpr_queue_ptr 0
		.amdhsa_user_sgpr_kernarg_segment_ptr 1
		.amdhsa_user_sgpr_dispatch_id 0
		.amdhsa_user_sgpr_flat_scratch_init 0
		.amdhsa_user_sgpr_private_segment_size 0
		.amdhsa_wavefront_size32 1
		.amdhsa_uses_dynamic_stack 0
		.amdhsa_system_sgpr_private_segment_wavefront_offset 0
		.amdhsa_system_sgpr_workgroup_id_x 1
		.amdhsa_system_sgpr_workgroup_id_y 0
		.amdhsa_system_sgpr_workgroup_id_z 0
		.amdhsa_system_sgpr_workgroup_info 0
		.amdhsa_system_vgpr_workitem_id 0
		.amdhsa_next_free_vgpr 1
		.amdhsa_next_free_sgpr 1
		.amdhsa_reserve_vcc 0
		.amdhsa_reserve_flat_scratch 0
		.amdhsa_float_round_mode_32 0
		.amdhsa_float_round_mode_16_64 0
		.amdhsa_float_denorm_mode_32 3
		.amdhsa_float_denorm_mode_16_64 3
		.amdhsa_dx10_clamp 1
		.amdhsa_ieee_mode 1
		.amdhsa_fp16_overflow 0
		.amdhsa_workgroup_processor_mode 1
		.amdhsa_memory_ordered 1
		.amdhsa_forward_progress 1
		.amdhsa_shared_vgpr_count 0
		.amdhsa_exception_fp_ieee_invalid_op 0
		.amdhsa_exception_fp_denorm_src 0
		.amdhsa_exception_fp_ieee_div_zero 0
		.amdhsa_exception_fp_ieee_overflow 0
		.amdhsa_exception_fp_ieee_underflow 0
		.amdhsa_exception_fp_ieee_inexact 0
		.amdhsa_exception_int_div_zero 0
	.end_amdhsa_kernel
	.section	.text._ZN7rocprim17ROCPRIM_400000_NS6detail17trampoline_kernelINS0_13select_configILj256ELj13ELNS0_17block_load_methodE3ELS4_3ELS4_3ELNS0_20block_scan_algorithmE0ELj4294967295EEENS1_25partition_config_selectorILNS1_17partition_subalgoE4EjNS0_10empty_typeEbEEZZNS1_14partition_implILS8_4ELb0ES6_15HIP_vector_typeIjLj2EENS0_17counting_iteratorIjlEEPS9_SG_NS0_5tupleIJPjSI_NS0_16reverse_iteratorISI_EEEEENSH_IJSG_SG_SG_EEES9_SI_JZNS1_25segmented_radix_sort_implINS0_14default_configELb1EPK12hip_bfloat16PSP_PKlPlN2at6native12_GLOBAL__N_18offset_tEEE10hipError_tPvRmT1_PNSt15iterator_traitsIS13_E10value_typeET2_T3_PNS14_IS19_E10value_typeET4_jRbjT5_S1F_jjP12ihipStream_tbEUljE_ZNSN_ISO_Lb1ESR_SS_SU_SV_SZ_EES10_S11_S12_S13_S17_S18_S19_S1C_S1D_jS1E_jS1F_S1F_jjS1H_bEUljE0_EEES10_S11_S12_S19_S1D_S1F_T6_T7_T9_mT8_S1H_bDpT10_ENKUlT_T0_E_clISt17integral_constantIbLb1EES1U_IbLb0EEEEDaS1Q_S1R_EUlS1Q_E_NS1_11comp_targetILNS1_3genE4ELNS1_11target_archE910ELNS1_3gpuE8ELNS1_3repE0EEENS1_30default_config_static_selectorELNS0_4arch9wavefront6targetE0EEEvS13_,"axG",@progbits,_ZN7rocprim17ROCPRIM_400000_NS6detail17trampoline_kernelINS0_13select_configILj256ELj13ELNS0_17block_load_methodE3ELS4_3ELS4_3ELNS0_20block_scan_algorithmE0ELj4294967295EEENS1_25partition_config_selectorILNS1_17partition_subalgoE4EjNS0_10empty_typeEbEEZZNS1_14partition_implILS8_4ELb0ES6_15HIP_vector_typeIjLj2EENS0_17counting_iteratorIjlEEPS9_SG_NS0_5tupleIJPjSI_NS0_16reverse_iteratorISI_EEEEENSH_IJSG_SG_SG_EEES9_SI_JZNS1_25segmented_radix_sort_implINS0_14default_configELb1EPK12hip_bfloat16PSP_PKlPlN2at6native12_GLOBAL__N_18offset_tEEE10hipError_tPvRmT1_PNSt15iterator_traitsIS13_E10value_typeET2_T3_PNS14_IS19_E10value_typeET4_jRbjT5_S1F_jjP12ihipStream_tbEUljE_ZNSN_ISO_Lb1ESR_SS_SU_SV_SZ_EES10_S11_S12_S13_S17_S18_S19_S1C_S1D_jS1E_jS1F_S1F_jjS1H_bEUljE0_EEES10_S11_S12_S19_S1D_S1F_T6_T7_T9_mT8_S1H_bDpT10_ENKUlT_T0_E_clISt17integral_constantIbLb1EES1U_IbLb0EEEEDaS1Q_S1R_EUlS1Q_E_NS1_11comp_targetILNS1_3genE4ELNS1_11target_archE910ELNS1_3gpuE8ELNS1_3repE0EEENS1_30default_config_static_selectorELNS0_4arch9wavefront6targetE0EEEvS13_,comdat
.Lfunc_end1890:
	.size	_ZN7rocprim17ROCPRIM_400000_NS6detail17trampoline_kernelINS0_13select_configILj256ELj13ELNS0_17block_load_methodE3ELS4_3ELS4_3ELNS0_20block_scan_algorithmE0ELj4294967295EEENS1_25partition_config_selectorILNS1_17partition_subalgoE4EjNS0_10empty_typeEbEEZZNS1_14partition_implILS8_4ELb0ES6_15HIP_vector_typeIjLj2EENS0_17counting_iteratorIjlEEPS9_SG_NS0_5tupleIJPjSI_NS0_16reverse_iteratorISI_EEEEENSH_IJSG_SG_SG_EEES9_SI_JZNS1_25segmented_radix_sort_implINS0_14default_configELb1EPK12hip_bfloat16PSP_PKlPlN2at6native12_GLOBAL__N_18offset_tEEE10hipError_tPvRmT1_PNSt15iterator_traitsIS13_E10value_typeET2_T3_PNS14_IS19_E10value_typeET4_jRbjT5_S1F_jjP12ihipStream_tbEUljE_ZNSN_ISO_Lb1ESR_SS_SU_SV_SZ_EES10_S11_S12_S13_S17_S18_S19_S1C_S1D_jS1E_jS1F_S1F_jjS1H_bEUljE0_EEES10_S11_S12_S19_S1D_S1F_T6_T7_T9_mT8_S1H_bDpT10_ENKUlT_T0_E_clISt17integral_constantIbLb1EES1U_IbLb0EEEEDaS1Q_S1R_EUlS1Q_E_NS1_11comp_targetILNS1_3genE4ELNS1_11target_archE910ELNS1_3gpuE8ELNS1_3repE0EEENS1_30default_config_static_selectorELNS0_4arch9wavefront6targetE0EEEvS13_, .Lfunc_end1890-_ZN7rocprim17ROCPRIM_400000_NS6detail17trampoline_kernelINS0_13select_configILj256ELj13ELNS0_17block_load_methodE3ELS4_3ELS4_3ELNS0_20block_scan_algorithmE0ELj4294967295EEENS1_25partition_config_selectorILNS1_17partition_subalgoE4EjNS0_10empty_typeEbEEZZNS1_14partition_implILS8_4ELb0ES6_15HIP_vector_typeIjLj2EENS0_17counting_iteratorIjlEEPS9_SG_NS0_5tupleIJPjSI_NS0_16reverse_iteratorISI_EEEEENSH_IJSG_SG_SG_EEES9_SI_JZNS1_25segmented_radix_sort_implINS0_14default_configELb1EPK12hip_bfloat16PSP_PKlPlN2at6native12_GLOBAL__N_18offset_tEEE10hipError_tPvRmT1_PNSt15iterator_traitsIS13_E10value_typeET2_T3_PNS14_IS19_E10value_typeET4_jRbjT5_S1F_jjP12ihipStream_tbEUljE_ZNSN_ISO_Lb1ESR_SS_SU_SV_SZ_EES10_S11_S12_S13_S17_S18_S19_S1C_S1D_jS1E_jS1F_S1F_jjS1H_bEUljE0_EEES10_S11_S12_S19_S1D_S1F_T6_T7_T9_mT8_S1H_bDpT10_ENKUlT_T0_E_clISt17integral_constantIbLb1EES1U_IbLb0EEEEDaS1Q_S1R_EUlS1Q_E_NS1_11comp_targetILNS1_3genE4ELNS1_11target_archE910ELNS1_3gpuE8ELNS1_3repE0EEENS1_30default_config_static_selectorELNS0_4arch9wavefront6targetE0EEEvS13_
                                        ; -- End function
	.set _ZN7rocprim17ROCPRIM_400000_NS6detail17trampoline_kernelINS0_13select_configILj256ELj13ELNS0_17block_load_methodE3ELS4_3ELS4_3ELNS0_20block_scan_algorithmE0ELj4294967295EEENS1_25partition_config_selectorILNS1_17partition_subalgoE4EjNS0_10empty_typeEbEEZZNS1_14partition_implILS8_4ELb0ES6_15HIP_vector_typeIjLj2EENS0_17counting_iteratorIjlEEPS9_SG_NS0_5tupleIJPjSI_NS0_16reverse_iteratorISI_EEEEENSH_IJSG_SG_SG_EEES9_SI_JZNS1_25segmented_radix_sort_implINS0_14default_configELb1EPK12hip_bfloat16PSP_PKlPlN2at6native12_GLOBAL__N_18offset_tEEE10hipError_tPvRmT1_PNSt15iterator_traitsIS13_E10value_typeET2_T3_PNS14_IS19_E10value_typeET4_jRbjT5_S1F_jjP12ihipStream_tbEUljE_ZNSN_ISO_Lb1ESR_SS_SU_SV_SZ_EES10_S11_S12_S13_S17_S18_S19_S1C_S1D_jS1E_jS1F_S1F_jjS1H_bEUljE0_EEES10_S11_S12_S19_S1D_S1F_T6_T7_T9_mT8_S1H_bDpT10_ENKUlT_T0_E_clISt17integral_constantIbLb1EES1U_IbLb0EEEEDaS1Q_S1R_EUlS1Q_E_NS1_11comp_targetILNS1_3genE4ELNS1_11target_archE910ELNS1_3gpuE8ELNS1_3repE0EEENS1_30default_config_static_selectorELNS0_4arch9wavefront6targetE0EEEvS13_.num_vgpr, 0
	.set _ZN7rocprim17ROCPRIM_400000_NS6detail17trampoline_kernelINS0_13select_configILj256ELj13ELNS0_17block_load_methodE3ELS4_3ELS4_3ELNS0_20block_scan_algorithmE0ELj4294967295EEENS1_25partition_config_selectorILNS1_17partition_subalgoE4EjNS0_10empty_typeEbEEZZNS1_14partition_implILS8_4ELb0ES6_15HIP_vector_typeIjLj2EENS0_17counting_iteratorIjlEEPS9_SG_NS0_5tupleIJPjSI_NS0_16reverse_iteratorISI_EEEEENSH_IJSG_SG_SG_EEES9_SI_JZNS1_25segmented_radix_sort_implINS0_14default_configELb1EPK12hip_bfloat16PSP_PKlPlN2at6native12_GLOBAL__N_18offset_tEEE10hipError_tPvRmT1_PNSt15iterator_traitsIS13_E10value_typeET2_T3_PNS14_IS19_E10value_typeET4_jRbjT5_S1F_jjP12ihipStream_tbEUljE_ZNSN_ISO_Lb1ESR_SS_SU_SV_SZ_EES10_S11_S12_S13_S17_S18_S19_S1C_S1D_jS1E_jS1F_S1F_jjS1H_bEUljE0_EEES10_S11_S12_S19_S1D_S1F_T6_T7_T9_mT8_S1H_bDpT10_ENKUlT_T0_E_clISt17integral_constantIbLb1EES1U_IbLb0EEEEDaS1Q_S1R_EUlS1Q_E_NS1_11comp_targetILNS1_3genE4ELNS1_11target_archE910ELNS1_3gpuE8ELNS1_3repE0EEENS1_30default_config_static_selectorELNS0_4arch9wavefront6targetE0EEEvS13_.num_agpr, 0
	.set _ZN7rocprim17ROCPRIM_400000_NS6detail17trampoline_kernelINS0_13select_configILj256ELj13ELNS0_17block_load_methodE3ELS4_3ELS4_3ELNS0_20block_scan_algorithmE0ELj4294967295EEENS1_25partition_config_selectorILNS1_17partition_subalgoE4EjNS0_10empty_typeEbEEZZNS1_14partition_implILS8_4ELb0ES6_15HIP_vector_typeIjLj2EENS0_17counting_iteratorIjlEEPS9_SG_NS0_5tupleIJPjSI_NS0_16reverse_iteratorISI_EEEEENSH_IJSG_SG_SG_EEES9_SI_JZNS1_25segmented_radix_sort_implINS0_14default_configELb1EPK12hip_bfloat16PSP_PKlPlN2at6native12_GLOBAL__N_18offset_tEEE10hipError_tPvRmT1_PNSt15iterator_traitsIS13_E10value_typeET2_T3_PNS14_IS19_E10value_typeET4_jRbjT5_S1F_jjP12ihipStream_tbEUljE_ZNSN_ISO_Lb1ESR_SS_SU_SV_SZ_EES10_S11_S12_S13_S17_S18_S19_S1C_S1D_jS1E_jS1F_S1F_jjS1H_bEUljE0_EEES10_S11_S12_S19_S1D_S1F_T6_T7_T9_mT8_S1H_bDpT10_ENKUlT_T0_E_clISt17integral_constantIbLb1EES1U_IbLb0EEEEDaS1Q_S1R_EUlS1Q_E_NS1_11comp_targetILNS1_3genE4ELNS1_11target_archE910ELNS1_3gpuE8ELNS1_3repE0EEENS1_30default_config_static_selectorELNS0_4arch9wavefront6targetE0EEEvS13_.numbered_sgpr, 0
	.set _ZN7rocprim17ROCPRIM_400000_NS6detail17trampoline_kernelINS0_13select_configILj256ELj13ELNS0_17block_load_methodE3ELS4_3ELS4_3ELNS0_20block_scan_algorithmE0ELj4294967295EEENS1_25partition_config_selectorILNS1_17partition_subalgoE4EjNS0_10empty_typeEbEEZZNS1_14partition_implILS8_4ELb0ES6_15HIP_vector_typeIjLj2EENS0_17counting_iteratorIjlEEPS9_SG_NS0_5tupleIJPjSI_NS0_16reverse_iteratorISI_EEEEENSH_IJSG_SG_SG_EEES9_SI_JZNS1_25segmented_radix_sort_implINS0_14default_configELb1EPK12hip_bfloat16PSP_PKlPlN2at6native12_GLOBAL__N_18offset_tEEE10hipError_tPvRmT1_PNSt15iterator_traitsIS13_E10value_typeET2_T3_PNS14_IS19_E10value_typeET4_jRbjT5_S1F_jjP12ihipStream_tbEUljE_ZNSN_ISO_Lb1ESR_SS_SU_SV_SZ_EES10_S11_S12_S13_S17_S18_S19_S1C_S1D_jS1E_jS1F_S1F_jjS1H_bEUljE0_EEES10_S11_S12_S19_S1D_S1F_T6_T7_T9_mT8_S1H_bDpT10_ENKUlT_T0_E_clISt17integral_constantIbLb1EES1U_IbLb0EEEEDaS1Q_S1R_EUlS1Q_E_NS1_11comp_targetILNS1_3genE4ELNS1_11target_archE910ELNS1_3gpuE8ELNS1_3repE0EEENS1_30default_config_static_selectorELNS0_4arch9wavefront6targetE0EEEvS13_.num_named_barrier, 0
	.set _ZN7rocprim17ROCPRIM_400000_NS6detail17trampoline_kernelINS0_13select_configILj256ELj13ELNS0_17block_load_methodE3ELS4_3ELS4_3ELNS0_20block_scan_algorithmE0ELj4294967295EEENS1_25partition_config_selectorILNS1_17partition_subalgoE4EjNS0_10empty_typeEbEEZZNS1_14partition_implILS8_4ELb0ES6_15HIP_vector_typeIjLj2EENS0_17counting_iteratorIjlEEPS9_SG_NS0_5tupleIJPjSI_NS0_16reverse_iteratorISI_EEEEENSH_IJSG_SG_SG_EEES9_SI_JZNS1_25segmented_radix_sort_implINS0_14default_configELb1EPK12hip_bfloat16PSP_PKlPlN2at6native12_GLOBAL__N_18offset_tEEE10hipError_tPvRmT1_PNSt15iterator_traitsIS13_E10value_typeET2_T3_PNS14_IS19_E10value_typeET4_jRbjT5_S1F_jjP12ihipStream_tbEUljE_ZNSN_ISO_Lb1ESR_SS_SU_SV_SZ_EES10_S11_S12_S13_S17_S18_S19_S1C_S1D_jS1E_jS1F_S1F_jjS1H_bEUljE0_EEES10_S11_S12_S19_S1D_S1F_T6_T7_T9_mT8_S1H_bDpT10_ENKUlT_T0_E_clISt17integral_constantIbLb1EES1U_IbLb0EEEEDaS1Q_S1R_EUlS1Q_E_NS1_11comp_targetILNS1_3genE4ELNS1_11target_archE910ELNS1_3gpuE8ELNS1_3repE0EEENS1_30default_config_static_selectorELNS0_4arch9wavefront6targetE0EEEvS13_.private_seg_size, 0
	.set _ZN7rocprim17ROCPRIM_400000_NS6detail17trampoline_kernelINS0_13select_configILj256ELj13ELNS0_17block_load_methodE3ELS4_3ELS4_3ELNS0_20block_scan_algorithmE0ELj4294967295EEENS1_25partition_config_selectorILNS1_17partition_subalgoE4EjNS0_10empty_typeEbEEZZNS1_14partition_implILS8_4ELb0ES6_15HIP_vector_typeIjLj2EENS0_17counting_iteratorIjlEEPS9_SG_NS0_5tupleIJPjSI_NS0_16reverse_iteratorISI_EEEEENSH_IJSG_SG_SG_EEES9_SI_JZNS1_25segmented_radix_sort_implINS0_14default_configELb1EPK12hip_bfloat16PSP_PKlPlN2at6native12_GLOBAL__N_18offset_tEEE10hipError_tPvRmT1_PNSt15iterator_traitsIS13_E10value_typeET2_T3_PNS14_IS19_E10value_typeET4_jRbjT5_S1F_jjP12ihipStream_tbEUljE_ZNSN_ISO_Lb1ESR_SS_SU_SV_SZ_EES10_S11_S12_S13_S17_S18_S19_S1C_S1D_jS1E_jS1F_S1F_jjS1H_bEUljE0_EEES10_S11_S12_S19_S1D_S1F_T6_T7_T9_mT8_S1H_bDpT10_ENKUlT_T0_E_clISt17integral_constantIbLb1EES1U_IbLb0EEEEDaS1Q_S1R_EUlS1Q_E_NS1_11comp_targetILNS1_3genE4ELNS1_11target_archE910ELNS1_3gpuE8ELNS1_3repE0EEENS1_30default_config_static_selectorELNS0_4arch9wavefront6targetE0EEEvS13_.uses_vcc, 0
	.set _ZN7rocprim17ROCPRIM_400000_NS6detail17trampoline_kernelINS0_13select_configILj256ELj13ELNS0_17block_load_methodE3ELS4_3ELS4_3ELNS0_20block_scan_algorithmE0ELj4294967295EEENS1_25partition_config_selectorILNS1_17partition_subalgoE4EjNS0_10empty_typeEbEEZZNS1_14partition_implILS8_4ELb0ES6_15HIP_vector_typeIjLj2EENS0_17counting_iteratorIjlEEPS9_SG_NS0_5tupleIJPjSI_NS0_16reverse_iteratorISI_EEEEENSH_IJSG_SG_SG_EEES9_SI_JZNS1_25segmented_radix_sort_implINS0_14default_configELb1EPK12hip_bfloat16PSP_PKlPlN2at6native12_GLOBAL__N_18offset_tEEE10hipError_tPvRmT1_PNSt15iterator_traitsIS13_E10value_typeET2_T3_PNS14_IS19_E10value_typeET4_jRbjT5_S1F_jjP12ihipStream_tbEUljE_ZNSN_ISO_Lb1ESR_SS_SU_SV_SZ_EES10_S11_S12_S13_S17_S18_S19_S1C_S1D_jS1E_jS1F_S1F_jjS1H_bEUljE0_EEES10_S11_S12_S19_S1D_S1F_T6_T7_T9_mT8_S1H_bDpT10_ENKUlT_T0_E_clISt17integral_constantIbLb1EES1U_IbLb0EEEEDaS1Q_S1R_EUlS1Q_E_NS1_11comp_targetILNS1_3genE4ELNS1_11target_archE910ELNS1_3gpuE8ELNS1_3repE0EEENS1_30default_config_static_selectorELNS0_4arch9wavefront6targetE0EEEvS13_.uses_flat_scratch, 0
	.set _ZN7rocprim17ROCPRIM_400000_NS6detail17trampoline_kernelINS0_13select_configILj256ELj13ELNS0_17block_load_methodE3ELS4_3ELS4_3ELNS0_20block_scan_algorithmE0ELj4294967295EEENS1_25partition_config_selectorILNS1_17partition_subalgoE4EjNS0_10empty_typeEbEEZZNS1_14partition_implILS8_4ELb0ES6_15HIP_vector_typeIjLj2EENS0_17counting_iteratorIjlEEPS9_SG_NS0_5tupleIJPjSI_NS0_16reverse_iteratorISI_EEEEENSH_IJSG_SG_SG_EEES9_SI_JZNS1_25segmented_radix_sort_implINS0_14default_configELb1EPK12hip_bfloat16PSP_PKlPlN2at6native12_GLOBAL__N_18offset_tEEE10hipError_tPvRmT1_PNSt15iterator_traitsIS13_E10value_typeET2_T3_PNS14_IS19_E10value_typeET4_jRbjT5_S1F_jjP12ihipStream_tbEUljE_ZNSN_ISO_Lb1ESR_SS_SU_SV_SZ_EES10_S11_S12_S13_S17_S18_S19_S1C_S1D_jS1E_jS1F_S1F_jjS1H_bEUljE0_EEES10_S11_S12_S19_S1D_S1F_T6_T7_T9_mT8_S1H_bDpT10_ENKUlT_T0_E_clISt17integral_constantIbLb1EES1U_IbLb0EEEEDaS1Q_S1R_EUlS1Q_E_NS1_11comp_targetILNS1_3genE4ELNS1_11target_archE910ELNS1_3gpuE8ELNS1_3repE0EEENS1_30default_config_static_selectorELNS0_4arch9wavefront6targetE0EEEvS13_.has_dyn_sized_stack, 0
	.set _ZN7rocprim17ROCPRIM_400000_NS6detail17trampoline_kernelINS0_13select_configILj256ELj13ELNS0_17block_load_methodE3ELS4_3ELS4_3ELNS0_20block_scan_algorithmE0ELj4294967295EEENS1_25partition_config_selectorILNS1_17partition_subalgoE4EjNS0_10empty_typeEbEEZZNS1_14partition_implILS8_4ELb0ES6_15HIP_vector_typeIjLj2EENS0_17counting_iteratorIjlEEPS9_SG_NS0_5tupleIJPjSI_NS0_16reverse_iteratorISI_EEEEENSH_IJSG_SG_SG_EEES9_SI_JZNS1_25segmented_radix_sort_implINS0_14default_configELb1EPK12hip_bfloat16PSP_PKlPlN2at6native12_GLOBAL__N_18offset_tEEE10hipError_tPvRmT1_PNSt15iterator_traitsIS13_E10value_typeET2_T3_PNS14_IS19_E10value_typeET4_jRbjT5_S1F_jjP12ihipStream_tbEUljE_ZNSN_ISO_Lb1ESR_SS_SU_SV_SZ_EES10_S11_S12_S13_S17_S18_S19_S1C_S1D_jS1E_jS1F_S1F_jjS1H_bEUljE0_EEES10_S11_S12_S19_S1D_S1F_T6_T7_T9_mT8_S1H_bDpT10_ENKUlT_T0_E_clISt17integral_constantIbLb1EES1U_IbLb0EEEEDaS1Q_S1R_EUlS1Q_E_NS1_11comp_targetILNS1_3genE4ELNS1_11target_archE910ELNS1_3gpuE8ELNS1_3repE0EEENS1_30default_config_static_selectorELNS0_4arch9wavefront6targetE0EEEvS13_.has_recursion, 0
	.set _ZN7rocprim17ROCPRIM_400000_NS6detail17trampoline_kernelINS0_13select_configILj256ELj13ELNS0_17block_load_methodE3ELS4_3ELS4_3ELNS0_20block_scan_algorithmE0ELj4294967295EEENS1_25partition_config_selectorILNS1_17partition_subalgoE4EjNS0_10empty_typeEbEEZZNS1_14partition_implILS8_4ELb0ES6_15HIP_vector_typeIjLj2EENS0_17counting_iteratorIjlEEPS9_SG_NS0_5tupleIJPjSI_NS0_16reverse_iteratorISI_EEEEENSH_IJSG_SG_SG_EEES9_SI_JZNS1_25segmented_radix_sort_implINS0_14default_configELb1EPK12hip_bfloat16PSP_PKlPlN2at6native12_GLOBAL__N_18offset_tEEE10hipError_tPvRmT1_PNSt15iterator_traitsIS13_E10value_typeET2_T3_PNS14_IS19_E10value_typeET4_jRbjT5_S1F_jjP12ihipStream_tbEUljE_ZNSN_ISO_Lb1ESR_SS_SU_SV_SZ_EES10_S11_S12_S13_S17_S18_S19_S1C_S1D_jS1E_jS1F_S1F_jjS1H_bEUljE0_EEES10_S11_S12_S19_S1D_S1F_T6_T7_T9_mT8_S1H_bDpT10_ENKUlT_T0_E_clISt17integral_constantIbLb1EES1U_IbLb0EEEEDaS1Q_S1R_EUlS1Q_E_NS1_11comp_targetILNS1_3genE4ELNS1_11target_archE910ELNS1_3gpuE8ELNS1_3repE0EEENS1_30default_config_static_selectorELNS0_4arch9wavefront6targetE0EEEvS13_.has_indirect_call, 0
	.section	.AMDGPU.csdata,"",@progbits
; Kernel info:
; codeLenInByte = 0
; TotalNumSgprs: 0
; NumVgprs: 0
; ScratchSize: 0
; MemoryBound: 0
; FloatMode: 240
; IeeeMode: 1
; LDSByteSize: 0 bytes/workgroup (compile time only)
; SGPRBlocks: 0
; VGPRBlocks: 0
; NumSGPRsForWavesPerEU: 1
; NumVGPRsForWavesPerEU: 1
; Occupancy: 16
; WaveLimiterHint : 0
; COMPUTE_PGM_RSRC2:SCRATCH_EN: 0
; COMPUTE_PGM_RSRC2:USER_SGPR: 6
; COMPUTE_PGM_RSRC2:TRAP_HANDLER: 0
; COMPUTE_PGM_RSRC2:TGID_X_EN: 1
; COMPUTE_PGM_RSRC2:TGID_Y_EN: 0
; COMPUTE_PGM_RSRC2:TGID_Z_EN: 0
; COMPUTE_PGM_RSRC2:TIDIG_COMP_CNT: 0
	.section	.text._ZN7rocprim17ROCPRIM_400000_NS6detail17trampoline_kernelINS0_13select_configILj256ELj13ELNS0_17block_load_methodE3ELS4_3ELS4_3ELNS0_20block_scan_algorithmE0ELj4294967295EEENS1_25partition_config_selectorILNS1_17partition_subalgoE4EjNS0_10empty_typeEbEEZZNS1_14partition_implILS8_4ELb0ES6_15HIP_vector_typeIjLj2EENS0_17counting_iteratorIjlEEPS9_SG_NS0_5tupleIJPjSI_NS0_16reverse_iteratorISI_EEEEENSH_IJSG_SG_SG_EEES9_SI_JZNS1_25segmented_radix_sort_implINS0_14default_configELb1EPK12hip_bfloat16PSP_PKlPlN2at6native12_GLOBAL__N_18offset_tEEE10hipError_tPvRmT1_PNSt15iterator_traitsIS13_E10value_typeET2_T3_PNS14_IS19_E10value_typeET4_jRbjT5_S1F_jjP12ihipStream_tbEUljE_ZNSN_ISO_Lb1ESR_SS_SU_SV_SZ_EES10_S11_S12_S13_S17_S18_S19_S1C_S1D_jS1E_jS1F_S1F_jjS1H_bEUljE0_EEES10_S11_S12_S19_S1D_S1F_T6_T7_T9_mT8_S1H_bDpT10_ENKUlT_T0_E_clISt17integral_constantIbLb1EES1U_IbLb0EEEEDaS1Q_S1R_EUlS1Q_E_NS1_11comp_targetILNS1_3genE3ELNS1_11target_archE908ELNS1_3gpuE7ELNS1_3repE0EEENS1_30default_config_static_selectorELNS0_4arch9wavefront6targetE0EEEvS13_,"axG",@progbits,_ZN7rocprim17ROCPRIM_400000_NS6detail17trampoline_kernelINS0_13select_configILj256ELj13ELNS0_17block_load_methodE3ELS4_3ELS4_3ELNS0_20block_scan_algorithmE0ELj4294967295EEENS1_25partition_config_selectorILNS1_17partition_subalgoE4EjNS0_10empty_typeEbEEZZNS1_14partition_implILS8_4ELb0ES6_15HIP_vector_typeIjLj2EENS0_17counting_iteratorIjlEEPS9_SG_NS0_5tupleIJPjSI_NS0_16reverse_iteratorISI_EEEEENSH_IJSG_SG_SG_EEES9_SI_JZNS1_25segmented_radix_sort_implINS0_14default_configELb1EPK12hip_bfloat16PSP_PKlPlN2at6native12_GLOBAL__N_18offset_tEEE10hipError_tPvRmT1_PNSt15iterator_traitsIS13_E10value_typeET2_T3_PNS14_IS19_E10value_typeET4_jRbjT5_S1F_jjP12ihipStream_tbEUljE_ZNSN_ISO_Lb1ESR_SS_SU_SV_SZ_EES10_S11_S12_S13_S17_S18_S19_S1C_S1D_jS1E_jS1F_S1F_jjS1H_bEUljE0_EEES10_S11_S12_S19_S1D_S1F_T6_T7_T9_mT8_S1H_bDpT10_ENKUlT_T0_E_clISt17integral_constantIbLb1EES1U_IbLb0EEEEDaS1Q_S1R_EUlS1Q_E_NS1_11comp_targetILNS1_3genE3ELNS1_11target_archE908ELNS1_3gpuE7ELNS1_3repE0EEENS1_30default_config_static_selectorELNS0_4arch9wavefront6targetE0EEEvS13_,comdat
	.globl	_ZN7rocprim17ROCPRIM_400000_NS6detail17trampoline_kernelINS0_13select_configILj256ELj13ELNS0_17block_load_methodE3ELS4_3ELS4_3ELNS0_20block_scan_algorithmE0ELj4294967295EEENS1_25partition_config_selectorILNS1_17partition_subalgoE4EjNS0_10empty_typeEbEEZZNS1_14partition_implILS8_4ELb0ES6_15HIP_vector_typeIjLj2EENS0_17counting_iteratorIjlEEPS9_SG_NS0_5tupleIJPjSI_NS0_16reverse_iteratorISI_EEEEENSH_IJSG_SG_SG_EEES9_SI_JZNS1_25segmented_radix_sort_implINS0_14default_configELb1EPK12hip_bfloat16PSP_PKlPlN2at6native12_GLOBAL__N_18offset_tEEE10hipError_tPvRmT1_PNSt15iterator_traitsIS13_E10value_typeET2_T3_PNS14_IS19_E10value_typeET4_jRbjT5_S1F_jjP12ihipStream_tbEUljE_ZNSN_ISO_Lb1ESR_SS_SU_SV_SZ_EES10_S11_S12_S13_S17_S18_S19_S1C_S1D_jS1E_jS1F_S1F_jjS1H_bEUljE0_EEES10_S11_S12_S19_S1D_S1F_T6_T7_T9_mT8_S1H_bDpT10_ENKUlT_T0_E_clISt17integral_constantIbLb1EES1U_IbLb0EEEEDaS1Q_S1R_EUlS1Q_E_NS1_11comp_targetILNS1_3genE3ELNS1_11target_archE908ELNS1_3gpuE7ELNS1_3repE0EEENS1_30default_config_static_selectorELNS0_4arch9wavefront6targetE0EEEvS13_ ; -- Begin function _ZN7rocprim17ROCPRIM_400000_NS6detail17trampoline_kernelINS0_13select_configILj256ELj13ELNS0_17block_load_methodE3ELS4_3ELS4_3ELNS0_20block_scan_algorithmE0ELj4294967295EEENS1_25partition_config_selectorILNS1_17partition_subalgoE4EjNS0_10empty_typeEbEEZZNS1_14partition_implILS8_4ELb0ES6_15HIP_vector_typeIjLj2EENS0_17counting_iteratorIjlEEPS9_SG_NS0_5tupleIJPjSI_NS0_16reverse_iteratorISI_EEEEENSH_IJSG_SG_SG_EEES9_SI_JZNS1_25segmented_radix_sort_implINS0_14default_configELb1EPK12hip_bfloat16PSP_PKlPlN2at6native12_GLOBAL__N_18offset_tEEE10hipError_tPvRmT1_PNSt15iterator_traitsIS13_E10value_typeET2_T3_PNS14_IS19_E10value_typeET4_jRbjT5_S1F_jjP12ihipStream_tbEUljE_ZNSN_ISO_Lb1ESR_SS_SU_SV_SZ_EES10_S11_S12_S13_S17_S18_S19_S1C_S1D_jS1E_jS1F_S1F_jjS1H_bEUljE0_EEES10_S11_S12_S19_S1D_S1F_T6_T7_T9_mT8_S1H_bDpT10_ENKUlT_T0_E_clISt17integral_constantIbLb1EES1U_IbLb0EEEEDaS1Q_S1R_EUlS1Q_E_NS1_11comp_targetILNS1_3genE3ELNS1_11target_archE908ELNS1_3gpuE7ELNS1_3repE0EEENS1_30default_config_static_selectorELNS0_4arch9wavefront6targetE0EEEvS13_
	.p2align	8
	.type	_ZN7rocprim17ROCPRIM_400000_NS6detail17trampoline_kernelINS0_13select_configILj256ELj13ELNS0_17block_load_methodE3ELS4_3ELS4_3ELNS0_20block_scan_algorithmE0ELj4294967295EEENS1_25partition_config_selectorILNS1_17partition_subalgoE4EjNS0_10empty_typeEbEEZZNS1_14partition_implILS8_4ELb0ES6_15HIP_vector_typeIjLj2EENS0_17counting_iteratorIjlEEPS9_SG_NS0_5tupleIJPjSI_NS0_16reverse_iteratorISI_EEEEENSH_IJSG_SG_SG_EEES9_SI_JZNS1_25segmented_radix_sort_implINS0_14default_configELb1EPK12hip_bfloat16PSP_PKlPlN2at6native12_GLOBAL__N_18offset_tEEE10hipError_tPvRmT1_PNSt15iterator_traitsIS13_E10value_typeET2_T3_PNS14_IS19_E10value_typeET4_jRbjT5_S1F_jjP12ihipStream_tbEUljE_ZNSN_ISO_Lb1ESR_SS_SU_SV_SZ_EES10_S11_S12_S13_S17_S18_S19_S1C_S1D_jS1E_jS1F_S1F_jjS1H_bEUljE0_EEES10_S11_S12_S19_S1D_S1F_T6_T7_T9_mT8_S1H_bDpT10_ENKUlT_T0_E_clISt17integral_constantIbLb1EES1U_IbLb0EEEEDaS1Q_S1R_EUlS1Q_E_NS1_11comp_targetILNS1_3genE3ELNS1_11target_archE908ELNS1_3gpuE7ELNS1_3repE0EEENS1_30default_config_static_selectorELNS0_4arch9wavefront6targetE0EEEvS13_,@function
_ZN7rocprim17ROCPRIM_400000_NS6detail17trampoline_kernelINS0_13select_configILj256ELj13ELNS0_17block_load_methodE3ELS4_3ELS4_3ELNS0_20block_scan_algorithmE0ELj4294967295EEENS1_25partition_config_selectorILNS1_17partition_subalgoE4EjNS0_10empty_typeEbEEZZNS1_14partition_implILS8_4ELb0ES6_15HIP_vector_typeIjLj2EENS0_17counting_iteratorIjlEEPS9_SG_NS0_5tupleIJPjSI_NS0_16reverse_iteratorISI_EEEEENSH_IJSG_SG_SG_EEES9_SI_JZNS1_25segmented_radix_sort_implINS0_14default_configELb1EPK12hip_bfloat16PSP_PKlPlN2at6native12_GLOBAL__N_18offset_tEEE10hipError_tPvRmT1_PNSt15iterator_traitsIS13_E10value_typeET2_T3_PNS14_IS19_E10value_typeET4_jRbjT5_S1F_jjP12ihipStream_tbEUljE_ZNSN_ISO_Lb1ESR_SS_SU_SV_SZ_EES10_S11_S12_S13_S17_S18_S19_S1C_S1D_jS1E_jS1F_S1F_jjS1H_bEUljE0_EEES10_S11_S12_S19_S1D_S1F_T6_T7_T9_mT8_S1H_bDpT10_ENKUlT_T0_E_clISt17integral_constantIbLb1EES1U_IbLb0EEEEDaS1Q_S1R_EUlS1Q_E_NS1_11comp_targetILNS1_3genE3ELNS1_11target_archE908ELNS1_3gpuE7ELNS1_3repE0EEENS1_30default_config_static_selectorELNS0_4arch9wavefront6targetE0EEEvS13_: ; @_ZN7rocprim17ROCPRIM_400000_NS6detail17trampoline_kernelINS0_13select_configILj256ELj13ELNS0_17block_load_methodE3ELS4_3ELS4_3ELNS0_20block_scan_algorithmE0ELj4294967295EEENS1_25partition_config_selectorILNS1_17partition_subalgoE4EjNS0_10empty_typeEbEEZZNS1_14partition_implILS8_4ELb0ES6_15HIP_vector_typeIjLj2EENS0_17counting_iteratorIjlEEPS9_SG_NS0_5tupleIJPjSI_NS0_16reverse_iteratorISI_EEEEENSH_IJSG_SG_SG_EEES9_SI_JZNS1_25segmented_radix_sort_implINS0_14default_configELb1EPK12hip_bfloat16PSP_PKlPlN2at6native12_GLOBAL__N_18offset_tEEE10hipError_tPvRmT1_PNSt15iterator_traitsIS13_E10value_typeET2_T3_PNS14_IS19_E10value_typeET4_jRbjT5_S1F_jjP12ihipStream_tbEUljE_ZNSN_ISO_Lb1ESR_SS_SU_SV_SZ_EES10_S11_S12_S13_S17_S18_S19_S1C_S1D_jS1E_jS1F_S1F_jjS1H_bEUljE0_EEES10_S11_S12_S19_S1D_S1F_T6_T7_T9_mT8_S1H_bDpT10_ENKUlT_T0_E_clISt17integral_constantIbLb1EES1U_IbLb0EEEEDaS1Q_S1R_EUlS1Q_E_NS1_11comp_targetILNS1_3genE3ELNS1_11target_archE908ELNS1_3gpuE7ELNS1_3repE0EEENS1_30default_config_static_selectorELNS0_4arch9wavefront6targetE0EEEvS13_
; %bb.0:
	.section	.rodata,"a",@progbits
	.p2align	6, 0x0
	.amdhsa_kernel _ZN7rocprim17ROCPRIM_400000_NS6detail17trampoline_kernelINS0_13select_configILj256ELj13ELNS0_17block_load_methodE3ELS4_3ELS4_3ELNS0_20block_scan_algorithmE0ELj4294967295EEENS1_25partition_config_selectorILNS1_17partition_subalgoE4EjNS0_10empty_typeEbEEZZNS1_14partition_implILS8_4ELb0ES6_15HIP_vector_typeIjLj2EENS0_17counting_iteratorIjlEEPS9_SG_NS0_5tupleIJPjSI_NS0_16reverse_iteratorISI_EEEEENSH_IJSG_SG_SG_EEES9_SI_JZNS1_25segmented_radix_sort_implINS0_14default_configELb1EPK12hip_bfloat16PSP_PKlPlN2at6native12_GLOBAL__N_18offset_tEEE10hipError_tPvRmT1_PNSt15iterator_traitsIS13_E10value_typeET2_T3_PNS14_IS19_E10value_typeET4_jRbjT5_S1F_jjP12ihipStream_tbEUljE_ZNSN_ISO_Lb1ESR_SS_SU_SV_SZ_EES10_S11_S12_S13_S17_S18_S19_S1C_S1D_jS1E_jS1F_S1F_jjS1H_bEUljE0_EEES10_S11_S12_S19_S1D_S1F_T6_T7_T9_mT8_S1H_bDpT10_ENKUlT_T0_E_clISt17integral_constantIbLb1EES1U_IbLb0EEEEDaS1Q_S1R_EUlS1Q_E_NS1_11comp_targetILNS1_3genE3ELNS1_11target_archE908ELNS1_3gpuE7ELNS1_3repE0EEENS1_30default_config_static_selectorELNS0_4arch9wavefront6targetE0EEEvS13_
		.amdhsa_group_segment_fixed_size 0
		.amdhsa_private_segment_fixed_size 0
		.amdhsa_kernarg_size 176
		.amdhsa_user_sgpr_count 6
		.amdhsa_user_sgpr_private_segment_buffer 1
		.amdhsa_user_sgpr_dispatch_ptr 0
		.amdhsa_user_sgpr_queue_ptr 0
		.amdhsa_user_sgpr_kernarg_segment_ptr 1
		.amdhsa_user_sgpr_dispatch_id 0
		.amdhsa_user_sgpr_flat_scratch_init 0
		.amdhsa_user_sgpr_private_segment_size 0
		.amdhsa_wavefront_size32 1
		.amdhsa_uses_dynamic_stack 0
		.amdhsa_system_sgpr_private_segment_wavefront_offset 0
		.amdhsa_system_sgpr_workgroup_id_x 1
		.amdhsa_system_sgpr_workgroup_id_y 0
		.amdhsa_system_sgpr_workgroup_id_z 0
		.amdhsa_system_sgpr_workgroup_info 0
		.amdhsa_system_vgpr_workitem_id 0
		.amdhsa_next_free_vgpr 1
		.amdhsa_next_free_sgpr 1
		.amdhsa_reserve_vcc 0
		.amdhsa_reserve_flat_scratch 0
		.amdhsa_float_round_mode_32 0
		.amdhsa_float_round_mode_16_64 0
		.amdhsa_float_denorm_mode_32 3
		.amdhsa_float_denorm_mode_16_64 3
		.amdhsa_dx10_clamp 1
		.amdhsa_ieee_mode 1
		.amdhsa_fp16_overflow 0
		.amdhsa_workgroup_processor_mode 1
		.amdhsa_memory_ordered 1
		.amdhsa_forward_progress 1
		.amdhsa_shared_vgpr_count 0
		.amdhsa_exception_fp_ieee_invalid_op 0
		.amdhsa_exception_fp_denorm_src 0
		.amdhsa_exception_fp_ieee_div_zero 0
		.amdhsa_exception_fp_ieee_overflow 0
		.amdhsa_exception_fp_ieee_underflow 0
		.amdhsa_exception_fp_ieee_inexact 0
		.amdhsa_exception_int_div_zero 0
	.end_amdhsa_kernel
	.section	.text._ZN7rocprim17ROCPRIM_400000_NS6detail17trampoline_kernelINS0_13select_configILj256ELj13ELNS0_17block_load_methodE3ELS4_3ELS4_3ELNS0_20block_scan_algorithmE0ELj4294967295EEENS1_25partition_config_selectorILNS1_17partition_subalgoE4EjNS0_10empty_typeEbEEZZNS1_14partition_implILS8_4ELb0ES6_15HIP_vector_typeIjLj2EENS0_17counting_iteratorIjlEEPS9_SG_NS0_5tupleIJPjSI_NS0_16reverse_iteratorISI_EEEEENSH_IJSG_SG_SG_EEES9_SI_JZNS1_25segmented_radix_sort_implINS0_14default_configELb1EPK12hip_bfloat16PSP_PKlPlN2at6native12_GLOBAL__N_18offset_tEEE10hipError_tPvRmT1_PNSt15iterator_traitsIS13_E10value_typeET2_T3_PNS14_IS19_E10value_typeET4_jRbjT5_S1F_jjP12ihipStream_tbEUljE_ZNSN_ISO_Lb1ESR_SS_SU_SV_SZ_EES10_S11_S12_S13_S17_S18_S19_S1C_S1D_jS1E_jS1F_S1F_jjS1H_bEUljE0_EEES10_S11_S12_S19_S1D_S1F_T6_T7_T9_mT8_S1H_bDpT10_ENKUlT_T0_E_clISt17integral_constantIbLb1EES1U_IbLb0EEEEDaS1Q_S1R_EUlS1Q_E_NS1_11comp_targetILNS1_3genE3ELNS1_11target_archE908ELNS1_3gpuE7ELNS1_3repE0EEENS1_30default_config_static_selectorELNS0_4arch9wavefront6targetE0EEEvS13_,"axG",@progbits,_ZN7rocprim17ROCPRIM_400000_NS6detail17trampoline_kernelINS0_13select_configILj256ELj13ELNS0_17block_load_methodE3ELS4_3ELS4_3ELNS0_20block_scan_algorithmE0ELj4294967295EEENS1_25partition_config_selectorILNS1_17partition_subalgoE4EjNS0_10empty_typeEbEEZZNS1_14partition_implILS8_4ELb0ES6_15HIP_vector_typeIjLj2EENS0_17counting_iteratorIjlEEPS9_SG_NS0_5tupleIJPjSI_NS0_16reverse_iteratorISI_EEEEENSH_IJSG_SG_SG_EEES9_SI_JZNS1_25segmented_radix_sort_implINS0_14default_configELb1EPK12hip_bfloat16PSP_PKlPlN2at6native12_GLOBAL__N_18offset_tEEE10hipError_tPvRmT1_PNSt15iterator_traitsIS13_E10value_typeET2_T3_PNS14_IS19_E10value_typeET4_jRbjT5_S1F_jjP12ihipStream_tbEUljE_ZNSN_ISO_Lb1ESR_SS_SU_SV_SZ_EES10_S11_S12_S13_S17_S18_S19_S1C_S1D_jS1E_jS1F_S1F_jjS1H_bEUljE0_EEES10_S11_S12_S19_S1D_S1F_T6_T7_T9_mT8_S1H_bDpT10_ENKUlT_T0_E_clISt17integral_constantIbLb1EES1U_IbLb0EEEEDaS1Q_S1R_EUlS1Q_E_NS1_11comp_targetILNS1_3genE3ELNS1_11target_archE908ELNS1_3gpuE7ELNS1_3repE0EEENS1_30default_config_static_selectorELNS0_4arch9wavefront6targetE0EEEvS13_,comdat
.Lfunc_end1891:
	.size	_ZN7rocprim17ROCPRIM_400000_NS6detail17trampoline_kernelINS0_13select_configILj256ELj13ELNS0_17block_load_methodE3ELS4_3ELS4_3ELNS0_20block_scan_algorithmE0ELj4294967295EEENS1_25partition_config_selectorILNS1_17partition_subalgoE4EjNS0_10empty_typeEbEEZZNS1_14partition_implILS8_4ELb0ES6_15HIP_vector_typeIjLj2EENS0_17counting_iteratorIjlEEPS9_SG_NS0_5tupleIJPjSI_NS0_16reverse_iteratorISI_EEEEENSH_IJSG_SG_SG_EEES9_SI_JZNS1_25segmented_radix_sort_implINS0_14default_configELb1EPK12hip_bfloat16PSP_PKlPlN2at6native12_GLOBAL__N_18offset_tEEE10hipError_tPvRmT1_PNSt15iterator_traitsIS13_E10value_typeET2_T3_PNS14_IS19_E10value_typeET4_jRbjT5_S1F_jjP12ihipStream_tbEUljE_ZNSN_ISO_Lb1ESR_SS_SU_SV_SZ_EES10_S11_S12_S13_S17_S18_S19_S1C_S1D_jS1E_jS1F_S1F_jjS1H_bEUljE0_EEES10_S11_S12_S19_S1D_S1F_T6_T7_T9_mT8_S1H_bDpT10_ENKUlT_T0_E_clISt17integral_constantIbLb1EES1U_IbLb0EEEEDaS1Q_S1R_EUlS1Q_E_NS1_11comp_targetILNS1_3genE3ELNS1_11target_archE908ELNS1_3gpuE7ELNS1_3repE0EEENS1_30default_config_static_selectorELNS0_4arch9wavefront6targetE0EEEvS13_, .Lfunc_end1891-_ZN7rocprim17ROCPRIM_400000_NS6detail17trampoline_kernelINS0_13select_configILj256ELj13ELNS0_17block_load_methodE3ELS4_3ELS4_3ELNS0_20block_scan_algorithmE0ELj4294967295EEENS1_25partition_config_selectorILNS1_17partition_subalgoE4EjNS0_10empty_typeEbEEZZNS1_14partition_implILS8_4ELb0ES6_15HIP_vector_typeIjLj2EENS0_17counting_iteratorIjlEEPS9_SG_NS0_5tupleIJPjSI_NS0_16reverse_iteratorISI_EEEEENSH_IJSG_SG_SG_EEES9_SI_JZNS1_25segmented_radix_sort_implINS0_14default_configELb1EPK12hip_bfloat16PSP_PKlPlN2at6native12_GLOBAL__N_18offset_tEEE10hipError_tPvRmT1_PNSt15iterator_traitsIS13_E10value_typeET2_T3_PNS14_IS19_E10value_typeET4_jRbjT5_S1F_jjP12ihipStream_tbEUljE_ZNSN_ISO_Lb1ESR_SS_SU_SV_SZ_EES10_S11_S12_S13_S17_S18_S19_S1C_S1D_jS1E_jS1F_S1F_jjS1H_bEUljE0_EEES10_S11_S12_S19_S1D_S1F_T6_T7_T9_mT8_S1H_bDpT10_ENKUlT_T0_E_clISt17integral_constantIbLb1EES1U_IbLb0EEEEDaS1Q_S1R_EUlS1Q_E_NS1_11comp_targetILNS1_3genE3ELNS1_11target_archE908ELNS1_3gpuE7ELNS1_3repE0EEENS1_30default_config_static_selectorELNS0_4arch9wavefront6targetE0EEEvS13_
                                        ; -- End function
	.set _ZN7rocprim17ROCPRIM_400000_NS6detail17trampoline_kernelINS0_13select_configILj256ELj13ELNS0_17block_load_methodE3ELS4_3ELS4_3ELNS0_20block_scan_algorithmE0ELj4294967295EEENS1_25partition_config_selectorILNS1_17partition_subalgoE4EjNS0_10empty_typeEbEEZZNS1_14partition_implILS8_4ELb0ES6_15HIP_vector_typeIjLj2EENS0_17counting_iteratorIjlEEPS9_SG_NS0_5tupleIJPjSI_NS0_16reverse_iteratorISI_EEEEENSH_IJSG_SG_SG_EEES9_SI_JZNS1_25segmented_radix_sort_implINS0_14default_configELb1EPK12hip_bfloat16PSP_PKlPlN2at6native12_GLOBAL__N_18offset_tEEE10hipError_tPvRmT1_PNSt15iterator_traitsIS13_E10value_typeET2_T3_PNS14_IS19_E10value_typeET4_jRbjT5_S1F_jjP12ihipStream_tbEUljE_ZNSN_ISO_Lb1ESR_SS_SU_SV_SZ_EES10_S11_S12_S13_S17_S18_S19_S1C_S1D_jS1E_jS1F_S1F_jjS1H_bEUljE0_EEES10_S11_S12_S19_S1D_S1F_T6_T7_T9_mT8_S1H_bDpT10_ENKUlT_T0_E_clISt17integral_constantIbLb1EES1U_IbLb0EEEEDaS1Q_S1R_EUlS1Q_E_NS1_11comp_targetILNS1_3genE3ELNS1_11target_archE908ELNS1_3gpuE7ELNS1_3repE0EEENS1_30default_config_static_selectorELNS0_4arch9wavefront6targetE0EEEvS13_.num_vgpr, 0
	.set _ZN7rocprim17ROCPRIM_400000_NS6detail17trampoline_kernelINS0_13select_configILj256ELj13ELNS0_17block_load_methodE3ELS4_3ELS4_3ELNS0_20block_scan_algorithmE0ELj4294967295EEENS1_25partition_config_selectorILNS1_17partition_subalgoE4EjNS0_10empty_typeEbEEZZNS1_14partition_implILS8_4ELb0ES6_15HIP_vector_typeIjLj2EENS0_17counting_iteratorIjlEEPS9_SG_NS0_5tupleIJPjSI_NS0_16reverse_iteratorISI_EEEEENSH_IJSG_SG_SG_EEES9_SI_JZNS1_25segmented_radix_sort_implINS0_14default_configELb1EPK12hip_bfloat16PSP_PKlPlN2at6native12_GLOBAL__N_18offset_tEEE10hipError_tPvRmT1_PNSt15iterator_traitsIS13_E10value_typeET2_T3_PNS14_IS19_E10value_typeET4_jRbjT5_S1F_jjP12ihipStream_tbEUljE_ZNSN_ISO_Lb1ESR_SS_SU_SV_SZ_EES10_S11_S12_S13_S17_S18_S19_S1C_S1D_jS1E_jS1F_S1F_jjS1H_bEUljE0_EEES10_S11_S12_S19_S1D_S1F_T6_T7_T9_mT8_S1H_bDpT10_ENKUlT_T0_E_clISt17integral_constantIbLb1EES1U_IbLb0EEEEDaS1Q_S1R_EUlS1Q_E_NS1_11comp_targetILNS1_3genE3ELNS1_11target_archE908ELNS1_3gpuE7ELNS1_3repE0EEENS1_30default_config_static_selectorELNS0_4arch9wavefront6targetE0EEEvS13_.num_agpr, 0
	.set _ZN7rocprim17ROCPRIM_400000_NS6detail17trampoline_kernelINS0_13select_configILj256ELj13ELNS0_17block_load_methodE3ELS4_3ELS4_3ELNS0_20block_scan_algorithmE0ELj4294967295EEENS1_25partition_config_selectorILNS1_17partition_subalgoE4EjNS0_10empty_typeEbEEZZNS1_14partition_implILS8_4ELb0ES6_15HIP_vector_typeIjLj2EENS0_17counting_iteratorIjlEEPS9_SG_NS0_5tupleIJPjSI_NS0_16reverse_iteratorISI_EEEEENSH_IJSG_SG_SG_EEES9_SI_JZNS1_25segmented_radix_sort_implINS0_14default_configELb1EPK12hip_bfloat16PSP_PKlPlN2at6native12_GLOBAL__N_18offset_tEEE10hipError_tPvRmT1_PNSt15iterator_traitsIS13_E10value_typeET2_T3_PNS14_IS19_E10value_typeET4_jRbjT5_S1F_jjP12ihipStream_tbEUljE_ZNSN_ISO_Lb1ESR_SS_SU_SV_SZ_EES10_S11_S12_S13_S17_S18_S19_S1C_S1D_jS1E_jS1F_S1F_jjS1H_bEUljE0_EEES10_S11_S12_S19_S1D_S1F_T6_T7_T9_mT8_S1H_bDpT10_ENKUlT_T0_E_clISt17integral_constantIbLb1EES1U_IbLb0EEEEDaS1Q_S1R_EUlS1Q_E_NS1_11comp_targetILNS1_3genE3ELNS1_11target_archE908ELNS1_3gpuE7ELNS1_3repE0EEENS1_30default_config_static_selectorELNS0_4arch9wavefront6targetE0EEEvS13_.numbered_sgpr, 0
	.set _ZN7rocprim17ROCPRIM_400000_NS6detail17trampoline_kernelINS0_13select_configILj256ELj13ELNS0_17block_load_methodE3ELS4_3ELS4_3ELNS0_20block_scan_algorithmE0ELj4294967295EEENS1_25partition_config_selectorILNS1_17partition_subalgoE4EjNS0_10empty_typeEbEEZZNS1_14partition_implILS8_4ELb0ES6_15HIP_vector_typeIjLj2EENS0_17counting_iteratorIjlEEPS9_SG_NS0_5tupleIJPjSI_NS0_16reverse_iteratorISI_EEEEENSH_IJSG_SG_SG_EEES9_SI_JZNS1_25segmented_radix_sort_implINS0_14default_configELb1EPK12hip_bfloat16PSP_PKlPlN2at6native12_GLOBAL__N_18offset_tEEE10hipError_tPvRmT1_PNSt15iterator_traitsIS13_E10value_typeET2_T3_PNS14_IS19_E10value_typeET4_jRbjT5_S1F_jjP12ihipStream_tbEUljE_ZNSN_ISO_Lb1ESR_SS_SU_SV_SZ_EES10_S11_S12_S13_S17_S18_S19_S1C_S1D_jS1E_jS1F_S1F_jjS1H_bEUljE0_EEES10_S11_S12_S19_S1D_S1F_T6_T7_T9_mT8_S1H_bDpT10_ENKUlT_T0_E_clISt17integral_constantIbLb1EES1U_IbLb0EEEEDaS1Q_S1R_EUlS1Q_E_NS1_11comp_targetILNS1_3genE3ELNS1_11target_archE908ELNS1_3gpuE7ELNS1_3repE0EEENS1_30default_config_static_selectorELNS0_4arch9wavefront6targetE0EEEvS13_.num_named_barrier, 0
	.set _ZN7rocprim17ROCPRIM_400000_NS6detail17trampoline_kernelINS0_13select_configILj256ELj13ELNS0_17block_load_methodE3ELS4_3ELS4_3ELNS0_20block_scan_algorithmE0ELj4294967295EEENS1_25partition_config_selectorILNS1_17partition_subalgoE4EjNS0_10empty_typeEbEEZZNS1_14partition_implILS8_4ELb0ES6_15HIP_vector_typeIjLj2EENS0_17counting_iteratorIjlEEPS9_SG_NS0_5tupleIJPjSI_NS0_16reverse_iteratorISI_EEEEENSH_IJSG_SG_SG_EEES9_SI_JZNS1_25segmented_radix_sort_implINS0_14default_configELb1EPK12hip_bfloat16PSP_PKlPlN2at6native12_GLOBAL__N_18offset_tEEE10hipError_tPvRmT1_PNSt15iterator_traitsIS13_E10value_typeET2_T3_PNS14_IS19_E10value_typeET4_jRbjT5_S1F_jjP12ihipStream_tbEUljE_ZNSN_ISO_Lb1ESR_SS_SU_SV_SZ_EES10_S11_S12_S13_S17_S18_S19_S1C_S1D_jS1E_jS1F_S1F_jjS1H_bEUljE0_EEES10_S11_S12_S19_S1D_S1F_T6_T7_T9_mT8_S1H_bDpT10_ENKUlT_T0_E_clISt17integral_constantIbLb1EES1U_IbLb0EEEEDaS1Q_S1R_EUlS1Q_E_NS1_11comp_targetILNS1_3genE3ELNS1_11target_archE908ELNS1_3gpuE7ELNS1_3repE0EEENS1_30default_config_static_selectorELNS0_4arch9wavefront6targetE0EEEvS13_.private_seg_size, 0
	.set _ZN7rocprim17ROCPRIM_400000_NS6detail17trampoline_kernelINS0_13select_configILj256ELj13ELNS0_17block_load_methodE3ELS4_3ELS4_3ELNS0_20block_scan_algorithmE0ELj4294967295EEENS1_25partition_config_selectorILNS1_17partition_subalgoE4EjNS0_10empty_typeEbEEZZNS1_14partition_implILS8_4ELb0ES6_15HIP_vector_typeIjLj2EENS0_17counting_iteratorIjlEEPS9_SG_NS0_5tupleIJPjSI_NS0_16reverse_iteratorISI_EEEEENSH_IJSG_SG_SG_EEES9_SI_JZNS1_25segmented_radix_sort_implINS0_14default_configELb1EPK12hip_bfloat16PSP_PKlPlN2at6native12_GLOBAL__N_18offset_tEEE10hipError_tPvRmT1_PNSt15iterator_traitsIS13_E10value_typeET2_T3_PNS14_IS19_E10value_typeET4_jRbjT5_S1F_jjP12ihipStream_tbEUljE_ZNSN_ISO_Lb1ESR_SS_SU_SV_SZ_EES10_S11_S12_S13_S17_S18_S19_S1C_S1D_jS1E_jS1F_S1F_jjS1H_bEUljE0_EEES10_S11_S12_S19_S1D_S1F_T6_T7_T9_mT8_S1H_bDpT10_ENKUlT_T0_E_clISt17integral_constantIbLb1EES1U_IbLb0EEEEDaS1Q_S1R_EUlS1Q_E_NS1_11comp_targetILNS1_3genE3ELNS1_11target_archE908ELNS1_3gpuE7ELNS1_3repE0EEENS1_30default_config_static_selectorELNS0_4arch9wavefront6targetE0EEEvS13_.uses_vcc, 0
	.set _ZN7rocprim17ROCPRIM_400000_NS6detail17trampoline_kernelINS0_13select_configILj256ELj13ELNS0_17block_load_methodE3ELS4_3ELS4_3ELNS0_20block_scan_algorithmE0ELj4294967295EEENS1_25partition_config_selectorILNS1_17partition_subalgoE4EjNS0_10empty_typeEbEEZZNS1_14partition_implILS8_4ELb0ES6_15HIP_vector_typeIjLj2EENS0_17counting_iteratorIjlEEPS9_SG_NS0_5tupleIJPjSI_NS0_16reverse_iteratorISI_EEEEENSH_IJSG_SG_SG_EEES9_SI_JZNS1_25segmented_radix_sort_implINS0_14default_configELb1EPK12hip_bfloat16PSP_PKlPlN2at6native12_GLOBAL__N_18offset_tEEE10hipError_tPvRmT1_PNSt15iterator_traitsIS13_E10value_typeET2_T3_PNS14_IS19_E10value_typeET4_jRbjT5_S1F_jjP12ihipStream_tbEUljE_ZNSN_ISO_Lb1ESR_SS_SU_SV_SZ_EES10_S11_S12_S13_S17_S18_S19_S1C_S1D_jS1E_jS1F_S1F_jjS1H_bEUljE0_EEES10_S11_S12_S19_S1D_S1F_T6_T7_T9_mT8_S1H_bDpT10_ENKUlT_T0_E_clISt17integral_constantIbLb1EES1U_IbLb0EEEEDaS1Q_S1R_EUlS1Q_E_NS1_11comp_targetILNS1_3genE3ELNS1_11target_archE908ELNS1_3gpuE7ELNS1_3repE0EEENS1_30default_config_static_selectorELNS0_4arch9wavefront6targetE0EEEvS13_.uses_flat_scratch, 0
	.set _ZN7rocprim17ROCPRIM_400000_NS6detail17trampoline_kernelINS0_13select_configILj256ELj13ELNS0_17block_load_methodE3ELS4_3ELS4_3ELNS0_20block_scan_algorithmE0ELj4294967295EEENS1_25partition_config_selectorILNS1_17partition_subalgoE4EjNS0_10empty_typeEbEEZZNS1_14partition_implILS8_4ELb0ES6_15HIP_vector_typeIjLj2EENS0_17counting_iteratorIjlEEPS9_SG_NS0_5tupleIJPjSI_NS0_16reverse_iteratorISI_EEEEENSH_IJSG_SG_SG_EEES9_SI_JZNS1_25segmented_radix_sort_implINS0_14default_configELb1EPK12hip_bfloat16PSP_PKlPlN2at6native12_GLOBAL__N_18offset_tEEE10hipError_tPvRmT1_PNSt15iterator_traitsIS13_E10value_typeET2_T3_PNS14_IS19_E10value_typeET4_jRbjT5_S1F_jjP12ihipStream_tbEUljE_ZNSN_ISO_Lb1ESR_SS_SU_SV_SZ_EES10_S11_S12_S13_S17_S18_S19_S1C_S1D_jS1E_jS1F_S1F_jjS1H_bEUljE0_EEES10_S11_S12_S19_S1D_S1F_T6_T7_T9_mT8_S1H_bDpT10_ENKUlT_T0_E_clISt17integral_constantIbLb1EES1U_IbLb0EEEEDaS1Q_S1R_EUlS1Q_E_NS1_11comp_targetILNS1_3genE3ELNS1_11target_archE908ELNS1_3gpuE7ELNS1_3repE0EEENS1_30default_config_static_selectorELNS0_4arch9wavefront6targetE0EEEvS13_.has_dyn_sized_stack, 0
	.set _ZN7rocprim17ROCPRIM_400000_NS6detail17trampoline_kernelINS0_13select_configILj256ELj13ELNS0_17block_load_methodE3ELS4_3ELS4_3ELNS0_20block_scan_algorithmE0ELj4294967295EEENS1_25partition_config_selectorILNS1_17partition_subalgoE4EjNS0_10empty_typeEbEEZZNS1_14partition_implILS8_4ELb0ES6_15HIP_vector_typeIjLj2EENS0_17counting_iteratorIjlEEPS9_SG_NS0_5tupleIJPjSI_NS0_16reverse_iteratorISI_EEEEENSH_IJSG_SG_SG_EEES9_SI_JZNS1_25segmented_radix_sort_implINS0_14default_configELb1EPK12hip_bfloat16PSP_PKlPlN2at6native12_GLOBAL__N_18offset_tEEE10hipError_tPvRmT1_PNSt15iterator_traitsIS13_E10value_typeET2_T3_PNS14_IS19_E10value_typeET4_jRbjT5_S1F_jjP12ihipStream_tbEUljE_ZNSN_ISO_Lb1ESR_SS_SU_SV_SZ_EES10_S11_S12_S13_S17_S18_S19_S1C_S1D_jS1E_jS1F_S1F_jjS1H_bEUljE0_EEES10_S11_S12_S19_S1D_S1F_T6_T7_T9_mT8_S1H_bDpT10_ENKUlT_T0_E_clISt17integral_constantIbLb1EES1U_IbLb0EEEEDaS1Q_S1R_EUlS1Q_E_NS1_11comp_targetILNS1_3genE3ELNS1_11target_archE908ELNS1_3gpuE7ELNS1_3repE0EEENS1_30default_config_static_selectorELNS0_4arch9wavefront6targetE0EEEvS13_.has_recursion, 0
	.set _ZN7rocprim17ROCPRIM_400000_NS6detail17trampoline_kernelINS0_13select_configILj256ELj13ELNS0_17block_load_methodE3ELS4_3ELS4_3ELNS0_20block_scan_algorithmE0ELj4294967295EEENS1_25partition_config_selectorILNS1_17partition_subalgoE4EjNS0_10empty_typeEbEEZZNS1_14partition_implILS8_4ELb0ES6_15HIP_vector_typeIjLj2EENS0_17counting_iteratorIjlEEPS9_SG_NS0_5tupleIJPjSI_NS0_16reverse_iteratorISI_EEEEENSH_IJSG_SG_SG_EEES9_SI_JZNS1_25segmented_radix_sort_implINS0_14default_configELb1EPK12hip_bfloat16PSP_PKlPlN2at6native12_GLOBAL__N_18offset_tEEE10hipError_tPvRmT1_PNSt15iterator_traitsIS13_E10value_typeET2_T3_PNS14_IS19_E10value_typeET4_jRbjT5_S1F_jjP12ihipStream_tbEUljE_ZNSN_ISO_Lb1ESR_SS_SU_SV_SZ_EES10_S11_S12_S13_S17_S18_S19_S1C_S1D_jS1E_jS1F_S1F_jjS1H_bEUljE0_EEES10_S11_S12_S19_S1D_S1F_T6_T7_T9_mT8_S1H_bDpT10_ENKUlT_T0_E_clISt17integral_constantIbLb1EES1U_IbLb0EEEEDaS1Q_S1R_EUlS1Q_E_NS1_11comp_targetILNS1_3genE3ELNS1_11target_archE908ELNS1_3gpuE7ELNS1_3repE0EEENS1_30default_config_static_selectorELNS0_4arch9wavefront6targetE0EEEvS13_.has_indirect_call, 0
	.section	.AMDGPU.csdata,"",@progbits
; Kernel info:
; codeLenInByte = 0
; TotalNumSgprs: 0
; NumVgprs: 0
; ScratchSize: 0
; MemoryBound: 0
; FloatMode: 240
; IeeeMode: 1
; LDSByteSize: 0 bytes/workgroup (compile time only)
; SGPRBlocks: 0
; VGPRBlocks: 0
; NumSGPRsForWavesPerEU: 1
; NumVGPRsForWavesPerEU: 1
; Occupancy: 16
; WaveLimiterHint : 0
; COMPUTE_PGM_RSRC2:SCRATCH_EN: 0
; COMPUTE_PGM_RSRC2:USER_SGPR: 6
; COMPUTE_PGM_RSRC2:TRAP_HANDLER: 0
; COMPUTE_PGM_RSRC2:TGID_X_EN: 1
; COMPUTE_PGM_RSRC2:TGID_Y_EN: 0
; COMPUTE_PGM_RSRC2:TGID_Z_EN: 0
; COMPUTE_PGM_RSRC2:TIDIG_COMP_CNT: 0
	.section	.text._ZN7rocprim17ROCPRIM_400000_NS6detail17trampoline_kernelINS0_13select_configILj256ELj13ELNS0_17block_load_methodE3ELS4_3ELS4_3ELNS0_20block_scan_algorithmE0ELj4294967295EEENS1_25partition_config_selectorILNS1_17partition_subalgoE4EjNS0_10empty_typeEbEEZZNS1_14partition_implILS8_4ELb0ES6_15HIP_vector_typeIjLj2EENS0_17counting_iteratorIjlEEPS9_SG_NS0_5tupleIJPjSI_NS0_16reverse_iteratorISI_EEEEENSH_IJSG_SG_SG_EEES9_SI_JZNS1_25segmented_radix_sort_implINS0_14default_configELb1EPK12hip_bfloat16PSP_PKlPlN2at6native12_GLOBAL__N_18offset_tEEE10hipError_tPvRmT1_PNSt15iterator_traitsIS13_E10value_typeET2_T3_PNS14_IS19_E10value_typeET4_jRbjT5_S1F_jjP12ihipStream_tbEUljE_ZNSN_ISO_Lb1ESR_SS_SU_SV_SZ_EES10_S11_S12_S13_S17_S18_S19_S1C_S1D_jS1E_jS1F_S1F_jjS1H_bEUljE0_EEES10_S11_S12_S19_S1D_S1F_T6_T7_T9_mT8_S1H_bDpT10_ENKUlT_T0_E_clISt17integral_constantIbLb1EES1U_IbLb0EEEEDaS1Q_S1R_EUlS1Q_E_NS1_11comp_targetILNS1_3genE2ELNS1_11target_archE906ELNS1_3gpuE6ELNS1_3repE0EEENS1_30default_config_static_selectorELNS0_4arch9wavefront6targetE0EEEvS13_,"axG",@progbits,_ZN7rocprim17ROCPRIM_400000_NS6detail17trampoline_kernelINS0_13select_configILj256ELj13ELNS0_17block_load_methodE3ELS4_3ELS4_3ELNS0_20block_scan_algorithmE0ELj4294967295EEENS1_25partition_config_selectorILNS1_17partition_subalgoE4EjNS0_10empty_typeEbEEZZNS1_14partition_implILS8_4ELb0ES6_15HIP_vector_typeIjLj2EENS0_17counting_iteratorIjlEEPS9_SG_NS0_5tupleIJPjSI_NS0_16reverse_iteratorISI_EEEEENSH_IJSG_SG_SG_EEES9_SI_JZNS1_25segmented_radix_sort_implINS0_14default_configELb1EPK12hip_bfloat16PSP_PKlPlN2at6native12_GLOBAL__N_18offset_tEEE10hipError_tPvRmT1_PNSt15iterator_traitsIS13_E10value_typeET2_T3_PNS14_IS19_E10value_typeET4_jRbjT5_S1F_jjP12ihipStream_tbEUljE_ZNSN_ISO_Lb1ESR_SS_SU_SV_SZ_EES10_S11_S12_S13_S17_S18_S19_S1C_S1D_jS1E_jS1F_S1F_jjS1H_bEUljE0_EEES10_S11_S12_S19_S1D_S1F_T6_T7_T9_mT8_S1H_bDpT10_ENKUlT_T0_E_clISt17integral_constantIbLb1EES1U_IbLb0EEEEDaS1Q_S1R_EUlS1Q_E_NS1_11comp_targetILNS1_3genE2ELNS1_11target_archE906ELNS1_3gpuE6ELNS1_3repE0EEENS1_30default_config_static_selectorELNS0_4arch9wavefront6targetE0EEEvS13_,comdat
	.globl	_ZN7rocprim17ROCPRIM_400000_NS6detail17trampoline_kernelINS0_13select_configILj256ELj13ELNS0_17block_load_methodE3ELS4_3ELS4_3ELNS0_20block_scan_algorithmE0ELj4294967295EEENS1_25partition_config_selectorILNS1_17partition_subalgoE4EjNS0_10empty_typeEbEEZZNS1_14partition_implILS8_4ELb0ES6_15HIP_vector_typeIjLj2EENS0_17counting_iteratorIjlEEPS9_SG_NS0_5tupleIJPjSI_NS0_16reverse_iteratorISI_EEEEENSH_IJSG_SG_SG_EEES9_SI_JZNS1_25segmented_radix_sort_implINS0_14default_configELb1EPK12hip_bfloat16PSP_PKlPlN2at6native12_GLOBAL__N_18offset_tEEE10hipError_tPvRmT1_PNSt15iterator_traitsIS13_E10value_typeET2_T3_PNS14_IS19_E10value_typeET4_jRbjT5_S1F_jjP12ihipStream_tbEUljE_ZNSN_ISO_Lb1ESR_SS_SU_SV_SZ_EES10_S11_S12_S13_S17_S18_S19_S1C_S1D_jS1E_jS1F_S1F_jjS1H_bEUljE0_EEES10_S11_S12_S19_S1D_S1F_T6_T7_T9_mT8_S1H_bDpT10_ENKUlT_T0_E_clISt17integral_constantIbLb1EES1U_IbLb0EEEEDaS1Q_S1R_EUlS1Q_E_NS1_11comp_targetILNS1_3genE2ELNS1_11target_archE906ELNS1_3gpuE6ELNS1_3repE0EEENS1_30default_config_static_selectorELNS0_4arch9wavefront6targetE0EEEvS13_ ; -- Begin function _ZN7rocprim17ROCPRIM_400000_NS6detail17trampoline_kernelINS0_13select_configILj256ELj13ELNS0_17block_load_methodE3ELS4_3ELS4_3ELNS0_20block_scan_algorithmE0ELj4294967295EEENS1_25partition_config_selectorILNS1_17partition_subalgoE4EjNS0_10empty_typeEbEEZZNS1_14partition_implILS8_4ELb0ES6_15HIP_vector_typeIjLj2EENS0_17counting_iteratorIjlEEPS9_SG_NS0_5tupleIJPjSI_NS0_16reverse_iteratorISI_EEEEENSH_IJSG_SG_SG_EEES9_SI_JZNS1_25segmented_radix_sort_implINS0_14default_configELb1EPK12hip_bfloat16PSP_PKlPlN2at6native12_GLOBAL__N_18offset_tEEE10hipError_tPvRmT1_PNSt15iterator_traitsIS13_E10value_typeET2_T3_PNS14_IS19_E10value_typeET4_jRbjT5_S1F_jjP12ihipStream_tbEUljE_ZNSN_ISO_Lb1ESR_SS_SU_SV_SZ_EES10_S11_S12_S13_S17_S18_S19_S1C_S1D_jS1E_jS1F_S1F_jjS1H_bEUljE0_EEES10_S11_S12_S19_S1D_S1F_T6_T7_T9_mT8_S1H_bDpT10_ENKUlT_T0_E_clISt17integral_constantIbLb1EES1U_IbLb0EEEEDaS1Q_S1R_EUlS1Q_E_NS1_11comp_targetILNS1_3genE2ELNS1_11target_archE906ELNS1_3gpuE6ELNS1_3repE0EEENS1_30default_config_static_selectorELNS0_4arch9wavefront6targetE0EEEvS13_
	.p2align	8
	.type	_ZN7rocprim17ROCPRIM_400000_NS6detail17trampoline_kernelINS0_13select_configILj256ELj13ELNS0_17block_load_methodE3ELS4_3ELS4_3ELNS0_20block_scan_algorithmE0ELj4294967295EEENS1_25partition_config_selectorILNS1_17partition_subalgoE4EjNS0_10empty_typeEbEEZZNS1_14partition_implILS8_4ELb0ES6_15HIP_vector_typeIjLj2EENS0_17counting_iteratorIjlEEPS9_SG_NS0_5tupleIJPjSI_NS0_16reverse_iteratorISI_EEEEENSH_IJSG_SG_SG_EEES9_SI_JZNS1_25segmented_radix_sort_implINS0_14default_configELb1EPK12hip_bfloat16PSP_PKlPlN2at6native12_GLOBAL__N_18offset_tEEE10hipError_tPvRmT1_PNSt15iterator_traitsIS13_E10value_typeET2_T3_PNS14_IS19_E10value_typeET4_jRbjT5_S1F_jjP12ihipStream_tbEUljE_ZNSN_ISO_Lb1ESR_SS_SU_SV_SZ_EES10_S11_S12_S13_S17_S18_S19_S1C_S1D_jS1E_jS1F_S1F_jjS1H_bEUljE0_EEES10_S11_S12_S19_S1D_S1F_T6_T7_T9_mT8_S1H_bDpT10_ENKUlT_T0_E_clISt17integral_constantIbLb1EES1U_IbLb0EEEEDaS1Q_S1R_EUlS1Q_E_NS1_11comp_targetILNS1_3genE2ELNS1_11target_archE906ELNS1_3gpuE6ELNS1_3repE0EEENS1_30default_config_static_selectorELNS0_4arch9wavefront6targetE0EEEvS13_,@function
_ZN7rocprim17ROCPRIM_400000_NS6detail17trampoline_kernelINS0_13select_configILj256ELj13ELNS0_17block_load_methodE3ELS4_3ELS4_3ELNS0_20block_scan_algorithmE0ELj4294967295EEENS1_25partition_config_selectorILNS1_17partition_subalgoE4EjNS0_10empty_typeEbEEZZNS1_14partition_implILS8_4ELb0ES6_15HIP_vector_typeIjLj2EENS0_17counting_iteratorIjlEEPS9_SG_NS0_5tupleIJPjSI_NS0_16reverse_iteratorISI_EEEEENSH_IJSG_SG_SG_EEES9_SI_JZNS1_25segmented_radix_sort_implINS0_14default_configELb1EPK12hip_bfloat16PSP_PKlPlN2at6native12_GLOBAL__N_18offset_tEEE10hipError_tPvRmT1_PNSt15iterator_traitsIS13_E10value_typeET2_T3_PNS14_IS19_E10value_typeET4_jRbjT5_S1F_jjP12ihipStream_tbEUljE_ZNSN_ISO_Lb1ESR_SS_SU_SV_SZ_EES10_S11_S12_S13_S17_S18_S19_S1C_S1D_jS1E_jS1F_S1F_jjS1H_bEUljE0_EEES10_S11_S12_S19_S1D_S1F_T6_T7_T9_mT8_S1H_bDpT10_ENKUlT_T0_E_clISt17integral_constantIbLb1EES1U_IbLb0EEEEDaS1Q_S1R_EUlS1Q_E_NS1_11comp_targetILNS1_3genE2ELNS1_11target_archE906ELNS1_3gpuE6ELNS1_3repE0EEENS1_30default_config_static_selectorELNS0_4arch9wavefront6targetE0EEEvS13_: ; @_ZN7rocprim17ROCPRIM_400000_NS6detail17trampoline_kernelINS0_13select_configILj256ELj13ELNS0_17block_load_methodE3ELS4_3ELS4_3ELNS0_20block_scan_algorithmE0ELj4294967295EEENS1_25partition_config_selectorILNS1_17partition_subalgoE4EjNS0_10empty_typeEbEEZZNS1_14partition_implILS8_4ELb0ES6_15HIP_vector_typeIjLj2EENS0_17counting_iteratorIjlEEPS9_SG_NS0_5tupleIJPjSI_NS0_16reverse_iteratorISI_EEEEENSH_IJSG_SG_SG_EEES9_SI_JZNS1_25segmented_radix_sort_implINS0_14default_configELb1EPK12hip_bfloat16PSP_PKlPlN2at6native12_GLOBAL__N_18offset_tEEE10hipError_tPvRmT1_PNSt15iterator_traitsIS13_E10value_typeET2_T3_PNS14_IS19_E10value_typeET4_jRbjT5_S1F_jjP12ihipStream_tbEUljE_ZNSN_ISO_Lb1ESR_SS_SU_SV_SZ_EES10_S11_S12_S13_S17_S18_S19_S1C_S1D_jS1E_jS1F_S1F_jjS1H_bEUljE0_EEES10_S11_S12_S19_S1D_S1F_T6_T7_T9_mT8_S1H_bDpT10_ENKUlT_T0_E_clISt17integral_constantIbLb1EES1U_IbLb0EEEEDaS1Q_S1R_EUlS1Q_E_NS1_11comp_targetILNS1_3genE2ELNS1_11target_archE906ELNS1_3gpuE6ELNS1_3repE0EEENS1_30default_config_static_selectorELNS0_4arch9wavefront6targetE0EEEvS13_
; %bb.0:
	.section	.rodata,"a",@progbits
	.p2align	6, 0x0
	.amdhsa_kernel _ZN7rocprim17ROCPRIM_400000_NS6detail17trampoline_kernelINS0_13select_configILj256ELj13ELNS0_17block_load_methodE3ELS4_3ELS4_3ELNS0_20block_scan_algorithmE0ELj4294967295EEENS1_25partition_config_selectorILNS1_17partition_subalgoE4EjNS0_10empty_typeEbEEZZNS1_14partition_implILS8_4ELb0ES6_15HIP_vector_typeIjLj2EENS0_17counting_iteratorIjlEEPS9_SG_NS0_5tupleIJPjSI_NS0_16reverse_iteratorISI_EEEEENSH_IJSG_SG_SG_EEES9_SI_JZNS1_25segmented_radix_sort_implINS0_14default_configELb1EPK12hip_bfloat16PSP_PKlPlN2at6native12_GLOBAL__N_18offset_tEEE10hipError_tPvRmT1_PNSt15iterator_traitsIS13_E10value_typeET2_T3_PNS14_IS19_E10value_typeET4_jRbjT5_S1F_jjP12ihipStream_tbEUljE_ZNSN_ISO_Lb1ESR_SS_SU_SV_SZ_EES10_S11_S12_S13_S17_S18_S19_S1C_S1D_jS1E_jS1F_S1F_jjS1H_bEUljE0_EEES10_S11_S12_S19_S1D_S1F_T6_T7_T9_mT8_S1H_bDpT10_ENKUlT_T0_E_clISt17integral_constantIbLb1EES1U_IbLb0EEEEDaS1Q_S1R_EUlS1Q_E_NS1_11comp_targetILNS1_3genE2ELNS1_11target_archE906ELNS1_3gpuE6ELNS1_3repE0EEENS1_30default_config_static_selectorELNS0_4arch9wavefront6targetE0EEEvS13_
		.amdhsa_group_segment_fixed_size 0
		.amdhsa_private_segment_fixed_size 0
		.amdhsa_kernarg_size 176
		.amdhsa_user_sgpr_count 6
		.amdhsa_user_sgpr_private_segment_buffer 1
		.amdhsa_user_sgpr_dispatch_ptr 0
		.amdhsa_user_sgpr_queue_ptr 0
		.amdhsa_user_sgpr_kernarg_segment_ptr 1
		.amdhsa_user_sgpr_dispatch_id 0
		.amdhsa_user_sgpr_flat_scratch_init 0
		.amdhsa_user_sgpr_private_segment_size 0
		.amdhsa_wavefront_size32 1
		.amdhsa_uses_dynamic_stack 0
		.amdhsa_system_sgpr_private_segment_wavefront_offset 0
		.amdhsa_system_sgpr_workgroup_id_x 1
		.amdhsa_system_sgpr_workgroup_id_y 0
		.amdhsa_system_sgpr_workgroup_id_z 0
		.amdhsa_system_sgpr_workgroup_info 0
		.amdhsa_system_vgpr_workitem_id 0
		.amdhsa_next_free_vgpr 1
		.amdhsa_next_free_sgpr 1
		.amdhsa_reserve_vcc 0
		.amdhsa_reserve_flat_scratch 0
		.amdhsa_float_round_mode_32 0
		.amdhsa_float_round_mode_16_64 0
		.amdhsa_float_denorm_mode_32 3
		.amdhsa_float_denorm_mode_16_64 3
		.amdhsa_dx10_clamp 1
		.amdhsa_ieee_mode 1
		.amdhsa_fp16_overflow 0
		.amdhsa_workgroup_processor_mode 1
		.amdhsa_memory_ordered 1
		.amdhsa_forward_progress 1
		.amdhsa_shared_vgpr_count 0
		.amdhsa_exception_fp_ieee_invalid_op 0
		.amdhsa_exception_fp_denorm_src 0
		.amdhsa_exception_fp_ieee_div_zero 0
		.amdhsa_exception_fp_ieee_overflow 0
		.amdhsa_exception_fp_ieee_underflow 0
		.amdhsa_exception_fp_ieee_inexact 0
		.amdhsa_exception_int_div_zero 0
	.end_amdhsa_kernel
	.section	.text._ZN7rocprim17ROCPRIM_400000_NS6detail17trampoline_kernelINS0_13select_configILj256ELj13ELNS0_17block_load_methodE3ELS4_3ELS4_3ELNS0_20block_scan_algorithmE0ELj4294967295EEENS1_25partition_config_selectorILNS1_17partition_subalgoE4EjNS0_10empty_typeEbEEZZNS1_14partition_implILS8_4ELb0ES6_15HIP_vector_typeIjLj2EENS0_17counting_iteratorIjlEEPS9_SG_NS0_5tupleIJPjSI_NS0_16reverse_iteratorISI_EEEEENSH_IJSG_SG_SG_EEES9_SI_JZNS1_25segmented_radix_sort_implINS0_14default_configELb1EPK12hip_bfloat16PSP_PKlPlN2at6native12_GLOBAL__N_18offset_tEEE10hipError_tPvRmT1_PNSt15iterator_traitsIS13_E10value_typeET2_T3_PNS14_IS19_E10value_typeET4_jRbjT5_S1F_jjP12ihipStream_tbEUljE_ZNSN_ISO_Lb1ESR_SS_SU_SV_SZ_EES10_S11_S12_S13_S17_S18_S19_S1C_S1D_jS1E_jS1F_S1F_jjS1H_bEUljE0_EEES10_S11_S12_S19_S1D_S1F_T6_T7_T9_mT8_S1H_bDpT10_ENKUlT_T0_E_clISt17integral_constantIbLb1EES1U_IbLb0EEEEDaS1Q_S1R_EUlS1Q_E_NS1_11comp_targetILNS1_3genE2ELNS1_11target_archE906ELNS1_3gpuE6ELNS1_3repE0EEENS1_30default_config_static_selectorELNS0_4arch9wavefront6targetE0EEEvS13_,"axG",@progbits,_ZN7rocprim17ROCPRIM_400000_NS6detail17trampoline_kernelINS0_13select_configILj256ELj13ELNS0_17block_load_methodE3ELS4_3ELS4_3ELNS0_20block_scan_algorithmE0ELj4294967295EEENS1_25partition_config_selectorILNS1_17partition_subalgoE4EjNS0_10empty_typeEbEEZZNS1_14partition_implILS8_4ELb0ES6_15HIP_vector_typeIjLj2EENS0_17counting_iteratorIjlEEPS9_SG_NS0_5tupleIJPjSI_NS0_16reverse_iteratorISI_EEEEENSH_IJSG_SG_SG_EEES9_SI_JZNS1_25segmented_radix_sort_implINS0_14default_configELb1EPK12hip_bfloat16PSP_PKlPlN2at6native12_GLOBAL__N_18offset_tEEE10hipError_tPvRmT1_PNSt15iterator_traitsIS13_E10value_typeET2_T3_PNS14_IS19_E10value_typeET4_jRbjT5_S1F_jjP12ihipStream_tbEUljE_ZNSN_ISO_Lb1ESR_SS_SU_SV_SZ_EES10_S11_S12_S13_S17_S18_S19_S1C_S1D_jS1E_jS1F_S1F_jjS1H_bEUljE0_EEES10_S11_S12_S19_S1D_S1F_T6_T7_T9_mT8_S1H_bDpT10_ENKUlT_T0_E_clISt17integral_constantIbLb1EES1U_IbLb0EEEEDaS1Q_S1R_EUlS1Q_E_NS1_11comp_targetILNS1_3genE2ELNS1_11target_archE906ELNS1_3gpuE6ELNS1_3repE0EEENS1_30default_config_static_selectorELNS0_4arch9wavefront6targetE0EEEvS13_,comdat
.Lfunc_end1892:
	.size	_ZN7rocprim17ROCPRIM_400000_NS6detail17trampoline_kernelINS0_13select_configILj256ELj13ELNS0_17block_load_methodE3ELS4_3ELS4_3ELNS0_20block_scan_algorithmE0ELj4294967295EEENS1_25partition_config_selectorILNS1_17partition_subalgoE4EjNS0_10empty_typeEbEEZZNS1_14partition_implILS8_4ELb0ES6_15HIP_vector_typeIjLj2EENS0_17counting_iteratorIjlEEPS9_SG_NS0_5tupleIJPjSI_NS0_16reverse_iteratorISI_EEEEENSH_IJSG_SG_SG_EEES9_SI_JZNS1_25segmented_radix_sort_implINS0_14default_configELb1EPK12hip_bfloat16PSP_PKlPlN2at6native12_GLOBAL__N_18offset_tEEE10hipError_tPvRmT1_PNSt15iterator_traitsIS13_E10value_typeET2_T3_PNS14_IS19_E10value_typeET4_jRbjT5_S1F_jjP12ihipStream_tbEUljE_ZNSN_ISO_Lb1ESR_SS_SU_SV_SZ_EES10_S11_S12_S13_S17_S18_S19_S1C_S1D_jS1E_jS1F_S1F_jjS1H_bEUljE0_EEES10_S11_S12_S19_S1D_S1F_T6_T7_T9_mT8_S1H_bDpT10_ENKUlT_T0_E_clISt17integral_constantIbLb1EES1U_IbLb0EEEEDaS1Q_S1R_EUlS1Q_E_NS1_11comp_targetILNS1_3genE2ELNS1_11target_archE906ELNS1_3gpuE6ELNS1_3repE0EEENS1_30default_config_static_selectorELNS0_4arch9wavefront6targetE0EEEvS13_, .Lfunc_end1892-_ZN7rocprim17ROCPRIM_400000_NS6detail17trampoline_kernelINS0_13select_configILj256ELj13ELNS0_17block_load_methodE3ELS4_3ELS4_3ELNS0_20block_scan_algorithmE0ELj4294967295EEENS1_25partition_config_selectorILNS1_17partition_subalgoE4EjNS0_10empty_typeEbEEZZNS1_14partition_implILS8_4ELb0ES6_15HIP_vector_typeIjLj2EENS0_17counting_iteratorIjlEEPS9_SG_NS0_5tupleIJPjSI_NS0_16reverse_iteratorISI_EEEEENSH_IJSG_SG_SG_EEES9_SI_JZNS1_25segmented_radix_sort_implINS0_14default_configELb1EPK12hip_bfloat16PSP_PKlPlN2at6native12_GLOBAL__N_18offset_tEEE10hipError_tPvRmT1_PNSt15iterator_traitsIS13_E10value_typeET2_T3_PNS14_IS19_E10value_typeET4_jRbjT5_S1F_jjP12ihipStream_tbEUljE_ZNSN_ISO_Lb1ESR_SS_SU_SV_SZ_EES10_S11_S12_S13_S17_S18_S19_S1C_S1D_jS1E_jS1F_S1F_jjS1H_bEUljE0_EEES10_S11_S12_S19_S1D_S1F_T6_T7_T9_mT8_S1H_bDpT10_ENKUlT_T0_E_clISt17integral_constantIbLb1EES1U_IbLb0EEEEDaS1Q_S1R_EUlS1Q_E_NS1_11comp_targetILNS1_3genE2ELNS1_11target_archE906ELNS1_3gpuE6ELNS1_3repE0EEENS1_30default_config_static_selectorELNS0_4arch9wavefront6targetE0EEEvS13_
                                        ; -- End function
	.set _ZN7rocprim17ROCPRIM_400000_NS6detail17trampoline_kernelINS0_13select_configILj256ELj13ELNS0_17block_load_methodE3ELS4_3ELS4_3ELNS0_20block_scan_algorithmE0ELj4294967295EEENS1_25partition_config_selectorILNS1_17partition_subalgoE4EjNS0_10empty_typeEbEEZZNS1_14partition_implILS8_4ELb0ES6_15HIP_vector_typeIjLj2EENS0_17counting_iteratorIjlEEPS9_SG_NS0_5tupleIJPjSI_NS0_16reverse_iteratorISI_EEEEENSH_IJSG_SG_SG_EEES9_SI_JZNS1_25segmented_radix_sort_implINS0_14default_configELb1EPK12hip_bfloat16PSP_PKlPlN2at6native12_GLOBAL__N_18offset_tEEE10hipError_tPvRmT1_PNSt15iterator_traitsIS13_E10value_typeET2_T3_PNS14_IS19_E10value_typeET4_jRbjT5_S1F_jjP12ihipStream_tbEUljE_ZNSN_ISO_Lb1ESR_SS_SU_SV_SZ_EES10_S11_S12_S13_S17_S18_S19_S1C_S1D_jS1E_jS1F_S1F_jjS1H_bEUljE0_EEES10_S11_S12_S19_S1D_S1F_T6_T7_T9_mT8_S1H_bDpT10_ENKUlT_T0_E_clISt17integral_constantIbLb1EES1U_IbLb0EEEEDaS1Q_S1R_EUlS1Q_E_NS1_11comp_targetILNS1_3genE2ELNS1_11target_archE906ELNS1_3gpuE6ELNS1_3repE0EEENS1_30default_config_static_selectorELNS0_4arch9wavefront6targetE0EEEvS13_.num_vgpr, 0
	.set _ZN7rocprim17ROCPRIM_400000_NS6detail17trampoline_kernelINS0_13select_configILj256ELj13ELNS0_17block_load_methodE3ELS4_3ELS4_3ELNS0_20block_scan_algorithmE0ELj4294967295EEENS1_25partition_config_selectorILNS1_17partition_subalgoE4EjNS0_10empty_typeEbEEZZNS1_14partition_implILS8_4ELb0ES6_15HIP_vector_typeIjLj2EENS0_17counting_iteratorIjlEEPS9_SG_NS0_5tupleIJPjSI_NS0_16reverse_iteratorISI_EEEEENSH_IJSG_SG_SG_EEES9_SI_JZNS1_25segmented_radix_sort_implINS0_14default_configELb1EPK12hip_bfloat16PSP_PKlPlN2at6native12_GLOBAL__N_18offset_tEEE10hipError_tPvRmT1_PNSt15iterator_traitsIS13_E10value_typeET2_T3_PNS14_IS19_E10value_typeET4_jRbjT5_S1F_jjP12ihipStream_tbEUljE_ZNSN_ISO_Lb1ESR_SS_SU_SV_SZ_EES10_S11_S12_S13_S17_S18_S19_S1C_S1D_jS1E_jS1F_S1F_jjS1H_bEUljE0_EEES10_S11_S12_S19_S1D_S1F_T6_T7_T9_mT8_S1H_bDpT10_ENKUlT_T0_E_clISt17integral_constantIbLb1EES1U_IbLb0EEEEDaS1Q_S1R_EUlS1Q_E_NS1_11comp_targetILNS1_3genE2ELNS1_11target_archE906ELNS1_3gpuE6ELNS1_3repE0EEENS1_30default_config_static_selectorELNS0_4arch9wavefront6targetE0EEEvS13_.num_agpr, 0
	.set _ZN7rocprim17ROCPRIM_400000_NS6detail17trampoline_kernelINS0_13select_configILj256ELj13ELNS0_17block_load_methodE3ELS4_3ELS4_3ELNS0_20block_scan_algorithmE0ELj4294967295EEENS1_25partition_config_selectorILNS1_17partition_subalgoE4EjNS0_10empty_typeEbEEZZNS1_14partition_implILS8_4ELb0ES6_15HIP_vector_typeIjLj2EENS0_17counting_iteratorIjlEEPS9_SG_NS0_5tupleIJPjSI_NS0_16reverse_iteratorISI_EEEEENSH_IJSG_SG_SG_EEES9_SI_JZNS1_25segmented_radix_sort_implINS0_14default_configELb1EPK12hip_bfloat16PSP_PKlPlN2at6native12_GLOBAL__N_18offset_tEEE10hipError_tPvRmT1_PNSt15iterator_traitsIS13_E10value_typeET2_T3_PNS14_IS19_E10value_typeET4_jRbjT5_S1F_jjP12ihipStream_tbEUljE_ZNSN_ISO_Lb1ESR_SS_SU_SV_SZ_EES10_S11_S12_S13_S17_S18_S19_S1C_S1D_jS1E_jS1F_S1F_jjS1H_bEUljE0_EEES10_S11_S12_S19_S1D_S1F_T6_T7_T9_mT8_S1H_bDpT10_ENKUlT_T0_E_clISt17integral_constantIbLb1EES1U_IbLb0EEEEDaS1Q_S1R_EUlS1Q_E_NS1_11comp_targetILNS1_3genE2ELNS1_11target_archE906ELNS1_3gpuE6ELNS1_3repE0EEENS1_30default_config_static_selectorELNS0_4arch9wavefront6targetE0EEEvS13_.numbered_sgpr, 0
	.set _ZN7rocprim17ROCPRIM_400000_NS6detail17trampoline_kernelINS0_13select_configILj256ELj13ELNS0_17block_load_methodE3ELS4_3ELS4_3ELNS0_20block_scan_algorithmE0ELj4294967295EEENS1_25partition_config_selectorILNS1_17partition_subalgoE4EjNS0_10empty_typeEbEEZZNS1_14partition_implILS8_4ELb0ES6_15HIP_vector_typeIjLj2EENS0_17counting_iteratorIjlEEPS9_SG_NS0_5tupleIJPjSI_NS0_16reverse_iteratorISI_EEEEENSH_IJSG_SG_SG_EEES9_SI_JZNS1_25segmented_radix_sort_implINS0_14default_configELb1EPK12hip_bfloat16PSP_PKlPlN2at6native12_GLOBAL__N_18offset_tEEE10hipError_tPvRmT1_PNSt15iterator_traitsIS13_E10value_typeET2_T3_PNS14_IS19_E10value_typeET4_jRbjT5_S1F_jjP12ihipStream_tbEUljE_ZNSN_ISO_Lb1ESR_SS_SU_SV_SZ_EES10_S11_S12_S13_S17_S18_S19_S1C_S1D_jS1E_jS1F_S1F_jjS1H_bEUljE0_EEES10_S11_S12_S19_S1D_S1F_T6_T7_T9_mT8_S1H_bDpT10_ENKUlT_T0_E_clISt17integral_constantIbLb1EES1U_IbLb0EEEEDaS1Q_S1R_EUlS1Q_E_NS1_11comp_targetILNS1_3genE2ELNS1_11target_archE906ELNS1_3gpuE6ELNS1_3repE0EEENS1_30default_config_static_selectorELNS0_4arch9wavefront6targetE0EEEvS13_.num_named_barrier, 0
	.set _ZN7rocprim17ROCPRIM_400000_NS6detail17trampoline_kernelINS0_13select_configILj256ELj13ELNS0_17block_load_methodE3ELS4_3ELS4_3ELNS0_20block_scan_algorithmE0ELj4294967295EEENS1_25partition_config_selectorILNS1_17partition_subalgoE4EjNS0_10empty_typeEbEEZZNS1_14partition_implILS8_4ELb0ES6_15HIP_vector_typeIjLj2EENS0_17counting_iteratorIjlEEPS9_SG_NS0_5tupleIJPjSI_NS0_16reverse_iteratorISI_EEEEENSH_IJSG_SG_SG_EEES9_SI_JZNS1_25segmented_radix_sort_implINS0_14default_configELb1EPK12hip_bfloat16PSP_PKlPlN2at6native12_GLOBAL__N_18offset_tEEE10hipError_tPvRmT1_PNSt15iterator_traitsIS13_E10value_typeET2_T3_PNS14_IS19_E10value_typeET4_jRbjT5_S1F_jjP12ihipStream_tbEUljE_ZNSN_ISO_Lb1ESR_SS_SU_SV_SZ_EES10_S11_S12_S13_S17_S18_S19_S1C_S1D_jS1E_jS1F_S1F_jjS1H_bEUljE0_EEES10_S11_S12_S19_S1D_S1F_T6_T7_T9_mT8_S1H_bDpT10_ENKUlT_T0_E_clISt17integral_constantIbLb1EES1U_IbLb0EEEEDaS1Q_S1R_EUlS1Q_E_NS1_11comp_targetILNS1_3genE2ELNS1_11target_archE906ELNS1_3gpuE6ELNS1_3repE0EEENS1_30default_config_static_selectorELNS0_4arch9wavefront6targetE0EEEvS13_.private_seg_size, 0
	.set _ZN7rocprim17ROCPRIM_400000_NS6detail17trampoline_kernelINS0_13select_configILj256ELj13ELNS0_17block_load_methodE3ELS4_3ELS4_3ELNS0_20block_scan_algorithmE0ELj4294967295EEENS1_25partition_config_selectorILNS1_17partition_subalgoE4EjNS0_10empty_typeEbEEZZNS1_14partition_implILS8_4ELb0ES6_15HIP_vector_typeIjLj2EENS0_17counting_iteratorIjlEEPS9_SG_NS0_5tupleIJPjSI_NS0_16reverse_iteratorISI_EEEEENSH_IJSG_SG_SG_EEES9_SI_JZNS1_25segmented_radix_sort_implINS0_14default_configELb1EPK12hip_bfloat16PSP_PKlPlN2at6native12_GLOBAL__N_18offset_tEEE10hipError_tPvRmT1_PNSt15iterator_traitsIS13_E10value_typeET2_T3_PNS14_IS19_E10value_typeET4_jRbjT5_S1F_jjP12ihipStream_tbEUljE_ZNSN_ISO_Lb1ESR_SS_SU_SV_SZ_EES10_S11_S12_S13_S17_S18_S19_S1C_S1D_jS1E_jS1F_S1F_jjS1H_bEUljE0_EEES10_S11_S12_S19_S1D_S1F_T6_T7_T9_mT8_S1H_bDpT10_ENKUlT_T0_E_clISt17integral_constantIbLb1EES1U_IbLb0EEEEDaS1Q_S1R_EUlS1Q_E_NS1_11comp_targetILNS1_3genE2ELNS1_11target_archE906ELNS1_3gpuE6ELNS1_3repE0EEENS1_30default_config_static_selectorELNS0_4arch9wavefront6targetE0EEEvS13_.uses_vcc, 0
	.set _ZN7rocprim17ROCPRIM_400000_NS6detail17trampoline_kernelINS0_13select_configILj256ELj13ELNS0_17block_load_methodE3ELS4_3ELS4_3ELNS0_20block_scan_algorithmE0ELj4294967295EEENS1_25partition_config_selectorILNS1_17partition_subalgoE4EjNS0_10empty_typeEbEEZZNS1_14partition_implILS8_4ELb0ES6_15HIP_vector_typeIjLj2EENS0_17counting_iteratorIjlEEPS9_SG_NS0_5tupleIJPjSI_NS0_16reverse_iteratorISI_EEEEENSH_IJSG_SG_SG_EEES9_SI_JZNS1_25segmented_radix_sort_implINS0_14default_configELb1EPK12hip_bfloat16PSP_PKlPlN2at6native12_GLOBAL__N_18offset_tEEE10hipError_tPvRmT1_PNSt15iterator_traitsIS13_E10value_typeET2_T3_PNS14_IS19_E10value_typeET4_jRbjT5_S1F_jjP12ihipStream_tbEUljE_ZNSN_ISO_Lb1ESR_SS_SU_SV_SZ_EES10_S11_S12_S13_S17_S18_S19_S1C_S1D_jS1E_jS1F_S1F_jjS1H_bEUljE0_EEES10_S11_S12_S19_S1D_S1F_T6_T7_T9_mT8_S1H_bDpT10_ENKUlT_T0_E_clISt17integral_constantIbLb1EES1U_IbLb0EEEEDaS1Q_S1R_EUlS1Q_E_NS1_11comp_targetILNS1_3genE2ELNS1_11target_archE906ELNS1_3gpuE6ELNS1_3repE0EEENS1_30default_config_static_selectorELNS0_4arch9wavefront6targetE0EEEvS13_.uses_flat_scratch, 0
	.set _ZN7rocprim17ROCPRIM_400000_NS6detail17trampoline_kernelINS0_13select_configILj256ELj13ELNS0_17block_load_methodE3ELS4_3ELS4_3ELNS0_20block_scan_algorithmE0ELj4294967295EEENS1_25partition_config_selectorILNS1_17partition_subalgoE4EjNS0_10empty_typeEbEEZZNS1_14partition_implILS8_4ELb0ES6_15HIP_vector_typeIjLj2EENS0_17counting_iteratorIjlEEPS9_SG_NS0_5tupleIJPjSI_NS0_16reverse_iteratorISI_EEEEENSH_IJSG_SG_SG_EEES9_SI_JZNS1_25segmented_radix_sort_implINS0_14default_configELb1EPK12hip_bfloat16PSP_PKlPlN2at6native12_GLOBAL__N_18offset_tEEE10hipError_tPvRmT1_PNSt15iterator_traitsIS13_E10value_typeET2_T3_PNS14_IS19_E10value_typeET4_jRbjT5_S1F_jjP12ihipStream_tbEUljE_ZNSN_ISO_Lb1ESR_SS_SU_SV_SZ_EES10_S11_S12_S13_S17_S18_S19_S1C_S1D_jS1E_jS1F_S1F_jjS1H_bEUljE0_EEES10_S11_S12_S19_S1D_S1F_T6_T7_T9_mT8_S1H_bDpT10_ENKUlT_T0_E_clISt17integral_constantIbLb1EES1U_IbLb0EEEEDaS1Q_S1R_EUlS1Q_E_NS1_11comp_targetILNS1_3genE2ELNS1_11target_archE906ELNS1_3gpuE6ELNS1_3repE0EEENS1_30default_config_static_selectorELNS0_4arch9wavefront6targetE0EEEvS13_.has_dyn_sized_stack, 0
	.set _ZN7rocprim17ROCPRIM_400000_NS6detail17trampoline_kernelINS0_13select_configILj256ELj13ELNS0_17block_load_methodE3ELS4_3ELS4_3ELNS0_20block_scan_algorithmE0ELj4294967295EEENS1_25partition_config_selectorILNS1_17partition_subalgoE4EjNS0_10empty_typeEbEEZZNS1_14partition_implILS8_4ELb0ES6_15HIP_vector_typeIjLj2EENS0_17counting_iteratorIjlEEPS9_SG_NS0_5tupleIJPjSI_NS0_16reverse_iteratorISI_EEEEENSH_IJSG_SG_SG_EEES9_SI_JZNS1_25segmented_radix_sort_implINS0_14default_configELb1EPK12hip_bfloat16PSP_PKlPlN2at6native12_GLOBAL__N_18offset_tEEE10hipError_tPvRmT1_PNSt15iterator_traitsIS13_E10value_typeET2_T3_PNS14_IS19_E10value_typeET4_jRbjT5_S1F_jjP12ihipStream_tbEUljE_ZNSN_ISO_Lb1ESR_SS_SU_SV_SZ_EES10_S11_S12_S13_S17_S18_S19_S1C_S1D_jS1E_jS1F_S1F_jjS1H_bEUljE0_EEES10_S11_S12_S19_S1D_S1F_T6_T7_T9_mT8_S1H_bDpT10_ENKUlT_T0_E_clISt17integral_constantIbLb1EES1U_IbLb0EEEEDaS1Q_S1R_EUlS1Q_E_NS1_11comp_targetILNS1_3genE2ELNS1_11target_archE906ELNS1_3gpuE6ELNS1_3repE0EEENS1_30default_config_static_selectorELNS0_4arch9wavefront6targetE0EEEvS13_.has_recursion, 0
	.set _ZN7rocprim17ROCPRIM_400000_NS6detail17trampoline_kernelINS0_13select_configILj256ELj13ELNS0_17block_load_methodE3ELS4_3ELS4_3ELNS0_20block_scan_algorithmE0ELj4294967295EEENS1_25partition_config_selectorILNS1_17partition_subalgoE4EjNS0_10empty_typeEbEEZZNS1_14partition_implILS8_4ELb0ES6_15HIP_vector_typeIjLj2EENS0_17counting_iteratorIjlEEPS9_SG_NS0_5tupleIJPjSI_NS0_16reverse_iteratorISI_EEEEENSH_IJSG_SG_SG_EEES9_SI_JZNS1_25segmented_radix_sort_implINS0_14default_configELb1EPK12hip_bfloat16PSP_PKlPlN2at6native12_GLOBAL__N_18offset_tEEE10hipError_tPvRmT1_PNSt15iterator_traitsIS13_E10value_typeET2_T3_PNS14_IS19_E10value_typeET4_jRbjT5_S1F_jjP12ihipStream_tbEUljE_ZNSN_ISO_Lb1ESR_SS_SU_SV_SZ_EES10_S11_S12_S13_S17_S18_S19_S1C_S1D_jS1E_jS1F_S1F_jjS1H_bEUljE0_EEES10_S11_S12_S19_S1D_S1F_T6_T7_T9_mT8_S1H_bDpT10_ENKUlT_T0_E_clISt17integral_constantIbLb1EES1U_IbLb0EEEEDaS1Q_S1R_EUlS1Q_E_NS1_11comp_targetILNS1_3genE2ELNS1_11target_archE906ELNS1_3gpuE6ELNS1_3repE0EEENS1_30default_config_static_selectorELNS0_4arch9wavefront6targetE0EEEvS13_.has_indirect_call, 0
	.section	.AMDGPU.csdata,"",@progbits
; Kernel info:
; codeLenInByte = 0
; TotalNumSgprs: 0
; NumVgprs: 0
; ScratchSize: 0
; MemoryBound: 0
; FloatMode: 240
; IeeeMode: 1
; LDSByteSize: 0 bytes/workgroup (compile time only)
; SGPRBlocks: 0
; VGPRBlocks: 0
; NumSGPRsForWavesPerEU: 1
; NumVGPRsForWavesPerEU: 1
; Occupancy: 16
; WaveLimiterHint : 0
; COMPUTE_PGM_RSRC2:SCRATCH_EN: 0
; COMPUTE_PGM_RSRC2:USER_SGPR: 6
; COMPUTE_PGM_RSRC2:TRAP_HANDLER: 0
; COMPUTE_PGM_RSRC2:TGID_X_EN: 1
; COMPUTE_PGM_RSRC2:TGID_Y_EN: 0
; COMPUTE_PGM_RSRC2:TGID_Z_EN: 0
; COMPUTE_PGM_RSRC2:TIDIG_COMP_CNT: 0
	.section	.text._ZN7rocprim17ROCPRIM_400000_NS6detail17trampoline_kernelINS0_13select_configILj256ELj13ELNS0_17block_load_methodE3ELS4_3ELS4_3ELNS0_20block_scan_algorithmE0ELj4294967295EEENS1_25partition_config_selectorILNS1_17partition_subalgoE4EjNS0_10empty_typeEbEEZZNS1_14partition_implILS8_4ELb0ES6_15HIP_vector_typeIjLj2EENS0_17counting_iteratorIjlEEPS9_SG_NS0_5tupleIJPjSI_NS0_16reverse_iteratorISI_EEEEENSH_IJSG_SG_SG_EEES9_SI_JZNS1_25segmented_radix_sort_implINS0_14default_configELb1EPK12hip_bfloat16PSP_PKlPlN2at6native12_GLOBAL__N_18offset_tEEE10hipError_tPvRmT1_PNSt15iterator_traitsIS13_E10value_typeET2_T3_PNS14_IS19_E10value_typeET4_jRbjT5_S1F_jjP12ihipStream_tbEUljE_ZNSN_ISO_Lb1ESR_SS_SU_SV_SZ_EES10_S11_S12_S13_S17_S18_S19_S1C_S1D_jS1E_jS1F_S1F_jjS1H_bEUljE0_EEES10_S11_S12_S19_S1D_S1F_T6_T7_T9_mT8_S1H_bDpT10_ENKUlT_T0_E_clISt17integral_constantIbLb1EES1U_IbLb0EEEEDaS1Q_S1R_EUlS1Q_E_NS1_11comp_targetILNS1_3genE10ELNS1_11target_archE1200ELNS1_3gpuE4ELNS1_3repE0EEENS1_30default_config_static_selectorELNS0_4arch9wavefront6targetE0EEEvS13_,"axG",@progbits,_ZN7rocprim17ROCPRIM_400000_NS6detail17trampoline_kernelINS0_13select_configILj256ELj13ELNS0_17block_load_methodE3ELS4_3ELS4_3ELNS0_20block_scan_algorithmE0ELj4294967295EEENS1_25partition_config_selectorILNS1_17partition_subalgoE4EjNS0_10empty_typeEbEEZZNS1_14partition_implILS8_4ELb0ES6_15HIP_vector_typeIjLj2EENS0_17counting_iteratorIjlEEPS9_SG_NS0_5tupleIJPjSI_NS0_16reverse_iteratorISI_EEEEENSH_IJSG_SG_SG_EEES9_SI_JZNS1_25segmented_radix_sort_implINS0_14default_configELb1EPK12hip_bfloat16PSP_PKlPlN2at6native12_GLOBAL__N_18offset_tEEE10hipError_tPvRmT1_PNSt15iterator_traitsIS13_E10value_typeET2_T3_PNS14_IS19_E10value_typeET4_jRbjT5_S1F_jjP12ihipStream_tbEUljE_ZNSN_ISO_Lb1ESR_SS_SU_SV_SZ_EES10_S11_S12_S13_S17_S18_S19_S1C_S1D_jS1E_jS1F_S1F_jjS1H_bEUljE0_EEES10_S11_S12_S19_S1D_S1F_T6_T7_T9_mT8_S1H_bDpT10_ENKUlT_T0_E_clISt17integral_constantIbLb1EES1U_IbLb0EEEEDaS1Q_S1R_EUlS1Q_E_NS1_11comp_targetILNS1_3genE10ELNS1_11target_archE1200ELNS1_3gpuE4ELNS1_3repE0EEENS1_30default_config_static_selectorELNS0_4arch9wavefront6targetE0EEEvS13_,comdat
	.globl	_ZN7rocprim17ROCPRIM_400000_NS6detail17trampoline_kernelINS0_13select_configILj256ELj13ELNS0_17block_load_methodE3ELS4_3ELS4_3ELNS0_20block_scan_algorithmE0ELj4294967295EEENS1_25partition_config_selectorILNS1_17partition_subalgoE4EjNS0_10empty_typeEbEEZZNS1_14partition_implILS8_4ELb0ES6_15HIP_vector_typeIjLj2EENS0_17counting_iteratorIjlEEPS9_SG_NS0_5tupleIJPjSI_NS0_16reverse_iteratorISI_EEEEENSH_IJSG_SG_SG_EEES9_SI_JZNS1_25segmented_radix_sort_implINS0_14default_configELb1EPK12hip_bfloat16PSP_PKlPlN2at6native12_GLOBAL__N_18offset_tEEE10hipError_tPvRmT1_PNSt15iterator_traitsIS13_E10value_typeET2_T3_PNS14_IS19_E10value_typeET4_jRbjT5_S1F_jjP12ihipStream_tbEUljE_ZNSN_ISO_Lb1ESR_SS_SU_SV_SZ_EES10_S11_S12_S13_S17_S18_S19_S1C_S1D_jS1E_jS1F_S1F_jjS1H_bEUljE0_EEES10_S11_S12_S19_S1D_S1F_T6_T7_T9_mT8_S1H_bDpT10_ENKUlT_T0_E_clISt17integral_constantIbLb1EES1U_IbLb0EEEEDaS1Q_S1R_EUlS1Q_E_NS1_11comp_targetILNS1_3genE10ELNS1_11target_archE1200ELNS1_3gpuE4ELNS1_3repE0EEENS1_30default_config_static_selectorELNS0_4arch9wavefront6targetE0EEEvS13_ ; -- Begin function _ZN7rocprim17ROCPRIM_400000_NS6detail17trampoline_kernelINS0_13select_configILj256ELj13ELNS0_17block_load_methodE3ELS4_3ELS4_3ELNS0_20block_scan_algorithmE0ELj4294967295EEENS1_25partition_config_selectorILNS1_17partition_subalgoE4EjNS0_10empty_typeEbEEZZNS1_14partition_implILS8_4ELb0ES6_15HIP_vector_typeIjLj2EENS0_17counting_iteratorIjlEEPS9_SG_NS0_5tupleIJPjSI_NS0_16reverse_iteratorISI_EEEEENSH_IJSG_SG_SG_EEES9_SI_JZNS1_25segmented_radix_sort_implINS0_14default_configELb1EPK12hip_bfloat16PSP_PKlPlN2at6native12_GLOBAL__N_18offset_tEEE10hipError_tPvRmT1_PNSt15iterator_traitsIS13_E10value_typeET2_T3_PNS14_IS19_E10value_typeET4_jRbjT5_S1F_jjP12ihipStream_tbEUljE_ZNSN_ISO_Lb1ESR_SS_SU_SV_SZ_EES10_S11_S12_S13_S17_S18_S19_S1C_S1D_jS1E_jS1F_S1F_jjS1H_bEUljE0_EEES10_S11_S12_S19_S1D_S1F_T6_T7_T9_mT8_S1H_bDpT10_ENKUlT_T0_E_clISt17integral_constantIbLb1EES1U_IbLb0EEEEDaS1Q_S1R_EUlS1Q_E_NS1_11comp_targetILNS1_3genE10ELNS1_11target_archE1200ELNS1_3gpuE4ELNS1_3repE0EEENS1_30default_config_static_selectorELNS0_4arch9wavefront6targetE0EEEvS13_
	.p2align	8
	.type	_ZN7rocprim17ROCPRIM_400000_NS6detail17trampoline_kernelINS0_13select_configILj256ELj13ELNS0_17block_load_methodE3ELS4_3ELS4_3ELNS0_20block_scan_algorithmE0ELj4294967295EEENS1_25partition_config_selectorILNS1_17partition_subalgoE4EjNS0_10empty_typeEbEEZZNS1_14partition_implILS8_4ELb0ES6_15HIP_vector_typeIjLj2EENS0_17counting_iteratorIjlEEPS9_SG_NS0_5tupleIJPjSI_NS0_16reverse_iteratorISI_EEEEENSH_IJSG_SG_SG_EEES9_SI_JZNS1_25segmented_radix_sort_implINS0_14default_configELb1EPK12hip_bfloat16PSP_PKlPlN2at6native12_GLOBAL__N_18offset_tEEE10hipError_tPvRmT1_PNSt15iterator_traitsIS13_E10value_typeET2_T3_PNS14_IS19_E10value_typeET4_jRbjT5_S1F_jjP12ihipStream_tbEUljE_ZNSN_ISO_Lb1ESR_SS_SU_SV_SZ_EES10_S11_S12_S13_S17_S18_S19_S1C_S1D_jS1E_jS1F_S1F_jjS1H_bEUljE0_EEES10_S11_S12_S19_S1D_S1F_T6_T7_T9_mT8_S1H_bDpT10_ENKUlT_T0_E_clISt17integral_constantIbLb1EES1U_IbLb0EEEEDaS1Q_S1R_EUlS1Q_E_NS1_11comp_targetILNS1_3genE10ELNS1_11target_archE1200ELNS1_3gpuE4ELNS1_3repE0EEENS1_30default_config_static_selectorELNS0_4arch9wavefront6targetE0EEEvS13_,@function
_ZN7rocprim17ROCPRIM_400000_NS6detail17trampoline_kernelINS0_13select_configILj256ELj13ELNS0_17block_load_methodE3ELS4_3ELS4_3ELNS0_20block_scan_algorithmE0ELj4294967295EEENS1_25partition_config_selectorILNS1_17partition_subalgoE4EjNS0_10empty_typeEbEEZZNS1_14partition_implILS8_4ELb0ES6_15HIP_vector_typeIjLj2EENS0_17counting_iteratorIjlEEPS9_SG_NS0_5tupleIJPjSI_NS0_16reverse_iteratorISI_EEEEENSH_IJSG_SG_SG_EEES9_SI_JZNS1_25segmented_radix_sort_implINS0_14default_configELb1EPK12hip_bfloat16PSP_PKlPlN2at6native12_GLOBAL__N_18offset_tEEE10hipError_tPvRmT1_PNSt15iterator_traitsIS13_E10value_typeET2_T3_PNS14_IS19_E10value_typeET4_jRbjT5_S1F_jjP12ihipStream_tbEUljE_ZNSN_ISO_Lb1ESR_SS_SU_SV_SZ_EES10_S11_S12_S13_S17_S18_S19_S1C_S1D_jS1E_jS1F_S1F_jjS1H_bEUljE0_EEES10_S11_S12_S19_S1D_S1F_T6_T7_T9_mT8_S1H_bDpT10_ENKUlT_T0_E_clISt17integral_constantIbLb1EES1U_IbLb0EEEEDaS1Q_S1R_EUlS1Q_E_NS1_11comp_targetILNS1_3genE10ELNS1_11target_archE1200ELNS1_3gpuE4ELNS1_3repE0EEENS1_30default_config_static_selectorELNS0_4arch9wavefront6targetE0EEEvS13_: ; @_ZN7rocprim17ROCPRIM_400000_NS6detail17trampoline_kernelINS0_13select_configILj256ELj13ELNS0_17block_load_methodE3ELS4_3ELS4_3ELNS0_20block_scan_algorithmE0ELj4294967295EEENS1_25partition_config_selectorILNS1_17partition_subalgoE4EjNS0_10empty_typeEbEEZZNS1_14partition_implILS8_4ELb0ES6_15HIP_vector_typeIjLj2EENS0_17counting_iteratorIjlEEPS9_SG_NS0_5tupleIJPjSI_NS0_16reverse_iteratorISI_EEEEENSH_IJSG_SG_SG_EEES9_SI_JZNS1_25segmented_radix_sort_implINS0_14default_configELb1EPK12hip_bfloat16PSP_PKlPlN2at6native12_GLOBAL__N_18offset_tEEE10hipError_tPvRmT1_PNSt15iterator_traitsIS13_E10value_typeET2_T3_PNS14_IS19_E10value_typeET4_jRbjT5_S1F_jjP12ihipStream_tbEUljE_ZNSN_ISO_Lb1ESR_SS_SU_SV_SZ_EES10_S11_S12_S13_S17_S18_S19_S1C_S1D_jS1E_jS1F_S1F_jjS1H_bEUljE0_EEES10_S11_S12_S19_S1D_S1F_T6_T7_T9_mT8_S1H_bDpT10_ENKUlT_T0_E_clISt17integral_constantIbLb1EES1U_IbLb0EEEEDaS1Q_S1R_EUlS1Q_E_NS1_11comp_targetILNS1_3genE10ELNS1_11target_archE1200ELNS1_3gpuE4ELNS1_3repE0EEENS1_30default_config_static_selectorELNS0_4arch9wavefront6targetE0EEEvS13_
; %bb.0:
	.section	.rodata,"a",@progbits
	.p2align	6, 0x0
	.amdhsa_kernel _ZN7rocprim17ROCPRIM_400000_NS6detail17trampoline_kernelINS0_13select_configILj256ELj13ELNS0_17block_load_methodE3ELS4_3ELS4_3ELNS0_20block_scan_algorithmE0ELj4294967295EEENS1_25partition_config_selectorILNS1_17partition_subalgoE4EjNS0_10empty_typeEbEEZZNS1_14partition_implILS8_4ELb0ES6_15HIP_vector_typeIjLj2EENS0_17counting_iteratorIjlEEPS9_SG_NS0_5tupleIJPjSI_NS0_16reverse_iteratorISI_EEEEENSH_IJSG_SG_SG_EEES9_SI_JZNS1_25segmented_radix_sort_implINS0_14default_configELb1EPK12hip_bfloat16PSP_PKlPlN2at6native12_GLOBAL__N_18offset_tEEE10hipError_tPvRmT1_PNSt15iterator_traitsIS13_E10value_typeET2_T3_PNS14_IS19_E10value_typeET4_jRbjT5_S1F_jjP12ihipStream_tbEUljE_ZNSN_ISO_Lb1ESR_SS_SU_SV_SZ_EES10_S11_S12_S13_S17_S18_S19_S1C_S1D_jS1E_jS1F_S1F_jjS1H_bEUljE0_EEES10_S11_S12_S19_S1D_S1F_T6_T7_T9_mT8_S1H_bDpT10_ENKUlT_T0_E_clISt17integral_constantIbLb1EES1U_IbLb0EEEEDaS1Q_S1R_EUlS1Q_E_NS1_11comp_targetILNS1_3genE10ELNS1_11target_archE1200ELNS1_3gpuE4ELNS1_3repE0EEENS1_30default_config_static_selectorELNS0_4arch9wavefront6targetE0EEEvS13_
		.amdhsa_group_segment_fixed_size 0
		.amdhsa_private_segment_fixed_size 0
		.amdhsa_kernarg_size 176
		.amdhsa_user_sgpr_count 6
		.amdhsa_user_sgpr_private_segment_buffer 1
		.amdhsa_user_sgpr_dispatch_ptr 0
		.amdhsa_user_sgpr_queue_ptr 0
		.amdhsa_user_sgpr_kernarg_segment_ptr 1
		.amdhsa_user_sgpr_dispatch_id 0
		.amdhsa_user_sgpr_flat_scratch_init 0
		.amdhsa_user_sgpr_private_segment_size 0
		.amdhsa_wavefront_size32 1
		.amdhsa_uses_dynamic_stack 0
		.amdhsa_system_sgpr_private_segment_wavefront_offset 0
		.amdhsa_system_sgpr_workgroup_id_x 1
		.amdhsa_system_sgpr_workgroup_id_y 0
		.amdhsa_system_sgpr_workgroup_id_z 0
		.amdhsa_system_sgpr_workgroup_info 0
		.amdhsa_system_vgpr_workitem_id 0
		.amdhsa_next_free_vgpr 1
		.amdhsa_next_free_sgpr 1
		.amdhsa_reserve_vcc 0
		.amdhsa_reserve_flat_scratch 0
		.amdhsa_float_round_mode_32 0
		.amdhsa_float_round_mode_16_64 0
		.amdhsa_float_denorm_mode_32 3
		.amdhsa_float_denorm_mode_16_64 3
		.amdhsa_dx10_clamp 1
		.amdhsa_ieee_mode 1
		.amdhsa_fp16_overflow 0
		.amdhsa_workgroup_processor_mode 1
		.amdhsa_memory_ordered 1
		.amdhsa_forward_progress 1
		.amdhsa_shared_vgpr_count 0
		.amdhsa_exception_fp_ieee_invalid_op 0
		.amdhsa_exception_fp_denorm_src 0
		.amdhsa_exception_fp_ieee_div_zero 0
		.amdhsa_exception_fp_ieee_overflow 0
		.amdhsa_exception_fp_ieee_underflow 0
		.amdhsa_exception_fp_ieee_inexact 0
		.amdhsa_exception_int_div_zero 0
	.end_amdhsa_kernel
	.section	.text._ZN7rocprim17ROCPRIM_400000_NS6detail17trampoline_kernelINS0_13select_configILj256ELj13ELNS0_17block_load_methodE3ELS4_3ELS4_3ELNS0_20block_scan_algorithmE0ELj4294967295EEENS1_25partition_config_selectorILNS1_17partition_subalgoE4EjNS0_10empty_typeEbEEZZNS1_14partition_implILS8_4ELb0ES6_15HIP_vector_typeIjLj2EENS0_17counting_iteratorIjlEEPS9_SG_NS0_5tupleIJPjSI_NS0_16reverse_iteratorISI_EEEEENSH_IJSG_SG_SG_EEES9_SI_JZNS1_25segmented_radix_sort_implINS0_14default_configELb1EPK12hip_bfloat16PSP_PKlPlN2at6native12_GLOBAL__N_18offset_tEEE10hipError_tPvRmT1_PNSt15iterator_traitsIS13_E10value_typeET2_T3_PNS14_IS19_E10value_typeET4_jRbjT5_S1F_jjP12ihipStream_tbEUljE_ZNSN_ISO_Lb1ESR_SS_SU_SV_SZ_EES10_S11_S12_S13_S17_S18_S19_S1C_S1D_jS1E_jS1F_S1F_jjS1H_bEUljE0_EEES10_S11_S12_S19_S1D_S1F_T6_T7_T9_mT8_S1H_bDpT10_ENKUlT_T0_E_clISt17integral_constantIbLb1EES1U_IbLb0EEEEDaS1Q_S1R_EUlS1Q_E_NS1_11comp_targetILNS1_3genE10ELNS1_11target_archE1200ELNS1_3gpuE4ELNS1_3repE0EEENS1_30default_config_static_selectorELNS0_4arch9wavefront6targetE0EEEvS13_,"axG",@progbits,_ZN7rocprim17ROCPRIM_400000_NS6detail17trampoline_kernelINS0_13select_configILj256ELj13ELNS0_17block_load_methodE3ELS4_3ELS4_3ELNS0_20block_scan_algorithmE0ELj4294967295EEENS1_25partition_config_selectorILNS1_17partition_subalgoE4EjNS0_10empty_typeEbEEZZNS1_14partition_implILS8_4ELb0ES6_15HIP_vector_typeIjLj2EENS0_17counting_iteratorIjlEEPS9_SG_NS0_5tupleIJPjSI_NS0_16reverse_iteratorISI_EEEEENSH_IJSG_SG_SG_EEES9_SI_JZNS1_25segmented_radix_sort_implINS0_14default_configELb1EPK12hip_bfloat16PSP_PKlPlN2at6native12_GLOBAL__N_18offset_tEEE10hipError_tPvRmT1_PNSt15iterator_traitsIS13_E10value_typeET2_T3_PNS14_IS19_E10value_typeET4_jRbjT5_S1F_jjP12ihipStream_tbEUljE_ZNSN_ISO_Lb1ESR_SS_SU_SV_SZ_EES10_S11_S12_S13_S17_S18_S19_S1C_S1D_jS1E_jS1F_S1F_jjS1H_bEUljE0_EEES10_S11_S12_S19_S1D_S1F_T6_T7_T9_mT8_S1H_bDpT10_ENKUlT_T0_E_clISt17integral_constantIbLb1EES1U_IbLb0EEEEDaS1Q_S1R_EUlS1Q_E_NS1_11comp_targetILNS1_3genE10ELNS1_11target_archE1200ELNS1_3gpuE4ELNS1_3repE0EEENS1_30default_config_static_selectorELNS0_4arch9wavefront6targetE0EEEvS13_,comdat
.Lfunc_end1893:
	.size	_ZN7rocprim17ROCPRIM_400000_NS6detail17trampoline_kernelINS0_13select_configILj256ELj13ELNS0_17block_load_methodE3ELS4_3ELS4_3ELNS0_20block_scan_algorithmE0ELj4294967295EEENS1_25partition_config_selectorILNS1_17partition_subalgoE4EjNS0_10empty_typeEbEEZZNS1_14partition_implILS8_4ELb0ES6_15HIP_vector_typeIjLj2EENS0_17counting_iteratorIjlEEPS9_SG_NS0_5tupleIJPjSI_NS0_16reverse_iteratorISI_EEEEENSH_IJSG_SG_SG_EEES9_SI_JZNS1_25segmented_radix_sort_implINS0_14default_configELb1EPK12hip_bfloat16PSP_PKlPlN2at6native12_GLOBAL__N_18offset_tEEE10hipError_tPvRmT1_PNSt15iterator_traitsIS13_E10value_typeET2_T3_PNS14_IS19_E10value_typeET4_jRbjT5_S1F_jjP12ihipStream_tbEUljE_ZNSN_ISO_Lb1ESR_SS_SU_SV_SZ_EES10_S11_S12_S13_S17_S18_S19_S1C_S1D_jS1E_jS1F_S1F_jjS1H_bEUljE0_EEES10_S11_S12_S19_S1D_S1F_T6_T7_T9_mT8_S1H_bDpT10_ENKUlT_T0_E_clISt17integral_constantIbLb1EES1U_IbLb0EEEEDaS1Q_S1R_EUlS1Q_E_NS1_11comp_targetILNS1_3genE10ELNS1_11target_archE1200ELNS1_3gpuE4ELNS1_3repE0EEENS1_30default_config_static_selectorELNS0_4arch9wavefront6targetE0EEEvS13_, .Lfunc_end1893-_ZN7rocprim17ROCPRIM_400000_NS6detail17trampoline_kernelINS0_13select_configILj256ELj13ELNS0_17block_load_methodE3ELS4_3ELS4_3ELNS0_20block_scan_algorithmE0ELj4294967295EEENS1_25partition_config_selectorILNS1_17partition_subalgoE4EjNS0_10empty_typeEbEEZZNS1_14partition_implILS8_4ELb0ES6_15HIP_vector_typeIjLj2EENS0_17counting_iteratorIjlEEPS9_SG_NS0_5tupleIJPjSI_NS0_16reverse_iteratorISI_EEEEENSH_IJSG_SG_SG_EEES9_SI_JZNS1_25segmented_radix_sort_implINS0_14default_configELb1EPK12hip_bfloat16PSP_PKlPlN2at6native12_GLOBAL__N_18offset_tEEE10hipError_tPvRmT1_PNSt15iterator_traitsIS13_E10value_typeET2_T3_PNS14_IS19_E10value_typeET4_jRbjT5_S1F_jjP12ihipStream_tbEUljE_ZNSN_ISO_Lb1ESR_SS_SU_SV_SZ_EES10_S11_S12_S13_S17_S18_S19_S1C_S1D_jS1E_jS1F_S1F_jjS1H_bEUljE0_EEES10_S11_S12_S19_S1D_S1F_T6_T7_T9_mT8_S1H_bDpT10_ENKUlT_T0_E_clISt17integral_constantIbLb1EES1U_IbLb0EEEEDaS1Q_S1R_EUlS1Q_E_NS1_11comp_targetILNS1_3genE10ELNS1_11target_archE1200ELNS1_3gpuE4ELNS1_3repE0EEENS1_30default_config_static_selectorELNS0_4arch9wavefront6targetE0EEEvS13_
                                        ; -- End function
	.set _ZN7rocprim17ROCPRIM_400000_NS6detail17trampoline_kernelINS0_13select_configILj256ELj13ELNS0_17block_load_methodE3ELS4_3ELS4_3ELNS0_20block_scan_algorithmE0ELj4294967295EEENS1_25partition_config_selectorILNS1_17partition_subalgoE4EjNS0_10empty_typeEbEEZZNS1_14partition_implILS8_4ELb0ES6_15HIP_vector_typeIjLj2EENS0_17counting_iteratorIjlEEPS9_SG_NS0_5tupleIJPjSI_NS0_16reverse_iteratorISI_EEEEENSH_IJSG_SG_SG_EEES9_SI_JZNS1_25segmented_radix_sort_implINS0_14default_configELb1EPK12hip_bfloat16PSP_PKlPlN2at6native12_GLOBAL__N_18offset_tEEE10hipError_tPvRmT1_PNSt15iterator_traitsIS13_E10value_typeET2_T3_PNS14_IS19_E10value_typeET4_jRbjT5_S1F_jjP12ihipStream_tbEUljE_ZNSN_ISO_Lb1ESR_SS_SU_SV_SZ_EES10_S11_S12_S13_S17_S18_S19_S1C_S1D_jS1E_jS1F_S1F_jjS1H_bEUljE0_EEES10_S11_S12_S19_S1D_S1F_T6_T7_T9_mT8_S1H_bDpT10_ENKUlT_T0_E_clISt17integral_constantIbLb1EES1U_IbLb0EEEEDaS1Q_S1R_EUlS1Q_E_NS1_11comp_targetILNS1_3genE10ELNS1_11target_archE1200ELNS1_3gpuE4ELNS1_3repE0EEENS1_30default_config_static_selectorELNS0_4arch9wavefront6targetE0EEEvS13_.num_vgpr, 0
	.set _ZN7rocprim17ROCPRIM_400000_NS6detail17trampoline_kernelINS0_13select_configILj256ELj13ELNS0_17block_load_methodE3ELS4_3ELS4_3ELNS0_20block_scan_algorithmE0ELj4294967295EEENS1_25partition_config_selectorILNS1_17partition_subalgoE4EjNS0_10empty_typeEbEEZZNS1_14partition_implILS8_4ELb0ES6_15HIP_vector_typeIjLj2EENS0_17counting_iteratorIjlEEPS9_SG_NS0_5tupleIJPjSI_NS0_16reverse_iteratorISI_EEEEENSH_IJSG_SG_SG_EEES9_SI_JZNS1_25segmented_radix_sort_implINS0_14default_configELb1EPK12hip_bfloat16PSP_PKlPlN2at6native12_GLOBAL__N_18offset_tEEE10hipError_tPvRmT1_PNSt15iterator_traitsIS13_E10value_typeET2_T3_PNS14_IS19_E10value_typeET4_jRbjT5_S1F_jjP12ihipStream_tbEUljE_ZNSN_ISO_Lb1ESR_SS_SU_SV_SZ_EES10_S11_S12_S13_S17_S18_S19_S1C_S1D_jS1E_jS1F_S1F_jjS1H_bEUljE0_EEES10_S11_S12_S19_S1D_S1F_T6_T7_T9_mT8_S1H_bDpT10_ENKUlT_T0_E_clISt17integral_constantIbLb1EES1U_IbLb0EEEEDaS1Q_S1R_EUlS1Q_E_NS1_11comp_targetILNS1_3genE10ELNS1_11target_archE1200ELNS1_3gpuE4ELNS1_3repE0EEENS1_30default_config_static_selectorELNS0_4arch9wavefront6targetE0EEEvS13_.num_agpr, 0
	.set _ZN7rocprim17ROCPRIM_400000_NS6detail17trampoline_kernelINS0_13select_configILj256ELj13ELNS0_17block_load_methodE3ELS4_3ELS4_3ELNS0_20block_scan_algorithmE0ELj4294967295EEENS1_25partition_config_selectorILNS1_17partition_subalgoE4EjNS0_10empty_typeEbEEZZNS1_14partition_implILS8_4ELb0ES6_15HIP_vector_typeIjLj2EENS0_17counting_iteratorIjlEEPS9_SG_NS0_5tupleIJPjSI_NS0_16reverse_iteratorISI_EEEEENSH_IJSG_SG_SG_EEES9_SI_JZNS1_25segmented_radix_sort_implINS0_14default_configELb1EPK12hip_bfloat16PSP_PKlPlN2at6native12_GLOBAL__N_18offset_tEEE10hipError_tPvRmT1_PNSt15iterator_traitsIS13_E10value_typeET2_T3_PNS14_IS19_E10value_typeET4_jRbjT5_S1F_jjP12ihipStream_tbEUljE_ZNSN_ISO_Lb1ESR_SS_SU_SV_SZ_EES10_S11_S12_S13_S17_S18_S19_S1C_S1D_jS1E_jS1F_S1F_jjS1H_bEUljE0_EEES10_S11_S12_S19_S1D_S1F_T6_T7_T9_mT8_S1H_bDpT10_ENKUlT_T0_E_clISt17integral_constantIbLb1EES1U_IbLb0EEEEDaS1Q_S1R_EUlS1Q_E_NS1_11comp_targetILNS1_3genE10ELNS1_11target_archE1200ELNS1_3gpuE4ELNS1_3repE0EEENS1_30default_config_static_selectorELNS0_4arch9wavefront6targetE0EEEvS13_.numbered_sgpr, 0
	.set _ZN7rocprim17ROCPRIM_400000_NS6detail17trampoline_kernelINS0_13select_configILj256ELj13ELNS0_17block_load_methodE3ELS4_3ELS4_3ELNS0_20block_scan_algorithmE0ELj4294967295EEENS1_25partition_config_selectorILNS1_17partition_subalgoE4EjNS0_10empty_typeEbEEZZNS1_14partition_implILS8_4ELb0ES6_15HIP_vector_typeIjLj2EENS0_17counting_iteratorIjlEEPS9_SG_NS0_5tupleIJPjSI_NS0_16reverse_iteratorISI_EEEEENSH_IJSG_SG_SG_EEES9_SI_JZNS1_25segmented_radix_sort_implINS0_14default_configELb1EPK12hip_bfloat16PSP_PKlPlN2at6native12_GLOBAL__N_18offset_tEEE10hipError_tPvRmT1_PNSt15iterator_traitsIS13_E10value_typeET2_T3_PNS14_IS19_E10value_typeET4_jRbjT5_S1F_jjP12ihipStream_tbEUljE_ZNSN_ISO_Lb1ESR_SS_SU_SV_SZ_EES10_S11_S12_S13_S17_S18_S19_S1C_S1D_jS1E_jS1F_S1F_jjS1H_bEUljE0_EEES10_S11_S12_S19_S1D_S1F_T6_T7_T9_mT8_S1H_bDpT10_ENKUlT_T0_E_clISt17integral_constantIbLb1EES1U_IbLb0EEEEDaS1Q_S1R_EUlS1Q_E_NS1_11comp_targetILNS1_3genE10ELNS1_11target_archE1200ELNS1_3gpuE4ELNS1_3repE0EEENS1_30default_config_static_selectorELNS0_4arch9wavefront6targetE0EEEvS13_.num_named_barrier, 0
	.set _ZN7rocprim17ROCPRIM_400000_NS6detail17trampoline_kernelINS0_13select_configILj256ELj13ELNS0_17block_load_methodE3ELS4_3ELS4_3ELNS0_20block_scan_algorithmE0ELj4294967295EEENS1_25partition_config_selectorILNS1_17partition_subalgoE4EjNS0_10empty_typeEbEEZZNS1_14partition_implILS8_4ELb0ES6_15HIP_vector_typeIjLj2EENS0_17counting_iteratorIjlEEPS9_SG_NS0_5tupleIJPjSI_NS0_16reverse_iteratorISI_EEEEENSH_IJSG_SG_SG_EEES9_SI_JZNS1_25segmented_radix_sort_implINS0_14default_configELb1EPK12hip_bfloat16PSP_PKlPlN2at6native12_GLOBAL__N_18offset_tEEE10hipError_tPvRmT1_PNSt15iterator_traitsIS13_E10value_typeET2_T3_PNS14_IS19_E10value_typeET4_jRbjT5_S1F_jjP12ihipStream_tbEUljE_ZNSN_ISO_Lb1ESR_SS_SU_SV_SZ_EES10_S11_S12_S13_S17_S18_S19_S1C_S1D_jS1E_jS1F_S1F_jjS1H_bEUljE0_EEES10_S11_S12_S19_S1D_S1F_T6_T7_T9_mT8_S1H_bDpT10_ENKUlT_T0_E_clISt17integral_constantIbLb1EES1U_IbLb0EEEEDaS1Q_S1R_EUlS1Q_E_NS1_11comp_targetILNS1_3genE10ELNS1_11target_archE1200ELNS1_3gpuE4ELNS1_3repE0EEENS1_30default_config_static_selectorELNS0_4arch9wavefront6targetE0EEEvS13_.private_seg_size, 0
	.set _ZN7rocprim17ROCPRIM_400000_NS6detail17trampoline_kernelINS0_13select_configILj256ELj13ELNS0_17block_load_methodE3ELS4_3ELS4_3ELNS0_20block_scan_algorithmE0ELj4294967295EEENS1_25partition_config_selectorILNS1_17partition_subalgoE4EjNS0_10empty_typeEbEEZZNS1_14partition_implILS8_4ELb0ES6_15HIP_vector_typeIjLj2EENS0_17counting_iteratorIjlEEPS9_SG_NS0_5tupleIJPjSI_NS0_16reverse_iteratorISI_EEEEENSH_IJSG_SG_SG_EEES9_SI_JZNS1_25segmented_radix_sort_implINS0_14default_configELb1EPK12hip_bfloat16PSP_PKlPlN2at6native12_GLOBAL__N_18offset_tEEE10hipError_tPvRmT1_PNSt15iterator_traitsIS13_E10value_typeET2_T3_PNS14_IS19_E10value_typeET4_jRbjT5_S1F_jjP12ihipStream_tbEUljE_ZNSN_ISO_Lb1ESR_SS_SU_SV_SZ_EES10_S11_S12_S13_S17_S18_S19_S1C_S1D_jS1E_jS1F_S1F_jjS1H_bEUljE0_EEES10_S11_S12_S19_S1D_S1F_T6_T7_T9_mT8_S1H_bDpT10_ENKUlT_T0_E_clISt17integral_constantIbLb1EES1U_IbLb0EEEEDaS1Q_S1R_EUlS1Q_E_NS1_11comp_targetILNS1_3genE10ELNS1_11target_archE1200ELNS1_3gpuE4ELNS1_3repE0EEENS1_30default_config_static_selectorELNS0_4arch9wavefront6targetE0EEEvS13_.uses_vcc, 0
	.set _ZN7rocprim17ROCPRIM_400000_NS6detail17trampoline_kernelINS0_13select_configILj256ELj13ELNS0_17block_load_methodE3ELS4_3ELS4_3ELNS0_20block_scan_algorithmE0ELj4294967295EEENS1_25partition_config_selectorILNS1_17partition_subalgoE4EjNS0_10empty_typeEbEEZZNS1_14partition_implILS8_4ELb0ES6_15HIP_vector_typeIjLj2EENS0_17counting_iteratorIjlEEPS9_SG_NS0_5tupleIJPjSI_NS0_16reverse_iteratorISI_EEEEENSH_IJSG_SG_SG_EEES9_SI_JZNS1_25segmented_radix_sort_implINS0_14default_configELb1EPK12hip_bfloat16PSP_PKlPlN2at6native12_GLOBAL__N_18offset_tEEE10hipError_tPvRmT1_PNSt15iterator_traitsIS13_E10value_typeET2_T3_PNS14_IS19_E10value_typeET4_jRbjT5_S1F_jjP12ihipStream_tbEUljE_ZNSN_ISO_Lb1ESR_SS_SU_SV_SZ_EES10_S11_S12_S13_S17_S18_S19_S1C_S1D_jS1E_jS1F_S1F_jjS1H_bEUljE0_EEES10_S11_S12_S19_S1D_S1F_T6_T7_T9_mT8_S1H_bDpT10_ENKUlT_T0_E_clISt17integral_constantIbLb1EES1U_IbLb0EEEEDaS1Q_S1R_EUlS1Q_E_NS1_11comp_targetILNS1_3genE10ELNS1_11target_archE1200ELNS1_3gpuE4ELNS1_3repE0EEENS1_30default_config_static_selectorELNS0_4arch9wavefront6targetE0EEEvS13_.uses_flat_scratch, 0
	.set _ZN7rocprim17ROCPRIM_400000_NS6detail17trampoline_kernelINS0_13select_configILj256ELj13ELNS0_17block_load_methodE3ELS4_3ELS4_3ELNS0_20block_scan_algorithmE0ELj4294967295EEENS1_25partition_config_selectorILNS1_17partition_subalgoE4EjNS0_10empty_typeEbEEZZNS1_14partition_implILS8_4ELb0ES6_15HIP_vector_typeIjLj2EENS0_17counting_iteratorIjlEEPS9_SG_NS0_5tupleIJPjSI_NS0_16reverse_iteratorISI_EEEEENSH_IJSG_SG_SG_EEES9_SI_JZNS1_25segmented_radix_sort_implINS0_14default_configELb1EPK12hip_bfloat16PSP_PKlPlN2at6native12_GLOBAL__N_18offset_tEEE10hipError_tPvRmT1_PNSt15iterator_traitsIS13_E10value_typeET2_T3_PNS14_IS19_E10value_typeET4_jRbjT5_S1F_jjP12ihipStream_tbEUljE_ZNSN_ISO_Lb1ESR_SS_SU_SV_SZ_EES10_S11_S12_S13_S17_S18_S19_S1C_S1D_jS1E_jS1F_S1F_jjS1H_bEUljE0_EEES10_S11_S12_S19_S1D_S1F_T6_T7_T9_mT8_S1H_bDpT10_ENKUlT_T0_E_clISt17integral_constantIbLb1EES1U_IbLb0EEEEDaS1Q_S1R_EUlS1Q_E_NS1_11comp_targetILNS1_3genE10ELNS1_11target_archE1200ELNS1_3gpuE4ELNS1_3repE0EEENS1_30default_config_static_selectorELNS0_4arch9wavefront6targetE0EEEvS13_.has_dyn_sized_stack, 0
	.set _ZN7rocprim17ROCPRIM_400000_NS6detail17trampoline_kernelINS0_13select_configILj256ELj13ELNS0_17block_load_methodE3ELS4_3ELS4_3ELNS0_20block_scan_algorithmE0ELj4294967295EEENS1_25partition_config_selectorILNS1_17partition_subalgoE4EjNS0_10empty_typeEbEEZZNS1_14partition_implILS8_4ELb0ES6_15HIP_vector_typeIjLj2EENS0_17counting_iteratorIjlEEPS9_SG_NS0_5tupleIJPjSI_NS0_16reverse_iteratorISI_EEEEENSH_IJSG_SG_SG_EEES9_SI_JZNS1_25segmented_radix_sort_implINS0_14default_configELb1EPK12hip_bfloat16PSP_PKlPlN2at6native12_GLOBAL__N_18offset_tEEE10hipError_tPvRmT1_PNSt15iterator_traitsIS13_E10value_typeET2_T3_PNS14_IS19_E10value_typeET4_jRbjT5_S1F_jjP12ihipStream_tbEUljE_ZNSN_ISO_Lb1ESR_SS_SU_SV_SZ_EES10_S11_S12_S13_S17_S18_S19_S1C_S1D_jS1E_jS1F_S1F_jjS1H_bEUljE0_EEES10_S11_S12_S19_S1D_S1F_T6_T7_T9_mT8_S1H_bDpT10_ENKUlT_T0_E_clISt17integral_constantIbLb1EES1U_IbLb0EEEEDaS1Q_S1R_EUlS1Q_E_NS1_11comp_targetILNS1_3genE10ELNS1_11target_archE1200ELNS1_3gpuE4ELNS1_3repE0EEENS1_30default_config_static_selectorELNS0_4arch9wavefront6targetE0EEEvS13_.has_recursion, 0
	.set _ZN7rocprim17ROCPRIM_400000_NS6detail17trampoline_kernelINS0_13select_configILj256ELj13ELNS0_17block_load_methodE3ELS4_3ELS4_3ELNS0_20block_scan_algorithmE0ELj4294967295EEENS1_25partition_config_selectorILNS1_17partition_subalgoE4EjNS0_10empty_typeEbEEZZNS1_14partition_implILS8_4ELb0ES6_15HIP_vector_typeIjLj2EENS0_17counting_iteratorIjlEEPS9_SG_NS0_5tupleIJPjSI_NS0_16reverse_iteratorISI_EEEEENSH_IJSG_SG_SG_EEES9_SI_JZNS1_25segmented_radix_sort_implINS0_14default_configELb1EPK12hip_bfloat16PSP_PKlPlN2at6native12_GLOBAL__N_18offset_tEEE10hipError_tPvRmT1_PNSt15iterator_traitsIS13_E10value_typeET2_T3_PNS14_IS19_E10value_typeET4_jRbjT5_S1F_jjP12ihipStream_tbEUljE_ZNSN_ISO_Lb1ESR_SS_SU_SV_SZ_EES10_S11_S12_S13_S17_S18_S19_S1C_S1D_jS1E_jS1F_S1F_jjS1H_bEUljE0_EEES10_S11_S12_S19_S1D_S1F_T6_T7_T9_mT8_S1H_bDpT10_ENKUlT_T0_E_clISt17integral_constantIbLb1EES1U_IbLb0EEEEDaS1Q_S1R_EUlS1Q_E_NS1_11comp_targetILNS1_3genE10ELNS1_11target_archE1200ELNS1_3gpuE4ELNS1_3repE0EEENS1_30default_config_static_selectorELNS0_4arch9wavefront6targetE0EEEvS13_.has_indirect_call, 0
	.section	.AMDGPU.csdata,"",@progbits
; Kernel info:
; codeLenInByte = 0
; TotalNumSgprs: 0
; NumVgprs: 0
; ScratchSize: 0
; MemoryBound: 0
; FloatMode: 240
; IeeeMode: 1
; LDSByteSize: 0 bytes/workgroup (compile time only)
; SGPRBlocks: 0
; VGPRBlocks: 0
; NumSGPRsForWavesPerEU: 1
; NumVGPRsForWavesPerEU: 1
; Occupancy: 16
; WaveLimiterHint : 0
; COMPUTE_PGM_RSRC2:SCRATCH_EN: 0
; COMPUTE_PGM_RSRC2:USER_SGPR: 6
; COMPUTE_PGM_RSRC2:TRAP_HANDLER: 0
; COMPUTE_PGM_RSRC2:TGID_X_EN: 1
; COMPUTE_PGM_RSRC2:TGID_Y_EN: 0
; COMPUTE_PGM_RSRC2:TGID_Z_EN: 0
; COMPUTE_PGM_RSRC2:TIDIG_COMP_CNT: 0
	.section	.text._ZN7rocprim17ROCPRIM_400000_NS6detail17trampoline_kernelINS0_13select_configILj256ELj13ELNS0_17block_load_methodE3ELS4_3ELS4_3ELNS0_20block_scan_algorithmE0ELj4294967295EEENS1_25partition_config_selectorILNS1_17partition_subalgoE4EjNS0_10empty_typeEbEEZZNS1_14partition_implILS8_4ELb0ES6_15HIP_vector_typeIjLj2EENS0_17counting_iteratorIjlEEPS9_SG_NS0_5tupleIJPjSI_NS0_16reverse_iteratorISI_EEEEENSH_IJSG_SG_SG_EEES9_SI_JZNS1_25segmented_radix_sort_implINS0_14default_configELb1EPK12hip_bfloat16PSP_PKlPlN2at6native12_GLOBAL__N_18offset_tEEE10hipError_tPvRmT1_PNSt15iterator_traitsIS13_E10value_typeET2_T3_PNS14_IS19_E10value_typeET4_jRbjT5_S1F_jjP12ihipStream_tbEUljE_ZNSN_ISO_Lb1ESR_SS_SU_SV_SZ_EES10_S11_S12_S13_S17_S18_S19_S1C_S1D_jS1E_jS1F_S1F_jjS1H_bEUljE0_EEES10_S11_S12_S19_S1D_S1F_T6_T7_T9_mT8_S1H_bDpT10_ENKUlT_T0_E_clISt17integral_constantIbLb1EES1U_IbLb0EEEEDaS1Q_S1R_EUlS1Q_E_NS1_11comp_targetILNS1_3genE9ELNS1_11target_archE1100ELNS1_3gpuE3ELNS1_3repE0EEENS1_30default_config_static_selectorELNS0_4arch9wavefront6targetE0EEEvS13_,"axG",@progbits,_ZN7rocprim17ROCPRIM_400000_NS6detail17trampoline_kernelINS0_13select_configILj256ELj13ELNS0_17block_load_methodE3ELS4_3ELS4_3ELNS0_20block_scan_algorithmE0ELj4294967295EEENS1_25partition_config_selectorILNS1_17partition_subalgoE4EjNS0_10empty_typeEbEEZZNS1_14partition_implILS8_4ELb0ES6_15HIP_vector_typeIjLj2EENS0_17counting_iteratorIjlEEPS9_SG_NS0_5tupleIJPjSI_NS0_16reverse_iteratorISI_EEEEENSH_IJSG_SG_SG_EEES9_SI_JZNS1_25segmented_radix_sort_implINS0_14default_configELb1EPK12hip_bfloat16PSP_PKlPlN2at6native12_GLOBAL__N_18offset_tEEE10hipError_tPvRmT1_PNSt15iterator_traitsIS13_E10value_typeET2_T3_PNS14_IS19_E10value_typeET4_jRbjT5_S1F_jjP12ihipStream_tbEUljE_ZNSN_ISO_Lb1ESR_SS_SU_SV_SZ_EES10_S11_S12_S13_S17_S18_S19_S1C_S1D_jS1E_jS1F_S1F_jjS1H_bEUljE0_EEES10_S11_S12_S19_S1D_S1F_T6_T7_T9_mT8_S1H_bDpT10_ENKUlT_T0_E_clISt17integral_constantIbLb1EES1U_IbLb0EEEEDaS1Q_S1R_EUlS1Q_E_NS1_11comp_targetILNS1_3genE9ELNS1_11target_archE1100ELNS1_3gpuE3ELNS1_3repE0EEENS1_30default_config_static_selectorELNS0_4arch9wavefront6targetE0EEEvS13_,comdat
	.globl	_ZN7rocprim17ROCPRIM_400000_NS6detail17trampoline_kernelINS0_13select_configILj256ELj13ELNS0_17block_load_methodE3ELS4_3ELS4_3ELNS0_20block_scan_algorithmE0ELj4294967295EEENS1_25partition_config_selectorILNS1_17partition_subalgoE4EjNS0_10empty_typeEbEEZZNS1_14partition_implILS8_4ELb0ES6_15HIP_vector_typeIjLj2EENS0_17counting_iteratorIjlEEPS9_SG_NS0_5tupleIJPjSI_NS0_16reverse_iteratorISI_EEEEENSH_IJSG_SG_SG_EEES9_SI_JZNS1_25segmented_radix_sort_implINS0_14default_configELb1EPK12hip_bfloat16PSP_PKlPlN2at6native12_GLOBAL__N_18offset_tEEE10hipError_tPvRmT1_PNSt15iterator_traitsIS13_E10value_typeET2_T3_PNS14_IS19_E10value_typeET4_jRbjT5_S1F_jjP12ihipStream_tbEUljE_ZNSN_ISO_Lb1ESR_SS_SU_SV_SZ_EES10_S11_S12_S13_S17_S18_S19_S1C_S1D_jS1E_jS1F_S1F_jjS1H_bEUljE0_EEES10_S11_S12_S19_S1D_S1F_T6_T7_T9_mT8_S1H_bDpT10_ENKUlT_T0_E_clISt17integral_constantIbLb1EES1U_IbLb0EEEEDaS1Q_S1R_EUlS1Q_E_NS1_11comp_targetILNS1_3genE9ELNS1_11target_archE1100ELNS1_3gpuE3ELNS1_3repE0EEENS1_30default_config_static_selectorELNS0_4arch9wavefront6targetE0EEEvS13_ ; -- Begin function _ZN7rocprim17ROCPRIM_400000_NS6detail17trampoline_kernelINS0_13select_configILj256ELj13ELNS0_17block_load_methodE3ELS4_3ELS4_3ELNS0_20block_scan_algorithmE0ELj4294967295EEENS1_25partition_config_selectorILNS1_17partition_subalgoE4EjNS0_10empty_typeEbEEZZNS1_14partition_implILS8_4ELb0ES6_15HIP_vector_typeIjLj2EENS0_17counting_iteratorIjlEEPS9_SG_NS0_5tupleIJPjSI_NS0_16reverse_iteratorISI_EEEEENSH_IJSG_SG_SG_EEES9_SI_JZNS1_25segmented_radix_sort_implINS0_14default_configELb1EPK12hip_bfloat16PSP_PKlPlN2at6native12_GLOBAL__N_18offset_tEEE10hipError_tPvRmT1_PNSt15iterator_traitsIS13_E10value_typeET2_T3_PNS14_IS19_E10value_typeET4_jRbjT5_S1F_jjP12ihipStream_tbEUljE_ZNSN_ISO_Lb1ESR_SS_SU_SV_SZ_EES10_S11_S12_S13_S17_S18_S19_S1C_S1D_jS1E_jS1F_S1F_jjS1H_bEUljE0_EEES10_S11_S12_S19_S1D_S1F_T6_T7_T9_mT8_S1H_bDpT10_ENKUlT_T0_E_clISt17integral_constantIbLb1EES1U_IbLb0EEEEDaS1Q_S1R_EUlS1Q_E_NS1_11comp_targetILNS1_3genE9ELNS1_11target_archE1100ELNS1_3gpuE3ELNS1_3repE0EEENS1_30default_config_static_selectorELNS0_4arch9wavefront6targetE0EEEvS13_
	.p2align	8
	.type	_ZN7rocprim17ROCPRIM_400000_NS6detail17trampoline_kernelINS0_13select_configILj256ELj13ELNS0_17block_load_methodE3ELS4_3ELS4_3ELNS0_20block_scan_algorithmE0ELj4294967295EEENS1_25partition_config_selectorILNS1_17partition_subalgoE4EjNS0_10empty_typeEbEEZZNS1_14partition_implILS8_4ELb0ES6_15HIP_vector_typeIjLj2EENS0_17counting_iteratorIjlEEPS9_SG_NS0_5tupleIJPjSI_NS0_16reverse_iteratorISI_EEEEENSH_IJSG_SG_SG_EEES9_SI_JZNS1_25segmented_radix_sort_implINS0_14default_configELb1EPK12hip_bfloat16PSP_PKlPlN2at6native12_GLOBAL__N_18offset_tEEE10hipError_tPvRmT1_PNSt15iterator_traitsIS13_E10value_typeET2_T3_PNS14_IS19_E10value_typeET4_jRbjT5_S1F_jjP12ihipStream_tbEUljE_ZNSN_ISO_Lb1ESR_SS_SU_SV_SZ_EES10_S11_S12_S13_S17_S18_S19_S1C_S1D_jS1E_jS1F_S1F_jjS1H_bEUljE0_EEES10_S11_S12_S19_S1D_S1F_T6_T7_T9_mT8_S1H_bDpT10_ENKUlT_T0_E_clISt17integral_constantIbLb1EES1U_IbLb0EEEEDaS1Q_S1R_EUlS1Q_E_NS1_11comp_targetILNS1_3genE9ELNS1_11target_archE1100ELNS1_3gpuE3ELNS1_3repE0EEENS1_30default_config_static_selectorELNS0_4arch9wavefront6targetE0EEEvS13_,@function
_ZN7rocprim17ROCPRIM_400000_NS6detail17trampoline_kernelINS0_13select_configILj256ELj13ELNS0_17block_load_methodE3ELS4_3ELS4_3ELNS0_20block_scan_algorithmE0ELj4294967295EEENS1_25partition_config_selectorILNS1_17partition_subalgoE4EjNS0_10empty_typeEbEEZZNS1_14partition_implILS8_4ELb0ES6_15HIP_vector_typeIjLj2EENS0_17counting_iteratorIjlEEPS9_SG_NS0_5tupleIJPjSI_NS0_16reverse_iteratorISI_EEEEENSH_IJSG_SG_SG_EEES9_SI_JZNS1_25segmented_radix_sort_implINS0_14default_configELb1EPK12hip_bfloat16PSP_PKlPlN2at6native12_GLOBAL__N_18offset_tEEE10hipError_tPvRmT1_PNSt15iterator_traitsIS13_E10value_typeET2_T3_PNS14_IS19_E10value_typeET4_jRbjT5_S1F_jjP12ihipStream_tbEUljE_ZNSN_ISO_Lb1ESR_SS_SU_SV_SZ_EES10_S11_S12_S13_S17_S18_S19_S1C_S1D_jS1E_jS1F_S1F_jjS1H_bEUljE0_EEES10_S11_S12_S19_S1D_S1F_T6_T7_T9_mT8_S1H_bDpT10_ENKUlT_T0_E_clISt17integral_constantIbLb1EES1U_IbLb0EEEEDaS1Q_S1R_EUlS1Q_E_NS1_11comp_targetILNS1_3genE9ELNS1_11target_archE1100ELNS1_3gpuE3ELNS1_3repE0EEENS1_30default_config_static_selectorELNS0_4arch9wavefront6targetE0EEEvS13_: ; @_ZN7rocprim17ROCPRIM_400000_NS6detail17trampoline_kernelINS0_13select_configILj256ELj13ELNS0_17block_load_methodE3ELS4_3ELS4_3ELNS0_20block_scan_algorithmE0ELj4294967295EEENS1_25partition_config_selectorILNS1_17partition_subalgoE4EjNS0_10empty_typeEbEEZZNS1_14partition_implILS8_4ELb0ES6_15HIP_vector_typeIjLj2EENS0_17counting_iteratorIjlEEPS9_SG_NS0_5tupleIJPjSI_NS0_16reverse_iteratorISI_EEEEENSH_IJSG_SG_SG_EEES9_SI_JZNS1_25segmented_radix_sort_implINS0_14default_configELb1EPK12hip_bfloat16PSP_PKlPlN2at6native12_GLOBAL__N_18offset_tEEE10hipError_tPvRmT1_PNSt15iterator_traitsIS13_E10value_typeET2_T3_PNS14_IS19_E10value_typeET4_jRbjT5_S1F_jjP12ihipStream_tbEUljE_ZNSN_ISO_Lb1ESR_SS_SU_SV_SZ_EES10_S11_S12_S13_S17_S18_S19_S1C_S1D_jS1E_jS1F_S1F_jjS1H_bEUljE0_EEES10_S11_S12_S19_S1D_S1F_T6_T7_T9_mT8_S1H_bDpT10_ENKUlT_T0_E_clISt17integral_constantIbLb1EES1U_IbLb0EEEEDaS1Q_S1R_EUlS1Q_E_NS1_11comp_targetILNS1_3genE9ELNS1_11target_archE1100ELNS1_3gpuE3ELNS1_3repE0EEENS1_30default_config_static_selectorELNS0_4arch9wavefront6targetE0EEEvS13_
; %bb.0:
	.section	.rodata,"a",@progbits
	.p2align	6, 0x0
	.amdhsa_kernel _ZN7rocprim17ROCPRIM_400000_NS6detail17trampoline_kernelINS0_13select_configILj256ELj13ELNS0_17block_load_methodE3ELS4_3ELS4_3ELNS0_20block_scan_algorithmE0ELj4294967295EEENS1_25partition_config_selectorILNS1_17partition_subalgoE4EjNS0_10empty_typeEbEEZZNS1_14partition_implILS8_4ELb0ES6_15HIP_vector_typeIjLj2EENS0_17counting_iteratorIjlEEPS9_SG_NS0_5tupleIJPjSI_NS0_16reverse_iteratorISI_EEEEENSH_IJSG_SG_SG_EEES9_SI_JZNS1_25segmented_radix_sort_implINS0_14default_configELb1EPK12hip_bfloat16PSP_PKlPlN2at6native12_GLOBAL__N_18offset_tEEE10hipError_tPvRmT1_PNSt15iterator_traitsIS13_E10value_typeET2_T3_PNS14_IS19_E10value_typeET4_jRbjT5_S1F_jjP12ihipStream_tbEUljE_ZNSN_ISO_Lb1ESR_SS_SU_SV_SZ_EES10_S11_S12_S13_S17_S18_S19_S1C_S1D_jS1E_jS1F_S1F_jjS1H_bEUljE0_EEES10_S11_S12_S19_S1D_S1F_T6_T7_T9_mT8_S1H_bDpT10_ENKUlT_T0_E_clISt17integral_constantIbLb1EES1U_IbLb0EEEEDaS1Q_S1R_EUlS1Q_E_NS1_11comp_targetILNS1_3genE9ELNS1_11target_archE1100ELNS1_3gpuE3ELNS1_3repE0EEENS1_30default_config_static_selectorELNS0_4arch9wavefront6targetE0EEEvS13_
		.amdhsa_group_segment_fixed_size 0
		.amdhsa_private_segment_fixed_size 0
		.amdhsa_kernarg_size 176
		.amdhsa_user_sgpr_count 6
		.amdhsa_user_sgpr_private_segment_buffer 1
		.amdhsa_user_sgpr_dispatch_ptr 0
		.amdhsa_user_sgpr_queue_ptr 0
		.amdhsa_user_sgpr_kernarg_segment_ptr 1
		.amdhsa_user_sgpr_dispatch_id 0
		.amdhsa_user_sgpr_flat_scratch_init 0
		.amdhsa_user_sgpr_private_segment_size 0
		.amdhsa_wavefront_size32 1
		.amdhsa_uses_dynamic_stack 0
		.amdhsa_system_sgpr_private_segment_wavefront_offset 0
		.amdhsa_system_sgpr_workgroup_id_x 1
		.amdhsa_system_sgpr_workgroup_id_y 0
		.amdhsa_system_sgpr_workgroup_id_z 0
		.amdhsa_system_sgpr_workgroup_info 0
		.amdhsa_system_vgpr_workitem_id 0
		.amdhsa_next_free_vgpr 1
		.amdhsa_next_free_sgpr 1
		.amdhsa_reserve_vcc 0
		.amdhsa_reserve_flat_scratch 0
		.amdhsa_float_round_mode_32 0
		.amdhsa_float_round_mode_16_64 0
		.amdhsa_float_denorm_mode_32 3
		.amdhsa_float_denorm_mode_16_64 3
		.amdhsa_dx10_clamp 1
		.amdhsa_ieee_mode 1
		.amdhsa_fp16_overflow 0
		.amdhsa_workgroup_processor_mode 1
		.amdhsa_memory_ordered 1
		.amdhsa_forward_progress 1
		.amdhsa_shared_vgpr_count 0
		.amdhsa_exception_fp_ieee_invalid_op 0
		.amdhsa_exception_fp_denorm_src 0
		.amdhsa_exception_fp_ieee_div_zero 0
		.amdhsa_exception_fp_ieee_overflow 0
		.amdhsa_exception_fp_ieee_underflow 0
		.amdhsa_exception_fp_ieee_inexact 0
		.amdhsa_exception_int_div_zero 0
	.end_amdhsa_kernel
	.section	.text._ZN7rocprim17ROCPRIM_400000_NS6detail17trampoline_kernelINS0_13select_configILj256ELj13ELNS0_17block_load_methodE3ELS4_3ELS4_3ELNS0_20block_scan_algorithmE0ELj4294967295EEENS1_25partition_config_selectorILNS1_17partition_subalgoE4EjNS0_10empty_typeEbEEZZNS1_14partition_implILS8_4ELb0ES6_15HIP_vector_typeIjLj2EENS0_17counting_iteratorIjlEEPS9_SG_NS0_5tupleIJPjSI_NS0_16reverse_iteratorISI_EEEEENSH_IJSG_SG_SG_EEES9_SI_JZNS1_25segmented_radix_sort_implINS0_14default_configELb1EPK12hip_bfloat16PSP_PKlPlN2at6native12_GLOBAL__N_18offset_tEEE10hipError_tPvRmT1_PNSt15iterator_traitsIS13_E10value_typeET2_T3_PNS14_IS19_E10value_typeET4_jRbjT5_S1F_jjP12ihipStream_tbEUljE_ZNSN_ISO_Lb1ESR_SS_SU_SV_SZ_EES10_S11_S12_S13_S17_S18_S19_S1C_S1D_jS1E_jS1F_S1F_jjS1H_bEUljE0_EEES10_S11_S12_S19_S1D_S1F_T6_T7_T9_mT8_S1H_bDpT10_ENKUlT_T0_E_clISt17integral_constantIbLb1EES1U_IbLb0EEEEDaS1Q_S1R_EUlS1Q_E_NS1_11comp_targetILNS1_3genE9ELNS1_11target_archE1100ELNS1_3gpuE3ELNS1_3repE0EEENS1_30default_config_static_selectorELNS0_4arch9wavefront6targetE0EEEvS13_,"axG",@progbits,_ZN7rocprim17ROCPRIM_400000_NS6detail17trampoline_kernelINS0_13select_configILj256ELj13ELNS0_17block_load_methodE3ELS4_3ELS4_3ELNS0_20block_scan_algorithmE0ELj4294967295EEENS1_25partition_config_selectorILNS1_17partition_subalgoE4EjNS0_10empty_typeEbEEZZNS1_14partition_implILS8_4ELb0ES6_15HIP_vector_typeIjLj2EENS0_17counting_iteratorIjlEEPS9_SG_NS0_5tupleIJPjSI_NS0_16reverse_iteratorISI_EEEEENSH_IJSG_SG_SG_EEES9_SI_JZNS1_25segmented_radix_sort_implINS0_14default_configELb1EPK12hip_bfloat16PSP_PKlPlN2at6native12_GLOBAL__N_18offset_tEEE10hipError_tPvRmT1_PNSt15iterator_traitsIS13_E10value_typeET2_T3_PNS14_IS19_E10value_typeET4_jRbjT5_S1F_jjP12ihipStream_tbEUljE_ZNSN_ISO_Lb1ESR_SS_SU_SV_SZ_EES10_S11_S12_S13_S17_S18_S19_S1C_S1D_jS1E_jS1F_S1F_jjS1H_bEUljE0_EEES10_S11_S12_S19_S1D_S1F_T6_T7_T9_mT8_S1H_bDpT10_ENKUlT_T0_E_clISt17integral_constantIbLb1EES1U_IbLb0EEEEDaS1Q_S1R_EUlS1Q_E_NS1_11comp_targetILNS1_3genE9ELNS1_11target_archE1100ELNS1_3gpuE3ELNS1_3repE0EEENS1_30default_config_static_selectorELNS0_4arch9wavefront6targetE0EEEvS13_,comdat
.Lfunc_end1894:
	.size	_ZN7rocprim17ROCPRIM_400000_NS6detail17trampoline_kernelINS0_13select_configILj256ELj13ELNS0_17block_load_methodE3ELS4_3ELS4_3ELNS0_20block_scan_algorithmE0ELj4294967295EEENS1_25partition_config_selectorILNS1_17partition_subalgoE4EjNS0_10empty_typeEbEEZZNS1_14partition_implILS8_4ELb0ES6_15HIP_vector_typeIjLj2EENS0_17counting_iteratorIjlEEPS9_SG_NS0_5tupleIJPjSI_NS0_16reverse_iteratorISI_EEEEENSH_IJSG_SG_SG_EEES9_SI_JZNS1_25segmented_radix_sort_implINS0_14default_configELb1EPK12hip_bfloat16PSP_PKlPlN2at6native12_GLOBAL__N_18offset_tEEE10hipError_tPvRmT1_PNSt15iterator_traitsIS13_E10value_typeET2_T3_PNS14_IS19_E10value_typeET4_jRbjT5_S1F_jjP12ihipStream_tbEUljE_ZNSN_ISO_Lb1ESR_SS_SU_SV_SZ_EES10_S11_S12_S13_S17_S18_S19_S1C_S1D_jS1E_jS1F_S1F_jjS1H_bEUljE0_EEES10_S11_S12_S19_S1D_S1F_T6_T7_T9_mT8_S1H_bDpT10_ENKUlT_T0_E_clISt17integral_constantIbLb1EES1U_IbLb0EEEEDaS1Q_S1R_EUlS1Q_E_NS1_11comp_targetILNS1_3genE9ELNS1_11target_archE1100ELNS1_3gpuE3ELNS1_3repE0EEENS1_30default_config_static_selectorELNS0_4arch9wavefront6targetE0EEEvS13_, .Lfunc_end1894-_ZN7rocprim17ROCPRIM_400000_NS6detail17trampoline_kernelINS0_13select_configILj256ELj13ELNS0_17block_load_methodE3ELS4_3ELS4_3ELNS0_20block_scan_algorithmE0ELj4294967295EEENS1_25partition_config_selectorILNS1_17partition_subalgoE4EjNS0_10empty_typeEbEEZZNS1_14partition_implILS8_4ELb0ES6_15HIP_vector_typeIjLj2EENS0_17counting_iteratorIjlEEPS9_SG_NS0_5tupleIJPjSI_NS0_16reverse_iteratorISI_EEEEENSH_IJSG_SG_SG_EEES9_SI_JZNS1_25segmented_radix_sort_implINS0_14default_configELb1EPK12hip_bfloat16PSP_PKlPlN2at6native12_GLOBAL__N_18offset_tEEE10hipError_tPvRmT1_PNSt15iterator_traitsIS13_E10value_typeET2_T3_PNS14_IS19_E10value_typeET4_jRbjT5_S1F_jjP12ihipStream_tbEUljE_ZNSN_ISO_Lb1ESR_SS_SU_SV_SZ_EES10_S11_S12_S13_S17_S18_S19_S1C_S1D_jS1E_jS1F_S1F_jjS1H_bEUljE0_EEES10_S11_S12_S19_S1D_S1F_T6_T7_T9_mT8_S1H_bDpT10_ENKUlT_T0_E_clISt17integral_constantIbLb1EES1U_IbLb0EEEEDaS1Q_S1R_EUlS1Q_E_NS1_11comp_targetILNS1_3genE9ELNS1_11target_archE1100ELNS1_3gpuE3ELNS1_3repE0EEENS1_30default_config_static_selectorELNS0_4arch9wavefront6targetE0EEEvS13_
                                        ; -- End function
	.set _ZN7rocprim17ROCPRIM_400000_NS6detail17trampoline_kernelINS0_13select_configILj256ELj13ELNS0_17block_load_methodE3ELS4_3ELS4_3ELNS0_20block_scan_algorithmE0ELj4294967295EEENS1_25partition_config_selectorILNS1_17partition_subalgoE4EjNS0_10empty_typeEbEEZZNS1_14partition_implILS8_4ELb0ES6_15HIP_vector_typeIjLj2EENS0_17counting_iteratorIjlEEPS9_SG_NS0_5tupleIJPjSI_NS0_16reverse_iteratorISI_EEEEENSH_IJSG_SG_SG_EEES9_SI_JZNS1_25segmented_radix_sort_implINS0_14default_configELb1EPK12hip_bfloat16PSP_PKlPlN2at6native12_GLOBAL__N_18offset_tEEE10hipError_tPvRmT1_PNSt15iterator_traitsIS13_E10value_typeET2_T3_PNS14_IS19_E10value_typeET4_jRbjT5_S1F_jjP12ihipStream_tbEUljE_ZNSN_ISO_Lb1ESR_SS_SU_SV_SZ_EES10_S11_S12_S13_S17_S18_S19_S1C_S1D_jS1E_jS1F_S1F_jjS1H_bEUljE0_EEES10_S11_S12_S19_S1D_S1F_T6_T7_T9_mT8_S1H_bDpT10_ENKUlT_T0_E_clISt17integral_constantIbLb1EES1U_IbLb0EEEEDaS1Q_S1R_EUlS1Q_E_NS1_11comp_targetILNS1_3genE9ELNS1_11target_archE1100ELNS1_3gpuE3ELNS1_3repE0EEENS1_30default_config_static_selectorELNS0_4arch9wavefront6targetE0EEEvS13_.num_vgpr, 0
	.set _ZN7rocprim17ROCPRIM_400000_NS6detail17trampoline_kernelINS0_13select_configILj256ELj13ELNS0_17block_load_methodE3ELS4_3ELS4_3ELNS0_20block_scan_algorithmE0ELj4294967295EEENS1_25partition_config_selectorILNS1_17partition_subalgoE4EjNS0_10empty_typeEbEEZZNS1_14partition_implILS8_4ELb0ES6_15HIP_vector_typeIjLj2EENS0_17counting_iteratorIjlEEPS9_SG_NS0_5tupleIJPjSI_NS0_16reverse_iteratorISI_EEEEENSH_IJSG_SG_SG_EEES9_SI_JZNS1_25segmented_radix_sort_implINS0_14default_configELb1EPK12hip_bfloat16PSP_PKlPlN2at6native12_GLOBAL__N_18offset_tEEE10hipError_tPvRmT1_PNSt15iterator_traitsIS13_E10value_typeET2_T3_PNS14_IS19_E10value_typeET4_jRbjT5_S1F_jjP12ihipStream_tbEUljE_ZNSN_ISO_Lb1ESR_SS_SU_SV_SZ_EES10_S11_S12_S13_S17_S18_S19_S1C_S1D_jS1E_jS1F_S1F_jjS1H_bEUljE0_EEES10_S11_S12_S19_S1D_S1F_T6_T7_T9_mT8_S1H_bDpT10_ENKUlT_T0_E_clISt17integral_constantIbLb1EES1U_IbLb0EEEEDaS1Q_S1R_EUlS1Q_E_NS1_11comp_targetILNS1_3genE9ELNS1_11target_archE1100ELNS1_3gpuE3ELNS1_3repE0EEENS1_30default_config_static_selectorELNS0_4arch9wavefront6targetE0EEEvS13_.num_agpr, 0
	.set _ZN7rocprim17ROCPRIM_400000_NS6detail17trampoline_kernelINS0_13select_configILj256ELj13ELNS0_17block_load_methodE3ELS4_3ELS4_3ELNS0_20block_scan_algorithmE0ELj4294967295EEENS1_25partition_config_selectorILNS1_17partition_subalgoE4EjNS0_10empty_typeEbEEZZNS1_14partition_implILS8_4ELb0ES6_15HIP_vector_typeIjLj2EENS0_17counting_iteratorIjlEEPS9_SG_NS0_5tupleIJPjSI_NS0_16reverse_iteratorISI_EEEEENSH_IJSG_SG_SG_EEES9_SI_JZNS1_25segmented_radix_sort_implINS0_14default_configELb1EPK12hip_bfloat16PSP_PKlPlN2at6native12_GLOBAL__N_18offset_tEEE10hipError_tPvRmT1_PNSt15iterator_traitsIS13_E10value_typeET2_T3_PNS14_IS19_E10value_typeET4_jRbjT5_S1F_jjP12ihipStream_tbEUljE_ZNSN_ISO_Lb1ESR_SS_SU_SV_SZ_EES10_S11_S12_S13_S17_S18_S19_S1C_S1D_jS1E_jS1F_S1F_jjS1H_bEUljE0_EEES10_S11_S12_S19_S1D_S1F_T6_T7_T9_mT8_S1H_bDpT10_ENKUlT_T0_E_clISt17integral_constantIbLb1EES1U_IbLb0EEEEDaS1Q_S1R_EUlS1Q_E_NS1_11comp_targetILNS1_3genE9ELNS1_11target_archE1100ELNS1_3gpuE3ELNS1_3repE0EEENS1_30default_config_static_selectorELNS0_4arch9wavefront6targetE0EEEvS13_.numbered_sgpr, 0
	.set _ZN7rocprim17ROCPRIM_400000_NS6detail17trampoline_kernelINS0_13select_configILj256ELj13ELNS0_17block_load_methodE3ELS4_3ELS4_3ELNS0_20block_scan_algorithmE0ELj4294967295EEENS1_25partition_config_selectorILNS1_17partition_subalgoE4EjNS0_10empty_typeEbEEZZNS1_14partition_implILS8_4ELb0ES6_15HIP_vector_typeIjLj2EENS0_17counting_iteratorIjlEEPS9_SG_NS0_5tupleIJPjSI_NS0_16reverse_iteratorISI_EEEEENSH_IJSG_SG_SG_EEES9_SI_JZNS1_25segmented_radix_sort_implINS0_14default_configELb1EPK12hip_bfloat16PSP_PKlPlN2at6native12_GLOBAL__N_18offset_tEEE10hipError_tPvRmT1_PNSt15iterator_traitsIS13_E10value_typeET2_T3_PNS14_IS19_E10value_typeET4_jRbjT5_S1F_jjP12ihipStream_tbEUljE_ZNSN_ISO_Lb1ESR_SS_SU_SV_SZ_EES10_S11_S12_S13_S17_S18_S19_S1C_S1D_jS1E_jS1F_S1F_jjS1H_bEUljE0_EEES10_S11_S12_S19_S1D_S1F_T6_T7_T9_mT8_S1H_bDpT10_ENKUlT_T0_E_clISt17integral_constantIbLb1EES1U_IbLb0EEEEDaS1Q_S1R_EUlS1Q_E_NS1_11comp_targetILNS1_3genE9ELNS1_11target_archE1100ELNS1_3gpuE3ELNS1_3repE0EEENS1_30default_config_static_selectorELNS0_4arch9wavefront6targetE0EEEvS13_.num_named_barrier, 0
	.set _ZN7rocprim17ROCPRIM_400000_NS6detail17trampoline_kernelINS0_13select_configILj256ELj13ELNS0_17block_load_methodE3ELS4_3ELS4_3ELNS0_20block_scan_algorithmE0ELj4294967295EEENS1_25partition_config_selectorILNS1_17partition_subalgoE4EjNS0_10empty_typeEbEEZZNS1_14partition_implILS8_4ELb0ES6_15HIP_vector_typeIjLj2EENS0_17counting_iteratorIjlEEPS9_SG_NS0_5tupleIJPjSI_NS0_16reverse_iteratorISI_EEEEENSH_IJSG_SG_SG_EEES9_SI_JZNS1_25segmented_radix_sort_implINS0_14default_configELb1EPK12hip_bfloat16PSP_PKlPlN2at6native12_GLOBAL__N_18offset_tEEE10hipError_tPvRmT1_PNSt15iterator_traitsIS13_E10value_typeET2_T3_PNS14_IS19_E10value_typeET4_jRbjT5_S1F_jjP12ihipStream_tbEUljE_ZNSN_ISO_Lb1ESR_SS_SU_SV_SZ_EES10_S11_S12_S13_S17_S18_S19_S1C_S1D_jS1E_jS1F_S1F_jjS1H_bEUljE0_EEES10_S11_S12_S19_S1D_S1F_T6_T7_T9_mT8_S1H_bDpT10_ENKUlT_T0_E_clISt17integral_constantIbLb1EES1U_IbLb0EEEEDaS1Q_S1R_EUlS1Q_E_NS1_11comp_targetILNS1_3genE9ELNS1_11target_archE1100ELNS1_3gpuE3ELNS1_3repE0EEENS1_30default_config_static_selectorELNS0_4arch9wavefront6targetE0EEEvS13_.private_seg_size, 0
	.set _ZN7rocprim17ROCPRIM_400000_NS6detail17trampoline_kernelINS0_13select_configILj256ELj13ELNS0_17block_load_methodE3ELS4_3ELS4_3ELNS0_20block_scan_algorithmE0ELj4294967295EEENS1_25partition_config_selectorILNS1_17partition_subalgoE4EjNS0_10empty_typeEbEEZZNS1_14partition_implILS8_4ELb0ES6_15HIP_vector_typeIjLj2EENS0_17counting_iteratorIjlEEPS9_SG_NS0_5tupleIJPjSI_NS0_16reverse_iteratorISI_EEEEENSH_IJSG_SG_SG_EEES9_SI_JZNS1_25segmented_radix_sort_implINS0_14default_configELb1EPK12hip_bfloat16PSP_PKlPlN2at6native12_GLOBAL__N_18offset_tEEE10hipError_tPvRmT1_PNSt15iterator_traitsIS13_E10value_typeET2_T3_PNS14_IS19_E10value_typeET4_jRbjT5_S1F_jjP12ihipStream_tbEUljE_ZNSN_ISO_Lb1ESR_SS_SU_SV_SZ_EES10_S11_S12_S13_S17_S18_S19_S1C_S1D_jS1E_jS1F_S1F_jjS1H_bEUljE0_EEES10_S11_S12_S19_S1D_S1F_T6_T7_T9_mT8_S1H_bDpT10_ENKUlT_T0_E_clISt17integral_constantIbLb1EES1U_IbLb0EEEEDaS1Q_S1R_EUlS1Q_E_NS1_11comp_targetILNS1_3genE9ELNS1_11target_archE1100ELNS1_3gpuE3ELNS1_3repE0EEENS1_30default_config_static_selectorELNS0_4arch9wavefront6targetE0EEEvS13_.uses_vcc, 0
	.set _ZN7rocprim17ROCPRIM_400000_NS6detail17trampoline_kernelINS0_13select_configILj256ELj13ELNS0_17block_load_methodE3ELS4_3ELS4_3ELNS0_20block_scan_algorithmE0ELj4294967295EEENS1_25partition_config_selectorILNS1_17partition_subalgoE4EjNS0_10empty_typeEbEEZZNS1_14partition_implILS8_4ELb0ES6_15HIP_vector_typeIjLj2EENS0_17counting_iteratorIjlEEPS9_SG_NS0_5tupleIJPjSI_NS0_16reverse_iteratorISI_EEEEENSH_IJSG_SG_SG_EEES9_SI_JZNS1_25segmented_radix_sort_implINS0_14default_configELb1EPK12hip_bfloat16PSP_PKlPlN2at6native12_GLOBAL__N_18offset_tEEE10hipError_tPvRmT1_PNSt15iterator_traitsIS13_E10value_typeET2_T3_PNS14_IS19_E10value_typeET4_jRbjT5_S1F_jjP12ihipStream_tbEUljE_ZNSN_ISO_Lb1ESR_SS_SU_SV_SZ_EES10_S11_S12_S13_S17_S18_S19_S1C_S1D_jS1E_jS1F_S1F_jjS1H_bEUljE0_EEES10_S11_S12_S19_S1D_S1F_T6_T7_T9_mT8_S1H_bDpT10_ENKUlT_T0_E_clISt17integral_constantIbLb1EES1U_IbLb0EEEEDaS1Q_S1R_EUlS1Q_E_NS1_11comp_targetILNS1_3genE9ELNS1_11target_archE1100ELNS1_3gpuE3ELNS1_3repE0EEENS1_30default_config_static_selectorELNS0_4arch9wavefront6targetE0EEEvS13_.uses_flat_scratch, 0
	.set _ZN7rocprim17ROCPRIM_400000_NS6detail17trampoline_kernelINS0_13select_configILj256ELj13ELNS0_17block_load_methodE3ELS4_3ELS4_3ELNS0_20block_scan_algorithmE0ELj4294967295EEENS1_25partition_config_selectorILNS1_17partition_subalgoE4EjNS0_10empty_typeEbEEZZNS1_14partition_implILS8_4ELb0ES6_15HIP_vector_typeIjLj2EENS0_17counting_iteratorIjlEEPS9_SG_NS0_5tupleIJPjSI_NS0_16reverse_iteratorISI_EEEEENSH_IJSG_SG_SG_EEES9_SI_JZNS1_25segmented_radix_sort_implINS0_14default_configELb1EPK12hip_bfloat16PSP_PKlPlN2at6native12_GLOBAL__N_18offset_tEEE10hipError_tPvRmT1_PNSt15iterator_traitsIS13_E10value_typeET2_T3_PNS14_IS19_E10value_typeET4_jRbjT5_S1F_jjP12ihipStream_tbEUljE_ZNSN_ISO_Lb1ESR_SS_SU_SV_SZ_EES10_S11_S12_S13_S17_S18_S19_S1C_S1D_jS1E_jS1F_S1F_jjS1H_bEUljE0_EEES10_S11_S12_S19_S1D_S1F_T6_T7_T9_mT8_S1H_bDpT10_ENKUlT_T0_E_clISt17integral_constantIbLb1EES1U_IbLb0EEEEDaS1Q_S1R_EUlS1Q_E_NS1_11comp_targetILNS1_3genE9ELNS1_11target_archE1100ELNS1_3gpuE3ELNS1_3repE0EEENS1_30default_config_static_selectorELNS0_4arch9wavefront6targetE0EEEvS13_.has_dyn_sized_stack, 0
	.set _ZN7rocprim17ROCPRIM_400000_NS6detail17trampoline_kernelINS0_13select_configILj256ELj13ELNS0_17block_load_methodE3ELS4_3ELS4_3ELNS0_20block_scan_algorithmE0ELj4294967295EEENS1_25partition_config_selectorILNS1_17partition_subalgoE4EjNS0_10empty_typeEbEEZZNS1_14partition_implILS8_4ELb0ES6_15HIP_vector_typeIjLj2EENS0_17counting_iteratorIjlEEPS9_SG_NS0_5tupleIJPjSI_NS0_16reverse_iteratorISI_EEEEENSH_IJSG_SG_SG_EEES9_SI_JZNS1_25segmented_radix_sort_implINS0_14default_configELb1EPK12hip_bfloat16PSP_PKlPlN2at6native12_GLOBAL__N_18offset_tEEE10hipError_tPvRmT1_PNSt15iterator_traitsIS13_E10value_typeET2_T3_PNS14_IS19_E10value_typeET4_jRbjT5_S1F_jjP12ihipStream_tbEUljE_ZNSN_ISO_Lb1ESR_SS_SU_SV_SZ_EES10_S11_S12_S13_S17_S18_S19_S1C_S1D_jS1E_jS1F_S1F_jjS1H_bEUljE0_EEES10_S11_S12_S19_S1D_S1F_T6_T7_T9_mT8_S1H_bDpT10_ENKUlT_T0_E_clISt17integral_constantIbLb1EES1U_IbLb0EEEEDaS1Q_S1R_EUlS1Q_E_NS1_11comp_targetILNS1_3genE9ELNS1_11target_archE1100ELNS1_3gpuE3ELNS1_3repE0EEENS1_30default_config_static_selectorELNS0_4arch9wavefront6targetE0EEEvS13_.has_recursion, 0
	.set _ZN7rocprim17ROCPRIM_400000_NS6detail17trampoline_kernelINS0_13select_configILj256ELj13ELNS0_17block_load_methodE3ELS4_3ELS4_3ELNS0_20block_scan_algorithmE0ELj4294967295EEENS1_25partition_config_selectorILNS1_17partition_subalgoE4EjNS0_10empty_typeEbEEZZNS1_14partition_implILS8_4ELb0ES6_15HIP_vector_typeIjLj2EENS0_17counting_iteratorIjlEEPS9_SG_NS0_5tupleIJPjSI_NS0_16reverse_iteratorISI_EEEEENSH_IJSG_SG_SG_EEES9_SI_JZNS1_25segmented_radix_sort_implINS0_14default_configELb1EPK12hip_bfloat16PSP_PKlPlN2at6native12_GLOBAL__N_18offset_tEEE10hipError_tPvRmT1_PNSt15iterator_traitsIS13_E10value_typeET2_T3_PNS14_IS19_E10value_typeET4_jRbjT5_S1F_jjP12ihipStream_tbEUljE_ZNSN_ISO_Lb1ESR_SS_SU_SV_SZ_EES10_S11_S12_S13_S17_S18_S19_S1C_S1D_jS1E_jS1F_S1F_jjS1H_bEUljE0_EEES10_S11_S12_S19_S1D_S1F_T6_T7_T9_mT8_S1H_bDpT10_ENKUlT_T0_E_clISt17integral_constantIbLb1EES1U_IbLb0EEEEDaS1Q_S1R_EUlS1Q_E_NS1_11comp_targetILNS1_3genE9ELNS1_11target_archE1100ELNS1_3gpuE3ELNS1_3repE0EEENS1_30default_config_static_selectorELNS0_4arch9wavefront6targetE0EEEvS13_.has_indirect_call, 0
	.section	.AMDGPU.csdata,"",@progbits
; Kernel info:
; codeLenInByte = 0
; TotalNumSgprs: 0
; NumVgprs: 0
; ScratchSize: 0
; MemoryBound: 0
; FloatMode: 240
; IeeeMode: 1
; LDSByteSize: 0 bytes/workgroup (compile time only)
; SGPRBlocks: 0
; VGPRBlocks: 0
; NumSGPRsForWavesPerEU: 1
; NumVGPRsForWavesPerEU: 1
; Occupancy: 16
; WaveLimiterHint : 0
; COMPUTE_PGM_RSRC2:SCRATCH_EN: 0
; COMPUTE_PGM_RSRC2:USER_SGPR: 6
; COMPUTE_PGM_RSRC2:TRAP_HANDLER: 0
; COMPUTE_PGM_RSRC2:TGID_X_EN: 1
; COMPUTE_PGM_RSRC2:TGID_Y_EN: 0
; COMPUTE_PGM_RSRC2:TGID_Z_EN: 0
; COMPUTE_PGM_RSRC2:TIDIG_COMP_CNT: 0
	.section	.text._ZN7rocprim17ROCPRIM_400000_NS6detail17trampoline_kernelINS0_13select_configILj256ELj13ELNS0_17block_load_methodE3ELS4_3ELS4_3ELNS0_20block_scan_algorithmE0ELj4294967295EEENS1_25partition_config_selectorILNS1_17partition_subalgoE4EjNS0_10empty_typeEbEEZZNS1_14partition_implILS8_4ELb0ES6_15HIP_vector_typeIjLj2EENS0_17counting_iteratorIjlEEPS9_SG_NS0_5tupleIJPjSI_NS0_16reverse_iteratorISI_EEEEENSH_IJSG_SG_SG_EEES9_SI_JZNS1_25segmented_radix_sort_implINS0_14default_configELb1EPK12hip_bfloat16PSP_PKlPlN2at6native12_GLOBAL__N_18offset_tEEE10hipError_tPvRmT1_PNSt15iterator_traitsIS13_E10value_typeET2_T3_PNS14_IS19_E10value_typeET4_jRbjT5_S1F_jjP12ihipStream_tbEUljE_ZNSN_ISO_Lb1ESR_SS_SU_SV_SZ_EES10_S11_S12_S13_S17_S18_S19_S1C_S1D_jS1E_jS1F_S1F_jjS1H_bEUljE0_EEES10_S11_S12_S19_S1D_S1F_T6_T7_T9_mT8_S1H_bDpT10_ENKUlT_T0_E_clISt17integral_constantIbLb1EES1U_IbLb0EEEEDaS1Q_S1R_EUlS1Q_E_NS1_11comp_targetILNS1_3genE8ELNS1_11target_archE1030ELNS1_3gpuE2ELNS1_3repE0EEENS1_30default_config_static_selectorELNS0_4arch9wavefront6targetE0EEEvS13_,"axG",@progbits,_ZN7rocprim17ROCPRIM_400000_NS6detail17trampoline_kernelINS0_13select_configILj256ELj13ELNS0_17block_load_methodE3ELS4_3ELS4_3ELNS0_20block_scan_algorithmE0ELj4294967295EEENS1_25partition_config_selectorILNS1_17partition_subalgoE4EjNS0_10empty_typeEbEEZZNS1_14partition_implILS8_4ELb0ES6_15HIP_vector_typeIjLj2EENS0_17counting_iteratorIjlEEPS9_SG_NS0_5tupleIJPjSI_NS0_16reverse_iteratorISI_EEEEENSH_IJSG_SG_SG_EEES9_SI_JZNS1_25segmented_radix_sort_implINS0_14default_configELb1EPK12hip_bfloat16PSP_PKlPlN2at6native12_GLOBAL__N_18offset_tEEE10hipError_tPvRmT1_PNSt15iterator_traitsIS13_E10value_typeET2_T3_PNS14_IS19_E10value_typeET4_jRbjT5_S1F_jjP12ihipStream_tbEUljE_ZNSN_ISO_Lb1ESR_SS_SU_SV_SZ_EES10_S11_S12_S13_S17_S18_S19_S1C_S1D_jS1E_jS1F_S1F_jjS1H_bEUljE0_EEES10_S11_S12_S19_S1D_S1F_T6_T7_T9_mT8_S1H_bDpT10_ENKUlT_T0_E_clISt17integral_constantIbLb1EES1U_IbLb0EEEEDaS1Q_S1R_EUlS1Q_E_NS1_11comp_targetILNS1_3genE8ELNS1_11target_archE1030ELNS1_3gpuE2ELNS1_3repE0EEENS1_30default_config_static_selectorELNS0_4arch9wavefront6targetE0EEEvS13_,comdat
	.globl	_ZN7rocprim17ROCPRIM_400000_NS6detail17trampoline_kernelINS0_13select_configILj256ELj13ELNS0_17block_load_methodE3ELS4_3ELS4_3ELNS0_20block_scan_algorithmE0ELj4294967295EEENS1_25partition_config_selectorILNS1_17partition_subalgoE4EjNS0_10empty_typeEbEEZZNS1_14partition_implILS8_4ELb0ES6_15HIP_vector_typeIjLj2EENS0_17counting_iteratorIjlEEPS9_SG_NS0_5tupleIJPjSI_NS0_16reverse_iteratorISI_EEEEENSH_IJSG_SG_SG_EEES9_SI_JZNS1_25segmented_radix_sort_implINS0_14default_configELb1EPK12hip_bfloat16PSP_PKlPlN2at6native12_GLOBAL__N_18offset_tEEE10hipError_tPvRmT1_PNSt15iterator_traitsIS13_E10value_typeET2_T3_PNS14_IS19_E10value_typeET4_jRbjT5_S1F_jjP12ihipStream_tbEUljE_ZNSN_ISO_Lb1ESR_SS_SU_SV_SZ_EES10_S11_S12_S13_S17_S18_S19_S1C_S1D_jS1E_jS1F_S1F_jjS1H_bEUljE0_EEES10_S11_S12_S19_S1D_S1F_T6_T7_T9_mT8_S1H_bDpT10_ENKUlT_T0_E_clISt17integral_constantIbLb1EES1U_IbLb0EEEEDaS1Q_S1R_EUlS1Q_E_NS1_11comp_targetILNS1_3genE8ELNS1_11target_archE1030ELNS1_3gpuE2ELNS1_3repE0EEENS1_30default_config_static_selectorELNS0_4arch9wavefront6targetE0EEEvS13_ ; -- Begin function _ZN7rocprim17ROCPRIM_400000_NS6detail17trampoline_kernelINS0_13select_configILj256ELj13ELNS0_17block_load_methodE3ELS4_3ELS4_3ELNS0_20block_scan_algorithmE0ELj4294967295EEENS1_25partition_config_selectorILNS1_17partition_subalgoE4EjNS0_10empty_typeEbEEZZNS1_14partition_implILS8_4ELb0ES6_15HIP_vector_typeIjLj2EENS0_17counting_iteratorIjlEEPS9_SG_NS0_5tupleIJPjSI_NS0_16reverse_iteratorISI_EEEEENSH_IJSG_SG_SG_EEES9_SI_JZNS1_25segmented_radix_sort_implINS0_14default_configELb1EPK12hip_bfloat16PSP_PKlPlN2at6native12_GLOBAL__N_18offset_tEEE10hipError_tPvRmT1_PNSt15iterator_traitsIS13_E10value_typeET2_T3_PNS14_IS19_E10value_typeET4_jRbjT5_S1F_jjP12ihipStream_tbEUljE_ZNSN_ISO_Lb1ESR_SS_SU_SV_SZ_EES10_S11_S12_S13_S17_S18_S19_S1C_S1D_jS1E_jS1F_S1F_jjS1H_bEUljE0_EEES10_S11_S12_S19_S1D_S1F_T6_T7_T9_mT8_S1H_bDpT10_ENKUlT_T0_E_clISt17integral_constantIbLb1EES1U_IbLb0EEEEDaS1Q_S1R_EUlS1Q_E_NS1_11comp_targetILNS1_3genE8ELNS1_11target_archE1030ELNS1_3gpuE2ELNS1_3repE0EEENS1_30default_config_static_selectorELNS0_4arch9wavefront6targetE0EEEvS13_
	.p2align	8
	.type	_ZN7rocprim17ROCPRIM_400000_NS6detail17trampoline_kernelINS0_13select_configILj256ELj13ELNS0_17block_load_methodE3ELS4_3ELS4_3ELNS0_20block_scan_algorithmE0ELj4294967295EEENS1_25partition_config_selectorILNS1_17partition_subalgoE4EjNS0_10empty_typeEbEEZZNS1_14partition_implILS8_4ELb0ES6_15HIP_vector_typeIjLj2EENS0_17counting_iteratorIjlEEPS9_SG_NS0_5tupleIJPjSI_NS0_16reverse_iteratorISI_EEEEENSH_IJSG_SG_SG_EEES9_SI_JZNS1_25segmented_radix_sort_implINS0_14default_configELb1EPK12hip_bfloat16PSP_PKlPlN2at6native12_GLOBAL__N_18offset_tEEE10hipError_tPvRmT1_PNSt15iterator_traitsIS13_E10value_typeET2_T3_PNS14_IS19_E10value_typeET4_jRbjT5_S1F_jjP12ihipStream_tbEUljE_ZNSN_ISO_Lb1ESR_SS_SU_SV_SZ_EES10_S11_S12_S13_S17_S18_S19_S1C_S1D_jS1E_jS1F_S1F_jjS1H_bEUljE0_EEES10_S11_S12_S19_S1D_S1F_T6_T7_T9_mT8_S1H_bDpT10_ENKUlT_T0_E_clISt17integral_constantIbLb1EES1U_IbLb0EEEEDaS1Q_S1R_EUlS1Q_E_NS1_11comp_targetILNS1_3genE8ELNS1_11target_archE1030ELNS1_3gpuE2ELNS1_3repE0EEENS1_30default_config_static_selectorELNS0_4arch9wavefront6targetE0EEEvS13_,@function
_ZN7rocprim17ROCPRIM_400000_NS6detail17trampoline_kernelINS0_13select_configILj256ELj13ELNS0_17block_load_methodE3ELS4_3ELS4_3ELNS0_20block_scan_algorithmE0ELj4294967295EEENS1_25partition_config_selectorILNS1_17partition_subalgoE4EjNS0_10empty_typeEbEEZZNS1_14partition_implILS8_4ELb0ES6_15HIP_vector_typeIjLj2EENS0_17counting_iteratorIjlEEPS9_SG_NS0_5tupleIJPjSI_NS0_16reverse_iteratorISI_EEEEENSH_IJSG_SG_SG_EEES9_SI_JZNS1_25segmented_radix_sort_implINS0_14default_configELb1EPK12hip_bfloat16PSP_PKlPlN2at6native12_GLOBAL__N_18offset_tEEE10hipError_tPvRmT1_PNSt15iterator_traitsIS13_E10value_typeET2_T3_PNS14_IS19_E10value_typeET4_jRbjT5_S1F_jjP12ihipStream_tbEUljE_ZNSN_ISO_Lb1ESR_SS_SU_SV_SZ_EES10_S11_S12_S13_S17_S18_S19_S1C_S1D_jS1E_jS1F_S1F_jjS1H_bEUljE0_EEES10_S11_S12_S19_S1D_S1F_T6_T7_T9_mT8_S1H_bDpT10_ENKUlT_T0_E_clISt17integral_constantIbLb1EES1U_IbLb0EEEEDaS1Q_S1R_EUlS1Q_E_NS1_11comp_targetILNS1_3genE8ELNS1_11target_archE1030ELNS1_3gpuE2ELNS1_3repE0EEENS1_30default_config_static_selectorELNS0_4arch9wavefront6targetE0EEEvS13_: ; @_ZN7rocprim17ROCPRIM_400000_NS6detail17trampoline_kernelINS0_13select_configILj256ELj13ELNS0_17block_load_methodE3ELS4_3ELS4_3ELNS0_20block_scan_algorithmE0ELj4294967295EEENS1_25partition_config_selectorILNS1_17partition_subalgoE4EjNS0_10empty_typeEbEEZZNS1_14partition_implILS8_4ELb0ES6_15HIP_vector_typeIjLj2EENS0_17counting_iteratorIjlEEPS9_SG_NS0_5tupleIJPjSI_NS0_16reverse_iteratorISI_EEEEENSH_IJSG_SG_SG_EEES9_SI_JZNS1_25segmented_radix_sort_implINS0_14default_configELb1EPK12hip_bfloat16PSP_PKlPlN2at6native12_GLOBAL__N_18offset_tEEE10hipError_tPvRmT1_PNSt15iterator_traitsIS13_E10value_typeET2_T3_PNS14_IS19_E10value_typeET4_jRbjT5_S1F_jjP12ihipStream_tbEUljE_ZNSN_ISO_Lb1ESR_SS_SU_SV_SZ_EES10_S11_S12_S13_S17_S18_S19_S1C_S1D_jS1E_jS1F_S1F_jjS1H_bEUljE0_EEES10_S11_S12_S19_S1D_S1F_T6_T7_T9_mT8_S1H_bDpT10_ENKUlT_T0_E_clISt17integral_constantIbLb1EES1U_IbLb0EEEEDaS1Q_S1R_EUlS1Q_E_NS1_11comp_targetILNS1_3genE8ELNS1_11target_archE1030ELNS1_3gpuE2ELNS1_3repE0EEENS1_30default_config_static_selectorELNS0_4arch9wavefront6targetE0EEEvS13_
; %bb.0:
	s_endpgm
	.section	.rodata,"a",@progbits
	.p2align	6, 0x0
	.amdhsa_kernel _ZN7rocprim17ROCPRIM_400000_NS6detail17trampoline_kernelINS0_13select_configILj256ELj13ELNS0_17block_load_methodE3ELS4_3ELS4_3ELNS0_20block_scan_algorithmE0ELj4294967295EEENS1_25partition_config_selectorILNS1_17partition_subalgoE4EjNS0_10empty_typeEbEEZZNS1_14partition_implILS8_4ELb0ES6_15HIP_vector_typeIjLj2EENS0_17counting_iteratorIjlEEPS9_SG_NS0_5tupleIJPjSI_NS0_16reverse_iteratorISI_EEEEENSH_IJSG_SG_SG_EEES9_SI_JZNS1_25segmented_radix_sort_implINS0_14default_configELb1EPK12hip_bfloat16PSP_PKlPlN2at6native12_GLOBAL__N_18offset_tEEE10hipError_tPvRmT1_PNSt15iterator_traitsIS13_E10value_typeET2_T3_PNS14_IS19_E10value_typeET4_jRbjT5_S1F_jjP12ihipStream_tbEUljE_ZNSN_ISO_Lb1ESR_SS_SU_SV_SZ_EES10_S11_S12_S13_S17_S18_S19_S1C_S1D_jS1E_jS1F_S1F_jjS1H_bEUljE0_EEES10_S11_S12_S19_S1D_S1F_T6_T7_T9_mT8_S1H_bDpT10_ENKUlT_T0_E_clISt17integral_constantIbLb1EES1U_IbLb0EEEEDaS1Q_S1R_EUlS1Q_E_NS1_11comp_targetILNS1_3genE8ELNS1_11target_archE1030ELNS1_3gpuE2ELNS1_3repE0EEENS1_30default_config_static_selectorELNS0_4arch9wavefront6targetE0EEEvS13_
		.amdhsa_group_segment_fixed_size 0
		.amdhsa_private_segment_fixed_size 0
		.amdhsa_kernarg_size 176
		.amdhsa_user_sgpr_count 6
		.amdhsa_user_sgpr_private_segment_buffer 1
		.amdhsa_user_sgpr_dispatch_ptr 0
		.amdhsa_user_sgpr_queue_ptr 0
		.amdhsa_user_sgpr_kernarg_segment_ptr 1
		.amdhsa_user_sgpr_dispatch_id 0
		.amdhsa_user_sgpr_flat_scratch_init 0
		.amdhsa_user_sgpr_private_segment_size 0
		.amdhsa_wavefront_size32 1
		.amdhsa_uses_dynamic_stack 0
		.amdhsa_system_sgpr_private_segment_wavefront_offset 0
		.amdhsa_system_sgpr_workgroup_id_x 1
		.amdhsa_system_sgpr_workgroup_id_y 0
		.amdhsa_system_sgpr_workgroup_id_z 0
		.amdhsa_system_sgpr_workgroup_info 0
		.amdhsa_system_vgpr_workitem_id 0
		.amdhsa_next_free_vgpr 1
		.amdhsa_next_free_sgpr 1
		.amdhsa_reserve_vcc 0
		.amdhsa_reserve_flat_scratch 0
		.amdhsa_float_round_mode_32 0
		.amdhsa_float_round_mode_16_64 0
		.amdhsa_float_denorm_mode_32 3
		.amdhsa_float_denorm_mode_16_64 3
		.amdhsa_dx10_clamp 1
		.amdhsa_ieee_mode 1
		.amdhsa_fp16_overflow 0
		.amdhsa_workgroup_processor_mode 1
		.amdhsa_memory_ordered 1
		.amdhsa_forward_progress 1
		.amdhsa_shared_vgpr_count 0
		.amdhsa_exception_fp_ieee_invalid_op 0
		.amdhsa_exception_fp_denorm_src 0
		.amdhsa_exception_fp_ieee_div_zero 0
		.amdhsa_exception_fp_ieee_overflow 0
		.amdhsa_exception_fp_ieee_underflow 0
		.amdhsa_exception_fp_ieee_inexact 0
		.amdhsa_exception_int_div_zero 0
	.end_amdhsa_kernel
	.section	.text._ZN7rocprim17ROCPRIM_400000_NS6detail17trampoline_kernelINS0_13select_configILj256ELj13ELNS0_17block_load_methodE3ELS4_3ELS4_3ELNS0_20block_scan_algorithmE0ELj4294967295EEENS1_25partition_config_selectorILNS1_17partition_subalgoE4EjNS0_10empty_typeEbEEZZNS1_14partition_implILS8_4ELb0ES6_15HIP_vector_typeIjLj2EENS0_17counting_iteratorIjlEEPS9_SG_NS0_5tupleIJPjSI_NS0_16reverse_iteratorISI_EEEEENSH_IJSG_SG_SG_EEES9_SI_JZNS1_25segmented_radix_sort_implINS0_14default_configELb1EPK12hip_bfloat16PSP_PKlPlN2at6native12_GLOBAL__N_18offset_tEEE10hipError_tPvRmT1_PNSt15iterator_traitsIS13_E10value_typeET2_T3_PNS14_IS19_E10value_typeET4_jRbjT5_S1F_jjP12ihipStream_tbEUljE_ZNSN_ISO_Lb1ESR_SS_SU_SV_SZ_EES10_S11_S12_S13_S17_S18_S19_S1C_S1D_jS1E_jS1F_S1F_jjS1H_bEUljE0_EEES10_S11_S12_S19_S1D_S1F_T6_T7_T9_mT8_S1H_bDpT10_ENKUlT_T0_E_clISt17integral_constantIbLb1EES1U_IbLb0EEEEDaS1Q_S1R_EUlS1Q_E_NS1_11comp_targetILNS1_3genE8ELNS1_11target_archE1030ELNS1_3gpuE2ELNS1_3repE0EEENS1_30default_config_static_selectorELNS0_4arch9wavefront6targetE0EEEvS13_,"axG",@progbits,_ZN7rocprim17ROCPRIM_400000_NS6detail17trampoline_kernelINS0_13select_configILj256ELj13ELNS0_17block_load_methodE3ELS4_3ELS4_3ELNS0_20block_scan_algorithmE0ELj4294967295EEENS1_25partition_config_selectorILNS1_17partition_subalgoE4EjNS0_10empty_typeEbEEZZNS1_14partition_implILS8_4ELb0ES6_15HIP_vector_typeIjLj2EENS0_17counting_iteratorIjlEEPS9_SG_NS0_5tupleIJPjSI_NS0_16reverse_iteratorISI_EEEEENSH_IJSG_SG_SG_EEES9_SI_JZNS1_25segmented_radix_sort_implINS0_14default_configELb1EPK12hip_bfloat16PSP_PKlPlN2at6native12_GLOBAL__N_18offset_tEEE10hipError_tPvRmT1_PNSt15iterator_traitsIS13_E10value_typeET2_T3_PNS14_IS19_E10value_typeET4_jRbjT5_S1F_jjP12ihipStream_tbEUljE_ZNSN_ISO_Lb1ESR_SS_SU_SV_SZ_EES10_S11_S12_S13_S17_S18_S19_S1C_S1D_jS1E_jS1F_S1F_jjS1H_bEUljE0_EEES10_S11_S12_S19_S1D_S1F_T6_T7_T9_mT8_S1H_bDpT10_ENKUlT_T0_E_clISt17integral_constantIbLb1EES1U_IbLb0EEEEDaS1Q_S1R_EUlS1Q_E_NS1_11comp_targetILNS1_3genE8ELNS1_11target_archE1030ELNS1_3gpuE2ELNS1_3repE0EEENS1_30default_config_static_selectorELNS0_4arch9wavefront6targetE0EEEvS13_,comdat
.Lfunc_end1895:
	.size	_ZN7rocprim17ROCPRIM_400000_NS6detail17trampoline_kernelINS0_13select_configILj256ELj13ELNS0_17block_load_methodE3ELS4_3ELS4_3ELNS0_20block_scan_algorithmE0ELj4294967295EEENS1_25partition_config_selectorILNS1_17partition_subalgoE4EjNS0_10empty_typeEbEEZZNS1_14partition_implILS8_4ELb0ES6_15HIP_vector_typeIjLj2EENS0_17counting_iteratorIjlEEPS9_SG_NS0_5tupleIJPjSI_NS0_16reverse_iteratorISI_EEEEENSH_IJSG_SG_SG_EEES9_SI_JZNS1_25segmented_radix_sort_implINS0_14default_configELb1EPK12hip_bfloat16PSP_PKlPlN2at6native12_GLOBAL__N_18offset_tEEE10hipError_tPvRmT1_PNSt15iterator_traitsIS13_E10value_typeET2_T3_PNS14_IS19_E10value_typeET4_jRbjT5_S1F_jjP12ihipStream_tbEUljE_ZNSN_ISO_Lb1ESR_SS_SU_SV_SZ_EES10_S11_S12_S13_S17_S18_S19_S1C_S1D_jS1E_jS1F_S1F_jjS1H_bEUljE0_EEES10_S11_S12_S19_S1D_S1F_T6_T7_T9_mT8_S1H_bDpT10_ENKUlT_T0_E_clISt17integral_constantIbLb1EES1U_IbLb0EEEEDaS1Q_S1R_EUlS1Q_E_NS1_11comp_targetILNS1_3genE8ELNS1_11target_archE1030ELNS1_3gpuE2ELNS1_3repE0EEENS1_30default_config_static_selectorELNS0_4arch9wavefront6targetE0EEEvS13_, .Lfunc_end1895-_ZN7rocprim17ROCPRIM_400000_NS6detail17trampoline_kernelINS0_13select_configILj256ELj13ELNS0_17block_load_methodE3ELS4_3ELS4_3ELNS0_20block_scan_algorithmE0ELj4294967295EEENS1_25partition_config_selectorILNS1_17partition_subalgoE4EjNS0_10empty_typeEbEEZZNS1_14partition_implILS8_4ELb0ES6_15HIP_vector_typeIjLj2EENS0_17counting_iteratorIjlEEPS9_SG_NS0_5tupleIJPjSI_NS0_16reverse_iteratorISI_EEEEENSH_IJSG_SG_SG_EEES9_SI_JZNS1_25segmented_radix_sort_implINS0_14default_configELb1EPK12hip_bfloat16PSP_PKlPlN2at6native12_GLOBAL__N_18offset_tEEE10hipError_tPvRmT1_PNSt15iterator_traitsIS13_E10value_typeET2_T3_PNS14_IS19_E10value_typeET4_jRbjT5_S1F_jjP12ihipStream_tbEUljE_ZNSN_ISO_Lb1ESR_SS_SU_SV_SZ_EES10_S11_S12_S13_S17_S18_S19_S1C_S1D_jS1E_jS1F_S1F_jjS1H_bEUljE0_EEES10_S11_S12_S19_S1D_S1F_T6_T7_T9_mT8_S1H_bDpT10_ENKUlT_T0_E_clISt17integral_constantIbLb1EES1U_IbLb0EEEEDaS1Q_S1R_EUlS1Q_E_NS1_11comp_targetILNS1_3genE8ELNS1_11target_archE1030ELNS1_3gpuE2ELNS1_3repE0EEENS1_30default_config_static_selectorELNS0_4arch9wavefront6targetE0EEEvS13_
                                        ; -- End function
	.set _ZN7rocprim17ROCPRIM_400000_NS6detail17trampoline_kernelINS0_13select_configILj256ELj13ELNS0_17block_load_methodE3ELS4_3ELS4_3ELNS0_20block_scan_algorithmE0ELj4294967295EEENS1_25partition_config_selectorILNS1_17partition_subalgoE4EjNS0_10empty_typeEbEEZZNS1_14partition_implILS8_4ELb0ES6_15HIP_vector_typeIjLj2EENS0_17counting_iteratorIjlEEPS9_SG_NS0_5tupleIJPjSI_NS0_16reverse_iteratorISI_EEEEENSH_IJSG_SG_SG_EEES9_SI_JZNS1_25segmented_radix_sort_implINS0_14default_configELb1EPK12hip_bfloat16PSP_PKlPlN2at6native12_GLOBAL__N_18offset_tEEE10hipError_tPvRmT1_PNSt15iterator_traitsIS13_E10value_typeET2_T3_PNS14_IS19_E10value_typeET4_jRbjT5_S1F_jjP12ihipStream_tbEUljE_ZNSN_ISO_Lb1ESR_SS_SU_SV_SZ_EES10_S11_S12_S13_S17_S18_S19_S1C_S1D_jS1E_jS1F_S1F_jjS1H_bEUljE0_EEES10_S11_S12_S19_S1D_S1F_T6_T7_T9_mT8_S1H_bDpT10_ENKUlT_T0_E_clISt17integral_constantIbLb1EES1U_IbLb0EEEEDaS1Q_S1R_EUlS1Q_E_NS1_11comp_targetILNS1_3genE8ELNS1_11target_archE1030ELNS1_3gpuE2ELNS1_3repE0EEENS1_30default_config_static_selectorELNS0_4arch9wavefront6targetE0EEEvS13_.num_vgpr, 0
	.set _ZN7rocprim17ROCPRIM_400000_NS6detail17trampoline_kernelINS0_13select_configILj256ELj13ELNS0_17block_load_methodE3ELS4_3ELS4_3ELNS0_20block_scan_algorithmE0ELj4294967295EEENS1_25partition_config_selectorILNS1_17partition_subalgoE4EjNS0_10empty_typeEbEEZZNS1_14partition_implILS8_4ELb0ES6_15HIP_vector_typeIjLj2EENS0_17counting_iteratorIjlEEPS9_SG_NS0_5tupleIJPjSI_NS0_16reverse_iteratorISI_EEEEENSH_IJSG_SG_SG_EEES9_SI_JZNS1_25segmented_radix_sort_implINS0_14default_configELb1EPK12hip_bfloat16PSP_PKlPlN2at6native12_GLOBAL__N_18offset_tEEE10hipError_tPvRmT1_PNSt15iterator_traitsIS13_E10value_typeET2_T3_PNS14_IS19_E10value_typeET4_jRbjT5_S1F_jjP12ihipStream_tbEUljE_ZNSN_ISO_Lb1ESR_SS_SU_SV_SZ_EES10_S11_S12_S13_S17_S18_S19_S1C_S1D_jS1E_jS1F_S1F_jjS1H_bEUljE0_EEES10_S11_S12_S19_S1D_S1F_T6_T7_T9_mT8_S1H_bDpT10_ENKUlT_T0_E_clISt17integral_constantIbLb1EES1U_IbLb0EEEEDaS1Q_S1R_EUlS1Q_E_NS1_11comp_targetILNS1_3genE8ELNS1_11target_archE1030ELNS1_3gpuE2ELNS1_3repE0EEENS1_30default_config_static_selectorELNS0_4arch9wavefront6targetE0EEEvS13_.num_agpr, 0
	.set _ZN7rocprim17ROCPRIM_400000_NS6detail17trampoline_kernelINS0_13select_configILj256ELj13ELNS0_17block_load_methodE3ELS4_3ELS4_3ELNS0_20block_scan_algorithmE0ELj4294967295EEENS1_25partition_config_selectorILNS1_17partition_subalgoE4EjNS0_10empty_typeEbEEZZNS1_14partition_implILS8_4ELb0ES6_15HIP_vector_typeIjLj2EENS0_17counting_iteratorIjlEEPS9_SG_NS0_5tupleIJPjSI_NS0_16reverse_iteratorISI_EEEEENSH_IJSG_SG_SG_EEES9_SI_JZNS1_25segmented_radix_sort_implINS0_14default_configELb1EPK12hip_bfloat16PSP_PKlPlN2at6native12_GLOBAL__N_18offset_tEEE10hipError_tPvRmT1_PNSt15iterator_traitsIS13_E10value_typeET2_T3_PNS14_IS19_E10value_typeET4_jRbjT5_S1F_jjP12ihipStream_tbEUljE_ZNSN_ISO_Lb1ESR_SS_SU_SV_SZ_EES10_S11_S12_S13_S17_S18_S19_S1C_S1D_jS1E_jS1F_S1F_jjS1H_bEUljE0_EEES10_S11_S12_S19_S1D_S1F_T6_T7_T9_mT8_S1H_bDpT10_ENKUlT_T0_E_clISt17integral_constantIbLb1EES1U_IbLb0EEEEDaS1Q_S1R_EUlS1Q_E_NS1_11comp_targetILNS1_3genE8ELNS1_11target_archE1030ELNS1_3gpuE2ELNS1_3repE0EEENS1_30default_config_static_selectorELNS0_4arch9wavefront6targetE0EEEvS13_.numbered_sgpr, 0
	.set _ZN7rocprim17ROCPRIM_400000_NS6detail17trampoline_kernelINS0_13select_configILj256ELj13ELNS0_17block_load_methodE3ELS4_3ELS4_3ELNS0_20block_scan_algorithmE0ELj4294967295EEENS1_25partition_config_selectorILNS1_17partition_subalgoE4EjNS0_10empty_typeEbEEZZNS1_14partition_implILS8_4ELb0ES6_15HIP_vector_typeIjLj2EENS0_17counting_iteratorIjlEEPS9_SG_NS0_5tupleIJPjSI_NS0_16reverse_iteratorISI_EEEEENSH_IJSG_SG_SG_EEES9_SI_JZNS1_25segmented_radix_sort_implINS0_14default_configELb1EPK12hip_bfloat16PSP_PKlPlN2at6native12_GLOBAL__N_18offset_tEEE10hipError_tPvRmT1_PNSt15iterator_traitsIS13_E10value_typeET2_T3_PNS14_IS19_E10value_typeET4_jRbjT5_S1F_jjP12ihipStream_tbEUljE_ZNSN_ISO_Lb1ESR_SS_SU_SV_SZ_EES10_S11_S12_S13_S17_S18_S19_S1C_S1D_jS1E_jS1F_S1F_jjS1H_bEUljE0_EEES10_S11_S12_S19_S1D_S1F_T6_T7_T9_mT8_S1H_bDpT10_ENKUlT_T0_E_clISt17integral_constantIbLb1EES1U_IbLb0EEEEDaS1Q_S1R_EUlS1Q_E_NS1_11comp_targetILNS1_3genE8ELNS1_11target_archE1030ELNS1_3gpuE2ELNS1_3repE0EEENS1_30default_config_static_selectorELNS0_4arch9wavefront6targetE0EEEvS13_.num_named_barrier, 0
	.set _ZN7rocprim17ROCPRIM_400000_NS6detail17trampoline_kernelINS0_13select_configILj256ELj13ELNS0_17block_load_methodE3ELS4_3ELS4_3ELNS0_20block_scan_algorithmE0ELj4294967295EEENS1_25partition_config_selectorILNS1_17partition_subalgoE4EjNS0_10empty_typeEbEEZZNS1_14partition_implILS8_4ELb0ES6_15HIP_vector_typeIjLj2EENS0_17counting_iteratorIjlEEPS9_SG_NS0_5tupleIJPjSI_NS0_16reverse_iteratorISI_EEEEENSH_IJSG_SG_SG_EEES9_SI_JZNS1_25segmented_radix_sort_implINS0_14default_configELb1EPK12hip_bfloat16PSP_PKlPlN2at6native12_GLOBAL__N_18offset_tEEE10hipError_tPvRmT1_PNSt15iterator_traitsIS13_E10value_typeET2_T3_PNS14_IS19_E10value_typeET4_jRbjT5_S1F_jjP12ihipStream_tbEUljE_ZNSN_ISO_Lb1ESR_SS_SU_SV_SZ_EES10_S11_S12_S13_S17_S18_S19_S1C_S1D_jS1E_jS1F_S1F_jjS1H_bEUljE0_EEES10_S11_S12_S19_S1D_S1F_T6_T7_T9_mT8_S1H_bDpT10_ENKUlT_T0_E_clISt17integral_constantIbLb1EES1U_IbLb0EEEEDaS1Q_S1R_EUlS1Q_E_NS1_11comp_targetILNS1_3genE8ELNS1_11target_archE1030ELNS1_3gpuE2ELNS1_3repE0EEENS1_30default_config_static_selectorELNS0_4arch9wavefront6targetE0EEEvS13_.private_seg_size, 0
	.set _ZN7rocprim17ROCPRIM_400000_NS6detail17trampoline_kernelINS0_13select_configILj256ELj13ELNS0_17block_load_methodE3ELS4_3ELS4_3ELNS0_20block_scan_algorithmE0ELj4294967295EEENS1_25partition_config_selectorILNS1_17partition_subalgoE4EjNS0_10empty_typeEbEEZZNS1_14partition_implILS8_4ELb0ES6_15HIP_vector_typeIjLj2EENS0_17counting_iteratorIjlEEPS9_SG_NS0_5tupleIJPjSI_NS0_16reverse_iteratorISI_EEEEENSH_IJSG_SG_SG_EEES9_SI_JZNS1_25segmented_radix_sort_implINS0_14default_configELb1EPK12hip_bfloat16PSP_PKlPlN2at6native12_GLOBAL__N_18offset_tEEE10hipError_tPvRmT1_PNSt15iterator_traitsIS13_E10value_typeET2_T3_PNS14_IS19_E10value_typeET4_jRbjT5_S1F_jjP12ihipStream_tbEUljE_ZNSN_ISO_Lb1ESR_SS_SU_SV_SZ_EES10_S11_S12_S13_S17_S18_S19_S1C_S1D_jS1E_jS1F_S1F_jjS1H_bEUljE0_EEES10_S11_S12_S19_S1D_S1F_T6_T7_T9_mT8_S1H_bDpT10_ENKUlT_T0_E_clISt17integral_constantIbLb1EES1U_IbLb0EEEEDaS1Q_S1R_EUlS1Q_E_NS1_11comp_targetILNS1_3genE8ELNS1_11target_archE1030ELNS1_3gpuE2ELNS1_3repE0EEENS1_30default_config_static_selectorELNS0_4arch9wavefront6targetE0EEEvS13_.uses_vcc, 0
	.set _ZN7rocprim17ROCPRIM_400000_NS6detail17trampoline_kernelINS0_13select_configILj256ELj13ELNS0_17block_load_methodE3ELS4_3ELS4_3ELNS0_20block_scan_algorithmE0ELj4294967295EEENS1_25partition_config_selectorILNS1_17partition_subalgoE4EjNS0_10empty_typeEbEEZZNS1_14partition_implILS8_4ELb0ES6_15HIP_vector_typeIjLj2EENS0_17counting_iteratorIjlEEPS9_SG_NS0_5tupleIJPjSI_NS0_16reverse_iteratorISI_EEEEENSH_IJSG_SG_SG_EEES9_SI_JZNS1_25segmented_radix_sort_implINS0_14default_configELb1EPK12hip_bfloat16PSP_PKlPlN2at6native12_GLOBAL__N_18offset_tEEE10hipError_tPvRmT1_PNSt15iterator_traitsIS13_E10value_typeET2_T3_PNS14_IS19_E10value_typeET4_jRbjT5_S1F_jjP12ihipStream_tbEUljE_ZNSN_ISO_Lb1ESR_SS_SU_SV_SZ_EES10_S11_S12_S13_S17_S18_S19_S1C_S1D_jS1E_jS1F_S1F_jjS1H_bEUljE0_EEES10_S11_S12_S19_S1D_S1F_T6_T7_T9_mT8_S1H_bDpT10_ENKUlT_T0_E_clISt17integral_constantIbLb1EES1U_IbLb0EEEEDaS1Q_S1R_EUlS1Q_E_NS1_11comp_targetILNS1_3genE8ELNS1_11target_archE1030ELNS1_3gpuE2ELNS1_3repE0EEENS1_30default_config_static_selectorELNS0_4arch9wavefront6targetE0EEEvS13_.uses_flat_scratch, 0
	.set _ZN7rocprim17ROCPRIM_400000_NS6detail17trampoline_kernelINS0_13select_configILj256ELj13ELNS0_17block_load_methodE3ELS4_3ELS4_3ELNS0_20block_scan_algorithmE0ELj4294967295EEENS1_25partition_config_selectorILNS1_17partition_subalgoE4EjNS0_10empty_typeEbEEZZNS1_14partition_implILS8_4ELb0ES6_15HIP_vector_typeIjLj2EENS0_17counting_iteratorIjlEEPS9_SG_NS0_5tupleIJPjSI_NS0_16reverse_iteratorISI_EEEEENSH_IJSG_SG_SG_EEES9_SI_JZNS1_25segmented_radix_sort_implINS0_14default_configELb1EPK12hip_bfloat16PSP_PKlPlN2at6native12_GLOBAL__N_18offset_tEEE10hipError_tPvRmT1_PNSt15iterator_traitsIS13_E10value_typeET2_T3_PNS14_IS19_E10value_typeET4_jRbjT5_S1F_jjP12ihipStream_tbEUljE_ZNSN_ISO_Lb1ESR_SS_SU_SV_SZ_EES10_S11_S12_S13_S17_S18_S19_S1C_S1D_jS1E_jS1F_S1F_jjS1H_bEUljE0_EEES10_S11_S12_S19_S1D_S1F_T6_T7_T9_mT8_S1H_bDpT10_ENKUlT_T0_E_clISt17integral_constantIbLb1EES1U_IbLb0EEEEDaS1Q_S1R_EUlS1Q_E_NS1_11comp_targetILNS1_3genE8ELNS1_11target_archE1030ELNS1_3gpuE2ELNS1_3repE0EEENS1_30default_config_static_selectorELNS0_4arch9wavefront6targetE0EEEvS13_.has_dyn_sized_stack, 0
	.set _ZN7rocprim17ROCPRIM_400000_NS6detail17trampoline_kernelINS0_13select_configILj256ELj13ELNS0_17block_load_methodE3ELS4_3ELS4_3ELNS0_20block_scan_algorithmE0ELj4294967295EEENS1_25partition_config_selectorILNS1_17partition_subalgoE4EjNS0_10empty_typeEbEEZZNS1_14partition_implILS8_4ELb0ES6_15HIP_vector_typeIjLj2EENS0_17counting_iteratorIjlEEPS9_SG_NS0_5tupleIJPjSI_NS0_16reverse_iteratorISI_EEEEENSH_IJSG_SG_SG_EEES9_SI_JZNS1_25segmented_radix_sort_implINS0_14default_configELb1EPK12hip_bfloat16PSP_PKlPlN2at6native12_GLOBAL__N_18offset_tEEE10hipError_tPvRmT1_PNSt15iterator_traitsIS13_E10value_typeET2_T3_PNS14_IS19_E10value_typeET4_jRbjT5_S1F_jjP12ihipStream_tbEUljE_ZNSN_ISO_Lb1ESR_SS_SU_SV_SZ_EES10_S11_S12_S13_S17_S18_S19_S1C_S1D_jS1E_jS1F_S1F_jjS1H_bEUljE0_EEES10_S11_S12_S19_S1D_S1F_T6_T7_T9_mT8_S1H_bDpT10_ENKUlT_T0_E_clISt17integral_constantIbLb1EES1U_IbLb0EEEEDaS1Q_S1R_EUlS1Q_E_NS1_11comp_targetILNS1_3genE8ELNS1_11target_archE1030ELNS1_3gpuE2ELNS1_3repE0EEENS1_30default_config_static_selectorELNS0_4arch9wavefront6targetE0EEEvS13_.has_recursion, 0
	.set _ZN7rocprim17ROCPRIM_400000_NS6detail17trampoline_kernelINS0_13select_configILj256ELj13ELNS0_17block_load_methodE3ELS4_3ELS4_3ELNS0_20block_scan_algorithmE0ELj4294967295EEENS1_25partition_config_selectorILNS1_17partition_subalgoE4EjNS0_10empty_typeEbEEZZNS1_14partition_implILS8_4ELb0ES6_15HIP_vector_typeIjLj2EENS0_17counting_iteratorIjlEEPS9_SG_NS0_5tupleIJPjSI_NS0_16reverse_iteratorISI_EEEEENSH_IJSG_SG_SG_EEES9_SI_JZNS1_25segmented_radix_sort_implINS0_14default_configELb1EPK12hip_bfloat16PSP_PKlPlN2at6native12_GLOBAL__N_18offset_tEEE10hipError_tPvRmT1_PNSt15iterator_traitsIS13_E10value_typeET2_T3_PNS14_IS19_E10value_typeET4_jRbjT5_S1F_jjP12ihipStream_tbEUljE_ZNSN_ISO_Lb1ESR_SS_SU_SV_SZ_EES10_S11_S12_S13_S17_S18_S19_S1C_S1D_jS1E_jS1F_S1F_jjS1H_bEUljE0_EEES10_S11_S12_S19_S1D_S1F_T6_T7_T9_mT8_S1H_bDpT10_ENKUlT_T0_E_clISt17integral_constantIbLb1EES1U_IbLb0EEEEDaS1Q_S1R_EUlS1Q_E_NS1_11comp_targetILNS1_3genE8ELNS1_11target_archE1030ELNS1_3gpuE2ELNS1_3repE0EEENS1_30default_config_static_selectorELNS0_4arch9wavefront6targetE0EEEvS13_.has_indirect_call, 0
	.section	.AMDGPU.csdata,"",@progbits
; Kernel info:
; codeLenInByte = 4
; TotalNumSgprs: 0
; NumVgprs: 0
; ScratchSize: 0
; MemoryBound: 0
; FloatMode: 240
; IeeeMode: 1
; LDSByteSize: 0 bytes/workgroup (compile time only)
; SGPRBlocks: 0
; VGPRBlocks: 0
; NumSGPRsForWavesPerEU: 1
; NumVGPRsForWavesPerEU: 1
; Occupancy: 16
; WaveLimiterHint : 0
; COMPUTE_PGM_RSRC2:SCRATCH_EN: 0
; COMPUTE_PGM_RSRC2:USER_SGPR: 6
; COMPUTE_PGM_RSRC2:TRAP_HANDLER: 0
; COMPUTE_PGM_RSRC2:TGID_X_EN: 1
; COMPUTE_PGM_RSRC2:TGID_Y_EN: 0
; COMPUTE_PGM_RSRC2:TGID_Z_EN: 0
; COMPUTE_PGM_RSRC2:TIDIG_COMP_CNT: 0
	.section	.text._ZN7rocprim17ROCPRIM_400000_NS6detail17trampoline_kernelINS0_13select_configILj256ELj13ELNS0_17block_load_methodE3ELS4_3ELS4_3ELNS0_20block_scan_algorithmE0ELj4294967295EEENS1_25partition_config_selectorILNS1_17partition_subalgoE4EjNS0_10empty_typeEbEEZZNS1_14partition_implILS8_4ELb0ES6_15HIP_vector_typeIjLj2EENS0_17counting_iteratorIjlEEPS9_SG_NS0_5tupleIJPjSI_NS0_16reverse_iteratorISI_EEEEENSH_IJSG_SG_SG_EEES9_SI_JZNS1_25segmented_radix_sort_implINS0_14default_configELb1EPK12hip_bfloat16PSP_PKlPlN2at6native12_GLOBAL__N_18offset_tEEE10hipError_tPvRmT1_PNSt15iterator_traitsIS13_E10value_typeET2_T3_PNS14_IS19_E10value_typeET4_jRbjT5_S1F_jjP12ihipStream_tbEUljE_ZNSN_ISO_Lb1ESR_SS_SU_SV_SZ_EES10_S11_S12_S13_S17_S18_S19_S1C_S1D_jS1E_jS1F_S1F_jjS1H_bEUljE0_EEES10_S11_S12_S19_S1D_S1F_T6_T7_T9_mT8_S1H_bDpT10_ENKUlT_T0_E_clISt17integral_constantIbLb0EES1U_IbLb1EEEEDaS1Q_S1R_EUlS1Q_E_NS1_11comp_targetILNS1_3genE0ELNS1_11target_archE4294967295ELNS1_3gpuE0ELNS1_3repE0EEENS1_30default_config_static_selectorELNS0_4arch9wavefront6targetE0EEEvS13_,"axG",@progbits,_ZN7rocprim17ROCPRIM_400000_NS6detail17trampoline_kernelINS0_13select_configILj256ELj13ELNS0_17block_load_methodE3ELS4_3ELS4_3ELNS0_20block_scan_algorithmE0ELj4294967295EEENS1_25partition_config_selectorILNS1_17partition_subalgoE4EjNS0_10empty_typeEbEEZZNS1_14partition_implILS8_4ELb0ES6_15HIP_vector_typeIjLj2EENS0_17counting_iteratorIjlEEPS9_SG_NS0_5tupleIJPjSI_NS0_16reverse_iteratorISI_EEEEENSH_IJSG_SG_SG_EEES9_SI_JZNS1_25segmented_radix_sort_implINS0_14default_configELb1EPK12hip_bfloat16PSP_PKlPlN2at6native12_GLOBAL__N_18offset_tEEE10hipError_tPvRmT1_PNSt15iterator_traitsIS13_E10value_typeET2_T3_PNS14_IS19_E10value_typeET4_jRbjT5_S1F_jjP12ihipStream_tbEUljE_ZNSN_ISO_Lb1ESR_SS_SU_SV_SZ_EES10_S11_S12_S13_S17_S18_S19_S1C_S1D_jS1E_jS1F_S1F_jjS1H_bEUljE0_EEES10_S11_S12_S19_S1D_S1F_T6_T7_T9_mT8_S1H_bDpT10_ENKUlT_T0_E_clISt17integral_constantIbLb0EES1U_IbLb1EEEEDaS1Q_S1R_EUlS1Q_E_NS1_11comp_targetILNS1_3genE0ELNS1_11target_archE4294967295ELNS1_3gpuE0ELNS1_3repE0EEENS1_30default_config_static_selectorELNS0_4arch9wavefront6targetE0EEEvS13_,comdat
	.globl	_ZN7rocprim17ROCPRIM_400000_NS6detail17trampoline_kernelINS0_13select_configILj256ELj13ELNS0_17block_load_methodE3ELS4_3ELS4_3ELNS0_20block_scan_algorithmE0ELj4294967295EEENS1_25partition_config_selectorILNS1_17partition_subalgoE4EjNS0_10empty_typeEbEEZZNS1_14partition_implILS8_4ELb0ES6_15HIP_vector_typeIjLj2EENS0_17counting_iteratorIjlEEPS9_SG_NS0_5tupleIJPjSI_NS0_16reverse_iteratorISI_EEEEENSH_IJSG_SG_SG_EEES9_SI_JZNS1_25segmented_radix_sort_implINS0_14default_configELb1EPK12hip_bfloat16PSP_PKlPlN2at6native12_GLOBAL__N_18offset_tEEE10hipError_tPvRmT1_PNSt15iterator_traitsIS13_E10value_typeET2_T3_PNS14_IS19_E10value_typeET4_jRbjT5_S1F_jjP12ihipStream_tbEUljE_ZNSN_ISO_Lb1ESR_SS_SU_SV_SZ_EES10_S11_S12_S13_S17_S18_S19_S1C_S1D_jS1E_jS1F_S1F_jjS1H_bEUljE0_EEES10_S11_S12_S19_S1D_S1F_T6_T7_T9_mT8_S1H_bDpT10_ENKUlT_T0_E_clISt17integral_constantIbLb0EES1U_IbLb1EEEEDaS1Q_S1R_EUlS1Q_E_NS1_11comp_targetILNS1_3genE0ELNS1_11target_archE4294967295ELNS1_3gpuE0ELNS1_3repE0EEENS1_30default_config_static_selectorELNS0_4arch9wavefront6targetE0EEEvS13_ ; -- Begin function _ZN7rocprim17ROCPRIM_400000_NS6detail17trampoline_kernelINS0_13select_configILj256ELj13ELNS0_17block_load_methodE3ELS4_3ELS4_3ELNS0_20block_scan_algorithmE0ELj4294967295EEENS1_25partition_config_selectorILNS1_17partition_subalgoE4EjNS0_10empty_typeEbEEZZNS1_14partition_implILS8_4ELb0ES6_15HIP_vector_typeIjLj2EENS0_17counting_iteratorIjlEEPS9_SG_NS0_5tupleIJPjSI_NS0_16reverse_iteratorISI_EEEEENSH_IJSG_SG_SG_EEES9_SI_JZNS1_25segmented_radix_sort_implINS0_14default_configELb1EPK12hip_bfloat16PSP_PKlPlN2at6native12_GLOBAL__N_18offset_tEEE10hipError_tPvRmT1_PNSt15iterator_traitsIS13_E10value_typeET2_T3_PNS14_IS19_E10value_typeET4_jRbjT5_S1F_jjP12ihipStream_tbEUljE_ZNSN_ISO_Lb1ESR_SS_SU_SV_SZ_EES10_S11_S12_S13_S17_S18_S19_S1C_S1D_jS1E_jS1F_S1F_jjS1H_bEUljE0_EEES10_S11_S12_S19_S1D_S1F_T6_T7_T9_mT8_S1H_bDpT10_ENKUlT_T0_E_clISt17integral_constantIbLb0EES1U_IbLb1EEEEDaS1Q_S1R_EUlS1Q_E_NS1_11comp_targetILNS1_3genE0ELNS1_11target_archE4294967295ELNS1_3gpuE0ELNS1_3repE0EEENS1_30default_config_static_selectorELNS0_4arch9wavefront6targetE0EEEvS13_
	.p2align	8
	.type	_ZN7rocprim17ROCPRIM_400000_NS6detail17trampoline_kernelINS0_13select_configILj256ELj13ELNS0_17block_load_methodE3ELS4_3ELS4_3ELNS0_20block_scan_algorithmE0ELj4294967295EEENS1_25partition_config_selectorILNS1_17partition_subalgoE4EjNS0_10empty_typeEbEEZZNS1_14partition_implILS8_4ELb0ES6_15HIP_vector_typeIjLj2EENS0_17counting_iteratorIjlEEPS9_SG_NS0_5tupleIJPjSI_NS0_16reverse_iteratorISI_EEEEENSH_IJSG_SG_SG_EEES9_SI_JZNS1_25segmented_radix_sort_implINS0_14default_configELb1EPK12hip_bfloat16PSP_PKlPlN2at6native12_GLOBAL__N_18offset_tEEE10hipError_tPvRmT1_PNSt15iterator_traitsIS13_E10value_typeET2_T3_PNS14_IS19_E10value_typeET4_jRbjT5_S1F_jjP12ihipStream_tbEUljE_ZNSN_ISO_Lb1ESR_SS_SU_SV_SZ_EES10_S11_S12_S13_S17_S18_S19_S1C_S1D_jS1E_jS1F_S1F_jjS1H_bEUljE0_EEES10_S11_S12_S19_S1D_S1F_T6_T7_T9_mT8_S1H_bDpT10_ENKUlT_T0_E_clISt17integral_constantIbLb0EES1U_IbLb1EEEEDaS1Q_S1R_EUlS1Q_E_NS1_11comp_targetILNS1_3genE0ELNS1_11target_archE4294967295ELNS1_3gpuE0ELNS1_3repE0EEENS1_30default_config_static_selectorELNS0_4arch9wavefront6targetE0EEEvS13_,@function
_ZN7rocprim17ROCPRIM_400000_NS6detail17trampoline_kernelINS0_13select_configILj256ELj13ELNS0_17block_load_methodE3ELS4_3ELS4_3ELNS0_20block_scan_algorithmE0ELj4294967295EEENS1_25partition_config_selectorILNS1_17partition_subalgoE4EjNS0_10empty_typeEbEEZZNS1_14partition_implILS8_4ELb0ES6_15HIP_vector_typeIjLj2EENS0_17counting_iteratorIjlEEPS9_SG_NS0_5tupleIJPjSI_NS0_16reverse_iteratorISI_EEEEENSH_IJSG_SG_SG_EEES9_SI_JZNS1_25segmented_radix_sort_implINS0_14default_configELb1EPK12hip_bfloat16PSP_PKlPlN2at6native12_GLOBAL__N_18offset_tEEE10hipError_tPvRmT1_PNSt15iterator_traitsIS13_E10value_typeET2_T3_PNS14_IS19_E10value_typeET4_jRbjT5_S1F_jjP12ihipStream_tbEUljE_ZNSN_ISO_Lb1ESR_SS_SU_SV_SZ_EES10_S11_S12_S13_S17_S18_S19_S1C_S1D_jS1E_jS1F_S1F_jjS1H_bEUljE0_EEES10_S11_S12_S19_S1D_S1F_T6_T7_T9_mT8_S1H_bDpT10_ENKUlT_T0_E_clISt17integral_constantIbLb0EES1U_IbLb1EEEEDaS1Q_S1R_EUlS1Q_E_NS1_11comp_targetILNS1_3genE0ELNS1_11target_archE4294967295ELNS1_3gpuE0ELNS1_3repE0EEENS1_30default_config_static_selectorELNS0_4arch9wavefront6targetE0EEEvS13_: ; @_ZN7rocprim17ROCPRIM_400000_NS6detail17trampoline_kernelINS0_13select_configILj256ELj13ELNS0_17block_load_methodE3ELS4_3ELS4_3ELNS0_20block_scan_algorithmE0ELj4294967295EEENS1_25partition_config_selectorILNS1_17partition_subalgoE4EjNS0_10empty_typeEbEEZZNS1_14partition_implILS8_4ELb0ES6_15HIP_vector_typeIjLj2EENS0_17counting_iteratorIjlEEPS9_SG_NS0_5tupleIJPjSI_NS0_16reverse_iteratorISI_EEEEENSH_IJSG_SG_SG_EEES9_SI_JZNS1_25segmented_radix_sort_implINS0_14default_configELb1EPK12hip_bfloat16PSP_PKlPlN2at6native12_GLOBAL__N_18offset_tEEE10hipError_tPvRmT1_PNSt15iterator_traitsIS13_E10value_typeET2_T3_PNS14_IS19_E10value_typeET4_jRbjT5_S1F_jjP12ihipStream_tbEUljE_ZNSN_ISO_Lb1ESR_SS_SU_SV_SZ_EES10_S11_S12_S13_S17_S18_S19_S1C_S1D_jS1E_jS1F_S1F_jjS1H_bEUljE0_EEES10_S11_S12_S19_S1D_S1F_T6_T7_T9_mT8_S1H_bDpT10_ENKUlT_T0_E_clISt17integral_constantIbLb0EES1U_IbLb1EEEEDaS1Q_S1R_EUlS1Q_E_NS1_11comp_targetILNS1_3genE0ELNS1_11target_archE4294967295ELNS1_3gpuE0ELNS1_3repE0EEENS1_30default_config_static_selectorELNS0_4arch9wavefront6targetE0EEEvS13_
; %bb.0:
	.section	.rodata,"a",@progbits
	.p2align	6, 0x0
	.amdhsa_kernel _ZN7rocprim17ROCPRIM_400000_NS6detail17trampoline_kernelINS0_13select_configILj256ELj13ELNS0_17block_load_methodE3ELS4_3ELS4_3ELNS0_20block_scan_algorithmE0ELj4294967295EEENS1_25partition_config_selectorILNS1_17partition_subalgoE4EjNS0_10empty_typeEbEEZZNS1_14partition_implILS8_4ELb0ES6_15HIP_vector_typeIjLj2EENS0_17counting_iteratorIjlEEPS9_SG_NS0_5tupleIJPjSI_NS0_16reverse_iteratorISI_EEEEENSH_IJSG_SG_SG_EEES9_SI_JZNS1_25segmented_radix_sort_implINS0_14default_configELb1EPK12hip_bfloat16PSP_PKlPlN2at6native12_GLOBAL__N_18offset_tEEE10hipError_tPvRmT1_PNSt15iterator_traitsIS13_E10value_typeET2_T3_PNS14_IS19_E10value_typeET4_jRbjT5_S1F_jjP12ihipStream_tbEUljE_ZNSN_ISO_Lb1ESR_SS_SU_SV_SZ_EES10_S11_S12_S13_S17_S18_S19_S1C_S1D_jS1E_jS1F_S1F_jjS1H_bEUljE0_EEES10_S11_S12_S19_S1D_S1F_T6_T7_T9_mT8_S1H_bDpT10_ENKUlT_T0_E_clISt17integral_constantIbLb0EES1U_IbLb1EEEEDaS1Q_S1R_EUlS1Q_E_NS1_11comp_targetILNS1_3genE0ELNS1_11target_archE4294967295ELNS1_3gpuE0ELNS1_3repE0EEENS1_30default_config_static_selectorELNS0_4arch9wavefront6targetE0EEEvS13_
		.amdhsa_group_segment_fixed_size 0
		.amdhsa_private_segment_fixed_size 0
		.amdhsa_kernarg_size 184
		.amdhsa_user_sgpr_count 6
		.amdhsa_user_sgpr_private_segment_buffer 1
		.amdhsa_user_sgpr_dispatch_ptr 0
		.amdhsa_user_sgpr_queue_ptr 0
		.amdhsa_user_sgpr_kernarg_segment_ptr 1
		.amdhsa_user_sgpr_dispatch_id 0
		.amdhsa_user_sgpr_flat_scratch_init 0
		.amdhsa_user_sgpr_private_segment_size 0
		.amdhsa_wavefront_size32 1
		.amdhsa_uses_dynamic_stack 0
		.amdhsa_system_sgpr_private_segment_wavefront_offset 0
		.amdhsa_system_sgpr_workgroup_id_x 1
		.amdhsa_system_sgpr_workgroup_id_y 0
		.amdhsa_system_sgpr_workgroup_id_z 0
		.amdhsa_system_sgpr_workgroup_info 0
		.amdhsa_system_vgpr_workitem_id 0
		.amdhsa_next_free_vgpr 1
		.amdhsa_next_free_sgpr 1
		.amdhsa_reserve_vcc 0
		.amdhsa_reserve_flat_scratch 0
		.amdhsa_float_round_mode_32 0
		.amdhsa_float_round_mode_16_64 0
		.amdhsa_float_denorm_mode_32 3
		.amdhsa_float_denorm_mode_16_64 3
		.amdhsa_dx10_clamp 1
		.amdhsa_ieee_mode 1
		.amdhsa_fp16_overflow 0
		.amdhsa_workgroup_processor_mode 1
		.amdhsa_memory_ordered 1
		.amdhsa_forward_progress 1
		.amdhsa_shared_vgpr_count 0
		.amdhsa_exception_fp_ieee_invalid_op 0
		.amdhsa_exception_fp_denorm_src 0
		.amdhsa_exception_fp_ieee_div_zero 0
		.amdhsa_exception_fp_ieee_overflow 0
		.amdhsa_exception_fp_ieee_underflow 0
		.amdhsa_exception_fp_ieee_inexact 0
		.amdhsa_exception_int_div_zero 0
	.end_amdhsa_kernel
	.section	.text._ZN7rocprim17ROCPRIM_400000_NS6detail17trampoline_kernelINS0_13select_configILj256ELj13ELNS0_17block_load_methodE3ELS4_3ELS4_3ELNS0_20block_scan_algorithmE0ELj4294967295EEENS1_25partition_config_selectorILNS1_17partition_subalgoE4EjNS0_10empty_typeEbEEZZNS1_14partition_implILS8_4ELb0ES6_15HIP_vector_typeIjLj2EENS0_17counting_iteratorIjlEEPS9_SG_NS0_5tupleIJPjSI_NS0_16reverse_iteratorISI_EEEEENSH_IJSG_SG_SG_EEES9_SI_JZNS1_25segmented_radix_sort_implINS0_14default_configELb1EPK12hip_bfloat16PSP_PKlPlN2at6native12_GLOBAL__N_18offset_tEEE10hipError_tPvRmT1_PNSt15iterator_traitsIS13_E10value_typeET2_T3_PNS14_IS19_E10value_typeET4_jRbjT5_S1F_jjP12ihipStream_tbEUljE_ZNSN_ISO_Lb1ESR_SS_SU_SV_SZ_EES10_S11_S12_S13_S17_S18_S19_S1C_S1D_jS1E_jS1F_S1F_jjS1H_bEUljE0_EEES10_S11_S12_S19_S1D_S1F_T6_T7_T9_mT8_S1H_bDpT10_ENKUlT_T0_E_clISt17integral_constantIbLb0EES1U_IbLb1EEEEDaS1Q_S1R_EUlS1Q_E_NS1_11comp_targetILNS1_3genE0ELNS1_11target_archE4294967295ELNS1_3gpuE0ELNS1_3repE0EEENS1_30default_config_static_selectorELNS0_4arch9wavefront6targetE0EEEvS13_,"axG",@progbits,_ZN7rocprim17ROCPRIM_400000_NS6detail17trampoline_kernelINS0_13select_configILj256ELj13ELNS0_17block_load_methodE3ELS4_3ELS4_3ELNS0_20block_scan_algorithmE0ELj4294967295EEENS1_25partition_config_selectorILNS1_17partition_subalgoE4EjNS0_10empty_typeEbEEZZNS1_14partition_implILS8_4ELb0ES6_15HIP_vector_typeIjLj2EENS0_17counting_iteratorIjlEEPS9_SG_NS0_5tupleIJPjSI_NS0_16reverse_iteratorISI_EEEEENSH_IJSG_SG_SG_EEES9_SI_JZNS1_25segmented_radix_sort_implINS0_14default_configELb1EPK12hip_bfloat16PSP_PKlPlN2at6native12_GLOBAL__N_18offset_tEEE10hipError_tPvRmT1_PNSt15iterator_traitsIS13_E10value_typeET2_T3_PNS14_IS19_E10value_typeET4_jRbjT5_S1F_jjP12ihipStream_tbEUljE_ZNSN_ISO_Lb1ESR_SS_SU_SV_SZ_EES10_S11_S12_S13_S17_S18_S19_S1C_S1D_jS1E_jS1F_S1F_jjS1H_bEUljE0_EEES10_S11_S12_S19_S1D_S1F_T6_T7_T9_mT8_S1H_bDpT10_ENKUlT_T0_E_clISt17integral_constantIbLb0EES1U_IbLb1EEEEDaS1Q_S1R_EUlS1Q_E_NS1_11comp_targetILNS1_3genE0ELNS1_11target_archE4294967295ELNS1_3gpuE0ELNS1_3repE0EEENS1_30default_config_static_selectorELNS0_4arch9wavefront6targetE0EEEvS13_,comdat
.Lfunc_end1896:
	.size	_ZN7rocprim17ROCPRIM_400000_NS6detail17trampoline_kernelINS0_13select_configILj256ELj13ELNS0_17block_load_methodE3ELS4_3ELS4_3ELNS0_20block_scan_algorithmE0ELj4294967295EEENS1_25partition_config_selectorILNS1_17partition_subalgoE4EjNS0_10empty_typeEbEEZZNS1_14partition_implILS8_4ELb0ES6_15HIP_vector_typeIjLj2EENS0_17counting_iteratorIjlEEPS9_SG_NS0_5tupleIJPjSI_NS0_16reverse_iteratorISI_EEEEENSH_IJSG_SG_SG_EEES9_SI_JZNS1_25segmented_radix_sort_implINS0_14default_configELb1EPK12hip_bfloat16PSP_PKlPlN2at6native12_GLOBAL__N_18offset_tEEE10hipError_tPvRmT1_PNSt15iterator_traitsIS13_E10value_typeET2_T3_PNS14_IS19_E10value_typeET4_jRbjT5_S1F_jjP12ihipStream_tbEUljE_ZNSN_ISO_Lb1ESR_SS_SU_SV_SZ_EES10_S11_S12_S13_S17_S18_S19_S1C_S1D_jS1E_jS1F_S1F_jjS1H_bEUljE0_EEES10_S11_S12_S19_S1D_S1F_T6_T7_T9_mT8_S1H_bDpT10_ENKUlT_T0_E_clISt17integral_constantIbLb0EES1U_IbLb1EEEEDaS1Q_S1R_EUlS1Q_E_NS1_11comp_targetILNS1_3genE0ELNS1_11target_archE4294967295ELNS1_3gpuE0ELNS1_3repE0EEENS1_30default_config_static_selectorELNS0_4arch9wavefront6targetE0EEEvS13_, .Lfunc_end1896-_ZN7rocprim17ROCPRIM_400000_NS6detail17trampoline_kernelINS0_13select_configILj256ELj13ELNS0_17block_load_methodE3ELS4_3ELS4_3ELNS0_20block_scan_algorithmE0ELj4294967295EEENS1_25partition_config_selectorILNS1_17partition_subalgoE4EjNS0_10empty_typeEbEEZZNS1_14partition_implILS8_4ELb0ES6_15HIP_vector_typeIjLj2EENS0_17counting_iteratorIjlEEPS9_SG_NS0_5tupleIJPjSI_NS0_16reverse_iteratorISI_EEEEENSH_IJSG_SG_SG_EEES9_SI_JZNS1_25segmented_radix_sort_implINS0_14default_configELb1EPK12hip_bfloat16PSP_PKlPlN2at6native12_GLOBAL__N_18offset_tEEE10hipError_tPvRmT1_PNSt15iterator_traitsIS13_E10value_typeET2_T3_PNS14_IS19_E10value_typeET4_jRbjT5_S1F_jjP12ihipStream_tbEUljE_ZNSN_ISO_Lb1ESR_SS_SU_SV_SZ_EES10_S11_S12_S13_S17_S18_S19_S1C_S1D_jS1E_jS1F_S1F_jjS1H_bEUljE0_EEES10_S11_S12_S19_S1D_S1F_T6_T7_T9_mT8_S1H_bDpT10_ENKUlT_T0_E_clISt17integral_constantIbLb0EES1U_IbLb1EEEEDaS1Q_S1R_EUlS1Q_E_NS1_11comp_targetILNS1_3genE0ELNS1_11target_archE4294967295ELNS1_3gpuE0ELNS1_3repE0EEENS1_30default_config_static_selectorELNS0_4arch9wavefront6targetE0EEEvS13_
                                        ; -- End function
	.set _ZN7rocprim17ROCPRIM_400000_NS6detail17trampoline_kernelINS0_13select_configILj256ELj13ELNS0_17block_load_methodE3ELS4_3ELS4_3ELNS0_20block_scan_algorithmE0ELj4294967295EEENS1_25partition_config_selectorILNS1_17partition_subalgoE4EjNS0_10empty_typeEbEEZZNS1_14partition_implILS8_4ELb0ES6_15HIP_vector_typeIjLj2EENS0_17counting_iteratorIjlEEPS9_SG_NS0_5tupleIJPjSI_NS0_16reverse_iteratorISI_EEEEENSH_IJSG_SG_SG_EEES9_SI_JZNS1_25segmented_radix_sort_implINS0_14default_configELb1EPK12hip_bfloat16PSP_PKlPlN2at6native12_GLOBAL__N_18offset_tEEE10hipError_tPvRmT1_PNSt15iterator_traitsIS13_E10value_typeET2_T3_PNS14_IS19_E10value_typeET4_jRbjT5_S1F_jjP12ihipStream_tbEUljE_ZNSN_ISO_Lb1ESR_SS_SU_SV_SZ_EES10_S11_S12_S13_S17_S18_S19_S1C_S1D_jS1E_jS1F_S1F_jjS1H_bEUljE0_EEES10_S11_S12_S19_S1D_S1F_T6_T7_T9_mT8_S1H_bDpT10_ENKUlT_T0_E_clISt17integral_constantIbLb0EES1U_IbLb1EEEEDaS1Q_S1R_EUlS1Q_E_NS1_11comp_targetILNS1_3genE0ELNS1_11target_archE4294967295ELNS1_3gpuE0ELNS1_3repE0EEENS1_30default_config_static_selectorELNS0_4arch9wavefront6targetE0EEEvS13_.num_vgpr, 0
	.set _ZN7rocprim17ROCPRIM_400000_NS6detail17trampoline_kernelINS0_13select_configILj256ELj13ELNS0_17block_load_methodE3ELS4_3ELS4_3ELNS0_20block_scan_algorithmE0ELj4294967295EEENS1_25partition_config_selectorILNS1_17partition_subalgoE4EjNS0_10empty_typeEbEEZZNS1_14partition_implILS8_4ELb0ES6_15HIP_vector_typeIjLj2EENS0_17counting_iteratorIjlEEPS9_SG_NS0_5tupleIJPjSI_NS0_16reverse_iteratorISI_EEEEENSH_IJSG_SG_SG_EEES9_SI_JZNS1_25segmented_radix_sort_implINS0_14default_configELb1EPK12hip_bfloat16PSP_PKlPlN2at6native12_GLOBAL__N_18offset_tEEE10hipError_tPvRmT1_PNSt15iterator_traitsIS13_E10value_typeET2_T3_PNS14_IS19_E10value_typeET4_jRbjT5_S1F_jjP12ihipStream_tbEUljE_ZNSN_ISO_Lb1ESR_SS_SU_SV_SZ_EES10_S11_S12_S13_S17_S18_S19_S1C_S1D_jS1E_jS1F_S1F_jjS1H_bEUljE0_EEES10_S11_S12_S19_S1D_S1F_T6_T7_T9_mT8_S1H_bDpT10_ENKUlT_T0_E_clISt17integral_constantIbLb0EES1U_IbLb1EEEEDaS1Q_S1R_EUlS1Q_E_NS1_11comp_targetILNS1_3genE0ELNS1_11target_archE4294967295ELNS1_3gpuE0ELNS1_3repE0EEENS1_30default_config_static_selectorELNS0_4arch9wavefront6targetE0EEEvS13_.num_agpr, 0
	.set _ZN7rocprim17ROCPRIM_400000_NS6detail17trampoline_kernelINS0_13select_configILj256ELj13ELNS0_17block_load_methodE3ELS4_3ELS4_3ELNS0_20block_scan_algorithmE0ELj4294967295EEENS1_25partition_config_selectorILNS1_17partition_subalgoE4EjNS0_10empty_typeEbEEZZNS1_14partition_implILS8_4ELb0ES6_15HIP_vector_typeIjLj2EENS0_17counting_iteratorIjlEEPS9_SG_NS0_5tupleIJPjSI_NS0_16reverse_iteratorISI_EEEEENSH_IJSG_SG_SG_EEES9_SI_JZNS1_25segmented_radix_sort_implINS0_14default_configELb1EPK12hip_bfloat16PSP_PKlPlN2at6native12_GLOBAL__N_18offset_tEEE10hipError_tPvRmT1_PNSt15iterator_traitsIS13_E10value_typeET2_T3_PNS14_IS19_E10value_typeET4_jRbjT5_S1F_jjP12ihipStream_tbEUljE_ZNSN_ISO_Lb1ESR_SS_SU_SV_SZ_EES10_S11_S12_S13_S17_S18_S19_S1C_S1D_jS1E_jS1F_S1F_jjS1H_bEUljE0_EEES10_S11_S12_S19_S1D_S1F_T6_T7_T9_mT8_S1H_bDpT10_ENKUlT_T0_E_clISt17integral_constantIbLb0EES1U_IbLb1EEEEDaS1Q_S1R_EUlS1Q_E_NS1_11comp_targetILNS1_3genE0ELNS1_11target_archE4294967295ELNS1_3gpuE0ELNS1_3repE0EEENS1_30default_config_static_selectorELNS0_4arch9wavefront6targetE0EEEvS13_.numbered_sgpr, 0
	.set _ZN7rocprim17ROCPRIM_400000_NS6detail17trampoline_kernelINS0_13select_configILj256ELj13ELNS0_17block_load_methodE3ELS4_3ELS4_3ELNS0_20block_scan_algorithmE0ELj4294967295EEENS1_25partition_config_selectorILNS1_17partition_subalgoE4EjNS0_10empty_typeEbEEZZNS1_14partition_implILS8_4ELb0ES6_15HIP_vector_typeIjLj2EENS0_17counting_iteratorIjlEEPS9_SG_NS0_5tupleIJPjSI_NS0_16reverse_iteratorISI_EEEEENSH_IJSG_SG_SG_EEES9_SI_JZNS1_25segmented_radix_sort_implINS0_14default_configELb1EPK12hip_bfloat16PSP_PKlPlN2at6native12_GLOBAL__N_18offset_tEEE10hipError_tPvRmT1_PNSt15iterator_traitsIS13_E10value_typeET2_T3_PNS14_IS19_E10value_typeET4_jRbjT5_S1F_jjP12ihipStream_tbEUljE_ZNSN_ISO_Lb1ESR_SS_SU_SV_SZ_EES10_S11_S12_S13_S17_S18_S19_S1C_S1D_jS1E_jS1F_S1F_jjS1H_bEUljE0_EEES10_S11_S12_S19_S1D_S1F_T6_T7_T9_mT8_S1H_bDpT10_ENKUlT_T0_E_clISt17integral_constantIbLb0EES1U_IbLb1EEEEDaS1Q_S1R_EUlS1Q_E_NS1_11comp_targetILNS1_3genE0ELNS1_11target_archE4294967295ELNS1_3gpuE0ELNS1_3repE0EEENS1_30default_config_static_selectorELNS0_4arch9wavefront6targetE0EEEvS13_.num_named_barrier, 0
	.set _ZN7rocprim17ROCPRIM_400000_NS6detail17trampoline_kernelINS0_13select_configILj256ELj13ELNS0_17block_load_methodE3ELS4_3ELS4_3ELNS0_20block_scan_algorithmE0ELj4294967295EEENS1_25partition_config_selectorILNS1_17partition_subalgoE4EjNS0_10empty_typeEbEEZZNS1_14partition_implILS8_4ELb0ES6_15HIP_vector_typeIjLj2EENS0_17counting_iteratorIjlEEPS9_SG_NS0_5tupleIJPjSI_NS0_16reverse_iteratorISI_EEEEENSH_IJSG_SG_SG_EEES9_SI_JZNS1_25segmented_radix_sort_implINS0_14default_configELb1EPK12hip_bfloat16PSP_PKlPlN2at6native12_GLOBAL__N_18offset_tEEE10hipError_tPvRmT1_PNSt15iterator_traitsIS13_E10value_typeET2_T3_PNS14_IS19_E10value_typeET4_jRbjT5_S1F_jjP12ihipStream_tbEUljE_ZNSN_ISO_Lb1ESR_SS_SU_SV_SZ_EES10_S11_S12_S13_S17_S18_S19_S1C_S1D_jS1E_jS1F_S1F_jjS1H_bEUljE0_EEES10_S11_S12_S19_S1D_S1F_T6_T7_T9_mT8_S1H_bDpT10_ENKUlT_T0_E_clISt17integral_constantIbLb0EES1U_IbLb1EEEEDaS1Q_S1R_EUlS1Q_E_NS1_11comp_targetILNS1_3genE0ELNS1_11target_archE4294967295ELNS1_3gpuE0ELNS1_3repE0EEENS1_30default_config_static_selectorELNS0_4arch9wavefront6targetE0EEEvS13_.private_seg_size, 0
	.set _ZN7rocprim17ROCPRIM_400000_NS6detail17trampoline_kernelINS0_13select_configILj256ELj13ELNS0_17block_load_methodE3ELS4_3ELS4_3ELNS0_20block_scan_algorithmE0ELj4294967295EEENS1_25partition_config_selectorILNS1_17partition_subalgoE4EjNS0_10empty_typeEbEEZZNS1_14partition_implILS8_4ELb0ES6_15HIP_vector_typeIjLj2EENS0_17counting_iteratorIjlEEPS9_SG_NS0_5tupleIJPjSI_NS0_16reverse_iteratorISI_EEEEENSH_IJSG_SG_SG_EEES9_SI_JZNS1_25segmented_radix_sort_implINS0_14default_configELb1EPK12hip_bfloat16PSP_PKlPlN2at6native12_GLOBAL__N_18offset_tEEE10hipError_tPvRmT1_PNSt15iterator_traitsIS13_E10value_typeET2_T3_PNS14_IS19_E10value_typeET4_jRbjT5_S1F_jjP12ihipStream_tbEUljE_ZNSN_ISO_Lb1ESR_SS_SU_SV_SZ_EES10_S11_S12_S13_S17_S18_S19_S1C_S1D_jS1E_jS1F_S1F_jjS1H_bEUljE0_EEES10_S11_S12_S19_S1D_S1F_T6_T7_T9_mT8_S1H_bDpT10_ENKUlT_T0_E_clISt17integral_constantIbLb0EES1U_IbLb1EEEEDaS1Q_S1R_EUlS1Q_E_NS1_11comp_targetILNS1_3genE0ELNS1_11target_archE4294967295ELNS1_3gpuE0ELNS1_3repE0EEENS1_30default_config_static_selectorELNS0_4arch9wavefront6targetE0EEEvS13_.uses_vcc, 0
	.set _ZN7rocprim17ROCPRIM_400000_NS6detail17trampoline_kernelINS0_13select_configILj256ELj13ELNS0_17block_load_methodE3ELS4_3ELS4_3ELNS0_20block_scan_algorithmE0ELj4294967295EEENS1_25partition_config_selectorILNS1_17partition_subalgoE4EjNS0_10empty_typeEbEEZZNS1_14partition_implILS8_4ELb0ES6_15HIP_vector_typeIjLj2EENS0_17counting_iteratorIjlEEPS9_SG_NS0_5tupleIJPjSI_NS0_16reverse_iteratorISI_EEEEENSH_IJSG_SG_SG_EEES9_SI_JZNS1_25segmented_radix_sort_implINS0_14default_configELb1EPK12hip_bfloat16PSP_PKlPlN2at6native12_GLOBAL__N_18offset_tEEE10hipError_tPvRmT1_PNSt15iterator_traitsIS13_E10value_typeET2_T3_PNS14_IS19_E10value_typeET4_jRbjT5_S1F_jjP12ihipStream_tbEUljE_ZNSN_ISO_Lb1ESR_SS_SU_SV_SZ_EES10_S11_S12_S13_S17_S18_S19_S1C_S1D_jS1E_jS1F_S1F_jjS1H_bEUljE0_EEES10_S11_S12_S19_S1D_S1F_T6_T7_T9_mT8_S1H_bDpT10_ENKUlT_T0_E_clISt17integral_constantIbLb0EES1U_IbLb1EEEEDaS1Q_S1R_EUlS1Q_E_NS1_11comp_targetILNS1_3genE0ELNS1_11target_archE4294967295ELNS1_3gpuE0ELNS1_3repE0EEENS1_30default_config_static_selectorELNS0_4arch9wavefront6targetE0EEEvS13_.uses_flat_scratch, 0
	.set _ZN7rocprim17ROCPRIM_400000_NS6detail17trampoline_kernelINS0_13select_configILj256ELj13ELNS0_17block_load_methodE3ELS4_3ELS4_3ELNS0_20block_scan_algorithmE0ELj4294967295EEENS1_25partition_config_selectorILNS1_17partition_subalgoE4EjNS0_10empty_typeEbEEZZNS1_14partition_implILS8_4ELb0ES6_15HIP_vector_typeIjLj2EENS0_17counting_iteratorIjlEEPS9_SG_NS0_5tupleIJPjSI_NS0_16reverse_iteratorISI_EEEEENSH_IJSG_SG_SG_EEES9_SI_JZNS1_25segmented_radix_sort_implINS0_14default_configELb1EPK12hip_bfloat16PSP_PKlPlN2at6native12_GLOBAL__N_18offset_tEEE10hipError_tPvRmT1_PNSt15iterator_traitsIS13_E10value_typeET2_T3_PNS14_IS19_E10value_typeET4_jRbjT5_S1F_jjP12ihipStream_tbEUljE_ZNSN_ISO_Lb1ESR_SS_SU_SV_SZ_EES10_S11_S12_S13_S17_S18_S19_S1C_S1D_jS1E_jS1F_S1F_jjS1H_bEUljE0_EEES10_S11_S12_S19_S1D_S1F_T6_T7_T9_mT8_S1H_bDpT10_ENKUlT_T0_E_clISt17integral_constantIbLb0EES1U_IbLb1EEEEDaS1Q_S1R_EUlS1Q_E_NS1_11comp_targetILNS1_3genE0ELNS1_11target_archE4294967295ELNS1_3gpuE0ELNS1_3repE0EEENS1_30default_config_static_selectorELNS0_4arch9wavefront6targetE0EEEvS13_.has_dyn_sized_stack, 0
	.set _ZN7rocprim17ROCPRIM_400000_NS6detail17trampoline_kernelINS0_13select_configILj256ELj13ELNS0_17block_load_methodE3ELS4_3ELS4_3ELNS0_20block_scan_algorithmE0ELj4294967295EEENS1_25partition_config_selectorILNS1_17partition_subalgoE4EjNS0_10empty_typeEbEEZZNS1_14partition_implILS8_4ELb0ES6_15HIP_vector_typeIjLj2EENS0_17counting_iteratorIjlEEPS9_SG_NS0_5tupleIJPjSI_NS0_16reverse_iteratorISI_EEEEENSH_IJSG_SG_SG_EEES9_SI_JZNS1_25segmented_radix_sort_implINS0_14default_configELb1EPK12hip_bfloat16PSP_PKlPlN2at6native12_GLOBAL__N_18offset_tEEE10hipError_tPvRmT1_PNSt15iterator_traitsIS13_E10value_typeET2_T3_PNS14_IS19_E10value_typeET4_jRbjT5_S1F_jjP12ihipStream_tbEUljE_ZNSN_ISO_Lb1ESR_SS_SU_SV_SZ_EES10_S11_S12_S13_S17_S18_S19_S1C_S1D_jS1E_jS1F_S1F_jjS1H_bEUljE0_EEES10_S11_S12_S19_S1D_S1F_T6_T7_T9_mT8_S1H_bDpT10_ENKUlT_T0_E_clISt17integral_constantIbLb0EES1U_IbLb1EEEEDaS1Q_S1R_EUlS1Q_E_NS1_11comp_targetILNS1_3genE0ELNS1_11target_archE4294967295ELNS1_3gpuE0ELNS1_3repE0EEENS1_30default_config_static_selectorELNS0_4arch9wavefront6targetE0EEEvS13_.has_recursion, 0
	.set _ZN7rocprim17ROCPRIM_400000_NS6detail17trampoline_kernelINS0_13select_configILj256ELj13ELNS0_17block_load_methodE3ELS4_3ELS4_3ELNS0_20block_scan_algorithmE0ELj4294967295EEENS1_25partition_config_selectorILNS1_17partition_subalgoE4EjNS0_10empty_typeEbEEZZNS1_14partition_implILS8_4ELb0ES6_15HIP_vector_typeIjLj2EENS0_17counting_iteratorIjlEEPS9_SG_NS0_5tupleIJPjSI_NS0_16reverse_iteratorISI_EEEEENSH_IJSG_SG_SG_EEES9_SI_JZNS1_25segmented_radix_sort_implINS0_14default_configELb1EPK12hip_bfloat16PSP_PKlPlN2at6native12_GLOBAL__N_18offset_tEEE10hipError_tPvRmT1_PNSt15iterator_traitsIS13_E10value_typeET2_T3_PNS14_IS19_E10value_typeET4_jRbjT5_S1F_jjP12ihipStream_tbEUljE_ZNSN_ISO_Lb1ESR_SS_SU_SV_SZ_EES10_S11_S12_S13_S17_S18_S19_S1C_S1D_jS1E_jS1F_S1F_jjS1H_bEUljE0_EEES10_S11_S12_S19_S1D_S1F_T6_T7_T9_mT8_S1H_bDpT10_ENKUlT_T0_E_clISt17integral_constantIbLb0EES1U_IbLb1EEEEDaS1Q_S1R_EUlS1Q_E_NS1_11comp_targetILNS1_3genE0ELNS1_11target_archE4294967295ELNS1_3gpuE0ELNS1_3repE0EEENS1_30default_config_static_selectorELNS0_4arch9wavefront6targetE0EEEvS13_.has_indirect_call, 0
	.section	.AMDGPU.csdata,"",@progbits
; Kernel info:
; codeLenInByte = 0
; TotalNumSgprs: 0
; NumVgprs: 0
; ScratchSize: 0
; MemoryBound: 0
; FloatMode: 240
; IeeeMode: 1
; LDSByteSize: 0 bytes/workgroup (compile time only)
; SGPRBlocks: 0
; VGPRBlocks: 0
; NumSGPRsForWavesPerEU: 1
; NumVGPRsForWavesPerEU: 1
; Occupancy: 16
; WaveLimiterHint : 0
; COMPUTE_PGM_RSRC2:SCRATCH_EN: 0
; COMPUTE_PGM_RSRC2:USER_SGPR: 6
; COMPUTE_PGM_RSRC2:TRAP_HANDLER: 0
; COMPUTE_PGM_RSRC2:TGID_X_EN: 1
; COMPUTE_PGM_RSRC2:TGID_Y_EN: 0
; COMPUTE_PGM_RSRC2:TGID_Z_EN: 0
; COMPUTE_PGM_RSRC2:TIDIG_COMP_CNT: 0
	.section	.text._ZN7rocprim17ROCPRIM_400000_NS6detail17trampoline_kernelINS0_13select_configILj256ELj13ELNS0_17block_load_methodE3ELS4_3ELS4_3ELNS0_20block_scan_algorithmE0ELj4294967295EEENS1_25partition_config_selectorILNS1_17partition_subalgoE4EjNS0_10empty_typeEbEEZZNS1_14partition_implILS8_4ELb0ES6_15HIP_vector_typeIjLj2EENS0_17counting_iteratorIjlEEPS9_SG_NS0_5tupleIJPjSI_NS0_16reverse_iteratorISI_EEEEENSH_IJSG_SG_SG_EEES9_SI_JZNS1_25segmented_radix_sort_implINS0_14default_configELb1EPK12hip_bfloat16PSP_PKlPlN2at6native12_GLOBAL__N_18offset_tEEE10hipError_tPvRmT1_PNSt15iterator_traitsIS13_E10value_typeET2_T3_PNS14_IS19_E10value_typeET4_jRbjT5_S1F_jjP12ihipStream_tbEUljE_ZNSN_ISO_Lb1ESR_SS_SU_SV_SZ_EES10_S11_S12_S13_S17_S18_S19_S1C_S1D_jS1E_jS1F_S1F_jjS1H_bEUljE0_EEES10_S11_S12_S19_S1D_S1F_T6_T7_T9_mT8_S1H_bDpT10_ENKUlT_T0_E_clISt17integral_constantIbLb0EES1U_IbLb1EEEEDaS1Q_S1R_EUlS1Q_E_NS1_11comp_targetILNS1_3genE5ELNS1_11target_archE942ELNS1_3gpuE9ELNS1_3repE0EEENS1_30default_config_static_selectorELNS0_4arch9wavefront6targetE0EEEvS13_,"axG",@progbits,_ZN7rocprim17ROCPRIM_400000_NS6detail17trampoline_kernelINS0_13select_configILj256ELj13ELNS0_17block_load_methodE3ELS4_3ELS4_3ELNS0_20block_scan_algorithmE0ELj4294967295EEENS1_25partition_config_selectorILNS1_17partition_subalgoE4EjNS0_10empty_typeEbEEZZNS1_14partition_implILS8_4ELb0ES6_15HIP_vector_typeIjLj2EENS0_17counting_iteratorIjlEEPS9_SG_NS0_5tupleIJPjSI_NS0_16reverse_iteratorISI_EEEEENSH_IJSG_SG_SG_EEES9_SI_JZNS1_25segmented_radix_sort_implINS0_14default_configELb1EPK12hip_bfloat16PSP_PKlPlN2at6native12_GLOBAL__N_18offset_tEEE10hipError_tPvRmT1_PNSt15iterator_traitsIS13_E10value_typeET2_T3_PNS14_IS19_E10value_typeET4_jRbjT5_S1F_jjP12ihipStream_tbEUljE_ZNSN_ISO_Lb1ESR_SS_SU_SV_SZ_EES10_S11_S12_S13_S17_S18_S19_S1C_S1D_jS1E_jS1F_S1F_jjS1H_bEUljE0_EEES10_S11_S12_S19_S1D_S1F_T6_T7_T9_mT8_S1H_bDpT10_ENKUlT_T0_E_clISt17integral_constantIbLb0EES1U_IbLb1EEEEDaS1Q_S1R_EUlS1Q_E_NS1_11comp_targetILNS1_3genE5ELNS1_11target_archE942ELNS1_3gpuE9ELNS1_3repE0EEENS1_30default_config_static_selectorELNS0_4arch9wavefront6targetE0EEEvS13_,comdat
	.globl	_ZN7rocprim17ROCPRIM_400000_NS6detail17trampoline_kernelINS0_13select_configILj256ELj13ELNS0_17block_load_methodE3ELS4_3ELS4_3ELNS0_20block_scan_algorithmE0ELj4294967295EEENS1_25partition_config_selectorILNS1_17partition_subalgoE4EjNS0_10empty_typeEbEEZZNS1_14partition_implILS8_4ELb0ES6_15HIP_vector_typeIjLj2EENS0_17counting_iteratorIjlEEPS9_SG_NS0_5tupleIJPjSI_NS0_16reverse_iteratorISI_EEEEENSH_IJSG_SG_SG_EEES9_SI_JZNS1_25segmented_radix_sort_implINS0_14default_configELb1EPK12hip_bfloat16PSP_PKlPlN2at6native12_GLOBAL__N_18offset_tEEE10hipError_tPvRmT1_PNSt15iterator_traitsIS13_E10value_typeET2_T3_PNS14_IS19_E10value_typeET4_jRbjT5_S1F_jjP12ihipStream_tbEUljE_ZNSN_ISO_Lb1ESR_SS_SU_SV_SZ_EES10_S11_S12_S13_S17_S18_S19_S1C_S1D_jS1E_jS1F_S1F_jjS1H_bEUljE0_EEES10_S11_S12_S19_S1D_S1F_T6_T7_T9_mT8_S1H_bDpT10_ENKUlT_T0_E_clISt17integral_constantIbLb0EES1U_IbLb1EEEEDaS1Q_S1R_EUlS1Q_E_NS1_11comp_targetILNS1_3genE5ELNS1_11target_archE942ELNS1_3gpuE9ELNS1_3repE0EEENS1_30default_config_static_selectorELNS0_4arch9wavefront6targetE0EEEvS13_ ; -- Begin function _ZN7rocprim17ROCPRIM_400000_NS6detail17trampoline_kernelINS0_13select_configILj256ELj13ELNS0_17block_load_methodE3ELS4_3ELS4_3ELNS0_20block_scan_algorithmE0ELj4294967295EEENS1_25partition_config_selectorILNS1_17partition_subalgoE4EjNS0_10empty_typeEbEEZZNS1_14partition_implILS8_4ELb0ES6_15HIP_vector_typeIjLj2EENS0_17counting_iteratorIjlEEPS9_SG_NS0_5tupleIJPjSI_NS0_16reverse_iteratorISI_EEEEENSH_IJSG_SG_SG_EEES9_SI_JZNS1_25segmented_radix_sort_implINS0_14default_configELb1EPK12hip_bfloat16PSP_PKlPlN2at6native12_GLOBAL__N_18offset_tEEE10hipError_tPvRmT1_PNSt15iterator_traitsIS13_E10value_typeET2_T3_PNS14_IS19_E10value_typeET4_jRbjT5_S1F_jjP12ihipStream_tbEUljE_ZNSN_ISO_Lb1ESR_SS_SU_SV_SZ_EES10_S11_S12_S13_S17_S18_S19_S1C_S1D_jS1E_jS1F_S1F_jjS1H_bEUljE0_EEES10_S11_S12_S19_S1D_S1F_T6_T7_T9_mT8_S1H_bDpT10_ENKUlT_T0_E_clISt17integral_constantIbLb0EES1U_IbLb1EEEEDaS1Q_S1R_EUlS1Q_E_NS1_11comp_targetILNS1_3genE5ELNS1_11target_archE942ELNS1_3gpuE9ELNS1_3repE0EEENS1_30default_config_static_selectorELNS0_4arch9wavefront6targetE0EEEvS13_
	.p2align	8
	.type	_ZN7rocprim17ROCPRIM_400000_NS6detail17trampoline_kernelINS0_13select_configILj256ELj13ELNS0_17block_load_methodE3ELS4_3ELS4_3ELNS0_20block_scan_algorithmE0ELj4294967295EEENS1_25partition_config_selectorILNS1_17partition_subalgoE4EjNS0_10empty_typeEbEEZZNS1_14partition_implILS8_4ELb0ES6_15HIP_vector_typeIjLj2EENS0_17counting_iteratorIjlEEPS9_SG_NS0_5tupleIJPjSI_NS0_16reverse_iteratorISI_EEEEENSH_IJSG_SG_SG_EEES9_SI_JZNS1_25segmented_radix_sort_implINS0_14default_configELb1EPK12hip_bfloat16PSP_PKlPlN2at6native12_GLOBAL__N_18offset_tEEE10hipError_tPvRmT1_PNSt15iterator_traitsIS13_E10value_typeET2_T3_PNS14_IS19_E10value_typeET4_jRbjT5_S1F_jjP12ihipStream_tbEUljE_ZNSN_ISO_Lb1ESR_SS_SU_SV_SZ_EES10_S11_S12_S13_S17_S18_S19_S1C_S1D_jS1E_jS1F_S1F_jjS1H_bEUljE0_EEES10_S11_S12_S19_S1D_S1F_T6_T7_T9_mT8_S1H_bDpT10_ENKUlT_T0_E_clISt17integral_constantIbLb0EES1U_IbLb1EEEEDaS1Q_S1R_EUlS1Q_E_NS1_11comp_targetILNS1_3genE5ELNS1_11target_archE942ELNS1_3gpuE9ELNS1_3repE0EEENS1_30default_config_static_selectorELNS0_4arch9wavefront6targetE0EEEvS13_,@function
_ZN7rocprim17ROCPRIM_400000_NS6detail17trampoline_kernelINS0_13select_configILj256ELj13ELNS0_17block_load_methodE3ELS4_3ELS4_3ELNS0_20block_scan_algorithmE0ELj4294967295EEENS1_25partition_config_selectorILNS1_17partition_subalgoE4EjNS0_10empty_typeEbEEZZNS1_14partition_implILS8_4ELb0ES6_15HIP_vector_typeIjLj2EENS0_17counting_iteratorIjlEEPS9_SG_NS0_5tupleIJPjSI_NS0_16reverse_iteratorISI_EEEEENSH_IJSG_SG_SG_EEES9_SI_JZNS1_25segmented_radix_sort_implINS0_14default_configELb1EPK12hip_bfloat16PSP_PKlPlN2at6native12_GLOBAL__N_18offset_tEEE10hipError_tPvRmT1_PNSt15iterator_traitsIS13_E10value_typeET2_T3_PNS14_IS19_E10value_typeET4_jRbjT5_S1F_jjP12ihipStream_tbEUljE_ZNSN_ISO_Lb1ESR_SS_SU_SV_SZ_EES10_S11_S12_S13_S17_S18_S19_S1C_S1D_jS1E_jS1F_S1F_jjS1H_bEUljE0_EEES10_S11_S12_S19_S1D_S1F_T6_T7_T9_mT8_S1H_bDpT10_ENKUlT_T0_E_clISt17integral_constantIbLb0EES1U_IbLb1EEEEDaS1Q_S1R_EUlS1Q_E_NS1_11comp_targetILNS1_3genE5ELNS1_11target_archE942ELNS1_3gpuE9ELNS1_3repE0EEENS1_30default_config_static_selectorELNS0_4arch9wavefront6targetE0EEEvS13_: ; @_ZN7rocprim17ROCPRIM_400000_NS6detail17trampoline_kernelINS0_13select_configILj256ELj13ELNS0_17block_load_methodE3ELS4_3ELS4_3ELNS0_20block_scan_algorithmE0ELj4294967295EEENS1_25partition_config_selectorILNS1_17partition_subalgoE4EjNS0_10empty_typeEbEEZZNS1_14partition_implILS8_4ELb0ES6_15HIP_vector_typeIjLj2EENS0_17counting_iteratorIjlEEPS9_SG_NS0_5tupleIJPjSI_NS0_16reverse_iteratorISI_EEEEENSH_IJSG_SG_SG_EEES9_SI_JZNS1_25segmented_radix_sort_implINS0_14default_configELb1EPK12hip_bfloat16PSP_PKlPlN2at6native12_GLOBAL__N_18offset_tEEE10hipError_tPvRmT1_PNSt15iterator_traitsIS13_E10value_typeET2_T3_PNS14_IS19_E10value_typeET4_jRbjT5_S1F_jjP12ihipStream_tbEUljE_ZNSN_ISO_Lb1ESR_SS_SU_SV_SZ_EES10_S11_S12_S13_S17_S18_S19_S1C_S1D_jS1E_jS1F_S1F_jjS1H_bEUljE0_EEES10_S11_S12_S19_S1D_S1F_T6_T7_T9_mT8_S1H_bDpT10_ENKUlT_T0_E_clISt17integral_constantIbLb0EES1U_IbLb1EEEEDaS1Q_S1R_EUlS1Q_E_NS1_11comp_targetILNS1_3genE5ELNS1_11target_archE942ELNS1_3gpuE9ELNS1_3repE0EEENS1_30default_config_static_selectorELNS0_4arch9wavefront6targetE0EEEvS13_
; %bb.0:
	.section	.rodata,"a",@progbits
	.p2align	6, 0x0
	.amdhsa_kernel _ZN7rocprim17ROCPRIM_400000_NS6detail17trampoline_kernelINS0_13select_configILj256ELj13ELNS0_17block_load_methodE3ELS4_3ELS4_3ELNS0_20block_scan_algorithmE0ELj4294967295EEENS1_25partition_config_selectorILNS1_17partition_subalgoE4EjNS0_10empty_typeEbEEZZNS1_14partition_implILS8_4ELb0ES6_15HIP_vector_typeIjLj2EENS0_17counting_iteratorIjlEEPS9_SG_NS0_5tupleIJPjSI_NS0_16reverse_iteratorISI_EEEEENSH_IJSG_SG_SG_EEES9_SI_JZNS1_25segmented_radix_sort_implINS0_14default_configELb1EPK12hip_bfloat16PSP_PKlPlN2at6native12_GLOBAL__N_18offset_tEEE10hipError_tPvRmT1_PNSt15iterator_traitsIS13_E10value_typeET2_T3_PNS14_IS19_E10value_typeET4_jRbjT5_S1F_jjP12ihipStream_tbEUljE_ZNSN_ISO_Lb1ESR_SS_SU_SV_SZ_EES10_S11_S12_S13_S17_S18_S19_S1C_S1D_jS1E_jS1F_S1F_jjS1H_bEUljE0_EEES10_S11_S12_S19_S1D_S1F_T6_T7_T9_mT8_S1H_bDpT10_ENKUlT_T0_E_clISt17integral_constantIbLb0EES1U_IbLb1EEEEDaS1Q_S1R_EUlS1Q_E_NS1_11comp_targetILNS1_3genE5ELNS1_11target_archE942ELNS1_3gpuE9ELNS1_3repE0EEENS1_30default_config_static_selectorELNS0_4arch9wavefront6targetE0EEEvS13_
		.amdhsa_group_segment_fixed_size 0
		.amdhsa_private_segment_fixed_size 0
		.amdhsa_kernarg_size 184
		.amdhsa_user_sgpr_count 6
		.amdhsa_user_sgpr_private_segment_buffer 1
		.amdhsa_user_sgpr_dispatch_ptr 0
		.amdhsa_user_sgpr_queue_ptr 0
		.amdhsa_user_sgpr_kernarg_segment_ptr 1
		.amdhsa_user_sgpr_dispatch_id 0
		.amdhsa_user_sgpr_flat_scratch_init 0
		.amdhsa_user_sgpr_private_segment_size 0
		.amdhsa_wavefront_size32 1
		.amdhsa_uses_dynamic_stack 0
		.amdhsa_system_sgpr_private_segment_wavefront_offset 0
		.amdhsa_system_sgpr_workgroup_id_x 1
		.amdhsa_system_sgpr_workgroup_id_y 0
		.amdhsa_system_sgpr_workgroup_id_z 0
		.amdhsa_system_sgpr_workgroup_info 0
		.amdhsa_system_vgpr_workitem_id 0
		.amdhsa_next_free_vgpr 1
		.amdhsa_next_free_sgpr 1
		.amdhsa_reserve_vcc 0
		.amdhsa_reserve_flat_scratch 0
		.amdhsa_float_round_mode_32 0
		.amdhsa_float_round_mode_16_64 0
		.amdhsa_float_denorm_mode_32 3
		.amdhsa_float_denorm_mode_16_64 3
		.amdhsa_dx10_clamp 1
		.amdhsa_ieee_mode 1
		.amdhsa_fp16_overflow 0
		.amdhsa_workgroup_processor_mode 1
		.amdhsa_memory_ordered 1
		.amdhsa_forward_progress 1
		.amdhsa_shared_vgpr_count 0
		.amdhsa_exception_fp_ieee_invalid_op 0
		.amdhsa_exception_fp_denorm_src 0
		.amdhsa_exception_fp_ieee_div_zero 0
		.amdhsa_exception_fp_ieee_overflow 0
		.amdhsa_exception_fp_ieee_underflow 0
		.amdhsa_exception_fp_ieee_inexact 0
		.amdhsa_exception_int_div_zero 0
	.end_amdhsa_kernel
	.section	.text._ZN7rocprim17ROCPRIM_400000_NS6detail17trampoline_kernelINS0_13select_configILj256ELj13ELNS0_17block_load_methodE3ELS4_3ELS4_3ELNS0_20block_scan_algorithmE0ELj4294967295EEENS1_25partition_config_selectorILNS1_17partition_subalgoE4EjNS0_10empty_typeEbEEZZNS1_14partition_implILS8_4ELb0ES6_15HIP_vector_typeIjLj2EENS0_17counting_iteratorIjlEEPS9_SG_NS0_5tupleIJPjSI_NS0_16reverse_iteratorISI_EEEEENSH_IJSG_SG_SG_EEES9_SI_JZNS1_25segmented_radix_sort_implINS0_14default_configELb1EPK12hip_bfloat16PSP_PKlPlN2at6native12_GLOBAL__N_18offset_tEEE10hipError_tPvRmT1_PNSt15iterator_traitsIS13_E10value_typeET2_T3_PNS14_IS19_E10value_typeET4_jRbjT5_S1F_jjP12ihipStream_tbEUljE_ZNSN_ISO_Lb1ESR_SS_SU_SV_SZ_EES10_S11_S12_S13_S17_S18_S19_S1C_S1D_jS1E_jS1F_S1F_jjS1H_bEUljE0_EEES10_S11_S12_S19_S1D_S1F_T6_T7_T9_mT8_S1H_bDpT10_ENKUlT_T0_E_clISt17integral_constantIbLb0EES1U_IbLb1EEEEDaS1Q_S1R_EUlS1Q_E_NS1_11comp_targetILNS1_3genE5ELNS1_11target_archE942ELNS1_3gpuE9ELNS1_3repE0EEENS1_30default_config_static_selectorELNS0_4arch9wavefront6targetE0EEEvS13_,"axG",@progbits,_ZN7rocprim17ROCPRIM_400000_NS6detail17trampoline_kernelINS0_13select_configILj256ELj13ELNS0_17block_load_methodE3ELS4_3ELS4_3ELNS0_20block_scan_algorithmE0ELj4294967295EEENS1_25partition_config_selectorILNS1_17partition_subalgoE4EjNS0_10empty_typeEbEEZZNS1_14partition_implILS8_4ELb0ES6_15HIP_vector_typeIjLj2EENS0_17counting_iteratorIjlEEPS9_SG_NS0_5tupleIJPjSI_NS0_16reverse_iteratorISI_EEEEENSH_IJSG_SG_SG_EEES9_SI_JZNS1_25segmented_radix_sort_implINS0_14default_configELb1EPK12hip_bfloat16PSP_PKlPlN2at6native12_GLOBAL__N_18offset_tEEE10hipError_tPvRmT1_PNSt15iterator_traitsIS13_E10value_typeET2_T3_PNS14_IS19_E10value_typeET4_jRbjT5_S1F_jjP12ihipStream_tbEUljE_ZNSN_ISO_Lb1ESR_SS_SU_SV_SZ_EES10_S11_S12_S13_S17_S18_S19_S1C_S1D_jS1E_jS1F_S1F_jjS1H_bEUljE0_EEES10_S11_S12_S19_S1D_S1F_T6_T7_T9_mT8_S1H_bDpT10_ENKUlT_T0_E_clISt17integral_constantIbLb0EES1U_IbLb1EEEEDaS1Q_S1R_EUlS1Q_E_NS1_11comp_targetILNS1_3genE5ELNS1_11target_archE942ELNS1_3gpuE9ELNS1_3repE0EEENS1_30default_config_static_selectorELNS0_4arch9wavefront6targetE0EEEvS13_,comdat
.Lfunc_end1897:
	.size	_ZN7rocprim17ROCPRIM_400000_NS6detail17trampoline_kernelINS0_13select_configILj256ELj13ELNS0_17block_load_methodE3ELS4_3ELS4_3ELNS0_20block_scan_algorithmE0ELj4294967295EEENS1_25partition_config_selectorILNS1_17partition_subalgoE4EjNS0_10empty_typeEbEEZZNS1_14partition_implILS8_4ELb0ES6_15HIP_vector_typeIjLj2EENS0_17counting_iteratorIjlEEPS9_SG_NS0_5tupleIJPjSI_NS0_16reverse_iteratorISI_EEEEENSH_IJSG_SG_SG_EEES9_SI_JZNS1_25segmented_radix_sort_implINS0_14default_configELb1EPK12hip_bfloat16PSP_PKlPlN2at6native12_GLOBAL__N_18offset_tEEE10hipError_tPvRmT1_PNSt15iterator_traitsIS13_E10value_typeET2_T3_PNS14_IS19_E10value_typeET4_jRbjT5_S1F_jjP12ihipStream_tbEUljE_ZNSN_ISO_Lb1ESR_SS_SU_SV_SZ_EES10_S11_S12_S13_S17_S18_S19_S1C_S1D_jS1E_jS1F_S1F_jjS1H_bEUljE0_EEES10_S11_S12_S19_S1D_S1F_T6_T7_T9_mT8_S1H_bDpT10_ENKUlT_T0_E_clISt17integral_constantIbLb0EES1U_IbLb1EEEEDaS1Q_S1R_EUlS1Q_E_NS1_11comp_targetILNS1_3genE5ELNS1_11target_archE942ELNS1_3gpuE9ELNS1_3repE0EEENS1_30default_config_static_selectorELNS0_4arch9wavefront6targetE0EEEvS13_, .Lfunc_end1897-_ZN7rocprim17ROCPRIM_400000_NS6detail17trampoline_kernelINS0_13select_configILj256ELj13ELNS0_17block_load_methodE3ELS4_3ELS4_3ELNS0_20block_scan_algorithmE0ELj4294967295EEENS1_25partition_config_selectorILNS1_17partition_subalgoE4EjNS0_10empty_typeEbEEZZNS1_14partition_implILS8_4ELb0ES6_15HIP_vector_typeIjLj2EENS0_17counting_iteratorIjlEEPS9_SG_NS0_5tupleIJPjSI_NS0_16reverse_iteratorISI_EEEEENSH_IJSG_SG_SG_EEES9_SI_JZNS1_25segmented_radix_sort_implINS0_14default_configELb1EPK12hip_bfloat16PSP_PKlPlN2at6native12_GLOBAL__N_18offset_tEEE10hipError_tPvRmT1_PNSt15iterator_traitsIS13_E10value_typeET2_T3_PNS14_IS19_E10value_typeET4_jRbjT5_S1F_jjP12ihipStream_tbEUljE_ZNSN_ISO_Lb1ESR_SS_SU_SV_SZ_EES10_S11_S12_S13_S17_S18_S19_S1C_S1D_jS1E_jS1F_S1F_jjS1H_bEUljE0_EEES10_S11_S12_S19_S1D_S1F_T6_T7_T9_mT8_S1H_bDpT10_ENKUlT_T0_E_clISt17integral_constantIbLb0EES1U_IbLb1EEEEDaS1Q_S1R_EUlS1Q_E_NS1_11comp_targetILNS1_3genE5ELNS1_11target_archE942ELNS1_3gpuE9ELNS1_3repE0EEENS1_30default_config_static_selectorELNS0_4arch9wavefront6targetE0EEEvS13_
                                        ; -- End function
	.set _ZN7rocprim17ROCPRIM_400000_NS6detail17trampoline_kernelINS0_13select_configILj256ELj13ELNS0_17block_load_methodE3ELS4_3ELS4_3ELNS0_20block_scan_algorithmE0ELj4294967295EEENS1_25partition_config_selectorILNS1_17partition_subalgoE4EjNS0_10empty_typeEbEEZZNS1_14partition_implILS8_4ELb0ES6_15HIP_vector_typeIjLj2EENS0_17counting_iteratorIjlEEPS9_SG_NS0_5tupleIJPjSI_NS0_16reverse_iteratorISI_EEEEENSH_IJSG_SG_SG_EEES9_SI_JZNS1_25segmented_radix_sort_implINS0_14default_configELb1EPK12hip_bfloat16PSP_PKlPlN2at6native12_GLOBAL__N_18offset_tEEE10hipError_tPvRmT1_PNSt15iterator_traitsIS13_E10value_typeET2_T3_PNS14_IS19_E10value_typeET4_jRbjT5_S1F_jjP12ihipStream_tbEUljE_ZNSN_ISO_Lb1ESR_SS_SU_SV_SZ_EES10_S11_S12_S13_S17_S18_S19_S1C_S1D_jS1E_jS1F_S1F_jjS1H_bEUljE0_EEES10_S11_S12_S19_S1D_S1F_T6_T7_T9_mT8_S1H_bDpT10_ENKUlT_T0_E_clISt17integral_constantIbLb0EES1U_IbLb1EEEEDaS1Q_S1R_EUlS1Q_E_NS1_11comp_targetILNS1_3genE5ELNS1_11target_archE942ELNS1_3gpuE9ELNS1_3repE0EEENS1_30default_config_static_selectorELNS0_4arch9wavefront6targetE0EEEvS13_.num_vgpr, 0
	.set _ZN7rocprim17ROCPRIM_400000_NS6detail17trampoline_kernelINS0_13select_configILj256ELj13ELNS0_17block_load_methodE3ELS4_3ELS4_3ELNS0_20block_scan_algorithmE0ELj4294967295EEENS1_25partition_config_selectorILNS1_17partition_subalgoE4EjNS0_10empty_typeEbEEZZNS1_14partition_implILS8_4ELb0ES6_15HIP_vector_typeIjLj2EENS0_17counting_iteratorIjlEEPS9_SG_NS0_5tupleIJPjSI_NS0_16reverse_iteratorISI_EEEEENSH_IJSG_SG_SG_EEES9_SI_JZNS1_25segmented_radix_sort_implINS0_14default_configELb1EPK12hip_bfloat16PSP_PKlPlN2at6native12_GLOBAL__N_18offset_tEEE10hipError_tPvRmT1_PNSt15iterator_traitsIS13_E10value_typeET2_T3_PNS14_IS19_E10value_typeET4_jRbjT5_S1F_jjP12ihipStream_tbEUljE_ZNSN_ISO_Lb1ESR_SS_SU_SV_SZ_EES10_S11_S12_S13_S17_S18_S19_S1C_S1D_jS1E_jS1F_S1F_jjS1H_bEUljE0_EEES10_S11_S12_S19_S1D_S1F_T6_T7_T9_mT8_S1H_bDpT10_ENKUlT_T0_E_clISt17integral_constantIbLb0EES1U_IbLb1EEEEDaS1Q_S1R_EUlS1Q_E_NS1_11comp_targetILNS1_3genE5ELNS1_11target_archE942ELNS1_3gpuE9ELNS1_3repE0EEENS1_30default_config_static_selectorELNS0_4arch9wavefront6targetE0EEEvS13_.num_agpr, 0
	.set _ZN7rocprim17ROCPRIM_400000_NS6detail17trampoline_kernelINS0_13select_configILj256ELj13ELNS0_17block_load_methodE3ELS4_3ELS4_3ELNS0_20block_scan_algorithmE0ELj4294967295EEENS1_25partition_config_selectorILNS1_17partition_subalgoE4EjNS0_10empty_typeEbEEZZNS1_14partition_implILS8_4ELb0ES6_15HIP_vector_typeIjLj2EENS0_17counting_iteratorIjlEEPS9_SG_NS0_5tupleIJPjSI_NS0_16reverse_iteratorISI_EEEEENSH_IJSG_SG_SG_EEES9_SI_JZNS1_25segmented_radix_sort_implINS0_14default_configELb1EPK12hip_bfloat16PSP_PKlPlN2at6native12_GLOBAL__N_18offset_tEEE10hipError_tPvRmT1_PNSt15iterator_traitsIS13_E10value_typeET2_T3_PNS14_IS19_E10value_typeET4_jRbjT5_S1F_jjP12ihipStream_tbEUljE_ZNSN_ISO_Lb1ESR_SS_SU_SV_SZ_EES10_S11_S12_S13_S17_S18_S19_S1C_S1D_jS1E_jS1F_S1F_jjS1H_bEUljE0_EEES10_S11_S12_S19_S1D_S1F_T6_T7_T9_mT8_S1H_bDpT10_ENKUlT_T0_E_clISt17integral_constantIbLb0EES1U_IbLb1EEEEDaS1Q_S1R_EUlS1Q_E_NS1_11comp_targetILNS1_3genE5ELNS1_11target_archE942ELNS1_3gpuE9ELNS1_3repE0EEENS1_30default_config_static_selectorELNS0_4arch9wavefront6targetE0EEEvS13_.numbered_sgpr, 0
	.set _ZN7rocprim17ROCPRIM_400000_NS6detail17trampoline_kernelINS0_13select_configILj256ELj13ELNS0_17block_load_methodE3ELS4_3ELS4_3ELNS0_20block_scan_algorithmE0ELj4294967295EEENS1_25partition_config_selectorILNS1_17partition_subalgoE4EjNS0_10empty_typeEbEEZZNS1_14partition_implILS8_4ELb0ES6_15HIP_vector_typeIjLj2EENS0_17counting_iteratorIjlEEPS9_SG_NS0_5tupleIJPjSI_NS0_16reverse_iteratorISI_EEEEENSH_IJSG_SG_SG_EEES9_SI_JZNS1_25segmented_radix_sort_implINS0_14default_configELb1EPK12hip_bfloat16PSP_PKlPlN2at6native12_GLOBAL__N_18offset_tEEE10hipError_tPvRmT1_PNSt15iterator_traitsIS13_E10value_typeET2_T3_PNS14_IS19_E10value_typeET4_jRbjT5_S1F_jjP12ihipStream_tbEUljE_ZNSN_ISO_Lb1ESR_SS_SU_SV_SZ_EES10_S11_S12_S13_S17_S18_S19_S1C_S1D_jS1E_jS1F_S1F_jjS1H_bEUljE0_EEES10_S11_S12_S19_S1D_S1F_T6_T7_T9_mT8_S1H_bDpT10_ENKUlT_T0_E_clISt17integral_constantIbLb0EES1U_IbLb1EEEEDaS1Q_S1R_EUlS1Q_E_NS1_11comp_targetILNS1_3genE5ELNS1_11target_archE942ELNS1_3gpuE9ELNS1_3repE0EEENS1_30default_config_static_selectorELNS0_4arch9wavefront6targetE0EEEvS13_.num_named_barrier, 0
	.set _ZN7rocprim17ROCPRIM_400000_NS6detail17trampoline_kernelINS0_13select_configILj256ELj13ELNS0_17block_load_methodE3ELS4_3ELS4_3ELNS0_20block_scan_algorithmE0ELj4294967295EEENS1_25partition_config_selectorILNS1_17partition_subalgoE4EjNS0_10empty_typeEbEEZZNS1_14partition_implILS8_4ELb0ES6_15HIP_vector_typeIjLj2EENS0_17counting_iteratorIjlEEPS9_SG_NS0_5tupleIJPjSI_NS0_16reverse_iteratorISI_EEEEENSH_IJSG_SG_SG_EEES9_SI_JZNS1_25segmented_radix_sort_implINS0_14default_configELb1EPK12hip_bfloat16PSP_PKlPlN2at6native12_GLOBAL__N_18offset_tEEE10hipError_tPvRmT1_PNSt15iterator_traitsIS13_E10value_typeET2_T3_PNS14_IS19_E10value_typeET4_jRbjT5_S1F_jjP12ihipStream_tbEUljE_ZNSN_ISO_Lb1ESR_SS_SU_SV_SZ_EES10_S11_S12_S13_S17_S18_S19_S1C_S1D_jS1E_jS1F_S1F_jjS1H_bEUljE0_EEES10_S11_S12_S19_S1D_S1F_T6_T7_T9_mT8_S1H_bDpT10_ENKUlT_T0_E_clISt17integral_constantIbLb0EES1U_IbLb1EEEEDaS1Q_S1R_EUlS1Q_E_NS1_11comp_targetILNS1_3genE5ELNS1_11target_archE942ELNS1_3gpuE9ELNS1_3repE0EEENS1_30default_config_static_selectorELNS0_4arch9wavefront6targetE0EEEvS13_.private_seg_size, 0
	.set _ZN7rocprim17ROCPRIM_400000_NS6detail17trampoline_kernelINS0_13select_configILj256ELj13ELNS0_17block_load_methodE3ELS4_3ELS4_3ELNS0_20block_scan_algorithmE0ELj4294967295EEENS1_25partition_config_selectorILNS1_17partition_subalgoE4EjNS0_10empty_typeEbEEZZNS1_14partition_implILS8_4ELb0ES6_15HIP_vector_typeIjLj2EENS0_17counting_iteratorIjlEEPS9_SG_NS0_5tupleIJPjSI_NS0_16reverse_iteratorISI_EEEEENSH_IJSG_SG_SG_EEES9_SI_JZNS1_25segmented_radix_sort_implINS0_14default_configELb1EPK12hip_bfloat16PSP_PKlPlN2at6native12_GLOBAL__N_18offset_tEEE10hipError_tPvRmT1_PNSt15iterator_traitsIS13_E10value_typeET2_T3_PNS14_IS19_E10value_typeET4_jRbjT5_S1F_jjP12ihipStream_tbEUljE_ZNSN_ISO_Lb1ESR_SS_SU_SV_SZ_EES10_S11_S12_S13_S17_S18_S19_S1C_S1D_jS1E_jS1F_S1F_jjS1H_bEUljE0_EEES10_S11_S12_S19_S1D_S1F_T6_T7_T9_mT8_S1H_bDpT10_ENKUlT_T0_E_clISt17integral_constantIbLb0EES1U_IbLb1EEEEDaS1Q_S1R_EUlS1Q_E_NS1_11comp_targetILNS1_3genE5ELNS1_11target_archE942ELNS1_3gpuE9ELNS1_3repE0EEENS1_30default_config_static_selectorELNS0_4arch9wavefront6targetE0EEEvS13_.uses_vcc, 0
	.set _ZN7rocprim17ROCPRIM_400000_NS6detail17trampoline_kernelINS0_13select_configILj256ELj13ELNS0_17block_load_methodE3ELS4_3ELS4_3ELNS0_20block_scan_algorithmE0ELj4294967295EEENS1_25partition_config_selectorILNS1_17partition_subalgoE4EjNS0_10empty_typeEbEEZZNS1_14partition_implILS8_4ELb0ES6_15HIP_vector_typeIjLj2EENS0_17counting_iteratorIjlEEPS9_SG_NS0_5tupleIJPjSI_NS0_16reverse_iteratorISI_EEEEENSH_IJSG_SG_SG_EEES9_SI_JZNS1_25segmented_radix_sort_implINS0_14default_configELb1EPK12hip_bfloat16PSP_PKlPlN2at6native12_GLOBAL__N_18offset_tEEE10hipError_tPvRmT1_PNSt15iterator_traitsIS13_E10value_typeET2_T3_PNS14_IS19_E10value_typeET4_jRbjT5_S1F_jjP12ihipStream_tbEUljE_ZNSN_ISO_Lb1ESR_SS_SU_SV_SZ_EES10_S11_S12_S13_S17_S18_S19_S1C_S1D_jS1E_jS1F_S1F_jjS1H_bEUljE0_EEES10_S11_S12_S19_S1D_S1F_T6_T7_T9_mT8_S1H_bDpT10_ENKUlT_T0_E_clISt17integral_constantIbLb0EES1U_IbLb1EEEEDaS1Q_S1R_EUlS1Q_E_NS1_11comp_targetILNS1_3genE5ELNS1_11target_archE942ELNS1_3gpuE9ELNS1_3repE0EEENS1_30default_config_static_selectorELNS0_4arch9wavefront6targetE0EEEvS13_.uses_flat_scratch, 0
	.set _ZN7rocprim17ROCPRIM_400000_NS6detail17trampoline_kernelINS0_13select_configILj256ELj13ELNS0_17block_load_methodE3ELS4_3ELS4_3ELNS0_20block_scan_algorithmE0ELj4294967295EEENS1_25partition_config_selectorILNS1_17partition_subalgoE4EjNS0_10empty_typeEbEEZZNS1_14partition_implILS8_4ELb0ES6_15HIP_vector_typeIjLj2EENS0_17counting_iteratorIjlEEPS9_SG_NS0_5tupleIJPjSI_NS0_16reverse_iteratorISI_EEEEENSH_IJSG_SG_SG_EEES9_SI_JZNS1_25segmented_radix_sort_implINS0_14default_configELb1EPK12hip_bfloat16PSP_PKlPlN2at6native12_GLOBAL__N_18offset_tEEE10hipError_tPvRmT1_PNSt15iterator_traitsIS13_E10value_typeET2_T3_PNS14_IS19_E10value_typeET4_jRbjT5_S1F_jjP12ihipStream_tbEUljE_ZNSN_ISO_Lb1ESR_SS_SU_SV_SZ_EES10_S11_S12_S13_S17_S18_S19_S1C_S1D_jS1E_jS1F_S1F_jjS1H_bEUljE0_EEES10_S11_S12_S19_S1D_S1F_T6_T7_T9_mT8_S1H_bDpT10_ENKUlT_T0_E_clISt17integral_constantIbLb0EES1U_IbLb1EEEEDaS1Q_S1R_EUlS1Q_E_NS1_11comp_targetILNS1_3genE5ELNS1_11target_archE942ELNS1_3gpuE9ELNS1_3repE0EEENS1_30default_config_static_selectorELNS0_4arch9wavefront6targetE0EEEvS13_.has_dyn_sized_stack, 0
	.set _ZN7rocprim17ROCPRIM_400000_NS6detail17trampoline_kernelINS0_13select_configILj256ELj13ELNS0_17block_load_methodE3ELS4_3ELS4_3ELNS0_20block_scan_algorithmE0ELj4294967295EEENS1_25partition_config_selectorILNS1_17partition_subalgoE4EjNS0_10empty_typeEbEEZZNS1_14partition_implILS8_4ELb0ES6_15HIP_vector_typeIjLj2EENS0_17counting_iteratorIjlEEPS9_SG_NS0_5tupleIJPjSI_NS0_16reverse_iteratorISI_EEEEENSH_IJSG_SG_SG_EEES9_SI_JZNS1_25segmented_radix_sort_implINS0_14default_configELb1EPK12hip_bfloat16PSP_PKlPlN2at6native12_GLOBAL__N_18offset_tEEE10hipError_tPvRmT1_PNSt15iterator_traitsIS13_E10value_typeET2_T3_PNS14_IS19_E10value_typeET4_jRbjT5_S1F_jjP12ihipStream_tbEUljE_ZNSN_ISO_Lb1ESR_SS_SU_SV_SZ_EES10_S11_S12_S13_S17_S18_S19_S1C_S1D_jS1E_jS1F_S1F_jjS1H_bEUljE0_EEES10_S11_S12_S19_S1D_S1F_T6_T7_T9_mT8_S1H_bDpT10_ENKUlT_T0_E_clISt17integral_constantIbLb0EES1U_IbLb1EEEEDaS1Q_S1R_EUlS1Q_E_NS1_11comp_targetILNS1_3genE5ELNS1_11target_archE942ELNS1_3gpuE9ELNS1_3repE0EEENS1_30default_config_static_selectorELNS0_4arch9wavefront6targetE0EEEvS13_.has_recursion, 0
	.set _ZN7rocprim17ROCPRIM_400000_NS6detail17trampoline_kernelINS0_13select_configILj256ELj13ELNS0_17block_load_methodE3ELS4_3ELS4_3ELNS0_20block_scan_algorithmE0ELj4294967295EEENS1_25partition_config_selectorILNS1_17partition_subalgoE4EjNS0_10empty_typeEbEEZZNS1_14partition_implILS8_4ELb0ES6_15HIP_vector_typeIjLj2EENS0_17counting_iteratorIjlEEPS9_SG_NS0_5tupleIJPjSI_NS0_16reverse_iteratorISI_EEEEENSH_IJSG_SG_SG_EEES9_SI_JZNS1_25segmented_radix_sort_implINS0_14default_configELb1EPK12hip_bfloat16PSP_PKlPlN2at6native12_GLOBAL__N_18offset_tEEE10hipError_tPvRmT1_PNSt15iterator_traitsIS13_E10value_typeET2_T3_PNS14_IS19_E10value_typeET4_jRbjT5_S1F_jjP12ihipStream_tbEUljE_ZNSN_ISO_Lb1ESR_SS_SU_SV_SZ_EES10_S11_S12_S13_S17_S18_S19_S1C_S1D_jS1E_jS1F_S1F_jjS1H_bEUljE0_EEES10_S11_S12_S19_S1D_S1F_T6_T7_T9_mT8_S1H_bDpT10_ENKUlT_T0_E_clISt17integral_constantIbLb0EES1U_IbLb1EEEEDaS1Q_S1R_EUlS1Q_E_NS1_11comp_targetILNS1_3genE5ELNS1_11target_archE942ELNS1_3gpuE9ELNS1_3repE0EEENS1_30default_config_static_selectorELNS0_4arch9wavefront6targetE0EEEvS13_.has_indirect_call, 0
	.section	.AMDGPU.csdata,"",@progbits
; Kernel info:
; codeLenInByte = 0
; TotalNumSgprs: 0
; NumVgprs: 0
; ScratchSize: 0
; MemoryBound: 0
; FloatMode: 240
; IeeeMode: 1
; LDSByteSize: 0 bytes/workgroup (compile time only)
; SGPRBlocks: 0
; VGPRBlocks: 0
; NumSGPRsForWavesPerEU: 1
; NumVGPRsForWavesPerEU: 1
; Occupancy: 16
; WaveLimiterHint : 0
; COMPUTE_PGM_RSRC2:SCRATCH_EN: 0
; COMPUTE_PGM_RSRC2:USER_SGPR: 6
; COMPUTE_PGM_RSRC2:TRAP_HANDLER: 0
; COMPUTE_PGM_RSRC2:TGID_X_EN: 1
; COMPUTE_PGM_RSRC2:TGID_Y_EN: 0
; COMPUTE_PGM_RSRC2:TGID_Z_EN: 0
; COMPUTE_PGM_RSRC2:TIDIG_COMP_CNT: 0
	.section	.text._ZN7rocprim17ROCPRIM_400000_NS6detail17trampoline_kernelINS0_13select_configILj256ELj13ELNS0_17block_load_methodE3ELS4_3ELS4_3ELNS0_20block_scan_algorithmE0ELj4294967295EEENS1_25partition_config_selectorILNS1_17partition_subalgoE4EjNS0_10empty_typeEbEEZZNS1_14partition_implILS8_4ELb0ES6_15HIP_vector_typeIjLj2EENS0_17counting_iteratorIjlEEPS9_SG_NS0_5tupleIJPjSI_NS0_16reverse_iteratorISI_EEEEENSH_IJSG_SG_SG_EEES9_SI_JZNS1_25segmented_radix_sort_implINS0_14default_configELb1EPK12hip_bfloat16PSP_PKlPlN2at6native12_GLOBAL__N_18offset_tEEE10hipError_tPvRmT1_PNSt15iterator_traitsIS13_E10value_typeET2_T3_PNS14_IS19_E10value_typeET4_jRbjT5_S1F_jjP12ihipStream_tbEUljE_ZNSN_ISO_Lb1ESR_SS_SU_SV_SZ_EES10_S11_S12_S13_S17_S18_S19_S1C_S1D_jS1E_jS1F_S1F_jjS1H_bEUljE0_EEES10_S11_S12_S19_S1D_S1F_T6_T7_T9_mT8_S1H_bDpT10_ENKUlT_T0_E_clISt17integral_constantIbLb0EES1U_IbLb1EEEEDaS1Q_S1R_EUlS1Q_E_NS1_11comp_targetILNS1_3genE4ELNS1_11target_archE910ELNS1_3gpuE8ELNS1_3repE0EEENS1_30default_config_static_selectorELNS0_4arch9wavefront6targetE0EEEvS13_,"axG",@progbits,_ZN7rocprim17ROCPRIM_400000_NS6detail17trampoline_kernelINS0_13select_configILj256ELj13ELNS0_17block_load_methodE3ELS4_3ELS4_3ELNS0_20block_scan_algorithmE0ELj4294967295EEENS1_25partition_config_selectorILNS1_17partition_subalgoE4EjNS0_10empty_typeEbEEZZNS1_14partition_implILS8_4ELb0ES6_15HIP_vector_typeIjLj2EENS0_17counting_iteratorIjlEEPS9_SG_NS0_5tupleIJPjSI_NS0_16reverse_iteratorISI_EEEEENSH_IJSG_SG_SG_EEES9_SI_JZNS1_25segmented_radix_sort_implINS0_14default_configELb1EPK12hip_bfloat16PSP_PKlPlN2at6native12_GLOBAL__N_18offset_tEEE10hipError_tPvRmT1_PNSt15iterator_traitsIS13_E10value_typeET2_T3_PNS14_IS19_E10value_typeET4_jRbjT5_S1F_jjP12ihipStream_tbEUljE_ZNSN_ISO_Lb1ESR_SS_SU_SV_SZ_EES10_S11_S12_S13_S17_S18_S19_S1C_S1D_jS1E_jS1F_S1F_jjS1H_bEUljE0_EEES10_S11_S12_S19_S1D_S1F_T6_T7_T9_mT8_S1H_bDpT10_ENKUlT_T0_E_clISt17integral_constantIbLb0EES1U_IbLb1EEEEDaS1Q_S1R_EUlS1Q_E_NS1_11comp_targetILNS1_3genE4ELNS1_11target_archE910ELNS1_3gpuE8ELNS1_3repE0EEENS1_30default_config_static_selectorELNS0_4arch9wavefront6targetE0EEEvS13_,comdat
	.globl	_ZN7rocprim17ROCPRIM_400000_NS6detail17trampoline_kernelINS0_13select_configILj256ELj13ELNS0_17block_load_methodE3ELS4_3ELS4_3ELNS0_20block_scan_algorithmE0ELj4294967295EEENS1_25partition_config_selectorILNS1_17partition_subalgoE4EjNS0_10empty_typeEbEEZZNS1_14partition_implILS8_4ELb0ES6_15HIP_vector_typeIjLj2EENS0_17counting_iteratorIjlEEPS9_SG_NS0_5tupleIJPjSI_NS0_16reverse_iteratorISI_EEEEENSH_IJSG_SG_SG_EEES9_SI_JZNS1_25segmented_radix_sort_implINS0_14default_configELb1EPK12hip_bfloat16PSP_PKlPlN2at6native12_GLOBAL__N_18offset_tEEE10hipError_tPvRmT1_PNSt15iterator_traitsIS13_E10value_typeET2_T3_PNS14_IS19_E10value_typeET4_jRbjT5_S1F_jjP12ihipStream_tbEUljE_ZNSN_ISO_Lb1ESR_SS_SU_SV_SZ_EES10_S11_S12_S13_S17_S18_S19_S1C_S1D_jS1E_jS1F_S1F_jjS1H_bEUljE0_EEES10_S11_S12_S19_S1D_S1F_T6_T7_T9_mT8_S1H_bDpT10_ENKUlT_T0_E_clISt17integral_constantIbLb0EES1U_IbLb1EEEEDaS1Q_S1R_EUlS1Q_E_NS1_11comp_targetILNS1_3genE4ELNS1_11target_archE910ELNS1_3gpuE8ELNS1_3repE0EEENS1_30default_config_static_selectorELNS0_4arch9wavefront6targetE0EEEvS13_ ; -- Begin function _ZN7rocprim17ROCPRIM_400000_NS6detail17trampoline_kernelINS0_13select_configILj256ELj13ELNS0_17block_load_methodE3ELS4_3ELS4_3ELNS0_20block_scan_algorithmE0ELj4294967295EEENS1_25partition_config_selectorILNS1_17partition_subalgoE4EjNS0_10empty_typeEbEEZZNS1_14partition_implILS8_4ELb0ES6_15HIP_vector_typeIjLj2EENS0_17counting_iteratorIjlEEPS9_SG_NS0_5tupleIJPjSI_NS0_16reverse_iteratorISI_EEEEENSH_IJSG_SG_SG_EEES9_SI_JZNS1_25segmented_radix_sort_implINS0_14default_configELb1EPK12hip_bfloat16PSP_PKlPlN2at6native12_GLOBAL__N_18offset_tEEE10hipError_tPvRmT1_PNSt15iterator_traitsIS13_E10value_typeET2_T3_PNS14_IS19_E10value_typeET4_jRbjT5_S1F_jjP12ihipStream_tbEUljE_ZNSN_ISO_Lb1ESR_SS_SU_SV_SZ_EES10_S11_S12_S13_S17_S18_S19_S1C_S1D_jS1E_jS1F_S1F_jjS1H_bEUljE0_EEES10_S11_S12_S19_S1D_S1F_T6_T7_T9_mT8_S1H_bDpT10_ENKUlT_T0_E_clISt17integral_constantIbLb0EES1U_IbLb1EEEEDaS1Q_S1R_EUlS1Q_E_NS1_11comp_targetILNS1_3genE4ELNS1_11target_archE910ELNS1_3gpuE8ELNS1_3repE0EEENS1_30default_config_static_selectorELNS0_4arch9wavefront6targetE0EEEvS13_
	.p2align	8
	.type	_ZN7rocprim17ROCPRIM_400000_NS6detail17trampoline_kernelINS0_13select_configILj256ELj13ELNS0_17block_load_methodE3ELS4_3ELS4_3ELNS0_20block_scan_algorithmE0ELj4294967295EEENS1_25partition_config_selectorILNS1_17partition_subalgoE4EjNS0_10empty_typeEbEEZZNS1_14partition_implILS8_4ELb0ES6_15HIP_vector_typeIjLj2EENS0_17counting_iteratorIjlEEPS9_SG_NS0_5tupleIJPjSI_NS0_16reverse_iteratorISI_EEEEENSH_IJSG_SG_SG_EEES9_SI_JZNS1_25segmented_radix_sort_implINS0_14default_configELb1EPK12hip_bfloat16PSP_PKlPlN2at6native12_GLOBAL__N_18offset_tEEE10hipError_tPvRmT1_PNSt15iterator_traitsIS13_E10value_typeET2_T3_PNS14_IS19_E10value_typeET4_jRbjT5_S1F_jjP12ihipStream_tbEUljE_ZNSN_ISO_Lb1ESR_SS_SU_SV_SZ_EES10_S11_S12_S13_S17_S18_S19_S1C_S1D_jS1E_jS1F_S1F_jjS1H_bEUljE0_EEES10_S11_S12_S19_S1D_S1F_T6_T7_T9_mT8_S1H_bDpT10_ENKUlT_T0_E_clISt17integral_constantIbLb0EES1U_IbLb1EEEEDaS1Q_S1R_EUlS1Q_E_NS1_11comp_targetILNS1_3genE4ELNS1_11target_archE910ELNS1_3gpuE8ELNS1_3repE0EEENS1_30default_config_static_selectorELNS0_4arch9wavefront6targetE0EEEvS13_,@function
_ZN7rocprim17ROCPRIM_400000_NS6detail17trampoline_kernelINS0_13select_configILj256ELj13ELNS0_17block_load_methodE3ELS4_3ELS4_3ELNS0_20block_scan_algorithmE0ELj4294967295EEENS1_25partition_config_selectorILNS1_17partition_subalgoE4EjNS0_10empty_typeEbEEZZNS1_14partition_implILS8_4ELb0ES6_15HIP_vector_typeIjLj2EENS0_17counting_iteratorIjlEEPS9_SG_NS0_5tupleIJPjSI_NS0_16reverse_iteratorISI_EEEEENSH_IJSG_SG_SG_EEES9_SI_JZNS1_25segmented_radix_sort_implINS0_14default_configELb1EPK12hip_bfloat16PSP_PKlPlN2at6native12_GLOBAL__N_18offset_tEEE10hipError_tPvRmT1_PNSt15iterator_traitsIS13_E10value_typeET2_T3_PNS14_IS19_E10value_typeET4_jRbjT5_S1F_jjP12ihipStream_tbEUljE_ZNSN_ISO_Lb1ESR_SS_SU_SV_SZ_EES10_S11_S12_S13_S17_S18_S19_S1C_S1D_jS1E_jS1F_S1F_jjS1H_bEUljE0_EEES10_S11_S12_S19_S1D_S1F_T6_T7_T9_mT8_S1H_bDpT10_ENKUlT_T0_E_clISt17integral_constantIbLb0EES1U_IbLb1EEEEDaS1Q_S1R_EUlS1Q_E_NS1_11comp_targetILNS1_3genE4ELNS1_11target_archE910ELNS1_3gpuE8ELNS1_3repE0EEENS1_30default_config_static_selectorELNS0_4arch9wavefront6targetE0EEEvS13_: ; @_ZN7rocprim17ROCPRIM_400000_NS6detail17trampoline_kernelINS0_13select_configILj256ELj13ELNS0_17block_load_methodE3ELS4_3ELS4_3ELNS0_20block_scan_algorithmE0ELj4294967295EEENS1_25partition_config_selectorILNS1_17partition_subalgoE4EjNS0_10empty_typeEbEEZZNS1_14partition_implILS8_4ELb0ES6_15HIP_vector_typeIjLj2EENS0_17counting_iteratorIjlEEPS9_SG_NS0_5tupleIJPjSI_NS0_16reverse_iteratorISI_EEEEENSH_IJSG_SG_SG_EEES9_SI_JZNS1_25segmented_radix_sort_implINS0_14default_configELb1EPK12hip_bfloat16PSP_PKlPlN2at6native12_GLOBAL__N_18offset_tEEE10hipError_tPvRmT1_PNSt15iterator_traitsIS13_E10value_typeET2_T3_PNS14_IS19_E10value_typeET4_jRbjT5_S1F_jjP12ihipStream_tbEUljE_ZNSN_ISO_Lb1ESR_SS_SU_SV_SZ_EES10_S11_S12_S13_S17_S18_S19_S1C_S1D_jS1E_jS1F_S1F_jjS1H_bEUljE0_EEES10_S11_S12_S19_S1D_S1F_T6_T7_T9_mT8_S1H_bDpT10_ENKUlT_T0_E_clISt17integral_constantIbLb0EES1U_IbLb1EEEEDaS1Q_S1R_EUlS1Q_E_NS1_11comp_targetILNS1_3genE4ELNS1_11target_archE910ELNS1_3gpuE8ELNS1_3repE0EEENS1_30default_config_static_selectorELNS0_4arch9wavefront6targetE0EEEvS13_
; %bb.0:
	.section	.rodata,"a",@progbits
	.p2align	6, 0x0
	.amdhsa_kernel _ZN7rocprim17ROCPRIM_400000_NS6detail17trampoline_kernelINS0_13select_configILj256ELj13ELNS0_17block_load_methodE3ELS4_3ELS4_3ELNS0_20block_scan_algorithmE0ELj4294967295EEENS1_25partition_config_selectorILNS1_17partition_subalgoE4EjNS0_10empty_typeEbEEZZNS1_14partition_implILS8_4ELb0ES6_15HIP_vector_typeIjLj2EENS0_17counting_iteratorIjlEEPS9_SG_NS0_5tupleIJPjSI_NS0_16reverse_iteratorISI_EEEEENSH_IJSG_SG_SG_EEES9_SI_JZNS1_25segmented_radix_sort_implINS0_14default_configELb1EPK12hip_bfloat16PSP_PKlPlN2at6native12_GLOBAL__N_18offset_tEEE10hipError_tPvRmT1_PNSt15iterator_traitsIS13_E10value_typeET2_T3_PNS14_IS19_E10value_typeET4_jRbjT5_S1F_jjP12ihipStream_tbEUljE_ZNSN_ISO_Lb1ESR_SS_SU_SV_SZ_EES10_S11_S12_S13_S17_S18_S19_S1C_S1D_jS1E_jS1F_S1F_jjS1H_bEUljE0_EEES10_S11_S12_S19_S1D_S1F_T6_T7_T9_mT8_S1H_bDpT10_ENKUlT_T0_E_clISt17integral_constantIbLb0EES1U_IbLb1EEEEDaS1Q_S1R_EUlS1Q_E_NS1_11comp_targetILNS1_3genE4ELNS1_11target_archE910ELNS1_3gpuE8ELNS1_3repE0EEENS1_30default_config_static_selectorELNS0_4arch9wavefront6targetE0EEEvS13_
		.amdhsa_group_segment_fixed_size 0
		.amdhsa_private_segment_fixed_size 0
		.amdhsa_kernarg_size 184
		.amdhsa_user_sgpr_count 6
		.amdhsa_user_sgpr_private_segment_buffer 1
		.amdhsa_user_sgpr_dispatch_ptr 0
		.amdhsa_user_sgpr_queue_ptr 0
		.amdhsa_user_sgpr_kernarg_segment_ptr 1
		.amdhsa_user_sgpr_dispatch_id 0
		.amdhsa_user_sgpr_flat_scratch_init 0
		.amdhsa_user_sgpr_private_segment_size 0
		.amdhsa_wavefront_size32 1
		.amdhsa_uses_dynamic_stack 0
		.amdhsa_system_sgpr_private_segment_wavefront_offset 0
		.amdhsa_system_sgpr_workgroup_id_x 1
		.amdhsa_system_sgpr_workgroup_id_y 0
		.amdhsa_system_sgpr_workgroup_id_z 0
		.amdhsa_system_sgpr_workgroup_info 0
		.amdhsa_system_vgpr_workitem_id 0
		.amdhsa_next_free_vgpr 1
		.amdhsa_next_free_sgpr 1
		.amdhsa_reserve_vcc 0
		.amdhsa_reserve_flat_scratch 0
		.amdhsa_float_round_mode_32 0
		.amdhsa_float_round_mode_16_64 0
		.amdhsa_float_denorm_mode_32 3
		.amdhsa_float_denorm_mode_16_64 3
		.amdhsa_dx10_clamp 1
		.amdhsa_ieee_mode 1
		.amdhsa_fp16_overflow 0
		.amdhsa_workgroup_processor_mode 1
		.amdhsa_memory_ordered 1
		.amdhsa_forward_progress 1
		.amdhsa_shared_vgpr_count 0
		.amdhsa_exception_fp_ieee_invalid_op 0
		.amdhsa_exception_fp_denorm_src 0
		.amdhsa_exception_fp_ieee_div_zero 0
		.amdhsa_exception_fp_ieee_overflow 0
		.amdhsa_exception_fp_ieee_underflow 0
		.amdhsa_exception_fp_ieee_inexact 0
		.amdhsa_exception_int_div_zero 0
	.end_amdhsa_kernel
	.section	.text._ZN7rocprim17ROCPRIM_400000_NS6detail17trampoline_kernelINS0_13select_configILj256ELj13ELNS0_17block_load_methodE3ELS4_3ELS4_3ELNS0_20block_scan_algorithmE0ELj4294967295EEENS1_25partition_config_selectorILNS1_17partition_subalgoE4EjNS0_10empty_typeEbEEZZNS1_14partition_implILS8_4ELb0ES6_15HIP_vector_typeIjLj2EENS0_17counting_iteratorIjlEEPS9_SG_NS0_5tupleIJPjSI_NS0_16reverse_iteratorISI_EEEEENSH_IJSG_SG_SG_EEES9_SI_JZNS1_25segmented_radix_sort_implINS0_14default_configELb1EPK12hip_bfloat16PSP_PKlPlN2at6native12_GLOBAL__N_18offset_tEEE10hipError_tPvRmT1_PNSt15iterator_traitsIS13_E10value_typeET2_T3_PNS14_IS19_E10value_typeET4_jRbjT5_S1F_jjP12ihipStream_tbEUljE_ZNSN_ISO_Lb1ESR_SS_SU_SV_SZ_EES10_S11_S12_S13_S17_S18_S19_S1C_S1D_jS1E_jS1F_S1F_jjS1H_bEUljE0_EEES10_S11_S12_S19_S1D_S1F_T6_T7_T9_mT8_S1H_bDpT10_ENKUlT_T0_E_clISt17integral_constantIbLb0EES1U_IbLb1EEEEDaS1Q_S1R_EUlS1Q_E_NS1_11comp_targetILNS1_3genE4ELNS1_11target_archE910ELNS1_3gpuE8ELNS1_3repE0EEENS1_30default_config_static_selectorELNS0_4arch9wavefront6targetE0EEEvS13_,"axG",@progbits,_ZN7rocprim17ROCPRIM_400000_NS6detail17trampoline_kernelINS0_13select_configILj256ELj13ELNS0_17block_load_methodE3ELS4_3ELS4_3ELNS0_20block_scan_algorithmE0ELj4294967295EEENS1_25partition_config_selectorILNS1_17partition_subalgoE4EjNS0_10empty_typeEbEEZZNS1_14partition_implILS8_4ELb0ES6_15HIP_vector_typeIjLj2EENS0_17counting_iteratorIjlEEPS9_SG_NS0_5tupleIJPjSI_NS0_16reverse_iteratorISI_EEEEENSH_IJSG_SG_SG_EEES9_SI_JZNS1_25segmented_radix_sort_implINS0_14default_configELb1EPK12hip_bfloat16PSP_PKlPlN2at6native12_GLOBAL__N_18offset_tEEE10hipError_tPvRmT1_PNSt15iterator_traitsIS13_E10value_typeET2_T3_PNS14_IS19_E10value_typeET4_jRbjT5_S1F_jjP12ihipStream_tbEUljE_ZNSN_ISO_Lb1ESR_SS_SU_SV_SZ_EES10_S11_S12_S13_S17_S18_S19_S1C_S1D_jS1E_jS1F_S1F_jjS1H_bEUljE0_EEES10_S11_S12_S19_S1D_S1F_T6_T7_T9_mT8_S1H_bDpT10_ENKUlT_T0_E_clISt17integral_constantIbLb0EES1U_IbLb1EEEEDaS1Q_S1R_EUlS1Q_E_NS1_11comp_targetILNS1_3genE4ELNS1_11target_archE910ELNS1_3gpuE8ELNS1_3repE0EEENS1_30default_config_static_selectorELNS0_4arch9wavefront6targetE0EEEvS13_,comdat
.Lfunc_end1898:
	.size	_ZN7rocprim17ROCPRIM_400000_NS6detail17trampoline_kernelINS0_13select_configILj256ELj13ELNS0_17block_load_methodE3ELS4_3ELS4_3ELNS0_20block_scan_algorithmE0ELj4294967295EEENS1_25partition_config_selectorILNS1_17partition_subalgoE4EjNS0_10empty_typeEbEEZZNS1_14partition_implILS8_4ELb0ES6_15HIP_vector_typeIjLj2EENS0_17counting_iteratorIjlEEPS9_SG_NS0_5tupleIJPjSI_NS0_16reverse_iteratorISI_EEEEENSH_IJSG_SG_SG_EEES9_SI_JZNS1_25segmented_radix_sort_implINS0_14default_configELb1EPK12hip_bfloat16PSP_PKlPlN2at6native12_GLOBAL__N_18offset_tEEE10hipError_tPvRmT1_PNSt15iterator_traitsIS13_E10value_typeET2_T3_PNS14_IS19_E10value_typeET4_jRbjT5_S1F_jjP12ihipStream_tbEUljE_ZNSN_ISO_Lb1ESR_SS_SU_SV_SZ_EES10_S11_S12_S13_S17_S18_S19_S1C_S1D_jS1E_jS1F_S1F_jjS1H_bEUljE0_EEES10_S11_S12_S19_S1D_S1F_T6_T7_T9_mT8_S1H_bDpT10_ENKUlT_T0_E_clISt17integral_constantIbLb0EES1U_IbLb1EEEEDaS1Q_S1R_EUlS1Q_E_NS1_11comp_targetILNS1_3genE4ELNS1_11target_archE910ELNS1_3gpuE8ELNS1_3repE0EEENS1_30default_config_static_selectorELNS0_4arch9wavefront6targetE0EEEvS13_, .Lfunc_end1898-_ZN7rocprim17ROCPRIM_400000_NS6detail17trampoline_kernelINS0_13select_configILj256ELj13ELNS0_17block_load_methodE3ELS4_3ELS4_3ELNS0_20block_scan_algorithmE0ELj4294967295EEENS1_25partition_config_selectorILNS1_17partition_subalgoE4EjNS0_10empty_typeEbEEZZNS1_14partition_implILS8_4ELb0ES6_15HIP_vector_typeIjLj2EENS0_17counting_iteratorIjlEEPS9_SG_NS0_5tupleIJPjSI_NS0_16reverse_iteratorISI_EEEEENSH_IJSG_SG_SG_EEES9_SI_JZNS1_25segmented_radix_sort_implINS0_14default_configELb1EPK12hip_bfloat16PSP_PKlPlN2at6native12_GLOBAL__N_18offset_tEEE10hipError_tPvRmT1_PNSt15iterator_traitsIS13_E10value_typeET2_T3_PNS14_IS19_E10value_typeET4_jRbjT5_S1F_jjP12ihipStream_tbEUljE_ZNSN_ISO_Lb1ESR_SS_SU_SV_SZ_EES10_S11_S12_S13_S17_S18_S19_S1C_S1D_jS1E_jS1F_S1F_jjS1H_bEUljE0_EEES10_S11_S12_S19_S1D_S1F_T6_T7_T9_mT8_S1H_bDpT10_ENKUlT_T0_E_clISt17integral_constantIbLb0EES1U_IbLb1EEEEDaS1Q_S1R_EUlS1Q_E_NS1_11comp_targetILNS1_3genE4ELNS1_11target_archE910ELNS1_3gpuE8ELNS1_3repE0EEENS1_30default_config_static_selectorELNS0_4arch9wavefront6targetE0EEEvS13_
                                        ; -- End function
	.set _ZN7rocprim17ROCPRIM_400000_NS6detail17trampoline_kernelINS0_13select_configILj256ELj13ELNS0_17block_load_methodE3ELS4_3ELS4_3ELNS0_20block_scan_algorithmE0ELj4294967295EEENS1_25partition_config_selectorILNS1_17partition_subalgoE4EjNS0_10empty_typeEbEEZZNS1_14partition_implILS8_4ELb0ES6_15HIP_vector_typeIjLj2EENS0_17counting_iteratorIjlEEPS9_SG_NS0_5tupleIJPjSI_NS0_16reverse_iteratorISI_EEEEENSH_IJSG_SG_SG_EEES9_SI_JZNS1_25segmented_radix_sort_implINS0_14default_configELb1EPK12hip_bfloat16PSP_PKlPlN2at6native12_GLOBAL__N_18offset_tEEE10hipError_tPvRmT1_PNSt15iterator_traitsIS13_E10value_typeET2_T3_PNS14_IS19_E10value_typeET4_jRbjT5_S1F_jjP12ihipStream_tbEUljE_ZNSN_ISO_Lb1ESR_SS_SU_SV_SZ_EES10_S11_S12_S13_S17_S18_S19_S1C_S1D_jS1E_jS1F_S1F_jjS1H_bEUljE0_EEES10_S11_S12_S19_S1D_S1F_T6_T7_T9_mT8_S1H_bDpT10_ENKUlT_T0_E_clISt17integral_constantIbLb0EES1U_IbLb1EEEEDaS1Q_S1R_EUlS1Q_E_NS1_11comp_targetILNS1_3genE4ELNS1_11target_archE910ELNS1_3gpuE8ELNS1_3repE0EEENS1_30default_config_static_selectorELNS0_4arch9wavefront6targetE0EEEvS13_.num_vgpr, 0
	.set _ZN7rocprim17ROCPRIM_400000_NS6detail17trampoline_kernelINS0_13select_configILj256ELj13ELNS0_17block_load_methodE3ELS4_3ELS4_3ELNS0_20block_scan_algorithmE0ELj4294967295EEENS1_25partition_config_selectorILNS1_17partition_subalgoE4EjNS0_10empty_typeEbEEZZNS1_14partition_implILS8_4ELb0ES6_15HIP_vector_typeIjLj2EENS0_17counting_iteratorIjlEEPS9_SG_NS0_5tupleIJPjSI_NS0_16reverse_iteratorISI_EEEEENSH_IJSG_SG_SG_EEES9_SI_JZNS1_25segmented_radix_sort_implINS0_14default_configELb1EPK12hip_bfloat16PSP_PKlPlN2at6native12_GLOBAL__N_18offset_tEEE10hipError_tPvRmT1_PNSt15iterator_traitsIS13_E10value_typeET2_T3_PNS14_IS19_E10value_typeET4_jRbjT5_S1F_jjP12ihipStream_tbEUljE_ZNSN_ISO_Lb1ESR_SS_SU_SV_SZ_EES10_S11_S12_S13_S17_S18_S19_S1C_S1D_jS1E_jS1F_S1F_jjS1H_bEUljE0_EEES10_S11_S12_S19_S1D_S1F_T6_T7_T9_mT8_S1H_bDpT10_ENKUlT_T0_E_clISt17integral_constantIbLb0EES1U_IbLb1EEEEDaS1Q_S1R_EUlS1Q_E_NS1_11comp_targetILNS1_3genE4ELNS1_11target_archE910ELNS1_3gpuE8ELNS1_3repE0EEENS1_30default_config_static_selectorELNS0_4arch9wavefront6targetE0EEEvS13_.num_agpr, 0
	.set _ZN7rocprim17ROCPRIM_400000_NS6detail17trampoline_kernelINS0_13select_configILj256ELj13ELNS0_17block_load_methodE3ELS4_3ELS4_3ELNS0_20block_scan_algorithmE0ELj4294967295EEENS1_25partition_config_selectorILNS1_17partition_subalgoE4EjNS0_10empty_typeEbEEZZNS1_14partition_implILS8_4ELb0ES6_15HIP_vector_typeIjLj2EENS0_17counting_iteratorIjlEEPS9_SG_NS0_5tupleIJPjSI_NS0_16reverse_iteratorISI_EEEEENSH_IJSG_SG_SG_EEES9_SI_JZNS1_25segmented_radix_sort_implINS0_14default_configELb1EPK12hip_bfloat16PSP_PKlPlN2at6native12_GLOBAL__N_18offset_tEEE10hipError_tPvRmT1_PNSt15iterator_traitsIS13_E10value_typeET2_T3_PNS14_IS19_E10value_typeET4_jRbjT5_S1F_jjP12ihipStream_tbEUljE_ZNSN_ISO_Lb1ESR_SS_SU_SV_SZ_EES10_S11_S12_S13_S17_S18_S19_S1C_S1D_jS1E_jS1F_S1F_jjS1H_bEUljE0_EEES10_S11_S12_S19_S1D_S1F_T6_T7_T9_mT8_S1H_bDpT10_ENKUlT_T0_E_clISt17integral_constantIbLb0EES1U_IbLb1EEEEDaS1Q_S1R_EUlS1Q_E_NS1_11comp_targetILNS1_3genE4ELNS1_11target_archE910ELNS1_3gpuE8ELNS1_3repE0EEENS1_30default_config_static_selectorELNS0_4arch9wavefront6targetE0EEEvS13_.numbered_sgpr, 0
	.set _ZN7rocprim17ROCPRIM_400000_NS6detail17trampoline_kernelINS0_13select_configILj256ELj13ELNS0_17block_load_methodE3ELS4_3ELS4_3ELNS0_20block_scan_algorithmE0ELj4294967295EEENS1_25partition_config_selectorILNS1_17partition_subalgoE4EjNS0_10empty_typeEbEEZZNS1_14partition_implILS8_4ELb0ES6_15HIP_vector_typeIjLj2EENS0_17counting_iteratorIjlEEPS9_SG_NS0_5tupleIJPjSI_NS0_16reverse_iteratorISI_EEEEENSH_IJSG_SG_SG_EEES9_SI_JZNS1_25segmented_radix_sort_implINS0_14default_configELb1EPK12hip_bfloat16PSP_PKlPlN2at6native12_GLOBAL__N_18offset_tEEE10hipError_tPvRmT1_PNSt15iterator_traitsIS13_E10value_typeET2_T3_PNS14_IS19_E10value_typeET4_jRbjT5_S1F_jjP12ihipStream_tbEUljE_ZNSN_ISO_Lb1ESR_SS_SU_SV_SZ_EES10_S11_S12_S13_S17_S18_S19_S1C_S1D_jS1E_jS1F_S1F_jjS1H_bEUljE0_EEES10_S11_S12_S19_S1D_S1F_T6_T7_T9_mT8_S1H_bDpT10_ENKUlT_T0_E_clISt17integral_constantIbLb0EES1U_IbLb1EEEEDaS1Q_S1R_EUlS1Q_E_NS1_11comp_targetILNS1_3genE4ELNS1_11target_archE910ELNS1_3gpuE8ELNS1_3repE0EEENS1_30default_config_static_selectorELNS0_4arch9wavefront6targetE0EEEvS13_.num_named_barrier, 0
	.set _ZN7rocprim17ROCPRIM_400000_NS6detail17trampoline_kernelINS0_13select_configILj256ELj13ELNS0_17block_load_methodE3ELS4_3ELS4_3ELNS0_20block_scan_algorithmE0ELj4294967295EEENS1_25partition_config_selectorILNS1_17partition_subalgoE4EjNS0_10empty_typeEbEEZZNS1_14partition_implILS8_4ELb0ES6_15HIP_vector_typeIjLj2EENS0_17counting_iteratorIjlEEPS9_SG_NS0_5tupleIJPjSI_NS0_16reverse_iteratorISI_EEEEENSH_IJSG_SG_SG_EEES9_SI_JZNS1_25segmented_radix_sort_implINS0_14default_configELb1EPK12hip_bfloat16PSP_PKlPlN2at6native12_GLOBAL__N_18offset_tEEE10hipError_tPvRmT1_PNSt15iterator_traitsIS13_E10value_typeET2_T3_PNS14_IS19_E10value_typeET4_jRbjT5_S1F_jjP12ihipStream_tbEUljE_ZNSN_ISO_Lb1ESR_SS_SU_SV_SZ_EES10_S11_S12_S13_S17_S18_S19_S1C_S1D_jS1E_jS1F_S1F_jjS1H_bEUljE0_EEES10_S11_S12_S19_S1D_S1F_T6_T7_T9_mT8_S1H_bDpT10_ENKUlT_T0_E_clISt17integral_constantIbLb0EES1U_IbLb1EEEEDaS1Q_S1R_EUlS1Q_E_NS1_11comp_targetILNS1_3genE4ELNS1_11target_archE910ELNS1_3gpuE8ELNS1_3repE0EEENS1_30default_config_static_selectorELNS0_4arch9wavefront6targetE0EEEvS13_.private_seg_size, 0
	.set _ZN7rocprim17ROCPRIM_400000_NS6detail17trampoline_kernelINS0_13select_configILj256ELj13ELNS0_17block_load_methodE3ELS4_3ELS4_3ELNS0_20block_scan_algorithmE0ELj4294967295EEENS1_25partition_config_selectorILNS1_17partition_subalgoE4EjNS0_10empty_typeEbEEZZNS1_14partition_implILS8_4ELb0ES6_15HIP_vector_typeIjLj2EENS0_17counting_iteratorIjlEEPS9_SG_NS0_5tupleIJPjSI_NS0_16reverse_iteratorISI_EEEEENSH_IJSG_SG_SG_EEES9_SI_JZNS1_25segmented_radix_sort_implINS0_14default_configELb1EPK12hip_bfloat16PSP_PKlPlN2at6native12_GLOBAL__N_18offset_tEEE10hipError_tPvRmT1_PNSt15iterator_traitsIS13_E10value_typeET2_T3_PNS14_IS19_E10value_typeET4_jRbjT5_S1F_jjP12ihipStream_tbEUljE_ZNSN_ISO_Lb1ESR_SS_SU_SV_SZ_EES10_S11_S12_S13_S17_S18_S19_S1C_S1D_jS1E_jS1F_S1F_jjS1H_bEUljE0_EEES10_S11_S12_S19_S1D_S1F_T6_T7_T9_mT8_S1H_bDpT10_ENKUlT_T0_E_clISt17integral_constantIbLb0EES1U_IbLb1EEEEDaS1Q_S1R_EUlS1Q_E_NS1_11comp_targetILNS1_3genE4ELNS1_11target_archE910ELNS1_3gpuE8ELNS1_3repE0EEENS1_30default_config_static_selectorELNS0_4arch9wavefront6targetE0EEEvS13_.uses_vcc, 0
	.set _ZN7rocprim17ROCPRIM_400000_NS6detail17trampoline_kernelINS0_13select_configILj256ELj13ELNS0_17block_load_methodE3ELS4_3ELS4_3ELNS0_20block_scan_algorithmE0ELj4294967295EEENS1_25partition_config_selectorILNS1_17partition_subalgoE4EjNS0_10empty_typeEbEEZZNS1_14partition_implILS8_4ELb0ES6_15HIP_vector_typeIjLj2EENS0_17counting_iteratorIjlEEPS9_SG_NS0_5tupleIJPjSI_NS0_16reverse_iteratorISI_EEEEENSH_IJSG_SG_SG_EEES9_SI_JZNS1_25segmented_radix_sort_implINS0_14default_configELb1EPK12hip_bfloat16PSP_PKlPlN2at6native12_GLOBAL__N_18offset_tEEE10hipError_tPvRmT1_PNSt15iterator_traitsIS13_E10value_typeET2_T3_PNS14_IS19_E10value_typeET4_jRbjT5_S1F_jjP12ihipStream_tbEUljE_ZNSN_ISO_Lb1ESR_SS_SU_SV_SZ_EES10_S11_S12_S13_S17_S18_S19_S1C_S1D_jS1E_jS1F_S1F_jjS1H_bEUljE0_EEES10_S11_S12_S19_S1D_S1F_T6_T7_T9_mT8_S1H_bDpT10_ENKUlT_T0_E_clISt17integral_constantIbLb0EES1U_IbLb1EEEEDaS1Q_S1R_EUlS1Q_E_NS1_11comp_targetILNS1_3genE4ELNS1_11target_archE910ELNS1_3gpuE8ELNS1_3repE0EEENS1_30default_config_static_selectorELNS0_4arch9wavefront6targetE0EEEvS13_.uses_flat_scratch, 0
	.set _ZN7rocprim17ROCPRIM_400000_NS6detail17trampoline_kernelINS0_13select_configILj256ELj13ELNS0_17block_load_methodE3ELS4_3ELS4_3ELNS0_20block_scan_algorithmE0ELj4294967295EEENS1_25partition_config_selectorILNS1_17partition_subalgoE4EjNS0_10empty_typeEbEEZZNS1_14partition_implILS8_4ELb0ES6_15HIP_vector_typeIjLj2EENS0_17counting_iteratorIjlEEPS9_SG_NS0_5tupleIJPjSI_NS0_16reverse_iteratorISI_EEEEENSH_IJSG_SG_SG_EEES9_SI_JZNS1_25segmented_radix_sort_implINS0_14default_configELb1EPK12hip_bfloat16PSP_PKlPlN2at6native12_GLOBAL__N_18offset_tEEE10hipError_tPvRmT1_PNSt15iterator_traitsIS13_E10value_typeET2_T3_PNS14_IS19_E10value_typeET4_jRbjT5_S1F_jjP12ihipStream_tbEUljE_ZNSN_ISO_Lb1ESR_SS_SU_SV_SZ_EES10_S11_S12_S13_S17_S18_S19_S1C_S1D_jS1E_jS1F_S1F_jjS1H_bEUljE0_EEES10_S11_S12_S19_S1D_S1F_T6_T7_T9_mT8_S1H_bDpT10_ENKUlT_T0_E_clISt17integral_constantIbLb0EES1U_IbLb1EEEEDaS1Q_S1R_EUlS1Q_E_NS1_11comp_targetILNS1_3genE4ELNS1_11target_archE910ELNS1_3gpuE8ELNS1_3repE0EEENS1_30default_config_static_selectorELNS0_4arch9wavefront6targetE0EEEvS13_.has_dyn_sized_stack, 0
	.set _ZN7rocprim17ROCPRIM_400000_NS6detail17trampoline_kernelINS0_13select_configILj256ELj13ELNS0_17block_load_methodE3ELS4_3ELS4_3ELNS0_20block_scan_algorithmE0ELj4294967295EEENS1_25partition_config_selectorILNS1_17partition_subalgoE4EjNS0_10empty_typeEbEEZZNS1_14partition_implILS8_4ELb0ES6_15HIP_vector_typeIjLj2EENS0_17counting_iteratorIjlEEPS9_SG_NS0_5tupleIJPjSI_NS0_16reverse_iteratorISI_EEEEENSH_IJSG_SG_SG_EEES9_SI_JZNS1_25segmented_radix_sort_implINS0_14default_configELb1EPK12hip_bfloat16PSP_PKlPlN2at6native12_GLOBAL__N_18offset_tEEE10hipError_tPvRmT1_PNSt15iterator_traitsIS13_E10value_typeET2_T3_PNS14_IS19_E10value_typeET4_jRbjT5_S1F_jjP12ihipStream_tbEUljE_ZNSN_ISO_Lb1ESR_SS_SU_SV_SZ_EES10_S11_S12_S13_S17_S18_S19_S1C_S1D_jS1E_jS1F_S1F_jjS1H_bEUljE0_EEES10_S11_S12_S19_S1D_S1F_T6_T7_T9_mT8_S1H_bDpT10_ENKUlT_T0_E_clISt17integral_constantIbLb0EES1U_IbLb1EEEEDaS1Q_S1R_EUlS1Q_E_NS1_11comp_targetILNS1_3genE4ELNS1_11target_archE910ELNS1_3gpuE8ELNS1_3repE0EEENS1_30default_config_static_selectorELNS0_4arch9wavefront6targetE0EEEvS13_.has_recursion, 0
	.set _ZN7rocprim17ROCPRIM_400000_NS6detail17trampoline_kernelINS0_13select_configILj256ELj13ELNS0_17block_load_methodE3ELS4_3ELS4_3ELNS0_20block_scan_algorithmE0ELj4294967295EEENS1_25partition_config_selectorILNS1_17partition_subalgoE4EjNS0_10empty_typeEbEEZZNS1_14partition_implILS8_4ELb0ES6_15HIP_vector_typeIjLj2EENS0_17counting_iteratorIjlEEPS9_SG_NS0_5tupleIJPjSI_NS0_16reverse_iteratorISI_EEEEENSH_IJSG_SG_SG_EEES9_SI_JZNS1_25segmented_radix_sort_implINS0_14default_configELb1EPK12hip_bfloat16PSP_PKlPlN2at6native12_GLOBAL__N_18offset_tEEE10hipError_tPvRmT1_PNSt15iterator_traitsIS13_E10value_typeET2_T3_PNS14_IS19_E10value_typeET4_jRbjT5_S1F_jjP12ihipStream_tbEUljE_ZNSN_ISO_Lb1ESR_SS_SU_SV_SZ_EES10_S11_S12_S13_S17_S18_S19_S1C_S1D_jS1E_jS1F_S1F_jjS1H_bEUljE0_EEES10_S11_S12_S19_S1D_S1F_T6_T7_T9_mT8_S1H_bDpT10_ENKUlT_T0_E_clISt17integral_constantIbLb0EES1U_IbLb1EEEEDaS1Q_S1R_EUlS1Q_E_NS1_11comp_targetILNS1_3genE4ELNS1_11target_archE910ELNS1_3gpuE8ELNS1_3repE0EEENS1_30default_config_static_selectorELNS0_4arch9wavefront6targetE0EEEvS13_.has_indirect_call, 0
	.section	.AMDGPU.csdata,"",@progbits
; Kernel info:
; codeLenInByte = 0
; TotalNumSgprs: 0
; NumVgprs: 0
; ScratchSize: 0
; MemoryBound: 0
; FloatMode: 240
; IeeeMode: 1
; LDSByteSize: 0 bytes/workgroup (compile time only)
; SGPRBlocks: 0
; VGPRBlocks: 0
; NumSGPRsForWavesPerEU: 1
; NumVGPRsForWavesPerEU: 1
; Occupancy: 16
; WaveLimiterHint : 0
; COMPUTE_PGM_RSRC2:SCRATCH_EN: 0
; COMPUTE_PGM_RSRC2:USER_SGPR: 6
; COMPUTE_PGM_RSRC2:TRAP_HANDLER: 0
; COMPUTE_PGM_RSRC2:TGID_X_EN: 1
; COMPUTE_PGM_RSRC2:TGID_Y_EN: 0
; COMPUTE_PGM_RSRC2:TGID_Z_EN: 0
; COMPUTE_PGM_RSRC2:TIDIG_COMP_CNT: 0
	.section	.text._ZN7rocprim17ROCPRIM_400000_NS6detail17trampoline_kernelINS0_13select_configILj256ELj13ELNS0_17block_load_methodE3ELS4_3ELS4_3ELNS0_20block_scan_algorithmE0ELj4294967295EEENS1_25partition_config_selectorILNS1_17partition_subalgoE4EjNS0_10empty_typeEbEEZZNS1_14partition_implILS8_4ELb0ES6_15HIP_vector_typeIjLj2EENS0_17counting_iteratorIjlEEPS9_SG_NS0_5tupleIJPjSI_NS0_16reverse_iteratorISI_EEEEENSH_IJSG_SG_SG_EEES9_SI_JZNS1_25segmented_radix_sort_implINS0_14default_configELb1EPK12hip_bfloat16PSP_PKlPlN2at6native12_GLOBAL__N_18offset_tEEE10hipError_tPvRmT1_PNSt15iterator_traitsIS13_E10value_typeET2_T3_PNS14_IS19_E10value_typeET4_jRbjT5_S1F_jjP12ihipStream_tbEUljE_ZNSN_ISO_Lb1ESR_SS_SU_SV_SZ_EES10_S11_S12_S13_S17_S18_S19_S1C_S1D_jS1E_jS1F_S1F_jjS1H_bEUljE0_EEES10_S11_S12_S19_S1D_S1F_T6_T7_T9_mT8_S1H_bDpT10_ENKUlT_T0_E_clISt17integral_constantIbLb0EES1U_IbLb1EEEEDaS1Q_S1R_EUlS1Q_E_NS1_11comp_targetILNS1_3genE3ELNS1_11target_archE908ELNS1_3gpuE7ELNS1_3repE0EEENS1_30default_config_static_selectorELNS0_4arch9wavefront6targetE0EEEvS13_,"axG",@progbits,_ZN7rocprim17ROCPRIM_400000_NS6detail17trampoline_kernelINS0_13select_configILj256ELj13ELNS0_17block_load_methodE3ELS4_3ELS4_3ELNS0_20block_scan_algorithmE0ELj4294967295EEENS1_25partition_config_selectorILNS1_17partition_subalgoE4EjNS0_10empty_typeEbEEZZNS1_14partition_implILS8_4ELb0ES6_15HIP_vector_typeIjLj2EENS0_17counting_iteratorIjlEEPS9_SG_NS0_5tupleIJPjSI_NS0_16reverse_iteratorISI_EEEEENSH_IJSG_SG_SG_EEES9_SI_JZNS1_25segmented_radix_sort_implINS0_14default_configELb1EPK12hip_bfloat16PSP_PKlPlN2at6native12_GLOBAL__N_18offset_tEEE10hipError_tPvRmT1_PNSt15iterator_traitsIS13_E10value_typeET2_T3_PNS14_IS19_E10value_typeET4_jRbjT5_S1F_jjP12ihipStream_tbEUljE_ZNSN_ISO_Lb1ESR_SS_SU_SV_SZ_EES10_S11_S12_S13_S17_S18_S19_S1C_S1D_jS1E_jS1F_S1F_jjS1H_bEUljE0_EEES10_S11_S12_S19_S1D_S1F_T6_T7_T9_mT8_S1H_bDpT10_ENKUlT_T0_E_clISt17integral_constantIbLb0EES1U_IbLb1EEEEDaS1Q_S1R_EUlS1Q_E_NS1_11comp_targetILNS1_3genE3ELNS1_11target_archE908ELNS1_3gpuE7ELNS1_3repE0EEENS1_30default_config_static_selectorELNS0_4arch9wavefront6targetE0EEEvS13_,comdat
	.globl	_ZN7rocprim17ROCPRIM_400000_NS6detail17trampoline_kernelINS0_13select_configILj256ELj13ELNS0_17block_load_methodE3ELS4_3ELS4_3ELNS0_20block_scan_algorithmE0ELj4294967295EEENS1_25partition_config_selectorILNS1_17partition_subalgoE4EjNS0_10empty_typeEbEEZZNS1_14partition_implILS8_4ELb0ES6_15HIP_vector_typeIjLj2EENS0_17counting_iteratorIjlEEPS9_SG_NS0_5tupleIJPjSI_NS0_16reverse_iteratorISI_EEEEENSH_IJSG_SG_SG_EEES9_SI_JZNS1_25segmented_radix_sort_implINS0_14default_configELb1EPK12hip_bfloat16PSP_PKlPlN2at6native12_GLOBAL__N_18offset_tEEE10hipError_tPvRmT1_PNSt15iterator_traitsIS13_E10value_typeET2_T3_PNS14_IS19_E10value_typeET4_jRbjT5_S1F_jjP12ihipStream_tbEUljE_ZNSN_ISO_Lb1ESR_SS_SU_SV_SZ_EES10_S11_S12_S13_S17_S18_S19_S1C_S1D_jS1E_jS1F_S1F_jjS1H_bEUljE0_EEES10_S11_S12_S19_S1D_S1F_T6_T7_T9_mT8_S1H_bDpT10_ENKUlT_T0_E_clISt17integral_constantIbLb0EES1U_IbLb1EEEEDaS1Q_S1R_EUlS1Q_E_NS1_11comp_targetILNS1_3genE3ELNS1_11target_archE908ELNS1_3gpuE7ELNS1_3repE0EEENS1_30default_config_static_selectorELNS0_4arch9wavefront6targetE0EEEvS13_ ; -- Begin function _ZN7rocprim17ROCPRIM_400000_NS6detail17trampoline_kernelINS0_13select_configILj256ELj13ELNS0_17block_load_methodE3ELS4_3ELS4_3ELNS0_20block_scan_algorithmE0ELj4294967295EEENS1_25partition_config_selectorILNS1_17partition_subalgoE4EjNS0_10empty_typeEbEEZZNS1_14partition_implILS8_4ELb0ES6_15HIP_vector_typeIjLj2EENS0_17counting_iteratorIjlEEPS9_SG_NS0_5tupleIJPjSI_NS0_16reverse_iteratorISI_EEEEENSH_IJSG_SG_SG_EEES9_SI_JZNS1_25segmented_radix_sort_implINS0_14default_configELb1EPK12hip_bfloat16PSP_PKlPlN2at6native12_GLOBAL__N_18offset_tEEE10hipError_tPvRmT1_PNSt15iterator_traitsIS13_E10value_typeET2_T3_PNS14_IS19_E10value_typeET4_jRbjT5_S1F_jjP12ihipStream_tbEUljE_ZNSN_ISO_Lb1ESR_SS_SU_SV_SZ_EES10_S11_S12_S13_S17_S18_S19_S1C_S1D_jS1E_jS1F_S1F_jjS1H_bEUljE0_EEES10_S11_S12_S19_S1D_S1F_T6_T7_T9_mT8_S1H_bDpT10_ENKUlT_T0_E_clISt17integral_constantIbLb0EES1U_IbLb1EEEEDaS1Q_S1R_EUlS1Q_E_NS1_11comp_targetILNS1_3genE3ELNS1_11target_archE908ELNS1_3gpuE7ELNS1_3repE0EEENS1_30default_config_static_selectorELNS0_4arch9wavefront6targetE0EEEvS13_
	.p2align	8
	.type	_ZN7rocprim17ROCPRIM_400000_NS6detail17trampoline_kernelINS0_13select_configILj256ELj13ELNS0_17block_load_methodE3ELS4_3ELS4_3ELNS0_20block_scan_algorithmE0ELj4294967295EEENS1_25partition_config_selectorILNS1_17partition_subalgoE4EjNS0_10empty_typeEbEEZZNS1_14partition_implILS8_4ELb0ES6_15HIP_vector_typeIjLj2EENS0_17counting_iteratorIjlEEPS9_SG_NS0_5tupleIJPjSI_NS0_16reverse_iteratorISI_EEEEENSH_IJSG_SG_SG_EEES9_SI_JZNS1_25segmented_radix_sort_implINS0_14default_configELb1EPK12hip_bfloat16PSP_PKlPlN2at6native12_GLOBAL__N_18offset_tEEE10hipError_tPvRmT1_PNSt15iterator_traitsIS13_E10value_typeET2_T3_PNS14_IS19_E10value_typeET4_jRbjT5_S1F_jjP12ihipStream_tbEUljE_ZNSN_ISO_Lb1ESR_SS_SU_SV_SZ_EES10_S11_S12_S13_S17_S18_S19_S1C_S1D_jS1E_jS1F_S1F_jjS1H_bEUljE0_EEES10_S11_S12_S19_S1D_S1F_T6_T7_T9_mT8_S1H_bDpT10_ENKUlT_T0_E_clISt17integral_constantIbLb0EES1U_IbLb1EEEEDaS1Q_S1R_EUlS1Q_E_NS1_11comp_targetILNS1_3genE3ELNS1_11target_archE908ELNS1_3gpuE7ELNS1_3repE0EEENS1_30default_config_static_selectorELNS0_4arch9wavefront6targetE0EEEvS13_,@function
_ZN7rocprim17ROCPRIM_400000_NS6detail17trampoline_kernelINS0_13select_configILj256ELj13ELNS0_17block_load_methodE3ELS4_3ELS4_3ELNS0_20block_scan_algorithmE0ELj4294967295EEENS1_25partition_config_selectorILNS1_17partition_subalgoE4EjNS0_10empty_typeEbEEZZNS1_14partition_implILS8_4ELb0ES6_15HIP_vector_typeIjLj2EENS0_17counting_iteratorIjlEEPS9_SG_NS0_5tupleIJPjSI_NS0_16reverse_iteratorISI_EEEEENSH_IJSG_SG_SG_EEES9_SI_JZNS1_25segmented_radix_sort_implINS0_14default_configELb1EPK12hip_bfloat16PSP_PKlPlN2at6native12_GLOBAL__N_18offset_tEEE10hipError_tPvRmT1_PNSt15iterator_traitsIS13_E10value_typeET2_T3_PNS14_IS19_E10value_typeET4_jRbjT5_S1F_jjP12ihipStream_tbEUljE_ZNSN_ISO_Lb1ESR_SS_SU_SV_SZ_EES10_S11_S12_S13_S17_S18_S19_S1C_S1D_jS1E_jS1F_S1F_jjS1H_bEUljE0_EEES10_S11_S12_S19_S1D_S1F_T6_T7_T9_mT8_S1H_bDpT10_ENKUlT_T0_E_clISt17integral_constantIbLb0EES1U_IbLb1EEEEDaS1Q_S1R_EUlS1Q_E_NS1_11comp_targetILNS1_3genE3ELNS1_11target_archE908ELNS1_3gpuE7ELNS1_3repE0EEENS1_30default_config_static_selectorELNS0_4arch9wavefront6targetE0EEEvS13_: ; @_ZN7rocprim17ROCPRIM_400000_NS6detail17trampoline_kernelINS0_13select_configILj256ELj13ELNS0_17block_load_methodE3ELS4_3ELS4_3ELNS0_20block_scan_algorithmE0ELj4294967295EEENS1_25partition_config_selectorILNS1_17partition_subalgoE4EjNS0_10empty_typeEbEEZZNS1_14partition_implILS8_4ELb0ES6_15HIP_vector_typeIjLj2EENS0_17counting_iteratorIjlEEPS9_SG_NS0_5tupleIJPjSI_NS0_16reverse_iteratorISI_EEEEENSH_IJSG_SG_SG_EEES9_SI_JZNS1_25segmented_radix_sort_implINS0_14default_configELb1EPK12hip_bfloat16PSP_PKlPlN2at6native12_GLOBAL__N_18offset_tEEE10hipError_tPvRmT1_PNSt15iterator_traitsIS13_E10value_typeET2_T3_PNS14_IS19_E10value_typeET4_jRbjT5_S1F_jjP12ihipStream_tbEUljE_ZNSN_ISO_Lb1ESR_SS_SU_SV_SZ_EES10_S11_S12_S13_S17_S18_S19_S1C_S1D_jS1E_jS1F_S1F_jjS1H_bEUljE0_EEES10_S11_S12_S19_S1D_S1F_T6_T7_T9_mT8_S1H_bDpT10_ENKUlT_T0_E_clISt17integral_constantIbLb0EES1U_IbLb1EEEEDaS1Q_S1R_EUlS1Q_E_NS1_11comp_targetILNS1_3genE3ELNS1_11target_archE908ELNS1_3gpuE7ELNS1_3repE0EEENS1_30default_config_static_selectorELNS0_4arch9wavefront6targetE0EEEvS13_
; %bb.0:
	.section	.rodata,"a",@progbits
	.p2align	6, 0x0
	.amdhsa_kernel _ZN7rocprim17ROCPRIM_400000_NS6detail17trampoline_kernelINS0_13select_configILj256ELj13ELNS0_17block_load_methodE3ELS4_3ELS4_3ELNS0_20block_scan_algorithmE0ELj4294967295EEENS1_25partition_config_selectorILNS1_17partition_subalgoE4EjNS0_10empty_typeEbEEZZNS1_14partition_implILS8_4ELb0ES6_15HIP_vector_typeIjLj2EENS0_17counting_iteratorIjlEEPS9_SG_NS0_5tupleIJPjSI_NS0_16reverse_iteratorISI_EEEEENSH_IJSG_SG_SG_EEES9_SI_JZNS1_25segmented_radix_sort_implINS0_14default_configELb1EPK12hip_bfloat16PSP_PKlPlN2at6native12_GLOBAL__N_18offset_tEEE10hipError_tPvRmT1_PNSt15iterator_traitsIS13_E10value_typeET2_T3_PNS14_IS19_E10value_typeET4_jRbjT5_S1F_jjP12ihipStream_tbEUljE_ZNSN_ISO_Lb1ESR_SS_SU_SV_SZ_EES10_S11_S12_S13_S17_S18_S19_S1C_S1D_jS1E_jS1F_S1F_jjS1H_bEUljE0_EEES10_S11_S12_S19_S1D_S1F_T6_T7_T9_mT8_S1H_bDpT10_ENKUlT_T0_E_clISt17integral_constantIbLb0EES1U_IbLb1EEEEDaS1Q_S1R_EUlS1Q_E_NS1_11comp_targetILNS1_3genE3ELNS1_11target_archE908ELNS1_3gpuE7ELNS1_3repE0EEENS1_30default_config_static_selectorELNS0_4arch9wavefront6targetE0EEEvS13_
		.amdhsa_group_segment_fixed_size 0
		.amdhsa_private_segment_fixed_size 0
		.amdhsa_kernarg_size 184
		.amdhsa_user_sgpr_count 6
		.amdhsa_user_sgpr_private_segment_buffer 1
		.amdhsa_user_sgpr_dispatch_ptr 0
		.amdhsa_user_sgpr_queue_ptr 0
		.amdhsa_user_sgpr_kernarg_segment_ptr 1
		.amdhsa_user_sgpr_dispatch_id 0
		.amdhsa_user_sgpr_flat_scratch_init 0
		.amdhsa_user_sgpr_private_segment_size 0
		.amdhsa_wavefront_size32 1
		.amdhsa_uses_dynamic_stack 0
		.amdhsa_system_sgpr_private_segment_wavefront_offset 0
		.amdhsa_system_sgpr_workgroup_id_x 1
		.amdhsa_system_sgpr_workgroup_id_y 0
		.amdhsa_system_sgpr_workgroup_id_z 0
		.amdhsa_system_sgpr_workgroup_info 0
		.amdhsa_system_vgpr_workitem_id 0
		.amdhsa_next_free_vgpr 1
		.amdhsa_next_free_sgpr 1
		.amdhsa_reserve_vcc 0
		.amdhsa_reserve_flat_scratch 0
		.amdhsa_float_round_mode_32 0
		.amdhsa_float_round_mode_16_64 0
		.amdhsa_float_denorm_mode_32 3
		.amdhsa_float_denorm_mode_16_64 3
		.amdhsa_dx10_clamp 1
		.amdhsa_ieee_mode 1
		.amdhsa_fp16_overflow 0
		.amdhsa_workgroup_processor_mode 1
		.amdhsa_memory_ordered 1
		.amdhsa_forward_progress 1
		.amdhsa_shared_vgpr_count 0
		.amdhsa_exception_fp_ieee_invalid_op 0
		.amdhsa_exception_fp_denorm_src 0
		.amdhsa_exception_fp_ieee_div_zero 0
		.amdhsa_exception_fp_ieee_overflow 0
		.amdhsa_exception_fp_ieee_underflow 0
		.amdhsa_exception_fp_ieee_inexact 0
		.amdhsa_exception_int_div_zero 0
	.end_amdhsa_kernel
	.section	.text._ZN7rocprim17ROCPRIM_400000_NS6detail17trampoline_kernelINS0_13select_configILj256ELj13ELNS0_17block_load_methodE3ELS4_3ELS4_3ELNS0_20block_scan_algorithmE0ELj4294967295EEENS1_25partition_config_selectorILNS1_17partition_subalgoE4EjNS0_10empty_typeEbEEZZNS1_14partition_implILS8_4ELb0ES6_15HIP_vector_typeIjLj2EENS0_17counting_iteratorIjlEEPS9_SG_NS0_5tupleIJPjSI_NS0_16reverse_iteratorISI_EEEEENSH_IJSG_SG_SG_EEES9_SI_JZNS1_25segmented_radix_sort_implINS0_14default_configELb1EPK12hip_bfloat16PSP_PKlPlN2at6native12_GLOBAL__N_18offset_tEEE10hipError_tPvRmT1_PNSt15iterator_traitsIS13_E10value_typeET2_T3_PNS14_IS19_E10value_typeET4_jRbjT5_S1F_jjP12ihipStream_tbEUljE_ZNSN_ISO_Lb1ESR_SS_SU_SV_SZ_EES10_S11_S12_S13_S17_S18_S19_S1C_S1D_jS1E_jS1F_S1F_jjS1H_bEUljE0_EEES10_S11_S12_S19_S1D_S1F_T6_T7_T9_mT8_S1H_bDpT10_ENKUlT_T0_E_clISt17integral_constantIbLb0EES1U_IbLb1EEEEDaS1Q_S1R_EUlS1Q_E_NS1_11comp_targetILNS1_3genE3ELNS1_11target_archE908ELNS1_3gpuE7ELNS1_3repE0EEENS1_30default_config_static_selectorELNS0_4arch9wavefront6targetE0EEEvS13_,"axG",@progbits,_ZN7rocprim17ROCPRIM_400000_NS6detail17trampoline_kernelINS0_13select_configILj256ELj13ELNS0_17block_load_methodE3ELS4_3ELS4_3ELNS0_20block_scan_algorithmE0ELj4294967295EEENS1_25partition_config_selectorILNS1_17partition_subalgoE4EjNS0_10empty_typeEbEEZZNS1_14partition_implILS8_4ELb0ES6_15HIP_vector_typeIjLj2EENS0_17counting_iteratorIjlEEPS9_SG_NS0_5tupleIJPjSI_NS0_16reverse_iteratorISI_EEEEENSH_IJSG_SG_SG_EEES9_SI_JZNS1_25segmented_radix_sort_implINS0_14default_configELb1EPK12hip_bfloat16PSP_PKlPlN2at6native12_GLOBAL__N_18offset_tEEE10hipError_tPvRmT1_PNSt15iterator_traitsIS13_E10value_typeET2_T3_PNS14_IS19_E10value_typeET4_jRbjT5_S1F_jjP12ihipStream_tbEUljE_ZNSN_ISO_Lb1ESR_SS_SU_SV_SZ_EES10_S11_S12_S13_S17_S18_S19_S1C_S1D_jS1E_jS1F_S1F_jjS1H_bEUljE0_EEES10_S11_S12_S19_S1D_S1F_T6_T7_T9_mT8_S1H_bDpT10_ENKUlT_T0_E_clISt17integral_constantIbLb0EES1U_IbLb1EEEEDaS1Q_S1R_EUlS1Q_E_NS1_11comp_targetILNS1_3genE3ELNS1_11target_archE908ELNS1_3gpuE7ELNS1_3repE0EEENS1_30default_config_static_selectorELNS0_4arch9wavefront6targetE0EEEvS13_,comdat
.Lfunc_end1899:
	.size	_ZN7rocprim17ROCPRIM_400000_NS6detail17trampoline_kernelINS0_13select_configILj256ELj13ELNS0_17block_load_methodE3ELS4_3ELS4_3ELNS0_20block_scan_algorithmE0ELj4294967295EEENS1_25partition_config_selectorILNS1_17partition_subalgoE4EjNS0_10empty_typeEbEEZZNS1_14partition_implILS8_4ELb0ES6_15HIP_vector_typeIjLj2EENS0_17counting_iteratorIjlEEPS9_SG_NS0_5tupleIJPjSI_NS0_16reverse_iteratorISI_EEEEENSH_IJSG_SG_SG_EEES9_SI_JZNS1_25segmented_radix_sort_implINS0_14default_configELb1EPK12hip_bfloat16PSP_PKlPlN2at6native12_GLOBAL__N_18offset_tEEE10hipError_tPvRmT1_PNSt15iterator_traitsIS13_E10value_typeET2_T3_PNS14_IS19_E10value_typeET4_jRbjT5_S1F_jjP12ihipStream_tbEUljE_ZNSN_ISO_Lb1ESR_SS_SU_SV_SZ_EES10_S11_S12_S13_S17_S18_S19_S1C_S1D_jS1E_jS1F_S1F_jjS1H_bEUljE0_EEES10_S11_S12_S19_S1D_S1F_T6_T7_T9_mT8_S1H_bDpT10_ENKUlT_T0_E_clISt17integral_constantIbLb0EES1U_IbLb1EEEEDaS1Q_S1R_EUlS1Q_E_NS1_11comp_targetILNS1_3genE3ELNS1_11target_archE908ELNS1_3gpuE7ELNS1_3repE0EEENS1_30default_config_static_selectorELNS0_4arch9wavefront6targetE0EEEvS13_, .Lfunc_end1899-_ZN7rocprim17ROCPRIM_400000_NS6detail17trampoline_kernelINS0_13select_configILj256ELj13ELNS0_17block_load_methodE3ELS4_3ELS4_3ELNS0_20block_scan_algorithmE0ELj4294967295EEENS1_25partition_config_selectorILNS1_17partition_subalgoE4EjNS0_10empty_typeEbEEZZNS1_14partition_implILS8_4ELb0ES6_15HIP_vector_typeIjLj2EENS0_17counting_iteratorIjlEEPS9_SG_NS0_5tupleIJPjSI_NS0_16reverse_iteratorISI_EEEEENSH_IJSG_SG_SG_EEES9_SI_JZNS1_25segmented_radix_sort_implINS0_14default_configELb1EPK12hip_bfloat16PSP_PKlPlN2at6native12_GLOBAL__N_18offset_tEEE10hipError_tPvRmT1_PNSt15iterator_traitsIS13_E10value_typeET2_T3_PNS14_IS19_E10value_typeET4_jRbjT5_S1F_jjP12ihipStream_tbEUljE_ZNSN_ISO_Lb1ESR_SS_SU_SV_SZ_EES10_S11_S12_S13_S17_S18_S19_S1C_S1D_jS1E_jS1F_S1F_jjS1H_bEUljE0_EEES10_S11_S12_S19_S1D_S1F_T6_T7_T9_mT8_S1H_bDpT10_ENKUlT_T0_E_clISt17integral_constantIbLb0EES1U_IbLb1EEEEDaS1Q_S1R_EUlS1Q_E_NS1_11comp_targetILNS1_3genE3ELNS1_11target_archE908ELNS1_3gpuE7ELNS1_3repE0EEENS1_30default_config_static_selectorELNS0_4arch9wavefront6targetE0EEEvS13_
                                        ; -- End function
	.set _ZN7rocprim17ROCPRIM_400000_NS6detail17trampoline_kernelINS0_13select_configILj256ELj13ELNS0_17block_load_methodE3ELS4_3ELS4_3ELNS0_20block_scan_algorithmE0ELj4294967295EEENS1_25partition_config_selectorILNS1_17partition_subalgoE4EjNS0_10empty_typeEbEEZZNS1_14partition_implILS8_4ELb0ES6_15HIP_vector_typeIjLj2EENS0_17counting_iteratorIjlEEPS9_SG_NS0_5tupleIJPjSI_NS0_16reverse_iteratorISI_EEEEENSH_IJSG_SG_SG_EEES9_SI_JZNS1_25segmented_radix_sort_implINS0_14default_configELb1EPK12hip_bfloat16PSP_PKlPlN2at6native12_GLOBAL__N_18offset_tEEE10hipError_tPvRmT1_PNSt15iterator_traitsIS13_E10value_typeET2_T3_PNS14_IS19_E10value_typeET4_jRbjT5_S1F_jjP12ihipStream_tbEUljE_ZNSN_ISO_Lb1ESR_SS_SU_SV_SZ_EES10_S11_S12_S13_S17_S18_S19_S1C_S1D_jS1E_jS1F_S1F_jjS1H_bEUljE0_EEES10_S11_S12_S19_S1D_S1F_T6_T7_T9_mT8_S1H_bDpT10_ENKUlT_T0_E_clISt17integral_constantIbLb0EES1U_IbLb1EEEEDaS1Q_S1R_EUlS1Q_E_NS1_11comp_targetILNS1_3genE3ELNS1_11target_archE908ELNS1_3gpuE7ELNS1_3repE0EEENS1_30default_config_static_selectorELNS0_4arch9wavefront6targetE0EEEvS13_.num_vgpr, 0
	.set _ZN7rocprim17ROCPRIM_400000_NS6detail17trampoline_kernelINS0_13select_configILj256ELj13ELNS0_17block_load_methodE3ELS4_3ELS4_3ELNS0_20block_scan_algorithmE0ELj4294967295EEENS1_25partition_config_selectorILNS1_17partition_subalgoE4EjNS0_10empty_typeEbEEZZNS1_14partition_implILS8_4ELb0ES6_15HIP_vector_typeIjLj2EENS0_17counting_iteratorIjlEEPS9_SG_NS0_5tupleIJPjSI_NS0_16reverse_iteratorISI_EEEEENSH_IJSG_SG_SG_EEES9_SI_JZNS1_25segmented_radix_sort_implINS0_14default_configELb1EPK12hip_bfloat16PSP_PKlPlN2at6native12_GLOBAL__N_18offset_tEEE10hipError_tPvRmT1_PNSt15iterator_traitsIS13_E10value_typeET2_T3_PNS14_IS19_E10value_typeET4_jRbjT5_S1F_jjP12ihipStream_tbEUljE_ZNSN_ISO_Lb1ESR_SS_SU_SV_SZ_EES10_S11_S12_S13_S17_S18_S19_S1C_S1D_jS1E_jS1F_S1F_jjS1H_bEUljE0_EEES10_S11_S12_S19_S1D_S1F_T6_T7_T9_mT8_S1H_bDpT10_ENKUlT_T0_E_clISt17integral_constantIbLb0EES1U_IbLb1EEEEDaS1Q_S1R_EUlS1Q_E_NS1_11comp_targetILNS1_3genE3ELNS1_11target_archE908ELNS1_3gpuE7ELNS1_3repE0EEENS1_30default_config_static_selectorELNS0_4arch9wavefront6targetE0EEEvS13_.num_agpr, 0
	.set _ZN7rocprim17ROCPRIM_400000_NS6detail17trampoline_kernelINS0_13select_configILj256ELj13ELNS0_17block_load_methodE3ELS4_3ELS4_3ELNS0_20block_scan_algorithmE0ELj4294967295EEENS1_25partition_config_selectorILNS1_17partition_subalgoE4EjNS0_10empty_typeEbEEZZNS1_14partition_implILS8_4ELb0ES6_15HIP_vector_typeIjLj2EENS0_17counting_iteratorIjlEEPS9_SG_NS0_5tupleIJPjSI_NS0_16reverse_iteratorISI_EEEEENSH_IJSG_SG_SG_EEES9_SI_JZNS1_25segmented_radix_sort_implINS0_14default_configELb1EPK12hip_bfloat16PSP_PKlPlN2at6native12_GLOBAL__N_18offset_tEEE10hipError_tPvRmT1_PNSt15iterator_traitsIS13_E10value_typeET2_T3_PNS14_IS19_E10value_typeET4_jRbjT5_S1F_jjP12ihipStream_tbEUljE_ZNSN_ISO_Lb1ESR_SS_SU_SV_SZ_EES10_S11_S12_S13_S17_S18_S19_S1C_S1D_jS1E_jS1F_S1F_jjS1H_bEUljE0_EEES10_S11_S12_S19_S1D_S1F_T6_T7_T9_mT8_S1H_bDpT10_ENKUlT_T0_E_clISt17integral_constantIbLb0EES1U_IbLb1EEEEDaS1Q_S1R_EUlS1Q_E_NS1_11comp_targetILNS1_3genE3ELNS1_11target_archE908ELNS1_3gpuE7ELNS1_3repE0EEENS1_30default_config_static_selectorELNS0_4arch9wavefront6targetE0EEEvS13_.numbered_sgpr, 0
	.set _ZN7rocprim17ROCPRIM_400000_NS6detail17trampoline_kernelINS0_13select_configILj256ELj13ELNS0_17block_load_methodE3ELS4_3ELS4_3ELNS0_20block_scan_algorithmE0ELj4294967295EEENS1_25partition_config_selectorILNS1_17partition_subalgoE4EjNS0_10empty_typeEbEEZZNS1_14partition_implILS8_4ELb0ES6_15HIP_vector_typeIjLj2EENS0_17counting_iteratorIjlEEPS9_SG_NS0_5tupleIJPjSI_NS0_16reverse_iteratorISI_EEEEENSH_IJSG_SG_SG_EEES9_SI_JZNS1_25segmented_radix_sort_implINS0_14default_configELb1EPK12hip_bfloat16PSP_PKlPlN2at6native12_GLOBAL__N_18offset_tEEE10hipError_tPvRmT1_PNSt15iterator_traitsIS13_E10value_typeET2_T3_PNS14_IS19_E10value_typeET4_jRbjT5_S1F_jjP12ihipStream_tbEUljE_ZNSN_ISO_Lb1ESR_SS_SU_SV_SZ_EES10_S11_S12_S13_S17_S18_S19_S1C_S1D_jS1E_jS1F_S1F_jjS1H_bEUljE0_EEES10_S11_S12_S19_S1D_S1F_T6_T7_T9_mT8_S1H_bDpT10_ENKUlT_T0_E_clISt17integral_constantIbLb0EES1U_IbLb1EEEEDaS1Q_S1R_EUlS1Q_E_NS1_11comp_targetILNS1_3genE3ELNS1_11target_archE908ELNS1_3gpuE7ELNS1_3repE0EEENS1_30default_config_static_selectorELNS0_4arch9wavefront6targetE0EEEvS13_.num_named_barrier, 0
	.set _ZN7rocprim17ROCPRIM_400000_NS6detail17trampoline_kernelINS0_13select_configILj256ELj13ELNS0_17block_load_methodE3ELS4_3ELS4_3ELNS0_20block_scan_algorithmE0ELj4294967295EEENS1_25partition_config_selectorILNS1_17partition_subalgoE4EjNS0_10empty_typeEbEEZZNS1_14partition_implILS8_4ELb0ES6_15HIP_vector_typeIjLj2EENS0_17counting_iteratorIjlEEPS9_SG_NS0_5tupleIJPjSI_NS0_16reverse_iteratorISI_EEEEENSH_IJSG_SG_SG_EEES9_SI_JZNS1_25segmented_radix_sort_implINS0_14default_configELb1EPK12hip_bfloat16PSP_PKlPlN2at6native12_GLOBAL__N_18offset_tEEE10hipError_tPvRmT1_PNSt15iterator_traitsIS13_E10value_typeET2_T3_PNS14_IS19_E10value_typeET4_jRbjT5_S1F_jjP12ihipStream_tbEUljE_ZNSN_ISO_Lb1ESR_SS_SU_SV_SZ_EES10_S11_S12_S13_S17_S18_S19_S1C_S1D_jS1E_jS1F_S1F_jjS1H_bEUljE0_EEES10_S11_S12_S19_S1D_S1F_T6_T7_T9_mT8_S1H_bDpT10_ENKUlT_T0_E_clISt17integral_constantIbLb0EES1U_IbLb1EEEEDaS1Q_S1R_EUlS1Q_E_NS1_11comp_targetILNS1_3genE3ELNS1_11target_archE908ELNS1_3gpuE7ELNS1_3repE0EEENS1_30default_config_static_selectorELNS0_4arch9wavefront6targetE0EEEvS13_.private_seg_size, 0
	.set _ZN7rocprim17ROCPRIM_400000_NS6detail17trampoline_kernelINS0_13select_configILj256ELj13ELNS0_17block_load_methodE3ELS4_3ELS4_3ELNS0_20block_scan_algorithmE0ELj4294967295EEENS1_25partition_config_selectorILNS1_17partition_subalgoE4EjNS0_10empty_typeEbEEZZNS1_14partition_implILS8_4ELb0ES6_15HIP_vector_typeIjLj2EENS0_17counting_iteratorIjlEEPS9_SG_NS0_5tupleIJPjSI_NS0_16reverse_iteratorISI_EEEEENSH_IJSG_SG_SG_EEES9_SI_JZNS1_25segmented_radix_sort_implINS0_14default_configELb1EPK12hip_bfloat16PSP_PKlPlN2at6native12_GLOBAL__N_18offset_tEEE10hipError_tPvRmT1_PNSt15iterator_traitsIS13_E10value_typeET2_T3_PNS14_IS19_E10value_typeET4_jRbjT5_S1F_jjP12ihipStream_tbEUljE_ZNSN_ISO_Lb1ESR_SS_SU_SV_SZ_EES10_S11_S12_S13_S17_S18_S19_S1C_S1D_jS1E_jS1F_S1F_jjS1H_bEUljE0_EEES10_S11_S12_S19_S1D_S1F_T6_T7_T9_mT8_S1H_bDpT10_ENKUlT_T0_E_clISt17integral_constantIbLb0EES1U_IbLb1EEEEDaS1Q_S1R_EUlS1Q_E_NS1_11comp_targetILNS1_3genE3ELNS1_11target_archE908ELNS1_3gpuE7ELNS1_3repE0EEENS1_30default_config_static_selectorELNS0_4arch9wavefront6targetE0EEEvS13_.uses_vcc, 0
	.set _ZN7rocprim17ROCPRIM_400000_NS6detail17trampoline_kernelINS0_13select_configILj256ELj13ELNS0_17block_load_methodE3ELS4_3ELS4_3ELNS0_20block_scan_algorithmE0ELj4294967295EEENS1_25partition_config_selectorILNS1_17partition_subalgoE4EjNS0_10empty_typeEbEEZZNS1_14partition_implILS8_4ELb0ES6_15HIP_vector_typeIjLj2EENS0_17counting_iteratorIjlEEPS9_SG_NS0_5tupleIJPjSI_NS0_16reverse_iteratorISI_EEEEENSH_IJSG_SG_SG_EEES9_SI_JZNS1_25segmented_radix_sort_implINS0_14default_configELb1EPK12hip_bfloat16PSP_PKlPlN2at6native12_GLOBAL__N_18offset_tEEE10hipError_tPvRmT1_PNSt15iterator_traitsIS13_E10value_typeET2_T3_PNS14_IS19_E10value_typeET4_jRbjT5_S1F_jjP12ihipStream_tbEUljE_ZNSN_ISO_Lb1ESR_SS_SU_SV_SZ_EES10_S11_S12_S13_S17_S18_S19_S1C_S1D_jS1E_jS1F_S1F_jjS1H_bEUljE0_EEES10_S11_S12_S19_S1D_S1F_T6_T7_T9_mT8_S1H_bDpT10_ENKUlT_T0_E_clISt17integral_constantIbLb0EES1U_IbLb1EEEEDaS1Q_S1R_EUlS1Q_E_NS1_11comp_targetILNS1_3genE3ELNS1_11target_archE908ELNS1_3gpuE7ELNS1_3repE0EEENS1_30default_config_static_selectorELNS0_4arch9wavefront6targetE0EEEvS13_.uses_flat_scratch, 0
	.set _ZN7rocprim17ROCPRIM_400000_NS6detail17trampoline_kernelINS0_13select_configILj256ELj13ELNS0_17block_load_methodE3ELS4_3ELS4_3ELNS0_20block_scan_algorithmE0ELj4294967295EEENS1_25partition_config_selectorILNS1_17partition_subalgoE4EjNS0_10empty_typeEbEEZZNS1_14partition_implILS8_4ELb0ES6_15HIP_vector_typeIjLj2EENS0_17counting_iteratorIjlEEPS9_SG_NS0_5tupleIJPjSI_NS0_16reverse_iteratorISI_EEEEENSH_IJSG_SG_SG_EEES9_SI_JZNS1_25segmented_radix_sort_implINS0_14default_configELb1EPK12hip_bfloat16PSP_PKlPlN2at6native12_GLOBAL__N_18offset_tEEE10hipError_tPvRmT1_PNSt15iterator_traitsIS13_E10value_typeET2_T3_PNS14_IS19_E10value_typeET4_jRbjT5_S1F_jjP12ihipStream_tbEUljE_ZNSN_ISO_Lb1ESR_SS_SU_SV_SZ_EES10_S11_S12_S13_S17_S18_S19_S1C_S1D_jS1E_jS1F_S1F_jjS1H_bEUljE0_EEES10_S11_S12_S19_S1D_S1F_T6_T7_T9_mT8_S1H_bDpT10_ENKUlT_T0_E_clISt17integral_constantIbLb0EES1U_IbLb1EEEEDaS1Q_S1R_EUlS1Q_E_NS1_11comp_targetILNS1_3genE3ELNS1_11target_archE908ELNS1_3gpuE7ELNS1_3repE0EEENS1_30default_config_static_selectorELNS0_4arch9wavefront6targetE0EEEvS13_.has_dyn_sized_stack, 0
	.set _ZN7rocprim17ROCPRIM_400000_NS6detail17trampoline_kernelINS0_13select_configILj256ELj13ELNS0_17block_load_methodE3ELS4_3ELS4_3ELNS0_20block_scan_algorithmE0ELj4294967295EEENS1_25partition_config_selectorILNS1_17partition_subalgoE4EjNS0_10empty_typeEbEEZZNS1_14partition_implILS8_4ELb0ES6_15HIP_vector_typeIjLj2EENS0_17counting_iteratorIjlEEPS9_SG_NS0_5tupleIJPjSI_NS0_16reverse_iteratorISI_EEEEENSH_IJSG_SG_SG_EEES9_SI_JZNS1_25segmented_radix_sort_implINS0_14default_configELb1EPK12hip_bfloat16PSP_PKlPlN2at6native12_GLOBAL__N_18offset_tEEE10hipError_tPvRmT1_PNSt15iterator_traitsIS13_E10value_typeET2_T3_PNS14_IS19_E10value_typeET4_jRbjT5_S1F_jjP12ihipStream_tbEUljE_ZNSN_ISO_Lb1ESR_SS_SU_SV_SZ_EES10_S11_S12_S13_S17_S18_S19_S1C_S1D_jS1E_jS1F_S1F_jjS1H_bEUljE0_EEES10_S11_S12_S19_S1D_S1F_T6_T7_T9_mT8_S1H_bDpT10_ENKUlT_T0_E_clISt17integral_constantIbLb0EES1U_IbLb1EEEEDaS1Q_S1R_EUlS1Q_E_NS1_11comp_targetILNS1_3genE3ELNS1_11target_archE908ELNS1_3gpuE7ELNS1_3repE0EEENS1_30default_config_static_selectorELNS0_4arch9wavefront6targetE0EEEvS13_.has_recursion, 0
	.set _ZN7rocprim17ROCPRIM_400000_NS6detail17trampoline_kernelINS0_13select_configILj256ELj13ELNS0_17block_load_methodE3ELS4_3ELS4_3ELNS0_20block_scan_algorithmE0ELj4294967295EEENS1_25partition_config_selectorILNS1_17partition_subalgoE4EjNS0_10empty_typeEbEEZZNS1_14partition_implILS8_4ELb0ES6_15HIP_vector_typeIjLj2EENS0_17counting_iteratorIjlEEPS9_SG_NS0_5tupleIJPjSI_NS0_16reverse_iteratorISI_EEEEENSH_IJSG_SG_SG_EEES9_SI_JZNS1_25segmented_radix_sort_implINS0_14default_configELb1EPK12hip_bfloat16PSP_PKlPlN2at6native12_GLOBAL__N_18offset_tEEE10hipError_tPvRmT1_PNSt15iterator_traitsIS13_E10value_typeET2_T3_PNS14_IS19_E10value_typeET4_jRbjT5_S1F_jjP12ihipStream_tbEUljE_ZNSN_ISO_Lb1ESR_SS_SU_SV_SZ_EES10_S11_S12_S13_S17_S18_S19_S1C_S1D_jS1E_jS1F_S1F_jjS1H_bEUljE0_EEES10_S11_S12_S19_S1D_S1F_T6_T7_T9_mT8_S1H_bDpT10_ENKUlT_T0_E_clISt17integral_constantIbLb0EES1U_IbLb1EEEEDaS1Q_S1R_EUlS1Q_E_NS1_11comp_targetILNS1_3genE3ELNS1_11target_archE908ELNS1_3gpuE7ELNS1_3repE0EEENS1_30default_config_static_selectorELNS0_4arch9wavefront6targetE0EEEvS13_.has_indirect_call, 0
	.section	.AMDGPU.csdata,"",@progbits
; Kernel info:
; codeLenInByte = 0
; TotalNumSgprs: 0
; NumVgprs: 0
; ScratchSize: 0
; MemoryBound: 0
; FloatMode: 240
; IeeeMode: 1
; LDSByteSize: 0 bytes/workgroup (compile time only)
; SGPRBlocks: 0
; VGPRBlocks: 0
; NumSGPRsForWavesPerEU: 1
; NumVGPRsForWavesPerEU: 1
; Occupancy: 16
; WaveLimiterHint : 0
; COMPUTE_PGM_RSRC2:SCRATCH_EN: 0
; COMPUTE_PGM_RSRC2:USER_SGPR: 6
; COMPUTE_PGM_RSRC2:TRAP_HANDLER: 0
; COMPUTE_PGM_RSRC2:TGID_X_EN: 1
; COMPUTE_PGM_RSRC2:TGID_Y_EN: 0
; COMPUTE_PGM_RSRC2:TGID_Z_EN: 0
; COMPUTE_PGM_RSRC2:TIDIG_COMP_CNT: 0
	.section	.text._ZN7rocprim17ROCPRIM_400000_NS6detail17trampoline_kernelINS0_13select_configILj256ELj13ELNS0_17block_load_methodE3ELS4_3ELS4_3ELNS0_20block_scan_algorithmE0ELj4294967295EEENS1_25partition_config_selectorILNS1_17partition_subalgoE4EjNS0_10empty_typeEbEEZZNS1_14partition_implILS8_4ELb0ES6_15HIP_vector_typeIjLj2EENS0_17counting_iteratorIjlEEPS9_SG_NS0_5tupleIJPjSI_NS0_16reverse_iteratorISI_EEEEENSH_IJSG_SG_SG_EEES9_SI_JZNS1_25segmented_radix_sort_implINS0_14default_configELb1EPK12hip_bfloat16PSP_PKlPlN2at6native12_GLOBAL__N_18offset_tEEE10hipError_tPvRmT1_PNSt15iterator_traitsIS13_E10value_typeET2_T3_PNS14_IS19_E10value_typeET4_jRbjT5_S1F_jjP12ihipStream_tbEUljE_ZNSN_ISO_Lb1ESR_SS_SU_SV_SZ_EES10_S11_S12_S13_S17_S18_S19_S1C_S1D_jS1E_jS1F_S1F_jjS1H_bEUljE0_EEES10_S11_S12_S19_S1D_S1F_T6_T7_T9_mT8_S1H_bDpT10_ENKUlT_T0_E_clISt17integral_constantIbLb0EES1U_IbLb1EEEEDaS1Q_S1R_EUlS1Q_E_NS1_11comp_targetILNS1_3genE2ELNS1_11target_archE906ELNS1_3gpuE6ELNS1_3repE0EEENS1_30default_config_static_selectorELNS0_4arch9wavefront6targetE0EEEvS13_,"axG",@progbits,_ZN7rocprim17ROCPRIM_400000_NS6detail17trampoline_kernelINS0_13select_configILj256ELj13ELNS0_17block_load_methodE3ELS4_3ELS4_3ELNS0_20block_scan_algorithmE0ELj4294967295EEENS1_25partition_config_selectorILNS1_17partition_subalgoE4EjNS0_10empty_typeEbEEZZNS1_14partition_implILS8_4ELb0ES6_15HIP_vector_typeIjLj2EENS0_17counting_iteratorIjlEEPS9_SG_NS0_5tupleIJPjSI_NS0_16reverse_iteratorISI_EEEEENSH_IJSG_SG_SG_EEES9_SI_JZNS1_25segmented_radix_sort_implINS0_14default_configELb1EPK12hip_bfloat16PSP_PKlPlN2at6native12_GLOBAL__N_18offset_tEEE10hipError_tPvRmT1_PNSt15iterator_traitsIS13_E10value_typeET2_T3_PNS14_IS19_E10value_typeET4_jRbjT5_S1F_jjP12ihipStream_tbEUljE_ZNSN_ISO_Lb1ESR_SS_SU_SV_SZ_EES10_S11_S12_S13_S17_S18_S19_S1C_S1D_jS1E_jS1F_S1F_jjS1H_bEUljE0_EEES10_S11_S12_S19_S1D_S1F_T6_T7_T9_mT8_S1H_bDpT10_ENKUlT_T0_E_clISt17integral_constantIbLb0EES1U_IbLb1EEEEDaS1Q_S1R_EUlS1Q_E_NS1_11comp_targetILNS1_3genE2ELNS1_11target_archE906ELNS1_3gpuE6ELNS1_3repE0EEENS1_30default_config_static_selectorELNS0_4arch9wavefront6targetE0EEEvS13_,comdat
	.globl	_ZN7rocprim17ROCPRIM_400000_NS6detail17trampoline_kernelINS0_13select_configILj256ELj13ELNS0_17block_load_methodE3ELS4_3ELS4_3ELNS0_20block_scan_algorithmE0ELj4294967295EEENS1_25partition_config_selectorILNS1_17partition_subalgoE4EjNS0_10empty_typeEbEEZZNS1_14partition_implILS8_4ELb0ES6_15HIP_vector_typeIjLj2EENS0_17counting_iteratorIjlEEPS9_SG_NS0_5tupleIJPjSI_NS0_16reverse_iteratorISI_EEEEENSH_IJSG_SG_SG_EEES9_SI_JZNS1_25segmented_radix_sort_implINS0_14default_configELb1EPK12hip_bfloat16PSP_PKlPlN2at6native12_GLOBAL__N_18offset_tEEE10hipError_tPvRmT1_PNSt15iterator_traitsIS13_E10value_typeET2_T3_PNS14_IS19_E10value_typeET4_jRbjT5_S1F_jjP12ihipStream_tbEUljE_ZNSN_ISO_Lb1ESR_SS_SU_SV_SZ_EES10_S11_S12_S13_S17_S18_S19_S1C_S1D_jS1E_jS1F_S1F_jjS1H_bEUljE0_EEES10_S11_S12_S19_S1D_S1F_T6_T7_T9_mT8_S1H_bDpT10_ENKUlT_T0_E_clISt17integral_constantIbLb0EES1U_IbLb1EEEEDaS1Q_S1R_EUlS1Q_E_NS1_11comp_targetILNS1_3genE2ELNS1_11target_archE906ELNS1_3gpuE6ELNS1_3repE0EEENS1_30default_config_static_selectorELNS0_4arch9wavefront6targetE0EEEvS13_ ; -- Begin function _ZN7rocprim17ROCPRIM_400000_NS6detail17trampoline_kernelINS0_13select_configILj256ELj13ELNS0_17block_load_methodE3ELS4_3ELS4_3ELNS0_20block_scan_algorithmE0ELj4294967295EEENS1_25partition_config_selectorILNS1_17partition_subalgoE4EjNS0_10empty_typeEbEEZZNS1_14partition_implILS8_4ELb0ES6_15HIP_vector_typeIjLj2EENS0_17counting_iteratorIjlEEPS9_SG_NS0_5tupleIJPjSI_NS0_16reverse_iteratorISI_EEEEENSH_IJSG_SG_SG_EEES9_SI_JZNS1_25segmented_radix_sort_implINS0_14default_configELb1EPK12hip_bfloat16PSP_PKlPlN2at6native12_GLOBAL__N_18offset_tEEE10hipError_tPvRmT1_PNSt15iterator_traitsIS13_E10value_typeET2_T3_PNS14_IS19_E10value_typeET4_jRbjT5_S1F_jjP12ihipStream_tbEUljE_ZNSN_ISO_Lb1ESR_SS_SU_SV_SZ_EES10_S11_S12_S13_S17_S18_S19_S1C_S1D_jS1E_jS1F_S1F_jjS1H_bEUljE0_EEES10_S11_S12_S19_S1D_S1F_T6_T7_T9_mT8_S1H_bDpT10_ENKUlT_T0_E_clISt17integral_constantIbLb0EES1U_IbLb1EEEEDaS1Q_S1R_EUlS1Q_E_NS1_11comp_targetILNS1_3genE2ELNS1_11target_archE906ELNS1_3gpuE6ELNS1_3repE0EEENS1_30default_config_static_selectorELNS0_4arch9wavefront6targetE0EEEvS13_
	.p2align	8
	.type	_ZN7rocprim17ROCPRIM_400000_NS6detail17trampoline_kernelINS0_13select_configILj256ELj13ELNS0_17block_load_methodE3ELS4_3ELS4_3ELNS0_20block_scan_algorithmE0ELj4294967295EEENS1_25partition_config_selectorILNS1_17partition_subalgoE4EjNS0_10empty_typeEbEEZZNS1_14partition_implILS8_4ELb0ES6_15HIP_vector_typeIjLj2EENS0_17counting_iteratorIjlEEPS9_SG_NS0_5tupleIJPjSI_NS0_16reverse_iteratorISI_EEEEENSH_IJSG_SG_SG_EEES9_SI_JZNS1_25segmented_radix_sort_implINS0_14default_configELb1EPK12hip_bfloat16PSP_PKlPlN2at6native12_GLOBAL__N_18offset_tEEE10hipError_tPvRmT1_PNSt15iterator_traitsIS13_E10value_typeET2_T3_PNS14_IS19_E10value_typeET4_jRbjT5_S1F_jjP12ihipStream_tbEUljE_ZNSN_ISO_Lb1ESR_SS_SU_SV_SZ_EES10_S11_S12_S13_S17_S18_S19_S1C_S1D_jS1E_jS1F_S1F_jjS1H_bEUljE0_EEES10_S11_S12_S19_S1D_S1F_T6_T7_T9_mT8_S1H_bDpT10_ENKUlT_T0_E_clISt17integral_constantIbLb0EES1U_IbLb1EEEEDaS1Q_S1R_EUlS1Q_E_NS1_11comp_targetILNS1_3genE2ELNS1_11target_archE906ELNS1_3gpuE6ELNS1_3repE0EEENS1_30default_config_static_selectorELNS0_4arch9wavefront6targetE0EEEvS13_,@function
_ZN7rocprim17ROCPRIM_400000_NS6detail17trampoline_kernelINS0_13select_configILj256ELj13ELNS0_17block_load_methodE3ELS4_3ELS4_3ELNS0_20block_scan_algorithmE0ELj4294967295EEENS1_25partition_config_selectorILNS1_17partition_subalgoE4EjNS0_10empty_typeEbEEZZNS1_14partition_implILS8_4ELb0ES6_15HIP_vector_typeIjLj2EENS0_17counting_iteratorIjlEEPS9_SG_NS0_5tupleIJPjSI_NS0_16reverse_iteratorISI_EEEEENSH_IJSG_SG_SG_EEES9_SI_JZNS1_25segmented_radix_sort_implINS0_14default_configELb1EPK12hip_bfloat16PSP_PKlPlN2at6native12_GLOBAL__N_18offset_tEEE10hipError_tPvRmT1_PNSt15iterator_traitsIS13_E10value_typeET2_T3_PNS14_IS19_E10value_typeET4_jRbjT5_S1F_jjP12ihipStream_tbEUljE_ZNSN_ISO_Lb1ESR_SS_SU_SV_SZ_EES10_S11_S12_S13_S17_S18_S19_S1C_S1D_jS1E_jS1F_S1F_jjS1H_bEUljE0_EEES10_S11_S12_S19_S1D_S1F_T6_T7_T9_mT8_S1H_bDpT10_ENKUlT_T0_E_clISt17integral_constantIbLb0EES1U_IbLb1EEEEDaS1Q_S1R_EUlS1Q_E_NS1_11comp_targetILNS1_3genE2ELNS1_11target_archE906ELNS1_3gpuE6ELNS1_3repE0EEENS1_30default_config_static_selectorELNS0_4arch9wavefront6targetE0EEEvS13_: ; @_ZN7rocprim17ROCPRIM_400000_NS6detail17trampoline_kernelINS0_13select_configILj256ELj13ELNS0_17block_load_methodE3ELS4_3ELS4_3ELNS0_20block_scan_algorithmE0ELj4294967295EEENS1_25partition_config_selectorILNS1_17partition_subalgoE4EjNS0_10empty_typeEbEEZZNS1_14partition_implILS8_4ELb0ES6_15HIP_vector_typeIjLj2EENS0_17counting_iteratorIjlEEPS9_SG_NS0_5tupleIJPjSI_NS0_16reverse_iteratorISI_EEEEENSH_IJSG_SG_SG_EEES9_SI_JZNS1_25segmented_radix_sort_implINS0_14default_configELb1EPK12hip_bfloat16PSP_PKlPlN2at6native12_GLOBAL__N_18offset_tEEE10hipError_tPvRmT1_PNSt15iterator_traitsIS13_E10value_typeET2_T3_PNS14_IS19_E10value_typeET4_jRbjT5_S1F_jjP12ihipStream_tbEUljE_ZNSN_ISO_Lb1ESR_SS_SU_SV_SZ_EES10_S11_S12_S13_S17_S18_S19_S1C_S1D_jS1E_jS1F_S1F_jjS1H_bEUljE0_EEES10_S11_S12_S19_S1D_S1F_T6_T7_T9_mT8_S1H_bDpT10_ENKUlT_T0_E_clISt17integral_constantIbLb0EES1U_IbLb1EEEEDaS1Q_S1R_EUlS1Q_E_NS1_11comp_targetILNS1_3genE2ELNS1_11target_archE906ELNS1_3gpuE6ELNS1_3repE0EEENS1_30default_config_static_selectorELNS0_4arch9wavefront6targetE0EEEvS13_
; %bb.0:
	.section	.rodata,"a",@progbits
	.p2align	6, 0x0
	.amdhsa_kernel _ZN7rocprim17ROCPRIM_400000_NS6detail17trampoline_kernelINS0_13select_configILj256ELj13ELNS0_17block_load_methodE3ELS4_3ELS4_3ELNS0_20block_scan_algorithmE0ELj4294967295EEENS1_25partition_config_selectorILNS1_17partition_subalgoE4EjNS0_10empty_typeEbEEZZNS1_14partition_implILS8_4ELb0ES6_15HIP_vector_typeIjLj2EENS0_17counting_iteratorIjlEEPS9_SG_NS0_5tupleIJPjSI_NS0_16reverse_iteratorISI_EEEEENSH_IJSG_SG_SG_EEES9_SI_JZNS1_25segmented_radix_sort_implINS0_14default_configELb1EPK12hip_bfloat16PSP_PKlPlN2at6native12_GLOBAL__N_18offset_tEEE10hipError_tPvRmT1_PNSt15iterator_traitsIS13_E10value_typeET2_T3_PNS14_IS19_E10value_typeET4_jRbjT5_S1F_jjP12ihipStream_tbEUljE_ZNSN_ISO_Lb1ESR_SS_SU_SV_SZ_EES10_S11_S12_S13_S17_S18_S19_S1C_S1D_jS1E_jS1F_S1F_jjS1H_bEUljE0_EEES10_S11_S12_S19_S1D_S1F_T6_T7_T9_mT8_S1H_bDpT10_ENKUlT_T0_E_clISt17integral_constantIbLb0EES1U_IbLb1EEEEDaS1Q_S1R_EUlS1Q_E_NS1_11comp_targetILNS1_3genE2ELNS1_11target_archE906ELNS1_3gpuE6ELNS1_3repE0EEENS1_30default_config_static_selectorELNS0_4arch9wavefront6targetE0EEEvS13_
		.amdhsa_group_segment_fixed_size 0
		.amdhsa_private_segment_fixed_size 0
		.amdhsa_kernarg_size 184
		.amdhsa_user_sgpr_count 6
		.amdhsa_user_sgpr_private_segment_buffer 1
		.amdhsa_user_sgpr_dispatch_ptr 0
		.amdhsa_user_sgpr_queue_ptr 0
		.amdhsa_user_sgpr_kernarg_segment_ptr 1
		.amdhsa_user_sgpr_dispatch_id 0
		.amdhsa_user_sgpr_flat_scratch_init 0
		.amdhsa_user_sgpr_private_segment_size 0
		.amdhsa_wavefront_size32 1
		.amdhsa_uses_dynamic_stack 0
		.amdhsa_system_sgpr_private_segment_wavefront_offset 0
		.amdhsa_system_sgpr_workgroup_id_x 1
		.amdhsa_system_sgpr_workgroup_id_y 0
		.amdhsa_system_sgpr_workgroup_id_z 0
		.amdhsa_system_sgpr_workgroup_info 0
		.amdhsa_system_vgpr_workitem_id 0
		.amdhsa_next_free_vgpr 1
		.amdhsa_next_free_sgpr 1
		.amdhsa_reserve_vcc 0
		.amdhsa_reserve_flat_scratch 0
		.amdhsa_float_round_mode_32 0
		.amdhsa_float_round_mode_16_64 0
		.amdhsa_float_denorm_mode_32 3
		.amdhsa_float_denorm_mode_16_64 3
		.amdhsa_dx10_clamp 1
		.amdhsa_ieee_mode 1
		.amdhsa_fp16_overflow 0
		.amdhsa_workgroup_processor_mode 1
		.amdhsa_memory_ordered 1
		.amdhsa_forward_progress 1
		.amdhsa_shared_vgpr_count 0
		.amdhsa_exception_fp_ieee_invalid_op 0
		.amdhsa_exception_fp_denorm_src 0
		.amdhsa_exception_fp_ieee_div_zero 0
		.amdhsa_exception_fp_ieee_overflow 0
		.amdhsa_exception_fp_ieee_underflow 0
		.amdhsa_exception_fp_ieee_inexact 0
		.amdhsa_exception_int_div_zero 0
	.end_amdhsa_kernel
	.section	.text._ZN7rocprim17ROCPRIM_400000_NS6detail17trampoline_kernelINS0_13select_configILj256ELj13ELNS0_17block_load_methodE3ELS4_3ELS4_3ELNS0_20block_scan_algorithmE0ELj4294967295EEENS1_25partition_config_selectorILNS1_17partition_subalgoE4EjNS0_10empty_typeEbEEZZNS1_14partition_implILS8_4ELb0ES6_15HIP_vector_typeIjLj2EENS0_17counting_iteratorIjlEEPS9_SG_NS0_5tupleIJPjSI_NS0_16reverse_iteratorISI_EEEEENSH_IJSG_SG_SG_EEES9_SI_JZNS1_25segmented_radix_sort_implINS0_14default_configELb1EPK12hip_bfloat16PSP_PKlPlN2at6native12_GLOBAL__N_18offset_tEEE10hipError_tPvRmT1_PNSt15iterator_traitsIS13_E10value_typeET2_T3_PNS14_IS19_E10value_typeET4_jRbjT5_S1F_jjP12ihipStream_tbEUljE_ZNSN_ISO_Lb1ESR_SS_SU_SV_SZ_EES10_S11_S12_S13_S17_S18_S19_S1C_S1D_jS1E_jS1F_S1F_jjS1H_bEUljE0_EEES10_S11_S12_S19_S1D_S1F_T6_T7_T9_mT8_S1H_bDpT10_ENKUlT_T0_E_clISt17integral_constantIbLb0EES1U_IbLb1EEEEDaS1Q_S1R_EUlS1Q_E_NS1_11comp_targetILNS1_3genE2ELNS1_11target_archE906ELNS1_3gpuE6ELNS1_3repE0EEENS1_30default_config_static_selectorELNS0_4arch9wavefront6targetE0EEEvS13_,"axG",@progbits,_ZN7rocprim17ROCPRIM_400000_NS6detail17trampoline_kernelINS0_13select_configILj256ELj13ELNS0_17block_load_methodE3ELS4_3ELS4_3ELNS0_20block_scan_algorithmE0ELj4294967295EEENS1_25partition_config_selectorILNS1_17partition_subalgoE4EjNS0_10empty_typeEbEEZZNS1_14partition_implILS8_4ELb0ES6_15HIP_vector_typeIjLj2EENS0_17counting_iteratorIjlEEPS9_SG_NS0_5tupleIJPjSI_NS0_16reverse_iteratorISI_EEEEENSH_IJSG_SG_SG_EEES9_SI_JZNS1_25segmented_radix_sort_implINS0_14default_configELb1EPK12hip_bfloat16PSP_PKlPlN2at6native12_GLOBAL__N_18offset_tEEE10hipError_tPvRmT1_PNSt15iterator_traitsIS13_E10value_typeET2_T3_PNS14_IS19_E10value_typeET4_jRbjT5_S1F_jjP12ihipStream_tbEUljE_ZNSN_ISO_Lb1ESR_SS_SU_SV_SZ_EES10_S11_S12_S13_S17_S18_S19_S1C_S1D_jS1E_jS1F_S1F_jjS1H_bEUljE0_EEES10_S11_S12_S19_S1D_S1F_T6_T7_T9_mT8_S1H_bDpT10_ENKUlT_T0_E_clISt17integral_constantIbLb0EES1U_IbLb1EEEEDaS1Q_S1R_EUlS1Q_E_NS1_11comp_targetILNS1_3genE2ELNS1_11target_archE906ELNS1_3gpuE6ELNS1_3repE0EEENS1_30default_config_static_selectorELNS0_4arch9wavefront6targetE0EEEvS13_,comdat
.Lfunc_end1900:
	.size	_ZN7rocprim17ROCPRIM_400000_NS6detail17trampoline_kernelINS0_13select_configILj256ELj13ELNS0_17block_load_methodE3ELS4_3ELS4_3ELNS0_20block_scan_algorithmE0ELj4294967295EEENS1_25partition_config_selectorILNS1_17partition_subalgoE4EjNS0_10empty_typeEbEEZZNS1_14partition_implILS8_4ELb0ES6_15HIP_vector_typeIjLj2EENS0_17counting_iteratorIjlEEPS9_SG_NS0_5tupleIJPjSI_NS0_16reverse_iteratorISI_EEEEENSH_IJSG_SG_SG_EEES9_SI_JZNS1_25segmented_radix_sort_implINS0_14default_configELb1EPK12hip_bfloat16PSP_PKlPlN2at6native12_GLOBAL__N_18offset_tEEE10hipError_tPvRmT1_PNSt15iterator_traitsIS13_E10value_typeET2_T3_PNS14_IS19_E10value_typeET4_jRbjT5_S1F_jjP12ihipStream_tbEUljE_ZNSN_ISO_Lb1ESR_SS_SU_SV_SZ_EES10_S11_S12_S13_S17_S18_S19_S1C_S1D_jS1E_jS1F_S1F_jjS1H_bEUljE0_EEES10_S11_S12_S19_S1D_S1F_T6_T7_T9_mT8_S1H_bDpT10_ENKUlT_T0_E_clISt17integral_constantIbLb0EES1U_IbLb1EEEEDaS1Q_S1R_EUlS1Q_E_NS1_11comp_targetILNS1_3genE2ELNS1_11target_archE906ELNS1_3gpuE6ELNS1_3repE0EEENS1_30default_config_static_selectorELNS0_4arch9wavefront6targetE0EEEvS13_, .Lfunc_end1900-_ZN7rocprim17ROCPRIM_400000_NS6detail17trampoline_kernelINS0_13select_configILj256ELj13ELNS0_17block_load_methodE3ELS4_3ELS4_3ELNS0_20block_scan_algorithmE0ELj4294967295EEENS1_25partition_config_selectorILNS1_17partition_subalgoE4EjNS0_10empty_typeEbEEZZNS1_14partition_implILS8_4ELb0ES6_15HIP_vector_typeIjLj2EENS0_17counting_iteratorIjlEEPS9_SG_NS0_5tupleIJPjSI_NS0_16reverse_iteratorISI_EEEEENSH_IJSG_SG_SG_EEES9_SI_JZNS1_25segmented_radix_sort_implINS0_14default_configELb1EPK12hip_bfloat16PSP_PKlPlN2at6native12_GLOBAL__N_18offset_tEEE10hipError_tPvRmT1_PNSt15iterator_traitsIS13_E10value_typeET2_T3_PNS14_IS19_E10value_typeET4_jRbjT5_S1F_jjP12ihipStream_tbEUljE_ZNSN_ISO_Lb1ESR_SS_SU_SV_SZ_EES10_S11_S12_S13_S17_S18_S19_S1C_S1D_jS1E_jS1F_S1F_jjS1H_bEUljE0_EEES10_S11_S12_S19_S1D_S1F_T6_T7_T9_mT8_S1H_bDpT10_ENKUlT_T0_E_clISt17integral_constantIbLb0EES1U_IbLb1EEEEDaS1Q_S1R_EUlS1Q_E_NS1_11comp_targetILNS1_3genE2ELNS1_11target_archE906ELNS1_3gpuE6ELNS1_3repE0EEENS1_30default_config_static_selectorELNS0_4arch9wavefront6targetE0EEEvS13_
                                        ; -- End function
	.set _ZN7rocprim17ROCPRIM_400000_NS6detail17trampoline_kernelINS0_13select_configILj256ELj13ELNS0_17block_load_methodE3ELS4_3ELS4_3ELNS0_20block_scan_algorithmE0ELj4294967295EEENS1_25partition_config_selectorILNS1_17partition_subalgoE4EjNS0_10empty_typeEbEEZZNS1_14partition_implILS8_4ELb0ES6_15HIP_vector_typeIjLj2EENS0_17counting_iteratorIjlEEPS9_SG_NS0_5tupleIJPjSI_NS0_16reverse_iteratorISI_EEEEENSH_IJSG_SG_SG_EEES9_SI_JZNS1_25segmented_radix_sort_implINS0_14default_configELb1EPK12hip_bfloat16PSP_PKlPlN2at6native12_GLOBAL__N_18offset_tEEE10hipError_tPvRmT1_PNSt15iterator_traitsIS13_E10value_typeET2_T3_PNS14_IS19_E10value_typeET4_jRbjT5_S1F_jjP12ihipStream_tbEUljE_ZNSN_ISO_Lb1ESR_SS_SU_SV_SZ_EES10_S11_S12_S13_S17_S18_S19_S1C_S1D_jS1E_jS1F_S1F_jjS1H_bEUljE0_EEES10_S11_S12_S19_S1D_S1F_T6_T7_T9_mT8_S1H_bDpT10_ENKUlT_T0_E_clISt17integral_constantIbLb0EES1U_IbLb1EEEEDaS1Q_S1R_EUlS1Q_E_NS1_11comp_targetILNS1_3genE2ELNS1_11target_archE906ELNS1_3gpuE6ELNS1_3repE0EEENS1_30default_config_static_selectorELNS0_4arch9wavefront6targetE0EEEvS13_.num_vgpr, 0
	.set _ZN7rocprim17ROCPRIM_400000_NS6detail17trampoline_kernelINS0_13select_configILj256ELj13ELNS0_17block_load_methodE3ELS4_3ELS4_3ELNS0_20block_scan_algorithmE0ELj4294967295EEENS1_25partition_config_selectorILNS1_17partition_subalgoE4EjNS0_10empty_typeEbEEZZNS1_14partition_implILS8_4ELb0ES6_15HIP_vector_typeIjLj2EENS0_17counting_iteratorIjlEEPS9_SG_NS0_5tupleIJPjSI_NS0_16reverse_iteratorISI_EEEEENSH_IJSG_SG_SG_EEES9_SI_JZNS1_25segmented_radix_sort_implINS0_14default_configELb1EPK12hip_bfloat16PSP_PKlPlN2at6native12_GLOBAL__N_18offset_tEEE10hipError_tPvRmT1_PNSt15iterator_traitsIS13_E10value_typeET2_T3_PNS14_IS19_E10value_typeET4_jRbjT5_S1F_jjP12ihipStream_tbEUljE_ZNSN_ISO_Lb1ESR_SS_SU_SV_SZ_EES10_S11_S12_S13_S17_S18_S19_S1C_S1D_jS1E_jS1F_S1F_jjS1H_bEUljE0_EEES10_S11_S12_S19_S1D_S1F_T6_T7_T9_mT8_S1H_bDpT10_ENKUlT_T0_E_clISt17integral_constantIbLb0EES1U_IbLb1EEEEDaS1Q_S1R_EUlS1Q_E_NS1_11comp_targetILNS1_3genE2ELNS1_11target_archE906ELNS1_3gpuE6ELNS1_3repE0EEENS1_30default_config_static_selectorELNS0_4arch9wavefront6targetE0EEEvS13_.num_agpr, 0
	.set _ZN7rocprim17ROCPRIM_400000_NS6detail17trampoline_kernelINS0_13select_configILj256ELj13ELNS0_17block_load_methodE3ELS4_3ELS4_3ELNS0_20block_scan_algorithmE0ELj4294967295EEENS1_25partition_config_selectorILNS1_17partition_subalgoE4EjNS0_10empty_typeEbEEZZNS1_14partition_implILS8_4ELb0ES6_15HIP_vector_typeIjLj2EENS0_17counting_iteratorIjlEEPS9_SG_NS0_5tupleIJPjSI_NS0_16reverse_iteratorISI_EEEEENSH_IJSG_SG_SG_EEES9_SI_JZNS1_25segmented_radix_sort_implINS0_14default_configELb1EPK12hip_bfloat16PSP_PKlPlN2at6native12_GLOBAL__N_18offset_tEEE10hipError_tPvRmT1_PNSt15iterator_traitsIS13_E10value_typeET2_T3_PNS14_IS19_E10value_typeET4_jRbjT5_S1F_jjP12ihipStream_tbEUljE_ZNSN_ISO_Lb1ESR_SS_SU_SV_SZ_EES10_S11_S12_S13_S17_S18_S19_S1C_S1D_jS1E_jS1F_S1F_jjS1H_bEUljE0_EEES10_S11_S12_S19_S1D_S1F_T6_T7_T9_mT8_S1H_bDpT10_ENKUlT_T0_E_clISt17integral_constantIbLb0EES1U_IbLb1EEEEDaS1Q_S1R_EUlS1Q_E_NS1_11comp_targetILNS1_3genE2ELNS1_11target_archE906ELNS1_3gpuE6ELNS1_3repE0EEENS1_30default_config_static_selectorELNS0_4arch9wavefront6targetE0EEEvS13_.numbered_sgpr, 0
	.set _ZN7rocprim17ROCPRIM_400000_NS6detail17trampoline_kernelINS0_13select_configILj256ELj13ELNS0_17block_load_methodE3ELS4_3ELS4_3ELNS0_20block_scan_algorithmE0ELj4294967295EEENS1_25partition_config_selectorILNS1_17partition_subalgoE4EjNS0_10empty_typeEbEEZZNS1_14partition_implILS8_4ELb0ES6_15HIP_vector_typeIjLj2EENS0_17counting_iteratorIjlEEPS9_SG_NS0_5tupleIJPjSI_NS0_16reverse_iteratorISI_EEEEENSH_IJSG_SG_SG_EEES9_SI_JZNS1_25segmented_radix_sort_implINS0_14default_configELb1EPK12hip_bfloat16PSP_PKlPlN2at6native12_GLOBAL__N_18offset_tEEE10hipError_tPvRmT1_PNSt15iterator_traitsIS13_E10value_typeET2_T3_PNS14_IS19_E10value_typeET4_jRbjT5_S1F_jjP12ihipStream_tbEUljE_ZNSN_ISO_Lb1ESR_SS_SU_SV_SZ_EES10_S11_S12_S13_S17_S18_S19_S1C_S1D_jS1E_jS1F_S1F_jjS1H_bEUljE0_EEES10_S11_S12_S19_S1D_S1F_T6_T7_T9_mT8_S1H_bDpT10_ENKUlT_T0_E_clISt17integral_constantIbLb0EES1U_IbLb1EEEEDaS1Q_S1R_EUlS1Q_E_NS1_11comp_targetILNS1_3genE2ELNS1_11target_archE906ELNS1_3gpuE6ELNS1_3repE0EEENS1_30default_config_static_selectorELNS0_4arch9wavefront6targetE0EEEvS13_.num_named_barrier, 0
	.set _ZN7rocprim17ROCPRIM_400000_NS6detail17trampoline_kernelINS0_13select_configILj256ELj13ELNS0_17block_load_methodE3ELS4_3ELS4_3ELNS0_20block_scan_algorithmE0ELj4294967295EEENS1_25partition_config_selectorILNS1_17partition_subalgoE4EjNS0_10empty_typeEbEEZZNS1_14partition_implILS8_4ELb0ES6_15HIP_vector_typeIjLj2EENS0_17counting_iteratorIjlEEPS9_SG_NS0_5tupleIJPjSI_NS0_16reverse_iteratorISI_EEEEENSH_IJSG_SG_SG_EEES9_SI_JZNS1_25segmented_radix_sort_implINS0_14default_configELb1EPK12hip_bfloat16PSP_PKlPlN2at6native12_GLOBAL__N_18offset_tEEE10hipError_tPvRmT1_PNSt15iterator_traitsIS13_E10value_typeET2_T3_PNS14_IS19_E10value_typeET4_jRbjT5_S1F_jjP12ihipStream_tbEUljE_ZNSN_ISO_Lb1ESR_SS_SU_SV_SZ_EES10_S11_S12_S13_S17_S18_S19_S1C_S1D_jS1E_jS1F_S1F_jjS1H_bEUljE0_EEES10_S11_S12_S19_S1D_S1F_T6_T7_T9_mT8_S1H_bDpT10_ENKUlT_T0_E_clISt17integral_constantIbLb0EES1U_IbLb1EEEEDaS1Q_S1R_EUlS1Q_E_NS1_11comp_targetILNS1_3genE2ELNS1_11target_archE906ELNS1_3gpuE6ELNS1_3repE0EEENS1_30default_config_static_selectorELNS0_4arch9wavefront6targetE0EEEvS13_.private_seg_size, 0
	.set _ZN7rocprim17ROCPRIM_400000_NS6detail17trampoline_kernelINS0_13select_configILj256ELj13ELNS0_17block_load_methodE3ELS4_3ELS4_3ELNS0_20block_scan_algorithmE0ELj4294967295EEENS1_25partition_config_selectorILNS1_17partition_subalgoE4EjNS0_10empty_typeEbEEZZNS1_14partition_implILS8_4ELb0ES6_15HIP_vector_typeIjLj2EENS0_17counting_iteratorIjlEEPS9_SG_NS0_5tupleIJPjSI_NS0_16reverse_iteratorISI_EEEEENSH_IJSG_SG_SG_EEES9_SI_JZNS1_25segmented_radix_sort_implINS0_14default_configELb1EPK12hip_bfloat16PSP_PKlPlN2at6native12_GLOBAL__N_18offset_tEEE10hipError_tPvRmT1_PNSt15iterator_traitsIS13_E10value_typeET2_T3_PNS14_IS19_E10value_typeET4_jRbjT5_S1F_jjP12ihipStream_tbEUljE_ZNSN_ISO_Lb1ESR_SS_SU_SV_SZ_EES10_S11_S12_S13_S17_S18_S19_S1C_S1D_jS1E_jS1F_S1F_jjS1H_bEUljE0_EEES10_S11_S12_S19_S1D_S1F_T6_T7_T9_mT8_S1H_bDpT10_ENKUlT_T0_E_clISt17integral_constantIbLb0EES1U_IbLb1EEEEDaS1Q_S1R_EUlS1Q_E_NS1_11comp_targetILNS1_3genE2ELNS1_11target_archE906ELNS1_3gpuE6ELNS1_3repE0EEENS1_30default_config_static_selectorELNS0_4arch9wavefront6targetE0EEEvS13_.uses_vcc, 0
	.set _ZN7rocprim17ROCPRIM_400000_NS6detail17trampoline_kernelINS0_13select_configILj256ELj13ELNS0_17block_load_methodE3ELS4_3ELS4_3ELNS0_20block_scan_algorithmE0ELj4294967295EEENS1_25partition_config_selectorILNS1_17partition_subalgoE4EjNS0_10empty_typeEbEEZZNS1_14partition_implILS8_4ELb0ES6_15HIP_vector_typeIjLj2EENS0_17counting_iteratorIjlEEPS9_SG_NS0_5tupleIJPjSI_NS0_16reverse_iteratorISI_EEEEENSH_IJSG_SG_SG_EEES9_SI_JZNS1_25segmented_radix_sort_implINS0_14default_configELb1EPK12hip_bfloat16PSP_PKlPlN2at6native12_GLOBAL__N_18offset_tEEE10hipError_tPvRmT1_PNSt15iterator_traitsIS13_E10value_typeET2_T3_PNS14_IS19_E10value_typeET4_jRbjT5_S1F_jjP12ihipStream_tbEUljE_ZNSN_ISO_Lb1ESR_SS_SU_SV_SZ_EES10_S11_S12_S13_S17_S18_S19_S1C_S1D_jS1E_jS1F_S1F_jjS1H_bEUljE0_EEES10_S11_S12_S19_S1D_S1F_T6_T7_T9_mT8_S1H_bDpT10_ENKUlT_T0_E_clISt17integral_constantIbLb0EES1U_IbLb1EEEEDaS1Q_S1R_EUlS1Q_E_NS1_11comp_targetILNS1_3genE2ELNS1_11target_archE906ELNS1_3gpuE6ELNS1_3repE0EEENS1_30default_config_static_selectorELNS0_4arch9wavefront6targetE0EEEvS13_.uses_flat_scratch, 0
	.set _ZN7rocprim17ROCPRIM_400000_NS6detail17trampoline_kernelINS0_13select_configILj256ELj13ELNS0_17block_load_methodE3ELS4_3ELS4_3ELNS0_20block_scan_algorithmE0ELj4294967295EEENS1_25partition_config_selectorILNS1_17partition_subalgoE4EjNS0_10empty_typeEbEEZZNS1_14partition_implILS8_4ELb0ES6_15HIP_vector_typeIjLj2EENS0_17counting_iteratorIjlEEPS9_SG_NS0_5tupleIJPjSI_NS0_16reverse_iteratorISI_EEEEENSH_IJSG_SG_SG_EEES9_SI_JZNS1_25segmented_radix_sort_implINS0_14default_configELb1EPK12hip_bfloat16PSP_PKlPlN2at6native12_GLOBAL__N_18offset_tEEE10hipError_tPvRmT1_PNSt15iterator_traitsIS13_E10value_typeET2_T3_PNS14_IS19_E10value_typeET4_jRbjT5_S1F_jjP12ihipStream_tbEUljE_ZNSN_ISO_Lb1ESR_SS_SU_SV_SZ_EES10_S11_S12_S13_S17_S18_S19_S1C_S1D_jS1E_jS1F_S1F_jjS1H_bEUljE0_EEES10_S11_S12_S19_S1D_S1F_T6_T7_T9_mT8_S1H_bDpT10_ENKUlT_T0_E_clISt17integral_constantIbLb0EES1U_IbLb1EEEEDaS1Q_S1R_EUlS1Q_E_NS1_11comp_targetILNS1_3genE2ELNS1_11target_archE906ELNS1_3gpuE6ELNS1_3repE0EEENS1_30default_config_static_selectorELNS0_4arch9wavefront6targetE0EEEvS13_.has_dyn_sized_stack, 0
	.set _ZN7rocprim17ROCPRIM_400000_NS6detail17trampoline_kernelINS0_13select_configILj256ELj13ELNS0_17block_load_methodE3ELS4_3ELS4_3ELNS0_20block_scan_algorithmE0ELj4294967295EEENS1_25partition_config_selectorILNS1_17partition_subalgoE4EjNS0_10empty_typeEbEEZZNS1_14partition_implILS8_4ELb0ES6_15HIP_vector_typeIjLj2EENS0_17counting_iteratorIjlEEPS9_SG_NS0_5tupleIJPjSI_NS0_16reverse_iteratorISI_EEEEENSH_IJSG_SG_SG_EEES9_SI_JZNS1_25segmented_radix_sort_implINS0_14default_configELb1EPK12hip_bfloat16PSP_PKlPlN2at6native12_GLOBAL__N_18offset_tEEE10hipError_tPvRmT1_PNSt15iterator_traitsIS13_E10value_typeET2_T3_PNS14_IS19_E10value_typeET4_jRbjT5_S1F_jjP12ihipStream_tbEUljE_ZNSN_ISO_Lb1ESR_SS_SU_SV_SZ_EES10_S11_S12_S13_S17_S18_S19_S1C_S1D_jS1E_jS1F_S1F_jjS1H_bEUljE0_EEES10_S11_S12_S19_S1D_S1F_T6_T7_T9_mT8_S1H_bDpT10_ENKUlT_T0_E_clISt17integral_constantIbLb0EES1U_IbLb1EEEEDaS1Q_S1R_EUlS1Q_E_NS1_11comp_targetILNS1_3genE2ELNS1_11target_archE906ELNS1_3gpuE6ELNS1_3repE0EEENS1_30default_config_static_selectorELNS0_4arch9wavefront6targetE0EEEvS13_.has_recursion, 0
	.set _ZN7rocprim17ROCPRIM_400000_NS6detail17trampoline_kernelINS0_13select_configILj256ELj13ELNS0_17block_load_methodE3ELS4_3ELS4_3ELNS0_20block_scan_algorithmE0ELj4294967295EEENS1_25partition_config_selectorILNS1_17partition_subalgoE4EjNS0_10empty_typeEbEEZZNS1_14partition_implILS8_4ELb0ES6_15HIP_vector_typeIjLj2EENS0_17counting_iteratorIjlEEPS9_SG_NS0_5tupleIJPjSI_NS0_16reverse_iteratorISI_EEEEENSH_IJSG_SG_SG_EEES9_SI_JZNS1_25segmented_radix_sort_implINS0_14default_configELb1EPK12hip_bfloat16PSP_PKlPlN2at6native12_GLOBAL__N_18offset_tEEE10hipError_tPvRmT1_PNSt15iterator_traitsIS13_E10value_typeET2_T3_PNS14_IS19_E10value_typeET4_jRbjT5_S1F_jjP12ihipStream_tbEUljE_ZNSN_ISO_Lb1ESR_SS_SU_SV_SZ_EES10_S11_S12_S13_S17_S18_S19_S1C_S1D_jS1E_jS1F_S1F_jjS1H_bEUljE0_EEES10_S11_S12_S19_S1D_S1F_T6_T7_T9_mT8_S1H_bDpT10_ENKUlT_T0_E_clISt17integral_constantIbLb0EES1U_IbLb1EEEEDaS1Q_S1R_EUlS1Q_E_NS1_11comp_targetILNS1_3genE2ELNS1_11target_archE906ELNS1_3gpuE6ELNS1_3repE0EEENS1_30default_config_static_selectorELNS0_4arch9wavefront6targetE0EEEvS13_.has_indirect_call, 0
	.section	.AMDGPU.csdata,"",@progbits
; Kernel info:
; codeLenInByte = 0
; TotalNumSgprs: 0
; NumVgprs: 0
; ScratchSize: 0
; MemoryBound: 0
; FloatMode: 240
; IeeeMode: 1
; LDSByteSize: 0 bytes/workgroup (compile time only)
; SGPRBlocks: 0
; VGPRBlocks: 0
; NumSGPRsForWavesPerEU: 1
; NumVGPRsForWavesPerEU: 1
; Occupancy: 16
; WaveLimiterHint : 0
; COMPUTE_PGM_RSRC2:SCRATCH_EN: 0
; COMPUTE_PGM_RSRC2:USER_SGPR: 6
; COMPUTE_PGM_RSRC2:TRAP_HANDLER: 0
; COMPUTE_PGM_RSRC2:TGID_X_EN: 1
; COMPUTE_PGM_RSRC2:TGID_Y_EN: 0
; COMPUTE_PGM_RSRC2:TGID_Z_EN: 0
; COMPUTE_PGM_RSRC2:TIDIG_COMP_CNT: 0
	.section	.text._ZN7rocprim17ROCPRIM_400000_NS6detail17trampoline_kernelINS0_13select_configILj256ELj13ELNS0_17block_load_methodE3ELS4_3ELS4_3ELNS0_20block_scan_algorithmE0ELj4294967295EEENS1_25partition_config_selectorILNS1_17partition_subalgoE4EjNS0_10empty_typeEbEEZZNS1_14partition_implILS8_4ELb0ES6_15HIP_vector_typeIjLj2EENS0_17counting_iteratorIjlEEPS9_SG_NS0_5tupleIJPjSI_NS0_16reverse_iteratorISI_EEEEENSH_IJSG_SG_SG_EEES9_SI_JZNS1_25segmented_radix_sort_implINS0_14default_configELb1EPK12hip_bfloat16PSP_PKlPlN2at6native12_GLOBAL__N_18offset_tEEE10hipError_tPvRmT1_PNSt15iterator_traitsIS13_E10value_typeET2_T3_PNS14_IS19_E10value_typeET4_jRbjT5_S1F_jjP12ihipStream_tbEUljE_ZNSN_ISO_Lb1ESR_SS_SU_SV_SZ_EES10_S11_S12_S13_S17_S18_S19_S1C_S1D_jS1E_jS1F_S1F_jjS1H_bEUljE0_EEES10_S11_S12_S19_S1D_S1F_T6_T7_T9_mT8_S1H_bDpT10_ENKUlT_T0_E_clISt17integral_constantIbLb0EES1U_IbLb1EEEEDaS1Q_S1R_EUlS1Q_E_NS1_11comp_targetILNS1_3genE10ELNS1_11target_archE1200ELNS1_3gpuE4ELNS1_3repE0EEENS1_30default_config_static_selectorELNS0_4arch9wavefront6targetE0EEEvS13_,"axG",@progbits,_ZN7rocprim17ROCPRIM_400000_NS6detail17trampoline_kernelINS0_13select_configILj256ELj13ELNS0_17block_load_methodE3ELS4_3ELS4_3ELNS0_20block_scan_algorithmE0ELj4294967295EEENS1_25partition_config_selectorILNS1_17partition_subalgoE4EjNS0_10empty_typeEbEEZZNS1_14partition_implILS8_4ELb0ES6_15HIP_vector_typeIjLj2EENS0_17counting_iteratorIjlEEPS9_SG_NS0_5tupleIJPjSI_NS0_16reverse_iteratorISI_EEEEENSH_IJSG_SG_SG_EEES9_SI_JZNS1_25segmented_radix_sort_implINS0_14default_configELb1EPK12hip_bfloat16PSP_PKlPlN2at6native12_GLOBAL__N_18offset_tEEE10hipError_tPvRmT1_PNSt15iterator_traitsIS13_E10value_typeET2_T3_PNS14_IS19_E10value_typeET4_jRbjT5_S1F_jjP12ihipStream_tbEUljE_ZNSN_ISO_Lb1ESR_SS_SU_SV_SZ_EES10_S11_S12_S13_S17_S18_S19_S1C_S1D_jS1E_jS1F_S1F_jjS1H_bEUljE0_EEES10_S11_S12_S19_S1D_S1F_T6_T7_T9_mT8_S1H_bDpT10_ENKUlT_T0_E_clISt17integral_constantIbLb0EES1U_IbLb1EEEEDaS1Q_S1R_EUlS1Q_E_NS1_11comp_targetILNS1_3genE10ELNS1_11target_archE1200ELNS1_3gpuE4ELNS1_3repE0EEENS1_30default_config_static_selectorELNS0_4arch9wavefront6targetE0EEEvS13_,comdat
	.globl	_ZN7rocprim17ROCPRIM_400000_NS6detail17trampoline_kernelINS0_13select_configILj256ELj13ELNS0_17block_load_methodE3ELS4_3ELS4_3ELNS0_20block_scan_algorithmE0ELj4294967295EEENS1_25partition_config_selectorILNS1_17partition_subalgoE4EjNS0_10empty_typeEbEEZZNS1_14partition_implILS8_4ELb0ES6_15HIP_vector_typeIjLj2EENS0_17counting_iteratorIjlEEPS9_SG_NS0_5tupleIJPjSI_NS0_16reverse_iteratorISI_EEEEENSH_IJSG_SG_SG_EEES9_SI_JZNS1_25segmented_radix_sort_implINS0_14default_configELb1EPK12hip_bfloat16PSP_PKlPlN2at6native12_GLOBAL__N_18offset_tEEE10hipError_tPvRmT1_PNSt15iterator_traitsIS13_E10value_typeET2_T3_PNS14_IS19_E10value_typeET4_jRbjT5_S1F_jjP12ihipStream_tbEUljE_ZNSN_ISO_Lb1ESR_SS_SU_SV_SZ_EES10_S11_S12_S13_S17_S18_S19_S1C_S1D_jS1E_jS1F_S1F_jjS1H_bEUljE0_EEES10_S11_S12_S19_S1D_S1F_T6_T7_T9_mT8_S1H_bDpT10_ENKUlT_T0_E_clISt17integral_constantIbLb0EES1U_IbLb1EEEEDaS1Q_S1R_EUlS1Q_E_NS1_11comp_targetILNS1_3genE10ELNS1_11target_archE1200ELNS1_3gpuE4ELNS1_3repE0EEENS1_30default_config_static_selectorELNS0_4arch9wavefront6targetE0EEEvS13_ ; -- Begin function _ZN7rocprim17ROCPRIM_400000_NS6detail17trampoline_kernelINS0_13select_configILj256ELj13ELNS0_17block_load_methodE3ELS4_3ELS4_3ELNS0_20block_scan_algorithmE0ELj4294967295EEENS1_25partition_config_selectorILNS1_17partition_subalgoE4EjNS0_10empty_typeEbEEZZNS1_14partition_implILS8_4ELb0ES6_15HIP_vector_typeIjLj2EENS0_17counting_iteratorIjlEEPS9_SG_NS0_5tupleIJPjSI_NS0_16reverse_iteratorISI_EEEEENSH_IJSG_SG_SG_EEES9_SI_JZNS1_25segmented_radix_sort_implINS0_14default_configELb1EPK12hip_bfloat16PSP_PKlPlN2at6native12_GLOBAL__N_18offset_tEEE10hipError_tPvRmT1_PNSt15iterator_traitsIS13_E10value_typeET2_T3_PNS14_IS19_E10value_typeET4_jRbjT5_S1F_jjP12ihipStream_tbEUljE_ZNSN_ISO_Lb1ESR_SS_SU_SV_SZ_EES10_S11_S12_S13_S17_S18_S19_S1C_S1D_jS1E_jS1F_S1F_jjS1H_bEUljE0_EEES10_S11_S12_S19_S1D_S1F_T6_T7_T9_mT8_S1H_bDpT10_ENKUlT_T0_E_clISt17integral_constantIbLb0EES1U_IbLb1EEEEDaS1Q_S1R_EUlS1Q_E_NS1_11comp_targetILNS1_3genE10ELNS1_11target_archE1200ELNS1_3gpuE4ELNS1_3repE0EEENS1_30default_config_static_selectorELNS0_4arch9wavefront6targetE0EEEvS13_
	.p2align	8
	.type	_ZN7rocprim17ROCPRIM_400000_NS6detail17trampoline_kernelINS0_13select_configILj256ELj13ELNS0_17block_load_methodE3ELS4_3ELS4_3ELNS0_20block_scan_algorithmE0ELj4294967295EEENS1_25partition_config_selectorILNS1_17partition_subalgoE4EjNS0_10empty_typeEbEEZZNS1_14partition_implILS8_4ELb0ES6_15HIP_vector_typeIjLj2EENS0_17counting_iteratorIjlEEPS9_SG_NS0_5tupleIJPjSI_NS0_16reverse_iteratorISI_EEEEENSH_IJSG_SG_SG_EEES9_SI_JZNS1_25segmented_radix_sort_implINS0_14default_configELb1EPK12hip_bfloat16PSP_PKlPlN2at6native12_GLOBAL__N_18offset_tEEE10hipError_tPvRmT1_PNSt15iterator_traitsIS13_E10value_typeET2_T3_PNS14_IS19_E10value_typeET4_jRbjT5_S1F_jjP12ihipStream_tbEUljE_ZNSN_ISO_Lb1ESR_SS_SU_SV_SZ_EES10_S11_S12_S13_S17_S18_S19_S1C_S1D_jS1E_jS1F_S1F_jjS1H_bEUljE0_EEES10_S11_S12_S19_S1D_S1F_T6_T7_T9_mT8_S1H_bDpT10_ENKUlT_T0_E_clISt17integral_constantIbLb0EES1U_IbLb1EEEEDaS1Q_S1R_EUlS1Q_E_NS1_11comp_targetILNS1_3genE10ELNS1_11target_archE1200ELNS1_3gpuE4ELNS1_3repE0EEENS1_30default_config_static_selectorELNS0_4arch9wavefront6targetE0EEEvS13_,@function
_ZN7rocprim17ROCPRIM_400000_NS6detail17trampoline_kernelINS0_13select_configILj256ELj13ELNS0_17block_load_methodE3ELS4_3ELS4_3ELNS0_20block_scan_algorithmE0ELj4294967295EEENS1_25partition_config_selectorILNS1_17partition_subalgoE4EjNS0_10empty_typeEbEEZZNS1_14partition_implILS8_4ELb0ES6_15HIP_vector_typeIjLj2EENS0_17counting_iteratorIjlEEPS9_SG_NS0_5tupleIJPjSI_NS0_16reverse_iteratorISI_EEEEENSH_IJSG_SG_SG_EEES9_SI_JZNS1_25segmented_radix_sort_implINS0_14default_configELb1EPK12hip_bfloat16PSP_PKlPlN2at6native12_GLOBAL__N_18offset_tEEE10hipError_tPvRmT1_PNSt15iterator_traitsIS13_E10value_typeET2_T3_PNS14_IS19_E10value_typeET4_jRbjT5_S1F_jjP12ihipStream_tbEUljE_ZNSN_ISO_Lb1ESR_SS_SU_SV_SZ_EES10_S11_S12_S13_S17_S18_S19_S1C_S1D_jS1E_jS1F_S1F_jjS1H_bEUljE0_EEES10_S11_S12_S19_S1D_S1F_T6_T7_T9_mT8_S1H_bDpT10_ENKUlT_T0_E_clISt17integral_constantIbLb0EES1U_IbLb1EEEEDaS1Q_S1R_EUlS1Q_E_NS1_11comp_targetILNS1_3genE10ELNS1_11target_archE1200ELNS1_3gpuE4ELNS1_3repE0EEENS1_30default_config_static_selectorELNS0_4arch9wavefront6targetE0EEEvS13_: ; @_ZN7rocprim17ROCPRIM_400000_NS6detail17trampoline_kernelINS0_13select_configILj256ELj13ELNS0_17block_load_methodE3ELS4_3ELS4_3ELNS0_20block_scan_algorithmE0ELj4294967295EEENS1_25partition_config_selectorILNS1_17partition_subalgoE4EjNS0_10empty_typeEbEEZZNS1_14partition_implILS8_4ELb0ES6_15HIP_vector_typeIjLj2EENS0_17counting_iteratorIjlEEPS9_SG_NS0_5tupleIJPjSI_NS0_16reverse_iteratorISI_EEEEENSH_IJSG_SG_SG_EEES9_SI_JZNS1_25segmented_radix_sort_implINS0_14default_configELb1EPK12hip_bfloat16PSP_PKlPlN2at6native12_GLOBAL__N_18offset_tEEE10hipError_tPvRmT1_PNSt15iterator_traitsIS13_E10value_typeET2_T3_PNS14_IS19_E10value_typeET4_jRbjT5_S1F_jjP12ihipStream_tbEUljE_ZNSN_ISO_Lb1ESR_SS_SU_SV_SZ_EES10_S11_S12_S13_S17_S18_S19_S1C_S1D_jS1E_jS1F_S1F_jjS1H_bEUljE0_EEES10_S11_S12_S19_S1D_S1F_T6_T7_T9_mT8_S1H_bDpT10_ENKUlT_T0_E_clISt17integral_constantIbLb0EES1U_IbLb1EEEEDaS1Q_S1R_EUlS1Q_E_NS1_11comp_targetILNS1_3genE10ELNS1_11target_archE1200ELNS1_3gpuE4ELNS1_3repE0EEENS1_30default_config_static_selectorELNS0_4arch9wavefront6targetE0EEEvS13_
; %bb.0:
	.section	.rodata,"a",@progbits
	.p2align	6, 0x0
	.amdhsa_kernel _ZN7rocprim17ROCPRIM_400000_NS6detail17trampoline_kernelINS0_13select_configILj256ELj13ELNS0_17block_load_methodE3ELS4_3ELS4_3ELNS0_20block_scan_algorithmE0ELj4294967295EEENS1_25partition_config_selectorILNS1_17partition_subalgoE4EjNS0_10empty_typeEbEEZZNS1_14partition_implILS8_4ELb0ES6_15HIP_vector_typeIjLj2EENS0_17counting_iteratorIjlEEPS9_SG_NS0_5tupleIJPjSI_NS0_16reverse_iteratorISI_EEEEENSH_IJSG_SG_SG_EEES9_SI_JZNS1_25segmented_radix_sort_implINS0_14default_configELb1EPK12hip_bfloat16PSP_PKlPlN2at6native12_GLOBAL__N_18offset_tEEE10hipError_tPvRmT1_PNSt15iterator_traitsIS13_E10value_typeET2_T3_PNS14_IS19_E10value_typeET4_jRbjT5_S1F_jjP12ihipStream_tbEUljE_ZNSN_ISO_Lb1ESR_SS_SU_SV_SZ_EES10_S11_S12_S13_S17_S18_S19_S1C_S1D_jS1E_jS1F_S1F_jjS1H_bEUljE0_EEES10_S11_S12_S19_S1D_S1F_T6_T7_T9_mT8_S1H_bDpT10_ENKUlT_T0_E_clISt17integral_constantIbLb0EES1U_IbLb1EEEEDaS1Q_S1R_EUlS1Q_E_NS1_11comp_targetILNS1_3genE10ELNS1_11target_archE1200ELNS1_3gpuE4ELNS1_3repE0EEENS1_30default_config_static_selectorELNS0_4arch9wavefront6targetE0EEEvS13_
		.amdhsa_group_segment_fixed_size 0
		.amdhsa_private_segment_fixed_size 0
		.amdhsa_kernarg_size 184
		.amdhsa_user_sgpr_count 6
		.amdhsa_user_sgpr_private_segment_buffer 1
		.amdhsa_user_sgpr_dispatch_ptr 0
		.amdhsa_user_sgpr_queue_ptr 0
		.amdhsa_user_sgpr_kernarg_segment_ptr 1
		.amdhsa_user_sgpr_dispatch_id 0
		.amdhsa_user_sgpr_flat_scratch_init 0
		.amdhsa_user_sgpr_private_segment_size 0
		.amdhsa_wavefront_size32 1
		.amdhsa_uses_dynamic_stack 0
		.amdhsa_system_sgpr_private_segment_wavefront_offset 0
		.amdhsa_system_sgpr_workgroup_id_x 1
		.amdhsa_system_sgpr_workgroup_id_y 0
		.amdhsa_system_sgpr_workgroup_id_z 0
		.amdhsa_system_sgpr_workgroup_info 0
		.amdhsa_system_vgpr_workitem_id 0
		.amdhsa_next_free_vgpr 1
		.amdhsa_next_free_sgpr 1
		.amdhsa_reserve_vcc 0
		.amdhsa_reserve_flat_scratch 0
		.amdhsa_float_round_mode_32 0
		.amdhsa_float_round_mode_16_64 0
		.amdhsa_float_denorm_mode_32 3
		.amdhsa_float_denorm_mode_16_64 3
		.amdhsa_dx10_clamp 1
		.amdhsa_ieee_mode 1
		.amdhsa_fp16_overflow 0
		.amdhsa_workgroup_processor_mode 1
		.amdhsa_memory_ordered 1
		.amdhsa_forward_progress 1
		.amdhsa_shared_vgpr_count 0
		.amdhsa_exception_fp_ieee_invalid_op 0
		.amdhsa_exception_fp_denorm_src 0
		.amdhsa_exception_fp_ieee_div_zero 0
		.amdhsa_exception_fp_ieee_overflow 0
		.amdhsa_exception_fp_ieee_underflow 0
		.amdhsa_exception_fp_ieee_inexact 0
		.amdhsa_exception_int_div_zero 0
	.end_amdhsa_kernel
	.section	.text._ZN7rocprim17ROCPRIM_400000_NS6detail17trampoline_kernelINS0_13select_configILj256ELj13ELNS0_17block_load_methodE3ELS4_3ELS4_3ELNS0_20block_scan_algorithmE0ELj4294967295EEENS1_25partition_config_selectorILNS1_17partition_subalgoE4EjNS0_10empty_typeEbEEZZNS1_14partition_implILS8_4ELb0ES6_15HIP_vector_typeIjLj2EENS0_17counting_iteratorIjlEEPS9_SG_NS0_5tupleIJPjSI_NS0_16reverse_iteratorISI_EEEEENSH_IJSG_SG_SG_EEES9_SI_JZNS1_25segmented_radix_sort_implINS0_14default_configELb1EPK12hip_bfloat16PSP_PKlPlN2at6native12_GLOBAL__N_18offset_tEEE10hipError_tPvRmT1_PNSt15iterator_traitsIS13_E10value_typeET2_T3_PNS14_IS19_E10value_typeET4_jRbjT5_S1F_jjP12ihipStream_tbEUljE_ZNSN_ISO_Lb1ESR_SS_SU_SV_SZ_EES10_S11_S12_S13_S17_S18_S19_S1C_S1D_jS1E_jS1F_S1F_jjS1H_bEUljE0_EEES10_S11_S12_S19_S1D_S1F_T6_T7_T9_mT8_S1H_bDpT10_ENKUlT_T0_E_clISt17integral_constantIbLb0EES1U_IbLb1EEEEDaS1Q_S1R_EUlS1Q_E_NS1_11comp_targetILNS1_3genE10ELNS1_11target_archE1200ELNS1_3gpuE4ELNS1_3repE0EEENS1_30default_config_static_selectorELNS0_4arch9wavefront6targetE0EEEvS13_,"axG",@progbits,_ZN7rocprim17ROCPRIM_400000_NS6detail17trampoline_kernelINS0_13select_configILj256ELj13ELNS0_17block_load_methodE3ELS4_3ELS4_3ELNS0_20block_scan_algorithmE0ELj4294967295EEENS1_25partition_config_selectorILNS1_17partition_subalgoE4EjNS0_10empty_typeEbEEZZNS1_14partition_implILS8_4ELb0ES6_15HIP_vector_typeIjLj2EENS0_17counting_iteratorIjlEEPS9_SG_NS0_5tupleIJPjSI_NS0_16reverse_iteratorISI_EEEEENSH_IJSG_SG_SG_EEES9_SI_JZNS1_25segmented_radix_sort_implINS0_14default_configELb1EPK12hip_bfloat16PSP_PKlPlN2at6native12_GLOBAL__N_18offset_tEEE10hipError_tPvRmT1_PNSt15iterator_traitsIS13_E10value_typeET2_T3_PNS14_IS19_E10value_typeET4_jRbjT5_S1F_jjP12ihipStream_tbEUljE_ZNSN_ISO_Lb1ESR_SS_SU_SV_SZ_EES10_S11_S12_S13_S17_S18_S19_S1C_S1D_jS1E_jS1F_S1F_jjS1H_bEUljE0_EEES10_S11_S12_S19_S1D_S1F_T6_T7_T9_mT8_S1H_bDpT10_ENKUlT_T0_E_clISt17integral_constantIbLb0EES1U_IbLb1EEEEDaS1Q_S1R_EUlS1Q_E_NS1_11comp_targetILNS1_3genE10ELNS1_11target_archE1200ELNS1_3gpuE4ELNS1_3repE0EEENS1_30default_config_static_selectorELNS0_4arch9wavefront6targetE0EEEvS13_,comdat
.Lfunc_end1901:
	.size	_ZN7rocprim17ROCPRIM_400000_NS6detail17trampoline_kernelINS0_13select_configILj256ELj13ELNS0_17block_load_methodE3ELS4_3ELS4_3ELNS0_20block_scan_algorithmE0ELj4294967295EEENS1_25partition_config_selectorILNS1_17partition_subalgoE4EjNS0_10empty_typeEbEEZZNS1_14partition_implILS8_4ELb0ES6_15HIP_vector_typeIjLj2EENS0_17counting_iteratorIjlEEPS9_SG_NS0_5tupleIJPjSI_NS0_16reverse_iteratorISI_EEEEENSH_IJSG_SG_SG_EEES9_SI_JZNS1_25segmented_radix_sort_implINS0_14default_configELb1EPK12hip_bfloat16PSP_PKlPlN2at6native12_GLOBAL__N_18offset_tEEE10hipError_tPvRmT1_PNSt15iterator_traitsIS13_E10value_typeET2_T3_PNS14_IS19_E10value_typeET4_jRbjT5_S1F_jjP12ihipStream_tbEUljE_ZNSN_ISO_Lb1ESR_SS_SU_SV_SZ_EES10_S11_S12_S13_S17_S18_S19_S1C_S1D_jS1E_jS1F_S1F_jjS1H_bEUljE0_EEES10_S11_S12_S19_S1D_S1F_T6_T7_T9_mT8_S1H_bDpT10_ENKUlT_T0_E_clISt17integral_constantIbLb0EES1U_IbLb1EEEEDaS1Q_S1R_EUlS1Q_E_NS1_11comp_targetILNS1_3genE10ELNS1_11target_archE1200ELNS1_3gpuE4ELNS1_3repE0EEENS1_30default_config_static_selectorELNS0_4arch9wavefront6targetE0EEEvS13_, .Lfunc_end1901-_ZN7rocprim17ROCPRIM_400000_NS6detail17trampoline_kernelINS0_13select_configILj256ELj13ELNS0_17block_load_methodE3ELS4_3ELS4_3ELNS0_20block_scan_algorithmE0ELj4294967295EEENS1_25partition_config_selectorILNS1_17partition_subalgoE4EjNS0_10empty_typeEbEEZZNS1_14partition_implILS8_4ELb0ES6_15HIP_vector_typeIjLj2EENS0_17counting_iteratorIjlEEPS9_SG_NS0_5tupleIJPjSI_NS0_16reverse_iteratorISI_EEEEENSH_IJSG_SG_SG_EEES9_SI_JZNS1_25segmented_radix_sort_implINS0_14default_configELb1EPK12hip_bfloat16PSP_PKlPlN2at6native12_GLOBAL__N_18offset_tEEE10hipError_tPvRmT1_PNSt15iterator_traitsIS13_E10value_typeET2_T3_PNS14_IS19_E10value_typeET4_jRbjT5_S1F_jjP12ihipStream_tbEUljE_ZNSN_ISO_Lb1ESR_SS_SU_SV_SZ_EES10_S11_S12_S13_S17_S18_S19_S1C_S1D_jS1E_jS1F_S1F_jjS1H_bEUljE0_EEES10_S11_S12_S19_S1D_S1F_T6_T7_T9_mT8_S1H_bDpT10_ENKUlT_T0_E_clISt17integral_constantIbLb0EES1U_IbLb1EEEEDaS1Q_S1R_EUlS1Q_E_NS1_11comp_targetILNS1_3genE10ELNS1_11target_archE1200ELNS1_3gpuE4ELNS1_3repE0EEENS1_30default_config_static_selectorELNS0_4arch9wavefront6targetE0EEEvS13_
                                        ; -- End function
	.set _ZN7rocprim17ROCPRIM_400000_NS6detail17trampoline_kernelINS0_13select_configILj256ELj13ELNS0_17block_load_methodE3ELS4_3ELS4_3ELNS0_20block_scan_algorithmE0ELj4294967295EEENS1_25partition_config_selectorILNS1_17partition_subalgoE4EjNS0_10empty_typeEbEEZZNS1_14partition_implILS8_4ELb0ES6_15HIP_vector_typeIjLj2EENS0_17counting_iteratorIjlEEPS9_SG_NS0_5tupleIJPjSI_NS0_16reverse_iteratorISI_EEEEENSH_IJSG_SG_SG_EEES9_SI_JZNS1_25segmented_radix_sort_implINS0_14default_configELb1EPK12hip_bfloat16PSP_PKlPlN2at6native12_GLOBAL__N_18offset_tEEE10hipError_tPvRmT1_PNSt15iterator_traitsIS13_E10value_typeET2_T3_PNS14_IS19_E10value_typeET4_jRbjT5_S1F_jjP12ihipStream_tbEUljE_ZNSN_ISO_Lb1ESR_SS_SU_SV_SZ_EES10_S11_S12_S13_S17_S18_S19_S1C_S1D_jS1E_jS1F_S1F_jjS1H_bEUljE0_EEES10_S11_S12_S19_S1D_S1F_T6_T7_T9_mT8_S1H_bDpT10_ENKUlT_T0_E_clISt17integral_constantIbLb0EES1U_IbLb1EEEEDaS1Q_S1R_EUlS1Q_E_NS1_11comp_targetILNS1_3genE10ELNS1_11target_archE1200ELNS1_3gpuE4ELNS1_3repE0EEENS1_30default_config_static_selectorELNS0_4arch9wavefront6targetE0EEEvS13_.num_vgpr, 0
	.set _ZN7rocprim17ROCPRIM_400000_NS6detail17trampoline_kernelINS0_13select_configILj256ELj13ELNS0_17block_load_methodE3ELS4_3ELS4_3ELNS0_20block_scan_algorithmE0ELj4294967295EEENS1_25partition_config_selectorILNS1_17partition_subalgoE4EjNS0_10empty_typeEbEEZZNS1_14partition_implILS8_4ELb0ES6_15HIP_vector_typeIjLj2EENS0_17counting_iteratorIjlEEPS9_SG_NS0_5tupleIJPjSI_NS0_16reverse_iteratorISI_EEEEENSH_IJSG_SG_SG_EEES9_SI_JZNS1_25segmented_radix_sort_implINS0_14default_configELb1EPK12hip_bfloat16PSP_PKlPlN2at6native12_GLOBAL__N_18offset_tEEE10hipError_tPvRmT1_PNSt15iterator_traitsIS13_E10value_typeET2_T3_PNS14_IS19_E10value_typeET4_jRbjT5_S1F_jjP12ihipStream_tbEUljE_ZNSN_ISO_Lb1ESR_SS_SU_SV_SZ_EES10_S11_S12_S13_S17_S18_S19_S1C_S1D_jS1E_jS1F_S1F_jjS1H_bEUljE0_EEES10_S11_S12_S19_S1D_S1F_T6_T7_T9_mT8_S1H_bDpT10_ENKUlT_T0_E_clISt17integral_constantIbLb0EES1U_IbLb1EEEEDaS1Q_S1R_EUlS1Q_E_NS1_11comp_targetILNS1_3genE10ELNS1_11target_archE1200ELNS1_3gpuE4ELNS1_3repE0EEENS1_30default_config_static_selectorELNS0_4arch9wavefront6targetE0EEEvS13_.num_agpr, 0
	.set _ZN7rocprim17ROCPRIM_400000_NS6detail17trampoline_kernelINS0_13select_configILj256ELj13ELNS0_17block_load_methodE3ELS4_3ELS4_3ELNS0_20block_scan_algorithmE0ELj4294967295EEENS1_25partition_config_selectorILNS1_17partition_subalgoE4EjNS0_10empty_typeEbEEZZNS1_14partition_implILS8_4ELb0ES6_15HIP_vector_typeIjLj2EENS0_17counting_iteratorIjlEEPS9_SG_NS0_5tupleIJPjSI_NS0_16reverse_iteratorISI_EEEEENSH_IJSG_SG_SG_EEES9_SI_JZNS1_25segmented_radix_sort_implINS0_14default_configELb1EPK12hip_bfloat16PSP_PKlPlN2at6native12_GLOBAL__N_18offset_tEEE10hipError_tPvRmT1_PNSt15iterator_traitsIS13_E10value_typeET2_T3_PNS14_IS19_E10value_typeET4_jRbjT5_S1F_jjP12ihipStream_tbEUljE_ZNSN_ISO_Lb1ESR_SS_SU_SV_SZ_EES10_S11_S12_S13_S17_S18_S19_S1C_S1D_jS1E_jS1F_S1F_jjS1H_bEUljE0_EEES10_S11_S12_S19_S1D_S1F_T6_T7_T9_mT8_S1H_bDpT10_ENKUlT_T0_E_clISt17integral_constantIbLb0EES1U_IbLb1EEEEDaS1Q_S1R_EUlS1Q_E_NS1_11comp_targetILNS1_3genE10ELNS1_11target_archE1200ELNS1_3gpuE4ELNS1_3repE0EEENS1_30default_config_static_selectorELNS0_4arch9wavefront6targetE0EEEvS13_.numbered_sgpr, 0
	.set _ZN7rocprim17ROCPRIM_400000_NS6detail17trampoline_kernelINS0_13select_configILj256ELj13ELNS0_17block_load_methodE3ELS4_3ELS4_3ELNS0_20block_scan_algorithmE0ELj4294967295EEENS1_25partition_config_selectorILNS1_17partition_subalgoE4EjNS0_10empty_typeEbEEZZNS1_14partition_implILS8_4ELb0ES6_15HIP_vector_typeIjLj2EENS0_17counting_iteratorIjlEEPS9_SG_NS0_5tupleIJPjSI_NS0_16reverse_iteratorISI_EEEEENSH_IJSG_SG_SG_EEES9_SI_JZNS1_25segmented_radix_sort_implINS0_14default_configELb1EPK12hip_bfloat16PSP_PKlPlN2at6native12_GLOBAL__N_18offset_tEEE10hipError_tPvRmT1_PNSt15iterator_traitsIS13_E10value_typeET2_T3_PNS14_IS19_E10value_typeET4_jRbjT5_S1F_jjP12ihipStream_tbEUljE_ZNSN_ISO_Lb1ESR_SS_SU_SV_SZ_EES10_S11_S12_S13_S17_S18_S19_S1C_S1D_jS1E_jS1F_S1F_jjS1H_bEUljE0_EEES10_S11_S12_S19_S1D_S1F_T6_T7_T9_mT8_S1H_bDpT10_ENKUlT_T0_E_clISt17integral_constantIbLb0EES1U_IbLb1EEEEDaS1Q_S1R_EUlS1Q_E_NS1_11comp_targetILNS1_3genE10ELNS1_11target_archE1200ELNS1_3gpuE4ELNS1_3repE0EEENS1_30default_config_static_selectorELNS0_4arch9wavefront6targetE0EEEvS13_.num_named_barrier, 0
	.set _ZN7rocprim17ROCPRIM_400000_NS6detail17trampoline_kernelINS0_13select_configILj256ELj13ELNS0_17block_load_methodE3ELS4_3ELS4_3ELNS0_20block_scan_algorithmE0ELj4294967295EEENS1_25partition_config_selectorILNS1_17partition_subalgoE4EjNS0_10empty_typeEbEEZZNS1_14partition_implILS8_4ELb0ES6_15HIP_vector_typeIjLj2EENS0_17counting_iteratorIjlEEPS9_SG_NS0_5tupleIJPjSI_NS0_16reverse_iteratorISI_EEEEENSH_IJSG_SG_SG_EEES9_SI_JZNS1_25segmented_radix_sort_implINS0_14default_configELb1EPK12hip_bfloat16PSP_PKlPlN2at6native12_GLOBAL__N_18offset_tEEE10hipError_tPvRmT1_PNSt15iterator_traitsIS13_E10value_typeET2_T3_PNS14_IS19_E10value_typeET4_jRbjT5_S1F_jjP12ihipStream_tbEUljE_ZNSN_ISO_Lb1ESR_SS_SU_SV_SZ_EES10_S11_S12_S13_S17_S18_S19_S1C_S1D_jS1E_jS1F_S1F_jjS1H_bEUljE0_EEES10_S11_S12_S19_S1D_S1F_T6_T7_T9_mT8_S1H_bDpT10_ENKUlT_T0_E_clISt17integral_constantIbLb0EES1U_IbLb1EEEEDaS1Q_S1R_EUlS1Q_E_NS1_11comp_targetILNS1_3genE10ELNS1_11target_archE1200ELNS1_3gpuE4ELNS1_3repE0EEENS1_30default_config_static_selectorELNS0_4arch9wavefront6targetE0EEEvS13_.private_seg_size, 0
	.set _ZN7rocprim17ROCPRIM_400000_NS6detail17trampoline_kernelINS0_13select_configILj256ELj13ELNS0_17block_load_methodE3ELS4_3ELS4_3ELNS0_20block_scan_algorithmE0ELj4294967295EEENS1_25partition_config_selectorILNS1_17partition_subalgoE4EjNS0_10empty_typeEbEEZZNS1_14partition_implILS8_4ELb0ES6_15HIP_vector_typeIjLj2EENS0_17counting_iteratorIjlEEPS9_SG_NS0_5tupleIJPjSI_NS0_16reverse_iteratorISI_EEEEENSH_IJSG_SG_SG_EEES9_SI_JZNS1_25segmented_radix_sort_implINS0_14default_configELb1EPK12hip_bfloat16PSP_PKlPlN2at6native12_GLOBAL__N_18offset_tEEE10hipError_tPvRmT1_PNSt15iterator_traitsIS13_E10value_typeET2_T3_PNS14_IS19_E10value_typeET4_jRbjT5_S1F_jjP12ihipStream_tbEUljE_ZNSN_ISO_Lb1ESR_SS_SU_SV_SZ_EES10_S11_S12_S13_S17_S18_S19_S1C_S1D_jS1E_jS1F_S1F_jjS1H_bEUljE0_EEES10_S11_S12_S19_S1D_S1F_T6_T7_T9_mT8_S1H_bDpT10_ENKUlT_T0_E_clISt17integral_constantIbLb0EES1U_IbLb1EEEEDaS1Q_S1R_EUlS1Q_E_NS1_11comp_targetILNS1_3genE10ELNS1_11target_archE1200ELNS1_3gpuE4ELNS1_3repE0EEENS1_30default_config_static_selectorELNS0_4arch9wavefront6targetE0EEEvS13_.uses_vcc, 0
	.set _ZN7rocprim17ROCPRIM_400000_NS6detail17trampoline_kernelINS0_13select_configILj256ELj13ELNS0_17block_load_methodE3ELS4_3ELS4_3ELNS0_20block_scan_algorithmE0ELj4294967295EEENS1_25partition_config_selectorILNS1_17partition_subalgoE4EjNS0_10empty_typeEbEEZZNS1_14partition_implILS8_4ELb0ES6_15HIP_vector_typeIjLj2EENS0_17counting_iteratorIjlEEPS9_SG_NS0_5tupleIJPjSI_NS0_16reverse_iteratorISI_EEEEENSH_IJSG_SG_SG_EEES9_SI_JZNS1_25segmented_radix_sort_implINS0_14default_configELb1EPK12hip_bfloat16PSP_PKlPlN2at6native12_GLOBAL__N_18offset_tEEE10hipError_tPvRmT1_PNSt15iterator_traitsIS13_E10value_typeET2_T3_PNS14_IS19_E10value_typeET4_jRbjT5_S1F_jjP12ihipStream_tbEUljE_ZNSN_ISO_Lb1ESR_SS_SU_SV_SZ_EES10_S11_S12_S13_S17_S18_S19_S1C_S1D_jS1E_jS1F_S1F_jjS1H_bEUljE0_EEES10_S11_S12_S19_S1D_S1F_T6_T7_T9_mT8_S1H_bDpT10_ENKUlT_T0_E_clISt17integral_constantIbLb0EES1U_IbLb1EEEEDaS1Q_S1R_EUlS1Q_E_NS1_11comp_targetILNS1_3genE10ELNS1_11target_archE1200ELNS1_3gpuE4ELNS1_3repE0EEENS1_30default_config_static_selectorELNS0_4arch9wavefront6targetE0EEEvS13_.uses_flat_scratch, 0
	.set _ZN7rocprim17ROCPRIM_400000_NS6detail17trampoline_kernelINS0_13select_configILj256ELj13ELNS0_17block_load_methodE3ELS4_3ELS4_3ELNS0_20block_scan_algorithmE0ELj4294967295EEENS1_25partition_config_selectorILNS1_17partition_subalgoE4EjNS0_10empty_typeEbEEZZNS1_14partition_implILS8_4ELb0ES6_15HIP_vector_typeIjLj2EENS0_17counting_iteratorIjlEEPS9_SG_NS0_5tupleIJPjSI_NS0_16reverse_iteratorISI_EEEEENSH_IJSG_SG_SG_EEES9_SI_JZNS1_25segmented_radix_sort_implINS0_14default_configELb1EPK12hip_bfloat16PSP_PKlPlN2at6native12_GLOBAL__N_18offset_tEEE10hipError_tPvRmT1_PNSt15iterator_traitsIS13_E10value_typeET2_T3_PNS14_IS19_E10value_typeET4_jRbjT5_S1F_jjP12ihipStream_tbEUljE_ZNSN_ISO_Lb1ESR_SS_SU_SV_SZ_EES10_S11_S12_S13_S17_S18_S19_S1C_S1D_jS1E_jS1F_S1F_jjS1H_bEUljE0_EEES10_S11_S12_S19_S1D_S1F_T6_T7_T9_mT8_S1H_bDpT10_ENKUlT_T0_E_clISt17integral_constantIbLb0EES1U_IbLb1EEEEDaS1Q_S1R_EUlS1Q_E_NS1_11comp_targetILNS1_3genE10ELNS1_11target_archE1200ELNS1_3gpuE4ELNS1_3repE0EEENS1_30default_config_static_selectorELNS0_4arch9wavefront6targetE0EEEvS13_.has_dyn_sized_stack, 0
	.set _ZN7rocprim17ROCPRIM_400000_NS6detail17trampoline_kernelINS0_13select_configILj256ELj13ELNS0_17block_load_methodE3ELS4_3ELS4_3ELNS0_20block_scan_algorithmE0ELj4294967295EEENS1_25partition_config_selectorILNS1_17partition_subalgoE4EjNS0_10empty_typeEbEEZZNS1_14partition_implILS8_4ELb0ES6_15HIP_vector_typeIjLj2EENS0_17counting_iteratorIjlEEPS9_SG_NS0_5tupleIJPjSI_NS0_16reverse_iteratorISI_EEEEENSH_IJSG_SG_SG_EEES9_SI_JZNS1_25segmented_radix_sort_implINS0_14default_configELb1EPK12hip_bfloat16PSP_PKlPlN2at6native12_GLOBAL__N_18offset_tEEE10hipError_tPvRmT1_PNSt15iterator_traitsIS13_E10value_typeET2_T3_PNS14_IS19_E10value_typeET4_jRbjT5_S1F_jjP12ihipStream_tbEUljE_ZNSN_ISO_Lb1ESR_SS_SU_SV_SZ_EES10_S11_S12_S13_S17_S18_S19_S1C_S1D_jS1E_jS1F_S1F_jjS1H_bEUljE0_EEES10_S11_S12_S19_S1D_S1F_T6_T7_T9_mT8_S1H_bDpT10_ENKUlT_T0_E_clISt17integral_constantIbLb0EES1U_IbLb1EEEEDaS1Q_S1R_EUlS1Q_E_NS1_11comp_targetILNS1_3genE10ELNS1_11target_archE1200ELNS1_3gpuE4ELNS1_3repE0EEENS1_30default_config_static_selectorELNS0_4arch9wavefront6targetE0EEEvS13_.has_recursion, 0
	.set _ZN7rocprim17ROCPRIM_400000_NS6detail17trampoline_kernelINS0_13select_configILj256ELj13ELNS0_17block_load_methodE3ELS4_3ELS4_3ELNS0_20block_scan_algorithmE0ELj4294967295EEENS1_25partition_config_selectorILNS1_17partition_subalgoE4EjNS0_10empty_typeEbEEZZNS1_14partition_implILS8_4ELb0ES6_15HIP_vector_typeIjLj2EENS0_17counting_iteratorIjlEEPS9_SG_NS0_5tupleIJPjSI_NS0_16reverse_iteratorISI_EEEEENSH_IJSG_SG_SG_EEES9_SI_JZNS1_25segmented_radix_sort_implINS0_14default_configELb1EPK12hip_bfloat16PSP_PKlPlN2at6native12_GLOBAL__N_18offset_tEEE10hipError_tPvRmT1_PNSt15iterator_traitsIS13_E10value_typeET2_T3_PNS14_IS19_E10value_typeET4_jRbjT5_S1F_jjP12ihipStream_tbEUljE_ZNSN_ISO_Lb1ESR_SS_SU_SV_SZ_EES10_S11_S12_S13_S17_S18_S19_S1C_S1D_jS1E_jS1F_S1F_jjS1H_bEUljE0_EEES10_S11_S12_S19_S1D_S1F_T6_T7_T9_mT8_S1H_bDpT10_ENKUlT_T0_E_clISt17integral_constantIbLb0EES1U_IbLb1EEEEDaS1Q_S1R_EUlS1Q_E_NS1_11comp_targetILNS1_3genE10ELNS1_11target_archE1200ELNS1_3gpuE4ELNS1_3repE0EEENS1_30default_config_static_selectorELNS0_4arch9wavefront6targetE0EEEvS13_.has_indirect_call, 0
	.section	.AMDGPU.csdata,"",@progbits
; Kernel info:
; codeLenInByte = 0
; TotalNumSgprs: 0
; NumVgprs: 0
; ScratchSize: 0
; MemoryBound: 0
; FloatMode: 240
; IeeeMode: 1
; LDSByteSize: 0 bytes/workgroup (compile time only)
; SGPRBlocks: 0
; VGPRBlocks: 0
; NumSGPRsForWavesPerEU: 1
; NumVGPRsForWavesPerEU: 1
; Occupancy: 16
; WaveLimiterHint : 0
; COMPUTE_PGM_RSRC2:SCRATCH_EN: 0
; COMPUTE_PGM_RSRC2:USER_SGPR: 6
; COMPUTE_PGM_RSRC2:TRAP_HANDLER: 0
; COMPUTE_PGM_RSRC2:TGID_X_EN: 1
; COMPUTE_PGM_RSRC2:TGID_Y_EN: 0
; COMPUTE_PGM_RSRC2:TGID_Z_EN: 0
; COMPUTE_PGM_RSRC2:TIDIG_COMP_CNT: 0
	.section	.text._ZN7rocprim17ROCPRIM_400000_NS6detail17trampoline_kernelINS0_13select_configILj256ELj13ELNS0_17block_load_methodE3ELS4_3ELS4_3ELNS0_20block_scan_algorithmE0ELj4294967295EEENS1_25partition_config_selectorILNS1_17partition_subalgoE4EjNS0_10empty_typeEbEEZZNS1_14partition_implILS8_4ELb0ES6_15HIP_vector_typeIjLj2EENS0_17counting_iteratorIjlEEPS9_SG_NS0_5tupleIJPjSI_NS0_16reverse_iteratorISI_EEEEENSH_IJSG_SG_SG_EEES9_SI_JZNS1_25segmented_radix_sort_implINS0_14default_configELb1EPK12hip_bfloat16PSP_PKlPlN2at6native12_GLOBAL__N_18offset_tEEE10hipError_tPvRmT1_PNSt15iterator_traitsIS13_E10value_typeET2_T3_PNS14_IS19_E10value_typeET4_jRbjT5_S1F_jjP12ihipStream_tbEUljE_ZNSN_ISO_Lb1ESR_SS_SU_SV_SZ_EES10_S11_S12_S13_S17_S18_S19_S1C_S1D_jS1E_jS1F_S1F_jjS1H_bEUljE0_EEES10_S11_S12_S19_S1D_S1F_T6_T7_T9_mT8_S1H_bDpT10_ENKUlT_T0_E_clISt17integral_constantIbLb0EES1U_IbLb1EEEEDaS1Q_S1R_EUlS1Q_E_NS1_11comp_targetILNS1_3genE9ELNS1_11target_archE1100ELNS1_3gpuE3ELNS1_3repE0EEENS1_30default_config_static_selectorELNS0_4arch9wavefront6targetE0EEEvS13_,"axG",@progbits,_ZN7rocprim17ROCPRIM_400000_NS6detail17trampoline_kernelINS0_13select_configILj256ELj13ELNS0_17block_load_methodE3ELS4_3ELS4_3ELNS0_20block_scan_algorithmE0ELj4294967295EEENS1_25partition_config_selectorILNS1_17partition_subalgoE4EjNS0_10empty_typeEbEEZZNS1_14partition_implILS8_4ELb0ES6_15HIP_vector_typeIjLj2EENS0_17counting_iteratorIjlEEPS9_SG_NS0_5tupleIJPjSI_NS0_16reverse_iteratorISI_EEEEENSH_IJSG_SG_SG_EEES9_SI_JZNS1_25segmented_radix_sort_implINS0_14default_configELb1EPK12hip_bfloat16PSP_PKlPlN2at6native12_GLOBAL__N_18offset_tEEE10hipError_tPvRmT1_PNSt15iterator_traitsIS13_E10value_typeET2_T3_PNS14_IS19_E10value_typeET4_jRbjT5_S1F_jjP12ihipStream_tbEUljE_ZNSN_ISO_Lb1ESR_SS_SU_SV_SZ_EES10_S11_S12_S13_S17_S18_S19_S1C_S1D_jS1E_jS1F_S1F_jjS1H_bEUljE0_EEES10_S11_S12_S19_S1D_S1F_T6_T7_T9_mT8_S1H_bDpT10_ENKUlT_T0_E_clISt17integral_constantIbLb0EES1U_IbLb1EEEEDaS1Q_S1R_EUlS1Q_E_NS1_11comp_targetILNS1_3genE9ELNS1_11target_archE1100ELNS1_3gpuE3ELNS1_3repE0EEENS1_30default_config_static_selectorELNS0_4arch9wavefront6targetE0EEEvS13_,comdat
	.globl	_ZN7rocprim17ROCPRIM_400000_NS6detail17trampoline_kernelINS0_13select_configILj256ELj13ELNS0_17block_load_methodE3ELS4_3ELS4_3ELNS0_20block_scan_algorithmE0ELj4294967295EEENS1_25partition_config_selectorILNS1_17partition_subalgoE4EjNS0_10empty_typeEbEEZZNS1_14partition_implILS8_4ELb0ES6_15HIP_vector_typeIjLj2EENS0_17counting_iteratorIjlEEPS9_SG_NS0_5tupleIJPjSI_NS0_16reverse_iteratorISI_EEEEENSH_IJSG_SG_SG_EEES9_SI_JZNS1_25segmented_radix_sort_implINS0_14default_configELb1EPK12hip_bfloat16PSP_PKlPlN2at6native12_GLOBAL__N_18offset_tEEE10hipError_tPvRmT1_PNSt15iterator_traitsIS13_E10value_typeET2_T3_PNS14_IS19_E10value_typeET4_jRbjT5_S1F_jjP12ihipStream_tbEUljE_ZNSN_ISO_Lb1ESR_SS_SU_SV_SZ_EES10_S11_S12_S13_S17_S18_S19_S1C_S1D_jS1E_jS1F_S1F_jjS1H_bEUljE0_EEES10_S11_S12_S19_S1D_S1F_T6_T7_T9_mT8_S1H_bDpT10_ENKUlT_T0_E_clISt17integral_constantIbLb0EES1U_IbLb1EEEEDaS1Q_S1R_EUlS1Q_E_NS1_11comp_targetILNS1_3genE9ELNS1_11target_archE1100ELNS1_3gpuE3ELNS1_3repE0EEENS1_30default_config_static_selectorELNS0_4arch9wavefront6targetE0EEEvS13_ ; -- Begin function _ZN7rocprim17ROCPRIM_400000_NS6detail17trampoline_kernelINS0_13select_configILj256ELj13ELNS0_17block_load_methodE3ELS4_3ELS4_3ELNS0_20block_scan_algorithmE0ELj4294967295EEENS1_25partition_config_selectorILNS1_17partition_subalgoE4EjNS0_10empty_typeEbEEZZNS1_14partition_implILS8_4ELb0ES6_15HIP_vector_typeIjLj2EENS0_17counting_iteratorIjlEEPS9_SG_NS0_5tupleIJPjSI_NS0_16reverse_iteratorISI_EEEEENSH_IJSG_SG_SG_EEES9_SI_JZNS1_25segmented_radix_sort_implINS0_14default_configELb1EPK12hip_bfloat16PSP_PKlPlN2at6native12_GLOBAL__N_18offset_tEEE10hipError_tPvRmT1_PNSt15iterator_traitsIS13_E10value_typeET2_T3_PNS14_IS19_E10value_typeET4_jRbjT5_S1F_jjP12ihipStream_tbEUljE_ZNSN_ISO_Lb1ESR_SS_SU_SV_SZ_EES10_S11_S12_S13_S17_S18_S19_S1C_S1D_jS1E_jS1F_S1F_jjS1H_bEUljE0_EEES10_S11_S12_S19_S1D_S1F_T6_T7_T9_mT8_S1H_bDpT10_ENKUlT_T0_E_clISt17integral_constantIbLb0EES1U_IbLb1EEEEDaS1Q_S1R_EUlS1Q_E_NS1_11comp_targetILNS1_3genE9ELNS1_11target_archE1100ELNS1_3gpuE3ELNS1_3repE0EEENS1_30default_config_static_selectorELNS0_4arch9wavefront6targetE0EEEvS13_
	.p2align	8
	.type	_ZN7rocprim17ROCPRIM_400000_NS6detail17trampoline_kernelINS0_13select_configILj256ELj13ELNS0_17block_load_methodE3ELS4_3ELS4_3ELNS0_20block_scan_algorithmE0ELj4294967295EEENS1_25partition_config_selectorILNS1_17partition_subalgoE4EjNS0_10empty_typeEbEEZZNS1_14partition_implILS8_4ELb0ES6_15HIP_vector_typeIjLj2EENS0_17counting_iteratorIjlEEPS9_SG_NS0_5tupleIJPjSI_NS0_16reverse_iteratorISI_EEEEENSH_IJSG_SG_SG_EEES9_SI_JZNS1_25segmented_radix_sort_implINS0_14default_configELb1EPK12hip_bfloat16PSP_PKlPlN2at6native12_GLOBAL__N_18offset_tEEE10hipError_tPvRmT1_PNSt15iterator_traitsIS13_E10value_typeET2_T3_PNS14_IS19_E10value_typeET4_jRbjT5_S1F_jjP12ihipStream_tbEUljE_ZNSN_ISO_Lb1ESR_SS_SU_SV_SZ_EES10_S11_S12_S13_S17_S18_S19_S1C_S1D_jS1E_jS1F_S1F_jjS1H_bEUljE0_EEES10_S11_S12_S19_S1D_S1F_T6_T7_T9_mT8_S1H_bDpT10_ENKUlT_T0_E_clISt17integral_constantIbLb0EES1U_IbLb1EEEEDaS1Q_S1R_EUlS1Q_E_NS1_11comp_targetILNS1_3genE9ELNS1_11target_archE1100ELNS1_3gpuE3ELNS1_3repE0EEENS1_30default_config_static_selectorELNS0_4arch9wavefront6targetE0EEEvS13_,@function
_ZN7rocprim17ROCPRIM_400000_NS6detail17trampoline_kernelINS0_13select_configILj256ELj13ELNS0_17block_load_methodE3ELS4_3ELS4_3ELNS0_20block_scan_algorithmE0ELj4294967295EEENS1_25partition_config_selectorILNS1_17partition_subalgoE4EjNS0_10empty_typeEbEEZZNS1_14partition_implILS8_4ELb0ES6_15HIP_vector_typeIjLj2EENS0_17counting_iteratorIjlEEPS9_SG_NS0_5tupleIJPjSI_NS0_16reverse_iteratorISI_EEEEENSH_IJSG_SG_SG_EEES9_SI_JZNS1_25segmented_radix_sort_implINS0_14default_configELb1EPK12hip_bfloat16PSP_PKlPlN2at6native12_GLOBAL__N_18offset_tEEE10hipError_tPvRmT1_PNSt15iterator_traitsIS13_E10value_typeET2_T3_PNS14_IS19_E10value_typeET4_jRbjT5_S1F_jjP12ihipStream_tbEUljE_ZNSN_ISO_Lb1ESR_SS_SU_SV_SZ_EES10_S11_S12_S13_S17_S18_S19_S1C_S1D_jS1E_jS1F_S1F_jjS1H_bEUljE0_EEES10_S11_S12_S19_S1D_S1F_T6_T7_T9_mT8_S1H_bDpT10_ENKUlT_T0_E_clISt17integral_constantIbLb0EES1U_IbLb1EEEEDaS1Q_S1R_EUlS1Q_E_NS1_11comp_targetILNS1_3genE9ELNS1_11target_archE1100ELNS1_3gpuE3ELNS1_3repE0EEENS1_30default_config_static_selectorELNS0_4arch9wavefront6targetE0EEEvS13_: ; @_ZN7rocprim17ROCPRIM_400000_NS6detail17trampoline_kernelINS0_13select_configILj256ELj13ELNS0_17block_load_methodE3ELS4_3ELS4_3ELNS0_20block_scan_algorithmE0ELj4294967295EEENS1_25partition_config_selectorILNS1_17partition_subalgoE4EjNS0_10empty_typeEbEEZZNS1_14partition_implILS8_4ELb0ES6_15HIP_vector_typeIjLj2EENS0_17counting_iteratorIjlEEPS9_SG_NS0_5tupleIJPjSI_NS0_16reverse_iteratorISI_EEEEENSH_IJSG_SG_SG_EEES9_SI_JZNS1_25segmented_radix_sort_implINS0_14default_configELb1EPK12hip_bfloat16PSP_PKlPlN2at6native12_GLOBAL__N_18offset_tEEE10hipError_tPvRmT1_PNSt15iterator_traitsIS13_E10value_typeET2_T3_PNS14_IS19_E10value_typeET4_jRbjT5_S1F_jjP12ihipStream_tbEUljE_ZNSN_ISO_Lb1ESR_SS_SU_SV_SZ_EES10_S11_S12_S13_S17_S18_S19_S1C_S1D_jS1E_jS1F_S1F_jjS1H_bEUljE0_EEES10_S11_S12_S19_S1D_S1F_T6_T7_T9_mT8_S1H_bDpT10_ENKUlT_T0_E_clISt17integral_constantIbLb0EES1U_IbLb1EEEEDaS1Q_S1R_EUlS1Q_E_NS1_11comp_targetILNS1_3genE9ELNS1_11target_archE1100ELNS1_3gpuE3ELNS1_3repE0EEENS1_30default_config_static_selectorELNS0_4arch9wavefront6targetE0EEEvS13_
; %bb.0:
	.section	.rodata,"a",@progbits
	.p2align	6, 0x0
	.amdhsa_kernel _ZN7rocprim17ROCPRIM_400000_NS6detail17trampoline_kernelINS0_13select_configILj256ELj13ELNS0_17block_load_methodE3ELS4_3ELS4_3ELNS0_20block_scan_algorithmE0ELj4294967295EEENS1_25partition_config_selectorILNS1_17partition_subalgoE4EjNS0_10empty_typeEbEEZZNS1_14partition_implILS8_4ELb0ES6_15HIP_vector_typeIjLj2EENS0_17counting_iteratorIjlEEPS9_SG_NS0_5tupleIJPjSI_NS0_16reverse_iteratorISI_EEEEENSH_IJSG_SG_SG_EEES9_SI_JZNS1_25segmented_radix_sort_implINS0_14default_configELb1EPK12hip_bfloat16PSP_PKlPlN2at6native12_GLOBAL__N_18offset_tEEE10hipError_tPvRmT1_PNSt15iterator_traitsIS13_E10value_typeET2_T3_PNS14_IS19_E10value_typeET4_jRbjT5_S1F_jjP12ihipStream_tbEUljE_ZNSN_ISO_Lb1ESR_SS_SU_SV_SZ_EES10_S11_S12_S13_S17_S18_S19_S1C_S1D_jS1E_jS1F_S1F_jjS1H_bEUljE0_EEES10_S11_S12_S19_S1D_S1F_T6_T7_T9_mT8_S1H_bDpT10_ENKUlT_T0_E_clISt17integral_constantIbLb0EES1U_IbLb1EEEEDaS1Q_S1R_EUlS1Q_E_NS1_11comp_targetILNS1_3genE9ELNS1_11target_archE1100ELNS1_3gpuE3ELNS1_3repE0EEENS1_30default_config_static_selectorELNS0_4arch9wavefront6targetE0EEEvS13_
		.amdhsa_group_segment_fixed_size 0
		.amdhsa_private_segment_fixed_size 0
		.amdhsa_kernarg_size 184
		.amdhsa_user_sgpr_count 6
		.amdhsa_user_sgpr_private_segment_buffer 1
		.amdhsa_user_sgpr_dispatch_ptr 0
		.amdhsa_user_sgpr_queue_ptr 0
		.amdhsa_user_sgpr_kernarg_segment_ptr 1
		.amdhsa_user_sgpr_dispatch_id 0
		.amdhsa_user_sgpr_flat_scratch_init 0
		.amdhsa_user_sgpr_private_segment_size 0
		.amdhsa_wavefront_size32 1
		.amdhsa_uses_dynamic_stack 0
		.amdhsa_system_sgpr_private_segment_wavefront_offset 0
		.amdhsa_system_sgpr_workgroup_id_x 1
		.amdhsa_system_sgpr_workgroup_id_y 0
		.amdhsa_system_sgpr_workgroup_id_z 0
		.amdhsa_system_sgpr_workgroup_info 0
		.amdhsa_system_vgpr_workitem_id 0
		.amdhsa_next_free_vgpr 1
		.amdhsa_next_free_sgpr 1
		.amdhsa_reserve_vcc 0
		.amdhsa_reserve_flat_scratch 0
		.amdhsa_float_round_mode_32 0
		.amdhsa_float_round_mode_16_64 0
		.amdhsa_float_denorm_mode_32 3
		.amdhsa_float_denorm_mode_16_64 3
		.amdhsa_dx10_clamp 1
		.amdhsa_ieee_mode 1
		.amdhsa_fp16_overflow 0
		.amdhsa_workgroup_processor_mode 1
		.amdhsa_memory_ordered 1
		.amdhsa_forward_progress 1
		.amdhsa_shared_vgpr_count 0
		.amdhsa_exception_fp_ieee_invalid_op 0
		.amdhsa_exception_fp_denorm_src 0
		.amdhsa_exception_fp_ieee_div_zero 0
		.amdhsa_exception_fp_ieee_overflow 0
		.amdhsa_exception_fp_ieee_underflow 0
		.amdhsa_exception_fp_ieee_inexact 0
		.amdhsa_exception_int_div_zero 0
	.end_amdhsa_kernel
	.section	.text._ZN7rocprim17ROCPRIM_400000_NS6detail17trampoline_kernelINS0_13select_configILj256ELj13ELNS0_17block_load_methodE3ELS4_3ELS4_3ELNS0_20block_scan_algorithmE0ELj4294967295EEENS1_25partition_config_selectorILNS1_17partition_subalgoE4EjNS0_10empty_typeEbEEZZNS1_14partition_implILS8_4ELb0ES6_15HIP_vector_typeIjLj2EENS0_17counting_iteratorIjlEEPS9_SG_NS0_5tupleIJPjSI_NS0_16reverse_iteratorISI_EEEEENSH_IJSG_SG_SG_EEES9_SI_JZNS1_25segmented_radix_sort_implINS0_14default_configELb1EPK12hip_bfloat16PSP_PKlPlN2at6native12_GLOBAL__N_18offset_tEEE10hipError_tPvRmT1_PNSt15iterator_traitsIS13_E10value_typeET2_T3_PNS14_IS19_E10value_typeET4_jRbjT5_S1F_jjP12ihipStream_tbEUljE_ZNSN_ISO_Lb1ESR_SS_SU_SV_SZ_EES10_S11_S12_S13_S17_S18_S19_S1C_S1D_jS1E_jS1F_S1F_jjS1H_bEUljE0_EEES10_S11_S12_S19_S1D_S1F_T6_T7_T9_mT8_S1H_bDpT10_ENKUlT_T0_E_clISt17integral_constantIbLb0EES1U_IbLb1EEEEDaS1Q_S1R_EUlS1Q_E_NS1_11comp_targetILNS1_3genE9ELNS1_11target_archE1100ELNS1_3gpuE3ELNS1_3repE0EEENS1_30default_config_static_selectorELNS0_4arch9wavefront6targetE0EEEvS13_,"axG",@progbits,_ZN7rocprim17ROCPRIM_400000_NS6detail17trampoline_kernelINS0_13select_configILj256ELj13ELNS0_17block_load_methodE3ELS4_3ELS4_3ELNS0_20block_scan_algorithmE0ELj4294967295EEENS1_25partition_config_selectorILNS1_17partition_subalgoE4EjNS0_10empty_typeEbEEZZNS1_14partition_implILS8_4ELb0ES6_15HIP_vector_typeIjLj2EENS0_17counting_iteratorIjlEEPS9_SG_NS0_5tupleIJPjSI_NS0_16reverse_iteratorISI_EEEEENSH_IJSG_SG_SG_EEES9_SI_JZNS1_25segmented_radix_sort_implINS0_14default_configELb1EPK12hip_bfloat16PSP_PKlPlN2at6native12_GLOBAL__N_18offset_tEEE10hipError_tPvRmT1_PNSt15iterator_traitsIS13_E10value_typeET2_T3_PNS14_IS19_E10value_typeET4_jRbjT5_S1F_jjP12ihipStream_tbEUljE_ZNSN_ISO_Lb1ESR_SS_SU_SV_SZ_EES10_S11_S12_S13_S17_S18_S19_S1C_S1D_jS1E_jS1F_S1F_jjS1H_bEUljE0_EEES10_S11_S12_S19_S1D_S1F_T6_T7_T9_mT8_S1H_bDpT10_ENKUlT_T0_E_clISt17integral_constantIbLb0EES1U_IbLb1EEEEDaS1Q_S1R_EUlS1Q_E_NS1_11comp_targetILNS1_3genE9ELNS1_11target_archE1100ELNS1_3gpuE3ELNS1_3repE0EEENS1_30default_config_static_selectorELNS0_4arch9wavefront6targetE0EEEvS13_,comdat
.Lfunc_end1902:
	.size	_ZN7rocprim17ROCPRIM_400000_NS6detail17trampoline_kernelINS0_13select_configILj256ELj13ELNS0_17block_load_methodE3ELS4_3ELS4_3ELNS0_20block_scan_algorithmE0ELj4294967295EEENS1_25partition_config_selectorILNS1_17partition_subalgoE4EjNS0_10empty_typeEbEEZZNS1_14partition_implILS8_4ELb0ES6_15HIP_vector_typeIjLj2EENS0_17counting_iteratorIjlEEPS9_SG_NS0_5tupleIJPjSI_NS0_16reverse_iteratorISI_EEEEENSH_IJSG_SG_SG_EEES9_SI_JZNS1_25segmented_radix_sort_implINS0_14default_configELb1EPK12hip_bfloat16PSP_PKlPlN2at6native12_GLOBAL__N_18offset_tEEE10hipError_tPvRmT1_PNSt15iterator_traitsIS13_E10value_typeET2_T3_PNS14_IS19_E10value_typeET4_jRbjT5_S1F_jjP12ihipStream_tbEUljE_ZNSN_ISO_Lb1ESR_SS_SU_SV_SZ_EES10_S11_S12_S13_S17_S18_S19_S1C_S1D_jS1E_jS1F_S1F_jjS1H_bEUljE0_EEES10_S11_S12_S19_S1D_S1F_T6_T7_T9_mT8_S1H_bDpT10_ENKUlT_T0_E_clISt17integral_constantIbLb0EES1U_IbLb1EEEEDaS1Q_S1R_EUlS1Q_E_NS1_11comp_targetILNS1_3genE9ELNS1_11target_archE1100ELNS1_3gpuE3ELNS1_3repE0EEENS1_30default_config_static_selectorELNS0_4arch9wavefront6targetE0EEEvS13_, .Lfunc_end1902-_ZN7rocprim17ROCPRIM_400000_NS6detail17trampoline_kernelINS0_13select_configILj256ELj13ELNS0_17block_load_methodE3ELS4_3ELS4_3ELNS0_20block_scan_algorithmE0ELj4294967295EEENS1_25partition_config_selectorILNS1_17partition_subalgoE4EjNS0_10empty_typeEbEEZZNS1_14partition_implILS8_4ELb0ES6_15HIP_vector_typeIjLj2EENS0_17counting_iteratorIjlEEPS9_SG_NS0_5tupleIJPjSI_NS0_16reverse_iteratorISI_EEEEENSH_IJSG_SG_SG_EEES9_SI_JZNS1_25segmented_radix_sort_implINS0_14default_configELb1EPK12hip_bfloat16PSP_PKlPlN2at6native12_GLOBAL__N_18offset_tEEE10hipError_tPvRmT1_PNSt15iterator_traitsIS13_E10value_typeET2_T3_PNS14_IS19_E10value_typeET4_jRbjT5_S1F_jjP12ihipStream_tbEUljE_ZNSN_ISO_Lb1ESR_SS_SU_SV_SZ_EES10_S11_S12_S13_S17_S18_S19_S1C_S1D_jS1E_jS1F_S1F_jjS1H_bEUljE0_EEES10_S11_S12_S19_S1D_S1F_T6_T7_T9_mT8_S1H_bDpT10_ENKUlT_T0_E_clISt17integral_constantIbLb0EES1U_IbLb1EEEEDaS1Q_S1R_EUlS1Q_E_NS1_11comp_targetILNS1_3genE9ELNS1_11target_archE1100ELNS1_3gpuE3ELNS1_3repE0EEENS1_30default_config_static_selectorELNS0_4arch9wavefront6targetE0EEEvS13_
                                        ; -- End function
	.set _ZN7rocprim17ROCPRIM_400000_NS6detail17trampoline_kernelINS0_13select_configILj256ELj13ELNS0_17block_load_methodE3ELS4_3ELS4_3ELNS0_20block_scan_algorithmE0ELj4294967295EEENS1_25partition_config_selectorILNS1_17partition_subalgoE4EjNS0_10empty_typeEbEEZZNS1_14partition_implILS8_4ELb0ES6_15HIP_vector_typeIjLj2EENS0_17counting_iteratorIjlEEPS9_SG_NS0_5tupleIJPjSI_NS0_16reverse_iteratorISI_EEEEENSH_IJSG_SG_SG_EEES9_SI_JZNS1_25segmented_radix_sort_implINS0_14default_configELb1EPK12hip_bfloat16PSP_PKlPlN2at6native12_GLOBAL__N_18offset_tEEE10hipError_tPvRmT1_PNSt15iterator_traitsIS13_E10value_typeET2_T3_PNS14_IS19_E10value_typeET4_jRbjT5_S1F_jjP12ihipStream_tbEUljE_ZNSN_ISO_Lb1ESR_SS_SU_SV_SZ_EES10_S11_S12_S13_S17_S18_S19_S1C_S1D_jS1E_jS1F_S1F_jjS1H_bEUljE0_EEES10_S11_S12_S19_S1D_S1F_T6_T7_T9_mT8_S1H_bDpT10_ENKUlT_T0_E_clISt17integral_constantIbLb0EES1U_IbLb1EEEEDaS1Q_S1R_EUlS1Q_E_NS1_11comp_targetILNS1_3genE9ELNS1_11target_archE1100ELNS1_3gpuE3ELNS1_3repE0EEENS1_30default_config_static_selectorELNS0_4arch9wavefront6targetE0EEEvS13_.num_vgpr, 0
	.set _ZN7rocprim17ROCPRIM_400000_NS6detail17trampoline_kernelINS0_13select_configILj256ELj13ELNS0_17block_load_methodE3ELS4_3ELS4_3ELNS0_20block_scan_algorithmE0ELj4294967295EEENS1_25partition_config_selectorILNS1_17partition_subalgoE4EjNS0_10empty_typeEbEEZZNS1_14partition_implILS8_4ELb0ES6_15HIP_vector_typeIjLj2EENS0_17counting_iteratorIjlEEPS9_SG_NS0_5tupleIJPjSI_NS0_16reverse_iteratorISI_EEEEENSH_IJSG_SG_SG_EEES9_SI_JZNS1_25segmented_radix_sort_implINS0_14default_configELb1EPK12hip_bfloat16PSP_PKlPlN2at6native12_GLOBAL__N_18offset_tEEE10hipError_tPvRmT1_PNSt15iterator_traitsIS13_E10value_typeET2_T3_PNS14_IS19_E10value_typeET4_jRbjT5_S1F_jjP12ihipStream_tbEUljE_ZNSN_ISO_Lb1ESR_SS_SU_SV_SZ_EES10_S11_S12_S13_S17_S18_S19_S1C_S1D_jS1E_jS1F_S1F_jjS1H_bEUljE0_EEES10_S11_S12_S19_S1D_S1F_T6_T7_T9_mT8_S1H_bDpT10_ENKUlT_T0_E_clISt17integral_constantIbLb0EES1U_IbLb1EEEEDaS1Q_S1R_EUlS1Q_E_NS1_11comp_targetILNS1_3genE9ELNS1_11target_archE1100ELNS1_3gpuE3ELNS1_3repE0EEENS1_30default_config_static_selectorELNS0_4arch9wavefront6targetE0EEEvS13_.num_agpr, 0
	.set _ZN7rocprim17ROCPRIM_400000_NS6detail17trampoline_kernelINS0_13select_configILj256ELj13ELNS0_17block_load_methodE3ELS4_3ELS4_3ELNS0_20block_scan_algorithmE0ELj4294967295EEENS1_25partition_config_selectorILNS1_17partition_subalgoE4EjNS0_10empty_typeEbEEZZNS1_14partition_implILS8_4ELb0ES6_15HIP_vector_typeIjLj2EENS0_17counting_iteratorIjlEEPS9_SG_NS0_5tupleIJPjSI_NS0_16reverse_iteratorISI_EEEEENSH_IJSG_SG_SG_EEES9_SI_JZNS1_25segmented_radix_sort_implINS0_14default_configELb1EPK12hip_bfloat16PSP_PKlPlN2at6native12_GLOBAL__N_18offset_tEEE10hipError_tPvRmT1_PNSt15iterator_traitsIS13_E10value_typeET2_T3_PNS14_IS19_E10value_typeET4_jRbjT5_S1F_jjP12ihipStream_tbEUljE_ZNSN_ISO_Lb1ESR_SS_SU_SV_SZ_EES10_S11_S12_S13_S17_S18_S19_S1C_S1D_jS1E_jS1F_S1F_jjS1H_bEUljE0_EEES10_S11_S12_S19_S1D_S1F_T6_T7_T9_mT8_S1H_bDpT10_ENKUlT_T0_E_clISt17integral_constantIbLb0EES1U_IbLb1EEEEDaS1Q_S1R_EUlS1Q_E_NS1_11comp_targetILNS1_3genE9ELNS1_11target_archE1100ELNS1_3gpuE3ELNS1_3repE0EEENS1_30default_config_static_selectorELNS0_4arch9wavefront6targetE0EEEvS13_.numbered_sgpr, 0
	.set _ZN7rocprim17ROCPRIM_400000_NS6detail17trampoline_kernelINS0_13select_configILj256ELj13ELNS0_17block_load_methodE3ELS4_3ELS4_3ELNS0_20block_scan_algorithmE0ELj4294967295EEENS1_25partition_config_selectorILNS1_17partition_subalgoE4EjNS0_10empty_typeEbEEZZNS1_14partition_implILS8_4ELb0ES6_15HIP_vector_typeIjLj2EENS0_17counting_iteratorIjlEEPS9_SG_NS0_5tupleIJPjSI_NS0_16reverse_iteratorISI_EEEEENSH_IJSG_SG_SG_EEES9_SI_JZNS1_25segmented_radix_sort_implINS0_14default_configELb1EPK12hip_bfloat16PSP_PKlPlN2at6native12_GLOBAL__N_18offset_tEEE10hipError_tPvRmT1_PNSt15iterator_traitsIS13_E10value_typeET2_T3_PNS14_IS19_E10value_typeET4_jRbjT5_S1F_jjP12ihipStream_tbEUljE_ZNSN_ISO_Lb1ESR_SS_SU_SV_SZ_EES10_S11_S12_S13_S17_S18_S19_S1C_S1D_jS1E_jS1F_S1F_jjS1H_bEUljE0_EEES10_S11_S12_S19_S1D_S1F_T6_T7_T9_mT8_S1H_bDpT10_ENKUlT_T0_E_clISt17integral_constantIbLb0EES1U_IbLb1EEEEDaS1Q_S1R_EUlS1Q_E_NS1_11comp_targetILNS1_3genE9ELNS1_11target_archE1100ELNS1_3gpuE3ELNS1_3repE0EEENS1_30default_config_static_selectorELNS0_4arch9wavefront6targetE0EEEvS13_.num_named_barrier, 0
	.set _ZN7rocprim17ROCPRIM_400000_NS6detail17trampoline_kernelINS0_13select_configILj256ELj13ELNS0_17block_load_methodE3ELS4_3ELS4_3ELNS0_20block_scan_algorithmE0ELj4294967295EEENS1_25partition_config_selectorILNS1_17partition_subalgoE4EjNS0_10empty_typeEbEEZZNS1_14partition_implILS8_4ELb0ES6_15HIP_vector_typeIjLj2EENS0_17counting_iteratorIjlEEPS9_SG_NS0_5tupleIJPjSI_NS0_16reverse_iteratorISI_EEEEENSH_IJSG_SG_SG_EEES9_SI_JZNS1_25segmented_radix_sort_implINS0_14default_configELb1EPK12hip_bfloat16PSP_PKlPlN2at6native12_GLOBAL__N_18offset_tEEE10hipError_tPvRmT1_PNSt15iterator_traitsIS13_E10value_typeET2_T3_PNS14_IS19_E10value_typeET4_jRbjT5_S1F_jjP12ihipStream_tbEUljE_ZNSN_ISO_Lb1ESR_SS_SU_SV_SZ_EES10_S11_S12_S13_S17_S18_S19_S1C_S1D_jS1E_jS1F_S1F_jjS1H_bEUljE0_EEES10_S11_S12_S19_S1D_S1F_T6_T7_T9_mT8_S1H_bDpT10_ENKUlT_T0_E_clISt17integral_constantIbLb0EES1U_IbLb1EEEEDaS1Q_S1R_EUlS1Q_E_NS1_11comp_targetILNS1_3genE9ELNS1_11target_archE1100ELNS1_3gpuE3ELNS1_3repE0EEENS1_30default_config_static_selectorELNS0_4arch9wavefront6targetE0EEEvS13_.private_seg_size, 0
	.set _ZN7rocprim17ROCPRIM_400000_NS6detail17trampoline_kernelINS0_13select_configILj256ELj13ELNS0_17block_load_methodE3ELS4_3ELS4_3ELNS0_20block_scan_algorithmE0ELj4294967295EEENS1_25partition_config_selectorILNS1_17partition_subalgoE4EjNS0_10empty_typeEbEEZZNS1_14partition_implILS8_4ELb0ES6_15HIP_vector_typeIjLj2EENS0_17counting_iteratorIjlEEPS9_SG_NS0_5tupleIJPjSI_NS0_16reverse_iteratorISI_EEEEENSH_IJSG_SG_SG_EEES9_SI_JZNS1_25segmented_radix_sort_implINS0_14default_configELb1EPK12hip_bfloat16PSP_PKlPlN2at6native12_GLOBAL__N_18offset_tEEE10hipError_tPvRmT1_PNSt15iterator_traitsIS13_E10value_typeET2_T3_PNS14_IS19_E10value_typeET4_jRbjT5_S1F_jjP12ihipStream_tbEUljE_ZNSN_ISO_Lb1ESR_SS_SU_SV_SZ_EES10_S11_S12_S13_S17_S18_S19_S1C_S1D_jS1E_jS1F_S1F_jjS1H_bEUljE0_EEES10_S11_S12_S19_S1D_S1F_T6_T7_T9_mT8_S1H_bDpT10_ENKUlT_T0_E_clISt17integral_constantIbLb0EES1U_IbLb1EEEEDaS1Q_S1R_EUlS1Q_E_NS1_11comp_targetILNS1_3genE9ELNS1_11target_archE1100ELNS1_3gpuE3ELNS1_3repE0EEENS1_30default_config_static_selectorELNS0_4arch9wavefront6targetE0EEEvS13_.uses_vcc, 0
	.set _ZN7rocprim17ROCPRIM_400000_NS6detail17trampoline_kernelINS0_13select_configILj256ELj13ELNS0_17block_load_methodE3ELS4_3ELS4_3ELNS0_20block_scan_algorithmE0ELj4294967295EEENS1_25partition_config_selectorILNS1_17partition_subalgoE4EjNS0_10empty_typeEbEEZZNS1_14partition_implILS8_4ELb0ES6_15HIP_vector_typeIjLj2EENS0_17counting_iteratorIjlEEPS9_SG_NS0_5tupleIJPjSI_NS0_16reverse_iteratorISI_EEEEENSH_IJSG_SG_SG_EEES9_SI_JZNS1_25segmented_radix_sort_implINS0_14default_configELb1EPK12hip_bfloat16PSP_PKlPlN2at6native12_GLOBAL__N_18offset_tEEE10hipError_tPvRmT1_PNSt15iterator_traitsIS13_E10value_typeET2_T3_PNS14_IS19_E10value_typeET4_jRbjT5_S1F_jjP12ihipStream_tbEUljE_ZNSN_ISO_Lb1ESR_SS_SU_SV_SZ_EES10_S11_S12_S13_S17_S18_S19_S1C_S1D_jS1E_jS1F_S1F_jjS1H_bEUljE0_EEES10_S11_S12_S19_S1D_S1F_T6_T7_T9_mT8_S1H_bDpT10_ENKUlT_T0_E_clISt17integral_constantIbLb0EES1U_IbLb1EEEEDaS1Q_S1R_EUlS1Q_E_NS1_11comp_targetILNS1_3genE9ELNS1_11target_archE1100ELNS1_3gpuE3ELNS1_3repE0EEENS1_30default_config_static_selectorELNS0_4arch9wavefront6targetE0EEEvS13_.uses_flat_scratch, 0
	.set _ZN7rocprim17ROCPRIM_400000_NS6detail17trampoline_kernelINS0_13select_configILj256ELj13ELNS0_17block_load_methodE3ELS4_3ELS4_3ELNS0_20block_scan_algorithmE0ELj4294967295EEENS1_25partition_config_selectorILNS1_17partition_subalgoE4EjNS0_10empty_typeEbEEZZNS1_14partition_implILS8_4ELb0ES6_15HIP_vector_typeIjLj2EENS0_17counting_iteratorIjlEEPS9_SG_NS0_5tupleIJPjSI_NS0_16reverse_iteratorISI_EEEEENSH_IJSG_SG_SG_EEES9_SI_JZNS1_25segmented_radix_sort_implINS0_14default_configELb1EPK12hip_bfloat16PSP_PKlPlN2at6native12_GLOBAL__N_18offset_tEEE10hipError_tPvRmT1_PNSt15iterator_traitsIS13_E10value_typeET2_T3_PNS14_IS19_E10value_typeET4_jRbjT5_S1F_jjP12ihipStream_tbEUljE_ZNSN_ISO_Lb1ESR_SS_SU_SV_SZ_EES10_S11_S12_S13_S17_S18_S19_S1C_S1D_jS1E_jS1F_S1F_jjS1H_bEUljE0_EEES10_S11_S12_S19_S1D_S1F_T6_T7_T9_mT8_S1H_bDpT10_ENKUlT_T0_E_clISt17integral_constantIbLb0EES1U_IbLb1EEEEDaS1Q_S1R_EUlS1Q_E_NS1_11comp_targetILNS1_3genE9ELNS1_11target_archE1100ELNS1_3gpuE3ELNS1_3repE0EEENS1_30default_config_static_selectorELNS0_4arch9wavefront6targetE0EEEvS13_.has_dyn_sized_stack, 0
	.set _ZN7rocprim17ROCPRIM_400000_NS6detail17trampoline_kernelINS0_13select_configILj256ELj13ELNS0_17block_load_methodE3ELS4_3ELS4_3ELNS0_20block_scan_algorithmE0ELj4294967295EEENS1_25partition_config_selectorILNS1_17partition_subalgoE4EjNS0_10empty_typeEbEEZZNS1_14partition_implILS8_4ELb0ES6_15HIP_vector_typeIjLj2EENS0_17counting_iteratorIjlEEPS9_SG_NS0_5tupleIJPjSI_NS0_16reverse_iteratorISI_EEEEENSH_IJSG_SG_SG_EEES9_SI_JZNS1_25segmented_radix_sort_implINS0_14default_configELb1EPK12hip_bfloat16PSP_PKlPlN2at6native12_GLOBAL__N_18offset_tEEE10hipError_tPvRmT1_PNSt15iterator_traitsIS13_E10value_typeET2_T3_PNS14_IS19_E10value_typeET4_jRbjT5_S1F_jjP12ihipStream_tbEUljE_ZNSN_ISO_Lb1ESR_SS_SU_SV_SZ_EES10_S11_S12_S13_S17_S18_S19_S1C_S1D_jS1E_jS1F_S1F_jjS1H_bEUljE0_EEES10_S11_S12_S19_S1D_S1F_T6_T7_T9_mT8_S1H_bDpT10_ENKUlT_T0_E_clISt17integral_constantIbLb0EES1U_IbLb1EEEEDaS1Q_S1R_EUlS1Q_E_NS1_11comp_targetILNS1_3genE9ELNS1_11target_archE1100ELNS1_3gpuE3ELNS1_3repE0EEENS1_30default_config_static_selectorELNS0_4arch9wavefront6targetE0EEEvS13_.has_recursion, 0
	.set _ZN7rocprim17ROCPRIM_400000_NS6detail17trampoline_kernelINS0_13select_configILj256ELj13ELNS0_17block_load_methodE3ELS4_3ELS4_3ELNS0_20block_scan_algorithmE0ELj4294967295EEENS1_25partition_config_selectorILNS1_17partition_subalgoE4EjNS0_10empty_typeEbEEZZNS1_14partition_implILS8_4ELb0ES6_15HIP_vector_typeIjLj2EENS0_17counting_iteratorIjlEEPS9_SG_NS0_5tupleIJPjSI_NS0_16reverse_iteratorISI_EEEEENSH_IJSG_SG_SG_EEES9_SI_JZNS1_25segmented_radix_sort_implINS0_14default_configELb1EPK12hip_bfloat16PSP_PKlPlN2at6native12_GLOBAL__N_18offset_tEEE10hipError_tPvRmT1_PNSt15iterator_traitsIS13_E10value_typeET2_T3_PNS14_IS19_E10value_typeET4_jRbjT5_S1F_jjP12ihipStream_tbEUljE_ZNSN_ISO_Lb1ESR_SS_SU_SV_SZ_EES10_S11_S12_S13_S17_S18_S19_S1C_S1D_jS1E_jS1F_S1F_jjS1H_bEUljE0_EEES10_S11_S12_S19_S1D_S1F_T6_T7_T9_mT8_S1H_bDpT10_ENKUlT_T0_E_clISt17integral_constantIbLb0EES1U_IbLb1EEEEDaS1Q_S1R_EUlS1Q_E_NS1_11comp_targetILNS1_3genE9ELNS1_11target_archE1100ELNS1_3gpuE3ELNS1_3repE0EEENS1_30default_config_static_selectorELNS0_4arch9wavefront6targetE0EEEvS13_.has_indirect_call, 0
	.section	.AMDGPU.csdata,"",@progbits
; Kernel info:
; codeLenInByte = 0
; TotalNumSgprs: 0
; NumVgprs: 0
; ScratchSize: 0
; MemoryBound: 0
; FloatMode: 240
; IeeeMode: 1
; LDSByteSize: 0 bytes/workgroup (compile time only)
; SGPRBlocks: 0
; VGPRBlocks: 0
; NumSGPRsForWavesPerEU: 1
; NumVGPRsForWavesPerEU: 1
; Occupancy: 16
; WaveLimiterHint : 0
; COMPUTE_PGM_RSRC2:SCRATCH_EN: 0
; COMPUTE_PGM_RSRC2:USER_SGPR: 6
; COMPUTE_PGM_RSRC2:TRAP_HANDLER: 0
; COMPUTE_PGM_RSRC2:TGID_X_EN: 1
; COMPUTE_PGM_RSRC2:TGID_Y_EN: 0
; COMPUTE_PGM_RSRC2:TGID_Z_EN: 0
; COMPUTE_PGM_RSRC2:TIDIG_COMP_CNT: 0
	.section	.text._ZN7rocprim17ROCPRIM_400000_NS6detail17trampoline_kernelINS0_13select_configILj256ELj13ELNS0_17block_load_methodE3ELS4_3ELS4_3ELNS0_20block_scan_algorithmE0ELj4294967295EEENS1_25partition_config_selectorILNS1_17partition_subalgoE4EjNS0_10empty_typeEbEEZZNS1_14partition_implILS8_4ELb0ES6_15HIP_vector_typeIjLj2EENS0_17counting_iteratorIjlEEPS9_SG_NS0_5tupleIJPjSI_NS0_16reverse_iteratorISI_EEEEENSH_IJSG_SG_SG_EEES9_SI_JZNS1_25segmented_radix_sort_implINS0_14default_configELb1EPK12hip_bfloat16PSP_PKlPlN2at6native12_GLOBAL__N_18offset_tEEE10hipError_tPvRmT1_PNSt15iterator_traitsIS13_E10value_typeET2_T3_PNS14_IS19_E10value_typeET4_jRbjT5_S1F_jjP12ihipStream_tbEUljE_ZNSN_ISO_Lb1ESR_SS_SU_SV_SZ_EES10_S11_S12_S13_S17_S18_S19_S1C_S1D_jS1E_jS1F_S1F_jjS1H_bEUljE0_EEES10_S11_S12_S19_S1D_S1F_T6_T7_T9_mT8_S1H_bDpT10_ENKUlT_T0_E_clISt17integral_constantIbLb0EES1U_IbLb1EEEEDaS1Q_S1R_EUlS1Q_E_NS1_11comp_targetILNS1_3genE8ELNS1_11target_archE1030ELNS1_3gpuE2ELNS1_3repE0EEENS1_30default_config_static_selectorELNS0_4arch9wavefront6targetE0EEEvS13_,"axG",@progbits,_ZN7rocprim17ROCPRIM_400000_NS6detail17trampoline_kernelINS0_13select_configILj256ELj13ELNS0_17block_load_methodE3ELS4_3ELS4_3ELNS0_20block_scan_algorithmE0ELj4294967295EEENS1_25partition_config_selectorILNS1_17partition_subalgoE4EjNS0_10empty_typeEbEEZZNS1_14partition_implILS8_4ELb0ES6_15HIP_vector_typeIjLj2EENS0_17counting_iteratorIjlEEPS9_SG_NS0_5tupleIJPjSI_NS0_16reverse_iteratorISI_EEEEENSH_IJSG_SG_SG_EEES9_SI_JZNS1_25segmented_radix_sort_implINS0_14default_configELb1EPK12hip_bfloat16PSP_PKlPlN2at6native12_GLOBAL__N_18offset_tEEE10hipError_tPvRmT1_PNSt15iterator_traitsIS13_E10value_typeET2_T3_PNS14_IS19_E10value_typeET4_jRbjT5_S1F_jjP12ihipStream_tbEUljE_ZNSN_ISO_Lb1ESR_SS_SU_SV_SZ_EES10_S11_S12_S13_S17_S18_S19_S1C_S1D_jS1E_jS1F_S1F_jjS1H_bEUljE0_EEES10_S11_S12_S19_S1D_S1F_T6_T7_T9_mT8_S1H_bDpT10_ENKUlT_T0_E_clISt17integral_constantIbLb0EES1U_IbLb1EEEEDaS1Q_S1R_EUlS1Q_E_NS1_11comp_targetILNS1_3genE8ELNS1_11target_archE1030ELNS1_3gpuE2ELNS1_3repE0EEENS1_30default_config_static_selectorELNS0_4arch9wavefront6targetE0EEEvS13_,comdat
	.globl	_ZN7rocprim17ROCPRIM_400000_NS6detail17trampoline_kernelINS0_13select_configILj256ELj13ELNS0_17block_load_methodE3ELS4_3ELS4_3ELNS0_20block_scan_algorithmE0ELj4294967295EEENS1_25partition_config_selectorILNS1_17partition_subalgoE4EjNS0_10empty_typeEbEEZZNS1_14partition_implILS8_4ELb0ES6_15HIP_vector_typeIjLj2EENS0_17counting_iteratorIjlEEPS9_SG_NS0_5tupleIJPjSI_NS0_16reverse_iteratorISI_EEEEENSH_IJSG_SG_SG_EEES9_SI_JZNS1_25segmented_radix_sort_implINS0_14default_configELb1EPK12hip_bfloat16PSP_PKlPlN2at6native12_GLOBAL__N_18offset_tEEE10hipError_tPvRmT1_PNSt15iterator_traitsIS13_E10value_typeET2_T3_PNS14_IS19_E10value_typeET4_jRbjT5_S1F_jjP12ihipStream_tbEUljE_ZNSN_ISO_Lb1ESR_SS_SU_SV_SZ_EES10_S11_S12_S13_S17_S18_S19_S1C_S1D_jS1E_jS1F_S1F_jjS1H_bEUljE0_EEES10_S11_S12_S19_S1D_S1F_T6_T7_T9_mT8_S1H_bDpT10_ENKUlT_T0_E_clISt17integral_constantIbLb0EES1U_IbLb1EEEEDaS1Q_S1R_EUlS1Q_E_NS1_11comp_targetILNS1_3genE8ELNS1_11target_archE1030ELNS1_3gpuE2ELNS1_3repE0EEENS1_30default_config_static_selectorELNS0_4arch9wavefront6targetE0EEEvS13_ ; -- Begin function _ZN7rocprim17ROCPRIM_400000_NS6detail17trampoline_kernelINS0_13select_configILj256ELj13ELNS0_17block_load_methodE3ELS4_3ELS4_3ELNS0_20block_scan_algorithmE0ELj4294967295EEENS1_25partition_config_selectorILNS1_17partition_subalgoE4EjNS0_10empty_typeEbEEZZNS1_14partition_implILS8_4ELb0ES6_15HIP_vector_typeIjLj2EENS0_17counting_iteratorIjlEEPS9_SG_NS0_5tupleIJPjSI_NS0_16reverse_iteratorISI_EEEEENSH_IJSG_SG_SG_EEES9_SI_JZNS1_25segmented_radix_sort_implINS0_14default_configELb1EPK12hip_bfloat16PSP_PKlPlN2at6native12_GLOBAL__N_18offset_tEEE10hipError_tPvRmT1_PNSt15iterator_traitsIS13_E10value_typeET2_T3_PNS14_IS19_E10value_typeET4_jRbjT5_S1F_jjP12ihipStream_tbEUljE_ZNSN_ISO_Lb1ESR_SS_SU_SV_SZ_EES10_S11_S12_S13_S17_S18_S19_S1C_S1D_jS1E_jS1F_S1F_jjS1H_bEUljE0_EEES10_S11_S12_S19_S1D_S1F_T6_T7_T9_mT8_S1H_bDpT10_ENKUlT_T0_E_clISt17integral_constantIbLb0EES1U_IbLb1EEEEDaS1Q_S1R_EUlS1Q_E_NS1_11comp_targetILNS1_3genE8ELNS1_11target_archE1030ELNS1_3gpuE2ELNS1_3repE0EEENS1_30default_config_static_selectorELNS0_4arch9wavefront6targetE0EEEvS13_
	.p2align	8
	.type	_ZN7rocprim17ROCPRIM_400000_NS6detail17trampoline_kernelINS0_13select_configILj256ELj13ELNS0_17block_load_methodE3ELS4_3ELS4_3ELNS0_20block_scan_algorithmE0ELj4294967295EEENS1_25partition_config_selectorILNS1_17partition_subalgoE4EjNS0_10empty_typeEbEEZZNS1_14partition_implILS8_4ELb0ES6_15HIP_vector_typeIjLj2EENS0_17counting_iteratorIjlEEPS9_SG_NS0_5tupleIJPjSI_NS0_16reverse_iteratorISI_EEEEENSH_IJSG_SG_SG_EEES9_SI_JZNS1_25segmented_radix_sort_implINS0_14default_configELb1EPK12hip_bfloat16PSP_PKlPlN2at6native12_GLOBAL__N_18offset_tEEE10hipError_tPvRmT1_PNSt15iterator_traitsIS13_E10value_typeET2_T3_PNS14_IS19_E10value_typeET4_jRbjT5_S1F_jjP12ihipStream_tbEUljE_ZNSN_ISO_Lb1ESR_SS_SU_SV_SZ_EES10_S11_S12_S13_S17_S18_S19_S1C_S1D_jS1E_jS1F_S1F_jjS1H_bEUljE0_EEES10_S11_S12_S19_S1D_S1F_T6_T7_T9_mT8_S1H_bDpT10_ENKUlT_T0_E_clISt17integral_constantIbLb0EES1U_IbLb1EEEEDaS1Q_S1R_EUlS1Q_E_NS1_11comp_targetILNS1_3genE8ELNS1_11target_archE1030ELNS1_3gpuE2ELNS1_3repE0EEENS1_30default_config_static_selectorELNS0_4arch9wavefront6targetE0EEEvS13_,@function
_ZN7rocprim17ROCPRIM_400000_NS6detail17trampoline_kernelINS0_13select_configILj256ELj13ELNS0_17block_load_methodE3ELS4_3ELS4_3ELNS0_20block_scan_algorithmE0ELj4294967295EEENS1_25partition_config_selectorILNS1_17partition_subalgoE4EjNS0_10empty_typeEbEEZZNS1_14partition_implILS8_4ELb0ES6_15HIP_vector_typeIjLj2EENS0_17counting_iteratorIjlEEPS9_SG_NS0_5tupleIJPjSI_NS0_16reverse_iteratorISI_EEEEENSH_IJSG_SG_SG_EEES9_SI_JZNS1_25segmented_radix_sort_implINS0_14default_configELb1EPK12hip_bfloat16PSP_PKlPlN2at6native12_GLOBAL__N_18offset_tEEE10hipError_tPvRmT1_PNSt15iterator_traitsIS13_E10value_typeET2_T3_PNS14_IS19_E10value_typeET4_jRbjT5_S1F_jjP12ihipStream_tbEUljE_ZNSN_ISO_Lb1ESR_SS_SU_SV_SZ_EES10_S11_S12_S13_S17_S18_S19_S1C_S1D_jS1E_jS1F_S1F_jjS1H_bEUljE0_EEES10_S11_S12_S19_S1D_S1F_T6_T7_T9_mT8_S1H_bDpT10_ENKUlT_T0_E_clISt17integral_constantIbLb0EES1U_IbLb1EEEEDaS1Q_S1R_EUlS1Q_E_NS1_11comp_targetILNS1_3genE8ELNS1_11target_archE1030ELNS1_3gpuE2ELNS1_3repE0EEENS1_30default_config_static_selectorELNS0_4arch9wavefront6targetE0EEEvS13_: ; @_ZN7rocprim17ROCPRIM_400000_NS6detail17trampoline_kernelINS0_13select_configILj256ELj13ELNS0_17block_load_methodE3ELS4_3ELS4_3ELNS0_20block_scan_algorithmE0ELj4294967295EEENS1_25partition_config_selectorILNS1_17partition_subalgoE4EjNS0_10empty_typeEbEEZZNS1_14partition_implILS8_4ELb0ES6_15HIP_vector_typeIjLj2EENS0_17counting_iteratorIjlEEPS9_SG_NS0_5tupleIJPjSI_NS0_16reverse_iteratorISI_EEEEENSH_IJSG_SG_SG_EEES9_SI_JZNS1_25segmented_radix_sort_implINS0_14default_configELb1EPK12hip_bfloat16PSP_PKlPlN2at6native12_GLOBAL__N_18offset_tEEE10hipError_tPvRmT1_PNSt15iterator_traitsIS13_E10value_typeET2_T3_PNS14_IS19_E10value_typeET4_jRbjT5_S1F_jjP12ihipStream_tbEUljE_ZNSN_ISO_Lb1ESR_SS_SU_SV_SZ_EES10_S11_S12_S13_S17_S18_S19_S1C_S1D_jS1E_jS1F_S1F_jjS1H_bEUljE0_EEES10_S11_S12_S19_S1D_S1F_T6_T7_T9_mT8_S1H_bDpT10_ENKUlT_T0_E_clISt17integral_constantIbLb0EES1U_IbLb1EEEEDaS1Q_S1R_EUlS1Q_E_NS1_11comp_targetILNS1_3genE8ELNS1_11target_archE1030ELNS1_3gpuE2ELNS1_3repE0EEENS1_30default_config_static_selectorELNS0_4arch9wavefront6targetE0EEEvS13_
; %bb.0:
	s_clause 0x7
	s_load_dwordx2 s[34:35], s[4:5], 0x10
	s_load_dwordx4 s[28:31], s[4:5], 0x28
	s_load_dwordx2 s[14:15], s[4:5], 0x38
	s_load_dwordx4 s[24:27], s[4:5], 0x58
	s_load_dwordx2 s[2:3], s[4:5], 0x68
	s_load_dwordx2 s[36:37], s[4:5], 0x78
	;; [unrolled: 1-line block ×3, first 2 shown]
	s_load_dwordx8 s[16:23], s[4:5], 0x90
	v_cmp_eq_u32_e64 s0, 0, v0
	s_and_saveexec_b32 s1, s0
	s_cbranch_execz .LBB1903_4
; %bb.1:
	s_mov_b32 s7, exec_lo
	s_mov_b32 s6, exec_lo
	v_mbcnt_lo_u32_b32 v1, s7, 0
                                        ; implicit-def: $vgpr2
	v_cmpx_eq_u32_e32 0, v1
	s_cbranch_execz .LBB1903_3
; %bb.2:
	s_load_dwordx2 s[8:9], s[4:5], 0x88
	s_bcnt1_i32_b32 s7, s7
	v_mov_b32_e32 v2, 0
	v_mov_b32_e32 v3, s7
	s_waitcnt lgkmcnt(0)
	global_atomic_add v2, v2, v3, s[8:9] glc
.LBB1903_3:
	s_or_b32 exec_lo, exec_lo, s6
	s_waitcnt vmcnt(0)
	v_readfirstlane_b32 s6, v2
	v_mov_b32_e32 v2, 0
	v_add_nc_u32_e32 v1, s6, v1
	ds_write_b32 v2, v1
.LBB1903_4:
	s_or_b32 exec_lo, exec_lo, s1
	v_mov_b32_e32 v1, 0
	s_clause 0x1
	s_load_dword s6, s[4:5], 0x8
	s_load_dword s1, s[4:5], 0x80
	s_waitcnt lgkmcnt(0)
	s_barrier
	buffer_gl0_inv
	ds_read_b32 v5, v1
	s_waitcnt lgkmcnt(0)
	s_barrier
	buffer_gl0_inv
	global_load_dwordx4 v[1:4], v1, s[26:27]
	s_add_i32 s5, s6, s34
	s_mul_i32 s4, s1, 0xd00
	s_add_i32 s1, s1, -1
	s_add_u32 s6, s34, s4
	s_addc_u32 s7, s35, 0
	v_mul_lo_u32 v31, 0xd00, v5
	v_readfirstlane_b32 s27, v5
	v_cmp_gt_u64_e64 s3, s[2:3], s[6:7]
	v_cmp_ne_u32_e32 vcc_lo, s1, v5
	s_cmp_eq_u32 s27, s1
	s_cselect_b32 s26, -1, 0
	v_add3_u32 v5, v31, s5, v0
	s_or_b32 s1, s3, vcc_lo
	s_mov_b32 s3, -1
	s_and_b32 vcc_lo, exec_lo, s1
	v_add_nc_u32_e32 v6, 0x100, v5
	v_add_nc_u32_e32 v7, 0x200, v5
	;; [unrolled: 1-line block ×12, first 2 shown]
	s_cbranch_vccz .LBB1903_6
; %bb.5:
	v_lshlrev_b32_e32 v18, 2, v0
	s_mov_b32 s3, 0
	ds_write2st64_b32 v18, v5, v6 offset1:4
	ds_write2st64_b32 v18, v7, v8 offset0:8 offset1:12
	ds_write2st64_b32 v18, v9, v10 offset0:16 offset1:20
	;; [unrolled: 1-line block ×5, first 2 shown]
	ds_write_b32 v18, v17 offset:12288
	s_waitcnt vmcnt(0) lgkmcnt(0)
	s_barrier
.LBB1903_6:
	s_andn2_b32 vcc_lo, exec_lo, s3
	s_add_i32 s4, s4, s34
	s_cbranch_vccnz .LBB1903_8
; %bb.7:
	v_lshlrev_b32_e32 v18, 2, v0
	ds_write2st64_b32 v18, v5, v6 offset1:4
	ds_write2st64_b32 v18, v7, v8 offset0:8 offset1:12
	ds_write2st64_b32 v18, v9, v10 offset0:16 offset1:20
	;; [unrolled: 1-line block ×5, first 2 shown]
	ds_write_b32 v18, v17 offset:12288
	s_waitcnt vmcnt(0) lgkmcnt(0)
	s_barrier
.LBB1903_8:
	v_mul_u32_u24_e32 v34, 13, v0
	s_waitcnt vmcnt(0)
	buffer_gl0_inv
	v_cndmask_b32_e64 v32, 0, 1, s1
	s_sub_i32 s33, s2, s4
	s_andn2_b32 vcc_lo, exec_lo, s1
	v_lshlrev_b32_e32 v5, 2, v34
	ds_read_b32 v33, v5 offset:48
	ds_read2_b32 v[13:14], v5 offset0:10 offset1:11
	ds_read2_b32 v[15:16], v5 offset0:8 offset1:9
	;; [unrolled: 1-line block ×4, first 2 shown]
	ds_read2_b32 v[23:24], v5 offset1:1
	ds_read2_b32 v[21:22], v5 offset0:2 offset1:3
	s_waitcnt lgkmcnt(0)
	s_barrier
	buffer_gl0_inv
	s_cbranch_vccnz .LBB1903_36
; %bb.9:
	v_add_nc_u32_e32 v5, s17, v23
	v_add_nc_u32_e32 v6, s19, v23
	s_mov_b32 s41, 0
	s_mov_b32 s40, 0
	s_mov_b32 s2, exec_lo
	v_mul_lo_u32 v5, v5, s16
	v_mul_lo_u32 v6, v6, s18
	v_sub_nc_u32_e32 v5, v5, v6
	v_cmp_lt_u32_e32 vcc_lo, s20, v5
	v_cmpx_ge_u32_e64 s20, v5
	s_cbranch_execz .LBB1903_11
; %bb.10:
	v_add_nc_u32_e32 v5, s22, v23
	v_add_nc_u32_e32 v6, s38, v23
	v_mul_lo_u32 v5, v5, s21
	v_mul_lo_u32 v6, v6, s23
	v_sub_nc_u32_e32 v5, v5, v6
	v_cmp_lt_u32_e64 s1, s39, v5
	s_and_b32 s40, s1, exec_lo
.LBB1903_11:
	s_or_b32 exec_lo, exec_lo, s2
	v_add_nc_u32_e32 v5, s17, v24
	v_add_nc_u32_e32 v6, s19, v24
	s_mov_b32 s3, exec_lo
	v_mul_lo_u32 v5, v5, s16
	v_mul_lo_u32 v6, v6, s18
	v_sub_nc_u32_e32 v5, v5, v6
	v_cmp_lt_u32_e64 s1, s20, v5
	v_cmpx_ge_u32_e64 s20, v5
	s_cbranch_execz .LBB1903_13
; %bb.12:
	v_add_nc_u32_e32 v5, s22, v24
	v_add_nc_u32_e32 v6, s38, v24
	v_mul_lo_u32 v5, v5, s21
	v_mul_lo_u32 v6, v6, s23
	v_sub_nc_u32_e32 v5, v5, v6
	v_cmp_lt_u32_e64 s2, s39, v5
	s_and_b32 s41, s2, exec_lo
.LBB1903_13:
	s_or_b32 exec_lo, exec_lo, s3
	v_add_nc_u32_e32 v5, s17, v21
	v_add_nc_u32_e32 v6, s19, v21
	s_mov_b32 s43, 0
	s_mov_b32 s42, 0
	s_mov_b32 s4, exec_lo
	v_mul_lo_u32 v5, v5, s16
	v_mul_lo_u32 v6, v6, s18
	v_sub_nc_u32_e32 v5, v5, v6
	v_cmp_lt_u32_e64 s2, s20, v5
	v_cmpx_ge_u32_e64 s20, v5
	s_cbranch_execz .LBB1903_15
; %bb.14:
	v_add_nc_u32_e32 v5, s22, v21
	v_add_nc_u32_e32 v6, s38, v21
	v_mul_lo_u32 v5, v5, s21
	v_mul_lo_u32 v6, v6, s23
	v_sub_nc_u32_e32 v5, v5, v6
	v_cmp_lt_u32_e64 s3, s39, v5
	s_and_b32 s42, s3, exec_lo
.LBB1903_15:
	s_or_b32 exec_lo, exec_lo, s4
	v_add_nc_u32_e32 v5, s17, v22
	v_add_nc_u32_e32 v6, s19, v22
	s_mov_b32 s5, exec_lo
	v_mul_lo_u32 v5, v5, s16
	v_mul_lo_u32 v6, v6, s18
	v_sub_nc_u32_e32 v5, v5, v6
	v_cmp_lt_u32_e64 s3, s20, v5
	v_cmpx_ge_u32_e64 s20, v5
	s_cbranch_execz .LBB1903_17
; %bb.16:
	v_add_nc_u32_e32 v5, s22, v22
	v_add_nc_u32_e32 v6, s38, v22
	v_mul_lo_u32 v5, v5, s21
	v_mul_lo_u32 v6, v6, s23
	v_sub_nc_u32_e32 v5, v5, v6
	v_cmp_lt_u32_e64 s4, s39, v5
	s_and_b32 s43, s4, exec_lo
.LBB1903_17:
	s_or_b32 exec_lo, exec_lo, s5
	v_add_nc_u32_e32 v5, s17, v19
	v_add_nc_u32_e32 v6, s19, v19
	s_mov_b32 s45, 0
	s_mov_b32 s44, 0
	s_mov_b32 s6, exec_lo
	v_mul_lo_u32 v5, v5, s16
	v_mul_lo_u32 v6, v6, s18
	v_sub_nc_u32_e32 v5, v5, v6
	v_cmp_lt_u32_e64 s4, s20, v5
	;; [unrolled: 40-line block ×6, first 2 shown]
	v_cmpx_ge_u32_e64 s20, v5
	s_cbranch_execz .LBB1903_35
; %bb.34:
	v_add_nc_u32_e32 v5, s22, v33
	v_add_nc_u32_e32 v6, s38, v33
	v_mul_lo_u32 v5, v5, s21
	v_mul_lo_u32 v6, v6, s23
	v_sub_nc_u32_e32 v5, v5, v6
	v_cmp_lt_u32_e64 s13, s39, v5
	s_and_b32 s53, s13, exec_lo
.LBB1903_35:
	s_or_b32 exec_lo, exec_lo, s54
	v_cndmask_b32_e64 v6, 0, 1, s1
	v_cndmask_b32_e64 v8, 0, 1, s3
	v_cndmask_b32_e64 v5, 0, 1, vcc_lo
	v_cndmask_b32_e64 v7, 0, 1, s2
	v_cndmask_b32_e64 v10, 0, 1, s5
	v_lshlrev_b16 v6, 8, v6
	v_lshlrev_b16 v8, 8, v8
	v_cndmask_b32_e64 v12, 0, 1, s7
	v_cndmask_b32_e64 v26, 0, 1, s9
	;; [unrolled: 1-line block ×3, first 2 shown]
	v_or_b32_e32 v5, v5, v6
	v_or_b32_sdwa v6, v7, v8 dst_sel:WORD_1 dst_unused:UNUSED_PAD src0_sel:DWORD src1_sel:DWORD
	v_cndmask_b32_e64 v7, 0, 1, s40
	v_cndmask_b32_e64 v9, 0, 1, s4
	;; [unrolled: 1-line block ×11, first 2 shown]
	v_or_b32_sdwa v35, v5, v6 dst_sel:DWORD dst_unused:UNUSED_PAD src0_sel:WORD_0 src1_sel:DWORD
	v_lshlrev_b16 v5, 8, v10
	v_lshlrev_b16 v6, 8, v12
	;; [unrolled: 1-line block ×5, first 2 shown]
	v_cndmask_b32_e64 v30, 0, 1, s49
	v_cndmask_b32_e64 v37, 0, 1, s47
	;; [unrolled: 1-line block ×5, first 2 shown]
	v_or_b32_e32 v5, v9, v5
	v_or_b32_sdwa v6, v11, v6 dst_sel:WORD_1 dst_unused:UNUSED_PAD src0_sel:DWORD src1_sel:DWORD
	v_or_b32_e32 v9, v25, v10
	v_or_b32_sdwa v10, v27, v12 dst_sel:WORD_1 dst_unused:UNUSED_PAD src0_sel:DWORD src1_sel:DWORD
	v_or_b32_e32 v7, v8, v7
	v_lshlrev_b16 v8, 8, v44
	v_lshlrev_b16 v11, 8, v41
	;; [unrolled: 1-line block ×5, first 2 shown]
	v_or_b32_sdwa v8, v45, v8 dst_sel:WORD_1 dst_unused:UNUSED_PAD src0_sel:DWORD src1_sel:DWORD
	v_or_b32_e32 v11, v43, v11
	v_or_b32_sdwa v12, v40, v12 dst_sel:WORD_1 dst_unused:UNUSED_PAD src0_sel:DWORD src1_sel:DWORD
	v_or_b32_e32 v25, v37, v25
	v_or_b32_sdwa v26, v30, v26 dst_sel:WORD_1 dst_unused:UNUSED_PAD src0_sel:DWORD src1_sel:DWORD
	v_cndmask_b32_e64 v39, 0, 1, s51
	v_cndmask_b32_e64 v42, 0, 1, s53
	v_or_b32_sdwa v37, v5, v6 dst_sel:DWORD dst_unused:UNUSED_PAD src0_sel:WORD_0 src1_sel:DWORD
	v_or_b32_sdwa v40, v9, v10 dst_sel:DWORD dst_unused:UNUSED_PAD src0_sel:WORD_0 src1_sel:DWORD
	;; [unrolled: 1-line block ×5, first 2 shown]
	s_and_b32 vcc_lo, exec_lo, s50
	s_add_i32 s5, s33, 0xd00
	s_cbranch_vccnz .LBB1903_37
	s_branch .LBB1903_114
.LBB1903_36:
                                        ; implicit-def: $vgpr42
                                        ; implicit-def: $vgpr39
                                        ; implicit-def: $vgpr38
                                        ; implicit-def: $vgpr36
                                        ; implicit-def: $vgpr41
                                        ; implicit-def: $vgpr40
                                        ; implicit-def: $vgpr37
                                        ; implicit-def: $vgpr35
	s_add_i32 s5, s33, 0xd00
	s_cbranch_execz .LBB1903_114
.LBB1903_37:
	v_mov_b32_e32 v6, 0
	v_mov_b32_e32 v5, 0
	s_mov_b32 s2, exec_lo
	v_cmpx_gt_u32_e64 s5, v34
	s_cbranch_execz .LBB1903_41
; %bb.38:
	v_add_nc_u32_e32 v5, s17, v23
	v_add_nc_u32_e32 v6, s19, v23
	s_mov_b32 s4, 0
	s_mov_b32 s3, exec_lo
	v_mul_lo_u32 v5, v5, s16
	v_mul_lo_u32 v6, v6, s18
	v_sub_nc_u32_e32 v5, v5, v6
	v_cmp_lt_u32_e32 vcc_lo, s20, v5
	v_cmpx_ge_u32_e64 s20, v5
	s_cbranch_execz .LBB1903_40
; %bb.39:
	v_add_nc_u32_e32 v5, s22, v23
	v_add_nc_u32_e32 v6, s38, v23
	v_mul_lo_u32 v5, v5, s21
	v_mul_lo_u32 v6, v6, s23
	v_sub_nc_u32_e32 v5, v5, v6
	v_cmp_lt_u32_e64 s1, s39, v5
	s_and_b32 s4, s1, exec_lo
.LBB1903_40:
	s_or_b32 exec_lo, exec_lo, s3
	v_cndmask_b32_e64 v6, 0, 1, s4
	v_cndmask_b32_e64 v5, 0, 1, vcc_lo
.LBB1903_41:
	s_or_b32 exec_lo, exec_lo, s2
	v_add_nc_u32_e32 v7, 1, v34
	v_lshlrev_b16 v25, 8, v6
	v_and_b32_e32 v10, 0xff, v5
	v_lshlrev_b16 v11, 8, 0
                                        ; implicit-def: $vgpr9
                                        ; implicit-def: $vgpr12
                                        ; implicit-def: $vgpr6
                                        ; implicit-def: $vgpr8
	v_cmp_le_u32_e32 vcc_lo, s5, v7
                                        ; implicit-def: $vgpr7
	s_and_saveexec_b32 s1, vcc_lo
	s_xor_b32 s1, exec_lo, s1
	s_cbranch_execz .LBB1903_43
; %bb.42:
	v_mov_b32_e32 v5, 8
	v_mov_b32_e32 v6, 0xff
	;; [unrolled: 1-line block ×3, first 2 shown]
	v_and_b32_e32 v8, 0xffff, v11
	v_and_b32_e32 v7, 0xffff, v11
	v_lshrrev_b32_sdwa v5, v5, v25 dst_sel:BYTE_1 dst_unused:UNUSED_PAD src0_sel:DWORD src1_sel:WORD_0
	v_and_b32_sdwa v6, v25, v6 dst_sel:DWORD dst_unused:UNUSED_PAD src0_sel:WORD_0 src1_sel:DWORD
                                        ; implicit-def: $vgpr25
	v_or_b32_e32 v5, v6, v5
	v_and_b32_e32 v6, 0xffff, v11
                                        ; implicit-def: $vgpr11
	v_and_b32_e32 v12, 0xffff, v5
                                        ; implicit-def: $vgpr5
.LBB1903_43:
	s_andn2_saveexec_b32 s2, s1
	s_cbranch_execz .LBB1903_47
; %bb.44:
	v_add_nc_u32_e32 v6, s17, v24
	v_add_nc_u32_e32 v7, s19, v24
	s_mov_b32 s3, 0
	s_mov_b32 s4, exec_lo
	v_mul_lo_u32 v6, v6, s16
	v_mul_lo_u32 v7, v7, s18
	v_sub_nc_u32_e32 v6, v6, v7
	v_cmp_lt_u32_e32 vcc_lo, s20, v6
	v_cmpx_ge_u32_e64 s20, v6
	s_cbranch_execz .LBB1903_46
; %bb.45:
	v_add_nc_u32_e32 v6, s22, v24
	v_add_nc_u32_e32 v7, s38, v24
	v_mul_lo_u32 v6, v6, s21
	v_mul_lo_u32 v7, v7, s23
	v_sub_nc_u32_e32 v6, v6, v7
	v_cmp_lt_u32_e64 s1, s39, v6
	s_and_b32 s3, s1, exec_lo
.LBB1903_46:
	s_or_b32 exec_lo, exec_lo, s4
	v_mov_b32_e32 v6, 0xff
	v_mov_b32_e32 v7, 8
	v_cndmask_b32_e64 v8, 0, 1, vcc_lo
	v_mov_b32_e32 v9, 0
	v_and_b32_sdwa v6, v25, v6 dst_sel:DWORD dst_unused:UNUSED_PAD src0_sel:WORD_0 src1_sel:DWORD
	v_lshrrev_b32_sdwa v7, v7, v25 dst_sel:BYTE_1 dst_unused:UNUSED_PAD src0_sel:DWORD src1_sel:WORD_0
	v_lshlrev_b16 v8, 8, v8
	v_or_b32_e32 v6, v6, v7
	v_cndmask_b32_e64 v7, 0, 1, s3
	v_or_b32_sdwa v5, v5, v8 dst_sel:DWORD dst_unused:UNUSED_PAD src0_sel:BYTE_0 src1_sel:DWORD
	v_and_b32_e32 v8, 0xffff, v11
	v_and_b32_e32 v12, 0xffff, v6
	v_mov_b32_e32 v6, 0
	v_and_b32_e32 v10, 0xffff, v5
	v_lshl_or_b32 v12, v7, 16, v12
	v_and_b32_e32 v7, 0xffff, v11
.LBB1903_47:
	s_or_b32 exec_lo, exec_lo, s2
	v_add_nc_u32_e32 v5, 2, v34
                                        ; implicit-def: $vgpr11
	v_cmp_le_u32_e32 vcc_lo, s5, v5
                                        ; implicit-def: $vgpr5
	s_and_saveexec_b32 s1, vcc_lo
	s_xor_b32 s1, exec_lo, s1
	s_cbranch_execz .LBB1903_49
; %bb.48:
	v_lshrrev_b32_e32 v5, 24, v10
	v_mov_b32_e32 v11, 8
	v_and_b32_e32 v25, 0xff0000, v12
	v_perm_b32 v8, v8, v8, 0x3060504
	v_perm_b32 v5, v5, v10, 0x40c0100
	v_lshrrev_b32_sdwa v10, v11, v5 dst_sel:BYTE_1 dst_unused:UNUSED_PAD src0_sel:DWORD src1_sel:DWORD
	v_or_b32_sdwa v10, v5, v10 dst_sel:DWORD dst_unused:UNUSED_PAD src0_sel:BYTE_0 src1_sel:DWORD
	v_and_b32_e32 v10, 0xffff, v10
	v_and_or_b32 v11, 0xff000000, v5, v10
	v_perm_b32 v5, v12, v25, 0x3020504
                                        ; implicit-def: $vgpr10
                                        ; implicit-def: $vgpr12
.LBB1903_49:
	s_andn2_saveexec_b32 s2, s1
	s_cbranch_execz .LBB1903_53
; %bb.50:
	v_add_nc_u32_e32 v5, s17, v21
	v_add_nc_u32_e32 v11, s19, v21
	s_mov_b32 s3, 0
	s_mov_b32 s4, exec_lo
	v_mul_lo_u32 v5, v5, s16
	v_mul_lo_u32 v11, v11, s18
	v_sub_nc_u32_e32 v5, v5, v11
	v_cmp_lt_u32_e32 vcc_lo, s20, v5
	v_cmpx_ge_u32_e64 s20, v5
	s_cbranch_execz .LBB1903_52
; %bb.51:
	v_add_nc_u32_e32 v5, s22, v21
	v_add_nc_u32_e32 v11, s38, v21
	v_mul_lo_u32 v5, v5, s21
	v_mul_lo_u32 v11, v11, s23
	v_sub_nc_u32_e32 v5, v5, v11
	v_cmp_lt_u32_e64 s1, s39, v5
	s_and_b32 s3, s1, exec_lo
.LBB1903_52:
	s_or_b32 exec_lo, exec_lo, s4
	v_mov_b32_e32 v5, 8
	v_mov_b32_e32 v11, 24
	v_cndmask_b32_e64 v26, 0, 1, s3
	v_mov_b32_e32 v27, 0xff
	v_cndmask_b32_e64 v25, 0, 1, vcc_lo
	v_lshrrev_b32_sdwa v28, v5, v10 dst_sel:BYTE_1 dst_unused:UNUSED_PAD src0_sel:DWORD src1_sel:DWORD
	v_lshrrev_b32_sdwa v11, v11, v10 dst_sel:BYTE_1 dst_unused:UNUSED_PAD src0_sel:DWORD src1_sel:DWORD
	;; [unrolled: 1-line block ×3, first 2 shown]
	v_lshlrev_b16 v26, 8, v26
	v_and_b32_sdwa v27, v12, v27 dst_sel:DWORD dst_unused:UNUSED_PAD src0_sel:WORD_1 src1_sel:DWORD
	v_or_b32_sdwa v10, v10, v28 dst_sel:DWORD dst_unused:UNUSED_PAD src0_sel:BYTE_0 src1_sel:DWORD
	v_or_b32_sdwa v11, v25, v11 dst_sel:WORD_1 dst_unused:UNUSED_PAD src0_sel:DWORD src1_sel:DWORD
	v_or_b32_sdwa v5, v12, v5 dst_sel:DWORD dst_unused:UNUSED_PAD src0_sel:BYTE_0 src1_sel:DWORD
	v_or_b32_sdwa v12, v27, v26 dst_sel:WORD_1 dst_unused:UNUSED_PAD src0_sel:DWORD src1_sel:DWORD
	v_or_b32_sdwa v11, v10, v11 dst_sel:DWORD dst_unused:UNUSED_PAD src0_sel:WORD_0 src1_sel:DWORD
	v_or_b32_sdwa v5, v5, v12 dst_sel:DWORD dst_unused:UNUSED_PAD src0_sel:WORD_0 src1_sel:DWORD
.LBB1903_53:
	s_or_b32 exec_lo, exec_lo, s2
	v_add_nc_u32_e32 v10, 3, v34
                                        ; implicit-def: $vgpr35
	v_cmp_le_u32_e32 vcc_lo, s5, v10
                                        ; implicit-def: $vgpr10
	s_and_saveexec_b32 s1, vcc_lo
	s_xor_b32 s1, exec_lo, s1
	s_cbranch_execz .LBB1903_55
; %bb.54:
	v_mov_b32_e32 v10, 24
	v_mov_b32_e32 v12, 0xff
	;; [unrolled: 1-line block ×3, first 2 shown]
	v_and_b32_e32 v26, 0xff0000, v11
	v_perm_b32 v8, v8, v8, 0x3060504
	v_lshrrev_b32_sdwa v10, v10, v9 dst_sel:BYTE_1 dst_unused:UNUSED_PAD src0_sel:DWORD src1_sel:DWORD
	v_and_b32_sdwa v12, v9, v12 dst_sel:DWORD dst_unused:UNUSED_PAD src0_sel:WORD_1 src1_sel:DWORD
	v_lshrrev_b32_sdwa v9, v25, v9 dst_sel:BYTE_1 dst_unused:UNUSED_PAD src0_sel:DWORD src1_sel:DWORD
	v_perm_b32 v35, v11, v26, 0x3020504
	v_perm_b32 v7, v7, v7, 0x3060504
                                        ; implicit-def: $vgpr11
	v_or_b32_sdwa v10, v12, v10 dst_sel:WORD_1 dst_unused:UNUSED_PAD src0_sel:DWORD src1_sel:DWORD
	v_or_b32_sdwa v10, v9, v10 dst_sel:DWORD dst_unused:UNUSED_PAD src0_sel:WORD_0 src1_sel:DWORD
                                        ; implicit-def: $vgpr9
.LBB1903_55:
	s_andn2_saveexec_b32 s2, s1
	s_cbranch_execz .LBB1903_59
; %bb.56:
	v_add_nc_u32_e32 v10, s17, v22
	v_add_nc_u32_e32 v12, s19, v22
	s_mov_b32 s3, 0
	s_mov_b32 s4, exec_lo
	v_mul_lo_u32 v10, v10, s16
	v_mul_lo_u32 v12, v12, s18
	v_sub_nc_u32_e32 v10, v10, v12
	v_cmp_lt_u32_e32 vcc_lo, s20, v10
	v_cmpx_ge_u32_e64 s20, v10
	s_cbranch_execz .LBB1903_58
; %bb.57:
	v_add_nc_u32_e32 v10, s22, v22
	v_add_nc_u32_e32 v12, s38, v22
	v_mul_lo_u32 v10, v10, s21
	v_mul_lo_u32 v12, v12, s23
	v_sub_nc_u32_e32 v10, v10, v12
	v_cmp_lt_u32_e64 s1, s39, v10
	s_and_b32 s3, s1, exec_lo
.LBB1903_58:
	s_or_b32 exec_lo, exec_lo, s4
	v_mov_b32_e32 v10, 8
	v_cndmask_b32_e64 v12, 0, 1, vcc_lo
	v_mov_b32_e32 v25, 0xff
	v_mov_b32_e32 v26, 24
	v_cndmask_b32_e64 v27, 0, 1, s3
	v_lshrrev_b32_sdwa v28, v10, v11 dst_sel:BYTE_1 dst_unused:UNUSED_PAD src0_sel:DWORD src1_sel:DWORD
	v_lshlrev_b16 v12, 8, v12
	v_and_b32_sdwa v29, v11, v25 dst_sel:DWORD dst_unused:UNUSED_PAD src0_sel:WORD_1 src1_sel:DWORD
	v_lshrrev_b32_sdwa v26, v26, v9 dst_sel:BYTE_1 dst_unused:UNUSED_PAD src0_sel:DWORD src1_sel:DWORD
	v_and_b32_sdwa v25, v9, v25 dst_sel:DWORD dst_unused:UNUSED_PAD src0_sel:WORD_1 src1_sel:DWORD
	v_lshrrev_b32_sdwa v9, v10, v9 dst_sel:BYTE_1 dst_unused:UNUSED_PAD src0_sel:DWORD src1_sel:DWORD
	v_or_b32_sdwa v10, v11, v28 dst_sel:DWORD dst_unused:UNUSED_PAD src0_sel:BYTE_0 src1_sel:DWORD
	v_or_b32_sdwa v11, v29, v12 dst_sel:WORD_1 dst_unused:UNUSED_PAD src0_sel:DWORD src1_sel:DWORD
	v_or_b32_sdwa v12, v25, v26 dst_sel:WORD_1 dst_unused:UNUSED_PAD src0_sel:DWORD src1_sel:DWORD
	v_or_b32_e32 v9, v27, v9
	v_or_b32_sdwa v35, v10, v11 dst_sel:DWORD dst_unused:UNUSED_PAD src0_sel:WORD_0 src1_sel:DWORD
	v_or_b32_sdwa v10, v9, v12 dst_sel:DWORD dst_unused:UNUSED_PAD src0_sel:WORD_0 src1_sel:DWORD
.LBB1903_59:
	s_or_b32 exec_lo, exec_lo, s2
	v_add_nc_u32_e32 v9, 4, v34
                                        ; implicit-def: $vgpr11
	v_cmp_le_u32_e32 vcc_lo, s5, v9
                                        ; implicit-def: $vgpr9
	s_and_saveexec_b32 s1, vcc_lo
	s_xor_b32 s1, exec_lo, s1
	s_cbranch_execz .LBB1903_61
; %bb.60:
	v_mov_b32_e32 v9, 24
	v_mov_b32_e32 v11, 0xff
	;; [unrolled: 1-line block ×3, first 2 shown]
	v_perm_b32 v7, v7, v7, 0x3060504
	v_lshrrev_b32_sdwa v25, v9, v8 dst_sel:BYTE_1 dst_unused:UNUSED_PAD src0_sel:DWORD src1_sel:DWORD
	v_and_b32_sdwa v26, v8, v11 dst_sel:DWORD dst_unused:UNUSED_PAD src0_sel:WORD_1 src1_sel:DWORD
	v_lshrrev_b32_sdwa v9, v9, v10 dst_sel:BYTE_1 dst_unused:UNUSED_PAD src0_sel:DWORD src1_sel:DWORD
	v_and_b32_sdwa v11, v10, v11 dst_sel:DWORD dst_unused:UNUSED_PAD src0_sel:WORD_1 src1_sel:DWORD
	v_lshrrev_b32_sdwa v8, v12, v8 dst_sel:BYTE_1 dst_unused:UNUSED_PAD src0_sel:DWORD src1_sel:DWORD
	v_or_b32_sdwa v12, v26, v25 dst_sel:WORD_1 dst_unused:UNUSED_PAD src0_sel:DWORD src1_sel:DWORD
	v_or_b32_e32 v11, v11, v9
	v_or_b32_sdwa v9, v8, v12 dst_sel:DWORD dst_unused:UNUSED_PAD src0_sel:WORD_0 src1_sel:DWORD
                                        ; implicit-def: $vgpr8
	v_perm_b32 v11, v11, v10, 0x5040c00
                                        ; implicit-def: $vgpr10
.LBB1903_61:
	s_andn2_saveexec_b32 s2, s1
	s_cbranch_execz .LBB1903_65
; %bb.62:
	v_add_nc_u32_e32 v9, s17, v19
	v_add_nc_u32_e32 v11, s19, v19
	s_mov_b32 s3, 0
	s_mov_b32 s4, exec_lo
	v_mul_lo_u32 v9, v9, s16
	v_mul_lo_u32 v11, v11, s18
	v_sub_nc_u32_e32 v9, v9, v11
	v_cmp_lt_u32_e32 vcc_lo, s20, v9
	v_cmpx_ge_u32_e64 s20, v9
	s_cbranch_execz .LBB1903_64
; %bb.63:
	v_add_nc_u32_e32 v9, s22, v19
	v_add_nc_u32_e32 v11, s38, v19
	v_mul_lo_u32 v9, v9, s21
	v_mul_lo_u32 v11, v11, s23
	v_sub_nc_u32_e32 v9, v9, v11
	v_cmp_lt_u32_e64 s1, s39, v9
	s_and_b32 s3, s1, exec_lo
.LBB1903_64:
	s_or_b32 exec_lo, exec_lo, s4
	v_mov_b32_e32 v9, 24
	v_mov_b32_e32 v11, 0xff
	;; [unrolled: 1-line block ×3, first 2 shown]
	v_cndmask_b32_e64 v25, 0, 1, s3
	v_cndmask_b32_e64 v26, 0, 1, vcc_lo
	v_lshrrev_b32_sdwa v27, v9, v8 dst_sel:BYTE_1 dst_unused:UNUSED_PAD src0_sel:DWORD src1_sel:DWORD
	v_and_b32_sdwa v28, v8, v11 dst_sel:DWORD dst_unused:UNUSED_PAD src0_sel:WORD_1 src1_sel:DWORD
	v_lshrrev_b32_sdwa v8, v12, v8 dst_sel:BYTE_1 dst_unused:UNUSED_PAD src0_sel:DWORD src1_sel:DWORD
	v_lshlrev_b16 v12, 8, v25
	v_lshrrev_b32_sdwa v9, v9, v10 dst_sel:BYTE_1 dst_unused:UNUSED_PAD src0_sel:DWORD src1_sel:DWORD
	v_and_b32_sdwa v11, v10, v11 dst_sel:DWORD dst_unused:UNUSED_PAD src0_sel:WORD_1 src1_sel:DWORD
	v_or_b32_sdwa v25, v28, v27 dst_sel:WORD_1 dst_unused:UNUSED_PAD src0_sel:DWORD src1_sel:DWORD
	v_or_b32_e32 v8, v26, v8
	v_or_b32_sdwa v10, v10, v12 dst_sel:DWORD dst_unused:UNUSED_PAD src0_sel:BYTE_0 src1_sel:DWORD
	v_or_b32_sdwa v11, v11, v9 dst_sel:WORD_1 dst_unused:UNUSED_PAD src0_sel:DWORD src1_sel:DWORD
	v_or_b32_sdwa v9, v8, v25 dst_sel:DWORD dst_unused:UNUSED_PAD src0_sel:WORD_0 src1_sel:DWORD
	v_or_b32_sdwa v11, v10, v11 dst_sel:DWORD dst_unused:UNUSED_PAD src0_sel:WORD_0 src1_sel:DWORD
.LBB1903_65:
	s_or_b32 exec_lo, exec_lo, s2
	v_add_nc_u32_e32 v8, 5, v34
                                        ; implicit-def: $vgpr10
	v_cmp_le_u32_e32 vcc_lo, s5, v8
                                        ; implicit-def: $vgpr8
	s_and_saveexec_b32 s1, vcc_lo
	s_xor_b32 s1, exec_lo, s1
	s_cbranch_execz .LBB1903_67
; %bb.66:
	v_lshrrev_b32_e32 v8, 24, v11
	v_mov_b32_e32 v10, 8
	v_mov_b32_e32 v12, 0xff
	v_perm_b32 v7, v7, v7, 0x3060504
	v_perm_b32 v8, v8, v11, 0x40c0100
	v_mov_b32_e32 v11, 24
	v_and_b32_sdwa v12, v9, v12 dst_sel:DWORD dst_unused:UNUSED_PAD src0_sel:WORD_1 src1_sel:DWORD
	v_lshrrev_b32_sdwa v10, v10, v8 dst_sel:BYTE_1 dst_unused:UNUSED_PAD src0_sel:DWORD src1_sel:DWORD
	v_lshrrev_b32_sdwa v11, v11, v9 dst_sel:BYTE_1 dst_unused:UNUSED_PAD src0_sel:DWORD src1_sel:DWORD
	v_or_b32_sdwa v10, v8, v10 dst_sel:DWORD dst_unused:UNUSED_PAD src0_sel:BYTE_0 src1_sel:DWORD
	v_or_b32_e32 v11, v12, v11
	v_and_b32_e32 v12, 0xffff, v10
	v_perm_b32 v10, v11, v9, 0x5040c00
                                        ; implicit-def: $vgpr9
                                        ; implicit-def: $vgpr11
	v_and_or_b32 v8, 0xff000000, v8, v12
.LBB1903_67:
	s_andn2_saveexec_b32 s2, s1
	s_cbranch_execz .LBB1903_71
; %bb.68:
	v_add_nc_u32_e32 v8, s17, v20
	v_add_nc_u32_e32 v10, s19, v20
	s_mov_b32 s3, 0
	s_mov_b32 s4, exec_lo
	v_mul_lo_u32 v8, v8, s16
	v_mul_lo_u32 v10, v10, s18
	v_sub_nc_u32_e32 v8, v8, v10
	v_cmp_lt_u32_e32 vcc_lo, s20, v8
	v_cmpx_ge_u32_e64 s20, v8
	s_cbranch_execz .LBB1903_70
; %bb.69:
	v_add_nc_u32_e32 v8, s22, v20
	v_add_nc_u32_e32 v10, s38, v20
	v_mul_lo_u32 v8, v8, s21
	v_mul_lo_u32 v10, v10, s23
	v_sub_nc_u32_e32 v8, v8, v10
	v_cmp_lt_u32_e64 s1, s39, v8
	s_and_b32 s3, s1, exec_lo
.LBB1903_70:
	s_or_b32 exec_lo, exec_lo, s4
	v_cndmask_b32_e64 v8, 0, 1, vcc_lo
	v_mov_b32_e32 v10, 24
	v_mov_b32_e32 v12, 0xff
	;; [unrolled: 1-line block ×3, first 2 shown]
	v_cndmask_b32_e64 v26, 0, 1, s3
	v_lshlrev_b16 v8, 8, v8
	v_lshrrev_b32_sdwa v27, v10, v9 dst_sel:BYTE_1 dst_unused:UNUSED_PAD src0_sel:DWORD src1_sel:DWORD
	v_and_b32_sdwa v12, v9, v12 dst_sel:DWORD dst_unused:UNUSED_PAD src0_sel:WORD_1 src1_sel:DWORD
	v_lshrrev_b32_sdwa v25, v25, v11 dst_sel:BYTE_1 dst_unused:UNUSED_PAD src0_sel:DWORD src1_sel:DWORD
	v_lshrrev_b32_sdwa v10, v10, v11 dst_sel:BYTE_1 dst_unused:UNUSED_PAD src0_sel:DWORD src1_sel:DWORD
	v_or_b32_sdwa v8, v9, v8 dst_sel:DWORD dst_unused:UNUSED_PAD src0_sel:BYTE_0 src1_sel:DWORD
	v_or_b32_sdwa v9, v12, v27 dst_sel:WORD_1 dst_unused:UNUSED_PAD src0_sel:DWORD src1_sel:DWORD
	v_or_b32_sdwa v11, v11, v25 dst_sel:DWORD dst_unused:UNUSED_PAD src0_sel:BYTE_0 src1_sel:DWORD
	v_or_b32_sdwa v12, v26, v10 dst_sel:WORD_1 dst_unused:UNUSED_PAD src0_sel:DWORD src1_sel:DWORD
	v_or_b32_sdwa v10, v8, v9 dst_sel:DWORD dst_unused:UNUSED_PAD src0_sel:WORD_0 src1_sel:DWORD
	v_or_b32_sdwa v8, v11, v12 dst_sel:DWORD dst_unused:UNUSED_PAD src0_sel:WORD_0 src1_sel:DWORD
.LBB1903_71:
	s_or_b32 exec_lo, exec_lo, s2
	v_add_nc_u32_e32 v9, 6, v34
                                        ; implicit-def: $vgpr36
	v_cmp_le_u32_e32 vcc_lo, s5, v9
                                        ; implicit-def: $vgpr9
	s_and_saveexec_b32 s1, vcc_lo
	s_xor_b32 s1, exec_lo, s1
	s_cbranch_execz .LBB1903_73
; %bb.72:
	v_lshrrev_b32_e32 v9, 24, v10
	v_mov_b32_e32 v11, 8
	v_perm_b32 v7, v7, v7, 0x3060504
	v_perm_b32 v9, v9, v10, 0x40c0100
	v_lshrrev_b32_sdwa v10, v11, v9 dst_sel:BYTE_1 dst_unused:UNUSED_PAD src0_sel:DWORD src1_sel:DWORD
	v_and_b32_e32 v11, 0xff0000, v8
	v_or_b32_sdwa v10, v9, v10 dst_sel:DWORD dst_unused:UNUSED_PAD src0_sel:BYTE_0 src1_sel:DWORD
	v_perm_b32 v36, v8, v11, 0x3020504
                                        ; implicit-def: $vgpr8
	v_and_b32_e32 v10, 0xffff, v10
	v_and_or_b32 v9, 0xff000000, v9, v10
                                        ; implicit-def: $vgpr10
.LBB1903_73:
	s_andn2_saveexec_b32 s2, s1
	s_cbranch_execz .LBB1903_77
; %bb.74:
	v_add_nc_u32_e32 v9, s17, v17
	v_add_nc_u32_e32 v11, s19, v17
	s_mov_b32 s3, 0
	s_mov_b32 s4, exec_lo
	v_mul_lo_u32 v9, v9, s16
	v_mul_lo_u32 v11, v11, s18
	v_sub_nc_u32_e32 v9, v9, v11
	v_cmp_lt_u32_e32 vcc_lo, s20, v9
	v_cmpx_ge_u32_e64 s20, v9
	s_cbranch_execz .LBB1903_76
; %bb.75:
	v_add_nc_u32_e32 v9, s22, v17
	v_add_nc_u32_e32 v11, s38, v17
	v_mul_lo_u32 v9, v9, s21
	v_mul_lo_u32 v11, v11, s23
	v_sub_nc_u32_e32 v9, v9, v11
	v_cmp_lt_u32_e64 s1, s39, v9
	s_and_b32 s3, s1, exec_lo
.LBB1903_76:
	s_or_b32 exec_lo, exec_lo, s4
	v_mov_b32_e32 v9, 8
	v_mov_b32_e32 v11, 24
	v_cndmask_b32_e64 v25, 0, 1, s3
	v_mov_b32_e32 v26, 0xff
	v_cndmask_b32_e64 v12, 0, 1, vcc_lo
	v_lshrrev_b32_sdwa v27, v9, v10 dst_sel:BYTE_1 dst_unused:UNUSED_PAD src0_sel:DWORD src1_sel:DWORD
	v_lshrrev_b32_sdwa v11, v11, v10 dst_sel:BYTE_1 dst_unused:UNUSED_PAD src0_sel:DWORD src1_sel:DWORD
	;; [unrolled: 1-line block ×3, first 2 shown]
	v_lshlrev_b16 v25, 8, v25
	v_and_b32_sdwa v26, v8, v26 dst_sel:DWORD dst_unused:UNUSED_PAD src0_sel:WORD_1 src1_sel:DWORD
	v_or_b32_sdwa v10, v10, v27 dst_sel:DWORD dst_unused:UNUSED_PAD src0_sel:BYTE_0 src1_sel:DWORD
	v_or_b32_sdwa v11, v12, v11 dst_sel:WORD_1 dst_unused:UNUSED_PAD src0_sel:DWORD src1_sel:DWORD
	v_or_b32_sdwa v8, v8, v9 dst_sel:DWORD dst_unused:UNUSED_PAD src0_sel:BYTE_0 src1_sel:DWORD
	v_or_b32_sdwa v12, v26, v25 dst_sel:WORD_1 dst_unused:UNUSED_PAD src0_sel:DWORD src1_sel:DWORD
	v_or_b32_sdwa v9, v10, v11 dst_sel:DWORD dst_unused:UNUSED_PAD src0_sel:WORD_0 src1_sel:DWORD
	v_or_b32_sdwa v36, v8, v12 dst_sel:DWORD dst_unused:UNUSED_PAD src0_sel:WORD_0 src1_sel:DWORD
.LBB1903_77:
	s_or_b32 exec_lo, exec_lo, s2
	v_add_nc_u32_e32 v8, 7, v34
                                        ; implicit-def: $vgpr37
	v_cmp_le_u32_e32 vcc_lo, s5, v8
                                        ; implicit-def: $vgpr8
	s_and_saveexec_b32 s1, vcc_lo
	s_xor_b32 s1, exec_lo, s1
	s_cbranch_execz .LBB1903_79
; %bb.78:
	v_mov_b32_e32 v8, 24
	v_mov_b32_e32 v10, 0xff
	;; [unrolled: 1-line block ×3, first 2 shown]
	v_lshrrev_b32_sdwa v8, v8, v7 dst_sel:BYTE_1 dst_unused:UNUSED_PAD src0_sel:DWORD src1_sel:DWORD
	v_and_b32_sdwa v10, v7, v10 dst_sel:DWORD dst_unused:UNUSED_PAD src0_sel:WORD_1 src1_sel:DWORD
	v_lshrrev_b32_sdwa v7, v11, v7 dst_sel:BYTE_1 dst_unused:UNUSED_PAD src0_sel:DWORD src1_sel:DWORD
	v_and_b32_e32 v11, 0xff0000, v9
	v_or_b32_sdwa v8, v10, v8 dst_sel:WORD_1 dst_unused:UNUSED_PAD src0_sel:DWORD src1_sel:DWORD
	v_perm_b32 v37, v9, v11, 0x3020504
                                        ; implicit-def: $vgpr9
	v_or_b32_sdwa v8, v7, v8 dst_sel:DWORD dst_unused:UNUSED_PAD src0_sel:WORD_0 src1_sel:DWORD
                                        ; implicit-def: $vgpr7
.LBB1903_79:
	s_andn2_saveexec_b32 s2, s1
	s_cbranch_execz .LBB1903_83
; %bb.80:
	v_add_nc_u32_e32 v8, s17, v18
	v_add_nc_u32_e32 v10, s19, v18
	s_mov_b32 s3, 0
	s_mov_b32 s4, exec_lo
	v_mul_lo_u32 v8, v8, s16
	v_mul_lo_u32 v10, v10, s18
	v_sub_nc_u32_e32 v8, v8, v10
	v_cmp_lt_u32_e32 vcc_lo, s20, v8
	v_cmpx_ge_u32_e64 s20, v8
	s_cbranch_execz .LBB1903_82
; %bb.81:
	v_add_nc_u32_e32 v8, s22, v18
	v_add_nc_u32_e32 v10, s38, v18
	v_mul_lo_u32 v8, v8, s21
	v_mul_lo_u32 v10, v10, s23
	v_sub_nc_u32_e32 v8, v8, v10
	v_cmp_lt_u32_e64 s1, s39, v8
	s_and_b32 s3, s1, exec_lo
.LBB1903_82:
	s_or_b32 exec_lo, exec_lo, s4
	v_mov_b32_e32 v8, 8
	v_cndmask_b32_e64 v10, 0, 1, vcc_lo
	v_mov_b32_e32 v11, 0xff
	v_mov_b32_e32 v12, 24
	v_cndmask_b32_e64 v25, 0, 1, s3
	v_lshrrev_b32_sdwa v26, v8, v9 dst_sel:BYTE_1 dst_unused:UNUSED_PAD src0_sel:DWORD src1_sel:DWORD
	v_lshlrev_b16 v10, 8, v10
	v_and_b32_sdwa v27, v9, v11 dst_sel:DWORD dst_unused:UNUSED_PAD src0_sel:WORD_1 src1_sel:DWORD
	v_lshrrev_b32_sdwa v12, v12, v7 dst_sel:BYTE_1 dst_unused:UNUSED_PAD src0_sel:DWORD src1_sel:DWORD
	v_and_b32_sdwa v11, v7, v11 dst_sel:DWORD dst_unused:UNUSED_PAD src0_sel:WORD_1 src1_sel:DWORD
	v_lshrrev_b32_sdwa v7, v8, v7 dst_sel:BYTE_1 dst_unused:UNUSED_PAD src0_sel:DWORD src1_sel:DWORD
	v_or_b32_sdwa v8, v9, v26 dst_sel:DWORD dst_unused:UNUSED_PAD src0_sel:BYTE_0 src1_sel:DWORD
	v_or_b32_sdwa v9, v27, v10 dst_sel:WORD_1 dst_unused:UNUSED_PAD src0_sel:DWORD src1_sel:DWORD
	v_or_b32_sdwa v10, v11, v12 dst_sel:WORD_1 dst_unused:UNUSED_PAD src0_sel:DWORD src1_sel:DWORD
	v_or_b32_e32 v7, v25, v7
	v_or_b32_sdwa v37, v8, v9 dst_sel:DWORD dst_unused:UNUSED_PAD src0_sel:WORD_0 src1_sel:DWORD
	v_or_b32_sdwa v8, v7, v10 dst_sel:DWORD dst_unused:UNUSED_PAD src0_sel:WORD_0 src1_sel:DWORD
.LBB1903_83:
	s_or_b32 exec_lo, exec_lo, s2
	v_add_nc_u32_e32 v7, 8, v34
                                        ; implicit-def: $vgpr9
	v_cmp_le_u32_e32 vcc_lo, s5, v7
                                        ; implicit-def: $vgpr7
	s_and_saveexec_b32 s1, vcc_lo
	s_xor_b32 s1, exec_lo, s1
	s_cbranch_execz .LBB1903_85
; %bb.84:
	v_mov_b32_e32 v7, 24
	v_mov_b32_e32 v9, 0xff
	;; [unrolled: 1-line block ×3, first 2 shown]
	v_perm_b32 v5, v5, v5, 0x3060504
	v_lshrrev_b32_sdwa v11, v7, v8 dst_sel:BYTE_1 dst_unused:UNUSED_PAD src0_sel:DWORD src1_sel:DWORD
	v_lshrrev_b32_sdwa v7, v7, v6 dst_sel:BYTE_1 dst_unused:UNUSED_PAD src0_sel:DWORD src1_sel:DWORD
	v_and_b32_sdwa v12, v6, v9 dst_sel:DWORD dst_unused:UNUSED_PAD src0_sel:WORD_1 src1_sel:DWORD
	v_and_b32_sdwa v9, v8, v9 dst_sel:DWORD dst_unused:UNUSED_PAD src0_sel:WORD_1 src1_sel:DWORD
	v_lshrrev_b32_sdwa v6, v10, v6 dst_sel:BYTE_1 dst_unused:UNUSED_PAD src0_sel:DWORD src1_sel:DWORD
	v_or_b32_sdwa v7, v12, v7 dst_sel:WORD_1 dst_unused:UNUSED_PAD src0_sel:DWORD src1_sel:DWORD
	v_or_b32_e32 v9, v9, v11
	v_or_b32_sdwa v7, v6, v7 dst_sel:DWORD dst_unused:UNUSED_PAD src0_sel:WORD_0 src1_sel:DWORD
	v_perm_b32 v9, v9, v8, 0x5040c00
                                        ; implicit-def: $vgpr6
                                        ; implicit-def: $vgpr8
.LBB1903_85:
	s_andn2_saveexec_b32 s2, s1
	s_cbranch_execz .LBB1903_89
; %bb.86:
	v_add_nc_u32_e32 v7, s17, v15
	v_add_nc_u32_e32 v9, s19, v15
	s_mov_b32 s3, 0
	s_mov_b32 s4, exec_lo
	v_mul_lo_u32 v7, v7, s16
	v_mul_lo_u32 v9, v9, s18
	v_sub_nc_u32_e32 v7, v7, v9
	v_cmp_lt_u32_e32 vcc_lo, s20, v7
	v_cmpx_ge_u32_e64 s20, v7
	s_cbranch_execz .LBB1903_88
; %bb.87:
	v_add_nc_u32_e32 v7, s22, v15
	v_add_nc_u32_e32 v9, s38, v15
	v_mul_lo_u32 v7, v7, s21
	v_mul_lo_u32 v9, v9, s23
	v_sub_nc_u32_e32 v7, v7, v9
	v_cmp_lt_u32_e64 s1, s39, v7
	s_and_b32 s3, s1, exec_lo
.LBB1903_88:
	s_or_b32 exec_lo, exec_lo, s4
	v_mov_b32_e32 v7, 24
	v_mov_b32_e32 v9, 0xff
	;; [unrolled: 1-line block ×3, first 2 shown]
	v_cndmask_b32_e64 v11, 0, 1, s3
	v_cndmask_b32_e64 v12, 0, 1, vcc_lo
	v_lshrrev_b32_sdwa v25, v7, v6 dst_sel:BYTE_1 dst_unused:UNUSED_PAD src0_sel:DWORD src1_sel:DWORD
	v_and_b32_sdwa v26, v6, v9 dst_sel:DWORD dst_unused:UNUSED_PAD src0_sel:WORD_1 src1_sel:DWORD
	v_lshrrev_b32_sdwa v6, v10, v6 dst_sel:BYTE_1 dst_unused:UNUSED_PAD src0_sel:DWORD src1_sel:DWORD
	v_lshlrev_b16 v10, 8, v11
	v_lshrrev_b32_sdwa v7, v7, v8 dst_sel:BYTE_1 dst_unused:UNUSED_PAD src0_sel:DWORD src1_sel:DWORD
	v_and_b32_sdwa v9, v8, v9 dst_sel:DWORD dst_unused:UNUSED_PAD src0_sel:WORD_1 src1_sel:DWORD
	v_or_b32_sdwa v11, v26, v25 dst_sel:WORD_1 dst_unused:UNUSED_PAD src0_sel:DWORD src1_sel:DWORD
	v_or_b32_e32 v6, v12, v6
	v_or_b32_sdwa v8, v8, v10 dst_sel:DWORD dst_unused:UNUSED_PAD src0_sel:BYTE_0 src1_sel:DWORD
	v_or_b32_sdwa v9, v9, v7 dst_sel:WORD_1 dst_unused:UNUSED_PAD src0_sel:DWORD src1_sel:DWORD
	v_or_b32_sdwa v7, v6, v11 dst_sel:DWORD dst_unused:UNUSED_PAD src0_sel:WORD_0 src1_sel:DWORD
	v_or_b32_sdwa v9, v8, v9 dst_sel:DWORD dst_unused:UNUSED_PAD src0_sel:WORD_0 src1_sel:DWORD
.LBB1903_89:
	s_or_b32 exec_lo, exec_lo, s2
	v_add_nc_u32_e32 v6, 9, v34
                                        ; implicit-def: $vgpr8
	v_cmp_le_u32_e32 vcc_lo, s5, v6
                                        ; implicit-def: $vgpr6
	s_and_saveexec_b32 s1, vcc_lo
	s_xor_b32 s1, exec_lo, s1
	s_cbranch_execz .LBB1903_91
; %bb.90:
	v_lshrrev_b32_e32 v6, 24, v9
	v_mov_b32_e32 v8, 8
	v_mov_b32_e32 v10, 0xff
	v_perm_b32 v5, v5, v5, 0x3060504
	v_perm_b32 v6, v6, v9, 0x40c0100
	v_mov_b32_e32 v9, 24
	v_and_b32_sdwa v10, v7, v10 dst_sel:DWORD dst_unused:UNUSED_PAD src0_sel:WORD_1 src1_sel:DWORD
	v_lshrrev_b32_sdwa v8, v8, v6 dst_sel:BYTE_1 dst_unused:UNUSED_PAD src0_sel:DWORD src1_sel:DWORD
	v_lshrrev_b32_sdwa v9, v9, v7 dst_sel:BYTE_1 dst_unused:UNUSED_PAD src0_sel:DWORD src1_sel:DWORD
	v_or_b32_sdwa v8, v6, v8 dst_sel:DWORD dst_unused:UNUSED_PAD src0_sel:BYTE_0 src1_sel:DWORD
	v_or_b32_e32 v9, v10, v9
	v_and_b32_e32 v10, 0xffff, v8
	v_perm_b32 v8, v9, v7, 0x5040c00
                                        ; implicit-def: $vgpr7
                                        ; implicit-def: $vgpr9
	v_and_or_b32 v6, 0xff000000, v6, v10
.LBB1903_91:
	s_andn2_saveexec_b32 s2, s1
	s_cbranch_execz .LBB1903_95
; %bb.92:
	v_add_nc_u32_e32 v6, s17, v16
	v_add_nc_u32_e32 v8, s19, v16
	s_mov_b32 s3, 0
	s_mov_b32 s4, exec_lo
	v_mul_lo_u32 v6, v6, s16
	v_mul_lo_u32 v8, v8, s18
	v_sub_nc_u32_e32 v6, v6, v8
	v_cmp_lt_u32_e32 vcc_lo, s20, v6
	v_cmpx_ge_u32_e64 s20, v6
	s_cbranch_execz .LBB1903_94
; %bb.93:
	v_add_nc_u32_e32 v6, s22, v16
	v_add_nc_u32_e32 v8, s38, v16
	v_mul_lo_u32 v6, v6, s21
	v_mul_lo_u32 v8, v8, s23
	v_sub_nc_u32_e32 v6, v6, v8
	v_cmp_lt_u32_e64 s1, s39, v6
	s_and_b32 s3, s1, exec_lo
.LBB1903_94:
	s_or_b32 exec_lo, exec_lo, s4
	v_cndmask_b32_e64 v6, 0, 1, vcc_lo
	v_mov_b32_e32 v8, 24
	v_mov_b32_e32 v10, 0xff
	;; [unrolled: 1-line block ×3, first 2 shown]
	v_cndmask_b32_e64 v12, 0, 1, s3
	v_lshlrev_b16 v6, 8, v6
	v_lshrrev_b32_sdwa v25, v8, v7 dst_sel:BYTE_1 dst_unused:UNUSED_PAD src0_sel:DWORD src1_sel:DWORD
	v_and_b32_sdwa v10, v7, v10 dst_sel:DWORD dst_unused:UNUSED_PAD src0_sel:WORD_1 src1_sel:DWORD
	v_lshrrev_b32_sdwa v11, v11, v9 dst_sel:BYTE_1 dst_unused:UNUSED_PAD src0_sel:DWORD src1_sel:DWORD
	v_lshrrev_b32_sdwa v8, v8, v9 dst_sel:BYTE_1 dst_unused:UNUSED_PAD src0_sel:DWORD src1_sel:DWORD
	v_or_b32_sdwa v6, v7, v6 dst_sel:DWORD dst_unused:UNUSED_PAD src0_sel:BYTE_0 src1_sel:DWORD
	v_or_b32_sdwa v7, v10, v25 dst_sel:WORD_1 dst_unused:UNUSED_PAD src0_sel:DWORD src1_sel:DWORD
	v_or_b32_sdwa v9, v9, v11 dst_sel:DWORD dst_unused:UNUSED_PAD src0_sel:BYTE_0 src1_sel:DWORD
	v_or_b32_sdwa v10, v12, v8 dst_sel:WORD_1 dst_unused:UNUSED_PAD src0_sel:DWORD src1_sel:DWORD
	v_or_b32_sdwa v8, v6, v7 dst_sel:DWORD dst_unused:UNUSED_PAD src0_sel:WORD_0 src1_sel:DWORD
	v_or_b32_sdwa v6, v9, v10 dst_sel:DWORD dst_unused:UNUSED_PAD src0_sel:WORD_0 src1_sel:DWORD
.LBB1903_95:
	s_or_b32 exec_lo, exec_lo, s2
	v_add_nc_u32_e32 v7, 10, v34
                                        ; implicit-def: $vgpr38
	v_cmp_le_u32_e32 vcc_lo, s5, v7
                                        ; implicit-def: $vgpr7
	s_and_saveexec_b32 s1, vcc_lo
	s_xor_b32 s1, exec_lo, s1
	s_cbranch_execz .LBB1903_97
; %bb.96:
	v_lshrrev_b32_e32 v7, 24, v8
	v_mov_b32_e32 v9, 8
	v_perm_b32 v5, v5, v5, 0x3060504
	v_perm_b32 v7, v7, v8, 0x40c0100
	v_lshrrev_b32_sdwa v8, v9, v7 dst_sel:BYTE_1 dst_unused:UNUSED_PAD src0_sel:DWORD src1_sel:DWORD
	v_and_b32_e32 v9, 0xff0000, v6
	v_or_b32_sdwa v8, v7, v8 dst_sel:DWORD dst_unused:UNUSED_PAD src0_sel:BYTE_0 src1_sel:DWORD
	v_perm_b32 v38, v6, v9, 0x3020504
                                        ; implicit-def: $vgpr6
	v_and_b32_e32 v8, 0xffff, v8
	v_and_or_b32 v7, 0xff000000, v7, v8
                                        ; implicit-def: $vgpr8
.LBB1903_97:
	s_andn2_saveexec_b32 s2, s1
	s_cbranch_execz .LBB1903_101
; %bb.98:
	v_add_nc_u32_e32 v7, s17, v13
	v_add_nc_u32_e32 v9, s19, v13
	s_mov_b32 s3, 0
	s_mov_b32 s4, exec_lo
	v_mul_lo_u32 v7, v7, s16
	v_mul_lo_u32 v9, v9, s18
	v_sub_nc_u32_e32 v7, v7, v9
	v_cmp_lt_u32_e32 vcc_lo, s20, v7
	v_cmpx_ge_u32_e64 s20, v7
	s_cbranch_execz .LBB1903_100
; %bb.99:
	v_add_nc_u32_e32 v7, s22, v13
	v_add_nc_u32_e32 v9, s38, v13
	v_mul_lo_u32 v7, v7, s21
	v_mul_lo_u32 v9, v9, s23
	v_sub_nc_u32_e32 v7, v7, v9
	v_cmp_lt_u32_e64 s1, s39, v7
	s_and_b32 s3, s1, exec_lo
.LBB1903_100:
	s_or_b32 exec_lo, exec_lo, s4
	v_mov_b32_e32 v7, 8
	v_mov_b32_e32 v9, 24
	v_cndmask_b32_e64 v11, 0, 1, s3
	v_mov_b32_e32 v12, 0xff
	v_cndmask_b32_e64 v10, 0, 1, vcc_lo
	v_lshrrev_b32_sdwa v25, v7, v8 dst_sel:BYTE_1 dst_unused:UNUSED_PAD src0_sel:DWORD src1_sel:DWORD
	v_lshrrev_b32_sdwa v9, v9, v8 dst_sel:BYTE_1 dst_unused:UNUSED_PAD src0_sel:DWORD src1_sel:DWORD
	;; [unrolled: 1-line block ×3, first 2 shown]
	v_lshlrev_b16 v11, 8, v11
	v_and_b32_sdwa v12, v6, v12 dst_sel:DWORD dst_unused:UNUSED_PAD src0_sel:WORD_1 src1_sel:DWORD
	v_or_b32_sdwa v8, v8, v25 dst_sel:DWORD dst_unused:UNUSED_PAD src0_sel:BYTE_0 src1_sel:DWORD
	v_or_b32_sdwa v9, v10, v9 dst_sel:WORD_1 dst_unused:UNUSED_PAD src0_sel:DWORD src1_sel:DWORD
	v_or_b32_sdwa v6, v6, v7 dst_sel:DWORD dst_unused:UNUSED_PAD src0_sel:BYTE_0 src1_sel:DWORD
	v_or_b32_sdwa v10, v12, v11 dst_sel:WORD_1 dst_unused:UNUSED_PAD src0_sel:DWORD src1_sel:DWORD
	v_or_b32_sdwa v7, v8, v9 dst_sel:DWORD dst_unused:UNUSED_PAD src0_sel:WORD_0 src1_sel:DWORD
	v_or_b32_sdwa v38, v6, v10 dst_sel:DWORD dst_unused:UNUSED_PAD src0_sel:WORD_0 src1_sel:DWORD
.LBB1903_101:
	s_or_b32 exec_lo, exec_lo, s2
	v_add_nc_u32_e32 v6, 11, v34
	v_mov_b32_e32 v39, 0
	s_mov_b32 s1, exec_lo
                                        ; implicit-def: $vgpr40
	v_cmpx_le_u32_e64 s5, v6
	s_xor_b32 s1, exec_lo, s1
; %bb.102:
	v_and_b32_e32 v6, 0xff0000, v7
	v_perm_b32 v5, v5, v5, 0x3060504
	v_perm_b32 v40, v7, v6, 0x3020504
                                        ; implicit-def: $vgpr7
; %bb.103:
	s_andn2_saveexec_b32 s2, s1
	s_cbranch_execz .LBB1903_107
; %bb.104:
	v_add_nc_u32_e32 v6, s17, v14
	v_add_nc_u32_e32 v8, s19, v14
	s_mov_b32 s3, 0
	s_mov_b32 s4, exec_lo
	v_mul_lo_u32 v6, v6, s16
	v_mul_lo_u32 v8, v8, s18
	v_sub_nc_u32_e32 v6, v6, v8
	v_cmp_lt_u32_e32 vcc_lo, s20, v6
	v_cmpx_ge_u32_e64 s20, v6
	s_cbranch_execz .LBB1903_106
; %bb.105:
	v_add_nc_u32_e32 v6, s22, v14
	v_add_nc_u32_e32 v8, s38, v14
	v_mul_lo_u32 v6, v6, s21
	v_mul_lo_u32 v8, v8, s23
	v_sub_nc_u32_e32 v6, v6, v8
	v_cmp_lt_u32_e64 s1, s39, v6
	s_and_b32 s3, s1, exec_lo
.LBB1903_106:
	s_or_b32 exec_lo, exec_lo, s4
	v_mov_b32_e32 v6, 8
	v_cndmask_b32_e64 v8, 0, 1, vcc_lo
	v_mov_b32_e32 v9, 0xff
	v_cndmask_b32_e64 v39, 0, 1, s3
	v_lshrrev_b32_sdwa v6, v6, v7 dst_sel:BYTE_1 dst_unused:UNUSED_PAD src0_sel:DWORD src1_sel:DWORD
	v_lshlrev_b16 v8, 8, v8
	v_and_b32_sdwa v9, v7, v9 dst_sel:DWORD dst_unused:UNUSED_PAD src0_sel:WORD_1 src1_sel:DWORD
	v_or_b32_sdwa v6, v7, v6 dst_sel:DWORD dst_unused:UNUSED_PAD src0_sel:BYTE_0 src1_sel:DWORD
	v_or_b32_sdwa v7, v9, v8 dst_sel:WORD_1 dst_unused:UNUSED_PAD src0_sel:DWORD src1_sel:DWORD
	v_or_b32_sdwa v40, v6, v7 dst_sel:DWORD dst_unused:UNUSED_PAD src0_sel:WORD_0 src1_sel:DWORD
.LBB1903_107:
	s_or_b32 exec_lo, exec_lo, s2
	v_add_nc_u32_e32 v6, 12, v34
	s_mov_b32 s1, exec_lo
                                        ; implicit-def: $vgpr41
	v_cmpx_le_u32_e64 s5, v6
	s_xor_b32 s1, exec_lo, s1
	s_cbranch_execz .LBB1903_109
; %bb.108:
	v_mov_b32_e32 v6, 24
	v_mov_b32_e32 v7, 0xff
	;; [unrolled: 1-line block ×3, first 2 shown]
	v_lshrrev_b32_sdwa v6, v6, v5 dst_sel:BYTE_1 dst_unused:UNUSED_PAD src0_sel:DWORD src1_sel:DWORD
	v_and_b32_sdwa v7, v5, v7 dst_sel:DWORD dst_unused:UNUSED_PAD src0_sel:WORD_1 src1_sel:DWORD
	v_lshrrev_b32_sdwa v5, v8, v5 dst_sel:BYTE_1 dst_unused:UNUSED_PAD src0_sel:DWORD src1_sel:DWORD
	v_or_b32_sdwa v6, v7, v6 dst_sel:WORD_1 dst_unused:UNUSED_PAD src0_sel:DWORD src1_sel:DWORD
	v_or_b32_sdwa v41, v5, v6 dst_sel:DWORD dst_unused:UNUSED_PAD src0_sel:WORD_0 src1_sel:DWORD
                                        ; implicit-def: $vgpr5
.LBB1903_109:
	s_or_saveexec_b32 s2, s1
	v_mov_b32_e32 v42, 0
	s_xor_b32 exec_lo, exec_lo, s2
	s_cbranch_execz .LBB1903_113
; %bb.110:
	v_add_nc_u32_e32 v6, s17, v33
	v_add_nc_u32_e32 v7, s19, v33
	s_mov_b32 s3, 0
	s_mov_b32 s4, exec_lo
	v_mul_lo_u32 v6, v6, s16
	v_mul_lo_u32 v7, v7, s18
	v_sub_nc_u32_e32 v6, v6, v7
	v_cmp_lt_u32_e32 vcc_lo, s20, v6
	v_cmpx_ge_u32_e64 s20, v6
	s_cbranch_execz .LBB1903_112
; %bb.111:
	v_add_nc_u32_e32 v6, s22, v33
	v_add_nc_u32_e32 v7, s38, v33
	v_mul_lo_u32 v6, v6, s21
	v_mul_lo_u32 v7, v7, s23
	v_sub_nc_u32_e32 v6, v6, v7
	v_cmp_lt_u32_e64 s1, s39, v6
	s_and_b32 s3, s1, exec_lo
.LBB1903_112:
	s_or_b32 exec_lo, exec_lo, s4
	v_mov_b32_e32 v6, 24
	v_mov_b32_e32 v7, 0xff
	;; [unrolled: 1-line block ×3, first 2 shown]
	v_cndmask_b32_e64 v9, 0, 1, vcc_lo
	v_cndmask_b32_e64 v42, 0, 1, s3
	v_lshrrev_b32_sdwa v6, v6, v5 dst_sel:BYTE_1 dst_unused:UNUSED_PAD src0_sel:DWORD src1_sel:DWORD
	v_and_b32_sdwa v7, v5, v7 dst_sel:DWORD dst_unused:UNUSED_PAD src0_sel:WORD_1 src1_sel:DWORD
	v_lshrrev_b32_sdwa v5, v8, v5 dst_sel:BYTE_1 dst_unused:UNUSED_PAD src0_sel:DWORD src1_sel:DWORD
	v_or_b32_sdwa v6, v7, v6 dst_sel:WORD_1 dst_unused:UNUSED_PAD src0_sel:DWORD src1_sel:DWORD
	v_or_b32_e32 v5, v9, v5
	v_or_b32_sdwa v41, v5, v6 dst_sel:DWORD dst_unused:UNUSED_PAD src0_sel:WORD_0 src1_sel:DWORD
.LBB1903_113:
	s_or_b32 exec_lo, exec_lo, s2
.LBB1903_114:
	v_and_b32_e32 v65, 0xff, v35
	v_bfe_u32 v66, v41, 8, 8
	v_bfe_u32 v62, v35, 8, 8
	;; [unrolled: 1-line block ×4, first 2 shown]
	v_lshrrev_b32_e32 v48, 24, v41
	v_lshrrev_b32_e32 v47, 24, v35
	v_and_b32_e32 v61, 0xff, v36
	v_and_b32_e32 v59, 0xff, v37
	v_bfe_u32 v60, v36, 8, 8
	v_add3_u32 v5, v62, v65, v64
	v_add3_u32 v6, v63, v66, v48
	v_bfe_u32 v57, v37, 8, 8
	v_bfe_u32 v58, v36, 16, 8
	;; [unrolled: 1-line block ×3, first 2 shown]
	v_lshrrev_b32_e32 v46, 24, v36
	v_add3_u32 v5, v5, v47, v59
	v_add3_u32 v6, v6, v61, v60
	v_lshrrev_b32_e32 v45, 24, v37
	v_and_b32_e32 v56, 0xff, v38
	v_and_b32_e32 v54, 0xff, v40
	v_bfe_u32 v55, v38, 8, 8
	v_add3_u32 v5, v5, v57, v52
	v_add3_u32 v6, v6, v58, v46
	v_bfe_u32 v51, v40, 8, 8
	v_bfe_u32 v53, v38, 16, 8
	;; [unrolled: 1-line block ×3, first 2 shown]
	v_lshrrev_b32_e32 v44, 24, v38
	v_add3_u32 v5, v5, v45, v54
	v_add3_u32 v6, v6, v56, v55
	v_mbcnt_lo_u32_b32 v67, -1, 0
	v_lshrrev_b32_e32 v43, 24, v40
	v_and_b32_e32 v50, 0xff, v39
	v_and_b32_e32 v7, 0xff, v41
	;; [unrolled: 1-line block ×3, first 2 shown]
	v_add3_u32 v5, v5, v51, v49
	v_add3_u32 v6, v6, v53, v44
	v_and_b32_e32 v69, 15, v67
	v_and_b32_e32 v71, 16, v67
	v_lshrrev_b32_e32 v68, 5, v0
	v_add3_u32 v72, v5, v43, v7
	v_add3_u32 v73, v6, v50, v8
	v_cmp_eq_u32_e64 s2, 0, v69
	v_cmp_lt_u32_e64 s1, 1, v69
	v_cmp_lt_u32_e64 s3, 3, v69
	v_or_b32_e32 v70, 31, v0
	s_cmp_lg_u32 s27, 0
	s_mov_b32 s4, -1
	v_cmp_lt_u32_e32 vcc_lo, 7, v69
	s_cbranch_scc0 .LBB1903_136
; %bb.115:
	v_mov_b32_dpp v5, v73 row_shr:1 row_mask:0xf bank_mask:0xf
	v_mov_b32_dpp v6, v72 row_shr:1 row_mask:0xf bank_mask:0xf
	s_mov_b32 s4, exec_lo
	v_add_nc_u32_e32 v5, v5, v73
	v_add_nc_u32_e32 v6, v6, v72
	v_cndmask_b32_e64 v5, v5, v73, s2
	v_cndmask_b32_e64 v6, v6, v72, s2
	v_mov_b32_dpp v7, v5 row_shr:2 row_mask:0xf bank_mask:0xf
	v_mov_b32_dpp v8, v6 row_shr:2 row_mask:0xf bank_mask:0xf
	v_add_nc_u32_e32 v7, v5, v7
	v_add_nc_u32_e32 v8, v6, v8
	v_cndmask_b32_e64 v5, v5, v7, s1
	v_cndmask_b32_e64 v6, v6, v8, s1
	v_mov_b32_dpp v7, v5 row_shr:4 row_mask:0xf bank_mask:0xf
	v_mov_b32_dpp v8, v6 row_shr:4 row_mask:0xf bank_mask:0xf
	;; [unrolled: 6-line block ×3, first 2 shown]
	v_add_nc_u32_e32 v7, v5, v7
	v_add_nc_u32_e32 v8, v6, v8
	v_cndmask_b32_e32 v5, v5, v7, vcc_lo
	v_cndmask_b32_e32 v6, v6, v8, vcc_lo
	v_cmp_eq_u32_e32 vcc_lo, 0, v71
	ds_swizzle_b32 v7, v5 offset:swizzle(BROADCAST,32,15)
	ds_swizzle_b32 v8, v6 offset:swizzle(BROADCAST,32,15)
	s_waitcnt lgkmcnt(1)
	v_add_nc_u32_e32 v7, v5, v7
	s_waitcnt lgkmcnt(0)
	v_add_nc_u32_e32 v8, v6, v8
	v_cmpx_eq_u32_e64 v0, v70
	s_cbranch_execz .LBB1903_117
; %bb.116:
	v_lshlrev_b32_e32 v11, 3, v68
	v_cndmask_b32_e32 v10, v7, v5, vcc_lo
	v_cndmask_b32_e32 v9, v8, v6, vcc_lo
	ds_write_b64 v11, v[9:10]
.LBB1903_117:
	s_or_b32 exec_lo, exec_lo, s4
	s_mov_b32 s4, exec_lo
	s_waitcnt lgkmcnt(0)
	s_barrier
	buffer_gl0_inv
	v_cmpx_gt_u32_e32 8, v0
	s_cbranch_execz .LBB1903_119
; %bb.118:
	v_lshlrev_b32_e32 v11, 3, v0
	v_and_b32_e32 v26, 7, v67
	ds_read_b64 v[9:10], v11
	v_cmp_eq_u32_e64 s3, 0, v26
	s_waitcnt lgkmcnt(0)
	v_mov_b32_dpp v12, v9 row_shr:1 row_mask:0xf bank_mask:0xf
	v_mov_b32_dpp v25, v10 row_shr:1 row_mask:0xf bank_mask:0xf
	v_add_nc_u32_e32 v12, v12, v9
	v_add_nc_u32_e32 v25, v25, v10
	v_cndmask_b32_e64 v9, v12, v9, s3
	v_cndmask_b32_e64 v10, v25, v10, s3
	v_cmp_lt_u32_e64 s3, 1, v26
	v_mov_b32_dpp v12, v9 row_shr:2 row_mask:0xf bank_mask:0xf
	v_mov_b32_dpp v25, v10 row_shr:2 row_mask:0xf bank_mask:0xf
	v_add_nc_u32_e32 v12, v9, v12
	v_add_nc_u32_e32 v25, v10, v25
	v_cndmask_b32_e64 v9, v9, v12, s3
	v_cndmask_b32_e64 v10, v10, v25, s3
	v_cmp_lt_u32_e64 s3, 3, v26
	v_mov_b32_dpp v12, v9 row_shr:4 row_mask:0xf bank_mask:0xf
	v_mov_b32_dpp v25, v10 row_shr:4 row_mask:0xf bank_mask:0xf
	v_cndmask_b32_e64 v12, 0, v12, s3
	v_cndmask_b32_e64 v25, 0, v25, s3
	v_add_nc_u32_e32 v9, v12, v9
	v_add_nc_u32_e32 v10, v25, v10
	ds_write_b64 v11, v[9:10]
.LBB1903_119:
	s_or_b32 exec_lo, exec_lo, s4
	v_cndmask_b32_e32 v5, v7, v5, vcc_lo
	v_cndmask_b32_e32 v6, v8, v6, vcc_lo
	s_mov_b32 s4, exec_lo
	v_cmp_gt_u32_e32 vcc_lo, 32, v0
	s_waitcnt lgkmcnt(0)
	s_barrier
	buffer_gl0_inv
                                        ; implicit-def: $vgpr25
	v_cmpx_lt_u32_e32 31, v0
	s_cbranch_execz .LBB1903_121
; %bb.120:
	v_lshl_add_u32 v7, v68, 3, -8
	ds_read_b64 v[25:26], v7
	s_waitcnt lgkmcnt(0)
	v_add_nc_u32_e32 v5, v26, v5
	v_add_nc_u32_e32 v6, v25, v6
.LBB1903_121:
	s_or_b32 exec_lo, exec_lo, s4
	v_sub_co_u32 v7, s3, v67, 1
	v_cmp_gt_i32_e64 s4, 0, v7
	v_cndmask_b32_e64 v7, v7, v67, s4
	v_lshlrev_b32_e32 v7, 2, v7
	ds_bpermute_b32 v74, v7, v6
	ds_bpermute_b32 v75, v7, v5
	s_and_saveexec_b32 s4, vcc_lo
	s_cbranch_execz .LBB1903_141
; %bb.122:
	v_mov_b32_e32 v8, 0
	ds_read_b64 v[5:6], v8 offset:56
	s_and_saveexec_b32 s6, s3
	s_cbranch_execz .LBB1903_124
; %bb.123:
	s_add_i32 s8, s27, 32
	s_mov_b32 s9, 0
	v_mov_b32_e32 v7, 1
	s_lshl_b64 s[8:9], s[8:9], 4
	s_add_u32 s8, s36, s8
	s_addc_u32 s9, s37, s9
	v_mov_b32_e32 v10, s9
	v_mov_b32_e32 v9, s8
	s_waitcnt lgkmcnt(0)
	;;#ASMSTART
	global_store_dwordx4 v[9:10], v[5:8] off	
s_waitcnt vmcnt(0)
	;;#ASMEND
.LBB1903_124:
	s_or_b32 exec_lo, exec_lo, s6
	v_xad_u32 v27, v67, -1, s27
	s_mov_b32 s7, 0
	v_add_nc_u32_e32 v7, 32, v27
	v_lshlrev_b64 v[9:10], 4, v[7:8]
	v_add_co_u32 v28, vcc_lo, s36, v9
	v_add_co_ci_u32_e64 v29, null, s37, v10, vcc_lo
	;;#ASMSTART
	global_load_dwordx4 v[9:12], v[28:29] off glc dlc	
s_waitcnt vmcnt(0)
	;;#ASMEND
	v_cmp_eq_u16_sdwa s8, v11, v8 src0_sel:BYTE_0 src1_sel:DWORD
	s_and_saveexec_b32 s6, s8
	s_cbranch_execz .LBB1903_128
; %bb.125:
	v_mov_b32_e32 v7, 0
.LBB1903_126:                           ; =>This Inner Loop Header: Depth=1
	;;#ASMSTART
	global_load_dwordx4 v[9:12], v[28:29] off glc dlc	
s_waitcnt vmcnt(0)
	;;#ASMEND
	v_cmp_ne_u16_sdwa s8, v11, v7 src0_sel:BYTE_0 src1_sel:DWORD
	s_or_b32 s7, s8, s7
	s_andn2_b32 exec_lo, exec_lo, s7
	s_cbranch_execnz .LBB1903_126
; %bb.127:
	s_or_b32 exec_lo, exec_lo, s7
.LBB1903_128:
	s_or_b32 exec_lo, exec_lo, s6
	v_cmp_ne_u32_e32 vcc_lo, 31, v67
	v_mov_b32_e32 v77, 2
	v_lshlrev_b32_e64 v78, v67, -1
	v_add_nc_u32_e32 v80, 2, v67
	v_add_nc_u32_e32 v82, 4, v67
	v_add_co_ci_u32_e64 v7, null, 0, v67, vcc_lo
	v_cmp_eq_u16_sdwa s6, v11, v77 src0_sel:BYTE_0 src1_sel:DWORD
	v_cmp_gt_u32_e32 vcc_lo, 30, v67
	v_add_nc_u32_e32 v84, 8, v67
	v_lshlrev_b32_e32 v76, 2, v7
	v_lshl_or_b32 v85, v67, 2, 64
	v_and_b32_e32 v12, s6, v78
	v_cndmask_b32_e64 v28, 0, 2, vcc_lo
	v_add_nc_u32_e32 v86, 16, v67
	ds_bpermute_b32 v7, v76, v10
	ds_bpermute_b32 v8, v76, v9
	v_or_b32_e32 v12, 0x80000000, v12
	v_add_lshl_u32 v79, v28, v67, 2
	v_ffbl_b32_e32 v12, v12
	v_cmp_lt_u32_e32 vcc_lo, v67, v12
	s_waitcnt lgkmcnt(1)
	v_add_nc_u32_e32 v7, v7, v10
	s_waitcnt lgkmcnt(0)
	v_add_nc_u32_e32 v8, v8, v9
	v_cndmask_b32_e32 v7, v10, v7, vcc_lo
	v_cndmask_b32_e32 v8, v9, v8, vcc_lo
	v_cmp_gt_u32_e32 vcc_lo, 28, v67
	ds_bpermute_b32 v9, v79, v7
	ds_bpermute_b32 v10, v79, v8
	v_cndmask_b32_e64 v28, 0, 4, vcc_lo
	v_cmp_gt_u32_e32 vcc_lo, v80, v12
	v_add_lshl_u32 v81, v28, v67, 2
	s_waitcnt lgkmcnt(1)
	v_add_nc_u32_e32 v9, v7, v9
	s_waitcnt lgkmcnt(0)
	v_add_nc_u32_e32 v10, v8, v10
	v_cndmask_b32_e32 v7, v9, v7, vcc_lo
	v_cndmask_b32_e32 v8, v10, v8, vcc_lo
	v_cmp_gt_u32_e32 vcc_lo, 24, v67
	ds_bpermute_b32 v9, v81, v7
	ds_bpermute_b32 v10, v81, v8
	v_cndmask_b32_e64 v28, 0, 8, vcc_lo
	v_cmp_gt_u32_e32 vcc_lo, v82, v12
	v_add_lshl_u32 v83, v28, v67, 2
	v_mov_b32_e32 v28, 0
	s_waitcnt lgkmcnt(1)
	v_add_nc_u32_e32 v9, v7, v9
	s_waitcnt lgkmcnt(0)
	v_add_nc_u32_e32 v10, v8, v10
	v_cndmask_b32_e32 v7, v9, v7, vcc_lo
	v_cndmask_b32_e32 v8, v10, v8, vcc_lo
	v_cmp_gt_u32_e32 vcc_lo, v84, v12
	ds_bpermute_b32 v9, v83, v7
	ds_bpermute_b32 v10, v83, v8
	s_waitcnt lgkmcnt(1)
	v_add_nc_u32_e32 v9, v7, v9
	s_waitcnt lgkmcnt(0)
	v_add_nc_u32_e32 v10, v8, v10
	v_cndmask_b32_e32 v7, v9, v7, vcc_lo
	v_cndmask_b32_e32 v8, v10, v8, vcc_lo
	v_cmp_le_u32_e32 vcc_lo, v86, v12
	ds_bpermute_b32 v10, v85, v7
	ds_bpermute_b32 v9, v85, v8
	s_waitcnt lgkmcnt(1)
	v_cndmask_b32_e32 v10, 0, v10, vcc_lo
	s_waitcnt lgkmcnt(0)
	v_cndmask_b32_e32 v9, 0, v9, vcc_lo
	v_add_nc_u32_e32 v10, v10, v7
	v_add_nc_u32_e32 v9, v9, v8
	s_branch .LBB1903_132
.LBB1903_129:                           ;   in Loop: Header=BB1903_132 Depth=1
	s_or_b32 exec_lo, exec_lo, s7
.LBB1903_130:                           ;   in Loop: Header=BB1903_132 Depth=1
	s_or_b32 exec_lo, exec_lo, s6
	ds_bpermute_b32 v12, v76, v9
	ds_bpermute_b32 v29, v76, v10
	v_cmp_eq_u16_sdwa s6, v11, v77 src0_sel:BYTE_0 src1_sel:DWORD
	v_subrev_nc_u32_e32 v27, 32, v27
	v_and_or_b32 v30, s6, v78, 0x80000000
	s_mov_b32 s6, 0
	v_ffbl_b32_e32 v30, v30
	v_cmp_lt_u32_e32 vcc_lo, v67, v30
	s_waitcnt lgkmcnt(1)
	v_add_nc_u32_e32 v12, v12, v9
	s_waitcnt lgkmcnt(0)
	v_add_nc_u32_e32 v29, v29, v10
	v_cndmask_b32_e32 v9, v9, v12, vcc_lo
	v_cndmask_b32_e32 v10, v10, v29, vcc_lo
	v_cmp_gt_u32_e32 vcc_lo, v80, v30
	ds_bpermute_b32 v12, v79, v9
	ds_bpermute_b32 v29, v79, v10
	s_waitcnt lgkmcnt(1)
	v_add_nc_u32_e32 v12, v9, v12
	s_waitcnt lgkmcnt(0)
	v_add_nc_u32_e32 v29, v10, v29
	v_cndmask_b32_e32 v9, v12, v9, vcc_lo
	v_cndmask_b32_e32 v10, v29, v10, vcc_lo
	v_cmp_gt_u32_e32 vcc_lo, v82, v30
	ds_bpermute_b32 v12, v81, v9
	ds_bpermute_b32 v29, v81, v10
	;; [unrolled: 9-line block ×3, first 2 shown]
	s_waitcnt lgkmcnt(1)
	v_add_nc_u32_e32 v12, v9, v12
	s_waitcnt lgkmcnt(0)
	v_add_nc_u32_e32 v29, v10, v29
	v_cndmask_b32_e32 v9, v12, v9, vcc_lo
	v_cndmask_b32_e32 v10, v29, v10, vcc_lo
	v_cmp_le_u32_e32 vcc_lo, v86, v30
	ds_bpermute_b32 v12, v85, v9
	ds_bpermute_b32 v29, v85, v10
	s_waitcnt lgkmcnt(1)
	v_cndmask_b32_e32 v12, 0, v12, vcc_lo
	s_waitcnt lgkmcnt(0)
	v_cndmask_b32_e32 v29, 0, v29, vcc_lo
	v_add3_u32 v9, v9, v7, v12
	v_add3_u32 v10, v10, v8, v29
.LBB1903_131:                           ;   in Loop: Header=BB1903_132 Depth=1
	s_and_b32 vcc_lo, exec_lo, s6
	s_cbranch_vccnz .LBB1903_137
.LBB1903_132:                           ; =>This Loop Header: Depth=1
                                        ;     Child Loop BB1903_135 Depth 2
	v_cmp_ne_u16_sdwa s6, v11, v77 src0_sel:BYTE_0 src1_sel:DWORD
	v_mov_b32_e32 v7, v9
	v_mov_b32_e32 v8, v10
                                        ; implicit-def: $vgpr11
                                        ; implicit-def: $vgpr9_vgpr10
	s_cmp_lg_u32 s6, exec_lo
	s_mov_b32 s6, -1
	s_cbranch_scc1 .LBB1903_131
; %bb.133:                              ;   in Loop: Header=BB1903_132 Depth=1
	v_lshlrev_b64 v[9:10], 4, v[27:28]
	v_add_co_u32 v29, vcc_lo, s36, v9
	v_add_co_ci_u32_e64 v30, null, s37, v10, vcc_lo
	;;#ASMSTART
	global_load_dwordx4 v[9:12], v[29:30] off glc dlc	
s_waitcnt vmcnt(0)
	;;#ASMEND
	v_cmp_eq_u16_sdwa s7, v11, v28 src0_sel:BYTE_0 src1_sel:DWORD
	s_and_saveexec_b32 s6, s7
	s_cbranch_execz .LBB1903_130
; %bb.134:                              ;   in Loop: Header=BB1903_132 Depth=1
	s_mov_b32 s7, 0
.LBB1903_135:                           ;   Parent Loop BB1903_132 Depth=1
                                        ; =>  This Inner Loop Header: Depth=2
	;;#ASMSTART
	global_load_dwordx4 v[9:12], v[29:30] off glc dlc	
s_waitcnt vmcnt(0)
	;;#ASMEND
	v_cmp_ne_u16_sdwa s8, v11, v28 src0_sel:BYTE_0 src1_sel:DWORD
	s_or_b32 s7, s8, s7
	s_andn2_b32 exec_lo, exec_lo, s7
	s_cbranch_execnz .LBB1903_135
	s_branch .LBB1903_129
.LBB1903_136:
                                        ; implicit-def: $vgpr25
                                        ; implicit-def: $vgpr7
                                        ; implicit-def: $vgpr26
	s_and_b32 vcc_lo, exec_lo, s4
	s_cbranch_vccnz .LBB1903_142
	s_branch .LBB1903_151
.LBB1903_137:
	s_and_saveexec_b32 s6, s3
	s_cbranch_execnz .LBB1903_379
; %bb.138:
	s_or_b32 exec_lo, exec_lo, s6
	s_and_saveexec_b32 s6, s3
	s_cbranch_execnz .LBB1903_380
.LBB1903_139:
	s_or_b32 exec_lo, exec_lo, s6
	s_and_b32 exec_lo, exec_lo, s0
.LBB1903_140:
	v_mov_b32_e32 v5, 0
	ds_write_b64 v5, v[7:8] offset:56
.LBB1903_141:
	s_or_b32 exec_lo, exec_lo, s4
	v_mov_b32_e32 v5, 0
	s_waitcnt lgkmcnt(0)
	s_barrier
	buffer_gl0_inv
	v_cndmask_b32_e64 v11, v75, v26, s3
	ds_read_b64 v[9:10], v5 offset:56
	s_waitcnt lgkmcnt(0)
	s_barrier
	buffer_gl0_inv
	ds_read_b128 v[5:8], v5 offset:13312
	v_cndmask_b32_e64 v12, v74, v25, s3
	v_add_nc_u32_e32 v11, v10, v11
	v_add_nc_u32_e32 v12, v9, v12
	v_cndmask_b32_e64 v25, v11, v10, s0
	v_cndmask_b32_e64 v26, v12, v9, s0
	s_branch .LBB1903_151
.LBB1903_142:
	s_waitcnt lgkmcnt(0)
	v_mov_b32_dpp v5, v72 row_shr:1 row_mask:0xf bank_mask:0xf
	v_mov_b32_dpp v6, v73 row_shr:1 row_mask:0xf bank_mask:0xf
	v_cmp_lt_u32_e32 vcc_lo, 3, v69
	v_add_nc_u32_e32 v5, v5, v72
	v_add_nc_u32_e32 v6, v6, v73
	v_cndmask_b32_e64 v5, v5, v72, s2
	v_cndmask_b32_e64 v6, v6, v73, s2
	s_mov_b32 s2, exec_lo
	v_mov_b32_dpp v7, v5 row_shr:2 row_mask:0xf bank_mask:0xf
	v_mov_b32_dpp v8, v6 row_shr:2 row_mask:0xf bank_mask:0xf
	v_add_nc_u32_e32 v7, v5, v7
	v_add_nc_u32_e32 v8, v6, v8
	v_cndmask_b32_e64 v5, v5, v7, s1
	v_cndmask_b32_e64 v6, v6, v8, s1
	v_mov_b32_dpp v7, v5 row_shr:4 row_mask:0xf bank_mask:0xf
	v_mov_b32_dpp v8, v6 row_shr:4 row_mask:0xf bank_mask:0xf
	v_add_nc_u32_e32 v7, v5, v7
	v_add_nc_u32_e32 v8, v6, v8
	v_cndmask_b32_e32 v7, v5, v7, vcc_lo
	v_cndmask_b32_e32 v6, v6, v8, vcc_lo
	v_cmp_lt_u32_e32 vcc_lo, 7, v69
	v_mov_b32_dpp v5, v7 row_shr:8 row_mask:0xf bank_mask:0xf
	v_mov_b32_dpp v8, v6 row_shr:8 row_mask:0xf bank_mask:0xf
	v_add_nc_u32_e32 v9, v7, v5
	v_add_nc_u32_e32 v5, v6, v8
	v_cndmask_b32_e32 v5, v6, v5, vcc_lo
	v_cndmask_b32_e32 v6, v7, v9, vcc_lo
	v_cmp_eq_u32_e32 vcc_lo, 0, v71
	ds_swizzle_b32 v7, v5 offset:swizzle(BROADCAST,32,15)
	ds_swizzle_b32 v8, v6 offset:swizzle(BROADCAST,32,15)
	s_waitcnt lgkmcnt(1)
	v_add_nc_u32_e32 v7, v5, v7
	s_waitcnt lgkmcnt(0)
	v_add_nc_u32_e32 v8, v6, v8
	v_cmpx_eq_u32_e64 v0, v70
	s_cbranch_execz .LBB1903_144
; %bb.143:
	v_cndmask_b32_e32 v9, v8, v6, vcc_lo
	v_cndmask_b32_e32 v10, v7, v5, vcc_lo
	v_lshlrev_b32_e32 v11, 3, v68
	ds_write_b64 v11, v[9:10]
.LBB1903_144:
	s_or_b32 exec_lo, exec_lo, s2
	s_mov_b32 s2, exec_lo
	s_waitcnt lgkmcnt(0)
	s_barrier
	buffer_gl0_inv
	v_cmpx_gt_u32_e32 8, v0
	s_cbranch_execz .LBB1903_146
; %bb.145:
	v_lshlrev_b32_e32 v11, 3, v0
	v_and_b32_e32 v26, 7, v67
	ds_read_b64 v[9:10], v11
	v_cmp_eq_u32_e64 s1, 0, v26
	s_waitcnt lgkmcnt(0)
	v_mov_b32_dpp v12, v9 row_shr:1 row_mask:0xf bank_mask:0xf
	v_mov_b32_dpp v25, v10 row_shr:1 row_mask:0xf bank_mask:0xf
	v_add_nc_u32_e32 v12, v12, v9
	v_add_nc_u32_e32 v25, v25, v10
	v_cndmask_b32_e64 v9, v12, v9, s1
	v_cndmask_b32_e64 v10, v25, v10, s1
	v_cmp_lt_u32_e64 s1, 1, v26
	v_mov_b32_dpp v12, v9 row_shr:2 row_mask:0xf bank_mask:0xf
	v_mov_b32_dpp v25, v10 row_shr:2 row_mask:0xf bank_mask:0xf
	v_add_nc_u32_e32 v12, v9, v12
	v_add_nc_u32_e32 v25, v10, v25
	v_cndmask_b32_e64 v9, v9, v12, s1
	v_cndmask_b32_e64 v10, v10, v25, s1
	v_cmp_lt_u32_e64 s1, 3, v26
	v_mov_b32_dpp v12, v9 row_shr:4 row_mask:0xf bank_mask:0xf
	v_mov_b32_dpp v25, v10 row_shr:4 row_mask:0xf bank_mask:0xf
	v_cndmask_b32_e64 v12, 0, v12, s1
	v_cndmask_b32_e64 v25, 0, v25, s1
	v_add_nc_u32_e32 v9, v12, v9
	v_add_nc_u32_e32 v10, v25, v10
	ds_write_b64 v11, v[9:10]
.LBB1903_146:
	s_or_b32 exec_lo, exec_lo, s2
	v_mov_b32_e32 v11, 0
	v_mov_b32_e32 v9, 0
	;; [unrolled: 1-line block ×3, first 2 shown]
	s_mov_b32 s2, exec_lo
	s_waitcnt lgkmcnt(0)
	s_barrier
	buffer_gl0_inv
	v_cmpx_lt_u32_e32 31, v0
; %bb.147:
	v_lshl_add_u32 v9, v68, 3, -8
	ds_read_b64 v[9:10], v9
; %bb.148:
	s_or_b32 exec_lo, exec_lo, s2
	v_sub_co_u32 v12, s1, v67, 1
	v_cndmask_b32_e32 v6, v8, v6, vcc_lo
	v_cndmask_b32_e32 v5, v7, v5, vcc_lo
	v_cmp_gt_i32_e64 s2, 0, v12
	s_waitcnt lgkmcnt(0)
	v_add_nc_u32_e32 v6, v9, v6
	v_add_nc_u32_e32 v5, v10, v5
	v_cndmask_b32_e64 v8, v12, v67, s2
	v_lshlrev_b32_e32 v7, 2, v8
	ds_bpermute_b32 v12, v7, v6
	ds_bpermute_b32 v25, v7, v5
	ds_read_b64 v[5:6], v11 offset:56
	s_and_saveexec_b32 s2, s0
	s_cbranch_execz .LBB1903_150
; %bb.149:
	s_add_u32 s6, s36, 0x200
	s_addc_u32 s7, s37, 0
	v_mov_b32_e32 v7, 2
	v_mov_b32_e32 v27, s7
	;; [unrolled: 1-line block ×4, first 2 shown]
	s_waitcnt lgkmcnt(0)
	;;#ASMSTART
	global_store_dwordx4 v[26:27], v[5:8] off	
s_waitcnt vmcnt(0)
	;;#ASMEND
.LBB1903_150:
	s_or_b32 exec_lo, exec_lo, s2
	s_waitcnt lgkmcnt(1)
	v_cndmask_b32_e64 v7, v25, v10, s1
	v_cndmask_b32_e64 v9, v12, v9, s1
	v_mov_b32_e32 v8, 0
	s_waitcnt lgkmcnt(0)
	s_barrier
	v_cndmask_b32_e64 v25, v7, 0, s0
	v_cndmask_b32_e64 v26, v9, 0, s0
	v_mov_b32_e32 v7, 0
	buffer_gl0_inv
.LBB1903_151:
	v_add_nc_u32_e32 v30, v25, v66
	v_add_nc_u32_e32 v29, v26, v65
	s_waitcnt lgkmcnt(0)
	v_sub_nc_u32_e32 v25, v25, v8
	v_lshrrev_b32_e32 v28, 8, v41
	v_lshlrev_b32_e32 v69, 1, v5
	v_add_nc_u32_e32 v63, v30, v63
	v_sub_nc_u32_e32 v30, v30, v8
	v_add_nc_u32_e32 v62, v29, v62
	v_sub_nc_u32_e32 v26, v26, v7
	;; [unrolled: 2-line block ×3, first 2 shown]
	v_add_nc_u32_e32 v30, v30, v5
	v_and_b32_e32 v28, 1, v28
	v_mov_b32_e32 v71, 1
	v_add3_u32 v34, v69, v6, v34
	v_add_nc_u32_e32 v75, v26, v25
	v_add_nc_u32_e32 v76, v30, v29
	v_add_co_u32 v1, vcc_lo, v1, v7
	v_add_co_ci_u32_e64 v2, null, 0, v2, vcc_lo
	v_sub_co_u32 v67, vcc_lo, v3, v5
	v_subrev_co_ci_u32_e64 v68, null, 0, v4, vcc_lo
	v_and_b32_sdwa v74, v71, v41 dst_sel:DWORD dst_unused:UNUSED_PAD src0_sel:DWORD src1_sel:WORD_1
	v_sub_nc_u32_e32 v76, v34, v76
	v_sub_nc_u32_e32 v75, v34, v75
	v_cmp_eq_u32_e32 vcc_lo, 1, v28
	v_lshrrev_b32_e32 v27, 8, v35
	v_add_nc_u32_e32 v65, v63, v48
	v_and_b32_e32 v70, 1, v35
	v_sub_nc_u32_e32 v63, v63, v8
	v_add_nc_u32_e32 v76, 1, v76
	v_cndmask_b32_e32 v25, v75, v25, vcc_lo
	v_cmp_eq_u32_e32 vcc_lo, 1, v74
	v_add_nc_u32_e32 v64, v62, v64
	v_and_b32_e32 v27, 1, v27
	v_sub_nc_u32_e32 v62, v62, v7
	v_add_nc_u32_e32 v63, v63, v5
	v_cndmask_b32_e32 v30, v76, v30, vcc_lo
	v_cmp_eq_u32_e32 vcc_lo, 1, v70
	v_and_b32_e32 v48, 1, v48
	v_add_nc_u32_e32 v61, v65, v61
	v_add_nc_u32_e32 v74, v63, v62
	v_and_b32_sdwa v35, v71, v35 dst_sel:DWORD dst_unused:UNUSED_PAD src0_sel:DWORD src1_sel:WORD_1
	v_cndmask_b32_e32 v70, v25, v26, vcc_lo
	v_cmp_eq_u32_e32 vcc_lo, 1, v27
	v_sub_nc_u32_e32 v65, v65, v8
	v_add_nc_u32_e32 v66, v64, v47
	v_add_nc_u32_e32 v60, v61, v60
	v_sub_nc_u32_e32 v61, v61, v8
	v_cndmask_b32_e32 v27, v30, v29, vcc_lo
	v_sub_nc_u32_e32 v29, v34, v74
	v_add_co_u32 v25, vcc_lo, v67, v8
	v_add_co_ci_u32_e64 v26, null, 0, v68, vcc_lo
	v_add_nc_u32_e32 v29, 2, v29
	v_cmp_eq_u32_e32 vcc_lo, 1, v48
	v_sub_nc_u32_e32 v48, v64, v7
	v_lshlrev_b32_e32 v30, 2, v70
	v_add_nc_u32_e32 v61, v61, v5
	v_lshlrev_b32_e32 v27, 2, v27
	v_cndmask_b32_e32 v29, v29, v63, vcc_lo
	v_add_nc_u32_e32 v63, v65, v5
	v_cmp_eq_u32_e32 vcc_lo, 1, v35
	v_sub_nc_u32_e32 v35, v66, v7
	v_lshrrev_b32_e32 v12, 8, v36
	ds_write_b32 v30, v23
	ds_write_b32 v27, v24
	v_and_b32_e32 v30, 1, v36
	v_cndmask_b32_e32 v29, v29, v62, vcc_lo
	v_add_nc_u32_e32 v62, v48, v63
	v_add_nc_u32_e32 v24, v35, v61
	;; [unrolled: 1-line block ×3, first 2 shown]
	v_and_b32_e32 v12, 1, v12
	v_lshlrev_b32_e32 v23, 2, v29
	v_sub_nc_u32_e32 v27, v34, v62
	v_and_b32_e32 v29, 1, v47
	v_sub_nc_u32_e32 v47, v60, v8
	v_sub_nc_u32_e32 v24, v34, v24
	v_cmp_eq_u32_e32 vcc_lo, 1, v30
	v_add_nc_u32_e32 v27, 3, v27
	v_add_nc_u32_e32 v57, v59, v57
	v_sub_nc_u32_e32 v59, v59, v7
	v_add_nc_u32_e32 v47, v47, v5
	v_add_nc_u32_e32 v24, 4, v24
	v_cndmask_b32_e32 v27, v27, v63, vcc_lo
	v_cmp_eq_u32_e32 vcc_lo, 1, v12
	v_add_nc_u32_e32 v58, v60, v58
	v_and_b32_e32 v30, 1, v37
	v_add_nc_u32_e32 v60, v59, v47
	v_lshrrev_b32_e32 v11, 8, v37
	v_cndmask_b32_e32 v12, v24, v61, vcc_lo
	v_cmp_eq_u32_e32 vcc_lo, 1, v29
	ds_write_b32 v23, v21
	v_and_b32_sdwa v23, v71, v36 dst_sel:DWORD dst_unused:UNUSED_PAD src0_sel:DWORD src1_sel:WORD_1
	v_add_nc_u32_e32 v72, v58, v46
	v_and_b32_e32 v11, 1, v11
	v_cndmask_b32_e32 v24, v27, v48, vcc_lo
	v_sub_nc_u32_e32 v27, v34, v60
	v_cmp_eq_u32_e32 vcc_lo, 1, v30
	v_add_nc_u32_e32 v52, v57, v52
	v_sub_nc_u32_e32 v29, v72, v8
	v_lshlrev_b32_e32 v21, 2, v24
	v_add_nc_u32_e32 v24, 5, v27
	v_cndmask_b32_e32 v12, v12, v35, vcc_lo
	v_sub_nc_u32_e32 v27, v58, v8
	v_cmp_eq_u32_e32 vcc_lo, 1, v23
	v_add_nc_u32_e32 v29, v29, v5
	v_add_nc_u32_e32 v56, v72, v56
	v_lshlrev_b32_e32 v12, 2, v12
	v_add_nc_u32_e32 v27, v27, v5
	v_cndmask_b32_e32 v23, v24, v47, vcc_lo
	v_sub_nc_u32_e32 v24, v57, v7
	v_cmp_eq_u32_e32 vcc_lo, 1, v11
	ds_write_b32 v21, v22
	ds_write_b32 v12, v19
	v_and_b32_e32 v22, 1, v46
	v_and_b32_e32 v35, 1, v38
	v_add_nc_u32_e32 v30, v24, v27
	v_cndmask_b32_e32 v11, v23, v59, vcc_lo
	v_sub_nc_u32_e32 v23, v52, v7
	v_cmp_eq_u32_e32 vcc_lo, 1, v22
	v_add_nc_u32_e32 v73, v52, v45
	v_sub_nc_u32_e32 v19, v34, v30
	v_sub_nc_u32_e32 v30, v56, v8
	v_add_nc_u32_e32 v12, v23, v29
	v_and_b32_sdwa v21, v71, v37 dst_sel:DWORD dst_unused:UNUSED_PAD src0_sel:DWORD src1_sel:WORD_1
	v_sub_nc_u32_e32 v36, v73, v7
	v_add_nc_u32_e32 v19, 6, v19
	v_add_nc_u32_e32 v30, v30, v5
	v_sub_nc_u32_e32 v12, v34, v12
	v_and_b32_e32 v22, 1, v45
	v_lshrrev_b32_e32 v10, 8, v38
	v_cndmask_b32_e32 v19, v19, v27, vcc_lo
	v_cmp_eq_u32_e32 vcc_lo, 1, v35
	v_add_nc_u32_e32 v12, 7, v12
	v_add_nc_u32_e32 v55, v56, v55
	;; [unrolled: 1-line block ×4, first 2 shown]
	v_and_b32_e32 v10, 1, v10
	v_cndmask_b32_e32 v12, v12, v29, vcc_lo
	v_cmp_eq_u32_e32 vcc_lo, 1, v21
	v_sub_nc_u32_e32 v21, v34, v27
	v_add_nc_u32_e32 v53, v55, v53
	v_lshlrev_b32_e32 v11, 2, v11
	v_add_nc_u32_e32 v51, v54, v51
	v_cndmask_b32_e32 v19, v19, v24, vcc_lo
	v_cmp_eq_u32_e32 vcc_lo, 1, v22
	v_sub_nc_u32_e32 v22, v55, v8
	v_add_nc_u32_e32 v21, 8, v21
	v_sub_nc_u32_e32 v24, v54, v7
	v_lshlrev_b32_e32 v19, 2, v19
	v_cndmask_b32_e32 v12, v12, v23, vcc_lo
	v_add_nc_u32_e32 v22, v22, v5
	v_cmp_eq_u32_e32 vcc_lo, 1, v10
	v_add_nc_u32_e32 v77, v53, v44
	v_and_b32_e32 v23, 1, v40
	v_lshlrev_b32_e32 v12, 2, v12
	ds_write_b32 v11, v20
	ds_write_b32 v19, v17
	;; [unrolled: 1-line block ×3, first 2 shown]
	v_cndmask_b32_e32 v10, v21, v30, vcc_lo
	v_add_nc_u32_e32 v21, v24, v22
	v_sub_nc_u32_e32 v12, v53, v8
	v_lshrrev_b32_e32 v9, 8, v40
	v_add_nc_u32_e32 v49, v51, v49
	v_cmp_eq_u32_e32 vcc_lo, 1, v23
	v_sub_nc_u32_e32 v11, v34, v21
	v_and_b32_sdwa v17, v71, v38 dst_sel:DWORD dst_unused:UNUSED_PAD src0_sel:DWORD src1_sel:WORD_1
	v_sub_nc_u32_e32 v18, v51, v7
	v_sub_nc_u32_e32 v19, v77, v8
	v_add_nc_u32_e32 v12, v12, v5
	v_cndmask_b32_e32 v10, v10, v36, vcc_lo
	v_and_b32_e32 v9, 1, v9
	v_add_nc_u32_e32 v11, 9, v11
	v_cmp_eq_u32_e32 vcc_lo, 1, v17
	v_sub_nc_u32_e32 v17, v49, v7
	v_add_nc_u32_e32 v19, v19, v5
	v_add_nc_u32_e32 v20, v18, v12
	;; [unrolled: 1-line block ×3, first 2 shown]
	v_cndmask_b32_e32 v11, v11, v22, vcc_lo
	v_cmp_eq_u32_e32 vcc_lo, 1, v9
	v_add_nc_u32_e32 v21, v17, v19
	v_sub_nc_u32_e32 v20, v34, v20
	v_and_b32_e32 v23, 1, v44
	v_add_nc_u32_e32 v50, v49, v43
	v_cndmask_b32_e32 v9, v11, v24, vcc_lo
	v_sub_nc_u32_e32 v11, v28, v8
	v_sub_nc_u32_e32 v21, v34, v21
	v_add_nc_u32_e32 v20, 10, v20
	v_and_b32_e32 v24, 1, v39
	v_cmp_eq_u32_e32 vcc_lo, 1, v23
	v_and_b32_sdwa v22, v71, v40 dst_sel:DWORD dst_unused:UNUSED_PAD src0_sel:DWORD src1_sel:WORD_1
	v_sub_nc_u32_e32 v7, v50, v7
	v_add_nc_u32_e32 v11, v11, v5
	v_add_nc_u32_e32 v21, 11, v21
	v_cndmask_b32_e32 v12, v20, v12, vcc_lo
	v_cmp_eq_u32_e32 vcc_lo, 1, v24
	v_and_b32_e32 v20, 1, v43
	v_add_nc_u32_e32 v27, v7, v11
	v_lshlrev_b32_e32 v10, 2, v10
	v_lshlrev_b32_e32 v9, 2, v9
	v_cndmask_b32_e32 v19, v21, v19, vcc_lo
	v_cmp_eq_u32_e32 vcc_lo, 1, v22
	v_sub_nc_u32_e32 v23, v34, v27
	v_cndmask_b32_e32 v12, v12, v18, vcc_lo
	v_and_b32_e32 v18, 1, v42
	v_cmp_eq_u32_e32 vcc_lo, 1, v20
	v_add_nc_u32_e32 v21, 12, v23
	v_lshlrev_b32_e32 v12, 2, v12
	v_cndmask_b32_e32 v17, v19, v17, vcc_lo
	v_and_b32_e32 v19, 1, v41
	v_cmp_eq_u32_e32 vcc_lo, 1, v18
	v_lshlrev_b32_e32 v17, 2, v17
	ds_write_b32 v10, v15
	ds_write_b32 v9, v16
	;; [unrolled: 1-line block ×4, first 2 shown]
	v_cndmask_b32_e32 v11, v21, v11, vcc_lo
	v_cmp_eq_u32_e32 vcc_lo, 1, v19
	v_add_co_u32 v9, s1, v6, v69
	v_add_co_ci_u32_e64 v10, null, 0, 0, s1
	v_cndmask_b32_e32 v7, v11, v7, vcc_lo
	v_add_co_u32 v11, s1, s34, v31
	v_add_co_ci_u32_e64 v12, null, s35, 0, s1
	v_lshlrev_b32_e32 v7, 2, v7
	v_add_nc_u32_e32 v14, v5, v6
	ds_write_b32 v7, v33
	v_add_co_u32 v7, vcc_lo, v9, v25
	v_add_co_ci_u32_e64 v9, null, v10, v26, vcc_lo
	s_waitcnt lgkmcnt(0)
	v_add_co_u32 v7, vcc_lo, v7, v1
	v_add_co_ci_u32_e64 v13, null, v9, v2, vcc_lo
	v_lshlrev_b64 v[9:10], 2, v[25:26]
	v_sub_co_u32 v7, vcc_lo, v11, v7
	v_sub_co_ci_u32_e64 v13, null, v12, v13, vcc_lo
	v_lshlrev_b64 v[11:12], 2, v[1:2]
	v_add_co_u32 v9, vcc_lo, s30, v9
	v_add_co_ci_u32_e64 v10, null, s31, v10, vcc_lo
	v_cmp_ne_u32_e32 vcc_lo, 1, v32
	v_add_co_u32 v11, s1, s28, v11
	v_add_co_ci_u32_e64 v12, null, s29, v12, s1
	s_mov_b32 s1, -1
	s_barrier
	buffer_gl0_inv
	s_cbranch_vccz .LBB1903_155
; %bb.152:
	s_and_b32 vcc_lo, exec_lo, s1
	s_cbranch_vccnz .LBB1903_260
.LBB1903_153:
	s_and_b32 s0, s0, s26
	s_and_saveexec_b32 s1, s0
	s_cbranch_execnz .LBB1903_378
.LBB1903_154:
	s_endpgm
.LBB1903_155:
	s_mov_b32 s1, exec_lo
	v_cmpx_ge_u32_e64 v0, v5
	s_xor_b32 s1, exec_lo, s1
	s_cbranch_execz .LBB1903_161
; %bb.156:
	s_mov_b32 s2, exec_lo
	v_cmpx_ge_u32_e64 v0, v14
	s_xor_b32 s2, exec_lo, s2
	s_cbranch_execz .LBB1903_158
; %bb.157:
	v_lshlrev_b32_e32 v15, 2, v0
	ds_read_b32 v17, v15
	v_add_co_u32 v15, vcc_lo, v7, v0
	v_add_co_ci_u32_e64 v16, null, 0, v13, vcc_lo
	v_lshlrev_b64 v[15:16], 2, v[15:16]
	v_sub_co_u32 v15, vcc_lo, s14, v15
	v_sub_co_ci_u32_e64 v16, null, s15, v16, vcc_lo
	s_waitcnt lgkmcnt(0)
	global_store_dword v[15:16], v17, off offset:-4
.LBB1903_158:
	s_andn2_saveexec_b32 s2, s2
	s_cbranch_execz .LBB1903_160
; %bb.159:
	v_lshlrev_b32_e32 v15, 2, v0
	v_readfirstlane_b32 s6, v9
	v_readfirstlane_b32 s7, v10
	ds_read_b32 v16, v15
	s_waitcnt lgkmcnt(0)
	global_store_dword v15, v16, s[6:7]
.LBB1903_160:
	s_or_b32 exec_lo, exec_lo, s2
.LBB1903_161:
	s_andn2_saveexec_b32 s1, s1
	s_cbranch_execz .LBB1903_163
; %bb.162:
	v_lshlrev_b32_e32 v15, 2, v0
	v_readfirstlane_b32 s2, v11
	v_readfirstlane_b32 s3, v12
	ds_read_b32 v16, v15
	s_waitcnt lgkmcnt(0)
	global_store_dword v15, v16, s[2:3]
.LBB1903_163:
	s_or_b32 exec_lo, exec_lo, s1
	v_or_b32_e32 v15, 0x100, v0
	s_mov_b32 s1, exec_lo
	v_cmpx_ge_u32_e64 v15, v5
	s_xor_b32 s1, exec_lo, s1
	s_cbranch_execz .LBB1903_169
; %bb.164:
	s_mov_b32 s2, exec_lo
	v_cmpx_ge_u32_e64 v15, v14
	s_xor_b32 s2, exec_lo, s2
	s_cbranch_execz .LBB1903_166
; %bb.165:
	v_lshlrev_b32_e32 v15, 2, v0
	ds_read_b32 v17, v15 offset:1024
	v_add_co_u32 v15, vcc_lo, v7, v0
	v_add_co_ci_u32_e64 v16, null, 0, v13, vcc_lo
	v_lshlrev_b64 v[15:16], 2, v[15:16]
	v_sub_co_u32 v15, vcc_lo, s14, v15
	v_sub_co_ci_u32_e64 v16, null, s15, v16, vcc_lo
	s_waitcnt lgkmcnt(0)
	global_store_dword v[15:16], v17, off offset:-1028
.LBB1903_166:
	s_andn2_saveexec_b32 s2, s2
	s_cbranch_execz .LBB1903_168
; %bb.167:
	v_lshlrev_b32_e32 v15, 2, v0
	v_readfirstlane_b32 s6, v9
	v_readfirstlane_b32 s7, v10
	ds_read_b32 v16, v15 offset:1024
	s_waitcnt lgkmcnt(0)
	global_store_dword v15, v16, s[6:7] offset:1024
.LBB1903_168:
	s_or_b32 exec_lo, exec_lo, s2
.LBB1903_169:
	s_andn2_saveexec_b32 s1, s1
	s_cbranch_execz .LBB1903_171
; %bb.170:
	v_lshlrev_b32_e32 v15, 2, v0
	v_readfirstlane_b32 s2, v11
	v_readfirstlane_b32 s3, v12
	ds_read_b32 v16, v15 offset:1024
	s_waitcnt lgkmcnt(0)
	global_store_dword v15, v16, s[2:3] offset:1024
.LBB1903_171:
	s_or_b32 exec_lo, exec_lo, s1
	v_or_b32_e32 v15, 0x200, v0
	s_mov_b32 s1, exec_lo
	v_cmpx_ge_u32_e64 v15, v5
	s_xor_b32 s1, exec_lo, s1
	s_cbranch_execz .LBB1903_177
; %bb.172:
	s_mov_b32 s2, exec_lo
	v_cmpx_ge_u32_e64 v15, v14
	s_xor_b32 s2, exec_lo, s2
	s_cbranch_execz .LBB1903_174
; %bb.173:
	v_lshlrev_b32_e32 v17, 2, v0
	v_add_co_u32 v15, vcc_lo, v7, v0
	v_add_co_ci_u32_e64 v16, null, 0, v13, vcc_lo
	ds_read_b32 v17, v17 offset:2048
	v_lshlrev_b64 v[15:16], 2, v[15:16]
	v_sub_co_u32 v15, vcc_lo, s14, v15
	v_sub_co_ci_u32_e64 v16, null, s15, v16, vcc_lo
	v_add_co_u32 v15, vcc_lo, 0xfffff800, v15
	v_add_co_ci_u32_e64 v16, null, -1, v16, vcc_lo
	s_waitcnt lgkmcnt(0)
	global_store_dword v[15:16], v17, off offset:-4
                                        ; implicit-def: $vgpr15
.LBB1903_174:
	s_andn2_saveexec_b32 s2, s2
	s_cbranch_execz .LBB1903_176
; %bb.175:
	v_lshlrev_b32_e32 v16, 2, v0
	v_lshlrev_b32_e32 v15, 2, v15
	v_readfirstlane_b32 s6, v9
	v_readfirstlane_b32 s7, v10
	ds_read_b32 v16, v16 offset:2048
	s_waitcnt lgkmcnt(0)
	global_store_dword v15, v16, s[6:7]
.LBB1903_176:
	s_or_b32 exec_lo, exec_lo, s2
                                        ; implicit-def: $vgpr15
.LBB1903_177:
	s_andn2_saveexec_b32 s1, s1
	s_cbranch_execz .LBB1903_179
; %bb.178:
	v_lshlrev_b32_e32 v16, 2, v0
	v_lshlrev_b32_e32 v15, 2, v15
	v_readfirstlane_b32 s2, v11
	v_readfirstlane_b32 s3, v12
	ds_read_b32 v16, v16 offset:2048
	s_waitcnt lgkmcnt(0)
	global_store_dword v15, v16, s[2:3]
.LBB1903_179:
	s_or_b32 exec_lo, exec_lo, s1
	v_or_b32_e32 v15, 0x300, v0
	s_mov_b32 s1, exec_lo
	v_cmpx_ge_u32_e64 v15, v5
	s_xor_b32 s1, exec_lo, s1
	s_cbranch_execz .LBB1903_185
; %bb.180:
	s_mov_b32 s2, exec_lo
	v_cmpx_ge_u32_e64 v15, v14
	s_xor_b32 s2, exec_lo, s2
	s_cbranch_execz .LBB1903_182
; %bb.181:
	v_lshlrev_b32_e32 v16, 2, v0
	v_add_co_u32 v15, vcc_lo, v7, v15
	ds_read_b32 v17, v16 offset:3072
	v_add_co_ci_u32_e64 v16, null, 0, v13, vcc_lo
	v_lshlrev_b64 v[15:16], 2, v[15:16]
	v_sub_co_u32 v15, vcc_lo, s14, v15
	v_sub_co_ci_u32_e64 v16, null, s15, v16, vcc_lo
	s_waitcnt lgkmcnt(0)
	global_store_dword v[15:16], v17, off offset:-4
                                        ; implicit-def: $vgpr15
.LBB1903_182:
	s_andn2_saveexec_b32 s2, s2
	s_cbranch_execz .LBB1903_184
; %bb.183:
	v_lshlrev_b32_e32 v16, 2, v0
	v_lshlrev_b32_e32 v15, 2, v15
	v_readfirstlane_b32 s6, v9
	v_readfirstlane_b32 s7, v10
	ds_read_b32 v16, v16 offset:3072
	s_waitcnt lgkmcnt(0)
	global_store_dword v15, v16, s[6:7]
.LBB1903_184:
	s_or_b32 exec_lo, exec_lo, s2
                                        ; implicit-def: $vgpr15
.LBB1903_185:
	s_andn2_saveexec_b32 s1, s1
	s_cbranch_execz .LBB1903_187
; %bb.186:
	v_lshlrev_b32_e32 v16, 2, v0
	v_lshlrev_b32_e32 v15, 2, v15
	v_readfirstlane_b32 s2, v11
	v_readfirstlane_b32 s3, v12
	ds_read_b32 v16, v16 offset:3072
	s_waitcnt lgkmcnt(0)
	global_store_dword v15, v16, s[2:3]
.LBB1903_187:
	s_or_b32 exec_lo, exec_lo, s1
	v_or_b32_e32 v15, 0x400, v0
	s_mov_b32 s1, exec_lo
	v_cmpx_ge_u32_e64 v15, v5
	s_xor_b32 s1, exec_lo, s1
	s_cbranch_execz .LBB1903_193
; %bb.188:
	s_mov_b32 s2, exec_lo
	v_cmpx_ge_u32_e64 v15, v14
	s_xor_b32 s2, exec_lo, s2
	s_cbranch_execz .LBB1903_190
; %bb.189:
	v_lshlrev_b32_e32 v16, 2, v0
	v_add_co_u32 v15, vcc_lo, v7, v15
	ds_read_b32 v17, v16 offset:4096
	v_add_co_ci_u32_e64 v16, null, 0, v13, vcc_lo
	v_lshlrev_b64 v[15:16], 2, v[15:16]
	v_sub_co_u32 v15, vcc_lo, s14, v15
	v_sub_co_ci_u32_e64 v16, null, s15, v16, vcc_lo
	s_waitcnt lgkmcnt(0)
	global_store_dword v[15:16], v17, off offset:-4
                                        ; implicit-def: $vgpr15
.LBB1903_190:
	s_andn2_saveexec_b32 s2, s2
	s_cbranch_execz .LBB1903_192
; %bb.191:
	v_lshlrev_b32_e32 v16, 2, v0
	v_lshlrev_b32_e32 v15, 2, v15
	v_readfirstlane_b32 s6, v9
	v_readfirstlane_b32 s7, v10
	ds_read_b32 v16, v16 offset:4096
	s_waitcnt lgkmcnt(0)
	global_store_dword v15, v16, s[6:7]
.LBB1903_192:
	s_or_b32 exec_lo, exec_lo, s2
                                        ; implicit-def: $vgpr15
.LBB1903_193:
	;; [unrolled: 48-line block ×10, first 2 shown]
	s_andn2_saveexec_b32 s1, s1
	s_cbranch_execz .LBB1903_259
; %bb.258:
	v_lshlrev_b32_e32 v16, 2, v0
	v_lshlrev_b32_e32 v15, 2, v15
	v_readfirstlane_b32 s2, v11
	v_readfirstlane_b32 s3, v12
	ds_read_b32 v16, v16 offset:12288
	s_waitcnt lgkmcnt(0)
	global_store_dword v15, v16, s[2:3]
.LBB1903_259:
	s_or_b32 exec_lo, exec_lo, s1
	s_branch .LBB1903_153
.LBB1903_260:
	s_mov_b32 s1, exec_lo
	v_cmpx_gt_u32_e64 s5, v0
	s_cbranch_execz .LBB1903_269
; %bb.261:
	s_mov_b32 s2, exec_lo
	v_cmpx_ge_u32_e64 v0, v5
	s_xor_b32 s2, exec_lo, s2
	s_cbranch_execz .LBB1903_267
; %bb.262:
	s_mov_b32 s3, exec_lo
	v_cmpx_ge_u32_e64 v0, v14
	s_xor_b32 s3, exec_lo, s3
	s_cbranch_execz .LBB1903_264
; %bb.263:
	v_lshlrev_b32_e32 v15, 2, v0
	ds_read_b32 v17, v15
	v_add_co_u32 v15, vcc_lo, v7, v0
	v_add_co_ci_u32_e64 v16, null, 0, v13, vcc_lo
	v_lshlrev_b64 v[15:16], 2, v[15:16]
	v_sub_co_u32 v15, vcc_lo, s14, v15
	v_sub_co_ci_u32_e64 v16, null, s15, v16, vcc_lo
	s_waitcnt lgkmcnt(0)
	global_store_dword v[15:16], v17, off offset:-4
.LBB1903_264:
	s_andn2_saveexec_b32 s3, s3
	s_cbranch_execz .LBB1903_266
; %bb.265:
	v_lshlrev_b32_e32 v15, 2, v0
	v_readfirstlane_b32 s6, v9
	v_readfirstlane_b32 s7, v10
	ds_read_b32 v16, v15
	s_waitcnt lgkmcnt(0)
	global_store_dword v15, v16, s[6:7]
.LBB1903_266:
	s_or_b32 exec_lo, exec_lo, s3
.LBB1903_267:
	s_andn2_saveexec_b32 s2, s2
	s_cbranch_execz .LBB1903_269
; %bb.268:
	v_lshlrev_b32_e32 v15, 2, v0
	v_readfirstlane_b32 s2, v11
	v_readfirstlane_b32 s3, v12
	ds_read_b32 v16, v15
	s_waitcnt lgkmcnt(0)
	global_store_dword v15, v16, s[2:3]
.LBB1903_269:
	s_or_b32 exec_lo, exec_lo, s1
	v_or_b32_e32 v15, 0x100, v0
	s_mov_b32 s1, exec_lo
	v_cmpx_gt_u32_e64 s5, v15
	s_cbranch_execz .LBB1903_278
; %bb.270:
	s_mov_b32 s2, exec_lo
	v_cmpx_ge_u32_e64 v15, v5
	s_xor_b32 s2, exec_lo, s2
	s_cbranch_execz .LBB1903_276
; %bb.271:
	s_mov_b32 s3, exec_lo
	v_cmpx_ge_u32_e64 v15, v14
	s_xor_b32 s3, exec_lo, s3
	s_cbranch_execz .LBB1903_273
; %bb.272:
	v_lshlrev_b32_e32 v15, 2, v0
	ds_read_b32 v17, v15 offset:1024
	v_add_co_u32 v15, vcc_lo, v7, v0
	v_add_co_ci_u32_e64 v16, null, 0, v13, vcc_lo
	v_lshlrev_b64 v[15:16], 2, v[15:16]
	v_sub_co_u32 v15, vcc_lo, s14, v15
	v_sub_co_ci_u32_e64 v16, null, s15, v16, vcc_lo
	s_waitcnt lgkmcnt(0)
	global_store_dword v[15:16], v17, off offset:-1028
.LBB1903_273:
	s_andn2_saveexec_b32 s3, s3
	s_cbranch_execz .LBB1903_275
; %bb.274:
	v_lshlrev_b32_e32 v15, 2, v0
	v_readfirstlane_b32 s6, v9
	v_readfirstlane_b32 s7, v10
	ds_read_b32 v16, v15 offset:1024
	s_waitcnt lgkmcnt(0)
	global_store_dword v15, v16, s[6:7] offset:1024
.LBB1903_275:
	s_or_b32 exec_lo, exec_lo, s3
.LBB1903_276:
	s_andn2_saveexec_b32 s2, s2
	s_cbranch_execz .LBB1903_278
; %bb.277:
	v_lshlrev_b32_e32 v15, 2, v0
	v_readfirstlane_b32 s2, v11
	v_readfirstlane_b32 s3, v12
	ds_read_b32 v16, v15 offset:1024
	s_waitcnt lgkmcnt(0)
	global_store_dword v15, v16, s[2:3] offset:1024
.LBB1903_278:
	s_or_b32 exec_lo, exec_lo, s1
	v_or_b32_e32 v15, 0x200, v0
	s_mov_b32 s1, exec_lo
	v_cmpx_gt_u32_e64 s5, v15
	s_cbranch_execz .LBB1903_287
; %bb.279:
	s_mov_b32 s2, exec_lo
	v_cmpx_ge_u32_e64 v15, v5
	s_xor_b32 s2, exec_lo, s2
	s_cbranch_execz .LBB1903_285
; %bb.280:
	s_mov_b32 s3, exec_lo
	v_cmpx_ge_u32_e64 v15, v14
	s_xor_b32 s3, exec_lo, s3
	s_cbranch_execz .LBB1903_282
; %bb.281:
	v_lshlrev_b32_e32 v17, 2, v0
	v_add_co_u32 v15, vcc_lo, v7, v0
	v_add_co_ci_u32_e64 v16, null, 0, v13, vcc_lo
	ds_read_b32 v17, v17 offset:2048
	v_lshlrev_b64 v[15:16], 2, v[15:16]
	v_sub_co_u32 v15, vcc_lo, s14, v15
	v_sub_co_ci_u32_e64 v16, null, s15, v16, vcc_lo
	v_add_co_u32 v15, vcc_lo, 0xfffff800, v15
	v_add_co_ci_u32_e64 v16, null, -1, v16, vcc_lo
	s_waitcnt lgkmcnt(0)
	global_store_dword v[15:16], v17, off offset:-4
                                        ; implicit-def: $vgpr15
.LBB1903_282:
	s_andn2_saveexec_b32 s3, s3
	s_cbranch_execz .LBB1903_284
; %bb.283:
	v_lshlrev_b32_e32 v16, 2, v0
	v_lshlrev_b32_e32 v15, 2, v15
	v_readfirstlane_b32 s6, v9
	v_readfirstlane_b32 s7, v10
	ds_read_b32 v16, v16 offset:2048
	s_waitcnt lgkmcnt(0)
	global_store_dword v15, v16, s[6:7]
.LBB1903_284:
	s_or_b32 exec_lo, exec_lo, s3
                                        ; implicit-def: $vgpr15
.LBB1903_285:
	s_andn2_saveexec_b32 s2, s2
	s_cbranch_execz .LBB1903_287
; %bb.286:
	v_lshlrev_b32_e32 v16, 2, v0
	v_lshlrev_b32_e32 v15, 2, v15
	v_readfirstlane_b32 s2, v11
	v_readfirstlane_b32 s3, v12
	ds_read_b32 v16, v16 offset:2048
	s_waitcnt lgkmcnt(0)
	global_store_dword v15, v16, s[2:3]
.LBB1903_287:
	s_or_b32 exec_lo, exec_lo, s1
	v_or_b32_e32 v15, 0x300, v0
	s_mov_b32 s1, exec_lo
	v_cmpx_gt_u32_e64 s5, v15
	s_cbranch_execz .LBB1903_296
; %bb.288:
	s_mov_b32 s2, exec_lo
	v_cmpx_ge_u32_e64 v15, v5
	s_xor_b32 s2, exec_lo, s2
	s_cbranch_execz .LBB1903_294
; %bb.289:
	s_mov_b32 s3, exec_lo
	v_cmpx_ge_u32_e64 v15, v14
	s_xor_b32 s3, exec_lo, s3
	s_cbranch_execz .LBB1903_291
; %bb.290:
	v_lshlrev_b32_e32 v16, 2, v0
	v_add_co_u32 v15, vcc_lo, v7, v15
	ds_read_b32 v17, v16 offset:3072
	v_add_co_ci_u32_e64 v16, null, 0, v13, vcc_lo
	v_lshlrev_b64 v[15:16], 2, v[15:16]
	v_sub_co_u32 v15, vcc_lo, s14, v15
	v_sub_co_ci_u32_e64 v16, null, s15, v16, vcc_lo
	s_waitcnt lgkmcnt(0)
	global_store_dword v[15:16], v17, off offset:-4
                                        ; implicit-def: $vgpr15
.LBB1903_291:
	s_andn2_saveexec_b32 s3, s3
	s_cbranch_execz .LBB1903_293
; %bb.292:
	v_lshlrev_b32_e32 v16, 2, v0
	v_lshlrev_b32_e32 v15, 2, v15
	v_readfirstlane_b32 s6, v9
	v_readfirstlane_b32 s7, v10
	ds_read_b32 v16, v16 offset:3072
	s_waitcnt lgkmcnt(0)
	global_store_dword v15, v16, s[6:7]
.LBB1903_293:
	s_or_b32 exec_lo, exec_lo, s3
                                        ; implicit-def: $vgpr15
.LBB1903_294:
	s_andn2_saveexec_b32 s2, s2
	s_cbranch_execz .LBB1903_296
; %bb.295:
	v_lshlrev_b32_e32 v16, 2, v0
	v_lshlrev_b32_e32 v15, 2, v15
	v_readfirstlane_b32 s2, v11
	v_readfirstlane_b32 s3, v12
	ds_read_b32 v16, v16 offset:3072
	s_waitcnt lgkmcnt(0)
	global_store_dword v15, v16, s[2:3]
.LBB1903_296:
	s_or_b32 exec_lo, exec_lo, s1
	v_or_b32_e32 v15, 0x400, v0
	s_mov_b32 s1, exec_lo
	v_cmpx_gt_u32_e64 s5, v15
	s_cbranch_execz .LBB1903_305
; %bb.297:
	s_mov_b32 s2, exec_lo
	v_cmpx_ge_u32_e64 v15, v5
	s_xor_b32 s2, exec_lo, s2
	s_cbranch_execz .LBB1903_303
; %bb.298:
	s_mov_b32 s3, exec_lo
	v_cmpx_ge_u32_e64 v15, v14
	s_xor_b32 s3, exec_lo, s3
	s_cbranch_execz .LBB1903_300
; %bb.299:
	v_lshlrev_b32_e32 v16, 2, v0
	v_add_co_u32 v15, vcc_lo, v7, v15
	ds_read_b32 v17, v16 offset:4096
	v_add_co_ci_u32_e64 v16, null, 0, v13, vcc_lo
	v_lshlrev_b64 v[15:16], 2, v[15:16]
	v_sub_co_u32 v15, vcc_lo, s14, v15
	v_sub_co_ci_u32_e64 v16, null, s15, v16, vcc_lo
	s_waitcnt lgkmcnt(0)
	global_store_dword v[15:16], v17, off offset:-4
                                        ; implicit-def: $vgpr15
.LBB1903_300:
	s_andn2_saveexec_b32 s3, s3
	s_cbranch_execz .LBB1903_302
; %bb.301:
	v_lshlrev_b32_e32 v16, 2, v0
	v_lshlrev_b32_e32 v15, 2, v15
	v_readfirstlane_b32 s6, v9
	v_readfirstlane_b32 s7, v10
	ds_read_b32 v16, v16 offset:4096
	s_waitcnt lgkmcnt(0)
	global_store_dword v15, v16, s[6:7]
.LBB1903_302:
	s_or_b32 exec_lo, exec_lo, s3
                                        ; implicit-def: $vgpr15
.LBB1903_303:
	s_andn2_saveexec_b32 s2, s2
	s_cbranch_execz .LBB1903_305
; %bb.304:
	v_lshlrev_b32_e32 v16, 2, v0
	v_lshlrev_b32_e32 v15, 2, v15
	v_readfirstlane_b32 s2, v11
	v_readfirstlane_b32 s3, v12
	ds_read_b32 v16, v16 offset:4096
	s_waitcnt lgkmcnt(0)
	global_store_dword v15, v16, s[2:3]
.LBB1903_305:
	;; [unrolled: 52-line block ×9, first 2 shown]
	s_or_b32 exec_lo, exec_lo, s1
	v_or_b32_e32 v15, 0xc00, v0
	s_mov_b32 s1, exec_lo
	v_cmpx_gt_u32_e64 s5, v15
	s_cbranch_execz .LBB1903_377
; %bb.369:
	s_mov_b32 s2, exec_lo
	v_cmpx_ge_u32_e64 v15, v5
	s_xor_b32 s2, exec_lo, s2
	s_cbranch_execz .LBB1903_375
; %bb.370:
	s_mov_b32 s3, exec_lo
	v_cmpx_ge_u32_e64 v15, v14
	s_xor_b32 s3, exec_lo, s3
	s_cbranch_execz .LBB1903_372
; %bb.371:
	v_lshlrev_b32_e32 v0, 2, v0
	v_add_co_u32 v9, vcc_lo, v7, v15
	v_add_co_ci_u32_e64 v10, null, 0, v13, vcc_lo
	ds_read_b32 v0, v0 offset:12288
                                        ; implicit-def: $vgpr15
	v_lshlrev_b64 v[9:10], 2, v[9:10]
	v_sub_co_u32 v9, vcc_lo, s14, v9
	v_sub_co_ci_u32_e64 v10, null, s15, v10, vcc_lo
	s_waitcnt lgkmcnt(0)
	global_store_dword v[9:10], v0, off offset:-4
                                        ; implicit-def: $vgpr0
                                        ; implicit-def: $vgpr9_vgpr10
.LBB1903_372:
	s_andn2_saveexec_b32 s3, s3
	s_cbranch_execz .LBB1903_374
; %bb.373:
	v_lshlrev_b32_e32 v0, 2, v0
	v_lshlrev_b32_e32 v7, 2, v15
	v_readfirstlane_b32 s4, v9
	v_readfirstlane_b32 s5, v10
	ds_read_b32 v0, v0 offset:12288
	s_waitcnt lgkmcnt(0)
	global_store_dword v7, v0, s[4:5]
.LBB1903_374:
	s_or_b32 exec_lo, exec_lo, s3
                                        ; implicit-def: $vgpr0
                                        ; implicit-def: $vgpr15
                                        ; implicit-def: $vgpr11_vgpr12
.LBB1903_375:
	s_andn2_saveexec_b32 s2, s2
	s_cbranch_execz .LBB1903_377
; %bb.376:
	v_lshlrev_b32_e32 v0, 2, v0
	v_lshlrev_b32_e32 v7, 2, v15
	v_readfirstlane_b32 s2, v11
	v_readfirstlane_b32 s3, v12
	ds_read_b32 v0, v0 offset:12288
	s_waitcnt lgkmcnt(0)
	global_store_dword v7, v0, s[2:3]
.LBB1903_377:
	s_or_b32 exec_lo, exec_lo, s1
	s_and_b32 s0, s0, s26
	s_and_saveexec_b32 s1, s0
	s_cbranch_execz .LBB1903_154
.LBB1903_378:
	v_add_co_u32 v0, vcc_lo, v3, v6
	v_add_co_ci_u32_e64 v4, null, 0, v4, vcc_lo
	v_mov_b32_e32 v6, 0
	v_add_co_u32 v3, vcc_lo, v0, v8
	v_add_co_ci_u32_e64 v4, null, 0, v4, vcc_lo
	v_add_co_u32 v1, vcc_lo, v1, v5
	v_add_co_ci_u32_e64 v2, null, 0, v2, vcc_lo
	global_store_dwordx4 v6, v[1:4], s[24:25]
	s_endpgm
.LBB1903_379:
	s_add_i32 s8, s27, 32
	s_mov_b32 s9, 0
	v_add_nc_u32_e32 v10, v8, v6
	s_lshl_b64 s[8:9], s[8:9], 4
	v_add_nc_u32_e32 v9, v7, v5
	s_add_u32 s8, s36, s8
	s_addc_u32 s9, s37, s9
	v_mov_b32_e32 v11, 2
	v_mov_b32_e32 v28, s9
	;; [unrolled: 1-line block ×4, first 2 shown]
	;;#ASMSTART
	global_store_dwordx4 v[27:28], v[9:12] off	
s_waitcnt vmcnt(0)
	;;#ASMEND
	s_or_b32 exec_lo, exec_lo, s6
	s_and_saveexec_b32 s6, s3
	s_cbranch_execz .LBB1903_139
.LBB1903_380:
	v_mov_b32_e32 v9, 0
	ds_write_b128 v9, v[5:8] offset:13312
	s_or_b32 exec_lo, exec_lo, s6
	s_and_b32 exec_lo, exec_lo, s0
	s_cbranch_execnz .LBB1903_140
	s_branch .LBB1903_141
	.section	.rodata,"a",@progbits
	.p2align	6, 0x0
	.amdhsa_kernel _ZN7rocprim17ROCPRIM_400000_NS6detail17trampoline_kernelINS0_13select_configILj256ELj13ELNS0_17block_load_methodE3ELS4_3ELS4_3ELNS0_20block_scan_algorithmE0ELj4294967295EEENS1_25partition_config_selectorILNS1_17partition_subalgoE4EjNS0_10empty_typeEbEEZZNS1_14partition_implILS8_4ELb0ES6_15HIP_vector_typeIjLj2EENS0_17counting_iteratorIjlEEPS9_SG_NS0_5tupleIJPjSI_NS0_16reverse_iteratorISI_EEEEENSH_IJSG_SG_SG_EEES9_SI_JZNS1_25segmented_radix_sort_implINS0_14default_configELb1EPK12hip_bfloat16PSP_PKlPlN2at6native12_GLOBAL__N_18offset_tEEE10hipError_tPvRmT1_PNSt15iterator_traitsIS13_E10value_typeET2_T3_PNS14_IS19_E10value_typeET4_jRbjT5_S1F_jjP12ihipStream_tbEUljE_ZNSN_ISO_Lb1ESR_SS_SU_SV_SZ_EES10_S11_S12_S13_S17_S18_S19_S1C_S1D_jS1E_jS1F_S1F_jjS1H_bEUljE0_EEES10_S11_S12_S19_S1D_S1F_T6_T7_T9_mT8_S1H_bDpT10_ENKUlT_T0_E_clISt17integral_constantIbLb0EES1U_IbLb1EEEEDaS1Q_S1R_EUlS1Q_E_NS1_11comp_targetILNS1_3genE8ELNS1_11target_archE1030ELNS1_3gpuE2ELNS1_3repE0EEENS1_30default_config_static_selectorELNS0_4arch9wavefront6targetE0EEEvS13_
		.amdhsa_group_segment_fixed_size 13328
		.amdhsa_private_segment_fixed_size 0
		.amdhsa_kernarg_size 184
		.amdhsa_user_sgpr_count 6
		.amdhsa_user_sgpr_private_segment_buffer 1
		.amdhsa_user_sgpr_dispatch_ptr 0
		.amdhsa_user_sgpr_queue_ptr 0
		.amdhsa_user_sgpr_kernarg_segment_ptr 1
		.amdhsa_user_sgpr_dispatch_id 0
		.amdhsa_user_sgpr_flat_scratch_init 0
		.amdhsa_user_sgpr_private_segment_size 0
		.amdhsa_wavefront_size32 1
		.amdhsa_uses_dynamic_stack 0
		.amdhsa_system_sgpr_private_segment_wavefront_offset 0
		.amdhsa_system_sgpr_workgroup_id_x 1
		.amdhsa_system_sgpr_workgroup_id_y 0
		.amdhsa_system_sgpr_workgroup_id_z 0
		.amdhsa_system_sgpr_workgroup_info 0
		.amdhsa_system_vgpr_workitem_id 0
		.amdhsa_next_free_vgpr 87
		.amdhsa_next_free_sgpr 55
		.amdhsa_reserve_vcc 1
		.amdhsa_reserve_flat_scratch 0
		.amdhsa_float_round_mode_32 0
		.amdhsa_float_round_mode_16_64 0
		.amdhsa_float_denorm_mode_32 3
		.amdhsa_float_denorm_mode_16_64 3
		.amdhsa_dx10_clamp 1
		.amdhsa_ieee_mode 1
		.amdhsa_fp16_overflow 0
		.amdhsa_workgroup_processor_mode 1
		.amdhsa_memory_ordered 1
		.amdhsa_forward_progress 1
		.amdhsa_shared_vgpr_count 0
		.amdhsa_exception_fp_ieee_invalid_op 0
		.amdhsa_exception_fp_denorm_src 0
		.amdhsa_exception_fp_ieee_div_zero 0
		.amdhsa_exception_fp_ieee_overflow 0
		.amdhsa_exception_fp_ieee_underflow 0
		.amdhsa_exception_fp_ieee_inexact 0
		.amdhsa_exception_int_div_zero 0
	.end_amdhsa_kernel
	.section	.text._ZN7rocprim17ROCPRIM_400000_NS6detail17trampoline_kernelINS0_13select_configILj256ELj13ELNS0_17block_load_methodE3ELS4_3ELS4_3ELNS0_20block_scan_algorithmE0ELj4294967295EEENS1_25partition_config_selectorILNS1_17partition_subalgoE4EjNS0_10empty_typeEbEEZZNS1_14partition_implILS8_4ELb0ES6_15HIP_vector_typeIjLj2EENS0_17counting_iteratorIjlEEPS9_SG_NS0_5tupleIJPjSI_NS0_16reverse_iteratorISI_EEEEENSH_IJSG_SG_SG_EEES9_SI_JZNS1_25segmented_radix_sort_implINS0_14default_configELb1EPK12hip_bfloat16PSP_PKlPlN2at6native12_GLOBAL__N_18offset_tEEE10hipError_tPvRmT1_PNSt15iterator_traitsIS13_E10value_typeET2_T3_PNS14_IS19_E10value_typeET4_jRbjT5_S1F_jjP12ihipStream_tbEUljE_ZNSN_ISO_Lb1ESR_SS_SU_SV_SZ_EES10_S11_S12_S13_S17_S18_S19_S1C_S1D_jS1E_jS1F_S1F_jjS1H_bEUljE0_EEES10_S11_S12_S19_S1D_S1F_T6_T7_T9_mT8_S1H_bDpT10_ENKUlT_T0_E_clISt17integral_constantIbLb0EES1U_IbLb1EEEEDaS1Q_S1R_EUlS1Q_E_NS1_11comp_targetILNS1_3genE8ELNS1_11target_archE1030ELNS1_3gpuE2ELNS1_3repE0EEENS1_30default_config_static_selectorELNS0_4arch9wavefront6targetE0EEEvS13_,"axG",@progbits,_ZN7rocprim17ROCPRIM_400000_NS6detail17trampoline_kernelINS0_13select_configILj256ELj13ELNS0_17block_load_methodE3ELS4_3ELS4_3ELNS0_20block_scan_algorithmE0ELj4294967295EEENS1_25partition_config_selectorILNS1_17partition_subalgoE4EjNS0_10empty_typeEbEEZZNS1_14partition_implILS8_4ELb0ES6_15HIP_vector_typeIjLj2EENS0_17counting_iteratorIjlEEPS9_SG_NS0_5tupleIJPjSI_NS0_16reverse_iteratorISI_EEEEENSH_IJSG_SG_SG_EEES9_SI_JZNS1_25segmented_radix_sort_implINS0_14default_configELb1EPK12hip_bfloat16PSP_PKlPlN2at6native12_GLOBAL__N_18offset_tEEE10hipError_tPvRmT1_PNSt15iterator_traitsIS13_E10value_typeET2_T3_PNS14_IS19_E10value_typeET4_jRbjT5_S1F_jjP12ihipStream_tbEUljE_ZNSN_ISO_Lb1ESR_SS_SU_SV_SZ_EES10_S11_S12_S13_S17_S18_S19_S1C_S1D_jS1E_jS1F_S1F_jjS1H_bEUljE0_EEES10_S11_S12_S19_S1D_S1F_T6_T7_T9_mT8_S1H_bDpT10_ENKUlT_T0_E_clISt17integral_constantIbLb0EES1U_IbLb1EEEEDaS1Q_S1R_EUlS1Q_E_NS1_11comp_targetILNS1_3genE8ELNS1_11target_archE1030ELNS1_3gpuE2ELNS1_3repE0EEENS1_30default_config_static_selectorELNS0_4arch9wavefront6targetE0EEEvS13_,comdat
.Lfunc_end1903:
	.size	_ZN7rocprim17ROCPRIM_400000_NS6detail17trampoline_kernelINS0_13select_configILj256ELj13ELNS0_17block_load_methodE3ELS4_3ELS4_3ELNS0_20block_scan_algorithmE0ELj4294967295EEENS1_25partition_config_selectorILNS1_17partition_subalgoE4EjNS0_10empty_typeEbEEZZNS1_14partition_implILS8_4ELb0ES6_15HIP_vector_typeIjLj2EENS0_17counting_iteratorIjlEEPS9_SG_NS0_5tupleIJPjSI_NS0_16reverse_iteratorISI_EEEEENSH_IJSG_SG_SG_EEES9_SI_JZNS1_25segmented_radix_sort_implINS0_14default_configELb1EPK12hip_bfloat16PSP_PKlPlN2at6native12_GLOBAL__N_18offset_tEEE10hipError_tPvRmT1_PNSt15iterator_traitsIS13_E10value_typeET2_T3_PNS14_IS19_E10value_typeET4_jRbjT5_S1F_jjP12ihipStream_tbEUljE_ZNSN_ISO_Lb1ESR_SS_SU_SV_SZ_EES10_S11_S12_S13_S17_S18_S19_S1C_S1D_jS1E_jS1F_S1F_jjS1H_bEUljE0_EEES10_S11_S12_S19_S1D_S1F_T6_T7_T9_mT8_S1H_bDpT10_ENKUlT_T0_E_clISt17integral_constantIbLb0EES1U_IbLb1EEEEDaS1Q_S1R_EUlS1Q_E_NS1_11comp_targetILNS1_3genE8ELNS1_11target_archE1030ELNS1_3gpuE2ELNS1_3repE0EEENS1_30default_config_static_selectorELNS0_4arch9wavefront6targetE0EEEvS13_, .Lfunc_end1903-_ZN7rocprim17ROCPRIM_400000_NS6detail17trampoline_kernelINS0_13select_configILj256ELj13ELNS0_17block_load_methodE3ELS4_3ELS4_3ELNS0_20block_scan_algorithmE0ELj4294967295EEENS1_25partition_config_selectorILNS1_17partition_subalgoE4EjNS0_10empty_typeEbEEZZNS1_14partition_implILS8_4ELb0ES6_15HIP_vector_typeIjLj2EENS0_17counting_iteratorIjlEEPS9_SG_NS0_5tupleIJPjSI_NS0_16reverse_iteratorISI_EEEEENSH_IJSG_SG_SG_EEES9_SI_JZNS1_25segmented_radix_sort_implINS0_14default_configELb1EPK12hip_bfloat16PSP_PKlPlN2at6native12_GLOBAL__N_18offset_tEEE10hipError_tPvRmT1_PNSt15iterator_traitsIS13_E10value_typeET2_T3_PNS14_IS19_E10value_typeET4_jRbjT5_S1F_jjP12ihipStream_tbEUljE_ZNSN_ISO_Lb1ESR_SS_SU_SV_SZ_EES10_S11_S12_S13_S17_S18_S19_S1C_S1D_jS1E_jS1F_S1F_jjS1H_bEUljE0_EEES10_S11_S12_S19_S1D_S1F_T6_T7_T9_mT8_S1H_bDpT10_ENKUlT_T0_E_clISt17integral_constantIbLb0EES1U_IbLb1EEEEDaS1Q_S1R_EUlS1Q_E_NS1_11comp_targetILNS1_3genE8ELNS1_11target_archE1030ELNS1_3gpuE2ELNS1_3repE0EEENS1_30default_config_static_selectorELNS0_4arch9wavefront6targetE0EEEvS13_
                                        ; -- End function
	.set _ZN7rocprim17ROCPRIM_400000_NS6detail17trampoline_kernelINS0_13select_configILj256ELj13ELNS0_17block_load_methodE3ELS4_3ELS4_3ELNS0_20block_scan_algorithmE0ELj4294967295EEENS1_25partition_config_selectorILNS1_17partition_subalgoE4EjNS0_10empty_typeEbEEZZNS1_14partition_implILS8_4ELb0ES6_15HIP_vector_typeIjLj2EENS0_17counting_iteratorIjlEEPS9_SG_NS0_5tupleIJPjSI_NS0_16reverse_iteratorISI_EEEEENSH_IJSG_SG_SG_EEES9_SI_JZNS1_25segmented_radix_sort_implINS0_14default_configELb1EPK12hip_bfloat16PSP_PKlPlN2at6native12_GLOBAL__N_18offset_tEEE10hipError_tPvRmT1_PNSt15iterator_traitsIS13_E10value_typeET2_T3_PNS14_IS19_E10value_typeET4_jRbjT5_S1F_jjP12ihipStream_tbEUljE_ZNSN_ISO_Lb1ESR_SS_SU_SV_SZ_EES10_S11_S12_S13_S17_S18_S19_S1C_S1D_jS1E_jS1F_S1F_jjS1H_bEUljE0_EEES10_S11_S12_S19_S1D_S1F_T6_T7_T9_mT8_S1H_bDpT10_ENKUlT_T0_E_clISt17integral_constantIbLb0EES1U_IbLb1EEEEDaS1Q_S1R_EUlS1Q_E_NS1_11comp_targetILNS1_3genE8ELNS1_11target_archE1030ELNS1_3gpuE2ELNS1_3repE0EEENS1_30default_config_static_selectorELNS0_4arch9wavefront6targetE0EEEvS13_.num_vgpr, 87
	.set _ZN7rocprim17ROCPRIM_400000_NS6detail17trampoline_kernelINS0_13select_configILj256ELj13ELNS0_17block_load_methodE3ELS4_3ELS4_3ELNS0_20block_scan_algorithmE0ELj4294967295EEENS1_25partition_config_selectorILNS1_17partition_subalgoE4EjNS0_10empty_typeEbEEZZNS1_14partition_implILS8_4ELb0ES6_15HIP_vector_typeIjLj2EENS0_17counting_iteratorIjlEEPS9_SG_NS0_5tupleIJPjSI_NS0_16reverse_iteratorISI_EEEEENSH_IJSG_SG_SG_EEES9_SI_JZNS1_25segmented_radix_sort_implINS0_14default_configELb1EPK12hip_bfloat16PSP_PKlPlN2at6native12_GLOBAL__N_18offset_tEEE10hipError_tPvRmT1_PNSt15iterator_traitsIS13_E10value_typeET2_T3_PNS14_IS19_E10value_typeET4_jRbjT5_S1F_jjP12ihipStream_tbEUljE_ZNSN_ISO_Lb1ESR_SS_SU_SV_SZ_EES10_S11_S12_S13_S17_S18_S19_S1C_S1D_jS1E_jS1F_S1F_jjS1H_bEUljE0_EEES10_S11_S12_S19_S1D_S1F_T6_T7_T9_mT8_S1H_bDpT10_ENKUlT_T0_E_clISt17integral_constantIbLb0EES1U_IbLb1EEEEDaS1Q_S1R_EUlS1Q_E_NS1_11comp_targetILNS1_3genE8ELNS1_11target_archE1030ELNS1_3gpuE2ELNS1_3repE0EEENS1_30default_config_static_selectorELNS0_4arch9wavefront6targetE0EEEvS13_.num_agpr, 0
	.set _ZN7rocprim17ROCPRIM_400000_NS6detail17trampoline_kernelINS0_13select_configILj256ELj13ELNS0_17block_load_methodE3ELS4_3ELS4_3ELNS0_20block_scan_algorithmE0ELj4294967295EEENS1_25partition_config_selectorILNS1_17partition_subalgoE4EjNS0_10empty_typeEbEEZZNS1_14partition_implILS8_4ELb0ES6_15HIP_vector_typeIjLj2EENS0_17counting_iteratorIjlEEPS9_SG_NS0_5tupleIJPjSI_NS0_16reverse_iteratorISI_EEEEENSH_IJSG_SG_SG_EEES9_SI_JZNS1_25segmented_radix_sort_implINS0_14default_configELb1EPK12hip_bfloat16PSP_PKlPlN2at6native12_GLOBAL__N_18offset_tEEE10hipError_tPvRmT1_PNSt15iterator_traitsIS13_E10value_typeET2_T3_PNS14_IS19_E10value_typeET4_jRbjT5_S1F_jjP12ihipStream_tbEUljE_ZNSN_ISO_Lb1ESR_SS_SU_SV_SZ_EES10_S11_S12_S13_S17_S18_S19_S1C_S1D_jS1E_jS1F_S1F_jjS1H_bEUljE0_EEES10_S11_S12_S19_S1D_S1F_T6_T7_T9_mT8_S1H_bDpT10_ENKUlT_T0_E_clISt17integral_constantIbLb0EES1U_IbLb1EEEEDaS1Q_S1R_EUlS1Q_E_NS1_11comp_targetILNS1_3genE8ELNS1_11target_archE1030ELNS1_3gpuE2ELNS1_3repE0EEENS1_30default_config_static_selectorELNS0_4arch9wavefront6targetE0EEEvS13_.numbered_sgpr, 55
	.set _ZN7rocprim17ROCPRIM_400000_NS6detail17trampoline_kernelINS0_13select_configILj256ELj13ELNS0_17block_load_methodE3ELS4_3ELS4_3ELNS0_20block_scan_algorithmE0ELj4294967295EEENS1_25partition_config_selectorILNS1_17partition_subalgoE4EjNS0_10empty_typeEbEEZZNS1_14partition_implILS8_4ELb0ES6_15HIP_vector_typeIjLj2EENS0_17counting_iteratorIjlEEPS9_SG_NS0_5tupleIJPjSI_NS0_16reverse_iteratorISI_EEEEENSH_IJSG_SG_SG_EEES9_SI_JZNS1_25segmented_radix_sort_implINS0_14default_configELb1EPK12hip_bfloat16PSP_PKlPlN2at6native12_GLOBAL__N_18offset_tEEE10hipError_tPvRmT1_PNSt15iterator_traitsIS13_E10value_typeET2_T3_PNS14_IS19_E10value_typeET4_jRbjT5_S1F_jjP12ihipStream_tbEUljE_ZNSN_ISO_Lb1ESR_SS_SU_SV_SZ_EES10_S11_S12_S13_S17_S18_S19_S1C_S1D_jS1E_jS1F_S1F_jjS1H_bEUljE0_EEES10_S11_S12_S19_S1D_S1F_T6_T7_T9_mT8_S1H_bDpT10_ENKUlT_T0_E_clISt17integral_constantIbLb0EES1U_IbLb1EEEEDaS1Q_S1R_EUlS1Q_E_NS1_11comp_targetILNS1_3genE8ELNS1_11target_archE1030ELNS1_3gpuE2ELNS1_3repE0EEENS1_30default_config_static_selectorELNS0_4arch9wavefront6targetE0EEEvS13_.num_named_barrier, 0
	.set _ZN7rocprim17ROCPRIM_400000_NS6detail17trampoline_kernelINS0_13select_configILj256ELj13ELNS0_17block_load_methodE3ELS4_3ELS4_3ELNS0_20block_scan_algorithmE0ELj4294967295EEENS1_25partition_config_selectorILNS1_17partition_subalgoE4EjNS0_10empty_typeEbEEZZNS1_14partition_implILS8_4ELb0ES6_15HIP_vector_typeIjLj2EENS0_17counting_iteratorIjlEEPS9_SG_NS0_5tupleIJPjSI_NS0_16reverse_iteratorISI_EEEEENSH_IJSG_SG_SG_EEES9_SI_JZNS1_25segmented_radix_sort_implINS0_14default_configELb1EPK12hip_bfloat16PSP_PKlPlN2at6native12_GLOBAL__N_18offset_tEEE10hipError_tPvRmT1_PNSt15iterator_traitsIS13_E10value_typeET2_T3_PNS14_IS19_E10value_typeET4_jRbjT5_S1F_jjP12ihipStream_tbEUljE_ZNSN_ISO_Lb1ESR_SS_SU_SV_SZ_EES10_S11_S12_S13_S17_S18_S19_S1C_S1D_jS1E_jS1F_S1F_jjS1H_bEUljE0_EEES10_S11_S12_S19_S1D_S1F_T6_T7_T9_mT8_S1H_bDpT10_ENKUlT_T0_E_clISt17integral_constantIbLb0EES1U_IbLb1EEEEDaS1Q_S1R_EUlS1Q_E_NS1_11comp_targetILNS1_3genE8ELNS1_11target_archE1030ELNS1_3gpuE2ELNS1_3repE0EEENS1_30default_config_static_selectorELNS0_4arch9wavefront6targetE0EEEvS13_.private_seg_size, 0
	.set _ZN7rocprim17ROCPRIM_400000_NS6detail17trampoline_kernelINS0_13select_configILj256ELj13ELNS0_17block_load_methodE3ELS4_3ELS4_3ELNS0_20block_scan_algorithmE0ELj4294967295EEENS1_25partition_config_selectorILNS1_17partition_subalgoE4EjNS0_10empty_typeEbEEZZNS1_14partition_implILS8_4ELb0ES6_15HIP_vector_typeIjLj2EENS0_17counting_iteratorIjlEEPS9_SG_NS0_5tupleIJPjSI_NS0_16reverse_iteratorISI_EEEEENSH_IJSG_SG_SG_EEES9_SI_JZNS1_25segmented_radix_sort_implINS0_14default_configELb1EPK12hip_bfloat16PSP_PKlPlN2at6native12_GLOBAL__N_18offset_tEEE10hipError_tPvRmT1_PNSt15iterator_traitsIS13_E10value_typeET2_T3_PNS14_IS19_E10value_typeET4_jRbjT5_S1F_jjP12ihipStream_tbEUljE_ZNSN_ISO_Lb1ESR_SS_SU_SV_SZ_EES10_S11_S12_S13_S17_S18_S19_S1C_S1D_jS1E_jS1F_S1F_jjS1H_bEUljE0_EEES10_S11_S12_S19_S1D_S1F_T6_T7_T9_mT8_S1H_bDpT10_ENKUlT_T0_E_clISt17integral_constantIbLb0EES1U_IbLb1EEEEDaS1Q_S1R_EUlS1Q_E_NS1_11comp_targetILNS1_3genE8ELNS1_11target_archE1030ELNS1_3gpuE2ELNS1_3repE0EEENS1_30default_config_static_selectorELNS0_4arch9wavefront6targetE0EEEvS13_.uses_vcc, 1
	.set _ZN7rocprim17ROCPRIM_400000_NS6detail17trampoline_kernelINS0_13select_configILj256ELj13ELNS0_17block_load_methodE3ELS4_3ELS4_3ELNS0_20block_scan_algorithmE0ELj4294967295EEENS1_25partition_config_selectorILNS1_17partition_subalgoE4EjNS0_10empty_typeEbEEZZNS1_14partition_implILS8_4ELb0ES6_15HIP_vector_typeIjLj2EENS0_17counting_iteratorIjlEEPS9_SG_NS0_5tupleIJPjSI_NS0_16reverse_iteratorISI_EEEEENSH_IJSG_SG_SG_EEES9_SI_JZNS1_25segmented_radix_sort_implINS0_14default_configELb1EPK12hip_bfloat16PSP_PKlPlN2at6native12_GLOBAL__N_18offset_tEEE10hipError_tPvRmT1_PNSt15iterator_traitsIS13_E10value_typeET2_T3_PNS14_IS19_E10value_typeET4_jRbjT5_S1F_jjP12ihipStream_tbEUljE_ZNSN_ISO_Lb1ESR_SS_SU_SV_SZ_EES10_S11_S12_S13_S17_S18_S19_S1C_S1D_jS1E_jS1F_S1F_jjS1H_bEUljE0_EEES10_S11_S12_S19_S1D_S1F_T6_T7_T9_mT8_S1H_bDpT10_ENKUlT_T0_E_clISt17integral_constantIbLb0EES1U_IbLb1EEEEDaS1Q_S1R_EUlS1Q_E_NS1_11comp_targetILNS1_3genE8ELNS1_11target_archE1030ELNS1_3gpuE2ELNS1_3repE0EEENS1_30default_config_static_selectorELNS0_4arch9wavefront6targetE0EEEvS13_.uses_flat_scratch, 0
	.set _ZN7rocprim17ROCPRIM_400000_NS6detail17trampoline_kernelINS0_13select_configILj256ELj13ELNS0_17block_load_methodE3ELS4_3ELS4_3ELNS0_20block_scan_algorithmE0ELj4294967295EEENS1_25partition_config_selectorILNS1_17partition_subalgoE4EjNS0_10empty_typeEbEEZZNS1_14partition_implILS8_4ELb0ES6_15HIP_vector_typeIjLj2EENS0_17counting_iteratorIjlEEPS9_SG_NS0_5tupleIJPjSI_NS0_16reverse_iteratorISI_EEEEENSH_IJSG_SG_SG_EEES9_SI_JZNS1_25segmented_radix_sort_implINS0_14default_configELb1EPK12hip_bfloat16PSP_PKlPlN2at6native12_GLOBAL__N_18offset_tEEE10hipError_tPvRmT1_PNSt15iterator_traitsIS13_E10value_typeET2_T3_PNS14_IS19_E10value_typeET4_jRbjT5_S1F_jjP12ihipStream_tbEUljE_ZNSN_ISO_Lb1ESR_SS_SU_SV_SZ_EES10_S11_S12_S13_S17_S18_S19_S1C_S1D_jS1E_jS1F_S1F_jjS1H_bEUljE0_EEES10_S11_S12_S19_S1D_S1F_T6_T7_T9_mT8_S1H_bDpT10_ENKUlT_T0_E_clISt17integral_constantIbLb0EES1U_IbLb1EEEEDaS1Q_S1R_EUlS1Q_E_NS1_11comp_targetILNS1_3genE8ELNS1_11target_archE1030ELNS1_3gpuE2ELNS1_3repE0EEENS1_30default_config_static_selectorELNS0_4arch9wavefront6targetE0EEEvS13_.has_dyn_sized_stack, 0
	.set _ZN7rocprim17ROCPRIM_400000_NS6detail17trampoline_kernelINS0_13select_configILj256ELj13ELNS0_17block_load_methodE3ELS4_3ELS4_3ELNS0_20block_scan_algorithmE0ELj4294967295EEENS1_25partition_config_selectorILNS1_17partition_subalgoE4EjNS0_10empty_typeEbEEZZNS1_14partition_implILS8_4ELb0ES6_15HIP_vector_typeIjLj2EENS0_17counting_iteratorIjlEEPS9_SG_NS0_5tupleIJPjSI_NS0_16reverse_iteratorISI_EEEEENSH_IJSG_SG_SG_EEES9_SI_JZNS1_25segmented_radix_sort_implINS0_14default_configELb1EPK12hip_bfloat16PSP_PKlPlN2at6native12_GLOBAL__N_18offset_tEEE10hipError_tPvRmT1_PNSt15iterator_traitsIS13_E10value_typeET2_T3_PNS14_IS19_E10value_typeET4_jRbjT5_S1F_jjP12ihipStream_tbEUljE_ZNSN_ISO_Lb1ESR_SS_SU_SV_SZ_EES10_S11_S12_S13_S17_S18_S19_S1C_S1D_jS1E_jS1F_S1F_jjS1H_bEUljE0_EEES10_S11_S12_S19_S1D_S1F_T6_T7_T9_mT8_S1H_bDpT10_ENKUlT_T0_E_clISt17integral_constantIbLb0EES1U_IbLb1EEEEDaS1Q_S1R_EUlS1Q_E_NS1_11comp_targetILNS1_3genE8ELNS1_11target_archE1030ELNS1_3gpuE2ELNS1_3repE0EEENS1_30default_config_static_selectorELNS0_4arch9wavefront6targetE0EEEvS13_.has_recursion, 0
	.set _ZN7rocprim17ROCPRIM_400000_NS6detail17trampoline_kernelINS0_13select_configILj256ELj13ELNS0_17block_load_methodE3ELS4_3ELS4_3ELNS0_20block_scan_algorithmE0ELj4294967295EEENS1_25partition_config_selectorILNS1_17partition_subalgoE4EjNS0_10empty_typeEbEEZZNS1_14partition_implILS8_4ELb0ES6_15HIP_vector_typeIjLj2EENS0_17counting_iteratorIjlEEPS9_SG_NS0_5tupleIJPjSI_NS0_16reverse_iteratorISI_EEEEENSH_IJSG_SG_SG_EEES9_SI_JZNS1_25segmented_radix_sort_implINS0_14default_configELb1EPK12hip_bfloat16PSP_PKlPlN2at6native12_GLOBAL__N_18offset_tEEE10hipError_tPvRmT1_PNSt15iterator_traitsIS13_E10value_typeET2_T3_PNS14_IS19_E10value_typeET4_jRbjT5_S1F_jjP12ihipStream_tbEUljE_ZNSN_ISO_Lb1ESR_SS_SU_SV_SZ_EES10_S11_S12_S13_S17_S18_S19_S1C_S1D_jS1E_jS1F_S1F_jjS1H_bEUljE0_EEES10_S11_S12_S19_S1D_S1F_T6_T7_T9_mT8_S1H_bDpT10_ENKUlT_T0_E_clISt17integral_constantIbLb0EES1U_IbLb1EEEEDaS1Q_S1R_EUlS1Q_E_NS1_11comp_targetILNS1_3genE8ELNS1_11target_archE1030ELNS1_3gpuE2ELNS1_3repE0EEENS1_30default_config_static_selectorELNS0_4arch9wavefront6targetE0EEEvS13_.has_indirect_call, 0
	.section	.AMDGPU.csdata,"",@progbits
; Kernel info:
; codeLenInByte = 16368
; TotalNumSgprs: 57
; NumVgprs: 87
; ScratchSize: 0
; MemoryBound: 0
; FloatMode: 240
; IeeeMode: 1
; LDSByteSize: 13328 bytes/workgroup (compile time only)
; SGPRBlocks: 0
; VGPRBlocks: 10
; NumSGPRsForWavesPerEU: 57
; NumVGPRsForWavesPerEU: 87
; Occupancy: 10
; WaveLimiterHint : 1
; COMPUTE_PGM_RSRC2:SCRATCH_EN: 0
; COMPUTE_PGM_RSRC2:USER_SGPR: 6
; COMPUTE_PGM_RSRC2:TRAP_HANDLER: 0
; COMPUTE_PGM_RSRC2:TGID_X_EN: 1
; COMPUTE_PGM_RSRC2:TGID_Y_EN: 0
; COMPUTE_PGM_RSRC2:TGID_Z_EN: 0
; COMPUTE_PGM_RSRC2:TIDIG_COMP_CNT: 0
	.section	.text._ZN7rocprim17ROCPRIM_400000_NS6detail17trampoline_kernelINS0_13select_configILj256ELj13ELNS0_17block_load_methodE3ELS4_3ELS4_3ELNS0_20block_scan_algorithmE0ELj4294967295EEENS1_25partition_config_selectorILNS1_17partition_subalgoE3EjNS0_10empty_typeEbEEZZNS1_14partition_implILS8_3ELb0ES6_jNS0_17counting_iteratorIjlEEPS9_SE_NS0_5tupleIJPjSE_EEENSF_IJSE_SE_EEES9_SG_JZNS1_25segmented_radix_sort_implINS0_14default_configELb1EPK12hip_bfloat16PSL_PKlPlN2at6native12_GLOBAL__N_18offset_tEEE10hipError_tPvRmT1_PNSt15iterator_traitsISZ_E10value_typeET2_T3_PNS10_IS15_E10value_typeET4_jRbjT5_S1B_jjP12ihipStream_tbEUljE_EEESW_SX_SY_S15_S19_S1B_T6_T7_T9_mT8_S1D_bDpT10_ENKUlT_T0_E_clISt17integral_constantIbLb0EES1Q_EEDaS1L_S1M_EUlS1L_E_NS1_11comp_targetILNS1_3genE0ELNS1_11target_archE4294967295ELNS1_3gpuE0ELNS1_3repE0EEENS1_30default_config_static_selectorELNS0_4arch9wavefront6targetE0EEEvSZ_,"axG",@progbits,_ZN7rocprim17ROCPRIM_400000_NS6detail17trampoline_kernelINS0_13select_configILj256ELj13ELNS0_17block_load_methodE3ELS4_3ELS4_3ELNS0_20block_scan_algorithmE0ELj4294967295EEENS1_25partition_config_selectorILNS1_17partition_subalgoE3EjNS0_10empty_typeEbEEZZNS1_14partition_implILS8_3ELb0ES6_jNS0_17counting_iteratorIjlEEPS9_SE_NS0_5tupleIJPjSE_EEENSF_IJSE_SE_EEES9_SG_JZNS1_25segmented_radix_sort_implINS0_14default_configELb1EPK12hip_bfloat16PSL_PKlPlN2at6native12_GLOBAL__N_18offset_tEEE10hipError_tPvRmT1_PNSt15iterator_traitsISZ_E10value_typeET2_T3_PNS10_IS15_E10value_typeET4_jRbjT5_S1B_jjP12ihipStream_tbEUljE_EEESW_SX_SY_S15_S19_S1B_T6_T7_T9_mT8_S1D_bDpT10_ENKUlT_T0_E_clISt17integral_constantIbLb0EES1Q_EEDaS1L_S1M_EUlS1L_E_NS1_11comp_targetILNS1_3genE0ELNS1_11target_archE4294967295ELNS1_3gpuE0ELNS1_3repE0EEENS1_30default_config_static_selectorELNS0_4arch9wavefront6targetE0EEEvSZ_,comdat
	.globl	_ZN7rocprim17ROCPRIM_400000_NS6detail17trampoline_kernelINS0_13select_configILj256ELj13ELNS0_17block_load_methodE3ELS4_3ELS4_3ELNS0_20block_scan_algorithmE0ELj4294967295EEENS1_25partition_config_selectorILNS1_17partition_subalgoE3EjNS0_10empty_typeEbEEZZNS1_14partition_implILS8_3ELb0ES6_jNS0_17counting_iteratorIjlEEPS9_SE_NS0_5tupleIJPjSE_EEENSF_IJSE_SE_EEES9_SG_JZNS1_25segmented_radix_sort_implINS0_14default_configELb1EPK12hip_bfloat16PSL_PKlPlN2at6native12_GLOBAL__N_18offset_tEEE10hipError_tPvRmT1_PNSt15iterator_traitsISZ_E10value_typeET2_T3_PNS10_IS15_E10value_typeET4_jRbjT5_S1B_jjP12ihipStream_tbEUljE_EEESW_SX_SY_S15_S19_S1B_T6_T7_T9_mT8_S1D_bDpT10_ENKUlT_T0_E_clISt17integral_constantIbLb0EES1Q_EEDaS1L_S1M_EUlS1L_E_NS1_11comp_targetILNS1_3genE0ELNS1_11target_archE4294967295ELNS1_3gpuE0ELNS1_3repE0EEENS1_30default_config_static_selectorELNS0_4arch9wavefront6targetE0EEEvSZ_ ; -- Begin function _ZN7rocprim17ROCPRIM_400000_NS6detail17trampoline_kernelINS0_13select_configILj256ELj13ELNS0_17block_load_methodE3ELS4_3ELS4_3ELNS0_20block_scan_algorithmE0ELj4294967295EEENS1_25partition_config_selectorILNS1_17partition_subalgoE3EjNS0_10empty_typeEbEEZZNS1_14partition_implILS8_3ELb0ES6_jNS0_17counting_iteratorIjlEEPS9_SE_NS0_5tupleIJPjSE_EEENSF_IJSE_SE_EEES9_SG_JZNS1_25segmented_radix_sort_implINS0_14default_configELb1EPK12hip_bfloat16PSL_PKlPlN2at6native12_GLOBAL__N_18offset_tEEE10hipError_tPvRmT1_PNSt15iterator_traitsISZ_E10value_typeET2_T3_PNS10_IS15_E10value_typeET4_jRbjT5_S1B_jjP12ihipStream_tbEUljE_EEESW_SX_SY_S15_S19_S1B_T6_T7_T9_mT8_S1D_bDpT10_ENKUlT_T0_E_clISt17integral_constantIbLb0EES1Q_EEDaS1L_S1M_EUlS1L_E_NS1_11comp_targetILNS1_3genE0ELNS1_11target_archE4294967295ELNS1_3gpuE0ELNS1_3repE0EEENS1_30default_config_static_selectorELNS0_4arch9wavefront6targetE0EEEvSZ_
	.p2align	8
	.type	_ZN7rocprim17ROCPRIM_400000_NS6detail17trampoline_kernelINS0_13select_configILj256ELj13ELNS0_17block_load_methodE3ELS4_3ELS4_3ELNS0_20block_scan_algorithmE0ELj4294967295EEENS1_25partition_config_selectorILNS1_17partition_subalgoE3EjNS0_10empty_typeEbEEZZNS1_14partition_implILS8_3ELb0ES6_jNS0_17counting_iteratorIjlEEPS9_SE_NS0_5tupleIJPjSE_EEENSF_IJSE_SE_EEES9_SG_JZNS1_25segmented_radix_sort_implINS0_14default_configELb1EPK12hip_bfloat16PSL_PKlPlN2at6native12_GLOBAL__N_18offset_tEEE10hipError_tPvRmT1_PNSt15iterator_traitsISZ_E10value_typeET2_T3_PNS10_IS15_E10value_typeET4_jRbjT5_S1B_jjP12ihipStream_tbEUljE_EEESW_SX_SY_S15_S19_S1B_T6_T7_T9_mT8_S1D_bDpT10_ENKUlT_T0_E_clISt17integral_constantIbLb0EES1Q_EEDaS1L_S1M_EUlS1L_E_NS1_11comp_targetILNS1_3genE0ELNS1_11target_archE4294967295ELNS1_3gpuE0ELNS1_3repE0EEENS1_30default_config_static_selectorELNS0_4arch9wavefront6targetE0EEEvSZ_,@function
_ZN7rocprim17ROCPRIM_400000_NS6detail17trampoline_kernelINS0_13select_configILj256ELj13ELNS0_17block_load_methodE3ELS4_3ELS4_3ELNS0_20block_scan_algorithmE0ELj4294967295EEENS1_25partition_config_selectorILNS1_17partition_subalgoE3EjNS0_10empty_typeEbEEZZNS1_14partition_implILS8_3ELb0ES6_jNS0_17counting_iteratorIjlEEPS9_SE_NS0_5tupleIJPjSE_EEENSF_IJSE_SE_EEES9_SG_JZNS1_25segmented_radix_sort_implINS0_14default_configELb1EPK12hip_bfloat16PSL_PKlPlN2at6native12_GLOBAL__N_18offset_tEEE10hipError_tPvRmT1_PNSt15iterator_traitsISZ_E10value_typeET2_T3_PNS10_IS15_E10value_typeET4_jRbjT5_S1B_jjP12ihipStream_tbEUljE_EEESW_SX_SY_S15_S19_S1B_T6_T7_T9_mT8_S1D_bDpT10_ENKUlT_T0_E_clISt17integral_constantIbLb0EES1Q_EEDaS1L_S1M_EUlS1L_E_NS1_11comp_targetILNS1_3genE0ELNS1_11target_archE4294967295ELNS1_3gpuE0ELNS1_3repE0EEENS1_30default_config_static_selectorELNS0_4arch9wavefront6targetE0EEEvSZ_: ; @_ZN7rocprim17ROCPRIM_400000_NS6detail17trampoline_kernelINS0_13select_configILj256ELj13ELNS0_17block_load_methodE3ELS4_3ELS4_3ELNS0_20block_scan_algorithmE0ELj4294967295EEENS1_25partition_config_selectorILNS1_17partition_subalgoE3EjNS0_10empty_typeEbEEZZNS1_14partition_implILS8_3ELb0ES6_jNS0_17counting_iteratorIjlEEPS9_SE_NS0_5tupleIJPjSE_EEENSF_IJSE_SE_EEES9_SG_JZNS1_25segmented_radix_sort_implINS0_14default_configELb1EPK12hip_bfloat16PSL_PKlPlN2at6native12_GLOBAL__N_18offset_tEEE10hipError_tPvRmT1_PNSt15iterator_traitsISZ_E10value_typeET2_T3_PNS10_IS15_E10value_typeET4_jRbjT5_S1B_jjP12ihipStream_tbEUljE_EEESW_SX_SY_S15_S19_S1B_T6_T7_T9_mT8_S1D_bDpT10_ENKUlT_T0_E_clISt17integral_constantIbLb0EES1Q_EEDaS1L_S1M_EUlS1L_E_NS1_11comp_targetILNS1_3genE0ELNS1_11target_archE4294967295ELNS1_3gpuE0ELNS1_3repE0EEENS1_30default_config_static_selectorELNS0_4arch9wavefront6targetE0EEEvSZ_
; %bb.0:
	.section	.rodata,"a",@progbits
	.p2align	6, 0x0
	.amdhsa_kernel _ZN7rocprim17ROCPRIM_400000_NS6detail17trampoline_kernelINS0_13select_configILj256ELj13ELNS0_17block_load_methodE3ELS4_3ELS4_3ELNS0_20block_scan_algorithmE0ELj4294967295EEENS1_25partition_config_selectorILNS1_17partition_subalgoE3EjNS0_10empty_typeEbEEZZNS1_14partition_implILS8_3ELb0ES6_jNS0_17counting_iteratorIjlEEPS9_SE_NS0_5tupleIJPjSE_EEENSF_IJSE_SE_EEES9_SG_JZNS1_25segmented_radix_sort_implINS0_14default_configELb1EPK12hip_bfloat16PSL_PKlPlN2at6native12_GLOBAL__N_18offset_tEEE10hipError_tPvRmT1_PNSt15iterator_traitsISZ_E10value_typeET2_T3_PNS10_IS15_E10value_typeET4_jRbjT5_S1B_jjP12ihipStream_tbEUljE_EEESW_SX_SY_S15_S19_S1B_T6_T7_T9_mT8_S1D_bDpT10_ENKUlT_T0_E_clISt17integral_constantIbLb0EES1Q_EEDaS1L_S1M_EUlS1L_E_NS1_11comp_targetILNS1_3genE0ELNS1_11target_archE4294967295ELNS1_3gpuE0ELNS1_3repE0EEENS1_30default_config_static_selectorELNS0_4arch9wavefront6targetE0EEEvSZ_
		.amdhsa_group_segment_fixed_size 0
		.amdhsa_private_segment_fixed_size 0
		.amdhsa_kernarg_size 144
		.amdhsa_user_sgpr_count 6
		.amdhsa_user_sgpr_private_segment_buffer 1
		.amdhsa_user_sgpr_dispatch_ptr 0
		.amdhsa_user_sgpr_queue_ptr 0
		.amdhsa_user_sgpr_kernarg_segment_ptr 1
		.amdhsa_user_sgpr_dispatch_id 0
		.amdhsa_user_sgpr_flat_scratch_init 0
		.amdhsa_user_sgpr_private_segment_size 0
		.amdhsa_wavefront_size32 1
		.amdhsa_uses_dynamic_stack 0
		.amdhsa_system_sgpr_private_segment_wavefront_offset 0
		.amdhsa_system_sgpr_workgroup_id_x 1
		.amdhsa_system_sgpr_workgroup_id_y 0
		.amdhsa_system_sgpr_workgroup_id_z 0
		.amdhsa_system_sgpr_workgroup_info 0
		.amdhsa_system_vgpr_workitem_id 0
		.amdhsa_next_free_vgpr 1
		.amdhsa_next_free_sgpr 1
		.amdhsa_reserve_vcc 0
		.amdhsa_reserve_flat_scratch 0
		.amdhsa_float_round_mode_32 0
		.amdhsa_float_round_mode_16_64 0
		.amdhsa_float_denorm_mode_32 3
		.amdhsa_float_denorm_mode_16_64 3
		.amdhsa_dx10_clamp 1
		.amdhsa_ieee_mode 1
		.amdhsa_fp16_overflow 0
		.amdhsa_workgroup_processor_mode 1
		.amdhsa_memory_ordered 1
		.amdhsa_forward_progress 1
		.amdhsa_shared_vgpr_count 0
		.amdhsa_exception_fp_ieee_invalid_op 0
		.amdhsa_exception_fp_denorm_src 0
		.amdhsa_exception_fp_ieee_div_zero 0
		.amdhsa_exception_fp_ieee_overflow 0
		.amdhsa_exception_fp_ieee_underflow 0
		.amdhsa_exception_fp_ieee_inexact 0
		.amdhsa_exception_int_div_zero 0
	.end_amdhsa_kernel
	.section	.text._ZN7rocprim17ROCPRIM_400000_NS6detail17trampoline_kernelINS0_13select_configILj256ELj13ELNS0_17block_load_methodE3ELS4_3ELS4_3ELNS0_20block_scan_algorithmE0ELj4294967295EEENS1_25partition_config_selectorILNS1_17partition_subalgoE3EjNS0_10empty_typeEbEEZZNS1_14partition_implILS8_3ELb0ES6_jNS0_17counting_iteratorIjlEEPS9_SE_NS0_5tupleIJPjSE_EEENSF_IJSE_SE_EEES9_SG_JZNS1_25segmented_radix_sort_implINS0_14default_configELb1EPK12hip_bfloat16PSL_PKlPlN2at6native12_GLOBAL__N_18offset_tEEE10hipError_tPvRmT1_PNSt15iterator_traitsISZ_E10value_typeET2_T3_PNS10_IS15_E10value_typeET4_jRbjT5_S1B_jjP12ihipStream_tbEUljE_EEESW_SX_SY_S15_S19_S1B_T6_T7_T9_mT8_S1D_bDpT10_ENKUlT_T0_E_clISt17integral_constantIbLb0EES1Q_EEDaS1L_S1M_EUlS1L_E_NS1_11comp_targetILNS1_3genE0ELNS1_11target_archE4294967295ELNS1_3gpuE0ELNS1_3repE0EEENS1_30default_config_static_selectorELNS0_4arch9wavefront6targetE0EEEvSZ_,"axG",@progbits,_ZN7rocprim17ROCPRIM_400000_NS6detail17trampoline_kernelINS0_13select_configILj256ELj13ELNS0_17block_load_methodE3ELS4_3ELS4_3ELNS0_20block_scan_algorithmE0ELj4294967295EEENS1_25partition_config_selectorILNS1_17partition_subalgoE3EjNS0_10empty_typeEbEEZZNS1_14partition_implILS8_3ELb0ES6_jNS0_17counting_iteratorIjlEEPS9_SE_NS0_5tupleIJPjSE_EEENSF_IJSE_SE_EEES9_SG_JZNS1_25segmented_radix_sort_implINS0_14default_configELb1EPK12hip_bfloat16PSL_PKlPlN2at6native12_GLOBAL__N_18offset_tEEE10hipError_tPvRmT1_PNSt15iterator_traitsISZ_E10value_typeET2_T3_PNS10_IS15_E10value_typeET4_jRbjT5_S1B_jjP12ihipStream_tbEUljE_EEESW_SX_SY_S15_S19_S1B_T6_T7_T9_mT8_S1D_bDpT10_ENKUlT_T0_E_clISt17integral_constantIbLb0EES1Q_EEDaS1L_S1M_EUlS1L_E_NS1_11comp_targetILNS1_3genE0ELNS1_11target_archE4294967295ELNS1_3gpuE0ELNS1_3repE0EEENS1_30default_config_static_selectorELNS0_4arch9wavefront6targetE0EEEvSZ_,comdat
.Lfunc_end1904:
	.size	_ZN7rocprim17ROCPRIM_400000_NS6detail17trampoline_kernelINS0_13select_configILj256ELj13ELNS0_17block_load_methodE3ELS4_3ELS4_3ELNS0_20block_scan_algorithmE0ELj4294967295EEENS1_25partition_config_selectorILNS1_17partition_subalgoE3EjNS0_10empty_typeEbEEZZNS1_14partition_implILS8_3ELb0ES6_jNS0_17counting_iteratorIjlEEPS9_SE_NS0_5tupleIJPjSE_EEENSF_IJSE_SE_EEES9_SG_JZNS1_25segmented_radix_sort_implINS0_14default_configELb1EPK12hip_bfloat16PSL_PKlPlN2at6native12_GLOBAL__N_18offset_tEEE10hipError_tPvRmT1_PNSt15iterator_traitsISZ_E10value_typeET2_T3_PNS10_IS15_E10value_typeET4_jRbjT5_S1B_jjP12ihipStream_tbEUljE_EEESW_SX_SY_S15_S19_S1B_T6_T7_T9_mT8_S1D_bDpT10_ENKUlT_T0_E_clISt17integral_constantIbLb0EES1Q_EEDaS1L_S1M_EUlS1L_E_NS1_11comp_targetILNS1_3genE0ELNS1_11target_archE4294967295ELNS1_3gpuE0ELNS1_3repE0EEENS1_30default_config_static_selectorELNS0_4arch9wavefront6targetE0EEEvSZ_, .Lfunc_end1904-_ZN7rocprim17ROCPRIM_400000_NS6detail17trampoline_kernelINS0_13select_configILj256ELj13ELNS0_17block_load_methodE3ELS4_3ELS4_3ELNS0_20block_scan_algorithmE0ELj4294967295EEENS1_25partition_config_selectorILNS1_17partition_subalgoE3EjNS0_10empty_typeEbEEZZNS1_14partition_implILS8_3ELb0ES6_jNS0_17counting_iteratorIjlEEPS9_SE_NS0_5tupleIJPjSE_EEENSF_IJSE_SE_EEES9_SG_JZNS1_25segmented_radix_sort_implINS0_14default_configELb1EPK12hip_bfloat16PSL_PKlPlN2at6native12_GLOBAL__N_18offset_tEEE10hipError_tPvRmT1_PNSt15iterator_traitsISZ_E10value_typeET2_T3_PNS10_IS15_E10value_typeET4_jRbjT5_S1B_jjP12ihipStream_tbEUljE_EEESW_SX_SY_S15_S19_S1B_T6_T7_T9_mT8_S1D_bDpT10_ENKUlT_T0_E_clISt17integral_constantIbLb0EES1Q_EEDaS1L_S1M_EUlS1L_E_NS1_11comp_targetILNS1_3genE0ELNS1_11target_archE4294967295ELNS1_3gpuE0ELNS1_3repE0EEENS1_30default_config_static_selectorELNS0_4arch9wavefront6targetE0EEEvSZ_
                                        ; -- End function
	.set _ZN7rocprim17ROCPRIM_400000_NS6detail17trampoline_kernelINS0_13select_configILj256ELj13ELNS0_17block_load_methodE3ELS4_3ELS4_3ELNS0_20block_scan_algorithmE0ELj4294967295EEENS1_25partition_config_selectorILNS1_17partition_subalgoE3EjNS0_10empty_typeEbEEZZNS1_14partition_implILS8_3ELb0ES6_jNS0_17counting_iteratorIjlEEPS9_SE_NS0_5tupleIJPjSE_EEENSF_IJSE_SE_EEES9_SG_JZNS1_25segmented_radix_sort_implINS0_14default_configELb1EPK12hip_bfloat16PSL_PKlPlN2at6native12_GLOBAL__N_18offset_tEEE10hipError_tPvRmT1_PNSt15iterator_traitsISZ_E10value_typeET2_T3_PNS10_IS15_E10value_typeET4_jRbjT5_S1B_jjP12ihipStream_tbEUljE_EEESW_SX_SY_S15_S19_S1B_T6_T7_T9_mT8_S1D_bDpT10_ENKUlT_T0_E_clISt17integral_constantIbLb0EES1Q_EEDaS1L_S1M_EUlS1L_E_NS1_11comp_targetILNS1_3genE0ELNS1_11target_archE4294967295ELNS1_3gpuE0ELNS1_3repE0EEENS1_30default_config_static_selectorELNS0_4arch9wavefront6targetE0EEEvSZ_.num_vgpr, 0
	.set _ZN7rocprim17ROCPRIM_400000_NS6detail17trampoline_kernelINS0_13select_configILj256ELj13ELNS0_17block_load_methodE3ELS4_3ELS4_3ELNS0_20block_scan_algorithmE0ELj4294967295EEENS1_25partition_config_selectorILNS1_17partition_subalgoE3EjNS0_10empty_typeEbEEZZNS1_14partition_implILS8_3ELb0ES6_jNS0_17counting_iteratorIjlEEPS9_SE_NS0_5tupleIJPjSE_EEENSF_IJSE_SE_EEES9_SG_JZNS1_25segmented_radix_sort_implINS0_14default_configELb1EPK12hip_bfloat16PSL_PKlPlN2at6native12_GLOBAL__N_18offset_tEEE10hipError_tPvRmT1_PNSt15iterator_traitsISZ_E10value_typeET2_T3_PNS10_IS15_E10value_typeET4_jRbjT5_S1B_jjP12ihipStream_tbEUljE_EEESW_SX_SY_S15_S19_S1B_T6_T7_T9_mT8_S1D_bDpT10_ENKUlT_T0_E_clISt17integral_constantIbLb0EES1Q_EEDaS1L_S1M_EUlS1L_E_NS1_11comp_targetILNS1_3genE0ELNS1_11target_archE4294967295ELNS1_3gpuE0ELNS1_3repE0EEENS1_30default_config_static_selectorELNS0_4arch9wavefront6targetE0EEEvSZ_.num_agpr, 0
	.set _ZN7rocprim17ROCPRIM_400000_NS6detail17trampoline_kernelINS0_13select_configILj256ELj13ELNS0_17block_load_methodE3ELS4_3ELS4_3ELNS0_20block_scan_algorithmE0ELj4294967295EEENS1_25partition_config_selectorILNS1_17partition_subalgoE3EjNS0_10empty_typeEbEEZZNS1_14partition_implILS8_3ELb0ES6_jNS0_17counting_iteratorIjlEEPS9_SE_NS0_5tupleIJPjSE_EEENSF_IJSE_SE_EEES9_SG_JZNS1_25segmented_radix_sort_implINS0_14default_configELb1EPK12hip_bfloat16PSL_PKlPlN2at6native12_GLOBAL__N_18offset_tEEE10hipError_tPvRmT1_PNSt15iterator_traitsISZ_E10value_typeET2_T3_PNS10_IS15_E10value_typeET4_jRbjT5_S1B_jjP12ihipStream_tbEUljE_EEESW_SX_SY_S15_S19_S1B_T6_T7_T9_mT8_S1D_bDpT10_ENKUlT_T0_E_clISt17integral_constantIbLb0EES1Q_EEDaS1L_S1M_EUlS1L_E_NS1_11comp_targetILNS1_3genE0ELNS1_11target_archE4294967295ELNS1_3gpuE0ELNS1_3repE0EEENS1_30default_config_static_selectorELNS0_4arch9wavefront6targetE0EEEvSZ_.numbered_sgpr, 0
	.set _ZN7rocprim17ROCPRIM_400000_NS6detail17trampoline_kernelINS0_13select_configILj256ELj13ELNS0_17block_load_methodE3ELS4_3ELS4_3ELNS0_20block_scan_algorithmE0ELj4294967295EEENS1_25partition_config_selectorILNS1_17partition_subalgoE3EjNS0_10empty_typeEbEEZZNS1_14partition_implILS8_3ELb0ES6_jNS0_17counting_iteratorIjlEEPS9_SE_NS0_5tupleIJPjSE_EEENSF_IJSE_SE_EEES9_SG_JZNS1_25segmented_radix_sort_implINS0_14default_configELb1EPK12hip_bfloat16PSL_PKlPlN2at6native12_GLOBAL__N_18offset_tEEE10hipError_tPvRmT1_PNSt15iterator_traitsISZ_E10value_typeET2_T3_PNS10_IS15_E10value_typeET4_jRbjT5_S1B_jjP12ihipStream_tbEUljE_EEESW_SX_SY_S15_S19_S1B_T6_T7_T9_mT8_S1D_bDpT10_ENKUlT_T0_E_clISt17integral_constantIbLb0EES1Q_EEDaS1L_S1M_EUlS1L_E_NS1_11comp_targetILNS1_3genE0ELNS1_11target_archE4294967295ELNS1_3gpuE0ELNS1_3repE0EEENS1_30default_config_static_selectorELNS0_4arch9wavefront6targetE0EEEvSZ_.num_named_barrier, 0
	.set _ZN7rocprim17ROCPRIM_400000_NS6detail17trampoline_kernelINS0_13select_configILj256ELj13ELNS0_17block_load_methodE3ELS4_3ELS4_3ELNS0_20block_scan_algorithmE0ELj4294967295EEENS1_25partition_config_selectorILNS1_17partition_subalgoE3EjNS0_10empty_typeEbEEZZNS1_14partition_implILS8_3ELb0ES6_jNS0_17counting_iteratorIjlEEPS9_SE_NS0_5tupleIJPjSE_EEENSF_IJSE_SE_EEES9_SG_JZNS1_25segmented_radix_sort_implINS0_14default_configELb1EPK12hip_bfloat16PSL_PKlPlN2at6native12_GLOBAL__N_18offset_tEEE10hipError_tPvRmT1_PNSt15iterator_traitsISZ_E10value_typeET2_T3_PNS10_IS15_E10value_typeET4_jRbjT5_S1B_jjP12ihipStream_tbEUljE_EEESW_SX_SY_S15_S19_S1B_T6_T7_T9_mT8_S1D_bDpT10_ENKUlT_T0_E_clISt17integral_constantIbLb0EES1Q_EEDaS1L_S1M_EUlS1L_E_NS1_11comp_targetILNS1_3genE0ELNS1_11target_archE4294967295ELNS1_3gpuE0ELNS1_3repE0EEENS1_30default_config_static_selectorELNS0_4arch9wavefront6targetE0EEEvSZ_.private_seg_size, 0
	.set _ZN7rocprim17ROCPRIM_400000_NS6detail17trampoline_kernelINS0_13select_configILj256ELj13ELNS0_17block_load_methodE3ELS4_3ELS4_3ELNS0_20block_scan_algorithmE0ELj4294967295EEENS1_25partition_config_selectorILNS1_17partition_subalgoE3EjNS0_10empty_typeEbEEZZNS1_14partition_implILS8_3ELb0ES6_jNS0_17counting_iteratorIjlEEPS9_SE_NS0_5tupleIJPjSE_EEENSF_IJSE_SE_EEES9_SG_JZNS1_25segmented_radix_sort_implINS0_14default_configELb1EPK12hip_bfloat16PSL_PKlPlN2at6native12_GLOBAL__N_18offset_tEEE10hipError_tPvRmT1_PNSt15iterator_traitsISZ_E10value_typeET2_T3_PNS10_IS15_E10value_typeET4_jRbjT5_S1B_jjP12ihipStream_tbEUljE_EEESW_SX_SY_S15_S19_S1B_T6_T7_T9_mT8_S1D_bDpT10_ENKUlT_T0_E_clISt17integral_constantIbLb0EES1Q_EEDaS1L_S1M_EUlS1L_E_NS1_11comp_targetILNS1_3genE0ELNS1_11target_archE4294967295ELNS1_3gpuE0ELNS1_3repE0EEENS1_30default_config_static_selectorELNS0_4arch9wavefront6targetE0EEEvSZ_.uses_vcc, 0
	.set _ZN7rocprim17ROCPRIM_400000_NS6detail17trampoline_kernelINS0_13select_configILj256ELj13ELNS0_17block_load_methodE3ELS4_3ELS4_3ELNS0_20block_scan_algorithmE0ELj4294967295EEENS1_25partition_config_selectorILNS1_17partition_subalgoE3EjNS0_10empty_typeEbEEZZNS1_14partition_implILS8_3ELb0ES6_jNS0_17counting_iteratorIjlEEPS9_SE_NS0_5tupleIJPjSE_EEENSF_IJSE_SE_EEES9_SG_JZNS1_25segmented_radix_sort_implINS0_14default_configELb1EPK12hip_bfloat16PSL_PKlPlN2at6native12_GLOBAL__N_18offset_tEEE10hipError_tPvRmT1_PNSt15iterator_traitsISZ_E10value_typeET2_T3_PNS10_IS15_E10value_typeET4_jRbjT5_S1B_jjP12ihipStream_tbEUljE_EEESW_SX_SY_S15_S19_S1B_T6_T7_T9_mT8_S1D_bDpT10_ENKUlT_T0_E_clISt17integral_constantIbLb0EES1Q_EEDaS1L_S1M_EUlS1L_E_NS1_11comp_targetILNS1_3genE0ELNS1_11target_archE4294967295ELNS1_3gpuE0ELNS1_3repE0EEENS1_30default_config_static_selectorELNS0_4arch9wavefront6targetE0EEEvSZ_.uses_flat_scratch, 0
	.set _ZN7rocprim17ROCPRIM_400000_NS6detail17trampoline_kernelINS0_13select_configILj256ELj13ELNS0_17block_load_methodE3ELS4_3ELS4_3ELNS0_20block_scan_algorithmE0ELj4294967295EEENS1_25partition_config_selectorILNS1_17partition_subalgoE3EjNS0_10empty_typeEbEEZZNS1_14partition_implILS8_3ELb0ES6_jNS0_17counting_iteratorIjlEEPS9_SE_NS0_5tupleIJPjSE_EEENSF_IJSE_SE_EEES9_SG_JZNS1_25segmented_radix_sort_implINS0_14default_configELb1EPK12hip_bfloat16PSL_PKlPlN2at6native12_GLOBAL__N_18offset_tEEE10hipError_tPvRmT1_PNSt15iterator_traitsISZ_E10value_typeET2_T3_PNS10_IS15_E10value_typeET4_jRbjT5_S1B_jjP12ihipStream_tbEUljE_EEESW_SX_SY_S15_S19_S1B_T6_T7_T9_mT8_S1D_bDpT10_ENKUlT_T0_E_clISt17integral_constantIbLb0EES1Q_EEDaS1L_S1M_EUlS1L_E_NS1_11comp_targetILNS1_3genE0ELNS1_11target_archE4294967295ELNS1_3gpuE0ELNS1_3repE0EEENS1_30default_config_static_selectorELNS0_4arch9wavefront6targetE0EEEvSZ_.has_dyn_sized_stack, 0
	.set _ZN7rocprim17ROCPRIM_400000_NS6detail17trampoline_kernelINS0_13select_configILj256ELj13ELNS0_17block_load_methodE3ELS4_3ELS4_3ELNS0_20block_scan_algorithmE0ELj4294967295EEENS1_25partition_config_selectorILNS1_17partition_subalgoE3EjNS0_10empty_typeEbEEZZNS1_14partition_implILS8_3ELb0ES6_jNS0_17counting_iteratorIjlEEPS9_SE_NS0_5tupleIJPjSE_EEENSF_IJSE_SE_EEES9_SG_JZNS1_25segmented_radix_sort_implINS0_14default_configELb1EPK12hip_bfloat16PSL_PKlPlN2at6native12_GLOBAL__N_18offset_tEEE10hipError_tPvRmT1_PNSt15iterator_traitsISZ_E10value_typeET2_T3_PNS10_IS15_E10value_typeET4_jRbjT5_S1B_jjP12ihipStream_tbEUljE_EEESW_SX_SY_S15_S19_S1B_T6_T7_T9_mT8_S1D_bDpT10_ENKUlT_T0_E_clISt17integral_constantIbLb0EES1Q_EEDaS1L_S1M_EUlS1L_E_NS1_11comp_targetILNS1_3genE0ELNS1_11target_archE4294967295ELNS1_3gpuE0ELNS1_3repE0EEENS1_30default_config_static_selectorELNS0_4arch9wavefront6targetE0EEEvSZ_.has_recursion, 0
	.set _ZN7rocprim17ROCPRIM_400000_NS6detail17trampoline_kernelINS0_13select_configILj256ELj13ELNS0_17block_load_methodE3ELS4_3ELS4_3ELNS0_20block_scan_algorithmE0ELj4294967295EEENS1_25partition_config_selectorILNS1_17partition_subalgoE3EjNS0_10empty_typeEbEEZZNS1_14partition_implILS8_3ELb0ES6_jNS0_17counting_iteratorIjlEEPS9_SE_NS0_5tupleIJPjSE_EEENSF_IJSE_SE_EEES9_SG_JZNS1_25segmented_radix_sort_implINS0_14default_configELb1EPK12hip_bfloat16PSL_PKlPlN2at6native12_GLOBAL__N_18offset_tEEE10hipError_tPvRmT1_PNSt15iterator_traitsISZ_E10value_typeET2_T3_PNS10_IS15_E10value_typeET4_jRbjT5_S1B_jjP12ihipStream_tbEUljE_EEESW_SX_SY_S15_S19_S1B_T6_T7_T9_mT8_S1D_bDpT10_ENKUlT_T0_E_clISt17integral_constantIbLb0EES1Q_EEDaS1L_S1M_EUlS1L_E_NS1_11comp_targetILNS1_3genE0ELNS1_11target_archE4294967295ELNS1_3gpuE0ELNS1_3repE0EEENS1_30default_config_static_selectorELNS0_4arch9wavefront6targetE0EEEvSZ_.has_indirect_call, 0
	.section	.AMDGPU.csdata,"",@progbits
; Kernel info:
; codeLenInByte = 0
; TotalNumSgprs: 0
; NumVgprs: 0
; ScratchSize: 0
; MemoryBound: 0
; FloatMode: 240
; IeeeMode: 1
; LDSByteSize: 0 bytes/workgroup (compile time only)
; SGPRBlocks: 0
; VGPRBlocks: 0
; NumSGPRsForWavesPerEU: 1
; NumVGPRsForWavesPerEU: 1
; Occupancy: 16
; WaveLimiterHint : 0
; COMPUTE_PGM_RSRC2:SCRATCH_EN: 0
; COMPUTE_PGM_RSRC2:USER_SGPR: 6
; COMPUTE_PGM_RSRC2:TRAP_HANDLER: 0
; COMPUTE_PGM_RSRC2:TGID_X_EN: 1
; COMPUTE_PGM_RSRC2:TGID_Y_EN: 0
; COMPUTE_PGM_RSRC2:TGID_Z_EN: 0
; COMPUTE_PGM_RSRC2:TIDIG_COMP_CNT: 0
	.section	.text._ZN7rocprim17ROCPRIM_400000_NS6detail17trampoline_kernelINS0_13select_configILj256ELj13ELNS0_17block_load_methodE3ELS4_3ELS4_3ELNS0_20block_scan_algorithmE0ELj4294967295EEENS1_25partition_config_selectorILNS1_17partition_subalgoE3EjNS0_10empty_typeEbEEZZNS1_14partition_implILS8_3ELb0ES6_jNS0_17counting_iteratorIjlEEPS9_SE_NS0_5tupleIJPjSE_EEENSF_IJSE_SE_EEES9_SG_JZNS1_25segmented_radix_sort_implINS0_14default_configELb1EPK12hip_bfloat16PSL_PKlPlN2at6native12_GLOBAL__N_18offset_tEEE10hipError_tPvRmT1_PNSt15iterator_traitsISZ_E10value_typeET2_T3_PNS10_IS15_E10value_typeET4_jRbjT5_S1B_jjP12ihipStream_tbEUljE_EEESW_SX_SY_S15_S19_S1B_T6_T7_T9_mT8_S1D_bDpT10_ENKUlT_T0_E_clISt17integral_constantIbLb0EES1Q_EEDaS1L_S1M_EUlS1L_E_NS1_11comp_targetILNS1_3genE5ELNS1_11target_archE942ELNS1_3gpuE9ELNS1_3repE0EEENS1_30default_config_static_selectorELNS0_4arch9wavefront6targetE0EEEvSZ_,"axG",@progbits,_ZN7rocprim17ROCPRIM_400000_NS6detail17trampoline_kernelINS0_13select_configILj256ELj13ELNS0_17block_load_methodE3ELS4_3ELS4_3ELNS0_20block_scan_algorithmE0ELj4294967295EEENS1_25partition_config_selectorILNS1_17partition_subalgoE3EjNS0_10empty_typeEbEEZZNS1_14partition_implILS8_3ELb0ES6_jNS0_17counting_iteratorIjlEEPS9_SE_NS0_5tupleIJPjSE_EEENSF_IJSE_SE_EEES9_SG_JZNS1_25segmented_radix_sort_implINS0_14default_configELb1EPK12hip_bfloat16PSL_PKlPlN2at6native12_GLOBAL__N_18offset_tEEE10hipError_tPvRmT1_PNSt15iterator_traitsISZ_E10value_typeET2_T3_PNS10_IS15_E10value_typeET4_jRbjT5_S1B_jjP12ihipStream_tbEUljE_EEESW_SX_SY_S15_S19_S1B_T6_T7_T9_mT8_S1D_bDpT10_ENKUlT_T0_E_clISt17integral_constantIbLb0EES1Q_EEDaS1L_S1M_EUlS1L_E_NS1_11comp_targetILNS1_3genE5ELNS1_11target_archE942ELNS1_3gpuE9ELNS1_3repE0EEENS1_30default_config_static_selectorELNS0_4arch9wavefront6targetE0EEEvSZ_,comdat
	.globl	_ZN7rocprim17ROCPRIM_400000_NS6detail17trampoline_kernelINS0_13select_configILj256ELj13ELNS0_17block_load_methodE3ELS4_3ELS4_3ELNS0_20block_scan_algorithmE0ELj4294967295EEENS1_25partition_config_selectorILNS1_17partition_subalgoE3EjNS0_10empty_typeEbEEZZNS1_14partition_implILS8_3ELb0ES6_jNS0_17counting_iteratorIjlEEPS9_SE_NS0_5tupleIJPjSE_EEENSF_IJSE_SE_EEES9_SG_JZNS1_25segmented_radix_sort_implINS0_14default_configELb1EPK12hip_bfloat16PSL_PKlPlN2at6native12_GLOBAL__N_18offset_tEEE10hipError_tPvRmT1_PNSt15iterator_traitsISZ_E10value_typeET2_T3_PNS10_IS15_E10value_typeET4_jRbjT5_S1B_jjP12ihipStream_tbEUljE_EEESW_SX_SY_S15_S19_S1B_T6_T7_T9_mT8_S1D_bDpT10_ENKUlT_T0_E_clISt17integral_constantIbLb0EES1Q_EEDaS1L_S1M_EUlS1L_E_NS1_11comp_targetILNS1_3genE5ELNS1_11target_archE942ELNS1_3gpuE9ELNS1_3repE0EEENS1_30default_config_static_selectorELNS0_4arch9wavefront6targetE0EEEvSZ_ ; -- Begin function _ZN7rocprim17ROCPRIM_400000_NS6detail17trampoline_kernelINS0_13select_configILj256ELj13ELNS0_17block_load_methodE3ELS4_3ELS4_3ELNS0_20block_scan_algorithmE0ELj4294967295EEENS1_25partition_config_selectorILNS1_17partition_subalgoE3EjNS0_10empty_typeEbEEZZNS1_14partition_implILS8_3ELb0ES6_jNS0_17counting_iteratorIjlEEPS9_SE_NS0_5tupleIJPjSE_EEENSF_IJSE_SE_EEES9_SG_JZNS1_25segmented_radix_sort_implINS0_14default_configELb1EPK12hip_bfloat16PSL_PKlPlN2at6native12_GLOBAL__N_18offset_tEEE10hipError_tPvRmT1_PNSt15iterator_traitsISZ_E10value_typeET2_T3_PNS10_IS15_E10value_typeET4_jRbjT5_S1B_jjP12ihipStream_tbEUljE_EEESW_SX_SY_S15_S19_S1B_T6_T7_T9_mT8_S1D_bDpT10_ENKUlT_T0_E_clISt17integral_constantIbLb0EES1Q_EEDaS1L_S1M_EUlS1L_E_NS1_11comp_targetILNS1_3genE5ELNS1_11target_archE942ELNS1_3gpuE9ELNS1_3repE0EEENS1_30default_config_static_selectorELNS0_4arch9wavefront6targetE0EEEvSZ_
	.p2align	8
	.type	_ZN7rocprim17ROCPRIM_400000_NS6detail17trampoline_kernelINS0_13select_configILj256ELj13ELNS0_17block_load_methodE3ELS4_3ELS4_3ELNS0_20block_scan_algorithmE0ELj4294967295EEENS1_25partition_config_selectorILNS1_17partition_subalgoE3EjNS0_10empty_typeEbEEZZNS1_14partition_implILS8_3ELb0ES6_jNS0_17counting_iteratorIjlEEPS9_SE_NS0_5tupleIJPjSE_EEENSF_IJSE_SE_EEES9_SG_JZNS1_25segmented_radix_sort_implINS0_14default_configELb1EPK12hip_bfloat16PSL_PKlPlN2at6native12_GLOBAL__N_18offset_tEEE10hipError_tPvRmT1_PNSt15iterator_traitsISZ_E10value_typeET2_T3_PNS10_IS15_E10value_typeET4_jRbjT5_S1B_jjP12ihipStream_tbEUljE_EEESW_SX_SY_S15_S19_S1B_T6_T7_T9_mT8_S1D_bDpT10_ENKUlT_T0_E_clISt17integral_constantIbLb0EES1Q_EEDaS1L_S1M_EUlS1L_E_NS1_11comp_targetILNS1_3genE5ELNS1_11target_archE942ELNS1_3gpuE9ELNS1_3repE0EEENS1_30default_config_static_selectorELNS0_4arch9wavefront6targetE0EEEvSZ_,@function
_ZN7rocprim17ROCPRIM_400000_NS6detail17trampoline_kernelINS0_13select_configILj256ELj13ELNS0_17block_load_methodE3ELS4_3ELS4_3ELNS0_20block_scan_algorithmE0ELj4294967295EEENS1_25partition_config_selectorILNS1_17partition_subalgoE3EjNS0_10empty_typeEbEEZZNS1_14partition_implILS8_3ELb0ES6_jNS0_17counting_iteratorIjlEEPS9_SE_NS0_5tupleIJPjSE_EEENSF_IJSE_SE_EEES9_SG_JZNS1_25segmented_radix_sort_implINS0_14default_configELb1EPK12hip_bfloat16PSL_PKlPlN2at6native12_GLOBAL__N_18offset_tEEE10hipError_tPvRmT1_PNSt15iterator_traitsISZ_E10value_typeET2_T3_PNS10_IS15_E10value_typeET4_jRbjT5_S1B_jjP12ihipStream_tbEUljE_EEESW_SX_SY_S15_S19_S1B_T6_T7_T9_mT8_S1D_bDpT10_ENKUlT_T0_E_clISt17integral_constantIbLb0EES1Q_EEDaS1L_S1M_EUlS1L_E_NS1_11comp_targetILNS1_3genE5ELNS1_11target_archE942ELNS1_3gpuE9ELNS1_3repE0EEENS1_30default_config_static_selectorELNS0_4arch9wavefront6targetE0EEEvSZ_: ; @_ZN7rocprim17ROCPRIM_400000_NS6detail17trampoline_kernelINS0_13select_configILj256ELj13ELNS0_17block_load_methodE3ELS4_3ELS4_3ELNS0_20block_scan_algorithmE0ELj4294967295EEENS1_25partition_config_selectorILNS1_17partition_subalgoE3EjNS0_10empty_typeEbEEZZNS1_14partition_implILS8_3ELb0ES6_jNS0_17counting_iteratorIjlEEPS9_SE_NS0_5tupleIJPjSE_EEENSF_IJSE_SE_EEES9_SG_JZNS1_25segmented_radix_sort_implINS0_14default_configELb1EPK12hip_bfloat16PSL_PKlPlN2at6native12_GLOBAL__N_18offset_tEEE10hipError_tPvRmT1_PNSt15iterator_traitsISZ_E10value_typeET2_T3_PNS10_IS15_E10value_typeET4_jRbjT5_S1B_jjP12ihipStream_tbEUljE_EEESW_SX_SY_S15_S19_S1B_T6_T7_T9_mT8_S1D_bDpT10_ENKUlT_T0_E_clISt17integral_constantIbLb0EES1Q_EEDaS1L_S1M_EUlS1L_E_NS1_11comp_targetILNS1_3genE5ELNS1_11target_archE942ELNS1_3gpuE9ELNS1_3repE0EEENS1_30default_config_static_selectorELNS0_4arch9wavefront6targetE0EEEvSZ_
; %bb.0:
	.section	.rodata,"a",@progbits
	.p2align	6, 0x0
	.amdhsa_kernel _ZN7rocprim17ROCPRIM_400000_NS6detail17trampoline_kernelINS0_13select_configILj256ELj13ELNS0_17block_load_methodE3ELS4_3ELS4_3ELNS0_20block_scan_algorithmE0ELj4294967295EEENS1_25partition_config_selectorILNS1_17partition_subalgoE3EjNS0_10empty_typeEbEEZZNS1_14partition_implILS8_3ELb0ES6_jNS0_17counting_iteratorIjlEEPS9_SE_NS0_5tupleIJPjSE_EEENSF_IJSE_SE_EEES9_SG_JZNS1_25segmented_radix_sort_implINS0_14default_configELb1EPK12hip_bfloat16PSL_PKlPlN2at6native12_GLOBAL__N_18offset_tEEE10hipError_tPvRmT1_PNSt15iterator_traitsISZ_E10value_typeET2_T3_PNS10_IS15_E10value_typeET4_jRbjT5_S1B_jjP12ihipStream_tbEUljE_EEESW_SX_SY_S15_S19_S1B_T6_T7_T9_mT8_S1D_bDpT10_ENKUlT_T0_E_clISt17integral_constantIbLb0EES1Q_EEDaS1L_S1M_EUlS1L_E_NS1_11comp_targetILNS1_3genE5ELNS1_11target_archE942ELNS1_3gpuE9ELNS1_3repE0EEENS1_30default_config_static_selectorELNS0_4arch9wavefront6targetE0EEEvSZ_
		.amdhsa_group_segment_fixed_size 0
		.amdhsa_private_segment_fixed_size 0
		.amdhsa_kernarg_size 144
		.amdhsa_user_sgpr_count 6
		.amdhsa_user_sgpr_private_segment_buffer 1
		.amdhsa_user_sgpr_dispatch_ptr 0
		.amdhsa_user_sgpr_queue_ptr 0
		.amdhsa_user_sgpr_kernarg_segment_ptr 1
		.amdhsa_user_sgpr_dispatch_id 0
		.amdhsa_user_sgpr_flat_scratch_init 0
		.amdhsa_user_sgpr_private_segment_size 0
		.amdhsa_wavefront_size32 1
		.amdhsa_uses_dynamic_stack 0
		.amdhsa_system_sgpr_private_segment_wavefront_offset 0
		.amdhsa_system_sgpr_workgroup_id_x 1
		.amdhsa_system_sgpr_workgroup_id_y 0
		.amdhsa_system_sgpr_workgroup_id_z 0
		.amdhsa_system_sgpr_workgroup_info 0
		.amdhsa_system_vgpr_workitem_id 0
		.amdhsa_next_free_vgpr 1
		.amdhsa_next_free_sgpr 1
		.amdhsa_reserve_vcc 0
		.amdhsa_reserve_flat_scratch 0
		.amdhsa_float_round_mode_32 0
		.amdhsa_float_round_mode_16_64 0
		.amdhsa_float_denorm_mode_32 3
		.amdhsa_float_denorm_mode_16_64 3
		.amdhsa_dx10_clamp 1
		.amdhsa_ieee_mode 1
		.amdhsa_fp16_overflow 0
		.amdhsa_workgroup_processor_mode 1
		.amdhsa_memory_ordered 1
		.amdhsa_forward_progress 1
		.amdhsa_shared_vgpr_count 0
		.amdhsa_exception_fp_ieee_invalid_op 0
		.amdhsa_exception_fp_denorm_src 0
		.amdhsa_exception_fp_ieee_div_zero 0
		.amdhsa_exception_fp_ieee_overflow 0
		.amdhsa_exception_fp_ieee_underflow 0
		.amdhsa_exception_fp_ieee_inexact 0
		.amdhsa_exception_int_div_zero 0
	.end_amdhsa_kernel
	.section	.text._ZN7rocprim17ROCPRIM_400000_NS6detail17trampoline_kernelINS0_13select_configILj256ELj13ELNS0_17block_load_methodE3ELS4_3ELS4_3ELNS0_20block_scan_algorithmE0ELj4294967295EEENS1_25partition_config_selectorILNS1_17partition_subalgoE3EjNS0_10empty_typeEbEEZZNS1_14partition_implILS8_3ELb0ES6_jNS0_17counting_iteratorIjlEEPS9_SE_NS0_5tupleIJPjSE_EEENSF_IJSE_SE_EEES9_SG_JZNS1_25segmented_radix_sort_implINS0_14default_configELb1EPK12hip_bfloat16PSL_PKlPlN2at6native12_GLOBAL__N_18offset_tEEE10hipError_tPvRmT1_PNSt15iterator_traitsISZ_E10value_typeET2_T3_PNS10_IS15_E10value_typeET4_jRbjT5_S1B_jjP12ihipStream_tbEUljE_EEESW_SX_SY_S15_S19_S1B_T6_T7_T9_mT8_S1D_bDpT10_ENKUlT_T0_E_clISt17integral_constantIbLb0EES1Q_EEDaS1L_S1M_EUlS1L_E_NS1_11comp_targetILNS1_3genE5ELNS1_11target_archE942ELNS1_3gpuE9ELNS1_3repE0EEENS1_30default_config_static_selectorELNS0_4arch9wavefront6targetE0EEEvSZ_,"axG",@progbits,_ZN7rocprim17ROCPRIM_400000_NS6detail17trampoline_kernelINS0_13select_configILj256ELj13ELNS0_17block_load_methodE3ELS4_3ELS4_3ELNS0_20block_scan_algorithmE0ELj4294967295EEENS1_25partition_config_selectorILNS1_17partition_subalgoE3EjNS0_10empty_typeEbEEZZNS1_14partition_implILS8_3ELb0ES6_jNS0_17counting_iteratorIjlEEPS9_SE_NS0_5tupleIJPjSE_EEENSF_IJSE_SE_EEES9_SG_JZNS1_25segmented_radix_sort_implINS0_14default_configELb1EPK12hip_bfloat16PSL_PKlPlN2at6native12_GLOBAL__N_18offset_tEEE10hipError_tPvRmT1_PNSt15iterator_traitsISZ_E10value_typeET2_T3_PNS10_IS15_E10value_typeET4_jRbjT5_S1B_jjP12ihipStream_tbEUljE_EEESW_SX_SY_S15_S19_S1B_T6_T7_T9_mT8_S1D_bDpT10_ENKUlT_T0_E_clISt17integral_constantIbLb0EES1Q_EEDaS1L_S1M_EUlS1L_E_NS1_11comp_targetILNS1_3genE5ELNS1_11target_archE942ELNS1_3gpuE9ELNS1_3repE0EEENS1_30default_config_static_selectorELNS0_4arch9wavefront6targetE0EEEvSZ_,comdat
.Lfunc_end1905:
	.size	_ZN7rocprim17ROCPRIM_400000_NS6detail17trampoline_kernelINS0_13select_configILj256ELj13ELNS0_17block_load_methodE3ELS4_3ELS4_3ELNS0_20block_scan_algorithmE0ELj4294967295EEENS1_25partition_config_selectorILNS1_17partition_subalgoE3EjNS0_10empty_typeEbEEZZNS1_14partition_implILS8_3ELb0ES6_jNS0_17counting_iteratorIjlEEPS9_SE_NS0_5tupleIJPjSE_EEENSF_IJSE_SE_EEES9_SG_JZNS1_25segmented_radix_sort_implINS0_14default_configELb1EPK12hip_bfloat16PSL_PKlPlN2at6native12_GLOBAL__N_18offset_tEEE10hipError_tPvRmT1_PNSt15iterator_traitsISZ_E10value_typeET2_T3_PNS10_IS15_E10value_typeET4_jRbjT5_S1B_jjP12ihipStream_tbEUljE_EEESW_SX_SY_S15_S19_S1B_T6_T7_T9_mT8_S1D_bDpT10_ENKUlT_T0_E_clISt17integral_constantIbLb0EES1Q_EEDaS1L_S1M_EUlS1L_E_NS1_11comp_targetILNS1_3genE5ELNS1_11target_archE942ELNS1_3gpuE9ELNS1_3repE0EEENS1_30default_config_static_selectorELNS0_4arch9wavefront6targetE0EEEvSZ_, .Lfunc_end1905-_ZN7rocprim17ROCPRIM_400000_NS6detail17trampoline_kernelINS0_13select_configILj256ELj13ELNS0_17block_load_methodE3ELS4_3ELS4_3ELNS0_20block_scan_algorithmE0ELj4294967295EEENS1_25partition_config_selectorILNS1_17partition_subalgoE3EjNS0_10empty_typeEbEEZZNS1_14partition_implILS8_3ELb0ES6_jNS0_17counting_iteratorIjlEEPS9_SE_NS0_5tupleIJPjSE_EEENSF_IJSE_SE_EEES9_SG_JZNS1_25segmented_radix_sort_implINS0_14default_configELb1EPK12hip_bfloat16PSL_PKlPlN2at6native12_GLOBAL__N_18offset_tEEE10hipError_tPvRmT1_PNSt15iterator_traitsISZ_E10value_typeET2_T3_PNS10_IS15_E10value_typeET4_jRbjT5_S1B_jjP12ihipStream_tbEUljE_EEESW_SX_SY_S15_S19_S1B_T6_T7_T9_mT8_S1D_bDpT10_ENKUlT_T0_E_clISt17integral_constantIbLb0EES1Q_EEDaS1L_S1M_EUlS1L_E_NS1_11comp_targetILNS1_3genE5ELNS1_11target_archE942ELNS1_3gpuE9ELNS1_3repE0EEENS1_30default_config_static_selectorELNS0_4arch9wavefront6targetE0EEEvSZ_
                                        ; -- End function
	.set _ZN7rocprim17ROCPRIM_400000_NS6detail17trampoline_kernelINS0_13select_configILj256ELj13ELNS0_17block_load_methodE3ELS4_3ELS4_3ELNS0_20block_scan_algorithmE0ELj4294967295EEENS1_25partition_config_selectorILNS1_17partition_subalgoE3EjNS0_10empty_typeEbEEZZNS1_14partition_implILS8_3ELb0ES6_jNS0_17counting_iteratorIjlEEPS9_SE_NS0_5tupleIJPjSE_EEENSF_IJSE_SE_EEES9_SG_JZNS1_25segmented_radix_sort_implINS0_14default_configELb1EPK12hip_bfloat16PSL_PKlPlN2at6native12_GLOBAL__N_18offset_tEEE10hipError_tPvRmT1_PNSt15iterator_traitsISZ_E10value_typeET2_T3_PNS10_IS15_E10value_typeET4_jRbjT5_S1B_jjP12ihipStream_tbEUljE_EEESW_SX_SY_S15_S19_S1B_T6_T7_T9_mT8_S1D_bDpT10_ENKUlT_T0_E_clISt17integral_constantIbLb0EES1Q_EEDaS1L_S1M_EUlS1L_E_NS1_11comp_targetILNS1_3genE5ELNS1_11target_archE942ELNS1_3gpuE9ELNS1_3repE0EEENS1_30default_config_static_selectorELNS0_4arch9wavefront6targetE0EEEvSZ_.num_vgpr, 0
	.set _ZN7rocprim17ROCPRIM_400000_NS6detail17trampoline_kernelINS0_13select_configILj256ELj13ELNS0_17block_load_methodE3ELS4_3ELS4_3ELNS0_20block_scan_algorithmE0ELj4294967295EEENS1_25partition_config_selectorILNS1_17partition_subalgoE3EjNS0_10empty_typeEbEEZZNS1_14partition_implILS8_3ELb0ES6_jNS0_17counting_iteratorIjlEEPS9_SE_NS0_5tupleIJPjSE_EEENSF_IJSE_SE_EEES9_SG_JZNS1_25segmented_radix_sort_implINS0_14default_configELb1EPK12hip_bfloat16PSL_PKlPlN2at6native12_GLOBAL__N_18offset_tEEE10hipError_tPvRmT1_PNSt15iterator_traitsISZ_E10value_typeET2_T3_PNS10_IS15_E10value_typeET4_jRbjT5_S1B_jjP12ihipStream_tbEUljE_EEESW_SX_SY_S15_S19_S1B_T6_T7_T9_mT8_S1D_bDpT10_ENKUlT_T0_E_clISt17integral_constantIbLb0EES1Q_EEDaS1L_S1M_EUlS1L_E_NS1_11comp_targetILNS1_3genE5ELNS1_11target_archE942ELNS1_3gpuE9ELNS1_3repE0EEENS1_30default_config_static_selectorELNS0_4arch9wavefront6targetE0EEEvSZ_.num_agpr, 0
	.set _ZN7rocprim17ROCPRIM_400000_NS6detail17trampoline_kernelINS0_13select_configILj256ELj13ELNS0_17block_load_methodE3ELS4_3ELS4_3ELNS0_20block_scan_algorithmE0ELj4294967295EEENS1_25partition_config_selectorILNS1_17partition_subalgoE3EjNS0_10empty_typeEbEEZZNS1_14partition_implILS8_3ELb0ES6_jNS0_17counting_iteratorIjlEEPS9_SE_NS0_5tupleIJPjSE_EEENSF_IJSE_SE_EEES9_SG_JZNS1_25segmented_radix_sort_implINS0_14default_configELb1EPK12hip_bfloat16PSL_PKlPlN2at6native12_GLOBAL__N_18offset_tEEE10hipError_tPvRmT1_PNSt15iterator_traitsISZ_E10value_typeET2_T3_PNS10_IS15_E10value_typeET4_jRbjT5_S1B_jjP12ihipStream_tbEUljE_EEESW_SX_SY_S15_S19_S1B_T6_T7_T9_mT8_S1D_bDpT10_ENKUlT_T0_E_clISt17integral_constantIbLb0EES1Q_EEDaS1L_S1M_EUlS1L_E_NS1_11comp_targetILNS1_3genE5ELNS1_11target_archE942ELNS1_3gpuE9ELNS1_3repE0EEENS1_30default_config_static_selectorELNS0_4arch9wavefront6targetE0EEEvSZ_.numbered_sgpr, 0
	.set _ZN7rocprim17ROCPRIM_400000_NS6detail17trampoline_kernelINS0_13select_configILj256ELj13ELNS0_17block_load_methodE3ELS4_3ELS4_3ELNS0_20block_scan_algorithmE0ELj4294967295EEENS1_25partition_config_selectorILNS1_17partition_subalgoE3EjNS0_10empty_typeEbEEZZNS1_14partition_implILS8_3ELb0ES6_jNS0_17counting_iteratorIjlEEPS9_SE_NS0_5tupleIJPjSE_EEENSF_IJSE_SE_EEES9_SG_JZNS1_25segmented_radix_sort_implINS0_14default_configELb1EPK12hip_bfloat16PSL_PKlPlN2at6native12_GLOBAL__N_18offset_tEEE10hipError_tPvRmT1_PNSt15iterator_traitsISZ_E10value_typeET2_T3_PNS10_IS15_E10value_typeET4_jRbjT5_S1B_jjP12ihipStream_tbEUljE_EEESW_SX_SY_S15_S19_S1B_T6_T7_T9_mT8_S1D_bDpT10_ENKUlT_T0_E_clISt17integral_constantIbLb0EES1Q_EEDaS1L_S1M_EUlS1L_E_NS1_11comp_targetILNS1_3genE5ELNS1_11target_archE942ELNS1_3gpuE9ELNS1_3repE0EEENS1_30default_config_static_selectorELNS0_4arch9wavefront6targetE0EEEvSZ_.num_named_barrier, 0
	.set _ZN7rocprim17ROCPRIM_400000_NS6detail17trampoline_kernelINS0_13select_configILj256ELj13ELNS0_17block_load_methodE3ELS4_3ELS4_3ELNS0_20block_scan_algorithmE0ELj4294967295EEENS1_25partition_config_selectorILNS1_17partition_subalgoE3EjNS0_10empty_typeEbEEZZNS1_14partition_implILS8_3ELb0ES6_jNS0_17counting_iteratorIjlEEPS9_SE_NS0_5tupleIJPjSE_EEENSF_IJSE_SE_EEES9_SG_JZNS1_25segmented_radix_sort_implINS0_14default_configELb1EPK12hip_bfloat16PSL_PKlPlN2at6native12_GLOBAL__N_18offset_tEEE10hipError_tPvRmT1_PNSt15iterator_traitsISZ_E10value_typeET2_T3_PNS10_IS15_E10value_typeET4_jRbjT5_S1B_jjP12ihipStream_tbEUljE_EEESW_SX_SY_S15_S19_S1B_T6_T7_T9_mT8_S1D_bDpT10_ENKUlT_T0_E_clISt17integral_constantIbLb0EES1Q_EEDaS1L_S1M_EUlS1L_E_NS1_11comp_targetILNS1_3genE5ELNS1_11target_archE942ELNS1_3gpuE9ELNS1_3repE0EEENS1_30default_config_static_selectorELNS0_4arch9wavefront6targetE0EEEvSZ_.private_seg_size, 0
	.set _ZN7rocprim17ROCPRIM_400000_NS6detail17trampoline_kernelINS0_13select_configILj256ELj13ELNS0_17block_load_methodE3ELS4_3ELS4_3ELNS0_20block_scan_algorithmE0ELj4294967295EEENS1_25partition_config_selectorILNS1_17partition_subalgoE3EjNS0_10empty_typeEbEEZZNS1_14partition_implILS8_3ELb0ES6_jNS0_17counting_iteratorIjlEEPS9_SE_NS0_5tupleIJPjSE_EEENSF_IJSE_SE_EEES9_SG_JZNS1_25segmented_radix_sort_implINS0_14default_configELb1EPK12hip_bfloat16PSL_PKlPlN2at6native12_GLOBAL__N_18offset_tEEE10hipError_tPvRmT1_PNSt15iterator_traitsISZ_E10value_typeET2_T3_PNS10_IS15_E10value_typeET4_jRbjT5_S1B_jjP12ihipStream_tbEUljE_EEESW_SX_SY_S15_S19_S1B_T6_T7_T9_mT8_S1D_bDpT10_ENKUlT_T0_E_clISt17integral_constantIbLb0EES1Q_EEDaS1L_S1M_EUlS1L_E_NS1_11comp_targetILNS1_3genE5ELNS1_11target_archE942ELNS1_3gpuE9ELNS1_3repE0EEENS1_30default_config_static_selectorELNS0_4arch9wavefront6targetE0EEEvSZ_.uses_vcc, 0
	.set _ZN7rocprim17ROCPRIM_400000_NS6detail17trampoline_kernelINS0_13select_configILj256ELj13ELNS0_17block_load_methodE3ELS4_3ELS4_3ELNS0_20block_scan_algorithmE0ELj4294967295EEENS1_25partition_config_selectorILNS1_17partition_subalgoE3EjNS0_10empty_typeEbEEZZNS1_14partition_implILS8_3ELb0ES6_jNS0_17counting_iteratorIjlEEPS9_SE_NS0_5tupleIJPjSE_EEENSF_IJSE_SE_EEES9_SG_JZNS1_25segmented_radix_sort_implINS0_14default_configELb1EPK12hip_bfloat16PSL_PKlPlN2at6native12_GLOBAL__N_18offset_tEEE10hipError_tPvRmT1_PNSt15iterator_traitsISZ_E10value_typeET2_T3_PNS10_IS15_E10value_typeET4_jRbjT5_S1B_jjP12ihipStream_tbEUljE_EEESW_SX_SY_S15_S19_S1B_T6_T7_T9_mT8_S1D_bDpT10_ENKUlT_T0_E_clISt17integral_constantIbLb0EES1Q_EEDaS1L_S1M_EUlS1L_E_NS1_11comp_targetILNS1_3genE5ELNS1_11target_archE942ELNS1_3gpuE9ELNS1_3repE0EEENS1_30default_config_static_selectorELNS0_4arch9wavefront6targetE0EEEvSZ_.uses_flat_scratch, 0
	.set _ZN7rocprim17ROCPRIM_400000_NS6detail17trampoline_kernelINS0_13select_configILj256ELj13ELNS0_17block_load_methodE3ELS4_3ELS4_3ELNS0_20block_scan_algorithmE0ELj4294967295EEENS1_25partition_config_selectorILNS1_17partition_subalgoE3EjNS0_10empty_typeEbEEZZNS1_14partition_implILS8_3ELb0ES6_jNS0_17counting_iteratorIjlEEPS9_SE_NS0_5tupleIJPjSE_EEENSF_IJSE_SE_EEES9_SG_JZNS1_25segmented_radix_sort_implINS0_14default_configELb1EPK12hip_bfloat16PSL_PKlPlN2at6native12_GLOBAL__N_18offset_tEEE10hipError_tPvRmT1_PNSt15iterator_traitsISZ_E10value_typeET2_T3_PNS10_IS15_E10value_typeET4_jRbjT5_S1B_jjP12ihipStream_tbEUljE_EEESW_SX_SY_S15_S19_S1B_T6_T7_T9_mT8_S1D_bDpT10_ENKUlT_T0_E_clISt17integral_constantIbLb0EES1Q_EEDaS1L_S1M_EUlS1L_E_NS1_11comp_targetILNS1_3genE5ELNS1_11target_archE942ELNS1_3gpuE9ELNS1_3repE0EEENS1_30default_config_static_selectorELNS0_4arch9wavefront6targetE0EEEvSZ_.has_dyn_sized_stack, 0
	.set _ZN7rocprim17ROCPRIM_400000_NS6detail17trampoline_kernelINS0_13select_configILj256ELj13ELNS0_17block_load_methodE3ELS4_3ELS4_3ELNS0_20block_scan_algorithmE0ELj4294967295EEENS1_25partition_config_selectorILNS1_17partition_subalgoE3EjNS0_10empty_typeEbEEZZNS1_14partition_implILS8_3ELb0ES6_jNS0_17counting_iteratorIjlEEPS9_SE_NS0_5tupleIJPjSE_EEENSF_IJSE_SE_EEES9_SG_JZNS1_25segmented_radix_sort_implINS0_14default_configELb1EPK12hip_bfloat16PSL_PKlPlN2at6native12_GLOBAL__N_18offset_tEEE10hipError_tPvRmT1_PNSt15iterator_traitsISZ_E10value_typeET2_T3_PNS10_IS15_E10value_typeET4_jRbjT5_S1B_jjP12ihipStream_tbEUljE_EEESW_SX_SY_S15_S19_S1B_T6_T7_T9_mT8_S1D_bDpT10_ENKUlT_T0_E_clISt17integral_constantIbLb0EES1Q_EEDaS1L_S1M_EUlS1L_E_NS1_11comp_targetILNS1_3genE5ELNS1_11target_archE942ELNS1_3gpuE9ELNS1_3repE0EEENS1_30default_config_static_selectorELNS0_4arch9wavefront6targetE0EEEvSZ_.has_recursion, 0
	.set _ZN7rocprim17ROCPRIM_400000_NS6detail17trampoline_kernelINS0_13select_configILj256ELj13ELNS0_17block_load_methodE3ELS4_3ELS4_3ELNS0_20block_scan_algorithmE0ELj4294967295EEENS1_25partition_config_selectorILNS1_17partition_subalgoE3EjNS0_10empty_typeEbEEZZNS1_14partition_implILS8_3ELb0ES6_jNS0_17counting_iteratorIjlEEPS9_SE_NS0_5tupleIJPjSE_EEENSF_IJSE_SE_EEES9_SG_JZNS1_25segmented_radix_sort_implINS0_14default_configELb1EPK12hip_bfloat16PSL_PKlPlN2at6native12_GLOBAL__N_18offset_tEEE10hipError_tPvRmT1_PNSt15iterator_traitsISZ_E10value_typeET2_T3_PNS10_IS15_E10value_typeET4_jRbjT5_S1B_jjP12ihipStream_tbEUljE_EEESW_SX_SY_S15_S19_S1B_T6_T7_T9_mT8_S1D_bDpT10_ENKUlT_T0_E_clISt17integral_constantIbLb0EES1Q_EEDaS1L_S1M_EUlS1L_E_NS1_11comp_targetILNS1_3genE5ELNS1_11target_archE942ELNS1_3gpuE9ELNS1_3repE0EEENS1_30default_config_static_selectorELNS0_4arch9wavefront6targetE0EEEvSZ_.has_indirect_call, 0
	.section	.AMDGPU.csdata,"",@progbits
; Kernel info:
; codeLenInByte = 0
; TotalNumSgprs: 0
; NumVgprs: 0
; ScratchSize: 0
; MemoryBound: 0
; FloatMode: 240
; IeeeMode: 1
; LDSByteSize: 0 bytes/workgroup (compile time only)
; SGPRBlocks: 0
; VGPRBlocks: 0
; NumSGPRsForWavesPerEU: 1
; NumVGPRsForWavesPerEU: 1
; Occupancy: 16
; WaveLimiterHint : 0
; COMPUTE_PGM_RSRC2:SCRATCH_EN: 0
; COMPUTE_PGM_RSRC2:USER_SGPR: 6
; COMPUTE_PGM_RSRC2:TRAP_HANDLER: 0
; COMPUTE_PGM_RSRC2:TGID_X_EN: 1
; COMPUTE_PGM_RSRC2:TGID_Y_EN: 0
; COMPUTE_PGM_RSRC2:TGID_Z_EN: 0
; COMPUTE_PGM_RSRC2:TIDIG_COMP_CNT: 0
	.section	.text._ZN7rocprim17ROCPRIM_400000_NS6detail17trampoline_kernelINS0_13select_configILj256ELj13ELNS0_17block_load_methodE3ELS4_3ELS4_3ELNS0_20block_scan_algorithmE0ELj4294967295EEENS1_25partition_config_selectorILNS1_17partition_subalgoE3EjNS0_10empty_typeEbEEZZNS1_14partition_implILS8_3ELb0ES6_jNS0_17counting_iteratorIjlEEPS9_SE_NS0_5tupleIJPjSE_EEENSF_IJSE_SE_EEES9_SG_JZNS1_25segmented_radix_sort_implINS0_14default_configELb1EPK12hip_bfloat16PSL_PKlPlN2at6native12_GLOBAL__N_18offset_tEEE10hipError_tPvRmT1_PNSt15iterator_traitsISZ_E10value_typeET2_T3_PNS10_IS15_E10value_typeET4_jRbjT5_S1B_jjP12ihipStream_tbEUljE_EEESW_SX_SY_S15_S19_S1B_T6_T7_T9_mT8_S1D_bDpT10_ENKUlT_T0_E_clISt17integral_constantIbLb0EES1Q_EEDaS1L_S1M_EUlS1L_E_NS1_11comp_targetILNS1_3genE4ELNS1_11target_archE910ELNS1_3gpuE8ELNS1_3repE0EEENS1_30default_config_static_selectorELNS0_4arch9wavefront6targetE0EEEvSZ_,"axG",@progbits,_ZN7rocprim17ROCPRIM_400000_NS6detail17trampoline_kernelINS0_13select_configILj256ELj13ELNS0_17block_load_methodE3ELS4_3ELS4_3ELNS0_20block_scan_algorithmE0ELj4294967295EEENS1_25partition_config_selectorILNS1_17partition_subalgoE3EjNS0_10empty_typeEbEEZZNS1_14partition_implILS8_3ELb0ES6_jNS0_17counting_iteratorIjlEEPS9_SE_NS0_5tupleIJPjSE_EEENSF_IJSE_SE_EEES9_SG_JZNS1_25segmented_radix_sort_implINS0_14default_configELb1EPK12hip_bfloat16PSL_PKlPlN2at6native12_GLOBAL__N_18offset_tEEE10hipError_tPvRmT1_PNSt15iterator_traitsISZ_E10value_typeET2_T3_PNS10_IS15_E10value_typeET4_jRbjT5_S1B_jjP12ihipStream_tbEUljE_EEESW_SX_SY_S15_S19_S1B_T6_T7_T9_mT8_S1D_bDpT10_ENKUlT_T0_E_clISt17integral_constantIbLb0EES1Q_EEDaS1L_S1M_EUlS1L_E_NS1_11comp_targetILNS1_3genE4ELNS1_11target_archE910ELNS1_3gpuE8ELNS1_3repE0EEENS1_30default_config_static_selectorELNS0_4arch9wavefront6targetE0EEEvSZ_,comdat
	.globl	_ZN7rocprim17ROCPRIM_400000_NS6detail17trampoline_kernelINS0_13select_configILj256ELj13ELNS0_17block_load_methodE3ELS4_3ELS4_3ELNS0_20block_scan_algorithmE0ELj4294967295EEENS1_25partition_config_selectorILNS1_17partition_subalgoE3EjNS0_10empty_typeEbEEZZNS1_14partition_implILS8_3ELb0ES6_jNS0_17counting_iteratorIjlEEPS9_SE_NS0_5tupleIJPjSE_EEENSF_IJSE_SE_EEES9_SG_JZNS1_25segmented_radix_sort_implINS0_14default_configELb1EPK12hip_bfloat16PSL_PKlPlN2at6native12_GLOBAL__N_18offset_tEEE10hipError_tPvRmT1_PNSt15iterator_traitsISZ_E10value_typeET2_T3_PNS10_IS15_E10value_typeET4_jRbjT5_S1B_jjP12ihipStream_tbEUljE_EEESW_SX_SY_S15_S19_S1B_T6_T7_T9_mT8_S1D_bDpT10_ENKUlT_T0_E_clISt17integral_constantIbLb0EES1Q_EEDaS1L_S1M_EUlS1L_E_NS1_11comp_targetILNS1_3genE4ELNS1_11target_archE910ELNS1_3gpuE8ELNS1_3repE0EEENS1_30default_config_static_selectorELNS0_4arch9wavefront6targetE0EEEvSZ_ ; -- Begin function _ZN7rocprim17ROCPRIM_400000_NS6detail17trampoline_kernelINS0_13select_configILj256ELj13ELNS0_17block_load_methodE3ELS4_3ELS4_3ELNS0_20block_scan_algorithmE0ELj4294967295EEENS1_25partition_config_selectorILNS1_17partition_subalgoE3EjNS0_10empty_typeEbEEZZNS1_14partition_implILS8_3ELb0ES6_jNS0_17counting_iteratorIjlEEPS9_SE_NS0_5tupleIJPjSE_EEENSF_IJSE_SE_EEES9_SG_JZNS1_25segmented_radix_sort_implINS0_14default_configELb1EPK12hip_bfloat16PSL_PKlPlN2at6native12_GLOBAL__N_18offset_tEEE10hipError_tPvRmT1_PNSt15iterator_traitsISZ_E10value_typeET2_T3_PNS10_IS15_E10value_typeET4_jRbjT5_S1B_jjP12ihipStream_tbEUljE_EEESW_SX_SY_S15_S19_S1B_T6_T7_T9_mT8_S1D_bDpT10_ENKUlT_T0_E_clISt17integral_constantIbLb0EES1Q_EEDaS1L_S1M_EUlS1L_E_NS1_11comp_targetILNS1_3genE4ELNS1_11target_archE910ELNS1_3gpuE8ELNS1_3repE0EEENS1_30default_config_static_selectorELNS0_4arch9wavefront6targetE0EEEvSZ_
	.p2align	8
	.type	_ZN7rocprim17ROCPRIM_400000_NS6detail17trampoline_kernelINS0_13select_configILj256ELj13ELNS0_17block_load_methodE3ELS4_3ELS4_3ELNS0_20block_scan_algorithmE0ELj4294967295EEENS1_25partition_config_selectorILNS1_17partition_subalgoE3EjNS0_10empty_typeEbEEZZNS1_14partition_implILS8_3ELb0ES6_jNS0_17counting_iteratorIjlEEPS9_SE_NS0_5tupleIJPjSE_EEENSF_IJSE_SE_EEES9_SG_JZNS1_25segmented_radix_sort_implINS0_14default_configELb1EPK12hip_bfloat16PSL_PKlPlN2at6native12_GLOBAL__N_18offset_tEEE10hipError_tPvRmT1_PNSt15iterator_traitsISZ_E10value_typeET2_T3_PNS10_IS15_E10value_typeET4_jRbjT5_S1B_jjP12ihipStream_tbEUljE_EEESW_SX_SY_S15_S19_S1B_T6_T7_T9_mT8_S1D_bDpT10_ENKUlT_T0_E_clISt17integral_constantIbLb0EES1Q_EEDaS1L_S1M_EUlS1L_E_NS1_11comp_targetILNS1_3genE4ELNS1_11target_archE910ELNS1_3gpuE8ELNS1_3repE0EEENS1_30default_config_static_selectorELNS0_4arch9wavefront6targetE0EEEvSZ_,@function
_ZN7rocprim17ROCPRIM_400000_NS6detail17trampoline_kernelINS0_13select_configILj256ELj13ELNS0_17block_load_methodE3ELS4_3ELS4_3ELNS0_20block_scan_algorithmE0ELj4294967295EEENS1_25partition_config_selectorILNS1_17partition_subalgoE3EjNS0_10empty_typeEbEEZZNS1_14partition_implILS8_3ELb0ES6_jNS0_17counting_iteratorIjlEEPS9_SE_NS0_5tupleIJPjSE_EEENSF_IJSE_SE_EEES9_SG_JZNS1_25segmented_radix_sort_implINS0_14default_configELb1EPK12hip_bfloat16PSL_PKlPlN2at6native12_GLOBAL__N_18offset_tEEE10hipError_tPvRmT1_PNSt15iterator_traitsISZ_E10value_typeET2_T3_PNS10_IS15_E10value_typeET4_jRbjT5_S1B_jjP12ihipStream_tbEUljE_EEESW_SX_SY_S15_S19_S1B_T6_T7_T9_mT8_S1D_bDpT10_ENKUlT_T0_E_clISt17integral_constantIbLb0EES1Q_EEDaS1L_S1M_EUlS1L_E_NS1_11comp_targetILNS1_3genE4ELNS1_11target_archE910ELNS1_3gpuE8ELNS1_3repE0EEENS1_30default_config_static_selectorELNS0_4arch9wavefront6targetE0EEEvSZ_: ; @_ZN7rocprim17ROCPRIM_400000_NS6detail17trampoline_kernelINS0_13select_configILj256ELj13ELNS0_17block_load_methodE3ELS4_3ELS4_3ELNS0_20block_scan_algorithmE0ELj4294967295EEENS1_25partition_config_selectorILNS1_17partition_subalgoE3EjNS0_10empty_typeEbEEZZNS1_14partition_implILS8_3ELb0ES6_jNS0_17counting_iteratorIjlEEPS9_SE_NS0_5tupleIJPjSE_EEENSF_IJSE_SE_EEES9_SG_JZNS1_25segmented_radix_sort_implINS0_14default_configELb1EPK12hip_bfloat16PSL_PKlPlN2at6native12_GLOBAL__N_18offset_tEEE10hipError_tPvRmT1_PNSt15iterator_traitsISZ_E10value_typeET2_T3_PNS10_IS15_E10value_typeET4_jRbjT5_S1B_jjP12ihipStream_tbEUljE_EEESW_SX_SY_S15_S19_S1B_T6_T7_T9_mT8_S1D_bDpT10_ENKUlT_T0_E_clISt17integral_constantIbLb0EES1Q_EEDaS1L_S1M_EUlS1L_E_NS1_11comp_targetILNS1_3genE4ELNS1_11target_archE910ELNS1_3gpuE8ELNS1_3repE0EEENS1_30default_config_static_selectorELNS0_4arch9wavefront6targetE0EEEvSZ_
; %bb.0:
	.section	.rodata,"a",@progbits
	.p2align	6, 0x0
	.amdhsa_kernel _ZN7rocprim17ROCPRIM_400000_NS6detail17trampoline_kernelINS0_13select_configILj256ELj13ELNS0_17block_load_methodE3ELS4_3ELS4_3ELNS0_20block_scan_algorithmE0ELj4294967295EEENS1_25partition_config_selectorILNS1_17partition_subalgoE3EjNS0_10empty_typeEbEEZZNS1_14partition_implILS8_3ELb0ES6_jNS0_17counting_iteratorIjlEEPS9_SE_NS0_5tupleIJPjSE_EEENSF_IJSE_SE_EEES9_SG_JZNS1_25segmented_radix_sort_implINS0_14default_configELb1EPK12hip_bfloat16PSL_PKlPlN2at6native12_GLOBAL__N_18offset_tEEE10hipError_tPvRmT1_PNSt15iterator_traitsISZ_E10value_typeET2_T3_PNS10_IS15_E10value_typeET4_jRbjT5_S1B_jjP12ihipStream_tbEUljE_EEESW_SX_SY_S15_S19_S1B_T6_T7_T9_mT8_S1D_bDpT10_ENKUlT_T0_E_clISt17integral_constantIbLb0EES1Q_EEDaS1L_S1M_EUlS1L_E_NS1_11comp_targetILNS1_3genE4ELNS1_11target_archE910ELNS1_3gpuE8ELNS1_3repE0EEENS1_30default_config_static_selectorELNS0_4arch9wavefront6targetE0EEEvSZ_
		.amdhsa_group_segment_fixed_size 0
		.amdhsa_private_segment_fixed_size 0
		.amdhsa_kernarg_size 144
		.amdhsa_user_sgpr_count 6
		.amdhsa_user_sgpr_private_segment_buffer 1
		.amdhsa_user_sgpr_dispatch_ptr 0
		.amdhsa_user_sgpr_queue_ptr 0
		.amdhsa_user_sgpr_kernarg_segment_ptr 1
		.amdhsa_user_sgpr_dispatch_id 0
		.amdhsa_user_sgpr_flat_scratch_init 0
		.amdhsa_user_sgpr_private_segment_size 0
		.amdhsa_wavefront_size32 1
		.amdhsa_uses_dynamic_stack 0
		.amdhsa_system_sgpr_private_segment_wavefront_offset 0
		.amdhsa_system_sgpr_workgroup_id_x 1
		.amdhsa_system_sgpr_workgroup_id_y 0
		.amdhsa_system_sgpr_workgroup_id_z 0
		.amdhsa_system_sgpr_workgroup_info 0
		.amdhsa_system_vgpr_workitem_id 0
		.amdhsa_next_free_vgpr 1
		.amdhsa_next_free_sgpr 1
		.amdhsa_reserve_vcc 0
		.amdhsa_reserve_flat_scratch 0
		.amdhsa_float_round_mode_32 0
		.amdhsa_float_round_mode_16_64 0
		.amdhsa_float_denorm_mode_32 3
		.amdhsa_float_denorm_mode_16_64 3
		.amdhsa_dx10_clamp 1
		.amdhsa_ieee_mode 1
		.amdhsa_fp16_overflow 0
		.amdhsa_workgroup_processor_mode 1
		.amdhsa_memory_ordered 1
		.amdhsa_forward_progress 1
		.amdhsa_shared_vgpr_count 0
		.amdhsa_exception_fp_ieee_invalid_op 0
		.amdhsa_exception_fp_denorm_src 0
		.amdhsa_exception_fp_ieee_div_zero 0
		.amdhsa_exception_fp_ieee_overflow 0
		.amdhsa_exception_fp_ieee_underflow 0
		.amdhsa_exception_fp_ieee_inexact 0
		.amdhsa_exception_int_div_zero 0
	.end_amdhsa_kernel
	.section	.text._ZN7rocprim17ROCPRIM_400000_NS6detail17trampoline_kernelINS0_13select_configILj256ELj13ELNS0_17block_load_methodE3ELS4_3ELS4_3ELNS0_20block_scan_algorithmE0ELj4294967295EEENS1_25partition_config_selectorILNS1_17partition_subalgoE3EjNS0_10empty_typeEbEEZZNS1_14partition_implILS8_3ELb0ES6_jNS0_17counting_iteratorIjlEEPS9_SE_NS0_5tupleIJPjSE_EEENSF_IJSE_SE_EEES9_SG_JZNS1_25segmented_radix_sort_implINS0_14default_configELb1EPK12hip_bfloat16PSL_PKlPlN2at6native12_GLOBAL__N_18offset_tEEE10hipError_tPvRmT1_PNSt15iterator_traitsISZ_E10value_typeET2_T3_PNS10_IS15_E10value_typeET4_jRbjT5_S1B_jjP12ihipStream_tbEUljE_EEESW_SX_SY_S15_S19_S1B_T6_T7_T9_mT8_S1D_bDpT10_ENKUlT_T0_E_clISt17integral_constantIbLb0EES1Q_EEDaS1L_S1M_EUlS1L_E_NS1_11comp_targetILNS1_3genE4ELNS1_11target_archE910ELNS1_3gpuE8ELNS1_3repE0EEENS1_30default_config_static_selectorELNS0_4arch9wavefront6targetE0EEEvSZ_,"axG",@progbits,_ZN7rocprim17ROCPRIM_400000_NS6detail17trampoline_kernelINS0_13select_configILj256ELj13ELNS0_17block_load_methodE3ELS4_3ELS4_3ELNS0_20block_scan_algorithmE0ELj4294967295EEENS1_25partition_config_selectorILNS1_17partition_subalgoE3EjNS0_10empty_typeEbEEZZNS1_14partition_implILS8_3ELb0ES6_jNS0_17counting_iteratorIjlEEPS9_SE_NS0_5tupleIJPjSE_EEENSF_IJSE_SE_EEES9_SG_JZNS1_25segmented_radix_sort_implINS0_14default_configELb1EPK12hip_bfloat16PSL_PKlPlN2at6native12_GLOBAL__N_18offset_tEEE10hipError_tPvRmT1_PNSt15iterator_traitsISZ_E10value_typeET2_T3_PNS10_IS15_E10value_typeET4_jRbjT5_S1B_jjP12ihipStream_tbEUljE_EEESW_SX_SY_S15_S19_S1B_T6_T7_T9_mT8_S1D_bDpT10_ENKUlT_T0_E_clISt17integral_constantIbLb0EES1Q_EEDaS1L_S1M_EUlS1L_E_NS1_11comp_targetILNS1_3genE4ELNS1_11target_archE910ELNS1_3gpuE8ELNS1_3repE0EEENS1_30default_config_static_selectorELNS0_4arch9wavefront6targetE0EEEvSZ_,comdat
.Lfunc_end1906:
	.size	_ZN7rocprim17ROCPRIM_400000_NS6detail17trampoline_kernelINS0_13select_configILj256ELj13ELNS0_17block_load_methodE3ELS4_3ELS4_3ELNS0_20block_scan_algorithmE0ELj4294967295EEENS1_25partition_config_selectorILNS1_17partition_subalgoE3EjNS0_10empty_typeEbEEZZNS1_14partition_implILS8_3ELb0ES6_jNS0_17counting_iteratorIjlEEPS9_SE_NS0_5tupleIJPjSE_EEENSF_IJSE_SE_EEES9_SG_JZNS1_25segmented_radix_sort_implINS0_14default_configELb1EPK12hip_bfloat16PSL_PKlPlN2at6native12_GLOBAL__N_18offset_tEEE10hipError_tPvRmT1_PNSt15iterator_traitsISZ_E10value_typeET2_T3_PNS10_IS15_E10value_typeET4_jRbjT5_S1B_jjP12ihipStream_tbEUljE_EEESW_SX_SY_S15_S19_S1B_T6_T7_T9_mT8_S1D_bDpT10_ENKUlT_T0_E_clISt17integral_constantIbLb0EES1Q_EEDaS1L_S1M_EUlS1L_E_NS1_11comp_targetILNS1_3genE4ELNS1_11target_archE910ELNS1_3gpuE8ELNS1_3repE0EEENS1_30default_config_static_selectorELNS0_4arch9wavefront6targetE0EEEvSZ_, .Lfunc_end1906-_ZN7rocprim17ROCPRIM_400000_NS6detail17trampoline_kernelINS0_13select_configILj256ELj13ELNS0_17block_load_methodE3ELS4_3ELS4_3ELNS0_20block_scan_algorithmE0ELj4294967295EEENS1_25partition_config_selectorILNS1_17partition_subalgoE3EjNS0_10empty_typeEbEEZZNS1_14partition_implILS8_3ELb0ES6_jNS0_17counting_iteratorIjlEEPS9_SE_NS0_5tupleIJPjSE_EEENSF_IJSE_SE_EEES9_SG_JZNS1_25segmented_radix_sort_implINS0_14default_configELb1EPK12hip_bfloat16PSL_PKlPlN2at6native12_GLOBAL__N_18offset_tEEE10hipError_tPvRmT1_PNSt15iterator_traitsISZ_E10value_typeET2_T3_PNS10_IS15_E10value_typeET4_jRbjT5_S1B_jjP12ihipStream_tbEUljE_EEESW_SX_SY_S15_S19_S1B_T6_T7_T9_mT8_S1D_bDpT10_ENKUlT_T0_E_clISt17integral_constantIbLb0EES1Q_EEDaS1L_S1M_EUlS1L_E_NS1_11comp_targetILNS1_3genE4ELNS1_11target_archE910ELNS1_3gpuE8ELNS1_3repE0EEENS1_30default_config_static_selectorELNS0_4arch9wavefront6targetE0EEEvSZ_
                                        ; -- End function
	.set _ZN7rocprim17ROCPRIM_400000_NS6detail17trampoline_kernelINS0_13select_configILj256ELj13ELNS0_17block_load_methodE3ELS4_3ELS4_3ELNS0_20block_scan_algorithmE0ELj4294967295EEENS1_25partition_config_selectorILNS1_17partition_subalgoE3EjNS0_10empty_typeEbEEZZNS1_14partition_implILS8_3ELb0ES6_jNS0_17counting_iteratorIjlEEPS9_SE_NS0_5tupleIJPjSE_EEENSF_IJSE_SE_EEES9_SG_JZNS1_25segmented_radix_sort_implINS0_14default_configELb1EPK12hip_bfloat16PSL_PKlPlN2at6native12_GLOBAL__N_18offset_tEEE10hipError_tPvRmT1_PNSt15iterator_traitsISZ_E10value_typeET2_T3_PNS10_IS15_E10value_typeET4_jRbjT5_S1B_jjP12ihipStream_tbEUljE_EEESW_SX_SY_S15_S19_S1B_T6_T7_T9_mT8_S1D_bDpT10_ENKUlT_T0_E_clISt17integral_constantIbLb0EES1Q_EEDaS1L_S1M_EUlS1L_E_NS1_11comp_targetILNS1_3genE4ELNS1_11target_archE910ELNS1_3gpuE8ELNS1_3repE0EEENS1_30default_config_static_selectorELNS0_4arch9wavefront6targetE0EEEvSZ_.num_vgpr, 0
	.set _ZN7rocprim17ROCPRIM_400000_NS6detail17trampoline_kernelINS0_13select_configILj256ELj13ELNS0_17block_load_methodE3ELS4_3ELS4_3ELNS0_20block_scan_algorithmE0ELj4294967295EEENS1_25partition_config_selectorILNS1_17partition_subalgoE3EjNS0_10empty_typeEbEEZZNS1_14partition_implILS8_3ELb0ES6_jNS0_17counting_iteratorIjlEEPS9_SE_NS0_5tupleIJPjSE_EEENSF_IJSE_SE_EEES9_SG_JZNS1_25segmented_radix_sort_implINS0_14default_configELb1EPK12hip_bfloat16PSL_PKlPlN2at6native12_GLOBAL__N_18offset_tEEE10hipError_tPvRmT1_PNSt15iterator_traitsISZ_E10value_typeET2_T3_PNS10_IS15_E10value_typeET4_jRbjT5_S1B_jjP12ihipStream_tbEUljE_EEESW_SX_SY_S15_S19_S1B_T6_T7_T9_mT8_S1D_bDpT10_ENKUlT_T0_E_clISt17integral_constantIbLb0EES1Q_EEDaS1L_S1M_EUlS1L_E_NS1_11comp_targetILNS1_3genE4ELNS1_11target_archE910ELNS1_3gpuE8ELNS1_3repE0EEENS1_30default_config_static_selectorELNS0_4arch9wavefront6targetE0EEEvSZ_.num_agpr, 0
	.set _ZN7rocprim17ROCPRIM_400000_NS6detail17trampoline_kernelINS0_13select_configILj256ELj13ELNS0_17block_load_methodE3ELS4_3ELS4_3ELNS0_20block_scan_algorithmE0ELj4294967295EEENS1_25partition_config_selectorILNS1_17partition_subalgoE3EjNS0_10empty_typeEbEEZZNS1_14partition_implILS8_3ELb0ES6_jNS0_17counting_iteratorIjlEEPS9_SE_NS0_5tupleIJPjSE_EEENSF_IJSE_SE_EEES9_SG_JZNS1_25segmented_radix_sort_implINS0_14default_configELb1EPK12hip_bfloat16PSL_PKlPlN2at6native12_GLOBAL__N_18offset_tEEE10hipError_tPvRmT1_PNSt15iterator_traitsISZ_E10value_typeET2_T3_PNS10_IS15_E10value_typeET4_jRbjT5_S1B_jjP12ihipStream_tbEUljE_EEESW_SX_SY_S15_S19_S1B_T6_T7_T9_mT8_S1D_bDpT10_ENKUlT_T0_E_clISt17integral_constantIbLb0EES1Q_EEDaS1L_S1M_EUlS1L_E_NS1_11comp_targetILNS1_3genE4ELNS1_11target_archE910ELNS1_3gpuE8ELNS1_3repE0EEENS1_30default_config_static_selectorELNS0_4arch9wavefront6targetE0EEEvSZ_.numbered_sgpr, 0
	.set _ZN7rocprim17ROCPRIM_400000_NS6detail17trampoline_kernelINS0_13select_configILj256ELj13ELNS0_17block_load_methodE3ELS4_3ELS4_3ELNS0_20block_scan_algorithmE0ELj4294967295EEENS1_25partition_config_selectorILNS1_17partition_subalgoE3EjNS0_10empty_typeEbEEZZNS1_14partition_implILS8_3ELb0ES6_jNS0_17counting_iteratorIjlEEPS9_SE_NS0_5tupleIJPjSE_EEENSF_IJSE_SE_EEES9_SG_JZNS1_25segmented_radix_sort_implINS0_14default_configELb1EPK12hip_bfloat16PSL_PKlPlN2at6native12_GLOBAL__N_18offset_tEEE10hipError_tPvRmT1_PNSt15iterator_traitsISZ_E10value_typeET2_T3_PNS10_IS15_E10value_typeET4_jRbjT5_S1B_jjP12ihipStream_tbEUljE_EEESW_SX_SY_S15_S19_S1B_T6_T7_T9_mT8_S1D_bDpT10_ENKUlT_T0_E_clISt17integral_constantIbLb0EES1Q_EEDaS1L_S1M_EUlS1L_E_NS1_11comp_targetILNS1_3genE4ELNS1_11target_archE910ELNS1_3gpuE8ELNS1_3repE0EEENS1_30default_config_static_selectorELNS0_4arch9wavefront6targetE0EEEvSZ_.num_named_barrier, 0
	.set _ZN7rocprim17ROCPRIM_400000_NS6detail17trampoline_kernelINS0_13select_configILj256ELj13ELNS0_17block_load_methodE3ELS4_3ELS4_3ELNS0_20block_scan_algorithmE0ELj4294967295EEENS1_25partition_config_selectorILNS1_17partition_subalgoE3EjNS0_10empty_typeEbEEZZNS1_14partition_implILS8_3ELb0ES6_jNS0_17counting_iteratorIjlEEPS9_SE_NS0_5tupleIJPjSE_EEENSF_IJSE_SE_EEES9_SG_JZNS1_25segmented_radix_sort_implINS0_14default_configELb1EPK12hip_bfloat16PSL_PKlPlN2at6native12_GLOBAL__N_18offset_tEEE10hipError_tPvRmT1_PNSt15iterator_traitsISZ_E10value_typeET2_T3_PNS10_IS15_E10value_typeET4_jRbjT5_S1B_jjP12ihipStream_tbEUljE_EEESW_SX_SY_S15_S19_S1B_T6_T7_T9_mT8_S1D_bDpT10_ENKUlT_T0_E_clISt17integral_constantIbLb0EES1Q_EEDaS1L_S1M_EUlS1L_E_NS1_11comp_targetILNS1_3genE4ELNS1_11target_archE910ELNS1_3gpuE8ELNS1_3repE0EEENS1_30default_config_static_selectorELNS0_4arch9wavefront6targetE0EEEvSZ_.private_seg_size, 0
	.set _ZN7rocprim17ROCPRIM_400000_NS6detail17trampoline_kernelINS0_13select_configILj256ELj13ELNS0_17block_load_methodE3ELS4_3ELS4_3ELNS0_20block_scan_algorithmE0ELj4294967295EEENS1_25partition_config_selectorILNS1_17partition_subalgoE3EjNS0_10empty_typeEbEEZZNS1_14partition_implILS8_3ELb0ES6_jNS0_17counting_iteratorIjlEEPS9_SE_NS0_5tupleIJPjSE_EEENSF_IJSE_SE_EEES9_SG_JZNS1_25segmented_radix_sort_implINS0_14default_configELb1EPK12hip_bfloat16PSL_PKlPlN2at6native12_GLOBAL__N_18offset_tEEE10hipError_tPvRmT1_PNSt15iterator_traitsISZ_E10value_typeET2_T3_PNS10_IS15_E10value_typeET4_jRbjT5_S1B_jjP12ihipStream_tbEUljE_EEESW_SX_SY_S15_S19_S1B_T6_T7_T9_mT8_S1D_bDpT10_ENKUlT_T0_E_clISt17integral_constantIbLb0EES1Q_EEDaS1L_S1M_EUlS1L_E_NS1_11comp_targetILNS1_3genE4ELNS1_11target_archE910ELNS1_3gpuE8ELNS1_3repE0EEENS1_30default_config_static_selectorELNS0_4arch9wavefront6targetE0EEEvSZ_.uses_vcc, 0
	.set _ZN7rocprim17ROCPRIM_400000_NS6detail17trampoline_kernelINS0_13select_configILj256ELj13ELNS0_17block_load_methodE3ELS4_3ELS4_3ELNS0_20block_scan_algorithmE0ELj4294967295EEENS1_25partition_config_selectorILNS1_17partition_subalgoE3EjNS0_10empty_typeEbEEZZNS1_14partition_implILS8_3ELb0ES6_jNS0_17counting_iteratorIjlEEPS9_SE_NS0_5tupleIJPjSE_EEENSF_IJSE_SE_EEES9_SG_JZNS1_25segmented_radix_sort_implINS0_14default_configELb1EPK12hip_bfloat16PSL_PKlPlN2at6native12_GLOBAL__N_18offset_tEEE10hipError_tPvRmT1_PNSt15iterator_traitsISZ_E10value_typeET2_T3_PNS10_IS15_E10value_typeET4_jRbjT5_S1B_jjP12ihipStream_tbEUljE_EEESW_SX_SY_S15_S19_S1B_T6_T7_T9_mT8_S1D_bDpT10_ENKUlT_T0_E_clISt17integral_constantIbLb0EES1Q_EEDaS1L_S1M_EUlS1L_E_NS1_11comp_targetILNS1_3genE4ELNS1_11target_archE910ELNS1_3gpuE8ELNS1_3repE0EEENS1_30default_config_static_selectorELNS0_4arch9wavefront6targetE0EEEvSZ_.uses_flat_scratch, 0
	.set _ZN7rocprim17ROCPRIM_400000_NS6detail17trampoline_kernelINS0_13select_configILj256ELj13ELNS0_17block_load_methodE3ELS4_3ELS4_3ELNS0_20block_scan_algorithmE0ELj4294967295EEENS1_25partition_config_selectorILNS1_17partition_subalgoE3EjNS0_10empty_typeEbEEZZNS1_14partition_implILS8_3ELb0ES6_jNS0_17counting_iteratorIjlEEPS9_SE_NS0_5tupleIJPjSE_EEENSF_IJSE_SE_EEES9_SG_JZNS1_25segmented_radix_sort_implINS0_14default_configELb1EPK12hip_bfloat16PSL_PKlPlN2at6native12_GLOBAL__N_18offset_tEEE10hipError_tPvRmT1_PNSt15iterator_traitsISZ_E10value_typeET2_T3_PNS10_IS15_E10value_typeET4_jRbjT5_S1B_jjP12ihipStream_tbEUljE_EEESW_SX_SY_S15_S19_S1B_T6_T7_T9_mT8_S1D_bDpT10_ENKUlT_T0_E_clISt17integral_constantIbLb0EES1Q_EEDaS1L_S1M_EUlS1L_E_NS1_11comp_targetILNS1_3genE4ELNS1_11target_archE910ELNS1_3gpuE8ELNS1_3repE0EEENS1_30default_config_static_selectorELNS0_4arch9wavefront6targetE0EEEvSZ_.has_dyn_sized_stack, 0
	.set _ZN7rocprim17ROCPRIM_400000_NS6detail17trampoline_kernelINS0_13select_configILj256ELj13ELNS0_17block_load_methodE3ELS4_3ELS4_3ELNS0_20block_scan_algorithmE0ELj4294967295EEENS1_25partition_config_selectorILNS1_17partition_subalgoE3EjNS0_10empty_typeEbEEZZNS1_14partition_implILS8_3ELb0ES6_jNS0_17counting_iteratorIjlEEPS9_SE_NS0_5tupleIJPjSE_EEENSF_IJSE_SE_EEES9_SG_JZNS1_25segmented_radix_sort_implINS0_14default_configELb1EPK12hip_bfloat16PSL_PKlPlN2at6native12_GLOBAL__N_18offset_tEEE10hipError_tPvRmT1_PNSt15iterator_traitsISZ_E10value_typeET2_T3_PNS10_IS15_E10value_typeET4_jRbjT5_S1B_jjP12ihipStream_tbEUljE_EEESW_SX_SY_S15_S19_S1B_T6_T7_T9_mT8_S1D_bDpT10_ENKUlT_T0_E_clISt17integral_constantIbLb0EES1Q_EEDaS1L_S1M_EUlS1L_E_NS1_11comp_targetILNS1_3genE4ELNS1_11target_archE910ELNS1_3gpuE8ELNS1_3repE0EEENS1_30default_config_static_selectorELNS0_4arch9wavefront6targetE0EEEvSZ_.has_recursion, 0
	.set _ZN7rocprim17ROCPRIM_400000_NS6detail17trampoline_kernelINS0_13select_configILj256ELj13ELNS0_17block_load_methodE3ELS4_3ELS4_3ELNS0_20block_scan_algorithmE0ELj4294967295EEENS1_25partition_config_selectorILNS1_17partition_subalgoE3EjNS0_10empty_typeEbEEZZNS1_14partition_implILS8_3ELb0ES6_jNS0_17counting_iteratorIjlEEPS9_SE_NS0_5tupleIJPjSE_EEENSF_IJSE_SE_EEES9_SG_JZNS1_25segmented_radix_sort_implINS0_14default_configELb1EPK12hip_bfloat16PSL_PKlPlN2at6native12_GLOBAL__N_18offset_tEEE10hipError_tPvRmT1_PNSt15iterator_traitsISZ_E10value_typeET2_T3_PNS10_IS15_E10value_typeET4_jRbjT5_S1B_jjP12ihipStream_tbEUljE_EEESW_SX_SY_S15_S19_S1B_T6_T7_T9_mT8_S1D_bDpT10_ENKUlT_T0_E_clISt17integral_constantIbLb0EES1Q_EEDaS1L_S1M_EUlS1L_E_NS1_11comp_targetILNS1_3genE4ELNS1_11target_archE910ELNS1_3gpuE8ELNS1_3repE0EEENS1_30default_config_static_selectorELNS0_4arch9wavefront6targetE0EEEvSZ_.has_indirect_call, 0
	.section	.AMDGPU.csdata,"",@progbits
; Kernel info:
; codeLenInByte = 0
; TotalNumSgprs: 0
; NumVgprs: 0
; ScratchSize: 0
; MemoryBound: 0
; FloatMode: 240
; IeeeMode: 1
; LDSByteSize: 0 bytes/workgroup (compile time only)
; SGPRBlocks: 0
; VGPRBlocks: 0
; NumSGPRsForWavesPerEU: 1
; NumVGPRsForWavesPerEU: 1
; Occupancy: 16
; WaveLimiterHint : 0
; COMPUTE_PGM_RSRC2:SCRATCH_EN: 0
; COMPUTE_PGM_RSRC2:USER_SGPR: 6
; COMPUTE_PGM_RSRC2:TRAP_HANDLER: 0
; COMPUTE_PGM_RSRC2:TGID_X_EN: 1
; COMPUTE_PGM_RSRC2:TGID_Y_EN: 0
; COMPUTE_PGM_RSRC2:TGID_Z_EN: 0
; COMPUTE_PGM_RSRC2:TIDIG_COMP_CNT: 0
	.section	.text._ZN7rocprim17ROCPRIM_400000_NS6detail17trampoline_kernelINS0_13select_configILj256ELj13ELNS0_17block_load_methodE3ELS4_3ELS4_3ELNS0_20block_scan_algorithmE0ELj4294967295EEENS1_25partition_config_selectorILNS1_17partition_subalgoE3EjNS0_10empty_typeEbEEZZNS1_14partition_implILS8_3ELb0ES6_jNS0_17counting_iteratorIjlEEPS9_SE_NS0_5tupleIJPjSE_EEENSF_IJSE_SE_EEES9_SG_JZNS1_25segmented_radix_sort_implINS0_14default_configELb1EPK12hip_bfloat16PSL_PKlPlN2at6native12_GLOBAL__N_18offset_tEEE10hipError_tPvRmT1_PNSt15iterator_traitsISZ_E10value_typeET2_T3_PNS10_IS15_E10value_typeET4_jRbjT5_S1B_jjP12ihipStream_tbEUljE_EEESW_SX_SY_S15_S19_S1B_T6_T7_T9_mT8_S1D_bDpT10_ENKUlT_T0_E_clISt17integral_constantIbLb0EES1Q_EEDaS1L_S1M_EUlS1L_E_NS1_11comp_targetILNS1_3genE3ELNS1_11target_archE908ELNS1_3gpuE7ELNS1_3repE0EEENS1_30default_config_static_selectorELNS0_4arch9wavefront6targetE0EEEvSZ_,"axG",@progbits,_ZN7rocprim17ROCPRIM_400000_NS6detail17trampoline_kernelINS0_13select_configILj256ELj13ELNS0_17block_load_methodE3ELS4_3ELS4_3ELNS0_20block_scan_algorithmE0ELj4294967295EEENS1_25partition_config_selectorILNS1_17partition_subalgoE3EjNS0_10empty_typeEbEEZZNS1_14partition_implILS8_3ELb0ES6_jNS0_17counting_iteratorIjlEEPS9_SE_NS0_5tupleIJPjSE_EEENSF_IJSE_SE_EEES9_SG_JZNS1_25segmented_radix_sort_implINS0_14default_configELb1EPK12hip_bfloat16PSL_PKlPlN2at6native12_GLOBAL__N_18offset_tEEE10hipError_tPvRmT1_PNSt15iterator_traitsISZ_E10value_typeET2_T3_PNS10_IS15_E10value_typeET4_jRbjT5_S1B_jjP12ihipStream_tbEUljE_EEESW_SX_SY_S15_S19_S1B_T6_T7_T9_mT8_S1D_bDpT10_ENKUlT_T0_E_clISt17integral_constantIbLb0EES1Q_EEDaS1L_S1M_EUlS1L_E_NS1_11comp_targetILNS1_3genE3ELNS1_11target_archE908ELNS1_3gpuE7ELNS1_3repE0EEENS1_30default_config_static_selectorELNS0_4arch9wavefront6targetE0EEEvSZ_,comdat
	.globl	_ZN7rocprim17ROCPRIM_400000_NS6detail17trampoline_kernelINS0_13select_configILj256ELj13ELNS0_17block_load_methodE3ELS4_3ELS4_3ELNS0_20block_scan_algorithmE0ELj4294967295EEENS1_25partition_config_selectorILNS1_17partition_subalgoE3EjNS0_10empty_typeEbEEZZNS1_14partition_implILS8_3ELb0ES6_jNS0_17counting_iteratorIjlEEPS9_SE_NS0_5tupleIJPjSE_EEENSF_IJSE_SE_EEES9_SG_JZNS1_25segmented_radix_sort_implINS0_14default_configELb1EPK12hip_bfloat16PSL_PKlPlN2at6native12_GLOBAL__N_18offset_tEEE10hipError_tPvRmT1_PNSt15iterator_traitsISZ_E10value_typeET2_T3_PNS10_IS15_E10value_typeET4_jRbjT5_S1B_jjP12ihipStream_tbEUljE_EEESW_SX_SY_S15_S19_S1B_T6_T7_T9_mT8_S1D_bDpT10_ENKUlT_T0_E_clISt17integral_constantIbLb0EES1Q_EEDaS1L_S1M_EUlS1L_E_NS1_11comp_targetILNS1_3genE3ELNS1_11target_archE908ELNS1_3gpuE7ELNS1_3repE0EEENS1_30default_config_static_selectorELNS0_4arch9wavefront6targetE0EEEvSZ_ ; -- Begin function _ZN7rocprim17ROCPRIM_400000_NS6detail17trampoline_kernelINS0_13select_configILj256ELj13ELNS0_17block_load_methodE3ELS4_3ELS4_3ELNS0_20block_scan_algorithmE0ELj4294967295EEENS1_25partition_config_selectorILNS1_17partition_subalgoE3EjNS0_10empty_typeEbEEZZNS1_14partition_implILS8_3ELb0ES6_jNS0_17counting_iteratorIjlEEPS9_SE_NS0_5tupleIJPjSE_EEENSF_IJSE_SE_EEES9_SG_JZNS1_25segmented_radix_sort_implINS0_14default_configELb1EPK12hip_bfloat16PSL_PKlPlN2at6native12_GLOBAL__N_18offset_tEEE10hipError_tPvRmT1_PNSt15iterator_traitsISZ_E10value_typeET2_T3_PNS10_IS15_E10value_typeET4_jRbjT5_S1B_jjP12ihipStream_tbEUljE_EEESW_SX_SY_S15_S19_S1B_T6_T7_T9_mT8_S1D_bDpT10_ENKUlT_T0_E_clISt17integral_constantIbLb0EES1Q_EEDaS1L_S1M_EUlS1L_E_NS1_11comp_targetILNS1_3genE3ELNS1_11target_archE908ELNS1_3gpuE7ELNS1_3repE0EEENS1_30default_config_static_selectorELNS0_4arch9wavefront6targetE0EEEvSZ_
	.p2align	8
	.type	_ZN7rocprim17ROCPRIM_400000_NS6detail17trampoline_kernelINS0_13select_configILj256ELj13ELNS0_17block_load_methodE3ELS4_3ELS4_3ELNS0_20block_scan_algorithmE0ELj4294967295EEENS1_25partition_config_selectorILNS1_17partition_subalgoE3EjNS0_10empty_typeEbEEZZNS1_14partition_implILS8_3ELb0ES6_jNS0_17counting_iteratorIjlEEPS9_SE_NS0_5tupleIJPjSE_EEENSF_IJSE_SE_EEES9_SG_JZNS1_25segmented_radix_sort_implINS0_14default_configELb1EPK12hip_bfloat16PSL_PKlPlN2at6native12_GLOBAL__N_18offset_tEEE10hipError_tPvRmT1_PNSt15iterator_traitsISZ_E10value_typeET2_T3_PNS10_IS15_E10value_typeET4_jRbjT5_S1B_jjP12ihipStream_tbEUljE_EEESW_SX_SY_S15_S19_S1B_T6_T7_T9_mT8_S1D_bDpT10_ENKUlT_T0_E_clISt17integral_constantIbLb0EES1Q_EEDaS1L_S1M_EUlS1L_E_NS1_11comp_targetILNS1_3genE3ELNS1_11target_archE908ELNS1_3gpuE7ELNS1_3repE0EEENS1_30default_config_static_selectorELNS0_4arch9wavefront6targetE0EEEvSZ_,@function
_ZN7rocprim17ROCPRIM_400000_NS6detail17trampoline_kernelINS0_13select_configILj256ELj13ELNS0_17block_load_methodE3ELS4_3ELS4_3ELNS0_20block_scan_algorithmE0ELj4294967295EEENS1_25partition_config_selectorILNS1_17partition_subalgoE3EjNS0_10empty_typeEbEEZZNS1_14partition_implILS8_3ELb0ES6_jNS0_17counting_iteratorIjlEEPS9_SE_NS0_5tupleIJPjSE_EEENSF_IJSE_SE_EEES9_SG_JZNS1_25segmented_radix_sort_implINS0_14default_configELb1EPK12hip_bfloat16PSL_PKlPlN2at6native12_GLOBAL__N_18offset_tEEE10hipError_tPvRmT1_PNSt15iterator_traitsISZ_E10value_typeET2_T3_PNS10_IS15_E10value_typeET4_jRbjT5_S1B_jjP12ihipStream_tbEUljE_EEESW_SX_SY_S15_S19_S1B_T6_T7_T9_mT8_S1D_bDpT10_ENKUlT_T0_E_clISt17integral_constantIbLb0EES1Q_EEDaS1L_S1M_EUlS1L_E_NS1_11comp_targetILNS1_3genE3ELNS1_11target_archE908ELNS1_3gpuE7ELNS1_3repE0EEENS1_30default_config_static_selectorELNS0_4arch9wavefront6targetE0EEEvSZ_: ; @_ZN7rocprim17ROCPRIM_400000_NS6detail17trampoline_kernelINS0_13select_configILj256ELj13ELNS0_17block_load_methodE3ELS4_3ELS4_3ELNS0_20block_scan_algorithmE0ELj4294967295EEENS1_25partition_config_selectorILNS1_17partition_subalgoE3EjNS0_10empty_typeEbEEZZNS1_14partition_implILS8_3ELb0ES6_jNS0_17counting_iteratorIjlEEPS9_SE_NS0_5tupleIJPjSE_EEENSF_IJSE_SE_EEES9_SG_JZNS1_25segmented_radix_sort_implINS0_14default_configELb1EPK12hip_bfloat16PSL_PKlPlN2at6native12_GLOBAL__N_18offset_tEEE10hipError_tPvRmT1_PNSt15iterator_traitsISZ_E10value_typeET2_T3_PNS10_IS15_E10value_typeET4_jRbjT5_S1B_jjP12ihipStream_tbEUljE_EEESW_SX_SY_S15_S19_S1B_T6_T7_T9_mT8_S1D_bDpT10_ENKUlT_T0_E_clISt17integral_constantIbLb0EES1Q_EEDaS1L_S1M_EUlS1L_E_NS1_11comp_targetILNS1_3genE3ELNS1_11target_archE908ELNS1_3gpuE7ELNS1_3repE0EEENS1_30default_config_static_selectorELNS0_4arch9wavefront6targetE0EEEvSZ_
; %bb.0:
	.section	.rodata,"a",@progbits
	.p2align	6, 0x0
	.amdhsa_kernel _ZN7rocprim17ROCPRIM_400000_NS6detail17trampoline_kernelINS0_13select_configILj256ELj13ELNS0_17block_load_methodE3ELS4_3ELS4_3ELNS0_20block_scan_algorithmE0ELj4294967295EEENS1_25partition_config_selectorILNS1_17partition_subalgoE3EjNS0_10empty_typeEbEEZZNS1_14partition_implILS8_3ELb0ES6_jNS0_17counting_iteratorIjlEEPS9_SE_NS0_5tupleIJPjSE_EEENSF_IJSE_SE_EEES9_SG_JZNS1_25segmented_radix_sort_implINS0_14default_configELb1EPK12hip_bfloat16PSL_PKlPlN2at6native12_GLOBAL__N_18offset_tEEE10hipError_tPvRmT1_PNSt15iterator_traitsISZ_E10value_typeET2_T3_PNS10_IS15_E10value_typeET4_jRbjT5_S1B_jjP12ihipStream_tbEUljE_EEESW_SX_SY_S15_S19_S1B_T6_T7_T9_mT8_S1D_bDpT10_ENKUlT_T0_E_clISt17integral_constantIbLb0EES1Q_EEDaS1L_S1M_EUlS1L_E_NS1_11comp_targetILNS1_3genE3ELNS1_11target_archE908ELNS1_3gpuE7ELNS1_3repE0EEENS1_30default_config_static_selectorELNS0_4arch9wavefront6targetE0EEEvSZ_
		.amdhsa_group_segment_fixed_size 0
		.amdhsa_private_segment_fixed_size 0
		.amdhsa_kernarg_size 144
		.amdhsa_user_sgpr_count 6
		.amdhsa_user_sgpr_private_segment_buffer 1
		.amdhsa_user_sgpr_dispatch_ptr 0
		.amdhsa_user_sgpr_queue_ptr 0
		.amdhsa_user_sgpr_kernarg_segment_ptr 1
		.amdhsa_user_sgpr_dispatch_id 0
		.amdhsa_user_sgpr_flat_scratch_init 0
		.amdhsa_user_sgpr_private_segment_size 0
		.amdhsa_wavefront_size32 1
		.amdhsa_uses_dynamic_stack 0
		.amdhsa_system_sgpr_private_segment_wavefront_offset 0
		.amdhsa_system_sgpr_workgroup_id_x 1
		.amdhsa_system_sgpr_workgroup_id_y 0
		.amdhsa_system_sgpr_workgroup_id_z 0
		.amdhsa_system_sgpr_workgroup_info 0
		.amdhsa_system_vgpr_workitem_id 0
		.amdhsa_next_free_vgpr 1
		.amdhsa_next_free_sgpr 1
		.amdhsa_reserve_vcc 0
		.amdhsa_reserve_flat_scratch 0
		.amdhsa_float_round_mode_32 0
		.amdhsa_float_round_mode_16_64 0
		.amdhsa_float_denorm_mode_32 3
		.amdhsa_float_denorm_mode_16_64 3
		.amdhsa_dx10_clamp 1
		.amdhsa_ieee_mode 1
		.amdhsa_fp16_overflow 0
		.amdhsa_workgroup_processor_mode 1
		.amdhsa_memory_ordered 1
		.amdhsa_forward_progress 1
		.amdhsa_shared_vgpr_count 0
		.amdhsa_exception_fp_ieee_invalid_op 0
		.amdhsa_exception_fp_denorm_src 0
		.amdhsa_exception_fp_ieee_div_zero 0
		.amdhsa_exception_fp_ieee_overflow 0
		.amdhsa_exception_fp_ieee_underflow 0
		.amdhsa_exception_fp_ieee_inexact 0
		.amdhsa_exception_int_div_zero 0
	.end_amdhsa_kernel
	.section	.text._ZN7rocprim17ROCPRIM_400000_NS6detail17trampoline_kernelINS0_13select_configILj256ELj13ELNS0_17block_load_methodE3ELS4_3ELS4_3ELNS0_20block_scan_algorithmE0ELj4294967295EEENS1_25partition_config_selectorILNS1_17partition_subalgoE3EjNS0_10empty_typeEbEEZZNS1_14partition_implILS8_3ELb0ES6_jNS0_17counting_iteratorIjlEEPS9_SE_NS0_5tupleIJPjSE_EEENSF_IJSE_SE_EEES9_SG_JZNS1_25segmented_radix_sort_implINS0_14default_configELb1EPK12hip_bfloat16PSL_PKlPlN2at6native12_GLOBAL__N_18offset_tEEE10hipError_tPvRmT1_PNSt15iterator_traitsISZ_E10value_typeET2_T3_PNS10_IS15_E10value_typeET4_jRbjT5_S1B_jjP12ihipStream_tbEUljE_EEESW_SX_SY_S15_S19_S1B_T6_T7_T9_mT8_S1D_bDpT10_ENKUlT_T0_E_clISt17integral_constantIbLb0EES1Q_EEDaS1L_S1M_EUlS1L_E_NS1_11comp_targetILNS1_3genE3ELNS1_11target_archE908ELNS1_3gpuE7ELNS1_3repE0EEENS1_30default_config_static_selectorELNS0_4arch9wavefront6targetE0EEEvSZ_,"axG",@progbits,_ZN7rocprim17ROCPRIM_400000_NS6detail17trampoline_kernelINS0_13select_configILj256ELj13ELNS0_17block_load_methodE3ELS4_3ELS4_3ELNS0_20block_scan_algorithmE0ELj4294967295EEENS1_25partition_config_selectorILNS1_17partition_subalgoE3EjNS0_10empty_typeEbEEZZNS1_14partition_implILS8_3ELb0ES6_jNS0_17counting_iteratorIjlEEPS9_SE_NS0_5tupleIJPjSE_EEENSF_IJSE_SE_EEES9_SG_JZNS1_25segmented_radix_sort_implINS0_14default_configELb1EPK12hip_bfloat16PSL_PKlPlN2at6native12_GLOBAL__N_18offset_tEEE10hipError_tPvRmT1_PNSt15iterator_traitsISZ_E10value_typeET2_T3_PNS10_IS15_E10value_typeET4_jRbjT5_S1B_jjP12ihipStream_tbEUljE_EEESW_SX_SY_S15_S19_S1B_T6_T7_T9_mT8_S1D_bDpT10_ENKUlT_T0_E_clISt17integral_constantIbLb0EES1Q_EEDaS1L_S1M_EUlS1L_E_NS1_11comp_targetILNS1_3genE3ELNS1_11target_archE908ELNS1_3gpuE7ELNS1_3repE0EEENS1_30default_config_static_selectorELNS0_4arch9wavefront6targetE0EEEvSZ_,comdat
.Lfunc_end1907:
	.size	_ZN7rocprim17ROCPRIM_400000_NS6detail17trampoline_kernelINS0_13select_configILj256ELj13ELNS0_17block_load_methodE3ELS4_3ELS4_3ELNS0_20block_scan_algorithmE0ELj4294967295EEENS1_25partition_config_selectorILNS1_17partition_subalgoE3EjNS0_10empty_typeEbEEZZNS1_14partition_implILS8_3ELb0ES6_jNS0_17counting_iteratorIjlEEPS9_SE_NS0_5tupleIJPjSE_EEENSF_IJSE_SE_EEES9_SG_JZNS1_25segmented_radix_sort_implINS0_14default_configELb1EPK12hip_bfloat16PSL_PKlPlN2at6native12_GLOBAL__N_18offset_tEEE10hipError_tPvRmT1_PNSt15iterator_traitsISZ_E10value_typeET2_T3_PNS10_IS15_E10value_typeET4_jRbjT5_S1B_jjP12ihipStream_tbEUljE_EEESW_SX_SY_S15_S19_S1B_T6_T7_T9_mT8_S1D_bDpT10_ENKUlT_T0_E_clISt17integral_constantIbLb0EES1Q_EEDaS1L_S1M_EUlS1L_E_NS1_11comp_targetILNS1_3genE3ELNS1_11target_archE908ELNS1_3gpuE7ELNS1_3repE0EEENS1_30default_config_static_selectorELNS0_4arch9wavefront6targetE0EEEvSZ_, .Lfunc_end1907-_ZN7rocprim17ROCPRIM_400000_NS6detail17trampoline_kernelINS0_13select_configILj256ELj13ELNS0_17block_load_methodE3ELS4_3ELS4_3ELNS0_20block_scan_algorithmE0ELj4294967295EEENS1_25partition_config_selectorILNS1_17partition_subalgoE3EjNS0_10empty_typeEbEEZZNS1_14partition_implILS8_3ELb0ES6_jNS0_17counting_iteratorIjlEEPS9_SE_NS0_5tupleIJPjSE_EEENSF_IJSE_SE_EEES9_SG_JZNS1_25segmented_radix_sort_implINS0_14default_configELb1EPK12hip_bfloat16PSL_PKlPlN2at6native12_GLOBAL__N_18offset_tEEE10hipError_tPvRmT1_PNSt15iterator_traitsISZ_E10value_typeET2_T3_PNS10_IS15_E10value_typeET4_jRbjT5_S1B_jjP12ihipStream_tbEUljE_EEESW_SX_SY_S15_S19_S1B_T6_T7_T9_mT8_S1D_bDpT10_ENKUlT_T0_E_clISt17integral_constantIbLb0EES1Q_EEDaS1L_S1M_EUlS1L_E_NS1_11comp_targetILNS1_3genE3ELNS1_11target_archE908ELNS1_3gpuE7ELNS1_3repE0EEENS1_30default_config_static_selectorELNS0_4arch9wavefront6targetE0EEEvSZ_
                                        ; -- End function
	.set _ZN7rocprim17ROCPRIM_400000_NS6detail17trampoline_kernelINS0_13select_configILj256ELj13ELNS0_17block_load_methodE3ELS4_3ELS4_3ELNS0_20block_scan_algorithmE0ELj4294967295EEENS1_25partition_config_selectorILNS1_17partition_subalgoE3EjNS0_10empty_typeEbEEZZNS1_14partition_implILS8_3ELb0ES6_jNS0_17counting_iteratorIjlEEPS9_SE_NS0_5tupleIJPjSE_EEENSF_IJSE_SE_EEES9_SG_JZNS1_25segmented_radix_sort_implINS0_14default_configELb1EPK12hip_bfloat16PSL_PKlPlN2at6native12_GLOBAL__N_18offset_tEEE10hipError_tPvRmT1_PNSt15iterator_traitsISZ_E10value_typeET2_T3_PNS10_IS15_E10value_typeET4_jRbjT5_S1B_jjP12ihipStream_tbEUljE_EEESW_SX_SY_S15_S19_S1B_T6_T7_T9_mT8_S1D_bDpT10_ENKUlT_T0_E_clISt17integral_constantIbLb0EES1Q_EEDaS1L_S1M_EUlS1L_E_NS1_11comp_targetILNS1_3genE3ELNS1_11target_archE908ELNS1_3gpuE7ELNS1_3repE0EEENS1_30default_config_static_selectorELNS0_4arch9wavefront6targetE0EEEvSZ_.num_vgpr, 0
	.set _ZN7rocprim17ROCPRIM_400000_NS6detail17trampoline_kernelINS0_13select_configILj256ELj13ELNS0_17block_load_methodE3ELS4_3ELS4_3ELNS0_20block_scan_algorithmE0ELj4294967295EEENS1_25partition_config_selectorILNS1_17partition_subalgoE3EjNS0_10empty_typeEbEEZZNS1_14partition_implILS8_3ELb0ES6_jNS0_17counting_iteratorIjlEEPS9_SE_NS0_5tupleIJPjSE_EEENSF_IJSE_SE_EEES9_SG_JZNS1_25segmented_radix_sort_implINS0_14default_configELb1EPK12hip_bfloat16PSL_PKlPlN2at6native12_GLOBAL__N_18offset_tEEE10hipError_tPvRmT1_PNSt15iterator_traitsISZ_E10value_typeET2_T3_PNS10_IS15_E10value_typeET4_jRbjT5_S1B_jjP12ihipStream_tbEUljE_EEESW_SX_SY_S15_S19_S1B_T6_T7_T9_mT8_S1D_bDpT10_ENKUlT_T0_E_clISt17integral_constantIbLb0EES1Q_EEDaS1L_S1M_EUlS1L_E_NS1_11comp_targetILNS1_3genE3ELNS1_11target_archE908ELNS1_3gpuE7ELNS1_3repE0EEENS1_30default_config_static_selectorELNS0_4arch9wavefront6targetE0EEEvSZ_.num_agpr, 0
	.set _ZN7rocprim17ROCPRIM_400000_NS6detail17trampoline_kernelINS0_13select_configILj256ELj13ELNS0_17block_load_methodE3ELS4_3ELS4_3ELNS0_20block_scan_algorithmE0ELj4294967295EEENS1_25partition_config_selectorILNS1_17partition_subalgoE3EjNS0_10empty_typeEbEEZZNS1_14partition_implILS8_3ELb0ES6_jNS0_17counting_iteratorIjlEEPS9_SE_NS0_5tupleIJPjSE_EEENSF_IJSE_SE_EEES9_SG_JZNS1_25segmented_radix_sort_implINS0_14default_configELb1EPK12hip_bfloat16PSL_PKlPlN2at6native12_GLOBAL__N_18offset_tEEE10hipError_tPvRmT1_PNSt15iterator_traitsISZ_E10value_typeET2_T3_PNS10_IS15_E10value_typeET4_jRbjT5_S1B_jjP12ihipStream_tbEUljE_EEESW_SX_SY_S15_S19_S1B_T6_T7_T9_mT8_S1D_bDpT10_ENKUlT_T0_E_clISt17integral_constantIbLb0EES1Q_EEDaS1L_S1M_EUlS1L_E_NS1_11comp_targetILNS1_3genE3ELNS1_11target_archE908ELNS1_3gpuE7ELNS1_3repE0EEENS1_30default_config_static_selectorELNS0_4arch9wavefront6targetE0EEEvSZ_.numbered_sgpr, 0
	.set _ZN7rocprim17ROCPRIM_400000_NS6detail17trampoline_kernelINS0_13select_configILj256ELj13ELNS0_17block_load_methodE3ELS4_3ELS4_3ELNS0_20block_scan_algorithmE0ELj4294967295EEENS1_25partition_config_selectorILNS1_17partition_subalgoE3EjNS0_10empty_typeEbEEZZNS1_14partition_implILS8_3ELb0ES6_jNS0_17counting_iteratorIjlEEPS9_SE_NS0_5tupleIJPjSE_EEENSF_IJSE_SE_EEES9_SG_JZNS1_25segmented_radix_sort_implINS0_14default_configELb1EPK12hip_bfloat16PSL_PKlPlN2at6native12_GLOBAL__N_18offset_tEEE10hipError_tPvRmT1_PNSt15iterator_traitsISZ_E10value_typeET2_T3_PNS10_IS15_E10value_typeET4_jRbjT5_S1B_jjP12ihipStream_tbEUljE_EEESW_SX_SY_S15_S19_S1B_T6_T7_T9_mT8_S1D_bDpT10_ENKUlT_T0_E_clISt17integral_constantIbLb0EES1Q_EEDaS1L_S1M_EUlS1L_E_NS1_11comp_targetILNS1_3genE3ELNS1_11target_archE908ELNS1_3gpuE7ELNS1_3repE0EEENS1_30default_config_static_selectorELNS0_4arch9wavefront6targetE0EEEvSZ_.num_named_barrier, 0
	.set _ZN7rocprim17ROCPRIM_400000_NS6detail17trampoline_kernelINS0_13select_configILj256ELj13ELNS0_17block_load_methodE3ELS4_3ELS4_3ELNS0_20block_scan_algorithmE0ELj4294967295EEENS1_25partition_config_selectorILNS1_17partition_subalgoE3EjNS0_10empty_typeEbEEZZNS1_14partition_implILS8_3ELb0ES6_jNS0_17counting_iteratorIjlEEPS9_SE_NS0_5tupleIJPjSE_EEENSF_IJSE_SE_EEES9_SG_JZNS1_25segmented_radix_sort_implINS0_14default_configELb1EPK12hip_bfloat16PSL_PKlPlN2at6native12_GLOBAL__N_18offset_tEEE10hipError_tPvRmT1_PNSt15iterator_traitsISZ_E10value_typeET2_T3_PNS10_IS15_E10value_typeET4_jRbjT5_S1B_jjP12ihipStream_tbEUljE_EEESW_SX_SY_S15_S19_S1B_T6_T7_T9_mT8_S1D_bDpT10_ENKUlT_T0_E_clISt17integral_constantIbLb0EES1Q_EEDaS1L_S1M_EUlS1L_E_NS1_11comp_targetILNS1_3genE3ELNS1_11target_archE908ELNS1_3gpuE7ELNS1_3repE0EEENS1_30default_config_static_selectorELNS0_4arch9wavefront6targetE0EEEvSZ_.private_seg_size, 0
	.set _ZN7rocprim17ROCPRIM_400000_NS6detail17trampoline_kernelINS0_13select_configILj256ELj13ELNS0_17block_load_methodE3ELS4_3ELS4_3ELNS0_20block_scan_algorithmE0ELj4294967295EEENS1_25partition_config_selectorILNS1_17partition_subalgoE3EjNS0_10empty_typeEbEEZZNS1_14partition_implILS8_3ELb0ES6_jNS0_17counting_iteratorIjlEEPS9_SE_NS0_5tupleIJPjSE_EEENSF_IJSE_SE_EEES9_SG_JZNS1_25segmented_radix_sort_implINS0_14default_configELb1EPK12hip_bfloat16PSL_PKlPlN2at6native12_GLOBAL__N_18offset_tEEE10hipError_tPvRmT1_PNSt15iterator_traitsISZ_E10value_typeET2_T3_PNS10_IS15_E10value_typeET4_jRbjT5_S1B_jjP12ihipStream_tbEUljE_EEESW_SX_SY_S15_S19_S1B_T6_T7_T9_mT8_S1D_bDpT10_ENKUlT_T0_E_clISt17integral_constantIbLb0EES1Q_EEDaS1L_S1M_EUlS1L_E_NS1_11comp_targetILNS1_3genE3ELNS1_11target_archE908ELNS1_3gpuE7ELNS1_3repE0EEENS1_30default_config_static_selectorELNS0_4arch9wavefront6targetE0EEEvSZ_.uses_vcc, 0
	.set _ZN7rocprim17ROCPRIM_400000_NS6detail17trampoline_kernelINS0_13select_configILj256ELj13ELNS0_17block_load_methodE3ELS4_3ELS4_3ELNS0_20block_scan_algorithmE0ELj4294967295EEENS1_25partition_config_selectorILNS1_17partition_subalgoE3EjNS0_10empty_typeEbEEZZNS1_14partition_implILS8_3ELb0ES6_jNS0_17counting_iteratorIjlEEPS9_SE_NS0_5tupleIJPjSE_EEENSF_IJSE_SE_EEES9_SG_JZNS1_25segmented_radix_sort_implINS0_14default_configELb1EPK12hip_bfloat16PSL_PKlPlN2at6native12_GLOBAL__N_18offset_tEEE10hipError_tPvRmT1_PNSt15iterator_traitsISZ_E10value_typeET2_T3_PNS10_IS15_E10value_typeET4_jRbjT5_S1B_jjP12ihipStream_tbEUljE_EEESW_SX_SY_S15_S19_S1B_T6_T7_T9_mT8_S1D_bDpT10_ENKUlT_T0_E_clISt17integral_constantIbLb0EES1Q_EEDaS1L_S1M_EUlS1L_E_NS1_11comp_targetILNS1_3genE3ELNS1_11target_archE908ELNS1_3gpuE7ELNS1_3repE0EEENS1_30default_config_static_selectorELNS0_4arch9wavefront6targetE0EEEvSZ_.uses_flat_scratch, 0
	.set _ZN7rocprim17ROCPRIM_400000_NS6detail17trampoline_kernelINS0_13select_configILj256ELj13ELNS0_17block_load_methodE3ELS4_3ELS4_3ELNS0_20block_scan_algorithmE0ELj4294967295EEENS1_25partition_config_selectorILNS1_17partition_subalgoE3EjNS0_10empty_typeEbEEZZNS1_14partition_implILS8_3ELb0ES6_jNS0_17counting_iteratorIjlEEPS9_SE_NS0_5tupleIJPjSE_EEENSF_IJSE_SE_EEES9_SG_JZNS1_25segmented_radix_sort_implINS0_14default_configELb1EPK12hip_bfloat16PSL_PKlPlN2at6native12_GLOBAL__N_18offset_tEEE10hipError_tPvRmT1_PNSt15iterator_traitsISZ_E10value_typeET2_T3_PNS10_IS15_E10value_typeET4_jRbjT5_S1B_jjP12ihipStream_tbEUljE_EEESW_SX_SY_S15_S19_S1B_T6_T7_T9_mT8_S1D_bDpT10_ENKUlT_T0_E_clISt17integral_constantIbLb0EES1Q_EEDaS1L_S1M_EUlS1L_E_NS1_11comp_targetILNS1_3genE3ELNS1_11target_archE908ELNS1_3gpuE7ELNS1_3repE0EEENS1_30default_config_static_selectorELNS0_4arch9wavefront6targetE0EEEvSZ_.has_dyn_sized_stack, 0
	.set _ZN7rocprim17ROCPRIM_400000_NS6detail17trampoline_kernelINS0_13select_configILj256ELj13ELNS0_17block_load_methodE3ELS4_3ELS4_3ELNS0_20block_scan_algorithmE0ELj4294967295EEENS1_25partition_config_selectorILNS1_17partition_subalgoE3EjNS0_10empty_typeEbEEZZNS1_14partition_implILS8_3ELb0ES6_jNS0_17counting_iteratorIjlEEPS9_SE_NS0_5tupleIJPjSE_EEENSF_IJSE_SE_EEES9_SG_JZNS1_25segmented_radix_sort_implINS0_14default_configELb1EPK12hip_bfloat16PSL_PKlPlN2at6native12_GLOBAL__N_18offset_tEEE10hipError_tPvRmT1_PNSt15iterator_traitsISZ_E10value_typeET2_T3_PNS10_IS15_E10value_typeET4_jRbjT5_S1B_jjP12ihipStream_tbEUljE_EEESW_SX_SY_S15_S19_S1B_T6_T7_T9_mT8_S1D_bDpT10_ENKUlT_T0_E_clISt17integral_constantIbLb0EES1Q_EEDaS1L_S1M_EUlS1L_E_NS1_11comp_targetILNS1_3genE3ELNS1_11target_archE908ELNS1_3gpuE7ELNS1_3repE0EEENS1_30default_config_static_selectorELNS0_4arch9wavefront6targetE0EEEvSZ_.has_recursion, 0
	.set _ZN7rocprim17ROCPRIM_400000_NS6detail17trampoline_kernelINS0_13select_configILj256ELj13ELNS0_17block_load_methodE3ELS4_3ELS4_3ELNS0_20block_scan_algorithmE0ELj4294967295EEENS1_25partition_config_selectorILNS1_17partition_subalgoE3EjNS0_10empty_typeEbEEZZNS1_14partition_implILS8_3ELb0ES6_jNS0_17counting_iteratorIjlEEPS9_SE_NS0_5tupleIJPjSE_EEENSF_IJSE_SE_EEES9_SG_JZNS1_25segmented_radix_sort_implINS0_14default_configELb1EPK12hip_bfloat16PSL_PKlPlN2at6native12_GLOBAL__N_18offset_tEEE10hipError_tPvRmT1_PNSt15iterator_traitsISZ_E10value_typeET2_T3_PNS10_IS15_E10value_typeET4_jRbjT5_S1B_jjP12ihipStream_tbEUljE_EEESW_SX_SY_S15_S19_S1B_T6_T7_T9_mT8_S1D_bDpT10_ENKUlT_T0_E_clISt17integral_constantIbLb0EES1Q_EEDaS1L_S1M_EUlS1L_E_NS1_11comp_targetILNS1_3genE3ELNS1_11target_archE908ELNS1_3gpuE7ELNS1_3repE0EEENS1_30default_config_static_selectorELNS0_4arch9wavefront6targetE0EEEvSZ_.has_indirect_call, 0
	.section	.AMDGPU.csdata,"",@progbits
; Kernel info:
; codeLenInByte = 0
; TotalNumSgprs: 0
; NumVgprs: 0
; ScratchSize: 0
; MemoryBound: 0
; FloatMode: 240
; IeeeMode: 1
; LDSByteSize: 0 bytes/workgroup (compile time only)
; SGPRBlocks: 0
; VGPRBlocks: 0
; NumSGPRsForWavesPerEU: 1
; NumVGPRsForWavesPerEU: 1
; Occupancy: 16
; WaveLimiterHint : 0
; COMPUTE_PGM_RSRC2:SCRATCH_EN: 0
; COMPUTE_PGM_RSRC2:USER_SGPR: 6
; COMPUTE_PGM_RSRC2:TRAP_HANDLER: 0
; COMPUTE_PGM_RSRC2:TGID_X_EN: 1
; COMPUTE_PGM_RSRC2:TGID_Y_EN: 0
; COMPUTE_PGM_RSRC2:TGID_Z_EN: 0
; COMPUTE_PGM_RSRC2:TIDIG_COMP_CNT: 0
	.section	.text._ZN7rocprim17ROCPRIM_400000_NS6detail17trampoline_kernelINS0_13select_configILj256ELj13ELNS0_17block_load_methodE3ELS4_3ELS4_3ELNS0_20block_scan_algorithmE0ELj4294967295EEENS1_25partition_config_selectorILNS1_17partition_subalgoE3EjNS0_10empty_typeEbEEZZNS1_14partition_implILS8_3ELb0ES6_jNS0_17counting_iteratorIjlEEPS9_SE_NS0_5tupleIJPjSE_EEENSF_IJSE_SE_EEES9_SG_JZNS1_25segmented_radix_sort_implINS0_14default_configELb1EPK12hip_bfloat16PSL_PKlPlN2at6native12_GLOBAL__N_18offset_tEEE10hipError_tPvRmT1_PNSt15iterator_traitsISZ_E10value_typeET2_T3_PNS10_IS15_E10value_typeET4_jRbjT5_S1B_jjP12ihipStream_tbEUljE_EEESW_SX_SY_S15_S19_S1B_T6_T7_T9_mT8_S1D_bDpT10_ENKUlT_T0_E_clISt17integral_constantIbLb0EES1Q_EEDaS1L_S1M_EUlS1L_E_NS1_11comp_targetILNS1_3genE2ELNS1_11target_archE906ELNS1_3gpuE6ELNS1_3repE0EEENS1_30default_config_static_selectorELNS0_4arch9wavefront6targetE0EEEvSZ_,"axG",@progbits,_ZN7rocprim17ROCPRIM_400000_NS6detail17trampoline_kernelINS0_13select_configILj256ELj13ELNS0_17block_load_methodE3ELS4_3ELS4_3ELNS0_20block_scan_algorithmE0ELj4294967295EEENS1_25partition_config_selectorILNS1_17partition_subalgoE3EjNS0_10empty_typeEbEEZZNS1_14partition_implILS8_3ELb0ES6_jNS0_17counting_iteratorIjlEEPS9_SE_NS0_5tupleIJPjSE_EEENSF_IJSE_SE_EEES9_SG_JZNS1_25segmented_radix_sort_implINS0_14default_configELb1EPK12hip_bfloat16PSL_PKlPlN2at6native12_GLOBAL__N_18offset_tEEE10hipError_tPvRmT1_PNSt15iterator_traitsISZ_E10value_typeET2_T3_PNS10_IS15_E10value_typeET4_jRbjT5_S1B_jjP12ihipStream_tbEUljE_EEESW_SX_SY_S15_S19_S1B_T6_T7_T9_mT8_S1D_bDpT10_ENKUlT_T0_E_clISt17integral_constantIbLb0EES1Q_EEDaS1L_S1M_EUlS1L_E_NS1_11comp_targetILNS1_3genE2ELNS1_11target_archE906ELNS1_3gpuE6ELNS1_3repE0EEENS1_30default_config_static_selectorELNS0_4arch9wavefront6targetE0EEEvSZ_,comdat
	.globl	_ZN7rocprim17ROCPRIM_400000_NS6detail17trampoline_kernelINS0_13select_configILj256ELj13ELNS0_17block_load_methodE3ELS4_3ELS4_3ELNS0_20block_scan_algorithmE0ELj4294967295EEENS1_25partition_config_selectorILNS1_17partition_subalgoE3EjNS0_10empty_typeEbEEZZNS1_14partition_implILS8_3ELb0ES6_jNS0_17counting_iteratorIjlEEPS9_SE_NS0_5tupleIJPjSE_EEENSF_IJSE_SE_EEES9_SG_JZNS1_25segmented_radix_sort_implINS0_14default_configELb1EPK12hip_bfloat16PSL_PKlPlN2at6native12_GLOBAL__N_18offset_tEEE10hipError_tPvRmT1_PNSt15iterator_traitsISZ_E10value_typeET2_T3_PNS10_IS15_E10value_typeET4_jRbjT5_S1B_jjP12ihipStream_tbEUljE_EEESW_SX_SY_S15_S19_S1B_T6_T7_T9_mT8_S1D_bDpT10_ENKUlT_T0_E_clISt17integral_constantIbLb0EES1Q_EEDaS1L_S1M_EUlS1L_E_NS1_11comp_targetILNS1_3genE2ELNS1_11target_archE906ELNS1_3gpuE6ELNS1_3repE0EEENS1_30default_config_static_selectorELNS0_4arch9wavefront6targetE0EEEvSZ_ ; -- Begin function _ZN7rocprim17ROCPRIM_400000_NS6detail17trampoline_kernelINS0_13select_configILj256ELj13ELNS0_17block_load_methodE3ELS4_3ELS4_3ELNS0_20block_scan_algorithmE0ELj4294967295EEENS1_25partition_config_selectorILNS1_17partition_subalgoE3EjNS0_10empty_typeEbEEZZNS1_14partition_implILS8_3ELb0ES6_jNS0_17counting_iteratorIjlEEPS9_SE_NS0_5tupleIJPjSE_EEENSF_IJSE_SE_EEES9_SG_JZNS1_25segmented_radix_sort_implINS0_14default_configELb1EPK12hip_bfloat16PSL_PKlPlN2at6native12_GLOBAL__N_18offset_tEEE10hipError_tPvRmT1_PNSt15iterator_traitsISZ_E10value_typeET2_T3_PNS10_IS15_E10value_typeET4_jRbjT5_S1B_jjP12ihipStream_tbEUljE_EEESW_SX_SY_S15_S19_S1B_T6_T7_T9_mT8_S1D_bDpT10_ENKUlT_T0_E_clISt17integral_constantIbLb0EES1Q_EEDaS1L_S1M_EUlS1L_E_NS1_11comp_targetILNS1_3genE2ELNS1_11target_archE906ELNS1_3gpuE6ELNS1_3repE0EEENS1_30default_config_static_selectorELNS0_4arch9wavefront6targetE0EEEvSZ_
	.p2align	8
	.type	_ZN7rocprim17ROCPRIM_400000_NS6detail17trampoline_kernelINS0_13select_configILj256ELj13ELNS0_17block_load_methodE3ELS4_3ELS4_3ELNS0_20block_scan_algorithmE0ELj4294967295EEENS1_25partition_config_selectorILNS1_17partition_subalgoE3EjNS0_10empty_typeEbEEZZNS1_14partition_implILS8_3ELb0ES6_jNS0_17counting_iteratorIjlEEPS9_SE_NS0_5tupleIJPjSE_EEENSF_IJSE_SE_EEES9_SG_JZNS1_25segmented_radix_sort_implINS0_14default_configELb1EPK12hip_bfloat16PSL_PKlPlN2at6native12_GLOBAL__N_18offset_tEEE10hipError_tPvRmT1_PNSt15iterator_traitsISZ_E10value_typeET2_T3_PNS10_IS15_E10value_typeET4_jRbjT5_S1B_jjP12ihipStream_tbEUljE_EEESW_SX_SY_S15_S19_S1B_T6_T7_T9_mT8_S1D_bDpT10_ENKUlT_T0_E_clISt17integral_constantIbLb0EES1Q_EEDaS1L_S1M_EUlS1L_E_NS1_11comp_targetILNS1_3genE2ELNS1_11target_archE906ELNS1_3gpuE6ELNS1_3repE0EEENS1_30default_config_static_selectorELNS0_4arch9wavefront6targetE0EEEvSZ_,@function
_ZN7rocprim17ROCPRIM_400000_NS6detail17trampoline_kernelINS0_13select_configILj256ELj13ELNS0_17block_load_methodE3ELS4_3ELS4_3ELNS0_20block_scan_algorithmE0ELj4294967295EEENS1_25partition_config_selectorILNS1_17partition_subalgoE3EjNS0_10empty_typeEbEEZZNS1_14partition_implILS8_3ELb0ES6_jNS0_17counting_iteratorIjlEEPS9_SE_NS0_5tupleIJPjSE_EEENSF_IJSE_SE_EEES9_SG_JZNS1_25segmented_radix_sort_implINS0_14default_configELb1EPK12hip_bfloat16PSL_PKlPlN2at6native12_GLOBAL__N_18offset_tEEE10hipError_tPvRmT1_PNSt15iterator_traitsISZ_E10value_typeET2_T3_PNS10_IS15_E10value_typeET4_jRbjT5_S1B_jjP12ihipStream_tbEUljE_EEESW_SX_SY_S15_S19_S1B_T6_T7_T9_mT8_S1D_bDpT10_ENKUlT_T0_E_clISt17integral_constantIbLb0EES1Q_EEDaS1L_S1M_EUlS1L_E_NS1_11comp_targetILNS1_3genE2ELNS1_11target_archE906ELNS1_3gpuE6ELNS1_3repE0EEENS1_30default_config_static_selectorELNS0_4arch9wavefront6targetE0EEEvSZ_: ; @_ZN7rocprim17ROCPRIM_400000_NS6detail17trampoline_kernelINS0_13select_configILj256ELj13ELNS0_17block_load_methodE3ELS4_3ELS4_3ELNS0_20block_scan_algorithmE0ELj4294967295EEENS1_25partition_config_selectorILNS1_17partition_subalgoE3EjNS0_10empty_typeEbEEZZNS1_14partition_implILS8_3ELb0ES6_jNS0_17counting_iteratorIjlEEPS9_SE_NS0_5tupleIJPjSE_EEENSF_IJSE_SE_EEES9_SG_JZNS1_25segmented_radix_sort_implINS0_14default_configELb1EPK12hip_bfloat16PSL_PKlPlN2at6native12_GLOBAL__N_18offset_tEEE10hipError_tPvRmT1_PNSt15iterator_traitsISZ_E10value_typeET2_T3_PNS10_IS15_E10value_typeET4_jRbjT5_S1B_jjP12ihipStream_tbEUljE_EEESW_SX_SY_S15_S19_S1B_T6_T7_T9_mT8_S1D_bDpT10_ENKUlT_T0_E_clISt17integral_constantIbLb0EES1Q_EEDaS1L_S1M_EUlS1L_E_NS1_11comp_targetILNS1_3genE2ELNS1_11target_archE906ELNS1_3gpuE6ELNS1_3repE0EEENS1_30default_config_static_selectorELNS0_4arch9wavefront6targetE0EEEvSZ_
; %bb.0:
	.section	.rodata,"a",@progbits
	.p2align	6, 0x0
	.amdhsa_kernel _ZN7rocprim17ROCPRIM_400000_NS6detail17trampoline_kernelINS0_13select_configILj256ELj13ELNS0_17block_load_methodE3ELS4_3ELS4_3ELNS0_20block_scan_algorithmE0ELj4294967295EEENS1_25partition_config_selectorILNS1_17partition_subalgoE3EjNS0_10empty_typeEbEEZZNS1_14partition_implILS8_3ELb0ES6_jNS0_17counting_iteratorIjlEEPS9_SE_NS0_5tupleIJPjSE_EEENSF_IJSE_SE_EEES9_SG_JZNS1_25segmented_radix_sort_implINS0_14default_configELb1EPK12hip_bfloat16PSL_PKlPlN2at6native12_GLOBAL__N_18offset_tEEE10hipError_tPvRmT1_PNSt15iterator_traitsISZ_E10value_typeET2_T3_PNS10_IS15_E10value_typeET4_jRbjT5_S1B_jjP12ihipStream_tbEUljE_EEESW_SX_SY_S15_S19_S1B_T6_T7_T9_mT8_S1D_bDpT10_ENKUlT_T0_E_clISt17integral_constantIbLb0EES1Q_EEDaS1L_S1M_EUlS1L_E_NS1_11comp_targetILNS1_3genE2ELNS1_11target_archE906ELNS1_3gpuE6ELNS1_3repE0EEENS1_30default_config_static_selectorELNS0_4arch9wavefront6targetE0EEEvSZ_
		.amdhsa_group_segment_fixed_size 0
		.amdhsa_private_segment_fixed_size 0
		.amdhsa_kernarg_size 144
		.amdhsa_user_sgpr_count 6
		.amdhsa_user_sgpr_private_segment_buffer 1
		.amdhsa_user_sgpr_dispatch_ptr 0
		.amdhsa_user_sgpr_queue_ptr 0
		.amdhsa_user_sgpr_kernarg_segment_ptr 1
		.amdhsa_user_sgpr_dispatch_id 0
		.amdhsa_user_sgpr_flat_scratch_init 0
		.amdhsa_user_sgpr_private_segment_size 0
		.amdhsa_wavefront_size32 1
		.amdhsa_uses_dynamic_stack 0
		.amdhsa_system_sgpr_private_segment_wavefront_offset 0
		.amdhsa_system_sgpr_workgroup_id_x 1
		.amdhsa_system_sgpr_workgroup_id_y 0
		.amdhsa_system_sgpr_workgroup_id_z 0
		.amdhsa_system_sgpr_workgroup_info 0
		.amdhsa_system_vgpr_workitem_id 0
		.amdhsa_next_free_vgpr 1
		.amdhsa_next_free_sgpr 1
		.amdhsa_reserve_vcc 0
		.amdhsa_reserve_flat_scratch 0
		.amdhsa_float_round_mode_32 0
		.amdhsa_float_round_mode_16_64 0
		.amdhsa_float_denorm_mode_32 3
		.amdhsa_float_denorm_mode_16_64 3
		.amdhsa_dx10_clamp 1
		.amdhsa_ieee_mode 1
		.amdhsa_fp16_overflow 0
		.amdhsa_workgroup_processor_mode 1
		.amdhsa_memory_ordered 1
		.amdhsa_forward_progress 1
		.amdhsa_shared_vgpr_count 0
		.amdhsa_exception_fp_ieee_invalid_op 0
		.amdhsa_exception_fp_denorm_src 0
		.amdhsa_exception_fp_ieee_div_zero 0
		.amdhsa_exception_fp_ieee_overflow 0
		.amdhsa_exception_fp_ieee_underflow 0
		.amdhsa_exception_fp_ieee_inexact 0
		.amdhsa_exception_int_div_zero 0
	.end_amdhsa_kernel
	.section	.text._ZN7rocprim17ROCPRIM_400000_NS6detail17trampoline_kernelINS0_13select_configILj256ELj13ELNS0_17block_load_methodE3ELS4_3ELS4_3ELNS0_20block_scan_algorithmE0ELj4294967295EEENS1_25partition_config_selectorILNS1_17partition_subalgoE3EjNS0_10empty_typeEbEEZZNS1_14partition_implILS8_3ELb0ES6_jNS0_17counting_iteratorIjlEEPS9_SE_NS0_5tupleIJPjSE_EEENSF_IJSE_SE_EEES9_SG_JZNS1_25segmented_radix_sort_implINS0_14default_configELb1EPK12hip_bfloat16PSL_PKlPlN2at6native12_GLOBAL__N_18offset_tEEE10hipError_tPvRmT1_PNSt15iterator_traitsISZ_E10value_typeET2_T3_PNS10_IS15_E10value_typeET4_jRbjT5_S1B_jjP12ihipStream_tbEUljE_EEESW_SX_SY_S15_S19_S1B_T6_T7_T9_mT8_S1D_bDpT10_ENKUlT_T0_E_clISt17integral_constantIbLb0EES1Q_EEDaS1L_S1M_EUlS1L_E_NS1_11comp_targetILNS1_3genE2ELNS1_11target_archE906ELNS1_3gpuE6ELNS1_3repE0EEENS1_30default_config_static_selectorELNS0_4arch9wavefront6targetE0EEEvSZ_,"axG",@progbits,_ZN7rocprim17ROCPRIM_400000_NS6detail17trampoline_kernelINS0_13select_configILj256ELj13ELNS0_17block_load_methodE3ELS4_3ELS4_3ELNS0_20block_scan_algorithmE0ELj4294967295EEENS1_25partition_config_selectorILNS1_17partition_subalgoE3EjNS0_10empty_typeEbEEZZNS1_14partition_implILS8_3ELb0ES6_jNS0_17counting_iteratorIjlEEPS9_SE_NS0_5tupleIJPjSE_EEENSF_IJSE_SE_EEES9_SG_JZNS1_25segmented_radix_sort_implINS0_14default_configELb1EPK12hip_bfloat16PSL_PKlPlN2at6native12_GLOBAL__N_18offset_tEEE10hipError_tPvRmT1_PNSt15iterator_traitsISZ_E10value_typeET2_T3_PNS10_IS15_E10value_typeET4_jRbjT5_S1B_jjP12ihipStream_tbEUljE_EEESW_SX_SY_S15_S19_S1B_T6_T7_T9_mT8_S1D_bDpT10_ENKUlT_T0_E_clISt17integral_constantIbLb0EES1Q_EEDaS1L_S1M_EUlS1L_E_NS1_11comp_targetILNS1_3genE2ELNS1_11target_archE906ELNS1_3gpuE6ELNS1_3repE0EEENS1_30default_config_static_selectorELNS0_4arch9wavefront6targetE0EEEvSZ_,comdat
.Lfunc_end1908:
	.size	_ZN7rocprim17ROCPRIM_400000_NS6detail17trampoline_kernelINS0_13select_configILj256ELj13ELNS0_17block_load_methodE3ELS4_3ELS4_3ELNS0_20block_scan_algorithmE0ELj4294967295EEENS1_25partition_config_selectorILNS1_17partition_subalgoE3EjNS0_10empty_typeEbEEZZNS1_14partition_implILS8_3ELb0ES6_jNS0_17counting_iteratorIjlEEPS9_SE_NS0_5tupleIJPjSE_EEENSF_IJSE_SE_EEES9_SG_JZNS1_25segmented_radix_sort_implINS0_14default_configELb1EPK12hip_bfloat16PSL_PKlPlN2at6native12_GLOBAL__N_18offset_tEEE10hipError_tPvRmT1_PNSt15iterator_traitsISZ_E10value_typeET2_T3_PNS10_IS15_E10value_typeET4_jRbjT5_S1B_jjP12ihipStream_tbEUljE_EEESW_SX_SY_S15_S19_S1B_T6_T7_T9_mT8_S1D_bDpT10_ENKUlT_T0_E_clISt17integral_constantIbLb0EES1Q_EEDaS1L_S1M_EUlS1L_E_NS1_11comp_targetILNS1_3genE2ELNS1_11target_archE906ELNS1_3gpuE6ELNS1_3repE0EEENS1_30default_config_static_selectorELNS0_4arch9wavefront6targetE0EEEvSZ_, .Lfunc_end1908-_ZN7rocprim17ROCPRIM_400000_NS6detail17trampoline_kernelINS0_13select_configILj256ELj13ELNS0_17block_load_methodE3ELS4_3ELS4_3ELNS0_20block_scan_algorithmE0ELj4294967295EEENS1_25partition_config_selectorILNS1_17partition_subalgoE3EjNS0_10empty_typeEbEEZZNS1_14partition_implILS8_3ELb0ES6_jNS0_17counting_iteratorIjlEEPS9_SE_NS0_5tupleIJPjSE_EEENSF_IJSE_SE_EEES9_SG_JZNS1_25segmented_radix_sort_implINS0_14default_configELb1EPK12hip_bfloat16PSL_PKlPlN2at6native12_GLOBAL__N_18offset_tEEE10hipError_tPvRmT1_PNSt15iterator_traitsISZ_E10value_typeET2_T3_PNS10_IS15_E10value_typeET4_jRbjT5_S1B_jjP12ihipStream_tbEUljE_EEESW_SX_SY_S15_S19_S1B_T6_T7_T9_mT8_S1D_bDpT10_ENKUlT_T0_E_clISt17integral_constantIbLb0EES1Q_EEDaS1L_S1M_EUlS1L_E_NS1_11comp_targetILNS1_3genE2ELNS1_11target_archE906ELNS1_3gpuE6ELNS1_3repE0EEENS1_30default_config_static_selectorELNS0_4arch9wavefront6targetE0EEEvSZ_
                                        ; -- End function
	.set _ZN7rocprim17ROCPRIM_400000_NS6detail17trampoline_kernelINS0_13select_configILj256ELj13ELNS0_17block_load_methodE3ELS4_3ELS4_3ELNS0_20block_scan_algorithmE0ELj4294967295EEENS1_25partition_config_selectorILNS1_17partition_subalgoE3EjNS0_10empty_typeEbEEZZNS1_14partition_implILS8_3ELb0ES6_jNS0_17counting_iteratorIjlEEPS9_SE_NS0_5tupleIJPjSE_EEENSF_IJSE_SE_EEES9_SG_JZNS1_25segmented_radix_sort_implINS0_14default_configELb1EPK12hip_bfloat16PSL_PKlPlN2at6native12_GLOBAL__N_18offset_tEEE10hipError_tPvRmT1_PNSt15iterator_traitsISZ_E10value_typeET2_T3_PNS10_IS15_E10value_typeET4_jRbjT5_S1B_jjP12ihipStream_tbEUljE_EEESW_SX_SY_S15_S19_S1B_T6_T7_T9_mT8_S1D_bDpT10_ENKUlT_T0_E_clISt17integral_constantIbLb0EES1Q_EEDaS1L_S1M_EUlS1L_E_NS1_11comp_targetILNS1_3genE2ELNS1_11target_archE906ELNS1_3gpuE6ELNS1_3repE0EEENS1_30default_config_static_selectorELNS0_4arch9wavefront6targetE0EEEvSZ_.num_vgpr, 0
	.set _ZN7rocprim17ROCPRIM_400000_NS6detail17trampoline_kernelINS0_13select_configILj256ELj13ELNS0_17block_load_methodE3ELS4_3ELS4_3ELNS0_20block_scan_algorithmE0ELj4294967295EEENS1_25partition_config_selectorILNS1_17partition_subalgoE3EjNS0_10empty_typeEbEEZZNS1_14partition_implILS8_3ELb0ES6_jNS0_17counting_iteratorIjlEEPS9_SE_NS0_5tupleIJPjSE_EEENSF_IJSE_SE_EEES9_SG_JZNS1_25segmented_radix_sort_implINS0_14default_configELb1EPK12hip_bfloat16PSL_PKlPlN2at6native12_GLOBAL__N_18offset_tEEE10hipError_tPvRmT1_PNSt15iterator_traitsISZ_E10value_typeET2_T3_PNS10_IS15_E10value_typeET4_jRbjT5_S1B_jjP12ihipStream_tbEUljE_EEESW_SX_SY_S15_S19_S1B_T6_T7_T9_mT8_S1D_bDpT10_ENKUlT_T0_E_clISt17integral_constantIbLb0EES1Q_EEDaS1L_S1M_EUlS1L_E_NS1_11comp_targetILNS1_3genE2ELNS1_11target_archE906ELNS1_3gpuE6ELNS1_3repE0EEENS1_30default_config_static_selectorELNS0_4arch9wavefront6targetE0EEEvSZ_.num_agpr, 0
	.set _ZN7rocprim17ROCPRIM_400000_NS6detail17trampoline_kernelINS0_13select_configILj256ELj13ELNS0_17block_load_methodE3ELS4_3ELS4_3ELNS0_20block_scan_algorithmE0ELj4294967295EEENS1_25partition_config_selectorILNS1_17partition_subalgoE3EjNS0_10empty_typeEbEEZZNS1_14partition_implILS8_3ELb0ES6_jNS0_17counting_iteratorIjlEEPS9_SE_NS0_5tupleIJPjSE_EEENSF_IJSE_SE_EEES9_SG_JZNS1_25segmented_radix_sort_implINS0_14default_configELb1EPK12hip_bfloat16PSL_PKlPlN2at6native12_GLOBAL__N_18offset_tEEE10hipError_tPvRmT1_PNSt15iterator_traitsISZ_E10value_typeET2_T3_PNS10_IS15_E10value_typeET4_jRbjT5_S1B_jjP12ihipStream_tbEUljE_EEESW_SX_SY_S15_S19_S1B_T6_T7_T9_mT8_S1D_bDpT10_ENKUlT_T0_E_clISt17integral_constantIbLb0EES1Q_EEDaS1L_S1M_EUlS1L_E_NS1_11comp_targetILNS1_3genE2ELNS1_11target_archE906ELNS1_3gpuE6ELNS1_3repE0EEENS1_30default_config_static_selectorELNS0_4arch9wavefront6targetE0EEEvSZ_.numbered_sgpr, 0
	.set _ZN7rocprim17ROCPRIM_400000_NS6detail17trampoline_kernelINS0_13select_configILj256ELj13ELNS0_17block_load_methodE3ELS4_3ELS4_3ELNS0_20block_scan_algorithmE0ELj4294967295EEENS1_25partition_config_selectorILNS1_17partition_subalgoE3EjNS0_10empty_typeEbEEZZNS1_14partition_implILS8_3ELb0ES6_jNS0_17counting_iteratorIjlEEPS9_SE_NS0_5tupleIJPjSE_EEENSF_IJSE_SE_EEES9_SG_JZNS1_25segmented_radix_sort_implINS0_14default_configELb1EPK12hip_bfloat16PSL_PKlPlN2at6native12_GLOBAL__N_18offset_tEEE10hipError_tPvRmT1_PNSt15iterator_traitsISZ_E10value_typeET2_T3_PNS10_IS15_E10value_typeET4_jRbjT5_S1B_jjP12ihipStream_tbEUljE_EEESW_SX_SY_S15_S19_S1B_T6_T7_T9_mT8_S1D_bDpT10_ENKUlT_T0_E_clISt17integral_constantIbLb0EES1Q_EEDaS1L_S1M_EUlS1L_E_NS1_11comp_targetILNS1_3genE2ELNS1_11target_archE906ELNS1_3gpuE6ELNS1_3repE0EEENS1_30default_config_static_selectorELNS0_4arch9wavefront6targetE0EEEvSZ_.num_named_barrier, 0
	.set _ZN7rocprim17ROCPRIM_400000_NS6detail17trampoline_kernelINS0_13select_configILj256ELj13ELNS0_17block_load_methodE3ELS4_3ELS4_3ELNS0_20block_scan_algorithmE0ELj4294967295EEENS1_25partition_config_selectorILNS1_17partition_subalgoE3EjNS0_10empty_typeEbEEZZNS1_14partition_implILS8_3ELb0ES6_jNS0_17counting_iteratorIjlEEPS9_SE_NS0_5tupleIJPjSE_EEENSF_IJSE_SE_EEES9_SG_JZNS1_25segmented_radix_sort_implINS0_14default_configELb1EPK12hip_bfloat16PSL_PKlPlN2at6native12_GLOBAL__N_18offset_tEEE10hipError_tPvRmT1_PNSt15iterator_traitsISZ_E10value_typeET2_T3_PNS10_IS15_E10value_typeET4_jRbjT5_S1B_jjP12ihipStream_tbEUljE_EEESW_SX_SY_S15_S19_S1B_T6_T7_T9_mT8_S1D_bDpT10_ENKUlT_T0_E_clISt17integral_constantIbLb0EES1Q_EEDaS1L_S1M_EUlS1L_E_NS1_11comp_targetILNS1_3genE2ELNS1_11target_archE906ELNS1_3gpuE6ELNS1_3repE0EEENS1_30default_config_static_selectorELNS0_4arch9wavefront6targetE0EEEvSZ_.private_seg_size, 0
	.set _ZN7rocprim17ROCPRIM_400000_NS6detail17trampoline_kernelINS0_13select_configILj256ELj13ELNS0_17block_load_methodE3ELS4_3ELS4_3ELNS0_20block_scan_algorithmE0ELj4294967295EEENS1_25partition_config_selectorILNS1_17partition_subalgoE3EjNS0_10empty_typeEbEEZZNS1_14partition_implILS8_3ELb0ES6_jNS0_17counting_iteratorIjlEEPS9_SE_NS0_5tupleIJPjSE_EEENSF_IJSE_SE_EEES9_SG_JZNS1_25segmented_radix_sort_implINS0_14default_configELb1EPK12hip_bfloat16PSL_PKlPlN2at6native12_GLOBAL__N_18offset_tEEE10hipError_tPvRmT1_PNSt15iterator_traitsISZ_E10value_typeET2_T3_PNS10_IS15_E10value_typeET4_jRbjT5_S1B_jjP12ihipStream_tbEUljE_EEESW_SX_SY_S15_S19_S1B_T6_T7_T9_mT8_S1D_bDpT10_ENKUlT_T0_E_clISt17integral_constantIbLb0EES1Q_EEDaS1L_S1M_EUlS1L_E_NS1_11comp_targetILNS1_3genE2ELNS1_11target_archE906ELNS1_3gpuE6ELNS1_3repE0EEENS1_30default_config_static_selectorELNS0_4arch9wavefront6targetE0EEEvSZ_.uses_vcc, 0
	.set _ZN7rocprim17ROCPRIM_400000_NS6detail17trampoline_kernelINS0_13select_configILj256ELj13ELNS0_17block_load_methodE3ELS4_3ELS4_3ELNS0_20block_scan_algorithmE0ELj4294967295EEENS1_25partition_config_selectorILNS1_17partition_subalgoE3EjNS0_10empty_typeEbEEZZNS1_14partition_implILS8_3ELb0ES6_jNS0_17counting_iteratorIjlEEPS9_SE_NS0_5tupleIJPjSE_EEENSF_IJSE_SE_EEES9_SG_JZNS1_25segmented_radix_sort_implINS0_14default_configELb1EPK12hip_bfloat16PSL_PKlPlN2at6native12_GLOBAL__N_18offset_tEEE10hipError_tPvRmT1_PNSt15iterator_traitsISZ_E10value_typeET2_T3_PNS10_IS15_E10value_typeET4_jRbjT5_S1B_jjP12ihipStream_tbEUljE_EEESW_SX_SY_S15_S19_S1B_T6_T7_T9_mT8_S1D_bDpT10_ENKUlT_T0_E_clISt17integral_constantIbLb0EES1Q_EEDaS1L_S1M_EUlS1L_E_NS1_11comp_targetILNS1_3genE2ELNS1_11target_archE906ELNS1_3gpuE6ELNS1_3repE0EEENS1_30default_config_static_selectorELNS0_4arch9wavefront6targetE0EEEvSZ_.uses_flat_scratch, 0
	.set _ZN7rocprim17ROCPRIM_400000_NS6detail17trampoline_kernelINS0_13select_configILj256ELj13ELNS0_17block_load_methodE3ELS4_3ELS4_3ELNS0_20block_scan_algorithmE0ELj4294967295EEENS1_25partition_config_selectorILNS1_17partition_subalgoE3EjNS0_10empty_typeEbEEZZNS1_14partition_implILS8_3ELb0ES6_jNS0_17counting_iteratorIjlEEPS9_SE_NS0_5tupleIJPjSE_EEENSF_IJSE_SE_EEES9_SG_JZNS1_25segmented_radix_sort_implINS0_14default_configELb1EPK12hip_bfloat16PSL_PKlPlN2at6native12_GLOBAL__N_18offset_tEEE10hipError_tPvRmT1_PNSt15iterator_traitsISZ_E10value_typeET2_T3_PNS10_IS15_E10value_typeET4_jRbjT5_S1B_jjP12ihipStream_tbEUljE_EEESW_SX_SY_S15_S19_S1B_T6_T7_T9_mT8_S1D_bDpT10_ENKUlT_T0_E_clISt17integral_constantIbLb0EES1Q_EEDaS1L_S1M_EUlS1L_E_NS1_11comp_targetILNS1_3genE2ELNS1_11target_archE906ELNS1_3gpuE6ELNS1_3repE0EEENS1_30default_config_static_selectorELNS0_4arch9wavefront6targetE0EEEvSZ_.has_dyn_sized_stack, 0
	.set _ZN7rocprim17ROCPRIM_400000_NS6detail17trampoline_kernelINS0_13select_configILj256ELj13ELNS0_17block_load_methodE3ELS4_3ELS4_3ELNS0_20block_scan_algorithmE0ELj4294967295EEENS1_25partition_config_selectorILNS1_17partition_subalgoE3EjNS0_10empty_typeEbEEZZNS1_14partition_implILS8_3ELb0ES6_jNS0_17counting_iteratorIjlEEPS9_SE_NS0_5tupleIJPjSE_EEENSF_IJSE_SE_EEES9_SG_JZNS1_25segmented_radix_sort_implINS0_14default_configELb1EPK12hip_bfloat16PSL_PKlPlN2at6native12_GLOBAL__N_18offset_tEEE10hipError_tPvRmT1_PNSt15iterator_traitsISZ_E10value_typeET2_T3_PNS10_IS15_E10value_typeET4_jRbjT5_S1B_jjP12ihipStream_tbEUljE_EEESW_SX_SY_S15_S19_S1B_T6_T7_T9_mT8_S1D_bDpT10_ENKUlT_T0_E_clISt17integral_constantIbLb0EES1Q_EEDaS1L_S1M_EUlS1L_E_NS1_11comp_targetILNS1_3genE2ELNS1_11target_archE906ELNS1_3gpuE6ELNS1_3repE0EEENS1_30default_config_static_selectorELNS0_4arch9wavefront6targetE0EEEvSZ_.has_recursion, 0
	.set _ZN7rocprim17ROCPRIM_400000_NS6detail17trampoline_kernelINS0_13select_configILj256ELj13ELNS0_17block_load_methodE3ELS4_3ELS4_3ELNS0_20block_scan_algorithmE0ELj4294967295EEENS1_25partition_config_selectorILNS1_17partition_subalgoE3EjNS0_10empty_typeEbEEZZNS1_14partition_implILS8_3ELb0ES6_jNS0_17counting_iteratorIjlEEPS9_SE_NS0_5tupleIJPjSE_EEENSF_IJSE_SE_EEES9_SG_JZNS1_25segmented_radix_sort_implINS0_14default_configELb1EPK12hip_bfloat16PSL_PKlPlN2at6native12_GLOBAL__N_18offset_tEEE10hipError_tPvRmT1_PNSt15iterator_traitsISZ_E10value_typeET2_T3_PNS10_IS15_E10value_typeET4_jRbjT5_S1B_jjP12ihipStream_tbEUljE_EEESW_SX_SY_S15_S19_S1B_T6_T7_T9_mT8_S1D_bDpT10_ENKUlT_T0_E_clISt17integral_constantIbLb0EES1Q_EEDaS1L_S1M_EUlS1L_E_NS1_11comp_targetILNS1_3genE2ELNS1_11target_archE906ELNS1_3gpuE6ELNS1_3repE0EEENS1_30default_config_static_selectorELNS0_4arch9wavefront6targetE0EEEvSZ_.has_indirect_call, 0
	.section	.AMDGPU.csdata,"",@progbits
; Kernel info:
; codeLenInByte = 0
; TotalNumSgprs: 0
; NumVgprs: 0
; ScratchSize: 0
; MemoryBound: 0
; FloatMode: 240
; IeeeMode: 1
; LDSByteSize: 0 bytes/workgroup (compile time only)
; SGPRBlocks: 0
; VGPRBlocks: 0
; NumSGPRsForWavesPerEU: 1
; NumVGPRsForWavesPerEU: 1
; Occupancy: 16
; WaveLimiterHint : 0
; COMPUTE_PGM_RSRC2:SCRATCH_EN: 0
; COMPUTE_PGM_RSRC2:USER_SGPR: 6
; COMPUTE_PGM_RSRC2:TRAP_HANDLER: 0
; COMPUTE_PGM_RSRC2:TGID_X_EN: 1
; COMPUTE_PGM_RSRC2:TGID_Y_EN: 0
; COMPUTE_PGM_RSRC2:TGID_Z_EN: 0
; COMPUTE_PGM_RSRC2:TIDIG_COMP_CNT: 0
	.section	.text._ZN7rocprim17ROCPRIM_400000_NS6detail17trampoline_kernelINS0_13select_configILj256ELj13ELNS0_17block_load_methodE3ELS4_3ELS4_3ELNS0_20block_scan_algorithmE0ELj4294967295EEENS1_25partition_config_selectorILNS1_17partition_subalgoE3EjNS0_10empty_typeEbEEZZNS1_14partition_implILS8_3ELb0ES6_jNS0_17counting_iteratorIjlEEPS9_SE_NS0_5tupleIJPjSE_EEENSF_IJSE_SE_EEES9_SG_JZNS1_25segmented_radix_sort_implINS0_14default_configELb1EPK12hip_bfloat16PSL_PKlPlN2at6native12_GLOBAL__N_18offset_tEEE10hipError_tPvRmT1_PNSt15iterator_traitsISZ_E10value_typeET2_T3_PNS10_IS15_E10value_typeET4_jRbjT5_S1B_jjP12ihipStream_tbEUljE_EEESW_SX_SY_S15_S19_S1B_T6_T7_T9_mT8_S1D_bDpT10_ENKUlT_T0_E_clISt17integral_constantIbLb0EES1Q_EEDaS1L_S1M_EUlS1L_E_NS1_11comp_targetILNS1_3genE10ELNS1_11target_archE1200ELNS1_3gpuE4ELNS1_3repE0EEENS1_30default_config_static_selectorELNS0_4arch9wavefront6targetE0EEEvSZ_,"axG",@progbits,_ZN7rocprim17ROCPRIM_400000_NS6detail17trampoline_kernelINS0_13select_configILj256ELj13ELNS0_17block_load_methodE3ELS4_3ELS4_3ELNS0_20block_scan_algorithmE0ELj4294967295EEENS1_25partition_config_selectorILNS1_17partition_subalgoE3EjNS0_10empty_typeEbEEZZNS1_14partition_implILS8_3ELb0ES6_jNS0_17counting_iteratorIjlEEPS9_SE_NS0_5tupleIJPjSE_EEENSF_IJSE_SE_EEES9_SG_JZNS1_25segmented_radix_sort_implINS0_14default_configELb1EPK12hip_bfloat16PSL_PKlPlN2at6native12_GLOBAL__N_18offset_tEEE10hipError_tPvRmT1_PNSt15iterator_traitsISZ_E10value_typeET2_T3_PNS10_IS15_E10value_typeET4_jRbjT5_S1B_jjP12ihipStream_tbEUljE_EEESW_SX_SY_S15_S19_S1B_T6_T7_T9_mT8_S1D_bDpT10_ENKUlT_T0_E_clISt17integral_constantIbLb0EES1Q_EEDaS1L_S1M_EUlS1L_E_NS1_11comp_targetILNS1_3genE10ELNS1_11target_archE1200ELNS1_3gpuE4ELNS1_3repE0EEENS1_30default_config_static_selectorELNS0_4arch9wavefront6targetE0EEEvSZ_,comdat
	.globl	_ZN7rocprim17ROCPRIM_400000_NS6detail17trampoline_kernelINS0_13select_configILj256ELj13ELNS0_17block_load_methodE3ELS4_3ELS4_3ELNS0_20block_scan_algorithmE0ELj4294967295EEENS1_25partition_config_selectorILNS1_17partition_subalgoE3EjNS0_10empty_typeEbEEZZNS1_14partition_implILS8_3ELb0ES6_jNS0_17counting_iteratorIjlEEPS9_SE_NS0_5tupleIJPjSE_EEENSF_IJSE_SE_EEES9_SG_JZNS1_25segmented_radix_sort_implINS0_14default_configELb1EPK12hip_bfloat16PSL_PKlPlN2at6native12_GLOBAL__N_18offset_tEEE10hipError_tPvRmT1_PNSt15iterator_traitsISZ_E10value_typeET2_T3_PNS10_IS15_E10value_typeET4_jRbjT5_S1B_jjP12ihipStream_tbEUljE_EEESW_SX_SY_S15_S19_S1B_T6_T7_T9_mT8_S1D_bDpT10_ENKUlT_T0_E_clISt17integral_constantIbLb0EES1Q_EEDaS1L_S1M_EUlS1L_E_NS1_11comp_targetILNS1_3genE10ELNS1_11target_archE1200ELNS1_3gpuE4ELNS1_3repE0EEENS1_30default_config_static_selectorELNS0_4arch9wavefront6targetE0EEEvSZ_ ; -- Begin function _ZN7rocprim17ROCPRIM_400000_NS6detail17trampoline_kernelINS0_13select_configILj256ELj13ELNS0_17block_load_methodE3ELS4_3ELS4_3ELNS0_20block_scan_algorithmE0ELj4294967295EEENS1_25partition_config_selectorILNS1_17partition_subalgoE3EjNS0_10empty_typeEbEEZZNS1_14partition_implILS8_3ELb0ES6_jNS0_17counting_iteratorIjlEEPS9_SE_NS0_5tupleIJPjSE_EEENSF_IJSE_SE_EEES9_SG_JZNS1_25segmented_radix_sort_implINS0_14default_configELb1EPK12hip_bfloat16PSL_PKlPlN2at6native12_GLOBAL__N_18offset_tEEE10hipError_tPvRmT1_PNSt15iterator_traitsISZ_E10value_typeET2_T3_PNS10_IS15_E10value_typeET4_jRbjT5_S1B_jjP12ihipStream_tbEUljE_EEESW_SX_SY_S15_S19_S1B_T6_T7_T9_mT8_S1D_bDpT10_ENKUlT_T0_E_clISt17integral_constantIbLb0EES1Q_EEDaS1L_S1M_EUlS1L_E_NS1_11comp_targetILNS1_3genE10ELNS1_11target_archE1200ELNS1_3gpuE4ELNS1_3repE0EEENS1_30default_config_static_selectorELNS0_4arch9wavefront6targetE0EEEvSZ_
	.p2align	8
	.type	_ZN7rocprim17ROCPRIM_400000_NS6detail17trampoline_kernelINS0_13select_configILj256ELj13ELNS0_17block_load_methodE3ELS4_3ELS4_3ELNS0_20block_scan_algorithmE0ELj4294967295EEENS1_25partition_config_selectorILNS1_17partition_subalgoE3EjNS0_10empty_typeEbEEZZNS1_14partition_implILS8_3ELb0ES6_jNS0_17counting_iteratorIjlEEPS9_SE_NS0_5tupleIJPjSE_EEENSF_IJSE_SE_EEES9_SG_JZNS1_25segmented_radix_sort_implINS0_14default_configELb1EPK12hip_bfloat16PSL_PKlPlN2at6native12_GLOBAL__N_18offset_tEEE10hipError_tPvRmT1_PNSt15iterator_traitsISZ_E10value_typeET2_T3_PNS10_IS15_E10value_typeET4_jRbjT5_S1B_jjP12ihipStream_tbEUljE_EEESW_SX_SY_S15_S19_S1B_T6_T7_T9_mT8_S1D_bDpT10_ENKUlT_T0_E_clISt17integral_constantIbLb0EES1Q_EEDaS1L_S1M_EUlS1L_E_NS1_11comp_targetILNS1_3genE10ELNS1_11target_archE1200ELNS1_3gpuE4ELNS1_3repE0EEENS1_30default_config_static_selectorELNS0_4arch9wavefront6targetE0EEEvSZ_,@function
_ZN7rocprim17ROCPRIM_400000_NS6detail17trampoline_kernelINS0_13select_configILj256ELj13ELNS0_17block_load_methodE3ELS4_3ELS4_3ELNS0_20block_scan_algorithmE0ELj4294967295EEENS1_25partition_config_selectorILNS1_17partition_subalgoE3EjNS0_10empty_typeEbEEZZNS1_14partition_implILS8_3ELb0ES6_jNS0_17counting_iteratorIjlEEPS9_SE_NS0_5tupleIJPjSE_EEENSF_IJSE_SE_EEES9_SG_JZNS1_25segmented_radix_sort_implINS0_14default_configELb1EPK12hip_bfloat16PSL_PKlPlN2at6native12_GLOBAL__N_18offset_tEEE10hipError_tPvRmT1_PNSt15iterator_traitsISZ_E10value_typeET2_T3_PNS10_IS15_E10value_typeET4_jRbjT5_S1B_jjP12ihipStream_tbEUljE_EEESW_SX_SY_S15_S19_S1B_T6_T7_T9_mT8_S1D_bDpT10_ENKUlT_T0_E_clISt17integral_constantIbLb0EES1Q_EEDaS1L_S1M_EUlS1L_E_NS1_11comp_targetILNS1_3genE10ELNS1_11target_archE1200ELNS1_3gpuE4ELNS1_3repE0EEENS1_30default_config_static_selectorELNS0_4arch9wavefront6targetE0EEEvSZ_: ; @_ZN7rocprim17ROCPRIM_400000_NS6detail17trampoline_kernelINS0_13select_configILj256ELj13ELNS0_17block_load_methodE3ELS4_3ELS4_3ELNS0_20block_scan_algorithmE0ELj4294967295EEENS1_25partition_config_selectorILNS1_17partition_subalgoE3EjNS0_10empty_typeEbEEZZNS1_14partition_implILS8_3ELb0ES6_jNS0_17counting_iteratorIjlEEPS9_SE_NS0_5tupleIJPjSE_EEENSF_IJSE_SE_EEES9_SG_JZNS1_25segmented_radix_sort_implINS0_14default_configELb1EPK12hip_bfloat16PSL_PKlPlN2at6native12_GLOBAL__N_18offset_tEEE10hipError_tPvRmT1_PNSt15iterator_traitsISZ_E10value_typeET2_T3_PNS10_IS15_E10value_typeET4_jRbjT5_S1B_jjP12ihipStream_tbEUljE_EEESW_SX_SY_S15_S19_S1B_T6_T7_T9_mT8_S1D_bDpT10_ENKUlT_T0_E_clISt17integral_constantIbLb0EES1Q_EEDaS1L_S1M_EUlS1L_E_NS1_11comp_targetILNS1_3genE10ELNS1_11target_archE1200ELNS1_3gpuE4ELNS1_3repE0EEENS1_30default_config_static_selectorELNS0_4arch9wavefront6targetE0EEEvSZ_
; %bb.0:
	.section	.rodata,"a",@progbits
	.p2align	6, 0x0
	.amdhsa_kernel _ZN7rocprim17ROCPRIM_400000_NS6detail17trampoline_kernelINS0_13select_configILj256ELj13ELNS0_17block_load_methodE3ELS4_3ELS4_3ELNS0_20block_scan_algorithmE0ELj4294967295EEENS1_25partition_config_selectorILNS1_17partition_subalgoE3EjNS0_10empty_typeEbEEZZNS1_14partition_implILS8_3ELb0ES6_jNS0_17counting_iteratorIjlEEPS9_SE_NS0_5tupleIJPjSE_EEENSF_IJSE_SE_EEES9_SG_JZNS1_25segmented_radix_sort_implINS0_14default_configELb1EPK12hip_bfloat16PSL_PKlPlN2at6native12_GLOBAL__N_18offset_tEEE10hipError_tPvRmT1_PNSt15iterator_traitsISZ_E10value_typeET2_T3_PNS10_IS15_E10value_typeET4_jRbjT5_S1B_jjP12ihipStream_tbEUljE_EEESW_SX_SY_S15_S19_S1B_T6_T7_T9_mT8_S1D_bDpT10_ENKUlT_T0_E_clISt17integral_constantIbLb0EES1Q_EEDaS1L_S1M_EUlS1L_E_NS1_11comp_targetILNS1_3genE10ELNS1_11target_archE1200ELNS1_3gpuE4ELNS1_3repE0EEENS1_30default_config_static_selectorELNS0_4arch9wavefront6targetE0EEEvSZ_
		.amdhsa_group_segment_fixed_size 0
		.amdhsa_private_segment_fixed_size 0
		.amdhsa_kernarg_size 144
		.amdhsa_user_sgpr_count 6
		.amdhsa_user_sgpr_private_segment_buffer 1
		.amdhsa_user_sgpr_dispatch_ptr 0
		.amdhsa_user_sgpr_queue_ptr 0
		.amdhsa_user_sgpr_kernarg_segment_ptr 1
		.amdhsa_user_sgpr_dispatch_id 0
		.amdhsa_user_sgpr_flat_scratch_init 0
		.amdhsa_user_sgpr_private_segment_size 0
		.amdhsa_wavefront_size32 1
		.amdhsa_uses_dynamic_stack 0
		.amdhsa_system_sgpr_private_segment_wavefront_offset 0
		.amdhsa_system_sgpr_workgroup_id_x 1
		.amdhsa_system_sgpr_workgroup_id_y 0
		.amdhsa_system_sgpr_workgroup_id_z 0
		.amdhsa_system_sgpr_workgroup_info 0
		.amdhsa_system_vgpr_workitem_id 0
		.amdhsa_next_free_vgpr 1
		.amdhsa_next_free_sgpr 1
		.amdhsa_reserve_vcc 0
		.amdhsa_reserve_flat_scratch 0
		.amdhsa_float_round_mode_32 0
		.amdhsa_float_round_mode_16_64 0
		.amdhsa_float_denorm_mode_32 3
		.amdhsa_float_denorm_mode_16_64 3
		.amdhsa_dx10_clamp 1
		.amdhsa_ieee_mode 1
		.amdhsa_fp16_overflow 0
		.amdhsa_workgroup_processor_mode 1
		.amdhsa_memory_ordered 1
		.amdhsa_forward_progress 1
		.amdhsa_shared_vgpr_count 0
		.amdhsa_exception_fp_ieee_invalid_op 0
		.amdhsa_exception_fp_denorm_src 0
		.amdhsa_exception_fp_ieee_div_zero 0
		.amdhsa_exception_fp_ieee_overflow 0
		.amdhsa_exception_fp_ieee_underflow 0
		.amdhsa_exception_fp_ieee_inexact 0
		.amdhsa_exception_int_div_zero 0
	.end_amdhsa_kernel
	.section	.text._ZN7rocprim17ROCPRIM_400000_NS6detail17trampoline_kernelINS0_13select_configILj256ELj13ELNS0_17block_load_methodE3ELS4_3ELS4_3ELNS0_20block_scan_algorithmE0ELj4294967295EEENS1_25partition_config_selectorILNS1_17partition_subalgoE3EjNS0_10empty_typeEbEEZZNS1_14partition_implILS8_3ELb0ES6_jNS0_17counting_iteratorIjlEEPS9_SE_NS0_5tupleIJPjSE_EEENSF_IJSE_SE_EEES9_SG_JZNS1_25segmented_radix_sort_implINS0_14default_configELb1EPK12hip_bfloat16PSL_PKlPlN2at6native12_GLOBAL__N_18offset_tEEE10hipError_tPvRmT1_PNSt15iterator_traitsISZ_E10value_typeET2_T3_PNS10_IS15_E10value_typeET4_jRbjT5_S1B_jjP12ihipStream_tbEUljE_EEESW_SX_SY_S15_S19_S1B_T6_T7_T9_mT8_S1D_bDpT10_ENKUlT_T0_E_clISt17integral_constantIbLb0EES1Q_EEDaS1L_S1M_EUlS1L_E_NS1_11comp_targetILNS1_3genE10ELNS1_11target_archE1200ELNS1_3gpuE4ELNS1_3repE0EEENS1_30default_config_static_selectorELNS0_4arch9wavefront6targetE0EEEvSZ_,"axG",@progbits,_ZN7rocprim17ROCPRIM_400000_NS6detail17trampoline_kernelINS0_13select_configILj256ELj13ELNS0_17block_load_methodE3ELS4_3ELS4_3ELNS0_20block_scan_algorithmE0ELj4294967295EEENS1_25partition_config_selectorILNS1_17partition_subalgoE3EjNS0_10empty_typeEbEEZZNS1_14partition_implILS8_3ELb0ES6_jNS0_17counting_iteratorIjlEEPS9_SE_NS0_5tupleIJPjSE_EEENSF_IJSE_SE_EEES9_SG_JZNS1_25segmented_radix_sort_implINS0_14default_configELb1EPK12hip_bfloat16PSL_PKlPlN2at6native12_GLOBAL__N_18offset_tEEE10hipError_tPvRmT1_PNSt15iterator_traitsISZ_E10value_typeET2_T3_PNS10_IS15_E10value_typeET4_jRbjT5_S1B_jjP12ihipStream_tbEUljE_EEESW_SX_SY_S15_S19_S1B_T6_T7_T9_mT8_S1D_bDpT10_ENKUlT_T0_E_clISt17integral_constantIbLb0EES1Q_EEDaS1L_S1M_EUlS1L_E_NS1_11comp_targetILNS1_3genE10ELNS1_11target_archE1200ELNS1_3gpuE4ELNS1_3repE0EEENS1_30default_config_static_selectorELNS0_4arch9wavefront6targetE0EEEvSZ_,comdat
.Lfunc_end1909:
	.size	_ZN7rocprim17ROCPRIM_400000_NS6detail17trampoline_kernelINS0_13select_configILj256ELj13ELNS0_17block_load_methodE3ELS4_3ELS4_3ELNS0_20block_scan_algorithmE0ELj4294967295EEENS1_25partition_config_selectorILNS1_17partition_subalgoE3EjNS0_10empty_typeEbEEZZNS1_14partition_implILS8_3ELb0ES6_jNS0_17counting_iteratorIjlEEPS9_SE_NS0_5tupleIJPjSE_EEENSF_IJSE_SE_EEES9_SG_JZNS1_25segmented_radix_sort_implINS0_14default_configELb1EPK12hip_bfloat16PSL_PKlPlN2at6native12_GLOBAL__N_18offset_tEEE10hipError_tPvRmT1_PNSt15iterator_traitsISZ_E10value_typeET2_T3_PNS10_IS15_E10value_typeET4_jRbjT5_S1B_jjP12ihipStream_tbEUljE_EEESW_SX_SY_S15_S19_S1B_T6_T7_T9_mT8_S1D_bDpT10_ENKUlT_T0_E_clISt17integral_constantIbLb0EES1Q_EEDaS1L_S1M_EUlS1L_E_NS1_11comp_targetILNS1_3genE10ELNS1_11target_archE1200ELNS1_3gpuE4ELNS1_3repE0EEENS1_30default_config_static_selectorELNS0_4arch9wavefront6targetE0EEEvSZ_, .Lfunc_end1909-_ZN7rocprim17ROCPRIM_400000_NS6detail17trampoline_kernelINS0_13select_configILj256ELj13ELNS0_17block_load_methodE3ELS4_3ELS4_3ELNS0_20block_scan_algorithmE0ELj4294967295EEENS1_25partition_config_selectorILNS1_17partition_subalgoE3EjNS0_10empty_typeEbEEZZNS1_14partition_implILS8_3ELb0ES6_jNS0_17counting_iteratorIjlEEPS9_SE_NS0_5tupleIJPjSE_EEENSF_IJSE_SE_EEES9_SG_JZNS1_25segmented_radix_sort_implINS0_14default_configELb1EPK12hip_bfloat16PSL_PKlPlN2at6native12_GLOBAL__N_18offset_tEEE10hipError_tPvRmT1_PNSt15iterator_traitsISZ_E10value_typeET2_T3_PNS10_IS15_E10value_typeET4_jRbjT5_S1B_jjP12ihipStream_tbEUljE_EEESW_SX_SY_S15_S19_S1B_T6_T7_T9_mT8_S1D_bDpT10_ENKUlT_T0_E_clISt17integral_constantIbLb0EES1Q_EEDaS1L_S1M_EUlS1L_E_NS1_11comp_targetILNS1_3genE10ELNS1_11target_archE1200ELNS1_3gpuE4ELNS1_3repE0EEENS1_30default_config_static_selectorELNS0_4arch9wavefront6targetE0EEEvSZ_
                                        ; -- End function
	.set _ZN7rocprim17ROCPRIM_400000_NS6detail17trampoline_kernelINS0_13select_configILj256ELj13ELNS0_17block_load_methodE3ELS4_3ELS4_3ELNS0_20block_scan_algorithmE0ELj4294967295EEENS1_25partition_config_selectorILNS1_17partition_subalgoE3EjNS0_10empty_typeEbEEZZNS1_14partition_implILS8_3ELb0ES6_jNS0_17counting_iteratorIjlEEPS9_SE_NS0_5tupleIJPjSE_EEENSF_IJSE_SE_EEES9_SG_JZNS1_25segmented_radix_sort_implINS0_14default_configELb1EPK12hip_bfloat16PSL_PKlPlN2at6native12_GLOBAL__N_18offset_tEEE10hipError_tPvRmT1_PNSt15iterator_traitsISZ_E10value_typeET2_T3_PNS10_IS15_E10value_typeET4_jRbjT5_S1B_jjP12ihipStream_tbEUljE_EEESW_SX_SY_S15_S19_S1B_T6_T7_T9_mT8_S1D_bDpT10_ENKUlT_T0_E_clISt17integral_constantIbLb0EES1Q_EEDaS1L_S1M_EUlS1L_E_NS1_11comp_targetILNS1_3genE10ELNS1_11target_archE1200ELNS1_3gpuE4ELNS1_3repE0EEENS1_30default_config_static_selectorELNS0_4arch9wavefront6targetE0EEEvSZ_.num_vgpr, 0
	.set _ZN7rocprim17ROCPRIM_400000_NS6detail17trampoline_kernelINS0_13select_configILj256ELj13ELNS0_17block_load_methodE3ELS4_3ELS4_3ELNS0_20block_scan_algorithmE0ELj4294967295EEENS1_25partition_config_selectorILNS1_17partition_subalgoE3EjNS0_10empty_typeEbEEZZNS1_14partition_implILS8_3ELb0ES6_jNS0_17counting_iteratorIjlEEPS9_SE_NS0_5tupleIJPjSE_EEENSF_IJSE_SE_EEES9_SG_JZNS1_25segmented_radix_sort_implINS0_14default_configELb1EPK12hip_bfloat16PSL_PKlPlN2at6native12_GLOBAL__N_18offset_tEEE10hipError_tPvRmT1_PNSt15iterator_traitsISZ_E10value_typeET2_T3_PNS10_IS15_E10value_typeET4_jRbjT5_S1B_jjP12ihipStream_tbEUljE_EEESW_SX_SY_S15_S19_S1B_T6_T7_T9_mT8_S1D_bDpT10_ENKUlT_T0_E_clISt17integral_constantIbLb0EES1Q_EEDaS1L_S1M_EUlS1L_E_NS1_11comp_targetILNS1_3genE10ELNS1_11target_archE1200ELNS1_3gpuE4ELNS1_3repE0EEENS1_30default_config_static_selectorELNS0_4arch9wavefront6targetE0EEEvSZ_.num_agpr, 0
	.set _ZN7rocprim17ROCPRIM_400000_NS6detail17trampoline_kernelINS0_13select_configILj256ELj13ELNS0_17block_load_methodE3ELS4_3ELS4_3ELNS0_20block_scan_algorithmE0ELj4294967295EEENS1_25partition_config_selectorILNS1_17partition_subalgoE3EjNS0_10empty_typeEbEEZZNS1_14partition_implILS8_3ELb0ES6_jNS0_17counting_iteratorIjlEEPS9_SE_NS0_5tupleIJPjSE_EEENSF_IJSE_SE_EEES9_SG_JZNS1_25segmented_radix_sort_implINS0_14default_configELb1EPK12hip_bfloat16PSL_PKlPlN2at6native12_GLOBAL__N_18offset_tEEE10hipError_tPvRmT1_PNSt15iterator_traitsISZ_E10value_typeET2_T3_PNS10_IS15_E10value_typeET4_jRbjT5_S1B_jjP12ihipStream_tbEUljE_EEESW_SX_SY_S15_S19_S1B_T6_T7_T9_mT8_S1D_bDpT10_ENKUlT_T0_E_clISt17integral_constantIbLb0EES1Q_EEDaS1L_S1M_EUlS1L_E_NS1_11comp_targetILNS1_3genE10ELNS1_11target_archE1200ELNS1_3gpuE4ELNS1_3repE0EEENS1_30default_config_static_selectorELNS0_4arch9wavefront6targetE0EEEvSZ_.numbered_sgpr, 0
	.set _ZN7rocprim17ROCPRIM_400000_NS6detail17trampoline_kernelINS0_13select_configILj256ELj13ELNS0_17block_load_methodE3ELS4_3ELS4_3ELNS0_20block_scan_algorithmE0ELj4294967295EEENS1_25partition_config_selectorILNS1_17partition_subalgoE3EjNS0_10empty_typeEbEEZZNS1_14partition_implILS8_3ELb0ES6_jNS0_17counting_iteratorIjlEEPS9_SE_NS0_5tupleIJPjSE_EEENSF_IJSE_SE_EEES9_SG_JZNS1_25segmented_radix_sort_implINS0_14default_configELb1EPK12hip_bfloat16PSL_PKlPlN2at6native12_GLOBAL__N_18offset_tEEE10hipError_tPvRmT1_PNSt15iterator_traitsISZ_E10value_typeET2_T3_PNS10_IS15_E10value_typeET4_jRbjT5_S1B_jjP12ihipStream_tbEUljE_EEESW_SX_SY_S15_S19_S1B_T6_T7_T9_mT8_S1D_bDpT10_ENKUlT_T0_E_clISt17integral_constantIbLb0EES1Q_EEDaS1L_S1M_EUlS1L_E_NS1_11comp_targetILNS1_3genE10ELNS1_11target_archE1200ELNS1_3gpuE4ELNS1_3repE0EEENS1_30default_config_static_selectorELNS0_4arch9wavefront6targetE0EEEvSZ_.num_named_barrier, 0
	.set _ZN7rocprim17ROCPRIM_400000_NS6detail17trampoline_kernelINS0_13select_configILj256ELj13ELNS0_17block_load_methodE3ELS4_3ELS4_3ELNS0_20block_scan_algorithmE0ELj4294967295EEENS1_25partition_config_selectorILNS1_17partition_subalgoE3EjNS0_10empty_typeEbEEZZNS1_14partition_implILS8_3ELb0ES6_jNS0_17counting_iteratorIjlEEPS9_SE_NS0_5tupleIJPjSE_EEENSF_IJSE_SE_EEES9_SG_JZNS1_25segmented_radix_sort_implINS0_14default_configELb1EPK12hip_bfloat16PSL_PKlPlN2at6native12_GLOBAL__N_18offset_tEEE10hipError_tPvRmT1_PNSt15iterator_traitsISZ_E10value_typeET2_T3_PNS10_IS15_E10value_typeET4_jRbjT5_S1B_jjP12ihipStream_tbEUljE_EEESW_SX_SY_S15_S19_S1B_T6_T7_T9_mT8_S1D_bDpT10_ENKUlT_T0_E_clISt17integral_constantIbLb0EES1Q_EEDaS1L_S1M_EUlS1L_E_NS1_11comp_targetILNS1_3genE10ELNS1_11target_archE1200ELNS1_3gpuE4ELNS1_3repE0EEENS1_30default_config_static_selectorELNS0_4arch9wavefront6targetE0EEEvSZ_.private_seg_size, 0
	.set _ZN7rocprim17ROCPRIM_400000_NS6detail17trampoline_kernelINS0_13select_configILj256ELj13ELNS0_17block_load_methodE3ELS4_3ELS4_3ELNS0_20block_scan_algorithmE0ELj4294967295EEENS1_25partition_config_selectorILNS1_17partition_subalgoE3EjNS0_10empty_typeEbEEZZNS1_14partition_implILS8_3ELb0ES6_jNS0_17counting_iteratorIjlEEPS9_SE_NS0_5tupleIJPjSE_EEENSF_IJSE_SE_EEES9_SG_JZNS1_25segmented_radix_sort_implINS0_14default_configELb1EPK12hip_bfloat16PSL_PKlPlN2at6native12_GLOBAL__N_18offset_tEEE10hipError_tPvRmT1_PNSt15iterator_traitsISZ_E10value_typeET2_T3_PNS10_IS15_E10value_typeET4_jRbjT5_S1B_jjP12ihipStream_tbEUljE_EEESW_SX_SY_S15_S19_S1B_T6_T7_T9_mT8_S1D_bDpT10_ENKUlT_T0_E_clISt17integral_constantIbLb0EES1Q_EEDaS1L_S1M_EUlS1L_E_NS1_11comp_targetILNS1_3genE10ELNS1_11target_archE1200ELNS1_3gpuE4ELNS1_3repE0EEENS1_30default_config_static_selectorELNS0_4arch9wavefront6targetE0EEEvSZ_.uses_vcc, 0
	.set _ZN7rocprim17ROCPRIM_400000_NS6detail17trampoline_kernelINS0_13select_configILj256ELj13ELNS0_17block_load_methodE3ELS4_3ELS4_3ELNS0_20block_scan_algorithmE0ELj4294967295EEENS1_25partition_config_selectorILNS1_17partition_subalgoE3EjNS0_10empty_typeEbEEZZNS1_14partition_implILS8_3ELb0ES6_jNS0_17counting_iteratorIjlEEPS9_SE_NS0_5tupleIJPjSE_EEENSF_IJSE_SE_EEES9_SG_JZNS1_25segmented_radix_sort_implINS0_14default_configELb1EPK12hip_bfloat16PSL_PKlPlN2at6native12_GLOBAL__N_18offset_tEEE10hipError_tPvRmT1_PNSt15iterator_traitsISZ_E10value_typeET2_T3_PNS10_IS15_E10value_typeET4_jRbjT5_S1B_jjP12ihipStream_tbEUljE_EEESW_SX_SY_S15_S19_S1B_T6_T7_T9_mT8_S1D_bDpT10_ENKUlT_T0_E_clISt17integral_constantIbLb0EES1Q_EEDaS1L_S1M_EUlS1L_E_NS1_11comp_targetILNS1_3genE10ELNS1_11target_archE1200ELNS1_3gpuE4ELNS1_3repE0EEENS1_30default_config_static_selectorELNS0_4arch9wavefront6targetE0EEEvSZ_.uses_flat_scratch, 0
	.set _ZN7rocprim17ROCPRIM_400000_NS6detail17trampoline_kernelINS0_13select_configILj256ELj13ELNS0_17block_load_methodE3ELS4_3ELS4_3ELNS0_20block_scan_algorithmE0ELj4294967295EEENS1_25partition_config_selectorILNS1_17partition_subalgoE3EjNS0_10empty_typeEbEEZZNS1_14partition_implILS8_3ELb0ES6_jNS0_17counting_iteratorIjlEEPS9_SE_NS0_5tupleIJPjSE_EEENSF_IJSE_SE_EEES9_SG_JZNS1_25segmented_radix_sort_implINS0_14default_configELb1EPK12hip_bfloat16PSL_PKlPlN2at6native12_GLOBAL__N_18offset_tEEE10hipError_tPvRmT1_PNSt15iterator_traitsISZ_E10value_typeET2_T3_PNS10_IS15_E10value_typeET4_jRbjT5_S1B_jjP12ihipStream_tbEUljE_EEESW_SX_SY_S15_S19_S1B_T6_T7_T9_mT8_S1D_bDpT10_ENKUlT_T0_E_clISt17integral_constantIbLb0EES1Q_EEDaS1L_S1M_EUlS1L_E_NS1_11comp_targetILNS1_3genE10ELNS1_11target_archE1200ELNS1_3gpuE4ELNS1_3repE0EEENS1_30default_config_static_selectorELNS0_4arch9wavefront6targetE0EEEvSZ_.has_dyn_sized_stack, 0
	.set _ZN7rocprim17ROCPRIM_400000_NS6detail17trampoline_kernelINS0_13select_configILj256ELj13ELNS0_17block_load_methodE3ELS4_3ELS4_3ELNS0_20block_scan_algorithmE0ELj4294967295EEENS1_25partition_config_selectorILNS1_17partition_subalgoE3EjNS0_10empty_typeEbEEZZNS1_14partition_implILS8_3ELb0ES6_jNS0_17counting_iteratorIjlEEPS9_SE_NS0_5tupleIJPjSE_EEENSF_IJSE_SE_EEES9_SG_JZNS1_25segmented_radix_sort_implINS0_14default_configELb1EPK12hip_bfloat16PSL_PKlPlN2at6native12_GLOBAL__N_18offset_tEEE10hipError_tPvRmT1_PNSt15iterator_traitsISZ_E10value_typeET2_T3_PNS10_IS15_E10value_typeET4_jRbjT5_S1B_jjP12ihipStream_tbEUljE_EEESW_SX_SY_S15_S19_S1B_T6_T7_T9_mT8_S1D_bDpT10_ENKUlT_T0_E_clISt17integral_constantIbLb0EES1Q_EEDaS1L_S1M_EUlS1L_E_NS1_11comp_targetILNS1_3genE10ELNS1_11target_archE1200ELNS1_3gpuE4ELNS1_3repE0EEENS1_30default_config_static_selectorELNS0_4arch9wavefront6targetE0EEEvSZ_.has_recursion, 0
	.set _ZN7rocprim17ROCPRIM_400000_NS6detail17trampoline_kernelINS0_13select_configILj256ELj13ELNS0_17block_load_methodE3ELS4_3ELS4_3ELNS0_20block_scan_algorithmE0ELj4294967295EEENS1_25partition_config_selectorILNS1_17partition_subalgoE3EjNS0_10empty_typeEbEEZZNS1_14partition_implILS8_3ELb0ES6_jNS0_17counting_iteratorIjlEEPS9_SE_NS0_5tupleIJPjSE_EEENSF_IJSE_SE_EEES9_SG_JZNS1_25segmented_radix_sort_implINS0_14default_configELb1EPK12hip_bfloat16PSL_PKlPlN2at6native12_GLOBAL__N_18offset_tEEE10hipError_tPvRmT1_PNSt15iterator_traitsISZ_E10value_typeET2_T3_PNS10_IS15_E10value_typeET4_jRbjT5_S1B_jjP12ihipStream_tbEUljE_EEESW_SX_SY_S15_S19_S1B_T6_T7_T9_mT8_S1D_bDpT10_ENKUlT_T0_E_clISt17integral_constantIbLb0EES1Q_EEDaS1L_S1M_EUlS1L_E_NS1_11comp_targetILNS1_3genE10ELNS1_11target_archE1200ELNS1_3gpuE4ELNS1_3repE0EEENS1_30default_config_static_selectorELNS0_4arch9wavefront6targetE0EEEvSZ_.has_indirect_call, 0
	.section	.AMDGPU.csdata,"",@progbits
; Kernel info:
; codeLenInByte = 0
; TotalNumSgprs: 0
; NumVgprs: 0
; ScratchSize: 0
; MemoryBound: 0
; FloatMode: 240
; IeeeMode: 1
; LDSByteSize: 0 bytes/workgroup (compile time only)
; SGPRBlocks: 0
; VGPRBlocks: 0
; NumSGPRsForWavesPerEU: 1
; NumVGPRsForWavesPerEU: 1
; Occupancy: 16
; WaveLimiterHint : 0
; COMPUTE_PGM_RSRC2:SCRATCH_EN: 0
; COMPUTE_PGM_RSRC2:USER_SGPR: 6
; COMPUTE_PGM_RSRC2:TRAP_HANDLER: 0
; COMPUTE_PGM_RSRC2:TGID_X_EN: 1
; COMPUTE_PGM_RSRC2:TGID_Y_EN: 0
; COMPUTE_PGM_RSRC2:TGID_Z_EN: 0
; COMPUTE_PGM_RSRC2:TIDIG_COMP_CNT: 0
	.section	.text._ZN7rocprim17ROCPRIM_400000_NS6detail17trampoline_kernelINS0_13select_configILj256ELj13ELNS0_17block_load_methodE3ELS4_3ELS4_3ELNS0_20block_scan_algorithmE0ELj4294967295EEENS1_25partition_config_selectorILNS1_17partition_subalgoE3EjNS0_10empty_typeEbEEZZNS1_14partition_implILS8_3ELb0ES6_jNS0_17counting_iteratorIjlEEPS9_SE_NS0_5tupleIJPjSE_EEENSF_IJSE_SE_EEES9_SG_JZNS1_25segmented_radix_sort_implINS0_14default_configELb1EPK12hip_bfloat16PSL_PKlPlN2at6native12_GLOBAL__N_18offset_tEEE10hipError_tPvRmT1_PNSt15iterator_traitsISZ_E10value_typeET2_T3_PNS10_IS15_E10value_typeET4_jRbjT5_S1B_jjP12ihipStream_tbEUljE_EEESW_SX_SY_S15_S19_S1B_T6_T7_T9_mT8_S1D_bDpT10_ENKUlT_T0_E_clISt17integral_constantIbLb0EES1Q_EEDaS1L_S1M_EUlS1L_E_NS1_11comp_targetILNS1_3genE9ELNS1_11target_archE1100ELNS1_3gpuE3ELNS1_3repE0EEENS1_30default_config_static_selectorELNS0_4arch9wavefront6targetE0EEEvSZ_,"axG",@progbits,_ZN7rocprim17ROCPRIM_400000_NS6detail17trampoline_kernelINS0_13select_configILj256ELj13ELNS0_17block_load_methodE3ELS4_3ELS4_3ELNS0_20block_scan_algorithmE0ELj4294967295EEENS1_25partition_config_selectorILNS1_17partition_subalgoE3EjNS0_10empty_typeEbEEZZNS1_14partition_implILS8_3ELb0ES6_jNS0_17counting_iteratorIjlEEPS9_SE_NS0_5tupleIJPjSE_EEENSF_IJSE_SE_EEES9_SG_JZNS1_25segmented_radix_sort_implINS0_14default_configELb1EPK12hip_bfloat16PSL_PKlPlN2at6native12_GLOBAL__N_18offset_tEEE10hipError_tPvRmT1_PNSt15iterator_traitsISZ_E10value_typeET2_T3_PNS10_IS15_E10value_typeET4_jRbjT5_S1B_jjP12ihipStream_tbEUljE_EEESW_SX_SY_S15_S19_S1B_T6_T7_T9_mT8_S1D_bDpT10_ENKUlT_T0_E_clISt17integral_constantIbLb0EES1Q_EEDaS1L_S1M_EUlS1L_E_NS1_11comp_targetILNS1_3genE9ELNS1_11target_archE1100ELNS1_3gpuE3ELNS1_3repE0EEENS1_30default_config_static_selectorELNS0_4arch9wavefront6targetE0EEEvSZ_,comdat
	.globl	_ZN7rocprim17ROCPRIM_400000_NS6detail17trampoline_kernelINS0_13select_configILj256ELj13ELNS0_17block_load_methodE3ELS4_3ELS4_3ELNS0_20block_scan_algorithmE0ELj4294967295EEENS1_25partition_config_selectorILNS1_17partition_subalgoE3EjNS0_10empty_typeEbEEZZNS1_14partition_implILS8_3ELb0ES6_jNS0_17counting_iteratorIjlEEPS9_SE_NS0_5tupleIJPjSE_EEENSF_IJSE_SE_EEES9_SG_JZNS1_25segmented_radix_sort_implINS0_14default_configELb1EPK12hip_bfloat16PSL_PKlPlN2at6native12_GLOBAL__N_18offset_tEEE10hipError_tPvRmT1_PNSt15iterator_traitsISZ_E10value_typeET2_T3_PNS10_IS15_E10value_typeET4_jRbjT5_S1B_jjP12ihipStream_tbEUljE_EEESW_SX_SY_S15_S19_S1B_T6_T7_T9_mT8_S1D_bDpT10_ENKUlT_T0_E_clISt17integral_constantIbLb0EES1Q_EEDaS1L_S1M_EUlS1L_E_NS1_11comp_targetILNS1_3genE9ELNS1_11target_archE1100ELNS1_3gpuE3ELNS1_3repE0EEENS1_30default_config_static_selectorELNS0_4arch9wavefront6targetE0EEEvSZ_ ; -- Begin function _ZN7rocprim17ROCPRIM_400000_NS6detail17trampoline_kernelINS0_13select_configILj256ELj13ELNS0_17block_load_methodE3ELS4_3ELS4_3ELNS0_20block_scan_algorithmE0ELj4294967295EEENS1_25partition_config_selectorILNS1_17partition_subalgoE3EjNS0_10empty_typeEbEEZZNS1_14partition_implILS8_3ELb0ES6_jNS0_17counting_iteratorIjlEEPS9_SE_NS0_5tupleIJPjSE_EEENSF_IJSE_SE_EEES9_SG_JZNS1_25segmented_radix_sort_implINS0_14default_configELb1EPK12hip_bfloat16PSL_PKlPlN2at6native12_GLOBAL__N_18offset_tEEE10hipError_tPvRmT1_PNSt15iterator_traitsISZ_E10value_typeET2_T3_PNS10_IS15_E10value_typeET4_jRbjT5_S1B_jjP12ihipStream_tbEUljE_EEESW_SX_SY_S15_S19_S1B_T6_T7_T9_mT8_S1D_bDpT10_ENKUlT_T0_E_clISt17integral_constantIbLb0EES1Q_EEDaS1L_S1M_EUlS1L_E_NS1_11comp_targetILNS1_3genE9ELNS1_11target_archE1100ELNS1_3gpuE3ELNS1_3repE0EEENS1_30default_config_static_selectorELNS0_4arch9wavefront6targetE0EEEvSZ_
	.p2align	8
	.type	_ZN7rocprim17ROCPRIM_400000_NS6detail17trampoline_kernelINS0_13select_configILj256ELj13ELNS0_17block_load_methodE3ELS4_3ELS4_3ELNS0_20block_scan_algorithmE0ELj4294967295EEENS1_25partition_config_selectorILNS1_17partition_subalgoE3EjNS0_10empty_typeEbEEZZNS1_14partition_implILS8_3ELb0ES6_jNS0_17counting_iteratorIjlEEPS9_SE_NS0_5tupleIJPjSE_EEENSF_IJSE_SE_EEES9_SG_JZNS1_25segmented_radix_sort_implINS0_14default_configELb1EPK12hip_bfloat16PSL_PKlPlN2at6native12_GLOBAL__N_18offset_tEEE10hipError_tPvRmT1_PNSt15iterator_traitsISZ_E10value_typeET2_T3_PNS10_IS15_E10value_typeET4_jRbjT5_S1B_jjP12ihipStream_tbEUljE_EEESW_SX_SY_S15_S19_S1B_T6_T7_T9_mT8_S1D_bDpT10_ENKUlT_T0_E_clISt17integral_constantIbLb0EES1Q_EEDaS1L_S1M_EUlS1L_E_NS1_11comp_targetILNS1_3genE9ELNS1_11target_archE1100ELNS1_3gpuE3ELNS1_3repE0EEENS1_30default_config_static_selectorELNS0_4arch9wavefront6targetE0EEEvSZ_,@function
_ZN7rocprim17ROCPRIM_400000_NS6detail17trampoline_kernelINS0_13select_configILj256ELj13ELNS0_17block_load_methodE3ELS4_3ELS4_3ELNS0_20block_scan_algorithmE0ELj4294967295EEENS1_25partition_config_selectorILNS1_17partition_subalgoE3EjNS0_10empty_typeEbEEZZNS1_14partition_implILS8_3ELb0ES6_jNS0_17counting_iteratorIjlEEPS9_SE_NS0_5tupleIJPjSE_EEENSF_IJSE_SE_EEES9_SG_JZNS1_25segmented_radix_sort_implINS0_14default_configELb1EPK12hip_bfloat16PSL_PKlPlN2at6native12_GLOBAL__N_18offset_tEEE10hipError_tPvRmT1_PNSt15iterator_traitsISZ_E10value_typeET2_T3_PNS10_IS15_E10value_typeET4_jRbjT5_S1B_jjP12ihipStream_tbEUljE_EEESW_SX_SY_S15_S19_S1B_T6_T7_T9_mT8_S1D_bDpT10_ENKUlT_T0_E_clISt17integral_constantIbLb0EES1Q_EEDaS1L_S1M_EUlS1L_E_NS1_11comp_targetILNS1_3genE9ELNS1_11target_archE1100ELNS1_3gpuE3ELNS1_3repE0EEENS1_30default_config_static_selectorELNS0_4arch9wavefront6targetE0EEEvSZ_: ; @_ZN7rocprim17ROCPRIM_400000_NS6detail17trampoline_kernelINS0_13select_configILj256ELj13ELNS0_17block_load_methodE3ELS4_3ELS4_3ELNS0_20block_scan_algorithmE0ELj4294967295EEENS1_25partition_config_selectorILNS1_17partition_subalgoE3EjNS0_10empty_typeEbEEZZNS1_14partition_implILS8_3ELb0ES6_jNS0_17counting_iteratorIjlEEPS9_SE_NS0_5tupleIJPjSE_EEENSF_IJSE_SE_EEES9_SG_JZNS1_25segmented_radix_sort_implINS0_14default_configELb1EPK12hip_bfloat16PSL_PKlPlN2at6native12_GLOBAL__N_18offset_tEEE10hipError_tPvRmT1_PNSt15iterator_traitsISZ_E10value_typeET2_T3_PNS10_IS15_E10value_typeET4_jRbjT5_S1B_jjP12ihipStream_tbEUljE_EEESW_SX_SY_S15_S19_S1B_T6_T7_T9_mT8_S1D_bDpT10_ENKUlT_T0_E_clISt17integral_constantIbLb0EES1Q_EEDaS1L_S1M_EUlS1L_E_NS1_11comp_targetILNS1_3genE9ELNS1_11target_archE1100ELNS1_3gpuE3ELNS1_3repE0EEENS1_30default_config_static_selectorELNS0_4arch9wavefront6targetE0EEEvSZ_
; %bb.0:
	.section	.rodata,"a",@progbits
	.p2align	6, 0x0
	.amdhsa_kernel _ZN7rocprim17ROCPRIM_400000_NS6detail17trampoline_kernelINS0_13select_configILj256ELj13ELNS0_17block_load_methodE3ELS4_3ELS4_3ELNS0_20block_scan_algorithmE0ELj4294967295EEENS1_25partition_config_selectorILNS1_17partition_subalgoE3EjNS0_10empty_typeEbEEZZNS1_14partition_implILS8_3ELb0ES6_jNS0_17counting_iteratorIjlEEPS9_SE_NS0_5tupleIJPjSE_EEENSF_IJSE_SE_EEES9_SG_JZNS1_25segmented_radix_sort_implINS0_14default_configELb1EPK12hip_bfloat16PSL_PKlPlN2at6native12_GLOBAL__N_18offset_tEEE10hipError_tPvRmT1_PNSt15iterator_traitsISZ_E10value_typeET2_T3_PNS10_IS15_E10value_typeET4_jRbjT5_S1B_jjP12ihipStream_tbEUljE_EEESW_SX_SY_S15_S19_S1B_T6_T7_T9_mT8_S1D_bDpT10_ENKUlT_T0_E_clISt17integral_constantIbLb0EES1Q_EEDaS1L_S1M_EUlS1L_E_NS1_11comp_targetILNS1_3genE9ELNS1_11target_archE1100ELNS1_3gpuE3ELNS1_3repE0EEENS1_30default_config_static_selectorELNS0_4arch9wavefront6targetE0EEEvSZ_
		.amdhsa_group_segment_fixed_size 0
		.amdhsa_private_segment_fixed_size 0
		.amdhsa_kernarg_size 144
		.amdhsa_user_sgpr_count 6
		.amdhsa_user_sgpr_private_segment_buffer 1
		.amdhsa_user_sgpr_dispatch_ptr 0
		.amdhsa_user_sgpr_queue_ptr 0
		.amdhsa_user_sgpr_kernarg_segment_ptr 1
		.amdhsa_user_sgpr_dispatch_id 0
		.amdhsa_user_sgpr_flat_scratch_init 0
		.amdhsa_user_sgpr_private_segment_size 0
		.amdhsa_wavefront_size32 1
		.amdhsa_uses_dynamic_stack 0
		.amdhsa_system_sgpr_private_segment_wavefront_offset 0
		.amdhsa_system_sgpr_workgroup_id_x 1
		.amdhsa_system_sgpr_workgroup_id_y 0
		.amdhsa_system_sgpr_workgroup_id_z 0
		.amdhsa_system_sgpr_workgroup_info 0
		.amdhsa_system_vgpr_workitem_id 0
		.amdhsa_next_free_vgpr 1
		.amdhsa_next_free_sgpr 1
		.amdhsa_reserve_vcc 0
		.amdhsa_reserve_flat_scratch 0
		.amdhsa_float_round_mode_32 0
		.amdhsa_float_round_mode_16_64 0
		.amdhsa_float_denorm_mode_32 3
		.amdhsa_float_denorm_mode_16_64 3
		.amdhsa_dx10_clamp 1
		.amdhsa_ieee_mode 1
		.amdhsa_fp16_overflow 0
		.amdhsa_workgroup_processor_mode 1
		.amdhsa_memory_ordered 1
		.amdhsa_forward_progress 1
		.amdhsa_shared_vgpr_count 0
		.amdhsa_exception_fp_ieee_invalid_op 0
		.amdhsa_exception_fp_denorm_src 0
		.amdhsa_exception_fp_ieee_div_zero 0
		.amdhsa_exception_fp_ieee_overflow 0
		.amdhsa_exception_fp_ieee_underflow 0
		.amdhsa_exception_fp_ieee_inexact 0
		.amdhsa_exception_int_div_zero 0
	.end_amdhsa_kernel
	.section	.text._ZN7rocprim17ROCPRIM_400000_NS6detail17trampoline_kernelINS0_13select_configILj256ELj13ELNS0_17block_load_methodE3ELS4_3ELS4_3ELNS0_20block_scan_algorithmE0ELj4294967295EEENS1_25partition_config_selectorILNS1_17partition_subalgoE3EjNS0_10empty_typeEbEEZZNS1_14partition_implILS8_3ELb0ES6_jNS0_17counting_iteratorIjlEEPS9_SE_NS0_5tupleIJPjSE_EEENSF_IJSE_SE_EEES9_SG_JZNS1_25segmented_radix_sort_implINS0_14default_configELb1EPK12hip_bfloat16PSL_PKlPlN2at6native12_GLOBAL__N_18offset_tEEE10hipError_tPvRmT1_PNSt15iterator_traitsISZ_E10value_typeET2_T3_PNS10_IS15_E10value_typeET4_jRbjT5_S1B_jjP12ihipStream_tbEUljE_EEESW_SX_SY_S15_S19_S1B_T6_T7_T9_mT8_S1D_bDpT10_ENKUlT_T0_E_clISt17integral_constantIbLb0EES1Q_EEDaS1L_S1M_EUlS1L_E_NS1_11comp_targetILNS1_3genE9ELNS1_11target_archE1100ELNS1_3gpuE3ELNS1_3repE0EEENS1_30default_config_static_selectorELNS0_4arch9wavefront6targetE0EEEvSZ_,"axG",@progbits,_ZN7rocprim17ROCPRIM_400000_NS6detail17trampoline_kernelINS0_13select_configILj256ELj13ELNS0_17block_load_methodE3ELS4_3ELS4_3ELNS0_20block_scan_algorithmE0ELj4294967295EEENS1_25partition_config_selectorILNS1_17partition_subalgoE3EjNS0_10empty_typeEbEEZZNS1_14partition_implILS8_3ELb0ES6_jNS0_17counting_iteratorIjlEEPS9_SE_NS0_5tupleIJPjSE_EEENSF_IJSE_SE_EEES9_SG_JZNS1_25segmented_radix_sort_implINS0_14default_configELb1EPK12hip_bfloat16PSL_PKlPlN2at6native12_GLOBAL__N_18offset_tEEE10hipError_tPvRmT1_PNSt15iterator_traitsISZ_E10value_typeET2_T3_PNS10_IS15_E10value_typeET4_jRbjT5_S1B_jjP12ihipStream_tbEUljE_EEESW_SX_SY_S15_S19_S1B_T6_T7_T9_mT8_S1D_bDpT10_ENKUlT_T0_E_clISt17integral_constantIbLb0EES1Q_EEDaS1L_S1M_EUlS1L_E_NS1_11comp_targetILNS1_3genE9ELNS1_11target_archE1100ELNS1_3gpuE3ELNS1_3repE0EEENS1_30default_config_static_selectorELNS0_4arch9wavefront6targetE0EEEvSZ_,comdat
.Lfunc_end1910:
	.size	_ZN7rocprim17ROCPRIM_400000_NS6detail17trampoline_kernelINS0_13select_configILj256ELj13ELNS0_17block_load_methodE3ELS4_3ELS4_3ELNS0_20block_scan_algorithmE0ELj4294967295EEENS1_25partition_config_selectorILNS1_17partition_subalgoE3EjNS0_10empty_typeEbEEZZNS1_14partition_implILS8_3ELb0ES6_jNS0_17counting_iteratorIjlEEPS9_SE_NS0_5tupleIJPjSE_EEENSF_IJSE_SE_EEES9_SG_JZNS1_25segmented_radix_sort_implINS0_14default_configELb1EPK12hip_bfloat16PSL_PKlPlN2at6native12_GLOBAL__N_18offset_tEEE10hipError_tPvRmT1_PNSt15iterator_traitsISZ_E10value_typeET2_T3_PNS10_IS15_E10value_typeET4_jRbjT5_S1B_jjP12ihipStream_tbEUljE_EEESW_SX_SY_S15_S19_S1B_T6_T7_T9_mT8_S1D_bDpT10_ENKUlT_T0_E_clISt17integral_constantIbLb0EES1Q_EEDaS1L_S1M_EUlS1L_E_NS1_11comp_targetILNS1_3genE9ELNS1_11target_archE1100ELNS1_3gpuE3ELNS1_3repE0EEENS1_30default_config_static_selectorELNS0_4arch9wavefront6targetE0EEEvSZ_, .Lfunc_end1910-_ZN7rocprim17ROCPRIM_400000_NS6detail17trampoline_kernelINS0_13select_configILj256ELj13ELNS0_17block_load_methodE3ELS4_3ELS4_3ELNS0_20block_scan_algorithmE0ELj4294967295EEENS1_25partition_config_selectorILNS1_17partition_subalgoE3EjNS0_10empty_typeEbEEZZNS1_14partition_implILS8_3ELb0ES6_jNS0_17counting_iteratorIjlEEPS9_SE_NS0_5tupleIJPjSE_EEENSF_IJSE_SE_EEES9_SG_JZNS1_25segmented_radix_sort_implINS0_14default_configELb1EPK12hip_bfloat16PSL_PKlPlN2at6native12_GLOBAL__N_18offset_tEEE10hipError_tPvRmT1_PNSt15iterator_traitsISZ_E10value_typeET2_T3_PNS10_IS15_E10value_typeET4_jRbjT5_S1B_jjP12ihipStream_tbEUljE_EEESW_SX_SY_S15_S19_S1B_T6_T7_T9_mT8_S1D_bDpT10_ENKUlT_T0_E_clISt17integral_constantIbLb0EES1Q_EEDaS1L_S1M_EUlS1L_E_NS1_11comp_targetILNS1_3genE9ELNS1_11target_archE1100ELNS1_3gpuE3ELNS1_3repE0EEENS1_30default_config_static_selectorELNS0_4arch9wavefront6targetE0EEEvSZ_
                                        ; -- End function
	.set _ZN7rocprim17ROCPRIM_400000_NS6detail17trampoline_kernelINS0_13select_configILj256ELj13ELNS0_17block_load_methodE3ELS4_3ELS4_3ELNS0_20block_scan_algorithmE0ELj4294967295EEENS1_25partition_config_selectorILNS1_17partition_subalgoE3EjNS0_10empty_typeEbEEZZNS1_14partition_implILS8_3ELb0ES6_jNS0_17counting_iteratorIjlEEPS9_SE_NS0_5tupleIJPjSE_EEENSF_IJSE_SE_EEES9_SG_JZNS1_25segmented_radix_sort_implINS0_14default_configELb1EPK12hip_bfloat16PSL_PKlPlN2at6native12_GLOBAL__N_18offset_tEEE10hipError_tPvRmT1_PNSt15iterator_traitsISZ_E10value_typeET2_T3_PNS10_IS15_E10value_typeET4_jRbjT5_S1B_jjP12ihipStream_tbEUljE_EEESW_SX_SY_S15_S19_S1B_T6_T7_T9_mT8_S1D_bDpT10_ENKUlT_T0_E_clISt17integral_constantIbLb0EES1Q_EEDaS1L_S1M_EUlS1L_E_NS1_11comp_targetILNS1_3genE9ELNS1_11target_archE1100ELNS1_3gpuE3ELNS1_3repE0EEENS1_30default_config_static_selectorELNS0_4arch9wavefront6targetE0EEEvSZ_.num_vgpr, 0
	.set _ZN7rocprim17ROCPRIM_400000_NS6detail17trampoline_kernelINS0_13select_configILj256ELj13ELNS0_17block_load_methodE3ELS4_3ELS4_3ELNS0_20block_scan_algorithmE0ELj4294967295EEENS1_25partition_config_selectorILNS1_17partition_subalgoE3EjNS0_10empty_typeEbEEZZNS1_14partition_implILS8_3ELb0ES6_jNS0_17counting_iteratorIjlEEPS9_SE_NS0_5tupleIJPjSE_EEENSF_IJSE_SE_EEES9_SG_JZNS1_25segmented_radix_sort_implINS0_14default_configELb1EPK12hip_bfloat16PSL_PKlPlN2at6native12_GLOBAL__N_18offset_tEEE10hipError_tPvRmT1_PNSt15iterator_traitsISZ_E10value_typeET2_T3_PNS10_IS15_E10value_typeET4_jRbjT5_S1B_jjP12ihipStream_tbEUljE_EEESW_SX_SY_S15_S19_S1B_T6_T7_T9_mT8_S1D_bDpT10_ENKUlT_T0_E_clISt17integral_constantIbLb0EES1Q_EEDaS1L_S1M_EUlS1L_E_NS1_11comp_targetILNS1_3genE9ELNS1_11target_archE1100ELNS1_3gpuE3ELNS1_3repE0EEENS1_30default_config_static_selectorELNS0_4arch9wavefront6targetE0EEEvSZ_.num_agpr, 0
	.set _ZN7rocprim17ROCPRIM_400000_NS6detail17trampoline_kernelINS0_13select_configILj256ELj13ELNS0_17block_load_methodE3ELS4_3ELS4_3ELNS0_20block_scan_algorithmE0ELj4294967295EEENS1_25partition_config_selectorILNS1_17partition_subalgoE3EjNS0_10empty_typeEbEEZZNS1_14partition_implILS8_3ELb0ES6_jNS0_17counting_iteratorIjlEEPS9_SE_NS0_5tupleIJPjSE_EEENSF_IJSE_SE_EEES9_SG_JZNS1_25segmented_radix_sort_implINS0_14default_configELb1EPK12hip_bfloat16PSL_PKlPlN2at6native12_GLOBAL__N_18offset_tEEE10hipError_tPvRmT1_PNSt15iterator_traitsISZ_E10value_typeET2_T3_PNS10_IS15_E10value_typeET4_jRbjT5_S1B_jjP12ihipStream_tbEUljE_EEESW_SX_SY_S15_S19_S1B_T6_T7_T9_mT8_S1D_bDpT10_ENKUlT_T0_E_clISt17integral_constantIbLb0EES1Q_EEDaS1L_S1M_EUlS1L_E_NS1_11comp_targetILNS1_3genE9ELNS1_11target_archE1100ELNS1_3gpuE3ELNS1_3repE0EEENS1_30default_config_static_selectorELNS0_4arch9wavefront6targetE0EEEvSZ_.numbered_sgpr, 0
	.set _ZN7rocprim17ROCPRIM_400000_NS6detail17trampoline_kernelINS0_13select_configILj256ELj13ELNS0_17block_load_methodE3ELS4_3ELS4_3ELNS0_20block_scan_algorithmE0ELj4294967295EEENS1_25partition_config_selectorILNS1_17partition_subalgoE3EjNS0_10empty_typeEbEEZZNS1_14partition_implILS8_3ELb0ES6_jNS0_17counting_iteratorIjlEEPS9_SE_NS0_5tupleIJPjSE_EEENSF_IJSE_SE_EEES9_SG_JZNS1_25segmented_radix_sort_implINS0_14default_configELb1EPK12hip_bfloat16PSL_PKlPlN2at6native12_GLOBAL__N_18offset_tEEE10hipError_tPvRmT1_PNSt15iterator_traitsISZ_E10value_typeET2_T3_PNS10_IS15_E10value_typeET4_jRbjT5_S1B_jjP12ihipStream_tbEUljE_EEESW_SX_SY_S15_S19_S1B_T6_T7_T9_mT8_S1D_bDpT10_ENKUlT_T0_E_clISt17integral_constantIbLb0EES1Q_EEDaS1L_S1M_EUlS1L_E_NS1_11comp_targetILNS1_3genE9ELNS1_11target_archE1100ELNS1_3gpuE3ELNS1_3repE0EEENS1_30default_config_static_selectorELNS0_4arch9wavefront6targetE0EEEvSZ_.num_named_barrier, 0
	.set _ZN7rocprim17ROCPRIM_400000_NS6detail17trampoline_kernelINS0_13select_configILj256ELj13ELNS0_17block_load_methodE3ELS4_3ELS4_3ELNS0_20block_scan_algorithmE0ELj4294967295EEENS1_25partition_config_selectorILNS1_17partition_subalgoE3EjNS0_10empty_typeEbEEZZNS1_14partition_implILS8_3ELb0ES6_jNS0_17counting_iteratorIjlEEPS9_SE_NS0_5tupleIJPjSE_EEENSF_IJSE_SE_EEES9_SG_JZNS1_25segmented_radix_sort_implINS0_14default_configELb1EPK12hip_bfloat16PSL_PKlPlN2at6native12_GLOBAL__N_18offset_tEEE10hipError_tPvRmT1_PNSt15iterator_traitsISZ_E10value_typeET2_T3_PNS10_IS15_E10value_typeET4_jRbjT5_S1B_jjP12ihipStream_tbEUljE_EEESW_SX_SY_S15_S19_S1B_T6_T7_T9_mT8_S1D_bDpT10_ENKUlT_T0_E_clISt17integral_constantIbLb0EES1Q_EEDaS1L_S1M_EUlS1L_E_NS1_11comp_targetILNS1_3genE9ELNS1_11target_archE1100ELNS1_3gpuE3ELNS1_3repE0EEENS1_30default_config_static_selectorELNS0_4arch9wavefront6targetE0EEEvSZ_.private_seg_size, 0
	.set _ZN7rocprim17ROCPRIM_400000_NS6detail17trampoline_kernelINS0_13select_configILj256ELj13ELNS0_17block_load_methodE3ELS4_3ELS4_3ELNS0_20block_scan_algorithmE0ELj4294967295EEENS1_25partition_config_selectorILNS1_17partition_subalgoE3EjNS0_10empty_typeEbEEZZNS1_14partition_implILS8_3ELb0ES6_jNS0_17counting_iteratorIjlEEPS9_SE_NS0_5tupleIJPjSE_EEENSF_IJSE_SE_EEES9_SG_JZNS1_25segmented_radix_sort_implINS0_14default_configELb1EPK12hip_bfloat16PSL_PKlPlN2at6native12_GLOBAL__N_18offset_tEEE10hipError_tPvRmT1_PNSt15iterator_traitsISZ_E10value_typeET2_T3_PNS10_IS15_E10value_typeET4_jRbjT5_S1B_jjP12ihipStream_tbEUljE_EEESW_SX_SY_S15_S19_S1B_T6_T7_T9_mT8_S1D_bDpT10_ENKUlT_T0_E_clISt17integral_constantIbLb0EES1Q_EEDaS1L_S1M_EUlS1L_E_NS1_11comp_targetILNS1_3genE9ELNS1_11target_archE1100ELNS1_3gpuE3ELNS1_3repE0EEENS1_30default_config_static_selectorELNS0_4arch9wavefront6targetE0EEEvSZ_.uses_vcc, 0
	.set _ZN7rocprim17ROCPRIM_400000_NS6detail17trampoline_kernelINS0_13select_configILj256ELj13ELNS0_17block_load_methodE3ELS4_3ELS4_3ELNS0_20block_scan_algorithmE0ELj4294967295EEENS1_25partition_config_selectorILNS1_17partition_subalgoE3EjNS0_10empty_typeEbEEZZNS1_14partition_implILS8_3ELb0ES6_jNS0_17counting_iteratorIjlEEPS9_SE_NS0_5tupleIJPjSE_EEENSF_IJSE_SE_EEES9_SG_JZNS1_25segmented_radix_sort_implINS0_14default_configELb1EPK12hip_bfloat16PSL_PKlPlN2at6native12_GLOBAL__N_18offset_tEEE10hipError_tPvRmT1_PNSt15iterator_traitsISZ_E10value_typeET2_T3_PNS10_IS15_E10value_typeET4_jRbjT5_S1B_jjP12ihipStream_tbEUljE_EEESW_SX_SY_S15_S19_S1B_T6_T7_T9_mT8_S1D_bDpT10_ENKUlT_T0_E_clISt17integral_constantIbLb0EES1Q_EEDaS1L_S1M_EUlS1L_E_NS1_11comp_targetILNS1_3genE9ELNS1_11target_archE1100ELNS1_3gpuE3ELNS1_3repE0EEENS1_30default_config_static_selectorELNS0_4arch9wavefront6targetE0EEEvSZ_.uses_flat_scratch, 0
	.set _ZN7rocprim17ROCPRIM_400000_NS6detail17trampoline_kernelINS0_13select_configILj256ELj13ELNS0_17block_load_methodE3ELS4_3ELS4_3ELNS0_20block_scan_algorithmE0ELj4294967295EEENS1_25partition_config_selectorILNS1_17partition_subalgoE3EjNS0_10empty_typeEbEEZZNS1_14partition_implILS8_3ELb0ES6_jNS0_17counting_iteratorIjlEEPS9_SE_NS0_5tupleIJPjSE_EEENSF_IJSE_SE_EEES9_SG_JZNS1_25segmented_radix_sort_implINS0_14default_configELb1EPK12hip_bfloat16PSL_PKlPlN2at6native12_GLOBAL__N_18offset_tEEE10hipError_tPvRmT1_PNSt15iterator_traitsISZ_E10value_typeET2_T3_PNS10_IS15_E10value_typeET4_jRbjT5_S1B_jjP12ihipStream_tbEUljE_EEESW_SX_SY_S15_S19_S1B_T6_T7_T9_mT8_S1D_bDpT10_ENKUlT_T0_E_clISt17integral_constantIbLb0EES1Q_EEDaS1L_S1M_EUlS1L_E_NS1_11comp_targetILNS1_3genE9ELNS1_11target_archE1100ELNS1_3gpuE3ELNS1_3repE0EEENS1_30default_config_static_selectorELNS0_4arch9wavefront6targetE0EEEvSZ_.has_dyn_sized_stack, 0
	.set _ZN7rocprim17ROCPRIM_400000_NS6detail17trampoline_kernelINS0_13select_configILj256ELj13ELNS0_17block_load_methodE3ELS4_3ELS4_3ELNS0_20block_scan_algorithmE0ELj4294967295EEENS1_25partition_config_selectorILNS1_17partition_subalgoE3EjNS0_10empty_typeEbEEZZNS1_14partition_implILS8_3ELb0ES6_jNS0_17counting_iteratorIjlEEPS9_SE_NS0_5tupleIJPjSE_EEENSF_IJSE_SE_EEES9_SG_JZNS1_25segmented_radix_sort_implINS0_14default_configELb1EPK12hip_bfloat16PSL_PKlPlN2at6native12_GLOBAL__N_18offset_tEEE10hipError_tPvRmT1_PNSt15iterator_traitsISZ_E10value_typeET2_T3_PNS10_IS15_E10value_typeET4_jRbjT5_S1B_jjP12ihipStream_tbEUljE_EEESW_SX_SY_S15_S19_S1B_T6_T7_T9_mT8_S1D_bDpT10_ENKUlT_T0_E_clISt17integral_constantIbLb0EES1Q_EEDaS1L_S1M_EUlS1L_E_NS1_11comp_targetILNS1_3genE9ELNS1_11target_archE1100ELNS1_3gpuE3ELNS1_3repE0EEENS1_30default_config_static_selectorELNS0_4arch9wavefront6targetE0EEEvSZ_.has_recursion, 0
	.set _ZN7rocprim17ROCPRIM_400000_NS6detail17trampoline_kernelINS0_13select_configILj256ELj13ELNS0_17block_load_methodE3ELS4_3ELS4_3ELNS0_20block_scan_algorithmE0ELj4294967295EEENS1_25partition_config_selectorILNS1_17partition_subalgoE3EjNS0_10empty_typeEbEEZZNS1_14partition_implILS8_3ELb0ES6_jNS0_17counting_iteratorIjlEEPS9_SE_NS0_5tupleIJPjSE_EEENSF_IJSE_SE_EEES9_SG_JZNS1_25segmented_radix_sort_implINS0_14default_configELb1EPK12hip_bfloat16PSL_PKlPlN2at6native12_GLOBAL__N_18offset_tEEE10hipError_tPvRmT1_PNSt15iterator_traitsISZ_E10value_typeET2_T3_PNS10_IS15_E10value_typeET4_jRbjT5_S1B_jjP12ihipStream_tbEUljE_EEESW_SX_SY_S15_S19_S1B_T6_T7_T9_mT8_S1D_bDpT10_ENKUlT_T0_E_clISt17integral_constantIbLb0EES1Q_EEDaS1L_S1M_EUlS1L_E_NS1_11comp_targetILNS1_3genE9ELNS1_11target_archE1100ELNS1_3gpuE3ELNS1_3repE0EEENS1_30default_config_static_selectorELNS0_4arch9wavefront6targetE0EEEvSZ_.has_indirect_call, 0
	.section	.AMDGPU.csdata,"",@progbits
; Kernel info:
; codeLenInByte = 0
; TotalNumSgprs: 0
; NumVgprs: 0
; ScratchSize: 0
; MemoryBound: 0
; FloatMode: 240
; IeeeMode: 1
; LDSByteSize: 0 bytes/workgroup (compile time only)
; SGPRBlocks: 0
; VGPRBlocks: 0
; NumSGPRsForWavesPerEU: 1
; NumVGPRsForWavesPerEU: 1
; Occupancy: 16
; WaveLimiterHint : 0
; COMPUTE_PGM_RSRC2:SCRATCH_EN: 0
; COMPUTE_PGM_RSRC2:USER_SGPR: 6
; COMPUTE_PGM_RSRC2:TRAP_HANDLER: 0
; COMPUTE_PGM_RSRC2:TGID_X_EN: 1
; COMPUTE_PGM_RSRC2:TGID_Y_EN: 0
; COMPUTE_PGM_RSRC2:TGID_Z_EN: 0
; COMPUTE_PGM_RSRC2:TIDIG_COMP_CNT: 0
	.section	.text._ZN7rocprim17ROCPRIM_400000_NS6detail17trampoline_kernelINS0_13select_configILj256ELj13ELNS0_17block_load_methodE3ELS4_3ELS4_3ELNS0_20block_scan_algorithmE0ELj4294967295EEENS1_25partition_config_selectorILNS1_17partition_subalgoE3EjNS0_10empty_typeEbEEZZNS1_14partition_implILS8_3ELb0ES6_jNS0_17counting_iteratorIjlEEPS9_SE_NS0_5tupleIJPjSE_EEENSF_IJSE_SE_EEES9_SG_JZNS1_25segmented_radix_sort_implINS0_14default_configELb1EPK12hip_bfloat16PSL_PKlPlN2at6native12_GLOBAL__N_18offset_tEEE10hipError_tPvRmT1_PNSt15iterator_traitsISZ_E10value_typeET2_T3_PNS10_IS15_E10value_typeET4_jRbjT5_S1B_jjP12ihipStream_tbEUljE_EEESW_SX_SY_S15_S19_S1B_T6_T7_T9_mT8_S1D_bDpT10_ENKUlT_T0_E_clISt17integral_constantIbLb0EES1Q_EEDaS1L_S1M_EUlS1L_E_NS1_11comp_targetILNS1_3genE8ELNS1_11target_archE1030ELNS1_3gpuE2ELNS1_3repE0EEENS1_30default_config_static_selectorELNS0_4arch9wavefront6targetE0EEEvSZ_,"axG",@progbits,_ZN7rocprim17ROCPRIM_400000_NS6detail17trampoline_kernelINS0_13select_configILj256ELj13ELNS0_17block_load_methodE3ELS4_3ELS4_3ELNS0_20block_scan_algorithmE0ELj4294967295EEENS1_25partition_config_selectorILNS1_17partition_subalgoE3EjNS0_10empty_typeEbEEZZNS1_14partition_implILS8_3ELb0ES6_jNS0_17counting_iteratorIjlEEPS9_SE_NS0_5tupleIJPjSE_EEENSF_IJSE_SE_EEES9_SG_JZNS1_25segmented_radix_sort_implINS0_14default_configELb1EPK12hip_bfloat16PSL_PKlPlN2at6native12_GLOBAL__N_18offset_tEEE10hipError_tPvRmT1_PNSt15iterator_traitsISZ_E10value_typeET2_T3_PNS10_IS15_E10value_typeET4_jRbjT5_S1B_jjP12ihipStream_tbEUljE_EEESW_SX_SY_S15_S19_S1B_T6_T7_T9_mT8_S1D_bDpT10_ENKUlT_T0_E_clISt17integral_constantIbLb0EES1Q_EEDaS1L_S1M_EUlS1L_E_NS1_11comp_targetILNS1_3genE8ELNS1_11target_archE1030ELNS1_3gpuE2ELNS1_3repE0EEENS1_30default_config_static_selectorELNS0_4arch9wavefront6targetE0EEEvSZ_,comdat
	.globl	_ZN7rocprim17ROCPRIM_400000_NS6detail17trampoline_kernelINS0_13select_configILj256ELj13ELNS0_17block_load_methodE3ELS4_3ELS4_3ELNS0_20block_scan_algorithmE0ELj4294967295EEENS1_25partition_config_selectorILNS1_17partition_subalgoE3EjNS0_10empty_typeEbEEZZNS1_14partition_implILS8_3ELb0ES6_jNS0_17counting_iteratorIjlEEPS9_SE_NS0_5tupleIJPjSE_EEENSF_IJSE_SE_EEES9_SG_JZNS1_25segmented_radix_sort_implINS0_14default_configELb1EPK12hip_bfloat16PSL_PKlPlN2at6native12_GLOBAL__N_18offset_tEEE10hipError_tPvRmT1_PNSt15iterator_traitsISZ_E10value_typeET2_T3_PNS10_IS15_E10value_typeET4_jRbjT5_S1B_jjP12ihipStream_tbEUljE_EEESW_SX_SY_S15_S19_S1B_T6_T7_T9_mT8_S1D_bDpT10_ENKUlT_T0_E_clISt17integral_constantIbLb0EES1Q_EEDaS1L_S1M_EUlS1L_E_NS1_11comp_targetILNS1_3genE8ELNS1_11target_archE1030ELNS1_3gpuE2ELNS1_3repE0EEENS1_30default_config_static_selectorELNS0_4arch9wavefront6targetE0EEEvSZ_ ; -- Begin function _ZN7rocprim17ROCPRIM_400000_NS6detail17trampoline_kernelINS0_13select_configILj256ELj13ELNS0_17block_load_methodE3ELS4_3ELS4_3ELNS0_20block_scan_algorithmE0ELj4294967295EEENS1_25partition_config_selectorILNS1_17partition_subalgoE3EjNS0_10empty_typeEbEEZZNS1_14partition_implILS8_3ELb0ES6_jNS0_17counting_iteratorIjlEEPS9_SE_NS0_5tupleIJPjSE_EEENSF_IJSE_SE_EEES9_SG_JZNS1_25segmented_radix_sort_implINS0_14default_configELb1EPK12hip_bfloat16PSL_PKlPlN2at6native12_GLOBAL__N_18offset_tEEE10hipError_tPvRmT1_PNSt15iterator_traitsISZ_E10value_typeET2_T3_PNS10_IS15_E10value_typeET4_jRbjT5_S1B_jjP12ihipStream_tbEUljE_EEESW_SX_SY_S15_S19_S1B_T6_T7_T9_mT8_S1D_bDpT10_ENKUlT_T0_E_clISt17integral_constantIbLb0EES1Q_EEDaS1L_S1M_EUlS1L_E_NS1_11comp_targetILNS1_3genE8ELNS1_11target_archE1030ELNS1_3gpuE2ELNS1_3repE0EEENS1_30default_config_static_selectorELNS0_4arch9wavefront6targetE0EEEvSZ_
	.p2align	8
	.type	_ZN7rocprim17ROCPRIM_400000_NS6detail17trampoline_kernelINS0_13select_configILj256ELj13ELNS0_17block_load_methodE3ELS4_3ELS4_3ELNS0_20block_scan_algorithmE0ELj4294967295EEENS1_25partition_config_selectorILNS1_17partition_subalgoE3EjNS0_10empty_typeEbEEZZNS1_14partition_implILS8_3ELb0ES6_jNS0_17counting_iteratorIjlEEPS9_SE_NS0_5tupleIJPjSE_EEENSF_IJSE_SE_EEES9_SG_JZNS1_25segmented_radix_sort_implINS0_14default_configELb1EPK12hip_bfloat16PSL_PKlPlN2at6native12_GLOBAL__N_18offset_tEEE10hipError_tPvRmT1_PNSt15iterator_traitsISZ_E10value_typeET2_T3_PNS10_IS15_E10value_typeET4_jRbjT5_S1B_jjP12ihipStream_tbEUljE_EEESW_SX_SY_S15_S19_S1B_T6_T7_T9_mT8_S1D_bDpT10_ENKUlT_T0_E_clISt17integral_constantIbLb0EES1Q_EEDaS1L_S1M_EUlS1L_E_NS1_11comp_targetILNS1_3genE8ELNS1_11target_archE1030ELNS1_3gpuE2ELNS1_3repE0EEENS1_30default_config_static_selectorELNS0_4arch9wavefront6targetE0EEEvSZ_,@function
_ZN7rocprim17ROCPRIM_400000_NS6detail17trampoline_kernelINS0_13select_configILj256ELj13ELNS0_17block_load_methodE3ELS4_3ELS4_3ELNS0_20block_scan_algorithmE0ELj4294967295EEENS1_25partition_config_selectorILNS1_17partition_subalgoE3EjNS0_10empty_typeEbEEZZNS1_14partition_implILS8_3ELb0ES6_jNS0_17counting_iteratorIjlEEPS9_SE_NS0_5tupleIJPjSE_EEENSF_IJSE_SE_EEES9_SG_JZNS1_25segmented_radix_sort_implINS0_14default_configELb1EPK12hip_bfloat16PSL_PKlPlN2at6native12_GLOBAL__N_18offset_tEEE10hipError_tPvRmT1_PNSt15iterator_traitsISZ_E10value_typeET2_T3_PNS10_IS15_E10value_typeET4_jRbjT5_S1B_jjP12ihipStream_tbEUljE_EEESW_SX_SY_S15_S19_S1B_T6_T7_T9_mT8_S1D_bDpT10_ENKUlT_T0_E_clISt17integral_constantIbLb0EES1Q_EEDaS1L_S1M_EUlS1L_E_NS1_11comp_targetILNS1_3genE8ELNS1_11target_archE1030ELNS1_3gpuE2ELNS1_3repE0EEENS1_30default_config_static_selectorELNS0_4arch9wavefront6targetE0EEEvSZ_: ; @_ZN7rocprim17ROCPRIM_400000_NS6detail17trampoline_kernelINS0_13select_configILj256ELj13ELNS0_17block_load_methodE3ELS4_3ELS4_3ELNS0_20block_scan_algorithmE0ELj4294967295EEENS1_25partition_config_selectorILNS1_17partition_subalgoE3EjNS0_10empty_typeEbEEZZNS1_14partition_implILS8_3ELb0ES6_jNS0_17counting_iteratorIjlEEPS9_SE_NS0_5tupleIJPjSE_EEENSF_IJSE_SE_EEES9_SG_JZNS1_25segmented_radix_sort_implINS0_14default_configELb1EPK12hip_bfloat16PSL_PKlPlN2at6native12_GLOBAL__N_18offset_tEEE10hipError_tPvRmT1_PNSt15iterator_traitsISZ_E10value_typeET2_T3_PNS10_IS15_E10value_typeET4_jRbjT5_S1B_jjP12ihipStream_tbEUljE_EEESW_SX_SY_S15_S19_S1B_T6_T7_T9_mT8_S1D_bDpT10_ENKUlT_T0_E_clISt17integral_constantIbLb0EES1Q_EEDaS1L_S1M_EUlS1L_E_NS1_11comp_targetILNS1_3genE8ELNS1_11target_archE1030ELNS1_3gpuE2ELNS1_3repE0EEENS1_30default_config_static_selectorELNS0_4arch9wavefront6targetE0EEEvSZ_
; %bb.0:
	s_clause 0x6
	s_load_dword s0, s[4:5], 0x70
	s_load_dwordx2 s[16:17], s[4:5], 0x10
	s_load_dwordx4 s[12:15], s[4:5], 0x48
	s_load_dwordx2 s[18:19], s[4:5], 0x58
	s_load_dword s7, s[4:5], 0x8
	s_load_dwordx4 s[8:11], s[4:5], 0x78
	s_load_dword s1, s[4:5], 0x88
	s_mul_i32 s26, s6, 0xd00
	v_lshlrev_b32_e32 v42, 2, v0
	s_waitcnt lgkmcnt(0)
	s_mul_i32 s2, s0, 0xd00
	s_add_i32 s0, s0, -1
	s_add_i32 s3, s2, s16
	s_load_dwordx2 s[20:21], s[14:15], 0x0
	s_sub_i32 s25, s18, s3
	s_addk_i32 s25, 0xd00
	s_add_u32 s2, s16, s2
	s_addc_u32 s3, s17, 0
	s_cmp_eq_u32 s6, s0
	v_cmp_gt_u64_e64 s2, s[18:19], s[2:3]
	s_cselect_b32 s24, -1, 0
	s_cmp_lg_u32 s6, s0
	s_cselect_b32 s0, -1, 0
	s_add_i32 s3, s7, s26
	s_or_b32 s2, s0, s2
	s_add_i32 s3, s3, s16
	s_and_b32 vcc_lo, exec_lo, s2
	v_add_nc_u32_e32 v1, s3, v0
	s_mov_b32 s7, -1
	s_cbranch_vccz .LBB1911_2
; %bb.1:
	v_add_nc_u32_e32 v2, 0x100, v1
	v_add_nc_u32_e32 v3, 0x200, v1
	v_add_nc_u32_e32 v4, 0x300, v1
	v_add_nc_u32_e32 v5, 0x400, v1
	v_add_nc_u32_e32 v6, 0x500, v1
	v_add_nc_u32_e32 v7, 0x600, v1
	v_add_nc_u32_e32 v8, 0x700, v1
	v_add_nc_u32_e32 v9, 0x800, v1
	v_add_nc_u32_e32 v10, 0x900, v1
	v_add_nc_u32_e32 v11, 0xa00, v1
	v_add_nc_u32_e32 v12, 0xb00, v1
	v_add_nc_u32_e32 v13, 0xc00, v1
	ds_write2st64_b32 v42, v1, v2 offset1:4
	ds_write2st64_b32 v42, v3, v4 offset0:8 offset1:12
	ds_write2st64_b32 v42, v5, v6 offset0:16 offset1:20
	;; [unrolled: 1-line block ×5, first 2 shown]
	ds_write_b32 v42, v13 offset:12288
	s_waitcnt lgkmcnt(0)
	s_mov_b32 s7, 0
	s_barrier
.LBB1911_2:
	v_cmp_gt_u32_e64 s0, s25, v0
	v_or_b32_e32 v41, 0x100, v0
	v_or_b32_e32 v40, 0x200, v0
	;; [unrolled: 1-line block ×12, first 2 shown]
	s_andn2_b32 vcc_lo, exec_lo, s7
	s_cbranch_vccnz .LBB1911_4
; %bb.3:
	v_add_nc_u32_e32 v2, s3, v41
	v_cmp_gt_u32_e32 vcc_lo, s25, v41
	v_add_nc_u32_e32 v3, s3, v40
	v_add_nc_u32_e32 v4, s3, v39
	;; [unrolled: 1-line block ×4, first 2 shown]
	v_cndmask_b32_e32 v2, 0, v2, vcc_lo
	v_cmp_gt_u32_e32 vcc_lo, s25, v40
	v_add_nc_u32_e32 v7, s3, v36
	v_add_nc_u32_e32 v8, s3, v35
	;; [unrolled: 1-line block ×4, first 2 shown]
	v_cndmask_b32_e32 v3, 0, v3, vcc_lo
	v_cmp_gt_u32_e32 vcc_lo, s25, v39
	v_add_nc_u32_e32 v11, s3, v32
	v_add_nc_u32_e32 v12, s3, v31
	v_cndmask_b32_e64 v1, 0, v1, s0
	v_add_nc_u32_e32 v13, s3, v30
	v_cndmask_b32_e32 v4, 0, v4, vcc_lo
	v_cmp_gt_u32_e32 vcc_lo, s25, v38
	v_cndmask_b32_e32 v5, 0, v5, vcc_lo
	v_cmp_gt_u32_e32 vcc_lo, s25, v37
	;; [unrolled: 2-line block ×9, first 2 shown]
	v_cndmask_b32_e32 v13, 0, v13, vcc_lo
	ds_write2st64_b32 v42, v1, v2 offset1:4
	ds_write2st64_b32 v42, v3, v4 offset0:8 offset1:12
	ds_write2st64_b32 v42, v5, v6 offset0:16 offset1:20
	;; [unrolled: 1-line block ×5, first 2 shown]
	ds_write_b32 v42, v13 offset:12288
	s_waitcnt lgkmcnt(0)
	s_barrier
.LBB1911_4:
	v_mul_u32_u24_e32 v45, 13, v0
	s_waitcnt lgkmcnt(0)
	buffer_gl0_inv
	v_cndmask_b32_e64 v43, 0, 1, s2
	s_andn2_b32 vcc_lo, exec_lo, s2
	v_lshlrev_b32_e32 v1, 2, v45
	ds_read2_b32 v[26:27], v1 offset0:2 offset1:3
	ds_read2_b32 v[22:23], v1 offset0:6 offset1:7
	;; [unrolled: 1-line block ×3, first 2 shown]
	ds_read2_b32 v[28:29], v1 offset1:1
	ds_read2_b32 v[18:19], v1 offset0:10 offset1:11
	ds_read_b32 v44, v1 offset:48
	ds_read2_b32 v[20:21], v1 offset0:8 offset1:9
	s_waitcnt lgkmcnt(0)
	s_barrier
	buffer_gl0_inv
	s_cbranch_vccnz .LBB1911_6
; %bb.5:
	v_add_nc_u32_e32 v1, s9, v27
	v_add_nc_u32_e32 v4, s9, v26
	;; [unrolled: 1-line block ×6, first 2 shown]
	v_mul_lo_u32 v4, v4, s8
	v_mul_lo_u32 v1, v1, s8
	v_mul_lo_u32 v5, v5, s10
	v_mul_lo_u32 v8, v8, s10
	v_add_nc_u32_e32 v3, s9, v28
	v_add_nc_u32_e32 v7, s11, v28
	v_mul_lo_u32 v2, v2, s8
	v_mul_lo_u32 v6, v6, s10
	v_add_nc_u32_e32 v10, s11, v25
	v_mul_lo_u32 v3, v3, s8
	v_mul_lo_u32 v7, v7, s10
	v_sub_nc_u32_e32 v1, v1, v5
	v_sub_nc_u32_e32 v4, v4, v8
	v_add_nc_u32_e32 v5, s9, v23
	v_add_nc_u32_e32 v8, s11, v23
	v_sub_nc_u32_e32 v2, v2, v6
	v_add_nc_u32_e32 v6, s9, v25
	v_add_nc_u32_e32 v9, s9, v22
	v_mul_lo_u32 v5, v5, s8
	v_mul_lo_u32 v8, v8, s10
	v_sub_nc_u32_e32 v3, v3, v7
	v_add_nc_u32_e32 v7, s9, v24
	v_add_nc_u32_e32 v11, s11, v22
	v_mul_lo_u32 v6, v6, s8
	v_mul_lo_u32 v10, v10, s10
	v_add_nc_u32_e32 v12, s11, v24
	v_mul_lo_u32 v9, v9, s8
	v_mul_lo_u32 v7, v7, s8
	;; [unrolled: 1-line block ×3, first 2 shown]
	v_sub_nc_u32_e32 v5, v5, v8
	v_mul_lo_u32 v8, v12, s10
	v_cmp_lt_u32_e32 vcc_lo, s1, v1
	v_sub_nc_u32_e32 v6, v6, v10
	v_add_nc_u32_e32 v10, s9, v19
	v_add_nc_u32_e32 v14, s11, v19
	;; [unrolled: 1-line block ×3, first 2 shown]
	v_cndmask_b32_e64 v1, 0, 1, vcc_lo
	v_cmp_lt_u32_e32 vcc_lo, s1, v2
	v_sub_nc_u32_e32 v7, v7, v8
	v_sub_nc_u32_e32 v8, v9, v11
	v_add_nc_u32_e32 v11, s9, v21
	v_mul_lo_u32 v10, v10, s8
	v_mul_lo_u32 v14, v14, s10
	v_cndmask_b32_e64 v2, 0, 1, vcc_lo
	v_cmp_lt_u32_e32 vcc_lo, s1, v5
	v_mul_lo_u32 v11, v11, s8
	v_mul_lo_u32 v15, v15, s10
	v_mov_b32_e32 v9, 8
	v_lshlrev_b16 v2, 8, v2
	v_cndmask_b32_e64 v5, 0, 1, vcc_lo
	v_cmp_lt_u32_e32 vcc_lo, s1, v6
	v_sub_nc_u32_e32 v10, v10, v14
	v_add_nc_u32_e32 v12, s9, v20
	v_add_nc_u32_e32 v16, s11, v20
	v_sub_nc_u32_e32 v11, v11, v15
	v_cndmask_b32_e64 v6, 0, 1, vcc_lo
	v_cmp_lt_u32_e32 vcc_lo, s1, v10
	v_lshrrev_b32_sdwa v2, v9, v2 dst_sel:BYTE_1 dst_unused:UNUSED_PAD src0_sel:DWORD src1_sel:DWORD
	v_add_nc_u32_e32 v13, s9, v18
	v_add_nc_u32_e32 v17, s11, v18
	v_mul_lo_u32 v12, v12, s8
	v_cndmask_b32_e64 v10, 0, 1, vcc_lo
	v_cmp_lt_u32_e32 vcc_lo, s1, v11
	v_mul_lo_u32 v16, v16, s10
	v_mul_lo_u32 v13, v13, s8
	;; [unrolled: 1-line block ×3, first 2 shown]
	v_add_nc_u32_e32 v14, s9, v44
	v_cndmask_b32_e64 v11, 0, 1, vcc_lo
	v_cmp_lt_u32_e32 vcc_lo, s1, v3
	v_add_nc_u32_e32 v15, s11, v44
	v_lshlrev_b16 v1, 8, v1
	v_sub_nc_u32_e32 v12, v12, v16
	v_lshlrev_b16 v11, 8, v11
	v_cndmask_b32_e64 v3, 0, 1, vcc_lo
	v_cmp_lt_u32_e32 vcc_lo, s1, v4
	v_sub_nc_u32_e32 v13, v13, v17
	v_mul_lo_u32 v14, v14, s8
	v_mul_lo_u32 v15, v15, s10
	v_or_b32_e32 v2, v3, v2
	v_cndmask_b32_e64 v3, 0, 1, vcc_lo
	v_cmp_lt_u32_e32 vcc_lo, s1, v7
	v_lshlrev_b16 v6, 8, v6
	v_lshlrev_b16 v10, 8, v10
	v_lshlrev_b16 v5, 8, v5
	v_lshrrev_b32_sdwa v1, v9, v1 dst_sel:BYTE_1 dst_unused:UNUSED_PAD src0_sel:DWORD src1_sel:DWORD
	v_cndmask_b32_e64 v4, 0, 1, vcc_lo
	v_cmp_lt_u32_e32 vcc_lo, s1, v8
	v_lshrrev_b32_sdwa v8, v9, v11 dst_sel:BYTE_1 dst_unused:UNUSED_PAD src0_sel:DWORD src1_sel:DWORD
	v_lshrrev_b32_sdwa v6, v9, v6 dst_sel:BYTE_1 dst_unused:UNUSED_PAD src0_sel:DWORD src1_sel:DWORD
	v_sub_nc_u32_e32 v14, v14, v15
	v_lshrrev_b32_sdwa v9, v9, v10 dst_sel:BYTE_1 dst_unused:UNUSED_PAD src0_sel:DWORD src1_sel:DWORD
	v_cndmask_b32_e64 v7, 0, 1, vcc_lo
	v_cmp_lt_u32_e32 vcc_lo, s1, v12
	v_or_b32_sdwa v1, v3, v1 dst_sel:WORD_1 dst_unused:UNUSED_PAD src0_sel:DWORD src1_sel:DWORD
	v_or_b32_e32 v3, v4, v6
	v_or_b32_sdwa v4, v7, v5 dst_sel:WORD_1 dst_unused:UNUSED_PAD src0_sel:DWORD src1_sel:DWORD
	v_cndmask_b32_e64 v11, 0, 1, vcc_lo
	v_cmp_lt_u32_e32 vcc_lo, s1, v13
	v_or_b32_sdwa v50, v2, v1 dst_sel:DWORD dst_unused:UNUSED_PAD src0_sel:WORD_0 src1_sel:DWORD
	v_or_b32_sdwa v48, v3, v4 dst_sel:DWORD dst_unused:UNUSED_PAD src0_sel:WORD_0 src1_sel:DWORD
	v_or_b32_e32 v5, v11, v8
	v_cndmask_b32_e64 v10, 0, 1, vcc_lo
	v_cmp_lt_u32_e32 vcc_lo, s1, v14
	v_or_b32_sdwa v6, v10, v9 dst_sel:WORD_1 dst_unused:UNUSED_PAD src0_sel:DWORD src1_sel:DWORD
	v_cndmask_b32_e64 v46, 0, 1, vcc_lo
	v_or_b32_sdwa v47, v5, v6 dst_sel:DWORD dst_unused:UNUSED_PAD src0_sel:WORD_0 src1_sel:DWORD
	s_clause 0x1
	s_load_dwordx2 s[14:15], s[4:5], 0x28
	s_load_dwordx2 s[22:23], s[4:5], 0x68
	s_cbranch_execz .LBB1911_7
	s_branch .LBB1911_34
.LBB1911_6:
                                        ; implicit-def: $vgpr46
                                        ; implicit-def: $vgpr47
                                        ; implicit-def: $vgpr48
                                        ; implicit-def: $vgpr50
	s_clause 0x1
	s_load_dwordx2 s[14:15], s[4:5], 0x28
	s_load_dwordx2 s[22:23], s[4:5], 0x68
.LBB1911_7:
	v_mov_b32_e32 v2, 0
	v_mov_b32_e32 v1, 0
	s_mov_b32 s0, exec_lo
	v_cmpx_gt_u32_e64 s25, v45
	s_cbranch_execz .LBB1911_9
; %bb.8:
	v_add_nc_u32_e32 v1, s9, v28
	v_add_nc_u32_e32 v3, s11, v28
	v_mul_lo_u32 v1, v1, s8
	v_mul_lo_u32 v3, v3, s10
	v_sub_nc_u32_e32 v1, v1, v3
	v_cmp_lt_u32_e32 vcc_lo, s1, v1
	v_cndmask_b32_e64 v1, 0, 1, vcc_lo
.LBB1911_9:
	s_or_b32 exec_lo, exec_lo, s0
	v_add_nc_u32_e32 v3, 1, v45
	s_mov_b32 s0, exec_lo
	v_cmpx_gt_u32_e64 s25, v3
	s_cbranch_execz .LBB1911_11
; %bb.10:
	v_add_nc_u32_e32 v2, s9, v29
	v_add_nc_u32_e32 v3, s11, v29
	v_mul_lo_u32 v2, v2, s8
	v_mul_lo_u32 v3, v3, s10
	v_sub_nc_u32_e32 v2, v2, v3
	v_cmp_lt_u32_e32 vcc_lo, s1, v2
	v_cndmask_b32_e64 v2, 0, 1, vcc_lo
.LBB1911_11:
	s_or_b32 exec_lo, exec_lo, s0
	v_add_nc_u32_e32 v3, 2, v45
	v_mov_b32_e32 v4, 0
	v_cmp_gt_u32_e32 vcc_lo, s25, v3
	v_mov_b32_e32 v3, 0
	s_and_saveexec_b32 s0, vcc_lo
	s_cbranch_execz .LBB1911_13
; %bb.12:
	v_add_nc_u32_e32 v3, s9, v26
	v_add_nc_u32_e32 v5, s11, v26
	v_mul_lo_u32 v3, v3, s8
	v_mul_lo_u32 v5, v5, s10
	v_sub_nc_u32_e32 v3, v3, v5
	v_cmp_lt_u32_e32 vcc_lo, s1, v3
	v_cndmask_b32_e64 v3, 0, 1, vcc_lo
.LBB1911_13:
	s_or_b32 exec_lo, exec_lo, s0
	v_add_nc_u32_e32 v5, 3, v45
	s_mov_b32 s0, exec_lo
	v_cmpx_gt_u32_e64 s25, v5
	s_cbranch_execz .LBB1911_15
; %bb.14:
	v_add_nc_u32_e32 v4, s9, v27
	v_add_nc_u32_e32 v5, s11, v27
	v_mul_lo_u32 v4, v4, s8
	v_mul_lo_u32 v5, v5, s10
	v_sub_nc_u32_e32 v4, v4, v5
	v_cmp_lt_u32_e32 vcc_lo, s1, v4
	v_cndmask_b32_e64 v4, 0, 1, vcc_lo
.LBB1911_15:
	s_or_b32 exec_lo, exec_lo, s0
	v_add_nc_u32_e32 v5, 4, v45
	v_mov_b32_e32 v6, 0
	v_cmp_gt_u32_e32 vcc_lo, s25, v5
	v_mov_b32_e32 v5, 0
	s_and_saveexec_b32 s0, vcc_lo
	;; [unrolled: 30-line block ×5, first 2 shown]
	s_cbranch_execz .LBB1911_29
; %bb.28:
	v_add_nc_u32_e32 v11, s9, v18
	v_add_nc_u32_e32 v13, s11, v18
	v_mul_lo_u32 v11, v11, s8
	v_mul_lo_u32 v13, v13, s10
	v_sub_nc_u32_e32 v11, v11, v13
	v_cmp_lt_u32_e32 vcc_lo, s1, v11
	v_cndmask_b32_e64 v11, 0, 1, vcc_lo
.LBB1911_29:
	s_or_b32 exec_lo, exec_lo, s0
	v_add_nc_u32_e32 v13, 11, v45
	s_mov_b32 s0, exec_lo
	v_cmpx_gt_u32_e64 s25, v13
	s_cbranch_execz .LBB1911_31
; %bb.30:
	v_add_nc_u32_e32 v12, s9, v19
	v_add_nc_u32_e32 v13, s11, v19
	v_mul_lo_u32 v12, v12, s8
	v_mul_lo_u32 v13, v13, s10
	v_sub_nc_u32_e32 v12, v12, v13
	v_cmp_lt_u32_e32 vcc_lo, s1, v12
	v_cndmask_b32_e64 v12, 0, 1, vcc_lo
.LBB1911_31:
	s_or_b32 exec_lo, exec_lo, s0
	v_add_nc_u32_e32 v13, 12, v45
	v_mov_b32_e32 v46, 0
	s_mov_b32 s0, exec_lo
	v_cmpx_gt_u32_e64 s25, v13
	s_cbranch_execz .LBB1911_33
; %bb.32:
	v_add_nc_u32_e32 v13, s9, v44
	v_add_nc_u32_e32 v14, s11, v44
	v_mul_lo_u32 v13, v13, s8
	v_mul_lo_u32 v14, v14, s10
	v_sub_nc_u32_e32 v13, v13, v14
	v_cmp_lt_u32_e32 vcc_lo, s1, v13
	v_cndmask_b32_e64 v46, 0, 1, vcc_lo
.LBB1911_33:
	s_or_b32 exec_lo, exec_lo, s0
	v_lshlrev_b16 v2, 8, v2
	v_lshlrev_b16 v4, 8, v4
	;; [unrolled: 1-line block ×5, first 2 shown]
	v_or_b32_e32 v1, v1, v2
	v_lshlrev_b16 v2, 8, v12
	v_or_b32_sdwa v3, v3, v4 dst_sel:WORD_1 dst_unused:UNUSED_PAD src0_sel:DWORD src1_sel:DWORD
	v_or_b32_e32 v4, v5, v6
	v_or_b32_sdwa v5, v7, v8 dst_sel:WORD_1 dst_unused:UNUSED_PAD src0_sel:DWORD src1_sel:DWORD
	v_or_b32_e32 v6, v9, v10
	v_or_b32_sdwa v2, v11, v2 dst_sel:WORD_1 dst_unused:UNUSED_PAD src0_sel:DWORD src1_sel:DWORD
	v_or_b32_sdwa v50, v1, v3 dst_sel:DWORD dst_unused:UNUSED_PAD src0_sel:WORD_0 src1_sel:DWORD
	v_or_b32_sdwa v48, v4, v5 dst_sel:DWORD dst_unused:UNUSED_PAD src0_sel:WORD_0 src1_sel:DWORD
	;; [unrolled: 1-line block ×3, first 2 shown]
.LBB1911_34:
	v_and_b32_e32 v53, 0xff, v50
	v_bfe_u32 v54, v50, 8, 8
	v_bfe_u32 v55, v50, 16, 8
	v_lshrrev_b32_e32 v52, 24, v50
	v_and_b32_e32 v56, 0xff, v48
	v_bfe_u32 v57, v48, 8, 8
	v_bfe_u32 v58, v48, 16, 8
	v_add3_u32 v1, v54, v53, v55
	v_lshrrev_b32_e32 v51, 24, v48
	v_and_b32_e32 v59, 0xff, v47
	v_bfe_u32 v60, v47, 8, 8
	v_mbcnt_lo_u32_b32 v62, -1, 0
	v_add3_u32 v1, v1, v52, v56
	v_bfe_u32 v61, v47, 16, 8
	v_lshrrev_b32_e32 v49, 24, v47
	v_and_b32_e32 v2, 0xff, v46
	v_and_b32_e32 v3, 15, v62
	v_add3_u32 v1, v1, v57, v58
	v_or_b32_e32 v4, 31, v0
	v_and_b32_e32 v5, 16, v62
	v_lshrrev_b32_e32 v63, 5, v0
	v_cmp_eq_u32_e64 s5, 0, v3
	v_add3_u32 v1, v1, v51, v59
	v_cmp_lt_u32_e64 s4, 1, v3
	v_cmp_lt_u32_e64 s3, 3, v3
	;; [unrolled: 1-line block ×3, first 2 shown]
	v_cmp_eq_u32_e64 s1, 0, v5
	v_add3_u32 v1, v1, v60, v61
	v_cmp_eq_u32_e64 s0, v0, v4
	s_cmp_lg_u32 s6, 0
	s_mov_b32 s7, -1
	v_add3_u32 v64, v1, v49, v2
	s_cbranch_scc0 .LBB1911_56
; %bb.35:
	v_mov_b32_dpp v1, v64 row_shr:1 row_mask:0xf bank_mask:0xf
	v_cndmask_b32_e64 v1, v1, 0, s5
	v_add_nc_u32_e32 v1, v1, v64
	v_mov_b32_dpp v2, v1 row_shr:2 row_mask:0xf bank_mask:0xf
	v_cndmask_b32_e64 v2, 0, v2, s4
	v_add_nc_u32_e32 v1, v1, v2
	;; [unrolled: 3-line block ×4, first 2 shown]
	ds_swizzle_b32 v2, v1 offset:swizzle(BROADCAST,32,15)
	s_waitcnt lgkmcnt(0)
	v_cndmask_b32_e64 v2, v2, 0, s1
	v_add_nc_u32_e32 v1, v1, v2
	s_and_saveexec_b32 s7, s0
; %bb.36:
	v_lshlrev_b32_e32 v2, 2, v63
	ds_write_b32 v2, v1
; %bb.37:
	s_or_b32 exec_lo, exec_lo, s7
	s_mov_b32 s7, exec_lo
	s_waitcnt lgkmcnt(0)
	s_barrier
	buffer_gl0_inv
	v_cmpx_gt_u32_e32 8, v0
	s_cbranch_execz .LBB1911_39
; %bb.38:
	ds_read_b32 v2, v42
	v_and_b32_e32 v3, 7, v62
	v_cmp_ne_u32_e32 vcc_lo, 0, v3
	s_waitcnt lgkmcnt(0)
	v_mov_b32_dpp v4, v2 row_shr:1 row_mask:0xf bank_mask:0xf
	v_cndmask_b32_e32 v4, 0, v4, vcc_lo
	v_cmp_lt_u32_e32 vcc_lo, 1, v3
	v_add_nc_u32_e32 v2, v4, v2
	v_mov_b32_dpp v4, v2 row_shr:2 row_mask:0xf bank_mask:0xf
	v_cndmask_b32_e32 v4, 0, v4, vcc_lo
	v_cmp_lt_u32_e32 vcc_lo, 3, v3
	v_add_nc_u32_e32 v2, v2, v4
	v_mov_b32_dpp v4, v2 row_shr:4 row_mask:0xf bank_mask:0xf
	v_cndmask_b32_e32 v3, 0, v4, vcc_lo
	v_add_nc_u32_e32 v2, v2, v3
	ds_write_b32 v42, v2
.LBB1911_39:
	s_or_b32 exec_lo, exec_lo, s7
	s_mov_b32 s8, exec_lo
	v_cmp_gt_u32_e32 vcc_lo, 32, v0
	s_waitcnt lgkmcnt(0)
	s_barrier
	buffer_gl0_inv
                                        ; implicit-def: $vgpr10
	v_cmpx_lt_u32_e32 31, v0
	s_cbranch_execz .LBB1911_41
; %bb.40:
	v_lshl_add_u32 v2, v63, 2, -4
	ds_read_b32 v10, v2
	s_waitcnt lgkmcnt(0)
	v_add_nc_u32_e32 v1, v10, v1
.LBB1911_41:
	s_or_b32 exec_lo, exec_lo, s8
	v_sub_co_u32 v2, s7, v62, 1
	v_cmp_gt_i32_e64 s8, 0, v2
	v_cndmask_b32_e64 v2, v2, v62, s8
	v_lshlrev_b32_e32 v2, 2, v2
	ds_bpermute_b32 v11, v2, v1
	s_and_saveexec_b32 s8, vcc_lo
	s_cbranch_execz .LBB1911_61
; %bb.42:
	v_mov_b32_e32 v7, 0
	ds_read_b32 v1, v7 offset:28
	s_and_saveexec_b32 s9, s7
	s_cbranch_execz .LBB1911_44
; %bb.43:
	s_add_i32 s10, s6, 32
	s_mov_b32 s11, 0
	v_mov_b32_e32 v2, 1
	s_lshl_b64 s[10:11], s[10:11], 3
	s_add_u32 s10, s22, s10
	s_addc_u32 s11, s23, s11
	s_waitcnt lgkmcnt(0)
	global_store_dwordx2 v7, v[1:2], s[10:11]
.LBB1911_44:
	s_or_b32 exec_lo, exec_lo, s9
	v_xad_u32 v3, v62, -1, s6
	s_mov_b32 s10, 0
	v_add_nc_u32_e32 v6, 32, v3
	v_lshlrev_b64 v[4:5], 3, v[6:7]
	v_add_co_u32 v8, vcc_lo, s22, v4
	v_add_co_ci_u32_e64 v9, null, s23, v5, vcc_lo
	global_load_dwordx2 v[5:6], v[8:9], off glc dlc
	s_waitcnt vmcnt(0)
	v_cmp_eq_u16_sdwa s11, v6, v7 src0_sel:BYTE_0 src1_sel:DWORD
	s_and_saveexec_b32 s9, s11
	s_cbranch_execz .LBB1911_48
; %bb.45:
	v_mov_b32_e32 v2, 0
.LBB1911_46:                            ; =>This Inner Loop Header: Depth=1
	global_load_dwordx2 v[5:6], v[8:9], off glc dlc
	s_waitcnt vmcnt(0)
	v_cmp_ne_u16_sdwa s11, v6, v2 src0_sel:BYTE_0 src1_sel:DWORD
	s_or_b32 s10, s11, s10
	s_andn2_b32 exec_lo, exec_lo, s10
	s_cbranch_execnz .LBB1911_46
; %bb.47:
	s_or_b32 exec_lo, exec_lo, s10
.LBB1911_48:
	s_or_b32 exec_lo, exec_lo, s9
	v_cmp_ne_u32_e32 vcc_lo, 31, v62
	v_mov_b32_e32 v12, 2
	v_lshlrev_b32_e64 v13, v62, -1
	v_add_nc_u32_e32 v15, 2, v62
	v_add_nc_u32_e32 v17, 4, v62
	v_add_co_ci_u32_e64 v2, null, 0, v62, vcc_lo
	v_cmp_eq_u16_sdwa s9, v6, v12 src0_sel:BYTE_0 src1_sel:DWORD
	v_cmp_gt_u32_e32 vcc_lo, 30, v62
	v_add_nc_u32_e32 v66, 8, v62
	v_lshlrev_b32_e32 v9, 2, v2
	v_lshl_or_b32 v67, v62, 2, 64
	v_and_or_b32 v4, s9, v13, 0x80000000
	v_cndmask_b32_e64 v7, 0, 2, vcc_lo
	v_add_nc_u32_e32 v68, 16, v62
	ds_bpermute_b32 v2, v9, v5
	v_ffbl_b32_e32 v4, v4
	v_add_lshl_u32 v14, v7, v62, 2
	v_cmp_lt_u32_e32 vcc_lo, v62, v4
	s_waitcnt lgkmcnt(0)
	v_cndmask_b32_e32 v2, 0, v2, vcc_lo
	v_cmp_gt_u32_e32 vcc_lo, 28, v62
	v_add_nc_u32_e32 v2, v2, v5
	v_cndmask_b32_e64 v7, 0, 4, vcc_lo
	v_cmp_le_u32_e32 vcc_lo, v15, v4
	ds_bpermute_b32 v5, v14, v2
	v_add_lshl_u32 v16, v7, v62, 2
	s_waitcnt lgkmcnt(0)
	v_cndmask_b32_e32 v5, 0, v5, vcc_lo
	v_cmp_gt_u32_e32 vcc_lo, 24, v62
	v_add_nc_u32_e32 v2, v2, v5
	v_cndmask_b32_e64 v7, 0, 8, vcc_lo
	v_cmp_le_u32_e32 vcc_lo, v17, v4
	ds_bpermute_b32 v5, v16, v2
	v_add_lshl_u32 v65, v7, v62, 2
	s_waitcnt lgkmcnt(0)
	v_cndmask_b32_e32 v5, 0, v5, vcc_lo
	v_cmp_le_u32_e32 vcc_lo, v66, v4
	v_add_nc_u32_e32 v2, v2, v5
	ds_bpermute_b32 v5, v65, v2
	s_waitcnt lgkmcnt(0)
	v_cndmask_b32_e32 v5, 0, v5, vcc_lo
	v_cmp_le_u32_e32 vcc_lo, v68, v4
	v_add_nc_u32_e32 v2, v2, v5
	ds_bpermute_b32 v5, v67, v2
	s_waitcnt lgkmcnt(0)
	v_cndmask_b32_e32 v4, 0, v5, vcc_lo
	v_add_nc_u32_e32 v5, v2, v4
	v_mov_b32_e32 v4, 0
	s_branch .LBB1911_52
.LBB1911_49:                            ;   in Loop: Header=BB1911_52 Depth=1
	s_or_b32 exec_lo, exec_lo, s10
.LBB1911_50:                            ;   in Loop: Header=BB1911_52 Depth=1
	s_or_b32 exec_lo, exec_lo, s9
	ds_bpermute_b32 v7, v9, v5
	v_cmp_eq_u16_sdwa s9, v6, v12 src0_sel:BYTE_0 src1_sel:DWORD
	v_subrev_nc_u32_e32 v3, 32, v3
	v_and_or_b32 v8, s9, v13, 0x80000000
	s_mov_b32 s9, 0
	v_ffbl_b32_e32 v8, v8
	v_cmp_lt_u32_e32 vcc_lo, v62, v8
	s_waitcnt lgkmcnt(0)
	v_cndmask_b32_e32 v7, 0, v7, vcc_lo
	v_cmp_le_u32_e32 vcc_lo, v15, v8
	v_add_nc_u32_e32 v5, v7, v5
	ds_bpermute_b32 v7, v14, v5
	s_waitcnt lgkmcnt(0)
	v_cndmask_b32_e32 v7, 0, v7, vcc_lo
	v_cmp_le_u32_e32 vcc_lo, v17, v8
	v_add_nc_u32_e32 v5, v5, v7
	ds_bpermute_b32 v7, v16, v5
	;; [unrolled: 5-line block ×4, first 2 shown]
	s_waitcnt lgkmcnt(0)
	v_cndmask_b32_e32 v7, 0, v7, vcc_lo
	v_add3_u32 v5, v7, v2, v5
.LBB1911_51:                            ;   in Loop: Header=BB1911_52 Depth=1
	s_and_b32 vcc_lo, exec_lo, s9
	s_cbranch_vccnz .LBB1911_57
.LBB1911_52:                            ; =>This Loop Header: Depth=1
                                        ;     Child Loop BB1911_55 Depth 2
	v_cmp_ne_u16_sdwa s9, v6, v12 src0_sel:BYTE_0 src1_sel:DWORD
	v_mov_b32_e32 v2, v5
                                        ; implicit-def: $vgpr5
                                        ; implicit-def: $vgpr6
	s_cmp_lg_u32 s9, exec_lo
	s_mov_b32 s9, -1
	s_cbranch_scc1 .LBB1911_51
; %bb.53:                               ;   in Loop: Header=BB1911_52 Depth=1
	v_lshlrev_b64 v[5:6], 3, v[3:4]
	v_add_co_u32 v7, vcc_lo, s22, v5
	v_add_co_ci_u32_e64 v8, null, s23, v6, vcc_lo
	global_load_dwordx2 v[5:6], v[7:8], off glc dlc
	s_waitcnt vmcnt(0)
	v_cmp_eq_u16_sdwa s10, v6, v4 src0_sel:BYTE_0 src1_sel:DWORD
	s_and_saveexec_b32 s9, s10
	s_cbranch_execz .LBB1911_50
; %bb.54:                               ;   in Loop: Header=BB1911_52 Depth=1
	s_mov_b32 s10, 0
.LBB1911_55:                            ;   Parent Loop BB1911_52 Depth=1
                                        ; =>  This Inner Loop Header: Depth=2
	global_load_dwordx2 v[5:6], v[7:8], off glc dlc
	s_waitcnt vmcnt(0)
	v_cmp_ne_u16_sdwa s11, v6, v4 src0_sel:BYTE_0 src1_sel:DWORD
	s_or_b32 s10, s11, s10
	s_andn2_b32 exec_lo, exec_lo, s10
	s_cbranch_execnz .LBB1911_55
	s_branch .LBB1911_49
.LBB1911_56:
                                        ; implicit-def: $vgpr17
                                        ; implicit-def: $vgpr1_vgpr2_vgpr3_vgpr4_vgpr5_vgpr6_vgpr7_vgpr8_vgpr9_vgpr10_vgpr11_vgpr12_vgpr13_vgpr14_vgpr15_vgpr16
	s_and_b32 vcc_lo, exec_lo, s7
	s_cbranch_vccnz .LBB1911_62
	s_branch .LBB1911_71
.LBB1911_57:
	s_and_saveexec_b32 s9, s7
	s_cbranch_execz .LBB1911_59
; %bb.58:
	s_add_i32 s10, s6, 32
	s_mov_b32 s11, 0
	v_add_nc_u32_e32 v3, v2, v1
	v_mov_b32_e32 v4, 2
	s_lshl_b64 s[10:11], s[10:11], 3
	v_mov_b32_e32 v5, 0
	s_add_u32 s10, s22, s10
	s_addc_u32 s11, s23, s11
	global_store_dwordx2 v5, v[3:4], s[10:11]
	ds_write_b64 v5, v[1:2] offset:13312
.LBB1911_59:
	s_or_b32 exec_lo, exec_lo, s9
	v_cmp_eq_u32_e32 vcc_lo, 0, v0
	s_and_b32 exec_lo, exec_lo, vcc_lo
; %bb.60:
	v_mov_b32_e32 v1, 0
	ds_write_b32 v1, v2 offset:28
.LBB1911_61:
	s_or_b32 exec_lo, exec_lo, s8
	v_mov_b32_e32 v12, 0
	s_waitcnt lgkmcnt(0)
	s_waitcnt_vscnt null, 0x0
	s_barrier
	buffer_gl0_inv
	v_cndmask_b32_e64 v2, v11, v10, s7
	ds_read_b32 v1, v12 offset:28
	v_cmp_ne_u32_e32 vcc_lo, 0, v0
	s_waitcnt lgkmcnt(0)
	s_barrier
	buffer_gl0_inv
	ds_read_b64 v[16:17], v12 offset:13312
	v_cndmask_b32_e32 v2, 0, v2, vcc_lo
	v_add_nc_u32_e32 v1, v1, v2
	v_add_nc_u32_e32 v2, v1, v53
	;; [unrolled: 1-line block ×13, first 2 shown]
	s_branch .LBB1911_71
.LBB1911_62:
	v_mov_b32_dpp v1, v64 row_shr:1 row_mask:0xf bank_mask:0xf
	v_cndmask_b32_e64 v1, v1, 0, s5
	v_add_nc_u32_e32 v1, v1, v64
	v_mov_b32_dpp v2, v1 row_shr:2 row_mask:0xf bank_mask:0xf
	v_cndmask_b32_e64 v2, 0, v2, s4
	v_add_nc_u32_e32 v1, v1, v2
	;; [unrolled: 3-line block ×4, first 2 shown]
	ds_swizzle_b32 v2, v1 offset:swizzle(BROADCAST,32,15)
	s_waitcnt lgkmcnt(0)
	v_cndmask_b32_e64 v2, v2, 0, s1
	v_add_nc_u32_e32 v1, v1, v2
	s_and_saveexec_b32 s1, s0
; %bb.63:
	v_lshlrev_b32_e32 v2, 2, v63
	ds_write_b32 v2, v1
; %bb.64:
	s_or_b32 exec_lo, exec_lo, s1
	s_mov_b32 s0, exec_lo
	s_waitcnt lgkmcnt(0)
	s_barrier
	buffer_gl0_inv
	v_cmpx_gt_u32_e32 8, v0
	s_cbranch_execz .LBB1911_66
; %bb.65:
	ds_read_b32 v2, v42
	v_and_b32_e32 v3, 7, v62
	v_cmp_ne_u32_e32 vcc_lo, 0, v3
	s_waitcnt lgkmcnt(0)
	v_mov_b32_dpp v4, v2 row_shr:1 row_mask:0xf bank_mask:0xf
	v_cndmask_b32_e32 v4, 0, v4, vcc_lo
	v_cmp_lt_u32_e32 vcc_lo, 1, v3
	v_add_nc_u32_e32 v2, v4, v2
	v_mov_b32_dpp v4, v2 row_shr:2 row_mask:0xf bank_mask:0xf
	v_cndmask_b32_e32 v4, 0, v4, vcc_lo
	v_cmp_lt_u32_e32 vcc_lo, 3, v3
	v_add_nc_u32_e32 v2, v2, v4
	v_mov_b32_dpp v4, v2 row_shr:4 row_mask:0xf bank_mask:0xf
	v_cndmask_b32_e32 v3, 0, v4, vcc_lo
	v_add_nc_u32_e32 v2, v2, v3
	ds_write_b32 v42, v2
.LBB1911_66:
	s_or_b32 exec_lo, exec_lo, s0
	v_mov_b32_e32 v3, 0
	v_mov_b32_e32 v2, 0
	s_mov_b32 s0, exec_lo
	s_waitcnt lgkmcnt(0)
	s_barrier
	buffer_gl0_inv
	v_cmpx_lt_u32_e32 31, v0
; %bb.67:
	v_lshl_add_u32 v2, v63, 2, -4
	ds_read_b32 v2, v2
; %bb.68:
	s_or_b32 exec_lo, exec_lo, s0
	v_sub_co_u32 v4, vcc_lo, v62, 1
	s_waitcnt lgkmcnt(0)
	v_add_nc_u32_e32 v1, v2, v1
	ds_read_b32 v16, v3 offset:28
	v_cmp_gt_i32_e64 s0, 0, v4
	v_cndmask_b32_e64 v4, v4, v62, s0
	v_cmp_eq_u32_e64 s0, 0, v0
	v_lshlrev_b32_e32 v4, 2, v4
	ds_bpermute_b32 v1, v4, v1
	s_and_saveexec_b32 s1, s0
	s_cbranch_execz .LBB1911_70
; %bb.69:
	v_mov_b32_e32 v3, 0
	v_mov_b32_e32 v17, 2
	s_waitcnt lgkmcnt(1)
	global_store_dwordx2 v3, v[16:17], s[22:23] offset:256
.LBB1911_70:
	s_or_b32 exec_lo, exec_lo, s1
	s_waitcnt lgkmcnt(0)
	v_cndmask_b32_e32 v1, v1, v2, vcc_lo
	v_mov_b32_e32 v17, 0
	s_waitcnt_vscnt null, 0x0
	s_barrier
	buffer_gl0_inv
	v_cndmask_b32_e64 v1, v1, 0, s0
	v_add_nc_u32_e32 v2, v1, v53
	v_add_nc_u32_e32 v3, v2, v54
	;; [unrolled: 1-line block ×12, first 2 shown]
.LBB1911_71:
	s_waitcnt lgkmcnt(0)
	v_add_nc_u32_e32 v45, v16, v45
	v_sub_nc_u32_e32 v1, v1, v17
	v_and_b32_e32 v54, 1, v50
	v_lshrrev_b32_e32 v53, 8, v50
	v_sub_nc_u32_e32 v2, v2, v17
	v_sub_nc_u32_e32 v3, v3, v17
	;; [unrolled: 1-line block ×3, first 2 shown]
	v_cmp_eq_u32_e32 vcc_lo, 1, v54
	v_and_b32_e32 v53, 1, v53
	v_mov_b32_e32 v56, 1
	v_sub_nc_u32_e32 v54, v45, v2
	v_sub_nc_u32_e32 v4, v4, v17
	v_cndmask_b32_e32 v1, v55, v1, vcc_lo
	v_sub_nc_u32_e32 v55, v45, v3
	v_and_b32_sdwa v50, v56, v50 dst_sel:DWORD dst_unused:UNUSED_PAD src0_sel:DWORD src1_sel:WORD_1
	v_add_nc_u32_e32 v54, 1, v54
	v_cmp_eq_u32_e32 vcc_lo, 1, v53
	v_lshlrev_b32_e32 v1, 2, v1
	v_and_b32_e32 v52, 1, v52
	v_sub_nc_u32_e32 v57, v45, v4
	v_add_nc_u32_e32 v55, 2, v55
	v_lshrrev_b32_e32 v15, 8, v48
	ds_write_b32 v1, v28
	v_cndmask_b32_e32 v1, v54, v2, vcc_lo
	v_cmp_eq_u32_e32 vcc_lo, 1, v50
	v_add_nc_u32_e32 v57, 3, v57
	v_lshrrev_b32_e32 v14, 8, v47
	v_lshlrev_b32_e32 v1, 2, v1
	v_cndmask_b32_e32 v2, v55, v3, vcc_lo
	v_cmp_eq_u32_e32 vcc_lo, 1, v52
	ds_write_b32 v1, v29
	v_lshlrev_b32_e32 v2, 2, v2
	v_cndmask_b32_e32 v3, v57, v4, vcc_lo
	v_sub_nc_u32_e32 v4, v5, v17
	v_sub_nc_u32_e32 v5, v6, v17
	v_lshlrev_b32_e32 v3, 2, v3
	v_sub_nc_u32_e32 v1, v45, v4
	v_sub_nc_u32_e32 v6, v45, v5
	ds_write_b32 v2, v26
	ds_write_b32 v3, v27
	v_and_b32_e32 v2, 1, v48
	v_add_nc_u32_e32 v1, 4, v1
	v_add_nc_u32_e32 v3, 5, v6
	v_sub_nc_u32_e32 v6, v7, v17
	v_and_b32_e32 v7, 1, v15
	v_cmp_eq_u32_e32 vcc_lo, 1, v2
	v_sub_nc_u32_e32 v2, v8, v17
	v_and_b32_e32 v8, 1, v51
	v_add_co_u32 v15, s0, s20, v17
	v_cndmask_b32_e32 v1, v1, v4, vcc_lo
	v_sub_nc_u32_e32 v4, v45, v6
	v_cmp_eq_u32_e32 vcc_lo, 1, v7
	v_and_b32_sdwa v7, v56, v48 dst_sel:DWORD dst_unused:UNUSED_PAD src0_sel:DWORD src1_sel:WORD_1
	v_lshlrev_b32_e32 v1, 2, v1
	v_add_nc_u32_e32 v4, 6, v4
	v_cndmask_b32_e32 v3, v3, v5, vcc_lo
	v_sub_nc_u32_e32 v5, v45, v2
	v_cmp_eq_u32_e32 vcc_lo, 1, v7
	v_sub_nc_u32_e32 v7, v13, v17
	v_lshlrev_b32_e32 v3, 2, v3
	v_add_nc_u32_e32 v5, 7, v5
	v_cndmask_b32_e32 v4, v4, v6, vcc_lo
	v_cmp_eq_u32_e32 vcc_lo, 1, v8
	v_sub_nc_u32_e32 v6, v9, v17
	ds_write_b32 v1, v24
	ds_write_b32 v3, v25
	v_lshlrev_b32_e32 v3, 2, v4
	v_cndmask_b32_e32 v2, v5, v2, vcc_lo
	v_sub_nc_u32_e32 v1, v45, v6
	v_and_b32_e32 v5, 1, v47
	v_sub_nc_u32_e32 v4, v10, v17
	v_and_b32_e32 v10, 1, v49
	v_lshlrev_b32_e32 v2, 2, v2
	v_add_nc_u32_e32 v1, 8, v1
	ds_write_b32 v3, v22
	ds_write_b32 v2, v23
	v_cmp_eq_u32_e32 vcc_lo, 1, v5
	v_sub_nc_u32_e32 v3, v11, v17
	v_sub_nc_u32_e32 v2, v45, v4
	;; [unrolled: 1-line block ×3, first 2 shown]
	v_and_b32_e32 v11, 1, v46
	v_cndmask_b32_e32 v1, v1, v6, vcc_lo
	v_and_b32_e32 v6, 1, v14
	v_sub_nc_u32_e32 v8, v45, v3
	v_add_nc_u32_e32 v2, 9, v2
	v_sub_nc_u32_e32 v9, v45, v5
	v_lshlrev_b32_e32 v1, 2, v1
	v_cmp_eq_u32_e32 vcc_lo, 1, v6
	v_add_nc_u32_e32 v6, 10, v8
	v_and_b32_sdwa v8, v56, v47 dst_sel:DWORD dst_unused:UNUSED_PAD src0_sel:DWORD src1_sel:WORD_1
	v_add_nc_u32_e32 v9, 11, v9
	v_add_co_ci_u32_e64 v17, null, s21, 0, s0
	v_cndmask_b32_e32 v2, v2, v4, vcc_lo
	v_cmp_eq_u32_e32 vcc_lo, 1, v8
	v_sub_nc_u32_e32 v4, v45, v7
	v_lshlrev_b32_e32 v2, 2, v2
	v_cndmask_b32_e32 v3, v6, v3, vcc_lo
	v_cmp_eq_u32_e32 vcc_lo, 1, v10
	v_add_nc_u32_e32 v4, 12, v4
	v_lshlrev_b32_e32 v3, 2, v3
	v_cndmask_b32_e32 v5, v9, v5, vcc_lo
	v_cmp_eq_u32_e32 vcc_lo, 1, v11
	v_lshlrev_b32_e32 v5, 2, v5
	v_cndmask_b32_e32 v4, v4, v7, vcc_lo
	v_cmp_ne_u32_e32 vcc_lo, 1, v43
	v_lshlrev_b32_e32 v4, 2, v4
	ds_write_b32 v1, v20
	ds_write_b32 v2, v21
	;; [unrolled: 1-line block ×5, first 2 shown]
	s_waitcnt lgkmcnt(0)
	s_barrier
	buffer_gl0_inv
	ds_read2st64_b32 v[11:12], v42 offset1:4
	ds_read2st64_b32 v[9:10], v42 offset0:8 offset1:12
	ds_read2st64_b32 v[7:8], v42 offset0:16 offset1:20
	;; [unrolled: 1-line block ×5, first 2 shown]
	ds_read_b32 v18, v42 offset:12288
	s_cbranch_vccnz .LBB1911_125
; %bb.72:
	s_sub_u32 s0, s18, s26
	v_sub_co_u32 v13, vcc_lo, v15, s16
	s_subb_u32 s1, s19, 0
	v_add_co_u32 v19, s0, s0, v16
	v_subrev_co_ci_u32_e64 v14, null, s17, v17, vcc_lo
	v_add_co_ci_u32_e64 v20, null, s1, 0, s0
	v_add_co_u32 v19, vcc_lo, v19, v13
	s_mov_b32 s0, exec_lo
	v_add_co_ci_u32_e64 v20, null, v20, v14, vcc_lo
                                        ; implicit-def: $vgpr13_vgpr14
	v_cmpx_ge_u32_e64 v0, v16
	s_xor_b32 s0, exec_lo, s0
; %bb.73:
	v_not_b32_e32 v13, v0
	v_ashrrev_i32_e32 v14, 31, v13
	v_add_co_u32 v13, vcc_lo, v19, v13
	v_add_co_ci_u32_e64 v14, null, v20, v14, vcc_lo
; %bb.74:
	s_andn2_saveexec_b32 s0, s0
; %bb.75:
	v_add_co_u32 v13, vcc_lo, v15, v0
	v_add_co_ci_u32_e64 v14, null, 0, v17, vcc_lo
; %bb.76:
	s_or_b32 exec_lo, exec_lo, s0
	v_lshlrev_b64 v[13:14], 2, v[13:14]
	s_mov_b32 s0, exec_lo
	v_add_co_u32 v13, vcc_lo, s14, v13
	v_add_co_ci_u32_e64 v14, null, s15, v14, vcc_lo
	s_waitcnt lgkmcnt(6)
	global_store_dword v[13:14], v11, off
                                        ; implicit-def: $vgpr13_vgpr14
	v_cmpx_ge_u32_e64 v41, v16
	s_xor_b32 s0, exec_lo, s0
; %bb.77:
	v_xor_b32_e32 v13, 0xfffffeff, v0
	v_ashrrev_i32_e32 v14, 31, v13
	v_add_co_u32 v13, vcc_lo, v19, v13
	v_add_co_ci_u32_e64 v14, null, v20, v14, vcc_lo
; %bb.78:
	s_andn2_saveexec_b32 s0, s0
; %bb.79:
	v_add_co_u32 v13, vcc_lo, v15, v41
	v_add_co_ci_u32_e64 v14, null, 0, v17, vcc_lo
; %bb.80:
	s_or_b32 exec_lo, exec_lo, s0
	v_lshlrev_b64 v[13:14], 2, v[13:14]
	s_mov_b32 s0, exec_lo
	v_add_co_u32 v13, vcc_lo, s14, v13
	v_add_co_ci_u32_e64 v14, null, s15, v14, vcc_lo
	global_store_dword v[13:14], v12, off
                                        ; implicit-def: $vgpr13_vgpr14
	v_cmpx_ge_u32_e64 v40, v16
	s_xor_b32 s0, exec_lo, s0
; %bb.81:
	v_xor_b32_e32 v13, 0xfffffdff, v0
	v_ashrrev_i32_e32 v14, 31, v13
	v_add_co_u32 v13, vcc_lo, v19, v13
	v_add_co_ci_u32_e64 v14, null, v20, v14, vcc_lo
; %bb.82:
	s_andn2_saveexec_b32 s0, s0
; %bb.83:
	v_add_co_u32 v13, vcc_lo, v15, v40
	v_add_co_ci_u32_e64 v14, null, 0, v17, vcc_lo
; %bb.84:
	s_or_b32 exec_lo, exec_lo, s0
	v_lshlrev_b64 v[13:14], 2, v[13:14]
	s_mov_b32 s0, exec_lo
	v_add_co_u32 v13, vcc_lo, s14, v13
	v_add_co_ci_u32_e64 v14, null, s15, v14, vcc_lo
	s_waitcnt lgkmcnt(5)
	global_store_dword v[13:14], v9, off
                                        ; implicit-def: $vgpr13_vgpr14
	v_cmpx_ge_u32_e64 v39, v16
	s_xor_b32 s0, exec_lo, s0
; %bb.85:
	v_xor_b32_e32 v13, 0xfffffcff, v0
	v_ashrrev_i32_e32 v14, 31, v13
	v_add_co_u32 v13, vcc_lo, v19, v13
	v_add_co_ci_u32_e64 v14, null, v20, v14, vcc_lo
; %bb.86:
	s_andn2_saveexec_b32 s0, s0
; %bb.87:
	v_add_co_u32 v13, vcc_lo, v15, v39
	v_add_co_ci_u32_e64 v14, null, 0, v17, vcc_lo
; %bb.88:
	s_or_b32 exec_lo, exec_lo, s0
	v_lshlrev_b64 v[13:14], 2, v[13:14]
	s_mov_b32 s0, exec_lo
	v_add_co_u32 v13, vcc_lo, s14, v13
	v_add_co_ci_u32_e64 v14, null, s15, v14, vcc_lo
	global_store_dword v[13:14], v10, off
                                        ; implicit-def: $vgpr13_vgpr14
	v_cmpx_ge_u32_e64 v38, v16
	s_xor_b32 s0, exec_lo, s0
; %bb.89:
	v_xor_b32_e32 v13, 0xfffffbff, v0
	;; [unrolled: 41-line block ×6, first 2 shown]
	v_ashrrev_i32_e32 v14, 31, v13
	v_add_co_u32 v13, vcc_lo, v19, v13
	v_add_co_ci_u32_e64 v14, null, v20, v14, vcc_lo
; %bb.122:
	s_andn2_saveexec_b32 s0, s0
; %bb.123:
	v_add_co_u32 v13, vcc_lo, v15, v30
	v_add_co_ci_u32_e64 v14, null, 0, v17, vcc_lo
; %bb.124:
	s_or_b32 exec_lo, exec_lo, s0
	s_mov_b32 s0, -1
	s_branch .LBB1911_205
.LBB1911_125:
	s_mov_b32 s0, 0
                                        ; implicit-def: $vgpr13_vgpr14
	s_cbranch_execz .LBB1911_205
; %bb.126:
	s_add_u32 s1, s16, s26
	s_addc_u32 s2, s17, 0
	s_sub_u32 s1, s18, s1
	s_subb_u32 s2, s19, s2
	v_add_co_u32 v13, s1, s1, v16
	v_add_co_ci_u32_e64 v14, null, s2, 0, s1
	s_mov_b32 s1, exec_lo
	v_add_co_u32 v19, vcc_lo, v13, v15
	v_add_co_ci_u32_e64 v20, null, v14, v17, vcc_lo
	v_cmpx_gt_u32_e64 s25, v0
	s_cbranch_execz .LBB1911_162
; %bb.127:
	s_mov_b32 s2, exec_lo
                                        ; implicit-def: $vgpr13_vgpr14
	v_cmpx_ge_u32_e64 v0, v16
	s_xor_b32 s2, exec_lo, s2
; %bb.128:
	v_not_b32_e32 v13, v0
	v_ashrrev_i32_e32 v14, 31, v13
	v_add_co_u32 v13, vcc_lo, v19, v13
	v_add_co_ci_u32_e64 v14, null, v20, v14, vcc_lo
; %bb.129:
	s_andn2_saveexec_b32 s2, s2
; %bb.130:
	v_add_co_u32 v13, vcc_lo, v15, v0
	v_add_co_ci_u32_e64 v14, null, 0, v17, vcc_lo
; %bb.131:
	s_or_b32 exec_lo, exec_lo, s2
	v_lshlrev_b64 v[13:14], 2, v[13:14]
	v_add_co_u32 v13, vcc_lo, s14, v13
	v_add_co_ci_u32_e64 v14, null, s15, v14, vcc_lo
	s_waitcnt lgkmcnt(6)
	global_store_dword v[13:14], v11, off
	s_or_b32 exec_lo, exec_lo, s1
	s_mov_b32 s1, exec_lo
	v_cmpx_gt_u32_e64 s25, v41
	s_cbranch_execnz .LBB1911_163
.LBB1911_132:
	s_or_b32 exec_lo, exec_lo, s1
	s_mov_b32 s1, exec_lo
	v_cmpx_gt_u32_e64 s25, v40
	s_cbranch_execz .LBB1911_168
.LBB1911_133:
	s_mov_b32 s2, exec_lo
                                        ; implicit-def: $vgpr11_vgpr12
	v_cmpx_ge_u32_e64 v40, v16
	s_xor_b32 s2, exec_lo, s2
	s_cbranch_execz .LBB1911_135
; %bb.134:
	s_waitcnt lgkmcnt(6)
	v_xor_b32_e32 v11, 0xfffffdff, v0
                                        ; implicit-def: $vgpr40
	v_ashrrev_i32_e32 v12, 31, v11
	v_add_co_u32 v11, vcc_lo, v19, v11
	v_add_co_ci_u32_e64 v12, null, v20, v12, vcc_lo
.LBB1911_135:
	s_andn2_saveexec_b32 s2, s2
	s_cbranch_execz .LBB1911_137
; %bb.136:
	s_waitcnt lgkmcnt(6)
	v_add_co_u32 v11, vcc_lo, v15, v40
	v_add_co_ci_u32_e64 v12, null, 0, v17, vcc_lo
.LBB1911_137:
	s_or_b32 exec_lo, exec_lo, s2
	s_waitcnt lgkmcnt(6)
	v_lshlrev_b64 v[11:12], 2, v[11:12]
	v_add_co_u32 v11, vcc_lo, s14, v11
	v_add_co_ci_u32_e64 v12, null, s15, v12, vcc_lo
	s_waitcnt lgkmcnt(5)
	global_store_dword v[11:12], v9, off
	s_or_b32 exec_lo, exec_lo, s1
	s_mov_b32 s1, exec_lo
	v_cmpx_gt_u32_e64 s25, v39
	s_cbranch_execnz .LBB1911_169
.LBB1911_138:
	s_or_b32 exec_lo, exec_lo, s1
	s_mov_b32 s1, exec_lo
	v_cmpx_gt_u32_e64 s25, v38
	s_cbranch_execz .LBB1911_174
.LBB1911_139:
	s_mov_b32 s2, exec_lo
                                        ; implicit-def: $vgpr9_vgpr10
	v_cmpx_ge_u32_e64 v38, v16
	s_xor_b32 s2, exec_lo, s2
	s_cbranch_execz .LBB1911_141
; %bb.140:
	s_waitcnt lgkmcnt(5)
	v_xor_b32_e32 v9, 0xfffffbff, v0
                                        ; implicit-def: $vgpr38
	v_ashrrev_i32_e32 v10, 31, v9
	v_add_co_u32 v9, vcc_lo, v19, v9
	v_add_co_ci_u32_e64 v10, null, v20, v10, vcc_lo
.LBB1911_141:
	s_andn2_saveexec_b32 s2, s2
	s_cbranch_execz .LBB1911_143
; %bb.142:
	s_waitcnt lgkmcnt(5)
	v_add_co_u32 v9, vcc_lo, v15, v38
	v_add_co_ci_u32_e64 v10, null, 0, v17, vcc_lo
.LBB1911_143:
	s_or_b32 exec_lo, exec_lo, s2
	s_waitcnt lgkmcnt(5)
	v_lshlrev_b64 v[9:10], 2, v[9:10]
	v_add_co_u32 v9, vcc_lo, s14, v9
	v_add_co_ci_u32_e64 v10, null, s15, v10, vcc_lo
	s_waitcnt lgkmcnt(4)
	global_store_dword v[9:10], v7, off
	s_or_b32 exec_lo, exec_lo, s1
	s_mov_b32 s1, exec_lo
	v_cmpx_gt_u32_e64 s25, v37
	s_cbranch_execnz .LBB1911_175
.LBB1911_144:
	s_or_b32 exec_lo, exec_lo, s1
	s_mov_b32 s1, exec_lo
	v_cmpx_gt_u32_e64 s25, v36
	s_cbranch_execz .LBB1911_180
.LBB1911_145:
	s_mov_b32 s2, exec_lo
                                        ; implicit-def: $vgpr7_vgpr8
	v_cmpx_ge_u32_e64 v36, v16
	s_xor_b32 s2, exec_lo, s2
	s_cbranch_execz .LBB1911_147
; %bb.146:
	s_waitcnt lgkmcnt(4)
	v_xor_b32_e32 v7, 0xfffff9ff, v0
                                        ; implicit-def: $vgpr36
	v_ashrrev_i32_e32 v8, 31, v7
	v_add_co_u32 v7, vcc_lo, v19, v7
	v_add_co_ci_u32_e64 v8, null, v20, v8, vcc_lo
.LBB1911_147:
	s_andn2_saveexec_b32 s2, s2
	s_cbranch_execz .LBB1911_149
; %bb.148:
	s_waitcnt lgkmcnt(4)
	v_add_co_u32 v7, vcc_lo, v15, v36
	v_add_co_ci_u32_e64 v8, null, 0, v17, vcc_lo
.LBB1911_149:
	s_or_b32 exec_lo, exec_lo, s2
	s_waitcnt lgkmcnt(4)
	v_lshlrev_b64 v[7:8], 2, v[7:8]
	v_add_co_u32 v7, vcc_lo, s14, v7
	v_add_co_ci_u32_e64 v8, null, s15, v8, vcc_lo
	s_waitcnt lgkmcnt(3)
	global_store_dword v[7:8], v5, off
	s_or_b32 exec_lo, exec_lo, s1
	s_mov_b32 s1, exec_lo
	v_cmpx_gt_u32_e64 s25, v35
	s_cbranch_execnz .LBB1911_181
.LBB1911_150:
	s_or_b32 exec_lo, exec_lo, s1
	s_mov_b32 s1, exec_lo
	v_cmpx_gt_u32_e64 s25, v34
	s_cbranch_execz .LBB1911_186
.LBB1911_151:
	s_mov_b32 s2, exec_lo
                                        ; implicit-def: $vgpr5_vgpr6
	v_cmpx_ge_u32_e64 v34, v16
	s_xor_b32 s2, exec_lo, s2
	s_cbranch_execz .LBB1911_153
; %bb.152:
	s_waitcnt lgkmcnt(3)
	v_xor_b32_e32 v5, 0xfffff7ff, v0
                                        ; implicit-def: $vgpr34
	v_ashrrev_i32_e32 v6, 31, v5
	v_add_co_u32 v5, vcc_lo, v19, v5
	v_add_co_ci_u32_e64 v6, null, v20, v6, vcc_lo
.LBB1911_153:
	s_andn2_saveexec_b32 s2, s2
	s_cbranch_execz .LBB1911_155
; %bb.154:
	s_waitcnt lgkmcnt(3)
	v_add_co_u32 v5, vcc_lo, v15, v34
	v_add_co_ci_u32_e64 v6, null, 0, v17, vcc_lo
.LBB1911_155:
	s_or_b32 exec_lo, exec_lo, s2
	s_waitcnt lgkmcnt(3)
	v_lshlrev_b64 v[5:6], 2, v[5:6]
	v_add_co_u32 v5, vcc_lo, s14, v5
	v_add_co_ci_u32_e64 v6, null, s15, v6, vcc_lo
	s_waitcnt lgkmcnt(2)
	global_store_dword v[5:6], v3, off
	s_or_b32 exec_lo, exec_lo, s1
	s_mov_b32 s1, exec_lo
	v_cmpx_gt_u32_e64 s25, v33
	s_cbranch_execnz .LBB1911_187
.LBB1911_156:
	s_or_b32 exec_lo, exec_lo, s1
	s_mov_b32 s1, exec_lo
	v_cmpx_gt_u32_e64 s25, v32
	s_cbranch_execz .LBB1911_192
.LBB1911_157:
	s_mov_b32 s2, exec_lo
                                        ; implicit-def: $vgpr3_vgpr4
	v_cmpx_ge_u32_e64 v32, v16
	s_xor_b32 s2, exec_lo, s2
	s_cbranch_execz .LBB1911_159
; %bb.158:
	s_waitcnt lgkmcnt(2)
	v_xor_b32_e32 v3, 0xfffff5ff, v0
                                        ; implicit-def: $vgpr32
	v_ashrrev_i32_e32 v4, 31, v3
	v_add_co_u32 v3, vcc_lo, v19, v3
	v_add_co_ci_u32_e64 v4, null, v20, v4, vcc_lo
.LBB1911_159:
	s_andn2_saveexec_b32 s2, s2
	s_cbranch_execz .LBB1911_161
; %bb.160:
	s_waitcnt lgkmcnt(2)
	v_add_co_u32 v3, vcc_lo, v15, v32
	v_add_co_ci_u32_e64 v4, null, 0, v17, vcc_lo
.LBB1911_161:
	s_or_b32 exec_lo, exec_lo, s2
	s_waitcnt lgkmcnt(2)
	v_lshlrev_b64 v[3:4], 2, v[3:4]
	v_add_co_u32 v3, vcc_lo, s14, v3
	v_add_co_ci_u32_e64 v4, null, s15, v4, vcc_lo
	s_waitcnt lgkmcnt(1)
	global_store_dword v[3:4], v1, off
	s_or_b32 exec_lo, exec_lo, s1
	s_mov_b32 s1, exec_lo
	v_cmpx_gt_u32_e64 s25, v31
	s_cbranch_execz .LBB1911_198
	s_branch .LBB1911_193
.LBB1911_162:
	s_or_b32 exec_lo, exec_lo, s1
	s_mov_b32 s1, exec_lo
	v_cmpx_gt_u32_e64 s25, v41
	s_cbranch_execz .LBB1911_132
.LBB1911_163:
	s_mov_b32 s2, exec_lo
                                        ; implicit-def: $vgpr13_vgpr14
	v_cmpx_ge_u32_e64 v41, v16
	s_xor_b32 s2, exec_lo, s2
	s_cbranch_execz .LBB1911_165
; %bb.164:
	s_waitcnt lgkmcnt(6)
	v_xor_b32_e32 v11, 0xfffffeff, v0
                                        ; implicit-def: $vgpr41
	v_ashrrev_i32_e32 v14, 31, v11
	v_add_co_u32 v13, vcc_lo, v19, v11
	v_add_co_ci_u32_e64 v14, null, v20, v14, vcc_lo
.LBB1911_165:
	s_andn2_saveexec_b32 s2, s2
; %bb.166:
	v_add_co_u32 v13, vcc_lo, v15, v41
	v_add_co_ci_u32_e64 v14, null, 0, v17, vcc_lo
; %bb.167:
	s_or_b32 exec_lo, exec_lo, s2
	v_lshlrev_b64 v[13:14], 2, v[13:14]
	v_add_co_u32 v13, vcc_lo, s14, v13
	v_add_co_ci_u32_e64 v14, null, s15, v14, vcc_lo
	s_waitcnt lgkmcnt(6)
	global_store_dword v[13:14], v12, off
	s_or_b32 exec_lo, exec_lo, s1
	s_mov_b32 s1, exec_lo
	v_cmpx_gt_u32_e64 s25, v40
	s_cbranch_execnz .LBB1911_133
.LBB1911_168:
	s_or_b32 exec_lo, exec_lo, s1
	s_mov_b32 s1, exec_lo
	v_cmpx_gt_u32_e64 s25, v39
	s_cbranch_execz .LBB1911_138
.LBB1911_169:
	s_mov_b32 s2, exec_lo
                                        ; implicit-def: $vgpr11_vgpr12
	v_cmpx_ge_u32_e64 v39, v16
	s_xor_b32 s2, exec_lo, s2
	s_cbranch_execz .LBB1911_171
; %bb.170:
	s_waitcnt lgkmcnt(5)
	v_xor_b32_e32 v9, 0xfffffcff, v0
                                        ; implicit-def: $vgpr39
	v_ashrrev_i32_e32 v12, 31, v9
	v_add_co_u32 v11, vcc_lo, v19, v9
	v_add_co_ci_u32_e64 v12, null, v20, v12, vcc_lo
.LBB1911_171:
	s_andn2_saveexec_b32 s2, s2
	s_cbranch_execz .LBB1911_173
; %bb.172:
	s_waitcnt lgkmcnt(6)
	v_add_co_u32 v11, vcc_lo, v15, v39
	v_add_co_ci_u32_e64 v12, null, 0, v17, vcc_lo
.LBB1911_173:
	s_or_b32 exec_lo, exec_lo, s2
	s_waitcnt lgkmcnt(6)
	v_lshlrev_b64 v[11:12], 2, v[11:12]
	v_add_co_u32 v11, vcc_lo, s14, v11
	v_add_co_ci_u32_e64 v12, null, s15, v12, vcc_lo
	s_waitcnt lgkmcnt(5)
	global_store_dword v[11:12], v10, off
	s_or_b32 exec_lo, exec_lo, s1
	s_mov_b32 s1, exec_lo
	v_cmpx_gt_u32_e64 s25, v38
	s_cbranch_execnz .LBB1911_139
.LBB1911_174:
	s_or_b32 exec_lo, exec_lo, s1
	s_mov_b32 s1, exec_lo
	v_cmpx_gt_u32_e64 s25, v37
	s_cbranch_execz .LBB1911_144
.LBB1911_175:
	s_mov_b32 s2, exec_lo
                                        ; implicit-def: $vgpr9_vgpr10
	v_cmpx_ge_u32_e64 v37, v16
	s_xor_b32 s2, exec_lo, s2
	s_cbranch_execz .LBB1911_177
; %bb.176:
	s_waitcnt lgkmcnt(4)
	v_xor_b32_e32 v7, 0xfffffaff, v0
                                        ; implicit-def: $vgpr37
	v_ashrrev_i32_e32 v10, 31, v7
	v_add_co_u32 v9, vcc_lo, v19, v7
	v_add_co_ci_u32_e64 v10, null, v20, v10, vcc_lo
.LBB1911_177:
	s_andn2_saveexec_b32 s2, s2
	s_cbranch_execz .LBB1911_179
; %bb.178:
	s_waitcnt lgkmcnt(5)
	v_add_co_u32 v9, vcc_lo, v15, v37
	v_add_co_ci_u32_e64 v10, null, 0, v17, vcc_lo
.LBB1911_179:
	s_or_b32 exec_lo, exec_lo, s2
	s_waitcnt lgkmcnt(5)
	v_lshlrev_b64 v[9:10], 2, v[9:10]
	v_add_co_u32 v9, vcc_lo, s14, v9
	v_add_co_ci_u32_e64 v10, null, s15, v10, vcc_lo
	s_waitcnt lgkmcnt(4)
	global_store_dword v[9:10], v8, off
	s_or_b32 exec_lo, exec_lo, s1
	s_mov_b32 s1, exec_lo
	v_cmpx_gt_u32_e64 s25, v36
	s_cbranch_execnz .LBB1911_145
.LBB1911_180:
	s_or_b32 exec_lo, exec_lo, s1
	s_mov_b32 s1, exec_lo
	v_cmpx_gt_u32_e64 s25, v35
	s_cbranch_execz .LBB1911_150
.LBB1911_181:
	s_mov_b32 s2, exec_lo
                                        ; implicit-def: $vgpr7_vgpr8
	v_cmpx_ge_u32_e64 v35, v16
	s_xor_b32 s2, exec_lo, s2
	s_cbranch_execz .LBB1911_183
; %bb.182:
	s_waitcnt lgkmcnt(3)
	v_xor_b32_e32 v5, 0xfffff8ff, v0
                                        ; implicit-def: $vgpr35
	v_ashrrev_i32_e32 v8, 31, v5
	v_add_co_u32 v7, vcc_lo, v19, v5
	v_add_co_ci_u32_e64 v8, null, v20, v8, vcc_lo
.LBB1911_183:
	s_andn2_saveexec_b32 s2, s2
	s_cbranch_execz .LBB1911_185
; %bb.184:
	s_waitcnt lgkmcnt(4)
	v_add_co_u32 v7, vcc_lo, v15, v35
	v_add_co_ci_u32_e64 v8, null, 0, v17, vcc_lo
.LBB1911_185:
	s_or_b32 exec_lo, exec_lo, s2
	s_waitcnt lgkmcnt(4)
	v_lshlrev_b64 v[7:8], 2, v[7:8]
	v_add_co_u32 v7, vcc_lo, s14, v7
	v_add_co_ci_u32_e64 v8, null, s15, v8, vcc_lo
	s_waitcnt lgkmcnt(3)
	global_store_dword v[7:8], v6, off
	s_or_b32 exec_lo, exec_lo, s1
	s_mov_b32 s1, exec_lo
	v_cmpx_gt_u32_e64 s25, v34
	s_cbranch_execnz .LBB1911_151
.LBB1911_186:
	s_or_b32 exec_lo, exec_lo, s1
	s_mov_b32 s1, exec_lo
	v_cmpx_gt_u32_e64 s25, v33
	s_cbranch_execz .LBB1911_156
.LBB1911_187:
	s_mov_b32 s2, exec_lo
                                        ; implicit-def: $vgpr5_vgpr6
	v_cmpx_ge_u32_e64 v33, v16
	s_xor_b32 s2, exec_lo, s2
	s_cbranch_execz .LBB1911_189
; %bb.188:
	s_waitcnt lgkmcnt(2)
	v_xor_b32_e32 v3, 0xfffff6ff, v0
                                        ; implicit-def: $vgpr33
	v_ashrrev_i32_e32 v6, 31, v3
	v_add_co_u32 v5, vcc_lo, v19, v3
	v_add_co_ci_u32_e64 v6, null, v20, v6, vcc_lo
.LBB1911_189:
	s_andn2_saveexec_b32 s2, s2
	s_cbranch_execz .LBB1911_191
; %bb.190:
	s_waitcnt lgkmcnt(3)
	v_add_co_u32 v5, vcc_lo, v15, v33
	v_add_co_ci_u32_e64 v6, null, 0, v17, vcc_lo
.LBB1911_191:
	s_or_b32 exec_lo, exec_lo, s2
	s_waitcnt lgkmcnt(3)
	v_lshlrev_b64 v[5:6], 2, v[5:6]
	v_add_co_u32 v5, vcc_lo, s14, v5
	v_add_co_ci_u32_e64 v6, null, s15, v6, vcc_lo
	s_waitcnt lgkmcnt(2)
	global_store_dword v[5:6], v4, off
	s_or_b32 exec_lo, exec_lo, s1
	s_mov_b32 s1, exec_lo
	v_cmpx_gt_u32_e64 s25, v32
	s_cbranch_execnz .LBB1911_157
.LBB1911_192:
	s_or_b32 exec_lo, exec_lo, s1
	s_mov_b32 s1, exec_lo
	v_cmpx_gt_u32_e64 s25, v31
	s_cbranch_execz .LBB1911_198
.LBB1911_193:
	s_mov_b32 s2, exec_lo
                                        ; implicit-def: $vgpr3_vgpr4
	v_cmpx_ge_u32_e64 v31, v16
	s_xor_b32 s2, exec_lo, s2
	s_cbranch_execz .LBB1911_195
; %bb.194:
	s_waitcnt lgkmcnt(1)
	v_xor_b32_e32 v1, 0xfffff4ff, v0
                                        ; implicit-def: $vgpr31
	v_ashrrev_i32_e32 v4, 31, v1
	v_add_co_u32 v3, vcc_lo, v19, v1
	v_add_co_ci_u32_e64 v4, null, v20, v4, vcc_lo
.LBB1911_195:
	s_andn2_saveexec_b32 s2, s2
	s_cbranch_execz .LBB1911_197
; %bb.196:
	s_waitcnt lgkmcnt(2)
	v_add_co_u32 v3, vcc_lo, v15, v31
	v_add_co_ci_u32_e64 v4, null, 0, v17, vcc_lo
.LBB1911_197:
	s_or_b32 exec_lo, exec_lo, s2
	s_waitcnt lgkmcnt(2)
	v_lshlrev_b64 v[3:4], 2, v[3:4]
	v_add_co_u32 v3, vcc_lo, s14, v3
	v_add_co_ci_u32_e64 v4, null, s15, v4, vcc_lo
	s_waitcnt lgkmcnt(1)
	global_store_dword v[3:4], v2, off
.LBB1911_198:
	s_or_b32 exec_lo, exec_lo, s1
	s_mov_b32 s1, exec_lo
                                        ; implicit-def: $vgpr13_vgpr14
	v_cmpx_gt_u32_e64 s25, v30
	s_cbranch_execz .LBB1911_204
; %bb.199:
	s_mov_b32 s2, exec_lo
                                        ; implicit-def: $vgpr13_vgpr14
	v_cmpx_ge_u32_e64 v30, v16
	s_xor_b32 s2, exec_lo, s2
	s_cbranch_execz .LBB1911_201
; %bb.200:
	s_waitcnt lgkmcnt(1)
	v_xor_b32_e32 v1, 0xfffff3ff, v0
                                        ; implicit-def: $vgpr30
	v_ashrrev_i32_e32 v2, 31, v1
	v_add_co_u32 v13, vcc_lo, v19, v1
	v_add_co_ci_u32_e64 v14, null, v20, v2, vcc_lo
.LBB1911_201:
	s_andn2_saveexec_b32 s2, s2
; %bb.202:
	v_add_co_u32 v13, vcc_lo, v15, v30
	v_add_co_ci_u32_e64 v14, null, 0, v17, vcc_lo
; %bb.203:
	s_or_b32 exec_lo, exec_lo, s2
	s_or_b32 s0, s0, exec_lo
.LBB1911_204:
	s_or_b32 exec_lo, exec_lo, s1
.LBB1911_205:
	s_and_saveexec_b32 s1, s0
	s_cbranch_execz .LBB1911_207
; %bb.206:
	s_waitcnt lgkmcnt(1)
	v_lshlrev_b64 v[1:2], 2, v[13:14]
	v_add_co_u32 v1, vcc_lo, s14, v1
	v_add_co_ci_u32_e64 v2, null, s15, v2, vcc_lo
	s_waitcnt lgkmcnt(0)
	global_store_dword v[1:2], v18, off
.LBB1911_207:
	s_or_b32 exec_lo, exec_lo, s1
	v_cmp_eq_u32_e32 vcc_lo, 0, v0
	s_and_b32 s0, vcc_lo, s24
	s_and_saveexec_b32 s1, s0
	s_cbranch_execz .LBB1911_209
; %bb.208:
	v_add_co_u32 v0, vcc_lo, v15, v16
	s_waitcnt lgkmcnt(1)
	v_mov_b32_e32 v2, 0
	v_add_co_ci_u32_e64 v1, null, 0, v17, vcc_lo
	global_store_dwordx2 v2, v[0:1], s[12:13]
.LBB1911_209:
	s_endpgm
	.section	.rodata,"a",@progbits
	.p2align	6, 0x0
	.amdhsa_kernel _ZN7rocprim17ROCPRIM_400000_NS6detail17trampoline_kernelINS0_13select_configILj256ELj13ELNS0_17block_load_methodE3ELS4_3ELS4_3ELNS0_20block_scan_algorithmE0ELj4294967295EEENS1_25partition_config_selectorILNS1_17partition_subalgoE3EjNS0_10empty_typeEbEEZZNS1_14partition_implILS8_3ELb0ES6_jNS0_17counting_iteratorIjlEEPS9_SE_NS0_5tupleIJPjSE_EEENSF_IJSE_SE_EEES9_SG_JZNS1_25segmented_radix_sort_implINS0_14default_configELb1EPK12hip_bfloat16PSL_PKlPlN2at6native12_GLOBAL__N_18offset_tEEE10hipError_tPvRmT1_PNSt15iterator_traitsISZ_E10value_typeET2_T3_PNS10_IS15_E10value_typeET4_jRbjT5_S1B_jjP12ihipStream_tbEUljE_EEESW_SX_SY_S15_S19_S1B_T6_T7_T9_mT8_S1D_bDpT10_ENKUlT_T0_E_clISt17integral_constantIbLb0EES1Q_EEDaS1L_S1M_EUlS1L_E_NS1_11comp_targetILNS1_3genE8ELNS1_11target_archE1030ELNS1_3gpuE2ELNS1_3repE0EEENS1_30default_config_static_selectorELNS0_4arch9wavefront6targetE0EEEvSZ_
		.amdhsa_group_segment_fixed_size 13320
		.amdhsa_private_segment_fixed_size 0
		.amdhsa_kernarg_size 144
		.amdhsa_user_sgpr_count 6
		.amdhsa_user_sgpr_private_segment_buffer 1
		.amdhsa_user_sgpr_dispatch_ptr 0
		.amdhsa_user_sgpr_queue_ptr 0
		.amdhsa_user_sgpr_kernarg_segment_ptr 1
		.amdhsa_user_sgpr_dispatch_id 0
		.amdhsa_user_sgpr_flat_scratch_init 0
		.amdhsa_user_sgpr_private_segment_size 0
		.amdhsa_wavefront_size32 1
		.amdhsa_uses_dynamic_stack 0
		.amdhsa_system_sgpr_private_segment_wavefront_offset 0
		.amdhsa_system_sgpr_workgroup_id_x 1
		.amdhsa_system_sgpr_workgroup_id_y 0
		.amdhsa_system_sgpr_workgroup_id_z 0
		.amdhsa_system_sgpr_workgroup_info 0
		.amdhsa_system_vgpr_workitem_id 0
		.amdhsa_next_free_vgpr 69
		.amdhsa_next_free_sgpr 27
		.amdhsa_reserve_vcc 1
		.amdhsa_reserve_flat_scratch 0
		.amdhsa_float_round_mode_32 0
		.amdhsa_float_round_mode_16_64 0
		.amdhsa_float_denorm_mode_32 3
		.amdhsa_float_denorm_mode_16_64 3
		.amdhsa_dx10_clamp 1
		.amdhsa_ieee_mode 1
		.amdhsa_fp16_overflow 0
		.amdhsa_workgroup_processor_mode 1
		.amdhsa_memory_ordered 1
		.amdhsa_forward_progress 1
		.amdhsa_shared_vgpr_count 0
		.amdhsa_exception_fp_ieee_invalid_op 0
		.amdhsa_exception_fp_denorm_src 0
		.amdhsa_exception_fp_ieee_div_zero 0
		.amdhsa_exception_fp_ieee_overflow 0
		.amdhsa_exception_fp_ieee_underflow 0
		.amdhsa_exception_fp_ieee_inexact 0
		.amdhsa_exception_int_div_zero 0
	.end_amdhsa_kernel
	.section	.text._ZN7rocprim17ROCPRIM_400000_NS6detail17trampoline_kernelINS0_13select_configILj256ELj13ELNS0_17block_load_methodE3ELS4_3ELS4_3ELNS0_20block_scan_algorithmE0ELj4294967295EEENS1_25partition_config_selectorILNS1_17partition_subalgoE3EjNS0_10empty_typeEbEEZZNS1_14partition_implILS8_3ELb0ES6_jNS0_17counting_iteratorIjlEEPS9_SE_NS0_5tupleIJPjSE_EEENSF_IJSE_SE_EEES9_SG_JZNS1_25segmented_radix_sort_implINS0_14default_configELb1EPK12hip_bfloat16PSL_PKlPlN2at6native12_GLOBAL__N_18offset_tEEE10hipError_tPvRmT1_PNSt15iterator_traitsISZ_E10value_typeET2_T3_PNS10_IS15_E10value_typeET4_jRbjT5_S1B_jjP12ihipStream_tbEUljE_EEESW_SX_SY_S15_S19_S1B_T6_T7_T9_mT8_S1D_bDpT10_ENKUlT_T0_E_clISt17integral_constantIbLb0EES1Q_EEDaS1L_S1M_EUlS1L_E_NS1_11comp_targetILNS1_3genE8ELNS1_11target_archE1030ELNS1_3gpuE2ELNS1_3repE0EEENS1_30default_config_static_selectorELNS0_4arch9wavefront6targetE0EEEvSZ_,"axG",@progbits,_ZN7rocprim17ROCPRIM_400000_NS6detail17trampoline_kernelINS0_13select_configILj256ELj13ELNS0_17block_load_methodE3ELS4_3ELS4_3ELNS0_20block_scan_algorithmE0ELj4294967295EEENS1_25partition_config_selectorILNS1_17partition_subalgoE3EjNS0_10empty_typeEbEEZZNS1_14partition_implILS8_3ELb0ES6_jNS0_17counting_iteratorIjlEEPS9_SE_NS0_5tupleIJPjSE_EEENSF_IJSE_SE_EEES9_SG_JZNS1_25segmented_radix_sort_implINS0_14default_configELb1EPK12hip_bfloat16PSL_PKlPlN2at6native12_GLOBAL__N_18offset_tEEE10hipError_tPvRmT1_PNSt15iterator_traitsISZ_E10value_typeET2_T3_PNS10_IS15_E10value_typeET4_jRbjT5_S1B_jjP12ihipStream_tbEUljE_EEESW_SX_SY_S15_S19_S1B_T6_T7_T9_mT8_S1D_bDpT10_ENKUlT_T0_E_clISt17integral_constantIbLb0EES1Q_EEDaS1L_S1M_EUlS1L_E_NS1_11comp_targetILNS1_3genE8ELNS1_11target_archE1030ELNS1_3gpuE2ELNS1_3repE0EEENS1_30default_config_static_selectorELNS0_4arch9wavefront6targetE0EEEvSZ_,comdat
.Lfunc_end1911:
	.size	_ZN7rocprim17ROCPRIM_400000_NS6detail17trampoline_kernelINS0_13select_configILj256ELj13ELNS0_17block_load_methodE3ELS4_3ELS4_3ELNS0_20block_scan_algorithmE0ELj4294967295EEENS1_25partition_config_selectorILNS1_17partition_subalgoE3EjNS0_10empty_typeEbEEZZNS1_14partition_implILS8_3ELb0ES6_jNS0_17counting_iteratorIjlEEPS9_SE_NS0_5tupleIJPjSE_EEENSF_IJSE_SE_EEES9_SG_JZNS1_25segmented_radix_sort_implINS0_14default_configELb1EPK12hip_bfloat16PSL_PKlPlN2at6native12_GLOBAL__N_18offset_tEEE10hipError_tPvRmT1_PNSt15iterator_traitsISZ_E10value_typeET2_T3_PNS10_IS15_E10value_typeET4_jRbjT5_S1B_jjP12ihipStream_tbEUljE_EEESW_SX_SY_S15_S19_S1B_T6_T7_T9_mT8_S1D_bDpT10_ENKUlT_T0_E_clISt17integral_constantIbLb0EES1Q_EEDaS1L_S1M_EUlS1L_E_NS1_11comp_targetILNS1_3genE8ELNS1_11target_archE1030ELNS1_3gpuE2ELNS1_3repE0EEENS1_30default_config_static_selectorELNS0_4arch9wavefront6targetE0EEEvSZ_, .Lfunc_end1911-_ZN7rocprim17ROCPRIM_400000_NS6detail17trampoline_kernelINS0_13select_configILj256ELj13ELNS0_17block_load_methodE3ELS4_3ELS4_3ELNS0_20block_scan_algorithmE0ELj4294967295EEENS1_25partition_config_selectorILNS1_17partition_subalgoE3EjNS0_10empty_typeEbEEZZNS1_14partition_implILS8_3ELb0ES6_jNS0_17counting_iteratorIjlEEPS9_SE_NS0_5tupleIJPjSE_EEENSF_IJSE_SE_EEES9_SG_JZNS1_25segmented_radix_sort_implINS0_14default_configELb1EPK12hip_bfloat16PSL_PKlPlN2at6native12_GLOBAL__N_18offset_tEEE10hipError_tPvRmT1_PNSt15iterator_traitsISZ_E10value_typeET2_T3_PNS10_IS15_E10value_typeET4_jRbjT5_S1B_jjP12ihipStream_tbEUljE_EEESW_SX_SY_S15_S19_S1B_T6_T7_T9_mT8_S1D_bDpT10_ENKUlT_T0_E_clISt17integral_constantIbLb0EES1Q_EEDaS1L_S1M_EUlS1L_E_NS1_11comp_targetILNS1_3genE8ELNS1_11target_archE1030ELNS1_3gpuE2ELNS1_3repE0EEENS1_30default_config_static_selectorELNS0_4arch9wavefront6targetE0EEEvSZ_
                                        ; -- End function
	.set _ZN7rocprim17ROCPRIM_400000_NS6detail17trampoline_kernelINS0_13select_configILj256ELj13ELNS0_17block_load_methodE3ELS4_3ELS4_3ELNS0_20block_scan_algorithmE0ELj4294967295EEENS1_25partition_config_selectorILNS1_17partition_subalgoE3EjNS0_10empty_typeEbEEZZNS1_14partition_implILS8_3ELb0ES6_jNS0_17counting_iteratorIjlEEPS9_SE_NS0_5tupleIJPjSE_EEENSF_IJSE_SE_EEES9_SG_JZNS1_25segmented_radix_sort_implINS0_14default_configELb1EPK12hip_bfloat16PSL_PKlPlN2at6native12_GLOBAL__N_18offset_tEEE10hipError_tPvRmT1_PNSt15iterator_traitsISZ_E10value_typeET2_T3_PNS10_IS15_E10value_typeET4_jRbjT5_S1B_jjP12ihipStream_tbEUljE_EEESW_SX_SY_S15_S19_S1B_T6_T7_T9_mT8_S1D_bDpT10_ENKUlT_T0_E_clISt17integral_constantIbLb0EES1Q_EEDaS1L_S1M_EUlS1L_E_NS1_11comp_targetILNS1_3genE8ELNS1_11target_archE1030ELNS1_3gpuE2ELNS1_3repE0EEENS1_30default_config_static_selectorELNS0_4arch9wavefront6targetE0EEEvSZ_.num_vgpr, 69
	.set _ZN7rocprim17ROCPRIM_400000_NS6detail17trampoline_kernelINS0_13select_configILj256ELj13ELNS0_17block_load_methodE3ELS4_3ELS4_3ELNS0_20block_scan_algorithmE0ELj4294967295EEENS1_25partition_config_selectorILNS1_17partition_subalgoE3EjNS0_10empty_typeEbEEZZNS1_14partition_implILS8_3ELb0ES6_jNS0_17counting_iteratorIjlEEPS9_SE_NS0_5tupleIJPjSE_EEENSF_IJSE_SE_EEES9_SG_JZNS1_25segmented_radix_sort_implINS0_14default_configELb1EPK12hip_bfloat16PSL_PKlPlN2at6native12_GLOBAL__N_18offset_tEEE10hipError_tPvRmT1_PNSt15iterator_traitsISZ_E10value_typeET2_T3_PNS10_IS15_E10value_typeET4_jRbjT5_S1B_jjP12ihipStream_tbEUljE_EEESW_SX_SY_S15_S19_S1B_T6_T7_T9_mT8_S1D_bDpT10_ENKUlT_T0_E_clISt17integral_constantIbLb0EES1Q_EEDaS1L_S1M_EUlS1L_E_NS1_11comp_targetILNS1_3genE8ELNS1_11target_archE1030ELNS1_3gpuE2ELNS1_3repE0EEENS1_30default_config_static_selectorELNS0_4arch9wavefront6targetE0EEEvSZ_.num_agpr, 0
	.set _ZN7rocprim17ROCPRIM_400000_NS6detail17trampoline_kernelINS0_13select_configILj256ELj13ELNS0_17block_load_methodE3ELS4_3ELS4_3ELNS0_20block_scan_algorithmE0ELj4294967295EEENS1_25partition_config_selectorILNS1_17partition_subalgoE3EjNS0_10empty_typeEbEEZZNS1_14partition_implILS8_3ELb0ES6_jNS0_17counting_iteratorIjlEEPS9_SE_NS0_5tupleIJPjSE_EEENSF_IJSE_SE_EEES9_SG_JZNS1_25segmented_radix_sort_implINS0_14default_configELb1EPK12hip_bfloat16PSL_PKlPlN2at6native12_GLOBAL__N_18offset_tEEE10hipError_tPvRmT1_PNSt15iterator_traitsISZ_E10value_typeET2_T3_PNS10_IS15_E10value_typeET4_jRbjT5_S1B_jjP12ihipStream_tbEUljE_EEESW_SX_SY_S15_S19_S1B_T6_T7_T9_mT8_S1D_bDpT10_ENKUlT_T0_E_clISt17integral_constantIbLb0EES1Q_EEDaS1L_S1M_EUlS1L_E_NS1_11comp_targetILNS1_3genE8ELNS1_11target_archE1030ELNS1_3gpuE2ELNS1_3repE0EEENS1_30default_config_static_selectorELNS0_4arch9wavefront6targetE0EEEvSZ_.numbered_sgpr, 27
	.set _ZN7rocprim17ROCPRIM_400000_NS6detail17trampoline_kernelINS0_13select_configILj256ELj13ELNS0_17block_load_methodE3ELS4_3ELS4_3ELNS0_20block_scan_algorithmE0ELj4294967295EEENS1_25partition_config_selectorILNS1_17partition_subalgoE3EjNS0_10empty_typeEbEEZZNS1_14partition_implILS8_3ELb0ES6_jNS0_17counting_iteratorIjlEEPS9_SE_NS0_5tupleIJPjSE_EEENSF_IJSE_SE_EEES9_SG_JZNS1_25segmented_radix_sort_implINS0_14default_configELb1EPK12hip_bfloat16PSL_PKlPlN2at6native12_GLOBAL__N_18offset_tEEE10hipError_tPvRmT1_PNSt15iterator_traitsISZ_E10value_typeET2_T3_PNS10_IS15_E10value_typeET4_jRbjT5_S1B_jjP12ihipStream_tbEUljE_EEESW_SX_SY_S15_S19_S1B_T6_T7_T9_mT8_S1D_bDpT10_ENKUlT_T0_E_clISt17integral_constantIbLb0EES1Q_EEDaS1L_S1M_EUlS1L_E_NS1_11comp_targetILNS1_3genE8ELNS1_11target_archE1030ELNS1_3gpuE2ELNS1_3repE0EEENS1_30default_config_static_selectorELNS0_4arch9wavefront6targetE0EEEvSZ_.num_named_barrier, 0
	.set _ZN7rocprim17ROCPRIM_400000_NS6detail17trampoline_kernelINS0_13select_configILj256ELj13ELNS0_17block_load_methodE3ELS4_3ELS4_3ELNS0_20block_scan_algorithmE0ELj4294967295EEENS1_25partition_config_selectorILNS1_17partition_subalgoE3EjNS0_10empty_typeEbEEZZNS1_14partition_implILS8_3ELb0ES6_jNS0_17counting_iteratorIjlEEPS9_SE_NS0_5tupleIJPjSE_EEENSF_IJSE_SE_EEES9_SG_JZNS1_25segmented_radix_sort_implINS0_14default_configELb1EPK12hip_bfloat16PSL_PKlPlN2at6native12_GLOBAL__N_18offset_tEEE10hipError_tPvRmT1_PNSt15iterator_traitsISZ_E10value_typeET2_T3_PNS10_IS15_E10value_typeET4_jRbjT5_S1B_jjP12ihipStream_tbEUljE_EEESW_SX_SY_S15_S19_S1B_T6_T7_T9_mT8_S1D_bDpT10_ENKUlT_T0_E_clISt17integral_constantIbLb0EES1Q_EEDaS1L_S1M_EUlS1L_E_NS1_11comp_targetILNS1_3genE8ELNS1_11target_archE1030ELNS1_3gpuE2ELNS1_3repE0EEENS1_30default_config_static_selectorELNS0_4arch9wavefront6targetE0EEEvSZ_.private_seg_size, 0
	.set _ZN7rocprim17ROCPRIM_400000_NS6detail17trampoline_kernelINS0_13select_configILj256ELj13ELNS0_17block_load_methodE3ELS4_3ELS4_3ELNS0_20block_scan_algorithmE0ELj4294967295EEENS1_25partition_config_selectorILNS1_17partition_subalgoE3EjNS0_10empty_typeEbEEZZNS1_14partition_implILS8_3ELb0ES6_jNS0_17counting_iteratorIjlEEPS9_SE_NS0_5tupleIJPjSE_EEENSF_IJSE_SE_EEES9_SG_JZNS1_25segmented_radix_sort_implINS0_14default_configELb1EPK12hip_bfloat16PSL_PKlPlN2at6native12_GLOBAL__N_18offset_tEEE10hipError_tPvRmT1_PNSt15iterator_traitsISZ_E10value_typeET2_T3_PNS10_IS15_E10value_typeET4_jRbjT5_S1B_jjP12ihipStream_tbEUljE_EEESW_SX_SY_S15_S19_S1B_T6_T7_T9_mT8_S1D_bDpT10_ENKUlT_T0_E_clISt17integral_constantIbLb0EES1Q_EEDaS1L_S1M_EUlS1L_E_NS1_11comp_targetILNS1_3genE8ELNS1_11target_archE1030ELNS1_3gpuE2ELNS1_3repE0EEENS1_30default_config_static_selectorELNS0_4arch9wavefront6targetE0EEEvSZ_.uses_vcc, 1
	.set _ZN7rocprim17ROCPRIM_400000_NS6detail17trampoline_kernelINS0_13select_configILj256ELj13ELNS0_17block_load_methodE3ELS4_3ELS4_3ELNS0_20block_scan_algorithmE0ELj4294967295EEENS1_25partition_config_selectorILNS1_17partition_subalgoE3EjNS0_10empty_typeEbEEZZNS1_14partition_implILS8_3ELb0ES6_jNS0_17counting_iteratorIjlEEPS9_SE_NS0_5tupleIJPjSE_EEENSF_IJSE_SE_EEES9_SG_JZNS1_25segmented_radix_sort_implINS0_14default_configELb1EPK12hip_bfloat16PSL_PKlPlN2at6native12_GLOBAL__N_18offset_tEEE10hipError_tPvRmT1_PNSt15iterator_traitsISZ_E10value_typeET2_T3_PNS10_IS15_E10value_typeET4_jRbjT5_S1B_jjP12ihipStream_tbEUljE_EEESW_SX_SY_S15_S19_S1B_T6_T7_T9_mT8_S1D_bDpT10_ENKUlT_T0_E_clISt17integral_constantIbLb0EES1Q_EEDaS1L_S1M_EUlS1L_E_NS1_11comp_targetILNS1_3genE8ELNS1_11target_archE1030ELNS1_3gpuE2ELNS1_3repE0EEENS1_30default_config_static_selectorELNS0_4arch9wavefront6targetE0EEEvSZ_.uses_flat_scratch, 0
	.set _ZN7rocprim17ROCPRIM_400000_NS6detail17trampoline_kernelINS0_13select_configILj256ELj13ELNS0_17block_load_methodE3ELS4_3ELS4_3ELNS0_20block_scan_algorithmE0ELj4294967295EEENS1_25partition_config_selectorILNS1_17partition_subalgoE3EjNS0_10empty_typeEbEEZZNS1_14partition_implILS8_3ELb0ES6_jNS0_17counting_iteratorIjlEEPS9_SE_NS0_5tupleIJPjSE_EEENSF_IJSE_SE_EEES9_SG_JZNS1_25segmented_radix_sort_implINS0_14default_configELb1EPK12hip_bfloat16PSL_PKlPlN2at6native12_GLOBAL__N_18offset_tEEE10hipError_tPvRmT1_PNSt15iterator_traitsISZ_E10value_typeET2_T3_PNS10_IS15_E10value_typeET4_jRbjT5_S1B_jjP12ihipStream_tbEUljE_EEESW_SX_SY_S15_S19_S1B_T6_T7_T9_mT8_S1D_bDpT10_ENKUlT_T0_E_clISt17integral_constantIbLb0EES1Q_EEDaS1L_S1M_EUlS1L_E_NS1_11comp_targetILNS1_3genE8ELNS1_11target_archE1030ELNS1_3gpuE2ELNS1_3repE0EEENS1_30default_config_static_selectorELNS0_4arch9wavefront6targetE0EEEvSZ_.has_dyn_sized_stack, 0
	.set _ZN7rocprim17ROCPRIM_400000_NS6detail17trampoline_kernelINS0_13select_configILj256ELj13ELNS0_17block_load_methodE3ELS4_3ELS4_3ELNS0_20block_scan_algorithmE0ELj4294967295EEENS1_25partition_config_selectorILNS1_17partition_subalgoE3EjNS0_10empty_typeEbEEZZNS1_14partition_implILS8_3ELb0ES6_jNS0_17counting_iteratorIjlEEPS9_SE_NS0_5tupleIJPjSE_EEENSF_IJSE_SE_EEES9_SG_JZNS1_25segmented_radix_sort_implINS0_14default_configELb1EPK12hip_bfloat16PSL_PKlPlN2at6native12_GLOBAL__N_18offset_tEEE10hipError_tPvRmT1_PNSt15iterator_traitsISZ_E10value_typeET2_T3_PNS10_IS15_E10value_typeET4_jRbjT5_S1B_jjP12ihipStream_tbEUljE_EEESW_SX_SY_S15_S19_S1B_T6_T7_T9_mT8_S1D_bDpT10_ENKUlT_T0_E_clISt17integral_constantIbLb0EES1Q_EEDaS1L_S1M_EUlS1L_E_NS1_11comp_targetILNS1_3genE8ELNS1_11target_archE1030ELNS1_3gpuE2ELNS1_3repE0EEENS1_30default_config_static_selectorELNS0_4arch9wavefront6targetE0EEEvSZ_.has_recursion, 0
	.set _ZN7rocprim17ROCPRIM_400000_NS6detail17trampoline_kernelINS0_13select_configILj256ELj13ELNS0_17block_load_methodE3ELS4_3ELS4_3ELNS0_20block_scan_algorithmE0ELj4294967295EEENS1_25partition_config_selectorILNS1_17partition_subalgoE3EjNS0_10empty_typeEbEEZZNS1_14partition_implILS8_3ELb0ES6_jNS0_17counting_iteratorIjlEEPS9_SE_NS0_5tupleIJPjSE_EEENSF_IJSE_SE_EEES9_SG_JZNS1_25segmented_radix_sort_implINS0_14default_configELb1EPK12hip_bfloat16PSL_PKlPlN2at6native12_GLOBAL__N_18offset_tEEE10hipError_tPvRmT1_PNSt15iterator_traitsISZ_E10value_typeET2_T3_PNS10_IS15_E10value_typeET4_jRbjT5_S1B_jjP12ihipStream_tbEUljE_EEESW_SX_SY_S15_S19_S1B_T6_T7_T9_mT8_S1D_bDpT10_ENKUlT_T0_E_clISt17integral_constantIbLb0EES1Q_EEDaS1L_S1M_EUlS1L_E_NS1_11comp_targetILNS1_3genE8ELNS1_11target_archE1030ELNS1_3gpuE2ELNS1_3repE0EEENS1_30default_config_static_selectorELNS0_4arch9wavefront6targetE0EEEvSZ_.has_indirect_call, 0
	.section	.AMDGPU.csdata,"",@progbits
; Kernel info:
; codeLenInByte = 8564
; TotalNumSgprs: 29
; NumVgprs: 69
; ScratchSize: 0
; MemoryBound: 0
; FloatMode: 240
; IeeeMode: 1
; LDSByteSize: 13320 bytes/workgroup (compile time only)
; SGPRBlocks: 0
; VGPRBlocks: 8
; NumSGPRsForWavesPerEU: 29
; NumVGPRsForWavesPerEU: 69
; Occupancy: 12
; WaveLimiterHint : 0
; COMPUTE_PGM_RSRC2:SCRATCH_EN: 0
; COMPUTE_PGM_RSRC2:USER_SGPR: 6
; COMPUTE_PGM_RSRC2:TRAP_HANDLER: 0
; COMPUTE_PGM_RSRC2:TGID_X_EN: 1
; COMPUTE_PGM_RSRC2:TGID_Y_EN: 0
; COMPUTE_PGM_RSRC2:TGID_Z_EN: 0
; COMPUTE_PGM_RSRC2:TIDIG_COMP_CNT: 0
	.section	.text._ZN7rocprim17ROCPRIM_400000_NS6detail17trampoline_kernelINS0_13select_configILj256ELj13ELNS0_17block_load_methodE3ELS4_3ELS4_3ELNS0_20block_scan_algorithmE0ELj4294967295EEENS1_25partition_config_selectorILNS1_17partition_subalgoE3EjNS0_10empty_typeEbEEZZNS1_14partition_implILS8_3ELb0ES6_jNS0_17counting_iteratorIjlEEPS9_SE_NS0_5tupleIJPjSE_EEENSF_IJSE_SE_EEES9_SG_JZNS1_25segmented_radix_sort_implINS0_14default_configELb1EPK12hip_bfloat16PSL_PKlPlN2at6native12_GLOBAL__N_18offset_tEEE10hipError_tPvRmT1_PNSt15iterator_traitsISZ_E10value_typeET2_T3_PNS10_IS15_E10value_typeET4_jRbjT5_S1B_jjP12ihipStream_tbEUljE_EEESW_SX_SY_S15_S19_S1B_T6_T7_T9_mT8_S1D_bDpT10_ENKUlT_T0_E_clISt17integral_constantIbLb1EES1Q_EEDaS1L_S1M_EUlS1L_E_NS1_11comp_targetILNS1_3genE0ELNS1_11target_archE4294967295ELNS1_3gpuE0ELNS1_3repE0EEENS1_30default_config_static_selectorELNS0_4arch9wavefront6targetE0EEEvSZ_,"axG",@progbits,_ZN7rocprim17ROCPRIM_400000_NS6detail17trampoline_kernelINS0_13select_configILj256ELj13ELNS0_17block_load_methodE3ELS4_3ELS4_3ELNS0_20block_scan_algorithmE0ELj4294967295EEENS1_25partition_config_selectorILNS1_17partition_subalgoE3EjNS0_10empty_typeEbEEZZNS1_14partition_implILS8_3ELb0ES6_jNS0_17counting_iteratorIjlEEPS9_SE_NS0_5tupleIJPjSE_EEENSF_IJSE_SE_EEES9_SG_JZNS1_25segmented_radix_sort_implINS0_14default_configELb1EPK12hip_bfloat16PSL_PKlPlN2at6native12_GLOBAL__N_18offset_tEEE10hipError_tPvRmT1_PNSt15iterator_traitsISZ_E10value_typeET2_T3_PNS10_IS15_E10value_typeET4_jRbjT5_S1B_jjP12ihipStream_tbEUljE_EEESW_SX_SY_S15_S19_S1B_T6_T7_T9_mT8_S1D_bDpT10_ENKUlT_T0_E_clISt17integral_constantIbLb1EES1Q_EEDaS1L_S1M_EUlS1L_E_NS1_11comp_targetILNS1_3genE0ELNS1_11target_archE4294967295ELNS1_3gpuE0ELNS1_3repE0EEENS1_30default_config_static_selectorELNS0_4arch9wavefront6targetE0EEEvSZ_,comdat
	.globl	_ZN7rocprim17ROCPRIM_400000_NS6detail17trampoline_kernelINS0_13select_configILj256ELj13ELNS0_17block_load_methodE3ELS4_3ELS4_3ELNS0_20block_scan_algorithmE0ELj4294967295EEENS1_25partition_config_selectorILNS1_17partition_subalgoE3EjNS0_10empty_typeEbEEZZNS1_14partition_implILS8_3ELb0ES6_jNS0_17counting_iteratorIjlEEPS9_SE_NS0_5tupleIJPjSE_EEENSF_IJSE_SE_EEES9_SG_JZNS1_25segmented_radix_sort_implINS0_14default_configELb1EPK12hip_bfloat16PSL_PKlPlN2at6native12_GLOBAL__N_18offset_tEEE10hipError_tPvRmT1_PNSt15iterator_traitsISZ_E10value_typeET2_T3_PNS10_IS15_E10value_typeET4_jRbjT5_S1B_jjP12ihipStream_tbEUljE_EEESW_SX_SY_S15_S19_S1B_T6_T7_T9_mT8_S1D_bDpT10_ENKUlT_T0_E_clISt17integral_constantIbLb1EES1Q_EEDaS1L_S1M_EUlS1L_E_NS1_11comp_targetILNS1_3genE0ELNS1_11target_archE4294967295ELNS1_3gpuE0ELNS1_3repE0EEENS1_30default_config_static_selectorELNS0_4arch9wavefront6targetE0EEEvSZ_ ; -- Begin function _ZN7rocprim17ROCPRIM_400000_NS6detail17trampoline_kernelINS0_13select_configILj256ELj13ELNS0_17block_load_methodE3ELS4_3ELS4_3ELNS0_20block_scan_algorithmE0ELj4294967295EEENS1_25partition_config_selectorILNS1_17partition_subalgoE3EjNS0_10empty_typeEbEEZZNS1_14partition_implILS8_3ELb0ES6_jNS0_17counting_iteratorIjlEEPS9_SE_NS0_5tupleIJPjSE_EEENSF_IJSE_SE_EEES9_SG_JZNS1_25segmented_radix_sort_implINS0_14default_configELb1EPK12hip_bfloat16PSL_PKlPlN2at6native12_GLOBAL__N_18offset_tEEE10hipError_tPvRmT1_PNSt15iterator_traitsISZ_E10value_typeET2_T3_PNS10_IS15_E10value_typeET4_jRbjT5_S1B_jjP12ihipStream_tbEUljE_EEESW_SX_SY_S15_S19_S1B_T6_T7_T9_mT8_S1D_bDpT10_ENKUlT_T0_E_clISt17integral_constantIbLb1EES1Q_EEDaS1L_S1M_EUlS1L_E_NS1_11comp_targetILNS1_3genE0ELNS1_11target_archE4294967295ELNS1_3gpuE0ELNS1_3repE0EEENS1_30default_config_static_selectorELNS0_4arch9wavefront6targetE0EEEvSZ_
	.p2align	8
	.type	_ZN7rocprim17ROCPRIM_400000_NS6detail17trampoline_kernelINS0_13select_configILj256ELj13ELNS0_17block_load_methodE3ELS4_3ELS4_3ELNS0_20block_scan_algorithmE0ELj4294967295EEENS1_25partition_config_selectorILNS1_17partition_subalgoE3EjNS0_10empty_typeEbEEZZNS1_14partition_implILS8_3ELb0ES6_jNS0_17counting_iteratorIjlEEPS9_SE_NS0_5tupleIJPjSE_EEENSF_IJSE_SE_EEES9_SG_JZNS1_25segmented_radix_sort_implINS0_14default_configELb1EPK12hip_bfloat16PSL_PKlPlN2at6native12_GLOBAL__N_18offset_tEEE10hipError_tPvRmT1_PNSt15iterator_traitsISZ_E10value_typeET2_T3_PNS10_IS15_E10value_typeET4_jRbjT5_S1B_jjP12ihipStream_tbEUljE_EEESW_SX_SY_S15_S19_S1B_T6_T7_T9_mT8_S1D_bDpT10_ENKUlT_T0_E_clISt17integral_constantIbLb1EES1Q_EEDaS1L_S1M_EUlS1L_E_NS1_11comp_targetILNS1_3genE0ELNS1_11target_archE4294967295ELNS1_3gpuE0ELNS1_3repE0EEENS1_30default_config_static_selectorELNS0_4arch9wavefront6targetE0EEEvSZ_,@function
_ZN7rocprim17ROCPRIM_400000_NS6detail17trampoline_kernelINS0_13select_configILj256ELj13ELNS0_17block_load_methodE3ELS4_3ELS4_3ELNS0_20block_scan_algorithmE0ELj4294967295EEENS1_25partition_config_selectorILNS1_17partition_subalgoE3EjNS0_10empty_typeEbEEZZNS1_14partition_implILS8_3ELb0ES6_jNS0_17counting_iteratorIjlEEPS9_SE_NS0_5tupleIJPjSE_EEENSF_IJSE_SE_EEES9_SG_JZNS1_25segmented_radix_sort_implINS0_14default_configELb1EPK12hip_bfloat16PSL_PKlPlN2at6native12_GLOBAL__N_18offset_tEEE10hipError_tPvRmT1_PNSt15iterator_traitsISZ_E10value_typeET2_T3_PNS10_IS15_E10value_typeET4_jRbjT5_S1B_jjP12ihipStream_tbEUljE_EEESW_SX_SY_S15_S19_S1B_T6_T7_T9_mT8_S1D_bDpT10_ENKUlT_T0_E_clISt17integral_constantIbLb1EES1Q_EEDaS1L_S1M_EUlS1L_E_NS1_11comp_targetILNS1_3genE0ELNS1_11target_archE4294967295ELNS1_3gpuE0ELNS1_3repE0EEENS1_30default_config_static_selectorELNS0_4arch9wavefront6targetE0EEEvSZ_: ; @_ZN7rocprim17ROCPRIM_400000_NS6detail17trampoline_kernelINS0_13select_configILj256ELj13ELNS0_17block_load_methodE3ELS4_3ELS4_3ELNS0_20block_scan_algorithmE0ELj4294967295EEENS1_25partition_config_selectorILNS1_17partition_subalgoE3EjNS0_10empty_typeEbEEZZNS1_14partition_implILS8_3ELb0ES6_jNS0_17counting_iteratorIjlEEPS9_SE_NS0_5tupleIJPjSE_EEENSF_IJSE_SE_EEES9_SG_JZNS1_25segmented_radix_sort_implINS0_14default_configELb1EPK12hip_bfloat16PSL_PKlPlN2at6native12_GLOBAL__N_18offset_tEEE10hipError_tPvRmT1_PNSt15iterator_traitsISZ_E10value_typeET2_T3_PNS10_IS15_E10value_typeET4_jRbjT5_S1B_jjP12ihipStream_tbEUljE_EEESW_SX_SY_S15_S19_S1B_T6_T7_T9_mT8_S1D_bDpT10_ENKUlT_T0_E_clISt17integral_constantIbLb1EES1Q_EEDaS1L_S1M_EUlS1L_E_NS1_11comp_targetILNS1_3genE0ELNS1_11target_archE4294967295ELNS1_3gpuE0ELNS1_3repE0EEENS1_30default_config_static_selectorELNS0_4arch9wavefront6targetE0EEEvSZ_
; %bb.0:
	.section	.rodata,"a",@progbits
	.p2align	6, 0x0
	.amdhsa_kernel _ZN7rocprim17ROCPRIM_400000_NS6detail17trampoline_kernelINS0_13select_configILj256ELj13ELNS0_17block_load_methodE3ELS4_3ELS4_3ELNS0_20block_scan_algorithmE0ELj4294967295EEENS1_25partition_config_selectorILNS1_17partition_subalgoE3EjNS0_10empty_typeEbEEZZNS1_14partition_implILS8_3ELb0ES6_jNS0_17counting_iteratorIjlEEPS9_SE_NS0_5tupleIJPjSE_EEENSF_IJSE_SE_EEES9_SG_JZNS1_25segmented_radix_sort_implINS0_14default_configELb1EPK12hip_bfloat16PSL_PKlPlN2at6native12_GLOBAL__N_18offset_tEEE10hipError_tPvRmT1_PNSt15iterator_traitsISZ_E10value_typeET2_T3_PNS10_IS15_E10value_typeET4_jRbjT5_S1B_jjP12ihipStream_tbEUljE_EEESW_SX_SY_S15_S19_S1B_T6_T7_T9_mT8_S1D_bDpT10_ENKUlT_T0_E_clISt17integral_constantIbLb1EES1Q_EEDaS1L_S1M_EUlS1L_E_NS1_11comp_targetILNS1_3genE0ELNS1_11target_archE4294967295ELNS1_3gpuE0ELNS1_3repE0EEENS1_30default_config_static_selectorELNS0_4arch9wavefront6targetE0EEEvSZ_
		.amdhsa_group_segment_fixed_size 0
		.amdhsa_private_segment_fixed_size 0
		.amdhsa_kernarg_size 152
		.amdhsa_user_sgpr_count 6
		.amdhsa_user_sgpr_private_segment_buffer 1
		.amdhsa_user_sgpr_dispatch_ptr 0
		.amdhsa_user_sgpr_queue_ptr 0
		.amdhsa_user_sgpr_kernarg_segment_ptr 1
		.amdhsa_user_sgpr_dispatch_id 0
		.amdhsa_user_sgpr_flat_scratch_init 0
		.amdhsa_user_sgpr_private_segment_size 0
		.amdhsa_wavefront_size32 1
		.amdhsa_uses_dynamic_stack 0
		.amdhsa_system_sgpr_private_segment_wavefront_offset 0
		.amdhsa_system_sgpr_workgroup_id_x 1
		.amdhsa_system_sgpr_workgroup_id_y 0
		.amdhsa_system_sgpr_workgroup_id_z 0
		.amdhsa_system_sgpr_workgroup_info 0
		.amdhsa_system_vgpr_workitem_id 0
		.amdhsa_next_free_vgpr 1
		.amdhsa_next_free_sgpr 1
		.amdhsa_reserve_vcc 0
		.amdhsa_reserve_flat_scratch 0
		.amdhsa_float_round_mode_32 0
		.amdhsa_float_round_mode_16_64 0
		.amdhsa_float_denorm_mode_32 3
		.amdhsa_float_denorm_mode_16_64 3
		.amdhsa_dx10_clamp 1
		.amdhsa_ieee_mode 1
		.amdhsa_fp16_overflow 0
		.amdhsa_workgroup_processor_mode 1
		.amdhsa_memory_ordered 1
		.amdhsa_forward_progress 1
		.amdhsa_shared_vgpr_count 0
		.amdhsa_exception_fp_ieee_invalid_op 0
		.amdhsa_exception_fp_denorm_src 0
		.amdhsa_exception_fp_ieee_div_zero 0
		.amdhsa_exception_fp_ieee_overflow 0
		.amdhsa_exception_fp_ieee_underflow 0
		.amdhsa_exception_fp_ieee_inexact 0
		.amdhsa_exception_int_div_zero 0
	.end_amdhsa_kernel
	.section	.text._ZN7rocprim17ROCPRIM_400000_NS6detail17trampoline_kernelINS0_13select_configILj256ELj13ELNS0_17block_load_methodE3ELS4_3ELS4_3ELNS0_20block_scan_algorithmE0ELj4294967295EEENS1_25partition_config_selectorILNS1_17partition_subalgoE3EjNS0_10empty_typeEbEEZZNS1_14partition_implILS8_3ELb0ES6_jNS0_17counting_iteratorIjlEEPS9_SE_NS0_5tupleIJPjSE_EEENSF_IJSE_SE_EEES9_SG_JZNS1_25segmented_radix_sort_implINS0_14default_configELb1EPK12hip_bfloat16PSL_PKlPlN2at6native12_GLOBAL__N_18offset_tEEE10hipError_tPvRmT1_PNSt15iterator_traitsISZ_E10value_typeET2_T3_PNS10_IS15_E10value_typeET4_jRbjT5_S1B_jjP12ihipStream_tbEUljE_EEESW_SX_SY_S15_S19_S1B_T6_T7_T9_mT8_S1D_bDpT10_ENKUlT_T0_E_clISt17integral_constantIbLb1EES1Q_EEDaS1L_S1M_EUlS1L_E_NS1_11comp_targetILNS1_3genE0ELNS1_11target_archE4294967295ELNS1_3gpuE0ELNS1_3repE0EEENS1_30default_config_static_selectorELNS0_4arch9wavefront6targetE0EEEvSZ_,"axG",@progbits,_ZN7rocprim17ROCPRIM_400000_NS6detail17trampoline_kernelINS0_13select_configILj256ELj13ELNS0_17block_load_methodE3ELS4_3ELS4_3ELNS0_20block_scan_algorithmE0ELj4294967295EEENS1_25partition_config_selectorILNS1_17partition_subalgoE3EjNS0_10empty_typeEbEEZZNS1_14partition_implILS8_3ELb0ES6_jNS0_17counting_iteratorIjlEEPS9_SE_NS0_5tupleIJPjSE_EEENSF_IJSE_SE_EEES9_SG_JZNS1_25segmented_radix_sort_implINS0_14default_configELb1EPK12hip_bfloat16PSL_PKlPlN2at6native12_GLOBAL__N_18offset_tEEE10hipError_tPvRmT1_PNSt15iterator_traitsISZ_E10value_typeET2_T3_PNS10_IS15_E10value_typeET4_jRbjT5_S1B_jjP12ihipStream_tbEUljE_EEESW_SX_SY_S15_S19_S1B_T6_T7_T9_mT8_S1D_bDpT10_ENKUlT_T0_E_clISt17integral_constantIbLb1EES1Q_EEDaS1L_S1M_EUlS1L_E_NS1_11comp_targetILNS1_3genE0ELNS1_11target_archE4294967295ELNS1_3gpuE0ELNS1_3repE0EEENS1_30default_config_static_selectorELNS0_4arch9wavefront6targetE0EEEvSZ_,comdat
.Lfunc_end1912:
	.size	_ZN7rocprim17ROCPRIM_400000_NS6detail17trampoline_kernelINS0_13select_configILj256ELj13ELNS0_17block_load_methodE3ELS4_3ELS4_3ELNS0_20block_scan_algorithmE0ELj4294967295EEENS1_25partition_config_selectorILNS1_17partition_subalgoE3EjNS0_10empty_typeEbEEZZNS1_14partition_implILS8_3ELb0ES6_jNS0_17counting_iteratorIjlEEPS9_SE_NS0_5tupleIJPjSE_EEENSF_IJSE_SE_EEES9_SG_JZNS1_25segmented_radix_sort_implINS0_14default_configELb1EPK12hip_bfloat16PSL_PKlPlN2at6native12_GLOBAL__N_18offset_tEEE10hipError_tPvRmT1_PNSt15iterator_traitsISZ_E10value_typeET2_T3_PNS10_IS15_E10value_typeET4_jRbjT5_S1B_jjP12ihipStream_tbEUljE_EEESW_SX_SY_S15_S19_S1B_T6_T7_T9_mT8_S1D_bDpT10_ENKUlT_T0_E_clISt17integral_constantIbLb1EES1Q_EEDaS1L_S1M_EUlS1L_E_NS1_11comp_targetILNS1_3genE0ELNS1_11target_archE4294967295ELNS1_3gpuE0ELNS1_3repE0EEENS1_30default_config_static_selectorELNS0_4arch9wavefront6targetE0EEEvSZ_, .Lfunc_end1912-_ZN7rocprim17ROCPRIM_400000_NS6detail17trampoline_kernelINS0_13select_configILj256ELj13ELNS0_17block_load_methodE3ELS4_3ELS4_3ELNS0_20block_scan_algorithmE0ELj4294967295EEENS1_25partition_config_selectorILNS1_17partition_subalgoE3EjNS0_10empty_typeEbEEZZNS1_14partition_implILS8_3ELb0ES6_jNS0_17counting_iteratorIjlEEPS9_SE_NS0_5tupleIJPjSE_EEENSF_IJSE_SE_EEES9_SG_JZNS1_25segmented_radix_sort_implINS0_14default_configELb1EPK12hip_bfloat16PSL_PKlPlN2at6native12_GLOBAL__N_18offset_tEEE10hipError_tPvRmT1_PNSt15iterator_traitsISZ_E10value_typeET2_T3_PNS10_IS15_E10value_typeET4_jRbjT5_S1B_jjP12ihipStream_tbEUljE_EEESW_SX_SY_S15_S19_S1B_T6_T7_T9_mT8_S1D_bDpT10_ENKUlT_T0_E_clISt17integral_constantIbLb1EES1Q_EEDaS1L_S1M_EUlS1L_E_NS1_11comp_targetILNS1_3genE0ELNS1_11target_archE4294967295ELNS1_3gpuE0ELNS1_3repE0EEENS1_30default_config_static_selectorELNS0_4arch9wavefront6targetE0EEEvSZ_
                                        ; -- End function
	.set _ZN7rocprim17ROCPRIM_400000_NS6detail17trampoline_kernelINS0_13select_configILj256ELj13ELNS0_17block_load_methodE3ELS4_3ELS4_3ELNS0_20block_scan_algorithmE0ELj4294967295EEENS1_25partition_config_selectorILNS1_17partition_subalgoE3EjNS0_10empty_typeEbEEZZNS1_14partition_implILS8_3ELb0ES6_jNS0_17counting_iteratorIjlEEPS9_SE_NS0_5tupleIJPjSE_EEENSF_IJSE_SE_EEES9_SG_JZNS1_25segmented_radix_sort_implINS0_14default_configELb1EPK12hip_bfloat16PSL_PKlPlN2at6native12_GLOBAL__N_18offset_tEEE10hipError_tPvRmT1_PNSt15iterator_traitsISZ_E10value_typeET2_T3_PNS10_IS15_E10value_typeET4_jRbjT5_S1B_jjP12ihipStream_tbEUljE_EEESW_SX_SY_S15_S19_S1B_T6_T7_T9_mT8_S1D_bDpT10_ENKUlT_T0_E_clISt17integral_constantIbLb1EES1Q_EEDaS1L_S1M_EUlS1L_E_NS1_11comp_targetILNS1_3genE0ELNS1_11target_archE4294967295ELNS1_3gpuE0ELNS1_3repE0EEENS1_30default_config_static_selectorELNS0_4arch9wavefront6targetE0EEEvSZ_.num_vgpr, 0
	.set _ZN7rocprim17ROCPRIM_400000_NS6detail17trampoline_kernelINS0_13select_configILj256ELj13ELNS0_17block_load_methodE3ELS4_3ELS4_3ELNS0_20block_scan_algorithmE0ELj4294967295EEENS1_25partition_config_selectorILNS1_17partition_subalgoE3EjNS0_10empty_typeEbEEZZNS1_14partition_implILS8_3ELb0ES6_jNS0_17counting_iteratorIjlEEPS9_SE_NS0_5tupleIJPjSE_EEENSF_IJSE_SE_EEES9_SG_JZNS1_25segmented_radix_sort_implINS0_14default_configELb1EPK12hip_bfloat16PSL_PKlPlN2at6native12_GLOBAL__N_18offset_tEEE10hipError_tPvRmT1_PNSt15iterator_traitsISZ_E10value_typeET2_T3_PNS10_IS15_E10value_typeET4_jRbjT5_S1B_jjP12ihipStream_tbEUljE_EEESW_SX_SY_S15_S19_S1B_T6_T7_T9_mT8_S1D_bDpT10_ENKUlT_T0_E_clISt17integral_constantIbLb1EES1Q_EEDaS1L_S1M_EUlS1L_E_NS1_11comp_targetILNS1_3genE0ELNS1_11target_archE4294967295ELNS1_3gpuE0ELNS1_3repE0EEENS1_30default_config_static_selectorELNS0_4arch9wavefront6targetE0EEEvSZ_.num_agpr, 0
	.set _ZN7rocprim17ROCPRIM_400000_NS6detail17trampoline_kernelINS0_13select_configILj256ELj13ELNS0_17block_load_methodE3ELS4_3ELS4_3ELNS0_20block_scan_algorithmE0ELj4294967295EEENS1_25partition_config_selectorILNS1_17partition_subalgoE3EjNS0_10empty_typeEbEEZZNS1_14partition_implILS8_3ELb0ES6_jNS0_17counting_iteratorIjlEEPS9_SE_NS0_5tupleIJPjSE_EEENSF_IJSE_SE_EEES9_SG_JZNS1_25segmented_radix_sort_implINS0_14default_configELb1EPK12hip_bfloat16PSL_PKlPlN2at6native12_GLOBAL__N_18offset_tEEE10hipError_tPvRmT1_PNSt15iterator_traitsISZ_E10value_typeET2_T3_PNS10_IS15_E10value_typeET4_jRbjT5_S1B_jjP12ihipStream_tbEUljE_EEESW_SX_SY_S15_S19_S1B_T6_T7_T9_mT8_S1D_bDpT10_ENKUlT_T0_E_clISt17integral_constantIbLb1EES1Q_EEDaS1L_S1M_EUlS1L_E_NS1_11comp_targetILNS1_3genE0ELNS1_11target_archE4294967295ELNS1_3gpuE0ELNS1_3repE0EEENS1_30default_config_static_selectorELNS0_4arch9wavefront6targetE0EEEvSZ_.numbered_sgpr, 0
	.set _ZN7rocprim17ROCPRIM_400000_NS6detail17trampoline_kernelINS0_13select_configILj256ELj13ELNS0_17block_load_methodE3ELS4_3ELS4_3ELNS0_20block_scan_algorithmE0ELj4294967295EEENS1_25partition_config_selectorILNS1_17partition_subalgoE3EjNS0_10empty_typeEbEEZZNS1_14partition_implILS8_3ELb0ES6_jNS0_17counting_iteratorIjlEEPS9_SE_NS0_5tupleIJPjSE_EEENSF_IJSE_SE_EEES9_SG_JZNS1_25segmented_radix_sort_implINS0_14default_configELb1EPK12hip_bfloat16PSL_PKlPlN2at6native12_GLOBAL__N_18offset_tEEE10hipError_tPvRmT1_PNSt15iterator_traitsISZ_E10value_typeET2_T3_PNS10_IS15_E10value_typeET4_jRbjT5_S1B_jjP12ihipStream_tbEUljE_EEESW_SX_SY_S15_S19_S1B_T6_T7_T9_mT8_S1D_bDpT10_ENKUlT_T0_E_clISt17integral_constantIbLb1EES1Q_EEDaS1L_S1M_EUlS1L_E_NS1_11comp_targetILNS1_3genE0ELNS1_11target_archE4294967295ELNS1_3gpuE0ELNS1_3repE0EEENS1_30default_config_static_selectorELNS0_4arch9wavefront6targetE0EEEvSZ_.num_named_barrier, 0
	.set _ZN7rocprim17ROCPRIM_400000_NS6detail17trampoline_kernelINS0_13select_configILj256ELj13ELNS0_17block_load_methodE3ELS4_3ELS4_3ELNS0_20block_scan_algorithmE0ELj4294967295EEENS1_25partition_config_selectorILNS1_17partition_subalgoE3EjNS0_10empty_typeEbEEZZNS1_14partition_implILS8_3ELb0ES6_jNS0_17counting_iteratorIjlEEPS9_SE_NS0_5tupleIJPjSE_EEENSF_IJSE_SE_EEES9_SG_JZNS1_25segmented_radix_sort_implINS0_14default_configELb1EPK12hip_bfloat16PSL_PKlPlN2at6native12_GLOBAL__N_18offset_tEEE10hipError_tPvRmT1_PNSt15iterator_traitsISZ_E10value_typeET2_T3_PNS10_IS15_E10value_typeET4_jRbjT5_S1B_jjP12ihipStream_tbEUljE_EEESW_SX_SY_S15_S19_S1B_T6_T7_T9_mT8_S1D_bDpT10_ENKUlT_T0_E_clISt17integral_constantIbLb1EES1Q_EEDaS1L_S1M_EUlS1L_E_NS1_11comp_targetILNS1_3genE0ELNS1_11target_archE4294967295ELNS1_3gpuE0ELNS1_3repE0EEENS1_30default_config_static_selectorELNS0_4arch9wavefront6targetE0EEEvSZ_.private_seg_size, 0
	.set _ZN7rocprim17ROCPRIM_400000_NS6detail17trampoline_kernelINS0_13select_configILj256ELj13ELNS0_17block_load_methodE3ELS4_3ELS4_3ELNS0_20block_scan_algorithmE0ELj4294967295EEENS1_25partition_config_selectorILNS1_17partition_subalgoE3EjNS0_10empty_typeEbEEZZNS1_14partition_implILS8_3ELb0ES6_jNS0_17counting_iteratorIjlEEPS9_SE_NS0_5tupleIJPjSE_EEENSF_IJSE_SE_EEES9_SG_JZNS1_25segmented_radix_sort_implINS0_14default_configELb1EPK12hip_bfloat16PSL_PKlPlN2at6native12_GLOBAL__N_18offset_tEEE10hipError_tPvRmT1_PNSt15iterator_traitsISZ_E10value_typeET2_T3_PNS10_IS15_E10value_typeET4_jRbjT5_S1B_jjP12ihipStream_tbEUljE_EEESW_SX_SY_S15_S19_S1B_T6_T7_T9_mT8_S1D_bDpT10_ENKUlT_T0_E_clISt17integral_constantIbLb1EES1Q_EEDaS1L_S1M_EUlS1L_E_NS1_11comp_targetILNS1_3genE0ELNS1_11target_archE4294967295ELNS1_3gpuE0ELNS1_3repE0EEENS1_30default_config_static_selectorELNS0_4arch9wavefront6targetE0EEEvSZ_.uses_vcc, 0
	.set _ZN7rocprim17ROCPRIM_400000_NS6detail17trampoline_kernelINS0_13select_configILj256ELj13ELNS0_17block_load_methodE3ELS4_3ELS4_3ELNS0_20block_scan_algorithmE0ELj4294967295EEENS1_25partition_config_selectorILNS1_17partition_subalgoE3EjNS0_10empty_typeEbEEZZNS1_14partition_implILS8_3ELb0ES6_jNS0_17counting_iteratorIjlEEPS9_SE_NS0_5tupleIJPjSE_EEENSF_IJSE_SE_EEES9_SG_JZNS1_25segmented_radix_sort_implINS0_14default_configELb1EPK12hip_bfloat16PSL_PKlPlN2at6native12_GLOBAL__N_18offset_tEEE10hipError_tPvRmT1_PNSt15iterator_traitsISZ_E10value_typeET2_T3_PNS10_IS15_E10value_typeET4_jRbjT5_S1B_jjP12ihipStream_tbEUljE_EEESW_SX_SY_S15_S19_S1B_T6_T7_T9_mT8_S1D_bDpT10_ENKUlT_T0_E_clISt17integral_constantIbLb1EES1Q_EEDaS1L_S1M_EUlS1L_E_NS1_11comp_targetILNS1_3genE0ELNS1_11target_archE4294967295ELNS1_3gpuE0ELNS1_3repE0EEENS1_30default_config_static_selectorELNS0_4arch9wavefront6targetE0EEEvSZ_.uses_flat_scratch, 0
	.set _ZN7rocprim17ROCPRIM_400000_NS6detail17trampoline_kernelINS0_13select_configILj256ELj13ELNS0_17block_load_methodE3ELS4_3ELS4_3ELNS0_20block_scan_algorithmE0ELj4294967295EEENS1_25partition_config_selectorILNS1_17partition_subalgoE3EjNS0_10empty_typeEbEEZZNS1_14partition_implILS8_3ELb0ES6_jNS0_17counting_iteratorIjlEEPS9_SE_NS0_5tupleIJPjSE_EEENSF_IJSE_SE_EEES9_SG_JZNS1_25segmented_radix_sort_implINS0_14default_configELb1EPK12hip_bfloat16PSL_PKlPlN2at6native12_GLOBAL__N_18offset_tEEE10hipError_tPvRmT1_PNSt15iterator_traitsISZ_E10value_typeET2_T3_PNS10_IS15_E10value_typeET4_jRbjT5_S1B_jjP12ihipStream_tbEUljE_EEESW_SX_SY_S15_S19_S1B_T6_T7_T9_mT8_S1D_bDpT10_ENKUlT_T0_E_clISt17integral_constantIbLb1EES1Q_EEDaS1L_S1M_EUlS1L_E_NS1_11comp_targetILNS1_3genE0ELNS1_11target_archE4294967295ELNS1_3gpuE0ELNS1_3repE0EEENS1_30default_config_static_selectorELNS0_4arch9wavefront6targetE0EEEvSZ_.has_dyn_sized_stack, 0
	.set _ZN7rocprim17ROCPRIM_400000_NS6detail17trampoline_kernelINS0_13select_configILj256ELj13ELNS0_17block_load_methodE3ELS4_3ELS4_3ELNS0_20block_scan_algorithmE0ELj4294967295EEENS1_25partition_config_selectorILNS1_17partition_subalgoE3EjNS0_10empty_typeEbEEZZNS1_14partition_implILS8_3ELb0ES6_jNS0_17counting_iteratorIjlEEPS9_SE_NS0_5tupleIJPjSE_EEENSF_IJSE_SE_EEES9_SG_JZNS1_25segmented_radix_sort_implINS0_14default_configELb1EPK12hip_bfloat16PSL_PKlPlN2at6native12_GLOBAL__N_18offset_tEEE10hipError_tPvRmT1_PNSt15iterator_traitsISZ_E10value_typeET2_T3_PNS10_IS15_E10value_typeET4_jRbjT5_S1B_jjP12ihipStream_tbEUljE_EEESW_SX_SY_S15_S19_S1B_T6_T7_T9_mT8_S1D_bDpT10_ENKUlT_T0_E_clISt17integral_constantIbLb1EES1Q_EEDaS1L_S1M_EUlS1L_E_NS1_11comp_targetILNS1_3genE0ELNS1_11target_archE4294967295ELNS1_3gpuE0ELNS1_3repE0EEENS1_30default_config_static_selectorELNS0_4arch9wavefront6targetE0EEEvSZ_.has_recursion, 0
	.set _ZN7rocprim17ROCPRIM_400000_NS6detail17trampoline_kernelINS0_13select_configILj256ELj13ELNS0_17block_load_methodE3ELS4_3ELS4_3ELNS0_20block_scan_algorithmE0ELj4294967295EEENS1_25partition_config_selectorILNS1_17partition_subalgoE3EjNS0_10empty_typeEbEEZZNS1_14partition_implILS8_3ELb0ES6_jNS0_17counting_iteratorIjlEEPS9_SE_NS0_5tupleIJPjSE_EEENSF_IJSE_SE_EEES9_SG_JZNS1_25segmented_radix_sort_implINS0_14default_configELb1EPK12hip_bfloat16PSL_PKlPlN2at6native12_GLOBAL__N_18offset_tEEE10hipError_tPvRmT1_PNSt15iterator_traitsISZ_E10value_typeET2_T3_PNS10_IS15_E10value_typeET4_jRbjT5_S1B_jjP12ihipStream_tbEUljE_EEESW_SX_SY_S15_S19_S1B_T6_T7_T9_mT8_S1D_bDpT10_ENKUlT_T0_E_clISt17integral_constantIbLb1EES1Q_EEDaS1L_S1M_EUlS1L_E_NS1_11comp_targetILNS1_3genE0ELNS1_11target_archE4294967295ELNS1_3gpuE0ELNS1_3repE0EEENS1_30default_config_static_selectorELNS0_4arch9wavefront6targetE0EEEvSZ_.has_indirect_call, 0
	.section	.AMDGPU.csdata,"",@progbits
; Kernel info:
; codeLenInByte = 0
; TotalNumSgprs: 0
; NumVgprs: 0
; ScratchSize: 0
; MemoryBound: 0
; FloatMode: 240
; IeeeMode: 1
; LDSByteSize: 0 bytes/workgroup (compile time only)
; SGPRBlocks: 0
; VGPRBlocks: 0
; NumSGPRsForWavesPerEU: 1
; NumVGPRsForWavesPerEU: 1
; Occupancy: 16
; WaveLimiterHint : 0
; COMPUTE_PGM_RSRC2:SCRATCH_EN: 0
; COMPUTE_PGM_RSRC2:USER_SGPR: 6
; COMPUTE_PGM_RSRC2:TRAP_HANDLER: 0
; COMPUTE_PGM_RSRC2:TGID_X_EN: 1
; COMPUTE_PGM_RSRC2:TGID_Y_EN: 0
; COMPUTE_PGM_RSRC2:TGID_Z_EN: 0
; COMPUTE_PGM_RSRC2:TIDIG_COMP_CNT: 0
	.section	.text._ZN7rocprim17ROCPRIM_400000_NS6detail17trampoline_kernelINS0_13select_configILj256ELj13ELNS0_17block_load_methodE3ELS4_3ELS4_3ELNS0_20block_scan_algorithmE0ELj4294967295EEENS1_25partition_config_selectorILNS1_17partition_subalgoE3EjNS0_10empty_typeEbEEZZNS1_14partition_implILS8_3ELb0ES6_jNS0_17counting_iteratorIjlEEPS9_SE_NS0_5tupleIJPjSE_EEENSF_IJSE_SE_EEES9_SG_JZNS1_25segmented_radix_sort_implINS0_14default_configELb1EPK12hip_bfloat16PSL_PKlPlN2at6native12_GLOBAL__N_18offset_tEEE10hipError_tPvRmT1_PNSt15iterator_traitsISZ_E10value_typeET2_T3_PNS10_IS15_E10value_typeET4_jRbjT5_S1B_jjP12ihipStream_tbEUljE_EEESW_SX_SY_S15_S19_S1B_T6_T7_T9_mT8_S1D_bDpT10_ENKUlT_T0_E_clISt17integral_constantIbLb1EES1Q_EEDaS1L_S1M_EUlS1L_E_NS1_11comp_targetILNS1_3genE5ELNS1_11target_archE942ELNS1_3gpuE9ELNS1_3repE0EEENS1_30default_config_static_selectorELNS0_4arch9wavefront6targetE0EEEvSZ_,"axG",@progbits,_ZN7rocprim17ROCPRIM_400000_NS6detail17trampoline_kernelINS0_13select_configILj256ELj13ELNS0_17block_load_methodE3ELS4_3ELS4_3ELNS0_20block_scan_algorithmE0ELj4294967295EEENS1_25partition_config_selectorILNS1_17partition_subalgoE3EjNS0_10empty_typeEbEEZZNS1_14partition_implILS8_3ELb0ES6_jNS0_17counting_iteratorIjlEEPS9_SE_NS0_5tupleIJPjSE_EEENSF_IJSE_SE_EEES9_SG_JZNS1_25segmented_radix_sort_implINS0_14default_configELb1EPK12hip_bfloat16PSL_PKlPlN2at6native12_GLOBAL__N_18offset_tEEE10hipError_tPvRmT1_PNSt15iterator_traitsISZ_E10value_typeET2_T3_PNS10_IS15_E10value_typeET4_jRbjT5_S1B_jjP12ihipStream_tbEUljE_EEESW_SX_SY_S15_S19_S1B_T6_T7_T9_mT8_S1D_bDpT10_ENKUlT_T0_E_clISt17integral_constantIbLb1EES1Q_EEDaS1L_S1M_EUlS1L_E_NS1_11comp_targetILNS1_3genE5ELNS1_11target_archE942ELNS1_3gpuE9ELNS1_3repE0EEENS1_30default_config_static_selectorELNS0_4arch9wavefront6targetE0EEEvSZ_,comdat
	.globl	_ZN7rocprim17ROCPRIM_400000_NS6detail17trampoline_kernelINS0_13select_configILj256ELj13ELNS0_17block_load_methodE3ELS4_3ELS4_3ELNS0_20block_scan_algorithmE0ELj4294967295EEENS1_25partition_config_selectorILNS1_17partition_subalgoE3EjNS0_10empty_typeEbEEZZNS1_14partition_implILS8_3ELb0ES6_jNS0_17counting_iteratorIjlEEPS9_SE_NS0_5tupleIJPjSE_EEENSF_IJSE_SE_EEES9_SG_JZNS1_25segmented_radix_sort_implINS0_14default_configELb1EPK12hip_bfloat16PSL_PKlPlN2at6native12_GLOBAL__N_18offset_tEEE10hipError_tPvRmT1_PNSt15iterator_traitsISZ_E10value_typeET2_T3_PNS10_IS15_E10value_typeET4_jRbjT5_S1B_jjP12ihipStream_tbEUljE_EEESW_SX_SY_S15_S19_S1B_T6_T7_T9_mT8_S1D_bDpT10_ENKUlT_T0_E_clISt17integral_constantIbLb1EES1Q_EEDaS1L_S1M_EUlS1L_E_NS1_11comp_targetILNS1_3genE5ELNS1_11target_archE942ELNS1_3gpuE9ELNS1_3repE0EEENS1_30default_config_static_selectorELNS0_4arch9wavefront6targetE0EEEvSZ_ ; -- Begin function _ZN7rocprim17ROCPRIM_400000_NS6detail17trampoline_kernelINS0_13select_configILj256ELj13ELNS0_17block_load_methodE3ELS4_3ELS4_3ELNS0_20block_scan_algorithmE0ELj4294967295EEENS1_25partition_config_selectorILNS1_17partition_subalgoE3EjNS0_10empty_typeEbEEZZNS1_14partition_implILS8_3ELb0ES6_jNS0_17counting_iteratorIjlEEPS9_SE_NS0_5tupleIJPjSE_EEENSF_IJSE_SE_EEES9_SG_JZNS1_25segmented_radix_sort_implINS0_14default_configELb1EPK12hip_bfloat16PSL_PKlPlN2at6native12_GLOBAL__N_18offset_tEEE10hipError_tPvRmT1_PNSt15iterator_traitsISZ_E10value_typeET2_T3_PNS10_IS15_E10value_typeET4_jRbjT5_S1B_jjP12ihipStream_tbEUljE_EEESW_SX_SY_S15_S19_S1B_T6_T7_T9_mT8_S1D_bDpT10_ENKUlT_T0_E_clISt17integral_constantIbLb1EES1Q_EEDaS1L_S1M_EUlS1L_E_NS1_11comp_targetILNS1_3genE5ELNS1_11target_archE942ELNS1_3gpuE9ELNS1_3repE0EEENS1_30default_config_static_selectorELNS0_4arch9wavefront6targetE0EEEvSZ_
	.p2align	8
	.type	_ZN7rocprim17ROCPRIM_400000_NS6detail17trampoline_kernelINS0_13select_configILj256ELj13ELNS0_17block_load_methodE3ELS4_3ELS4_3ELNS0_20block_scan_algorithmE0ELj4294967295EEENS1_25partition_config_selectorILNS1_17partition_subalgoE3EjNS0_10empty_typeEbEEZZNS1_14partition_implILS8_3ELb0ES6_jNS0_17counting_iteratorIjlEEPS9_SE_NS0_5tupleIJPjSE_EEENSF_IJSE_SE_EEES9_SG_JZNS1_25segmented_radix_sort_implINS0_14default_configELb1EPK12hip_bfloat16PSL_PKlPlN2at6native12_GLOBAL__N_18offset_tEEE10hipError_tPvRmT1_PNSt15iterator_traitsISZ_E10value_typeET2_T3_PNS10_IS15_E10value_typeET4_jRbjT5_S1B_jjP12ihipStream_tbEUljE_EEESW_SX_SY_S15_S19_S1B_T6_T7_T9_mT8_S1D_bDpT10_ENKUlT_T0_E_clISt17integral_constantIbLb1EES1Q_EEDaS1L_S1M_EUlS1L_E_NS1_11comp_targetILNS1_3genE5ELNS1_11target_archE942ELNS1_3gpuE9ELNS1_3repE0EEENS1_30default_config_static_selectorELNS0_4arch9wavefront6targetE0EEEvSZ_,@function
_ZN7rocprim17ROCPRIM_400000_NS6detail17trampoline_kernelINS0_13select_configILj256ELj13ELNS0_17block_load_methodE3ELS4_3ELS4_3ELNS0_20block_scan_algorithmE0ELj4294967295EEENS1_25partition_config_selectorILNS1_17partition_subalgoE3EjNS0_10empty_typeEbEEZZNS1_14partition_implILS8_3ELb0ES6_jNS0_17counting_iteratorIjlEEPS9_SE_NS0_5tupleIJPjSE_EEENSF_IJSE_SE_EEES9_SG_JZNS1_25segmented_radix_sort_implINS0_14default_configELb1EPK12hip_bfloat16PSL_PKlPlN2at6native12_GLOBAL__N_18offset_tEEE10hipError_tPvRmT1_PNSt15iterator_traitsISZ_E10value_typeET2_T3_PNS10_IS15_E10value_typeET4_jRbjT5_S1B_jjP12ihipStream_tbEUljE_EEESW_SX_SY_S15_S19_S1B_T6_T7_T9_mT8_S1D_bDpT10_ENKUlT_T0_E_clISt17integral_constantIbLb1EES1Q_EEDaS1L_S1M_EUlS1L_E_NS1_11comp_targetILNS1_3genE5ELNS1_11target_archE942ELNS1_3gpuE9ELNS1_3repE0EEENS1_30default_config_static_selectorELNS0_4arch9wavefront6targetE0EEEvSZ_: ; @_ZN7rocprim17ROCPRIM_400000_NS6detail17trampoline_kernelINS0_13select_configILj256ELj13ELNS0_17block_load_methodE3ELS4_3ELS4_3ELNS0_20block_scan_algorithmE0ELj4294967295EEENS1_25partition_config_selectorILNS1_17partition_subalgoE3EjNS0_10empty_typeEbEEZZNS1_14partition_implILS8_3ELb0ES6_jNS0_17counting_iteratorIjlEEPS9_SE_NS0_5tupleIJPjSE_EEENSF_IJSE_SE_EEES9_SG_JZNS1_25segmented_radix_sort_implINS0_14default_configELb1EPK12hip_bfloat16PSL_PKlPlN2at6native12_GLOBAL__N_18offset_tEEE10hipError_tPvRmT1_PNSt15iterator_traitsISZ_E10value_typeET2_T3_PNS10_IS15_E10value_typeET4_jRbjT5_S1B_jjP12ihipStream_tbEUljE_EEESW_SX_SY_S15_S19_S1B_T6_T7_T9_mT8_S1D_bDpT10_ENKUlT_T0_E_clISt17integral_constantIbLb1EES1Q_EEDaS1L_S1M_EUlS1L_E_NS1_11comp_targetILNS1_3genE5ELNS1_11target_archE942ELNS1_3gpuE9ELNS1_3repE0EEENS1_30default_config_static_selectorELNS0_4arch9wavefront6targetE0EEEvSZ_
; %bb.0:
	.section	.rodata,"a",@progbits
	.p2align	6, 0x0
	.amdhsa_kernel _ZN7rocprim17ROCPRIM_400000_NS6detail17trampoline_kernelINS0_13select_configILj256ELj13ELNS0_17block_load_methodE3ELS4_3ELS4_3ELNS0_20block_scan_algorithmE0ELj4294967295EEENS1_25partition_config_selectorILNS1_17partition_subalgoE3EjNS0_10empty_typeEbEEZZNS1_14partition_implILS8_3ELb0ES6_jNS0_17counting_iteratorIjlEEPS9_SE_NS0_5tupleIJPjSE_EEENSF_IJSE_SE_EEES9_SG_JZNS1_25segmented_radix_sort_implINS0_14default_configELb1EPK12hip_bfloat16PSL_PKlPlN2at6native12_GLOBAL__N_18offset_tEEE10hipError_tPvRmT1_PNSt15iterator_traitsISZ_E10value_typeET2_T3_PNS10_IS15_E10value_typeET4_jRbjT5_S1B_jjP12ihipStream_tbEUljE_EEESW_SX_SY_S15_S19_S1B_T6_T7_T9_mT8_S1D_bDpT10_ENKUlT_T0_E_clISt17integral_constantIbLb1EES1Q_EEDaS1L_S1M_EUlS1L_E_NS1_11comp_targetILNS1_3genE5ELNS1_11target_archE942ELNS1_3gpuE9ELNS1_3repE0EEENS1_30default_config_static_selectorELNS0_4arch9wavefront6targetE0EEEvSZ_
		.amdhsa_group_segment_fixed_size 0
		.amdhsa_private_segment_fixed_size 0
		.amdhsa_kernarg_size 152
		.amdhsa_user_sgpr_count 6
		.amdhsa_user_sgpr_private_segment_buffer 1
		.amdhsa_user_sgpr_dispatch_ptr 0
		.amdhsa_user_sgpr_queue_ptr 0
		.amdhsa_user_sgpr_kernarg_segment_ptr 1
		.amdhsa_user_sgpr_dispatch_id 0
		.amdhsa_user_sgpr_flat_scratch_init 0
		.amdhsa_user_sgpr_private_segment_size 0
		.amdhsa_wavefront_size32 1
		.amdhsa_uses_dynamic_stack 0
		.amdhsa_system_sgpr_private_segment_wavefront_offset 0
		.amdhsa_system_sgpr_workgroup_id_x 1
		.amdhsa_system_sgpr_workgroup_id_y 0
		.amdhsa_system_sgpr_workgroup_id_z 0
		.amdhsa_system_sgpr_workgroup_info 0
		.amdhsa_system_vgpr_workitem_id 0
		.amdhsa_next_free_vgpr 1
		.amdhsa_next_free_sgpr 1
		.amdhsa_reserve_vcc 0
		.amdhsa_reserve_flat_scratch 0
		.amdhsa_float_round_mode_32 0
		.amdhsa_float_round_mode_16_64 0
		.amdhsa_float_denorm_mode_32 3
		.amdhsa_float_denorm_mode_16_64 3
		.amdhsa_dx10_clamp 1
		.amdhsa_ieee_mode 1
		.amdhsa_fp16_overflow 0
		.amdhsa_workgroup_processor_mode 1
		.amdhsa_memory_ordered 1
		.amdhsa_forward_progress 1
		.amdhsa_shared_vgpr_count 0
		.amdhsa_exception_fp_ieee_invalid_op 0
		.amdhsa_exception_fp_denorm_src 0
		.amdhsa_exception_fp_ieee_div_zero 0
		.amdhsa_exception_fp_ieee_overflow 0
		.amdhsa_exception_fp_ieee_underflow 0
		.amdhsa_exception_fp_ieee_inexact 0
		.amdhsa_exception_int_div_zero 0
	.end_amdhsa_kernel
	.section	.text._ZN7rocprim17ROCPRIM_400000_NS6detail17trampoline_kernelINS0_13select_configILj256ELj13ELNS0_17block_load_methodE3ELS4_3ELS4_3ELNS0_20block_scan_algorithmE0ELj4294967295EEENS1_25partition_config_selectorILNS1_17partition_subalgoE3EjNS0_10empty_typeEbEEZZNS1_14partition_implILS8_3ELb0ES6_jNS0_17counting_iteratorIjlEEPS9_SE_NS0_5tupleIJPjSE_EEENSF_IJSE_SE_EEES9_SG_JZNS1_25segmented_radix_sort_implINS0_14default_configELb1EPK12hip_bfloat16PSL_PKlPlN2at6native12_GLOBAL__N_18offset_tEEE10hipError_tPvRmT1_PNSt15iterator_traitsISZ_E10value_typeET2_T3_PNS10_IS15_E10value_typeET4_jRbjT5_S1B_jjP12ihipStream_tbEUljE_EEESW_SX_SY_S15_S19_S1B_T6_T7_T9_mT8_S1D_bDpT10_ENKUlT_T0_E_clISt17integral_constantIbLb1EES1Q_EEDaS1L_S1M_EUlS1L_E_NS1_11comp_targetILNS1_3genE5ELNS1_11target_archE942ELNS1_3gpuE9ELNS1_3repE0EEENS1_30default_config_static_selectorELNS0_4arch9wavefront6targetE0EEEvSZ_,"axG",@progbits,_ZN7rocprim17ROCPRIM_400000_NS6detail17trampoline_kernelINS0_13select_configILj256ELj13ELNS0_17block_load_methodE3ELS4_3ELS4_3ELNS0_20block_scan_algorithmE0ELj4294967295EEENS1_25partition_config_selectorILNS1_17partition_subalgoE3EjNS0_10empty_typeEbEEZZNS1_14partition_implILS8_3ELb0ES6_jNS0_17counting_iteratorIjlEEPS9_SE_NS0_5tupleIJPjSE_EEENSF_IJSE_SE_EEES9_SG_JZNS1_25segmented_radix_sort_implINS0_14default_configELb1EPK12hip_bfloat16PSL_PKlPlN2at6native12_GLOBAL__N_18offset_tEEE10hipError_tPvRmT1_PNSt15iterator_traitsISZ_E10value_typeET2_T3_PNS10_IS15_E10value_typeET4_jRbjT5_S1B_jjP12ihipStream_tbEUljE_EEESW_SX_SY_S15_S19_S1B_T6_T7_T9_mT8_S1D_bDpT10_ENKUlT_T0_E_clISt17integral_constantIbLb1EES1Q_EEDaS1L_S1M_EUlS1L_E_NS1_11comp_targetILNS1_3genE5ELNS1_11target_archE942ELNS1_3gpuE9ELNS1_3repE0EEENS1_30default_config_static_selectorELNS0_4arch9wavefront6targetE0EEEvSZ_,comdat
.Lfunc_end1913:
	.size	_ZN7rocprim17ROCPRIM_400000_NS6detail17trampoline_kernelINS0_13select_configILj256ELj13ELNS0_17block_load_methodE3ELS4_3ELS4_3ELNS0_20block_scan_algorithmE0ELj4294967295EEENS1_25partition_config_selectorILNS1_17partition_subalgoE3EjNS0_10empty_typeEbEEZZNS1_14partition_implILS8_3ELb0ES6_jNS0_17counting_iteratorIjlEEPS9_SE_NS0_5tupleIJPjSE_EEENSF_IJSE_SE_EEES9_SG_JZNS1_25segmented_radix_sort_implINS0_14default_configELb1EPK12hip_bfloat16PSL_PKlPlN2at6native12_GLOBAL__N_18offset_tEEE10hipError_tPvRmT1_PNSt15iterator_traitsISZ_E10value_typeET2_T3_PNS10_IS15_E10value_typeET4_jRbjT5_S1B_jjP12ihipStream_tbEUljE_EEESW_SX_SY_S15_S19_S1B_T6_T7_T9_mT8_S1D_bDpT10_ENKUlT_T0_E_clISt17integral_constantIbLb1EES1Q_EEDaS1L_S1M_EUlS1L_E_NS1_11comp_targetILNS1_3genE5ELNS1_11target_archE942ELNS1_3gpuE9ELNS1_3repE0EEENS1_30default_config_static_selectorELNS0_4arch9wavefront6targetE0EEEvSZ_, .Lfunc_end1913-_ZN7rocprim17ROCPRIM_400000_NS6detail17trampoline_kernelINS0_13select_configILj256ELj13ELNS0_17block_load_methodE3ELS4_3ELS4_3ELNS0_20block_scan_algorithmE0ELj4294967295EEENS1_25partition_config_selectorILNS1_17partition_subalgoE3EjNS0_10empty_typeEbEEZZNS1_14partition_implILS8_3ELb0ES6_jNS0_17counting_iteratorIjlEEPS9_SE_NS0_5tupleIJPjSE_EEENSF_IJSE_SE_EEES9_SG_JZNS1_25segmented_radix_sort_implINS0_14default_configELb1EPK12hip_bfloat16PSL_PKlPlN2at6native12_GLOBAL__N_18offset_tEEE10hipError_tPvRmT1_PNSt15iterator_traitsISZ_E10value_typeET2_T3_PNS10_IS15_E10value_typeET4_jRbjT5_S1B_jjP12ihipStream_tbEUljE_EEESW_SX_SY_S15_S19_S1B_T6_T7_T9_mT8_S1D_bDpT10_ENKUlT_T0_E_clISt17integral_constantIbLb1EES1Q_EEDaS1L_S1M_EUlS1L_E_NS1_11comp_targetILNS1_3genE5ELNS1_11target_archE942ELNS1_3gpuE9ELNS1_3repE0EEENS1_30default_config_static_selectorELNS0_4arch9wavefront6targetE0EEEvSZ_
                                        ; -- End function
	.set _ZN7rocprim17ROCPRIM_400000_NS6detail17trampoline_kernelINS0_13select_configILj256ELj13ELNS0_17block_load_methodE3ELS4_3ELS4_3ELNS0_20block_scan_algorithmE0ELj4294967295EEENS1_25partition_config_selectorILNS1_17partition_subalgoE3EjNS0_10empty_typeEbEEZZNS1_14partition_implILS8_3ELb0ES6_jNS0_17counting_iteratorIjlEEPS9_SE_NS0_5tupleIJPjSE_EEENSF_IJSE_SE_EEES9_SG_JZNS1_25segmented_radix_sort_implINS0_14default_configELb1EPK12hip_bfloat16PSL_PKlPlN2at6native12_GLOBAL__N_18offset_tEEE10hipError_tPvRmT1_PNSt15iterator_traitsISZ_E10value_typeET2_T3_PNS10_IS15_E10value_typeET4_jRbjT5_S1B_jjP12ihipStream_tbEUljE_EEESW_SX_SY_S15_S19_S1B_T6_T7_T9_mT8_S1D_bDpT10_ENKUlT_T0_E_clISt17integral_constantIbLb1EES1Q_EEDaS1L_S1M_EUlS1L_E_NS1_11comp_targetILNS1_3genE5ELNS1_11target_archE942ELNS1_3gpuE9ELNS1_3repE0EEENS1_30default_config_static_selectorELNS0_4arch9wavefront6targetE0EEEvSZ_.num_vgpr, 0
	.set _ZN7rocprim17ROCPRIM_400000_NS6detail17trampoline_kernelINS0_13select_configILj256ELj13ELNS0_17block_load_methodE3ELS4_3ELS4_3ELNS0_20block_scan_algorithmE0ELj4294967295EEENS1_25partition_config_selectorILNS1_17partition_subalgoE3EjNS0_10empty_typeEbEEZZNS1_14partition_implILS8_3ELb0ES6_jNS0_17counting_iteratorIjlEEPS9_SE_NS0_5tupleIJPjSE_EEENSF_IJSE_SE_EEES9_SG_JZNS1_25segmented_radix_sort_implINS0_14default_configELb1EPK12hip_bfloat16PSL_PKlPlN2at6native12_GLOBAL__N_18offset_tEEE10hipError_tPvRmT1_PNSt15iterator_traitsISZ_E10value_typeET2_T3_PNS10_IS15_E10value_typeET4_jRbjT5_S1B_jjP12ihipStream_tbEUljE_EEESW_SX_SY_S15_S19_S1B_T6_T7_T9_mT8_S1D_bDpT10_ENKUlT_T0_E_clISt17integral_constantIbLb1EES1Q_EEDaS1L_S1M_EUlS1L_E_NS1_11comp_targetILNS1_3genE5ELNS1_11target_archE942ELNS1_3gpuE9ELNS1_3repE0EEENS1_30default_config_static_selectorELNS0_4arch9wavefront6targetE0EEEvSZ_.num_agpr, 0
	.set _ZN7rocprim17ROCPRIM_400000_NS6detail17trampoline_kernelINS0_13select_configILj256ELj13ELNS0_17block_load_methodE3ELS4_3ELS4_3ELNS0_20block_scan_algorithmE0ELj4294967295EEENS1_25partition_config_selectorILNS1_17partition_subalgoE3EjNS0_10empty_typeEbEEZZNS1_14partition_implILS8_3ELb0ES6_jNS0_17counting_iteratorIjlEEPS9_SE_NS0_5tupleIJPjSE_EEENSF_IJSE_SE_EEES9_SG_JZNS1_25segmented_radix_sort_implINS0_14default_configELb1EPK12hip_bfloat16PSL_PKlPlN2at6native12_GLOBAL__N_18offset_tEEE10hipError_tPvRmT1_PNSt15iterator_traitsISZ_E10value_typeET2_T3_PNS10_IS15_E10value_typeET4_jRbjT5_S1B_jjP12ihipStream_tbEUljE_EEESW_SX_SY_S15_S19_S1B_T6_T7_T9_mT8_S1D_bDpT10_ENKUlT_T0_E_clISt17integral_constantIbLb1EES1Q_EEDaS1L_S1M_EUlS1L_E_NS1_11comp_targetILNS1_3genE5ELNS1_11target_archE942ELNS1_3gpuE9ELNS1_3repE0EEENS1_30default_config_static_selectorELNS0_4arch9wavefront6targetE0EEEvSZ_.numbered_sgpr, 0
	.set _ZN7rocprim17ROCPRIM_400000_NS6detail17trampoline_kernelINS0_13select_configILj256ELj13ELNS0_17block_load_methodE3ELS4_3ELS4_3ELNS0_20block_scan_algorithmE0ELj4294967295EEENS1_25partition_config_selectorILNS1_17partition_subalgoE3EjNS0_10empty_typeEbEEZZNS1_14partition_implILS8_3ELb0ES6_jNS0_17counting_iteratorIjlEEPS9_SE_NS0_5tupleIJPjSE_EEENSF_IJSE_SE_EEES9_SG_JZNS1_25segmented_radix_sort_implINS0_14default_configELb1EPK12hip_bfloat16PSL_PKlPlN2at6native12_GLOBAL__N_18offset_tEEE10hipError_tPvRmT1_PNSt15iterator_traitsISZ_E10value_typeET2_T3_PNS10_IS15_E10value_typeET4_jRbjT5_S1B_jjP12ihipStream_tbEUljE_EEESW_SX_SY_S15_S19_S1B_T6_T7_T9_mT8_S1D_bDpT10_ENKUlT_T0_E_clISt17integral_constantIbLb1EES1Q_EEDaS1L_S1M_EUlS1L_E_NS1_11comp_targetILNS1_3genE5ELNS1_11target_archE942ELNS1_3gpuE9ELNS1_3repE0EEENS1_30default_config_static_selectorELNS0_4arch9wavefront6targetE0EEEvSZ_.num_named_barrier, 0
	.set _ZN7rocprim17ROCPRIM_400000_NS6detail17trampoline_kernelINS0_13select_configILj256ELj13ELNS0_17block_load_methodE3ELS4_3ELS4_3ELNS0_20block_scan_algorithmE0ELj4294967295EEENS1_25partition_config_selectorILNS1_17partition_subalgoE3EjNS0_10empty_typeEbEEZZNS1_14partition_implILS8_3ELb0ES6_jNS0_17counting_iteratorIjlEEPS9_SE_NS0_5tupleIJPjSE_EEENSF_IJSE_SE_EEES9_SG_JZNS1_25segmented_radix_sort_implINS0_14default_configELb1EPK12hip_bfloat16PSL_PKlPlN2at6native12_GLOBAL__N_18offset_tEEE10hipError_tPvRmT1_PNSt15iterator_traitsISZ_E10value_typeET2_T3_PNS10_IS15_E10value_typeET4_jRbjT5_S1B_jjP12ihipStream_tbEUljE_EEESW_SX_SY_S15_S19_S1B_T6_T7_T9_mT8_S1D_bDpT10_ENKUlT_T0_E_clISt17integral_constantIbLb1EES1Q_EEDaS1L_S1M_EUlS1L_E_NS1_11comp_targetILNS1_3genE5ELNS1_11target_archE942ELNS1_3gpuE9ELNS1_3repE0EEENS1_30default_config_static_selectorELNS0_4arch9wavefront6targetE0EEEvSZ_.private_seg_size, 0
	.set _ZN7rocprim17ROCPRIM_400000_NS6detail17trampoline_kernelINS0_13select_configILj256ELj13ELNS0_17block_load_methodE3ELS4_3ELS4_3ELNS0_20block_scan_algorithmE0ELj4294967295EEENS1_25partition_config_selectorILNS1_17partition_subalgoE3EjNS0_10empty_typeEbEEZZNS1_14partition_implILS8_3ELb0ES6_jNS0_17counting_iteratorIjlEEPS9_SE_NS0_5tupleIJPjSE_EEENSF_IJSE_SE_EEES9_SG_JZNS1_25segmented_radix_sort_implINS0_14default_configELb1EPK12hip_bfloat16PSL_PKlPlN2at6native12_GLOBAL__N_18offset_tEEE10hipError_tPvRmT1_PNSt15iterator_traitsISZ_E10value_typeET2_T3_PNS10_IS15_E10value_typeET4_jRbjT5_S1B_jjP12ihipStream_tbEUljE_EEESW_SX_SY_S15_S19_S1B_T6_T7_T9_mT8_S1D_bDpT10_ENKUlT_T0_E_clISt17integral_constantIbLb1EES1Q_EEDaS1L_S1M_EUlS1L_E_NS1_11comp_targetILNS1_3genE5ELNS1_11target_archE942ELNS1_3gpuE9ELNS1_3repE0EEENS1_30default_config_static_selectorELNS0_4arch9wavefront6targetE0EEEvSZ_.uses_vcc, 0
	.set _ZN7rocprim17ROCPRIM_400000_NS6detail17trampoline_kernelINS0_13select_configILj256ELj13ELNS0_17block_load_methodE3ELS4_3ELS4_3ELNS0_20block_scan_algorithmE0ELj4294967295EEENS1_25partition_config_selectorILNS1_17partition_subalgoE3EjNS0_10empty_typeEbEEZZNS1_14partition_implILS8_3ELb0ES6_jNS0_17counting_iteratorIjlEEPS9_SE_NS0_5tupleIJPjSE_EEENSF_IJSE_SE_EEES9_SG_JZNS1_25segmented_radix_sort_implINS0_14default_configELb1EPK12hip_bfloat16PSL_PKlPlN2at6native12_GLOBAL__N_18offset_tEEE10hipError_tPvRmT1_PNSt15iterator_traitsISZ_E10value_typeET2_T3_PNS10_IS15_E10value_typeET4_jRbjT5_S1B_jjP12ihipStream_tbEUljE_EEESW_SX_SY_S15_S19_S1B_T6_T7_T9_mT8_S1D_bDpT10_ENKUlT_T0_E_clISt17integral_constantIbLb1EES1Q_EEDaS1L_S1M_EUlS1L_E_NS1_11comp_targetILNS1_3genE5ELNS1_11target_archE942ELNS1_3gpuE9ELNS1_3repE0EEENS1_30default_config_static_selectorELNS0_4arch9wavefront6targetE0EEEvSZ_.uses_flat_scratch, 0
	.set _ZN7rocprim17ROCPRIM_400000_NS6detail17trampoline_kernelINS0_13select_configILj256ELj13ELNS0_17block_load_methodE3ELS4_3ELS4_3ELNS0_20block_scan_algorithmE0ELj4294967295EEENS1_25partition_config_selectorILNS1_17partition_subalgoE3EjNS0_10empty_typeEbEEZZNS1_14partition_implILS8_3ELb0ES6_jNS0_17counting_iteratorIjlEEPS9_SE_NS0_5tupleIJPjSE_EEENSF_IJSE_SE_EEES9_SG_JZNS1_25segmented_radix_sort_implINS0_14default_configELb1EPK12hip_bfloat16PSL_PKlPlN2at6native12_GLOBAL__N_18offset_tEEE10hipError_tPvRmT1_PNSt15iterator_traitsISZ_E10value_typeET2_T3_PNS10_IS15_E10value_typeET4_jRbjT5_S1B_jjP12ihipStream_tbEUljE_EEESW_SX_SY_S15_S19_S1B_T6_T7_T9_mT8_S1D_bDpT10_ENKUlT_T0_E_clISt17integral_constantIbLb1EES1Q_EEDaS1L_S1M_EUlS1L_E_NS1_11comp_targetILNS1_3genE5ELNS1_11target_archE942ELNS1_3gpuE9ELNS1_3repE0EEENS1_30default_config_static_selectorELNS0_4arch9wavefront6targetE0EEEvSZ_.has_dyn_sized_stack, 0
	.set _ZN7rocprim17ROCPRIM_400000_NS6detail17trampoline_kernelINS0_13select_configILj256ELj13ELNS0_17block_load_methodE3ELS4_3ELS4_3ELNS0_20block_scan_algorithmE0ELj4294967295EEENS1_25partition_config_selectorILNS1_17partition_subalgoE3EjNS0_10empty_typeEbEEZZNS1_14partition_implILS8_3ELb0ES6_jNS0_17counting_iteratorIjlEEPS9_SE_NS0_5tupleIJPjSE_EEENSF_IJSE_SE_EEES9_SG_JZNS1_25segmented_radix_sort_implINS0_14default_configELb1EPK12hip_bfloat16PSL_PKlPlN2at6native12_GLOBAL__N_18offset_tEEE10hipError_tPvRmT1_PNSt15iterator_traitsISZ_E10value_typeET2_T3_PNS10_IS15_E10value_typeET4_jRbjT5_S1B_jjP12ihipStream_tbEUljE_EEESW_SX_SY_S15_S19_S1B_T6_T7_T9_mT8_S1D_bDpT10_ENKUlT_T0_E_clISt17integral_constantIbLb1EES1Q_EEDaS1L_S1M_EUlS1L_E_NS1_11comp_targetILNS1_3genE5ELNS1_11target_archE942ELNS1_3gpuE9ELNS1_3repE0EEENS1_30default_config_static_selectorELNS0_4arch9wavefront6targetE0EEEvSZ_.has_recursion, 0
	.set _ZN7rocprim17ROCPRIM_400000_NS6detail17trampoline_kernelINS0_13select_configILj256ELj13ELNS0_17block_load_methodE3ELS4_3ELS4_3ELNS0_20block_scan_algorithmE0ELj4294967295EEENS1_25partition_config_selectorILNS1_17partition_subalgoE3EjNS0_10empty_typeEbEEZZNS1_14partition_implILS8_3ELb0ES6_jNS0_17counting_iteratorIjlEEPS9_SE_NS0_5tupleIJPjSE_EEENSF_IJSE_SE_EEES9_SG_JZNS1_25segmented_radix_sort_implINS0_14default_configELb1EPK12hip_bfloat16PSL_PKlPlN2at6native12_GLOBAL__N_18offset_tEEE10hipError_tPvRmT1_PNSt15iterator_traitsISZ_E10value_typeET2_T3_PNS10_IS15_E10value_typeET4_jRbjT5_S1B_jjP12ihipStream_tbEUljE_EEESW_SX_SY_S15_S19_S1B_T6_T7_T9_mT8_S1D_bDpT10_ENKUlT_T0_E_clISt17integral_constantIbLb1EES1Q_EEDaS1L_S1M_EUlS1L_E_NS1_11comp_targetILNS1_3genE5ELNS1_11target_archE942ELNS1_3gpuE9ELNS1_3repE0EEENS1_30default_config_static_selectorELNS0_4arch9wavefront6targetE0EEEvSZ_.has_indirect_call, 0
	.section	.AMDGPU.csdata,"",@progbits
; Kernel info:
; codeLenInByte = 0
; TotalNumSgprs: 0
; NumVgprs: 0
; ScratchSize: 0
; MemoryBound: 0
; FloatMode: 240
; IeeeMode: 1
; LDSByteSize: 0 bytes/workgroup (compile time only)
; SGPRBlocks: 0
; VGPRBlocks: 0
; NumSGPRsForWavesPerEU: 1
; NumVGPRsForWavesPerEU: 1
; Occupancy: 16
; WaveLimiterHint : 0
; COMPUTE_PGM_RSRC2:SCRATCH_EN: 0
; COMPUTE_PGM_RSRC2:USER_SGPR: 6
; COMPUTE_PGM_RSRC2:TRAP_HANDLER: 0
; COMPUTE_PGM_RSRC2:TGID_X_EN: 1
; COMPUTE_PGM_RSRC2:TGID_Y_EN: 0
; COMPUTE_PGM_RSRC2:TGID_Z_EN: 0
; COMPUTE_PGM_RSRC2:TIDIG_COMP_CNT: 0
	.section	.text._ZN7rocprim17ROCPRIM_400000_NS6detail17trampoline_kernelINS0_13select_configILj256ELj13ELNS0_17block_load_methodE3ELS4_3ELS4_3ELNS0_20block_scan_algorithmE0ELj4294967295EEENS1_25partition_config_selectorILNS1_17partition_subalgoE3EjNS0_10empty_typeEbEEZZNS1_14partition_implILS8_3ELb0ES6_jNS0_17counting_iteratorIjlEEPS9_SE_NS0_5tupleIJPjSE_EEENSF_IJSE_SE_EEES9_SG_JZNS1_25segmented_radix_sort_implINS0_14default_configELb1EPK12hip_bfloat16PSL_PKlPlN2at6native12_GLOBAL__N_18offset_tEEE10hipError_tPvRmT1_PNSt15iterator_traitsISZ_E10value_typeET2_T3_PNS10_IS15_E10value_typeET4_jRbjT5_S1B_jjP12ihipStream_tbEUljE_EEESW_SX_SY_S15_S19_S1B_T6_T7_T9_mT8_S1D_bDpT10_ENKUlT_T0_E_clISt17integral_constantIbLb1EES1Q_EEDaS1L_S1M_EUlS1L_E_NS1_11comp_targetILNS1_3genE4ELNS1_11target_archE910ELNS1_3gpuE8ELNS1_3repE0EEENS1_30default_config_static_selectorELNS0_4arch9wavefront6targetE0EEEvSZ_,"axG",@progbits,_ZN7rocprim17ROCPRIM_400000_NS6detail17trampoline_kernelINS0_13select_configILj256ELj13ELNS0_17block_load_methodE3ELS4_3ELS4_3ELNS0_20block_scan_algorithmE0ELj4294967295EEENS1_25partition_config_selectorILNS1_17partition_subalgoE3EjNS0_10empty_typeEbEEZZNS1_14partition_implILS8_3ELb0ES6_jNS0_17counting_iteratorIjlEEPS9_SE_NS0_5tupleIJPjSE_EEENSF_IJSE_SE_EEES9_SG_JZNS1_25segmented_radix_sort_implINS0_14default_configELb1EPK12hip_bfloat16PSL_PKlPlN2at6native12_GLOBAL__N_18offset_tEEE10hipError_tPvRmT1_PNSt15iterator_traitsISZ_E10value_typeET2_T3_PNS10_IS15_E10value_typeET4_jRbjT5_S1B_jjP12ihipStream_tbEUljE_EEESW_SX_SY_S15_S19_S1B_T6_T7_T9_mT8_S1D_bDpT10_ENKUlT_T0_E_clISt17integral_constantIbLb1EES1Q_EEDaS1L_S1M_EUlS1L_E_NS1_11comp_targetILNS1_3genE4ELNS1_11target_archE910ELNS1_3gpuE8ELNS1_3repE0EEENS1_30default_config_static_selectorELNS0_4arch9wavefront6targetE0EEEvSZ_,comdat
	.globl	_ZN7rocprim17ROCPRIM_400000_NS6detail17trampoline_kernelINS0_13select_configILj256ELj13ELNS0_17block_load_methodE3ELS4_3ELS4_3ELNS0_20block_scan_algorithmE0ELj4294967295EEENS1_25partition_config_selectorILNS1_17partition_subalgoE3EjNS0_10empty_typeEbEEZZNS1_14partition_implILS8_3ELb0ES6_jNS0_17counting_iteratorIjlEEPS9_SE_NS0_5tupleIJPjSE_EEENSF_IJSE_SE_EEES9_SG_JZNS1_25segmented_radix_sort_implINS0_14default_configELb1EPK12hip_bfloat16PSL_PKlPlN2at6native12_GLOBAL__N_18offset_tEEE10hipError_tPvRmT1_PNSt15iterator_traitsISZ_E10value_typeET2_T3_PNS10_IS15_E10value_typeET4_jRbjT5_S1B_jjP12ihipStream_tbEUljE_EEESW_SX_SY_S15_S19_S1B_T6_T7_T9_mT8_S1D_bDpT10_ENKUlT_T0_E_clISt17integral_constantIbLb1EES1Q_EEDaS1L_S1M_EUlS1L_E_NS1_11comp_targetILNS1_3genE4ELNS1_11target_archE910ELNS1_3gpuE8ELNS1_3repE0EEENS1_30default_config_static_selectorELNS0_4arch9wavefront6targetE0EEEvSZ_ ; -- Begin function _ZN7rocprim17ROCPRIM_400000_NS6detail17trampoline_kernelINS0_13select_configILj256ELj13ELNS0_17block_load_methodE3ELS4_3ELS4_3ELNS0_20block_scan_algorithmE0ELj4294967295EEENS1_25partition_config_selectorILNS1_17partition_subalgoE3EjNS0_10empty_typeEbEEZZNS1_14partition_implILS8_3ELb0ES6_jNS0_17counting_iteratorIjlEEPS9_SE_NS0_5tupleIJPjSE_EEENSF_IJSE_SE_EEES9_SG_JZNS1_25segmented_radix_sort_implINS0_14default_configELb1EPK12hip_bfloat16PSL_PKlPlN2at6native12_GLOBAL__N_18offset_tEEE10hipError_tPvRmT1_PNSt15iterator_traitsISZ_E10value_typeET2_T3_PNS10_IS15_E10value_typeET4_jRbjT5_S1B_jjP12ihipStream_tbEUljE_EEESW_SX_SY_S15_S19_S1B_T6_T7_T9_mT8_S1D_bDpT10_ENKUlT_T0_E_clISt17integral_constantIbLb1EES1Q_EEDaS1L_S1M_EUlS1L_E_NS1_11comp_targetILNS1_3genE4ELNS1_11target_archE910ELNS1_3gpuE8ELNS1_3repE0EEENS1_30default_config_static_selectorELNS0_4arch9wavefront6targetE0EEEvSZ_
	.p2align	8
	.type	_ZN7rocprim17ROCPRIM_400000_NS6detail17trampoline_kernelINS0_13select_configILj256ELj13ELNS0_17block_load_methodE3ELS4_3ELS4_3ELNS0_20block_scan_algorithmE0ELj4294967295EEENS1_25partition_config_selectorILNS1_17partition_subalgoE3EjNS0_10empty_typeEbEEZZNS1_14partition_implILS8_3ELb0ES6_jNS0_17counting_iteratorIjlEEPS9_SE_NS0_5tupleIJPjSE_EEENSF_IJSE_SE_EEES9_SG_JZNS1_25segmented_radix_sort_implINS0_14default_configELb1EPK12hip_bfloat16PSL_PKlPlN2at6native12_GLOBAL__N_18offset_tEEE10hipError_tPvRmT1_PNSt15iterator_traitsISZ_E10value_typeET2_T3_PNS10_IS15_E10value_typeET4_jRbjT5_S1B_jjP12ihipStream_tbEUljE_EEESW_SX_SY_S15_S19_S1B_T6_T7_T9_mT8_S1D_bDpT10_ENKUlT_T0_E_clISt17integral_constantIbLb1EES1Q_EEDaS1L_S1M_EUlS1L_E_NS1_11comp_targetILNS1_3genE4ELNS1_11target_archE910ELNS1_3gpuE8ELNS1_3repE0EEENS1_30default_config_static_selectorELNS0_4arch9wavefront6targetE0EEEvSZ_,@function
_ZN7rocprim17ROCPRIM_400000_NS6detail17trampoline_kernelINS0_13select_configILj256ELj13ELNS0_17block_load_methodE3ELS4_3ELS4_3ELNS0_20block_scan_algorithmE0ELj4294967295EEENS1_25partition_config_selectorILNS1_17partition_subalgoE3EjNS0_10empty_typeEbEEZZNS1_14partition_implILS8_3ELb0ES6_jNS0_17counting_iteratorIjlEEPS9_SE_NS0_5tupleIJPjSE_EEENSF_IJSE_SE_EEES9_SG_JZNS1_25segmented_radix_sort_implINS0_14default_configELb1EPK12hip_bfloat16PSL_PKlPlN2at6native12_GLOBAL__N_18offset_tEEE10hipError_tPvRmT1_PNSt15iterator_traitsISZ_E10value_typeET2_T3_PNS10_IS15_E10value_typeET4_jRbjT5_S1B_jjP12ihipStream_tbEUljE_EEESW_SX_SY_S15_S19_S1B_T6_T7_T9_mT8_S1D_bDpT10_ENKUlT_T0_E_clISt17integral_constantIbLb1EES1Q_EEDaS1L_S1M_EUlS1L_E_NS1_11comp_targetILNS1_3genE4ELNS1_11target_archE910ELNS1_3gpuE8ELNS1_3repE0EEENS1_30default_config_static_selectorELNS0_4arch9wavefront6targetE0EEEvSZ_: ; @_ZN7rocprim17ROCPRIM_400000_NS6detail17trampoline_kernelINS0_13select_configILj256ELj13ELNS0_17block_load_methodE3ELS4_3ELS4_3ELNS0_20block_scan_algorithmE0ELj4294967295EEENS1_25partition_config_selectorILNS1_17partition_subalgoE3EjNS0_10empty_typeEbEEZZNS1_14partition_implILS8_3ELb0ES6_jNS0_17counting_iteratorIjlEEPS9_SE_NS0_5tupleIJPjSE_EEENSF_IJSE_SE_EEES9_SG_JZNS1_25segmented_radix_sort_implINS0_14default_configELb1EPK12hip_bfloat16PSL_PKlPlN2at6native12_GLOBAL__N_18offset_tEEE10hipError_tPvRmT1_PNSt15iterator_traitsISZ_E10value_typeET2_T3_PNS10_IS15_E10value_typeET4_jRbjT5_S1B_jjP12ihipStream_tbEUljE_EEESW_SX_SY_S15_S19_S1B_T6_T7_T9_mT8_S1D_bDpT10_ENKUlT_T0_E_clISt17integral_constantIbLb1EES1Q_EEDaS1L_S1M_EUlS1L_E_NS1_11comp_targetILNS1_3genE4ELNS1_11target_archE910ELNS1_3gpuE8ELNS1_3repE0EEENS1_30default_config_static_selectorELNS0_4arch9wavefront6targetE0EEEvSZ_
; %bb.0:
	.section	.rodata,"a",@progbits
	.p2align	6, 0x0
	.amdhsa_kernel _ZN7rocprim17ROCPRIM_400000_NS6detail17trampoline_kernelINS0_13select_configILj256ELj13ELNS0_17block_load_methodE3ELS4_3ELS4_3ELNS0_20block_scan_algorithmE0ELj4294967295EEENS1_25partition_config_selectorILNS1_17partition_subalgoE3EjNS0_10empty_typeEbEEZZNS1_14partition_implILS8_3ELb0ES6_jNS0_17counting_iteratorIjlEEPS9_SE_NS0_5tupleIJPjSE_EEENSF_IJSE_SE_EEES9_SG_JZNS1_25segmented_radix_sort_implINS0_14default_configELb1EPK12hip_bfloat16PSL_PKlPlN2at6native12_GLOBAL__N_18offset_tEEE10hipError_tPvRmT1_PNSt15iterator_traitsISZ_E10value_typeET2_T3_PNS10_IS15_E10value_typeET4_jRbjT5_S1B_jjP12ihipStream_tbEUljE_EEESW_SX_SY_S15_S19_S1B_T6_T7_T9_mT8_S1D_bDpT10_ENKUlT_T0_E_clISt17integral_constantIbLb1EES1Q_EEDaS1L_S1M_EUlS1L_E_NS1_11comp_targetILNS1_3genE4ELNS1_11target_archE910ELNS1_3gpuE8ELNS1_3repE0EEENS1_30default_config_static_selectorELNS0_4arch9wavefront6targetE0EEEvSZ_
		.amdhsa_group_segment_fixed_size 0
		.amdhsa_private_segment_fixed_size 0
		.amdhsa_kernarg_size 152
		.amdhsa_user_sgpr_count 6
		.amdhsa_user_sgpr_private_segment_buffer 1
		.amdhsa_user_sgpr_dispatch_ptr 0
		.amdhsa_user_sgpr_queue_ptr 0
		.amdhsa_user_sgpr_kernarg_segment_ptr 1
		.amdhsa_user_sgpr_dispatch_id 0
		.amdhsa_user_sgpr_flat_scratch_init 0
		.amdhsa_user_sgpr_private_segment_size 0
		.amdhsa_wavefront_size32 1
		.amdhsa_uses_dynamic_stack 0
		.amdhsa_system_sgpr_private_segment_wavefront_offset 0
		.amdhsa_system_sgpr_workgroup_id_x 1
		.amdhsa_system_sgpr_workgroup_id_y 0
		.amdhsa_system_sgpr_workgroup_id_z 0
		.amdhsa_system_sgpr_workgroup_info 0
		.amdhsa_system_vgpr_workitem_id 0
		.amdhsa_next_free_vgpr 1
		.amdhsa_next_free_sgpr 1
		.amdhsa_reserve_vcc 0
		.amdhsa_reserve_flat_scratch 0
		.amdhsa_float_round_mode_32 0
		.amdhsa_float_round_mode_16_64 0
		.amdhsa_float_denorm_mode_32 3
		.amdhsa_float_denorm_mode_16_64 3
		.amdhsa_dx10_clamp 1
		.amdhsa_ieee_mode 1
		.amdhsa_fp16_overflow 0
		.amdhsa_workgroup_processor_mode 1
		.amdhsa_memory_ordered 1
		.amdhsa_forward_progress 1
		.amdhsa_shared_vgpr_count 0
		.amdhsa_exception_fp_ieee_invalid_op 0
		.amdhsa_exception_fp_denorm_src 0
		.amdhsa_exception_fp_ieee_div_zero 0
		.amdhsa_exception_fp_ieee_overflow 0
		.amdhsa_exception_fp_ieee_underflow 0
		.amdhsa_exception_fp_ieee_inexact 0
		.amdhsa_exception_int_div_zero 0
	.end_amdhsa_kernel
	.section	.text._ZN7rocprim17ROCPRIM_400000_NS6detail17trampoline_kernelINS0_13select_configILj256ELj13ELNS0_17block_load_methodE3ELS4_3ELS4_3ELNS0_20block_scan_algorithmE0ELj4294967295EEENS1_25partition_config_selectorILNS1_17partition_subalgoE3EjNS0_10empty_typeEbEEZZNS1_14partition_implILS8_3ELb0ES6_jNS0_17counting_iteratorIjlEEPS9_SE_NS0_5tupleIJPjSE_EEENSF_IJSE_SE_EEES9_SG_JZNS1_25segmented_radix_sort_implINS0_14default_configELb1EPK12hip_bfloat16PSL_PKlPlN2at6native12_GLOBAL__N_18offset_tEEE10hipError_tPvRmT1_PNSt15iterator_traitsISZ_E10value_typeET2_T3_PNS10_IS15_E10value_typeET4_jRbjT5_S1B_jjP12ihipStream_tbEUljE_EEESW_SX_SY_S15_S19_S1B_T6_T7_T9_mT8_S1D_bDpT10_ENKUlT_T0_E_clISt17integral_constantIbLb1EES1Q_EEDaS1L_S1M_EUlS1L_E_NS1_11comp_targetILNS1_3genE4ELNS1_11target_archE910ELNS1_3gpuE8ELNS1_3repE0EEENS1_30default_config_static_selectorELNS0_4arch9wavefront6targetE0EEEvSZ_,"axG",@progbits,_ZN7rocprim17ROCPRIM_400000_NS6detail17trampoline_kernelINS0_13select_configILj256ELj13ELNS0_17block_load_methodE3ELS4_3ELS4_3ELNS0_20block_scan_algorithmE0ELj4294967295EEENS1_25partition_config_selectorILNS1_17partition_subalgoE3EjNS0_10empty_typeEbEEZZNS1_14partition_implILS8_3ELb0ES6_jNS0_17counting_iteratorIjlEEPS9_SE_NS0_5tupleIJPjSE_EEENSF_IJSE_SE_EEES9_SG_JZNS1_25segmented_radix_sort_implINS0_14default_configELb1EPK12hip_bfloat16PSL_PKlPlN2at6native12_GLOBAL__N_18offset_tEEE10hipError_tPvRmT1_PNSt15iterator_traitsISZ_E10value_typeET2_T3_PNS10_IS15_E10value_typeET4_jRbjT5_S1B_jjP12ihipStream_tbEUljE_EEESW_SX_SY_S15_S19_S1B_T6_T7_T9_mT8_S1D_bDpT10_ENKUlT_T0_E_clISt17integral_constantIbLb1EES1Q_EEDaS1L_S1M_EUlS1L_E_NS1_11comp_targetILNS1_3genE4ELNS1_11target_archE910ELNS1_3gpuE8ELNS1_3repE0EEENS1_30default_config_static_selectorELNS0_4arch9wavefront6targetE0EEEvSZ_,comdat
.Lfunc_end1914:
	.size	_ZN7rocprim17ROCPRIM_400000_NS6detail17trampoline_kernelINS0_13select_configILj256ELj13ELNS0_17block_load_methodE3ELS4_3ELS4_3ELNS0_20block_scan_algorithmE0ELj4294967295EEENS1_25partition_config_selectorILNS1_17partition_subalgoE3EjNS0_10empty_typeEbEEZZNS1_14partition_implILS8_3ELb0ES6_jNS0_17counting_iteratorIjlEEPS9_SE_NS0_5tupleIJPjSE_EEENSF_IJSE_SE_EEES9_SG_JZNS1_25segmented_radix_sort_implINS0_14default_configELb1EPK12hip_bfloat16PSL_PKlPlN2at6native12_GLOBAL__N_18offset_tEEE10hipError_tPvRmT1_PNSt15iterator_traitsISZ_E10value_typeET2_T3_PNS10_IS15_E10value_typeET4_jRbjT5_S1B_jjP12ihipStream_tbEUljE_EEESW_SX_SY_S15_S19_S1B_T6_T7_T9_mT8_S1D_bDpT10_ENKUlT_T0_E_clISt17integral_constantIbLb1EES1Q_EEDaS1L_S1M_EUlS1L_E_NS1_11comp_targetILNS1_3genE4ELNS1_11target_archE910ELNS1_3gpuE8ELNS1_3repE0EEENS1_30default_config_static_selectorELNS0_4arch9wavefront6targetE0EEEvSZ_, .Lfunc_end1914-_ZN7rocprim17ROCPRIM_400000_NS6detail17trampoline_kernelINS0_13select_configILj256ELj13ELNS0_17block_load_methodE3ELS4_3ELS4_3ELNS0_20block_scan_algorithmE0ELj4294967295EEENS1_25partition_config_selectorILNS1_17partition_subalgoE3EjNS0_10empty_typeEbEEZZNS1_14partition_implILS8_3ELb0ES6_jNS0_17counting_iteratorIjlEEPS9_SE_NS0_5tupleIJPjSE_EEENSF_IJSE_SE_EEES9_SG_JZNS1_25segmented_radix_sort_implINS0_14default_configELb1EPK12hip_bfloat16PSL_PKlPlN2at6native12_GLOBAL__N_18offset_tEEE10hipError_tPvRmT1_PNSt15iterator_traitsISZ_E10value_typeET2_T3_PNS10_IS15_E10value_typeET4_jRbjT5_S1B_jjP12ihipStream_tbEUljE_EEESW_SX_SY_S15_S19_S1B_T6_T7_T9_mT8_S1D_bDpT10_ENKUlT_T0_E_clISt17integral_constantIbLb1EES1Q_EEDaS1L_S1M_EUlS1L_E_NS1_11comp_targetILNS1_3genE4ELNS1_11target_archE910ELNS1_3gpuE8ELNS1_3repE0EEENS1_30default_config_static_selectorELNS0_4arch9wavefront6targetE0EEEvSZ_
                                        ; -- End function
	.set _ZN7rocprim17ROCPRIM_400000_NS6detail17trampoline_kernelINS0_13select_configILj256ELj13ELNS0_17block_load_methodE3ELS4_3ELS4_3ELNS0_20block_scan_algorithmE0ELj4294967295EEENS1_25partition_config_selectorILNS1_17partition_subalgoE3EjNS0_10empty_typeEbEEZZNS1_14partition_implILS8_3ELb0ES6_jNS0_17counting_iteratorIjlEEPS9_SE_NS0_5tupleIJPjSE_EEENSF_IJSE_SE_EEES9_SG_JZNS1_25segmented_radix_sort_implINS0_14default_configELb1EPK12hip_bfloat16PSL_PKlPlN2at6native12_GLOBAL__N_18offset_tEEE10hipError_tPvRmT1_PNSt15iterator_traitsISZ_E10value_typeET2_T3_PNS10_IS15_E10value_typeET4_jRbjT5_S1B_jjP12ihipStream_tbEUljE_EEESW_SX_SY_S15_S19_S1B_T6_T7_T9_mT8_S1D_bDpT10_ENKUlT_T0_E_clISt17integral_constantIbLb1EES1Q_EEDaS1L_S1M_EUlS1L_E_NS1_11comp_targetILNS1_3genE4ELNS1_11target_archE910ELNS1_3gpuE8ELNS1_3repE0EEENS1_30default_config_static_selectorELNS0_4arch9wavefront6targetE0EEEvSZ_.num_vgpr, 0
	.set _ZN7rocprim17ROCPRIM_400000_NS6detail17trampoline_kernelINS0_13select_configILj256ELj13ELNS0_17block_load_methodE3ELS4_3ELS4_3ELNS0_20block_scan_algorithmE0ELj4294967295EEENS1_25partition_config_selectorILNS1_17partition_subalgoE3EjNS0_10empty_typeEbEEZZNS1_14partition_implILS8_3ELb0ES6_jNS0_17counting_iteratorIjlEEPS9_SE_NS0_5tupleIJPjSE_EEENSF_IJSE_SE_EEES9_SG_JZNS1_25segmented_radix_sort_implINS0_14default_configELb1EPK12hip_bfloat16PSL_PKlPlN2at6native12_GLOBAL__N_18offset_tEEE10hipError_tPvRmT1_PNSt15iterator_traitsISZ_E10value_typeET2_T3_PNS10_IS15_E10value_typeET4_jRbjT5_S1B_jjP12ihipStream_tbEUljE_EEESW_SX_SY_S15_S19_S1B_T6_T7_T9_mT8_S1D_bDpT10_ENKUlT_T0_E_clISt17integral_constantIbLb1EES1Q_EEDaS1L_S1M_EUlS1L_E_NS1_11comp_targetILNS1_3genE4ELNS1_11target_archE910ELNS1_3gpuE8ELNS1_3repE0EEENS1_30default_config_static_selectorELNS0_4arch9wavefront6targetE0EEEvSZ_.num_agpr, 0
	.set _ZN7rocprim17ROCPRIM_400000_NS6detail17trampoline_kernelINS0_13select_configILj256ELj13ELNS0_17block_load_methodE3ELS4_3ELS4_3ELNS0_20block_scan_algorithmE0ELj4294967295EEENS1_25partition_config_selectorILNS1_17partition_subalgoE3EjNS0_10empty_typeEbEEZZNS1_14partition_implILS8_3ELb0ES6_jNS0_17counting_iteratorIjlEEPS9_SE_NS0_5tupleIJPjSE_EEENSF_IJSE_SE_EEES9_SG_JZNS1_25segmented_radix_sort_implINS0_14default_configELb1EPK12hip_bfloat16PSL_PKlPlN2at6native12_GLOBAL__N_18offset_tEEE10hipError_tPvRmT1_PNSt15iterator_traitsISZ_E10value_typeET2_T3_PNS10_IS15_E10value_typeET4_jRbjT5_S1B_jjP12ihipStream_tbEUljE_EEESW_SX_SY_S15_S19_S1B_T6_T7_T9_mT8_S1D_bDpT10_ENKUlT_T0_E_clISt17integral_constantIbLb1EES1Q_EEDaS1L_S1M_EUlS1L_E_NS1_11comp_targetILNS1_3genE4ELNS1_11target_archE910ELNS1_3gpuE8ELNS1_3repE0EEENS1_30default_config_static_selectorELNS0_4arch9wavefront6targetE0EEEvSZ_.numbered_sgpr, 0
	.set _ZN7rocprim17ROCPRIM_400000_NS6detail17trampoline_kernelINS0_13select_configILj256ELj13ELNS0_17block_load_methodE3ELS4_3ELS4_3ELNS0_20block_scan_algorithmE0ELj4294967295EEENS1_25partition_config_selectorILNS1_17partition_subalgoE3EjNS0_10empty_typeEbEEZZNS1_14partition_implILS8_3ELb0ES6_jNS0_17counting_iteratorIjlEEPS9_SE_NS0_5tupleIJPjSE_EEENSF_IJSE_SE_EEES9_SG_JZNS1_25segmented_radix_sort_implINS0_14default_configELb1EPK12hip_bfloat16PSL_PKlPlN2at6native12_GLOBAL__N_18offset_tEEE10hipError_tPvRmT1_PNSt15iterator_traitsISZ_E10value_typeET2_T3_PNS10_IS15_E10value_typeET4_jRbjT5_S1B_jjP12ihipStream_tbEUljE_EEESW_SX_SY_S15_S19_S1B_T6_T7_T9_mT8_S1D_bDpT10_ENKUlT_T0_E_clISt17integral_constantIbLb1EES1Q_EEDaS1L_S1M_EUlS1L_E_NS1_11comp_targetILNS1_3genE4ELNS1_11target_archE910ELNS1_3gpuE8ELNS1_3repE0EEENS1_30default_config_static_selectorELNS0_4arch9wavefront6targetE0EEEvSZ_.num_named_barrier, 0
	.set _ZN7rocprim17ROCPRIM_400000_NS6detail17trampoline_kernelINS0_13select_configILj256ELj13ELNS0_17block_load_methodE3ELS4_3ELS4_3ELNS0_20block_scan_algorithmE0ELj4294967295EEENS1_25partition_config_selectorILNS1_17partition_subalgoE3EjNS0_10empty_typeEbEEZZNS1_14partition_implILS8_3ELb0ES6_jNS0_17counting_iteratorIjlEEPS9_SE_NS0_5tupleIJPjSE_EEENSF_IJSE_SE_EEES9_SG_JZNS1_25segmented_radix_sort_implINS0_14default_configELb1EPK12hip_bfloat16PSL_PKlPlN2at6native12_GLOBAL__N_18offset_tEEE10hipError_tPvRmT1_PNSt15iterator_traitsISZ_E10value_typeET2_T3_PNS10_IS15_E10value_typeET4_jRbjT5_S1B_jjP12ihipStream_tbEUljE_EEESW_SX_SY_S15_S19_S1B_T6_T7_T9_mT8_S1D_bDpT10_ENKUlT_T0_E_clISt17integral_constantIbLb1EES1Q_EEDaS1L_S1M_EUlS1L_E_NS1_11comp_targetILNS1_3genE4ELNS1_11target_archE910ELNS1_3gpuE8ELNS1_3repE0EEENS1_30default_config_static_selectorELNS0_4arch9wavefront6targetE0EEEvSZ_.private_seg_size, 0
	.set _ZN7rocprim17ROCPRIM_400000_NS6detail17trampoline_kernelINS0_13select_configILj256ELj13ELNS0_17block_load_methodE3ELS4_3ELS4_3ELNS0_20block_scan_algorithmE0ELj4294967295EEENS1_25partition_config_selectorILNS1_17partition_subalgoE3EjNS0_10empty_typeEbEEZZNS1_14partition_implILS8_3ELb0ES6_jNS0_17counting_iteratorIjlEEPS9_SE_NS0_5tupleIJPjSE_EEENSF_IJSE_SE_EEES9_SG_JZNS1_25segmented_radix_sort_implINS0_14default_configELb1EPK12hip_bfloat16PSL_PKlPlN2at6native12_GLOBAL__N_18offset_tEEE10hipError_tPvRmT1_PNSt15iterator_traitsISZ_E10value_typeET2_T3_PNS10_IS15_E10value_typeET4_jRbjT5_S1B_jjP12ihipStream_tbEUljE_EEESW_SX_SY_S15_S19_S1B_T6_T7_T9_mT8_S1D_bDpT10_ENKUlT_T0_E_clISt17integral_constantIbLb1EES1Q_EEDaS1L_S1M_EUlS1L_E_NS1_11comp_targetILNS1_3genE4ELNS1_11target_archE910ELNS1_3gpuE8ELNS1_3repE0EEENS1_30default_config_static_selectorELNS0_4arch9wavefront6targetE0EEEvSZ_.uses_vcc, 0
	.set _ZN7rocprim17ROCPRIM_400000_NS6detail17trampoline_kernelINS0_13select_configILj256ELj13ELNS0_17block_load_methodE3ELS4_3ELS4_3ELNS0_20block_scan_algorithmE0ELj4294967295EEENS1_25partition_config_selectorILNS1_17partition_subalgoE3EjNS0_10empty_typeEbEEZZNS1_14partition_implILS8_3ELb0ES6_jNS0_17counting_iteratorIjlEEPS9_SE_NS0_5tupleIJPjSE_EEENSF_IJSE_SE_EEES9_SG_JZNS1_25segmented_radix_sort_implINS0_14default_configELb1EPK12hip_bfloat16PSL_PKlPlN2at6native12_GLOBAL__N_18offset_tEEE10hipError_tPvRmT1_PNSt15iterator_traitsISZ_E10value_typeET2_T3_PNS10_IS15_E10value_typeET4_jRbjT5_S1B_jjP12ihipStream_tbEUljE_EEESW_SX_SY_S15_S19_S1B_T6_T7_T9_mT8_S1D_bDpT10_ENKUlT_T0_E_clISt17integral_constantIbLb1EES1Q_EEDaS1L_S1M_EUlS1L_E_NS1_11comp_targetILNS1_3genE4ELNS1_11target_archE910ELNS1_3gpuE8ELNS1_3repE0EEENS1_30default_config_static_selectorELNS0_4arch9wavefront6targetE0EEEvSZ_.uses_flat_scratch, 0
	.set _ZN7rocprim17ROCPRIM_400000_NS6detail17trampoline_kernelINS0_13select_configILj256ELj13ELNS0_17block_load_methodE3ELS4_3ELS4_3ELNS0_20block_scan_algorithmE0ELj4294967295EEENS1_25partition_config_selectorILNS1_17partition_subalgoE3EjNS0_10empty_typeEbEEZZNS1_14partition_implILS8_3ELb0ES6_jNS0_17counting_iteratorIjlEEPS9_SE_NS0_5tupleIJPjSE_EEENSF_IJSE_SE_EEES9_SG_JZNS1_25segmented_radix_sort_implINS0_14default_configELb1EPK12hip_bfloat16PSL_PKlPlN2at6native12_GLOBAL__N_18offset_tEEE10hipError_tPvRmT1_PNSt15iterator_traitsISZ_E10value_typeET2_T3_PNS10_IS15_E10value_typeET4_jRbjT5_S1B_jjP12ihipStream_tbEUljE_EEESW_SX_SY_S15_S19_S1B_T6_T7_T9_mT8_S1D_bDpT10_ENKUlT_T0_E_clISt17integral_constantIbLb1EES1Q_EEDaS1L_S1M_EUlS1L_E_NS1_11comp_targetILNS1_3genE4ELNS1_11target_archE910ELNS1_3gpuE8ELNS1_3repE0EEENS1_30default_config_static_selectorELNS0_4arch9wavefront6targetE0EEEvSZ_.has_dyn_sized_stack, 0
	.set _ZN7rocprim17ROCPRIM_400000_NS6detail17trampoline_kernelINS0_13select_configILj256ELj13ELNS0_17block_load_methodE3ELS4_3ELS4_3ELNS0_20block_scan_algorithmE0ELj4294967295EEENS1_25partition_config_selectorILNS1_17partition_subalgoE3EjNS0_10empty_typeEbEEZZNS1_14partition_implILS8_3ELb0ES6_jNS0_17counting_iteratorIjlEEPS9_SE_NS0_5tupleIJPjSE_EEENSF_IJSE_SE_EEES9_SG_JZNS1_25segmented_radix_sort_implINS0_14default_configELb1EPK12hip_bfloat16PSL_PKlPlN2at6native12_GLOBAL__N_18offset_tEEE10hipError_tPvRmT1_PNSt15iterator_traitsISZ_E10value_typeET2_T3_PNS10_IS15_E10value_typeET4_jRbjT5_S1B_jjP12ihipStream_tbEUljE_EEESW_SX_SY_S15_S19_S1B_T6_T7_T9_mT8_S1D_bDpT10_ENKUlT_T0_E_clISt17integral_constantIbLb1EES1Q_EEDaS1L_S1M_EUlS1L_E_NS1_11comp_targetILNS1_3genE4ELNS1_11target_archE910ELNS1_3gpuE8ELNS1_3repE0EEENS1_30default_config_static_selectorELNS0_4arch9wavefront6targetE0EEEvSZ_.has_recursion, 0
	.set _ZN7rocprim17ROCPRIM_400000_NS6detail17trampoline_kernelINS0_13select_configILj256ELj13ELNS0_17block_load_methodE3ELS4_3ELS4_3ELNS0_20block_scan_algorithmE0ELj4294967295EEENS1_25partition_config_selectorILNS1_17partition_subalgoE3EjNS0_10empty_typeEbEEZZNS1_14partition_implILS8_3ELb0ES6_jNS0_17counting_iteratorIjlEEPS9_SE_NS0_5tupleIJPjSE_EEENSF_IJSE_SE_EEES9_SG_JZNS1_25segmented_radix_sort_implINS0_14default_configELb1EPK12hip_bfloat16PSL_PKlPlN2at6native12_GLOBAL__N_18offset_tEEE10hipError_tPvRmT1_PNSt15iterator_traitsISZ_E10value_typeET2_T3_PNS10_IS15_E10value_typeET4_jRbjT5_S1B_jjP12ihipStream_tbEUljE_EEESW_SX_SY_S15_S19_S1B_T6_T7_T9_mT8_S1D_bDpT10_ENKUlT_T0_E_clISt17integral_constantIbLb1EES1Q_EEDaS1L_S1M_EUlS1L_E_NS1_11comp_targetILNS1_3genE4ELNS1_11target_archE910ELNS1_3gpuE8ELNS1_3repE0EEENS1_30default_config_static_selectorELNS0_4arch9wavefront6targetE0EEEvSZ_.has_indirect_call, 0
	.section	.AMDGPU.csdata,"",@progbits
; Kernel info:
; codeLenInByte = 0
; TotalNumSgprs: 0
; NumVgprs: 0
; ScratchSize: 0
; MemoryBound: 0
; FloatMode: 240
; IeeeMode: 1
; LDSByteSize: 0 bytes/workgroup (compile time only)
; SGPRBlocks: 0
; VGPRBlocks: 0
; NumSGPRsForWavesPerEU: 1
; NumVGPRsForWavesPerEU: 1
; Occupancy: 16
; WaveLimiterHint : 0
; COMPUTE_PGM_RSRC2:SCRATCH_EN: 0
; COMPUTE_PGM_RSRC2:USER_SGPR: 6
; COMPUTE_PGM_RSRC2:TRAP_HANDLER: 0
; COMPUTE_PGM_RSRC2:TGID_X_EN: 1
; COMPUTE_PGM_RSRC2:TGID_Y_EN: 0
; COMPUTE_PGM_RSRC2:TGID_Z_EN: 0
; COMPUTE_PGM_RSRC2:TIDIG_COMP_CNT: 0
	.section	.text._ZN7rocprim17ROCPRIM_400000_NS6detail17trampoline_kernelINS0_13select_configILj256ELj13ELNS0_17block_load_methodE3ELS4_3ELS4_3ELNS0_20block_scan_algorithmE0ELj4294967295EEENS1_25partition_config_selectorILNS1_17partition_subalgoE3EjNS0_10empty_typeEbEEZZNS1_14partition_implILS8_3ELb0ES6_jNS0_17counting_iteratorIjlEEPS9_SE_NS0_5tupleIJPjSE_EEENSF_IJSE_SE_EEES9_SG_JZNS1_25segmented_radix_sort_implINS0_14default_configELb1EPK12hip_bfloat16PSL_PKlPlN2at6native12_GLOBAL__N_18offset_tEEE10hipError_tPvRmT1_PNSt15iterator_traitsISZ_E10value_typeET2_T3_PNS10_IS15_E10value_typeET4_jRbjT5_S1B_jjP12ihipStream_tbEUljE_EEESW_SX_SY_S15_S19_S1B_T6_T7_T9_mT8_S1D_bDpT10_ENKUlT_T0_E_clISt17integral_constantIbLb1EES1Q_EEDaS1L_S1M_EUlS1L_E_NS1_11comp_targetILNS1_3genE3ELNS1_11target_archE908ELNS1_3gpuE7ELNS1_3repE0EEENS1_30default_config_static_selectorELNS0_4arch9wavefront6targetE0EEEvSZ_,"axG",@progbits,_ZN7rocprim17ROCPRIM_400000_NS6detail17trampoline_kernelINS0_13select_configILj256ELj13ELNS0_17block_load_methodE3ELS4_3ELS4_3ELNS0_20block_scan_algorithmE0ELj4294967295EEENS1_25partition_config_selectorILNS1_17partition_subalgoE3EjNS0_10empty_typeEbEEZZNS1_14partition_implILS8_3ELb0ES6_jNS0_17counting_iteratorIjlEEPS9_SE_NS0_5tupleIJPjSE_EEENSF_IJSE_SE_EEES9_SG_JZNS1_25segmented_radix_sort_implINS0_14default_configELb1EPK12hip_bfloat16PSL_PKlPlN2at6native12_GLOBAL__N_18offset_tEEE10hipError_tPvRmT1_PNSt15iterator_traitsISZ_E10value_typeET2_T3_PNS10_IS15_E10value_typeET4_jRbjT5_S1B_jjP12ihipStream_tbEUljE_EEESW_SX_SY_S15_S19_S1B_T6_T7_T9_mT8_S1D_bDpT10_ENKUlT_T0_E_clISt17integral_constantIbLb1EES1Q_EEDaS1L_S1M_EUlS1L_E_NS1_11comp_targetILNS1_3genE3ELNS1_11target_archE908ELNS1_3gpuE7ELNS1_3repE0EEENS1_30default_config_static_selectorELNS0_4arch9wavefront6targetE0EEEvSZ_,comdat
	.globl	_ZN7rocprim17ROCPRIM_400000_NS6detail17trampoline_kernelINS0_13select_configILj256ELj13ELNS0_17block_load_methodE3ELS4_3ELS4_3ELNS0_20block_scan_algorithmE0ELj4294967295EEENS1_25partition_config_selectorILNS1_17partition_subalgoE3EjNS0_10empty_typeEbEEZZNS1_14partition_implILS8_3ELb0ES6_jNS0_17counting_iteratorIjlEEPS9_SE_NS0_5tupleIJPjSE_EEENSF_IJSE_SE_EEES9_SG_JZNS1_25segmented_radix_sort_implINS0_14default_configELb1EPK12hip_bfloat16PSL_PKlPlN2at6native12_GLOBAL__N_18offset_tEEE10hipError_tPvRmT1_PNSt15iterator_traitsISZ_E10value_typeET2_T3_PNS10_IS15_E10value_typeET4_jRbjT5_S1B_jjP12ihipStream_tbEUljE_EEESW_SX_SY_S15_S19_S1B_T6_T7_T9_mT8_S1D_bDpT10_ENKUlT_T0_E_clISt17integral_constantIbLb1EES1Q_EEDaS1L_S1M_EUlS1L_E_NS1_11comp_targetILNS1_3genE3ELNS1_11target_archE908ELNS1_3gpuE7ELNS1_3repE0EEENS1_30default_config_static_selectorELNS0_4arch9wavefront6targetE0EEEvSZ_ ; -- Begin function _ZN7rocprim17ROCPRIM_400000_NS6detail17trampoline_kernelINS0_13select_configILj256ELj13ELNS0_17block_load_methodE3ELS4_3ELS4_3ELNS0_20block_scan_algorithmE0ELj4294967295EEENS1_25partition_config_selectorILNS1_17partition_subalgoE3EjNS0_10empty_typeEbEEZZNS1_14partition_implILS8_3ELb0ES6_jNS0_17counting_iteratorIjlEEPS9_SE_NS0_5tupleIJPjSE_EEENSF_IJSE_SE_EEES9_SG_JZNS1_25segmented_radix_sort_implINS0_14default_configELb1EPK12hip_bfloat16PSL_PKlPlN2at6native12_GLOBAL__N_18offset_tEEE10hipError_tPvRmT1_PNSt15iterator_traitsISZ_E10value_typeET2_T3_PNS10_IS15_E10value_typeET4_jRbjT5_S1B_jjP12ihipStream_tbEUljE_EEESW_SX_SY_S15_S19_S1B_T6_T7_T9_mT8_S1D_bDpT10_ENKUlT_T0_E_clISt17integral_constantIbLb1EES1Q_EEDaS1L_S1M_EUlS1L_E_NS1_11comp_targetILNS1_3genE3ELNS1_11target_archE908ELNS1_3gpuE7ELNS1_3repE0EEENS1_30default_config_static_selectorELNS0_4arch9wavefront6targetE0EEEvSZ_
	.p2align	8
	.type	_ZN7rocprim17ROCPRIM_400000_NS6detail17trampoline_kernelINS0_13select_configILj256ELj13ELNS0_17block_load_methodE3ELS4_3ELS4_3ELNS0_20block_scan_algorithmE0ELj4294967295EEENS1_25partition_config_selectorILNS1_17partition_subalgoE3EjNS0_10empty_typeEbEEZZNS1_14partition_implILS8_3ELb0ES6_jNS0_17counting_iteratorIjlEEPS9_SE_NS0_5tupleIJPjSE_EEENSF_IJSE_SE_EEES9_SG_JZNS1_25segmented_radix_sort_implINS0_14default_configELb1EPK12hip_bfloat16PSL_PKlPlN2at6native12_GLOBAL__N_18offset_tEEE10hipError_tPvRmT1_PNSt15iterator_traitsISZ_E10value_typeET2_T3_PNS10_IS15_E10value_typeET4_jRbjT5_S1B_jjP12ihipStream_tbEUljE_EEESW_SX_SY_S15_S19_S1B_T6_T7_T9_mT8_S1D_bDpT10_ENKUlT_T0_E_clISt17integral_constantIbLb1EES1Q_EEDaS1L_S1M_EUlS1L_E_NS1_11comp_targetILNS1_3genE3ELNS1_11target_archE908ELNS1_3gpuE7ELNS1_3repE0EEENS1_30default_config_static_selectorELNS0_4arch9wavefront6targetE0EEEvSZ_,@function
_ZN7rocprim17ROCPRIM_400000_NS6detail17trampoline_kernelINS0_13select_configILj256ELj13ELNS0_17block_load_methodE3ELS4_3ELS4_3ELNS0_20block_scan_algorithmE0ELj4294967295EEENS1_25partition_config_selectorILNS1_17partition_subalgoE3EjNS0_10empty_typeEbEEZZNS1_14partition_implILS8_3ELb0ES6_jNS0_17counting_iteratorIjlEEPS9_SE_NS0_5tupleIJPjSE_EEENSF_IJSE_SE_EEES9_SG_JZNS1_25segmented_radix_sort_implINS0_14default_configELb1EPK12hip_bfloat16PSL_PKlPlN2at6native12_GLOBAL__N_18offset_tEEE10hipError_tPvRmT1_PNSt15iterator_traitsISZ_E10value_typeET2_T3_PNS10_IS15_E10value_typeET4_jRbjT5_S1B_jjP12ihipStream_tbEUljE_EEESW_SX_SY_S15_S19_S1B_T6_T7_T9_mT8_S1D_bDpT10_ENKUlT_T0_E_clISt17integral_constantIbLb1EES1Q_EEDaS1L_S1M_EUlS1L_E_NS1_11comp_targetILNS1_3genE3ELNS1_11target_archE908ELNS1_3gpuE7ELNS1_3repE0EEENS1_30default_config_static_selectorELNS0_4arch9wavefront6targetE0EEEvSZ_: ; @_ZN7rocprim17ROCPRIM_400000_NS6detail17trampoline_kernelINS0_13select_configILj256ELj13ELNS0_17block_load_methodE3ELS4_3ELS4_3ELNS0_20block_scan_algorithmE0ELj4294967295EEENS1_25partition_config_selectorILNS1_17partition_subalgoE3EjNS0_10empty_typeEbEEZZNS1_14partition_implILS8_3ELb0ES6_jNS0_17counting_iteratorIjlEEPS9_SE_NS0_5tupleIJPjSE_EEENSF_IJSE_SE_EEES9_SG_JZNS1_25segmented_radix_sort_implINS0_14default_configELb1EPK12hip_bfloat16PSL_PKlPlN2at6native12_GLOBAL__N_18offset_tEEE10hipError_tPvRmT1_PNSt15iterator_traitsISZ_E10value_typeET2_T3_PNS10_IS15_E10value_typeET4_jRbjT5_S1B_jjP12ihipStream_tbEUljE_EEESW_SX_SY_S15_S19_S1B_T6_T7_T9_mT8_S1D_bDpT10_ENKUlT_T0_E_clISt17integral_constantIbLb1EES1Q_EEDaS1L_S1M_EUlS1L_E_NS1_11comp_targetILNS1_3genE3ELNS1_11target_archE908ELNS1_3gpuE7ELNS1_3repE0EEENS1_30default_config_static_selectorELNS0_4arch9wavefront6targetE0EEEvSZ_
; %bb.0:
	.section	.rodata,"a",@progbits
	.p2align	6, 0x0
	.amdhsa_kernel _ZN7rocprim17ROCPRIM_400000_NS6detail17trampoline_kernelINS0_13select_configILj256ELj13ELNS0_17block_load_methodE3ELS4_3ELS4_3ELNS0_20block_scan_algorithmE0ELj4294967295EEENS1_25partition_config_selectorILNS1_17partition_subalgoE3EjNS0_10empty_typeEbEEZZNS1_14partition_implILS8_3ELb0ES6_jNS0_17counting_iteratorIjlEEPS9_SE_NS0_5tupleIJPjSE_EEENSF_IJSE_SE_EEES9_SG_JZNS1_25segmented_radix_sort_implINS0_14default_configELb1EPK12hip_bfloat16PSL_PKlPlN2at6native12_GLOBAL__N_18offset_tEEE10hipError_tPvRmT1_PNSt15iterator_traitsISZ_E10value_typeET2_T3_PNS10_IS15_E10value_typeET4_jRbjT5_S1B_jjP12ihipStream_tbEUljE_EEESW_SX_SY_S15_S19_S1B_T6_T7_T9_mT8_S1D_bDpT10_ENKUlT_T0_E_clISt17integral_constantIbLb1EES1Q_EEDaS1L_S1M_EUlS1L_E_NS1_11comp_targetILNS1_3genE3ELNS1_11target_archE908ELNS1_3gpuE7ELNS1_3repE0EEENS1_30default_config_static_selectorELNS0_4arch9wavefront6targetE0EEEvSZ_
		.amdhsa_group_segment_fixed_size 0
		.amdhsa_private_segment_fixed_size 0
		.amdhsa_kernarg_size 152
		.amdhsa_user_sgpr_count 6
		.amdhsa_user_sgpr_private_segment_buffer 1
		.amdhsa_user_sgpr_dispatch_ptr 0
		.amdhsa_user_sgpr_queue_ptr 0
		.amdhsa_user_sgpr_kernarg_segment_ptr 1
		.amdhsa_user_sgpr_dispatch_id 0
		.amdhsa_user_sgpr_flat_scratch_init 0
		.amdhsa_user_sgpr_private_segment_size 0
		.amdhsa_wavefront_size32 1
		.amdhsa_uses_dynamic_stack 0
		.amdhsa_system_sgpr_private_segment_wavefront_offset 0
		.amdhsa_system_sgpr_workgroup_id_x 1
		.amdhsa_system_sgpr_workgroup_id_y 0
		.amdhsa_system_sgpr_workgroup_id_z 0
		.amdhsa_system_sgpr_workgroup_info 0
		.amdhsa_system_vgpr_workitem_id 0
		.amdhsa_next_free_vgpr 1
		.amdhsa_next_free_sgpr 1
		.amdhsa_reserve_vcc 0
		.amdhsa_reserve_flat_scratch 0
		.amdhsa_float_round_mode_32 0
		.amdhsa_float_round_mode_16_64 0
		.amdhsa_float_denorm_mode_32 3
		.amdhsa_float_denorm_mode_16_64 3
		.amdhsa_dx10_clamp 1
		.amdhsa_ieee_mode 1
		.amdhsa_fp16_overflow 0
		.amdhsa_workgroup_processor_mode 1
		.amdhsa_memory_ordered 1
		.amdhsa_forward_progress 1
		.amdhsa_shared_vgpr_count 0
		.amdhsa_exception_fp_ieee_invalid_op 0
		.amdhsa_exception_fp_denorm_src 0
		.amdhsa_exception_fp_ieee_div_zero 0
		.amdhsa_exception_fp_ieee_overflow 0
		.amdhsa_exception_fp_ieee_underflow 0
		.amdhsa_exception_fp_ieee_inexact 0
		.amdhsa_exception_int_div_zero 0
	.end_amdhsa_kernel
	.section	.text._ZN7rocprim17ROCPRIM_400000_NS6detail17trampoline_kernelINS0_13select_configILj256ELj13ELNS0_17block_load_methodE3ELS4_3ELS4_3ELNS0_20block_scan_algorithmE0ELj4294967295EEENS1_25partition_config_selectorILNS1_17partition_subalgoE3EjNS0_10empty_typeEbEEZZNS1_14partition_implILS8_3ELb0ES6_jNS0_17counting_iteratorIjlEEPS9_SE_NS0_5tupleIJPjSE_EEENSF_IJSE_SE_EEES9_SG_JZNS1_25segmented_radix_sort_implINS0_14default_configELb1EPK12hip_bfloat16PSL_PKlPlN2at6native12_GLOBAL__N_18offset_tEEE10hipError_tPvRmT1_PNSt15iterator_traitsISZ_E10value_typeET2_T3_PNS10_IS15_E10value_typeET4_jRbjT5_S1B_jjP12ihipStream_tbEUljE_EEESW_SX_SY_S15_S19_S1B_T6_T7_T9_mT8_S1D_bDpT10_ENKUlT_T0_E_clISt17integral_constantIbLb1EES1Q_EEDaS1L_S1M_EUlS1L_E_NS1_11comp_targetILNS1_3genE3ELNS1_11target_archE908ELNS1_3gpuE7ELNS1_3repE0EEENS1_30default_config_static_selectorELNS0_4arch9wavefront6targetE0EEEvSZ_,"axG",@progbits,_ZN7rocprim17ROCPRIM_400000_NS6detail17trampoline_kernelINS0_13select_configILj256ELj13ELNS0_17block_load_methodE3ELS4_3ELS4_3ELNS0_20block_scan_algorithmE0ELj4294967295EEENS1_25partition_config_selectorILNS1_17partition_subalgoE3EjNS0_10empty_typeEbEEZZNS1_14partition_implILS8_3ELb0ES6_jNS0_17counting_iteratorIjlEEPS9_SE_NS0_5tupleIJPjSE_EEENSF_IJSE_SE_EEES9_SG_JZNS1_25segmented_radix_sort_implINS0_14default_configELb1EPK12hip_bfloat16PSL_PKlPlN2at6native12_GLOBAL__N_18offset_tEEE10hipError_tPvRmT1_PNSt15iterator_traitsISZ_E10value_typeET2_T3_PNS10_IS15_E10value_typeET4_jRbjT5_S1B_jjP12ihipStream_tbEUljE_EEESW_SX_SY_S15_S19_S1B_T6_T7_T9_mT8_S1D_bDpT10_ENKUlT_T0_E_clISt17integral_constantIbLb1EES1Q_EEDaS1L_S1M_EUlS1L_E_NS1_11comp_targetILNS1_3genE3ELNS1_11target_archE908ELNS1_3gpuE7ELNS1_3repE0EEENS1_30default_config_static_selectorELNS0_4arch9wavefront6targetE0EEEvSZ_,comdat
.Lfunc_end1915:
	.size	_ZN7rocprim17ROCPRIM_400000_NS6detail17trampoline_kernelINS0_13select_configILj256ELj13ELNS0_17block_load_methodE3ELS4_3ELS4_3ELNS0_20block_scan_algorithmE0ELj4294967295EEENS1_25partition_config_selectorILNS1_17partition_subalgoE3EjNS0_10empty_typeEbEEZZNS1_14partition_implILS8_3ELb0ES6_jNS0_17counting_iteratorIjlEEPS9_SE_NS0_5tupleIJPjSE_EEENSF_IJSE_SE_EEES9_SG_JZNS1_25segmented_radix_sort_implINS0_14default_configELb1EPK12hip_bfloat16PSL_PKlPlN2at6native12_GLOBAL__N_18offset_tEEE10hipError_tPvRmT1_PNSt15iterator_traitsISZ_E10value_typeET2_T3_PNS10_IS15_E10value_typeET4_jRbjT5_S1B_jjP12ihipStream_tbEUljE_EEESW_SX_SY_S15_S19_S1B_T6_T7_T9_mT8_S1D_bDpT10_ENKUlT_T0_E_clISt17integral_constantIbLb1EES1Q_EEDaS1L_S1M_EUlS1L_E_NS1_11comp_targetILNS1_3genE3ELNS1_11target_archE908ELNS1_3gpuE7ELNS1_3repE0EEENS1_30default_config_static_selectorELNS0_4arch9wavefront6targetE0EEEvSZ_, .Lfunc_end1915-_ZN7rocprim17ROCPRIM_400000_NS6detail17trampoline_kernelINS0_13select_configILj256ELj13ELNS0_17block_load_methodE3ELS4_3ELS4_3ELNS0_20block_scan_algorithmE0ELj4294967295EEENS1_25partition_config_selectorILNS1_17partition_subalgoE3EjNS0_10empty_typeEbEEZZNS1_14partition_implILS8_3ELb0ES6_jNS0_17counting_iteratorIjlEEPS9_SE_NS0_5tupleIJPjSE_EEENSF_IJSE_SE_EEES9_SG_JZNS1_25segmented_radix_sort_implINS0_14default_configELb1EPK12hip_bfloat16PSL_PKlPlN2at6native12_GLOBAL__N_18offset_tEEE10hipError_tPvRmT1_PNSt15iterator_traitsISZ_E10value_typeET2_T3_PNS10_IS15_E10value_typeET4_jRbjT5_S1B_jjP12ihipStream_tbEUljE_EEESW_SX_SY_S15_S19_S1B_T6_T7_T9_mT8_S1D_bDpT10_ENKUlT_T0_E_clISt17integral_constantIbLb1EES1Q_EEDaS1L_S1M_EUlS1L_E_NS1_11comp_targetILNS1_3genE3ELNS1_11target_archE908ELNS1_3gpuE7ELNS1_3repE0EEENS1_30default_config_static_selectorELNS0_4arch9wavefront6targetE0EEEvSZ_
                                        ; -- End function
	.set _ZN7rocprim17ROCPRIM_400000_NS6detail17trampoline_kernelINS0_13select_configILj256ELj13ELNS0_17block_load_methodE3ELS4_3ELS4_3ELNS0_20block_scan_algorithmE0ELj4294967295EEENS1_25partition_config_selectorILNS1_17partition_subalgoE3EjNS0_10empty_typeEbEEZZNS1_14partition_implILS8_3ELb0ES6_jNS0_17counting_iteratorIjlEEPS9_SE_NS0_5tupleIJPjSE_EEENSF_IJSE_SE_EEES9_SG_JZNS1_25segmented_radix_sort_implINS0_14default_configELb1EPK12hip_bfloat16PSL_PKlPlN2at6native12_GLOBAL__N_18offset_tEEE10hipError_tPvRmT1_PNSt15iterator_traitsISZ_E10value_typeET2_T3_PNS10_IS15_E10value_typeET4_jRbjT5_S1B_jjP12ihipStream_tbEUljE_EEESW_SX_SY_S15_S19_S1B_T6_T7_T9_mT8_S1D_bDpT10_ENKUlT_T0_E_clISt17integral_constantIbLb1EES1Q_EEDaS1L_S1M_EUlS1L_E_NS1_11comp_targetILNS1_3genE3ELNS1_11target_archE908ELNS1_3gpuE7ELNS1_3repE0EEENS1_30default_config_static_selectorELNS0_4arch9wavefront6targetE0EEEvSZ_.num_vgpr, 0
	.set _ZN7rocprim17ROCPRIM_400000_NS6detail17trampoline_kernelINS0_13select_configILj256ELj13ELNS0_17block_load_methodE3ELS4_3ELS4_3ELNS0_20block_scan_algorithmE0ELj4294967295EEENS1_25partition_config_selectorILNS1_17partition_subalgoE3EjNS0_10empty_typeEbEEZZNS1_14partition_implILS8_3ELb0ES6_jNS0_17counting_iteratorIjlEEPS9_SE_NS0_5tupleIJPjSE_EEENSF_IJSE_SE_EEES9_SG_JZNS1_25segmented_radix_sort_implINS0_14default_configELb1EPK12hip_bfloat16PSL_PKlPlN2at6native12_GLOBAL__N_18offset_tEEE10hipError_tPvRmT1_PNSt15iterator_traitsISZ_E10value_typeET2_T3_PNS10_IS15_E10value_typeET4_jRbjT5_S1B_jjP12ihipStream_tbEUljE_EEESW_SX_SY_S15_S19_S1B_T6_T7_T9_mT8_S1D_bDpT10_ENKUlT_T0_E_clISt17integral_constantIbLb1EES1Q_EEDaS1L_S1M_EUlS1L_E_NS1_11comp_targetILNS1_3genE3ELNS1_11target_archE908ELNS1_3gpuE7ELNS1_3repE0EEENS1_30default_config_static_selectorELNS0_4arch9wavefront6targetE0EEEvSZ_.num_agpr, 0
	.set _ZN7rocprim17ROCPRIM_400000_NS6detail17trampoline_kernelINS0_13select_configILj256ELj13ELNS0_17block_load_methodE3ELS4_3ELS4_3ELNS0_20block_scan_algorithmE0ELj4294967295EEENS1_25partition_config_selectorILNS1_17partition_subalgoE3EjNS0_10empty_typeEbEEZZNS1_14partition_implILS8_3ELb0ES6_jNS0_17counting_iteratorIjlEEPS9_SE_NS0_5tupleIJPjSE_EEENSF_IJSE_SE_EEES9_SG_JZNS1_25segmented_radix_sort_implINS0_14default_configELb1EPK12hip_bfloat16PSL_PKlPlN2at6native12_GLOBAL__N_18offset_tEEE10hipError_tPvRmT1_PNSt15iterator_traitsISZ_E10value_typeET2_T3_PNS10_IS15_E10value_typeET4_jRbjT5_S1B_jjP12ihipStream_tbEUljE_EEESW_SX_SY_S15_S19_S1B_T6_T7_T9_mT8_S1D_bDpT10_ENKUlT_T0_E_clISt17integral_constantIbLb1EES1Q_EEDaS1L_S1M_EUlS1L_E_NS1_11comp_targetILNS1_3genE3ELNS1_11target_archE908ELNS1_3gpuE7ELNS1_3repE0EEENS1_30default_config_static_selectorELNS0_4arch9wavefront6targetE0EEEvSZ_.numbered_sgpr, 0
	.set _ZN7rocprim17ROCPRIM_400000_NS6detail17trampoline_kernelINS0_13select_configILj256ELj13ELNS0_17block_load_methodE3ELS4_3ELS4_3ELNS0_20block_scan_algorithmE0ELj4294967295EEENS1_25partition_config_selectorILNS1_17partition_subalgoE3EjNS0_10empty_typeEbEEZZNS1_14partition_implILS8_3ELb0ES6_jNS0_17counting_iteratorIjlEEPS9_SE_NS0_5tupleIJPjSE_EEENSF_IJSE_SE_EEES9_SG_JZNS1_25segmented_radix_sort_implINS0_14default_configELb1EPK12hip_bfloat16PSL_PKlPlN2at6native12_GLOBAL__N_18offset_tEEE10hipError_tPvRmT1_PNSt15iterator_traitsISZ_E10value_typeET2_T3_PNS10_IS15_E10value_typeET4_jRbjT5_S1B_jjP12ihipStream_tbEUljE_EEESW_SX_SY_S15_S19_S1B_T6_T7_T9_mT8_S1D_bDpT10_ENKUlT_T0_E_clISt17integral_constantIbLb1EES1Q_EEDaS1L_S1M_EUlS1L_E_NS1_11comp_targetILNS1_3genE3ELNS1_11target_archE908ELNS1_3gpuE7ELNS1_3repE0EEENS1_30default_config_static_selectorELNS0_4arch9wavefront6targetE0EEEvSZ_.num_named_barrier, 0
	.set _ZN7rocprim17ROCPRIM_400000_NS6detail17trampoline_kernelINS0_13select_configILj256ELj13ELNS0_17block_load_methodE3ELS4_3ELS4_3ELNS0_20block_scan_algorithmE0ELj4294967295EEENS1_25partition_config_selectorILNS1_17partition_subalgoE3EjNS0_10empty_typeEbEEZZNS1_14partition_implILS8_3ELb0ES6_jNS0_17counting_iteratorIjlEEPS9_SE_NS0_5tupleIJPjSE_EEENSF_IJSE_SE_EEES9_SG_JZNS1_25segmented_radix_sort_implINS0_14default_configELb1EPK12hip_bfloat16PSL_PKlPlN2at6native12_GLOBAL__N_18offset_tEEE10hipError_tPvRmT1_PNSt15iterator_traitsISZ_E10value_typeET2_T3_PNS10_IS15_E10value_typeET4_jRbjT5_S1B_jjP12ihipStream_tbEUljE_EEESW_SX_SY_S15_S19_S1B_T6_T7_T9_mT8_S1D_bDpT10_ENKUlT_T0_E_clISt17integral_constantIbLb1EES1Q_EEDaS1L_S1M_EUlS1L_E_NS1_11comp_targetILNS1_3genE3ELNS1_11target_archE908ELNS1_3gpuE7ELNS1_3repE0EEENS1_30default_config_static_selectorELNS0_4arch9wavefront6targetE0EEEvSZ_.private_seg_size, 0
	.set _ZN7rocprim17ROCPRIM_400000_NS6detail17trampoline_kernelINS0_13select_configILj256ELj13ELNS0_17block_load_methodE3ELS4_3ELS4_3ELNS0_20block_scan_algorithmE0ELj4294967295EEENS1_25partition_config_selectorILNS1_17partition_subalgoE3EjNS0_10empty_typeEbEEZZNS1_14partition_implILS8_3ELb0ES6_jNS0_17counting_iteratorIjlEEPS9_SE_NS0_5tupleIJPjSE_EEENSF_IJSE_SE_EEES9_SG_JZNS1_25segmented_radix_sort_implINS0_14default_configELb1EPK12hip_bfloat16PSL_PKlPlN2at6native12_GLOBAL__N_18offset_tEEE10hipError_tPvRmT1_PNSt15iterator_traitsISZ_E10value_typeET2_T3_PNS10_IS15_E10value_typeET4_jRbjT5_S1B_jjP12ihipStream_tbEUljE_EEESW_SX_SY_S15_S19_S1B_T6_T7_T9_mT8_S1D_bDpT10_ENKUlT_T0_E_clISt17integral_constantIbLb1EES1Q_EEDaS1L_S1M_EUlS1L_E_NS1_11comp_targetILNS1_3genE3ELNS1_11target_archE908ELNS1_3gpuE7ELNS1_3repE0EEENS1_30default_config_static_selectorELNS0_4arch9wavefront6targetE0EEEvSZ_.uses_vcc, 0
	.set _ZN7rocprim17ROCPRIM_400000_NS6detail17trampoline_kernelINS0_13select_configILj256ELj13ELNS0_17block_load_methodE3ELS4_3ELS4_3ELNS0_20block_scan_algorithmE0ELj4294967295EEENS1_25partition_config_selectorILNS1_17partition_subalgoE3EjNS0_10empty_typeEbEEZZNS1_14partition_implILS8_3ELb0ES6_jNS0_17counting_iteratorIjlEEPS9_SE_NS0_5tupleIJPjSE_EEENSF_IJSE_SE_EEES9_SG_JZNS1_25segmented_radix_sort_implINS0_14default_configELb1EPK12hip_bfloat16PSL_PKlPlN2at6native12_GLOBAL__N_18offset_tEEE10hipError_tPvRmT1_PNSt15iterator_traitsISZ_E10value_typeET2_T3_PNS10_IS15_E10value_typeET4_jRbjT5_S1B_jjP12ihipStream_tbEUljE_EEESW_SX_SY_S15_S19_S1B_T6_T7_T9_mT8_S1D_bDpT10_ENKUlT_T0_E_clISt17integral_constantIbLb1EES1Q_EEDaS1L_S1M_EUlS1L_E_NS1_11comp_targetILNS1_3genE3ELNS1_11target_archE908ELNS1_3gpuE7ELNS1_3repE0EEENS1_30default_config_static_selectorELNS0_4arch9wavefront6targetE0EEEvSZ_.uses_flat_scratch, 0
	.set _ZN7rocprim17ROCPRIM_400000_NS6detail17trampoline_kernelINS0_13select_configILj256ELj13ELNS0_17block_load_methodE3ELS4_3ELS4_3ELNS0_20block_scan_algorithmE0ELj4294967295EEENS1_25partition_config_selectorILNS1_17partition_subalgoE3EjNS0_10empty_typeEbEEZZNS1_14partition_implILS8_3ELb0ES6_jNS0_17counting_iteratorIjlEEPS9_SE_NS0_5tupleIJPjSE_EEENSF_IJSE_SE_EEES9_SG_JZNS1_25segmented_radix_sort_implINS0_14default_configELb1EPK12hip_bfloat16PSL_PKlPlN2at6native12_GLOBAL__N_18offset_tEEE10hipError_tPvRmT1_PNSt15iterator_traitsISZ_E10value_typeET2_T3_PNS10_IS15_E10value_typeET4_jRbjT5_S1B_jjP12ihipStream_tbEUljE_EEESW_SX_SY_S15_S19_S1B_T6_T7_T9_mT8_S1D_bDpT10_ENKUlT_T0_E_clISt17integral_constantIbLb1EES1Q_EEDaS1L_S1M_EUlS1L_E_NS1_11comp_targetILNS1_3genE3ELNS1_11target_archE908ELNS1_3gpuE7ELNS1_3repE0EEENS1_30default_config_static_selectorELNS0_4arch9wavefront6targetE0EEEvSZ_.has_dyn_sized_stack, 0
	.set _ZN7rocprim17ROCPRIM_400000_NS6detail17trampoline_kernelINS0_13select_configILj256ELj13ELNS0_17block_load_methodE3ELS4_3ELS4_3ELNS0_20block_scan_algorithmE0ELj4294967295EEENS1_25partition_config_selectorILNS1_17partition_subalgoE3EjNS0_10empty_typeEbEEZZNS1_14partition_implILS8_3ELb0ES6_jNS0_17counting_iteratorIjlEEPS9_SE_NS0_5tupleIJPjSE_EEENSF_IJSE_SE_EEES9_SG_JZNS1_25segmented_radix_sort_implINS0_14default_configELb1EPK12hip_bfloat16PSL_PKlPlN2at6native12_GLOBAL__N_18offset_tEEE10hipError_tPvRmT1_PNSt15iterator_traitsISZ_E10value_typeET2_T3_PNS10_IS15_E10value_typeET4_jRbjT5_S1B_jjP12ihipStream_tbEUljE_EEESW_SX_SY_S15_S19_S1B_T6_T7_T9_mT8_S1D_bDpT10_ENKUlT_T0_E_clISt17integral_constantIbLb1EES1Q_EEDaS1L_S1M_EUlS1L_E_NS1_11comp_targetILNS1_3genE3ELNS1_11target_archE908ELNS1_3gpuE7ELNS1_3repE0EEENS1_30default_config_static_selectorELNS0_4arch9wavefront6targetE0EEEvSZ_.has_recursion, 0
	.set _ZN7rocprim17ROCPRIM_400000_NS6detail17trampoline_kernelINS0_13select_configILj256ELj13ELNS0_17block_load_methodE3ELS4_3ELS4_3ELNS0_20block_scan_algorithmE0ELj4294967295EEENS1_25partition_config_selectorILNS1_17partition_subalgoE3EjNS0_10empty_typeEbEEZZNS1_14partition_implILS8_3ELb0ES6_jNS0_17counting_iteratorIjlEEPS9_SE_NS0_5tupleIJPjSE_EEENSF_IJSE_SE_EEES9_SG_JZNS1_25segmented_radix_sort_implINS0_14default_configELb1EPK12hip_bfloat16PSL_PKlPlN2at6native12_GLOBAL__N_18offset_tEEE10hipError_tPvRmT1_PNSt15iterator_traitsISZ_E10value_typeET2_T3_PNS10_IS15_E10value_typeET4_jRbjT5_S1B_jjP12ihipStream_tbEUljE_EEESW_SX_SY_S15_S19_S1B_T6_T7_T9_mT8_S1D_bDpT10_ENKUlT_T0_E_clISt17integral_constantIbLb1EES1Q_EEDaS1L_S1M_EUlS1L_E_NS1_11comp_targetILNS1_3genE3ELNS1_11target_archE908ELNS1_3gpuE7ELNS1_3repE0EEENS1_30default_config_static_selectorELNS0_4arch9wavefront6targetE0EEEvSZ_.has_indirect_call, 0
	.section	.AMDGPU.csdata,"",@progbits
; Kernel info:
; codeLenInByte = 0
; TotalNumSgprs: 0
; NumVgprs: 0
; ScratchSize: 0
; MemoryBound: 0
; FloatMode: 240
; IeeeMode: 1
; LDSByteSize: 0 bytes/workgroup (compile time only)
; SGPRBlocks: 0
; VGPRBlocks: 0
; NumSGPRsForWavesPerEU: 1
; NumVGPRsForWavesPerEU: 1
; Occupancy: 16
; WaveLimiterHint : 0
; COMPUTE_PGM_RSRC2:SCRATCH_EN: 0
; COMPUTE_PGM_RSRC2:USER_SGPR: 6
; COMPUTE_PGM_RSRC2:TRAP_HANDLER: 0
; COMPUTE_PGM_RSRC2:TGID_X_EN: 1
; COMPUTE_PGM_RSRC2:TGID_Y_EN: 0
; COMPUTE_PGM_RSRC2:TGID_Z_EN: 0
; COMPUTE_PGM_RSRC2:TIDIG_COMP_CNT: 0
	.section	.text._ZN7rocprim17ROCPRIM_400000_NS6detail17trampoline_kernelINS0_13select_configILj256ELj13ELNS0_17block_load_methodE3ELS4_3ELS4_3ELNS0_20block_scan_algorithmE0ELj4294967295EEENS1_25partition_config_selectorILNS1_17partition_subalgoE3EjNS0_10empty_typeEbEEZZNS1_14partition_implILS8_3ELb0ES6_jNS0_17counting_iteratorIjlEEPS9_SE_NS0_5tupleIJPjSE_EEENSF_IJSE_SE_EEES9_SG_JZNS1_25segmented_radix_sort_implINS0_14default_configELb1EPK12hip_bfloat16PSL_PKlPlN2at6native12_GLOBAL__N_18offset_tEEE10hipError_tPvRmT1_PNSt15iterator_traitsISZ_E10value_typeET2_T3_PNS10_IS15_E10value_typeET4_jRbjT5_S1B_jjP12ihipStream_tbEUljE_EEESW_SX_SY_S15_S19_S1B_T6_T7_T9_mT8_S1D_bDpT10_ENKUlT_T0_E_clISt17integral_constantIbLb1EES1Q_EEDaS1L_S1M_EUlS1L_E_NS1_11comp_targetILNS1_3genE2ELNS1_11target_archE906ELNS1_3gpuE6ELNS1_3repE0EEENS1_30default_config_static_selectorELNS0_4arch9wavefront6targetE0EEEvSZ_,"axG",@progbits,_ZN7rocprim17ROCPRIM_400000_NS6detail17trampoline_kernelINS0_13select_configILj256ELj13ELNS0_17block_load_methodE3ELS4_3ELS4_3ELNS0_20block_scan_algorithmE0ELj4294967295EEENS1_25partition_config_selectorILNS1_17partition_subalgoE3EjNS0_10empty_typeEbEEZZNS1_14partition_implILS8_3ELb0ES6_jNS0_17counting_iteratorIjlEEPS9_SE_NS0_5tupleIJPjSE_EEENSF_IJSE_SE_EEES9_SG_JZNS1_25segmented_radix_sort_implINS0_14default_configELb1EPK12hip_bfloat16PSL_PKlPlN2at6native12_GLOBAL__N_18offset_tEEE10hipError_tPvRmT1_PNSt15iterator_traitsISZ_E10value_typeET2_T3_PNS10_IS15_E10value_typeET4_jRbjT5_S1B_jjP12ihipStream_tbEUljE_EEESW_SX_SY_S15_S19_S1B_T6_T7_T9_mT8_S1D_bDpT10_ENKUlT_T0_E_clISt17integral_constantIbLb1EES1Q_EEDaS1L_S1M_EUlS1L_E_NS1_11comp_targetILNS1_3genE2ELNS1_11target_archE906ELNS1_3gpuE6ELNS1_3repE0EEENS1_30default_config_static_selectorELNS0_4arch9wavefront6targetE0EEEvSZ_,comdat
	.globl	_ZN7rocprim17ROCPRIM_400000_NS6detail17trampoline_kernelINS0_13select_configILj256ELj13ELNS0_17block_load_methodE3ELS4_3ELS4_3ELNS0_20block_scan_algorithmE0ELj4294967295EEENS1_25partition_config_selectorILNS1_17partition_subalgoE3EjNS0_10empty_typeEbEEZZNS1_14partition_implILS8_3ELb0ES6_jNS0_17counting_iteratorIjlEEPS9_SE_NS0_5tupleIJPjSE_EEENSF_IJSE_SE_EEES9_SG_JZNS1_25segmented_radix_sort_implINS0_14default_configELb1EPK12hip_bfloat16PSL_PKlPlN2at6native12_GLOBAL__N_18offset_tEEE10hipError_tPvRmT1_PNSt15iterator_traitsISZ_E10value_typeET2_T3_PNS10_IS15_E10value_typeET4_jRbjT5_S1B_jjP12ihipStream_tbEUljE_EEESW_SX_SY_S15_S19_S1B_T6_T7_T9_mT8_S1D_bDpT10_ENKUlT_T0_E_clISt17integral_constantIbLb1EES1Q_EEDaS1L_S1M_EUlS1L_E_NS1_11comp_targetILNS1_3genE2ELNS1_11target_archE906ELNS1_3gpuE6ELNS1_3repE0EEENS1_30default_config_static_selectorELNS0_4arch9wavefront6targetE0EEEvSZ_ ; -- Begin function _ZN7rocprim17ROCPRIM_400000_NS6detail17trampoline_kernelINS0_13select_configILj256ELj13ELNS0_17block_load_methodE3ELS4_3ELS4_3ELNS0_20block_scan_algorithmE0ELj4294967295EEENS1_25partition_config_selectorILNS1_17partition_subalgoE3EjNS0_10empty_typeEbEEZZNS1_14partition_implILS8_3ELb0ES6_jNS0_17counting_iteratorIjlEEPS9_SE_NS0_5tupleIJPjSE_EEENSF_IJSE_SE_EEES9_SG_JZNS1_25segmented_radix_sort_implINS0_14default_configELb1EPK12hip_bfloat16PSL_PKlPlN2at6native12_GLOBAL__N_18offset_tEEE10hipError_tPvRmT1_PNSt15iterator_traitsISZ_E10value_typeET2_T3_PNS10_IS15_E10value_typeET4_jRbjT5_S1B_jjP12ihipStream_tbEUljE_EEESW_SX_SY_S15_S19_S1B_T6_T7_T9_mT8_S1D_bDpT10_ENKUlT_T0_E_clISt17integral_constantIbLb1EES1Q_EEDaS1L_S1M_EUlS1L_E_NS1_11comp_targetILNS1_3genE2ELNS1_11target_archE906ELNS1_3gpuE6ELNS1_3repE0EEENS1_30default_config_static_selectorELNS0_4arch9wavefront6targetE0EEEvSZ_
	.p2align	8
	.type	_ZN7rocprim17ROCPRIM_400000_NS6detail17trampoline_kernelINS0_13select_configILj256ELj13ELNS0_17block_load_methodE3ELS4_3ELS4_3ELNS0_20block_scan_algorithmE0ELj4294967295EEENS1_25partition_config_selectorILNS1_17partition_subalgoE3EjNS0_10empty_typeEbEEZZNS1_14partition_implILS8_3ELb0ES6_jNS0_17counting_iteratorIjlEEPS9_SE_NS0_5tupleIJPjSE_EEENSF_IJSE_SE_EEES9_SG_JZNS1_25segmented_radix_sort_implINS0_14default_configELb1EPK12hip_bfloat16PSL_PKlPlN2at6native12_GLOBAL__N_18offset_tEEE10hipError_tPvRmT1_PNSt15iterator_traitsISZ_E10value_typeET2_T3_PNS10_IS15_E10value_typeET4_jRbjT5_S1B_jjP12ihipStream_tbEUljE_EEESW_SX_SY_S15_S19_S1B_T6_T7_T9_mT8_S1D_bDpT10_ENKUlT_T0_E_clISt17integral_constantIbLb1EES1Q_EEDaS1L_S1M_EUlS1L_E_NS1_11comp_targetILNS1_3genE2ELNS1_11target_archE906ELNS1_3gpuE6ELNS1_3repE0EEENS1_30default_config_static_selectorELNS0_4arch9wavefront6targetE0EEEvSZ_,@function
_ZN7rocprim17ROCPRIM_400000_NS6detail17trampoline_kernelINS0_13select_configILj256ELj13ELNS0_17block_load_methodE3ELS4_3ELS4_3ELNS0_20block_scan_algorithmE0ELj4294967295EEENS1_25partition_config_selectorILNS1_17partition_subalgoE3EjNS0_10empty_typeEbEEZZNS1_14partition_implILS8_3ELb0ES6_jNS0_17counting_iteratorIjlEEPS9_SE_NS0_5tupleIJPjSE_EEENSF_IJSE_SE_EEES9_SG_JZNS1_25segmented_radix_sort_implINS0_14default_configELb1EPK12hip_bfloat16PSL_PKlPlN2at6native12_GLOBAL__N_18offset_tEEE10hipError_tPvRmT1_PNSt15iterator_traitsISZ_E10value_typeET2_T3_PNS10_IS15_E10value_typeET4_jRbjT5_S1B_jjP12ihipStream_tbEUljE_EEESW_SX_SY_S15_S19_S1B_T6_T7_T9_mT8_S1D_bDpT10_ENKUlT_T0_E_clISt17integral_constantIbLb1EES1Q_EEDaS1L_S1M_EUlS1L_E_NS1_11comp_targetILNS1_3genE2ELNS1_11target_archE906ELNS1_3gpuE6ELNS1_3repE0EEENS1_30default_config_static_selectorELNS0_4arch9wavefront6targetE0EEEvSZ_: ; @_ZN7rocprim17ROCPRIM_400000_NS6detail17trampoline_kernelINS0_13select_configILj256ELj13ELNS0_17block_load_methodE3ELS4_3ELS4_3ELNS0_20block_scan_algorithmE0ELj4294967295EEENS1_25partition_config_selectorILNS1_17partition_subalgoE3EjNS0_10empty_typeEbEEZZNS1_14partition_implILS8_3ELb0ES6_jNS0_17counting_iteratorIjlEEPS9_SE_NS0_5tupleIJPjSE_EEENSF_IJSE_SE_EEES9_SG_JZNS1_25segmented_radix_sort_implINS0_14default_configELb1EPK12hip_bfloat16PSL_PKlPlN2at6native12_GLOBAL__N_18offset_tEEE10hipError_tPvRmT1_PNSt15iterator_traitsISZ_E10value_typeET2_T3_PNS10_IS15_E10value_typeET4_jRbjT5_S1B_jjP12ihipStream_tbEUljE_EEESW_SX_SY_S15_S19_S1B_T6_T7_T9_mT8_S1D_bDpT10_ENKUlT_T0_E_clISt17integral_constantIbLb1EES1Q_EEDaS1L_S1M_EUlS1L_E_NS1_11comp_targetILNS1_3genE2ELNS1_11target_archE906ELNS1_3gpuE6ELNS1_3repE0EEENS1_30default_config_static_selectorELNS0_4arch9wavefront6targetE0EEEvSZ_
; %bb.0:
	.section	.rodata,"a",@progbits
	.p2align	6, 0x0
	.amdhsa_kernel _ZN7rocprim17ROCPRIM_400000_NS6detail17trampoline_kernelINS0_13select_configILj256ELj13ELNS0_17block_load_methodE3ELS4_3ELS4_3ELNS0_20block_scan_algorithmE0ELj4294967295EEENS1_25partition_config_selectorILNS1_17partition_subalgoE3EjNS0_10empty_typeEbEEZZNS1_14partition_implILS8_3ELb0ES6_jNS0_17counting_iteratorIjlEEPS9_SE_NS0_5tupleIJPjSE_EEENSF_IJSE_SE_EEES9_SG_JZNS1_25segmented_radix_sort_implINS0_14default_configELb1EPK12hip_bfloat16PSL_PKlPlN2at6native12_GLOBAL__N_18offset_tEEE10hipError_tPvRmT1_PNSt15iterator_traitsISZ_E10value_typeET2_T3_PNS10_IS15_E10value_typeET4_jRbjT5_S1B_jjP12ihipStream_tbEUljE_EEESW_SX_SY_S15_S19_S1B_T6_T7_T9_mT8_S1D_bDpT10_ENKUlT_T0_E_clISt17integral_constantIbLb1EES1Q_EEDaS1L_S1M_EUlS1L_E_NS1_11comp_targetILNS1_3genE2ELNS1_11target_archE906ELNS1_3gpuE6ELNS1_3repE0EEENS1_30default_config_static_selectorELNS0_4arch9wavefront6targetE0EEEvSZ_
		.amdhsa_group_segment_fixed_size 0
		.amdhsa_private_segment_fixed_size 0
		.amdhsa_kernarg_size 152
		.amdhsa_user_sgpr_count 6
		.amdhsa_user_sgpr_private_segment_buffer 1
		.amdhsa_user_sgpr_dispatch_ptr 0
		.amdhsa_user_sgpr_queue_ptr 0
		.amdhsa_user_sgpr_kernarg_segment_ptr 1
		.amdhsa_user_sgpr_dispatch_id 0
		.amdhsa_user_sgpr_flat_scratch_init 0
		.amdhsa_user_sgpr_private_segment_size 0
		.amdhsa_wavefront_size32 1
		.amdhsa_uses_dynamic_stack 0
		.amdhsa_system_sgpr_private_segment_wavefront_offset 0
		.amdhsa_system_sgpr_workgroup_id_x 1
		.amdhsa_system_sgpr_workgroup_id_y 0
		.amdhsa_system_sgpr_workgroup_id_z 0
		.amdhsa_system_sgpr_workgroup_info 0
		.amdhsa_system_vgpr_workitem_id 0
		.amdhsa_next_free_vgpr 1
		.amdhsa_next_free_sgpr 1
		.amdhsa_reserve_vcc 0
		.amdhsa_reserve_flat_scratch 0
		.amdhsa_float_round_mode_32 0
		.amdhsa_float_round_mode_16_64 0
		.amdhsa_float_denorm_mode_32 3
		.amdhsa_float_denorm_mode_16_64 3
		.amdhsa_dx10_clamp 1
		.amdhsa_ieee_mode 1
		.amdhsa_fp16_overflow 0
		.amdhsa_workgroup_processor_mode 1
		.amdhsa_memory_ordered 1
		.amdhsa_forward_progress 1
		.amdhsa_shared_vgpr_count 0
		.amdhsa_exception_fp_ieee_invalid_op 0
		.amdhsa_exception_fp_denorm_src 0
		.amdhsa_exception_fp_ieee_div_zero 0
		.amdhsa_exception_fp_ieee_overflow 0
		.amdhsa_exception_fp_ieee_underflow 0
		.amdhsa_exception_fp_ieee_inexact 0
		.amdhsa_exception_int_div_zero 0
	.end_amdhsa_kernel
	.section	.text._ZN7rocprim17ROCPRIM_400000_NS6detail17trampoline_kernelINS0_13select_configILj256ELj13ELNS0_17block_load_methodE3ELS4_3ELS4_3ELNS0_20block_scan_algorithmE0ELj4294967295EEENS1_25partition_config_selectorILNS1_17partition_subalgoE3EjNS0_10empty_typeEbEEZZNS1_14partition_implILS8_3ELb0ES6_jNS0_17counting_iteratorIjlEEPS9_SE_NS0_5tupleIJPjSE_EEENSF_IJSE_SE_EEES9_SG_JZNS1_25segmented_radix_sort_implINS0_14default_configELb1EPK12hip_bfloat16PSL_PKlPlN2at6native12_GLOBAL__N_18offset_tEEE10hipError_tPvRmT1_PNSt15iterator_traitsISZ_E10value_typeET2_T3_PNS10_IS15_E10value_typeET4_jRbjT5_S1B_jjP12ihipStream_tbEUljE_EEESW_SX_SY_S15_S19_S1B_T6_T7_T9_mT8_S1D_bDpT10_ENKUlT_T0_E_clISt17integral_constantIbLb1EES1Q_EEDaS1L_S1M_EUlS1L_E_NS1_11comp_targetILNS1_3genE2ELNS1_11target_archE906ELNS1_3gpuE6ELNS1_3repE0EEENS1_30default_config_static_selectorELNS0_4arch9wavefront6targetE0EEEvSZ_,"axG",@progbits,_ZN7rocprim17ROCPRIM_400000_NS6detail17trampoline_kernelINS0_13select_configILj256ELj13ELNS0_17block_load_methodE3ELS4_3ELS4_3ELNS0_20block_scan_algorithmE0ELj4294967295EEENS1_25partition_config_selectorILNS1_17partition_subalgoE3EjNS0_10empty_typeEbEEZZNS1_14partition_implILS8_3ELb0ES6_jNS0_17counting_iteratorIjlEEPS9_SE_NS0_5tupleIJPjSE_EEENSF_IJSE_SE_EEES9_SG_JZNS1_25segmented_radix_sort_implINS0_14default_configELb1EPK12hip_bfloat16PSL_PKlPlN2at6native12_GLOBAL__N_18offset_tEEE10hipError_tPvRmT1_PNSt15iterator_traitsISZ_E10value_typeET2_T3_PNS10_IS15_E10value_typeET4_jRbjT5_S1B_jjP12ihipStream_tbEUljE_EEESW_SX_SY_S15_S19_S1B_T6_T7_T9_mT8_S1D_bDpT10_ENKUlT_T0_E_clISt17integral_constantIbLb1EES1Q_EEDaS1L_S1M_EUlS1L_E_NS1_11comp_targetILNS1_3genE2ELNS1_11target_archE906ELNS1_3gpuE6ELNS1_3repE0EEENS1_30default_config_static_selectorELNS0_4arch9wavefront6targetE0EEEvSZ_,comdat
.Lfunc_end1916:
	.size	_ZN7rocprim17ROCPRIM_400000_NS6detail17trampoline_kernelINS0_13select_configILj256ELj13ELNS0_17block_load_methodE3ELS4_3ELS4_3ELNS0_20block_scan_algorithmE0ELj4294967295EEENS1_25partition_config_selectorILNS1_17partition_subalgoE3EjNS0_10empty_typeEbEEZZNS1_14partition_implILS8_3ELb0ES6_jNS0_17counting_iteratorIjlEEPS9_SE_NS0_5tupleIJPjSE_EEENSF_IJSE_SE_EEES9_SG_JZNS1_25segmented_radix_sort_implINS0_14default_configELb1EPK12hip_bfloat16PSL_PKlPlN2at6native12_GLOBAL__N_18offset_tEEE10hipError_tPvRmT1_PNSt15iterator_traitsISZ_E10value_typeET2_T3_PNS10_IS15_E10value_typeET4_jRbjT5_S1B_jjP12ihipStream_tbEUljE_EEESW_SX_SY_S15_S19_S1B_T6_T7_T9_mT8_S1D_bDpT10_ENKUlT_T0_E_clISt17integral_constantIbLb1EES1Q_EEDaS1L_S1M_EUlS1L_E_NS1_11comp_targetILNS1_3genE2ELNS1_11target_archE906ELNS1_3gpuE6ELNS1_3repE0EEENS1_30default_config_static_selectorELNS0_4arch9wavefront6targetE0EEEvSZ_, .Lfunc_end1916-_ZN7rocprim17ROCPRIM_400000_NS6detail17trampoline_kernelINS0_13select_configILj256ELj13ELNS0_17block_load_methodE3ELS4_3ELS4_3ELNS0_20block_scan_algorithmE0ELj4294967295EEENS1_25partition_config_selectorILNS1_17partition_subalgoE3EjNS0_10empty_typeEbEEZZNS1_14partition_implILS8_3ELb0ES6_jNS0_17counting_iteratorIjlEEPS9_SE_NS0_5tupleIJPjSE_EEENSF_IJSE_SE_EEES9_SG_JZNS1_25segmented_radix_sort_implINS0_14default_configELb1EPK12hip_bfloat16PSL_PKlPlN2at6native12_GLOBAL__N_18offset_tEEE10hipError_tPvRmT1_PNSt15iterator_traitsISZ_E10value_typeET2_T3_PNS10_IS15_E10value_typeET4_jRbjT5_S1B_jjP12ihipStream_tbEUljE_EEESW_SX_SY_S15_S19_S1B_T6_T7_T9_mT8_S1D_bDpT10_ENKUlT_T0_E_clISt17integral_constantIbLb1EES1Q_EEDaS1L_S1M_EUlS1L_E_NS1_11comp_targetILNS1_3genE2ELNS1_11target_archE906ELNS1_3gpuE6ELNS1_3repE0EEENS1_30default_config_static_selectorELNS0_4arch9wavefront6targetE0EEEvSZ_
                                        ; -- End function
	.set _ZN7rocprim17ROCPRIM_400000_NS6detail17trampoline_kernelINS0_13select_configILj256ELj13ELNS0_17block_load_methodE3ELS4_3ELS4_3ELNS0_20block_scan_algorithmE0ELj4294967295EEENS1_25partition_config_selectorILNS1_17partition_subalgoE3EjNS0_10empty_typeEbEEZZNS1_14partition_implILS8_3ELb0ES6_jNS0_17counting_iteratorIjlEEPS9_SE_NS0_5tupleIJPjSE_EEENSF_IJSE_SE_EEES9_SG_JZNS1_25segmented_radix_sort_implINS0_14default_configELb1EPK12hip_bfloat16PSL_PKlPlN2at6native12_GLOBAL__N_18offset_tEEE10hipError_tPvRmT1_PNSt15iterator_traitsISZ_E10value_typeET2_T3_PNS10_IS15_E10value_typeET4_jRbjT5_S1B_jjP12ihipStream_tbEUljE_EEESW_SX_SY_S15_S19_S1B_T6_T7_T9_mT8_S1D_bDpT10_ENKUlT_T0_E_clISt17integral_constantIbLb1EES1Q_EEDaS1L_S1M_EUlS1L_E_NS1_11comp_targetILNS1_3genE2ELNS1_11target_archE906ELNS1_3gpuE6ELNS1_3repE0EEENS1_30default_config_static_selectorELNS0_4arch9wavefront6targetE0EEEvSZ_.num_vgpr, 0
	.set _ZN7rocprim17ROCPRIM_400000_NS6detail17trampoline_kernelINS0_13select_configILj256ELj13ELNS0_17block_load_methodE3ELS4_3ELS4_3ELNS0_20block_scan_algorithmE0ELj4294967295EEENS1_25partition_config_selectorILNS1_17partition_subalgoE3EjNS0_10empty_typeEbEEZZNS1_14partition_implILS8_3ELb0ES6_jNS0_17counting_iteratorIjlEEPS9_SE_NS0_5tupleIJPjSE_EEENSF_IJSE_SE_EEES9_SG_JZNS1_25segmented_radix_sort_implINS0_14default_configELb1EPK12hip_bfloat16PSL_PKlPlN2at6native12_GLOBAL__N_18offset_tEEE10hipError_tPvRmT1_PNSt15iterator_traitsISZ_E10value_typeET2_T3_PNS10_IS15_E10value_typeET4_jRbjT5_S1B_jjP12ihipStream_tbEUljE_EEESW_SX_SY_S15_S19_S1B_T6_T7_T9_mT8_S1D_bDpT10_ENKUlT_T0_E_clISt17integral_constantIbLb1EES1Q_EEDaS1L_S1M_EUlS1L_E_NS1_11comp_targetILNS1_3genE2ELNS1_11target_archE906ELNS1_3gpuE6ELNS1_3repE0EEENS1_30default_config_static_selectorELNS0_4arch9wavefront6targetE0EEEvSZ_.num_agpr, 0
	.set _ZN7rocprim17ROCPRIM_400000_NS6detail17trampoline_kernelINS0_13select_configILj256ELj13ELNS0_17block_load_methodE3ELS4_3ELS4_3ELNS0_20block_scan_algorithmE0ELj4294967295EEENS1_25partition_config_selectorILNS1_17partition_subalgoE3EjNS0_10empty_typeEbEEZZNS1_14partition_implILS8_3ELb0ES6_jNS0_17counting_iteratorIjlEEPS9_SE_NS0_5tupleIJPjSE_EEENSF_IJSE_SE_EEES9_SG_JZNS1_25segmented_radix_sort_implINS0_14default_configELb1EPK12hip_bfloat16PSL_PKlPlN2at6native12_GLOBAL__N_18offset_tEEE10hipError_tPvRmT1_PNSt15iterator_traitsISZ_E10value_typeET2_T3_PNS10_IS15_E10value_typeET4_jRbjT5_S1B_jjP12ihipStream_tbEUljE_EEESW_SX_SY_S15_S19_S1B_T6_T7_T9_mT8_S1D_bDpT10_ENKUlT_T0_E_clISt17integral_constantIbLb1EES1Q_EEDaS1L_S1M_EUlS1L_E_NS1_11comp_targetILNS1_3genE2ELNS1_11target_archE906ELNS1_3gpuE6ELNS1_3repE0EEENS1_30default_config_static_selectorELNS0_4arch9wavefront6targetE0EEEvSZ_.numbered_sgpr, 0
	.set _ZN7rocprim17ROCPRIM_400000_NS6detail17trampoline_kernelINS0_13select_configILj256ELj13ELNS0_17block_load_methodE3ELS4_3ELS4_3ELNS0_20block_scan_algorithmE0ELj4294967295EEENS1_25partition_config_selectorILNS1_17partition_subalgoE3EjNS0_10empty_typeEbEEZZNS1_14partition_implILS8_3ELb0ES6_jNS0_17counting_iteratorIjlEEPS9_SE_NS0_5tupleIJPjSE_EEENSF_IJSE_SE_EEES9_SG_JZNS1_25segmented_radix_sort_implINS0_14default_configELb1EPK12hip_bfloat16PSL_PKlPlN2at6native12_GLOBAL__N_18offset_tEEE10hipError_tPvRmT1_PNSt15iterator_traitsISZ_E10value_typeET2_T3_PNS10_IS15_E10value_typeET4_jRbjT5_S1B_jjP12ihipStream_tbEUljE_EEESW_SX_SY_S15_S19_S1B_T6_T7_T9_mT8_S1D_bDpT10_ENKUlT_T0_E_clISt17integral_constantIbLb1EES1Q_EEDaS1L_S1M_EUlS1L_E_NS1_11comp_targetILNS1_3genE2ELNS1_11target_archE906ELNS1_3gpuE6ELNS1_3repE0EEENS1_30default_config_static_selectorELNS0_4arch9wavefront6targetE0EEEvSZ_.num_named_barrier, 0
	.set _ZN7rocprim17ROCPRIM_400000_NS6detail17trampoline_kernelINS0_13select_configILj256ELj13ELNS0_17block_load_methodE3ELS4_3ELS4_3ELNS0_20block_scan_algorithmE0ELj4294967295EEENS1_25partition_config_selectorILNS1_17partition_subalgoE3EjNS0_10empty_typeEbEEZZNS1_14partition_implILS8_3ELb0ES6_jNS0_17counting_iteratorIjlEEPS9_SE_NS0_5tupleIJPjSE_EEENSF_IJSE_SE_EEES9_SG_JZNS1_25segmented_radix_sort_implINS0_14default_configELb1EPK12hip_bfloat16PSL_PKlPlN2at6native12_GLOBAL__N_18offset_tEEE10hipError_tPvRmT1_PNSt15iterator_traitsISZ_E10value_typeET2_T3_PNS10_IS15_E10value_typeET4_jRbjT5_S1B_jjP12ihipStream_tbEUljE_EEESW_SX_SY_S15_S19_S1B_T6_T7_T9_mT8_S1D_bDpT10_ENKUlT_T0_E_clISt17integral_constantIbLb1EES1Q_EEDaS1L_S1M_EUlS1L_E_NS1_11comp_targetILNS1_3genE2ELNS1_11target_archE906ELNS1_3gpuE6ELNS1_3repE0EEENS1_30default_config_static_selectorELNS0_4arch9wavefront6targetE0EEEvSZ_.private_seg_size, 0
	.set _ZN7rocprim17ROCPRIM_400000_NS6detail17trampoline_kernelINS0_13select_configILj256ELj13ELNS0_17block_load_methodE3ELS4_3ELS4_3ELNS0_20block_scan_algorithmE0ELj4294967295EEENS1_25partition_config_selectorILNS1_17partition_subalgoE3EjNS0_10empty_typeEbEEZZNS1_14partition_implILS8_3ELb0ES6_jNS0_17counting_iteratorIjlEEPS9_SE_NS0_5tupleIJPjSE_EEENSF_IJSE_SE_EEES9_SG_JZNS1_25segmented_radix_sort_implINS0_14default_configELb1EPK12hip_bfloat16PSL_PKlPlN2at6native12_GLOBAL__N_18offset_tEEE10hipError_tPvRmT1_PNSt15iterator_traitsISZ_E10value_typeET2_T3_PNS10_IS15_E10value_typeET4_jRbjT5_S1B_jjP12ihipStream_tbEUljE_EEESW_SX_SY_S15_S19_S1B_T6_T7_T9_mT8_S1D_bDpT10_ENKUlT_T0_E_clISt17integral_constantIbLb1EES1Q_EEDaS1L_S1M_EUlS1L_E_NS1_11comp_targetILNS1_3genE2ELNS1_11target_archE906ELNS1_3gpuE6ELNS1_3repE0EEENS1_30default_config_static_selectorELNS0_4arch9wavefront6targetE0EEEvSZ_.uses_vcc, 0
	.set _ZN7rocprim17ROCPRIM_400000_NS6detail17trampoline_kernelINS0_13select_configILj256ELj13ELNS0_17block_load_methodE3ELS4_3ELS4_3ELNS0_20block_scan_algorithmE0ELj4294967295EEENS1_25partition_config_selectorILNS1_17partition_subalgoE3EjNS0_10empty_typeEbEEZZNS1_14partition_implILS8_3ELb0ES6_jNS0_17counting_iteratorIjlEEPS9_SE_NS0_5tupleIJPjSE_EEENSF_IJSE_SE_EEES9_SG_JZNS1_25segmented_radix_sort_implINS0_14default_configELb1EPK12hip_bfloat16PSL_PKlPlN2at6native12_GLOBAL__N_18offset_tEEE10hipError_tPvRmT1_PNSt15iterator_traitsISZ_E10value_typeET2_T3_PNS10_IS15_E10value_typeET4_jRbjT5_S1B_jjP12ihipStream_tbEUljE_EEESW_SX_SY_S15_S19_S1B_T6_T7_T9_mT8_S1D_bDpT10_ENKUlT_T0_E_clISt17integral_constantIbLb1EES1Q_EEDaS1L_S1M_EUlS1L_E_NS1_11comp_targetILNS1_3genE2ELNS1_11target_archE906ELNS1_3gpuE6ELNS1_3repE0EEENS1_30default_config_static_selectorELNS0_4arch9wavefront6targetE0EEEvSZ_.uses_flat_scratch, 0
	.set _ZN7rocprim17ROCPRIM_400000_NS6detail17trampoline_kernelINS0_13select_configILj256ELj13ELNS0_17block_load_methodE3ELS4_3ELS4_3ELNS0_20block_scan_algorithmE0ELj4294967295EEENS1_25partition_config_selectorILNS1_17partition_subalgoE3EjNS0_10empty_typeEbEEZZNS1_14partition_implILS8_3ELb0ES6_jNS0_17counting_iteratorIjlEEPS9_SE_NS0_5tupleIJPjSE_EEENSF_IJSE_SE_EEES9_SG_JZNS1_25segmented_radix_sort_implINS0_14default_configELb1EPK12hip_bfloat16PSL_PKlPlN2at6native12_GLOBAL__N_18offset_tEEE10hipError_tPvRmT1_PNSt15iterator_traitsISZ_E10value_typeET2_T3_PNS10_IS15_E10value_typeET4_jRbjT5_S1B_jjP12ihipStream_tbEUljE_EEESW_SX_SY_S15_S19_S1B_T6_T7_T9_mT8_S1D_bDpT10_ENKUlT_T0_E_clISt17integral_constantIbLb1EES1Q_EEDaS1L_S1M_EUlS1L_E_NS1_11comp_targetILNS1_3genE2ELNS1_11target_archE906ELNS1_3gpuE6ELNS1_3repE0EEENS1_30default_config_static_selectorELNS0_4arch9wavefront6targetE0EEEvSZ_.has_dyn_sized_stack, 0
	.set _ZN7rocprim17ROCPRIM_400000_NS6detail17trampoline_kernelINS0_13select_configILj256ELj13ELNS0_17block_load_methodE3ELS4_3ELS4_3ELNS0_20block_scan_algorithmE0ELj4294967295EEENS1_25partition_config_selectorILNS1_17partition_subalgoE3EjNS0_10empty_typeEbEEZZNS1_14partition_implILS8_3ELb0ES6_jNS0_17counting_iteratorIjlEEPS9_SE_NS0_5tupleIJPjSE_EEENSF_IJSE_SE_EEES9_SG_JZNS1_25segmented_radix_sort_implINS0_14default_configELb1EPK12hip_bfloat16PSL_PKlPlN2at6native12_GLOBAL__N_18offset_tEEE10hipError_tPvRmT1_PNSt15iterator_traitsISZ_E10value_typeET2_T3_PNS10_IS15_E10value_typeET4_jRbjT5_S1B_jjP12ihipStream_tbEUljE_EEESW_SX_SY_S15_S19_S1B_T6_T7_T9_mT8_S1D_bDpT10_ENKUlT_T0_E_clISt17integral_constantIbLb1EES1Q_EEDaS1L_S1M_EUlS1L_E_NS1_11comp_targetILNS1_3genE2ELNS1_11target_archE906ELNS1_3gpuE6ELNS1_3repE0EEENS1_30default_config_static_selectorELNS0_4arch9wavefront6targetE0EEEvSZ_.has_recursion, 0
	.set _ZN7rocprim17ROCPRIM_400000_NS6detail17trampoline_kernelINS0_13select_configILj256ELj13ELNS0_17block_load_methodE3ELS4_3ELS4_3ELNS0_20block_scan_algorithmE0ELj4294967295EEENS1_25partition_config_selectorILNS1_17partition_subalgoE3EjNS0_10empty_typeEbEEZZNS1_14partition_implILS8_3ELb0ES6_jNS0_17counting_iteratorIjlEEPS9_SE_NS0_5tupleIJPjSE_EEENSF_IJSE_SE_EEES9_SG_JZNS1_25segmented_radix_sort_implINS0_14default_configELb1EPK12hip_bfloat16PSL_PKlPlN2at6native12_GLOBAL__N_18offset_tEEE10hipError_tPvRmT1_PNSt15iterator_traitsISZ_E10value_typeET2_T3_PNS10_IS15_E10value_typeET4_jRbjT5_S1B_jjP12ihipStream_tbEUljE_EEESW_SX_SY_S15_S19_S1B_T6_T7_T9_mT8_S1D_bDpT10_ENKUlT_T0_E_clISt17integral_constantIbLb1EES1Q_EEDaS1L_S1M_EUlS1L_E_NS1_11comp_targetILNS1_3genE2ELNS1_11target_archE906ELNS1_3gpuE6ELNS1_3repE0EEENS1_30default_config_static_selectorELNS0_4arch9wavefront6targetE0EEEvSZ_.has_indirect_call, 0
	.section	.AMDGPU.csdata,"",@progbits
; Kernel info:
; codeLenInByte = 0
; TotalNumSgprs: 0
; NumVgprs: 0
; ScratchSize: 0
; MemoryBound: 0
; FloatMode: 240
; IeeeMode: 1
; LDSByteSize: 0 bytes/workgroup (compile time only)
; SGPRBlocks: 0
; VGPRBlocks: 0
; NumSGPRsForWavesPerEU: 1
; NumVGPRsForWavesPerEU: 1
; Occupancy: 16
; WaveLimiterHint : 0
; COMPUTE_PGM_RSRC2:SCRATCH_EN: 0
; COMPUTE_PGM_RSRC2:USER_SGPR: 6
; COMPUTE_PGM_RSRC2:TRAP_HANDLER: 0
; COMPUTE_PGM_RSRC2:TGID_X_EN: 1
; COMPUTE_PGM_RSRC2:TGID_Y_EN: 0
; COMPUTE_PGM_RSRC2:TGID_Z_EN: 0
; COMPUTE_PGM_RSRC2:TIDIG_COMP_CNT: 0
	.section	.text._ZN7rocprim17ROCPRIM_400000_NS6detail17trampoline_kernelINS0_13select_configILj256ELj13ELNS0_17block_load_methodE3ELS4_3ELS4_3ELNS0_20block_scan_algorithmE0ELj4294967295EEENS1_25partition_config_selectorILNS1_17partition_subalgoE3EjNS0_10empty_typeEbEEZZNS1_14partition_implILS8_3ELb0ES6_jNS0_17counting_iteratorIjlEEPS9_SE_NS0_5tupleIJPjSE_EEENSF_IJSE_SE_EEES9_SG_JZNS1_25segmented_radix_sort_implINS0_14default_configELb1EPK12hip_bfloat16PSL_PKlPlN2at6native12_GLOBAL__N_18offset_tEEE10hipError_tPvRmT1_PNSt15iterator_traitsISZ_E10value_typeET2_T3_PNS10_IS15_E10value_typeET4_jRbjT5_S1B_jjP12ihipStream_tbEUljE_EEESW_SX_SY_S15_S19_S1B_T6_T7_T9_mT8_S1D_bDpT10_ENKUlT_T0_E_clISt17integral_constantIbLb1EES1Q_EEDaS1L_S1M_EUlS1L_E_NS1_11comp_targetILNS1_3genE10ELNS1_11target_archE1200ELNS1_3gpuE4ELNS1_3repE0EEENS1_30default_config_static_selectorELNS0_4arch9wavefront6targetE0EEEvSZ_,"axG",@progbits,_ZN7rocprim17ROCPRIM_400000_NS6detail17trampoline_kernelINS0_13select_configILj256ELj13ELNS0_17block_load_methodE3ELS4_3ELS4_3ELNS0_20block_scan_algorithmE0ELj4294967295EEENS1_25partition_config_selectorILNS1_17partition_subalgoE3EjNS0_10empty_typeEbEEZZNS1_14partition_implILS8_3ELb0ES6_jNS0_17counting_iteratorIjlEEPS9_SE_NS0_5tupleIJPjSE_EEENSF_IJSE_SE_EEES9_SG_JZNS1_25segmented_radix_sort_implINS0_14default_configELb1EPK12hip_bfloat16PSL_PKlPlN2at6native12_GLOBAL__N_18offset_tEEE10hipError_tPvRmT1_PNSt15iterator_traitsISZ_E10value_typeET2_T3_PNS10_IS15_E10value_typeET4_jRbjT5_S1B_jjP12ihipStream_tbEUljE_EEESW_SX_SY_S15_S19_S1B_T6_T7_T9_mT8_S1D_bDpT10_ENKUlT_T0_E_clISt17integral_constantIbLb1EES1Q_EEDaS1L_S1M_EUlS1L_E_NS1_11comp_targetILNS1_3genE10ELNS1_11target_archE1200ELNS1_3gpuE4ELNS1_3repE0EEENS1_30default_config_static_selectorELNS0_4arch9wavefront6targetE0EEEvSZ_,comdat
	.globl	_ZN7rocprim17ROCPRIM_400000_NS6detail17trampoline_kernelINS0_13select_configILj256ELj13ELNS0_17block_load_methodE3ELS4_3ELS4_3ELNS0_20block_scan_algorithmE0ELj4294967295EEENS1_25partition_config_selectorILNS1_17partition_subalgoE3EjNS0_10empty_typeEbEEZZNS1_14partition_implILS8_3ELb0ES6_jNS0_17counting_iteratorIjlEEPS9_SE_NS0_5tupleIJPjSE_EEENSF_IJSE_SE_EEES9_SG_JZNS1_25segmented_radix_sort_implINS0_14default_configELb1EPK12hip_bfloat16PSL_PKlPlN2at6native12_GLOBAL__N_18offset_tEEE10hipError_tPvRmT1_PNSt15iterator_traitsISZ_E10value_typeET2_T3_PNS10_IS15_E10value_typeET4_jRbjT5_S1B_jjP12ihipStream_tbEUljE_EEESW_SX_SY_S15_S19_S1B_T6_T7_T9_mT8_S1D_bDpT10_ENKUlT_T0_E_clISt17integral_constantIbLb1EES1Q_EEDaS1L_S1M_EUlS1L_E_NS1_11comp_targetILNS1_3genE10ELNS1_11target_archE1200ELNS1_3gpuE4ELNS1_3repE0EEENS1_30default_config_static_selectorELNS0_4arch9wavefront6targetE0EEEvSZ_ ; -- Begin function _ZN7rocprim17ROCPRIM_400000_NS6detail17trampoline_kernelINS0_13select_configILj256ELj13ELNS0_17block_load_methodE3ELS4_3ELS4_3ELNS0_20block_scan_algorithmE0ELj4294967295EEENS1_25partition_config_selectorILNS1_17partition_subalgoE3EjNS0_10empty_typeEbEEZZNS1_14partition_implILS8_3ELb0ES6_jNS0_17counting_iteratorIjlEEPS9_SE_NS0_5tupleIJPjSE_EEENSF_IJSE_SE_EEES9_SG_JZNS1_25segmented_radix_sort_implINS0_14default_configELb1EPK12hip_bfloat16PSL_PKlPlN2at6native12_GLOBAL__N_18offset_tEEE10hipError_tPvRmT1_PNSt15iterator_traitsISZ_E10value_typeET2_T3_PNS10_IS15_E10value_typeET4_jRbjT5_S1B_jjP12ihipStream_tbEUljE_EEESW_SX_SY_S15_S19_S1B_T6_T7_T9_mT8_S1D_bDpT10_ENKUlT_T0_E_clISt17integral_constantIbLb1EES1Q_EEDaS1L_S1M_EUlS1L_E_NS1_11comp_targetILNS1_3genE10ELNS1_11target_archE1200ELNS1_3gpuE4ELNS1_3repE0EEENS1_30default_config_static_selectorELNS0_4arch9wavefront6targetE0EEEvSZ_
	.p2align	8
	.type	_ZN7rocprim17ROCPRIM_400000_NS6detail17trampoline_kernelINS0_13select_configILj256ELj13ELNS0_17block_load_methodE3ELS4_3ELS4_3ELNS0_20block_scan_algorithmE0ELj4294967295EEENS1_25partition_config_selectorILNS1_17partition_subalgoE3EjNS0_10empty_typeEbEEZZNS1_14partition_implILS8_3ELb0ES6_jNS0_17counting_iteratorIjlEEPS9_SE_NS0_5tupleIJPjSE_EEENSF_IJSE_SE_EEES9_SG_JZNS1_25segmented_radix_sort_implINS0_14default_configELb1EPK12hip_bfloat16PSL_PKlPlN2at6native12_GLOBAL__N_18offset_tEEE10hipError_tPvRmT1_PNSt15iterator_traitsISZ_E10value_typeET2_T3_PNS10_IS15_E10value_typeET4_jRbjT5_S1B_jjP12ihipStream_tbEUljE_EEESW_SX_SY_S15_S19_S1B_T6_T7_T9_mT8_S1D_bDpT10_ENKUlT_T0_E_clISt17integral_constantIbLb1EES1Q_EEDaS1L_S1M_EUlS1L_E_NS1_11comp_targetILNS1_3genE10ELNS1_11target_archE1200ELNS1_3gpuE4ELNS1_3repE0EEENS1_30default_config_static_selectorELNS0_4arch9wavefront6targetE0EEEvSZ_,@function
_ZN7rocprim17ROCPRIM_400000_NS6detail17trampoline_kernelINS0_13select_configILj256ELj13ELNS0_17block_load_methodE3ELS4_3ELS4_3ELNS0_20block_scan_algorithmE0ELj4294967295EEENS1_25partition_config_selectorILNS1_17partition_subalgoE3EjNS0_10empty_typeEbEEZZNS1_14partition_implILS8_3ELb0ES6_jNS0_17counting_iteratorIjlEEPS9_SE_NS0_5tupleIJPjSE_EEENSF_IJSE_SE_EEES9_SG_JZNS1_25segmented_radix_sort_implINS0_14default_configELb1EPK12hip_bfloat16PSL_PKlPlN2at6native12_GLOBAL__N_18offset_tEEE10hipError_tPvRmT1_PNSt15iterator_traitsISZ_E10value_typeET2_T3_PNS10_IS15_E10value_typeET4_jRbjT5_S1B_jjP12ihipStream_tbEUljE_EEESW_SX_SY_S15_S19_S1B_T6_T7_T9_mT8_S1D_bDpT10_ENKUlT_T0_E_clISt17integral_constantIbLb1EES1Q_EEDaS1L_S1M_EUlS1L_E_NS1_11comp_targetILNS1_3genE10ELNS1_11target_archE1200ELNS1_3gpuE4ELNS1_3repE0EEENS1_30default_config_static_selectorELNS0_4arch9wavefront6targetE0EEEvSZ_: ; @_ZN7rocprim17ROCPRIM_400000_NS6detail17trampoline_kernelINS0_13select_configILj256ELj13ELNS0_17block_load_methodE3ELS4_3ELS4_3ELNS0_20block_scan_algorithmE0ELj4294967295EEENS1_25partition_config_selectorILNS1_17partition_subalgoE3EjNS0_10empty_typeEbEEZZNS1_14partition_implILS8_3ELb0ES6_jNS0_17counting_iteratorIjlEEPS9_SE_NS0_5tupleIJPjSE_EEENSF_IJSE_SE_EEES9_SG_JZNS1_25segmented_radix_sort_implINS0_14default_configELb1EPK12hip_bfloat16PSL_PKlPlN2at6native12_GLOBAL__N_18offset_tEEE10hipError_tPvRmT1_PNSt15iterator_traitsISZ_E10value_typeET2_T3_PNS10_IS15_E10value_typeET4_jRbjT5_S1B_jjP12ihipStream_tbEUljE_EEESW_SX_SY_S15_S19_S1B_T6_T7_T9_mT8_S1D_bDpT10_ENKUlT_T0_E_clISt17integral_constantIbLb1EES1Q_EEDaS1L_S1M_EUlS1L_E_NS1_11comp_targetILNS1_3genE10ELNS1_11target_archE1200ELNS1_3gpuE4ELNS1_3repE0EEENS1_30default_config_static_selectorELNS0_4arch9wavefront6targetE0EEEvSZ_
; %bb.0:
	.section	.rodata,"a",@progbits
	.p2align	6, 0x0
	.amdhsa_kernel _ZN7rocprim17ROCPRIM_400000_NS6detail17trampoline_kernelINS0_13select_configILj256ELj13ELNS0_17block_load_methodE3ELS4_3ELS4_3ELNS0_20block_scan_algorithmE0ELj4294967295EEENS1_25partition_config_selectorILNS1_17partition_subalgoE3EjNS0_10empty_typeEbEEZZNS1_14partition_implILS8_3ELb0ES6_jNS0_17counting_iteratorIjlEEPS9_SE_NS0_5tupleIJPjSE_EEENSF_IJSE_SE_EEES9_SG_JZNS1_25segmented_radix_sort_implINS0_14default_configELb1EPK12hip_bfloat16PSL_PKlPlN2at6native12_GLOBAL__N_18offset_tEEE10hipError_tPvRmT1_PNSt15iterator_traitsISZ_E10value_typeET2_T3_PNS10_IS15_E10value_typeET4_jRbjT5_S1B_jjP12ihipStream_tbEUljE_EEESW_SX_SY_S15_S19_S1B_T6_T7_T9_mT8_S1D_bDpT10_ENKUlT_T0_E_clISt17integral_constantIbLb1EES1Q_EEDaS1L_S1M_EUlS1L_E_NS1_11comp_targetILNS1_3genE10ELNS1_11target_archE1200ELNS1_3gpuE4ELNS1_3repE0EEENS1_30default_config_static_selectorELNS0_4arch9wavefront6targetE0EEEvSZ_
		.amdhsa_group_segment_fixed_size 0
		.amdhsa_private_segment_fixed_size 0
		.amdhsa_kernarg_size 152
		.amdhsa_user_sgpr_count 6
		.amdhsa_user_sgpr_private_segment_buffer 1
		.amdhsa_user_sgpr_dispatch_ptr 0
		.amdhsa_user_sgpr_queue_ptr 0
		.amdhsa_user_sgpr_kernarg_segment_ptr 1
		.amdhsa_user_sgpr_dispatch_id 0
		.amdhsa_user_sgpr_flat_scratch_init 0
		.amdhsa_user_sgpr_private_segment_size 0
		.amdhsa_wavefront_size32 1
		.amdhsa_uses_dynamic_stack 0
		.amdhsa_system_sgpr_private_segment_wavefront_offset 0
		.amdhsa_system_sgpr_workgroup_id_x 1
		.amdhsa_system_sgpr_workgroup_id_y 0
		.amdhsa_system_sgpr_workgroup_id_z 0
		.amdhsa_system_sgpr_workgroup_info 0
		.amdhsa_system_vgpr_workitem_id 0
		.amdhsa_next_free_vgpr 1
		.amdhsa_next_free_sgpr 1
		.amdhsa_reserve_vcc 0
		.amdhsa_reserve_flat_scratch 0
		.amdhsa_float_round_mode_32 0
		.amdhsa_float_round_mode_16_64 0
		.amdhsa_float_denorm_mode_32 3
		.amdhsa_float_denorm_mode_16_64 3
		.amdhsa_dx10_clamp 1
		.amdhsa_ieee_mode 1
		.amdhsa_fp16_overflow 0
		.amdhsa_workgroup_processor_mode 1
		.amdhsa_memory_ordered 1
		.amdhsa_forward_progress 1
		.amdhsa_shared_vgpr_count 0
		.amdhsa_exception_fp_ieee_invalid_op 0
		.amdhsa_exception_fp_denorm_src 0
		.amdhsa_exception_fp_ieee_div_zero 0
		.amdhsa_exception_fp_ieee_overflow 0
		.amdhsa_exception_fp_ieee_underflow 0
		.amdhsa_exception_fp_ieee_inexact 0
		.amdhsa_exception_int_div_zero 0
	.end_amdhsa_kernel
	.section	.text._ZN7rocprim17ROCPRIM_400000_NS6detail17trampoline_kernelINS0_13select_configILj256ELj13ELNS0_17block_load_methodE3ELS4_3ELS4_3ELNS0_20block_scan_algorithmE0ELj4294967295EEENS1_25partition_config_selectorILNS1_17partition_subalgoE3EjNS0_10empty_typeEbEEZZNS1_14partition_implILS8_3ELb0ES6_jNS0_17counting_iteratorIjlEEPS9_SE_NS0_5tupleIJPjSE_EEENSF_IJSE_SE_EEES9_SG_JZNS1_25segmented_radix_sort_implINS0_14default_configELb1EPK12hip_bfloat16PSL_PKlPlN2at6native12_GLOBAL__N_18offset_tEEE10hipError_tPvRmT1_PNSt15iterator_traitsISZ_E10value_typeET2_T3_PNS10_IS15_E10value_typeET4_jRbjT5_S1B_jjP12ihipStream_tbEUljE_EEESW_SX_SY_S15_S19_S1B_T6_T7_T9_mT8_S1D_bDpT10_ENKUlT_T0_E_clISt17integral_constantIbLb1EES1Q_EEDaS1L_S1M_EUlS1L_E_NS1_11comp_targetILNS1_3genE10ELNS1_11target_archE1200ELNS1_3gpuE4ELNS1_3repE0EEENS1_30default_config_static_selectorELNS0_4arch9wavefront6targetE0EEEvSZ_,"axG",@progbits,_ZN7rocprim17ROCPRIM_400000_NS6detail17trampoline_kernelINS0_13select_configILj256ELj13ELNS0_17block_load_methodE3ELS4_3ELS4_3ELNS0_20block_scan_algorithmE0ELj4294967295EEENS1_25partition_config_selectorILNS1_17partition_subalgoE3EjNS0_10empty_typeEbEEZZNS1_14partition_implILS8_3ELb0ES6_jNS0_17counting_iteratorIjlEEPS9_SE_NS0_5tupleIJPjSE_EEENSF_IJSE_SE_EEES9_SG_JZNS1_25segmented_radix_sort_implINS0_14default_configELb1EPK12hip_bfloat16PSL_PKlPlN2at6native12_GLOBAL__N_18offset_tEEE10hipError_tPvRmT1_PNSt15iterator_traitsISZ_E10value_typeET2_T3_PNS10_IS15_E10value_typeET4_jRbjT5_S1B_jjP12ihipStream_tbEUljE_EEESW_SX_SY_S15_S19_S1B_T6_T7_T9_mT8_S1D_bDpT10_ENKUlT_T0_E_clISt17integral_constantIbLb1EES1Q_EEDaS1L_S1M_EUlS1L_E_NS1_11comp_targetILNS1_3genE10ELNS1_11target_archE1200ELNS1_3gpuE4ELNS1_3repE0EEENS1_30default_config_static_selectorELNS0_4arch9wavefront6targetE0EEEvSZ_,comdat
.Lfunc_end1917:
	.size	_ZN7rocprim17ROCPRIM_400000_NS6detail17trampoline_kernelINS0_13select_configILj256ELj13ELNS0_17block_load_methodE3ELS4_3ELS4_3ELNS0_20block_scan_algorithmE0ELj4294967295EEENS1_25partition_config_selectorILNS1_17partition_subalgoE3EjNS0_10empty_typeEbEEZZNS1_14partition_implILS8_3ELb0ES6_jNS0_17counting_iteratorIjlEEPS9_SE_NS0_5tupleIJPjSE_EEENSF_IJSE_SE_EEES9_SG_JZNS1_25segmented_radix_sort_implINS0_14default_configELb1EPK12hip_bfloat16PSL_PKlPlN2at6native12_GLOBAL__N_18offset_tEEE10hipError_tPvRmT1_PNSt15iterator_traitsISZ_E10value_typeET2_T3_PNS10_IS15_E10value_typeET4_jRbjT5_S1B_jjP12ihipStream_tbEUljE_EEESW_SX_SY_S15_S19_S1B_T6_T7_T9_mT8_S1D_bDpT10_ENKUlT_T0_E_clISt17integral_constantIbLb1EES1Q_EEDaS1L_S1M_EUlS1L_E_NS1_11comp_targetILNS1_3genE10ELNS1_11target_archE1200ELNS1_3gpuE4ELNS1_3repE0EEENS1_30default_config_static_selectorELNS0_4arch9wavefront6targetE0EEEvSZ_, .Lfunc_end1917-_ZN7rocprim17ROCPRIM_400000_NS6detail17trampoline_kernelINS0_13select_configILj256ELj13ELNS0_17block_load_methodE3ELS4_3ELS4_3ELNS0_20block_scan_algorithmE0ELj4294967295EEENS1_25partition_config_selectorILNS1_17partition_subalgoE3EjNS0_10empty_typeEbEEZZNS1_14partition_implILS8_3ELb0ES6_jNS0_17counting_iteratorIjlEEPS9_SE_NS0_5tupleIJPjSE_EEENSF_IJSE_SE_EEES9_SG_JZNS1_25segmented_radix_sort_implINS0_14default_configELb1EPK12hip_bfloat16PSL_PKlPlN2at6native12_GLOBAL__N_18offset_tEEE10hipError_tPvRmT1_PNSt15iterator_traitsISZ_E10value_typeET2_T3_PNS10_IS15_E10value_typeET4_jRbjT5_S1B_jjP12ihipStream_tbEUljE_EEESW_SX_SY_S15_S19_S1B_T6_T7_T9_mT8_S1D_bDpT10_ENKUlT_T0_E_clISt17integral_constantIbLb1EES1Q_EEDaS1L_S1M_EUlS1L_E_NS1_11comp_targetILNS1_3genE10ELNS1_11target_archE1200ELNS1_3gpuE4ELNS1_3repE0EEENS1_30default_config_static_selectorELNS0_4arch9wavefront6targetE0EEEvSZ_
                                        ; -- End function
	.set _ZN7rocprim17ROCPRIM_400000_NS6detail17trampoline_kernelINS0_13select_configILj256ELj13ELNS0_17block_load_methodE3ELS4_3ELS4_3ELNS0_20block_scan_algorithmE0ELj4294967295EEENS1_25partition_config_selectorILNS1_17partition_subalgoE3EjNS0_10empty_typeEbEEZZNS1_14partition_implILS8_3ELb0ES6_jNS0_17counting_iteratorIjlEEPS9_SE_NS0_5tupleIJPjSE_EEENSF_IJSE_SE_EEES9_SG_JZNS1_25segmented_radix_sort_implINS0_14default_configELb1EPK12hip_bfloat16PSL_PKlPlN2at6native12_GLOBAL__N_18offset_tEEE10hipError_tPvRmT1_PNSt15iterator_traitsISZ_E10value_typeET2_T3_PNS10_IS15_E10value_typeET4_jRbjT5_S1B_jjP12ihipStream_tbEUljE_EEESW_SX_SY_S15_S19_S1B_T6_T7_T9_mT8_S1D_bDpT10_ENKUlT_T0_E_clISt17integral_constantIbLb1EES1Q_EEDaS1L_S1M_EUlS1L_E_NS1_11comp_targetILNS1_3genE10ELNS1_11target_archE1200ELNS1_3gpuE4ELNS1_3repE0EEENS1_30default_config_static_selectorELNS0_4arch9wavefront6targetE0EEEvSZ_.num_vgpr, 0
	.set _ZN7rocprim17ROCPRIM_400000_NS6detail17trampoline_kernelINS0_13select_configILj256ELj13ELNS0_17block_load_methodE3ELS4_3ELS4_3ELNS0_20block_scan_algorithmE0ELj4294967295EEENS1_25partition_config_selectorILNS1_17partition_subalgoE3EjNS0_10empty_typeEbEEZZNS1_14partition_implILS8_3ELb0ES6_jNS0_17counting_iteratorIjlEEPS9_SE_NS0_5tupleIJPjSE_EEENSF_IJSE_SE_EEES9_SG_JZNS1_25segmented_radix_sort_implINS0_14default_configELb1EPK12hip_bfloat16PSL_PKlPlN2at6native12_GLOBAL__N_18offset_tEEE10hipError_tPvRmT1_PNSt15iterator_traitsISZ_E10value_typeET2_T3_PNS10_IS15_E10value_typeET4_jRbjT5_S1B_jjP12ihipStream_tbEUljE_EEESW_SX_SY_S15_S19_S1B_T6_T7_T9_mT8_S1D_bDpT10_ENKUlT_T0_E_clISt17integral_constantIbLb1EES1Q_EEDaS1L_S1M_EUlS1L_E_NS1_11comp_targetILNS1_3genE10ELNS1_11target_archE1200ELNS1_3gpuE4ELNS1_3repE0EEENS1_30default_config_static_selectorELNS0_4arch9wavefront6targetE0EEEvSZ_.num_agpr, 0
	.set _ZN7rocprim17ROCPRIM_400000_NS6detail17trampoline_kernelINS0_13select_configILj256ELj13ELNS0_17block_load_methodE3ELS4_3ELS4_3ELNS0_20block_scan_algorithmE0ELj4294967295EEENS1_25partition_config_selectorILNS1_17partition_subalgoE3EjNS0_10empty_typeEbEEZZNS1_14partition_implILS8_3ELb0ES6_jNS0_17counting_iteratorIjlEEPS9_SE_NS0_5tupleIJPjSE_EEENSF_IJSE_SE_EEES9_SG_JZNS1_25segmented_radix_sort_implINS0_14default_configELb1EPK12hip_bfloat16PSL_PKlPlN2at6native12_GLOBAL__N_18offset_tEEE10hipError_tPvRmT1_PNSt15iterator_traitsISZ_E10value_typeET2_T3_PNS10_IS15_E10value_typeET4_jRbjT5_S1B_jjP12ihipStream_tbEUljE_EEESW_SX_SY_S15_S19_S1B_T6_T7_T9_mT8_S1D_bDpT10_ENKUlT_T0_E_clISt17integral_constantIbLb1EES1Q_EEDaS1L_S1M_EUlS1L_E_NS1_11comp_targetILNS1_3genE10ELNS1_11target_archE1200ELNS1_3gpuE4ELNS1_3repE0EEENS1_30default_config_static_selectorELNS0_4arch9wavefront6targetE0EEEvSZ_.numbered_sgpr, 0
	.set _ZN7rocprim17ROCPRIM_400000_NS6detail17trampoline_kernelINS0_13select_configILj256ELj13ELNS0_17block_load_methodE3ELS4_3ELS4_3ELNS0_20block_scan_algorithmE0ELj4294967295EEENS1_25partition_config_selectorILNS1_17partition_subalgoE3EjNS0_10empty_typeEbEEZZNS1_14partition_implILS8_3ELb0ES6_jNS0_17counting_iteratorIjlEEPS9_SE_NS0_5tupleIJPjSE_EEENSF_IJSE_SE_EEES9_SG_JZNS1_25segmented_radix_sort_implINS0_14default_configELb1EPK12hip_bfloat16PSL_PKlPlN2at6native12_GLOBAL__N_18offset_tEEE10hipError_tPvRmT1_PNSt15iterator_traitsISZ_E10value_typeET2_T3_PNS10_IS15_E10value_typeET4_jRbjT5_S1B_jjP12ihipStream_tbEUljE_EEESW_SX_SY_S15_S19_S1B_T6_T7_T9_mT8_S1D_bDpT10_ENKUlT_T0_E_clISt17integral_constantIbLb1EES1Q_EEDaS1L_S1M_EUlS1L_E_NS1_11comp_targetILNS1_3genE10ELNS1_11target_archE1200ELNS1_3gpuE4ELNS1_3repE0EEENS1_30default_config_static_selectorELNS0_4arch9wavefront6targetE0EEEvSZ_.num_named_barrier, 0
	.set _ZN7rocprim17ROCPRIM_400000_NS6detail17trampoline_kernelINS0_13select_configILj256ELj13ELNS0_17block_load_methodE3ELS4_3ELS4_3ELNS0_20block_scan_algorithmE0ELj4294967295EEENS1_25partition_config_selectorILNS1_17partition_subalgoE3EjNS0_10empty_typeEbEEZZNS1_14partition_implILS8_3ELb0ES6_jNS0_17counting_iteratorIjlEEPS9_SE_NS0_5tupleIJPjSE_EEENSF_IJSE_SE_EEES9_SG_JZNS1_25segmented_radix_sort_implINS0_14default_configELb1EPK12hip_bfloat16PSL_PKlPlN2at6native12_GLOBAL__N_18offset_tEEE10hipError_tPvRmT1_PNSt15iterator_traitsISZ_E10value_typeET2_T3_PNS10_IS15_E10value_typeET4_jRbjT5_S1B_jjP12ihipStream_tbEUljE_EEESW_SX_SY_S15_S19_S1B_T6_T7_T9_mT8_S1D_bDpT10_ENKUlT_T0_E_clISt17integral_constantIbLb1EES1Q_EEDaS1L_S1M_EUlS1L_E_NS1_11comp_targetILNS1_3genE10ELNS1_11target_archE1200ELNS1_3gpuE4ELNS1_3repE0EEENS1_30default_config_static_selectorELNS0_4arch9wavefront6targetE0EEEvSZ_.private_seg_size, 0
	.set _ZN7rocprim17ROCPRIM_400000_NS6detail17trampoline_kernelINS0_13select_configILj256ELj13ELNS0_17block_load_methodE3ELS4_3ELS4_3ELNS0_20block_scan_algorithmE0ELj4294967295EEENS1_25partition_config_selectorILNS1_17partition_subalgoE3EjNS0_10empty_typeEbEEZZNS1_14partition_implILS8_3ELb0ES6_jNS0_17counting_iteratorIjlEEPS9_SE_NS0_5tupleIJPjSE_EEENSF_IJSE_SE_EEES9_SG_JZNS1_25segmented_radix_sort_implINS0_14default_configELb1EPK12hip_bfloat16PSL_PKlPlN2at6native12_GLOBAL__N_18offset_tEEE10hipError_tPvRmT1_PNSt15iterator_traitsISZ_E10value_typeET2_T3_PNS10_IS15_E10value_typeET4_jRbjT5_S1B_jjP12ihipStream_tbEUljE_EEESW_SX_SY_S15_S19_S1B_T6_T7_T9_mT8_S1D_bDpT10_ENKUlT_T0_E_clISt17integral_constantIbLb1EES1Q_EEDaS1L_S1M_EUlS1L_E_NS1_11comp_targetILNS1_3genE10ELNS1_11target_archE1200ELNS1_3gpuE4ELNS1_3repE0EEENS1_30default_config_static_selectorELNS0_4arch9wavefront6targetE0EEEvSZ_.uses_vcc, 0
	.set _ZN7rocprim17ROCPRIM_400000_NS6detail17trampoline_kernelINS0_13select_configILj256ELj13ELNS0_17block_load_methodE3ELS4_3ELS4_3ELNS0_20block_scan_algorithmE0ELj4294967295EEENS1_25partition_config_selectorILNS1_17partition_subalgoE3EjNS0_10empty_typeEbEEZZNS1_14partition_implILS8_3ELb0ES6_jNS0_17counting_iteratorIjlEEPS9_SE_NS0_5tupleIJPjSE_EEENSF_IJSE_SE_EEES9_SG_JZNS1_25segmented_radix_sort_implINS0_14default_configELb1EPK12hip_bfloat16PSL_PKlPlN2at6native12_GLOBAL__N_18offset_tEEE10hipError_tPvRmT1_PNSt15iterator_traitsISZ_E10value_typeET2_T3_PNS10_IS15_E10value_typeET4_jRbjT5_S1B_jjP12ihipStream_tbEUljE_EEESW_SX_SY_S15_S19_S1B_T6_T7_T9_mT8_S1D_bDpT10_ENKUlT_T0_E_clISt17integral_constantIbLb1EES1Q_EEDaS1L_S1M_EUlS1L_E_NS1_11comp_targetILNS1_3genE10ELNS1_11target_archE1200ELNS1_3gpuE4ELNS1_3repE0EEENS1_30default_config_static_selectorELNS0_4arch9wavefront6targetE0EEEvSZ_.uses_flat_scratch, 0
	.set _ZN7rocprim17ROCPRIM_400000_NS6detail17trampoline_kernelINS0_13select_configILj256ELj13ELNS0_17block_load_methodE3ELS4_3ELS4_3ELNS0_20block_scan_algorithmE0ELj4294967295EEENS1_25partition_config_selectorILNS1_17partition_subalgoE3EjNS0_10empty_typeEbEEZZNS1_14partition_implILS8_3ELb0ES6_jNS0_17counting_iteratorIjlEEPS9_SE_NS0_5tupleIJPjSE_EEENSF_IJSE_SE_EEES9_SG_JZNS1_25segmented_radix_sort_implINS0_14default_configELb1EPK12hip_bfloat16PSL_PKlPlN2at6native12_GLOBAL__N_18offset_tEEE10hipError_tPvRmT1_PNSt15iterator_traitsISZ_E10value_typeET2_T3_PNS10_IS15_E10value_typeET4_jRbjT5_S1B_jjP12ihipStream_tbEUljE_EEESW_SX_SY_S15_S19_S1B_T6_T7_T9_mT8_S1D_bDpT10_ENKUlT_T0_E_clISt17integral_constantIbLb1EES1Q_EEDaS1L_S1M_EUlS1L_E_NS1_11comp_targetILNS1_3genE10ELNS1_11target_archE1200ELNS1_3gpuE4ELNS1_3repE0EEENS1_30default_config_static_selectorELNS0_4arch9wavefront6targetE0EEEvSZ_.has_dyn_sized_stack, 0
	.set _ZN7rocprim17ROCPRIM_400000_NS6detail17trampoline_kernelINS0_13select_configILj256ELj13ELNS0_17block_load_methodE3ELS4_3ELS4_3ELNS0_20block_scan_algorithmE0ELj4294967295EEENS1_25partition_config_selectorILNS1_17partition_subalgoE3EjNS0_10empty_typeEbEEZZNS1_14partition_implILS8_3ELb0ES6_jNS0_17counting_iteratorIjlEEPS9_SE_NS0_5tupleIJPjSE_EEENSF_IJSE_SE_EEES9_SG_JZNS1_25segmented_radix_sort_implINS0_14default_configELb1EPK12hip_bfloat16PSL_PKlPlN2at6native12_GLOBAL__N_18offset_tEEE10hipError_tPvRmT1_PNSt15iterator_traitsISZ_E10value_typeET2_T3_PNS10_IS15_E10value_typeET4_jRbjT5_S1B_jjP12ihipStream_tbEUljE_EEESW_SX_SY_S15_S19_S1B_T6_T7_T9_mT8_S1D_bDpT10_ENKUlT_T0_E_clISt17integral_constantIbLb1EES1Q_EEDaS1L_S1M_EUlS1L_E_NS1_11comp_targetILNS1_3genE10ELNS1_11target_archE1200ELNS1_3gpuE4ELNS1_3repE0EEENS1_30default_config_static_selectorELNS0_4arch9wavefront6targetE0EEEvSZ_.has_recursion, 0
	.set _ZN7rocprim17ROCPRIM_400000_NS6detail17trampoline_kernelINS0_13select_configILj256ELj13ELNS0_17block_load_methodE3ELS4_3ELS4_3ELNS0_20block_scan_algorithmE0ELj4294967295EEENS1_25partition_config_selectorILNS1_17partition_subalgoE3EjNS0_10empty_typeEbEEZZNS1_14partition_implILS8_3ELb0ES6_jNS0_17counting_iteratorIjlEEPS9_SE_NS0_5tupleIJPjSE_EEENSF_IJSE_SE_EEES9_SG_JZNS1_25segmented_radix_sort_implINS0_14default_configELb1EPK12hip_bfloat16PSL_PKlPlN2at6native12_GLOBAL__N_18offset_tEEE10hipError_tPvRmT1_PNSt15iterator_traitsISZ_E10value_typeET2_T3_PNS10_IS15_E10value_typeET4_jRbjT5_S1B_jjP12ihipStream_tbEUljE_EEESW_SX_SY_S15_S19_S1B_T6_T7_T9_mT8_S1D_bDpT10_ENKUlT_T0_E_clISt17integral_constantIbLb1EES1Q_EEDaS1L_S1M_EUlS1L_E_NS1_11comp_targetILNS1_3genE10ELNS1_11target_archE1200ELNS1_3gpuE4ELNS1_3repE0EEENS1_30default_config_static_selectorELNS0_4arch9wavefront6targetE0EEEvSZ_.has_indirect_call, 0
	.section	.AMDGPU.csdata,"",@progbits
; Kernel info:
; codeLenInByte = 0
; TotalNumSgprs: 0
; NumVgprs: 0
; ScratchSize: 0
; MemoryBound: 0
; FloatMode: 240
; IeeeMode: 1
; LDSByteSize: 0 bytes/workgroup (compile time only)
; SGPRBlocks: 0
; VGPRBlocks: 0
; NumSGPRsForWavesPerEU: 1
; NumVGPRsForWavesPerEU: 1
; Occupancy: 16
; WaveLimiterHint : 0
; COMPUTE_PGM_RSRC2:SCRATCH_EN: 0
; COMPUTE_PGM_RSRC2:USER_SGPR: 6
; COMPUTE_PGM_RSRC2:TRAP_HANDLER: 0
; COMPUTE_PGM_RSRC2:TGID_X_EN: 1
; COMPUTE_PGM_RSRC2:TGID_Y_EN: 0
; COMPUTE_PGM_RSRC2:TGID_Z_EN: 0
; COMPUTE_PGM_RSRC2:TIDIG_COMP_CNT: 0
	.section	.text._ZN7rocprim17ROCPRIM_400000_NS6detail17trampoline_kernelINS0_13select_configILj256ELj13ELNS0_17block_load_methodE3ELS4_3ELS4_3ELNS0_20block_scan_algorithmE0ELj4294967295EEENS1_25partition_config_selectorILNS1_17partition_subalgoE3EjNS0_10empty_typeEbEEZZNS1_14partition_implILS8_3ELb0ES6_jNS0_17counting_iteratorIjlEEPS9_SE_NS0_5tupleIJPjSE_EEENSF_IJSE_SE_EEES9_SG_JZNS1_25segmented_radix_sort_implINS0_14default_configELb1EPK12hip_bfloat16PSL_PKlPlN2at6native12_GLOBAL__N_18offset_tEEE10hipError_tPvRmT1_PNSt15iterator_traitsISZ_E10value_typeET2_T3_PNS10_IS15_E10value_typeET4_jRbjT5_S1B_jjP12ihipStream_tbEUljE_EEESW_SX_SY_S15_S19_S1B_T6_T7_T9_mT8_S1D_bDpT10_ENKUlT_T0_E_clISt17integral_constantIbLb1EES1Q_EEDaS1L_S1M_EUlS1L_E_NS1_11comp_targetILNS1_3genE9ELNS1_11target_archE1100ELNS1_3gpuE3ELNS1_3repE0EEENS1_30default_config_static_selectorELNS0_4arch9wavefront6targetE0EEEvSZ_,"axG",@progbits,_ZN7rocprim17ROCPRIM_400000_NS6detail17trampoline_kernelINS0_13select_configILj256ELj13ELNS0_17block_load_methodE3ELS4_3ELS4_3ELNS0_20block_scan_algorithmE0ELj4294967295EEENS1_25partition_config_selectorILNS1_17partition_subalgoE3EjNS0_10empty_typeEbEEZZNS1_14partition_implILS8_3ELb0ES6_jNS0_17counting_iteratorIjlEEPS9_SE_NS0_5tupleIJPjSE_EEENSF_IJSE_SE_EEES9_SG_JZNS1_25segmented_radix_sort_implINS0_14default_configELb1EPK12hip_bfloat16PSL_PKlPlN2at6native12_GLOBAL__N_18offset_tEEE10hipError_tPvRmT1_PNSt15iterator_traitsISZ_E10value_typeET2_T3_PNS10_IS15_E10value_typeET4_jRbjT5_S1B_jjP12ihipStream_tbEUljE_EEESW_SX_SY_S15_S19_S1B_T6_T7_T9_mT8_S1D_bDpT10_ENKUlT_T0_E_clISt17integral_constantIbLb1EES1Q_EEDaS1L_S1M_EUlS1L_E_NS1_11comp_targetILNS1_3genE9ELNS1_11target_archE1100ELNS1_3gpuE3ELNS1_3repE0EEENS1_30default_config_static_selectorELNS0_4arch9wavefront6targetE0EEEvSZ_,comdat
	.globl	_ZN7rocprim17ROCPRIM_400000_NS6detail17trampoline_kernelINS0_13select_configILj256ELj13ELNS0_17block_load_methodE3ELS4_3ELS4_3ELNS0_20block_scan_algorithmE0ELj4294967295EEENS1_25partition_config_selectorILNS1_17partition_subalgoE3EjNS0_10empty_typeEbEEZZNS1_14partition_implILS8_3ELb0ES6_jNS0_17counting_iteratorIjlEEPS9_SE_NS0_5tupleIJPjSE_EEENSF_IJSE_SE_EEES9_SG_JZNS1_25segmented_radix_sort_implINS0_14default_configELb1EPK12hip_bfloat16PSL_PKlPlN2at6native12_GLOBAL__N_18offset_tEEE10hipError_tPvRmT1_PNSt15iterator_traitsISZ_E10value_typeET2_T3_PNS10_IS15_E10value_typeET4_jRbjT5_S1B_jjP12ihipStream_tbEUljE_EEESW_SX_SY_S15_S19_S1B_T6_T7_T9_mT8_S1D_bDpT10_ENKUlT_T0_E_clISt17integral_constantIbLb1EES1Q_EEDaS1L_S1M_EUlS1L_E_NS1_11comp_targetILNS1_3genE9ELNS1_11target_archE1100ELNS1_3gpuE3ELNS1_3repE0EEENS1_30default_config_static_selectorELNS0_4arch9wavefront6targetE0EEEvSZ_ ; -- Begin function _ZN7rocprim17ROCPRIM_400000_NS6detail17trampoline_kernelINS0_13select_configILj256ELj13ELNS0_17block_load_methodE3ELS4_3ELS4_3ELNS0_20block_scan_algorithmE0ELj4294967295EEENS1_25partition_config_selectorILNS1_17partition_subalgoE3EjNS0_10empty_typeEbEEZZNS1_14partition_implILS8_3ELb0ES6_jNS0_17counting_iteratorIjlEEPS9_SE_NS0_5tupleIJPjSE_EEENSF_IJSE_SE_EEES9_SG_JZNS1_25segmented_radix_sort_implINS0_14default_configELb1EPK12hip_bfloat16PSL_PKlPlN2at6native12_GLOBAL__N_18offset_tEEE10hipError_tPvRmT1_PNSt15iterator_traitsISZ_E10value_typeET2_T3_PNS10_IS15_E10value_typeET4_jRbjT5_S1B_jjP12ihipStream_tbEUljE_EEESW_SX_SY_S15_S19_S1B_T6_T7_T9_mT8_S1D_bDpT10_ENKUlT_T0_E_clISt17integral_constantIbLb1EES1Q_EEDaS1L_S1M_EUlS1L_E_NS1_11comp_targetILNS1_3genE9ELNS1_11target_archE1100ELNS1_3gpuE3ELNS1_3repE0EEENS1_30default_config_static_selectorELNS0_4arch9wavefront6targetE0EEEvSZ_
	.p2align	8
	.type	_ZN7rocprim17ROCPRIM_400000_NS6detail17trampoline_kernelINS0_13select_configILj256ELj13ELNS0_17block_load_methodE3ELS4_3ELS4_3ELNS0_20block_scan_algorithmE0ELj4294967295EEENS1_25partition_config_selectorILNS1_17partition_subalgoE3EjNS0_10empty_typeEbEEZZNS1_14partition_implILS8_3ELb0ES6_jNS0_17counting_iteratorIjlEEPS9_SE_NS0_5tupleIJPjSE_EEENSF_IJSE_SE_EEES9_SG_JZNS1_25segmented_radix_sort_implINS0_14default_configELb1EPK12hip_bfloat16PSL_PKlPlN2at6native12_GLOBAL__N_18offset_tEEE10hipError_tPvRmT1_PNSt15iterator_traitsISZ_E10value_typeET2_T3_PNS10_IS15_E10value_typeET4_jRbjT5_S1B_jjP12ihipStream_tbEUljE_EEESW_SX_SY_S15_S19_S1B_T6_T7_T9_mT8_S1D_bDpT10_ENKUlT_T0_E_clISt17integral_constantIbLb1EES1Q_EEDaS1L_S1M_EUlS1L_E_NS1_11comp_targetILNS1_3genE9ELNS1_11target_archE1100ELNS1_3gpuE3ELNS1_3repE0EEENS1_30default_config_static_selectorELNS0_4arch9wavefront6targetE0EEEvSZ_,@function
_ZN7rocprim17ROCPRIM_400000_NS6detail17trampoline_kernelINS0_13select_configILj256ELj13ELNS0_17block_load_methodE3ELS4_3ELS4_3ELNS0_20block_scan_algorithmE0ELj4294967295EEENS1_25partition_config_selectorILNS1_17partition_subalgoE3EjNS0_10empty_typeEbEEZZNS1_14partition_implILS8_3ELb0ES6_jNS0_17counting_iteratorIjlEEPS9_SE_NS0_5tupleIJPjSE_EEENSF_IJSE_SE_EEES9_SG_JZNS1_25segmented_radix_sort_implINS0_14default_configELb1EPK12hip_bfloat16PSL_PKlPlN2at6native12_GLOBAL__N_18offset_tEEE10hipError_tPvRmT1_PNSt15iterator_traitsISZ_E10value_typeET2_T3_PNS10_IS15_E10value_typeET4_jRbjT5_S1B_jjP12ihipStream_tbEUljE_EEESW_SX_SY_S15_S19_S1B_T6_T7_T9_mT8_S1D_bDpT10_ENKUlT_T0_E_clISt17integral_constantIbLb1EES1Q_EEDaS1L_S1M_EUlS1L_E_NS1_11comp_targetILNS1_3genE9ELNS1_11target_archE1100ELNS1_3gpuE3ELNS1_3repE0EEENS1_30default_config_static_selectorELNS0_4arch9wavefront6targetE0EEEvSZ_: ; @_ZN7rocprim17ROCPRIM_400000_NS6detail17trampoline_kernelINS0_13select_configILj256ELj13ELNS0_17block_load_methodE3ELS4_3ELS4_3ELNS0_20block_scan_algorithmE0ELj4294967295EEENS1_25partition_config_selectorILNS1_17partition_subalgoE3EjNS0_10empty_typeEbEEZZNS1_14partition_implILS8_3ELb0ES6_jNS0_17counting_iteratorIjlEEPS9_SE_NS0_5tupleIJPjSE_EEENSF_IJSE_SE_EEES9_SG_JZNS1_25segmented_radix_sort_implINS0_14default_configELb1EPK12hip_bfloat16PSL_PKlPlN2at6native12_GLOBAL__N_18offset_tEEE10hipError_tPvRmT1_PNSt15iterator_traitsISZ_E10value_typeET2_T3_PNS10_IS15_E10value_typeET4_jRbjT5_S1B_jjP12ihipStream_tbEUljE_EEESW_SX_SY_S15_S19_S1B_T6_T7_T9_mT8_S1D_bDpT10_ENKUlT_T0_E_clISt17integral_constantIbLb1EES1Q_EEDaS1L_S1M_EUlS1L_E_NS1_11comp_targetILNS1_3genE9ELNS1_11target_archE1100ELNS1_3gpuE3ELNS1_3repE0EEENS1_30default_config_static_selectorELNS0_4arch9wavefront6targetE0EEEvSZ_
; %bb.0:
	.section	.rodata,"a",@progbits
	.p2align	6, 0x0
	.amdhsa_kernel _ZN7rocprim17ROCPRIM_400000_NS6detail17trampoline_kernelINS0_13select_configILj256ELj13ELNS0_17block_load_methodE3ELS4_3ELS4_3ELNS0_20block_scan_algorithmE0ELj4294967295EEENS1_25partition_config_selectorILNS1_17partition_subalgoE3EjNS0_10empty_typeEbEEZZNS1_14partition_implILS8_3ELb0ES6_jNS0_17counting_iteratorIjlEEPS9_SE_NS0_5tupleIJPjSE_EEENSF_IJSE_SE_EEES9_SG_JZNS1_25segmented_radix_sort_implINS0_14default_configELb1EPK12hip_bfloat16PSL_PKlPlN2at6native12_GLOBAL__N_18offset_tEEE10hipError_tPvRmT1_PNSt15iterator_traitsISZ_E10value_typeET2_T3_PNS10_IS15_E10value_typeET4_jRbjT5_S1B_jjP12ihipStream_tbEUljE_EEESW_SX_SY_S15_S19_S1B_T6_T7_T9_mT8_S1D_bDpT10_ENKUlT_T0_E_clISt17integral_constantIbLb1EES1Q_EEDaS1L_S1M_EUlS1L_E_NS1_11comp_targetILNS1_3genE9ELNS1_11target_archE1100ELNS1_3gpuE3ELNS1_3repE0EEENS1_30default_config_static_selectorELNS0_4arch9wavefront6targetE0EEEvSZ_
		.amdhsa_group_segment_fixed_size 0
		.amdhsa_private_segment_fixed_size 0
		.amdhsa_kernarg_size 152
		.amdhsa_user_sgpr_count 6
		.amdhsa_user_sgpr_private_segment_buffer 1
		.amdhsa_user_sgpr_dispatch_ptr 0
		.amdhsa_user_sgpr_queue_ptr 0
		.amdhsa_user_sgpr_kernarg_segment_ptr 1
		.amdhsa_user_sgpr_dispatch_id 0
		.amdhsa_user_sgpr_flat_scratch_init 0
		.amdhsa_user_sgpr_private_segment_size 0
		.amdhsa_wavefront_size32 1
		.amdhsa_uses_dynamic_stack 0
		.amdhsa_system_sgpr_private_segment_wavefront_offset 0
		.amdhsa_system_sgpr_workgroup_id_x 1
		.amdhsa_system_sgpr_workgroup_id_y 0
		.amdhsa_system_sgpr_workgroup_id_z 0
		.amdhsa_system_sgpr_workgroup_info 0
		.amdhsa_system_vgpr_workitem_id 0
		.amdhsa_next_free_vgpr 1
		.amdhsa_next_free_sgpr 1
		.amdhsa_reserve_vcc 0
		.amdhsa_reserve_flat_scratch 0
		.amdhsa_float_round_mode_32 0
		.amdhsa_float_round_mode_16_64 0
		.amdhsa_float_denorm_mode_32 3
		.amdhsa_float_denorm_mode_16_64 3
		.amdhsa_dx10_clamp 1
		.amdhsa_ieee_mode 1
		.amdhsa_fp16_overflow 0
		.amdhsa_workgroup_processor_mode 1
		.amdhsa_memory_ordered 1
		.amdhsa_forward_progress 1
		.amdhsa_shared_vgpr_count 0
		.amdhsa_exception_fp_ieee_invalid_op 0
		.amdhsa_exception_fp_denorm_src 0
		.amdhsa_exception_fp_ieee_div_zero 0
		.amdhsa_exception_fp_ieee_overflow 0
		.amdhsa_exception_fp_ieee_underflow 0
		.amdhsa_exception_fp_ieee_inexact 0
		.amdhsa_exception_int_div_zero 0
	.end_amdhsa_kernel
	.section	.text._ZN7rocprim17ROCPRIM_400000_NS6detail17trampoline_kernelINS0_13select_configILj256ELj13ELNS0_17block_load_methodE3ELS4_3ELS4_3ELNS0_20block_scan_algorithmE0ELj4294967295EEENS1_25partition_config_selectorILNS1_17partition_subalgoE3EjNS0_10empty_typeEbEEZZNS1_14partition_implILS8_3ELb0ES6_jNS0_17counting_iteratorIjlEEPS9_SE_NS0_5tupleIJPjSE_EEENSF_IJSE_SE_EEES9_SG_JZNS1_25segmented_radix_sort_implINS0_14default_configELb1EPK12hip_bfloat16PSL_PKlPlN2at6native12_GLOBAL__N_18offset_tEEE10hipError_tPvRmT1_PNSt15iterator_traitsISZ_E10value_typeET2_T3_PNS10_IS15_E10value_typeET4_jRbjT5_S1B_jjP12ihipStream_tbEUljE_EEESW_SX_SY_S15_S19_S1B_T6_T7_T9_mT8_S1D_bDpT10_ENKUlT_T0_E_clISt17integral_constantIbLb1EES1Q_EEDaS1L_S1M_EUlS1L_E_NS1_11comp_targetILNS1_3genE9ELNS1_11target_archE1100ELNS1_3gpuE3ELNS1_3repE0EEENS1_30default_config_static_selectorELNS0_4arch9wavefront6targetE0EEEvSZ_,"axG",@progbits,_ZN7rocprim17ROCPRIM_400000_NS6detail17trampoline_kernelINS0_13select_configILj256ELj13ELNS0_17block_load_methodE3ELS4_3ELS4_3ELNS0_20block_scan_algorithmE0ELj4294967295EEENS1_25partition_config_selectorILNS1_17partition_subalgoE3EjNS0_10empty_typeEbEEZZNS1_14partition_implILS8_3ELb0ES6_jNS0_17counting_iteratorIjlEEPS9_SE_NS0_5tupleIJPjSE_EEENSF_IJSE_SE_EEES9_SG_JZNS1_25segmented_radix_sort_implINS0_14default_configELb1EPK12hip_bfloat16PSL_PKlPlN2at6native12_GLOBAL__N_18offset_tEEE10hipError_tPvRmT1_PNSt15iterator_traitsISZ_E10value_typeET2_T3_PNS10_IS15_E10value_typeET4_jRbjT5_S1B_jjP12ihipStream_tbEUljE_EEESW_SX_SY_S15_S19_S1B_T6_T7_T9_mT8_S1D_bDpT10_ENKUlT_T0_E_clISt17integral_constantIbLb1EES1Q_EEDaS1L_S1M_EUlS1L_E_NS1_11comp_targetILNS1_3genE9ELNS1_11target_archE1100ELNS1_3gpuE3ELNS1_3repE0EEENS1_30default_config_static_selectorELNS0_4arch9wavefront6targetE0EEEvSZ_,comdat
.Lfunc_end1918:
	.size	_ZN7rocprim17ROCPRIM_400000_NS6detail17trampoline_kernelINS0_13select_configILj256ELj13ELNS0_17block_load_methodE3ELS4_3ELS4_3ELNS0_20block_scan_algorithmE0ELj4294967295EEENS1_25partition_config_selectorILNS1_17partition_subalgoE3EjNS0_10empty_typeEbEEZZNS1_14partition_implILS8_3ELb0ES6_jNS0_17counting_iteratorIjlEEPS9_SE_NS0_5tupleIJPjSE_EEENSF_IJSE_SE_EEES9_SG_JZNS1_25segmented_radix_sort_implINS0_14default_configELb1EPK12hip_bfloat16PSL_PKlPlN2at6native12_GLOBAL__N_18offset_tEEE10hipError_tPvRmT1_PNSt15iterator_traitsISZ_E10value_typeET2_T3_PNS10_IS15_E10value_typeET4_jRbjT5_S1B_jjP12ihipStream_tbEUljE_EEESW_SX_SY_S15_S19_S1B_T6_T7_T9_mT8_S1D_bDpT10_ENKUlT_T0_E_clISt17integral_constantIbLb1EES1Q_EEDaS1L_S1M_EUlS1L_E_NS1_11comp_targetILNS1_3genE9ELNS1_11target_archE1100ELNS1_3gpuE3ELNS1_3repE0EEENS1_30default_config_static_selectorELNS0_4arch9wavefront6targetE0EEEvSZ_, .Lfunc_end1918-_ZN7rocprim17ROCPRIM_400000_NS6detail17trampoline_kernelINS0_13select_configILj256ELj13ELNS0_17block_load_methodE3ELS4_3ELS4_3ELNS0_20block_scan_algorithmE0ELj4294967295EEENS1_25partition_config_selectorILNS1_17partition_subalgoE3EjNS0_10empty_typeEbEEZZNS1_14partition_implILS8_3ELb0ES6_jNS0_17counting_iteratorIjlEEPS9_SE_NS0_5tupleIJPjSE_EEENSF_IJSE_SE_EEES9_SG_JZNS1_25segmented_radix_sort_implINS0_14default_configELb1EPK12hip_bfloat16PSL_PKlPlN2at6native12_GLOBAL__N_18offset_tEEE10hipError_tPvRmT1_PNSt15iterator_traitsISZ_E10value_typeET2_T3_PNS10_IS15_E10value_typeET4_jRbjT5_S1B_jjP12ihipStream_tbEUljE_EEESW_SX_SY_S15_S19_S1B_T6_T7_T9_mT8_S1D_bDpT10_ENKUlT_T0_E_clISt17integral_constantIbLb1EES1Q_EEDaS1L_S1M_EUlS1L_E_NS1_11comp_targetILNS1_3genE9ELNS1_11target_archE1100ELNS1_3gpuE3ELNS1_3repE0EEENS1_30default_config_static_selectorELNS0_4arch9wavefront6targetE0EEEvSZ_
                                        ; -- End function
	.set _ZN7rocprim17ROCPRIM_400000_NS6detail17trampoline_kernelINS0_13select_configILj256ELj13ELNS0_17block_load_methodE3ELS4_3ELS4_3ELNS0_20block_scan_algorithmE0ELj4294967295EEENS1_25partition_config_selectorILNS1_17partition_subalgoE3EjNS0_10empty_typeEbEEZZNS1_14partition_implILS8_3ELb0ES6_jNS0_17counting_iteratorIjlEEPS9_SE_NS0_5tupleIJPjSE_EEENSF_IJSE_SE_EEES9_SG_JZNS1_25segmented_radix_sort_implINS0_14default_configELb1EPK12hip_bfloat16PSL_PKlPlN2at6native12_GLOBAL__N_18offset_tEEE10hipError_tPvRmT1_PNSt15iterator_traitsISZ_E10value_typeET2_T3_PNS10_IS15_E10value_typeET4_jRbjT5_S1B_jjP12ihipStream_tbEUljE_EEESW_SX_SY_S15_S19_S1B_T6_T7_T9_mT8_S1D_bDpT10_ENKUlT_T0_E_clISt17integral_constantIbLb1EES1Q_EEDaS1L_S1M_EUlS1L_E_NS1_11comp_targetILNS1_3genE9ELNS1_11target_archE1100ELNS1_3gpuE3ELNS1_3repE0EEENS1_30default_config_static_selectorELNS0_4arch9wavefront6targetE0EEEvSZ_.num_vgpr, 0
	.set _ZN7rocprim17ROCPRIM_400000_NS6detail17trampoline_kernelINS0_13select_configILj256ELj13ELNS0_17block_load_methodE3ELS4_3ELS4_3ELNS0_20block_scan_algorithmE0ELj4294967295EEENS1_25partition_config_selectorILNS1_17partition_subalgoE3EjNS0_10empty_typeEbEEZZNS1_14partition_implILS8_3ELb0ES6_jNS0_17counting_iteratorIjlEEPS9_SE_NS0_5tupleIJPjSE_EEENSF_IJSE_SE_EEES9_SG_JZNS1_25segmented_radix_sort_implINS0_14default_configELb1EPK12hip_bfloat16PSL_PKlPlN2at6native12_GLOBAL__N_18offset_tEEE10hipError_tPvRmT1_PNSt15iterator_traitsISZ_E10value_typeET2_T3_PNS10_IS15_E10value_typeET4_jRbjT5_S1B_jjP12ihipStream_tbEUljE_EEESW_SX_SY_S15_S19_S1B_T6_T7_T9_mT8_S1D_bDpT10_ENKUlT_T0_E_clISt17integral_constantIbLb1EES1Q_EEDaS1L_S1M_EUlS1L_E_NS1_11comp_targetILNS1_3genE9ELNS1_11target_archE1100ELNS1_3gpuE3ELNS1_3repE0EEENS1_30default_config_static_selectorELNS0_4arch9wavefront6targetE0EEEvSZ_.num_agpr, 0
	.set _ZN7rocprim17ROCPRIM_400000_NS6detail17trampoline_kernelINS0_13select_configILj256ELj13ELNS0_17block_load_methodE3ELS4_3ELS4_3ELNS0_20block_scan_algorithmE0ELj4294967295EEENS1_25partition_config_selectorILNS1_17partition_subalgoE3EjNS0_10empty_typeEbEEZZNS1_14partition_implILS8_3ELb0ES6_jNS0_17counting_iteratorIjlEEPS9_SE_NS0_5tupleIJPjSE_EEENSF_IJSE_SE_EEES9_SG_JZNS1_25segmented_radix_sort_implINS0_14default_configELb1EPK12hip_bfloat16PSL_PKlPlN2at6native12_GLOBAL__N_18offset_tEEE10hipError_tPvRmT1_PNSt15iterator_traitsISZ_E10value_typeET2_T3_PNS10_IS15_E10value_typeET4_jRbjT5_S1B_jjP12ihipStream_tbEUljE_EEESW_SX_SY_S15_S19_S1B_T6_T7_T9_mT8_S1D_bDpT10_ENKUlT_T0_E_clISt17integral_constantIbLb1EES1Q_EEDaS1L_S1M_EUlS1L_E_NS1_11comp_targetILNS1_3genE9ELNS1_11target_archE1100ELNS1_3gpuE3ELNS1_3repE0EEENS1_30default_config_static_selectorELNS0_4arch9wavefront6targetE0EEEvSZ_.numbered_sgpr, 0
	.set _ZN7rocprim17ROCPRIM_400000_NS6detail17trampoline_kernelINS0_13select_configILj256ELj13ELNS0_17block_load_methodE3ELS4_3ELS4_3ELNS0_20block_scan_algorithmE0ELj4294967295EEENS1_25partition_config_selectorILNS1_17partition_subalgoE3EjNS0_10empty_typeEbEEZZNS1_14partition_implILS8_3ELb0ES6_jNS0_17counting_iteratorIjlEEPS9_SE_NS0_5tupleIJPjSE_EEENSF_IJSE_SE_EEES9_SG_JZNS1_25segmented_radix_sort_implINS0_14default_configELb1EPK12hip_bfloat16PSL_PKlPlN2at6native12_GLOBAL__N_18offset_tEEE10hipError_tPvRmT1_PNSt15iterator_traitsISZ_E10value_typeET2_T3_PNS10_IS15_E10value_typeET4_jRbjT5_S1B_jjP12ihipStream_tbEUljE_EEESW_SX_SY_S15_S19_S1B_T6_T7_T9_mT8_S1D_bDpT10_ENKUlT_T0_E_clISt17integral_constantIbLb1EES1Q_EEDaS1L_S1M_EUlS1L_E_NS1_11comp_targetILNS1_3genE9ELNS1_11target_archE1100ELNS1_3gpuE3ELNS1_3repE0EEENS1_30default_config_static_selectorELNS0_4arch9wavefront6targetE0EEEvSZ_.num_named_barrier, 0
	.set _ZN7rocprim17ROCPRIM_400000_NS6detail17trampoline_kernelINS0_13select_configILj256ELj13ELNS0_17block_load_methodE3ELS4_3ELS4_3ELNS0_20block_scan_algorithmE0ELj4294967295EEENS1_25partition_config_selectorILNS1_17partition_subalgoE3EjNS0_10empty_typeEbEEZZNS1_14partition_implILS8_3ELb0ES6_jNS0_17counting_iteratorIjlEEPS9_SE_NS0_5tupleIJPjSE_EEENSF_IJSE_SE_EEES9_SG_JZNS1_25segmented_radix_sort_implINS0_14default_configELb1EPK12hip_bfloat16PSL_PKlPlN2at6native12_GLOBAL__N_18offset_tEEE10hipError_tPvRmT1_PNSt15iterator_traitsISZ_E10value_typeET2_T3_PNS10_IS15_E10value_typeET4_jRbjT5_S1B_jjP12ihipStream_tbEUljE_EEESW_SX_SY_S15_S19_S1B_T6_T7_T9_mT8_S1D_bDpT10_ENKUlT_T0_E_clISt17integral_constantIbLb1EES1Q_EEDaS1L_S1M_EUlS1L_E_NS1_11comp_targetILNS1_3genE9ELNS1_11target_archE1100ELNS1_3gpuE3ELNS1_3repE0EEENS1_30default_config_static_selectorELNS0_4arch9wavefront6targetE0EEEvSZ_.private_seg_size, 0
	.set _ZN7rocprim17ROCPRIM_400000_NS6detail17trampoline_kernelINS0_13select_configILj256ELj13ELNS0_17block_load_methodE3ELS4_3ELS4_3ELNS0_20block_scan_algorithmE0ELj4294967295EEENS1_25partition_config_selectorILNS1_17partition_subalgoE3EjNS0_10empty_typeEbEEZZNS1_14partition_implILS8_3ELb0ES6_jNS0_17counting_iteratorIjlEEPS9_SE_NS0_5tupleIJPjSE_EEENSF_IJSE_SE_EEES9_SG_JZNS1_25segmented_radix_sort_implINS0_14default_configELb1EPK12hip_bfloat16PSL_PKlPlN2at6native12_GLOBAL__N_18offset_tEEE10hipError_tPvRmT1_PNSt15iterator_traitsISZ_E10value_typeET2_T3_PNS10_IS15_E10value_typeET4_jRbjT5_S1B_jjP12ihipStream_tbEUljE_EEESW_SX_SY_S15_S19_S1B_T6_T7_T9_mT8_S1D_bDpT10_ENKUlT_T0_E_clISt17integral_constantIbLb1EES1Q_EEDaS1L_S1M_EUlS1L_E_NS1_11comp_targetILNS1_3genE9ELNS1_11target_archE1100ELNS1_3gpuE3ELNS1_3repE0EEENS1_30default_config_static_selectorELNS0_4arch9wavefront6targetE0EEEvSZ_.uses_vcc, 0
	.set _ZN7rocprim17ROCPRIM_400000_NS6detail17trampoline_kernelINS0_13select_configILj256ELj13ELNS0_17block_load_methodE3ELS4_3ELS4_3ELNS0_20block_scan_algorithmE0ELj4294967295EEENS1_25partition_config_selectorILNS1_17partition_subalgoE3EjNS0_10empty_typeEbEEZZNS1_14partition_implILS8_3ELb0ES6_jNS0_17counting_iteratorIjlEEPS9_SE_NS0_5tupleIJPjSE_EEENSF_IJSE_SE_EEES9_SG_JZNS1_25segmented_radix_sort_implINS0_14default_configELb1EPK12hip_bfloat16PSL_PKlPlN2at6native12_GLOBAL__N_18offset_tEEE10hipError_tPvRmT1_PNSt15iterator_traitsISZ_E10value_typeET2_T3_PNS10_IS15_E10value_typeET4_jRbjT5_S1B_jjP12ihipStream_tbEUljE_EEESW_SX_SY_S15_S19_S1B_T6_T7_T9_mT8_S1D_bDpT10_ENKUlT_T0_E_clISt17integral_constantIbLb1EES1Q_EEDaS1L_S1M_EUlS1L_E_NS1_11comp_targetILNS1_3genE9ELNS1_11target_archE1100ELNS1_3gpuE3ELNS1_3repE0EEENS1_30default_config_static_selectorELNS0_4arch9wavefront6targetE0EEEvSZ_.uses_flat_scratch, 0
	.set _ZN7rocprim17ROCPRIM_400000_NS6detail17trampoline_kernelINS0_13select_configILj256ELj13ELNS0_17block_load_methodE3ELS4_3ELS4_3ELNS0_20block_scan_algorithmE0ELj4294967295EEENS1_25partition_config_selectorILNS1_17partition_subalgoE3EjNS0_10empty_typeEbEEZZNS1_14partition_implILS8_3ELb0ES6_jNS0_17counting_iteratorIjlEEPS9_SE_NS0_5tupleIJPjSE_EEENSF_IJSE_SE_EEES9_SG_JZNS1_25segmented_radix_sort_implINS0_14default_configELb1EPK12hip_bfloat16PSL_PKlPlN2at6native12_GLOBAL__N_18offset_tEEE10hipError_tPvRmT1_PNSt15iterator_traitsISZ_E10value_typeET2_T3_PNS10_IS15_E10value_typeET4_jRbjT5_S1B_jjP12ihipStream_tbEUljE_EEESW_SX_SY_S15_S19_S1B_T6_T7_T9_mT8_S1D_bDpT10_ENKUlT_T0_E_clISt17integral_constantIbLb1EES1Q_EEDaS1L_S1M_EUlS1L_E_NS1_11comp_targetILNS1_3genE9ELNS1_11target_archE1100ELNS1_3gpuE3ELNS1_3repE0EEENS1_30default_config_static_selectorELNS0_4arch9wavefront6targetE0EEEvSZ_.has_dyn_sized_stack, 0
	.set _ZN7rocprim17ROCPRIM_400000_NS6detail17trampoline_kernelINS0_13select_configILj256ELj13ELNS0_17block_load_methodE3ELS4_3ELS4_3ELNS0_20block_scan_algorithmE0ELj4294967295EEENS1_25partition_config_selectorILNS1_17partition_subalgoE3EjNS0_10empty_typeEbEEZZNS1_14partition_implILS8_3ELb0ES6_jNS0_17counting_iteratorIjlEEPS9_SE_NS0_5tupleIJPjSE_EEENSF_IJSE_SE_EEES9_SG_JZNS1_25segmented_radix_sort_implINS0_14default_configELb1EPK12hip_bfloat16PSL_PKlPlN2at6native12_GLOBAL__N_18offset_tEEE10hipError_tPvRmT1_PNSt15iterator_traitsISZ_E10value_typeET2_T3_PNS10_IS15_E10value_typeET4_jRbjT5_S1B_jjP12ihipStream_tbEUljE_EEESW_SX_SY_S15_S19_S1B_T6_T7_T9_mT8_S1D_bDpT10_ENKUlT_T0_E_clISt17integral_constantIbLb1EES1Q_EEDaS1L_S1M_EUlS1L_E_NS1_11comp_targetILNS1_3genE9ELNS1_11target_archE1100ELNS1_3gpuE3ELNS1_3repE0EEENS1_30default_config_static_selectorELNS0_4arch9wavefront6targetE0EEEvSZ_.has_recursion, 0
	.set _ZN7rocprim17ROCPRIM_400000_NS6detail17trampoline_kernelINS0_13select_configILj256ELj13ELNS0_17block_load_methodE3ELS4_3ELS4_3ELNS0_20block_scan_algorithmE0ELj4294967295EEENS1_25partition_config_selectorILNS1_17partition_subalgoE3EjNS0_10empty_typeEbEEZZNS1_14partition_implILS8_3ELb0ES6_jNS0_17counting_iteratorIjlEEPS9_SE_NS0_5tupleIJPjSE_EEENSF_IJSE_SE_EEES9_SG_JZNS1_25segmented_radix_sort_implINS0_14default_configELb1EPK12hip_bfloat16PSL_PKlPlN2at6native12_GLOBAL__N_18offset_tEEE10hipError_tPvRmT1_PNSt15iterator_traitsISZ_E10value_typeET2_T3_PNS10_IS15_E10value_typeET4_jRbjT5_S1B_jjP12ihipStream_tbEUljE_EEESW_SX_SY_S15_S19_S1B_T6_T7_T9_mT8_S1D_bDpT10_ENKUlT_T0_E_clISt17integral_constantIbLb1EES1Q_EEDaS1L_S1M_EUlS1L_E_NS1_11comp_targetILNS1_3genE9ELNS1_11target_archE1100ELNS1_3gpuE3ELNS1_3repE0EEENS1_30default_config_static_selectorELNS0_4arch9wavefront6targetE0EEEvSZ_.has_indirect_call, 0
	.section	.AMDGPU.csdata,"",@progbits
; Kernel info:
; codeLenInByte = 0
; TotalNumSgprs: 0
; NumVgprs: 0
; ScratchSize: 0
; MemoryBound: 0
; FloatMode: 240
; IeeeMode: 1
; LDSByteSize: 0 bytes/workgroup (compile time only)
; SGPRBlocks: 0
; VGPRBlocks: 0
; NumSGPRsForWavesPerEU: 1
; NumVGPRsForWavesPerEU: 1
; Occupancy: 16
; WaveLimiterHint : 0
; COMPUTE_PGM_RSRC2:SCRATCH_EN: 0
; COMPUTE_PGM_RSRC2:USER_SGPR: 6
; COMPUTE_PGM_RSRC2:TRAP_HANDLER: 0
; COMPUTE_PGM_RSRC2:TGID_X_EN: 1
; COMPUTE_PGM_RSRC2:TGID_Y_EN: 0
; COMPUTE_PGM_RSRC2:TGID_Z_EN: 0
; COMPUTE_PGM_RSRC2:TIDIG_COMP_CNT: 0
	.section	.text._ZN7rocprim17ROCPRIM_400000_NS6detail17trampoline_kernelINS0_13select_configILj256ELj13ELNS0_17block_load_methodE3ELS4_3ELS4_3ELNS0_20block_scan_algorithmE0ELj4294967295EEENS1_25partition_config_selectorILNS1_17partition_subalgoE3EjNS0_10empty_typeEbEEZZNS1_14partition_implILS8_3ELb0ES6_jNS0_17counting_iteratorIjlEEPS9_SE_NS0_5tupleIJPjSE_EEENSF_IJSE_SE_EEES9_SG_JZNS1_25segmented_radix_sort_implINS0_14default_configELb1EPK12hip_bfloat16PSL_PKlPlN2at6native12_GLOBAL__N_18offset_tEEE10hipError_tPvRmT1_PNSt15iterator_traitsISZ_E10value_typeET2_T3_PNS10_IS15_E10value_typeET4_jRbjT5_S1B_jjP12ihipStream_tbEUljE_EEESW_SX_SY_S15_S19_S1B_T6_T7_T9_mT8_S1D_bDpT10_ENKUlT_T0_E_clISt17integral_constantIbLb1EES1Q_EEDaS1L_S1M_EUlS1L_E_NS1_11comp_targetILNS1_3genE8ELNS1_11target_archE1030ELNS1_3gpuE2ELNS1_3repE0EEENS1_30default_config_static_selectorELNS0_4arch9wavefront6targetE0EEEvSZ_,"axG",@progbits,_ZN7rocprim17ROCPRIM_400000_NS6detail17trampoline_kernelINS0_13select_configILj256ELj13ELNS0_17block_load_methodE3ELS4_3ELS4_3ELNS0_20block_scan_algorithmE0ELj4294967295EEENS1_25partition_config_selectorILNS1_17partition_subalgoE3EjNS0_10empty_typeEbEEZZNS1_14partition_implILS8_3ELb0ES6_jNS0_17counting_iteratorIjlEEPS9_SE_NS0_5tupleIJPjSE_EEENSF_IJSE_SE_EEES9_SG_JZNS1_25segmented_radix_sort_implINS0_14default_configELb1EPK12hip_bfloat16PSL_PKlPlN2at6native12_GLOBAL__N_18offset_tEEE10hipError_tPvRmT1_PNSt15iterator_traitsISZ_E10value_typeET2_T3_PNS10_IS15_E10value_typeET4_jRbjT5_S1B_jjP12ihipStream_tbEUljE_EEESW_SX_SY_S15_S19_S1B_T6_T7_T9_mT8_S1D_bDpT10_ENKUlT_T0_E_clISt17integral_constantIbLb1EES1Q_EEDaS1L_S1M_EUlS1L_E_NS1_11comp_targetILNS1_3genE8ELNS1_11target_archE1030ELNS1_3gpuE2ELNS1_3repE0EEENS1_30default_config_static_selectorELNS0_4arch9wavefront6targetE0EEEvSZ_,comdat
	.globl	_ZN7rocprim17ROCPRIM_400000_NS6detail17trampoline_kernelINS0_13select_configILj256ELj13ELNS0_17block_load_methodE3ELS4_3ELS4_3ELNS0_20block_scan_algorithmE0ELj4294967295EEENS1_25partition_config_selectorILNS1_17partition_subalgoE3EjNS0_10empty_typeEbEEZZNS1_14partition_implILS8_3ELb0ES6_jNS0_17counting_iteratorIjlEEPS9_SE_NS0_5tupleIJPjSE_EEENSF_IJSE_SE_EEES9_SG_JZNS1_25segmented_radix_sort_implINS0_14default_configELb1EPK12hip_bfloat16PSL_PKlPlN2at6native12_GLOBAL__N_18offset_tEEE10hipError_tPvRmT1_PNSt15iterator_traitsISZ_E10value_typeET2_T3_PNS10_IS15_E10value_typeET4_jRbjT5_S1B_jjP12ihipStream_tbEUljE_EEESW_SX_SY_S15_S19_S1B_T6_T7_T9_mT8_S1D_bDpT10_ENKUlT_T0_E_clISt17integral_constantIbLb1EES1Q_EEDaS1L_S1M_EUlS1L_E_NS1_11comp_targetILNS1_3genE8ELNS1_11target_archE1030ELNS1_3gpuE2ELNS1_3repE0EEENS1_30default_config_static_selectorELNS0_4arch9wavefront6targetE0EEEvSZ_ ; -- Begin function _ZN7rocprim17ROCPRIM_400000_NS6detail17trampoline_kernelINS0_13select_configILj256ELj13ELNS0_17block_load_methodE3ELS4_3ELS4_3ELNS0_20block_scan_algorithmE0ELj4294967295EEENS1_25partition_config_selectorILNS1_17partition_subalgoE3EjNS0_10empty_typeEbEEZZNS1_14partition_implILS8_3ELb0ES6_jNS0_17counting_iteratorIjlEEPS9_SE_NS0_5tupleIJPjSE_EEENSF_IJSE_SE_EEES9_SG_JZNS1_25segmented_radix_sort_implINS0_14default_configELb1EPK12hip_bfloat16PSL_PKlPlN2at6native12_GLOBAL__N_18offset_tEEE10hipError_tPvRmT1_PNSt15iterator_traitsISZ_E10value_typeET2_T3_PNS10_IS15_E10value_typeET4_jRbjT5_S1B_jjP12ihipStream_tbEUljE_EEESW_SX_SY_S15_S19_S1B_T6_T7_T9_mT8_S1D_bDpT10_ENKUlT_T0_E_clISt17integral_constantIbLb1EES1Q_EEDaS1L_S1M_EUlS1L_E_NS1_11comp_targetILNS1_3genE8ELNS1_11target_archE1030ELNS1_3gpuE2ELNS1_3repE0EEENS1_30default_config_static_selectorELNS0_4arch9wavefront6targetE0EEEvSZ_
	.p2align	8
	.type	_ZN7rocprim17ROCPRIM_400000_NS6detail17trampoline_kernelINS0_13select_configILj256ELj13ELNS0_17block_load_methodE3ELS4_3ELS4_3ELNS0_20block_scan_algorithmE0ELj4294967295EEENS1_25partition_config_selectorILNS1_17partition_subalgoE3EjNS0_10empty_typeEbEEZZNS1_14partition_implILS8_3ELb0ES6_jNS0_17counting_iteratorIjlEEPS9_SE_NS0_5tupleIJPjSE_EEENSF_IJSE_SE_EEES9_SG_JZNS1_25segmented_radix_sort_implINS0_14default_configELb1EPK12hip_bfloat16PSL_PKlPlN2at6native12_GLOBAL__N_18offset_tEEE10hipError_tPvRmT1_PNSt15iterator_traitsISZ_E10value_typeET2_T3_PNS10_IS15_E10value_typeET4_jRbjT5_S1B_jjP12ihipStream_tbEUljE_EEESW_SX_SY_S15_S19_S1B_T6_T7_T9_mT8_S1D_bDpT10_ENKUlT_T0_E_clISt17integral_constantIbLb1EES1Q_EEDaS1L_S1M_EUlS1L_E_NS1_11comp_targetILNS1_3genE8ELNS1_11target_archE1030ELNS1_3gpuE2ELNS1_3repE0EEENS1_30default_config_static_selectorELNS0_4arch9wavefront6targetE0EEEvSZ_,@function
_ZN7rocprim17ROCPRIM_400000_NS6detail17trampoline_kernelINS0_13select_configILj256ELj13ELNS0_17block_load_methodE3ELS4_3ELS4_3ELNS0_20block_scan_algorithmE0ELj4294967295EEENS1_25partition_config_selectorILNS1_17partition_subalgoE3EjNS0_10empty_typeEbEEZZNS1_14partition_implILS8_3ELb0ES6_jNS0_17counting_iteratorIjlEEPS9_SE_NS0_5tupleIJPjSE_EEENSF_IJSE_SE_EEES9_SG_JZNS1_25segmented_radix_sort_implINS0_14default_configELb1EPK12hip_bfloat16PSL_PKlPlN2at6native12_GLOBAL__N_18offset_tEEE10hipError_tPvRmT1_PNSt15iterator_traitsISZ_E10value_typeET2_T3_PNS10_IS15_E10value_typeET4_jRbjT5_S1B_jjP12ihipStream_tbEUljE_EEESW_SX_SY_S15_S19_S1B_T6_T7_T9_mT8_S1D_bDpT10_ENKUlT_T0_E_clISt17integral_constantIbLb1EES1Q_EEDaS1L_S1M_EUlS1L_E_NS1_11comp_targetILNS1_3genE8ELNS1_11target_archE1030ELNS1_3gpuE2ELNS1_3repE0EEENS1_30default_config_static_selectorELNS0_4arch9wavefront6targetE0EEEvSZ_: ; @_ZN7rocprim17ROCPRIM_400000_NS6detail17trampoline_kernelINS0_13select_configILj256ELj13ELNS0_17block_load_methodE3ELS4_3ELS4_3ELNS0_20block_scan_algorithmE0ELj4294967295EEENS1_25partition_config_selectorILNS1_17partition_subalgoE3EjNS0_10empty_typeEbEEZZNS1_14partition_implILS8_3ELb0ES6_jNS0_17counting_iteratorIjlEEPS9_SE_NS0_5tupleIJPjSE_EEENSF_IJSE_SE_EEES9_SG_JZNS1_25segmented_radix_sort_implINS0_14default_configELb1EPK12hip_bfloat16PSL_PKlPlN2at6native12_GLOBAL__N_18offset_tEEE10hipError_tPvRmT1_PNSt15iterator_traitsISZ_E10value_typeET2_T3_PNS10_IS15_E10value_typeET4_jRbjT5_S1B_jjP12ihipStream_tbEUljE_EEESW_SX_SY_S15_S19_S1B_T6_T7_T9_mT8_S1D_bDpT10_ENKUlT_T0_E_clISt17integral_constantIbLb1EES1Q_EEDaS1L_S1M_EUlS1L_E_NS1_11comp_targetILNS1_3genE8ELNS1_11target_archE1030ELNS1_3gpuE2ELNS1_3repE0EEENS1_30default_config_static_selectorELNS0_4arch9wavefront6targetE0EEEvSZ_
; %bb.0:
	s_endpgm
	.section	.rodata,"a",@progbits
	.p2align	6, 0x0
	.amdhsa_kernel _ZN7rocprim17ROCPRIM_400000_NS6detail17trampoline_kernelINS0_13select_configILj256ELj13ELNS0_17block_load_methodE3ELS4_3ELS4_3ELNS0_20block_scan_algorithmE0ELj4294967295EEENS1_25partition_config_selectorILNS1_17partition_subalgoE3EjNS0_10empty_typeEbEEZZNS1_14partition_implILS8_3ELb0ES6_jNS0_17counting_iteratorIjlEEPS9_SE_NS0_5tupleIJPjSE_EEENSF_IJSE_SE_EEES9_SG_JZNS1_25segmented_radix_sort_implINS0_14default_configELb1EPK12hip_bfloat16PSL_PKlPlN2at6native12_GLOBAL__N_18offset_tEEE10hipError_tPvRmT1_PNSt15iterator_traitsISZ_E10value_typeET2_T3_PNS10_IS15_E10value_typeET4_jRbjT5_S1B_jjP12ihipStream_tbEUljE_EEESW_SX_SY_S15_S19_S1B_T6_T7_T9_mT8_S1D_bDpT10_ENKUlT_T0_E_clISt17integral_constantIbLb1EES1Q_EEDaS1L_S1M_EUlS1L_E_NS1_11comp_targetILNS1_3genE8ELNS1_11target_archE1030ELNS1_3gpuE2ELNS1_3repE0EEENS1_30default_config_static_selectorELNS0_4arch9wavefront6targetE0EEEvSZ_
		.amdhsa_group_segment_fixed_size 0
		.amdhsa_private_segment_fixed_size 0
		.amdhsa_kernarg_size 152
		.amdhsa_user_sgpr_count 6
		.amdhsa_user_sgpr_private_segment_buffer 1
		.amdhsa_user_sgpr_dispatch_ptr 0
		.amdhsa_user_sgpr_queue_ptr 0
		.amdhsa_user_sgpr_kernarg_segment_ptr 1
		.amdhsa_user_sgpr_dispatch_id 0
		.amdhsa_user_sgpr_flat_scratch_init 0
		.amdhsa_user_sgpr_private_segment_size 0
		.amdhsa_wavefront_size32 1
		.amdhsa_uses_dynamic_stack 0
		.amdhsa_system_sgpr_private_segment_wavefront_offset 0
		.amdhsa_system_sgpr_workgroup_id_x 1
		.amdhsa_system_sgpr_workgroup_id_y 0
		.amdhsa_system_sgpr_workgroup_id_z 0
		.amdhsa_system_sgpr_workgroup_info 0
		.amdhsa_system_vgpr_workitem_id 0
		.amdhsa_next_free_vgpr 1
		.amdhsa_next_free_sgpr 1
		.amdhsa_reserve_vcc 0
		.amdhsa_reserve_flat_scratch 0
		.amdhsa_float_round_mode_32 0
		.amdhsa_float_round_mode_16_64 0
		.amdhsa_float_denorm_mode_32 3
		.amdhsa_float_denorm_mode_16_64 3
		.amdhsa_dx10_clamp 1
		.amdhsa_ieee_mode 1
		.amdhsa_fp16_overflow 0
		.amdhsa_workgroup_processor_mode 1
		.amdhsa_memory_ordered 1
		.amdhsa_forward_progress 1
		.amdhsa_shared_vgpr_count 0
		.amdhsa_exception_fp_ieee_invalid_op 0
		.amdhsa_exception_fp_denorm_src 0
		.amdhsa_exception_fp_ieee_div_zero 0
		.amdhsa_exception_fp_ieee_overflow 0
		.amdhsa_exception_fp_ieee_underflow 0
		.amdhsa_exception_fp_ieee_inexact 0
		.amdhsa_exception_int_div_zero 0
	.end_amdhsa_kernel
	.section	.text._ZN7rocprim17ROCPRIM_400000_NS6detail17trampoline_kernelINS0_13select_configILj256ELj13ELNS0_17block_load_methodE3ELS4_3ELS4_3ELNS0_20block_scan_algorithmE0ELj4294967295EEENS1_25partition_config_selectorILNS1_17partition_subalgoE3EjNS0_10empty_typeEbEEZZNS1_14partition_implILS8_3ELb0ES6_jNS0_17counting_iteratorIjlEEPS9_SE_NS0_5tupleIJPjSE_EEENSF_IJSE_SE_EEES9_SG_JZNS1_25segmented_radix_sort_implINS0_14default_configELb1EPK12hip_bfloat16PSL_PKlPlN2at6native12_GLOBAL__N_18offset_tEEE10hipError_tPvRmT1_PNSt15iterator_traitsISZ_E10value_typeET2_T3_PNS10_IS15_E10value_typeET4_jRbjT5_S1B_jjP12ihipStream_tbEUljE_EEESW_SX_SY_S15_S19_S1B_T6_T7_T9_mT8_S1D_bDpT10_ENKUlT_T0_E_clISt17integral_constantIbLb1EES1Q_EEDaS1L_S1M_EUlS1L_E_NS1_11comp_targetILNS1_3genE8ELNS1_11target_archE1030ELNS1_3gpuE2ELNS1_3repE0EEENS1_30default_config_static_selectorELNS0_4arch9wavefront6targetE0EEEvSZ_,"axG",@progbits,_ZN7rocprim17ROCPRIM_400000_NS6detail17trampoline_kernelINS0_13select_configILj256ELj13ELNS0_17block_load_methodE3ELS4_3ELS4_3ELNS0_20block_scan_algorithmE0ELj4294967295EEENS1_25partition_config_selectorILNS1_17partition_subalgoE3EjNS0_10empty_typeEbEEZZNS1_14partition_implILS8_3ELb0ES6_jNS0_17counting_iteratorIjlEEPS9_SE_NS0_5tupleIJPjSE_EEENSF_IJSE_SE_EEES9_SG_JZNS1_25segmented_radix_sort_implINS0_14default_configELb1EPK12hip_bfloat16PSL_PKlPlN2at6native12_GLOBAL__N_18offset_tEEE10hipError_tPvRmT1_PNSt15iterator_traitsISZ_E10value_typeET2_T3_PNS10_IS15_E10value_typeET4_jRbjT5_S1B_jjP12ihipStream_tbEUljE_EEESW_SX_SY_S15_S19_S1B_T6_T7_T9_mT8_S1D_bDpT10_ENKUlT_T0_E_clISt17integral_constantIbLb1EES1Q_EEDaS1L_S1M_EUlS1L_E_NS1_11comp_targetILNS1_3genE8ELNS1_11target_archE1030ELNS1_3gpuE2ELNS1_3repE0EEENS1_30default_config_static_selectorELNS0_4arch9wavefront6targetE0EEEvSZ_,comdat
.Lfunc_end1919:
	.size	_ZN7rocprim17ROCPRIM_400000_NS6detail17trampoline_kernelINS0_13select_configILj256ELj13ELNS0_17block_load_methodE3ELS4_3ELS4_3ELNS0_20block_scan_algorithmE0ELj4294967295EEENS1_25partition_config_selectorILNS1_17partition_subalgoE3EjNS0_10empty_typeEbEEZZNS1_14partition_implILS8_3ELb0ES6_jNS0_17counting_iteratorIjlEEPS9_SE_NS0_5tupleIJPjSE_EEENSF_IJSE_SE_EEES9_SG_JZNS1_25segmented_radix_sort_implINS0_14default_configELb1EPK12hip_bfloat16PSL_PKlPlN2at6native12_GLOBAL__N_18offset_tEEE10hipError_tPvRmT1_PNSt15iterator_traitsISZ_E10value_typeET2_T3_PNS10_IS15_E10value_typeET4_jRbjT5_S1B_jjP12ihipStream_tbEUljE_EEESW_SX_SY_S15_S19_S1B_T6_T7_T9_mT8_S1D_bDpT10_ENKUlT_T0_E_clISt17integral_constantIbLb1EES1Q_EEDaS1L_S1M_EUlS1L_E_NS1_11comp_targetILNS1_3genE8ELNS1_11target_archE1030ELNS1_3gpuE2ELNS1_3repE0EEENS1_30default_config_static_selectorELNS0_4arch9wavefront6targetE0EEEvSZ_, .Lfunc_end1919-_ZN7rocprim17ROCPRIM_400000_NS6detail17trampoline_kernelINS0_13select_configILj256ELj13ELNS0_17block_load_methodE3ELS4_3ELS4_3ELNS0_20block_scan_algorithmE0ELj4294967295EEENS1_25partition_config_selectorILNS1_17partition_subalgoE3EjNS0_10empty_typeEbEEZZNS1_14partition_implILS8_3ELb0ES6_jNS0_17counting_iteratorIjlEEPS9_SE_NS0_5tupleIJPjSE_EEENSF_IJSE_SE_EEES9_SG_JZNS1_25segmented_radix_sort_implINS0_14default_configELb1EPK12hip_bfloat16PSL_PKlPlN2at6native12_GLOBAL__N_18offset_tEEE10hipError_tPvRmT1_PNSt15iterator_traitsISZ_E10value_typeET2_T3_PNS10_IS15_E10value_typeET4_jRbjT5_S1B_jjP12ihipStream_tbEUljE_EEESW_SX_SY_S15_S19_S1B_T6_T7_T9_mT8_S1D_bDpT10_ENKUlT_T0_E_clISt17integral_constantIbLb1EES1Q_EEDaS1L_S1M_EUlS1L_E_NS1_11comp_targetILNS1_3genE8ELNS1_11target_archE1030ELNS1_3gpuE2ELNS1_3repE0EEENS1_30default_config_static_selectorELNS0_4arch9wavefront6targetE0EEEvSZ_
                                        ; -- End function
	.set _ZN7rocprim17ROCPRIM_400000_NS6detail17trampoline_kernelINS0_13select_configILj256ELj13ELNS0_17block_load_methodE3ELS4_3ELS4_3ELNS0_20block_scan_algorithmE0ELj4294967295EEENS1_25partition_config_selectorILNS1_17partition_subalgoE3EjNS0_10empty_typeEbEEZZNS1_14partition_implILS8_3ELb0ES6_jNS0_17counting_iteratorIjlEEPS9_SE_NS0_5tupleIJPjSE_EEENSF_IJSE_SE_EEES9_SG_JZNS1_25segmented_radix_sort_implINS0_14default_configELb1EPK12hip_bfloat16PSL_PKlPlN2at6native12_GLOBAL__N_18offset_tEEE10hipError_tPvRmT1_PNSt15iterator_traitsISZ_E10value_typeET2_T3_PNS10_IS15_E10value_typeET4_jRbjT5_S1B_jjP12ihipStream_tbEUljE_EEESW_SX_SY_S15_S19_S1B_T6_T7_T9_mT8_S1D_bDpT10_ENKUlT_T0_E_clISt17integral_constantIbLb1EES1Q_EEDaS1L_S1M_EUlS1L_E_NS1_11comp_targetILNS1_3genE8ELNS1_11target_archE1030ELNS1_3gpuE2ELNS1_3repE0EEENS1_30default_config_static_selectorELNS0_4arch9wavefront6targetE0EEEvSZ_.num_vgpr, 0
	.set _ZN7rocprim17ROCPRIM_400000_NS6detail17trampoline_kernelINS0_13select_configILj256ELj13ELNS0_17block_load_methodE3ELS4_3ELS4_3ELNS0_20block_scan_algorithmE0ELj4294967295EEENS1_25partition_config_selectorILNS1_17partition_subalgoE3EjNS0_10empty_typeEbEEZZNS1_14partition_implILS8_3ELb0ES6_jNS0_17counting_iteratorIjlEEPS9_SE_NS0_5tupleIJPjSE_EEENSF_IJSE_SE_EEES9_SG_JZNS1_25segmented_radix_sort_implINS0_14default_configELb1EPK12hip_bfloat16PSL_PKlPlN2at6native12_GLOBAL__N_18offset_tEEE10hipError_tPvRmT1_PNSt15iterator_traitsISZ_E10value_typeET2_T3_PNS10_IS15_E10value_typeET4_jRbjT5_S1B_jjP12ihipStream_tbEUljE_EEESW_SX_SY_S15_S19_S1B_T6_T7_T9_mT8_S1D_bDpT10_ENKUlT_T0_E_clISt17integral_constantIbLb1EES1Q_EEDaS1L_S1M_EUlS1L_E_NS1_11comp_targetILNS1_3genE8ELNS1_11target_archE1030ELNS1_3gpuE2ELNS1_3repE0EEENS1_30default_config_static_selectorELNS0_4arch9wavefront6targetE0EEEvSZ_.num_agpr, 0
	.set _ZN7rocprim17ROCPRIM_400000_NS6detail17trampoline_kernelINS0_13select_configILj256ELj13ELNS0_17block_load_methodE3ELS4_3ELS4_3ELNS0_20block_scan_algorithmE0ELj4294967295EEENS1_25partition_config_selectorILNS1_17partition_subalgoE3EjNS0_10empty_typeEbEEZZNS1_14partition_implILS8_3ELb0ES6_jNS0_17counting_iteratorIjlEEPS9_SE_NS0_5tupleIJPjSE_EEENSF_IJSE_SE_EEES9_SG_JZNS1_25segmented_radix_sort_implINS0_14default_configELb1EPK12hip_bfloat16PSL_PKlPlN2at6native12_GLOBAL__N_18offset_tEEE10hipError_tPvRmT1_PNSt15iterator_traitsISZ_E10value_typeET2_T3_PNS10_IS15_E10value_typeET4_jRbjT5_S1B_jjP12ihipStream_tbEUljE_EEESW_SX_SY_S15_S19_S1B_T6_T7_T9_mT8_S1D_bDpT10_ENKUlT_T0_E_clISt17integral_constantIbLb1EES1Q_EEDaS1L_S1M_EUlS1L_E_NS1_11comp_targetILNS1_3genE8ELNS1_11target_archE1030ELNS1_3gpuE2ELNS1_3repE0EEENS1_30default_config_static_selectorELNS0_4arch9wavefront6targetE0EEEvSZ_.numbered_sgpr, 0
	.set _ZN7rocprim17ROCPRIM_400000_NS6detail17trampoline_kernelINS0_13select_configILj256ELj13ELNS0_17block_load_methodE3ELS4_3ELS4_3ELNS0_20block_scan_algorithmE0ELj4294967295EEENS1_25partition_config_selectorILNS1_17partition_subalgoE3EjNS0_10empty_typeEbEEZZNS1_14partition_implILS8_3ELb0ES6_jNS0_17counting_iteratorIjlEEPS9_SE_NS0_5tupleIJPjSE_EEENSF_IJSE_SE_EEES9_SG_JZNS1_25segmented_radix_sort_implINS0_14default_configELb1EPK12hip_bfloat16PSL_PKlPlN2at6native12_GLOBAL__N_18offset_tEEE10hipError_tPvRmT1_PNSt15iterator_traitsISZ_E10value_typeET2_T3_PNS10_IS15_E10value_typeET4_jRbjT5_S1B_jjP12ihipStream_tbEUljE_EEESW_SX_SY_S15_S19_S1B_T6_T7_T9_mT8_S1D_bDpT10_ENKUlT_T0_E_clISt17integral_constantIbLb1EES1Q_EEDaS1L_S1M_EUlS1L_E_NS1_11comp_targetILNS1_3genE8ELNS1_11target_archE1030ELNS1_3gpuE2ELNS1_3repE0EEENS1_30default_config_static_selectorELNS0_4arch9wavefront6targetE0EEEvSZ_.num_named_barrier, 0
	.set _ZN7rocprim17ROCPRIM_400000_NS6detail17trampoline_kernelINS0_13select_configILj256ELj13ELNS0_17block_load_methodE3ELS4_3ELS4_3ELNS0_20block_scan_algorithmE0ELj4294967295EEENS1_25partition_config_selectorILNS1_17partition_subalgoE3EjNS0_10empty_typeEbEEZZNS1_14partition_implILS8_3ELb0ES6_jNS0_17counting_iteratorIjlEEPS9_SE_NS0_5tupleIJPjSE_EEENSF_IJSE_SE_EEES9_SG_JZNS1_25segmented_radix_sort_implINS0_14default_configELb1EPK12hip_bfloat16PSL_PKlPlN2at6native12_GLOBAL__N_18offset_tEEE10hipError_tPvRmT1_PNSt15iterator_traitsISZ_E10value_typeET2_T3_PNS10_IS15_E10value_typeET4_jRbjT5_S1B_jjP12ihipStream_tbEUljE_EEESW_SX_SY_S15_S19_S1B_T6_T7_T9_mT8_S1D_bDpT10_ENKUlT_T0_E_clISt17integral_constantIbLb1EES1Q_EEDaS1L_S1M_EUlS1L_E_NS1_11comp_targetILNS1_3genE8ELNS1_11target_archE1030ELNS1_3gpuE2ELNS1_3repE0EEENS1_30default_config_static_selectorELNS0_4arch9wavefront6targetE0EEEvSZ_.private_seg_size, 0
	.set _ZN7rocprim17ROCPRIM_400000_NS6detail17trampoline_kernelINS0_13select_configILj256ELj13ELNS0_17block_load_methodE3ELS4_3ELS4_3ELNS0_20block_scan_algorithmE0ELj4294967295EEENS1_25partition_config_selectorILNS1_17partition_subalgoE3EjNS0_10empty_typeEbEEZZNS1_14partition_implILS8_3ELb0ES6_jNS0_17counting_iteratorIjlEEPS9_SE_NS0_5tupleIJPjSE_EEENSF_IJSE_SE_EEES9_SG_JZNS1_25segmented_radix_sort_implINS0_14default_configELb1EPK12hip_bfloat16PSL_PKlPlN2at6native12_GLOBAL__N_18offset_tEEE10hipError_tPvRmT1_PNSt15iterator_traitsISZ_E10value_typeET2_T3_PNS10_IS15_E10value_typeET4_jRbjT5_S1B_jjP12ihipStream_tbEUljE_EEESW_SX_SY_S15_S19_S1B_T6_T7_T9_mT8_S1D_bDpT10_ENKUlT_T0_E_clISt17integral_constantIbLb1EES1Q_EEDaS1L_S1M_EUlS1L_E_NS1_11comp_targetILNS1_3genE8ELNS1_11target_archE1030ELNS1_3gpuE2ELNS1_3repE0EEENS1_30default_config_static_selectorELNS0_4arch9wavefront6targetE0EEEvSZ_.uses_vcc, 0
	.set _ZN7rocprim17ROCPRIM_400000_NS6detail17trampoline_kernelINS0_13select_configILj256ELj13ELNS0_17block_load_methodE3ELS4_3ELS4_3ELNS0_20block_scan_algorithmE0ELj4294967295EEENS1_25partition_config_selectorILNS1_17partition_subalgoE3EjNS0_10empty_typeEbEEZZNS1_14partition_implILS8_3ELb0ES6_jNS0_17counting_iteratorIjlEEPS9_SE_NS0_5tupleIJPjSE_EEENSF_IJSE_SE_EEES9_SG_JZNS1_25segmented_radix_sort_implINS0_14default_configELb1EPK12hip_bfloat16PSL_PKlPlN2at6native12_GLOBAL__N_18offset_tEEE10hipError_tPvRmT1_PNSt15iterator_traitsISZ_E10value_typeET2_T3_PNS10_IS15_E10value_typeET4_jRbjT5_S1B_jjP12ihipStream_tbEUljE_EEESW_SX_SY_S15_S19_S1B_T6_T7_T9_mT8_S1D_bDpT10_ENKUlT_T0_E_clISt17integral_constantIbLb1EES1Q_EEDaS1L_S1M_EUlS1L_E_NS1_11comp_targetILNS1_3genE8ELNS1_11target_archE1030ELNS1_3gpuE2ELNS1_3repE0EEENS1_30default_config_static_selectorELNS0_4arch9wavefront6targetE0EEEvSZ_.uses_flat_scratch, 0
	.set _ZN7rocprim17ROCPRIM_400000_NS6detail17trampoline_kernelINS0_13select_configILj256ELj13ELNS0_17block_load_methodE3ELS4_3ELS4_3ELNS0_20block_scan_algorithmE0ELj4294967295EEENS1_25partition_config_selectorILNS1_17partition_subalgoE3EjNS0_10empty_typeEbEEZZNS1_14partition_implILS8_3ELb0ES6_jNS0_17counting_iteratorIjlEEPS9_SE_NS0_5tupleIJPjSE_EEENSF_IJSE_SE_EEES9_SG_JZNS1_25segmented_radix_sort_implINS0_14default_configELb1EPK12hip_bfloat16PSL_PKlPlN2at6native12_GLOBAL__N_18offset_tEEE10hipError_tPvRmT1_PNSt15iterator_traitsISZ_E10value_typeET2_T3_PNS10_IS15_E10value_typeET4_jRbjT5_S1B_jjP12ihipStream_tbEUljE_EEESW_SX_SY_S15_S19_S1B_T6_T7_T9_mT8_S1D_bDpT10_ENKUlT_T0_E_clISt17integral_constantIbLb1EES1Q_EEDaS1L_S1M_EUlS1L_E_NS1_11comp_targetILNS1_3genE8ELNS1_11target_archE1030ELNS1_3gpuE2ELNS1_3repE0EEENS1_30default_config_static_selectorELNS0_4arch9wavefront6targetE0EEEvSZ_.has_dyn_sized_stack, 0
	.set _ZN7rocprim17ROCPRIM_400000_NS6detail17trampoline_kernelINS0_13select_configILj256ELj13ELNS0_17block_load_methodE3ELS4_3ELS4_3ELNS0_20block_scan_algorithmE0ELj4294967295EEENS1_25partition_config_selectorILNS1_17partition_subalgoE3EjNS0_10empty_typeEbEEZZNS1_14partition_implILS8_3ELb0ES6_jNS0_17counting_iteratorIjlEEPS9_SE_NS0_5tupleIJPjSE_EEENSF_IJSE_SE_EEES9_SG_JZNS1_25segmented_radix_sort_implINS0_14default_configELb1EPK12hip_bfloat16PSL_PKlPlN2at6native12_GLOBAL__N_18offset_tEEE10hipError_tPvRmT1_PNSt15iterator_traitsISZ_E10value_typeET2_T3_PNS10_IS15_E10value_typeET4_jRbjT5_S1B_jjP12ihipStream_tbEUljE_EEESW_SX_SY_S15_S19_S1B_T6_T7_T9_mT8_S1D_bDpT10_ENKUlT_T0_E_clISt17integral_constantIbLb1EES1Q_EEDaS1L_S1M_EUlS1L_E_NS1_11comp_targetILNS1_3genE8ELNS1_11target_archE1030ELNS1_3gpuE2ELNS1_3repE0EEENS1_30default_config_static_selectorELNS0_4arch9wavefront6targetE0EEEvSZ_.has_recursion, 0
	.set _ZN7rocprim17ROCPRIM_400000_NS6detail17trampoline_kernelINS0_13select_configILj256ELj13ELNS0_17block_load_methodE3ELS4_3ELS4_3ELNS0_20block_scan_algorithmE0ELj4294967295EEENS1_25partition_config_selectorILNS1_17partition_subalgoE3EjNS0_10empty_typeEbEEZZNS1_14partition_implILS8_3ELb0ES6_jNS0_17counting_iteratorIjlEEPS9_SE_NS0_5tupleIJPjSE_EEENSF_IJSE_SE_EEES9_SG_JZNS1_25segmented_radix_sort_implINS0_14default_configELb1EPK12hip_bfloat16PSL_PKlPlN2at6native12_GLOBAL__N_18offset_tEEE10hipError_tPvRmT1_PNSt15iterator_traitsISZ_E10value_typeET2_T3_PNS10_IS15_E10value_typeET4_jRbjT5_S1B_jjP12ihipStream_tbEUljE_EEESW_SX_SY_S15_S19_S1B_T6_T7_T9_mT8_S1D_bDpT10_ENKUlT_T0_E_clISt17integral_constantIbLb1EES1Q_EEDaS1L_S1M_EUlS1L_E_NS1_11comp_targetILNS1_3genE8ELNS1_11target_archE1030ELNS1_3gpuE2ELNS1_3repE0EEENS1_30default_config_static_selectorELNS0_4arch9wavefront6targetE0EEEvSZ_.has_indirect_call, 0
	.section	.AMDGPU.csdata,"",@progbits
; Kernel info:
; codeLenInByte = 4
; TotalNumSgprs: 0
; NumVgprs: 0
; ScratchSize: 0
; MemoryBound: 0
; FloatMode: 240
; IeeeMode: 1
; LDSByteSize: 0 bytes/workgroup (compile time only)
; SGPRBlocks: 0
; VGPRBlocks: 0
; NumSGPRsForWavesPerEU: 1
; NumVGPRsForWavesPerEU: 1
; Occupancy: 16
; WaveLimiterHint : 0
; COMPUTE_PGM_RSRC2:SCRATCH_EN: 0
; COMPUTE_PGM_RSRC2:USER_SGPR: 6
; COMPUTE_PGM_RSRC2:TRAP_HANDLER: 0
; COMPUTE_PGM_RSRC2:TGID_X_EN: 1
; COMPUTE_PGM_RSRC2:TGID_Y_EN: 0
; COMPUTE_PGM_RSRC2:TGID_Z_EN: 0
; COMPUTE_PGM_RSRC2:TIDIG_COMP_CNT: 0
	.section	.text._ZN7rocprim17ROCPRIM_400000_NS6detail17trampoline_kernelINS0_13select_configILj256ELj13ELNS0_17block_load_methodE3ELS4_3ELS4_3ELNS0_20block_scan_algorithmE0ELj4294967295EEENS1_25partition_config_selectorILNS1_17partition_subalgoE3EjNS0_10empty_typeEbEEZZNS1_14partition_implILS8_3ELb0ES6_jNS0_17counting_iteratorIjlEEPS9_SE_NS0_5tupleIJPjSE_EEENSF_IJSE_SE_EEES9_SG_JZNS1_25segmented_radix_sort_implINS0_14default_configELb1EPK12hip_bfloat16PSL_PKlPlN2at6native12_GLOBAL__N_18offset_tEEE10hipError_tPvRmT1_PNSt15iterator_traitsISZ_E10value_typeET2_T3_PNS10_IS15_E10value_typeET4_jRbjT5_S1B_jjP12ihipStream_tbEUljE_EEESW_SX_SY_S15_S19_S1B_T6_T7_T9_mT8_S1D_bDpT10_ENKUlT_T0_E_clISt17integral_constantIbLb1EES1P_IbLb0EEEEDaS1L_S1M_EUlS1L_E_NS1_11comp_targetILNS1_3genE0ELNS1_11target_archE4294967295ELNS1_3gpuE0ELNS1_3repE0EEENS1_30default_config_static_selectorELNS0_4arch9wavefront6targetE0EEEvSZ_,"axG",@progbits,_ZN7rocprim17ROCPRIM_400000_NS6detail17trampoline_kernelINS0_13select_configILj256ELj13ELNS0_17block_load_methodE3ELS4_3ELS4_3ELNS0_20block_scan_algorithmE0ELj4294967295EEENS1_25partition_config_selectorILNS1_17partition_subalgoE3EjNS0_10empty_typeEbEEZZNS1_14partition_implILS8_3ELb0ES6_jNS0_17counting_iteratorIjlEEPS9_SE_NS0_5tupleIJPjSE_EEENSF_IJSE_SE_EEES9_SG_JZNS1_25segmented_radix_sort_implINS0_14default_configELb1EPK12hip_bfloat16PSL_PKlPlN2at6native12_GLOBAL__N_18offset_tEEE10hipError_tPvRmT1_PNSt15iterator_traitsISZ_E10value_typeET2_T3_PNS10_IS15_E10value_typeET4_jRbjT5_S1B_jjP12ihipStream_tbEUljE_EEESW_SX_SY_S15_S19_S1B_T6_T7_T9_mT8_S1D_bDpT10_ENKUlT_T0_E_clISt17integral_constantIbLb1EES1P_IbLb0EEEEDaS1L_S1M_EUlS1L_E_NS1_11comp_targetILNS1_3genE0ELNS1_11target_archE4294967295ELNS1_3gpuE0ELNS1_3repE0EEENS1_30default_config_static_selectorELNS0_4arch9wavefront6targetE0EEEvSZ_,comdat
	.globl	_ZN7rocprim17ROCPRIM_400000_NS6detail17trampoline_kernelINS0_13select_configILj256ELj13ELNS0_17block_load_methodE3ELS4_3ELS4_3ELNS0_20block_scan_algorithmE0ELj4294967295EEENS1_25partition_config_selectorILNS1_17partition_subalgoE3EjNS0_10empty_typeEbEEZZNS1_14partition_implILS8_3ELb0ES6_jNS0_17counting_iteratorIjlEEPS9_SE_NS0_5tupleIJPjSE_EEENSF_IJSE_SE_EEES9_SG_JZNS1_25segmented_radix_sort_implINS0_14default_configELb1EPK12hip_bfloat16PSL_PKlPlN2at6native12_GLOBAL__N_18offset_tEEE10hipError_tPvRmT1_PNSt15iterator_traitsISZ_E10value_typeET2_T3_PNS10_IS15_E10value_typeET4_jRbjT5_S1B_jjP12ihipStream_tbEUljE_EEESW_SX_SY_S15_S19_S1B_T6_T7_T9_mT8_S1D_bDpT10_ENKUlT_T0_E_clISt17integral_constantIbLb1EES1P_IbLb0EEEEDaS1L_S1M_EUlS1L_E_NS1_11comp_targetILNS1_3genE0ELNS1_11target_archE4294967295ELNS1_3gpuE0ELNS1_3repE0EEENS1_30default_config_static_selectorELNS0_4arch9wavefront6targetE0EEEvSZ_ ; -- Begin function _ZN7rocprim17ROCPRIM_400000_NS6detail17trampoline_kernelINS0_13select_configILj256ELj13ELNS0_17block_load_methodE3ELS4_3ELS4_3ELNS0_20block_scan_algorithmE0ELj4294967295EEENS1_25partition_config_selectorILNS1_17partition_subalgoE3EjNS0_10empty_typeEbEEZZNS1_14partition_implILS8_3ELb0ES6_jNS0_17counting_iteratorIjlEEPS9_SE_NS0_5tupleIJPjSE_EEENSF_IJSE_SE_EEES9_SG_JZNS1_25segmented_radix_sort_implINS0_14default_configELb1EPK12hip_bfloat16PSL_PKlPlN2at6native12_GLOBAL__N_18offset_tEEE10hipError_tPvRmT1_PNSt15iterator_traitsISZ_E10value_typeET2_T3_PNS10_IS15_E10value_typeET4_jRbjT5_S1B_jjP12ihipStream_tbEUljE_EEESW_SX_SY_S15_S19_S1B_T6_T7_T9_mT8_S1D_bDpT10_ENKUlT_T0_E_clISt17integral_constantIbLb1EES1P_IbLb0EEEEDaS1L_S1M_EUlS1L_E_NS1_11comp_targetILNS1_3genE0ELNS1_11target_archE4294967295ELNS1_3gpuE0ELNS1_3repE0EEENS1_30default_config_static_selectorELNS0_4arch9wavefront6targetE0EEEvSZ_
	.p2align	8
	.type	_ZN7rocprim17ROCPRIM_400000_NS6detail17trampoline_kernelINS0_13select_configILj256ELj13ELNS0_17block_load_methodE3ELS4_3ELS4_3ELNS0_20block_scan_algorithmE0ELj4294967295EEENS1_25partition_config_selectorILNS1_17partition_subalgoE3EjNS0_10empty_typeEbEEZZNS1_14partition_implILS8_3ELb0ES6_jNS0_17counting_iteratorIjlEEPS9_SE_NS0_5tupleIJPjSE_EEENSF_IJSE_SE_EEES9_SG_JZNS1_25segmented_radix_sort_implINS0_14default_configELb1EPK12hip_bfloat16PSL_PKlPlN2at6native12_GLOBAL__N_18offset_tEEE10hipError_tPvRmT1_PNSt15iterator_traitsISZ_E10value_typeET2_T3_PNS10_IS15_E10value_typeET4_jRbjT5_S1B_jjP12ihipStream_tbEUljE_EEESW_SX_SY_S15_S19_S1B_T6_T7_T9_mT8_S1D_bDpT10_ENKUlT_T0_E_clISt17integral_constantIbLb1EES1P_IbLb0EEEEDaS1L_S1M_EUlS1L_E_NS1_11comp_targetILNS1_3genE0ELNS1_11target_archE4294967295ELNS1_3gpuE0ELNS1_3repE0EEENS1_30default_config_static_selectorELNS0_4arch9wavefront6targetE0EEEvSZ_,@function
_ZN7rocprim17ROCPRIM_400000_NS6detail17trampoline_kernelINS0_13select_configILj256ELj13ELNS0_17block_load_methodE3ELS4_3ELS4_3ELNS0_20block_scan_algorithmE0ELj4294967295EEENS1_25partition_config_selectorILNS1_17partition_subalgoE3EjNS0_10empty_typeEbEEZZNS1_14partition_implILS8_3ELb0ES6_jNS0_17counting_iteratorIjlEEPS9_SE_NS0_5tupleIJPjSE_EEENSF_IJSE_SE_EEES9_SG_JZNS1_25segmented_radix_sort_implINS0_14default_configELb1EPK12hip_bfloat16PSL_PKlPlN2at6native12_GLOBAL__N_18offset_tEEE10hipError_tPvRmT1_PNSt15iterator_traitsISZ_E10value_typeET2_T3_PNS10_IS15_E10value_typeET4_jRbjT5_S1B_jjP12ihipStream_tbEUljE_EEESW_SX_SY_S15_S19_S1B_T6_T7_T9_mT8_S1D_bDpT10_ENKUlT_T0_E_clISt17integral_constantIbLb1EES1P_IbLb0EEEEDaS1L_S1M_EUlS1L_E_NS1_11comp_targetILNS1_3genE0ELNS1_11target_archE4294967295ELNS1_3gpuE0ELNS1_3repE0EEENS1_30default_config_static_selectorELNS0_4arch9wavefront6targetE0EEEvSZ_: ; @_ZN7rocprim17ROCPRIM_400000_NS6detail17trampoline_kernelINS0_13select_configILj256ELj13ELNS0_17block_load_methodE3ELS4_3ELS4_3ELNS0_20block_scan_algorithmE0ELj4294967295EEENS1_25partition_config_selectorILNS1_17partition_subalgoE3EjNS0_10empty_typeEbEEZZNS1_14partition_implILS8_3ELb0ES6_jNS0_17counting_iteratorIjlEEPS9_SE_NS0_5tupleIJPjSE_EEENSF_IJSE_SE_EEES9_SG_JZNS1_25segmented_radix_sort_implINS0_14default_configELb1EPK12hip_bfloat16PSL_PKlPlN2at6native12_GLOBAL__N_18offset_tEEE10hipError_tPvRmT1_PNSt15iterator_traitsISZ_E10value_typeET2_T3_PNS10_IS15_E10value_typeET4_jRbjT5_S1B_jjP12ihipStream_tbEUljE_EEESW_SX_SY_S15_S19_S1B_T6_T7_T9_mT8_S1D_bDpT10_ENKUlT_T0_E_clISt17integral_constantIbLb1EES1P_IbLb0EEEEDaS1L_S1M_EUlS1L_E_NS1_11comp_targetILNS1_3genE0ELNS1_11target_archE4294967295ELNS1_3gpuE0ELNS1_3repE0EEENS1_30default_config_static_selectorELNS0_4arch9wavefront6targetE0EEEvSZ_
; %bb.0:
	.section	.rodata,"a",@progbits
	.p2align	6, 0x0
	.amdhsa_kernel _ZN7rocprim17ROCPRIM_400000_NS6detail17trampoline_kernelINS0_13select_configILj256ELj13ELNS0_17block_load_methodE3ELS4_3ELS4_3ELNS0_20block_scan_algorithmE0ELj4294967295EEENS1_25partition_config_selectorILNS1_17partition_subalgoE3EjNS0_10empty_typeEbEEZZNS1_14partition_implILS8_3ELb0ES6_jNS0_17counting_iteratorIjlEEPS9_SE_NS0_5tupleIJPjSE_EEENSF_IJSE_SE_EEES9_SG_JZNS1_25segmented_radix_sort_implINS0_14default_configELb1EPK12hip_bfloat16PSL_PKlPlN2at6native12_GLOBAL__N_18offset_tEEE10hipError_tPvRmT1_PNSt15iterator_traitsISZ_E10value_typeET2_T3_PNS10_IS15_E10value_typeET4_jRbjT5_S1B_jjP12ihipStream_tbEUljE_EEESW_SX_SY_S15_S19_S1B_T6_T7_T9_mT8_S1D_bDpT10_ENKUlT_T0_E_clISt17integral_constantIbLb1EES1P_IbLb0EEEEDaS1L_S1M_EUlS1L_E_NS1_11comp_targetILNS1_3genE0ELNS1_11target_archE4294967295ELNS1_3gpuE0ELNS1_3repE0EEENS1_30default_config_static_selectorELNS0_4arch9wavefront6targetE0EEEvSZ_
		.amdhsa_group_segment_fixed_size 0
		.amdhsa_private_segment_fixed_size 0
		.amdhsa_kernarg_size 144
		.amdhsa_user_sgpr_count 6
		.amdhsa_user_sgpr_private_segment_buffer 1
		.amdhsa_user_sgpr_dispatch_ptr 0
		.amdhsa_user_sgpr_queue_ptr 0
		.amdhsa_user_sgpr_kernarg_segment_ptr 1
		.amdhsa_user_sgpr_dispatch_id 0
		.amdhsa_user_sgpr_flat_scratch_init 0
		.amdhsa_user_sgpr_private_segment_size 0
		.amdhsa_wavefront_size32 1
		.amdhsa_uses_dynamic_stack 0
		.amdhsa_system_sgpr_private_segment_wavefront_offset 0
		.amdhsa_system_sgpr_workgroup_id_x 1
		.amdhsa_system_sgpr_workgroup_id_y 0
		.amdhsa_system_sgpr_workgroup_id_z 0
		.amdhsa_system_sgpr_workgroup_info 0
		.amdhsa_system_vgpr_workitem_id 0
		.amdhsa_next_free_vgpr 1
		.amdhsa_next_free_sgpr 1
		.amdhsa_reserve_vcc 0
		.amdhsa_reserve_flat_scratch 0
		.amdhsa_float_round_mode_32 0
		.amdhsa_float_round_mode_16_64 0
		.amdhsa_float_denorm_mode_32 3
		.amdhsa_float_denorm_mode_16_64 3
		.amdhsa_dx10_clamp 1
		.amdhsa_ieee_mode 1
		.amdhsa_fp16_overflow 0
		.amdhsa_workgroup_processor_mode 1
		.amdhsa_memory_ordered 1
		.amdhsa_forward_progress 1
		.amdhsa_shared_vgpr_count 0
		.amdhsa_exception_fp_ieee_invalid_op 0
		.amdhsa_exception_fp_denorm_src 0
		.amdhsa_exception_fp_ieee_div_zero 0
		.amdhsa_exception_fp_ieee_overflow 0
		.amdhsa_exception_fp_ieee_underflow 0
		.amdhsa_exception_fp_ieee_inexact 0
		.amdhsa_exception_int_div_zero 0
	.end_amdhsa_kernel
	.section	.text._ZN7rocprim17ROCPRIM_400000_NS6detail17trampoline_kernelINS0_13select_configILj256ELj13ELNS0_17block_load_methodE3ELS4_3ELS4_3ELNS0_20block_scan_algorithmE0ELj4294967295EEENS1_25partition_config_selectorILNS1_17partition_subalgoE3EjNS0_10empty_typeEbEEZZNS1_14partition_implILS8_3ELb0ES6_jNS0_17counting_iteratorIjlEEPS9_SE_NS0_5tupleIJPjSE_EEENSF_IJSE_SE_EEES9_SG_JZNS1_25segmented_radix_sort_implINS0_14default_configELb1EPK12hip_bfloat16PSL_PKlPlN2at6native12_GLOBAL__N_18offset_tEEE10hipError_tPvRmT1_PNSt15iterator_traitsISZ_E10value_typeET2_T3_PNS10_IS15_E10value_typeET4_jRbjT5_S1B_jjP12ihipStream_tbEUljE_EEESW_SX_SY_S15_S19_S1B_T6_T7_T9_mT8_S1D_bDpT10_ENKUlT_T0_E_clISt17integral_constantIbLb1EES1P_IbLb0EEEEDaS1L_S1M_EUlS1L_E_NS1_11comp_targetILNS1_3genE0ELNS1_11target_archE4294967295ELNS1_3gpuE0ELNS1_3repE0EEENS1_30default_config_static_selectorELNS0_4arch9wavefront6targetE0EEEvSZ_,"axG",@progbits,_ZN7rocprim17ROCPRIM_400000_NS6detail17trampoline_kernelINS0_13select_configILj256ELj13ELNS0_17block_load_methodE3ELS4_3ELS4_3ELNS0_20block_scan_algorithmE0ELj4294967295EEENS1_25partition_config_selectorILNS1_17partition_subalgoE3EjNS0_10empty_typeEbEEZZNS1_14partition_implILS8_3ELb0ES6_jNS0_17counting_iteratorIjlEEPS9_SE_NS0_5tupleIJPjSE_EEENSF_IJSE_SE_EEES9_SG_JZNS1_25segmented_radix_sort_implINS0_14default_configELb1EPK12hip_bfloat16PSL_PKlPlN2at6native12_GLOBAL__N_18offset_tEEE10hipError_tPvRmT1_PNSt15iterator_traitsISZ_E10value_typeET2_T3_PNS10_IS15_E10value_typeET4_jRbjT5_S1B_jjP12ihipStream_tbEUljE_EEESW_SX_SY_S15_S19_S1B_T6_T7_T9_mT8_S1D_bDpT10_ENKUlT_T0_E_clISt17integral_constantIbLb1EES1P_IbLb0EEEEDaS1L_S1M_EUlS1L_E_NS1_11comp_targetILNS1_3genE0ELNS1_11target_archE4294967295ELNS1_3gpuE0ELNS1_3repE0EEENS1_30default_config_static_selectorELNS0_4arch9wavefront6targetE0EEEvSZ_,comdat
.Lfunc_end1920:
	.size	_ZN7rocprim17ROCPRIM_400000_NS6detail17trampoline_kernelINS0_13select_configILj256ELj13ELNS0_17block_load_methodE3ELS4_3ELS4_3ELNS0_20block_scan_algorithmE0ELj4294967295EEENS1_25partition_config_selectorILNS1_17partition_subalgoE3EjNS0_10empty_typeEbEEZZNS1_14partition_implILS8_3ELb0ES6_jNS0_17counting_iteratorIjlEEPS9_SE_NS0_5tupleIJPjSE_EEENSF_IJSE_SE_EEES9_SG_JZNS1_25segmented_radix_sort_implINS0_14default_configELb1EPK12hip_bfloat16PSL_PKlPlN2at6native12_GLOBAL__N_18offset_tEEE10hipError_tPvRmT1_PNSt15iterator_traitsISZ_E10value_typeET2_T3_PNS10_IS15_E10value_typeET4_jRbjT5_S1B_jjP12ihipStream_tbEUljE_EEESW_SX_SY_S15_S19_S1B_T6_T7_T9_mT8_S1D_bDpT10_ENKUlT_T0_E_clISt17integral_constantIbLb1EES1P_IbLb0EEEEDaS1L_S1M_EUlS1L_E_NS1_11comp_targetILNS1_3genE0ELNS1_11target_archE4294967295ELNS1_3gpuE0ELNS1_3repE0EEENS1_30default_config_static_selectorELNS0_4arch9wavefront6targetE0EEEvSZ_, .Lfunc_end1920-_ZN7rocprim17ROCPRIM_400000_NS6detail17trampoline_kernelINS0_13select_configILj256ELj13ELNS0_17block_load_methodE3ELS4_3ELS4_3ELNS0_20block_scan_algorithmE0ELj4294967295EEENS1_25partition_config_selectorILNS1_17partition_subalgoE3EjNS0_10empty_typeEbEEZZNS1_14partition_implILS8_3ELb0ES6_jNS0_17counting_iteratorIjlEEPS9_SE_NS0_5tupleIJPjSE_EEENSF_IJSE_SE_EEES9_SG_JZNS1_25segmented_radix_sort_implINS0_14default_configELb1EPK12hip_bfloat16PSL_PKlPlN2at6native12_GLOBAL__N_18offset_tEEE10hipError_tPvRmT1_PNSt15iterator_traitsISZ_E10value_typeET2_T3_PNS10_IS15_E10value_typeET4_jRbjT5_S1B_jjP12ihipStream_tbEUljE_EEESW_SX_SY_S15_S19_S1B_T6_T7_T9_mT8_S1D_bDpT10_ENKUlT_T0_E_clISt17integral_constantIbLb1EES1P_IbLb0EEEEDaS1L_S1M_EUlS1L_E_NS1_11comp_targetILNS1_3genE0ELNS1_11target_archE4294967295ELNS1_3gpuE0ELNS1_3repE0EEENS1_30default_config_static_selectorELNS0_4arch9wavefront6targetE0EEEvSZ_
                                        ; -- End function
	.set _ZN7rocprim17ROCPRIM_400000_NS6detail17trampoline_kernelINS0_13select_configILj256ELj13ELNS0_17block_load_methodE3ELS4_3ELS4_3ELNS0_20block_scan_algorithmE0ELj4294967295EEENS1_25partition_config_selectorILNS1_17partition_subalgoE3EjNS0_10empty_typeEbEEZZNS1_14partition_implILS8_3ELb0ES6_jNS0_17counting_iteratorIjlEEPS9_SE_NS0_5tupleIJPjSE_EEENSF_IJSE_SE_EEES9_SG_JZNS1_25segmented_radix_sort_implINS0_14default_configELb1EPK12hip_bfloat16PSL_PKlPlN2at6native12_GLOBAL__N_18offset_tEEE10hipError_tPvRmT1_PNSt15iterator_traitsISZ_E10value_typeET2_T3_PNS10_IS15_E10value_typeET4_jRbjT5_S1B_jjP12ihipStream_tbEUljE_EEESW_SX_SY_S15_S19_S1B_T6_T7_T9_mT8_S1D_bDpT10_ENKUlT_T0_E_clISt17integral_constantIbLb1EES1P_IbLb0EEEEDaS1L_S1M_EUlS1L_E_NS1_11comp_targetILNS1_3genE0ELNS1_11target_archE4294967295ELNS1_3gpuE0ELNS1_3repE0EEENS1_30default_config_static_selectorELNS0_4arch9wavefront6targetE0EEEvSZ_.num_vgpr, 0
	.set _ZN7rocprim17ROCPRIM_400000_NS6detail17trampoline_kernelINS0_13select_configILj256ELj13ELNS0_17block_load_methodE3ELS4_3ELS4_3ELNS0_20block_scan_algorithmE0ELj4294967295EEENS1_25partition_config_selectorILNS1_17partition_subalgoE3EjNS0_10empty_typeEbEEZZNS1_14partition_implILS8_3ELb0ES6_jNS0_17counting_iteratorIjlEEPS9_SE_NS0_5tupleIJPjSE_EEENSF_IJSE_SE_EEES9_SG_JZNS1_25segmented_radix_sort_implINS0_14default_configELb1EPK12hip_bfloat16PSL_PKlPlN2at6native12_GLOBAL__N_18offset_tEEE10hipError_tPvRmT1_PNSt15iterator_traitsISZ_E10value_typeET2_T3_PNS10_IS15_E10value_typeET4_jRbjT5_S1B_jjP12ihipStream_tbEUljE_EEESW_SX_SY_S15_S19_S1B_T6_T7_T9_mT8_S1D_bDpT10_ENKUlT_T0_E_clISt17integral_constantIbLb1EES1P_IbLb0EEEEDaS1L_S1M_EUlS1L_E_NS1_11comp_targetILNS1_3genE0ELNS1_11target_archE4294967295ELNS1_3gpuE0ELNS1_3repE0EEENS1_30default_config_static_selectorELNS0_4arch9wavefront6targetE0EEEvSZ_.num_agpr, 0
	.set _ZN7rocprim17ROCPRIM_400000_NS6detail17trampoline_kernelINS0_13select_configILj256ELj13ELNS0_17block_load_methodE3ELS4_3ELS4_3ELNS0_20block_scan_algorithmE0ELj4294967295EEENS1_25partition_config_selectorILNS1_17partition_subalgoE3EjNS0_10empty_typeEbEEZZNS1_14partition_implILS8_3ELb0ES6_jNS0_17counting_iteratorIjlEEPS9_SE_NS0_5tupleIJPjSE_EEENSF_IJSE_SE_EEES9_SG_JZNS1_25segmented_radix_sort_implINS0_14default_configELb1EPK12hip_bfloat16PSL_PKlPlN2at6native12_GLOBAL__N_18offset_tEEE10hipError_tPvRmT1_PNSt15iterator_traitsISZ_E10value_typeET2_T3_PNS10_IS15_E10value_typeET4_jRbjT5_S1B_jjP12ihipStream_tbEUljE_EEESW_SX_SY_S15_S19_S1B_T6_T7_T9_mT8_S1D_bDpT10_ENKUlT_T0_E_clISt17integral_constantIbLb1EES1P_IbLb0EEEEDaS1L_S1M_EUlS1L_E_NS1_11comp_targetILNS1_3genE0ELNS1_11target_archE4294967295ELNS1_3gpuE0ELNS1_3repE0EEENS1_30default_config_static_selectorELNS0_4arch9wavefront6targetE0EEEvSZ_.numbered_sgpr, 0
	.set _ZN7rocprim17ROCPRIM_400000_NS6detail17trampoline_kernelINS0_13select_configILj256ELj13ELNS0_17block_load_methodE3ELS4_3ELS4_3ELNS0_20block_scan_algorithmE0ELj4294967295EEENS1_25partition_config_selectorILNS1_17partition_subalgoE3EjNS0_10empty_typeEbEEZZNS1_14partition_implILS8_3ELb0ES6_jNS0_17counting_iteratorIjlEEPS9_SE_NS0_5tupleIJPjSE_EEENSF_IJSE_SE_EEES9_SG_JZNS1_25segmented_radix_sort_implINS0_14default_configELb1EPK12hip_bfloat16PSL_PKlPlN2at6native12_GLOBAL__N_18offset_tEEE10hipError_tPvRmT1_PNSt15iterator_traitsISZ_E10value_typeET2_T3_PNS10_IS15_E10value_typeET4_jRbjT5_S1B_jjP12ihipStream_tbEUljE_EEESW_SX_SY_S15_S19_S1B_T6_T7_T9_mT8_S1D_bDpT10_ENKUlT_T0_E_clISt17integral_constantIbLb1EES1P_IbLb0EEEEDaS1L_S1M_EUlS1L_E_NS1_11comp_targetILNS1_3genE0ELNS1_11target_archE4294967295ELNS1_3gpuE0ELNS1_3repE0EEENS1_30default_config_static_selectorELNS0_4arch9wavefront6targetE0EEEvSZ_.num_named_barrier, 0
	.set _ZN7rocprim17ROCPRIM_400000_NS6detail17trampoline_kernelINS0_13select_configILj256ELj13ELNS0_17block_load_methodE3ELS4_3ELS4_3ELNS0_20block_scan_algorithmE0ELj4294967295EEENS1_25partition_config_selectorILNS1_17partition_subalgoE3EjNS0_10empty_typeEbEEZZNS1_14partition_implILS8_3ELb0ES6_jNS0_17counting_iteratorIjlEEPS9_SE_NS0_5tupleIJPjSE_EEENSF_IJSE_SE_EEES9_SG_JZNS1_25segmented_radix_sort_implINS0_14default_configELb1EPK12hip_bfloat16PSL_PKlPlN2at6native12_GLOBAL__N_18offset_tEEE10hipError_tPvRmT1_PNSt15iterator_traitsISZ_E10value_typeET2_T3_PNS10_IS15_E10value_typeET4_jRbjT5_S1B_jjP12ihipStream_tbEUljE_EEESW_SX_SY_S15_S19_S1B_T6_T7_T9_mT8_S1D_bDpT10_ENKUlT_T0_E_clISt17integral_constantIbLb1EES1P_IbLb0EEEEDaS1L_S1M_EUlS1L_E_NS1_11comp_targetILNS1_3genE0ELNS1_11target_archE4294967295ELNS1_3gpuE0ELNS1_3repE0EEENS1_30default_config_static_selectorELNS0_4arch9wavefront6targetE0EEEvSZ_.private_seg_size, 0
	.set _ZN7rocprim17ROCPRIM_400000_NS6detail17trampoline_kernelINS0_13select_configILj256ELj13ELNS0_17block_load_methodE3ELS4_3ELS4_3ELNS0_20block_scan_algorithmE0ELj4294967295EEENS1_25partition_config_selectorILNS1_17partition_subalgoE3EjNS0_10empty_typeEbEEZZNS1_14partition_implILS8_3ELb0ES6_jNS0_17counting_iteratorIjlEEPS9_SE_NS0_5tupleIJPjSE_EEENSF_IJSE_SE_EEES9_SG_JZNS1_25segmented_radix_sort_implINS0_14default_configELb1EPK12hip_bfloat16PSL_PKlPlN2at6native12_GLOBAL__N_18offset_tEEE10hipError_tPvRmT1_PNSt15iterator_traitsISZ_E10value_typeET2_T3_PNS10_IS15_E10value_typeET4_jRbjT5_S1B_jjP12ihipStream_tbEUljE_EEESW_SX_SY_S15_S19_S1B_T6_T7_T9_mT8_S1D_bDpT10_ENKUlT_T0_E_clISt17integral_constantIbLb1EES1P_IbLb0EEEEDaS1L_S1M_EUlS1L_E_NS1_11comp_targetILNS1_3genE0ELNS1_11target_archE4294967295ELNS1_3gpuE0ELNS1_3repE0EEENS1_30default_config_static_selectorELNS0_4arch9wavefront6targetE0EEEvSZ_.uses_vcc, 0
	.set _ZN7rocprim17ROCPRIM_400000_NS6detail17trampoline_kernelINS0_13select_configILj256ELj13ELNS0_17block_load_methodE3ELS4_3ELS4_3ELNS0_20block_scan_algorithmE0ELj4294967295EEENS1_25partition_config_selectorILNS1_17partition_subalgoE3EjNS0_10empty_typeEbEEZZNS1_14partition_implILS8_3ELb0ES6_jNS0_17counting_iteratorIjlEEPS9_SE_NS0_5tupleIJPjSE_EEENSF_IJSE_SE_EEES9_SG_JZNS1_25segmented_radix_sort_implINS0_14default_configELb1EPK12hip_bfloat16PSL_PKlPlN2at6native12_GLOBAL__N_18offset_tEEE10hipError_tPvRmT1_PNSt15iterator_traitsISZ_E10value_typeET2_T3_PNS10_IS15_E10value_typeET4_jRbjT5_S1B_jjP12ihipStream_tbEUljE_EEESW_SX_SY_S15_S19_S1B_T6_T7_T9_mT8_S1D_bDpT10_ENKUlT_T0_E_clISt17integral_constantIbLb1EES1P_IbLb0EEEEDaS1L_S1M_EUlS1L_E_NS1_11comp_targetILNS1_3genE0ELNS1_11target_archE4294967295ELNS1_3gpuE0ELNS1_3repE0EEENS1_30default_config_static_selectorELNS0_4arch9wavefront6targetE0EEEvSZ_.uses_flat_scratch, 0
	.set _ZN7rocprim17ROCPRIM_400000_NS6detail17trampoline_kernelINS0_13select_configILj256ELj13ELNS0_17block_load_methodE3ELS4_3ELS4_3ELNS0_20block_scan_algorithmE0ELj4294967295EEENS1_25partition_config_selectorILNS1_17partition_subalgoE3EjNS0_10empty_typeEbEEZZNS1_14partition_implILS8_3ELb0ES6_jNS0_17counting_iteratorIjlEEPS9_SE_NS0_5tupleIJPjSE_EEENSF_IJSE_SE_EEES9_SG_JZNS1_25segmented_radix_sort_implINS0_14default_configELb1EPK12hip_bfloat16PSL_PKlPlN2at6native12_GLOBAL__N_18offset_tEEE10hipError_tPvRmT1_PNSt15iterator_traitsISZ_E10value_typeET2_T3_PNS10_IS15_E10value_typeET4_jRbjT5_S1B_jjP12ihipStream_tbEUljE_EEESW_SX_SY_S15_S19_S1B_T6_T7_T9_mT8_S1D_bDpT10_ENKUlT_T0_E_clISt17integral_constantIbLb1EES1P_IbLb0EEEEDaS1L_S1M_EUlS1L_E_NS1_11comp_targetILNS1_3genE0ELNS1_11target_archE4294967295ELNS1_3gpuE0ELNS1_3repE0EEENS1_30default_config_static_selectorELNS0_4arch9wavefront6targetE0EEEvSZ_.has_dyn_sized_stack, 0
	.set _ZN7rocprim17ROCPRIM_400000_NS6detail17trampoline_kernelINS0_13select_configILj256ELj13ELNS0_17block_load_methodE3ELS4_3ELS4_3ELNS0_20block_scan_algorithmE0ELj4294967295EEENS1_25partition_config_selectorILNS1_17partition_subalgoE3EjNS0_10empty_typeEbEEZZNS1_14partition_implILS8_3ELb0ES6_jNS0_17counting_iteratorIjlEEPS9_SE_NS0_5tupleIJPjSE_EEENSF_IJSE_SE_EEES9_SG_JZNS1_25segmented_radix_sort_implINS0_14default_configELb1EPK12hip_bfloat16PSL_PKlPlN2at6native12_GLOBAL__N_18offset_tEEE10hipError_tPvRmT1_PNSt15iterator_traitsISZ_E10value_typeET2_T3_PNS10_IS15_E10value_typeET4_jRbjT5_S1B_jjP12ihipStream_tbEUljE_EEESW_SX_SY_S15_S19_S1B_T6_T7_T9_mT8_S1D_bDpT10_ENKUlT_T0_E_clISt17integral_constantIbLb1EES1P_IbLb0EEEEDaS1L_S1M_EUlS1L_E_NS1_11comp_targetILNS1_3genE0ELNS1_11target_archE4294967295ELNS1_3gpuE0ELNS1_3repE0EEENS1_30default_config_static_selectorELNS0_4arch9wavefront6targetE0EEEvSZ_.has_recursion, 0
	.set _ZN7rocprim17ROCPRIM_400000_NS6detail17trampoline_kernelINS0_13select_configILj256ELj13ELNS0_17block_load_methodE3ELS4_3ELS4_3ELNS0_20block_scan_algorithmE0ELj4294967295EEENS1_25partition_config_selectorILNS1_17partition_subalgoE3EjNS0_10empty_typeEbEEZZNS1_14partition_implILS8_3ELb0ES6_jNS0_17counting_iteratorIjlEEPS9_SE_NS0_5tupleIJPjSE_EEENSF_IJSE_SE_EEES9_SG_JZNS1_25segmented_radix_sort_implINS0_14default_configELb1EPK12hip_bfloat16PSL_PKlPlN2at6native12_GLOBAL__N_18offset_tEEE10hipError_tPvRmT1_PNSt15iterator_traitsISZ_E10value_typeET2_T3_PNS10_IS15_E10value_typeET4_jRbjT5_S1B_jjP12ihipStream_tbEUljE_EEESW_SX_SY_S15_S19_S1B_T6_T7_T9_mT8_S1D_bDpT10_ENKUlT_T0_E_clISt17integral_constantIbLb1EES1P_IbLb0EEEEDaS1L_S1M_EUlS1L_E_NS1_11comp_targetILNS1_3genE0ELNS1_11target_archE4294967295ELNS1_3gpuE0ELNS1_3repE0EEENS1_30default_config_static_selectorELNS0_4arch9wavefront6targetE0EEEvSZ_.has_indirect_call, 0
	.section	.AMDGPU.csdata,"",@progbits
; Kernel info:
; codeLenInByte = 0
; TotalNumSgprs: 0
; NumVgprs: 0
; ScratchSize: 0
; MemoryBound: 0
; FloatMode: 240
; IeeeMode: 1
; LDSByteSize: 0 bytes/workgroup (compile time only)
; SGPRBlocks: 0
; VGPRBlocks: 0
; NumSGPRsForWavesPerEU: 1
; NumVGPRsForWavesPerEU: 1
; Occupancy: 16
; WaveLimiterHint : 0
; COMPUTE_PGM_RSRC2:SCRATCH_EN: 0
; COMPUTE_PGM_RSRC2:USER_SGPR: 6
; COMPUTE_PGM_RSRC2:TRAP_HANDLER: 0
; COMPUTE_PGM_RSRC2:TGID_X_EN: 1
; COMPUTE_PGM_RSRC2:TGID_Y_EN: 0
; COMPUTE_PGM_RSRC2:TGID_Z_EN: 0
; COMPUTE_PGM_RSRC2:TIDIG_COMP_CNT: 0
	.section	.text._ZN7rocprim17ROCPRIM_400000_NS6detail17trampoline_kernelINS0_13select_configILj256ELj13ELNS0_17block_load_methodE3ELS4_3ELS4_3ELNS0_20block_scan_algorithmE0ELj4294967295EEENS1_25partition_config_selectorILNS1_17partition_subalgoE3EjNS0_10empty_typeEbEEZZNS1_14partition_implILS8_3ELb0ES6_jNS0_17counting_iteratorIjlEEPS9_SE_NS0_5tupleIJPjSE_EEENSF_IJSE_SE_EEES9_SG_JZNS1_25segmented_radix_sort_implINS0_14default_configELb1EPK12hip_bfloat16PSL_PKlPlN2at6native12_GLOBAL__N_18offset_tEEE10hipError_tPvRmT1_PNSt15iterator_traitsISZ_E10value_typeET2_T3_PNS10_IS15_E10value_typeET4_jRbjT5_S1B_jjP12ihipStream_tbEUljE_EEESW_SX_SY_S15_S19_S1B_T6_T7_T9_mT8_S1D_bDpT10_ENKUlT_T0_E_clISt17integral_constantIbLb1EES1P_IbLb0EEEEDaS1L_S1M_EUlS1L_E_NS1_11comp_targetILNS1_3genE5ELNS1_11target_archE942ELNS1_3gpuE9ELNS1_3repE0EEENS1_30default_config_static_selectorELNS0_4arch9wavefront6targetE0EEEvSZ_,"axG",@progbits,_ZN7rocprim17ROCPRIM_400000_NS6detail17trampoline_kernelINS0_13select_configILj256ELj13ELNS0_17block_load_methodE3ELS4_3ELS4_3ELNS0_20block_scan_algorithmE0ELj4294967295EEENS1_25partition_config_selectorILNS1_17partition_subalgoE3EjNS0_10empty_typeEbEEZZNS1_14partition_implILS8_3ELb0ES6_jNS0_17counting_iteratorIjlEEPS9_SE_NS0_5tupleIJPjSE_EEENSF_IJSE_SE_EEES9_SG_JZNS1_25segmented_radix_sort_implINS0_14default_configELb1EPK12hip_bfloat16PSL_PKlPlN2at6native12_GLOBAL__N_18offset_tEEE10hipError_tPvRmT1_PNSt15iterator_traitsISZ_E10value_typeET2_T3_PNS10_IS15_E10value_typeET4_jRbjT5_S1B_jjP12ihipStream_tbEUljE_EEESW_SX_SY_S15_S19_S1B_T6_T7_T9_mT8_S1D_bDpT10_ENKUlT_T0_E_clISt17integral_constantIbLb1EES1P_IbLb0EEEEDaS1L_S1M_EUlS1L_E_NS1_11comp_targetILNS1_3genE5ELNS1_11target_archE942ELNS1_3gpuE9ELNS1_3repE0EEENS1_30default_config_static_selectorELNS0_4arch9wavefront6targetE0EEEvSZ_,comdat
	.globl	_ZN7rocprim17ROCPRIM_400000_NS6detail17trampoline_kernelINS0_13select_configILj256ELj13ELNS0_17block_load_methodE3ELS4_3ELS4_3ELNS0_20block_scan_algorithmE0ELj4294967295EEENS1_25partition_config_selectorILNS1_17partition_subalgoE3EjNS0_10empty_typeEbEEZZNS1_14partition_implILS8_3ELb0ES6_jNS0_17counting_iteratorIjlEEPS9_SE_NS0_5tupleIJPjSE_EEENSF_IJSE_SE_EEES9_SG_JZNS1_25segmented_radix_sort_implINS0_14default_configELb1EPK12hip_bfloat16PSL_PKlPlN2at6native12_GLOBAL__N_18offset_tEEE10hipError_tPvRmT1_PNSt15iterator_traitsISZ_E10value_typeET2_T3_PNS10_IS15_E10value_typeET4_jRbjT5_S1B_jjP12ihipStream_tbEUljE_EEESW_SX_SY_S15_S19_S1B_T6_T7_T9_mT8_S1D_bDpT10_ENKUlT_T0_E_clISt17integral_constantIbLb1EES1P_IbLb0EEEEDaS1L_S1M_EUlS1L_E_NS1_11comp_targetILNS1_3genE5ELNS1_11target_archE942ELNS1_3gpuE9ELNS1_3repE0EEENS1_30default_config_static_selectorELNS0_4arch9wavefront6targetE0EEEvSZ_ ; -- Begin function _ZN7rocprim17ROCPRIM_400000_NS6detail17trampoline_kernelINS0_13select_configILj256ELj13ELNS0_17block_load_methodE3ELS4_3ELS4_3ELNS0_20block_scan_algorithmE0ELj4294967295EEENS1_25partition_config_selectorILNS1_17partition_subalgoE3EjNS0_10empty_typeEbEEZZNS1_14partition_implILS8_3ELb0ES6_jNS0_17counting_iteratorIjlEEPS9_SE_NS0_5tupleIJPjSE_EEENSF_IJSE_SE_EEES9_SG_JZNS1_25segmented_radix_sort_implINS0_14default_configELb1EPK12hip_bfloat16PSL_PKlPlN2at6native12_GLOBAL__N_18offset_tEEE10hipError_tPvRmT1_PNSt15iterator_traitsISZ_E10value_typeET2_T3_PNS10_IS15_E10value_typeET4_jRbjT5_S1B_jjP12ihipStream_tbEUljE_EEESW_SX_SY_S15_S19_S1B_T6_T7_T9_mT8_S1D_bDpT10_ENKUlT_T0_E_clISt17integral_constantIbLb1EES1P_IbLb0EEEEDaS1L_S1M_EUlS1L_E_NS1_11comp_targetILNS1_3genE5ELNS1_11target_archE942ELNS1_3gpuE9ELNS1_3repE0EEENS1_30default_config_static_selectorELNS0_4arch9wavefront6targetE0EEEvSZ_
	.p2align	8
	.type	_ZN7rocprim17ROCPRIM_400000_NS6detail17trampoline_kernelINS0_13select_configILj256ELj13ELNS0_17block_load_methodE3ELS4_3ELS4_3ELNS0_20block_scan_algorithmE0ELj4294967295EEENS1_25partition_config_selectorILNS1_17partition_subalgoE3EjNS0_10empty_typeEbEEZZNS1_14partition_implILS8_3ELb0ES6_jNS0_17counting_iteratorIjlEEPS9_SE_NS0_5tupleIJPjSE_EEENSF_IJSE_SE_EEES9_SG_JZNS1_25segmented_radix_sort_implINS0_14default_configELb1EPK12hip_bfloat16PSL_PKlPlN2at6native12_GLOBAL__N_18offset_tEEE10hipError_tPvRmT1_PNSt15iterator_traitsISZ_E10value_typeET2_T3_PNS10_IS15_E10value_typeET4_jRbjT5_S1B_jjP12ihipStream_tbEUljE_EEESW_SX_SY_S15_S19_S1B_T6_T7_T9_mT8_S1D_bDpT10_ENKUlT_T0_E_clISt17integral_constantIbLb1EES1P_IbLb0EEEEDaS1L_S1M_EUlS1L_E_NS1_11comp_targetILNS1_3genE5ELNS1_11target_archE942ELNS1_3gpuE9ELNS1_3repE0EEENS1_30default_config_static_selectorELNS0_4arch9wavefront6targetE0EEEvSZ_,@function
_ZN7rocprim17ROCPRIM_400000_NS6detail17trampoline_kernelINS0_13select_configILj256ELj13ELNS0_17block_load_methodE3ELS4_3ELS4_3ELNS0_20block_scan_algorithmE0ELj4294967295EEENS1_25partition_config_selectorILNS1_17partition_subalgoE3EjNS0_10empty_typeEbEEZZNS1_14partition_implILS8_3ELb0ES6_jNS0_17counting_iteratorIjlEEPS9_SE_NS0_5tupleIJPjSE_EEENSF_IJSE_SE_EEES9_SG_JZNS1_25segmented_radix_sort_implINS0_14default_configELb1EPK12hip_bfloat16PSL_PKlPlN2at6native12_GLOBAL__N_18offset_tEEE10hipError_tPvRmT1_PNSt15iterator_traitsISZ_E10value_typeET2_T3_PNS10_IS15_E10value_typeET4_jRbjT5_S1B_jjP12ihipStream_tbEUljE_EEESW_SX_SY_S15_S19_S1B_T6_T7_T9_mT8_S1D_bDpT10_ENKUlT_T0_E_clISt17integral_constantIbLb1EES1P_IbLb0EEEEDaS1L_S1M_EUlS1L_E_NS1_11comp_targetILNS1_3genE5ELNS1_11target_archE942ELNS1_3gpuE9ELNS1_3repE0EEENS1_30default_config_static_selectorELNS0_4arch9wavefront6targetE0EEEvSZ_: ; @_ZN7rocprim17ROCPRIM_400000_NS6detail17trampoline_kernelINS0_13select_configILj256ELj13ELNS0_17block_load_methodE3ELS4_3ELS4_3ELNS0_20block_scan_algorithmE0ELj4294967295EEENS1_25partition_config_selectorILNS1_17partition_subalgoE3EjNS0_10empty_typeEbEEZZNS1_14partition_implILS8_3ELb0ES6_jNS0_17counting_iteratorIjlEEPS9_SE_NS0_5tupleIJPjSE_EEENSF_IJSE_SE_EEES9_SG_JZNS1_25segmented_radix_sort_implINS0_14default_configELb1EPK12hip_bfloat16PSL_PKlPlN2at6native12_GLOBAL__N_18offset_tEEE10hipError_tPvRmT1_PNSt15iterator_traitsISZ_E10value_typeET2_T3_PNS10_IS15_E10value_typeET4_jRbjT5_S1B_jjP12ihipStream_tbEUljE_EEESW_SX_SY_S15_S19_S1B_T6_T7_T9_mT8_S1D_bDpT10_ENKUlT_T0_E_clISt17integral_constantIbLb1EES1P_IbLb0EEEEDaS1L_S1M_EUlS1L_E_NS1_11comp_targetILNS1_3genE5ELNS1_11target_archE942ELNS1_3gpuE9ELNS1_3repE0EEENS1_30default_config_static_selectorELNS0_4arch9wavefront6targetE0EEEvSZ_
; %bb.0:
	.section	.rodata,"a",@progbits
	.p2align	6, 0x0
	.amdhsa_kernel _ZN7rocprim17ROCPRIM_400000_NS6detail17trampoline_kernelINS0_13select_configILj256ELj13ELNS0_17block_load_methodE3ELS4_3ELS4_3ELNS0_20block_scan_algorithmE0ELj4294967295EEENS1_25partition_config_selectorILNS1_17partition_subalgoE3EjNS0_10empty_typeEbEEZZNS1_14partition_implILS8_3ELb0ES6_jNS0_17counting_iteratorIjlEEPS9_SE_NS0_5tupleIJPjSE_EEENSF_IJSE_SE_EEES9_SG_JZNS1_25segmented_radix_sort_implINS0_14default_configELb1EPK12hip_bfloat16PSL_PKlPlN2at6native12_GLOBAL__N_18offset_tEEE10hipError_tPvRmT1_PNSt15iterator_traitsISZ_E10value_typeET2_T3_PNS10_IS15_E10value_typeET4_jRbjT5_S1B_jjP12ihipStream_tbEUljE_EEESW_SX_SY_S15_S19_S1B_T6_T7_T9_mT8_S1D_bDpT10_ENKUlT_T0_E_clISt17integral_constantIbLb1EES1P_IbLb0EEEEDaS1L_S1M_EUlS1L_E_NS1_11comp_targetILNS1_3genE5ELNS1_11target_archE942ELNS1_3gpuE9ELNS1_3repE0EEENS1_30default_config_static_selectorELNS0_4arch9wavefront6targetE0EEEvSZ_
		.amdhsa_group_segment_fixed_size 0
		.amdhsa_private_segment_fixed_size 0
		.amdhsa_kernarg_size 144
		.amdhsa_user_sgpr_count 6
		.amdhsa_user_sgpr_private_segment_buffer 1
		.amdhsa_user_sgpr_dispatch_ptr 0
		.amdhsa_user_sgpr_queue_ptr 0
		.amdhsa_user_sgpr_kernarg_segment_ptr 1
		.amdhsa_user_sgpr_dispatch_id 0
		.amdhsa_user_sgpr_flat_scratch_init 0
		.amdhsa_user_sgpr_private_segment_size 0
		.amdhsa_wavefront_size32 1
		.amdhsa_uses_dynamic_stack 0
		.amdhsa_system_sgpr_private_segment_wavefront_offset 0
		.amdhsa_system_sgpr_workgroup_id_x 1
		.amdhsa_system_sgpr_workgroup_id_y 0
		.amdhsa_system_sgpr_workgroup_id_z 0
		.amdhsa_system_sgpr_workgroup_info 0
		.amdhsa_system_vgpr_workitem_id 0
		.amdhsa_next_free_vgpr 1
		.amdhsa_next_free_sgpr 1
		.amdhsa_reserve_vcc 0
		.amdhsa_reserve_flat_scratch 0
		.amdhsa_float_round_mode_32 0
		.amdhsa_float_round_mode_16_64 0
		.amdhsa_float_denorm_mode_32 3
		.amdhsa_float_denorm_mode_16_64 3
		.amdhsa_dx10_clamp 1
		.amdhsa_ieee_mode 1
		.amdhsa_fp16_overflow 0
		.amdhsa_workgroup_processor_mode 1
		.amdhsa_memory_ordered 1
		.amdhsa_forward_progress 1
		.amdhsa_shared_vgpr_count 0
		.amdhsa_exception_fp_ieee_invalid_op 0
		.amdhsa_exception_fp_denorm_src 0
		.amdhsa_exception_fp_ieee_div_zero 0
		.amdhsa_exception_fp_ieee_overflow 0
		.amdhsa_exception_fp_ieee_underflow 0
		.amdhsa_exception_fp_ieee_inexact 0
		.amdhsa_exception_int_div_zero 0
	.end_amdhsa_kernel
	.section	.text._ZN7rocprim17ROCPRIM_400000_NS6detail17trampoline_kernelINS0_13select_configILj256ELj13ELNS0_17block_load_methodE3ELS4_3ELS4_3ELNS0_20block_scan_algorithmE0ELj4294967295EEENS1_25partition_config_selectorILNS1_17partition_subalgoE3EjNS0_10empty_typeEbEEZZNS1_14partition_implILS8_3ELb0ES6_jNS0_17counting_iteratorIjlEEPS9_SE_NS0_5tupleIJPjSE_EEENSF_IJSE_SE_EEES9_SG_JZNS1_25segmented_radix_sort_implINS0_14default_configELb1EPK12hip_bfloat16PSL_PKlPlN2at6native12_GLOBAL__N_18offset_tEEE10hipError_tPvRmT1_PNSt15iterator_traitsISZ_E10value_typeET2_T3_PNS10_IS15_E10value_typeET4_jRbjT5_S1B_jjP12ihipStream_tbEUljE_EEESW_SX_SY_S15_S19_S1B_T6_T7_T9_mT8_S1D_bDpT10_ENKUlT_T0_E_clISt17integral_constantIbLb1EES1P_IbLb0EEEEDaS1L_S1M_EUlS1L_E_NS1_11comp_targetILNS1_3genE5ELNS1_11target_archE942ELNS1_3gpuE9ELNS1_3repE0EEENS1_30default_config_static_selectorELNS0_4arch9wavefront6targetE0EEEvSZ_,"axG",@progbits,_ZN7rocprim17ROCPRIM_400000_NS6detail17trampoline_kernelINS0_13select_configILj256ELj13ELNS0_17block_load_methodE3ELS4_3ELS4_3ELNS0_20block_scan_algorithmE0ELj4294967295EEENS1_25partition_config_selectorILNS1_17partition_subalgoE3EjNS0_10empty_typeEbEEZZNS1_14partition_implILS8_3ELb0ES6_jNS0_17counting_iteratorIjlEEPS9_SE_NS0_5tupleIJPjSE_EEENSF_IJSE_SE_EEES9_SG_JZNS1_25segmented_radix_sort_implINS0_14default_configELb1EPK12hip_bfloat16PSL_PKlPlN2at6native12_GLOBAL__N_18offset_tEEE10hipError_tPvRmT1_PNSt15iterator_traitsISZ_E10value_typeET2_T3_PNS10_IS15_E10value_typeET4_jRbjT5_S1B_jjP12ihipStream_tbEUljE_EEESW_SX_SY_S15_S19_S1B_T6_T7_T9_mT8_S1D_bDpT10_ENKUlT_T0_E_clISt17integral_constantIbLb1EES1P_IbLb0EEEEDaS1L_S1M_EUlS1L_E_NS1_11comp_targetILNS1_3genE5ELNS1_11target_archE942ELNS1_3gpuE9ELNS1_3repE0EEENS1_30default_config_static_selectorELNS0_4arch9wavefront6targetE0EEEvSZ_,comdat
.Lfunc_end1921:
	.size	_ZN7rocprim17ROCPRIM_400000_NS6detail17trampoline_kernelINS0_13select_configILj256ELj13ELNS0_17block_load_methodE3ELS4_3ELS4_3ELNS0_20block_scan_algorithmE0ELj4294967295EEENS1_25partition_config_selectorILNS1_17partition_subalgoE3EjNS0_10empty_typeEbEEZZNS1_14partition_implILS8_3ELb0ES6_jNS0_17counting_iteratorIjlEEPS9_SE_NS0_5tupleIJPjSE_EEENSF_IJSE_SE_EEES9_SG_JZNS1_25segmented_radix_sort_implINS0_14default_configELb1EPK12hip_bfloat16PSL_PKlPlN2at6native12_GLOBAL__N_18offset_tEEE10hipError_tPvRmT1_PNSt15iterator_traitsISZ_E10value_typeET2_T3_PNS10_IS15_E10value_typeET4_jRbjT5_S1B_jjP12ihipStream_tbEUljE_EEESW_SX_SY_S15_S19_S1B_T6_T7_T9_mT8_S1D_bDpT10_ENKUlT_T0_E_clISt17integral_constantIbLb1EES1P_IbLb0EEEEDaS1L_S1M_EUlS1L_E_NS1_11comp_targetILNS1_3genE5ELNS1_11target_archE942ELNS1_3gpuE9ELNS1_3repE0EEENS1_30default_config_static_selectorELNS0_4arch9wavefront6targetE0EEEvSZ_, .Lfunc_end1921-_ZN7rocprim17ROCPRIM_400000_NS6detail17trampoline_kernelINS0_13select_configILj256ELj13ELNS0_17block_load_methodE3ELS4_3ELS4_3ELNS0_20block_scan_algorithmE0ELj4294967295EEENS1_25partition_config_selectorILNS1_17partition_subalgoE3EjNS0_10empty_typeEbEEZZNS1_14partition_implILS8_3ELb0ES6_jNS0_17counting_iteratorIjlEEPS9_SE_NS0_5tupleIJPjSE_EEENSF_IJSE_SE_EEES9_SG_JZNS1_25segmented_radix_sort_implINS0_14default_configELb1EPK12hip_bfloat16PSL_PKlPlN2at6native12_GLOBAL__N_18offset_tEEE10hipError_tPvRmT1_PNSt15iterator_traitsISZ_E10value_typeET2_T3_PNS10_IS15_E10value_typeET4_jRbjT5_S1B_jjP12ihipStream_tbEUljE_EEESW_SX_SY_S15_S19_S1B_T6_T7_T9_mT8_S1D_bDpT10_ENKUlT_T0_E_clISt17integral_constantIbLb1EES1P_IbLb0EEEEDaS1L_S1M_EUlS1L_E_NS1_11comp_targetILNS1_3genE5ELNS1_11target_archE942ELNS1_3gpuE9ELNS1_3repE0EEENS1_30default_config_static_selectorELNS0_4arch9wavefront6targetE0EEEvSZ_
                                        ; -- End function
	.set _ZN7rocprim17ROCPRIM_400000_NS6detail17trampoline_kernelINS0_13select_configILj256ELj13ELNS0_17block_load_methodE3ELS4_3ELS4_3ELNS0_20block_scan_algorithmE0ELj4294967295EEENS1_25partition_config_selectorILNS1_17partition_subalgoE3EjNS0_10empty_typeEbEEZZNS1_14partition_implILS8_3ELb0ES6_jNS0_17counting_iteratorIjlEEPS9_SE_NS0_5tupleIJPjSE_EEENSF_IJSE_SE_EEES9_SG_JZNS1_25segmented_radix_sort_implINS0_14default_configELb1EPK12hip_bfloat16PSL_PKlPlN2at6native12_GLOBAL__N_18offset_tEEE10hipError_tPvRmT1_PNSt15iterator_traitsISZ_E10value_typeET2_T3_PNS10_IS15_E10value_typeET4_jRbjT5_S1B_jjP12ihipStream_tbEUljE_EEESW_SX_SY_S15_S19_S1B_T6_T7_T9_mT8_S1D_bDpT10_ENKUlT_T0_E_clISt17integral_constantIbLb1EES1P_IbLb0EEEEDaS1L_S1M_EUlS1L_E_NS1_11comp_targetILNS1_3genE5ELNS1_11target_archE942ELNS1_3gpuE9ELNS1_3repE0EEENS1_30default_config_static_selectorELNS0_4arch9wavefront6targetE0EEEvSZ_.num_vgpr, 0
	.set _ZN7rocprim17ROCPRIM_400000_NS6detail17trampoline_kernelINS0_13select_configILj256ELj13ELNS0_17block_load_methodE3ELS4_3ELS4_3ELNS0_20block_scan_algorithmE0ELj4294967295EEENS1_25partition_config_selectorILNS1_17partition_subalgoE3EjNS0_10empty_typeEbEEZZNS1_14partition_implILS8_3ELb0ES6_jNS0_17counting_iteratorIjlEEPS9_SE_NS0_5tupleIJPjSE_EEENSF_IJSE_SE_EEES9_SG_JZNS1_25segmented_radix_sort_implINS0_14default_configELb1EPK12hip_bfloat16PSL_PKlPlN2at6native12_GLOBAL__N_18offset_tEEE10hipError_tPvRmT1_PNSt15iterator_traitsISZ_E10value_typeET2_T3_PNS10_IS15_E10value_typeET4_jRbjT5_S1B_jjP12ihipStream_tbEUljE_EEESW_SX_SY_S15_S19_S1B_T6_T7_T9_mT8_S1D_bDpT10_ENKUlT_T0_E_clISt17integral_constantIbLb1EES1P_IbLb0EEEEDaS1L_S1M_EUlS1L_E_NS1_11comp_targetILNS1_3genE5ELNS1_11target_archE942ELNS1_3gpuE9ELNS1_3repE0EEENS1_30default_config_static_selectorELNS0_4arch9wavefront6targetE0EEEvSZ_.num_agpr, 0
	.set _ZN7rocprim17ROCPRIM_400000_NS6detail17trampoline_kernelINS0_13select_configILj256ELj13ELNS0_17block_load_methodE3ELS4_3ELS4_3ELNS0_20block_scan_algorithmE0ELj4294967295EEENS1_25partition_config_selectorILNS1_17partition_subalgoE3EjNS0_10empty_typeEbEEZZNS1_14partition_implILS8_3ELb0ES6_jNS0_17counting_iteratorIjlEEPS9_SE_NS0_5tupleIJPjSE_EEENSF_IJSE_SE_EEES9_SG_JZNS1_25segmented_radix_sort_implINS0_14default_configELb1EPK12hip_bfloat16PSL_PKlPlN2at6native12_GLOBAL__N_18offset_tEEE10hipError_tPvRmT1_PNSt15iterator_traitsISZ_E10value_typeET2_T3_PNS10_IS15_E10value_typeET4_jRbjT5_S1B_jjP12ihipStream_tbEUljE_EEESW_SX_SY_S15_S19_S1B_T6_T7_T9_mT8_S1D_bDpT10_ENKUlT_T0_E_clISt17integral_constantIbLb1EES1P_IbLb0EEEEDaS1L_S1M_EUlS1L_E_NS1_11comp_targetILNS1_3genE5ELNS1_11target_archE942ELNS1_3gpuE9ELNS1_3repE0EEENS1_30default_config_static_selectorELNS0_4arch9wavefront6targetE0EEEvSZ_.numbered_sgpr, 0
	.set _ZN7rocprim17ROCPRIM_400000_NS6detail17trampoline_kernelINS0_13select_configILj256ELj13ELNS0_17block_load_methodE3ELS4_3ELS4_3ELNS0_20block_scan_algorithmE0ELj4294967295EEENS1_25partition_config_selectorILNS1_17partition_subalgoE3EjNS0_10empty_typeEbEEZZNS1_14partition_implILS8_3ELb0ES6_jNS0_17counting_iteratorIjlEEPS9_SE_NS0_5tupleIJPjSE_EEENSF_IJSE_SE_EEES9_SG_JZNS1_25segmented_radix_sort_implINS0_14default_configELb1EPK12hip_bfloat16PSL_PKlPlN2at6native12_GLOBAL__N_18offset_tEEE10hipError_tPvRmT1_PNSt15iterator_traitsISZ_E10value_typeET2_T3_PNS10_IS15_E10value_typeET4_jRbjT5_S1B_jjP12ihipStream_tbEUljE_EEESW_SX_SY_S15_S19_S1B_T6_T7_T9_mT8_S1D_bDpT10_ENKUlT_T0_E_clISt17integral_constantIbLb1EES1P_IbLb0EEEEDaS1L_S1M_EUlS1L_E_NS1_11comp_targetILNS1_3genE5ELNS1_11target_archE942ELNS1_3gpuE9ELNS1_3repE0EEENS1_30default_config_static_selectorELNS0_4arch9wavefront6targetE0EEEvSZ_.num_named_barrier, 0
	.set _ZN7rocprim17ROCPRIM_400000_NS6detail17trampoline_kernelINS0_13select_configILj256ELj13ELNS0_17block_load_methodE3ELS4_3ELS4_3ELNS0_20block_scan_algorithmE0ELj4294967295EEENS1_25partition_config_selectorILNS1_17partition_subalgoE3EjNS0_10empty_typeEbEEZZNS1_14partition_implILS8_3ELb0ES6_jNS0_17counting_iteratorIjlEEPS9_SE_NS0_5tupleIJPjSE_EEENSF_IJSE_SE_EEES9_SG_JZNS1_25segmented_radix_sort_implINS0_14default_configELb1EPK12hip_bfloat16PSL_PKlPlN2at6native12_GLOBAL__N_18offset_tEEE10hipError_tPvRmT1_PNSt15iterator_traitsISZ_E10value_typeET2_T3_PNS10_IS15_E10value_typeET4_jRbjT5_S1B_jjP12ihipStream_tbEUljE_EEESW_SX_SY_S15_S19_S1B_T6_T7_T9_mT8_S1D_bDpT10_ENKUlT_T0_E_clISt17integral_constantIbLb1EES1P_IbLb0EEEEDaS1L_S1M_EUlS1L_E_NS1_11comp_targetILNS1_3genE5ELNS1_11target_archE942ELNS1_3gpuE9ELNS1_3repE0EEENS1_30default_config_static_selectorELNS0_4arch9wavefront6targetE0EEEvSZ_.private_seg_size, 0
	.set _ZN7rocprim17ROCPRIM_400000_NS6detail17trampoline_kernelINS0_13select_configILj256ELj13ELNS0_17block_load_methodE3ELS4_3ELS4_3ELNS0_20block_scan_algorithmE0ELj4294967295EEENS1_25partition_config_selectorILNS1_17partition_subalgoE3EjNS0_10empty_typeEbEEZZNS1_14partition_implILS8_3ELb0ES6_jNS0_17counting_iteratorIjlEEPS9_SE_NS0_5tupleIJPjSE_EEENSF_IJSE_SE_EEES9_SG_JZNS1_25segmented_radix_sort_implINS0_14default_configELb1EPK12hip_bfloat16PSL_PKlPlN2at6native12_GLOBAL__N_18offset_tEEE10hipError_tPvRmT1_PNSt15iterator_traitsISZ_E10value_typeET2_T3_PNS10_IS15_E10value_typeET4_jRbjT5_S1B_jjP12ihipStream_tbEUljE_EEESW_SX_SY_S15_S19_S1B_T6_T7_T9_mT8_S1D_bDpT10_ENKUlT_T0_E_clISt17integral_constantIbLb1EES1P_IbLb0EEEEDaS1L_S1M_EUlS1L_E_NS1_11comp_targetILNS1_3genE5ELNS1_11target_archE942ELNS1_3gpuE9ELNS1_3repE0EEENS1_30default_config_static_selectorELNS0_4arch9wavefront6targetE0EEEvSZ_.uses_vcc, 0
	.set _ZN7rocprim17ROCPRIM_400000_NS6detail17trampoline_kernelINS0_13select_configILj256ELj13ELNS0_17block_load_methodE3ELS4_3ELS4_3ELNS0_20block_scan_algorithmE0ELj4294967295EEENS1_25partition_config_selectorILNS1_17partition_subalgoE3EjNS0_10empty_typeEbEEZZNS1_14partition_implILS8_3ELb0ES6_jNS0_17counting_iteratorIjlEEPS9_SE_NS0_5tupleIJPjSE_EEENSF_IJSE_SE_EEES9_SG_JZNS1_25segmented_radix_sort_implINS0_14default_configELb1EPK12hip_bfloat16PSL_PKlPlN2at6native12_GLOBAL__N_18offset_tEEE10hipError_tPvRmT1_PNSt15iterator_traitsISZ_E10value_typeET2_T3_PNS10_IS15_E10value_typeET4_jRbjT5_S1B_jjP12ihipStream_tbEUljE_EEESW_SX_SY_S15_S19_S1B_T6_T7_T9_mT8_S1D_bDpT10_ENKUlT_T0_E_clISt17integral_constantIbLb1EES1P_IbLb0EEEEDaS1L_S1M_EUlS1L_E_NS1_11comp_targetILNS1_3genE5ELNS1_11target_archE942ELNS1_3gpuE9ELNS1_3repE0EEENS1_30default_config_static_selectorELNS0_4arch9wavefront6targetE0EEEvSZ_.uses_flat_scratch, 0
	.set _ZN7rocprim17ROCPRIM_400000_NS6detail17trampoline_kernelINS0_13select_configILj256ELj13ELNS0_17block_load_methodE3ELS4_3ELS4_3ELNS0_20block_scan_algorithmE0ELj4294967295EEENS1_25partition_config_selectorILNS1_17partition_subalgoE3EjNS0_10empty_typeEbEEZZNS1_14partition_implILS8_3ELb0ES6_jNS0_17counting_iteratorIjlEEPS9_SE_NS0_5tupleIJPjSE_EEENSF_IJSE_SE_EEES9_SG_JZNS1_25segmented_radix_sort_implINS0_14default_configELb1EPK12hip_bfloat16PSL_PKlPlN2at6native12_GLOBAL__N_18offset_tEEE10hipError_tPvRmT1_PNSt15iterator_traitsISZ_E10value_typeET2_T3_PNS10_IS15_E10value_typeET4_jRbjT5_S1B_jjP12ihipStream_tbEUljE_EEESW_SX_SY_S15_S19_S1B_T6_T7_T9_mT8_S1D_bDpT10_ENKUlT_T0_E_clISt17integral_constantIbLb1EES1P_IbLb0EEEEDaS1L_S1M_EUlS1L_E_NS1_11comp_targetILNS1_3genE5ELNS1_11target_archE942ELNS1_3gpuE9ELNS1_3repE0EEENS1_30default_config_static_selectorELNS0_4arch9wavefront6targetE0EEEvSZ_.has_dyn_sized_stack, 0
	.set _ZN7rocprim17ROCPRIM_400000_NS6detail17trampoline_kernelINS0_13select_configILj256ELj13ELNS0_17block_load_methodE3ELS4_3ELS4_3ELNS0_20block_scan_algorithmE0ELj4294967295EEENS1_25partition_config_selectorILNS1_17partition_subalgoE3EjNS0_10empty_typeEbEEZZNS1_14partition_implILS8_3ELb0ES6_jNS0_17counting_iteratorIjlEEPS9_SE_NS0_5tupleIJPjSE_EEENSF_IJSE_SE_EEES9_SG_JZNS1_25segmented_radix_sort_implINS0_14default_configELb1EPK12hip_bfloat16PSL_PKlPlN2at6native12_GLOBAL__N_18offset_tEEE10hipError_tPvRmT1_PNSt15iterator_traitsISZ_E10value_typeET2_T3_PNS10_IS15_E10value_typeET4_jRbjT5_S1B_jjP12ihipStream_tbEUljE_EEESW_SX_SY_S15_S19_S1B_T6_T7_T9_mT8_S1D_bDpT10_ENKUlT_T0_E_clISt17integral_constantIbLb1EES1P_IbLb0EEEEDaS1L_S1M_EUlS1L_E_NS1_11comp_targetILNS1_3genE5ELNS1_11target_archE942ELNS1_3gpuE9ELNS1_3repE0EEENS1_30default_config_static_selectorELNS0_4arch9wavefront6targetE0EEEvSZ_.has_recursion, 0
	.set _ZN7rocprim17ROCPRIM_400000_NS6detail17trampoline_kernelINS0_13select_configILj256ELj13ELNS0_17block_load_methodE3ELS4_3ELS4_3ELNS0_20block_scan_algorithmE0ELj4294967295EEENS1_25partition_config_selectorILNS1_17partition_subalgoE3EjNS0_10empty_typeEbEEZZNS1_14partition_implILS8_3ELb0ES6_jNS0_17counting_iteratorIjlEEPS9_SE_NS0_5tupleIJPjSE_EEENSF_IJSE_SE_EEES9_SG_JZNS1_25segmented_radix_sort_implINS0_14default_configELb1EPK12hip_bfloat16PSL_PKlPlN2at6native12_GLOBAL__N_18offset_tEEE10hipError_tPvRmT1_PNSt15iterator_traitsISZ_E10value_typeET2_T3_PNS10_IS15_E10value_typeET4_jRbjT5_S1B_jjP12ihipStream_tbEUljE_EEESW_SX_SY_S15_S19_S1B_T6_T7_T9_mT8_S1D_bDpT10_ENKUlT_T0_E_clISt17integral_constantIbLb1EES1P_IbLb0EEEEDaS1L_S1M_EUlS1L_E_NS1_11comp_targetILNS1_3genE5ELNS1_11target_archE942ELNS1_3gpuE9ELNS1_3repE0EEENS1_30default_config_static_selectorELNS0_4arch9wavefront6targetE0EEEvSZ_.has_indirect_call, 0
	.section	.AMDGPU.csdata,"",@progbits
; Kernel info:
; codeLenInByte = 0
; TotalNumSgprs: 0
; NumVgprs: 0
; ScratchSize: 0
; MemoryBound: 0
; FloatMode: 240
; IeeeMode: 1
; LDSByteSize: 0 bytes/workgroup (compile time only)
; SGPRBlocks: 0
; VGPRBlocks: 0
; NumSGPRsForWavesPerEU: 1
; NumVGPRsForWavesPerEU: 1
; Occupancy: 16
; WaveLimiterHint : 0
; COMPUTE_PGM_RSRC2:SCRATCH_EN: 0
; COMPUTE_PGM_RSRC2:USER_SGPR: 6
; COMPUTE_PGM_RSRC2:TRAP_HANDLER: 0
; COMPUTE_PGM_RSRC2:TGID_X_EN: 1
; COMPUTE_PGM_RSRC2:TGID_Y_EN: 0
; COMPUTE_PGM_RSRC2:TGID_Z_EN: 0
; COMPUTE_PGM_RSRC2:TIDIG_COMP_CNT: 0
	.section	.text._ZN7rocprim17ROCPRIM_400000_NS6detail17trampoline_kernelINS0_13select_configILj256ELj13ELNS0_17block_load_methodE3ELS4_3ELS4_3ELNS0_20block_scan_algorithmE0ELj4294967295EEENS1_25partition_config_selectorILNS1_17partition_subalgoE3EjNS0_10empty_typeEbEEZZNS1_14partition_implILS8_3ELb0ES6_jNS0_17counting_iteratorIjlEEPS9_SE_NS0_5tupleIJPjSE_EEENSF_IJSE_SE_EEES9_SG_JZNS1_25segmented_radix_sort_implINS0_14default_configELb1EPK12hip_bfloat16PSL_PKlPlN2at6native12_GLOBAL__N_18offset_tEEE10hipError_tPvRmT1_PNSt15iterator_traitsISZ_E10value_typeET2_T3_PNS10_IS15_E10value_typeET4_jRbjT5_S1B_jjP12ihipStream_tbEUljE_EEESW_SX_SY_S15_S19_S1B_T6_T7_T9_mT8_S1D_bDpT10_ENKUlT_T0_E_clISt17integral_constantIbLb1EES1P_IbLb0EEEEDaS1L_S1M_EUlS1L_E_NS1_11comp_targetILNS1_3genE4ELNS1_11target_archE910ELNS1_3gpuE8ELNS1_3repE0EEENS1_30default_config_static_selectorELNS0_4arch9wavefront6targetE0EEEvSZ_,"axG",@progbits,_ZN7rocprim17ROCPRIM_400000_NS6detail17trampoline_kernelINS0_13select_configILj256ELj13ELNS0_17block_load_methodE3ELS4_3ELS4_3ELNS0_20block_scan_algorithmE0ELj4294967295EEENS1_25partition_config_selectorILNS1_17partition_subalgoE3EjNS0_10empty_typeEbEEZZNS1_14partition_implILS8_3ELb0ES6_jNS0_17counting_iteratorIjlEEPS9_SE_NS0_5tupleIJPjSE_EEENSF_IJSE_SE_EEES9_SG_JZNS1_25segmented_radix_sort_implINS0_14default_configELb1EPK12hip_bfloat16PSL_PKlPlN2at6native12_GLOBAL__N_18offset_tEEE10hipError_tPvRmT1_PNSt15iterator_traitsISZ_E10value_typeET2_T3_PNS10_IS15_E10value_typeET4_jRbjT5_S1B_jjP12ihipStream_tbEUljE_EEESW_SX_SY_S15_S19_S1B_T6_T7_T9_mT8_S1D_bDpT10_ENKUlT_T0_E_clISt17integral_constantIbLb1EES1P_IbLb0EEEEDaS1L_S1M_EUlS1L_E_NS1_11comp_targetILNS1_3genE4ELNS1_11target_archE910ELNS1_3gpuE8ELNS1_3repE0EEENS1_30default_config_static_selectorELNS0_4arch9wavefront6targetE0EEEvSZ_,comdat
	.globl	_ZN7rocprim17ROCPRIM_400000_NS6detail17trampoline_kernelINS0_13select_configILj256ELj13ELNS0_17block_load_methodE3ELS4_3ELS4_3ELNS0_20block_scan_algorithmE0ELj4294967295EEENS1_25partition_config_selectorILNS1_17partition_subalgoE3EjNS0_10empty_typeEbEEZZNS1_14partition_implILS8_3ELb0ES6_jNS0_17counting_iteratorIjlEEPS9_SE_NS0_5tupleIJPjSE_EEENSF_IJSE_SE_EEES9_SG_JZNS1_25segmented_radix_sort_implINS0_14default_configELb1EPK12hip_bfloat16PSL_PKlPlN2at6native12_GLOBAL__N_18offset_tEEE10hipError_tPvRmT1_PNSt15iterator_traitsISZ_E10value_typeET2_T3_PNS10_IS15_E10value_typeET4_jRbjT5_S1B_jjP12ihipStream_tbEUljE_EEESW_SX_SY_S15_S19_S1B_T6_T7_T9_mT8_S1D_bDpT10_ENKUlT_T0_E_clISt17integral_constantIbLb1EES1P_IbLb0EEEEDaS1L_S1M_EUlS1L_E_NS1_11comp_targetILNS1_3genE4ELNS1_11target_archE910ELNS1_3gpuE8ELNS1_3repE0EEENS1_30default_config_static_selectorELNS0_4arch9wavefront6targetE0EEEvSZ_ ; -- Begin function _ZN7rocprim17ROCPRIM_400000_NS6detail17trampoline_kernelINS0_13select_configILj256ELj13ELNS0_17block_load_methodE3ELS4_3ELS4_3ELNS0_20block_scan_algorithmE0ELj4294967295EEENS1_25partition_config_selectorILNS1_17partition_subalgoE3EjNS0_10empty_typeEbEEZZNS1_14partition_implILS8_3ELb0ES6_jNS0_17counting_iteratorIjlEEPS9_SE_NS0_5tupleIJPjSE_EEENSF_IJSE_SE_EEES9_SG_JZNS1_25segmented_radix_sort_implINS0_14default_configELb1EPK12hip_bfloat16PSL_PKlPlN2at6native12_GLOBAL__N_18offset_tEEE10hipError_tPvRmT1_PNSt15iterator_traitsISZ_E10value_typeET2_T3_PNS10_IS15_E10value_typeET4_jRbjT5_S1B_jjP12ihipStream_tbEUljE_EEESW_SX_SY_S15_S19_S1B_T6_T7_T9_mT8_S1D_bDpT10_ENKUlT_T0_E_clISt17integral_constantIbLb1EES1P_IbLb0EEEEDaS1L_S1M_EUlS1L_E_NS1_11comp_targetILNS1_3genE4ELNS1_11target_archE910ELNS1_3gpuE8ELNS1_3repE0EEENS1_30default_config_static_selectorELNS0_4arch9wavefront6targetE0EEEvSZ_
	.p2align	8
	.type	_ZN7rocprim17ROCPRIM_400000_NS6detail17trampoline_kernelINS0_13select_configILj256ELj13ELNS0_17block_load_methodE3ELS4_3ELS4_3ELNS0_20block_scan_algorithmE0ELj4294967295EEENS1_25partition_config_selectorILNS1_17partition_subalgoE3EjNS0_10empty_typeEbEEZZNS1_14partition_implILS8_3ELb0ES6_jNS0_17counting_iteratorIjlEEPS9_SE_NS0_5tupleIJPjSE_EEENSF_IJSE_SE_EEES9_SG_JZNS1_25segmented_radix_sort_implINS0_14default_configELb1EPK12hip_bfloat16PSL_PKlPlN2at6native12_GLOBAL__N_18offset_tEEE10hipError_tPvRmT1_PNSt15iterator_traitsISZ_E10value_typeET2_T3_PNS10_IS15_E10value_typeET4_jRbjT5_S1B_jjP12ihipStream_tbEUljE_EEESW_SX_SY_S15_S19_S1B_T6_T7_T9_mT8_S1D_bDpT10_ENKUlT_T0_E_clISt17integral_constantIbLb1EES1P_IbLb0EEEEDaS1L_S1M_EUlS1L_E_NS1_11comp_targetILNS1_3genE4ELNS1_11target_archE910ELNS1_3gpuE8ELNS1_3repE0EEENS1_30default_config_static_selectorELNS0_4arch9wavefront6targetE0EEEvSZ_,@function
_ZN7rocprim17ROCPRIM_400000_NS6detail17trampoline_kernelINS0_13select_configILj256ELj13ELNS0_17block_load_methodE3ELS4_3ELS4_3ELNS0_20block_scan_algorithmE0ELj4294967295EEENS1_25partition_config_selectorILNS1_17partition_subalgoE3EjNS0_10empty_typeEbEEZZNS1_14partition_implILS8_3ELb0ES6_jNS0_17counting_iteratorIjlEEPS9_SE_NS0_5tupleIJPjSE_EEENSF_IJSE_SE_EEES9_SG_JZNS1_25segmented_radix_sort_implINS0_14default_configELb1EPK12hip_bfloat16PSL_PKlPlN2at6native12_GLOBAL__N_18offset_tEEE10hipError_tPvRmT1_PNSt15iterator_traitsISZ_E10value_typeET2_T3_PNS10_IS15_E10value_typeET4_jRbjT5_S1B_jjP12ihipStream_tbEUljE_EEESW_SX_SY_S15_S19_S1B_T6_T7_T9_mT8_S1D_bDpT10_ENKUlT_T0_E_clISt17integral_constantIbLb1EES1P_IbLb0EEEEDaS1L_S1M_EUlS1L_E_NS1_11comp_targetILNS1_3genE4ELNS1_11target_archE910ELNS1_3gpuE8ELNS1_3repE0EEENS1_30default_config_static_selectorELNS0_4arch9wavefront6targetE0EEEvSZ_: ; @_ZN7rocprim17ROCPRIM_400000_NS6detail17trampoline_kernelINS0_13select_configILj256ELj13ELNS0_17block_load_methodE3ELS4_3ELS4_3ELNS0_20block_scan_algorithmE0ELj4294967295EEENS1_25partition_config_selectorILNS1_17partition_subalgoE3EjNS0_10empty_typeEbEEZZNS1_14partition_implILS8_3ELb0ES6_jNS0_17counting_iteratorIjlEEPS9_SE_NS0_5tupleIJPjSE_EEENSF_IJSE_SE_EEES9_SG_JZNS1_25segmented_radix_sort_implINS0_14default_configELb1EPK12hip_bfloat16PSL_PKlPlN2at6native12_GLOBAL__N_18offset_tEEE10hipError_tPvRmT1_PNSt15iterator_traitsISZ_E10value_typeET2_T3_PNS10_IS15_E10value_typeET4_jRbjT5_S1B_jjP12ihipStream_tbEUljE_EEESW_SX_SY_S15_S19_S1B_T6_T7_T9_mT8_S1D_bDpT10_ENKUlT_T0_E_clISt17integral_constantIbLb1EES1P_IbLb0EEEEDaS1L_S1M_EUlS1L_E_NS1_11comp_targetILNS1_3genE4ELNS1_11target_archE910ELNS1_3gpuE8ELNS1_3repE0EEENS1_30default_config_static_selectorELNS0_4arch9wavefront6targetE0EEEvSZ_
; %bb.0:
	.section	.rodata,"a",@progbits
	.p2align	6, 0x0
	.amdhsa_kernel _ZN7rocprim17ROCPRIM_400000_NS6detail17trampoline_kernelINS0_13select_configILj256ELj13ELNS0_17block_load_methodE3ELS4_3ELS4_3ELNS0_20block_scan_algorithmE0ELj4294967295EEENS1_25partition_config_selectorILNS1_17partition_subalgoE3EjNS0_10empty_typeEbEEZZNS1_14partition_implILS8_3ELb0ES6_jNS0_17counting_iteratorIjlEEPS9_SE_NS0_5tupleIJPjSE_EEENSF_IJSE_SE_EEES9_SG_JZNS1_25segmented_radix_sort_implINS0_14default_configELb1EPK12hip_bfloat16PSL_PKlPlN2at6native12_GLOBAL__N_18offset_tEEE10hipError_tPvRmT1_PNSt15iterator_traitsISZ_E10value_typeET2_T3_PNS10_IS15_E10value_typeET4_jRbjT5_S1B_jjP12ihipStream_tbEUljE_EEESW_SX_SY_S15_S19_S1B_T6_T7_T9_mT8_S1D_bDpT10_ENKUlT_T0_E_clISt17integral_constantIbLb1EES1P_IbLb0EEEEDaS1L_S1M_EUlS1L_E_NS1_11comp_targetILNS1_3genE4ELNS1_11target_archE910ELNS1_3gpuE8ELNS1_3repE0EEENS1_30default_config_static_selectorELNS0_4arch9wavefront6targetE0EEEvSZ_
		.amdhsa_group_segment_fixed_size 0
		.amdhsa_private_segment_fixed_size 0
		.amdhsa_kernarg_size 144
		.amdhsa_user_sgpr_count 6
		.amdhsa_user_sgpr_private_segment_buffer 1
		.amdhsa_user_sgpr_dispatch_ptr 0
		.amdhsa_user_sgpr_queue_ptr 0
		.amdhsa_user_sgpr_kernarg_segment_ptr 1
		.amdhsa_user_sgpr_dispatch_id 0
		.amdhsa_user_sgpr_flat_scratch_init 0
		.amdhsa_user_sgpr_private_segment_size 0
		.amdhsa_wavefront_size32 1
		.amdhsa_uses_dynamic_stack 0
		.amdhsa_system_sgpr_private_segment_wavefront_offset 0
		.amdhsa_system_sgpr_workgroup_id_x 1
		.amdhsa_system_sgpr_workgroup_id_y 0
		.amdhsa_system_sgpr_workgroup_id_z 0
		.amdhsa_system_sgpr_workgroup_info 0
		.amdhsa_system_vgpr_workitem_id 0
		.amdhsa_next_free_vgpr 1
		.amdhsa_next_free_sgpr 1
		.amdhsa_reserve_vcc 0
		.amdhsa_reserve_flat_scratch 0
		.amdhsa_float_round_mode_32 0
		.amdhsa_float_round_mode_16_64 0
		.amdhsa_float_denorm_mode_32 3
		.amdhsa_float_denorm_mode_16_64 3
		.amdhsa_dx10_clamp 1
		.amdhsa_ieee_mode 1
		.amdhsa_fp16_overflow 0
		.amdhsa_workgroup_processor_mode 1
		.amdhsa_memory_ordered 1
		.amdhsa_forward_progress 1
		.amdhsa_shared_vgpr_count 0
		.amdhsa_exception_fp_ieee_invalid_op 0
		.amdhsa_exception_fp_denorm_src 0
		.amdhsa_exception_fp_ieee_div_zero 0
		.amdhsa_exception_fp_ieee_overflow 0
		.amdhsa_exception_fp_ieee_underflow 0
		.amdhsa_exception_fp_ieee_inexact 0
		.amdhsa_exception_int_div_zero 0
	.end_amdhsa_kernel
	.section	.text._ZN7rocprim17ROCPRIM_400000_NS6detail17trampoline_kernelINS0_13select_configILj256ELj13ELNS0_17block_load_methodE3ELS4_3ELS4_3ELNS0_20block_scan_algorithmE0ELj4294967295EEENS1_25partition_config_selectorILNS1_17partition_subalgoE3EjNS0_10empty_typeEbEEZZNS1_14partition_implILS8_3ELb0ES6_jNS0_17counting_iteratorIjlEEPS9_SE_NS0_5tupleIJPjSE_EEENSF_IJSE_SE_EEES9_SG_JZNS1_25segmented_radix_sort_implINS0_14default_configELb1EPK12hip_bfloat16PSL_PKlPlN2at6native12_GLOBAL__N_18offset_tEEE10hipError_tPvRmT1_PNSt15iterator_traitsISZ_E10value_typeET2_T3_PNS10_IS15_E10value_typeET4_jRbjT5_S1B_jjP12ihipStream_tbEUljE_EEESW_SX_SY_S15_S19_S1B_T6_T7_T9_mT8_S1D_bDpT10_ENKUlT_T0_E_clISt17integral_constantIbLb1EES1P_IbLb0EEEEDaS1L_S1M_EUlS1L_E_NS1_11comp_targetILNS1_3genE4ELNS1_11target_archE910ELNS1_3gpuE8ELNS1_3repE0EEENS1_30default_config_static_selectorELNS0_4arch9wavefront6targetE0EEEvSZ_,"axG",@progbits,_ZN7rocprim17ROCPRIM_400000_NS6detail17trampoline_kernelINS0_13select_configILj256ELj13ELNS0_17block_load_methodE3ELS4_3ELS4_3ELNS0_20block_scan_algorithmE0ELj4294967295EEENS1_25partition_config_selectorILNS1_17partition_subalgoE3EjNS0_10empty_typeEbEEZZNS1_14partition_implILS8_3ELb0ES6_jNS0_17counting_iteratorIjlEEPS9_SE_NS0_5tupleIJPjSE_EEENSF_IJSE_SE_EEES9_SG_JZNS1_25segmented_radix_sort_implINS0_14default_configELb1EPK12hip_bfloat16PSL_PKlPlN2at6native12_GLOBAL__N_18offset_tEEE10hipError_tPvRmT1_PNSt15iterator_traitsISZ_E10value_typeET2_T3_PNS10_IS15_E10value_typeET4_jRbjT5_S1B_jjP12ihipStream_tbEUljE_EEESW_SX_SY_S15_S19_S1B_T6_T7_T9_mT8_S1D_bDpT10_ENKUlT_T0_E_clISt17integral_constantIbLb1EES1P_IbLb0EEEEDaS1L_S1M_EUlS1L_E_NS1_11comp_targetILNS1_3genE4ELNS1_11target_archE910ELNS1_3gpuE8ELNS1_3repE0EEENS1_30default_config_static_selectorELNS0_4arch9wavefront6targetE0EEEvSZ_,comdat
.Lfunc_end1922:
	.size	_ZN7rocprim17ROCPRIM_400000_NS6detail17trampoline_kernelINS0_13select_configILj256ELj13ELNS0_17block_load_methodE3ELS4_3ELS4_3ELNS0_20block_scan_algorithmE0ELj4294967295EEENS1_25partition_config_selectorILNS1_17partition_subalgoE3EjNS0_10empty_typeEbEEZZNS1_14partition_implILS8_3ELb0ES6_jNS0_17counting_iteratorIjlEEPS9_SE_NS0_5tupleIJPjSE_EEENSF_IJSE_SE_EEES9_SG_JZNS1_25segmented_radix_sort_implINS0_14default_configELb1EPK12hip_bfloat16PSL_PKlPlN2at6native12_GLOBAL__N_18offset_tEEE10hipError_tPvRmT1_PNSt15iterator_traitsISZ_E10value_typeET2_T3_PNS10_IS15_E10value_typeET4_jRbjT5_S1B_jjP12ihipStream_tbEUljE_EEESW_SX_SY_S15_S19_S1B_T6_T7_T9_mT8_S1D_bDpT10_ENKUlT_T0_E_clISt17integral_constantIbLb1EES1P_IbLb0EEEEDaS1L_S1M_EUlS1L_E_NS1_11comp_targetILNS1_3genE4ELNS1_11target_archE910ELNS1_3gpuE8ELNS1_3repE0EEENS1_30default_config_static_selectorELNS0_4arch9wavefront6targetE0EEEvSZ_, .Lfunc_end1922-_ZN7rocprim17ROCPRIM_400000_NS6detail17trampoline_kernelINS0_13select_configILj256ELj13ELNS0_17block_load_methodE3ELS4_3ELS4_3ELNS0_20block_scan_algorithmE0ELj4294967295EEENS1_25partition_config_selectorILNS1_17partition_subalgoE3EjNS0_10empty_typeEbEEZZNS1_14partition_implILS8_3ELb0ES6_jNS0_17counting_iteratorIjlEEPS9_SE_NS0_5tupleIJPjSE_EEENSF_IJSE_SE_EEES9_SG_JZNS1_25segmented_radix_sort_implINS0_14default_configELb1EPK12hip_bfloat16PSL_PKlPlN2at6native12_GLOBAL__N_18offset_tEEE10hipError_tPvRmT1_PNSt15iterator_traitsISZ_E10value_typeET2_T3_PNS10_IS15_E10value_typeET4_jRbjT5_S1B_jjP12ihipStream_tbEUljE_EEESW_SX_SY_S15_S19_S1B_T6_T7_T9_mT8_S1D_bDpT10_ENKUlT_T0_E_clISt17integral_constantIbLb1EES1P_IbLb0EEEEDaS1L_S1M_EUlS1L_E_NS1_11comp_targetILNS1_3genE4ELNS1_11target_archE910ELNS1_3gpuE8ELNS1_3repE0EEENS1_30default_config_static_selectorELNS0_4arch9wavefront6targetE0EEEvSZ_
                                        ; -- End function
	.set _ZN7rocprim17ROCPRIM_400000_NS6detail17trampoline_kernelINS0_13select_configILj256ELj13ELNS0_17block_load_methodE3ELS4_3ELS4_3ELNS0_20block_scan_algorithmE0ELj4294967295EEENS1_25partition_config_selectorILNS1_17partition_subalgoE3EjNS0_10empty_typeEbEEZZNS1_14partition_implILS8_3ELb0ES6_jNS0_17counting_iteratorIjlEEPS9_SE_NS0_5tupleIJPjSE_EEENSF_IJSE_SE_EEES9_SG_JZNS1_25segmented_radix_sort_implINS0_14default_configELb1EPK12hip_bfloat16PSL_PKlPlN2at6native12_GLOBAL__N_18offset_tEEE10hipError_tPvRmT1_PNSt15iterator_traitsISZ_E10value_typeET2_T3_PNS10_IS15_E10value_typeET4_jRbjT5_S1B_jjP12ihipStream_tbEUljE_EEESW_SX_SY_S15_S19_S1B_T6_T7_T9_mT8_S1D_bDpT10_ENKUlT_T0_E_clISt17integral_constantIbLb1EES1P_IbLb0EEEEDaS1L_S1M_EUlS1L_E_NS1_11comp_targetILNS1_3genE4ELNS1_11target_archE910ELNS1_3gpuE8ELNS1_3repE0EEENS1_30default_config_static_selectorELNS0_4arch9wavefront6targetE0EEEvSZ_.num_vgpr, 0
	.set _ZN7rocprim17ROCPRIM_400000_NS6detail17trampoline_kernelINS0_13select_configILj256ELj13ELNS0_17block_load_methodE3ELS4_3ELS4_3ELNS0_20block_scan_algorithmE0ELj4294967295EEENS1_25partition_config_selectorILNS1_17partition_subalgoE3EjNS0_10empty_typeEbEEZZNS1_14partition_implILS8_3ELb0ES6_jNS0_17counting_iteratorIjlEEPS9_SE_NS0_5tupleIJPjSE_EEENSF_IJSE_SE_EEES9_SG_JZNS1_25segmented_radix_sort_implINS0_14default_configELb1EPK12hip_bfloat16PSL_PKlPlN2at6native12_GLOBAL__N_18offset_tEEE10hipError_tPvRmT1_PNSt15iterator_traitsISZ_E10value_typeET2_T3_PNS10_IS15_E10value_typeET4_jRbjT5_S1B_jjP12ihipStream_tbEUljE_EEESW_SX_SY_S15_S19_S1B_T6_T7_T9_mT8_S1D_bDpT10_ENKUlT_T0_E_clISt17integral_constantIbLb1EES1P_IbLb0EEEEDaS1L_S1M_EUlS1L_E_NS1_11comp_targetILNS1_3genE4ELNS1_11target_archE910ELNS1_3gpuE8ELNS1_3repE0EEENS1_30default_config_static_selectorELNS0_4arch9wavefront6targetE0EEEvSZ_.num_agpr, 0
	.set _ZN7rocprim17ROCPRIM_400000_NS6detail17trampoline_kernelINS0_13select_configILj256ELj13ELNS0_17block_load_methodE3ELS4_3ELS4_3ELNS0_20block_scan_algorithmE0ELj4294967295EEENS1_25partition_config_selectorILNS1_17partition_subalgoE3EjNS0_10empty_typeEbEEZZNS1_14partition_implILS8_3ELb0ES6_jNS0_17counting_iteratorIjlEEPS9_SE_NS0_5tupleIJPjSE_EEENSF_IJSE_SE_EEES9_SG_JZNS1_25segmented_radix_sort_implINS0_14default_configELb1EPK12hip_bfloat16PSL_PKlPlN2at6native12_GLOBAL__N_18offset_tEEE10hipError_tPvRmT1_PNSt15iterator_traitsISZ_E10value_typeET2_T3_PNS10_IS15_E10value_typeET4_jRbjT5_S1B_jjP12ihipStream_tbEUljE_EEESW_SX_SY_S15_S19_S1B_T6_T7_T9_mT8_S1D_bDpT10_ENKUlT_T0_E_clISt17integral_constantIbLb1EES1P_IbLb0EEEEDaS1L_S1M_EUlS1L_E_NS1_11comp_targetILNS1_3genE4ELNS1_11target_archE910ELNS1_3gpuE8ELNS1_3repE0EEENS1_30default_config_static_selectorELNS0_4arch9wavefront6targetE0EEEvSZ_.numbered_sgpr, 0
	.set _ZN7rocprim17ROCPRIM_400000_NS6detail17trampoline_kernelINS0_13select_configILj256ELj13ELNS0_17block_load_methodE3ELS4_3ELS4_3ELNS0_20block_scan_algorithmE0ELj4294967295EEENS1_25partition_config_selectorILNS1_17partition_subalgoE3EjNS0_10empty_typeEbEEZZNS1_14partition_implILS8_3ELb0ES6_jNS0_17counting_iteratorIjlEEPS9_SE_NS0_5tupleIJPjSE_EEENSF_IJSE_SE_EEES9_SG_JZNS1_25segmented_radix_sort_implINS0_14default_configELb1EPK12hip_bfloat16PSL_PKlPlN2at6native12_GLOBAL__N_18offset_tEEE10hipError_tPvRmT1_PNSt15iterator_traitsISZ_E10value_typeET2_T3_PNS10_IS15_E10value_typeET4_jRbjT5_S1B_jjP12ihipStream_tbEUljE_EEESW_SX_SY_S15_S19_S1B_T6_T7_T9_mT8_S1D_bDpT10_ENKUlT_T0_E_clISt17integral_constantIbLb1EES1P_IbLb0EEEEDaS1L_S1M_EUlS1L_E_NS1_11comp_targetILNS1_3genE4ELNS1_11target_archE910ELNS1_3gpuE8ELNS1_3repE0EEENS1_30default_config_static_selectorELNS0_4arch9wavefront6targetE0EEEvSZ_.num_named_barrier, 0
	.set _ZN7rocprim17ROCPRIM_400000_NS6detail17trampoline_kernelINS0_13select_configILj256ELj13ELNS0_17block_load_methodE3ELS4_3ELS4_3ELNS0_20block_scan_algorithmE0ELj4294967295EEENS1_25partition_config_selectorILNS1_17partition_subalgoE3EjNS0_10empty_typeEbEEZZNS1_14partition_implILS8_3ELb0ES6_jNS0_17counting_iteratorIjlEEPS9_SE_NS0_5tupleIJPjSE_EEENSF_IJSE_SE_EEES9_SG_JZNS1_25segmented_radix_sort_implINS0_14default_configELb1EPK12hip_bfloat16PSL_PKlPlN2at6native12_GLOBAL__N_18offset_tEEE10hipError_tPvRmT1_PNSt15iterator_traitsISZ_E10value_typeET2_T3_PNS10_IS15_E10value_typeET4_jRbjT5_S1B_jjP12ihipStream_tbEUljE_EEESW_SX_SY_S15_S19_S1B_T6_T7_T9_mT8_S1D_bDpT10_ENKUlT_T0_E_clISt17integral_constantIbLb1EES1P_IbLb0EEEEDaS1L_S1M_EUlS1L_E_NS1_11comp_targetILNS1_3genE4ELNS1_11target_archE910ELNS1_3gpuE8ELNS1_3repE0EEENS1_30default_config_static_selectorELNS0_4arch9wavefront6targetE0EEEvSZ_.private_seg_size, 0
	.set _ZN7rocprim17ROCPRIM_400000_NS6detail17trampoline_kernelINS0_13select_configILj256ELj13ELNS0_17block_load_methodE3ELS4_3ELS4_3ELNS0_20block_scan_algorithmE0ELj4294967295EEENS1_25partition_config_selectorILNS1_17partition_subalgoE3EjNS0_10empty_typeEbEEZZNS1_14partition_implILS8_3ELb0ES6_jNS0_17counting_iteratorIjlEEPS9_SE_NS0_5tupleIJPjSE_EEENSF_IJSE_SE_EEES9_SG_JZNS1_25segmented_radix_sort_implINS0_14default_configELb1EPK12hip_bfloat16PSL_PKlPlN2at6native12_GLOBAL__N_18offset_tEEE10hipError_tPvRmT1_PNSt15iterator_traitsISZ_E10value_typeET2_T3_PNS10_IS15_E10value_typeET4_jRbjT5_S1B_jjP12ihipStream_tbEUljE_EEESW_SX_SY_S15_S19_S1B_T6_T7_T9_mT8_S1D_bDpT10_ENKUlT_T0_E_clISt17integral_constantIbLb1EES1P_IbLb0EEEEDaS1L_S1M_EUlS1L_E_NS1_11comp_targetILNS1_3genE4ELNS1_11target_archE910ELNS1_3gpuE8ELNS1_3repE0EEENS1_30default_config_static_selectorELNS0_4arch9wavefront6targetE0EEEvSZ_.uses_vcc, 0
	.set _ZN7rocprim17ROCPRIM_400000_NS6detail17trampoline_kernelINS0_13select_configILj256ELj13ELNS0_17block_load_methodE3ELS4_3ELS4_3ELNS0_20block_scan_algorithmE0ELj4294967295EEENS1_25partition_config_selectorILNS1_17partition_subalgoE3EjNS0_10empty_typeEbEEZZNS1_14partition_implILS8_3ELb0ES6_jNS0_17counting_iteratorIjlEEPS9_SE_NS0_5tupleIJPjSE_EEENSF_IJSE_SE_EEES9_SG_JZNS1_25segmented_radix_sort_implINS0_14default_configELb1EPK12hip_bfloat16PSL_PKlPlN2at6native12_GLOBAL__N_18offset_tEEE10hipError_tPvRmT1_PNSt15iterator_traitsISZ_E10value_typeET2_T3_PNS10_IS15_E10value_typeET4_jRbjT5_S1B_jjP12ihipStream_tbEUljE_EEESW_SX_SY_S15_S19_S1B_T6_T7_T9_mT8_S1D_bDpT10_ENKUlT_T0_E_clISt17integral_constantIbLb1EES1P_IbLb0EEEEDaS1L_S1M_EUlS1L_E_NS1_11comp_targetILNS1_3genE4ELNS1_11target_archE910ELNS1_3gpuE8ELNS1_3repE0EEENS1_30default_config_static_selectorELNS0_4arch9wavefront6targetE0EEEvSZ_.uses_flat_scratch, 0
	.set _ZN7rocprim17ROCPRIM_400000_NS6detail17trampoline_kernelINS0_13select_configILj256ELj13ELNS0_17block_load_methodE3ELS4_3ELS4_3ELNS0_20block_scan_algorithmE0ELj4294967295EEENS1_25partition_config_selectorILNS1_17partition_subalgoE3EjNS0_10empty_typeEbEEZZNS1_14partition_implILS8_3ELb0ES6_jNS0_17counting_iteratorIjlEEPS9_SE_NS0_5tupleIJPjSE_EEENSF_IJSE_SE_EEES9_SG_JZNS1_25segmented_radix_sort_implINS0_14default_configELb1EPK12hip_bfloat16PSL_PKlPlN2at6native12_GLOBAL__N_18offset_tEEE10hipError_tPvRmT1_PNSt15iterator_traitsISZ_E10value_typeET2_T3_PNS10_IS15_E10value_typeET4_jRbjT5_S1B_jjP12ihipStream_tbEUljE_EEESW_SX_SY_S15_S19_S1B_T6_T7_T9_mT8_S1D_bDpT10_ENKUlT_T0_E_clISt17integral_constantIbLb1EES1P_IbLb0EEEEDaS1L_S1M_EUlS1L_E_NS1_11comp_targetILNS1_3genE4ELNS1_11target_archE910ELNS1_3gpuE8ELNS1_3repE0EEENS1_30default_config_static_selectorELNS0_4arch9wavefront6targetE0EEEvSZ_.has_dyn_sized_stack, 0
	.set _ZN7rocprim17ROCPRIM_400000_NS6detail17trampoline_kernelINS0_13select_configILj256ELj13ELNS0_17block_load_methodE3ELS4_3ELS4_3ELNS0_20block_scan_algorithmE0ELj4294967295EEENS1_25partition_config_selectorILNS1_17partition_subalgoE3EjNS0_10empty_typeEbEEZZNS1_14partition_implILS8_3ELb0ES6_jNS0_17counting_iteratorIjlEEPS9_SE_NS0_5tupleIJPjSE_EEENSF_IJSE_SE_EEES9_SG_JZNS1_25segmented_radix_sort_implINS0_14default_configELb1EPK12hip_bfloat16PSL_PKlPlN2at6native12_GLOBAL__N_18offset_tEEE10hipError_tPvRmT1_PNSt15iterator_traitsISZ_E10value_typeET2_T3_PNS10_IS15_E10value_typeET4_jRbjT5_S1B_jjP12ihipStream_tbEUljE_EEESW_SX_SY_S15_S19_S1B_T6_T7_T9_mT8_S1D_bDpT10_ENKUlT_T0_E_clISt17integral_constantIbLb1EES1P_IbLb0EEEEDaS1L_S1M_EUlS1L_E_NS1_11comp_targetILNS1_3genE4ELNS1_11target_archE910ELNS1_3gpuE8ELNS1_3repE0EEENS1_30default_config_static_selectorELNS0_4arch9wavefront6targetE0EEEvSZ_.has_recursion, 0
	.set _ZN7rocprim17ROCPRIM_400000_NS6detail17trampoline_kernelINS0_13select_configILj256ELj13ELNS0_17block_load_methodE3ELS4_3ELS4_3ELNS0_20block_scan_algorithmE0ELj4294967295EEENS1_25partition_config_selectorILNS1_17partition_subalgoE3EjNS0_10empty_typeEbEEZZNS1_14partition_implILS8_3ELb0ES6_jNS0_17counting_iteratorIjlEEPS9_SE_NS0_5tupleIJPjSE_EEENSF_IJSE_SE_EEES9_SG_JZNS1_25segmented_radix_sort_implINS0_14default_configELb1EPK12hip_bfloat16PSL_PKlPlN2at6native12_GLOBAL__N_18offset_tEEE10hipError_tPvRmT1_PNSt15iterator_traitsISZ_E10value_typeET2_T3_PNS10_IS15_E10value_typeET4_jRbjT5_S1B_jjP12ihipStream_tbEUljE_EEESW_SX_SY_S15_S19_S1B_T6_T7_T9_mT8_S1D_bDpT10_ENKUlT_T0_E_clISt17integral_constantIbLb1EES1P_IbLb0EEEEDaS1L_S1M_EUlS1L_E_NS1_11comp_targetILNS1_3genE4ELNS1_11target_archE910ELNS1_3gpuE8ELNS1_3repE0EEENS1_30default_config_static_selectorELNS0_4arch9wavefront6targetE0EEEvSZ_.has_indirect_call, 0
	.section	.AMDGPU.csdata,"",@progbits
; Kernel info:
; codeLenInByte = 0
; TotalNumSgprs: 0
; NumVgprs: 0
; ScratchSize: 0
; MemoryBound: 0
; FloatMode: 240
; IeeeMode: 1
; LDSByteSize: 0 bytes/workgroup (compile time only)
; SGPRBlocks: 0
; VGPRBlocks: 0
; NumSGPRsForWavesPerEU: 1
; NumVGPRsForWavesPerEU: 1
; Occupancy: 16
; WaveLimiterHint : 0
; COMPUTE_PGM_RSRC2:SCRATCH_EN: 0
; COMPUTE_PGM_RSRC2:USER_SGPR: 6
; COMPUTE_PGM_RSRC2:TRAP_HANDLER: 0
; COMPUTE_PGM_RSRC2:TGID_X_EN: 1
; COMPUTE_PGM_RSRC2:TGID_Y_EN: 0
; COMPUTE_PGM_RSRC2:TGID_Z_EN: 0
; COMPUTE_PGM_RSRC2:TIDIG_COMP_CNT: 0
	.section	.text._ZN7rocprim17ROCPRIM_400000_NS6detail17trampoline_kernelINS0_13select_configILj256ELj13ELNS0_17block_load_methodE3ELS4_3ELS4_3ELNS0_20block_scan_algorithmE0ELj4294967295EEENS1_25partition_config_selectorILNS1_17partition_subalgoE3EjNS0_10empty_typeEbEEZZNS1_14partition_implILS8_3ELb0ES6_jNS0_17counting_iteratorIjlEEPS9_SE_NS0_5tupleIJPjSE_EEENSF_IJSE_SE_EEES9_SG_JZNS1_25segmented_radix_sort_implINS0_14default_configELb1EPK12hip_bfloat16PSL_PKlPlN2at6native12_GLOBAL__N_18offset_tEEE10hipError_tPvRmT1_PNSt15iterator_traitsISZ_E10value_typeET2_T3_PNS10_IS15_E10value_typeET4_jRbjT5_S1B_jjP12ihipStream_tbEUljE_EEESW_SX_SY_S15_S19_S1B_T6_T7_T9_mT8_S1D_bDpT10_ENKUlT_T0_E_clISt17integral_constantIbLb1EES1P_IbLb0EEEEDaS1L_S1M_EUlS1L_E_NS1_11comp_targetILNS1_3genE3ELNS1_11target_archE908ELNS1_3gpuE7ELNS1_3repE0EEENS1_30default_config_static_selectorELNS0_4arch9wavefront6targetE0EEEvSZ_,"axG",@progbits,_ZN7rocprim17ROCPRIM_400000_NS6detail17trampoline_kernelINS0_13select_configILj256ELj13ELNS0_17block_load_methodE3ELS4_3ELS4_3ELNS0_20block_scan_algorithmE0ELj4294967295EEENS1_25partition_config_selectorILNS1_17partition_subalgoE3EjNS0_10empty_typeEbEEZZNS1_14partition_implILS8_3ELb0ES6_jNS0_17counting_iteratorIjlEEPS9_SE_NS0_5tupleIJPjSE_EEENSF_IJSE_SE_EEES9_SG_JZNS1_25segmented_radix_sort_implINS0_14default_configELb1EPK12hip_bfloat16PSL_PKlPlN2at6native12_GLOBAL__N_18offset_tEEE10hipError_tPvRmT1_PNSt15iterator_traitsISZ_E10value_typeET2_T3_PNS10_IS15_E10value_typeET4_jRbjT5_S1B_jjP12ihipStream_tbEUljE_EEESW_SX_SY_S15_S19_S1B_T6_T7_T9_mT8_S1D_bDpT10_ENKUlT_T0_E_clISt17integral_constantIbLb1EES1P_IbLb0EEEEDaS1L_S1M_EUlS1L_E_NS1_11comp_targetILNS1_3genE3ELNS1_11target_archE908ELNS1_3gpuE7ELNS1_3repE0EEENS1_30default_config_static_selectorELNS0_4arch9wavefront6targetE0EEEvSZ_,comdat
	.globl	_ZN7rocprim17ROCPRIM_400000_NS6detail17trampoline_kernelINS0_13select_configILj256ELj13ELNS0_17block_load_methodE3ELS4_3ELS4_3ELNS0_20block_scan_algorithmE0ELj4294967295EEENS1_25partition_config_selectorILNS1_17partition_subalgoE3EjNS0_10empty_typeEbEEZZNS1_14partition_implILS8_3ELb0ES6_jNS0_17counting_iteratorIjlEEPS9_SE_NS0_5tupleIJPjSE_EEENSF_IJSE_SE_EEES9_SG_JZNS1_25segmented_radix_sort_implINS0_14default_configELb1EPK12hip_bfloat16PSL_PKlPlN2at6native12_GLOBAL__N_18offset_tEEE10hipError_tPvRmT1_PNSt15iterator_traitsISZ_E10value_typeET2_T3_PNS10_IS15_E10value_typeET4_jRbjT5_S1B_jjP12ihipStream_tbEUljE_EEESW_SX_SY_S15_S19_S1B_T6_T7_T9_mT8_S1D_bDpT10_ENKUlT_T0_E_clISt17integral_constantIbLb1EES1P_IbLb0EEEEDaS1L_S1M_EUlS1L_E_NS1_11comp_targetILNS1_3genE3ELNS1_11target_archE908ELNS1_3gpuE7ELNS1_3repE0EEENS1_30default_config_static_selectorELNS0_4arch9wavefront6targetE0EEEvSZ_ ; -- Begin function _ZN7rocprim17ROCPRIM_400000_NS6detail17trampoline_kernelINS0_13select_configILj256ELj13ELNS0_17block_load_methodE3ELS4_3ELS4_3ELNS0_20block_scan_algorithmE0ELj4294967295EEENS1_25partition_config_selectorILNS1_17partition_subalgoE3EjNS0_10empty_typeEbEEZZNS1_14partition_implILS8_3ELb0ES6_jNS0_17counting_iteratorIjlEEPS9_SE_NS0_5tupleIJPjSE_EEENSF_IJSE_SE_EEES9_SG_JZNS1_25segmented_radix_sort_implINS0_14default_configELb1EPK12hip_bfloat16PSL_PKlPlN2at6native12_GLOBAL__N_18offset_tEEE10hipError_tPvRmT1_PNSt15iterator_traitsISZ_E10value_typeET2_T3_PNS10_IS15_E10value_typeET4_jRbjT5_S1B_jjP12ihipStream_tbEUljE_EEESW_SX_SY_S15_S19_S1B_T6_T7_T9_mT8_S1D_bDpT10_ENKUlT_T0_E_clISt17integral_constantIbLb1EES1P_IbLb0EEEEDaS1L_S1M_EUlS1L_E_NS1_11comp_targetILNS1_3genE3ELNS1_11target_archE908ELNS1_3gpuE7ELNS1_3repE0EEENS1_30default_config_static_selectorELNS0_4arch9wavefront6targetE0EEEvSZ_
	.p2align	8
	.type	_ZN7rocprim17ROCPRIM_400000_NS6detail17trampoline_kernelINS0_13select_configILj256ELj13ELNS0_17block_load_methodE3ELS4_3ELS4_3ELNS0_20block_scan_algorithmE0ELj4294967295EEENS1_25partition_config_selectorILNS1_17partition_subalgoE3EjNS0_10empty_typeEbEEZZNS1_14partition_implILS8_3ELb0ES6_jNS0_17counting_iteratorIjlEEPS9_SE_NS0_5tupleIJPjSE_EEENSF_IJSE_SE_EEES9_SG_JZNS1_25segmented_radix_sort_implINS0_14default_configELb1EPK12hip_bfloat16PSL_PKlPlN2at6native12_GLOBAL__N_18offset_tEEE10hipError_tPvRmT1_PNSt15iterator_traitsISZ_E10value_typeET2_T3_PNS10_IS15_E10value_typeET4_jRbjT5_S1B_jjP12ihipStream_tbEUljE_EEESW_SX_SY_S15_S19_S1B_T6_T7_T9_mT8_S1D_bDpT10_ENKUlT_T0_E_clISt17integral_constantIbLb1EES1P_IbLb0EEEEDaS1L_S1M_EUlS1L_E_NS1_11comp_targetILNS1_3genE3ELNS1_11target_archE908ELNS1_3gpuE7ELNS1_3repE0EEENS1_30default_config_static_selectorELNS0_4arch9wavefront6targetE0EEEvSZ_,@function
_ZN7rocprim17ROCPRIM_400000_NS6detail17trampoline_kernelINS0_13select_configILj256ELj13ELNS0_17block_load_methodE3ELS4_3ELS4_3ELNS0_20block_scan_algorithmE0ELj4294967295EEENS1_25partition_config_selectorILNS1_17partition_subalgoE3EjNS0_10empty_typeEbEEZZNS1_14partition_implILS8_3ELb0ES6_jNS0_17counting_iteratorIjlEEPS9_SE_NS0_5tupleIJPjSE_EEENSF_IJSE_SE_EEES9_SG_JZNS1_25segmented_radix_sort_implINS0_14default_configELb1EPK12hip_bfloat16PSL_PKlPlN2at6native12_GLOBAL__N_18offset_tEEE10hipError_tPvRmT1_PNSt15iterator_traitsISZ_E10value_typeET2_T3_PNS10_IS15_E10value_typeET4_jRbjT5_S1B_jjP12ihipStream_tbEUljE_EEESW_SX_SY_S15_S19_S1B_T6_T7_T9_mT8_S1D_bDpT10_ENKUlT_T0_E_clISt17integral_constantIbLb1EES1P_IbLb0EEEEDaS1L_S1M_EUlS1L_E_NS1_11comp_targetILNS1_3genE3ELNS1_11target_archE908ELNS1_3gpuE7ELNS1_3repE0EEENS1_30default_config_static_selectorELNS0_4arch9wavefront6targetE0EEEvSZ_: ; @_ZN7rocprim17ROCPRIM_400000_NS6detail17trampoline_kernelINS0_13select_configILj256ELj13ELNS0_17block_load_methodE3ELS4_3ELS4_3ELNS0_20block_scan_algorithmE0ELj4294967295EEENS1_25partition_config_selectorILNS1_17partition_subalgoE3EjNS0_10empty_typeEbEEZZNS1_14partition_implILS8_3ELb0ES6_jNS0_17counting_iteratorIjlEEPS9_SE_NS0_5tupleIJPjSE_EEENSF_IJSE_SE_EEES9_SG_JZNS1_25segmented_radix_sort_implINS0_14default_configELb1EPK12hip_bfloat16PSL_PKlPlN2at6native12_GLOBAL__N_18offset_tEEE10hipError_tPvRmT1_PNSt15iterator_traitsISZ_E10value_typeET2_T3_PNS10_IS15_E10value_typeET4_jRbjT5_S1B_jjP12ihipStream_tbEUljE_EEESW_SX_SY_S15_S19_S1B_T6_T7_T9_mT8_S1D_bDpT10_ENKUlT_T0_E_clISt17integral_constantIbLb1EES1P_IbLb0EEEEDaS1L_S1M_EUlS1L_E_NS1_11comp_targetILNS1_3genE3ELNS1_11target_archE908ELNS1_3gpuE7ELNS1_3repE0EEENS1_30default_config_static_selectorELNS0_4arch9wavefront6targetE0EEEvSZ_
; %bb.0:
	.section	.rodata,"a",@progbits
	.p2align	6, 0x0
	.amdhsa_kernel _ZN7rocprim17ROCPRIM_400000_NS6detail17trampoline_kernelINS0_13select_configILj256ELj13ELNS0_17block_load_methodE3ELS4_3ELS4_3ELNS0_20block_scan_algorithmE0ELj4294967295EEENS1_25partition_config_selectorILNS1_17partition_subalgoE3EjNS0_10empty_typeEbEEZZNS1_14partition_implILS8_3ELb0ES6_jNS0_17counting_iteratorIjlEEPS9_SE_NS0_5tupleIJPjSE_EEENSF_IJSE_SE_EEES9_SG_JZNS1_25segmented_radix_sort_implINS0_14default_configELb1EPK12hip_bfloat16PSL_PKlPlN2at6native12_GLOBAL__N_18offset_tEEE10hipError_tPvRmT1_PNSt15iterator_traitsISZ_E10value_typeET2_T3_PNS10_IS15_E10value_typeET4_jRbjT5_S1B_jjP12ihipStream_tbEUljE_EEESW_SX_SY_S15_S19_S1B_T6_T7_T9_mT8_S1D_bDpT10_ENKUlT_T0_E_clISt17integral_constantIbLb1EES1P_IbLb0EEEEDaS1L_S1M_EUlS1L_E_NS1_11comp_targetILNS1_3genE3ELNS1_11target_archE908ELNS1_3gpuE7ELNS1_3repE0EEENS1_30default_config_static_selectorELNS0_4arch9wavefront6targetE0EEEvSZ_
		.amdhsa_group_segment_fixed_size 0
		.amdhsa_private_segment_fixed_size 0
		.amdhsa_kernarg_size 144
		.amdhsa_user_sgpr_count 6
		.amdhsa_user_sgpr_private_segment_buffer 1
		.amdhsa_user_sgpr_dispatch_ptr 0
		.amdhsa_user_sgpr_queue_ptr 0
		.amdhsa_user_sgpr_kernarg_segment_ptr 1
		.amdhsa_user_sgpr_dispatch_id 0
		.amdhsa_user_sgpr_flat_scratch_init 0
		.amdhsa_user_sgpr_private_segment_size 0
		.amdhsa_wavefront_size32 1
		.amdhsa_uses_dynamic_stack 0
		.amdhsa_system_sgpr_private_segment_wavefront_offset 0
		.amdhsa_system_sgpr_workgroup_id_x 1
		.amdhsa_system_sgpr_workgroup_id_y 0
		.amdhsa_system_sgpr_workgroup_id_z 0
		.amdhsa_system_sgpr_workgroup_info 0
		.amdhsa_system_vgpr_workitem_id 0
		.amdhsa_next_free_vgpr 1
		.amdhsa_next_free_sgpr 1
		.amdhsa_reserve_vcc 0
		.amdhsa_reserve_flat_scratch 0
		.amdhsa_float_round_mode_32 0
		.amdhsa_float_round_mode_16_64 0
		.amdhsa_float_denorm_mode_32 3
		.amdhsa_float_denorm_mode_16_64 3
		.amdhsa_dx10_clamp 1
		.amdhsa_ieee_mode 1
		.amdhsa_fp16_overflow 0
		.amdhsa_workgroup_processor_mode 1
		.amdhsa_memory_ordered 1
		.amdhsa_forward_progress 1
		.amdhsa_shared_vgpr_count 0
		.amdhsa_exception_fp_ieee_invalid_op 0
		.amdhsa_exception_fp_denorm_src 0
		.amdhsa_exception_fp_ieee_div_zero 0
		.amdhsa_exception_fp_ieee_overflow 0
		.amdhsa_exception_fp_ieee_underflow 0
		.amdhsa_exception_fp_ieee_inexact 0
		.amdhsa_exception_int_div_zero 0
	.end_amdhsa_kernel
	.section	.text._ZN7rocprim17ROCPRIM_400000_NS6detail17trampoline_kernelINS0_13select_configILj256ELj13ELNS0_17block_load_methodE3ELS4_3ELS4_3ELNS0_20block_scan_algorithmE0ELj4294967295EEENS1_25partition_config_selectorILNS1_17partition_subalgoE3EjNS0_10empty_typeEbEEZZNS1_14partition_implILS8_3ELb0ES6_jNS0_17counting_iteratorIjlEEPS9_SE_NS0_5tupleIJPjSE_EEENSF_IJSE_SE_EEES9_SG_JZNS1_25segmented_radix_sort_implINS0_14default_configELb1EPK12hip_bfloat16PSL_PKlPlN2at6native12_GLOBAL__N_18offset_tEEE10hipError_tPvRmT1_PNSt15iterator_traitsISZ_E10value_typeET2_T3_PNS10_IS15_E10value_typeET4_jRbjT5_S1B_jjP12ihipStream_tbEUljE_EEESW_SX_SY_S15_S19_S1B_T6_T7_T9_mT8_S1D_bDpT10_ENKUlT_T0_E_clISt17integral_constantIbLb1EES1P_IbLb0EEEEDaS1L_S1M_EUlS1L_E_NS1_11comp_targetILNS1_3genE3ELNS1_11target_archE908ELNS1_3gpuE7ELNS1_3repE0EEENS1_30default_config_static_selectorELNS0_4arch9wavefront6targetE0EEEvSZ_,"axG",@progbits,_ZN7rocprim17ROCPRIM_400000_NS6detail17trampoline_kernelINS0_13select_configILj256ELj13ELNS0_17block_load_methodE3ELS4_3ELS4_3ELNS0_20block_scan_algorithmE0ELj4294967295EEENS1_25partition_config_selectorILNS1_17partition_subalgoE3EjNS0_10empty_typeEbEEZZNS1_14partition_implILS8_3ELb0ES6_jNS0_17counting_iteratorIjlEEPS9_SE_NS0_5tupleIJPjSE_EEENSF_IJSE_SE_EEES9_SG_JZNS1_25segmented_radix_sort_implINS0_14default_configELb1EPK12hip_bfloat16PSL_PKlPlN2at6native12_GLOBAL__N_18offset_tEEE10hipError_tPvRmT1_PNSt15iterator_traitsISZ_E10value_typeET2_T3_PNS10_IS15_E10value_typeET4_jRbjT5_S1B_jjP12ihipStream_tbEUljE_EEESW_SX_SY_S15_S19_S1B_T6_T7_T9_mT8_S1D_bDpT10_ENKUlT_T0_E_clISt17integral_constantIbLb1EES1P_IbLb0EEEEDaS1L_S1M_EUlS1L_E_NS1_11comp_targetILNS1_3genE3ELNS1_11target_archE908ELNS1_3gpuE7ELNS1_3repE0EEENS1_30default_config_static_selectorELNS0_4arch9wavefront6targetE0EEEvSZ_,comdat
.Lfunc_end1923:
	.size	_ZN7rocprim17ROCPRIM_400000_NS6detail17trampoline_kernelINS0_13select_configILj256ELj13ELNS0_17block_load_methodE3ELS4_3ELS4_3ELNS0_20block_scan_algorithmE0ELj4294967295EEENS1_25partition_config_selectorILNS1_17partition_subalgoE3EjNS0_10empty_typeEbEEZZNS1_14partition_implILS8_3ELb0ES6_jNS0_17counting_iteratorIjlEEPS9_SE_NS0_5tupleIJPjSE_EEENSF_IJSE_SE_EEES9_SG_JZNS1_25segmented_radix_sort_implINS0_14default_configELb1EPK12hip_bfloat16PSL_PKlPlN2at6native12_GLOBAL__N_18offset_tEEE10hipError_tPvRmT1_PNSt15iterator_traitsISZ_E10value_typeET2_T3_PNS10_IS15_E10value_typeET4_jRbjT5_S1B_jjP12ihipStream_tbEUljE_EEESW_SX_SY_S15_S19_S1B_T6_T7_T9_mT8_S1D_bDpT10_ENKUlT_T0_E_clISt17integral_constantIbLb1EES1P_IbLb0EEEEDaS1L_S1M_EUlS1L_E_NS1_11comp_targetILNS1_3genE3ELNS1_11target_archE908ELNS1_3gpuE7ELNS1_3repE0EEENS1_30default_config_static_selectorELNS0_4arch9wavefront6targetE0EEEvSZ_, .Lfunc_end1923-_ZN7rocprim17ROCPRIM_400000_NS6detail17trampoline_kernelINS0_13select_configILj256ELj13ELNS0_17block_load_methodE3ELS4_3ELS4_3ELNS0_20block_scan_algorithmE0ELj4294967295EEENS1_25partition_config_selectorILNS1_17partition_subalgoE3EjNS0_10empty_typeEbEEZZNS1_14partition_implILS8_3ELb0ES6_jNS0_17counting_iteratorIjlEEPS9_SE_NS0_5tupleIJPjSE_EEENSF_IJSE_SE_EEES9_SG_JZNS1_25segmented_radix_sort_implINS0_14default_configELb1EPK12hip_bfloat16PSL_PKlPlN2at6native12_GLOBAL__N_18offset_tEEE10hipError_tPvRmT1_PNSt15iterator_traitsISZ_E10value_typeET2_T3_PNS10_IS15_E10value_typeET4_jRbjT5_S1B_jjP12ihipStream_tbEUljE_EEESW_SX_SY_S15_S19_S1B_T6_T7_T9_mT8_S1D_bDpT10_ENKUlT_T0_E_clISt17integral_constantIbLb1EES1P_IbLb0EEEEDaS1L_S1M_EUlS1L_E_NS1_11comp_targetILNS1_3genE3ELNS1_11target_archE908ELNS1_3gpuE7ELNS1_3repE0EEENS1_30default_config_static_selectorELNS0_4arch9wavefront6targetE0EEEvSZ_
                                        ; -- End function
	.set _ZN7rocprim17ROCPRIM_400000_NS6detail17trampoline_kernelINS0_13select_configILj256ELj13ELNS0_17block_load_methodE3ELS4_3ELS4_3ELNS0_20block_scan_algorithmE0ELj4294967295EEENS1_25partition_config_selectorILNS1_17partition_subalgoE3EjNS0_10empty_typeEbEEZZNS1_14partition_implILS8_3ELb0ES6_jNS0_17counting_iteratorIjlEEPS9_SE_NS0_5tupleIJPjSE_EEENSF_IJSE_SE_EEES9_SG_JZNS1_25segmented_radix_sort_implINS0_14default_configELb1EPK12hip_bfloat16PSL_PKlPlN2at6native12_GLOBAL__N_18offset_tEEE10hipError_tPvRmT1_PNSt15iterator_traitsISZ_E10value_typeET2_T3_PNS10_IS15_E10value_typeET4_jRbjT5_S1B_jjP12ihipStream_tbEUljE_EEESW_SX_SY_S15_S19_S1B_T6_T7_T9_mT8_S1D_bDpT10_ENKUlT_T0_E_clISt17integral_constantIbLb1EES1P_IbLb0EEEEDaS1L_S1M_EUlS1L_E_NS1_11comp_targetILNS1_3genE3ELNS1_11target_archE908ELNS1_3gpuE7ELNS1_3repE0EEENS1_30default_config_static_selectorELNS0_4arch9wavefront6targetE0EEEvSZ_.num_vgpr, 0
	.set _ZN7rocprim17ROCPRIM_400000_NS6detail17trampoline_kernelINS0_13select_configILj256ELj13ELNS0_17block_load_methodE3ELS4_3ELS4_3ELNS0_20block_scan_algorithmE0ELj4294967295EEENS1_25partition_config_selectorILNS1_17partition_subalgoE3EjNS0_10empty_typeEbEEZZNS1_14partition_implILS8_3ELb0ES6_jNS0_17counting_iteratorIjlEEPS9_SE_NS0_5tupleIJPjSE_EEENSF_IJSE_SE_EEES9_SG_JZNS1_25segmented_radix_sort_implINS0_14default_configELb1EPK12hip_bfloat16PSL_PKlPlN2at6native12_GLOBAL__N_18offset_tEEE10hipError_tPvRmT1_PNSt15iterator_traitsISZ_E10value_typeET2_T3_PNS10_IS15_E10value_typeET4_jRbjT5_S1B_jjP12ihipStream_tbEUljE_EEESW_SX_SY_S15_S19_S1B_T6_T7_T9_mT8_S1D_bDpT10_ENKUlT_T0_E_clISt17integral_constantIbLb1EES1P_IbLb0EEEEDaS1L_S1M_EUlS1L_E_NS1_11comp_targetILNS1_3genE3ELNS1_11target_archE908ELNS1_3gpuE7ELNS1_3repE0EEENS1_30default_config_static_selectorELNS0_4arch9wavefront6targetE0EEEvSZ_.num_agpr, 0
	.set _ZN7rocprim17ROCPRIM_400000_NS6detail17trampoline_kernelINS0_13select_configILj256ELj13ELNS0_17block_load_methodE3ELS4_3ELS4_3ELNS0_20block_scan_algorithmE0ELj4294967295EEENS1_25partition_config_selectorILNS1_17partition_subalgoE3EjNS0_10empty_typeEbEEZZNS1_14partition_implILS8_3ELb0ES6_jNS0_17counting_iteratorIjlEEPS9_SE_NS0_5tupleIJPjSE_EEENSF_IJSE_SE_EEES9_SG_JZNS1_25segmented_radix_sort_implINS0_14default_configELb1EPK12hip_bfloat16PSL_PKlPlN2at6native12_GLOBAL__N_18offset_tEEE10hipError_tPvRmT1_PNSt15iterator_traitsISZ_E10value_typeET2_T3_PNS10_IS15_E10value_typeET4_jRbjT5_S1B_jjP12ihipStream_tbEUljE_EEESW_SX_SY_S15_S19_S1B_T6_T7_T9_mT8_S1D_bDpT10_ENKUlT_T0_E_clISt17integral_constantIbLb1EES1P_IbLb0EEEEDaS1L_S1M_EUlS1L_E_NS1_11comp_targetILNS1_3genE3ELNS1_11target_archE908ELNS1_3gpuE7ELNS1_3repE0EEENS1_30default_config_static_selectorELNS0_4arch9wavefront6targetE0EEEvSZ_.numbered_sgpr, 0
	.set _ZN7rocprim17ROCPRIM_400000_NS6detail17trampoline_kernelINS0_13select_configILj256ELj13ELNS0_17block_load_methodE3ELS4_3ELS4_3ELNS0_20block_scan_algorithmE0ELj4294967295EEENS1_25partition_config_selectorILNS1_17partition_subalgoE3EjNS0_10empty_typeEbEEZZNS1_14partition_implILS8_3ELb0ES6_jNS0_17counting_iteratorIjlEEPS9_SE_NS0_5tupleIJPjSE_EEENSF_IJSE_SE_EEES9_SG_JZNS1_25segmented_radix_sort_implINS0_14default_configELb1EPK12hip_bfloat16PSL_PKlPlN2at6native12_GLOBAL__N_18offset_tEEE10hipError_tPvRmT1_PNSt15iterator_traitsISZ_E10value_typeET2_T3_PNS10_IS15_E10value_typeET4_jRbjT5_S1B_jjP12ihipStream_tbEUljE_EEESW_SX_SY_S15_S19_S1B_T6_T7_T9_mT8_S1D_bDpT10_ENKUlT_T0_E_clISt17integral_constantIbLb1EES1P_IbLb0EEEEDaS1L_S1M_EUlS1L_E_NS1_11comp_targetILNS1_3genE3ELNS1_11target_archE908ELNS1_3gpuE7ELNS1_3repE0EEENS1_30default_config_static_selectorELNS0_4arch9wavefront6targetE0EEEvSZ_.num_named_barrier, 0
	.set _ZN7rocprim17ROCPRIM_400000_NS6detail17trampoline_kernelINS0_13select_configILj256ELj13ELNS0_17block_load_methodE3ELS4_3ELS4_3ELNS0_20block_scan_algorithmE0ELj4294967295EEENS1_25partition_config_selectorILNS1_17partition_subalgoE3EjNS0_10empty_typeEbEEZZNS1_14partition_implILS8_3ELb0ES6_jNS0_17counting_iteratorIjlEEPS9_SE_NS0_5tupleIJPjSE_EEENSF_IJSE_SE_EEES9_SG_JZNS1_25segmented_radix_sort_implINS0_14default_configELb1EPK12hip_bfloat16PSL_PKlPlN2at6native12_GLOBAL__N_18offset_tEEE10hipError_tPvRmT1_PNSt15iterator_traitsISZ_E10value_typeET2_T3_PNS10_IS15_E10value_typeET4_jRbjT5_S1B_jjP12ihipStream_tbEUljE_EEESW_SX_SY_S15_S19_S1B_T6_T7_T9_mT8_S1D_bDpT10_ENKUlT_T0_E_clISt17integral_constantIbLb1EES1P_IbLb0EEEEDaS1L_S1M_EUlS1L_E_NS1_11comp_targetILNS1_3genE3ELNS1_11target_archE908ELNS1_3gpuE7ELNS1_3repE0EEENS1_30default_config_static_selectorELNS0_4arch9wavefront6targetE0EEEvSZ_.private_seg_size, 0
	.set _ZN7rocprim17ROCPRIM_400000_NS6detail17trampoline_kernelINS0_13select_configILj256ELj13ELNS0_17block_load_methodE3ELS4_3ELS4_3ELNS0_20block_scan_algorithmE0ELj4294967295EEENS1_25partition_config_selectorILNS1_17partition_subalgoE3EjNS0_10empty_typeEbEEZZNS1_14partition_implILS8_3ELb0ES6_jNS0_17counting_iteratorIjlEEPS9_SE_NS0_5tupleIJPjSE_EEENSF_IJSE_SE_EEES9_SG_JZNS1_25segmented_radix_sort_implINS0_14default_configELb1EPK12hip_bfloat16PSL_PKlPlN2at6native12_GLOBAL__N_18offset_tEEE10hipError_tPvRmT1_PNSt15iterator_traitsISZ_E10value_typeET2_T3_PNS10_IS15_E10value_typeET4_jRbjT5_S1B_jjP12ihipStream_tbEUljE_EEESW_SX_SY_S15_S19_S1B_T6_T7_T9_mT8_S1D_bDpT10_ENKUlT_T0_E_clISt17integral_constantIbLb1EES1P_IbLb0EEEEDaS1L_S1M_EUlS1L_E_NS1_11comp_targetILNS1_3genE3ELNS1_11target_archE908ELNS1_3gpuE7ELNS1_3repE0EEENS1_30default_config_static_selectorELNS0_4arch9wavefront6targetE0EEEvSZ_.uses_vcc, 0
	.set _ZN7rocprim17ROCPRIM_400000_NS6detail17trampoline_kernelINS0_13select_configILj256ELj13ELNS0_17block_load_methodE3ELS4_3ELS4_3ELNS0_20block_scan_algorithmE0ELj4294967295EEENS1_25partition_config_selectorILNS1_17partition_subalgoE3EjNS0_10empty_typeEbEEZZNS1_14partition_implILS8_3ELb0ES6_jNS0_17counting_iteratorIjlEEPS9_SE_NS0_5tupleIJPjSE_EEENSF_IJSE_SE_EEES9_SG_JZNS1_25segmented_radix_sort_implINS0_14default_configELb1EPK12hip_bfloat16PSL_PKlPlN2at6native12_GLOBAL__N_18offset_tEEE10hipError_tPvRmT1_PNSt15iterator_traitsISZ_E10value_typeET2_T3_PNS10_IS15_E10value_typeET4_jRbjT5_S1B_jjP12ihipStream_tbEUljE_EEESW_SX_SY_S15_S19_S1B_T6_T7_T9_mT8_S1D_bDpT10_ENKUlT_T0_E_clISt17integral_constantIbLb1EES1P_IbLb0EEEEDaS1L_S1M_EUlS1L_E_NS1_11comp_targetILNS1_3genE3ELNS1_11target_archE908ELNS1_3gpuE7ELNS1_3repE0EEENS1_30default_config_static_selectorELNS0_4arch9wavefront6targetE0EEEvSZ_.uses_flat_scratch, 0
	.set _ZN7rocprim17ROCPRIM_400000_NS6detail17trampoline_kernelINS0_13select_configILj256ELj13ELNS0_17block_load_methodE3ELS4_3ELS4_3ELNS0_20block_scan_algorithmE0ELj4294967295EEENS1_25partition_config_selectorILNS1_17partition_subalgoE3EjNS0_10empty_typeEbEEZZNS1_14partition_implILS8_3ELb0ES6_jNS0_17counting_iteratorIjlEEPS9_SE_NS0_5tupleIJPjSE_EEENSF_IJSE_SE_EEES9_SG_JZNS1_25segmented_radix_sort_implINS0_14default_configELb1EPK12hip_bfloat16PSL_PKlPlN2at6native12_GLOBAL__N_18offset_tEEE10hipError_tPvRmT1_PNSt15iterator_traitsISZ_E10value_typeET2_T3_PNS10_IS15_E10value_typeET4_jRbjT5_S1B_jjP12ihipStream_tbEUljE_EEESW_SX_SY_S15_S19_S1B_T6_T7_T9_mT8_S1D_bDpT10_ENKUlT_T0_E_clISt17integral_constantIbLb1EES1P_IbLb0EEEEDaS1L_S1M_EUlS1L_E_NS1_11comp_targetILNS1_3genE3ELNS1_11target_archE908ELNS1_3gpuE7ELNS1_3repE0EEENS1_30default_config_static_selectorELNS0_4arch9wavefront6targetE0EEEvSZ_.has_dyn_sized_stack, 0
	.set _ZN7rocprim17ROCPRIM_400000_NS6detail17trampoline_kernelINS0_13select_configILj256ELj13ELNS0_17block_load_methodE3ELS4_3ELS4_3ELNS0_20block_scan_algorithmE0ELj4294967295EEENS1_25partition_config_selectorILNS1_17partition_subalgoE3EjNS0_10empty_typeEbEEZZNS1_14partition_implILS8_3ELb0ES6_jNS0_17counting_iteratorIjlEEPS9_SE_NS0_5tupleIJPjSE_EEENSF_IJSE_SE_EEES9_SG_JZNS1_25segmented_radix_sort_implINS0_14default_configELb1EPK12hip_bfloat16PSL_PKlPlN2at6native12_GLOBAL__N_18offset_tEEE10hipError_tPvRmT1_PNSt15iterator_traitsISZ_E10value_typeET2_T3_PNS10_IS15_E10value_typeET4_jRbjT5_S1B_jjP12ihipStream_tbEUljE_EEESW_SX_SY_S15_S19_S1B_T6_T7_T9_mT8_S1D_bDpT10_ENKUlT_T0_E_clISt17integral_constantIbLb1EES1P_IbLb0EEEEDaS1L_S1M_EUlS1L_E_NS1_11comp_targetILNS1_3genE3ELNS1_11target_archE908ELNS1_3gpuE7ELNS1_3repE0EEENS1_30default_config_static_selectorELNS0_4arch9wavefront6targetE0EEEvSZ_.has_recursion, 0
	.set _ZN7rocprim17ROCPRIM_400000_NS6detail17trampoline_kernelINS0_13select_configILj256ELj13ELNS0_17block_load_methodE3ELS4_3ELS4_3ELNS0_20block_scan_algorithmE0ELj4294967295EEENS1_25partition_config_selectorILNS1_17partition_subalgoE3EjNS0_10empty_typeEbEEZZNS1_14partition_implILS8_3ELb0ES6_jNS0_17counting_iteratorIjlEEPS9_SE_NS0_5tupleIJPjSE_EEENSF_IJSE_SE_EEES9_SG_JZNS1_25segmented_radix_sort_implINS0_14default_configELb1EPK12hip_bfloat16PSL_PKlPlN2at6native12_GLOBAL__N_18offset_tEEE10hipError_tPvRmT1_PNSt15iterator_traitsISZ_E10value_typeET2_T3_PNS10_IS15_E10value_typeET4_jRbjT5_S1B_jjP12ihipStream_tbEUljE_EEESW_SX_SY_S15_S19_S1B_T6_T7_T9_mT8_S1D_bDpT10_ENKUlT_T0_E_clISt17integral_constantIbLb1EES1P_IbLb0EEEEDaS1L_S1M_EUlS1L_E_NS1_11comp_targetILNS1_3genE3ELNS1_11target_archE908ELNS1_3gpuE7ELNS1_3repE0EEENS1_30default_config_static_selectorELNS0_4arch9wavefront6targetE0EEEvSZ_.has_indirect_call, 0
	.section	.AMDGPU.csdata,"",@progbits
; Kernel info:
; codeLenInByte = 0
; TotalNumSgprs: 0
; NumVgprs: 0
; ScratchSize: 0
; MemoryBound: 0
; FloatMode: 240
; IeeeMode: 1
; LDSByteSize: 0 bytes/workgroup (compile time only)
; SGPRBlocks: 0
; VGPRBlocks: 0
; NumSGPRsForWavesPerEU: 1
; NumVGPRsForWavesPerEU: 1
; Occupancy: 16
; WaveLimiterHint : 0
; COMPUTE_PGM_RSRC2:SCRATCH_EN: 0
; COMPUTE_PGM_RSRC2:USER_SGPR: 6
; COMPUTE_PGM_RSRC2:TRAP_HANDLER: 0
; COMPUTE_PGM_RSRC2:TGID_X_EN: 1
; COMPUTE_PGM_RSRC2:TGID_Y_EN: 0
; COMPUTE_PGM_RSRC2:TGID_Z_EN: 0
; COMPUTE_PGM_RSRC2:TIDIG_COMP_CNT: 0
	.section	.text._ZN7rocprim17ROCPRIM_400000_NS6detail17trampoline_kernelINS0_13select_configILj256ELj13ELNS0_17block_load_methodE3ELS4_3ELS4_3ELNS0_20block_scan_algorithmE0ELj4294967295EEENS1_25partition_config_selectorILNS1_17partition_subalgoE3EjNS0_10empty_typeEbEEZZNS1_14partition_implILS8_3ELb0ES6_jNS0_17counting_iteratorIjlEEPS9_SE_NS0_5tupleIJPjSE_EEENSF_IJSE_SE_EEES9_SG_JZNS1_25segmented_radix_sort_implINS0_14default_configELb1EPK12hip_bfloat16PSL_PKlPlN2at6native12_GLOBAL__N_18offset_tEEE10hipError_tPvRmT1_PNSt15iterator_traitsISZ_E10value_typeET2_T3_PNS10_IS15_E10value_typeET4_jRbjT5_S1B_jjP12ihipStream_tbEUljE_EEESW_SX_SY_S15_S19_S1B_T6_T7_T9_mT8_S1D_bDpT10_ENKUlT_T0_E_clISt17integral_constantIbLb1EES1P_IbLb0EEEEDaS1L_S1M_EUlS1L_E_NS1_11comp_targetILNS1_3genE2ELNS1_11target_archE906ELNS1_3gpuE6ELNS1_3repE0EEENS1_30default_config_static_selectorELNS0_4arch9wavefront6targetE0EEEvSZ_,"axG",@progbits,_ZN7rocprim17ROCPRIM_400000_NS6detail17trampoline_kernelINS0_13select_configILj256ELj13ELNS0_17block_load_methodE3ELS4_3ELS4_3ELNS0_20block_scan_algorithmE0ELj4294967295EEENS1_25partition_config_selectorILNS1_17partition_subalgoE3EjNS0_10empty_typeEbEEZZNS1_14partition_implILS8_3ELb0ES6_jNS0_17counting_iteratorIjlEEPS9_SE_NS0_5tupleIJPjSE_EEENSF_IJSE_SE_EEES9_SG_JZNS1_25segmented_radix_sort_implINS0_14default_configELb1EPK12hip_bfloat16PSL_PKlPlN2at6native12_GLOBAL__N_18offset_tEEE10hipError_tPvRmT1_PNSt15iterator_traitsISZ_E10value_typeET2_T3_PNS10_IS15_E10value_typeET4_jRbjT5_S1B_jjP12ihipStream_tbEUljE_EEESW_SX_SY_S15_S19_S1B_T6_T7_T9_mT8_S1D_bDpT10_ENKUlT_T0_E_clISt17integral_constantIbLb1EES1P_IbLb0EEEEDaS1L_S1M_EUlS1L_E_NS1_11comp_targetILNS1_3genE2ELNS1_11target_archE906ELNS1_3gpuE6ELNS1_3repE0EEENS1_30default_config_static_selectorELNS0_4arch9wavefront6targetE0EEEvSZ_,comdat
	.globl	_ZN7rocprim17ROCPRIM_400000_NS6detail17trampoline_kernelINS0_13select_configILj256ELj13ELNS0_17block_load_methodE3ELS4_3ELS4_3ELNS0_20block_scan_algorithmE0ELj4294967295EEENS1_25partition_config_selectorILNS1_17partition_subalgoE3EjNS0_10empty_typeEbEEZZNS1_14partition_implILS8_3ELb0ES6_jNS0_17counting_iteratorIjlEEPS9_SE_NS0_5tupleIJPjSE_EEENSF_IJSE_SE_EEES9_SG_JZNS1_25segmented_radix_sort_implINS0_14default_configELb1EPK12hip_bfloat16PSL_PKlPlN2at6native12_GLOBAL__N_18offset_tEEE10hipError_tPvRmT1_PNSt15iterator_traitsISZ_E10value_typeET2_T3_PNS10_IS15_E10value_typeET4_jRbjT5_S1B_jjP12ihipStream_tbEUljE_EEESW_SX_SY_S15_S19_S1B_T6_T7_T9_mT8_S1D_bDpT10_ENKUlT_T0_E_clISt17integral_constantIbLb1EES1P_IbLb0EEEEDaS1L_S1M_EUlS1L_E_NS1_11comp_targetILNS1_3genE2ELNS1_11target_archE906ELNS1_3gpuE6ELNS1_3repE0EEENS1_30default_config_static_selectorELNS0_4arch9wavefront6targetE0EEEvSZ_ ; -- Begin function _ZN7rocprim17ROCPRIM_400000_NS6detail17trampoline_kernelINS0_13select_configILj256ELj13ELNS0_17block_load_methodE3ELS4_3ELS4_3ELNS0_20block_scan_algorithmE0ELj4294967295EEENS1_25partition_config_selectorILNS1_17partition_subalgoE3EjNS0_10empty_typeEbEEZZNS1_14partition_implILS8_3ELb0ES6_jNS0_17counting_iteratorIjlEEPS9_SE_NS0_5tupleIJPjSE_EEENSF_IJSE_SE_EEES9_SG_JZNS1_25segmented_radix_sort_implINS0_14default_configELb1EPK12hip_bfloat16PSL_PKlPlN2at6native12_GLOBAL__N_18offset_tEEE10hipError_tPvRmT1_PNSt15iterator_traitsISZ_E10value_typeET2_T3_PNS10_IS15_E10value_typeET4_jRbjT5_S1B_jjP12ihipStream_tbEUljE_EEESW_SX_SY_S15_S19_S1B_T6_T7_T9_mT8_S1D_bDpT10_ENKUlT_T0_E_clISt17integral_constantIbLb1EES1P_IbLb0EEEEDaS1L_S1M_EUlS1L_E_NS1_11comp_targetILNS1_3genE2ELNS1_11target_archE906ELNS1_3gpuE6ELNS1_3repE0EEENS1_30default_config_static_selectorELNS0_4arch9wavefront6targetE0EEEvSZ_
	.p2align	8
	.type	_ZN7rocprim17ROCPRIM_400000_NS6detail17trampoline_kernelINS0_13select_configILj256ELj13ELNS0_17block_load_methodE3ELS4_3ELS4_3ELNS0_20block_scan_algorithmE0ELj4294967295EEENS1_25partition_config_selectorILNS1_17partition_subalgoE3EjNS0_10empty_typeEbEEZZNS1_14partition_implILS8_3ELb0ES6_jNS0_17counting_iteratorIjlEEPS9_SE_NS0_5tupleIJPjSE_EEENSF_IJSE_SE_EEES9_SG_JZNS1_25segmented_radix_sort_implINS0_14default_configELb1EPK12hip_bfloat16PSL_PKlPlN2at6native12_GLOBAL__N_18offset_tEEE10hipError_tPvRmT1_PNSt15iterator_traitsISZ_E10value_typeET2_T3_PNS10_IS15_E10value_typeET4_jRbjT5_S1B_jjP12ihipStream_tbEUljE_EEESW_SX_SY_S15_S19_S1B_T6_T7_T9_mT8_S1D_bDpT10_ENKUlT_T0_E_clISt17integral_constantIbLb1EES1P_IbLb0EEEEDaS1L_S1M_EUlS1L_E_NS1_11comp_targetILNS1_3genE2ELNS1_11target_archE906ELNS1_3gpuE6ELNS1_3repE0EEENS1_30default_config_static_selectorELNS0_4arch9wavefront6targetE0EEEvSZ_,@function
_ZN7rocprim17ROCPRIM_400000_NS6detail17trampoline_kernelINS0_13select_configILj256ELj13ELNS0_17block_load_methodE3ELS4_3ELS4_3ELNS0_20block_scan_algorithmE0ELj4294967295EEENS1_25partition_config_selectorILNS1_17partition_subalgoE3EjNS0_10empty_typeEbEEZZNS1_14partition_implILS8_3ELb0ES6_jNS0_17counting_iteratorIjlEEPS9_SE_NS0_5tupleIJPjSE_EEENSF_IJSE_SE_EEES9_SG_JZNS1_25segmented_radix_sort_implINS0_14default_configELb1EPK12hip_bfloat16PSL_PKlPlN2at6native12_GLOBAL__N_18offset_tEEE10hipError_tPvRmT1_PNSt15iterator_traitsISZ_E10value_typeET2_T3_PNS10_IS15_E10value_typeET4_jRbjT5_S1B_jjP12ihipStream_tbEUljE_EEESW_SX_SY_S15_S19_S1B_T6_T7_T9_mT8_S1D_bDpT10_ENKUlT_T0_E_clISt17integral_constantIbLb1EES1P_IbLb0EEEEDaS1L_S1M_EUlS1L_E_NS1_11comp_targetILNS1_3genE2ELNS1_11target_archE906ELNS1_3gpuE6ELNS1_3repE0EEENS1_30default_config_static_selectorELNS0_4arch9wavefront6targetE0EEEvSZ_: ; @_ZN7rocprim17ROCPRIM_400000_NS6detail17trampoline_kernelINS0_13select_configILj256ELj13ELNS0_17block_load_methodE3ELS4_3ELS4_3ELNS0_20block_scan_algorithmE0ELj4294967295EEENS1_25partition_config_selectorILNS1_17partition_subalgoE3EjNS0_10empty_typeEbEEZZNS1_14partition_implILS8_3ELb0ES6_jNS0_17counting_iteratorIjlEEPS9_SE_NS0_5tupleIJPjSE_EEENSF_IJSE_SE_EEES9_SG_JZNS1_25segmented_radix_sort_implINS0_14default_configELb1EPK12hip_bfloat16PSL_PKlPlN2at6native12_GLOBAL__N_18offset_tEEE10hipError_tPvRmT1_PNSt15iterator_traitsISZ_E10value_typeET2_T3_PNS10_IS15_E10value_typeET4_jRbjT5_S1B_jjP12ihipStream_tbEUljE_EEESW_SX_SY_S15_S19_S1B_T6_T7_T9_mT8_S1D_bDpT10_ENKUlT_T0_E_clISt17integral_constantIbLb1EES1P_IbLb0EEEEDaS1L_S1M_EUlS1L_E_NS1_11comp_targetILNS1_3genE2ELNS1_11target_archE906ELNS1_3gpuE6ELNS1_3repE0EEENS1_30default_config_static_selectorELNS0_4arch9wavefront6targetE0EEEvSZ_
; %bb.0:
	.section	.rodata,"a",@progbits
	.p2align	6, 0x0
	.amdhsa_kernel _ZN7rocprim17ROCPRIM_400000_NS6detail17trampoline_kernelINS0_13select_configILj256ELj13ELNS0_17block_load_methodE3ELS4_3ELS4_3ELNS0_20block_scan_algorithmE0ELj4294967295EEENS1_25partition_config_selectorILNS1_17partition_subalgoE3EjNS0_10empty_typeEbEEZZNS1_14partition_implILS8_3ELb0ES6_jNS0_17counting_iteratorIjlEEPS9_SE_NS0_5tupleIJPjSE_EEENSF_IJSE_SE_EEES9_SG_JZNS1_25segmented_radix_sort_implINS0_14default_configELb1EPK12hip_bfloat16PSL_PKlPlN2at6native12_GLOBAL__N_18offset_tEEE10hipError_tPvRmT1_PNSt15iterator_traitsISZ_E10value_typeET2_T3_PNS10_IS15_E10value_typeET4_jRbjT5_S1B_jjP12ihipStream_tbEUljE_EEESW_SX_SY_S15_S19_S1B_T6_T7_T9_mT8_S1D_bDpT10_ENKUlT_T0_E_clISt17integral_constantIbLb1EES1P_IbLb0EEEEDaS1L_S1M_EUlS1L_E_NS1_11comp_targetILNS1_3genE2ELNS1_11target_archE906ELNS1_3gpuE6ELNS1_3repE0EEENS1_30default_config_static_selectorELNS0_4arch9wavefront6targetE0EEEvSZ_
		.amdhsa_group_segment_fixed_size 0
		.amdhsa_private_segment_fixed_size 0
		.amdhsa_kernarg_size 144
		.amdhsa_user_sgpr_count 6
		.amdhsa_user_sgpr_private_segment_buffer 1
		.amdhsa_user_sgpr_dispatch_ptr 0
		.amdhsa_user_sgpr_queue_ptr 0
		.amdhsa_user_sgpr_kernarg_segment_ptr 1
		.amdhsa_user_sgpr_dispatch_id 0
		.amdhsa_user_sgpr_flat_scratch_init 0
		.amdhsa_user_sgpr_private_segment_size 0
		.amdhsa_wavefront_size32 1
		.amdhsa_uses_dynamic_stack 0
		.amdhsa_system_sgpr_private_segment_wavefront_offset 0
		.amdhsa_system_sgpr_workgroup_id_x 1
		.amdhsa_system_sgpr_workgroup_id_y 0
		.amdhsa_system_sgpr_workgroup_id_z 0
		.amdhsa_system_sgpr_workgroup_info 0
		.amdhsa_system_vgpr_workitem_id 0
		.amdhsa_next_free_vgpr 1
		.amdhsa_next_free_sgpr 1
		.amdhsa_reserve_vcc 0
		.amdhsa_reserve_flat_scratch 0
		.amdhsa_float_round_mode_32 0
		.amdhsa_float_round_mode_16_64 0
		.amdhsa_float_denorm_mode_32 3
		.amdhsa_float_denorm_mode_16_64 3
		.amdhsa_dx10_clamp 1
		.amdhsa_ieee_mode 1
		.amdhsa_fp16_overflow 0
		.amdhsa_workgroup_processor_mode 1
		.amdhsa_memory_ordered 1
		.amdhsa_forward_progress 1
		.amdhsa_shared_vgpr_count 0
		.amdhsa_exception_fp_ieee_invalid_op 0
		.amdhsa_exception_fp_denorm_src 0
		.amdhsa_exception_fp_ieee_div_zero 0
		.amdhsa_exception_fp_ieee_overflow 0
		.amdhsa_exception_fp_ieee_underflow 0
		.amdhsa_exception_fp_ieee_inexact 0
		.amdhsa_exception_int_div_zero 0
	.end_amdhsa_kernel
	.section	.text._ZN7rocprim17ROCPRIM_400000_NS6detail17trampoline_kernelINS0_13select_configILj256ELj13ELNS0_17block_load_methodE3ELS4_3ELS4_3ELNS0_20block_scan_algorithmE0ELj4294967295EEENS1_25partition_config_selectorILNS1_17partition_subalgoE3EjNS0_10empty_typeEbEEZZNS1_14partition_implILS8_3ELb0ES6_jNS0_17counting_iteratorIjlEEPS9_SE_NS0_5tupleIJPjSE_EEENSF_IJSE_SE_EEES9_SG_JZNS1_25segmented_radix_sort_implINS0_14default_configELb1EPK12hip_bfloat16PSL_PKlPlN2at6native12_GLOBAL__N_18offset_tEEE10hipError_tPvRmT1_PNSt15iterator_traitsISZ_E10value_typeET2_T3_PNS10_IS15_E10value_typeET4_jRbjT5_S1B_jjP12ihipStream_tbEUljE_EEESW_SX_SY_S15_S19_S1B_T6_T7_T9_mT8_S1D_bDpT10_ENKUlT_T0_E_clISt17integral_constantIbLb1EES1P_IbLb0EEEEDaS1L_S1M_EUlS1L_E_NS1_11comp_targetILNS1_3genE2ELNS1_11target_archE906ELNS1_3gpuE6ELNS1_3repE0EEENS1_30default_config_static_selectorELNS0_4arch9wavefront6targetE0EEEvSZ_,"axG",@progbits,_ZN7rocprim17ROCPRIM_400000_NS6detail17trampoline_kernelINS0_13select_configILj256ELj13ELNS0_17block_load_methodE3ELS4_3ELS4_3ELNS0_20block_scan_algorithmE0ELj4294967295EEENS1_25partition_config_selectorILNS1_17partition_subalgoE3EjNS0_10empty_typeEbEEZZNS1_14partition_implILS8_3ELb0ES6_jNS0_17counting_iteratorIjlEEPS9_SE_NS0_5tupleIJPjSE_EEENSF_IJSE_SE_EEES9_SG_JZNS1_25segmented_radix_sort_implINS0_14default_configELb1EPK12hip_bfloat16PSL_PKlPlN2at6native12_GLOBAL__N_18offset_tEEE10hipError_tPvRmT1_PNSt15iterator_traitsISZ_E10value_typeET2_T3_PNS10_IS15_E10value_typeET4_jRbjT5_S1B_jjP12ihipStream_tbEUljE_EEESW_SX_SY_S15_S19_S1B_T6_T7_T9_mT8_S1D_bDpT10_ENKUlT_T0_E_clISt17integral_constantIbLb1EES1P_IbLb0EEEEDaS1L_S1M_EUlS1L_E_NS1_11comp_targetILNS1_3genE2ELNS1_11target_archE906ELNS1_3gpuE6ELNS1_3repE0EEENS1_30default_config_static_selectorELNS0_4arch9wavefront6targetE0EEEvSZ_,comdat
.Lfunc_end1924:
	.size	_ZN7rocprim17ROCPRIM_400000_NS6detail17trampoline_kernelINS0_13select_configILj256ELj13ELNS0_17block_load_methodE3ELS4_3ELS4_3ELNS0_20block_scan_algorithmE0ELj4294967295EEENS1_25partition_config_selectorILNS1_17partition_subalgoE3EjNS0_10empty_typeEbEEZZNS1_14partition_implILS8_3ELb0ES6_jNS0_17counting_iteratorIjlEEPS9_SE_NS0_5tupleIJPjSE_EEENSF_IJSE_SE_EEES9_SG_JZNS1_25segmented_radix_sort_implINS0_14default_configELb1EPK12hip_bfloat16PSL_PKlPlN2at6native12_GLOBAL__N_18offset_tEEE10hipError_tPvRmT1_PNSt15iterator_traitsISZ_E10value_typeET2_T3_PNS10_IS15_E10value_typeET4_jRbjT5_S1B_jjP12ihipStream_tbEUljE_EEESW_SX_SY_S15_S19_S1B_T6_T7_T9_mT8_S1D_bDpT10_ENKUlT_T0_E_clISt17integral_constantIbLb1EES1P_IbLb0EEEEDaS1L_S1M_EUlS1L_E_NS1_11comp_targetILNS1_3genE2ELNS1_11target_archE906ELNS1_3gpuE6ELNS1_3repE0EEENS1_30default_config_static_selectorELNS0_4arch9wavefront6targetE0EEEvSZ_, .Lfunc_end1924-_ZN7rocprim17ROCPRIM_400000_NS6detail17trampoline_kernelINS0_13select_configILj256ELj13ELNS0_17block_load_methodE3ELS4_3ELS4_3ELNS0_20block_scan_algorithmE0ELj4294967295EEENS1_25partition_config_selectorILNS1_17partition_subalgoE3EjNS0_10empty_typeEbEEZZNS1_14partition_implILS8_3ELb0ES6_jNS0_17counting_iteratorIjlEEPS9_SE_NS0_5tupleIJPjSE_EEENSF_IJSE_SE_EEES9_SG_JZNS1_25segmented_radix_sort_implINS0_14default_configELb1EPK12hip_bfloat16PSL_PKlPlN2at6native12_GLOBAL__N_18offset_tEEE10hipError_tPvRmT1_PNSt15iterator_traitsISZ_E10value_typeET2_T3_PNS10_IS15_E10value_typeET4_jRbjT5_S1B_jjP12ihipStream_tbEUljE_EEESW_SX_SY_S15_S19_S1B_T6_T7_T9_mT8_S1D_bDpT10_ENKUlT_T0_E_clISt17integral_constantIbLb1EES1P_IbLb0EEEEDaS1L_S1M_EUlS1L_E_NS1_11comp_targetILNS1_3genE2ELNS1_11target_archE906ELNS1_3gpuE6ELNS1_3repE0EEENS1_30default_config_static_selectorELNS0_4arch9wavefront6targetE0EEEvSZ_
                                        ; -- End function
	.set _ZN7rocprim17ROCPRIM_400000_NS6detail17trampoline_kernelINS0_13select_configILj256ELj13ELNS0_17block_load_methodE3ELS4_3ELS4_3ELNS0_20block_scan_algorithmE0ELj4294967295EEENS1_25partition_config_selectorILNS1_17partition_subalgoE3EjNS0_10empty_typeEbEEZZNS1_14partition_implILS8_3ELb0ES6_jNS0_17counting_iteratorIjlEEPS9_SE_NS0_5tupleIJPjSE_EEENSF_IJSE_SE_EEES9_SG_JZNS1_25segmented_radix_sort_implINS0_14default_configELb1EPK12hip_bfloat16PSL_PKlPlN2at6native12_GLOBAL__N_18offset_tEEE10hipError_tPvRmT1_PNSt15iterator_traitsISZ_E10value_typeET2_T3_PNS10_IS15_E10value_typeET4_jRbjT5_S1B_jjP12ihipStream_tbEUljE_EEESW_SX_SY_S15_S19_S1B_T6_T7_T9_mT8_S1D_bDpT10_ENKUlT_T0_E_clISt17integral_constantIbLb1EES1P_IbLb0EEEEDaS1L_S1M_EUlS1L_E_NS1_11comp_targetILNS1_3genE2ELNS1_11target_archE906ELNS1_3gpuE6ELNS1_3repE0EEENS1_30default_config_static_selectorELNS0_4arch9wavefront6targetE0EEEvSZ_.num_vgpr, 0
	.set _ZN7rocprim17ROCPRIM_400000_NS6detail17trampoline_kernelINS0_13select_configILj256ELj13ELNS0_17block_load_methodE3ELS4_3ELS4_3ELNS0_20block_scan_algorithmE0ELj4294967295EEENS1_25partition_config_selectorILNS1_17partition_subalgoE3EjNS0_10empty_typeEbEEZZNS1_14partition_implILS8_3ELb0ES6_jNS0_17counting_iteratorIjlEEPS9_SE_NS0_5tupleIJPjSE_EEENSF_IJSE_SE_EEES9_SG_JZNS1_25segmented_radix_sort_implINS0_14default_configELb1EPK12hip_bfloat16PSL_PKlPlN2at6native12_GLOBAL__N_18offset_tEEE10hipError_tPvRmT1_PNSt15iterator_traitsISZ_E10value_typeET2_T3_PNS10_IS15_E10value_typeET4_jRbjT5_S1B_jjP12ihipStream_tbEUljE_EEESW_SX_SY_S15_S19_S1B_T6_T7_T9_mT8_S1D_bDpT10_ENKUlT_T0_E_clISt17integral_constantIbLb1EES1P_IbLb0EEEEDaS1L_S1M_EUlS1L_E_NS1_11comp_targetILNS1_3genE2ELNS1_11target_archE906ELNS1_3gpuE6ELNS1_3repE0EEENS1_30default_config_static_selectorELNS0_4arch9wavefront6targetE0EEEvSZ_.num_agpr, 0
	.set _ZN7rocprim17ROCPRIM_400000_NS6detail17trampoline_kernelINS0_13select_configILj256ELj13ELNS0_17block_load_methodE3ELS4_3ELS4_3ELNS0_20block_scan_algorithmE0ELj4294967295EEENS1_25partition_config_selectorILNS1_17partition_subalgoE3EjNS0_10empty_typeEbEEZZNS1_14partition_implILS8_3ELb0ES6_jNS0_17counting_iteratorIjlEEPS9_SE_NS0_5tupleIJPjSE_EEENSF_IJSE_SE_EEES9_SG_JZNS1_25segmented_radix_sort_implINS0_14default_configELb1EPK12hip_bfloat16PSL_PKlPlN2at6native12_GLOBAL__N_18offset_tEEE10hipError_tPvRmT1_PNSt15iterator_traitsISZ_E10value_typeET2_T3_PNS10_IS15_E10value_typeET4_jRbjT5_S1B_jjP12ihipStream_tbEUljE_EEESW_SX_SY_S15_S19_S1B_T6_T7_T9_mT8_S1D_bDpT10_ENKUlT_T0_E_clISt17integral_constantIbLb1EES1P_IbLb0EEEEDaS1L_S1M_EUlS1L_E_NS1_11comp_targetILNS1_3genE2ELNS1_11target_archE906ELNS1_3gpuE6ELNS1_3repE0EEENS1_30default_config_static_selectorELNS0_4arch9wavefront6targetE0EEEvSZ_.numbered_sgpr, 0
	.set _ZN7rocprim17ROCPRIM_400000_NS6detail17trampoline_kernelINS0_13select_configILj256ELj13ELNS0_17block_load_methodE3ELS4_3ELS4_3ELNS0_20block_scan_algorithmE0ELj4294967295EEENS1_25partition_config_selectorILNS1_17partition_subalgoE3EjNS0_10empty_typeEbEEZZNS1_14partition_implILS8_3ELb0ES6_jNS0_17counting_iteratorIjlEEPS9_SE_NS0_5tupleIJPjSE_EEENSF_IJSE_SE_EEES9_SG_JZNS1_25segmented_radix_sort_implINS0_14default_configELb1EPK12hip_bfloat16PSL_PKlPlN2at6native12_GLOBAL__N_18offset_tEEE10hipError_tPvRmT1_PNSt15iterator_traitsISZ_E10value_typeET2_T3_PNS10_IS15_E10value_typeET4_jRbjT5_S1B_jjP12ihipStream_tbEUljE_EEESW_SX_SY_S15_S19_S1B_T6_T7_T9_mT8_S1D_bDpT10_ENKUlT_T0_E_clISt17integral_constantIbLb1EES1P_IbLb0EEEEDaS1L_S1M_EUlS1L_E_NS1_11comp_targetILNS1_3genE2ELNS1_11target_archE906ELNS1_3gpuE6ELNS1_3repE0EEENS1_30default_config_static_selectorELNS0_4arch9wavefront6targetE0EEEvSZ_.num_named_barrier, 0
	.set _ZN7rocprim17ROCPRIM_400000_NS6detail17trampoline_kernelINS0_13select_configILj256ELj13ELNS0_17block_load_methodE3ELS4_3ELS4_3ELNS0_20block_scan_algorithmE0ELj4294967295EEENS1_25partition_config_selectorILNS1_17partition_subalgoE3EjNS0_10empty_typeEbEEZZNS1_14partition_implILS8_3ELb0ES6_jNS0_17counting_iteratorIjlEEPS9_SE_NS0_5tupleIJPjSE_EEENSF_IJSE_SE_EEES9_SG_JZNS1_25segmented_radix_sort_implINS0_14default_configELb1EPK12hip_bfloat16PSL_PKlPlN2at6native12_GLOBAL__N_18offset_tEEE10hipError_tPvRmT1_PNSt15iterator_traitsISZ_E10value_typeET2_T3_PNS10_IS15_E10value_typeET4_jRbjT5_S1B_jjP12ihipStream_tbEUljE_EEESW_SX_SY_S15_S19_S1B_T6_T7_T9_mT8_S1D_bDpT10_ENKUlT_T0_E_clISt17integral_constantIbLb1EES1P_IbLb0EEEEDaS1L_S1M_EUlS1L_E_NS1_11comp_targetILNS1_3genE2ELNS1_11target_archE906ELNS1_3gpuE6ELNS1_3repE0EEENS1_30default_config_static_selectorELNS0_4arch9wavefront6targetE0EEEvSZ_.private_seg_size, 0
	.set _ZN7rocprim17ROCPRIM_400000_NS6detail17trampoline_kernelINS0_13select_configILj256ELj13ELNS0_17block_load_methodE3ELS4_3ELS4_3ELNS0_20block_scan_algorithmE0ELj4294967295EEENS1_25partition_config_selectorILNS1_17partition_subalgoE3EjNS0_10empty_typeEbEEZZNS1_14partition_implILS8_3ELb0ES6_jNS0_17counting_iteratorIjlEEPS9_SE_NS0_5tupleIJPjSE_EEENSF_IJSE_SE_EEES9_SG_JZNS1_25segmented_radix_sort_implINS0_14default_configELb1EPK12hip_bfloat16PSL_PKlPlN2at6native12_GLOBAL__N_18offset_tEEE10hipError_tPvRmT1_PNSt15iterator_traitsISZ_E10value_typeET2_T3_PNS10_IS15_E10value_typeET4_jRbjT5_S1B_jjP12ihipStream_tbEUljE_EEESW_SX_SY_S15_S19_S1B_T6_T7_T9_mT8_S1D_bDpT10_ENKUlT_T0_E_clISt17integral_constantIbLb1EES1P_IbLb0EEEEDaS1L_S1M_EUlS1L_E_NS1_11comp_targetILNS1_3genE2ELNS1_11target_archE906ELNS1_3gpuE6ELNS1_3repE0EEENS1_30default_config_static_selectorELNS0_4arch9wavefront6targetE0EEEvSZ_.uses_vcc, 0
	.set _ZN7rocprim17ROCPRIM_400000_NS6detail17trampoline_kernelINS0_13select_configILj256ELj13ELNS0_17block_load_methodE3ELS4_3ELS4_3ELNS0_20block_scan_algorithmE0ELj4294967295EEENS1_25partition_config_selectorILNS1_17partition_subalgoE3EjNS0_10empty_typeEbEEZZNS1_14partition_implILS8_3ELb0ES6_jNS0_17counting_iteratorIjlEEPS9_SE_NS0_5tupleIJPjSE_EEENSF_IJSE_SE_EEES9_SG_JZNS1_25segmented_radix_sort_implINS0_14default_configELb1EPK12hip_bfloat16PSL_PKlPlN2at6native12_GLOBAL__N_18offset_tEEE10hipError_tPvRmT1_PNSt15iterator_traitsISZ_E10value_typeET2_T3_PNS10_IS15_E10value_typeET4_jRbjT5_S1B_jjP12ihipStream_tbEUljE_EEESW_SX_SY_S15_S19_S1B_T6_T7_T9_mT8_S1D_bDpT10_ENKUlT_T0_E_clISt17integral_constantIbLb1EES1P_IbLb0EEEEDaS1L_S1M_EUlS1L_E_NS1_11comp_targetILNS1_3genE2ELNS1_11target_archE906ELNS1_3gpuE6ELNS1_3repE0EEENS1_30default_config_static_selectorELNS0_4arch9wavefront6targetE0EEEvSZ_.uses_flat_scratch, 0
	.set _ZN7rocprim17ROCPRIM_400000_NS6detail17trampoline_kernelINS0_13select_configILj256ELj13ELNS0_17block_load_methodE3ELS4_3ELS4_3ELNS0_20block_scan_algorithmE0ELj4294967295EEENS1_25partition_config_selectorILNS1_17partition_subalgoE3EjNS0_10empty_typeEbEEZZNS1_14partition_implILS8_3ELb0ES6_jNS0_17counting_iteratorIjlEEPS9_SE_NS0_5tupleIJPjSE_EEENSF_IJSE_SE_EEES9_SG_JZNS1_25segmented_radix_sort_implINS0_14default_configELb1EPK12hip_bfloat16PSL_PKlPlN2at6native12_GLOBAL__N_18offset_tEEE10hipError_tPvRmT1_PNSt15iterator_traitsISZ_E10value_typeET2_T3_PNS10_IS15_E10value_typeET4_jRbjT5_S1B_jjP12ihipStream_tbEUljE_EEESW_SX_SY_S15_S19_S1B_T6_T7_T9_mT8_S1D_bDpT10_ENKUlT_T0_E_clISt17integral_constantIbLb1EES1P_IbLb0EEEEDaS1L_S1M_EUlS1L_E_NS1_11comp_targetILNS1_3genE2ELNS1_11target_archE906ELNS1_3gpuE6ELNS1_3repE0EEENS1_30default_config_static_selectorELNS0_4arch9wavefront6targetE0EEEvSZ_.has_dyn_sized_stack, 0
	.set _ZN7rocprim17ROCPRIM_400000_NS6detail17trampoline_kernelINS0_13select_configILj256ELj13ELNS0_17block_load_methodE3ELS4_3ELS4_3ELNS0_20block_scan_algorithmE0ELj4294967295EEENS1_25partition_config_selectorILNS1_17partition_subalgoE3EjNS0_10empty_typeEbEEZZNS1_14partition_implILS8_3ELb0ES6_jNS0_17counting_iteratorIjlEEPS9_SE_NS0_5tupleIJPjSE_EEENSF_IJSE_SE_EEES9_SG_JZNS1_25segmented_radix_sort_implINS0_14default_configELb1EPK12hip_bfloat16PSL_PKlPlN2at6native12_GLOBAL__N_18offset_tEEE10hipError_tPvRmT1_PNSt15iterator_traitsISZ_E10value_typeET2_T3_PNS10_IS15_E10value_typeET4_jRbjT5_S1B_jjP12ihipStream_tbEUljE_EEESW_SX_SY_S15_S19_S1B_T6_T7_T9_mT8_S1D_bDpT10_ENKUlT_T0_E_clISt17integral_constantIbLb1EES1P_IbLb0EEEEDaS1L_S1M_EUlS1L_E_NS1_11comp_targetILNS1_3genE2ELNS1_11target_archE906ELNS1_3gpuE6ELNS1_3repE0EEENS1_30default_config_static_selectorELNS0_4arch9wavefront6targetE0EEEvSZ_.has_recursion, 0
	.set _ZN7rocprim17ROCPRIM_400000_NS6detail17trampoline_kernelINS0_13select_configILj256ELj13ELNS0_17block_load_methodE3ELS4_3ELS4_3ELNS0_20block_scan_algorithmE0ELj4294967295EEENS1_25partition_config_selectorILNS1_17partition_subalgoE3EjNS0_10empty_typeEbEEZZNS1_14partition_implILS8_3ELb0ES6_jNS0_17counting_iteratorIjlEEPS9_SE_NS0_5tupleIJPjSE_EEENSF_IJSE_SE_EEES9_SG_JZNS1_25segmented_radix_sort_implINS0_14default_configELb1EPK12hip_bfloat16PSL_PKlPlN2at6native12_GLOBAL__N_18offset_tEEE10hipError_tPvRmT1_PNSt15iterator_traitsISZ_E10value_typeET2_T3_PNS10_IS15_E10value_typeET4_jRbjT5_S1B_jjP12ihipStream_tbEUljE_EEESW_SX_SY_S15_S19_S1B_T6_T7_T9_mT8_S1D_bDpT10_ENKUlT_T0_E_clISt17integral_constantIbLb1EES1P_IbLb0EEEEDaS1L_S1M_EUlS1L_E_NS1_11comp_targetILNS1_3genE2ELNS1_11target_archE906ELNS1_3gpuE6ELNS1_3repE0EEENS1_30default_config_static_selectorELNS0_4arch9wavefront6targetE0EEEvSZ_.has_indirect_call, 0
	.section	.AMDGPU.csdata,"",@progbits
; Kernel info:
; codeLenInByte = 0
; TotalNumSgprs: 0
; NumVgprs: 0
; ScratchSize: 0
; MemoryBound: 0
; FloatMode: 240
; IeeeMode: 1
; LDSByteSize: 0 bytes/workgroup (compile time only)
; SGPRBlocks: 0
; VGPRBlocks: 0
; NumSGPRsForWavesPerEU: 1
; NumVGPRsForWavesPerEU: 1
; Occupancy: 16
; WaveLimiterHint : 0
; COMPUTE_PGM_RSRC2:SCRATCH_EN: 0
; COMPUTE_PGM_RSRC2:USER_SGPR: 6
; COMPUTE_PGM_RSRC2:TRAP_HANDLER: 0
; COMPUTE_PGM_RSRC2:TGID_X_EN: 1
; COMPUTE_PGM_RSRC2:TGID_Y_EN: 0
; COMPUTE_PGM_RSRC2:TGID_Z_EN: 0
; COMPUTE_PGM_RSRC2:TIDIG_COMP_CNT: 0
	.section	.text._ZN7rocprim17ROCPRIM_400000_NS6detail17trampoline_kernelINS0_13select_configILj256ELj13ELNS0_17block_load_methodE3ELS4_3ELS4_3ELNS0_20block_scan_algorithmE0ELj4294967295EEENS1_25partition_config_selectorILNS1_17partition_subalgoE3EjNS0_10empty_typeEbEEZZNS1_14partition_implILS8_3ELb0ES6_jNS0_17counting_iteratorIjlEEPS9_SE_NS0_5tupleIJPjSE_EEENSF_IJSE_SE_EEES9_SG_JZNS1_25segmented_radix_sort_implINS0_14default_configELb1EPK12hip_bfloat16PSL_PKlPlN2at6native12_GLOBAL__N_18offset_tEEE10hipError_tPvRmT1_PNSt15iterator_traitsISZ_E10value_typeET2_T3_PNS10_IS15_E10value_typeET4_jRbjT5_S1B_jjP12ihipStream_tbEUljE_EEESW_SX_SY_S15_S19_S1B_T6_T7_T9_mT8_S1D_bDpT10_ENKUlT_T0_E_clISt17integral_constantIbLb1EES1P_IbLb0EEEEDaS1L_S1M_EUlS1L_E_NS1_11comp_targetILNS1_3genE10ELNS1_11target_archE1200ELNS1_3gpuE4ELNS1_3repE0EEENS1_30default_config_static_selectorELNS0_4arch9wavefront6targetE0EEEvSZ_,"axG",@progbits,_ZN7rocprim17ROCPRIM_400000_NS6detail17trampoline_kernelINS0_13select_configILj256ELj13ELNS0_17block_load_methodE3ELS4_3ELS4_3ELNS0_20block_scan_algorithmE0ELj4294967295EEENS1_25partition_config_selectorILNS1_17partition_subalgoE3EjNS0_10empty_typeEbEEZZNS1_14partition_implILS8_3ELb0ES6_jNS0_17counting_iteratorIjlEEPS9_SE_NS0_5tupleIJPjSE_EEENSF_IJSE_SE_EEES9_SG_JZNS1_25segmented_radix_sort_implINS0_14default_configELb1EPK12hip_bfloat16PSL_PKlPlN2at6native12_GLOBAL__N_18offset_tEEE10hipError_tPvRmT1_PNSt15iterator_traitsISZ_E10value_typeET2_T3_PNS10_IS15_E10value_typeET4_jRbjT5_S1B_jjP12ihipStream_tbEUljE_EEESW_SX_SY_S15_S19_S1B_T6_T7_T9_mT8_S1D_bDpT10_ENKUlT_T0_E_clISt17integral_constantIbLb1EES1P_IbLb0EEEEDaS1L_S1M_EUlS1L_E_NS1_11comp_targetILNS1_3genE10ELNS1_11target_archE1200ELNS1_3gpuE4ELNS1_3repE0EEENS1_30default_config_static_selectorELNS0_4arch9wavefront6targetE0EEEvSZ_,comdat
	.globl	_ZN7rocprim17ROCPRIM_400000_NS6detail17trampoline_kernelINS0_13select_configILj256ELj13ELNS0_17block_load_methodE3ELS4_3ELS4_3ELNS0_20block_scan_algorithmE0ELj4294967295EEENS1_25partition_config_selectorILNS1_17partition_subalgoE3EjNS0_10empty_typeEbEEZZNS1_14partition_implILS8_3ELb0ES6_jNS0_17counting_iteratorIjlEEPS9_SE_NS0_5tupleIJPjSE_EEENSF_IJSE_SE_EEES9_SG_JZNS1_25segmented_radix_sort_implINS0_14default_configELb1EPK12hip_bfloat16PSL_PKlPlN2at6native12_GLOBAL__N_18offset_tEEE10hipError_tPvRmT1_PNSt15iterator_traitsISZ_E10value_typeET2_T3_PNS10_IS15_E10value_typeET4_jRbjT5_S1B_jjP12ihipStream_tbEUljE_EEESW_SX_SY_S15_S19_S1B_T6_T7_T9_mT8_S1D_bDpT10_ENKUlT_T0_E_clISt17integral_constantIbLb1EES1P_IbLb0EEEEDaS1L_S1M_EUlS1L_E_NS1_11comp_targetILNS1_3genE10ELNS1_11target_archE1200ELNS1_3gpuE4ELNS1_3repE0EEENS1_30default_config_static_selectorELNS0_4arch9wavefront6targetE0EEEvSZ_ ; -- Begin function _ZN7rocprim17ROCPRIM_400000_NS6detail17trampoline_kernelINS0_13select_configILj256ELj13ELNS0_17block_load_methodE3ELS4_3ELS4_3ELNS0_20block_scan_algorithmE0ELj4294967295EEENS1_25partition_config_selectorILNS1_17partition_subalgoE3EjNS0_10empty_typeEbEEZZNS1_14partition_implILS8_3ELb0ES6_jNS0_17counting_iteratorIjlEEPS9_SE_NS0_5tupleIJPjSE_EEENSF_IJSE_SE_EEES9_SG_JZNS1_25segmented_radix_sort_implINS0_14default_configELb1EPK12hip_bfloat16PSL_PKlPlN2at6native12_GLOBAL__N_18offset_tEEE10hipError_tPvRmT1_PNSt15iterator_traitsISZ_E10value_typeET2_T3_PNS10_IS15_E10value_typeET4_jRbjT5_S1B_jjP12ihipStream_tbEUljE_EEESW_SX_SY_S15_S19_S1B_T6_T7_T9_mT8_S1D_bDpT10_ENKUlT_T0_E_clISt17integral_constantIbLb1EES1P_IbLb0EEEEDaS1L_S1M_EUlS1L_E_NS1_11comp_targetILNS1_3genE10ELNS1_11target_archE1200ELNS1_3gpuE4ELNS1_3repE0EEENS1_30default_config_static_selectorELNS0_4arch9wavefront6targetE0EEEvSZ_
	.p2align	8
	.type	_ZN7rocprim17ROCPRIM_400000_NS6detail17trampoline_kernelINS0_13select_configILj256ELj13ELNS0_17block_load_methodE3ELS4_3ELS4_3ELNS0_20block_scan_algorithmE0ELj4294967295EEENS1_25partition_config_selectorILNS1_17partition_subalgoE3EjNS0_10empty_typeEbEEZZNS1_14partition_implILS8_3ELb0ES6_jNS0_17counting_iteratorIjlEEPS9_SE_NS0_5tupleIJPjSE_EEENSF_IJSE_SE_EEES9_SG_JZNS1_25segmented_radix_sort_implINS0_14default_configELb1EPK12hip_bfloat16PSL_PKlPlN2at6native12_GLOBAL__N_18offset_tEEE10hipError_tPvRmT1_PNSt15iterator_traitsISZ_E10value_typeET2_T3_PNS10_IS15_E10value_typeET4_jRbjT5_S1B_jjP12ihipStream_tbEUljE_EEESW_SX_SY_S15_S19_S1B_T6_T7_T9_mT8_S1D_bDpT10_ENKUlT_T0_E_clISt17integral_constantIbLb1EES1P_IbLb0EEEEDaS1L_S1M_EUlS1L_E_NS1_11comp_targetILNS1_3genE10ELNS1_11target_archE1200ELNS1_3gpuE4ELNS1_3repE0EEENS1_30default_config_static_selectorELNS0_4arch9wavefront6targetE0EEEvSZ_,@function
_ZN7rocprim17ROCPRIM_400000_NS6detail17trampoline_kernelINS0_13select_configILj256ELj13ELNS0_17block_load_methodE3ELS4_3ELS4_3ELNS0_20block_scan_algorithmE0ELj4294967295EEENS1_25partition_config_selectorILNS1_17partition_subalgoE3EjNS0_10empty_typeEbEEZZNS1_14partition_implILS8_3ELb0ES6_jNS0_17counting_iteratorIjlEEPS9_SE_NS0_5tupleIJPjSE_EEENSF_IJSE_SE_EEES9_SG_JZNS1_25segmented_radix_sort_implINS0_14default_configELb1EPK12hip_bfloat16PSL_PKlPlN2at6native12_GLOBAL__N_18offset_tEEE10hipError_tPvRmT1_PNSt15iterator_traitsISZ_E10value_typeET2_T3_PNS10_IS15_E10value_typeET4_jRbjT5_S1B_jjP12ihipStream_tbEUljE_EEESW_SX_SY_S15_S19_S1B_T6_T7_T9_mT8_S1D_bDpT10_ENKUlT_T0_E_clISt17integral_constantIbLb1EES1P_IbLb0EEEEDaS1L_S1M_EUlS1L_E_NS1_11comp_targetILNS1_3genE10ELNS1_11target_archE1200ELNS1_3gpuE4ELNS1_3repE0EEENS1_30default_config_static_selectorELNS0_4arch9wavefront6targetE0EEEvSZ_: ; @_ZN7rocprim17ROCPRIM_400000_NS6detail17trampoline_kernelINS0_13select_configILj256ELj13ELNS0_17block_load_methodE3ELS4_3ELS4_3ELNS0_20block_scan_algorithmE0ELj4294967295EEENS1_25partition_config_selectorILNS1_17partition_subalgoE3EjNS0_10empty_typeEbEEZZNS1_14partition_implILS8_3ELb0ES6_jNS0_17counting_iteratorIjlEEPS9_SE_NS0_5tupleIJPjSE_EEENSF_IJSE_SE_EEES9_SG_JZNS1_25segmented_radix_sort_implINS0_14default_configELb1EPK12hip_bfloat16PSL_PKlPlN2at6native12_GLOBAL__N_18offset_tEEE10hipError_tPvRmT1_PNSt15iterator_traitsISZ_E10value_typeET2_T3_PNS10_IS15_E10value_typeET4_jRbjT5_S1B_jjP12ihipStream_tbEUljE_EEESW_SX_SY_S15_S19_S1B_T6_T7_T9_mT8_S1D_bDpT10_ENKUlT_T0_E_clISt17integral_constantIbLb1EES1P_IbLb0EEEEDaS1L_S1M_EUlS1L_E_NS1_11comp_targetILNS1_3genE10ELNS1_11target_archE1200ELNS1_3gpuE4ELNS1_3repE0EEENS1_30default_config_static_selectorELNS0_4arch9wavefront6targetE0EEEvSZ_
; %bb.0:
	.section	.rodata,"a",@progbits
	.p2align	6, 0x0
	.amdhsa_kernel _ZN7rocprim17ROCPRIM_400000_NS6detail17trampoline_kernelINS0_13select_configILj256ELj13ELNS0_17block_load_methodE3ELS4_3ELS4_3ELNS0_20block_scan_algorithmE0ELj4294967295EEENS1_25partition_config_selectorILNS1_17partition_subalgoE3EjNS0_10empty_typeEbEEZZNS1_14partition_implILS8_3ELb0ES6_jNS0_17counting_iteratorIjlEEPS9_SE_NS0_5tupleIJPjSE_EEENSF_IJSE_SE_EEES9_SG_JZNS1_25segmented_radix_sort_implINS0_14default_configELb1EPK12hip_bfloat16PSL_PKlPlN2at6native12_GLOBAL__N_18offset_tEEE10hipError_tPvRmT1_PNSt15iterator_traitsISZ_E10value_typeET2_T3_PNS10_IS15_E10value_typeET4_jRbjT5_S1B_jjP12ihipStream_tbEUljE_EEESW_SX_SY_S15_S19_S1B_T6_T7_T9_mT8_S1D_bDpT10_ENKUlT_T0_E_clISt17integral_constantIbLb1EES1P_IbLb0EEEEDaS1L_S1M_EUlS1L_E_NS1_11comp_targetILNS1_3genE10ELNS1_11target_archE1200ELNS1_3gpuE4ELNS1_3repE0EEENS1_30default_config_static_selectorELNS0_4arch9wavefront6targetE0EEEvSZ_
		.amdhsa_group_segment_fixed_size 0
		.amdhsa_private_segment_fixed_size 0
		.amdhsa_kernarg_size 144
		.amdhsa_user_sgpr_count 6
		.amdhsa_user_sgpr_private_segment_buffer 1
		.amdhsa_user_sgpr_dispatch_ptr 0
		.amdhsa_user_sgpr_queue_ptr 0
		.amdhsa_user_sgpr_kernarg_segment_ptr 1
		.amdhsa_user_sgpr_dispatch_id 0
		.amdhsa_user_sgpr_flat_scratch_init 0
		.amdhsa_user_sgpr_private_segment_size 0
		.amdhsa_wavefront_size32 1
		.amdhsa_uses_dynamic_stack 0
		.amdhsa_system_sgpr_private_segment_wavefront_offset 0
		.amdhsa_system_sgpr_workgroup_id_x 1
		.amdhsa_system_sgpr_workgroup_id_y 0
		.amdhsa_system_sgpr_workgroup_id_z 0
		.amdhsa_system_sgpr_workgroup_info 0
		.amdhsa_system_vgpr_workitem_id 0
		.amdhsa_next_free_vgpr 1
		.amdhsa_next_free_sgpr 1
		.amdhsa_reserve_vcc 0
		.amdhsa_reserve_flat_scratch 0
		.amdhsa_float_round_mode_32 0
		.amdhsa_float_round_mode_16_64 0
		.amdhsa_float_denorm_mode_32 3
		.amdhsa_float_denorm_mode_16_64 3
		.amdhsa_dx10_clamp 1
		.amdhsa_ieee_mode 1
		.amdhsa_fp16_overflow 0
		.amdhsa_workgroup_processor_mode 1
		.amdhsa_memory_ordered 1
		.amdhsa_forward_progress 1
		.amdhsa_shared_vgpr_count 0
		.amdhsa_exception_fp_ieee_invalid_op 0
		.amdhsa_exception_fp_denorm_src 0
		.amdhsa_exception_fp_ieee_div_zero 0
		.amdhsa_exception_fp_ieee_overflow 0
		.amdhsa_exception_fp_ieee_underflow 0
		.amdhsa_exception_fp_ieee_inexact 0
		.amdhsa_exception_int_div_zero 0
	.end_amdhsa_kernel
	.section	.text._ZN7rocprim17ROCPRIM_400000_NS6detail17trampoline_kernelINS0_13select_configILj256ELj13ELNS0_17block_load_methodE3ELS4_3ELS4_3ELNS0_20block_scan_algorithmE0ELj4294967295EEENS1_25partition_config_selectorILNS1_17partition_subalgoE3EjNS0_10empty_typeEbEEZZNS1_14partition_implILS8_3ELb0ES6_jNS0_17counting_iteratorIjlEEPS9_SE_NS0_5tupleIJPjSE_EEENSF_IJSE_SE_EEES9_SG_JZNS1_25segmented_radix_sort_implINS0_14default_configELb1EPK12hip_bfloat16PSL_PKlPlN2at6native12_GLOBAL__N_18offset_tEEE10hipError_tPvRmT1_PNSt15iterator_traitsISZ_E10value_typeET2_T3_PNS10_IS15_E10value_typeET4_jRbjT5_S1B_jjP12ihipStream_tbEUljE_EEESW_SX_SY_S15_S19_S1B_T6_T7_T9_mT8_S1D_bDpT10_ENKUlT_T0_E_clISt17integral_constantIbLb1EES1P_IbLb0EEEEDaS1L_S1M_EUlS1L_E_NS1_11comp_targetILNS1_3genE10ELNS1_11target_archE1200ELNS1_3gpuE4ELNS1_3repE0EEENS1_30default_config_static_selectorELNS0_4arch9wavefront6targetE0EEEvSZ_,"axG",@progbits,_ZN7rocprim17ROCPRIM_400000_NS6detail17trampoline_kernelINS0_13select_configILj256ELj13ELNS0_17block_load_methodE3ELS4_3ELS4_3ELNS0_20block_scan_algorithmE0ELj4294967295EEENS1_25partition_config_selectorILNS1_17partition_subalgoE3EjNS0_10empty_typeEbEEZZNS1_14partition_implILS8_3ELb0ES6_jNS0_17counting_iteratorIjlEEPS9_SE_NS0_5tupleIJPjSE_EEENSF_IJSE_SE_EEES9_SG_JZNS1_25segmented_radix_sort_implINS0_14default_configELb1EPK12hip_bfloat16PSL_PKlPlN2at6native12_GLOBAL__N_18offset_tEEE10hipError_tPvRmT1_PNSt15iterator_traitsISZ_E10value_typeET2_T3_PNS10_IS15_E10value_typeET4_jRbjT5_S1B_jjP12ihipStream_tbEUljE_EEESW_SX_SY_S15_S19_S1B_T6_T7_T9_mT8_S1D_bDpT10_ENKUlT_T0_E_clISt17integral_constantIbLb1EES1P_IbLb0EEEEDaS1L_S1M_EUlS1L_E_NS1_11comp_targetILNS1_3genE10ELNS1_11target_archE1200ELNS1_3gpuE4ELNS1_3repE0EEENS1_30default_config_static_selectorELNS0_4arch9wavefront6targetE0EEEvSZ_,comdat
.Lfunc_end1925:
	.size	_ZN7rocprim17ROCPRIM_400000_NS6detail17trampoline_kernelINS0_13select_configILj256ELj13ELNS0_17block_load_methodE3ELS4_3ELS4_3ELNS0_20block_scan_algorithmE0ELj4294967295EEENS1_25partition_config_selectorILNS1_17partition_subalgoE3EjNS0_10empty_typeEbEEZZNS1_14partition_implILS8_3ELb0ES6_jNS0_17counting_iteratorIjlEEPS9_SE_NS0_5tupleIJPjSE_EEENSF_IJSE_SE_EEES9_SG_JZNS1_25segmented_radix_sort_implINS0_14default_configELb1EPK12hip_bfloat16PSL_PKlPlN2at6native12_GLOBAL__N_18offset_tEEE10hipError_tPvRmT1_PNSt15iterator_traitsISZ_E10value_typeET2_T3_PNS10_IS15_E10value_typeET4_jRbjT5_S1B_jjP12ihipStream_tbEUljE_EEESW_SX_SY_S15_S19_S1B_T6_T7_T9_mT8_S1D_bDpT10_ENKUlT_T0_E_clISt17integral_constantIbLb1EES1P_IbLb0EEEEDaS1L_S1M_EUlS1L_E_NS1_11comp_targetILNS1_3genE10ELNS1_11target_archE1200ELNS1_3gpuE4ELNS1_3repE0EEENS1_30default_config_static_selectorELNS0_4arch9wavefront6targetE0EEEvSZ_, .Lfunc_end1925-_ZN7rocprim17ROCPRIM_400000_NS6detail17trampoline_kernelINS0_13select_configILj256ELj13ELNS0_17block_load_methodE3ELS4_3ELS4_3ELNS0_20block_scan_algorithmE0ELj4294967295EEENS1_25partition_config_selectorILNS1_17partition_subalgoE3EjNS0_10empty_typeEbEEZZNS1_14partition_implILS8_3ELb0ES6_jNS0_17counting_iteratorIjlEEPS9_SE_NS0_5tupleIJPjSE_EEENSF_IJSE_SE_EEES9_SG_JZNS1_25segmented_radix_sort_implINS0_14default_configELb1EPK12hip_bfloat16PSL_PKlPlN2at6native12_GLOBAL__N_18offset_tEEE10hipError_tPvRmT1_PNSt15iterator_traitsISZ_E10value_typeET2_T3_PNS10_IS15_E10value_typeET4_jRbjT5_S1B_jjP12ihipStream_tbEUljE_EEESW_SX_SY_S15_S19_S1B_T6_T7_T9_mT8_S1D_bDpT10_ENKUlT_T0_E_clISt17integral_constantIbLb1EES1P_IbLb0EEEEDaS1L_S1M_EUlS1L_E_NS1_11comp_targetILNS1_3genE10ELNS1_11target_archE1200ELNS1_3gpuE4ELNS1_3repE0EEENS1_30default_config_static_selectorELNS0_4arch9wavefront6targetE0EEEvSZ_
                                        ; -- End function
	.set _ZN7rocprim17ROCPRIM_400000_NS6detail17trampoline_kernelINS0_13select_configILj256ELj13ELNS0_17block_load_methodE3ELS4_3ELS4_3ELNS0_20block_scan_algorithmE0ELj4294967295EEENS1_25partition_config_selectorILNS1_17partition_subalgoE3EjNS0_10empty_typeEbEEZZNS1_14partition_implILS8_3ELb0ES6_jNS0_17counting_iteratorIjlEEPS9_SE_NS0_5tupleIJPjSE_EEENSF_IJSE_SE_EEES9_SG_JZNS1_25segmented_radix_sort_implINS0_14default_configELb1EPK12hip_bfloat16PSL_PKlPlN2at6native12_GLOBAL__N_18offset_tEEE10hipError_tPvRmT1_PNSt15iterator_traitsISZ_E10value_typeET2_T3_PNS10_IS15_E10value_typeET4_jRbjT5_S1B_jjP12ihipStream_tbEUljE_EEESW_SX_SY_S15_S19_S1B_T6_T7_T9_mT8_S1D_bDpT10_ENKUlT_T0_E_clISt17integral_constantIbLb1EES1P_IbLb0EEEEDaS1L_S1M_EUlS1L_E_NS1_11comp_targetILNS1_3genE10ELNS1_11target_archE1200ELNS1_3gpuE4ELNS1_3repE0EEENS1_30default_config_static_selectorELNS0_4arch9wavefront6targetE0EEEvSZ_.num_vgpr, 0
	.set _ZN7rocprim17ROCPRIM_400000_NS6detail17trampoline_kernelINS0_13select_configILj256ELj13ELNS0_17block_load_methodE3ELS4_3ELS4_3ELNS0_20block_scan_algorithmE0ELj4294967295EEENS1_25partition_config_selectorILNS1_17partition_subalgoE3EjNS0_10empty_typeEbEEZZNS1_14partition_implILS8_3ELb0ES6_jNS0_17counting_iteratorIjlEEPS9_SE_NS0_5tupleIJPjSE_EEENSF_IJSE_SE_EEES9_SG_JZNS1_25segmented_radix_sort_implINS0_14default_configELb1EPK12hip_bfloat16PSL_PKlPlN2at6native12_GLOBAL__N_18offset_tEEE10hipError_tPvRmT1_PNSt15iterator_traitsISZ_E10value_typeET2_T3_PNS10_IS15_E10value_typeET4_jRbjT5_S1B_jjP12ihipStream_tbEUljE_EEESW_SX_SY_S15_S19_S1B_T6_T7_T9_mT8_S1D_bDpT10_ENKUlT_T0_E_clISt17integral_constantIbLb1EES1P_IbLb0EEEEDaS1L_S1M_EUlS1L_E_NS1_11comp_targetILNS1_3genE10ELNS1_11target_archE1200ELNS1_3gpuE4ELNS1_3repE0EEENS1_30default_config_static_selectorELNS0_4arch9wavefront6targetE0EEEvSZ_.num_agpr, 0
	.set _ZN7rocprim17ROCPRIM_400000_NS6detail17trampoline_kernelINS0_13select_configILj256ELj13ELNS0_17block_load_methodE3ELS4_3ELS4_3ELNS0_20block_scan_algorithmE0ELj4294967295EEENS1_25partition_config_selectorILNS1_17partition_subalgoE3EjNS0_10empty_typeEbEEZZNS1_14partition_implILS8_3ELb0ES6_jNS0_17counting_iteratorIjlEEPS9_SE_NS0_5tupleIJPjSE_EEENSF_IJSE_SE_EEES9_SG_JZNS1_25segmented_radix_sort_implINS0_14default_configELb1EPK12hip_bfloat16PSL_PKlPlN2at6native12_GLOBAL__N_18offset_tEEE10hipError_tPvRmT1_PNSt15iterator_traitsISZ_E10value_typeET2_T3_PNS10_IS15_E10value_typeET4_jRbjT5_S1B_jjP12ihipStream_tbEUljE_EEESW_SX_SY_S15_S19_S1B_T6_T7_T9_mT8_S1D_bDpT10_ENKUlT_T0_E_clISt17integral_constantIbLb1EES1P_IbLb0EEEEDaS1L_S1M_EUlS1L_E_NS1_11comp_targetILNS1_3genE10ELNS1_11target_archE1200ELNS1_3gpuE4ELNS1_3repE0EEENS1_30default_config_static_selectorELNS0_4arch9wavefront6targetE0EEEvSZ_.numbered_sgpr, 0
	.set _ZN7rocprim17ROCPRIM_400000_NS6detail17trampoline_kernelINS0_13select_configILj256ELj13ELNS0_17block_load_methodE3ELS4_3ELS4_3ELNS0_20block_scan_algorithmE0ELj4294967295EEENS1_25partition_config_selectorILNS1_17partition_subalgoE3EjNS0_10empty_typeEbEEZZNS1_14partition_implILS8_3ELb0ES6_jNS0_17counting_iteratorIjlEEPS9_SE_NS0_5tupleIJPjSE_EEENSF_IJSE_SE_EEES9_SG_JZNS1_25segmented_radix_sort_implINS0_14default_configELb1EPK12hip_bfloat16PSL_PKlPlN2at6native12_GLOBAL__N_18offset_tEEE10hipError_tPvRmT1_PNSt15iterator_traitsISZ_E10value_typeET2_T3_PNS10_IS15_E10value_typeET4_jRbjT5_S1B_jjP12ihipStream_tbEUljE_EEESW_SX_SY_S15_S19_S1B_T6_T7_T9_mT8_S1D_bDpT10_ENKUlT_T0_E_clISt17integral_constantIbLb1EES1P_IbLb0EEEEDaS1L_S1M_EUlS1L_E_NS1_11comp_targetILNS1_3genE10ELNS1_11target_archE1200ELNS1_3gpuE4ELNS1_3repE0EEENS1_30default_config_static_selectorELNS0_4arch9wavefront6targetE0EEEvSZ_.num_named_barrier, 0
	.set _ZN7rocprim17ROCPRIM_400000_NS6detail17trampoline_kernelINS0_13select_configILj256ELj13ELNS0_17block_load_methodE3ELS4_3ELS4_3ELNS0_20block_scan_algorithmE0ELj4294967295EEENS1_25partition_config_selectorILNS1_17partition_subalgoE3EjNS0_10empty_typeEbEEZZNS1_14partition_implILS8_3ELb0ES6_jNS0_17counting_iteratorIjlEEPS9_SE_NS0_5tupleIJPjSE_EEENSF_IJSE_SE_EEES9_SG_JZNS1_25segmented_radix_sort_implINS0_14default_configELb1EPK12hip_bfloat16PSL_PKlPlN2at6native12_GLOBAL__N_18offset_tEEE10hipError_tPvRmT1_PNSt15iterator_traitsISZ_E10value_typeET2_T3_PNS10_IS15_E10value_typeET4_jRbjT5_S1B_jjP12ihipStream_tbEUljE_EEESW_SX_SY_S15_S19_S1B_T6_T7_T9_mT8_S1D_bDpT10_ENKUlT_T0_E_clISt17integral_constantIbLb1EES1P_IbLb0EEEEDaS1L_S1M_EUlS1L_E_NS1_11comp_targetILNS1_3genE10ELNS1_11target_archE1200ELNS1_3gpuE4ELNS1_3repE0EEENS1_30default_config_static_selectorELNS0_4arch9wavefront6targetE0EEEvSZ_.private_seg_size, 0
	.set _ZN7rocprim17ROCPRIM_400000_NS6detail17trampoline_kernelINS0_13select_configILj256ELj13ELNS0_17block_load_methodE3ELS4_3ELS4_3ELNS0_20block_scan_algorithmE0ELj4294967295EEENS1_25partition_config_selectorILNS1_17partition_subalgoE3EjNS0_10empty_typeEbEEZZNS1_14partition_implILS8_3ELb0ES6_jNS0_17counting_iteratorIjlEEPS9_SE_NS0_5tupleIJPjSE_EEENSF_IJSE_SE_EEES9_SG_JZNS1_25segmented_radix_sort_implINS0_14default_configELb1EPK12hip_bfloat16PSL_PKlPlN2at6native12_GLOBAL__N_18offset_tEEE10hipError_tPvRmT1_PNSt15iterator_traitsISZ_E10value_typeET2_T3_PNS10_IS15_E10value_typeET4_jRbjT5_S1B_jjP12ihipStream_tbEUljE_EEESW_SX_SY_S15_S19_S1B_T6_T7_T9_mT8_S1D_bDpT10_ENKUlT_T0_E_clISt17integral_constantIbLb1EES1P_IbLb0EEEEDaS1L_S1M_EUlS1L_E_NS1_11comp_targetILNS1_3genE10ELNS1_11target_archE1200ELNS1_3gpuE4ELNS1_3repE0EEENS1_30default_config_static_selectorELNS0_4arch9wavefront6targetE0EEEvSZ_.uses_vcc, 0
	.set _ZN7rocprim17ROCPRIM_400000_NS6detail17trampoline_kernelINS0_13select_configILj256ELj13ELNS0_17block_load_methodE3ELS4_3ELS4_3ELNS0_20block_scan_algorithmE0ELj4294967295EEENS1_25partition_config_selectorILNS1_17partition_subalgoE3EjNS0_10empty_typeEbEEZZNS1_14partition_implILS8_3ELb0ES6_jNS0_17counting_iteratorIjlEEPS9_SE_NS0_5tupleIJPjSE_EEENSF_IJSE_SE_EEES9_SG_JZNS1_25segmented_radix_sort_implINS0_14default_configELb1EPK12hip_bfloat16PSL_PKlPlN2at6native12_GLOBAL__N_18offset_tEEE10hipError_tPvRmT1_PNSt15iterator_traitsISZ_E10value_typeET2_T3_PNS10_IS15_E10value_typeET4_jRbjT5_S1B_jjP12ihipStream_tbEUljE_EEESW_SX_SY_S15_S19_S1B_T6_T7_T9_mT8_S1D_bDpT10_ENKUlT_T0_E_clISt17integral_constantIbLb1EES1P_IbLb0EEEEDaS1L_S1M_EUlS1L_E_NS1_11comp_targetILNS1_3genE10ELNS1_11target_archE1200ELNS1_3gpuE4ELNS1_3repE0EEENS1_30default_config_static_selectorELNS0_4arch9wavefront6targetE0EEEvSZ_.uses_flat_scratch, 0
	.set _ZN7rocprim17ROCPRIM_400000_NS6detail17trampoline_kernelINS0_13select_configILj256ELj13ELNS0_17block_load_methodE3ELS4_3ELS4_3ELNS0_20block_scan_algorithmE0ELj4294967295EEENS1_25partition_config_selectorILNS1_17partition_subalgoE3EjNS0_10empty_typeEbEEZZNS1_14partition_implILS8_3ELb0ES6_jNS0_17counting_iteratorIjlEEPS9_SE_NS0_5tupleIJPjSE_EEENSF_IJSE_SE_EEES9_SG_JZNS1_25segmented_radix_sort_implINS0_14default_configELb1EPK12hip_bfloat16PSL_PKlPlN2at6native12_GLOBAL__N_18offset_tEEE10hipError_tPvRmT1_PNSt15iterator_traitsISZ_E10value_typeET2_T3_PNS10_IS15_E10value_typeET4_jRbjT5_S1B_jjP12ihipStream_tbEUljE_EEESW_SX_SY_S15_S19_S1B_T6_T7_T9_mT8_S1D_bDpT10_ENKUlT_T0_E_clISt17integral_constantIbLb1EES1P_IbLb0EEEEDaS1L_S1M_EUlS1L_E_NS1_11comp_targetILNS1_3genE10ELNS1_11target_archE1200ELNS1_3gpuE4ELNS1_3repE0EEENS1_30default_config_static_selectorELNS0_4arch9wavefront6targetE0EEEvSZ_.has_dyn_sized_stack, 0
	.set _ZN7rocprim17ROCPRIM_400000_NS6detail17trampoline_kernelINS0_13select_configILj256ELj13ELNS0_17block_load_methodE3ELS4_3ELS4_3ELNS0_20block_scan_algorithmE0ELj4294967295EEENS1_25partition_config_selectorILNS1_17partition_subalgoE3EjNS0_10empty_typeEbEEZZNS1_14partition_implILS8_3ELb0ES6_jNS0_17counting_iteratorIjlEEPS9_SE_NS0_5tupleIJPjSE_EEENSF_IJSE_SE_EEES9_SG_JZNS1_25segmented_radix_sort_implINS0_14default_configELb1EPK12hip_bfloat16PSL_PKlPlN2at6native12_GLOBAL__N_18offset_tEEE10hipError_tPvRmT1_PNSt15iterator_traitsISZ_E10value_typeET2_T3_PNS10_IS15_E10value_typeET4_jRbjT5_S1B_jjP12ihipStream_tbEUljE_EEESW_SX_SY_S15_S19_S1B_T6_T7_T9_mT8_S1D_bDpT10_ENKUlT_T0_E_clISt17integral_constantIbLb1EES1P_IbLb0EEEEDaS1L_S1M_EUlS1L_E_NS1_11comp_targetILNS1_3genE10ELNS1_11target_archE1200ELNS1_3gpuE4ELNS1_3repE0EEENS1_30default_config_static_selectorELNS0_4arch9wavefront6targetE0EEEvSZ_.has_recursion, 0
	.set _ZN7rocprim17ROCPRIM_400000_NS6detail17trampoline_kernelINS0_13select_configILj256ELj13ELNS0_17block_load_methodE3ELS4_3ELS4_3ELNS0_20block_scan_algorithmE0ELj4294967295EEENS1_25partition_config_selectorILNS1_17partition_subalgoE3EjNS0_10empty_typeEbEEZZNS1_14partition_implILS8_3ELb0ES6_jNS0_17counting_iteratorIjlEEPS9_SE_NS0_5tupleIJPjSE_EEENSF_IJSE_SE_EEES9_SG_JZNS1_25segmented_radix_sort_implINS0_14default_configELb1EPK12hip_bfloat16PSL_PKlPlN2at6native12_GLOBAL__N_18offset_tEEE10hipError_tPvRmT1_PNSt15iterator_traitsISZ_E10value_typeET2_T3_PNS10_IS15_E10value_typeET4_jRbjT5_S1B_jjP12ihipStream_tbEUljE_EEESW_SX_SY_S15_S19_S1B_T6_T7_T9_mT8_S1D_bDpT10_ENKUlT_T0_E_clISt17integral_constantIbLb1EES1P_IbLb0EEEEDaS1L_S1M_EUlS1L_E_NS1_11comp_targetILNS1_3genE10ELNS1_11target_archE1200ELNS1_3gpuE4ELNS1_3repE0EEENS1_30default_config_static_selectorELNS0_4arch9wavefront6targetE0EEEvSZ_.has_indirect_call, 0
	.section	.AMDGPU.csdata,"",@progbits
; Kernel info:
; codeLenInByte = 0
; TotalNumSgprs: 0
; NumVgprs: 0
; ScratchSize: 0
; MemoryBound: 0
; FloatMode: 240
; IeeeMode: 1
; LDSByteSize: 0 bytes/workgroup (compile time only)
; SGPRBlocks: 0
; VGPRBlocks: 0
; NumSGPRsForWavesPerEU: 1
; NumVGPRsForWavesPerEU: 1
; Occupancy: 16
; WaveLimiterHint : 0
; COMPUTE_PGM_RSRC2:SCRATCH_EN: 0
; COMPUTE_PGM_RSRC2:USER_SGPR: 6
; COMPUTE_PGM_RSRC2:TRAP_HANDLER: 0
; COMPUTE_PGM_RSRC2:TGID_X_EN: 1
; COMPUTE_PGM_RSRC2:TGID_Y_EN: 0
; COMPUTE_PGM_RSRC2:TGID_Z_EN: 0
; COMPUTE_PGM_RSRC2:TIDIG_COMP_CNT: 0
	.section	.text._ZN7rocprim17ROCPRIM_400000_NS6detail17trampoline_kernelINS0_13select_configILj256ELj13ELNS0_17block_load_methodE3ELS4_3ELS4_3ELNS0_20block_scan_algorithmE0ELj4294967295EEENS1_25partition_config_selectorILNS1_17partition_subalgoE3EjNS0_10empty_typeEbEEZZNS1_14partition_implILS8_3ELb0ES6_jNS0_17counting_iteratorIjlEEPS9_SE_NS0_5tupleIJPjSE_EEENSF_IJSE_SE_EEES9_SG_JZNS1_25segmented_radix_sort_implINS0_14default_configELb1EPK12hip_bfloat16PSL_PKlPlN2at6native12_GLOBAL__N_18offset_tEEE10hipError_tPvRmT1_PNSt15iterator_traitsISZ_E10value_typeET2_T3_PNS10_IS15_E10value_typeET4_jRbjT5_S1B_jjP12ihipStream_tbEUljE_EEESW_SX_SY_S15_S19_S1B_T6_T7_T9_mT8_S1D_bDpT10_ENKUlT_T0_E_clISt17integral_constantIbLb1EES1P_IbLb0EEEEDaS1L_S1M_EUlS1L_E_NS1_11comp_targetILNS1_3genE9ELNS1_11target_archE1100ELNS1_3gpuE3ELNS1_3repE0EEENS1_30default_config_static_selectorELNS0_4arch9wavefront6targetE0EEEvSZ_,"axG",@progbits,_ZN7rocprim17ROCPRIM_400000_NS6detail17trampoline_kernelINS0_13select_configILj256ELj13ELNS0_17block_load_methodE3ELS4_3ELS4_3ELNS0_20block_scan_algorithmE0ELj4294967295EEENS1_25partition_config_selectorILNS1_17partition_subalgoE3EjNS0_10empty_typeEbEEZZNS1_14partition_implILS8_3ELb0ES6_jNS0_17counting_iteratorIjlEEPS9_SE_NS0_5tupleIJPjSE_EEENSF_IJSE_SE_EEES9_SG_JZNS1_25segmented_radix_sort_implINS0_14default_configELb1EPK12hip_bfloat16PSL_PKlPlN2at6native12_GLOBAL__N_18offset_tEEE10hipError_tPvRmT1_PNSt15iterator_traitsISZ_E10value_typeET2_T3_PNS10_IS15_E10value_typeET4_jRbjT5_S1B_jjP12ihipStream_tbEUljE_EEESW_SX_SY_S15_S19_S1B_T6_T7_T9_mT8_S1D_bDpT10_ENKUlT_T0_E_clISt17integral_constantIbLb1EES1P_IbLb0EEEEDaS1L_S1M_EUlS1L_E_NS1_11comp_targetILNS1_3genE9ELNS1_11target_archE1100ELNS1_3gpuE3ELNS1_3repE0EEENS1_30default_config_static_selectorELNS0_4arch9wavefront6targetE0EEEvSZ_,comdat
	.globl	_ZN7rocprim17ROCPRIM_400000_NS6detail17trampoline_kernelINS0_13select_configILj256ELj13ELNS0_17block_load_methodE3ELS4_3ELS4_3ELNS0_20block_scan_algorithmE0ELj4294967295EEENS1_25partition_config_selectorILNS1_17partition_subalgoE3EjNS0_10empty_typeEbEEZZNS1_14partition_implILS8_3ELb0ES6_jNS0_17counting_iteratorIjlEEPS9_SE_NS0_5tupleIJPjSE_EEENSF_IJSE_SE_EEES9_SG_JZNS1_25segmented_radix_sort_implINS0_14default_configELb1EPK12hip_bfloat16PSL_PKlPlN2at6native12_GLOBAL__N_18offset_tEEE10hipError_tPvRmT1_PNSt15iterator_traitsISZ_E10value_typeET2_T3_PNS10_IS15_E10value_typeET4_jRbjT5_S1B_jjP12ihipStream_tbEUljE_EEESW_SX_SY_S15_S19_S1B_T6_T7_T9_mT8_S1D_bDpT10_ENKUlT_T0_E_clISt17integral_constantIbLb1EES1P_IbLb0EEEEDaS1L_S1M_EUlS1L_E_NS1_11comp_targetILNS1_3genE9ELNS1_11target_archE1100ELNS1_3gpuE3ELNS1_3repE0EEENS1_30default_config_static_selectorELNS0_4arch9wavefront6targetE0EEEvSZ_ ; -- Begin function _ZN7rocprim17ROCPRIM_400000_NS6detail17trampoline_kernelINS0_13select_configILj256ELj13ELNS0_17block_load_methodE3ELS4_3ELS4_3ELNS0_20block_scan_algorithmE0ELj4294967295EEENS1_25partition_config_selectorILNS1_17partition_subalgoE3EjNS0_10empty_typeEbEEZZNS1_14partition_implILS8_3ELb0ES6_jNS0_17counting_iteratorIjlEEPS9_SE_NS0_5tupleIJPjSE_EEENSF_IJSE_SE_EEES9_SG_JZNS1_25segmented_radix_sort_implINS0_14default_configELb1EPK12hip_bfloat16PSL_PKlPlN2at6native12_GLOBAL__N_18offset_tEEE10hipError_tPvRmT1_PNSt15iterator_traitsISZ_E10value_typeET2_T3_PNS10_IS15_E10value_typeET4_jRbjT5_S1B_jjP12ihipStream_tbEUljE_EEESW_SX_SY_S15_S19_S1B_T6_T7_T9_mT8_S1D_bDpT10_ENKUlT_T0_E_clISt17integral_constantIbLb1EES1P_IbLb0EEEEDaS1L_S1M_EUlS1L_E_NS1_11comp_targetILNS1_3genE9ELNS1_11target_archE1100ELNS1_3gpuE3ELNS1_3repE0EEENS1_30default_config_static_selectorELNS0_4arch9wavefront6targetE0EEEvSZ_
	.p2align	8
	.type	_ZN7rocprim17ROCPRIM_400000_NS6detail17trampoline_kernelINS0_13select_configILj256ELj13ELNS0_17block_load_methodE3ELS4_3ELS4_3ELNS0_20block_scan_algorithmE0ELj4294967295EEENS1_25partition_config_selectorILNS1_17partition_subalgoE3EjNS0_10empty_typeEbEEZZNS1_14partition_implILS8_3ELb0ES6_jNS0_17counting_iteratorIjlEEPS9_SE_NS0_5tupleIJPjSE_EEENSF_IJSE_SE_EEES9_SG_JZNS1_25segmented_radix_sort_implINS0_14default_configELb1EPK12hip_bfloat16PSL_PKlPlN2at6native12_GLOBAL__N_18offset_tEEE10hipError_tPvRmT1_PNSt15iterator_traitsISZ_E10value_typeET2_T3_PNS10_IS15_E10value_typeET4_jRbjT5_S1B_jjP12ihipStream_tbEUljE_EEESW_SX_SY_S15_S19_S1B_T6_T7_T9_mT8_S1D_bDpT10_ENKUlT_T0_E_clISt17integral_constantIbLb1EES1P_IbLb0EEEEDaS1L_S1M_EUlS1L_E_NS1_11comp_targetILNS1_3genE9ELNS1_11target_archE1100ELNS1_3gpuE3ELNS1_3repE0EEENS1_30default_config_static_selectorELNS0_4arch9wavefront6targetE0EEEvSZ_,@function
_ZN7rocprim17ROCPRIM_400000_NS6detail17trampoline_kernelINS0_13select_configILj256ELj13ELNS0_17block_load_methodE3ELS4_3ELS4_3ELNS0_20block_scan_algorithmE0ELj4294967295EEENS1_25partition_config_selectorILNS1_17partition_subalgoE3EjNS0_10empty_typeEbEEZZNS1_14partition_implILS8_3ELb0ES6_jNS0_17counting_iteratorIjlEEPS9_SE_NS0_5tupleIJPjSE_EEENSF_IJSE_SE_EEES9_SG_JZNS1_25segmented_radix_sort_implINS0_14default_configELb1EPK12hip_bfloat16PSL_PKlPlN2at6native12_GLOBAL__N_18offset_tEEE10hipError_tPvRmT1_PNSt15iterator_traitsISZ_E10value_typeET2_T3_PNS10_IS15_E10value_typeET4_jRbjT5_S1B_jjP12ihipStream_tbEUljE_EEESW_SX_SY_S15_S19_S1B_T6_T7_T9_mT8_S1D_bDpT10_ENKUlT_T0_E_clISt17integral_constantIbLb1EES1P_IbLb0EEEEDaS1L_S1M_EUlS1L_E_NS1_11comp_targetILNS1_3genE9ELNS1_11target_archE1100ELNS1_3gpuE3ELNS1_3repE0EEENS1_30default_config_static_selectorELNS0_4arch9wavefront6targetE0EEEvSZ_: ; @_ZN7rocprim17ROCPRIM_400000_NS6detail17trampoline_kernelINS0_13select_configILj256ELj13ELNS0_17block_load_methodE3ELS4_3ELS4_3ELNS0_20block_scan_algorithmE0ELj4294967295EEENS1_25partition_config_selectorILNS1_17partition_subalgoE3EjNS0_10empty_typeEbEEZZNS1_14partition_implILS8_3ELb0ES6_jNS0_17counting_iteratorIjlEEPS9_SE_NS0_5tupleIJPjSE_EEENSF_IJSE_SE_EEES9_SG_JZNS1_25segmented_radix_sort_implINS0_14default_configELb1EPK12hip_bfloat16PSL_PKlPlN2at6native12_GLOBAL__N_18offset_tEEE10hipError_tPvRmT1_PNSt15iterator_traitsISZ_E10value_typeET2_T3_PNS10_IS15_E10value_typeET4_jRbjT5_S1B_jjP12ihipStream_tbEUljE_EEESW_SX_SY_S15_S19_S1B_T6_T7_T9_mT8_S1D_bDpT10_ENKUlT_T0_E_clISt17integral_constantIbLb1EES1P_IbLb0EEEEDaS1L_S1M_EUlS1L_E_NS1_11comp_targetILNS1_3genE9ELNS1_11target_archE1100ELNS1_3gpuE3ELNS1_3repE0EEENS1_30default_config_static_selectorELNS0_4arch9wavefront6targetE0EEEvSZ_
; %bb.0:
	.section	.rodata,"a",@progbits
	.p2align	6, 0x0
	.amdhsa_kernel _ZN7rocprim17ROCPRIM_400000_NS6detail17trampoline_kernelINS0_13select_configILj256ELj13ELNS0_17block_load_methodE3ELS4_3ELS4_3ELNS0_20block_scan_algorithmE0ELj4294967295EEENS1_25partition_config_selectorILNS1_17partition_subalgoE3EjNS0_10empty_typeEbEEZZNS1_14partition_implILS8_3ELb0ES6_jNS0_17counting_iteratorIjlEEPS9_SE_NS0_5tupleIJPjSE_EEENSF_IJSE_SE_EEES9_SG_JZNS1_25segmented_radix_sort_implINS0_14default_configELb1EPK12hip_bfloat16PSL_PKlPlN2at6native12_GLOBAL__N_18offset_tEEE10hipError_tPvRmT1_PNSt15iterator_traitsISZ_E10value_typeET2_T3_PNS10_IS15_E10value_typeET4_jRbjT5_S1B_jjP12ihipStream_tbEUljE_EEESW_SX_SY_S15_S19_S1B_T6_T7_T9_mT8_S1D_bDpT10_ENKUlT_T0_E_clISt17integral_constantIbLb1EES1P_IbLb0EEEEDaS1L_S1M_EUlS1L_E_NS1_11comp_targetILNS1_3genE9ELNS1_11target_archE1100ELNS1_3gpuE3ELNS1_3repE0EEENS1_30default_config_static_selectorELNS0_4arch9wavefront6targetE0EEEvSZ_
		.amdhsa_group_segment_fixed_size 0
		.amdhsa_private_segment_fixed_size 0
		.amdhsa_kernarg_size 144
		.amdhsa_user_sgpr_count 6
		.amdhsa_user_sgpr_private_segment_buffer 1
		.amdhsa_user_sgpr_dispatch_ptr 0
		.amdhsa_user_sgpr_queue_ptr 0
		.amdhsa_user_sgpr_kernarg_segment_ptr 1
		.amdhsa_user_sgpr_dispatch_id 0
		.amdhsa_user_sgpr_flat_scratch_init 0
		.amdhsa_user_sgpr_private_segment_size 0
		.amdhsa_wavefront_size32 1
		.amdhsa_uses_dynamic_stack 0
		.amdhsa_system_sgpr_private_segment_wavefront_offset 0
		.amdhsa_system_sgpr_workgroup_id_x 1
		.amdhsa_system_sgpr_workgroup_id_y 0
		.amdhsa_system_sgpr_workgroup_id_z 0
		.amdhsa_system_sgpr_workgroup_info 0
		.amdhsa_system_vgpr_workitem_id 0
		.amdhsa_next_free_vgpr 1
		.amdhsa_next_free_sgpr 1
		.amdhsa_reserve_vcc 0
		.amdhsa_reserve_flat_scratch 0
		.amdhsa_float_round_mode_32 0
		.amdhsa_float_round_mode_16_64 0
		.amdhsa_float_denorm_mode_32 3
		.amdhsa_float_denorm_mode_16_64 3
		.amdhsa_dx10_clamp 1
		.amdhsa_ieee_mode 1
		.amdhsa_fp16_overflow 0
		.amdhsa_workgroup_processor_mode 1
		.amdhsa_memory_ordered 1
		.amdhsa_forward_progress 1
		.amdhsa_shared_vgpr_count 0
		.amdhsa_exception_fp_ieee_invalid_op 0
		.amdhsa_exception_fp_denorm_src 0
		.amdhsa_exception_fp_ieee_div_zero 0
		.amdhsa_exception_fp_ieee_overflow 0
		.amdhsa_exception_fp_ieee_underflow 0
		.amdhsa_exception_fp_ieee_inexact 0
		.amdhsa_exception_int_div_zero 0
	.end_amdhsa_kernel
	.section	.text._ZN7rocprim17ROCPRIM_400000_NS6detail17trampoline_kernelINS0_13select_configILj256ELj13ELNS0_17block_load_methodE3ELS4_3ELS4_3ELNS0_20block_scan_algorithmE0ELj4294967295EEENS1_25partition_config_selectorILNS1_17partition_subalgoE3EjNS0_10empty_typeEbEEZZNS1_14partition_implILS8_3ELb0ES6_jNS0_17counting_iteratorIjlEEPS9_SE_NS0_5tupleIJPjSE_EEENSF_IJSE_SE_EEES9_SG_JZNS1_25segmented_radix_sort_implINS0_14default_configELb1EPK12hip_bfloat16PSL_PKlPlN2at6native12_GLOBAL__N_18offset_tEEE10hipError_tPvRmT1_PNSt15iterator_traitsISZ_E10value_typeET2_T3_PNS10_IS15_E10value_typeET4_jRbjT5_S1B_jjP12ihipStream_tbEUljE_EEESW_SX_SY_S15_S19_S1B_T6_T7_T9_mT8_S1D_bDpT10_ENKUlT_T0_E_clISt17integral_constantIbLb1EES1P_IbLb0EEEEDaS1L_S1M_EUlS1L_E_NS1_11comp_targetILNS1_3genE9ELNS1_11target_archE1100ELNS1_3gpuE3ELNS1_3repE0EEENS1_30default_config_static_selectorELNS0_4arch9wavefront6targetE0EEEvSZ_,"axG",@progbits,_ZN7rocprim17ROCPRIM_400000_NS6detail17trampoline_kernelINS0_13select_configILj256ELj13ELNS0_17block_load_methodE3ELS4_3ELS4_3ELNS0_20block_scan_algorithmE0ELj4294967295EEENS1_25partition_config_selectorILNS1_17partition_subalgoE3EjNS0_10empty_typeEbEEZZNS1_14partition_implILS8_3ELb0ES6_jNS0_17counting_iteratorIjlEEPS9_SE_NS0_5tupleIJPjSE_EEENSF_IJSE_SE_EEES9_SG_JZNS1_25segmented_radix_sort_implINS0_14default_configELb1EPK12hip_bfloat16PSL_PKlPlN2at6native12_GLOBAL__N_18offset_tEEE10hipError_tPvRmT1_PNSt15iterator_traitsISZ_E10value_typeET2_T3_PNS10_IS15_E10value_typeET4_jRbjT5_S1B_jjP12ihipStream_tbEUljE_EEESW_SX_SY_S15_S19_S1B_T6_T7_T9_mT8_S1D_bDpT10_ENKUlT_T0_E_clISt17integral_constantIbLb1EES1P_IbLb0EEEEDaS1L_S1M_EUlS1L_E_NS1_11comp_targetILNS1_3genE9ELNS1_11target_archE1100ELNS1_3gpuE3ELNS1_3repE0EEENS1_30default_config_static_selectorELNS0_4arch9wavefront6targetE0EEEvSZ_,comdat
.Lfunc_end1926:
	.size	_ZN7rocprim17ROCPRIM_400000_NS6detail17trampoline_kernelINS0_13select_configILj256ELj13ELNS0_17block_load_methodE3ELS4_3ELS4_3ELNS0_20block_scan_algorithmE0ELj4294967295EEENS1_25partition_config_selectorILNS1_17partition_subalgoE3EjNS0_10empty_typeEbEEZZNS1_14partition_implILS8_3ELb0ES6_jNS0_17counting_iteratorIjlEEPS9_SE_NS0_5tupleIJPjSE_EEENSF_IJSE_SE_EEES9_SG_JZNS1_25segmented_radix_sort_implINS0_14default_configELb1EPK12hip_bfloat16PSL_PKlPlN2at6native12_GLOBAL__N_18offset_tEEE10hipError_tPvRmT1_PNSt15iterator_traitsISZ_E10value_typeET2_T3_PNS10_IS15_E10value_typeET4_jRbjT5_S1B_jjP12ihipStream_tbEUljE_EEESW_SX_SY_S15_S19_S1B_T6_T7_T9_mT8_S1D_bDpT10_ENKUlT_T0_E_clISt17integral_constantIbLb1EES1P_IbLb0EEEEDaS1L_S1M_EUlS1L_E_NS1_11comp_targetILNS1_3genE9ELNS1_11target_archE1100ELNS1_3gpuE3ELNS1_3repE0EEENS1_30default_config_static_selectorELNS0_4arch9wavefront6targetE0EEEvSZ_, .Lfunc_end1926-_ZN7rocprim17ROCPRIM_400000_NS6detail17trampoline_kernelINS0_13select_configILj256ELj13ELNS0_17block_load_methodE3ELS4_3ELS4_3ELNS0_20block_scan_algorithmE0ELj4294967295EEENS1_25partition_config_selectorILNS1_17partition_subalgoE3EjNS0_10empty_typeEbEEZZNS1_14partition_implILS8_3ELb0ES6_jNS0_17counting_iteratorIjlEEPS9_SE_NS0_5tupleIJPjSE_EEENSF_IJSE_SE_EEES9_SG_JZNS1_25segmented_radix_sort_implINS0_14default_configELb1EPK12hip_bfloat16PSL_PKlPlN2at6native12_GLOBAL__N_18offset_tEEE10hipError_tPvRmT1_PNSt15iterator_traitsISZ_E10value_typeET2_T3_PNS10_IS15_E10value_typeET4_jRbjT5_S1B_jjP12ihipStream_tbEUljE_EEESW_SX_SY_S15_S19_S1B_T6_T7_T9_mT8_S1D_bDpT10_ENKUlT_T0_E_clISt17integral_constantIbLb1EES1P_IbLb0EEEEDaS1L_S1M_EUlS1L_E_NS1_11comp_targetILNS1_3genE9ELNS1_11target_archE1100ELNS1_3gpuE3ELNS1_3repE0EEENS1_30default_config_static_selectorELNS0_4arch9wavefront6targetE0EEEvSZ_
                                        ; -- End function
	.set _ZN7rocprim17ROCPRIM_400000_NS6detail17trampoline_kernelINS0_13select_configILj256ELj13ELNS0_17block_load_methodE3ELS4_3ELS4_3ELNS0_20block_scan_algorithmE0ELj4294967295EEENS1_25partition_config_selectorILNS1_17partition_subalgoE3EjNS0_10empty_typeEbEEZZNS1_14partition_implILS8_3ELb0ES6_jNS0_17counting_iteratorIjlEEPS9_SE_NS0_5tupleIJPjSE_EEENSF_IJSE_SE_EEES9_SG_JZNS1_25segmented_radix_sort_implINS0_14default_configELb1EPK12hip_bfloat16PSL_PKlPlN2at6native12_GLOBAL__N_18offset_tEEE10hipError_tPvRmT1_PNSt15iterator_traitsISZ_E10value_typeET2_T3_PNS10_IS15_E10value_typeET4_jRbjT5_S1B_jjP12ihipStream_tbEUljE_EEESW_SX_SY_S15_S19_S1B_T6_T7_T9_mT8_S1D_bDpT10_ENKUlT_T0_E_clISt17integral_constantIbLb1EES1P_IbLb0EEEEDaS1L_S1M_EUlS1L_E_NS1_11comp_targetILNS1_3genE9ELNS1_11target_archE1100ELNS1_3gpuE3ELNS1_3repE0EEENS1_30default_config_static_selectorELNS0_4arch9wavefront6targetE0EEEvSZ_.num_vgpr, 0
	.set _ZN7rocprim17ROCPRIM_400000_NS6detail17trampoline_kernelINS0_13select_configILj256ELj13ELNS0_17block_load_methodE3ELS4_3ELS4_3ELNS0_20block_scan_algorithmE0ELj4294967295EEENS1_25partition_config_selectorILNS1_17partition_subalgoE3EjNS0_10empty_typeEbEEZZNS1_14partition_implILS8_3ELb0ES6_jNS0_17counting_iteratorIjlEEPS9_SE_NS0_5tupleIJPjSE_EEENSF_IJSE_SE_EEES9_SG_JZNS1_25segmented_radix_sort_implINS0_14default_configELb1EPK12hip_bfloat16PSL_PKlPlN2at6native12_GLOBAL__N_18offset_tEEE10hipError_tPvRmT1_PNSt15iterator_traitsISZ_E10value_typeET2_T3_PNS10_IS15_E10value_typeET4_jRbjT5_S1B_jjP12ihipStream_tbEUljE_EEESW_SX_SY_S15_S19_S1B_T6_T7_T9_mT8_S1D_bDpT10_ENKUlT_T0_E_clISt17integral_constantIbLb1EES1P_IbLb0EEEEDaS1L_S1M_EUlS1L_E_NS1_11comp_targetILNS1_3genE9ELNS1_11target_archE1100ELNS1_3gpuE3ELNS1_3repE0EEENS1_30default_config_static_selectorELNS0_4arch9wavefront6targetE0EEEvSZ_.num_agpr, 0
	.set _ZN7rocprim17ROCPRIM_400000_NS6detail17trampoline_kernelINS0_13select_configILj256ELj13ELNS0_17block_load_methodE3ELS4_3ELS4_3ELNS0_20block_scan_algorithmE0ELj4294967295EEENS1_25partition_config_selectorILNS1_17partition_subalgoE3EjNS0_10empty_typeEbEEZZNS1_14partition_implILS8_3ELb0ES6_jNS0_17counting_iteratorIjlEEPS9_SE_NS0_5tupleIJPjSE_EEENSF_IJSE_SE_EEES9_SG_JZNS1_25segmented_radix_sort_implINS0_14default_configELb1EPK12hip_bfloat16PSL_PKlPlN2at6native12_GLOBAL__N_18offset_tEEE10hipError_tPvRmT1_PNSt15iterator_traitsISZ_E10value_typeET2_T3_PNS10_IS15_E10value_typeET4_jRbjT5_S1B_jjP12ihipStream_tbEUljE_EEESW_SX_SY_S15_S19_S1B_T6_T7_T9_mT8_S1D_bDpT10_ENKUlT_T0_E_clISt17integral_constantIbLb1EES1P_IbLb0EEEEDaS1L_S1M_EUlS1L_E_NS1_11comp_targetILNS1_3genE9ELNS1_11target_archE1100ELNS1_3gpuE3ELNS1_3repE0EEENS1_30default_config_static_selectorELNS0_4arch9wavefront6targetE0EEEvSZ_.numbered_sgpr, 0
	.set _ZN7rocprim17ROCPRIM_400000_NS6detail17trampoline_kernelINS0_13select_configILj256ELj13ELNS0_17block_load_methodE3ELS4_3ELS4_3ELNS0_20block_scan_algorithmE0ELj4294967295EEENS1_25partition_config_selectorILNS1_17partition_subalgoE3EjNS0_10empty_typeEbEEZZNS1_14partition_implILS8_3ELb0ES6_jNS0_17counting_iteratorIjlEEPS9_SE_NS0_5tupleIJPjSE_EEENSF_IJSE_SE_EEES9_SG_JZNS1_25segmented_radix_sort_implINS0_14default_configELb1EPK12hip_bfloat16PSL_PKlPlN2at6native12_GLOBAL__N_18offset_tEEE10hipError_tPvRmT1_PNSt15iterator_traitsISZ_E10value_typeET2_T3_PNS10_IS15_E10value_typeET4_jRbjT5_S1B_jjP12ihipStream_tbEUljE_EEESW_SX_SY_S15_S19_S1B_T6_T7_T9_mT8_S1D_bDpT10_ENKUlT_T0_E_clISt17integral_constantIbLb1EES1P_IbLb0EEEEDaS1L_S1M_EUlS1L_E_NS1_11comp_targetILNS1_3genE9ELNS1_11target_archE1100ELNS1_3gpuE3ELNS1_3repE0EEENS1_30default_config_static_selectorELNS0_4arch9wavefront6targetE0EEEvSZ_.num_named_barrier, 0
	.set _ZN7rocprim17ROCPRIM_400000_NS6detail17trampoline_kernelINS0_13select_configILj256ELj13ELNS0_17block_load_methodE3ELS4_3ELS4_3ELNS0_20block_scan_algorithmE0ELj4294967295EEENS1_25partition_config_selectorILNS1_17partition_subalgoE3EjNS0_10empty_typeEbEEZZNS1_14partition_implILS8_3ELb0ES6_jNS0_17counting_iteratorIjlEEPS9_SE_NS0_5tupleIJPjSE_EEENSF_IJSE_SE_EEES9_SG_JZNS1_25segmented_radix_sort_implINS0_14default_configELb1EPK12hip_bfloat16PSL_PKlPlN2at6native12_GLOBAL__N_18offset_tEEE10hipError_tPvRmT1_PNSt15iterator_traitsISZ_E10value_typeET2_T3_PNS10_IS15_E10value_typeET4_jRbjT5_S1B_jjP12ihipStream_tbEUljE_EEESW_SX_SY_S15_S19_S1B_T6_T7_T9_mT8_S1D_bDpT10_ENKUlT_T0_E_clISt17integral_constantIbLb1EES1P_IbLb0EEEEDaS1L_S1M_EUlS1L_E_NS1_11comp_targetILNS1_3genE9ELNS1_11target_archE1100ELNS1_3gpuE3ELNS1_3repE0EEENS1_30default_config_static_selectorELNS0_4arch9wavefront6targetE0EEEvSZ_.private_seg_size, 0
	.set _ZN7rocprim17ROCPRIM_400000_NS6detail17trampoline_kernelINS0_13select_configILj256ELj13ELNS0_17block_load_methodE3ELS4_3ELS4_3ELNS0_20block_scan_algorithmE0ELj4294967295EEENS1_25partition_config_selectorILNS1_17partition_subalgoE3EjNS0_10empty_typeEbEEZZNS1_14partition_implILS8_3ELb0ES6_jNS0_17counting_iteratorIjlEEPS9_SE_NS0_5tupleIJPjSE_EEENSF_IJSE_SE_EEES9_SG_JZNS1_25segmented_radix_sort_implINS0_14default_configELb1EPK12hip_bfloat16PSL_PKlPlN2at6native12_GLOBAL__N_18offset_tEEE10hipError_tPvRmT1_PNSt15iterator_traitsISZ_E10value_typeET2_T3_PNS10_IS15_E10value_typeET4_jRbjT5_S1B_jjP12ihipStream_tbEUljE_EEESW_SX_SY_S15_S19_S1B_T6_T7_T9_mT8_S1D_bDpT10_ENKUlT_T0_E_clISt17integral_constantIbLb1EES1P_IbLb0EEEEDaS1L_S1M_EUlS1L_E_NS1_11comp_targetILNS1_3genE9ELNS1_11target_archE1100ELNS1_3gpuE3ELNS1_3repE0EEENS1_30default_config_static_selectorELNS0_4arch9wavefront6targetE0EEEvSZ_.uses_vcc, 0
	.set _ZN7rocprim17ROCPRIM_400000_NS6detail17trampoline_kernelINS0_13select_configILj256ELj13ELNS0_17block_load_methodE3ELS4_3ELS4_3ELNS0_20block_scan_algorithmE0ELj4294967295EEENS1_25partition_config_selectorILNS1_17partition_subalgoE3EjNS0_10empty_typeEbEEZZNS1_14partition_implILS8_3ELb0ES6_jNS0_17counting_iteratorIjlEEPS9_SE_NS0_5tupleIJPjSE_EEENSF_IJSE_SE_EEES9_SG_JZNS1_25segmented_radix_sort_implINS0_14default_configELb1EPK12hip_bfloat16PSL_PKlPlN2at6native12_GLOBAL__N_18offset_tEEE10hipError_tPvRmT1_PNSt15iterator_traitsISZ_E10value_typeET2_T3_PNS10_IS15_E10value_typeET4_jRbjT5_S1B_jjP12ihipStream_tbEUljE_EEESW_SX_SY_S15_S19_S1B_T6_T7_T9_mT8_S1D_bDpT10_ENKUlT_T0_E_clISt17integral_constantIbLb1EES1P_IbLb0EEEEDaS1L_S1M_EUlS1L_E_NS1_11comp_targetILNS1_3genE9ELNS1_11target_archE1100ELNS1_3gpuE3ELNS1_3repE0EEENS1_30default_config_static_selectorELNS0_4arch9wavefront6targetE0EEEvSZ_.uses_flat_scratch, 0
	.set _ZN7rocprim17ROCPRIM_400000_NS6detail17trampoline_kernelINS0_13select_configILj256ELj13ELNS0_17block_load_methodE3ELS4_3ELS4_3ELNS0_20block_scan_algorithmE0ELj4294967295EEENS1_25partition_config_selectorILNS1_17partition_subalgoE3EjNS0_10empty_typeEbEEZZNS1_14partition_implILS8_3ELb0ES6_jNS0_17counting_iteratorIjlEEPS9_SE_NS0_5tupleIJPjSE_EEENSF_IJSE_SE_EEES9_SG_JZNS1_25segmented_radix_sort_implINS0_14default_configELb1EPK12hip_bfloat16PSL_PKlPlN2at6native12_GLOBAL__N_18offset_tEEE10hipError_tPvRmT1_PNSt15iterator_traitsISZ_E10value_typeET2_T3_PNS10_IS15_E10value_typeET4_jRbjT5_S1B_jjP12ihipStream_tbEUljE_EEESW_SX_SY_S15_S19_S1B_T6_T7_T9_mT8_S1D_bDpT10_ENKUlT_T0_E_clISt17integral_constantIbLb1EES1P_IbLb0EEEEDaS1L_S1M_EUlS1L_E_NS1_11comp_targetILNS1_3genE9ELNS1_11target_archE1100ELNS1_3gpuE3ELNS1_3repE0EEENS1_30default_config_static_selectorELNS0_4arch9wavefront6targetE0EEEvSZ_.has_dyn_sized_stack, 0
	.set _ZN7rocprim17ROCPRIM_400000_NS6detail17trampoline_kernelINS0_13select_configILj256ELj13ELNS0_17block_load_methodE3ELS4_3ELS4_3ELNS0_20block_scan_algorithmE0ELj4294967295EEENS1_25partition_config_selectorILNS1_17partition_subalgoE3EjNS0_10empty_typeEbEEZZNS1_14partition_implILS8_3ELb0ES6_jNS0_17counting_iteratorIjlEEPS9_SE_NS0_5tupleIJPjSE_EEENSF_IJSE_SE_EEES9_SG_JZNS1_25segmented_radix_sort_implINS0_14default_configELb1EPK12hip_bfloat16PSL_PKlPlN2at6native12_GLOBAL__N_18offset_tEEE10hipError_tPvRmT1_PNSt15iterator_traitsISZ_E10value_typeET2_T3_PNS10_IS15_E10value_typeET4_jRbjT5_S1B_jjP12ihipStream_tbEUljE_EEESW_SX_SY_S15_S19_S1B_T6_T7_T9_mT8_S1D_bDpT10_ENKUlT_T0_E_clISt17integral_constantIbLb1EES1P_IbLb0EEEEDaS1L_S1M_EUlS1L_E_NS1_11comp_targetILNS1_3genE9ELNS1_11target_archE1100ELNS1_3gpuE3ELNS1_3repE0EEENS1_30default_config_static_selectorELNS0_4arch9wavefront6targetE0EEEvSZ_.has_recursion, 0
	.set _ZN7rocprim17ROCPRIM_400000_NS6detail17trampoline_kernelINS0_13select_configILj256ELj13ELNS0_17block_load_methodE3ELS4_3ELS4_3ELNS0_20block_scan_algorithmE0ELj4294967295EEENS1_25partition_config_selectorILNS1_17partition_subalgoE3EjNS0_10empty_typeEbEEZZNS1_14partition_implILS8_3ELb0ES6_jNS0_17counting_iteratorIjlEEPS9_SE_NS0_5tupleIJPjSE_EEENSF_IJSE_SE_EEES9_SG_JZNS1_25segmented_radix_sort_implINS0_14default_configELb1EPK12hip_bfloat16PSL_PKlPlN2at6native12_GLOBAL__N_18offset_tEEE10hipError_tPvRmT1_PNSt15iterator_traitsISZ_E10value_typeET2_T3_PNS10_IS15_E10value_typeET4_jRbjT5_S1B_jjP12ihipStream_tbEUljE_EEESW_SX_SY_S15_S19_S1B_T6_T7_T9_mT8_S1D_bDpT10_ENKUlT_T0_E_clISt17integral_constantIbLb1EES1P_IbLb0EEEEDaS1L_S1M_EUlS1L_E_NS1_11comp_targetILNS1_3genE9ELNS1_11target_archE1100ELNS1_3gpuE3ELNS1_3repE0EEENS1_30default_config_static_selectorELNS0_4arch9wavefront6targetE0EEEvSZ_.has_indirect_call, 0
	.section	.AMDGPU.csdata,"",@progbits
; Kernel info:
; codeLenInByte = 0
; TotalNumSgprs: 0
; NumVgprs: 0
; ScratchSize: 0
; MemoryBound: 0
; FloatMode: 240
; IeeeMode: 1
; LDSByteSize: 0 bytes/workgroup (compile time only)
; SGPRBlocks: 0
; VGPRBlocks: 0
; NumSGPRsForWavesPerEU: 1
; NumVGPRsForWavesPerEU: 1
; Occupancy: 16
; WaveLimiterHint : 0
; COMPUTE_PGM_RSRC2:SCRATCH_EN: 0
; COMPUTE_PGM_RSRC2:USER_SGPR: 6
; COMPUTE_PGM_RSRC2:TRAP_HANDLER: 0
; COMPUTE_PGM_RSRC2:TGID_X_EN: 1
; COMPUTE_PGM_RSRC2:TGID_Y_EN: 0
; COMPUTE_PGM_RSRC2:TGID_Z_EN: 0
; COMPUTE_PGM_RSRC2:TIDIG_COMP_CNT: 0
	.section	.text._ZN7rocprim17ROCPRIM_400000_NS6detail17trampoline_kernelINS0_13select_configILj256ELj13ELNS0_17block_load_methodE3ELS4_3ELS4_3ELNS0_20block_scan_algorithmE0ELj4294967295EEENS1_25partition_config_selectorILNS1_17partition_subalgoE3EjNS0_10empty_typeEbEEZZNS1_14partition_implILS8_3ELb0ES6_jNS0_17counting_iteratorIjlEEPS9_SE_NS0_5tupleIJPjSE_EEENSF_IJSE_SE_EEES9_SG_JZNS1_25segmented_radix_sort_implINS0_14default_configELb1EPK12hip_bfloat16PSL_PKlPlN2at6native12_GLOBAL__N_18offset_tEEE10hipError_tPvRmT1_PNSt15iterator_traitsISZ_E10value_typeET2_T3_PNS10_IS15_E10value_typeET4_jRbjT5_S1B_jjP12ihipStream_tbEUljE_EEESW_SX_SY_S15_S19_S1B_T6_T7_T9_mT8_S1D_bDpT10_ENKUlT_T0_E_clISt17integral_constantIbLb1EES1P_IbLb0EEEEDaS1L_S1M_EUlS1L_E_NS1_11comp_targetILNS1_3genE8ELNS1_11target_archE1030ELNS1_3gpuE2ELNS1_3repE0EEENS1_30default_config_static_selectorELNS0_4arch9wavefront6targetE0EEEvSZ_,"axG",@progbits,_ZN7rocprim17ROCPRIM_400000_NS6detail17trampoline_kernelINS0_13select_configILj256ELj13ELNS0_17block_load_methodE3ELS4_3ELS4_3ELNS0_20block_scan_algorithmE0ELj4294967295EEENS1_25partition_config_selectorILNS1_17partition_subalgoE3EjNS0_10empty_typeEbEEZZNS1_14partition_implILS8_3ELb0ES6_jNS0_17counting_iteratorIjlEEPS9_SE_NS0_5tupleIJPjSE_EEENSF_IJSE_SE_EEES9_SG_JZNS1_25segmented_radix_sort_implINS0_14default_configELb1EPK12hip_bfloat16PSL_PKlPlN2at6native12_GLOBAL__N_18offset_tEEE10hipError_tPvRmT1_PNSt15iterator_traitsISZ_E10value_typeET2_T3_PNS10_IS15_E10value_typeET4_jRbjT5_S1B_jjP12ihipStream_tbEUljE_EEESW_SX_SY_S15_S19_S1B_T6_T7_T9_mT8_S1D_bDpT10_ENKUlT_T0_E_clISt17integral_constantIbLb1EES1P_IbLb0EEEEDaS1L_S1M_EUlS1L_E_NS1_11comp_targetILNS1_3genE8ELNS1_11target_archE1030ELNS1_3gpuE2ELNS1_3repE0EEENS1_30default_config_static_selectorELNS0_4arch9wavefront6targetE0EEEvSZ_,comdat
	.globl	_ZN7rocprim17ROCPRIM_400000_NS6detail17trampoline_kernelINS0_13select_configILj256ELj13ELNS0_17block_load_methodE3ELS4_3ELS4_3ELNS0_20block_scan_algorithmE0ELj4294967295EEENS1_25partition_config_selectorILNS1_17partition_subalgoE3EjNS0_10empty_typeEbEEZZNS1_14partition_implILS8_3ELb0ES6_jNS0_17counting_iteratorIjlEEPS9_SE_NS0_5tupleIJPjSE_EEENSF_IJSE_SE_EEES9_SG_JZNS1_25segmented_radix_sort_implINS0_14default_configELb1EPK12hip_bfloat16PSL_PKlPlN2at6native12_GLOBAL__N_18offset_tEEE10hipError_tPvRmT1_PNSt15iterator_traitsISZ_E10value_typeET2_T3_PNS10_IS15_E10value_typeET4_jRbjT5_S1B_jjP12ihipStream_tbEUljE_EEESW_SX_SY_S15_S19_S1B_T6_T7_T9_mT8_S1D_bDpT10_ENKUlT_T0_E_clISt17integral_constantIbLb1EES1P_IbLb0EEEEDaS1L_S1M_EUlS1L_E_NS1_11comp_targetILNS1_3genE8ELNS1_11target_archE1030ELNS1_3gpuE2ELNS1_3repE0EEENS1_30default_config_static_selectorELNS0_4arch9wavefront6targetE0EEEvSZ_ ; -- Begin function _ZN7rocprim17ROCPRIM_400000_NS6detail17trampoline_kernelINS0_13select_configILj256ELj13ELNS0_17block_load_methodE3ELS4_3ELS4_3ELNS0_20block_scan_algorithmE0ELj4294967295EEENS1_25partition_config_selectorILNS1_17partition_subalgoE3EjNS0_10empty_typeEbEEZZNS1_14partition_implILS8_3ELb0ES6_jNS0_17counting_iteratorIjlEEPS9_SE_NS0_5tupleIJPjSE_EEENSF_IJSE_SE_EEES9_SG_JZNS1_25segmented_radix_sort_implINS0_14default_configELb1EPK12hip_bfloat16PSL_PKlPlN2at6native12_GLOBAL__N_18offset_tEEE10hipError_tPvRmT1_PNSt15iterator_traitsISZ_E10value_typeET2_T3_PNS10_IS15_E10value_typeET4_jRbjT5_S1B_jjP12ihipStream_tbEUljE_EEESW_SX_SY_S15_S19_S1B_T6_T7_T9_mT8_S1D_bDpT10_ENKUlT_T0_E_clISt17integral_constantIbLb1EES1P_IbLb0EEEEDaS1L_S1M_EUlS1L_E_NS1_11comp_targetILNS1_3genE8ELNS1_11target_archE1030ELNS1_3gpuE2ELNS1_3repE0EEENS1_30default_config_static_selectorELNS0_4arch9wavefront6targetE0EEEvSZ_
	.p2align	8
	.type	_ZN7rocprim17ROCPRIM_400000_NS6detail17trampoline_kernelINS0_13select_configILj256ELj13ELNS0_17block_load_methodE3ELS4_3ELS4_3ELNS0_20block_scan_algorithmE0ELj4294967295EEENS1_25partition_config_selectorILNS1_17partition_subalgoE3EjNS0_10empty_typeEbEEZZNS1_14partition_implILS8_3ELb0ES6_jNS0_17counting_iteratorIjlEEPS9_SE_NS0_5tupleIJPjSE_EEENSF_IJSE_SE_EEES9_SG_JZNS1_25segmented_radix_sort_implINS0_14default_configELb1EPK12hip_bfloat16PSL_PKlPlN2at6native12_GLOBAL__N_18offset_tEEE10hipError_tPvRmT1_PNSt15iterator_traitsISZ_E10value_typeET2_T3_PNS10_IS15_E10value_typeET4_jRbjT5_S1B_jjP12ihipStream_tbEUljE_EEESW_SX_SY_S15_S19_S1B_T6_T7_T9_mT8_S1D_bDpT10_ENKUlT_T0_E_clISt17integral_constantIbLb1EES1P_IbLb0EEEEDaS1L_S1M_EUlS1L_E_NS1_11comp_targetILNS1_3genE8ELNS1_11target_archE1030ELNS1_3gpuE2ELNS1_3repE0EEENS1_30default_config_static_selectorELNS0_4arch9wavefront6targetE0EEEvSZ_,@function
_ZN7rocprim17ROCPRIM_400000_NS6detail17trampoline_kernelINS0_13select_configILj256ELj13ELNS0_17block_load_methodE3ELS4_3ELS4_3ELNS0_20block_scan_algorithmE0ELj4294967295EEENS1_25partition_config_selectorILNS1_17partition_subalgoE3EjNS0_10empty_typeEbEEZZNS1_14partition_implILS8_3ELb0ES6_jNS0_17counting_iteratorIjlEEPS9_SE_NS0_5tupleIJPjSE_EEENSF_IJSE_SE_EEES9_SG_JZNS1_25segmented_radix_sort_implINS0_14default_configELb1EPK12hip_bfloat16PSL_PKlPlN2at6native12_GLOBAL__N_18offset_tEEE10hipError_tPvRmT1_PNSt15iterator_traitsISZ_E10value_typeET2_T3_PNS10_IS15_E10value_typeET4_jRbjT5_S1B_jjP12ihipStream_tbEUljE_EEESW_SX_SY_S15_S19_S1B_T6_T7_T9_mT8_S1D_bDpT10_ENKUlT_T0_E_clISt17integral_constantIbLb1EES1P_IbLb0EEEEDaS1L_S1M_EUlS1L_E_NS1_11comp_targetILNS1_3genE8ELNS1_11target_archE1030ELNS1_3gpuE2ELNS1_3repE0EEENS1_30default_config_static_selectorELNS0_4arch9wavefront6targetE0EEEvSZ_: ; @_ZN7rocprim17ROCPRIM_400000_NS6detail17trampoline_kernelINS0_13select_configILj256ELj13ELNS0_17block_load_methodE3ELS4_3ELS4_3ELNS0_20block_scan_algorithmE0ELj4294967295EEENS1_25partition_config_selectorILNS1_17partition_subalgoE3EjNS0_10empty_typeEbEEZZNS1_14partition_implILS8_3ELb0ES6_jNS0_17counting_iteratorIjlEEPS9_SE_NS0_5tupleIJPjSE_EEENSF_IJSE_SE_EEES9_SG_JZNS1_25segmented_radix_sort_implINS0_14default_configELb1EPK12hip_bfloat16PSL_PKlPlN2at6native12_GLOBAL__N_18offset_tEEE10hipError_tPvRmT1_PNSt15iterator_traitsISZ_E10value_typeET2_T3_PNS10_IS15_E10value_typeET4_jRbjT5_S1B_jjP12ihipStream_tbEUljE_EEESW_SX_SY_S15_S19_S1B_T6_T7_T9_mT8_S1D_bDpT10_ENKUlT_T0_E_clISt17integral_constantIbLb1EES1P_IbLb0EEEEDaS1L_S1M_EUlS1L_E_NS1_11comp_targetILNS1_3genE8ELNS1_11target_archE1030ELNS1_3gpuE2ELNS1_3repE0EEENS1_30default_config_static_selectorELNS0_4arch9wavefront6targetE0EEEvSZ_
; %bb.0:
	s_endpgm
	.section	.rodata,"a",@progbits
	.p2align	6, 0x0
	.amdhsa_kernel _ZN7rocprim17ROCPRIM_400000_NS6detail17trampoline_kernelINS0_13select_configILj256ELj13ELNS0_17block_load_methodE3ELS4_3ELS4_3ELNS0_20block_scan_algorithmE0ELj4294967295EEENS1_25partition_config_selectorILNS1_17partition_subalgoE3EjNS0_10empty_typeEbEEZZNS1_14partition_implILS8_3ELb0ES6_jNS0_17counting_iteratorIjlEEPS9_SE_NS0_5tupleIJPjSE_EEENSF_IJSE_SE_EEES9_SG_JZNS1_25segmented_radix_sort_implINS0_14default_configELb1EPK12hip_bfloat16PSL_PKlPlN2at6native12_GLOBAL__N_18offset_tEEE10hipError_tPvRmT1_PNSt15iterator_traitsISZ_E10value_typeET2_T3_PNS10_IS15_E10value_typeET4_jRbjT5_S1B_jjP12ihipStream_tbEUljE_EEESW_SX_SY_S15_S19_S1B_T6_T7_T9_mT8_S1D_bDpT10_ENKUlT_T0_E_clISt17integral_constantIbLb1EES1P_IbLb0EEEEDaS1L_S1M_EUlS1L_E_NS1_11comp_targetILNS1_3genE8ELNS1_11target_archE1030ELNS1_3gpuE2ELNS1_3repE0EEENS1_30default_config_static_selectorELNS0_4arch9wavefront6targetE0EEEvSZ_
		.amdhsa_group_segment_fixed_size 0
		.amdhsa_private_segment_fixed_size 0
		.amdhsa_kernarg_size 144
		.amdhsa_user_sgpr_count 6
		.amdhsa_user_sgpr_private_segment_buffer 1
		.amdhsa_user_sgpr_dispatch_ptr 0
		.amdhsa_user_sgpr_queue_ptr 0
		.amdhsa_user_sgpr_kernarg_segment_ptr 1
		.amdhsa_user_sgpr_dispatch_id 0
		.amdhsa_user_sgpr_flat_scratch_init 0
		.amdhsa_user_sgpr_private_segment_size 0
		.amdhsa_wavefront_size32 1
		.amdhsa_uses_dynamic_stack 0
		.amdhsa_system_sgpr_private_segment_wavefront_offset 0
		.amdhsa_system_sgpr_workgroup_id_x 1
		.amdhsa_system_sgpr_workgroup_id_y 0
		.amdhsa_system_sgpr_workgroup_id_z 0
		.amdhsa_system_sgpr_workgroup_info 0
		.amdhsa_system_vgpr_workitem_id 0
		.amdhsa_next_free_vgpr 1
		.amdhsa_next_free_sgpr 1
		.amdhsa_reserve_vcc 0
		.amdhsa_reserve_flat_scratch 0
		.amdhsa_float_round_mode_32 0
		.amdhsa_float_round_mode_16_64 0
		.amdhsa_float_denorm_mode_32 3
		.amdhsa_float_denorm_mode_16_64 3
		.amdhsa_dx10_clamp 1
		.amdhsa_ieee_mode 1
		.amdhsa_fp16_overflow 0
		.amdhsa_workgroup_processor_mode 1
		.amdhsa_memory_ordered 1
		.amdhsa_forward_progress 1
		.amdhsa_shared_vgpr_count 0
		.amdhsa_exception_fp_ieee_invalid_op 0
		.amdhsa_exception_fp_denorm_src 0
		.amdhsa_exception_fp_ieee_div_zero 0
		.amdhsa_exception_fp_ieee_overflow 0
		.amdhsa_exception_fp_ieee_underflow 0
		.amdhsa_exception_fp_ieee_inexact 0
		.amdhsa_exception_int_div_zero 0
	.end_amdhsa_kernel
	.section	.text._ZN7rocprim17ROCPRIM_400000_NS6detail17trampoline_kernelINS0_13select_configILj256ELj13ELNS0_17block_load_methodE3ELS4_3ELS4_3ELNS0_20block_scan_algorithmE0ELj4294967295EEENS1_25partition_config_selectorILNS1_17partition_subalgoE3EjNS0_10empty_typeEbEEZZNS1_14partition_implILS8_3ELb0ES6_jNS0_17counting_iteratorIjlEEPS9_SE_NS0_5tupleIJPjSE_EEENSF_IJSE_SE_EEES9_SG_JZNS1_25segmented_radix_sort_implINS0_14default_configELb1EPK12hip_bfloat16PSL_PKlPlN2at6native12_GLOBAL__N_18offset_tEEE10hipError_tPvRmT1_PNSt15iterator_traitsISZ_E10value_typeET2_T3_PNS10_IS15_E10value_typeET4_jRbjT5_S1B_jjP12ihipStream_tbEUljE_EEESW_SX_SY_S15_S19_S1B_T6_T7_T9_mT8_S1D_bDpT10_ENKUlT_T0_E_clISt17integral_constantIbLb1EES1P_IbLb0EEEEDaS1L_S1M_EUlS1L_E_NS1_11comp_targetILNS1_3genE8ELNS1_11target_archE1030ELNS1_3gpuE2ELNS1_3repE0EEENS1_30default_config_static_selectorELNS0_4arch9wavefront6targetE0EEEvSZ_,"axG",@progbits,_ZN7rocprim17ROCPRIM_400000_NS6detail17trampoline_kernelINS0_13select_configILj256ELj13ELNS0_17block_load_methodE3ELS4_3ELS4_3ELNS0_20block_scan_algorithmE0ELj4294967295EEENS1_25partition_config_selectorILNS1_17partition_subalgoE3EjNS0_10empty_typeEbEEZZNS1_14partition_implILS8_3ELb0ES6_jNS0_17counting_iteratorIjlEEPS9_SE_NS0_5tupleIJPjSE_EEENSF_IJSE_SE_EEES9_SG_JZNS1_25segmented_radix_sort_implINS0_14default_configELb1EPK12hip_bfloat16PSL_PKlPlN2at6native12_GLOBAL__N_18offset_tEEE10hipError_tPvRmT1_PNSt15iterator_traitsISZ_E10value_typeET2_T3_PNS10_IS15_E10value_typeET4_jRbjT5_S1B_jjP12ihipStream_tbEUljE_EEESW_SX_SY_S15_S19_S1B_T6_T7_T9_mT8_S1D_bDpT10_ENKUlT_T0_E_clISt17integral_constantIbLb1EES1P_IbLb0EEEEDaS1L_S1M_EUlS1L_E_NS1_11comp_targetILNS1_3genE8ELNS1_11target_archE1030ELNS1_3gpuE2ELNS1_3repE0EEENS1_30default_config_static_selectorELNS0_4arch9wavefront6targetE0EEEvSZ_,comdat
.Lfunc_end1927:
	.size	_ZN7rocprim17ROCPRIM_400000_NS6detail17trampoline_kernelINS0_13select_configILj256ELj13ELNS0_17block_load_methodE3ELS4_3ELS4_3ELNS0_20block_scan_algorithmE0ELj4294967295EEENS1_25partition_config_selectorILNS1_17partition_subalgoE3EjNS0_10empty_typeEbEEZZNS1_14partition_implILS8_3ELb0ES6_jNS0_17counting_iteratorIjlEEPS9_SE_NS0_5tupleIJPjSE_EEENSF_IJSE_SE_EEES9_SG_JZNS1_25segmented_radix_sort_implINS0_14default_configELb1EPK12hip_bfloat16PSL_PKlPlN2at6native12_GLOBAL__N_18offset_tEEE10hipError_tPvRmT1_PNSt15iterator_traitsISZ_E10value_typeET2_T3_PNS10_IS15_E10value_typeET4_jRbjT5_S1B_jjP12ihipStream_tbEUljE_EEESW_SX_SY_S15_S19_S1B_T6_T7_T9_mT8_S1D_bDpT10_ENKUlT_T0_E_clISt17integral_constantIbLb1EES1P_IbLb0EEEEDaS1L_S1M_EUlS1L_E_NS1_11comp_targetILNS1_3genE8ELNS1_11target_archE1030ELNS1_3gpuE2ELNS1_3repE0EEENS1_30default_config_static_selectorELNS0_4arch9wavefront6targetE0EEEvSZ_, .Lfunc_end1927-_ZN7rocprim17ROCPRIM_400000_NS6detail17trampoline_kernelINS0_13select_configILj256ELj13ELNS0_17block_load_methodE3ELS4_3ELS4_3ELNS0_20block_scan_algorithmE0ELj4294967295EEENS1_25partition_config_selectorILNS1_17partition_subalgoE3EjNS0_10empty_typeEbEEZZNS1_14partition_implILS8_3ELb0ES6_jNS0_17counting_iteratorIjlEEPS9_SE_NS0_5tupleIJPjSE_EEENSF_IJSE_SE_EEES9_SG_JZNS1_25segmented_radix_sort_implINS0_14default_configELb1EPK12hip_bfloat16PSL_PKlPlN2at6native12_GLOBAL__N_18offset_tEEE10hipError_tPvRmT1_PNSt15iterator_traitsISZ_E10value_typeET2_T3_PNS10_IS15_E10value_typeET4_jRbjT5_S1B_jjP12ihipStream_tbEUljE_EEESW_SX_SY_S15_S19_S1B_T6_T7_T9_mT8_S1D_bDpT10_ENKUlT_T0_E_clISt17integral_constantIbLb1EES1P_IbLb0EEEEDaS1L_S1M_EUlS1L_E_NS1_11comp_targetILNS1_3genE8ELNS1_11target_archE1030ELNS1_3gpuE2ELNS1_3repE0EEENS1_30default_config_static_selectorELNS0_4arch9wavefront6targetE0EEEvSZ_
                                        ; -- End function
	.set _ZN7rocprim17ROCPRIM_400000_NS6detail17trampoline_kernelINS0_13select_configILj256ELj13ELNS0_17block_load_methodE3ELS4_3ELS4_3ELNS0_20block_scan_algorithmE0ELj4294967295EEENS1_25partition_config_selectorILNS1_17partition_subalgoE3EjNS0_10empty_typeEbEEZZNS1_14partition_implILS8_3ELb0ES6_jNS0_17counting_iteratorIjlEEPS9_SE_NS0_5tupleIJPjSE_EEENSF_IJSE_SE_EEES9_SG_JZNS1_25segmented_radix_sort_implINS0_14default_configELb1EPK12hip_bfloat16PSL_PKlPlN2at6native12_GLOBAL__N_18offset_tEEE10hipError_tPvRmT1_PNSt15iterator_traitsISZ_E10value_typeET2_T3_PNS10_IS15_E10value_typeET4_jRbjT5_S1B_jjP12ihipStream_tbEUljE_EEESW_SX_SY_S15_S19_S1B_T6_T7_T9_mT8_S1D_bDpT10_ENKUlT_T0_E_clISt17integral_constantIbLb1EES1P_IbLb0EEEEDaS1L_S1M_EUlS1L_E_NS1_11comp_targetILNS1_3genE8ELNS1_11target_archE1030ELNS1_3gpuE2ELNS1_3repE0EEENS1_30default_config_static_selectorELNS0_4arch9wavefront6targetE0EEEvSZ_.num_vgpr, 0
	.set _ZN7rocprim17ROCPRIM_400000_NS6detail17trampoline_kernelINS0_13select_configILj256ELj13ELNS0_17block_load_methodE3ELS4_3ELS4_3ELNS0_20block_scan_algorithmE0ELj4294967295EEENS1_25partition_config_selectorILNS1_17partition_subalgoE3EjNS0_10empty_typeEbEEZZNS1_14partition_implILS8_3ELb0ES6_jNS0_17counting_iteratorIjlEEPS9_SE_NS0_5tupleIJPjSE_EEENSF_IJSE_SE_EEES9_SG_JZNS1_25segmented_radix_sort_implINS0_14default_configELb1EPK12hip_bfloat16PSL_PKlPlN2at6native12_GLOBAL__N_18offset_tEEE10hipError_tPvRmT1_PNSt15iterator_traitsISZ_E10value_typeET2_T3_PNS10_IS15_E10value_typeET4_jRbjT5_S1B_jjP12ihipStream_tbEUljE_EEESW_SX_SY_S15_S19_S1B_T6_T7_T9_mT8_S1D_bDpT10_ENKUlT_T0_E_clISt17integral_constantIbLb1EES1P_IbLb0EEEEDaS1L_S1M_EUlS1L_E_NS1_11comp_targetILNS1_3genE8ELNS1_11target_archE1030ELNS1_3gpuE2ELNS1_3repE0EEENS1_30default_config_static_selectorELNS0_4arch9wavefront6targetE0EEEvSZ_.num_agpr, 0
	.set _ZN7rocprim17ROCPRIM_400000_NS6detail17trampoline_kernelINS0_13select_configILj256ELj13ELNS0_17block_load_methodE3ELS4_3ELS4_3ELNS0_20block_scan_algorithmE0ELj4294967295EEENS1_25partition_config_selectorILNS1_17partition_subalgoE3EjNS0_10empty_typeEbEEZZNS1_14partition_implILS8_3ELb0ES6_jNS0_17counting_iteratorIjlEEPS9_SE_NS0_5tupleIJPjSE_EEENSF_IJSE_SE_EEES9_SG_JZNS1_25segmented_radix_sort_implINS0_14default_configELb1EPK12hip_bfloat16PSL_PKlPlN2at6native12_GLOBAL__N_18offset_tEEE10hipError_tPvRmT1_PNSt15iterator_traitsISZ_E10value_typeET2_T3_PNS10_IS15_E10value_typeET4_jRbjT5_S1B_jjP12ihipStream_tbEUljE_EEESW_SX_SY_S15_S19_S1B_T6_T7_T9_mT8_S1D_bDpT10_ENKUlT_T0_E_clISt17integral_constantIbLb1EES1P_IbLb0EEEEDaS1L_S1M_EUlS1L_E_NS1_11comp_targetILNS1_3genE8ELNS1_11target_archE1030ELNS1_3gpuE2ELNS1_3repE0EEENS1_30default_config_static_selectorELNS0_4arch9wavefront6targetE0EEEvSZ_.numbered_sgpr, 0
	.set _ZN7rocprim17ROCPRIM_400000_NS6detail17trampoline_kernelINS0_13select_configILj256ELj13ELNS0_17block_load_methodE3ELS4_3ELS4_3ELNS0_20block_scan_algorithmE0ELj4294967295EEENS1_25partition_config_selectorILNS1_17partition_subalgoE3EjNS0_10empty_typeEbEEZZNS1_14partition_implILS8_3ELb0ES6_jNS0_17counting_iteratorIjlEEPS9_SE_NS0_5tupleIJPjSE_EEENSF_IJSE_SE_EEES9_SG_JZNS1_25segmented_radix_sort_implINS0_14default_configELb1EPK12hip_bfloat16PSL_PKlPlN2at6native12_GLOBAL__N_18offset_tEEE10hipError_tPvRmT1_PNSt15iterator_traitsISZ_E10value_typeET2_T3_PNS10_IS15_E10value_typeET4_jRbjT5_S1B_jjP12ihipStream_tbEUljE_EEESW_SX_SY_S15_S19_S1B_T6_T7_T9_mT8_S1D_bDpT10_ENKUlT_T0_E_clISt17integral_constantIbLb1EES1P_IbLb0EEEEDaS1L_S1M_EUlS1L_E_NS1_11comp_targetILNS1_3genE8ELNS1_11target_archE1030ELNS1_3gpuE2ELNS1_3repE0EEENS1_30default_config_static_selectorELNS0_4arch9wavefront6targetE0EEEvSZ_.num_named_barrier, 0
	.set _ZN7rocprim17ROCPRIM_400000_NS6detail17trampoline_kernelINS0_13select_configILj256ELj13ELNS0_17block_load_methodE3ELS4_3ELS4_3ELNS0_20block_scan_algorithmE0ELj4294967295EEENS1_25partition_config_selectorILNS1_17partition_subalgoE3EjNS0_10empty_typeEbEEZZNS1_14partition_implILS8_3ELb0ES6_jNS0_17counting_iteratorIjlEEPS9_SE_NS0_5tupleIJPjSE_EEENSF_IJSE_SE_EEES9_SG_JZNS1_25segmented_radix_sort_implINS0_14default_configELb1EPK12hip_bfloat16PSL_PKlPlN2at6native12_GLOBAL__N_18offset_tEEE10hipError_tPvRmT1_PNSt15iterator_traitsISZ_E10value_typeET2_T3_PNS10_IS15_E10value_typeET4_jRbjT5_S1B_jjP12ihipStream_tbEUljE_EEESW_SX_SY_S15_S19_S1B_T6_T7_T9_mT8_S1D_bDpT10_ENKUlT_T0_E_clISt17integral_constantIbLb1EES1P_IbLb0EEEEDaS1L_S1M_EUlS1L_E_NS1_11comp_targetILNS1_3genE8ELNS1_11target_archE1030ELNS1_3gpuE2ELNS1_3repE0EEENS1_30default_config_static_selectorELNS0_4arch9wavefront6targetE0EEEvSZ_.private_seg_size, 0
	.set _ZN7rocprim17ROCPRIM_400000_NS6detail17trampoline_kernelINS0_13select_configILj256ELj13ELNS0_17block_load_methodE3ELS4_3ELS4_3ELNS0_20block_scan_algorithmE0ELj4294967295EEENS1_25partition_config_selectorILNS1_17partition_subalgoE3EjNS0_10empty_typeEbEEZZNS1_14partition_implILS8_3ELb0ES6_jNS0_17counting_iteratorIjlEEPS9_SE_NS0_5tupleIJPjSE_EEENSF_IJSE_SE_EEES9_SG_JZNS1_25segmented_radix_sort_implINS0_14default_configELb1EPK12hip_bfloat16PSL_PKlPlN2at6native12_GLOBAL__N_18offset_tEEE10hipError_tPvRmT1_PNSt15iterator_traitsISZ_E10value_typeET2_T3_PNS10_IS15_E10value_typeET4_jRbjT5_S1B_jjP12ihipStream_tbEUljE_EEESW_SX_SY_S15_S19_S1B_T6_T7_T9_mT8_S1D_bDpT10_ENKUlT_T0_E_clISt17integral_constantIbLb1EES1P_IbLb0EEEEDaS1L_S1M_EUlS1L_E_NS1_11comp_targetILNS1_3genE8ELNS1_11target_archE1030ELNS1_3gpuE2ELNS1_3repE0EEENS1_30default_config_static_selectorELNS0_4arch9wavefront6targetE0EEEvSZ_.uses_vcc, 0
	.set _ZN7rocprim17ROCPRIM_400000_NS6detail17trampoline_kernelINS0_13select_configILj256ELj13ELNS0_17block_load_methodE3ELS4_3ELS4_3ELNS0_20block_scan_algorithmE0ELj4294967295EEENS1_25partition_config_selectorILNS1_17partition_subalgoE3EjNS0_10empty_typeEbEEZZNS1_14partition_implILS8_3ELb0ES6_jNS0_17counting_iteratorIjlEEPS9_SE_NS0_5tupleIJPjSE_EEENSF_IJSE_SE_EEES9_SG_JZNS1_25segmented_radix_sort_implINS0_14default_configELb1EPK12hip_bfloat16PSL_PKlPlN2at6native12_GLOBAL__N_18offset_tEEE10hipError_tPvRmT1_PNSt15iterator_traitsISZ_E10value_typeET2_T3_PNS10_IS15_E10value_typeET4_jRbjT5_S1B_jjP12ihipStream_tbEUljE_EEESW_SX_SY_S15_S19_S1B_T6_T7_T9_mT8_S1D_bDpT10_ENKUlT_T0_E_clISt17integral_constantIbLb1EES1P_IbLb0EEEEDaS1L_S1M_EUlS1L_E_NS1_11comp_targetILNS1_3genE8ELNS1_11target_archE1030ELNS1_3gpuE2ELNS1_3repE0EEENS1_30default_config_static_selectorELNS0_4arch9wavefront6targetE0EEEvSZ_.uses_flat_scratch, 0
	.set _ZN7rocprim17ROCPRIM_400000_NS6detail17trampoline_kernelINS0_13select_configILj256ELj13ELNS0_17block_load_methodE3ELS4_3ELS4_3ELNS0_20block_scan_algorithmE0ELj4294967295EEENS1_25partition_config_selectorILNS1_17partition_subalgoE3EjNS0_10empty_typeEbEEZZNS1_14partition_implILS8_3ELb0ES6_jNS0_17counting_iteratorIjlEEPS9_SE_NS0_5tupleIJPjSE_EEENSF_IJSE_SE_EEES9_SG_JZNS1_25segmented_radix_sort_implINS0_14default_configELb1EPK12hip_bfloat16PSL_PKlPlN2at6native12_GLOBAL__N_18offset_tEEE10hipError_tPvRmT1_PNSt15iterator_traitsISZ_E10value_typeET2_T3_PNS10_IS15_E10value_typeET4_jRbjT5_S1B_jjP12ihipStream_tbEUljE_EEESW_SX_SY_S15_S19_S1B_T6_T7_T9_mT8_S1D_bDpT10_ENKUlT_T0_E_clISt17integral_constantIbLb1EES1P_IbLb0EEEEDaS1L_S1M_EUlS1L_E_NS1_11comp_targetILNS1_3genE8ELNS1_11target_archE1030ELNS1_3gpuE2ELNS1_3repE0EEENS1_30default_config_static_selectorELNS0_4arch9wavefront6targetE0EEEvSZ_.has_dyn_sized_stack, 0
	.set _ZN7rocprim17ROCPRIM_400000_NS6detail17trampoline_kernelINS0_13select_configILj256ELj13ELNS0_17block_load_methodE3ELS4_3ELS4_3ELNS0_20block_scan_algorithmE0ELj4294967295EEENS1_25partition_config_selectorILNS1_17partition_subalgoE3EjNS0_10empty_typeEbEEZZNS1_14partition_implILS8_3ELb0ES6_jNS0_17counting_iteratorIjlEEPS9_SE_NS0_5tupleIJPjSE_EEENSF_IJSE_SE_EEES9_SG_JZNS1_25segmented_radix_sort_implINS0_14default_configELb1EPK12hip_bfloat16PSL_PKlPlN2at6native12_GLOBAL__N_18offset_tEEE10hipError_tPvRmT1_PNSt15iterator_traitsISZ_E10value_typeET2_T3_PNS10_IS15_E10value_typeET4_jRbjT5_S1B_jjP12ihipStream_tbEUljE_EEESW_SX_SY_S15_S19_S1B_T6_T7_T9_mT8_S1D_bDpT10_ENKUlT_T0_E_clISt17integral_constantIbLb1EES1P_IbLb0EEEEDaS1L_S1M_EUlS1L_E_NS1_11comp_targetILNS1_3genE8ELNS1_11target_archE1030ELNS1_3gpuE2ELNS1_3repE0EEENS1_30default_config_static_selectorELNS0_4arch9wavefront6targetE0EEEvSZ_.has_recursion, 0
	.set _ZN7rocprim17ROCPRIM_400000_NS6detail17trampoline_kernelINS0_13select_configILj256ELj13ELNS0_17block_load_methodE3ELS4_3ELS4_3ELNS0_20block_scan_algorithmE0ELj4294967295EEENS1_25partition_config_selectorILNS1_17partition_subalgoE3EjNS0_10empty_typeEbEEZZNS1_14partition_implILS8_3ELb0ES6_jNS0_17counting_iteratorIjlEEPS9_SE_NS0_5tupleIJPjSE_EEENSF_IJSE_SE_EEES9_SG_JZNS1_25segmented_radix_sort_implINS0_14default_configELb1EPK12hip_bfloat16PSL_PKlPlN2at6native12_GLOBAL__N_18offset_tEEE10hipError_tPvRmT1_PNSt15iterator_traitsISZ_E10value_typeET2_T3_PNS10_IS15_E10value_typeET4_jRbjT5_S1B_jjP12ihipStream_tbEUljE_EEESW_SX_SY_S15_S19_S1B_T6_T7_T9_mT8_S1D_bDpT10_ENKUlT_T0_E_clISt17integral_constantIbLb1EES1P_IbLb0EEEEDaS1L_S1M_EUlS1L_E_NS1_11comp_targetILNS1_3genE8ELNS1_11target_archE1030ELNS1_3gpuE2ELNS1_3repE0EEENS1_30default_config_static_selectorELNS0_4arch9wavefront6targetE0EEEvSZ_.has_indirect_call, 0
	.section	.AMDGPU.csdata,"",@progbits
; Kernel info:
; codeLenInByte = 4
; TotalNumSgprs: 0
; NumVgprs: 0
; ScratchSize: 0
; MemoryBound: 0
; FloatMode: 240
; IeeeMode: 1
; LDSByteSize: 0 bytes/workgroup (compile time only)
; SGPRBlocks: 0
; VGPRBlocks: 0
; NumSGPRsForWavesPerEU: 1
; NumVGPRsForWavesPerEU: 1
; Occupancy: 16
; WaveLimiterHint : 0
; COMPUTE_PGM_RSRC2:SCRATCH_EN: 0
; COMPUTE_PGM_RSRC2:USER_SGPR: 6
; COMPUTE_PGM_RSRC2:TRAP_HANDLER: 0
; COMPUTE_PGM_RSRC2:TGID_X_EN: 1
; COMPUTE_PGM_RSRC2:TGID_Y_EN: 0
; COMPUTE_PGM_RSRC2:TGID_Z_EN: 0
; COMPUTE_PGM_RSRC2:TIDIG_COMP_CNT: 0
	.section	.text._ZN7rocprim17ROCPRIM_400000_NS6detail17trampoline_kernelINS0_13select_configILj256ELj13ELNS0_17block_load_methodE3ELS4_3ELS4_3ELNS0_20block_scan_algorithmE0ELj4294967295EEENS1_25partition_config_selectorILNS1_17partition_subalgoE3EjNS0_10empty_typeEbEEZZNS1_14partition_implILS8_3ELb0ES6_jNS0_17counting_iteratorIjlEEPS9_SE_NS0_5tupleIJPjSE_EEENSF_IJSE_SE_EEES9_SG_JZNS1_25segmented_radix_sort_implINS0_14default_configELb1EPK12hip_bfloat16PSL_PKlPlN2at6native12_GLOBAL__N_18offset_tEEE10hipError_tPvRmT1_PNSt15iterator_traitsISZ_E10value_typeET2_T3_PNS10_IS15_E10value_typeET4_jRbjT5_S1B_jjP12ihipStream_tbEUljE_EEESW_SX_SY_S15_S19_S1B_T6_T7_T9_mT8_S1D_bDpT10_ENKUlT_T0_E_clISt17integral_constantIbLb0EES1P_IbLb1EEEEDaS1L_S1M_EUlS1L_E_NS1_11comp_targetILNS1_3genE0ELNS1_11target_archE4294967295ELNS1_3gpuE0ELNS1_3repE0EEENS1_30default_config_static_selectorELNS0_4arch9wavefront6targetE0EEEvSZ_,"axG",@progbits,_ZN7rocprim17ROCPRIM_400000_NS6detail17trampoline_kernelINS0_13select_configILj256ELj13ELNS0_17block_load_methodE3ELS4_3ELS4_3ELNS0_20block_scan_algorithmE0ELj4294967295EEENS1_25partition_config_selectorILNS1_17partition_subalgoE3EjNS0_10empty_typeEbEEZZNS1_14partition_implILS8_3ELb0ES6_jNS0_17counting_iteratorIjlEEPS9_SE_NS0_5tupleIJPjSE_EEENSF_IJSE_SE_EEES9_SG_JZNS1_25segmented_radix_sort_implINS0_14default_configELb1EPK12hip_bfloat16PSL_PKlPlN2at6native12_GLOBAL__N_18offset_tEEE10hipError_tPvRmT1_PNSt15iterator_traitsISZ_E10value_typeET2_T3_PNS10_IS15_E10value_typeET4_jRbjT5_S1B_jjP12ihipStream_tbEUljE_EEESW_SX_SY_S15_S19_S1B_T6_T7_T9_mT8_S1D_bDpT10_ENKUlT_T0_E_clISt17integral_constantIbLb0EES1P_IbLb1EEEEDaS1L_S1M_EUlS1L_E_NS1_11comp_targetILNS1_3genE0ELNS1_11target_archE4294967295ELNS1_3gpuE0ELNS1_3repE0EEENS1_30default_config_static_selectorELNS0_4arch9wavefront6targetE0EEEvSZ_,comdat
	.globl	_ZN7rocprim17ROCPRIM_400000_NS6detail17trampoline_kernelINS0_13select_configILj256ELj13ELNS0_17block_load_methodE3ELS4_3ELS4_3ELNS0_20block_scan_algorithmE0ELj4294967295EEENS1_25partition_config_selectorILNS1_17partition_subalgoE3EjNS0_10empty_typeEbEEZZNS1_14partition_implILS8_3ELb0ES6_jNS0_17counting_iteratorIjlEEPS9_SE_NS0_5tupleIJPjSE_EEENSF_IJSE_SE_EEES9_SG_JZNS1_25segmented_radix_sort_implINS0_14default_configELb1EPK12hip_bfloat16PSL_PKlPlN2at6native12_GLOBAL__N_18offset_tEEE10hipError_tPvRmT1_PNSt15iterator_traitsISZ_E10value_typeET2_T3_PNS10_IS15_E10value_typeET4_jRbjT5_S1B_jjP12ihipStream_tbEUljE_EEESW_SX_SY_S15_S19_S1B_T6_T7_T9_mT8_S1D_bDpT10_ENKUlT_T0_E_clISt17integral_constantIbLb0EES1P_IbLb1EEEEDaS1L_S1M_EUlS1L_E_NS1_11comp_targetILNS1_3genE0ELNS1_11target_archE4294967295ELNS1_3gpuE0ELNS1_3repE0EEENS1_30default_config_static_selectorELNS0_4arch9wavefront6targetE0EEEvSZ_ ; -- Begin function _ZN7rocprim17ROCPRIM_400000_NS6detail17trampoline_kernelINS0_13select_configILj256ELj13ELNS0_17block_load_methodE3ELS4_3ELS4_3ELNS0_20block_scan_algorithmE0ELj4294967295EEENS1_25partition_config_selectorILNS1_17partition_subalgoE3EjNS0_10empty_typeEbEEZZNS1_14partition_implILS8_3ELb0ES6_jNS0_17counting_iteratorIjlEEPS9_SE_NS0_5tupleIJPjSE_EEENSF_IJSE_SE_EEES9_SG_JZNS1_25segmented_radix_sort_implINS0_14default_configELb1EPK12hip_bfloat16PSL_PKlPlN2at6native12_GLOBAL__N_18offset_tEEE10hipError_tPvRmT1_PNSt15iterator_traitsISZ_E10value_typeET2_T3_PNS10_IS15_E10value_typeET4_jRbjT5_S1B_jjP12ihipStream_tbEUljE_EEESW_SX_SY_S15_S19_S1B_T6_T7_T9_mT8_S1D_bDpT10_ENKUlT_T0_E_clISt17integral_constantIbLb0EES1P_IbLb1EEEEDaS1L_S1M_EUlS1L_E_NS1_11comp_targetILNS1_3genE0ELNS1_11target_archE4294967295ELNS1_3gpuE0ELNS1_3repE0EEENS1_30default_config_static_selectorELNS0_4arch9wavefront6targetE0EEEvSZ_
	.p2align	8
	.type	_ZN7rocprim17ROCPRIM_400000_NS6detail17trampoline_kernelINS0_13select_configILj256ELj13ELNS0_17block_load_methodE3ELS4_3ELS4_3ELNS0_20block_scan_algorithmE0ELj4294967295EEENS1_25partition_config_selectorILNS1_17partition_subalgoE3EjNS0_10empty_typeEbEEZZNS1_14partition_implILS8_3ELb0ES6_jNS0_17counting_iteratorIjlEEPS9_SE_NS0_5tupleIJPjSE_EEENSF_IJSE_SE_EEES9_SG_JZNS1_25segmented_radix_sort_implINS0_14default_configELb1EPK12hip_bfloat16PSL_PKlPlN2at6native12_GLOBAL__N_18offset_tEEE10hipError_tPvRmT1_PNSt15iterator_traitsISZ_E10value_typeET2_T3_PNS10_IS15_E10value_typeET4_jRbjT5_S1B_jjP12ihipStream_tbEUljE_EEESW_SX_SY_S15_S19_S1B_T6_T7_T9_mT8_S1D_bDpT10_ENKUlT_T0_E_clISt17integral_constantIbLb0EES1P_IbLb1EEEEDaS1L_S1M_EUlS1L_E_NS1_11comp_targetILNS1_3genE0ELNS1_11target_archE4294967295ELNS1_3gpuE0ELNS1_3repE0EEENS1_30default_config_static_selectorELNS0_4arch9wavefront6targetE0EEEvSZ_,@function
_ZN7rocprim17ROCPRIM_400000_NS6detail17trampoline_kernelINS0_13select_configILj256ELj13ELNS0_17block_load_methodE3ELS4_3ELS4_3ELNS0_20block_scan_algorithmE0ELj4294967295EEENS1_25partition_config_selectorILNS1_17partition_subalgoE3EjNS0_10empty_typeEbEEZZNS1_14partition_implILS8_3ELb0ES6_jNS0_17counting_iteratorIjlEEPS9_SE_NS0_5tupleIJPjSE_EEENSF_IJSE_SE_EEES9_SG_JZNS1_25segmented_radix_sort_implINS0_14default_configELb1EPK12hip_bfloat16PSL_PKlPlN2at6native12_GLOBAL__N_18offset_tEEE10hipError_tPvRmT1_PNSt15iterator_traitsISZ_E10value_typeET2_T3_PNS10_IS15_E10value_typeET4_jRbjT5_S1B_jjP12ihipStream_tbEUljE_EEESW_SX_SY_S15_S19_S1B_T6_T7_T9_mT8_S1D_bDpT10_ENKUlT_T0_E_clISt17integral_constantIbLb0EES1P_IbLb1EEEEDaS1L_S1M_EUlS1L_E_NS1_11comp_targetILNS1_3genE0ELNS1_11target_archE4294967295ELNS1_3gpuE0ELNS1_3repE0EEENS1_30default_config_static_selectorELNS0_4arch9wavefront6targetE0EEEvSZ_: ; @_ZN7rocprim17ROCPRIM_400000_NS6detail17trampoline_kernelINS0_13select_configILj256ELj13ELNS0_17block_load_methodE3ELS4_3ELS4_3ELNS0_20block_scan_algorithmE0ELj4294967295EEENS1_25partition_config_selectorILNS1_17partition_subalgoE3EjNS0_10empty_typeEbEEZZNS1_14partition_implILS8_3ELb0ES6_jNS0_17counting_iteratorIjlEEPS9_SE_NS0_5tupleIJPjSE_EEENSF_IJSE_SE_EEES9_SG_JZNS1_25segmented_radix_sort_implINS0_14default_configELb1EPK12hip_bfloat16PSL_PKlPlN2at6native12_GLOBAL__N_18offset_tEEE10hipError_tPvRmT1_PNSt15iterator_traitsISZ_E10value_typeET2_T3_PNS10_IS15_E10value_typeET4_jRbjT5_S1B_jjP12ihipStream_tbEUljE_EEESW_SX_SY_S15_S19_S1B_T6_T7_T9_mT8_S1D_bDpT10_ENKUlT_T0_E_clISt17integral_constantIbLb0EES1P_IbLb1EEEEDaS1L_S1M_EUlS1L_E_NS1_11comp_targetILNS1_3genE0ELNS1_11target_archE4294967295ELNS1_3gpuE0ELNS1_3repE0EEENS1_30default_config_static_selectorELNS0_4arch9wavefront6targetE0EEEvSZ_
; %bb.0:
	.section	.rodata,"a",@progbits
	.p2align	6, 0x0
	.amdhsa_kernel _ZN7rocprim17ROCPRIM_400000_NS6detail17trampoline_kernelINS0_13select_configILj256ELj13ELNS0_17block_load_methodE3ELS4_3ELS4_3ELNS0_20block_scan_algorithmE0ELj4294967295EEENS1_25partition_config_selectorILNS1_17partition_subalgoE3EjNS0_10empty_typeEbEEZZNS1_14partition_implILS8_3ELb0ES6_jNS0_17counting_iteratorIjlEEPS9_SE_NS0_5tupleIJPjSE_EEENSF_IJSE_SE_EEES9_SG_JZNS1_25segmented_radix_sort_implINS0_14default_configELb1EPK12hip_bfloat16PSL_PKlPlN2at6native12_GLOBAL__N_18offset_tEEE10hipError_tPvRmT1_PNSt15iterator_traitsISZ_E10value_typeET2_T3_PNS10_IS15_E10value_typeET4_jRbjT5_S1B_jjP12ihipStream_tbEUljE_EEESW_SX_SY_S15_S19_S1B_T6_T7_T9_mT8_S1D_bDpT10_ENKUlT_T0_E_clISt17integral_constantIbLb0EES1P_IbLb1EEEEDaS1L_S1M_EUlS1L_E_NS1_11comp_targetILNS1_3genE0ELNS1_11target_archE4294967295ELNS1_3gpuE0ELNS1_3repE0EEENS1_30default_config_static_selectorELNS0_4arch9wavefront6targetE0EEEvSZ_
		.amdhsa_group_segment_fixed_size 0
		.amdhsa_private_segment_fixed_size 0
		.amdhsa_kernarg_size 152
		.amdhsa_user_sgpr_count 6
		.amdhsa_user_sgpr_private_segment_buffer 1
		.amdhsa_user_sgpr_dispatch_ptr 0
		.amdhsa_user_sgpr_queue_ptr 0
		.amdhsa_user_sgpr_kernarg_segment_ptr 1
		.amdhsa_user_sgpr_dispatch_id 0
		.amdhsa_user_sgpr_flat_scratch_init 0
		.amdhsa_user_sgpr_private_segment_size 0
		.amdhsa_wavefront_size32 1
		.amdhsa_uses_dynamic_stack 0
		.amdhsa_system_sgpr_private_segment_wavefront_offset 0
		.amdhsa_system_sgpr_workgroup_id_x 1
		.amdhsa_system_sgpr_workgroup_id_y 0
		.amdhsa_system_sgpr_workgroup_id_z 0
		.amdhsa_system_sgpr_workgroup_info 0
		.amdhsa_system_vgpr_workitem_id 0
		.amdhsa_next_free_vgpr 1
		.amdhsa_next_free_sgpr 1
		.amdhsa_reserve_vcc 0
		.amdhsa_reserve_flat_scratch 0
		.amdhsa_float_round_mode_32 0
		.amdhsa_float_round_mode_16_64 0
		.amdhsa_float_denorm_mode_32 3
		.amdhsa_float_denorm_mode_16_64 3
		.amdhsa_dx10_clamp 1
		.amdhsa_ieee_mode 1
		.amdhsa_fp16_overflow 0
		.amdhsa_workgroup_processor_mode 1
		.amdhsa_memory_ordered 1
		.amdhsa_forward_progress 1
		.amdhsa_shared_vgpr_count 0
		.amdhsa_exception_fp_ieee_invalid_op 0
		.amdhsa_exception_fp_denorm_src 0
		.amdhsa_exception_fp_ieee_div_zero 0
		.amdhsa_exception_fp_ieee_overflow 0
		.amdhsa_exception_fp_ieee_underflow 0
		.amdhsa_exception_fp_ieee_inexact 0
		.amdhsa_exception_int_div_zero 0
	.end_amdhsa_kernel
	.section	.text._ZN7rocprim17ROCPRIM_400000_NS6detail17trampoline_kernelINS0_13select_configILj256ELj13ELNS0_17block_load_methodE3ELS4_3ELS4_3ELNS0_20block_scan_algorithmE0ELj4294967295EEENS1_25partition_config_selectorILNS1_17partition_subalgoE3EjNS0_10empty_typeEbEEZZNS1_14partition_implILS8_3ELb0ES6_jNS0_17counting_iteratorIjlEEPS9_SE_NS0_5tupleIJPjSE_EEENSF_IJSE_SE_EEES9_SG_JZNS1_25segmented_radix_sort_implINS0_14default_configELb1EPK12hip_bfloat16PSL_PKlPlN2at6native12_GLOBAL__N_18offset_tEEE10hipError_tPvRmT1_PNSt15iterator_traitsISZ_E10value_typeET2_T3_PNS10_IS15_E10value_typeET4_jRbjT5_S1B_jjP12ihipStream_tbEUljE_EEESW_SX_SY_S15_S19_S1B_T6_T7_T9_mT8_S1D_bDpT10_ENKUlT_T0_E_clISt17integral_constantIbLb0EES1P_IbLb1EEEEDaS1L_S1M_EUlS1L_E_NS1_11comp_targetILNS1_3genE0ELNS1_11target_archE4294967295ELNS1_3gpuE0ELNS1_3repE0EEENS1_30default_config_static_selectorELNS0_4arch9wavefront6targetE0EEEvSZ_,"axG",@progbits,_ZN7rocprim17ROCPRIM_400000_NS6detail17trampoline_kernelINS0_13select_configILj256ELj13ELNS0_17block_load_methodE3ELS4_3ELS4_3ELNS0_20block_scan_algorithmE0ELj4294967295EEENS1_25partition_config_selectorILNS1_17partition_subalgoE3EjNS0_10empty_typeEbEEZZNS1_14partition_implILS8_3ELb0ES6_jNS0_17counting_iteratorIjlEEPS9_SE_NS0_5tupleIJPjSE_EEENSF_IJSE_SE_EEES9_SG_JZNS1_25segmented_radix_sort_implINS0_14default_configELb1EPK12hip_bfloat16PSL_PKlPlN2at6native12_GLOBAL__N_18offset_tEEE10hipError_tPvRmT1_PNSt15iterator_traitsISZ_E10value_typeET2_T3_PNS10_IS15_E10value_typeET4_jRbjT5_S1B_jjP12ihipStream_tbEUljE_EEESW_SX_SY_S15_S19_S1B_T6_T7_T9_mT8_S1D_bDpT10_ENKUlT_T0_E_clISt17integral_constantIbLb0EES1P_IbLb1EEEEDaS1L_S1M_EUlS1L_E_NS1_11comp_targetILNS1_3genE0ELNS1_11target_archE4294967295ELNS1_3gpuE0ELNS1_3repE0EEENS1_30default_config_static_selectorELNS0_4arch9wavefront6targetE0EEEvSZ_,comdat
.Lfunc_end1928:
	.size	_ZN7rocprim17ROCPRIM_400000_NS6detail17trampoline_kernelINS0_13select_configILj256ELj13ELNS0_17block_load_methodE3ELS4_3ELS4_3ELNS0_20block_scan_algorithmE0ELj4294967295EEENS1_25partition_config_selectorILNS1_17partition_subalgoE3EjNS0_10empty_typeEbEEZZNS1_14partition_implILS8_3ELb0ES6_jNS0_17counting_iteratorIjlEEPS9_SE_NS0_5tupleIJPjSE_EEENSF_IJSE_SE_EEES9_SG_JZNS1_25segmented_radix_sort_implINS0_14default_configELb1EPK12hip_bfloat16PSL_PKlPlN2at6native12_GLOBAL__N_18offset_tEEE10hipError_tPvRmT1_PNSt15iterator_traitsISZ_E10value_typeET2_T3_PNS10_IS15_E10value_typeET4_jRbjT5_S1B_jjP12ihipStream_tbEUljE_EEESW_SX_SY_S15_S19_S1B_T6_T7_T9_mT8_S1D_bDpT10_ENKUlT_T0_E_clISt17integral_constantIbLb0EES1P_IbLb1EEEEDaS1L_S1M_EUlS1L_E_NS1_11comp_targetILNS1_3genE0ELNS1_11target_archE4294967295ELNS1_3gpuE0ELNS1_3repE0EEENS1_30default_config_static_selectorELNS0_4arch9wavefront6targetE0EEEvSZ_, .Lfunc_end1928-_ZN7rocprim17ROCPRIM_400000_NS6detail17trampoline_kernelINS0_13select_configILj256ELj13ELNS0_17block_load_methodE3ELS4_3ELS4_3ELNS0_20block_scan_algorithmE0ELj4294967295EEENS1_25partition_config_selectorILNS1_17partition_subalgoE3EjNS0_10empty_typeEbEEZZNS1_14partition_implILS8_3ELb0ES6_jNS0_17counting_iteratorIjlEEPS9_SE_NS0_5tupleIJPjSE_EEENSF_IJSE_SE_EEES9_SG_JZNS1_25segmented_radix_sort_implINS0_14default_configELb1EPK12hip_bfloat16PSL_PKlPlN2at6native12_GLOBAL__N_18offset_tEEE10hipError_tPvRmT1_PNSt15iterator_traitsISZ_E10value_typeET2_T3_PNS10_IS15_E10value_typeET4_jRbjT5_S1B_jjP12ihipStream_tbEUljE_EEESW_SX_SY_S15_S19_S1B_T6_T7_T9_mT8_S1D_bDpT10_ENKUlT_T0_E_clISt17integral_constantIbLb0EES1P_IbLb1EEEEDaS1L_S1M_EUlS1L_E_NS1_11comp_targetILNS1_3genE0ELNS1_11target_archE4294967295ELNS1_3gpuE0ELNS1_3repE0EEENS1_30default_config_static_selectorELNS0_4arch9wavefront6targetE0EEEvSZ_
                                        ; -- End function
	.set _ZN7rocprim17ROCPRIM_400000_NS6detail17trampoline_kernelINS0_13select_configILj256ELj13ELNS0_17block_load_methodE3ELS4_3ELS4_3ELNS0_20block_scan_algorithmE0ELj4294967295EEENS1_25partition_config_selectorILNS1_17partition_subalgoE3EjNS0_10empty_typeEbEEZZNS1_14partition_implILS8_3ELb0ES6_jNS0_17counting_iteratorIjlEEPS9_SE_NS0_5tupleIJPjSE_EEENSF_IJSE_SE_EEES9_SG_JZNS1_25segmented_radix_sort_implINS0_14default_configELb1EPK12hip_bfloat16PSL_PKlPlN2at6native12_GLOBAL__N_18offset_tEEE10hipError_tPvRmT1_PNSt15iterator_traitsISZ_E10value_typeET2_T3_PNS10_IS15_E10value_typeET4_jRbjT5_S1B_jjP12ihipStream_tbEUljE_EEESW_SX_SY_S15_S19_S1B_T6_T7_T9_mT8_S1D_bDpT10_ENKUlT_T0_E_clISt17integral_constantIbLb0EES1P_IbLb1EEEEDaS1L_S1M_EUlS1L_E_NS1_11comp_targetILNS1_3genE0ELNS1_11target_archE4294967295ELNS1_3gpuE0ELNS1_3repE0EEENS1_30default_config_static_selectorELNS0_4arch9wavefront6targetE0EEEvSZ_.num_vgpr, 0
	.set _ZN7rocprim17ROCPRIM_400000_NS6detail17trampoline_kernelINS0_13select_configILj256ELj13ELNS0_17block_load_methodE3ELS4_3ELS4_3ELNS0_20block_scan_algorithmE0ELj4294967295EEENS1_25partition_config_selectorILNS1_17partition_subalgoE3EjNS0_10empty_typeEbEEZZNS1_14partition_implILS8_3ELb0ES6_jNS0_17counting_iteratorIjlEEPS9_SE_NS0_5tupleIJPjSE_EEENSF_IJSE_SE_EEES9_SG_JZNS1_25segmented_radix_sort_implINS0_14default_configELb1EPK12hip_bfloat16PSL_PKlPlN2at6native12_GLOBAL__N_18offset_tEEE10hipError_tPvRmT1_PNSt15iterator_traitsISZ_E10value_typeET2_T3_PNS10_IS15_E10value_typeET4_jRbjT5_S1B_jjP12ihipStream_tbEUljE_EEESW_SX_SY_S15_S19_S1B_T6_T7_T9_mT8_S1D_bDpT10_ENKUlT_T0_E_clISt17integral_constantIbLb0EES1P_IbLb1EEEEDaS1L_S1M_EUlS1L_E_NS1_11comp_targetILNS1_3genE0ELNS1_11target_archE4294967295ELNS1_3gpuE0ELNS1_3repE0EEENS1_30default_config_static_selectorELNS0_4arch9wavefront6targetE0EEEvSZ_.num_agpr, 0
	.set _ZN7rocprim17ROCPRIM_400000_NS6detail17trampoline_kernelINS0_13select_configILj256ELj13ELNS0_17block_load_methodE3ELS4_3ELS4_3ELNS0_20block_scan_algorithmE0ELj4294967295EEENS1_25partition_config_selectorILNS1_17partition_subalgoE3EjNS0_10empty_typeEbEEZZNS1_14partition_implILS8_3ELb0ES6_jNS0_17counting_iteratorIjlEEPS9_SE_NS0_5tupleIJPjSE_EEENSF_IJSE_SE_EEES9_SG_JZNS1_25segmented_radix_sort_implINS0_14default_configELb1EPK12hip_bfloat16PSL_PKlPlN2at6native12_GLOBAL__N_18offset_tEEE10hipError_tPvRmT1_PNSt15iterator_traitsISZ_E10value_typeET2_T3_PNS10_IS15_E10value_typeET4_jRbjT5_S1B_jjP12ihipStream_tbEUljE_EEESW_SX_SY_S15_S19_S1B_T6_T7_T9_mT8_S1D_bDpT10_ENKUlT_T0_E_clISt17integral_constantIbLb0EES1P_IbLb1EEEEDaS1L_S1M_EUlS1L_E_NS1_11comp_targetILNS1_3genE0ELNS1_11target_archE4294967295ELNS1_3gpuE0ELNS1_3repE0EEENS1_30default_config_static_selectorELNS0_4arch9wavefront6targetE0EEEvSZ_.numbered_sgpr, 0
	.set _ZN7rocprim17ROCPRIM_400000_NS6detail17trampoline_kernelINS0_13select_configILj256ELj13ELNS0_17block_load_methodE3ELS4_3ELS4_3ELNS0_20block_scan_algorithmE0ELj4294967295EEENS1_25partition_config_selectorILNS1_17partition_subalgoE3EjNS0_10empty_typeEbEEZZNS1_14partition_implILS8_3ELb0ES6_jNS0_17counting_iteratorIjlEEPS9_SE_NS0_5tupleIJPjSE_EEENSF_IJSE_SE_EEES9_SG_JZNS1_25segmented_radix_sort_implINS0_14default_configELb1EPK12hip_bfloat16PSL_PKlPlN2at6native12_GLOBAL__N_18offset_tEEE10hipError_tPvRmT1_PNSt15iterator_traitsISZ_E10value_typeET2_T3_PNS10_IS15_E10value_typeET4_jRbjT5_S1B_jjP12ihipStream_tbEUljE_EEESW_SX_SY_S15_S19_S1B_T6_T7_T9_mT8_S1D_bDpT10_ENKUlT_T0_E_clISt17integral_constantIbLb0EES1P_IbLb1EEEEDaS1L_S1M_EUlS1L_E_NS1_11comp_targetILNS1_3genE0ELNS1_11target_archE4294967295ELNS1_3gpuE0ELNS1_3repE0EEENS1_30default_config_static_selectorELNS0_4arch9wavefront6targetE0EEEvSZ_.num_named_barrier, 0
	.set _ZN7rocprim17ROCPRIM_400000_NS6detail17trampoline_kernelINS0_13select_configILj256ELj13ELNS0_17block_load_methodE3ELS4_3ELS4_3ELNS0_20block_scan_algorithmE0ELj4294967295EEENS1_25partition_config_selectorILNS1_17partition_subalgoE3EjNS0_10empty_typeEbEEZZNS1_14partition_implILS8_3ELb0ES6_jNS0_17counting_iteratorIjlEEPS9_SE_NS0_5tupleIJPjSE_EEENSF_IJSE_SE_EEES9_SG_JZNS1_25segmented_radix_sort_implINS0_14default_configELb1EPK12hip_bfloat16PSL_PKlPlN2at6native12_GLOBAL__N_18offset_tEEE10hipError_tPvRmT1_PNSt15iterator_traitsISZ_E10value_typeET2_T3_PNS10_IS15_E10value_typeET4_jRbjT5_S1B_jjP12ihipStream_tbEUljE_EEESW_SX_SY_S15_S19_S1B_T6_T7_T9_mT8_S1D_bDpT10_ENKUlT_T0_E_clISt17integral_constantIbLb0EES1P_IbLb1EEEEDaS1L_S1M_EUlS1L_E_NS1_11comp_targetILNS1_3genE0ELNS1_11target_archE4294967295ELNS1_3gpuE0ELNS1_3repE0EEENS1_30default_config_static_selectorELNS0_4arch9wavefront6targetE0EEEvSZ_.private_seg_size, 0
	.set _ZN7rocprim17ROCPRIM_400000_NS6detail17trampoline_kernelINS0_13select_configILj256ELj13ELNS0_17block_load_methodE3ELS4_3ELS4_3ELNS0_20block_scan_algorithmE0ELj4294967295EEENS1_25partition_config_selectorILNS1_17partition_subalgoE3EjNS0_10empty_typeEbEEZZNS1_14partition_implILS8_3ELb0ES6_jNS0_17counting_iteratorIjlEEPS9_SE_NS0_5tupleIJPjSE_EEENSF_IJSE_SE_EEES9_SG_JZNS1_25segmented_radix_sort_implINS0_14default_configELb1EPK12hip_bfloat16PSL_PKlPlN2at6native12_GLOBAL__N_18offset_tEEE10hipError_tPvRmT1_PNSt15iterator_traitsISZ_E10value_typeET2_T3_PNS10_IS15_E10value_typeET4_jRbjT5_S1B_jjP12ihipStream_tbEUljE_EEESW_SX_SY_S15_S19_S1B_T6_T7_T9_mT8_S1D_bDpT10_ENKUlT_T0_E_clISt17integral_constantIbLb0EES1P_IbLb1EEEEDaS1L_S1M_EUlS1L_E_NS1_11comp_targetILNS1_3genE0ELNS1_11target_archE4294967295ELNS1_3gpuE0ELNS1_3repE0EEENS1_30default_config_static_selectorELNS0_4arch9wavefront6targetE0EEEvSZ_.uses_vcc, 0
	.set _ZN7rocprim17ROCPRIM_400000_NS6detail17trampoline_kernelINS0_13select_configILj256ELj13ELNS0_17block_load_methodE3ELS4_3ELS4_3ELNS0_20block_scan_algorithmE0ELj4294967295EEENS1_25partition_config_selectorILNS1_17partition_subalgoE3EjNS0_10empty_typeEbEEZZNS1_14partition_implILS8_3ELb0ES6_jNS0_17counting_iteratorIjlEEPS9_SE_NS0_5tupleIJPjSE_EEENSF_IJSE_SE_EEES9_SG_JZNS1_25segmented_radix_sort_implINS0_14default_configELb1EPK12hip_bfloat16PSL_PKlPlN2at6native12_GLOBAL__N_18offset_tEEE10hipError_tPvRmT1_PNSt15iterator_traitsISZ_E10value_typeET2_T3_PNS10_IS15_E10value_typeET4_jRbjT5_S1B_jjP12ihipStream_tbEUljE_EEESW_SX_SY_S15_S19_S1B_T6_T7_T9_mT8_S1D_bDpT10_ENKUlT_T0_E_clISt17integral_constantIbLb0EES1P_IbLb1EEEEDaS1L_S1M_EUlS1L_E_NS1_11comp_targetILNS1_3genE0ELNS1_11target_archE4294967295ELNS1_3gpuE0ELNS1_3repE0EEENS1_30default_config_static_selectorELNS0_4arch9wavefront6targetE0EEEvSZ_.uses_flat_scratch, 0
	.set _ZN7rocprim17ROCPRIM_400000_NS6detail17trampoline_kernelINS0_13select_configILj256ELj13ELNS0_17block_load_methodE3ELS4_3ELS4_3ELNS0_20block_scan_algorithmE0ELj4294967295EEENS1_25partition_config_selectorILNS1_17partition_subalgoE3EjNS0_10empty_typeEbEEZZNS1_14partition_implILS8_3ELb0ES6_jNS0_17counting_iteratorIjlEEPS9_SE_NS0_5tupleIJPjSE_EEENSF_IJSE_SE_EEES9_SG_JZNS1_25segmented_radix_sort_implINS0_14default_configELb1EPK12hip_bfloat16PSL_PKlPlN2at6native12_GLOBAL__N_18offset_tEEE10hipError_tPvRmT1_PNSt15iterator_traitsISZ_E10value_typeET2_T3_PNS10_IS15_E10value_typeET4_jRbjT5_S1B_jjP12ihipStream_tbEUljE_EEESW_SX_SY_S15_S19_S1B_T6_T7_T9_mT8_S1D_bDpT10_ENKUlT_T0_E_clISt17integral_constantIbLb0EES1P_IbLb1EEEEDaS1L_S1M_EUlS1L_E_NS1_11comp_targetILNS1_3genE0ELNS1_11target_archE4294967295ELNS1_3gpuE0ELNS1_3repE0EEENS1_30default_config_static_selectorELNS0_4arch9wavefront6targetE0EEEvSZ_.has_dyn_sized_stack, 0
	.set _ZN7rocprim17ROCPRIM_400000_NS6detail17trampoline_kernelINS0_13select_configILj256ELj13ELNS0_17block_load_methodE3ELS4_3ELS4_3ELNS0_20block_scan_algorithmE0ELj4294967295EEENS1_25partition_config_selectorILNS1_17partition_subalgoE3EjNS0_10empty_typeEbEEZZNS1_14partition_implILS8_3ELb0ES6_jNS0_17counting_iteratorIjlEEPS9_SE_NS0_5tupleIJPjSE_EEENSF_IJSE_SE_EEES9_SG_JZNS1_25segmented_radix_sort_implINS0_14default_configELb1EPK12hip_bfloat16PSL_PKlPlN2at6native12_GLOBAL__N_18offset_tEEE10hipError_tPvRmT1_PNSt15iterator_traitsISZ_E10value_typeET2_T3_PNS10_IS15_E10value_typeET4_jRbjT5_S1B_jjP12ihipStream_tbEUljE_EEESW_SX_SY_S15_S19_S1B_T6_T7_T9_mT8_S1D_bDpT10_ENKUlT_T0_E_clISt17integral_constantIbLb0EES1P_IbLb1EEEEDaS1L_S1M_EUlS1L_E_NS1_11comp_targetILNS1_3genE0ELNS1_11target_archE4294967295ELNS1_3gpuE0ELNS1_3repE0EEENS1_30default_config_static_selectorELNS0_4arch9wavefront6targetE0EEEvSZ_.has_recursion, 0
	.set _ZN7rocprim17ROCPRIM_400000_NS6detail17trampoline_kernelINS0_13select_configILj256ELj13ELNS0_17block_load_methodE3ELS4_3ELS4_3ELNS0_20block_scan_algorithmE0ELj4294967295EEENS1_25partition_config_selectorILNS1_17partition_subalgoE3EjNS0_10empty_typeEbEEZZNS1_14partition_implILS8_3ELb0ES6_jNS0_17counting_iteratorIjlEEPS9_SE_NS0_5tupleIJPjSE_EEENSF_IJSE_SE_EEES9_SG_JZNS1_25segmented_radix_sort_implINS0_14default_configELb1EPK12hip_bfloat16PSL_PKlPlN2at6native12_GLOBAL__N_18offset_tEEE10hipError_tPvRmT1_PNSt15iterator_traitsISZ_E10value_typeET2_T3_PNS10_IS15_E10value_typeET4_jRbjT5_S1B_jjP12ihipStream_tbEUljE_EEESW_SX_SY_S15_S19_S1B_T6_T7_T9_mT8_S1D_bDpT10_ENKUlT_T0_E_clISt17integral_constantIbLb0EES1P_IbLb1EEEEDaS1L_S1M_EUlS1L_E_NS1_11comp_targetILNS1_3genE0ELNS1_11target_archE4294967295ELNS1_3gpuE0ELNS1_3repE0EEENS1_30default_config_static_selectorELNS0_4arch9wavefront6targetE0EEEvSZ_.has_indirect_call, 0
	.section	.AMDGPU.csdata,"",@progbits
; Kernel info:
; codeLenInByte = 0
; TotalNumSgprs: 0
; NumVgprs: 0
; ScratchSize: 0
; MemoryBound: 0
; FloatMode: 240
; IeeeMode: 1
; LDSByteSize: 0 bytes/workgroup (compile time only)
; SGPRBlocks: 0
; VGPRBlocks: 0
; NumSGPRsForWavesPerEU: 1
; NumVGPRsForWavesPerEU: 1
; Occupancy: 16
; WaveLimiterHint : 0
; COMPUTE_PGM_RSRC2:SCRATCH_EN: 0
; COMPUTE_PGM_RSRC2:USER_SGPR: 6
; COMPUTE_PGM_RSRC2:TRAP_HANDLER: 0
; COMPUTE_PGM_RSRC2:TGID_X_EN: 1
; COMPUTE_PGM_RSRC2:TGID_Y_EN: 0
; COMPUTE_PGM_RSRC2:TGID_Z_EN: 0
; COMPUTE_PGM_RSRC2:TIDIG_COMP_CNT: 0
	.section	.text._ZN7rocprim17ROCPRIM_400000_NS6detail17trampoline_kernelINS0_13select_configILj256ELj13ELNS0_17block_load_methodE3ELS4_3ELS4_3ELNS0_20block_scan_algorithmE0ELj4294967295EEENS1_25partition_config_selectorILNS1_17partition_subalgoE3EjNS0_10empty_typeEbEEZZNS1_14partition_implILS8_3ELb0ES6_jNS0_17counting_iteratorIjlEEPS9_SE_NS0_5tupleIJPjSE_EEENSF_IJSE_SE_EEES9_SG_JZNS1_25segmented_radix_sort_implINS0_14default_configELb1EPK12hip_bfloat16PSL_PKlPlN2at6native12_GLOBAL__N_18offset_tEEE10hipError_tPvRmT1_PNSt15iterator_traitsISZ_E10value_typeET2_T3_PNS10_IS15_E10value_typeET4_jRbjT5_S1B_jjP12ihipStream_tbEUljE_EEESW_SX_SY_S15_S19_S1B_T6_T7_T9_mT8_S1D_bDpT10_ENKUlT_T0_E_clISt17integral_constantIbLb0EES1P_IbLb1EEEEDaS1L_S1M_EUlS1L_E_NS1_11comp_targetILNS1_3genE5ELNS1_11target_archE942ELNS1_3gpuE9ELNS1_3repE0EEENS1_30default_config_static_selectorELNS0_4arch9wavefront6targetE0EEEvSZ_,"axG",@progbits,_ZN7rocprim17ROCPRIM_400000_NS6detail17trampoline_kernelINS0_13select_configILj256ELj13ELNS0_17block_load_methodE3ELS4_3ELS4_3ELNS0_20block_scan_algorithmE0ELj4294967295EEENS1_25partition_config_selectorILNS1_17partition_subalgoE3EjNS0_10empty_typeEbEEZZNS1_14partition_implILS8_3ELb0ES6_jNS0_17counting_iteratorIjlEEPS9_SE_NS0_5tupleIJPjSE_EEENSF_IJSE_SE_EEES9_SG_JZNS1_25segmented_radix_sort_implINS0_14default_configELb1EPK12hip_bfloat16PSL_PKlPlN2at6native12_GLOBAL__N_18offset_tEEE10hipError_tPvRmT1_PNSt15iterator_traitsISZ_E10value_typeET2_T3_PNS10_IS15_E10value_typeET4_jRbjT5_S1B_jjP12ihipStream_tbEUljE_EEESW_SX_SY_S15_S19_S1B_T6_T7_T9_mT8_S1D_bDpT10_ENKUlT_T0_E_clISt17integral_constantIbLb0EES1P_IbLb1EEEEDaS1L_S1M_EUlS1L_E_NS1_11comp_targetILNS1_3genE5ELNS1_11target_archE942ELNS1_3gpuE9ELNS1_3repE0EEENS1_30default_config_static_selectorELNS0_4arch9wavefront6targetE0EEEvSZ_,comdat
	.globl	_ZN7rocprim17ROCPRIM_400000_NS6detail17trampoline_kernelINS0_13select_configILj256ELj13ELNS0_17block_load_methodE3ELS4_3ELS4_3ELNS0_20block_scan_algorithmE0ELj4294967295EEENS1_25partition_config_selectorILNS1_17partition_subalgoE3EjNS0_10empty_typeEbEEZZNS1_14partition_implILS8_3ELb0ES6_jNS0_17counting_iteratorIjlEEPS9_SE_NS0_5tupleIJPjSE_EEENSF_IJSE_SE_EEES9_SG_JZNS1_25segmented_radix_sort_implINS0_14default_configELb1EPK12hip_bfloat16PSL_PKlPlN2at6native12_GLOBAL__N_18offset_tEEE10hipError_tPvRmT1_PNSt15iterator_traitsISZ_E10value_typeET2_T3_PNS10_IS15_E10value_typeET4_jRbjT5_S1B_jjP12ihipStream_tbEUljE_EEESW_SX_SY_S15_S19_S1B_T6_T7_T9_mT8_S1D_bDpT10_ENKUlT_T0_E_clISt17integral_constantIbLb0EES1P_IbLb1EEEEDaS1L_S1M_EUlS1L_E_NS1_11comp_targetILNS1_3genE5ELNS1_11target_archE942ELNS1_3gpuE9ELNS1_3repE0EEENS1_30default_config_static_selectorELNS0_4arch9wavefront6targetE0EEEvSZ_ ; -- Begin function _ZN7rocprim17ROCPRIM_400000_NS6detail17trampoline_kernelINS0_13select_configILj256ELj13ELNS0_17block_load_methodE3ELS4_3ELS4_3ELNS0_20block_scan_algorithmE0ELj4294967295EEENS1_25partition_config_selectorILNS1_17partition_subalgoE3EjNS0_10empty_typeEbEEZZNS1_14partition_implILS8_3ELb0ES6_jNS0_17counting_iteratorIjlEEPS9_SE_NS0_5tupleIJPjSE_EEENSF_IJSE_SE_EEES9_SG_JZNS1_25segmented_radix_sort_implINS0_14default_configELb1EPK12hip_bfloat16PSL_PKlPlN2at6native12_GLOBAL__N_18offset_tEEE10hipError_tPvRmT1_PNSt15iterator_traitsISZ_E10value_typeET2_T3_PNS10_IS15_E10value_typeET4_jRbjT5_S1B_jjP12ihipStream_tbEUljE_EEESW_SX_SY_S15_S19_S1B_T6_T7_T9_mT8_S1D_bDpT10_ENKUlT_T0_E_clISt17integral_constantIbLb0EES1P_IbLb1EEEEDaS1L_S1M_EUlS1L_E_NS1_11comp_targetILNS1_3genE5ELNS1_11target_archE942ELNS1_3gpuE9ELNS1_3repE0EEENS1_30default_config_static_selectorELNS0_4arch9wavefront6targetE0EEEvSZ_
	.p2align	8
	.type	_ZN7rocprim17ROCPRIM_400000_NS6detail17trampoline_kernelINS0_13select_configILj256ELj13ELNS0_17block_load_methodE3ELS4_3ELS4_3ELNS0_20block_scan_algorithmE0ELj4294967295EEENS1_25partition_config_selectorILNS1_17partition_subalgoE3EjNS0_10empty_typeEbEEZZNS1_14partition_implILS8_3ELb0ES6_jNS0_17counting_iteratorIjlEEPS9_SE_NS0_5tupleIJPjSE_EEENSF_IJSE_SE_EEES9_SG_JZNS1_25segmented_radix_sort_implINS0_14default_configELb1EPK12hip_bfloat16PSL_PKlPlN2at6native12_GLOBAL__N_18offset_tEEE10hipError_tPvRmT1_PNSt15iterator_traitsISZ_E10value_typeET2_T3_PNS10_IS15_E10value_typeET4_jRbjT5_S1B_jjP12ihipStream_tbEUljE_EEESW_SX_SY_S15_S19_S1B_T6_T7_T9_mT8_S1D_bDpT10_ENKUlT_T0_E_clISt17integral_constantIbLb0EES1P_IbLb1EEEEDaS1L_S1M_EUlS1L_E_NS1_11comp_targetILNS1_3genE5ELNS1_11target_archE942ELNS1_3gpuE9ELNS1_3repE0EEENS1_30default_config_static_selectorELNS0_4arch9wavefront6targetE0EEEvSZ_,@function
_ZN7rocprim17ROCPRIM_400000_NS6detail17trampoline_kernelINS0_13select_configILj256ELj13ELNS0_17block_load_methodE3ELS4_3ELS4_3ELNS0_20block_scan_algorithmE0ELj4294967295EEENS1_25partition_config_selectorILNS1_17partition_subalgoE3EjNS0_10empty_typeEbEEZZNS1_14partition_implILS8_3ELb0ES6_jNS0_17counting_iteratorIjlEEPS9_SE_NS0_5tupleIJPjSE_EEENSF_IJSE_SE_EEES9_SG_JZNS1_25segmented_radix_sort_implINS0_14default_configELb1EPK12hip_bfloat16PSL_PKlPlN2at6native12_GLOBAL__N_18offset_tEEE10hipError_tPvRmT1_PNSt15iterator_traitsISZ_E10value_typeET2_T3_PNS10_IS15_E10value_typeET4_jRbjT5_S1B_jjP12ihipStream_tbEUljE_EEESW_SX_SY_S15_S19_S1B_T6_T7_T9_mT8_S1D_bDpT10_ENKUlT_T0_E_clISt17integral_constantIbLb0EES1P_IbLb1EEEEDaS1L_S1M_EUlS1L_E_NS1_11comp_targetILNS1_3genE5ELNS1_11target_archE942ELNS1_3gpuE9ELNS1_3repE0EEENS1_30default_config_static_selectorELNS0_4arch9wavefront6targetE0EEEvSZ_: ; @_ZN7rocprim17ROCPRIM_400000_NS6detail17trampoline_kernelINS0_13select_configILj256ELj13ELNS0_17block_load_methodE3ELS4_3ELS4_3ELNS0_20block_scan_algorithmE0ELj4294967295EEENS1_25partition_config_selectorILNS1_17partition_subalgoE3EjNS0_10empty_typeEbEEZZNS1_14partition_implILS8_3ELb0ES6_jNS0_17counting_iteratorIjlEEPS9_SE_NS0_5tupleIJPjSE_EEENSF_IJSE_SE_EEES9_SG_JZNS1_25segmented_radix_sort_implINS0_14default_configELb1EPK12hip_bfloat16PSL_PKlPlN2at6native12_GLOBAL__N_18offset_tEEE10hipError_tPvRmT1_PNSt15iterator_traitsISZ_E10value_typeET2_T3_PNS10_IS15_E10value_typeET4_jRbjT5_S1B_jjP12ihipStream_tbEUljE_EEESW_SX_SY_S15_S19_S1B_T6_T7_T9_mT8_S1D_bDpT10_ENKUlT_T0_E_clISt17integral_constantIbLb0EES1P_IbLb1EEEEDaS1L_S1M_EUlS1L_E_NS1_11comp_targetILNS1_3genE5ELNS1_11target_archE942ELNS1_3gpuE9ELNS1_3repE0EEENS1_30default_config_static_selectorELNS0_4arch9wavefront6targetE0EEEvSZ_
; %bb.0:
	.section	.rodata,"a",@progbits
	.p2align	6, 0x0
	.amdhsa_kernel _ZN7rocprim17ROCPRIM_400000_NS6detail17trampoline_kernelINS0_13select_configILj256ELj13ELNS0_17block_load_methodE3ELS4_3ELS4_3ELNS0_20block_scan_algorithmE0ELj4294967295EEENS1_25partition_config_selectorILNS1_17partition_subalgoE3EjNS0_10empty_typeEbEEZZNS1_14partition_implILS8_3ELb0ES6_jNS0_17counting_iteratorIjlEEPS9_SE_NS0_5tupleIJPjSE_EEENSF_IJSE_SE_EEES9_SG_JZNS1_25segmented_radix_sort_implINS0_14default_configELb1EPK12hip_bfloat16PSL_PKlPlN2at6native12_GLOBAL__N_18offset_tEEE10hipError_tPvRmT1_PNSt15iterator_traitsISZ_E10value_typeET2_T3_PNS10_IS15_E10value_typeET4_jRbjT5_S1B_jjP12ihipStream_tbEUljE_EEESW_SX_SY_S15_S19_S1B_T6_T7_T9_mT8_S1D_bDpT10_ENKUlT_T0_E_clISt17integral_constantIbLb0EES1P_IbLb1EEEEDaS1L_S1M_EUlS1L_E_NS1_11comp_targetILNS1_3genE5ELNS1_11target_archE942ELNS1_3gpuE9ELNS1_3repE0EEENS1_30default_config_static_selectorELNS0_4arch9wavefront6targetE0EEEvSZ_
		.amdhsa_group_segment_fixed_size 0
		.amdhsa_private_segment_fixed_size 0
		.amdhsa_kernarg_size 152
		.amdhsa_user_sgpr_count 6
		.amdhsa_user_sgpr_private_segment_buffer 1
		.amdhsa_user_sgpr_dispatch_ptr 0
		.amdhsa_user_sgpr_queue_ptr 0
		.amdhsa_user_sgpr_kernarg_segment_ptr 1
		.amdhsa_user_sgpr_dispatch_id 0
		.amdhsa_user_sgpr_flat_scratch_init 0
		.amdhsa_user_sgpr_private_segment_size 0
		.amdhsa_wavefront_size32 1
		.amdhsa_uses_dynamic_stack 0
		.amdhsa_system_sgpr_private_segment_wavefront_offset 0
		.amdhsa_system_sgpr_workgroup_id_x 1
		.amdhsa_system_sgpr_workgroup_id_y 0
		.amdhsa_system_sgpr_workgroup_id_z 0
		.amdhsa_system_sgpr_workgroup_info 0
		.amdhsa_system_vgpr_workitem_id 0
		.amdhsa_next_free_vgpr 1
		.amdhsa_next_free_sgpr 1
		.amdhsa_reserve_vcc 0
		.amdhsa_reserve_flat_scratch 0
		.amdhsa_float_round_mode_32 0
		.amdhsa_float_round_mode_16_64 0
		.amdhsa_float_denorm_mode_32 3
		.amdhsa_float_denorm_mode_16_64 3
		.amdhsa_dx10_clamp 1
		.amdhsa_ieee_mode 1
		.amdhsa_fp16_overflow 0
		.amdhsa_workgroup_processor_mode 1
		.amdhsa_memory_ordered 1
		.amdhsa_forward_progress 1
		.amdhsa_shared_vgpr_count 0
		.amdhsa_exception_fp_ieee_invalid_op 0
		.amdhsa_exception_fp_denorm_src 0
		.amdhsa_exception_fp_ieee_div_zero 0
		.amdhsa_exception_fp_ieee_overflow 0
		.amdhsa_exception_fp_ieee_underflow 0
		.amdhsa_exception_fp_ieee_inexact 0
		.amdhsa_exception_int_div_zero 0
	.end_amdhsa_kernel
	.section	.text._ZN7rocprim17ROCPRIM_400000_NS6detail17trampoline_kernelINS0_13select_configILj256ELj13ELNS0_17block_load_methodE3ELS4_3ELS4_3ELNS0_20block_scan_algorithmE0ELj4294967295EEENS1_25partition_config_selectorILNS1_17partition_subalgoE3EjNS0_10empty_typeEbEEZZNS1_14partition_implILS8_3ELb0ES6_jNS0_17counting_iteratorIjlEEPS9_SE_NS0_5tupleIJPjSE_EEENSF_IJSE_SE_EEES9_SG_JZNS1_25segmented_radix_sort_implINS0_14default_configELb1EPK12hip_bfloat16PSL_PKlPlN2at6native12_GLOBAL__N_18offset_tEEE10hipError_tPvRmT1_PNSt15iterator_traitsISZ_E10value_typeET2_T3_PNS10_IS15_E10value_typeET4_jRbjT5_S1B_jjP12ihipStream_tbEUljE_EEESW_SX_SY_S15_S19_S1B_T6_T7_T9_mT8_S1D_bDpT10_ENKUlT_T0_E_clISt17integral_constantIbLb0EES1P_IbLb1EEEEDaS1L_S1M_EUlS1L_E_NS1_11comp_targetILNS1_3genE5ELNS1_11target_archE942ELNS1_3gpuE9ELNS1_3repE0EEENS1_30default_config_static_selectorELNS0_4arch9wavefront6targetE0EEEvSZ_,"axG",@progbits,_ZN7rocprim17ROCPRIM_400000_NS6detail17trampoline_kernelINS0_13select_configILj256ELj13ELNS0_17block_load_methodE3ELS4_3ELS4_3ELNS0_20block_scan_algorithmE0ELj4294967295EEENS1_25partition_config_selectorILNS1_17partition_subalgoE3EjNS0_10empty_typeEbEEZZNS1_14partition_implILS8_3ELb0ES6_jNS0_17counting_iteratorIjlEEPS9_SE_NS0_5tupleIJPjSE_EEENSF_IJSE_SE_EEES9_SG_JZNS1_25segmented_radix_sort_implINS0_14default_configELb1EPK12hip_bfloat16PSL_PKlPlN2at6native12_GLOBAL__N_18offset_tEEE10hipError_tPvRmT1_PNSt15iterator_traitsISZ_E10value_typeET2_T3_PNS10_IS15_E10value_typeET4_jRbjT5_S1B_jjP12ihipStream_tbEUljE_EEESW_SX_SY_S15_S19_S1B_T6_T7_T9_mT8_S1D_bDpT10_ENKUlT_T0_E_clISt17integral_constantIbLb0EES1P_IbLb1EEEEDaS1L_S1M_EUlS1L_E_NS1_11comp_targetILNS1_3genE5ELNS1_11target_archE942ELNS1_3gpuE9ELNS1_3repE0EEENS1_30default_config_static_selectorELNS0_4arch9wavefront6targetE0EEEvSZ_,comdat
.Lfunc_end1929:
	.size	_ZN7rocprim17ROCPRIM_400000_NS6detail17trampoline_kernelINS0_13select_configILj256ELj13ELNS0_17block_load_methodE3ELS4_3ELS4_3ELNS0_20block_scan_algorithmE0ELj4294967295EEENS1_25partition_config_selectorILNS1_17partition_subalgoE3EjNS0_10empty_typeEbEEZZNS1_14partition_implILS8_3ELb0ES6_jNS0_17counting_iteratorIjlEEPS9_SE_NS0_5tupleIJPjSE_EEENSF_IJSE_SE_EEES9_SG_JZNS1_25segmented_radix_sort_implINS0_14default_configELb1EPK12hip_bfloat16PSL_PKlPlN2at6native12_GLOBAL__N_18offset_tEEE10hipError_tPvRmT1_PNSt15iterator_traitsISZ_E10value_typeET2_T3_PNS10_IS15_E10value_typeET4_jRbjT5_S1B_jjP12ihipStream_tbEUljE_EEESW_SX_SY_S15_S19_S1B_T6_T7_T9_mT8_S1D_bDpT10_ENKUlT_T0_E_clISt17integral_constantIbLb0EES1P_IbLb1EEEEDaS1L_S1M_EUlS1L_E_NS1_11comp_targetILNS1_3genE5ELNS1_11target_archE942ELNS1_3gpuE9ELNS1_3repE0EEENS1_30default_config_static_selectorELNS0_4arch9wavefront6targetE0EEEvSZ_, .Lfunc_end1929-_ZN7rocprim17ROCPRIM_400000_NS6detail17trampoline_kernelINS0_13select_configILj256ELj13ELNS0_17block_load_methodE3ELS4_3ELS4_3ELNS0_20block_scan_algorithmE0ELj4294967295EEENS1_25partition_config_selectorILNS1_17partition_subalgoE3EjNS0_10empty_typeEbEEZZNS1_14partition_implILS8_3ELb0ES6_jNS0_17counting_iteratorIjlEEPS9_SE_NS0_5tupleIJPjSE_EEENSF_IJSE_SE_EEES9_SG_JZNS1_25segmented_radix_sort_implINS0_14default_configELb1EPK12hip_bfloat16PSL_PKlPlN2at6native12_GLOBAL__N_18offset_tEEE10hipError_tPvRmT1_PNSt15iterator_traitsISZ_E10value_typeET2_T3_PNS10_IS15_E10value_typeET4_jRbjT5_S1B_jjP12ihipStream_tbEUljE_EEESW_SX_SY_S15_S19_S1B_T6_T7_T9_mT8_S1D_bDpT10_ENKUlT_T0_E_clISt17integral_constantIbLb0EES1P_IbLb1EEEEDaS1L_S1M_EUlS1L_E_NS1_11comp_targetILNS1_3genE5ELNS1_11target_archE942ELNS1_3gpuE9ELNS1_3repE0EEENS1_30default_config_static_selectorELNS0_4arch9wavefront6targetE0EEEvSZ_
                                        ; -- End function
	.set _ZN7rocprim17ROCPRIM_400000_NS6detail17trampoline_kernelINS0_13select_configILj256ELj13ELNS0_17block_load_methodE3ELS4_3ELS4_3ELNS0_20block_scan_algorithmE0ELj4294967295EEENS1_25partition_config_selectorILNS1_17partition_subalgoE3EjNS0_10empty_typeEbEEZZNS1_14partition_implILS8_3ELb0ES6_jNS0_17counting_iteratorIjlEEPS9_SE_NS0_5tupleIJPjSE_EEENSF_IJSE_SE_EEES9_SG_JZNS1_25segmented_radix_sort_implINS0_14default_configELb1EPK12hip_bfloat16PSL_PKlPlN2at6native12_GLOBAL__N_18offset_tEEE10hipError_tPvRmT1_PNSt15iterator_traitsISZ_E10value_typeET2_T3_PNS10_IS15_E10value_typeET4_jRbjT5_S1B_jjP12ihipStream_tbEUljE_EEESW_SX_SY_S15_S19_S1B_T6_T7_T9_mT8_S1D_bDpT10_ENKUlT_T0_E_clISt17integral_constantIbLb0EES1P_IbLb1EEEEDaS1L_S1M_EUlS1L_E_NS1_11comp_targetILNS1_3genE5ELNS1_11target_archE942ELNS1_3gpuE9ELNS1_3repE0EEENS1_30default_config_static_selectorELNS0_4arch9wavefront6targetE0EEEvSZ_.num_vgpr, 0
	.set _ZN7rocprim17ROCPRIM_400000_NS6detail17trampoline_kernelINS0_13select_configILj256ELj13ELNS0_17block_load_methodE3ELS4_3ELS4_3ELNS0_20block_scan_algorithmE0ELj4294967295EEENS1_25partition_config_selectorILNS1_17partition_subalgoE3EjNS0_10empty_typeEbEEZZNS1_14partition_implILS8_3ELb0ES6_jNS0_17counting_iteratorIjlEEPS9_SE_NS0_5tupleIJPjSE_EEENSF_IJSE_SE_EEES9_SG_JZNS1_25segmented_radix_sort_implINS0_14default_configELb1EPK12hip_bfloat16PSL_PKlPlN2at6native12_GLOBAL__N_18offset_tEEE10hipError_tPvRmT1_PNSt15iterator_traitsISZ_E10value_typeET2_T3_PNS10_IS15_E10value_typeET4_jRbjT5_S1B_jjP12ihipStream_tbEUljE_EEESW_SX_SY_S15_S19_S1B_T6_T7_T9_mT8_S1D_bDpT10_ENKUlT_T0_E_clISt17integral_constantIbLb0EES1P_IbLb1EEEEDaS1L_S1M_EUlS1L_E_NS1_11comp_targetILNS1_3genE5ELNS1_11target_archE942ELNS1_3gpuE9ELNS1_3repE0EEENS1_30default_config_static_selectorELNS0_4arch9wavefront6targetE0EEEvSZ_.num_agpr, 0
	.set _ZN7rocprim17ROCPRIM_400000_NS6detail17trampoline_kernelINS0_13select_configILj256ELj13ELNS0_17block_load_methodE3ELS4_3ELS4_3ELNS0_20block_scan_algorithmE0ELj4294967295EEENS1_25partition_config_selectorILNS1_17partition_subalgoE3EjNS0_10empty_typeEbEEZZNS1_14partition_implILS8_3ELb0ES6_jNS0_17counting_iteratorIjlEEPS9_SE_NS0_5tupleIJPjSE_EEENSF_IJSE_SE_EEES9_SG_JZNS1_25segmented_radix_sort_implINS0_14default_configELb1EPK12hip_bfloat16PSL_PKlPlN2at6native12_GLOBAL__N_18offset_tEEE10hipError_tPvRmT1_PNSt15iterator_traitsISZ_E10value_typeET2_T3_PNS10_IS15_E10value_typeET4_jRbjT5_S1B_jjP12ihipStream_tbEUljE_EEESW_SX_SY_S15_S19_S1B_T6_T7_T9_mT8_S1D_bDpT10_ENKUlT_T0_E_clISt17integral_constantIbLb0EES1P_IbLb1EEEEDaS1L_S1M_EUlS1L_E_NS1_11comp_targetILNS1_3genE5ELNS1_11target_archE942ELNS1_3gpuE9ELNS1_3repE0EEENS1_30default_config_static_selectorELNS0_4arch9wavefront6targetE0EEEvSZ_.numbered_sgpr, 0
	.set _ZN7rocprim17ROCPRIM_400000_NS6detail17trampoline_kernelINS0_13select_configILj256ELj13ELNS0_17block_load_methodE3ELS4_3ELS4_3ELNS0_20block_scan_algorithmE0ELj4294967295EEENS1_25partition_config_selectorILNS1_17partition_subalgoE3EjNS0_10empty_typeEbEEZZNS1_14partition_implILS8_3ELb0ES6_jNS0_17counting_iteratorIjlEEPS9_SE_NS0_5tupleIJPjSE_EEENSF_IJSE_SE_EEES9_SG_JZNS1_25segmented_radix_sort_implINS0_14default_configELb1EPK12hip_bfloat16PSL_PKlPlN2at6native12_GLOBAL__N_18offset_tEEE10hipError_tPvRmT1_PNSt15iterator_traitsISZ_E10value_typeET2_T3_PNS10_IS15_E10value_typeET4_jRbjT5_S1B_jjP12ihipStream_tbEUljE_EEESW_SX_SY_S15_S19_S1B_T6_T7_T9_mT8_S1D_bDpT10_ENKUlT_T0_E_clISt17integral_constantIbLb0EES1P_IbLb1EEEEDaS1L_S1M_EUlS1L_E_NS1_11comp_targetILNS1_3genE5ELNS1_11target_archE942ELNS1_3gpuE9ELNS1_3repE0EEENS1_30default_config_static_selectorELNS0_4arch9wavefront6targetE0EEEvSZ_.num_named_barrier, 0
	.set _ZN7rocprim17ROCPRIM_400000_NS6detail17trampoline_kernelINS0_13select_configILj256ELj13ELNS0_17block_load_methodE3ELS4_3ELS4_3ELNS0_20block_scan_algorithmE0ELj4294967295EEENS1_25partition_config_selectorILNS1_17partition_subalgoE3EjNS0_10empty_typeEbEEZZNS1_14partition_implILS8_3ELb0ES6_jNS0_17counting_iteratorIjlEEPS9_SE_NS0_5tupleIJPjSE_EEENSF_IJSE_SE_EEES9_SG_JZNS1_25segmented_radix_sort_implINS0_14default_configELb1EPK12hip_bfloat16PSL_PKlPlN2at6native12_GLOBAL__N_18offset_tEEE10hipError_tPvRmT1_PNSt15iterator_traitsISZ_E10value_typeET2_T3_PNS10_IS15_E10value_typeET4_jRbjT5_S1B_jjP12ihipStream_tbEUljE_EEESW_SX_SY_S15_S19_S1B_T6_T7_T9_mT8_S1D_bDpT10_ENKUlT_T0_E_clISt17integral_constantIbLb0EES1P_IbLb1EEEEDaS1L_S1M_EUlS1L_E_NS1_11comp_targetILNS1_3genE5ELNS1_11target_archE942ELNS1_3gpuE9ELNS1_3repE0EEENS1_30default_config_static_selectorELNS0_4arch9wavefront6targetE0EEEvSZ_.private_seg_size, 0
	.set _ZN7rocprim17ROCPRIM_400000_NS6detail17trampoline_kernelINS0_13select_configILj256ELj13ELNS0_17block_load_methodE3ELS4_3ELS4_3ELNS0_20block_scan_algorithmE0ELj4294967295EEENS1_25partition_config_selectorILNS1_17partition_subalgoE3EjNS0_10empty_typeEbEEZZNS1_14partition_implILS8_3ELb0ES6_jNS0_17counting_iteratorIjlEEPS9_SE_NS0_5tupleIJPjSE_EEENSF_IJSE_SE_EEES9_SG_JZNS1_25segmented_radix_sort_implINS0_14default_configELb1EPK12hip_bfloat16PSL_PKlPlN2at6native12_GLOBAL__N_18offset_tEEE10hipError_tPvRmT1_PNSt15iterator_traitsISZ_E10value_typeET2_T3_PNS10_IS15_E10value_typeET4_jRbjT5_S1B_jjP12ihipStream_tbEUljE_EEESW_SX_SY_S15_S19_S1B_T6_T7_T9_mT8_S1D_bDpT10_ENKUlT_T0_E_clISt17integral_constantIbLb0EES1P_IbLb1EEEEDaS1L_S1M_EUlS1L_E_NS1_11comp_targetILNS1_3genE5ELNS1_11target_archE942ELNS1_3gpuE9ELNS1_3repE0EEENS1_30default_config_static_selectorELNS0_4arch9wavefront6targetE0EEEvSZ_.uses_vcc, 0
	.set _ZN7rocprim17ROCPRIM_400000_NS6detail17trampoline_kernelINS0_13select_configILj256ELj13ELNS0_17block_load_methodE3ELS4_3ELS4_3ELNS0_20block_scan_algorithmE0ELj4294967295EEENS1_25partition_config_selectorILNS1_17partition_subalgoE3EjNS0_10empty_typeEbEEZZNS1_14partition_implILS8_3ELb0ES6_jNS0_17counting_iteratorIjlEEPS9_SE_NS0_5tupleIJPjSE_EEENSF_IJSE_SE_EEES9_SG_JZNS1_25segmented_radix_sort_implINS0_14default_configELb1EPK12hip_bfloat16PSL_PKlPlN2at6native12_GLOBAL__N_18offset_tEEE10hipError_tPvRmT1_PNSt15iterator_traitsISZ_E10value_typeET2_T3_PNS10_IS15_E10value_typeET4_jRbjT5_S1B_jjP12ihipStream_tbEUljE_EEESW_SX_SY_S15_S19_S1B_T6_T7_T9_mT8_S1D_bDpT10_ENKUlT_T0_E_clISt17integral_constantIbLb0EES1P_IbLb1EEEEDaS1L_S1M_EUlS1L_E_NS1_11comp_targetILNS1_3genE5ELNS1_11target_archE942ELNS1_3gpuE9ELNS1_3repE0EEENS1_30default_config_static_selectorELNS0_4arch9wavefront6targetE0EEEvSZ_.uses_flat_scratch, 0
	.set _ZN7rocprim17ROCPRIM_400000_NS6detail17trampoline_kernelINS0_13select_configILj256ELj13ELNS0_17block_load_methodE3ELS4_3ELS4_3ELNS0_20block_scan_algorithmE0ELj4294967295EEENS1_25partition_config_selectorILNS1_17partition_subalgoE3EjNS0_10empty_typeEbEEZZNS1_14partition_implILS8_3ELb0ES6_jNS0_17counting_iteratorIjlEEPS9_SE_NS0_5tupleIJPjSE_EEENSF_IJSE_SE_EEES9_SG_JZNS1_25segmented_radix_sort_implINS0_14default_configELb1EPK12hip_bfloat16PSL_PKlPlN2at6native12_GLOBAL__N_18offset_tEEE10hipError_tPvRmT1_PNSt15iterator_traitsISZ_E10value_typeET2_T3_PNS10_IS15_E10value_typeET4_jRbjT5_S1B_jjP12ihipStream_tbEUljE_EEESW_SX_SY_S15_S19_S1B_T6_T7_T9_mT8_S1D_bDpT10_ENKUlT_T0_E_clISt17integral_constantIbLb0EES1P_IbLb1EEEEDaS1L_S1M_EUlS1L_E_NS1_11comp_targetILNS1_3genE5ELNS1_11target_archE942ELNS1_3gpuE9ELNS1_3repE0EEENS1_30default_config_static_selectorELNS0_4arch9wavefront6targetE0EEEvSZ_.has_dyn_sized_stack, 0
	.set _ZN7rocprim17ROCPRIM_400000_NS6detail17trampoline_kernelINS0_13select_configILj256ELj13ELNS0_17block_load_methodE3ELS4_3ELS4_3ELNS0_20block_scan_algorithmE0ELj4294967295EEENS1_25partition_config_selectorILNS1_17partition_subalgoE3EjNS0_10empty_typeEbEEZZNS1_14partition_implILS8_3ELb0ES6_jNS0_17counting_iteratorIjlEEPS9_SE_NS0_5tupleIJPjSE_EEENSF_IJSE_SE_EEES9_SG_JZNS1_25segmented_radix_sort_implINS0_14default_configELb1EPK12hip_bfloat16PSL_PKlPlN2at6native12_GLOBAL__N_18offset_tEEE10hipError_tPvRmT1_PNSt15iterator_traitsISZ_E10value_typeET2_T3_PNS10_IS15_E10value_typeET4_jRbjT5_S1B_jjP12ihipStream_tbEUljE_EEESW_SX_SY_S15_S19_S1B_T6_T7_T9_mT8_S1D_bDpT10_ENKUlT_T0_E_clISt17integral_constantIbLb0EES1P_IbLb1EEEEDaS1L_S1M_EUlS1L_E_NS1_11comp_targetILNS1_3genE5ELNS1_11target_archE942ELNS1_3gpuE9ELNS1_3repE0EEENS1_30default_config_static_selectorELNS0_4arch9wavefront6targetE0EEEvSZ_.has_recursion, 0
	.set _ZN7rocprim17ROCPRIM_400000_NS6detail17trampoline_kernelINS0_13select_configILj256ELj13ELNS0_17block_load_methodE3ELS4_3ELS4_3ELNS0_20block_scan_algorithmE0ELj4294967295EEENS1_25partition_config_selectorILNS1_17partition_subalgoE3EjNS0_10empty_typeEbEEZZNS1_14partition_implILS8_3ELb0ES6_jNS0_17counting_iteratorIjlEEPS9_SE_NS0_5tupleIJPjSE_EEENSF_IJSE_SE_EEES9_SG_JZNS1_25segmented_radix_sort_implINS0_14default_configELb1EPK12hip_bfloat16PSL_PKlPlN2at6native12_GLOBAL__N_18offset_tEEE10hipError_tPvRmT1_PNSt15iterator_traitsISZ_E10value_typeET2_T3_PNS10_IS15_E10value_typeET4_jRbjT5_S1B_jjP12ihipStream_tbEUljE_EEESW_SX_SY_S15_S19_S1B_T6_T7_T9_mT8_S1D_bDpT10_ENKUlT_T0_E_clISt17integral_constantIbLb0EES1P_IbLb1EEEEDaS1L_S1M_EUlS1L_E_NS1_11comp_targetILNS1_3genE5ELNS1_11target_archE942ELNS1_3gpuE9ELNS1_3repE0EEENS1_30default_config_static_selectorELNS0_4arch9wavefront6targetE0EEEvSZ_.has_indirect_call, 0
	.section	.AMDGPU.csdata,"",@progbits
; Kernel info:
; codeLenInByte = 0
; TotalNumSgprs: 0
; NumVgprs: 0
; ScratchSize: 0
; MemoryBound: 0
; FloatMode: 240
; IeeeMode: 1
; LDSByteSize: 0 bytes/workgroup (compile time only)
; SGPRBlocks: 0
; VGPRBlocks: 0
; NumSGPRsForWavesPerEU: 1
; NumVGPRsForWavesPerEU: 1
; Occupancy: 16
; WaveLimiterHint : 0
; COMPUTE_PGM_RSRC2:SCRATCH_EN: 0
; COMPUTE_PGM_RSRC2:USER_SGPR: 6
; COMPUTE_PGM_RSRC2:TRAP_HANDLER: 0
; COMPUTE_PGM_RSRC2:TGID_X_EN: 1
; COMPUTE_PGM_RSRC2:TGID_Y_EN: 0
; COMPUTE_PGM_RSRC2:TGID_Z_EN: 0
; COMPUTE_PGM_RSRC2:TIDIG_COMP_CNT: 0
	.section	.text._ZN7rocprim17ROCPRIM_400000_NS6detail17trampoline_kernelINS0_13select_configILj256ELj13ELNS0_17block_load_methodE3ELS4_3ELS4_3ELNS0_20block_scan_algorithmE0ELj4294967295EEENS1_25partition_config_selectorILNS1_17partition_subalgoE3EjNS0_10empty_typeEbEEZZNS1_14partition_implILS8_3ELb0ES6_jNS0_17counting_iteratorIjlEEPS9_SE_NS0_5tupleIJPjSE_EEENSF_IJSE_SE_EEES9_SG_JZNS1_25segmented_radix_sort_implINS0_14default_configELb1EPK12hip_bfloat16PSL_PKlPlN2at6native12_GLOBAL__N_18offset_tEEE10hipError_tPvRmT1_PNSt15iterator_traitsISZ_E10value_typeET2_T3_PNS10_IS15_E10value_typeET4_jRbjT5_S1B_jjP12ihipStream_tbEUljE_EEESW_SX_SY_S15_S19_S1B_T6_T7_T9_mT8_S1D_bDpT10_ENKUlT_T0_E_clISt17integral_constantIbLb0EES1P_IbLb1EEEEDaS1L_S1M_EUlS1L_E_NS1_11comp_targetILNS1_3genE4ELNS1_11target_archE910ELNS1_3gpuE8ELNS1_3repE0EEENS1_30default_config_static_selectorELNS0_4arch9wavefront6targetE0EEEvSZ_,"axG",@progbits,_ZN7rocprim17ROCPRIM_400000_NS6detail17trampoline_kernelINS0_13select_configILj256ELj13ELNS0_17block_load_methodE3ELS4_3ELS4_3ELNS0_20block_scan_algorithmE0ELj4294967295EEENS1_25partition_config_selectorILNS1_17partition_subalgoE3EjNS0_10empty_typeEbEEZZNS1_14partition_implILS8_3ELb0ES6_jNS0_17counting_iteratorIjlEEPS9_SE_NS0_5tupleIJPjSE_EEENSF_IJSE_SE_EEES9_SG_JZNS1_25segmented_radix_sort_implINS0_14default_configELb1EPK12hip_bfloat16PSL_PKlPlN2at6native12_GLOBAL__N_18offset_tEEE10hipError_tPvRmT1_PNSt15iterator_traitsISZ_E10value_typeET2_T3_PNS10_IS15_E10value_typeET4_jRbjT5_S1B_jjP12ihipStream_tbEUljE_EEESW_SX_SY_S15_S19_S1B_T6_T7_T9_mT8_S1D_bDpT10_ENKUlT_T0_E_clISt17integral_constantIbLb0EES1P_IbLb1EEEEDaS1L_S1M_EUlS1L_E_NS1_11comp_targetILNS1_3genE4ELNS1_11target_archE910ELNS1_3gpuE8ELNS1_3repE0EEENS1_30default_config_static_selectorELNS0_4arch9wavefront6targetE0EEEvSZ_,comdat
	.globl	_ZN7rocprim17ROCPRIM_400000_NS6detail17trampoline_kernelINS0_13select_configILj256ELj13ELNS0_17block_load_methodE3ELS4_3ELS4_3ELNS0_20block_scan_algorithmE0ELj4294967295EEENS1_25partition_config_selectorILNS1_17partition_subalgoE3EjNS0_10empty_typeEbEEZZNS1_14partition_implILS8_3ELb0ES6_jNS0_17counting_iteratorIjlEEPS9_SE_NS0_5tupleIJPjSE_EEENSF_IJSE_SE_EEES9_SG_JZNS1_25segmented_radix_sort_implINS0_14default_configELb1EPK12hip_bfloat16PSL_PKlPlN2at6native12_GLOBAL__N_18offset_tEEE10hipError_tPvRmT1_PNSt15iterator_traitsISZ_E10value_typeET2_T3_PNS10_IS15_E10value_typeET4_jRbjT5_S1B_jjP12ihipStream_tbEUljE_EEESW_SX_SY_S15_S19_S1B_T6_T7_T9_mT8_S1D_bDpT10_ENKUlT_T0_E_clISt17integral_constantIbLb0EES1P_IbLb1EEEEDaS1L_S1M_EUlS1L_E_NS1_11comp_targetILNS1_3genE4ELNS1_11target_archE910ELNS1_3gpuE8ELNS1_3repE0EEENS1_30default_config_static_selectorELNS0_4arch9wavefront6targetE0EEEvSZ_ ; -- Begin function _ZN7rocprim17ROCPRIM_400000_NS6detail17trampoline_kernelINS0_13select_configILj256ELj13ELNS0_17block_load_methodE3ELS4_3ELS4_3ELNS0_20block_scan_algorithmE0ELj4294967295EEENS1_25partition_config_selectorILNS1_17partition_subalgoE3EjNS0_10empty_typeEbEEZZNS1_14partition_implILS8_3ELb0ES6_jNS0_17counting_iteratorIjlEEPS9_SE_NS0_5tupleIJPjSE_EEENSF_IJSE_SE_EEES9_SG_JZNS1_25segmented_radix_sort_implINS0_14default_configELb1EPK12hip_bfloat16PSL_PKlPlN2at6native12_GLOBAL__N_18offset_tEEE10hipError_tPvRmT1_PNSt15iterator_traitsISZ_E10value_typeET2_T3_PNS10_IS15_E10value_typeET4_jRbjT5_S1B_jjP12ihipStream_tbEUljE_EEESW_SX_SY_S15_S19_S1B_T6_T7_T9_mT8_S1D_bDpT10_ENKUlT_T0_E_clISt17integral_constantIbLb0EES1P_IbLb1EEEEDaS1L_S1M_EUlS1L_E_NS1_11comp_targetILNS1_3genE4ELNS1_11target_archE910ELNS1_3gpuE8ELNS1_3repE0EEENS1_30default_config_static_selectorELNS0_4arch9wavefront6targetE0EEEvSZ_
	.p2align	8
	.type	_ZN7rocprim17ROCPRIM_400000_NS6detail17trampoline_kernelINS0_13select_configILj256ELj13ELNS0_17block_load_methodE3ELS4_3ELS4_3ELNS0_20block_scan_algorithmE0ELj4294967295EEENS1_25partition_config_selectorILNS1_17partition_subalgoE3EjNS0_10empty_typeEbEEZZNS1_14partition_implILS8_3ELb0ES6_jNS0_17counting_iteratorIjlEEPS9_SE_NS0_5tupleIJPjSE_EEENSF_IJSE_SE_EEES9_SG_JZNS1_25segmented_radix_sort_implINS0_14default_configELb1EPK12hip_bfloat16PSL_PKlPlN2at6native12_GLOBAL__N_18offset_tEEE10hipError_tPvRmT1_PNSt15iterator_traitsISZ_E10value_typeET2_T3_PNS10_IS15_E10value_typeET4_jRbjT5_S1B_jjP12ihipStream_tbEUljE_EEESW_SX_SY_S15_S19_S1B_T6_T7_T9_mT8_S1D_bDpT10_ENKUlT_T0_E_clISt17integral_constantIbLb0EES1P_IbLb1EEEEDaS1L_S1M_EUlS1L_E_NS1_11comp_targetILNS1_3genE4ELNS1_11target_archE910ELNS1_3gpuE8ELNS1_3repE0EEENS1_30default_config_static_selectorELNS0_4arch9wavefront6targetE0EEEvSZ_,@function
_ZN7rocprim17ROCPRIM_400000_NS6detail17trampoline_kernelINS0_13select_configILj256ELj13ELNS0_17block_load_methodE3ELS4_3ELS4_3ELNS0_20block_scan_algorithmE0ELj4294967295EEENS1_25partition_config_selectorILNS1_17partition_subalgoE3EjNS0_10empty_typeEbEEZZNS1_14partition_implILS8_3ELb0ES6_jNS0_17counting_iteratorIjlEEPS9_SE_NS0_5tupleIJPjSE_EEENSF_IJSE_SE_EEES9_SG_JZNS1_25segmented_radix_sort_implINS0_14default_configELb1EPK12hip_bfloat16PSL_PKlPlN2at6native12_GLOBAL__N_18offset_tEEE10hipError_tPvRmT1_PNSt15iterator_traitsISZ_E10value_typeET2_T3_PNS10_IS15_E10value_typeET4_jRbjT5_S1B_jjP12ihipStream_tbEUljE_EEESW_SX_SY_S15_S19_S1B_T6_T7_T9_mT8_S1D_bDpT10_ENKUlT_T0_E_clISt17integral_constantIbLb0EES1P_IbLb1EEEEDaS1L_S1M_EUlS1L_E_NS1_11comp_targetILNS1_3genE4ELNS1_11target_archE910ELNS1_3gpuE8ELNS1_3repE0EEENS1_30default_config_static_selectorELNS0_4arch9wavefront6targetE0EEEvSZ_: ; @_ZN7rocprim17ROCPRIM_400000_NS6detail17trampoline_kernelINS0_13select_configILj256ELj13ELNS0_17block_load_methodE3ELS4_3ELS4_3ELNS0_20block_scan_algorithmE0ELj4294967295EEENS1_25partition_config_selectorILNS1_17partition_subalgoE3EjNS0_10empty_typeEbEEZZNS1_14partition_implILS8_3ELb0ES6_jNS0_17counting_iteratorIjlEEPS9_SE_NS0_5tupleIJPjSE_EEENSF_IJSE_SE_EEES9_SG_JZNS1_25segmented_radix_sort_implINS0_14default_configELb1EPK12hip_bfloat16PSL_PKlPlN2at6native12_GLOBAL__N_18offset_tEEE10hipError_tPvRmT1_PNSt15iterator_traitsISZ_E10value_typeET2_T3_PNS10_IS15_E10value_typeET4_jRbjT5_S1B_jjP12ihipStream_tbEUljE_EEESW_SX_SY_S15_S19_S1B_T6_T7_T9_mT8_S1D_bDpT10_ENKUlT_T0_E_clISt17integral_constantIbLb0EES1P_IbLb1EEEEDaS1L_S1M_EUlS1L_E_NS1_11comp_targetILNS1_3genE4ELNS1_11target_archE910ELNS1_3gpuE8ELNS1_3repE0EEENS1_30default_config_static_selectorELNS0_4arch9wavefront6targetE0EEEvSZ_
; %bb.0:
	.section	.rodata,"a",@progbits
	.p2align	6, 0x0
	.amdhsa_kernel _ZN7rocprim17ROCPRIM_400000_NS6detail17trampoline_kernelINS0_13select_configILj256ELj13ELNS0_17block_load_methodE3ELS4_3ELS4_3ELNS0_20block_scan_algorithmE0ELj4294967295EEENS1_25partition_config_selectorILNS1_17partition_subalgoE3EjNS0_10empty_typeEbEEZZNS1_14partition_implILS8_3ELb0ES6_jNS0_17counting_iteratorIjlEEPS9_SE_NS0_5tupleIJPjSE_EEENSF_IJSE_SE_EEES9_SG_JZNS1_25segmented_radix_sort_implINS0_14default_configELb1EPK12hip_bfloat16PSL_PKlPlN2at6native12_GLOBAL__N_18offset_tEEE10hipError_tPvRmT1_PNSt15iterator_traitsISZ_E10value_typeET2_T3_PNS10_IS15_E10value_typeET4_jRbjT5_S1B_jjP12ihipStream_tbEUljE_EEESW_SX_SY_S15_S19_S1B_T6_T7_T9_mT8_S1D_bDpT10_ENKUlT_T0_E_clISt17integral_constantIbLb0EES1P_IbLb1EEEEDaS1L_S1M_EUlS1L_E_NS1_11comp_targetILNS1_3genE4ELNS1_11target_archE910ELNS1_3gpuE8ELNS1_3repE0EEENS1_30default_config_static_selectorELNS0_4arch9wavefront6targetE0EEEvSZ_
		.amdhsa_group_segment_fixed_size 0
		.amdhsa_private_segment_fixed_size 0
		.amdhsa_kernarg_size 152
		.amdhsa_user_sgpr_count 6
		.amdhsa_user_sgpr_private_segment_buffer 1
		.amdhsa_user_sgpr_dispatch_ptr 0
		.amdhsa_user_sgpr_queue_ptr 0
		.amdhsa_user_sgpr_kernarg_segment_ptr 1
		.amdhsa_user_sgpr_dispatch_id 0
		.amdhsa_user_sgpr_flat_scratch_init 0
		.amdhsa_user_sgpr_private_segment_size 0
		.amdhsa_wavefront_size32 1
		.amdhsa_uses_dynamic_stack 0
		.amdhsa_system_sgpr_private_segment_wavefront_offset 0
		.amdhsa_system_sgpr_workgroup_id_x 1
		.amdhsa_system_sgpr_workgroup_id_y 0
		.amdhsa_system_sgpr_workgroup_id_z 0
		.amdhsa_system_sgpr_workgroup_info 0
		.amdhsa_system_vgpr_workitem_id 0
		.amdhsa_next_free_vgpr 1
		.amdhsa_next_free_sgpr 1
		.amdhsa_reserve_vcc 0
		.amdhsa_reserve_flat_scratch 0
		.amdhsa_float_round_mode_32 0
		.amdhsa_float_round_mode_16_64 0
		.amdhsa_float_denorm_mode_32 3
		.amdhsa_float_denorm_mode_16_64 3
		.amdhsa_dx10_clamp 1
		.amdhsa_ieee_mode 1
		.amdhsa_fp16_overflow 0
		.amdhsa_workgroup_processor_mode 1
		.amdhsa_memory_ordered 1
		.amdhsa_forward_progress 1
		.amdhsa_shared_vgpr_count 0
		.amdhsa_exception_fp_ieee_invalid_op 0
		.amdhsa_exception_fp_denorm_src 0
		.amdhsa_exception_fp_ieee_div_zero 0
		.amdhsa_exception_fp_ieee_overflow 0
		.amdhsa_exception_fp_ieee_underflow 0
		.amdhsa_exception_fp_ieee_inexact 0
		.amdhsa_exception_int_div_zero 0
	.end_amdhsa_kernel
	.section	.text._ZN7rocprim17ROCPRIM_400000_NS6detail17trampoline_kernelINS0_13select_configILj256ELj13ELNS0_17block_load_methodE3ELS4_3ELS4_3ELNS0_20block_scan_algorithmE0ELj4294967295EEENS1_25partition_config_selectorILNS1_17partition_subalgoE3EjNS0_10empty_typeEbEEZZNS1_14partition_implILS8_3ELb0ES6_jNS0_17counting_iteratorIjlEEPS9_SE_NS0_5tupleIJPjSE_EEENSF_IJSE_SE_EEES9_SG_JZNS1_25segmented_radix_sort_implINS0_14default_configELb1EPK12hip_bfloat16PSL_PKlPlN2at6native12_GLOBAL__N_18offset_tEEE10hipError_tPvRmT1_PNSt15iterator_traitsISZ_E10value_typeET2_T3_PNS10_IS15_E10value_typeET4_jRbjT5_S1B_jjP12ihipStream_tbEUljE_EEESW_SX_SY_S15_S19_S1B_T6_T7_T9_mT8_S1D_bDpT10_ENKUlT_T0_E_clISt17integral_constantIbLb0EES1P_IbLb1EEEEDaS1L_S1M_EUlS1L_E_NS1_11comp_targetILNS1_3genE4ELNS1_11target_archE910ELNS1_3gpuE8ELNS1_3repE0EEENS1_30default_config_static_selectorELNS0_4arch9wavefront6targetE0EEEvSZ_,"axG",@progbits,_ZN7rocprim17ROCPRIM_400000_NS6detail17trampoline_kernelINS0_13select_configILj256ELj13ELNS0_17block_load_methodE3ELS4_3ELS4_3ELNS0_20block_scan_algorithmE0ELj4294967295EEENS1_25partition_config_selectorILNS1_17partition_subalgoE3EjNS0_10empty_typeEbEEZZNS1_14partition_implILS8_3ELb0ES6_jNS0_17counting_iteratorIjlEEPS9_SE_NS0_5tupleIJPjSE_EEENSF_IJSE_SE_EEES9_SG_JZNS1_25segmented_radix_sort_implINS0_14default_configELb1EPK12hip_bfloat16PSL_PKlPlN2at6native12_GLOBAL__N_18offset_tEEE10hipError_tPvRmT1_PNSt15iterator_traitsISZ_E10value_typeET2_T3_PNS10_IS15_E10value_typeET4_jRbjT5_S1B_jjP12ihipStream_tbEUljE_EEESW_SX_SY_S15_S19_S1B_T6_T7_T9_mT8_S1D_bDpT10_ENKUlT_T0_E_clISt17integral_constantIbLb0EES1P_IbLb1EEEEDaS1L_S1M_EUlS1L_E_NS1_11comp_targetILNS1_3genE4ELNS1_11target_archE910ELNS1_3gpuE8ELNS1_3repE0EEENS1_30default_config_static_selectorELNS0_4arch9wavefront6targetE0EEEvSZ_,comdat
.Lfunc_end1930:
	.size	_ZN7rocprim17ROCPRIM_400000_NS6detail17trampoline_kernelINS0_13select_configILj256ELj13ELNS0_17block_load_methodE3ELS4_3ELS4_3ELNS0_20block_scan_algorithmE0ELj4294967295EEENS1_25partition_config_selectorILNS1_17partition_subalgoE3EjNS0_10empty_typeEbEEZZNS1_14partition_implILS8_3ELb0ES6_jNS0_17counting_iteratorIjlEEPS9_SE_NS0_5tupleIJPjSE_EEENSF_IJSE_SE_EEES9_SG_JZNS1_25segmented_radix_sort_implINS0_14default_configELb1EPK12hip_bfloat16PSL_PKlPlN2at6native12_GLOBAL__N_18offset_tEEE10hipError_tPvRmT1_PNSt15iterator_traitsISZ_E10value_typeET2_T3_PNS10_IS15_E10value_typeET4_jRbjT5_S1B_jjP12ihipStream_tbEUljE_EEESW_SX_SY_S15_S19_S1B_T6_T7_T9_mT8_S1D_bDpT10_ENKUlT_T0_E_clISt17integral_constantIbLb0EES1P_IbLb1EEEEDaS1L_S1M_EUlS1L_E_NS1_11comp_targetILNS1_3genE4ELNS1_11target_archE910ELNS1_3gpuE8ELNS1_3repE0EEENS1_30default_config_static_selectorELNS0_4arch9wavefront6targetE0EEEvSZ_, .Lfunc_end1930-_ZN7rocprim17ROCPRIM_400000_NS6detail17trampoline_kernelINS0_13select_configILj256ELj13ELNS0_17block_load_methodE3ELS4_3ELS4_3ELNS0_20block_scan_algorithmE0ELj4294967295EEENS1_25partition_config_selectorILNS1_17partition_subalgoE3EjNS0_10empty_typeEbEEZZNS1_14partition_implILS8_3ELb0ES6_jNS0_17counting_iteratorIjlEEPS9_SE_NS0_5tupleIJPjSE_EEENSF_IJSE_SE_EEES9_SG_JZNS1_25segmented_radix_sort_implINS0_14default_configELb1EPK12hip_bfloat16PSL_PKlPlN2at6native12_GLOBAL__N_18offset_tEEE10hipError_tPvRmT1_PNSt15iterator_traitsISZ_E10value_typeET2_T3_PNS10_IS15_E10value_typeET4_jRbjT5_S1B_jjP12ihipStream_tbEUljE_EEESW_SX_SY_S15_S19_S1B_T6_T7_T9_mT8_S1D_bDpT10_ENKUlT_T0_E_clISt17integral_constantIbLb0EES1P_IbLb1EEEEDaS1L_S1M_EUlS1L_E_NS1_11comp_targetILNS1_3genE4ELNS1_11target_archE910ELNS1_3gpuE8ELNS1_3repE0EEENS1_30default_config_static_selectorELNS0_4arch9wavefront6targetE0EEEvSZ_
                                        ; -- End function
	.set _ZN7rocprim17ROCPRIM_400000_NS6detail17trampoline_kernelINS0_13select_configILj256ELj13ELNS0_17block_load_methodE3ELS4_3ELS4_3ELNS0_20block_scan_algorithmE0ELj4294967295EEENS1_25partition_config_selectorILNS1_17partition_subalgoE3EjNS0_10empty_typeEbEEZZNS1_14partition_implILS8_3ELb0ES6_jNS0_17counting_iteratorIjlEEPS9_SE_NS0_5tupleIJPjSE_EEENSF_IJSE_SE_EEES9_SG_JZNS1_25segmented_radix_sort_implINS0_14default_configELb1EPK12hip_bfloat16PSL_PKlPlN2at6native12_GLOBAL__N_18offset_tEEE10hipError_tPvRmT1_PNSt15iterator_traitsISZ_E10value_typeET2_T3_PNS10_IS15_E10value_typeET4_jRbjT5_S1B_jjP12ihipStream_tbEUljE_EEESW_SX_SY_S15_S19_S1B_T6_T7_T9_mT8_S1D_bDpT10_ENKUlT_T0_E_clISt17integral_constantIbLb0EES1P_IbLb1EEEEDaS1L_S1M_EUlS1L_E_NS1_11comp_targetILNS1_3genE4ELNS1_11target_archE910ELNS1_3gpuE8ELNS1_3repE0EEENS1_30default_config_static_selectorELNS0_4arch9wavefront6targetE0EEEvSZ_.num_vgpr, 0
	.set _ZN7rocprim17ROCPRIM_400000_NS6detail17trampoline_kernelINS0_13select_configILj256ELj13ELNS0_17block_load_methodE3ELS4_3ELS4_3ELNS0_20block_scan_algorithmE0ELj4294967295EEENS1_25partition_config_selectorILNS1_17partition_subalgoE3EjNS0_10empty_typeEbEEZZNS1_14partition_implILS8_3ELb0ES6_jNS0_17counting_iteratorIjlEEPS9_SE_NS0_5tupleIJPjSE_EEENSF_IJSE_SE_EEES9_SG_JZNS1_25segmented_radix_sort_implINS0_14default_configELb1EPK12hip_bfloat16PSL_PKlPlN2at6native12_GLOBAL__N_18offset_tEEE10hipError_tPvRmT1_PNSt15iterator_traitsISZ_E10value_typeET2_T3_PNS10_IS15_E10value_typeET4_jRbjT5_S1B_jjP12ihipStream_tbEUljE_EEESW_SX_SY_S15_S19_S1B_T6_T7_T9_mT8_S1D_bDpT10_ENKUlT_T0_E_clISt17integral_constantIbLb0EES1P_IbLb1EEEEDaS1L_S1M_EUlS1L_E_NS1_11comp_targetILNS1_3genE4ELNS1_11target_archE910ELNS1_3gpuE8ELNS1_3repE0EEENS1_30default_config_static_selectorELNS0_4arch9wavefront6targetE0EEEvSZ_.num_agpr, 0
	.set _ZN7rocprim17ROCPRIM_400000_NS6detail17trampoline_kernelINS0_13select_configILj256ELj13ELNS0_17block_load_methodE3ELS4_3ELS4_3ELNS0_20block_scan_algorithmE0ELj4294967295EEENS1_25partition_config_selectorILNS1_17partition_subalgoE3EjNS0_10empty_typeEbEEZZNS1_14partition_implILS8_3ELb0ES6_jNS0_17counting_iteratorIjlEEPS9_SE_NS0_5tupleIJPjSE_EEENSF_IJSE_SE_EEES9_SG_JZNS1_25segmented_radix_sort_implINS0_14default_configELb1EPK12hip_bfloat16PSL_PKlPlN2at6native12_GLOBAL__N_18offset_tEEE10hipError_tPvRmT1_PNSt15iterator_traitsISZ_E10value_typeET2_T3_PNS10_IS15_E10value_typeET4_jRbjT5_S1B_jjP12ihipStream_tbEUljE_EEESW_SX_SY_S15_S19_S1B_T6_T7_T9_mT8_S1D_bDpT10_ENKUlT_T0_E_clISt17integral_constantIbLb0EES1P_IbLb1EEEEDaS1L_S1M_EUlS1L_E_NS1_11comp_targetILNS1_3genE4ELNS1_11target_archE910ELNS1_3gpuE8ELNS1_3repE0EEENS1_30default_config_static_selectorELNS0_4arch9wavefront6targetE0EEEvSZ_.numbered_sgpr, 0
	.set _ZN7rocprim17ROCPRIM_400000_NS6detail17trampoline_kernelINS0_13select_configILj256ELj13ELNS0_17block_load_methodE3ELS4_3ELS4_3ELNS0_20block_scan_algorithmE0ELj4294967295EEENS1_25partition_config_selectorILNS1_17partition_subalgoE3EjNS0_10empty_typeEbEEZZNS1_14partition_implILS8_3ELb0ES6_jNS0_17counting_iteratorIjlEEPS9_SE_NS0_5tupleIJPjSE_EEENSF_IJSE_SE_EEES9_SG_JZNS1_25segmented_radix_sort_implINS0_14default_configELb1EPK12hip_bfloat16PSL_PKlPlN2at6native12_GLOBAL__N_18offset_tEEE10hipError_tPvRmT1_PNSt15iterator_traitsISZ_E10value_typeET2_T3_PNS10_IS15_E10value_typeET4_jRbjT5_S1B_jjP12ihipStream_tbEUljE_EEESW_SX_SY_S15_S19_S1B_T6_T7_T9_mT8_S1D_bDpT10_ENKUlT_T0_E_clISt17integral_constantIbLb0EES1P_IbLb1EEEEDaS1L_S1M_EUlS1L_E_NS1_11comp_targetILNS1_3genE4ELNS1_11target_archE910ELNS1_3gpuE8ELNS1_3repE0EEENS1_30default_config_static_selectorELNS0_4arch9wavefront6targetE0EEEvSZ_.num_named_barrier, 0
	.set _ZN7rocprim17ROCPRIM_400000_NS6detail17trampoline_kernelINS0_13select_configILj256ELj13ELNS0_17block_load_methodE3ELS4_3ELS4_3ELNS0_20block_scan_algorithmE0ELj4294967295EEENS1_25partition_config_selectorILNS1_17partition_subalgoE3EjNS0_10empty_typeEbEEZZNS1_14partition_implILS8_3ELb0ES6_jNS0_17counting_iteratorIjlEEPS9_SE_NS0_5tupleIJPjSE_EEENSF_IJSE_SE_EEES9_SG_JZNS1_25segmented_radix_sort_implINS0_14default_configELb1EPK12hip_bfloat16PSL_PKlPlN2at6native12_GLOBAL__N_18offset_tEEE10hipError_tPvRmT1_PNSt15iterator_traitsISZ_E10value_typeET2_T3_PNS10_IS15_E10value_typeET4_jRbjT5_S1B_jjP12ihipStream_tbEUljE_EEESW_SX_SY_S15_S19_S1B_T6_T7_T9_mT8_S1D_bDpT10_ENKUlT_T0_E_clISt17integral_constantIbLb0EES1P_IbLb1EEEEDaS1L_S1M_EUlS1L_E_NS1_11comp_targetILNS1_3genE4ELNS1_11target_archE910ELNS1_3gpuE8ELNS1_3repE0EEENS1_30default_config_static_selectorELNS0_4arch9wavefront6targetE0EEEvSZ_.private_seg_size, 0
	.set _ZN7rocprim17ROCPRIM_400000_NS6detail17trampoline_kernelINS0_13select_configILj256ELj13ELNS0_17block_load_methodE3ELS4_3ELS4_3ELNS0_20block_scan_algorithmE0ELj4294967295EEENS1_25partition_config_selectorILNS1_17partition_subalgoE3EjNS0_10empty_typeEbEEZZNS1_14partition_implILS8_3ELb0ES6_jNS0_17counting_iteratorIjlEEPS9_SE_NS0_5tupleIJPjSE_EEENSF_IJSE_SE_EEES9_SG_JZNS1_25segmented_radix_sort_implINS0_14default_configELb1EPK12hip_bfloat16PSL_PKlPlN2at6native12_GLOBAL__N_18offset_tEEE10hipError_tPvRmT1_PNSt15iterator_traitsISZ_E10value_typeET2_T3_PNS10_IS15_E10value_typeET4_jRbjT5_S1B_jjP12ihipStream_tbEUljE_EEESW_SX_SY_S15_S19_S1B_T6_T7_T9_mT8_S1D_bDpT10_ENKUlT_T0_E_clISt17integral_constantIbLb0EES1P_IbLb1EEEEDaS1L_S1M_EUlS1L_E_NS1_11comp_targetILNS1_3genE4ELNS1_11target_archE910ELNS1_3gpuE8ELNS1_3repE0EEENS1_30default_config_static_selectorELNS0_4arch9wavefront6targetE0EEEvSZ_.uses_vcc, 0
	.set _ZN7rocprim17ROCPRIM_400000_NS6detail17trampoline_kernelINS0_13select_configILj256ELj13ELNS0_17block_load_methodE3ELS4_3ELS4_3ELNS0_20block_scan_algorithmE0ELj4294967295EEENS1_25partition_config_selectorILNS1_17partition_subalgoE3EjNS0_10empty_typeEbEEZZNS1_14partition_implILS8_3ELb0ES6_jNS0_17counting_iteratorIjlEEPS9_SE_NS0_5tupleIJPjSE_EEENSF_IJSE_SE_EEES9_SG_JZNS1_25segmented_radix_sort_implINS0_14default_configELb1EPK12hip_bfloat16PSL_PKlPlN2at6native12_GLOBAL__N_18offset_tEEE10hipError_tPvRmT1_PNSt15iterator_traitsISZ_E10value_typeET2_T3_PNS10_IS15_E10value_typeET4_jRbjT5_S1B_jjP12ihipStream_tbEUljE_EEESW_SX_SY_S15_S19_S1B_T6_T7_T9_mT8_S1D_bDpT10_ENKUlT_T0_E_clISt17integral_constantIbLb0EES1P_IbLb1EEEEDaS1L_S1M_EUlS1L_E_NS1_11comp_targetILNS1_3genE4ELNS1_11target_archE910ELNS1_3gpuE8ELNS1_3repE0EEENS1_30default_config_static_selectorELNS0_4arch9wavefront6targetE0EEEvSZ_.uses_flat_scratch, 0
	.set _ZN7rocprim17ROCPRIM_400000_NS6detail17trampoline_kernelINS0_13select_configILj256ELj13ELNS0_17block_load_methodE3ELS4_3ELS4_3ELNS0_20block_scan_algorithmE0ELj4294967295EEENS1_25partition_config_selectorILNS1_17partition_subalgoE3EjNS0_10empty_typeEbEEZZNS1_14partition_implILS8_3ELb0ES6_jNS0_17counting_iteratorIjlEEPS9_SE_NS0_5tupleIJPjSE_EEENSF_IJSE_SE_EEES9_SG_JZNS1_25segmented_radix_sort_implINS0_14default_configELb1EPK12hip_bfloat16PSL_PKlPlN2at6native12_GLOBAL__N_18offset_tEEE10hipError_tPvRmT1_PNSt15iterator_traitsISZ_E10value_typeET2_T3_PNS10_IS15_E10value_typeET4_jRbjT5_S1B_jjP12ihipStream_tbEUljE_EEESW_SX_SY_S15_S19_S1B_T6_T7_T9_mT8_S1D_bDpT10_ENKUlT_T0_E_clISt17integral_constantIbLb0EES1P_IbLb1EEEEDaS1L_S1M_EUlS1L_E_NS1_11comp_targetILNS1_3genE4ELNS1_11target_archE910ELNS1_3gpuE8ELNS1_3repE0EEENS1_30default_config_static_selectorELNS0_4arch9wavefront6targetE0EEEvSZ_.has_dyn_sized_stack, 0
	.set _ZN7rocprim17ROCPRIM_400000_NS6detail17trampoline_kernelINS0_13select_configILj256ELj13ELNS0_17block_load_methodE3ELS4_3ELS4_3ELNS0_20block_scan_algorithmE0ELj4294967295EEENS1_25partition_config_selectorILNS1_17partition_subalgoE3EjNS0_10empty_typeEbEEZZNS1_14partition_implILS8_3ELb0ES6_jNS0_17counting_iteratorIjlEEPS9_SE_NS0_5tupleIJPjSE_EEENSF_IJSE_SE_EEES9_SG_JZNS1_25segmented_radix_sort_implINS0_14default_configELb1EPK12hip_bfloat16PSL_PKlPlN2at6native12_GLOBAL__N_18offset_tEEE10hipError_tPvRmT1_PNSt15iterator_traitsISZ_E10value_typeET2_T3_PNS10_IS15_E10value_typeET4_jRbjT5_S1B_jjP12ihipStream_tbEUljE_EEESW_SX_SY_S15_S19_S1B_T6_T7_T9_mT8_S1D_bDpT10_ENKUlT_T0_E_clISt17integral_constantIbLb0EES1P_IbLb1EEEEDaS1L_S1M_EUlS1L_E_NS1_11comp_targetILNS1_3genE4ELNS1_11target_archE910ELNS1_3gpuE8ELNS1_3repE0EEENS1_30default_config_static_selectorELNS0_4arch9wavefront6targetE0EEEvSZ_.has_recursion, 0
	.set _ZN7rocprim17ROCPRIM_400000_NS6detail17trampoline_kernelINS0_13select_configILj256ELj13ELNS0_17block_load_methodE3ELS4_3ELS4_3ELNS0_20block_scan_algorithmE0ELj4294967295EEENS1_25partition_config_selectorILNS1_17partition_subalgoE3EjNS0_10empty_typeEbEEZZNS1_14partition_implILS8_3ELb0ES6_jNS0_17counting_iteratorIjlEEPS9_SE_NS0_5tupleIJPjSE_EEENSF_IJSE_SE_EEES9_SG_JZNS1_25segmented_radix_sort_implINS0_14default_configELb1EPK12hip_bfloat16PSL_PKlPlN2at6native12_GLOBAL__N_18offset_tEEE10hipError_tPvRmT1_PNSt15iterator_traitsISZ_E10value_typeET2_T3_PNS10_IS15_E10value_typeET4_jRbjT5_S1B_jjP12ihipStream_tbEUljE_EEESW_SX_SY_S15_S19_S1B_T6_T7_T9_mT8_S1D_bDpT10_ENKUlT_T0_E_clISt17integral_constantIbLb0EES1P_IbLb1EEEEDaS1L_S1M_EUlS1L_E_NS1_11comp_targetILNS1_3genE4ELNS1_11target_archE910ELNS1_3gpuE8ELNS1_3repE0EEENS1_30default_config_static_selectorELNS0_4arch9wavefront6targetE0EEEvSZ_.has_indirect_call, 0
	.section	.AMDGPU.csdata,"",@progbits
; Kernel info:
; codeLenInByte = 0
; TotalNumSgprs: 0
; NumVgprs: 0
; ScratchSize: 0
; MemoryBound: 0
; FloatMode: 240
; IeeeMode: 1
; LDSByteSize: 0 bytes/workgroup (compile time only)
; SGPRBlocks: 0
; VGPRBlocks: 0
; NumSGPRsForWavesPerEU: 1
; NumVGPRsForWavesPerEU: 1
; Occupancy: 16
; WaveLimiterHint : 0
; COMPUTE_PGM_RSRC2:SCRATCH_EN: 0
; COMPUTE_PGM_RSRC2:USER_SGPR: 6
; COMPUTE_PGM_RSRC2:TRAP_HANDLER: 0
; COMPUTE_PGM_RSRC2:TGID_X_EN: 1
; COMPUTE_PGM_RSRC2:TGID_Y_EN: 0
; COMPUTE_PGM_RSRC2:TGID_Z_EN: 0
; COMPUTE_PGM_RSRC2:TIDIG_COMP_CNT: 0
	.section	.text._ZN7rocprim17ROCPRIM_400000_NS6detail17trampoline_kernelINS0_13select_configILj256ELj13ELNS0_17block_load_methodE3ELS4_3ELS4_3ELNS0_20block_scan_algorithmE0ELj4294967295EEENS1_25partition_config_selectorILNS1_17partition_subalgoE3EjNS0_10empty_typeEbEEZZNS1_14partition_implILS8_3ELb0ES6_jNS0_17counting_iteratorIjlEEPS9_SE_NS0_5tupleIJPjSE_EEENSF_IJSE_SE_EEES9_SG_JZNS1_25segmented_radix_sort_implINS0_14default_configELb1EPK12hip_bfloat16PSL_PKlPlN2at6native12_GLOBAL__N_18offset_tEEE10hipError_tPvRmT1_PNSt15iterator_traitsISZ_E10value_typeET2_T3_PNS10_IS15_E10value_typeET4_jRbjT5_S1B_jjP12ihipStream_tbEUljE_EEESW_SX_SY_S15_S19_S1B_T6_T7_T9_mT8_S1D_bDpT10_ENKUlT_T0_E_clISt17integral_constantIbLb0EES1P_IbLb1EEEEDaS1L_S1M_EUlS1L_E_NS1_11comp_targetILNS1_3genE3ELNS1_11target_archE908ELNS1_3gpuE7ELNS1_3repE0EEENS1_30default_config_static_selectorELNS0_4arch9wavefront6targetE0EEEvSZ_,"axG",@progbits,_ZN7rocprim17ROCPRIM_400000_NS6detail17trampoline_kernelINS0_13select_configILj256ELj13ELNS0_17block_load_methodE3ELS4_3ELS4_3ELNS0_20block_scan_algorithmE0ELj4294967295EEENS1_25partition_config_selectorILNS1_17partition_subalgoE3EjNS0_10empty_typeEbEEZZNS1_14partition_implILS8_3ELb0ES6_jNS0_17counting_iteratorIjlEEPS9_SE_NS0_5tupleIJPjSE_EEENSF_IJSE_SE_EEES9_SG_JZNS1_25segmented_radix_sort_implINS0_14default_configELb1EPK12hip_bfloat16PSL_PKlPlN2at6native12_GLOBAL__N_18offset_tEEE10hipError_tPvRmT1_PNSt15iterator_traitsISZ_E10value_typeET2_T3_PNS10_IS15_E10value_typeET4_jRbjT5_S1B_jjP12ihipStream_tbEUljE_EEESW_SX_SY_S15_S19_S1B_T6_T7_T9_mT8_S1D_bDpT10_ENKUlT_T0_E_clISt17integral_constantIbLb0EES1P_IbLb1EEEEDaS1L_S1M_EUlS1L_E_NS1_11comp_targetILNS1_3genE3ELNS1_11target_archE908ELNS1_3gpuE7ELNS1_3repE0EEENS1_30default_config_static_selectorELNS0_4arch9wavefront6targetE0EEEvSZ_,comdat
	.globl	_ZN7rocprim17ROCPRIM_400000_NS6detail17trampoline_kernelINS0_13select_configILj256ELj13ELNS0_17block_load_methodE3ELS4_3ELS4_3ELNS0_20block_scan_algorithmE0ELj4294967295EEENS1_25partition_config_selectorILNS1_17partition_subalgoE3EjNS0_10empty_typeEbEEZZNS1_14partition_implILS8_3ELb0ES6_jNS0_17counting_iteratorIjlEEPS9_SE_NS0_5tupleIJPjSE_EEENSF_IJSE_SE_EEES9_SG_JZNS1_25segmented_radix_sort_implINS0_14default_configELb1EPK12hip_bfloat16PSL_PKlPlN2at6native12_GLOBAL__N_18offset_tEEE10hipError_tPvRmT1_PNSt15iterator_traitsISZ_E10value_typeET2_T3_PNS10_IS15_E10value_typeET4_jRbjT5_S1B_jjP12ihipStream_tbEUljE_EEESW_SX_SY_S15_S19_S1B_T6_T7_T9_mT8_S1D_bDpT10_ENKUlT_T0_E_clISt17integral_constantIbLb0EES1P_IbLb1EEEEDaS1L_S1M_EUlS1L_E_NS1_11comp_targetILNS1_3genE3ELNS1_11target_archE908ELNS1_3gpuE7ELNS1_3repE0EEENS1_30default_config_static_selectorELNS0_4arch9wavefront6targetE0EEEvSZ_ ; -- Begin function _ZN7rocprim17ROCPRIM_400000_NS6detail17trampoline_kernelINS0_13select_configILj256ELj13ELNS0_17block_load_methodE3ELS4_3ELS4_3ELNS0_20block_scan_algorithmE0ELj4294967295EEENS1_25partition_config_selectorILNS1_17partition_subalgoE3EjNS0_10empty_typeEbEEZZNS1_14partition_implILS8_3ELb0ES6_jNS0_17counting_iteratorIjlEEPS9_SE_NS0_5tupleIJPjSE_EEENSF_IJSE_SE_EEES9_SG_JZNS1_25segmented_radix_sort_implINS0_14default_configELb1EPK12hip_bfloat16PSL_PKlPlN2at6native12_GLOBAL__N_18offset_tEEE10hipError_tPvRmT1_PNSt15iterator_traitsISZ_E10value_typeET2_T3_PNS10_IS15_E10value_typeET4_jRbjT5_S1B_jjP12ihipStream_tbEUljE_EEESW_SX_SY_S15_S19_S1B_T6_T7_T9_mT8_S1D_bDpT10_ENKUlT_T0_E_clISt17integral_constantIbLb0EES1P_IbLb1EEEEDaS1L_S1M_EUlS1L_E_NS1_11comp_targetILNS1_3genE3ELNS1_11target_archE908ELNS1_3gpuE7ELNS1_3repE0EEENS1_30default_config_static_selectorELNS0_4arch9wavefront6targetE0EEEvSZ_
	.p2align	8
	.type	_ZN7rocprim17ROCPRIM_400000_NS6detail17trampoline_kernelINS0_13select_configILj256ELj13ELNS0_17block_load_methodE3ELS4_3ELS4_3ELNS0_20block_scan_algorithmE0ELj4294967295EEENS1_25partition_config_selectorILNS1_17partition_subalgoE3EjNS0_10empty_typeEbEEZZNS1_14partition_implILS8_3ELb0ES6_jNS0_17counting_iteratorIjlEEPS9_SE_NS0_5tupleIJPjSE_EEENSF_IJSE_SE_EEES9_SG_JZNS1_25segmented_radix_sort_implINS0_14default_configELb1EPK12hip_bfloat16PSL_PKlPlN2at6native12_GLOBAL__N_18offset_tEEE10hipError_tPvRmT1_PNSt15iterator_traitsISZ_E10value_typeET2_T3_PNS10_IS15_E10value_typeET4_jRbjT5_S1B_jjP12ihipStream_tbEUljE_EEESW_SX_SY_S15_S19_S1B_T6_T7_T9_mT8_S1D_bDpT10_ENKUlT_T0_E_clISt17integral_constantIbLb0EES1P_IbLb1EEEEDaS1L_S1M_EUlS1L_E_NS1_11comp_targetILNS1_3genE3ELNS1_11target_archE908ELNS1_3gpuE7ELNS1_3repE0EEENS1_30default_config_static_selectorELNS0_4arch9wavefront6targetE0EEEvSZ_,@function
_ZN7rocprim17ROCPRIM_400000_NS6detail17trampoline_kernelINS0_13select_configILj256ELj13ELNS0_17block_load_methodE3ELS4_3ELS4_3ELNS0_20block_scan_algorithmE0ELj4294967295EEENS1_25partition_config_selectorILNS1_17partition_subalgoE3EjNS0_10empty_typeEbEEZZNS1_14partition_implILS8_3ELb0ES6_jNS0_17counting_iteratorIjlEEPS9_SE_NS0_5tupleIJPjSE_EEENSF_IJSE_SE_EEES9_SG_JZNS1_25segmented_radix_sort_implINS0_14default_configELb1EPK12hip_bfloat16PSL_PKlPlN2at6native12_GLOBAL__N_18offset_tEEE10hipError_tPvRmT1_PNSt15iterator_traitsISZ_E10value_typeET2_T3_PNS10_IS15_E10value_typeET4_jRbjT5_S1B_jjP12ihipStream_tbEUljE_EEESW_SX_SY_S15_S19_S1B_T6_T7_T9_mT8_S1D_bDpT10_ENKUlT_T0_E_clISt17integral_constantIbLb0EES1P_IbLb1EEEEDaS1L_S1M_EUlS1L_E_NS1_11comp_targetILNS1_3genE3ELNS1_11target_archE908ELNS1_3gpuE7ELNS1_3repE0EEENS1_30default_config_static_selectorELNS0_4arch9wavefront6targetE0EEEvSZ_: ; @_ZN7rocprim17ROCPRIM_400000_NS6detail17trampoline_kernelINS0_13select_configILj256ELj13ELNS0_17block_load_methodE3ELS4_3ELS4_3ELNS0_20block_scan_algorithmE0ELj4294967295EEENS1_25partition_config_selectorILNS1_17partition_subalgoE3EjNS0_10empty_typeEbEEZZNS1_14partition_implILS8_3ELb0ES6_jNS0_17counting_iteratorIjlEEPS9_SE_NS0_5tupleIJPjSE_EEENSF_IJSE_SE_EEES9_SG_JZNS1_25segmented_radix_sort_implINS0_14default_configELb1EPK12hip_bfloat16PSL_PKlPlN2at6native12_GLOBAL__N_18offset_tEEE10hipError_tPvRmT1_PNSt15iterator_traitsISZ_E10value_typeET2_T3_PNS10_IS15_E10value_typeET4_jRbjT5_S1B_jjP12ihipStream_tbEUljE_EEESW_SX_SY_S15_S19_S1B_T6_T7_T9_mT8_S1D_bDpT10_ENKUlT_T0_E_clISt17integral_constantIbLb0EES1P_IbLb1EEEEDaS1L_S1M_EUlS1L_E_NS1_11comp_targetILNS1_3genE3ELNS1_11target_archE908ELNS1_3gpuE7ELNS1_3repE0EEENS1_30default_config_static_selectorELNS0_4arch9wavefront6targetE0EEEvSZ_
; %bb.0:
	.section	.rodata,"a",@progbits
	.p2align	6, 0x0
	.amdhsa_kernel _ZN7rocprim17ROCPRIM_400000_NS6detail17trampoline_kernelINS0_13select_configILj256ELj13ELNS0_17block_load_methodE3ELS4_3ELS4_3ELNS0_20block_scan_algorithmE0ELj4294967295EEENS1_25partition_config_selectorILNS1_17partition_subalgoE3EjNS0_10empty_typeEbEEZZNS1_14partition_implILS8_3ELb0ES6_jNS0_17counting_iteratorIjlEEPS9_SE_NS0_5tupleIJPjSE_EEENSF_IJSE_SE_EEES9_SG_JZNS1_25segmented_radix_sort_implINS0_14default_configELb1EPK12hip_bfloat16PSL_PKlPlN2at6native12_GLOBAL__N_18offset_tEEE10hipError_tPvRmT1_PNSt15iterator_traitsISZ_E10value_typeET2_T3_PNS10_IS15_E10value_typeET4_jRbjT5_S1B_jjP12ihipStream_tbEUljE_EEESW_SX_SY_S15_S19_S1B_T6_T7_T9_mT8_S1D_bDpT10_ENKUlT_T0_E_clISt17integral_constantIbLb0EES1P_IbLb1EEEEDaS1L_S1M_EUlS1L_E_NS1_11comp_targetILNS1_3genE3ELNS1_11target_archE908ELNS1_3gpuE7ELNS1_3repE0EEENS1_30default_config_static_selectorELNS0_4arch9wavefront6targetE0EEEvSZ_
		.amdhsa_group_segment_fixed_size 0
		.amdhsa_private_segment_fixed_size 0
		.amdhsa_kernarg_size 152
		.amdhsa_user_sgpr_count 6
		.amdhsa_user_sgpr_private_segment_buffer 1
		.amdhsa_user_sgpr_dispatch_ptr 0
		.amdhsa_user_sgpr_queue_ptr 0
		.amdhsa_user_sgpr_kernarg_segment_ptr 1
		.amdhsa_user_sgpr_dispatch_id 0
		.amdhsa_user_sgpr_flat_scratch_init 0
		.amdhsa_user_sgpr_private_segment_size 0
		.amdhsa_wavefront_size32 1
		.amdhsa_uses_dynamic_stack 0
		.amdhsa_system_sgpr_private_segment_wavefront_offset 0
		.amdhsa_system_sgpr_workgroup_id_x 1
		.amdhsa_system_sgpr_workgroup_id_y 0
		.amdhsa_system_sgpr_workgroup_id_z 0
		.amdhsa_system_sgpr_workgroup_info 0
		.amdhsa_system_vgpr_workitem_id 0
		.amdhsa_next_free_vgpr 1
		.amdhsa_next_free_sgpr 1
		.amdhsa_reserve_vcc 0
		.amdhsa_reserve_flat_scratch 0
		.amdhsa_float_round_mode_32 0
		.amdhsa_float_round_mode_16_64 0
		.amdhsa_float_denorm_mode_32 3
		.amdhsa_float_denorm_mode_16_64 3
		.amdhsa_dx10_clamp 1
		.amdhsa_ieee_mode 1
		.amdhsa_fp16_overflow 0
		.amdhsa_workgroup_processor_mode 1
		.amdhsa_memory_ordered 1
		.amdhsa_forward_progress 1
		.amdhsa_shared_vgpr_count 0
		.amdhsa_exception_fp_ieee_invalid_op 0
		.amdhsa_exception_fp_denorm_src 0
		.amdhsa_exception_fp_ieee_div_zero 0
		.amdhsa_exception_fp_ieee_overflow 0
		.amdhsa_exception_fp_ieee_underflow 0
		.amdhsa_exception_fp_ieee_inexact 0
		.amdhsa_exception_int_div_zero 0
	.end_amdhsa_kernel
	.section	.text._ZN7rocprim17ROCPRIM_400000_NS6detail17trampoline_kernelINS0_13select_configILj256ELj13ELNS0_17block_load_methodE3ELS4_3ELS4_3ELNS0_20block_scan_algorithmE0ELj4294967295EEENS1_25partition_config_selectorILNS1_17partition_subalgoE3EjNS0_10empty_typeEbEEZZNS1_14partition_implILS8_3ELb0ES6_jNS0_17counting_iteratorIjlEEPS9_SE_NS0_5tupleIJPjSE_EEENSF_IJSE_SE_EEES9_SG_JZNS1_25segmented_radix_sort_implINS0_14default_configELb1EPK12hip_bfloat16PSL_PKlPlN2at6native12_GLOBAL__N_18offset_tEEE10hipError_tPvRmT1_PNSt15iterator_traitsISZ_E10value_typeET2_T3_PNS10_IS15_E10value_typeET4_jRbjT5_S1B_jjP12ihipStream_tbEUljE_EEESW_SX_SY_S15_S19_S1B_T6_T7_T9_mT8_S1D_bDpT10_ENKUlT_T0_E_clISt17integral_constantIbLb0EES1P_IbLb1EEEEDaS1L_S1M_EUlS1L_E_NS1_11comp_targetILNS1_3genE3ELNS1_11target_archE908ELNS1_3gpuE7ELNS1_3repE0EEENS1_30default_config_static_selectorELNS0_4arch9wavefront6targetE0EEEvSZ_,"axG",@progbits,_ZN7rocprim17ROCPRIM_400000_NS6detail17trampoline_kernelINS0_13select_configILj256ELj13ELNS0_17block_load_methodE3ELS4_3ELS4_3ELNS0_20block_scan_algorithmE0ELj4294967295EEENS1_25partition_config_selectorILNS1_17partition_subalgoE3EjNS0_10empty_typeEbEEZZNS1_14partition_implILS8_3ELb0ES6_jNS0_17counting_iteratorIjlEEPS9_SE_NS0_5tupleIJPjSE_EEENSF_IJSE_SE_EEES9_SG_JZNS1_25segmented_radix_sort_implINS0_14default_configELb1EPK12hip_bfloat16PSL_PKlPlN2at6native12_GLOBAL__N_18offset_tEEE10hipError_tPvRmT1_PNSt15iterator_traitsISZ_E10value_typeET2_T3_PNS10_IS15_E10value_typeET4_jRbjT5_S1B_jjP12ihipStream_tbEUljE_EEESW_SX_SY_S15_S19_S1B_T6_T7_T9_mT8_S1D_bDpT10_ENKUlT_T0_E_clISt17integral_constantIbLb0EES1P_IbLb1EEEEDaS1L_S1M_EUlS1L_E_NS1_11comp_targetILNS1_3genE3ELNS1_11target_archE908ELNS1_3gpuE7ELNS1_3repE0EEENS1_30default_config_static_selectorELNS0_4arch9wavefront6targetE0EEEvSZ_,comdat
.Lfunc_end1931:
	.size	_ZN7rocprim17ROCPRIM_400000_NS6detail17trampoline_kernelINS0_13select_configILj256ELj13ELNS0_17block_load_methodE3ELS4_3ELS4_3ELNS0_20block_scan_algorithmE0ELj4294967295EEENS1_25partition_config_selectorILNS1_17partition_subalgoE3EjNS0_10empty_typeEbEEZZNS1_14partition_implILS8_3ELb0ES6_jNS0_17counting_iteratorIjlEEPS9_SE_NS0_5tupleIJPjSE_EEENSF_IJSE_SE_EEES9_SG_JZNS1_25segmented_radix_sort_implINS0_14default_configELb1EPK12hip_bfloat16PSL_PKlPlN2at6native12_GLOBAL__N_18offset_tEEE10hipError_tPvRmT1_PNSt15iterator_traitsISZ_E10value_typeET2_T3_PNS10_IS15_E10value_typeET4_jRbjT5_S1B_jjP12ihipStream_tbEUljE_EEESW_SX_SY_S15_S19_S1B_T6_T7_T9_mT8_S1D_bDpT10_ENKUlT_T0_E_clISt17integral_constantIbLb0EES1P_IbLb1EEEEDaS1L_S1M_EUlS1L_E_NS1_11comp_targetILNS1_3genE3ELNS1_11target_archE908ELNS1_3gpuE7ELNS1_3repE0EEENS1_30default_config_static_selectorELNS0_4arch9wavefront6targetE0EEEvSZ_, .Lfunc_end1931-_ZN7rocprim17ROCPRIM_400000_NS6detail17trampoline_kernelINS0_13select_configILj256ELj13ELNS0_17block_load_methodE3ELS4_3ELS4_3ELNS0_20block_scan_algorithmE0ELj4294967295EEENS1_25partition_config_selectorILNS1_17partition_subalgoE3EjNS0_10empty_typeEbEEZZNS1_14partition_implILS8_3ELb0ES6_jNS0_17counting_iteratorIjlEEPS9_SE_NS0_5tupleIJPjSE_EEENSF_IJSE_SE_EEES9_SG_JZNS1_25segmented_radix_sort_implINS0_14default_configELb1EPK12hip_bfloat16PSL_PKlPlN2at6native12_GLOBAL__N_18offset_tEEE10hipError_tPvRmT1_PNSt15iterator_traitsISZ_E10value_typeET2_T3_PNS10_IS15_E10value_typeET4_jRbjT5_S1B_jjP12ihipStream_tbEUljE_EEESW_SX_SY_S15_S19_S1B_T6_T7_T9_mT8_S1D_bDpT10_ENKUlT_T0_E_clISt17integral_constantIbLb0EES1P_IbLb1EEEEDaS1L_S1M_EUlS1L_E_NS1_11comp_targetILNS1_3genE3ELNS1_11target_archE908ELNS1_3gpuE7ELNS1_3repE0EEENS1_30default_config_static_selectorELNS0_4arch9wavefront6targetE0EEEvSZ_
                                        ; -- End function
	.set _ZN7rocprim17ROCPRIM_400000_NS6detail17trampoline_kernelINS0_13select_configILj256ELj13ELNS0_17block_load_methodE3ELS4_3ELS4_3ELNS0_20block_scan_algorithmE0ELj4294967295EEENS1_25partition_config_selectorILNS1_17partition_subalgoE3EjNS0_10empty_typeEbEEZZNS1_14partition_implILS8_3ELb0ES6_jNS0_17counting_iteratorIjlEEPS9_SE_NS0_5tupleIJPjSE_EEENSF_IJSE_SE_EEES9_SG_JZNS1_25segmented_radix_sort_implINS0_14default_configELb1EPK12hip_bfloat16PSL_PKlPlN2at6native12_GLOBAL__N_18offset_tEEE10hipError_tPvRmT1_PNSt15iterator_traitsISZ_E10value_typeET2_T3_PNS10_IS15_E10value_typeET4_jRbjT5_S1B_jjP12ihipStream_tbEUljE_EEESW_SX_SY_S15_S19_S1B_T6_T7_T9_mT8_S1D_bDpT10_ENKUlT_T0_E_clISt17integral_constantIbLb0EES1P_IbLb1EEEEDaS1L_S1M_EUlS1L_E_NS1_11comp_targetILNS1_3genE3ELNS1_11target_archE908ELNS1_3gpuE7ELNS1_3repE0EEENS1_30default_config_static_selectorELNS0_4arch9wavefront6targetE0EEEvSZ_.num_vgpr, 0
	.set _ZN7rocprim17ROCPRIM_400000_NS6detail17trampoline_kernelINS0_13select_configILj256ELj13ELNS0_17block_load_methodE3ELS4_3ELS4_3ELNS0_20block_scan_algorithmE0ELj4294967295EEENS1_25partition_config_selectorILNS1_17partition_subalgoE3EjNS0_10empty_typeEbEEZZNS1_14partition_implILS8_3ELb0ES6_jNS0_17counting_iteratorIjlEEPS9_SE_NS0_5tupleIJPjSE_EEENSF_IJSE_SE_EEES9_SG_JZNS1_25segmented_radix_sort_implINS0_14default_configELb1EPK12hip_bfloat16PSL_PKlPlN2at6native12_GLOBAL__N_18offset_tEEE10hipError_tPvRmT1_PNSt15iterator_traitsISZ_E10value_typeET2_T3_PNS10_IS15_E10value_typeET4_jRbjT5_S1B_jjP12ihipStream_tbEUljE_EEESW_SX_SY_S15_S19_S1B_T6_T7_T9_mT8_S1D_bDpT10_ENKUlT_T0_E_clISt17integral_constantIbLb0EES1P_IbLb1EEEEDaS1L_S1M_EUlS1L_E_NS1_11comp_targetILNS1_3genE3ELNS1_11target_archE908ELNS1_3gpuE7ELNS1_3repE0EEENS1_30default_config_static_selectorELNS0_4arch9wavefront6targetE0EEEvSZ_.num_agpr, 0
	.set _ZN7rocprim17ROCPRIM_400000_NS6detail17trampoline_kernelINS0_13select_configILj256ELj13ELNS0_17block_load_methodE3ELS4_3ELS4_3ELNS0_20block_scan_algorithmE0ELj4294967295EEENS1_25partition_config_selectorILNS1_17partition_subalgoE3EjNS0_10empty_typeEbEEZZNS1_14partition_implILS8_3ELb0ES6_jNS0_17counting_iteratorIjlEEPS9_SE_NS0_5tupleIJPjSE_EEENSF_IJSE_SE_EEES9_SG_JZNS1_25segmented_radix_sort_implINS0_14default_configELb1EPK12hip_bfloat16PSL_PKlPlN2at6native12_GLOBAL__N_18offset_tEEE10hipError_tPvRmT1_PNSt15iterator_traitsISZ_E10value_typeET2_T3_PNS10_IS15_E10value_typeET4_jRbjT5_S1B_jjP12ihipStream_tbEUljE_EEESW_SX_SY_S15_S19_S1B_T6_T7_T9_mT8_S1D_bDpT10_ENKUlT_T0_E_clISt17integral_constantIbLb0EES1P_IbLb1EEEEDaS1L_S1M_EUlS1L_E_NS1_11comp_targetILNS1_3genE3ELNS1_11target_archE908ELNS1_3gpuE7ELNS1_3repE0EEENS1_30default_config_static_selectorELNS0_4arch9wavefront6targetE0EEEvSZ_.numbered_sgpr, 0
	.set _ZN7rocprim17ROCPRIM_400000_NS6detail17trampoline_kernelINS0_13select_configILj256ELj13ELNS0_17block_load_methodE3ELS4_3ELS4_3ELNS0_20block_scan_algorithmE0ELj4294967295EEENS1_25partition_config_selectorILNS1_17partition_subalgoE3EjNS0_10empty_typeEbEEZZNS1_14partition_implILS8_3ELb0ES6_jNS0_17counting_iteratorIjlEEPS9_SE_NS0_5tupleIJPjSE_EEENSF_IJSE_SE_EEES9_SG_JZNS1_25segmented_radix_sort_implINS0_14default_configELb1EPK12hip_bfloat16PSL_PKlPlN2at6native12_GLOBAL__N_18offset_tEEE10hipError_tPvRmT1_PNSt15iterator_traitsISZ_E10value_typeET2_T3_PNS10_IS15_E10value_typeET4_jRbjT5_S1B_jjP12ihipStream_tbEUljE_EEESW_SX_SY_S15_S19_S1B_T6_T7_T9_mT8_S1D_bDpT10_ENKUlT_T0_E_clISt17integral_constantIbLb0EES1P_IbLb1EEEEDaS1L_S1M_EUlS1L_E_NS1_11comp_targetILNS1_3genE3ELNS1_11target_archE908ELNS1_3gpuE7ELNS1_3repE0EEENS1_30default_config_static_selectorELNS0_4arch9wavefront6targetE0EEEvSZ_.num_named_barrier, 0
	.set _ZN7rocprim17ROCPRIM_400000_NS6detail17trampoline_kernelINS0_13select_configILj256ELj13ELNS0_17block_load_methodE3ELS4_3ELS4_3ELNS0_20block_scan_algorithmE0ELj4294967295EEENS1_25partition_config_selectorILNS1_17partition_subalgoE3EjNS0_10empty_typeEbEEZZNS1_14partition_implILS8_3ELb0ES6_jNS0_17counting_iteratorIjlEEPS9_SE_NS0_5tupleIJPjSE_EEENSF_IJSE_SE_EEES9_SG_JZNS1_25segmented_radix_sort_implINS0_14default_configELb1EPK12hip_bfloat16PSL_PKlPlN2at6native12_GLOBAL__N_18offset_tEEE10hipError_tPvRmT1_PNSt15iterator_traitsISZ_E10value_typeET2_T3_PNS10_IS15_E10value_typeET4_jRbjT5_S1B_jjP12ihipStream_tbEUljE_EEESW_SX_SY_S15_S19_S1B_T6_T7_T9_mT8_S1D_bDpT10_ENKUlT_T0_E_clISt17integral_constantIbLb0EES1P_IbLb1EEEEDaS1L_S1M_EUlS1L_E_NS1_11comp_targetILNS1_3genE3ELNS1_11target_archE908ELNS1_3gpuE7ELNS1_3repE0EEENS1_30default_config_static_selectorELNS0_4arch9wavefront6targetE0EEEvSZ_.private_seg_size, 0
	.set _ZN7rocprim17ROCPRIM_400000_NS6detail17trampoline_kernelINS0_13select_configILj256ELj13ELNS0_17block_load_methodE3ELS4_3ELS4_3ELNS0_20block_scan_algorithmE0ELj4294967295EEENS1_25partition_config_selectorILNS1_17partition_subalgoE3EjNS0_10empty_typeEbEEZZNS1_14partition_implILS8_3ELb0ES6_jNS0_17counting_iteratorIjlEEPS9_SE_NS0_5tupleIJPjSE_EEENSF_IJSE_SE_EEES9_SG_JZNS1_25segmented_radix_sort_implINS0_14default_configELb1EPK12hip_bfloat16PSL_PKlPlN2at6native12_GLOBAL__N_18offset_tEEE10hipError_tPvRmT1_PNSt15iterator_traitsISZ_E10value_typeET2_T3_PNS10_IS15_E10value_typeET4_jRbjT5_S1B_jjP12ihipStream_tbEUljE_EEESW_SX_SY_S15_S19_S1B_T6_T7_T9_mT8_S1D_bDpT10_ENKUlT_T0_E_clISt17integral_constantIbLb0EES1P_IbLb1EEEEDaS1L_S1M_EUlS1L_E_NS1_11comp_targetILNS1_3genE3ELNS1_11target_archE908ELNS1_3gpuE7ELNS1_3repE0EEENS1_30default_config_static_selectorELNS0_4arch9wavefront6targetE0EEEvSZ_.uses_vcc, 0
	.set _ZN7rocprim17ROCPRIM_400000_NS6detail17trampoline_kernelINS0_13select_configILj256ELj13ELNS0_17block_load_methodE3ELS4_3ELS4_3ELNS0_20block_scan_algorithmE0ELj4294967295EEENS1_25partition_config_selectorILNS1_17partition_subalgoE3EjNS0_10empty_typeEbEEZZNS1_14partition_implILS8_3ELb0ES6_jNS0_17counting_iteratorIjlEEPS9_SE_NS0_5tupleIJPjSE_EEENSF_IJSE_SE_EEES9_SG_JZNS1_25segmented_radix_sort_implINS0_14default_configELb1EPK12hip_bfloat16PSL_PKlPlN2at6native12_GLOBAL__N_18offset_tEEE10hipError_tPvRmT1_PNSt15iterator_traitsISZ_E10value_typeET2_T3_PNS10_IS15_E10value_typeET4_jRbjT5_S1B_jjP12ihipStream_tbEUljE_EEESW_SX_SY_S15_S19_S1B_T6_T7_T9_mT8_S1D_bDpT10_ENKUlT_T0_E_clISt17integral_constantIbLb0EES1P_IbLb1EEEEDaS1L_S1M_EUlS1L_E_NS1_11comp_targetILNS1_3genE3ELNS1_11target_archE908ELNS1_3gpuE7ELNS1_3repE0EEENS1_30default_config_static_selectorELNS0_4arch9wavefront6targetE0EEEvSZ_.uses_flat_scratch, 0
	.set _ZN7rocprim17ROCPRIM_400000_NS6detail17trampoline_kernelINS0_13select_configILj256ELj13ELNS0_17block_load_methodE3ELS4_3ELS4_3ELNS0_20block_scan_algorithmE0ELj4294967295EEENS1_25partition_config_selectorILNS1_17partition_subalgoE3EjNS0_10empty_typeEbEEZZNS1_14partition_implILS8_3ELb0ES6_jNS0_17counting_iteratorIjlEEPS9_SE_NS0_5tupleIJPjSE_EEENSF_IJSE_SE_EEES9_SG_JZNS1_25segmented_radix_sort_implINS0_14default_configELb1EPK12hip_bfloat16PSL_PKlPlN2at6native12_GLOBAL__N_18offset_tEEE10hipError_tPvRmT1_PNSt15iterator_traitsISZ_E10value_typeET2_T3_PNS10_IS15_E10value_typeET4_jRbjT5_S1B_jjP12ihipStream_tbEUljE_EEESW_SX_SY_S15_S19_S1B_T6_T7_T9_mT8_S1D_bDpT10_ENKUlT_T0_E_clISt17integral_constantIbLb0EES1P_IbLb1EEEEDaS1L_S1M_EUlS1L_E_NS1_11comp_targetILNS1_3genE3ELNS1_11target_archE908ELNS1_3gpuE7ELNS1_3repE0EEENS1_30default_config_static_selectorELNS0_4arch9wavefront6targetE0EEEvSZ_.has_dyn_sized_stack, 0
	.set _ZN7rocprim17ROCPRIM_400000_NS6detail17trampoline_kernelINS0_13select_configILj256ELj13ELNS0_17block_load_methodE3ELS4_3ELS4_3ELNS0_20block_scan_algorithmE0ELj4294967295EEENS1_25partition_config_selectorILNS1_17partition_subalgoE3EjNS0_10empty_typeEbEEZZNS1_14partition_implILS8_3ELb0ES6_jNS0_17counting_iteratorIjlEEPS9_SE_NS0_5tupleIJPjSE_EEENSF_IJSE_SE_EEES9_SG_JZNS1_25segmented_radix_sort_implINS0_14default_configELb1EPK12hip_bfloat16PSL_PKlPlN2at6native12_GLOBAL__N_18offset_tEEE10hipError_tPvRmT1_PNSt15iterator_traitsISZ_E10value_typeET2_T3_PNS10_IS15_E10value_typeET4_jRbjT5_S1B_jjP12ihipStream_tbEUljE_EEESW_SX_SY_S15_S19_S1B_T6_T7_T9_mT8_S1D_bDpT10_ENKUlT_T0_E_clISt17integral_constantIbLb0EES1P_IbLb1EEEEDaS1L_S1M_EUlS1L_E_NS1_11comp_targetILNS1_3genE3ELNS1_11target_archE908ELNS1_3gpuE7ELNS1_3repE0EEENS1_30default_config_static_selectorELNS0_4arch9wavefront6targetE0EEEvSZ_.has_recursion, 0
	.set _ZN7rocprim17ROCPRIM_400000_NS6detail17trampoline_kernelINS0_13select_configILj256ELj13ELNS0_17block_load_methodE3ELS4_3ELS4_3ELNS0_20block_scan_algorithmE0ELj4294967295EEENS1_25partition_config_selectorILNS1_17partition_subalgoE3EjNS0_10empty_typeEbEEZZNS1_14partition_implILS8_3ELb0ES6_jNS0_17counting_iteratorIjlEEPS9_SE_NS0_5tupleIJPjSE_EEENSF_IJSE_SE_EEES9_SG_JZNS1_25segmented_radix_sort_implINS0_14default_configELb1EPK12hip_bfloat16PSL_PKlPlN2at6native12_GLOBAL__N_18offset_tEEE10hipError_tPvRmT1_PNSt15iterator_traitsISZ_E10value_typeET2_T3_PNS10_IS15_E10value_typeET4_jRbjT5_S1B_jjP12ihipStream_tbEUljE_EEESW_SX_SY_S15_S19_S1B_T6_T7_T9_mT8_S1D_bDpT10_ENKUlT_T0_E_clISt17integral_constantIbLb0EES1P_IbLb1EEEEDaS1L_S1M_EUlS1L_E_NS1_11comp_targetILNS1_3genE3ELNS1_11target_archE908ELNS1_3gpuE7ELNS1_3repE0EEENS1_30default_config_static_selectorELNS0_4arch9wavefront6targetE0EEEvSZ_.has_indirect_call, 0
	.section	.AMDGPU.csdata,"",@progbits
; Kernel info:
; codeLenInByte = 0
; TotalNumSgprs: 0
; NumVgprs: 0
; ScratchSize: 0
; MemoryBound: 0
; FloatMode: 240
; IeeeMode: 1
; LDSByteSize: 0 bytes/workgroup (compile time only)
; SGPRBlocks: 0
; VGPRBlocks: 0
; NumSGPRsForWavesPerEU: 1
; NumVGPRsForWavesPerEU: 1
; Occupancy: 16
; WaveLimiterHint : 0
; COMPUTE_PGM_RSRC2:SCRATCH_EN: 0
; COMPUTE_PGM_RSRC2:USER_SGPR: 6
; COMPUTE_PGM_RSRC2:TRAP_HANDLER: 0
; COMPUTE_PGM_RSRC2:TGID_X_EN: 1
; COMPUTE_PGM_RSRC2:TGID_Y_EN: 0
; COMPUTE_PGM_RSRC2:TGID_Z_EN: 0
; COMPUTE_PGM_RSRC2:TIDIG_COMP_CNT: 0
	.section	.text._ZN7rocprim17ROCPRIM_400000_NS6detail17trampoline_kernelINS0_13select_configILj256ELj13ELNS0_17block_load_methodE3ELS4_3ELS4_3ELNS0_20block_scan_algorithmE0ELj4294967295EEENS1_25partition_config_selectorILNS1_17partition_subalgoE3EjNS0_10empty_typeEbEEZZNS1_14partition_implILS8_3ELb0ES6_jNS0_17counting_iteratorIjlEEPS9_SE_NS0_5tupleIJPjSE_EEENSF_IJSE_SE_EEES9_SG_JZNS1_25segmented_radix_sort_implINS0_14default_configELb1EPK12hip_bfloat16PSL_PKlPlN2at6native12_GLOBAL__N_18offset_tEEE10hipError_tPvRmT1_PNSt15iterator_traitsISZ_E10value_typeET2_T3_PNS10_IS15_E10value_typeET4_jRbjT5_S1B_jjP12ihipStream_tbEUljE_EEESW_SX_SY_S15_S19_S1B_T6_T7_T9_mT8_S1D_bDpT10_ENKUlT_T0_E_clISt17integral_constantIbLb0EES1P_IbLb1EEEEDaS1L_S1M_EUlS1L_E_NS1_11comp_targetILNS1_3genE2ELNS1_11target_archE906ELNS1_3gpuE6ELNS1_3repE0EEENS1_30default_config_static_selectorELNS0_4arch9wavefront6targetE0EEEvSZ_,"axG",@progbits,_ZN7rocprim17ROCPRIM_400000_NS6detail17trampoline_kernelINS0_13select_configILj256ELj13ELNS0_17block_load_methodE3ELS4_3ELS4_3ELNS0_20block_scan_algorithmE0ELj4294967295EEENS1_25partition_config_selectorILNS1_17partition_subalgoE3EjNS0_10empty_typeEbEEZZNS1_14partition_implILS8_3ELb0ES6_jNS0_17counting_iteratorIjlEEPS9_SE_NS0_5tupleIJPjSE_EEENSF_IJSE_SE_EEES9_SG_JZNS1_25segmented_radix_sort_implINS0_14default_configELb1EPK12hip_bfloat16PSL_PKlPlN2at6native12_GLOBAL__N_18offset_tEEE10hipError_tPvRmT1_PNSt15iterator_traitsISZ_E10value_typeET2_T3_PNS10_IS15_E10value_typeET4_jRbjT5_S1B_jjP12ihipStream_tbEUljE_EEESW_SX_SY_S15_S19_S1B_T6_T7_T9_mT8_S1D_bDpT10_ENKUlT_T0_E_clISt17integral_constantIbLb0EES1P_IbLb1EEEEDaS1L_S1M_EUlS1L_E_NS1_11comp_targetILNS1_3genE2ELNS1_11target_archE906ELNS1_3gpuE6ELNS1_3repE0EEENS1_30default_config_static_selectorELNS0_4arch9wavefront6targetE0EEEvSZ_,comdat
	.globl	_ZN7rocprim17ROCPRIM_400000_NS6detail17trampoline_kernelINS0_13select_configILj256ELj13ELNS0_17block_load_methodE3ELS4_3ELS4_3ELNS0_20block_scan_algorithmE0ELj4294967295EEENS1_25partition_config_selectorILNS1_17partition_subalgoE3EjNS0_10empty_typeEbEEZZNS1_14partition_implILS8_3ELb0ES6_jNS0_17counting_iteratorIjlEEPS9_SE_NS0_5tupleIJPjSE_EEENSF_IJSE_SE_EEES9_SG_JZNS1_25segmented_radix_sort_implINS0_14default_configELb1EPK12hip_bfloat16PSL_PKlPlN2at6native12_GLOBAL__N_18offset_tEEE10hipError_tPvRmT1_PNSt15iterator_traitsISZ_E10value_typeET2_T3_PNS10_IS15_E10value_typeET4_jRbjT5_S1B_jjP12ihipStream_tbEUljE_EEESW_SX_SY_S15_S19_S1B_T6_T7_T9_mT8_S1D_bDpT10_ENKUlT_T0_E_clISt17integral_constantIbLb0EES1P_IbLb1EEEEDaS1L_S1M_EUlS1L_E_NS1_11comp_targetILNS1_3genE2ELNS1_11target_archE906ELNS1_3gpuE6ELNS1_3repE0EEENS1_30default_config_static_selectorELNS0_4arch9wavefront6targetE0EEEvSZ_ ; -- Begin function _ZN7rocprim17ROCPRIM_400000_NS6detail17trampoline_kernelINS0_13select_configILj256ELj13ELNS0_17block_load_methodE3ELS4_3ELS4_3ELNS0_20block_scan_algorithmE0ELj4294967295EEENS1_25partition_config_selectorILNS1_17partition_subalgoE3EjNS0_10empty_typeEbEEZZNS1_14partition_implILS8_3ELb0ES6_jNS0_17counting_iteratorIjlEEPS9_SE_NS0_5tupleIJPjSE_EEENSF_IJSE_SE_EEES9_SG_JZNS1_25segmented_radix_sort_implINS0_14default_configELb1EPK12hip_bfloat16PSL_PKlPlN2at6native12_GLOBAL__N_18offset_tEEE10hipError_tPvRmT1_PNSt15iterator_traitsISZ_E10value_typeET2_T3_PNS10_IS15_E10value_typeET4_jRbjT5_S1B_jjP12ihipStream_tbEUljE_EEESW_SX_SY_S15_S19_S1B_T6_T7_T9_mT8_S1D_bDpT10_ENKUlT_T0_E_clISt17integral_constantIbLb0EES1P_IbLb1EEEEDaS1L_S1M_EUlS1L_E_NS1_11comp_targetILNS1_3genE2ELNS1_11target_archE906ELNS1_3gpuE6ELNS1_3repE0EEENS1_30default_config_static_selectorELNS0_4arch9wavefront6targetE0EEEvSZ_
	.p2align	8
	.type	_ZN7rocprim17ROCPRIM_400000_NS6detail17trampoline_kernelINS0_13select_configILj256ELj13ELNS0_17block_load_methodE3ELS4_3ELS4_3ELNS0_20block_scan_algorithmE0ELj4294967295EEENS1_25partition_config_selectorILNS1_17partition_subalgoE3EjNS0_10empty_typeEbEEZZNS1_14partition_implILS8_3ELb0ES6_jNS0_17counting_iteratorIjlEEPS9_SE_NS0_5tupleIJPjSE_EEENSF_IJSE_SE_EEES9_SG_JZNS1_25segmented_radix_sort_implINS0_14default_configELb1EPK12hip_bfloat16PSL_PKlPlN2at6native12_GLOBAL__N_18offset_tEEE10hipError_tPvRmT1_PNSt15iterator_traitsISZ_E10value_typeET2_T3_PNS10_IS15_E10value_typeET4_jRbjT5_S1B_jjP12ihipStream_tbEUljE_EEESW_SX_SY_S15_S19_S1B_T6_T7_T9_mT8_S1D_bDpT10_ENKUlT_T0_E_clISt17integral_constantIbLb0EES1P_IbLb1EEEEDaS1L_S1M_EUlS1L_E_NS1_11comp_targetILNS1_3genE2ELNS1_11target_archE906ELNS1_3gpuE6ELNS1_3repE0EEENS1_30default_config_static_selectorELNS0_4arch9wavefront6targetE0EEEvSZ_,@function
_ZN7rocprim17ROCPRIM_400000_NS6detail17trampoline_kernelINS0_13select_configILj256ELj13ELNS0_17block_load_methodE3ELS4_3ELS4_3ELNS0_20block_scan_algorithmE0ELj4294967295EEENS1_25partition_config_selectorILNS1_17partition_subalgoE3EjNS0_10empty_typeEbEEZZNS1_14partition_implILS8_3ELb0ES6_jNS0_17counting_iteratorIjlEEPS9_SE_NS0_5tupleIJPjSE_EEENSF_IJSE_SE_EEES9_SG_JZNS1_25segmented_radix_sort_implINS0_14default_configELb1EPK12hip_bfloat16PSL_PKlPlN2at6native12_GLOBAL__N_18offset_tEEE10hipError_tPvRmT1_PNSt15iterator_traitsISZ_E10value_typeET2_T3_PNS10_IS15_E10value_typeET4_jRbjT5_S1B_jjP12ihipStream_tbEUljE_EEESW_SX_SY_S15_S19_S1B_T6_T7_T9_mT8_S1D_bDpT10_ENKUlT_T0_E_clISt17integral_constantIbLb0EES1P_IbLb1EEEEDaS1L_S1M_EUlS1L_E_NS1_11comp_targetILNS1_3genE2ELNS1_11target_archE906ELNS1_3gpuE6ELNS1_3repE0EEENS1_30default_config_static_selectorELNS0_4arch9wavefront6targetE0EEEvSZ_: ; @_ZN7rocprim17ROCPRIM_400000_NS6detail17trampoline_kernelINS0_13select_configILj256ELj13ELNS0_17block_load_methodE3ELS4_3ELS4_3ELNS0_20block_scan_algorithmE0ELj4294967295EEENS1_25partition_config_selectorILNS1_17partition_subalgoE3EjNS0_10empty_typeEbEEZZNS1_14partition_implILS8_3ELb0ES6_jNS0_17counting_iteratorIjlEEPS9_SE_NS0_5tupleIJPjSE_EEENSF_IJSE_SE_EEES9_SG_JZNS1_25segmented_radix_sort_implINS0_14default_configELb1EPK12hip_bfloat16PSL_PKlPlN2at6native12_GLOBAL__N_18offset_tEEE10hipError_tPvRmT1_PNSt15iterator_traitsISZ_E10value_typeET2_T3_PNS10_IS15_E10value_typeET4_jRbjT5_S1B_jjP12ihipStream_tbEUljE_EEESW_SX_SY_S15_S19_S1B_T6_T7_T9_mT8_S1D_bDpT10_ENKUlT_T0_E_clISt17integral_constantIbLb0EES1P_IbLb1EEEEDaS1L_S1M_EUlS1L_E_NS1_11comp_targetILNS1_3genE2ELNS1_11target_archE906ELNS1_3gpuE6ELNS1_3repE0EEENS1_30default_config_static_selectorELNS0_4arch9wavefront6targetE0EEEvSZ_
; %bb.0:
	.section	.rodata,"a",@progbits
	.p2align	6, 0x0
	.amdhsa_kernel _ZN7rocprim17ROCPRIM_400000_NS6detail17trampoline_kernelINS0_13select_configILj256ELj13ELNS0_17block_load_methodE3ELS4_3ELS4_3ELNS0_20block_scan_algorithmE0ELj4294967295EEENS1_25partition_config_selectorILNS1_17partition_subalgoE3EjNS0_10empty_typeEbEEZZNS1_14partition_implILS8_3ELb0ES6_jNS0_17counting_iteratorIjlEEPS9_SE_NS0_5tupleIJPjSE_EEENSF_IJSE_SE_EEES9_SG_JZNS1_25segmented_radix_sort_implINS0_14default_configELb1EPK12hip_bfloat16PSL_PKlPlN2at6native12_GLOBAL__N_18offset_tEEE10hipError_tPvRmT1_PNSt15iterator_traitsISZ_E10value_typeET2_T3_PNS10_IS15_E10value_typeET4_jRbjT5_S1B_jjP12ihipStream_tbEUljE_EEESW_SX_SY_S15_S19_S1B_T6_T7_T9_mT8_S1D_bDpT10_ENKUlT_T0_E_clISt17integral_constantIbLb0EES1P_IbLb1EEEEDaS1L_S1M_EUlS1L_E_NS1_11comp_targetILNS1_3genE2ELNS1_11target_archE906ELNS1_3gpuE6ELNS1_3repE0EEENS1_30default_config_static_selectorELNS0_4arch9wavefront6targetE0EEEvSZ_
		.amdhsa_group_segment_fixed_size 0
		.amdhsa_private_segment_fixed_size 0
		.amdhsa_kernarg_size 152
		.amdhsa_user_sgpr_count 6
		.amdhsa_user_sgpr_private_segment_buffer 1
		.amdhsa_user_sgpr_dispatch_ptr 0
		.amdhsa_user_sgpr_queue_ptr 0
		.amdhsa_user_sgpr_kernarg_segment_ptr 1
		.amdhsa_user_sgpr_dispatch_id 0
		.amdhsa_user_sgpr_flat_scratch_init 0
		.amdhsa_user_sgpr_private_segment_size 0
		.amdhsa_wavefront_size32 1
		.amdhsa_uses_dynamic_stack 0
		.amdhsa_system_sgpr_private_segment_wavefront_offset 0
		.amdhsa_system_sgpr_workgroup_id_x 1
		.amdhsa_system_sgpr_workgroup_id_y 0
		.amdhsa_system_sgpr_workgroup_id_z 0
		.amdhsa_system_sgpr_workgroup_info 0
		.amdhsa_system_vgpr_workitem_id 0
		.amdhsa_next_free_vgpr 1
		.amdhsa_next_free_sgpr 1
		.amdhsa_reserve_vcc 0
		.amdhsa_reserve_flat_scratch 0
		.amdhsa_float_round_mode_32 0
		.amdhsa_float_round_mode_16_64 0
		.amdhsa_float_denorm_mode_32 3
		.amdhsa_float_denorm_mode_16_64 3
		.amdhsa_dx10_clamp 1
		.amdhsa_ieee_mode 1
		.amdhsa_fp16_overflow 0
		.amdhsa_workgroup_processor_mode 1
		.amdhsa_memory_ordered 1
		.amdhsa_forward_progress 1
		.amdhsa_shared_vgpr_count 0
		.amdhsa_exception_fp_ieee_invalid_op 0
		.amdhsa_exception_fp_denorm_src 0
		.amdhsa_exception_fp_ieee_div_zero 0
		.amdhsa_exception_fp_ieee_overflow 0
		.amdhsa_exception_fp_ieee_underflow 0
		.amdhsa_exception_fp_ieee_inexact 0
		.amdhsa_exception_int_div_zero 0
	.end_amdhsa_kernel
	.section	.text._ZN7rocprim17ROCPRIM_400000_NS6detail17trampoline_kernelINS0_13select_configILj256ELj13ELNS0_17block_load_methodE3ELS4_3ELS4_3ELNS0_20block_scan_algorithmE0ELj4294967295EEENS1_25partition_config_selectorILNS1_17partition_subalgoE3EjNS0_10empty_typeEbEEZZNS1_14partition_implILS8_3ELb0ES6_jNS0_17counting_iteratorIjlEEPS9_SE_NS0_5tupleIJPjSE_EEENSF_IJSE_SE_EEES9_SG_JZNS1_25segmented_radix_sort_implINS0_14default_configELb1EPK12hip_bfloat16PSL_PKlPlN2at6native12_GLOBAL__N_18offset_tEEE10hipError_tPvRmT1_PNSt15iterator_traitsISZ_E10value_typeET2_T3_PNS10_IS15_E10value_typeET4_jRbjT5_S1B_jjP12ihipStream_tbEUljE_EEESW_SX_SY_S15_S19_S1B_T6_T7_T9_mT8_S1D_bDpT10_ENKUlT_T0_E_clISt17integral_constantIbLb0EES1P_IbLb1EEEEDaS1L_S1M_EUlS1L_E_NS1_11comp_targetILNS1_3genE2ELNS1_11target_archE906ELNS1_3gpuE6ELNS1_3repE0EEENS1_30default_config_static_selectorELNS0_4arch9wavefront6targetE0EEEvSZ_,"axG",@progbits,_ZN7rocprim17ROCPRIM_400000_NS6detail17trampoline_kernelINS0_13select_configILj256ELj13ELNS0_17block_load_methodE3ELS4_3ELS4_3ELNS0_20block_scan_algorithmE0ELj4294967295EEENS1_25partition_config_selectorILNS1_17partition_subalgoE3EjNS0_10empty_typeEbEEZZNS1_14partition_implILS8_3ELb0ES6_jNS0_17counting_iteratorIjlEEPS9_SE_NS0_5tupleIJPjSE_EEENSF_IJSE_SE_EEES9_SG_JZNS1_25segmented_radix_sort_implINS0_14default_configELb1EPK12hip_bfloat16PSL_PKlPlN2at6native12_GLOBAL__N_18offset_tEEE10hipError_tPvRmT1_PNSt15iterator_traitsISZ_E10value_typeET2_T3_PNS10_IS15_E10value_typeET4_jRbjT5_S1B_jjP12ihipStream_tbEUljE_EEESW_SX_SY_S15_S19_S1B_T6_T7_T9_mT8_S1D_bDpT10_ENKUlT_T0_E_clISt17integral_constantIbLb0EES1P_IbLb1EEEEDaS1L_S1M_EUlS1L_E_NS1_11comp_targetILNS1_3genE2ELNS1_11target_archE906ELNS1_3gpuE6ELNS1_3repE0EEENS1_30default_config_static_selectorELNS0_4arch9wavefront6targetE0EEEvSZ_,comdat
.Lfunc_end1932:
	.size	_ZN7rocprim17ROCPRIM_400000_NS6detail17trampoline_kernelINS0_13select_configILj256ELj13ELNS0_17block_load_methodE3ELS4_3ELS4_3ELNS0_20block_scan_algorithmE0ELj4294967295EEENS1_25partition_config_selectorILNS1_17partition_subalgoE3EjNS0_10empty_typeEbEEZZNS1_14partition_implILS8_3ELb0ES6_jNS0_17counting_iteratorIjlEEPS9_SE_NS0_5tupleIJPjSE_EEENSF_IJSE_SE_EEES9_SG_JZNS1_25segmented_radix_sort_implINS0_14default_configELb1EPK12hip_bfloat16PSL_PKlPlN2at6native12_GLOBAL__N_18offset_tEEE10hipError_tPvRmT1_PNSt15iterator_traitsISZ_E10value_typeET2_T3_PNS10_IS15_E10value_typeET4_jRbjT5_S1B_jjP12ihipStream_tbEUljE_EEESW_SX_SY_S15_S19_S1B_T6_T7_T9_mT8_S1D_bDpT10_ENKUlT_T0_E_clISt17integral_constantIbLb0EES1P_IbLb1EEEEDaS1L_S1M_EUlS1L_E_NS1_11comp_targetILNS1_3genE2ELNS1_11target_archE906ELNS1_3gpuE6ELNS1_3repE0EEENS1_30default_config_static_selectorELNS0_4arch9wavefront6targetE0EEEvSZ_, .Lfunc_end1932-_ZN7rocprim17ROCPRIM_400000_NS6detail17trampoline_kernelINS0_13select_configILj256ELj13ELNS0_17block_load_methodE3ELS4_3ELS4_3ELNS0_20block_scan_algorithmE0ELj4294967295EEENS1_25partition_config_selectorILNS1_17partition_subalgoE3EjNS0_10empty_typeEbEEZZNS1_14partition_implILS8_3ELb0ES6_jNS0_17counting_iteratorIjlEEPS9_SE_NS0_5tupleIJPjSE_EEENSF_IJSE_SE_EEES9_SG_JZNS1_25segmented_radix_sort_implINS0_14default_configELb1EPK12hip_bfloat16PSL_PKlPlN2at6native12_GLOBAL__N_18offset_tEEE10hipError_tPvRmT1_PNSt15iterator_traitsISZ_E10value_typeET2_T3_PNS10_IS15_E10value_typeET4_jRbjT5_S1B_jjP12ihipStream_tbEUljE_EEESW_SX_SY_S15_S19_S1B_T6_T7_T9_mT8_S1D_bDpT10_ENKUlT_T0_E_clISt17integral_constantIbLb0EES1P_IbLb1EEEEDaS1L_S1M_EUlS1L_E_NS1_11comp_targetILNS1_3genE2ELNS1_11target_archE906ELNS1_3gpuE6ELNS1_3repE0EEENS1_30default_config_static_selectorELNS0_4arch9wavefront6targetE0EEEvSZ_
                                        ; -- End function
	.set _ZN7rocprim17ROCPRIM_400000_NS6detail17trampoline_kernelINS0_13select_configILj256ELj13ELNS0_17block_load_methodE3ELS4_3ELS4_3ELNS0_20block_scan_algorithmE0ELj4294967295EEENS1_25partition_config_selectorILNS1_17partition_subalgoE3EjNS0_10empty_typeEbEEZZNS1_14partition_implILS8_3ELb0ES6_jNS0_17counting_iteratorIjlEEPS9_SE_NS0_5tupleIJPjSE_EEENSF_IJSE_SE_EEES9_SG_JZNS1_25segmented_radix_sort_implINS0_14default_configELb1EPK12hip_bfloat16PSL_PKlPlN2at6native12_GLOBAL__N_18offset_tEEE10hipError_tPvRmT1_PNSt15iterator_traitsISZ_E10value_typeET2_T3_PNS10_IS15_E10value_typeET4_jRbjT5_S1B_jjP12ihipStream_tbEUljE_EEESW_SX_SY_S15_S19_S1B_T6_T7_T9_mT8_S1D_bDpT10_ENKUlT_T0_E_clISt17integral_constantIbLb0EES1P_IbLb1EEEEDaS1L_S1M_EUlS1L_E_NS1_11comp_targetILNS1_3genE2ELNS1_11target_archE906ELNS1_3gpuE6ELNS1_3repE0EEENS1_30default_config_static_selectorELNS0_4arch9wavefront6targetE0EEEvSZ_.num_vgpr, 0
	.set _ZN7rocprim17ROCPRIM_400000_NS6detail17trampoline_kernelINS0_13select_configILj256ELj13ELNS0_17block_load_methodE3ELS4_3ELS4_3ELNS0_20block_scan_algorithmE0ELj4294967295EEENS1_25partition_config_selectorILNS1_17partition_subalgoE3EjNS0_10empty_typeEbEEZZNS1_14partition_implILS8_3ELb0ES6_jNS0_17counting_iteratorIjlEEPS9_SE_NS0_5tupleIJPjSE_EEENSF_IJSE_SE_EEES9_SG_JZNS1_25segmented_radix_sort_implINS0_14default_configELb1EPK12hip_bfloat16PSL_PKlPlN2at6native12_GLOBAL__N_18offset_tEEE10hipError_tPvRmT1_PNSt15iterator_traitsISZ_E10value_typeET2_T3_PNS10_IS15_E10value_typeET4_jRbjT5_S1B_jjP12ihipStream_tbEUljE_EEESW_SX_SY_S15_S19_S1B_T6_T7_T9_mT8_S1D_bDpT10_ENKUlT_T0_E_clISt17integral_constantIbLb0EES1P_IbLb1EEEEDaS1L_S1M_EUlS1L_E_NS1_11comp_targetILNS1_3genE2ELNS1_11target_archE906ELNS1_3gpuE6ELNS1_3repE0EEENS1_30default_config_static_selectorELNS0_4arch9wavefront6targetE0EEEvSZ_.num_agpr, 0
	.set _ZN7rocprim17ROCPRIM_400000_NS6detail17trampoline_kernelINS0_13select_configILj256ELj13ELNS0_17block_load_methodE3ELS4_3ELS4_3ELNS0_20block_scan_algorithmE0ELj4294967295EEENS1_25partition_config_selectorILNS1_17partition_subalgoE3EjNS0_10empty_typeEbEEZZNS1_14partition_implILS8_3ELb0ES6_jNS0_17counting_iteratorIjlEEPS9_SE_NS0_5tupleIJPjSE_EEENSF_IJSE_SE_EEES9_SG_JZNS1_25segmented_radix_sort_implINS0_14default_configELb1EPK12hip_bfloat16PSL_PKlPlN2at6native12_GLOBAL__N_18offset_tEEE10hipError_tPvRmT1_PNSt15iterator_traitsISZ_E10value_typeET2_T3_PNS10_IS15_E10value_typeET4_jRbjT5_S1B_jjP12ihipStream_tbEUljE_EEESW_SX_SY_S15_S19_S1B_T6_T7_T9_mT8_S1D_bDpT10_ENKUlT_T0_E_clISt17integral_constantIbLb0EES1P_IbLb1EEEEDaS1L_S1M_EUlS1L_E_NS1_11comp_targetILNS1_3genE2ELNS1_11target_archE906ELNS1_3gpuE6ELNS1_3repE0EEENS1_30default_config_static_selectorELNS0_4arch9wavefront6targetE0EEEvSZ_.numbered_sgpr, 0
	.set _ZN7rocprim17ROCPRIM_400000_NS6detail17trampoline_kernelINS0_13select_configILj256ELj13ELNS0_17block_load_methodE3ELS4_3ELS4_3ELNS0_20block_scan_algorithmE0ELj4294967295EEENS1_25partition_config_selectorILNS1_17partition_subalgoE3EjNS0_10empty_typeEbEEZZNS1_14partition_implILS8_3ELb0ES6_jNS0_17counting_iteratorIjlEEPS9_SE_NS0_5tupleIJPjSE_EEENSF_IJSE_SE_EEES9_SG_JZNS1_25segmented_radix_sort_implINS0_14default_configELb1EPK12hip_bfloat16PSL_PKlPlN2at6native12_GLOBAL__N_18offset_tEEE10hipError_tPvRmT1_PNSt15iterator_traitsISZ_E10value_typeET2_T3_PNS10_IS15_E10value_typeET4_jRbjT5_S1B_jjP12ihipStream_tbEUljE_EEESW_SX_SY_S15_S19_S1B_T6_T7_T9_mT8_S1D_bDpT10_ENKUlT_T0_E_clISt17integral_constantIbLb0EES1P_IbLb1EEEEDaS1L_S1M_EUlS1L_E_NS1_11comp_targetILNS1_3genE2ELNS1_11target_archE906ELNS1_3gpuE6ELNS1_3repE0EEENS1_30default_config_static_selectorELNS0_4arch9wavefront6targetE0EEEvSZ_.num_named_barrier, 0
	.set _ZN7rocprim17ROCPRIM_400000_NS6detail17trampoline_kernelINS0_13select_configILj256ELj13ELNS0_17block_load_methodE3ELS4_3ELS4_3ELNS0_20block_scan_algorithmE0ELj4294967295EEENS1_25partition_config_selectorILNS1_17partition_subalgoE3EjNS0_10empty_typeEbEEZZNS1_14partition_implILS8_3ELb0ES6_jNS0_17counting_iteratorIjlEEPS9_SE_NS0_5tupleIJPjSE_EEENSF_IJSE_SE_EEES9_SG_JZNS1_25segmented_radix_sort_implINS0_14default_configELb1EPK12hip_bfloat16PSL_PKlPlN2at6native12_GLOBAL__N_18offset_tEEE10hipError_tPvRmT1_PNSt15iterator_traitsISZ_E10value_typeET2_T3_PNS10_IS15_E10value_typeET4_jRbjT5_S1B_jjP12ihipStream_tbEUljE_EEESW_SX_SY_S15_S19_S1B_T6_T7_T9_mT8_S1D_bDpT10_ENKUlT_T0_E_clISt17integral_constantIbLb0EES1P_IbLb1EEEEDaS1L_S1M_EUlS1L_E_NS1_11comp_targetILNS1_3genE2ELNS1_11target_archE906ELNS1_3gpuE6ELNS1_3repE0EEENS1_30default_config_static_selectorELNS0_4arch9wavefront6targetE0EEEvSZ_.private_seg_size, 0
	.set _ZN7rocprim17ROCPRIM_400000_NS6detail17trampoline_kernelINS0_13select_configILj256ELj13ELNS0_17block_load_methodE3ELS4_3ELS4_3ELNS0_20block_scan_algorithmE0ELj4294967295EEENS1_25partition_config_selectorILNS1_17partition_subalgoE3EjNS0_10empty_typeEbEEZZNS1_14partition_implILS8_3ELb0ES6_jNS0_17counting_iteratorIjlEEPS9_SE_NS0_5tupleIJPjSE_EEENSF_IJSE_SE_EEES9_SG_JZNS1_25segmented_radix_sort_implINS0_14default_configELb1EPK12hip_bfloat16PSL_PKlPlN2at6native12_GLOBAL__N_18offset_tEEE10hipError_tPvRmT1_PNSt15iterator_traitsISZ_E10value_typeET2_T3_PNS10_IS15_E10value_typeET4_jRbjT5_S1B_jjP12ihipStream_tbEUljE_EEESW_SX_SY_S15_S19_S1B_T6_T7_T9_mT8_S1D_bDpT10_ENKUlT_T0_E_clISt17integral_constantIbLb0EES1P_IbLb1EEEEDaS1L_S1M_EUlS1L_E_NS1_11comp_targetILNS1_3genE2ELNS1_11target_archE906ELNS1_3gpuE6ELNS1_3repE0EEENS1_30default_config_static_selectorELNS0_4arch9wavefront6targetE0EEEvSZ_.uses_vcc, 0
	.set _ZN7rocprim17ROCPRIM_400000_NS6detail17trampoline_kernelINS0_13select_configILj256ELj13ELNS0_17block_load_methodE3ELS4_3ELS4_3ELNS0_20block_scan_algorithmE0ELj4294967295EEENS1_25partition_config_selectorILNS1_17partition_subalgoE3EjNS0_10empty_typeEbEEZZNS1_14partition_implILS8_3ELb0ES6_jNS0_17counting_iteratorIjlEEPS9_SE_NS0_5tupleIJPjSE_EEENSF_IJSE_SE_EEES9_SG_JZNS1_25segmented_radix_sort_implINS0_14default_configELb1EPK12hip_bfloat16PSL_PKlPlN2at6native12_GLOBAL__N_18offset_tEEE10hipError_tPvRmT1_PNSt15iterator_traitsISZ_E10value_typeET2_T3_PNS10_IS15_E10value_typeET4_jRbjT5_S1B_jjP12ihipStream_tbEUljE_EEESW_SX_SY_S15_S19_S1B_T6_T7_T9_mT8_S1D_bDpT10_ENKUlT_T0_E_clISt17integral_constantIbLb0EES1P_IbLb1EEEEDaS1L_S1M_EUlS1L_E_NS1_11comp_targetILNS1_3genE2ELNS1_11target_archE906ELNS1_3gpuE6ELNS1_3repE0EEENS1_30default_config_static_selectorELNS0_4arch9wavefront6targetE0EEEvSZ_.uses_flat_scratch, 0
	.set _ZN7rocprim17ROCPRIM_400000_NS6detail17trampoline_kernelINS0_13select_configILj256ELj13ELNS0_17block_load_methodE3ELS4_3ELS4_3ELNS0_20block_scan_algorithmE0ELj4294967295EEENS1_25partition_config_selectorILNS1_17partition_subalgoE3EjNS0_10empty_typeEbEEZZNS1_14partition_implILS8_3ELb0ES6_jNS0_17counting_iteratorIjlEEPS9_SE_NS0_5tupleIJPjSE_EEENSF_IJSE_SE_EEES9_SG_JZNS1_25segmented_radix_sort_implINS0_14default_configELb1EPK12hip_bfloat16PSL_PKlPlN2at6native12_GLOBAL__N_18offset_tEEE10hipError_tPvRmT1_PNSt15iterator_traitsISZ_E10value_typeET2_T3_PNS10_IS15_E10value_typeET4_jRbjT5_S1B_jjP12ihipStream_tbEUljE_EEESW_SX_SY_S15_S19_S1B_T6_T7_T9_mT8_S1D_bDpT10_ENKUlT_T0_E_clISt17integral_constantIbLb0EES1P_IbLb1EEEEDaS1L_S1M_EUlS1L_E_NS1_11comp_targetILNS1_3genE2ELNS1_11target_archE906ELNS1_3gpuE6ELNS1_3repE0EEENS1_30default_config_static_selectorELNS0_4arch9wavefront6targetE0EEEvSZ_.has_dyn_sized_stack, 0
	.set _ZN7rocprim17ROCPRIM_400000_NS6detail17trampoline_kernelINS0_13select_configILj256ELj13ELNS0_17block_load_methodE3ELS4_3ELS4_3ELNS0_20block_scan_algorithmE0ELj4294967295EEENS1_25partition_config_selectorILNS1_17partition_subalgoE3EjNS0_10empty_typeEbEEZZNS1_14partition_implILS8_3ELb0ES6_jNS0_17counting_iteratorIjlEEPS9_SE_NS0_5tupleIJPjSE_EEENSF_IJSE_SE_EEES9_SG_JZNS1_25segmented_radix_sort_implINS0_14default_configELb1EPK12hip_bfloat16PSL_PKlPlN2at6native12_GLOBAL__N_18offset_tEEE10hipError_tPvRmT1_PNSt15iterator_traitsISZ_E10value_typeET2_T3_PNS10_IS15_E10value_typeET4_jRbjT5_S1B_jjP12ihipStream_tbEUljE_EEESW_SX_SY_S15_S19_S1B_T6_T7_T9_mT8_S1D_bDpT10_ENKUlT_T0_E_clISt17integral_constantIbLb0EES1P_IbLb1EEEEDaS1L_S1M_EUlS1L_E_NS1_11comp_targetILNS1_3genE2ELNS1_11target_archE906ELNS1_3gpuE6ELNS1_3repE0EEENS1_30default_config_static_selectorELNS0_4arch9wavefront6targetE0EEEvSZ_.has_recursion, 0
	.set _ZN7rocprim17ROCPRIM_400000_NS6detail17trampoline_kernelINS0_13select_configILj256ELj13ELNS0_17block_load_methodE3ELS4_3ELS4_3ELNS0_20block_scan_algorithmE0ELj4294967295EEENS1_25partition_config_selectorILNS1_17partition_subalgoE3EjNS0_10empty_typeEbEEZZNS1_14partition_implILS8_3ELb0ES6_jNS0_17counting_iteratorIjlEEPS9_SE_NS0_5tupleIJPjSE_EEENSF_IJSE_SE_EEES9_SG_JZNS1_25segmented_radix_sort_implINS0_14default_configELb1EPK12hip_bfloat16PSL_PKlPlN2at6native12_GLOBAL__N_18offset_tEEE10hipError_tPvRmT1_PNSt15iterator_traitsISZ_E10value_typeET2_T3_PNS10_IS15_E10value_typeET4_jRbjT5_S1B_jjP12ihipStream_tbEUljE_EEESW_SX_SY_S15_S19_S1B_T6_T7_T9_mT8_S1D_bDpT10_ENKUlT_T0_E_clISt17integral_constantIbLb0EES1P_IbLb1EEEEDaS1L_S1M_EUlS1L_E_NS1_11comp_targetILNS1_3genE2ELNS1_11target_archE906ELNS1_3gpuE6ELNS1_3repE0EEENS1_30default_config_static_selectorELNS0_4arch9wavefront6targetE0EEEvSZ_.has_indirect_call, 0
	.section	.AMDGPU.csdata,"",@progbits
; Kernel info:
; codeLenInByte = 0
; TotalNumSgprs: 0
; NumVgprs: 0
; ScratchSize: 0
; MemoryBound: 0
; FloatMode: 240
; IeeeMode: 1
; LDSByteSize: 0 bytes/workgroup (compile time only)
; SGPRBlocks: 0
; VGPRBlocks: 0
; NumSGPRsForWavesPerEU: 1
; NumVGPRsForWavesPerEU: 1
; Occupancy: 16
; WaveLimiterHint : 0
; COMPUTE_PGM_RSRC2:SCRATCH_EN: 0
; COMPUTE_PGM_RSRC2:USER_SGPR: 6
; COMPUTE_PGM_RSRC2:TRAP_HANDLER: 0
; COMPUTE_PGM_RSRC2:TGID_X_EN: 1
; COMPUTE_PGM_RSRC2:TGID_Y_EN: 0
; COMPUTE_PGM_RSRC2:TGID_Z_EN: 0
; COMPUTE_PGM_RSRC2:TIDIG_COMP_CNT: 0
	.section	.text._ZN7rocprim17ROCPRIM_400000_NS6detail17trampoline_kernelINS0_13select_configILj256ELj13ELNS0_17block_load_methodE3ELS4_3ELS4_3ELNS0_20block_scan_algorithmE0ELj4294967295EEENS1_25partition_config_selectorILNS1_17partition_subalgoE3EjNS0_10empty_typeEbEEZZNS1_14partition_implILS8_3ELb0ES6_jNS0_17counting_iteratorIjlEEPS9_SE_NS0_5tupleIJPjSE_EEENSF_IJSE_SE_EEES9_SG_JZNS1_25segmented_radix_sort_implINS0_14default_configELb1EPK12hip_bfloat16PSL_PKlPlN2at6native12_GLOBAL__N_18offset_tEEE10hipError_tPvRmT1_PNSt15iterator_traitsISZ_E10value_typeET2_T3_PNS10_IS15_E10value_typeET4_jRbjT5_S1B_jjP12ihipStream_tbEUljE_EEESW_SX_SY_S15_S19_S1B_T6_T7_T9_mT8_S1D_bDpT10_ENKUlT_T0_E_clISt17integral_constantIbLb0EES1P_IbLb1EEEEDaS1L_S1M_EUlS1L_E_NS1_11comp_targetILNS1_3genE10ELNS1_11target_archE1200ELNS1_3gpuE4ELNS1_3repE0EEENS1_30default_config_static_selectorELNS0_4arch9wavefront6targetE0EEEvSZ_,"axG",@progbits,_ZN7rocprim17ROCPRIM_400000_NS6detail17trampoline_kernelINS0_13select_configILj256ELj13ELNS0_17block_load_methodE3ELS4_3ELS4_3ELNS0_20block_scan_algorithmE0ELj4294967295EEENS1_25partition_config_selectorILNS1_17partition_subalgoE3EjNS0_10empty_typeEbEEZZNS1_14partition_implILS8_3ELb0ES6_jNS0_17counting_iteratorIjlEEPS9_SE_NS0_5tupleIJPjSE_EEENSF_IJSE_SE_EEES9_SG_JZNS1_25segmented_radix_sort_implINS0_14default_configELb1EPK12hip_bfloat16PSL_PKlPlN2at6native12_GLOBAL__N_18offset_tEEE10hipError_tPvRmT1_PNSt15iterator_traitsISZ_E10value_typeET2_T3_PNS10_IS15_E10value_typeET4_jRbjT5_S1B_jjP12ihipStream_tbEUljE_EEESW_SX_SY_S15_S19_S1B_T6_T7_T9_mT8_S1D_bDpT10_ENKUlT_T0_E_clISt17integral_constantIbLb0EES1P_IbLb1EEEEDaS1L_S1M_EUlS1L_E_NS1_11comp_targetILNS1_3genE10ELNS1_11target_archE1200ELNS1_3gpuE4ELNS1_3repE0EEENS1_30default_config_static_selectorELNS0_4arch9wavefront6targetE0EEEvSZ_,comdat
	.globl	_ZN7rocprim17ROCPRIM_400000_NS6detail17trampoline_kernelINS0_13select_configILj256ELj13ELNS0_17block_load_methodE3ELS4_3ELS4_3ELNS0_20block_scan_algorithmE0ELj4294967295EEENS1_25partition_config_selectorILNS1_17partition_subalgoE3EjNS0_10empty_typeEbEEZZNS1_14partition_implILS8_3ELb0ES6_jNS0_17counting_iteratorIjlEEPS9_SE_NS0_5tupleIJPjSE_EEENSF_IJSE_SE_EEES9_SG_JZNS1_25segmented_radix_sort_implINS0_14default_configELb1EPK12hip_bfloat16PSL_PKlPlN2at6native12_GLOBAL__N_18offset_tEEE10hipError_tPvRmT1_PNSt15iterator_traitsISZ_E10value_typeET2_T3_PNS10_IS15_E10value_typeET4_jRbjT5_S1B_jjP12ihipStream_tbEUljE_EEESW_SX_SY_S15_S19_S1B_T6_T7_T9_mT8_S1D_bDpT10_ENKUlT_T0_E_clISt17integral_constantIbLb0EES1P_IbLb1EEEEDaS1L_S1M_EUlS1L_E_NS1_11comp_targetILNS1_3genE10ELNS1_11target_archE1200ELNS1_3gpuE4ELNS1_3repE0EEENS1_30default_config_static_selectorELNS0_4arch9wavefront6targetE0EEEvSZ_ ; -- Begin function _ZN7rocprim17ROCPRIM_400000_NS6detail17trampoline_kernelINS0_13select_configILj256ELj13ELNS0_17block_load_methodE3ELS4_3ELS4_3ELNS0_20block_scan_algorithmE0ELj4294967295EEENS1_25partition_config_selectorILNS1_17partition_subalgoE3EjNS0_10empty_typeEbEEZZNS1_14partition_implILS8_3ELb0ES6_jNS0_17counting_iteratorIjlEEPS9_SE_NS0_5tupleIJPjSE_EEENSF_IJSE_SE_EEES9_SG_JZNS1_25segmented_radix_sort_implINS0_14default_configELb1EPK12hip_bfloat16PSL_PKlPlN2at6native12_GLOBAL__N_18offset_tEEE10hipError_tPvRmT1_PNSt15iterator_traitsISZ_E10value_typeET2_T3_PNS10_IS15_E10value_typeET4_jRbjT5_S1B_jjP12ihipStream_tbEUljE_EEESW_SX_SY_S15_S19_S1B_T6_T7_T9_mT8_S1D_bDpT10_ENKUlT_T0_E_clISt17integral_constantIbLb0EES1P_IbLb1EEEEDaS1L_S1M_EUlS1L_E_NS1_11comp_targetILNS1_3genE10ELNS1_11target_archE1200ELNS1_3gpuE4ELNS1_3repE0EEENS1_30default_config_static_selectorELNS0_4arch9wavefront6targetE0EEEvSZ_
	.p2align	8
	.type	_ZN7rocprim17ROCPRIM_400000_NS6detail17trampoline_kernelINS0_13select_configILj256ELj13ELNS0_17block_load_methodE3ELS4_3ELS4_3ELNS0_20block_scan_algorithmE0ELj4294967295EEENS1_25partition_config_selectorILNS1_17partition_subalgoE3EjNS0_10empty_typeEbEEZZNS1_14partition_implILS8_3ELb0ES6_jNS0_17counting_iteratorIjlEEPS9_SE_NS0_5tupleIJPjSE_EEENSF_IJSE_SE_EEES9_SG_JZNS1_25segmented_radix_sort_implINS0_14default_configELb1EPK12hip_bfloat16PSL_PKlPlN2at6native12_GLOBAL__N_18offset_tEEE10hipError_tPvRmT1_PNSt15iterator_traitsISZ_E10value_typeET2_T3_PNS10_IS15_E10value_typeET4_jRbjT5_S1B_jjP12ihipStream_tbEUljE_EEESW_SX_SY_S15_S19_S1B_T6_T7_T9_mT8_S1D_bDpT10_ENKUlT_T0_E_clISt17integral_constantIbLb0EES1P_IbLb1EEEEDaS1L_S1M_EUlS1L_E_NS1_11comp_targetILNS1_3genE10ELNS1_11target_archE1200ELNS1_3gpuE4ELNS1_3repE0EEENS1_30default_config_static_selectorELNS0_4arch9wavefront6targetE0EEEvSZ_,@function
_ZN7rocprim17ROCPRIM_400000_NS6detail17trampoline_kernelINS0_13select_configILj256ELj13ELNS0_17block_load_methodE3ELS4_3ELS4_3ELNS0_20block_scan_algorithmE0ELj4294967295EEENS1_25partition_config_selectorILNS1_17partition_subalgoE3EjNS0_10empty_typeEbEEZZNS1_14partition_implILS8_3ELb0ES6_jNS0_17counting_iteratorIjlEEPS9_SE_NS0_5tupleIJPjSE_EEENSF_IJSE_SE_EEES9_SG_JZNS1_25segmented_radix_sort_implINS0_14default_configELb1EPK12hip_bfloat16PSL_PKlPlN2at6native12_GLOBAL__N_18offset_tEEE10hipError_tPvRmT1_PNSt15iterator_traitsISZ_E10value_typeET2_T3_PNS10_IS15_E10value_typeET4_jRbjT5_S1B_jjP12ihipStream_tbEUljE_EEESW_SX_SY_S15_S19_S1B_T6_T7_T9_mT8_S1D_bDpT10_ENKUlT_T0_E_clISt17integral_constantIbLb0EES1P_IbLb1EEEEDaS1L_S1M_EUlS1L_E_NS1_11comp_targetILNS1_3genE10ELNS1_11target_archE1200ELNS1_3gpuE4ELNS1_3repE0EEENS1_30default_config_static_selectorELNS0_4arch9wavefront6targetE0EEEvSZ_: ; @_ZN7rocprim17ROCPRIM_400000_NS6detail17trampoline_kernelINS0_13select_configILj256ELj13ELNS0_17block_load_methodE3ELS4_3ELS4_3ELNS0_20block_scan_algorithmE0ELj4294967295EEENS1_25partition_config_selectorILNS1_17partition_subalgoE3EjNS0_10empty_typeEbEEZZNS1_14partition_implILS8_3ELb0ES6_jNS0_17counting_iteratorIjlEEPS9_SE_NS0_5tupleIJPjSE_EEENSF_IJSE_SE_EEES9_SG_JZNS1_25segmented_radix_sort_implINS0_14default_configELb1EPK12hip_bfloat16PSL_PKlPlN2at6native12_GLOBAL__N_18offset_tEEE10hipError_tPvRmT1_PNSt15iterator_traitsISZ_E10value_typeET2_T3_PNS10_IS15_E10value_typeET4_jRbjT5_S1B_jjP12ihipStream_tbEUljE_EEESW_SX_SY_S15_S19_S1B_T6_T7_T9_mT8_S1D_bDpT10_ENKUlT_T0_E_clISt17integral_constantIbLb0EES1P_IbLb1EEEEDaS1L_S1M_EUlS1L_E_NS1_11comp_targetILNS1_3genE10ELNS1_11target_archE1200ELNS1_3gpuE4ELNS1_3repE0EEENS1_30default_config_static_selectorELNS0_4arch9wavefront6targetE0EEEvSZ_
; %bb.0:
	.section	.rodata,"a",@progbits
	.p2align	6, 0x0
	.amdhsa_kernel _ZN7rocprim17ROCPRIM_400000_NS6detail17trampoline_kernelINS0_13select_configILj256ELj13ELNS0_17block_load_methodE3ELS4_3ELS4_3ELNS0_20block_scan_algorithmE0ELj4294967295EEENS1_25partition_config_selectorILNS1_17partition_subalgoE3EjNS0_10empty_typeEbEEZZNS1_14partition_implILS8_3ELb0ES6_jNS0_17counting_iteratorIjlEEPS9_SE_NS0_5tupleIJPjSE_EEENSF_IJSE_SE_EEES9_SG_JZNS1_25segmented_radix_sort_implINS0_14default_configELb1EPK12hip_bfloat16PSL_PKlPlN2at6native12_GLOBAL__N_18offset_tEEE10hipError_tPvRmT1_PNSt15iterator_traitsISZ_E10value_typeET2_T3_PNS10_IS15_E10value_typeET4_jRbjT5_S1B_jjP12ihipStream_tbEUljE_EEESW_SX_SY_S15_S19_S1B_T6_T7_T9_mT8_S1D_bDpT10_ENKUlT_T0_E_clISt17integral_constantIbLb0EES1P_IbLb1EEEEDaS1L_S1M_EUlS1L_E_NS1_11comp_targetILNS1_3genE10ELNS1_11target_archE1200ELNS1_3gpuE4ELNS1_3repE0EEENS1_30default_config_static_selectorELNS0_4arch9wavefront6targetE0EEEvSZ_
		.amdhsa_group_segment_fixed_size 0
		.amdhsa_private_segment_fixed_size 0
		.amdhsa_kernarg_size 152
		.amdhsa_user_sgpr_count 6
		.amdhsa_user_sgpr_private_segment_buffer 1
		.amdhsa_user_sgpr_dispatch_ptr 0
		.amdhsa_user_sgpr_queue_ptr 0
		.amdhsa_user_sgpr_kernarg_segment_ptr 1
		.amdhsa_user_sgpr_dispatch_id 0
		.amdhsa_user_sgpr_flat_scratch_init 0
		.amdhsa_user_sgpr_private_segment_size 0
		.amdhsa_wavefront_size32 1
		.amdhsa_uses_dynamic_stack 0
		.amdhsa_system_sgpr_private_segment_wavefront_offset 0
		.amdhsa_system_sgpr_workgroup_id_x 1
		.amdhsa_system_sgpr_workgroup_id_y 0
		.amdhsa_system_sgpr_workgroup_id_z 0
		.amdhsa_system_sgpr_workgroup_info 0
		.amdhsa_system_vgpr_workitem_id 0
		.amdhsa_next_free_vgpr 1
		.amdhsa_next_free_sgpr 1
		.amdhsa_reserve_vcc 0
		.amdhsa_reserve_flat_scratch 0
		.amdhsa_float_round_mode_32 0
		.amdhsa_float_round_mode_16_64 0
		.amdhsa_float_denorm_mode_32 3
		.amdhsa_float_denorm_mode_16_64 3
		.amdhsa_dx10_clamp 1
		.amdhsa_ieee_mode 1
		.amdhsa_fp16_overflow 0
		.amdhsa_workgroup_processor_mode 1
		.amdhsa_memory_ordered 1
		.amdhsa_forward_progress 1
		.amdhsa_shared_vgpr_count 0
		.amdhsa_exception_fp_ieee_invalid_op 0
		.amdhsa_exception_fp_denorm_src 0
		.amdhsa_exception_fp_ieee_div_zero 0
		.amdhsa_exception_fp_ieee_overflow 0
		.amdhsa_exception_fp_ieee_underflow 0
		.amdhsa_exception_fp_ieee_inexact 0
		.amdhsa_exception_int_div_zero 0
	.end_amdhsa_kernel
	.section	.text._ZN7rocprim17ROCPRIM_400000_NS6detail17trampoline_kernelINS0_13select_configILj256ELj13ELNS0_17block_load_methodE3ELS4_3ELS4_3ELNS0_20block_scan_algorithmE0ELj4294967295EEENS1_25partition_config_selectorILNS1_17partition_subalgoE3EjNS0_10empty_typeEbEEZZNS1_14partition_implILS8_3ELb0ES6_jNS0_17counting_iteratorIjlEEPS9_SE_NS0_5tupleIJPjSE_EEENSF_IJSE_SE_EEES9_SG_JZNS1_25segmented_radix_sort_implINS0_14default_configELb1EPK12hip_bfloat16PSL_PKlPlN2at6native12_GLOBAL__N_18offset_tEEE10hipError_tPvRmT1_PNSt15iterator_traitsISZ_E10value_typeET2_T3_PNS10_IS15_E10value_typeET4_jRbjT5_S1B_jjP12ihipStream_tbEUljE_EEESW_SX_SY_S15_S19_S1B_T6_T7_T9_mT8_S1D_bDpT10_ENKUlT_T0_E_clISt17integral_constantIbLb0EES1P_IbLb1EEEEDaS1L_S1M_EUlS1L_E_NS1_11comp_targetILNS1_3genE10ELNS1_11target_archE1200ELNS1_3gpuE4ELNS1_3repE0EEENS1_30default_config_static_selectorELNS0_4arch9wavefront6targetE0EEEvSZ_,"axG",@progbits,_ZN7rocprim17ROCPRIM_400000_NS6detail17trampoline_kernelINS0_13select_configILj256ELj13ELNS0_17block_load_methodE3ELS4_3ELS4_3ELNS0_20block_scan_algorithmE0ELj4294967295EEENS1_25partition_config_selectorILNS1_17partition_subalgoE3EjNS0_10empty_typeEbEEZZNS1_14partition_implILS8_3ELb0ES6_jNS0_17counting_iteratorIjlEEPS9_SE_NS0_5tupleIJPjSE_EEENSF_IJSE_SE_EEES9_SG_JZNS1_25segmented_radix_sort_implINS0_14default_configELb1EPK12hip_bfloat16PSL_PKlPlN2at6native12_GLOBAL__N_18offset_tEEE10hipError_tPvRmT1_PNSt15iterator_traitsISZ_E10value_typeET2_T3_PNS10_IS15_E10value_typeET4_jRbjT5_S1B_jjP12ihipStream_tbEUljE_EEESW_SX_SY_S15_S19_S1B_T6_T7_T9_mT8_S1D_bDpT10_ENKUlT_T0_E_clISt17integral_constantIbLb0EES1P_IbLb1EEEEDaS1L_S1M_EUlS1L_E_NS1_11comp_targetILNS1_3genE10ELNS1_11target_archE1200ELNS1_3gpuE4ELNS1_3repE0EEENS1_30default_config_static_selectorELNS0_4arch9wavefront6targetE0EEEvSZ_,comdat
.Lfunc_end1933:
	.size	_ZN7rocprim17ROCPRIM_400000_NS6detail17trampoline_kernelINS0_13select_configILj256ELj13ELNS0_17block_load_methodE3ELS4_3ELS4_3ELNS0_20block_scan_algorithmE0ELj4294967295EEENS1_25partition_config_selectorILNS1_17partition_subalgoE3EjNS0_10empty_typeEbEEZZNS1_14partition_implILS8_3ELb0ES6_jNS0_17counting_iteratorIjlEEPS9_SE_NS0_5tupleIJPjSE_EEENSF_IJSE_SE_EEES9_SG_JZNS1_25segmented_radix_sort_implINS0_14default_configELb1EPK12hip_bfloat16PSL_PKlPlN2at6native12_GLOBAL__N_18offset_tEEE10hipError_tPvRmT1_PNSt15iterator_traitsISZ_E10value_typeET2_T3_PNS10_IS15_E10value_typeET4_jRbjT5_S1B_jjP12ihipStream_tbEUljE_EEESW_SX_SY_S15_S19_S1B_T6_T7_T9_mT8_S1D_bDpT10_ENKUlT_T0_E_clISt17integral_constantIbLb0EES1P_IbLb1EEEEDaS1L_S1M_EUlS1L_E_NS1_11comp_targetILNS1_3genE10ELNS1_11target_archE1200ELNS1_3gpuE4ELNS1_3repE0EEENS1_30default_config_static_selectorELNS0_4arch9wavefront6targetE0EEEvSZ_, .Lfunc_end1933-_ZN7rocprim17ROCPRIM_400000_NS6detail17trampoline_kernelINS0_13select_configILj256ELj13ELNS0_17block_load_methodE3ELS4_3ELS4_3ELNS0_20block_scan_algorithmE0ELj4294967295EEENS1_25partition_config_selectorILNS1_17partition_subalgoE3EjNS0_10empty_typeEbEEZZNS1_14partition_implILS8_3ELb0ES6_jNS0_17counting_iteratorIjlEEPS9_SE_NS0_5tupleIJPjSE_EEENSF_IJSE_SE_EEES9_SG_JZNS1_25segmented_radix_sort_implINS0_14default_configELb1EPK12hip_bfloat16PSL_PKlPlN2at6native12_GLOBAL__N_18offset_tEEE10hipError_tPvRmT1_PNSt15iterator_traitsISZ_E10value_typeET2_T3_PNS10_IS15_E10value_typeET4_jRbjT5_S1B_jjP12ihipStream_tbEUljE_EEESW_SX_SY_S15_S19_S1B_T6_T7_T9_mT8_S1D_bDpT10_ENKUlT_T0_E_clISt17integral_constantIbLb0EES1P_IbLb1EEEEDaS1L_S1M_EUlS1L_E_NS1_11comp_targetILNS1_3genE10ELNS1_11target_archE1200ELNS1_3gpuE4ELNS1_3repE0EEENS1_30default_config_static_selectorELNS0_4arch9wavefront6targetE0EEEvSZ_
                                        ; -- End function
	.set _ZN7rocprim17ROCPRIM_400000_NS6detail17trampoline_kernelINS0_13select_configILj256ELj13ELNS0_17block_load_methodE3ELS4_3ELS4_3ELNS0_20block_scan_algorithmE0ELj4294967295EEENS1_25partition_config_selectorILNS1_17partition_subalgoE3EjNS0_10empty_typeEbEEZZNS1_14partition_implILS8_3ELb0ES6_jNS0_17counting_iteratorIjlEEPS9_SE_NS0_5tupleIJPjSE_EEENSF_IJSE_SE_EEES9_SG_JZNS1_25segmented_radix_sort_implINS0_14default_configELb1EPK12hip_bfloat16PSL_PKlPlN2at6native12_GLOBAL__N_18offset_tEEE10hipError_tPvRmT1_PNSt15iterator_traitsISZ_E10value_typeET2_T3_PNS10_IS15_E10value_typeET4_jRbjT5_S1B_jjP12ihipStream_tbEUljE_EEESW_SX_SY_S15_S19_S1B_T6_T7_T9_mT8_S1D_bDpT10_ENKUlT_T0_E_clISt17integral_constantIbLb0EES1P_IbLb1EEEEDaS1L_S1M_EUlS1L_E_NS1_11comp_targetILNS1_3genE10ELNS1_11target_archE1200ELNS1_3gpuE4ELNS1_3repE0EEENS1_30default_config_static_selectorELNS0_4arch9wavefront6targetE0EEEvSZ_.num_vgpr, 0
	.set _ZN7rocprim17ROCPRIM_400000_NS6detail17trampoline_kernelINS0_13select_configILj256ELj13ELNS0_17block_load_methodE3ELS4_3ELS4_3ELNS0_20block_scan_algorithmE0ELj4294967295EEENS1_25partition_config_selectorILNS1_17partition_subalgoE3EjNS0_10empty_typeEbEEZZNS1_14partition_implILS8_3ELb0ES6_jNS0_17counting_iteratorIjlEEPS9_SE_NS0_5tupleIJPjSE_EEENSF_IJSE_SE_EEES9_SG_JZNS1_25segmented_radix_sort_implINS0_14default_configELb1EPK12hip_bfloat16PSL_PKlPlN2at6native12_GLOBAL__N_18offset_tEEE10hipError_tPvRmT1_PNSt15iterator_traitsISZ_E10value_typeET2_T3_PNS10_IS15_E10value_typeET4_jRbjT5_S1B_jjP12ihipStream_tbEUljE_EEESW_SX_SY_S15_S19_S1B_T6_T7_T9_mT8_S1D_bDpT10_ENKUlT_T0_E_clISt17integral_constantIbLb0EES1P_IbLb1EEEEDaS1L_S1M_EUlS1L_E_NS1_11comp_targetILNS1_3genE10ELNS1_11target_archE1200ELNS1_3gpuE4ELNS1_3repE0EEENS1_30default_config_static_selectorELNS0_4arch9wavefront6targetE0EEEvSZ_.num_agpr, 0
	.set _ZN7rocprim17ROCPRIM_400000_NS6detail17trampoline_kernelINS0_13select_configILj256ELj13ELNS0_17block_load_methodE3ELS4_3ELS4_3ELNS0_20block_scan_algorithmE0ELj4294967295EEENS1_25partition_config_selectorILNS1_17partition_subalgoE3EjNS0_10empty_typeEbEEZZNS1_14partition_implILS8_3ELb0ES6_jNS0_17counting_iteratorIjlEEPS9_SE_NS0_5tupleIJPjSE_EEENSF_IJSE_SE_EEES9_SG_JZNS1_25segmented_radix_sort_implINS0_14default_configELb1EPK12hip_bfloat16PSL_PKlPlN2at6native12_GLOBAL__N_18offset_tEEE10hipError_tPvRmT1_PNSt15iterator_traitsISZ_E10value_typeET2_T3_PNS10_IS15_E10value_typeET4_jRbjT5_S1B_jjP12ihipStream_tbEUljE_EEESW_SX_SY_S15_S19_S1B_T6_T7_T9_mT8_S1D_bDpT10_ENKUlT_T0_E_clISt17integral_constantIbLb0EES1P_IbLb1EEEEDaS1L_S1M_EUlS1L_E_NS1_11comp_targetILNS1_3genE10ELNS1_11target_archE1200ELNS1_3gpuE4ELNS1_3repE0EEENS1_30default_config_static_selectorELNS0_4arch9wavefront6targetE0EEEvSZ_.numbered_sgpr, 0
	.set _ZN7rocprim17ROCPRIM_400000_NS6detail17trampoline_kernelINS0_13select_configILj256ELj13ELNS0_17block_load_methodE3ELS4_3ELS4_3ELNS0_20block_scan_algorithmE0ELj4294967295EEENS1_25partition_config_selectorILNS1_17partition_subalgoE3EjNS0_10empty_typeEbEEZZNS1_14partition_implILS8_3ELb0ES6_jNS0_17counting_iteratorIjlEEPS9_SE_NS0_5tupleIJPjSE_EEENSF_IJSE_SE_EEES9_SG_JZNS1_25segmented_radix_sort_implINS0_14default_configELb1EPK12hip_bfloat16PSL_PKlPlN2at6native12_GLOBAL__N_18offset_tEEE10hipError_tPvRmT1_PNSt15iterator_traitsISZ_E10value_typeET2_T3_PNS10_IS15_E10value_typeET4_jRbjT5_S1B_jjP12ihipStream_tbEUljE_EEESW_SX_SY_S15_S19_S1B_T6_T7_T9_mT8_S1D_bDpT10_ENKUlT_T0_E_clISt17integral_constantIbLb0EES1P_IbLb1EEEEDaS1L_S1M_EUlS1L_E_NS1_11comp_targetILNS1_3genE10ELNS1_11target_archE1200ELNS1_3gpuE4ELNS1_3repE0EEENS1_30default_config_static_selectorELNS0_4arch9wavefront6targetE0EEEvSZ_.num_named_barrier, 0
	.set _ZN7rocprim17ROCPRIM_400000_NS6detail17trampoline_kernelINS0_13select_configILj256ELj13ELNS0_17block_load_methodE3ELS4_3ELS4_3ELNS0_20block_scan_algorithmE0ELj4294967295EEENS1_25partition_config_selectorILNS1_17partition_subalgoE3EjNS0_10empty_typeEbEEZZNS1_14partition_implILS8_3ELb0ES6_jNS0_17counting_iteratorIjlEEPS9_SE_NS0_5tupleIJPjSE_EEENSF_IJSE_SE_EEES9_SG_JZNS1_25segmented_radix_sort_implINS0_14default_configELb1EPK12hip_bfloat16PSL_PKlPlN2at6native12_GLOBAL__N_18offset_tEEE10hipError_tPvRmT1_PNSt15iterator_traitsISZ_E10value_typeET2_T3_PNS10_IS15_E10value_typeET4_jRbjT5_S1B_jjP12ihipStream_tbEUljE_EEESW_SX_SY_S15_S19_S1B_T6_T7_T9_mT8_S1D_bDpT10_ENKUlT_T0_E_clISt17integral_constantIbLb0EES1P_IbLb1EEEEDaS1L_S1M_EUlS1L_E_NS1_11comp_targetILNS1_3genE10ELNS1_11target_archE1200ELNS1_3gpuE4ELNS1_3repE0EEENS1_30default_config_static_selectorELNS0_4arch9wavefront6targetE0EEEvSZ_.private_seg_size, 0
	.set _ZN7rocprim17ROCPRIM_400000_NS6detail17trampoline_kernelINS0_13select_configILj256ELj13ELNS0_17block_load_methodE3ELS4_3ELS4_3ELNS0_20block_scan_algorithmE0ELj4294967295EEENS1_25partition_config_selectorILNS1_17partition_subalgoE3EjNS0_10empty_typeEbEEZZNS1_14partition_implILS8_3ELb0ES6_jNS0_17counting_iteratorIjlEEPS9_SE_NS0_5tupleIJPjSE_EEENSF_IJSE_SE_EEES9_SG_JZNS1_25segmented_radix_sort_implINS0_14default_configELb1EPK12hip_bfloat16PSL_PKlPlN2at6native12_GLOBAL__N_18offset_tEEE10hipError_tPvRmT1_PNSt15iterator_traitsISZ_E10value_typeET2_T3_PNS10_IS15_E10value_typeET4_jRbjT5_S1B_jjP12ihipStream_tbEUljE_EEESW_SX_SY_S15_S19_S1B_T6_T7_T9_mT8_S1D_bDpT10_ENKUlT_T0_E_clISt17integral_constantIbLb0EES1P_IbLb1EEEEDaS1L_S1M_EUlS1L_E_NS1_11comp_targetILNS1_3genE10ELNS1_11target_archE1200ELNS1_3gpuE4ELNS1_3repE0EEENS1_30default_config_static_selectorELNS0_4arch9wavefront6targetE0EEEvSZ_.uses_vcc, 0
	.set _ZN7rocprim17ROCPRIM_400000_NS6detail17trampoline_kernelINS0_13select_configILj256ELj13ELNS0_17block_load_methodE3ELS4_3ELS4_3ELNS0_20block_scan_algorithmE0ELj4294967295EEENS1_25partition_config_selectorILNS1_17partition_subalgoE3EjNS0_10empty_typeEbEEZZNS1_14partition_implILS8_3ELb0ES6_jNS0_17counting_iteratorIjlEEPS9_SE_NS0_5tupleIJPjSE_EEENSF_IJSE_SE_EEES9_SG_JZNS1_25segmented_radix_sort_implINS0_14default_configELb1EPK12hip_bfloat16PSL_PKlPlN2at6native12_GLOBAL__N_18offset_tEEE10hipError_tPvRmT1_PNSt15iterator_traitsISZ_E10value_typeET2_T3_PNS10_IS15_E10value_typeET4_jRbjT5_S1B_jjP12ihipStream_tbEUljE_EEESW_SX_SY_S15_S19_S1B_T6_T7_T9_mT8_S1D_bDpT10_ENKUlT_T0_E_clISt17integral_constantIbLb0EES1P_IbLb1EEEEDaS1L_S1M_EUlS1L_E_NS1_11comp_targetILNS1_3genE10ELNS1_11target_archE1200ELNS1_3gpuE4ELNS1_3repE0EEENS1_30default_config_static_selectorELNS0_4arch9wavefront6targetE0EEEvSZ_.uses_flat_scratch, 0
	.set _ZN7rocprim17ROCPRIM_400000_NS6detail17trampoline_kernelINS0_13select_configILj256ELj13ELNS0_17block_load_methodE3ELS4_3ELS4_3ELNS0_20block_scan_algorithmE0ELj4294967295EEENS1_25partition_config_selectorILNS1_17partition_subalgoE3EjNS0_10empty_typeEbEEZZNS1_14partition_implILS8_3ELb0ES6_jNS0_17counting_iteratorIjlEEPS9_SE_NS0_5tupleIJPjSE_EEENSF_IJSE_SE_EEES9_SG_JZNS1_25segmented_radix_sort_implINS0_14default_configELb1EPK12hip_bfloat16PSL_PKlPlN2at6native12_GLOBAL__N_18offset_tEEE10hipError_tPvRmT1_PNSt15iterator_traitsISZ_E10value_typeET2_T3_PNS10_IS15_E10value_typeET4_jRbjT5_S1B_jjP12ihipStream_tbEUljE_EEESW_SX_SY_S15_S19_S1B_T6_T7_T9_mT8_S1D_bDpT10_ENKUlT_T0_E_clISt17integral_constantIbLb0EES1P_IbLb1EEEEDaS1L_S1M_EUlS1L_E_NS1_11comp_targetILNS1_3genE10ELNS1_11target_archE1200ELNS1_3gpuE4ELNS1_3repE0EEENS1_30default_config_static_selectorELNS0_4arch9wavefront6targetE0EEEvSZ_.has_dyn_sized_stack, 0
	.set _ZN7rocprim17ROCPRIM_400000_NS6detail17trampoline_kernelINS0_13select_configILj256ELj13ELNS0_17block_load_methodE3ELS4_3ELS4_3ELNS0_20block_scan_algorithmE0ELj4294967295EEENS1_25partition_config_selectorILNS1_17partition_subalgoE3EjNS0_10empty_typeEbEEZZNS1_14partition_implILS8_3ELb0ES6_jNS0_17counting_iteratorIjlEEPS9_SE_NS0_5tupleIJPjSE_EEENSF_IJSE_SE_EEES9_SG_JZNS1_25segmented_radix_sort_implINS0_14default_configELb1EPK12hip_bfloat16PSL_PKlPlN2at6native12_GLOBAL__N_18offset_tEEE10hipError_tPvRmT1_PNSt15iterator_traitsISZ_E10value_typeET2_T3_PNS10_IS15_E10value_typeET4_jRbjT5_S1B_jjP12ihipStream_tbEUljE_EEESW_SX_SY_S15_S19_S1B_T6_T7_T9_mT8_S1D_bDpT10_ENKUlT_T0_E_clISt17integral_constantIbLb0EES1P_IbLb1EEEEDaS1L_S1M_EUlS1L_E_NS1_11comp_targetILNS1_3genE10ELNS1_11target_archE1200ELNS1_3gpuE4ELNS1_3repE0EEENS1_30default_config_static_selectorELNS0_4arch9wavefront6targetE0EEEvSZ_.has_recursion, 0
	.set _ZN7rocprim17ROCPRIM_400000_NS6detail17trampoline_kernelINS0_13select_configILj256ELj13ELNS0_17block_load_methodE3ELS4_3ELS4_3ELNS0_20block_scan_algorithmE0ELj4294967295EEENS1_25partition_config_selectorILNS1_17partition_subalgoE3EjNS0_10empty_typeEbEEZZNS1_14partition_implILS8_3ELb0ES6_jNS0_17counting_iteratorIjlEEPS9_SE_NS0_5tupleIJPjSE_EEENSF_IJSE_SE_EEES9_SG_JZNS1_25segmented_radix_sort_implINS0_14default_configELb1EPK12hip_bfloat16PSL_PKlPlN2at6native12_GLOBAL__N_18offset_tEEE10hipError_tPvRmT1_PNSt15iterator_traitsISZ_E10value_typeET2_T3_PNS10_IS15_E10value_typeET4_jRbjT5_S1B_jjP12ihipStream_tbEUljE_EEESW_SX_SY_S15_S19_S1B_T6_T7_T9_mT8_S1D_bDpT10_ENKUlT_T0_E_clISt17integral_constantIbLb0EES1P_IbLb1EEEEDaS1L_S1M_EUlS1L_E_NS1_11comp_targetILNS1_3genE10ELNS1_11target_archE1200ELNS1_3gpuE4ELNS1_3repE0EEENS1_30default_config_static_selectorELNS0_4arch9wavefront6targetE0EEEvSZ_.has_indirect_call, 0
	.section	.AMDGPU.csdata,"",@progbits
; Kernel info:
; codeLenInByte = 0
; TotalNumSgprs: 0
; NumVgprs: 0
; ScratchSize: 0
; MemoryBound: 0
; FloatMode: 240
; IeeeMode: 1
; LDSByteSize: 0 bytes/workgroup (compile time only)
; SGPRBlocks: 0
; VGPRBlocks: 0
; NumSGPRsForWavesPerEU: 1
; NumVGPRsForWavesPerEU: 1
; Occupancy: 16
; WaveLimiterHint : 0
; COMPUTE_PGM_RSRC2:SCRATCH_EN: 0
; COMPUTE_PGM_RSRC2:USER_SGPR: 6
; COMPUTE_PGM_RSRC2:TRAP_HANDLER: 0
; COMPUTE_PGM_RSRC2:TGID_X_EN: 1
; COMPUTE_PGM_RSRC2:TGID_Y_EN: 0
; COMPUTE_PGM_RSRC2:TGID_Z_EN: 0
; COMPUTE_PGM_RSRC2:TIDIG_COMP_CNT: 0
	.section	.text._ZN7rocprim17ROCPRIM_400000_NS6detail17trampoline_kernelINS0_13select_configILj256ELj13ELNS0_17block_load_methodE3ELS4_3ELS4_3ELNS0_20block_scan_algorithmE0ELj4294967295EEENS1_25partition_config_selectorILNS1_17partition_subalgoE3EjNS0_10empty_typeEbEEZZNS1_14partition_implILS8_3ELb0ES6_jNS0_17counting_iteratorIjlEEPS9_SE_NS0_5tupleIJPjSE_EEENSF_IJSE_SE_EEES9_SG_JZNS1_25segmented_radix_sort_implINS0_14default_configELb1EPK12hip_bfloat16PSL_PKlPlN2at6native12_GLOBAL__N_18offset_tEEE10hipError_tPvRmT1_PNSt15iterator_traitsISZ_E10value_typeET2_T3_PNS10_IS15_E10value_typeET4_jRbjT5_S1B_jjP12ihipStream_tbEUljE_EEESW_SX_SY_S15_S19_S1B_T6_T7_T9_mT8_S1D_bDpT10_ENKUlT_T0_E_clISt17integral_constantIbLb0EES1P_IbLb1EEEEDaS1L_S1M_EUlS1L_E_NS1_11comp_targetILNS1_3genE9ELNS1_11target_archE1100ELNS1_3gpuE3ELNS1_3repE0EEENS1_30default_config_static_selectorELNS0_4arch9wavefront6targetE0EEEvSZ_,"axG",@progbits,_ZN7rocprim17ROCPRIM_400000_NS6detail17trampoline_kernelINS0_13select_configILj256ELj13ELNS0_17block_load_methodE3ELS4_3ELS4_3ELNS0_20block_scan_algorithmE0ELj4294967295EEENS1_25partition_config_selectorILNS1_17partition_subalgoE3EjNS0_10empty_typeEbEEZZNS1_14partition_implILS8_3ELb0ES6_jNS0_17counting_iteratorIjlEEPS9_SE_NS0_5tupleIJPjSE_EEENSF_IJSE_SE_EEES9_SG_JZNS1_25segmented_radix_sort_implINS0_14default_configELb1EPK12hip_bfloat16PSL_PKlPlN2at6native12_GLOBAL__N_18offset_tEEE10hipError_tPvRmT1_PNSt15iterator_traitsISZ_E10value_typeET2_T3_PNS10_IS15_E10value_typeET4_jRbjT5_S1B_jjP12ihipStream_tbEUljE_EEESW_SX_SY_S15_S19_S1B_T6_T7_T9_mT8_S1D_bDpT10_ENKUlT_T0_E_clISt17integral_constantIbLb0EES1P_IbLb1EEEEDaS1L_S1M_EUlS1L_E_NS1_11comp_targetILNS1_3genE9ELNS1_11target_archE1100ELNS1_3gpuE3ELNS1_3repE0EEENS1_30default_config_static_selectorELNS0_4arch9wavefront6targetE0EEEvSZ_,comdat
	.globl	_ZN7rocprim17ROCPRIM_400000_NS6detail17trampoline_kernelINS0_13select_configILj256ELj13ELNS0_17block_load_methodE3ELS4_3ELS4_3ELNS0_20block_scan_algorithmE0ELj4294967295EEENS1_25partition_config_selectorILNS1_17partition_subalgoE3EjNS0_10empty_typeEbEEZZNS1_14partition_implILS8_3ELb0ES6_jNS0_17counting_iteratorIjlEEPS9_SE_NS0_5tupleIJPjSE_EEENSF_IJSE_SE_EEES9_SG_JZNS1_25segmented_radix_sort_implINS0_14default_configELb1EPK12hip_bfloat16PSL_PKlPlN2at6native12_GLOBAL__N_18offset_tEEE10hipError_tPvRmT1_PNSt15iterator_traitsISZ_E10value_typeET2_T3_PNS10_IS15_E10value_typeET4_jRbjT5_S1B_jjP12ihipStream_tbEUljE_EEESW_SX_SY_S15_S19_S1B_T6_T7_T9_mT8_S1D_bDpT10_ENKUlT_T0_E_clISt17integral_constantIbLb0EES1P_IbLb1EEEEDaS1L_S1M_EUlS1L_E_NS1_11comp_targetILNS1_3genE9ELNS1_11target_archE1100ELNS1_3gpuE3ELNS1_3repE0EEENS1_30default_config_static_selectorELNS0_4arch9wavefront6targetE0EEEvSZ_ ; -- Begin function _ZN7rocprim17ROCPRIM_400000_NS6detail17trampoline_kernelINS0_13select_configILj256ELj13ELNS0_17block_load_methodE3ELS4_3ELS4_3ELNS0_20block_scan_algorithmE0ELj4294967295EEENS1_25partition_config_selectorILNS1_17partition_subalgoE3EjNS0_10empty_typeEbEEZZNS1_14partition_implILS8_3ELb0ES6_jNS0_17counting_iteratorIjlEEPS9_SE_NS0_5tupleIJPjSE_EEENSF_IJSE_SE_EEES9_SG_JZNS1_25segmented_radix_sort_implINS0_14default_configELb1EPK12hip_bfloat16PSL_PKlPlN2at6native12_GLOBAL__N_18offset_tEEE10hipError_tPvRmT1_PNSt15iterator_traitsISZ_E10value_typeET2_T3_PNS10_IS15_E10value_typeET4_jRbjT5_S1B_jjP12ihipStream_tbEUljE_EEESW_SX_SY_S15_S19_S1B_T6_T7_T9_mT8_S1D_bDpT10_ENKUlT_T0_E_clISt17integral_constantIbLb0EES1P_IbLb1EEEEDaS1L_S1M_EUlS1L_E_NS1_11comp_targetILNS1_3genE9ELNS1_11target_archE1100ELNS1_3gpuE3ELNS1_3repE0EEENS1_30default_config_static_selectorELNS0_4arch9wavefront6targetE0EEEvSZ_
	.p2align	8
	.type	_ZN7rocprim17ROCPRIM_400000_NS6detail17trampoline_kernelINS0_13select_configILj256ELj13ELNS0_17block_load_methodE3ELS4_3ELS4_3ELNS0_20block_scan_algorithmE0ELj4294967295EEENS1_25partition_config_selectorILNS1_17partition_subalgoE3EjNS0_10empty_typeEbEEZZNS1_14partition_implILS8_3ELb0ES6_jNS0_17counting_iteratorIjlEEPS9_SE_NS0_5tupleIJPjSE_EEENSF_IJSE_SE_EEES9_SG_JZNS1_25segmented_radix_sort_implINS0_14default_configELb1EPK12hip_bfloat16PSL_PKlPlN2at6native12_GLOBAL__N_18offset_tEEE10hipError_tPvRmT1_PNSt15iterator_traitsISZ_E10value_typeET2_T3_PNS10_IS15_E10value_typeET4_jRbjT5_S1B_jjP12ihipStream_tbEUljE_EEESW_SX_SY_S15_S19_S1B_T6_T7_T9_mT8_S1D_bDpT10_ENKUlT_T0_E_clISt17integral_constantIbLb0EES1P_IbLb1EEEEDaS1L_S1M_EUlS1L_E_NS1_11comp_targetILNS1_3genE9ELNS1_11target_archE1100ELNS1_3gpuE3ELNS1_3repE0EEENS1_30default_config_static_selectorELNS0_4arch9wavefront6targetE0EEEvSZ_,@function
_ZN7rocprim17ROCPRIM_400000_NS6detail17trampoline_kernelINS0_13select_configILj256ELj13ELNS0_17block_load_methodE3ELS4_3ELS4_3ELNS0_20block_scan_algorithmE0ELj4294967295EEENS1_25partition_config_selectorILNS1_17partition_subalgoE3EjNS0_10empty_typeEbEEZZNS1_14partition_implILS8_3ELb0ES6_jNS0_17counting_iteratorIjlEEPS9_SE_NS0_5tupleIJPjSE_EEENSF_IJSE_SE_EEES9_SG_JZNS1_25segmented_radix_sort_implINS0_14default_configELb1EPK12hip_bfloat16PSL_PKlPlN2at6native12_GLOBAL__N_18offset_tEEE10hipError_tPvRmT1_PNSt15iterator_traitsISZ_E10value_typeET2_T3_PNS10_IS15_E10value_typeET4_jRbjT5_S1B_jjP12ihipStream_tbEUljE_EEESW_SX_SY_S15_S19_S1B_T6_T7_T9_mT8_S1D_bDpT10_ENKUlT_T0_E_clISt17integral_constantIbLb0EES1P_IbLb1EEEEDaS1L_S1M_EUlS1L_E_NS1_11comp_targetILNS1_3genE9ELNS1_11target_archE1100ELNS1_3gpuE3ELNS1_3repE0EEENS1_30default_config_static_selectorELNS0_4arch9wavefront6targetE0EEEvSZ_: ; @_ZN7rocprim17ROCPRIM_400000_NS6detail17trampoline_kernelINS0_13select_configILj256ELj13ELNS0_17block_load_methodE3ELS4_3ELS4_3ELNS0_20block_scan_algorithmE0ELj4294967295EEENS1_25partition_config_selectorILNS1_17partition_subalgoE3EjNS0_10empty_typeEbEEZZNS1_14partition_implILS8_3ELb0ES6_jNS0_17counting_iteratorIjlEEPS9_SE_NS0_5tupleIJPjSE_EEENSF_IJSE_SE_EEES9_SG_JZNS1_25segmented_radix_sort_implINS0_14default_configELb1EPK12hip_bfloat16PSL_PKlPlN2at6native12_GLOBAL__N_18offset_tEEE10hipError_tPvRmT1_PNSt15iterator_traitsISZ_E10value_typeET2_T3_PNS10_IS15_E10value_typeET4_jRbjT5_S1B_jjP12ihipStream_tbEUljE_EEESW_SX_SY_S15_S19_S1B_T6_T7_T9_mT8_S1D_bDpT10_ENKUlT_T0_E_clISt17integral_constantIbLb0EES1P_IbLb1EEEEDaS1L_S1M_EUlS1L_E_NS1_11comp_targetILNS1_3genE9ELNS1_11target_archE1100ELNS1_3gpuE3ELNS1_3repE0EEENS1_30default_config_static_selectorELNS0_4arch9wavefront6targetE0EEEvSZ_
; %bb.0:
	.section	.rodata,"a",@progbits
	.p2align	6, 0x0
	.amdhsa_kernel _ZN7rocprim17ROCPRIM_400000_NS6detail17trampoline_kernelINS0_13select_configILj256ELj13ELNS0_17block_load_methodE3ELS4_3ELS4_3ELNS0_20block_scan_algorithmE0ELj4294967295EEENS1_25partition_config_selectorILNS1_17partition_subalgoE3EjNS0_10empty_typeEbEEZZNS1_14partition_implILS8_3ELb0ES6_jNS0_17counting_iteratorIjlEEPS9_SE_NS0_5tupleIJPjSE_EEENSF_IJSE_SE_EEES9_SG_JZNS1_25segmented_radix_sort_implINS0_14default_configELb1EPK12hip_bfloat16PSL_PKlPlN2at6native12_GLOBAL__N_18offset_tEEE10hipError_tPvRmT1_PNSt15iterator_traitsISZ_E10value_typeET2_T3_PNS10_IS15_E10value_typeET4_jRbjT5_S1B_jjP12ihipStream_tbEUljE_EEESW_SX_SY_S15_S19_S1B_T6_T7_T9_mT8_S1D_bDpT10_ENKUlT_T0_E_clISt17integral_constantIbLb0EES1P_IbLb1EEEEDaS1L_S1M_EUlS1L_E_NS1_11comp_targetILNS1_3genE9ELNS1_11target_archE1100ELNS1_3gpuE3ELNS1_3repE0EEENS1_30default_config_static_selectorELNS0_4arch9wavefront6targetE0EEEvSZ_
		.amdhsa_group_segment_fixed_size 0
		.amdhsa_private_segment_fixed_size 0
		.amdhsa_kernarg_size 152
		.amdhsa_user_sgpr_count 6
		.amdhsa_user_sgpr_private_segment_buffer 1
		.amdhsa_user_sgpr_dispatch_ptr 0
		.amdhsa_user_sgpr_queue_ptr 0
		.amdhsa_user_sgpr_kernarg_segment_ptr 1
		.amdhsa_user_sgpr_dispatch_id 0
		.amdhsa_user_sgpr_flat_scratch_init 0
		.amdhsa_user_sgpr_private_segment_size 0
		.amdhsa_wavefront_size32 1
		.amdhsa_uses_dynamic_stack 0
		.amdhsa_system_sgpr_private_segment_wavefront_offset 0
		.amdhsa_system_sgpr_workgroup_id_x 1
		.amdhsa_system_sgpr_workgroup_id_y 0
		.amdhsa_system_sgpr_workgroup_id_z 0
		.amdhsa_system_sgpr_workgroup_info 0
		.amdhsa_system_vgpr_workitem_id 0
		.amdhsa_next_free_vgpr 1
		.amdhsa_next_free_sgpr 1
		.amdhsa_reserve_vcc 0
		.amdhsa_reserve_flat_scratch 0
		.amdhsa_float_round_mode_32 0
		.amdhsa_float_round_mode_16_64 0
		.amdhsa_float_denorm_mode_32 3
		.amdhsa_float_denorm_mode_16_64 3
		.amdhsa_dx10_clamp 1
		.amdhsa_ieee_mode 1
		.amdhsa_fp16_overflow 0
		.amdhsa_workgroup_processor_mode 1
		.amdhsa_memory_ordered 1
		.amdhsa_forward_progress 1
		.amdhsa_shared_vgpr_count 0
		.amdhsa_exception_fp_ieee_invalid_op 0
		.amdhsa_exception_fp_denorm_src 0
		.amdhsa_exception_fp_ieee_div_zero 0
		.amdhsa_exception_fp_ieee_overflow 0
		.amdhsa_exception_fp_ieee_underflow 0
		.amdhsa_exception_fp_ieee_inexact 0
		.amdhsa_exception_int_div_zero 0
	.end_amdhsa_kernel
	.section	.text._ZN7rocprim17ROCPRIM_400000_NS6detail17trampoline_kernelINS0_13select_configILj256ELj13ELNS0_17block_load_methodE3ELS4_3ELS4_3ELNS0_20block_scan_algorithmE0ELj4294967295EEENS1_25partition_config_selectorILNS1_17partition_subalgoE3EjNS0_10empty_typeEbEEZZNS1_14partition_implILS8_3ELb0ES6_jNS0_17counting_iteratorIjlEEPS9_SE_NS0_5tupleIJPjSE_EEENSF_IJSE_SE_EEES9_SG_JZNS1_25segmented_radix_sort_implINS0_14default_configELb1EPK12hip_bfloat16PSL_PKlPlN2at6native12_GLOBAL__N_18offset_tEEE10hipError_tPvRmT1_PNSt15iterator_traitsISZ_E10value_typeET2_T3_PNS10_IS15_E10value_typeET4_jRbjT5_S1B_jjP12ihipStream_tbEUljE_EEESW_SX_SY_S15_S19_S1B_T6_T7_T9_mT8_S1D_bDpT10_ENKUlT_T0_E_clISt17integral_constantIbLb0EES1P_IbLb1EEEEDaS1L_S1M_EUlS1L_E_NS1_11comp_targetILNS1_3genE9ELNS1_11target_archE1100ELNS1_3gpuE3ELNS1_3repE0EEENS1_30default_config_static_selectorELNS0_4arch9wavefront6targetE0EEEvSZ_,"axG",@progbits,_ZN7rocprim17ROCPRIM_400000_NS6detail17trampoline_kernelINS0_13select_configILj256ELj13ELNS0_17block_load_methodE3ELS4_3ELS4_3ELNS0_20block_scan_algorithmE0ELj4294967295EEENS1_25partition_config_selectorILNS1_17partition_subalgoE3EjNS0_10empty_typeEbEEZZNS1_14partition_implILS8_3ELb0ES6_jNS0_17counting_iteratorIjlEEPS9_SE_NS0_5tupleIJPjSE_EEENSF_IJSE_SE_EEES9_SG_JZNS1_25segmented_radix_sort_implINS0_14default_configELb1EPK12hip_bfloat16PSL_PKlPlN2at6native12_GLOBAL__N_18offset_tEEE10hipError_tPvRmT1_PNSt15iterator_traitsISZ_E10value_typeET2_T3_PNS10_IS15_E10value_typeET4_jRbjT5_S1B_jjP12ihipStream_tbEUljE_EEESW_SX_SY_S15_S19_S1B_T6_T7_T9_mT8_S1D_bDpT10_ENKUlT_T0_E_clISt17integral_constantIbLb0EES1P_IbLb1EEEEDaS1L_S1M_EUlS1L_E_NS1_11comp_targetILNS1_3genE9ELNS1_11target_archE1100ELNS1_3gpuE3ELNS1_3repE0EEENS1_30default_config_static_selectorELNS0_4arch9wavefront6targetE0EEEvSZ_,comdat
.Lfunc_end1934:
	.size	_ZN7rocprim17ROCPRIM_400000_NS6detail17trampoline_kernelINS0_13select_configILj256ELj13ELNS0_17block_load_methodE3ELS4_3ELS4_3ELNS0_20block_scan_algorithmE0ELj4294967295EEENS1_25partition_config_selectorILNS1_17partition_subalgoE3EjNS0_10empty_typeEbEEZZNS1_14partition_implILS8_3ELb0ES6_jNS0_17counting_iteratorIjlEEPS9_SE_NS0_5tupleIJPjSE_EEENSF_IJSE_SE_EEES9_SG_JZNS1_25segmented_radix_sort_implINS0_14default_configELb1EPK12hip_bfloat16PSL_PKlPlN2at6native12_GLOBAL__N_18offset_tEEE10hipError_tPvRmT1_PNSt15iterator_traitsISZ_E10value_typeET2_T3_PNS10_IS15_E10value_typeET4_jRbjT5_S1B_jjP12ihipStream_tbEUljE_EEESW_SX_SY_S15_S19_S1B_T6_T7_T9_mT8_S1D_bDpT10_ENKUlT_T0_E_clISt17integral_constantIbLb0EES1P_IbLb1EEEEDaS1L_S1M_EUlS1L_E_NS1_11comp_targetILNS1_3genE9ELNS1_11target_archE1100ELNS1_3gpuE3ELNS1_3repE0EEENS1_30default_config_static_selectorELNS0_4arch9wavefront6targetE0EEEvSZ_, .Lfunc_end1934-_ZN7rocprim17ROCPRIM_400000_NS6detail17trampoline_kernelINS0_13select_configILj256ELj13ELNS0_17block_load_methodE3ELS4_3ELS4_3ELNS0_20block_scan_algorithmE0ELj4294967295EEENS1_25partition_config_selectorILNS1_17partition_subalgoE3EjNS0_10empty_typeEbEEZZNS1_14partition_implILS8_3ELb0ES6_jNS0_17counting_iteratorIjlEEPS9_SE_NS0_5tupleIJPjSE_EEENSF_IJSE_SE_EEES9_SG_JZNS1_25segmented_radix_sort_implINS0_14default_configELb1EPK12hip_bfloat16PSL_PKlPlN2at6native12_GLOBAL__N_18offset_tEEE10hipError_tPvRmT1_PNSt15iterator_traitsISZ_E10value_typeET2_T3_PNS10_IS15_E10value_typeET4_jRbjT5_S1B_jjP12ihipStream_tbEUljE_EEESW_SX_SY_S15_S19_S1B_T6_T7_T9_mT8_S1D_bDpT10_ENKUlT_T0_E_clISt17integral_constantIbLb0EES1P_IbLb1EEEEDaS1L_S1M_EUlS1L_E_NS1_11comp_targetILNS1_3genE9ELNS1_11target_archE1100ELNS1_3gpuE3ELNS1_3repE0EEENS1_30default_config_static_selectorELNS0_4arch9wavefront6targetE0EEEvSZ_
                                        ; -- End function
	.set _ZN7rocprim17ROCPRIM_400000_NS6detail17trampoline_kernelINS0_13select_configILj256ELj13ELNS0_17block_load_methodE3ELS4_3ELS4_3ELNS0_20block_scan_algorithmE0ELj4294967295EEENS1_25partition_config_selectorILNS1_17partition_subalgoE3EjNS0_10empty_typeEbEEZZNS1_14partition_implILS8_3ELb0ES6_jNS0_17counting_iteratorIjlEEPS9_SE_NS0_5tupleIJPjSE_EEENSF_IJSE_SE_EEES9_SG_JZNS1_25segmented_radix_sort_implINS0_14default_configELb1EPK12hip_bfloat16PSL_PKlPlN2at6native12_GLOBAL__N_18offset_tEEE10hipError_tPvRmT1_PNSt15iterator_traitsISZ_E10value_typeET2_T3_PNS10_IS15_E10value_typeET4_jRbjT5_S1B_jjP12ihipStream_tbEUljE_EEESW_SX_SY_S15_S19_S1B_T6_T7_T9_mT8_S1D_bDpT10_ENKUlT_T0_E_clISt17integral_constantIbLb0EES1P_IbLb1EEEEDaS1L_S1M_EUlS1L_E_NS1_11comp_targetILNS1_3genE9ELNS1_11target_archE1100ELNS1_3gpuE3ELNS1_3repE0EEENS1_30default_config_static_selectorELNS0_4arch9wavefront6targetE0EEEvSZ_.num_vgpr, 0
	.set _ZN7rocprim17ROCPRIM_400000_NS6detail17trampoline_kernelINS0_13select_configILj256ELj13ELNS0_17block_load_methodE3ELS4_3ELS4_3ELNS0_20block_scan_algorithmE0ELj4294967295EEENS1_25partition_config_selectorILNS1_17partition_subalgoE3EjNS0_10empty_typeEbEEZZNS1_14partition_implILS8_3ELb0ES6_jNS0_17counting_iteratorIjlEEPS9_SE_NS0_5tupleIJPjSE_EEENSF_IJSE_SE_EEES9_SG_JZNS1_25segmented_radix_sort_implINS0_14default_configELb1EPK12hip_bfloat16PSL_PKlPlN2at6native12_GLOBAL__N_18offset_tEEE10hipError_tPvRmT1_PNSt15iterator_traitsISZ_E10value_typeET2_T3_PNS10_IS15_E10value_typeET4_jRbjT5_S1B_jjP12ihipStream_tbEUljE_EEESW_SX_SY_S15_S19_S1B_T6_T7_T9_mT8_S1D_bDpT10_ENKUlT_T0_E_clISt17integral_constantIbLb0EES1P_IbLb1EEEEDaS1L_S1M_EUlS1L_E_NS1_11comp_targetILNS1_3genE9ELNS1_11target_archE1100ELNS1_3gpuE3ELNS1_3repE0EEENS1_30default_config_static_selectorELNS0_4arch9wavefront6targetE0EEEvSZ_.num_agpr, 0
	.set _ZN7rocprim17ROCPRIM_400000_NS6detail17trampoline_kernelINS0_13select_configILj256ELj13ELNS0_17block_load_methodE3ELS4_3ELS4_3ELNS0_20block_scan_algorithmE0ELj4294967295EEENS1_25partition_config_selectorILNS1_17partition_subalgoE3EjNS0_10empty_typeEbEEZZNS1_14partition_implILS8_3ELb0ES6_jNS0_17counting_iteratorIjlEEPS9_SE_NS0_5tupleIJPjSE_EEENSF_IJSE_SE_EEES9_SG_JZNS1_25segmented_radix_sort_implINS0_14default_configELb1EPK12hip_bfloat16PSL_PKlPlN2at6native12_GLOBAL__N_18offset_tEEE10hipError_tPvRmT1_PNSt15iterator_traitsISZ_E10value_typeET2_T3_PNS10_IS15_E10value_typeET4_jRbjT5_S1B_jjP12ihipStream_tbEUljE_EEESW_SX_SY_S15_S19_S1B_T6_T7_T9_mT8_S1D_bDpT10_ENKUlT_T0_E_clISt17integral_constantIbLb0EES1P_IbLb1EEEEDaS1L_S1M_EUlS1L_E_NS1_11comp_targetILNS1_3genE9ELNS1_11target_archE1100ELNS1_3gpuE3ELNS1_3repE0EEENS1_30default_config_static_selectorELNS0_4arch9wavefront6targetE0EEEvSZ_.numbered_sgpr, 0
	.set _ZN7rocprim17ROCPRIM_400000_NS6detail17trampoline_kernelINS0_13select_configILj256ELj13ELNS0_17block_load_methodE3ELS4_3ELS4_3ELNS0_20block_scan_algorithmE0ELj4294967295EEENS1_25partition_config_selectorILNS1_17partition_subalgoE3EjNS0_10empty_typeEbEEZZNS1_14partition_implILS8_3ELb0ES6_jNS0_17counting_iteratorIjlEEPS9_SE_NS0_5tupleIJPjSE_EEENSF_IJSE_SE_EEES9_SG_JZNS1_25segmented_radix_sort_implINS0_14default_configELb1EPK12hip_bfloat16PSL_PKlPlN2at6native12_GLOBAL__N_18offset_tEEE10hipError_tPvRmT1_PNSt15iterator_traitsISZ_E10value_typeET2_T3_PNS10_IS15_E10value_typeET4_jRbjT5_S1B_jjP12ihipStream_tbEUljE_EEESW_SX_SY_S15_S19_S1B_T6_T7_T9_mT8_S1D_bDpT10_ENKUlT_T0_E_clISt17integral_constantIbLb0EES1P_IbLb1EEEEDaS1L_S1M_EUlS1L_E_NS1_11comp_targetILNS1_3genE9ELNS1_11target_archE1100ELNS1_3gpuE3ELNS1_3repE0EEENS1_30default_config_static_selectorELNS0_4arch9wavefront6targetE0EEEvSZ_.num_named_barrier, 0
	.set _ZN7rocprim17ROCPRIM_400000_NS6detail17trampoline_kernelINS0_13select_configILj256ELj13ELNS0_17block_load_methodE3ELS4_3ELS4_3ELNS0_20block_scan_algorithmE0ELj4294967295EEENS1_25partition_config_selectorILNS1_17partition_subalgoE3EjNS0_10empty_typeEbEEZZNS1_14partition_implILS8_3ELb0ES6_jNS0_17counting_iteratorIjlEEPS9_SE_NS0_5tupleIJPjSE_EEENSF_IJSE_SE_EEES9_SG_JZNS1_25segmented_radix_sort_implINS0_14default_configELb1EPK12hip_bfloat16PSL_PKlPlN2at6native12_GLOBAL__N_18offset_tEEE10hipError_tPvRmT1_PNSt15iterator_traitsISZ_E10value_typeET2_T3_PNS10_IS15_E10value_typeET4_jRbjT5_S1B_jjP12ihipStream_tbEUljE_EEESW_SX_SY_S15_S19_S1B_T6_T7_T9_mT8_S1D_bDpT10_ENKUlT_T0_E_clISt17integral_constantIbLb0EES1P_IbLb1EEEEDaS1L_S1M_EUlS1L_E_NS1_11comp_targetILNS1_3genE9ELNS1_11target_archE1100ELNS1_3gpuE3ELNS1_3repE0EEENS1_30default_config_static_selectorELNS0_4arch9wavefront6targetE0EEEvSZ_.private_seg_size, 0
	.set _ZN7rocprim17ROCPRIM_400000_NS6detail17trampoline_kernelINS0_13select_configILj256ELj13ELNS0_17block_load_methodE3ELS4_3ELS4_3ELNS0_20block_scan_algorithmE0ELj4294967295EEENS1_25partition_config_selectorILNS1_17partition_subalgoE3EjNS0_10empty_typeEbEEZZNS1_14partition_implILS8_3ELb0ES6_jNS0_17counting_iteratorIjlEEPS9_SE_NS0_5tupleIJPjSE_EEENSF_IJSE_SE_EEES9_SG_JZNS1_25segmented_radix_sort_implINS0_14default_configELb1EPK12hip_bfloat16PSL_PKlPlN2at6native12_GLOBAL__N_18offset_tEEE10hipError_tPvRmT1_PNSt15iterator_traitsISZ_E10value_typeET2_T3_PNS10_IS15_E10value_typeET4_jRbjT5_S1B_jjP12ihipStream_tbEUljE_EEESW_SX_SY_S15_S19_S1B_T6_T7_T9_mT8_S1D_bDpT10_ENKUlT_T0_E_clISt17integral_constantIbLb0EES1P_IbLb1EEEEDaS1L_S1M_EUlS1L_E_NS1_11comp_targetILNS1_3genE9ELNS1_11target_archE1100ELNS1_3gpuE3ELNS1_3repE0EEENS1_30default_config_static_selectorELNS0_4arch9wavefront6targetE0EEEvSZ_.uses_vcc, 0
	.set _ZN7rocprim17ROCPRIM_400000_NS6detail17trampoline_kernelINS0_13select_configILj256ELj13ELNS0_17block_load_methodE3ELS4_3ELS4_3ELNS0_20block_scan_algorithmE0ELj4294967295EEENS1_25partition_config_selectorILNS1_17partition_subalgoE3EjNS0_10empty_typeEbEEZZNS1_14partition_implILS8_3ELb0ES6_jNS0_17counting_iteratorIjlEEPS9_SE_NS0_5tupleIJPjSE_EEENSF_IJSE_SE_EEES9_SG_JZNS1_25segmented_radix_sort_implINS0_14default_configELb1EPK12hip_bfloat16PSL_PKlPlN2at6native12_GLOBAL__N_18offset_tEEE10hipError_tPvRmT1_PNSt15iterator_traitsISZ_E10value_typeET2_T3_PNS10_IS15_E10value_typeET4_jRbjT5_S1B_jjP12ihipStream_tbEUljE_EEESW_SX_SY_S15_S19_S1B_T6_T7_T9_mT8_S1D_bDpT10_ENKUlT_T0_E_clISt17integral_constantIbLb0EES1P_IbLb1EEEEDaS1L_S1M_EUlS1L_E_NS1_11comp_targetILNS1_3genE9ELNS1_11target_archE1100ELNS1_3gpuE3ELNS1_3repE0EEENS1_30default_config_static_selectorELNS0_4arch9wavefront6targetE0EEEvSZ_.uses_flat_scratch, 0
	.set _ZN7rocprim17ROCPRIM_400000_NS6detail17trampoline_kernelINS0_13select_configILj256ELj13ELNS0_17block_load_methodE3ELS4_3ELS4_3ELNS0_20block_scan_algorithmE0ELj4294967295EEENS1_25partition_config_selectorILNS1_17partition_subalgoE3EjNS0_10empty_typeEbEEZZNS1_14partition_implILS8_3ELb0ES6_jNS0_17counting_iteratorIjlEEPS9_SE_NS0_5tupleIJPjSE_EEENSF_IJSE_SE_EEES9_SG_JZNS1_25segmented_radix_sort_implINS0_14default_configELb1EPK12hip_bfloat16PSL_PKlPlN2at6native12_GLOBAL__N_18offset_tEEE10hipError_tPvRmT1_PNSt15iterator_traitsISZ_E10value_typeET2_T3_PNS10_IS15_E10value_typeET4_jRbjT5_S1B_jjP12ihipStream_tbEUljE_EEESW_SX_SY_S15_S19_S1B_T6_T7_T9_mT8_S1D_bDpT10_ENKUlT_T0_E_clISt17integral_constantIbLb0EES1P_IbLb1EEEEDaS1L_S1M_EUlS1L_E_NS1_11comp_targetILNS1_3genE9ELNS1_11target_archE1100ELNS1_3gpuE3ELNS1_3repE0EEENS1_30default_config_static_selectorELNS0_4arch9wavefront6targetE0EEEvSZ_.has_dyn_sized_stack, 0
	.set _ZN7rocprim17ROCPRIM_400000_NS6detail17trampoline_kernelINS0_13select_configILj256ELj13ELNS0_17block_load_methodE3ELS4_3ELS4_3ELNS0_20block_scan_algorithmE0ELj4294967295EEENS1_25partition_config_selectorILNS1_17partition_subalgoE3EjNS0_10empty_typeEbEEZZNS1_14partition_implILS8_3ELb0ES6_jNS0_17counting_iteratorIjlEEPS9_SE_NS0_5tupleIJPjSE_EEENSF_IJSE_SE_EEES9_SG_JZNS1_25segmented_radix_sort_implINS0_14default_configELb1EPK12hip_bfloat16PSL_PKlPlN2at6native12_GLOBAL__N_18offset_tEEE10hipError_tPvRmT1_PNSt15iterator_traitsISZ_E10value_typeET2_T3_PNS10_IS15_E10value_typeET4_jRbjT5_S1B_jjP12ihipStream_tbEUljE_EEESW_SX_SY_S15_S19_S1B_T6_T7_T9_mT8_S1D_bDpT10_ENKUlT_T0_E_clISt17integral_constantIbLb0EES1P_IbLb1EEEEDaS1L_S1M_EUlS1L_E_NS1_11comp_targetILNS1_3genE9ELNS1_11target_archE1100ELNS1_3gpuE3ELNS1_3repE0EEENS1_30default_config_static_selectorELNS0_4arch9wavefront6targetE0EEEvSZ_.has_recursion, 0
	.set _ZN7rocprim17ROCPRIM_400000_NS6detail17trampoline_kernelINS0_13select_configILj256ELj13ELNS0_17block_load_methodE3ELS4_3ELS4_3ELNS0_20block_scan_algorithmE0ELj4294967295EEENS1_25partition_config_selectorILNS1_17partition_subalgoE3EjNS0_10empty_typeEbEEZZNS1_14partition_implILS8_3ELb0ES6_jNS0_17counting_iteratorIjlEEPS9_SE_NS0_5tupleIJPjSE_EEENSF_IJSE_SE_EEES9_SG_JZNS1_25segmented_radix_sort_implINS0_14default_configELb1EPK12hip_bfloat16PSL_PKlPlN2at6native12_GLOBAL__N_18offset_tEEE10hipError_tPvRmT1_PNSt15iterator_traitsISZ_E10value_typeET2_T3_PNS10_IS15_E10value_typeET4_jRbjT5_S1B_jjP12ihipStream_tbEUljE_EEESW_SX_SY_S15_S19_S1B_T6_T7_T9_mT8_S1D_bDpT10_ENKUlT_T0_E_clISt17integral_constantIbLb0EES1P_IbLb1EEEEDaS1L_S1M_EUlS1L_E_NS1_11comp_targetILNS1_3genE9ELNS1_11target_archE1100ELNS1_3gpuE3ELNS1_3repE0EEENS1_30default_config_static_selectorELNS0_4arch9wavefront6targetE0EEEvSZ_.has_indirect_call, 0
	.section	.AMDGPU.csdata,"",@progbits
; Kernel info:
; codeLenInByte = 0
; TotalNumSgprs: 0
; NumVgprs: 0
; ScratchSize: 0
; MemoryBound: 0
; FloatMode: 240
; IeeeMode: 1
; LDSByteSize: 0 bytes/workgroup (compile time only)
; SGPRBlocks: 0
; VGPRBlocks: 0
; NumSGPRsForWavesPerEU: 1
; NumVGPRsForWavesPerEU: 1
; Occupancy: 16
; WaveLimiterHint : 0
; COMPUTE_PGM_RSRC2:SCRATCH_EN: 0
; COMPUTE_PGM_RSRC2:USER_SGPR: 6
; COMPUTE_PGM_RSRC2:TRAP_HANDLER: 0
; COMPUTE_PGM_RSRC2:TGID_X_EN: 1
; COMPUTE_PGM_RSRC2:TGID_Y_EN: 0
; COMPUTE_PGM_RSRC2:TGID_Z_EN: 0
; COMPUTE_PGM_RSRC2:TIDIG_COMP_CNT: 0
	.section	.text._ZN7rocprim17ROCPRIM_400000_NS6detail17trampoline_kernelINS0_13select_configILj256ELj13ELNS0_17block_load_methodE3ELS4_3ELS4_3ELNS0_20block_scan_algorithmE0ELj4294967295EEENS1_25partition_config_selectorILNS1_17partition_subalgoE3EjNS0_10empty_typeEbEEZZNS1_14partition_implILS8_3ELb0ES6_jNS0_17counting_iteratorIjlEEPS9_SE_NS0_5tupleIJPjSE_EEENSF_IJSE_SE_EEES9_SG_JZNS1_25segmented_radix_sort_implINS0_14default_configELb1EPK12hip_bfloat16PSL_PKlPlN2at6native12_GLOBAL__N_18offset_tEEE10hipError_tPvRmT1_PNSt15iterator_traitsISZ_E10value_typeET2_T3_PNS10_IS15_E10value_typeET4_jRbjT5_S1B_jjP12ihipStream_tbEUljE_EEESW_SX_SY_S15_S19_S1B_T6_T7_T9_mT8_S1D_bDpT10_ENKUlT_T0_E_clISt17integral_constantIbLb0EES1P_IbLb1EEEEDaS1L_S1M_EUlS1L_E_NS1_11comp_targetILNS1_3genE8ELNS1_11target_archE1030ELNS1_3gpuE2ELNS1_3repE0EEENS1_30default_config_static_selectorELNS0_4arch9wavefront6targetE0EEEvSZ_,"axG",@progbits,_ZN7rocprim17ROCPRIM_400000_NS6detail17trampoline_kernelINS0_13select_configILj256ELj13ELNS0_17block_load_methodE3ELS4_3ELS4_3ELNS0_20block_scan_algorithmE0ELj4294967295EEENS1_25partition_config_selectorILNS1_17partition_subalgoE3EjNS0_10empty_typeEbEEZZNS1_14partition_implILS8_3ELb0ES6_jNS0_17counting_iteratorIjlEEPS9_SE_NS0_5tupleIJPjSE_EEENSF_IJSE_SE_EEES9_SG_JZNS1_25segmented_radix_sort_implINS0_14default_configELb1EPK12hip_bfloat16PSL_PKlPlN2at6native12_GLOBAL__N_18offset_tEEE10hipError_tPvRmT1_PNSt15iterator_traitsISZ_E10value_typeET2_T3_PNS10_IS15_E10value_typeET4_jRbjT5_S1B_jjP12ihipStream_tbEUljE_EEESW_SX_SY_S15_S19_S1B_T6_T7_T9_mT8_S1D_bDpT10_ENKUlT_T0_E_clISt17integral_constantIbLb0EES1P_IbLb1EEEEDaS1L_S1M_EUlS1L_E_NS1_11comp_targetILNS1_3genE8ELNS1_11target_archE1030ELNS1_3gpuE2ELNS1_3repE0EEENS1_30default_config_static_selectorELNS0_4arch9wavefront6targetE0EEEvSZ_,comdat
	.globl	_ZN7rocprim17ROCPRIM_400000_NS6detail17trampoline_kernelINS0_13select_configILj256ELj13ELNS0_17block_load_methodE3ELS4_3ELS4_3ELNS0_20block_scan_algorithmE0ELj4294967295EEENS1_25partition_config_selectorILNS1_17partition_subalgoE3EjNS0_10empty_typeEbEEZZNS1_14partition_implILS8_3ELb0ES6_jNS0_17counting_iteratorIjlEEPS9_SE_NS0_5tupleIJPjSE_EEENSF_IJSE_SE_EEES9_SG_JZNS1_25segmented_radix_sort_implINS0_14default_configELb1EPK12hip_bfloat16PSL_PKlPlN2at6native12_GLOBAL__N_18offset_tEEE10hipError_tPvRmT1_PNSt15iterator_traitsISZ_E10value_typeET2_T3_PNS10_IS15_E10value_typeET4_jRbjT5_S1B_jjP12ihipStream_tbEUljE_EEESW_SX_SY_S15_S19_S1B_T6_T7_T9_mT8_S1D_bDpT10_ENKUlT_T0_E_clISt17integral_constantIbLb0EES1P_IbLb1EEEEDaS1L_S1M_EUlS1L_E_NS1_11comp_targetILNS1_3genE8ELNS1_11target_archE1030ELNS1_3gpuE2ELNS1_3repE0EEENS1_30default_config_static_selectorELNS0_4arch9wavefront6targetE0EEEvSZ_ ; -- Begin function _ZN7rocprim17ROCPRIM_400000_NS6detail17trampoline_kernelINS0_13select_configILj256ELj13ELNS0_17block_load_methodE3ELS4_3ELS4_3ELNS0_20block_scan_algorithmE0ELj4294967295EEENS1_25partition_config_selectorILNS1_17partition_subalgoE3EjNS0_10empty_typeEbEEZZNS1_14partition_implILS8_3ELb0ES6_jNS0_17counting_iteratorIjlEEPS9_SE_NS0_5tupleIJPjSE_EEENSF_IJSE_SE_EEES9_SG_JZNS1_25segmented_radix_sort_implINS0_14default_configELb1EPK12hip_bfloat16PSL_PKlPlN2at6native12_GLOBAL__N_18offset_tEEE10hipError_tPvRmT1_PNSt15iterator_traitsISZ_E10value_typeET2_T3_PNS10_IS15_E10value_typeET4_jRbjT5_S1B_jjP12ihipStream_tbEUljE_EEESW_SX_SY_S15_S19_S1B_T6_T7_T9_mT8_S1D_bDpT10_ENKUlT_T0_E_clISt17integral_constantIbLb0EES1P_IbLb1EEEEDaS1L_S1M_EUlS1L_E_NS1_11comp_targetILNS1_3genE8ELNS1_11target_archE1030ELNS1_3gpuE2ELNS1_3repE0EEENS1_30default_config_static_selectorELNS0_4arch9wavefront6targetE0EEEvSZ_
	.p2align	8
	.type	_ZN7rocprim17ROCPRIM_400000_NS6detail17trampoline_kernelINS0_13select_configILj256ELj13ELNS0_17block_load_methodE3ELS4_3ELS4_3ELNS0_20block_scan_algorithmE0ELj4294967295EEENS1_25partition_config_selectorILNS1_17partition_subalgoE3EjNS0_10empty_typeEbEEZZNS1_14partition_implILS8_3ELb0ES6_jNS0_17counting_iteratorIjlEEPS9_SE_NS0_5tupleIJPjSE_EEENSF_IJSE_SE_EEES9_SG_JZNS1_25segmented_radix_sort_implINS0_14default_configELb1EPK12hip_bfloat16PSL_PKlPlN2at6native12_GLOBAL__N_18offset_tEEE10hipError_tPvRmT1_PNSt15iterator_traitsISZ_E10value_typeET2_T3_PNS10_IS15_E10value_typeET4_jRbjT5_S1B_jjP12ihipStream_tbEUljE_EEESW_SX_SY_S15_S19_S1B_T6_T7_T9_mT8_S1D_bDpT10_ENKUlT_T0_E_clISt17integral_constantIbLb0EES1P_IbLb1EEEEDaS1L_S1M_EUlS1L_E_NS1_11comp_targetILNS1_3genE8ELNS1_11target_archE1030ELNS1_3gpuE2ELNS1_3repE0EEENS1_30default_config_static_selectorELNS0_4arch9wavefront6targetE0EEEvSZ_,@function
_ZN7rocprim17ROCPRIM_400000_NS6detail17trampoline_kernelINS0_13select_configILj256ELj13ELNS0_17block_load_methodE3ELS4_3ELS4_3ELNS0_20block_scan_algorithmE0ELj4294967295EEENS1_25partition_config_selectorILNS1_17partition_subalgoE3EjNS0_10empty_typeEbEEZZNS1_14partition_implILS8_3ELb0ES6_jNS0_17counting_iteratorIjlEEPS9_SE_NS0_5tupleIJPjSE_EEENSF_IJSE_SE_EEES9_SG_JZNS1_25segmented_radix_sort_implINS0_14default_configELb1EPK12hip_bfloat16PSL_PKlPlN2at6native12_GLOBAL__N_18offset_tEEE10hipError_tPvRmT1_PNSt15iterator_traitsISZ_E10value_typeET2_T3_PNS10_IS15_E10value_typeET4_jRbjT5_S1B_jjP12ihipStream_tbEUljE_EEESW_SX_SY_S15_S19_S1B_T6_T7_T9_mT8_S1D_bDpT10_ENKUlT_T0_E_clISt17integral_constantIbLb0EES1P_IbLb1EEEEDaS1L_S1M_EUlS1L_E_NS1_11comp_targetILNS1_3genE8ELNS1_11target_archE1030ELNS1_3gpuE2ELNS1_3repE0EEENS1_30default_config_static_selectorELNS0_4arch9wavefront6targetE0EEEvSZ_: ; @_ZN7rocprim17ROCPRIM_400000_NS6detail17trampoline_kernelINS0_13select_configILj256ELj13ELNS0_17block_load_methodE3ELS4_3ELS4_3ELNS0_20block_scan_algorithmE0ELj4294967295EEENS1_25partition_config_selectorILNS1_17partition_subalgoE3EjNS0_10empty_typeEbEEZZNS1_14partition_implILS8_3ELb0ES6_jNS0_17counting_iteratorIjlEEPS9_SE_NS0_5tupleIJPjSE_EEENSF_IJSE_SE_EEES9_SG_JZNS1_25segmented_radix_sort_implINS0_14default_configELb1EPK12hip_bfloat16PSL_PKlPlN2at6native12_GLOBAL__N_18offset_tEEE10hipError_tPvRmT1_PNSt15iterator_traitsISZ_E10value_typeET2_T3_PNS10_IS15_E10value_typeET4_jRbjT5_S1B_jjP12ihipStream_tbEUljE_EEESW_SX_SY_S15_S19_S1B_T6_T7_T9_mT8_S1D_bDpT10_ENKUlT_T0_E_clISt17integral_constantIbLb0EES1P_IbLb1EEEEDaS1L_S1M_EUlS1L_E_NS1_11comp_targetILNS1_3genE8ELNS1_11target_archE1030ELNS1_3gpuE2ELNS1_3repE0EEENS1_30default_config_static_selectorELNS0_4arch9wavefront6targetE0EEEvSZ_
; %bb.0:
	s_clause 0x6
	s_load_dwordx2 s[18:19], s[4:5], 0x10
	s_load_dwordx2 s[16:17], s[4:5], 0x28
	;; [unrolled: 1-line block ×3, first 2 shown]
	s_load_dwordx4 s[12:15], s[4:5], 0x48
	s_load_dword s2, s[4:5], 0x90
	s_load_dwordx2 s[22:23], s[4:5], 0x68
	s_load_dwordx4 s[8:11], s[4:5], 0x80
	v_cmp_eq_u32_e64 s0, 0, v0
	s_and_saveexec_b32 s1, s0
	s_cbranch_execz .LBB1935_4
; %bb.1:
	s_mov_b32 s6, exec_lo
	s_mov_b32 s3, exec_lo
	v_mbcnt_lo_u32_b32 v1, s6, 0
                                        ; implicit-def: $vgpr2
	v_cmpx_eq_u32_e32 0, v1
	s_cbranch_execz .LBB1935_3
; %bb.2:
	s_load_dwordx2 s[24:25], s[4:5], 0x78
	s_bcnt1_i32_b32 s6, s6
	v_mov_b32_e32 v2, 0
	v_mov_b32_e32 v3, s6
	s_waitcnt lgkmcnt(0)
	global_atomic_add v2, v2, v3, s[24:25] glc
.LBB1935_3:
	s_or_b32 exec_lo, exec_lo, s3
	s_waitcnt vmcnt(0)
	v_readfirstlane_b32 s3, v2
	v_mov_b32_e32 v2, 0
	v_add_nc_u32_e32 v1, s3, v1
	ds_write_b32 v2, v1
.LBB1935_4:
	s_or_b32 exec_lo, exec_lo, s1
	v_mov_b32_e32 v1, 0
	s_clause 0x1
	s_load_dword s3, s[4:5], 0x8
	s_load_dword s1, s[4:5], 0x70
	s_waitcnt lgkmcnt(0)
	s_barrier
	buffer_gl0_inv
	ds_read_b32 v2, v1
	s_waitcnt lgkmcnt(0)
	s_barrier
	buffer_gl0_inv
	global_load_dwordx2 v[18:19], v1, s[14:15]
	v_lshlrev_b32_e32 v44, 2, v0
	s_add_i32 s4, s3, s18
	s_mul_i32 s5, s1, 0xd00
	s_add_i32 s1, s1, -1
	s_add_i32 s3, s5, s18
	s_sub_i32 s15, s20, s3
	v_readfirstlane_b32 s25, v2
	s_addk_i32 s15, 0xd00
	s_add_u32 s6, s18, s5
	s_addc_u32 s7, s19, 0
	v_cmp_ne_u32_e32 vcc_lo, s1, v2
	v_cmp_gt_u64_e64 s3, s[20:21], s[6:7]
	s_cmp_eq_u32 s25, s1
	s_mul_i32 s24, s25, 0xd00
	s_cselect_b32 s14, -1, 0
	s_mov_b32 s5, -1
	s_or_b32 s3, s3, vcc_lo
	s_and_b32 vcc_lo, exec_lo, s3
	s_cbranch_vccz .LBB1935_6
; %bb.5:
	v_add3_u32 v1, s24, s4, v0
	s_mov_b32 s5, 0
	v_add_nc_u32_e32 v2, 0x100, v1
	v_add_nc_u32_e32 v3, 0x200, v1
	;; [unrolled: 1-line block ×12, first 2 shown]
	ds_write2st64_b32 v44, v1, v2 offset1:4
	ds_write2st64_b32 v44, v3, v4 offset0:8 offset1:12
	ds_write2st64_b32 v44, v5, v6 offset0:16 offset1:20
	;; [unrolled: 1-line block ×5, first 2 shown]
	ds_write_b32 v44, v13 offset:12288
	s_waitcnt vmcnt(0) lgkmcnt(0)
	s_barrier
.LBB1935_6:
	v_cmp_gt_u32_e64 s1, s15, v0
	v_or_b32_e32 v43, 0x100, v0
	v_or_b32_e32 v42, 0x200, v0
	;; [unrolled: 1-line block ×12, first 2 shown]
	s_andn2_b32 vcc_lo, exec_lo, s5
	s_cbranch_vccnz .LBB1935_8
; %bb.7:
	s_add_i32 s4, s24, s4
	v_cmp_gt_u32_e32 vcc_lo, s15, v43
	v_add_nc_u32_e32 v2, s4, v43
	v_add_nc_u32_e32 v3, s4, v42
	v_add_nc_u32_e32 v4, s4, v41
	v_add_nc_u32_e32 v5, s4, v40
	v_add_nc_u32_e32 v6, s4, v39
	v_cndmask_b32_e32 v2, 0, v2, vcc_lo
	v_cmp_gt_u32_e32 vcc_lo, s15, v42
	v_add_nc_u32_e32 v7, s4, v38
	v_add_nc_u32_e32 v8, s4, v37
	;; [unrolled: 1-line block ×4, first 2 shown]
	v_cndmask_b32_e32 v3, 0, v3, vcc_lo
	v_cmp_gt_u32_e32 vcc_lo, s15, v41
	v_add_nc_u32_e32 v11, s4, v34
	v_add_nc_u32_e32 v1, s4, v0
	;; [unrolled: 1-line block ×4, first 2 shown]
	v_cndmask_b32_e32 v4, 0, v4, vcc_lo
	v_cmp_gt_u32_e32 vcc_lo, s15, v40
	v_cndmask_b32_e64 v1, 0, v1, s1
	v_cndmask_b32_e32 v5, 0, v5, vcc_lo
	v_cmp_gt_u32_e32 vcc_lo, s15, v39
	v_cndmask_b32_e32 v6, 0, v6, vcc_lo
	v_cmp_gt_u32_e32 vcc_lo, s15, v38
	;; [unrolled: 2-line block ×8, first 2 shown]
	v_cndmask_b32_e32 v13, 0, v13, vcc_lo
	ds_write2st64_b32 v44, v1, v2 offset1:4
	ds_write2st64_b32 v44, v3, v4 offset0:8 offset1:12
	ds_write2st64_b32 v44, v5, v6 offset0:16 offset1:20
	;; [unrolled: 1-line block ×5, first 2 shown]
	ds_write_b32 v44, v13 offset:12288
	s_waitcnt vmcnt(0) lgkmcnt(0)
	s_barrier
.LBB1935_8:
	v_mul_u32_u24_e32 v47, 13, v0
	s_waitcnt vmcnt(0)
	buffer_gl0_inv
	v_cndmask_b32_e64 v45, 0, 1, s3
	s_andn2_b32 vcc_lo, exec_lo, s3
	v_lshlrev_b32_e32 v1, 2, v47
	ds_read2_b32 v[28:29], v1 offset0:2 offset1:3
	ds_read2_b32 v[24:25], v1 offset0:6 offset1:7
	;; [unrolled: 1-line block ×3, first 2 shown]
	ds_read2_b32 v[30:31], v1 offset1:1
	ds_read2_b32 v[20:21], v1 offset0:10 offset1:11
	ds_read_b32 v46, v1 offset:48
	ds_read2_b32 v[22:23], v1 offset0:8 offset1:9
	s_waitcnt lgkmcnt(0)
	s_barrier
	buffer_gl0_inv
	s_cbranch_vccnz .LBB1935_10
; %bb.9:
	v_add_nc_u32_e32 v1, s9, v29
	v_add_nc_u32_e32 v4, s9, v28
	;; [unrolled: 1-line block ×6, first 2 shown]
	v_mul_lo_u32 v4, v4, s8
	v_mul_lo_u32 v1, v1, s8
	;; [unrolled: 1-line block ×4, first 2 shown]
	v_add_nc_u32_e32 v3, s9, v30
	v_add_nc_u32_e32 v7, s11, v30
	v_mul_lo_u32 v2, v2, s8
	v_mul_lo_u32 v6, v6, s10
	v_add_nc_u32_e32 v10, s11, v27
	v_mul_lo_u32 v3, v3, s8
	v_mul_lo_u32 v7, v7, s10
	v_sub_nc_u32_e32 v1, v1, v5
	v_sub_nc_u32_e32 v4, v4, v8
	v_add_nc_u32_e32 v5, s9, v25
	v_add_nc_u32_e32 v8, s11, v25
	v_sub_nc_u32_e32 v2, v2, v6
	v_add_nc_u32_e32 v6, s9, v27
	v_add_nc_u32_e32 v9, s9, v24
	v_mul_lo_u32 v5, v5, s8
	v_mul_lo_u32 v8, v8, s10
	v_sub_nc_u32_e32 v3, v3, v7
	v_add_nc_u32_e32 v7, s9, v26
	v_add_nc_u32_e32 v11, s11, v24
	v_mul_lo_u32 v6, v6, s8
	v_mul_lo_u32 v10, v10, s10
	v_add_nc_u32_e32 v12, s11, v26
	v_mul_lo_u32 v9, v9, s8
	v_mul_lo_u32 v7, v7, s8
	v_mul_lo_u32 v11, v11, s10
	v_sub_nc_u32_e32 v5, v5, v8
	v_mul_lo_u32 v8, v12, s10
	v_cmp_lt_u32_e32 vcc_lo, s2, v1
	v_sub_nc_u32_e32 v6, v6, v10
	v_add_nc_u32_e32 v10, s9, v21
	v_add_nc_u32_e32 v14, s11, v21
	;; [unrolled: 1-line block ×3, first 2 shown]
	v_cndmask_b32_e64 v1, 0, 1, vcc_lo
	v_cmp_lt_u32_e32 vcc_lo, s2, v2
	v_sub_nc_u32_e32 v7, v7, v8
	v_sub_nc_u32_e32 v8, v9, v11
	v_add_nc_u32_e32 v11, s9, v23
	v_mul_lo_u32 v10, v10, s8
	v_mul_lo_u32 v14, v14, s10
	v_cndmask_b32_e64 v2, 0, 1, vcc_lo
	v_cmp_lt_u32_e32 vcc_lo, s2, v5
	v_mul_lo_u32 v11, v11, s8
	v_mul_lo_u32 v15, v15, s10
	v_mov_b32_e32 v9, 8
	v_lshlrev_b16 v2, 8, v2
	v_cndmask_b32_e64 v5, 0, 1, vcc_lo
	v_cmp_lt_u32_e32 vcc_lo, s2, v6
	v_sub_nc_u32_e32 v10, v10, v14
	v_add_nc_u32_e32 v12, s9, v22
	v_add_nc_u32_e32 v16, s11, v22
	v_sub_nc_u32_e32 v11, v11, v15
	v_cndmask_b32_e64 v6, 0, 1, vcc_lo
	v_cmp_lt_u32_e32 vcc_lo, s2, v10
	v_lshrrev_b32_sdwa v2, v9, v2 dst_sel:BYTE_1 dst_unused:UNUSED_PAD src0_sel:DWORD src1_sel:DWORD
	v_add_nc_u32_e32 v13, s9, v20
	v_add_nc_u32_e32 v17, s11, v20
	v_mul_lo_u32 v12, v12, s8
	v_cndmask_b32_e64 v10, 0, 1, vcc_lo
	v_cmp_lt_u32_e32 vcc_lo, s2, v11
	v_mul_lo_u32 v16, v16, s10
	v_mul_lo_u32 v13, v13, s8
	;; [unrolled: 1-line block ×3, first 2 shown]
	v_add_nc_u32_e32 v14, s9, v46
	v_cndmask_b32_e64 v11, 0, 1, vcc_lo
	v_cmp_lt_u32_e32 vcc_lo, s2, v3
	v_add_nc_u32_e32 v15, s11, v46
	v_lshlrev_b16 v1, 8, v1
	v_sub_nc_u32_e32 v12, v12, v16
	v_lshlrev_b16 v11, 8, v11
	v_cndmask_b32_e64 v3, 0, 1, vcc_lo
	v_cmp_lt_u32_e32 vcc_lo, s2, v4
	v_sub_nc_u32_e32 v13, v13, v17
	v_mul_lo_u32 v14, v14, s8
	v_mul_lo_u32 v15, v15, s10
	v_or_b32_e32 v2, v3, v2
	v_cndmask_b32_e64 v3, 0, 1, vcc_lo
	v_cmp_lt_u32_e32 vcc_lo, s2, v7
	v_lshlrev_b16 v6, 8, v6
	v_lshlrev_b16 v10, 8, v10
	v_lshlrev_b16 v5, 8, v5
	v_lshrrev_b32_sdwa v1, v9, v1 dst_sel:BYTE_1 dst_unused:UNUSED_PAD src0_sel:DWORD src1_sel:DWORD
	v_cndmask_b32_e64 v4, 0, 1, vcc_lo
	v_cmp_lt_u32_e32 vcc_lo, s2, v8
	v_lshrrev_b32_sdwa v8, v9, v11 dst_sel:BYTE_1 dst_unused:UNUSED_PAD src0_sel:DWORD src1_sel:DWORD
	v_lshrrev_b32_sdwa v6, v9, v6 dst_sel:BYTE_1 dst_unused:UNUSED_PAD src0_sel:DWORD src1_sel:DWORD
	v_sub_nc_u32_e32 v14, v14, v15
	v_lshrrev_b32_sdwa v9, v9, v10 dst_sel:BYTE_1 dst_unused:UNUSED_PAD src0_sel:DWORD src1_sel:DWORD
	v_cndmask_b32_e64 v7, 0, 1, vcc_lo
	v_cmp_lt_u32_e32 vcc_lo, s2, v12
	v_or_b32_sdwa v1, v3, v1 dst_sel:WORD_1 dst_unused:UNUSED_PAD src0_sel:DWORD src1_sel:DWORD
	v_or_b32_e32 v3, v4, v6
	v_or_b32_sdwa v4, v7, v5 dst_sel:WORD_1 dst_unused:UNUSED_PAD src0_sel:DWORD src1_sel:DWORD
	v_cndmask_b32_e64 v11, 0, 1, vcc_lo
	v_cmp_lt_u32_e32 vcc_lo, s2, v13
	v_or_b32_sdwa v52, v2, v1 dst_sel:DWORD dst_unused:UNUSED_PAD src0_sel:WORD_0 src1_sel:DWORD
	v_or_b32_sdwa v50, v3, v4 dst_sel:DWORD dst_unused:UNUSED_PAD src0_sel:WORD_0 src1_sel:DWORD
	v_or_b32_e32 v5, v11, v8
	v_cndmask_b32_e64 v10, 0, 1, vcc_lo
	v_cmp_lt_u32_e32 vcc_lo, s2, v14
	v_or_b32_sdwa v6, v10, v9 dst_sel:WORD_1 dst_unused:UNUSED_PAD src0_sel:DWORD src1_sel:DWORD
	v_cndmask_b32_e64 v48, 0, 1, vcc_lo
	v_or_b32_sdwa v49, v5, v6 dst_sel:DWORD dst_unused:UNUSED_PAD src0_sel:WORD_0 src1_sel:DWORD
	s_cbranch_execz .LBB1935_11
	s_branch .LBB1935_38
.LBB1935_10:
                                        ; implicit-def: $vgpr48
                                        ; implicit-def: $vgpr49
                                        ; implicit-def: $vgpr50
                                        ; implicit-def: $vgpr52
.LBB1935_11:
	v_mov_b32_e32 v2, 0
	v_mov_b32_e32 v1, 0
	s_mov_b32 s1, exec_lo
	v_cmpx_gt_u32_e64 s15, v47
	s_cbranch_execz .LBB1935_13
; %bb.12:
	v_add_nc_u32_e32 v1, s9, v30
	v_add_nc_u32_e32 v3, s11, v30
	v_mul_lo_u32 v1, v1, s8
	v_mul_lo_u32 v3, v3, s10
	v_sub_nc_u32_e32 v1, v1, v3
	v_cmp_lt_u32_e32 vcc_lo, s2, v1
	v_cndmask_b32_e64 v1, 0, 1, vcc_lo
.LBB1935_13:
	s_or_b32 exec_lo, exec_lo, s1
	v_add_nc_u32_e32 v3, 1, v47
	s_mov_b32 s1, exec_lo
	v_cmpx_gt_u32_e64 s15, v3
	s_cbranch_execz .LBB1935_15
; %bb.14:
	v_add_nc_u32_e32 v2, s9, v31
	v_add_nc_u32_e32 v3, s11, v31
	v_mul_lo_u32 v2, v2, s8
	v_mul_lo_u32 v3, v3, s10
	v_sub_nc_u32_e32 v2, v2, v3
	v_cmp_lt_u32_e32 vcc_lo, s2, v2
	v_cndmask_b32_e64 v2, 0, 1, vcc_lo
.LBB1935_15:
	s_or_b32 exec_lo, exec_lo, s1
	v_add_nc_u32_e32 v3, 2, v47
	v_mov_b32_e32 v4, 0
	v_cmp_gt_u32_e32 vcc_lo, s15, v3
	v_mov_b32_e32 v3, 0
	s_and_saveexec_b32 s1, vcc_lo
	s_cbranch_execz .LBB1935_17
; %bb.16:
	v_add_nc_u32_e32 v3, s9, v28
	v_add_nc_u32_e32 v5, s11, v28
	v_mul_lo_u32 v3, v3, s8
	v_mul_lo_u32 v5, v5, s10
	v_sub_nc_u32_e32 v3, v3, v5
	v_cmp_lt_u32_e32 vcc_lo, s2, v3
	v_cndmask_b32_e64 v3, 0, 1, vcc_lo
.LBB1935_17:
	s_or_b32 exec_lo, exec_lo, s1
	v_add_nc_u32_e32 v5, 3, v47
	s_mov_b32 s1, exec_lo
	v_cmpx_gt_u32_e64 s15, v5
	s_cbranch_execz .LBB1935_19
; %bb.18:
	v_add_nc_u32_e32 v4, s9, v29
	v_add_nc_u32_e32 v5, s11, v29
	v_mul_lo_u32 v4, v4, s8
	v_mul_lo_u32 v5, v5, s10
	v_sub_nc_u32_e32 v4, v4, v5
	v_cmp_lt_u32_e32 vcc_lo, s2, v4
	v_cndmask_b32_e64 v4, 0, 1, vcc_lo
.LBB1935_19:
	s_or_b32 exec_lo, exec_lo, s1
	v_add_nc_u32_e32 v5, 4, v47
	v_mov_b32_e32 v6, 0
	v_cmp_gt_u32_e32 vcc_lo, s15, v5
	v_mov_b32_e32 v5, 0
	s_and_saveexec_b32 s1, vcc_lo
	;; [unrolled: 30-line block ×5, first 2 shown]
	s_cbranch_execz .LBB1935_33
; %bb.32:
	v_add_nc_u32_e32 v11, s9, v20
	v_add_nc_u32_e32 v13, s11, v20
	v_mul_lo_u32 v11, v11, s8
	v_mul_lo_u32 v13, v13, s10
	v_sub_nc_u32_e32 v11, v11, v13
	v_cmp_lt_u32_e32 vcc_lo, s2, v11
	v_cndmask_b32_e64 v11, 0, 1, vcc_lo
.LBB1935_33:
	s_or_b32 exec_lo, exec_lo, s1
	v_add_nc_u32_e32 v13, 11, v47
	s_mov_b32 s1, exec_lo
	v_cmpx_gt_u32_e64 s15, v13
	s_cbranch_execz .LBB1935_35
; %bb.34:
	v_add_nc_u32_e32 v12, s9, v21
	v_add_nc_u32_e32 v13, s11, v21
	v_mul_lo_u32 v12, v12, s8
	v_mul_lo_u32 v13, v13, s10
	v_sub_nc_u32_e32 v12, v12, v13
	v_cmp_lt_u32_e32 vcc_lo, s2, v12
	v_cndmask_b32_e64 v12, 0, 1, vcc_lo
.LBB1935_35:
	s_or_b32 exec_lo, exec_lo, s1
	v_add_nc_u32_e32 v13, 12, v47
	v_mov_b32_e32 v48, 0
	s_mov_b32 s1, exec_lo
	v_cmpx_gt_u32_e64 s15, v13
	s_cbranch_execz .LBB1935_37
; %bb.36:
	v_add_nc_u32_e32 v13, s9, v46
	v_add_nc_u32_e32 v14, s11, v46
	v_mul_lo_u32 v13, v13, s8
	v_mul_lo_u32 v14, v14, s10
	v_sub_nc_u32_e32 v13, v13, v14
	v_cmp_lt_u32_e32 vcc_lo, s2, v13
	v_cndmask_b32_e64 v48, 0, 1, vcc_lo
.LBB1935_37:
	s_or_b32 exec_lo, exec_lo, s1
	v_lshlrev_b16 v2, 8, v2
	v_lshlrev_b16 v4, 8, v4
	v_lshlrev_b16 v6, 8, v6
	v_lshlrev_b16 v8, 8, v8
	v_lshlrev_b16 v10, 8, v10
	v_or_b32_e32 v1, v1, v2
	v_lshlrev_b16 v2, 8, v12
	v_or_b32_sdwa v3, v3, v4 dst_sel:WORD_1 dst_unused:UNUSED_PAD src0_sel:DWORD src1_sel:DWORD
	v_or_b32_e32 v4, v5, v6
	v_or_b32_sdwa v5, v7, v8 dst_sel:WORD_1 dst_unused:UNUSED_PAD src0_sel:DWORD src1_sel:DWORD
	v_or_b32_e32 v6, v9, v10
	v_or_b32_sdwa v2, v11, v2 dst_sel:WORD_1 dst_unused:UNUSED_PAD src0_sel:DWORD src1_sel:DWORD
	v_or_b32_sdwa v52, v1, v3 dst_sel:DWORD dst_unused:UNUSED_PAD src0_sel:WORD_0 src1_sel:DWORD
	v_or_b32_sdwa v50, v4, v5 dst_sel:DWORD dst_unused:UNUSED_PAD src0_sel:WORD_0 src1_sel:DWORD
	;; [unrolled: 1-line block ×3, first 2 shown]
.LBB1935_38:
	v_and_b32_e32 v55, 0xff, v52
	v_bfe_u32 v56, v52, 8, 8
	v_bfe_u32 v57, v52, 16, 8
	v_lshrrev_b32_e32 v54, 24, v52
	v_and_b32_e32 v58, 0xff, v50
	v_bfe_u32 v59, v50, 8, 8
	v_bfe_u32 v60, v50, 16, 8
	v_add3_u32 v1, v56, v55, v57
	v_lshrrev_b32_e32 v53, 24, v50
	v_and_b32_e32 v61, 0xff, v49
	v_bfe_u32 v62, v49, 8, 8
	v_mbcnt_lo_u32_b32 v64, -1, 0
	v_add3_u32 v1, v1, v54, v58
	v_bfe_u32 v63, v49, 16, 8
	v_lshrrev_b32_e32 v51, 24, v49
	v_and_b32_e32 v2, 0xff, v48
	v_and_b32_e32 v3, 15, v64
	v_add3_u32 v1, v1, v59, v60
	v_or_b32_e32 v4, 31, v0
	v_and_b32_e32 v5, 16, v64
	v_lshrrev_b32_e32 v65, 5, v0
	v_cmp_eq_u32_e64 s6, 0, v3
	v_add3_u32 v1, v1, v53, v61
	v_cmp_lt_u32_e64 s5, 1, v3
	v_cmp_lt_u32_e64 s4, 3, v3
	;; [unrolled: 1-line block ×3, first 2 shown]
	v_cmp_eq_u32_e64 s2, 0, v5
	v_add3_u32 v1, v1, v62, v63
	v_cmp_eq_u32_e64 s1, v0, v4
	s_cmp_lg_u32 s25, 0
	s_mov_b32 s7, -1
	v_add3_u32 v66, v1, v51, v2
	s_cbranch_scc0 .LBB1935_60
; %bb.39:
	v_mov_b32_dpp v1, v66 row_shr:1 row_mask:0xf bank_mask:0xf
	v_cndmask_b32_e64 v1, v1, 0, s6
	v_add_nc_u32_e32 v1, v1, v66
	v_mov_b32_dpp v2, v1 row_shr:2 row_mask:0xf bank_mask:0xf
	v_cndmask_b32_e64 v2, 0, v2, s5
	v_add_nc_u32_e32 v1, v1, v2
	;; [unrolled: 3-line block ×4, first 2 shown]
	ds_swizzle_b32 v2, v1 offset:swizzle(BROADCAST,32,15)
	s_waitcnt lgkmcnt(0)
	v_cndmask_b32_e64 v2, v2, 0, s2
	v_add_nc_u32_e32 v1, v1, v2
	s_and_saveexec_b32 s7, s1
; %bb.40:
	v_lshlrev_b32_e32 v2, 2, v65
	ds_write_b32 v2, v1
; %bb.41:
	s_or_b32 exec_lo, exec_lo, s7
	s_mov_b32 s7, exec_lo
	s_waitcnt lgkmcnt(0)
	s_barrier
	buffer_gl0_inv
	v_cmpx_gt_u32_e32 8, v0
	s_cbranch_execz .LBB1935_43
; %bb.42:
	ds_read_b32 v2, v44
	v_and_b32_e32 v3, 7, v64
	v_cmp_ne_u32_e32 vcc_lo, 0, v3
	s_waitcnt lgkmcnt(0)
	v_mov_b32_dpp v4, v2 row_shr:1 row_mask:0xf bank_mask:0xf
	v_cndmask_b32_e32 v4, 0, v4, vcc_lo
	v_cmp_lt_u32_e32 vcc_lo, 1, v3
	v_add_nc_u32_e32 v2, v4, v2
	v_mov_b32_dpp v4, v2 row_shr:2 row_mask:0xf bank_mask:0xf
	v_cndmask_b32_e32 v4, 0, v4, vcc_lo
	v_cmp_lt_u32_e32 vcc_lo, 3, v3
	v_add_nc_u32_e32 v2, v2, v4
	v_mov_b32_dpp v4, v2 row_shr:4 row_mask:0xf bank_mask:0xf
	v_cndmask_b32_e32 v3, 0, v4, vcc_lo
	v_add_nc_u32_e32 v2, v2, v3
	ds_write_b32 v44, v2
.LBB1935_43:
	s_or_b32 exec_lo, exec_lo, s7
	s_mov_b32 s8, exec_lo
	v_cmp_gt_u32_e32 vcc_lo, 32, v0
	s_waitcnt lgkmcnt(0)
	s_barrier
	buffer_gl0_inv
                                        ; implicit-def: $vgpr10
	v_cmpx_lt_u32_e32 31, v0
	s_cbranch_execz .LBB1935_45
; %bb.44:
	v_lshl_add_u32 v2, v65, 2, -4
	ds_read_b32 v10, v2
	s_waitcnt lgkmcnt(0)
	v_add_nc_u32_e32 v1, v10, v1
.LBB1935_45:
	s_or_b32 exec_lo, exec_lo, s8
	v_sub_co_u32 v2, s7, v64, 1
	v_cmp_gt_i32_e64 s8, 0, v2
	v_cndmask_b32_e64 v2, v2, v64, s8
	v_lshlrev_b32_e32 v2, 2, v2
	ds_bpermute_b32 v11, v2, v1
	s_and_saveexec_b32 s8, vcc_lo
	s_cbranch_execz .LBB1935_65
; %bb.46:
	v_mov_b32_e32 v7, 0
	ds_read_b32 v1, v7 offset:28
	s_and_saveexec_b32 s9, s7
	s_cbranch_execz .LBB1935_48
; %bb.47:
	s_add_i32 s10, s25, 32
	s_mov_b32 s11, 0
	v_mov_b32_e32 v2, 1
	s_lshl_b64 s[10:11], s[10:11], 3
	s_add_u32 s10, s22, s10
	s_addc_u32 s11, s23, s11
	s_waitcnt lgkmcnt(0)
	global_store_dwordx2 v7, v[1:2], s[10:11]
.LBB1935_48:
	s_or_b32 exec_lo, exec_lo, s9
	v_xad_u32 v3, v64, -1, s25
	s_mov_b32 s10, 0
	v_add_nc_u32_e32 v6, 32, v3
	v_lshlrev_b64 v[4:5], 3, v[6:7]
	v_add_co_u32 v8, vcc_lo, s22, v4
	v_add_co_ci_u32_e64 v9, null, s23, v5, vcc_lo
	global_load_dwordx2 v[5:6], v[8:9], off glc dlc
	s_waitcnt vmcnt(0)
	v_cmp_eq_u16_sdwa s11, v6, v7 src0_sel:BYTE_0 src1_sel:DWORD
	s_and_saveexec_b32 s9, s11
	s_cbranch_execz .LBB1935_52
; %bb.49:
	v_mov_b32_e32 v2, 0
.LBB1935_50:                            ; =>This Inner Loop Header: Depth=1
	global_load_dwordx2 v[5:6], v[8:9], off glc dlc
	s_waitcnt vmcnt(0)
	v_cmp_ne_u16_sdwa s11, v6, v2 src0_sel:BYTE_0 src1_sel:DWORD
	s_or_b32 s10, s11, s10
	s_andn2_b32 exec_lo, exec_lo, s10
	s_cbranch_execnz .LBB1935_50
; %bb.51:
	s_or_b32 exec_lo, exec_lo, s10
.LBB1935_52:
	s_or_b32 exec_lo, exec_lo, s9
	v_cmp_ne_u32_e32 vcc_lo, 31, v64
	v_mov_b32_e32 v12, 2
	v_lshlrev_b32_e64 v13, v64, -1
	v_add_nc_u32_e32 v15, 2, v64
	v_add_nc_u32_e32 v17, 4, v64
	v_add_co_ci_u32_e64 v2, null, 0, v64, vcc_lo
	v_cmp_eq_u16_sdwa s9, v6, v12 src0_sel:BYTE_0 src1_sel:DWORD
	v_cmp_gt_u32_e32 vcc_lo, 30, v64
	v_add_nc_u32_e32 v68, 8, v64
	v_lshlrev_b32_e32 v9, 2, v2
	v_lshl_or_b32 v69, v64, 2, 64
	v_and_or_b32 v4, s9, v13, 0x80000000
	v_cndmask_b32_e64 v7, 0, 2, vcc_lo
	v_add_nc_u32_e32 v70, 16, v64
	ds_bpermute_b32 v2, v9, v5
	v_ffbl_b32_e32 v4, v4
	v_add_lshl_u32 v14, v7, v64, 2
	v_cmp_lt_u32_e32 vcc_lo, v64, v4
	s_waitcnt lgkmcnt(0)
	v_cndmask_b32_e32 v2, 0, v2, vcc_lo
	v_cmp_gt_u32_e32 vcc_lo, 28, v64
	v_add_nc_u32_e32 v2, v2, v5
	v_cndmask_b32_e64 v7, 0, 4, vcc_lo
	v_cmp_le_u32_e32 vcc_lo, v15, v4
	ds_bpermute_b32 v5, v14, v2
	v_add_lshl_u32 v16, v7, v64, 2
	s_waitcnt lgkmcnt(0)
	v_cndmask_b32_e32 v5, 0, v5, vcc_lo
	v_cmp_gt_u32_e32 vcc_lo, 24, v64
	v_add_nc_u32_e32 v2, v2, v5
	v_cndmask_b32_e64 v7, 0, 8, vcc_lo
	v_cmp_le_u32_e32 vcc_lo, v17, v4
	ds_bpermute_b32 v5, v16, v2
	v_add_lshl_u32 v67, v7, v64, 2
	s_waitcnt lgkmcnt(0)
	v_cndmask_b32_e32 v5, 0, v5, vcc_lo
	v_cmp_le_u32_e32 vcc_lo, v68, v4
	v_add_nc_u32_e32 v2, v2, v5
	ds_bpermute_b32 v5, v67, v2
	s_waitcnt lgkmcnt(0)
	v_cndmask_b32_e32 v5, 0, v5, vcc_lo
	v_cmp_le_u32_e32 vcc_lo, v70, v4
	v_add_nc_u32_e32 v2, v2, v5
	ds_bpermute_b32 v5, v69, v2
	s_waitcnt lgkmcnt(0)
	v_cndmask_b32_e32 v4, 0, v5, vcc_lo
	v_add_nc_u32_e32 v5, v2, v4
	v_mov_b32_e32 v4, 0
	s_branch .LBB1935_56
.LBB1935_53:                            ;   in Loop: Header=BB1935_56 Depth=1
	s_or_b32 exec_lo, exec_lo, s10
.LBB1935_54:                            ;   in Loop: Header=BB1935_56 Depth=1
	s_or_b32 exec_lo, exec_lo, s9
	ds_bpermute_b32 v7, v9, v5
	v_cmp_eq_u16_sdwa s9, v6, v12 src0_sel:BYTE_0 src1_sel:DWORD
	v_subrev_nc_u32_e32 v3, 32, v3
	v_and_or_b32 v8, s9, v13, 0x80000000
	s_mov_b32 s9, 0
	v_ffbl_b32_e32 v8, v8
	v_cmp_lt_u32_e32 vcc_lo, v64, v8
	s_waitcnt lgkmcnt(0)
	v_cndmask_b32_e32 v7, 0, v7, vcc_lo
	v_cmp_le_u32_e32 vcc_lo, v15, v8
	v_add_nc_u32_e32 v5, v7, v5
	ds_bpermute_b32 v7, v14, v5
	s_waitcnt lgkmcnt(0)
	v_cndmask_b32_e32 v7, 0, v7, vcc_lo
	v_cmp_le_u32_e32 vcc_lo, v17, v8
	v_add_nc_u32_e32 v5, v5, v7
	ds_bpermute_b32 v7, v16, v5
	;; [unrolled: 5-line block ×4, first 2 shown]
	s_waitcnt lgkmcnt(0)
	v_cndmask_b32_e32 v7, 0, v7, vcc_lo
	v_add3_u32 v5, v7, v2, v5
.LBB1935_55:                            ;   in Loop: Header=BB1935_56 Depth=1
	s_and_b32 vcc_lo, exec_lo, s9
	s_cbranch_vccnz .LBB1935_61
.LBB1935_56:                            ; =>This Loop Header: Depth=1
                                        ;     Child Loop BB1935_59 Depth 2
	v_cmp_ne_u16_sdwa s9, v6, v12 src0_sel:BYTE_0 src1_sel:DWORD
	v_mov_b32_e32 v2, v5
                                        ; implicit-def: $vgpr5
                                        ; implicit-def: $vgpr6
	s_cmp_lg_u32 s9, exec_lo
	s_mov_b32 s9, -1
	s_cbranch_scc1 .LBB1935_55
; %bb.57:                               ;   in Loop: Header=BB1935_56 Depth=1
	v_lshlrev_b64 v[5:6], 3, v[3:4]
	v_add_co_u32 v7, vcc_lo, s22, v5
	v_add_co_ci_u32_e64 v8, null, s23, v6, vcc_lo
	global_load_dwordx2 v[5:6], v[7:8], off glc dlc
	s_waitcnt vmcnt(0)
	v_cmp_eq_u16_sdwa s10, v6, v4 src0_sel:BYTE_0 src1_sel:DWORD
	s_and_saveexec_b32 s9, s10
	s_cbranch_execz .LBB1935_54
; %bb.58:                               ;   in Loop: Header=BB1935_56 Depth=1
	s_mov_b32 s10, 0
.LBB1935_59:                            ;   Parent Loop BB1935_56 Depth=1
                                        ; =>  This Inner Loop Header: Depth=2
	global_load_dwordx2 v[5:6], v[7:8], off glc dlc
	s_waitcnt vmcnt(0)
	v_cmp_ne_u16_sdwa s11, v6, v4 src0_sel:BYTE_0 src1_sel:DWORD
	s_or_b32 s10, s11, s10
	s_andn2_b32 exec_lo, exec_lo, s10
	s_cbranch_execnz .LBB1935_59
	s_branch .LBB1935_53
.LBB1935_60:
                                        ; implicit-def: $vgpr17
                                        ; implicit-def: $vgpr1_vgpr2_vgpr3_vgpr4_vgpr5_vgpr6_vgpr7_vgpr8_vgpr9_vgpr10_vgpr11_vgpr12_vgpr13_vgpr14_vgpr15_vgpr16
	s_and_b32 vcc_lo, exec_lo, s7
	s_cbranch_vccnz .LBB1935_66
	s_branch .LBB1935_75
.LBB1935_61:
	s_and_saveexec_b32 s9, s7
	s_cbranch_execz .LBB1935_63
; %bb.62:
	s_add_i32 s10, s25, 32
	s_mov_b32 s11, 0
	v_add_nc_u32_e32 v3, v2, v1
	v_mov_b32_e32 v4, 2
	s_lshl_b64 s[10:11], s[10:11], 3
	v_mov_b32_e32 v5, 0
	s_add_u32 s10, s22, s10
	s_addc_u32 s11, s23, s11
	global_store_dwordx2 v5, v[3:4], s[10:11]
	ds_write_b64 v5, v[1:2] offset:13312
.LBB1935_63:
	s_or_b32 exec_lo, exec_lo, s9
	s_and_b32 exec_lo, exec_lo, s0
; %bb.64:
	v_mov_b32_e32 v1, 0
	ds_write_b32 v1, v2 offset:28
.LBB1935_65:
	s_or_b32 exec_lo, exec_lo, s8
	v_mov_b32_e32 v12, 0
	s_waitcnt lgkmcnt(0)
	s_waitcnt_vscnt null, 0x0
	s_barrier
	buffer_gl0_inv
	v_cndmask_b32_e64 v2, v11, v10, s7
	ds_read_b32 v1, v12 offset:28
	s_waitcnt lgkmcnt(0)
	s_barrier
	buffer_gl0_inv
	v_cndmask_b32_e64 v2, v2, 0, s0
	ds_read_b64 v[16:17], v12 offset:13312
	v_add_nc_u32_e32 v1, v1, v2
	v_add_nc_u32_e32 v2, v1, v55
	;; [unrolled: 1-line block ×13, first 2 shown]
	s_branch .LBB1935_75
.LBB1935_66:
	v_mov_b32_dpp v1, v66 row_shr:1 row_mask:0xf bank_mask:0xf
	v_cndmask_b32_e64 v1, v1, 0, s6
	v_add_nc_u32_e32 v1, v1, v66
	v_mov_b32_dpp v2, v1 row_shr:2 row_mask:0xf bank_mask:0xf
	v_cndmask_b32_e64 v2, 0, v2, s5
	v_add_nc_u32_e32 v1, v1, v2
	;; [unrolled: 3-line block ×4, first 2 shown]
	ds_swizzle_b32 v2, v1 offset:swizzle(BROADCAST,32,15)
	s_waitcnt lgkmcnt(0)
	v_cndmask_b32_e64 v2, v2, 0, s2
	v_add_nc_u32_e32 v1, v1, v2
	s_and_saveexec_b32 s2, s1
; %bb.67:
	v_lshlrev_b32_e32 v2, 2, v65
	ds_write_b32 v2, v1
; %bb.68:
	s_or_b32 exec_lo, exec_lo, s2
	s_mov_b32 s1, exec_lo
	s_waitcnt lgkmcnt(0)
	s_barrier
	buffer_gl0_inv
	v_cmpx_gt_u32_e32 8, v0
	s_cbranch_execz .LBB1935_70
; %bb.69:
	ds_read_b32 v2, v44
	v_and_b32_e32 v3, 7, v64
	v_cmp_ne_u32_e32 vcc_lo, 0, v3
	s_waitcnt lgkmcnt(0)
	v_mov_b32_dpp v4, v2 row_shr:1 row_mask:0xf bank_mask:0xf
	v_cndmask_b32_e32 v4, 0, v4, vcc_lo
	v_cmp_lt_u32_e32 vcc_lo, 1, v3
	v_add_nc_u32_e32 v2, v4, v2
	v_mov_b32_dpp v4, v2 row_shr:2 row_mask:0xf bank_mask:0xf
	v_cndmask_b32_e32 v4, 0, v4, vcc_lo
	v_cmp_lt_u32_e32 vcc_lo, 3, v3
	v_add_nc_u32_e32 v2, v2, v4
	v_mov_b32_dpp v4, v2 row_shr:4 row_mask:0xf bank_mask:0xf
	v_cndmask_b32_e32 v3, 0, v4, vcc_lo
	v_add_nc_u32_e32 v2, v2, v3
	ds_write_b32 v44, v2
.LBB1935_70:
	s_or_b32 exec_lo, exec_lo, s1
	v_mov_b32_e32 v3, 0
	v_mov_b32_e32 v2, 0
	s_mov_b32 s1, exec_lo
	s_waitcnt lgkmcnt(0)
	s_barrier
	buffer_gl0_inv
	v_cmpx_lt_u32_e32 31, v0
; %bb.71:
	v_lshl_add_u32 v2, v65, 2, -4
	ds_read_b32 v2, v2
; %bb.72:
	s_or_b32 exec_lo, exec_lo, s1
	v_sub_co_u32 v4, vcc_lo, v64, 1
	s_waitcnt lgkmcnt(0)
	v_add_nc_u32_e32 v1, v2, v1
	ds_read_b32 v16, v3 offset:28
	v_cmp_gt_i32_e64 s1, 0, v4
	v_cndmask_b32_e64 v4, v4, v64, s1
	v_lshlrev_b32_e32 v4, 2, v4
	ds_bpermute_b32 v1, v4, v1
	s_and_saveexec_b32 s1, s0
	s_cbranch_execz .LBB1935_74
; %bb.73:
	v_mov_b32_e32 v3, 0
	v_mov_b32_e32 v17, 2
	s_waitcnt lgkmcnt(1)
	global_store_dwordx2 v3, v[16:17], s[22:23] offset:256
.LBB1935_74:
	s_or_b32 exec_lo, exec_lo, s1
	s_waitcnt lgkmcnt(0)
	v_cndmask_b32_e32 v1, v1, v2, vcc_lo
	v_mov_b32_e32 v17, 0
	s_waitcnt_vscnt null, 0x0
	s_barrier
	buffer_gl0_inv
	v_cndmask_b32_e64 v1, v1, 0, s0
	v_add_nc_u32_e32 v2, v1, v55
	v_add_nc_u32_e32 v3, v2, v56
	;; [unrolled: 1-line block ×12, first 2 shown]
.LBB1935_75:
	s_waitcnt lgkmcnt(0)
	v_add_nc_u32_e32 v47, v16, v47
	v_sub_nc_u32_e32 v1, v1, v17
	v_and_b32_e32 v56, 1, v52
	v_lshrrev_b32_e32 v55, 8, v52
	v_sub_nc_u32_e32 v2, v2, v17
	v_sub_nc_u32_e32 v3, v3, v17
	;; [unrolled: 1-line block ×3, first 2 shown]
	v_cmp_eq_u32_e32 vcc_lo, 1, v56
	v_and_b32_e32 v55, 1, v55
	v_mov_b32_e32 v58, 1
	v_sub_nc_u32_e32 v56, v47, v2
	v_sub_nc_u32_e32 v4, v4, v17
	v_cndmask_b32_e32 v1, v57, v1, vcc_lo
	v_sub_nc_u32_e32 v57, v47, v3
	v_and_b32_sdwa v52, v58, v52 dst_sel:DWORD dst_unused:UNUSED_PAD src0_sel:DWORD src1_sel:WORD_1
	v_add_nc_u32_e32 v56, 1, v56
	v_cmp_eq_u32_e32 vcc_lo, 1, v55
	v_lshlrev_b32_e32 v1, 2, v1
	v_and_b32_e32 v54, 1, v54
	v_sub_nc_u32_e32 v59, v47, v4
	v_add_nc_u32_e32 v57, 2, v57
	v_lshrrev_b32_e32 v15, 8, v50
	ds_write_b32 v1, v30
	v_cndmask_b32_e32 v1, v56, v2, vcc_lo
	v_cmp_eq_u32_e32 vcc_lo, 1, v52
	v_add_nc_u32_e32 v59, 3, v59
	v_lshrrev_b32_e32 v14, 8, v49
	v_lshlrev_b32_e32 v1, 2, v1
	v_cndmask_b32_e32 v2, v57, v3, vcc_lo
	v_cmp_eq_u32_e32 vcc_lo, 1, v54
	ds_write_b32 v1, v31
	v_lshlrev_b32_e32 v2, 2, v2
	v_cndmask_b32_e32 v3, v59, v4, vcc_lo
	v_sub_nc_u32_e32 v4, v5, v17
	v_sub_nc_u32_e32 v5, v6, v17
	v_lshlrev_b32_e32 v3, 2, v3
	v_sub_nc_u32_e32 v1, v47, v4
	v_sub_nc_u32_e32 v6, v47, v5
	ds_write_b32 v2, v28
	ds_write_b32 v3, v29
	v_and_b32_e32 v2, 1, v50
	v_add_nc_u32_e32 v1, 4, v1
	v_add_nc_u32_e32 v3, 5, v6
	v_sub_nc_u32_e32 v6, v7, v17
	v_and_b32_e32 v7, 1, v15
	v_cmp_eq_u32_e32 vcc_lo, 1, v2
	v_sub_nc_u32_e32 v2, v8, v17
	v_and_b32_e32 v8, 1, v53
	v_add_co_u32 v15, s1, v18, v17
	v_cndmask_b32_e32 v1, v1, v4, vcc_lo
	v_sub_nc_u32_e32 v4, v47, v6
	v_cmp_eq_u32_e32 vcc_lo, 1, v7
	v_and_b32_sdwa v7, v58, v50 dst_sel:DWORD dst_unused:UNUSED_PAD src0_sel:DWORD src1_sel:WORD_1
	v_lshlrev_b32_e32 v1, 2, v1
	v_add_nc_u32_e32 v4, 6, v4
	v_cndmask_b32_e32 v3, v3, v5, vcc_lo
	v_sub_nc_u32_e32 v5, v47, v2
	v_cmp_eq_u32_e32 vcc_lo, 1, v7
	v_sub_nc_u32_e32 v7, v13, v17
	v_lshlrev_b32_e32 v3, 2, v3
	v_add_nc_u32_e32 v5, 7, v5
	v_cndmask_b32_e32 v4, v4, v6, vcc_lo
	v_cmp_eq_u32_e32 vcc_lo, 1, v8
	v_sub_nc_u32_e32 v6, v9, v17
	ds_write_b32 v1, v26
	ds_write_b32 v3, v27
	v_lshlrev_b32_e32 v3, 2, v4
	v_cndmask_b32_e32 v2, v5, v2, vcc_lo
	v_sub_nc_u32_e32 v1, v47, v6
	v_and_b32_e32 v5, 1, v49
	v_sub_nc_u32_e32 v4, v10, v17
	v_and_b32_e32 v10, 1, v51
	v_lshlrev_b32_e32 v2, 2, v2
	v_add_nc_u32_e32 v1, 8, v1
	ds_write_b32 v3, v24
	ds_write_b32 v2, v25
	v_cmp_eq_u32_e32 vcc_lo, 1, v5
	v_sub_nc_u32_e32 v3, v11, v17
	v_sub_nc_u32_e32 v2, v47, v4
	;; [unrolled: 1-line block ×3, first 2 shown]
	v_and_b32_e32 v11, 1, v48
	v_cndmask_b32_e32 v1, v1, v6, vcc_lo
	v_and_b32_e32 v6, 1, v14
	v_sub_nc_u32_e32 v8, v47, v3
	v_add_nc_u32_e32 v2, 9, v2
	v_sub_nc_u32_e32 v9, v47, v5
	v_lshlrev_b32_e32 v1, 2, v1
	v_cmp_eq_u32_e32 vcc_lo, 1, v6
	v_add_nc_u32_e32 v6, 10, v8
	v_and_b32_sdwa v8, v58, v49 dst_sel:DWORD dst_unused:UNUSED_PAD src0_sel:DWORD src1_sel:WORD_1
	v_add_nc_u32_e32 v9, 11, v9
	v_add_co_ci_u32_e64 v17, null, 0, v19, s1
	v_cndmask_b32_e32 v2, v2, v4, vcc_lo
	v_cmp_eq_u32_e32 vcc_lo, 1, v8
	v_sub_nc_u32_e32 v4, v47, v7
	v_lshlrev_b32_e32 v2, 2, v2
	v_cndmask_b32_e32 v3, v6, v3, vcc_lo
	v_cmp_eq_u32_e32 vcc_lo, 1, v10
	v_add_nc_u32_e32 v4, 12, v4
	v_lshlrev_b32_e32 v3, 2, v3
	v_cndmask_b32_e32 v5, v9, v5, vcc_lo
	v_cmp_eq_u32_e32 vcc_lo, 1, v11
	v_lshlrev_b32_e32 v5, 2, v5
	v_cndmask_b32_e32 v4, v4, v7, vcc_lo
	v_cmp_ne_u32_e32 vcc_lo, 1, v45
	v_lshlrev_b32_e32 v4, 2, v4
	ds_write_b32 v1, v22
	ds_write_b32 v2, v23
	;; [unrolled: 1-line block ×5, first 2 shown]
	s_waitcnt lgkmcnt(0)
	s_barrier
	buffer_gl0_inv
	ds_read2st64_b32 v[11:12], v44 offset1:4
	ds_read2st64_b32 v[9:10], v44 offset0:8 offset1:12
	ds_read2st64_b32 v[7:8], v44 offset0:16 offset1:20
	;; [unrolled: 1-line block ×5, first 2 shown]
	ds_read_b32 v20, v44 offset:12288
	s_cbranch_vccnz .LBB1935_132
; %bb.76:
	s_sub_u32 s1, s20, s24
	v_sub_co_u32 v13, vcc_lo, v15, s18
	s_subb_u32 s2, s21, 0
	v_add_co_u32 v18, s1, s1, v16
	v_subrev_co_ci_u32_e64 v14, null, s19, v17, vcc_lo
	v_add_co_ci_u32_e64 v19, null, s2, 0, s1
	v_add_co_u32 v18, vcc_lo, v18, v13
	s_mov_b32 s1, exec_lo
	v_add_co_ci_u32_e64 v19, null, v19, v14, vcc_lo
                                        ; implicit-def: $vgpr13_vgpr14
	v_cmpx_ge_u32_e64 v0, v16
	s_xor_b32 s1, exec_lo, s1
; %bb.77:
	v_not_b32_e32 v13, v0
	v_ashrrev_i32_e32 v14, 31, v13
	v_add_co_u32 v13, vcc_lo, v18, v13
	v_add_co_ci_u32_e64 v14, null, v19, v14, vcc_lo
; %bb.78:
	s_andn2_saveexec_b32 s1, s1
; %bb.79:
	v_add_co_u32 v13, vcc_lo, v15, v0
	v_add_co_ci_u32_e64 v14, null, 0, v17, vcc_lo
; %bb.80:
	s_or_b32 exec_lo, exec_lo, s1
	v_lshlrev_b64 v[13:14], 2, v[13:14]
	s_mov_b32 s1, exec_lo
	v_add_co_u32 v13, vcc_lo, s16, v13
	v_add_co_ci_u32_e64 v14, null, s17, v14, vcc_lo
	s_waitcnt lgkmcnt(6)
	global_store_dword v[13:14], v11, off
                                        ; implicit-def: $vgpr13_vgpr14
	v_cmpx_ge_u32_e64 v43, v16
	s_xor_b32 s1, exec_lo, s1
; %bb.81:
	v_xor_b32_e32 v13, 0xfffffeff, v0
	v_ashrrev_i32_e32 v14, 31, v13
	v_add_co_u32 v13, vcc_lo, v18, v13
	v_add_co_ci_u32_e64 v14, null, v19, v14, vcc_lo
; %bb.82:
	s_andn2_saveexec_b32 s1, s1
; %bb.83:
	v_add_co_u32 v13, vcc_lo, v15, v43
	v_add_co_ci_u32_e64 v14, null, 0, v17, vcc_lo
; %bb.84:
	s_or_b32 exec_lo, exec_lo, s1
	v_lshlrev_b64 v[13:14], 2, v[13:14]
	s_mov_b32 s1, exec_lo
	v_add_co_u32 v13, vcc_lo, s16, v13
	v_add_co_ci_u32_e64 v14, null, s17, v14, vcc_lo
	global_store_dword v[13:14], v12, off
                                        ; implicit-def: $vgpr13_vgpr14
	v_cmpx_ge_u32_e64 v42, v16
	s_xor_b32 s1, exec_lo, s1
; %bb.85:
	v_xor_b32_e32 v13, 0xfffffdff, v0
	v_ashrrev_i32_e32 v14, 31, v13
	v_add_co_u32 v13, vcc_lo, v18, v13
	v_add_co_ci_u32_e64 v14, null, v19, v14, vcc_lo
; %bb.86:
	s_andn2_saveexec_b32 s1, s1
; %bb.87:
	v_add_co_u32 v13, vcc_lo, v15, v42
	v_add_co_ci_u32_e64 v14, null, 0, v17, vcc_lo
; %bb.88:
	s_or_b32 exec_lo, exec_lo, s1
	v_lshlrev_b64 v[13:14], 2, v[13:14]
	s_mov_b32 s1, exec_lo
	v_add_co_u32 v13, vcc_lo, s16, v13
	v_add_co_ci_u32_e64 v14, null, s17, v14, vcc_lo
	s_waitcnt lgkmcnt(5)
	global_store_dword v[13:14], v9, off
                                        ; implicit-def: $vgpr13_vgpr14
	v_cmpx_ge_u32_e64 v41, v16
	s_xor_b32 s1, exec_lo, s1
; %bb.89:
	v_xor_b32_e32 v13, 0xfffffcff, v0
	v_ashrrev_i32_e32 v14, 31, v13
	v_add_co_u32 v13, vcc_lo, v18, v13
	v_add_co_ci_u32_e64 v14, null, v19, v14, vcc_lo
; %bb.90:
	s_andn2_saveexec_b32 s1, s1
; %bb.91:
	v_add_co_u32 v13, vcc_lo, v15, v41
	v_add_co_ci_u32_e64 v14, null, 0, v17, vcc_lo
; %bb.92:
	s_or_b32 exec_lo, exec_lo, s1
	v_lshlrev_b64 v[13:14], 2, v[13:14]
	s_mov_b32 s1, exec_lo
	v_add_co_u32 v13, vcc_lo, s16, v13
	v_add_co_ci_u32_e64 v14, null, s17, v14, vcc_lo
	global_store_dword v[13:14], v10, off
                                        ; implicit-def: $vgpr13_vgpr14
	v_cmpx_ge_u32_e64 v40, v16
	s_xor_b32 s1, exec_lo, s1
; %bb.93:
	v_xor_b32_e32 v13, 0xfffffbff, v0
	;; [unrolled: 41-line block ×6, first 2 shown]
	v_ashrrev_i32_e32 v14, 31, v13
	v_add_co_u32 v13, vcc_lo, v18, v13
	v_add_co_ci_u32_e64 v14, null, v19, v14, vcc_lo
; %bb.126:
	s_andn2_saveexec_b32 s1, s1
; %bb.127:
	v_add_co_u32 v13, vcc_lo, v15, v32
	v_add_co_ci_u32_e64 v14, null, 0, v17, vcc_lo
; %bb.128:
	s_or_b32 exec_lo, exec_lo, s1
	s_mov_b32 s1, -1
.LBB1935_129:
	s_and_saveexec_b32 s2, s1
	s_cbranch_execz .LBB1935_212
.LBB1935_130:
	s_waitcnt lgkmcnt(1)
	v_lshlrev_b64 v[0:1], 2, v[13:14]
	v_add_co_u32 v0, vcc_lo, s16, v0
	v_add_co_ci_u32_e64 v1, null, s17, v1, vcc_lo
	s_waitcnt lgkmcnt(0)
	global_store_dword v[0:1], v20, off
	s_or_b32 exec_lo, exec_lo, s2
	s_and_b32 s0, s0, s14
	s_and_saveexec_b32 s1, s0
	s_cbranch_execnz .LBB1935_213
.LBB1935_131:
	s_endpgm
.LBB1935_132:
	s_mov_b32 s1, 0
                                        ; implicit-def: $vgpr13_vgpr14
	s_cbranch_execz .LBB1935_129
; %bb.133:
	s_add_u32 s2, s18, s24
	s_addc_u32 s3, s19, 0
	s_sub_u32 s2, s20, s2
	s_subb_u32 s3, s21, s3
	v_add_co_u32 v13, s2, s2, v16
	v_add_co_ci_u32_e64 v14, null, s3, 0, s2
	s_mov_b32 s2, exec_lo
	v_add_co_u32 v18, vcc_lo, v13, v15
	v_add_co_ci_u32_e64 v19, null, v14, v17, vcc_lo
	v_cmpx_gt_u32_e64 s15, v0
	s_cbranch_execz .LBB1935_169
; %bb.134:
	s_mov_b32 s3, exec_lo
                                        ; implicit-def: $vgpr13_vgpr14
	v_cmpx_ge_u32_e64 v0, v16
	s_xor_b32 s3, exec_lo, s3
; %bb.135:
	v_not_b32_e32 v13, v0
	v_ashrrev_i32_e32 v14, 31, v13
	v_add_co_u32 v13, vcc_lo, v18, v13
	v_add_co_ci_u32_e64 v14, null, v19, v14, vcc_lo
; %bb.136:
	s_andn2_saveexec_b32 s3, s3
; %bb.137:
	v_add_co_u32 v13, vcc_lo, v15, v0
	v_add_co_ci_u32_e64 v14, null, 0, v17, vcc_lo
; %bb.138:
	s_or_b32 exec_lo, exec_lo, s3
	v_lshlrev_b64 v[13:14], 2, v[13:14]
	v_add_co_u32 v13, vcc_lo, s16, v13
	v_add_co_ci_u32_e64 v14, null, s17, v14, vcc_lo
	s_waitcnt lgkmcnt(6)
	global_store_dword v[13:14], v11, off
	s_or_b32 exec_lo, exec_lo, s2
	s_mov_b32 s2, exec_lo
	v_cmpx_gt_u32_e64 s15, v43
	s_cbranch_execnz .LBB1935_170
.LBB1935_139:
	s_or_b32 exec_lo, exec_lo, s2
	s_mov_b32 s2, exec_lo
	v_cmpx_gt_u32_e64 s15, v42
	s_cbranch_execz .LBB1935_175
.LBB1935_140:
	s_mov_b32 s3, exec_lo
                                        ; implicit-def: $vgpr11_vgpr12
	v_cmpx_ge_u32_e64 v42, v16
	s_xor_b32 s3, exec_lo, s3
	s_cbranch_execz .LBB1935_142
; %bb.141:
	s_waitcnt lgkmcnt(6)
	v_xor_b32_e32 v11, 0xfffffdff, v0
                                        ; implicit-def: $vgpr42
	v_ashrrev_i32_e32 v12, 31, v11
	v_add_co_u32 v11, vcc_lo, v18, v11
	v_add_co_ci_u32_e64 v12, null, v19, v12, vcc_lo
.LBB1935_142:
	s_andn2_saveexec_b32 s3, s3
	s_cbranch_execz .LBB1935_144
; %bb.143:
	s_waitcnt lgkmcnt(6)
	v_add_co_u32 v11, vcc_lo, v15, v42
	v_add_co_ci_u32_e64 v12, null, 0, v17, vcc_lo
.LBB1935_144:
	s_or_b32 exec_lo, exec_lo, s3
	s_waitcnt lgkmcnt(6)
	v_lshlrev_b64 v[11:12], 2, v[11:12]
	v_add_co_u32 v11, vcc_lo, s16, v11
	v_add_co_ci_u32_e64 v12, null, s17, v12, vcc_lo
	s_waitcnt lgkmcnt(5)
	global_store_dword v[11:12], v9, off
	s_or_b32 exec_lo, exec_lo, s2
	s_mov_b32 s2, exec_lo
	v_cmpx_gt_u32_e64 s15, v41
	s_cbranch_execnz .LBB1935_176
.LBB1935_145:
	s_or_b32 exec_lo, exec_lo, s2
	s_mov_b32 s2, exec_lo
	v_cmpx_gt_u32_e64 s15, v40
	s_cbranch_execz .LBB1935_181
.LBB1935_146:
	s_mov_b32 s3, exec_lo
                                        ; implicit-def: $vgpr9_vgpr10
	v_cmpx_ge_u32_e64 v40, v16
	s_xor_b32 s3, exec_lo, s3
	s_cbranch_execz .LBB1935_148
; %bb.147:
	s_waitcnt lgkmcnt(5)
	v_xor_b32_e32 v9, 0xfffffbff, v0
                                        ; implicit-def: $vgpr40
	v_ashrrev_i32_e32 v10, 31, v9
	v_add_co_u32 v9, vcc_lo, v18, v9
	v_add_co_ci_u32_e64 v10, null, v19, v10, vcc_lo
.LBB1935_148:
	s_andn2_saveexec_b32 s3, s3
	s_cbranch_execz .LBB1935_150
; %bb.149:
	s_waitcnt lgkmcnt(5)
	v_add_co_u32 v9, vcc_lo, v15, v40
	v_add_co_ci_u32_e64 v10, null, 0, v17, vcc_lo
.LBB1935_150:
	s_or_b32 exec_lo, exec_lo, s3
	s_waitcnt lgkmcnt(5)
	v_lshlrev_b64 v[9:10], 2, v[9:10]
	v_add_co_u32 v9, vcc_lo, s16, v9
	v_add_co_ci_u32_e64 v10, null, s17, v10, vcc_lo
	s_waitcnt lgkmcnt(4)
	global_store_dword v[9:10], v7, off
	s_or_b32 exec_lo, exec_lo, s2
	s_mov_b32 s2, exec_lo
	v_cmpx_gt_u32_e64 s15, v39
	s_cbranch_execnz .LBB1935_182
.LBB1935_151:
	s_or_b32 exec_lo, exec_lo, s2
	s_mov_b32 s2, exec_lo
	v_cmpx_gt_u32_e64 s15, v38
	s_cbranch_execz .LBB1935_187
.LBB1935_152:
	s_mov_b32 s3, exec_lo
                                        ; implicit-def: $vgpr7_vgpr8
	v_cmpx_ge_u32_e64 v38, v16
	s_xor_b32 s3, exec_lo, s3
	s_cbranch_execz .LBB1935_154
; %bb.153:
	s_waitcnt lgkmcnt(4)
	v_xor_b32_e32 v7, 0xfffff9ff, v0
                                        ; implicit-def: $vgpr38
	v_ashrrev_i32_e32 v8, 31, v7
	v_add_co_u32 v7, vcc_lo, v18, v7
	v_add_co_ci_u32_e64 v8, null, v19, v8, vcc_lo
.LBB1935_154:
	s_andn2_saveexec_b32 s3, s3
	s_cbranch_execz .LBB1935_156
; %bb.155:
	s_waitcnt lgkmcnt(4)
	v_add_co_u32 v7, vcc_lo, v15, v38
	v_add_co_ci_u32_e64 v8, null, 0, v17, vcc_lo
.LBB1935_156:
	s_or_b32 exec_lo, exec_lo, s3
	s_waitcnt lgkmcnt(4)
	v_lshlrev_b64 v[7:8], 2, v[7:8]
	v_add_co_u32 v7, vcc_lo, s16, v7
	v_add_co_ci_u32_e64 v8, null, s17, v8, vcc_lo
	s_waitcnt lgkmcnt(3)
	global_store_dword v[7:8], v5, off
	s_or_b32 exec_lo, exec_lo, s2
	s_mov_b32 s2, exec_lo
	v_cmpx_gt_u32_e64 s15, v37
	s_cbranch_execnz .LBB1935_188
.LBB1935_157:
	s_or_b32 exec_lo, exec_lo, s2
	s_mov_b32 s2, exec_lo
	v_cmpx_gt_u32_e64 s15, v36
	s_cbranch_execz .LBB1935_193
.LBB1935_158:
	s_mov_b32 s3, exec_lo
                                        ; implicit-def: $vgpr5_vgpr6
	v_cmpx_ge_u32_e64 v36, v16
	s_xor_b32 s3, exec_lo, s3
	s_cbranch_execz .LBB1935_160
; %bb.159:
	s_waitcnt lgkmcnt(3)
	v_xor_b32_e32 v5, 0xfffff7ff, v0
                                        ; implicit-def: $vgpr36
	v_ashrrev_i32_e32 v6, 31, v5
	v_add_co_u32 v5, vcc_lo, v18, v5
	v_add_co_ci_u32_e64 v6, null, v19, v6, vcc_lo
.LBB1935_160:
	s_andn2_saveexec_b32 s3, s3
	s_cbranch_execz .LBB1935_162
; %bb.161:
	s_waitcnt lgkmcnt(3)
	v_add_co_u32 v5, vcc_lo, v15, v36
	v_add_co_ci_u32_e64 v6, null, 0, v17, vcc_lo
.LBB1935_162:
	s_or_b32 exec_lo, exec_lo, s3
	s_waitcnt lgkmcnt(3)
	v_lshlrev_b64 v[5:6], 2, v[5:6]
	v_add_co_u32 v5, vcc_lo, s16, v5
	v_add_co_ci_u32_e64 v6, null, s17, v6, vcc_lo
	s_waitcnt lgkmcnt(2)
	global_store_dword v[5:6], v3, off
	s_or_b32 exec_lo, exec_lo, s2
	s_mov_b32 s2, exec_lo
	v_cmpx_gt_u32_e64 s15, v35
	s_cbranch_execnz .LBB1935_194
.LBB1935_163:
	s_or_b32 exec_lo, exec_lo, s2
	s_mov_b32 s2, exec_lo
	v_cmpx_gt_u32_e64 s15, v34
	s_cbranch_execz .LBB1935_199
.LBB1935_164:
	s_mov_b32 s3, exec_lo
                                        ; implicit-def: $vgpr3_vgpr4
	v_cmpx_ge_u32_e64 v34, v16
	s_xor_b32 s3, exec_lo, s3
	s_cbranch_execz .LBB1935_166
; %bb.165:
	s_waitcnt lgkmcnt(2)
	v_xor_b32_e32 v3, 0xfffff5ff, v0
                                        ; implicit-def: $vgpr34
	v_ashrrev_i32_e32 v4, 31, v3
	v_add_co_u32 v3, vcc_lo, v18, v3
	v_add_co_ci_u32_e64 v4, null, v19, v4, vcc_lo
.LBB1935_166:
	s_andn2_saveexec_b32 s3, s3
	s_cbranch_execz .LBB1935_168
; %bb.167:
	s_waitcnt lgkmcnt(2)
	v_add_co_u32 v3, vcc_lo, v15, v34
	v_add_co_ci_u32_e64 v4, null, 0, v17, vcc_lo
.LBB1935_168:
	s_or_b32 exec_lo, exec_lo, s3
	s_waitcnt lgkmcnt(2)
	v_lshlrev_b64 v[3:4], 2, v[3:4]
	v_add_co_u32 v3, vcc_lo, s16, v3
	v_add_co_ci_u32_e64 v4, null, s17, v4, vcc_lo
	s_waitcnt lgkmcnt(1)
	global_store_dword v[3:4], v1, off
	s_or_b32 exec_lo, exec_lo, s2
	s_mov_b32 s2, exec_lo
	v_cmpx_gt_u32_e64 s15, v33
	s_cbranch_execz .LBB1935_205
	s_branch .LBB1935_200
.LBB1935_169:
	s_or_b32 exec_lo, exec_lo, s2
	s_mov_b32 s2, exec_lo
	v_cmpx_gt_u32_e64 s15, v43
	s_cbranch_execz .LBB1935_139
.LBB1935_170:
	s_mov_b32 s3, exec_lo
                                        ; implicit-def: $vgpr13_vgpr14
	v_cmpx_ge_u32_e64 v43, v16
	s_xor_b32 s3, exec_lo, s3
	s_cbranch_execz .LBB1935_172
; %bb.171:
	s_waitcnt lgkmcnt(6)
	v_xor_b32_e32 v11, 0xfffffeff, v0
                                        ; implicit-def: $vgpr43
	v_ashrrev_i32_e32 v14, 31, v11
	v_add_co_u32 v13, vcc_lo, v18, v11
	v_add_co_ci_u32_e64 v14, null, v19, v14, vcc_lo
.LBB1935_172:
	s_andn2_saveexec_b32 s3, s3
; %bb.173:
	v_add_co_u32 v13, vcc_lo, v15, v43
	v_add_co_ci_u32_e64 v14, null, 0, v17, vcc_lo
; %bb.174:
	s_or_b32 exec_lo, exec_lo, s3
	v_lshlrev_b64 v[13:14], 2, v[13:14]
	v_add_co_u32 v13, vcc_lo, s16, v13
	v_add_co_ci_u32_e64 v14, null, s17, v14, vcc_lo
	s_waitcnt lgkmcnt(6)
	global_store_dword v[13:14], v12, off
	s_or_b32 exec_lo, exec_lo, s2
	s_mov_b32 s2, exec_lo
	v_cmpx_gt_u32_e64 s15, v42
	s_cbranch_execnz .LBB1935_140
.LBB1935_175:
	s_or_b32 exec_lo, exec_lo, s2
	s_mov_b32 s2, exec_lo
	v_cmpx_gt_u32_e64 s15, v41
	s_cbranch_execz .LBB1935_145
.LBB1935_176:
	s_mov_b32 s3, exec_lo
                                        ; implicit-def: $vgpr11_vgpr12
	v_cmpx_ge_u32_e64 v41, v16
	s_xor_b32 s3, exec_lo, s3
	s_cbranch_execz .LBB1935_178
; %bb.177:
	s_waitcnt lgkmcnt(5)
	v_xor_b32_e32 v9, 0xfffffcff, v0
                                        ; implicit-def: $vgpr41
	v_ashrrev_i32_e32 v12, 31, v9
	v_add_co_u32 v11, vcc_lo, v18, v9
	v_add_co_ci_u32_e64 v12, null, v19, v12, vcc_lo
.LBB1935_178:
	s_andn2_saveexec_b32 s3, s3
	s_cbranch_execz .LBB1935_180
; %bb.179:
	s_waitcnt lgkmcnt(6)
	v_add_co_u32 v11, vcc_lo, v15, v41
	v_add_co_ci_u32_e64 v12, null, 0, v17, vcc_lo
.LBB1935_180:
	s_or_b32 exec_lo, exec_lo, s3
	s_waitcnt lgkmcnt(6)
	v_lshlrev_b64 v[11:12], 2, v[11:12]
	v_add_co_u32 v11, vcc_lo, s16, v11
	v_add_co_ci_u32_e64 v12, null, s17, v12, vcc_lo
	s_waitcnt lgkmcnt(5)
	global_store_dword v[11:12], v10, off
	s_or_b32 exec_lo, exec_lo, s2
	s_mov_b32 s2, exec_lo
	v_cmpx_gt_u32_e64 s15, v40
	s_cbranch_execnz .LBB1935_146
.LBB1935_181:
	s_or_b32 exec_lo, exec_lo, s2
	s_mov_b32 s2, exec_lo
	v_cmpx_gt_u32_e64 s15, v39
	s_cbranch_execz .LBB1935_151
.LBB1935_182:
	s_mov_b32 s3, exec_lo
                                        ; implicit-def: $vgpr9_vgpr10
	v_cmpx_ge_u32_e64 v39, v16
	s_xor_b32 s3, exec_lo, s3
	s_cbranch_execz .LBB1935_184
; %bb.183:
	s_waitcnt lgkmcnt(4)
	v_xor_b32_e32 v7, 0xfffffaff, v0
                                        ; implicit-def: $vgpr39
	v_ashrrev_i32_e32 v10, 31, v7
	v_add_co_u32 v9, vcc_lo, v18, v7
	v_add_co_ci_u32_e64 v10, null, v19, v10, vcc_lo
.LBB1935_184:
	s_andn2_saveexec_b32 s3, s3
	s_cbranch_execz .LBB1935_186
; %bb.185:
	s_waitcnt lgkmcnt(5)
	v_add_co_u32 v9, vcc_lo, v15, v39
	v_add_co_ci_u32_e64 v10, null, 0, v17, vcc_lo
.LBB1935_186:
	s_or_b32 exec_lo, exec_lo, s3
	s_waitcnt lgkmcnt(5)
	v_lshlrev_b64 v[9:10], 2, v[9:10]
	v_add_co_u32 v9, vcc_lo, s16, v9
	v_add_co_ci_u32_e64 v10, null, s17, v10, vcc_lo
	s_waitcnt lgkmcnt(4)
	global_store_dword v[9:10], v8, off
	s_or_b32 exec_lo, exec_lo, s2
	s_mov_b32 s2, exec_lo
	v_cmpx_gt_u32_e64 s15, v38
	s_cbranch_execnz .LBB1935_152
.LBB1935_187:
	s_or_b32 exec_lo, exec_lo, s2
	s_mov_b32 s2, exec_lo
	v_cmpx_gt_u32_e64 s15, v37
	s_cbranch_execz .LBB1935_157
.LBB1935_188:
	s_mov_b32 s3, exec_lo
                                        ; implicit-def: $vgpr7_vgpr8
	v_cmpx_ge_u32_e64 v37, v16
	s_xor_b32 s3, exec_lo, s3
	s_cbranch_execz .LBB1935_190
; %bb.189:
	s_waitcnt lgkmcnt(3)
	v_xor_b32_e32 v5, 0xfffff8ff, v0
                                        ; implicit-def: $vgpr37
	v_ashrrev_i32_e32 v8, 31, v5
	v_add_co_u32 v7, vcc_lo, v18, v5
	v_add_co_ci_u32_e64 v8, null, v19, v8, vcc_lo
.LBB1935_190:
	s_andn2_saveexec_b32 s3, s3
	s_cbranch_execz .LBB1935_192
; %bb.191:
	s_waitcnt lgkmcnt(4)
	v_add_co_u32 v7, vcc_lo, v15, v37
	v_add_co_ci_u32_e64 v8, null, 0, v17, vcc_lo
.LBB1935_192:
	s_or_b32 exec_lo, exec_lo, s3
	s_waitcnt lgkmcnt(4)
	v_lshlrev_b64 v[7:8], 2, v[7:8]
	v_add_co_u32 v7, vcc_lo, s16, v7
	v_add_co_ci_u32_e64 v8, null, s17, v8, vcc_lo
	s_waitcnt lgkmcnt(3)
	global_store_dword v[7:8], v6, off
	s_or_b32 exec_lo, exec_lo, s2
	s_mov_b32 s2, exec_lo
	v_cmpx_gt_u32_e64 s15, v36
	s_cbranch_execnz .LBB1935_158
.LBB1935_193:
	s_or_b32 exec_lo, exec_lo, s2
	s_mov_b32 s2, exec_lo
	v_cmpx_gt_u32_e64 s15, v35
	s_cbranch_execz .LBB1935_163
.LBB1935_194:
	s_mov_b32 s3, exec_lo
                                        ; implicit-def: $vgpr5_vgpr6
	v_cmpx_ge_u32_e64 v35, v16
	s_xor_b32 s3, exec_lo, s3
	s_cbranch_execz .LBB1935_196
; %bb.195:
	s_waitcnt lgkmcnt(2)
	v_xor_b32_e32 v3, 0xfffff6ff, v0
                                        ; implicit-def: $vgpr35
	v_ashrrev_i32_e32 v6, 31, v3
	v_add_co_u32 v5, vcc_lo, v18, v3
	v_add_co_ci_u32_e64 v6, null, v19, v6, vcc_lo
.LBB1935_196:
	s_andn2_saveexec_b32 s3, s3
	s_cbranch_execz .LBB1935_198
; %bb.197:
	s_waitcnt lgkmcnt(3)
	v_add_co_u32 v5, vcc_lo, v15, v35
	v_add_co_ci_u32_e64 v6, null, 0, v17, vcc_lo
.LBB1935_198:
	s_or_b32 exec_lo, exec_lo, s3
	s_waitcnt lgkmcnt(3)
	v_lshlrev_b64 v[5:6], 2, v[5:6]
	v_add_co_u32 v5, vcc_lo, s16, v5
	v_add_co_ci_u32_e64 v6, null, s17, v6, vcc_lo
	s_waitcnt lgkmcnt(2)
	global_store_dword v[5:6], v4, off
	s_or_b32 exec_lo, exec_lo, s2
	s_mov_b32 s2, exec_lo
	v_cmpx_gt_u32_e64 s15, v34
	s_cbranch_execnz .LBB1935_164
.LBB1935_199:
	s_or_b32 exec_lo, exec_lo, s2
	s_mov_b32 s2, exec_lo
	v_cmpx_gt_u32_e64 s15, v33
	s_cbranch_execz .LBB1935_205
.LBB1935_200:
	s_mov_b32 s3, exec_lo
                                        ; implicit-def: $vgpr3_vgpr4
	v_cmpx_ge_u32_e64 v33, v16
	s_xor_b32 s3, exec_lo, s3
	s_cbranch_execz .LBB1935_202
; %bb.201:
	s_waitcnt lgkmcnt(1)
	v_xor_b32_e32 v1, 0xfffff4ff, v0
                                        ; implicit-def: $vgpr33
	v_ashrrev_i32_e32 v4, 31, v1
	v_add_co_u32 v3, vcc_lo, v18, v1
	v_add_co_ci_u32_e64 v4, null, v19, v4, vcc_lo
.LBB1935_202:
	s_andn2_saveexec_b32 s3, s3
	s_cbranch_execz .LBB1935_204
; %bb.203:
	s_waitcnt lgkmcnt(2)
	v_add_co_u32 v3, vcc_lo, v15, v33
	v_add_co_ci_u32_e64 v4, null, 0, v17, vcc_lo
.LBB1935_204:
	s_or_b32 exec_lo, exec_lo, s3
	s_waitcnt lgkmcnt(2)
	v_lshlrev_b64 v[3:4], 2, v[3:4]
	v_add_co_u32 v3, vcc_lo, s16, v3
	v_add_co_ci_u32_e64 v4, null, s17, v4, vcc_lo
	s_waitcnt lgkmcnt(1)
	global_store_dword v[3:4], v2, off
.LBB1935_205:
	s_or_b32 exec_lo, exec_lo, s2
	s_mov_b32 s2, exec_lo
                                        ; implicit-def: $vgpr13_vgpr14
	v_cmpx_gt_u32_e64 s15, v32
	s_cbranch_execz .LBB1935_211
; %bb.206:
	s_mov_b32 s3, exec_lo
                                        ; implicit-def: $vgpr13_vgpr14
	v_cmpx_ge_u32_e64 v32, v16
	s_xor_b32 s3, exec_lo, s3
	s_cbranch_execz .LBB1935_208
; %bb.207:
	v_xor_b32_e32 v0, 0xfffff3ff, v0
                                        ; implicit-def: $vgpr32
	s_waitcnt lgkmcnt(1)
	v_ashrrev_i32_e32 v1, 31, v0
	v_add_co_u32 v13, vcc_lo, v18, v0
	v_add_co_ci_u32_e64 v14, null, v19, v1, vcc_lo
.LBB1935_208:
	s_andn2_saveexec_b32 s3, s3
; %bb.209:
	v_add_co_u32 v13, vcc_lo, v15, v32
	v_add_co_ci_u32_e64 v14, null, 0, v17, vcc_lo
; %bb.210:
	s_or_b32 exec_lo, exec_lo, s3
	s_or_b32 s1, s1, exec_lo
.LBB1935_211:
	s_or_b32 exec_lo, exec_lo, s2
	s_and_saveexec_b32 s2, s1
	s_cbranch_execnz .LBB1935_130
.LBB1935_212:
	s_or_b32 exec_lo, exec_lo, s2
	s_and_b32 s0, s0, s14
	s_and_saveexec_b32 s1, s0
	s_cbranch_execz .LBB1935_131
.LBB1935_213:
	v_add_co_u32 v0, vcc_lo, v15, v16
	s_waitcnt lgkmcnt(1)
	v_mov_b32_e32 v2, 0
	v_add_co_ci_u32_e64 v1, null, 0, v17, vcc_lo
	global_store_dwordx2 v2, v[0:1], s[12:13]
	s_endpgm
	.section	.rodata,"a",@progbits
	.p2align	6, 0x0
	.amdhsa_kernel _ZN7rocprim17ROCPRIM_400000_NS6detail17trampoline_kernelINS0_13select_configILj256ELj13ELNS0_17block_load_methodE3ELS4_3ELS4_3ELNS0_20block_scan_algorithmE0ELj4294967295EEENS1_25partition_config_selectorILNS1_17partition_subalgoE3EjNS0_10empty_typeEbEEZZNS1_14partition_implILS8_3ELb0ES6_jNS0_17counting_iteratorIjlEEPS9_SE_NS0_5tupleIJPjSE_EEENSF_IJSE_SE_EEES9_SG_JZNS1_25segmented_radix_sort_implINS0_14default_configELb1EPK12hip_bfloat16PSL_PKlPlN2at6native12_GLOBAL__N_18offset_tEEE10hipError_tPvRmT1_PNSt15iterator_traitsISZ_E10value_typeET2_T3_PNS10_IS15_E10value_typeET4_jRbjT5_S1B_jjP12ihipStream_tbEUljE_EEESW_SX_SY_S15_S19_S1B_T6_T7_T9_mT8_S1D_bDpT10_ENKUlT_T0_E_clISt17integral_constantIbLb0EES1P_IbLb1EEEEDaS1L_S1M_EUlS1L_E_NS1_11comp_targetILNS1_3genE8ELNS1_11target_archE1030ELNS1_3gpuE2ELNS1_3repE0EEENS1_30default_config_static_selectorELNS0_4arch9wavefront6targetE0EEEvSZ_
		.amdhsa_group_segment_fixed_size 13320
		.amdhsa_private_segment_fixed_size 0
		.amdhsa_kernarg_size 152
		.amdhsa_user_sgpr_count 6
		.amdhsa_user_sgpr_private_segment_buffer 1
		.amdhsa_user_sgpr_dispatch_ptr 0
		.amdhsa_user_sgpr_queue_ptr 0
		.amdhsa_user_sgpr_kernarg_segment_ptr 1
		.amdhsa_user_sgpr_dispatch_id 0
		.amdhsa_user_sgpr_flat_scratch_init 0
		.amdhsa_user_sgpr_private_segment_size 0
		.amdhsa_wavefront_size32 1
		.amdhsa_uses_dynamic_stack 0
		.amdhsa_system_sgpr_private_segment_wavefront_offset 0
		.amdhsa_system_sgpr_workgroup_id_x 1
		.amdhsa_system_sgpr_workgroup_id_y 0
		.amdhsa_system_sgpr_workgroup_id_z 0
		.amdhsa_system_sgpr_workgroup_info 0
		.amdhsa_system_vgpr_workitem_id 0
		.amdhsa_next_free_vgpr 71
		.amdhsa_next_free_sgpr 26
		.amdhsa_reserve_vcc 1
		.amdhsa_reserve_flat_scratch 0
		.amdhsa_float_round_mode_32 0
		.amdhsa_float_round_mode_16_64 0
		.amdhsa_float_denorm_mode_32 3
		.amdhsa_float_denorm_mode_16_64 3
		.amdhsa_dx10_clamp 1
		.amdhsa_ieee_mode 1
		.amdhsa_fp16_overflow 0
		.amdhsa_workgroup_processor_mode 1
		.amdhsa_memory_ordered 1
		.amdhsa_forward_progress 1
		.amdhsa_shared_vgpr_count 0
		.amdhsa_exception_fp_ieee_invalid_op 0
		.amdhsa_exception_fp_denorm_src 0
		.amdhsa_exception_fp_ieee_div_zero 0
		.amdhsa_exception_fp_ieee_overflow 0
		.amdhsa_exception_fp_ieee_underflow 0
		.amdhsa_exception_fp_ieee_inexact 0
		.amdhsa_exception_int_div_zero 0
	.end_amdhsa_kernel
	.section	.text._ZN7rocprim17ROCPRIM_400000_NS6detail17trampoline_kernelINS0_13select_configILj256ELj13ELNS0_17block_load_methodE3ELS4_3ELS4_3ELNS0_20block_scan_algorithmE0ELj4294967295EEENS1_25partition_config_selectorILNS1_17partition_subalgoE3EjNS0_10empty_typeEbEEZZNS1_14partition_implILS8_3ELb0ES6_jNS0_17counting_iteratorIjlEEPS9_SE_NS0_5tupleIJPjSE_EEENSF_IJSE_SE_EEES9_SG_JZNS1_25segmented_radix_sort_implINS0_14default_configELb1EPK12hip_bfloat16PSL_PKlPlN2at6native12_GLOBAL__N_18offset_tEEE10hipError_tPvRmT1_PNSt15iterator_traitsISZ_E10value_typeET2_T3_PNS10_IS15_E10value_typeET4_jRbjT5_S1B_jjP12ihipStream_tbEUljE_EEESW_SX_SY_S15_S19_S1B_T6_T7_T9_mT8_S1D_bDpT10_ENKUlT_T0_E_clISt17integral_constantIbLb0EES1P_IbLb1EEEEDaS1L_S1M_EUlS1L_E_NS1_11comp_targetILNS1_3genE8ELNS1_11target_archE1030ELNS1_3gpuE2ELNS1_3repE0EEENS1_30default_config_static_selectorELNS0_4arch9wavefront6targetE0EEEvSZ_,"axG",@progbits,_ZN7rocprim17ROCPRIM_400000_NS6detail17trampoline_kernelINS0_13select_configILj256ELj13ELNS0_17block_load_methodE3ELS4_3ELS4_3ELNS0_20block_scan_algorithmE0ELj4294967295EEENS1_25partition_config_selectorILNS1_17partition_subalgoE3EjNS0_10empty_typeEbEEZZNS1_14partition_implILS8_3ELb0ES6_jNS0_17counting_iteratorIjlEEPS9_SE_NS0_5tupleIJPjSE_EEENSF_IJSE_SE_EEES9_SG_JZNS1_25segmented_radix_sort_implINS0_14default_configELb1EPK12hip_bfloat16PSL_PKlPlN2at6native12_GLOBAL__N_18offset_tEEE10hipError_tPvRmT1_PNSt15iterator_traitsISZ_E10value_typeET2_T3_PNS10_IS15_E10value_typeET4_jRbjT5_S1B_jjP12ihipStream_tbEUljE_EEESW_SX_SY_S15_S19_S1B_T6_T7_T9_mT8_S1D_bDpT10_ENKUlT_T0_E_clISt17integral_constantIbLb0EES1P_IbLb1EEEEDaS1L_S1M_EUlS1L_E_NS1_11comp_targetILNS1_3genE8ELNS1_11target_archE1030ELNS1_3gpuE2ELNS1_3repE0EEENS1_30default_config_static_selectorELNS0_4arch9wavefront6targetE0EEEvSZ_,comdat
.Lfunc_end1935:
	.size	_ZN7rocprim17ROCPRIM_400000_NS6detail17trampoline_kernelINS0_13select_configILj256ELj13ELNS0_17block_load_methodE3ELS4_3ELS4_3ELNS0_20block_scan_algorithmE0ELj4294967295EEENS1_25partition_config_selectorILNS1_17partition_subalgoE3EjNS0_10empty_typeEbEEZZNS1_14partition_implILS8_3ELb0ES6_jNS0_17counting_iteratorIjlEEPS9_SE_NS0_5tupleIJPjSE_EEENSF_IJSE_SE_EEES9_SG_JZNS1_25segmented_radix_sort_implINS0_14default_configELb1EPK12hip_bfloat16PSL_PKlPlN2at6native12_GLOBAL__N_18offset_tEEE10hipError_tPvRmT1_PNSt15iterator_traitsISZ_E10value_typeET2_T3_PNS10_IS15_E10value_typeET4_jRbjT5_S1B_jjP12ihipStream_tbEUljE_EEESW_SX_SY_S15_S19_S1B_T6_T7_T9_mT8_S1D_bDpT10_ENKUlT_T0_E_clISt17integral_constantIbLb0EES1P_IbLb1EEEEDaS1L_S1M_EUlS1L_E_NS1_11comp_targetILNS1_3genE8ELNS1_11target_archE1030ELNS1_3gpuE2ELNS1_3repE0EEENS1_30default_config_static_selectorELNS0_4arch9wavefront6targetE0EEEvSZ_, .Lfunc_end1935-_ZN7rocprim17ROCPRIM_400000_NS6detail17trampoline_kernelINS0_13select_configILj256ELj13ELNS0_17block_load_methodE3ELS4_3ELS4_3ELNS0_20block_scan_algorithmE0ELj4294967295EEENS1_25partition_config_selectorILNS1_17partition_subalgoE3EjNS0_10empty_typeEbEEZZNS1_14partition_implILS8_3ELb0ES6_jNS0_17counting_iteratorIjlEEPS9_SE_NS0_5tupleIJPjSE_EEENSF_IJSE_SE_EEES9_SG_JZNS1_25segmented_radix_sort_implINS0_14default_configELb1EPK12hip_bfloat16PSL_PKlPlN2at6native12_GLOBAL__N_18offset_tEEE10hipError_tPvRmT1_PNSt15iterator_traitsISZ_E10value_typeET2_T3_PNS10_IS15_E10value_typeET4_jRbjT5_S1B_jjP12ihipStream_tbEUljE_EEESW_SX_SY_S15_S19_S1B_T6_T7_T9_mT8_S1D_bDpT10_ENKUlT_T0_E_clISt17integral_constantIbLb0EES1P_IbLb1EEEEDaS1L_S1M_EUlS1L_E_NS1_11comp_targetILNS1_3genE8ELNS1_11target_archE1030ELNS1_3gpuE2ELNS1_3repE0EEENS1_30default_config_static_selectorELNS0_4arch9wavefront6targetE0EEEvSZ_
                                        ; -- End function
	.set _ZN7rocprim17ROCPRIM_400000_NS6detail17trampoline_kernelINS0_13select_configILj256ELj13ELNS0_17block_load_methodE3ELS4_3ELS4_3ELNS0_20block_scan_algorithmE0ELj4294967295EEENS1_25partition_config_selectorILNS1_17partition_subalgoE3EjNS0_10empty_typeEbEEZZNS1_14partition_implILS8_3ELb0ES6_jNS0_17counting_iteratorIjlEEPS9_SE_NS0_5tupleIJPjSE_EEENSF_IJSE_SE_EEES9_SG_JZNS1_25segmented_radix_sort_implINS0_14default_configELb1EPK12hip_bfloat16PSL_PKlPlN2at6native12_GLOBAL__N_18offset_tEEE10hipError_tPvRmT1_PNSt15iterator_traitsISZ_E10value_typeET2_T3_PNS10_IS15_E10value_typeET4_jRbjT5_S1B_jjP12ihipStream_tbEUljE_EEESW_SX_SY_S15_S19_S1B_T6_T7_T9_mT8_S1D_bDpT10_ENKUlT_T0_E_clISt17integral_constantIbLb0EES1P_IbLb1EEEEDaS1L_S1M_EUlS1L_E_NS1_11comp_targetILNS1_3genE8ELNS1_11target_archE1030ELNS1_3gpuE2ELNS1_3repE0EEENS1_30default_config_static_selectorELNS0_4arch9wavefront6targetE0EEEvSZ_.num_vgpr, 71
	.set _ZN7rocprim17ROCPRIM_400000_NS6detail17trampoline_kernelINS0_13select_configILj256ELj13ELNS0_17block_load_methodE3ELS4_3ELS4_3ELNS0_20block_scan_algorithmE0ELj4294967295EEENS1_25partition_config_selectorILNS1_17partition_subalgoE3EjNS0_10empty_typeEbEEZZNS1_14partition_implILS8_3ELb0ES6_jNS0_17counting_iteratorIjlEEPS9_SE_NS0_5tupleIJPjSE_EEENSF_IJSE_SE_EEES9_SG_JZNS1_25segmented_radix_sort_implINS0_14default_configELb1EPK12hip_bfloat16PSL_PKlPlN2at6native12_GLOBAL__N_18offset_tEEE10hipError_tPvRmT1_PNSt15iterator_traitsISZ_E10value_typeET2_T3_PNS10_IS15_E10value_typeET4_jRbjT5_S1B_jjP12ihipStream_tbEUljE_EEESW_SX_SY_S15_S19_S1B_T6_T7_T9_mT8_S1D_bDpT10_ENKUlT_T0_E_clISt17integral_constantIbLb0EES1P_IbLb1EEEEDaS1L_S1M_EUlS1L_E_NS1_11comp_targetILNS1_3genE8ELNS1_11target_archE1030ELNS1_3gpuE2ELNS1_3repE0EEENS1_30default_config_static_selectorELNS0_4arch9wavefront6targetE0EEEvSZ_.num_agpr, 0
	.set _ZN7rocprim17ROCPRIM_400000_NS6detail17trampoline_kernelINS0_13select_configILj256ELj13ELNS0_17block_load_methodE3ELS4_3ELS4_3ELNS0_20block_scan_algorithmE0ELj4294967295EEENS1_25partition_config_selectorILNS1_17partition_subalgoE3EjNS0_10empty_typeEbEEZZNS1_14partition_implILS8_3ELb0ES6_jNS0_17counting_iteratorIjlEEPS9_SE_NS0_5tupleIJPjSE_EEENSF_IJSE_SE_EEES9_SG_JZNS1_25segmented_radix_sort_implINS0_14default_configELb1EPK12hip_bfloat16PSL_PKlPlN2at6native12_GLOBAL__N_18offset_tEEE10hipError_tPvRmT1_PNSt15iterator_traitsISZ_E10value_typeET2_T3_PNS10_IS15_E10value_typeET4_jRbjT5_S1B_jjP12ihipStream_tbEUljE_EEESW_SX_SY_S15_S19_S1B_T6_T7_T9_mT8_S1D_bDpT10_ENKUlT_T0_E_clISt17integral_constantIbLb0EES1P_IbLb1EEEEDaS1L_S1M_EUlS1L_E_NS1_11comp_targetILNS1_3genE8ELNS1_11target_archE1030ELNS1_3gpuE2ELNS1_3repE0EEENS1_30default_config_static_selectorELNS0_4arch9wavefront6targetE0EEEvSZ_.numbered_sgpr, 26
	.set _ZN7rocprim17ROCPRIM_400000_NS6detail17trampoline_kernelINS0_13select_configILj256ELj13ELNS0_17block_load_methodE3ELS4_3ELS4_3ELNS0_20block_scan_algorithmE0ELj4294967295EEENS1_25partition_config_selectorILNS1_17partition_subalgoE3EjNS0_10empty_typeEbEEZZNS1_14partition_implILS8_3ELb0ES6_jNS0_17counting_iteratorIjlEEPS9_SE_NS0_5tupleIJPjSE_EEENSF_IJSE_SE_EEES9_SG_JZNS1_25segmented_radix_sort_implINS0_14default_configELb1EPK12hip_bfloat16PSL_PKlPlN2at6native12_GLOBAL__N_18offset_tEEE10hipError_tPvRmT1_PNSt15iterator_traitsISZ_E10value_typeET2_T3_PNS10_IS15_E10value_typeET4_jRbjT5_S1B_jjP12ihipStream_tbEUljE_EEESW_SX_SY_S15_S19_S1B_T6_T7_T9_mT8_S1D_bDpT10_ENKUlT_T0_E_clISt17integral_constantIbLb0EES1P_IbLb1EEEEDaS1L_S1M_EUlS1L_E_NS1_11comp_targetILNS1_3genE8ELNS1_11target_archE1030ELNS1_3gpuE2ELNS1_3repE0EEENS1_30default_config_static_selectorELNS0_4arch9wavefront6targetE0EEEvSZ_.num_named_barrier, 0
	.set _ZN7rocprim17ROCPRIM_400000_NS6detail17trampoline_kernelINS0_13select_configILj256ELj13ELNS0_17block_load_methodE3ELS4_3ELS4_3ELNS0_20block_scan_algorithmE0ELj4294967295EEENS1_25partition_config_selectorILNS1_17partition_subalgoE3EjNS0_10empty_typeEbEEZZNS1_14partition_implILS8_3ELb0ES6_jNS0_17counting_iteratorIjlEEPS9_SE_NS0_5tupleIJPjSE_EEENSF_IJSE_SE_EEES9_SG_JZNS1_25segmented_radix_sort_implINS0_14default_configELb1EPK12hip_bfloat16PSL_PKlPlN2at6native12_GLOBAL__N_18offset_tEEE10hipError_tPvRmT1_PNSt15iterator_traitsISZ_E10value_typeET2_T3_PNS10_IS15_E10value_typeET4_jRbjT5_S1B_jjP12ihipStream_tbEUljE_EEESW_SX_SY_S15_S19_S1B_T6_T7_T9_mT8_S1D_bDpT10_ENKUlT_T0_E_clISt17integral_constantIbLb0EES1P_IbLb1EEEEDaS1L_S1M_EUlS1L_E_NS1_11comp_targetILNS1_3genE8ELNS1_11target_archE1030ELNS1_3gpuE2ELNS1_3repE0EEENS1_30default_config_static_selectorELNS0_4arch9wavefront6targetE0EEEvSZ_.private_seg_size, 0
	.set _ZN7rocprim17ROCPRIM_400000_NS6detail17trampoline_kernelINS0_13select_configILj256ELj13ELNS0_17block_load_methodE3ELS4_3ELS4_3ELNS0_20block_scan_algorithmE0ELj4294967295EEENS1_25partition_config_selectorILNS1_17partition_subalgoE3EjNS0_10empty_typeEbEEZZNS1_14partition_implILS8_3ELb0ES6_jNS0_17counting_iteratorIjlEEPS9_SE_NS0_5tupleIJPjSE_EEENSF_IJSE_SE_EEES9_SG_JZNS1_25segmented_radix_sort_implINS0_14default_configELb1EPK12hip_bfloat16PSL_PKlPlN2at6native12_GLOBAL__N_18offset_tEEE10hipError_tPvRmT1_PNSt15iterator_traitsISZ_E10value_typeET2_T3_PNS10_IS15_E10value_typeET4_jRbjT5_S1B_jjP12ihipStream_tbEUljE_EEESW_SX_SY_S15_S19_S1B_T6_T7_T9_mT8_S1D_bDpT10_ENKUlT_T0_E_clISt17integral_constantIbLb0EES1P_IbLb1EEEEDaS1L_S1M_EUlS1L_E_NS1_11comp_targetILNS1_3genE8ELNS1_11target_archE1030ELNS1_3gpuE2ELNS1_3repE0EEENS1_30default_config_static_selectorELNS0_4arch9wavefront6targetE0EEEvSZ_.uses_vcc, 1
	.set _ZN7rocprim17ROCPRIM_400000_NS6detail17trampoline_kernelINS0_13select_configILj256ELj13ELNS0_17block_load_methodE3ELS4_3ELS4_3ELNS0_20block_scan_algorithmE0ELj4294967295EEENS1_25partition_config_selectorILNS1_17partition_subalgoE3EjNS0_10empty_typeEbEEZZNS1_14partition_implILS8_3ELb0ES6_jNS0_17counting_iteratorIjlEEPS9_SE_NS0_5tupleIJPjSE_EEENSF_IJSE_SE_EEES9_SG_JZNS1_25segmented_radix_sort_implINS0_14default_configELb1EPK12hip_bfloat16PSL_PKlPlN2at6native12_GLOBAL__N_18offset_tEEE10hipError_tPvRmT1_PNSt15iterator_traitsISZ_E10value_typeET2_T3_PNS10_IS15_E10value_typeET4_jRbjT5_S1B_jjP12ihipStream_tbEUljE_EEESW_SX_SY_S15_S19_S1B_T6_T7_T9_mT8_S1D_bDpT10_ENKUlT_T0_E_clISt17integral_constantIbLb0EES1P_IbLb1EEEEDaS1L_S1M_EUlS1L_E_NS1_11comp_targetILNS1_3genE8ELNS1_11target_archE1030ELNS1_3gpuE2ELNS1_3repE0EEENS1_30default_config_static_selectorELNS0_4arch9wavefront6targetE0EEEvSZ_.uses_flat_scratch, 0
	.set _ZN7rocprim17ROCPRIM_400000_NS6detail17trampoline_kernelINS0_13select_configILj256ELj13ELNS0_17block_load_methodE3ELS4_3ELS4_3ELNS0_20block_scan_algorithmE0ELj4294967295EEENS1_25partition_config_selectorILNS1_17partition_subalgoE3EjNS0_10empty_typeEbEEZZNS1_14partition_implILS8_3ELb0ES6_jNS0_17counting_iteratorIjlEEPS9_SE_NS0_5tupleIJPjSE_EEENSF_IJSE_SE_EEES9_SG_JZNS1_25segmented_radix_sort_implINS0_14default_configELb1EPK12hip_bfloat16PSL_PKlPlN2at6native12_GLOBAL__N_18offset_tEEE10hipError_tPvRmT1_PNSt15iterator_traitsISZ_E10value_typeET2_T3_PNS10_IS15_E10value_typeET4_jRbjT5_S1B_jjP12ihipStream_tbEUljE_EEESW_SX_SY_S15_S19_S1B_T6_T7_T9_mT8_S1D_bDpT10_ENKUlT_T0_E_clISt17integral_constantIbLb0EES1P_IbLb1EEEEDaS1L_S1M_EUlS1L_E_NS1_11comp_targetILNS1_3genE8ELNS1_11target_archE1030ELNS1_3gpuE2ELNS1_3repE0EEENS1_30default_config_static_selectorELNS0_4arch9wavefront6targetE0EEEvSZ_.has_dyn_sized_stack, 0
	.set _ZN7rocprim17ROCPRIM_400000_NS6detail17trampoline_kernelINS0_13select_configILj256ELj13ELNS0_17block_load_methodE3ELS4_3ELS4_3ELNS0_20block_scan_algorithmE0ELj4294967295EEENS1_25partition_config_selectorILNS1_17partition_subalgoE3EjNS0_10empty_typeEbEEZZNS1_14partition_implILS8_3ELb0ES6_jNS0_17counting_iteratorIjlEEPS9_SE_NS0_5tupleIJPjSE_EEENSF_IJSE_SE_EEES9_SG_JZNS1_25segmented_radix_sort_implINS0_14default_configELb1EPK12hip_bfloat16PSL_PKlPlN2at6native12_GLOBAL__N_18offset_tEEE10hipError_tPvRmT1_PNSt15iterator_traitsISZ_E10value_typeET2_T3_PNS10_IS15_E10value_typeET4_jRbjT5_S1B_jjP12ihipStream_tbEUljE_EEESW_SX_SY_S15_S19_S1B_T6_T7_T9_mT8_S1D_bDpT10_ENKUlT_T0_E_clISt17integral_constantIbLb0EES1P_IbLb1EEEEDaS1L_S1M_EUlS1L_E_NS1_11comp_targetILNS1_3genE8ELNS1_11target_archE1030ELNS1_3gpuE2ELNS1_3repE0EEENS1_30default_config_static_selectorELNS0_4arch9wavefront6targetE0EEEvSZ_.has_recursion, 0
	.set _ZN7rocprim17ROCPRIM_400000_NS6detail17trampoline_kernelINS0_13select_configILj256ELj13ELNS0_17block_load_methodE3ELS4_3ELS4_3ELNS0_20block_scan_algorithmE0ELj4294967295EEENS1_25partition_config_selectorILNS1_17partition_subalgoE3EjNS0_10empty_typeEbEEZZNS1_14partition_implILS8_3ELb0ES6_jNS0_17counting_iteratorIjlEEPS9_SE_NS0_5tupleIJPjSE_EEENSF_IJSE_SE_EEES9_SG_JZNS1_25segmented_radix_sort_implINS0_14default_configELb1EPK12hip_bfloat16PSL_PKlPlN2at6native12_GLOBAL__N_18offset_tEEE10hipError_tPvRmT1_PNSt15iterator_traitsISZ_E10value_typeET2_T3_PNS10_IS15_E10value_typeET4_jRbjT5_S1B_jjP12ihipStream_tbEUljE_EEESW_SX_SY_S15_S19_S1B_T6_T7_T9_mT8_S1D_bDpT10_ENKUlT_T0_E_clISt17integral_constantIbLb0EES1P_IbLb1EEEEDaS1L_S1M_EUlS1L_E_NS1_11comp_targetILNS1_3genE8ELNS1_11target_archE1030ELNS1_3gpuE2ELNS1_3repE0EEENS1_30default_config_static_selectorELNS0_4arch9wavefront6targetE0EEEvSZ_.has_indirect_call, 0
	.section	.AMDGPU.csdata,"",@progbits
; Kernel info:
; codeLenInByte = 8704
; TotalNumSgprs: 28
; NumVgprs: 71
; ScratchSize: 0
; MemoryBound: 0
; FloatMode: 240
; IeeeMode: 1
; LDSByteSize: 13320 bytes/workgroup (compile time only)
; SGPRBlocks: 0
; VGPRBlocks: 8
; NumSGPRsForWavesPerEU: 28
; NumVGPRsForWavesPerEU: 71
; Occupancy: 12
; WaveLimiterHint : 0
; COMPUTE_PGM_RSRC2:SCRATCH_EN: 0
; COMPUTE_PGM_RSRC2:USER_SGPR: 6
; COMPUTE_PGM_RSRC2:TRAP_HANDLER: 0
; COMPUTE_PGM_RSRC2:TGID_X_EN: 1
; COMPUTE_PGM_RSRC2:TGID_Y_EN: 0
; COMPUTE_PGM_RSRC2:TGID_Z_EN: 0
; COMPUTE_PGM_RSRC2:TIDIG_COMP_CNT: 0
	.section	.text._ZN7rocprim17ROCPRIM_400000_NS6detail17trampoline_kernelINS0_14default_configENS1_36segmented_radix_sort_config_selectorI12hip_bfloat16lEEZNS1_25segmented_radix_sort_implIS3_Lb1EPKS5_PS5_PKlPlN2at6native12_GLOBAL__N_18offset_tEEE10hipError_tPvRmT1_PNSt15iterator_traitsISL_E10value_typeET2_T3_PNSM_ISR_E10value_typeET4_jRbjT5_SX_jjP12ihipStream_tbEUlT_E_NS1_11comp_targetILNS1_3genE0ELNS1_11target_archE4294967295ELNS1_3gpuE0ELNS1_3repE0EEENS1_30default_config_static_selectorELNS0_4arch9wavefront6targetE0EEEvSL_,"axG",@progbits,_ZN7rocprim17ROCPRIM_400000_NS6detail17trampoline_kernelINS0_14default_configENS1_36segmented_radix_sort_config_selectorI12hip_bfloat16lEEZNS1_25segmented_radix_sort_implIS3_Lb1EPKS5_PS5_PKlPlN2at6native12_GLOBAL__N_18offset_tEEE10hipError_tPvRmT1_PNSt15iterator_traitsISL_E10value_typeET2_T3_PNSM_ISR_E10value_typeET4_jRbjT5_SX_jjP12ihipStream_tbEUlT_E_NS1_11comp_targetILNS1_3genE0ELNS1_11target_archE4294967295ELNS1_3gpuE0ELNS1_3repE0EEENS1_30default_config_static_selectorELNS0_4arch9wavefront6targetE0EEEvSL_,comdat
	.globl	_ZN7rocprim17ROCPRIM_400000_NS6detail17trampoline_kernelINS0_14default_configENS1_36segmented_radix_sort_config_selectorI12hip_bfloat16lEEZNS1_25segmented_radix_sort_implIS3_Lb1EPKS5_PS5_PKlPlN2at6native12_GLOBAL__N_18offset_tEEE10hipError_tPvRmT1_PNSt15iterator_traitsISL_E10value_typeET2_T3_PNSM_ISR_E10value_typeET4_jRbjT5_SX_jjP12ihipStream_tbEUlT_E_NS1_11comp_targetILNS1_3genE0ELNS1_11target_archE4294967295ELNS1_3gpuE0ELNS1_3repE0EEENS1_30default_config_static_selectorELNS0_4arch9wavefront6targetE0EEEvSL_ ; -- Begin function _ZN7rocprim17ROCPRIM_400000_NS6detail17trampoline_kernelINS0_14default_configENS1_36segmented_radix_sort_config_selectorI12hip_bfloat16lEEZNS1_25segmented_radix_sort_implIS3_Lb1EPKS5_PS5_PKlPlN2at6native12_GLOBAL__N_18offset_tEEE10hipError_tPvRmT1_PNSt15iterator_traitsISL_E10value_typeET2_T3_PNSM_ISR_E10value_typeET4_jRbjT5_SX_jjP12ihipStream_tbEUlT_E_NS1_11comp_targetILNS1_3genE0ELNS1_11target_archE4294967295ELNS1_3gpuE0ELNS1_3repE0EEENS1_30default_config_static_selectorELNS0_4arch9wavefront6targetE0EEEvSL_
	.p2align	8
	.type	_ZN7rocprim17ROCPRIM_400000_NS6detail17trampoline_kernelINS0_14default_configENS1_36segmented_radix_sort_config_selectorI12hip_bfloat16lEEZNS1_25segmented_radix_sort_implIS3_Lb1EPKS5_PS5_PKlPlN2at6native12_GLOBAL__N_18offset_tEEE10hipError_tPvRmT1_PNSt15iterator_traitsISL_E10value_typeET2_T3_PNSM_ISR_E10value_typeET4_jRbjT5_SX_jjP12ihipStream_tbEUlT_E_NS1_11comp_targetILNS1_3genE0ELNS1_11target_archE4294967295ELNS1_3gpuE0ELNS1_3repE0EEENS1_30default_config_static_selectorELNS0_4arch9wavefront6targetE0EEEvSL_,@function
_ZN7rocprim17ROCPRIM_400000_NS6detail17trampoline_kernelINS0_14default_configENS1_36segmented_radix_sort_config_selectorI12hip_bfloat16lEEZNS1_25segmented_radix_sort_implIS3_Lb1EPKS5_PS5_PKlPlN2at6native12_GLOBAL__N_18offset_tEEE10hipError_tPvRmT1_PNSt15iterator_traitsISL_E10value_typeET2_T3_PNSM_ISR_E10value_typeET4_jRbjT5_SX_jjP12ihipStream_tbEUlT_E_NS1_11comp_targetILNS1_3genE0ELNS1_11target_archE4294967295ELNS1_3gpuE0ELNS1_3repE0EEENS1_30default_config_static_selectorELNS0_4arch9wavefront6targetE0EEEvSL_: ; @_ZN7rocprim17ROCPRIM_400000_NS6detail17trampoline_kernelINS0_14default_configENS1_36segmented_radix_sort_config_selectorI12hip_bfloat16lEEZNS1_25segmented_radix_sort_implIS3_Lb1EPKS5_PS5_PKlPlN2at6native12_GLOBAL__N_18offset_tEEE10hipError_tPvRmT1_PNSt15iterator_traitsISL_E10value_typeET2_T3_PNSM_ISR_E10value_typeET4_jRbjT5_SX_jjP12ihipStream_tbEUlT_E_NS1_11comp_targetILNS1_3genE0ELNS1_11target_archE4294967295ELNS1_3gpuE0ELNS1_3repE0EEENS1_30default_config_static_selectorELNS0_4arch9wavefront6targetE0EEEvSL_
; %bb.0:
	.section	.rodata,"a",@progbits
	.p2align	6, 0x0
	.amdhsa_kernel _ZN7rocprim17ROCPRIM_400000_NS6detail17trampoline_kernelINS0_14default_configENS1_36segmented_radix_sort_config_selectorI12hip_bfloat16lEEZNS1_25segmented_radix_sort_implIS3_Lb1EPKS5_PS5_PKlPlN2at6native12_GLOBAL__N_18offset_tEEE10hipError_tPvRmT1_PNSt15iterator_traitsISL_E10value_typeET2_T3_PNSM_ISR_E10value_typeET4_jRbjT5_SX_jjP12ihipStream_tbEUlT_E_NS1_11comp_targetILNS1_3genE0ELNS1_11target_archE4294967295ELNS1_3gpuE0ELNS1_3repE0EEENS1_30default_config_static_selectorELNS0_4arch9wavefront6targetE0EEEvSL_
		.amdhsa_group_segment_fixed_size 0
		.amdhsa_private_segment_fixed_size 0
		.amdhsa_kernarg_size 96
		.amdhsa_user_sgpr_count 6
		.amdhsa_user_sgpr_private_segment_buffer 1
		.amdhsa_user_sgpr_dispatch_ptr 0
		.amdhsa_user_sgpr_queue_ptr 0
		.amdhsa_user_sgpr_kernarg_segment_ptr 1
		.amdhsa_user_sgpr_dispatch_id 0
		.amdhsa_user_sgpr_flat_scratch_init 0
		.amdhsa_user_sgpr_private_segment_size 0
		.amdhsa_wavefront_size32 1
		.amdhsa_uses_dynamic_stack 0
		.amdhsa_system_sgpr_private_segment_wavefront_offset 0
		.amdhsa_system_sgpr_workgroup_id_x 1
		.amdhsa_system_sgpr_workgroup_id_y 0
		.amdhsa_system_sgpr_workgroup_id_z 0
		.amdhsa_system_sgpr_workgroup_info 0
		.amdhsa_system_vgpr_workitem_id 0
		.amdhsa_next_free_vgpr 1
		.amdhsa_next_free_sgpr 1
		.amdhsa_reserve_vcc 0
		.amdhsa_reserve_flat_scratch 0
		.amdhsa_float_round_mode_32 0
		.amdhsa_float_round_mode_16_64 0
		.amdhsa_float_denorm_mode_32 3
		.amdhsa_float_denorm_mode_16_64 3
		.amdhsa_dx10_clamp 1
		.amdhsa_ieee_mode 1
		.amdhsa_fp16_overflow 0
		.amdhsa_workgroup_processor_mode 1
		.amdhsa_memory_ordered 1
		.amdhsa_forward_progress 1
		.amdhsa_shared_vgpr_count 0
		.amdhsa_exception_fp_ieee_invalid_op 0
		.amdhsa_exception_fp_denorm_src 0
		.amdhsa_exception_fp_ieee_div_zero 0
		.amdhsa_exception_fp_ieee_overflow 0
		.amdhsa_exception_fp_ieee_underflow 0
		.amdhsa_exception_fp_ieee_inexact 0
		.amdhsa_exception_int_div_zero 0
	.end_amdhsa_kernel
	.section	.text._ZN7rocprim17ROCPRIM_400000_NS6detail17trampoline_kernelINS0_14default_configENS1_36segmented_radix_sort_config_selectorI12hip_bfloat16lEEZNS1_25segmented_radix_sort_implIS3_Lb1EPKS5_PS5_PKlPlN2at6native12_GLOBAL__N_18offset_tEEE10hipError_tPvRmT1_PNSt15iterator_traitsISL_E10value_typeET2_T3_PNSM_ISR_E10value_typeET4_jRbjT5_SX_jjP12ihipStream_tbEUlT_E_NS1_11comp_targetILNS1_3genE0ELNS1_11target_archE4294967295ELNS1_3gpuE0ELNS1_3repE0EEENS1_30default_config_static_selectorELNS0_4arch9wavefront6targetE0EEEvSL_,"axG",@progbits,_ZN7rocprim17ROCPRIM_400000_NS6detail17trampoline_kernelINS0_14default_configENS1_36segmented_radix_sort_config_selectorI12hip_bfloat16lEEZNS1_25segmented_radix_sort_implIS3_Lb1EPKS5_PS5_PKlPlN2at6native12_GLOBAL__N_18offset_tEEE10hipError_tPvRmT1_PNSt15iterator_traitsISL_E10value_typeET2_T3_PNSM_ISR_E10value_typeET4_jRbjT5_SX_jjP12ihipStream_tbEUlT_E_NS1_11comp_targetILNS1_3genE0ELNS1_11target_archE4294967295ELNS1_3gpuE0ELNS1_3repE0EEENS1_30default_config_static_selectorELNS0_4arch9wavefront6targetE0EEEvSL_,comdat
.Lfunc_end1936:
	.size	_ZN7rocprim17ROCPRIM_400000_NS6detail17trampoline_kernelINS0_14default_configENS1_36segmented_radix_sort_config_selectorI12hip_bfloat16lEEZNS1_25segmented_radix_sort_implIS3_Lb1EPKS5_PS5_PKlPlN2at6native12_GLOBAL__N_18offset_tEEE10hipError_tPvRmT1_PNSt15iterator_traitsISL_E10value_typeET2_T3_PNSM_ISR_E10value_typeET4_jRbjT5_SX_jjP12ihipStream_tbEUlT_E_NS1_11comp_targetILNS1_3genE0ELNS1_11target_archE4294967295ELNS1_3gpuE0ELNS1_3repE0EEENS1_30default_config_static_selectorELNS0_4arch9wavefront6targetE0EEEvSL_, .Lfunc_end1936-_ZN7rocprim17ROCPRIM_400000_NS6detail17trampoline_kernelINS0_14default_configENS1_36segmented_radix_sort_config_selectorI12hip_bfloat16lEEZNS1_25segmented_radix_sort_implIS3_Lb1EPKS5_PS5_PKlPlN2at6native12_GLOBAL__N_18offset_tEEE10hipError_tPvRmT1_PNSt15iterator_traitsISL_E10value_typeET2_T3_PNSM_ISR_E10value_typeET4_jRbjT5_SX_jjP12ihipStream_tbEUlT_E_NS1_11comp_targetILNS1_3genE0ELNS1_11target_archE4294967295ELNS1_3gpuE0ELNS1_3repE0EEENS1_30default_config_static_selectorELNS0_4arch9wavefront6targetE0EEEvSL_
                                        ; -- End function
	.set _ZN7rocprim17ROCPRIM_400000_NS6detail17trampoline_kernelINS0_14default_configENS1_36segmented_radix_sort_config_selectorI12hip_bfloat16lEEZNS1_25segmented_radix_sort_implIS3_Lb1EPKS5_PS5_PKlPlN2at6native12_GLOBAL__N_18offset_tEEE10hipError_tPvRmT1_PNSt15iterator_traitsISL_E10value_typeET2_T3_PNSM_ISR_E10value_typeET4_jRbjT5_SX_jjP12ihipStream_tbEUlT_E_NS1_11comp_targetILNS1_3genE0ELNS1_11target_archE4294967295ELNS1_3gpuE0ELNS1_3repE0EEENS1_30default_config_static_selectorELNS0_4arch9wavefront6targetE0EEEvSL_.num_vgpr, 0
	.set _ZN7rocprim17ROCPRIM_400000_NS6detail17trampoline_kernelINS0_14default_configENS1_36segmented_radix_sort_config_selectorI12hip_bfloat16lEEZNS1_25segmented_radix_sort_implIS3_Lb1EPKS5_PS5_PKlPlN2at6native12_GLOBAL__N_18offset_tEEE10hipError_tPvRmT1_PNSt15iterator_traitsISL_E10value_typeET2_T3_PNSM_ISR_E10value_typeET4_jRbjT5_SX_jjP12ihipStream_tbEUlT_E_NS1_11comp_targetILNS1_3genE0ELNS1_11target_archE4294967295ELNS1_3gpuE0ELNS1_3repE0EEENS1_30default_config_static_selectorELNS0_4arch9wavefront6targetE0EEEvSL_.num_agpr, 0
	.set _ZN7rocprim17ROCPRIM_400000_NS6detail17trampoline_kernelINS0_14default_configENS1_36segmented_radix_sort_config_selectorI12hip_bfloat16lEEZNS1_25segmented_radix_sort_implIS3_Lb1EPKS5_PS5_PKlPlN2at6native12_GLOBAL__N_18offset_tEEE10hipError_tPvRmT1_PNSt15iterator_traitsISL_E10value_typeET2_T3_PNSM_ISR_E10value_typeET4_jRbjT5_SX_jjP12ihipStream_tbEUlT_E_NS1_11comp_targetILNS1_3genE0ELNS1_11target_archE4294967295ELNS1_3gpuE0ELNS1_3repE0EEENS1_30default_config_static_selectorELNS0_4arch9wavefront6targetE0EEEvSL_.numbered_sgpr, 0
	.set _ZN7rocprim17ROCPRIM_400000_NS6detail17trampoline_kernelINS0_14default_configENS1_36segmented_radix_sort_config_selectorI12hip_bfloat16lEEZNS1_25segmented_radix_sort_implIS3_Lb1EPKS5_PS5_PKlPlN2at6native12_GLOBAL__N_18offset_tEEE10hipError_tPvRmT1_PNSt15iterator_traitsISL_E10value_typeET2_T3_PNSM_ISR_E10value_typeET4_jRbjT5_SX_jjP12ihipStream_tbEUlT_E_NS1_11comp_targetILNS1_3genE0ELNS1_11target_archE4294967295ELNS1_3gpuE0ELNS1_3repE0EEENS1_30default_config_static_selectorELNS0_4arch9wavefront6targetE0EEEvSL_.num_named_barrier, 0
	.set _ZN7rocprim17ROCPRIM_400000_NS6detail17trampoline_kernelINS0_14default_configENS1_36segmented_radix_sort_config_selectorI12hip_bfloat16lEEZNS1_25segmented_radix_sort_implIS3_Lb1EPKS5_PS5_PKlPlN2at6native12_GLOBAL__N_18offset_tEEE10hipError_tPvRmT1_PNSt15iterator_traitsISL_E10value_typeET2_T3_PNSM_ISR_E10value_typeET4_jRbjT5_SX_jjP12ihipStream_tbEUlT_E_NS1_11comp_targetILNS1_3genE0ELNS1_11target_archE4294967295ELNS1_3gpuE0ELNS1_3repE0EEENS1_30default_config_static_selectorELNS0_4arch9wavefront6targetE0EEEvSL_.private_seg_size, 0
	.set _ZN7rocprim17ROCPRIM_400000_NS6detail17trampoline_kernelINS0_14default_configENS1_36segmented_radix_sort_config_selectorI12hip_bfloat16lEEZNS1_25segmented_radix_sort_implIS3_Lb1EPKS5_PS5_PKlPlN2at6native12_GLOBAL__N_18offset_tEEE10hipError_tPvRmT1_PNSt15iterator_traitsISL_E10value_typeET2_T3_PNSM_ISR_E10value_typeET4_jRbjT5_SX_jjP12ihipStream_tbEUlT_E_NS1_11comp_targetILNS1_3genE0ELNS1_11target_archE4294967295ELNS1_3gpuE0ELNS1_3repE0EEENS1_30default_config_static_selectorELNS0_4arch9wavefront6targetE0EEEvSL_.uses_vcc, 0
	.set _ZN7rocprim17ROCPRIM_400000_NS6detail17trampoline_kernelINS0_14default_configENS1_36segmented_radix_sort_config_selectorI12hip_bfloat16lEEZNS1_25segmented_radix_sort_implIS3_Lb1EPKS5_PS5_PKlPlN2at6native12_GLOBAL__N_18offset_tEEE10hipError_tPvRmT1_PNSt15iterator_traitsISL_E10value_typeET2_T3_PNSM_ISR_E10value_typeET4_jRbjT5_SX_jjP12ihipStream_tbEUlT_E_NS1_11comp_targetILNS1_3genE0ELNS1_11target_archE4294967295ELNS1_3gpuE0ELNS1_3repE0EEENS1_30default_config_static_selectorELNS0_4arch9wavefront6targetE0EEEvSL_.uses_flat_scratch, 0
	.set _ZN7rocprim17ROCPRIM_400000_NS6detail17trampoline_kernelINS0_14default_configENS1_36segmented_radix_sort_config_selectorI12hip_bfloat16lEEZNS1_25segmented_radix_sort_implIS3_Lb1EPKS5_PS5_PKlPlN2at6native12_GLOBAL__N_18offset_tEEE10hipError_tPvRmT1_PNSt15iterator_traitsISL_E10value_typeET2_T3_PNSM_ISR_E10value_typeET4_jRbjT5_SX_jjP12ihipStream_tbEUlT_E_NS1_11comp_targetILNS1_3genE0ELNS1_11target_archE4294967295ELNS1_3gpuE0ELNS1_3repE0EEENS1_30default_config_static_selectorELNS0_4arch9wavefront6targetE0EEEvSL_.has_dyn_sized_stack, 0
	.set _ZN7rocprim17ROCPRIM_400000_NS6detail17trampoline_kernelINS0_14default_configENS1_36segmented_radix_sort_config_selectorI12hip_bfloat16lEEZNS1_25segmented_radix_sort_implIS3_Lb1EPKS5_PS5_PKlPlN2at6native12_GLOBAL__N_18offset_tEEE10hipError_tPvRmT1_PNSt15iterator_traitsISL_E10value_typeET2_T3_PNSM_ISR_E10value_typeET4_jRbjT5_SX_jjP12ihipStream_tbEUlT_E_NS1_11comp_targetILNS1_3genE0ELNS1_11target_archE4294967295ELNS1_3gpuE0ELNS1_3repE0EEENS1_30default_config_static_selectorELNS0_4arch9wavefront6targetE0EEEvSL_.has_recursion, 0
	.set _ZN7rocprim17ROCPRIM_400000_NS6detail17trampoline_kernelINS0_14default_configENS1_36segmented_radix_sort_config_selectorI12hip_bfloat16lEEZNS1_25segmented_radix_sort_implIS3_Lb1EPKS5_PS5_PKlPlN2at6native12_GLOBAL__N_18offset_tEEE10hipError_tPvRmT1_PNSt15iterator_traitsISL_E10value_typeET2_T3_PNSM_ISR_E10value_typeET4_jRbjT5_SX_jjP12ihipStream_tbEUlT_E_NS1_11comp_targetILNS1_3genE0ELNS1_11target_archE4294967295ELNS1_3gpuE0ELNS1_3repE0EEENS1_30default_config_static_selectorELNS0_4arch9wavefront6targetE0EEEvSL_.has_indirect_call, 0
	.section	.AMDGPU.csdata,"",@progbits
; Kernel info:
; codeLenInByte = 0
; TotalNumSgprs: 0
; NumVgprs: 0
; ScratchSize: 0
; MemoryBound: 0
; FloatMode: 240
; IeeeMode: 1
; LDSByteSize: 0 bytes/workgroup (compile time only)
; SGPRBlocks: 0
; VGPRBlocks: 0
; NumSGPRsForWavesPerEU: 1
; NumVGPRsForWavesPerEU: 1
; Occupancy: 16
; WaveLimiterHint : 0
; COMPUTE_PGM_RSRC2:SCRATCH_EN: 0
; COMPUTE_PGM_RSRC2:USER_SGPR: 6
; COMPUTE_PGM_RSRC2:TRAP_HANDLER: 0
; COMPUTE_PGM_RSRC2:TGID_X_EN: 1
; COMPUTE_PGM_RSRC2:TGID_Y_EN: 0
; COMPUTE_PGM_RSRC2:TGID_Z_EN: 0
; COMPUTE_PGM_RSRC2:TIDIG_COMP_CNT: 0
	.section	.text._ZN7rocprim17ROCPRIM_400000_NS6detail17trampoline_kernelINS0_14default_configENS1_36segmented_radix_sort_config_selectorI12hip_bfloat16lEEZNS1_25segmented_radix_sort_implIS3_Lb1EPKS5_PS5_PKlPlN2at6native12_GLOBAL__N_18offset_tEEE10hipError_tPvRmT1_PNSt15iterator_traitsISL_E10value_typeET2_T3_PNSM_ISR_E10value_typeET4_jRbjT5_SX_jjP12ihipStream_tbEUlT_E_NS1_11comp_targetILNS1_3genE5ELNS1_11target_archE942ELNS1_3gpuE9ELNS1_3repE0EEENS1_30default_config_static_selectorELNS0_4arch9wavefront6targetE0EEEvSL_,"axG",@progbits,_ZN7rocprim17ROCPRIM_400000_NS6detail17trampoline_kernelINS0_14default_configENS1_36segmented_radix_sort_config_selectorI12hip_bfloat16lEEZNS1_25segmented_radix_sort_implIS3_Lb1EPKS5_PS5_PKlPlN2at6native12_GLOBAL__N_18offset_tEEE10hipError_tPvRmT1_PNSt15iterator_traitsISL_E10value_typeET2_T3_PNSM_ISR_E10value_typeET4_jRbjT5_SX_jjP12ihipStream_tbEUlT_E_NS1_11comp_targetILNS1_3genE5ELNS1_11target_archE942ELNS1_3gpuE9ELNS1_3repE0EEENS1_30default_config_static_selectorELNS0_4arch9wavefront6targetE0EEEvSL_,comdat
	.globl	_ZN7rocprim17ROCPRIM_400000_NS6detail17trampoline_kernelINS0_14default_configENS1_36segmented_radix_sort_config_selectorI12hip_bfloat16lEEZNS1_25segmented_radix_sort_implIS3_Lb1EPKS5_PS5_PKlPlN2at6native12_GLOBAL__N_18offset_tEEE10hipError_tPvRmT1_PNSt15iterator_traitsISL_E10value_typeET2_T3_PNSM_ISR_E10value_typeET4_jRbjT5_SX_jjP12ihipStream_tbEUlT_E_NS1_11comp_targetILNS1_3genE5ELNS1_11target_archE942ELNS1_3gpuE9ELNS1_3repE0EEENS1_30default_config_static_selectorELNS0_4arch9wavefront6targetE0EEEvSL_ ; -- Begin function _ZN7rocprim17ROCPRIM_400000_NS6detail17trampoline_kernelINS0_14default_configENS1_36segmented_radix_sort_config_selectorI12hip_bfloat16lEEZNS1_25segmented_radix_sort_implIS3_Lb1EPKS5_PS5_PKlPlN2at6native12_GLOBAL__N_18offset_tEEE10hipError_tPvRmT1_PNSt15iterator_traitsISL_E10value_typeET2_T3_PNSM_ISR_E10value_typeET4_jRbjT5_SX_jjP12ihipStream_tbEUlT_E_NS1_11comp_targetILNS1_3genE5ELNS1_11target_archE942ELNS1_3gpuE9ELNS1_3repE0EEENS1_30default_config_static_selectorELNS0_4arch9wavefront6targetE0EEEvSL_
	.p2align	8
	.type	_ZN7rocprim17ROCPRIM_400000_NS6detail17trampoline_kernelINS0_14default_configENS1_36segmented_radix_sort_config_selectorI12hip_bfloat16lEEZNS1_25segmented_radix_sort_implIS3_Lb1EPKS5_PS5_PKlPlN2at6native12_GLOBAL__N_18offset_tEEE10hipError_tPvRmT1_PNSt15iterator_traitsISL_E10value_typeET2_T3_PNSM_ISR_E10value_typeET4_jRbjT5_SX_jjP12ihipStream_tbEUlT_E_NS1_11comp_targetILNS1_3genE5ELNS1_11target_archE942ELNS1_3gpuE9ELNS1_3repE0EEENS1_30default_config_static_selectorELNS0_4arch9wavefront6targetE0EEEvSL_,@function
_ZN7rocprim17ROCPRIM_400000_NS6detail17trampoline_kernelINS0_14default_configENS1_36segmented_radix_sort_config_selectorI12hip_bfloat16lEEZNS1_25segmented_radix_sort_implIS3_Lb1EPKS5_PS5_PKlPlN2at6native12_GLOBAL__N_18offset_tEEE10hipError_tPvRmT1_PNSt15iterator_traitsISL_E10value_typeET2_T3_PNSM_ISR_E10value_typeET4_jRbjT5_SX_jjP12ihipStream_tbEUlT_E_NS1_11comp_targetILNS1_3genE5ELNS1_11target_archE942ELNS1_3gpuE9ELNS1_3repE0EEENS1_30default_config_static_selectorELNS0_4arch9wavefront6targetE0EEEvSL_: ; @_ZN7rocprim17ROCPRIM_400000_NS6detail17trampoline_kernelINS0_14default_configENS1_36segmented_radix_sort_config_selectorI12hip_bfloat16lEEZNS1_25segmented_radix_sort_implIS3_Lb1EPKS5_PS5_PKlPlN2at6native12_GLOBAL__N_18offset_tEEE10hipError_tPvRmT1_PNSt15iterator_traitsISL_E10value_typeET2_T3_PNSM_ISR_E10value_typeET4_jRbjT5_SX_jjP12ihipStream_tbEUlT_E_NS1_11comp_targetILNS1_3genE5ELNS1_11target_archE942ELNS1_3gpuE9ELNS1_3repE0EEENS1_30default_config_static_selectorELNS0_4arch9wavefront6targetE0EEEvSL_
; %bb.0:
	.section	.rodata,"a",@progbits
	.p2align	6, 0x0
	.amdhsa_kernel _ZN7rocprim17ROCPRIM_400000_NS6detail17trampoline_kernelINS0_14default_configENS1_36segmented_radix_sort_config_selectorI12hip_bfloat16lEEZNS1_25segmented_radix_sort_implIS3_Lb1EPKS5_PS5_PKlPlN2at6native12_GLOBAL__N_18offset_tEEE10hipError_tPvRmT1_PNSt15iterator_traitsISL_E10value_typeET2_T3_PNSM_ISR_E10value_typeET4_jRbjT5_SX_jjP12ihipStream_tbEUlT_E_NS1_11comp_targetILNS1_3genE5ELNS1_11target_archE942ELNS1_3gpuE9ELNS1_3repE0EEENS1_30default_config_static_selectorELNS0_4arch9wavefront6targetE0EEEvSL_
		.amdhsa_group_segment_fixed_size 0
		.amdhsa_private_segment_fixed_size 0
		.amdhsa_kernarg_size 96
		.amdhsa_user_sgpr_count 6
		.amdhsa_user_sgpr_private_segment_buffer 1
		.amdhsa_user_sgpr_dispatch_ptr 0
		.amdhsa_user_sgpr_queue_ptr 0
		.amdhsa_user_sgpr_kernarg_segment_ptr 1
		.amdhsa_user_sgpr_dispatch_id 0
		.amdhsa_user_sgpr_flat_scratch_init 0
		.amdhsa_user_sgpr_private_segment_size 0
		.amdhsa_wavefront_size32 1
		.amdhsa_uses_dynamic_stack 0
		.amdhsa_system_sgpr_private_segment_wavefront_offset 0
		.amdhsa_system_sgpr_workgroup_id_x 1
		.amdhsa_system_sgpr_workgroup_id_y 0
		.amdhsa_system_sgpr_workgroup_id_z 0
		.amdhsa_system_sgpr_workgroup_info 0
		.amdhsa_system_vgpr_workitem_id 0
		.amdhsa_next_free_vgpr 1
		.amdhsa_next_free_sgpr 1
		.amdhsa_reserve_vcc 0
		.amdhsa_reserve_flat_scratch 0
		.amdhsa_float_round_mode_32 0
		.amdhsa_float_round_mode_16_64 0
		.amdhsa_float_denorm_mode_32 3
		.amdhsa_float_denorm_mode_16_64 3
		.amdhsa_dx10_clamp 1
		.amdhsa_ieee_mode 1
		.amdhsa_fp16_overflow 0
		.amdhsa_workgroup_processor_mode 1
		.amdhsa_memory_ordered 1
		.amdhsa_forward_progress 1
		.amdhsa_shared_vgpr_count 0
		.amdhsa_exception_fp_ieee_invalid_op 0
		.amdhsa_exception_fp_denorm_src 0
		.amdhsa_exception_fp_ieee_div_zero 0
		.amdhsa_exception_fp_ieee_overflow 0
		.amdhsa_exception_fp_ieee_underflow 0
		.amdhsa_exception_fp_ieee_inexact 0
		.amdhsa_exception_int_div_zero 0
	.end_amdhsa_kernel
	.section	.text._ZN7rocprim17ROCPRIM_400000_NS6detail17trampoline_kernelINS0_14default_configENS1_36segmented_radix_sort_config_selectorI12hip_bfloat16lEEZNS1_25segmented_radix_sort_implIS3_Lb1EPKS5_PS5_PKlPlN2at6native12_GLOBAL__N_18offset_tEEE10hipError_tPvRmT1_PNSt15iterator_traitsISL_E10value_typeET2_T3_PNSM_ISR_E10value_typeET4_jRbjT5_SX_jjP12ihipStream_tbEUlT_E_NS1_11comp_targetILNS1_3genE5ELNS1_11target_archE942ELNS1_3gpuE9ELNS1_3repE0EEENS1_30default_config_static_selectorELNS0_4arch9wavefront6targetE0EEEvSL_,"axG",@progbits,_ZN7rocprim17ROCPRIM_400000_NS6detail17trampoline_kernelINS0_14default_configENS1_36segmented_radix_sort_config_selectorI12hip_bfloat16lEEZNS1_25segmented_radix_sort_implIS3_Lb1EPKS5_PS5_PKlPlN2at6native12_GLOBAL__N_18offset_tEEE10hipError_tPvRmT1_PNSt15iterator_traitsISL_E10value_typeET2_T3_PNSM_ISR_E10value_typeET4_jRbjT5_SX_jjP12ihipStream_tbEUlT_E_NS1_11comp_targetILNS1_3genE5ELNS1_11target_archE942ELNS1_3gpuE9ELNS1_3repE0EEENS1_30default_config_static_selectorELNS0_4arch9wavefront6targetE0EEEvSL_,comdat
.Lfunc_end1937:
	.size	_ZN7rocprim17ROCPRIM_400000_NS6detail17trampoline_kernelINS0_14default_configENS1_36segmented_radix_sort_config_selectorI12hip_bfloat16lEEZNS1_25segmented_radix_sort_implIS3_Lb1EPKS5_PS5_PKlPlN2at6native12_GLOBAL__N_18offset_tEEE10hipError_tPvRmT1_PNSt15iterator_traitsISL_E10value_typeET2_T3_PNSM_ISR_E10value_typeET4_jRbjT5_SX_jjP12ihipStream_tbEUlT_E_NS1_11comp_targetILNS1_3genE5ELNS1_11target_archE942ELNS1_3gpuE9ELNS1_3repE0EEENS1_30default_config_static_selectorELNS0_4arch9wavefront6targetE0EEEvSL_, .Lfunc_end1937-_ZN7rocprim17ROCPRIM_400000_NS6detail17trampoline_kernelINS0_14default_configENS1_36segmented_radix_sort_config_selectorI12hip_bfloat16lEEZNS1_25segmented_radix_sort_implIS3_Lb1EPKS5_PS5_PKlPlN2at6native12_GLOBAL__N_18offset_tEEE10hipError_tPvRmT1_PNSt15iterator_traitsISL_E10value_typeET2_T3_PNSM_ISR_E10value_typeET4_jRbjT5_SX_jjP12ihipStream_tbEUlT_E_NS1_11comp_targetILNS1_3genE5ELNS1_11target_archE942ELNS1_3gpuE9ELNS1_3repE0EEENS1_30default_config_static_selectorELNS0_4arch9wavefront6targetE0EEEvSL_
                                        ; -- End function
	.set _ZN7rocprim17ROCPRIM_400000_NS6detail17trampoline_kernelINS0_14default_configENS1_36segmented_radix_sort_config_selectorI12hip_bfloat16lEEZNS1_25segmented_radix_sort_implIS3_Lb1EPKS5_PS5_PKlPlN2at6native12_GLOBAL__N_18offset_tEEE10hipError_tPvRmT1_PNSt15iterator_traitsISL_E10value_typeET2_T3_PNSM_ISR_E10value_typeET4_jRbjT5_SX_jjP12ihipStream_tbEUlT_E_NS1_11comp_targetILNS1_3genE5ELNS1_11target_archE942ELNS1_3gpuE9ELNS1_3repE0EEENS1_30default_config_static_selectorELNS0_4arch9wavefront6targetE0EEEvSL_.num_vgpr, 0
	.set _ZN7rocprim17ROCPRIM_400000_NS6detail17trampoline_kernelINS0_14default_configENS1_36segmented_radix_sort_config_selectorI12hip_bfloat16lEEZNS1_25segmented_radix_sort_implIS3_Lb1EPKS5_PS5_PKlPlN2at6native12_GLOBAL__N_18offset_tEEE10hipError_tPvRmT1_PNSt15iterator_traitsISL_E10value_typeET2_T3_PNSM_ISR_E10value_typeET4_jRbjT5_SX_jjP12ihipStream_tbEUlT_E_NS1_11comp_targetILNS1_3genE5ELNS1_11target_archE942ELNS1_3gpuE9ELNS1_3repE0EEENS1_30default_config_static_selectorELNS0_4arch9wavefront6targetE0EEEvSL_.num_agpr, 0
	.set _ZN7rocprim17ROCPRIM_400000_NS6detail17trampoline_kernelINS0_14default_configENS1_36segmented_radix_sort_config_selectorI12hip_bfloat16lEEZNS1_25segmented_radix_sort_implIS3_Lb1EPKS5_PS5_PKlPlN2at6native12_GLOBAL__N_18offset_tEEE10hipError_tPvRmT1_PNSt15iterator_traitsISL_E10value_typeET2_T3_PNSM_ISR_E10value_typeET4_jRbjT5_SX_jjP12ihipStream_tbEUlT_E_NS1_11comp_targetILNS1_3genE5ELNS1_11target_archE942ELNS1_3gpuE9ELNS1_3repE0EEENS1_30default_config_static_selectorELNS0_4arch9wavefront6targetE0EEEvSL_.numbered_sgpr, 0
	.set _ZN7rocprim17ROCPRIM_400000_NS6detail17trampoline_kernelINS0_14default_configENS1_36segmented_radix_sort_config_selectorI12hip_bfloat16lEEZNS1_25segmented_radix_sort_implIS3_Lb1EPKS5_PS5_PKlPlN2at6native12_GLOBAL__N_18offset_tEEE10hipError_tPvRmT1_PNSt15iterator_traitsISL_E10value_typeET2_T3_PNSM_ISR_E10value_typeET4_jRbjT5_SX_jjP12ihipStream_tbEUlT_E_NS1_11comp_targetILNS1_3genE5ELNS1_11target_archE942ELNS1_3gpuE9ELNS1_3repE0EEENS1_30default_config_static_selectorELNS0_4arch9wavefront6targetE0EEEvSL_.num_named_barrier, 0
	.set _ZN7rocprim17ROCPRIM_400000_NS6detail17trampoline_kernelINS0_14default_configENS1_36segmented_radix_sort_config_selectorI12hip_bfloat16lEEZNS1_25segmented_radix_sort_implIS3_Lb1EPKS5_PS5_PKlPlN2at6native12_GLOBAL__N_18offset_tEEE10hipError_tPvRmT1_PNSt15iterator_traitsISL_E10value_typeET2_T3_PNSM_ISR_E10value_typeET4_jRbjT5_SX_jjP12ihipStream_tbEUlT_E_NS1_11comp_targetILNS1_3genE5ELNS1_11target_archE942ELNS1_3gpuE9ELNS1_3repE0EEENS1_30default_config_static_selectorELNS0_4arch9wavefront6targetE0EEEvSL_.private_seg_size, 0
	.set _ZN7rocprim17ROCPRIM_400000_NS6detail17trampoline_kernelINS0_14default_configENS1_36segmented_radix_sort_config_selectorI12hip_bfloat16lEEZNS1_25segmented_radix_sort_implIS3_Lb1EPKS5_PS5_PKlPlN2at6native12_GLOBAL__N_18offset_tEEE10hipError_tPvRmT1_PNSt15iterator_traitsISL_E10value_typeET2_T3_PNSM_ISR_E10value_typeET4_jRbjT5_SX_jjP12ihipStream_tbEUlT_E_NS1_11comp_targetILNS1_3genE5ELNS1_11target_archE942ELNS1_3gpuE9ELNS1_3repE0EEENS1_30default_config_static_selectorELNS0_4arch9wavefront6targetE0EEEvSL_.uses_vcc, 0
	.set _ZN7rocprim17ROCPRIM_400000_NS6detail17trampoline_kernelINS0_14default_configENS1_36segmented_radix_sort_config_selectorI12hip_bfloat16lEEZNS1_25segmented_radix_sort_implIS3_Lb1EPKS5_PS5_PKlPlN2at6native12_GLOBAL__N_18offset_tEEE10hipError_tPvRmT1_PNSt15iterator_traitsISL_E10value_typeET2_T3_PNSM_ISR_E10value_typeET4_jRbjT5_SX_jjP12ihipStream_tbEUlT_E_NS1_11comp_targetILNS1_3genE5ELNS1_11target_archE942ELNS1_3gpuE9ELNS1_3repE0EEENS1_30default_config_static_selectorELNS0_4arch9wavefront6targetE0EEEvSL_.uses_flat_scratch, 0
	.set _ZN7rocprim17ROCPRIM_400000_NS6detail17trampoline_kernelINS0_14default_configENS1_36segmented_radix_sort_config_selectorI12hip_bfloat16lEEZNS1_25segmented_radix_sort_implIS3_Lb1EPKS5_PS5_PKlPlN2at6native12_GLOBAL__N_18offset_tEEE10hipError_tPvRmT1_PNSt15iterator_traitsISL_E10value_typeET2_T3_PNSM_ISR_E10value_typeET4_jRbjT5_SX_jjP12ihipStream_tbEUlT_E_NS1_11comp_targetILNS1_3genE5ELNS1_11target_archE942ELNS1_3gpuE9ELNS1_3repE0EEENS1_30default_config_static_selectorELNS0_4arch9wavefront6targetE0EEEvSL_.has_dyn_sized_stack, 0
	.set _ZN7rocprim17ROCPRIM_400000_NS6detail17trampoline_kernelINS0_14default_configENS1_36segmented_radix_sort_config_selectorI12hip_bfloat16lEEZNS1_25segmented_radix_sort_implIS3_Lb1EPKS5_PS5_PKlPlN2at6native12_GLOBAL__N_18offset_tEEE10hipError_tPvRmT1_PNSt15iterator_traitsISL_E10value_typeET2_T3_PNSM_ISR_E10value_typeET4_jRbjT5_SX_jjP12ihipStream_tbEUlT_E_NS1_11comp_targetILNS1_3genE5ELNS1_11target_archE942ELNS1_3gpuE9ELNS1_3repE0EEENS1_30default_config_static_selectorELNS0_4arch9wavefront6targetE0EEEvSL_.has_recursion, 0
	.set _ZN7rocprim17ROCPRIM_400000_NS6detail17trampoline_kernelINS0_14default_configENS1_36segmented_radix_sort_config_selectorI12hip_bfloat16lEEZNS1_25segmented_radix_sort_implIS3_Lb1EPKS5_PS5_PKlPlN2at6native12_GLOBAL__N_18offset_tEEE10hipError_tPvRmT1_PNSt15iterator_traitsISL_E10value_typeET2_T3_PNSM_ISR_E10value_typeET4_jRbjT5_SX_jjP12ihipStream_tbEUlT_E_NS1_11comp_targetILNS1_3genE5ELNS1_11target_archE942ELNS1_3gpuE9ELNS1_3repE0EEENS1_30default_config_static_selectorELNS0_4arch9wavefront6targetE0EEEvSL_.has_indirect_call, 0
	.section	.AMDGPU.csdata,"",@progbits
; Kernel info:
; codeLenInByte = 0
; TotalNumSgprs: 0
; NumVgprs: 0
; ScratchSize: 0
; MemoryBound: 0
; FloatMode: 240
; IeeeMode: 1
; LDSByteSize: 0 bytes/workgroup (compile time only)
; SGPRBlocks: 0
; VGPRBlocks: 0
; NumSGPRsForWavesPerEU: 1
; NumVGPRsForWavesPerEU: 1
; Occupancy: 16
; WaveLimiterHint : 0
; COMPUTE_PGM_RSRC2:SCRATCH_EN: 0
; COMPUTE_PGM_RSRC2:USER_SGPR: 6
; COMPUTE_PGM_RSRC2:TRAP_HANDLER: 0
; COMPUTE_PGM_RSRC2:TGID_X_EN: 1
; COMPUTE_PGM_RSRC2:TGID_Y_EN: 0
; COMPUTE_PGM_RSRC2:TGID_Z_EN: 0
; COMPUTE_PGM_RSRC2:TIDIG_COMP_CNT: 0
	.section	.text._ZN7rocprim17ROCPRIM_400000_NS6detail17trampoline_kernelINS0_14default_configENS1_36segmented_radix_sort_config_selectorI12hip_bfloat16lEEZNS1_25segmented_radix_sort_implIS3_Lb1EPKS5_PS5_PKlPlN2at6native12_GLOBAL__N_18offset_tEEE10hipError_tPvRmT1_PNSt15iterator_traitsISL_E10value_typeET2_T3_PNSM_ISR_E10value_typeET4_jRbjT5_SX_jjP12ihipStream_tbEUlT_E_NS1_11comp_targetILNS1_3genE4ELNS1_11target_archE910ELNS1_3gpuE8ELNS1_3repE0EEENS1_30default_config_static_selectorELNS0_4arch9wavefront6targetE0EEEvSL_,"axG",@progbits,_ZN7rocprim17ROCPRIM_400000_NS6detail17trampoline_kernelINS0_14default_configENS1_36segmented_radix_sort_config_selectorI12hip_bfloat16lEEZNS1_25segmented_radix_sort_implIS3_Lb1EPKS5_PS5_PKlPlN2at6native12_GLOBAL__N_18offset_tEEE10hipError_tPvRmT1_PNSt15iterator_traitsISL_E10value_typeET2_T3_PNSM_ISR_E10value_typeET4_jRbjT5_SX_jjP12ihipStream_tbEUlT_E_NS1_11comp_targetILNS1_3genE4ELNS1_11target_archE910ELNS1_3gpuE8ELNS1_3repE0EEENS1_30default_config_static_selectorELNS0_4arch9wavefront6targetE0EEEvSL_,comdat
	.globl	_ZN7rocprim17ROCPRIM_400000_NS6detail17trampoline_kernelINS0_14default_configENS1_36segmented_radix_sort_config_selectorI12hip_bfloat16lEEZNS1_25segmented_radix_sort_implIS3_Lb1EPKS5_PS5_PKlPlN2at6native12_GLOBAL__N_18offset_tEEE10hipError_tPvRmT1_PNSt15iterator_traitsISL_E10value_typeET2_T3_PNSM_ISR_E10value_typeET4_jRbjT5_SX_jjP12ihipStream_tbEUlT_E_NS1_11comp_targetILNS1_3genE4ELNS1_11target_archE910ELNS1_3gpuE8ELNS1_3repE0EEENS1_30default_config_static_selectorELNS0_4arch9wavefront6targetE0EEEvSL_ ; -- Begin function _ZN7rocprim17ROCPRIM_400000_NS6detail17trampoline_kernelINS0_14default_configENS1_36segmented_radix_sort_config_selectorI12hip_bfloat16lEEZNS1_25segmented_radix_sort_implIS3_Lb1EPKS5_PS5_PKlPlN2at6native12_GLOBAL__N_18offset_tEEE10hipError_tPvRmT1_PNSt15iterator_traitsISL_E10value_typeET2_T3_PNSM_ISR_E10value_typeET4_jRbjT5_SX_jjP12ihipStream_tbEUlT_E_NS1_11comp_targetILNS1_3genE4ELNS1_11target_archE910ELNS1_3gpuE8ELNS1_3repE0EEENS1_30default_config_static_selectorELNS0_4arch9wavefront6targetE0EEEvSL_
	.p2align	8
	.type	_ZN7rocprim17ROCPRIM_400000_NS6detail17trampoline_kernelINS0_14default_configENS1_36segmented_radix_sort_config_selectorI12hip_bfloat16lEEZNS1_25segmented_radix_sort_implIS3_Lb1EPKS5_PS5_PKlPlN2at6native12_GLOBAL__N_18offset_tEEE10hipError_tPvRmT1_PNSt15iterator_traitsISL_E10value_typeET2_T3_PNSM_ISR_E10value_typeET4_jRbjT5_SX_jjP12ihipStream_tbEUlT_E_NS1_11comp_targetILNS1_3genE4ELNS1_11target_archE910ELNS1_3gpuE8ELNS1_3repE0EEENS1_30default_config_static_selectorELNS0_4arch9wavefront6targetE0EEEvSL_,@function
_ZN7rocprim17ROCPRIM_400000_NS6detail17trampoline_kernelINS0_14default_configENS1_36segmented_radix_sort_config_selectorI12hip_bfloat16lEEZNS1_25segmented_radix_sort_implIS3_Lb1EPKS5_PS5_PKlPlN2at6native12_GLOBAL__N_18offset_tEEE10hipError_tPvRmT1_PNSt15iterator_traitsISL_E10value_typeET2_T3_PNSM_ISR_E10value_typeET4_jRbjT5_SX_jjP12ihipStream_tbEUlT_E_NS1_11comp_targetILNS1_3genE4ELNS1_11target_archE910ELNS1_3gpuE8ELNS1_3repE0EEENS1_30default_config_static_selectorELNS0_4arch9wavefront6targetE0EEEvSL_: ; @_ZN7rocprim17ROCPRIM_400000_NS6detail17trampoline_kernelINS0_14default_configENS1_36segmented_radix_sort_config_selectorI12hip_bfloat16lEEZNS1_25segmented_radix_sort_implIS3_Lb1EPKS5_PS5_PKlPlN2at6native12_GLOBAL__N_18offset_tEEE10hipError_tPvRmT1_PNSt15iterator_traitsISL_E10value_typeET2_T3_PNSM_ISR_E10value_typeET4_jRbjT5_SX_jjP12ihipStream_tbEUlT_E_NS1_11comp_targetILNS1_3genE4ELNS1_11target_archE910ELNS1_3gpuE8ELNS1_3repE0EEENS1_30default_config_static_selectorELNS0_4arch9wavefront6targetE0EEEvSL_
; %bb.0:
	.section	.rodata,"a",@progbits
	.p2align	6, 0x0
	.amdhsa_kernel _ZN7rocprim17ROCPRIM_400000_NS6detail17trampoline_kernelINS0_14default_configENS1_36segmented_radix_sort_config_selectorI12hip_bfloat16lEEZNS1_25segmented_radix_sort_implIS3_Lb1EPKS5_PS5_PKlPlN2at6native12_GLOBAL__N_18offset_tEEE10hipError_tPvRmT1_PNSt15iterator_traitsISL_E10value_typeET2_T3_PNSM_ISR_E10value_typeET4_jRbjT5_SX_jjP12ihipStream_tbEUlT_E_NS1_11comp_targetILNS1_3genE4ELNS1_11target_archE910ELNS1_3gpuE8ELNS1_3repE0EEENS1_30default_config_static_selectorELNS0_4arch9wavefront6targetE0EEEvSL_
		.amdhsa_group_segment_fixed_size 0
		.amdhsa_private_segment_fixed_size 0
		.amdhsa_kernarg_size 96
		.amdhsa_user_sgpr_count 6
		.amdhsa_user_sgpr_private_segment_buffer 1
		.amdhsa_user_sgpr_dispatch_ptr 0
		.amdhsa_user_sgpr_queue_ptr 0
		.amdhsa_user_sgpr_kernarg_segment_ptr 1
		.amdhsa_user_sgpr_dispatch_id 0
		.amdhsa_user_sgpr_flat_scratch_init 0
		.amdhsa_user_sgpr_private_segment_size 0
		.amdhsa_wavefront_size32 1
		.amdhsa_uses_dynamic_stack 0
		.amdhsa_system_sgpr_private_segment_wavefront_offset 0
		.amdhsa_system_sgpr_workgroup_id_x 1
		.amdhsa_system_sgpr_workgroup_id_y 0
		.amdhsa_system_sgpr_workgroup_id_z 0
		.amdhsa_system_sgpr_workgroup_info 0
		.amdhsa_system_vgpr_workitem_id 0
		.amdhsa_next_free_vgpr 1
		.amdhsa_next_free_sgpr 1
		.amdhsa_reserve_vcc 0
		.amdhsa_reserve_flat_scratch 0
		.amdhsa_float_round_mode_32 0
		.amdhsa_float_round_mode_16_64 0
		.amdhsa_float_denorm_mode_32 3
		.amdhsa_float_denorm_mode_16_64 3
		.amdhsa_dx10_clamp 1
		.amdhsa_ieee_mode 1
		.amdhsa_fp16_overflow 0
		.amdhsa_workgroup_processor_mode 1
		.amdhsa_memory_ordered 1
		.amdhsa_forward_progress 1
		.amdhsa_shared_vgpr_count 0
		.amdhsa_exception_fp_ieee_invalid_op 0
		.amdhsa_exception_fp_denorm_src 0
		.amdhsa_exception_fp_ieee_div_zero 0
		.amdhsa_exception_fp_ieee_overflow 0
		.amdhsa_exception_fp_ieee_underflow 0
		.amdhsa_exception_fp_ieee_inexact 0
		.amdhsa_exception_int_div_zero 0
	.end_amdhsa_kernel
	.section	.text._ZN7rocprim17ROCPRIM_400000_NS6detail17trampoline_kernelINS0_14default_configENS1_36segmented_radix_sort_config_selectorI12hip_bfloat16lEEZNS1_25segmented_radix_sort_implIS3_Lb1EPKS5_PS5_PKlPlN2at6native12_GLOBAL__N_18offset_tEEE10hipError_tPvRmT1_PNSt15iterator_traitsISL_E10value_typeET2_T3_PNSM_ISR_E10value_typeET4_jRbjT5_SX_jjP12ihipStream_tbEUlT_E_NS1_11comp_targetILNS1_3genE4ELNS1_11target_archE910ELNS1_3gpuE8ELNS1_3repE0EEENS1_30default_config_static_selectorELNS0_4arch9wavefront6targetE0EEEvSL_,"axG",@progbits,_ZN7rocprim17ROCPRIM_400000_NS6detail17trampoline_kernelINS0_14default_configENS1_36segmented_radix_sort_config_selectorI12hip_bfloat16lEEZNS1_25segmented_radix_sort_implIS3_Lb1EPKS5_PS5_PKlPlN2at6native12_GLOBAL__N_18offset_tEEE10hipError_tPvRmT1_PNSt15iterator_traitsISL_E10value_typeET2_T3_PNSM_ISR_E10value_typeET4_jRbjT5_SX_jjP12ihipStream_tbEUlT_E_NS1_11comp_targetILNS1_3genE4ELNS1_11target_archE910ELNS1_3gpuE8ELNS1_3repE0EEENS1_30default_config_static_selectorELNS0_4arch9wavefront6targetE0EEEvSL_,comdat
.Lfunc_end1938:
	.size	_ZN7rocprim17ROCPRIM_400000_NS6detail17trampoline_kernelINS0_14default_configENS1_36segmented_radix_sort_config_selectorI12hip_bfloat16lEEZNS1_25segmented_radix_sort_implIS3_Lb1EPKS5_PS5_PKlPlN2at6native12_GLOBAL__N_18offset_tEEE10hipError_tPvRmT1_PNSt15iterator_traitsISL_E10value_typeET2_T3_PNSM_ISR_E10value_typeET4_jRbjT5_SX_jjP12ihipStream_tbEUlT_E_NS1_11comp_targetILNS1_3genE4ELNS1_11target_archE910ELNS1_3gpuE8ELNS1_3repE0EEENS1_30default_config_static_selectorELNS0_4arch9wavefront6targetE0EEEvSL_, .Lfunc_end1938-_ZN7rocprim17ROCPRIM_400000_NS6detail17trampoline_kernelINS0_14default_configENS1_36segmented_radix_sort_config_selectorI12hip_bfloat16lEEZNS1_25segmented_radix_sort_implIS3_Lb1EPKS5_PS5_PKlPlN2at6native12_GLOBAL__N_18offset_tEEE10hipError_tPvRmT1_PNSt15iterator_traitsISL_E10value_typeET2_T3_PNSM_ISR_E10value_typeET4_jRbjT5_SX_jjP12ihipStream_tbEUlT_E_NS1_11comp_targetILNS1_3genE4ELNS1_11target_archE910ELNS1_3gpuE8ELNS1_3repE0EEENS1_30default_config_static_selectorELNS0_4arch9wavefront6targetE0EEEvSL_
                                        ; -- End function
	.set _ZN7rocprim17ROCPRIM_400000_NS6detail17trampoline_kernelINS0_14default_configENS1_36segmented_radix_sort_config_selectorI12hip_bfloat16lEEZNS1_25segmented_radix_sort_implIS3_Lb1EPKS5_PS5_PKlPlN2at6native12_GLOBAL__N_18offset_tEEE10hipError_tPvRmT1_PNSt15iterator_traitsISL_E10value_typeET2_T3_PNSM_ISR_E10value_typeET4_jRbjT5_SX_jjP12ihipStream_tbEUlT_E_NS1_11comp_targetILNS1_3genE4ELNS1_11target_archE910ELNS1_3gpuE8ELNS1_3repE0EEENS1_30default_config_static_selectorELNS0_4arch9wavefront6targetE0EEEvSL_.num_vgpr, 0
	.set _ZN7rocprim17ROCPRIM_400000_NS6detail17trampoline_kernelINS0_14default_configENS1_36segmented_radix_sort_config_selectorI12hip_bfloat16lEEZNS1_25segmented_radix_sort_implIS3_Lb1EPKS5_PS5_PKlPlN2at6native12_GLOBAL__N_18offset_tEEE10hipError_tPvRmT1_PNSt15iterator_traitsISL_E10value_typeET2_T3_PNSM_ISR_E10value_typeET4_jRbjT5_SX_jjP12ihipStream_tbEUlT_E_NS1_11comp_targetILNS1_3genE4ELNS1_11target_archE910ELNS1_3gpuE8ELNS1_3repE0EEENS1_30default_config_static_selectorELNS0_4arch9wavefront6targetE0EEEvSL_.num_agpr, 0
	.set _ZN7rocprim17ROCPRIM_400000_NS6detail17trampoline_kernelINS0_14default_configENS1_36segmented_radix_sort_config_selectorI12hip_bfloat16lEEZNS1_25segmented_radix_sort_implIS3_Lb1EPKS5_PS5_PKlPlN2at6native12_GLOBAL__N_18offset_tEEE10hipError_tPvRmT1_PNSt15iterator_traitsISL_E10value_typeET2_T3_PNSM_ISR_E10value_typeET4_jRbjT5_SX_jjP12ihipStream_tbEUlT_E_NS1_11comp_targetILNS1_3genE4ELNS1_11target_archE910ELNS1_3gpuE8ELNS1_3repE0EEENS1_30default_config_static_selectorELNS0_4arch9wavefront6targetE0EEEvSL_.numbered_sgpr, 0
	.set _ZN7rocprim17ROCPRIM_400000_NS6detail17trampoline_kernelINS0_14default_configENS1_36segmented_radix_sort_config_selectorI12hip_bfloat16lEEZNS1_25segmented_radix_sort_implIS3_Lb1EPKS5_PS5_PKlPlN2at6native12_GLOBAL__N_18offset_tEEE10hipError_tPvRmT1_PNSt15iterator_traitsISL_E10value_typeET2_T3_PNSM_ISR_E10value_typeET4_jRbjT5_SX_jjP12ihipStream_tbEUlT_E_NS1_11comp_targetILNS1_3genE4ELNS1_11target_archE910ELNS1_3gpuE8ELNS1_3repE0EEENS1_30default_config_static_selectorELNS0_4arch9wavefront6targetE0EEEvSL_.num_named_barrier, 0
	.set _ZN7rocprim17ROCPRIM_400000_NS6detail17trampoline_kernelINS0_14default_configENS1_36segmented_radix_sort_config_selectorI12hip_bfloat16lEEZNS1_25segmented_radix_sort_implIS3_Lb1EPKS5_PS5_PKlPlN2at6native12_GLOBAL__N_18offset_tEEE10hipError_tPvRmT1_PNSt15iterator_traitsISL_E10value_typeET2_T3_PNSM_ISR_E10value_typeET4_jRbjT5_SX_jjP12ihipStream_tbEUlT_E_NS1_11comp_targetILNS1_3genE4ELNS1_11target_archE910ELNS1_3gpuE8ELNS1_3repE0EEENS1_30default_config_static_selectorELNS0_4arch9wavefront6targetE0EEEvSL_.private_seg_size, 0
	.set _ZN7rocprim17ROCPRIM_400000_NS6detail17trampoline_kernelINS0_14default_configENS1_36segmented_radix_sort_config_selectorI12hip_bfloat16lEEZNS1_25segmented_radix_sort_implIS3_Lb1EPKS5_PS5_PKlPlN2at6native12_GLOBAL__N_18offset_tEEE10hipError_tPvRmT1_PNSt15iterator_traitsISL_E10value_typeET2_T3_PNSM_ISR_E10value_typeET4_jRbjT5_SX_jjP12ihipStream_tbEUlT_E_NS1_11comp_targetILNS1_3genE4ELNS1_11target_archE910ELNS1_3gpuE8ELNS1_3repE0EEENS1_30default_config_static_selectorELNS0_4arch9wavefront6targetE0EEEvSL_.uses_vcc, 0
	.set _ZN7rocprim17ROCPRIM_400000_NS6detail17trampoline_kernelINS0_14default_configENS1_36segmented_radix_sort_config_selectorI12hip_bfloat16lEEZNS1_25segmented_radix_sort_implIS3_Lb1EPKS5_PS5_PKlPlN2at6native12_GLOBAL__N_18offset_tEEE10hipError_tPvRmT1_PNSt15iterator_traitsISL_E10value_typeET2_T3_PNSM_ISR_E10value_typeET4_jRbjT5_SX_jjP12ihipStream_tbEUlT_E_NS1_11comp_targetILNS1_3genE4ELNS1_11target_archE910ELNS1_3gpuE8ELNS1_3repE0EEENS1_30default_config_static_selectorELNS0_4arch9wavefront6targetE0EEEvSL_.uses_flat_scratch, 0
	.set _ZN7rocprim17ROCPRIM_400000_NS6detail17trampoline_kernelINS0_14default_configENS1_36segmented_radix_sort_config_selectorI12hip_bfloat16lEEZNS1_25segmented_radix_sort_implIS3_Lb1EPKS5_PS5_PKlPlN2at6native12_GLOBAL__N_18offset_tEEE10hipError_tPvRmT1_PNSt15iterator_traitsISL_E10value_typeET2_T3_PNSM_ISR_E10value_typeET4_jRbjT5_SX_jjP12ihipStream_tbEUlT_E_NS1_11comp_targetILNS1_3genE4ELNS1_11target_archE910ELNS1_3gpuE8ELNS1_3repE0EEENS1_30default_config_static_selectorELNS0_4arch9wavefront6targetE0EEEvSL_.has_dyn_sized_stack, 0
	.set _ZN7rocprim17ROCPRIM_400000_NS6detail17trampoline_kernelINS0_14default_configENS1_36segmented_radix_sort_config_selectorI12hip_bfloat16lEEZNS1_25segmented_radix_sort_implIS3_Lb1EPKS5_PS5_PKlPlN2at6native12_GLOBAL__N_18offset_tEEE10hipError_tPvRmT1_PNSt15iterator_traitsISL_E10value_typeET2_T3_PNSM_ISR_E10value_typeET4_jRbjT5_SX_jjP12ihipStream_tbEUlT_E_NS1_11comp_targetILNS1_3genE4ELNS1_11target_archE910ELNS1_3gpuE8ELNS1_3repE0EEENS1_30default_config_static_selectorELNS0_4arch9wavefront6targetE0EEEvSL_.has_recursion, 0
	.set _ZN7rocprim17ROCPRIM_400000_NS6detail17trampoline_kernelINS0_14default_configENS1_36segmented_radix_sort_config_selectorI12hip_bfloat16lEEZNS1_25segmented_radix_sort_implIS3_Lb1EPKS5_PS5_PKlPlN2at6native12_GLOBAL__N_18offset_tEEE10hipError_tPvRmT1_PNSt15iterator_traitsISL_E10value_typeET2_T3_PNSM_ISR_E10value_typeET4_jRbjT5_SX_jjP12ihipStream_tbEUlT_E_NS1_11comp_targetILNS1_3genE4ELNS1_11target_archE910ELNS1_3gpuE8ELNS1_3repE0EEENS1_30default_config_static_selectorELNS0_4arch9wavefront6targetE0EEEvSL_.has_indirect_call, 0
	.section	.AMDGPU.csdata,"",@progbits
; Kernel info:
; codeLenInByte = 0
; TotalNumSgprs: 0
; NumVgprs: 0
; ScratchSize: 0
; MemoryBound: 0
; FloatMode: 240
; IeeeMode: 1
; LDSByteSize: 0 bytes/workgroup (compile time only)
; SGPRBlocks: 0
; VGPRBlocks: 0
; NumSGPRsForWavesPerEU: 1
; NumVGPRsForWavesPerEU: 1
; Occupancy: 16
; WaveLimiterHint : 0
; COMPUTE_PGM_RSRC2:SCRATCH_EN: 0
; COMPUTE_PGM_RSRC2:USER_SGPR: 6
; COMPUTE_PGM_RSRC2:TRAP_HANDLER: 0
; COMPUTE_PGM_RSRC2:TGID_X_EN: 1
; COMPUTE_PGM_RSRC2:TGID_Y_EN: 0
; COMPUTE_PGM_RSRC2:TGID_Z_EN: 0
; COMPUTE_PGM_RSRC2:TIDIG_COMP_CNT: 0
	.section	.text._ZN7rocprim17ROCPRIM_400000_NS6detail17trampoline_kernelINS0_14default_configENS1_36segmented_radix_sort_config_selectorI12hip_bfloat16lEEZNS1_25segmented_radix_sort_implIS3_Lb1EPKS5_PS5_PKlPlN2at6native12_GLOBAL__N_18offset_tEEE10hipError_tPvRmT1_PNSt15iterator_traitsISL_E10value_typeET2_T3_PNSM_ISR_E10value_typeET4_jRbjT5_SX_jjP12ihipStream_tbEUlT_E_NS1_11comp_targetILNS1_3genE3ELNS1_11target_archE908ELNS1_3gpuE7ELNS1_3repE0EEENS1_30default_config_static_selectorELNS0_4arch9wavefront6targetE0EEEvSL_,"axG",@progbits,_ZN7rocprim17ROCPRIM_400000_NS6detail17trampoline_kernelINS0_14default_configENS1_36segmented_radix_sort_config_selectorI12hip_bfloat16lEEZNS1_25segmented_radix_sort_implIS3_Lb1EPKS5_PS5_PKlPlN2at6native12_GLOBAL__N_18offset_tEEE10hipError_tPvRmT1_PNSt15iterator_traitsISL_E10value_typeET2_T3_PNSM_ISR_E10value_typeET4_jRbjT5_SX_jjP12ihipStream_tbEUlT_E_NS1_11comp_targetILNS1_3genE3ELNS1_11target_archE908ELNS1_3gpuE7ELNS1_3repE0EEENS1_30default_config_static_selectorELNS0_4arch9wavefront6targetE0EEEvSL_,comdat
	.globl	_ZN7rocprim17ROCPRIM_400000_NS6detail17trampoline_kernelINS0_14default_configENS1_36segmented_radix_sort_config_selectorI12hip_bfloat16lEEZNS1_25segmented_radix_sort_implIS3_Lb1EPKS5_PS5_PKlPlN2at6native12_GLOBAL__N_18offset_tEEE10hipError_tPvRmT1_PNSt15iterator_traitsISL_E10value_typeET2_T3_PNSM_ISR_E10value_typeET4_jRbjT5_SX_jjP12ihipStream_tbEUlT_E_NS1_11comp_targetILNS1_3genE3ELNS1_11target_archE908ELNS1_3gpuE7ELNS1_3repE0EEENS1_30default_config_static_selectorELNS0_4arch9wavefront6targetE0EEEvSL_ ; -- Begin function _ZN7rocprim17ROCPRIM_400000_NS6detail17trampoline_kernelINS0_14default_configENS1_36segmented_radix_sort_config_selectorI12hip_bfloat16lEEZNS1_25segmented_radix_sort_implIS3_Lb1EPKS5_PS5_PKlPlN2at6native12_GLOBAL__N_18offset_tEEE10hipError_tPvRmT1_PNSt15iterator_traitsISL_E10value_typeET2_T3_PNSM_ISR_E10value_typeET4_jRbjT5_SX_jjP12ihipStream_tbEUlT_E_NS1_11comp_targetILNS1_3genE3ELNS1_11target_archE908ELNS1_3gpuE7ELNS1_3repE0EEENS1_30default_config_static_selectorELNS0_4arch9wavefront6targetE0EEEvSL_
	.p2align	8
	.type	_ZN7rocprim17ROCPRIM_400000_NS6detail17trampoline_kernelINS0_14default_configENS1_36segmented_radix_sort_config_selectorI12hip_bfloat16lEEZNS1_25segmented_radix_sort_implIS3_Lb1EPKS5_PS5_PKlPlN2at6native12_GLOBAL__N_18offset_tEEE10hipError_tPvRmT1_PNSt15iterator_traitsISL_E10value_typeET2_T3_PNSM_ISR_E10value_typeET4_jRbjT5_SX_jjP12ihipStream_tbEUlT_E_NS1_11comp_targetILNS1_3genE3ELNS1_11target_archE908ELNS1_3gpuE7ELNS1_3repE0EEENS1_30default_config_static_selectorELNS0_4arch9wavefront6targetE0EEEvSL_,@function
_ZN7rocprim17ROCPRIM_400000_NS6detail17trampoline_kernelINS0_14default_configENS1_36segmented_radix_sort_config_selectorI12hip_bfloat16lEEZNS1_25segmented_radix_sort_implIS3_Lb1EPKS5_PS5_PKlPlN2at6native12_GLOBAL__N_18offset_tEEE10hipError_tPvRmT1_PNSt15iterator_traitsISL_E10value_typeET2_T3_PNSM_ISR_E10value_typeET4_jRbjT5_SX_jjP12ihipStream_tbEUlT_E_NS1_11comp_targetILNS1_3genE3ELNS1_11target_archE908ELNS1_3gpuE7ELNS1_3repE0EEENS1_30default_config_static_selectorELNS0_4arch9wavefront6targetE0EEEvSL_: ; @_ZN7rocprim17ROCPRIM_400000_NS6detail17trampoline_kernelINS0_14default_configENS1_36segmented_radix_sort_config_selectorI12hip_bfloat16lEEZNS1_25segmented_radix_sort_implIS3_Lb1EPKS5_PS5_PKlPlN2at6native12_GLOBAL__N_18offset_tEEE10hipError_tPvRmT1_PNSt15iterator_traitsISL_E10value_typeET2_T3_PNSM_ISR_E10value_typeET4_jRbjT5_SX_jjP12ihipStream_tbEUlT_E_NS1_11comp_targetILNS1_3genE3ELNS1_11target_archE908ELNS1_3gpuE7ELNS1_3repE0EEENS1_30default_config_static_selectorELNS0_4arch9wavefront6targetE0EEEvSL_
; %bb.0:
	.section	.rodata,"a",@progbits
	.p2align	6, 0x0
	.amdhsa_kernel _ZN7rocprim17ROCPRIM_400000_NS6detail17trampoline_kernelINS0_14default_configENS1_36segmented_radix_sort_config_selectorI12hip_bfloat16lEEZNS1_25segmented_radix_sort_implIS3_Lb1EPKS5_PS5_PKlPlN2at6native12_GLOBAL__N_18offset_tEEE10hipError_tPvRmT1_PNSt15iterator_traitsISL_E10value_typeET2_T3_PNSM_ISR_E10value_typeET4_jRbjT5_SX_jjP12ihipStream_tbEUlT_E_NS1_11comp_targetILNS1_3genE3ELNS1_11target_archE908ELNS1_3gpuE7ELNS1_3repE0EEENS1_30default_config_static_selectorELNS0_4arch9wavefront6targetE0EEEvSL_
		.amdhsa_group_segment_fixed_size 0
		.amdhsa_private_segment_fixed_size 0
		.amdhsa_kernarg_size 96
		.amdhsa_user_sgpr_count 6
		.amdhsa_user_sgpr_private_segment_buffer 1
		.amdhsa_user_sgpr_dispatch_ptr 0
		.amdhsa_user_sgpr_queue_ptr 0
		.amdhsa_user_sgpr_kernarg_segment_ptr 1
		.amdhsa_user_sgpr_dispatch_id 0
		.amdhsa_user_sgpr_flat_scratch_init 0
		.amdhsa_user_sgpr_private_segment_size 0
		.amdhsa_wavefront_size32 1
		.amdhsa_uses_dynamic_stack 0
		.amdhsa_system_sgpr_private_segment_wavefront_offset 0
		.amdhsa_system_sgpr_workgroup_id_x 1
		.amdhsa_system_sgpr_workgroup_id_y 0
		.amdhsa_system_sgpr_workgroup_id_z 0
		.amdhsa_system_sgpr_workgroup_info 0
		.amdhsa_system_vgpr_workitem_id 0
		.amdhsa_next_free_vgpr 1
		.amdhsa_next_free_sgpr 1
		.amdhsa_reserve_vcc 0
		.amdhsa_reserve_flat_scratch 0
		.amdhsa_float_round_mode_32 0
		.amdhsa_float_round_mode_16_64 0
		.amdhsa_float_denorm_mode_32 3
		.amdhsa_float_denorm_mode_16_64 3
		.amdhsa_dx10_clamp 1
		.amdhsa_ieee_mode 1
		.amdhsa_fp16_overflow 0
		.amdhsa_workgroup_processor_mode 1
		.amdhsa_memory_ordered 1
		.amdhsa_forward_progress 1
		.amdhsa_shared_vgpr_count 0
		.amdhsa_exception_fp_ieee_invalid_op 0
		.amdhsa_exception_fp_denorm_src 0
		.amdhsa_exception_fp_ieee_div_zero 0
		.amdhsa_exception_fp_ieee_overflow 0
		.amdhsa_exception_fp_ieee_underflow 0
		.amdhsa_exception_fp_ieee_inexact 0
		.amdhsa_exception_int_div_zero 0
	.end_amdhsa_kernel
	.section	.text._ZN7rocprim17ROCPRIM_400000_NS6detail17trampoline_kernelINS0_14default_configENS1_36segmented_radix_sort_config_selectorI12hip_bfloat16lEEZNS1_25segmented_radix_sort_implIS3_Lb1EPKS5_PS5_PKlPlN2at6native12_GLOBAL__N_18offset_tEEE10hipError_tPvRmT1_PNSt15iterator_traitsISL_E10value_typeET2_T3_PNSM_ISR_E10value_typeET4_jRbjT5_SX_jjP12ihipStream_tbEUlT_E_NS1_11comp_targetILNS1_3genE3ELNS1_11target_archE908ELNS1_3gpuE7ELNS1_3repE0EEENS1_30default_config_static_selectorELNS0_4arch9wavefront6targetE0EEEvSL_,"axG",@progbits,_ZN7rocprim17ROCPRIM_400000_NS6detail17trampoline_kernelINS0_14default_configENS1_36segmented_radix_sort_config_selectorI12hip_bfloat16lEEZNS1_25segmented_radix_sort_implIS3_Lb1EPKS5_PS5_PKlPlN2at6native12_GLOBAL__N_18offset_tEEE10hipError_tPvRmT1_PNSt15iterator_traitsISL_E10value_typeET2_T3_PNSM_ISR_E10value_typeET4_jRbjT5_SX_jjP12ihipStream_tbEUlT_E_NS1_11comp_targetILNS1_3genE3ELNS1_11target_archE908ELNS1_3gpuE7ELNS1_3repE0EEENS1_30default_config_static_selectorELNS0_4arch9wavefront6targetE0EEEvSL_,comdat
.Lfunc_end1939:
	.size	_ZN7rocprim17ROCPRIM_400000_NS6detail17trampoline_kernelINS0_14default_configENS1_36segmented_radix_sort_config_selectorI12hip_bfloat16lEEZNS1_25segmented_radix_sort_implIS3_Lb1EPKS5_PS5_PKlPlN2at6native12_GLOBAL__N_18offset_tEEE10hipError_tPvRmT1_PNSt15iterator_traitsISL_E10value_typeET2_T3_PNSM_ISR_E10value_typeET4_jRbjT5_SX_jjP12ihipStream_tbEUlT_E_NS1_11comp_targetILNS1_3genE3ELNS1_11target_archE908ELNS1_3gpuE7ELNS1_3repE0EEENS1_30default_config_static_selectorELNS0_4arch9wavefront6targetE0EEEvSL_, .Lfunc_end1939-_ZN7rocprim17ROCPRIM_400000_NS6detail17trampoline_kernelINS0_14default_configENS1_36segmented_radix_sort_config_selectorI12hip_bfloat16lEEZNS1_25segmented_radix_sort_implIS3_Lb1EPKS5_PS5_PKlPlN2at6native12_GLOBAL__N_18offset_tEEE10hipError_tPvRmT1_PNSt15iterator_traitsISL_E10value_typeET2_T3_PNSM_ISR_E10value_typeET4_jRbjT5_SX_jjP12ihipStream_tbEUlT_E_NS1_11comp_targetILNS1_3genE3ELNS1_11target_archE908ELNS1_3gpuE7ELNS1_3repE0EEENS1_30default_config_static_selectorELNS0_4arch9wavefront6targetE0EEEvSL_
                                        ; -- End function
	.set _ZN7rocprim17ROCPRIM_400000_NS6detail17trampoline_kernelINS0_14default_configENS1_36segmented_radix_sort_config_selectorI12hip_bfloat16lEEZNS1_25segmented_radix_sort_implIS3_Lb1EPKS5_PS5_PKlPlN2at6native12_GLOBAL__N_18offset_tEEE10hipError_tPvRmT1_PNSt15iterator_traitsISL_E10value_typeET2_T3_PNSM_ISR_E10value_typeET4_jRbjT5_SX_jjP12ihipStream_tbEUlT_E_NS1_11comp_targetILNS1_3genE3ELNS1_11target_archE908ELNS1_3gpuE7ELNS1_3repE0EEENS1_30default_config_static_selectorELNS0_4arch9wavefront6targetE0EEEvSL_.num_vgpr, 0
	.set _ZN7rocprim17ROCPRIM_400000_NS6detail17trampoline_kernelINS0_14default_configENS1_36segmented_radix_sort_config_selectorI12hip_bfloat16lEEZNS1_25segmented_radix_sort_implIS3_Lb1EPKS5_PS5_PKlPlN2at6native12_GLOBAL__N_18offset_tEEE10hipError_tPvRmT1_PNSt15iterator_traitsISL_E10value_typeET2_T3_PNSM_ISR_E10value_typeET4_jRbjT5_SX_jjP12ihipStream_tbEUlT_E_NS1_11comp_targetILNS1_3genE3ELNS1_11target_archE908ELNS1_3gpuE7ELNS1_3repE0EEENS1_30default_config_static_selectorELNS0_4arch9wavefront6targetE0EEEvSL_.num_agpr, 0
	.set _ZN7rocprim17ROCPRIM_400000_NS6detail17trampoline_kernelINS0_14default_configENS1_36segmented_radix_sort_config_selectorI12hip_bfloat16lEEZNS1_25segmented_radix_sort_implIS3_Lb1EPKS5_PS5_PKlPlN2at6native12_GLOBAL__N_18offset_tEEE10hipError_tPvRmT1_PNSt15iterator_traitsISL_E10value_typeET2_T3_PNSM_ISR_E10value_typeET4_jRbjT5_SX_jjP12ihipStream_tbEUlT_E_NS1_11comp_targetILNS1_3genE3ELNS1_11target_archE908ELNS1_3gpuE7ELNS1_3repE0EEENS1_30default_config_static_selectorELNS0_4arch9wavefront6targetE0EEEvSL_.numbered_sgpr, 0
	.set _ZN7rocprim17ROCPRIM_400000_NS6detail17trampoline_kernelINS0_14default_configENS1_36segmented_radix_sort_config_selectorI12hip_bfloat16lEEZNS1_25segmented_radix_sort_implIS3_Lb1EPKS5_PS5_PKlPlN2at6native12_GLOBAL__N_18offset_tEEE10hipError_tPvRmT1_PNSt15iterator_traitsISL_E10value_typeET2_T3_PNSM_ISR_E10value_typeET4_jRbjT5_SX_jjP12ihipStream_tbEUlT_E_NS1_11comp_targetILNS1_3genE3ELNS1_11target_archE908ELNS1_3gpuE7ELNS1_3repE0EEENS1_30default_config_static_selectorELNS0_4arch9wavefront6targetE0EEEvSL_.num_named_barrier, 0
	.set _ZN7rocprim17ROCPRIM_400000_NS6detail17trampoline_kernelINS0_14default_configENS1_36segmented_radix_sort_config_selectorI12hip_bfloat16lEEZNS1_25segmented_radix_sort_implIS3_Lb1EPKS5_PS5_PKlPlN2at6native12_GLOBAL__N_18offset_tEEE10hipError_tPvRmT1_PNSt15iterator_traitsISL_E10value_typeET2_T3_PNSM_ISR_E10value_typeET4_jRbjT5_SX_jjP12ihipStream_tbEUlT_E_NS1_11comp_targetILNS1_3genE3ELNS1_11target_archE908ELNS1_3gpuE7ELNS1_3repE0EEENS1_30default_config_static_selectorELNS0_4arch9wavefront6targetE0EEEvSL_.private_seg_size, 0
	.set _ZN7rocprim17ROCPRIM_400000_NS6detail17trampoline_kernelINS0_14default_configENS1_36segmented_radix_sort_config_selectorI12hip_bfloat16lEEZNS1_25segmented_radix_sort_implIS3_Lb1EPKS5_PS5_PKlPlN2at6native12_GLOBAL__N_18offset_tEEE10hipError_tPvRmT1_PNSt15iterator_traitsISL_E10value_typeET2_T3_PNSM_ISR_E10value_typeET4_jRbjT5_SX_jjP12ihipStream_tbEUlT_E_NS1_11comp_targetILNS1_3genE3ELNS1_11target_archE908ELNS1_3gpuE7ELNS1_3repE0EEENS1_30default_config_static_selectorELNS0_4arch9wavefront6targetE0EEEvSL_.uses_vcc, 0
	.set _ZN7rocprim17ROCPRIM_400000_NS6detail17trampoline_kernelINS0_14default_configENS1_36segmented_radix_sort_config_selectorI12hip_bfloat16lEEZNS1_25segmented_radix_sort_implIS3_Lb1EPKS5_PS5_PKlPlN2at6native12_GLOBAL__N_18offset_tEEE10hipError_tPvRmT1_PNSt15iterator_traitsISL_E10value_typeET2_T3_PNSM_ISR_E10value_typeET4_jRbjT5_SX_jjP12ihipStream_tbEUlT_E_NS1_11comp_targetILNS1_3genE3ELNS1_11target_archE908ELNS1_3gpuE7ELNS1_3repE0EEENS1_30default_config_static_selectorELNS0_4arch9wavefront6targetE0EEEvSL_.uses_flat_scratch, 0
	.set _ZN7rocprim17ROCPRIM_400000_NS6detail17trampoline_kernelINS0_14default_configENS1_36segmented_radix_sort_config_selectorI12hip_bfloat16lEEZNS1_25segmented_radix_sort_implIS3_Lb1EPKS5_PS5_PKlPlN2at6native12_GLOBAL__N_18offset_tEEE10hipError_tPvRmT1_PNSt15iterator_traitsISL_E10value_typeET2_T3_PNSM_ISR_E10value_typeET4_jRbjT5_SX_jjP12ihipStream_tbEUlT_E_NS1_11comp_targetILNS1_3genE3ELNS1_11target_archE908ELNS1_3gpuE7ELNS1_3repE0EEENS1_30default_config_static_selectorELNS0_4arch9wavefront6targetE0EEEvSL_.has_dyn_sized_stack, 0
	.set _ZN7rocprim17ROCPRIM_400000_NS6detail17trampoline_kernelINS0_14default_configENS1_36segmented_radix_sort_config_selectorI12hip_bfloat16lEEZNS1_25segmented_radix_sort_implIS3_Lb1EPKS5_PS5_PKlPlN2at6native12_GLOBAL__N_18offset_tEEE10hipError_tPvRmT1_PNSt15iterator_traitsISL_E10value_typeET2_T3_PNSM_ISR_E10value_typeET4_jRbjT5_SX_jjP12ihipStream_tbEUlT_E_NS1_11comp_targetILNS1_3genE3ELNS1_11target_archE908ELNS1_3gpuE7ELNS1_3repE0EEENS1_30default_config_static_selectorELNS0_4arch9wavefront6targetE0EEEvSL_.has_recursion, 0
	.set _ZN7rocprim17ROCPRIM_400000_NS6detail17trampoline_kernelINS0_14default_configENS1_36segmented_radix_sort_config_selectorI12hip_bfloat16lEEZNS1_25segmented_radix_sort_implIS3_Lb1EPKS5_PS5_PKlPlN2at6native12_GLOBAL__N_18offset_tEEE10hipError_tPvRmT1_PNSt15iterator_traitsISL_E10value_typeET2_T3_PNSM_ISR_E10value_typeET4_jRbjT5_SX_jjP12ihipStream_tbEUlT_E_NS1_11comp_targetILNS1_3genE3ELNS1_11target_archE908ELNS1_3gpuE7ELNS1_3repE0EEENS1_30default_config_static_selectorELNS0_4arch9wavefront6targetE0EEEvSL_.has_indirect_call, 0
	.section	.AMDGPU.csdata,"",@progbits
; Kernel info:
; codeLenInByte = 0
; TotalNumSgprs: 0
; NumVgprs: 0
; ScratchSize: 0
; MemoryBound: 0
; FloatMode: 240
; IeeeMode: 1
; LDSByteSize: 0 bytes/workgroup (compile time only)
; SGPRBlocks: 0
; VGPRBlocks: 0
; NumSGPRsForWavesPerEU: 1
; NumVGPRsForWavesPerEU: 1
; Occupancy: 16
; WaveLimiterHint : 0
; COMPUTE_PGM_RSRC2:SCRATCH_EN: 0
; COMPUTE_PGM_RSRC2:USER_SGPR: 6
; COMPUTE_PGM_RSRC2:TRAP_HANDLER: 0
; COMPUTE_PGM_RSRC2:TGID_X_EN: 1
; COMPUTE_PGM_RSRC2:TGID_Y_EN: 0
; COMPUTE_PGM_RSRC2:TGID_Z_EN: 0
; COMPUTE_PGM_RSRC2:TIDIG_COMP_CNT: 0
	.section	.text._ZN7rocprim17ROCPRIM_400000_NS6detail17trampoline_kernelINS0_14default_configENS1_36segmented_radix_sort_config_selectorI12hip_bfloat16lEEZNS1_25segmented_radix_sort_implIS3_Lb1EPKS5_PS5_PKlPlN2at6native12_GLOBAL__N_18offset_tEEE10hipError_tPvRmT1_PNSt15iterator_traitsISL_E10value_typeET2_T3_PNSM_ISR_E10value_typeET4_jRbjT5_SX_jjP12ihipStream_tbEUlT_E_NS1_11comp_targetILNS1_3genE2ELNS1_11target_archE906ELNS1_3gpuE6ELNS1_3repE0EEENS1_30default_config_static_selectorELNS0_4arch9wavefront6targetE0EEEvSL_,"axG",@progbits,_ZN7rocprim17ROCPRIM_400000_NS6detail17trampoline_kernelINS0_14default_configENS1_36segmented_radix_sort_config_selectorI12hip_bfloat16lEEZNS1_25segmented_radix_sort_implIS3_Lb1EPKS5_PS5_PKlPlN2at6native12_GLOBAL__N_18offset_tEEE10hipError_tPvRmT1_PNSt15iterator_traitsISL_E10value_typeET2_T3_PNSM_ISR_E10value_typeET4_jRbjT5_SX_jjP12ihipStream_tbEUlT_E_NS1_11comp_targetILNS1_3genE2ELNS1_11target_archE906ELNS1_3gpuE6ELNS1_3repE0EEENS1_30default_config_static_selectorELNS0_4arch9wavefront6targetE0EEEvSL_,comdat
	.globl	_ZN7rocprim17ROCPRIM_400000_NS6detail17trampoline_kernelINS0_14default_configENS1_36segmented_radix_sort_config_selectorI12hip_bfloat16lEEZNS1_25segmented_radix_sort_implIS3_Lb1EPKS5_PS5_PKlPlN2at6native12_GLOBAL__N_18offset_tEEE10hipError_tPvRmT1_PNSt15iterator_traitsISL_E10value_typeET2_T3_PNSM_ISR_E10value_typeET4_jRbjT5_SX_jjP12ihipStream_tbEUlT_E_NS1_11comp_targetILNS1_3genE2ELNS1_11target_archE906ELNS1_3gpuE6ELNS1_3repE0EEENS1_30default_config_static_selectorELNS0_4arch9wavefront6targetE0EEEvSL_ ; -- Begin function _ZN7rocprim17ROCPRIM_400000_NS6detail17trampoline_kernelINS0_14default_configENS1_36segmented_radix_sort_config_selectorI12hip_bfloat16lEEZNS1_25segmented_radix_sort_implIS3_Lb1EPKS5_PS5_PKlPlN2at6native12_GLOBAL__N_18offset_tEEE10hipError_tPvRmT1_PNSt15iterator_traitsISL_E10value_typeET2_T3_PNSM_ISR_E10value_typeET4_jRbjT5_SX_jjP12ihipStream_tbEUlT_E_NS1_11comp_targetILNS1_3genE2ELNS1_11target_archE906ELNS1_3gpuE6ELNS1_3repE0EEENS1_30default_config_static_selectorELNS0_4arch9wavefront6targetE0EEEvSL_
	.p2align	8
	.type	_ZN7rocprim17ROCPRIM_400000_NS6detail17trampoline_kernelINS0_14default_configENS1_36segmented_radix_sort_config_selectorI12hip_bfloat16lEEZNS1_25segmented_radix_sort_implIS3_Lb1EPKS5_PS5_PKlPlN2at6native12_GLOBAL__N_18offset_tEEE10hipError_tPvRmT1_PNSt15iterator_traitsISL_E10value_typeET2_T3_PNSM_ISR_E10value_typeET4_jRbjT5_SX_jjP12ihipStream_tbEUlT_E_NS1_11comp_targetILNS1_3genE2ELNS1_11target_archE906ELNS1_3gpuE6ELNS1_3repE0EEENS1_30default_config_static_selectorELNS0_4arch9wavefront6targetE0EEEvSL_,@function
_ZN7rocprim17ROCPRIM_400000_NS6detail17trampoline_kernelINS0_14default_configENS1_36segmented_radix_sort_config_selectorI12hip_bfloat16lEEZNS1_25segmented_radix_sort_implIS3_Lb1EPKS5_PS5_PKlPlN2at6native12_GLOBAL__N_18offset_tEEE10hipError_tPvRmT1_PNSt15iterator_traitsISL_E10value_typeET2_T3_PNSM_ISR_E10value_typeET4_jRbjT5_SX_jjP12ihipStream_tbEUlT_E_NS1_11comp_targetILNS1_3genE2ELNS1_11target_archE906ELNS1_3gpuE6ELNS1_3repE0EEENS1_30default_config_static_selectorELNS0_4arch9wavefront6targetE0EEEvSL_: ; @_ZN7rocprim17ROCPRIM_400000_NS6detail17trampoline_kernelINS0_14default_configENS1_36segmented_radix_sort_config_selectorI12hip_bfloat16lEEZNS1_25segmented_radix_sort_implIS3_Lb1EPKS5_PS5_PKlPlN2at6native12_GLOBAL__N_18offset_tEEE10hipError_tPvRmT1_PNSt15iterator_traitsISL_E10value_typeET2_T3_PNSM_ISR_E10value_typeET4_jRbjT5_SX_jjP12ihipStream_tbEUlT_E_NS1_11comp_targetILNS1_3genE2ELNS1_11target_archE906ELNS1_3gpuE6ELNS1_3repE0EEENS1_30default_config_static_selectorELNS0_4arch9wavefront6targetE0EEEvSL_
; %bb.0:
	.section	.rodata,"a",@progbits
	.p2align	6, 0x0
	.amdhsa_kernel _ZN7rocprim17ROCPRIM_400000_NS6detail17trampoline_kernelINS0_14default_configENS1_36segmented_radix_sort_config_selectorI12hip_bfloat16lEEZNS1_25segmented_radix_sort_implIS3_Lb1EPKS5_PS5_PKlPlN2at6native12_GLOBAL__N_18offset_tEEE10hipError_tPvRmT1_PNSt15iterator_traitsISL_E10value_typeET2_T3_PNSM_ISR_E10value_typeET4_jRbjT5_SX_jjP12ihipStream_tbEUlT_E_NS1_11comp_targetILNS1_3genE2ELNS1_11target_archE906ELNS1_3gpuE6ELNS1_3repE0EEENS1_30default_config_static_selectorELNS0_4arch9wavefront6targetE0EEEvSL_
		.amdhsa_group_segment_fixed_size 0
		.amdhsa_private_segment_fixed_size 0
		.amdhsa_kernarg_size 96
		.amdhsa_user_sgpr_count 6
		.amdhsa_user_sgpr_private_segment_buffer 1
		.amdhsa_user_sgpr_dispatch_ptr 0
		.amdhsa_user_sgpr_queue_ptr 0
		.amdhsa_user_sgpr_kernarg_segment_ptr 1
		.amdhsa_user_sgpr_dispatch_id 0
		.amdhsa_user_sgpr_flat_scratch_init 0
		.amdhsa_user_sgpr_private_segment_size 0
		.amdhsa_wavefront_size32 1
		.amdhsa_uses_dynamic_stack 0
		.amdhsa_system_sgpr_private_segment_wavefront_offset 0
		.amdhsa_system_sgpr_workgroup_id_x 1
		.amdhsa_system_sgpr_workgroup_id_y 0
		.amdhsa_system_sgpr_workgroup_id_z 0
		.amdhsa_system_sgpr_workgroup_info 0
		.amdhsa_system_vgpr_workitem_id 0
		.amdhsa_next_free_vgpr 1
		.amdhsa_next_free_sgpr 1
		.amdhsa_reserve_vcc 0
		.amdhsa_reserve_flat_scratch 0
		.amdhsa_float_round_mode_32 0
		.amdhsa_float_round_mode_16_64 0
		.amdhsa_float_denorm_mode_32 3
		.amdhsa_float_denorm_mode_16_64 3
		.amdhsa_dx10_clamp 1
		.amdhsa_ieee_mode 1
		.amdhsa_fp16_overflow 0
		.amdhsa_workgroup_processor_mode 1
		.amdhsa_memory_ordered 1
		.amdhsa_forward_progress 1
		.amdhsa_shared_vgpr_count 0
		.amdhsa_exception_fp_ieee_invalid_op 0
		.amdhsa_exception_fp_denorm_src 0
		.amdhsa_exception_fp_ieee_div_zero 0
		.amdhsa_exception_fp_ieee_overflow 0
		.amdhsa_exception_fp_ieee_underflow 0
		.amdhsa_exception_fp_ieee_inexact 0
		.amdhsa_exception_int_div_zero 0
	.end_amdhsa_kernel
	.section	.text._ZN7rocprim17ROCPRIM_400000_NS6detail17trampoline_kernelINS0_14default_configENS1_36segmented_radix_sort_config_selectorI12hip_bfloat16lEEZNS1_25segmented_radix_sort_implIS3_Lb1EPKS5_PS5_PKlPlN2at6native12_GLOBAL__N_18offset_tEEE10hipError_tPvRmT1_PNSt15iterator_traitsISL_E10value_typeET2_T3_PNSM_ISR_E10value_typeET4_jRbjT5_SX_jjP12ihipStream_tbEUlT_E_NS1_11comp_targetILNS1_3genE2ELNS1_11target_archE906ELNS1_3gpuE6ELNS1_3repE0EEENS1_30default_config_static_selectorELNS0_4arch9wavefront6targetE0EEEvSL_,"axG",@progbits,_ZN7rocprim17ROCPRIM_400000_NS6detail17trampoline_kernelINS0_14default_configENS1_36segmented_radix_sort_config_selectorI12hip_bfloat16lEEZNS1_25segmented_radix_sort_implIS3_Lb1EPKS5_PS5_PKlPlN2at6native12_GLOBAL__N_18offset_tEEE10hipError_tPvRmT1_PNSt15iterator_traitsISL_E10value_typeET2_T3_PNSM_ISR_E10value_typeET4_jRbjT5_SX_jjP12ihipStream_tbEUlT_E_NS1_11comp_targetILNS1_3genE2ELNS1_11target_archE906ELNS1_3gpuE6ELNS1_3repE0EEENS1_30default_config_static_selectorELNS0_4arch9wavefront6targetE0EEEvSL_,comdat
.Lfunc_end1940:
	.size	_ZN7rocprim17ROCPRIM_400000_NS6detail17trampoline_kernelINS0_14default_configENS1_36segmented_radix_sort_config_selectorI12hip_bfloat16lEEZNS1_25segmented_radix_sort_implIS3_Lb1EPKS5_PS5_PKlPlN2at6native12_GLOBAL__N_18offset_tEEE10hipError_tPvRmT1_PNSt15iterator_traitsISL_E10value_typeET2_T3_PNSM_ISR_E10value_typeET4_jRbjT5_SX_jjP12ihipStream_tbEUlT_E_NS1_11comp_targetILNS1_3genE2ELNS1_11target_archE906ELNS1_3gpuE6ELNS1_3repE0EEENS1_30default_config_static_selectorELNS0_4arch9wavefront6targetE0EEEvSL_, .Lfunc_end1940-_ZN7rocprim17ROCPRIM_400000_NS6detail17trampoline_kernelINS0_14default_configENS1_36segmented_radix_sort_config_selectorI12hip_bfloat16lEEZNS1_25segmented_radix_sort_implIS3_Lb1EPKS5_PS5_PKlPlN2at6native12_GLOBAL__N_18offset_tEEE10hipError_tPvRmT1_PNSt15iterator_traitsISL_E10value_typeET2_T3_PNSM_ISR_E10value_typeET4_jRbjT5_SX_jjP12ihipStream_tbEUlT_E_NS1_11comp_targetILNS1_3genE2ELNS1_11target_archE906ELNS1_3gpuE6ELNS1_3repE0EEENS1_30default_config_static_selectorELNS0_4arch9wavefront6targetE0EEEvSL_
                                        ; -- End function
	.set _ZN7rocprim17ROCPRIM_400000_NS6detail17trampoline_kernelINS0_14default_configENS1_36segmented_radix_sort_config_selectorI12hip_bfloat16lEEZNS1_25segmented_radix_sort_implIS3_Lb1EPKS5_PS5_PKlPlN2at6native12_GLOBAL__N_18offset_tEEE10hipError_tPvRmT1_PNSt15iterator_traitsISL_E10value_typeET2_T3_PNSM_ISR_E10value_typeET4_jRbjT5_SX_jjP12ihipStream_tbEUlT_E_NS1_11comp_targetILNS1_3genE2ELNS1_11target_archE906ELNS1_3gpuE6ELNS1_3repE0EEENS1_30default_config_static_selectorELNS0_4arch9wavefront6targetE0EEEvSL_.num_vgpr, 0
	.set _ZN7rocprim17ROCPRIM_400000_NS6detail17trampoline_kernelINS0_14default_configENS1_36segmented_radix_sort_config_selectorI12hip_bfloat16lEEZNS1_25segmented_radix_sort_implIS3_Lb1EPKS5_PS5_PKlPlN2at6native12_GLOBAL__N_18offset_tEEE10hipError_tPvRmT1_PNSt15iterator_traitsISL_E10value_typeET2_T3_PNSM_ISR_E10value_typeET4_jRbjT5_SX_jjP12ihipStream_tbEUlT_E_NS1_11comp_targetILNS1_3genE2ELNS1_11target_archE906ELNS1_3gpuE6ELNS1_3repE0EEENS1_30default_config_static_selectorELNS0_4arch9wavefront6targetE0EEEvSL_.num_agpr, 0
	.set _ZN7rocprim17ROCPRIM_400000_NS6detail17trampoline_kernelINS0_14default_configENS1_36segmented_radix_sort_config_selectorI12hip_bfloat16lEEZNS1_25segmented_radix_sort_implIS3_Lb1EPKS5_PS5_PKlPlN2at6native12_GLOBAL__N_18offset_tEEE10hipError_tPvRmT1_PNSt15iterator_traitsISL_E10value_typeET2_T3_PNSM_ISR_E10value_typeET4_jRbjT5_SX_jjP12ihipStream_tbEUlT_E_NS1_11comp_targetILNS1_3genE2ELNS1_11target_archE906ELNS1_3gpuE6ELNS1_3repE0EEENS1_30default_config_static_selectorELNS0_4arch9wavefront6targetE0EEEvSL_.numbered_sgpr, 0
	.set _ZN7rocprim17ROCPRIM_400000_NS6detail17trampoline_kernelINS0_14default_configENS1_36segmented_radix_sort_config_selectorI12hip_bfloat16lEEZNS1_25segmented_radix_sort_implIS3_Lb1EPKS5_PS5_PKlPlN2at6native12_GLOBAL__N_18offset_tEEE10hipError_tPvRmT1_PNSt15iterator_traitsISL_E10value_typeET2_T3_PNSM_ISR_E10value_typeET4_jRbjT5_SX_jjP12ihipStream_tbEUlT_E_NS1_11comp_targetILNS1_3genE2ELNS1_11target_archE906ELNS1_3gpuE6ELNS1_3repE0EEENS1_30default_config_static_selectorELNS0_4arch9wavefront6targetE0EEEvSL_.num_named_barrier, 0
	.set _ZN7rocprim17ROCPRIM_400000_NS6detail17trampoline_kernelINS0_14default_configENS1_36segmented_radix_sort_config_selectorI12hip_bfloat16lEEZNS1_25segmented_radix_sort_implIS3_Lb1EPKS5_PS5_PKlPlN2at6native12_GLOBAL__N_18offset_tEEE10hipError_tPvRmT1_PNSt15iterator_traitsISL_E10value_typeET2_T3_PNSM_ISR_E10value_typeET4_jRbjT5_SX_jjP12ihipStream_tbEUlT_E_NS1_11comp_targetILNS1_3genE2ELNS1_11target_archE906ELNS1_3gpuE6ELNS1_3repE0EEENS1_30default_config_static_selectorELNS0_4arch9wavefront6targetE0EEEvSL_.private_seg_size, 0
	.set _ZN7rocprim17ROCPRIM_400000_NS6detail17trampoline_kernelINS0_14default_configENS1_36segmented_radix_sort_config_selectorI12hip_bfloat16lEEZNS1_25segmented_radix_sort_implIS3_Lb1EPKS5_PS5_PKlPlN2at6native12_GLOBAL__N_18offset_tEEE10hipError_tPvRmT1_PNSt15iterator_traitsISL_E10value_typeET2_T3_PNSM_ISR_E10value_typeET4_jRbjT5_SX_jjP12ihipStream_tbEUlT_E_NS1_11comp_targetILNS1_3genE2ELNS1_11target_archE906ELNS1_3gpuE6ELNS1_3repE0EEENS1_30default_config_static_selectorELNS0_4arch9wavefront6targetE0EEEvSL_.uses_vcc, 0
	.set _ZN7rocprim17ROCPRIM_400000_NS6detail17trampoline_kernelINS0_14default_configENS1_36segmented_radix_sort_config_selectorI12hip_bfloat16lEEZNS1_25segmented_radix_sort_implIS3_Lb1EPKS5_PS5_PKlPlN2at6native12_GLOBAL__N_18offset_tEEE10hipError_tPvRmT1_PNSt15iterator_traitsISL_E10value_typeET2_T3_PNSM_ISR_E10value_typeET4_jRbjT5_SX_jjP12ihipStream_tbEUlT_E_NS1_11comp_targetILNS1_3genE2ELNS1_11target_archE906ELNS1_3gpuE6ELNS1_3repE0EEENS1_30default_config_static_selectorELNS0_4arch9wavefront6targetE0EEEvSL_.uses_flat_scratch, 0
	.set _ZN7rocprim17ROCPRIM_400000_NS6detail17trampoline_kernelINS0_14default_configENS1_36segmented_radix_sort_config_selectorI12hip_bfloat16lEEZNS1_25segmented_radix_sort_implIS3_Lb1EPKS5_PS5_PKlPlN2at6native12_GLOBAL__N_18offset_tEEE10hipError_tPvRmT1_PNSt15iterator_traitsISL_E10value_typeET2_T3_PNSM_ISR_E10value_typeET4_jRbjT5_SX_jjP12ihipStream_tbEUlT_E_NS1_11comp_targetILNS1_3genE2ELNS1_11target_archE906ELNS1_3gpuE6ELNS1_3repE0EEENS1_30default_config_static_selectorELNS0_4arch9wavefront6targetE0EEEvSL_.has_dyn_sized_stack, 0
	.set _ZN7rocprim17ROCPRIM_400000_NS6detail17trampoline_kernelINS0_14default_configENS1_36segmented_radix_sort_config_selectorI12hip_bfloat16lEEZNS1_25segmented_radix_sort_implIS3_Lb1EPKS5_PS5_PKlPlN2at6native12_GLOBAL__N_18offset_tEEE10hipError_tPvRmT1_PNSt15iterator_traitsISL_E10value_typeET2_T3_PNSM_ISR_E10value_typeET4_jRbjT5_SX_jjP12ihipStream_tbEUlT_E_NS1_11comp_targetILNS1_3genE2ELNS1_11target_archE906ELNS1_3gpuE6ELNS1_3repE0EEENS1_30default_config_static_selectorELNS0_4arch9wavefront6targetE0EEEvSL_.has_recursion, 0
	.set _ZN7rocprim17ROCPRIM_400000_NS6detail17trampoline_kernelINS0_14default_configENS1_36segmented_radix_sort_config_selectorI12hip_bfloat16lEEZNS1_25segmented_radix_sort_implIS3_Lb1EPKS5_PS5_PKlPlN2at6native12_GLOBAL__N_18offset_tEEE10hipError_tPvRmT1_PNSt15iterator_traitsISL_E10value_typeET2_T3_PNSM_ISR_E10value_typeET4_jRbjT5_SX_jjP12ihipStream_tbEUlT_E_NS1_11comp_targetILNS1_3genE2ELNS1_11target_archE906ELNS1_3gpuE6ELNS1_3repE0EEENS1_30default_config_static_selectorELNS0_4arch9wavefront6targetE0EEEvSL_.has_indirect_call, 0
	.section	.AMDGPU.csdata,"",@progbits
; Kernel info:
; codeLenInByte = 0
; TotalNumSgprs: 0
; NumVgprs: 0
; ScratchSize: 0
; MemoryBound: 0
; FloatMode: 240
; IeeeMode: 1
; LDSByteSize: 0 bytes/workgroup (compile time only)
; SGPRBlocks: 0
; VGPRBlocks: 0
; NumSGPRsForWavesPerEU: 1
; NumVGPRsForWavesPerEU: 1
; Occupancy: 16
; WaveLimiterHint : 0
; COMPUTE_PGM_RSRC2:SCRATCH_EN: 0
; COMPUTE_PGM_RSRC2:USER_SGPR: 6
; COMPUTE_PGM_RSRC2:TRAP_HANDLER: 0
; COMPUTE_PGM_RSRC2:TGID_X_EN: 1
; COMPUTE_PGM_RSRC2:TGID_Y_EN: 0
; COMPUTE_PGM_RSRC2:TGID_Z_EN: 0
; COMPUTE_PGM_RSRC2:TIDIG_COMP_CNT: 0
	.section	.text._ZN7rocprim17ROCPRIM_400000_NS6detail17trampoline_kernelINS0_14default_configENS1_36segmented_radix_sort_config_selectorI12hip_bfloat16lEEZNS1_25segmented_radix_sort_implIS3_Lb1EPKS5_PS5_PKlPlN2at6native12_GLOBAL__N_18offset_tEEE10hipError_tPvRmT1_PNSt15iterator_traitsISL_E10value_typeET2_T3_PNSM_ISR_E10value_typeET4_jRbjT5_SX_jjP12ihipStream_tbEUlT_E_NS1_11comp_targetILNS1_3genE10ELNS1_11target_archE1201ELNS1_3gpuE5ELNS1_3repE0EEENS1_30default_config_static_selectorELNS0_4arch9wavefront6targetE0EEEvSL_,"axG",@progbits,_ZN7rocprim17ROCPRIM_400000_NS6detail17trampoline_kernelINS0_14default_configENS1_36segmented_radix_sort_config_selectorI12hip_bfloat16lEEZNS1_25segmented_radix_sort_implIS3_Lb1EPKS5_PS5_PKlPlN2at6native12_GLOBAL__N_18offset_tEEE10hipError_tPvRmT1_PNSt15iterator_traitsISL_E10value_typeET2_T3_PNSM_ISR_E10value_typeET4_jRbjT5_SX_jjP12ihipStream_tbEUlT_E_NS1_11comp_targetILNS1_3genE10ELNS1_11target_archE1201ELNS1_3gpuE5ELNS1_3repE0EEENS1_30default_config_static_selectorELNS0_4arch9wavefront6targetE0EEEvSL_,comdat
	.globl	_ZN7rocprim17ROCPRIM_400000_NS6detail17trampoline_kernelINS0_14default_configENS1_36segmented_radix_sort_config_selectorI12hip_bfloat16lEEZNS1_25segmented_radix_sort_implIS3_Lb1EPKS5_PS5_PKlPlN2at6native12_GLOBAL__N_18offset_tEEE10hipError_tPvRmT1_PNSt15iterator_traitsISL_E10value_typeET2_T3_PNSM_ISR_E10value_typeET4_jRbjT5_SX_jjP12ihipStream_tbEUlT_E_NS1_11comp_targetILNS1_3genE10ELNS1_11target_archE1201ELNS1_3gpuE5ELNS1_3repE0EEENS1_30default_config_static_selectorELNS0_4arch9wavefront6targetE0EEEvSL_ ; -- Begin function _ZN7rocprim17ROCPRIM_400000_NS6detail17trampoline_kernelINS0_14default_configENS1_36segmented_radix_sort_config_selectorI12hip_bfloat16lEEZNS1_25segmented_radix_sort_implIS3_Lb1EPKS5_PS5_PKlPlN2at6native12_GLOBAL__N_18offset_tEEE10hipError_tPvRmT1_PNSt15iterator_traitsISL_E10value_typeET2_T3_PNSM_ISR_E10value_typeET4_jRbjT5_SX_jjP12ihipStream_tbEUlT_E_NS1_11comp_targetILNS1_3genE10ELNS1_11target_archE1201ELNS1_3gpuE5ELNS1_3repE0EEENS1_30default_config_static_selectorELNS0_4arch9wavefront6targetE0EEEvSL_
	.p2align	8
	.type	_ZN7rocprim17ROCPRIM_400000_NS6detail17trampoline_kernelINS0_14default_configENS1_36segmented_radix_sort_config_selectorI12hip_bfloat16lEEZNS1_25segmented_radix_sort_implIS3_Lb1EPKS5_PS5_PKlPlN2at6native12_GLOBAL__N_18offset_tEEE10hipError_tPvRmT1_PNSt15iterator_traitsISL_E10value_typeET2_T3_PNSM_ISR_E10value_typeET4_jRbjT5_SX_jjP12ihipStream_tbEUlT_E_NS1_11comp_targetILNS1_3genE10ELNS1_11target_archE1201ELNS1_3gpuE5ELNS1_3repE0EEENS1_30default_config_static_selectorELNS0_4arch9wavefront6targetE0EEEvSL_,@function
_ZN7rocprim17ROCPRIM_400000_NS6detail17trampoline_kernelINS0_14default_configENS1_36segmented_radix_sort_config_selectorI12hip_bfloat16lEEZNS1_25segmented_radix_sort_implIS3_Lb1EPKS5_PS5_PKlPlN2at6native12_GLOBAL__N_18offset_tEEE10hipError_tPvRmT1_PNSt15iterator_traitsISL_E10value_typeET2_T3_PNSM_ISR_E10value_typeET4_jRbjT5_SX_jjP12ihipStream_tbEUlT_E_NS1_11comp_targetILNS1_3genE10ELNS1_11target_archE1201ELNS1_3gpuE5ELNS1_3repE0EEENS1_30default_config_static_selectorELNS0_4arch9wavefront6targetE0EEEvSL_: ; @_ZN7rocprim17ROCPRIM_400000_NS6detail17trampoline_kernelINS0_14default_configENS1_36segmented_radix_sort_config_selectorI12hip_bfloat16lEEZNS1_25segmented_radix_sort_implIS3_Lb1EPKS5_PS5_PKlPlN2at6native12_GLOBAL__N_18offset_tEEE10hipError_tPvRmT1_PNSt15iterator_traitsISL_E10value_typeET2_T3_PNSM_ISR_E10value_typeET4_jRbjT5_SX_jjP12ihipStream_tbEUlT_E_NS1_11comp_targetILNS1_3genE10ELNS1_11target_archE1201ELNS1_3gpuE5ELNS1_3repE0EEENS1_30default_config_static_selectorELNS0_4arch9wavefront6targetE0EEEvSL_
; %bb.0:
	.section	.rodata,"a",@progbits
	.p2align	6, 0x0
	.amdhsa_kernel _ZN7rocprim17ROCPRIM_400000_NS6detail17trampoline_kernelINS0_14default_configENS1_36segmented_radix_sort_config_selectorI12hip_bfloat16lEEZNS1_25segmented_radix_sort_implIS3_Lb1EPKS5_PS5_PKlPlN2at6native12_GLOBAL__N_18offset_tEEE10hipError_tPvRmT1_PNSt15iterator_traitsISL_E10value_typeET2_T3_PNSM_ISR_E10value_typeET4_jRbjT5_SX_jjP12ihipStream_tbEUlT_E_NS1_11comp_targetILNS1_3genE10ELNS1_11target_archE1201ELNS1_3gpuE5ELNS1_3repE0EEENS1_30default_config_static_selectorELNS0_4arch9wavefront6targetE0EEEvSL_
		.amdhsa_group_segment_fixed_size 0
		.amdhsa_private_segment_fixed_size 0
		.amdhsa_kernarg_size 96
		.amdhsa_user_sgpr_count 6
		.amdhsa_user_sgpr_private_segment_buffer 1
		.amdhsa_user_sgpr_dispatch_ptr 0
		.amdhsa_user_sgpr_queue_ptr 0
		.amdhsa_user_sgpr_kernarg_segment_ptr 1
		.amdhsa_user_sgpr_dispatch_id 0
		.amdhsa_user_sgpr_flat_scratch_init 0
		.amdhsa_user_sgpr_private_segment_size 0
		.amdhsa_wavefront_size32 1
		.amdhsa_uses_dynamic_stack 0
		.amdhsa_system_sgpr_private_segment_wavefront_offset 0
		.amdhsa_system_sgpr_workgroup_id_x 1
		.amdhsa_system_sgpr_workgroup_id_y 0
		.amdhsa_system_sgpr_workgroup_id_z 0
		.amdhsa_system_sgpr_workgroup_info 0
		.amdhsa_system_vgpr_workitem_id 0
		.amdhsa_next_free_vgpr 1
		.amdhsa_next_free_sgpr 1
		.amdhsa_reserve_vcc 0
		.amdhsa_reserve_flat_scratch 0
		.amdhsa_float_round_mode_32 0
		.amdhsa_float_round_mode_16_64 0
		.amdhsa_float_denorm_mode_32 3
		.amdhsa_float_denorm_mode_16_64 3
		.amdhsa_dx10_clamp 1
		.amdhsa_ieee_mode 1
		.amdhsa_fp16_overflow 0
		.amdhsa_workgroup_processor_mode 1
		.amdhsa_memory_ordered 1
		.amdhsa_forward_progress 1
		.amdhsa_shared_vgpr_count 0
		.amdhsa_exception_fp_ieee_invalid_op 0
		.amdhsa_exception_fp_denorm_src 0
		.amdhsa_exception_fp_ieee_div_zero 0
		.amdhsa_exception_fp_ieee_overflow 0
		.amdhsa_exception_fp_ieee_underflow 0
		.amdhsa_exception_fp_ieee_inexact 0
		.amdhsa_exception_int_div_zero 0
	.end_amdhsa_kernel
	.section	.text._ZN7rocprim17ROCPRIM_400000_NS6detail17trampoline_kernelINS0_14default_configENS1_36segmented_radix_sort_config_selectorI12hip_bfloat16lEEZNS1_25segmented_radix_sort_implIS3_Lb1EPKS5_PS5_PKlPlN2at6native12_GLOBAL__N_18offset_tEEE10hipError_tPvRmT1_PNSt15iterator_traitsISL_E10value_typeET2_T3_PNSM_ISR_E10value_typeET4_jRbjT5_SX_jjP12ihipStream_tbEUlT_E_NS1_11comp_targetILNS1_3genE10ELNS1_11target_archE1201ELNS1_3gpuE5ELNS1_3repE0EEENS1_30default_config_static_selectorELNS0_4arch9wavefront6targetE0EEEvSL_,"axG",@progbits,_ZN7rocprim17ROCPRIM_400000_NS6detail17trampoline_kernelINS0_14default_configENS1_36segmented_radix_sort_config_selectorI12hip_bfloat16lEEZNS1_25segmented_radix_sort_implIS3_Lb1EPKS5_PS5_PKlPlN2at6native12_GLOBAL__N_18offset_tEEE10hipError_tPvRmT1_PNSt15iterator_traitsISL_E10value_typeET2_T3_PNSM_ISR_E10value_typeET4_jRbjT5_SX_jjP12ihipStream_tbEUlT_E_NS1_11comp_targetILNS1_3genE10ELNS1_11target_archE1201ELNS1_3gpuE5ELNS1_3repE0EEENS1_30default_config_static_selectorELNS0_4arch9wavefront6targetE0EEEvSL_,comdat
.Lfunc_end1941:
	.size	_ZN7rocprim17ROCPRIM_400000_NS6detail17trampoline_kernelINS0_14default_configENS1_36segmented_radix_sort_config_selectorI12hip_bfloat16lEEZNS1_25segmented_radix_sort_implIS3_Lb1EPKS5_PS5_PKlPlN2at6native12_GLOBAL__N_18offset_tEEE10hipError_tPvRmT1_PNSt15iterator_traitsISL_E10value_typeET2_T3_PNSM_ISR_E10value_typeET4_jRbjT5_SX_jjP12ihipStream_tbEUlT_E_NS1_11comp_targetILNS1_3genE10ELNS1_11target_archE1201ELNS1_3gpuE5ELNS1_3repE0EEENS1_30default_config_static_selectorELNS0_4arch9wavefront6targetE0EEEvSL_, .Lfunc_end1941-_ZN7rocprim17ROCPRIM_400000_NS6detail17trampoline_kernelINS0_14default_configENS1_36segmented_radix_sort_config_selectorI12hip_bfloat16lEEZNS1_25segmented_radix_sort_implIS3_Lb1EPKS5_PS5_PKlPlN2at6native12_GLOBAL__N_18offset_tEEE10hipError_tPvRmT1_PNSt15iterator_traitsISL_E10value_typeET2_T3_PNSM_ISR_E10value_typeET4_jRbjT5_SX_jjP12ihipStream_tbEUlT_E_NS1_11comp_targetILNS1_3genE10ELNS1_11target_archE1201ELNS1_3gpuE5ELNS1_3repE0EEENS1_30default_config_static_selectorELNS0_4arch9wavefront6targetE0EEEvSL_
                                        ; -- End function
	.set _ZN7rocprim17ROCPRIM_400000_NS6detail17trampoline_kernelINS0_14default_configENS1_36segmented_radix_sort_config_selectorI12hip_bfloat16lEEZNS1_25segmented_radix_sort_implIS3_Lb1EPKS5_PS5_PKlPlN2at6native12_GLOBAL__N_18offset_tEEE10hipError_tPvRmT1_PNSt15iterator_traitsISL_E10value_typeET2_T3_PNSM_ISR_E10value_typeET4_jRbjT5_SX_jjP12ihipStream_tbEUlT_E_NS1_11comp_targetILNS1_3genE10ELNS1_11target_archE1201ELNS1_3gpuE5ELNS1_3repE0EEENS1_30default_config_static_selectorELNS0_4arch9wavefront6targetE0EEEvSL_.num_vgpr, 0
	.set _ZN7rocprim17ROCPRIM_400000_NS6detail17trampoline_kernelINS0_14default_configENS1_36segmented_radix_sort_config_selectorI12hip_bfloat16lEEZNS1_25segmented_radix_sort_implIS3_Lb1EPKS5_PS5_PKlPlN2at6native12_GLOBAL__N_18offset_tEEE10hipError_tPvRmT1_PNSt15iterator_traitsISL_E10value_typeET2_T3_PNSM_ISR_E10value_typeET4_jRbjT5_SX_jjP12ihipStream_tbEUlT_E_NS1_11comp_targetILNS1_3genE10ELNS1_11target_archE1201ELNS1_3gpuE5ELNS1_3repE0EEENS1_30default_config_static_selectorELNS0_4arch9wavefront6targetE0EEEvSL_.num_agpr, 0
	.set _ZN7rocprim17ROCPRIM_400000_NS6detail17trampoline_kernelINS0_14default_configENS1_36segmented_radix_sort_config_selectorI12hip_bfloat16lEEZNS1_25segmented_radix_sort_implIS3_Lb1EPKS5_PS5_PKlPlN2at6native12_GLOBAL__N_18offset_tEEE10hipError_tPvRmT1_PNSt15iterator_traitsISL_E10value_typeET2_T3_PNSM_ISR_E10value_typeET4_jRbjT5_SX_jjP12ihipStream_tbEUlT_E_NS1_11comp_targetILNS1_3genE10ELNS1_11target_archE1201ELNS1_3gpuE5ELNS1_3repE0EEENS1_30default_config_static_selectorELNS0_4arch9wavefront6targetE0EEEvSL_.numbered_sgpr, 0
	.set _ZN7rocprim17ROCPRIM_400000_NS6detail17trampoline_kernelINS0_14default_configENS1_36segmented_radix_sort_config_selectorI12hip_bfloat16lEEZNS1_25segmented_radix_sort_implIS3_Lb1EPKS5_PS5_PKlPlN2at6native12_GLOBAL__N_18offset_tEEE10hipError_tPvRmT1_PNSt15iterator_traitsISL_E10value_typeET2_T3_PNSM_ISR_E10value_typeET4_jRbjT5_SX_jjP12ihipStream_tbEUlT_E_NS1_11comp_targetILNS1_3genE10ELNS1_11target_archE1201ELNS1_3gpuE5ELNS1_3repE0EEENS1_30default_config_static_selectorELNS0_4arch9wavefront6targetE0EEEvSL_.num_named_barrier, 0
	.set _ZN7rocprim17ROCPRIM_400000_NS6detail17trampoline_kernelINS0_14default_configENS1_36segmented_radix_sort_config_selectorI12hip_bfloat16lEEZNS1_25segmented_radix_sort_implIS3_Lb1EPKS5_PS5_PKlPlN2at6native12_GLOBAL__N_18offset_tEEE10hipError_tPvRmT1_PNSt15iterator_traitsISL_E10value_typeET2_T3_PNSM_ISR_E10value_typeET4_jRbjT5_SX_jjP12ihipStream_tbEUlT_E_NS1_11comp_targetILNS1_3genE10ELNS1_11target_archE1201ELNS1_3gpuE5ELNS1_3repE0EEENS1_30default_config_static_selectorELNS0_4arch9wavefront6targetE0EEEvSL_.private_seg_size, 0
	.set _ZN7rocprim17ROCPRIM_400000_NS6detail17trampoline_kernelINS0_14default_configENS1_36segmented_radix_sort_config_selectorI12hip_bfloat16lEEZNS1_25segmented_radix_sort_implIS3_Lb1EPKS5_PS5_PKlPlN2at6native12_GLOBAL__N_18offset_tEEE10hipError_tPvRmT1_PNSt15iterator_traitsISL_E10value_typeET2_T3_PNSM_ISR_E10value_typeET4_jRbjT5_SX_jjP12ihipStream_tbEUlT_E_NS1_11comp_targetILNS1_3genE10ELNS1_11target_archE1201ELNS1_3gpuE5ELNS1_3repE0EEENS1_30default_config_static_selectorELNS0_4arch9wavefront6targetE0EEEvSL_.uses_vcc, 0
	.set _ZN7rocprim17ROCPRIM_400000_NS6detail17trampoline_kernelINS0_14default_configENS1_36segmented_radix_sort_config_selectorI12hip_bfloat16lEEZNS1_25segmented_radix_sort_implIS3_Lb1EPKS5_PS5_PKlPlN2at6native12_GLOBAL__N_18offset_tEEE10hipError_tPvRmT1_PNSt15iterator_traitsISL_E10value_typeET2_T3_PNSM_ISR_E10value_typeET4_jRbjT5_SX_jjP12ihipStream_tbEUlT_E_NS1_11comp_targetILNS1_3genE10ELNS1_11target_archE1201ELNS1_3gpuE5ELNS1_3repE0EEENS1_30default_config_static_selectorELNS0_4arch9wavefront6targetE0EEEvSL_.uses_flat_scratch, 0
	.set _ZN7rocprim17ROCPRIM_400000_NS6detail17trampoline_kernelINS0_14default_configENS1_36segmented_radix_sort_config_selectorI12hip_bfloat16lEEZNS1_25segmented_radix_sort_implIS3_Lb1EPKS5_PS5_PKlPlN2at6native12_GLOBAL__N_18offset_tEEE10hipError_tPvRmT1_PNSt15iterator_traitsISL_E10value_typeET2_T3_PNSM_ISR_E10value_typeET4_jRbjT5_SX_jjP12ihipStream_tbEUlT_E_NS1_11comp_targetILNS1_3genE10ELNS1_11target_archE1201ELNS1_3gpuE5ELNS1_3repE0EEENS1_30default_config_static_selectorELNS0_4arch9wavefront6targetE0EEEvSL_.has_dyn_sized_stack, 0
	.set _ZN7rocprim17ROCPRIM_400000_NS6detail17trampoline_kernelINS0_14default_configENS1_36segmented_radix_sort_config_selectorI12hip_bfloat16lEEZNS1_25segmented_radix_sort_implIS3_Lb1EPKS5_PS5_PKlPlN2at6native12_GLOBAL__N_18offset_tEEE10hipError_tPvRmT1_PNSt15iterator_traitsISL_E10value_typeET2_T3_PNSM_ISR_E10value_typeET4_jRbjT5_SX_jjP12ihipStream_tbEUlT_E_NS1_11comp_targetILNS1_3genE10ELNS1_11target_archE1201ELNS1_3gpuE5ELNS1_3repE0EEENS1_30default_config_static_selectorELNS0_4arch9wavefront6targetE0EEEvSL_.has_recursion, 0
	.set _ZN7rocprim17ROCPRIM_400000_NS6detail17trampoline_kernelINS0_14default_configENS1_36segmented_radix_sort_config_selectorI12hip_bfloat16lEEZNS1_25segmented_radix_sort_implIS3_Lb1EPKS5_PS5_PKlPlN2at6native12_GLOBAL__N_18offset_tEEE10hipError_tPvRmT1_PNSt15iterator_traitsISL_E10value_typeET2_T3_PNSM_ISR_E10value_typeET4_jRbjT5_SX_jjP12ihipStream_tbEUlT_E_NS1_11comp_targetILNS1_3genE10ELNS1_11target_archE1201ELNS1_3gpuE5ELNS1_3repE0EEENS1_30default_config_static_selectorELNS0_4arch9wavefront6targetE0EEEvSL_.has_indirect_call, 0
	.section	.AMDGPU.csdata,"",@progbits
; Kernel info:
; codeLenInByte = 0
; TotalNumSgprs: 0
; NumVgprs: 0
; ScratchSize: 0
; MemoryBound: 0
; FloatMode: 240
; IeeeMode: 1
; LDSByteSize: 0 bytes/workgroup (compile time only)
; SGPRBlocks: 0
; VGPRBlocks: 0
; NumSGPRsForWavesPerEU: 1
; NumVGPRsForWavesPerEU: 1
; Occupancy: 16
; WaveLimiterHint : 0
; COMPUTE_PGM_RSRC2:SCRATCH_EN: 0
; COMPUTE_PGM_RSRC2:USER_SGPR: 6
; COMPUTE_PGM_RSRC2:TRAP_HANDLER: 0
; COMPUTE_PGM_RSRC2:TGID_X_EN: 1
; COMPUTE_PGM_RSRC2:TGID_Y_EN: 0
; COMPUTE_PGM_RSRC2:TGID_Z_EN: 0
; COMPUTE_PGM_RSRC2:TIDIG_COMP_CNT: 0
	.section	.text._ZN7rocprim17ROCPRIM_400000_NS6detail17trampoline_kernelINS0_14default_configENS1_36segmented_radix_sort_config_selectorI12hip_bfloat16lEEZNS1_25segmented_radix_sort_implIS3_Lb1EPKS5_PS5_PKlPlN2at6native12_GLOBAL__N_18offset_tEEE10hipError_tPvRmT1_PNSt15iterator_traitsISL_E10value_typeET2_T3_PNSM_ISR_E10value_typeET4_jRbjT5_SX_jjP12ihipStream_tbEUlT_E_NS1_11comp_targetILNS1_3genE10ELNS1_11target_archE1200ELNS1_3gpuE4ELNS1_3repE0EEENS1_30default_config_static_selectorELNS0_4arch9wavefront6targetE0EEEvSL_,"axG",@progbits,_ZN7rocprim17ROCPRIM_400000_NS6detail17trampoline_kernelINS0_14default_configENS1_36segmented_radix_sort_config_selectorI12hip_bfloat16lEEZNS1_25segmented_radix_sort_implIS3_Lb1EPKS5_PS5_PKlPlN2at6native12_GLOBAL__N_18offset_tEEE10hipError_tPvRmT1_PNSt15iterator_traitsISL_E10value_typeET2_T3_PNSM_ISR_E10value_typeET4_jRbjT5_SX_jjP12ihipStream_tbEUlT_E_NS1_11comp_targetILNS1_3genE10ELNS1_11target_archE1200ELNS1_3gpuE4ELNS1_3repE0EEENS1_30default_config_static_selectorELNS0_4arch9wavefront6targetE0EEEvSL_,comdat
	.globl	_ZN7rocprim17ROCPRIM_400000_NS6detail17trampoline_kernelINS0_14default_configENS1_36segmented_radix_sort_config_selectorI12hip_bfloat16lEEZNS1_25segmented_radix_sort_implIS3_Lb1EPKS5_PS5_PKlPlN2at6native12_GLOBAL__N_18offset_tEEE10hipError_tPvRmT1_PNSt15iterator_traitsISL_E10value_typeET2_T3_PNSM_ISR_E10value_typeET4_jRbjT5_SX_jjP12ihipStream_tbEUlT_E_NS1_11comp_targetILNS1_3genE10ELNS1_11target_archE1200ELNS1_3gpuE4ELNS1_3repE0EEENS1_30default_config_static_selectorELNS0_4arch9wavefront6targetE0EEEvSL_ ; -- Begin function _ZN7rocprim17ROCPRIM_400000_NS6detail17trampoline_kernelINS0_14default_configENS1_36segmented_radix_sort_config_selectorI12hip_bfloat16lEEZNS1_25segmented_radix_sort_implIS3_Lb1EPKS5_PS5_PKlPlN2at6native12_GLOBAL__N_18offset_tEEE10hipError_tPvRmT1_PNSt15iterator_traitsISL_E10value_typeET2_T3_PNSM_ISR_E10value_typeET4_jRbjT5_SX_jjP12ihipStream_tbEUlT_E_NS1_11comp_targetILNS1_3genE10ELNS1_11target_archE1200ELNS1_3gpuE4ELNS1_3repE0EEENS1_30default_config_static_selectorELNS0_4arch9wavefront6targetE0EEEvSL_
	.p2align	8
	.type	_ZN7rocprim17ROCPRIM_400000_NS6detail17trampoline_kernelINS0_14default_configENS1_36segmented_radix_sort_config_selectorI12hip_bfloat16lEEZNS1_25segmented_radix_sort_implIS3_Lb1EPKS5_PS5_PKlPlN2at6native12_GLOBAL__N_18offset_tEEE10hipError_tPvRmT1_PNSt15iterator_traitsISL_E10value_typeET2_T3_PNSM_ISR_E10value_typeET4_jRbjT5_SX_jjP12ihipStream_tbEUlT_E_NS1_11comp_targetILNS1_3genE10ELNS1_11target_archE1200ELNS1_3gpuE4ELNS1_3repE0EEENS1_30default_config_static_selectorELNS0_4arch9wavefront6targetE0EEEvSL_,@function
_ZN7rocprim17ROCPRIM_400000_NS6detail17trampoline_kernelINS0_14default_configENS1_36segmented_radix_sort_config_selectorI12hip_bfloat16lEEZNS1_25segmented_radix_sort_implIS3_Lb1EPKS5_PS5_PKlPlN2at6native12_GLOBAL__N_18offset_tEEE10hipError_tPvRmT1_PNSt15iterator_traitsISL_E10value_typeET2_T3_PNSM_ISR_E10value_typeET4_jRbjT5_SX_jjP12ihipStream_tbEUlT_E_NS1_11comp_targetILNS1_3genE10ELNS1_11target_archE1200ELNS1_3gpuE4ELNS1_3repE0EEENS1_30default_config_static_selectorELNS0_4arch9wavefront6targetE0EEEvSL_: ; @_ZN7rocprim17ROCPRIM_400000_NS6detail17trampoline_kernelINS0_14default_configENS1_36segmented_radix_sort_config_selectorI12hip_bfloat16lEEZNS1_25segmented_radix_sort_implIS3_Lb1EPKS5_PS5_PKlPlN2at6native12_GLOBAL__N_18offset_tEEE10hipError_tPvRmT1_PNSt15iterator_traitsISL_E10value_typeET2_T3_PNSM_ISR_E10value_typeET4_jRbjT5_SX_jjP12ihipStream_tbEUlT_E_NS1_11comp_targetILNS1_3genE10ELNS1_11target_archE1200ELNS1_3gpuE4ELNS1_3repE0EEENS1_30default_config_static_selectorELNS0_4arch9wavefront6targetE0EEEvSL_
; %bb.0:
	.section	.rodata,"a",@progbits
	.p2align	6, 0x0
	.amdhsa_kernel _ZN7rocprim17ROCPRIM_400000_NS6detail17trampoline_kernelINS0_14default_configENS1_36segmented_radix_sort_config_selectorI12hip_bfloat16lEEZNS1_25segmented_radix_sort_implIS3_Lb1EPKS5_PS5_PKlPlN2at6native12_GLOBAL__N_18offset_tEEE10hipError_tPvRmT1_PNSt15iterator_traitsISL_E10value_typeET2_T3_PNSM_ISR_E10value_typeET4_jRbjT5_SX_jjP12ihipStream_tbEUlT_E_NS1_11comp_targetILNS1_3genE10ELNS1_11target_archE1200ELNS1_3gpuE4ELNS1_3repE0EEENS1_30default_config_static_selectorELNS0_4arch9wavefront6targetE0EEEvSL_
		.amdhsa_group_segment_fixed_size 0
		.amdhsa_private_segment_fixed_size 0
		.amdhsa_kernarg_size 96
		.amdhsa_user_sgpr_count 6
		.amdhsa_user_sgpr_private_segment_buffer 1
		.amdhsa_user_sgpr_dispatch_ptr 0
		.amdhsa_user_sgpr_queue_ptr 0
		.amdhsa_user_sgpr_kernarg_segment_ptr 1
		.amdhsa_user_sgpr_dispatch_id 0
		.amdhsa_user_sgpr_flat_scratch_init 0
		.amdhsa_user_sgpr_private_segment_size 0
		.amdhsa_wavefront_size32 1
		.amdhsa_uses_dynamic_stack 0
		.amdhsa_system_sgpr_private_segment_wavefront_offset 0
		.amdhsa_system_sgpr_workgroup_id_x 1
		.amdhsa_system_sgpr_workgroup_id_y 0
		.amdhsa_system_sgpr_workgroup_id_z 0
		.amdhsa_system_sgpr_workgroup_info 0
		.amdhsa_system_vgpr_workitem_id 0
		.amdhsa_next_free_vgpr 1
		.amdhsa_next_free_sgpr 1
		.amdhsa_reserve_vcc 0
		.amdhsa_reserve_flat_scratch 0
		.amdhsa_float_round_mode_32 0
		.amdhsa_float_round_mode_16_64 0
		.amdhsa_float_denorm_mode_32 3
		.amdhsa_float_denorm_mode_16_64 3
		.amdhsa_dx10_clamp 1
		.amdhsa_ieee_mode 1
		.amdhsa_fp16_overflow 0
		.amdhsa_workgroup_processor_mode 1
		.amdhsa_memory_ordered 1
		.amdhsa_forward_progress 1
		.amdhsa_shared_vgpr_count 0
		.amdhsa_exception_fp_ieee_invalid_op 0
		.amdhsa_exception_fp_denorm_src 0
		.amdhsa_exception_fp_ieee_div_zero 0
		.amdhsa_exception_fp_ieee_overflow 0
		.amdhsa_exception_fp_ieee_underflow 0
		.amdhsa_exception_fp_ieee_inexact 0
		.amdhsa_exception_int_div_zero 0
	.end_amdhsa_kernel
	.section	.text._ZN7rocprim17ROCPRIM_400000_NS6detail17trampoline_kernelINS0_14default_configENS1_36segmented_radix_sort_config_selectorI12hip_bfloat16lEEZNS1_25segmented_radix_sort_implIS3_Lb1EPKS5_PS5_PKlPlN2at6native12_GLOBAL__N_18offset_tEEE10hipError_tPvRmT1_PNSt15iterator_traitsISL_E10value_typeET2_T3_PNSM_ISR_E10value_typeET4_jRbjT5_SX_jjP12ihipStream_tbEUlT_E_NS1_11comp_targetILNS1_3genE10ELNS1_11target_archE1200ELNS1_3gpuE4ELNS1_3repE0EEENS1_30default_config_static_selectorELNS0_4arch9wavefront6targetE0EEEvSL_,"axG",@progbits,_ZN7rocprim17ROCPRIM_400000_NS6detail17trampoline_kernelINS0_14default_configENS1_36segmented_radix_sort_config_selectorI12hip_bfloat16lEEZNS1_25segmented_radix_sort_implIS3_Lb1EPKS5_PS5_PKlPlN2at6native12_GLOBAL__N_18offset_tEEE10hipError_tPvRmT1_PNSt15iterator_traitsISL_E10value_typeET2_T3_PNSM_ISR_E10value_typeET4_jRbjT5_SX_jjP12ihipStream_tbEUlT_E_NS1_11comp_targetILNS1_3genE10ELNS1_11target_archE1200ELNS1_3gpuE4ELNS1_3repE0EEENS1_30default_config_static_selectorELNS0_4arch9wavefront6targetE0EEEvSL_,comdat
.Lfunc_end1942:
	.size	_ZN7rocprim17ROCPRIM_400000_NS6detail17trampoline_kernelINS0_14default_configENS1_36segmented_radix_sort_config_selectorI12hip_bfloat16lEEZNS1_25segmented_radix_sort_implIS3_Lb1EPKS5_PS5_PKlPlN2at6native12_GLOBAL__N_18offset_tEEE10hipError_tPvRmT1_PNSt15iterator_traitsISL_E10value_typeET2_T3_PNSM_ISR_E10value_typeET4_jRbjT5_SX_jjP12ihipStream_tbEUlT_E_NS1_11comp_targetILNS1_3genE10ELNS1_11target_archE1200ELNS1_3gpuE4ELNS1_3repE0EEENS1_30default_config_static_selectorELNS0_4arch9wavefront6targetE0EEEvSL_, .Lfunc_end1942-_ZN7rocprim17ROCPRIM_400000_NS6detail17trampoline_kernelINS0_14default_configENS1_36segmented_radix_sort_config_selectorI12hip_bfloat16lEEZNS1_25segmented_radix_sort_implIS3_Lb1EPKS5_PS5_PKlPlN2at6native12_GLOBAL__N_18offset_tEEE10hipError_tPvRmT1_PNSt15iterator_traitsISL_E10value_typeET2_T3_PNSM_ISR_E10value_typeET4_jRbjT5_SX_jjP12ihipStream_tbEUlT_E_NS1_11comp_targetILNS1_3genE10ELNS1_11target_archE1200ELNS1_3gpuE4ELNS1_3repE0EEENS1_30default_config_static_selectorELNS0_4arch9wavefront6targetE0EEEvSL_
                                        ; -- End function
	.set _ZN7rocprim17ROCPRIM_400000_NS6detail17trampoline_kernelINS0_14default_configENS1_36segmented_radix_sort_config_selectorI12hip_bfloat16lEEZNS1_25segmented_radix_sort_implIS3_Lb1EPKS5_PS5_PKlPlN2at6native12_GLOBAL__N_18offset_tEEE10hipError_tPvRmT1_PNSt15iterator_traitsISL_E10value_typeET2_T3_PNSM_ISR_E10value_typeET4_jRbjT5_SX_jjP12ihipStream_tbEUlT_E_NS1_11comp_targetILNS1_3genE10ELNS1_11target_archE1200ELNS1_3gpuE4ELNS1_3repE0EEENS1_30default_config_static_selectorELNS0_4arch9wavefront6targetE0EEEvSL_.num_vgpr, 0
	.set _ZN7rocprim17ROCPRIM_400000_NS6detail17trampoline_kernelINS0_14default_configENS1_36segmented_radix_sort_config_selectorI12hip_bfloat16lEEZNS1_25segmented_radix_sort_implIS3_Lb1EPKS5_PS5_PKlPlN2at6native12_GLOBAL__N_18offset_tEEE10hipError_tPvRmT1_PNSt15iterator_traitsISL_E10value_typeET2_T3_PNSM_ISR_E10value_typeET4_jRbjT5_SX_jjP12ihipStream_tbEUlT_E_NS1_11comp_targetILNS1_3genE10ELNS1_11target_archE1200ELNS1_3gpuE4ELNS1_3repE0EEENS1_30default_config_static_selectorELNS0_4arch9wavefront6targetE0EEEvSL_.num_agpr, 0
	.set _ZN7rocprim17ROCPRIM_400000_NS6detail17trampoline_kernelINS0_14default_configENS1_36segmented_radix_sort_config_selectorI12hip_bfloat16lEEZNS1_25segmented_radix_sort_implIS3_Lb1EPKS5_PS5_PKlPlN2at6native12_GLOBAL__N_18offset_tEEE10hipError_tPvRmT1_PNSt15iterator_traitsISL_E10value_typeET2_T3_PNSM_ISR_E10value_typeET4_jRbjT5_SX_jjP12ihipStream_tbEUlT_E_NS1_11comp_targetILNS1_3genE10ELNS1_11target_archE1200ELNS1_3gpuE4ELNS1_3repE0EEENS1_30default_config_static_selectorELNS0_4arch9wavefront6targetE0EEEvSL_.numbered_sgpr, 0
	.set _ZN7rocprim17ROCPRIM_400000_NS6detail17trampoline_kernelINS0_14default_configENS1_36segmented_radix_sort_config_selectorI12hip_bfloat16lEEZNS1_25segmented_radix_sort_implIS3_Lb1EPKS5_PS5_PKlPlN2at6native12_GLOBAL__N_18offset_tEEE10hipError_tPvRmT1_PNSt15iterator_traitsISL_E10value_typeET2_T3_PNSM_ISR_E10value_typeET4_jRbjT5_SX_jjP12ihipStream_tbEUlT_E_NS1_11comp_targetILNS1_3genE10ELNS1_11target_archE1200ELNS1_3gpuE4ELNS1_3repE0EEENS1_30default_config_static_selectorELNS0_4arch9wavefront6targetE0EEEvSL_.num_named_barrier, 0
	.set _ZN7rocprim17ROCPRIM_400000_NS6detail17trampoline_kernelINS0_14default_configENS1_36segmented_radix_sort_config_selectorI12hip_bfloat16lEEZNS1_25segmented_radix_sort_implIS3_Lb1EPKS5_PS5_PKlPlN2at6native12_GLOBAL__N_18offset_tEEE10hipError_tPvRmT1_PNSt15iterator_traitsISL_E10value_typeET2_T3_PNSM_ISR_E10value_typeET4_jRbjT5_SX_jjP12ihipStream_tbEUlT_E_NS1_11comp_targetILNS1_3genE10ELNS1_11target_archE1200ELNS1_3gpuE4ELNS1_3repE0EEENS1_30default_config_static_selectorELNS0_4arch9wavefront6targetE0EEEvSL_.private_seg_size, 0
	.set _ZN7rocprim17ROCPRIM_400000_NS6detail17trampoline_kernelINS0_14default_configENS1_36segmented_radix_sort_config_selectorI12hip_bfloat16lEEZNS1_25segmented_radix_sort_implIS3_Lb1EPKS5_PS5_PKlPlN2at6native12_GLOBAL__N_18offset_tEEE10hipError_tPvRmT1_PNSt15iterator_traitsISL_E10value_typeET2_T3_PNSM_ISR_E10value_typeET4_jRbjT5_SX_jjP12ihipStream_tbEUlT_E_NS1_11comp_targetILNS1_3genE10ELNS1_11target_archE1200ELNS1_3gpuE4ELNS1_3repE0EEENS1_30default_config_static_selectorELNS0_4arch9wavefront6targetE0EEEvSL_.uses_vcc, 0
	.set _ZN7rocprim17ROCPRIM_400000_NS6detail17trampoline_kernelINS0_14default_configENS1_36segmented_radix_sort_config_selectorI12hip_bfloat16lEEZNS1_25segmented_radix_sort_implIS3_Lb1EPKS5_PS5_PKlPlN2at6native12_GLOBAL__N_18offset_tEEE10hipError_tPvRmT1_PNSt15iterator_traitsISL_E10value_typeET2_T3_PNSM_ISR_E10value_typeET4_jRbjT5_SX_jjP12ihipStream_tbEUlT_E_NS1_11comp_targetILNS1_3genE10ELNS1_11target_archE1200ELNS1_3gpuE4ELNS1_3repE0EEENS1_30default_config_static_selectorELNS0_4arch9wavefront6targetE0EEEvSL_.uses_flat_scratch, 0
	.set _ZN7rocprim17ROCPRIM_400000_NS6detail17trampoline_kernelINS0_14default_configENS1_36segmented_radix_sort_config_selectorI12hip_bfloat16lEEZNS1_25segmented_radix_sort_implIS3_Lb1EPKS5_PS5_PKlPlN2at6native12_GLOBAL__N_18offset_tEEE10hipError_tPvRmT1_PNSt15iterator_traitsISL_E10value_typeET2_T3_PNSM_ISR_E10value_typeET4_jRbjT5_SX_jjP12ihipStream_tbEUlT_E_NS1_11comp_targetILNS1_3genE10ELNS1_11target_archE1200ELNS1_3gpuE4ELNS1_3repE0EEENS1_30default_config_static_selectorELNS0_4arch9wavefront6targetE0EEEvSL_.has_dyn_sized_stack, 0
	.set _ZN7rocprim17ROCPRIM_400000_NS6detail17trampoline_kernelINS0_14default_configENS1_36segmented_radix_sort_config_selectorI12hip_bfloat16lEEZNS1_25segmented_radix_sort_implIS3_Lb1EPKS5_PS5_PKlPlN2at6native12_GLOBAL__N_18offset_tEEE10hipError_tPvRmT1_PNSt15iterator_traitsISL_E10value_typeET2_T3_PNSM_ISR_E10value_typeET4_jRbjT5_SX_jjP12ihipStream_tbEUlT_E_NS1_11comp_targetILNS1_3genE10ELNS1_11target_archE1200ELNS1_3gpuE4ELNS1_3repE0EEENS1_30default_config_static_selectorELNS0_4arch9wavefront6targetE0EEEvSL_.has_recursion, 0
	.set _ZN7rocprim17ROCPRIM_400000_NS6detail17trampoline_kernelINS0_14default_configENS1_36segmented_radix_sort_config_selectorI12hip_bfloat16lEEZNS1_25segmented_radix_sort_implIS3_Lb1EPKS5_PS5_PKlPlN2at6native12_GLOBAL__N_18offset_tEEE10hipError_tPvRmT1_PNSt15iterator_traitsISL_E10value_typeET2_T3_PNSM_ISR_E10value_typeET4_jRbjT5_SX_jjP12ihipStream_tbEUlT_E_NS1_11comp_targetILNS1_3genE10ELNS1_11target_archE1200ELNS1_3gpuE4ELNS1_3repE0EEENS1_30default_config_static_selectorELNS0_4arch9wavefront6targetE0EEEvSL_.has_indirect_call, 0
	.section	.AMDGPU.csdata,"",@progbits
; Kernel info:
; codeLenInByte = 0
; TotalNumSgprs: 0
; NumVgprs: 0
; ScratchSize: 0
; MemoryBound: 0
; FloatMode: 240
; IeeeMode: 1
; LDSByteSize: 0 bytes/workgroup (compile time only)
; SGPRBlocks: 0
; VGPRBlocks: 0
; NumSGPRsForWavesPerEU: 1
; NumVGPRsForWavesPerEU: 1
; Occupancy: 16
; WaveLimiterHint : 0
; COMPUTE_PGM_RSRC2:SCRATCH_EN: 0
; COMPUTE_PGM_RSRC2:USER_SGPR: 6
; COMPUTE_PGM_RSRC2:TRAP_HANDLER: 0
; COMPUTE_PGM_RSRC2:TGID_X_EN: 1
; COMPUTE_PGM_RSRC2:TGID_Y_EN: 0
; COMPUTE_PGM_RSRC2:TGID_Z_EN: 0
; COMPUTE_PGM_RSRC2:TIDIG_COMP_CNT: 0
	.section	.text._ZN7rocprim17ROCPRIM_400000_NS6detail17trampoline_kernelINS0_14default_configENS1_36segmented_radix_sort_config_selectorI12hip_bfloat16lEEZNS1_25segmented_radix_sort_implIS3_Lb1EPKS5_PS5_PKlPlN2at6native12_GLOBAL__N_18offset_tEEE10hipError_tPvRmT1_PNSt15iterator_traitsISL_E10value_typeET2_T3_PNSM_ISR_E10value_typeET4_jRbjT5_SX_jjP12ihipStream_tbEUlT_E_NS1_11comp_targetILNS1_3genE9ELNS1_11target_archE1100ELNS1_3gpuE3ELNS1_3repE0EEENS1_30default_config_static_selectorELNS0_4arch9wavefront6targetE0EEEvSL_,"axG",@progbits,_ZN7rocprim17ROCPRIM_400000_NS6detail17trampoline_kernelINS0_14default_configENS1_36segmented_radix_sort_config_selectorI12hip_bfloat16lEEZNS1_25segmented_radix_sort_implIS3_Lb1EPKS5_PS5_PKlPlN2at6native12_GLOBAL__N_18offset_tEEE10hipError_tPvRmT1_PNSt15iterator_traitsISL_E10value_typeET2_T3_PNSM_ISR_E10value_typeET4_jRbjT5_SX_jjP12ihipStream_tbEUlT_E_NS1_11comp_targetILNS1_3genE9ELNS1_11target_archE1100ELNS1_3gpuE3ELNS1_3repE0EEENS1_30default_config_static_selectorELNS0_4arch9wavefront6targetE0EEEvSL_,comdat
	.globl	_ZN7rocprim17ROCPRIM_400000_NS6detail17trampoline_kernelINS0_14default_configENS1_36segmented_radix_sort_config_selectorI12hip_bfloat16lEEZNS1_25segmented_radix_sort_implIS3_Lb1EPKS5_PS5_PKlPlN2at6native12_GLOBAL__N_18offset_tEEE10hipError_tPvRmT1_PNSt15iterator_traitsISL_E10value_typeET2_T3_PNSM_ISR_E10value_typeET4_jRbjT5_SX_jjP12ihipStream_tbEUlT_E_NS1_11comp_targetILNS1_3genE9ELNS1_11target_archE1100ELNS1_3gpuE3ELNS1_3repE0EEENS1_30default_config_static_selectorELNS0_4arch9wavefront6targetE0EEEvSL_ ; -- Begin function _ZN7rocprim17ROCPRIM_400000_NS6detail17trampoline_kernelINS0_14default_configENS1_36segmented_radix_sort_config_selectorI12hip_bfloat16lEEZNS1_25segmented_radix_sort_implIS3_Lb1EPKS5_PS5_PKlPlN2at6native12_GLOBAL__N_18offset_tEEE10hipError_tPvRmT1_PNSt15iterator_traitsISL_E10value_typeET2_T3_PNSM_ISR_E10value_typeET4_jRbjT5_SX_jjP12ihipStream_tbEUlT_E_NS1_11comp_targetILNS1_3genE9ELNS1_11target_archE1100ELNS1_3gpuE3ELNS1_3repE0EEENS1_30default_config_static_selectorELNS0_4arch9wavefront6targetE0EEEvSL_
	.p2align	8
	.type	_ZN7rocprim17ROCPRIM_400000_NS6detail17trampoline_kernelINS0_14default_configENS1_36segmented_radix_sort_config_selectorI12hip_bfloat16lEEZNS1_25segmented_radix_sort_implIS3_Lb1EPKS5_PS5_PKlPlN2at6native12_GLOBAL__N_18offset_tEEE10hipError_tPvRmT1_PNSt15iterator_traitsISL_E10value_typeET2_T3_PNSM_ISR_E10value_typeET4_jRbjT5_SX_jjP12ihipStream_tbEUlT_E_NS1_11comp_targetILNS1_3genE9ELNS1_11target_archE1100ELNS1_3gpuE3ELNS1_3repE0EEENS1_30default_config_static_selectorELNS0_4arch9wavefront6targetE0EEEvSL_,@function
_ZN7rocprim17ROCPRIM_400000_NS6detail17trampoline_kernelINS0_14default_configENS1_36segmented_radix_sort_config_selectorI12hip_bfloat16lEEZNS1_25segmented_radix_sort_implIS3_Lb1EPKS5_PS5_PKlPlN2at6native12_GLOBAL__N_18offset_tEEE10hipError_tPvRmT1_PNSt15iterator_traitsISL_E10value_typeET2_T3_PNSM_ISR_E10value_typeET4_jRbjT5_SX_jjP12ihipStream_tbEUlT_E_NS1_11comp_targetILNS1_3genE9ELNS1_11target_archE1100ELNS1_3gpuE3ELNS1_3repE0EEENS1_30default_config_static_selectorELNS0_4arch9wavefront6targetE0EEEvSL_: ; @_ZN7rocprim17ROCPRIM_400000_NS6detail17trampoline_kernelINS0_14default_configENS1_36segmented_radix_sort_config_selectorI12hip_bfloat16lEEZNS1_25segmented_radix_sort_implIS3_Lb1EPKS5_PS5_PKlPlN2at6native12_GLOBAL__N_18offset_tEEE10hipError_tPvRmT1_PNSt15iterator_traitsISL_E10value_typeET2_T3_PNSM_ISR_E10value_typeET4_jRbjT5_SX_jjP12ihipStream_tbEUlT_E_NS1_11comp_targetILNS1_3genE9ELNS1_11target_archE1100ELNS1_3gpuE3ELNS1_3repE0EEENS1_30default_config_static_selectorELNS0_4arch9wavefront6targetE0EEEvSL_
; %bb.0:
	.section	.rodata,"a",@progbits
	.p2align	6, 0x0
	.amdhsa_kernel _ZN7rocprim17ROCPRIM_400000_NS6detail17trampoline_kernelINS0_14default_configENS1_36segmented_radix_sort_config_selectorI12hip_bfloat16lEEZNS1_25segmented_radix_sort_implIS3_Lb1EPKS5_PS5_PKlPlN2at6native12_GLOBAL__N_18offset_tEEE10hipError_tPvRmT1_PNSt15iterator_traitsISL_E10value_typeET2_T3_PNSM_ISR_E10value_typeET4_jRbjT5_SX_jjP12ihipStream_tbEUlT_E_NS1_11comp_targetILNS1_3genE9ELNS1_11target_archE1100ELNS1_3gpuE3ELNS1_3repE0EEENS1_30default_config_static_selectorELNS0_4arch9wavefront6targetE0EEEvSL_
		.amdhsa_group_segment_fixed_size 0
		.amdhsa_private_segment_fixed_size 0
		.amdhsa_kernarg_size 96
		.amdhsa_user_sgpr_count 6
		.amdhsa_user_sgpr_private_segment_buffer 1
		.amdhsa_user_sgpr_dispatch_ptr 0
		.amdhsa_user_sgpr_queue_ptr 0
		.amdhsa_user_sgpr_kernarg_segment_ptr 1
		.amdhsa_user_sgpr_dispatch_id 0
		.amdhsa_user_sgpr_flat_scratch_init 0
		.amdhsa_user_sgpr_private_segment_size 0
		.amdhsa_wavefront_size32 1
		.amdhsa_uses_dynamic_stack 0
		.amdhsa_system_sgpr_private_segment_wavefront_offset 0
		.amdhsa_system_sgpr_workgroup_id_x 1
		.amdhsa_system_sgpr_workgroup_id_y 0
		.amdhsa_system_sgpr_workgroup_id_z 0
		.amdhsa_system_sgpr_workgroup_info 0
		.amdhsa_system_vgpr_workitem_id 0
		.amdhsa_next_free_vgpr 1
		.amdhsa_next_free_sgpr 1
		.amdhsa_reserve_vcc 0
		.amdhsa_reserve_flat_scratch 0
		.amdhsa_float_round_mode_32 0
		.amdhsa_float_round_mode_16_64 0
		.amdhsa_float_denorm_mode_32 3
		.amdhsa_float_denorm_mode_16_64 3
		.amdhsa_dx10_clamp 1
		.amdhsa_ieee_mode 1
		.amdhsa_fp16_overflow 0
		.amdhsa_workgroup_processor_mode 1
		.amdhsa_memory_ordered 1
		.amdhsa_forward_progress 1
		.amdhsa_shared_vgpr_count 0
		.amdhsa_exception_fp_ieee_invalid_op 0
		.amdhsa_exception_fp_denorm_src 0
		.amdhsa_exception_fp_ieee_div_zero 0
		.amdhsa_exception_fp_ieee_overflow 0
		.amdhsa_exception_fp_ieee_underflow 0
		.amdhsa_exception_fp_ieee_inexact 0
		.amdhsa_exception_int_div_zero 0
	.end_amdhsa_kernel
	.section	.text._ZN7rocprim17ROCPRIM_400000_NS6detail17trampoline_kernelINS0_14default_configENS1_36segmented_radix_sort_config_selectorI12hip_bfloat16lEEZNS1_25segmented_radix_sort_implIS3_Lb1EPKS5_PS5_PKlPlN2at6native12_GLOBAL__N_18offset_tEEE10hipError_tPvRmT1_PNSt15iterator_traitsISL_E10value_typeET2_T3_PNSM_ISR_E10value_typeET4_jRbjT5_SX_jjP12ihipStream_tbEUlT_E_NS1_11comp_targetILNS1_3genE9ELNS1_11target_archE1100ELNS1_3gpuE3ELNS1_3repE0EEENS1_30default_config_static_selectorELNS0_4arch9wavefront6targetE0EEEvSL_,"axG",@progbits,_ZN7rocprim17ROCPRIM_400000_NS6detail17trampoline_kernelINS0_14default_configENS1_36segmented_radix_sort_config_selectorI12hip_bfloat16lEEZNS1_25segmented_radix_sort_implIS3_Lb1EPKS5_PS5_PKlPlN2at6native12_GLOBAL__N_18offset_tEEE10hipError_tPvRmT1_PNSt15iterator_traitsISL_E10value_typeET2_T3_PNSM_ISR_E10value_typeET4_jRbjT5_SX_jjP12ihipStream_tbEUlT_E_NS1_11comp_targetILNS1_3genE9ELNS1_11target_archE1100ELNS1_3gpuE3ELNS1_3repE0EEENS1_30default_config_static_selectorELNS0_4arch9wavefront6targetE0EEEvSL_,comdat
.Lfunc_end1943:
	.size	_ZN7rocprim17ROCPRIM_400000_NS6detail17trampoline_kernelINS0_14default_configENS1_36segmented_radix_sort_config_selectorI12hip_bfloat16lEEZNS1_25segmented_radix_sort_implIS3_Lb1EPKS5_PS5_PKlPlN2at6native12_GLOBAL__N_18offset_tEEE10hipError_tPvRmT1_PNSt15iterator_traitsISL_E10value_typeET2_T3_PNSM_ISR_E10value_typeET4_jRbjT5_SX_jjP12ihipStream_tbEUlT_E_NS1_11comp_targetILNS1_3genE9ELNS1_11target_archE1100ELNS1_3gpuE3ELNS1_3repE0EEENS1_30default_config_static_selectorELNS0_4arch9wavefront6targetE0EEEvSL_, .Lfunc_end1943-_ZN7rocprim17ROCPRIM_400000_NS6detail17trampoline_kernelINS0_14default_configENS1_36segmented_radix_sort_config_selectorI12hip_bfloat16lEEZNS1_25segmented_radix_sort_implIS3_Lb1EPKS5_PS5_PKlPlN2at6native12_GLOBAL__N_18offset_tEEE10hipError_tPvRmT1_PNSt15iterator_traitsISL_E10value_typeET2_T3_PNSM_ISR_E10value_typeET4_jRbjT5_SX_jjP12ihipStream_tbEUlT_E_NS1_11comp_targetILNS1_3genE9ELNS1_11target_archE1100ELNS1_3gpuE3ELNS1_3repE0EEENS1_30default_config_static_selectorELNS0_4arch9wavefront6targetE0EEEvSL_
                                        ; -- End function
	.set _ZN7rocprim17ROCPRIM_400000_NS6detail17trampoline_kernelINS0_14default_configENS1_36segmented_radix_sort_config_selectorI12hip_bfloat16lEEZNS1_25segmented_radix_sort_implIS3_Lb1EPKS5_PS5_PKlPlN2at6native12_GLOBAL__N_18offset_tEEE10hipError_tPvRmT1_PNSt15iterator_traitsISL_E10value_typeET2_T3_PNSM_ISR_E10value_typeET4_jRbjT5_SX_jjP12ihipStream_tbEUlT_E_NS1_11comp_targetILNS1_3genE9ELNS1_11target_archE1100ELNS1_3gpuE3ELNS1_3repE0EEENS1_30default_config_static_selectorELNS0_4arch9wavefront6targetE0EEEvSL_.num_vgpr, 0
	.set _ZN7rocprim17ROCPRIM_400000_NS6detail17trampoline_kernelINS0_14default_configENS1_36segmented_radix_sort_config_selectorI12hip_bfloat16lEEZNS1_25segmented_radix_sort_implIS3_Lb1EPKS5_PS5_PKlPlN2at6native12_GLOBAL__N_18offset_tEEE10hipError_tPvRmT1_PNSt15iterator_traitsISL_E10value_typeET2_T3_PNSM_ISR_E10value_typeET4_jRbjT5_SX_jjP12ihipStream_tbEUlT_E_NS1_11comp_targetILNS1_3genE9ELNS1_11target_archE1100ELNS1_3gpuE3ELNS1_3repE0EEENS1_30default_config_static_selectorELNS0_4arch9wavefront6targetE0EEEvSL_.num_agpr, 0
	.set _ZN7rocprim17ROCPRIM_400000_NS6detail17trampoline_kernelINS0_14default_configENS1_36segmented_radix_sort_config_selectorI12hip_bfloat16lEEZNS1_25segmented_radix_sort_implIS3_Lb1EPKS5_PS5_PKlPlN2at6native12_GLOBAL__N_18offset_tEEE10hipError_tPvRmT1_PNSt15iterator_traitsISL_E10value_typeET2_T3_PNSM_ISR_E10value_typeET4_jRbjT5_SX_jjP12ihipStream_tbEUlT_E_NS1_11comp_targetILNS1_3genE9ELNS1_11target_archE1100ELNS1_3gpuE3ELNS1_3repE0EEENS1_30default_config_static_selectorELNS0_4arch9wavefront6targetE0EEEvSL_.numbered_sgpr, 0
	.set _ZN7rocprim17ROCPRIM_400000_NS6detail17trampoline_kernelINS0_14default_configENS1_36segmented_radix_sort_config_selectorI12hip_bfloat16lEEZNS1_25segmented_radix_sort_implIS3_Lb1EPKS5_PS5_PKlPlN2at6native12_GLOBAL__N_18offset_tEEE10hipError_tPvRmT1_PNSt15iterator_traitsISL_E10value_typeET2_T3_PNSM_ISR_E10value_typeET4_jRbjT5_SX_jjP12ihipStream_tbEUlT_E_NS1_11comp_targetILNS1_3genE9ELNS1_11target_archE1100ELNS1_3gpuE3ELNS1_3repE0EEENS1_30default_config_static_selectorELNS0_4arch9wavefront6targetE0EEEvSL_.num_named_barrier, 0
	.set _ZN7rocprim17ROCPRIM_400000_NS6detail17trampoline_kernelINS0_14default_configENS1_36segmented_radix_sort_config_selectorI12hip_bfloat16lEEZNS1_25segmented_radix_sort_implIS3_Lb1EPKS5_PS5_PKlPlN2at6native12_GLOBAL__N_18offset_tEEE10hipError_tPvRmT1_PNSt15iterator_traitsISL_E10value_typeET2_T3_PNSM_ISR_E10value_typeET4_jRbjT5_SX_jjP12ihipStream_tbEUlT_E_NS1_11comp_targetILNS1_3genE9ELNS1_11target_archE1100ELNS1_3gpuE3ELNS1_3repE0EEENS1_30default_config_static_selectorELNS0_4arch9wavefront6targetE0EEEvSL_.private_seg_size, 0
	.set _ZN7rocprim17ROCPRIM_400000_NS6detail17trampoline_kernelINS0_14default_configENS1_36segmented_radix_sort_config_selectorI12hip_bfloat16lEEZNS1_25segmented_radix_sort_implIS3_Lb1EPKS5_PS5_PKlPlN2at6native12_GLOBAL__N_18offset_tEEE10hipError_tPvRmT1_PNSt15iterator_traitsISL_E10value_typeET2_T3_PNSM_ISR_E10value_typeET4_jRbjT5_SX_jjP12ihipStream_tbEUlT_E_NS1_11comp_targetILNS1_3genE9ELNS1_11target_archE1100ELNS1_3gpuE3ELNS1_3repE0EEENS1_30default_config_static_selectorELNS0_4arch9wavefront6targetE0EEEvSL_.uses_vcc, 0
	.set _ZN7rocprim17ROCPRIM_400000_NS6detail17trampoline_kernelINS0_14default_configENS1_36segmented_radix_sort_config_selectorI12hip_bfloat16lEEZNS1_25segmented_radix_sort_implIS3_Lb1EPKS5_PS5_PKlPlN2at6native12_GLOBAL__N_18offset_tEEE10hipError_tPvRmT1_PNSt15iterator_traitsISL_E10value_typeET2_T3_PNSM_ISR_E10value_typeET4_jRbjT5_SX_jjP12ihipStream_tbEUlT_E_NS1_11comp_targetILNS1_3genE9ELNS1_11target_archE1100ELNS1_3gpuE3ELNS1_3repE0EEENS1_30default_config_static_selectorELNS0_4arch9wavefront6targetE0EEEvSL_.uses_flat_scratch, 0
	.set _ZN7rocprim17ROCPRIM_400000_NS6detail17trampoline_kernelINS0_14default_configENS1_36segmented_radix_sort_config_selectorI12hip_bfloat16lEEZNS1_25segmented_radix_sort_implIS3_Lb1EPKS5_PS5_PKlPlN2at6native12_GLOBAL__N_18offset_tEEE10hipError_tPvRmT1_PNSt15iterator_traitsISL_E10value_typeET2_T3_PNSM_ISR_E10value_typeET4_jRbjT5_SX_jjP12ihipStream_tbEUlT_E_NS1_11comp_targetILNS1_3genE9ELNS1_11target_archE1100ELNS1_3gpuE3ELNS1_3repE0EEENS1_30default_config_static_selectorELNS0_4arch9wavefront6targetE0EEEvSL_.has_dyn_sized_stack, 0
	.set _ZN7rocprim17ROCPRIM_400000_NS6detail17trampoline_kernelINS0_14default_configENS1_36segmented_radix_sort_config_selectorI12hip_bfloat16lEEZNS1_25segmented_radix_sort_implIS3_Lb1EPKS5_PS5_PKlPlN2at6native12_GLOBAL__N_18offset_tEEE10hipError_tPvRmT1_PNSt15iterator_traitsISL_E10value_typeET2_T3_PNSM_ISR_E10value_typeET4_jRbjT5_SX_jjP12ihipStream_tbEUlT_E_NS1_11comp_targetILNS1_3genE9ELNS1_11target_archE1100ELNS1_3gpuE3ELNS1_3repE0EEENS1_30default_config_static_selectorELNS0_4arch9wavefront6targetE0EEEvSL_.has_recursion, 0
	.set _ZN7rocprim17ROCPRIM_400000_NS6detail17trampoline_kernelINS0_14default_configENS1_36segmented_radix_sort_config_selectorI12hip_bfloat16lEEZNS1_25segmented_radix_sort_implIS3_Lb1EPKS5_PS5_PKlPlN2at6native12_GLOBAL__N_18offset_tEEE10hipError_tPvRmT1_PNSt15iterator_traitsISL_E10value_typeET2_T3_PNSM_ISR_E10value_typeET4_jRbjT5_SX_jjP12ihipStream_tbEUlT_E_NS1_11comp_targetILNS1_3genE9ELNS1_11target_archE1100ELNS1_3gpuE3ELNS1_3repE0EEENS1_30default_config_static_selectorELNS0_4arch9wavefront6targetE0EEEvSL_.has_indirect_call, 0
	.section	.AMDGPU.csdata,"",@progbits
; Kernel info:
; codeLenInByte = 0
; TotalNumSgprs: 0
; NumVgprs: 0
; ScratchSize: 0
; MemoryBound: 0
; FloatMode: 240
; IeeeMode: 1
; LDSByteSize: 0 bytes/workgroup (compile time only)
; SGPRBlocks: 0
; VGPRBlocks: 0
; NumSGPRsForWavesPerEU: 1
; NumVGPRsForWavesPerEU: 1
; Occupancy: 16
; WaveLimiterHint : 0
; COMPUTE_PGM_RSRC2:SCRATCH_EN: 0
; COMPUTE_PGM_RSRC2:USER_SGPR: 6
; COMPUTE_PGM_RSRC2:TRAP_HANDLER: 0
; COMPUTE_PGM_RSRC2:TGID_X_EN: 1
; COMPUTE_PGM_RSRC2:TGID_Y_EN: 0
; COMPUTE_PGM_RSRC2:TGID_Z_EN: 0
; COMPUTE_PGM_RSRC2:TIDIG_COMP_CNT: 0
	.text
	.p2align	2                               ; -- Begin function _ZN7rocprim17ROCPRIM_400000_NS6detail40segmented_radix_sort_single_block_helperI12hip_bfloat16lLj256ELj8ELb1EE4sortIPKS3_PS3_PKlPlEEbT_T0_T1_T2_jjjjRNS4_12storage_typeE
	.type	_ZN7rocprim17ROCPRIM_400000_NS6detail40segmented_radix_sort_single_block_helperI12hip_bfloat16lLj256ELj8ELb1EE4sortIPKS3_PS3_PKlPlEEbT_T0_T1_T2_jjjjRNS4_12storage_typeE,@function
_ZN7rocprim17ROCPRIM_400000_NS6detail40segmented_radix_sort_single_block_helperI12hip_bfloat16lLj256ELj8ELb1EE4sortIPKS3_PS3_PKlPlEEbT_T0_T1_T2_jjjjRNS4_12storage_typeE: ; @_ZN7rocprim17ROCPRIM_400000_NS6detail40segmented_radix_sort_single_block_helperI12hip_bfloat16lLj256ELj8ELb1EE4sortIPKS3_PS3_PKlPlEEbT_T0_T1_T2_jjjjRNS4_12storage_typeE
; %bb.0:
	s_waitcnt vmcnt(0) expcnt(0) lgkmcnt(0)
	v_sub_nc_u32_e32 v128, v9, v8
	s_mov_b32 s22, exec_lo
	v_cmpx_gt_u32_e32 0x801, v128
	s_cbranch_execz .LBB1944_199
; %bb.1:
	v_bfe_u32 v14, v31, 10, 10
	v_bfe_u32 v15, v31, 20, 10
	v_and_b32_e32 v30, 0x3ff, v31
	v_mbcnt_lo_u32_b32 v66, -1, 0
	s_mov_b32 s4, exec_lo
	v_cmpx_lt_u32_e32 0x400, v128
	s_xor_b32 s23, exec_lo, s4
	s_cbranch_execz .LBB1944_79
; %bb.2:
	s_load_dwordx2 s[4:5], s[8:9], 0x0
	v_mov_b32_e32 v9, 0
	v_lshlrev_b64 v[26:27], 1, v[8:9]
	v_add_co_u32 v18, vcc_lo, v0, v26
	v_add_co_ci_u32_e64 v19, null, v1, v27, vcc_lo
	s_waitcnt lgkmcnt(0)
	s_cmp_lt_u32 s13, s5
	s_cselect_b32 s5, 14, 20
	s_add_u32 s6, s8, s5
	s_addc_u32 s7, s9, 0
	s_cmp_lt_u32 s12, s4
	global_load_ushort v16, v9, s[6:7]
	s_cselect_b32 s4, 12, 18
	s_add_u32 s4, s8, s4
	s_addc_u32 s5, s9, 0
	global_load_ushort v17, v9, s[4:5]
	s_waitcnt vmcnt(1)
	v_mad_u32_u24 v14, v15, v16, v14
	v_mov_b32_e32 v15, v9
	v_mov_b32_e32 v16, -1
	s_waitcnt vmcnt(0)
	v_mad_u64_u32 v[24:25], null, v14, v17, v[30:31]
	v_lshlrev_b32_e32 v17, 1, v66
	v_add_co_u32 v17, vcc_lo, v18, v17
	v_lshlrev_b32_e32 v14, 3, v24
	v_add_co_ci_u32_e64 v18, null, 0, v19, vcc_lo
	v_and_b32_e32 v14, 0xffffff00, v14
	v_lshlrev_b64 v[0:1], 1, v[14:15]
	v_or_b32_e32 v25, v14, v66
	v_cmp_lt_u32_e32 vcc_lo, v25, v128
	v_add_co_u32 v0, s4, v17, v0
	v_add_co_ci_u32_e64 v1, null, v18, v1, s4
	v_mov_b32_e32 v17, -1
	s_and_saveexec_b32 s4, vcc_lo
	s_cbranch_execz .LBB1944_4
; %bb.3:
	flat_load_ushort v17, v[0:1]
.LBB1944_4:
	s_or_b32 exec_lo, exec_lo, s4
	v_or_b32_e32 v18, 32, v25
	v_cmp_lt_u32_e64 s4, v18, v128
	s_and_saveexec_b32 s5, s4
	s_cbranch_execz .LBB1944_6
; %bb.5:
	flat_load_ushort v16, v[0:1] offset:64
.LBB1944_6:
	s_or_b32 exec_lo, exec_lo, s5
	v_or_b32_e32 v19, 64, v25
	v_mov_b32_e32 v18, -1
	v_cmp_lt_u32_e64 s5, v19, v128
	v_mov_b32_e32 v19, -1
	s_and_saveexec_b32 s6, s5
	s_cbranch_execz .LBB1944_8
; %bb.7:
	flat_load_ushort v19, v[0:1] offset:128
.LBB1944_8:
	s_or_b32 exec_lo, exec_lo, s6
	v_or_b32_e32 v20, 0x60, v25
	v_cmp_lt_u32_e64 s6, v20, v128
	s_and_saveexec_b32 s7, s6
	s_cbranch_execz .LBB1944_10
; %bb.9:
	flat_load_ushort v18, v[0:1] offset:192
.LBB1944_10:
	s_or_b32 exec_lo, exec_lo, s7
	v_or_b32_e32 v21, 0x80, v25
	v_mov_b32_e32 v20, -1
	v_cmp_lt_u32_e64 s7, v21, v128
	v_mov_b32_e32 v21, -1
	s_and_saveexec_b32 s10, s7
	s_cbranch_execz .LBB1944_12
; %bb.11:
	flat_load_ushort v21, v[0:1] offset:256
.LBB1944_12:
	;; [unrolled: 18-line block ×3, first 2 shown]
	s_or_b32 exec_lo, exec_lo, s14
	v_or_b32_e32 v25, 0xe0, v25
	v_cmp_lt_u32_e64 s14, v25, v128
	s_and_saveexec_b32 s15, s14
	s_cbranch_execz .LBB1944_18
; %bb.17:
	flat_load_ushort v22, v[0:1] offset:448
.LBB1944_18:
	s_or_b32 exec_lo, exec_lo, s15
	v_lshlrev_b64 v[0:1], 3, v[8:9]
	v_lshlrev_b32_e32 v8, 3, v66
                                        ; implicit-def: $vgpr33_vgpr34
	v_add_co_u32 v9, s15, v4, v0
	v_add_co_ci_u32_e64 v25, null, v5, v1, s15
	v_lshlrev_b64 v[4:5], 3, v[14:15]
	v_add_co_u32 v8, s15, v9, v8
	v_add_co_ci_u32_e64 v9, null, 0, v25, s15
	v_add_co_u32 v4, s15, v8, v4
	v_add_co_ci_u32_e64 v5, null, v9, v5, s15
	s_and_saveexec_b32 s15, vcc_lo
	s_cbranch_execnz .LBB1944_112
; %bb.19:
	s_or_b32 exec_lo, exec_lo, s15
                                        ; implicit-def: $vgpr35_vgpr36
	s_and_saveexec_b32 s15, s4
	s_cbranch_execnz .LBB1944_113
.LBB1944_20:
	s_or_b32 exec_lo, exec_lo, s15
                                        ; implicit-def: $vgpr37_vgpr38
	s_and_saveexec_b32 s4, s5
	s_cbranch_execnz .LBB1944_114
.LBB1944_21:
	s_or_b32 exec_lo, exec_lo, s4
                                        ; implicit-def: $vgpr48_vgpr49
	s_and_saveexec_b32 s4, s6
	s_cbranch_execnz .LBB1944_115
.LBB1944_22:
	s_or_b32 exec_lo, exec_lo, s4
                                        ; implicit-def: $vgpr50_vgpr51
	s_and_saveexec_b32 s4, s7
	s_cbranch_execnz .LBB1944_116
.LBB1944_23:
	s_or_b32 exec_lo, exec_lo, s4
                                        ; implicit-def: $vgpr52_vgpr53
	s_and_saveexec_b32 s4, s10
	s_cbranch_execnz .LBB1944_117
.LBB1944_24:
	s_or_b32 exec_lo, exec_lo, s4
                                        ; implicit-def: $vgpr54_vgpr55
	s_and_saveexec_b32 s4, s11
	s_cbranch_execnz .LBB1944_118
.LBB1944_25:
	s_or_b32 exec_lo, exec_lo, s4
                                        ; implicit-def: $vgpr64_vgpr65
	s_and_saveexec_b32 s4, s14
	s_cbranch_execz .LBB1944_27
.LBB1944_26:
	flat_load_dwordx2 v[64:65], v[4:5] offset:1792
.LBB1944_27:
	s_or_b32 exec_lo, exec_lo, s4
	s_waitcnt vmcnt(0) lgkmcnt(0)
	v_cmp_gt_i16_e32 vcc_lo, 0, v17
	s_getpc_b64 s[4:5]
	s_add_u32 s4, s4, _ZN7rocprim17ROCPRIM_400000_NS16block_radix_sortI12hip_bfloat16Lj256ELj8ElLj1ELj1ELj8ELNS0_26block_radix_rank_algorithmE2ELNS0_18block_padding_hintE2ELNS0_4arch9wavefront6targetE0EE19radix_bits_per_passE@rel32@lo+4
	s_addc_u32 s5, s5, _ZN7rocprim17ROCPRIM_400000_NS16block_radix_sortI12hip_bfloat16Lj256ELj8ElLj1ELj1ELj8ELNS0_26block_radix_rank_algorithmE2ELNS0_18block_padding_hintE2ELNS0_4arch9wavefront6targetE0EE19radix_bits_per_passE@rel32@hi+12
	v_lshrrev_b32_e32 v135, 5, v24
	s_load_dword s24, s[4:5], 0x0
	v_cmp_gt_u32_e64 s14, 8, v30
	v_cndmask_b32_e64 v4, 0x7fff, 0, vcc_lo
	v_cmp_gt_i16_e32 vcc_lo, 0, v16
	v_cmp_lt_u32_e64 s15, 31, v30
	v_cmp_eq_u32_e64 s16, 0, v30
	v_lshl_add_u32 v147, v30, 2, v12
	v_xor_b32_e32 v183, v4, v17
	v_cndmask_b32_e64 v5, 0x7fff, 0, vcc_lo
	v_cmp_gt_i16_e32 vcc_lo, 0, v19
	v_sub_nc_u32_e32 v166, v11, v10
	s_mov_b32 s25, 0
	s_waitcnt lgkmcnt(0)
	s_waitcnt_vscnt null, 0x0
	v_xor_b32_e32 v83, v5, v16
	v_cndmask_b32_e64 v8, 0x7fff, 0, vcc_lo
	v_cmp_gt_i16_e32 vcc_lo, 0, v18
	s_barrier
	buffer_gl0_inv
	v_xor_b32_e32 v85, v8, v19
	v_cndmask_b32_e64 v9, 0x7fff, 0, vcc_lo
	v_cmp_gt_i16_e32 vcc_lo, 0, v21
	v_xor_b32_e32 v87, v9, v18
	v_cndmask_b32_e64 v14, 0x7fff, 0, vcc_lo
	v_cmp_gt_i16_e32 vcc_lo, 0, v20
	v_and_b32_e32 v9, 16, v66
	v_xor_b32_e32 v81, v14, v21
	v_cndmask_b32_e64 v4, 0x7fff, 0, vcc_lo
	v_cmp_gt_i16_e32 vcc_lo, 0, v23
	v_sub_co_u32 v14, s6, v66, 1
	v_cmp_eq_u32_e64 s10, 0, v9
	v_xor_b32_e32 v67, v4, v20
	v_lshl_add_u32 v4, v30, 5, v12
	v_cndmask_b32_e64 v5, 0x7fff, 0, vcc_lo
	v_cmp_gt_i16_e32 vcc_lo, 0, v22
	v_cmp_gt_i32_e64 s11, 0, v14
	v_add_nc_u32_e32 v25, 32, v4
	v_add_nc_u32_e32 v39, 36, v4
	;; [unrolled: 1-line block ×8, first 2 shown]
	v_and_b32_e32 v4, 0x3e0, v30
	v_cndmask_b32_e64 v8, 0x7fff, 0, vcc_lo
	v_xor_b32_e32 v71, v5, v23
	v_lshlrev_b32_e32 v5, 3, v30
	v_cndmask_b32_e64 v9, v14, v66, s11
	v_min_u32_e32 v4, 0xe0, v4
	v_xor_b32_e32 v69, v8, v22
	v_and_b32_e32 v8, 15, v66
	v_lshlrev_b32_e32 v144, 2, v9
	v_or_b32_e32 v4, 31, v4
	v_cmp_eq_u32_e32 vcc_lo, 0, v8
	v_cmp_lt_u32_e64 s4, 1, v8
	v_cmp_lt_u32_e64 s5, 3, v8
	v_cmp_eq_u32_e64 s11, v30, v4
	v_and_or_b32 v4, 0x1f00, v5, v66
	v_cmp_lt_u32_e64 s7, 7, v8
	v_lshrrev_b32_e32 v8, 3, v30
	v_lshl_add_u32 v145, v4, 1, v12
	v_mul_u32_u24_e32 v4, 6, v4
	v_and_b32_e32 v5, 0x7c, v8
	v_and_b32_e32 v8, 7, v66
	v_add_nc_u32_e32 v149, 0x180, v145
	v_add_nc_u32_e32 v148, v145, v4
	;; [unrolled: 1-line block ×3, first 2 shown]
	v_mov_b32_e32 v5, 0
	v_cmp_eq_u32_e64 s17, 0, v8
	v_cmp_lt_u32_e64 s18, 1, v8
	v_cmp_lt_u32_e64 s19, 3, v8
	v_add_nc_u32_e32 v150, 0x1c0, v145
	v_add_nc_u32_e32 v151, 0x100, v148
	;; [unrolled: 1-line block ×8, first 2 shown]
	s_branch .LBB1944_29
.LBB1944_28:                            ;   in Loop: Header=BB1944_29 Depth=1
	s_or_b32 exec_lo, exec_lo, s21
	s_and_b32 s20, exec_lo, s26
	s_or_b32 s25, s20, s25
	s_andn2_b32 exec_lo, exec_lo, s25
	s_cbranch_execz .LBB1944_53
.LBB1944_29:                            ; =>This Inner Loop Header: Depth=1
	v_mov_b32_e32 v167, v183
	v_min_u32_e32 v4, s24, v166
	v_mov_b32_e32 v28, v35
	v_mov_b32_e32 v29, v36
	;; [unrolled: 1-line block ×3, first 2 shown]
	v_cmp_ne_u16_e64 s20, 0x8000, v167
	v_lshlrev_b32_e64 v4, v4, -1
	v_mov_b32_e32 v32, v34
	v_mov_b32_e32 v22, v37
	v_mov_b32_e32 v23, v38
	v_cndmask_b32_e64 v8, 0x7fff, v167, s20
	v_not_b32_e32 v36, v4
	v_mov_b32_e32 v18, v50
	v_mov_b32_e32 v19, v51
	;; [unrolled: 1-line block ×3, first 2 shown]
	v_lshrrev_b32_sdwa v4, v10, v8 dst_sel:DWORD dst_unused:UNUSED_PAD src0_sel:DWORD src1_sel:WORD_0
	v_mov_b32_e32 v21, v49
	v_mov_b32_e32 v16, v52
	;; [unrolled: 1-line block ×4, first 2 shown]
	v_and_b32_e32 v4, v4, v36
	v_mov_b32_e32 v17, v53
	v_mov_b32_e32 v15, v55
	;; [unrolled: 1-line block ×4, first 2 shown]
	v_and_b32_e32 v33, 1, v4
	v_lshlrev_b32_e32 v34, 30, v4
	v_lshlrev_b32_e32 v35, 29, v4
	v_lshlrev_b32_e32 v38, 28, v4
	v_lshlrev_b32_e32 v48, 27, v4
	v_add_co_u32 v33, s20, v33, -1
	v_cndmask_b32_e64 v37, 0, 1, s20
	v_not_b32_e32 v50, v34
	v_cmp_gt_i32_e64 s21, 0, v34
	v_not_b32_e32 v34, v35
	v_lshlrev_b32_e32 v49, 26, v4
	v_cmp_ne_u32_e64 s20, 0, v37
	v_ashrrev_i32_e32 v50, 31, v50
	v_lshlrev_b32_e32 v37, 25, v4
	v_ashrrev_i32_e32 v34, 31, v34
	v_mov_b32_e32 v177, v85
	v_xor_b32_e32 v33, s20, v33
	v_cmp_gt_i32_e64 s20, 0, v35
	v_not_b32_e32 v35, v38
	v_xor_b32_e32 v50, s21, v50
	v_cmp_gt_i32_e64 s21, 0, v38
	v_and_b32_e32 v33, exec_lo, v33
	v_not_b32_e32 v38, v48
	v_ashrrev_i32_e32 v35, 31, v35
	v_xor_b32_e32 v34, s20, v34
	v_cmp_gt_i32_e64 s20, 0, v48
	v_and_b32_e32 v33, v33, v50
	v_not_b32_e32 v48, v49
	v_ashrrev_i32_e32 v38, 31, v38
	v_xor_b32_e32 v35, s21, v35
	v_cmp_gt_i32_e64 s21, 0, v49
	v_and_b32_e32 v33, v33, v34
	;; [unrolled: 5-line block ×3, first 2 shown]
	v_lshlrev_b32_e32 v35, 24, v4
	v_ashrrev_i32_e32 v34, 31, v34
	v_xor_b32_e32 v37, s21, v48
	v_lshlrev_b32_e32 v4, 3, v4
	v_and_b32_e32 v33, v33, v38
	v_not_b32_e32 v38, v35
	v_xor_b32_e32 v34, s20, v34
	v_cmp_gt_i32_e64 s20, 0, v35
	v_mov_b32_e32 v176, v87
	v_and_b32_e32 v33, v33, v37
	v_ashrrev_i32_e32 v35, 31, v38
	v_mov_b32_e32 v179, v81
	v_mov_b32_e32 v180, v67
	;; [unrolled: 1-line block ×3, first 2 shown]
	v_and_b32_e32 v33, v33, v34
	v_xor_b32_e32 v34, s20, v35
	v_mov_b32_e32 v182, v69
	ds_write_b32 v25, v5
	ds_write_b32 v39, v5
	;; [unrolled: 1-line block ×5, first 2 shown]
	v_and_b32_e32 v34, v33, v34
	v_add_lshl_u32 v33, v4, v135, 2
	ds_write_b32 v132, v5
	ds_write_b32 v133, v5
	;; [unrolled: 1-line block ×3, first 2 shown]
	s_waitcnt lgkmcnt(0)
	v_mbcnt_lo_u32_b32 v4, v34, 0
	v_add_co_u32 v33, null, v12, v33
	v_cmp_ne_u32_e64 s21, 0, v34
	s_barrier
	v_cmp_eq_u32_e64 s20, 0, v4
	v_add_co_u32 v33, null, v33, 32
	buffer_gl0_inv
	s_and_b32 s21, s21, s20
	; wave barrier
	s_and_saveexec_b32 s20, s21
; %bb.30:                               ;   in Loop: Header=BB1944_29 Depth=1
	v_bcnt_u32_b32 v34, v34, 0
	ds_write_b32 v33, v34
; %bb.31:                               ;   in Loop: Header=BB1944_29 Depth=1
	s_or_b32 exec_lo, exec_lo, s20
	v_cmp_ne_u16_e64 s20, 0x8000, v178
	; wave barrier
	v_cndmask_b32_e64 v34, 0x7fff, v178, s20
	v_lshrrev_b32_sdwa v34, v10, v34 dst_sel:DWORD dst_unused:UNUSED_PAD src0_sel:DWORD src1_sel:WORD_0
	v_and_b32_e32 v34, v34, v36
	v_and_b32_e32 v35, 1, v34
	v_lshlrev_b32_e32 v37, 30, v34
	v_lshlrev_b32_e32 v38, 29, v34
	;; [unrolled: 1-line block ×4, first 2 shown]
	v_add_co_u32 v35, s20, v35, -1
	v_cndmask_b32_e64 v49, 0, 1, s20
	v_not_b32_e32 v53, v37
	v_cmp_gt_i32_e64 s21, 0, v37
	v_not_b32_e32 v37, v38
	v_lshlrev_b32_e32 v51, 26, v34
	v_cmp_ne_u32_e64 s20, 0, v49
	v_ashrrev_i32_e32 v53, 31, v53
	v_lshlrev_b32_e32 v52, 25, v34
	v_ashrrev_i32_e32 v37, 31, v37
	v_lshlrev_b32_e32 v49, 24, v34
	v_xor_b32_e32 v35, s20, v35
	v_cmp_gt_i32_e64 s20, 0, v38
	v_not_b32_e32 v38, v48
	v_xor_b32_e32 v53, s21, v53
	v_cmp_gt_i32_e64 s21, 0, v48
	v_and_b32_e32 v35, exec_lo, v35
	v_not_b32_e32 v48, v50
	v_ashrrev_i32_e32 v38, 31, v38
	v_xor_b32_e32 v37, s20, v37
	v_cmp_gt_i32_e64 s20, 0, v50
	v_and_b32_e32 v35, v35, v53
	v_not_b32_e32 v50, v51
	v_ashrrev_i32_e32 v48, 31, v48
	v_xor_b32_e32 v38, s21, v38
	v_cmp_gt_i32_e64 s21, 0, v51
	v_and_b32_e32 v35, v35, v37
	;; [unrolled: 5-line block ×3, first 2 shown]
	v_not_b32_e32 v38, v49
	v_ashrrev_i32_e32 v37, 31, v37
	v_xor_b32_e32 v50, s21, v50
	v_lshl_add_u32 v34, v34, 3, v135
	v_and_b32_e32 v35, v35, v48
	v_cmp_gt_i32_e64 s21, 0, v49
	v_ashrrev_i32_e32 v38, 31, v38
	v_xor_b32_e32 v37, s20, v37
	v_lshl_add_u32 v48, v34, 2, v12
	v_and_b32_e32 v35, v35, v50
	v_xor_b32_e32 v38, s21, v38
	ds_read_b32 v34, v48 offset:32
	v_and_b32_e32 v35, v35, v37
	v_add_nc_u32_e32 v37, 32, v48
	; wave barrier
	v_and_b32_e32 v38, v35, v38
	v_mbcnt_lo_u32_b32 v35, v38, 0
	v_cmp_ne_u32_e64 s21, 0, v38
	v_cmp_eq_u32_e64 s20, 0, v35
	s_and_b32 s21, s21, s20
	s_and_saveexec_b32 s20, s21
	s_cbranch_execz .LBB1944_33
; %bb.32:                               ;   in Loop: Header=BB1944_29 Depth=1
	s_waitcnt lgkmcnt(0)
	v_bcnt_u32_b32 v38, v38, v34
	ds_write_b32 v37, v38
.LBB1944_33:                            ;   in Loop: Header=BB1944_29 Depth=1
	s_or_b32 exec_lo, exec_lo, s20
	v_cmp_ne_u16_e64 s20, 0x8000, v177
	; wave barrier
	v_cndmask_b32_e64 v38, 0x7fff, v177, s20
	v_lshrrev_b32_sdwa v38, v10, v38 dst_sel:DWORD dst_unused:UNUSED_PAD src0_sel:DWORD src1_sel:WORD_0
	v_and_b32_e32 v38, v38, v36
	v_and_b32_e32 v48, 1, v38
	v_lshlrev_b32_e32 v49, 30, v38
	v_lshlrev_b32_e32 v50, 29, v38
	;; [unrolled: 1-line block ×4, first 2 shown]
	v_add_co_u32 v48, s20, v48, -1
	v_cndmask_b32_e64 v52, 0, 1, s20
	v_not_b32_e32 v64, v49
	v_cmp_gt_i32_e64 s21, 0, v49
	v_not_b32_e32 v49, v50
	v_lshlrev_b32_e32 v54, 26, v38
	v_cmp_ne_u32_e64 s20, 0, v52
	v_ashrrev_i32_e32 v64, 31, v64
	v_lshlrev_b32_e32 v55, 25, v38
	v_ashrrev_i32_e32 v49, 31, v49
	v_lshlrev_b32_e32 v52, 24, v38
	v_xor_b32_e32 v48, s20, v48
	v_cmp_gt_i32_e64 s20, 0, v50
	v_not_b32_e32 v50, v51
	v_xor_b32_e32 v64, s21, v64
	v_cmp_gt_i32_e64 s21, 0, v51
	v_and_b32_e32 v48, exec_lo, v48
	v_not_b32_e32 v51, v53
	v_ashrrev_i32_e32 v50, 31, v50
	v_xor_b32_e32 v49, s20, v49
	v_cmp_gt_i32_e64 s20, 0, v53
	v_and_b32_e32 v48, v48, v64
	v_not_b32_e32 v53, v54
	v_ashrrev_i32_e32 v51, 31, v51
	v_xor_b32_e32 v50, s21, v50
	v_cmp_gt_i32_e64 s21, 0, v54
	v_and_b32_e32 v48, v48, v49
	;; [unrolled: 5-line block ×3, first 2 shown]
	v_not_b32_e32 v50, v52
	v_ashrrev_i32_e32 v49, 31, v49
	v_xor_b32_e32 v53, s21, v53
	v_lshl_add_u32 v38, v38, 3, v135
	v_and_b32_e32 v48, v48, v51
	v_cmp_gt_i32_e64 s21, 0, v52
	v_ashrrev_i32_e32 v50, 31, v50
	v_xor_b32_e32 v49, s20, v49
	v_lshl_add_u32 v51, v38, 2, v12
	v_and_b32_e32 v48, v48, v53
	v_xor_b32_e32 v50, s21, v50
	ds_read_b32 v38, v51 offset:32
	v_and_b32_e32 v48, v48, v49
	v_add_nc_u32_e32 v49, 32, v51
	; wave barrier
	v_and_b32_e32 v50, v48, v50
	v_mbcnt_lo_u32_b32 v48, v50, 0
	v_cmp_ne_u32_e64 s21, 0, v50
	v_cmp_eq_u32_e64 s20, 0, v48
	s_and_b32 s21, s21, s20
	s_and_saveexec_b32 s20, s21
	s_cbranch_execz .LBB1944_35
; %bb.34:                               ;   in Loop: Header=BB1944_29 Depth=1
	s_waitcnt lgkmcnt(0)
	v_bcnt_u32_b32 v50, v50, v38
	ds_write_b32 v49, v50
.LBB1944_35:                            ;   in Loop: Header=BB1944_29 Depth=1
	s_or_b32 exec_lo, exec_lo, s20
	v_cmp_ne_u16_e64 s20, 0x8000, v176
	; wave barrier
	v_cndmask_b32_e64 v50, 0x7fff, v176, s20
	v_lshrrev_b32_sdwa v50, v10, v50 dst_sel:DWORD dst_unused:UNUSED_PAD src0_sel:DWORD src1_sel:WORD_0
	v_and_b32_e32 v50, v50, v36
	v_and_b32_e32 v51, 1, v50
	v_lshlrev_b32_e32 v52, 30, v50
	v_lshlrev_b32_e32 v53, 29, v50
	;; [unrolled: 1-line block ×4, first 2 shown]
	v_add_co_u32 v51, s20, v51, -1
	v_cndmask_b32_e64 v55, 0, 1, s20
	v_not_b32_e32 v67, v52
	v_cmp_gt_i32_e64 s21, 0, v52
	v_not_b32_e32 v52, v53
	v_lshlrev_b32_e32 v65, 26, v50
	v_cmp_ne_u32_e64 s20, 0, v55
	v_ashrrev_i32_e32 v67, 31, v67
	v_lshlrev_b32_e32 v66, 25, v50
	v_ashrrev_i32_e32 v52, 31, v52
	v_lshlrev_b32_e32 v55, 24, v50
	v_xor_b32_e32 v51, s20, v51
	v_cmp_gt_i32_e64 s20, 0, v53
	v_not_b32_e32 v53, v54
	v_xor_b32_e32 v67, s21, v67
	v_cmp_gt_i32_e64 s21, 0, v54
	v_and_b32_e32 v51, exec_lo, v51
	v_not_b32_e32 v54, v64
	v_ashrrev_i32_e32 v53, 31, v53
	v_xor_b32_e32 v52, s20, v52
	v_cmp_gt_i32_e64 s20, 0, v64
	v_and_b32_e32 v51, v51, v67
	v_not_b32_e32 v64, v65
	v_ashrrev_i32_e32 v54, 31, v54
	v_xor_b32_e32 v53, s21, v53
	v_cmp_gt_i32_e64 s21, 0, v65
	v_and_b32_e32 v51, v51, v52
	;; [unrolled: 5-line block ×3, first 2 shown]
	v_not_b32_e32 v53, v55
	v_ashrrev_i32_e32 v52, 31, v52
	v_xor_b32_e32 v64, s21, v64
	v_lshl_add_u32 v50, v50, 3, v135
	v_and_b32_e32 v51, v51, v54
	v_cmp_gt_i32_e64 s21, 0, v55
	v_ashrrev_i32_e32 v53, 31, v53
	v_xor_b32_e32 v52, s20, v52
	v_lshl_add_u32 v54, v50, 2, v12
	v_and_b32_e32 v51, v51, v64
	v_xor_b32_e32 v53, s21, v53
	ds_read_b32 v50, v54 offset:32
	v_and_b32_e32 v51, v51, v52
	v_add_nc_u32_e32 v52, 32, v54
	; wave barrier
	v_and_b32_e32 v53, v51, v53
	v_mbcnt_lo_u32_b32 v51, v53, 0
	v_cmp_ne_u32_e64 s21, 0, v53
	v_cmp_eq_u32_e64 s20, 0, v51
	s_and_b32 s21, s21, s20
	s_and_saveexec_b32 s20, s21
	s_cbranch_execz .LBB1944_37
; %bb.36:                               ;   in Loop: Header=BB1944_29 Depth=1
	s_waitcnt lgkmcnt(0)
	v_bcnt_u32_b32 v53, v53, v50
	ds_write_b32 v52, v53
.LBB1944_37:                            ;   in Loop: Header=BB1944_29 Depth=1
	s_or_b32 exec_lo, exec_lo, s20
	v_cmp_ne_u16_e64 s20, 0x8000, v179
	; wave barrier
	v_cndmask_b32_e64 v53, 0x7fff, v179, s20
	v_lshrrev_b32_sdwa v53, v10, v53 dst_sel:DWORD dst_unused:UNUSED_PAD src0_sel:DWORD src1_sel:WORD_0
	v_and_b32_e32 v53, v53, v36
	v_and_b32_e32 v54, 1, v53
	v_lshlrev_b32_e32 v55, 30, v53
	v_lshlrev_b32_e32 v64, 29, v53
	;; [unrolled: 1-line block ×4, first 2 shown]
	v_add_co_u32 v54, s20, v54, -1
	v_cndmask_b32_e64 v66, 0, 1, s20
	v_not_b32_e32 v70, v55
	v_cmp_gt_i32_e64 s21, 0, v55
	v_not_b32_e32 v55, v64
	v_lshlrev_b32_e32 v68, 26, v53
	v_cmp_ne_u32_e64 s20, 0, v66
	v_ashrrev_i32_e32 v70, 31, v70
	v_lshlrev_b32_e32 v69, 25, v53
	v_ashrrev_i32_e32 v55, 31, v55
	v_lshlrev_b32_e32 v66, 24, v53
	v_xor_b32_e32 v54, s20, v54
	v_cmp_gt_i32_e64 s20, 0, v64
	v_not_b32_e32 v64, v65
	v_xor_b32_e32 v70, s21, v70
	v_cmp_gt_i32_e64 s21, 0, v65
	v_and_b32_e32 v54, exec_lo, v54
	v_not_b32_e32 v65, v67
	v_ashrrev_i32_e32 v64, 31, v64
	v_xor_b32_e32 v55, s20, v55
	v_cmp_gt_i32_e64 s20, 0, v67
	v_and_b32_e32 v54, v54, v70
	v_not_b32_e32 v67, v68
	v_ashrrev_i32_e32 v65, 31, v65
	v_xor_b32_e32 v64, s21, v64
	v_cmp_gt_i32_e64 s21, 0, v68
	v_and_b32_e32 v54, v54, v55
	;; [unrolled: 5-line block ×3, first 2 shown]
	v_not_b32_e32 v64, v66
	v_ashrrev_i32_e32 v55, 31, v55
	v_xor_b32_e32 v67, s21, v67
	v_lshl_add_u32 v53, v53, 3, v135
	v_and_b32_e32 v54, v54, v65
	v_cmp_gt_i32_e64 s21, 0, v66
	v_ashrrev_i32_e32 v64, 31, v64
	v_xor_b32_e32 v55, s20, v55
	v_lshl_add_u32 v65, v53, 2, v12
	v_and_b32_e32 v54, v54, v67
	v_xor_b32_e32 v64, s21, v64
	ds_read_b32 v53, v65 offset:32
	v_and_b32_e32 v54, v54, v55
	v_add_nc_u32_e32 v55, 32, v65
	; wave barrier
	v_and_b32_e32 v64, v54, v64
	v_mbcnt_lo_u32_b32 v54, v64, 0
	v_cmp_ne_u32_e64 s21, 0, v64
	v_cmp_eq_u32_e64 s20, 0, v54
	s_and_b32 s21, s21, s20
	s_and_saveexec_b32 s20, s21
	s_cbranch_execz .LBB1944_39
; %bb.38:                               ;   in Loop: Header=BB1944_29 Depth=1
	s_waitcnt lgkmcnt(0)
	v_bcnt_u32_b32 v64, v64, v53
	ds_write_b32 v55, v64
.LBB1944_39:                            ;   in Loop: Header=BB1944_29 Depth=1
	s_or_b32 exec_lo, exec_lo, s20
	v_cmp_ne_u16_e64 s20, 0x8000, v180
	; wave barrier
	v_cndmask_b32_e64 v64, 0x7fff, v180, s20
	v_lshrrev_b32_sdwa v64, v10, v64 dst_sel:DWORD dst_unused:UNUSED_PAD src0_sel:DWORD src1_sel:WORD_0
	v_and_b32_e32 v64, v64, v36
	v_and_b32_e32 v65, 1, v64
	v_lshlrev_b32_e32 v66, 30, v64
	v_lshlrev_b32_e32 v67, 29, v64
	;; [unrolled: 1-line block ×4, first 2 shown]
	v_add_co_u32 v65, s20, v65, -1
	v_cndmask_b32_e64 v69, 0, 1, s20
	v_not_b32_e32 v81, v66
	v_cmp_gt_i32_e64 s21, 0, v66
	v_not_b32_e32 v66, v67
	v_lshlrev_b32_e32 v71, 26, v64
	v_cmp_ne_u32_e64 s20, 0, v69
	v_ashrrev_i32_e32 v81, 31, v81
	v_lshlrev_b32_e32 v80, 25, v64
	v_ashrrev_i32_e32 v66, 31, v66
	v_lshlrev_b32_e32 v69, 24, v64
	v_xor_b32_e32 v65, s20, v65
	v_cmp_gt_i32_e64 s20, 0, v67
	v_not_b32_e32 v67, v68
	v_xor_b32_e32 v81, s21, v81
	v_cmp_gt_i32_e64 s21, 0, v68
	v_and_b32_e32 v65, exec_lo, v65
	v_not_b32_e32 v68, v70
	v_ashrrev_i32_e32 v67, 31, v67
	v_xor_b32_e32 v66, s20, v66
	v_cmp_gt_i32_e64 s20, 0, v70
	v_and_b32_e32 v65, v65, v81
	v_not_b32_e32 v70, v71
	v_ashrrev_i32_e32 v68, 31, v68
	v_xor_b32_e32 v67, s21, v67
	v_cmp_gt_i32_e64 s21, 0, v71
	v_and_b32_e32 v65, v65, v66
	;; [unrolled: 5-line block ×3, first 2 shown]
	v_not_b32_e32 v67, v69
	v_ashrrev_i32_e32 v66, 31, v66
	v_xor_b32_e32 v70, s21, v70
	v_lshl_add_u32 v64, v64, 3, v135
	v_and_b32_e32 v65, v65, v68
	v_cmp_gt_i32_e64 s21, 0, v69
	v_ashrrev_i32_e32 v67, 31, v67
	v_xor_b32_e32 v66, s20, v66
	v_lshl_add_u32 v68, v64, 2, v12
	v_and_b32_e32 v65, v65, v70
	v_xor_b32_e32 v67, s21, v67
	ds_read_b32 v64, v68 offset:32
	v_and_b32_e32 v65, v65, v66
	v_add_nc_u32_e32 v66, 32, v68
	; wave barrier
	v_and_b32_e32 v67, v65, v67
	v_mbcnt_lo_u32_b32 v65, v67, 0
	v_cmp_ne_u32_e64 s21, 0, v67
	v_cmp_eq_u32_e64 s20, 0, v65
	s_and_b32 s21, s21, s20
	s_and_saveexec_b32 s20, s21
	s_cbranch_execz .LBB1944_41
; %bb.40:                               ;   in Loop: Header=BB1944_29 Depth=1
	s_waitcnt lgkmcnt(0)
	v_bcnt_u32_b32 v67, v67, v64
	ds_write_b32 v66, v67
.LBB1944_41:                            ;   in Loop: Header=BB1944_29 Depth=1
	s_or_b32 exec_lo, exec_lo, s20
	v_cmp_ne_u16_e64 s20, 0x8000, v181
	; wave barrier
	v_cndmask_b32_e64 v67, 0x7fff, v181, s20
	v_lshrrev_b32_sdwa v67, v10, v67 dst_sel:DWORD dst_unused:UNUSED_PAD src0_sel:DWORD src1_sel:WORD_0
	v_and_b32_e32 v67, v67, v36
	v_and_b32_e32 v68, 1, v67
	v_lshlrev_b32_e32 v69, 30, v67
	v_lshlrev_b32_e32 v70, 29, v67
	;; [unrolled: 1-line block ×4, first 2 shown]
	v_add_co_u32 v68, s20, v68, -1
	v_cndmask_b32_e64 v80, 0, 1, s20
	v_not_b32_e32 v84, v69
	v_cmp_gt_i32_e64 s21, 0, v69
	v_not_b32_e32 v69, v70
	v_lshlrev_b32_e32 v82, 26, v67
	v_cmp_ne_u32_e64 s20, 0, v80
	v_ashrrev_i32_e32 v84, 31, v84
	v_lshlrev_b32_e32 v83, 25, v67
	v_ashrrev_i32_e32 v69, 31, v69
	v_lshlrev_b32_e32 v80, 24, v67
	v_xor_b32_e32 v68, s20, v68
	v_cmp_gt_i32_e64 s20, 0, v70
	v_not_b32_e32 v70, v71
	v_xor_b32_e32 v84, s21, v84
	v_cmp_gt_i32_e64 s21, 0, v71
	v_and_b32_e32 v68, exec_lo, v68
	v_not_b32_e32 v71, v81
	v_ashrrev_i32_e32 v70, 31, v70
	v_xor_b32_e32 v69, s20, v69
	v_cmp_gt_i32_e64 s20, 0, v81
	v_and_b32_e32 v68, v68, v84
	v_not_b32_e32 v81, v82
	v_ashrrev_i32_e32 v71, 31, v71
	v_xor_b32_e32 v70, s21, v70
	v_cmp_gt_i32_e64 s21, 0, v82
	v_and_b32_e32 v68, v68, v69
	;; [unrolled: 5-line block ×3, first 2 shown]
	v_not_b32_e32 v70, v80
	v_ashrrev_i32_e32 v69, 31, v69
	v_xor_b32_e32 v81, s21, v81
	v_lshl_add_u32 v67, v67, 3, v135
	v_and_b32_e32 v68, v68, v71
	v_cmp_gt_i32_e64 s21, 0, v80
	v_ashrrev_i32_e32 v70, 31, v70
	v_xor_b32_e32 v69, s20, v69
	v_lshl_add_u32 v67, v67, 2, v12
	v_and_b32_e32 v68, v68, v81
	v_xor_b32_e32 v70, s21, v70
	ds_read_b32 v84, v67 offset:32
	v_and_b32_e32 v68, v68, v69
	v_add_nc_u32_e32 v67, 32, v67
	; wave barrier
	v_and_b32_e32 v68, v68, v70
	v_mbcnt_lo_u32_b32 v86, v68, 0
	v_cmp_ne_u32_e64 s21, 0, v68
	v_cmp_eq_u32_e64 s20, 0, v86
	s_and_b32 s21, s21, s20
	s_and_saveexec_b32 s20, s21
	s_cbranch_execz .LBB1944_43
; %bb.42:                               ;   in Loop: Header=BB1944_29 Depth=1
	s_waitcnt lgkmcnt(0)
	v_bcnt_u32_b32 v68, v68, v84
	ds_write_b32 v67, v68
.LBB1944_43:                            ;   in Loop: Header=BB1944_29 Depth=1
	s_or_b32 exec_lo, exec_lo, s20
	v_cmp_ne_u16_e64 s20, 0x8000, v182
	; wave barrier
	v_cndmask_b32_e64 v68, 0x7fff, v182, s20
	v_lshrrev_b32_sdwa v68, v10, v68 dst_sel:DWORD dst_unused:UNUSED_PAD src0_sel:DWORD src1_sel:WORD_0
	v_and_b32_e32 v36, v68, v36
	v_and_b32_e32 v68, 1, v36
	v_lshlrev_b32_e32 v69, 30, v36
	v_lshlrev_b32_e32 v70, 29, v36
	;; [unrolled: 1-line block ×4, first 2 shown]
	v_add_co_u32 v68, s20, v68, -1
	v_cndmask_b32_e64 v80, 0, 1, s20
	v_not_b32_e32 v85, v69
	v_cmp_gt_i32_e64 s21, 0, v69
	v_not_b32_e32 v69, v70
	v_lshlrev_b32_e32 v82, 26, v36
	v_cmp_ne_u32_e64 s20, 0, v80
	v_ashrrev_i32_e32 v85, 31, v85
	v_lshlrev_b32_e32 v83, 25, v36
	v_ashrrev_i32_e32 v69, 31, v69
	v_lshlrev_b32_e32 v80, 24, v36
	v_xor_b32_e32 v68, s20, v68
	v_cmp_gt_i32_e64 s20, 0, v70
	v_not_b32_e32 v70, v71
	v_xor_b32_e32 v85, s21, v85
	v_cmp_gt_i32_e64 s21, 0, v71
	v_and_b32_e32 v68, exec_lo, v68
	v_not_b32_e32 v71, v81
	v_ashrrev_i32_e32 v70, 31, v70
	v_xor_b32_e32 v69, s20, v69
	v_cmp_gt_i32_e64 s20, 0, v81
	v_and_b32_e32 v68, v68, v85
	v_not_b32_e32 v81, v82
	v_ashrrev_i32_e32 v71, 31, v71
	v_xor_b32_e32 v70, s21, v70
	v_cmp_gt_i32_e64 s21, 0, v82
	v_and_b32_e32 v68, v68, v69
	v_not_b32_e32 v69, v83
	v_ashrrev_i32_e32 v81, 31, v81
	v_xor_b32_e32 v71, s20, v71
	v_cmp_gt_i32_e64 s20, 0, v83
	v_and_b32_e32 v68, v68, v70
	v_not_b32_e32 v70, v80
	v_ashrrev_i32_e32 v69, 31, v69
	v_xor_b32_e32 v81, s21, v81
	v_lshl_add_u32 v36, v36, 3, v135
	v_and_b32_e32 v68, v68, v71
	v_cmp_gt_i32_e64 s21, 0, v80
	v_ashrrev_i32_e32 v70, 31, v70
	v_xor_b32_e32 v69, s20, v69
	v_lshl_add_u32 v71, v36, 2, v12
	v_and_b32_e32 v68, v68, v81
	v_xor_b32_e32 v70, s21, v70
	ds_read_b32 v36, v71 offset:32
	v_and_b32_e32 v68, v68, v69
	; wave barrier
	v_and_b32_e32 v69, v68, v70
	v_add_nc_u32_e32 v68, 32, v71
	v_mbcnt_lo_u32_b32 v96, v69, 0
	v_cmp_ne_u32_e64 s21, 0, v69
	v_cmp_eq_u32_e64 s20, 0, v96
	s_and_b32 s21, s21, s20
	s_and_saveexec_b32 s20, s21
	s_cbranch_execz .LBB1944_45
; %bb.44:                               ;   in Loop: Header=BB1944_29 Depth=1
	s_waitcnt lgkmcnt(0)
	v_bcnt_u32_b32 v69, v69, v36
	ds_write_b32 v68, v69
.LBB1944_45:                            ;   in Loop: Header=BB1944_29 Depth=1
	s_or_b32 exec_lo, exec_lo, s20
	; wave barrier
	s_waitcnt lgkmcnt(0)
	s_barrier
	buffer_gl0_inv
	ds_read_b32 v70, v25
	ds_read_b32 v71, v39
	;; [unrolled: 1-line block ×8, first 2 shown]
	s_waitcnt lgkmcnt(6)
	v_add_nc_u32_e32 v87, v71, v70
	s_waitcnt lgkmcnt(4)
	v_add3_u32 v87, v87, v80, v81
	s_waitcnt lgkmcnt(2)
	v_add3_u32 v87, v87, v82, v83
	;; [unrolled: 2-line block ×3, first 2 shown]
	v_mov_b32_dpp v87, v85 row_shr:1 row_mask:0xf bank_mask:0xf
	v_cndmask_b32_e64 v87, v87, 0, vcc_lo
	v_add_nc_u32_e32 v85, v87, v85
	v_mov_b32_dpp v87, v85 row_shr:2 row_mask:0xf bank_mask:0xf
	v_cndmask_b32_e64 v87, 0, v87, s4
	v_add_nc_u32_e32 v85, v85, v87
	v_mov_b32_dpp v87, v85 row_shr:4 row_mask:0xf bank_mask:0xf
	v_cndmask_b32_e64 v87, 0, v87, s5
	;; [unrolled: 3-line block ×3, first 2 shown]
	v_add_nc_u32_e32 v85, v85, v87
	ds_swizzle_b32 v87, v85 offset:swizzle(BROADCAST,32,15)
	s_waitcnt lgkmcnt(0)
	v_cndmask_b32_e64 v87, v87, 0, s10
	v_add_nc_u32_e32 v85, v85, v87
	s_and_saveexec_b32 s20, s11
; %bb.46:                               ;   in Loop: Header=BB1944_29 Depth=1
	ds_write_b32 v146, v85
; %bb.47:                               ;   in Loop: Header=BB1944_29 Depth=1
	s_or_b32 exec_lo, exec_lo, s20
	s_waitcnt lgkmcnt(0)
	s_barrier
	buffer_gl0_inv
	s_and_saveexec_b32 s20, s14
	s_cbranch_execz .LBB1944_49
; %bb.48:                               ;   in Loop: Header=BB1944_29 Depth=1
	ds_read_b32 v87, v147
	s_waitcnt lgkmcnt(0)
	v_mov_b32_dpp v97, v87 row_shr:1 row_mask:0xf bank_mask:0xf
	v_cndmask_b32_e64 v97, v97, 0, s17
	v_add_nc_u32_e32 v87, v97, v87
	v_mov_b32_dpp v97, v87 row_shr:2 row_mask:0xf bank_mask:0xf
	v_cndmask_b32_e64 v97, 0, v97, s18
	v_add_nc_u32_e32 v87, v87, v97
	;; [unrolled: 3-line block ×3, first 2 shown]
	ds_write_b32 v147, v87
.LBB1944_49:                            ;   in Loop: Header=BB1944_29 Depth=1
	s_or_b32 exec_lo, exec_lo, s20
	v_mov_b32_e32 v87, 0
	s_waitcnt lgkmcnt(0)
	s_barrier
	buffer_gl0_inv
	s_and_saveexec_b32 s20, s15
; %bb.50:                               ;   in Loop: Header=BB1944_29 Depth=1
	v_add_nc_u32_e32 v87, -4, v146
	ds_read_b32 v87, v87
; %bb.51:                               ;   in Loop: Header=BB1944_29 Depth=1
	s_or_b32 exec_lo, exec_lo, s20
	s_waitcnt lgkmcnt(0)
	v_add_nc_u32_e32 v85, v87, v85
	v_add_nc_u32_e32 v10, 8, v10
	s_mov_b32 s26, -1
                                        ; implicit-def: $vgpr183
	ds_bpermute_b32 v85, v144, v85
	v_cmp_lt_u32_e64 s20, v10, v11
	s_waitcnt lgkmcnt(0)
	v_cndmask_b32_e64 v85, v85, v87, s6
	v_mov_b32_e32 v87, v5
	v_cndmask_b32_e64 v85, v85, 0, s16
	v_add_nc_u32_e32 v70, v85, v70
	v_add_nc_u32_e32 v71, v70, v71
	ds_write_b32 v25, v85
	ds_write_b32 v39, v70
	;; [unrolled: 1-line block ×3, first 2 shown]
	v_mov_b32_e32 v85, v5
	v_add_nc_u32_e32 v80, v71, v80
	v_mov_b32_e32 v71, v5
	v_add_nc_u32_e32 v81, v80, v81
	v_add_nc_u32_e32 v82, v81, v82
	;; [unrolled: 1-line block ×4, first 2 shown]
	ds_write_b32 v130, v80
	ds_write_b32 v131, v81
	;; [unrolled: 1-line block ×5, first 2 shown]
	s_waitcnt lgkmcnt(0)
	s_barrier
	buffer_gl0_inv
	ds_read_b32 v33, v33
	ds_read_b32 v37, v37
	ds_read_b32 v49, v49
	ds_read_b32 v52, v52
	ds_read_b32 v55, v55
	ds_read_b32 v82, v66
	ds_read_b32 v97, v67
	ds_read_b32 v98, v68
	v_mov_b32_e32 v67, v5
	v_mov_b32_e32 v69, v5
	;; [unrolled: 1-line block ×4, first 2 shown]
	s_waitcnt lgkmcnt(0)
	v_add_nc_u32_e32 v4, v33, v4
	v_add3_u32 v70, v35, v34, v37
	v_add3_u32 v66, v48, v38, v49
	v_add3_u32 v68, v51, v50, v52
	v_add3_u32 v80, v54, v53, v55
	v_lshlrev_b64 v[33:34], 1, v[4:5]
	v_add3_u32 v84, v86, v84, v97
	v_add3_u32 v86, v96, v36, v98
	v_lshlrev_b64 v[35:36], 1, v[70:71]
	v_lshlrev_b64 v[37:38], 1, v[66:67]
	v_add3_u32 v82, v65, v64, v82
	v_lshlrev_b64 v[48:49], 1, v[68:69]
	v_add_co_u32 v116, s21, v12, v33
	v_lshlrev_b64 v[50:51], 1, v[80:81]
	v_add_co_ci_u32_e64 v117, null, v13, v34, s21
	v_add_co_u32 v118, s21, v12, v35
	v_lshlrev_b64 v[52:53], 1, v[82:83]
	v_add_co_ci_u32_e64 v119, null, v13, v36, s21
	;; [unrolled: 3-line block ×4, first 2 shown]
	v_add_co_u32 v100, s21, v12, v50
	v_add_co_ci_u32_e64 v101, null, v13, v51, s21
	v_add_co_u32 v102, s21, v12, v52
	v_add_co_ci_u32_e64 v103, null, v13, v53, s21
	;; [unrolled: 2-line block ×4, first 2 shown]
                                        ; implicit-def: $vgpr33_vgpr34
                                        ; implicit-def: $vgpr35_vgpr36
                                        ; implicit-def: $vgpr37_vgpr38
                                        ; implicit-def: $vgpr48_vgpr49
                                        ; implicit-def: $vgpr50_vgpr51
                                        ; implicit-def: $vgpr52_vgpr53
                                        ; implicit-def: $vgpr54_vgpr55
                                        ; implicit-def: $vgpr64_vgpr65
                                        ; implicit-def: $vgpr83
                                        ; implicit-def: $vgpr85
                                        ; implicit-def: $vgpr87
                                        ; implicit-def: $vgpr81
                                        ; implicit-def: $vgpr67
                                        ; implicit-def: $vgpr71
                                        ; implicit-def: $vgpr69
	s_and_saveexec_b32 s21, s20
	s_cbranch_execz .LBB1944_28
; %bb.52:                               ;   in Loop: Header=BB1944_29 Depth=1
	v_add_nc_u32_e32 v33, 64, v145
	v_add_nc_u32_e32 v34, 0x80, v145
	;; [unrolled: 1-line block ×5, first 2 shown]
	s_barrier
	buffer_gl0_inv
	ds_write_b16 v116, v167
	ds_write_b16 v118, v178
	;; [unrolled: 1-line block ×8, first 2 shown]
	s_waitcnt lgkmcnt(0)
	s_barrier
	buffer_gl0_inv
	ds_read_u16 v183, v145
	ds_read_u16 v83, v33
	;; [unrolled: 1-line block ×8, first 2 shown]
	v_mad_u64_u32 v[33:34], null, v4, 6, v[116:117]
	v_mad_u64_u32 v[34:35], null, v70, 6, v[118:119]
	;; [unrolled: 1-line block ×8, first 2 shown]
	s_waitcnt lgkmcnt(0)
	s_barrier
	buffer_gl0_inv
	ds_write_b64 v33, v[31:32]
	ds_write_b64 v34, v[28:29]
	;; [unrolled: 1-line block ×8, first 2 shown]
	s_waitcnt lgkmcnt(0)
	s_barrier
	buffer_gl0_inv
	ds_read_b64 v[33:34], v148
	ds_read_b64 v[35:36], v151
	;; [unrolled: 1-line block ×8, first 2 shown]
	v_add_nc_u32_e32 v166, -8, v166
	s_xor_b32 s26, exec_lo, -1
	s_waitcnt lgkmcnt(0)
	s_barrier
	buffer_gl0_inv
	s_branch .LBB1944_28
.LBB1944_53:
	s_or_b32 exec_lo, exec_lo, s25
	v_mad_u64_u32 v[10:11], null, v4, 6, v[116:117]
	v_lshl_add_u32 v25, v30, 1, v12
	v_mad_u64_u32 v[11:12], null, v70, 6, v[118:119]
	s_barrier
	buffer_gl0_inv
	ds_write_b16 v116, v167
	ds_write_b16 v118, v178
	;; [unrolled: 1-line block ×8, first 2 shown]
	s_waitcnt lgkmcnt(0)
	s_barrier
	buffer_gl0_inv
	ds_read_u16 v38, v25
	ds_read_u16 v37, v25 offset:512
	ds_read_u16 v36, v25 offset:1024
	;; [unrolled: 1-line block ×7, first 2 shown]
	s_waitcnt lgkmcnt(0)
	s_barrier
	buffer_gl0_inv
	ds_write_b64 v10, v[31:32]
	ds_write_b64 v11, v[28:29]
	v_mad_u64_u32 v[10:11], null, v66, 6, v[96:97]
	v_mad_u64_u32 v[11:12], null, v68, 6, v[98:99]
	;; [unrolled: 1-line block ×4, first 2 shown]
	ds_write_b64 v10, v[22:23]
	v_mul_u32_u24_e32 v10, 6, v30
	v_mad_u64_u32 v[28:29], null, v82, 6, v[102:103]
	v_mad_u64_u32 v[31:32], null, v84, 6, v[112:113]
	v_add_nc_u32_e32 v10, v25, v10
	ds_write_b64 v11, v[20:21]
	ds_write_b64 v12, v[18:19]
	;; [unrolled: 1-line block ×5, first 2 shown]
	s_waitcnt lgkmcnt(0)
	s_barrier
	buffer_gl0_inv
	ds_read2st64_b64 v[20:23], v10 offset1:4
	ds_read2st64_b64 v[16:19], v10 offset0:8 offset1:12
	ds_read2st64_b64 v[12:15], v10 offset0:16 offset1:20
	;; [unrolled: 1-line block ×3, first 2 shown]
	v_mov_b32_e32 v25, 0
	v_add_co_u32 v2, vcc_lo, v2, v26
	v_add_co_ci_u32_e64 v3, null, v3, v27, vcc_lo
	v_lshlrev_b64 v[28:29], 1, v[24:25]
	s_waitcnt lgkmcnt(0)
	s_barrier
	buffer_gl0_inv
	v_add_co_u32 v2, vcc_lo, v2, v28
	v_add_co_ci_u32_e64 v3, null, v3, v29, vcc_lo
	v_cmp_lt_u32_e32 vcc_lo, v24, v128
	s_and_saveexec_b32 s5, vcc_lo
	s_cbranch_execz .LBB1944_55
; %bb.54:
	v_cmp_gt_i16_e64 s4, 0, v38
	v_cndmask_b32_e64 v26, 0x7fff, 0, s4
	v_xor_b32_e32 v26, v26, v38
	flat_store_short v[2:3], v26
.LBB1944_55:
	s_or_b32 exec_lo, exec_lo, s5
	v_add_nc_u32_e32 v26, 0x100, v24
	v_cmp_lt_u32_e64 s4, v26, v128
	s_and_saveexec_b32 s6, s4
	s_cbranch_execz .LBB1944_57
; %bb.56:
	v_cmp_gt_i16_e64 s5, 0, v37
	v_cndmask_b32_e64 v26, 0x7fff, 0, s5
	v_xor_b32_e32 v26, v26, v37
	flat_store_short v[2:3], v26 offset:512
.LBB1944_57:
	s_or_b32 exec_lo, exec_lo, s6
	v_add_nc_u32_e32 v26, 0x200, v24
	v_cmp_lt_u32_e64 s5, v26, v128
	s_and_saveexec_b32 s7, s5
	s_cbranch_execz .LBB1944_59
; %bb.58:
	v_cmp_gt_i16_e64 s6, 0, v36
	v_cndmask_b32_e64 v26, 0x7fff, 0, s6
	v_xor_b32_e32 v26, v26, v36
	flat_store_short v[2:3], v26 offset:1024
.LBB1944_59:
	;; [unrolled: 11-line block ×3, first 2 shown]
	s_or_b32 exec_lo, exec_lo, s10
	v_add_nc_u32_e32 v26, 0x400, v24
	v_cmp_lt_u32_e64 s7, v26, v128
	s_and_saveexec_b32 s11, s7
	s_cbranch_execz .LBB1944_63
; %bb.62:
	v_cmp_gt_i16_e64 s10, 0, v34
	v_cndmask_b32_e64 v26, 0x7fff, 0, s10
	v_xor_b32_e32 v28, v26, v34
	v_add_co_u32 v26, s10, 0x800, v2
	v_add_co_ci_u32_e64 v27, null, 0, v3, s10
	flat_store_short v[26:27], v28
.LBB1944_63:
	s_or_b32 exec_lo, exec_lo, s11
	v_add_nc_u32_e32 v26, 0x500, v24
	v_cmp_lt_u32_e64 s10, v26, v128
	s_and_saveexec_b32 s14, s10
	s_cbranch_execz .LBB1944_65
; %bb.64:
	v_cmp_gt_i16_e64 s11, 0, v33
	v_cndmask_b32_e64 v26, 0x7fff, 0, s11
	v_xor_b32_e32 v28, v26, v33
	v_add_co_u32 v26, s11, 0x800, v2
	v_add_co_ci_u32_e64 v27, null, 0, v3, s11
	flat_store_short v[26:27], v28 offset:512
.LBB1944_65:
	s_or_b32 exec_lo, exec_lo, s14
	v_add_nc_u32_e32 v26, 0x600, v24
	v_cmp_lt_u32_e64 s11, v26, v128
	s_and_saveexec_b32 s15, s11
	s_cbranch_execz .LBB1944_67
; %bb.66:
	v_cmp_gt_i16_e64 s14, 0, v5
	v_cndmask_b32_e64 v26, 0x7fff, 0, s14
	v_xor_b32_e32 v5, v26, v5
	v_add_co_u32 v26, s14, 0x800, v2
	v_add_co_ci_u32_e64 v27, null, 0, v3, s14
	flat_store_short v[26:27], v5 offset:1024
.LBB1944_67:
	s_or_b32 exec_lo, exec_lo, s15
	v_add_nc_u32_e32 v5, 0x700, v24
	v_cmp_lt_u32_e64 s14, v5, v128
	s_and_saveexec_b32 s16, s14
	s_cbranch_execz .LBB1944_69
; %bb.68:
	v_cmp_gt_i16_e64 s15, 0, v4
	v_cndmask_b32_e64 v5, 0x7fff, 0, s15
	v_add_co_u32 v2, s15, 0x800, v2
	v_add_co_ci_u32_e64 v3, null, 0, v3, s15
	v_xor_b32_e32 v4, v5, v4
	flat_store_short v[2:3], v4 offset:1536
.LBB1944_69:
	s_or_b32 exec_lo, exec_lo, s16
	v_lshlrev_b64 v[2:3], 3, v[24:25]
	v_add_co_u32 v0, s15, v6, v0
	v_add_co_ci_u32_e64 v1, null, v7, v1, s15
	v_add_co_u32 v0, s15, v0, v2
	v_add_co_ci_u32_e64 v1, null, v1, v3, s15
	s_and_saveexec_b32 s15, vcc_lo
	s_cbranch_execnz .LBB1944_119
; %bb.70:
	s_or_b32 exec_lo, exec_lo, s15
	s_and_saveexec_b32 s15, s4
	s_cbranch_execnz .LBB1944_120
.LBB1944_71:
	s_or_b32 exec_lo, exec_lo, s15
	s_and_saveexec_b32 s4, s5
	s_cbranch_execnz .LBB1944_121
.LBB1944_72:
	s_or_b32 exec_lo, exec_lo, s4
	s_and_saveexec_b32 s4, s6
	s_cbranch_execnz .LBB1944_122
.LBB1944_73:
	s_or_b32 exec_lo, exec_lo, s4
	s_and_saveexec_b32 s4, s7
	s_cbranch_execnz .LBB1944_123
.LBB1944_74:
	s_or_b32 exec_lo, exec_lo, s4
	s_and_saveexec_b32 s4, s10
	s_cbranch_execnz .LBB1944_124
.LBB1944_75:
	s_or_b32 exec_lo, exec_lo, s4
	s_and_saveexec_b32 s4, s11
	s_cbranch_execnz .LBB1944_125
.LBB1944_76:
	s_or_b32 exec_lo, exec_lo, s4
	s_and_saveexec_b32 s4, s14
	s_cbranch_execz .LBB1944_78
.LBB1944_77:
	v_add_co_u32 v0, vcc_lo, 0x3800, v0
	v_add_co_ci_u32_e64 v1, null, 0, v1, vcc_lo
	flat_store_dwordx2 v[0:1], v[10:11]
.LBB1944_78:
	s_or_b32 exec_lo, exec_lo, s4
                                        ; implicit-def: $vgpr128
                                        ; implicit-def: $vgpr0
                                        ; implicit-def: $vgpr1
                                        ; implicit-def: $vgpr2
                                        ; implicit-def: $vgpr3
                                        ; implicit-def: $vgpr4
                                        ; implicit-def: $vgpr5
                                        ; implicit-def: $vgpr6
                                        ; implicit-def: $vgpr7
                                        ; implicit-def: $vgpr8
                                        ; implicit-def: $vgpr10
                                        ; implicit-def: $vgpr11
                                        ; implicit-def: $vgpr12
                                        ; implicit-def: $vgpr13
                                        ; implicit-def: $vgpr14
                                        ; implicit-def: $vgpr15
                                        ; implicit-def: $vgpr30
                                        ; implicit-def: $vgpr66
.LBB1944_79:
	s_andn2_saveexec_b32 s4, s23
	s_cbranch_execz .LBB1944_199
; %bb.80:
	s_mov_b32 s4, exec_lo
	v_cmpx_lt_u32_e32 0x200, v128
	s_xor_b32 s23, exec_lo, s4
	s_cbranch_execz .LBB1944_140
; %bb.81:
	s_load_dwordx2 s[4:5], s[8:9], 0x0
	v_mov_b32_e32 v9, 0
	v_lshlrev_b64 v[33:34], 1, v[8:9]
	v_add_co_u32 v18, vcc_lo, v0, v33
	v_add_co_ci_u32_e64 v19, null, v1, v34, vcc_lo
	s_waitcnt lgkmcnt(0)
	s_cmp_lt_u32 s13, s5
	s_cselect_b32 s5, 14, 20
	s_add_u32 s6, s8, s5
	s_addc_u32 s7, s9, 0
	s_cmp_lt_u32 s12, s4
	global_load_ushort v16, v9, s[6:7]
	s_cselect_b32 s4, 12, 18
	s_add_u32 s4, s8, s4
	s_addc_u32 s5, s9, 0
	global_load_ushort v17, v9, s[4:5]
	s_waitcnt vmcnt(1)
	v_mad_u32_u24 v14, v15, v16, v14
	v_mov_b32_e32 v15, v9
	v_mov_b32_e32 v16, -1
	s_waitcnt vmcnt(0)
	v_mad_u64_u32 v[31:32], null, v14, v17, v[30:31]
	v_lshlrev_b32_e32 v17, 1, v66
	v_add_co_u32 v17, vcc_lo, v18, v17
	v_lshlrev_b32_e32 v14, 2, v31
	v_add_co_ci_u32_e64 v18, null, 0, v19, vcc_lo
	v_and_b32_e32 v14, 0xffffff80, v14
	v_lshlrev_b64 v[0:1], 1, v[14:15]
	v_or_b32_e32 v20, v14, v66
	v_cmp_lt_u32_e64 s6, v20, v128
	v_add_co_u32 v0, vcc_lo, v17, v0
	v_add_co_ci_u32_e64 v1, null, v18, v1, vcc_lo
	v_mov_b32_e32 v17, -1
	s_and_saveexec_b32 s4, s6
	s_cbranch_execz .LBB1944_83
; %bb.82:
	flat_load_ushort v17, v[0:1]
.LBB1944_83:
	s_or_b32 exec_lo, exec_lo, s4
	v_or_b32_e32 v18, 32, v20
	v_cmp_lt_u32_e64 s4, v18, v128
	s_and_saveexec_b32 s5, s4
	s_cbranch_execz .LBB1944_85
; %bb.84:
	flat_load_ushort v16, v[0:1] offset:64
.LBB1944_85:
	s_or_b32 exec_lo, exec_lo, s5
	v_or_b32_e32 v19, 64, v20
	v_mov_b32_e32 v18, -1
	v_cmp_lt_u32_e64 s5, v19, v128
	v_mov_b32_e32 v19, -1
	s_and_saveexec_b32 s7, s5
	s_cbranch_execz .LBB1944_87
; %bb.86:
	flat_load_ushort v19, v[0:1] offset:128
.LBB1944_87:
	s_or_b32 exec_lo, exec_lo, s7
	v_or_b32_e32 v20, 0x60, v20
	v_cmp_lt_u32_e32 vcc_lo, v20, v128
	s_and_saveexec_b32 s7, vcc_lo
	s_cbranch_execz .LBB1944_89
; %bb.88:
	flat_load_ushort v18, v[0:1] offset:192
.LBB1944_89:
	s_or_b32 exec_lo, exec_lo, s7
	v_lshlrev_b64 v[0:1], 3, v[8:9]
	v_lshlrev_b32_e32 v8, 3, v66
	v_mov_b32_e32 v22, 0
	v_add_co_u32 v9, s7, v4, v0
	v_add_co_ci_u32_e64 v20, null, v5, v1, s7
	v_lshlrev_b64 v[4:5], 3, v[14:15]
	v_add_co_u32 v8, s7, v9, v8
	v_add_co_ci_u32_e64 v9, null, 0, v20, s7
	v_mov_b32_e32 v23, v22
	v_add_co_u32 v4, s7, v8, v4
	v_add_co_ci_u32_e64 v5, null, v9, v5, s7
	v_mov_b32_e32 v24, v22
	v_mov_b32_e32 v25, v22
	;; [unrolled: 1-line block ×6, first 2 shown]
	s_and_saveexec_b32 s7, s6
	s_cbranch_execnz .LBB1944_164
; %bb.90:
	s_or_b32 exec_lo, exec_lo, s7
	s_and_saveexec_b32 s6, s4
	s_cbranch_execnz .LBB1944_165
.LBB1944_91:
	s_or_b32 exec_lo, exec_lo, s6
	s_and_saveexec_b32 s4, s5
	s_cbranch_execnz .LBB1944_166
.LBB1944_92:
	s_or_b32 exec_lo, exec_lo, s4
	s_and_saveexec_b32 s4, vcc_lo
	s_cbranch_execz .LBB1944_94
.LBB1944_93:
	flat_load_dwordx2 v[28:29], v[4:5] offset:768
.LBB1944_94:
	s_or_b32 exec_lo, exec_lo, s4
	s_waitcnt vmcnt(0) lgkmcnt(0)
	v_cmp_gt_i16_e32 vcc_lo, 0, v17
	v_lshl_add_u32 v14, v30, 5, v12
	s_getpc_b64 s[4:5]
	s_add_u32 s4, s4, _ZN7rocprim17ROCPRIM_400000_NS16block_radix_sortI12hip_bfloat16Lj256ELj4ElLj1ELj1ELj8ELNS0_26block_radix_rank_algorithmE2ELNS0_18block_padding_hintE2ELNS0_4arch9wavefront6targetE0EE19radix_bits_per_passE@rel32@lo+4
	s_addc_u32 s5, s5, _ZN7rocprim17ROCPRIM_400000_NS16block_radix_sortI12hip_bfloat16Lj256ELj4ElLj1ELj1ELj8ELNS0_26block_radix_rank_algorithmE2ELNS0_18block_padding_hintE2ELNS0_4arch9wavefront6targetE0EE19radix_bits_per_passE@rel32@hi+12
	v_lshrrev_b32_e32 v70, 5, v31
	s_load_dword s24, s[4:5], 0x0
	v_cndmask_b32_e64 v4, 0x7fff, 0, vcc_lo
	v_cmp_gt_i16_e32 vcc_lo, 0, v16
	v_add_nc_u32_e32 v32, 32, v14
	v_add_nc_u32_e32 v54, 36, v14
	;; [unrolled: 1-line block ×3, first 2 shown]
	v_xor_b32_e32 v9, v4, v17
	v_cndmask_b32_e64 v5, 0x7fff, 0, vcc_lo
	v_cmp_gt_i16_e32 vcc_lo, 0, v19
	v_add_nc_u32_e32 v64, 44, v14
	v_add_nc_u32_e32 v65, 48, v14
	;; [unrolled: 1-line block ×4, first 2 shown]
	v_cndmask_b32_e64 v4, 0x7fff, 0, vcc_lo
	v_cmp_gt_i16_e32 vcc_lo, 0, v18
	v_add_nc_u32_e32 v69, 60, v14
	v_sub_co_u32 v14, s6, v66, 1
	v_xor_b32_e32 v36, v4, v19
	v_and_b32_e32 v4, 0x3e0, v30
	v_cndmask_b32_e64 v8, 0x7fff, 0, vcc_lo
	v_xor_b32_e32 v112, v5, v16
	v_and_b32_e32 v5, 15, v66
	v_cmp_gt_i32_e64 s14, 0, v14
	v_min_u32_e32 v4, 0xe0, v4
	v_xor_b32_e32 v103, v8, v18
	v_and_b32_e32 v8, 16, v66
	v_cmp_eq_u32_e32 vcc_lo, 0, v5
	v_cmp_lt_u32_e64 s4, 1, v5
	v_or_b32_e32 v4, 31, v4
	v_cmp_lt_u32_e64 s5, 3, v5
	v_cmp_eq_u32_e64 s10, 0, v8
	v_lshlrev_b32_e32 v8, 2, v30
	v_cmp_lt_u32_e64 s7, 7, v5
	v_cmp_eq_u32_e64 s11, v30, v4
	v_lshrrev_b32_e32 v4, 3, v30
	v_cndmask_b32_e64 v5, v14, v66, s14
	v_and_or_b32 v14, 0xf80, v8, v66
	v_cmp_gt_u32_e64 s14, 8, v30
	v_cmp_lt_u32_e64 s15, 31, v30
	v_and_b32_e32 v4, 0x7c, v4
	v_lshlrev_b32_e32 v71, 2, v5
	v_cmp_eq_u32_e64 s16, 0, v30
	v_mov_b32_e32 v5, 0
	v_add_nc_u32_e32 v81, v12, v8
	v_add_nc_u32_e32 v80, v12, v4
	v_and_b32_e32 v4, 7, v66
	v_lshl_add_u32 v66, v14, 1, v12
	v_mul_u32_u24_e32 v14, 6, v14
	v_sub_nc_u32_e32 v98, v11, v10
	v_add_nc_u32_e32 v83, -4, v80
	v_cmp_eq_u32_e64 s17, 0, v4
	v_cmp_lt_u32_e64 s18, 1, v4
	v_add_nc_u32_e32 v82, v66, v14
	v_cmp_lt_u32_e64 s19, 3, v4
	v_add_nc_u32_e32 v84, 64, v66
	v_add_nc_u32_e32 v85, 0x80, v66
	;; [unrolled: 1-line block ×6, first 2 shown]
	s_mov_b32 s25, 0
	s_waitcnt lgkmcnt(0)
	s_waitcnt_vscnt null, 0x0
	s_barrier
	buffer_gl0_inv
	s_branch .LBB1944_96
.LBB1944_95:                            ;   in Loop: Header=BB1944_96 Depth=1
	s_or_b32 exec_lo, exec_lo, s21
	s_and_b32 s20, exec_lo, s26
	s_or_b32 s25, s20, s25
	s_andn2_b32 exec_lo, exec_lo, s25
	s_cbranch_execz .LBB1944_126
.LBB1944_96:                            ; =>This Inner Loop Header: Depth=1
	v_mov_b32_e32 v99, v9
	v_min_u32_e32 v4, s24, v98
	v_mov_b32_e32 v14, v22
	v_mov_b32_e32 v15, v23
	;; [unrolled: 1-line block ×3, first 2 shown]
	v_cmp_ne_u16_e64 s20, 0x8000, v99
	v_lshlrev_b32_e64 v4, v4, -1
	v_mov_b32_e32 v17, v25
	v_mov_b32_e32 v18, v26
	;; [unrolled: 1-line block ×3, first 2 shown]
	v_cndmask_b32_e64 v8, 0x7fff, v99, s20
	v_not_b32_e32 v9, v4
	v_mov_b32_e32 v20, v28
	v_mov_b32_e32 v21, v29
	;; [unrolled: 1-line block ×3, first 2 shown]
	v_lshrrev_b32_sdwa v4, v10, v8 dst_sel:DWORD dst_unused:UNUSED_PAD src0_sel:DWORD src1_sel:WORD_0
	v_mov_b32_e32 v102, v36
	v_mov_b32_e32 v101, v103
	ds_write_b32 v32, v5
	ds_write_b32 v54, v5
	;; [unrolled: 1-line block ×4, first 2 shown]
	v_and_b32_e32 v4, v4, v9
	ds_write_b32 v65, v5
	ds_write_b32 v67, v5
	;; [unrolled: 1-line block ×4, first 2 shown]
	s_waitcnt lgkmcnt(0)
	v_and_b32_e32 v8, 1, v4
	v_lshlrev_b32_e32 v22, 30, v4
	v_lshlrev_b32_e32 v23, 29, v4
	v_lshlrev_b32_e32 v24, 28, v4
	v_lshlrev_b32_e32 v26, 27, v4
	v_add_co_u32 v8, s20, v8, -1
	v_cndmask_b32_e64 v25, 0, 1, s20
	v_not_b32_e32 v29, v22
	v_cmp_gt_i32_e64 s21, 0, v22
	v_not_b32_e32 v22, v23
	v_lshlrev_b32_e32 v27, 26, v4
	v_cmp_ne_u32_e64 s20, 0, v25
	v_ashrrev_i32_e32 v29, 31, v29
	v_lshlrev_b32_e32 v28, 25, v4
	v_ashrrev_i32_e32 v22, 31, v22
	v_lshlrev_b32_e32 v25, 24, v4
	v_xor_b32_e32 v8, s20, v8
	v_cmp_gt_i32_e64 s20, 0, v23
	v_not_b32_e32 v23, v24
	v_xor_b32_e32 v29, s21, v29
	v_cmp_gt_i32_e64 s21, 0, v24
	v_and_b32_e32 v8, exec_lo, v8
	v_not_b32_e32 v24, v26
	v_ashrrev_i32_e32 v23, 31, v23
	v_xor_b32_e32 v22, s20, v22
	v_cmp_gt_i32_e64 s20, 0, v26
	v_and_b32_e32 v8, v8, v29
	v_not_b32_e32 v26, v27
	v_ashrrev_i32_e32 v24, 31, v24
	v_xor_b32_e32 v23, s21, v23
	v_cmp_gt_i32_e64 s21, 0, v27
	v_and_b32_e32 v8, v8, v22
	;; [unrolled: 5-line block ×4, first 2 shown]
	v_ashrrev_i32_e32 v23, 31, v23
	v_xor_b32_e32 v22, s20, v22
	v_lshlrev_b32_e32 v4, 3, v4
	s_barrier
	v_and_b32_e32 v8, v8, v26
	v_xor_b32_e32 v23, s21, v23
	buffer_gl0_inv
	; wave barrier
	v_and_b32_e32 v8, v8, v22
	v_and_b32_e32 v22, v8, v23
	v_add_lshl_u32 v8, v4, v70, 2
	v_mbcnt_lo_u32_b32 v4, v22, 0
	v_add_co_u32 v8, null, v12, v8
	v_cmp_ne_u32_e64 s21, 0, v22
	v_cmp_eq_u32_e64 s20, 0, v4
	v_add_co_u32 v8, null, v8, 32
	s_and_b32 s21, s21, s20
	s_and_saveexec_b32 s20, s21
; %bb.97:                               ;   in Loop: Header=BB1944_96 Depth=1
	v_bcnt_u32_b32 v22, v22, 0
	ds_write_b32 v8, v22
; %bb.98:                               ;   in Loop: Header=BB1944_96 Depth=1
	s_or_b32 exec_lo, exec_lo, s20
	v_cmp_ne_u16_e64 s20, 0x8000, v100
	; wave barrier
	v_cndmask_b32_e64 v22, 0x7fff, v100, s20
	v_lshrrev_b32_sdwa v22, v10, v22 dst_sel:DWORD dst_unused:UNUSED_PAD src0_sel:DWORD src1_sel:WORD_0
	v_and_b32_e32 v22, v22, v9
	v_and_b32_e32 v23, 1, v22
	v_lshlrev_b32_e32 v24, 30, v22
	v_lshlrev_b32_e32 v25, 29, v22
	;; [unrolled: 1-line block ×4, first 2 shown]
	v_add_co_u32 v23, s20, v23, -1
	v_cndmask_b32_e64 v27, 0, 1, s20
	v_not_b32_e32 v36, v24
	v_cmp_gt_i32_e64 s21, 0, v24
	v_not_b32_e32 v24, v25
	v_lshlrev_b32_e32 v29, 26, v22
	v_cmp_ne_u32_e64 s20, 0, v27
	v_ashrrev_i32_e32 v36, 31, v36
	v_lshlrev_b32_e32 v35, 25, v22
	v_ashrrev_i32_e32 v24, 31, v24
	v_lshlrev_b32_e32 v27, 24, v22
	v_xor_b32_e32 v23, s20, v23
	v_cmp_gt_i32_e64 s20, 0, v25
	v_not_b32_e32 v25, v26
	v_xor_b32_e32 v36, s21, v36
	v_cmp_gt_i32_e64 s21, 0, v26
	v_and_b32_e32 v23, exec_lo, v23
	v_not_b32_e32 v26, v28
	v_ashrrev_i32_e32 v25, 31, v25
	v_xor_b32_e32 v24, s20, v24
	v_cmp_gt_i32_e64 s20, 0, v28
	v_and_b32_e32 v23, v23, v36
	v_not_b32_e32 v28, v29
	v_ashrrev_i32_e32 v26, 31, v26
	v_xor_b32_e32 v25, s21, v25
	v_cmp_gt_i32_e64 s21, 0, v29
	v_and_b32_e32 v23, v23, v24
	;; [unrolled: 5-line block ×3, first 2 shown]
	v_not_b32_e32 v25, v27
	v_ashrrev_i32_e32 v24, 31, v24
	v_xor_b32_e32 v28, s21, v28
	v_lshl_add_u32 v22, v22, 3, v70
	v_and_b32_e32 v23, v23, v26
	v_cmp_gt_i32_e64 s21, 0, v27
	v_ashrrev_i32_e32 v25, 31, v25
	v_xor_b32_e32 v24, s20, v24
	v_lshl_add_u32 v26, v22, 2, v12
	v_and_b32_e32 v23, v23, v28
	v_xor_b32_e32 v25, s21, v25
	ds_read_b32 v22, v26 offset:32
	v_and_b32_e32 v23, v23, v24
	v_add_nc_u32_e32 v24, 32, v26
	; wave barrier
	v_and_b32_e32 v25, v23, v25
	v_mbcnt_lo_u32_b32 v23, v25, 0
	v_cmp_ne_u32_e64 s21, 0, v25
	v_cmp_eq_u32_e64 s20, 0, v23
	s_and_b32 s21, s21, s20
	s_and_saveexec_b32 s20, s21
	s_cbranch_execz .LBB1944_100
; %bb.99:                               ;   in Loop: Header=BB1944_96 Depth=1
	s_waitcnt lgkmcnt(0)
	v_bcnt_u32_b32 v25, v25, v22
	ds_write_b32 v24, v25
.LBB1944_100:                           ;   in Loop: Header=BB1944_96 Depth=1
	s_or_b32 exec_lo, exec_lo, s20
	v_cmp_ne_u16_e64 s20, 0x8000, v102
	; wave barrier
	v_cndmask_b32_e64 v25, 0x7fff, v102, s20
	v_lshrrev_b32_sdwa v25, v10, v25 dst_sel:DWORD dst_unused:UNUSED_PAD src0_sel:DWORD src1_sel:WORD_0
	v_and_b32_e32 v25, v25, v9
	v_and_b32_e32 v26, 1, v25
	v_lshlrev_b32_e32 v27, 30, v25
	v_lshlrev_b32_e32 v28, 29, v25
	;; [unrolled: 1-line block ×4, first 2 shown]
	v_add_co_u32 v26, s20, v26, -1
	v_cndmask_b32_e64 v35, 0, 1, s20
	v_not_b32_e32 v39, v27
	v_cmp_gt_i32_e64 s21, 0, v27
	v_not_b32_e32 v27, v28
	v_lshlrev_b32_e32 v37, 26, v25
	v_cmp_ne_u32_e64 s20, 0, v35
	v_ashrrev_i32_e32 v39, 31, v39
	v_lshlrev_b32_e32 v38, 25, v25
	v_ashrrev_i32_e32 v27, 31, v27
	v_lshlrev_b32_e32 v35, 24, v25
	v_xor_b32_e32 v26, s20, v26
	v_cmp_gt_i32_e64 s20, 0, v28
	v_not_b32_e32 v28, v29
	v_xor_b32_e32 v39, s21, v39
	v_cmp_gt_i32_e64 s21, 0, v29
	v_and_b32_e32 v26, exec_lo, v26
	v_not_b32_e32 v29, v36
	v_ashrrev_i32_e32 v28, 31, v28
	v_xor_b32_e32 v27, s20, v27
	v_cmp_gt_i32_e64 s20, 0, v36
	v_and_b32_e32 v26, v26, v39
	v_not_b32_e32 v36, v37
	v_ashrrev_i32_e32 v29, 31, v29
	v_xor_b32_e32 v28, s21, v28
	v_cmp_gt_i32_e64 s21, 0, v37
	v_and_b32_e32 v26, v26, v27
	;; [unrolled: 5-line block ×3, first 2 shown]
	v_not_b32_e32 v28, v35
	v_ashrrev_i32_e32 v27, 31, v27
	v_xor_b32_e32 v36, s21, v36
	v_lshl_add_u32 v25, v25, 3, v70
	v_and_b32_e32 v26, v26, v29
	v_cmp_gt_i32_e64 s21, 0, v35
	v_ashrrev_i32_e32 v28, 31, v28
	v_xor_b32_e32 v27, s20, v27
	v_lshl_add_u32 v29, v25, 2, v12
	v_and_b32_e32 v26, v26, v36
	v_xor_b32_e32 v28, s21, v28
	ds_read_b32 v25, v29 offset:32
	v_and_b32_e32 v26, v26, v27
	v_add_nc_u32_e32 v27, 32, v29
	; wave barrier
	v_and_b32_e32 v28, v26, v28
	v_mbcnt_lo_u32_b32 v26, v28, 0
	v_cmp_ne_u32_e64 s21, 0, v28
	v_cmp_eq_u32_e64 s20, 0, v26
	s_and_b32 s21, s21, s20
	s_and_saveexec_b32 s20, s21
	s_cbranch_execz .LBB1944_102
; %bb.101:                              ;   in Loop: Header=BB1944_96 Depth=1
	s_waitcnt lgkmcnt(0)
	v_bcnt_u32_b32 v28, v28, v25
	ds_write_b32 v27, v28
.LBB1944_102:                           ;   in Loop: Header=BB1944_96 Depth=1
	s_or_b32 exec_lo, exec_lo, s20
	v_cmp_ne_u16_e64 s20, 0x8000, v101
	; wave barrier
	v_cndmask_b32_e64 v28, 0x7fff, v101, s20
	v_lshrrev_b32_sdwa v28, v10, v28 dst_sel:DWORD dst_unused:UNUSED_PAD src0_sel:DWORD src1_sel:WORD_0
	v_and_b32_e32 v9, v28, v9
	v_and_b32_e32 v28, 1, v9
	v_lshlrev_b32_e32 v29, 30, v9
	v_lshlrev_b32_e32 v35, 29, v9
	;; [unrolled: 1-line block ×4, first 2 shown]
	v_add_co_u32 v28, s20, v28, -1
	v_cndmask_b32_e64 v37, 0, 1, s20
	v_not_b32_e32 v49, v29
	v_cmp_gt_i32_e64 s21, 0, v29
	v_not_b32_e32 v29, v35
	v_lshlrev_b32_e32 v39, 26, v9
	v_cmp_ne_u32_e64 s20, 0, v37
	v_ashrrev_i32_e32 v49, 31, v49
	v_lshlrev_b32_e32 v48, 25, v9
	v_ashrrev_i32_e32 v29, 31, v29
	v_lshlrev_b32_e32 v37, 24, v9
	v_xor_b32_e32 v28, s20, v28
	v_cmp_gt_i32_e64 s20, 0, v35
	v_not_b32_e32 v35, v36
	v_xor_b32_e32 v49, s21, v49
	v_cmp_gt_i32_e64 s21, 0, v36
	v_and_b32_e32 v28, exec_lo, v28
	v_not_b32_e32 v36, v38
	v_ashrrev_i32_e32 v35, 31, v35
	v_xor_b32_e32 v29, s20, v29
	v_cmp_gt_i32_e64 s20, 0, v38
	v_and_b32_e32 v28, v28, v49
	v_not_b32_e32 v38, v39
	v_ashrrev_i32_e32 v36, 31, v36
	v_xor_b32_e32 v35, s21, v35
	v_cmp_gt_i32_e64 s21, 0, v39
	v_and_b32_e32 v28, v28, v29
	;; [unrolled: 5-line block ×3, first 2 shown]
	v_not_b32_e32 v35, v37
	v_ashrrev_i32_e32 v29, 31, v29
	v_xor_b32_e32 v38, s21, v38
	v_lshl_add_u32 v9, v9, 3, v70
	v_and_b32_e32 v28, v28, v36
	v_cmp_gt_i32_e64 s21, 0, v37
	v_ashrrev_i32_e32 v35, 31, v35
	v_xor_b32_e32 v29, s20, v29
	v_lshl_add_u32 v9, v9, 2, v12
	v_and_b32_e32 v28, v28, v38
	v_xor_b32_e32 v35, s21, v35
	v_and_b32_e32 v29, v28, v29
	ds_read_b32 v28, v9 offset:32
	v_add_nc_u32_e32 v9, 32, v9
	; wave barrier
	v_and_b32_e32 v35, v29, v35
	v_mbcnt_lo_u32_b32 v29, v35, 0
	v_cmp_ne_u32_e64 s21, 0, v35
	v_cmp_eq_u32_e64 s20, 0, v29
	s_and_b32 s21, s21, s20
	s_and_saveexec_b32 s20, s21
	s_cbranch_execz .LBB1944_104
; %bb.103:                              ;   in Loop: Header=BB1944_96 Depth=1
	s_waitcnt lgkmcnt(0)
	v_bcnt_u32_b32 v35, v35, v28
	ds_write_b32 v9, v35
.LBB1944_104:                           ;   in Loop: Header=BB1944_96 Depth=1
	s_or_b32 exec_lo, exec_lo, s20
	; wave barrier
	s_waitcnt lgkmcnt(0)
	s_barrier
	buffer_gl0_inv
	ds_read_b32 v36, v32
	ds_read_b32 v37, v54
	;; [unrolled: 1-line block ×8, first 2 shown]
	s_waitcnt lgkmcnt(6)
	v_add_nc_u32_e32 v51, v37, v36
	s_waitcnt lgkmcnt(4)
	v_add3_u32 v51, v51, v38, v39
	s_waitcnt lgkmcnt(2)
	v_add3_u32 v51, v51, v48, v49
	;; [unrolled: 2-line block ×3, first 2 shown]
	v_mov_b32_dpp v51, v50 row_shr:1 row_mask:0xf bank_mask:0xf
	v_cndmask_b32_e64 v51, v51, 0, vcc_lo
	v_add_nc_u32_e32 v50, v51, v50
	v_mov_b32_dpp v51, v50 row_shr:2 row_mask:0xf bank_mask:0xf
	v_cndmask_b32_e64 v51, 0, v51, s4
	v_add_nc_u32_e32 v50, v50, v51
	v_mov_b32_dpp v51, v50 row_shr:4 row_mask:0xf bank_mask:0xf
	v_cndmask_b32_e64 v51, 0, v51, s5
	;; [unrolled: 3-line block ×3, first 2 shown]
	v_add_nc_u32_e32 v50, v50, v51
	ds_swizzle_b32 v51, v50 offset:swizzle(BROADCAST,32,15)
	s_waitcnt lgkmcnt(0)
	v_cndmask_b32_e64 v51, v51, 0, s10
	v_add_nc_u32_e32 v50, v50, v51
	s_and_saveexec_b32 s20, s11
; %bb.105:                              ;   in Loop: Header=BB1944_96 Depth=1
	ds_write_b32 v80, v50
; %bb.106:                              ;   in Loop: Header=BB1944_96 Depth=1
	s_or_b32 exec_lo, exec_lo, s20
	s_waitcnt lgkmcnt(0)
	s_barrier
	buffer_gl0_inv
	s_and_saveexec_b32 s20, s14
	s_cbranch_execz .LBB1944_108
; %bb.107:                              ;   in Loop: Header=BB1944_96 Depth=1
	ds_read_b32 v51, v81
	s_waitcnt lgkmcnt(0)
	v_mov_b32_dpp v52, v51 row_shr:1 row_mask:0xf bank_mask:0xf
	v_cndmask_b32_e64 v52, v52, 0, s17
	v_add_nc_u32_e32 v51, v52, v51
	v_mov_b32_dpp v52, v51 row_shr:2 row_mask:0xf bank_mask:0xf
	v_cndmask_b32_e64 v52, 0, v52, s18
	v_add_nc_u32_e32 v51, v51, v52
	;; [unrolled: 3-line block ×3, first 2 shown]
	ds_write_b32 v81, v51
.LBB1944_108:                           ;   in Loop: Header=BB1944_96 Depth=1
	s_or_b32 exec_lo, exec_lo, s20
	v_mov_b32_e32 v51, 0
	s_waitcnt lgkmcnt(0)
	s_barrier
	buffer_gl0_inv
	s_and_saveexec_b32 s20, s15
; %bb.109:                              ;   in Loop: Header=BB1944_96 Depth=1
	ds_read_b32 v51, v83
; %bb.110:                              ;   in Loop: Header=BB1944_96 Depth=1
	s_or_b32 exec_lo, exec_lo, s20
	s_waitcnt lgkmcnt(0)
	v_add_nc_u32_e32 v50, v51, v50
	v_add_nc_u32_e32 v10, 8, v10
	s_mov_b32 s26, -1
                                        ; implicit-def: $vgpr112
                                        ; implicit-def: $vgpr103
	ds_bpermute_b32 v50, v71, v50
	s_waitcnt lgkmcnt(0)
	v_cndmask_b32_e64 v50, v50, v51, s6
	v_cndmask_b32_e64 v50, v50, 0, s16
	v_add_nc_u32_e32 v36, v50, v36
	v_add_nc_u32_e32 v37, v36, v37
	ds_write_b32 v32, v50
	ds_write_b32 v54, v36
	;; [unrolled: 1-line block ×3, first 2 shown]
	v_mov_b32_e32 v36, v5
	v_add_nc_u32_e32 v38, v37, v38
	v_add_nc_u32_e32 v39, v38, v39
	;; [unrolled: 1-line block ×5, first 2 shown]
	ds_write_b32 v64, v38
	ds_write_b32 v65, v39
	;; [unrolled: 1-line block ×5, first 2 shown]
	s_waitcnt lgkmcnt(0)
	s_barrier
	buffer_gl0_inv
	ds_read_b32 v8, v8
	ds_read_b32 v24, v24
	;; [unrolled: 1-line block ×4, first 2 shown]
	v_mov_b32_e32 v9, v5
	v_mov_b32_e32 v38, v5
	s_waitcnt lgkmcnt(0)
	v_add_nc_u32_e32 v4, v8, v4
	v_add3_u32 v8, v23, v22, v24
	v_add3_u32 v35, v26, v25, v27
	;; [unrolled: 1-line block ×3, first 2 shown]
	v_lshlrev_b64 v[22:23], 1, v[4:5]
	v_lshlrev_b64 v[24:25], 1, v[8:9]
	;; [unrolled: 1-line block ×4, first 2 shown]
                                        ; implicit-def: $vgpr9
                                        ; implicit-def: $vgpr36
	v_add_co_u32 v52, s21, v12, v22
	v_add_co_ci_u32_e64 v53, null, v13, v23, s21
	v_add_co_u32 v50, s21, v12, v24
	v_add_co_ci_u32_e64 v51, null, v13, v25, s21
	;; [unrolled: 2-line block ×4, first 2 shown]
	s_mov_b32 s21, exec_lo
                                        ; implicit-def: $vgpr22_vgpr23_vgpr24_vgpr25_vgpr26_vgpr27_vgpr28_vgpr29
	v_cmpx_lt_u32_e64 v10, v11
	s_cbranch_execz .LBB1944_95
; %bb.111:                              ;   in Loop: Header=BB1944_96 Depth=1
	v_mad_u64_u32 v[22:23], null, v4, 6, v[52:53]
	v_mad_u64_u32 v[23:24], null, v8, 6, v[50:51]
	;; [unrolled: 1-line block ×4, first 2 shown]
	s_barrier
	buffer_gl0_inv
	ds_write_b16 v52, v99
	ds_write_b16 v50, v100
	;; [unrolled: 1-line block ×4, first 2 shown]
	s_waitcnt lgkmcnt(0)
	s_barrier
	buffer_gl0_inv
	ds_read_u16 v9, v66
	ds_read_u16 v112, v84
	;; [unrolled: 1-line block ×4, first 2 shown]
	s_waitcnt lgkmcnt(0)
	s_barrier
	buffer_gl0_inv
	ds_write_b64 v22, v[14:15]
	ds_write_b64 v23, v[16:17]
	;; [unrolled: 1-line block ×4, first 2 shown]
	s_waitcnt lgkmcnt(0)
	s_barrier
	buffer_gl0_inv
	ds_read_b64 v[22:23], v82
	ds_read_b64 v[24:25], v87
	;; [unrolled: 1-line block ×4, first 2 shown]
	v_add_nc_u32_e32 v98, -8, v98
	s_xor_b32 s26, exec_lo, -1
	s_waitcnt lgkmcnt(0)
	s_barrier
	buffer_gl0_inv
	s_branch .LBB1944_95
.LBB1944_112:
	flat_load_dwordx2 v[33:34], v[4:5]
	s_or_b32 exec_lo, exec_lo, s15
                                        ; implicit-def: $vgpr35_vgpr36
	s_and_saveexec_b32 s15, s4
	s_cbranch_execz .LBB1944_20
.LBB1944_113:
	flat_load_dwordx2 v[35:36], v[4:5] offset:256
	s_or_b32 exec_lo, exec_lo, s15
                                        ; implicit-def: $vgpr37_vgpr38
	s_and_saveexec_b32 s4, s5
	s_cbranch_execz .LBB1944_21
.LBB1944_114:
	flat_load_dwordx2 v[37:38], v[4:5] offset:512
	s_or_b32 exec_lo, exec_lo, s4
                                        ; implicit-def: $vgpr48_vgpr49
	s_and_saveexec_b32 s4, s6
	s_cbranch_execz .LBB1944_22
.LBB1944_115:
	flat_load_dwordx2 v[48:49], v[4:5] offset:768
	s_or_b32 exec_lo, exec_lo, s4
                                        ; implicit-def: $vgpr50_vgpr51
	s_and_saveexec_b32 s4, s7
	s_cbranch_execz .LBB1944_23
.LBB1944_116:
	flat_load_dwordx2 v[50:51], v[4:5] offset:1024
	s_or_b32 exec_lo, exec_lo, s4
                                        ; implicit-def: $vgpr52_vgpr53
	s_and_saveexec_b32 s4, s10
	s_cbranch_execz .LBB1944_24
.LBB1944_117:
	flat_load_dwordx2 v[52:53], v[4:5] offset:1280
	s_or_b32 exec_lo, exec_lo, s4
                                        ; implicit-def: $vgpr54_vgpr55
	s_and_saveexec_b32 s4, s11
	s_cbranch_execz .LBB1944_25
.LBB1944_118:
	flat_load_dwordx2 v[54:55], v[4:5] offset:1536
	s_or_b32 exec_lo, exec_lo, s4
                                        ; implicit-def: $vgpr64_vgpr65
	s_and_saveexec_b32 s4, s14
	s_cbranch_execnz .LBB1944_26
	s_branch .LBB1944_27
.LBB1944_119:
	flat_store_dwordx2 v[0:1], v[20:21]
	s_or_b32 exec_lo, exec_lo, s15
	s_and_saveexec_b32 s15, s4
	s_cbranch_execz .LBB1944_71
.LBB1944_120:
	v_add_co_u32 v2, vcc_lo, 0x800, v0
	v_add_co_ci_u32_e64 v3, null, 0, v1, vcc_lo
	flat_store_dwordx2 v[2:3], v[22:23]
	s_or_b32 exec_lo, exec_lo, s15
	s_and_saveexec_b32 s4, s5
	s_cbranch_execz .LBB1944_72
.LBB1944_121:
	v_add_co_u32 v2, vcc_lo, 0x1000, v0
	v_add_co_ci_u32_e64 v3, null, 0, v1, vcc_lo
	flat_store_dwordx2 v[2:3], v[16:17]
	s_or_b32 exec_lo, exec_lo, s4
	s_and_saveexec_b32 s4, s6
	s_cbranch_execz .LBB1944_73
.LBB1944_122:
	v_add_co_u32 v2, vcc_lo, 0x1800, v0
	v_add_co_ci_u32_e64 v3, null, 0, v1, vcc_lo
	flat_store_dwordx2 v[2:3], v[18:19]
	s_or_b32 exec_lo, exec_lo, s4
	s_and_saveexec_b32 s4, s7
	s_cbranch_execz .LBB1944_74
.LBB1944_123:
	v_add_co_u32 v2, vcc_lo, 0x2000, v0
	v_add_co_ci_u32_e64 v3, null, 0, v1, vcc_lo
	flat_store_dwordx2 v[2:3], v[12:13]
	s_or_b32 exec_lo, exec_lo, s4
	s_and_saveexec_b32 s4, s10
	s_cbranch_execz .LBB1944_75
.LBB1944_124:
	v_add_co_u32 v2, vcc_lo, 0x2800, v0
	v_add_co_ci_u32_e64 v3, null, 0, v1, vcc_lo
	flat_store_dwordx2 v[2:3], v[14:15]
	s_or_b32 exec_lo, exec_lo, s4
	s_and_saveexec_b32 s4, s11
	s_cbranch_execz .LBB1944_76
.LBB1944_125:
	v_add_co_u32 v2, vcc_lo, 0x3000, v0
	v_add_co_ci_u32_e64 v3, null, 0, v1, vcc_lo
	flat_store_dwordx2 v[2:3], v[8:9]
	s_or_b32 exec_lo, exec_lo, s4
	s_and_saveexec_b32 s4, s14
	s_cbranch_execnz .LBB1944_77
	s_branch .LBB1944_78
.LBB1944_126:
	s_or_b32 exec_lo, exec_lo, s25
	v_mad_u64_u32 v[9:10], null, v4, 6, v[52:53]
	v_lshl_add_u32 v25, v30, 1, v12
	v_mad_u64_u32 v[10:11], null, v8, 6, v[50:51]
	v_mul_u32_u24_e32 v4, 6, v30
	v_mad_u64_u32 v[11:12], null, v35, 6, v[48:49]
	v_mad_u64_u32 v[12:13], null, v37, 6, v[38:39]
	v_add_nc_u32_e32 v4, v25, v4
	s_barrier
	buffer_gl0_inv
	ds_write_b16 v52, v99
	ds_write_b16 v50, v100
	;; [unrolled: 1-line block ×4, first 2 shown]
	s_waitcnt lgkmcnt(0)
	s_barrier
	buffer_gl0_inv
	ds_read_u16 v24, v25
	ds_read_u16 v23, v25 offset:512
	ds_read_u16 v22, v25 offset:1024
	;; [unrolled: 1-line block ×3, first 2 shown]
	s_waitcnt lgkmcnt(0)
	s_barrier
	buffer_gl0_inv
	ds_write_b64 v9, v[14:15]
	ds_write_b64 v10, v[16:17]
	;; [unrolled: 1-line block ×4, first 2 shown]
	s_waitcnt lgkmcnt(0)
	s_barrier
	buffer_gl0_inv
	ds_read2st64_b64 v[12:15], v4 offset1:4
	ds_read2st64_b64 v[8:11], v4 offset0:8 offset1:12
	v_mov_b32_e32 v32, 0
	v_add_co_u32 v2, vcc_lo, v2, v33
	v_add_co_ci_u32_e64 v3, null, v3, v34, vcc_lo
	v_lshlrev_b64 v[16:17], 1, v[31:32]
	s_waitcnt lgkmcnt(0)
	s_barrier
	buffer_gl0_inv
	v_add_co_u32 v2, vcc_lo, v2, v16
	v_add_co_ci_u32_e64 v3, null, v3, v17, vcc_lo
	v_cmp_lt_u32_e32 vcc_lo, v31, v128
	s_and_saveexec_b32 s5, vcc_lo
	s_cbranch_execz .LBB1944_128
; %bb.127:
	v_cmp_gt_i16_e64 s4, 0, v24
	v_cndmask_b32_e64 v4, 0x7fff, 0, s4
	v_xor_b32_e32 v4, v4, v24
	flat_store_short v[2:3], v4
.LBB1944_128:
	s_or_b32 exec_lo, exec_lo, s5
	v_add_nc_u32_e32 v4, 0x100, v31
	v_cmp_lt_u32_e64 s4, v4, v128
	s_and_saveexec_b32 s6, s4
	s_cbranch_execz .LBB1944_130
; %bb.129:
	v_cmp_gt_i16_e64 s5, 0, v23
	v_cndmask_b32_e64 v4, 0x7fff, 0, s5
	v_xor_b32_e32 v4, v4, v23
	flat_store_short v[2:3], v4 offset:512
.LBB1944_130:
	s_or_b32 exec_lo, exec_lo, s6
	v_add_nc_u32_e32 v4, 0x200, v31
	v_cmp_lt_u32_e64 s5, v4, v128
	s_and_saveexec_b32 s7, s5
	s_cbranch_execz .LBB1944_132
; %bb.131:
	v_cmp_gt_i16_e64 s6, 0, v22
	v_cndmask_b32_e64 v4, 0x7fff, 0, s6
	v_xor_b32_e32 v4, v4, v22
	flat_store_short v[2:3], v4 offset:1024
.LBB1944_132:
	;; [unrolled: 11-line block ×3, first 2 shown]
	s_or_b32 exec_lo, exec_lo, s10
	v_lshlrev_b64 v[2:3], 3, v[31:32]
	v_add_co_u32 v0, s7, v6, v0
	v_add_co_ci_u32_e64 v1, null, v7, v1, s7
	v_add_co_u32 v0, s7, v0, v2
	v_add_co_ci_u32_e64 v1, null, v1, v3, s7
	s_and_saveexec_b32 s7, vcc_lo
	s_cbranch_execnz .LBB1944_167
; %bb.135:
	s_or_b32 exec_lo, exec_lo, s7
	s_and_saveexec_b32 s7, s4
	s_cbranch_execnz .LBB1944_168
.LBB1944_136:
	s_or_b32 exec_lo, exec_lo, s7
	s_and_saveexec_b32 s4, s5
	s_cbranch_execnz .LBB1944_169
.LBB1944_137:
	s_or_b32 exec_lo, exec_lo, s4
	s_and_saveexec_b32 s4, s6
	s_cbranch_execz .LBB1944_139
.LBB1944_138:
	v_add_co_u32 v0, vcc_lo, 0x1800, v0
	v_add_co_ci_u32_e64 v1, null, 0, v1, vcc_lo
	flat_store_dwordx2 v[0:1], v[10:11]
.LBB1944_139:
	s_or_b32 exec_lo, exec_lo, s4
                                        ; implicit-def: $vgpr128
                                        ; implicit-def: $vgpr0
                                        ; implicit-def: $vgpr1
                                        ; implicit-def: $vgpr2
                                        ; implicit-def: $vgpr3
                                        ; implicit-def: $vgpr4
                                        ; implicit-def: $vgpr5
                                        ; implicit-def: $vgpr6
                                        ; implicit-def: $vgpr7
                                        ; implicit-def: $vgpr8
                                        ; implicit-def: $vgpr10
                                        ; implicit-def: $vgpr11
                                        ; implicit-def: $vgpr12
                                        ; implicit-def: $vgpr13
                                        ; implicit-def: $vgpr14
                                        ; implicit-def: $vgpr15
                                        ; implicit-def: $vgpr30
                                        ; implicit-def: $vgpr66
.LBB1944_140:
	s_andn2_saveexec_b32 s4, s23
	s_cbranch_execz .LBB1944_199
; %bb.141:
	s_load_dwordx2 s[4:5], s[8:9], 0x0
	v_mov_b32_e32 v9, 0
	s_waitcnt lgkmcnt(0)
	s_cmp_lt_u32 s13, s5
	s_cselect_b32 s5, 14, 20
	s_add_u32 s6, s8, s5
	s_addc_u32 s7, s9, 0
	s_cmp_lt_u32 s12, s4
	global_load_ushort v16, v9, s[6:7]
	s_cselect_b32 s4, 12, 18
	s_add_u32 s4, s8, s4
	s_addc_u32 s5, s9, 0
	global_load_ushort v17, v9, s[4:5]
	s_mov_b32 s4, exec_lo
	s_waitcnt vmcnt(1)
	v_mad_u32_u24 v14, v15, v16, v14
	s_waitcnt vmcnt(0)
	v_mad_u64_u32 v[14:15], null, v14, v17, v[30:31]
	v_lshlrev_b64 v[16:17], 1, v[8:9]
	v_cmpx_lt_u32_e32 0x100, v128
	s_xor_b32 s18, exec_lo, s4
	s_cbranch_execz .LBB1944_179
; %bb.142:
	v_lshlrev_b32_e32 v15, 1, v14
	v_mov_b32_e32 v19, v9
	v_lshlrev_b32_e32 v20, 1, v66
	v_mov_b32_e32 v24, -1
	v_and_b32_e32 v18, 0xffffffc0, v15
	v_add_co_u32 v15, vcc_lo, v0, v16
	v_add_co_ci_u32_e64 v21, null, v1, v17, vcc_lo
	v_lshlrev_b64 v[0:1], 1, v[18:19]
	v_add_co_u32 v15, vcc_lo, v15, v20
	v_add_co_ci_u32_e64 v21, null, 0, v21, vcc_lo
	v_or_b32_e32 v20, v66, v18
	v_add_co_u32 v0, vcc_lo, v15, v0
	v_add_co_ci_u32_e64 v1, null, v21, v1, vcc_lo
	v_cmp_lt_u32_e32 vcc_lo, v20, v128
	v_mov_b32_e32 v15, -1
	s_and_saveexec_b32 s4, vcc_lo
	s_cbranch_execz .LBB1944_144
; %bb.143:
	flat_load_ushort v24, v[0:1]
.LBB1944_144:
	s_or_b32 exec_lo, exec_lo, s4
	v_or_b32_e32 v20, 32, v20
	v_cmp_lt_u32_e64 s4, v20, v128
	s_and_saveexec_b32 s5, s4
	s_cbranch_execz .LBB1944_146
; %bb.145:
	flat_load_ushort v15, v[0:1] offset:64
.LBB1944_146:
	s_or_b32 exec_lo, exec_lo, s5
	v_lshlrev_b64 v[0:1], 3, v[8:9]
	v_lshlrev_b32_e32 v20, 3, v66
	v_lshlrev_b64 v[8:9], 3, v[18:19]
	v_mov_b32_e32 v22, 0
	v_mov_b32_e32 v23, 0
	v_add_co_u32 v4, s5, v4, v0
	v_add_co_ci_u32_e64 v5, null, v5, v1, s5
	v_add_co_u32 v4, s5, v4, v20
	v_add_co_ci_u32_e64 v5, null, 0, v5, s5
	v_mov_b32_e32 v20, 0
	v_add_co_u32 v4, s5, v4, v8
	v_mov_b32_e32 v21, 0
	v_add_co_ci_u32_e64 v5, null, v5, v9, s5
	s_and_saveexec_b32 s5, vcc_lo
	s_cbranch_execz .LBB1944_148
; %bb.147:
	flat_load_dwordx2 v[20:21], v[4:5]
.LBB1944_148:
	s_or_b32 exec_lo, exec_lo, s5
	s_and_saveexec_b32 s5, s4
	s_cbranch_execz .LBB1944_150
; %bb.149:
	flat_load_dwordx2 v[22:23], v[4:5] offset:256
.LBB1944_150:
	s_or_b32 exec_lo, exec_lo, s5
	s_waitcnt vmcnt(0) lgkmcnt(0)
	v_cmp_gt_i16_e32 vcc_lo, 0, v24
	v_lshl_add_u32 v8, v30, 5, v12
	v_sub_co_u32 v9, s6, v66, 1
	s_getpc_b64 s[4:5]
	s_add_u32 s4, s4, _ZN7rocprim17ROCPRIM_400000_NS16block_radix_sortI12hip_bfloat16Lj256ELj2ElLj1ELj1ELj8ELNS0_26block_radix_rank_algorithmE2ELNS0_18block_padding_hintE2ELNS0_4arch9wavefront6targetE0EE19radix_bits_per_passE@rel32@lo+4
	s_addc_u32 s5, s5, _ZN7rocprim17ROCPRIM_400000_NS16block_radix_sortI12hip_bfloat16Lj256ELj2ElLj1ELj1ELj8ELNS0_26block_radix_rank_algorithmE2ELNS0_18block_padding_hintE2ELNS0_4arch9wavefront6targetE0EE19radix_bits_per_passE@rel32@hi+12
	v_cndmask_b32_e64 v4, 0x7fff, 0, vcc_lo
	v_cmp_gt_i16_e32 vcc_lo, 0, v15
	v_add_nc_u32_e32 v29, 36, v8
	v_add_nc_u32_e32 v31, 40, v8
	;; [unrolled: 1-line block ×3, first 2 shown]
	v_xor_b32_e32 v67, v4, v24
	v_and_b32_e32 v4, 0x3e0, v30
	v_cndmask_b32_e64 v5, 0x7fff, 0, vcc_lo
	v_add_nc_u32_e32 v33, 48, v8
	v_add_nc_u32_e32 v34, 52, v8
	;; [unrolled: 1-line block ×3, first 2 shown]
	v_min_u32_e32 v4, 0xe0, v4
	v_xor_b32_e32 v65, v5, v15
	v_add_nc_u32_e32 v15, 32, v8
	v_and_b32_e32 v5, 15, v66
	v_add_nc_u32_e32 v36, 60, v8
	v_or_b32_e32 v4, 31, v4
	v_and_b32_e32 v8, 16, v66
	v_cmp_gt_i32_e64 s10, 0, v9
	s_load_dword s19, s[4:5], 0x0
	v_cmp_eq_u32_e32 vcc_lo, 0, v5
	v_cmp_eq_u32_e64 s9, v30, v4
	v_lshlrev_b32_e32 v4, 1, v30
	v_cmp_lt_u32_e64 s4, 1, v5
	v_cmp_lt_u32_e64 s5, 3, v5
	;; [unrolled: 1-line block ×3, first 2 shown]
	v_cmp_eq_u32_e64 s8, 0, v8
	v_cndmask_b32_e64 v5, v9, v66, s10
	v_lshrrev_b32_e32 v8, 3, v30
	v_and_or_b32 v4, 0x7c0, v4, v66
	v_lshrrev_b32_e32 v37, 5, v14
	v_cmp_gt_u32_e64 s10, 8, v30
	v_lshlrev_b32_e32 v38, 2, v5
	v_and_b32_e32 v5, 0x7c, v8
	v_lshl_add_u32 v39, v4, 1, v12
	v_mul_u32_u24_e32 v4, 6, v4
	v_and_b32_e32 v8, 7, v66
	v_cmp_lt_u32_e64 s11, 31, v30
	v_add_nc_u32_e32 v48, v12, v5
	v_cmp_eq_u32_e64 s12, 0, v30
	v_add_nc_u32_e32 v50, v39, v4
	v_mov_b32_e32 v5, 0
	v_lshl_add_u32 v49, v30, 2, v12
	v_cmp_eq_u32_e64 s13, 0, v8
	v_cmp_lt_u32_e64 s14, 1, v8
	v_cmp_lt_u32_e64 s15, 3, v8
	v_add_nc_u32_e32 v51, -4, v48
	v_add_nc_u32_e32 v52, 64, v39
	v_add_nc_u32_e32 v53, 0x100, v50
	v_sub_nc_u32_e32 v54, v11, v10
	s_mov_b32 s20, 0
	s_waitcnt lgkmcnt(0)
	s_waitcnt_vscnt null, 0x0
	s_barrier
	buffer_gl0_inv
	s_branch .LBB1944_152
.LBB1944_151:                           ;   in Loop: Header=BB1944_152 Depth=1
	s_or_b32 exec_lo, exec_lo, s17
	s_and_b32 s16, exec_lo, s21
	s_or_b32 s20, s16, s20
	s_andn2_b32 exec_lo, exec_lo, s20
	s_cbranch_execz .LBB1944_170
.LBB1944_152:                           ; =>This Inner Loop Header: Depth=1
	v_mov_b32_e32 v55, v67
	v_min_u32_e32 v4, s19, v54
	ds_write_b32 v15, v5
	ds_write_b32 v29, v5
	;; [unrolled: 1-line block ×5, first 2 shown]
	v_cmp_ne_u16_e64 s16, 0x8000, v55
	v_lshlrev_b32_e64 v4, v4, -1
	ds_write_b32 v34, v5
	ds_write_b32 v35, v5
	;; [unrolled: 1-line block ×3, first 2 shown]
	s_waitcnt lgkmcnt(0)
	v_cndmask_b32_e64 v8, 0x7fff, v55, s16
	v_not_b32_e32 v24, v4
	s_barrier
	buffer_gl0_inv
	v_lshrrev_b32_sdwa v4, v10, v8 dst_sel:DWORD dst_unused:UNUSED_PAD src0_sel:DWORD src1_sel:WORD_0
	v_mov_b32_e32 v8, v22
	v_mov_b32_e32 v9, v23
	; wave barrier
	v_and_b32_e32 v4, v4, v24
	v_and_b32_e32 v18, 1, v4
	v_lshlrev_b32_e32 v19, 30, v4
	v_lshlrev_b32_e32 v22, 29, v4
	;; [unrolled: 1-line block ×4, first 2 shown]
	v_add_co_u32 v18, s16, v18, -1
	v_cndmask_b32_e64 v25, 0, 1, s16
	v_not_b32_e32 v64, v19
	v_cmp_gt_i32_e64 s17, 0, v19
	v_not_b32_e32 v19, v22
	v_lshlrev_b32_e32 v27, 26, v4
	v_cmp_ne_u32_e64 s16, 0, v25
	v_ashrrev_i32_e32 v64, 31, v64
	v_lshlrev_b32_e32 v28, 25, v4
	v_ashrrev_i32_e32 v19, 31, v19
	v_lshlrev_b32_e32 v25, 24, v4
	v_xor_b32_e32 v18, s16, v18
	v_cmp_gt_i32_e64 s16, 0, v22
	v_not_b32_e32 v22, v23
	v_xor_b32_e32 v64, s17, v64
	v_cmp_gt_i32_e64 s17, 0, v23
	v_and_b32_e32 v18, exec_lo, v18
	v_not_b32_e32 v23, v26
	v_ashrrev_i32_e32 v22, 31, v22
	v_xor_b32_e32 v19, s16, v19
	v_cmp_gt_i32_e64 s16, 0, v26
	v_and_b32_e32 v18, v18, v64
	v_not_b32_e32 v26, v27
	v_ashrrev_i32_e32 v23, 31, v23
	v_xor_b32_e32 v22, s17, v22
	v_cmp_gt_i32_e64 s17, 0, v27
	v_and_b32_e32 v18, v18, v19
	;; [unrolled: 5-line block ×4, first 2 shown]
	v_mov_b32_e32 v18, v20
	v_mov_b32_e32 v19, v21
	v_ashrrev_i32_e32 v20, 31, v22
	v_xor_b32_e32 v21, s16, v27
	v_and_b32_e32 v22, v23, v26
	v_lshlrev_b32_e32 v4, 3, v4
	v_mov_b32_e32 v64, v65
	v_xor_b32_e32 v20, s17, v20
	v_and_b32_e32 v21, v22, v21
	v_and_b32_e32 v21, v21, v20
	v_add_lshl_u32 v20, v4, v37, 2
	v_mbcnt_lo_u32_b32 v4, v21, 0
	v_add_co_u32 v20, null, v12, v20
	v_cmp_ne_u32_e64 s17, 0, v21
	v_cmp_eq_u32_e64 s16, 0, v4
	v_add_co_u32 v20, null, v20, 32
	s_and_b32 s17, s17, s16
	s_and_saveexec_b32 s16, s17
; %bb.153:                              ;   in Loop: Header=BB1944_152 Depth=1
	v_bcnt_u32_b32 v21, v21, 0
	ds_write_b32 v20, v21
; %bb.154:                              ;   in Loop: Header=BB1944_152 Depth=1
	s_or_b32 exec_lo, exec_lo, s16
	v_cmp_ne_u16_e64 s16, 0x8000, v64
	; wave barrier
	v_cndmask_b32_e64 v21, 0x7fff, v64, s16
	v_lshrrev_b32_sdwa v21, v10, v21 dst_sel:DWORD dst_unused:UNUSED_PAD src0_sel:DWORD src1_sel:WORD_0
	v_and_b32_e32 v21, v21, v24
	v_and_b32_e32 v22, 1, v21
	v_lshlrev_b32_e32 v23, 30, v21
	v_lshlrev_b32_e32 v24, 29, v21
	;; [unrolled: 1-line block ×4, first 2 shown]
	v_add_co_u32 v22, s16, v22, -1
	v_cndmask_b32_e64 v26, 0, 1, s16
	v_not_b32_e32 v66, v23
	v_cmp_gt_i32_e64 s17, 0, v23
	v_not_b32_e32 v23, v24
	v_lshlrev_b32_e32 v28, 26, v21
	v_cmp_ne_u32_e64 s16, 0, v26
	v_ashrrev_i32_e32 v66, 31, v66
	v_lshlrev_b32_e32 v65, 25, v21
	v_ashrrev_i32_e32 v23, 31, v23
	v_lshlrev_b32_e32 v26, 24, v21
	v_xor_b32_e32 v22, s16, v22
	v_cmp_gt_i32_e64 s16, 0, v24
	v_not_b32_e32 v24, v25
	v_xor_b32_e32 v66, s17, v66
	v_cmp_gt_i32_e64 s17, 0, v25
	v_and_b32_e32 v22, exec_lo, v22
	v_not_b32_e32 v25, v27
	v_ashrrev_i32_e32 v24, 31, v24
	v_xor_b32_e32 v23, s16, v23
	v_cmp_gt_i32_e64 s16, 0, v27
	v_and_b32_e32 v22, v22, v66
	v_not_b32_e32 v27, v28
	v_ashrrev_i32_e32 v25, 31, v25
	v_xor_b32_e32 v24, s17, v24
	v_cmp_gt_i32_e64 s17, 0, v28
	v_and_b32_e32 v22, v22, v23
	;; [unrolled: 5-line block ×3, first 2 shown]
	v_not_b32_e32 v24, v26
	v_ashrrev_i32_e32 v23, 31, v23
	v_xor_b32_e32 v27, s17, v27
	v_lshl_add_u32 v21, v21, 3, v37
	v_and_b32_e32 v22, v22, v25
	v_cmp_gt_i32_e64 s17, 0, v26
	v_ashrrev_i32_e32 v24, 31, v24
	v_xor_b32_e32 v23, s16, v23
	v_lshl_add_u32 v25, v21, 2, v12
	v_and_b32_e32 v22, v22, v27
	v_xor_b32_e32 v24, s17, v24
	ds_read_b32 v21, v25 offset:32
	v_and_b32_e32 v22, v22, v23
	v_add_nc_u32_e32 v23, 32, v25
	; wave barrier
	v_and_b32_e32 v24, v22, v24
	v_mbcnt_lo_u32_b32 v22, v24, 0
	v_cmp_ne_u32_e64 s17, 0, v24
	v_cmp_eq_u32_e64 s16, 0, v22
	s_and_b32 s17, s17, s16
	s_and_saveexec_b32 s16, s17
	s_cbranch_execz .LBB1944_156
; %bb.155:                              ;   in Loop: Header=BB1944_152 Depth=1
	s_waitcnt lgkmcnt(0)
	v_bcnt_u32_b32 v24, v24, v21
	ds_write_b32 v23, v24
.LBB1944_156:                           ;   in Loop: Header=BB1944_152 Depth=1
	s_or_b32 exec_lo, exec_lo, s16
	; wave barrier
	s_waitcnt lgkmcnt(0)
	s_barrier
	buffer_gl0_inv
	ds_read_b32 v25, v15
	ds_read_b32 v26, v29
	;; [unrolled: 1-line block ×8, first 2 shown]
	s_waitcnt lgkmcnt(6)
	v_add_nc_u32_e32 v68, v26, v25
	s_waitcnt lgkmcnt(4)
	v_add3_u32 v68, v68, v27, v28
	s_waitcnt lgkmcnt(2)
	v_add3_u32 v68, v68, v65, v66
	;; [unrolled: 2-line block ×3, first 2 shown]
	v_mov_b32_dpp v68, v67 row_shr:1 row_mask:0xf bank_mask:0xf
	v_cndmask_b32_e64 v68, v68, 0, vcc_lo
	v_add_nc_u32_e32 v67, v68, v67
	v_mov_b32_dpp v68, v67 row_shr:2 row_mask:0xf bank_mask:0xf
	v_cndmask_b32_e64 v68, 0, v68, s4
	v_add_nc_u32_e32 v67, v67, v68
	v_mov_b32_dpp v68, v67 row_shr:4 row_mask:0xf bank_mask:0xf
	v_cndmask_b32_e64 v68, 0, v68, s5
	;; [unrolled: 3-line block ×3, first 2 shown]
	v_add_nc_u32_e32 v67, v67, v68
	ds_swizzle_b32 v68, v67 offset:swizzle(BROADCAST,32,15)
	s_waitcnt lgkmcnt(0)
	v_cndmask_b32_e64 v68, v68, 0, s8
	v_add_nc_u32_e32 v67, v67, v68
	s_and_saveexec_b32 s16, s9
; %bb.157:                              ;   in Loop: Header=BB1944_152 Depth=1
	ds_write_b32 v48, v67
; %bb.158:                              ;   in Loop: Header=BB1944_152 Depth=1
	s_or_b32 exec_lo, exec_lo, s16
	s_waitcnt lgkmcnt(0)
	s_barrier
	buffer_gl0_inv
	s_and_saveexec_b32 s16, s10
	s_cbranch_execz .LBB1944_160
; %bb.159:                              ;   in Loop: Header=BB1944_152 Depth=1
	ds_read_b32 v68, v49
	s_waitcnt lgkmcnt(0)
	v_mov_b32_dpp v69, v68 row_shr:1 row_mask:0xf bank_mask:0xf
	v_cndmask_b32_e64 v69, v69, 0, s13
	v_add_nc_u32_e32 v68, v69, v68
	v_mov_b32_dpp v69, v68 row_shr:2 row_mask:0xf bank_mask:0xf
	v_cndmask_b32_e64 v69, 0, v69, s14
	v_add_nc_u32_e32 v68, v68, v69
	;; [unrolled: 3-line block ×3, first 2 shown]
	ds_write_b32 v49, v68
.LBB1944_160:                           ;   in Loop: Header=BB1944_152 Depth=1
	s_or_b32 exec_lo, exec_lo, s16
	v_mov_b32_e32 v68, 0
	s_waitcnt lgkmcnt(0)
	s_barrier
	buffer_gl0_inv
	s_and_saveexec_b32 s16, s11
; %bb.161:                              ;   in Loop: Header=BB1944_152 Depth=1
	ds_read_b32 v68, v51
; %bb.162:                              ;   in Loop: Header=BB1944_152 Depth=1
	s_or_b32 exec_lo, exec_lo, s16
	s_waitcnt lgkmcnt(0)
	v_add_nc_u32_e32 v67, v68, v67
	v_add_nc_u32_e32 v10, 8, v10
	s_mov_b32 s21, -1
	ds_bpermute_b32 v67, v38, v67
	s_waitcnt lgkmcnt(0)
	v_cndmask_b32_e64 v67, v67, v68, s6
	v_cndmask_b32_e64 v67, v67, 0, s12
	v_add_nc_u32_e32 v25, v67, v25
	v_add_nc_u32_e32 v26, v25, v26
	ds_write_b32 v15, v67
	ds_write_b32 v29, v25
	ds_write_b32 v31, v26
	v_mov_b32_e32 v25, v5
	v_add_nc_u32_e32 v27, v26, v27
                                        ; implicit-def: $vgpr67
	v_add_nc_u32_e32 v28, v27, v28
	v_add_nc_u32_e32 v65, v28, v65
	;; [unrolled: 1-line block ×4, first 2 shown]
	ds_write_b32 v32, v27
	ds_write_b32 v33, v28
	ds_write_b32 v34, v65
	ds_write_b32 v35, v66
	ds_write_b32 v36, v24
	s_waitcnt lgkmcnt(0)
	s_barrier
	buffer_gl0_inv
	ds_read_b32 v20, v20
	ds_read_b32 v23, v23
	s_waitcnt lgkmcnt(0)
                                        ; implicit-def: $vgpr65
	v_add_nc_u32_e32 v4, v20, v4
	v_add3_u32 v24, v22, v21, v23
	v_lshlrev_b64 v[20:21], 1, v[4:5]
	v_lshlrev_b64 v[22:23], 1, v[24:25]
	v_add_co_u32 v25, s17, v12, v20
	v_add_co_ci_u32_e64 v26, null, v13, v21, s17
	v_add_co_u32 v27, s17, v12, v22
	v_add_co_ci_u32_e64 v28, null, v13, v23, s17
	s_mov_b32 s17, exec_lo
                                        ; implicit-def: $vgpr22_vgpr23
                                        ; implicit-def: $vgpr20_vgpr21
	v_cmpx_lt_u32_e64 v10, v11
	s_cbranch_execz .LBB1944_151
; %bb.163:                              ;   in Loop: Header=BB1944_152 Depth=1
	v_mad_u64_u32 v[20:21], null, v4, 6, v[25:26]
	v_mad_u64_u32 v[21:22], null, v24, 6, v[27:28]
	s_barrier
	buffer_gl0_inv
	ds_write_b16 v25, v55
	ds_write_b16 v27, v64
	s_waitcnt lgkmcnt(0)
	s_barrier
	buffer_gl0_inv
	ds_read_u16 v67, v39
	ds_read_u16 v65, v52
	s_waitcnt lgkmcnt(0)
	s_barrier
	buffer_gl0_inv
	ds_write_b64 v20, v[18:19]
	ds_write_b64 v21, v[8:9]
	s_waitcnt lgkmcnt(0)
	s_barrier
	buffer_gl0_inv
	ds_read_b64 v[20:21], v50
	ds_read_b64 v[22:23], v53
	v_add_nc_u32_e32 v54, -8, v54
	s_xor_b32 s21, exec_lo, -1
	s_waitcnt lgkmcnt(0)
	s_barrier
	buffer_gl0_inv
	s_branch .LBB1944_151
.LBB1944_164:
	flat_load_dwordx2 v[48:49], v[4:5]
	v_mov_b32_e32 v50, v22
	v_mov_b32_e32 v51, v22
	;; [unrolled: 1-line block ×6, first 2 shown]
	s_waitcnt vmcnt(0) lgkmcnt(0)
	v_mov_b32_e32 v22, v48
	v_mov_b32_e32 v23, v49
	;; [unrolled: 1-line block ×8, first 2 shown]
	s_or_b32 exec_lo, exec_lo, s7
	s_and_saveexec_b32 s6, s4
	s_cbranch_execz .LBB1944_91
.LBB1944_165:
	flat_load_dwordx2 v[24:25], v[4:5] offset:256
	s_or_b32 exec_lo, exec_lo, s6
	s_and_saveexec_b32 s4, s5
	s_cbranch_execz .LBB1944_92
.LBB1944_166:
	flat_load_dwordx2 v[26:27], v[4:5] offset:512
	s_or_b32 exec_lo, exec_lo, s4
	s_and_saveexec_b32 s4, vcc_lo
	s_cbranch_execnz .LBB1944_93
	s_branch .LBB1944_94
.LBB1944_167:
	flat_store_dwordx2 v[0:1], v[12:13]
	s_or_b32 exec_lo, exec_lo, s7
	s_and_saveexec_b32 s7, s4
	s_cbranch_execz .LBB1944_136
.LBB1944_168:
	v_add_co_u32 v2, vcc_lo, 0x800, v0
	v_add_co_ci_u32_e64 v3, null, 0, v1, vcc_lo
	flat_store_dwordx2 v[2:3], v[14:15]
	s_or_b32 exec_lo, exec_lo, s7
	s_and_saveexec_b32 s4, s5
	s_cbranch_execz .LBB1944_137
.LBB1944_169:
	v_add_co_u32 v2, vcc_lo, 0x1000, v0
	v_add_co_ci_u32_e64 v3, null, 0, v1, vcc_lo
	flat_store_dwordx2 v[2:3], v[8:9]
	s_or_b32 exec_lo, exec_lo, s4
	s_and_saveexec_b32 s4, s6
	s_cbranch_execnz .LBB1944_138
	s_branch .LBB1944_139
.LBB1944_170:
	s_or_b32 exec_lo, exec_lo, s20
	v_mad_u64_u32 v[10:11], null, v4, 6, v[25:26]
	v_lshl_add_u32 v13, v30, 1, v12
	v_mad_u64_u32 v[11:12], null, v24, 6, v[27:28]
	v_mul_u32_u24_e32 v12, 6, v30
	s_barrier
	buffer_gl0_inv
	ds_write_b16 v25, v55
	ds_write_b16 v27, v64
	s_waitcnt lgkmcnt(0)
	s_barrier
	buffer_gl0_inv
	ds_read_u16 v5, v13
	ds_read_u16 v4, v13 offset:512
	s_waitcnt lgkmcnt(0)
	s_barrier
	buffer_gl0_inv
	ds_write_b64 v10, v[18:19]
	v_add_nc_u32_e32 v10, v13, v12
	ds_write_b64 v11, v[8:9]
	s_waitcnt lgkmcnt(0)
	s_barrier
	buffer_gl0_inv
	ds_read2st64_b64 v[8:11], v10 offset1:4
	v_mov_b32_e32 v15, 0
	v_add_co_u32 v2, vcc_lo, v2, v16
	v_add_co_ci_u32_e64 v3, null, v3, v17, vcc_lo
	v_lshlrev_b64 v[12:13], 1, v[14:15]
	s_waitcnt lgkmcnt(0)
	s_barrier
	buffer_gl0_inv
	v_add_co_u32 v2, vcc_lo, v2, v12
	v_add_co_ci_u32_e64 v3, null, v3, v13, vcc_lo
	v_cmp_lt_u32_e32 vcc_lo, v14, v128
	s_and_saveexec_b32 s5, vcc_lo
	s_cbranch_execz .LBB1944_172
; %bb.171:
	v_cmp_gt_i16_e64 s4, 0, v5
	v_cndmask_b32_e64 v12, 0x7fff, 0, s4
	v_xor_b32_e32 v5, v12, v5
	flat_store_short v[2:3], v5
.LBB1944_172:
	s_or_b32 exec_lo, exec_lo, s5
	v_add_nc_u32_e32 v5, 0x100, v14
	v_cmp_lt_u32_e64 s4, v5, v128
	s_and_saveexec_b32 s6, s4
	s_cbranch_execz .LBB1944_174
; %bb.173:
	v_cmp_gt_i16_e64 s5, 0, v4
	v_cndmask_b32_e64 v5, 0x7fff, 0, s5
	v_xor_b32_e32 v4, v5, v4
	flat_store_short v[2:3], v4 offset:512
.LBB1944_174:
	s_or_b32 exec_lo, exec_lo, s6
	v_lshlrev_b64 v[2:3], 3, v[14:15]
	v_add_co_u32 v0, s5, v6, v0
	v_add_co_ci_u32_e64 v1, null, v7, v1, s5
	v_add_co_u32 v0, s5, v0, v2
	v_add_co_ci_u32_e64 v1, null, v1, v3, s5
	s_and_saveexec_b32 s5, vcc_lo
	s_cbranch_execz .LBB1944_176
; %bb.175:
	flat_store_dwordx2 v[0:1], v[8:9]
.LBB1944_176:
	s_or_b32 exec_lo, exec_lo, s5
	s_and_saveexec_b32 s5, s4
	s_cbranch_execz .LBB1944_178
; %bb.177:
	v_add_co_u32 v0, vcc_lo, 0x800, v0
	v_add_co_ci_u32_e64 v1, null, 0, v1, vcc_lo
	flat_store_dwordx2 v[0:1], v[10:11]
.LBB1944_178:
	s_or_b32 exec_lo, exec_lo, s5
                                        ; implicit-def: $vgpr14_vgpr15
                                        ; implicit-def: $vgpr8_vgpr9
                                        ; implicit-def: $vgpr16_vgpr17
                                        ; implicit-def: $vgpr128
                                        ; implicit-def: $vgpr0
                                        ; implicit-def: $vgpr1
                                        ; implicit-def: $vgpr2
                                        ; implicit-def: $vgpr3
                                        ; implicit-def: $vgpr4
                                        ; implicit-def: $vgpr5
                                        ; implicit-def: $vgpr6
                                        ; implicit-def: $vgpr7
                                        ; implicit-def: $vgpr10
                                        ; implicit-def: $vgpr11
                                        ; implicit-def: $vgpr12
                                        ; implicit-def: $vgpr13
                                        ; implicit-def: $vgpr30
                                        ; implicit-def: $vgpr66
.LBB1944_179:
	s_andn2_saveexec_b32 s4, s18
	s_cbranch_execz .LBB1944_199
; %bb.180:
	v_and_b32_e32 v20, 0xffffffe0, v14
	v_or_b32_e32 v15, v66, v20
	v_cmp_lt_u32_e32 vcc_lo, v15, v128
	v_mov_b32_e32 v15, -1
	s_and_saveexec_b32 s5, vcc_lo
	s_cbranch_execz .LBB1944_182
; %bb.181:
	v_mov_b32_e32 v21, 0
	v_lshlrev_b32_e32 v15, 1, v66
	v_add_co_u32 v18, s4, v0, v16
	v_add_co_ci_u32_e64 v19, null, v1, v17, s4
	v_lshlrev_b64 v[0:1], 1, v[20:21]
	v_add_co_u32 v15, s4, v18, v15
	v_add_co_ci_u32_e64 v18, null, 0, v19, s4
	v_add_co_u32 v0, s4, v15, v0
	v_add_co_ci_u32_e64 v1, null, v18, v1, s4
	flat_load_ushort v15, v[0:1]
.LBB1944_182:
	s_or_b32 exec_lo, exec_lo, s5
	v_lshlrev_b64 v[0:1], 3, v[8:9]
                                        ; implicit-def: $vgpr18_vgpr19
	s_and_saveexec_b32 s4, vcc_lo
	s_cbranch_execz .LBB1944_184
; %bb.183:
	v_mov_b32_e32 v21, 0
	v_lshlrev_b32_e32 v8, 3, v66
	v_add_co_u32 v9, vcc_lo, v4, v0
	v_add_co_ci_u32_e64 v18, null, v5, v1, vcc_lo
	v_lshlrev_b64 v[4:5], 3, v[20:21]
	v_add_co_u32 v8, vcc_lo, v9, v8
	v_add_co_ci_u32_e64 v9, null, 0, v18, vcc_lo
	v_add_co_u32 v4, vcc_lo, v8, v4
	v_add_co_ci_u32_e64 v5, null, v9, v5, vcc_lo
	flat_load_dwordx2 v[18:19], v[4:5]
.LBB1944_184:
	s_or_b32 exec_lo, exec_lo, s4
	s_waitcnt vmcnt(0) lgkmcnt(0)
	v_cmp_gt_i16_e32 vcc_lo, 0, v15
	v_lshl_add_u32 v5, v30, 5, v12
	v_sub_co_u32 v20, s6, v66, 1
	s_getpc_b64 s[4:5]
	s_add_u32 s4, s4, _ZN7rocprim17ROCPRIM_400000_NS16block_radix_sortI12hip_bfloat16Lj256ELj1ElLj1ELj1ELj8ELNS0_26block_radix_rank_algorithmE2ELNS0_18block_padding_hintE2ELNS0_4arch9wavefront6targetE0EE19radix_bits_per_passE@rel32@lo+4
	s_addc_u32 s5, s5, _ZN7rocprim17ROCPRIM_400000_NS16block_radix_sortI12hip_bfloat16Lj256ELj1ElLj1ELj1ELj8ELNS0_26block_radix_rank_algorithmE2ELNS0_18block_padding_hintE2ELNS0_4arch9wavefront6targetE0EE19radix_bits_per_passE@rel32@hi+12
	v_cndmask_b32_e64 v4, 0x7fff, 0, vcc_lo
	v_add_nc_u32_e32 v22, 36, v5
	v_add_nc_u32_e32 v23, 40, v5
	;; [unrolled: 1-line block ×4, first 2 shown]
	v_xor_b32_e32 v39, v4, v15
	v_add_nc_u32_e32 v15, 32, v5
	v_add_nc_u32_e32 v26, 52, v5
	;; [unrolled: 1-line block ×4, first 2 shown]
	v_and_b32_e32 v5, 0x3e0, v30
	v_and_b32_e32 v4, 15, v66
	s_load_dword s18, s[4:5], 0x0
	v_and_b32_e32 v9, 16, v66
	v_cmp_gt_i32_e64 s9, 0, v20
	v_min_u32_e32 v8, 0xe0, v5
	v_cmp_eq_u32_e32 vcc_lo, 0, v4
	v_cmp_lt_u32_e64 s4, 1, v4
	v_cmp_lt_u32_e64 s5, 3, v4
	;; [unrolled: 1-line block ×3, first 2 shown]
	v_or_b32_e32 v4, 31, v8
	v_lshrrev_b32_e32 v8, 3, v30
	v_cmp_eq_u32_e64 s8, 0, v9
	v_cndmask_b32_e64 v9, v20, v66, s9
	v_lshrrev_b32_e32 v29, 5, v14
	v_cmp_eq_u32_e64 s9, v30, v4
	v_and_b32_e32 v4, 0x7c, v8
	v_or_b32_e32 v8, v66, v5
	v_cmp_gt_u32_e64 s10, 8, v30
	v_cmp_lt_u32_e64 s11, 31, v30
	v_lshlrev_b32_e32 v31, 2, v9
	v_add_nc_u32_e32 v32, v12, v4
	v_and_b32_e32 v4, 7, v66
	v_lshl_add_u32 v34, v8, 1, v12
	v_mul_u32_u24_e32 v8, 6, v8
	v_cmp_eq_u32_e64 s12, 0, v30
	v_mov_b32_e32 v5, 0
	v_lshl_add_u32 v33, v30, 2, v12
	v_cmp_eq_u32_e64 s13, 0, v4
	v_cmp_lt_u32_e64 s14, 1, v4
	v_cmp_lt_u32_e64 s15, 3, v4
	v_add_nc_u32_e32 v35, -4, v32
	v_add_nc_u32_e32 v36, v34, v8
	v_sub_nc_u32_e32 v37, v11, v10
	s_mov_b32 s19, 0
	s_waitcnt lgkmcnt(0)
	s_waitcnt_vscnt null, 0x0
	s_barrier
	buffer_gl0_inv
	s_branch .LBB1944_186
.LBB1944_185:                           ;   in Loop: Header=BB1944_186 Depth=1
	s_or_b32 exec_lo, exec_lo, s17
	s_and_b32 s16, exec_lo, s20
	s_or_b32 s19, s16, s19
	s_andn2_b32 exec_lo, exec_lo, s19
	s_cbranch_execz .LBB1944_196
.LBB1944_186:                           ; =>This Inner Loop Header: Depth=1
	v_mov_b32_e32 v38, v39
	v_min_u32_e32 v8, s18, v37
	ds_write_b32 v15, v5
	ds_write_b32 v22, v5
	;; [unrolled: 1-line block ×5, first 2 shown]
	v_cmp_ne_u16_e64 s16, 0x8000, v38
	ds_write_b32 v26, v5
	ds_write_b32 v27, v5
	;; [unrolled: 1-line block ×3, first 2 shown]
	s_waitcnt lgkmcnt(0)
	s_barrier
	v_cndmask_b32_e64 v4, 0x7fff, v38, s16
	buffer_gl0_inv
	; wave barrier
	v_lshrrev_b32_sdwa v4, v10, v4 dst_sel:DWORD dst_unused:UNUSED_PAD src0_sel:DWORD src1_sel:WORD_0
	v_bfe_u32 v4, v4, 0, v8
	v_and_b32_e32 v8, 1, v4
	v_lshlrev_b32_e32 v9, 30, v4
	v_lshlrev_b32_e32 v20, 29, v4
	;; [unrolled: 1-line block ×4, first 2 shown]
	v_add_co_u32 v8, s16, v8, -1
	v_cndmask_b32_e64 v39, 0, 1, s16
	v_not_b32_e32 v51, v9
	v_cmp_gt_i32_e64 s17, 0, v9
	v_not_b32_e32 v9, v20
	v_lshlrev_b32_e32 v49, 26, v4
	v_cmp_ne_u32_e64 s16, 0, v39
	v_ashrrev_i32_e32 v51, 31, v51
	v_lshlrev_b32_e32 v50, 25, v4
	v_ashrrev_i32_e32 v9, 31, v9
	v_lshlrev_b32_e32 v39, 24, v4
	v_xor_b32_e32 v8, s16, v8
	v_cmp_gt_i32_e64 s16, 0, v20
	v_not_b32_e32 v20, v21
	v_xor_b32_e32 v51, s17, v51
	v_cmp_gt_i32_e64 s17, 0, v21
	v_and_b32_e32 v8, exec_lo, v8
	v_not_b32_e32 v21, v48
	v_ashrrev_i32_e32 v20, 31, v20
	v_xor_b32_e32 v9, s16, v9
	v_cmp_gt_i32_e64 s16, 0, v48
	v_and_b32_e32 v8, v8, v51
	v_not_b32_e32 v48, v49
	v_ashrrev_i32_e32 v21, 31, v21
	v_xor_b32_e32 v20, s17, v20
	v_cmp_gt_i32_e64 s17, 0, v49
	v_and_b32_e32 v8, v8, v9
	;; [unrolled: 5-line block ×4, first 2 shown]
	v_ashrrev_i32_e32 v20, 31, v20
	v_xor_b32_e32 v21, s16, v9
	v_lshlrev_b32_e32 v4, 3, v4
	v_and_b32_e32 v39, v8, v48
	v_mov_b32_e32 v8, v18
	v_mov_b32_e32 v9, v19
	v_xor_b32_e32 v18, s17, v20
	v_and_b32_e32 v19, v39, v21
	v_and_b32_e32 v19, v19, v18
	v_add_lshl_u32 v18, v4, v29, 2
	v_mbcnt_lo_u32_b32 v4, v19, 0
	v_add_co_u32 v18, null, v12, v18
	v_cmp_ne_u32_e64 s17, 0, v19
	v_cmp_eq_u32_e64 s16, 0, v4
	v_add_co_u32 v18, null, v18, 32
	s_and_b32 s17, s17, s16
	s_and_saveexec_b32 s16, s17
; %bb.187:                              ;   in Loop: Header=BB1944_186 Depth=1
	v_bcnt_u32_b32 v19, v19, 0
	ds_write_b32 v18, v19
; %bb.188:                              ;   in Loop: Header=BB1944_186 Depth=1
	s_or_b32 exec_lo, exec_lo, s16
	; wave barrier
	s_waitcnt lgkmcnt(0)
	s_barrier
	buffer_gl0_inv
	ds_read_b32 v20, v15
	ds_read_b32 v21, v22
	;; [unrolled: 1-line block ×8, first 2 shown]
	s_waitcnt lgkmcnt(6)
	v_add_nc_u32_e32 v52, v21, v20
	s_waitcnt lgkmcnt(4)
	v_add3_u32 v52, v52, v39, v48
	s_waitcnt lgkmcnt(2)
	v_add3_u32 v52, v52, v49, v50
	;; [unrolled: 2-line block ×3, first 2 shown]
	v_mov_b32_dpp v52, v51 row_shr:1 row_mask:0xf bank_mask:0xf
	v_cndmask_b32_e64 v52, v52, 0, vcc_lo
	v_add_nc_u32_e32 v51, v52, v51
	v_mov_b32_dpp v52, v51 row_shr:2 row_mask:0xf bank_mask:0xf
	v_cndmask_b32_e64 v52, 0, v52, s4
	v_add_nc_u32_e32 v51, v51, v52
	v_mov_b32_dpp v52, v51 row_shr:4 row_mask:0xf bank_mask:0xf
	v_cndmask_b32_e64 v52, 0, v52, s5
	;; [unrolled: 3-line block ×3, first 2 shown]
	v_add_nc_u32_e32 v51, v51, v52
	ds_swizzle_b32 v52, v51 offset:swizzle(BROADCAST,32,15)
	s_waitcnt lgkmcnt(0)
	v_cndmask_b32_e64 v52, v52, 0, s8
	v_add_nc_u32_e32 v51, v51, v52
	s_and_saveexec_b32 s16, s9
; %bb.189:                              ;   in Loop: Header=BB1944_186 Depth=1
	ds_write_b32 v32, v51
; %bb.190:                              ;   in Loop: Header=BB1944_186 Depth=1
	s_or_b32 exec_lo, exec_lo, s16
	s_waitcnt lgkmcnt(0)
	s_barrier
	buffer_gl0_inv
	s_and_saveexec_b32 s16, s10
	s_cbranch_execz .LBB1944_192
; %bb.191:                              ;   in Loop: Header=BB1944_186 Depth=1
	ds_read_b32 v52, v33
	s_waitcnt lgkmcnt(0)
	v_mov_b32_dpp v53, v52 row_shr:1 row_mask:0xf bank_mask:0xf
	v_cndmask_b32_e64 v53, v53, 0, s13
	v_add_nc_u32_e32 v52, v53, v52
	v_mov_b32_dpp v53, v52 row_shr:2 row_mask:0xf bank_mask:0xf
	v_cndmask_b32_e64 v53, 0, v53, s14
	v_add_nc_u32_e32 v52, v52, v53
	;; [unrolled: 3-line block ×3, first 2 shown]
	ds_write_b32 v33, v52
.LBB1944_192:                           ;   in Loop: Header=BB1944_186 Depth=1
	s_or_b32 exec_lo, exec_lo, s16
	v_mov_b32_e32 v52, 0
	s_waitcnt lgkmcnt(0)
	s_barrier
	buffer_gl0_inv
	s_and_saveexec_b32 s16, s11
; %bb.193:                              ;   in Loop: Header=BB1944_186 Depth=1
	ds_read_b32 v52, v35
; %bb.194:                              ;   in Loop: Header=BB1944_186 Depth=1
	s_or_b32 exec_lo, exec_lo, s16
	s_waitcnt lgkmcnt(0)
	v_add_nc_u32_e32 v51, v52, v51
	v_add_nc_u32_e32 v10, 8, v10
	s_mov_b32 s20, -1
	ds_bpermute_b32 v51, v31, v51
	s_waitcnt lgkmcnt(0)
	v_cndmask_b32_e64 v51, v51, v52, s6
	v_cndmask_b32_e64 v51, v51, 0, s12
	v_add_nc_u32_e32 v20, v51, v20
	v_add_nc_u32_e32 v21, v20, v21
	ds_write_b32 v15, v51
	ds_write_b32 v22, v20
	;; [unrolled: 1-line block ×3, first 2 shown]
	v_add_nc_u32_e32 v39, v21, v39
	v_add_nc_u32_e32 v48, v39, v48
	;; [unrolled: 1-line block ×5, first 2 shown]
	ds_write_b32 v24, v39
	ds_write_b32 v25, v48
	;; [unrolled: 1-line block ×5, first 2 shown]
	s_waitcnt lgkmcnt(0)
	s_barrier
	buffer_gl0_inv
	ds_read_b32 v18, v18
	s_waitcnt lgkmcnt(0)
                                        ; implicit-def: $vgpr39
	v_add_nc_u32_e32 v4, v18, v4
	v_lshlrev_b64 v[18:19], 1, v[4:5]
	v_add_co_u32 v20, s17, v12, v18
	v_add_co_ci_u32_e64 v21, null, v13, v19, s17
	s_mov_b32 s17, exec_lo
                                        ; implicit-def: $vgpr18_vgpr19
	v_cmpx_lt_u32_e64 v10, v11
	s_cbranch_execz .LBB1944_185
; %bb.195:                              ;   in Loop: Header=BB1944_186 Depth=1
	v_mad_u64_u32 v[18:19], null, v4, 6, v[20:21]
	s_barrier
	buffer_gl0_inv
	ds_write_b16 v20, v38
	s_waitcnt lgkmcnt(0)
	s_barrier
	buffer_gl0_inv
	ds_read_u16 v39, v34
	s_waitcnt lgkmcnt(0)
	s_barrier
	buffer_gl0_inv
	ds_write_b64 v18, v[8:9]
	s_waitcnt lgkmcnt(0)
	s_barrier
	buffer_gl0_inv
	ds_read_b64 v[18:19], v36
	v_add_nc_u32_e32 v37, -8, v37
	s_xor_b32 s20, exec_lo, -1
	s_waitcnt lgkmcnt(0)
	s_barrier
	buffer_gl0_inv
	s_branch .LBB1944_185
.LBB1944_196:
	s_or_b32 exec_lo, exec_lo, s19
	v_mad_u64_u32 v[4:5], null, v4, 6, v[20:21]
	v_lshl_add_u32 v11, v30, 1, v12
	v_mul_u32_u24_e32 v5, 6, v30
	s_barrier
	buffer_gl0_inv
	ds_write_b16 v20, v38
	s_waitcnt lgkmcnt(0)
	v_add_nc_u32_e32 v5, v11, v5
	s_barrier
	buffer_gl0_inv
	ds_read_u16 v10, v11
	s_waitcnt lgkmcnt(0)
	s_barrier
	buffer_gl0_inv
	ds_write_b64 v4, v[8:9]
	s_waitcnt lgkmcnt(0)
	s_barrier
	buffer_gl0_inv
	ds_read_b64 v[4:5], v5
	s_mov_b32 s4, exec_lo
	s_waitcnt lgkmcnt(0)
	s_barrier
	buffer_gl0_inv
	v_cmpx_lt_u32_e64 v14, v128
	s_cbranch_execz .LBB1944_198
; %bb.197:
	v_add_co_u32 v8, vcc_lo, v6, v0
	v_mov_b32_e32 v15, 0
	v_add_co_ci_u32_e64 v9, null, v7, v1, vcc_lo
	v_cmp_gt_i16_e32 vcc_lo, 0, v10
	v_lshlrev_b64 v[6:7], 1, v[14:15]
	v_lshlrev_b64 v[0:1], 3, v[14:15]
	v_cndmask_b32_e64 v11, 0x7fff, 0, vcc_lo
	v_add_co_u32 v2, vcc_lo, v2, v16
	v_add_co_ci_u32_e64 v3, null, v3, v17, vcc_lo
	v_xor_b32_e32 v10, v11, v10
	v_add_co_u32 v2, vcc_lo, v2, v6
	v_add_co_ci_u32_e64 v3, null, v3, v7, vcc_lo
	v_add_co_u32 v0, vcc_lo, v8, v0
	v_add_co_ci_u32_e64 v1, null, v9, v1, vcc_lo
	flat_store_short v[2:3], v10
	flat_store_dwordx2 v[0:1], v[4:5]
.LBB1944_198:
	s_or_b32 exec_lo, exec_lo, s4
.LBB1944_199:
	s_or_b32 exec_lo, exec_lo, s22
	s_waitcnt lgkmcnt(0)
	s_setpc_b64 s[30:31]
.Lfunc_end1944:
	.size	_ZN7rocprim17ROCPRIM_400000_NS6detail40segmented_radix_sort_single_block_helperI12hip_bfloat16lLj256ELj8ELb1EE4sortIPKS3_PS3_PKlPlEEbT_T0_T1_T2_jjjjRNS4_12storage_typeE, .Lfunc_end1944-_ZN7rocprim17ROCPRIM_400000_NS6detail40segmented_radix_sort_single_block_helperI12hip_bfloat16lLj256ELj8ELb1EE4sortIPKS3_PS3_PKlPlEEbT_T0_T1_T2_jjjjRNS4_12storage_typeE
                                        ; -- End function
	.set .L_ZN7rocprim17ROCPRIM_400000_NS6detail40segmented_radix_sort_single_block_helperI12hip_bfloat16lLj256ELj8ELb1EE4sortIPKS3_PS3_PKlPlEEbT_T0_T1_T2_jjjjRNS4_12storage_typeE.num_vgpr, 184
	.set .L_ZN7rocprim17ROCPRIM_400000_NS6detail40segmented_radix_sort_single_block_helperI12hip_bfloat16lLj256ELj8ELb1EE4sortIPKS3_PS3_PKlPlEEbT_T0_T1_T2_jjjjRNS4_12storage_typeE.num_agpr, 0
	.set .L_ZN7rocprim17ROCPRIM_400000_NS6detail40segmented_radix_sort_single_block_helperI12hip_bfloat16lLj256ELj8ELb1EE4sortIPKS3_PS3_PKlPlEEbT_T0_T1_T2_jjjjRNS4_12storage_typeE.numbered_sgpr, 32
	.set .L_ZN7rocprim17ROCPRIM_400000_NS6detail40segmented_radix_sort_single_block_helperI12hip_bfloat16lLj256ELj8ELb1EE4sortIPKS3_PS3_PKlPlEEbT_T0_T1_T2_jjjjRNS4_12storage_typeE.num_named_barrier, 0
	.set .L_ZN7rocprim17ROCPRIM_400000_NS6detail40segmented_radix_sort_single_block_helperI12hip_bfloat16lLj256ELj8ELb1EE4sortIPKS3_PS3_PKlPlEEbT_T0_T1_T2_jjjjRNS4_12storage_typeE.private_seg_size, 0
	.set .L_ZN7rocprim17ROCPRIM_400000_NS6detail40segmented_radix_sort_single_block_helperI12hip_bfloat16lLj256ELj8ELb1EE4sortIPKS3_PS3_PKlPlEEbT_T0_T1_T2_jjjjRNS4_12storage_typeE.uses_vcc, 1
	.set .L_ZN7rocprim17ROCPRIM_400000_NS6detail40segmented_radix_sort_single_block_helperI12hip_bfloat16lLj256ELj8ELb1EE4sortIPKS3_PS3_PKlPlEEbT_T0_T1_T2_jjjjRNS4_12storage_typeE.uses_flat_scratch, 0
	.set .L_ZN7rocprim17ROCPRIM_400000_NS6detail40segmented_radix_sort_single_block_helperI12hip_bfloat16lLj256ELj8ELb1EE4sortIPKS3_PS3_PKlPlEEbT_T0_T1_T2_jjjjRNS4_12storage_typeE.has_dyn_sized_stack, 0
	.set .L_ZN7rocprim17ROCPRIM_400000_NS6detail40segmented_radix_sort_single_block_helperI12hip_bfloat16lLj256ELj8ELb1EE4sortIPKS3_PS3_PKlPlEEbT_T0_T1_T2_jjjjRNS4_12storage_typeE.has_recursion, 0
	.set .L_ZN7rocprim17ROCPRIM_400000_NS6detail40segmented_radix_sort_single_block_helperI12hip_bfloat16lLj256ELj8ELb1EE4sortIPKS3_PS3_PKlPlEEbT_T0_T1_T2_jjjjRNS4_12storage_typeE.has_indirect_call, 0
	.section	.AMDGPU.csdata,"",@progbits
; Function info:
; codeLenInByte = 16440
; TotalNumSgprs: 34
; NumVgprs: 184
; ScratchSize: 0
; MemoryBound: 1
	.section	.text._ZN7rocprim17ROCPRIM_400000_NS6detail17trampoline_kernelINS0_14default_configENS1_36segmented_radix_sort_config_selectorI12hip_bfloat16lEEZNS1_25segmented_radix_sort_implIS3_Lb1EPKS5_PS5_PKlPlN2at6native12_GLOBAL__N_18offset_tEEE10hipError_tPvRmT1_PNSt15iterator_traitsISL_E10value_typeET2_T3_PNSM_ISR_E10value_typeET4_jRbjT5_SX_jjP12ihipStream_tbEUlT_E_NS1_11comp_targetILNS1_3genE8ELNS1_11target_archE1030ELNS1_3gpuE2ELNS1_3repE0EEENS1_30default_config_static_selectorELNS0_4arch9wavefront6targetE0EEEvSL_,"axG",@progbits,_ZN7rocprim17ROCPRIM_400000_NS6detail17trampoline_kernelINS0_14default_configENS1_36segmented_radix_sort_config_selectorI12hip_bfloat16lEEZNS1_25segmented_radix_sort_implIS3_Lb1EPKS5_PS5_PKlPlN2at6native12_GLOBAL__N_18offset_tEEE10hipError_tPvRmT1_PNSt15iterator_traitsISL_E10value_typeET2_T3_PNSM_ISR_E10value_typeET4_jRbjT5_SX_jjP12ihipStream_tbEUlT_E_NS1_11comp_targetILNS1_3genE8ELNS1_11target_archE1030ELNS1_3gpuE2ELNS1_3repE0EEENS1_30default_config_static_selectorELNS0_4arch9wavefront6targetE0EEEvSL_,comdat
	.globl	_ZN7rocprim17ROCPRIM_400000_NS6detail17trampoline_kernelINS0_14default_configENS1_36segmented_radix_sort_config_selectorI12hip_bfloat16lEEZNS1_25segmented_radix_sort_implIS3_Lb1EPKS5_PS5_PKlPlN2at6native12_GLOBAL__N_18offset_tEEE10hipError_tPvRmT1_PNSt15iterator_traitsISL_E10value_typeET2_T3_PNSM_ISR_E10value_typeET4_jRbjT5_SX_jjP12ihipStream_tbEUlT_E_NS1_11comp_targetILNS1_3genE8ELNS1_11target_archE1030ELNS1_3gpuE2ELNS1_3repE0EEENS1_30default_config_static_selectorELNS0_4arch9wavefront6targetE0EEEvSL_ ; -- Begin function _ZN7rocprim17ROCPRIM_400000_NS6detail17trampoline_kernelINS0_14default_configENS1_36segmented_radix_sort_config_selectorI12hip_bfloat16lEEZNS1_25segmented_radix_sort_implIS3_Lb1EPKS5_PS5_PKlPlN2at6native12_GLOBAL__N_18offset_tEEE10hipError_tPvRmT1_PNSt15iterator_traitsISL_E10value_typeET2_T3_PNSM_ISR_E10value_typeET4_jRbjT5_SX_jjP12ihipStream_tbEUlT_E_NS1_11comp_targetILNS1_3genE8ELNS1_11target_archE1030ELNS1_3gpuE2ELNS1_3repE0EEENS1_30default_config_static_selectorELNS0_4arch9wavefront6targetE0EEEvSL_
	.p2align	8
	.type	_ZN7rocprim17ROCPRIM_400000_NS6detail17trampoline_kernelINS0_14default_configENS1_36segmented_radix_sort_config_selectorI12hip_bfloat16lEEZNS1_25segmented_radix_sort_implIS3_Lb1EPKS5_PS5_PKlPlN2at6native12_GLOBAL__N_18offset_tEEE10hipError_tPvRmT1_PNSt15iterator_traitsISL_E10value_typeET2_T3_PNSM_ISR_E10value_typeET4_jRbjT5_SX_jjP12ihipStream_tbEUlT_E_NS1_11comp_targetILNS1_3genE8ELNS1_11target_archE1030ELNS1_3gpuE2ELNS1_3repE0EEENS1_30default_config_static_selectorELNS0_4arch9wavefront6targetE0EEEvSL_,@function
_ZN7rocprim17ROCPRIM_400000_NS6detail17trampoline_kernelINS0_14default_configENS1_36segmented_radix_sort_config_selectorI12hip_bfloat16lEEZNS1_25segmented_radix_sort_implIS3_Lb1EPKS5_PS5_PKlPlN2at6native12_GLOBAL__N_18offset_tEEE10hipError_tPvRmT1_PNSt15iterator_traitsISL_E10value_typeET2_T3_PNSM_ISR_E10value_typeET4_jRbjT5_SX_jjP12ihipStream_tbEUlT_E_NS1_11comp_targetILNS1_3genE8ELNS1_11target_archE1030ELNS1_3gpuE2ELNS1_3repE0EEENS1_30default_config_static_selectorELNS0_4arch9wavefront6targetE0EEEvSL_: ; @_ZN7rocprim17ROCPRIM_400000_NS6detail17trampoline_kernelINS0_14default_configENS1_36segmented_radix_sort_config_selectorI12hip_bfloat16lEEZNS1_25segmented_radix_sort_implIS3_Lb1EPKS5_PS5_PKlPlN2at6native12_GLOBAL__N_18offset_tEEE10hipError_tPvRmT1_PNSt15iterator_traitsISL_E10value_typeET2_T3_PNSM_ISR_E10value_typeET4_jRbjT5_SX_jjP12ihipStream_tbEUlT_E_NS1_11comp_targetILNS1_3genE8ELNS1_11target_archE1030ELNS1_3gpuE2ELNS1_3repE0EEENS1_30default_config_static_selectorELNS0_4arch9wavefront6targetE0EEEvSL_
; %bb.0:
	s_load_dwordx2 s[12:13], s[4:5], 0x38
	s_mov_b32 s27, s7
	s_mov_b32 s7, 0
	s_add_u32 s0, s0, s8
	s_addc_u32 s1, s1, 0
	s_lshl_b64 s[14:15], s[6:7], 2
	s_load_dwordx4 s[8:11], s[4:5], 0x40
	s_mov_b32 s32, 0
	s_waitcnt lgkmcnt(0)
	s_add_u32 s12, s12, s14
	s_addc_u32 s13, s13, s15
	s_load_dword s7, s[12:13], 0x0
	s_waitcnt lgkmcnt(0)
	s_add_i32 s29, s7, s9
	s_add_i32 s33, s7, s11
	s_mul_i32 s29, s29, s8
	s_mul_i32 s33, s33, s10
	s_cmp_le_u32 s33, s29
	s_cbranch_scc1 .LBB1945_670
; %bb.1:
	s_clause 0x3
	s_load_dword s7, s[4:5], 0x30
	s_load_dwordx4 s[44:47], s[4:5], 0x20
	s_load_dwordx4 s[48:51], s[4:5], 0x50
	s_load_dwordx8 s[36:43], s[4:5], 0x0
	s_waitcnt lgkmcnt(0)
	s_bitcmp1_b32 s7, 0
	s_mov_b32 s7, -1
	s_cselect_b32 s51, -1, 0
	s_sub_i32 s52, s33, s29
	s_cmpk_lt_u32 s52, 0x801
	s_cbranch_scc0 .LBB1945_7
; %bb.2:
	v_cndmask_b32_e64 v3, 0, 1, s51
	s_and_b32 s7, s48, 1
	v_lshlrev_b32_e32 v41, 20, v2
	v_lshlrev_b32_e32 v42, 10, v1
	v_cmp_ne_u32_e32 vcc_lo, s7, v3
	s_mov_b32 s7, -1
	s_cbranch_vccnz .LBB1945_4
; %bb.3:
	s_mov_b64 s[10:11], src_shared_base
	v_or3_b32 v31, v0, v42, v41
	v_mov_b32_e32 v40, v0
	v_mov_b32_e32 v0, s36
	;; [unrolled: 1-line block ×17, first 2 shown]
	s_add_u32 s8, s4, 0x60
	s_addc_u32 s9, s5, 0
	s_getpc_b64 s[14:15]
	s_add_u32 s14, s14, _ZN7rocprim17ROCPRIM_400000_NS6detail40segmented_radix_sort_single_block_helperI12hip_bfloat16lLj256ELj8ELb1EE4sortIPKS3_PS3_PKlPlEEbT_T0_T1_T2_jjjjRNS4_12storage_typeE@rel32@lo+4
	s_addc_u32 s15, s15, _ZN7rocprim17ROCPRIM_400000_NS6detail40segmented_radix_sort_single_block_helperI12hip_bfloat16lLj256ELj8ELb1EE4sortIPKS3_PS3_PKlPlEEbT_T0_T1_T2_jjjjRNS4_12storage_typeE@rel32@hi+12
	s_mov_b32 s12, s6
	s_mov_b32 s13, s27
	;; [unrolled: 1-line block ×3, first 2 shown]
	s_mov_b64 s[34:35], s[4:5]
	s_swappc_b64 s[30:31], s[14:15]
	v_mov_b32_e32 v1, v43
	v_mov_b32_e32 v2, v44
	;; [unrolled: 1-line block ×3, first 2 shown]
	s_mov_b64 s[4:5], s[34:35]
	s_mov_b32 s6, s28
	s_mov_b32 s7, 0
.LBB1945_4:
	s_andn2_b32 vcc_lo, exec_lo, s7
	s_cbranch_vccnz .LBB1945_6
; %bb.5:
	s_mov_b64 s[10:11], src_shared_base
	v_or3_b32 v31, v0, v42, v41
	v_mov_b32_e32 v40, v0
	v_mov_b32_e32 v0, s36
	;; [unrolled: 1-line block ×17, first 2 shown]
	s_add_u32 s8, s4, 0x60
	s_addc_u32 s9, s5, 0
	s_getpc_b64 s[14:15]
	s_add_u32 s14, s14, _ZN7rocprim17ROCPRIM_400000_NS6detail40segmented_radix_sort_single_block_helperI12hip_bfloat16lLj256ELj8ELb1EE4sortIPKS3_PS3_PKlPlEEbT_T0_T1_T2_jjjjRNS4_12storage_typeE@rel32@lo+4
	s_addc_u32 s15, s15, _ZN7rocprim17ROCPRIM_400000_NS6detail40segmented_radix_sort_single_block_helperI12hip_bfloat16lLj256ELj8ELb1EE4sortIPKS3_PS3_PKlPlEEbT_T0_T1_T2_jjjjRNS4_12storage_typeE@rel32@hi+12
	s_mov_b32 s12, s6
	s_mov_b32 s13, s27
	;; [unrolled: 1-line block ×3, first 2 shown]
	s_mov_b64 s[34:35], s[4:5]
	s_swappc_b64 s[30:31], s[14:15]
	v_mov_b32_e32 v1, v41
	v_mov_b32_e32 v2, v42
	;; [unrolled: 1-line block ×3, first 2 shown]
	s_mov_b64 s[4:5], s[34:35]
	s_mov_b32 s6, s28
.LBB1945_6:
	s_mov_b32 s7, 0
.LBB1945_7:
	s_andn2_b32 vcc_lo, exec_lo, s7
	s_cbranch_vccnz .LBB1945_670
; %bb.8:
	s_cmp_ge_u32 s49, s50
	s_cbranch_scc1 .LBB1945_670
; %bb.9:
	v_lshlrev_b32_e32 v29, 2, v0
	v_and_b32_e32 v4, 3, v0
	v_lshrrev_b32_e32 v5, 3, v0
	v_or_b32_e32 v6, 31, v0
	v_lshlrev_b32_e32 v3, 1, v0
	v_mad_u32_u24 v41, v0, 12, v29
	v_lshlrev_b32_e32 v40, 2, v4
	v_lshlrev_b32_e32 v4, 3, v0
	v_and_b32_e32 v39, 28, v5
	v_lshlrev_b32_e32 v5, 5, v0
	v_mad_u32_u24 v44, v0, 20, v41
	v_cmp_eq_u32_e64 s8, v0, v6
	v_and_b32_e32 v4, 0x700, v4
	v_mbcnt_lo_u32_b32 v59, -1, 0
	v_or_b32_e32 v35, 0x400, v0
	v_sub_nc_u32_e32 v46, v44, v5
	v_or_b32_e32 v36, 0x500, v0
	v_lshlrev_b32_e32 v5, 3, v4
	v_lshlrev_b32_e32 v6, 1, v4
	;; [unrolled: 1-line block ×4, first 2 shown]
	v_or_b32_e32 v37, 0x600, v0
	v_add_co_u32 v7, s12, s46, v5
	v_add_co_ci_u32_e64 v8, null, s47, 0, s12
	v_add_co_u32 v9, s12, s40, v6
	v_add_co_ci_u32_e64 v10, null, s41, 0, s12
	;; [unrolled: 2-line block ×5, first 2 shown]
	v_add_co_u32 v55, s12, s36, v3
	v_or_b32_e32 v38, 0x700, v0
	v_or_b32_e32 v66, v59, v4
	v_add_co_ci_u32_e64 v56, null, s37, 0, s12
	v_add_co_u32 v57, s12, s42, v5
	v_add_co_u32 v83, vcc_lo, v7, v69
	v_add_co_u32 v33, s7, s40, v3
	v_add_co_ci_u32_e64 v58, null, s43, 0, s12
	v_add_co_u32 v60, s12, s36, v6
	v_add_co_ci_u32_e64 v84, null, 0, v8, vcc_lo
	v_add_co_u32 v85, vcc_lo, v9, v77
	v_or_b32_e32 v30, 0x100, v0
	v_or_b32_e32 v31, 0x200, v0
	;; [unrolled: 1-line block ×3, first 2 shown]
	v_add_co_ci_u32_e64 v34, null, s41, 0, s7
	v_cmp_gt_u32_e64 s7, 0x100, v0
	v_or_b32_e32 v42, 0x4400, v39
	v_cmp_gt_u32_e64 s9, 8, v0
	v_or_b32_e32 v43, 0x4400, v29
	v_cmp_lt_u32_e64 s10, 31, v0
	v_add_nc_u32_e32 v45, 0x43fc, v39
	s_add_u32 s30, s4, 0x60
	v_cmp_eq_u32_e64 s4, 0, v0
	v_cmp_ne_u32_e64 s11, 0xff, v0
	v_sub_nc_u32_e32 v47, v46, v3
	v_mul_u32_u24_e32 v48, 6, v0
	v_add_co_ci_u32_e64 v61, null, s37, 0, s12
	v_mov_b32_e32 v62, 1
	v_and_b32_e32 v63, 15, v59
	v_bfe_i32 v64, v59, 4, 1
	v_and_b32_e32 v65, 16, v59
	v_and_b32_e32 v67, 7, v59
	v_sub_co_u32 v68, s12, v59, 1
	v_or_b32_e32 v70, 32, v66
	v_or_b32_e32 v71, 64, v66
	;; [unrolled: 1-line block ×7, first 2 shown]
	v_add_nc_u32_e32 v78, 0x420, v44
	v_lshlrev_b32_e32 v79, 1, v0
	v_lshlrev_b32_e32 v80, 1, v35
	;; [unrolled: 1-line block ×4, first 2 shown]
	v_add_co_ci_u32_e64 v86, null, 0, v10, vcc_lo
	v_lshlrev_b32_e32 v87, 1, v38
	v_add_nc_u32_e32 v88, 0x428, v44
	v_add_nc_u32_e32 v89, 0x430, v44
	;; [unrolled: 1-line block ×3, first 2 shown]
	v_mov_b32_e32 v4, 0
	s_addc_u32 s31, s5, 0
	s_mov_b32 s35, 0
	s_mov_b32 s42, s49
	s_branch .LBB1945_12
.LBB1945_10:                            ;   in Loop: Header=BB1945_12 Depth=1
	s_waitcnt lgkmcnt(0)
	s_barrier
.LBB1945_11:                            ;   in Loop: Header=BB1945_12 Depth=1
	s_add_i32 s42, s42, 8
	buffer_gl0_inv
	s_cmp_ge_u32 s42, s50
	s_cbranch_scc1 .LBB1945_670
.LBB1945_12:                            ; =>This Loop Header: Depth=1
                                        ;     Child Loop BB1945_16 Depth 2
                                        ;     Child Loop BB1945_64 Depth 2
	;; [unrolled: 1-line block ×8, first 2 shown]
	s_sub_i32 s5, s50, s42
	s_xor_b32 s51, s51, -1
	s_min_u32 s5, s5, 8
	ds_write2st64_b32 v29, v4, v4 offset1:4
	s_lshl_b32 s5, -1, s5
	ds_write2st64_b32 v29, v4, v4 offset0:8 offset1:12
	s_not_b32 s43, s5
	s_cmp_lg_u32 s42, s49
	s_mov_b32 s5, -1
	s_waitcnt lgkmcnt(0)
	s_waitcnt_vscnt null, 0x0
	s_cbranch_scc0 .LBB1945_342
; %bb.13:                               ;   in Loop: Header=BB1945_12 Depth=1
	s_and_b32 vcc_lo, exec_lo, s51
	s_cbranch_vccz .LBB1945_177
; %bb.14:                               ;   in Loop: Header=BB1945_12 Depth=1
	s_mov_b32 s5, s52
	s_mov_b32 s34, s29
	s_barrier
	buffer_gl0_inv
                                        ; implicit-def: $vgpr3
                                        ; implicit-def: $vgpr5
                                        ; implicit-def: $vgpr6
                                        ; implicit-def: $vgpr7
                                        ; implicit-def: $vgpr8
                                        ; implicit-def: $vgpr9
                                        ; implicit-def: $vgpr10
                                        ; implicit-def: $vgpr11
	s_branch .LBB1945_16
.LBB1945_15:                            ;   in Loop: Header=BB1945_16 Depth=2
	s_or_b32 exec_lo, exec_lo, s14
	s_addk_i32 s5, 0xf800
	s_cmp_ge_u32 s13, s33
	s_mov_b32 s34, s13
	s_cbranch_scc1 .LBB1945_52
.LBB1945_16:                            ;   Parent Loop BB1945_12 Depth=1
                                        ; =>  This Inner Loop Header: Depth=2
	s_add_i32 s13, s34, 0x800
	s_mov_b32 s14, -1
	s_cmp_gt_u32 s13, s33
                                        ; implicit-def: $vgpr12
                                        ; implicit-def: $vgpr13
                                        ; implicit-def: $vgpr14
                                        ; implicit-def: $vgpr15
                                        ; implicit-def: $vgpr16
                                        ; implicit-def: $vgpr17
                                        ; implicit-def: $vgpr18
                                        ; implicit-def: $vgpr19
	s_cbranch_scc1 .LBB1945_18
; %bb.17:                               ;   in Loop: Header=BB1945_16 Depth=2
	s_lshl_b64 s[14:15], s[34:35], 1
	v_add_co_u32 v15, vcc_lo, v33, s14
	v_add_co_ci_u32_e64 v16, null, s15, v34, vcc_lo
	s_mov_b32 s14, 0
	v_add_co_u32 v19, vcc_lo, 0x800, v15
	v_add_co_ci_u32_e64 v20, null, 0, v16, vcc_lo
	s_clause 0x7
	global_load_ushort v12, v[15:16], off
	global_load_ushort v13, v[15:16], off offset:512
	global_load_ushort v14, v[15:16], off offset:1024
	;; [unrolled: 1-line block ×3, first 2 shown]
	global_load_ushort v16, v[19:20], off
	global_load_ushort v17, v[19:20], off offset:512
	global_load_ushort v18, v[19:20], off offset:1024
	;; [unrolled: 1-line block ×3, first 2 shown]
.LBB1945_18:                            ;   in Loop: Header=BB1945_16 Depth=2
	s_andn2_b32 vcc_lo, exec_lo, s14
	s_movk_i32 s14, 0x800
	s_cbranch_vccnz .LBB1945_29
; %bb.19:                               ;   in Loop: Header=BB1945_16 Depth=2
	s_lshl_b64 s[14:15], s[34:35], 1
	s_mov_b32 s16, exec_lo
	s_add_u32 s14, s40, s14
	s_addc_u32 s15, s41, s15
	v_cmpx_gt_u32_e64 s5, v0
	s_cbranch_execnz .LBB1945_45
; %bb.20:                               ;   in Loop: Header=BB1945_16 Depth=2
	s_or_b32 exec_lo, exec_lo, s16
	s_mov_b32 s16, exec_lo
	v_cmpx_gt_u32_e64 s5, v30
	s_cbranch_execnz .LBB1945_46
.LBB1945_21:                            ;   in Loop: Header=BB1945_16 Depth=2
	s_or_b32 exec_lo, exec_lo, s16
	s_mov_b32 s16, exec_lo
	v_cmpx_gt_u32_e64 s5, v31
	s_cbranch_execnz .LBB1945_47
.LBB1945_22:                            ;   in Loop: Header=BB1945_16 Depth=2
	s_or_b32 exec_lo, exec_lo, s16
	s_mov_b32 s16, exec_lo
	v_cmpx_gt_u32_e64 s5, v32
	s_cbranch_execnz .LBB1945_48
.LBB1945_23:                            ;   in Loop: Header=BB1945_16 Depth=2
	s_or_b32 exec_lo, exec_lo, s16
	s_mov_b32 s16, exec_lo
	v_cmpx_gt_u32_e64 s5, v35
	s_cbranch_execnz .LBB1945_49
.LBB1945_24:                            ;   in Loop: Header=BB1945_16 Depth=2
	s_or_b32 exec_lo, exec_lo, s16
	s_mov_b32 s16, exec_lo
	v_cmpx_gt_u32_e64 s5, v36
	s_cbranch_execnz .LBB1945_50
.LBB1945_25:                            ;   in Loop: Header=BB1945_16 Depth=2
	s_or_b32 exec_lo, exec_lo, s16
	s_mov_b32 s16, exec_lo
	v_cmpx_gt_u32_e64 s5, v37
	s_cbranch_execnz .LBB1945_51
.LBB1945_26:                            ;   in Loop: Header=BB1945_16 Depth=2
	s_or_b32 exec_lo, exec_lo, s16
	s_mov_b32 s16, exec_lo
	v_cmpx_gt_u32_e64 s5, v38
	s_cbranch_execz .LBB1945_28
.LBB1945_27:                            ;   in Loop: Header=BB1945_16 Depth=2
	global_load_ushort v3, v87, s[14:15]
.LBB1945_28:                            ;   in Loop: Header=BB1945_16 Depth=2
	s_or_b32 exec_lo, exec_lo, s16
	s_waitcnt vmcnt(0)
	v_mov_b32_e32 v12, v11
	v_mov_b32_e32 v13, v10
	;; [unrolled: 1-line block ×8, first 2 shown]
	s_mov_b32 s14, s5
.LBB1945_29:                            ;   in Loop: Header=BB1945_16 Depth=2
	s_waitcnt vmcnt(0)
	v_mov_b32_e32 v3, v19
	v_mov_b32_e32 v5, v18
	;; [unrolled: 1-line block ×8, first 2 shown]
	s_mov_b32 s15, exec_lo
	v_cmpx_gt_u32_e64 s14, v0
	s_cbranch_execnz .LBB1945_37
; %bb.30:                               ;   in Loop: Header=BB1945_16 Depth=2
	s_or_b32 exec_lo, exec_lo, s15
	s_mov_b32 s15, exec_lo
	v_cmpx_gt_u32_e64 s14, v30
	s_cbranch_execnz .LBB1945_38
.LBB1945_31:                            ;   in Loop: Header=BB1945_16 Depth=2
	s_or_b32 exec_lo, exec_lo, s15
	s_mov_b32 s15, exec_lo
	v_cmpx_gt_u32_e64 s14, v31
	s_cbranch_execnz .LBB1945_39
.LBB1945_32:                            ;   in Loop: Header=BB1945_16 Depth=2
	s_or_b32 exec_lo, exec_lo, s15
	s_mov_b32 s15, exec_lo
	v_cmpx_gt_u32_e64 s14, v32
	s_cbranch_execnz .LBB1945_40
.LBB1945_33:                            ;   in Loop: Header=BB1945_16 Depth=2
	s_or_b32 exec_lo, exec_lo, s15
	s_mov_b32 s15, exec_lo
	v_cmpx_gt_u32_e64 s14, v35
	s_cbranch_execnz .LBB1945_41
.LBB1945_34:                            ;   in Loop: Header=BB1945_16 Depth=2
	s_or_b32 exec_lo, exec_lo, s15
	s_mov_b32 s15, exec_lo
	v_cmpx_gt_u32_e64 s14, v36
	s_cbranch_execnz .LBB1945_42
.LBB1945_35:                            ;   in Loop: Header=BB1945_16 Depth=2
	s_or_b32 exec_lo, exec_lo, s15
	s_mov_b32 s15, exec_lo
	v_cmpx_gt_u32_e64 s14, v37
	s_cbranch_execnz .LBB1945_43
.LBB1945_36:                            ;   in Loop: Header=BB1945_16 Depth=2
	s_or_b32 exec_lo, exec_lo, s15
	v_cmp_gt_u32_e32 vcc_lo, s14, v38
	s_and_saveexec_b32 s14, vcc_lo
	s_cbranch_execz .LBB1945_15
	s_branch .LBB1945_44
.LBB1945_37:                            ;   in Loop: Header=BB1945_16 Depth=2
	v_cmp_gt_i16_e32 vcc_lo, 0, v11
	v_cndmask_b32_e64 v12, 0x7fff, 0, vcc_lo
	v_xor_b32_e32 v12, v12, v11
	v_cmp_ne_u16_e32 vcc_lo, 0x8000, v12
	v_cndmask_b32_e32 v12, 0x7fff, v12, vcc_lo
	v_lshrrev_b32_sdwa v12, s42, v12 dst_sel:DWORD dst_unused:UNUSED_PAD src0_sel:DWORD src1_sel:WORD_0
	v_and_b32_e32 v12, s43, v12
	v_lshl_or_b32 v12, v12, 4, v40
	ds_add_u32 v12, v62
	s_or_b32 exec_lo, exec_lo, s15
	s_mov_b32 s15, exec_lo
	v_cmpx_gt_u32_e64 s14, v30
	s_cbranch_execz .LBB1945_31
.LBB1945_38:                            ;   in Loop: Header=BB1945_16 Depth=2
	v_cmp_gt_i16_e32 vcc_lo, 0, v10
	v_cndmask_b32_e64 v12, 0x7fff, 0, vcc_lo
	v_xor_b32_e32 v12, v12, v10
	v_cmp_ne_u16_e32 vcc_lo, 0x8000, v12
	v_cndmask_b32_e32 v12, 0x7fff, v12, vcc_lo
	v_lshrrev_b32_sdwa v12, s42, v12 dst_sel:DWORD dst_unused:UNUSED_PAD src0_sel:DWORD src1_sel:WORD_0
	v_and_b32_e32 v12, s43, v12
	v_lshl_or_b32 v12, v12, 4, v40
	ds_add_u32 v12, v62
	s_or_b32 exec_lo, exec_lo, s15
	s_mov_b32 s15, exec_lo
	v_cmpx_gt_u32_e64 s14, v31
	s_cbranch_execz .LBB1945_32
.LBB1945_39:                            ;   in Loop: Header=BB1945_16 Depth=2
	v_cmp_gt_i16_e32 vcc_lo, 0, v9
	v_cndmask_b32_e64 v12, 0x7fff, 0, vcc_lo
	v_xor_b32_e32 v12, v12, v9
	v_cmp_ne_u16_e32 vcc_lo, 0x8000, v12
	v_cndmask_b32_e32 v12, 0x7fff, v12, vcc_lo
	v_lshrrev_b32_sdwa v12, s42, v12 dst_sel:DWORD dst_unused:UNUSED_PAD src0_sel:DWORD src1_sel:WORD_0
	v_and_b32_e32 v12, s43, v12
	v_lshl_or_b32 v12, v12, 4, v40
	ds_add_u32 v12, v62
	s_or_b32 exec_lo, exec_lo, s15
	s_mov_b32 s15, exec_lo
	v_cmpx_gt_u32_e64 s14, v32
	s_cbranch_execz .LBB1945_33
.LBB1945_40:                            ;   in Loop: Header=BB1945_16 Depth=2
	v_cmp_gt_i16_e32 vcc_lo, 0, v8
	v_cndmask_b32_e64 v12, 0x7fff, 0, vcc_lo
	v_xor_b32_e32 v12, v12, v8
	v_cmp_ne_u16_e32 vcc_lo, 0x8000, v12
	v_cndmask_b32_e32 v12, 0x7fff, v12, vcc_lo
	v_lshrrev_b32_sdwa v12, s42, v12 dst_sel:DWORD dst_unused:UNUSED_PAD src0_sel:DWORD src1_sel:WORD_0
	v_and_b32_e32 v12, s43, v12
	v_lshl_or_b32 v12, v12, 4, v40
	ds_add_u32 v12, v62
	s_or_b32 exec_lo, exec_lo, s15
	s_mov_b32 s15, exec_lo
	v_cmpx_gt_u32_e64 s14, v35
	s_cbranch_execz .LBB1945_34
.LBB1945_41:                            ;   in Loop: Header=BB1945_16 Depth=2
	v_cmp_gt_i16_e32 vcc_lo, 0, v7
	v_cndmask_b32_e64 v12, 0x7fff, 0, vcc_lo
	v_xor_b32_e32 v12, v12, v7
	v_cmp_ne_u16_e32 vcc_lo, 0x8000, v12
	v_cndmask_b32_e32 v12, 0x7fff, v12, vcc_lo
	v_lshrrev_b32_sdwa v12, s42, v12 dst_sel:DWORD dst_unused:UNUSED_PAD src0_sel:DWORD src1_sel:WORD_0
	v_and_b32_e32 v12, s43, v12
	v_lshl_or_b32 v12, v12, 4, v40
	ds_add_u32 v12, v62
	s_or_b32 exec_lo, exec_lo, s15
	s_mov_b32 s15, exec_lo
	v_cmpx_gt_u32_e64 s14, v36
	s_cbranch_execz .LBB1945_35
.LBB1945_42:                            ;   in Loop: Header=BB1945_16 Depth=2
	v_cmp_gt_i16_e32 vcc_lo, 0, v6
	v_cndmask_b32_e64 v12, 0x7fff, 0, vcc_lo
	v_xor_b32_e32 v12, v12, v6
	v_cmp_ne_u16_e32 vcc_lo, 0x8000, v12
	v_cndmask_b32_e32 v12, 0x7fff, v12, vcc_lo
	v_lshrrev_b32_sdwa v12, s42, v12 dst_sel:DWORD dst_unused:UNUSED_PAD src0_sel:DWORD src1_sel:WORD_0
	v_and_b32_e32 v12, s43, v12
	v_lshl_or_b32 v12, v12, 4, v40
	ds_add_u32 v12, v62
	s_or_b32 exec_lo, exec_lo, s15
	s_mov_b32 s15, exec_lo
	v_cmpx_gt_u32_e64 s14, v37
	s_cbranch_execz .LBB1945_36
.LBB1945_43:                            ;   in Loop: Header=BB1945_16 Depth=2
	v_cmp_gt_i16_e32 vcc_lo, 0, v5
	v_cndmask_b32_e64 v12, 0x7fff, 0, vcc_lo
	v_xor_b32_e32 v12, v12, v5
	v_cmp_ne_u16_e32 vcc_lo, 0x8000, v12
	v_cndmask_b32_e32 v12, 0x7fff, v12, vcc_lo
	v_lshrrev_b32_sdwa v12, s42, v12 dst_sel:DWORD dst_unused:UNUSED_PAD src0_sel:DWORD src1_sel:WORD_0
	v_and_b32_e32 v12, s43, v12
	v_lshl_or_b32 v12, v12, 4, v40
	ds_add_u32 v12, v62
	s_or_b32 exec_lo, exec_lo, s15
	v_cmp_gt_u32_e32 vcc_lo, s14, v38
	s_and_saveexec_b32 s14, vcc_lo
	s_cbranch_execz .LBB1945_15
.LBB1945_44:                            ;   in Loop: Header=BB1945_16 Depth=2
	v_cmp_gt_i16_e32 vcc_lo, 0, v3
	v_cndmask_b32_e64 v12, 0x7fff, 0, vcc_lo
	v_xor_b32_e32 v12, v12, v3
	v_cmp_ne_u16_e32 vcc_lo, 0x8000, v12
	v_cndmask_b32_e32 v12, 0x7fff, v12, vcc_lo
	v_lshrrev_b32_sdwa v12, s42, v12 dst_sel:DWORD dst_unused:UNUSED_PAD src0_sel:DWORD src1_sel:WORD_0
	v_and_b32_e32 v12, s43, v12
	v_lshl_or_b32 v12, v12, 4, v40
	ds_add_u32 v12, v62
	s_branch .LBB1945_15
.LBB1945_45:                            ;   in Loop: Header=BB1945_16 Depth=2
	global_load_ushort v11, v79, s[14:15]
	s_or_b32 exec_lo, exec_lo, s16
	s_mov_b32 s16, exec_lo
	v_cmpx_gt_u32_e64 s5, v30
	s_cbranch_execz .LBB1945_21
.LBB1945_46:                            ;   in Loop: Header=BB1945_16 Depth=2
	global_load_ushort v10, v79, s[14:15] offset:512
	s_or_b32 exec_lo, exec_lo, s16
	s_mov_b32 s16, exec_lo
	v_cmpx_gt_u32_e64 s5, v31
	s_cbranch_execz .LBB1945_22
.LBB1945_47:                            ;   in Loop: Header=BB1945_16 Depth=2
	global_load_ushort v9, v79, s[14:15] offset:1024
	s_or_b32 exec_lo, exec_lo, s16
	s_mov_b32 s16, exec_lo
	v_cmpx_gt_u32_e64 s5, v32
	s_cbranch_execz .LBB1945_23
.LBB1945_48:                            ;   in Loop: Header=BB1945_16 Depth=2
	global_load_ushort v8, v79, s[14:15] offset:1536
	s_or_b32 exec_lo, exec_lo, s16
	s_mov_b32 s16, exec_lo
	v_cmpx_gt_u32_e64 s5, v35
	s_cbranch_execz .LBB1945_24
.LBB1945_49:                            ;   in Loop: Header=BB1945_16 Depth=2
	global_load_ushort v7, v80, s[14:15]
	s_or_b32 exec_lo, exec_lo, s16
	s_mov_b32 s16, exec_lo
	v_cmpx_gt_u32_e64 s5, v36
	s_cbranch_execz .LBB1945_25
.LBB1945_50:                            ;   in Loop: Header=BB1945_16 Depth=2
	global_load_ushort v6, v81, s[14:15]
	s_or_b32 exec_lo, exec_lo, s16
	s_mov_b32 s16, exec_lo
	v_cmpx_gt_u32_e64 s5, v37
	s_cbranch_execz .LBB1945_26
.LBB1945_51:                            ;   in Loop: Header=BB1945_16 Depth=2
	global_load_ushort v5, v82, s[14:15]
	s_or_b32 exec_lo, exec_lo, s16
	s_mov_b32 s16, exec_lo
	v_cmpx_gt_u32_e64 s5, v38
	s_cbranch_execnz .LBB1945_27
	s_branch .LBB1945_28
.LBB1945_52:                            ;   in Loop: Header=BB1945_12 Depth=1
	v_mov_b32_e32 v3, 0
	s_waitcnt lgkmcnt(0)
	s_barrier
	buffer_gl0_inv
	s_and_saveexec_b32 s5, s7
	s_cbranch_execz .LBB1945_54
; %bb.53:                               ;   in Loop: Header=BB1945_12 Depth=1
	ds_read2_b64 v[5:8], v41 offset1:1
	s_waitcnt lgkmcnt(0)
	v_add_nc_u32_e32 v3, v6, v5
	v_add3_u32 v3, v3, v7, v8
.LBB1945_54:                            ;   in Loop: Header=BB1945_12 Depth=1
	s_or_b32 exec_lo, exec_lo, s5
	v_mov_b32_dpp v5, v3 row_shr:1 row_mask:0xf bank_mask:0xf
	v_cmp_eq_u32_e64 s5, 0, v63
	v_cmp_lt_u32_e64 s13, 1, v63
	v_cmp_lt_u32_e64 s14, 3, v63
	v_cmp_lt_u32_e64 s15, 7, v63
	v_cmp_eq_u32_e64 s16, 0, v65
	v_cndmask_b32_e64 v5, v5, 0, s5
	v_add_nc_u32_e32 v3, v5, v3
	v_mov_b32_dpp v5, v3 row_shr:2 row_mask:0xf bank_mask:0xf
	v_cndmask_b32_e64 v5, 0, v5, s13
	v_add_nc_u32_e32 v3, v3, v5
	v_mov_b32_dpp v5, v3 row_shr:4 row_mask:0xf bank_mask:0xf
	;; [unrolled: 3-line block ×3, first 2 shown]
	v_cndmask_b32_e64 v5, 0, v5, s15
	v_add_nc_u32_e32 v3, v3, v5
	ds_swizzle_b32 v5, v3 offset:swizzle(BROADCAST,32,15)
	s_waitcnt lgkmcnt(0)
	v_and_b32_e32 v5, v64, v5
	v_add_nc_u32_e32 v3, v3, v5
	s_and_saveexec_b32 s17, s8
; %bb.55:                               ;   in Loop: Header=BB1945_12 Depth=1
	ds_write_b32 v42, v3
; %bb.56:                               ;   in Loop: Header=BB1945_12 Depth=1
	s_or_b32 exec_lo, exec_lo, s17
	s_waitcnt lgkmcnt(0)
	s_barrier
	buffer_gl0_inv
	s_and_saveexec_b32 s17, s9
	s_cbranch_execz .LBB1945_58
; %bb.57:                               ;   in Loop: Header=BB1945_12 Depth=1
	ds_read_b32 v5, v43
	v_cmp_ne_u32_e32 vcc_lo, 0, v67
	s_waitcnt lgkmcnt(0)
	v_mov_b32_dpp v6, v5 row_shr:1 row_mask:0xf bank_mask:0xf
	v_cndmask_b32_e32 v6, 0, v6, vcc_lo
	v_cmp_lt_u32_e32 vcc_lo, 1, v67
	v_add_nc_u32_e32 v5, v6, v5
	v_mov_b32_dpp v6, v5 row_shr:2 row_mask:0xf bank_mask:0xf
	v_cndmask_b32_e32 v6, 0, v6, vcc_lo
	v_cmp_lt_u32_e32 vcc_lo, 3, v67
	v_add_nc_u32_e32 v5, v5, v6
	v_mov_b32_dpp v6, v5 row_shr:4 row_mask:0xf bank_mask:0xf
	v_cndmask_b32_e32 v6, 0, v6, vcc_lo
	v_add_nc_u32_e32 v5, v5, v6
	ds_write_b32 v43, v5
.LBB1945_58:                            ;   in Loop: Header=BB1945_12 Depth=1
	s_or_b32 exec_lo, exec_lo, s17
	v_mov_b32_e32 v5, 0
	s_waitcnt lgkmcnt(0)
	s_barrier
	buffer_gl0_inv
	s_and_saveexec_b32 s17, s10
; %bb.59:                               ;   in Loop: Header=BB1945_12 Depth=1
	ds_read_b32 v5, v45
; %bb.60:                               ;   in Loop: Header=BB1945_12 Depth=1
	s_or_b32 exec_lo, exec_lo, s17
	v_cmp_gt_i32_e32 vcc_lo, 0, v68
	s_waitcnt lgkmcnt(0)
	v_add_nc_u32_e32 v3, v5, v3
	s_barrier
	buffer_gl0_inv
	v_cndmask_b32_e32 v6, v68, v59, vcc_lo
	v_lshlrev_b32_e32 v91, 2, v6
	ds_bpermute_b32 v3, v91, v3
	s_and_saveexec_b32 s17, s7
	s_cbranch_execz .LBB1945_62
; %bb.61:                               ;   in Loop: Header=BB1945_12 Depth=1
	s_waitcnt lgkmcnt(0)
	v_cndmask_b32_e64 v3, v3, v5, s12
	v_add_nc_u32_e32 v3, s29, v3
	ds_write_b32 v29, v3
.LBB1945_62:                            ;   in Loop: Header=BB1945_12 Depth=1
	s_or_b32 exec_lo, exec_lo, s17
	s_clause 0x1
	s_load_dword s17, s[30:31], 0x4
	s_load_dword s20, s[30:31], 0xc
	s_mov_b32 s48, s52
	s_mov_b32 s34, s29
                                        ; implicit-def: $vgpr7_vgpr8
                                        ; implicit-def: $vgpr9_vgpr10
                                        ; implicit-def: $vgpr11_vgpr12
                                        ; implicit-def: $vgpr13_vgpr14
                                        ; implicit-def: $vgpr15_vgpr16
                                        ; implicit-def: $vgpr17_vgpr18
                                        ; implicit-def: $vgpr19_vgpr20
                                        ; implicit-def: $vgpr93
                                        ; implicit-def: $vgpr94
                                        ; implicit-def: $vgpr95
                                        ; implicit-def: $vgpr96
                                        ; implicit-def: $vgpr97
                                        ; implicit-def: $vgpr98
                                        ; implicit-def: $vgpr99
                                        ; implicit-def: $vgpr100
	s_waitcnt lgkmcnt(0)
	s_cmp_lt_u32 s27, s17
	s_cselect_b32 s17, 14, 20
	s_add_u32 s18, s30, s17
	s_addc_u32 s19, s31, 0
	s_and_b32 s17, s20, 0xffff
	global_load_ushort v3, v4, s[18:19]
	v_cmp_lt_u32_e64 s18, 1, v67
	v_cmp_lt_u32_e64 s19, 3, v67
	s_waitcnt vmcnt(0)
	v_mad_u32_u24 v3, v2, v3, v1
	v_mad_u64_u32 v[5:6], null, v3, s17, v[0:1]
	v_cmp_eq_u32_e64 s17, 0, v67
	v_lshrrev_b32_e32 v3, 3, v5
                                        ; implicit-def: $vgpr5_vgpr6
	v_and_b32_e32 v92, 0x1ffffffc, v3
	s_branch .LBB1945_64
.LBB1945_63:                            ;   in Loop: Header=BB1945_64 Depth=2
	s_or_b32 exec_lo, exec_lo, s20
	s_addk_i32 s48, 0xf800
	s_cmp_lt_u32 s53, s33
	s_mov_b32 s34, s53
	s_cbranch_scc0 .LBB1945_176
.LBB1945_64:                            ;   Parent Loop BB1945_12 Depth=1
                                        ; =>  This Inner Loop Header: Depth=2
	s_add_i32 s53, s34, 0x800
	s_cmp_gt_u32 s53, s33
	s_cbranch_scc1 .LBB1945_66
; %bb.65:                               ;   in Loop: Header=BB1945_64 Depth=2
	s_lshl_b64 s[20:21], s[34:35], 1
	v_add_co_u32 v21, vcc_lo, v85, s20
	v_add_co_ci_u32_e64 v22, null, s21, v86, vcc_lo
	s_mov_b32 s20, -1
	s_clause 0x6
	global_load_ushort v3, v[21:22], off
	global_load_ushort v28, v[21:22], off offset:64
	global_load_ushort v27, v[21:22], off offset:128
	;; [unrolled: 1-line block ×6, first 2 shown]
	s_movk_i32 s21, 0x800
	s_cbranch_execz .LBB1945_67
	s_branch .LBB1945_82
.LBB1945_66:                            ;   in Loop: Header=BB1945_64 Depth=2
	s_mov_b32 s20, 0
                                        ; implicit-def: $vgpr3
                                        ; implicit-def: $vgpr28
                                        ; implicit-def: $vgpr27
                                        ; implicit-def: $vgpr26
                                        ; implicit-def: $vgpr25
                                        ; implicit-def: $vgpr24
                                        ; implicit-def: $vgpr23
	s_movk_i32 s21, 0x800
.LBB1945_67:                            ;   in Loop: Header=BB1945_64 Depth=2
	s_lshl_b64 s[20:21], s[34:35], 1
	s_waitcnt vmcnt(5)
	v_mov_b32_e32 v28, -1
	v_add_co_u32 v21, vcc_lo, v85, s20
	v_add_co_ci_u32_e64 v22, null, s21, v86, vcc_lo
	v_mov_b32_e32 v3, -1
	s_mov_b32 s20, exec_lo
	v_cmpx_gt_u32_e64 s48, v66
	s_cbranch_execz .LBB1945_69
; %bb.68:                               ;   in Loop: Header=BB1945_64 Depth=2
	global_load_ushort v3, v[21:22], off
.LBB1945_69:                            ;   in Loop: Header=BB1945_64 Depth=2
	s_or_b32 exec_lo, exec_lo, s20
	s_mov_b32 s20, exec_lo
	v_cmpx_gt_u32_e64 s48, v70
	s_cbranch_execz .LBB1945_71
; %bb.70:                               ;   in Loop: Header=BB1945_64 Depth=2
	global_load_ushort v28, v[21:22], off offset:64
.LBB1945_71:                            ;   in Loop: Header=BB1945_64 Depth=2
	s_or_b32 exec_lo, exec_lo, s20
	s_waitcnt vmcnt(3)
	v_mov_b32_e32 v26, -1
	v_mov_b32_e32 v27, -1
	s_mov_b32 s20, exec_lo
	v_cmpx_gt_u32_e64 s48, v71
	s_cbranch_execz .LBB1945_73
; %bb.72:                               ;   in Loop: Header=BB1945_64 Depth=2
	global_load_ushort v27, v[21:22], off offset:128
.LBB1945_73:                            ;   in Loop: Header=BB1945_64 Depth=2
	s_or_b32 exec_lo, exec_lo, s20
	s_mov_b32 s20, exec_lo
	v_cmpx_gt_u32_e64 s48, v72
	s_cbranch_execz .LBB1945_75
; %bb.74:                               ;   in Loop: Header=BB1945_64 Depth=2
	global_load_ushort v26, v[21:22], off offset:192
.LBB1945_75:                            ;   in Loop: Header=BB1945_64 Depth=2
	s_or_b32 exec_lo, exec_lo, s20
	s_waitcnt vmcnt(1)
	v_mov_b32_e32 v24, -1
	v_mov_b32_e32 v25, -1
	s_mov_b32 s20, exec_lo
	v_cmpx_gt_u32_e64 s48, v73
	s_cbranch_execz .LBB1945_77
; %bb.76:                               ;   in Loop: Header=BB1945_64 Depth=2
	global_load_ushort v25, v[21:22], off offset:256
.LBB1945_77:                            ;   in Loop: Header=BB1945_64 Depth=2
	s_or_b32 exec_lo, exec_lo, s20
	s_mov_b32 s20, exec_lo
	v_cmpx_gt_u32_e64 s48, v74
	s_cbranch_execz .LBB1945_79
; %bb.78:                               ;   in Loop: Header=BB1945_64 Depth=2
	global_load_ushort v24, v[21:22], off offset:320
.LBB1945_79:                            ;   in Loop: Header=BB1945_64 Depth=2
	s_or_b32 exec_lo, exec_lo, s20
	s_waitcnt vmcnt(0)
	v_mov_b32_e32 v23, -1
	s_mov_b32 s20, exec_lo
	v_cmpx_gt_u32_e64 s48, v75
	s_cbranch_execz .LBB1945_81
; %bb.80:                               ;   in Loop: Header=BB1945_64 Depth=2
	global_load_ushort v23, v[21:22], off offset:384
.LBB1945_81:                            ;   in Loop: Header=BB1945_64 Depth=2
	s_or_b32 exec_lo, exec_lo, s20
	v_cmp_gt_u32_e64 s20, s48, v76
	s_sub_i32 s21, s33, s34
.LBB1945_82:                            ;   in Loop: Header=BB1945_64 Depth=2
	v_mov_b32_e32 v21, -1
	v_mov_b32_e32 v101, s48
	s_and_saveexec_b32 s22, s20
	s_cbranch_execz .LBB1945_84
; %bb.83:                               ;   in Loop: Header=BB1945_64 Depth=2
	s_lshl_b64 s[24:25], s[34:35], 1
	v_mov_b32_e32 v101, s21
	v_add_co_u32 v21, vcc_lo, v85, s24
	v_add_co_ci_u32_e64 v22, null, s25, v86, vcc_lo
	global_load_ushort v21, v[21:22], off offset:448
.LBB1945_84:                            ;   in Loop: Header=BB1945_64 Depth=2
	s_or_b32 exec_lo, exec_lo, s22
	s_waitcnt vmcnt(6)
	v_cmp_gt_i16_e32 vcc_lo, 0, v3
	ds_write2_b32 v78, v4, v4 offset1:1
	ds_write2_b32 v88, v4, v4 offset1:1
	;; [unrolled: 1-line block ×4, first 2 shown]
	ds_write_b32 v44, v4 offset:1088
	s_waitcnt vmcnt(0) lgkmcnt(0)
	s_barrier
	v_cndmask_b32_e64 v22, 0x7fff, 0, vcc_lo
	buffer_gl0_inv
	; wave barrier
	v_xor_b32_e32 v3, v22, v3
	v_cmp_ne_u16_e32 vcc_lo, 0x8000, v3
	v_cndmask_b32_e32 v22, 0x7fff, v3, vcc_lo
	v_lshrrev_b32_sdwa v22, s42, v22 dst_sel:DWORD dst_unused:UNUSED_PAD src0_sel:DWORD src1_sel:WORD_0
	v_and_b32_e32 v103, s43, v22
	v_and_b32_e32 v22, 1, v103
	v_lshlrev_b32_e32 v102, 30, v103
	v_lshlrev_b32_e32 v104, 29, v103
	;; [unrolled: 1-line block ×4, first 2 shown]
	v_add_co_u32 v22, s20, v22, -1
	v_cndmask_b32_e64 v106, 0, 1, s20
	v_not_b32_e32 v110, v102
	v_cmp_gt_i32_e64 s20, 0, v102
	v_not_b32_e32 v102, v104
	v_lshlrev_b32_e32 v108, 26, v103
	v_cmp_ne_u32_e32 vcc_lo, 0, v106
	v_ashrrev_i32_e32 v110, 31, v110
	v_lshlrev_b32_e32 v109, 25, v103
	v_ashrrev_i32_e32 v102, 31, v102
	v_lshlrev_b32_e32 v106, 24, v103
	v_xor_b32_e32 v22, vcc_lo, v22
	v_cmp_gt_i32_e32 vcc_lo, 0, v104
	v_not_b32_e32 v104, v105
	v_xor_b32_e32 v110, s20, v110
	v_cmp_gt_i32_e64 s20, 0, v105
	v_and_b32_e32 v22, exec_lo, v22
	v_not_b32_e32 v105, v107
	v_ashrrev_i32_e32 v104, 31, v104
	v_xor_b32_e32 v102, vcc_lo, v102
	v_cmp_gt_i32_e32 vcc_lo, 0, v107
	v_and_b32_e32 v22, v22, v110
	v_not_b32_e32 v107, v108
	v_ashrrev_i32_e32 v105, 31, v105
	v_xor_b32_e32 v104, s20, v104
	v_cmp_gt_i32_e64 s20, 0, v108
	v_and_b32_e32 v22, v22, v102
	v_not_b32_e32 v102, v109
	v_ashrrev_i32_e32 v107, 31, v107
	v_xor_b32_e32 v105, vcc_lo, v105
	v_cmp_gt_i32_e32 vcc_lo, 0, v109
	v_and_b32_e32 v22, v22, v104
	v_not_b32_e32 v104, v106
	v_ashrrev_i32_e32 v102, 31, v102
	v_xor_b32_e32 v107, s20, v107
	v_cmp_gt_i32_e64 s20, 0, v106
	v_and_b32_e32 v22, v22, v105
	v_ashrrev_i32_e32 v104, 31, v104
	v_xor_b32_e32 v102, vcc_lo, v102
	v_mul_u32_u24_e32 v103, 36, v103
	v_and_b32_e32 v22, v22, v107
	v_xor_b32_e32 v104, s20, v104
	v_and_b32_e32 v22, v22, v102
	v_and_b32_e32 v22, v22, v104
	v_add_nc_u32_e32 v104, v92, v103
	v_mbcnt_lo_u32_b32 v102, v22, 0
	v_cmp_ne_u32_e64 s20, 0, v22
	v_cmp_eq_u32_e32 vcc_lo, 0, v102
	s_and_b32 s21, s20, vcc_lo
	s_and_saveexec_b32 s20, s21
; %bb.85:                               ;   in Loop: Header=BB1945_64 Depth=2
	v_bcnt_u32_b32 v22, v22, 0
	ds_write_b32 v104, v22 offset:1056
; %bb.86:                               ;   in Loop: Header=BB1945_64 Depth=2
	s_or_b32 exec_lo, exec_lo, s20
	v_cmp_gt_i16_e32 vcc_lo, 0, v28
	; wave barrier
	v_cndmask_b32_e64 v22, 0x7fff, 0, vcc_lo
	v_xor_b32_e32 v103, v22, v28
	v_cmp_ne_u16_e32 vcc_lo, 0x8000, v103
	v_cndmask_b32_e32 v22, 0x7fff, v103, vcc_lo
	v_lshrrev_b32_sdwa v22, s42, v22 dst_sel:DWORD dst_unused:UNUSED_PAD src0_sel:DWORD src1_sel:WORD_0
	v_and_b32_e32 v28, s43, v22
	v_and_b32_e32 v22, 1, v28
	v_lshlrev_b32_e32 v105, 30, v28
	v_lshlrev_b32_e32 v106, 29, v28
	;; [unrolled: 1-line block ×4, first 2 shown]
	v_add_co_u32 v22, s20, v22, -1
	v_cndmask_b32_e64 v108, 0, 1, s20
	v_not_b32_e32 v112, v105
	v_cmp_gt_i32_e64 s20, 0, v105
	v_not_b32_e32 v105, v106
	v_lshlrev_b32_e32 v110, 26, v28
	v_cmp_ne_u32_e32 vcc_lo, 0, v108
	v_ashrrev_i32_e32 v112, 31, v112
	v_lshlrev_b32_e32 v111, 25, v28
	v_ashrrev_i32_e32 v105, 31, v105
	v_lshlrev_b32_e32 v108, 24, v28
	v_xor_b32_e32 v22, vcc_lo, v22
	v_cmp_gt_i32_e32 vcc_lo, 0, v106
	v_not_b32_e32 v106, v107
	v_xor_b32_e32 v112, s20, v112
	v_cmp_gt_i32_e64 s20, 0, v107
	v_and_b32_e32 v22, exec_lo, v22
	v_not_b32_e32 v107, v109
	v_ashrrev_i32_e32 v106, 31, v106
	v_xor_b32_e32 v105, vcc_lo, v105
	v_cmp_gt_i32_e32 vcc_lo, 0, v109
	v_and_b32_e32 v22, v22, v112
	v_not_b32_e32 v109, v110
	v_ashrrev_i32_e32 v107, 31, v107
	v_xor_b32_e32 v106, s20, v106
	v_cmp_gt_i32_e64 s20, 0, v110
	v_and_b32_e32 v22, v22, v105
	v_not_b32_e32 v105, v111
	v_ashrrev_i32_e32 v109, 31, v109
	v_xor_b32_e32 v107, vcc_lo, v107
	v_cmp_gt_i32_e32 vcc_lo, 0, v111
	v_and_b32_e32 v22, v22, v106
	v_not_b32_e32 v106, v108
	v_ashrrev_i32_e32 v105, 31, v105
	v_xor_b32_e32 v109, s20, v109
	v_cmp_gt_i32_e64 s20, 0, v108
	v_and_b32_e32 v22, v22, v107
	v_ashrrev_i32_e32 v106, 31, v106
	v_xor_b32_e32 v105, vcc_lo, v105
	v_mad_u32_u24 v107, v28, 36, v92
	v_mul_u32_u24_e32 v28, 36, v28
	v_and_b32_e32 v22, v22, v109
	v_xor_b32_e32 v106, s20, v106
	v_add_nc_u32_e32 v108, v92, v28
	v_and_b32_e32 v22, v22, v105
	ds_read_b32 v105, v107 offset:1056
	; wave barrier
	v_and_b32_e32 v22, v22, v106
	v_mbcnt_lo_u32_b32 v106, v22, 0
	v_cmp_ne_u32_e64 s20, 0, v22
	v_cmp_eq_u32_e32 vcc_lo, 0, v106
	s_and_b32 s21, s20, vcc_lo
	s_and_saveexec_b32 s20, s21
	s_cbranch_execz .LBB1945_88
; %bb.87:                               ;   in Loop: Header=BB1945_64 Depth=2
	s_waitcnt lgkmcnt(0)
	v_bcnt_u32_b32 v22, v22, v105
	ds_write_b32 v108, v22 offset:1056
.LBB1945_88:                            ;   in Loop: Header=BB1945_64 Depth=2
	s_or_b32 exec_lo, exec_lo, s20
	v_cmp_gt_i16_e32 vcc_lo, 0, v27
	; wave barrier
	v_cndmask_b32_e64 v22, 0x7fff, 0, vcc_lo
	v_xor_b32_e32 v107, v22, v27
	v_cmp_ne_u16_e32 vcc_lo, 0x8000, v107
	v_cndmask_b32_e32 v22, 0x7fff, v107, vcc_lo
	v_lshrrev_b32_sdwa v22, s42, v22 dst_sel:DWORD dst_unused:UNUSED_PAD src0_sel:DWORD src1_sel:WORD_0
	v_and_b32_e32 v27, s43, v22
	v_and_b32_e32 v22, 1, v27
	v_lshlrev_b32_e32 v28, 30, v27
	v_lshlrev_b32_e32 v109, 29, v27
	;; [unrolled: 1-line block ×4, first 2 shown]
	v_add_co_u32 v22, s20, v22, -1
	v_cndmask_b32_e64 v111, 0, 1, s20
	v_not_b32_e32 v115, v28
	v_cmp_gt_i32_e64 s20, 0, v28
	v_not_b32_e32 v28, v109
	v_lshlrev_b32_e32 v113, 26, v27
	v_cmp_ne_u32_e32 vcc_lo, 0, v111
	v_ashrrev_i32_e32 v115, 31, v115
	v_lshlrev_b32_e32 v114, 25, v27
	v_ashrrev_i32_e32 v28, 31, v28
	v_lshlrev_b32_e32 v111, 24, v27
	v_xor_b32_e32 v22, vcc_lo, v22
	v_cmp_gt_i32_e32 vcc_lo, 0, v109
	v_not_b32_e32 v109, v110
	v_xor_b32_e32 v115, s20, v115
	v_cmp_gt_i32_e64 s20, 0, v110
	v_and_b32_e32 v22, exec_lo, v22
	v_not_b32_e32 v110, v112
	v_ashrrev_i32_e32 v109, 31, v109
	v_xor_b32_e32 v28, vcc_lo, v28
	v_cmp_gt_i32_e32 vcc_lo, 0, v112
	v_and_b32_e32 v22, v22, v115
	v_not_b32_e32 v112, v113
	v_ashrrev_i32_e32 v110, 31, v110
	v_xor_b32_e32 v109, s20, v109
	v_cmp_gt_i32_e64 s20, 0, v113
	v_and_b32_e32 v22, v22, v28
	v_not_b32_e32 v28, v114
	v_ashrrev_i32_e32 v112, 31, v112
	v_xor_b32_e32 v110, vcc_lo, v110
	v_cmp_gt_i32_e32 vcc_lo, 0, v114
	v_and_b32_e32 v22, v22, v109
	v_not_b32_e32 v109, v111
	v_ashrrev_i32_e32 v28, 31, v28
	v_xor_b32_e32 v112, s20, v112
	v_cmp_gt_i32_e64 s20, 0, v111
	v_and_b32_e32 v22, v22, v110
	v_ashrrev_i32_e32 v109, 31, v109
	v_xor_b32_e32 v28, vcc_lo, v28
	v_mad_u32_u24 v110, v27, 36, v92
	v_mul_u32_u24_e32 v27, 36, v27
	v_and_b32_e32 v22, v22, v112
	v_xor_b32_e32 v111, s20, v109
	ds_read_b32 v109, v110 offset:1056
	v_add_nc_u32_e32 v112, v92, v27
	v_and_b32_e32 v22, v22, v28
	; wave barrier
	v_and_b32_e32 v22, v22, v111
	v_mbcnt_lo_u32_b32 v111, v22, 0
	v_cmp_ne_u32_e64 s20, 0, v22
	v_cmp_eq_u32_e32 vcc_lo, 0, v111
	s_and_b32 s21, s20, vcc_lo
	s_and_saveexec_b32 s20, s21
	s_cbranch_execz .LBB1945_90
; %bb.89:                               ;   in Loop: Header=BB1945_64 Depth=2
	s_waitcnt lgkmcnt(0)
	v_bcnt_u32_b32 v22, v22, v109
	ds_write_b32 v112, v22 offset:1056
.LBB1945_90:                            ;   in Loop: Header=BB1945_64 Depth=2
	s_or_b32 exec_lo, exec_lo, s20
	v_cmp_gt_i16_e32 vcc_lo, 0, v26
	; wave barrier
	v_cndmask_b32_e64 v22, 0x7fff, 0, vcc_lo
	v_xor_b32_e32 v110, v22, v26
	v_cmp_ne_u16_e32 vcc_lo, 0x8000, v110
	v_cndmask_b32_e32 v22, 0x7fff, v110, vcc_lo
	v_lshrrev_b32_sdwa v22, s42, v22 dst_sel:DWORD dst_unused:UNUSED_PAD src0_sel:DWORD src1_sel:WORD_0
	v_and_b32_e32 v26, s43, v22
	v_and_b32_e32 v22, 1, v26
	v_lshlrev_b32_e32 v27, 30, v26
	v_lshlrev_b32_e32 v28, 29, v26
	;; [unrolled: 1-line block ×4, first 2 shown]
	v_add_co_u32 v22, s20, v22, -1
	v_cndmask_b32_e64 v114, 0, 1, s20
	v_not_b32_e32 v118, v27
	v_cmp_gt_i32_e64 s20, 0, v27
	v_not_b32_e32 v27, v28
	v_lshlrev_b32_e32 v116, 26, v26
	v_cmp_ne_u32_e32 vcc_lo, 0, v114
	v_ashrrev_i32_e32 v118, 31, v118
	v_lshlrev_b32_e32 v117, 25, v26
	v_ashrrev_i32_e32 v27, 31, v27
	v_lshlrev_b32_e32 v114, 24, v26
	v_xor_b32_e32 v22, vcc_lo, v22
	v_cmp_gt_i32_e32 vcc_lo, 0, v28
	v_not_b32_e32 v28, v113
	v_xor_b32_e32 v118, s20, v118
	v_cmp_gt_i32_e64 s20, 0, v113
	v_and_b32_e32 v22, exec_lo, v22
	v_not_b32_e32 v113, v115
	v_ashrrev_i32_e32 v28, 31, v28
	v_xor_b32_e32 v27, vcc_lo, v27
	v_cmp_gt_i32_e32 vcc_lo, 0, v115
	v_and_b32_e32 v22, v22, v118
	v_not_b32_e32 v115, v116
	v_ashrrev_i32_e32 v113, 31, v113
	v_xor_b32_e32 v28, s20, v28
	v_cmp_gt_i32_e64 s20, 0, v116
	v_and_b32_e32 v22, v22, v27
	v_not_b32_e32 v27, v117
	v_ashrrev_i32_e32 v115, 31, v115
	v_xor_b32_e32 v113, vcc_lo, v113
	v_cmp_gt_i32_e32 vcc_lo, 0, v117
	v_and_b32_e32 v22, v22, v28
	v_not_b32_e32 v28, v114
	v_ashrrev_i32_e32 v27, 31, v27
	v_xor_b32_e32 v115, s20, v115
	v_cmp_gt_i32_e64 s20, 0, v114
	v_and_b32_e32 v22, v22, v113
	v_ashrrev_i32_e32 v28, 31, v28
	v_xor_b32_e32 v27, vcc_lo, v27
	v_mad_u32_u24 v113, v26, 36, v92
	v_mul_u32_u24_e32 v26, 36, v26
	v_and_b32_e32 v22, v22, v115
	v_xor_b32_e32 v28, s20, v28
	ds_read_b32 v113, v113 offset:1056
	v_add_nc_u32_e32 v116, v92, v26
	v_and_b32_e32 v22, v22, v27
	; wave barrier
	v_and_b32_e32 v22, v22, v28
	v_mbcnt_lo_u32_b32 v115, v22, 0
	v_cmp_ne_u32_e64 s20, 0, v22
	v_cmp_eq_u32_e32 vcc_lo, 0, v115
	s_and_b32 s21, s20, vcc_lo
	s_and_saveexec_b32 s20, s21
	s_cbranch_execz .LBB1945_92
; %bb.91:                               ;   in Loop: Header=BB1945_64 Depth=2
	s_waitcnt lgkmcnt(0)
	v_bcnt_u32_b32 v22, v22, v113
	ds_write_b32 v116, v22 offset:1056
.LBB1945_92:                            ;   in Loop: Header=BB1945_64 Depth=2
	s_or_b32 exec_lo, exec_lo, s20
	v_cmp_gt_i16_e32 vcc_lo, 0, v25
	; wave barrier
	v_cndmask_b32_e64 v22, 0x7fff, 0, vcc_lo
	v_xor_b32_e32 v114, v22, v25
	v_cmp_ne_u16_e32 vcc_lo, 0x8000, v114
	v_cndmask_b32_e32 v22, 0x7fff, v114, vcc_lo
	v_lshrrev_b32_sdwa v22, s42, v22 dst_sel:DWORD dst_unused:UNUSED_PAD src0_sel:DWORD src1_sel:WORD_0
	v_and_b32_e32 v25, s43, v22
	v_and_b32_e32 v22, 1, v25
	v_lshlrev_b32_e32 v26, 30, v25
	v_lshlrev_b32_e32 v27, 29, v25
	;; [unrolled: 1-line block ×4, first 2 shown]
	v_add_co_u32 v22, s20, v22, -1
	v_cndmask_b32_e64 v117, 0, 1, s20
	v_not_b32_e32 v121, v26
	v_cmp_gt_i32_e64 s20, 0, v26
	v_not_b32_e32 v26, v27
	v_lshlrev_b32_e32 v119, 26, v25
	v_cmp_ne_u32_e32 vcc_lo, 0, v117
	v_ashrrev_i32_e32 v121, 31, v121
	v_lshlrev_b32_e32 v120, 25, v25
	v_ashrrev_i32_e32 v26, 31, v26
	v_lshlrev_b32_e32 v117, 24, v25
	v_xor_b32_e32 v22, vcc_lo, v22
	v_cmp_gt_i32_e32 vcc_lo, 0, v27
	v_not_b32_e32 v27, v28
	v_xor_b32_e32 v121, s20, v121
	v_cmp_gt_i32_e64 s20, 0, v28
	v_and_b32_e32 v22, exec_lo, v22
	v_not_b32_e32 v28, v118
	v_ashrrev_i32_e32 v27, 31, v27
	v_xor_b32_e32 v26, vcc_lo, v26
	v_cmp_gt_i32_e32 vcc_lo, 0, v118
	v_and_b32_e32 v22, v22, v121
	v_not_b32_e32 v118, v119
	v_ashrrev_i32_e32 v28, 31, v28
	v_xor_b32_e32 v27, s20, v27
	v_cmp_gt_i32_e64 s20, 0, v119
	v_and_b32_e32 v22, v22, v26
	v_not_b32_e32 v26, v120
	v_ashrrev_i32_e32 v118, 31, v118
	v_xor_b32_e32 v28, vcc_lo, v28
	v_cmp_gt_i32_e32 vcc_lo, 0, v120
	v_and_b32_e32 v22, v22, v27
	v_not_b32_e32 v27, v117
	v_ashrrev_i32_e32 v26, 31, v26
	v_xor_b32_e32 v118, s20, v118
	v_cmp_gt_i32_e64 s20, 0, v117
	v_and_b32_e32 v22, v22, v28
	v_ashrrev_i32_e32 v27, 31, v27
	v_xor_b32_e32 v26, vcc_lo, v26
	v_mad_u32_u24 v28, v25, 36, v92
	v_mul_u32_u24_e32 v25, 36, v25
	v_and_b32_e32 v22, v22, v118
	v_xor_b32_e32 v27, s20, v27
	ds_read_b32 v117, v28 offset:1056
	v_add_nc_u32_e32 v120, v92, v25
	v_and_b32_e32 v22, v22, v26
	; wave barrier
	v_and_b32_e32 v22, v22, v27
	v_mbcnt_lo_u32_b32 v119, v22, 0
	v_cmp_ne_u32_e64 s20, 0, v22
	v_cmp_eq_u32_e32 vcc_lo, 0, v119
	s_and_b32 s21, s20, vcc_lo
	s_and_saveexec_b32 s20, s21
	s_cbranch_execz .LBB1945_94
; %bb.93:                               ;   in Loop: Header=BB1945_64 Depth=2
	s_waitcnt lgkmcnt(0)
	v_bcnt_u32_b32 v22, v22, v117
	ds_write_b32 v120, v22 offset:1056
.LBB1945_94:                            ;   in Loop: Header=BB1945_64 Depth=2
	s_or_b32 exec_lo, exec_lo, s20
	v_cmp_gt_i16_e32 vcc_lo, 0, v24
	; wave barrier
	v_cndmask_b32_e64 v22, 0x7fff, 0, vcc_lo
	v_xor_b32_e32 v118, v22, v24
	v_cmp_ne_u16_e32 vcc_lo, 0x8000, v118
	v_cndmask_b32_e32 v22, 0x7fff, v118, vcc_lo
	v_lshrrev_b32_sdwa v22, s42, v22 dst_sel:DWORD dst_unused:UNUSED_PAD src0_sel:DWORD src1_sel:WORD_0
	v_and_b32_e32 v24, s43, v22
	v_and_b32_e32 v22, 1, v24
	v_lshlrev_b32_e32 v25, 30, v24
	v_lshlrev_b32_e32 v26, 29, v24
	v_lshlrev_b32_e32 v27, 28, v24
	v_lshlrev_b32_e32 v121, 27, v24
	v_add_co_u32 v22, s20, v22, -1
	v_cndmask_b32_e64 v28, 0, 1, s20
	v_not_b32_e32 v124, v25
	v_cmp_gt_i32_e64 s20, 0, v25
	v_not_b32_e32 v25, v26
	v_lshlrev_b32_e32 v122, 26, v24
	v_cmp_ne_u32_e32 vcc_lo, 0, v28
	v_ashrrev_i32_e32 v124, 31, v124
	v_lshlrev_b32_e32 v123, 25, v24
	v_ashrrev_i32_e32 v25, 31, v25
	v_lshlrev_b32_e32 v28, 24, v24
	v_xor_b32_e32 v22, vcc_lo, v22
	v_cmp_gt_i32_e32 vcc_lo, 0, v26
	v_not_b32_e32 v26, v27
	v_xor_b32_e32 v124, s20, v124
	v_cmp_gt_i32_e64 s20, 0, v27
	v_and_b32_e32 v22, exec_lo, v22
	v_not_b32_e32 v27, v121
	v_ashrrev_i32_e32 v26, 31, v26
	v_xor_b32_e32 v25, vcc_lo, v25
	v_cmp_gt_i32_e32 vcc_lo, 0, v121
	v_and_b32_e32 v22, v22, v124
	v_not_b32_e32 v121, v122
	v_ashrrev_i32_e32 v27, 31, v27
	v_xor_b32_e32 v26, s20, v26
	v_cmp_gt_i32_e64 s20, 0, v122
	v_and_b32_e32 v22, v22, v25
	v_not_b32_e32 v25, v123
	v_ashrrev_i32_e32 v121, 31, v121
	v_xor_b32_e32 v27, vcc_lo, v27
	v_cmp_gt_i32_e32 vcc_lo, 0, v123
	v_and_b32_e32 v22, v22, v26
	v_not_b32_e32 v26, v28
	v_ashrrev_i32_e32 v25, 31, v25
	v_xor_b32_e32 v121, s20, v121
	v_cmp_gt_i32_e64 s20, 0, v28
	v_and_b32_e32 v22, v22, v27
	v_ashrrev_i32_e32 v26, 31, v26
	v_xor_b32_e32 v25, vcc_lo, v25
	v_mad_u32_u24 v27, v24, 36, v92
	v_mul_u32_u24_e32 v24, 36, v24
	v_and_b32_e32 v22, v22, v121
	v_xor_b32_e32 v26, s20, v26
	ds_read_b32 v121, v27 offset:1056
	v_add_nc_u32_e32 v124, v92, v24
	v_and_b32_e32 v22, v22, v25
	; wave barrier
	v_and_b32_e32 v22, v22, v26
	v_mbcnt_lo_u32_b32 v123, v22, 0
	v_cmp_ne_u32_e64 s20, 0, v22
	v_cmp_eq_u32_e32 vcc_lo, 0, v123
	s_and_b32 s21, s20, vcc_lo
	s_and_saveexec_b32 s20, s21
	s_cbranch_execz .LBB1945_96
; %bb.95:                               ;   in Loop: Header=BB1945_64 Depth=2
	s_waitcnt lgkmcnt(0)
	v_bcnt_u32_b32 v22, v22, v121
	ds_write_b32 v124, v22 offset:1056
.LBB1945_96:                            ;   in Loop: Header=BB1945_64 Depth=2
	s_or_b32 exec_lo, exec_lo, s20
	v_cmp_gt_i16_e32 vcc_lo, 0, v23
	; wave barrier
	v_cndmask_b32_e64 v22, 0x7fff, 0, vcc_lo
	v_xor_b32_e32 v122, v22, v23
	v_cmp_ne_u16_e32 vcc_lo, 0x8000, v122
	v_cndmask_b32_e32 v22, 0x7fff, v122, vcc_lo
	v_lshrrev_b32_sdwa v22, s42, v22 dst_sel:DWORD dst_unused:UNUSED_PAD src0_sel:DWORD src1_sel:WORD_0
	v_and_b32_e32 v23, s43, v22
	v_and_b32_e32 v22, 1, v23
	v_lshlrev_b32_e32 v24, 30, v23
	v_lshlrev_b32_e32 v25, 29, v23
	;; [unrolled: 1-line block ×4, first 2 shown]
	v_add_co_u32 v22, s20, v22, -1
	v_cndmask_b32_e64 v27, 0, 1, s20
	v_not_b32_e32 v127, v24
	v_cmp_gt_i32_e64 s20, 0, v24
	v_not_b32_e32 v24, v25
	v_lshlrev_b32_e32 v125, 26, v23
	v_cmp_ne_u32_e32 vcc_lo, 0, v27
	v_ashrrev_i32_e32 v127, 31, v127
	v_lshlrev_b32_e32 v126, 25, v23
	v_ashrrev_i32_e32 v24, 31, v24
	v_lshlrev_b32_e32 v27, 24, v23
	v_xor_b32_e32 v22, vcc_lo, v22
	v_cmp_gt_i32_e32 vcc_lo, 0, v25
	v_not_b32_e32 v25, v26
	v_xor_b32_e32 v127, s20, v127
	v_cmp_gt_i32_e64 s20, 0, v26
	v_and_b32_e32 v22, exec_lo, v22
	v_not_b32_e32 v26, v28
	v_ashrrev_i32_e32 v25, 31, v25
	v_xor_b32_e32 v24, vcc_lo, v24
	v_cmp_gt_i32_e32 vcc_lo, 0, v28
	v_and_b32_e32 v22, v22, v127
	v_not_b32_e32 v28, v125
	v_ashrrev_i32_e32 v26, 31, v26
	v_xor_b32_e32 v25, s20, v25
	v_cmp_gt_i32_e64 s20, 0, v125
	v_and_b32_e32 v22, v22, v24
	v_not_b32_e32 v24, v126
	v_ashrrev_i32_e32 v28, 31, v28
	v_xor_b32_e32 v26, vcc_lo, v26
	v_cmp_gt_i32_e32 vcc_lo, 0, v126
	v_and_b32_e32 v22, v22, v25
	v_not_b32_e32 v25, v27
	v_ashrrev_i32_e32 v24, 31, v24
	v_xor_b32_e32 v28, s20, v28
	v_cmp_gt_i32_e64 s20, 0, v27
	v_and_b32_e32 v22, v22, v26
	v_ashrrev_i32_e32 v25, 31, v25
	v_xor_b32_e32 v24, vcc_lo, v24
	v_mad_u32_u24 v26, v23, 36, v92
	v_mul_u32_u24_e32 v23, 36, v23
	v_and_b32_e32 v22, v22, v28
	v_xor_b32_e32 v25, s20, v25
	ds_read_b32 v125, v26 offset:1056
	v_add_nc_u32_e32 v128, v92, v23
	v_and_b32_e32 v22, v22, v24
	; wave barrier
	v_and_b32_e32 v22, v22, v25
	v_mbcnt_lo_u32_b32 v127, v22, 0
	v_cmp_ne_u32_e64 s20, 0, v22
	v_cmp_eq_u32_e32 vcc_lo, 0, v127
	s_and_b32 s21, s20, vcc_lo
	s_and_saveexec_b32 s20, s21
	s_cbranch_execz .LBB1945_98
; %bb.97:                               ;   in Loop: Header=BB1945_64 Depth=2
	s_waitcnt lgkmcnt(0)
	v_bcnt_u32_b32 v22, v22, v125
	ds_write_b32 v128, v22 offset:1056
.LBB1945_98:                            ;   in Loop: Header=BB1945_64 Depth=2
	s_or_b32 exec_lo, exec_lo, s20
	v_cmp_gt_i16_e32 vcc_lo, 0, v21
	; wave barrier
	v_cndmask_b32_e64 v22, 0x7fff, 0, vcc_lo
	v_xor_b32_e32 v126, v22, v21
	v_cmp_ne_u16_e32 vcc_lo, 0x8000, v126
	v_cndmask_b32_e32 v21, 0x7fff, v126, vcc_lo
	v_lshrrev_b32_sdwa v21, s42, v21 dst_sel:DWORD dst_unused:UNUSED_PAD src0_sel:DWORD src1_sel:WORD_0
	v_and_b32_e32 v22, s43, v21
	v_and_b32_e32 v21, 1, v22
	v_lshlrev_b32_e32 v23, 30, v22
	v_lshlrev_b32_e32 v24, 29, v22
	;; [unrolled: 1-line block ×4, first 2 shown]
	v_add_co_u32 v21, s20, v21, -1
	v_cndmask_b32_e64 v26, 0, 1, s20
	v_not_b32_e32 v130, v23
	v_cmp_gt_i32_e64 s20, 0, v23
	v_not_b32_e32 v23, v24
	v_lshlrev_b32_e32 v28, 26, v22
	v_cmp_ne_u32_e32 vcc_lo, 0, v26
	v_ashrrev_i32_e32 v130, 31, v130
	v_lshlrev_b32_e32 v129, 25, v22
	v_ashrrev_i32_e32 v23, 31, v23
	v_lshlrev_b32_e32 v26, 24, v22
	v_xor_b32_e32 v21, vcc_lo, v21
	v_cmp_gt_i32_e32 vcc_lo, 0, v24
	v_not_b32_e32 v24, v25
	v_xor_b32_e32 v130, s20, v130
	v_cmp_gt_i32_e64 s20, 0, v25
	v_and_b32_e32 v21, exec_lo, v21
	v_not_b32_e32 v25, v27
	v_ashrrev_i32_e32 v24, 31, v24
	v_xor_b32_e32 v23, vcc_lo, v23
	v_cmp_gt_i32_e32 vcc_lo, 0, v27
	v_and_b32_e32 v21, v21, v130
	v_not_b32_e32 v27, v28
	v_ashrrev_i32_e32 v25, 31, v25
	v_xor_b32_e32 v24, s20, v24
	v_cmp_gt_i32_e64 s20, 0, v28
	v_and_b32_e32 v21, v21, v23
	v_not_b32_e32 v23, v129
	v_ashrrev_i32_e32 v27, 31, v27
	v_xor_b32_e32 v25, vcc_lo, v25
	v_cmp_gt_i32_e32 vcc_lo, 0, v129
	v_and_b32_e32 v21, v21, v24
	v_not_b32_e32 v24, v26
	v_ashrrev_i32_e32 v23, 31, v23
	v_xor_b32_e32 v27, s20, v27
	v_cmp_gt_i32_e64 s20, 0, v26
	v_and_b32_e32 v21, v21, v25
	v_ashrrev_i32_e32 v24, 31, v24
	v_xor_b32_e32 v23, vcc_lo, v23
	v_mad_u32_u24 v25, v22, 36, v92
	v_mul_u32_u24_e32 v22, 36, v22
	v_and_b32_e32 v21, v21, v27
	v_xor_b32_e32 v24, s20, v24
	ds_read_b32 v129, v25 offset:1056
	v_add_nc_u32_e32 v131, v92, v22
	v_and_b32_e32 v21, v21, v23
	; wave barrier
	v_and_b32_e32 v21, v21, v24
	v_mbcnt_lo_u32_b32 v130, v21, 0
	v_cmp_ne_u32_e64 s20, 0, v21
	v_cmp_eq_u32_e32 vcc_lo, 0, v130
	s_and_b32 s21, s20, vcc_lo
	s_and_saveexec_b32 s20, s21
	s_cbranch_execz .LBB1945_100
; %bb.99:                               ;   in Loop: Header=BB1945_64 Depth=2
	s_waitcnt lgkmcnt(0)
	v_bcnt_u32_b32 v21, v21, v129
	ds_write_b32 v131, v21 offset:1056
.LBB1945_100:                           ;   in Loop: Header=BB1945_64 Depth=2
	s_or_b32 exec_lo, exec_lo, s20
	; wave barrier
	s_waitcnt lgkmcnt(0)
	s_barrier
	buffer_gl0_inv
	ds_read2_b32 v[27:28], v78 offset1:1
	ds_read2_b32 v[25:26], v88 offset1:1
	;; [unrolled: 1-line block ×4, first 2 shown]
	ds_read_b32 v132, v44 offset:1088
	s_waitcnt lgkmcnt(3)
	v_add3_u32 v133, v28, v27, v25
	s_waitcnt lgkmcnt(2)
	v_add3_u32 v133, v133, v26, v23
	;; [unrolled: 2-line block ×4, first 2 shown]
	v_mov_b32_dpp v133, v132 row_shr:1 row_mask:0xf bank_mask:0xf
	v_cndmask_b32_e64 v133, v133, 0, s5
	v_add_nc_u32_e32 v132, v133, v132
	v_mov_b32_dpp v133, v132 row_shr:2 row_mask:0xf bank_mask:0xf
	v_cndmask_b32_e64 v133, 0, v133, s13
	v_add_nc_u32_e32 v132, v132, v133
	;; [unrolled: 3-line block ×4, first 2 shown]
	ds_swizzle_b32 v133, v132 offset:swizzle(BROADCAST,32,15)
	s_waitcnt lgkmcnt(0)
	v_cndmask_b32_e64 v133, v133, 0, s16
	v_add_nc_u32_e32 v132, v132, v133
	s_and_saveexec_b32 s20, s8
; %bb.101:                              ;   in Loop: Header=BB1945_64 Depth=2
	ds_write_b32 v39, v132 offset:1024
; %bb.102:                              ;   in Loop: Header=BB1945_64 Depth=2
	s_or_b32 exec_lo, exec_lo, s20
	s_waitcnt lgkmcnt(0)
	s_barrier
	buffer_gl0_inv
	s_and_saveexec_b32 s20, s9
	s_cbranch_execz .LBB1945_104
; %bb.103:                              ;   in Loop: Header=BB1945_64 Depth=2
	ds_read_b32 v133, v46 offset:1024
	s_waitcnt lgkmcnt(0)
	v_mov_b32_dpp v134, v133 row_shr:1 row_mask:0xf bank_mask:0xf
	v_cndmask_b32_e64 v134, v134, 0, s17
	v_add_nc_u32_e32 v133, v134, v133
	v_mov_b32_dpp v134, v133 row_shr:2 row_mask:0xf bank_mask:0xf
	v_cndmask_b32_e64 v134, 0, v134, s18
	v_add_nc_u32_e32 v133, v133, v134
	;; [unrolled: 3-line block ×3, first 2 shown]
	ds_write_b32 v46, v133 offset:1024
.LBB1945_104:                           ;   in Loop: Header=BB1945_64 Depth=2
	s_or_b32 exec_lo, exec_lo, s20
	v_mov_b32_e32 v133, 0
	s_waitcnt lgkmcnt(0)
	s_barrier
	buffer_gl0_inv
	s_and_saveexec_b32 s20, s10
; %bb.105:                              ;   in Loop: Header=BB1945_64 Depth=2
	ds_read_b32 v133, v39 offset:1020
; %bb.106:                              ;   in Loop: Header=BB1945_64 Depth=2
	s_or_b32 exec_lo, exec_lo, s20
	s_waitcnt lgkmcnt(0)
	v_add_nc_u32_e32 v132, v133, v132
	ds_bpermute_b32 v132, v91, v132
	s_waitcnt lgkmcnt(0)
	v_cndmask_b32_e64 v132, v132, v133, s12
	v_cndmask_b32_e64 v132, v132, 0, s4
	v_add_nc_u32_e32 v27, v132, v27
	v_add_nc_u32_e32 v28, v27, v28
	;; [unrolled: 1-line block ×8, first 2 shown]
	ds_write2_b32 v78, v132, v27 offset1:1
	ds_write2_b32 v88, v28, v25 offset1:1
	ds_write2_b32 v89, v26, v23 offset1:1
	ds_write2_b32 v90, v24, v21 offset1:1
	ds_write_b32 v44, v22 offset:1088
	s_waitcnt lgkmcnt(0)
	s_barrier
	buffer_gl0_inv
	ds_read_b32 v24, v104 offset:1056
	ds_read_b32 v25, v108 offset:1056
	;; [unrolled: 1-line block ×9, first 2 shown]
	v_mov_b32_e32 v23, 0x800
	s_and_saveexec_b32 s20, s11
; %bb.107:                              ;   in Loop: Header=BB1945_64 Depth=2
	ds_read_b32 v23, v44 offset:1092
; %bb.108:                              ;   in Loop: Header=BB1945_64 Depth=2
	s_or_b32 exec_lo, exec_lo, s20
	s_waitcnt lgkmcnt(0)
	s_barrier
	buffer_gl0_inv
	s_and_saveexec_b32 s20, s7
	s_cbranch_execz .LBB1945_110
; %bb.109:                              ;   in Loop: Header=BB1945_64 Depth=2
	ds_read_b32 v108, v29
	s_waitcnt lgkmcnt(0)
	v_sub_nc_u32_e32 v104, v108, v104
	ds_write_b32 v29, v104
.LBB1945_110:                           ;   in Loop: Header=BB1945_64 Depth=2
	s_or_b32 exec_lo, exec_lo, s20
	v_add_nc_u32_e32 v108, v24, v102
	v_add3_u32 v104, v106, v105, v25
	v_add3_u32 v102, v111, v109, v26
	;; [unrolled: 1-line block ×4, first 2 shown]
	v_lshlrev_b32_e32 v105, 1, v108
	v_lshlrev_b32_e32 v106, 1, v104
	v_add3_u32 v27, v127, v125, v22
	v_lshlrev_b32_e32 v22, 1, v102
	v_add3_u32 v28, v130, v129, v21
	ds_write_b16 v105, v3 offset:1024
	ds_write_b16 v106, v103 offset:1024
	v_lshlrev_b32_e32 v3, 1, v26
	v_add3_u32 v24, v123, v121, v112
	ds_write_b16 v22, v107 offset:1024
	v_lshlrev_b32_e32 v21, 1, v25
	v_cmp_lt_u32_e32 vcc_lo, v0, v101
	ds_write_b16 v3, v110 offset:1024
	v_lshlrev_b32_e32 v3, 1, v28
	v_lshlrev_b32_e32 v22, 1, v24
	;; [unrolled: 1-line block ×3, first 2 shown]
	ds_write_b16 v21, v114 offset:1024
	ds_write_b16 v22, v118 offset:1024
	;; [unrolled: 1-line block ×4, first 2 shown]
	s_waitcnt lgkmcnt(0)
	s_barrier
	buffer_gl0_inv
	s_and_saveexec_b32 s21, vcc_lo
	s_cbranch_execnz .LBB1945_147
; %bb.111:                              ;   in Loop: Header=BB1945_64 Depth=2
	s_or_b32 exec_lo, exec_lo, s21
	v_cmp_lt_u32_e64 s20, v30, v101
	s_and_saveexec_b32 s22, s20
	s_cbranch_execnz .LBB1945_148
.LBB1945_112:                           ;   in Loop: Header=BB1945_64 Depth=2
	s_or_b32 exec_lo, exec_lo, s22
	v_cmp_lt_u32_e64 s21, v31, v101
	s_and_saveexec_b32 s23, s21
	s_cbranch_execnz .LBB1945_149
.LBB1945_113:                           ;   in Loop: Header=BB1945_64 Depth=2
	s_or_b32 exec_lo, exec_lo, s23
	v_cmp_lt_u32_e64 s22, v32, v101
	s_and_saveexec_b32 s24, s22
	s_cbranch_execnz .LBB1945_150
.LBB1945_114:                           ;   in Loop: Header=BB1945_64 Depth=2
	s_or_b32 exec_lo, exec_lo, s24
	v_cmp_lt_u32_e64 s23, v35, v101
	s_and_saveexec_b32 s25, s23
	s_cbranch_execnz .LBB1945_151
.LBB1945_115:                           ;   in Loop: Header=BB1945_64 Depth=2
	s_or_b32 exec_lo, exec_lo, s25
	v_cmp_lt_u32_e64 s24, v36, v101
	s_and_saveexec_b32 s26, s24
	s_cbranch_execnz .LBB1945_152
.LBB1945_116:                           ;   in Loop: Header=BB1945_64 Depth=2
	s_or_b32 exec_lo, exec_lo, s26
	v_cmp_lt_u32_e64 s25, v37, v101
	s_and_saveexec_b32 s28, s25
	s_cbranch_execnz .LBB1945_153
.LBB1945_117:                           ;   in Loop: Header=BB1945_64 Depth=2
	s_or_b32 exec_lo, exec_lo, s28
	v_cmp_lt_u32_e64 s26, v38, v101
	s_and_saveexec_b32 s54, s26
	s_cbranch_execz .LBB1945_119
.LBB1945_118:                           ;   in Loop: Header=BB1945_64 Depth=2
	ds_read_u16 v103, v47 offset:4608
	s_waitcnt lgkmcnt(0)
	v_cmp_ne_u16_e64 s28, 0x8000, v103
	v_cndmask_b32_e64 v3, 0x7fff, v103, s28
	v_cmp_gt_i16_e64 s28, 0, v103
	v_lshrrev_b32_sdwa v3, s42, v3 dst_sel:DWORD dst_unused:UNUSED_PAD src0_sel:DWORD src1_sel:WORD_0
	v_cndmask_b32_e64 v105, 0x7fff, 0, s28
	v_and_b32_e32 v3, s43, v3
	v_lshlrev_b32_e32 v3, 2, v3
	ds_read_b32 v3, v3
	s_waitcnt lgkmcnt(0)
	v_add_nc_u32_e32 v3, v3, v38
	v_lshlrev_b64 v[21:22], 1, v[3:4]
	v_xor_b32_e32 v3, v105, v103
	v_add_co_u32 v21, s28, s38, v21
	v_add_co_ci_u32_e64 v22, null, s39, v22, s28
	global_store_short v[21:22], v3, off
.LBB1945_119:                           ;   in Loop: Header=BB1945_64 Depth=2
	s_or_b32 exec_lo, exec_lo, s54
	s_lshl_b64 s[54:55], s[34:35], 3
	v_add_co_u32 v21, s28, v83, s54
	v_add_co_ci_u32_e64 v22, null, s55, v84, s28
	v_cmp_lt_u32_e64 s28, v66, v101
	s_and_saveexec_b32 s34, s28
	s_xor_b32 s28, exec_lo, s34
	s_cbranch_execnz .LBB1945_154
; %bb.120:                              ;   in Loop: Header=BB1945_64 Depth=2
	s_or_b32 exec_lo, exec_lo, s28
	s_mov_b32 s34, exec_lo
	v_cmpx_lt_u32_e64 v70, v101
	s_cbranch_execnz .LBB1945_155
.LBB1945_121:                           ;   in Loop: Header=BB1945_64 Depth=2
	s_or_b32 exec_lo, exec_lo, s34
	s_mov_b32 s34, exec_lo
	v_cmpx_lt_u32_e64 v71, v101
	s_cbranch_execnz .LBB1945_156
.LBB1945_122:                           ;   in Loop: Header=BB1945_64 Depth=2
	s_or_b32 exec_lo, exec_lo, s34
	s_mov_b32 s34, exec_lo
	v_cmpx_lt_u32_e64 v72, v101
	s_cbranch_execnz .LBB1945_157
.LBB1945_123:                           ;   in Loop: Header=BB1945_64 Depth=2
	s_or_b32 exec_lo, exec_lo, s34
	s_mov_b32 s34, exec_lo
	v_cmpx_lt_u32_e64 v73, v101
	s_cbranch_execnz .LBB1945_158
.LBB1945_124:                           ;   in Loop: Header=BB1945_64 Depth=2
	s_or_b32 exec_lo, exec_lo, s34
	s_mov_b32 s34, exec_lo
	v_cmpx_lt_u32_e64 v74, v101
	s_cbranch_execnz .LBB1945_159
.LBB1945_125:                           ;   in Loop: Header=BB1945_64 Depth=2
	s_or_b32 exec_lo, exec_lo, s34
	s_mov_b32 s34, exec_lo
	v_cmpx_lt_u32_e64 v75, v101
	s_cbranch_execnz .LBB1945_160
.LBB1945_126:                           ;   in Loop: Header=BB1945_64 Depth=2
	s_or_b32 exec_lo, exec_lo, s34
	s_mov_b32 s34, exec_lo
	v_cmpx_lt_u32_e64 v76, v101
	s_cbranch_execnz .LBB1945_161
.LBB1945_127:                           ;   in Loop: Header=BB1945_64 Depth=2
	s_or_b32 exec_lo, exec_lo, s34
	s_and_saveexec_b32 s34, vcc_lo
	s_cbranch_execnz .LBB1945_162
.LBB1945_128:                           ;   in Loop: Header=BB1945_64 Depth=2
	s_or_b32 exec_lo, exec_lo, s34
	s_and_saveexec_b32 s34, s20
	s_cbranch_execnz .LBB1945_163
.LBB1945_129:                           ;   in Loop: Header=BB1945_64 Depth=2
	s_or_b32 exec_lo, exec_lo, s34
	s_and_saveexec_b32 s34, s21
	s_cbranch_execnz .LBB1945_164
.LBB1945_130:                           ;   in Loop: Header=BB1945_64 Depth=2
	s_or_b32 exec_lo, exec_lo, s34
	s_and_saveexec_b32 s34, s22
	s_cbranch_execnz .LBB1945_165
.LBB1945_131:                           ;   in Loop: Header=BB1945_64 Depth=2
	s_or_b32 exec_lo, exec_lo, s34
	s_and_saveexec_b32 s34, s23
	s_cbranch_execnz .LBB1945_166
.LBB1945_132:                           ;   in Loop: Header=BB1945_64 Depth=2
	s_or_b32 exec_lo, exec_lo, s34
	s_and_saveexec_b32 s34, s24
	s_cbranch_execnz .LBB1945_167
.LBB1945_133:                           ;   in Loop: Header=BB1945_64 Depth=2
	s_or_b32 exec_lo, exec_lo, s34
	s_and_saveexec_b32 s34, s25
	s_cbranch_execnz .LBB1945_168
.LBB1945_134:                           ;   in Loop: Header=BB1945_64 Depth=2
	s_or_b32 exec_lo, exec_lo, s34
	s_and_saveexec_b32 s34, s26
	s_cbranch_execz .LBB1945_136
.LBB1945_135:                           ;   in Loop: Header=BB1945_64 Depth=2
	ds_read_u16 v3, v47 offset:4608
	s_waitcnt lgkmcnt(0)
	v_cmp_ne_u16_e64 s28, 0x8000, v3
	v_cndmask_b32_e64 v3, 0x7fff, v3, s28
	v_lshrrev_b32_sdwa v3, s42, v3 dst_sel:DWORD dst_unused:UNUSED_PAD src0_sel:DWORD src1_sel:WORD_0
	v_and_b32_e32 v93, s43, v3
.LBB1945_136:                           ;   in Loop: Header=BB1945_64 Depth=2
	s_or_b32 exec_lo, exec_lo, s34
	v_lshlrev_b32_e32 v3, 3, v108
	v_lshlrev_b32_e32 v21, 3, v104
	;; [unrolled: 1-line block ×3, first 2 shown]
	s_waitcnt vmcnt(0)
	s_waitcnt_vscnt null, 0x0
	s_barrier
	buffer_gl0_inv
	ds_write_b64 v3, v[19:20] offset:1024
	ds_write_b64 v21, v[17:18] offset:1024
	ds_write_b64 v22, v[15:16] offset:1024
	v_lshlrev_b32_e32 v3, 3, v26
	v_lshlrev_b32_e32 v21, 3, v25
	;; [unrolled: 1-line block ×5, first 2 shown]
	ds_write_b64 v3, v[13:14] offset:1024
	ds_write_b64 v21, v[11:12] offset:1024
	;; [unrolled: 1-line block ×5, first 2 shown]
	s_waitcnt lgkmcnt(0)
	s_barrier
	buffer_gl0_inv
	s_and_saveexec_b32 s28, vcc_lo
	s_cbranch_execnz .LBB1945_169
; %bb.137:                              ;   in Loop: Header=BB1945_64 Depth=2
	s_or_b32 exec_lo, exec_lo, s28
	s_and_saveexec_b32 s28, s20
	s_cbranch_execnz .LBB1945_170
.LBB1945_138:                           ;   in Loop: Header=BB1945_64 Depth=2
	s_or_b32 exec_lo, exec_lo, s28
	s_and_saveexec_b32 s20, s21
	s_cbranch_execnz .LBB1945_171
.LBB1945_139:                           ;   in Loop: Header=BB1945_64 Depth=2
	s_or_b32 exec_lo, exec_lo, s20
	s_and_saveexec_b32 s20, s22
	s_cbranch_execnz .LBB1945_172
.LBB1945_140:                           ;   in Loop: Header=BB1945_64 Depth=2
	s_or_b32 exec_lo, exec_lo, s20
	s_and_saveexec_b32 s20, s23
	s_cbranch_execnz .LBB1945_173
.LBB1945_141:                           ;   in Loop: Header=BB1945_64 Depth=2
	s_or_b32 exec_lo, exec_lo, s20
	s_and_saveexec_b32 s20, s24
	s_cbranch_execnz .LBB1945_174
.LBB1945_142:                           ;   in Loop: Header=BB1945_64 Depth=2
	s_or_b32 exec_lo, exec_lo, s20
	s_and_saveexec_b32 s20, s25
	s_cbranch_execnz .LBB1945_175
.LBB1945_143:                           ;   in Loop: Header=BB1945_64 Depth=2
	s_or_b32 exec_lo, exec_lo, s20
	s_and_saveexec_b32 s20, s26
	s_cbranch_execz .LBB1945_145
.LBB1945_144:                           ;   in Loop: Header=BB1945_64 Depth=2
	v_lshlrev_b32_e32 v3, 2, v93
	v_add_nc_u32_e32 v21, v47, v48
	ds_read_b32 v3, v3
	ds_read_b64 v[21:22], v21 offset:15360
	s_waitcnt lgkmcnt(1)
	v_add_nc_u32_e32 v3, v3, v38
	v_lshlrev_b64 v[24:25], 3, v[3:4]
	v_add_co_u32 v24, vcc_lo, s44, v24
	v_add_co_ci_u32_e64 v25, null, s45, v25, vcc_lo
	s_waitcnt lgkmcnt(0)
	global_store_dwordx2 v[24:25], v[21:22], off
.LBB1945_145:                           ;   in Loop: Header=BB1945_64 Depth=2
	s_or_b32 exec_lo, exec_lo, s20
	s_waitcnt_vscnt null, 0x0
	s_barrier
	buffer_gl0_inv
	s_and_saveexec_b32 s20, s7
	s_cbranch_execz .LBB1945_63
; %bb.146:                              ;   in Loop: Header=BB1945_64 Depth=2
	ds_read_b32 v3, v29
	s_waitcnt lgkmcnt(0)
	v_add_nc_u32_e32 v3, v3, v23
	ds_write_b32 v29, v3
	s_branch .LBB1945_63
.LBB1945_147:                           ;   in Loop: Header=BB1945_64 Depth=2
	ds_read_u16 v103, v47 offset:1024
	s_waitcnt lgkmcnt(0)
	v_cmp_ne_u16_e64 s20, 0x8000, v103
	v_cndmask_b32_e64 v3, 0x7fff, v103, s20
	v_cmp_gt_i16_e64 s20, 0, v103
	v_lshrrev_b32_sdwa v3, s42, v3 dst_sel:DWORD dst_unused:UNUSED_PAD src0_sel:DWORD src1_sel:WORD_0
	v_cndmask_b32_e64 v105, 0x7fff, 0, s20
	v_and_b32_e32 v3, s43, v3
	v_lshlrev_b32_e32 v3, 2, v3
	ds_read_b32 v3, v3
	s_waitcnt lgkmcnt(0)
	v_add_nc_u32_e32 v3, v3, v0
	v_lshlrev_b64 v[21:22], 1, v[3:4]
	v_xor_b32_e32 v3, v105, v103
	v_add_co_u32 v21, s20, s38, v21
	v_add_co_ci_u32_e64 v22, null, s39, v22, s20
	global_store_short v[21:22], v3, off
	s_or_b32 exec_lo, exec_lo, s21
	v_cmp_lt_u32_e64 s20, v30, v101
	s_and_saveexec_b32 s22, s20
	s_cbranch_execz .LBB1945_112
.LBB1945_148:                           ;   in Loop: Header=BB1945_64 Depth=2
	ds_read_u16 v103, v47 offset:1536
	s_waitcnt lgkmcnt(0)
	v_cmp_ne_u16_e64 s21, 0x8000, v103
	v_cndmask_b32_e64 v3, 0x7fff, v103, s21
	v_cmp_gt_i16_e64 s21, 0, v103
	v_lshrrev_b32_sdwa v3, s42, v3 dst_sel:DWORD dst_unused:UNUSED_PAD src0_sel:DWORD src1_sel:WORD_0
	v_cndmask_b32_e64 v105, 0x7fff, 0, s21
	v_and_b32_e32 v3, s43, v3
	v_lshlrev_b32_e32 v3, 2, v3
	ds_read_b32 v3, v3
	s_waitcnt lgkmcnt(0)
	v_add_nc_u32_e32 v3, v3, v30
	v_lshlrev_b64 v[21:22], 1, v[3:4]
	v_xor_b32_e32 v3, v105, v103
	v_add_co_u32 v21, s21, s38, v21
	v_add_co_ci_u32_e64 v22, null, s39, v22, s21
	global_store_short v[21:22], v3, off
	s_or_b32 exec_lo, exec_lo, s22
	v_cmp_lt_u32_e64 s21, v31, v101
	s_and_saveexec_b32 s23, s21
	s_cbranch_execz .LBB1945_113
.LBB1945_149:                           ;   in Loop: Header=BB1945_64 Depth=2
	ds_read_u16 v103, v47 offset:2048
	s_waitcnt lgkmcnt(0)
	v_cmp_ne_u16_e64 s22, 0x8000, v103
	v_cndmask_b32_e64 v3, 0x7fff, v103, s22
	v_cmp_gt_i16_e64 s22, 0, v103
	v_lshrrev_b32_sdwa v3, s42, v3 dst_sel:DWORD dst_unused:UNUSED_PAD src0_sel:DWORD src1_sel:WORD_0
	v_cndmask_b32_e64 v105, 0x7fff, 0, s22
	v_and_b32_e32 v3, s43, v3
	v_lshlrev_b32_e32 v3, 2, v3
	ds_read_b32 v3, v3
	s_waitcnt lgkmcnt(0)
	v_add_nc_u32_e32 v3, v3, v31
	v_lshlrev_b64 v[21:22], 1, v[3:4]
	v_xor_b32_e32 v3, v105, v103
	v_add_co_u32 v21, s22, s38, v21
	v_add_co_ci_u32_e64 v22, null, s39, v22, s22
	global_store_short v[21:22], v3, off
	s_or_b32 exec_lo, exec_lo, s23
	v_cmp_lt_u32_e64 s22, v32, v101
	s_and_saveexec_b32 s24, s22
	s_cbranch_execz .LBB1945_114
.LBB1945_150:                           ;   in Loop: Header=BB1945_64 Depth=2
	ds_read_u16 v103, v47 offset:2560
	s_waitcnt lgkmcnt(0)
	v_cmp_ne_u16_e64 s23, 0x8000, v103
	v_cndmask_b32_e64 v3, 0x7fff, v103, s23
	v_cmp_gt_i16_e64 s23, 0, v103
	v_lshrrev_b32_sdwa v3, s42, v3 dst_sel:DWORD dst_unused:UNUSED_PAD src0_sel:DWORD src1_sel:WORD_0
	v_cndmask_b32_e64 v105, 0x7fff, 0, s23
	v_and_b32_e32 v3, s43, v3
	v_lshlrev_b32_e32 v3, 2, v3
	ds_read_b32 v3, v3
	s_waitcnt lgkmcnt(0)
	v_add_nc_u32_e32 v3, v3, v32
	v_lshlrev_b64 v[21:22], 1, v[3:4]
	v_xor_b32_e32 v3, v105, v103
	v_add_co_u32 v21, s23, s38, v21
	v_add_co_ci_u32_e64 v22, null, s39, v22, s23
	global_store_short v[21:22], v3, off
	s_or_b32 exec_lo, exec_lo, s24
	v_cmp_lt_u32_e64 s23, v35, v101
	s_and_saveexec_b32 s25, s23
	s_cbranch_execz .LBB1945_115
.LBB1945_151:                           ;   in Loop: Header=BB1945_64 Depth=2
	ds_read_u16 v103, v47 offset:3072
	s_waitcnt lgkmcnt(0)
	v_cmp_ne_u16_e64 s24, 0x8000, v103
	v_cndmask_b32_e64 v3, 0x7fff, v103, s24
	v_cmp_gt_i16_e64 s24, 0, v103
	v_lshrrev_b32_sdwa v3, s42, v3 dst_sel:DWORD dst_unused:UNUSED_PAD src0_sel:DWORD src1_sel:WORD_0
	v_cndmask_b32_e64 v105, 0x7fff, 0, s24
	v_and_b32_e32 v3, s43, v3
	v_lshlrev_b32_e32 v3, 2, v3
	ds_read_b32 v3, v3
	s_waitcnt lgkmcnt(0)
	v_add_nc_u32_e32 v3, v3, v35
	v_lshlrev_b64 v[21:22], 1, v[3:4]
	v_xor_b32_e32 v3, v105, v103
	v_add_co_u32 v21, s24, s38, v21
	v_add_co_ci_u32_e64 v22, null, s39, v22, s24
	global_store_short v[21:22], v3, off
	s_or_b32 exec_lo, exec_lo, s25
	v_cmp_lt_u32_e64 s24, v36, v101
	s_and_saveexec_b32 s26, s24
	s_cbranch_execz .LBB1945_116
.LBB1945_152:                           ;   in Loop: Header=BB1945_64 Depth=2
	ds_read_u16 v103, v47 offset:3584
	s_waitcnt lgkmcnt(0)
	v_cmp_ne_u16_e64 s25, 0x8000, v103
	v_cndmask_b32_e64 v3, 0x7fff, v103, s25
	v_cmp_gt_i16_e64 s25, 0, v103
	v_lshrrev_b32_sdwa v3, s42, v3 dst_sel:DWORD dst_unused:UNUSED_PAD src0_sel:DWORD src1_sel:WORD_0
	v_cndmask_b32_e64 v105, 0x7fff, 0, s25
	v_and_b32_e32 v3, s43, v3
	v_lshlrev_b32_e32 v3, 2, v3
	ds_read_b32 v3, v3
	s_waitcnt lgkmcnt(0)
	v_add_nc_u32_e32 v3, v3, v36
	v_lshlrev_b64 v[21:22], 1, v[3:4]
	v_xor_b32_e32 v3, v105, v103
	v_add_co_u32 v21, s25, s38, v21
	v_add_co_ci_u32_e64 v22, null, s39, v22, s25
	global_store_short v[21:22], v3, off
	s_or_b32 exec_lo, exec_lo, s26
	v_cmp_lt_u32_e64 s25, v37, v101
	s_and_saveexec_b32 s28, s25
	s_cbranch_execz .LBB1945_117
.LBB1945_153:                           ;   in Loop: Header=BB1945_64 Depth=2
	ds_read_u16 v103, v47 offset:4096
	s_waitcnt lgkmcnt(0)
	v_cmp_ne_u16_e64 s26, 0x8000, v103
	v_cndmask_b32_e64 v3, 0x7fff, v103, s26
	v_cmp_gt_i16_e64 s26, 0, v103
	v_lshrrev_b32_sdwa v3, s42, v3 dst_sel:DWORD dst_unused:UNUSED_PAD src0_sel:DWORD src1_sel:WORD_0
	v_cndmask_b32_e64 v105, 0x7fff, 0, s26
	v_and_b32_e32 v3, s43, v3
	v_lshlrev_b32_e32 v3, 2, v3
	ds_read_b32 v3, v3
	s_waitcnt lgkmcnt(0)
	v_add_nc_u32_e32 v3, v3, v37
	v_lshlrev_b64 v[21:22], 1, v[3:4]
	v_xor_b32_e32 v3, v105, v103
	v_add_co_u32 v21, s26, s38, v21
	v_add_co_ci_u32_e64 v22, null, s39, v22, s26
	global_store_short v[21:22], v3, off
	s_or_b32 exec_lo, exec_lo, s28
	v_cmp_lt_u32_e64 s26, v38, v101
	s_and_saveexec_b32 s54, s26
	s_cbranch_execnz .LBB1945_118
	s_branch .LBB1945_119
.LBB1945_154:                           ;   in Loop: Header=BB1945_64 Depth=2
	global_load_dwordx2 v[19:20], v[21:22], off
	s_or_b32 exec_lo, exec_lo, s28
	s_mov_b32 s34, exec_lo
	v_cmpx_lt_u32_e64 v70, v101
	s_cbranch_execz .LBB1945_121
.LBB1945_155:                           ;   in Loop: Header=BB1945_64 Depth=2
	global_load_dwordx2 v[17:18], v[21:22], off offset:256
	s_or_b32 exec_lo, exec_lo, s34
	s_mov_b32 s34, exec_lo
	v_cmpx_lt_u32_e64 v71, v101
	s_cbranch_execz .LBB1945_122
.LBB1945_156:                           ;   in Loop: Header=BB1945_64 Depth=2
	global_load_dwordx2 v[15:16], v[21:22], off offset:512
	s_or_b32 exec_lo, exec_lo, s34
	s_mov_b32 s34, exec_lo
	v_cmpx_lt_u32_e64 v72, v101
	s_cbranch_execz .LBB1945_123
.LBB1945_157:                           ;   in Loop: Header=BB1945_64 Depth=2
	global_load_dwordx2 v[13:14], v[21:22], off offset:768
	s_or_b32 exec_lo, exec_lo, s34
	s_mov_b32 s34, exec_lo
	v_cmpx_lt_u32_e64 v73, v101
	s_cbranch_execz .LBB1945_124
.LBB1945_158:                           ;   in Loop: Header=BB1945_64 Depth=2
	global_load_dwordx2 v[11:12], v[21:22], off offset:1024
	s_or_b32 exec_lo, exec_lo, s34
	s_mov_b32 s34, exec_lo
	v_cmpx_lt_u32_e64 v74, v101
	s_cbranch_execz .LBB1945_125
.LBB1945_159:                           ;   in Loop: Header=BB1945_64 Depth=2
	global_load_dwordx2 v[9:10], v[21:22], off offset:1280
	s_or_b32 exec_lo, exec_lo, s34
	s_mov_b32 s34, exec_lo
	v_cmpx_lt_u32_e64 v75, v101
	s_cbranch_execz .LBB1945_126
.LBB1945_160:                           ;   in Loop: Header=BB1945_64 Depth=2
	global_load_dwordx2 v[7:8], v[21:22], off offset:1536
	s_or_b32 exec_lo, exec_lo, s34
	s_mov_b32 s34, exec_lo
	v_cmpx_lt_u32_e64 v76, v101
	s_cbranch_execz .LBB1945_127
.LBB1945_161:                           ;   in Loop: Header=BB1945_64 Depth=2
	global_load_dwordx2 v[5:6], v[21:22], off offset:1792
	s_or_b32 exec_lo, exec_lo, s34
	s_and_saveexec_b32 s34, vcc_lo
	s_cbranch_execz .LBB1945_128
.LBB1945_162:                           ;   in Loop: Header=BB1945_64 Depth=2
	ds_read_u16 v3, v47 offset:1024
	s_waitcnt lgkmcnt(0)
	v_cmp_ne_u16_e64 s28, 0x8000, v3
	v_cndmask_b32_e64 v3, 0x7fff, v3, s28
	v_lshrrev_b32_sdwa v3, s42, v3 dst_sel:DWORD dst_unused:UNUSED_PAD src0_sel:DWORD src1_sel:WORD_0
	v_and_b32_e32 v100, s43, v3
	s_or_b32 exec_lo, exec_lo, s34
	s_and_saveexec_b32 s34, s20
	s_cbranch_execz .LBB1945_129
.LBB1945_163:                           ;   in Loop: Header=BB1945_64 Depth=2
	ds_read_u16 v3, v47 offset:1536
	s_waitcnt lgkmcnt(0)
	v_cmp_ne_u16_e64 s28, 0x8000, v3
	v_cndmask_b32_e64 v3, 0x7fff, v3, s28
	v_lshrrev_b32_sdwa v3, s42, v3 dst_sel:DWORD dst_unused:UNUSED_PAD src0_sel:DWORD src1_sel:WORD_0
	v_and_b32_e32 v99, s43, v3
	s_or_b32 exec_lo, exec_lo, s34
	s_and_saveexec_b32 s34, s21
	s_cbranch_execz .LBB1945_130
.LBB1945_164:                           ;   in Loop: Header=BB1945_64 Depth=2
	ds_read_u16 v3, v47 offset:2048
	s_waitcnt lgkmcnt(0)
	v_cmp_ne_u16_e64 s28, 0x8000, v3
	v_cndmask_b32_e64 v3, 0x7fff, v3, s28
	v_lshrrev_b32_sdwa v3, s42, v3 dst_sel:DWORD dst_unused:UNUSED_PAD src0_sel:DWORD src1_sel:WORD_0
	v_and_b32_e32 v98, s43, v3
	s_or_b32 exec_lo, exec_lo, s34
	s_and_saveexec_b32 s34, s22
	s_cbranch_execz .LBB1945_131
.LBB1945_165:                           ;   in Loop: Header=BB1945_64 Depth=2
	ds_read_u16 v3, v47 offset:2560
	s_waitcnt lgkmcnt(0)
	v_cmp_ne_u16_e64 s28, 0x8000, v3
	v_cndmask_b32_e64 v3, 0x7fff, v3, s28
	v_lshrrev_b32_sdwa v3, s42, v3 dst_sel:DWORD dst_unused:UNUSED_PAD src0_sel:DWORD src1_sel:WORD_0
	v_and_b32_e32 v97, s43, v3
	s_or_b32 exec_lo, exec_lo, s34
	s_and_saveexec_b32 s34, s23
	s_cbranch_execz .LBB1945_132
.LBB1945_166:                           ;   in Loop: Header=BB1945_64 Depth=2
	ds_read_u16 v3, v47 offset:3072
	s_waitcnt lgkmcnt(0)
	v_cmp_ne_u16_e64 s28, 0x8000, v3
	v_cndmask_b32_e64 v3, 0x7fff, v3, s28
	v_lshrrev_b32_sdwa v3, s42, v3 dst_sel:DWORD dst_unused:UNUSED_PAD src0_sel:DWORD src1_sel:WORD_0
	v_and_b32_e32 v96, s43, v3
	s_or_b32 exec_lo, exec_lo, s34
	s_and_saveexec_b32 s34, s24
	s_cbranch_execz .LBB1945_133
.LBB1945_167:                           ;   in Loop: Header=BB1945_64 Depth=2
	ds_read_u16 v3, v47 offset:3584
	s_waitcnt lgkmcnt(0)
	v_cmp_ne_u16_e64 s28, 0x8000, v3
	v_cndmask_b32_e64 v3, 0x7fff, v3, s28
	v_lshrrev_b32_sdwa v3, s42, v3 dst_sel:DWORD dst_unused:UNUSED_PAD src0_sel:DWORD src1_sel:WORD_0
	v_and_b32_e32 v95, s43, v3
	s_or_b32 exec_lo, exec_lo, s34
	s_and_saveexec_b32 s34, s25
	s_cbranch_execz .LBB1945_134
.LBB1945_168:                           ;   in Loop: Header=BB1945_64 Depth=2
	ds_read_u16 v3, v47 offset:4096
	s_waitcnt lgkmcnt(0)
	v_cmp_ne_u16_e64 s28, 0x8000, v3
	v_cndmask_b32_e64 v3, 0x7fff, v3, s28
	v_lshrrev_b32_sdwa v3, s42, v3 dst_sel:DWORD dst_unused:UNUSED_PAD src0_sel:DWORD src1_sel:WORD_0
	v_and_b32_e32 v94, s43, v3
	s_or_b32 exec_lo, exec_lo, s34
	s_and_saveexec_b32 s34, s26
	s_cbranch_execnz .LBB1945_135
	s_branch .LBB1945_136
.LBB1945_169:                           ;   in Loop: Header=BB1945_64 Depth=2
	v_lshlrev_b32_e32 v3, 2, v100
	v_add_nc_u32_e32 v21, v47, v48
	ds_read_b32 v3, v3
	ds_read_b64 v[21:22], v21 offset:1024
	s_waitcnt lgkmcnt(1)
	v_add_nc_u32_e32 v3, v3, v0
	v_lshlrev_b64 v[24:25], 3, v[3:4]
	v_add_co_u32 v24, vcc_lo, s44, v24
	v_add_co_ci_u32_e64 v25, null, s45, v25, vcc_lo
	s_waitcnt lgkmcnt(0)
	global_store_dwordx2 v[24:25], v[21:22], off
	s_or_b32 exec_lo, exec_lo, s28
	s_and_saveexec_b32 s28, s20
	s_cbranch_execz .LBB1945_138
.LBB1945_170:                           ;   in Loop: Header=BB1945_64 Depth=2
	v_lshlrev_b32_e32 v3, 2, v99
	v_add_nc_u32_e32 v21, v47, v48
	ds_read_b32 v3, v3
	ds_read_b64 v[21:22], v21 offset:3072
	s_waitcnt lgkmcnt(1)
	v_add_nc_u32_e32 v3, v3, v30
	v_lshlrev_b64 v[24:25], 3, v[3:4]
	v_add_co_u32 v24, vcc_lo, s44, v24
	v_add_co_ci_u32_e64 v25, null, s45, v25, vcc_lo
	s_waitcnt lgkmcnt(0)
	global_store_dwordx2 v[24:25], v[21:22], off
	s_or_b32 exec_lo, exec_lo, s28
	s_and_saveexec_b32 s20, s21
	s_cbranch_execz .LBB1945_139
.LBB1945_171:                           ;   in Loop: Header=BB1945_64 Depth=2
	v_lshlrev_b32_e32 v3, 2, v98
	v_add_nc_u32_e32 v21, v47, v48
	ds_read_b32 v3, v3
	ds_read_b64 v[21:22], v21 offset:5120
	s_waitcnt lgkmcnt(1)
	v_add_nc_u32_e32 v3, v3, v31
	v_lshlrev_b64 v[24:25], 3, v[3:4]
	v_add_co_u32 v24, vcc_lo, s44, v24
	v_add_co_ci_u32_e64 v25, null, s45, v25, vcc_lo
	s_waitcnt lgkmcnt(0)
	global_store_dwordx2 v[24:25], v[21:22], off
	s_or_b32 exec_lo, exec_lo, s20
	s_and_saveexec_b32 s20, s22
	s_cbranch_execz .LBB1945_140
.LBB1945_172:                           ;   in Loop: Header=BB1945_64 Depth=2
	v_lshlrev_b32_e32 v3, 2, v97
	v_add_nc_u32_e32 v21, v47, v48
	ds_read_b32 v3, v3
	ds_read_b64 v[21:22], v21 offset:7168
	s_waitcnt lgkmcnt(1)
	v_add_nc_u32_e32 v3, v3, v32
	v_lshlrev_b64 v[24:25], 3, v[3:4]
	v_add_co_u32 v24, vcc_lo, s44, v24
	v_add_co_ci_u32_e64 v25, null, s45, v25, vcc_lo
	s_waitcnt lgkmcnt(0)
	global_store_dwordx2 v[24:25], v[21:22], off
	s_or_b32 exec_lo, exec_lo, s20
	s_and_saveexec_b32 s20, s23
	s_cbranch_execz .LBB1945_141
.LBB1945_173:                           ;   in Loop: Header=BB1945_64 Depth=2
	v_lshlrev_b32_e32 v3, 2, v96
	v_add_nc_u32_e32 v21, v47, v48
	ds_read_b32 v3, v3
	ds_read_b64 v[21:22], v21 offset:9216
	s_waitcnt lgkmcnt(1)
	v_add_nc_u32_e32 v3, v3, v35
	v_lshlrev_b64 v[24:25], 3, v[3:4]
	v_add_co_u32 v24, vcc_lo, s44, v24
	v_add_co_ci_u32_e64 v25, null, s45, v25, vcc_lo
	s_waitcnt lgkmcnt(0)
	global_store_dwordx2 v[24:25], v[21:22], off
	s_or_b32 exec_lo, exec_lo, s20
	s_and_saveexec_b32 s20, s24
	s_cbranch_execz .LBB1945_142
.LBB1945_174:                           ;   in Loop: Header=BB1945_64 Depth=2
	v_lshlrev_b32_e32 v3, 2, v95
	v_add_nc_u32_e32 v21, v47, v48
	ds_read_b32 v3, v3
	ds_read_b64 v[21:22], v21 offset:11264
	s_waitcnt lgkmcnt(1)
	v_add_nc_u32_e32 v3, v3, v36
	v_lshlrev_b64 v[24:25], 3, v[3:4]
	v_add_co_u32 v24, vcc_lo, s44, v24
	v_add_co_ci_u32_e64 v25, null, s45, v25, vcc_lo
	s_waitcnt lgkmcnt(0)
	global_store_dwordx2 v[24:25], v[21:22], off
	s_or_b32 exec_lo, exec_lo, s20
	s_and_saveexec_b32 s20, s25
	s_cbranch_execz .LBB1945_143
.LBB1945_175:                           ;   in Loop: Header=BB1945_64 Depth=2
	v_lshlrev_b32_e32 v3, 2, v94
	v_add_nc_u32_e32 v21, v47, v48
	ds_read_b32 v3, v3
	ds_read_b64 v[21:22], v21 offset:13312
	s_waitcnt lgkmcnt(1)
	v_add_nc_u32_e32 v3, v3, v37
	v_lshlrev_b64 v[24:25], 3, v[3:4]
	v_add_co_u32 v24, vcc_lo, s44, v24
	v_add_co_ci_u32_e64 v25, null, s45, v25, vcc_lo
	s_waitcnt lgkmcnt(0)
	global_store_dwordx2 v[24:25], v[21:22], off
	s_or_b32 exec_lo, exec_lo, s20
	s_and_saveexec_b32 s20, s26
	s_cbranch_execnz .LBB1945_144
	s_branch .LBB1945_145
.LBB1945_176:                           ;   in Loop: Header=BB1945_12 Depth=1
	s_waitcnt lgkmcnt(0)
	s_mov_b32 s5, 0
	s_barrier
.LBB1945_177:                           ;   in Loop: Header=BB1945_12 Depth=1
	s_and_b32 vcc_lo, exec_lo, s5
	s_cbranch_vccz .LBB1945_341
; %bb.178:                              ;   in Loop: Header=BB1945_12 Depth=1
	s_mov_b32 s5, s52
	s_mov_b32 s34, s29
	s_barrier
	buffer_gl0_inv
                                        ; implicit-def: $vgpr3
                                        ; implicit-def: $vgpr5
                                        ; implicit-def: $vgpr6
                                        ; implicit-def: $vgpr7
                                        ; implicit-def: $vgpr8
                                        ; implicit-def: $vgpr9
                                        ; implicit-def: $vgpr10
                                        ; implicit-def: $vgpr11
	s_branch .LBB1945_180
.LBB1945_179:                           ;   in Loop: Header=BB1945_180 Depth=2
	s_or_b32 exec_lo, exec_lo, s14
	s_addk_i32 s5, 0xf800
	s_cmp_ge_u32 s13, s33
	s_mov_b32 s34, s13
	s_cbranch_scc1 .LBB1945_216
.LBB1945_180:                           ;   Parent Loop BB1945_12 Depth=1
                                        ; =>  This Inner Loop Header: Depth=2
	s_add_i32 s13, s34, 0x800
	s_mov_b32 s14, -1
	s_cmp_gt_u32 s13, s33
                                        ; implicit-def: $vgpr12
                                        ; implicit-def: $vgpr13
                                        ; implicit-def: $vgpr14
                                        ; implicit-def: $vgpr15
                                        ; implicit-def: $vgpr16
                                        ; implicit-def: $vgpr17
                                        ; implicit-def: $vgpr18
                                        ; implicit-def: $vgpr19
	s_cbranch_scc1 .LBB1945_182
; %bb.181:                              ;   in Loop: Header=BB1945_180 Depth=2
	s_lshl_b64 s[14:15], s[34:35], 1
	v_add_co_u32 v15, vcc_lo, v49, s14
	v_add_co_ci_u32_e64 v16, null, s15, v50, vcc_lo
	s_mov_b32 s14, 0
	v_add_co_u32 v19, vcc_lo, 0x800, v15
	v_add_co_ci_u32_e64 v20, null, 0, v16, vcc_lo
	s_clause 0x7
	global_load_ushort v12, v[15:16], off
	global_load_ushort v13, v[15:16], off offset:512
	global_load_ushort v14, v[15:16], off offset:1024
	;; [unrolled: 1-line block ×3, first 2 shown]
	global_load_ushort v16, v[19:20], off
	global_load_ushort v17, v[19:20], off offset:512
	global_load_ushort v18, v[19:20], off offset:1024
	;; [unrolled: 1-line block ×3, first 2 shown]
.LBB1945_182:                           ;   in Loop: Header=BB1945_180 Depth=2
	s_andn2_b32 vcc_lo, exec_lo, s14
	s_movk_i32 s14, 0x800
	s_cbranch_vccnz .LBB1945_193
; %bb.183:                              ;   in Loop: Header=BB1945_180 Depth=2
	s_lshl_b64 s[14:15], s[34:35], 1
	s_mov_b32 s16, exec_lo
	s_add_u32 s14, s38, s14
	s_addc_u32 s15, s39, s15
	v_cmpx_gt_u32_e64 s5, v0
	s_cbranch_execnz .LBB1945_209
; %bb.184:                              ;   in Loop: Header=BB1945_180 Depth=2
	s_or_b32 exec_lo, exec_lo, s16
	s_mov_b32 s16, exec_lo
	v_cmpx_gt_u32_e64 s5, v30
	s_cbranch_execnz .LBB1945_210
.LBB1945_185:                           ;   in Loop: Header=BB1945_180 Depth=2
	s_or_b32 exec_lo, exec_lo, s16
	s_mov_b32 s16, exec_lo
	v_cmpx_gt_u32_e64 s5, v31
	s_cbranch_execnz .LBB1945_211
.LBB1945_186:                           ;   in Loop: Header=BB1945_180 Depth=2
	s_or_b32 exec_lo, exec_lo, s16
	s_mov_b32 s16, exec_lo
	v_cmpx_gt_u32_e64 s5, v32
	s_cbranch_execnz .LBB1945_212
.LBB1945_187:                           ;   in Loop: Header=BB1945_180 Depth=2
	s_or_b32 exec_lo, exec_lo, s16
	s_mov_b32 s16, exec_lo
	v_cmpx_gt_u32_e64 s5, v35
	s_cbranch_execnz .LBB1945_213
.LBB1945_188:                           ;   in Loop: Header=BB1945_180 Depth=2
	s_or_b32 exec_lo, exec_lo, s16
	s_mov_b32 s16, exec_lo
	v_cmpx_gt_u32_e64 s5, v36
	s_cbranch_execnz .LBB1945_214
.LBB1945_189:                           ;   in Loop: Header=BB1945_180 Depth=2
	s_or_b32 exec_lo, exec_lo, s16
	s_mov_b32 s16, exec_lo
	v_cmpx_gt_u32_e64 s5, v37
	s_cbranch_execnz .LBB1945_215
.LBB1945_190:                           ;   in Loop: Header=BB1945_180 Depth=2
	s_or_b32 exec_lo, exec_lo, s16
	s_mov_b32 s16, exec_lo
	v_cmpx_gt_u32_e64 s5, v38
	s_cbranch_execz .LBB1945_192
.LBB1945_191:                           ;   in Loop: Header=BB1945_180 Depth=2
	global_load_ushort v3, v87, s[14:15]
.LBB1945_192:                           ;   in Loop: Header=BB1945_180 Depth=2
	s_or_b32 exec_lo, exec_lo, s16
	s_waitcnt vmcnt(0)
	v_mov_b32_e32 v12, v11
	v_mov_b32_e32 v13, v10
	v_mov_b32_e32 v14, v9
	v_mov_b32_e32 v15, v8
	v_mov_b32_e32 v16, v7
	v_mov_b32_e32 v17, v6
	v_mov_b32_e32 v18, v5
	v_mov_b32_e32 v19, v3
	s_mov_b32 s14, s5
.LBB1945_193:                           ;   in Loop: Header=BB1945_180 Depth=2
	s_waitcnt vmcnt(0)
	v_mov_b32_e32 v3, v19
	v_mov_b32_e32 v5, v18
	;; [unrolled: 1-line block ×8, first 2 shown]
	s_mov_b32 s15, exec_lo
	v_cmpx_gt_u32_e64 s14, v0
	s_cbranch_execnz .LBB1945_201
; %bb.194:                              ;   in Loop: Header=BB1945_180 Depth=2
	s_or_b32 exec_lo, exec_lo, s15
	s_mov_b32 s15, exec_lo
	v_cmpx_gt_u32_e64 s14, v30
	s_cbranch_execnz .LBB1945_202
.LBB1945_195:                           ;   in Loop: Header=BB1945_180 Depth=2
	s_or_b32 exec_lo, exec_lo, s15
	s_mov_b32 s15, exec_lo
	v_cmpx_gt_u32_e64 s14, v31
	s_cbranch_execnz .LBB1945_203
.LBB1945_196:                           ;   in Loop: Header=BB1945_180 Depth=2
	s_or_b32 exec_lo, exec_lo, s15
	s_mov_b32 s15, exec_lo
	v_cmpx_gt_u32_e64 s14, v32
	s_cbranch_execnz .LBB1945_204
.LBB1945_197:                           ;   in Loop: Header=BB1945_180 Depth=2
	s_or_b32 exec_lo, exec_lo, s15
	s_mov_b32 s15, exec_lo
	v_cmpx_gt_u32_e64 s14, v35
	s_cbranch_execnz .LBB1945_205
.LBB1945_198:                           ;   in Loop: Header=BB1945_180 Depth=2
	s_or_b32 exec_lo, exec_lo, s15
	s_mov_b32 s15, exec_lo
	v_cmpx_gt_u32_e64 s14, v36
	s_cbranch_execnz .LBB1945_206
.LBB1945_199:                           ;   in Loop: Header=BB1945_180 Depth=2
	s_or_b32 exec_lo, exec_lo, s15
	s_mov_b32 s15, exec_lo
	v_cmpx_gt_u32_e64 s14, v37
	s_cbranch_execnz .LBB1945_207
.LBB1945_200:                           ;   in Loop: Header=BB1945_180 Depth=2
	s_or_b32 exec_lo, exec_lo, s15
	v_cmp_gt_u32_e32 vcc_lo, s14, v38
	s_and_saveexec_b32 s14, vcc_lo
	s_cbranch_execz .LBB1945_179
	s_branch .LBB1945_208
.LBB1945_201:                           ;   in Loop: Header=BB1945_180 Depth=2
	v_cmp_gt_i16_e32 vcc_lo, 0, v11
	v_cndmask_b32_e64 v12, 0x7fff, 0, vcc_lo
	v_xor_b32_e32 v12, v12, v11
	v_cmp_ne_u16_e32 vcc_lo, 0x8000, v12
	v_cndmask_b32_e32 v12, 0x7fff, v12, vcc_lo
	v_lshrrev_b32_sdwa v12, s42, v12 dst_sel:DWORD dst_unused:UNUSED_PAD src0_sel:DWORD src1_sel:WORD_0
	v_and_b32_e32 v12, s43, v12
	v_lshl_or_b32 v12, v12, 4, v40
	ds_add_u32 v12, v62
	s_or_b32 exec_lo, exec_lo, s15
	s_mov_b32 s15, exec_lo
	v_cmpx_gt_u32_e64 s14, v30
	s_cbranch_execz .LBB1945_195
.LBB1945_202:                           ;   in Loop: Header=BB1945_180 Depth=2
	v_cmp_gt_i16_e32 vcc_lo, 0, v10
	v_cndmask_b32_e64 v12, 0x7fff, 0, vcc_lo
	v_xor_b32_e32 v12, v12, v10
	v_cmp_ne_u16_e32 vcc_lo, 0x8000, v12
	v_cndmask_b32_e32 v12, 0x7fff, v12, vcc_lo
	v_lshrrev_b32_sdwa v12, s42, v12 dst_sel:DWORD dst_unused:UNUSED_PAD src0_sel:DWORD src1_sel:WORD_0
	v_and_b32_e32 v12, s43, v12
	v_lshl_or_b32 v12, v12, 4, v40
	ds_add_u32 v12, v62
	s_or_b32 exec_lo, exec_lo, s15
	s_mov_b32 s15, exec_lo
	v_cmpx_gt_u32_e64 s14, v31
	s_cbranch_execz .LBB1945_196
.LBB1945_203:                           ;   in Loop: Header=BB1945_180 Depth=2
	v_cmp_gt_i16_e32 vcc_lo, 0, v9
	v_cndmask_b32_e64 v12, 0x7fff, 0, vcc_lo
	v_xor_b32_e32 v12, v12, v9
	v_cmp_ne_u16_e32 vcc_lo, 0x8000, v12
	v_cndmask_b32_e32 v12, 0x7fff, v12, vcc_lo
	v_lshrrev_b32_sdwa v12, s42, v12 dst_sel:DWORD dst_unused:UNUSED_PAD src0_sel:DWORD src1_sel:WORD_0
	v_and_b32_e32 v12, s43, v12
	v_lshl_or_b32 v12, v12, 4, v40
	ds_add_u32 v12, v62
	s_or_b32 exec_lo, exec_lo, s15
	s_mov_b32 s15, exec_lo
	v_cmpx_gt_u32_e64 s14, v32
	s_cbranch_execz .LBB1945_197
.LBB1945_204:                           ;   in Loop: Header=BB1945_180 Depth=2
	v_cmp_gt_i16_e32 vcc_lo, 0, v8
	v_cndmask_b32_e64 v12, 0x7fff, 0, vcc_lo
	v_xor_b32_e32 v12, v12, v8
	v_cmp_ne_u16_e32 vcc_lo, 0x8000, v12
	v_cndmask_b32_e32 v12, 0x7fff, v12, vcc_lo
	v_lshrrev_b32_sdwa v12, s42, v12 dst_sel:DWORD dst_unused:UNUSED_PAD src0_sel:DWORD src1_sel:WORD_0
	v_and_b32_e32 v12, s43, v12
	v_lshl_or_b32 v12, v12, 4, v40
	ds_add_u32 v12, v62
	s_or_b32 exec_lo, exec_lo, s15
	s_mov_b32 s15, exec_lo
	v_cmpx_gt_u32_e64 s14, v35
	s_cbranch_execz .LBB1945_198
.LBB1945_205:                           ;   in Loop: Header=BB1945_180 Depth=2
	v_cmp_gt_i16_e32 vcc_lo, 0, v7
	v_cndmask_b32_e64 v12, 0x7fff, 0, vcc_lo
	v_xor_b32_e32 v12, v12, v7
	v_cmp_ne_u16_e32 vcc_lo, 0x8000, v12
	v_cndmask_b32_e32 v12, 0x7fff, v12, vcc_lo
	v_lshrrev_b32_sdwa v12, s42, v12 dst_sel:DWORD dst_unused:UNUSED_PAD src0_sel:DWORD src1_sel:WORD_0
	v_and_b32_e32 v12, s43, v12
	v_lshl_or_b32 v12, v12, 4, v40
	ds_add_u32 v12, v62
	s_or_b32 exec_lo, exec_lo, s15
	s_mov_b32 s15, exec_lo
	v_cmpx_gt_u32_e64 s14, v36
	s_cbranch_execz .LBB1945_199
.LBB1945_206:                           ;   in Loop: Header=BB1945_180 Depth=2
	v_cmp_gt_i16_e32 vcc_lo, 0, v6
	v_cndmask_b32_e64 v12, 0x7fff, 0, vcc_lo
	v_xor_b32_e32 v12, v12, v6
	v_cmp_ne_u16_e32 vcc_lo, 0x8000, v12
	v_cndmask_b32_e32 v12, 0x7fff, v12, vcc_lo
	v_lshrrev_b32_sdwa v12, s42, v12 dst_sel:DWORD dst_unused:UNUSED_PAD src0_sel:DWORD src1_sel:WORD_0
	v_and_b32_e32 v12, s43, v12
	v_lshl_or_b32 v12, v12, 4, v40
	ds_add_u32 v12, v62
	s_or_b32 exec_lo, exec_lo, s15
	s_mov_b32 s15, exec_lo
	v_cmpx_gt_u32_e64 s14, v37
	s_cbranch_execz .LBB1945_200
.LBB1945_207:                           ;   in Loop: Header=BB1945_180 Depth=2
	v_cmp_gt_i16_e32 vcc_lo, 0, v5
	v_cndmask_b32_e64 v12, 0x7fff, 0, vcc_lo
	v_xor_b32_e32 v12, v12, v5
	v_cmp_ne_u16_e32 vcc_lo, 0x8000, v12
	v_cndmask_b32_e32 v12, 0x7fff, v12, vcc_lo
	v_lshrrev_b32_sdwa v12, s42, v12 dst_sel:DWORD dst_unused:UNUSED_PAD src0_sel:DWORD src1_sel:WORD_0
	v_and_b32_e32 v12, s43, v12
	v_lshl_or_b32 v12, v12, 4, v40
	ds_add_u32 v12, v62
	s_or_b32 exec_lo, exec_lo, s15
	v_cmp_gt_u32_e32 vcc_lo, s14, v38
	s_and_saveexec_b32 s14, vcc_lo
	s_cbranch_execz .LBB1945_179
.LBB1945_208:                           ;   in Loop: Header=BB1945_180 Depth=2
	v_cmp_gt_i16_e32 vcc_lo, 0, v3
	v_cndmask_b32_e64 v12, 0x7fff, 0, vcc_lo
	v_xor_b32_e32 v12, v12, v3
	v_cmp_ne_u16_e32 vcc_lo, 0x8000, v12
	v_cndmask_b32_e32 v12, 0x7fff, v12, vcc_lo
	v_lshrrev_b32_sdwa v12, s42, v12 dst_sel:DWORD dst_unused:UNUSED_PAD src0_sel:DWORD src1_sel:WORD_0
	v_and_b32_e32 v12, s43, v12
	v_lshl_or_b32 v12, v12, 4, v40
	ds_add_u32 v12, v62
	s_branch .LBB1945_179
.LBB1945_209:                           ;   in Loop: Header=BB1945_180 Depth=2
	global_load_ushort v11, v79, s[14:15]
	s_or_b32 exec_lo, exec_lo, s16
	s_mov_b32 s16, exec_lo
	v_cmpx_gt_u32_e64 s5, v30
	s_cbranch_execz .LBB1945_185
.LBB1945_210:                           ;   in Loop: Header=BB1945_180 Depth=2
	global_load_ushort v10, v79, s[14:15] offset:512
	s_or_b32 exec_lo, exec_lo, s16
	s_mov_b32 s16, exec_lo
	v_cmpx_gt_u32_e64 s5, v31
	s_cbranch_execz .LBB1945_186
.LBB1945_211:                           ;   in Loop: Header=BB1945_180 Depth=2
	global_load_ushort v9, v79, s[14:15] offset:1024
	s_or_b32 exec_lo, exec_lo, s16
	s_mov_b32 s16, exec_lo
	v_cmpx_gt_u32_e64 s5, v32
	s_cbranch_execz .LBB1945_187
.LBB1945_212:                           ;   in Loop: Header=BB1945_180 Depth=2
	global_load_ushort v8, v79, s[14:15] offset:1536
	s_or_b32 exec_lo, exec_lo, s16
	s_mov_b32 s16, exec_lo
	v_cmpx_gt_u32_e64 s5, v35
	s_cbranch_execz .LBB1945_188
.LBB1945_213:                           ;   in Loop: Header=BB1945_180 Depth=2
	global_load_ushort v7, v80, s[14:15]
	s_or_b32 exec_lo, exec_lo, s16
	s_mov_b32 s16, exec_lo
	v_cmpx_gt_u32_e64 s5, v36
	s_cbranch_execz .LBB1945_189
.LBB1945_214:                           ;   in Loop: Header=BB1945_180 Depth=2
	global_load_ushort v6, v81, s[14:15]
	s_or_b32 exec_lo, exec_lo, s16
	s_mov_b32 s16, exec_lo
	v_cmpx_gt_u32_e64 s5, v37
	s_cbranch_execz .LBB1945_190
.LBB1945_215:                           ;   in Loop: Header=BB1945_180 Depth=2
	global_load_ushort v5, v82, s[14:15]
	s_or_b32 exec_lo, exec_lo, s16
	s_mov_b32 s16, exec_lo
	v_cmpx_gt_u32_e64 s5, v38
	s_cbranch_execnz .LBB1945_191
	s_branch .LBB1945_192
.LBB1945_216:                           ;   in Loop: Header=BB1945_12 Depth=1
	v_mov_b32_e32 v3, 0
	s_waitcnt lgkmcnt(0)
	s_barrier
	buffer_gl0_inv
	s_and_saveexec_b32 s5, s7
	s_cbranch_execz .LBB1945_218
; %bb.217:                              ;   in Loop: Header=BB1945_12 Depth=1
	ds_read2_b64 v[5:8], v41 offset1:1
	s_waitcnt lgkmcnt(0)
	v_add_nc_u32_e32 v3, v6, v5
	v_add3_u32 v3, v3, v7, v8
.LBB1945_218:                           ;   in Loop: Header=BB1945_12 Depth=1
	s_or_b32 exec_lo, exec_lo, s5
	v_mov_b32_dpp v5, v3 row_shr:1 row_mask:0xf bank_mask:0xf
	v_cmp_eq_u32_e64 s5, 0, v63
	v_cmp_lt_u32_e64 s13, 1, v63
	v_cmp_lt_u32_e64 s14, 3, v63
	;; [unrolled: 1-line block ×3, first 2 shown]
	v_cmp_eq_u32_e64 s16, 0, v65
	v_cndmask_b32_e64 v5, v5, 0, s5
	v_add_nc_u32_e32 v3, v5, v3
	v_mov_b32_dpp v5, v3 row_shr:2 row_mask:0xf bank_mask:0xf
	v_cndmask_b32_e64 v5, 0, v5, s13
	v_add_nc_u32_e32 v3, v3, v5
	v_mov_b32_dpp v5, v3 row_shr:4 row_mask:0xf bank_mask:0xf
	;; [unrolled: 3-line block ×3, first 2 shown]
	v_cndmask_b32_e64 v5, 0, v5, s15
	v_add_nc_u32_e32 v3, v3, v5
	ds_swizzle_b32 v5, v3 offset:swizzle(BROADCAST,32,15)
	s_waitcnt lgkmcnt(0)
	v_and_b32_e32 v5, v64, v5
	v_add_nc_u32_e32 v3, v3, v5
	s_and_saveexec_b32 s17, s8
; %bb.219:                              ;   in Loop: Header=BB1945_12 Depth=1
	ds_write_b32 v42, v3
; %bb.220:                              ;   in Loop: Header=BB1945_12 Depth=1
	s_or_b32 exec_lo, exec_lo, s17
	s_waitcnt lgkmcnt(0)
	s_barrier
	buffer_gl0_inv
	s_and_saveexec_b32 s17, s9
	s_cbranch_execz .LBB1945_222
; %bb.221:                              ;   in Loop: Header=BB1945_12 Depth=1
	ds_read_b32 v5, v43
	v_cmp_ne_u32_e32 vcc_lo, 0, v67
	s_waitcnt lgkmcnt(0)
	v_mov_b32_dpp v6, v5 row_shr:1 row_mask:0xf bank_mask:0xf
	v_cndmask_b32_e32 v6, 0, v6, vcc_lo
	v_cmp_lt_u32_e32 vcc_lo, 1, v67
	v_add_nc_u32_e32 v5, v6, v5
	v_mov_b32_dpp v6, v5 row_shr:2 row_mask:0xf bank_mask:0xf
	v_cndmask_b32_e32 v6, 0, v6, vcc_lo
	v_cmp_lt_u32_e32 vcc_lo, 3, v67
	v_add_nc_u32_e32 v5, v5, v6
	v_mov_b32_dpp v6, v5 row_shr:4 row_mask:0xf bank_mask:0xf
	v_cndmask_b32_e32 v6, 0, v6, vcc_lo
	v_add_nc_u32_e32 v5, v5, v6
	ds_write_b32 v43, v5
.LBB1945_222:                           ;   in Loop: Header=BB1945_12 Depth=1
	s_or_b32 exec_lo, exec_lo, s17
	v_mov_b32_e32 v5, 0
	s_waitcnt lgkmcnt(0)
	s_barrier
	buffer_gl0_inv
	s_and_saveexec_b32 s17, s10
; %bb.223:                              ;   in Loop: Header=BB1945_12 Depth=1
	ds_read_b32 v5, v45
; %bb.224:                              ;   in Loop: Header=BB1945_12 Depth=1
	s_or_b32 exec_lo, exec_lo, s17
	v_cmp_gt_i32_e32 vcc_lo, 0, v68
	s_waitcnt lgkmcnt(0)
	v_add_nc_u32_e32 v3, v5, v3
	s_barrier
	buffer_gl0_inv
	v_cndmask_b32_e32 v6, v68, v59, vcc_lo
	v_lshlrev_b32_e32 v91, 2, v6
	ds_bpermute_b32 v3, v91, v3
	s_and_saveexec_b32 s17, s7
	s_cbranch_execz .LBB1945_226
; %bb.225:                              ;   in Loop: Header=BB1945_12 Depth=1
	s_waitcnt lgkmcnt(0)
	v_cndmask_b32_e64 v3, v3, v5, s12
	v_add_nc_u32_e32 v3, s29, v3
	ds_write_b32 v29, v3
.LBB1945_226:                           ;   in Loop: Header=BB1945_12 Depth=1
	s_or_b32 exec_lo, exec_lo, s17
	s_load_dwordx2 s[18:19], s[30:31], 0x0
	v_add_co_u32 v92, vcc_lo, v51, v69
	v_add_co_ci_u32_e64 v93, null, 0, v52, vcc_lo
	v_add_co_u32 v94, vcc_lo, v53, v77
	v_add_co_ci_u32_e64 v95, null, 0, v54, vcc_lo
	s_mov_b32 s48, s52
	s_mov_b32 s34, s29
                                        ; implicit-def: $vgpr7_vgpr8
                                        ; implicit-def: $vgpr9_vgpr10
                                        ; implicit-def: $vgpr11_vgpr12
                                        ; implicit-def: $vgpr13_vgpr14
                                        ; implicit-def: $vgpr15_vgpr16
                                        ; implicit-def: $vgpr17_vgpr18
                                        ; implicit-def: $vgpr19_vgpr20
                                        ; implicit-def: $vgpr97
                                        ; implicit-def: $vgpr98
                                        ; implicit-def: $vgpr99
                                        ; implicit-def: $vgpr100
                                        ; implicit-def: $vgpr101
                                        ; implicit-def: $vgpr102
                                        ; implicit-def: $vgpr103
                                        ; implicit-def: $vgpr104
	s_waitcnt lgkmcnt(0)
	s_cmp_lt_u32 s27, s19
	s_cselect_b32 s17, 14, 20
	s_add_u32 s20, s30, s17
	s_addc_u32 s21, s31, 0
	s_cmp_lt_u32 s6, s18
	global_load_ushort v3, v4, s[20:21]
	s_cselect_b32 s17, 12, 18
	s_add_u32 s18, s30, s17
	s_addc_u32 s19, s31, 0
	v_cmp_eq_u32_e64 s17, 0, v67
	global_load_ushort v5, v4, s[18:19]
	v_cmp_lt_u32_e64 s18, 1, v67
	v_cmp_lt_u32_e64 s19, 3, v67
	s_waitcnt vmcnt(1)
	v_mad_u32_u24 v3, v2, v3, v1
	s_waitcnt vmcnt(0)
	v_mad_u64_u32 v[5:6], null, v3, v5, v[0:1]
	v_lshrrev_b32_e32 v3, 3, v5
                                        ; implicit-def: $vgpr5_vgpr6
	v_and_b32_e32 v96, 0x1ffffffc, v3
	s_branch .LBB1945_228
.LBB1945_227:                           ;   in Loop: Header=BB1945_228 Depth=2
	s_or_b32 exec_lo, exec_lo, s20
	s_addk_i32 s48, 0xf800
	s_cmp_lt_u32 s53, s33
	s_mov_b32 s34, s53
	s_cbranch_scc0 .LBB1945_340
.LBB1945_228:                           ;   Parent Loop BB1945_12 Depth=1
                                        ; =>  This Inner Loop Header: Depth=2
	s_add_i32 s53, s34, 0x800
	s_cmp_gt_u32 s53, s33
	s_cbranch_scc1 .LBB1945_230
; %bb.229:                              ;   in Loop: Header=BB1945_228 Depth=2
	s_lshl_b64 s[20:21], s[34:35], 1
	v_add_co_u32 v21, vcc_lo, v94, s20
	v_add_co_ci_u32_e64 v22, null, s21, v95, vcc_lo
	s_mov_b32 s20, -1
	s_clause 0x6
	global_load_ushort v3, v[21:22], off
	global_load_ushort v28, v[21:22], off offset:64
	global_load_ushort v27, v[21:22], off offset:128
	;; [unrolled: 1-line block ×6, first 2 shown]
	s_movk_i32 s21, 0x800
	s_cbranch_execz .LBB1945_231
	s_branch .LBB1945_246
.LBB1945_230:                           ;   in Loop: Header=BB1945_228 Depth=2
	s_mov_b32 s20, 0
                                        ; implicit-def: $vgpr3
                                        ; implicit-def: $vgpr28
                                        ; implicit-def: $vgpr27
                                        ; implicit-def: $vgpr26
                                        ; implicit-def: $vgpr25
                                        ; implicit-def: $vgpr24
                                        ; implicit-def: $vgpr23
	s_movk_i32 s21, 0x800
.LBB1945_231:                           ;   in Loop: Header=BB1945_228 Depth=2
	s_lshl_b64 s[20:21], s[34:35], 1
	s_waitcnt vmcnt(5)
	v_mov_b32_e32 v28, -1
	v_add_co_u32 v21, vcc_lo, v94, s20
	v_add_co_ci_u32_e64 v22, null, s21, v95, vcc_lo
	v_mov_b32_e32 v3, -1
	s_mov_b32 s20, exec_lo
	v_cmpx_gt_u32_e64 s48, v66
	s_cbranch_execz .LBB1945_233
; %bb.232:                              ;   in Loop: Header=BB1945_228 Depth=2
	global_load_ushort v3, v[21:22], off
.LBB1945_233:                           ;   in Loop: Header=BB1945_228 Depth=2
	s_or_b32 exec_lo, exec_lo, s20
	s_mov_b32 s20, exec_lo
	v_cmpx_gt_u32_e64 s48, v70
	s_cbranch_execz .LBB1945_235
; %bb.234:                              ;   in Loop: Header=BB1945_228 Depth=2
	global_load_ushort v28, v[21:22], off offset:64
.LBB1945_235:                           ;   in Loop: Header=BB1945_228 Depth=2
	s_or_b32 exec_lo, exec_lo, s20
	s_waitcnt vmcnt(3)
	v_mov_b32_e32 v26, -1
	v_mov_b32_e32 v27, -1
	s_mov_b32 s20, exec_lo
	v_cmpx_gt_u32_e64 s48, v71
	s_cbranch_execz .LBB1945_237
; %bb.236:                              ;   in Loop: Header=BB1945_228 Depth=2
	global_load_ushort v27, v[21:22], off offset:128
.LBB1945_237:                           ;   in Loop: Header=BB1945_228 Depth=2
	s_or_b32 exec_lo, exec_lo, s20
	s_mov_b32 s20, exec_lo
	v_cmpx_gt_u32_e64 s48, v72
	s_cbranch_execz .LBB1945_239
; %bb.238:                              ;   in Loop: Header=BB1945_228 Depth=2
	global_load_ushort v26, v[21:22], off offset:192
.LBB1945_239:                           ;   in Loop: Header=BB1945_228 Depth=2
	s_or_b32 exec_lo, exec_lo, s20
	s_waitcnt vmcnt(1)
	v_mov_b32_e32 v24, -1
	v_mov_b32_e32 v25, -1
	s_mov_b32 s20, exec_lo
	v_cmpx_gt_u32_e64 s48, v73
	s_cbranch_execz .LBB1945_241
; %bb.240:                              ;   in Loop: Header=BB1945_228 Depth=2
	global_load_ushort v25, v[21:22], off offset:256
.LBB1945_241:                           ;   in Loop: Header=BB1945_228 Depth=2
	s_or_b32 exec_lo, exec_lo, s20
	s_mov_b32 s20, exec_lo
	v_cmpx_gt_u32_e64 s48, v74
	s_cbranch_execz .LBB1945_243
; %bb.242:                              ;   in Loop: Header=BB1945_228 Depth=2
	global_load_ushort v24, v[21:22], off offset:320
.LBB1945_243:                           ;   in Loop: Header=BB1945_228 Depth=2
	s_or_b32 exec_lo, exec_lo, s20
	s_waitcnt vmcnt(0)
	v_mov_b32_e32 v23, -1
	s_mov_b32 s20, exec_lo
	v_cmpx_gt_u32_e64 s48, v75
	s_cbranch_execz .LBB1945_245
; %bb.244:                              ;   in Loop: Header=BB1945_228 Depth=2
	global_load_ushort v23, v[21:22], off offset:384
.LBB1945_245:                           ;   in Loop: Header=BB1945_228 Depth=2
	s_or_b32 exec_lo, exec_lo, s20
	v_cmp_gt_u32_e64 s20, s48, v76
	s_sub_i32 s21, s33, s34
.LBB1945_246:                           ;   in Loop: Header=BB1945_228 Depth=2
	v_mov_b32_e32 v21, -1
	v_mov_b32_e32 v105, s48
	s_and_saveexec_b32 s22, s20
	s_cbranch_execz .LBB1945_248
; %bb.247:                              ;   in Loop: Header=BB1945_228 Depth=2
	s_lshl_b64 s[24:25], s[34:35], 1
	v_mov_b32_e32 v105, s21
	v_add_co_u32 v21, vcc_lo, v94, s24
	v_add_co_ci_u32_e64 v22, null, s25, v95, vcc_lo
	global_load_ushort v21, v[21:22], off offset:448
.LBB1945_248:                           ;   in Loop: Header=BB1945_228 Depth=2
	s_or_b32 exec_lo, exec_lo, s22
	s_waitcnt vmcnt(6)
	v_cmp_gt_i16_e32 vcc_lo, 0, v3
	ds_write2_b32 v78, v4, v4 offset1:1
	ds_write2_b32 v88, v4, v4 offset1:1
	;; [unrolled: 1-line block ×4, first 2 shown]
	ds_write_b32 v44, v4 offset:1088
	s_waitcnt vmcnt(0) lgkmcnt(0)
	s_barrier
	v_cndmask_b32_e64 v22, 0x7fff, 0, vcc_lo
	buffer_gl0_inv
	; wave barrier
	v_xor_b32_e32 v3, v22, v3
	v_cmp_ne_u16_e32 vcc_lo, 0x8000, v3
	v_cndmask_b32_e32 v22, 0x7fff, v3, vcc_lo
	v_lshrrev_b32_sdwa v22, s42, v22 dst_sel:DWORD dst_unused:UNUSED_PAD src0_sel:DWORD src1_sel:WORD_0
	v_and_b32_e32 v107, s43, v22
	v_and_b32_e32 v22, 1, v107
	v_lshlrev_b32_e32 v106, 30, v107
	v_lshlrev_b32_e32 v108, 29, v107
	;; [unrolled: 1-line block ×4, first 2 shown]
	v_add_co_u32 v22, s20, v22, -1
	v_cndmask_b32_e64 v110, 0, 1, s20
	v_not_b32_e32 v114, v106
	v_cmp_gt_i32_e64 s20, 0, v106
	v_not_b32_e32 v106, v108
	v_lshlrev_b32_e32 v112, 26, v107
	v_cmp_ne_u32_e32 vcc_lo, 0, v110
	v_ashrrev_i32_e32 v114, 31, v114
	v_lshlrev_b32_e32 v113, 25, v107
	v_ashrrev_i32_e32 v106, 31, v106
	v_lshlrev_b32_e32 v110, 24, v107
	v_xor_b32_e32 v22, vcc_lo, v22
	v_cmp_gt_i32_e32 vcc_lo, 0, v108
	v_not_b32_e32 v108, v109
	v_xor_b32_e32 v114, s20, v114
	v_cmp_gt_i32_e64 s20, 0, v109
	v_and_b32_e32 v22, exec_lo, v22
	v_not_b32_e32 v109, v111
	v_ashrrev_i32_e32 v108, 31, v108
	v_xor_b32_e32 v106, vcc_lo, v106
	v_cmp_gt_i32_e32 vcc_lo, 0, v111
	v_and_b32_e32 v22, v22, v114
	v_not_b32_e32 v111, v112
	v_ashrrev_i32_e32 v109, 31, v109
	v_xor_b32_e32 v108, s20, v108
	v_cmp_gt_i32_e64 s20, 0, v112
	v_and_b32_e32 v22, v22, v106
	v_not_b32_e32 v106, v113
	v_ashrrev_i32_e32 v111, 31, v111
	v_xor_b32_e32 v109, vcc_lo, v109
	v_cmp_gt_i32_e32 vcc_lo, 0, v113
	v_and_b32_e32 v22, v22, v108
	v_not_b32_e32 v108, v110
	v_ashrrev_i32_e32 v106, 31, v106
	v_xor_b32_e32 v111, s20, v111
	v_cmp_gt_i32_e64 s20, 0, v110
	v_and_b32_e32 v22, v22, v109
	v_ashrrev_i32_e32 v108, 31, v108
	v_xor_b32_e32 v106, vcc_lo, v106
	v_mul_u32_u24_e32 v107, 36, v107
	v_and_b32_e32 v22, v22, v111
	v_xor_b32_e32 v108, s20, v108
	v_and_b32_e32 v22, v22, v106
	v_and_b32_e32 v22, v22, v108
	v_add_nc_u32_e32 v108, v96, v107
	v_mbcnt_lo_u32_b32 v106, v22, 0
	v_cmp_ne_u32_e64 s20, 0, v22
	v_cmp_eq_u32_e32 vcc_lo, 0, v106
	s_and_b32 s21, s20, vcc_lo
	s_and_saveexec_b32 s20, s21
; %bb.249:                              ;   in Loop: Header=BB1945_228 Depth=2
	v_bcnt_u32_b32 v22, v22, 0
	ds_write_b32 v108, v22 offset:1056
; %bb.250:                              ;   in Loop: Header=BB1945_228 Depth=2
	s_or_b32 exec_lo, exec_lo, s20
	v_cmp_gt_i16_e32 vcc_lo, 0, v28
	; wave barrier
	v_cndmask_b32_e64 v22, 0x7fff, 0, vcc_lo
	v_xor_b32_e32 v107, v22, v28
	v_cmp_ne_u16_e32 vcc_lo, 0x8000, v107
	v_cndmask_b32_e32 v22, 0x7fff, v107, vcc_lo
	v_lshrrev_b32_sdwa v22, s42, v22 dst_sel:DWORD dst_unused:UNUSED_PAD src0_sel:DWORD src1_sel:WORD_0
	v_and_b32_e32 v28, s43, v22
	v_and_b32_e32 v22, 1, v28
	v_lshlrev_b32_e32 v109, 30, v28
	v_lshlrev_b32_e32 v110, 29, v28
	v_lshlrev_b32_e32 v111, 28, v28
	v_lshlrev_b32_e32 v113, 27, v28
	v_add_co_u32 v22, s20, v22, -1
	v_cndmask_b32_e64 v112, 0, 1, s20
	v_not_b32_e32 v116, v109
	v_cmp_gt_i32_e64 s20, 0, v109
	v_not_b32_e32 v109, v110
	v_lshlrev_b32_e32 v114, 26, v28
	v_cmp_ne_u32_e32 vcc_lo, 0, v112
	v_ashrrev_i32_e32 v116, 31, v116
	v_lshlrev_b32_e32 v115, 25, v28
	v_ashrrev_i32_e32 v109, 31, v109
	v_lshlrev_b32_e32 v112, 24, v28
	v_xor_b32_e32 v22, vcc_lo, v22
	v_cmp_gt_i32_e32 vcc_lo, 0, v110
	v_not_b32_e32 v110, v111
	v_xor_b32_e32 v116, s20, v116
	v_cmp_gt_i32_e64 s20, 0, v111
	v_and_b32_e32 v22, exec_lo, v22
	v_not_b32_e32 v111, v113
	v_ashrrev_i32_e32 v110, 31, v110
	v_xor_b32_e32 v109, vcc_lo, v109
	v_cmp_gt_i32_e32 vcc_lo, 0, v113
	v_and_b32_e32 v22, v22, v116
	v_not_b32_e32 v113, v114
	v_ashrrev_i32_e32 v111, 31, v111
	v_xor_b32_e32 v110, s20, v110
	v_cmp_gt_i32_e64 s20, 0, v114
	v_and_b32_e32 v22, v22, v109
	v_not_b32_e32 v109, v115
	v_ashrrev_i32_e32 v113, 31, v113
	v_xor_b32_e32 v111, vcc_lo, v111
	v_cmp_gt_i32_e32 vcc_lo, 0, v115
	v_and_b32_e32 v22, v22, v110
	v_not_b32_e32 v110, v112
	v_ashrrev_i32_e32 v109, 31, v109
	v_xor_b32_e32 v113, s20, v113
	v_cmp_gt_i32_e64 s20, 0, v112
	v_and_b32_e32 v22, v22, v111
	v_ashrrev_i32_e32 v110, 31, v110
	v_xor_b32_e32 v109, vcc_lo, v109
	v_mad_u32_u24 v111, v28, 36, v96
	v_mul_u32_u24_e32 v28, 36, v28
	v_and_b32_e32 v22, v22, v113
	v_xor_b32_e32 v110, s20, v110
	v_add_nc_u32_e32 v112, v96, v28
	v_and_b32_e32 v22, v22, v109
	ds_read_b32 v109, v111 offset:1056
	; wave barrier
	v_and_b32_e32 v22, v22, v110
	v_mbcnt_lo_u32_b32 v110, v22, 0
	v_cmp_ne_u32_e64 s20, 0, v22
	v_cmp_eq_u32_e32 vcc_lo, 0, v110
	s_and_b32 s21, s20, vcc_lo
	s_and_saveexec_b32 s20, s21
	s_cbranch_execz .LBB1945_252
; %bb.251:                              ;   in Loop: Header=BB1945_228 Depth=2
	s_waitcnt lgkmcnt(0)
	v_bcnt_u32_b32 v22, v22, v109
	ds_write_b32 v112, v22 offset:1056
.LBB1945_252:                           ;   in Loop: Header=BB1945_228 Depth=2
	s_or_b32 exec_lo, exec_lo, s20
	v_cmp_gt_i16_e32 vcc_lo, 0, v27
	; wave barrier
	v_cndmask_b32_e64 v22, 0x7fff, 0, vcc_lo
	v_xor_b32_e32 v111, v22, v27
	v_cmp_ne_u16_e32 vcc_lo, 0x8000, v111
	v_cndmask_b32_e32 v22, 0x7fff, v111, vcc_lo
	v_lshrrev_b32_sdwa v22, s42, v22 dst_sel:DWORD dst_unused:UNUSED_PAD src0_sel:DWORD src1_sel:WORD_0
	v_and_b32_e32 v27, s43, v22
	v_and_b32_e32 v22, 1, v27
	v_lshlrev_b32_e32 v28, 30, v27
	v_lshlrev_b32_e32 v113, 29, v27
	v_lshlrev_b32_e32 v114, 28, v27
	v_lshlrev_b32_e32 v116, 27, v27
	v_add_co_u32 v22, s20, v22, -1
	v_cndmask_b32_e64 v115, 0, 1, s20
	v_not_b32_e32 v119, v28
	v_cmp_gt_i32_e64 s20, 0, v28
	v_not_b32_e32 v28, v113
	v_lshlrev_b32_e32 v117, 26, v27
	v_cmp_ne_u32_e32 vcc_lo, 0, v115
	v_ashrrev_i32_e32 v119, 31, v119
	v_lshlrev_b32_e32 v118, 25, v27
	v_ashrrev_i32_e32 v28, 31, v28
	v_lshlrev_b32_e32 v115, 24, v27
	v_xor_b32_e32 v22, vcc_lo, v22
	v_cmp_gt_i32_e32 vcc_lo, 0, v113
	v_not_b32_e32 v113, v114
	v_xor_b32_e32 v119, s20, v119
	v_cmp_gt_i32_e64 s20, 0, v114
	v_and_b32_e32 v22, exec_lo, v22
	v_not_b32_e32 v114, v116
	v_ashrrev_i32_e32 v113, 31, v113
	v_xor_b32_e32 v28, vcc_lo, v28
	v_cmp_gt_i32_e32 vcc_lo, 0, v116
	v_and_b32_e32 v22, v22, v119
	v_not_b32_e32 v116, v117
	v_ashrrev_i32_e32 v114, 31, v114
	v_xor_b32_e32 v113, s20, v113
	v_cmp_gt_i32_e64 s20, 0, v117
	v_and_b32_e32 v22, v22, v28
	v_not_b32_e32 v28, v118
	v_ashrrev_i32_e32 v116, 31, v116
	v_xor_b32_e32 v114, vcc_lo, v114
	v_cmp_gt_i32_e32 vcc_lo, 0, v118
	v_and_b32_e32 v22, v22, v113
	v_not_b32_e32 v113, v115
	v_ashrrev_i32_e32 v28, 31, v28
	v_xor_b32_e32 v116, s20, v116
	v_cmp_gt_i32_e64 s20, 0, v115
	v_and_b32_e32 v22, v22, v114
	v_ashrrev_i32_e32 v113, 31, v113
	v_xor_b32_e32 v28, vcc_lo, v28
	v_mad_u32_u24 v114, v27, 36, v96
	v_mul_u32_u24_e32 v27, 36, v27
	v_and_b32_e32 v22, v22, v116
	v_xor_b32_e32 v115, s20, v113
	ds_read_b32 v113, v114 offset:1056
	v_add_nc_u32_e32 v116, v96, v27
	v_and_b32_e32 v22, v22, v28
	; wave barrier
	v_and_b32_e32 v22, v22, v115
	v_mbcnt_lo_u32_b32 v115, v22, 0
	v_cmp_ne_u32_e64 s20, 0, v22
	v_cmp_eq_u32_e32 vcc_lo, 0, v115
	s_and_b32 s21, s20, vcc_lo
	s_and_saveexec_b32 s20, s21
	s_cbranch_execz .LBB1945_254
; %bb.253:                              ;   in Loop: Header=BB1945_228 Depth=2
	s_waitcnt lgkmcnt(0)
	v_bcnt_u32_b32 v22, v22, v113
	ds_write_b32 v116, v22 offset:1056
.LBB1945_254:                           ;   in Loop: Header=BB1945_228 Depth=2
	s_or_b32 exec_lo, exec_lo, s20
	v_cmp_gt_i16_e32 vcc_lo, 0, v26
	; wave barrier
	v_cndmask_b32_e64 v22, 0x7fff, 0, vcc_lo
	v_xor_b32_e32 v114, v22, v26
	v_cmp_ne_u16_e32 vcc_lo, 0x8000, v114
	v_cndmask_b32_e32 v22, 0x7fff, v114, vcc_lo
	v_lshrrev_b32_sdwa v22, s42, v22 dst_sel:DWORD dst_unused:UNUSED_PAD src0_sel:DWORD src1_sel:WORD_0
	v_and_b32_e32 v26, s43, v22
	v_and_b32_e32 v22, 1, v26
	v_lshlrev_b32_e32 v27, 30, v26
	v_lshlrev_b32_e32 v28, 29, v26
	;; [unrolled: 1-line block ×4, first 2 shown]
	v_add_co_u32 v22, s20, v22, -1
	v_cndmask_b32_e64 v118, 0, 1, s20
	v_not_b32_e32 v122, v27
	v_cmp_gt_i32_e64 s20, 0, v27
	v_not_b32_e32 v27, v28
	v_lshlrev_b32_e32 v120, 26, v26
	v_cmp_ne_u32_e32 vcc_lo, 0, v118
	v_ashrrev_i32_e32 v122, 31, v122
	v_lshlrev_b32_e32 v121, 25, v26
	v_ashrrev_i32_e32 v27, 31, v27
	v_lshlrev_b32_e32 v118, 24, v26
	v_xor_b32_e32 v22, vcc_lo, v22
	v_cmp_gt_i32_e32 vcc_lo, 0, v28
	v_not_b32_e32 v28, v117
	v_xor_b32_e32 v122, s20, v122
	v_cmp_gt_i32_e64 s20, 0, v117
	v_and_b32_e32 v22, exec_lo, v22
	v_not_b32_e32 v117, v119
	v_ashrrev_i32_e32 v28, 31, v28
	v_xor_b32_e32 v27, vcc_lo, v27
	v_cmp_gt_i32_e32 vcc_lo, 0, v119
	v_and_b32_e32 v22, v22, v122
	v_not_b32_e32 v119, v120
	v_ashrrev_i32_e32 v117, 31, v117
	v_xor_b32_e32 v28, s20, v28
	v_cmp_gt_i32_e64 s20, 0, v120
	v_and_b32_e32 v22, v22, v27
	v_not_b32_e32 v27, v121
	v_ashrrev_i32_e32 v119, 31, v119
	v_xor_b32_e32 v117, vcc_lo, v117
	v_cmp_gt_i32_e32 vcc_lo, 0, v121
	v_and_b32_e32 v22, v22, v28
	v_not_b32_e32 v28, v118
	v_ashrrev_i32_e32 v27, 31, v27
	v_xor_b32_e32 v119, s20, v119
	v_cmp_gt_i32_e64 s20, 0, v118
	v_and_b32_e32 v22, v22, v117
	v_ashrrev_i32_e32 v28, 31, v28
	v_xor_b32_e32 v27, vcc_lo, v27
	v_mad_u32_u24 v117, v26, 36, v96
	v_mul_u32_u24_e32 v26, 36, v26
	v_and_b32_e32 v22, v22, v119
	v_xor_b32_e32 v28, s20, v28
	ds_read_b32 v117, v117 offset:1056
	v_add_nc_u32_e32 v120, v96, v26
	v_and_b32_e32 v22, v22, v27
	; wave barrier
	v_and_b32_e32 v22, v22, v28
	v_mbcnt_lo_u32_b32 v119, v22, 0
	v_cmp_ne_u32_e64 s20, 0, v22
	v_cmp_eq_u32_e32 vcc_lo, 0, v119
	s_and_b32 s21, s20, vcc_lo
	s_and_saveexec_b32 s20, s21
	s_cbranch_execz .LBB1945_256
; %bb.255:                              ;   in Loop: Header=BB1945_228 Depth=2
	s_waitcnt lgkmcnt(0)
	v_bcnt_u32_b32 v22, v22, v117
	ds_write_b32 v120, v22 offset:1056
.LBB1945_256:                           ;   in Loop: Header=BB1945_228 Depth=2
	s_or_b32 exec_lo, exec_lo, s20
	v_cmp_gt_i16_e32 vcc_lo, 0, v25
	; wave barrier
	v_cndmask_b32_e64 v22, 0x7fff, 0, vcc_lo
	v_xor_b32_e32 v118, v22, v25
	v_cmp_ne_u16_e32 vcc_lo, 0x8000, v118
	v_cndmask_b32_e32 v22, 0x7fff, v118, vcc_lo
	v_lshrrev_b32_sdwa v22, s42, v22 dst_sel:DWORD dst_unused:UNUSED_PAD src0_sel:DWORD src1_sel:WORD_0
	v_and_b32_e32 v25, s43, v22
	v_and_b32_e32 v22, 1, v25
	v_lshlrev_b32_e32 v26, 30, v25
	v_lshlrev_b32_e32 v27, 29, v25
	;; [unrolled: 1-line block ×4, first 2 shown]
	v_add_co_u32 v22, s20, v22, -1
	v_cndmask_b32_e64 v121, 0, 1, s20
	v_not_b32_e32 v125, v26
	v_cmp_gt_i32_e64 s20, 0, v26
	v_not_b32_e32 v26, v27
	v_lshlrev_b32_e32 v123, 26, v25
	v_cmp_ne_u32_e32 vcc_lo, 0, v121
	v_ashrrev_i32_e32 v125, 31, v125
	v_lshlrev_b32_e32 v124, 25, v25
	v_ashrrev_i32_e32 v26, 31, v26
	v_lshlrev_b32_e32 v121, 24, v25
	v_xor_b32_e32 v22, vcc_lo, v22
	v_cmp_gt_i32_e32 vcc_lo, 0, v27
	v_not_b32_e32 v27, v28
	v_xor_b32_e32 v125, s20, v125
	v_cmp_gt_i32_e64 s20, 0, v28
	v_and_b32_e32 v22, exec_lo, v22
	v_not_b32_e32 v28, v122
	v_ashrrev_i32_e32 v27, 31, v27
	v_xor_b32_e32 v26, vcc_lo, v26
	v_cmp_gt_i32_e32 vcc_lo, 0, v122
	v_and_b32_e32 v22, v22, v125
	v_not_b32_e32 v122, v123
	v_ashrrev_i32_e32 v28, 31, v28
	v_xor_b32_e32 v27, s20, v27
	v_cmp_gt_i32_e64 s20, 0, v123
	v_and_b32_e32 v22, v22, v26
	v_not_b32_e32 v26, v124
	v_ashrrev_i32_e32 v122, 31, v122
	v_xor_b32_e32 v28, vcc_lo, v28
	v_cmp_gt_i32_e32 vcc_lo, 0, v124
	v_and_b32_e32 v22, v22, v27
	v_not_b32_e32 v27, v121
	v_ashrrev_i32_e32 v26, 31, v26
	v_xor_b32_e32 v122, s20, v122
	v_cmp_gt_i32_e64 s20, 0, v121
	v_and_b32_e32 v22, v22, v28
	v_ashrrev_i32_e32 v27, 31, v27
	v_xor_b32_e32 v26, vcc_lo, v26
	v_mad_u32_u24 v28, v25, 36, v96
	v_mul_u32_u24_e32 v25, 36, v25
	v_and_b32_e32 v22, v22, v122
	v_xor_b32_e32 v27, s20, v27
	ds_read_b32 v121, v28 offset:1056
	v_add_nc_u32_e32 v124, v96, v25
	v_and_b32_e32 v22, v22, v26
	; wave barrier
	v_and_b32_e32 v22, v22, v27
	v_mbcnt_lo_u32_b32 v123, v22, 0
	v_cmp_ne_u32_e64 s20, 0, v22
	v_cmp_eq_u32_e32 vcc_lo, 0, v123
	s_and_b32 s21, s20, vcc_lo
	s_and_saveexec_b32 s20, s21
	s_cbranch_execz .LBB1945_258
; %bb.257:                              ;   in Loop: Header=BB1945_228 Depth=2
	s_waitcnt lgkmcnt(0)
	v_bcnt_u32_b32 v22, v22, v121
	ds_write_b32 v124, v22 offset:1056
.LBB1945_258:                           ;   in Loop: Header=BB1945_228 Depth=2
	s_or_b32 exec_lo, exec_lo, s20
	v_cmp_gt_i16_e32 vcc_lo, 0, v24
	; wave barrier
	v_cndmask_b32_e64 v22, 0x7fff, 0, vcc_lo
	v_xor_b32_e32 v122, v22, v24
	v_cmp_ne_u16_e32 vcc_lo, 0x8000, v122
	v_cndmask_b32_e32 v22, 0x7fff, v122, vcc_lo
	v_lshrrev_b32_sdwa v22, s42, v22 dst_sel:DWORD dst_unused:UNUSED_PAD src0_sel:DWORD src1_sel:WORD_0
	v_and_b32_e32 v24, s43, v22
	v_and_b32_e32 v22, 1, v24
	v_lshlrev_b32_e32 v25, 30, v24
	v_lshlrev_b32_e32 v26, 29, v24
	;; [unrolled: 1-line block ×4, first 2 shown]
	v_add_co_u32 v22, s20, v22, -1
	v_cndmask_b32_e64 v28, 0, 1, s20
	v_not_b32_e32 v128, v25
	v_cmp_gt_i32_e64 s20, 0, v25
	v_not_b32_e32 v25, v26
	v_lshlrev_b32_e32 v126, 26, v24
	v_cmp_ne_u32_e32 vcc_lo, 0, v28
	v_ashrrev_i32_e32 v128, 31, v128
	v_lshlrev_b32_e32 v127, 25, v24
	v_ashrrev_i32_e32 v25, 31, v25
	v_lshlrev_b32_e32 v28, 24, v24
	v_xor_b32_e32 v22, vcc_lo, v22
	v_cmp_gt_i32_e32 vcc_lo, 0, v26
	v_not_b32_e32 v26, v27
	v_xor_b32_e32 v128, s20, v128
	v_cmp_gt_i32_e64 s20, 0, v27
	v_and_b32_e32 v22, exec_lo, v22
	v_not_b32_e32 v27, v125
	v_ashrrev_i32_e32 v26, 31, v26
	v_xor_b32_e32 v25, vcc_lo, v25
	v_cmp_gt_i32_e32 vcc_lo, 0, v125
	v_and_b32_e32 v22, v22, v128
	v_not_b32_e32 v125, v126
	v_ashrrev_i32_e32 v27, 31, v27
	v_xor_b32_e32 v26, s20, v26
	v_cmp_gt_i32_e64 s20, 0, v126
	v_and_b32_e32 v22, v22, v25
	v_not_b32_e32 v25, v127
	v_ashrrev_i32_e32 v125, 31, v125
	v_xor_b32_e32 v27, vcc_lo, v27
	v_cmp_gt_i32_e32 vcc_lo, 0, v127
	v_and_b32_e32 v22, v22, v26
	v_not_b32_e32 v26, v28
	v_ashrrev_i32_e32 v25, 31, v25
	v_xor_b32_e32 v125, s20, v125
	v_cmp_gt_i32_e64 s20, 0, v28
	v_and_b32_e32 v22, v22, v27
	v_ashrrev_i32_e32 v26, 31, v26
	v_xor_b32_e32 v25, vcc_lo, v25
	v_mad_u32_u24 v27, v24, 36, v96
	v_mul_u32_u24_e32 v24, 36, v24
	v_and_b32_e32 v22, v22, v125
	v_xor_b32_e32 v26, s20, v26
	ds_read_b32 v125, v27 offset:1056
	v_add_nc_u32_e32 v128, v96, v24
	v_and_b32_e32 v22, v22, v25
	; wave barrier
	v_and_b32_e32 v22, v22, v26
	v_mbcnt_lo_u32_b32 v127, v22, 0
	v_cmp_ne_u32_e64 s20, 0, v22
	v_cmp_eq_u32_e32 vcc_lo, 0, v127
	s_and_b32 s21, s20, vcc_lo
	s_and_saveexec_b32 s20, s21
	s_cbranch_execz .LBB1945_260
; %bb.259:                              ;   in Loop: Header=BB1945_228 Depth=2
	s_waitcnt lgkmcnt(0)
	v_bcnt_u32_b32 v22, v22, v125
	ds_write_b32 v128, v22 offset:1056
.LBB1945_260:                           ;   in Loop: Header=BB1945_228 Depth=2
	s_or_b32 exec_lo, exec_lo, s20
	v_cmp_gt_i16_e32 vcc_lo, 0, v23
	; wave barrier
	v_cndmask_b32_e64 v22, 0x7fff, 0, vcc_lo
	v_xor_b32_e32 v126, v22, v23
	v_cmp_ne_u16_e32 vcc_lo, 0x8000, v126
	v_cndmask_b32_e32 v22, 0x7fff, v126, vcc_lo
	v_lshrrev_b32_sdwa v22, s42, v22 dst_sel:DWORD dst_unused:UNUSED_PAD src0_sel:DWORD src1_sel:WORD_0
	v_and_b32_e32 v23, s43, v22
	v_and_b32_e32 v22, 1, v23
	v_lshlrev_b32_e32 v24, 30, v23
	v_lshlrev_b32_e32 v25, 29, v23
	;; [unrolled: 1-line block ×4, first 2 shown]
	v_add_co_u32 v22, s20, v22, -1
	v_cndmask_b32_e64 v27, 0, 1, s20
	v_not_b32_e32 v131, v24
	v_cmp_gt_i32_e64 s20, 0, v24
	v_not_b32_e32 v24, v25
	v_lshlrev_b32_e32 v129, 26, v23
	v_cmp_ne_u32_e32 vcc_lo, 0, v27
	v_ashrrev_i32_e32 v131, 31, v131
	v_lshlrev_b32_e32 v130, 25, v23
	v_ashrrev_i32_e32 v24, 31, v24
	v_lshlrev_b32_e32 v27, 24, v23
	v_xor_b32_e32 v22, vcc_lo, v22
	v_cmp_gt_i32_e32 vcc_lo, 0, v25
	v_not_b32_e32 v25, v26
	v_xor_b32_e32 v131, s20, v131
	v_cmp_gt_i32_e64 s20, 0, v26
	v_and_b32_e32 v22, exec_lo, v22
	v_not_b32_e32 v26, v28
	v_ashrrev_i32_e32 v25, 31, v25
	v_xor_b32_e32 v24, vcc_lo, v24
	v_cmp_gt_i32_e32 vcc_lo, 0, v28
	v_and_b32_e32 v22, v22, v131
	v_not_b32_e32 v28, v129
	v_ashrrev_i32_e32 v26, 31, v26
	v_xor_b32_e32 v25, s20, v25
	v_cmp_gt_i32_e64 s20, 0, v129
	v_and_b32_e32 v22, v22, v24
	v_not_b32_e32 v24, v130
	v_ashrrev_i32_e32 v28, 31, v28
	v_xor_b32_e32 v26, vcc_lo, v26
	v_cmp_gt_i32_e32 vcc_lo, 0, v130
	v_and_b32_e32 v22, v22, v25
	v_not_b32_e32 v25, v27
	v_ashrrev_i32_e32 v24, 31, v24
	v_xor_b32_e32 v28, s20, v28
	v_cmp_gt_i32_e64 s20, 0, v27
	v_and_b32_e32 v22, v22, v26
	v_ashrrev_i32_e32 v25, 31, v25
	v_xor_b32_e32 v24, vcc_lo, v24
	v_mad_u32_u24 v26, v23, 36, v96
	v_mul_u32_u24_e32 v23, 36, v23
	v_and_b32_e32 v22, v22, v28
	v_xor_b32_e32 v25, s20, v25
	ds_read_b32 v129, v26 offset:1056
	v_add_nc_u32_e32 v132, v96, v23
	v_and_b32_e32 v22, v22, v24
	; wave barrier
	v_and_b32_e32 v22, v22, v25
	v_mbcnt_lo_u32_b32 v131, v22, 0
	v_cmp_ne_u32_e64 s20, 0, v22
	v_cmp_eq_u32_e32 vcc_lo, 0, v131
	s_and_b32 s21, s20, vcc_lo
	s_and_saveexec_b32 s20, s21
	s_cbranch_execz .LBB1945_262
; %bb.261:                              ;   in Loop: Header=BB1945_228 Depth=2
	s_waitcnt lgkmcnt(0)
	v_bcnt_u32_b32 v22, v22, v129
	ds_write_b32 v132, v22 offset:1056
.LBB1945_262:                           ;   in Loop: Header=BB1945_228 Depth=2
	s_or_b32 exec_lo, exec_lo, s20
	v_cmp_gt_i16_e32 vcc_lo, 0, v21
	; wave barrier
	v_cndmask_b32_e64 v22, 0x7fff, 0, vcc_lo
	v_xor_b32_e32 v130, v22, v21
	v_cmp_ne_u16_e32 vcc_lo, 0x8000, v130
	v_cndmask_b32_e32 v21, 0x7fff, v130, vcc_lo
	v_lshrrev_b32_sdwa v21, s42, v21 dst_sel:DWORD dst_unused:UNUSED_PAD src0_sel:DWORD src1_sel:WORD_0
	v_and_b32_e32 v22, s43, v21
	v_and_b32_e32 v21, 1, v22
	v_lshlrev_b32_e32 v23, 30, v22
	v_lshlrev_b32_e32 v24, 29, v22
	;; [unrolled: 1-line block ×4, first 2 shown]
	v_add_co_u32 v21, s20, v21, -1
	v_cndmask_b32_e64 v26, 0, 1, s20
	v_not_b32_e32 v134, v23
	v_cmp_gt_i32_e64 s20, 0, v23
	v_not_b32_e32 v23, v24
	v_lshlrev_b32_e32 v28, 26, v22
	v_cmp_ne_u32_e32 vcc_lo, 0, v26
	v_ashrrev_i32_e32 v134, 31, v134
	v_lshlrev_b32_e32 v133, 25, v22
	v_ashrrev_i32_e32 v23, 31, v23
	v_lshlrev_b32_e32 v26, 24, v22
	v_xor_b32_e32 v21, vcc_lo, v21
	v_cmp_gt_i32_e32 vcc_lo, 0, v24
	v_not_b32_e32 v24, v25
	v_xor_b32_e32 v134, s20, v134
	v_cmp_gt_i32_e64 s20, 0, v25
	v_and_b32_e32 v21, exec_lo, v21
	v_not_b32_e32 v25, v27
	v_ashrrev_i32_e32 v24, 31, v24
	v_xor_b32_e32 v23, vcc_lo, v23
	v_cmp_gt_i32_e32 vcc_lo, 0, v27
	v_and_b32_e32 v21, v21, v134
	v_not_b32_e32 v27, v28
	v_ashrrev_i32_e32 v25, 31, v25
	v_xor_b32_e32 v24, s20, v24
	v_cmp_gt_i32_e64 s20, 0, v28
	v_and_b32_e32 v21, v21, v23
	v_not_b32_e32 v23, v133
	v_ashrrev_i32_e32 v27, 31, v27
	v_xor_b32_e32 v25, vcc_lo, v25
	v_cmp_gt_i32_e32 vcc_lo, 0, v133
	v_and_b32_e32 v21, v21, v24
	v_not_b32_e32 v24, v26
	v_ashrrev_i32_e32 v23, 31, v23
	v_xor_b32_e32 v27, s20, v27
	v_cmp_gt_i32_e64 s20, 0, v26
	v_and_b32_e32 v21, v21, v25
	v_ashrrev_i32_e32 v24, 31, v24
	v_xor_b32_e32 v23, vcc_lo, v23
	v_mad_u32_u24 v25, v22, 36, v96
	v_mul_u32_u24_e32 v22, 36, v22
	v_and_b32_e32 v21, v21, v27
	v_xor_b32_e32 v24, s20, v24
	ds_read_b32 v133, v25 offset:1056
	v_add_nc_u32_e32 v135, v96, v22
	v_and_b32_e32 v21, v21, v23
	; wave barrier
	v_and_b32_e32 v21, v21, v24
	v_mbcnt_lo_u32_b32 v134, v21, 0
	v_cmp_ne_u32_e64 s20, 0, v21
	v_cmp_eq_u32_e32 vcc_lo, 0, v134
	s_and_b32 s21, s20, vcc_lo
	s_and_saveexec_b32 s20, s21
	s_cbranch_execz .LBB1945_264
; %bb.263:                              ;   in Loop: Header=BB1945_228 Depth=2
	s_waitcnt lgkmcnt(0)
	v_bcnt_u32_b32 v21, v21, v133
	ds_write_b32 v135, v21 offset:1056
.LBB1945_264:                           ;   in Loop: Header=BB1945_228 Depth=2
	s_or_b32 exec_lo, exec_lo, s20
	; wave barrier
	s_waitcnt lgkmcnt(0)
	s_barrier
	buffer_gl0_inv
	ds_read2_b32 v[27:28], v78 offset1:1
	ds_read2_b32 v[25:26], v88 offset1:1
	;; [unrolled: 1-line block ×4, first 2 shown]
	ds_read_b32 v136, v44 offset:1088
	s_waitcnt lgkmcnt(3)
	v_add3_u32 v137, v28, v27, v25
	s_waitcnt lgkmcnt(2)
	v_add3_u32 v137, v137, v26, v23
	;; [unrolled: 2-line block ×4, first 2 shown]
	v_mov_b32_dpp v137, v136 row_shr:1 row_mask:0xf bank_mask:0xf
	v_cndmask_b32_e64 v137, v137, 0, s5
	v_add_nc_u32_e32 v136, v137, v136
	v_mov_b32_dpp v137, v136 row_shr:2 row_mask:0xf bank_mask:0xf
	v_cndmask_b32_e64 v137, 0, v137, s13
	v_add_nc_u32_e32 v136, v136, v137
	v_mov_b32_dpp v137, v136 row_shr:4 row_mask:0xf bank_mask:0xf
	v_cndmask_b32_e64 v137, 0, v137, s14
	v_add_nc_u32_e32 v136, v136, v137
	v_mov_b32_dpp v137, v136 row_shr:8 row_mask:0xf bank_mask:0xf
	v_cndmask_b32_e64 v137, 0, v137, s15
	v_add_nc_u32_e32 v136, v136, v137
	ds_swizzle_b32 v137, v136 offset:swizzle(BROADCAST,32,15)
	s_waitcnt lgkmcnt(0)
	v_cndmask_b32_e64 v137, v137, 0, s16
	v_add_nc_u32_e32 v136, v136, v137
	s_and_saveexec_b32 s20, s8
; %bb.265:                              ;   in Loop: Header=BB1945_228 Depth=2
	ds_write_b32 v39, v136 offset:1024
; %bb.266:                              ;   in Loop: Header=BB1945_228 Depth=2
	s_or_b32 exec_lo, exec_lo, s20
	s_waitcnt lgkmcnt(0)
	s_barrier
	buffer_gl0_inv
	s_and_saveexec_b32 s20, s9
	s_cbranch_execz .LBB1945_268
; %bb.267:                              ;   in Loop: Header=BB1945_228 Depth=2
	ds_read_b32 v137, v46 offset:1024
	s_waitcnt lgkmcnt(0)
	v_mov_b32_dpp v138, v137 row_shr:1 row_mask:0xf bank_mask:0xf
	v_cndmask_b32_e64 v138, v138, 0, s17
	v_add_nc_u32_e32 v137, v138, v137
	v_mov_b32_dpp v138, v137 row_shr:2 row_mask:0xf bank_mask:0xf
	v_cndmask_b32_e64 v138, 0, v138, s18
	v_add_nc_u32_e32 v137, v137, v138
	;; [unrolled: 3-line block ×3, first 2 shown]
	ds_write_b32 v46, v137 offset:1024
.LBB1945_268:                           ;   in Loop: Header=BB1945_228 Depth=2
	s_or_b32 exec_lo, exec_lo, s20
	v_mov_b32_e32 v137, 0
	s_waitcnt lgkmcnt(0)
	s_barrier
	buffer_gl0_inv
	s_and_saveexec_b32 s20, s10
; %bb.269:                              ;   in Loop: Header=BB1945_228 Depth=2
	ds_read_b32 v137, v39 offset:1020
; %bb.270:                              ;   in Loop: Header=BB1945_228 Depth=2
	s_or_b32 exec_lo, exec_lo, s20
	s_waitcnt lgkmcnt(0)
	v_add_nc_u32_e32 v136, v137, v136
	ds_bpermute_b32 v136, v91, v136
	s_waitcnt lgkmcnt(0)
	v_cndmask_b32_e64 v136, v136, v137, s12
	v_cndmask_b32_e64 v136, v136, 0, s4
	v_add_nc_u32_e32 v27, v136, v27
	v_add_nc_u32_e32 v28, v27, v28
	;; [unrolled: 1-line block ×8, first 2 shown]
	ds_write2_b32 v78, v136, v27 offset1:1
	ds_write2_b32 v88, v28, v25 offset1:1
	;; [unrolled: 1-line block ×4, first 2 shown]
	ds_write_b32 v44, v22 offset:1088
	s_waitcnt lgkmcnt(0)
	s_barrier
	buffer_gl0_inv
	ds_read_b32 v24, v108 offset:1056
	ds_read_b32 v25, v112 offset:1056
	ds_read_b32 v26, v116 offset:1056
	ds_read_b32 v27, v120 offset:1056
	ds_read_b32 v28, v124 offset:1056
	ds_read_b32 v116, v128 offset:1056
	ds_read_b32 v22, v132 offset:1056
	ds_read_b32 v21, v135 offset:1056
	ds_read_b32 v108, v44 offset:1056
	v_mov_b32_e32 v23, 0x800
	s_and_saveexec_b32 s20, s11
; %bb.271:                              ;   in Loop: Header=BB1945_228 Depth=2
	ds_read_b32 v23, v44 offset:1092
; %bb.272:                              ;   in Loop: Header=BB1945_228 Depth=2
	s_or_b32 exec_lo, exec_lo, s20
	s_waitcnt lgkmcnt(0)
	s_barrier
	buffer_gl0_inv
	s_and_saveexec_b32 s20, s7
	s_cbranch_execz .LBB1945_274
; %bb.273:                              ;   in Loop: Header=BB1945_228 Depth=2
	ds_read_b32 v112, v29
	s_waitcnt lgkmcnt(0)
	v_sub_nc_u32_e32 v108, v112, v108
	ds_write_b32 v29, v108
.LBB1945_274:                           ;   in Loop: Header=BB1945_228 Depth=2
	s_or_b32 exec_lo, exec_lo, s20
	v_add_nc_u32_e32 v112, v24, v106
	v_add3_u32 v108, v110, v109, v25
	v_add3_u32 v106, v115, v113, v26
	;; [unrolled: 1-line block ×4, first 2 shown]
	v_lshlrev_b32_e32 v109, 1, v112
	v_lshlrev_b32_e32 v110, 1, v108
	v_add3_u32 v27, v131, v129, v22
	v_lshlrev_b32_e32 v22, 1, v106
	v_add3_u32 v28, v134, v133, v21
	ds_write_b16 v109, v3 offset:1024
	ds_write_b16 v110, v107 offset:1024
	v_lshlrev_b32_e32 v3, 1, v26
	v_add3_u32 v24, v127, v125, v116
	ds_write_b16 v22, v111 offset:1024
	v_lshlrev_b32_e32 v21, 1, v25
	v_cmp_lt_u32_e32 vcc_lo, v0, v105
	ds_write_b16 v3, v114 offset:1024
	v_lshlrev_b32_e32 v3, 1, v28
	v_lshlrev_b32_e32 v22, 1, v24
	;; [unrolled: 1-line block ×3, first 2 shown]
	ds_write_b16 v21, v118 offset:1024
	ds_write_b16 v22, v122 offset:1024
	;; [unrolled: 1-line block ×4, first 2 shown]
	s_waitcnt lgkmcnt(0)
	s_barrier
	buffer_gl0_inv
	s_and_saveexec_b32 s21, vcc_lo
	s_cbranch_execnz .LBB1945_311
; %bb.275:                              ;   in Loop: Header=BB1945_228 Depth=2
	s_or_b32 exec_lo, exec_lo, s21
	v_cmp_lt_u32_e64 s20, v30, v105
	s_and_saveexec_b32 s22, s20
	s_cbranch_execnz .LBB1945_312
.LBB1945_276:                           ;   in Loop: Header=BB1945_228 Depth=2
	s_or_b32 exec_lo, exec_lo, s22
	v_cmp_lt_u32_e64 s21, v31, v105
	s_and_saveexec_b32 s23, s21
	s_cbranch_execnz .LBB1945_313
.LBB1945_277:                           ;   in Loop: Header=BB1945_228 Depth=2
	s_or_b32 exec_lo, exec_lo, s23
	v_cmp_lt_u32_e64 s22, v32, v105
	s_and_saveexec_b32 s24, s22
	s_cbranch_execnz .LBB1945_314
.LBB1945_278:                           ;   in Loop: Header=BB1945_228 Depth=2
	s_or_b32 exec_lo, exec_lo, s24
	v_cmp_lt_u32_e64 s23, v35, v105
	s_and_saveexec_b32 s25, s23
	s_cbranch_execnz .LBB1945_315
.LBB1945_279:                           ;   in Loop: Header=BB1945_228 Depth=2
	s_or_b32 exec_lo, exec_lo, s25
	v_cmp_lt_u32_e64 s24, v36, v105
	s_and_saveexec_b32 s26, s24
	s_cbranch_execnz .LBB1945_316
.LBB1945_280:                           ;   in Loop: Header=BB1945_228 Depth=2
	s_or_b32 exec_lo, exec_lo, s26
	v_cmp_lt_u32_e64 s25, v37, v105
	s_and_saveexec_b32 s28, s25
	s_cbranch_execnz .LBB1945_317
.LBB1945_281:                           ;   in Loop: Header=BB1945_228 Depth=2
	s_or_b32 exec_lo, exec_lo, s28
	v_cmp_lt_u32_e64 s26, v38, v105
	s_and_saveexec_b32 s54, s26
	s_cbranch_execz .LBB1945_283
.LBB1945_282:                           ;   in Loop: Header=BB1945_228 Depth=2
	ds_read_u16 v107, v47 offset:4608
	s_waitcnt lgkmcnt(0)
	v_cmp_ne_u16_e64 s28, 0x8000, v107
	v_cndmask_b32_e64 v3, 0x7fff, v107, s28
	v_cmp_gt_i16_e64 s28, 0, v107
	v_lshrrev_b32_sdwa v3, s42, v3 dst_sel:DWORD dst_unused:UNUSED_PAD src0_sel:DWORD src1_sel:WORD_0
	v_cndmask_b32_e64 v109, 0x7fff, 0, s28
	v_and_b32_e32 v3, s43, v3
	v_lshlrev_b32_e32 v3, 2, v3
	ds_read_b32 v3, v3
	s_waitcnt lgkmcnt(0)
	v_add_nc_u32_e32 v3, v3, v38
	v_lshlrev_b64 v[21:22], 1, v[3:4]
	v_xor_b32_e32 v3, v109, v107
	v_add_co_u32 v21, s28, s40, v21
	v_add_co_ci_u32_e64 v22, null, s41, v22, s28
	global_store_short v[21:22], v3, off
.LBB1945_283:                           ;   in Loop: Header=BB1945_228 Depth=2
	s_or_b32 exec_lo, exec_lo, s54
	s_lshl_b64 s[54:55], s[34:35], 3
	v_add_co_u32 v21, s28, v92, s54
	v_add_co_ci_u32_e64 v22, null, s55, v93, s28
	v_cmp_lt_u32_e64 s28, v66, v105
	s_and_saveexec_b32 s34, s28
	s_xor_b32 s28, exec_lo, s34
	s_cbranch_execnz .LBB1945_318
; %bb.284:                              ;   in Loop: Header=BB1945_228 Depth=2
	s_or_b32 exec_lo, exec_lo, s28
	s_mov_b32 s34, exec_lo
	v_cmpx_lt_u32_e64 v70, v105
	s_cbranch_execnz .LBB1945_319
.LBB1945_285:                           ;   in Loop: Header=BB1945_228 Depth=2
	s_or_b32 exec_lo, exec_lo, s34
	s_mov_b32 s34, exec_lo
	v_cmpx_lt_u32_e64 v71, v105
	s_cbranch_execnz .LBB1945_320
.LBB1945_286:                           ;   in Loop: Header=BB1945_228 Depth=2
	s_or_b32 exec_lo, exec_lo, s34
	s_mov_b32 s34, exec_lo
	v_cmpx_lt_u32_e64 v72, v105
	s_cbranch_execnz .LBB1945_321
.LBB1945_287:                           ;   in Loop: Header=BB1945_228 Depth=2
	s_or_b32 exec_lo, exec_lo, s34
	s_mov_b32 s34, exec_lo
	v_cmpx_lt_u32_e64 v73, v105
	s_cbranch_execnz .LBB1945_322
.LBB1945_288:                           ;   in Loop: Header=BB1945_228 Depth=2
	s_or_b32 exec_lo, exec_lo, s34
	s_mov_b32 s34, exec_lo
	v_cmpx_lt_u32_e64 v74, v105
	s_cbranch_execnz .LBB1945_323
.LBB1945_289:                           ;   in Loop: Header=BB1945_228 Depth=2
	s_or_b32 exec_lo, exec_lo, s34
	s_mov_b32 s34, exec_lo
	v_cmpx_lt_u32_e64 v75, v105
	s_cbranch_execnz .LBB1945_324
.LBB1945_290:                           ;   in Loop: Header=BB1945_228 Depth=2
	s_or_b32 exec_lo, exec_lo, s34
	s_mov_b32 s34, exec_lo
	v_cmpx_lt_u32_e64 v76, v105
	s_cbranch_execnz .LBB1945_325
.LBB1945_291:                           ;   in Loop: Header=BB1945_228 Depth=2
	s_or_b32 exec_lo, exec_lo, s34
	s_and_saveexec_b32 s34, vcc_lo
	s_cbranch_execnz .LBB1945_326
.LBB1945_292:                           ;   in Loop: Header=BB1945_228 Depth=2
	s_or_b32 exec_lo, exec_lo, s34
	s_and_saveexec_b32 s34, s20
	s_cbranch_execnz .LBB1945_327
.LBB1945_293:                           ;   in Loop: Header=BB1945_228 Depth=2
	s_or_b32 exec_lo, exec_lo, s34
	s_and_saveexec_b32 s34, s21
	s_cbranch_execnz .LBB1945_328
.LBB1945_294:                           ;   in Loop: Header=BB1945_228 Depth=2
	s_or_b32 exec_lo, exec_lo, s34
	s_and_saveexec_b32 s34, s22
	s_cbranch_execnz .LBB1945_329
.LBB1945_295:                           ;   in Loop: Header=BB1945_228 Depth=2
	s_or_b32 exec_lo, exec_lo, s34
	s_and_saveexec_b32 s34, s23
	s_cbranch_execnz .LBB1945_330
.LBB1945_296:                           ;   in Loop: Header=BB1945_228 Depth=2
	s_or_b32 exec_lo, exec_lo, s34
	s_and_saveexec_b32 s34, s24
	s_cbranch_execnz .LBB1945_331
.LBB1945_297:                           ;   in Loop: Header=BB1945_228 Depth=2
	s_or_b32 exec_lo, exec_lo, s34
	s_and_saveexec_b32 s34, s25
	s_cbranch_execnz .LBB1945_332
.LBB1945_298:                           ;   in Loop: Header=BB1945_228 Depth=2
	s_or_b32 exec_lo, exec_lo, s34
	s_and_saveexec_b32 s34, s26
	s_cbranch_execz .LBB1945_300
.LBB1945_299:                           ;   in Loop: Header=BB1945_228 Depth=2
	ds_read_u16 v3, v47 offset:4608
	s_waitcnt lgkmcnt(0)
	v_cmp_ne_u16_e64 s28, 0x8000, v3
	v_cndmask_b32_e64 v3, 0x7fff, v3, s28
	v_lshrrev_b32_sdwa v3, s42, v3 dst_sel:DWORD dst_unused:UNUSED_PAD src0_sel:DWORD src1_sel:WORD_0
	v_and_b32_e32 v97, s43, v3
.LBB1945_300:                           ;   in Loop: Header=BB1945_228 Depth=2
	s_or_b32 exec_lo, exec_lo, s34
	v_lshlrev_b32_e32 v3, 3, v112
	v_lshlrev_b32_e32 v21, 3, v108
	;; [unrolled: 1-line block ×3, first 2 shown]
	s_waitcnt vmcnt(0)
	s_waitcnt_vscnt null, 0x0
	s_barrier
	buffer_gl0_inv
	ds_write_b64 v3, v[19:20] offset:1024
	ds_write_b64 v21, v[17:18] offset:1024
	;; [unrolled: 1-line block ×3, first 2 shown]
	v_lshlrev_b32_e32 v3, 3, v26
	v_lshlrev_b32_e32 v21, 3, v25
	;; [unrolled: 1-line block ×5, first 2 shown]
	ds_write_b64 v3, v[13:14] offset:1024
	ds_write_b64 v21, v[11:12] offset:1024
	;; [unrolled: 1-line block ×5, first 2 shown]
	s_waitcnt lgkmcnt(0)
	s_barrier
	buffer_gl0_inv
	s_and_saveexec_b32 s28, vcc_lo
	s_cbranch_execnz .LBB1945_333
; %bb.301:                              ;   in Loop: Header=BB1945_228 Depth=2
	s_or_b32 exec_lo, exec_lo, s28
	s_and_saveexec_b32 s28, s20
	s_cbranch_execnz .LBB1945_334
.LBB1945_302:                           ;   in Loop: Header=BB1945_228 Depth=2
	s_or_b32 exec_lo, exec_lo, s28
	s_and_saveexec_b32 s20, s21
	s_cbranch_execnz .LBB1945_335
.LBB1945_303:                           ;   in Loop: Header=BB1945_228 Depth=2
	s_or_b32 exec_lo, exec_lo, s20
	s_and_saveexec_b32 s20, s22
	s_cbranch_execnz .LBB1945_336
.LBB1945_304:                           ;   in Loop: Header=BB1945_228 Depth=2
	s_or_b32 exec_lo, exec_lo, s20
	s_and_saveexec_b32 s20, s23
	s_cbranch_execnz .LBB1945_337
.LBB1945_305:                           ;   in Loop: Header=BB1945_228 Depth=2
	s_or_b32 exec_lo, exec_lo, s20
	s_and_saveexec_b32 s20, s24
	s_cbranch_execnz .LBB1945_338
.LBB1945_306:                           ;   in Loop: Header=BB1945_228 Depth=2
	s_or_b32 exec_lo, exec_lo, s20
	s_and_saveexec_b32 s20, s25
	s_cbranch_execnz .LBB1945_339
.LBB1945_307:                           ;   in Loop: Header=BB1945_228 Depth=2
	s_or_b32 exec_lo, exec_lo, s20
	s_and_saveexec_b32 s20, s26
	s_cbranch_execz .LBB1945_309
.LBB1945_308:                           ;   in Loop: Header=BB1945_228 Depth=2
	v_lshlrev_b32_e32 v3, 2, v97
	v_add_nc_u32_e32 v21, v47, v48
	ds_read_b32 v3, v3
	ds_read_b64 v[21:22], v21 offset:15360
	s_waitcnt lgkmcnt(1)
	v_add_nc_u32_e32 v3, v3, v38
	v_lshlrev_b64 v[24:25], 3, v[3:4]
	v_add_co_u32 v24, vcc_lo, s46, v24
	v_add_co_ci_u32_e64 v25, null, s47, v25, vcc_lo
	s_waitcnt lgkmcnt(0)
	global_store_dwordx2 v[24:25], v[21:22], off
.LBB1945_309:                           ;   in Loop: Header=BB1945_228 Depth=2
	s_or_b32 exec_lo, exec_lo, s20
	s_waitcnt_vscnt null, 0x0
	s_barrier
	buffer_gl0_inv
	s_and_saveexec_b32 s20, s7
	s_cbranch_execz .LBB1945_227
; %bb.310:                              ;   in Loop: Header=BB1945_228 Depth=2
	ds_read_b32 v3, v29
	s_waitcnt lgkmcnt(0)
	v_add_nc_u32_e32 v3, v3, v23
	ds_write_b32 v29, v3
	s_branch .LBB1945_227
.LBB1945_311:                           ;   in Loop: Header=BB1945_228 Depth=2
	ds_read_u16 v107, v47 offset:1024
	s_waitcnt lgkmcnt(0)
	v_cmp_ne_u16_e64 s20, 0x8000, v107
	v_cndmask_b32_e64 v3, 0x7fff, v107, s20
	v_cmp_gt_i16_e64 s20, 0, v107
	v_lshrrev_b32_sdwa v3, s42, v3 dst_sel:DWORD dst_unused:UNUSED_PAD src0_sel:DWORD src1_sel:WORD_0
	v_cndmask_b32_e64 v109, 0x7fff, 0, s20
	v_and_b32_e32 v3, s43, v3
	v_lshlrev_b32_e32 v3, 2, v3
	ds_read_b32 v3, v3
	s_waitcnt lgkmcnt(0)
	v_add_nc_u32_e32 v3, v3, v0
	v_lshlrev_b64 v[21:22], 1, v[3:4]
	v_xor_b32_e32 v3, v109, v107
	v_add_co_u32 v21, s20, s40, v21
	v_add_co_ci_u32_e64 v22, null, s41, v22, s20
	global_store_short v[21:22], v3, off
	s_or_b32 exec_lo, exec_lo, s21
	v_cmp_lt_u32_e64 s20, v30, v105
	s_and_saveexec_b32 s22, s20
	s_cbranch_execz .LBB1945_276
.LBB1945_312:                           ;   in Loop: Header=BB1945_228 Depth=2
	ds_read_u16 v107, v47 offset:1536
	s_waitcnt lgkmcnt(0)
	v_cmp_ne_u16_e64 s21, 0x8000, v107
	v_cndmask_b32_e64 v3, 0x7fff, v107, s21
	v_cmp_gt_i16_e64 s21, 0, v107
	v_lshrrev_b32_sdwa v3, s42, v3 dst_sel:DWORD dst_unused:UNUSED_PAD src0_sel:DWORD src1_sel:WORD_0
	v_cndmask_b32_e64 v109, 0x7fff, 0, s21
	v_and_b32_e32 v3, s43, v3
	v_lshlrev_b32_e32 v3, 2, v3
	ds_read_b32 v3, v3
	s_waitcnt lgkmcnt(0)
	v_add_nc_u32_e32 v3, v3, v30
	v_lshlrev_b64 v[21:22], 1, v[3:4]
	v_xor_b32_e32 v3, v109, v107
	v_add_co_u32 v21, s21, s40, v21
	v_add_co_ci_u32_e64 v22, null, s41, v22, s21
	global_store_short v[21:22], v3, off
	s_or_b32 exec_lo, exec_lo, s22
	v_cmp_lt_u32_e64 s21, v31, v105
	s_and_saveexec_b32 s23, s21
	s_cbranch_execz .LBB1945_277
.LBB1945_313:                           ;   in Loop: Header=BB1945_228 Depth=2
	ds_read_u16 v107, v47 offset:2048
	s_waitcnt lgkmcnt(0)
	v_cmp_ne_u16_e64 s22, 0x8000, v107
	v_cndmask_b32_e64 v3, 0x7fff, v107, s22
	v_cmp_gt_i16_e64 s22, 0, v107
	v_lshrrev_b32_sdwa v3, s42, v3 dst_sel:DWORD dst_unused:UNUSED_PAD src0_sel:DWORD src1_sel:WORD_0
	v_cndmask_b32_e64 v109, 0x7fff, 0, s22
	v_and_b32_e32 v3, s43, v3
	v_lshlrev_b32_e32 v3, 2, v3
	ds_read_b32 v3, v3
	s_waitcnt lgkmcnt(0)
	v_add_nc_u32_e32 v3, v3, v31
	v_lshlrev_b64 v[21:22], 1, v[3:4]
	v_xor_b32_e32 v3, v109, v107
	v_add_co_u32 v21, s22, s40, v21
	v_add_co_ci_u32_e64 v22, null, s41, v22, s22
	global_store_short v[21:22], v3, off
	s_or_b32 exec_lo, exec_lo, s23
	v_cmp_lt_u32_e64 s22, v32, v105
	s_and_saveexec_b32 s24, s22
	s_cbranch_execz .LBB1945_278
.LBB1945_314:                           ;   in Loop: Header=BB1945_228 Depth=2
	ds_read_u16 v107, v47 offset:2560
	s_waitcnt lgkmcnt(0)
	v_cmp_ne_u16_e64 s23, 0x8000, v107
	v_cndmask_b32_e64 v3, 0x7fff, v107, s23
	v_cmp_gt_i16_e64 s23, 0, v107
	v_lshrrev_b32_sdwa v3, s42, v3 dst_sel:DWORD dst_unused:UNUSED_PAD src0_sel:DWORD src1_sel:WORD_0
	v_cndmask_b32_e64 v109, 0x7fff, 0, s23
	v_and_b32_e32 v3, s43, v3
	v_lshlrev_b32_e32 v3, 2, v3
	ds_read_b32 v3, v3
	s_waitcnt lgkmcnt(0)
	v_add_nc_u32_e32 v3, v3, v32
	v_lshlrev_b64 v[21:22], 1, v[3:4]
	v_xor_b32_e32 v3, v109, v107
	v_add_co_u32 v21, s23, s40, v21
	v_add_co_ci_u32_e64 v22, null, s41, v22, s23
	global_store_short v[21:22], v3, off
	s_or_b32 exec_lo, exec_lo, s24
	v_cmp_lt_u32_e64 s23, v35, v105
	s_and_saveexec_b32 s25, s23
	s_cbranch_execz .LBB1945_279
.LBB1945_315:                           ;   in Loop: Header=BB1945_228 Depth=2
	ds_read_u16 v107, v47 offset:3072
	s_waitcnt lgkmcnt(0)
	v_cmp_ne_u16_e64 s24, 0x8000, v107
	v_cndmask_b32_e64 v3, 0x7fff, v107, s24
	v_cmp_gt_i16_e64 s24, 0, v107
	v_lshrrev_b32_sdwa v3, s42, v3 dst_sel:DWORD dst_unused:UNUSED_PAD src0_sel:DWORD src1_sel:WORD_0
	v_cndmask_b32_e64 v109, 0x7fff, 0, s24
	v_and_b32_e32 v3, s43, v3
	v_lshlrev_b32_e32 v3, 2, v3
	ds_read_b32 v3, v3
	s_waitcnt lgkmcnt(0)
	v_add_nc_u32_e32 v3, v3, v35
	v_lshlrev_b64 v[21:22], 1, v[3:4]
	v_xor_b32_e32 v3, v109, v107
	v_add_co_u32 v21, s24, s40, v21
	v_add_co_ci_u32_e64 v22, null, s41, v22, s24
	global_store_short v[21:22], v3, off
	s_or_b32 exec_lo, exec_lo, s25
	v_cmp_lt_u32_e64 s24, v36, v105
	s_and_saveexec_b32 s26, s24
	s_cbranch_execz .LBB1945_280
.LBB1945_316:                           ;   in Loop: Header=BB1945_228 Depth=2
	ds_read_u16 v107, v47 offset:3584
	s_waitcnt lgkmcnt(0)
	v_cmp_ne_u16_e64 s25, 0x8000, v107
	v_cndmask_b32_e64 v3, 0x7fff, v107, s25
	v_cmp_gt_i16_e64 s25, 0, v107
	v_lshrrev_b32_sdwa v3, s42, v3 dst_sel:DWORD dst_unused:UNUSED_PAD src0_sel:DWORD src1_sel:WORD_0
	v_cndmask_b32_e64 v109, 0x7fff, 0, s25
	v_and_b32_e32 v3, s43, v3
	v_lshlrev_b32_e32 v3, 2, v3
	ds_read_b32 v3, v3
	s_waitcnt lgkmcnt(0)
	v_add_nc_u32_e32 v3, v3, v36
	v_lshlrev_b64 v[21:22], 1, v[3:4]
	v_xor_b32_e32 v3, v109, v107
	v_add_co_u32 v21, s25, s40, v21
	v_add_co_ci_u32_e64 v22, null, s41, v22, s25
	global_store_short v[21:22], v3, off
	s_or_b32 exec_lo, exec_lo, s26
	v_cmp_lt_u32_e64 s25, v37, v105
	s_and_saveexec_b32 s28, s25
	s_cbranch_execz .LBB1945_281
.LBB1945_317:                           ;   in Loop: Header=BB1945_228 Depth=2
	ds_read_u16 v107, v47 offset:4096
	s_waitcnt lgkmcnt(0)
	v_cmp_ne_u16_e64 s26, 0x8000, v107
	v_cndmask_b32_e64 v3, 0x7fff, v107, s26
	v_cmp_gt_i16_e64 s26, 0, v107
	v_lshrrev_b32_sdwa v3, s42, v3 dst_sel:DWORD dst_unused:UNUSED_PAD src0_sel:DWORD src1_sel:WORD_0
	v_cndmask_b32_e64 v109, 0x7fff, 0, s26
	v_and_b32_e32 v3, s43, v3
	v_lshlrev_b32_e32 v3, 2, v3
	ds_read_b32 v3, v3
	s_waitcnt lgkmcnt(0)
	v_add_nc_u32_e32 v3, v3, v37
	v_lshlrev_b64 v[21:22], 1, v[3:4]
	v_xor_b32_e32 v3, v109, v107
	v_add_co_u32 v21, s26, s40, v21
	v_add_co_ci_u32_e64 v22, null, s41, v22, s26
	global_store_short v[21:22], v3, off
	s_or_b32 exec_lo, exec_lo, s28
	v_cmp_lt_u32_e64 s26, v38, v105
	s_and_saveexec_b32 s54, s26
	s_cbranch_execnz .LBB1945_282
	s_branch .LBB1945_283
.LBB1945_318:                           ;   in Loop: Header=BB1945_228 Depth=2
	global_load_dwordx2 v[19:20], v[21:22], off
	s_or_b32 exec_lo, exec_lo, s28
	s_mov_b32 s34, exec_lo
	v_cmpx_lt_u32_e64 v70, v105
	s_cbranch_execz .LBB1945_285
.LBB1945_319:                           ;   in Loop: Header=BB1945_228 Depth=2
	global_load_dwordx2 v[17:18], v[21:22], off offset:256
	s_or_b32 exec_lo, exec_lo, s34
	s_mov_b32 s34, exec_lo
	v_cmpx_lt_u32_e64 v71, v105
	s_cbranch_execz .LBB1945_286
.LBB1945_320:                           ;   in Loop: Header=BB1945_228 Depth=2
	global_load_dwordx2 v[15:16], v[21:22], off offset:512
	s_or_b32 exec_lo, exec_lo, s34
	s_mov_b32 s34, exec_lo
	v_cmpx_lt_u32_e64 v72, v105
	s_cbranch_execz .LBB1945_287
.LBB1945_321:                           ;   in Loop: Header=BB1945_228 Depth=2
	global_load_dwordx2 v[13:14], v[21:22], off offset:768
	s_or_b32 exec_lo, exec_lo, s34
	s_mov_b32 s34, exec_lo
	v_cmpx_lt_u32_e64 v73, v105
	s_cbranch_execz .LBB1945_288
.LBB1945_322:                           ;   in Loop: Header=BB1945_228 Depth=2
	global_load_dwordx2 v[11:12], v[21:22], off offset:1024
	s_or_b32 exec_lo, exec_lo, s34
	s_mov_b32 s34, exec_lo
	v_cmpx_lt_u32_e64 v74, v105
	s_cbranch_execz .LBB1945_289
.LBB1945_323:                           ;   in Loop: Header=BB1945_228 Depth=2
	global_load_dwordx2 v[9:10], v[21:22], off offset:1280
	s_or_b32 exec_lo, exec_lo, s34
	s_mov_b32 s34, exec_lo
	v_cmpx_lt_u32_e64 v75, v105
	s_cbranch_execz .LBB1945_290
.LBB1945_324:                           ;   in Loop: Header=BB1945_228 Depth=2
	global_load_dwordx2 v[7:8], v[21:22], off offset:1536
	s_or_b32 exec_lo, exec_lo, s34
	s_mov_b32 s34, exec_lo
	v_cmpx_lt_u32_e64 v76, v105
	s_cbranch_execz .LBB1945_291
.LBB1945_325:                           ;   in Loop: Header=BB1945_228 Depth=2
	global_load_dwordx2 v[5:6], v[21:22], off offset:1792
	s_or_b32 exec_lo, exec_lo, s34
	s_and_saveexec_b32 s34, vcc_lo
	s_cbranch_execz .LBB1945_292
.LBB1945_326:                           ;   in Loop: Header=BB1945_228 Depth=2
	ds_read_u16 v3, v47 offset:1024
	s_waitcnt lgkmcnt(0)
	v_cmp_ne_u16_e64 s28, 0x8000, v3
	v_cndmask_b32_e64 v3, 0x7fff, v3, s28
	v_lshrrev_b32_sdwa v3, s42, v3 dst_sel:DWORD dst_unused:UNUSED_PAD src0_sel:DWORD src1_sel:WORD_0
	v_and_b32_e32 v104, s43, v3
	s_or_b32 exec_lo, exec_lo, s34
	s_and_saveexec_b32 s34, s20
	s_cbranch_execz .LBB1945_293
.LBB1945_327:                           ;   in Loop: Header=BB1945_228 Depth=2
	ds_read_u16 v3, v47 offset:1536
	s_waitcnt lgkmcnt(0)
	v_cmp_ne_u16_e64 s28, 0x8000, v3
	v_cndmask_b32_e64 v3, 0x7fff, v3, s28
	v_lshrrev_b32_sdwa v3, s42, v3 dst_sel:DWORD dst_unused:UNUSED_PAD src0_sel:DWORD src1_sel:WORD_0
	v_and_b32_e32 v103, s43, v3
	s_or_b32 exec_lo, exec_lo, s34
	s_and_saveexec_b32 s34, s21
	s_cbranch_execz .LBB1945_294
.LBB1945_328:                           ;   in Loop: Header=BB1945_228 Depth=2
	ds_read_u16 v3, v47 offset:2048
	s_waitcnt lgkmcnt(0)
	v_cmp_ne_u16_e64 s28, 0x8000, v3
	v_cndmask_b32_e64 v3, 0x7fff, v3, s28
	v_lshrrev_b32_sdwa v3, s42, v3 dst_sel:DWORD dst_unused:UNUSED_PAD src0_sel:DWORD src1_sel:WORD_0
	v_and_b32_e32 v102, s43, v3
	s_or_b32 exec_lo, exec_lo, s34
	s_and_saveexec_b32 s34, s22
	s_cbranch_execz .LBB1945_295
.LBB1945_329:                           ;   in Loop: Header=BB1945_228 Depth=2
	ds_read_u16 v3, v47 offset:2560
	s_waitcnt lgkmcnt(0)
	v_cmp_ne_u16_e64 s28, 0x8000, v3
	v_cndmask_b32_e64 v3, 0x7fff, v3, s28
	v_lshrrev_b32_sdwa v3, s42, v3 dst_sel:DWORD dst_unused:UNUSED_PAD src0_sel:DWORD src1_sel:WORD_0
	v_and_b32_e32 v101, s43, v3
	s_or_b32 exec_lo, exec_lo, s34
	s_and_saveexec_b32 s34, s23
	s_cbranch_execz .LBB1945_296
.LBB1945_330:                           ;   in Loop: Header=BB1945_228 Depth=2
	ds_read_u16 v3, v47 offset:3072
	s_waitcnt lgkmcnt(0)
	v_cmp_ne_u16_e64 s28, 0x8000, v3
	v_cndmask_b32_e64 v3, 0x7fff, v3, s28
	v_lshrrev_b32_sdwa v3, s42, v3 dst_sel:DWORD dst_unused:UNUSED_PAD src0_sel:DWORD src1_sel:WORD_0
	v_and_b32_e32 v100, s43, v3
	s_or_b32 exec_lo, exec_lo, s34
	s_and_saveexec_b32 s34, s24
	s_cbranch_execz .LBB1945_297
.LBB1945_331:                           ;   in Loop: Header=BB1945_228 Depth=2
	ds_read_u16 v3, v47 offset:3584
	s_waitcnt lgkmcnt(0)
	v_cmp_ne_u16_e64 s28, 0x8000, v3
	v_cndmask_b32_e64 v3, 0x7fff, v3, s28
	v_lshrrev_b32_sdwa v3, s42, v3 dst_sel:DWORD dst_unused:UNUSED_PAD src0_sel:DWORD src1_sel:WORD_0
	v_and_b32_e32 v99, s43, v3
	s_or_b32 exec_lo, exec_lo, s34
	s_and_saveexec_b32 s34, s25
	s_cbranch_execz .LBB1945_298
.LBB1945_332:                           ;   in Loop: Header=BB1945_228 Depth=2
	ds_read_u16 v3, v47 offset:4096
	s_waitcnt lgkmcnt(0)
	v_cmp_ne_u16_e64 s28, 0x8000, v3
	v_cndmask_b32_e64 v3, 0x7fff, v3, s28
	v_lshrrev_b32_sdwa v3, s42, v3 dst_sel:DWORD dst_unused:UNUSED_PAD src0_sel:DWORD src1_sel:WORD_0
	v_and_b32_e32 v98, s43, v3
	s_or_b32 exec_lo, exec_lo, s34
	s_and_saveexec_b32 s34, s26
	s_cbranch_execnz .LBB1945_299
	s_branch .LBB1945_300
.LBB1945_333:                           ;   in Loop: Header=BB1945_228 Depth=2
	v_lshlrev_b32_e32 v3, 2, v104
	v_add_nc_u32_e32 v21, v47, v48
	ds_read_b32 v3, v3
	ds_read_b64 v[21:22], v21 offset:1024
	s_waitcnt lgkmcnt(1)
	v_add_nc_u32_e32 v3, v3, v0
	v_lshlrev_b64 v[24:25], 3, v[3:4]
	v_add_co_u32 v24, vcc_lo, s46, v24
	v_add_co_ci_u32_e64 v25, null, s47, v25, vcc_lo
	s_waitcnt lgkmcnt(0)
	global_store_dwordx2 v[24:25], v[21:22], off
	s_or_b32 exec_lo, exec_lo, s28
	s_and_saveexec_b32 s28, s20
	s_cbranch_execz .LBB1945_302
.LBB1945_334:                           ;   in Loop: Header=BB1945_228 Depth=2
	v_lshlrev_b32_e32 v3, 2, v103
	v_add_nc_u32_e32 v21, v47, v48
	ds_read_b32 v3, v3
	ds_read_b64 v[21:22], v21 offset:3072
	s_waitcnt lgkmcnt(1)
	v_add_nc_u32_e32 v3, v3, v30
	v_lshlrev_b64 v[24:25], 3, v[3:4]
	v_add_co_u32 v24, vcc_lo, s46, v24
	v_add_co_ci_u32_e64 v25, null, s47, v25, vcc_lo
	s_waitcnt lgkmcnt(0)
	global_store_dwordx2 v[24:25], v[21:22], off
	s_or_b32 exec_lo, exec_lo, s28
	s_and_saveexec_b32 s20, s21
	s_cbranch_execz .LBB1945_303
.LBB1945_335:                           ;   in Loop: Header=BB1945_228 Depth=2
	v_lshlrev_b32_e32 v3, 2, v102
	v_add_nc_u32_e32 v21, v47, v48
	ds_read_b32 v3, v3
	ds_read_b64 v[21:22], v21 offset:5120
	s_waitcnt lgkmcnt(1)
	v_add_nc_u32_e32 v3, v3, v31
	v_lshlrev_b64 v[24:25], 3, v[3:4]
	v_add_co_u32 v24, vcc_lo, s46, v24
	v_add_co_ci_u32_e64 v25, null, s47, v25, vcc_lo
	s_waitcnt lgkmcnt(0)
	global_store_dwordx2 v[24:25], v[21:22], off
	s_or_b32 exec_lo, exec_lo, s20
	s_and_saveexec_b32 s20, s22
	s_cbranch_execz .LBB1945_304
.LBB1945_336:                           ;   in Loop: Header=BB1945_228 Depth=2
	v_lshlrev_b32_e32 v3, 2, v101
	v_add_nc_u32_e32 v21, v47, v48
	ds_read_b32 v3, v3
	ds_read_b64 v[21:22], v21 offset:7168
	s_waitcnt lgkmcnt(1)
	v_add_nc_u32_e32 v3, v3, v32
	v_lshlrev_b64 v[24:25], 3, v[3:4]
	v_add_co_u32 v24, vcc_lo, s46, v24
	v_add_co_ci_u32_e64 v25, null, s47, v25, vcc_lo
	s_waitcnt lgkmcnt(0)
	global_store_dwordx2 v[24:25], v[21:22], off
	s_or_b32 exec_lo, exec_lo, s20
	s_and_saveexec_b32 s20, s23
	s_cbranch_execz .LBB1945_305
.LBB1945_337:                           ;   in Loop: Header=BB1945_228 Depth=2
	v_lshlrev_b32_e32 v3, 2, v100
	v_add_nc_u32_e32 v21, v47, v48
	ds_read_b32 v3, v3
	ds_read_b64 v[21:22], v21 offset:9216
	s_waitcnt lgkmcnt(1)
	v_add_nc_u32_e32 v3, v3, v35
	v_lshlrev_b64 v[24:25], 3, v[3:4]
	v_add_co_u32 v24, vcc_lo, s46, v24
	v_add_co_ci_u32_e64 v25, null, s47, v25, vcc_lo
	s_waitcnt lgkmcnt(0)
	global_store_dwordx2 v[24:25], v[21:22], off
	s_or_b32 exec_lo, exec_lo, s20
	s_and_saveexec_b32 s20, s24
	s_cbranch_execz .LBB1945_306
.LBB1945_338:                           ;   in Loop: Header=BB1945_228 Depth=2
	v_lshlrev_b32_e32 v3, 2, v99
	v_add_nc_u32_e32 v21, v47, v48
	ds_read_b32 v3, v3
	ds_read_b64 v[21:22], v21 offset:11264
	s_waitcnt lgkmcnt(1)
	v_add_nc_u32_e32 v3, v3, v36
	v_lshlrev_b64 v[24:25], 3, v[3:4]
	v_add_co_u32 v24, vcc_lo, s46, v24
	v_add_co_ci_u32_e64 v25, null, s47, v25, vcc_lo
	s_waitcnt lgkmcnt(0)
	global_store_dwordx2 v[24:25], v[21:22], off
	s_or_b32 exec_lo, exec_lo, s20
	s_and_saveexec_b32 s20, s25
	s_cbranch_execz .LBB1945_307
.LBB1945_339:                           ;   in Loop: Header=BB1945_228 Depth=2
	v_lshlrev_b32_e32 v3, 2, v98
	v_add_nc_u32_e32 v21, v47, v48
	ds_read_b32 v3, v3
	ds_read_b64 v[21:22], v21 offset:13312
	s_waitcnt lgkmcnt(1)
	v_add_nc_u32_e32 v3, v3, v37
	v_lshlrev_b64 v[24:25], 3, v[3:4]
	v_add_co_u32 v24, vcc_lo, s46, v24
	v_add_co_ci_u32_e64 v25, null, s47, v25, vcc_lo
	s_waitcnt lgkmcnt(0)
	global_store_dwordx2 v[24:25], v[21:22], off
	s_or_b32 exec_lo, exec_lo, s20
	s_and_saveexec_b32 s20, s26
	s_cbranch_execnz .LBB1945_308
	s_branch .LBB1945_309
.LBB1945_340:                           ;   in Loop: Header=BB1945_12 Depth=1
	s_waitcnt lgkmcnt(0)
	s_barrier
.LBB1945_341:                           ;   in Loop: Header=BB1945_12 Depth=1
	s_mov_b32 s5, 0
.LBB1945_342:                           ;   in Loop: Header=BB1945_12 Depth=1
	s_andn2_b32 vcc_lo, exec_lo, s5
	s_cbranch_vccnz .LBB1945_11
; %bb.343:                              ;   in Loop: Header=BB1945_12 Depth=1
	s_and_b32 vcc_lo, exec_lo, s51
	s_mov_b32 s5, -1
	s_cbranch_vccz .LBB1945_507
; %bb.344:                              ;   in Loop: Header=BB1945_12 Depth=1
	s_mov_b32 s5, s52
	s_mov_b32 s34, s29
	s_barrier
	buffer_gl0_inv
                                        ; implicit-def: $vgpr3
                                        ; implicit-def: $vgpr5
                                        ; implicit-def: $vgpr6
                                        ; implicit-def: $vgpr7
                                        ; implicit-def: $vgpr8
                                        ; implicit-def: $vgpr9
                                        ; implicit-def: $vgpr10
                                        ; implicit-def: $vgpr11
	s_branch .LBB1945_346
.LBB1945_345:                           ;   in Loop: Header=BB1945_346 Depth=2
	s_or_b32 exec_lo, exec_lo, s14
	s_addk_i32 s5, 0xf800
	s_cmp_ge_u32 s13, s33
	s_mov_b32 s34, s13
	s_cbranch_scc1 .LBB1945_382
.LBB1945_346:                           ;   Parent Loop BB1945_12 Depth=1
                                        ; =>  This Inner Loop Header: Depth=2
	s_add_i32 s13, s34, 0x800
	s_mov_b32 s14, -1
	s_cmp_gt_u32 s13, s33
                                        ; implicit-def: $vgpr12
                                        ; implicit-def: $vgpr13
                                        ; implicit-def: $vgpr14
                                        ; implicit-def: $vgpr15
                                        ; implicit-def: $vgpr16
                                        ; implicit-def: $vgpr17
                                        ; implicit-def: $vgpr18
                                        ; implicit-def: $vgpr19
	s_cbranch_scc1 .LBB1945_348
; %bb.347:                              ;   in Loop: Header=BB1945_346 Depth=2
	s_lshl_b64 s[14:15], s[34:35], 1
	v_add_co_u32 v15, vcc_lo, v55, s14
	v_add_co_ci_u32_e64 v16, null, s15, v56, vcc_lo
	s_mov_b32 s14, 0
	v_add_co_u32 v19, vcc_lo, 0x800, v15
	v_add_co_ci_u32_e64 v20, null, 0, v16, vcc_lo
	s_clause 0x7
	global_load_ushort v12, v[15:16], off
	global_load_ushort v13, v[15:16], off offset:512
	global_load_ushort v14, v[15:16], off offset:1024
	;; [unrolled: 1-line block ×3, first 2 shown]
	global_load_ushort v16, v[19:20], off
	global_load_ushort v17, v[19:20], off offset:512
	global_load_ushort v18, v[19:20], off offset:1024
	;; [unrolled: 1-line block ×3, first 2 shown]
.LBB1945_348:                           ;   in Loop: Header=BB1945_346 Depth=2
	s_andn2_b32 vcc_lo, exec_lo, s14
	s_movk_i32 s14, 0x800
	s_cbranch_vccnz .LBB1945_359
; %bb.349:                              ;   in Loop: Header=BB1945_346 Depth=2
	s_lshl_b64 s[14:15], s[34:35], 1
	s_mov_b32 s16, exec_lo
	s_add_u32 s14, s36, s14
	s_addc_u32 s15, s37, s15
	v_cmpx_gt_u32_e64 s5, v0
	s_cbranch_execnz .LBB1945_375
; %bb.350:                              ;   in Loop: Header=BB1945_346 Depth=2
	s_or_b32 exec_lo, exec_lo, s16
	s_mov_b32 s16, exec_lo
	v_cmpx_gt_u32_e64 s5, v30
	s_cbranch_execnz .LBB1945_376
.LBB1945_351:                           ;   in Loop: Header=BB1945_346 Depth=2
	s_or_b32 exec_lo, exec_lo, s16
	s_mov_b32 s16, exec_lo
	v_cmpx_gt_u32_e64 s5, v31
	s_cbranch_execnz .LBB1945_377
.LBB1945_352:                           ;   in Loop: Header=BB1945_346 Depth=2
	s_or_b32 exec_lo, exec_lo, s16
	s_mov_b32 s16, exec_lo
	v_cmpx_gt_u32_e64 s5, v32
	s_cbranch_execnz .LBB1945_378
.LBB1945_353:                           ;   in Loop: Header=BB1945_346 Depth=2
	s_or_b32 exec_lo, exec_lo, s16
	s_mov_b32 s16, exec_lo
	v_cmpx_gt_u32_e64 s5, v35
	s_cbranch_execnz .LBB1945_379
.LBB1945_354:                           ;   in Loop: Header=BB1945_346 Depth=2
	s_or_b32 exec_lo, exec_lo, s16
	s_mov_b32 s16, exec_lo
	v_cmpx_gt_u32_e64 s5, v36
	s_cbranch_execnz .LBB1945_380
.LBB1945_355:                           ;   in Loop: Header=BB1945_346 Depth=2
	s_or_b32 exec_lo, exec_lo, s16
	s_mov_b32 s16, exec_lo
	v_cmpx_gt_u32_e64 s5, v37
	s_cbranch_execnz .LBB1945_381
.LBB1945_356:                           ;   in Loop: Header=BB1945_346 Depth=2
	s_or_b32 exec_lo, exec_lo, s16
	s_mov_b32 s16, exec_lo
	v_cmpx_gt_u32_e64 s5, v38
	s_cbranch_execz .LBB1945_358
.LBB1945_357:                           ;   in Loop: Header=BB1945_346 Depth=2
	global_load_ushort v3, v87, s[14:15]
.LBB1945_358:                           ;   in Loop: Header=BB1945_346 Depth=2
	s_or_b32 exec_lo, exec_lo, s16
	s_waitcnt vmcnt(0)
	v_mov_b32_e32 v12, v11
	v_mov_b32_e32 v13, v10
	;; [unrolled: 1-line block ×8, first 2 shown]
	s_mov_b32 s14, s5
.LBB1945_359:                           ;   in Loop: Header=BB1945_346 Depth=2
	s_waitcnt vmcnt(0)
	v_mov_b32_e32 v3, v19
	v_mov_b32_e32 v5, v18
	;; [unrolled: 1-line block ×8, first 2 shown]
	s_mov_b32 s15, exec_lo
	v_cmpx_gt_u32_e64 s14, v0
	s_cbranch_execnz .LBB1945_367
; %bb.360:                              ;   in Loop: Header=BB1945_346 Depth=2
	s_or_b32 exec_lo, exec_lo, s15
	s_mov_b32 s15, exec_lo
	v_cmpx_gt_u32_e64 s14, v30
	s_cbranch_execnz .LBB1945_368
.LBB1945_361:                           ;   in Loop: Header=BB1945_346 Depth=2
	s_or_b32 exec_lo, exec_lo, s15
	s_mov_b32 s15, exec_lo
	v_cmpx_gt_u32_e64 s14, v31
	s_cbranch_execnz .LBB1945_369
.LBB1945_362:                           ;   in Loop: Header=BB1945_346 Depth=2
	s_or_b32 exec_lo, exec_lo, s15
	s_mov_b32 s15, exec_lo
	v_cmpx_gt_u32_e64 s14, v32
	s_cbranch_execnz .LBB1945_370
.LBB1945_363:                           ;   in Loop: Header=BB1945_346 Depth=2
	s_or_b32 exec_lo, exec_lo, s15
	s_mov_b32 s15, exec_lo
	v_cmpx_gt_u32_e64 s14, v35
	s_cbranch_execnz .LBB1945_371
.LBB1945_364:                           ;   in Loop: Header=BB1945_346 Depth=2
	s_or_b32 exec_lo, exec_lo, s15
	s_mov_b32 s15, exec_lo
	v_cmpx_gt_u32_e64 s14, v36
	s_cbranch_execnz .LBB1945_372
.LBB1945_365:                           ;   in Loop: Header=BB1945_346 Depth=2
	s_or_b32 exec_lo, exec_lo, s15
	s_mov_b32 s15, exec_lo
	v_cmpx_gt_u32_e64 s14, v37
	s_cbranch_execnz .LBB1945_373
.LBB1945_366:                           ;   in Loop: Header=BB1945_346 Depth=2
	s_or_b32 exec_lo, exec_lo, s15
	v_cmp_gt_u32_e32 vcc_lo, s14, v38
	s_and_saveexec_b32 s14, vcc_lo
	s_cbranch_execz .LBB1945_345
	s_branch .LBB1945_374
.LBB1945_367:                           ;   in Loop: Header=BB1945_346 Depth=2
	v_cmp_gt_i16_e32 vcc_lo, 0, v11
	v_cndmask_b32_e64 v12, 0x7fff, 0, vcc_lo
	v_xor_b32_e32 v12, v12, v11
	v_cmp_ne_u16_e32 vcc_lo, 0x8000, v12
	v_cndmask_b32_e32 v12, 0x7fff, v12, vcc_lo
	v_lshrrev_b32_sdwa v12, s49, v12 dst_sel:DWORD dst_unused:UNUSED_PAD src0_sel:DWORD src1_sel:WORD_0
	v_and_b32_e32 v12, s43, v12
	v_lshl_or_b32 v12, v12, 4, v40
	ds_add_u32 v12, v62
	s_or_b32 exec_lo, exec_lo, s15
	s_mov_b32 s15, exec_lo
	v_cmpx_gt_u32_e64 s14, v30
	s_cbranch_execz .LBB1945_361
.LBB1945_368:                           ;   in Loop: Header=BB1945_346 Depth=2
	v_cmp_gt_i16_e32 vcc_lo, 0, v10
	v_cndmask_b32_e64 v12, 0x7fff, 0, vcc_lo
	v_xor_b32_e32 v12, v12, v10
	v_cmp_ne_u16_e32 vcc_lo, 0x8000, v12
	v_cndmask_b32_e32 v12, 0x7fff, v12, vcc_lo
	v_lshrrev_b32_sdwa v12, s49, v12 dst_sel:DWORD dst_unused:UNUSED_PAD src0_sel:DWORD src1_sel:WORD_0
	v_and_b32_e32 v12, s43, v12
	v_lshl_or_b32 v12, v12, 4, v40
	ds_add_u32 v12, v62
	s_or_b32 exec_lo, exec_lo, s15
	s_mov_b32 s15, exec_lo
	v_cmpx_gt_u32_e64 s14, v31
	s_cbranch_execz .LBB1945_362
.LBB1945_369:                           ;   in Loop: Header=BB1945_346 Depth=2
	v_cmp_gt_i16_e32 vcc_lo, 0, v9
	v_cndmask_b32_e64 v12, 0x7fff, 0, vcc_lo
	v_xor_b32_e32 v12, v12, v9
	v_cmp_ne_u16_e32 vcc_lo, 0x8000, v12
	v_cndmask_b32_e32 v12, 0x7fff, v12, vcc_lo
	v_lshrrev_b32_sdwa v12, s49, v12 dst_sel:DWORD dst_unused:UNUSED_PAD src0_sel:DWORD src1_sel:WORD_0
	v_and_b32_e32 v12, s43, v12
	v_lshl_or_b32 v12, v12, 4, v40
	ds_add_u32 v12, v62
	s_or_b32 exec_lo, exec_lo, s15
	s_mov_b32 s15, exec_lo
	v_cmpx_gt_u32_e64 s14, v32
	s_cbranch_execz .LBB1945_363
.LBB1945_370:                           ;   in Loop: Header=BB1945_346 Depth=2
	v_cmp_gt_i16_e32 vcc_lo, 0, v8
	v_cndmask_b32_e64 v12, 0x7fff, 0, vcc_lo
	v_xor_b32_e32 v12, v12, v8
	v_cmp_ne_u16_e32 vcc_lo, 0x8000, v12
	v_cndmask_b32_e32 v12, 0x7fff, v12, vcc_lo
	v_lshrrev_b32_sdwa v12, s49, v12 dst_sel:DWORD dst_unused:UNUSED_PAD src0_sel:DWORD src1_sel:WORD_0
	v_and_b32_e32 v12, s43, v12
	v_lshl_or_b32 v12, v12, 4, v40
	ds_add_u32 v12, v62
	s_or_b32 exec_lo, exec_lo, s15
	s_mov_b32 s15, exec_lo
	v_cmpx_gt_u32_e64 s14, v35
	s_cbranch_execz .LBB1945_364
.LBB1945_371:                           ;   in Loop: Header=BB1945_346 Depth=2
	v_cmp_gt_i16_e32 vcc_lo, 0, v7
	v_cndmask_b32_e64 v12, 0x7fff, 0, vcc_lo
	v_xor_b32_e32 v12, v12, v7
	v_cmp_ne_u16_e32 vcc_lo, 0x8000, v12
	v_cndmask_b32_e32 v12, 0x7fff, v12, vcc_lo
	v_lshrrev_b32_sdwa v12, s49, v12 dst_sel:DWORD dst_unused:UNUSED_PAD src0_sel:DWORD src1_sel:WORD_0
	v_and_b32_e32 v12, s43, v12
	v_lshl_or_b32 v12, v12, 4, v40
	ds_add_u32 v12, v62
	s_or_b32 exec_lo, exec_lo, s15
	s_mov_b32 s15, exec_lo
	v_cmpx_gt_u32_e64 s14, v36
	s_cbranch_execz .LBB1945_365
.LBB1945_372:                           ;   in Loop: Header=BB1945_346 Depth=2
	v_cmp_gt_i16_e32 vcc_lo, 0, v6
	v_cndmask_b32_e64 v12, 0x7fff, 0, vcc_lo
	v_xor_b32_e32 v12, v12, v6
	v_cmp_ne_u16_e32 vcc_lo, 0x8000, v12
	v_cndmask_b32_e32 v12, 0x7fff, v12, vcc_lo
	v_lshrrev_b32_sdwa v12, s49, v12 dst_sel:DWORD dst_unused:UNUSED_PAD src0_sel:DWORD src1_sel:WORD_0
	v_and_b32_e32 v12, s43, v12
	v_lshl_or_b32 v12, v12, 4, v40
	ds_add_u32 v12, v62
	s_or_b32 exec_lo, exec_lo, s15
	s_mov_b32 s15, exec_lo
	v_cmpx_gt_u32_e64 s14, v37
	s_cbranch_execz .LBB1945_366
.LBB1945_373:                           ;   in Loop: Header=BB1945_346 Depth=2
	v_cmp_gt_i16_e32 vcc_lo, 0, v5
	v_cndmask_b32_e64 v12, 0x7fff, 0, vcc_lo
	v_xor_b32_e32 v12, v12, v5
	v_cmp_ne_u16_e32 vcc_lo, 0x8000, v12
	v_cndmask_b32_e32 v12, 0x7fff, v12, vcc_lo
	v_lshrrev_b32_sdwa v12, s49, v12 dst_sel:DWORD dst_unused:UNUSED_PAD src0_sel:DWORD src1_sel:WORD_0
	v_and_b32_e32 v12, s43, v12
	v_lshl_or_b32 v12, v12, 4, v40
	ds_add_u32 v12, v62
	s_or_b32 exec_lo, exec_lo, s15
	v_cmp_gt_u32_e32 vcc_lo, s14, v38
	s_and_saveexec_b32 s14, vcc_lo
	s_cbranch_execz .LBB1945_345
.LBB1945_374:                           ;   in Loop: Header=BB1945_346 Depth=2
	v_cmp_gt_i16_e32 vcc_lo, 0, v3
	v_cndmask_b32_e64 v12, 0x7fff, 0, vcc_lo
	v_xor_b32_e32 v12, v12, v3
	v_cmp_ne_u16_e32 vcc_lo, 0x8000, v12
	v_cndmask_b32_e32 v12, 0x7fff, v12, vcc_lo
	v_lshrrev_b32_sdwa v12, s49, v12 dst_sel:DWORD dst_unused:UNUSED_PAD src0_sel:DWORD src1_sel:WORD_0
	v_and_b32_e32 v12, s43, v12
	v_lshl_or_b32 v12, v12, 4, v40
	ds_add_u32 v12, v62
	s_branch .LBB1945_345
.LBB1945_375:                           ;   in Loop: Header=BB1945_346 Depth=2
	global_load_ushort v11, v79, s[14:15]
	s_or_b32 exec_lo, exec_lo, s16
	s_mov_b32 s16, exec_lo
	v_cmpx_gt_u32_e64 s5, v30
	s_cbranch_execz .LBB1945_351
.LBB1945_376:                           ;   in Loop: Header=BB1945_346 Depth=2
	global_load_ushort v10, v79, s[14:15] offset:512
	s_or_b32 exec_lo, exec_lo, s16
	s_mov_b32 s16, exec_lo
	v_cmpx_gt_u32_e64 s5, v31
	s_cbranch_execz .LBB1945_352
.LBB1945_377:                           ;   in Loop: Header=BB1945_346 Depth=2
	global_load_ushort v9, v79, s[14:15] offset:1024
	s_or_b32 exec_lo, exec_lo, s16
	s_mov_b32 s16, exec_lo
	v_cmpx_gt_u32_e64 s5, v32
	s_cbranch_execz .LBB1945_353
.LBB1945_378:                           ;   in Loop: Header=BB1945_346 Depth=2
	global_load_ushort v8, v79, s[14:15] offset:1536
	s_or_b32 exec_lo, exec_lo, s16
	s_mov_b32 s16, exec_lo
	v_cmpx_gt_u32_e64 s5, v35
	s_cbranch_execz .LBB1945_354
.LBB1945_379:                           ;   in Loop: Header=BB1945_346 Depth=2
	global_load_ushort v7, v80, s[14:15]
	s_or_b32 exec_lo, exec_lo, s16
	s_mov_b32 s16, exec_lo
	v_cmpx_gt_u32_e64 s5, v36
	s_cbranch_execz .LBB1945_355
.LBB1945_380:                           ;   in Loop: Header=BB1945_346 Depth=2
	global_load_ushort v6, v81, s[14:15]
	s_or_b32 exec_lo, exec_lo, s16
	s_mov_b32 s16, exec_lo
	v_cmpx_gt_u32_e64 s5, v37
	s_cbranch_execz .LBB1945_356
.LBB1945_381:                           ;   in Loop: Header=BB1945_346 Depth=2
	global_load_ushort v5, v82, s[14:15]
	s_or_b32 exec_lo, exec_lo, s16
	s_mov_b32 s16, exec_lo
	v_cmpx_gt_u32_e64 s5, v38
	s_cbranch_execnz .LBB1945_357
	s_branch .LBB1945_358
.LBB1945_382:                           ;   in Loop: Header=BB1945_12 Depth=1
	v_mov_b32_e32 v3, 0
	s_waitcnt lgkmcnt(0)
	s_barrier
	buffer_gl0_inv
	s_and_saveexec_b32 s5, s7
	s_cbranch_execz .LBB1945_384
; %bb.383:                              ;   in Loop: Header=BB1945_12 Depth=1
	ds_read2_b64 v[5:8], v41 offset1:1
	s_waitcnt lgkmcnt(0)
	v_add_nc_u32_e32 v3, v6, v5
	v_add3_u32 v3, v3, v7, v8
.LBB1945_384:                           ;   in Loop: Header=BB1945_12 Depth=1
	s_or_b32 exec_lo, exec_lo, s5
	v_mov_b32_dpp v5, v3 row_shr:1 row_mask:0xf bank_mask:0xf
	v_cmp_eq_u32_e64 s5, 0, v63
	v_cmp_lt_u32_e64 s13, 1, v63
	v_cmp_lt_u32_e64 s14, 3, v63
	v_cmp_lt_u32_e64 s15, 7, v63
	v_cmp_eq_u32_e64 s16, 0, v65
	v_cndmask_b32_e64 v5, v5, 0, s5
	v_add_nc_u32_e32 v3, v5, v3
	v_mov_b32_dpp v5, v3 row_shr:2 row_mask:0xf bank_mask:0xf
	v_cndmask_b32_e64 v5, 0, v5, s13
	v_add_nc_u32_e32 v3, v3, v5
	v_mov_b32_dpp v5, v3 row_shr:4 row_mask:0xf bank_mask:0xf
	;; [unrolled: 3-line block ×3, first 2 shown]
	v_cndmask_b32_e64 v5, 0, v5, s15
	v_add_nc_u32_e32 v3, v3, v5
	ds_swizzle_b32 v5, v3 offset:swizzle(BROADCAST,32,15)
	s_waitcnt lgkmcnt(0)
	v_and_b32_e32 v5, v64, v5
	v_add_nc_u32_e32 v3, v3, v5
	s_and_saveexec_b32 s17, s8
; %bb.385:                              ;   in Loop: Header=BB1945_12 Depth=1
	ds_write_b32 v42, v3
; %bb.386:                              ;   in Loop: Header=BB1945_12 Depth=1
	s_or_b32 exec_lo, exec_lo, s17
	s_waitcnt lgkmcnt(0)
	s_barrier
	buffer_gl0_inv
	s_and_saveexec_b32 s17, s9
	s_cbranch_execz .LBB1945_388
; %bb.387:                              ;   in Loop: Header=BB1945_12 Depth=1
	ds_read_b32 v5, v43
	v_cmp_ne_u32_e32 vcc_lo, 0, v67
	s_waitcnt lgkmcnt(0)
	v_mov_b32_dpp v6, v5 row_shr:1 row_mask:0xf bank_mask:0xf
	v_cndmask_b32_e32 v6, 0, v6, vcc_lo
	v_cmp_lt_u32_e32 vcc_lo, 1, v67
	v_add_nc_u32_e32 v5, v6, v5
	v_mov_b32_dpp v6, v5 row_shr:2 row_mask:0xf bank_mask:0xf
	v_cndmask_b32_e32 v6, 0, v6, vcc_lo
	v_cmp_lt_u32_e32 vcc_lo, 3, v67
	v_add_nc_u32_e32 v5, v5, v6
	v_mov_b32_dpp v6, v5 row_shr:4 row_mask:0xf bank_mask:0xf
	v_cndmask_b32_e32 v6, 0, v6, vcc_lo
	v_add_nc_u32_e32 v5, v5, v6
	ds_write_b32 v43, v5
.LBB1945_388:                           ;   in Loop: Header=BB1945_12 Depth=1
	s_or_b32 exec_lo, exec_lo, s17
	v_mov_b32_e32 v5, 0
	s_waitcnt lgkmcnt(0)
	s_barrier
	buffer_gl0_inv
	s_and_saveexec_b32 s17, s10
; %bb.389:                              ;   in Loop: Header=BB1945_12 Depth=1
	ds_read_b32 v5, v45
; %bb.390:                              ;   in Loop: Header=BB1945_12 Depth=1
	s_or_b32 exec_lo, exec_lo, s17
	v_cmp_gt_i32_e32 vcc_lo, 0, v68
	s_waitcnt lgkmcnt(0)
	v_add_nc_u32_e32 v3, v5, v3
	s_barrier
	buffer_gl0_inv
	v_cndmask_b32_e32 v6, v68, v59, vcc_lo
	v_lshlrev_b32_e32 v91, 2, v6
	ds_bpermute_b32 v3, v91, v3
	s_and_saveexec_b32 s17, s7
	s_cbranch_execz .LBB1945_392
; %bb.391:                              ;   in Loop: Header=BB1945_12 Depth=1
	s_waitcnt lgkmcnt(0)
	v_cndmask_b32_e64 v3, v3, v5, s12
	v_add_nc_u32_e32 v3, s29, v3
	ds_write_b32 v29, v3
.LBB1945_392:                           ;   in Loop: Header=BB1945_12 Depth=1
	s_or_b32 exec_lo, exec_lo, s17
	s_load_dwordx2 s[18:19], s[30:31], 0x0
	v_add_co_u32 v92, vcc_lo, v57, v69
	v_add_co_ci_u32_e64 v93, null, 0, v58, vcc_lo
	v_add_co_u32 v94, vcc_lo, v60, v77
	v_add_co_ci_u32_e64 v95, null, 0, v61, vcc_lo
	s_mov_b32 s48, s52
	s_mov_b32 s34, s29
                                        ; implicit-def: $vgpr7_vgpr8
                                        ; implicit-def: $vgpr9_vgpr10
                                        ; implicit-def: $vgpr11_vgpr12
                                        ; implicit-def: $vgpr13_vgpr14
                                        ; implicit-def: $vgpr15_vgpr16
                                        ; implicit-def: $vgpr17_vgpr18
                                        ; implicit-def: $vgpr19_vgpr20
                                        ; implicit-def: $vgpr97
                                        ; implicit-def: $vgpr98
                                        ; implicit-def: $vgpr99
                                        ; implicit-def: $vgpr100
                                        ; implicit-def: $vgpr101
                                        ; implicit-def: $vgpr102
                                        ; implicit-def: $vgpr103
                                        ; implicit-def: $vgpr104
	s_waitcnt lgkmcnt(0)
	s_cmp_lt_u32 s27, s19
	s_cselect_b32 s17, 14, 20
	s_add_u32 s20, s30, s17
	s_addc_u32 s21, s31, 0
	s_cmp_lt_u32 s6, s18
	global_load_ushort v3, v4, s[20:21]
	s_cselect_b32 s17, 12, 18
	s_add_u32 s18, s30, s17
	s_addc_u32 s19, s31, 0
	v_cmp_eq_u32_e64 s17, 0, v67
	global_load_ushort v5, v4, s[18:19]
	v_cmp_lt_u32_e64 s18, 1, v67
	v_cmp_lt_u32_e64 s19, 3, v67
	s_waitcnt vmcnt(1)
	v_mad_u32_u24 v3, v2, v3, v1
	s_waitcnt vmcnt(0)
	v_mad_u64_u32 v[5:6], null, v3, v5, v[0:1]
	v_lshrrev_b32_e32 v3, 3, v5
                                        ; implicit-def: $vgpr5_vgpr6
	v_and_b32_e32 v96, 0x1ffffffc, v3
	s_branch .LBB1945_394
.LBB1945_393:                           ;   in Loop: Header=BB1945_394 Depth=2
	s_or_b32 exec_lo, exec_lo, s20
	s_addk_i32 s48, 0xf800
	s_cmp_lt_u32 s53, s33
	s_mov_b32 s34, s53
	s_cbranch_scc0 .LBB1945_506
.LBB1945_394:                           ;   Parent Loop BB1945_12 Depth=1
                                        ; =>  This Inner Loop Header: Depth=2
	s_add_i32 s53, s34, 0x800
	s_cmp_gt_u32 s53, s33
	s_cbranch_scc1 .LBB1945_396
; %bb.395:                              ;   in Loop: Header=BB1945_394 Depth=2
	s_lshl_b64 s[20:21], s[34:35], 1
	v_add_co_u32 v21, vcc_lo, v94, s20
	v_add_co_ci_u32_e64 v22, null, s21, v95, vcc_lo
	s_mov_b32 s20, -1
	s_clause 0x6
	global_load_ushort v3, v[21:22], off
	global_load_ushort v28, v[21:22], off offset:64
	global_load_ushort v27, v[21:22], off offset:128
	;; [unrolled: 1-line block ×6, first 2 shown]
	s_movk_i32 s21, 0x800
	s_cbranch_execz .LBB1945_397
	s_branch .LBB1945_412
.LBB1945_396:                           ;   in Loop: Header=BB1945_394 Depth=2
	s_mov_b32 s20, 0
                                        ; implicit-def: $vgpr3
                                        ; implicit-def: $vgpr28
                                        ; implicit-def: $vgpr27
                                        ; implicit-def: $vgpr26
                                        ; implicit-def: $vgpr25
                                        ; implicit-def: $vgpr24
                                        ; implicit-def: $vgpr23
	s_movk_i32 s21, 0x800
.LBB1945_397:                           ;   in Loop: Header=BB1945_394 Depth=2
	s_lshl_b64 s[20:21], s[34:35], 1
	s_waitcnt vmcnt(5)
	v_mov_b32_e32 v28, -1
	v_add_co_u32 v21, vcc_lo, v94, s20
	v_add_co_ci_u32_e64 v22, null, s21, v95, vcc_lo
	v_mov_b32_e32 v3, -1
	s_mov_b32 s20, exec_lo
	v_cmpx_gt_u32_e64 s48, v66
	s_cbranch_execz .LBB1945_399
; %bb.398:                              ;   in Loop: Header=BB1945_394 Depth=2
	global_load_ushort v3, v[21:22], off
.LBB1945_399:                           ;   in Loop: Header=BB1945_394 Depth=2
	s_or_b32 exec_lo, exec_lo, s20
	s_mov_b32 s20, exec_lo
	v_cmpx_gt_u32_e64 s48, v70
	s_cbranch_execz .LBB1945_401
; %bb.400:                              ;   in Loop: Header=BB1945_394 Depth=2
	global_load_ushort v28, v[21:22], off offset:64
.LBB1945_401:                           ;   in Loop: Header=BB1945_394 Depth=2
	s_or_b32 exec_lo, exec_lo, s20
	s_waitcnt vmcnt(3)
	v_mov_b32_e32 v26, -1
	v_mov_b32_e32 v27, -1
	s_mov_b32 s20, exec_lo
	v_cmpx_gt_u32_e64 s48, v71
	s_cbranch_execz .LBB1945_403
; %bb.402:                              ;   in Loop: Header=BB1945_394 Depth=2
	global_load_ushort v27, v[21:22], off offset:128
.LBB1945_403:                           ;   in Loop: Header=BB1945_394 Depth=2
	s_or_b32 exec_lo, exec_lo, s20
	s_mov_b32 s20, exec_lo
	v_cmpx_gt_u32_e64 s48, v72
	s_cbranch_execz .LBB1945_405
; %bb.404:                              ;   in Loop: Header=BB1945_394 Depth=2
	global_load_ushort v26, v[21:22], off offset:192
.LBB1945_405:                           ;   in Loop: Header=BB1945_394 Depth=2
	s_or_b32 exec_lo, exec_lo, s20
	s_waitcnt vmcnt(1)
	v_mov_b32_e32 v24, -1
	v_mov_b32_e32 v25, -1
	s_mov_b32 s20, exec_lo
	v_cmpx_gt_u32_e64 s48, v73
	s_cbranch_execz .LBB1945_407
; %bb.406:                              ;   in Loop: Header=BB1945_394 Depth=2
	global_load_ushort v25, v[21:22], off offset:256
.LBB1945_407:                           ;   in Loop: Header=BB1945_394 Depth=2
	s_or_b32 exec_lo, exec_lo, s20
	s_mov_b32 s20, exec_lo
	v_cmpx_gt_u32_e64 s48, v74
	s_cbranch_execz .LBB1945_409
; %bb.408:                              ;   in Loop: Header=BB1945_394 Depth=2
	global_load_ushort v24, v[21:22], off offset:320
.LBB1945_409:                           ;   in Loop: Header=BB1945_394 Depth=2
	s_or_b32 exec_lo, exec_lo, s20
	s_waitcnt vmcnt(0)
	v_mov_b32_e32 v23, -1
	s_mov_b32 s20, exec_lo
	v_cmpx_gt_u32_e64 s48, v75
	s_cbranch_execz .LBB1945_411
; %bb.410:                              ;   in Loop: Header=BB1945_394 Depth=2
	global_load_ushort v23, v[21:22], off offset:384
.LBB1945_411:                           ;   in Loop: Header=BB1945_394 Depth=2
	s_or_b32 exec_lo, exec_lo, s20
	v_cmp_gt_u32_e64 s20, s48, v76
	s_sub_i32 s21, s33, s34
.LBB1945_412:                           ;   in Loop: Header=BB1945_394 Depth=2
	v_mov_b32_e32 v21, -1
	v_mov_b32_e32 v105, s48
	s_and_saveexec_b32 s22, s20
	s_cbranch_execz .LBB1945_414
; %bb.413:                              ;   in Loop: Header=BB1945_394 Depth=2
	s_lshl_b64 s[24:25], s[34:35], 1
	v_mov_b32_e32 v105, s21
	v_add_co_u32 v21, vcc_lo, v94, s24
	v_add_co_ci_u32_e64 v22, null, s25, v95, vcc_lo
	global_load_ushort v21, v[21:22], off offset:448
.LBB1945_414:                           ;   in Loop: Header=BB1945_394 Depth=2
	s_or_b32 exec_lo, exec_lo, s22
	s_waitcnt vmcnt(6)
	v_cmp_gt_i16_e32 vcc_lo, 0, v3
	ds_write2_b32 v78, v4, v4 offset1:1
	ds_write2_b32 v88, v4, v4 offset1:1
	;; [unrolled: 1-line block ×4, first 2 shown]
	ds_write_b32 v44, v4 offset:1088
	s_waitcnt vmcnt(0) lgkmcnt(0)
	s_barrier
	v_cndmask_b32_e64 v22, 0x7fff, 0, vcc_lo
	buffer_gl0_inv
	; wave barrier
	v_xor_b32_e32 v3, v22, v3
	v_cmp_ne_u16_e32 vcc_lo, 0x8000, v3
	v_cndmask_b32_e32 v22, 0x7fff, v3, vcc_lo
	v_lshrrev_b32_sdwa v22, s49, v22 dst_sel:DWORD dst_unused:UNUSED_PAD src0_sel:DWORD src1_sel:WORD_0
	v_and_b32_e32 v107, s43, v22
	v_and_b32_e32 v22, 1, v107
	v_lshlrev_b32_e32 v106, 30, v107
	v_lshlrev_b32_e32 v108, 29, v107
	;; [unrolled: 1-line block ×4, first 2 shown]
	v_add_co_u32 v22, s20, v22, -1
	v_cndmask_b32_e64 v110, 0, 1, s20
	v_not_b32_e32 v114, v106
	v_cmp_gt_i32_e64 s20, 0, v106
	v_not_b32_e32 v106, v108
	v_lshlrev_b32_e32 v112, 26, v107
	v_cmp_ne_u32_e32 vcc_lo, 0, v110
	v_ashrrev_i32_e32 v114, 31, v114
	v_lshlrev_b32_e32 v113, 25, v107
	v_ashrrev_i32_e32 v106, 31, v106
	v_lshlrev_b32_e32 v110, 24, v107
	v_xor_b32_e32 v22, vcc_lo, v22
	v_cmp_gt_i32_e32 vcc_lo, 0, v108
	v_not_b32_e32 v108, v109
	v_xor_b32_e32 v114, s20, v114
	v_cmp_gt_i32_e64 s20, 0, v109
	v_and_b32_e32 v22, exec_lo, v22
	v_not_b32_e32 v109, v111
	v_ashrrev_i32_e32 v108, 31, v108
	v_xor_b32_e32 v106, vcc_lo, v106
	v_cmp_gt_i32_e32 vcc_lo, 0, v111
	v_and_b32_e32 v22, v22, v114
	v_not_b32_e32 v111, v112
	v_ashrrev_i32_e32 v109, 31, v109
	v_xor_b32_e32 v108, s20, v108
	v_cmp_gt_i32_e64 s20, 0, v112
	v_and_b32_e32 v22, v22, v106
	v_not_b32_e32 v106, v113
	v_ashrrev_i32_e32 v111, 31, v111
	v_xor_b32_e32 v109, vcc_lo, v109
	v_cmp_gt_i32_e32 vcc_lo, 0, v113
	v_and_b32_e32 v22, v22, v108
	v_not_b32_e32 v108, v110
	v_ashrrev_i32_e32 v106, 31, v106
	v_xor_b32_e32 v111, s20, v111
	v_cmp_gt_i32_e64 s20, 0, v110
	v_and_b32_e32 v22, v22, v109
	v_ashrrev_i32_e32 v108, 31, v108
	v_xor_b32_e32 v106, vcc_lo, v106
	v_mul_u32_u24_e32 v107, 36, v107
	v_and_b32_e32 v22, v22, v111
	v_xor_b32_e32 v108, s20, v108
	v_and_b32_e32 v22, v22, v106
	v_and_b32_e32 v22, v22, v108
	v_add_nc_u32_e32 v108, v96, v107
	v_mbcnt_lo_u32_b32 v106, v22, 0
	v_cmp_ne_u32_e64 s20, 0, v22
	v_cmp_eq_u32_e32 vcc_lo, 0, v106
	s_and_b32 s21, s20, vcc_lo
	s_and_saveexec_b32 s20, s21
; %bb.415:                              ;   in Loop: Header=BB1945_394 Depth=2
	v_bcnt_u32_b32 v22, v22, 0
	ds_write_b32 v108, v22 offset:1056
; %bb.416:                              ;   in Loop: Header=BB1945_394 Depth=2
	s_or_b32 exec_lo, exec_lo, s20
	v_cmp_gt_i16_e32 vcc_lo, 0, v28
	; wave barrier
	v_cndmask_b32_e64 v22, 0x7fff, 0, vcc_lo
	v_xor_b32_e32 v107, v22, v28
	v_cmp_ne_u16_e32 vcc_lo, 0x8000, v107
	v_cndmask_b32_e32 v22, 0x7fff, v107, vcc_lo
	v_lshrrev_b32_sdwa v22, s49, v22 dst_sel:DWORD dst_unused:UNUSED_PAD src0_sel:DWORD src1_sel:WORD_0
	v_and_b32_e32 v28, s43, v22
	v_and_b32_e32 v22, 1, v28
	v_lshlrev_b32_e32 v109, 30, v28
	v_lshlrev_b32_e32 v110, 29, v28
	;; [unrolled: 1-line block ×4, first 2 shown]
	v_add_co_u32 v22, s20, v22, -1
	v_cndmask_b32_e64 v112, 0, 1, s20
	v_not_b32_e32 v116, v109
	v_cmp_gt_i32_e64 s20, 0, v109
	v_not_b32_e32 v109, v110
	v_lshlrev_b32_e32 v114, 26, v28
	v_cmp_ne_u32_e32 vcc_lo, 0, v112
	v_ashrrev_i32_e32 v116, 31, v116
	v_lshlrev_b32_e32 v115, 25, v28
	v_ashrrev_i32_e32 v109, 31, v109
	v_lshlrev_b32_e32 v112, 24, v28
	v_xor_b32_e32 v22, vcc_lo, v22
	v_cmp_gt_i32_e32 vcc_lo, 0, v110
	v_not_b32_e32 v110, v111
	v_xor_b32_e32 v116, s20, v116
	v_cmp_gt_i32_e64 s20, 0, v111
	v_and_b32_e32 v22, exec_lo, v22
	v_not_b32_e32 v111, v113
	v_ashrrev_i32_e32 v110, 31, v110
	v_xor_b32_e32 v109, vcc_lo, v109
	v_cmp_gt_i32_e32 vcc_lo, 0, v113
	v_and_b32_e32 v22, v22, v116
	v_not_b32_e32 v113, v114
	v_ashrrev_i32_e32 v111, 31, v111
	v_xor_b32_e32 v110, s20, v110
	v_cmp_gt_i32_e64 s20, 0, v114
	v_and_b32_e32 v22, v22, v109
	v_not_b32_e32 v109, v115
	v_ashrrev_i32_e32 v113, 31, v113
	v_xor_b32_e32 v111, vcc_lo, v111
	v_cmp_gt_i32_e32 vcc_lo, 0, v115
	v_and_b32_e32 v22, v22, v110
	v_not_b32_e32 v110, v112
	v_ashrrev_i32_e32 v109, 31, v109
	v_xor_b32_e32 v113, s20, v113
	v_cmp_gt_i32_e64 s20, 0, v112
	v_and_b32_e32 v22, v22, v111
	v_ashrrev_i32_e32 v110, 31, v110
	v_xor_b32_e32 v109, vcc_lo, v109
	v_mad_u32_u24 v111, v28, 36, v96
	v_mul_u32_u24_e32 v28, 36, v28
	v_and_b32_e32 v22, v22, v113
	v_xor_b32_e32 v110, s20, v110
	v_add_nc_u32_e32 v112, v96, v28
	v_and_b32_e32 v22, v22, v109
	ds_read_b32 v109, v111 offset:1056
	; wave barrier
	v_and_b32_e32 v22, v22, v110
	v_mbcnt_lo_u32_b32 v110, v22, 0
	v_cmp_ne_u32_e64 s20, 0, v22
	v_cmp_eq_u32_e32 vcc_lo, 0, v110
	s_and_b32 s21, s20, vcc_lo
	s_and_saveexec_b32 s20, s21
	s_cbranch_execz .LBB1945_418
; %bb.417:                              ;   in Loop: Header=BB1945_394 Depth=2
	s_waitcnt lgkmcnt(0)
	v_bcnt_u32_b32 v22, v22, v109
	ds_write_b32 v112, v22 offset:1056
.LBB1945_418:                           ;   in Loop: Header=BB1945_394 Depth=2
	s_or_b32 exec_lo, exec_lo, s20
	v_cmp_gt_i16_e32 vcc_lo, 0, v27
	; wave barrier
	v_cndmask_b32_e64 v22, 0x7fff, 0, vcc_lo
	v_xor_b32_e32 v111, v22, v27
	v_cmp_ne_u16_e32 vcc_lo, 0x8000, v111
	v_cndmask_b32_e32 v22, 0x7fff, v111, vcc_lo
	v_lshrrev_b32_sdwa v22, s49, v22 dst_sel:DWORD dst_unused:UNUSED_PAD src0_sel:DWORD src1_sel:WORD_0
	v_and_b32_e32 v27, s43, v22
	v_and_b32_e32 v22, 1, v27
	v_lshlrev_b32_e32 v28, 30, v27
	v_lshlrev_b32_e32 v113, 29, v27
	;; [unrolled: 1-line block ×4, first 2 shown]
	v_add_co_u32 v22, s20, v22, -1
	v_cndmask_b32_e64 v115, 0, 1, s20
	v_not_b32_e32 v119, v28
	v_cmp_gt_i32_e64 s20, 0, v28
	v_not_b32_e32 v28, v113
	v_lshlrev_b32_e32 v117, 26, v27
	v_cmp_ne_u32_e32 vcc_lo, 0, v115
	v_ashrrev_i32_e32 v119, 31, v119
	v_lshlrev_b32_e32 v118, 25, v27
	v_ashrrev_i32_e32 v28, 31, v28
	v_lshlrev_b32_e32 v115, 24, v27
	v_xor_b32_e32 v22, vcc_lo, v22
	v_cmp_gt_i32_e32 vcc_lo, 0, v113
	v_not_b32_e32 v113, v114
	v_xor_b32_e32 v119, s20, v119
	v_cmp_gt_i32_e64 s20, 0, v114
	v_and_b32_e32 v22, exec_lo, v22
	v_not_b32_e32 v114, v116
	v_ashrrev_i32_e32 v113, 31, v113
	v_xor_b32_e32 v28, vcc_lo, v28
	v_cmp_gt_i32_e32 vcc_lo, 0, v116
	v_and_b32_e32 v22, v22, v119
	v_not_b32_e32 v116, v117
	v_ashrrev_i32_e32 v114, 31, v114
	v_xor_b32_e32 v113, s20, v113
	v_cmp_gt_i32_e64 s20, 0, v117
	v_and_b32_e32 v22, v22, v28
	v_not_b32_e32 v28, v118
	v_ashrrev_i32_e32 v116, 31, v116
	v_xor_b32_e32 v114, vcc_lo, v114
	v_cmp_gt_i32_e32 vcc_lo, 0, v118
	v_and_b32_e32 v22, v22, v113
	v_not_b32_e32 v113, v115
	v_ashrrev_i32_e32 v28, 31, v28
	v_xor_b32_e32 v116, s20, v116
	v_cmp_gt_i32_e64 s20, 0, v115
	v_and_b32_e32 v22, v22, v114
	v_ashrrev_i32_e32 v113, 31, v113
	v_xor_b32_e32 v28, vcc_lo, v28
	v_mad_u32_u24 v114, v27, 36, v96
	v_mul_u32_u24_e32 v27, 36, v27
	v_and_b32_e32 v22, v22, v116
	v_xor_b32_e32 v115, s20, v113
	ds_read_b32 v113, v114 offset:1056
	v_add_nc_u32_e32 v116, v96, v27
	v_and_b32_e32 v22, v22, v28
	; wave barrier
	v_and_b32_e32 v22, v22, v115
	v_mbcnt_lo_u32_b32 v115, v22, 0
	v_cmp_ne_u32_e64 s20, 0, v22
	v_cmp_eq_u32_e32 vcc_lo, 0, v115
	s_and_b32 s21, s20, vcc_lo
	s_and_saveexec_b32 s20, s21
	s_cbranch_execz .LBB1945_420
; %bb.419:                              ;   in Loop: Header=BB1945_394 Depth=2
	s_waitcnt lgkmcnt(0)
	v_bcnt_u32_b32 v22, v22, v113
	ds_write_b32 v116, v22 offset:1056
.LBB1945_420:                           ;   in Loop: Header=BB1945_394 Depth=2
	s_or_b32 exec_lo, exec_lo, s20
	v_cmp_gt_i16_e32 vcc_lo, 0, v26
	; wave barrier
	v_cndmask_b32_e64 v22, 0x7fff, 0, vcc_lo
	v_xor_b32_e32 v114, v22, v26
	v_cmp_ne_u16_e32 vcc_lo, 0x8000, v114
	v_cndmask_b32_e32 v22, 0x7fff, v114, vcc_lo
	v_lshrrev_b32_sdwa v22, s49, v22 dst_sel:DWORD dst_unused:UNUSED_PAD src0_sel:DWORD src1_sel:WORD_0
	v_and_b32_e32 v26, s43, v22
	v_and_b32_e32 v22, 1, v26
	v_lshlrev_b32_e32 v27, 30, v26
	v_lshlrev_b32_e32 v28, 29, v26
	;; [unrolled: 1-line block ×4, first 2 shown]
	v_add_co_u32 v22, s20, v22, -1
	v_cndmask_b32_e64 v118, 0, 1, s20
	v_not_b32_e32 v122, v27
	v_cmp_gt_i32_e64 s20, 0, v27
	v_not_b32_e32 v27, v28
	v_lshlrev_b32_e32 v120, 26, v26
	v_cmp_ne_u32_e32 vcc_lo, 0, v118
	v_ashrrev_i32_e32 v122, 31, v122
	v_lshlrev_b32_e32 v121, 25, v26
	v_ashrrev_i32_e32 v27, 31, v27
	v_lshlrev_b32_e32 v118, 24, v26
	v_xor_b32_e32 v22, vcc_lo, v22
	v_cmp_gt_i32_e32 vcc_lo, 0, v28
	v_not_b32_e32 v28, v117
	v_xor_b32_e32 v122, s20, v122
	v_cmp_gt_i32_e64 s20, 0, v117
	v_and_b32_e32 v22, exec_lo, v22
	v_not_b32_e32 v117, v119
	v_ashrrev_i32_e32 v28, 31, v28
	v_xor_b32_e32 v27, vcc_lo, v27
	v_cmp_gt_i32_e32 vcc_lo, 0, v119
	v_and_b32_e32 v22, v22, v122
	v_not_b32_e32 v119, v120
	v_ashrrev_i32_e32 v117, 31, v117
	v_xor_b32_e32 v28, s20, v28
	v_cmp_gt_i32_e64 s20, 0, v120
	v_and_b32_e32 v22, v22, v27
	v_not_b32_e32 v27, v121
	v_ashrrev_i32_e32 v119, 31, v119
	v_xor_b32_e32 v117, vcc_lo, v117
	v_cmp_gt_i32_e32 vcc_lo, 0, v121
	v_and_b32_e32 v22, v22, v28
	v_not_b32_e32 v28, v118
	v_ashrrev_i32_e32 v27, 31, v27
	v_xor_b32_e32 v119, s20, v119
	v_cmp_gt_i32_e64 s20, 0, v118
	v_and_b32_e32 v22, v22, v117
	v_ashrrev_i32_e32 v28, 31, v28
	v_xor_b32_e32 v27, vcc_lo, v27
	v_mad_u32_u24 v117, v26, 36, v96
	v_mul_u32_u24_e32 v26, 36, v26
	v_and_b32_e32 v22, v22, v119
	v_xor_b32_e32 v28, s20, v28
	ds_read_b32 v117, v117 offset:1056
	v_add_nc_u32_e32 v120, v96, v26
	v_and_b32_e32 v22, v22, v27
	; wave barrier
	v_and_b32_e32 v22, v22, v28
	v_mbcnt_lo_u32_b32 v119, v22, 0
	v_cmp_ne_u32_e64 s20, 0, v22
	v_cmp_eq_u32_e32 vcc_lo, 0, v119
	s_and_b32 s21, s20, vcc_lo
	s_and_saveexec_b32 s20, s21
	s_cbranch_execz .LBB1945_422
; %bb.421:                              ;   in Loop: Header=BB1945_394 Depth=2
	s_waitcnt lgkmcnt(0)
	v_bcnt_u32_b32 v22, v22, v117
	ds_write_b32 v120, v22 offset:1056
.LBB1945_422:                           ;   in Loop: Header=BB1945_394 Depth=2
	s_or_b32 exec_lo, exec_lo, s20
	v_cmp_gt_i16_e32 vcc_lo, 0, v25
	; wave barrier
	v_cndmask_b32_e64 v22, 0x7fff, 0, vcc_lo
	v_xor_b32_e32 v118, v22, v25
	v_cmp_ne_u16_e32 vcc_lo, 0x8000, v118
	v_cndmask_b32_e32 v22, 0x7fff, v118, vcc_lo
	v_lshrrev_b32_sdwa v22, s49, v22 dst_sel:DWORD dst_unused:UNUSED_PAD src0_sel:DWORD src1_sel:WORD_0
	v_and_b32_e32 v25, s43, v22
	v_and_b32_e32 v22, 1, v25
	v_lshlrev_b32_e32 v26, 30, v25
	v_lshlrev_b32_e32 v27, 29, v25
	v_lshlrev_b32_e32 v28, 28, v25
	v_lshlrev_b32_e32 v122, 27, v25
	v_add_co_u32 v22, s20, v22, -1
	v_cndmask_b32_e64 v121, 0, 1, s20
	v_not_b32_e32 v125, v26
	v_cmp_gt_i32_e64 s20, 0, v26
	v_not_b32_e32 v26, v27
	v_lshlrev_b32_e32 v123, 26, v25
	v_cmp_ne_u32_e32 vcc_lo, 0, v121
	v_ashrrev_i32_e32 v125, 31, v125
	v_lshlrev_b32_e32 v124, 25, v25
	v_ashrrev_i32_e32 v26, 31, v26
	v_lshlrev_b32_e32 v121, 24, v25
	v_xor_b32_e32 v22, vcc_lo, v22
	v_cmp_gt_i32_e32 vcc_lo, 0, v27
	v_not_b32_e32 v27, v28
	v_xor_b32_e32 v125, s20, v125
	v_cmp_gt_i32_e64 s20, 0, v28
	v_and_b32_e32 v22, exec_lo, v22
	v_not_b32_e32 v28, v122
	v_ashrrev_i32_e32 v27, 31, v27
	v_xor_b32_e32 v26, vcc_lo, v26
	v_cmp_gt_i32_e32 vcc_lo, 0, v122
	v_and_b32_e32 v22, v22, v125
	v_not_b32_e32 v122, v123
	v_ashrrev_i32_e32 v28, 31, v28
	v_xor_b32_e32 v27, s20, v27
	v_cmp_gt_i32_e64 s20, 0, v123
	v_and_b32_e32 v22, v22, v26
	v_not_b32_e32 v26, v124
	v_ashrrev_i32_e32 v122, 31, v122
	v_xor_b32_e32 v28, vcc_lo, v28
	v_cmp_gt_i32_e32 vcc_lo, 0, v124
	v_and_b32_e32 v22, v22, v27
	v_not_b32_e32 v27, v121
	v_ashrrev_i32_e32 v26, 31, v26
	v_xor_b32_e32 v122, s20, v122
	v_cmp_gt_i32_e64 s20, 0, v121
	v_and_b32_e32 v22, v22, v28
	v_ashrrev_i32_e32 v27, 31, v27
	v_xor_b32_e32 v26, vcc_lo, v26
	v_mad_u32_u24 v28, v25, 36, v96
	v_mul_u32_u24_e32 v25, 36, v25
	v_and_b32_e32 v22, v22, v122
	v_xor_b32_e32 v27, s20, v27
	ds_read_b32 v121, v28 offset:1056
	v_add_nc_u32_e32 v124, v96, v25
	v_and_b32_e32 v22, v22, v26
	; wave barrier
	v_and_b32_e32 v22, v22, v27
	v_mbcnt_lo_u32_b32 v123, v22, 0
	v_cmp_ne_u32_e64 s20, 0, v22
	v_cmp_eq_u32_e32 vcc_lo, 0, v123
	s_and_b32 s21, s20, vcc_lo
	s_and_saveexec_b32 s20, s21
	s_cbranch_execz .LBB1945_424
; %bb.423:                              ;   in Loop: Header=BB1945_394 Depth=2
	s_waitcnt lgkmcnt(0)
	v_bcnt_u32_b32 v22, v22, v121
	ds_write_b32 v124, v22 offset:1056
.LBB1945_424:                           ;   in Loop: Header=BB1945_394 Depth=2
	s_or_b32 exec_lo, exec_lo, s20
	v_cmp_gt_i16_e32 vcc_lo, 0, v24
	; wave barrier
	v_cndmask_b32_e64 v22, 0x7fff, 0, vcc_lo
	v_xor_b32_e32 v122, v22, v24
	v_cmp_ne_u16_e32 vcc_lo, 0x8000, v122
	v_cndmask_b32_e32 v22, 0x7fff, v122, vcc_lo
	v_lshrrev_b32_sdwa v22, s49, v22 dst_sel:DWORD dst_unused:UNUSED_PAD src0_sel:DWORD src1_sel:WORD_0
	v_and_b32_e32 v24, s43, v22
	v_and_b32_e32 v22, 1, v24
	v_lshlrev_b32_e32 v25, 30, v24
	v_lshlrev_b32_e32 v26, 29, v24
	;; [unrolled: 1-line block ×4, first 2 shown]
	v_add_co_u32 v22, s20, v22, -1
	v_cndmask_b32_e64 v28, 0, 1, s20
	v_not_b32_e32 v128, v25
	v_cmp_gt_i32_e64 s20, 0, v25
	v_not_b32_e32 v25, v26
	v_lshlrev_b32_e32 v126, 26, v24
	v_cmp_ne_u32_e32 vcc_lo, 0, v28
	v_ashrrev_i32_e32 v128, 31, v128
	v_lshlrev_b32_e32 v127, 25, v24
	v_ashrrev_i32_e32 v25, 31, v25
	v_lshlrev_b32_e32 v28, 24, v24
	v_xor_b32_e32 v22, vcc_lo, v22
	v_cmp_gt_i32_e32 vcc_lo, 0, v26
	v_not_b32_e32 v26, v27
	v_xor_b32_e32 v128, s20, v128
	v_cmp_gt_i32_e64 s20, 0, v27
	v_and_b32_e32 v22, exec_lo, v22
	v_not_b32_e32 v27, v125
	v_ashrrev_i32_e32 v26, 31, v26
	v_xor_b32_e32 v25, vcc_lo, v25
	v_cmp_gt_i32_e32 vcc_lo, 0, v125
	v_and_b32_e32 v22, v22, v128
	v_not_b32_e32 v125, v126
	v_ashrrev_i32_e32 v27, 31, v27
	v_xor_b32_e32 v26, s20, v26
	v_cmp_gt_i32_e64 s20, 0, v126
	v_and_b32_e32 v22, v22, v25
	v_not_b32_e32 v25, v127
	v_ashrrev_i32_e32 v125, 31, v125
	v_xor_b32_e32 v27, vcc_lo, v27
	v_cmp_gt_i32_e32 vcc_lo, 0, v127
	v_and_b32_e32 v22, v22, v26
	v_not_b32_e32 v26, v28
	v_ashrrev_i32_e32 v25, 31, v25
	v_xor_b32_e32 v125, s20, v125
	v_cmp_gt_i32_e64 s20, 0, v28
	v_and_b32_e32 v22, v22, v27
	v_ashrrev_i32_e32 v26, 31, v26
	v_xor_b32_e32 v25, vcc_lo, v25
	v_mad_u32_u24 v27, v24, 36, v96
	v_mul_u32_u24_e32 v24, 36, v24
	v_and_b32_e32 v22, v22, v125
	v_xor_b32_e32 v26, s20, v26
	ds_read_b32 v125, v27 offset:1056
	v_add_nc_u32_e32 v128, v96, v24
	v_and_b32_e32 v22, v22, v25
	; wave barrier
	v_and_b32_e32 v22, v22, v26
	v_mbcnt_lo_u32_b32 v127, v22, 0
	v_cmp_ne_u32_e64 s20, 0, v22
	v_cmp_eq_u32_e32 vcc_lo, 0, v127
	s_and_b32 s21, s20, vcc_lo
	s_and_saveexec_b32 s20, s21
	s_cbranch_execz .LBB1945_426
; %bb.425:                              ;   in Loop: Header=BB1945_394 Depth=2
	s_waitcnt lgkmcnt(0)
	v_bcnt_u32_b32 v22, v22, v125
	ds_write_b32 v128, v22 offset:1056
.LBB1945_426:                           ;   in Loop: Header=BB1945_394 Depth=2
	s_or_b32 exec_lo, exec_lo, s20
	v_cmp_gt_i16_e32 vcc_lo, 0, v23
	; wave barrier
	v_cndmask_b32_e64 v22, 0x7fff, 0, vcc_lo
	v_xor_b32_e32 v126, v22, v23
	v_cmp_ne_u16_e32 vcc_lo, 0x8000, v126
	v_cndmask_b32_e32 v22, 0x7fff, v126, vcc_lo
	v_lshrrev_b32_sdwa v22, s49, v22 dst_sel:DWORD dst_unused:UNUSED_PAD src0_sel:DWORD src1_sel:WORD_0
	v_and_b32_e32 v23, s43, v22
	v_and_b32_e32 v22, 1, v23
	v_lshlrev_b32_e32 v24, 30, v23
	v_lshlrev_b32_e32 v25, 29, v23
	;; [unrolled: 1-line block ×4, first 2 shown]
	v_add_co_u32 v22, s20, v22, -1
	v_cndmask_b32_e64 v27, 0, 1, s20
	v_not_b32_e32 v131, v24
	v_cmp_gt_i32_e64 s20, 0, v24
	v_not_b32_e32 v24, v25
	v_lshlrev_b32_e32 v129, 26, v23
	v_cmp_ne_u32_e32 vcc_lo, 0, v27
	v_ashrrev_i32_e32 v131, 31, v131
	v_lshlrev_b32_e32 v130, 25, v23
	v_ashrrev_i32_e32 v24, 31, v24
	v_lshlrev_b32_e32 v27, 24, v23
	v_xor_b32_e32 v22, vcc_lo, v22
	v_cmp_gt_i32_e32 vcc_lo, 0, v25
	v_not_b32_e32 v25, v26
	v_xor_b32_e32 v131, s20, v131
	v_cmp_gt_i32_e64 s20, 0, v26
	v_and_b32_e32 v22, exec_lo, v22
	v_not_b32_e32 v26, v28
	v_ashrrev_i32_e32 v25, 31, v25
	v_xor_b32_e32 v24, vcc_lo, v24
	v_cmp_gt_i32_e32 vcc_lo, 0, v28
	v_and_b32_e32 v22, v22, v131
	v_not_b32_e32 v28, v129
	v_ashrrev_i32_e32 v26, 31, v26
	v_xor_b32_e32 v25, s20, v25
	v_cmp_gt_i32_e64 s20, 0, v129
	v_and_b32_e32 v22, v22, v24
	v_not_b32_e32 v24, v130
	v_ashrrev_i32_e32 v28, 31, v28
	v_xor_b32_e32 v26, vcc_lo, v26
	v_cmp_gt_i32_e32 vcc_lo, 0, v130
	v_and_b32_e32 v22, v22, v25
	v_not_b32_e32 v25, v27
	v_ashrrev_i32_e32 v24, 31, v24
	v_xor_b32_e32 v28, s20, v28
	v_cmp_gt_i32_e64 s20, 0, v27
	v_and_b32_e32 v22, v22, v26
	v_ashrrev_i32_e32 v25, 31, v25
	v_xor_b32_e32 v24, vcc_lo, v24
	v_mad_u32_u24 v26, v23, 36, v96
	v_mul_u32_u24_e32 v23, 36, v23
	v_and_b32_e32 v22, v22, v28
	v_xor_b32_e32 v25, s20, v25
	ds_read_b32 v129, v26 offset:1056
	v_add_nc_u32_e32 v132, v96, v23
	v_and_b32_e32 v22, v22, v24
	; wave barrier
	v_and_b32_e32 v22, v22, v25
	v_mbcnt_lo_u32_b32 v131, v22, 0
	v_cmp_ne_u32_e64 s20, 0, v22
	v_cmp_eq_u32_e32 vcc_lo, 0, v131
	s_and_b32 s21, s20, vcc_lo
	s_and_saveexec_b32 s20, s21
	s_cbranch_execz .LBB1945_428
; %bb.427:                              ;   in Loop: Header=BB1945_394 Depth=2
	s_waitcnt lgkmcnt(0)
	v_bcnt_u32_b32 v22, v22, v129
	ds_write_b32 v132, v22 offset:1056
.LBB1945_428:                           ;   in Loop: Header=BB1945_394 Depth=2
	s_or_b32 exec_lo, exec_lo, s20
	v_cmp_gt_i16_e32 vcc_lo, 0, v21
	; wave barrier
	v_cndmask_b32_e64 v22, 0x7fff, 0, vcc_lo
	v_xor_b32_e32 v130, v22, v21
	v_cmp_ne_u16_e32 vcc_lo, 0x8000, v130
	v_cndmask_b32_e32 v21, 0x7fff, v130, vcc_lo
	v_lshrrev_b32_sdwa v21, s49, v21 dst_sel:DWORD dst_unused:UNUSED_PAD src0_sel:DWORD src1_sel:WORD_0
	v_and_b32_e32 v22, s43, v21
	v_and_b32_e32 v21, 1, v22
	v_lshlrev_b32_e32 v23, 30, v22
	v_lshlrev_b32_e32 v24, 29, v22
	;; [unrolled: 1-line block ×4, first 2 shown]
	v_add_co_u32 v21, s20, v21, -1
	v_cndmask_b32_e64 v26, 0, 1, s20
	v_not_b32_e32 v134, v23
	v_cmp_gt_i32_e64 s20, 0, v23
	v_not_b32_e32 v23, v24
	v_lshlrev_b32_e32 v28, 26, v22
	v_cmp_ne_u32_e32 vcc_lo, 0, v26
	v_ashrrev_i32_e32 v134, 31, v134
	v_lshlrev_b32_e32 v133, 25, v22
	v_ashrrev_i32_e32 v23, 31, v23
	v_lshlrev_b32_e32 v26, 24, v22
	v_xor_b32_e32 v21, vcc_lo, v21
	v_cmp_gt_i32_e32 vcc_lo, 0, v24
	v_not_b32_e32 v24, v25
	v_xor_b32_e32 v134, s20, v134
	v_cmp_gt_i32_e64 s20, 0, v25
	v_and_b32_e32 v21, exec_lo, v21
	v_not_b32_e32 v25, v27
	v_ashrrev_i32_e32 v24, 31, v24
	v_xor_b32_e32 v23, vcc_lo, v23
	v_cmp_gt_i32_e32 vcc_lo, 0, v27
	v_and_b32_e32 v21, v21, v134
	v_not_b32_e32 v27, v28
	v_ashrrev_i32_e32 v25, 31, v25
	v_xor_b32_e32 v24, s20, v24
	v_cmp_gt_i32_e64 s20, 0, v28
	v_and_b32_e32 v21, v21, v23
	v_not_b32_e32 v23, v133
	v_ashrrev_i32_e32 v27, 31, v27
	v_xor_b32_e32 v25, vcc_lo, v25
	v_cmp_gt_i32_e32 vcc_lo, 0, v133
	v_and_b32_e32 v21, v21, v24
	v_not_b32_e32 v24, v26
	v_ashrrev_i32_e32 v23, 31, v23
	v_xor_b32_e32 v27, s20, v27
	v_cmp_gt_i32_e64 s20, 0, v26
	v_and_b32_e32 v21, v21, v25
	v_ashrrev_i32_e32 v24, 31, v24
	v_xor_b32_e32 v23, vcc_lo, v23
	v_mad_u32_u24 v25, v22, 36, v96
	v_mul_u32_u24_e32 v22, 36, v22
	v_and_b32_e32 v21, v21, v27
	v_xor_b32_e32 v24, s20, v24
	ds_read_b32 v133, v25 offset:1056
	v_add_nc_u32_e32 v135, v96, v22
	v_and_b32_e32 v21, v21, v23
	; wave barrier
	v_and_b32_e32 v21, v21, v24
	v_mbcnt_lo_u32_b32 v134, v21, 0
	v_cmp_ne_u32_e64 s20, 0, v21
	v_cmp_eq_u32_e32 vcc_lo, 0, v134
	s_and_b32 s21, s20, vcc_lo
	s_and_saveexec_b32 s20, s21
	s_cbranch_execz .LBB1945_430
; %bb.429:                              ;   in Loop: Header=BB1945_394 Depth=2
	s_waitcnt lgkmcnt(0)
	v_bcnt_u32_b32 v21, v21, v133
	ds_write_b32 v135, v21 offset:1056
.LBB1945_430:                           ;   in Loop: Header=BB1945_394 Depth=2
	s_or_b32 exec_lo, exec_lo, s20
	; wave barrier
	s_waitcnt lgkmcnt(0)
	s_barrier
	buffer_gl0_inv
	ds_read2_b32 v[27:28], v78 offset1:1
	ds_read2_b32 v[25:26], v88 offset1:1
	;; [unrolled: 1-line block ×4, first 2 shown]
	ds_read_b32 v136, v44 offset:1088
	s_waitcnt lgkmcnt(3)
	v_add3_u32 v137, v28, v27, v25
	s_waitcnt lgkmcnt(2)
	v_add3_u32 v137, v137, v26, v23
	;; [unrolled: 2-line block ×4, first 2 shown]
	v_mov_b32_dpp v137, v136 row_shr:1 row_mask:0xf bank_mask:0xf
	v_cndmask_b32_e64 v137, v137, 0, s5
	v_add_nc_u32_e32 v136, v137, v136
	v_mov_b32_dpp v137, v136 row_shr:2 row_mask:0xf bank_mask:0xf
	v_cndmask_b32_e64 v137, 0, v137, s13
	v_add_nc_u32_e32 v136, v136, v137
	;; [unrolled: 3-line block ×4, first 2 shown]
	ds_swizzle_b32 v137, v136 offset:swizzle(BROADCAST,32,15)
	s_waitcnt lgkmcnt(0)
	v_cndmask_b32_e64 v137, v137, 0, s16
	v_add_nc_u32_e32 v136, v136, v137
	s_and_saveexec_b32 s20, s8
; %bb.431:                              ;   in Loop: Header=BB1945_394 Depth=2
	ds_write_b32 v39, v136 offset:1024
; %bb.432:                              ;   in Loop: Header=BB1945_394 Depth=2
	s_or_b32 exec_lo, exec_lo, s20
	s_waitcnt lgkmcnt(0)
	s_barrier
	buffer_gl0_inv
	s_and_saveexec_b32 s20, s9
	s_cbranch_execz .LBB1945_434
; %bb.433:                              ;   in Loop: Header=BB1945_394 Depth=2
	ds_read_b32 v137, v46 offset:1024
	s_waitcnt lgkmcnt(0)
	v_mov_b32_dpp v138, v137 row_shr:1 row_mask:0xf bank_mask:0xf
	v_cndmask_b32_e64 v138, v138, 0, s17
	v_add_nc_u32_e32 v137, v138, v137
	v_mov_b32_dpp v138, v137 row_shr:2 row_mask:0xf bank_mask:0xf
	v_cndmask_b32_e64 v138, 0, v138, s18
	v_add_nc_u32_e32 v137, v137, v138
	;; [unrolled: 3-line block ×3, first 2 shown]
	ds_write_b32 v46, v137 offset:1024
.LBB1945_434:                           ;   in Loop: Header=BB1945_394 Depth=2
	s_or_b32 exec_lo, exec_lo, s20
	v_mov_b32_e32 v137, 0
	s_waitcnt lgkmcnt(0)
	s_barrier
	buffer_gl0_inv
	s_and_saveexec_b32 s20, s10
; %bb.435:                              ;   in Loop: Header=BB1945_394 Depth=2
	ds_read_b32 v137, v39 offset:1020
; %bb.436:                              ;   in Loop: Header=BB1945_394 Depth=2
	s_or_b32 exec_lo, exec_lo, s20
	s_waitcnt lgkmcnt(0)
	v_add_nc_u32_e32 v136, v137, v136
	ds_bpermute_b32 v136, v91, v136
	s_waitcnt lgkmcnt(0)
	v_cndmask_b32_e64 v136, v136, v137, s12
	v_cndmask_b32_e64 v136, v136, 0, s4
	v_add_nc_u32_e32 v27, v136, v27
	v_add_nc_u32_e32 v28, v27, v28
	;; [unrolled: 1-line block ×8, first 2 shown]
	ds_write2_b32 v78, v136, v27 offset1:1
	ds_write2_b32 v88, v28, v25 offset1:1
	;; [unrolled: 1-line block ×4, first 2 shown]
	ds_write_b32 v44, v22 offset:1088
	s_waitcnt lgkmcnt(0)
	s_barrier
	buffer_gl0_inv
	ds_read_b32 v24, v108 offset:1056
	ds_read_b32 v25, v112 offset:1056
	;; [unrolled: 1-line block ×9, first 2 shown]
	v_mov_b32_e32 v23, 0x800
	s_and_saveexec_b32 s20, s11
; %bb.437:                              ;   in Loop: Header=BB1945_394 Depth=2
	ds_read_b32 v23, v44 offset:1092
; %bb.438:                              ;   in Loop: Header=BB1945_394 Depth=2
	s_or_b32 exec_lo, exec_lo, s20
	s_waitcnt lgkmcnt(0)
	s_barrier
	buffer_gl0_inv
	s_and_saveexec_b32 s20, s7
	s_cbranch_execz .LBB1945_440
; %bb.439:                              ;   in Loop: Header=BB1945_394 Depth=2
	ds_read_b32 v112, v29
	s_waitcnt lgkmcnt(0)
	v_sub_nc_u32_e32 v108, v112, v108
	ds_write_b32 v29, v108
.LBB1945_440:                           ;   in Loop: Header=BB1945_394 Depth=2
	s_or_b32 exec_lo, exec_lo, s20
	v_add_nc_u32_e32 v112, v24, v106
	v_add3_u32 v108, v110, v109, v25
	v_add3_u32 v106, v115, v113, v26
	;; [unrolled: 1-line block ×4, first 2 shown]
	v_lshlrev_b32_e32 v109, 1, v112
	v_lshlrev_b32_e32 v110, 1, v108
	v_add3_u32 v27, v131, v129, v22
	v_lshlrev_b32_e32 v22, 1, v106
	v_add3_u32 v28, v134, v133, v21
	ds_write_b16 v109, v3 offset:1024
	ds_write_b16 v110, v107 offset:1024
	v_lshlrev_b32_e32 v3, 1, v26
	v_add3_u32 v24, v127, v125, v116
	ds_write_b16 v22, v111 offset:1024
	v_lshlrev_b32_e32 v21, 1, v25
	v_cmp_lt_u32_e32 vcc_lo, v0, v105
	ds_write_b16 v3, v114 offset:1024
	v_lshlrev_b32_e32 v3, 1, v28
	v_lshlrev_b32_e32 v22, 1, v24
	;; [unrolled: 1-line block ×3, first 2 shown]
	ds_write_b16 v21, v118 offset:1024
	ds_write_b16 v22, v122 offset:1024
	;; [unrolled: 1-line block ×4, first 2 shown]
	s_waitcnt lgkmcnt(0)
	s_barrier
	buffer_gl0_inv
	s_and_saveexec_b32 s21, vcc_lo
	s_cbranch_execnz .LBB1945_477
; %bb.441:                              ;   in Loop: Header=BB1945_394 Depth=2
	s_or_b32 exec_lo, exec_lo, s21
	v_cmp_lt_u32_e64 s20, v30, v105
	s_and_saveexec_b32 s22, s20
	s_cbranch_execnz .LBB1945_478
.LBB1945_442:                           ;   in Loop: Header=BB1945_394 Depth=2
	s_or_b32 exec_lo, exec_lo, s22
	v_cmp_lt_u32_e64 s21, v31, v105
	s_and_saveexec_b32 s23, s21
	s_cbranch_execnz .LBB1945_479
.LBB1945_443:                           ;   in Loop: Header=BB1945_394 Depth=2
	s_or_b32 exec_lo, exec_lo, s23
	v_cmp_lt_u32_e64 s22, v32, v105
	s_and_saveexec_b32 s24, s22
	s_cbranch_execnz .LBB1945_480
.LBB1945_444:                           ;   in Loop: Header=BB1945_394 Depth=2
	s_or_b32 exec_lo, exec_lo, s24
	v_cmp_lt_u32_e64 s23, v35, v105
	s_and_saveexec_b32 s25, s23
	s_cbranch_execnz .LBB1945_481
.LBB1945_445:                           ;   in Loop: Header=BB1945_394 Depth=2
	s_or_b32 exec_lo, exec_lo, s25
	v_cmp_lt_u32_e64 s24, v36, v105
	s_and_saveexec_b32 s26, s24
	s_cbranch_execnz .LBB1945_482
.LBB1945_446:                           ;   in Loop: Header=BB1945_394 Depth=2
	s_or_b32 exec_lo, exec_lo, s26
	v_cmp_lt_u32_e64 s25, v37, v105
	s_and_saveexec_b32 s28, s25
	s_cbranch_execnz .LBB1945_483
.LBB1945_447:                           ;   in Loop: Header=BB1945_394 Depth=2
	s_or_b32 exec_lo, exec_lo, s28
	v_cmp_lt_u32_e64 s26, v38, v105
	s_and_saveexec_b32 s54, s26
	s_cbranch_execz .LBB1945_449
.LBB1945_448:                           ;   in Loop: Header=BB1945_394 Depth=2
	ds_read_u16 v107, v47 offset:4608
	s_waitcnt lgkmcnt(0)
	v_cmp_ne_u16_e64 s28, 0x8000, v107
	v_cndmask_b32_e64 v3, 0x7fff, v107, s28
	v_cmp_gt_i16_e64 s28, 0, v107
	v_lshrrev_b32_sdwa v3, s49, v3 dst_sel:DWORD dst_unused:UNUSED_PAD src0_sel:DWORD src1_sel:WORD_0
	v_cndmask_b32_e64 v109, 0x7fff, 0, s28
	v_and_b32_e32 v3, s43, v3
	v_lshlrev_b32_e32 v3, 2, v3
	ds_read_b32 v3, v3
	s_waitcnt lgkmcnt(0)
	v_add_nc_u32_e32 v3, v3, v38
	v_lshlrev_b64 v[21:22], 1, v[3:4]
	v_xor_b32_e32 v3, v109, v107
	v_add_co_u32 v21, s28, s38, v21
	v_add_co_ci_u32_e64 v22, null, s39, v22, s28
	global_store_short v[21:22], v3, off
.LBB1945_449:                           ;   in Loop: Header=BB1945_394 Depth=2
	s_or_b32 exec_lo, exec_lo, s54
	s_lshl_b64 s[54:55], s[34:35], 3
	v_add_co_u32 v21, s28, v92, s54
	v_add_co_ci_u32_e64 v22, null, s55, v93, s28
	v_cmp_lt_u32_e64 s28, v66, v105
	s_and_saveexec_b32 s34, s28
	s_xor_b32 s28, exec_lo, s34
	s_cbranch_execnz .LBB1945_484
; %bb.450:                              ;   in Loop: Header=BB1945_394 Depth=2
	s_or_b32 exec_lo, exec_lo, s28
	s_mov_b32 s34, exec_lo
	v_cmpx_lt_u32_e64 v70, v105
	s_cbranch_execnz .LBB1945_485
.LBB1945_451:                           ;   in Loop: Header=BB1945_394 Depth=2
	s_or_b32 exec_lo, exec_lo, s34
	s_mov_b32 s34, exec_lo
	v_cmpx_lt_u32_e64 v71, v105
	s_cbranch_execnz .LBB1945_486
.LBB1945_452:                           ;   in Loop: Header=BB1945_394 Depth=2
	s_or_b32 exec_lo, exec_lo, s34
	s_mov_b32 s34, exec_lo
	v_cmpx_lt_u32_e64 v72, v105
	s_cbranch_execnz .LBB1945_487
.LBB1945_453:                           ;   in Loop: Header=BB1945_394 Depth=2
	s_or_b32 exec_lo, exec_lo, s34
	s_mov_b32 s34, exec_lo
	v_cmpx_lt_u32_e64 v73, v105
	s_cbranch_execnz .LBB1945_488
.LBB1945_454:                           ;   in Loop: Header=BB1945_394 Depth=2
	s_or_b32 exec_lo, exec_lo, s34
	s_mov_b32 s34, exec_lo
	v_cmpx_lt_u32_e64 v74, v105
	s_cbranch_execnz .LBB1945_489
.LBB1945_455:                           ;   in Loop: Header=BB1945_394 Depth=2
	s_or_b32 exec_lo, exec_lo, s34
	s_mov_b32 s34, exec_lo
	v_cmpx_lt_u32_e64 v75, v105
	s_cbranch_execnz .LBB1945_490
.LBB1945_456:                           ;   in Loop: Header=BB1945_394 Depth=2
	s_or_b32 exec_lo, exec_lo, s34
	s_mov_b32 s34, exec_lo
	v_cmpx_lt_u32_e64 v76, v105
	s_cbranch_execnz .LBB1945_491
.LBB1945_457:                           ;   in Loop: Header=BB1945_394 Depth=2
	s_or_b32 exec_lo, exec_lo, s34
	s_and_saveexec_b32 s34, vcc_lo
	s_cbranch_execnz .LBB1945_492
.LBB1945_458:                           ;   in Loop: Header=BB1945_394 Depth=2
	s_or_b32 exec_lo, exec_lo, s34
	s_and_saveexec_b32 s34, s20
	s_cbranch_execnz .LBB1945_493
.LBB1945_459:                           ;   in Loop: Header=BB1945_394 Depth=2
	s_or_b32 exec_lo, exec_lo, s34
	s_and_saveexec_b32 s34, s21
	s_cbranch_execnz .LBB1945_494
.LBB1945_460:                           ;   in Loop: Header=BB1945_394 Depth=2
	s_or_b32 exec_lo, exec_lo, s34
	s_and_saveexec_b32 s34, s22
	s_cbranch_execnz .LBB1945_495
.LBB1945_461:                           ;   in Loop: Header=BB1945_394 Depth=2
	s_or_b32 exec_lo, exec_lo, s34
	s_and_saveexec_b32 s34, s23
	s_cbranch_execnz .LBB1945_496
.LBB1945_462:                           ;   in Loop: Header=BB1945_394 Depth=2
	s_or_b32 exec_lo, exec_lo, s34
	s_and_saveexec_b32 s34, s24
	s_cbranch_execnz .LBB1945_497
.LBB1945_463:                           ;   in Loop: Header=BB1945_394 Depth=2
	s_or_b32 exec_lo, exec_lo, s34
	s_and_saveexec_b32 s34, s25
	s_cbranch_execnz .LBB1945_498
.LBB1945_464:                           ;   in Loop: Header=BB1945_394 Depth=2
	s_or_b32 exec_lo, exec_lo, s34
	s_and_saveexec_b32 s34, s26
	s_cbranch_execz .LBB1945_466
.LBB1945_465:                           ;   in Loop: Header=BB1945_394 Depth=2
	ds_read_u16 v3, v47 offset:4608
	s_waitcnt lgkmcnt(0)
	v_cmp_ne_u16_e64 s28, 0x8000, v3
	v_cndmask_b32_e64 v3, 0x7fff, v3, s28
	v_lshrrev_b32_sdwa v3, s49, v3 dst_sel:DWORD dst_unused:UNUSED_PAD src0_sel:DWORD src1_sel:WORD_0
	v_and_b32_e32 v97, s43, v3
.LBB1945_466:                           ;   in Loop: Header=BB1945_394 Depth=2
	s_or_b32 exec_lo, exec_lo, s34
	v_lshlrev_b32_e32 v3, 3, v112
	v_lshlrev_b32_e32 v21, 3, v108
	;; [unrolled: 1-line block ×3, first 2 shown]
	s_waitcnt vmcnt(0)
	s_waitcnt_vscnt null, 0x0
	s_barrier
	buffer_gl0_inv
	ds_write_b64 v3, v[19:20] offset:1024
	ds_write_b64 v21, v[17:18] offset:1024
	;; [unrolled: 1-line block ×3, first 2 shown]
	v_lshlrev_b32_e32 v3, 3, v26
	v_lshlrev_b32_e32 v21, 3, v25
	;; [unrolled: 1-line block ×5, first 2 shown]
	ds_write_b64 v3, v[13:14] offset:1024
	ds_write_b64 v21, v[11:12] offset:1024
	;; [unrolled: 1-line block ×5, first 2 shown]
	s_waitcnt lgkmcnt(0)
	s_barrier
	buffer_gl0_inv
	s_and_saveexec_b32 s28, vcc_lo
	s_cbranch_execnz .LBB1945_499
; %bb.467:                              ;   in Loop: Header=BB1945_394 Depth=2
	s_or_b32 exec_lo, exec_lo, s28
	s_and_saveexec_b32 s28, s20
	s_cbranch_execnz .LBB1945_500
.LBB1945_468:                           ;   in Loop: Header=BB1945_394 Depth=2
	s_or_b32 exec_lo, exec_lo, s28
	s_and_saveexec_b32 s20, s21
	s_cbranch_execnz .LBB1945_501
.LBB1945_469:                           ;   in Loop: Header=BB1945_394 Depth=2
	s_or_b32 exec_lo, exec_lo, s20
	s_and_saveexec_b32 s20, s22
	s_cbranch_execnz .LBB1945_502
.LBB1945_470:                           ;   in Loop: Header=BB1945_394 Depth=2
	s_or_b32 exec_lo, exec_lo, s20
	s_and_saveexec_b32 s20, s23
	s_cbranch_execnz .LBB1945_503
.LBB1945_471:                           ;   in Loop: Header=BB1945_394 Depth=2
	s_or_b32 exec_lo, exec_lo, s20
	s_and_saveexec_b32 s20, s24
	s_cbranch_execnz .LBB1945_504
.LBB1945_472:                           ;   in Loop: Header=BB1945_394 Depth=2
	s_or_b32 exec_lo, exec_lo, s20
	s_and_saveexec_b32 s20, s25
	s_cbranch_execnz .LBB1945_505
.LBB1945_473:                           ;   in Loop: Header=BB1945_394 Depth=2
	s_or_b32 exec_lo, exec_lo, s20
	s_and_saveexec_b32 s20, s26
	s_cbranch_execz .LBB1945_475
.LBB1945_474:                           ;   in Loop: Header=BB1945_394 Depth=2
	v_lshlrev_b32_e32 v3, 2, v97
	v_add_nc_u32_e32 v21, v47, v48
	ds_read_b32 v3, v3
	ds_read_b64 v[21:22], v21 offset:15360
	s_waitcnt lgkmcnt(1)
	v_add_nc_u32_e32 v3, v3, v38
	v_lshlrev_b64 v[24:25], 3, v[3:4]
	v_add_co_u32 v24, vcc_lo, s44, v24
	v_add_co_ci_u32_e64 v25, null, s45, v25, vcc_lo
	s_waitcnt lgkmcnt(0)
	global_store_dwordx2 v[24:25], v[21:22], off
.LBB1945_475:                           ;   in Loop: Header=BB1945_394 Depth=2
	s_or_b32 exec_lo, exec_lo, s20
	s_waitcnt_vscnt null, 0x0
	s_barrier
	buffer_gl0_inv
	s_and_saveexec_b32 s20, s7
	s_cbranch_execz .LBB1945_393
; %bb.476:                              ;   in Loop: Header=BB1945_394 Depth=2
	ds_read_b32 v3, v29
	s_waitcnt lgkmcnt(0)
	v_add_nc_u32_e32 v3, v3, v23
	ds_write_b32 v29, v3
	s_branch .LBB1945_393
.LBB1945_477:                           ;   in Loop: Header=BB1945_394 Depth=2
	ds_read_u16 v107, v47 offset:1024
	s_waitcnt lgkmcnt(0)
	v_cmp_ne_u16_e64 s20, 0x8000, v107
	v_cndmask_b32_e64 v3, 0x7fff, v107, s20
	v_cmp_gt_i16_e64 s20, 0, v107
	v_lshrrev_b32_sdwa v3, s49, v3 dst_sel:DWORD dst_unused:UNUSED_PAD src0_sel:DWORD src1_sel:WORD_0
	v_cndmask_b32_e64 v109, 0x7fff, 0, s20
	v_and_b32_e32 v3, s43, v3
	v_lshlrev_b32_e32 v3, 2, v3
	ds_read_b32 v3, v3
	s_waitcnt lgkmcnt(0)
	v_add_nc_u32_e32 v3, v3, v0
	v_lshlrev_b64 v[21:22], 1, v[3:4]
	v_xor_b32_e32 v3, v109, v107
	v_add_co_u32 v21, s20, s38, v21
	v_add_co_ci_u32_e64 v22, null, s39, v22, s20
	global_store_short v[21:22], v3, off
	s_or_b32 exec_lo, exec_lo, s21
	v_cmp_lt_u32_e64 s20, v30, v105
	s_and_saveexec_b32 s22, s20
	s_cbranch_execz .LBB1945_442
.LBB1945_478:                           ;   in Loop: Header=BB1945_394 Depth=2
	ds_read_u16 v107, v47 offset:1536
	s_waitcnt lgkmcnt(0)
	v_cmp_ne_u16_e64 s21, 0x8000, v107
	v_cndmask_b32_e64 v3, 0x7fff, v107, s21
	v_cmp_gt_i16_e64 s21, 0, v107
	v_lshrrev_b32_sdwa v3, s49, v3 dst_sel:DWORD dst_unused:UNUSED_PAD src0_sel:DWORD src1_sel:WORD_0
	v_cndmask_b32_e64 v109, 0x7fff, 0, s21
	v_and_b32_e32 v3, s43, v3
	v_lshlrev_b32_e32 v3, 2, v3
	ds_read_b32 v3, v3
	s_waitcnt lgkmcnt(0)
	v_add_nc_u32_e32 v3, v3, v30
	v_lshlrev_b64 v[21:22], 1, v[3:4]
	v_xor_b32_e32 v3, v109, v107
	v_add_co_u32 v21, s21, s38, v21
	v_add_co_ci_u32_e64 v22, null, s39, v22, s21
	global_store_short v[21:22], v3, off
	s_or_b32 exec_lo, exec_lo, s22
	v_cmp_lt_u32_e64 s21, v31, v105
	s_and_saveexec_b32 s23, s21
	s_cbranch_execz .LBB1945_443
.LBB1945_479:                           ;   in Loop: Header=BB1945_394 Depth=2
	ds_read_u16 v107, v47 offset:2048
	s_waitcnt lgkmcnt(0)
	v_cmp_ne_u16_e64 s22, 0x8000, v107
	v_cndmask_b32_e64 v3, 0x7fff, v107, s22
	v_cmp_gt_i16_e64 s22, 0, v107
	v_lshrrev_b32_sdwa v3, s49, v3 dst_sel:DWORD dst_unused:UNUSED_PAD src0_sel:DWORD src1_sel:WORD_0
	v_cndmask_b32_e64 v109, 0x7fff, 0, s22
	v_and_b32_e32 v3, s43, v3
	v_lshlrev_b32_e32 v3, 2, v3
	ds_read_b32 v3, v3
	s_waitcnt lgkmcnt(0)
	v_add_nc_u32_e32 v3, v3, v31
	v_lshlrev_b64 v[21:22], 1, v[3:4]
	v_xor_b32_e32 v3, v109, v107
	v_add_co_u32 v21, s22, s38, v21
	v_add_co_ci_u32_e64 v22, null, s39, v22, s22
	global_store_short v[21:22], v3, off
	s_or_b32 exec_lo, exec_lo, s23
	v_cmp_lt_u32_e64 s22, v32, v105
	s_and_saveexec_b32 s24, s22
	s_cbranch_execz .LBB1945_444
.LBB1945_480:                           ;   in Loop: Header=BB1945_394 Depth=2
	ds_read_u16 v107, v47 offset:2560
	s_waitcnt lgkmcnt(0)
	v_cmp_ne_u16_e64 s23, 0x8000, v107
	v_cndmask_b32_e64 v3, 0x7fff, v107, s23
	v_cmp_gt_i16_e64 s23, 0, v107
	v_lshrrev_b32_sdwa v3, s49, v3 dst_sel:DWORD dst_unused:UNUSED_PAD src0_sel:DWORD src1_sel:WORD_0
	v_cndmask_b32_e64 v109, 0x7fff, 0, s23
	v_and_b32_e32 v3, s43, v3
	v_lshlrev_b32_e32 v3, 2, v3
	ds_read_b32 v3, v3
	s_waitcnt lgkmcnt(0)
	v_add_nc_u32_e32 v3, v3, v32
	v_lshlrev_b64 v[21:22], 1, v[3:4]
	v_xor_b32_e32 v3, v109, v107
	v_add_co_u32 v21, s23, s38, v21
	v_add_co_ci_u32_e64 v22, null, s39, v22, s23
	global_store_short v[21:22], v3, off
	s_or_b32 exec_lo, exec_lo, s24
	v_cmp_lt_u32_e64 s23, v35, v105
	s_and_saveexec_b32 s25, s23
	s_cbranch_execz .LBB1945_445
.LBB1945_481:                           ;   in Loop: Header=BB1945_394 Depth=2
	ds_read_u16 v107, v47 offset:3072
	s_waitcnt lgkmcnt(0)
	v_cmp_ne_u16_e64 s24, 0x8000, v107
	v_cndmask_b32_e64 v3, 0x7fff, v107, s24
	v_cmp_gt_i16_e64 s24, 0, v107
	v_lshrrev_b32_sdwa v3, s49, v3 dst_sel:DWORD dst_unused:UNUSED_PAD src0_sel:DWORD src1_sel:WORD_0
	v_cndmask_b32_e64 v109, 0x7fff, 0, s24
	v_and_b32_e32 v3, s43, v3
	v_lshlrev_b32_e32 v3, 2, v3
	ds_read_b32 v3, v3
	s_waitcnt lgkmcnt(0)
	v_add_nc_u32_e32 v3, v3, v35
	v_lshlrev_b64 v[21:22], 1, v[3:4]
	v_xor_b32_e32 v3, v109, v107
	v_add_co_u32 v21, s24, s38, v21
	v_add_co_ci_u32_e64 v22, null, s39, v22, s24
	global_store_short v[21:22], v3, off
	s_or_b32 exec_lo, exec_lo, s25
	v_cmp_lt_u32_e64 s24, v36, v105
	s_and_saveexec_b32 s26, s24
	s_cbranch_execz .LBB1945_446
.LBB1945_482:                           ;   in Loop: Header=BB1945_394 Depth=2
	ds_read_u16 v107, v47 offset:3584
	s_waitcnt lgkmcnt(0)
	v_cmp_ne_u16_e64 s25, 0x8000, v107
	v_cndmask_b32_e64 v3, 0x7fff, v107, s25
	v_cmp_gt_i16_e64 s25, 0, v107
	v_lshrrev_b32_sdwa v3, s49, v3 dst_sel:DWORD dst_unused:UNUSED_PAD src0_sel:DWORD src1_sel:WORD_0
	v_cndmask_b32_e64 v109, 0x7fff, 0, s25
	v_and_b32_e32 v3, s43, v3
	v_lshlrev_b32_e32 v3, 2, v3
	ds_read_b32 v3, v3
	s_waitcnt lgkmcnt(0)
	v_add_nc_u32_e32 v3, v3, v36
	v_lshlrev_b64 v[21:22], 1, v[3:4]
	v_xor_b32_e32 v3, v109, v107
	v_add_co_u32 v21, s25, s38, v21
	v_add_co_ci_u32_e64 v22, null, s39, v22, s25
	global_store_short v[21:22], v3, off
	s_or_b32 exec_lo, exec_lo, s26
	v_cmp_lt_u32_e64 s25, v37, v105
	s_and_saveexec_b32 s28, s25
	s_cbranch_execz .LBB1945_447
.LBB1945_483:                           ;   in Loop: Header=BB1945_394 Depth=2
	ds_read_u16 v107, v47 offset:4096
	s_waitcnt lgkmcnt(0)
	v_cmp_ne_u16_e64 s26, 0x8000, v107
	v_cndmask_b32_e64 v3, 0x7fff, v107, s26
	v_cmp_gt_i16_e64 s26, 0, v107
	v_lshrrev_b32_sdwa v3, s49, v3 dst_sel:DWORD dst_unused:UNUSED_PAD src0_sel:DWORD src1_sel:WORD_0
	v_cndmask_b32_e64 v109, 0x7fff, 0, s26
	v_and_b32_e32 v3, s43, v3
	v_lshlrev_b32_e32 v3, 2, v3
	ds_read_b32 v3, v3
	s_waitcnt lgkmcnt(0)
	v_add_nc_u32_e32 v3, v3, v37
	v_lshlrev_b64 v[21:22], 1, v[3:4]
	v_xor_b32_e32 v3, v109, v107
	v_add_co_u32 v21, s26, s38, v21
	v_add_co_ci_u32_e64 v22, null, s39, v22, s26
	global_store_short v[21:22], v3, off
	s_or_b32 exec_lo, exec_lo, s28
	v_cmp_lt_u32_e64 s26, v38, v105
	s_and_saveexec_b32 s54, s26
	s_cbranch_execnz .LBB1945_448
	s_branch .LBB1945_449
.LBB1945_484:                           ;   in Loop: Header=BB1945_394 Depth=2
	global_load_dwordx2 v[19:20], v[21:22], off
	s_or_b32 exec_lo, exec_lo, s28
	s_mov_b32 s34, exec_lo
	v_cmpx_lt_u32_e64 v70, v105
	s_cbranch_execz .LBB1945_451
.LBB1945_485:                           ;   in Loop: Header=BB1945_394 Depth=2
	global_load_dwordx2 v[17:18], v[21:22], off offset:256
	s_or_b32 exec_lo, exec_lo, s34
	s_mov_b32 s34, exec_lo
	v_cmpx_lt_u32_e64 v71, v105
	s_cbranch_execz .LBB1945_452
.LBB1945_486:                           ;   in Loop: Header=BB1945_394 Depth=2
	global_load_dwordx2 v[15:16], v[21:22], off offset:512
	s_or_b32 exec_lo, exec_lo, s34
	s_mov_b32 s34, exec_lo
	v_cmpx_lt_u32_e64 v72, v105
	s_cbranch_execz .LBB1945_453
.LBB1945_487:                           ;   in Loop: Header=BB1945_394 Depth=2
	global_load_dwordx2 v[13:14], v[21:22], off offset:768
	s_or_b32 exec_lo, exec_lo, s34
	s_mov_b32 s34, exec_lo
	v_cmpx_lt_u32_e64 v73, v105
	s_cbranch_execz .LBB1945_454
.LBB1945_488:                           ;   in Loop: Header=BB1945_394 Depth=2
	global_load_dwordx2 v[11:12], v[21:22], off offset:1024
	s_or_b32 exec_lo, exec_lo, s34
	s_mov_b32 s34, exec_lo
	v_cmpx_lt_u32_e64 v74, v105
	s_cbranch_execz .LBB1945_455
.LBB1945_489:                           ;   in Loop: Header=BB1945_394 Depth=2
	global_load_dwordx2 v[9:10], v[21:22], off offset:1280
	s_or_b32 exec_lo, exec_lo, s34
	s_mov_b32 s34, exec_lo
	v_cmpx_lt_u32_e64 v75, v105
	s_cbranch_execz .LBB1945_456
.LBB1945_490:                           ;   in Loop: Header=BB1945_394 Depth=2
	global_load_dwordx2 v[7:8], v[21:22], off offset:1536
	s_or_b32 exec_lo, exec_lo, s34
	s_mov_b32 s34, exec_lo
	v_cmpx_lt_u32_e64 v76, v105
	s_cbranch_execz .LBB1945_457
.LBB1945_491:                           ;   in Loop: Header=BB1945_394 Depth=2
	global_load_dwordx2 v[5:6], v[21:22], off offset:1792
	s_or_b32 exec_lo, exec_lo, s34
	s_and_saveexec_b32 s34, vcc_lo
	s_cbranch_execz .LBB1945_458
.LBB1945_492:                           ;   in Loop: Header=BB1945_394 Depth=2
	ds_read_u16 v3, v47 offset:1024
	s_waitcnt lgkmcnt(0)
	v_cmp_ne_u16_e64 s28, 0x8000, v3
	v_cndmask_b32_e64 v3, 0x7fff, v3, s28
	v_lshrrev_b32_sdwa v3, s49, v3 dst_sel:DWORD dst_unused:UNUSED_PAD src0_sel:DWORD src1_sel:WORD_0
	v_and_b32_e32 v104, s43, v3
	s_or_b32 exec_lo, exec_lo, s34
	s_and_saveexec_b32 s34, s20
	s_cbranch_execz .LBB1945_459
.LBB1945_493:                           ;   in Loop: Header=BB1945_394 Depth=2
	ds_read_u16 v3, v47 offset:1536
	s_waitcnt lgkmcnt(0)
	v_cmp_ne_u16_e64 s28, 0x8000, v3
	v_cndmask_b32_e64 v3, 0x7fff, v3, s28
	v_lshrrev_b32_sdwa v3, s49, v3 dst_sel:DWORD dst_unused:UNUSED_PAD src0_sel:DWORD src1_sel:WORD_0
	v_and_b32_e32 v103, s43, v3
	s_or_b32 exec_lo, exec_lo, s34
	s_and_saveexec_b32 s34, s21
	s_cbranch_execz .LBB1945_460
.LBB1945_494:                           ;   in Loop: Header=BB1945_394 Depth=2
	ds_read_u16 v3, v47 offset:2048
	s_waitcnt lgkmcnt(0)
	v_cmp_ne_u16_e64 s28, 0x8000, v3
	v_cndmask_b32_e64 v3, 0x7fff, v3, s28
	v_lshrrev_b32_sdwa v3, s49, v3 dst_sel:DWORD dst_unused:UNUSED_PAD src0_sel:DWORD src1_sel:WORD_0
	v_and_b32_e32 v102, s43, v3
	s_or_b32 exec_lo, exec_lo, s34
	s_and_saveexec_b32 s34, s22
	s_cbranch_execz .LBB1945_461
.LBB1945_495:                           ;   in Loop: Header=BB1945_394 Depth=2
	ds_read_u16 v3, v47 offset:2560
	s_waitcnt lgkmcnt(0)
	v_cmp_ne_u16_e64 s28, 0x8000, v3
	v_cndmask_b32_e64 v3, 0x7fff, v3, s28
	v_lshrrev_b32_sdwa v3, s49, v3 dst_sel:DWORD dst_unused:UNUSED_PAD src0_sel:DWORD src1_sel:WORD_0
	v_and_b32_e32 v101, s43, v3
	s_or_b32 exec_lo, exec_lo, s34
	s_and_saveexec_b32 s34, s23
	s_cbranch_execz .LBB1945_462
.LBB1945_496:                           ;   in Loop: Header=BB1945_394 Depth=2
	ds_read_u16 v3, v47 offset:3072
	s_waitcnt lgkmcnt(0)
	v_cmp_ne_u16_e64 s28, 0x8000, v3
	v_cndmask_b32_e64 v3, 0x7fff, v3, s28
	v_lshrrev_b32_sdwa v3, s49, v3 dst_sel:DWORD dst_unused:UNUSED_PAD src0_sel:DWORD src1_sel:WORD_0
	v_and_b32_e32 v100, s43, v3
	s_or_b32 exec_lo, exec_lo, s34
	s_and_saveexec_b32 s34, s24
	s_cbranch_execz .LBB1945_463
.LBB1945_497:                           ;   in Loop: Header=BB1945_394 Depth=2
	ds_read_u16 v3, v47 offset:3584
	s_waitcnt lgkmcnt(0)
	v_cmp_ne_u16_e64 s28, 0x8000, v3
	v_cndmask_b32_e64 v3, 0x7fff, v3, s28
	v_lshrrev_b32_sdwa v3, s49, v3 dst_sel:DWORD dst_unused:UNUSED_PAD src0_sel:DWORD src1_sel:WORD_0
	v_and_b32_e32 v99, s43, v3
	s_or_b32 exec_lo, exec_lo, s34
	s_and_saveexec_b32 s34, s25
	s_cbranch_execz .LBB1945_464
.LBB1945_498:                           ;   in Loop: Header=BB1945_394 Depth=2
	ds_read_u16 v3, v47 offset:4096
	s_waitcnt lgkmcnt(0)
	v_cmp_ne_u16_e64 s28, 0x8000, v3
	v_cndmask_b32_e64 v3, 0x7fff, v3, s28
	v_lshrrev_b32_sdwa v3, s49, v3 dst_sel:DWORD dst_unused:UNUSED_PAD src0_sel:DWORD src1_sel:WORD_0
	v_and_b32_e32 v98, s43, v3
	s_or_b32 exec_lo, exec_lo, s34
	s_and_saveexec_b32 s34, s26
	s_cbranch_execnz .LBB1945_465
	s_branch .LBB1945_466
.LBB1945_499:                           ;   in Loop: Header=BB1945_394 Depth=2
	v_lshlrev_b32_e32 v3, 2, v104
	v_add_nc_u32_e32 v21, v47, v48
	ds_read_b32 v3, v3
	ds_read_b64 v[21:22], v21 offset:1024
	s_waitcnt lgkmcnt(1)
	v_add_nc_u32_e32 v3, v3, v0
	v_lshlrev_b64 v[24:25], 3, v[3:4]
	v_add_co_u32 v24, vcc_lo, s44, v24
	v_add_co_ci_u32_e64 v25, null, s45, v25, vcc_lo
	s_waitcnt lgkmcnt(0)
	global_store_dwordx2 v[24:25], v[21:22], off
	s_or_b32 exec_lo, exec_lo, s28
	s_and_saveexec_b32 s28, s20
	s_cbranch_execz .LBB1945_468
.LBB1945_500:                           ;   in Loop: Header=BB1945_394 Depth=2
	v_lshlrev_b32_e32 v3, 2, v103
	v_add_nc_u32_e32 v21, v47, v48
	ds_read_b32 v3, v3
	ds_read_b64 v[21:22], v21 offset:3072
	s_waitcnt lgkmcnt(1)
	v_add_nc_u32_e32 v3, v3, v30
	v_lshlrev_b64 v[24:25], 3, v[3:4]
	v_add_co_u32 v24, vcc_lo, s44, v24
	v_add_co_ci_u32_e64 v25, null, s45, v25, vcc_lo
	s_waitcnt lgkmcnt(0)
	global_store_dwordx2 v[24:25], v[21:22], off
	s_or_b32 exec_lo, exec_lo, s28
	s_and_saveexec_b32 s20, s21
	s_cbranch_execz .LBB1945_469
.LBB1945_501:                           ;   in Loop: Header=BB1945_394 Depth=2
	v_lshlrev_b32_e32 v3, 2, v102
	v_add_nc_u32_e32 v21, v47, v48
	ds_read_b32 v3, v3
	ds_read_b64 v[21:22], v21 offset:5120
	s_waitcnt lgkmcnt(1)
	v_add_nc_u32_e32 v3, v3, v31
	v_lshlrev_b64 v[24:25], 3, v[3:4]
	v_add_co_u32 v24, vcc_lo, s44, v24
	v_add_co_ci_u32_e64 v25, null, s45, v25, vcc_lo
	s_waitcnt lgkmcnt(0)
	global_store_dwordx2 v[24:25], v[21:22], off
	s_or_b32 exec_lo, exec_lo, s20
	s_and_saveexec_b32 s20, s22
	s_cbranch_execz .LBB1945_470
.LBB1945_502:                           ;   in Loop: Header=BB1945_394 Depth=2
	v_lshlrev_b32_e32 v3, 2, v101
	v_add_nc_u32_e32 v21, v47, v48
	ds_read_b32 v3, v3
	ds_read_b64 v[21:22], v21 offset:7168
	s_waitcnt lgkmcnt(1)
	v_add_nc_u32_e32 v3, v3, v32
	v_lshlrev_b64 v[24:25], 3, v[3:4]
	v_add_co_u32 v24, vcc_lo, s44, v24
	v_add_co_ci_u32_e64 v25, null, s45, v25, vcc_lo
	s_waitcnt lgkmcnt(0)
	global_store_dwordx2 v[24:25], v[21:22], off
	s_or_b32 exec_lo, exec_lo, s20
	s_and_saveexec_b32 s20, s23
	s_cbranch_execz .LBB1945_471
.LBB1945_503:                           ;   in Loop: Header=BB1945_394 Depth=2
	v_lshlrev_b32_e32 v3, 2, v100
	v_add_nc_u32_e32 v21, v47, v48
	ds_read_b32 v3, v3
	ds_read_b64 v[21:22], v21 offset:9216
	s_waitcnt lgkmcnt(1)
	v_add_nc_u32_e32 v3, v3, v35
	v_lshlrev_b64 v[24:25], 3, v[3:4]
	v_add_co_u32 v24, vcc_lo, s44, v24
	v_add_co_ci_u32_e64 v25, null, s45, v25, vcc_lo
	s_waitcnt lgkmcnt(0)
	global_store_dwordx2 v[24:25], v[21:22], off
	s_or_b32 exec_lo, exec_lo, s20
	s_and_saveexec_b32 s20, s24
	s_cbranch_execz .LBB1945_472
.LBB1945_504:                           ;   in Loop: Header=BB1945_394 Depth=2
	v_lshlrev_b32_e32 v3, 2, v99
	v_add_nc_u32_e32 v21, v47, v48
	ds_read_b32 v3, v3
	ds_read_b64 v[21:22], v21 offset:11264
	s_waitcnt lgkmcnt(1)
	v_add_nc_u32_e32 v3, v3, v36
	v_lshlrev_b64 v[24:25], 3, v[3:4]
	v_add_co_u32 v24, vcc_lo, s44, v24
	v_add_co_ci_u32_e64 v25, null, s45, v25, vcc_lo
	s_waitcnt lgkmcnt(0)
	global_store_dwordx2 v[24:25], v[21:22], off
	s_or_b32 exec_lo, exec_lo, s20
	s_and_saveexec_b32 s20, s25
	s_cbranch_execz .LBB1945_473
.LBB1945_505:                           ;   in Loop: Header=BB1945_394 Depth=2
	v_lshlrev_b32_e32 v3, 2, v98
	v_add_nc_u32_e32 v21, v47, v48
	ds_read_b32 v3, v3
	ds_read_b64 v[21:22], v21 offset:13312
	s_waitcnt lgkmcnt(1)
	v_add_nc_u32_e32 v3, v3, v37
	v_lshlrev_b64 v[24:25], 3, v[3:4]
	v_add_co_u32 v24, vcc_lo, s44, v24
	v_add_co_ci_u32_e64 v25, null, s45, v25, vcc_lo
	s_waitcnt lgkmcnt(0)
	global_store_dwordx2 v[24:25], v[21:22], off
	s_or_b32 exec_lo, exec_lo, s20
	s_and_saveexec_b32 s20, s26
	s_cbranch_execnz .LBB1945_474
	s_branch .LBB1945_475
.LBB1945_506:                           ;   in Loop: Header=BB1945_12 Depth=1
	s_waitcnt lgkmcnt(0)
	s_mov_b32 s5, 0
	s_barrier
.LBB1945_507:                           ;   in Loop: Header=BB1945_12 Depth=1
	s_and_b32 vcc_lo, exec_lo, s5
	s_cbranch_vccz .LBB1945_11
; %bb.508:                              ;   in Loop: Header=BB1945_12 Depth=1
	s_mov_b32 s5, s52
	s_mov_b32 s34, s29
	s_barrier
	buffer_gl0_inv
                                        ; implicit-def: $vgpr3
                                        ; implicit-def: $vgpr5
                                        ; implicit-def: $vgpr6
                                        ; implicit-def: $vgpr7
                                        ; implicit-def: $vgpr8
                                        ; implicit-def: $vgpr9
                                        ; implicit-def: $vgpr10
                                        ; implicit-def: $vgpr11
	s_branch .LBB1945_510
.LBB1945_509:                           ;   in Loop: Header=BB1945_510 Depth=2
	s_or_b32 exec_lo, exec_lo, s14
	s_addk_i32 s5, 0xf800
	s_cmp_ge_u32 s13, s33
	s_mov_b32 s34, s13
	s_cbranch_scc1 .LBB1945_546
.LBB1945_510:                           ;   Parent Loop BB1945_12 Depth=1
                                        ; =>  This Inner Loop Header: Depth=2
	s_add_i32 s13, s34, 0x800
	s_mov_b32 s14, -1
	s_cmp_gt_u32 s13, s33
                                        ; implicit-def: $vgpr12
                                        ; implicit-def: $vgpr13
                                        ; implicit-def: $vgpr14
                                        ; implicit-def: $vgpr15
                                        ; implicit-def: $vgpr16
                                        ; implicit-def: $vgpr17
                                        ; implicit-def: $vgpr18
                                        ; implicit-def: $vgpr19
	s_cbranch_scc1 .LBB1945_512
; %bb.511:                              ;   in Loop: Header=BB1945_510 Depth=2
	s_lshl_b64 s[14:15], s[34:35], 1
	v_add_co_u32 v15, vcc_lo, v55, s14
	v_add_co_ci_u32_e64 v16, null, s15, v56, vcc_lo
	s_mov_b32 s14, 0
	v_add_co_u32 v19, vcc_lo, 0x800, v15
	v_add_co_ci_u32_e64 v20, null, 0, v16, vcc_lo
	s_clause 0x7
	global_load_ushort v12, v[15:16], off
	global_load_ushort v13, v[15:16], off offset:512
	global_load_ushort v14, v[15:16], off offset:1024
	;; [unrolled: 1-line block ×3, first 2 shown]
	global_load_ushort v16, v[19:20], off
	global_load_ushort v17, v[19:20], off offset:512
	global_load_ushort v18, v[19:20], off offset:1024
	;; [unrolled: 1-line block ×3, first 2 shown]
.LBB1945_512:                           ;   in Loop: Header=BB1945_510 Depth=2
	s_andn2_b32 vcc_lo, exec_lo, s14
	s_movk_i32 s14, 0x800
	s_cbranch_vccnz .LBB1945_523
; %bb.513:                              ;   in Loop: Header=BB1945_510 Depth=2
	s_lshl_b64 s[14:15], s[34:35], 1
	s_mov_b32 s16, exec_lo
	s_add_u32 s14, s36, s14
	s_addc_u32 s15, s37, s15
	v_cmpx_gt_u32_e64 s5, v0
	s_cbranch_execnz .LBB1945_539
; %bb.514:                              ;   in Loop: Header=BB1945_510 Depth=2
	s_or_b32 exec_lo, exec_lo, s16
	s_mov_b32 s16, exec_lo
	v_cmpx_gt_u32_e64 s5, v30
	s_cbranch_execnz .LBB1945_540
.LBB1945_515:                           ;   in Loop: Header=BB1945_510 Depth=2
	s_or_b32 exec_lo, exec_lo, s16
	s_mov_b32 s16, exec_lo
	v_cmpx_gt_u32_e64 s5, v31
	s_cbranch_execnz .LBB1945_541
.LBB1945_516:                           ;   in Loop: Header=BB1945_510 Depth=2
	s_or_b32 exec_lo, exec_lo, s16
	s_mov_b32 s16, exec_lo
	v_cmpx_gt_u32_e64 s5, v32
	s_cbranch_execnz .LBB1945_542
.LBB1945_517:                           ;   in Loop: Header=BB1945_510 Depth=2
	s_or_b32 exec_lo, exec_lo, s16
	s_mov_b32 s16, exec_lo
	v_cmpx_gt_u32_e64 s5, v35
	s_cbranch_execnz .LBB1945_543
.LBB1945_518:                           ;   in Loop: Header=BB1945_510 Depth=2
	s_or_b32 exec_lo, exec_lo, s16
	s_mov_b32 s16, exec_lo
	v_cmpx_gt_u32_e64 s5, v36
	s_cbranch_execnz .LBB1945_544
.LBB1945_519:                           ;   in Loop: Header=BB1945_510 Depth=2
	s_or_b32 exec_lo, exec_lo, s16
	s_mov_b32 s16, exec_lo
	v_cmpx_gt_u32_e64 s5, v37
	s_cbranch_execnz .LBB1945_545
.LBB1945_520:                           ;   in Loop: Header=BB1945_510 Depth=2
	s_or_b32 exec_lo, exec_lo, s16
	s_mov_b32 s16, exec_lo
	v_cmpx_gt_u32_e64 s5, v38
	s_cbranch_execz .LBB1945_522
.LBB1945_521:                           ;   in Loop: Header=BB1945_510 Depth=2
	global_load_ushort v3, v87, s[14:15]
.LBB1945_522:                           ;   in Loop: Header=BB1945_510 Depth=2
	s_or_b32 exec_lo, exec_lo, s16
	s_waitcnt vmcnt(0)
	v_mov_b32_e32 v12, v11
	v_mov_b32_e32 v13, v10
	v_mov_b32_e32 v14, v9
	v_mov_b32_e32 v15, v8
	v_mov_b32_e32 v16, v7
	v_mov_b32_e32 v17, v6
	v_mov_b32_e32 v18, v5
	v_mov_b32_e32 v19, v3
	s_mov_b32 s14, s5
.LBB1945_523:                           ;   in Loop: Header=BB1945_510 Depth=2
	s_waitcnt vmcnt(0)
	v_mov_b32_e32 v3, v19
	v_mov_b32_e32 v5, v18
	;; [unrolled: 1-line block ×8, first 2 shown]
	s_mov_b32 s15, exec_lo
	v_cmpx_gt_u32_e64 s14, v0
	s_cbranch_execnz .LBB1945_531
; %bb.524:                              ;   in Loop: Header=BB1945_510 Depth=2
	s_or_b32 exec_lo, exec_lo, s15
	s_mov_b32 s15, exec_lo
	v_cmpx_gt_u32_e64 s14, v30
	s_cbranch_execnz .LBB1945_532
.LBB1945_525:                           ;   in Loop: Header=BB1945_510 Depth=2
	s_or_b32 exec_lo, exec_lo, s15
	s_mov_b32 s15, exec_lo
	v_cmpx_gt_u32_e64 s14, v31
	s_cbranch_execnz .LBB1945_533
.LBB1945_526:                           ;   in Loop: Header=BB1945_510 Depth=2
	s_or_b32 exec_lo, exec_lo, s15
	s_mov_b32 s15, exec_lo
	v_cmpx_gt_u32_e64 s14, v32
	s_cbranch_execnz .LBB1945_534
.LBB1945_527:                           ;   in Loop: Header=BB1945_510 Depth=2
	s_or_b32 exec_lo, exec_lo, s15
	s_mov_b32 s15, exec_lo
	v_cmpx_gt_u32_e64 s14, v35
	s_cbranch_execnz .LBB1945_535
.LBB1945_528:                           ;   in Loop: Header=BB1945_510 Depth=2
	s_or_b32 exec_lo, exec_lo, s15
	s_mov_b32 s15, exec_lo
	v_cmpx_gt_u32_e64 s14, v36
	s_cbranch_execnz .LBB1945_536
.LBB1945_529:                           ;   in Loop: Header=BB1945_510 Depth=2
	s_or_b32 exec_lo, exec_lo, s15
	s_mov_b32 s15, exec_lo
	v_cmpx_gt_u32_e64 s14, v37
	s_cbranch_execnz .LBB1945_537
.LBB1945_530:                           ;   in Loop: Header=BB1945_510 Depth=2
	s_or_b32 exec_lo, exec_lo, s15
	v_cmp_gt_u32_e32 vcc_lo, s14, v38
	s_and_saveexec_b32 s14, vcc_lo
	s_cbranch_execz .LBB1945_509
	s_branch .LBB1945_538
.LBB1945_531:                           ;   in Loop: Header=BB1945_510 Depth=2
	v_cmp_gt_i16_e32 vcc_lo, 0, v11
	v_cndmask_b32_e64 v12, 0x7fff, 0, vcc_lo
	v_xor_b32_e32 v12, v12, v11
	v_cmp_ne_u16_e32 vcc_lo, 0x8000, v12
	v_cndmask_b32_e32 v12, 0x7fff, v12, vcc_lo
	v_lshrrev_b32_sdwa v12, s49, v12 dst_sel:DWORD dst_unused:UNUSED_PAD src0_sel:DWORD src1_sel:WORD_0
	v_and_b32_e32 v12, s43, v12
	v_lshl_or_b32 v12, v12, 4, v40
	ds_add_u32 v12, v62
	s_or_b32 exec_lo, exec_lo, s15
	s_mov_b32 s15, exec_lo
	v_cmpx_gt_u32_e64 s14, v30
	s_cbranch_execz .LBB1945_525
.LBB1945_532:                           ;   in Loop: Header=BB1945_510 Depth=2
	v_cmp_gt_i16_e32 vcc_lo, 0, v10
	v_cndmask_b32_e64 v12, 0x7fff, 0, vcc_lo
	v_xor_b32_e32 v12, v12, v10
	v_cmp_ne_u16_e32 vcc_lo, 0x8000, v12
	v_cndmask_b32_e32 v12, 0x7fff, v12, vcc_lo
	v_lshrrev_b32_sdwa v12, s49, v12 dst_sel:DWORD dst_unused:UNUSED_PAD src0_sel:DWORD src1_sel:WORD_0
	v_and_b32_e32 v12, s43, v12
	v_lshl_or_b32 v12, v12, 4, v40
	ds_add_u32 v12, v62
	s_or_b32 exec_lo, exec_lo, s15
	s_mov_b32 s15, exec_lo
	v_cmpx_gt_u32_e64 s14, v31
	s_cbranch_execz .LBB1945_526
.LBB1945_533:                           ;   in Loop: Header=BB1945_510 Depth=2
	v_cmp_gt_i16_e32 vcc_lo, 0, v9
	v_cndmask_b32_e64 v12, 0x7fff, 0, vcc_lo
	v_xor_b32_e32 v12, v12, v9
	v_cmp_ne_u16_e32 vcc_lo, 0x8000, v12
	v_cndmask_b32_e32 v12, 0x7fff, v12, vcc_lo
	v_lshrrev_b32_sdwa v12, s49, v12 dst_sel:DWORD dst_unused:UNUSED_PAD src0_sel:DWORD src1_sel:WORD_0
	v_and_b32_e32 v12, s43, v12
	v_lshl_or_b32 v12, v12, 4, v40
	ds_add_u32 v12, v62
	s_or_b32 exec_lo, exec_lo, s15
	s_mov_b32 s15, exec_lo
	v_cmpx_gt_u32_e64 s14, v32
	s_cbranch_execz .LBB1945_527
.LBB1945_534:                           ;   in Loop: Header=BB1945_510 Depth=2
	v_cmp_gt_i16_e32 vcc_lo, 0, v8
	v_cndmask_b32_e64 v12, 0x7fff, 0, vcc_lo
	v_xor_b32_e32 v12, v12, v8
	v_cmp_ne_u16_e32 vcc_lo, 0x8000, v12
	v_cndmask_b32_e32 v12, 0x7fff, v12, vcc_lo
	v_lshrrev_b32_sdwa v12, s49, v12 dst_sel:DWORD dst_unused:UNUSED_PAD src0_sel:DWORD src1_sel:WORD_0
	v_and_b32_e32 v12, s43, v12
	v_lshl_or_b32 v12, v12, 4, v40
	ds_add_u32 v12, v62
	s_or_b32 exec_lo, exec_lo, s15
	s_mov_b32 s15, exec_lo
	v_cmpx_gt_u32_e64 s14, v35
	s_cbranch_execz .LBB1945_528
.LBB1945_535:                           ;   in Loop: Header=BB1945_510 Depth=2
	v_cmp_gt_i16_e32 vcc_lo, 0, v7
	v_cndmask_b32_e64 v12, 0x7fff, 0, vcc_lo
	v_xor_b32_e32 v12, v12, v7
	v_cmp_ne_u16_e32 vcc_lo, 0x8000, v12
	v_cndmask_b32_e32 v12, 0x7fff, v12, vcc_lo
	v_lshrrev_b32_sdwa v12, s49, v12 dst_sel:DWORD dst_unused:UNUSED_PAD src0_sel:DWORD src1_sel:WORD_0
	v_and_b32_e32 v12, s43, v12
	v_lshl_or_b32 v12, v12, 4, v40
	ds_add_u32 v12, v62
	s_or_b32 exec_lo, exec_lo, s15
	s_mov_b32 s15, exec_lo
	v_cmpx_gt_u32_e64 s14, v36
	s_cbranch_execz .LBB1945_529
.LBB1945_536:                           ;   in Loop: Header=BB1945_510 Depth=2
	v_cmp_gt_i16_e32 vcc_lo, 0, v6
	v_cndmask_b32_e64 v12, 0x7fff, 0, vcc_lo
	v_xor_b32_e32 v12, v12, v6
	v_cmp_ne_u16_e32 vcc_lo, 0x8000, v12
	v_cndmask_b32_e32 v12, 0x7fff, v12, vcc_lo
	v_lshrrev_b32_sdwa v12, s49, v12 dst_sel:DWORD dst_unused:UNUSED_PAD src0_sel:DWORD src1_sel:WORD_0
	v_and_b32_e32 v12, s43, v12
	v_lshl_or_b32 v12, v12, 4, v40
	ds_add_u32 v12, v62
	s_or_b32 exec_lo, exec_lo, s15
	s_mov_b32 s15, exec_lo
	v_cmpx_gt_u32_e64 s14, v37
	s_cbranch_execz .LBB1945_530
.LBB1945_537:                           ;   in Loop: Header=BB1945_510 Depth=2
	v_cmp_gt_i16_e32 vcc_lo, 0, v5
	v_cndmask_b32_e64 v12, 0x7fff, 0, vcc_lo
	v_xor_b32_e32 v12, v12, v5
	v_cmp_ne_u16_e32 vcc_lo, 0x8000, v12
	v_cndmask_b32_e32 v12, 0x7fff, v12, vcc_lo
	v_lshrrev_b32_sdwa v12, s49, v12 dst_sel:DWORD dst_unused:UNUSED_PAD src0_sel:DWORD src1_sel:WORD_0
	v_and_b32_e32 v12, s43, v12
	v_lshl_or_b32 v12, v12, 4, v40
	ds_add_u32 v12, v62
	s_or_b32 exec_lo, exec_lo, s15
	v_cmp_gt_u32_e32 vcc_lo, s14, v38
	s_and_saveexec_b32 s14, vcc_lo
	s_cbranch_execz .LBB1945_509
.LBB1945_538:                           ;   in Loop: Header=BB1945_510 Depth=2
	v_cmp_gt_i16_e32 vcc_lo, 0, v3
	v_cndmask_b32_e64 v12, 0x7fff, 0, vcc_lo
	v_xor_b32_e32 v12, v12, v3
	v_cmp_ne_u16_e32 vcc_lo, 0x8000, v12
	v_cndmask_b32_e32 v12, 0x7fff, v12, vcc_lo
	v_lshrrev_b32_sdwa v12, s49, v12 dst_sel:DWORD dst_unused:UNUSED_PAD src0_sel:DWORD src1_sel:WORD_0
	v_and_b32_e32 v12, s43, v12
	v_lshl_or_b32 v12, v12, 4, v40
	ds_add_u32 v12, v62
	s_branch .LBB1945_509
.LBB1945_539:                           ;   in Loop: Header=BB1945_510 Depth=2
	global_load_ushort v11, v79, s[14:15]
	s_or_b32 exec_lo, exec_lo, s16
	s_mov_b32 s16, exec_lo
	v_cmpx_gt_u32_e64 s5, v30
	s_cbranch_execz .LBB1945_515
.LBB1945_540:                           ;   in Loop: Header=BB1945_510 Depth=2
	global_load_ushort v10, v79, s[14:15] offset:512
	s_or_b32 exec_lo, exec_lo, s16
	s_mov_b32 s16, exec_lo
	v_cmpx_gt_u32_e64 s5, v31
	s_cbranch_execz .LBB1945_516
.LBB1945_541:                           ;   in Loop: Header=BB1945_510 Depth=2
	global_load_ushort v9, v79, s[14:15] offset:1024
	s_or_b32 exec_lo, exec_lo, s16
	s_mov_b32 s16, exec_lo
	v_cmpx_gt_u32_e64 s5, v32
	s_cbranch_execz .LBB1945_517
.LBB1945_542:                           ;   in Loop: Header=BB1945_510 Depth=2
	global_load_ushort v8, v79, s[14:15] offset:1536
	s_or_b32 exec_lo, exec_lo, s16
	s_mov_b32 s16, exec_lo
	v_cmpx_gt_u32_e64 s5, v35
	s_cbranch_execz .LBB1945_518
.LBB1945_543:                           ;   in Loop: Header=BB1945_510 Depth=2
	global_load_ushort v7, v80, s[14:15]
	s_or_b32 exec_lo, exec_lo, s16
	s_mov_b32 s16, exec_lo
	v_cmpx_gt_u32_e64 s5, v36
	s_cbranch_execz .LBB1945_519
.LBB1945_544:                           ;   in Loop: Header=BB1945_510 Depth=2
	global_load_ushort v6, v81, s[14:15]
	s_or_b32 exec_lo, exec_lo, s16
	s_mov_b32 s16, exec_lo
	v_cmpx_gt_u32_e64 s5, v37
	s_cbranch_execz .LBB1945_520
.LBB1945_545:                           ;   in Loop: Header=BB1945_510 Depth=2
	global_load_ushort v5, v82, s[14:15]
	s_or_b32 exec_lo, exec_lo, s16
	s_mov_b32 s16, exec_lo
	v_cmpx_gt_u32_e64 s5, v38
	s_cbranch_execnz .LBB1945_521
	s_branch .LBB1945_522
.LBB1945_546:                           ;   in Loop: Header=BB1945_12 Depth=1
	v_mov_b32_e32 v3, 0
	s_waitcnt lgkmcnt(0)
	s_barrier
	buffer_gl0_inv
	s_and_saveexec_b32 s5, s7
	s_cbranch_execz .LBB1945_548
; %bb.547:                              ;   in Loop: Header=BB1945_12 Depth=1
	ds_read2_b64 v[5:8], v41 offset1:1
	s_waitcnt lgkmcnt(0)
	v_add_nc_u32_e32 v3, v6, v5
	v_add3_u32 v3, v3, v7, v8
.LBB1945_548:                           ;   in Loop: Header=BB1945_12 Depth=1
	s_or_b32 exec_lo, exec_lo, s5
	v_mov_b32_dpp v5, v3 row_shr:1 row_mask:0xf bank_mask:0xf
	v_cmp_eq_u32_e64 s5, 0, v63
	v_cmp_lt_u32_e64 s13, 1, v63
	v_cmp_lt_u32_e64 s14, 3, v63
	;; [unrolled: 1-line block ×3, first 2 shown]
	v_cmp_eq_u32_e64 s16, 0, v65
	v_cndmask_b32_e64 v5, v5, 0, s5
	v_add_nc_u32_e32 v3, v5, v3
	v_mov_b32_dpp v5, v3 row_shr:2 row_mask:0xf bank_mask:0xf
	v_cndmask_b32_e64 v5, 0, v5, s13
	v_add_nc_u32_e32 v3, v3, v5
	v_mov_b32_dpp v5, v3 row_shr:4 row_mask:0xf bank_mask:0xf
	;; [unrolled: 3-line block ×3, first 2 shown]
	v_cndmask_b32_e64 v5, 0, v5, s15
	v_add_nc_u32_e32 v3, v3, v5
	ds_swizzle_b32 v5, v3 offset:swizzle(BROADCAST,32,15)
	s_waitcnt lgkmcnt(0)
	v_and_b32_e32 v5, v64, v5
	v_add_nc_u32_e32 v3, v3, v5
	s_and_saveexec_b32 s17, s8
; %bb.549:                              ;   in Loop: Header=BB1945_12 Depth=1
	ds_write_b32 v42, v3
; %bb.550:                              ;   in Loop: Header=BB1945_12 Depth=1
	s_or_b32 exec_lo, exec_lo, s17
	s_waitcnt lgkmcnt(0)
	s_barrier
	buffer_gl0_inv
	s_and_saveexec_b32 s17, s9
	s_cbranch_execz .LBB1945_552
; %bb.551:                              ;   in Loop: Header=BB1945_12 Depth=1
	ds_read_b32 v5, v43
	v_cmp_ne_u32_e32 vcc_lo, 0, v67
	s_waitcnt lgkmcnt(0)
	v_mov_b32_dpp v6, v5 row_shr:1 row_mask:0xf bank_mask:0xf
	v_cndmask_b32_e32 v6, 0, v6, vcc_lo
	v_cmp_lt_u32_e32 vcc_lo, 1, v67
	v_add_nc_u32_e32 v5, v6, v5
	v_mov_b32_dpp v6, v5 row_shr:2 row_mask:0xf bank_mask:0xf
	v_cndmask_b32_e32 v6, 0, v6, vcc_lo
	v_cmp_lt_u32_e32 vcc_lo, 3, v67
	v_add_nc_u32_e32 v5, v5, v6
	v_mov_b32_dpp v6, v5 row_shr:4 row_mask:0xf bank_mask:0xf
	v_cndmask_b32_e32 v6, 0, v6, vcc_lo
	v_add_nc_u32_e32 v5, v5, v6
	ds_write_b32 v43, v5
.LBB1945_552:                           ;   in Loop: Header=BB1945_12 Depth=1
	s_or_b32 exec_lo, exec_lo, s17
	v_mov_b32_e32 v5, 0
	s_waitcnt lgkmcnt(0)
	s_barrier
	buffer_gl0_inv
	s_and_saveexec_b32 s17, s10
; %bb.553:                              ;   in Loop: Header=BB1945_12 Depth=1
	ds_read_b32 v5, v45
; %bb.554:                              ;   in Loop: Header=BB1945_12 Depth=1
	s_or_b32 exec_lo, exec_lo, s17
	v_cmp_gt_i32_e32 vcc_lo, 0, v68
	s_waitcnt lgkmcnt(0)
	v_add_nc_u32_e32 v3, v5, v3
	s_barrier
	buffer_gl0_inv
	v_cndmask_b32_e32 v6, v68, v59, vcc_lo
	v_lshlrev_b32_e32 v91, 2, v6
	ds_bpermute_b32 v3, v91, v3
	s_and_saveexec_b32 s17, s7
	s_cbranch_execz .LBB1945_556
; %bb.555:                              ;   in Loop: Header=BB1945_12 Depth=1
	s_waitcnt lgkmcnt(0)
	v_cndmask_b32_e64 v3, v3, v5, s12
	v_add_nc_u32_e32 v3, s29, v3
	ds_write_b32 v29, v3
.LBB1945_556:                           ;   in Loop: Header=BB1945_12 Depth=1
	s_or_b32 exec_lo, exec_lo, s17
	s_load_dwordx2 s[18:19], s[30:31], 0x0
	v_add_co_u32 v92, vcc_lo, v57, v69
	v_add_co_ci_u32_e64 v93, null, 0, v58, vcc_lo
	v_add_co_u32 v94, vcc_lo, v60, v77
	v_add_co_ci_u32_e64 v95, null, 0, v61, vcc_lo
	s_mov_b32 s48, s52
	s_mov_b32 s34, s29
                                        ; implicit-def: $vgpr7_vgpr8
                                        ; implicit-def: $vgpr9_vgpr10
                                        ; implicit-def: $vgpr11_vgpr12
                                        ; implicit-def: $vgpr13_vgpr14
                                        ; implicit-def: $vgpr15_vgpr16
                                        ; implicit-def: $vgpr17_vgpr18
                                        ; implicit-def: $vgpr19_vgpr20
                                        ; implicit-def: $vgpr97
                                        ; implicit-def: $vgpr98
                                        ; implicit-def: $vgpr99
                                        ; implicit-def: $vgpr100
                                        ; implicit-def: $vgpr101
                                        ; implicit-def: $vgpr102
                                        ; implicit-def: $vgpr103
                                        ; implicit-def: $vgpr104
	s_waitcnt lgkmcnt(0)
	s_cmp_lt_u32 s27, s19
	s_cselect_b32 s17, 14, 20
	s_add_u32 s20, s30, s17
	s_addc_u32 s21, s31, 0
	s_cmp_lt_u32 s6, s18
	global_load_ushort v3, v4, s[20:21]
	s_cselect_b32 s17, 12, 18
	s_add_u32 s18, s30, s17
	s_addc_u32 s19, s31, 0
	v_cmp_eq_u32_e64 s17, 0, v67
	global_load_ushort v5, v4, s[18:19]
	v_cmp_lt_u32_e64 s18, 1, v67
	v_cmp_lt_u32_e64 s19, 3, v67
	s_waitcnt vmcnt(1)
	v_mad_u32_u24 v3, v2, v3, v1
	s_waitcnt vmcnt(0)
	v_mad_u64_u32 v[5:6], null, v3, v5, v[0:1]
	v_lshrrev_b32_e32 v3, 3, v5
                                        ; implicit-def: $vgpr5_vgpr6
	v_and_b32_e32 v96, 0x1ffffffc, v3
	s_branch .LBB1945_558
.LBB1945_557:                           ;   in Loop: Header=BB1945_558 Depth=2
	s_or_b32 exec_lo, exec_lo, s20
	s_addk_i32 s48, 0xf800
	s_cmp_lt_u32 s53, s33
	s_mov_b32 s34, s53
	s_cbranch_scc0 .LBB1945_10
.LBB1945_558:                           ;   Parent Loop BB1945_12 Depth=1
                                        ; =>  This Inner Loop Header: Depth=2
	s_add_i32 s53, s34, 0x800
	s_cmp_gt_u32 s53, s33
	s_cbranch_scc1 .LBB1945_560
; %bb.559:                              ;   in Loop: Header=BB1945_558 Depth=2
	s_lshl_b64 s[20:21], s[34:35], 1
	v_add_co_u32 v21, vcc_lo, v94, s20
	v_add_co_ci_u32_e64 v22, null, s21, v95, vcc_lo
	s_mov_b32 s20, -1
	s_clause 0x6
	global_load_ushort v3, v[21:22], off
	global_load_ushort v28, v[21:22], off offset:64
	global_load_ushort v27, v[21:22], off offset:128
	;; [unrolled: 1-line block ×6, first 2 shown]
	s_movk_i32 s21, 0x800
	s_cbranch_execz .LBB1945_561
	s_branch .LBB1945_576
.LBB1945_560:                           ;   in Loop: Header=BB1945_558 Depth=2
	s_mov_b32 s20, 0
                                        ; implicit-def: $vgpr3
                                        ; implicit-def: $vgpr28
                                        ; implicit-def: $vgpr27
                                        ; implicit-def: $vgpr26
                                        ; implicit-def: $vgpr25
                                        ; implicit-def: $vgpr24
                                        ; implicit-def: $vgpr23
	s_movk_i32 s21, 0x800
.LBB1945_561:                           ;   in Loop: Header=BB1945_558 Depth=2
	s_lshl_b64 s[20:21], s[34:35], 1
	s_waitcnt vmcnt(5)
	v_mov_b32_e32 v28, -1
	v_add_co_u32 v21, vcc_lo, v94, s20
	v_add_co_ci_u32_e64 v22, null, s21, v95, vcc_lo
	v_mov_b32_e32 v3, -1
	s_mov_b32 s20, exec_lo
	v_cmpx_gt_u32_e64 s48, v66
	s_cbranch_execz .LBB1945_563
; %bb.562:                              ;   in Loop: Header=BB1945_558 Depth=2
	global_load_ushort v3, v[21:22], off
.LBB1945_563:                           ;   in Loop: Header=BB1945_558 Depth=2
	s_or_b32 exec_lo, exec_lo, s20
	s_mov_b32 s20, exec_lo
	v_cmpx_gt_u32_e64 s48, v70
	s_cbranch_execz .LBB1945_565
; %bb.564:                              ;   in Loop: Header=BB1945_558 Depth=2
	global_load_ushort v28, v[21:22], off offset:64
.LBB1945_565:                           ;   in Loop: Header=BB1945_558 Depth=2
	s_or_b32 exec_lo, exec_lo, s20
	s_waitcnt vmcnt(3)
	v_mov_b32_e32 v26, -1
	v_mov_b32_e32 v27, -1
	s_mov_b32 s20, exec_lo
	v_cmpx_gt_u32_e64 s48, v71
	s_cbranch_execz .LBB1945_567
; %bb.566:                              ;   in Loop: Header=BB1945_558 Depth=2
	global_load_ushort v27, v[21:22], off offset:128
.LBB1945_567:                           ;   in Loop: Header=BB1945_558 Depth=2
	s_or_b32 exec_lo, exec_lo, s20
	s_mov_b32 s20, exec_lo
	v_cmpx_gt_u32_e64 s48, v72
	s_cbranch_execz .LBB1945_569
; %bb.568:                              ;   in Loop: Header=BB1945_558 Depth=2
	global_load_ushort v26, v[21:22], off offset:192
.LBB1945_569:                           ;   in Loop: Header=BB1945_558 Depth=2
	s_or_b32 exec_lo, exec_lo, s20
	s_waitcnt vmcnt(1)
	v_mov_b32_e32 v24, -1
	v_mov_b32_e32 v25, -1
	s_mov_b32 s20, exec_lo
	v_cmpx_gt_u32_e64 s48, v73
	s_cbranch_execz .LBB1945_571
; %bb.570:                              ;   in Loop: Header=BB1945_558 Depth=2
	global_load_ushort v25, v[21:22], off offset:256
.LBB1945_571:                           ;   in Loop: Header=BB1945_558 Depth=2
	s_or_b32 exec_lo, exec_lo, s20
	s_mov_b32 s20, exec_lo
	v_cmpx_gt_u32_e64 s48, v74
	s_cbranch_execz .LBB1945_573
; %bb.572:                              ;   in Loop: Header=BB1945_558 Depth=2
	global_load_ushort v24, v[21:22], off offset:320
.LBB1945_573:                           ;   in Loop: Header=BB1945_558 Depth=2
	s_or_b32 exec_lo, exec_lo, s20
	s_waitcnt vmcnt(0)
	v_mov_b32_e32 v23, -1
	s_mov_b32 s20, exec_lo
	v_cmpx_gt_u32_e64 s48, v75
	s_cbranch_execz .LBB1945_575
; %bb.574:                              ;   in Loop: Header=BB1945_558 Depth=2
	global_load_ushort v23, v[21:22], off offset:384
.LBB1945_575:                           ;   in Loop: Header=BB1945_558 Depth=2
	s_or_b32 exec_lo, exec_lo, s20
	v_cmp_gt_u32_e64 s20, s48, v76
	s_sub_i32 s21, s33, s34
.LBB1945_576:                           ;   in Loop: Header=BB1945_558 Depth=2
	v_mov_b32_e32 v21, -1
	v_mov_b32_e32 v105, s48
	s_and_saveexec_b32 s22, s20
	s_cbranch_execz .LBB1945_578
; %bb.577:                              ;   in Loop: Header=BB1945_558 Depth=2
	s_lshl_b64 s[24:25], s[34:35], 1
	v_mov_b32_e32 v105, s21
	v_add_co_u32 v21, vcc_lo, v94, s24
	v_add_co_ci_u32_e64 v22, null, s25, v95, vcc_lo
	global_load_ushort v21, v[21:22], off offset:448
.LBB1945_578:                           ;   in Loop: Header=BB1945_558 Depth=2
	s_or_b32 exec_lo, exec_lo, s22
	s_waitcnt vmcnt(6)
	v_cmp_gt_i16_e32 vcc_lo, 0, v3
	ds_write2_b32 v78, v4, v4 offset1:1
	ds_write2_b32 v88, v4, v4 offset1:1
	;; [unrolled: 1-line block ×4, first 2 shown]
	ds_write_b32 v44, v4 offset:1088
	s_waitcnt vmcnt(0) lgkmcnt(0)
	s_barrier
	v_cndmask_b32_e64 v22, 0x7fff, 0, vcc_lo
	buffer_gl0_inv
	; wave barrier
	v_xor_b32_e32 v3, v22, v3
	v_cmp_ne_u16_e32 vcc_lo, 0x8000, v3
	v_cndmask_b32_e32 v22, 0x7fff, v3, vcc_lo
	v_lshrrev_b32_sdwa v22, s49, v22 dst_sel:DWORD dst_unused:UNUSED_PAD src0_sel:DWORD src1_sel:WORD_0
	v_and_b32_e32 v107, s43, v22
	v_and_b32_e32 v22, 1, v107
	v_lshlrev_b32_e32 v106, 30, v107
	v_lshlrev_b32_e32 v108, 29, v107
	;; [unrolled: 1-line block ×4, first 2 shown]
	v_add_co_u32 v22, s20, v22, -1
	v_cndmask_b32_e64 v110, 0, 1, s20
	v_not_b32_e32 v114, v106
	v_cmp_gt_i32_e64 s20, 0, v106
	v_not_b32_e32 v106, v108
	v_lshlrev_b32_e32 v112, 26, v107
	v_cmp_ne_u32_e32 vcc_lo, 0, v110
	v_ashrrev_i32_e32 v114, 31, v114
	v_lshlrev_b32_e32 v113, 25, v107
	v_ashrrev_i32_e32 v106, 31, v106
	v_lshlrev_b32_e32 v110, 24, v107
	v_xor_b32_e32 v22, vcc_lo, v22
	v_cmp_gt_i32_e32 vcc_lo, 0, v108
	v_not_b32_e32 v108, v109
	v_xor_b32_e32 v114, s20, v114
	v_cmp_gt_i32_e64 s20, 0, v109
	v_and_b32_e32 v22, exec_lo, v22
	v_not_b32_e32 v109, v111
	v_ashrrev_i32_e32 v108, 31, v108
	v_xor_b32_e32 v106, vcc_lo, v106
	v_cmp_gt_i32_e32 vcc_lo, 0, v111
	v_and_b32_e32 v22, v22, v114
	v_not_b32_e32 v111, v112
	v_ashrrev_i32_e32 v109, 31, v109
	v_xor_b32_e32 v108, s20, v108
	v_cmp_gt_i32_e64 s20, 0, v112
	v_and_b32_e32 v22, v22, v106
	v_not_b32_e32 v106, v113
	v_ashrrev_i32_e32 v111, 31, v111
	v_xor_b32_e32 v109, vcc_lo, v109
	v_cmp_gt_i32_e32 vcc_lo, 0, v113
	v_and_b32_e32 v22, v22, v108
	v_not_b32_e32 v108, v110
	v_ashrrev_i32_e32 v106, 31, v106
	v_xor_b32_e32 v111, s20, v111
	v_cmp_gt_i32_e64 s20, 0, v110
	v_and_b32_e32 v22, v22, v109
	v_ashrrev_i32_e32 v108, 31, v108
	v_xor_b32_e32 v106, vcc_lo, v106
	v_mul_u32_u24_e32 v107, 36, v107
	v_and_b32_e32 v22, v22, v111
	v_xor_b32_e32 v108, s20, v108
	v_and_b32_e32 v22, v22, v106
	v_and_b32_e32 v22, v22, v108
	v_add_nc_u32_e32 v108, v96, v107
	v_mbcnt_lo_u32_b32 v106, v22, 0
	v_cmp_ne_u32_e64 s20, 0, v22
	v_cmp_eq_u32_e32 vcc_lo, 0, v106
	s_and_b32 s21, s20, vcc_lo
	s_and_saveexec_b32 s20, s21
; %bb.579:                              ;   in Loop: Header=BB1945_558 Depth=2
	v_bcnt_u32_b32 v22, v22, 0
	ds_write_b32 v108, v22 offset:1056
; %bb.580:                              ;   in Loop: Header=BB1945_558 Depth=2
	s_or_b32 exec_lo, exec_lo, s20
	v_cmp_gt_i16_e32 vcc_lo, 0, v28
	; wave barrier
	v_cndmask_b32_e64 v22, 0x7fff, 0, vcc_lo
	v_xor_b32_e32 v107, v22, v28
	v_cmp_ne_u16_e32 vcc_lo, 0x8000, v107
	v_cndmask_b32_e32 v22, 0x7fff, v107, vcc_lo
	v_lshrrev_b32_sdwa v22, s49, v22 dst_sel:DWORD dst_unused:UNUSED_PAD src0_sel:DWORD src1_sel:WORD_0
	v_and_b32_e32 v28, s43, v22
	v_and_b32_e32 v22, 1, v28
	v_lshlrev_b32_e32 v109, 30, v28
	v_lshlrev_b32_e32 v110, 29, v28
	;; [unrolled: 1-line block ×4, first 2 shown]
	v_add_co_u32 v22, s20, v22, -1
	v_cndmask_b32_e64 v112, 0, 1, s20
	v_not_b32_e32 v116, v109
	v_cmp_gt_i32_e64 s20, 0, v109
	v_not_b32_e32 v109, v110
	v_lshlrev_b32_e32 v114, 26, v28
	v_cmp_ne_u32_e32 vcc_lo, 0, v112
	v_ashrrev_i32_e32 v116, 31, v116
	v_lshlrev_b32_e32 v115, 25, v28
	v_ashrrev_i32_e32 v109, 31, v109
	v_lshlrev_b32_e32 v112, 24, v28
	v_xor_b32_e32 v22, vcc_lo, v22
	v_cmp_gt_i32_e32 vcc_lo, 0, v110
	v_not_b32_e32 v110, v111
	v_xor_b32_e32 v116, s20, v116
	v_cmp_gt_i32_e64 s20, 0, v111
	v_and_b32_e32 v22, exec_lo, v22
	v_not_b32_e32 v111, v113
	v_ashrrev_i32_e32 v110, 31, v110
	v_xor_b32_e32 v109, vcc_lo, v109
	v_cmp_gt_i32_e32 vcc_lo, 0, v113
	v_and_b32_e32 v22, v22, v116
	v_not_b32_e32 v113, v114
	v_ashrrev_i32_e32 v111, 31, v111
	v_xor_b32_e32 v110, s20, v110
	v_cmp_gt_i32_e64 s20, 0, v114
	v_and_b32_e32 v22, v22, v109
	v_not_b32_e32 v109, v115
	v_ashrrev_i32_e32 v113, 31, v113
	v_xor_b32_e32 v111, vcc_lo, v111
	v_cmp_gt_i32_e32 vcc_lo, 0, v115
	v_and_b32_e32 v22, v22, v110
	v_not_b32_e32 v110, v112
	v_ashrrev_i32_e32 v109, 31, v109
	v_xor_b32_e32 v113, s20, v113
	v_cmp_gt_i32_e64 s20, 0, v112
	v_and_b32_e32 v22, v22, v111
	v_ashrrev_i32_e32 v110, 31, v110
	v_xor_b32_e32 v109, vcc_lo, v109
	v_mad_u32_u24 v111, v28, 36, v96
	v_mul_u32_u24_e32 v28, 36, v28
	v_and_b32_e32 v22, v22, v113
	v_xor_b32_e32 v110, s20, v110
	v_add_nc_u32_e32 v112, v96, v28
	v_and_b32_e32 v22, v22, v109
	ds_read_b32 v109, v111 offset:1056
	; wave barrier
	v_and_b32_e32 v22, v22, v110
	v_mbcnt_lo_u32_b32 v110, v22, 0
	v_cmp_ne_u32_e64 s20, 0, v22
	v_cmp_eq_u32_e32 vcc_lo, 0, v110
	s_and_b32 s21, s20, vcc_lo
	s_and_saveexec_b32 s20, s21
	s_cbranch_execz .LBB1945_582
; %bb.581:                              ;   in Loop: Header=BB1945_558 Depth=2
	s_waitcnt lgkmcnt(0)
	v_bcnt_u32_b32 v22, v22, v109
	ds_write_b32 v112, v22 offset:1056
.LBB1945_582:                           ;   in Loop: Header=BB1945_558 Depth=2
	s_or_b32 exec_lo, exec_lo, s20
	v_cmp_gt_i16_e32 vcc_lo, 0, v27
	; wave barrier
	v_cndmask_b32_e64 v22, 0x7fff, 0, vcc_lo
	v_xor_b32_e32 v111, v22, v27
	v_cmp_ne_u16_e32 vcc_lo, 0x8000, v111
	v_cndmask_b32_e32 v22, 0x7fff, v111, vcc_lo
	v_lshrrev_b32_sdwa v22, s49, v22 dst_sel:DWORD dst_unused:UNUSED_PAD src0_sel:DWORD src1_sel:WORD_0
	v_and_b32_e32 v27, s43, v22
	v_and_b32_e32 v22, 1, v27
	v_lshlrev_b32_e32 v28, 30, v27
	v_lshlrev_b32_e32 v113, 29, v27
	;; [unrolled: 1-line block ×4, first 2 shown]
	v_add_co_u32 v22, s20, v22, -1
	v_cndmask_b32_e64 v115, 0, 1, s20
	v_not_b32_e32 v119, v28
	v_cmp_gt_i32_e64 s20, 0, v28
	v_not_b32_e32 v28, v113
	v_lshlrev_b32_e32 v117, 26, v27
	v_cmp_ne_u32_e32 vcc_lo, 0, v115
	v_ashrrev_i32_e32 v119, 31, v119
	v_lshlrev_b32_e32 v118, 25, v27
	v_ashrrev_i32_e32 v28, 31, v28
	v_lshlrev_b32_e32 v115, 24, v27
	v_xor_b32_e32 v22, vcc_lo, v22
	v_cmp_gt_i32_e32 vcc_lo, 0, v113
	v_not_b32_e32 v113, v114
	v_xor_b32_e32 v119, s20, v119
	v_cmp_gt_i32_e64 s20, 0, v114
	v_and_b32_e32 v22, exec_lo, v22
	v_not_b32_e32 v114, v116
	v_ashrrev_i32_e32 v113, 31, v113
	v_xor_b32_e32 v28, vcc_lo, v28
	v_cmp_gt_i32_e32 vcc_lo, 0, v116
	v_and_b32_e32 v22, v22, v119
	v_not_b32_e32 v116, v117
	v_ashrrev_i32_e32 v114, 31, v114
	v_xor_b32_e32 v113, s20, v113
	v_cmp_gt_i32_e64 s20, 0, v117
	v_and_b32_e32 v22, v22, v28
	v_not_b32_e32 v28, v118
	v_ashrrev_i32_e32 v116, 31, v116
	v_xor_b32_e32 v114, vcc_lo, v114
	v_cmp_gt_i32_e32 vcc_lo, 0, v118
	v_and_b32_e32 v22, v22, v113
	v_not_b32_e32 v113, v115
	v_ashrrev_i32_e32 v28, 31, v28
	v_xor_b32_e32 v116, s20, v116
	v_cmp_gt_i32_e64 s20, 0, v115
	v_and_b32_e32 v22, v22, v114
	v_ashrrev_i32_e32 v113, 31, v113
	v_xor_b32_e32 v28, vcc_lo, v28
	v_mad_u32_u24 v114, v27, 36, v96
	v_mul_u32_u24_e32 v27, 36, v27
	v_and_b32_e32 v22, v22, v116
	v_xor_b32_e32 v115, s20, v113
	ds_read_b32 v113, v114 offset:1056
	v_add_nc_u32_e32 v116, v96, v27
	v_and_b32_e32 v22, v22, v28
	; wave barrier
	v_and_b32_e32 v22, v22, v115
	v_mbcnt_lo_u32_b32 v115, v22, 0
	v_cmp_ne_u32_e64 s20, 0, v22
	v_cmp_eq_u32_e32 vcc_lo, 0, v115
	s_and_b32 s21, s20, vcc_lo
	s_and_saveexec_b32 s20, s21
	s_cbranch_execz .LBB1945_584
; %bb.583:                              ;   in Loop: Header=BB1945_558 Depth=2
	s_waitcnt lgkmcnt(0)
	v_bcnt_u32_b32 v22, v22, v113
	ds_write_b32 v116, v22 offset:1056
.LBB1945_584:                           ;   in Loop: Header=BB1945_558 Depth=2
	s_or_b32 exec_lo, exec_lo, s20
	v_cmp_gt_i16_e32 vcc_lo, 0, v26
	; wave barrier
	v_cndmask_b32_e64 v22, 0x7fff, 0, vcc_lo
	v_xor_b32_e32 v114, v22, v26
	v_cmp_ne_u16_e32 vcc_lo, 0x8000, v114
	v_cndmask_b32_e32 v22, 0x7fff, v114, vcc_lo
	v_lshrrev_b32_sdwa v22, s49, v22 dst_sel:DWORD dst_unused:UNUSED_PAD src0_sel:DWORD src1_sel:WORD_0
	v_and_b32_e32 v26, s43, v22
	v_and_b32_e32 v22, 1, v26
	v_lshlrev_b32_e32 v27, 30, v26
	v_lshlrev_b32_e32 v28, 29, v26
	;; [unrolled: 1-line block ×4, first 2 shown]
	v_add_co_u32 v22, s20, v22, -1
	v_cndmask_b32_e64 v118, 0, 1, s20
	v_not_b32_e32 v122, v27
	v_cmp_gt_i32_e64 s20, 0, v27
	v_not_b32_e32 v27, v28
	v_lshlrev_b32_e32 v120, 26, v26
	v_cmp_ne_u32_e32 vcc_lo, 0, v118
	v_ashrrev_i32_e32 v122, 31, v122
	v_lshlrev_b32_e32 v121, 25, v26
	v_ashrrev_i32_e32 v27, 31, v27
	v_lshlrev_b32_e32 v118, 24, v26
	v_xor_b32_e32 v22, vcc_lo, v22
	v_cmp_gt_i32_e32 vcc_lo, 0, v28
	v_not_b32_e32 v28, v117
	v_xor_b32_e32 v122, s20, v122
	v_cmp_gt_i32_e64 s20, 0, v117
	v_and_b32_e32 v22, exec_lo, v22
	v_not_b32_e32 v117, v119
	v_ashrrev_i32_e32 v28, 31, v28
	v_xor_b32_e32 v27, vcc_lo, v27
	v_cmp_gt_i32_e32 vcc_lo, 0, v119
	v_and_b32_e32 v22, v22, v122
	v_not_b32_e32 v119, v120
	v_ashrrev_i32_e32 v117, 31, v117
	v_xor_b32_e32 v28, s20, v28
	v_cmp_gt_i32_e64 s20, 0, v120
	v_and_b32_e32 v22, v22, v27
	v_not_b32_e32 v27, v121
	v_ashrrev_i32_e32 v119, 31, v119
	v_xor_b32_e32 v117, vcc_lo, v117
	v_cmp_gt_i32_e32 vcc_lo, 0, v121
	v_and_b32_e32 v22, v22, v28
	v_not_b32_e32 v28, v118
	v_ashrrev_i32_e32 v27, 31, v27
	v_xor_b32_e32 v119, s20, v119
	v_cmp_gt_i32_e64 s20, 0, v118
	v_and_b32_e32 v22, v22, v117
	v_ashrrev_i32_e32 v28, 31, v28
	v_xor_b32_e32 v27, vcc_lo, v27
	v_mad_u32_u24 v117, v26, 36, v96
	v_mul_u32_u24_e32 v26, 36, v26
	v_and_b32_e32 v22, v22, v119
	v_xor_b32_e32 v28, s20, v28
	ds_read_b32 v117, v117 offset:1056
	v_add_nc_u32_e32 v120, v96, v26
	v_and_b32_e32 v22, v22, v27
	; wave barrier
	v_and_b32_e32 v22, v22, v28
	v_mbcnt_lo_u32_b32 v119, v22, 0
	v_cmp_ne_u32_e64 s20, 0, v22
	v_cmp_eq_u32_e32 vcc_lo, 0, v119
	s_and_b32 s21, s20, vcc_lo
	s_and_saveexec_b32 s20, s21
	s_cbranch_execz .LBB1945_586
; %bb.585:                              ;   in Loop: Header=BB1945_558 Depth=2
	s_waitcnt lgkmcnt(0)
	v_bcnt_u32_b32 v22, v22, v117
	ds_write_b32 v120, v22 offset:1056
.LBB1945_586:                           ;   in Loop: Header=BB1945_558 Depth=2
	s_or_b32 exec_lo, exec_lo, s20
	v_cmp_gt_i16_e32 vcc_lo, 0, v25
	; wave barrier
	v_cndmask_b32_e64 v22, 0x7fff, 0, vcc_lo
	v_xor_b32_e32 v118, v22, v25
	v_cmp_ne_u16_e32 vcc_lo, 0x8000, v118
	v_cndmask_b32_e32 v22, 0x7fff, v118, vcc_lo
	v_lshrrev_b32_sdwa v22, s49, v22 dst_sel:DWORD dst_unused:UNUSED_PAD src0_sel:DWORD src1_sel:WORD_0
	v_and_b32_e32 v25, s43, v22
	v_and_b32_e32 v22, 1, v25
	v_lshlrev_b32_e32 v26, 30, v25
	v_lshlrev_b32_e32 v27, 29, v25
	;; [unrolled: 1-line block ×4, first 2 shown]
	v_add_co_u32 v22, s20, v22, -1
	v_cndmask_b32_e64 v121, 0, 1, s20
	v_not_b32_e32 v125, v26
	v_cmp_gt_i32_e64 s20, 0, v26
	v_not_b32_e32 v26, v27
	v_lshlrev_b32_e32 v123, 26, v25
	v_cmp_ne_u32_e32 vcc_lo, 0, v121
	v_ashrrev_i32_e32 v125, 31, v125
	v_lshlrev_b32_e32 v124, 25, v25
	v_ashrrev_i32_e32 v26, 31, v26
	v_lshlrev_b32_e32 v121, 24, v25
	v_xor_b32_e32 v22, vcc_lo, v22
	v_cmp_gt_i32_e32 vcc_lo, 0, v27
	v_not_b32_e32 v27, v28
	v_xor_b32_e32 v125, s20, v125
	v_cmp_gt_i32_e64 s20, 0, v28
	v_and_b32_e32 v22, exec_lo, v22
	v_not_b32_e32 v28, v122
	v_ashrrev_i32_e32 v27, 31, v27
	v_xor_b32_e32 v26, vcc_lo, v26
	v_cmp_gt_i32_e32 vcc_lo, 0, v122
	v_and_b32_e32 v22, v22, v125
	v_not_b32_e32 v122, v123
	v_ashrrev_i32_e32 v28, 31, v28
	v_xor_b32_e32 v27, s20, v27
	v_cmp_gt_i32_e64 s20, 0, v123
	v_and_b32_e32 v22, v22, v26
	v_not_b32_e32 v26, v124
	v_ashrrev_i32_e32 v122, 31, v122
	v_xor_b32_e32 v28, vcc_lo, v28
	v_cmp_gt_i32_e32 vcc_lo, 0, v124
	v_and_b32_e32 v22, v22, v27
	v_not_b32_e32 v27, v121
	v_ashrrev_i32_e32 v26, 31, v26
	v_xor_b32_e32 v122, s20, v122
	v_cmp_gt_i32_e64 s20, 0, v121
	v_and_b32_e32 v22, v22, v28
	v_ashrrev_i32_e32 v27, 31, v27
	v_xor_b32_e32 v26, vcc_lo, v26
	v_mad_u32_u24 v28, v25, 36, v96
	v_mul_u32_u24_e32 v25, 36, v25
	v_and_b32_e32 v22, v22, v122
	v_xor_b32_e32 v27, s20, v27
	ds_read_b32 v121, v28 offset:1056
	v_add_nc_u32_e32 v124, v96, v25
	v_and_b32_e32 v22, v22, v26
	; wave barrier
	v_and_b32_e32 v22, v22, v27
	v_mbcnt_lo_u32_b32 v123, v22, 0
	v_cmp_ne_u32_e64 s20, 0, v22
	v_cmp_eq_u32_e32 vcc_lo, 0, v123
	s_and_b32 s21, s20, vcc_lo
	s_and_saveexec_b32 s20, s21
	s_cbranch_execz .LBB1945_588
; %bb.587:                              ;   in Loop: Header=BB1945_558 Depth=2
	s_waitcnt lgkmcnt(0)
	v_bcnt_u32_b32 v22, v22, v121
	ds_write_b32 v124, v22 offset:1056
.LBB1945_588:                           ;   in Loop: Header=BB1945_558 Depth=2
	s_or_b32 exec_lo, exec_lo, s20
	v_cmp_gt_i16_e32 vcc_lo, 0, v24
	; wave barrier
	v_cndmask_b32_e64 v22, 0x7fff, 0, vcc_lo
	v_xor_b32_e32 v122, v22, v24
	v_cmp_ne_u16_e32 vcc_lo, 0x8000, v122
	v_cndmask_b32_e32 v22, 0x7fff, v122, vcc_lo
	v_lshrrev_b32_sdwa v22, s49, v22 dst_sel:DWORD dst_unused:UNUSED_PAD src0_sel:DWORD src1_sel:WORD_0
	v_and_b32_e32 v24, s43, v22
	v_and_b32_e32 v22, 1, v24
	v_lshlrev_b32_e32 v25, 30, v24
	v_lshlrev_b32_e32 v26, 29, v24
	v_lshlrev_b32_e32 v27, 28, v24
	v_lshlrev_b32_e32 v125, 27, v24
	v_add_co_u32 v22, s20, v22, -1
	v_cndmask_b32_e64 v28, 0, 1, s20
	v_not_b32_e32 v128, v25
	v_cmp_gt_i32_e64 s20, 0, v25
	v_not_b32_e32 v25, v26
	v_lshlrev_b32_e32 v126, 26, v24
	v_cmp_ne_u32_e32 vcc_lo, 0, v28
	v_ashrrev_i32_e32 v128, 31, v128
	v_lshlrev_b32_e32 v127, 25, v24
	v_ashrrev_i32_e32 v25, 31, v25
	v_lshlrev_b32_e32 v28, 24, v24
	v_xor_b32_e32 v22, vcc_lo, v22
	v_cmp_gt_i32_e32 vcc_lo, 0, v26
	v_not_b32_e32 v26, v27
	v_xor_b32_e32 v128, s20, v128
	v_cmp_gt_i32_e64 s20, 0, v27
	v_and_b32_e32 v22, exec_lo, v22
	v_not_b32_e32 v27, v125
	v_ashrrev_i32_e32 v26, 31, v26
	v_xor_b32_e32 v25, vcc_lo, v25
	v_cmp_gt_i32_e32 vcc_lo, 0, v125
	v_and_b32_e32 v22, v22, v128
	v_not_b32_e32 v125, v126
	v_ashrrev_i32_e32 v27, 31, v27
	v_xor_b32_e32 v26, s20, v26
	v_cmp_gt_i32_e64 s20, 0, v126
	v_and_b32_e32 v22, v22, v25
	v_not_b32_e32 v25, v127
	v_ashrrev_i32_e32 v125, 31, v125
	v_xor_b32_e32 v27, vcc_lo, v27
	v_cmp_gt_i32_e32 vcc_lo, 0, v127
	v_and_b32_e32 v22, v22, v26
	v_not_b32_e32 v26, v28
	v_ashrrev_i32_e32 v25, 31, v25
	v_xor_b32_e32 v125, s20, v125
	v_cmp_gt_i32_e64 s20, 0, v28
	v_and_b32_e32 v22, v22, v27
	v_ashrrev_i32_e32 v26, 31, v26
	v_xor_b32_e32 v25, vcc_lo, v25
	v_mad_u32_u24 v27, v24, 36, v96
	v_mul_u32_u24_e32 v24, 36, v24
	v_and_b32_e32 v22, v22, v125
	v_xor_b32_e32 v26, s20, v26
	ds_read_b32 v125, v27 offset:1056
	v_add_nc_u32_e32 v128, v96, v24
	v_and_b32_e32 v22, v22, v25
	; wave barrier
	v_and_b32_e32 v22, v22, v26
	v_mbcnt_lo_u32_b32 v127, v22, 0
	v_cmp_ne_u32_e64 s20, 0, v22
	v_cmp_eq_u32_e32 vcc_lo, 0, v127
	s_and_b32 s21, s20, vcc_lo
	s_and_saveexec_b32 s20, s21
	s_cbranch_execz .LBB1945_590
; %bb.589:                              ;   in Loop: Header=BB1945_558 Depth=2
	s_waitcnt lgkmcnt(0)
	v_bcnt_u32_b32 v22, v22, v125
	ds_write_b32 v128, v22 offset:1056
.LBB1945_590:                           ;   in Loop: Header=BB1945_558 Depth=2
	s_or_b32 exec_lo, exec_lo, s20
	v_cmp_gt_i16_e32 vcc_lo, 0, v23
	; wave barrier
	v_cndmask_b32_e64 v22, 0x7fff, 0, vcc_lo
	v_xor_b32_e32 v126, v22, v23
	v_cmp_ne_u16_e32 vcc_lo, 0x8000, v126
	v_cndmask_b32_e32 v22, 0x7fff, v126, vcc_lo
	v_lshrrev_b32_sdwa v22, s49, v22 dst_sel:DWORD dst_unused:UNUSED_PAD src0_sel:DWORD src1_sel:WORD_0
	v_and_b32_e32 v23, s43, v22
	v_and_b32_e32 v22, 1, v23
	v_lshlrev_b32_e32 v24, 30, v23
	v_lshlrev_b32_e32 v25, 29, v23
	;; [unrolled: 1-line block ×4, first 2 shown]
	v_add_co_u32 v22, s20, v22, -1
	v_cndmask_b32_e64 v27, 0, 1, s20
	v_not_b32_e32 v131, v24
	v_cmp_gt_i32_e64 s20, 0, v24
	v_not_b32_e32 v24, v25
	v_lshlrev_b32_e32 v129, 26, v23
	v_cmp_ne_u32_e32 vcc_lo, 0, v27
	v_ashrrev_i32_e32 v131, 31, v131
	v_lshlrev_b32_e32 v130, 25, v23
	v_ashrrev_i32_e32 v24, 31, v24
	v_lshlrev_b32_e32 v27, 24, v23
	v_xor_b32_e32 v22, vcc_lo, v22
	v_cmp_gt_i32_e32 vcc_lo, 0, v25
	v_not_b32_e32 v25, v26
	v_xor_b32_e32 v131, s20, v131
	v_cmp_gt_i32_e64 s20, 0, v26
	v_and_b32_e32 v22, exec_lo, v22
	v_not_b32_e32 v26, v28
	v_ashrrev_i32_e32 v25, 31, v25
	v_xor_b32_e32 v24, vcc_lo, v24
	v_cmp_gt_i32_e32 vcc_lo, 0, v28
	v_and_b32_e32 v22, v22, v131
	v_not_b32_e32 v28, v129
	v_ashrrev_i32_e32 v26, 31, v26
	v_xor_b32_e32 v25, s20, v25
	v_cmp_gt_i32_e64 s20, 0, v129
	v_and_b32_e32 v22, v22, v24
	v_not_b32_e32 v24, v130
	v_ashrrev_i32_e32 v28, 31, v28
	v_xor_b32_e32 v26, vcc_lo, v26
	v_cmp_gt_i32_e32 vcc_lo, 0, v130
	v_and_b32_e32 v22, v22, v25
	v_not_b32_e32 v25, v27
	v_ashrrev_i32_e32 v24, 31, v24
	v_xor_b32_e32 v28, s20, v28
	v_cmp_gt_i32_e64 s20, 0, v27
	v_and_b32_e32 v22, v22, v26
	v_ashrrev_i32_e32 v25, 31, v25
	v_xor_b32_e32 v24, vcc_lo, v24
	v_mad_u32_u24 v26, v23, 36, v96
	v_mul_u32_u24_e32 v23, 36, v23
	v_and_b32_e32 v22, v22, v28
	v_xor_b32_e32 v25, s20, v25
	ds_read_b32 v129, v26 offset:1056
	v_add_nc_u32_e32 v132, v96, v23
	v_and_b32_e32 v22, v22, v24
	; wave barrier
	v_and_b32_e32 v22, v22, v25
	v_mbcnt_lo_u32_b32 v131, v22, 0
	v_cmp_ne_u32_e64 s20, 0, v22
	v_cmp_eq_u32_e32 vcc_lo, 0, v131
	s_and_b32 s21, s20, vcc_lo
	s_and_saveexec_b32 s20, s21
	s_cbranch_execz .LBB1945_592
; %bb.591:                              ;   in Loop: Header=BB1945_558 Depth=2
	s_waitcnt lgkmcnt(0)
	v_bcnt_u32_b32 v22, v22, v129
	ds_write_b32 v132, v22 offset:1056
.LBB1945_592:                           ;   in Loop: Header=BB1945_558 Depth=2
	s_or_b32 exec_lo, exec_lo, s20
	v_cmp_gt_i16_e32 vcc_lo, 0, v21
	; wave barrier
	v_cndmask_b32_e64 v22, 0x7fff, 0, vcc_lo
	v_xor_b32_e32 v130, v22, v21
	v_cmp_ne_u16_e32 vcc_lo, 0x8000, v130
	v_cndmask_b32_e32 v21, 0x7fff, v130, vcc_lo
	v_lshrrev_b32_sdwa v21, s49, v21 dst_sel:DWORD dst_unused:UNUSED_PAD src0_sel:DWORD src1_sel:WORD_0
	v_and_b32_e32 v22, s43, v21
	v_and_b32_e32 v21, 1, v22
	v_lshlrev_b32_e32 v23, 30, v22
	v_lshlrev_b32_e32 v24, 29, v22
	;; [unrolled: 1-line block ×4, first 2 shown]
	v_add_co_u32 v21, s20, v21, -1
	v_cndmask_b32_e64 v26, 0, 1, s20
	v_not_b32_e32 v134, v23
	v_cmp_gt_i32_e64 s20, 0, v23
	v_not_b32_e32 v23, v24
	v_lshlrev_b32_e32 v28, 26, v22
	v_cmp_ne_u32_e32 vcc_lo, 0, v26
	v_ashrrev_i32_e32 v134, 31, v134
	v_lshlrev_b32_e32 v133, 25, v22
	v_ashrrev_i32_e32 v23, 31, v23
	v_lshlrev_b32_e32 v26, 24, v22
	v_xor_b32_e32 v21, vcc_lo, v21
	v_cmp_gt_i32_e32 vcc_lo, 0, v24
	v_not_b32_e32 v24, v25
	v_xor_b32_e32 v134, s20, v134
	v_cmp_gt_i32_e64 s20, 0, v25
	v_and_b32_e32 v21, exec_lo, v21
	v_not_b32_e32 v25, v27
	v_ashrrev_i32_e32 v24, 31, v24
	v_xor_b32_e32 v23, vcc_lo, v23
	v_cmp_gt_i32_e32 vcc_lo, 0, v27
	v_and_b32_e32 v21, v21, v134
	v_not_b32_e32 v27, v28
	v_ashrrev_i32_e32 v25, 31, v25
	v_xor_b32_e32 v24, s20, v24
	v_cmp_gt_i32_e64 s20, 0, v28
	v_and_b32_e32 v21, v21, v23
	v_not_b32_e32 v23, v133
	v_ashrrev_i32_e32 v27, 31, v27
	v_xor_b32_e32 v25, vcc_lo, v25
	v_cmp_gt_i32_e32 vcc_lo, 0, v133
	v_and_b32_e32 v21, v21, v24
	v_not_b32_e32 v24, v26
	v_ashrrev_i32_e32 v23, 31, v23
	v_xor_b32_e32 v27, s20, v27
	v_cmp_gt_i32_e64 s20, 0, v26
	v_and_b32_e32 v21, v21, v25
	v_ashrrev_i32_e32 v24, 31, v24
	v_xor_b32_e32 v23, vcc_lo, v23
	v_mad_u32_u24 v25, v22, 36, v96
	v_mul_u32_u24_e32 v22, 36, v22
	v_and_b32_e32 v21, v21, v27
	v_xor_b32_e32 v24, s20, v24
	ds_read_b32 v133, v25 offset:1056
	v_add_nc_u32_e32 v135, v96, v22
	v_and_b32_e32 v21, v21, v23
	; wave barrier
	v_and_b32_e32 v21, v21, v24
	v_mbcnt_lo_u32_b32 v134, v21, 0
	v_cmp_ne_u32_e64 s20, 0, v21
	v_cmp_eq_u32_e32 vcc_lo, 0, v134
	s_and_b32 s21, s20, vcc_lo
	s_and_saveexec_b32 s20, s21
	s_cbranch_execz .LBB1945_594
; %bb.593:                              ;   in Loop: Header=BB1945_558 Depth=2
	s_waitcnt lgkmcnt(0)
	v_bcnt_u32_b32 v21, v21, v133
	ds_write_b32 v135, v21 offset:1056
.LBB1945_594:                           ;   in Loop: Header=BB1945_558 Depth=2
	s_or_b32 exec_lo, exec_lo, s20
	; wave barrier
	s_waitcnt lgkmcnt(0)
	s_barrier
	buffer_gl0_inv
	ds_read2_b32 v[27:28], v78 offset1:1
	ds_read2_b32 v[25:26], v88 offset1:1
	;; [unrolled: 1-line block ×4, first 2 shown]
	ds_read_b32 v136, v44 offset:1088
	s_waitcnt lgkmcnt(3)
	v_add3_u32 v137, v28, v27, v25
	s_waitcnt lgkmcnt(2)
	v_add3_u32 v137, v137, v26, v23
	;; [unrolled: 2-line block ×4, first 2 shown]
	v_mov_b32_dpp v137, v136 row_shr:1 row_mask:0xf bank_mask:0xf
	v_cndmask_b32_e64 v137, v137, 0, s5
	v_add_nc_u32_e32 v136, v137, v136
	v_mov_b32_dpp v137, v136 row_shr:2 row_mask:0xf bank_mask:0xf
	v_cndmask_b32_e64 v137, 0, v137, s13
	v_add_nc_u32_e32 v136, v136, v137
	;; [unrolled: 3-line block ×4, first 2 shown]
	ds_swizzle_b32 v137, v136 offset:swizzle(BROADCAST,32,15)
	s_waitcnt lgkmcnt(0)
	v_cndmask_b32_e64 v137, v137, 0, s16
	v_add_nc_u32_e32 v136, v136, v137
	s_and_saveexec_b32 s20, s8
; %bb.595:                              ;   in Loop: Header=BB1945_558 Depth=2
	ds_write_b32 v39, v136 offset:1024
; %bb.596:                              ;   in Loop: Header=BB1945_558 Depth=2
	s_or_b32 exec_lo, exec_lo, s20
	s_waitcnt lgkmcnt(0)
	s_barrier
	buffer_gl0_inv
	s_and_saveexec_b32 s20, s9
	s_cbranch_execz .LBB1945_598
; %bb.597:                              ;   in Loop: Header=BB1945_558 Depth=2
	ds_read_b32 v137, v46 offset:1024
	s_waitcnt lgkmcnt(0)
	v_mov_b32_dpp v138, v137 row_shr:1 row_mask:0xf bank_mask:0xf
	v_cndmask_b32_e64 v138, v138, 0, s17
	v_add_nc_u32_e32 v137, v138, v137
	v_mov_b32_dpp v138, v137 row_shr:2 row_mask:0xf bank_mask:0xf
	v_cndmask_b32_e64 v138, 0, v138, s18
	v_add_nc_u32_e32 v137, v137, v138
	;; [unrolled: 3-line block ×3, first 2 shown]
	ds_write_b32 v46, v137 offset:1024
.LBB1945_598:                           ;   in Loop: Header=BB1945_558 Depth=2
	s_or_b32 exec_lo, exec_lo, s20
	v_mov_b32_e32 v137, 0
	s_waitcnt lgkmcnt(0)
	s_barrier
	buffer_gl0_inv
	s_and_saveexec_b32 s20, s10
; %bb.599:                              ;   in Loop: Header=BB1945_558 Depth=2
	ds_read_b32 v137, v39 offset:1020
; %bb.600:                              ;   in Loop: Header=BB1945_558 Depth=2
	s_or_b32 exec_lo, exec_lo, s20
	s_waitcnt lgkmcnt(0)
	v_add_nc_u32_e32 v136, v137, v136
	ds_bpermute_b32 v136, v91, v136
	s_waitcnt lgkmcnt(0)
	v_cndmask_b32_e64 v136, v136, v137, s12
	v_cndmask_b32_e64 v136, v136, 0, s4
	v_add_nc_u32_e32 v27, v136, v27
	v_add_nc_u32_e32 v28, v27, v28
	;; [unrolled: 1-line block ×8, first 2 shown]
	ds_write2_b32 v78, v136, v27 offset1:1
	ds_write2_b32 v88, v28, v25 offset1:1
	;; [unrolled: 1-line block ×4, first 2 shown]
	ds_write_b32 v44, v22 offset:1088
	s_waitcnt lgkmcnt(0)
	s_barrier
	buffer_gl0_inv
	ds_read_b32 v24, v108 offset:1056
	ds_read_b32 v25, v112 offset:1056
	ds_read_b32 v26, v116 offset:1056
	ds_read_b32 v27, v120 offset:1056
	ds_read_b32 v28, v124 offset:1056
	ds_read_b32 v116, v128 offset:1056
	ds_read_b32 v22, v132 offset:1056
	ds_read_b32 v21, v135 offset:1056
	ds_read_b32 v108, v44 offset:1056
	v_mov_b32_e32 v23, 0x800
	s_and_saveexec_b32 s20, s11
; %bb.601:                              ;   in Loop: Header=BB1945_558 Depth=2
	ds_read_b32 v23, v44 offset:1092
; %bb.602:                              ;   in Loop: Header=BB1945_558 Depth=2
	s_or_b32 exec_lo, exec_lo, s20
	s_waitcnt lgkmcnt(0)
	s_barrier
	buffer_gl0_inv
	s_and_saveexec_b32 s20, s7
	s_cbranch_execz .LBB1945_604
; %bb.603:                              ;   in Loop: Header=BB1945_558 Depth=2
	ds_read_b32 v112, v29
	s_waitcnt lgkmcnt(0)
	v_sub_nc_u32_e32 v108, v112, v108
	ds_write_b32 v29, v108
.LBB1945_604:                           ;   in Loop: Header=BB1945_558 Depth=2
	s_or_b32 exec_lo, exec_lo, s20
	v_add_nc_u32_e32 v112, v24, v106
	v_add3_u32 v108, v110, v109, v25
	v_add3_u32 v106, v115, v113, v26
	;; [unrolled: 1-line block ×4, first 2 shown]
	v_lshlrev_b32_e32 v109, 1, v112
	v_lshlrev_b32_e32 v110, 1, v108
	v_add3_u32 v27, v131, v129, v22
	v_lshlrev_b32_e32 v22, 1, v106
	v_add3_u32 v28, v134, v133, v21
	ds_write_b16 v109, v3 offset:1024
	ds_write_b16 v110, v107 offset:1024
	v_lshlrev_b32_e32 v3, 1, v26
	v_add3_u32 v24, v127, v125, v116
	ds_write_b16 v22, v111 offset:1024
	v_lshlrev_b32_e32 v21, 1, v25
	v_cmp_lt_u32_e32 vcc_lo, v0, v105
	ds_write_b16 v3, v114 offset:1024
	v_lshlrev_b32_e32 v3, 1, v28
	v_lshlrev_b32_e32 v22, 1, v24
	;; [unrolled: 1-line block ×3, first 2 shown]
	ds_write_b16 v21, v118 offset:1024
	ds_write_b16 v22, v122 offset:1024
	ds_write_b16 v107, v126 offset:1024
	ds_write_b16 v3, v130 offset:1024
	s_waitcnt lgkmcnt(0)
	s_barrier
	buffer_gl0_inv
	s_and_saveexec_b32 s21, vcc_lo
	s_cbranch_execnz .LBB1945_641
; %bb.605:                              ;   in Loop: Header=BB1945_558 Depth=2
	s_or_b32 exec_lo, exec_lo, s21
	v_cmp_lt_u32_e64 s20, v30, v105
	s_and_saveexec_b32 s22, s20
	s_cbranch_execnz .LBB1945_642
.LBB1945_606:                           ;   in Loop: Header=BB1945_558 Depth=2
	s_or_b32 exec_lo, exec_lo, s22
	v_cmp_lt_u32_e64 s21, v31, v105
	s_and_saveexec_b32 s23, s21
	s_cbranch_execnz .LBB1945_643
.LBB1945_607:                           ;   in Loop: Header=BB1945_558 Depth=2
	s_or_b32 exec_lo, exec_lo, s23
	v_cmp_lt_u32_e64 s22, v32, v105
	s_and_saveexec_b32 s24, s22
	s_cbranch_execnz .LBB1945_644
.LBB1945_608:                           ;   in Loop: Header=BB1945_558 Depth=2
	s_or_b32 exec_lo, exec_lo, s24
	v_cmp_lt_u32_e64 s23, v35, v105
	s_and_saveexec_b32 s25, s23
	s_cbranch_execnz .LBB1945_645
.LBB1945_609:                           ;   in Loop: Header=BB1945_558 Depth=2
	s_or_b32 exec_lo, exec_lo, s25
	v_cmp_lt_u32_e64 s24, v36, v105
	s_and_saveexec_b32 s26, s24
	s_cbranch_execnz .LBB1945_646
.LBB1945_610:                           ;   in Loop: Header=BB1945_558 Depth=2
	s_or_b32 exec_lo, exec_lo, s26
	v_cmp_lt_u32_e64 s25, v37, v105
	s_and_saveexec_b32 s28, s25
	s_cbranch_execnz .LBB1945_647
.LBB1945_611:                           ;   in Loop: Header=BB1945_558 Depth=2
	s_or_b32 exec_lo, exec_lo, s28
	v_cmp_lt_u32_e64 s26, v38, v105
	s_and_saveexec_b32 s54, s26
	s_cbranch_execz .LBB1945_613
.LBB1945_612:                           ;   in Loop: Header=BB1945_558 Depth=2
	ds_read_u16 v107, v47 offset:4608
	s_waitcnt lgkmcnt(0)
	v_cmp_ne_u16_e64 s28, 0x8000, v107
	v_cndmask_b32_e64 v3, 0x7fff, v107, s28
	v_cmp_gt_i16_e64 s28, 0, v107
	v_lshrrev_b32_sdwa v3, s49, v3 dst_sel:DWORD dst_unused:UNUSED_PAD src0_sel:DWORD src1_sel:WORD_0
	v_cndmask_b32_e64 v109, 0x7fff, 0, s28
	v_and_b32_e32 v3, s43, v3
	v_lshlrev_b32_e32 v3, 2, v3
	ds_read_b32 v3, v3
	s_waitcnt lgkmcnt(0)
	v_add_nc_u32_e32 v3, v3, v38
	v_lshlrev_b64 v[21:22], 1, v[3:4]
	v_xor_b32_e32 v3, v109, v107
	v_add_co_u32 v21, s28, s40, v21
	v_add_co_ci_u32_e64 v22, null, s41, v22, s28
	global_store_short v[21:22], v3, off
.LBB1945_613:                           ;   in Loop: Header=BB1945_558 Depth=2
	s_or_b32 exec_lo, exec_lo, s54
	s_lshl_b64 s[54:55], s[34:35], 3
	v_add_co_u32 v21, s28, v92, s54
	v_add_co_ci_u32_e64 v22, null, s55, v93, s28
	v_cmp_lt_u32_e64 s28, v66, v105
	s_and_saveexec_b32 s34, s28
	s_xor_b32 s28, exec_lo, s34
	s_cbranch_execnz .LBB1945_648
; %bb.614:                              ;   in Loop: Header=BB1945_558 Depth=2
	s_or_b32 exec_lo, exec_lo, s28
	s_mov_b32 s34, exec_lo
	v_cmpx_lt_u32_e64 v70, v105
	s_cbranch_execnz .LBB1945_649
.LBB1945_615:                           ;   in Loop: Header=BB1945_558 Depth=2
	s_or_b32 exec_lo, exec_lo, s34
	s_mov_b32 s34, exec_lo
	v_cmpx_lt_u32_e64 v71, v105
	s_cbranch_execnz .LBB1945_650
.LBB1945_616:                           ;   in Loop: Header=BB1945_558 Depth=2
	s_or_b32 exec_lo, exec_lo, s34
	s_mov_b32 s34, exec_lo
	v_cmpx_lt_u32_e64 v72, v105
	s_cbranch_execnz .LBB1945_651
.LBB1945_617:                           ;   in Loop: Header=BB1945_558 Depth=2
	s_or_b32 exec_lo, exec_lo, s34
	s_mov_b32 s34, exec_lo
	v_cmpx_lt_u32_e64 v73, v105
	s_cbranch_execnz .LBB1945_652
.LBB1945_618:                           ;   in Loop: Header=BB1945_558 Depth=2
	s_or_b32 exec_lo, exec_lo, s34
	s_mov_b32 s34, exec_lo
	v_cmpx_lt_u32_e64 v74, v105
	s_cbranch_execnz .LBB1945_653
.LBB1945_619:                           ;   in Loop: Header=BB1945_558 Depth=2
	s_or_b32 exec_lo, exec_lo, s34
	s_mov_b32 s34, exec_lo
	v_cmpx_lt_u32_e64 v75, v105
	s_cbranch_execnz .LBB1945_654
.LBB1945_620:                           ;   in Loop: Header=BB1945_558 Depth=2
	s_or_b32 exec_lo, exec_lo, s34
	s_mov_b32 s34, exec_lo
	v_cmpx_lt_u32_e64 v76, v105
	s_cbranch_execnz .LBB1945_655
.LBB1945_621:                           ;   in Loop: Header=BB1945_558 Depth=2
	s_or_b32 exec_lo, exec_lo, s34
	s_and_saveexec_b32 s34, vcc_lo
	s_cbranch_execnz .LBB1945_656
.LBB1945_622:                           ;   in Loop: Header=BB1945_558 Depth=2
	s_or_b32 exec_lo, exec_lo, s34
	s_and_saveexec_b32 s34, s20
	s_cbranch_execnz .LBB1945_657
.LBB1945_623:                           ;   in Loop: Header=BB1945_558 Depth=2
	s_or_b32 exec_lo, exec_lo, s34
	s_and_saveexec_b32 s34, s21
	s_cbranch_execnz .LBB1945_658
.LBB1945_624:                           ;   in Loop: Header=BB1945_558 Depth=2
	s_or_b32 exec_lo, exec_lo, s34
	s_and_saveexec_b32 s34, s22
	s_cbranch_execnz .LBB1945_659
.LBB1945_625:                           ;   in Loop: Header=BB1945_558 Depth=2
	s_or_b32 exec_lo, exec_lo, s34
	s_and_saveexec_b32 s34, s23
	s_cbranch_execnz .LBB1945_660
.LBB1945_626:                           ;   in Loop: Header=BB1945_558 Depth=2
	s_or_b32 exec_lo, exec_lo, s34
	s_and_saveexec_b32 s34, s24
	s_cbranch_execnz .LBB1945_661
.LBB1945_627:                           ;   in Loop: Header=BB1945_558 Depth=2
	s_or_b32 exec_lo, exec_lo, s34
	s_and_saveexec_b32 s34, s25
	s_cbranch_execnz .LBB1945_662
.LBB1945_628:                           ;   in Loop: Header=BB1945_558 Depth=2
	s_or_b32 exec_lo, exec_lo, s34
	s_and_saveexec_b32 s34, s26
	s_cbranch_execz .LBB1945_630
.LBB1945_629:                           ;   in Loop: Header=BB1945_558 Depth=2
	ds_read_u16 v3, v47 offset:4608
	s_waitcnt lgkmcnt(0)
	v_cmp_ne_u16_e64 s28, 0x8000, v3
	v_cndmask_b32_e64 v3, 0x7fff, v3, s28
	v_lshrrev_b32_sdwa v3, s49, v3 dst_sel:DWORD dst_unused:UNUSED_PAD src0_sel:DWORD src1_sel:WORD_0
	v_and_b32_e32 v97, s43, v3
.LBB1945_630:                           ;   in Loop: Header=BB1945_558 Depth=2
	s_or_b32 exec_lo, exec_lo, s34
	v_lshlrev_b32_e32 v3, 3, v112
	v_lshlrev_b32_e32 v21, 3, v108
	;; [unrolled: 1-line block ×3, first 2 shown]
	s_waitcnt vmcnt(0)
	s_waitcnt_vscnt null, 0x0
	s_barrier
	buffer_gl0_inv
	ds_write_b64 v3, v[19:20] offset:1024
	ds_write_b64 v21, v[17:18] offset:1024
	v_lshlrev_b32_e32 v3, 3, v26
	v_lshlrev_b32_e32 v21, 3, v25
	ds_write_b64 v22, v[15:16] offset:1024
	v_lshlrev_b32_e32 v22, 3, v24
	v_lshlrev_b32_e32 v24, 3, v27
	ds_write_b64 v3, v[13:14] offset:1024
	v_lshlrev_b32_e32 v3, 3, v28
	ds_write_b64 v21, v[11:12] offset:1024
	ds_write_b64 v22, v[9:10] offset:1024
	;; [unrolled: 1-line block ×3, first 2 shown]
	v_add_nc_u32_e32 v21, v47, v48
	ds_write_b64 v3, v[5:6] offset:1024
	s_waitcnt lgkmcnt(0)
	s_barrier
	buffer_gl0_inv
	s_and_saveexec_b32 s28, vcc_lo
	s_cbranch_execnz .LBB1945_663
; %bb.631:                              ;   in Loop: Header=BB1945_558 Depth=2
	s_or_b32 exec_lo, exec_lo, s28
	s_and_saveexec_b32 s28, s20
	s_cbranch_execnz .LBB1945_664
.LBB1945_632:                           ;   in Loop: Header=BB1945_558 Depth=2
	s_or_b32 exec_lo, exec_lo, s28
	s_and_saveexec_b32 s20, s21
	s_cbranch_execnz .LBB1945_665
.LBB1945_633:                           ;   in Loop: Header=BB1945_558 Depth=2
	s_or_b32 exec_lo, exec_lo, s20
	s_and_saveexec_b32 s20, s22
	s_cbranch_execnz .LBB1945_666
.LBB1945_634:                           ;   in Loop: Header=BB1945_558 Depth=2
	s_or_b32 exec_lo, exec_lo, s20
	s_and_saveexec_b32 s20, s23
	s_cbranch_execnz .LBB1945_667
.LBB1945_635:                           ;   in Loop: Header=BB1945_558 Depth=2
	s_or_b32 exec_lo, exec_lo, s20
	s_and_saveexec_b32 s20, s24
	s_cbranch_execnz .LBB1945_668
.LBB1945_636:                           ;   in Loop: Header=BB1945_558 Depth=2
	s_or_b32 exec_lo, exec_lo, s20
	s_and_saveexec_b32 s20, s25
	s_cbranch_execnz .LBB1945_669
.LBB1945_637:                           ;   in Loop: Header=BB1945_558 Depth=2
	s_or_b32 exec_lo, exec_lo, s20
	s_and_saveexec_b32 s20, s26
	s_cbranch_execz .LBB1945_639
.LBB1945_638:                           ;   in Loop: Header=BB1945_558 Depth=2
	v_lshlrev_b32_e32 v3, 2, v97
	ds_read_b32 v3, v3
	ds_read_b64 v[21:22], v21 offset:15360
	s_waitcnt lgkmcnt(1)
	v_add_nc_u32_e32 v3, v3, v38
	v_lshlrev_b64 v[24:25], 3, v[3:4]
	v_add_co_u32 v24, vcc_lo, s46, v24
	v_add_co_ci_u32_e64 v25, null, s47, v25, vcc_lo
	s_waitcnt lgkmcnt(0)
	global_store_dwordx2 v[24:25], v[21:22], off
.LBB1945_639:                           ;   in Loop: Header=BB1945_558 Depth=2
	s_or_b32 exec_lo, exec_lo, s20
	s_waitcnt_vscnt null, 0x0
	s_barrier
	buffer_gl0_inv
	s_and_saveexec_b32 s20, s7
	s_cbranch_execz .LBB1945_557
; %bb.640:                              ;   in Loop: Header=BB1945_558 Depth=2
	ds_read_b32 v3, v29
	s_waitcnt lgkmcnt(0)
	v_add_nc_u32_e32 v3, v3, v23
	ds_write_b32 v29, v3
	s_branch .LBB1945_557
.LBB1945_641:                           ;   in Loop: Header=BB1945_558 Depth=2
	ds_read_u16 v107, v47 offset:1024
	s_waitcnt lgkmcnt(0)
	v_cmp_ne_u16_e64 s20, 0x8000, v107
	v_cndmask_b32_e64 v3, 0x7fff, v107, s20
	v_cmp_gt_i16_e64 s20, 0, v107
	v_lshrrev_b32_sdwa v3, s49, v3 dst_sel:DWORD dst_unused:UNUSED_PAD src0_sel:DWORD src1_sel:WORD_0
	v_cndmask_b32_e64 v109, 0x7fff, 0, s20
	v_and_b32_e32 v3, s43, v3
	v_lshlrev_b32_e32 v3, 2, v3
	ds_read_b32 v3, v3
	s_waitcnt lgkmcnt(0)
	v_add_nc_u32_e32 v3, v3, v0
	v_lshlrev_b64 v[21:22], 1, v[3:4]
	v_xor_b32_e32 v3, v109, v107
	v_add_co_u32 v21, s20, s40, v21
	v_add_co_ci_u32_e64 v22, null, s41, v22, s20
	global_store_short v[21:22], v3, off
	s_or_b32 exec_lo, exec_lo, s21
	v_cmp_lt_u32_e64 s20, v30, v105
	s_and_saveexec_b32 s22, s20
	s_cbranch_execz .LBB1945_606
.LBB1945_642:                           ;   in Loop: Header=BB1945_558 Depth=2
	ds_read_u16 v107, v47 offset:1536
	s_waitcnt lgkmcnt(0)
	v_cmp_ne_u16_e64 s21, 0x8000, v107
	v_cndmask_b32_e64 v3, 0x7fff, v107, s21
	v_cmp_gt_i16_e64 s21, 0, v107
	v_lshrrev_b32_sdwa v3, s49, v3 dst_sel:DWORD dst_unused:UNUSED_PAD src0_sel:DWORD src1_sel:WORD_0
	v_cndmask_b32_e64 v109, 0x7fff, 0, s21
	v_and_b32_e32 v3, s43, v3
	v_lshlrev_b32_e32 v3, 2, v3
	ds_read_b32 v3, v3
	s_waitcnt lgkmcnt(0)
	v_add_nc_u32_e32 v3, v3, v30
	v_lshlrev_b64 v[21:22], 1, v[3:4]
	v_xor_b32_e32 v3, v109, v107
	v_add_co_u32 v21, s21, s40, v21
	v_add_co_ci_u32_e64 v22, null, s41, v22, s21
	global_store_short v[21:22], v3, off
	s_or_b32 exec_lo, exec_lo, s22
	v_cmp_lt_u32_e64 s21, v31, v105
	s_and_saveexec_b32 s23, s21
	s_cbranch_execz .LBB1945_607
.LBB1945_643:                           ;   in Loop: Header=BB1945_558 Depth=2
	ds_read_u16 v107, v47 offset:2048
	s_waitcnt lgkmcnt(0)
	v_cmp_ne_u16_e64 s22, 0x8000, v107
	v_cndmask_b32_e64 v3, 0x7fff, v107, s22
	v_cmp_gt_i16_e64 s22, 0, v107
	v_lshrrev_b32_sdwa v3, s49, v3 dst_sel:DWORD dst_unused:UNUSED_PAD src0_sel:DWORD src1_sel:WORD_0
	v_cndmask_b32_e64 v109, 0x7fff, 0, s22
	v_and_b32_e32 v3, s43, v3
	v_lshlrev_b32_e32 v3, 2, v3
	ds_read_b32 v3, v3
	s_waitcnt lgkmcnt(0)
	v_add_nc_u32_e32 v3, v3, v31
	v_lshlrev_b64 v[21:22], 1, v[3:4]
	v_xor_b32_e32 v3, v109, v107
	v_add_co_u32 v21, s22, s40, v21
	v_add_co_ci_u32_e64 v22, null, s41, v22, s22
	global_store_short v[21:22], v3, off
	s_or_b32 exec_lo, exec_lo, s23
	v_cmp_lt_u32_e64 s22, v32, v105
	s_and_saveexec_b32 s24, s22
	s_cbranch_execz .LBB1945_608
.LBB1945_644:                           ;   in Loop: Header=BB1945_558 Depth=2
	ds_read_u16 v107, v47 offset:2560
	s_waitcnt lgkmcnt(0)
	v_cmp_ne_u16_e64 s23, 0x8000, v107
	v_cndmask_b32_e64 v3, 0x7fff, v107, s23
	v_cmp_gt_i16_e64 s23, 0, v107
	v_lshrrev_b32_sdwa v3, s49, v3 dst_sel:DWORD dst_unused:UNUSED_PAD src0_sel:DWORD src1_sel:WORD_0
	v_cndmask_b32_e64 v109, 0x7fff, 0, s23
	v_and_b32_e32 v3, s43, v3
	v_lshlrev_b32_e32 v3, 2, v3
	ds_read_b32 v3, v3
	s_waitcnt lgkmcnt(0)
	v_add_nc_u32_e32 v3, v3, v32
	v_lshlrev_b64 v[21:22], 1, v[3:4]
	v_xor_b32_e32 v3, v109, v107
	v_add_co_u32 v21, s23, s40, v21
	v_add_co_ci_u32_e64 v22, null, s41, v22, s23
	global_store_short v[21:22], v3, off
	s_or_b32 exec_lo, exec_lo, s24
	v_cmp_lt_u32_e64 s23, v35, v105
	s_and_saveexec_b32 s25, s23
	s_cbranch_execz .LBB1945_609
.LBB1945_645:                           ;   in Loop: Header=BB1945_558 Depth=2
	ds_read_u16 v107, v47 offset:3072
	s_waitcnt lgkmcnt(0)
	v_cmp_ne_u16_e64 s24, 0x8000, v107
	v_cndmask_b32_e64 v3, 0x7fff, v107, s24
	v_cmp_gt_i16_e64 s24, 0, v107
	v_lshrrev_b32_sdwa v3, s49, v3 dst_sel:DWORD dst_unused:UNUSED_PAD src0_sel:DWORD src1_sel:WORD_0
	v_cndmask_b32_e64 v109, 0x7fff, 0, s24
	v_and_b32_e32 v3, s43, v3
	v_lshlrev_b32_e32 v3, 2, v3
	ds_read_b32 v3, v3
	s_waitcnt lgkmcnt(0)
	v_add_nc_u32_e32 v3, v3, v35
	v_lshlrev_b64 v[21:22], 1, v[3:4]
	v_xor_b32_e32 v3, v109, v107
	v_add_co_u32 v21, s24, s40, v21
	v_add_co_ci_u32_e64 v22, null, s41, v22, s24
	global_store_short v[21:22], v3, off
	s_or_b32 exec_lo, exec_lo, s25
	v_cmp_lt_u32_e64 s24, v36, v105
	s_and_saveexec_b32 s26, s24
	s_cbranch_execz .LBB1945_610
.LBB1945_646:                           ;   in Loop: Header=BB1945_558 Depth=2
	ds_read_u16 v107, v47 offset:3584
	s_waitcnt lgkmcnt(0)
	v_cmp_ne_u16_e64 s25, 0x8000, v107
	v_cndmask_b32_e64 v3, 0x7fff, v107, s25
	v_cmp_gt_i16_e64 s25, 0, v107
	v_lshrrev_b32_sdwa v3, s49, v3 dst_sel:DWORD dst_unused:UNUSED_PAD src0_sel:DWORD src1_sel:WORD_0
	v_cndmask_b32_e64 v109, 0x7fff, 0, s25
	v_and_b32_e32 v3, s43, v3
	v_lshlrev_b32_e32 v3, 2, v3
	ds_read_b32 v3, v3
	s_waitcnt lgkmcnt(0)
	v_add_nc_u32_e32 v3, v3, v36
	v_lshlrev_b64 v[21:22], 1, v[3:4]
	v_xor_b32_e32 v3, v109, v107
	v_add_co_u32 v21, s25, s40, v21
	v_add_co_ci_u32_e64 v22, null, s41, v22, s25
	global_store_short v[21:22], v3, off
	s_or_b32 exec_lo, exec_lo, s26
	v_cmp_lt_u32_e64 s25, v37, v105
	s_and_saveexec_b32 s28, s25
	s_cbranch_execz .LBB1945_611
.LBB1945_647:                           ;   in Loop: Header=BB1945_558 Depth=2
	ds_read_u16 v107, v47 offset:4096
	s_waitcnt lgkmcnt(0)
	v_cmp_ne_u16_e64 s26, 0x8000, v107
	v_cndmask_b32_e64 v3, 0x7fff, v107, s26
	v_cmp_gt_i16_e64 s26, 0, v107
	v_lshrrev_b32_sdwa v3, s49, v3 dst_sel:DWORD dst_unused:UNUSED_PAD src0_sel:DWORD src1_sel:WORD_0
	v_cndmask_b32_e64 v109, 0x7fff, 0, s26
	v_and_b32_e32 v3, s43, v3
	v_lshlrev_b32_e32 v3, 2, v3
	ds_read_b32 v3, v3
	s_waitcnt lgkmcnt(0)
	v_add_nc_u32_e32 v3, v3, v37
	v_lshlrev_b64 v[21:22], 1, v[3:4]
	v_xor_b32_e32 v3, v109, v107
	v_add_co_u32 v21, s26, s40, v21
	v_add_co_ci_u32_e64 v22, null, s41, v22, s26
	global_store_short v[21:22], v3, off
	s_or_b32 exec_lo, exec_lo, s28
	v_cmp_lt_u32_e64 s26, v38, v105
	s_and_saveexec_b32 s54, s26
	s_cbranch_execnz .LBB1945_612
	s_branch .LBB1945_613
.LBB1945_648:                           ;   in Loop: Header=BB1945_558 Depth=2
	global_load_dwordx2 v[19:20], v[21:22], off
	s_or_b32 exec_lo, exec_lo, s28
	s_mov_b32 s34, exec_lo
	v_cmpx_lt_u32_e64 v70, v105
	s_cbranch_execz .LBB1945_615
.LBB1945_649:                           ;   in Loop: Header=BB1945_558 Depth=2
	global_load_dwordx2 v[17:18], v[21:22], off offset:256
	s_or_b32 exec_lo, exec_lo, s34
	s_mov_b32 s34, exec_lo
	v_cmpx_lt_u32_e64 v71, v105
	s_cbranch_execz .LBB1945_616
.LBB1945_650:                           ;   in Loop: Header=BB1945_558 Depth=2
	global_load_dwordx2 v[15:16], v[21:22], off offset:512
	s_or_b32 exec_lo, exec_lo, s34
	s_mov_b32 s34, exec_lo
	v_cmpx_lt_u32_e64 v72, v105
	s_cbranch_execz .LBB1945_617
.LBB1945_651:                           ;   in Loop: Header=BB1945_558 Depth=2
	global_load_dwordx2 v[13:14], v[21:22], off offset:768
	s_or_b32 exec_lo, exec_lo, s34
	s_mov_b32 s34, exec_lo
	v_cmpx_lt_u32_e64 v73, v105
	s_cbranch_execz .LBB1945_618
.LBB1945_652:                           ;   in Loop: Header=BB1945_558 Depth=2
	global_load_dwordx2 v[11:12], v[21:22], off offset:1024
	s_or_b32 exec_lo, exec_lo, s34
	s_mov_b32 s34, exec_lo
	v_cmpx_lt_u32_e64 v74, v105
	s_cbranch_execz .LBB1945_619
.LBB1945_653:                           ;   in Loop: Header=BB1945_558 Depth=2
	global_load_dwordx2 v[9:10], v[21:22], off offset:1280
	s_or_b32 exec_lo, exec_lo, s34
	s_mov_b32 s34, exec_lo
	v_cmpx_lt_u32_e64 v75, v105
	s_cbranch_execz .LBB1945_620
.LBB1945_654:                           ;   in Loop: Header=BB1945_558 Depth=2
	global_load_dwordx2 v[7:8], v[21:22], off offset:1536
	s_or_b32 exec_lo, exec_lo, s34
	s_mov_b32 s34, exec_lo
	v_cmpx_lt_u32_e64 v76, v105
	s_cbranch_execz .LBB1945_621
.LBB1945_655:                           ;   in Loop: Header=BB1945_558 Depth=2
	global_load_dwordx2 v[5:6], v[21:22], off offset:1792
	s_or_b32 exec_lo, exec_lo, s34
	s_and_saveexec_b32 s34, vcc_lo
	s_cbranch_execz .LBB1945_622
.LBB1945_656:                           ;   in Loop: Header=BB1945_558 Depth=2
	ds_read_u16 v3, v47 offset:1024
	s_waitcnt lgkmcnt(0)
	v_cmp_ne_u16_e64 s28, 0x8000, v3
	v_cndmask_b32_e64 v3, 0x7fff, v3, s28
	v_lshrrev_b32_sdwa v3, s49, v3 dst_sel:DWORD dst_unused:UNUSED_PAD src0_sel:DWORD src1_sel:WORD_0
	v_and_b32_e32 v104, s43, v3
	s_or_b32 exec_lo, exec_lo, s34
	s_and_saveexec_b32 s34, s20
	s_cbranch_execz .LBB1945_623
.LBB1945_657:                           ;   in Loop: Header=BB1945_558 Depth=2
	ds_read_u16 v3, v47 offset:1536
	s_waitcnt lgkmcnt(0)
	v_cmp_ne_u16_e64 s28, 0x8000, v3
	v_cndmask_b32_e64 v3, 0x7fff, v3, s28
	v_lshrrev_b32_sdwa v3, s49, v3 dst_sel:DWORD dst_unused:UNUSED_PAD src0_sel:DWORD src1_sel:WORD_0
	v_and_b32_e32 v103, s43, v3
	s_or_b32 exec_lo, exec_lo, s34
	s_and_saveexec_b32 s34, s21
	s_cbranch_execz .LBB1945_624
.LBB1945_658:                           ;   in Loop: Header=BB1945_558 Depth=2
	ds_read_u16 v3, v47 offset:2048
	s_waitcnt lgkmcnt(0)
	v_cmp_ne_u16_e64 s28, 0x8000, v3
	v_cndmask_b32_e64 v3, 0x7fff, v3, s28
	v_lshrrev_b32_sdwa v3, s49, v3 dst_sel:DWORD dst_unused:UNUSED_PAD src0_sel:DWORD src1_sel:WORD_0
	v_and_b32_e32 v102, s43, v3
	s_or_b32 exec_lo, exec_lo, s34
	s_and_saveexec_b32 s34, s22
	s_cbranch_execz .LBB1945_625
.LBB1945_659:                           ;   in Loop: Header=BB1945_558 Depth=2
	ds_read_u16 v3, v47 offset:2560
	s_waitcnt lgkmcnt(0)
	v_cmp_ne_u16_e64 s28, 0x8000, v3
	v_cndmask_b32_e64 v3, 0x7fff, v3, s28
	v_lshrrev_b32_sdwa v3, s49, v3 dst_sel:DWORD dst_unused:UNUSED_PAD src0_sel:DWORD src1_sel:WORD_0
	v_and_b32_e32 v101, s43, v3
	s_or_b32 exec_lo, exec_lo, s34
	s_and_saveexec_b32 s34, s23
	s_cbranch_execz .LBB1945_626
.LBB1945_660:                           ;   in Loop: Header=BB1945_558 Depth=2
	ds_read_u16 v3, v47 offset:3072
	s_waitcnt lgkmcnt(0)
	v_cmp_ne_u16_e64 s28, 0x8000, v3
	v_cndmask_b32_e64 v3, 0x7fff, v3, s28
	v_lshrrev_b32_sdwa v3, s49, v3 dst_sel:DWORD dst_unused:UNUSED_PAD src0_sel:DWORD src1_sel:WORD_0
	v_and_b32_e32 v100, s43, v3
	s_or_b32 exec_lo, exec_lo, s34
	s_and_saveexec_b32 s34, s24
	s_cbranch_execz .LBB1945_627
.LBB1945_661:                           ;   in Loop: Header=BB1945_558 Depth=2
	ds_read_u16 v3, v47 offset:3584
	s_waitcnt lgkmcnt(0)
	v_cmp_ne_u16_e64 s28, 0x8000, v3
	v_cndmask_b32_e64 v3, 0x7fff, v3, s28
	v_lshrrev_b32_sdwa v3, s49, v3 dst_sel:DWORD dst_unused:UNUSED_PAD src0_sel:DWORD src1_sel:WORD_0
	v_and_b32_e32 v99, s43, v3
	s_or_b32 exec_lo, exec_lo, s34
	s_and_saveexec_b32 s34, s25
	s_cbranch_execz .LBB1945_628
.LBB1945_662:                           ;   in Loop: Header=BB1945_558 Depth=2
	ds_read_u16 v3, v47 offset:4096
	s_waitcnt lgkmcnt(0)
	v_cmp_ne_u16_e64 s28, 0x8000, v3
	v_cndmask_b32_e64 v3, 0x7fff, v3, s28
	v_lshrrev_b32_sdwa v3, s49, v3 dst_sel:DWORD dst_unused:UNUSED_PAD src0_sel:DWORD src1_sel:WORD_0
	v_and_b32_e32 v98, s43, v3
	s_or_b32 exec_lo, exec_lo, s34
	s_and_saveexec_b32 s34, s26
	s_cbranch_execnz .LBB1945_629
	s_branch .LBB1945_630
.LBB1945_663:                           ;   in Loop: Header=BB1945_558 Depth=2
	v_lshlrev_b32_e32 v3, 2, v104
	ds_read_b32 v3, v3
	ds_read_b64 v[24:25], v21 offset:1024
	s_waitcnt lgkmcnt(1)
	v_add_nc_u32_e32 v3, v3, v0
	v_lshlrev_b64 v[26:27], 3, v[3:4]
	v_add_co_u32 v26, vcc_lo, s46, v26
	v_add_co_ci_u32_e64 v27, null, s47, v27, vcc_lo
	s_waitcnt lgkmcnt(0)
	global_store_dwordx2 v[26:27], v[24:25], off
	s_or_b32 exec_lo, exec_lo, s28
	s_and_saveexec_b32 s28, s20
	s_cbranch_execz .LBB1945_632
.LBB1945_664:                           ;   in Loop: Header=BB1945_558 Depth=2
	v_lshlrev_b32_e32 v3, 2, v103
	ds_read_b32 v3, v3
	ds_read_b64 v[24:25], v21 offset:3072
	s_waitcnt lgkmcnt(1)
	v_add_nc_u32_e32 v3, v3, v30
	v_lshlrev_b64 v[26:27], 3, v[3:4]
	v_add_co_u32 v26, vcc_lo, s46, v26
	v_add_co_ci_u32_e64 v27, null, s47, v27, vcc_lo
	s_waitcnt lgkmcnt(0)
	global_store_dwordx2 v[26:27], v[24:25], off
	s_or_b32 exec_lo, exec_lo, s28
	s_and_saveexec_b32 s20, s21
	s_cbranch_execz .LBB1945_633
.LBB1945_665:                           ;   in Loop: Header=BB1945_558 Depth=2
	v_lshlrev_b32_e32 v3, 2, v102
	ds_read_b32 v3, v3
	ds_read_b64 v[24:25], v21 offset:5120
	s_waitcnt lgkmcnt(1)
	v_add_nc_u32_e32 v3, v3, v31
	v_lshlrev_b64 v[26:27], 3, v[3:4]
	v_add_co_u32 v26, vcc_lo, s46, v26
	v_add_co_ci_u32_e64 v27, null, s47, v27, vcc_lo
	s_waitcnt lgkmcnt(0)
	global_store_dwordx2 v[26:27], v[24:25], off
	s_or_b32 exec_lo, exec_lo, s20
	s_and_saveexec_b32 s20, s22
	s_cbranch_execz .LBB1945_634
.LBB1945_666:                           ;   in Loop: Header=BB1945_558 Depth=2
	v_lshlrev_b32_e32 v3, 2, v101
	ds_read_b32 v3, v3
	ds_read_b64 v[24:25], v21 offset:7168
	s_waitcnt lgkmcnt(1)
	v_add_nc_u32_e32 v3, v3, v32
	v_lshlrev_b64 v[26:27], 3, v[3:4]
	v_add_co_u32 v26, vcc_lo, s46, v26
	v_add_co_ci_u32_e64 v27, null, s47, v27, vcc_lo
	s_waitcnt lgkmcnt(0)
	global_store_dwordx2 v[26:27], v[24:25], off
	s_or_b32 exec_lo, exec_lo, s20
	s_and_saveexec_b32 s20, s23
	s_cbranch_execz .LBB1945_635
.LBB1945_667:                           ;   in Loop: Header=BB1945_558 Depth=2
	v_lshlrev_b32_e32 v3, 2, v100
	ds_read_b32 v3, v3
	ds_read_b64 v[24:25], v21 offset:9216
	s_waitcnt lgkmcnt(1)
	v_add_nc_u32_e32 v3, v3, v35
	v_lshlrev_b64 v[26:27], 3, v[3:4]
	v_add_co_u32 v26, vcc_lo, s46, v26
	v_add_co_ci_u32_e64 v27, null, s47, v27, vcc_lo
	s_waitcnt lgkmcnt(0)
	global_store_dwordx2 v[26:27], v[24:25], off
	s_or_b32 exec_lo, exec_lo, s20
	s_and_saveexec_b32 s20, s24
	s_cbranch_execz .LBB1945_636
.LBB1945_668:                           ;   in Loop: Header=BB1945_558 Depth=2
	v_lshlrev_b32_e32 v3, 2, v99
	ds_read_b32 v3, v3
	ds_read_b64 v[24:25], v21 offset:11264
	s_waitcnt lgkmcnt(1)
	v_add_nc_u32_e32 v3, v3, v36
	v_lshlrev_b64 v[26:27], 3, v[3:4]
	v_add_co_u32 v26, vcc_lo, s46, v26
	v_add_co_ci_u32_e64 v27, null, s47, v27, vcc_lo
	s_waitcnt lgkmcnt(0)
	global_store_dwordx2 v[26:27], v[24:25], off
	s_or_b32 exec_lo, exec_lo, s20
	s_and_saveexec_b32 s20, s25
	s_cbranch_execz .LBB1945_637
.LBB1945_669:                           ;   in Loop: Header=BB1945_558 Depth=2
	v_lshlrev_b32_e32 v3, 2, v98
	ds_read_b32 v3, v3
	ds_read_b64 v[24:25], v21 offset:13312
	s_waitcnt lgkmcnt(1)
	v_add_nc_u32_e32 v3, v3, v37
	v_lshlrev_b64 v[26:27], 3, v[3:4]
	v_add_co_u32 v26, vcc_lo, s46, v26
	v_add_co_ci_u32_e64 v27, null, s47, v27, vcc_lo
	s_waitcnt lgkmcnt(0)
	global_store_dwordx2 v[26:27], v[24:25], off
	s_or_b32 exec_lo, exec_lo, s20
	s_and_saveexec_b32 s20, s26
	s_cbranch_execnz .LBB1945_638
	s_branch .LBB1945_639
.LBB1945_670:
	s_endpgm
	.section	.rodata,"a",@progbits
	.p2align	6, 0x0
	.amdhsa_kernel _ZN7rocprim17ROCPRIM_400000_NS6detail17trampoline_kernelINS0_14default_configENS1_36segmented_radix_sort_config_selectorI12hip_bfloat16lEEZNS1_25segmented_radix_sort_implIS3_Lb1EPKS5_PS5_PKlPlN2at6native12_GLOBAL__N_18offset_tEEE10hipError_tPvRmT1_PNSt15iterator_traitsISL_E10value_typeET2_T3_PNSM_ISR_E10value_typeET4_jRbjT5_SX_jjP12ihipStream_tbEUlT_E_NS1_11comp_targetILNS1_3genE8ELNS1_11target_archE1030ELNS1_3gpuE2ELNS1_3repE0EEENS1_30default_config_static_selectorELNS0_4arch9wavefront6targetE0EEEvSL_
		.amdhsa_group_segment_fixed_size 17440
		.amdhsa_private_segment_fixed_size 0
		.amdhsa_kernarg_size 352
		.amdhsa_user_sgpr_count 6
		.amdhsa_user_sgpr_private_segment_buffer 1
		.amdhsa_user_sgpr_dispatch_ptr 0
		.amdhsa_user_sgpr_queue_ptr 0
		.amdhsa_user_sgpr_kernarg_segment_ptr 1
		.amdhsa_user_sgpr_dispatch_id 0
		.amdhsa_user_sgpr_flat_scratch_init 0
		.amdhsa_user_sgpr_private_segment_size 0
		.amdhsa_wavefront_size32 1
		.amdhsa_uses_dynamic_stack 0
		.amdhsa_system_sgpr_private_segment_wavefront_offset 0
		.amdhsa_system_sgpr_workgroup_id_x 1
		.amdhsa_system_sgpr_workgroup_id_y 1
		.amdhsa_system_sgpr_workgroup_id_z 0
		.amdhsa_system_sgpr_workgroup_info 0
		.amdhsa_system_vgpr_workitem_id 2
		.amdhsa_next_free_vgpr 184
		.amdhsa_next_free_sgpr 56
		.amdhsa_reserve_vcc 1
		.amdhsa_reserve_flat_scratch 0
		.amdhsa_float_round_mode_32 0
		.amdhsa_float_round_mode_16_64 0
		.amdhsa_float_denorm_mode_32 3
		.amdhsa_float_denorm_mode_16_64 3
		.amdhsa_dx10_clamp 1
		.amdhsa_ieee_mode 1
		.amdhsa_fp16_overflow 0
		.amdhsa_workgroup_processor_mode 1
		.amdhsa_memory_ordered 1
		.amdhsa_forward_progress 1
		.amdhsa_shared_vgpr_count 0
		.amdhsa_exception_fp_ieee_invalid_op 0
		.amdhsa_exception_fp_denorm_src 0
		.amdhsa_exception_fp_ieee_div_zero 0
		.amdhsa_exception_fp_ieee_overflow 0
		.amdhsa_exception_fp_ieee_underflow 0
		.amdhsa_exception_fp_ieee_inexact 0
		.amdhsa_exception_int_div_zero 0
	.end_amdhsa_kernel
	.section	.text._ZN7rocprim17ROCPRIM_400000_NS6detail17trampoline_kernelINS0_14default_configENS1_36segmented_radix_sort_config_selectorI12hip_bfloat16lEEZNS1_25segmented_radix_sort_implIS3_Lb1EPKS5_PS5_PKlPlN2at6native12_GLOBAL__N_18offset_tEEE10hipError_tPvRmT1_PNSt15iterator_traitsISL_E10value_typeET2_T3_PNSM_ISR_E10value_typeET4_jRbjT5_SX_jjP12ihipStream_tbEUlT_E_NS1_11comp_targetILNS1_3genE8ELNS1_11target_archE1030ELNS1_3gpuE2ELNS1_3repE0EEENS1_30default_config_static_selectorELNS0_4arch9wavefront6targetE0EEEvSL_,"axG",@progbits,_ZN7rocprim17ROCPRIM_400000_NS6detail17trampoline_kernelINS0_14default_configENS1_36segmented_radix_sort_config_selectorI12hip_bfloat16lEEZNS1_25segmented_radix_sort_implIS3_Lb1EPKS5_PS5_PKlPlN2at6native12_GLOBAL__N_18offset_tEEE10hipError_tPvRmT1_PNSt15iterator_traitsISL_E10value_typeET2_T3_PNSM_ISR_E10value_typeET4_jRbjT5_SX_jjP12ihipStream_tbEUlT_E_NS1_11comp_targetILNS1_3genE8ELNS1_11target_archE1030ELNS1_3gpuE2ELNS1_3repE0EEENS1_30default_config_static_selectorELNS0_4arch9wavefront6targetE0EEEvSL_,comdat
.Lfunc_end1945:
	.size	_ZN7rocprim17ROCPRIM_400000_NS6detail17trampoline_kernelINS0_14default_configENS1_36segmented_radix_sort_config_selectorI12hip_bfloat16lEEZNS1_25segmented_radix_sort_implIS3_Lb1EPKS5_PS5_PKlPlN2at6native12_GLOBAL__N_18offset_tEEE10hipError_tPvRmT1_PNSt15iterator_traitsISL_E10value_typeET2_T3_PNSM_ISR_E10value_typeET4_jRbjT5_SX_jjP12ihipStream_tbEUlT_E_NS1_11comp_targetILNS1_3genE8ELNS1_11target_archE1030ELNS1_3gpuE2ELNS1_3repE0EEENS1_30default_config_static_selectorELNS0_4arch9wavefront6targetE0EEEvSL_, .Lfunc_end1945-_ZN7rocprim17ROCPRIM_400000_NS6detail17trampoline_kernelINS0_14default_configENS1_36segmented_radix_sort_config_selectorI12hip_bfloat16lEEZNS1_25segmented_radix_sort_implIS3_Lb1EPKS5_PS5_PKlPlN2at6native12_GLOBAL__N_18offset_tEEE10hipError_tPvRmT1_PNSt15iterator_traitsISL_E10value_typeET2_T3_PNSM_ISR_E10value_typeET4_jRbjT5_SX_jjP12ihipStream_tbEUlT_E_NS1_11comp_targetILNS1_3genE8ELNS1_11target_archE1030ELNS1_3gpuE2ELNS1_3repE0EEENS1_30default_config_static_selectorELNS0_4arch9wavefront6targetE0EEEvSL_
                                        ; -- End function
	.set _ZN7rocprim17ROCPRIM_400000_NS6detail17trampoline_kernelINS0_14default_configENS1_36segmented_radix_sort_config_selectorI12hip_bfloat16lEEZNS1_25segmented_radix_sort_implIS3_Lb1EPKS5_PS5_PKlPlN2at6native12_GLOBAL__N_18offset_tEEE10hipError_tPvRmT1_PNSt15iterator_traitsISL_E10value_typeET2_T3_PNSM_ISR_E10value_typeET4_jRbjT5_SX_jjP12ihipStream_tbEUlT_E_NS1_11comp_targetILNS1_3genE8ELNS1_11target_archE1030ELNS1_3gpuE2ELNS1_3repE0EEENS1_30default_config_static_selectorELNS0_4arch9wavefront6targetE0EEEvSL_.num_vgpr, max(139, .L_ZN7rocprim17ROCPRIM_400000_NS6detail40segmented_radix_sort_single_block_helperI12hip_bfloat16lLj256ELj8ELb1EE4sortIPKS3_PS3_PKlPlEEbT_T0_T1_T2_jjjjRNS4_12storage_typeE.num_vgpr)
	.set _ZN7rocprim17ROCPRIM_400000_NS6detail17trampoline_kernelINS0_14default_configENS1_36segmented_radix_sort_config_selectorI12hip_bfloat16lEEZNS1_25segmented_radix_sort_implIS3_Lb1EPKS5_PS5_PKlPlN2at6native12_GLOBAL__N_18offset_tEEE10hipError_tPvRmT1_PNSt15iterator_traitsISL_E10value_typeET2_T3_PNSM_ISR_E10value_typeET4_jRbjT5_SX_jjP12ihipStream_tbEUlT_E_NS1_11comp_targetILNS1_3genE8ELNS1_11target_archE1030ELNS1_3gpuE2ELNS1_3repE0EEENS1_30default_config_static_selectorELNS0_4arch9wavefront6targetE0EEEvSL_.num_agpr, max(0, .L_ZN7rocprim17ROCPRIM_400000_NS6detail40segmented_radix_sort_single_block_helperI12hip_bfloat16lLj256ELj8ELb1EE4sortIPKS3_PS3_PKlPlEEbT_T0_T1_T2_jjjjRNS4_12storage_typeE.num_agpr)
	.set _ZN7rocprim17ROCPRIM_400000_NS6detail17trampoline_kernelINS0_14default_configENS1_36segmented_radix_sort_config_selectorI12hip_bfloat16lEEZNS1_25segmented_radix_sort_implIS3_Lb1EPKS5_PS5_PKlPlN2at6native12_GLOBAL__N_18offset_tEEE10hipError_tPvRmT1_PNSt15iterator_traitsISL_E10value_typeET2_T3_PNSM_ISR_E10value_typeET4_jRbjT5_SX_jjP12ihipStream_tbEUlT_E_NS1_11comp_targetILNS1_3genE8ELNS1_11target_archE1030ELNS1_3gpuE2ELNS1_3repE0EEENS1_30default_config_static_selectorELNS0_4arch9wavefront6targetE0EEEvSL_.numbered_sgpr, max(56, .L_ZN7rocprim17ROCPRIM_400000_NS6detail40segmented_radix_sort_single_block_helperI12hip_bfloat16lLj256ELj8ELb1EE4sortIPKS3_PS3_PKlPlEEbT_T0_T1_T2_jjjjRNS4_12storage_typeE.numbered_sgpr)
	.set _ZN7rocprim17ROCPRIM_400000_NS6detail17trampoline_kernelINS0_14default_configENS1_36segmented_radix_sort_config_selectorI12hip_bfloat16lEEZNS1_25segmented_radix_sort_implIS3_Lb1EPKS5_PS5_PKlPlN2at6native12_GLOBAL__N_18offset_tEEE10hipError_tPvRmT1_PNSt15iterator_traitsISL_E10value_typeET2_T3_PNSM_ISR_E10value_typeET4_jRbjT5_SX_jjP12ihipStream_tbEUlT_E_NS1_11comp_targetILNS1_3genE8ELNS1_11target_archE1030ELNS1_3gpuE2ELNS1_3repE0EEENS1_30default_config_static_selectorELNS0_4arch9wavefront6targetE0EEEvSL_.num_named_barrier, max(0, .L_ZN7rocprim17ROCPRIM_400000_NS6detail40segmented_radix_sort_single_block_helperI12hip_bfloat16lLj256ELj8ELb1EE4sortIPKS3_PS3_PKlPlEEbT_T0_T1_T2_jjjjRNS4_12storage_typeE.num_named_barrier)
	.set _ZN7rocprim17ROCPRIM_400000_NS6detail17trampoline_kernelINS0_14default_configENS1_36segmented_radix_sort_config_selectorI12hip_bfloat16lEEZNS1_25segmented_radix_sort_implIS3_Lb1EPKS5_PS5_PKlPlN2at6native12_GLOBAL__N_18offset_tEEE10hipError_tPvRmT1_PNSt15iterator_traitsISL_E10value_typeET2_T3_PNSM_ISR_E10value_typeET4_jRbjT5_SX_jjP12ihipStream_tbEUlT_E_NS1_11comp_targetILNS1_3genE8ELNS1_11target_archE1030ELNS1_3gpuE2ELNS1_3repE0EEENS1_30default_config_static_selectorELNS0_4arch9wavefront6targetE0EEEvSL_.private_seg_size, 0+max(.L_ZN7rocprim17ROCPRIM_400000_NS6detail40segmented_radix_sort_single_block_helperI12hip_bfloat16lLj256ELj8ELb1EE4sortIPKS3_PS3_PKlPlEEbT_T0_T1_T2_jjjjRNS4_12storage_typeE.private_seg_size)
	.set _ZN7rocprim17ROCPRIM_400000_NS6detail17trampoline_kernelINS0_14default_configENS1_36segmented_radix_sort_config_selectorI12hip_bfloat16lEEZNS1_25segmented_radix_sort_implIS3_Lb1EPKS5_PS5_PKlPlN2at6native12_GLOBAL__N_18offset_tEEE10hipError_tPvRmT1_PNSt15iterator_traitsISL_E10value_typeET2_T3_PNSM_ISR_E10value_typeET4_jRbjT5_SX_jjP12ihipStream_tbEUlT_E_NS1_11comp_targetILNS1_3genE8ELNS1_11target_archE1030ELNS1_3gpuE2ELNS1_3repE0EEENS1_30default_config_static_selectorELNS0_4arch9wavefront6targetE0EEEvSL_.uses_vcc, or(1, .L_ZN7rocprim17ROCPRIM_400000_NS6detail40segmented_radix_sort_single_block_helperI12hip_bfloat16lLj256ELj8ELb1EE4sortIPKS3_PS3_PKlPlEEbT_T0_T1_T2_jjjjRNS4_12storage_typeE.uses_vcc)
	.set _ZN7rocprim17ROCPRIM_400000_NS6detail17trampoline_kernelINS0_14default_configENS1_36segmented_radix_sort_config_selectorI12hip_bfloat16lEEZNS1_25segmented_radix_sort_implIS3_Lb1EPKS5_PS5_PKlPlN2at6native12_GLOBAL__N_18offset_tEEE10hipError_tPvRmT1_PNSt15iterator_traitsISL_E10value_typeET2_T3_PNSM_ISR_E10value_typeET4_jRbjT5_SX_jjP12ihipStream_tbEUlT_E_NS1_11comp_targetILNS1_3genE8ELNS1_11target_archE1030ELNS1_3gpuE2ELNS1_3repE0EEENS1_30default_config_static_selectorELNS0_4arch9wavefront6targetE0EEEvSL_.uses_flat_scratch, or(0, .L_ZN7rocprim17ROCPRIM_400000_NS6detail40segmented_radix_sort_single_block_helperI12hip_bfloat16lLj256ELj8ELb1EE4sortIPKS3_PS3_PKlPlEEbT_T0_T1_T2_jjjjRNS4_12storage_typeE.uses_flat_scratch)
	.set _ZN7rocprim17ROCPRIM_400000_NS6detail17trampoline_kernelINS0_14default_configENS1_36segmented_radix_sort_config_selectorI12hip_bfloat16lEEZNS1_25segmented_radix_sort_implIS3_Lb1EPKS5_PS5_PKlPlN2at6native12_GLOBAL__N_18offset_tEEE10hipError_tPvRmT1_PNSt15iterator_traitsISL_E10value_typeET2_T3_PNSM_ISR_E10value_typeET4_jRbjT5_SX_jjP12ihipStream_tbEUlT_E_NS1_11comp_targetILNS1_3genE8ELNS1_11target_archE1030ELNS1_3gpuE2ELNS1_3repE0EEENS1_30default_config_static_selectorELNS0_4arch9wavefront6targetE0EEEvSL_.has_dyn_sized_stack, or(0, .L_ZN7rocprim17ROCPRIM_400000_NS6detail40segmented_radix_sort_single_block_helperI12hip_bfloat16lLj256ELj8ELb1EE4sortIPKS3_PS3_PKlPlEEbT_T0_T1_T2_jjjjRNS4_12storage_typeE.has_dyn_sized_stack)
	.set _ZN7rocprim17ROCPRIM_400000_NS6detail17trampoline_kernelINS0_14default_configENS1_36segmented_radix_sort_config_selectorI12hip_bfloat16lEEZNS1_25segmented_radix_sort_implIS3_Lb1EPKS5_PS5_PKlPlN2at6native12_GLOBAL__N_18offset_tEEE10hipError_tPvRmT1_PNSt15iterator_traitsISL_E10value_typeET2_T3_PNSM_ISR_E10value_typeET4_jRbjT5_SX_jjP12ihipStream_tbEUlT_E_NS1_11comp_targetILNS1_3genE8ELNS1_11target_archE1030ELNS1_3gpuE2ELNS1_3repE0EEENS1_30default_config_static_selectorELNS0_4arch9wavefront6targetE0EEEvSL_.has_recursion, or(0, .L_ZN7rocprim17ROCPRIM_400000_NS6detail40segmented_radix_sort_single_block_helperI12hip_bfloat16lLj256ELj8ELb1EE4sortIPKS3_PS3_PKlPlEEbT_T0_T1_T2_jjjjRNS4_12storage_typeE.has_recursion)
	.set _ZN7rocprim17ROCPRIM_400000_NS6detail17trampoline_kernelINS0_14default_configENS1_36segmented_radix_sort_config_selectorI12hip_bfloat16lEEZNS1_25segmented_radix_sort_implIS3_Lb1EPKS5_PS5_PKlPlN2at6native12_GLOBAL__N_18offset_tEEE10hipError_tPvRmT1_PNSt15iterator_traitsISL_E10value_typeET2_T3_PNSM_ISR_E10value_typeET4_jRbjT5_SX_jjP12ihipStream_tbEUlT_E_NS1_11comp_targetILNS1_3genE8ELNS1_11target_archE1030ELNS1_3gpuE2ELNS1_3repE0EEENS1_30default_config_static_selectorELNS0_4arch9wavefront6targetE0EEEvSL_.has_indirect_call, or(0, .L_ZN7rocprim17ROCPRIM_400000_NS6detail40segmented_radix_sort_single_block_helperI12hip_bfloat16lLj256ELj8ELb1EE4sortIPKS3_PS3_PKlPlEEbT_T0_T1_T2_jjjjRNS4_12storage_typeE.has_indirect_call)
	.section	.AMDGPU.csdata,"",@progbits
; Kernel info:
; codeLenInByte = 38328
; TotalNumSgprs: 58
; NumVgprs: 184
; ScratchSize: 0
; MemoryBound: 0
; FloatMode: 240
; IeeeMode: 1
; LDSByteSize: 17440 bytes/workgroup (compile time only)
; SGPRBlocks: 0
; VGPRBlocks: 22
; NumSGPRsForWavesPerEU: 58
; NumVGPRsForWavesPerEU: 184
; Occupancy: 5
; WaveLimiterHint : 1
; COMPUTE_PGM_RSRC2:SCRATCH_EN: 0
; COMPUTE_PGM_RSRC2:USER_SGPR: 6
; COMPUTE_PGM_RSRC2:TRAP_HANDLER: 0
; COMPUTE_PGM_RSRC2:TGID_X_EN: 1
; COMPUTE_PGM_RSRC2:TGID_Y_EN: 1
; COMPUTE_PGM_RSRC2:TGID_Z_EN: 0
; COMPUTE_PGM_RSRC2:TIDIG_COMP_CNT: 2
	.section	.text._ZN7rocprim17ROCPRIM_400000_NS6detail17trampoline_kernelINS0_14default_configENS1_36segmented_radix_sort_config_selectorI12hip_bfloat16lEEZNS1_25segmented_radix_sort_implIS3_Lb1EPKS5_PS5_PKlPlN2at6native12_GLOBAL__N_18offset_tEEE10hipError_tPvRmT1_PNSt15iterator_traitsISL_E10value_typeET2_T3_PNSM_ISR_E10value_typeET4_jRbjT5_SX_jjP12ihipStream_tbEUlT_E0_NS1_11comp_targetILNS1_3genE0ELNS1_11target_archE4294967295ELNS1_3gpuE0ELNS1_3repE0EEENS1_60segmented_radix_sort_warp_sort_medium_config_static_selectorELNS0_4arch9wavefront6targetE0EEEvSL_,"axG",@progbits,_ZN7rocprim17ROCPRIM_400000_NS6detail17trampoline_kernelINS0_14default_configENS1_36segmented_radix_sort_config_selectorI12hip_bfloat16lEEZNS1_25segmented_radix_sort_implIS3_Lb1EPKS5_PS5_PKlPlN2at6native12_GLOBAL__N_18offset_tEEE10hipError_tPvRmT1_PNSt15iterator_traitsISL_E10value_typeET2_T3_PNSM_ISR_E10value_typeET4_jRbjT5_SX_jjP12ihipStream_tbEUlT_E0_NS1_11comp_targetILNS1_3genE0ELNS1_11target_archE4294967295ELNS1_3gpuE0ELNS1_3repE0EEENS1_60segmented_radix_sort_warp_sort_medium_config_static_selectorELNS0_4arch9wavefront6targetE0EEEvSL_,comdat
	.globl	_ZN7rocprim17ROCPRIM_400000_NS6detail17trampoline_kernelINS0_14default_configENS1_36segmented_radix_sort_config_selectorI12hip_bfloat16lEEZNS1_25segmented_radix_sort_implIS3_Lb1EPKS5_PS5_PKlPlN2at6native12_GLOBAL__N_18offset_tEEE10hipError_tPvRmT1_PNSt15iterator_traitsISL_E10value_typeET2_T3_PNSM_ISR_E10value_typeET4_jRbjT5_SX_jjP12ihipStream_tbEUlT_E0_NS1_11comp_targetILNS1_3genE0ELNS1_11target_archE4294967295ELNS1_3gpuE0ELNS1_3repE0EEENS1_60segmented_radix_sort_warp_sort_medium_config_static_selectorELNS0_4arch9wavefront6targetE0EEEvSL_ ; -- Begin function _ZN7rocprim17ROCPRIM_400000_NS6detail17trampoline_kernelINS0_14default_configENS1_36segmented_radix_sort_config_selectorI12hip_bfloat16lEEZNS1_25segmented_radix_sort_implIS3_Lb1EPKS5_PS5_PKlPlN2at6native12_GLOBAL__N_18offset_tEEE10hipError_tPvRmT1_PNSt15iterator_traitsISL_E10value_typeET2_T3_PNSM_ISR_E10value_typeET4_jRbjT5_SX_jjP12ihipStream_tbEUlT_E0_NS1_11comp_targetILNS1_3genE0ELNS1_11target_archE4294967295ELNS1_3gpuE0ELNS1_3repE0EEENS1_60segmented_radix_sort_warp_sort_medium_config_static_selectorELNS0_4arch9wavefront6targetE0EEEvSL_
	.p2align	8
	.type	_ZN7rocprim17ROCPRIM_400000_NS6detail17trampoline_kernelINS0_14default_configENS1_36segmented_radix_sort_config_selectorI12hip_bfloat16lEEZNS1_25segmented_radix_sort_implIS3_Lb1EPKS5_PS5_PKlPlN2at6native12_GLOBAL__N_18offset_tEEE10hipError_tPvRmT1_PNSt15iterator_traitsISL_E10value_typeET2_T3_PNSM_ISR_E10value_typeET4_jRbjT5_SX_jjP12ihipStream_tbEUlT_E0_NS1_11comp_targetILNS1_3genE0ELNS1_11target_archE4294967295ELNS1_3gpuE0ELNS1_3repE0EEENS1_60segmented_radix_sort_warp_sort_medium_config_static_selectorELNS0_4arch9wavefront6targetE0EEEvSL_,@function
_ZN7rocprim17ROCPRIM_400000_NS6detail17trampoline_kernelINS0_14default_configENS1_36segmented_radix_sort_config_selectorI12hip_bfloat16lEEZNS1_25segmented_radix_sort_implIS3_Lb1EPKS5_PS5_PKlPlN2at6native12_GLOBAL__N_18offset_tEEE10hipError_tPvRmT1_PNSt15iterator_traitsISL_E10value_typeET2_T3_PNSM_ISR_E10value_typeET4_jRbjT5_SX_jjP12ihipStream_tbEUlT_E0_NS1_11comp_targetILNS1_3genE0ELNS1_11target_archE4294967295ELNS1_3gpuE0ELNS1_3repE0EEENS1_60segmented_radix_sort_warp_sort_medium_config_static_selectorELNS0_4arch9wavefront6targetE0EEEvSL_: ; @_ZN7rocprim17ROCPRIM_400000_NS6detail17trampoline_kernelINS0_14default_configENS1_36segmented_radix_sort_config_selectorI12hip_bfloat16lEEZNS1_25segmented_radix_sort_implIS3_Lb1EPKS5_PS5_PKlPlN2at6native12_GLOBAL__N_18offset_tEEE10hipError_tPvRmT1_PNSt15iterator_traitsISL_E10value_typeET2_T3_PNSM_ISR_E10value_typeET4_jRbjT5_SX_jjP12ihipStream_tbEUlT_E0_NS1_11comp_targetILNS1_3genE0ELNS1_11target_archE4294967295ELNS1_3gpuE0ELNS1_3repE0EEENS1_60segmented_radix_sort_warp_sort_medium_config_static_selectorELNS0_4arch9wavefront6targetE0EEEvSL_
; %bb.0:
	.section	.rodata,"a",@progbits
	.p2align	6, 0x0
	.amdhsa_kernel _ZN7rocprim17ROCPRIM_400000_NS6detail17trampoline_kernelINS0_14default_configENS1_36segmented_radix_sort_config_selectorI12hip_bfloat16lEEZNS1_25segmented_radix_sort_implIS3_Lb1EPKS5_PS5_PKlPlN2at6native12_GLOBAL__N_18offset_tEEE10hipError_tPvRmT1_PNSt15iterator_traitsISL_E10value_typeET2_T3_PNSM_ISR_E10value_typeET4_jRbjT5_SX_jjP12ihipStream_tbEUlT_E0_NS1_11comp_targetILNS1_3genE0ELNS1_11target_archE4294967295ELNS1_3gpuE0ELNS1_3repE0EEENS1_60segmented_radix_sort_warp_sort_medium_config_static_selectorELNS0_4arch9wavefront6targetE0EEEvSL_
		.amdhsa_group_segment_fixed_size 0
		.amdhsa_private_segment_fixed_size 0
		.amdhsa_kernarg_size 88
		.amdhsa_user_sgpr_count 6
		.amdhsa_user_sgpr_private_segment_buffer 1
		.amdhsa_user_sgpr_dispatch_ptr 0
		.amdhsa_user_sgpr_queue_ptr 0
		.amdhsa_user_sgpr_kernarg_segment_ptr 1
		.amdhsa_user_sgpr_dispatch_id 0
		.amdhsa_user_sgpr_flat_scratch_init 0
		.amdhsa_user_sgpr_private_segment_size 0
		.amdhsa_wavefront_size32 1
		.amdhsa_uses_dynamic_stack 0
		.amdhsa_system_sgpr_private_segment_wavefront_offset 0
		.amdhsa_system_sgpr_workgroup_id_x 1
		.amdhsa_system_sgpr_workgroup_id_y 0
		.amdhsa_system_sgpr_workgroup_id_z 0
		.amdhsa_system_sgpr_workgroup_info 0
		.amdhsa_system_vgpr_workitem_id 0
		.amdhsa_next_free_vgpr 1
		.amdhsa_next_free_sgpr 1
		.amdhsa_reserve_vcc 0
		.amdhsa_reserve_flat_scratch 0
		.amdhsa_float_round_mode_32 0
		.amdhsa_float_round_mode_16_64 0
		.amdhsa_float_denorm_mode_32 3
		.amdhsa_float_denorm_mode_16_64 3
		.amdhsa_dx10_clamp 1
		.amdhsa_ieee_mode 1
		.amdhsa_fp16_overflow 0
		.amdhsa_workgroup_processor_mode 1
		.amdhsa_memory_ordered 1
		.amdhsa_forward_progress 1
		.amdhsa_shared_vgpr_count 0
		.amdhsa_exception_fp_ieee_invalid_op 0
		.amdhsa_exception_fp_denorm_src 0
		.amdhsa_exception_fp_ieee_div_zero 0
		.amdhsa_exception_fp_ieee_overflow 0
		.amdhsa_exception_fp_ieee_underflow 0
		.amdhsa_exception_fp_ieee_inexact 0
		.amdhsa_exception_int_div_zero 0
	.end_amdhsa_kernel
	.section	.text._ZN7rocprim17ROCPRIM_400000_NS6detail17trampoline_kernelINS0_14default_configENS1_36segmented_radix_sort_config_selectorI12hip_bfloat16lEEZNS1_25segmented_radix_sort_implIS3_Lb1EPKS5_PS5_PKlPlN2at6native12_GLOBAL__N_18offset_tEEE10hipError_tPvRmT1_PNSt15iterator_traitsISL_E10value_typeET2_T3_PNSM_ISR_E10value_typeET4_jRbjT5_SX_jjP12ihipStream_tbEUlT_E0_NS1_11comp_targetILNS1_3genE0ELNS1_11target_archE4294967295ELNS1_3gpuE0ELNS1_3repE0EEENS1_60segmented_radix_sort_warp_sort_medium_config_static_selectorELNS0_4arch9wavefront6targetE0EEEvSL_,"axG",@progbits,_ZN7rocprim17ROCPRIM_400000_NS6detail17trampoline_kernelINS0_14default_configENS1_36segmented_radix_sort_config_selectorI12hip_bfloat16lEEZNS1_25segmented_radix_sort_implIS3_Lb1EPKS5_PS5_PKlPlN2at6native12_GLOBAL__N_18offset_tEEE10hipError_tPvRmT1_PNSt15iterator_traitsISL_E10value_typeET2_T3_PNSM_ISR_E10value_typeET4_jRbjT5_SX_jjP12ihipStream_tbEUlT_E0_NS1_11comp_targetILNS1_3genE0ELNS1_11target_archE4294967295ELNS1_3gpuE0ELNS1_3repE0EEENS1_60segmented_radix_sort_warp_sort_medium_config_static_selectorELNS0_4arch9wavefront6targetE0EEEvSL_,comdat
.Lfunc_end1946:
	.size	_ZN7rocprim17ROCPRIM_400000_NS6detail17trampoline_kernelINS0_14default_configENS1_36segmented_radix_sort_config_selectorI12hip_bfloat16lEEZNS1_25segmented_radix_sort_implIS3_Lb1EPKS5_PS5_PKlPlN2at6native12_GLOBAL__N_18offset_tEEE10hipError_tPvRmT1_PNSt15iterator_traitsISL_E10value_typeET2_T3_PNSM_ISR_E10value_typeET4_jRbjT5_SX_jjP12ihipStream_tbEUlT_E0_NS1_11comp_targetILNS1_3genE0ELNS1_11target_archE4294967295ELNS1_3gpuE0ELNS1_3repE0EEENS1_60segmented_radix_sort_warp_sort_medium_config_static_selectorELNS0_4arch9wavefront6targetE0EEEvSL_, .Lfunc_end1946-_ZN7rocprim17ROCPRIM_400000_NS6detail17trampoline_kernelINS0_14default_configENS1_36segmented_radix_sort_config_selectorI12hip_bfloat16lEEZNS1_25segmented_radix_sort_implIS3_Lb1EPKS5_PS5_PKlPlN2at6native12_GLOBAL__N_18offset_tEEE10hipError_tPvRmT1_PNSt15iterator_traitsISL_E10value_typeET2_T3_PNSM_ISR_E10value_typeET4_jRbjT5_SX_jjP12ihipStream_tbEUlT_E0_NS1_11comp_targetILNS1_3genE0ELNS1_11target_archE4294967295ELNS1_3gpuE0ELNS1_3repE0EEENS1_60segmented_radix_sort_warp_sort_medium_config_static_selectorELNS0_4arch9wavefront6targetE0EEEvSL_
                                        ; -- End function
	.set _ZN7rocprim17ROCPRIM_400000_NS6detail17trampoline_kernelINS0_14default_configENS1_36segmented_radix_sort_config_selectorI12hip_bfloat16lEEZNS1_25segmented_radix_sort_implIS3_Lb1EPKS5_PS5_PKlPlN2at6native12_GLOBAL__N_18offset_tEEE10hipError_tPvRmT1_PNSt15iterator_traitsISL_E10value_typeET2_T3_PNSM_ISR_E10value_typeET4_jRbjT5_SX_jjP12ihipStream_tbEUlT_E0_NS1_11comp_targetILNS1_3genE0ELNS1_11target_archE4294967295ELNS1_3gpuE0ELNS1_3repE0EEENS1_60segmented_radix_sort_warp_sort_medium_config_static_selectorELNS0_4arch9wavefront6targetE0EEEvSL_.num_vgpr, 0
	.set _ZN7rocprim17ROCPRIM_400000_NS6detail17trampoline_kernelINS0_14default_configENS1_36segmented_radix_sort_config_selectorI12hip_bfloat16lEEZNS1_25segmented_radix_sort_implIS3_Lb1EPKS5_PS5_PKlPlN2at6native12_GLOBAL__N_18offset_tEEE10hipError_tPvRmT1_PNSt15iterator_traitsISL_E10value_typeET2_T3_PNSM_ISR_E10value_typeET4_jRbjT5_SX_jjP12ihipStream_tbEUlT_E0_NS1_11comp_targetILNS1_3genE0ELNS1_11target_archE4294967295ELNS1_3gpuE0ELNS1_3repE0EEENS1_60segmented_radix_sort_warp_sort_medium_config_static_selectorELNS0_4arch9wavefront6targetE0EEEvSL_.num_agpr, 0
	.set _ZN7rocprim17ROCPRIM_400000_NS6detail17trampoline_kernelINS0_14default_configENS1_36segmented_radix_sort_config_selectorI12hip_bfloat16lEEZNS1_25segmented_radix_sort_implIS3_Lb1EPKS5_PS5_PKlPlN2at6native12_GLOBAL__N_18offset_tEEE10hipError_tPvRmT1_PNSt15iterator_traitsISL_E10value_typeET2_T3_PNSM_ISR_E10value_typeET4_jRbjT5_SX_jjP12ihipStream_tbEUlT_E0_NS1_11comp_targetILNS1_3genE0ELNS1_11target_archE4294967295ELNS1_3gpuE0ELNS1_3repE0EEENS1_60segmented_radix_sort_warp_sort_medium_config_static_selectorELNS0_4arch9wavefront6targetE0EEEvSL_.numbered_sgpr, 0
	.set _ZN7rocprim17ROCPRIM_400000_NS6detail17trampoline_kernelINS0_14default_configENS1_36segmented_radix_sort_config_selectorI12hip_bfloat16lEEZNS1_25segmented_radix_sort_implIS3_Lb1EPKS5_PS5_PKlPlN2at6native12_GLOBAL__N_18offset_tEEE10hipError_tPvRmT1_PNSt15iterator_traitsISL_E10value_typeET2_T3_PNSM_ISR_E10value_typeET4_jRbjT5_SX_jjP12ihipStream_tbEUlT_E0_NS1_11comp_targetILNS1_3genE0ELNS1_11target_archE4294967295ELNS1_3gpuE0ELNS1_3repE0EEENS1_60segmented_radix_sort_warp_sort_medium_config_static_selectorELNS0_4arch9wavefront6targetE0EEEvSL_.num_named_barrier, 0
	.set _ZN7rocprim17ROCPRIM_400000_NS6detail17trampoline_kernelINS0_14default_configENS1_36segmented_radix_sort_config_selectorI12hip_bfloat16lEEZNS1_25segmented_radix_sort_implIS3_Lb1EPKS5_PS5_PKlPlN2at6native12_GLOBAL__N_18offset_tEEE10hipError_tPvRmT1_PNSt15iterator_traitsISL_E10value_typeET2_T3_PNSM_ISR_E10value_typeET4_jRbjT5_SX_jjP12ihipStream_tbEUlT_E0_NS1_11comp_targetILNS1_3genE0ELNS1_11target_archE4294967295ELNS1_3gpuE0ELNS1_3repE0EEENS1_60segmented_radix_sort_warp_sort_medium_config_static_selectorELNS0_4arch9wavefront6targetE0EEEvSL_.private_seg_size, 0
	.set _ZN7rocprim17ROCPRIM_400000_NS6detail17trampoline_kernelINS0_14default_configENS1_36segmented_radix_sort_config_selectorI12hip_bfloat16lEEZNS1_25segmented_radix_sort_implIS3_Lb1EPKS5_PS5_PKlPlN2at6native12_GLOBAL__N_18offset_tEEE10hipError_tPvRmT1_PNSt15iterator_traitsISL_E10value_typeET2_T3_PNSM_ISR_E10value_typeET4_jRbjT5_SX_jjP12ihipStream_tbEUlT_E0_NS1_11comp_targetILNS1_3genE0ELNS1_11target_archE4294967295ELNS1_3gpuE0ELNS1_3repE0EEENS1_60segmented_radix_sort_warp_sort_medium_config_static_selectorELNS0_4arch9wavefront6targetE0EEEvSL_.uses_vcc, 0
	.set _ZN7rocprim17ROCPRIM_400000_NS6detail17trampoline_kernelINS0_14default_configENS1_36segmented_radix_sort_config_selectorI12hip_bfloat16lEEZNS1_25segmented_radix_sort_implIS3_Lb1EPKS5_PS5_PKlPlN2at6native12_GLOBAL__N_18offset_tEEE10hipError_tPvRmT1_PNSt15iterator_traitsISL_E10value_typeET2_T3_PNSM_ISR_E10value_typeET4_jRbjT5_SX_jjP12ihipStream_tbEUlT_E0_NS1_11comp_targetILNS1_3genE0ELNS1_11target_archE4294967295ELNS1_3gpuE0ELNS1_3repE0EEENS1_60segmented_radix_sort_warp_sort_medium_config_static_selectorELNS0_4arch9wavefront6targetE0EEEvSL_.uses_flat_scratch, 0
	.set _ZN7rocprim17ROCPRIM_400000_NS6detail17trampoline_kernelINS0_14default_configENS1_36segmented_radix_sort_config_selectorI12hip_bfloat16lEEZNS1_25segmented_radix_sort_implIS3_Lb1EPKS5_PS5_PKlPlN2at6native12_GLOBAL__N_18offset_tEEE10hipError_tPvRmT1_PNSt15iterator_traitsISL_E10value_typeET2_T3_PNSM_ISR_E10value_typeET4_jRbjT5_SX_jjP12ihipStream_tbEUlT_E0_NS1_11comp_targetILNS1_3genE0ELNS1_11target_archE4294967295ELNS1_3gpuE0ELNS1_3repE0EEENS1_60segmented_radix_sort_warp_sort_medium_config_static_selectorELNS0_4arch9wavefront6targetE0EEEvSL_.has_dyn_sized_stack, 0
	.set _ZN7rocprim17ROCPRIM_400000_NS6detail17trampoline_kernelINS0_14default_configENS1_36segmented_radix_sort_config_selectorI12hip_bfloat16lEEZNS1_25segmented_radix_sort_implIS3_Lb1EPKS5_PS5_PKlPlN2at6native12_GLOBAL__N_18offset_tEEE10hipError_tPvRmT1_PNSt15iterator_traitsISL_E10value_typeET2_T3_PNSM_ISR_E10value_typeET4_jRbjT5_SX_jjP12ihipStream_tbEUlT_E0_NS1_11comp_targetILNS1_3genE0ELNS1_11target_archE4294967295ELNS1_3gpuE0ELNS1_3repE0EEENS1_60segmented_radix_sort_warp_sort_medium_config_static_selectorELNS0_4arch9wavefront6targetE0EEEvSL_.has_recursion, 0
	.set _ZN7rocprim17ROCPRIM_400000_NS6detail17trampoline_kernelINS0_14default_configENS1_36segmented_radix_sort_config_selectorI12hip_bfloat16lEEZNS1_25segmented_radix_sort_implIS3_Lb1EPKS5_PS5_PKlPlN2at6native12_GLOBAL__N_18offset_tEEE10hipError_tPvRmT1_PNSt15iterator_traitsISL_E10value_typeET2_T3_PNSM_ISR_E10value_typeET4_jRbjT5_SX_jjP12ihipStream_tbEUlT_E0_NS1_11comp_targetILNS1_3genE0ELNS1_11target_archE4294967295ELNS1_3gpuE0ELNS1_3repE0EEENS1_60segmented_radix_sort_warp_sort_medium_config_static_selectorELNS0_4arch9wavefront6targetE0EEEvSL_.has_indirect_call, 0
	.section	.AMDGPU.csdata,"",@progbits
; Kernel info:
; codeLenInByte = 0
; TotalNumSgprs: 0
; NumVgprs: 0
; ScratchSize: 0
; MemoryBound: 0
; FloatMode: 240
; IeeeMode: 1
; LDSByteSize: 0 bytes/workgroup (compile time only)
; SGPRBlocks: 0
; VGPRBlocks: 0
; NumSGPRsForWavesPerEU: 1
; NumVGPRsForWavesPerEU: 1
; Occupancy: 16
; WaveLimiterHint : 0
; COMPUTE_PGM_RSRC2:SCRATCH_EN: 0
; COMPUTE_PGM_RSRC2:USER_SGPR: 6
; COMPUTE_PGM_RSRC2:TRAP_HANDLER: 0
; COMPUTE_PGM_RSRC2:TGID_X_EN: 1
; COMPUTE_PGM_RSRC2:TGID_Y_EN: 0
; COMPUTE_PGM_RSRC2:TGID_Z_EN: 0
; COMPUTE_PGM_RSRC2:TIDIG_COMP_CNT: 0
	.section	.text._ZN7rocprim17ROCPRIM_400000_NS6detail17trampoline_kernelINS0_14default_configENS1_36segmented_radix_sort_config_selectorI12hip_bfloat16lEEZNS1_25segmented_radix_sort_implIS3_Lb1EPKS5_PS5_PKlPlN2at6native12_GLOBAL__N_18offset_tEEE10hipError_tPvRmT1_PNSt15iterator_traitsISL_E10value_typeET2_T3_PNSM_ISR_E10value_typeET4_jRbjT5_SX_jjP12ihipStream_tbEUlT_E0_NS1_11comp_targetILNS1_3genE5ELNS1_11target_archE942ELNS1_3gpuE9ELNS1_3repE0EEENS1_60segmented_radix_sort_warp_sort_medium_config_static_selectorELNS0_4arch9wavefront6targetE0EEEvSL_,"axG",@progbits,_ZN7rocprim17ROCPRIM_400000_NS6detail17trampoline_kernelINS0_14default_configENS1_36segmented_radix_sort_config_selectorI12hip_bfloat16lEEZNS1_25segmented_radix_sort_implIS3_Lb1EPKS5_PS5_PKlPlN2at6native12_GLOBAL__N_18offset_tEEE10hipError_tPvRmT1_PNSt15iterator_traitsISL_E10value_typeET2_T3_PNSM_ISR_E10value_typeET4_jRbjT5_SX_jjP12ihipStream_tbEUlT_E0_NS1_11comp_targetILNS1_3genE5ELNS1_11target_archE942ELNS1_3gpuE9ELNS1_3repE0EEENS1_60segmented_radix_sort_warp_sort_medium_config_static_selectorELNS0_4arch9wavefront6targetE0EEEvSL_,comdat
	.globl	_ZN7rocprim17ROCPRIM_400000_NS6detail17trampoline_kernelINS0_14default_configENS1_36segmented_radix_sort_config_selectorI12hip_bfloat16lEEZNS1_25segmented_radix_sort_implIS3_Lb1EPKS5_PS5_PKlPlN2at6native12_GLOBAL__N_18offset_tEEE10hipError_tPvRmT1_PNSt15iterator_traitsISL_E10value_typeET2_T3_PNSM_ISR_E10value_typeET4_jRbjT5_SX_jjP12ihipStream_tbEUlT_E0_NS1_11comp_targetILNS1_3genE5ELNS1_11target_archE942ELNS1_3gpuE9ELNS1_3repE0EEENS1_60segmented_radix_sort_warp_sort_medium_config_static_selectorELNS0_4arch9wavefront6targetE0EEEvSL_ ; -- Begin function _ZN7rocprim17ROCPRIM_400000_NS6detail17trampoline_kernelINS0_14default_configENS1_36segmented_radix_sort_config_selectorI12hip_bfloat16lEEZNS1_25segmented_radix_sort_implIS3_Lb1EPKS5_PS5_PKlPlN2at6native12_GLOBAL__N_18offset_tEEE10hipError_tPvRmT1_PNSt15iterator_traitsISL_E10value_typeET2_T3_PNSM_ISR_E10value_typeET4_jRbjT5_SX_jjP12ihipStream_tbEUlT_E0_NS1_11comp_targetILNS1_3genE5ELNS1_11target_archE942ELNS1_3gpuE9ELNS1_3repE0EEENS1_60segmented_radix_sort_warp_sort_medium_config_static_selectorELNS0_4arch9wavefront6targetE0EEEvSL_
	.p2align	8
	.type	_ZN7rocprim17ROCPRIM_400000_NS6detail17trampoline_kernelINS0_14default_configENS1_36segmented_radix_sort_config_selectorI12hip_bfloat16lEEZNS1_25segmented_radix_sort_implIS3_Lb1EPKS5_PS5_PKlPlN2at6native12_GLOBAL__N_18offset_tEEE10hipError_tPvRmT1_PNSt15iterator_traitsISL_E10value_typeET2_T3_PNSM_ISR_E10value_typeET4_jRbjT5_SX_jjP12ihipStream_tbEUlT_E0_NS1_11comp_targetILNS1_3genE5ELNS1_11target_archE942ELNS1_3gpuE9ELNS1_3repE0EEENS1_60segmented_radix_sort_warp_sort_medium_config_static_selectorELNS0_4arch9wavefront6targetE0EEEvSL_,@function
_ZN7rocprim17ROCPRIM_400000_NS6detail17trampoline_kernelINS0_14default_configENS1_36segmented_radix_sort_config_selectorI12hip_bfloat16lEEZNS1_25segmented_radix_sort_implIS3_Lb1EPKS5_PS5_PKlPlN2at6native12_GLOBAL__N_18offset_tEEE10hipError_tPvRmT1_PNSt15iterator_traitsISL_E10value_typeET2_T3_PNSM_ISR_E10value_typeET4_jRbjT5_SX_jjP12ihipStream_tbEUlT_E0_NS1_11comp_targetILNS1_3genE5ELNS1_11target_archE942ELNS1_3gpuE9ELNS1_3repE0EEENS1_60segmented_radix_sort_warp_sort_medium_config_static_selectorELNS0_4arch9wavefront6targetE0EEEvSL_: ; @_ZN7rocprim17ROCPRIM_400000_NS6detail17trampoline_kernelINS0_14default_configENS1_36segmented_radix_sort_config_selectorI12hip_bfloat16lEEZNS1_25segmented_radix_sort_implIS3_Lb1EPKS5_PS5_PKlPlN2at6native12_GLOBAL__N_18offset_tEEE10hipError_tPvRmT1_PNSt15iterator_traitsISL_E10value_typeET2_T3_PNSM_ISR_E10value_typeET4_jRbjT5_SX_jjP12ihipStream_tbEUlT_E0_NS1_11comp_targetILNS1_3genE5ELNS1_11target_archE942ELNS1_3gpuE9ELNS1_3repE0EEENS1_60segmented_radix_sort_warp_sort_medium_config_static_selectorELNS0_4arch9wavefront6targetE0EEEvSL_
; %bb.0:
	.section	.rodata,"a",@progbits
	.p2align	6, 0x0
	.amdhsa_kernel _ZN7rocprim17ROCPRIM_400000_NS6detail17trampoline_kernelINS0_14default_configENS1_36segmented_radix_sort_config_selectorI12hip_bfloat16lEEZNS1_25segmented_radix_sort_implIS3_Lb1EPKS5_PS5_PKlPlN2at6native12_GLOBAL__N_18offset_tEEE10hipError_tPvRmT1_PNSt15iterator_traitsISL_E10value_typeET2_T3_PNSM_ISR_E10value_typeET4_jRbjT5_SX_jjP12ihipStream_tbEUlT_E0_NS1_11comp_targetILNS1_3genE5ELNS1_11target_archE942ELNS1_3gpuE9ELNS1_3repE0EEENS1_60segmented_radix_sort_warp_sort_medium_config_static_selectorELNS0_4arch9wavefront6targetE0EEEvSL_
		.amdhsa_group_segment_fixed_size 0
		.amdhsa_private_segment_fixed_size 0
		.amdhsa_kernarg_size 88
		.amdhsa_user_sgpr_count 6
		.amdhsa_user_sgpr_private_segment_buffer 1
		.amdhsa_user_sgpr_dispatch_ptr 0
		.amdhsa_user_sgpr_queue_ptr 0
		.amdhsa_user_sgpr_kernarg_segment_ptr 1
		.amdhsa_user_sgpr_dispatch_id 0
		.amdhsa_user_sgpr_flat_scratch_init 0
		.amdhsa_user_sgpr_private_segment_size 0
		.amdhsa_wavefront_size32 1
		.amdhsa_uses_dynamic_stack 0
		.amdhsa_system_sgpr_private_segment_wavefront_offset 0
		.amdhsa_system_sgpr_workgroup_id_x 1
		.amdhsa_system_sgpr_workgroup_id_y 0
		.amdhsa_system_sgpr_workgroup_id_z 0
		.amdhsa_system_sgpr_workgroup_info 0
		.amdhsa_system_vgpr_workitem_id 0
		.amdhsa_next_free_vgpr 1
		.amdhsa_next_free_sgpr 1
		.amdhsa_reserve_vcc 0
		.amdhsa_reserve_flat_scratch 0
		.amdhsa_float_round_mode_32 0
		.amdhsa_float_round_mode_16_64 0
		.amdhsa_float_denorm_mode_32 3
		.amdhsa_float_denorm_mode_16_64 3
		.amdhsa_dx10_clamp 1
		.amdhsa_ieee_mode 1
		.amdhsa_fp16_overflow 0
		.amdhsa_workgroup_processor_mode 1
		.amdhsa_memory_ordered 1
		.amdhsa_forward_progress 1
		.amdhsa_shared_vgpr_count 0
		.amdhsa_exception_fp_ieee_invalid_op 0
		.amdhsa_exception_fp_denorm_src 0
		.amdhsa_exception_fp_ieee_div_zero 0
		.amdhsa_exception_fp_ieee_overflow 0
		.amdhsa_exception_fp_ieee_underflow 0
		.amdhsa_exception_fp_ieee_inexact 0
		.amdhsa_exception_int_div_zero 0
	.end_amdhsa_kernel
	.section	.text._ZN7rocprim17ROCPRIM_400000_NS6detail17trampoline_kernelINS0_14default_configENS1_36segmented_radix_sort_config_selectorI12hip_bfloat16lEEZNS1_25segmented_radix_sort_implIS3_Lb1EPKS5_PS5_PKlPlN2at6native12_GLOBAL__N_18offset_tEEE10hipError_tPvRmT1_PNSt15iterator_traitsISL_E10value_typeET2_T3_PNSM_ISR_E10value_typeET4_jRbjT5_SX_jjP12ihipStream_tbEUlT_E0_NS1_11comp_targetILNS1_3genE5ELNS1_11target_archE942ELNS1_3gpuE9ELNS1_3repE0EEENS1_60segmented_radix_sort_warp_sort_medium_config_static_selectorELNS0_4arch9wavefront6targetE0EEEvSL_,"axG",@progbits,_ZN7rocprim17ROCPRIM_400000_NS6detail17trampoline_kernelINS0_14default_configENS1_36segmented_radix_sort_config_selectorI12hip_bfloat16lEEZNS1_25segmented_radix_sort_implIS3_Lb1EPKS5_PS5_PKlPlN2at6native12_GLOBAL__N_18offset_tEEE10hipError_tPvRmT1_PNSt15iterator_traitsISL_E10value_typeET2_T3_PNSM_ISR_E10value_typeET4_jRbjT5_SX_jjP12ihipStream_tbEUlT_E0_NS1_11comp_targetILNS1_3genE5ELNS1_11target_archE942ELNS1_3gpuE9ELNS1_3repE0EEENS1_60segmented_radix_sort_warp_sort_medium_config_static_selectorELNS0_4arch9wavefront6targetE0EEEvSL_,comdat
.Lfunc_end1947:
	.size	_ZN7rocprim17ROCPRIM_400000_NS6detail17trampoline_kernelINS0_14default_configENS1_36segmented_radix_sort_config_selectorI12hip_bfloat16lEEZNS1_25segmented_radix_sort_implIS3_Lb1EPKS5_PS5_PKlPlN2at6native12_GLOBAL__N_18offset_tEEE10hipError_tPvRmT1_PNSt15iterator_traitsISL_E10value_typeET2_T3_PNSM_ISR_E10value_typeET4_jRbjT5_SX_jjP12ihipStream_tbEUlT_E0_NS1_11comp_targetILNS1_3genE5ELNS1_11target_archE942ELNS1_3gpuE9ELNS1_3repE0EEENS1_60segmented_radix_sort_warp_sort_medium_config_static_selectorELNS0_4arch9wavefront6targetE0EEEvSL_, .Lfunc_end1947-_ZN7rocprim17ROCPRIM_400000_NS6detail17trampoline_kernelINS0_14default_configENS1_36segmented_radix_sort_config_selectorI12hip_bfloat16lEEZNS1_25segmented_radix_sort_implIS3_Lb1EPKS5_PS5_PKlPlN2at6native12_GLOBAL__N_18offset_tEEE10hipError_tPvRmT1_PNSt15iterator_traitsISL_E10value_typeET2_T3_PNSM_ISR_E10value_typeET4_jRbjT5_SX_jjP12ihipStream_tbEUlT_E0_NS1_11comp_targetILNS1_3genE5ELNS1_11target_archE942ELNS1_3gpuE9ELNS1_3repE0EEENS1_60segmented_radix_sort_warp_sort_medium_config_static_selectorELNS0_4arch9wavefront6targetE0EEEvSL_
                                        ; -- End function
	.set _ZN7rocprim17ROCPRIM_400000_NS6detail17trampoline_kernelINS0_14default_configENS1_36segmented_radix_sort_config_selectorI12hip_bfloat16lEEZNS1_25segmented_radix_sort_implIS3_Lb1EPKS5_PS5_PKlPlN2at6native12_GLOBAL__N_18offset_tEEE10hipError_tPvRmT1_PNSt15iterator_traitsISL_E10value_typeET2_T3_PNSM_ISR_E10value_typeET4_jRbjT5_SX_jjP12ihipStream_tbEUlT_E0_NS1_11comp_targetILNS1_3genE5ELNS1_11target_archE942ELNS1_3gpuE9ELNS1_3repE0EEENS1_60segmented_radix_sort_warp_sort_medium_config_static_selectorELNS0_4arch9wavefront6targetE0EEEvSL_.num_vgpr, 0
	.set _ZN7rocprim17ROCPRIM_400000_NS6detail17trampoline_kernelINS0_14default_configENS1_36segmented_radix_sort_config_selectorI12hip_bfloat16lEEZNS1_25segmented_radix_sort_implIS3_Lb1EPKS5_PS5_PKlPlN2at6native12_GLOBAL__N_18offset_tEEE10hipError_tPvRmT1_PNSt15iterator_traitsISL_E10value_typeET2_T3_PNSM_ISR_E10value_typeET4_jRbjT5_SX_jjP12ihipStream_tbEUlT_E0_NS1_11comp_targetILNS1_3genE5ELNS1_11target_archE942ELNS1_3gpuE9ELNS1_3repE0EEENS1_60segmented_radix_sort_warp_sort_medium_config_static_selectorELNS0_4arch9wavefront6targetE0EEEvSL_.num_agpr, 0
	.set _ZN7rocprim17ROCPRIM_400000_NS6detail17trampoline_kernelINS0_14default_configENS1_36segmented_radix_sort_config_selectorI12hip_bfloat16lEEZNS1_25segmented_radix_sort_implIS3_Lb1EPKS5_PS5_PKlPlN2at6native12_GLOBAL__N_18offset_tEEE10hipError_tPvRmT1_PNSt15iterator_traitsISL_E10value_typeET2_T3_PNSM_ISR_E10value_typeET4_jRbjT5_SX_jjP12ihipStream_tbEUlT_E0_NS1_11comp_targetILNS1_3genE5ELNS1_11target_archE942ELNS1_3gpuE9ELNS1_3repE0EEENS1_60segmented_radix_sort_warp_sort_medium_config_static_selectorELNS0_4arch9wavefront6targetE0EEEvSL_.numbered_sgpr, 0
	.set _ZN7rocprim17ROCPRIM_400000_NS6detail17trampoline_kernelINS0_14default_configENS1_36segmented_radix_sort_config_selectorI12hip_bfloat16lEEZNS1_25segmented_radix_sort_implIS3_Lb1EPKS5_PS5_PKlPlN2at6native12_GLOBAL__N_18offset_tEEE10hipError_tPvRmT1_PNSt15iterator_traitsISL_E10value_typeET2_T3_PNSM_ISR_E10value_typeET4_jRbjT5_SX_jjP12ihipStream_tbEUlT_E0_NS1_11comp_targetILNS1_3genE5ELNS1_11target_archE942ELNS1_3gpuE9ELNS1_3repE0EEENS1_60segmented_radix_sort_warp_sort_medium_config_static_selectorELNS0_4arch9wavefront6targetE0EEEvSL_.num_named_barrier, 0
	.set _ZN7rocprim17ROCPRIM_400000_NS6detail17trampoline_kernelINS0_14default_configENS1_36segmented_radix_sort_config_selectorI12hip_bfloat16lEEZNS1_25segmented_radix_sort_implIS3_Lb1EPKS5_PS5_PKlPlN2at6native12_GLOBAL__N_18offset_tEEE10hipError_tPvRmT1_PNSt15iterator_traitsISL_E10value_typeET2_T3_PNSM_ISR_E10value_typeET4_jRbjT5_SX_jjP12ihipStream_tbEUlT_E0_NS1_11comp_targetILNS1_3genE5ELNS1_11target_archE942ELNS1_3gpuE9ELNS1_3repE0EEENS1_60segmented_radix_sort_warp_sort_medium_config_static_selectorELNS0_4arch9wavefront6targetE0EEEvSL_.private_seg_size, 0
	.set _ZN7rocprim17ROCPRIM_400000_NS6detail17trampoline_kernelINS0_14default_configENS1_36segmented_radix_sort_config_selectorI12hip_bfloat16lEEZNS1_25segmented_radix_sort_implIS3_Lb1EPKS5_PS5_PKlPlN2at6native12_GLOBAL__N_18offset_tEEE10hipError_tPvRmT1_PNSt15iterator_traitsISL_E10value_typeET2_T3_PNSM_ISR_E10value_typeET4_jRbjT5_SX_jjP12ihipStream_tbEUlT_E0_NS1_11comp_targetILNS1_3genE5ELNS1_11target_archE942ELNS1_3gpuE9ELNS1_3repE0EEENS1_60segmented_radix_sort_warp_sort_medium_config_static_selectorELNS0_4arch9wavefront6targetE0EEEvSL_.uses_vcc, 0
	.set _ZN7rocprim17ROCPRIM_400000_NS6detail17trampoline_kernelINS0_14default_configENS1_36segmented_radix_sort_config_selectorI12hip_bfloat16lEEZNS1_25segmented_radix_sort_implIS3_Lb1EPKS5_PS5_PKlPlN2at6native12_GLOBAL__N_18offset_tEEE10hipError_tPvRmT1_PNSt15iterator_traitsISL_E10value_typeET2_T3_PNSM_ISR_E10value_typeET4_jRbjT5_SX_jjP12ihipStream_tbEUlT_E0_NS1_11comp_targetILNS1_3genE5ELNS1_11target_archE942ELNS1_3gpuE9ELNS1_3repE0EEENS1_60segmented_radix_sort_warp_sort_medium_config_static_selectorELNS0_4arch9wavefront6targetE0EEEvSL_.uses_flat_scratch, 0
	.set _ZN7rocprim17ROCPRIM_400000_NS6detail17trampoline_kernelINS0_14default_configENS1_36segmented_radix_sort_config_selectorI12hip_bfloat16lEEZNS1_25segmented_radix_sort_implIS3_Lb1EPKS5_PS5_PKlPlN2at6native12_GLOBAL__N_18offset_tEEE10hipError_tPvRmT1_PNSt15iterator_traitsISL_E10value_typeET2_T3_PNSM_ISR_E10value_typeET4_jRbjT5_SX_jjP12ihipStream_tbEUlT_E0_NS1_11comp_targetILNS1_3genE5ELNS1_11target_archE942ELNS1_3gpuE9ELNS1_3repE0EEENS1_60segmented_radix_sort_warp_sort_medium_config_static_selectorELNS0_4arch9wavefront6targetE0EEEvSL_.has_dyn_sized_stack, 0
	.set _ZN7rocprim17ROCPRIM_400000_NS6detail17trampoline_kernelINS0_14default_configENS1_36segmented_radix_sort_config_selectorI12hip_bfloat16lEEZNS1_25segmented_radix_sort_implIS3_Lb1EPKS5_PS5_PKlPlN2at6native12_GLOBAL__N_18offset_tEEE10hipError_tPvRmT1_PNSt15iterator_traitsISL_E10value_typeET2_T3_PNSM_ISR_E10value_typeET4_jRbjT5_SX_jjP12ihipStream_tbEUlT_E0_NS1_11comp_targetILNS1_3genE5ELNS1_11target_archE942ELNS1_3gpuE9ELNS1_3repE0EEENS1_60segmented_radix_sort_warp_sort_medium_config_static_selectorELNS0_4arch9wavefront6targetE0EEEvSL_.has_recursion, 0
	.set _ZN7rocprim17ROCPRIM_400000_NS6detail17trampoline_kernelINS0_14default_configENS1_36segmented_radix_sort_config_selectorI12hip_bfloat16lEEZNS1_25segmented_radix_sort_implIS3_Lb1EPKS5_PS5_PKlPlN2at6native12_GLOBAL__N_18offset_tEEE10hipError_tPvRmT1_PNSt15iterator_traitsISL_E10value_typeET2_T3_PNSM_ISR_E10value_typeET4_jRbjT5_SX_jjP12ihipStream_tbEUlT_E0_NS1_11comp_targetILNS1_3genE5ELNS1_11target_archE942ELNS1_3gpuE9ELNS1_3repE0EEENS1_60segmented_radix_sort_warp_sort_medium_config_static_selectorELNS0_4arch9wavefront6targetE0EEEvSL_.has_indirect_call, 0
	.section	.AMDGPU.csdata,"",@progbits
; Kernel info:
; codeLenInByte = 0
; TotalNumSgprs: 0
; NumVgprs: 0
; ScratchSize: 0
; MemoryBound: 0
; FloatMode: 240
; IeeeMode: 1
; LDSByteSize: 0 bytes/workgroup (compile time only)
; SGPRBlocks: 0
; VGPRBlocks: 0
; NumSGPRsForWavesPerEU: 1
; NumVGPRsForWavesPerEU: 1
; Occupancy: 16
; WaveLimiterHint : 0
; COMPUTE_PGM_RSRC2:SCRATCH_EN: 0
; COMPUTE_PGM_RSRC2:USER_SGPR: 6
; COMPUTE_PGM_RSRC2:TRAP_HANDLER: 0
; COMPUTE_PGM_RSRC2:TGID_X_EN: 1
; COMPUTE_PGM_RSRC2:TGID_Y_EN: 0
; COMPUTE_PGM_RSRC2:TGID_Z_EN: 0
; COMPUTE_PGM_RSRC2:TIDIG_COMP_CNT: 0
	.section	.text._ZN7rocprim17ROCPRIM_400000_NS6detail17trampoline_kernelINS0_14default_configENS1_36segmented_radix_sort_config_selectorI12hip_bfloat16lEEZNS1_25segmented_radix_sort_implIS3_Lb1EPKS5_PS5_PKlPlN2at6native12_GLOBAL__N_18offset_tEEE10hipError_tPvRmT1_PNSt15iterator_traitsISL_E10value_typeET2_T3_PNSM_ISR_E10value_typeET4_jRbjT5_SX_jjP12ihipStream_tbEUlT_E0_NS1_11comp_targetILNS1_3genE4ELNS1_11target_archE910ELNS1_3gpuE8ELNS1_3repE0EEENS1_60segmented_radix_sort_warp_sort_medium_config_static_selectorELNS0_4arch9wavefront6targetE0EEEvSL_,"axG",@progbits,_ZN7rocprim17ROCPRIM_400000_NS6detail17trampoline_kernelINS0_14default_configENS1_36segmented_radix_sort_config_selectorI12hip_bfloat16lEEZNS1_25segmented_radix_sort_implIS3_Lb1EPKS5_PS5_PKlPlN2at6native12_GLOBAL__N_18offset_tEEE10hipError_tPvRmT1_PNSt15iterator_traitsISL_E10value_typeET2_T3_PNSM_ISR_E10value_typeET4_jRbjT5_SX_jjP12ihipStream_tbEUlT_E0_NS1_11comp_targetILNS1_3genE4ELNS1_11target_archE910ELNS1_3gpuE8ELNS1_3repE0EEENS1_60segmented_radix_sort_warp_sort_medium_config_static_selectorELNS0_4arch9wavefront6targetE0EEEvSL_,comdat
	.globl	_ZN7rocprim17ROCPRIM_400000_NS6detail17trampoline_kernelINS0_14default_configENS1_36segmented_radix_sort_config_selectorI12hip_bfloat16lEEZNS1_25segmented_radix_sort_implIS3_Lb1EPKS5_PS5_PKlPlN2at6native12_GLOBAL__N_18offset_tEEE10hipError_tPvRmT1_PNSt15iterator_traitsISL_E10value_typeET2_T3_PNSM_ISR_E10value_typeET4_jRbjT5_SX_jjP12ihipStream_tbEUlT_E0_NS1_11comp_targetILNS1_3genE4ELNS1_11target_archE910ELNS1_3gpuE8ELNS1_3repE0EEENS1_60segmented_radix_sort_warp_sort_medium_config_static_selectorELNS0_4arch9wavefront6targetE0EEEvSL_ ; -- Begin function _ZN7rocprim17ROCPRIM_400000_NS6detail17trampoline_kernelINS0_14default_configENS1_36segmented_radix_sort_config_selectorI12hip_bfloat16lEEZNS1_25segmented_radix_sort_implIS3_Lb1EPKS5_PS5_PKlPlN2at6native12_GLOBAL__N_18offset_tEEE10hipError_tPvRmT1_PNSt15iterator_traitsISL_E10value_typeET2_T3_PNSM_ISR_E10value_typeET4_jRbjT5_SX_jjP12ihipStream_tbEUlT_E0_NS1_11comp_targetILNS1_3genE4ELNS1_11target_archE910ELNS1_3gpuE8ELNS1_3repE0EEENS1_60segmented_radix_sort_warp_sort_medium_config_static_selectorELNS0_4arch9wavefront6targetE0EEEvSL_
	.p2align	8
	.type	_ZN7rocprim17ROCPRIM_400000_NS6detail17trampoline_kernelINS0_14default_configENS1_36segmented_radix_sort_config_selectorI12hip_bfloat16lEEZNS1_25segmented_radix_sort_implIS3_Lb1EPKS5_PS5_PKlPlN2at6native12_GLOBAL__N_18offset_tEEE10hipError_tPvRmT1_PNSt15iterator_traitsISL_E10value_typeET2_T3_PNSM_ISR_E10value_typeET4_jRbjT5_SX_jjP12ihipStream_tbEUlT_E0_NS1_11comp_targetILNS1_3genE4ELNS1_11target_archE910ELNS1_3gpuE8ELNS1_3repE0EEENS1_60segmented_radix_sort_warp_sort_medium_config_static_selectorELNS0_4arch9wavefront6targetE0EEEvSL_,@function
_ZN7rocprim17ROCPRIM_400000_NS6detail17trampoline_kernelINS0_14default_configENS1_36segmented_radix_sort_config_selectorI12hip_bfloat16lEEZNS1_25segmented_radix_sort_implIS3_Lb1EPKS5_PS5_PKlPlN2at6native12_GLOBAL__N_18offset_tEEE10hipError_tPvRmT1_PNSt15iterator_traitsISL_E10value_typeET2_T3_PNSM_ISR_E10value_typeET4_jRbjT5_SX_jjP12ihipStream_tbEUlT_E0_NS1_11comp_targetILNS1_3genE4ELNS1_11target_archE910ELNS1_3gpuE8ELNS1_3repE0EEENS1_60segmented_radix_sort_warp_sort_medium_config_static_selectorELNS0_4arch9wavefront6targetE0EEEvSL_: ; @_ZN7rocprim17ROCPRIM_400000_NS6detail17trampoline_kernelINS0_14default_configENS1_36segmented_radix_sort_config_selectorI12hip_bfloat16lEEZNS1_25segmented_radix_sort_implIS3_Lb1EPKS5_PS5_PKlPlN2at6native12_GLOBAL__N_18offset_tEEE10hipError_tPvRmT1_PNSt15iterator_traitsISL_E10value_typeET2_T3_PNSM_ISR_E10value_typeET4_jRbjT5_SX_jjP12ihipStream_tbEUlT_E0_NS1_11comp_targetILNS1_3genE4ELNS1_11target_archE910ELNS1_3gpuE8ELNS1_3repE0EEENS1_60segmented_radix_sort_warp_sort_medium_config_static_selectorELNS0_4arch9wavefront6targetE0EEEvSL_
; %bb.0:
	.section	.rodata,"a",@progbits
	.p2align	6, 0x0
	.amdhsa_kernel _ZN7rocprim17ROCPRIM_400000_NS6detail17trampoline_kernelINS0_14default_configENS1_36segmented_radix_sort_config_selectorI12hip_bfloat16lEEZNS1_25segmented_radix_sort_implIS3_Lb1EPKS5_PS5_PKlPlN2at6native12_GLOBAL__N_18offset_tEEE10hipError_tPvRmT1_PNSt15iterator_traitsISL_E10value_typeET2_T3_PNSM_ISR_E10value_typeET4_jRbjT5_SX_jjP12ihipStream_tbEUlT_E0_NS1_11comp_targetILNS1_3genE4ELNS1_11target_archE910ELNS1_3gpuE8ELNS1_3repE0EEENS1_60segmented_radix_sort_warp_sort_medium_config_static_selectorELNS0_4arch9wavefront6targetE0EEEvSL_
		.amdhsa_group_segment_fixed_size 0
		.amdhsa_private_segment_fixed_size 0
		.amdhsa_kernarg_size 88
		.amdhsa_user_sgpr_count 6
		.amdhsa_user_sgpr_private_segment_buffer 1
		.amdhsa_user_sgpr_dispatch_ptr 0
		.amdhsa_user_sgpr_queue_ptr 0
		.amdhsa_user_sgpr_kernarg_segment_ptr 1
		.amdhsa_user_sgpr_dispatch_id 0
		.amdhsa_user_sgpr_flat_scratch_init 0
		.amdhsa_user_sgpr_private_segment_size 0
		.amdhsa_wavefront_size32 1
		.amdhsa_uses_dynamic_stack 0
		.amdhsa_system_sgpr_private_segment_wavefront_offset 0
		.amdhsa_system_sgpr_workgroup_id_x 1
		.amdhsa_system_sgpr_workgroup_id_y 0
		.amdhsa_system_sgpr_workgroup_id_z 0
		.amdhsa_system_sgpr_workgroup_info 0
		.amdhsa_system_vgpr_workitem_id 0
		.amdhsa_next_free_vgpr 1
		.amdhsa_next_free_sgpr 1
		.amdhsa_reserve_vcc 0
		.amdhsa_reserve_flat_scratch 0
		.amdhsa_float_round_mode_32 0
		.amdhsa_float_round_mode_16_64 0
		.amdhsa_float_denorm_mode_32 3
		.amdhsa_float_denorm_mode_16_64 3
		.amdhsa_dx10_clamp 1
		.amdhsa_ieee_mode 1
		.amdhsa_fp16_overflow 0
		.amdhsa_workgroup_processor_mode 1
		.amdhsa_memory_ordered 1
		.amdhsa_forward_progress 1
		.amdhsa_shared_vgpr_count 0
		.amdhsa_exception_fp_ieee_invalid_op 0
		.amdhsa_exception_fp_denorm_src 0
		.amdhsa_exception_fp_ieee_div_zero 0
		.amdhsa_exception_fp_ieee_overflow 0
		.amdhsa_exception_fp_ieee_underflow 0
		.amdhsa_exception_fp_ieee_inexact 0
		.amdhsa_exception_int_div_zero 0
	.end_amdhsa_kernel
	.section	.text._ZN7rocprim17ROCPRIM_400000_NS6detail17trampoline_kernelINS0_14default_configENS1_36segmented_radix_sort_config_selectorI12hip_bfloat16lEEZNS1_25segmented_radix_sort_implIS3_Lb1EPKS5_PS5_PKlPlN2at6native12_GLOBAL__N_18offset_tEEE10hipError_tPvRmT1_PNSt15iterator_traitsISL_E10value_typeET2_T3_PNSM_ISR_E10value_typeET4_jRbjT5_SX_jjP12ihipStream_tbEUlT_E0_NS1_11comp_targetILNS1_3genE4ELNS1_11target_archE910ELNS1_3gpuE8ELNS1_3repE0EEENS1_60segmented_radix_sort_warp_sort_medium_config_static_selectorELNS0_4arch9wavefront6targetE0EEEvSL_,"axG",@progbits,_ZN7rocprim17ROCPRIM_400000_NS6detail17trampoline_kernelINS0_14default_configENS1_36segmented_radix_sort_config_selectorI12hip_bfloat16lEEZNS1_25segmented_radix_sort_implIS3_Lb1EPKS5_PS5_PKlPlN2at6native12_GLOBAL__N_18offset_tEEE10hipError_tPvRmT1_PNSt15iterator_traitsISL_E10value_typeET2_T3_PNSM_ISR_E10value_typeET4_jRbjT5_SX_jjP12ihipStream_tbEUlT_E0_NS1_11comp_targetILNS1_3genE4ELNS1_11target_archE910ELNS1_3gpuE8ELNS1_3repE0EEENS1_60segmented_radix_sort_warp_sort_medium_config_static_selectorELNS0_4arch9wavefront6targetE0EEEvSL_,comdat
.Lfunc_end1948:
	.size	_ZN7rocprim17ROCPRIM_400000_NS6detail17trampoline_kernelINS0_14default_configENS1_36segmented_radix_sort_config_selectorI12hip_bfloat16lEEZNS1_25segmented_radix_sort_implIS3_Lb1EPKS5_PS5_PKlPlN2at6native12_GLOBAL__N_18offset_tEEE10hipError_tPvRmT1_PNSt15iterator_traitsISL_E10value_typeET2_T3_PNSM_ISR_E10value_typeET4_jRbjT5_SX_jjP12ihipStream_tbEUlT_E0_NS1_11comp_targetILNS1_3genE4ELNS1_11target_archE910ELNS1_3gpuE8ELNS1_3repE0EEENS1_60segmented_radix_sort_warp_sort_medium_config_static_selectorELNS0_4arch9wavefront6targetE0EEEvSL_, .Lfunc_end1948-_ZN7rocprim17ROCPRIM_400000_NS6detail17trampoline_kernelINS0_14default_configENS1_36segmented_radix_sort_config_selectorI12hip_bfloat16lEEZNS1_25segmented_radix_sort_implIS3_Lb1EPKS5_PS5_PKlPlN2at6native12_GLOBAL__N_18offset_tEEE10hipError_tPvRmT1_PNSt15iterator_traitsISL_E10value_typeET2_T3_PNSM_ISR_E10value_typeET4_jRbjT5_SX_jjP12ihipStream_tbEUlT_E0_NS1_11comp_targetILNS1_3genE4ELNS1_11target_archE910ELNS1_3gpuE8ELNS1_3repE0EEENS1_60segmented_radix_sort_warp_sort_medium_config_static_selectorELNS0_4arch9wavefront6targetE0EEEvSL_
                                        ; -- End function
	.set _ZN7rocprim17ROCPRIM_400000_NS6detail17trampoline_kernelINS0_14default_configENS1_36segmented_radix_sort_config_selectorI12hip_bfloat16lEEZNS1_25segmented_radix_sort_implIS3_Lb1EPKS5_PS5_PKlPlN2at6native12_GLOBAL__N_18offset_tEEE10hipError_tPvRmT1_PNSt15iterator_traitsISL_E10value_typeET2_T3_PNSM_ISR_E10value_typeET4_jRbjT5_SX_jjP12ihipStream_tbEUlT_E0_NS1_11comp_targetILNS1_3genE4ELNS1_11target_archE910ELNS1_3gpuE8ELNS1_3repE0EEENS1_60segmented_radix_sort_warp_sort_medium_config_static_selectorELNS0_4arch9wavefront6targetE0EEEvSL_.num_vgpr, 0
	.set _ZN7rocprim17ROCPRIM_400000_NS6detail17trampoline_kernelINS0_14default_configENS1_36segmented_radix_sort_config_selectorI12hip_bfloat16lEEZNS1_25segmented_radix_sort_implIS3_Lb1EPKS5_PS5_PKlPlN2at6native12_GLOBAL__N_18offset_tEEE10hipError_tPvRmT1_PNSt15iterator_traitsISL_E10value_typeET2_T3_PNSM_ISR_E10value_typeET4_jRbjT5_SX_jjP12ihipStream_tbEUlT_E0_NS1_11comp_targetILNS1_3genE4ELNS1_11target_archE910ELNS1_3gpuE8ELNS1_3repE0EEENS1_60segmented_radix_sort_warp_sort_medium_config_static_selectorELNS0_4arch9wavefront6targetE0EEEvSL_.num_agpr, 0
	.set _ZN7rocprim17ROCPRIM_400000_NS6detail17trampoline_kernelINS0_14default_configENS1_36segmented_radix_sort_config_selectorI12hip_bfloat16lEEZNS1_25segmented_radix_sort_implIS3_Lb1EPKS5_PS5_PKlPlN2at6native12_GLOBAL__N_18offset_tEEE10hipError_tPvRmT1_PNSt15iterator_traitsISL_E10value_typeET2_T3_PNSM_ISR_E10value_typeET4_jRbjT5_SX_jjP12ihipStream_tbEUlT_E0_NS1_11comp_targetILNS1_3genE4ELNS1_11target_archE910ELNS1_3gpuE8ELNS1_3repE0EEENS1_60segmented_radix_sort_warp_sort_medium_config_static_selectorELNS0_4arch9wavefront6targetE0EEEvSL_.numbered_sgpr, 0
	.set _ZN7rocprim17ROCPRIM_400000_NS6detail17trampoline_kernelINS0_14default_configENS1_36segmented_radix_sort_config_selectorI12hip_bfloat16lEEZNS1_25segmented_radix_sort_implIS3_Lb1EPKS5_PS5_PKlPlN2at6native12_GLOBAL__N_18offset_tEEE10hipError_tPvRmT1_PNSt15iterator_traitsISL_E10value_typeET2_T3_PNSM_ISR_E10value_typeET4_jRbjT5_SX_jjP12ihipStream_tbEUlT_E0_NS1_11comp_targetILNS1_3genE4ELNS1_11target_archE910ELNS1_3gpuE8ELNS1_3repE0EEENS1_60segmented_radix_sort_warp_sort_medium_config_static_selectorELNS0_4arch9wavefront6targetE0EEEvSL_.num_named_barrier, 0
	.set _ZN7rocprim17ROCPRIM_400000_NS6detail17trampoline_kernelINS0_14default_configENS1_36segmented_radix_sort_config_selectorI12hip_bfloat16lEEZNS1_25segmented_radix_sort_implIS3_Lb1EPKS5_PS5_PKlPlN2at6native12_GLOBAL__N_18offset_tEEE10hipError_tPvRmT1_PNSt15iterator_traitsISL_E10value_typeET2_T3_PNSM_ISR_E10value_typeET4_jRbjT5_SX_jjP12ihipStream_tbEUlT_E0_NS1_11comp_targetILNS1_3genE4ELNS1_11target_archE910ELNS1_3gpuE8ELNS1_3repE0EEENS1_60segmented_radix_sort_warp_sort_medium_config_static_selectorELNS0_4arch9wavefront6targetE0EEEvSL_.private_seg_size, 0
	.set _ZN7rocprim17ROCPRIM_400000_NS6detail17trampoline_kernelINS0_14default_configENS1_36segmented_radix_sort_config_selectorI12hip_bfloat16lEEZNS1_25segmented_radix_sort_implIS3_Lb1EPKS5_PS5_PKlPlN2at6native12_GLOBAL__N_18offset_tEEE10hipError_tPvRmT1_PNSt15iterator_traitsISL_E10value_typeET2_T3_PNSM_ISR_E10value_typeET4_jRbjT5_SX_jjP12ihipStream_tbEUlT_E0_NS1_11comp_targetILNS1_3genE4ELNS1_11target_archE910ELNS1_3gpuE8ELNS1_3repE0EEENS1_60segmented_radix_sort_warp_sort_medium_config_static_selectorELNS0_4arch9wavefront6targetE0EEEvSL_.uses_vcc, 0
	.set _ZN7rocprim17ROCPRIM_400000_NS6detail17trampoline_kernelINS0_14default_configENS1_36segmented_radix_sort_config_selectorI12hip_bfloat16lEEZNS1_25segmented_radix_sort_implIS3_Lb1EPKS5_PS5_PKlPlN2at6native12_GLOBAL__N_18offset_tEEE10hipError_tPvRmT1_PNSt15iterator_traitsISL_E10value_typeET2_T3_PNSM_ISR_E10value_typeET4_jRbjT5_SX_jjP12ihipStream_tbEUlT_E0_NS1_11comp_targetILNS1_3genE4ELNS1_11target_archE910ELNS1_3gpuE8ELNS1_3repE0EEENS1_60segmented_radix_sort_warp_sort_medium_config_static_selectorELNS0_4arch9wavefront6targetE0EEEvSL_.uses_flat_scratch, 0
	.set _ZN7rocprim17ROCPRIM_400000_NS6detail17trampoline_kernelINS0_14default_configENS1_36segmented_radix_sort_config_selectorI12hip_bfloat16lEEZNS1_25segmented_radix_sort_implIS3_Lb1EPKS5_PS5_PKlPlN2at6native12_GLOBAL__N_18offset_tEEE10hipError_tPvRmT1_PNSt15iterator_traitsISL_E10value_typeET2_T3_PNSM_ISR_E10value_typeET4_jRbjT5_SX_jjP12ihipStream_tbEUlT_E0_NS1_11comp_targetILNS1_3genE4ELNS1_11target_archE910ELNS1_3gpuE8ELNS1_3repE0EEENS1_60segmented_radix_sort_warp_sort_medium_config_static_selectorELNS0_4arch9wavefront6targetE0EEEvSL_.has_dyn_sized_stack, 0
	.set _ZN7rocprim17ROCPRIM_400000_NS6detail17trampoline_kernelINS0_14default_configENS1_36segmented_radix_sort_config_selectorI12hip_bfloat16lEEZNS1_25segmented_radix_sort_implIS3_Lb1EPKS5_PS5_PKlPlN2at6native12_GLOBAL__N_18offset_tEEE10hipError_tPvRmT1_PNSt15iterator_traitsISL_E10value_typeET2_T3_PNSM_ISR_E10value_typeET4_jRbjT5_SX_jjP12ihipStream_tbEUlT_E0_NS1_11comp_targetILNS1_3genE4ELNS1_11target_archE910ELNS1_3gpuE8ELNS1_3repE0EEENS1_60segmented_radix_sort_warp_sort_medium_config_static_selectorELNS0_4arch9wavefront6targetE0EEEvSL_.has_recursion, 0
	.set _ZN7rocprim17ROCPRIM_400000_NS6detail17trampoline_kernelINS0_14default_configENS1_36segmented_radix_sort_config_selectorI12hip_bfloat16lEEZNS1_25segmented_radix_sort_implIS3_Lb1EPKS5_PS5_PKlPlN2at6native12_GLOBAL__N_18offset_tEEE10hipError_tPvRmT1_PNSt15iterator_traitsISL_E10value_typeET2_T3_PNSM_ISR_E10value_typeET4_jRbjT5_SX_jjP12ihipStream_tbEUlT_E0_NS1_11comp_targetILNS1_3genE4ELNS1_11target_archE910ELNS1_3gpuE8ELNS1_3repE0EEENS1_60segmented_radix_sort_warp_sort_medium_config_static_selectorELNS0_4arch9wavefront6targetE0EEEvSL_.has_indirect_call, 0
	.section	.AMDGPU.csdata,"",@progbits
; Kernel info:
; codeLenInByte = 0
; TotalNumSgprs: 0
; NumVgprs: 0
; ScratchSize: 0
; MemoryBound: 0
; FloatMode: 240
; IeeeMode: 1
; LDSByteSize: 0 bytes/workgroup (compile time only)
; SGPRBlocks: 0
; VGPRBlocks: 0
; NumSGPRsForWavesPerEU: 1
; NumVGPRsForWavesPerEU: 1
; Occupancy: 16
; WaveLimiterHint : 0
; COMPUTE_PGM_RSRC2:SCRATCH_EN: 0
; COMPUTE_PGM_RSRC2:USER_SGPR: 6
; COMPUTE_PGM_RSRC2:TRAP_HANDLER: 0
; COMPUTE_PGM_RSRC2:TGID_X_EN: 1
; COMPUTE_PGM_RSRC2:TGID_Y_EN: 0
; COMPUTE_PGM_RSRC2:TGID_Z_EN: 0
; COMPUTE_PGM_RSRC2:TIDIG_COMP_CNT: 0
	.section	.text._ZN7rocprim17ROCPRIM_400000_NS6detail17trampoline_kernelINS0_14default_configENS1_36segmented_radix_sort_config_selectorI12hip_bfloat16lEEZNS1_25segmented_radix_sort_implIS3_Lb1EPKS5_PS5_PKlPlN2at6native12_GLOBAL__N_18offset_tEEE10hipError_tPvRmT1_PNSt15iterator_traitsISL_E10value_typeET2_T3_PNSM_ISR_E10value_typeET4_jRbjT5_SX_jjP12ihipStream_tbEUlT_E0_NS1_11comp_targetILNS1_3genE3ELNS1_11target_archE908ELNS1_3gpuE7ELNS1_3repE0EEENS1_60segmented_radix_sort_warp_sort_medium_config_static_selectorELNS0_4arch9wavefront6targetE0EEEvSL_,"axG",@progbits,_ZN7rocprim17ROCPRIM_400000_NS6detail17trampoline_kernelINS0_14default_configENS1_36segmented_radix_sort_config_selectorI12hip_bfloat16lEEZNS1_25segmented_radix_sort_implIS3_Lb1EPKS5_PS5_PKlPlN2at6native12_GLOBAL__N_18offset_tEEE10hipError_tPvRmT1_PNSt15iterator_traitsISL_E10value_typeET2_T3_PNSM_ISR_E10value_typeET4_jRbjT5_SX_jjP12ihipStream_tbEUlT_E0_NS1_11comp_targetILNS1_3genE3ELNS1_11target_archE908ELNS1_3gpuE7ELNS1_3repE0EEENS1_60segmented_radix_sort_warp_sort_medium_config_static_selectorELNS0_4arch9wavefront6targetE0EEEvSL_,comdat
	.globl	_ZN7rocprim17ROCPRIM_400000_NS6detail17trampoline_kernelINS0_14default_configENS1_36segmented_radix_sort_config_selectorI12hip_bfloat16lEEZNS1_25segmented_radix_sort_implIS3_Lb1EPKS5_PS5_PKlPlN2at6native12_GLOBAL__N_18offset_tEEE10hipError_tPvRmT1_PNSt15iterator_traitsISL_E10value_typeET2_T3_PNSM_ISR_E10value_typeET4_jRbjT5_SX_jjP12ihipStream_tbEUlT_E0_NS1_11comp_targetILNS1_3genE3ELNS1_11target_archE908ELNS1_3gpuE7ELNS1_3repE0EEENS1_60segmented_radix_sort_warp_sort_medium_config_static_selectorELNS0_4arch9wavefront6targetE0EEEvSL_ ; -- Begin function _ZN7rocprim17ROCPRIM_400000_NS6detail17trampoline_kernelINS0_14default_configENS1_36segmented_radix_sort_config_selectorI12hip_bfloat16lEEZNS1_25segmented_radix_sort_implIS3_Lb1EPKS5_PS5_PKlPlN2at6native12_GLOBAL__N_18offset_tEEE10hipError_tPvRmT1_PNSt15iterator_traitsISL_E10value_typeET2_T3_PNSM_ISR_E10value_typeET4_jRbjT5_SX_jjP12ihipStream_tbEUlT_E0_NS1_11comp_targetILNS1_3genE3ELNS1_11target_archE908ELNS1_3gpuE7ELNS1_3repE0EEENS1_60segmented_radix_sort_warp_sort_medium_config_static_selectorELNS0_4arch9wavefront6targetE0EEEvSL_
	.p2align	8
	.type	_ZN7rocprim17ROCPRIM_400000_NS6detail17trampoline_kernelINS0_14default_configENS1_36segmented_radix_sort_config_selectorI12hip_bfloat16lEEZNS1_25segmented_radix_sort_implIS3_Lb1EPKS5_PS5_PKlPlN2at6native12_GLOBAL__N_18offset_tEEE10hipError_tPvRmT1_PNSt15iterator_traitsISL_E10value_typeET2_T3_PNSM_ISR_E10value_typeET4_jRbjT5_SX_jjP12ihipStream_tbEUlT_E0_NS1_11comp_targetILNS1_3genE3ELNS1_11target_archE908ELNS1_3gpuE7ELNS1_3repE0EEENS1_60segmented_radix_sort_warp_sort_medium_config_static_selectorELNS0_4arch9wavefront6targetE0EEEvSL_,@function
_ZN7rocprim17ROCPRIM_400000_NS6detail17trampoline_kernelINS0_14default_configENS1_36segmented_radix_sort_config_selectorI12hip_bfloat16lEEZNS1_25segmented_radix_sort_implIS3_Lb1EPKS5_PS5_PKlPlN2at6native12_GLOBAL__N_18offset_tEEE10hipError_tPvRmT1_PNSt15iterator_traitsISL_E10value_typeET2_T3_PNSM_ISR_E10value_typeET4_jRbjT5_SX_jjP12ihipStream_tbEUlT_E0_NS1_11comp_targetILNS1_3genE3ELNS1_11target_archE908ELNS1_3gpuE7ELNS1_3repE0EEENS1_60segmented_radix_sort_warp_sort_medium_config_static_selectorELNS0_4arch9wavefront6targetE0EEEvSL_: ; @_ZN7rocprim17ROCPRIM_400000_NS6detail17trampoline_kernelINS0_14default_configENS1_36segmented_radix_sort_config_selectorI12hip_bfloat16lEEZNS1_25segmented_radix_sort_implIS3_Lb1EPKS5_PS5_PKlPlN2at6native12_GLOBAL__N_18offset_tEEE10hipError_tPvRmT1_PNSt15iterator_traitsISL_E10value_typeET2_T3_PNSM_ISR_E10value_typeET4_jRbjT5_SX_jjP12ihipStream_tbEUlT_E0_NS1_11comp_targetILNS1_3genE3ELNS1_11target_archE908ELNS1_3gpuE7ELNS1_3repE0EEENS1_60segmented_radix_sort_warp_sort_medium_config_static_selectorELNS0_4arch9wavefront6targetE0EEEvSL_
; %bb.0:
	.section	.rodata,"a",@progbits
	.p2align	6, 0x0
	.amdhsa_kernel _ZN7rocprim17ROCPRIM_400000_NS6detail17trampoline_kernelINS0_14default_configENS1_36segmented_radix_sort_config_selectorI12hip_bfloat16lEEZNS1_25segmented_radix_sort_implIS3_Lb1EPKS5_PS5_PKlPlN2at6native12_GLOBAL__N_18offset_tEEE10hipError_tPvRmT1_PNSt15iterator_traitsISL_E10value_typeET2_T3_PNSM_ISR_E10value_typeET4_jRbjT5_SX_jjP12ihipStream_tbEUlT_E0_NS1_11comp_targetILNS1_3genE3ELNS1_11target_archE908ELNS1_3gpuE7ELNS1_3repE0EEENS1_60segmented_radix_sort_warp_sort_medium_config_static_selectorELNS0_4arch9wavefront6targetE0EEEvSL_
		.amdhsa_group_segment_fixed_size 0
		.amdhsa_private_segment_fixed_size 0
		.amdhsa_kernarg_size 88
		.amdhsa_user_sgpr_count 6
		.amdhsa_user_sgpr_private_segment_buffer 1
		.amdhsa_user_sgpr_dispatch_ptr 0
		.amdhsa_user_sgpr_queue_ptr 0
		.amdhsa_user_sgpr_kernarg_segment_ptr 1
		.amdhsa_user_sgpr_dispatch_id 0
		.amdhsa_user_sgpr_flat_scratch_init 0
		.amdhsa_user_sgpr_private_segment_size 0
		.amdhsa_wavefront_size32 1
		.amdhsa_uses_dynamic_stack 0
		.amdhsa_system_sgpr_private_segment_wavefront_offset 0
		.amdhsa_system_sgpr_workgroup_id_x 1
		.amdhsa_system_sgpr_workgroup_id_y 0
		.amdhsa_system_sgpr_workgroup_id_z 0
		.amdhsa_system_sgpr_workgroup_info 0
		.amdhsa_system_vgpr_workitem_id 0
		.amdhsa_next_free_vgpr 1
		.amdhsa_next_free_sgpr 1
		.amdhsa_reserve_vcc 0
		.amdhsa_reserve_flat_scratch 0
		.amdhsa_float_round_mode_32 0
		.amdhsa_float_round_mode_16_64 0
		.amdhsa_float_denorm_mode_32 3
		.amdhsa_float_denorm_mode_16_64 3
		.amdhsa_dx10_clamp 1
		.amdhsa_ieee_mode 1
		.amdhsa_fp16_overflow 0
		.amdhsa_workgroup_processor_mode 1
		.amdhsa_memory_ordered 1
		.amdhsa_forward_progress 1
		.amdhsa_shared_vgpr_count 0
		.amdhsa_exception_fp_ieee_invalid_op 0
		.amdhsa_exception_fp_denorm_src 0
		.amdhsa_exception_fp_ieee_div_zero 0
		.amdhsa_exception_fp_ieee_overflow 0
		.amdhsa_exception_fp_ieee_underflow 0
		.amdhsa_exception_fp_ieee_inexact 0
		.amdhsa_exception_int_div_zero 0
	.end_amdhsa_kernel
	.section	.text._ZN7rocprim17ROCPRIM_400000_NS6detail17trampoline_kernelINS0_14default_configENS1_36segmented_radix_sort_config_selectorI12hip_bfloat16lEEZNS1_25segmented_radix_sort_implIS3_Lb1EPKS5_PS5_PKlPlN2at6native12_GLOBAL__N_18offset_tEEE10hipError_tPvRmT1_PNSt15iterator_traitsISL_E10value_typeET2_T3_PNSM_ISR_E10value_typeET4_jRbjT5_SX_jjP12ihipStream_tbEUlT_E0_NS1_11comp_targetILNS1_3genE3ELNS1_11target_archE908ELNS1_3gpuE7ELNS1_3repE0EEENS1_60segmented_radix_sort_warp_sort_medium_config_static_selectorELNS0_4arch9wavefront6targetE0EEEvSL_,"axG",@progbits,_ZN7rocprim17ROCPRIM_400000_NS6detail17trampoline_kernelINS0_14default_configENS1_36segmented_radix_sort_config_selectorI12hip_bfloat16lEEZNS1_25segmented_radix_sort_implIS3_Lb1EPKS5_PS5_PKlPlN2at6native12_GLOBAL__N_18offset_tEEE10hipError_tPvRmT1_PNSt15iterator_traitsISL_E10value_typeET2_T3_PNSM_ISR_E10value_typeET4_jRbjT5_SX_jjP12ihipStream_tbEUlT_E0_NS1_11comp_targetILNS1_3genE3ELNS1_11target_archE908ELNS1_3gpuE7ELNS1_3repE0EEENS1_60segmented_radix_sort_warp_sort_medium_config_static_selectorELNS0_4arch9wavefront6targetE0EEEvSL_,comdat
.Lfunc_end1949:
	.size	_ZN7rocprim17ROCPRIM_400000_NS6detail17trampoline_kernelINS0_14default_configENS1_36segmented_radix_sort_config_selectorI12hip_bfloat16lEEZNS1_25segmented_radix_sort_implIS3_Lb1EPKS5_PS5_PKlPlN2at6native12_GLOBAL__N_18offset_tEEE10hipError_tPvRmT1_PNSt15iterator_traitsISL_E10value_typeET2_T3_PNSM_ISR_E10value_typeET4_jRbjT5_SX_jjP12ihipStream_tbEUlT_E0_NS1_11comp_targetILNS1_3genE3ELNS1_11target_archE908ELNS1_3gpuE7ELNS1_3repE0EEENS1_60segmented_radix_sort_warp_sort_medium_config_static_selectorELNS0_4arch9wavefront6targetE0EEEvSL_, .Lfunc_end1949-_ZN7rocprim17ROCPRIM_400000_NS6detail17trampoline_kernelINS0_14default_configENS1_36segmented_radix_sort_config_selectorI12hip_bfloat16lEEZNS1_25segmented_radix_sort_implIS3_Lb1EPKS5_PS5_PKlPlN2at6native12_GLOBAL__N_18offset_tEEE10hipError_tPvRmT1_PNSt15iterator_traitsISL_E10value_typeET2_T3_PNSM_ISR_E10value_typeET4_jRbjT5_SX_jjP12ihipStream_tbEUlT_E0_NS1_11comp_targetILNS1_3genE3ELNS1_11target_archE908ELNS1_3gpuE7ELNS1_3repE0EEENS1_60segmented_radix_sort_warp_sort_medium_config_static_selectorELNS0_4arch9wavefront6targetE0EEEvSL_
                                        ; -- End function
	.set _ZN7rocprim17ROCPRIM_400000_NS6detail17trampoline_kernelINS0_14default_configENS1_36segmented_radix_sort_config_selectorI12hip_bfloat16lEEZNS1_25segmented_radix_sort_implIS3_Lb1EPKS5_PS5_PKlPlN2at6native12_GLOBAL__N_18offset_tEEE10hipError_tPvRmT1_PNSt15iterator_traitsISL_E10value_typeET2_T3_PNSM_ISR_E10value_typeET4_jRbjT5_SX_jjP12ihipStream_tbEUlT_E0_NS1_11comp_targetILNS1_3genE3ELNS1_11target_archE908ELNS1_3gpuE7ELNS1_3repE0EEENS1_60segmented_radix_sort_warp_sort_medium_config_static_selectorELNS0_4arch9wavefront6targetE0EEEvSL_.num_vgpr, 0
	.set _ZN7rocprim17ROCPRIM_400000_NS6detail17trampoline_kernelINS0_14default_configENS1_36segmented_radix_sort_config_selectorI12hip_bfloat16lEEZNS1_25segmented_radix_sort_implIS3_Lb1EPKS5_PS5_PKlPlN2at6native12_GLOBAL__N_18offset_tEEE10hipError_tPvRmT1_PNSt15iterator_traitsISL_E10value_typeET2_T3_PNSM_ISR_E10value_typeET4_jRbjT5_SX_jjP12ihipStream_tbEUlT_E0_NS1_11comp_targetILNS1_3genE3ELNS1_11target_archE908ELNS1_3gpuE7ELNS1_3repE0EEENS1_60segmented_radix_sort_warp_sort_medium_config_static_selectorELNS0_4arch9wavefront6targetE0EEEvSL_.num_agpr, 0
	.set _ZN7rocprim17ROCPRIM_400000_NS6detail17trampoline_kernelINS0_14default_configENS1_36segmented_radix_sort_config_selectorI12hip_bfloat16lEEZNS1_25segmented_radix_sort_implIS3_Lb1EPKS5_PS5_PKlPlN2at6native12_GLOBAL__N_18offset_tEEE10hipError_tPvRmT1_PNSt15iterator_traitsISL_E10value_typeET2_T3_PNSM_ISR_E10value_typeET4_jRbjT5_SX_jjP12ihipStream_tbEUlT_E0_NS1_11comp_targetILNS1_3genE3ELNS1_11target_archE908ELNS1_3gpuE7ELNS1_3repE0EEENS1_60segmented_radix_sort_warp_sort_medium_config_static_selectorELNS0_4arch9wavefront6targetE0EEEvSL_.numbered_sgpr, 0
	.set _ZN7rocprim17ROCPRIM_400000_NS6detail17trampoline_kernelINS0_14default_configENS1_36segmented_radix_sort_config_selectorI12hip_bfloat16lEEZNS1_25segmented_radix_sort_implIS3_Lb1EPKS5_PS5_PKlPlN2at6native12_GLOBAL__N_18offset_tEEE10hipError_tPvRmT1_PNSt15iterator_traitsISL_E10value_typeET2_T3_PNSM_ISR_E10value_typeET4_jRbjT5_SX_jjP12ihipStream_tbEUlT_E0_NS1_11comp_targetILNS1_3genE3ELNS1_11target_archE908ELNS1_3gpuE7ELNS1_3repE0EEENS1_60segmented_radix_sort_warp_sort_medium_config_static_selectorELNS0_4arch9wavefront6targetE0EEEvSL_.num_named_barrier, 0
	.set _ZN7rocprim17ROCPRIM_400000_NS6detail17trampoline_kernelINS0_14default_configENS1_36segmented_radix_sort_config_selectorI12hip_bfloat16lEEZNS1_25segmented_radix_sort_implIS3_Lb1EPKS5_PS5_PKlPlN2at6native12_GLOBAL__N_18offset_tEEE10hipError_tPvRmT1_PNSt15iterator_traitsISL_E10value_typeET2_T3_PNSM_ISR_E10value_typeET4_jRbjT5_SX_jjP12ihipStream_tbEUlT_E0_NS1_11comp_targetILNS1_3genE3ELNS1_11target_archE908ELNS1_3gpuE7ELNS1_3repE0EEENS1_60segmented_radix_sort_warp_sort_medium_config_static_selectorELNS0_4arch9wavefront6targetE0EEEvSL_.private_seg_size, 0
	.set _ZN7rocprim17ROCPRIM_400000_NS6detail17trampoline_kernelINS0_14default_configENS1_36segmented_radix_sort_config_selectorI12hip_bfloat16lEEZNS1_25segmented_radix_sort_implIS3_Lb1EPKS5_PS5_PKlPlN2at6native12_GLOBAL__N_18offset_tEEE10hipError_tPvRmT1_PNSt15iterator_traitsISL_E10value_typeET2_T3_PNSM_ISR_E10value_typeET4_jRbjT5_SX_jjP12ihipStream_tbEUlT_E0_NS1_11comp_targetILNS1_3genE3ELNS1_11target_archE908ELNS1_3gpuE7ELNS1_3repE0EEENS1_60segmented_radix_sort_warp_sort_medium_config_static_selectorELNS0_4arch9wavefront6targetE0EEEvSL_.uses_vcc, 0
	.set _ZN7rocprim17ROCPRIM_400000_NS6detail17trampoline_kernelINS0_14default_configENS1_36segmented_radix_sort_config_selectorI12hip_bfloat16lEEZNS1_25segmented_radix_sort_implIS3_Lb1EPKS5_PS5_PKlPlN2at6native12_GLOBAL__N_18offset_tEEE10hipError_tPvRmT1_PNSt15iterator_traitsISL_E10value_typeET2_T3_PNSM_ISR_E10value_typeET4_jRbjT5_SX_jjP12ihipStream_tbEUlT_E0_NS1_11comp_targetILNS1_3genE3ELNS1_11target_archE908ELNS1_3gpuE7ELNS1_3repE0EEENS1_60segmented_radix_sort_warp_sort_medium_config_static_selectorELNS0_4arch9wavefront6targetE0EEEvSL_.uses_flat_scratch, 0
	.set _ZN7rocprim17ROCPRIM_400000_NS6detail17trampoline_kernelINS0_14default_configENS1_36segmented_radix_sort_config_selectorI12hip_bfloat16lEEZNS1_25segmented_radix_sort_implIS3_Lb1EPKS5_PS5_PKlPlN2at6native12_GLOBAL__N_18offset_tEEE10hipError_tPvRmT1_PNSt15iterator_traitsISL_E10value_typeET2_T3_PNSM_ISR_E10value_typeET4_jRbjT5_SX_jjP12ihipStream_tbEUlT_E0_NS1_11comp_targetILNS1_3genE3ELNS1_11target_archE908ELNS1_3gpuE7ELNS1_3repE0EEENS1_60segmented_radix_sort_warp_sort_medium_config_static_selectorELNS0_4arch9wavefront6targetE0EEEvSL_.has_dyn_sized_stack, 0
	.set _ZN7rocprim17ROCPRIM_400000_NS6detail17trampoline_kernelINS0_14default_configENS1_36segmented_radix_sort_config_selectorI12hip_bfloat16lEEZNS1_25segmented_radix_sort_implIS3_Lb1EPKS5_PS5_PKlPlN2at6native12_GLOBAL__N_18offset_tEEE10hipError_tPvRmT1_PNSt15iterator_traitsISL_E10value_typeET2_T3_PNSM_ISR_E10value_typeET4_jRbjT5_SX_jjP12ihipStream_tbEUlT_E0_NS1_11comp_targetILNS1_3genE3ELNS1_11target_archE908ELNS1_3gpuE7ELNS1_3repE0EEENS1_60segmented_radix_sort_warp_sort_medium_config_static_selectorELNS0_4arch9wavefront6targetE0EEEvSL_.has_recursion, 0
	.set _ZN7rocprim17ROCPRIM_400000_NS6detail17trampoline_kernelINS0_14default_configENS1_36segmented_radix_sort_config_selectorI12hip_bfloat16lEEZNS1_25segmented_radix_sort_implIS3_Lb1EPKS5_PS5_PKlPlN2at6native12_GLOBAL__N_18offset_tEEE10hipError_tPvRmT1_PNSt15iterator_traitsISL_E10value_typeET2_T3_PNSM_ISR_E10value_typeET4_jRbjT5_SX_jjP12ihipStream_tbEUlT_E0_NS1_11comp_targetILNS1_3genE3ELNS1_11target_archE908ELNS1_3gpuE7ELNS1_3repE0EEENS1_60segmented_radix_sort_warp_sort_medium_config_static_selectorELNS0_4arch9wavefront6targetE0EEEvSL_.has_indirect_call, 0
	.section	.AMDGPU.csdata,"",@progbits
; Kernel info:
; codeLenInByte = 0
; TotalNumSgprs: 0
; NumVgprs: 0
; ScratchSize: 0
; MemoryBound: 0
; FloatMode: 240
; IeeeMode: 1
; LDSByteSize: 0 bytes/workgroup (compile time only)
; SGPRBlocks: 0
; VGPRBlocks: 0
; NumSGPRsForWavesPerEU: 1
; NumVGPRsForWavesPerEU: 1
; Occupancy: 16
; WaveLimiterHint : 0
; COMPUTE_PGM_RSRC2:SCRATCH_EN: 0
; COMPUTE_PGM_RSRC2:USER_SGPR: 6
; COMPUTE_PGM_RSRC2:TRAP_HANDLER: 0
; COMPUTE_PGM_RSRC2:TGID_X_EN: 1
; COMPUTE_PGM_RSRC2:TGID_Y_EN: 0
; COMPUTE_PGM_RSRC2:TGID_Z_EN: 0
; COMPUTE_PGM_RSRC2:TIDIG_COMP_CNT: 0
	.section	.text._ZN7rocprim17ROCPRIM_400000_NS6detail17trampoline_kernelINS0_14default_configENS1_36segmented_radix_sort_config_selectorI12hip_bfloat16lEEZNS1_25segmented_radix_sort_implIS3_Lb1EPKS5_PS5_PKlPlN2at6native12_GLOBAL__N_18offset_tEEE10hipError_tPvRmT1_PNSt15iterator_traitsISL_E10value_typeET2_T3_PNSM_ISR_E10value_typeET4_jRbjT5_SX_jjP12ihipStream_tbEUlT_E0_NS1_11comp_targetILNS1_3genE2ELNS1_11target_archE906ELNS1_3gpuE6ELNS1_3repE0EEENS1_60segmented_radix_sort_warp_sort_medium_config_static_selectorELNS0_4arch9wavefront6targetE0EEEvSL_,"axG",@progbits,_ZN7rocprim17ROCPRIM_400000_NS6detail17trampoline_kernelINS0_14default_configENS1_36segmented_radix_sort_config_selectorI12hip_bfloat16lEEZNS1_25segmented_radix_sort_implIS3_Lb1EPKS5_PS5_PKlPlN2at6native12_GLOBAL__N_18offset_tEEE10hipError_tPvRmT1_PNSt15iterator_traitsISL_E10value_typeET2_T3_PNSM_ISR_E10value_typeET4_jRbjT5_SX_jjP12ihipStream_tbEUlT_E0_NS1_11comp_targetILNS1_3genE2ELNS1_11target_archE906ELNS1_3gpuE6ELNS1_3repE0EEENS1_60segmented_radix_sort_warp_sort_medium_config_static_selectorELNS0_4arch9wavefront6targetE0EEEvSL_,comdat
	.globl	_ZN7rocprim17ROCPRIM_400000_NS6detail17trampoline_kernelINS0_14default_configENS1_36segmented_radix_sort_config_selectorI12hip_bfloat16lEEZNS1_25segmented_radix_sort_implIS3_Lb1EPKS5_PS5_PKlPlN2at6native12_GLOBAL__N_18offset_tEEE10hipError_tPvRmT1_PNSt15iterator_traitsISL_E10value_typeET2_T3_PNSM_ISR_E10value_typeET4_jRbjT5_SX_jjP12ihipStream_tbEUlT_E0_NS1_11comp_targetILNS1_3genE2ELNS1_11target_archE906ELNS1_3gpuE6ELNS1_3repE0EEENS1_60segmented_radix_sort_warp_sort_medium_config_static_selectorELNS0_4arch9wavefront6targetE0EEEvSL_ ; -- Begin function _ZN7rocprim17ROCPRIM_400000_NS6detail17trampoline_kernelINS0_14default_configENS1_36segmented_radix_sort_config_selectorI12hip_bfloat16lEEZNS1_25segmented_radix_sort_implIS3_Lb1EPKS5_PS5_PKlPlN2at6native12_GLOBAL__N_18offset_tEEE10hipError_tPvRmT1_PNSt15iterator_traitsISL_E10value_typeET2_T3_PNSM_ISR_E10value_typeET4_jRbjT5_SX_jjP12ihipStream_tbEUlT_E0_NS1_11comp_targetILNS1_3genE2ELNS1_11target_archE906ELNS1_3gpuE6ELNS1_3repE0EEENS1_60segmented_radix_sort_warp_sort_medium_config_static_selectorELNS0_4arch9wavefront6targetE0EEEvSL_
	.p2align	8
	.type	_ZN7rocprim17ROCPRIM_400000_NS6detail17trampoline_kernelINS0_14default_configENS1_36segmented_radix_sort_config_selectorI12hip_bfloat16lEEZNS1_25segmented_radix_sort_implIS3_Lb1EPKS5_PS5_PKlPlN2at6native12_GLOBAL__N_18offset_tEEE10hipError_tPvRmT1_PNSt15iterator_traitsISL_E10value_typeET2_T3_PNSM_ISR_E10value_typeET4_jRbjT5_SX_jjP12ihipStream_tbEUlT_E0_NS1_11comp_targetILNS1_3genE2ELNS1_11target_archE906ELNS1_3gpuE6ELNS1_3repE0EEENS1_60segmented_radix_sort_warp_sort_medium_config_static_selectorELNS0_4arch9wavefront6targetE0EEEvSL_,@function
_ZN7rocprim17ROCPRIM_400000_NS6detail17trampoline_kernelINS0_14default_configENS1_36segmented_radix_sort_config_selectorI12hip_bfloat16lEEZNS1_25segmented_radix_sort_implIS3_Lb1EPKS5_PS5_PKlPlN2at6native12_GLOBAL__N_18offset_tEEE10hipError_tPvRmT1_PNSt15iterator_traitsISL_E10value_typeET2_T3_PNSM_ISR_E10value_typeET4_jRbjT5_SX_jjP12ihipStream_tbEUlT_E0_NS1_11comp_targetILNS1_3genE2ELNS1_11target_archE906ELNS1_3gpuE6ELNS1_3repE0EEENS1_60segmented_radix_sort_warp_sort_medium_config_static_selectorELNS0_4arch9wavefront6targetE0EEEvSL_: ; @_ZN7rocprim17ROCPRIM_400000_NS6detail17trampoline_kernelINS0_14default_configENS1_36segmented_radix_sort_config_selectorI12hip_bfloat16lEEZNS1_25segmented_radix_sort_implIS3_Lb1EPKS5_PS5_PKlPlN2at6native12_GLOBAL__N_18offset_tEEE10hipError_tPvRmT1_PNSt15iterator_traitsISL_E10value_typeET2_T3_PNSM_ISR_E10value_typeET4_jRbjT5_SX_jjP12ihipStream_tbEUlT_E0_NS1_11comp_targetILNS1_3genE2ELNS1_11target_archE906ELNS1_3gpuE6ELNS1_3repE0EEENS1_60segmented_radix_sort_warp_sort_medium_config_static_selectorELNS0_4arch9wavefront6targetE0EEEvSL_
; %bb.0:
	.section	.rodata,"a",@progbits
	.p2align	6, 0x0
	.amdhsa_kernel _ZN7rocprim17ROCPRIM_400000_NS6detail17trampoline_kernelINS0_14default_configENS1_36segmented_radix_sort_config_selectorI12hip_bfloat16lEEZNS1_25segmented_radix_sort_implIS3_Lb1EPKS5_PS5_PKlPlN2at6native12_GLOBAL__N_18offset_tEEE10hipError_tPvRmT1_PNSt15iterator_traitsISL_E10value_typeET2_T3_PNSM_ISR_E10value_typeET4_jRbjT5_SX_jjP12ihipStream_tbEUlT_E0_NS1_11comp_targetILNS1_3genE2ELNS1_11target_archE906ELNS1_3gpuE6ELNS1_3repE0EEENS1_60segmented_radix_sort_warp_sort_medium_config_static_selectorELNS0_4arch9wavefront6targetE0EEEvSL_
		.amdhsa_group_segment_fixed_size 0
		.amdhsa_private_segment_fixed_size 0
		.amdhsa_kernarg_size 88
		.amdhsa_user_sgpr_count 6
		.amdhsa_user_sgpr_private_segment_buffer 1
		.amdhsa_user_sgpr_dispatch_ptr 0
		.amdhsa_user_sgpr_queue_ptr 0
		.amdhsa_user_sgpr_kernarg_segment_ptr 1
		.amdhsa_user_sgpr_dispatch_id 0
		.amdhsa_user_sgpr_flat_scratch_init 0
		.amdhsa_user_sgpr_private_segment_size 0
		.amdhsa_wavefront_size32 1
		.amdhsa_uses_dynamic_stack 0
		.amdhsa_system_sgpr_private_segment_wavefront_offset 0
		.amdhsa_system_sgpr_workgroup_id_x 1
		.amdhsa_system_sgpr_workgroup_id_y 0
		.amdhsa_system_sgpr_workgroup_id_z 0
		.amdhsa_system_sgpr_workgroup_info 0
		.amdhsa_system_vgpr_workitem_id 0
		.amdhsa_next_free_vgpr 1
		.amdhsa_next_free_sgpr 1
		.amdhsa_reserve_vcc 0
		.amdhsa_reserve_flat_scratch 0
		.amdhsa_float_round_mode_32 0
		.amdhsa_float_round_mode_16_64 0
		.amdhsa_float_denorm_mode_32 3
		.amdhsa_float_denorm_mode_16_64 3
		.amdhsa_dx10_clamp 1
		.amdhsa_ieee_mode 1
		.amdhsa_fp16_overflow 0
		.amdhsa_workgroup_processor_mode 1
		.amdhsa_memory_ordered 1
		.amdhsa_forward_progress 1
		.amdhsa_shared_vgpr_count 0
		.amdhsa_exception_fp_ieee_invalid_op 0
		.amdhsa_exception_fp_denorm_src 0
		.amdhsa_exception_fp_ieee_div_zero 0
		.amdhsa_exception_fp_ieee_overflow 0
		.amdhsa_exception_fp_ieee_underflow 0
		.amdhsa_exception_fp_ieee_inexact 0
		.amdhsa_exception_int_div_zero 0
	.end_amdhsa_kernel
	.section	.text._ZN7rocprim17ROCPRIM_400000_NS6detail17trampoline_kernelINS0_14default_configENS1_36segmented_radix_sort_config_selectorI12hip_bfloat16lEEZNS1_25segmented_radix_sort_implIS3_Lb1EPKS5_PS5_PKlPlN2at6native12_GLOBAL__N_18offset_tEEE10hipError_tPvRmT1_PNSt15iterator_traitsISL_E10value_typeET2_T3_PNSM_ISR_E10value_typeET4_jRbjT5_SX_jjP12ihipStream_tbEUlT_E0_NS1_11comp_targetILNS1_3genE2ELNS1_11target_archE906ELNS1_3gpuE6ELNS1_3repE0EEENS1_60segmented_radix_sort_warp_sort_medium_config_static_selectorELNS0_4arch9wavefront6targetE0EEEvSL_,"axG",@progbits,_ZN7rocprim17ROCPRIM_400000_NS6detail17trampoline_kernelINS0_14default_configENS1_36segmented_radix_sort_config_selectorI12hip_bfloat16lEEZNS1_25segmented_radix_sort_implIS3_Lb1EPKS5_PS5_PKlPlN2at6native12_GLOBAL__N_18offset_tEEE10hipError_tPvRmT1_PNSt15iterator_traitsISL_E10value_typeET2_T3_PNSM_ISR_E10value_typeET4_jRbjT5_SX_jjP12ihipStream_tbEUlT_E0_NS1_11comp_targetILNS1_3genE2ELNS1_11target_archE906ELNS1_3gpuE6ELNS1_3repE0EEENS1_60segmented_radix_sort_warp_sort_medium_config_static_selectorELNS0_4arch9wavefront6targetE0EEEvSL_,comdat
.Lfunc_end1950:
	.size	_ZN7rocprim17ROCPRIM_400000_NS6detail17trampoline_kernelINS0_14default_configENS1_36segmented_radix_sort_config_selectorI12hip_bfloat16lEEZNS1_25segmented_radix_sort_implIS3_Lb1EPKS5_PS5_PKlPlN2at6native12_GLOBAL__N_18offset_tEEE10hipError_tPvRmT1_PNSt15iterator_traitsISL_E10value_typeET2_T3_PNSM_ISR_E10value_typeET4_jRbjT5_SX_jjP12ihipStream_tbEUlT_E0_NS1_11comp_targetILNS1_3genE2ELNS1_11target_archE906ELNS1_3gpuE6ELNS1_3repE0EEENS1_60segmented_radix_sort_warp_sort_medium_config_static_selectorELNS0_4arch9wavefront6targetE0EEEvSL_, .Lfunc_end1950-_ZN7rocprim17ROCPRIM_400000_NS6detail17trampoline_kernelINS0_14default_configENS1_36segmented_radix_sort_config_selectorI12hip_bfloat16lEEZNS1_25segmented_radix_sort_implIS3_Lb1EPKS5_PS5_PKlPlN2at6native12_GLOBAL__N_18offset_tEEE10hipError_tPvRmT1_PNSt15iterator_traitsISL_E10value_typeET2_T3_PNSM_ISR_E10value_typeET4_jRbjT5_SX_jjP12ihipStream_tbEUlT_E0_NS1_11comp_targetILNS1_3genE2ELNS1_11target_archE906ELNS1_3gpuE6ELNS1_3repE0EEENS1_60segmented_radix_sort_warp_sort_medium_config_static_selectorELNS0_4arch9wavefront6targetE0EEEvSL_
                                        ; -- End function
	.set _ZN7rocprim17ROCPRIM_400000_NS6detail17trampoline_kernelINS0_14default_configENS1_36segmented_radix_sort_config_selectorI12hip_bfloat16lEEZNS1_25segmented_radix_sort_implIS3_Lb1EPKS5_PS5_PKlPlN2at6native12_GLOBAL__N_18offset_tEEE10hipError_tPvRmT1_PNSt15iterator_traitsISL_E10value_typeET2_T3_PNSM_ISR_E10value_typeET4_jRbjT5_SX_jjP12ihipStream_tbEUlT_E0_NS1_11comp_targetILNS1_3genE2ELNS1_11target_archE906ELNS1_3gpuE6ELNS1_3repE0EEENS1_60segmented_radix_sort_warp_sort_medium_config_static_selectorELNS0_4arch9wavefront6targetE0EEEvSL_.num_vgpr, 0
	.set _ZN7rocprim17ROCPRIM_400000_NS6detail17trampoline_kernelINS0_14default_configENS1_36segmented_radix_sort_config_selectorI12hip_bfloat16lEEZNS1_25segmented_radix_sort_implIS3_Lb1EPKS5_PS5_PKlPlN2at6native12_GLOBAL__N_18offset_tEEE10hipError_tPvRmT1_PNSt15iterator_traitsISL_E10value_typeET2_T3_PNSM_ISR_E10value_typeET4_jRbjT5_SX_jjP12ihipStream_tbEUlT_E0_NS1_11comp_targetILNS1_3genE2ELNS1_11target_archE906ELNS1_3gpuE6ELNS1_3repE0EEENS1_60segmented_radix_sort_warp_sort_medium_config_static_selectorELNS0_4arch9wavefront6targetE0EEEvSL_.num_agpr, 0
	.set _ZN7rocprim17ROCPRIM_400000_NS6detail17trampoline_kernelINS0_14default_configENS1_36segmented_radix_sort_config_selectorI12hip_bfloat16lEEZNS1_25segmented_radix_sort_implIS3_Lb1EPKS5_PS5_PKlPlN2at6native12_GLOBAL__N_18offset_tEEE10hipError_tPvRmT1_PNSt15iterator_traitsISL_E10value_typeET2_T3_PNSM_ISR_E10value_typeET4_jRbjT5_SX_jjP12ihipStream_tbEUlT_E0_NS1_11comp_targetILNS1_3genE2ELNS1_11target_archE906ELNS1_3gpuE6ELNS1_3repE0EEENS1_60segmented_radix_sort_warp_sort_medium_config_static_selectorELNS0_4arch9wavefront6targetE0EEEvSL_.numbered_sgpr, 0
	.set _ZN7rocprim17ROCPRIM_400000_NS6detail17trampoline_kernelINS0_14default_configENS1_36segmented_radix_sort_config_selectorI12hip_bfloat16lEEZNS1_25segmented_radix_sort_implIS3_Lb1EPKS5_PS5_PKlPlN2at6native12_GLOBAL__N_18offset_tEEE10hipError_tPvRmT1_PNSt15iterator_traitsISL_E10value_typeET2_T3_PNSM_ISR_E10value_typeET4_jRbjT5_SX_jjP12ihipStream_tbEUlT_E0_NS1_11comp_targetILNS1_3genE2ELNS1_11target_archE906ELNS1_3gpuE6ELNS1_3repE0EEENS1_60segmented_radix_sort_warp_sort_medium_config_static_selectorELNS0_4arch9wavefront6targetE0EEEvSL_.num_named_barrier, 0
	.set _ZN7rocprim17ROCPRIM_400000_NS6detail17trampoline_kernelINS0_14default_configENS1_36segmented_radix_sort_config_selectorI12hip_bfloat16lEEZNS1_25segmented_radix_sort_implIS3_Lb1EPKS5_PS5_PKlPlN2at6native12_GLOBAL__N_18offset_tEEE10hipError_tPvRmT1_PNSt15iterator_traitsISL_E10value_typeET2_T3_PNSM_ISR_E10value_typeET4_jRbjT5_SX_jjP12ihipStream_tbEUlT_E0_NS1_11comp_targetILNS1_3genE2ELNS1_11target_archE906ELNS1_3gpuE6ELNS1_3repE0EEENS1_60segmented_radix_sort_warp_sort_medium_config_static_selectorELNS0_4arch9wavefront6targetE0EEEvSL_.private_seg_size, 0
	.set _ZN7rocprim17ROCPRIM_400000_NS6detail17trampoline_kernelINS0_14default_configENS1_36segmented_radix_sort_config_selectorI12hip_bfloat16lEEZNS1_25segmented_radix_sort_implIS3_Lb1EPKS5_PS5_PKlPlN2at6native12_GLOBAL__N_18offset_tEEE10hipError_tPvRmT1_PNSt15iterator_traitsISL_E10value_typeET2_T3_PNSM_ISR_E10value_typeET4_jRbjT5_SX_jjP12ihipStream_tbEUlT_E0_NS1_11comp_targetILNS1_3genE2ELNS1_11target_archE906ELNS1_3gpuE6ELNS1_3repE0EEENS1_60segmented_radix_sort_warp_sort_medium_config_static_selectorELNS0_4arch9wavefront6targetE0EEEvSL_.uses_vcc, 0
	.set _ZN7rocprim17ROCPRIM_400000_NS6detail17trampoline_kernelINS0_14default_configENS1_36segmented_radix_sort_config_selectorI12hip_bfloat16lEEZNS1_25segmented_radix_sort_implIS3_Lb1EPKS5_PS5_PKlPlN2at6native12_GLOBAL__N_18offset_tEEE10hipError_tPvRmT1_PNSt15iterator_traitsISL_E10value_typeET2_T3_PNSM_ISR_E10value_typeET4_jRbjT5_SX_jjP12ihipStream_tbEUlT_E0_NS1_11comp_targetILNS1_3genE2ELNS1_11target_archE906ELNS1_3gpuE6ELNS1_3repE0EEENS1_60segmented_radix_sort_warp_sort_medium_config_static_selectorELNS0_4arch9wavefront6targetE0EEEvSL_.uses_flat_scratch, 0
	.set _ZN7rocprim17ROCPRIM_400000_NS6detail17trampoline_kernelINS0_14default_configENS1_36segmented_radix_sort_config_selectorI12hip_bfloat16lEEZNS1_25segmented_radix_sort_implIS3_Lb1EPKS5_PS5_PKlPlN2at6native12_GLOBAL__N_18offset_tEEE10hipError_tPvRmT1_PNSt15iterator_traitsISL_E10value_typeET2_T3_PNSM_ISR_E10value_typeET4_jRbjT5_SX_jjP12ihipStream_tbEUlT_E0_NS1_11comp_targetILNS1_3genE2ELNS1_11target_archE906ELNS1_3gpuE6ELNS1_3repE0EEENS1_60segmented_radix_sort_warp_sort_medium_config_static_selectorELNS0_4arch9wavefront6targetE0EEEvSL_.has_dyn_sized_stack, 0
	.set _ZN7rocprim17ROCPRIM_400000_NS6detail17trampoline_kernelINS0_14default_configENS1_36segmented_radix_sort_config_selectorI12hip_bfloat16lEEZNS1_25segmented_radix_sort_implIS3_Lb1EPKS5_PS5_PKlPlN2at6native12_GLOBAL__N_18offset_tEEE10hipError_tPvRmT1_PNSt15iterator_traitsISL_E10value_typeET2_T3_PNSM_ISR_E10value_typeET4_jRbjT5_SX_jjP12ihipStream_tbEUlT_E0_NS1_11comp_targetILNS1_3genE2ELNS1_11target_archE906ELNS1_3gpuE6ELNS1_3repE0EEENS1_60segmented_radix_sort_warp_sort_medium_config_static_selectorELNS0_4arch9wavefront6targetE0EEEvSL_.has_recursion, 0
	.set _ZN7rocprim17ROCPRIM_400000_NS6detail17trampoline_kernelINS0_14default_configENS1_36segmented_radix_sort_config_selectorI12hip_bfloat16lEEZNS1_25segmented_radix_sort_implIS3_Lb1EPKS5_PS5_PKlPlN2at6native12_GLOBAL__N_18offset_tEEE10hipError_tPvRmT1_PNSt15iterator_traitsISL_E10value_typeET2_T3_PNSM_ISR_E10value_typeET4_jRbjT5_SX_jjP12ihipStream_tbEUlT_E0_NS1_11comp_targetILNS1_3genE2ELNS1_11target_archE906ELNS1_3gpuE6ELNS1_3repE0EEENS1_60segmented_radix_sort_warp_sort_medium_config_static_selectorELNS0_4arch9wavefront6targetE0EEEvSL_.has_indirect_call, 0
	.section	.AMDGPU.csdata,"",@progbits
; Kernel info:
; codeLenInByte = 0
; TotalNumSgprs: 0
; NumVgprs: 0
; ScratchSize: 0
; MemoryBound: 0
; FloatMode: 240
; IeeeMode: 1
; LDSByteSize: 0 bytes/workgroup (compile time only)
; SGPRBlocks: 0
; VGPRBlocks: 0
; NumSGPRsForWavesPerEU: 1
; NumVGPRsForWavesPerEU: 1
; Occupancy: 16
; WaveLimiterHint : 0
; COMPUTE_PGM_RSRC2:SCRATCH_EN: 0
; COMPUTE_PGM_RSRC2:USER_SGPR: 6
; COMPUTE_PGM_RSRC2:TRAP_HANDLER: 0
; COMPUTE_PGM_RSRC2:TGID_X_EN: 1
; COMPUTE_PGM_RSRC2:TGID_Y_EN: 0
; COMPUTE_PGM_RSRC2:TGID_Z_EN: 0
; COMPUTE_PGM_RSRC2:TIDIG_COMP_CNT: 0
	.section	.text._ZN7rocprim17ROCPRIM_400000_NS6detail17trampoline_kernelINS0_14default_configENS1_36segmented_radix_sort_config_selectorI12hip_bfloat16lEEZNS1_25segmented_radix_sort_implIS3_Lb1EPKS5_PS5_PKlPlN2at6native12_GLOBAL__N_18offset_tEEE10hipError_tPvRmT1_PNSt15iterator_traitsISL_E10value_typeET2_T3_PNSM_ISR_E10value_typeET4_jRbjT5_SX_jjP12ihipStream_tbEUlT_E0_NS1_11comp_targetILNS1_3genE10ELNS1_11target_archE1201ELNS1_3gpuE5ELNS1_3repE0EEENS1_60segmented_radix_sort_warp_sort_medium_config_static_selectorELNS0_4arch9wavefront6targetE0EEEvSL_,"axG",@progbits,_ZN7rocprim17ROCPRIM_400000_NS6detail17trampoline_kernelINS0_14default_configENS1_36segmented_radix_sort_config_selectorI12hip_bfloat16lEEZNS1_25segmented_radix_sort_implIS3_Lb1EPKS5_PS5_PKlPlN2at6native12_GLOBAL__N_18offset_tEEE10hipError_tPvRmT1_PNSt15iterator_traitsISL_E10value_typeET2_T3_PNSM_ISR_E10value_typeET4_jRbjT5_SX_jjP12ihipStream_tbEUlT_E0_NS1_11comp_targetILNS1_3genE10ELNS1_11target_archE1201ELNS1_3gpuE5ELNS1_3repE0EEENS1_60segmented_radix_sort_warp_sort_medium_config_static_selectorELNS0_4arch9wavefront6targetE0EEEvSL_,comdat
	.globl	_ZN7rocprim17ROCPRIM_400000_NS6detail17trampoline_kernelINS0_14default_configENS1_36segmented_radix_sort_config_selectorI12hip_bfloat16lEEZNS1_25segmented_radix_sort_implIS3_Lb1EPKS5_PS5_PKlPlN2at6native12_GLOBAL__N_18offset_tEEE10hipError_tPvRmT1_PNSt15iterator_traitsISL_E10value_typeET2_T3_PNSM_ISR_E10value_typeET4_jRbjT5_SX_jjP12ihipStream_tbEUlT_E0_NS1_11comp_targetILNS1_3genE10ELNS1_11target_archE1201ELNS1_3gpuE5ELNS1_3repE0EEENS1_60segmented_radix_sort_warp_sort_medium_config_static_selectorELNS0_4arch9wavefront6targetE0EEEvSL_ ; -- Begin function _ZN7rocprim17ROCPRIM_400000_NS6detail17trampoline_kernelINS0_14default_configENS1_36segmented_radix_sort_config_selectorI12hip_bfloat16lEEZNS1_25segmented_radix_sort_implIS3_Lb1EPKS5_PS5_PKlPlN2at6native12_GLOBAL__N_18offset_tEEE10hipError_tPvRmT1_PNSt15iterator_traitsISL_E10value_typeET2_T3_PNSM_ISR_E10value_typeET4_jRbjT5_SX_jjP12ihipStream_tbEUlT_E0_NS1_11comp_targetILNS1_3genE10ELNS1_11target_archE1201ELNS1_3gpuE5ELNS1_3repE0EEENS1_60segmented_radix_sort_warp_sort_medium_config_static_selectorELNS0_4arch9wavefront6targetE0EEEvSL_
	.p2align	8
	.type	_ZN7rocprim17ROCPRIM_400000_NS6detail17trampoline_kernelINS0_14default_configENS1_36segmented_radix_sort_config_selectorI12hip_bfloat16lEEZNS1_25segmented_radix_sort_implIS3_Lb1EPKS5_PS5_PKlPlN2at6native12_GLOBAL__N_18offset_tEEE10hipError_tPvRmT1_PNSt15iterator_traitsISL_E10value_typeET2_T3_PNSM_ISR_E10value_typeET4_jRbjT5_SX_jjP12ihipStream_tbEUlT_E0_NS1_11comp_targetILNS1_3genE10ELNS1_11target_archE1201ELNS1_3gpuE5ELNS1_3repE0EEENS1_60segmented_radix_sort_warp_sort_medium_config_static_selectorELNS0_4arch9wavefront6targetE0EEEvSL_,@function
_ZN7rocprim17ROCPRIM_400000_NS6detail17trampoline_kernelINS0_14default_configENS1_36segmented_radix_sort_config_selectorI12hip_bfloat16lEEZNS1_25segmented_radix_sort_implIS3_Lb1EPKS5_PS5_PKlPlN2at6native12_GLOBAL__N_18offset_tEEE10hipError_tPvRmT1_PNSt15iterator_traitsISL_E10value_typeET2_T3_PNSM_ISR_E10value_typeET4_jRbjT5_SX_jjP12ihipStream_tbEUlT_E0_NS1_11comp_targetILNS1_3genE10ELNS1_11target_archE1201ELNS1_3gpuE5ELNS1_3repE0EEENS1_60segmented_radix_sort_warp_sort_medium_config_static_selectorELNS0_4arch9wavefront6targetE0EEEvSL_: ; @_ZN7rocprim17ROCPRIM_400000_NS6detail17trampoline_kernelINS0_14default_configENS1_36segmented_radix_sort_config_selectorI12hip_bfloat16lEEZNS1_25segmented_radix_sort_implIS3_Lb1EPKS5_PS5_PKlPlN2at6native12_GLOBAL__N_18offset_tEEE10hipError_tPvRmT1_PNSt15iterator_traitsISL_E10value_typeET2_T3_PNSM_ISR_E10value_typeET4_jRbjT5_SX_jjP12ihipStream_tbEUlT_E0_NS1_11comp_targetILNS1_3genE10ELNS1_11target_archE1201ELNS1_3gpuE5ELNS1_3repE0EEENS1_60segmented_radix_sort_warp_sort_medium_config_static_selectorELNS0_4arch9wavefront6targetE0EEEvSL_
; %bb.0:
	.section	.rodata,"a",@progbits
	.p2align	6, 0x0
	.amdhsa_kernel _ZN7rocprim17ROCPRIM_400000_NS6detail17trampoline_kernelINS0_14default_configENS1_36segmented_radix_sort_config_selectorI12hip_bfloat16lEEZNS1_25segmented_radix_sort_implIS3_Lb1EPKS5_PS5_PKlPlN2at6native12_GLOBAL__N_18offset_tEEE10hipError_tPvRmT1_PNSt15iterator_traitsISL_E10value_typeET2_T3_PNSM_ISR_E10value_typeET4_jRbjT5_SX_jjP12ihipStream_tbEUlT_E0_NS1_11comp_targetILNS1_3genE10ELNS1_11target_archE1201ELNS1_3gpuE5ELNS1_3repE0EEENS1_60segmented_radix_sort_warp_sort_medium_config_static_selectorELNS0_4arch9wavefront6targetE0EEEvSL_
		.amdhsa_group_segment_fixed_size 0
		.amdhsa_private_segment_fixed_size 0
		.amdhsa_kernarg_size 88
		.amdhsa_user_sgpr_count 6
		.amdhsa_user_sgpr_private_segment_buffer 1
		.amdhsa_user_sgpr_dispatch_ptr 0
		.amdhsa_user_sgpr_queue_ptr 0
		.amdhsa_user_sgpr_kernarg_segment_ptr 1
		.amdhsa_user_sgpr_dispatch_id 0
		.amdhsa_user_sgpr_flat_scratch_init 0
		.amdhsa_user_sgpr_private_segment_size 0
		.amdhsa_wavefront_size32 1
		.amdhsa_uses_dynamic_stack 0
		.amdhsa_system_sgpr_private_segment_wavefront_offset 0
		.amdhsa_system_sgpr_workgroup_id_x 1
		.amdhsa_system_sgpr_workgroup_id_y 0
		.amdhsa_system_sgpr_workgroup_id_z 0
		.amdhsa_system_sgpr_workgroup_info 0
		.amdhsa_system_vgpr_workitem_id 0
		.amdhsa_next_free_vgpr 1
		.amdhsa_next_free_sgpr 1
		.amdhsa_reserve_vcc 0
		.amdhsa_reserve_flat_scratch 0
		.amdhsa_float_round_mode_32 0
		.amdhsa_float_round_mode_16_64 0
		.amdhsa_float_denorm_mode_32 3
		.amdhsa_float_denorm_mode_16_64 3
		.amdhsa_dx10_clamp 1
		.amdhsa_ieee_mode 1
		.amdhsa_fp16_overflow 0
		.amdhsa_workgroup_processor_mode 1
		.amdhsa_memory_ordered 1
		.amdhsa_forward_progress 1
		.amdhsa_shared_vgpr_count 0
		.amdhsa_exception_fp_ieee_invalid_op 0
		.amdhsa_exception_fp_denorm_src 0
		.amdhsa_exception_fp_ieee_div_zero 0
		.amdhsa_exception_fp_ieee_overflow 0
		.amdhsa_exception_fp_ieee_underflow 0
		.amdhsa_exception_fp_ieee_inexact 0
		.amdhsa_exception_int_div_zero 0
	.end_amdhsa_kernel
	.section	.text._ZN7rocprim17ROCPRIM_400000_NS6detail17trampoline_kernelINS0_14default_configENS1_36segmented_radix_sort_config_selectorI12hip_bfloat16lEEZNS1_25segmented_radix_sort_implIS3_Lb1EPKS5_PS5_PKlPlN2at6native12_GLOBAL__N_18offset_tEEE10hipError_tPvRmT1_PNSt15iterator_traitsISL_E10value_typeET2_T3_PNSM_ISR_E10value_typeET4_jRbjT5_SX_jjP12ihipStream_tbEUlT_E0_NS1_11comp_targetILNS1_3genE10ELNS1_11target_archE1201ELNS1_3gpuE5ELNS1_3repE0EEENS1_60segmented_radix_sort_warp_sort_medium_config_static_selectorELNS0_4arch9wavefront6targetE0EEEvSL_,"axG",@progbits,_ZN7rocprim17ROCPRIM_400000_NS6detail17trampoline_kernelINS0_14default_configENS1_36segmented_radix_sort_config_selectorI12hip_bfloat16lEEZNS1_25segmented_radix_sort_implIS3_Lb1EPKS5_PS5_PKlPlN2at6native12_GLOBAL__N_18offset_tEEE10hipError_tPvRmT1_PNSt15iterator_traitsISL_E10value_typeET2_T3_PNSM_ISR_E10value_typeET4_jRbjT5_SX_jjP12ihipStream_tbEUlT_E0_NS1_11comp_targetILNS1_3genE10ELNS1_11target_archE1201ELNS1_3gpuE5ELNS1_3repE0EEENS1_60segmented_radix_sort_warp_sort_medium_config_static_selectorELNS0_4arch9wavefront6targetE0EEEvSL_,comdat
.Lfunc_end1951:
	.size	_ZN7rocprim17ROCPRIM_400000_NS6detail17trampoline_kernelINS0_14default_configENS1_36segmented_radix_sort_config_selectorI12hip_bfloat16lEEZNS1_25segmented_radix_sort_implIS3_Lb1EPKS5_PS5_PKlPlN2at6native12_GLOBAL__N_18offset_tEEE10hipError_tPvRmT1_PNSt15iterator_traitsISL_E10value_typeET2_T3_PNSM_ISR_E10value_typeET4_jRbjT5_SX_jjP12ihipStream_tbEUlT_E0_NS1_11comp_targetILNS1_3genE10ELNS1_11target_archE1201ELNS1_3gpuE5ELNS1_3repE0EEENS1_60segmented_radix_sort_warp_sort_medium_config_static_selectorELNS0_4arch9wavefront6targetE0EEEvSL_, .Lfunc_end1951-_ZN7rocprim17ROCPRIM_400000_NS6detail17trampoline_kernelINS0_14default_configENS1_36segmented_radix_sort_config_selectorI12hip_bfloat16lEEZNS1_25segmented_radix_sort_implIS3_Lb1EPKS5_PS5_PKlPlN2at6native12_GLOBAL__N_18offset_tEEE10hipError_tPvRmT1_PNSt15iterator_traitsISL_E10value_typeET2_T3_PNSM_ISR_E10value_typeET4_jRbjT5_SX_jjP12ihipStream_tbEUlT_E0_NS1_11comp_targetILNS1_3genE10ELNS1_11target_archE1201ELNS1_3gpuE5ELNS1_3repE0EEENS1_60segmented_radix_sort_warp_sort_medium_config_static_selectorELNS0_4arch9wavefront6targetE0EEEvSL_
                                        ; -- End function
	.set _ZN7rocprim17ROCPRIM_400000_NS6detail17trampoline_kernelINS0_14default_configENS1_36segmented_radix_sort_config_selectorI12hip_bfloat16lEEZNS1_25segmented_radix_sort_implIS3_Lb1EPKS5_PS5_PKlPlN2at6native12_GLOBAL__N_18offset_tEEE10hipError_tPvRmT1_PNSt15iterator_traitsISL_E10value_typeET2_T3_PNSM_ISR_E10value_typeET4_jRbjT5_SX_jjP12ihipStream_tbEUlT_E0_NS1_11comp_targetILNS1_3genE10ELNS1_11target_archE1201ELNS1_3gpuE5ELNS1_3repE0EEENS1_60segmented_radix_sort_warp_sort_medium_config_static_selectorELNS0_4arch9wavefront6targetE0EEEvSL_.num_vgpr, 0
	.set _ZN7rocprim17ROCPRIM_400000_NS6detail17trampoline_kernelINS0_14default_configENS1_36segmented_radix_sort_config_selectorI12hip_bfloat16lEEZNS1_25segmented_radix_sort_implIS3_Lb1EPKS5_PS5_PKlPlN2at6native12_GLOBAL__N_18offset_tEEE10hipError_tPvRmT1_PNSt15iterator_traitsISL_E10value_typeET2_T3_PNSM_ISR_E10value_typeET4_jRbjT5_SX_jjP12ihipStream_tbEUlT_E0_NS1_11comp_targetILNS1_3genE10ELNS1_11target_archE1201ELNS1_3gpuE5ELNS1_3repE0EEENS1_60segmented_radix_sort_warp_sort_medium_config_static_selectorELNS0_4arch9wavefront6targetE0EEEvSL_.num_agpr, 0
	.set _ZN7rocprim17ROCPRIM_400000_NS6detail17trampoline_kernelINS0_14default_configENS1_36segmented_radix_sort_config_selectorI12hip_bfloat16lEEZNS1_25segmented_radix_sort_implIS3_Lb1EPKS5_PS5_PKlPlN2at6native12_GLOBAL__N_18offset_tEEE10hipError_tPvRmT1_PNSt15iterator_traitsISL_E10value_typeET2_T3_PNSM_ISR_E10value_typeET4_jRbjT5_SX_jjP12ihipStream_tbEUlT_E0_NS1_11comp_targetILNS1_3genE10ELNS1_11target_archE1201ELNS1_3gpuE5ELNS1_3repE0EEENS1_60segmented_radix_sort_warp_sort_medium_config_static_selectorELNS0_4arch9wavefront6targetE0EEEvSL_.numbered_sgpr, 0
	.set _ZN7rocprim17ROCPRIM_400000_NS6detail17trampoline_kernelINS0_14default_configENS1_36segmented_radix_sort_config_selectorI12hip_bfloat16lEEZNS1_25segmented_radix_sort_implIS3_Lb1EPKS5_PS5_PKlPlN2at6native12_GLOBAL__N_18offset_tEEE10hipError_tPvRmT1_PNSt15iterator_traitsISL_E10value_typeET2_T3_PNSM_ISR_E10value_typeET4_jRbjT5_SX_jjP12ihipStream_tbEUlT_E0_NS1_11comp_targetILNS1_3genE10ELNS1_11target_archE1201ELNS1_3gpuE5ELNS1_3repE0EEENS1_60segmented_radix_sort_warp_sort_medium_config_static_selectorELNS0_4arch9wavefront6targetE0EEEvSL_.num_named_barrier, 0
	.set _ZN7rocprim17ROCPRIM_400000_NS6detail17trampoline_kernelINS0_14default_configENS1_36segmented_radix_sort_config_selectorI12hip_bfloat16lEEZNS1_25segmented_radix_sort_implIS3_Lb1EPKS5_PS5_PKlPlN2at6native12_GLOBAL__N_18offset_tEEE10hipError_tPvRmT1_PNSt15iterator_traitsISL_E10value_typeET2_T3_PNSM_ISR_E10value_typeET4_jRbjT5_SX_jjP12ihipStream_tbEUlT_E0_NS1_11comp_targetILNS1_3genE10ELNS1_11target_archE1201ELNS1_3gpuE5ELNS1_3repE0EEENS1_60segmented_radix_sort_warp_sort_medium_config_static_selectorELNS0_4arch9wavefront6targetE0EEEvSL_.private_seg_size, 0
	.set _ZN7rocprim17ROCPRIM_400000_NS6detail17trampoline_kernelINS0_14default_configENS1_36segmented_radix_sort_config_selectorI12hip_bfloat16lEEZNS1_25segmented_radix_sort_implIS3_Lb1EPKS5_PS5_PKlPlN2at6native12_GLOBAL__N_18offset_tEEE10hipError_tPvRmT1_PNSt15iterator_traitsISL_E10value_typeET2_T3_PNSM_ISR_E10value_typeET4_jRbjT5_SX_jjP12ihipStream_tbEUlT_E0_NS1_11comp_targetILNS1_3genE10ELNS1_11target_archE1201ELNS1_3gpuE5ELNS1_3repE0EEENS1_60segmented_radix_sort_warp_sort_medium_config_static_selectorELNS0_4arch9wavefront6targetE0EEEvSL_.uses_vcc, 0
	.set _ZN7rocprim17ROCPRIM_400000_NS6detail17trampoline_kernelINS0_14default_configENS1_36segmented_radix_sort_config_selectorI12hip_bfloat16lEEZNS1_25segmented_radix_sort_implIS3_Lb1EPKS5_PS5_PKlPlN2at6native12_GLOBAL__N_18offset_tEEE10hipError_tPvRmT1_PNSt15iterator_traitsISL_E10value_typeET2_T3_PNSM_ISR_E10value_typeET4_jRbjT5_SX_jjP12ihipStream_tbEUlT_E0_NS1_11comp_targetILNS1_3genE10ELNS1_11target_archE1201ELNS1_3gpuE5ELNS1_3repE0EEENS1_60segmented_radix_sort_warp_sort_medium_config_static_selectorELNS0_4arch9wavefront6targetE0EEEvSL_.uses_flat_scratch, 0
	.set _ZN7rocprim17ROCPRIM_400000_NS6detail17trampoline_kernelINS0_14default_configENS1_36segmented_radix_sort_config_selectorI12hip_bfloat16lEEZNS1_25segmented_radix_sort_implIS3_Lb1EPKS5_PS5_PKlPlN2at6native12_GLOBAL__N_18offset_tEEE10hipError_tPvRmT1_PNSt15iterator_traitsISL_E10value_typeET2_T3_PNSM_ISR_E10value_typeET4_jRbjT5_SX_jjP12ihipStream_tbEUlT_E0_NS1_11comp_targetILNS1_3genE10ELNS1_11target_archE1201ELNS1_3gpuE5ELNS1_3repE0EEENS1_60segmented_radix_sort_warp_sort_medium_config_static_selectorELNS0_4arch9wavefront6targetE0EEEvSL_.has_dyn_sized_stack, 0
	.set _ZN7rocprim17ROCPRIM_400000_NS6detail17trampoline_kernelINS0_14default_configENS1_36segmented_radix_sort_config_selectorI12hip_bfloat16lEEZNS1_25segmented_radix_sort_implIS3_Lb1EPKS5_PS5_PKlPlN2at6native12_GLOBAL__N_18offset_tEEE10hipError_tPvRmT1_PNSt15iterator_traitsISL_E10value_typeET2_T3_PNSM_ISR_E10value_typeET4_jRbjT5_SX_jjP12ihipStream_tbEUlT_E0_NS1_11comp_targetILNS1_3genE10ELNS1_11target_archE1201ELNS1_3gpuE5ELNS1_3repE0EEENS1_60segmented_radix_sort_warp_sort_medium_config_static_selectorELNS0_4arch9wavefront6targetE0EEEvSL_.has_recursion, 0
	.set _ZN7rocprim17ROCPRIM_400000_NS6detail17trampoline_kernelINS0_14default_configENS1_36segmented_radix_sort_config_selectorI12hip_bfloat16lEEZNS1_25segmented_radix_sort_implIS3_Lb1EPKS5_PS5_PKlPlN2at6native12_GLOBAL__N_18offset_tEEE10hipError_tPvRmT1_PNSt15iterator_traitsISL_E10value_typeET2_T3_PNSM_ISR_E10value_typeET4_jRbjT5_SX_jjP12ihipStream_tbEUlT_E0_NS1_11comp_targetILNS1_3genE10ELNS1_11target_archE1201ELNS1_3gpuE5ELNS1_3repE0EEENS1_60segmented_radix_sort_warp_sort_medium_config_static_selectorELNS0_4arch9wavefront6targetE0EEEvSL_.has_indirect_call, 0
	.section	.AMDGPU.csdata,"",@progbits
; Kernel info:
; codeLenInByte = 0
; TotalNumSgprs: 0
; NumVgprs: 0
; ScratchSize: 0
; MemoryBound: 0
; FloatMode: 240
; IeeeMode: 1
; LDSByteSize: 0 bytes/workgroup (compile time only)
; SGPRBlocks: 0
; VGPRBlocks: 0
; NumSGPRsForWavesPerEU: 1
; NumVGPRsForWavesPerEU: 1
; Occupancy: 16
; WaveLimiterHint : 0
; COMPUTE_PGM_RSRC2:SCRATCH_EN: 0
; COMPUTE_PGM_RSRC2:USER_SGPR: 6
; COMPUTE_PGM_RSRC2:TRAP_HANDLER: 0
; COMPUTE_PGM_RSRC2:TGID_X_EN: 1
; COMPUTE_PGM_RSRC2:TGID_Y_EN: 0
; COMPUTE_PGM_RSRC2:TGID_Z_EN: 0
; COMPUTE_PGM_RSRC2:TIDIG_COMP_CNT: 0
	.section	.text._ZN7rocprim17ROCPRIM_400000_NS6detail17trampoline_kernelINS0_14default_configENS1_36segmented_radix_sort_config_selectorI12hip_bfloat16lEEZNS1_25segmented_radix_sort_implIS3_Lb1EPKS5_PS5_PKlPlN2at6native12_GLOBAL__N_18offset_tEEE10hipError_tPvRmT1_PNSt15iterator_traitsISL_E10value_typeET2_T3_PNSM_ISR_E10value_typeET4_jRbjT5_SX_jjP12ihipStream_tbEUlT_E0_NS1_11comp_targetILNS1_3genE10ELNS1_11target_archE1200ELNS1_3gpuE4ELNS1_3repE0EEENS1_60segmented_radix_sort_warp_sort_medium_config_static_selectorELNS0_4arch9wavefront6targetE0EEEvSL_,"axG",@progbits,_ZN7rocprim17ROCPRIM_400000_NS6detail17trampoline_kernelINS0_14default_configENS1_36segmented_radix_sort_config_selectorI12hip_bfloat16lEEZNS1_25segmented_radix_sort_implIS3_Lb1EPKS5_PS5_PKlPlN2at6native12_GLOBAL__N_18offset_tEEE10hipError_tPvRmT1_PNSt15iterator_traitsISL_E10value_typeET2_T3_PNSM_ISR_E10value_typeET4_jRbjT5_SX_jjP12ihipStream_tbEUlT_E0_NS1_11comp_targetILNS1_3genE10ELNS1_11target_archE1200ELNS1_3gpuE4ELNS1_3repE0EEENS1_60segmented_radix_sort_warp_sort_medium_config_static_selectorELNS0_4arch9wavefront6targetE0EEEvSL_,comdat
	.globl	_ZN7rocprim17ROCPRIM_400000_NS6detail17trampoline_kernelINS0_14default_configENS1_36segmented_radix_sort_config_selectorI12hip_bfloat16lEEZNS1_25segmented_radix_sort_implIS3_Lb1EPKS5_PS5_PKlPlN2at6native12_GLOBAL__N_18offset_tEEE10hipError_tPvRmT1_PNSt15iterator_traitsISL_E10value_typeET2_T3_PNSM_ISR_E10value_typeET4_jRbjT5_SX_jjP12ihipStream_tbEUlT_E0_NS1_11comp_targetILNS1_3genE10ELNS1_11target_archE1200ELNS1_3gpuE4ELNS1_3repE0EEENS1_60segmented_radix_sort_warp_sort_medium_config_static_selectorELNS0_4arch9wavefront6targetE0EEEvSL_ ; -- Begin function _ZN7rocprim17ROCPRIM_400000_NS6detail17trampoline_kernelINS0_14default_configENS1_36segmented_radix_sort_config_selectorI12hip_bfloat16lEEZNS1_25segmented_radix_sort_implIS3_Lb1EPKS5_PS5_PKlPlN2at6native12_GLOBAL__N_18offset_tEEE10hipError_tPvRmT1_PNSt15iterator_traitsISL_E10value_typeET2_T3_PNSM_ISR_E10value_typeET4_jRbjT5_SX_jjP12ihipStream_tbEUlT_E0_NS1_11comp_targetILNS1_3genE10ELNS1_11target_archE1200ELNS1_3gpuE4ELNS1_3repE0EEENS1_60segmented_radix_sort_warp_sort_medium_config_static_selectorELNS0_4arch9wavefront6targetE0EEEvSL_
	.p2align	8
	.type	_ZN7rocprim17ROCPRIM_400000_NS6detail17trampoline_kernelINS0_14default_configENS1_36segmented_radix_sort_config_selectorI12hip_bfloat16lEEZNS1_25segmented_radix_sort_implIS3_Lb1EPKS5_PS5_PKlPlN2at6native12_GLOBAL__N_18offset_tEEE10hipError_tPvRmT1_PNSt15iterator_traitsISL_E10value_typeET2_T3_PNSM_ISR_E10value_typeET4_jRbjT5_SX_jjP12ihipStream_tbEUlT_E0_NS1_11comp_targetILNS1_3genE10ELNS1_11target_archE1200ELNS1_3gpuE4ELNS1_3repE0EEENS1_60segmented_radix_sort_warp_sort_medium_config_static_selectorELNS0_4arch9wavefront6targetE0EEEvSL_,@function
_ZN7rocprim17ROCPRIM_400000_NS6detail17trampoline_kernelINS0_14default_configENS1_36segmented_radix_sort_config_selectorI12hip_bfloat16lEEZNS1_25segmented_radix_sort_implIS3_Lb1EPKS5_PS5_PKlPlN2at6native12_GLOBAL__N_18offset_tEEE10hipError_tPvRmT1_PNSt15iterator_traitsISL_E10value_typeET2_T3_PNSM_ISR_E10value_typeET4_jRbjT5_SX_jjP12ihipStream_tbEUlT_E0_NS1_11comp_targetILNS1_3genE10ELNS1_11target_archE1200ELNS1_3gpuE4ELNS1_3repE0EEENS1_60segmented_radix_sort_warp_sort_medium_config_static_selectorELNS0_4arch9wavefront6targetE0EEEvSL_: ; @_ZN7rocprim17ROCPRIM_400000_NS6detail17trampoline_kernelINS0_14default_configENS1_36segmented_radix_sort_config_selectorI12hip_bfloat16lEEZNS1_25segmented_radix_sort_implIS3_Lb1EPKS5_PS5_PKlPlN2at6native12_GLOBAL__N_18offset_tEEE10hipError_tPvRmT1_PNSt15iterator_traitsISL_E10value_typeET2_T3_PNSM_ISR_E10value_typeET4_jRbjT5_SX_jjP12ihipStream_tbEUlT_E0_NS1_11comp_targetILNS1_3genE10ELNS1_11target_archE1200ELNS1_3gpuE4ELNS1_3repE0EEENS1_60segmented_radix_sort_warp_sort_medium_config_static_selectorELNS0_4arch9wavefront6targetE0EEEvSL_
; %bb.0:
	.section	.rodata,"a",@progbits
	.p2align	6, 0x0
	.amdhsa_kernel _ZN7rocprim17ROCPRIM_400000_NS6detail17trampoline_kernelINS0_14default_configENS1_36segmented_radix_sort_config_selectorI12hip_bfloat16lEEZNS1_25segmented_radix_sort_implIS3_Lb1EPKS5_PS5_PKlPlN2at6native12_GLOBAL__N_18offset_tEEE10hipError_tPvRmT1_PNSt15iterator_traitsISL_E10value_typeET2_T3_PNSM_ISR_E10value_typeET4_jRbjT5_SX_jjP12ihipStream_tbEUlT_E0_NS1_11comp_targetILNS1_3genE10ELNS1_11target_archE1200ELNS1_3gpuE4ELNS1_3repE0EEENS1_60segmented_radix_sort_warp_sort_medium_config_static_selectorELNS0_4arch9wavefront6targetE0EEEvSL_
		.amdhsa_group_segment_fixed_size 0
		.amdhsa_private_segment_fixed_size 0
		.amdhsa_kernarg_size 88
		.amdhsa_user_sgpr_count 6
		.amdhsa_user_sgpr_private_segment_buffer 1
		.amdhsa_user_sgpr_dispatch_ptr 0
		.amdhsa_user_sgpr_queue_ptr 0
		.amdhsa_user_sgpr_kernarg_segment_ptr 1
		.amdhsa_user_sgpr_dispatch_id 0
		.amdhsa_user_sgpr_flat_scratch_init 0
		.amdhsa_user_sgpr_private_segment_size 0
		.amdhsa_wavefront_size32 1
		.amdhsa_uses_dynamic_stack 0
		.amdhsa_system_sgpr_private_segment_wavefront_offset 0
		.amdhsa_system_sgpr_workgroup_id_x 1
		.amdhsa_system_sgpr_workgroup_id_y 0
		.amdhsa_system_sgpr_workgroup_id_z 0
		.amdhsa_system_sgpr_workgroup_info 0
		.amdhsa_system_vgpr_workitem_id 0
		.amdhsa_next_free_vgpr 1
		.amdhsa_next_free_sgpr 1
		.amdhsa_reserve_vcc 0
		.amdhsa_reserve_flat_scratch 0
		.amdhsa_float_round_mode_32 0
		.amdhsa_float_round_mode_16_64 0
		.amdhsa_float_denorm_mode_32 3
		.amdhsa_float_denorm_mode_16_64 3
		.amdhsa_dx10_clamp 1
		.amdhsa_ieee_mode 1
		.amdhsa_fp16_overflow 0
		.amdhsa_workgroup_processor_mode 1
		.amdhsa_memory_ordered 1
		.amdhsa_forward_progress 1
		.amdhsa_shared_vgpr_count 0
		.amdhsa_exception_fp_ieee_invalid_op 0
		.amdhsa_exception_fp_denorm_src 0
		.amdhsa_exception_fp_ieee_div_zero 0
		.amdhsa_exception_fp_ieee_overflow 0
		.amdhsa_exception_fp_ieee_underflow 0
		.amdhsa_exception_fp_ieee_inexact 0
		.amdhsa_exception_int_div_zero 0
	.end_amdhsa_kernel
	.section	.text._ZN7rocprim17ROCPRIM_400000_NS6detail17trampoline_kernelINS0_14default_configENS1_36segmented_radix_sort_config_selectorI12hip_bfloat16lEEZNS1_25segmented_radix_sort_implIS3_Lb1EPKS5_PS5_PKlPlN2at6native12_GLOBAL__N_18offset_tEEE10hipError_tPvRmT1_PNSt15iterator_traitsISL_E10value_typeET2_T3_PNSM_ISR_E10value_typeET4_jRbjT5_SX_jjP12ihipStream_tbEUlT_E0_NS1_11comp_targetILNS1_3genE10ELNS1_11target_archE1200ELNS1_3gpuE4ELNS1_3repE0EEENS1_60segmented_radix_sort_warp_sort_medium_config_static_selectorELNS0_4arch9wavefront6targetE0EEEvSL_,"axG",@progbits,_ZN7rocprim17ROCPRIM_400000_NS6detail17trampoline_kernelINS0_14default_configENS1_36segmented_radix_sort_config_selectorI12hip_bfloat16lEEZNS1_25segmented_radix_sort_implIS3_Lb1EPKS5_PS5_PKlPlN2at6native12_GLOBAL__N_18offset_tEEE10hipError_tPvRmT1_PNSt15iterator_traitsISL_E10value_typeET2_T3_PNSM_ISR_E10value_typeET4_jRbjT5_SX_jjP12ihipStream_tbEUlT_E0_NS1_11comp_targetILNS1_3genE10ELNS1_11target_archE1200ELNS1_3gpuE4ELNS1_3repE0EEENS1_60segmented_radix_sort_warp_sort_medium_config_static_selectorELNS0_4arch9wavefront6targetE0EEEvSL_,comdat
.Lfunc_end1952:
	.size	_ZN7rocprim17ROCPRIM_400000_NS6detail17trampoline_kernelINS0_14default_configENS1_36segmented_radix_sort_config_selectorI12hip_bfloat16lEEZNS1_25segmented_radix_sort_implIS3_Lb1EPKS5_PS5_PKlPlN2at6native12_GLOBAL__N_18offset_tEEE10hipError_tPvRmT1_PNSt15iterator_traitsISL_E10value_typeET2_T3_PNSM_ISR_E10value_typeET4_jRbjT5_SX_jjP12ihipStream_tbEUlT_E0_NS1_11comp_targetILNS1_3genE10ELNS1_11target_archE1200ELNS1_3gpuE4ELNS1_3repE0EEENS1_60segmented_radix_sort_warp_sort_medium_config_static_selectorELNS0_4arch9wavefront6targetE0EEEvSL_, .Lfunc_end1952-_ZN7rocprim17ROCPRIM_400000_NS6detail17trampoline_kernelINS0_14default_configENS1_36segmented_radix_sort_config_selectorI12hip_bfloat16lEEZNS1_25segmented_radix_sort_implIS3_Lb1EPKS5_PS5_PKlPlN2at6native12_GLOBAL__N_18offset_tEEE10hipError_tPvRmT1_PNSt15iterator_traitsISL_E10value_typeET2_T3_PNSM_ISR_E10value_typeET4_jRbjT5_SX_jjP12ihipStream_tbEUlT_E0_NS1_11comp_targetILNS1_3genE10ELNS1_11target_archE1200ELNS1_3gpuE4ELNS1_3repE0EEENS1_60segmented_radix_sort_warp_sort_medium_config_static_selectorELNS0_4arch9wavefront6targetE0EEEvSL_
                                        ; -- End function
	.set _ZN7rocprim17ROCPRIM_400000_NS6detail17trampoline_kernelINS0_14default_configENS1_36segmented_radix_sort_config_selectorI12hip_bfloat16lEEZNS1_25segmented_radix_sort_implIS3_Lb1EPKS5_PS5_PKlPlN2at6native12_GLOBAL__N_18offset_tEEE10hipError_tPvRmT1_PNSt15iterator_traitsISL_E10value_typeET2_T3_PNSM_ISR_E10value_typeET4_jRbjT5_SX_jjP12ihipStream_tbEUlT_E0_NS1_11comp_targetILNS1_3genE10ELNS1_11target_archE1200ELNS1_3gpuE4ELNS1_3repE0EEENS1_60segmented_radix_sort_warp_sort_medium_config_static_selectorELNS0_4arch9wavefront6targetE0EEEvSL_.num_vgpr, 0
	.set _ZN7rocprim17ROCPRIM_400000_NS6detail17trampoline_kernelINS0_14default_configENS1_36segmented_radix_sort_config_selectorI12hip_bfloat16lEEZNS1_25segmented_radix_sort_implIS3_Lb1EPKS5_PS5_PKlPlN2at6native12_GLOBAL__N_18offset_tEEE10hipError_tPvRmT1_PNSt15iterator_traitsISL_E10value_typeET2_T3_PNSM_ISR_E10value_typeET4_jRbjT5_SX_jjP12ihipStream_tbEUlT_E0_NS1_11comp_targetILNS1_3genE10ELNS1_11target_archE1200ELNS1_3gpuE4ELNS1_3repE0EEENS1_60segmented_radix_sort_warp_sort_medium_config_static_selectorELNS0_4arch9wavefront6targetE0EEEvSL_.num_agpr, 0
	.set _ZN7rocprim17ROCPRIM_400000_NS6detail17trampoline_kernelINS0_14default_configENS1_36segmented_radix_sort_config_selectorI12hip_bfloat16lEEZNS1_25segmented_radix_sort_implIS3_Lb1EPKS5_PS5_PKlPlN2at6native12_GLOBAL__N_18offset_tEEE10hipError_tPvRmT1_PNSt15iterator_traitsISL_E10value_typeET2_T3_PNSM_ISR_E10value_typeET4_jRbjT5_SX_jjP12ihipStream_tbEUlT_E0_NS1_11comp_targetILNS1_3genE10ELNS1_11target_archE1200ELNS1_3gpuE4ELNS1_3repE0EEENS1_60segmented_radix_sort_warp_sort_medium_config_static_selectorELNS0_4arch9wavefront6targetE0EEEvSL_.numbered_sgpr, 0
	.set _ZN7rocprim17ROCPRIM_400000_NS6detail17trampoline_kernelINS0_14default_configENS1_36segmented_radix_sort_config_selectorI12hip_bfloat16lEEZNS1_25segmented_radix_sort_implIS3_Lb1EPKS5_PS5_PKlPlN2at6native12_GLOBAL__N_18offset_tEEE10hipError_tPvRmT1_PNSt15iterator_traitsISL_E10value_typeET2_T3_PNSM_ISR_E10value_typeET4_jRbjT5_SX_jjP12ihipStream_tbEUlT_E0_NS1_11comp_targetILNS1_3genE10ELNS1_11target_archE1200ELNS1_3gpuE4ELNS1_3repE0EEENS1_60segmented_radix_sort_warp_sort_medium_config_static_selectorELNS0_4arch9wavefront6targetE0EEEvSL_.num_named_barrier, 0
	.set _ZN7rocprim17ROCPRIM_400000_NS6detail17trampoline_kernelINS0_14default_configENS1_36segmented_radix_sort_config_selectorI12hip_bfloat16lEEZNS1_25segmented_radix_sort_implIS3_Lb1EPKS5_PS5_PKlPlN2at6native12_GLOBAL__N_18offset_tEEE10hipError_tPvRmT1_PNSt15iterator_traitsISL_E10value_typeET2_T3_PNSM_ISR_E10value_typeET4_jRbjT5_SX_jjP12ihipStream_tbEUlT_E0_NS1_11comp_targetILNS1_3genE10ELNS1_11target_archE1200ELNS1_3gpuE4ELNS1_3repE0EEENS1_60segmented_radix_sort_warp_sort_medium_config_static_selectorELNS0_4arch9wavefront6targetE0EEEvSL_.private_seg_size, 0
	.set _ZN7rocprim17ROCPRIM_400000_NS6detail17trampoline_kernelINS0_14default_configENS1_36segmented_radix_sort_config_selectorI12hip_bfloat16lEEZNS1_25segmented_radix_sort_implIS3_Lb1EPKS5_PS5_PKlPlN2at6native12_GLOBAL__N_18offset_tEEE10hipError_tPvRmT1_PNSt15iterator_traitsISL_E10value_typeET2_T3_PNSM_ISR_E10value_typeET4_jRbjT5_SX_jjP12ihipStream_tbEUlT_E0_NS1_11comp_targetILNS1_3genE10ELNS1_11target_archE1200ELNS1_3gpuE4ELNS1_3repE0EEENS1_60segmented_radix_sort_warp_sort_medium_config_static_selectorELNS0_4arch9wavefront6targetE0EEEvSL_.uses_vcc, 0
	.set _ZN7rocprim17ROCPRIM_400000_NS6detail17trampoline_kernelINS0_14default_configENS1_36segmented_radix_sort_config_selectorI12hip_bfloat16lEEZNS1_25segmented_radix_sort_implIS3_Lb1EPKS5_PS5_PKlPlN2at6native12_GLOBAL__N_18offset_tEEE10hipError_tPvRmT1_PNSt15iterator_traitsISL_E10value_typeET2_T3_PNSM_ISR_E10value_typeET4_jRbjT5_SX_jjP12ihipStream_tbEUlT_E0_NS1_11comp_targetILNS1_3genE10ELNS1_11target_archE1200ELNS1_3gpuE4ELNS1_3repE0EEENS1_60segmented_radix_sort_warp_sort_medium_config_static_selectorELNS0_4arch9wavefront6targetE0EEEvSL_.uses_flat_scratch, 0
	.set _ZN7rocprim17ROCPRIM_400000_NS6detail17trampoline_kernelINS0_14default_configENS1_36segmented_radix_sort_config_selectorI12hip_bfloat16lEEZNS1_25segmented_radix_sort_implIS3_Lb1EPKS5_PS5_PKlPlN2at6native12_GLOBAL__N_18offset_tEEE10hipError_tPvRmT1_PNSt15iterator_traitsISL_E10value_typeET2_T3_PNSM_ISR_E10value_typeET4_jRbjT5_SX_jjP12ihipStream_tbEUlT_E0_NS1_11comp_targetILNS1_3genE10ELNS1_11target_archE1200ELNS1_3gpuE4ELNS1_3repE0EEENS1_60segmented_radix_sort_warp_sort_medium_config_static_selectorELNS0_4arch9wavefront6targetE0EEEvSL_.has_dyn_sized_stack, 0
	.set _ZN7rocprim17ROCPRIM_400000_NS6detail17trampoline_kernelINS0_14default_configENS1_36segmented_radix_sort_config_selectorI12hip_bfloat16lEEZNS1_25segmented_radix_sort_implIS3_Lb1EPKS5_PS5_PKlPlN2at6native12_GLOBAL__N_18offset_tEEE10hipError_tPvRmT1_PNSt15iterator_traitsISL_E10value_typeET2_T3_PNSM_ISR_E10value_typeET4_jRbjT5_SX_jjP12ihipStream_tbEUlT_E0_NS1_11comp_targetILNS1_3genE10ELNS1_11target_archE1200ELNS1_3gpuE4ELNS1_3repE0EEENS1_60segmented_radix_sort_warp_sort_medium_config_static_selectorELNS0_4arch9wavefront6targetE0EEEvSL_.has_recursion, 0
	.set _ZN7rocprim17ROCPRIM_400000_NS6detail17trampoline_kernelINS0_14default_configENS1_36segmented_radix_sort_config_selectorI12hip_bfloat16lEEZNS1_25segmented_radix_sort_implIS3_Lb1EPKS5_PS5_PKlPlN2at6native12_GLOBAL__N_18offset_tEEE10hipError_tPvRmT1_PNSt15iterator_traitsISL_E10value_typeET2_T3_PNSM_ISR_E10value_typeET4_jRbjT5_SX_jjP12ihipStream_tbEUlT_E0_NS1_11comp_targetILNS1_3genE10ELNS1_11target_archE1200ELNS1_3gpuE4ELNS1_3repE0EEENS1_60segmented_radix_sort_warp_sort_medium_config_static_selectorELNS0_4arch9wavefront6targetE0EEEvSL_.has_indirect_call, 0
	.section	.AMDGPU.csdata,"",@progbits
; Kernel info:
; codeLenInByte = 0
; TotalNumSgprs: 0
; NumVgprs: 0
; ScratchSize: 0
; MemoryBound: 0
; FloatMode: 240
; IeeeMode: 1
; LDSByteSize: 0 bytes/workgroup (compile time only)
; SGPRBlocks: 0
; VGPRBlocks: 0
; NumSGPRsForWavesPerEU: 1
; NumVGPRsForWavesPerEU: 1
; Occupancy: 16
; WaveLimiterHint : 0
; COMPUTE_PGM_RSRC2:SCRATCH_EN: 0
; COMPUTE_PGM_RSRC2:USER_SGPR: 6
; COMPUTE_PGM_RSRC2:TRAP_HANDLER: 0
; COMPUTE_PGM_RSRC2:TGID_X_EN: 1
; COMPUTE_PGM_RSRC2:TGID_Y_EN: 0
; COMPUTE_PGM_RSRC2:TGID_Z_EN: 0
; COMPUTE_PGM_RSRC2:TIDIG_COMP_CNT: 0
	.section	.text._ZN7rocprim17ROCPRIM_400000_NS6detail17trampoline_kernelINS0_14default_configENS1_36segmented_radix_sort_config_selectorI12hip_bfloat16lEEZNS1_25segmented_radix_sort_implIS3_Lb1EPKS5_PS5_PKlPlN2at6native12_GLOBAL__N_18offset_tEEE10hipError_tPvRmT1_PNSt15iterator_traitsISL_E10value_typeET2_T3_PNSM_ISR_E10value_typeET4_jRbjT5_SX_jjP12ihipStream_tbEUlT_E0_NS1_11comp_targetILNS1_3genE9ELNS1_11target_archE1100ELNS1_3gpuE3ELNS1_3repE0EEENS1_60segmented_radix_sort_warp_sort_medium_config_static_selectorELNS0_4arch9wavefront6targetE0EEEvSL_,"axG",@progbits,_ZN7rocprim17ROCPRIM_400000_NS6detail17trampoline_kernelINS0_14default_configENS1_36segmented_radix_sort_config_selectorI12hip_bfloat16lEEZNS1_25segmented_radix_sort_implIS3_Lb1EPKS5_PS5_PKlPlN2at6native12_GLOBAL__N_18offset_tEEE10hipError_tPvRmT1_PNSt15iterator_traitsISL_E10value_typeET2_T3_PNSM_ISR_E10value_typeET4_jRbjT5_SX_jjP12ihipStream_tbEUlT_E0_NS1_11comp_targetILNS1_3genE9ELNS1_11target_archE1100ELNS1_3gpuE3ELNS1_3repE0EEENS1_60segmented_radix_sort_warp_sort_medium_config_static_selectorELNS0_4arch9wavefront6targetE0EEEvSL_,comdat
	.globl	_ZN7rocprim17ROCPRIM_400000_NS6detail17trampoline_kernelINS0_14default_configENS1_36segmented_radix_sort_config_selectorI12hip_bfloat16lEEZNS1_25segmented_radix_sort_implIS3_Lb1EPKS5_PS5_PKlPlN2at6native12_GLOBAL__N_18offset_tEEE10hipError_tPvRmT1_PNSt15iterator_traitsISL_E10value_typeET2_T3_PNSM_ISR_E10value_typeET4_jRbjT5_SX_jjP12ihipStream_tbEUlT_E0_NS1_11comp_targetILNS1_3genE9ELNS1_11target_archE1100ELNS1_3gpuE3ELNS1_3repE0EEENS1_60segmented_radix_sort_warp_sort_medium_config_static_selectorELNS0_4arch9wavefront6targetE0EEEvSL_ ; -- Begin function _ZN7rocprim17ROCPRIM_400000_NS6detail17trampoline_kernelINS0_14default_configENS1_36segmented_radix_sort_config_selectorI12hip_bfloat16lEEZNS1_25segmented_radix_sort_implIS3_Lb1EPKS5_PS5_PKlPlN2at6native12_GLOBAL__N_18offset_tEEE10hipError_tPvRmT1_PNSt15iterator_traitsISL_E10value_typeET2_T3_PNSM_ISR_E10value_typeET4_jRbjT5_SX_jjP12ihipStream_tbEUlT_E0_NS1_11comp_targetILNS1_3genE9ELNS1_11target_archE1100ELNS1_3gpuE3ELNS1_3repE0EEENS1_60segmented_radix_sort_warp_sort_medium_config_static_selectorELNS0_4arch9wavefront6targetE0EEEvSL_
	.p2align	8
	.type	_ZN7rocprim17ROCPRIM_400000_NS6detail17trampoline_kernelINS0_14default_configENS1_36segmented_radix_sort_config_selectorI12hip_bfloat16lEEZNS1_25segmented_radix_sort_implIS3_Lb1EPKS5_PS5_PKlPlN2at6native12_GLOBAL__N_18offset_tEEE10hipError_tPvRmT1_PNSt15iterator_traitsISL_E10value_typeET2_T3_PNSM_ISR_E10value_typeET4_jRbjT5_SX_jjP12ihipStream_tbEUlT_E0_NS1_11comp_targetILNS1_3genE9ELNS1_11target_archE1100ELNS1_3gpuE3ELNS1_3repE0EEENS1_60segmented_radix_sort_warp_sort_medium_config_static_selectorELNS0_4arch9wavefront6targetE0EEEvSL_,@function
_ZN7rocprim17ROCPRIM_400000_NS6detail17trampoline_kernelINS0_14default_configENS1_36segmented_radix_sort_config_selectorI12hip_bfloat16lEEZNS1_25segmented_radix_sort_implIS3_Lb1EPKS5_PS5_PKlPlN2at6native12_GLOBAL__N_18offset_tEEE10hipError_tPvRmT1_PNSt15iterator_traitsISL_E10value_typeET2_T3_PNSM_ISR_E10value_typeET4_jRbjT5_SX_jjP12ihipStream_tbEUlT_E0_NS1_11comp_targetILNS1_3genE9ELNS1_11target_archE1100ELNS1_3gpuE3ELNS1_3repE0EEENS1_60segmented_radix_sort_warp_sort_medium_config_static_selectorELNS0_4arch9wavefront6targetE0EEEvSL_: ; @_ZN7rocprim17ROCPRIM_400000_NS6detail17trampoline_kernelINS0_14default_configENS1_36segmented_radix_sort_config_selectorI12hip_bfloat16lEEZNS1_25segmented_radix_sort_implIS3_Lb1EPKS5_PS5_PKlPlN2at6native12_GLOBAL__N_18offset_tEEE10hipError_tPvRmT1_PNSt15iterator_traitsISL_E10value_typeET2_T3_PNSM_ISR_E10value_typeET4_jRbjT5_SX_jjP12ihipStream_tbEUlT_E0_NS1_11comp_targetILNS1_3genE9ELNS1_11target_archE1100ELNS1_3gpuE3ELNS1_3repE0EEENS1_60segmented_radix_sort_warp_sort_medium_config_static_selectorELNS0_4arch9wavefront6targetE0EEEvSL_
; %bb.0:
	.section	.rodata,"a",@progbits
	.p2align	6, 0x0
	.amdhsa_kernel _ZN7rocprim17ROCPRIM_400000_NS6detail17trampoline_kernelINS0_14default_configENS1_36segmented_radix_sort_config_selectorI12hip_bfloat16lEEZNS1_25segmented_radix_sort_implIS3_Lb1EPKS5_PS5_PKlPlN2at6native12_GLOBAL__N_18offset_tEEE10hipError_tPvRmT1_PNSt15iterator_traitsISL_E10value_typeET2_T3_PNSM_ISR_E10value_typeET4_jRbjT5_SX_jjP12ihipStream_tbEUlT_E0_NS1_11comp_targetILNS1_3genE9ELNS1_11target_archE1100ELNS1_3gpuE3ELNS1_3repE0EEENS1_60segmented_radix_sort_warp_sort_medium_config_static_selectorELNS0_4arch9wavefront6targetE0EEEvSL_
		.amdhsa_group_segment_fixed_size 0
		.amdhsa_private_segment_fixed_size 0
		.amdhsa_kernarg_size 88
		.amdhsa_user_sgpr_count 6
		.amdhsa_user_sgpr_private_segment_buffer 1
		.amdhsa_user_sgpr_dispatch_ptr 0
		.amdhsa_user_sgpr_queue_ptr 0
		.amdhsa_user_sgpr_kernarg_segment_ptr 1
		.amdhsa_user_sgpr_dispatch_id 0
		.amdhsa_user_sgpr_flat_scratch_init 0
		.amdhsa_user_sgpr_private_segment_size 0
		.amdhsa_wavefront_size32 1
		.amdhsa_uses_dynamic_stack 0
		.amdhsa_system_sgpr_private_segment_wavefront_offset 0
		.amdhsa_system_sgpr_workgroup_id_x 1
		.amdhsa_system_sgpr_workgroup_id_y 0
		.amdhsa_system_sgpr_workgroup_id_z 0
		.amdhsa_system_sgpr_workgroup_info 0
		.amdhsa_system_vgpr_workitem_id 0
		.amdhsa_next_free_vgpr 1
		.amdhsa_next_free_sgpr 1
		.amdhsa_reserve_vcc 0
		.amdhsa_reserve_flat_scratch 0
		.amdhsa_float_round_mode_32 0
		.amdhsa_float_round_mode_16_64 0
		.amdhsa_float_denorm_mode_32 3
		.amdhsa_float_denorm_mode_16_64 3
		.amdhsa_dx10_clamp 1
		.amdhsa_ieee_mode 1
		.amdhsa_fp16_overflow 0
		.amdhsa_workgroup_processor_mode 1
		.amdhsa_memory_ordered 1
		.amdhsa_forward_progress 1
		.amdhsa_shared_vgpr_count 0
		.amdhsa_exception_fp_ieee_invalid_op 0
		.amdhsa_exception_fp_denorm_src 0
		.amdhsa_exception_fp_ieee_div_zero 0
		.amdhsa_exception_fp_ieee_overflow 0
		.amdhsa_exception_fp_ieee_underflow 0
		.amdhsa_exception_fp_ieee_inexact 0
		.amdhsa_exception_int_div_zero 0
	.end_amdhsa_kernel
	.section	.text._ZN7rocprim17ROCPRIM_400000_NS6detail17trampoline_kernelINS0_14default_configENS1_36segmented_radix_sort_config_selectorI12hip_bfloat16lEEZNS1_25segmented_radix_sort_implIS3_Lb1EPKS5_PS5_PKlPlN2at6native12_GLOBAL__N_18offset_tEEE10hipError_tPvRmT1_PNSt15iterator_traitsISL_E10value_typeET2_T3_PNSM_ISR_E10value_typeET4_jRbjT5_SX_jjP12ihipStream_tbEUlT_E0_NS1_11comp_targetILNS1_3genE9ELNS1_11target_archE1100ELNS1_3gpuE3ELNS1_3repE0EEENS1_60segmented_radix_sort_warp_sort_medium_config_static_selectorELNS0_4arch9wavefront6targetE0EEEvSL_,"axG",@progbits,_ZN7rocprim17ROCPRIM_400000_NS6detail17trampoline_kernelINS0_14default_configENS1_36segmented_radix_sort_config_selectorI12hip_bfloat16lEEZNS1_25segmented_radix_sort_implIS3_Lb1EPKS5_PS5_PKlPlN2at6native12_GLOBAL__N_18offset_tEEE10hipError_tPvRmT1_PNSt15iterator_traitsISL_E10value_typeET2_T3_PNSM_ISR_E10value_typeET4_jRbjT5_SX_jjP12ihipStream_tbEUlT_E0_NS1_11comp_targetILNS1_3genE9ELNS1_11target_archE1100ELNS1_3gpuE3ELNS1_3repE0EEENS1_60segmented_radix_sort_warp_sort_medium_config_static_selectorELNS0_4arch9wavefront6targetE0EEEvSL_,comdat
.Lfunc_end1953:
	.size	_ZN7rocprim17ROCPRIM_400000_NS6detail17trampoline_kernelINS0_14default_configENS1_36segmented_radix_sort_config_selectorI12hip_bfloat16lEEZNS1_25segmented_radix_sort_implIS3_Lb1EPKS5_PS5_PKlPlN2at6native12_GLOBAL__N_18offset_tEEE10hipError_tPvRmT1_PNSt15iterator_traitsISL_E10value_typeET2_T3_PNSM_ISR_E10value_typeET4_jRbjT5_SX_jjP12ihipStream_tbEUlT_E0_NS1_11comp_targetILNS1_3genE9ELNS1_11target_archE1100ELNS1_3gpuE3ELNS1_3repE0EEENS1_60segmented_radix_sort_warp_sort_medium_config_static_selectorELNS0_4arch9wavefront6targetE0EEEvSL_, .Lfunc_end1953-_ZN7rocprim17ROCPRIM_400000_NS6detail17trampoline_kernelINS0_14default_configENS1_36segmented_radix_sort_config_selectorI12hip_bfloat16lEEZNS1_25segmented_radix_sort_implIS3_Lb1EPKS5_PS5_PKlPlN2at6native12_GLOBAL__N_18offset_tEEE10hipError_tPvRmT1_PNSt15iterator_traitsISL_E10value_typeET2_T3_PNSM_ISR_E10value_typeET4_jRbjT5_SX_jjP12ihipStream_tbEUlT_E0_NS1_11comp_targetILNS1_3genE9ELNS1_11target_archE1100ELNS1_3gpuE3ELNS1_3repE0EEENS1_60segmented_radix_sort_warp_sort_medium_config_static_selectorELNS0_4arch9wavefront6targetE0EEEvSL_
                                        ; -- End function
	.set _ZN7rocprim17ROCPRIM_400000_NS6detail17trampoline_kernelINS0_14default_configENS1_36segmented_radix_sort_config_selectorI12hip_bfloat16lEEZNS1_25segmented_radix_sort_implIS3_Lb1EPKS5_PS5_PKlPlN2at6native12_GLOBAL__N_18offset_tEEE10hipError_tPvRmT1_PNSt15iterator_traitsISL_E10value_typeET2_T3_PNSM_ISR_E10value_typeET4_jRbjT5_SX_jjP12ihipStream_tbEUlT_E0_NS1_11comp_targetILNS1_3genE9ELNS1_11target_archE1100ELNS1_3gpuE3ELNS1_3repE0EEENS1_60segmented_radix_sort_warp_sort_medium_config_static_selectorELNS0_4arch9wavefront6targetE0EEEvSL_.num_vgpr, 0
	.set _ZN7rocprim17ROCPRIM_400000_NS6detail17trampoline_kernelINS0_14default_configENS1_36segmented_radix_sort_config_selectorI12hip_bfloat16lEEZNS1_25segmented_radix_sort_implIS3_Lb1EPKS5_PS5_PKlPlN2at6native12_GLOBAL__N_18offset_tEEE10hipError_tPvRmT1_PNSt15iterator_traitsISL_E10value_typeET2_T3_PNSM_ISR_E10value_typeET4_jRbjT5_SX_jjP12ihipStream_tbEUlT_E0_NS1_11comp_targetILNS1_3genE9ELNS1_11target_archE1100ELNS1_3gpuE3ELNS1_3repE0EEENS1_60segmented_radix_sort_warp_sort_medium_config_static_selectorELNS0_4arch9wavefront6targetE0EEEvSL_.num_agpr, 0
	.set _ZN7rocprim17ROCPRIM_400000_NS6detail17trampoline_kernelINS0_14default_configENS1_36segmented_radix_sort_config_selectorI12hip_bfloat16lEEZNS1_25segmented_radix_sort_implIS3_Lb1EPKS5_PS5_PKlPlN2at6native12_GLOBAL__N_18offset_tEEE10hipError_tPvRmT1_PNSt15iterator_traitsISL_E10value_typeET2_T3_PNSM_ISR_E10value_typeET4_jRbjT5_SX_jjP12ihipStream_tbEUlT_E0_NS1_11comp_targetILNS1_3genE9ELNS1_11target_archE1100ELNS1_3gpuE3ELNS1_3repE0EEENS1_60segmented_radix_sort_warp_sort_medium_config_static_selectorELNS0_4arch9wavefront6targetE0EEEvSL_.numbered_sgpr, 0
	.set _ZN7rocprim17ROCPRIM_400000_NS6detail17trampoline_kernelINS0_14default_configENS1_36segmented_radix_sort_config_selectorI12hip_bfloat16lEEZNS1_25segmented_radix_sort_implIS3_Lb1EPKS5_PS5_PKlPlN2at6native12_GLOBAL__N_18offset_tEEE10hipError_tPvRmT1_PNSt15iterator_traitsISL_E10value_typeET2_T3_PNSM_ISR_E10value_typeET4_jRbjT5_SX_jjP12ihipStream_tbEUlT_E0_NS1_11comp_targetILNS1_3genE9ELNS1_11target_archE1100ELNS1_3gpuE3ELNS1_3repE0EEENS1_60segmented_radix_sort_warp_sort_medium_config_static_selectorELNS0_4arch9wavefront6targetE0EEEvSL_.num_named_barrier, 0
	.set _ZN7rocprim17ROCPRIM_400000_NS6detail17trampoline_kernelINS0_14default_configENS1_36segmented_radix_sort_config_selectorI12hip_bfloat16lEEZNS1_25segmented_radix_sort_implIS3_Lb1EPKS5_PS5_PKlPlN2at6native12_GLOBAL__N_18offset_tEEE10hipError_tPvRmT1_PNSt15iterator_traitsISL_E10value_typeET2_T3_PNSM_ISR_E10value_typeET4_jRbjT5_SX_jjP12ihipStream_tbEUlT_E0_NS1_11comp_targetILNS1_3genE9ELNS1_11target_archE1100ELNS1_3gpuE3ELNS1_3repE0EEENS1_60segmented_radix_sort_warp_sort_medium_config_static_selectorELNS0_4arch9wavefront6targetE0EEEvSL_.private_seg_size, 0
	.set _ZN7rocprim17ROCPRIM_400000_NS6detail17trampoline_kernelINS0_14default_configENS1_36segmented_radix_sort_config_selectorI12hip_bfloat16lEEZNS1_25segmented_radix_sort_implIS3_Lb1EPKS5_PS5_PKlPlN2at6native12_GLOBAL__N_18offset_tEEE10hipError_tPvRmT1_PNSt15iterator_traitsISL_E10value_typeET2_T3_PNSM_ISR_E10value_typeET4_jRbjT5_SX_jjP12ihipStream_tbEUlT_E0_NS1_11comp_targetILNS1_3genE9ELNS1_11target_archE1100ELNS1_3gpuE3ELNS1_3repE0EEENS1_60segmented_radix_sort_warp_sort_medium_config_static_selectorELNS0_4arch9wavefront6targetE0EEEvSL_.uses_vcc, 0
	.set _ZN7rocprim17ROCPRIM_400000_NS6detail17trampoline_kernelINS0_14default_configENS1_36segmented_radix_sort_config_selectorI12hip_bfloat16lEEZNS1_25segmented_radix_sort_implIS3_Lb1EPKS5_PS5_PKlPlN2at6native12_GLOBAL__N_18offset_tEEE10hipError_tPvRmT1_PNSt15iterator_traitsISL_E10value_typeET2_T3_PNSM_ISR_E10value_typeET4_jRbjT5_SX_jjP12ihipStream_tbEUlT_E0_NS1_11comp_targetILNS1_3genE9ELNS1_11target_archE1100ELNS1_3gpuE3ELNS1_3repE0EEENS1_60segmented_radix_sort_warp_sort_medium_config_static_selectorELNS0_4arch9wavefront6targetE0EEEvSL_.uses_flat_scratch, 0
	.set _ZN7rocprim17ROCPRIM_400000_NS6detail17trampoline_kernelINS0_14default_configENS1_36segmented_radix_sort_config_selectorI12hip_bfloat16lEEZNS1_25segmented_radix_sort_implIS3_Lb1EPKS5_PS5_PKlPlN2at6native12_GLOBAL__N_18offset_tEEE10hipError_tPvRmT1_PNSt15iterator_traitsISL_E10value_typeET2_T3_PNSM_ISR_E10value_typeET4_jRbjT5_SX_jjP12ihipStream_tbEUlT_E0_NS1_11comp_targetILNS1_3genE9ELNS1_11target_archE1100ELNS1_3gpuE3ELNS1_3repE0EEENS1_60segmented_radix_sort_warp_sort_medium_config_static_selectorELNS0_4arch9wavefront6targetE0EEEvSL_.has_dyn_sized_stack, 0
	.set _ZN7rocprim17ROCPRIM_400000_NS6detail17trampoline_kernelINS0_14default_configENS1_36segmented_radix_sort_config_selectorI12hip_bfloat16lEEZNS1_25segmented_radix_sort_implIS3_Lb1EPKS5_PS5_PKlPlN2at6native12_GLOBAL__N_18offset_tEEE10hipError_tPvRmT1_PNSt15iterator_traitsISL_E10value_typeET2_T3_PNSM_ISR_E10value_typeET4_jRbjT5_SX_jjP12ihipStream_tbEUlT_E0_NS1_11comp_targetILNS1_3genE9ELNS1_11target_archE1100ELNS1_3gpuE3ELNS1_3repE0EEENS1_60segmented_radix_sort_warp_sort_medium_config_static_selectorELNS0_4arch9wavefront6targetE0EEEvSL_.has_recursion, 0
	.set _ZN7rocprim17ROCPRIM_400000_NS6detail17trampoline_kernelINS0_14default_configENS1_36segmented_radix_sort_config_selectorI12hip_bfloat16lEEZNS1_25segmented_radix_sort_implIS3_Lb1EPKS5_PS5_PKlPlN2at6native12_GLOBAL__N_18offset_tEEE10hipError_tPvRmT1_PNSt15iterator_traitsISL_E10value_typeET2_T3_PNSM_ISR_E10value_typeET4_jRbjT5_SX_jjP12ihipStream_tbEUlT_E0_NS1_11comp_targetILNS1_3genE9ELNS1_11target_archE1100ELNS1_3gpuE3ELNS1_3repE0EEENS1_60segmented_radix_sort_warp_sort_medium_config_static_selectorELNS0_4arch9wavefront6targetE0EEEvSL_.has_indirect_call, 0
	.section	.AMDGPU.csdata,"",@progbits
; Kernel info:
; codeLenInByte = 0
; TotalNumSgprs: 0
; NumVgprs: 0
; ScratchSize: 0
; MemoryBound: 0
; FloatMode: 240
; IeeeMode: 1
; LDSByteSize: 0 bytes/workgroup (compile time only)
; SGPRBlocks: 0
; VGPRBlocks: 0
; NumSGPRsForWavesPerEU: 1
; NumVGPRsForWavesPerEU: 1
; Occupancy: 16
; WaveLimiterHint : 0
; COMPUTE_PGM_RSRC2:SCRATCH_EN: 0
; COMPUTE_PGM_RSRC2:USER_SGPR: 6
; COMPUTE_PGM_RSRC2:TRAP_HANDLER: 0
; COMPUTE_PGM_RSRC2:TGID_X_EN: 1
; COMPUTE_PGM_RSRC2:TGID_Y_EN: 0
; COMPUTE_PGM_RSRC2:TGID_Z_EN: 0
; COMPUTE_PGM_RSRC2:TIDIG_COMP_CNT: 0
	.text
	.p2align	2                               ; -- Begin function _ZN7rocprim17ROCPRIM_400000_NS6detail26segmented_warp_sort_helperINS1_20WarpSortHelperConfigILj16ELj8ELj256EEE12hip_bfloat16lLi256ELb1EvE4sortIPKS5_PS5_PKlPlEEvT_T0_T1_T2_jjjjRNS6_12storage_typeE
	.type	_ZN7rocprim17ROCPRIM_400000_NS6detail26segmented_warp_sort_helperINS1_20WarpSortHelperConfigILj16ELj8ELj256EEE12hip_bfloat16lLi256ELb1EvE4sortIPKS5_PS5_PKlPlEEvT_T0_T1_T2_jjjjRNS6_12storage_typeE,@function
_ZN7rocprim17ROCPRIM_400000_NS6detail26segmented_warp_sort_helperINS1_20WarpSortHelperConfigILj16ELj8ELj256EEE12hip_bfloat16lLi256ELb1EvE4sortIPKS5_PS5_PKlPlEEvT_T0_T1_T2_jjjjRNS6_12storage_typeE: ; @_ZN7rocprim17ROCPRIM_400000_NS6detail26segmented_warp_sort_helperINS1_20WarpSortHelperConfigILj16ELj8ELj256EEE12hip_bfloat16lLi256ELb1EvE4sortIPKS5_PS5_PKlPlEEvT_T0_T1_T2_jjjjRNS6_12storage_typeE
; %bb.0:
	s_waitcnt vmcnt(0) expcnt(0) lgkmcnt(0)
	v_mov_b32_e32 v10, v9
	v_mbcnt_lo_u32_b32 v9, -1, 0
	v_mov_b32_e32 v48, -1
	v_mov_b32_e32 v37, -1
	v_sub_nc_u32_e32 v10, v10, v8
	v_lshlrev_b32_e32 v36, 3, v9
	v_mov_b32_e32 v9, 0
	v_and_b32_e32 v35, 0x78, v36
	v_lshlrev_b64 v[11:12], 1, v[8:9]
	v_lshlrev_b32_e32 v33, 1, v35
	v_add_co_u32 v0, vcc_lo, v0, v11
	v_add_co_ci_u32_e64 v1, null, v1, v12, vcc_lo
	v_add_co_u32 v0, vcc_lo, v0, v33
	v_add_co_ci_u32_e64 v1, null, 0, v1, vcc_lo
	v_cmp_lt_u32_e32 vcc_lo, v35, v10
	s_and_saveexec_b32 s4, vcc_lo
	s_cbranch_execz .LBB1954_2
; %bb.1:
	flat_load_ushort v37, v[0:1]
.LBB1954_2:
	s_or_b32 exec_lo, exec_lo, s4
	v_or_b32_e32 v13, 1, v35
	v_cmp_lt_u32_e64 s4, v13, v10
	s_and_saveexec_b32 s5, s4
	s_cbranch_execz .LBB1954_4
; %bb.3:
	flat_load_ushort v48, v[0:1] offset:2
.LBB1954_4:
	s_or_b32 exec_lo, exec_lo, s5
	v_or_b32_e32 v13, 2, v35
	v_mov_b32_e32 v51, -1
	v_mov_b32_e32 v32, -1
	v_cmp_lt_u32_e64 s5, v13, v10
	s_and_saveexec_b32 s6, s5
	s_cbranch_execz .LBB1954_6
; %bb.5:
	flat_load_ushort v32, v[0:1] offset:4
.LBB1954_6:
	s_or_b32 exec_lo, exec_lo, s6
	v_or_b32_e32 v13, 3, v35
	v_cmp_lt_u32_e64 s6, v13, v10
	s_and_saveexec_b32 s7, s6
	s_cbranch_execz .LBB1954_8
; %bb.7:
	flat_load_ushort v51, v[0:1] offset:6
.LBB1954_8:
	s_or_b32 exec_lo, exec_lo, s7
	v_or_b32_e32 v13, 4, v35
	v_mov_b32_e32 v39, -1
	v_mov_b32_e32 v49, -1
	v_cmp_lt_u32_e64 s7, v13, v10
	s_and_saveexec_b32 s10, s7
	s_cbranch_execz .LBB1954_10
; %bb.9:
	flat_load_ushort v49, v[0:1] offset:8
.LBB1954_10:
	;; [unrolled: 18-line block ×3, first 2 shown]
	s_or_b32 exec_lo, exec_lo, s14
	v_or_b32_e32 v13, 7, v35
	v_cmp_lt_u32_e64 s14, v13, v10
	s_and_saveexec_b32 s15, s14
	s_cbranch_execz .LBB1954_16
; %bb.15:
	flat_load_ushort v38, v[0:1] offset:14
.LBB1954_16:
	s_or_b32 exec_lo, exec_lo, s15
	v_lshlrev_b64 v[0:1], 3, v[8:9]
	v_lshlrev_b32_e32 v34, 3, v35
	; wave barrier
	v_add_co_u32 v4, s15, v4, v0
	v_add_co_ci_u32_e64 v5, null, v5, v1, s15
	v_add_co_u32 v13, s15, v4, v34
	v_add_co_ci_u32_e64 v14, null, 0, v5, s15
                                        ; implicit-def: $vgpr4_vgpr5
	s_and_saveexec_b32 s15, vcc_lo
	s_cbranch_execnz .LBB1954_318
; %bb.17:
	s_or_b32 exec_lo, exec_lo, s15
	s_and_saveexec_b32 s15, s4
                                        ; implicit-def: $vgpr8_vgpr9
	s_cbranch_execnz .LBB1954_319
.LBB1954_18:
	s_or_b32 exec_lo, exec_lo, s15
                                        ; implicit-def: $vgpr15_vgpr16
	s_and_saveexec_b32 s15, s5
	s_cbranch_execnz .LBB1954_320
.LBB1954_19:
	s_or_b32 exec_lo, exec_lo, s15
	s_and_saveexec_b32 s15, s6
                                        ; implicit-def: $vgpr17_vgpr18
	s_cbranch_execnz .LBB1954_321
.LBB1954_20:
	s_or_b32 exec_lo, exec_lo, s15
                                        ; implicit-def: $vgpr19_vgpr20
	s_and_saveexec_b32 s15, s7
	s_cbranch_execnz .LBB1954_322
.LBB1954_21:
	s_or_b32 exec_lo, exec_lo, s15
	s_and_saveexec_b32 s15, s10
                                        ; implicit-def: $vgpr23_vgpr24
	s_cbranch_execnz .LBB1954_323
.LBB1954_22:
	s_or_b32 exec_lo, exec_lo, s15
                                        ; implicit-def: $vgpr21_vgpr22
	s_and_saveexec_b32 s15, s11
	s_cbranch_execnz .LBB1954_324
.LBB1954_23:
	s_or_b32 exec_lo, exec_lo, s15
	s_and_saveexec_b32 s15, s14
                                        ; implicit-def: $vgpr25_vgpr26
	s_cbranch_execz .LBB1954_25
.LBB1954_24:
	flat_load_dwordx2 v[25:26], v[13:14] offset:56
.LBB1954_25:
	s_or_b32 exec_lo, exec_lo, s15
	; wave barrier
	s_load_dwordx2 s[16:17], s[8:9], 0x0
	v_mov_b32_e32 v10, 0
	v_bfe_u32 v14, v31, 10, 10
	v_bfe_u32 v27, v31, 20, 10
	s_waitcnt lgkmcnt(0)
	s_cmp_lt_u32 s13, s17
	s_cselect_b32 s13, 14, 20
	s_add_u32 s18, s8, s13
	s_addc_u32 s19, s9, 0
	s_cmp_lt_u32 s12, s16
	global_load_ushort v13, v10, s[18:19]
	s_cselect_b32 s12, 12, 18
	s_add_u32 s8, s8, s12
	s_addc_u32 s9, s9, 0
	global_load_ushort v10, v10, s[8:9]
	s_mov_b32 s9, exec_lo
	s_waitcnt vmcnt(1)
	v_mad_u32_u24 v13, v27, v13, v14
	s_waitcnt vmcnt(0)
	v_mul_lo_u32 v10, v13, v10
	v_and_b32_e32 v13, 0x3ff, v31
	v_add_lshl_u32 v10, v10, v13, 3
	v_cmpx_gt_u32_e32 0x800, v10
	s_cbranch_execz .LBB1954_307
; %bb.26:
	v_lshlrev_b32_e32 v13, 16, v48
	v_add_f32_e32 v14, 0, v13
	v_and_b32_e32 v13, 0x7f800000, v14
	v_cmp_ne_u32_e64 s8, 0x7f800000, v13
                                        ; implicit-def: $vgpr13
	s_and_saveexec_b32 s12, s8
	s_xor_b32 s8, exec_lo, s12
; %bb.27:
	v_bfe_u32 v13, v14, 16, 1
	v_add3_u32 v13, v14, v13, 0x7fff
                                        ; implicit-def: $vgpr14
; %bb.28:
	s_andn2_saveexec_b32 s12, s8
; %bb.29:
	v_mov_b32_e32 v13, 0
	v_or_b32_e32 v27, 0x10000, v14
	v_cmp_eq_u32_sdwa s8, v14, v13 src0_sel:WORD_0 src1_sel:DWORD
	v_cndmask_b32_e64 v13, v27, v14, s8
; %bb.30:
	s_or_b32 exec_lo, exec_lo, s12
	v_lshlrev_b32_e32 v14, 16, v37
	v_add_f32_e32 v27, 0, v14
	v_and_b32_e32 v14, 0x7f800000, v27
	v_cmp_ne_u32_e64 s8, 0x7f800000, v14
                                        ; implicit-def: $vgpr14
	s_and_saveexec_b32 s12, s8
	s_xor_b32 s8, exec_lo, s12
; %bb.31:
	v_bfe_u32 v14, v27, 16, 1
	v_add3_u32 v14, v27, v14, 0x7fff
                                        ; implicit-def: $vgpr27
; %bb.32:
	s_andn2_saveexec_b32 s12, s8
; %bb.33:
	v_mov_b32_e32 v14, 0
	v_or_b32_e32 v28, 0x10000, v27
	v_cmp_eq_u32_sdwa s8, v27, v14 src0_sel:WORD_0 src1_sel:DWORD
	v_cndmask_b32_e64 v14, v28, v27, s8
; %bb.34:
	s_or_b32 exec_lo, exec_lo, s12
	v_cmp_lt_i32_e64 s8, -1, v13
	v_perm_b32 v13, v14, v13, 0x7060302
	v_mov_b32_e32 v52, v48
	v_cndmask_b32_e64 v27, -1, 0xffff8000, s8
	v_cmp_lt_i32_e64 s8, -1, v14
	v_cndmask_b32_e64 v28, -1, 0xffff8000, s8
	v_perm_b32 v14, v28, v27, 0x5040100
	v_mov_b32_e32 v28, v9
	v_mov_b32_e32 v27, v8
	v_xor_b32_e32 v13, v14, v13
	v_cmp_gt_u16_sdwa s12, v13, v13 src0_sel:DWORD src1_sel:WORD_1
	s_and_saveexec_b32 s8, s12
; %bb.35:
	v_mov_b32_e32 v28, v5
	v_mov_b32_e32 v27, v4
	;; [unrolled: 1-line block ×6, first 2 shown]
; %bb.36:
	s_or_b32 exec_lo, exec_lo, s8
	v_lshlrev_b32_e32 v8, 16, v51
	v_add_f32_e32 v9, 0, v8
	v_and_b32_e32 v8, 0x7f800000, v9
	v_cmp_ne_u32_e64 s8, 0x7f800000, v8
                                        ; implicit-def: $vgpr8
	s_and_saveexec_b32 s12, s8
	s_xor_b32 s8, exec_lo, s12
; %bb.37:
	v_bfe_u32 v8, v9, 16, 1
	v_add3_u32 v8, v9, v8, 0x7fff
                                        ; implicit-def: $vgpr9
; %bb.38:
	s_andn2_saveexec_b32 s12, s8
; %bb.39:
	v_mov_b32_e32 v8, 0
	v_or_b32_e32 v13, 0x10000, v9
	v_cmp_eq_u32_sdwa s8, v9, v8 src0_sel:WORD_0 src1_sel:DWORD
	v_cndmask_b32_e64 v8, v13, v9, s8
; %bb.40:
	s_or_b32 exec_lo, exec_lo, s12
	v_lshlrev_b32_e32 v9, 16, v32
	v_add_f32_e32 v13, 0, v9
	v_and_b32_e32 v9, 0x7f800000, v13
	v_cmp_ne_u32_e64 s8, 0x7f800000, v9
                                        ; implicit-def: $vgpr9
	s_and_saveexec_b32 s12, s8
	s_xor_b32 s8, exec_lo, s12
; %bb.41:
	v_bfe_u32 v9, v13, 16, 1
	v_add3_u32 v9, v13, v9, 0x7fff
                                        ; implicit-def: $vgpr13
; %bb.42:
	s_andn2_saveexec_b32 s12, s8
; %bb.43:
	v_mov_b32_e32 v9, 0
	v_or_b32_e32 v14, 0x10000, v13
	v_cmp_eq_u32_sdwa s8, v13, v9 src0_sel:WORD_0 src1_sel:DWORD
	v_cndmask_b32_e64 v9, v14, v13, s8
; %bb.44:
	s_or_b32 exec_lo, exec_lo, s12
	v_cmp_lt_i32_e64 s8, -1, v8
	v_perm_b32 v8, v9, v8, 0x7060302
	v_mov_b32_e32 v30, v18
	v_mov_b32_e32 v31, v51
	;; [unrolled: 1-line block ×3, first 2 shown]
	v_cndmask_b32_e64 v13, -1, 0xffff8000, s8
	v_cmp_lt_i32_e64 s8, -1, v9
	v_cndmask_b32_e64 v14, -1, 0xffff8000, s8
	v_perm_b32 v9, v14, v13, 0x5040100
	v_xor_b32_e32 v8, v9, v8
	v_cmp_gt_u16_sdwa s12, v8, v8 src0_sel:DWORD src1_sel:WORD_1
	s_and_saveexec_b32 s8, s12
; %bb.45:
	v_mov_b32_e32 v30, v16
	v_mov_b32_e32 v29, v15
	;; [unrolled: 1-line block ×6, first 2 shown]
; %bb.46:
	s_or_b32 exec_lo, exec_lo, s8
	v_lshlrev_b32_e32 v8, 16, v39
	v_add_f32_e32 v9, 0, v8
	v_and_b32_e32 v8, 0x7f800000, v9
	v_cmp_ne_u32_e64 s8, 0x7f800000, v8
                                        ; implicit-def: $vgpr8
	s_and_saveexec_b32 s12, s8
	s_xor_b32 s8, exec_lo, s12
; %bb.47:
	v_bfe_u32 v8, v9, 16, 1
	v_add3_u32 v8, v9, v8, 0x7fff
                                        ; implicit-def: $vgpr9
; %bb.48:
	s_andn2_saveexec_b32 s12, s8
; %bb.49:
	v_mov_b32_e32 v8, 0
	v_or_b32_e32 v13, 0x10000, v9
	v_cmp_eq_u32_sdwa s8, v9, v8 src0_sel:WORD_0 src1_sel:DWORD
	v_cndmask_b32_e64 v8, v13, v9, s8
; %bb.50:
	s_or_b32 exec_lo, exec_lo, s12
	v_lshlrev_b32_e32 v9, 16, v49
	v_add_f32_e32 v13, 0, v9
	v_and_b32_e32 v9, 0x7f800000, v13
	v_cmp_ne_u32_e64 s8, 0x7f800000, v9
                                        ; implicit-def: $vgpr9
	s_and_saveexec_b32 s12, s8
	s_xor_b32 s8, exec_lo, s12
; %bb.51:
	v_bfe_u32 v9, v13, 16, 1
	v_add3_u32 v9, v13, v9, 0x7fff
                                        ; implicit-def: $vgpr13
; %bb.52:
	s_andn2_saveexec_b32 s12, s8
; %bb.53:
	v_mov_b32_e32 v9, 0
	v_or_b32_e32 v14, 0x10000, v13
	v_cmp_eq_u32_sdwa s8, v13, v9 src0_sel:WORD_0 src1_sel:DWORD
	v_cndmask_b32_e64 v9, v14, v13, s8
; %bb.54:
	s_or_b32 exec_lo, exec_lo, s12
	v_cmp_lt_i32_e64 s8, -1, v8
	v_perm_b32 v8, v9, v8, 0x7060302
	v_mov_b32_e32 v51, v49
	v_cndmask_b32_e64 v13, -1, 0xffff8000, s8
	v_cmp_lt_i32_e64 s8, -1, v9
	v_cndmask_b32_e64 v14, -1, 0xffff8000, s8
	v_perm_b32 v9, v14, v13, 0x5040100
	v_xor_b32_e32 v13, v9, v8
	v_mov_b32_e32 v8, v23
	v_mov_b32_e32 v9, v24
	v_cmp_gt_u16_sdwa s12, v13, v13 src0_sel:DWORD src1_sel:WORD_1
	s_and_saveexec_b32 s8, s12
; %bb.55:
	v_mov_b32_e32 v8, v19
	v_mov_b32_e32 v9, v20
	v_mov_b32_e32 v19, v23
	v_mov_b32_e32 v20, v24
	v_mov_b32_e32 v51, v39
	v_mov_b32_e32 v39, v49
; %bb.56:
	s_or_b32 exec_lo, exec_lo, s8
	v_lshlrev_b32_e32 v13, 16, v38
	v_add_f32_e32 v14, 0, v13
	v_and_b32_e32 v13, 0x7f800000, v14
	v_cmp_ne_u32_e64 s8, 0x7f800000, v13
                                        ; implicit-def: $vgpr13
	s_and_saveexec_b32 s12, s8
	s_xor_b32 s8, exec_lo, s12
; %bb.57:
	v_bfe_u32 v13, v14, 16, 1
	v_add3_u32 v13, v14, v13, 0x7fff
                                        ; implicit-def: $vgpr14
; %bb.58:
	s_andn2_saveexec_b32 s12, s8
; %bb.59:
	v_mov_b32_e32 v13, 0
	v_or_b32_e32 v17, 0x10000, v14
	v_cmp_eq_u32_sdwa s8, v14, v13 src0_sel:WORD_0 src1_sel:DWORD
	v_cndmask_b32_e64 v13, v17, v14, s8
; %bb.60:
	s_or_b32 exec_lo, exec_lo, s12
	v_lshlrev_b32_e32 v14, 16, v50
	v_add_f32_e32 v17, 0, v14
	v_and_b32_e32 v14, 0x7f800000, v17
	v_cmp_ne_u32_e64 s8, 0x7f800000, v14
                                        ; implicit-def: $vgpr14
	s_and_saveexec_b32 s12, s8
	s_xor_b32 s8, exec_lo, s12
; %bb.61:
	v_bfe_u32 v14, v17, 16, 1
	v_add3_u32 v14, v17, v14, 0x7fff
                                        ; implicit-def: $vgpr17
; %bb.62:
	s_andn2_saveexec_b32 s12, s8
; %bb.63:
	v_mov_b32_e32 v14, 0
	v_or_b32_e32 v18, 0x10000, v17
	v_cmp_eq_u32_sdwa s8, v17, v14 src0_sel:WORD_0 src1_sel:DWORD
	v_cndmask_b32_e64 v14, v18, v17, s8
; %bb.64:
	s_or_b32 exec_lo, exec_lo, s12
	v_cmp_lt_i32_e64 s8, -1, v13
	v_perm_b32 v13, v14, v13, 0x7060302
	v_mov_b32_e32 v49, v50
	v_cndmask_b32_e64 v17, -1, 0xffff8000, s8
	v_cmp_lt_i32_e64 s8, -1, v14
	v_cndmask_b32_e64 v18, -1, 0xffff8000, s8
	v_perm_b32 v14, v18, v17, 0x5040100
	v_xor_b32_e32 v17, v14, v13
	v_mov_b32_e32 v13, v25
	v_mov_b32_e32 v14, v26
	v_cmp_gt_u16_sdwa s12, v17, v17 src0_sel:DWORD src1_sel:WORD_1
	s_and_saveexec_b32 s8, s12
; %bb.65:
	v_mov_b32_e32 v13, v21
	v_mov_b32_e32 v14, v22
	v_mov_b32_e32 v21, v25
	v_mov_b32_e32 v22, v26
	v_mov_b32_e32 v49, v38
	v_mov_b32_e32 v38, v50
; %bb.66:
	s_or_b32 exec_lo, exec_lo, s8
	v_lshlrev_b32_e32 v17, 16, v32
	v_add_f32_e32 v18, 0, v17
	v_and_b32_e32 v17, 0x7f800000, v18
	v_cmp_ne_u32_e64 s8, 0x7f800000, v17
                                        ; implicit-def: $vgpr17
	s_and_saveexec_b32 s12, s8
	s_xor_b32 s8, exec_lo, s12
; %bb.67:
	v_bfe_u32 v17, v18, 16, 1
	v_add3_u32 v17, v18, v17, 0x7fff
                                        ; implicit-def: $vgpr18
; %bb.68:
	s_andn2_saveexec_b32 s12, s8
; %bb.69:
	v_mov_b32_e32 v17, 0
	v_or_b32_e32 v23, 0x10000, v18
	v_cmp_eq_u32_sdwa s8, v18, v17 src0_sel:WORD_0 src1_sel:DWORD
	v_cndmask_b32_e64 v17, v23, v18, s8
; %bb.70:
	s_or_b32 exec_lo, exec_lo, s12
	v_lshlrev_b32_e32 v18, 16, v52
	v_add_f32_e32 v23, 0, v18
	v_and_b32_e32 v18, 0x7f800000, v23
	v_cmp_ne_u32_e64 s8, 0x7f800000, v18
                                        ; implicit-def: $vgpr18
	s_and_saveexec_b32 s12, s8
	s_xor_b32 s8, exec_lo, s12
; %bb.71:
	v_bfe_u32 v18, v23, 16, 1
	v_add3_u32 v18, v23, v18, 0x7fff
                                        ; implicit-def: $vgpr23
; %bb.72:
	s_andn2_saveexec_b32 s12, s8
; %bb.73:
	v_mov_b32_e32 v18, 0
	v_or_b32_e32 v24, 0x10000, v23
	v_cmp_eq_u32_sdwa s8, v23, v18 src0_sel:WORD_0 src1_sel:DWORD
	v_cndmask_b32_e64 v18, v24, v23, s8
; %bb.74:
	s_or_b32 exec_lo, exec_lo, s12
	v_cmp_lt_i32_e64 s8, -1, v17
	v_perm_b32 v17, v18, v17, 0x7060302
	v_mov_b32_e32 v26, v16
	v_mov_b32_e32 v48, v32
	;; [unrolled: 1-line block ×3, first 2 shown]
	v_cndmask_b32_e64 v23, -1, 0xffff8000, s8
	v_cmp_lt_i32_e64 s8, -1, v18
	v_cndmask_b32_e64 v24, -1, 0xffff8000, s8
	v_perm_b32 v18, v24, v23, 0x5040100
	v_xor_b32_e32 v17, v18, v17
	v_cmp_gt_u16_sdwa s12, v17, v17 src0_sel:DWORD src1_sel:WORD_1
	s_and_saveexec_b32 s8, s12
; %bb.75:
	v_mov_b32_e32 v25, v27
	v_mov_b32_e32 v26, v28
	;; [unrolled: 1-line block ×6, first 2 shown]
; %bb.76:
	s_or_b32 exec_lo, exec_lo, s8
	v_lshlrev_b32_e32 v15, 16, v51
	v_add_f32_e32 v16, 0, v15
	v_and_b32_e32 v15, 0x7f800000, v16
	v_cmp_ne_u32_e64 s8, 0x7f800000, v15
                                        ; implicit-def: $vgpr15
	s_and_saveexec_b32 s12, s8
	s_xor_b32 s8, exec_lo, s12
; %bb.77:
	v_bfe_u32 v15, v16, 16, 1
	v_add3_u32 v15, v16, v15, 0x7fff
                                        ; implicit-def: $vgpr16
; %bb.78:
	s_andn2_saveexec_b32 s12, s8
; %bb.79:
	v_mov_b32_e32 v15, 0
	v_or_b32_e32 v17, 0x10000, v16
	v_cmp_eq_u32_sdwa s8, v16, v15 src0_sel:WORD_0 src1_sel:DWORD
	v_cndmask_b32_e64 v15, v17, v16, s8
; %bb.80:
	s_or_b32 exec_lo, exec_lo, s12
	v_lshlrev_b32_e32 v16, 16, v31
	v_add_f32_e32 v17, 0, v16
	v_and_b32_e32 v16, 0x7f800000, v17
	v_cmp_ne_u32_e64 s8, 0x7f800000, v16
                                        ; implicit-def: $vgpr16
	s_and_saveexec_b32 s12, s8
	s_xor_b32 s8, exec_lo, s12
; %bb.81:
	v_bfe_u32 v16, v17, 16, 1
	v_add3_u32 v16, v17, v16, 0x7fff
                                        ; implicit-def: $vgpr17
; %bb.82:
	s_andn2_saveexec_b32 s12, s8
; %bb.83:
	v_mov_b32_e32 v16, 0
	v_or_b32_e32 v18, 0x10000, v17
	v_cmp_eq_u32_sdwa s8, v17, v16 src0_sel:WORD_0 src1_sel:DWORD
	v_cndmask_b32_e64 v16, v18, v17, s8
; %bb.84:
	s_or_b32 exec_lo, exec_lo, s12
	v_cmp_lt_i32_e64 s8, -1, v15
	v_perm_b32 v15, v16, v15, 0x7060302
	v_mov_b32_e32 v24, v20
	v_mov_b32_e32 v23, v19
	v_cndmask_b32_e64 v17, -1, 0xffff8000, s8
	v_cmp_lt_i32_e64 s8, -1, v16
	v_cndmask_b32_e64 v18, -1, 0xffff8000, s8
	v_perm_b32 v16, v18, v17, 0x5040100
	v_mov_b32_e32 v17, v31
	v_xor_b32_e32 v15, v16, v15
	v_cmp_gt_u16_sdwa s12, v15, v15 src0_sel:DWORD src1_sel:WORD_1
	s_and_saveexec_b32 s8, s12
; %bb.85:
	v_mov_b32_e32 v23, v29
	v_mov_b32_e32 v24, v30
	;; [unrolled: 1-line block ×6, first 2 shown]
; %bb.86:
	s_or_b32 exec_lo, exec_lo, s8
	v_lshlrev_b32_e32 v15, 16, v49
	v_add_f32_e32 v16, 0, v15
	v_and_b32_e32 v15, 0x7f800000, v16
	v_cmp_ne_u32_e64 s8, 0x7f800000, v15
                                        ; implicit-def: $vgpr15
	s_and_saveexec_b32 s12, s8
	s_xor_b32 s8, exec_lo, s12
; %bb.87:
	v_bfe_u32 v15, v16, 16, 1
	v_add3_u32 v15, v16, v15, 0x7fff
                                        ; implicit-def: $vgpr16
; %bb.88:
	s_andn2_saveexec_b32 s12, s8
; %bb.89:
	v_mov_b32_e32 v15, 0
	v_or_b32_e32 v18, 0x10000, v16
	v_cmp_eq_u32_sdwa s8, v16, v15 src0_sel:WORD_0 src1_sel:DWORD
	v_cndmask_b32_e64 v15, v18, v16, s8
; %bb.90:
	s_or_b32 exec_lo, exec_lo, s12
	v_lshlrev_b32_e32 v16, 16, v39
	v_add_f32_e32 v18, 0, v16
	v_and_b32_e32 v16, 0x7f800000, v18
	v_cmp_ne_u32_e64 s8, 0x7f800000, v16
                                        ; implicit-def: $vgpr16
	s_and_saveexec_b32 s12, s8
	s_xor_b32 s8, exec_lo, s12
; %bb.91:
	v_bfe_u32 v16, v18, 16, 1
	v_add3_u32 v16, v18, v16, 0x7fff
                                        ; implicit-def: $vgpr18
; %bb.92:
	s_andn2_saveexec_b32 s12, s8
; %bb.93:
	v_mov_b32_e32 v16, 0
	v_or_b32_e32 v19, 0x10000, v18
	v_cmp_eq_u32_sdwa s8, v18, v16 src0_sel:WORD_0 src1_sel:DWORD
	v_cndmask_b32_e64 v16, v19, v18, s8
; %bb.94:
	s_or_b32 exec_lo, exec_lo, s12
	v_cmp_lt_i32_e64 s8, -1, v15
	v_perm_b32 v15, v16, v15, 0x7060302
	v_mov_b32_e32 v50, v39
	v_cndmask_b32_e64 v18, -1, 0xffff8000, s8
	v_cmp_lt_i32_e64 s8, -1, v16
	v_cndmask_b32_e64 v19, -1, 0xffff8000, s8
	v_perm_b32 v16, v19, v18, 0x5040100
	v_xor_b32_e32 v18, v16, v15
	v_mov_b32_e32 v15, v21
	v_mov_b32_e32 v16, v22
	v_cmp_gt_u16_sdwa s12, v18, v18 src0_sel:DWORD src1_sel:WORD_1
	s_and_saveexec_b32 s8, s12
; %bb.95:
	v_mov_b32_e32 v16, v9
	v_mov_b32_e32 v15, v8
	;; [unrolled: 1-line block ×6, first 2 shown]
; %bb.96:
	s_or_b32 exec_lo, exec_lo, s8
	v_lshlrev_b32_e32 v18, 16, v52
	v_add_f32_e32 v19, 0, v18
	v_and_b32_e32 v18, 0x7f800000, v19
	v_cmp_ne_u32_e64 s8, 0x7f800000, v18
                                        ; implicit-def: $vgpr18
	s_and_saveexec_b32 s12, s8
	s_xor_b32 s8, exec_lo, s12
; %bb.97:
	v_bfe_u32 v18, v19, 16, 1
	v_add3_u32 v18, v19, v18, 0x7fff
                                        ; implicit-def: $vgpr19
; %bb.98:
	s_andn2_saveexec_b32 s12, s8
; %bb.99:
	v_mov_b32_e32 v18, 0
	v_or_b32_e32 v20, 0x10000, v19
	v_cmp_eq_u32_sdwa s8, v19, v18 src0_sel:WORD_0 src1_sel:DWORD
	v_cndmask_b32_e64 v18, v20, v19, s8
; %bb.100:
	s_or_b32 exec_lo, exec_lo, s12
	v_lshlrev_b32_e32 v19, 16, v37
	v_add_f32_e32 v20, 0, v19
	v_and_b32_e32 v19, 0x7f800000, v20
	v_cmp_ne_u32_e64 s8, 0x7f800000, v19
                                        ; implicit-def: $vgpr19
	s_and_saveexec_b32 s12, s8
	s_xor_b32 s8, exec_lo, s12
; %bb.101:
	v_bfe_u32 v19, v20, 16, 1
	v_add3_u32 v19, v20, v19, 0x7fff
                                        ; implicit-def: $vgpr20
; %bb.102:
	s_andn2_saveexec_b32 s12, s8
; %bb.103:
	v_mov_b32_e32 v19, 0
	v_or_b32_e32 v21, 0x10000, v20
	v_cmp_eq_u32_sdwa s8, v20, v19 src0_sel:WORD_0 src1_sel:DWORD
	v_cndmask_b32_e64 v19, v21, v20, s8
; %bb.104:
	s_or_b32 exec_lo, exec_lo, s12
	v_cmp_lt_i32_e64 s8, -1, v18
	v_perm_b32 v18, v19, v18, 0x7060302
	v_mov_b32_e32 v32, v28
	v_mov_b32_e32 v39, v52
	;; [unrolled: 1-line block ×3, first 2 shown]
	v_cndmask_b32_e64 v20, -1, 0xffff8000, s8
	v_cmp_lt_i32_e64 s8, -1, v19
	v_cndmask_b32_e64 v21, -1, 0xffff8000, s8
	v_perm_b32 v19, v21, v20, 0x5040100
	v_xor_b32_e32 v18, v19, v18
	v_cmp_gt_u16_sdwa s12, v18, v18 src0_sel:DWORD src1_sel:WORD_1
	s_and_saveexec_b32 s8, s12
; %bb.105:
	v_mov_b32_e32 v32, v5
	v_mov_b32_e32 v31, v4
	v_mov_b32_e32 v4, v27
	v_mov_b32_e32 v39, v37
	v_mov_b32_e32 v37, v52
	v_mov_b32_e32 v5, v28
; %bb.106:
	s_or_b32 exec_lo, exec_lo, s8
	v_lshlrev_b32_e32 v18, 16, v17
	v_add_f32_e32 v19, 0, v18
	v_and_b32_e32 v18, 0x7f800000, v19
	v_cmp_ne_u32_e64 s8, 0x7f800000, v18
                                        ; implicit-def: $vgpr18
	s_and_saveexec_b32 s12, s8
	s_xor_b32 s8, exec_lo, s12
; %bb.107:
	v_bfe_u32 v18, v19, 16, 1
	v_add3_u32 v18, v19, v18, 0x7fff
                                        ; implicit-def: $vgpr19
; %bb.108:
	s_andn2_saveexec_b32 s12, s8
; %bb.109:
	v_mov_b32_e32 v18, 0
	v_or_b32_e32 v20, 0x10000, v19
	v_cmp_eq_u32_sdwa s8, v19, v18 src0_sel:WORD_0 src1_sel:DWORD
	v_cndmask_b32_e64 v18, v20, v19, s8
; %bb.110:
	s_or_b32 exec_lo, exec_lo, s12
	v_lshlrev_b32_e32 v19, 16, v48
	v_add_f32_e32 v20, 0, v19
	v_and_b32_e32 v19, 0x7f800000, v20
	v_cmp_ne_u32_e64 s8, 0x7f800000, v19
                                        ; implicit-def: $vgpr19
	s_and_saveexec_b32 s12, s8
	s_xor_b32 s8, exec_lo, s12
; %bb.111:
	v_bfe_u32 v19, v20, 16, 1
	v_add3_u32 v19, v20, v19, 0x7fff
                                        ; implicit-def: $vgpr20
; %bb.112:
	s_andn2_saveexec_b32 s12, s8
; %bb.113:
	v_mov_b32_e32 v19, 0
	v_or_b32_e32 v21, 0x10000, v20
	v_cmp_eq_u32_sdwa s8, v20, v19 src0_sel:WORD_0 src1_sel:DWORD
	v_cndmask_b32_e64 v19, v21, v20, s8
; %bb.114:
	s_or_b32 exec_lo, exec_lo, s12
	v_cmp_lt_i32_e64 s8, -1, v18
	v_perm_b32 v18, v19, v18, 0x7060302
	v_mov_b32_e32 v27, v29
	v_mov_b32_e32 v28, v30
	v_cndmask_b32_e64 v20, -1, 0xffff8000, s8
	v_cmp_lt_i32_e64 s8, -1, v19
	v_cndmask_b32_e64 v21, -1, 0xffff8000, s8
	v_perm_b32 v19, v21, v20, 0x5040100
	v_xor_b32_e32 v18, v19, v18
	v_mov_b32_e32 v19, v17
	v_cmp_gt_u16_sdwa s12, v18, v18 src0_sel:DWORD src1_sel:WORD_1
	s_and_saveexec_b32 s8, s12
; %bb.115:
	v_mov_b32_e32 v28, v26
	v_mov_b32_e32 v27, v25
	;; [unrolled: 1-line block ×6, first 2 shown]
; %bb.116:
	s_or_b32 exec_lo, exec_lo, s8
	v_lshlrev_b32_e32 v17, 16, v50
	v_add_f32_e32 v18, 0, v17
	v_and_b32_e32 v17, 0x7f800000, v18
	v_cmp_ne_u32_e64 s8, 0x7f800000, v17
                                        ; implicit-def: $vgpr17
	s_and_saveexec_b32 s12, s8
	s_xor_b32 s8, exec_lo, s12
; %bb.117:
	v_bfe_u32 v17, v18, 16, 1
	v_add3_u32 v17, v18, v17, 0x7fff
                                        ; implicit-def: $vgpr18
; %bb.118:
	s_andn2_saveexec_b32 s12, s8
; %bb.119:
	v_mov_b32_e32 v17, 0
	v_or_b32_e32 v20, 0x10000, v18
	v_cmp_eq_u32_sdwa s8, v18, v17 src0_sel:WORD_0 src1_sel:DWORD
	v_cndmask_b32_e64 v17, v20, v18, s8
; %bb.120:
	s_or_b32 exec_lo, exec_lo, s12
	v_lshlrev_b32_e32 v18, 16, v51
	v_add_f32_e32 v20, 0, v18
	v_and_b32_e32 v18, 0x7f800000, v20
	v_cmp_ne_u32_e64 s8, 0x7f800000, v18
                                        ; implicit-def: $vgpr18
	s_and_saveexec_b32 s12, s8
	s_xor_b32 s8, exec_lo, s12
; %bb.121:
	v_bfe_u32 v18, v20, 16, 1
	v_add3_u32 v18, v20, v18, 0x7fff
                                        ; implicit-def: $vgpr20
; %bb.122:
	s_andn2_saveexec_b32 s12, s8
; %bb.123:
	v_mov_b32_e32 v18, 0
	v_or_b32_e32 v21, 0x10000, v20
	v_cmp_eq_u32_sdwa s8, v20, v18 src0_sel:WORD_0 src1_sel:DWORD
	v_cndmask_b32_e64 v18, v21, v20, s8
; %bb.124:
	s_or_b32 exec_lo, exec_lo, s12
	v_cmp_lt_i32_e64 s8, -1, v17
	v_perm_b32 v17, v18, v17, 0x7060302
	v_mov_b32_e32 v52, v51
	v_cndmask_b32_e64 v20, -1, 0xffff8000, s8
	v_cmp_lt_i32_e64 s8, -1, v18
	v_cndmask_b32_e64 v21, -1, 0xffff8000, s8
	v_perm_b32 v18, v21, v20, 0x5040100
	v_xor_b32_e32 v20, v18, v17
	v_mov_b32_e32 v18, v9
	v_mov_b32_e32 v17, v8
	v_cmp_gt_u16_sdwa s12, v20, v20 src0_sel:DWORD src1_sel:WORD_1
	s_and_saveexec_b32 s8, s12
; %bb.125:
	v_mov_b32_e32 v17, v23
	v_mov_b32_e32 v18, v24
	;; [unrolled: 1-line block ×6, first 2 shown]
; %bb.126:
	s_or_b32 exec_lo, exec_lo, s8
	v_lshlrev_b32_e32 v8, 16, v38
	v_add_f32_e32 v9, 0, v8
	v_and_b32_e32 v8, 0x7f800000, v9
	v_cmp_ne_u32_e64 s8, 0x7f800000, v8
                                        ; implicit-def: $vgpr8
	s_and_saveexec_b32 s12, s8
	s_xor_b32 s8, exec_lo, s12
; %bb.127:
	v_bfe_u32 v8, v9, 16, 1
	v_add3_u32 v8, v9, v8, 0x7fff
                                        ; implicit-def: $vgpr9
; %bb.128:
	s_andn2_saveexec_b32 s12, s8
; %bb.129:
	v_mov_b32_e32 v8, 0
	v_or_b32_e32 v20, 0x10000, v9
	v_cmp_eq_u32_sdwa s8, v9, v8 src0_sel:WORD_0 src1_sel:DWORD
	v_cndmask_b32_e64 v8, v20, v9, s8
; %bb.130:
	s_or_b32 exec_lo, exec_lo, s12
	v_lshlrev_b32_e32 v9, 16, v49
	v_add_f32_e32 v20, 0, v9
	v_and_b32_e32 v9, 0x7f800000, v20
	v_cmp_ne_u32_e64 s8, 0x7f800000, v9
                                        ; implicit-def: $vgpr9
	s_and_saveexec_b32 s12, s8
	s_xor_b32 s8, exec_lo, s12
; %bb.131:
	v_bfe_u32 v9, v20, 16, 1
	v_add3_u32 v9, v20, v9, 0x7fff
                                        ; implicit-def: $vgpr20
; %bb.132:
	s_andn2_saveexec_b32 s12, s8
; %bb.133:
	v_mov_b32_e32 v9, 0
	v_or_b32_e32 v21, 0x10000, v20
	v_cmp_eq_u32_sdwa s8, v20, v9 src0_sel:WORD_0 src1_sel:DWORD
	v_cndmask_b32_e64 v9, v21, v20, s8
; %bb.134:
	s_or_b32 exec_lo, exec_lo, s12
	v_cmp_lt_i32_e64 s8, -1, v8
	v_perm_b32 v8, v9, v8, 0x7060302
	v_mov_b32_e32 v51, v49
	v_cndmask_b32_e64 v20, -1, 0xffff8000, s8
	v_cmp_lt_i32_e64 s8, -1, v9
	v_cndmask_b32_e64 v21, -1, 0xffff8000, s8
	v_perm_b32 v9, v21, v20, 0x5040100
	v_xor_b32_e32 v20, v9, v8
	v_mov_b32_e32 v8, v13
	v_mov_b32_e32 v9, v14
	v_cmp_gt_u16_sdwa s12, v20, v20 src0_sel:DWORD src1_sel:WORD_1
	s_and_saveexec_b32 s8, s12
; %bb.135:
	v_mov_b32_e32 v8, v15
	v_mov_b32_e32 v9, v16
	v_mov_b32_e32 v16, v14
	v_mov_b32_e32 v15, v13
	v_mov_b32_e32 v51, v38
	v_mov_b32_e32 v38, v49
; %bb.136:
	s_or_b32 exec_lo, exec_lo, s8
	v_lshlrev_b32_e32 v13, 16, v48
	v_add_f32_e32 v14, 0, v13
	v_and_b32_e32 v13, 0x7f800000, v14
	v_cmp_ne_u32_e64 s8, 0x7f800000, v13
                                        ; implicit-def: $vgpr13
	s_and_saveexec_b32 s12, s8
	s_xor_b32 s8, exec_lo, s12
; %bb.137:
	v_bfe_u32 v13, v14, 16, 1
	v_add3_u32 v13, v14, v13, 0x7fff
                                        ; implicit-def: $vgpr14
; %bb.138:
	s_andn2_saveexec_b32 s12, s8
; %bb.139:
	v_mov_b32_e32 v13, 0
	v_or_b32_e32 v20, 0x10000, v14
	v_cmp_eq_u32_sdwa s8, v14, v13 src0_sel:WORD_0 src1_sel:DWORD
	v_cndmask_b32_e64 v13, v20, v14, s8
; %bb.140:
	s_or_b32 exec_lo, exec_lo, s12
	v_lshlrev_b32_e32 v14, 16, v39
	v_add_f32_e32 v20, 0, v14
	v_and_b32_e32 v14, 0x7f800000, v20
	v_cmp_ne_u32_e64 s8, 0x7f800000, v14
                                        ; implicit-def: $vgpr14
	s_and_saveexec_b32 s12, s8
	s_xor_b32 s8, exec_lo, s12
; %bb.141:
	v_bfe_u32 v14, v20, 16, 1
	v_add3_u32 v14, v20, v14, 0x7fff
                                        ; implicit-def: $vgpr20
; %bb.142:
	s_andn2_saveexec_b32 s12, s8
; %bb.143:
	v_mov_b32_e32 v14, 0
	v_or_b32_e32 v21, 0x10000, v20
	v_cmp_eq_u32_sdwa s8, v20, v14 src0_sel:WORD_0 src1_sel:DWORD
	v_cndmask_b32_e64 v14, v21, v20, s8
; %bb.144:
	s_or_b32 exec_lo, exec_lo, s12
	v_cmp_lt_i32_e64 s8, -1, v13
	v_perm_b32 v13, v14, v13, 0x7060302
	v_mov_b32_e32 v30, v26
	v_mov_b32_e32 v49, v48
	;; [unrolled: 1-line block ×3, first 2 shown]
	v_cndmask_b32_e64 v20, -1, 0xffff8000, s8
	v_cmp_lt_i32_e64 s8, -1, v14
	v_cndmask_b32_e64 v21, -1, 0xffff8000, s8
	v_perm_b32 v14, v21, v20, 0x5040100
	v_xor_b32_e32 v13, v14, v13
	v_cmp_gt_u16_sdwa s12, v13, v13 src0_sel:DWORD src1_sel:WORD_1
	s_and_saveexec_b32 s8, s12
; %bb.145:
	v_mov_b32_e32 v29, v31
	v_mov_b32_e32 v30, v32
	v_mov_b32_e32 v32, v26
	v_mov_b32_e32 v49, v39
	v_mov_b32_e32 v39, v48
	v_mov_b32_e32 v31, v25
; %bb.146:
	s_or_b32 exec_lo, exec_lo, s8
	v_lshlrev_b32_e32 v13, 16, v52
	v_add_f32_e32 v14, 0, v13
	v_and_b32_e32 v13, 0x7f800000, v14
	v_cmp_ne_u32_e64 s8, 0x7f800000, v13
                                        ; implicit-def: $vgpr13
	s_and_saveexec_b32 s12, s8
	s_xor_b32 s8, exec_lo, s12
; %bb.147:
	v_bfe_u32 v13, v14, 16, 1
	v_add3_u32 v13, v14, v13, 0x7fff
                                        ; implicit-def: $vgpr14
; %bb.148:
	s_andn2_saveexec_b32 s12, s8
; %bb.149:
	v_mov_b32_e32 v13, 0
	v_or_b32_e32 v20, 0x10000, v14
	v_cmp_eq_u32_sdwa s8, v14, v13 src0_sel:WORD_0 src1_sel:DWORD
	v_cndmask_b32_e64 v13, v20, v14, s8
; %bb.150:
	s_or_b32 exec_lo, exec_lo, s12
	v_lshlrev_b32_e32 v14, 16, v19
	v_add_f32_e32 v20, 0, v14
	v_and_b32_e32 v14, 0x7f800000, v20
	v_cmp_ne_u32_e64 s8, 0x7f800000, v14
                                        ; implicit-def: $vgpr14
	s_and_saveexec_b32 s12, s8
	s_xor_b32 s8, exec_lo, s12
; %bb.151:
	v_bfe_u32 v14, v20, 16, 1
	v_add3_u32 v14, v20, v14, 0x7fff
                                        ; implicit-def: $vgpr20
; %bb.152:
	s_andn2_saveexec_b32 s12, s8
; %bb.153:
	v_mov_b32_e32 v14, 0
	v_or_b32_e32 v21, 0x10000, v20
	v_cmp_eq_u32_sdwa s8, v20, v14 src0_sel:WORD_0 src1_sel:DWORD
	v_cndmask_b32_e64 v14, v21, v20, s8
; %bb.154:
	s_or_b32 exec_lo, exec_lo, s12
	v_cmp_lt_i32_e64 s8, -1, v13
	v_perm_b32 v13, v14, v13, 0x7060302
	v_cndmask_b32_e64 v20, -1, 0xffff8000, s8
	v_cmp_lt_i32_e64 s8, -1, v14
	v_cndmask_b32_e64 v21, -1, 0xffff8000, s8
	v_perm_b32 v14, v21, v20, 0x5040100
	v_mov_b32_e32 v21, v23
	v_mov_b32_e32 v22, v24
	v_xor_b32_e32 v14, v14, v13
	v_mov_b32_e32 v13, v19
	v_cmp_gt_u16_sdwa s12, v14, v14 src0_sel:DWORD src1_sel:WORD_1
	s_and_saveexec_b32 s8, s12
; %bb.155:
	v_mov_b32_e32 v21, v27
	v_mov_b32_e32 v22, v28
	v_mov_b32_e32 v28, v24
	v_mov_b32_e32 v13, v52
	v_mov_b32_e32 v27, v23
	v_mov_b32_e32 v52, v19
; %bb.156:
	s_or_b32 exec_lo, exec_lo, s8
	v_lshlrev_b32_e32 v14, 16, v51
	v_add_f32_e32 v19, 0, v14
	v_and_b32_e32 v14, 0x7f800000, v19
	v_cmp_ne_u32_e64 s8, 0x7f800000, v14
                                        ; implicit-def: $vgpr14
	s_and_saveexec_b32 s12, s8
	s_xor_b32 s8, exec_lo, s12
; %bb.157:
	v_bfe_u32 v14, v19, 16, 1
	v_add3_u32 v14, v19, v14, 0x7fff
                                        ; implicit-def: $vgpr19
; %bb.158:
	s_andn2_saveexec_b32 s12, s8
; %bb.159:
	v_mov_b32_e32 v14, 0
	v_or_b32_e32 v20, 0x10000, v19
	v_cmp_eq_u32_sdwa s8, v19, v14 src0_sel:WORD_0 src1_sel:DWORD
	v_cndmask_b32_e64 v14, v20, v19, s8
; %bb.160:
	s_or_b32 exec_lo, exec_lo, s12
	v_lshlrev_b32_e32 v19, 16, v50
	v_add_f32_e32 v20, 0, v19
	v_and_b32_e32 v19, 0x7f800000, v20
	v_cmp_ne_u32_e64 s8, 0x7f800000, v19
                                        ; implicit-def: $vgpr19
	s_and_saveexec_b32 s12, s8
	s_xor_b32 s8, exec_lo, s12
; %bb.161:
	v_bfe_u32 v19, v20, 16, 1
	v_add3_u32 v19, v20, v19, 0x7fff
                                        ; implicit-def: $vgpr20
; %bb.162:
	s_andn2_saveexec_b32 s12, s8
; %bb.163:
	v_mov_b32_e32 v19, 0
	v_or_b32_e32 v23, 0x10000, v20
	v_cmp_eq_u32_sdwa s8, v20, v19 src0_sel:WORD_0 src1_sel:DWORD
	v_cndmask_b32_e64 v19, v23, v20, s8
; %bb.164:
	s_or_b32 exec_lo, exec_lo, s12
	v_cmp_lt_i32_e64 s8, -1, v14
	v_perm_b32 v14, v19, v14, 0x7060302
	v_mov_b32_e32 v48, v50
	v_cndmask_b32_e64 v20, -1, 0xffff8000, s8
	v_cmp_lt_i32_e64 s8, -1, v19
	v_cndmask_b32_e64 v23, -1, 0xffff8000, s8
	v_perm_b32 v19, v23, v20, 0x5040100
	v_xor_b32_e32 v14, v19, v14
	v_mov_b32_e32 v20, v16
	v_mov_b32_e32 v19, v15
	v_cmp_gt_u16_sdwa s12, v14, v14 src0_sel:DWORD src1_sel:WORD_1
	s_and_saveexec_b32 s8, s12
; %bb.165:
	v_mov_b32_e32 v20, v18
	v_mov_b32_e32 v19, v17
	;; [unrolled: 1-line block ×6, first 2 shown]
; %bb.166:
	s_or_b32 exec_lo, exec_lo, s8
	v_lshlrev_b32_e32 v14, 16, v39
	v_add_f32_e32 v15, 0, v14
	v_and_b32_e32 v14, 0x7f800000, v15
	v_cmp_ne_u32_e64 s8, 0x7f800000, v14
                                        ; implicit-def: $vgpr14
	s_and_saveexec_b32 s12, s8
	s_xor_b32 s8, exec_lo, s12
; %bb.167:
	v_bfe_u32 v14, v15, 16, 1
	v_add3_u32 v14, v15, v14, 0x7fff
                                        ; implicit-def: $vgpr15
; %bb.168:
	s_andn2_saveexec_b32 s12, s8
; %bb.169:
	v_mov_b32_e32 v14, 0
	v_or_b32_e32 v16, 0x10000, v15
	v_cmp_eq_u32_sdwa s8, v15, v14 src0_sel:WORD_0 src1_sel:DWORD
	v_cndmask_b32_e64 v14, v16, v15, s8
; %bb.170:
	s_or_b32 exec_lo, exec_lo, s12
	v_lshlrev_b32_e32 v15, 16, v37
	v_add_f32_e32 v16, 0, v15
	v_and_b32_e32 v15, 0x7f800000, v16
	v_cmp_ne_u32_e64 s8, 0x7f800000, v15
                                        ; implicit-def: $vgpr15
	s_and_saveexec_b32 s12, s8
	s_xor_b32 s8, exec_lo, s12
; %bb.171:
	v_bfe_u32 v15, v16, 16, 1
	v_add3_u32 v15, v16, v15, 0x7fff
                                        ; implicit-def: $vgpr16
; %bb.172:
	s_andn2_saveexec_b32 s12, s8
; %bb.173:
	v_mov_b32_e32 v15, 0
	v_or_b32_e32 v23, 0x10000, v16
	v_cmp_eq_u32_sdwa s8, v16, v15 src0_sel:WORD_0 src1_sel:DWORD
	v_cndmask_b32_e64 v15, v23, v16, s8
; %bb.174:
	s_or_b32 exec_lo, exec_lo, s12
	v_cmp_lt_i32_e64 s8, -1, v14
	v_perm_b32 v14, v15, v14, 0x7060302
	v_mov_b32_e32 v25, v31
	v_mov_b32_e32 v50, v39
	;; [unrolled: 1-line block ×3, first 2 shown]
	v_cndmask_b32_e64 v16, -1, 0xffff8000, s8
	v_cmp_lt_i32_e64 s8, -1, v15
	v_cndmask_b32_e64 v23, -1, 0xffff8000, s8
	v_perm_b32 v15, v23, v16, 0x5040100
	v_xor_b32_e32 v14, v15, v14
	v_cmp_gt_u16_sdwa s12, v14, v14 src0_sel:DWORD src1_sel:WORD_1
	s_and_saveexec_b32 s8, s12
; %bb.175:
	v_mov_b32_e32 v26, v5
	v_mov_b32_e32 v25, v4
	;; [unrolled: 1-line block ×6, first 2 shown]
; %bb.176:
	s_or_b32 exec_lo, exec_lo, s8
	v_lshlrev_b32_e32 v14, 16, v13
	v_add_f32_e32 v15, 0, v14
	v_and_b32_e32 v14, 0x7f800000, v15
	v_cmp_ne_u32_e64 s8, 0x7f800000, v14
                                        ; implicit-def: $vgpr14
	s_and_saveexec_b32 s12, s8
	s_xor_b32 s8, exec_lo, s12
; %bb.177:
	v_bfe_u32 v14, v15, 16, 1
	v_add3_u32 v14, v15, v14, 0x7fff
                                        ; implicit-def: $vgpr15
; %bb.178:
	s_andn2_saveexec_b32 s12, s8
; %bb.179:
	v_mov_b32_e32 v14, 0
	v_or_b32_e32 v16, 0x10000, v15
	v_cmp_eq_u32_sdwa s8, v15, v14 src0_sel:WORD_0 src1_sel:DWORD
	v_cndmask_b32_e64 v14, v16, v15, s8
; %bb.180:
	s_or_b32 exec_lo, exec_lo, s12
	v_lshlrev_b32_e32 v15, 16, v49
	v_add_f32_e32 v16, 0, v15
	v_and_b32_e32 v15, 0x7f800000, v16
	v_cmp_ne_u32_e64 s8, 0x7f800000, v15
                                        ; implicit-def: $vgpr15
	s_and_saveexec_b32 s12, s8
	s_xor_b32 s8, exec_lo, s12
; %bb.181:
	v_bfe_u32 v15, v16, 16, 1
	v_add3_u32 v15, v16, v15, 0x7fff
                                        ; implicit-def: $vgpr16
; %bb.182:
	s_andn2_saveexec_b32 s12, s8
; %bb.183:
	v_mov_b32_e32 v15, 0
	v_or_b32_e32 v23, 0x10000, v16
	v_cmp_eq_u32_sdwa s8, v16, v15 src0_sel:WORD_0 src1_sel:DWORD
	v_cndmask_b32_e64 v15, v23, v16, s8
; %bb.184:
	s_or_b32 exec_lo, exec_lo, s12
	v_cmp_lt_i32_e64 s8, -1, v14
	v_perm_b32 v14, v15, v14, 0x7060302
	v_mov_b32_e32 v32, v28
	v_mov_b32_e32 v39, v13
	;; [unrolled: 1-line block ×3, first 2 shown]
	v_cndmask_b32_e64 v16, -1, 0xffff8000, s8
	v_cmp_lt_i32_e64 s8, -1, v15
	v_cndmask_b32_e64 v23, -1, 0xffff8000, s8
	v_perm_b32 v15, v23, v16, 0x5040100
	v_xor_b32_e32 v14, v15, v14
	v_cmp_gt_u16_sdwa s12, v14, v14 src0_sel:DWORD src1_sel:WORD_1
	s_and_saveexec_b32 s8, s12
; %bb.185:
	v_mov_b32_e32 v32, v30
	v_mov_b32_e32 v31, v29
	;; [unrolled: 1-line block ×6, first 2 shown]
; %bb.186:
	s_or_b32 exec_lo, exec_lo, s8
	v_lshlrev_b32_e32 v13, 16, v48
	v_add_f32_e32 v14, 0, v13
	v_and_b32_e32 v13, 0x7f800000, v14
	v_cmp_ne_u32_e64 s8, 0x7f800000, v13
                                        ; implicit-def: $vgpr13
	s_and_saveexec_b32 s12, s8
	s_xor_b32 s8, exec_lo, s12
; %bb.187:
	v_bfe_u32 v13, v14, 16, 1
	v_add3_u32 v13, v14, v13, 0x7fff
                                        ; implicit-def: $vgpr14
; %bb.188:
	s_andn2_saveexec_b32 s12, s8
; %bb.189:
	v_mov_b32_e32 v13, 0
	v_or_b32_e32 v15, 0x10000, v14
	v_cmp_eq_u32_sdwa s8, v14, v13 src0_sel:WORD_0 src1_sel:DWORD
	v_cndmask_b32_e64 v13, v15, v14, s8
; %bb.190:
	s_or_b32 exec_lo, exec_lo, s12
	v_lshlrev_b32_e32 v14, 16, v52
	v_add_f32_e32 v15, 0, v14
	v_and_b32_e32 v14, 0x7f800000, v15
	v_cmp_ne_u32_e64 s8, 0x7f800000, v14
                                        ; implicit-def: $vgpr14
	s_and_saveexec_b32 s12, s8
	s_xor_b32 s8, exec_lo, s12
; %bb.191:
	v_bfe_u32 v14, v15, 16, 1
	v_add3_u32 v14, v15, v14, 0x7fff
                                        ; implicit-def: $vgpr15
; %bb.192:
	s_andn2_saveexec_b32 s12, s8
; %bb.193:
	v_mov_b32_e32 v14, 0
	v_or_b32_e32 v16, 0x10000, v15
	v_cmp_eq_u32_sdwa s8, v15, v14 src0_sel:WORD_0 src1_sel:DWORD
	v_cndmask_b32_e64 v14, v16, v15, s8
; %bb.194:
	s_or_b32 exec_lo, exec_lo, s12
	v_cmp_lt_i32_e64 s8, -1, v13
	v_perm_b32 v13, v14, v13, 0x7060302
	v_mov_b32_e32 v53, v52
	v_cndmask_b32_e64 v15, -1, 0xffff8000, s8
	v_cmp_lt_i32_e64 s8, -1, v14
	v_cndmask_b32_e64 v16, -1, 0xffff8000, s8
	v_perm_b32 v14, v16, v15, 0x5040100
	v_mov_b32_e32 v15, v17
	v_mov_b32_e32 v16, v18
	v_xor_b32_e32 v13, v14, v13
	v_cmp_gt_u16_sdwa s12, v13, v13 src0_sel:DWORD src1_sel:WORD_1
	s_and_saveexec_b32 s8, s12
; %bb.195:
	v_mov_b32_e32 v15, v21
	v_mov_b32_e32 v16, v22
	;; [unrolled: 1-line block ×6, first 2 shown]
; %bb.196:
	s_or_b32 exec_lo, exec_lo, s8
	v_lshlrev_b32_e32 v13, 16, v38
	v_add_f32_e32 v14, 0, v13
	v_and_b32_e32 v13, 0x7f800000, v14
	v_cmp_ne_u32_e64 s8, 0x7f800000, v13
                                        ; implicit-def: $vgpr13
	s_and_saveexec_b32 s12, s8
	s_xor_b32 s8, exec_lo, s12
; %bb.197:
	v_bfe_u32 v13, v14, 16, 1
	v_add3_u32 v13, v14, v13, 0x7fff
                                        ; implicit-def: $vgpr14
; %bb.198:
	s_andn2_saveexec_b32 s12, s8
; %bb.199:
	v_mov_b32_e32 v13, 0
	v_or_b32_e32 v17, 0x10000, v14
	v_cmp_eq_u32_sdwa s8, v14, v13 src0_sel:WORD_0 src1_sel:DWORD
	v_cndmask_b32_e64 v13, v17, v14, s8
; %bb.200:
	s_or_b32 exec_lo, exec_lo, s12
	v_lshlrev_b32_e32 v14, 16, v51
	v_add_f32_e32 v17, 0, v14
	v_and_b32_e32 v14, 0x7f800000, v17
	v_cmp_ne_u32_e64 s8, 0x7f800000, v14
                                        ; implicit-def: $vgpr14
	s_and_saveexec_b32 s12, s8
	s_xor_b32 s8, exec_lo, s12
; %bb.201:
	v_bfe_u32 v14, v17, 16, 1
	v_add3_u32 v14, v17, v14, 0x7fff
                                        ; implicit-def: $vgpr17
; %bb.202:
	s_andn2_saveexec_b32 s12, s8
; %bb.203:
	v_mov_b32_e32 v14, 0
	v_or_b32_e32 v18, 0x10000, v17
	v_cmp_eq_u32_sdwa s8, v17, v14 src0_sel:WORD_0 src1_sel:DWORD
	v_cndmask_b32_e64 v14, v18, v17, s8
; %bb.204:
	s_or_b32 exec_lo, exec_lo, s12
	v_cmp_lt_i32_e64 s8, -1, v13
	v_perm_b32 v13, v14, v13, 0x7060302
	v_mov_b32_e32 v52, v51
	v_cndmask_b32_e64 v17, -1, 0xffff8000, s8
	v_cmp_lt_i32_e64 s8, -1, v14
	v_cndmask_b32_e64 v18, -1, 0xffff8000, s8
	v_perm_b32 v14, v18, v17, 0x5040100
	v_xor_b32_e32 v17, v14, v13
	v_mov_b32_e32 v14, v9
	v_mov_b32_e32 v13, v8
	v_cmp_gt_u16_sdwa s12, v17, v17 src0_sel:DWORD src1_sel:WORD_1
	s_and_saveexec_b32 s8, s12
; %bb.205:
	v_mov_b32_e32 v13, v19
	v_mov_b32_e32 v14, v20
	v_mov_b32_e32 v20, v9
	v_mov_b32_e32 v19, v8
	v_mov_b32_e32 v52, v38
	v_mov_b32_e32 v38, v51
; %bb.206:
	s_or_b32 exec_lo, exec_lo, s8
	v_lshlrev_b32_e32 v8, 16, v49
	v_add_f32_e32 v9, 0, v8
	v_and_b32_e32 v8, 0x7f800000, v9
	v_cmp_ne_u32_e64 s8, 0x7f800000, v8
                                        ; implicit-def: $vgpr8
	s_and_saveexec_b32 s12, s8
	s_xor_b32 s8, exec_lo, s12
; %bb.207:
	v_bfe_u32 v8, v9, 16, 1
	v_add3_u32 v8, v9, v8, 0x7fff
                                        ; implicit-def: $vgpr9
; %bb.208:
	s_andn2_saveexec_b32 s12, s8
; %bb.209:
	v_mov_b32_e32 v8, 0
	v_or_b32_e32 v17, 0x10000, v9
	v_cmp_eq_u32_sdwa s8, v9, v8 src0_sel:WORD_0 src1_sel:DWORD
	v_cndmask_b32_e64 v8, v17, v9, s8
; %bb.210:
	s_or_b32 exec_lo, exec_lo, s12
	v_lshlrev_b32_e32 v9, 16, v50
	v_add_f32_e32 v17, 0, v9
	v_and_b32_e32 v9, 0x7f800000, v17
	v_cmp_ne_u32_e64 s8, 0x7f800000, v9
                                        ; implicit-def: $vgpr9
	s_and_saveexec_b32 s12, s8
	s_xor_b32 s8, exec_lo, s12
; %bb.211:
	v_bfe_u32 v9, v17, 16, 1
	v_add3_u32 v9, v17, v9, 0x7fff
                                        ; implicit-def: $vgpr17
; %bb.212:
	s_andn2_saveexec_b32 s12, s8
; %bb.213:
	v_mov_b32_e32 v9, 0
	v_or_b32_e32 v18, 0x10000, v17
	v_cmp_eq_u32_sdwa s8, v17, v9 src0_sel:WORD_0 src1_sel:DWORD
	v_cndmask_b32_e64 v9, v18, v17, s8
; %bb.214:
	s_or_b32 exec_lo, exec_lo, s12
	v_cmp_lt_i32_e64 s8, -1, v8
	v_perm_b32 v8, v9, v8, 0x7060302
	v_mov_b32_e32 v27, v29
	v_mov_b32_e32 v51, v49
	v_mov_b32_e32 v28, v30
	v_cndmask_b32_e64 v17, -1, 0xffff8000, s8
	v_cmp_lt_i32_e64 s8, -1, v9
	v_cndmask_b32_e64 v18, -1, 0xffff8000, s8
	v_perm_b32 v9, v18, v17, 0x5040100
	v_xor_b32_e32 v8, v9, v8
	v_cmp_gt_u16_sdwa s12, v8, v8 src0_sel:DWORD src1_sel:WORD_1
	s_and_saveexec_b32 s8, s12
; %bb.215:
	v_mov_b32_e32 v28, v26
	v_mov_b32_e32 v27, v25
	v_mov_b32_e32 v25, v29
	v_mov_b32_e32 v51, v50
	v_mov_b32_e32 v50, v49
	v_mov_b32_e32 v26, v30
; %bb.216:
	s_or_b32 exec_lo, exec_lo, s8
	v_lshlrev_b32_e32 v8, 16, v53
	v_add_f32_e32 v9, 0, v8
	v_and_b32_e32 v8, 0x7f800000, v9
	v_cmp_ne_u32_e64 s8, 0x7f800000, v8
                                        ; implicit-def: $vgpr8
	s_and_saveexec_b32 s12, s8
	s_xor_b32 s8, exec_lo, s12
; %bb.217:
	v_bfe_u32 v8, v9, 16, 1
	v_add3_u32 v8, v9, v8, 0x7fff
                                        ; implicit-def: $vgpr9
; %bb.218:
	s_andn2_saveexec_b32 s12, s8
; %bb.219:
	v_mov_b32_e32 v8, 0
	v_or_b32_e32 v17, 0x10000, v9
	v_cmp_eq_u32_sdwa s8, v9, v8 src0_sel:WORD_0 src1_sel:DWORD
	v_cndmask_b32_e64 v8, v17, v9, s8
; %bb.220:
	s_or_b32 exec_lo, exec_lo, s12
	v_lshlrev_b32_e32 v9, 16, v39
	v_add_f32_e32 v17, 0, v9
	v_and_b32_e32 v9, 0x7f800000, v17
	v_cmp_ne_u32_e64 s8, 0x7f800000, v9
                                        ; implicit-def: $vgpr9
	s_and_saveexec_b32 s12, s8
	s_xor_b32 s8, exec_lo, s12
; %bb.221:
	v_bfe_u32 v9, v17, 16, 1
	v_add3_u32 v9, v17, v9, 0x7fff
                                        ; implicit-def: $vgpr17
; %bb.222:
	s_andn2_saveexec_b32 s12, s8
; %bb.223:
	v_mov_b32_e32 v9, 0
	v_or_b32_e32 v18, 0x10000, v17
	v_cmp_eq_u32_sdwa s8, v17, v9 src0_sel:WORD_0 src1_sel:DWORD
	v_cndmask_b32_e64 v9, v18, v17, s8
; %bb.224:
	s_or_b32 exec_lo, exec_lo, s12
	v_cmp_lt_i32_e64 s8, -1, v8
	v_perm_b32 v8, v9, v8, 0x7060302
	v_mov_b32_e32 v24, v22
	v_mov_b32_e32 v29, v39
	v_mov_b32_e32 v23, v21
	v_cndmask_b32_e64 v17, -1, 0xffff8000, s8
	v_cmp_lt_i32_e64 s8, -1, v9
	v_cndmask_b32_e64 v18, -1, 0xffff8000, s8
	v_perm_b32 v9, v18, v17, 0x5040100
	v_xor_b32_e32 v8, v9, v8
	;; [unrolled: 61-line block ×3, first 2 shown]
	v_cmp_gt_u16_sdwa s12, v8, v8 src0_sel:DWORD src1_sel:WORD_1
	s_and_saveexec_b32 s8, s12
; %bb.235:
	v_mov_b32_e32 v22, v16
	v_mov_b32_e32 v21, v15
	;; [unrolled: 1-line block ×6, first 2 shown]
; %bb.236:
	s_or_b32 exec_lo, exec_lo, s8
	v_lshlrev_b32_e32 v8, 16, v50
	v_add_f32_e32 v9, 0, v8
	v_and_b32_e32 v8, 0x7f800000, v9
	v_cmp_ne_u32_e64 s8, 0x7f800000, v8
                                        ; implicit-def: $vgpr8
	s_and_saveexec_b32 s12, s8
	s_xor_b32 s8, exec_lo, s12
; %bb.237:
	v_bfe_u32 v8, v9, 16, 1
	v_add3_u32 v8, v9, v8, 0x7fff
                                        ; implicit-def: $vgpr9
; %bb.238:
	s_andn2_saveexec_b32 s12, s8
; %bb.239:
	v_mov_b32_e32 v8, 0
	v_or_b32_e32 v17, 0x10000, v9
	v_cmp_eq_u32_sdwa s8, v9, v8 src0_sel:WORD_0 src1_sel:DWORD
	v_cndmask_b32_e64 v8, v17, v9, s8
; %bb.240:
	s_or_b32 exec_lo, exec_lo, s12
	v_lshlrev_b32_e32 v9, 16, v37
	v_add_f32_e32 v17, 0, v9
	v_and_b32_e32 v9, 0x7f800000, v17
	v_cmp_ne_u32_e64 s8, 0x7f800000, v9
                                        ; implicit-def: $vgpr9
	s_and_saveexec_b32 s12, s8
	s_xor_b32 s8, exec_lo, s12
; %bb.241:
	v_bfe_u32 v9, v17, 16, 1
	v_add3_u32 v9, v17, v9, 0x7fff
                                        ; implicit-def: $vgpr17
; %bb.242:
	s_andn2_saveexec_b32 s12, s8
; %bb.243:
	v_mov_b32_e32 v9, 0
	v_or_b32_e32 v18, 0x10000, v17
	v_cmp_eq_u32_sdwa s8, v17, v9 src0_sel:WORD_0 src1_sel:DWORD
	v_cndmask_b32_e64 v9, v18, v17, s8
; %bb.244:
	s_or_b32 exec_lo, exec_lo, s12
	v_cmp_lt_i32_e64 s8, -1, v8
	v_perm_b32 v8, v9, v8, 0x7060302
	v_mov_b32_e32 v48, v50
	v_cndmask_b32_e64 v17, -1, 0xffff8000, s8
	v_cmp_lt_i32_e64 s8, -1, v9
	v_cndmask_b32_e64 v18, -1, 0xffff8000, s8
	v_perm_b32 v9, v18, v17, 0x5040100
	v_xor_b32_e32 v8, v9, v8
	v_cmp_gt_u16_sdwa s12, v8, v8 src0_sel:DWORD src1_sel:WORD_1
	v_mov_b32_e32 v8, v25
	v_mov_b32_e32 v9, v26
	s_and_saveexec_b32 s8, s12
; %bb.245:
	v_mov_b32_e32 v9, v5
	v_mov_b32_e32 v8, v4
	;; [unrolled: 1-line block ×6, first 2 shown]
; %bb.246:
	s_or_b32 exec_lo, exec_lo, s8
	v_lshlrev_b32_e32 v17, 16, v29
	v_add_f32_e32 v18, 0, v17
	v_and_b32_e32 v17, 0x7f800000, v18
	v_cmp_ne_u32_e64 s8, 0x7f800000, v17
                                        ; implicit-def: $vgpr17
	s_and_saveexec_b32 s12, s8
	s_xor_b32 s8, exec_lo, s12
; %bb.247:
	v_bfe_u32 v17, v18, 16, 1
	v_add3_u32 v17, v18, v17, 0x7fff
                                        ; implicit-def: $vgpr18
; %bb.248:
	s_andn2_saveexec_b32 s12, s8
; %bb.249:
	v_mov_b32_e32 v17, 0
	v_or_b32_e32 v19, 0x10000, v18
	v_cmp_eq_u32_sdwa s8, v18, v17 src0_sel:WORD_0 src1_sel:DWORD
	v_cndmask_b32_e64 v17, v19, v18, s8
; %bb.250:
	s_or_b32 exec_lo, exec_lo, s12
	v_lshlrev_b32_e32 v18, 16, v51
	v_add_f32_e32 v19, 0, v18
	v_and_b32_e32 v18, 0x7f800000, v19
	v_cmp_ne_u32_e64 s8, 0x7f800000, v18
                                        ; implicit-def: $vgpr18
	s_and_saveexec_b32 s12, s8
	s_xor_b32 s8, exec_lo, s12
; %bb.251:
	v_bfe_u32 v18, v19, 16, 1
	v_add3_u32 v18, v19, v18, 0x7fff
                                        ; implicit-def: $vgpr19
; %bb.252:
	s_andn2_saveexec_b32 s12, s8
; %bb.253:
	v_mov_b32_e32 v18, 0
	v_or_b32_e32 v20, 0x10000, v19
	v_cmp_eq_u32_sdwa s8, v19, v18 src0_sel:WORD_0 src1_sel:DWORD
	v_cndmask_b32_e64 v18, v20, v19, s8
; %bb.254:
	s_or_b32 exec_lo, exec_lo, s12
	v_cmp_lt_i32_e64 s8, -1, v17
	v_perm_b32 v17, v18, v17, 0x7060302
	v_mov_b32_e32 v50, v29
	v_cndmask_b32_e64 v19, -1, 0xffff8000, s8
	v_cmp_lt_i32_e64 s8, -1, v18
	v_cndmask_b32_e64 v20, -1, 0xffff8000, s8
	v_perm_b32 v18, v20, v19, 0x5040100
	v_xor_b32_e32 v17, v18, v17
	v_cmp_gt_u16_sdwa s12, v17, v17 src0_sel:DWORD src1_sel:WORD_1
	v_mov_b32_e32 v17, v31
	v_mov_b32_e32 v18, v32
	s_and_saveexec_b32 s8, s12
; %bb.255:
	v_mov_b32_e32 v17, v27
	v_mov_b32_e32 v18, v28
	;; [unrolled: 1-line block ×6, first 2 shown]
; %bb.256:
	s_or_b32 exec_lo, exec_lo, s8
	v_lshlrev_b32_e32 v19, 16, v39
	v_add_f32_e32 v20, 0, v19
	v_and_b32_e32 v19, 0x7f800000, v20
	v_cmp_ne_u32_e64 s8, 0x7f800000, v19
                                        ; implicit-def: $vgpr19
	s_and_saveexec_b32 s12, s8
	s_xor_b32 s8, exec_lo, s12
; %bb.257:
	v_bfe_u32 v19, v20, 16, 1
	v_add3_u32 v19, v20, v19, 0x7fff
                                        ; implicit-def: $vgpr20
; %bb.258:
	s_andn2_saveexec_b32 s12, s8
; %bb.259:
	v_mov_b32_e32 v19, 0
	v_or_b32_e32 v25, 0x10000, v20
	v_cmp_eq_u32_sdwa s8, v20, v19 src0_sel:WORD_0 src1_sel:DWORD
	v_cndmask_b32_e64 v19, v25, v20, s8
; %bb.260:
	s_or_b32 exec_lo, exec_lo, s12
	v_lshlrev_b32_e32 v20, 16, v53
	v_add_f32_e32 v25, 0, v20
	v_and_b32_e32 v20, 0x7f800000, v25
	v_cmp_ne_u32_e64 s8, 0x7f800000, v20
                                        ; implicit-def: $vgpr20
	s_and_saveexec_b32 s12, s8
	s_xor_b32 s8, exec_lo, s12
; %bb.261:
	v_bfe_u32 v20, v25, 16, 1
	v_add3_u32 v20, v25, v20, 0x7fff
                                        ; implicit-def: $vgpr25
; %bb.262:
	s_andn2_saveexec_b32 s12, s8
; %bb.263:
	v_mov_b32_e32 v20, 0
	v_or_b32_e32 v26, 0x10000, v25
	v_cmp_eq_u32_sdwa s8, v25, v20 src0_sel:WORD_0 src1_sel:DWORD
	v_cndmask_b32_e64 v20, v26, v25, s8
; %bb.264:
	s_or_b32 exec_lo, exec_lo, s12
	v_cmp_lt_i32_e64 s8, -1, v19
	v_perm_b32 v19, v20, v19, 0x7060302
	v_mov_b32_e32 v30, v16
	v_mov_b32_e32 v29, v15
	;; [unrolled: 1-line block ×3, first 2 shown]
	v_cndmask_b32_e64 v25, -1, 0xffff8000, s8
	v_cmp_lt_i32_e64 s8, -1, v20
	v_cndmask_b32_e64 v26, -1, 0xffff8000, s8
	v_perm_b32 v20, v26, v25, 0x5040100
	v_xor_b32_e32 v19, v20, v19
	v_cmp_gt_u16_sdwa s12, v19, v19 src0_sel:DWORD src1_sel:WORD_1
	s_and_saveexec_b32 s8, s12
; %bb.265:
	v_mov_b32_e32 v30, v24
	v_mov_b32_e32 v29, v23
	;; [unrolled: 1-line block ×6, first 2 shown]
; %bb.266:
	s_or_b32 exec_lo, exec_lo, s8
	v_lshlrev_b32_e32 v15, 16, v38
	v_add_f32_e32 v16, 0, v15
	v_and_b32_e32 v15, 0x7f800000, v16
	v_cmp_ne_u32_e64 s8, 0x7f800000, v15
                                        ; implicit-def: $vgpr15
	s_and_saveexec_b32 s12, s8
	s_xor_b32 s8, exec_lo, s12
; %bb.267:
	v_bfe_u32 v15, v16, 16, 1
	v_add3_u32 v15, v16, v15, 0x7fff
                                        ; implicit-def: $vgpr16
; %bb.268:
	s_andn2_saveexec_b32 s12, s8
; %bb.269:
	v_mov_b32_e32 v15, 0
	v_or_b32_e32 v19, 0x10000, v16
	v_cmp_eq_u32_sdwa s8, v16, v15 src0_sel:WORD_0 src1_sel:DWORD
	v_cndmask_b32_e64 v15, v19, v16, s8
; %bb.270:
	s_or_b32 exec_lo, exec_lo, s12
	v_lshlrev_b32_e32 v16, 16, v52
	v_add_f32_e32 v19, 0, v16
	v_and_b32_e32 v16, 0x7f800000, v19
	v_cmp_ne_u32_e64 s8, 0x7f800000, v16
                                        ; implicit-def: $vgpr16
	s_and_saveexec_b32 s12, s8
	s_xor_b32 s8, exec_lo, s12
; %bb.271:
	v_bfe_u32 v16, v19, 16, 1
	v_add3_u32 v16, v19, v16, 0x7fff
                                        ; implicit-def: $vgpr19
; %bb.272:
	s_andn2_saveexec_b32 s12, s8
; %bb.273:
	v_mov_b32_e32 v16, 0
	v_or_b32_e32 v20, 0x10000, v19
	v_cmp_eq_u32_sdwa s8, v19, v16 src0_sel:WORD_0 src1_sel:DWORD
	v_cndmask_b32_e64 v16, v20, v19, s8
; %bb.274:
	s_or_b32 exec_lo, exec_lo, s12
	v_cmp_lt_i32_e64 s8, -1, v15
	v_perm_b32 v15, v16, v15, 0x7060302
	v_mov_b32_e32 v26, v14
	v_mov_b32_e32 v25, v13
	;; [unrolled: 1-line block ×3, first 2 shown]
	v_cndmask_b32_e64 v19, -1, 0xffff8000, s8
	v_cmp_lt_i32_e64 s8, -1, v16
	v_cndmask_b32_e64 v20, -1, 0xffff8000, s8
	v_perm_b32 v16, v20, v19, 0x5040100
	v_xor_b32_e32 v15, v16, v15
	v_cmp_gt_u16_sdwa s12, v15, v15 src0_sel:DWORD src1_sel:WORD_1
	s_and_saveexec_b32 s8, s12
; %bb.275:
	v_mov_b32_e32 v26, v22
	v_mov_b32_e32 v25, v21
	;; [unrolled: 1-line block ×6, first 2 shown]
; %bb.276:
	s_or_b32 exec_lo, exec_lo, s8
	v_lshlrev_b32_e32 v13, 16, v51
	v_add_f32_e32 v14, 0, v13
	v_and_b32_e32 v13, 0x7f800000, v14
	v_cmp_ne_u32_e64 s8, 0x7f800000, v13
                                        ; implicit-def: $vgpr13
	s_and_saveexec_b32 s12, s8
	s_xor_b32 s8, exec_lo, s12
; %bb.277:
	v_bfe_u32 v13, v14, 16, 1
	v_add3_u32 v13, v14, v13, 0x7fff
                                        ; implicit-def: $vgpr14
; %bb.278:
	s_andn2_saveexec_b32 s12, s8
; %bb.279:
	v_mov_b32_e32 v13, 0
	v_or_b32_e32 v15, 0x10000, v14
	v_cmp_eq_u32_sdwa s8, v14, v13 src0_sel:WORD_0 src1_sel:DWORD
	v_cndmask_b32_e64 v13, v15, v14, s8
; %bb.280:
	s_or_b32 exec_lo, exec_lo, s12
	v_lshlrev_b32_e32 v14, 16, v48
	v_add_f32_e32 v15, 0, v14
	v_and_b32_e32 v14, 0x7f800000, v15
	v_cmp_ne_u32_e64 s8, 0x7f800000, v14
                                        ; implicit-def: $vgpr14
	s_and_saveexec_b32 s12, s8
	s_xor_b32 s8, exec_lo, s12
; %bb.281:
	v_bfe_u32 v14, v15, 16, 1
	v_add3_u32 v14, v15, v14, 0x7fff
                                        ; implicit-def: $vgpr15
; %bb.282:
	s_andn2_saveexec_b32 s12, s8
; %bb.283:
	v_mov_b32_e32 v14, 0
	v_or_b32_e32 v16, 0x10000, v15
	v_cmp_eq_u32_sdwa s8, v15, v14 src0_sel:WORD_0 src1_sel:DWORD
	v_cndmask_b32_e64 v14, v16, v15, s8
; %bb.284:
	s_or_b32 exec_lo, exec_lo, s12
	v_cmp_lt_i32_e64 s8, -1, v13
	v_perm_b32 v13, v14, v13, 0x7060302
	v_mov_b32_e32 v32, v51
	v_cndmask_b32_e64 v15, -1, 0xffff8000, s8
	v_cmp_lt_i32_e64 s8, -1, v14
	v_cndmask_b32_e64 v16, -1, 0xffff8000, s8
	v_perm_b32 v14, v16, v15, 0x5040100
	v_mov_b32_e32 v15, v27
	v_mov_b32_e32 v16, v28
	v_xor_b32_e32 v13, v14, v13
	v_cmp_gt_u16_sdwa s12, v13, v13 src0_sel:DWORD src1_sel:WORD_1
	s_and_saveexec_b32 s8, s12
; %bb.285:
	v_mov_b32_e32 v16, v9
	v_mov_b32_e32 v15, v8
	;; [unrolled: 1-line block ×6, first 2 shown]
; %bb.286:
	s_or_b32 exec_lo, exec_lo, s8
	v_lshlrev_b32_e32 v13, 16, v49
	v_add_f32_e32 v14, 0, v13
	v_and_b32_e32 v13, 0x7f800000, v14
	v_cmp_ne_u32_e64 s8, 0x7f800000, v13
                                        ; implicit-def: $vgpr13
	s_and_saveexec_b32 s12, s8
	s_xor_b32 s8, exec_lo, s12
; %bb.287:
	v_bfe_u32 v13, v14, 16, 1
	v_add3_u32 v13, v14, v13, 0x7fff
                                        ; implicit-def: $vgpr14
; %bb.288:
	s_andn2_saveexec_b32 s12, s8
; %bb.289:
	v_mov_b32_e32 v13, 0
	v_or_b32_e32 v19, 0x10000, v14
	v_cmp_eq_u32_sdwa s8, v14, v13 src0_sel:WORD_0 src1_sel:DWORD
	v_cndmask_b32_e64 v13, v19, v14, s8
; %bb.290:
	s_or_b32 exec_lo, exec_lo, s12
	v_lshlrev_b32_e32 v14, 16, v50
	v_add_f32_e32 v19, 0, v14
	v_and_b32_e32 v14, 0x7f800000, v19
	v_cmp_ne_u32_e64 s8, 0x7f800000, v14
                                        ; implicit-def: $vgpr14
	s_and_saveexec_b32 s12, s8
	s_xor_b32 s8, exec_lo, s12
; %bb.291:
	v_bfe_u32 v14, v19, 16, 1
	v_add3_u32 v14, v19, v14, 0x7fff
                                        ; implicit-def: $vgpr19
; %bb.292:
	s_andn2_saveexec_b32 s12, s8
; %bb.293:
	v_mov_b32_e32 v14, 0
	v_or_b32_e32 v20, 0x10000, v19
	v_cmp_eq_u32_sdwa s8, v19, v14 src0_sel:WORD_0 src1_sel:DWORD
	v_cndmask_b32_e64 v14, v20, v19, s8
; %bb.294:
	s_or_b32 exec_lo, exec_lo, s12
	v_cmp_lt_i32_e64 s8, -1, v13
	v_perm_b32 v13, v14, v13, 0x7060302
	v_mov_b32_e32 v51, v50
	v_cndmask_b32_e64 v19, -1, 0xffff8000, s8
	v_cmp_lt_i32_e64 s8, -1, v14
	v_cndmask_b32_e64 v20, -1, 0xffff8000, s8
	v_perm_b32 v14, v20, v19, 0x5040100
	v_mov_b32_e32 v19, v23
	v_mov_b32_e32 v20, v24
	v_xor_b32_e32 v13, v14, v13
	v_cmp_gt_u16_sdwa s12, v13, v13 src0_sel:DWORD src1_sel:WORD_1
	s_and_saveexec_b32 s8, s12
; %bb.295:
	v_mov_b32_e32 v20, v18
	v_mov_b32_e32 v19, v17
	;; [unrolled: 1-line block ×6, first 2 shown]
; %bb.296:
	s_or_b32 exec_lo, exec_lo, s8
	v_lshlrev_b32_e32 v13, 16, v31
	v_add_f32_e32 v14, 0, v13
	v_and_b32_e32 v13, 0x7f800000, v14
	v_cmp_ne_u32_e64 s8, 0x7f800000, v13
                                        ; implicit-def: $vgpr13
	s_and_saveexec_b32 s12, s8
	s_xor_b32 s8, exec_lo, s12
; %bb.297:
	v_bfe_u32 v13, v14, 16, 1
	v_add3_u32 v13, v14, v13, 0x7fff
                                        ; implicit-def: $vgpr14
; %bb.298:
	s_andn2_saveexec_b32 s12, s8
; %bb.299:
	v_mov_b32_e32 v13, 0
	v_or_b32_e32 v23, 0x10000, v14
	v_cmp_eq_u32_sdwa s8, v14, v13 src0_sel:WORD_0 src1_sel:DWORD
	v_cndmask_b32_e64 v13, v23, v14, s8
; %bb.300:
	s_or_b32 exec_lo, exec_lo, s12
	v_lshlrev_b32_e32 v14, 16, v39
	v_add_f32_e32 v23, 0, v14
	v_and_b32_e32 v14, 0x7f800000, v23
	v_cmp_ne_u32_e64 s8, 0x7f800000, v14
                                        ; implicit-def: $vgpr14
	s_and_saveexec_b32 s12, s8
	s_xor_b32 s8, exec_lo, s12
; %bb.301:
	v_bfe_u32 v14, v23, 16, 1
	v_add3_u32 v14, v23, v14, 0x7fff
                                        ; implicit-def: $vgpr23
; %bb.302:
	s_andn2_saveexec_b32 s12, s8
; %bb.303:
	v_mov_b32_e32 v14, 0
	v_or_b32_e32 v24, 0x10000, v23
	v_cmp_eq_u32_sdwa s8, v23, v14 src0_sel:WORD_0 src1_sel:DWORD
	v_cndmask_b32_e64 v14, v24, v23, s8
; %bb.304:
	s_or_b32 exec_lo, exec_lo, s12
	v_cmp_lt_i32_e64 s8, -1, v13
	v_perm_b32 v13, v14, v13, 0x7060302
	v_mov_b32_e32 v50, v31
	v_cndmask_b32_e64 v23, -1, 0xffff8000, s8
	v_cmp_lt_i32_e64 s8, -1, v14
	v_cndmask_b32_e64 v24, -1, 0xffff8000, s8
	v_perm_b32 v14, v24, v23, 0x5040100
	v_mov_b32_e32 v23, v29
	v_mov_b32_e32 v24, v30
	v_xor_b32_e32 v13, v14, v13
	v_cmp_gt_u16_sdwa s12, v13, v13 src0_sel:DWORD src1_sel:WORD_1
	s_and_saveexec_b32 s8, s12
; %bb.305:
	v_mov_b32_e32 v24, v22
	v_mov_b32_e32 v23, v21
	;; [unrolled: 1-line block ×6, first 2 shown]
; %bb.306:
	s_or_b32 exec_lo, exec_lo, s8
.LBB1954_307:
	s_or_b32 exec_lo, exec_lo, s9
	v_and_b32_e32 v13, 0xffffff00, v10
	v_or_b32_e32 v14, 8, v36
	v_and_b32_e32 v28, 8, v36
	v_and_b32_e32 v64, 0xf0, v36
	v_perm_b32 v68, v38, v50, 0x5040100
	v_sub_nc_u32_e64 v27, 0x800, v13 clamp
	v_lshlrev_b32_e32 v10, 1, v13
	v_perm_b32 v67, v39, v49, 0x5040100
	v_perm_b32 v70, v51, v32, 0x5040100
	;; [unrolled: 1-line block ×3, first 2 shown]
	v_min_u32_e32 v52, v27, v14
	v_mad_u64_u32 v[13:14], null, v13, 6, v[10:11]
	v_min_u32_e32 v65, v27, v28
	s_mov_b32 s9, exec_lo
	v_add_nc_u32_e32 v14, 8, v52
	v_sub_nc_u32_e32 v55, v52, v64
	v_lshl_add_u32 v30, v36, 3, v13
	v_min_u32_e32 v53, v27, v14
	v_lshl_or_b32 v14, v36, 1, v10
	v_min_u32_e32 v66, v65, v55
	v_lshl_or_b32 v55, v64, 1, v10
	v_add_nc_u32_e32 v31, 0x1000, v30
	v_sub_nc_u32_e32 v54, v53, v52
	v_add_nc_u32_e32 v28, 0x1010, v30
	v_add_nc_u32_e32 v29, 0x1020, v30
	;; [unrolled: 1-line block ×3, first 2 shown]
	ds_write2_b64 v31, v[4:5], v[8:9] offset1:1
	ds_write2_b64 v28, v[15:16], v[17:18] offset1:1
	v_sub_nc_u32_e64 v54, v65, v54 clamp
	ds_write2_b64 v29, v[19:20], v[23:24] offset1:1
	ds_write2_b64 v14, v[69:70], v[67:68] offset1:1
	;; [unrolled: 1-line block ×3, first 2 shown]
	; wave barrier
	v_cmpx_lt_u32_e64 v54, v66
	s_cbranch_execz .LBB1954_326
; %bb.308:
	v_lshlrev_b32_e32 v67, 1, v52
	v_lshlrev_b32_e32 v68, 1, v65
	s_mov_b32 s12, 0
	v_add3_u32 v67, v10, v67, v68
	v_mov_b32_e32 v68, 0
	s_branch .LBB1954_310
.LBB1954_309:                           ;   in Loop: Header=BB1954_310 Depth=1
	s_or_b32 exec_lo, exec_lo, s13
	v_cmp_lt_i32_e64 s8, -1, v70
	v_cndmask_b32_e64 v80, -1, 0xffff8000, s8
	v_cmp_lt_i32_e64 s8, -1, v71
	v_xor_b32_sdwa v70, v80, v70 dst_sel:DWORD dst_unused:UNUSED_PAD src0_sel:DWORD src1_sel:WORD_1
	v_cndmask_b32_e64 v81, -1, 0xffff8000, s8
	v_add_nc_u32_e32 v80, 1, v69
	v_xor_b32_sdwa v71, v81, v71 dst_sel:DWORD dst_unused:UNUSED_PAD src0_sel:DWORD src1_sel:WORD_1
	v_cmp_gt_u16_e64 s8, v70, v71
	v_cndmask_b32_e64 v66, v66, v69, s8
	v_cndmask_b32_e64 v54, v80, v54, s8
	v_cmp_ge_u32_e64 s8, v54, v66
	s_or_b32 s12, s8, s12
	s_andn2_b32 exec_lo, exec_lo, s12
	s_cbranch_execz .LBB1954_325
.LBB1954_310:                           ; =>This Inner Loop Header: Depth=1
	v_add_nc_u32_e32 v70, v66, v54
	v_lshrrev_b32_e32 v69, 1, v70
	v_and_b32_e32 v70, -2, v70
	v_not_b32_e32 v71, v69
	v_add_nc_u32_e32 v70, v55, v70
	v_lshl_add_u32 v71, v71, 1, v67
	ds_read_u16 v80, v71
	ds_read_u16 v71, v70
	s_waitcnt lgkmcnt(1)
	v_lshlrev_b32_e32 v70, 16, v80
	v_add_f32_e32 v80, 0, v70
	v_and_b32_e32 v70, 0x7f800000, v80
	v_cmp_ne_u32_e64 s8, 0x7f800000, v70
                                        ; implicit-def: $vgpr70
	s_and_saveexec_b32 s13, s8
	s_xor_b32 s8, exec_lo, s13
; %bb.311:                              ;   in Loop: Header=BB1954_310 Depth=1
	v_bfe_u32 v70, v80, 16, 1
	v_add3_u32 v70, v80, v70, 0x7fff
                                        ; implicit-def: $vgpr80
; %bb.312:                              ;   in Loop: Header=BB1954_310 Depth=1
	s_andn2_saveexec_b32 s13, s8
; %bb.313:                              ;   in Loop: Header=BB1954_310 Depth=1
	v_or_b32_e32 v70, 0x10000, v80
	v_cmp_eq_u32_sdwa s8, v80, v68 src0_sel:WORD_0 src1_sel:DWORD
	v_cndmask_b32_e64 v70, v70, v80, s8
; %bb.314:                              ;   in Loop: Header=BB1954_310 Depth=1
	s_or_b32 exec_lo, exec_lo, s13
	s_waitcnt lgkmcnt(0)
	v_lshlrev_b32_e32 v71, 16, v71
	v_add_f32_e32 v80, 0, v71
	v_and_b32_e32 v71, 0x7f800000, v80
	v_cmp_ne_u32_e64 s8, 0x7f800000, v71
                                        ; implicit-def: $vgpr71
	s_and_saveexec_b32 s13, s8
	s_xor_b32 s8, exec_lo, s13
; %bb.315:                              ;   in Loop: Header=BB1954_310 Depth=1
	v_bfe_u32 v71, v80, 16, 1
	v_add3_u32 v71, v80, v71, 0x7fff
                                        ; implicit-def: $vgpr80
; %bb.316:                              ;   in Loop: Header=BB1954_310 Depth=1
	s_andn2_saveexec_b32 s13, s8
	s_cbranch_execz .LBB1954_309
; %bb.317:                              ;   in Loop: Header=BB1954_310 Depth=1
	v_or_b32_e32 v71, 0x10000, v80
	v_cmp_eq_u32_sdwa s8, v80, v68 src0_sel:WORD_0 src1_sel:DWORD
	v_cndmask_b32_e64 v71, v71, v80, s8
	s_branch .LBB1954_309
.LBB1954_318:
	flat_load_dwordx2 v[4:5], v[13:14]
	s_or_b32 exec_lo, exec_lo, s15
	s_and_saveexec_b32 s15, s4
                                        ; implicit-def: $vgpr8_vgpr9
	s_cbranch_execz .LBB1954_18
.LBB1954_319:
	flat_load_dwordx2 v[8:9], v[13:14] offset:8
	s_or_b32 exec_lo, exec_lo, s15
                                        ; implicit-def: $vgpr15_vgpr16
	s_and_saveexec_b32 s15, s5
	s_cbranch_execz .LBB1954_19
.LBB1954_320:
	flat_load_dwordx2 v[15:16], v[13:14] offset:16
	s_or_b32 exec_lo, exec_lo, s15
	s_and_saveexec_b32 s15, s6
                                        ; implicit-def: $vgpr17_vgpr18
	s_cbranch_execz .LBB1954_20
.LBB1954_321:
	flat_load_dwordx2 v[17:18], v[13:14] offset:24
	s_or_b32 exec_lo, exec_lo, s15
                                        ; implicit-def: $vgpr19_vgpr20
	s_and_saveexec_b32 s15, s7
	s_cbranch_execz .LBB1954_21
.LBB1954_322:
	flat_load_dwordx2 v[19:20], v[13:14] offset:32
	s_or_b32 exec_lo, exec_lo, s15
	s_and_saveexec_b32 s15, s10
                                        ; implicit-def: $vgpr23_vgpr24
	s_cbranch_execz .LBB1954_22
.LBB1954_323:
	flat_load_dwordx2 v[23:24], v[13:14] offset:40
	s_or_b32 exec_lo, exec_lo, s15
                                        ; implicit-def: $vgpr21_vgpr22
	s_and_saveexec_b32 s15, s11
	s_cbranch_execz .LBB1954_23
.LBB1954_324:
	flat_load_dwordx2 v[21:22], v[13:14] offset:48
	s_or_b32 exec_lo, exec_lo, s15
	s_and_saveexec_b32 s15, s14
                                        ; implicit-def: $vgpr25_vgpr26
	s_cbranch_execnz .LBB1954_24
	s_branch .LBB1954_25
.LBB1954_325:
	s_or_b32 exec_lo, exec_lo, s12
.LBB1954_326:
	s_or_b32 exec_lo, exec_lo, s9
	v_add_nc_u32_e32 v65, v52, v65
	v_add_nc_u32_e32 v64, v54, v64
	v_sub_nc_u32_e32 v65, v65, v54
	v_cmp_le_u32_e64 s8, v64, v52
	v_cmp_le_u32_e64 s9, v65, v53
	s_or_b32 s8, s8, s9
	s_and_saveexec_b32 s12, s8
	s_cbranch_execz .LBB1954_426
; %bb.327:
	v_cmp_ge_u32_e64 s8, v64, v52
	s_mov_b32 s13, exec_lo
                                        ; implicit-def: $vgpr37
	v_cmpx_lt_u32_e64 v64, v52
; %bb.328:
	v_lshl_add_u32 v4, v54, 1, v55
	ds_read_u16 v37, v4
; %bb.329:
	s_or_b32 exec_lo, exec_lo, s13
	v_cmp_ge_u32_e64 s13, v65, v53
	s_mov_b32 s15, exec_lo
                                        ; implicit-def: $vgpr38
	v_cmpx_lt_u32_e64 v65, v53
; %bb.330:
	v_lshl_add_u32 v4, v65, 1, v10
	ds_read_u16 v38, v4
; %bb.331:
	s_or_b32 exec_lo, exec_lo, s15
	s_nor_b32 s8, s8, s13
	s_and_saveexec_b32 s9, s8
	s_cbranch_execz .LBB1954_341
; %bb.332:
	s_waitcnt lgkmcnt(0)
	v_lshlrev_b32_e32 v4, 16, v38
	v_add_f32_e32 v5, 0, v4
	v_and_b32_e32 v4, 0x7f800000, v5
	v_cmp_ne_u32_e64 s8, 0x7f800000, v4
                                        ; implicit-def: $vgpr4
	s_and_saveexec_b32 s15, s8
	s_xor_b32 s8, exec_lo, s15
; %bb.333:
	v_bfe_u32 v4, v5, 16, 1
	v_add3_u32 v4, v5, v4, 0x7fff
                                        ; implicit-def: $vgpr5
; %bb.334:
	s_andn2_saveexec_b32 s15, s8
; %bb.335:
	v_mov_b32_e32 v4, 0
	v_or_b32_e32 v8, 0x10000, v5
	v_cmp_eq_u32_sdwa s8, v5, v4 src0_sel:WORD_0 src1_sel:DWORD
	v_cndmask_b32_e64 v4, v8, v5, s8
; %bb.336:
	s_or_b32 exec_lo, exec_lo, s15
	v_lshlrev_b32_e32 v5, 16, v37
	v_add_f32_e32 v8, 0, v5
	v_and_b32_e32 v5, 0x7f800000, v8
	v_cmp_ne_u32_e64 s8, 0x7f800000, v5
                                        ; implicit-def: $vgpr5
	s_and_saveexec_b32 s15, s8
	s_xor_b32 s8, exec_lo, s15
; %bb.337:
	v_bfe_u32 v5, v8, 16, 1
	v_add3_u32 v5, v8, v5, 0x7fff
                                        ; implicit-def: $vgpr8
; %bb.338:
	s_andn2_saveexec_b32 s15, s8
; %bb.339:
	v_mov_b32_e32 v5, 0
	v_or_b32_e32 v9, 0x10000, v8
	v_cmp_eq_u32_sdwa s8, v8, v5 src0_sel:WORD_0 src1_sel:DWORD
	v_cndmask_b32_e64 v5, v9, v8, s8
; %bb.340:
	s_or_b32 exec_lo, exec_lo, s15
	v_cmp_lt_i32_e64 s8, -1, v4
	v_perm_b32 v4, v5, v4, 0x7060302
	s_andn2_b32 s13, s13, exec_lo
	v_cndmask_b32_e64 v8, -1, 0xffff8000, s8
	v_cmp_lt_i32_e64 s8, -1, v5
	v_cndmask_b32_e64 v9, -1, 0xffff8000, s8
	v_perm_b32 v5, v9, v8, 0x5040100
	v_xor_b32_e32 v4, v5, v4
	v_cmp_le_u16_sdwa s8, v4, v4 src0_sel:DWORD src1_sel:WORD_1
	s_and_b32 s8, s8, exec_lo
	s_or_b32 s13, s13, s8
.LBB1954_341:
	s_or_b32 exec_lo, exec_lo, s9
	v_cndmask_b32_e64 v4, v65, v64, s13
	v_cndmask_b32_e64 v5, v53, v52, s13
	s_mov_b32 s15, -1
	s_mov_b32 s9, -1
	s_mov_b32 s16, exec_lo
	v_add_nc_u32_e32 v8, 1, v4
	v_add_nc_u32_e32 v5, -1, v5
	v_lshl_add_u32 v4, v4, 3, v13
	v_cndmask_b32_e64 v15, v8, v65, s13
	v_min_u32_e32 v5, v8, v5
	v_cndmask_b32_e64 v16, v64, v8, s13
	v_lshl_add_u32 v5, v5, 1, v10
	ds_read_u16 v9, v5
	ds_read_b64 v[4:5], v4 offset:4096
	s_waitcnt lgkmcnt(1)
	v_cndmask_b32_e64 v48, v9, v38, s13
	v_cndmask_b32_e64 v54, v37, v9, s13
	v_cmpx_lt_u32_e64 v15, v53
	s_cbranch_execz .LBB1954_353
; %bb.342:
	s_mov_b32 s17, 0
	s_mov_b32 s9, exec_lo
	v_cmpx_lt_u32_e64 v16, v52
	s_cbranch_execz .LBB1954_352
; %bb.343:
	v_lshlrev_b32_e32 v8, 16, v48
	v_add_f32_e32 v9, 0, v8
	v_and_b32_e32 v8, 0x7f800000, v9
	v_cmp_ne_u32_e64 s8, 0x7f800000, v8
                                        ; implicit-def: $vgpr8
	s_and_saveexec_b32 s17, s8
	s_xor_b32 s8, exec_lo, s17
; %bb.344:
	v_bfe_u32 v8, v9, 16, 1
	v_add3_u32 v8, v9, v8, 0x7fff
                                        ; implicit-def: $vgpr9
; %bb.345:
	s_andn2_saveexec_b32 s17, s8
; %bb.346:
	v_mov_b32_e32 v8, 0
	v_or_b32_e32 v17, 0x10000, v9
	v_cmp_eq_u32_sdwa s8, v9, v8 src0_sel:WORD_0 src1_sel:DWORD
	v_cndmask_b32_e64 v8, v17, v9, s8
; %bb.347:
	s_or_b32 exec_lo, exec_lo, s17
	v_lshlrev_b32_e32 v9, 16, v54
	v_add_f32_e32 v17, 0, v9
	v_and_b32_e32 v9, 0x7f800000, v17
	v_cmp_ne_u32_e64 s8, 0x7f800000, v9
                                        ; implicit-def: $vgpr9
	s_and_saveexec_b32 s17, s8
	s_xor_b32 s8, exec_lo, s17
; %bb.348:
	v_bfe_u32 v9, v17, 16, 1
	v_add3_u32 v9, v17, v9, 0x7fff
                                        ; implicit-def: $vgpr17
; %bb.349:
	s_andn2_saveexec_b32 s17, s8
; %bb.350:
	v_mov_b32_e32 v9, 0
	v_or_b32_e32 v18, 0x10000, v17
	v_cmp_eq_u32_sdwa s8, v17, v9 src0_sel:WORD_0 src1_sel:DWORD
	v_cndmask_b32_e64 v9, v18, v17, s8
; %bb.351:
	s_or_b32 exec_lo, exec_lo, s17
	v_cmp_lt_i32_e64 s8, -1, v8
	v_perm_b32 v8, v9, v8, 0x7060302
	v_cndmask_b32_e64 v17, -1, 0xffff8000, s8
	v_cmp_lt_i32_e64 s8, -1, v9
	v_cndmask_b32_e64 v18, -1, 0xffff8000, s8
	v_perm_b32 v9, v18, v17, 0x5040100
	v_xor_b32_e32 v8, v9, v8
	v_cmp_le_u16_sdwa s8, v8, v8 src0_sel:DWORD src1_sel:WORD_1
	s_and_b32 s17, s8, exec_lo
.LBB1954_352:
	s_or_b32 exec_lo, exec_lo, s9
	s_orn2_b32 s9, s17, exec_lo
.LBB1954_353:
	s_or_b32 exec_lo, exec_lo, s16
	v_cndmask_b32_e64 v8, v15, v16, s9
	v_cndmask_b32_e64 v9, v53, v52, s9
	s_mov_b32 s16, exec_lo
	v_add_nc_u32_e32 v18, 1, v8
	v_add_nc_u32_e32 v9, -1, v9
	v_lshl_add_u32 v8, v8, 3, v13
	v_cndmask_b32_e64 v17, v18, v15, s9
	v_min_u32_e32 v9, v18, v9
	v_cndmask_b32_e64 v18, v16, v18, s9
	v_lshl_add_u32 v9, v9, 1, v10
	ds_read_u16 v19, v9
	ds_read_b64 v[8:9], v8 offset:4096
	s_waitcnt lgkmcnt(1)
	v_cndmask_b32_e64 v32, v19, v48, s9
	v_cndmask_b32_e64 v55, v54, v19, s9
	v_cmpx_lt_u32_e64 v17, v53
	s_cbranch_execz .LBB1954_365
; %bb.354:
	s_mov_b32 s17, 0
	s_mov_b32 s15, exec_lo
	v_cmpx_lt_u32_e64 v18, v52
	s_cbranch_execz .LBB1954_364
; %bb.355:
	v_lshlrev_b32_e32 v15, 16, v32
	v_add_f32_e32 v16, 0, v15
	v_and_b32_e32 v15, 0x7f800000, v16
	v_cmp_ne_u32_e64 s8, 0x7f800000, v15
                                        ; implicit-def: $vgpr15
	s_and_saveexec_b32 s17, s8
	s_xor_b32 s8, exec_lo, s17
; %bb.356:
	v_bfe_u32 v15, v16, 16, 1
	v_add3_u32 v15, v16, v15, 0x7fff
                                        ; implicit-def: $vgpr16
; %bb.357:
	s_andn2_saveexec_b32 s17, s8
; %bb.358:
	v_mov_b32_e32 v15, 0
	v_or_b32_e32 v19, 0x10000, v16
	v_cmp_eq_u32_sdwa s8, v16, v15 src0_sel:WORD_0 src1_sel:DWORD
	v_cndmask_b32_e64 v15, v19, v16, s8
; %bb.359:
	s_or_b32 exec_lo, exec_lo, s17
	v_lshlrev_b32_e32 v16, 16, v55
	v_add_f32_e32 v19, 0, v16
	v_and_b32_e32 v16, 0x7f800000, v19
	v_cmp_ne_u32_e64 s8, 0x7f800000, v16
                                        ; implicit-def: $vgpr16
	s_and_saveexec_b32 s17, s8
	s_xor_b32 s8, exec_lo, s17
; %bb.360:
	v_bfe_u32 v16, v19, 16, 1
	v_add3_u32 v16, v19, v16, 0x7fff
                                        ; implicit-def: $vgpr19
; %bb.361:
	s_andn2_saveexec_b32 s17, s8
; %bb.362:
	v_mov_b32_e32 v16, 0
	v_or_b32_e32 v20, 0x10000, v19
	v_cmp_eq_u32_sdwa s8, v19, v16 src0_sel:WORD_0 src1_sel:DWORD
	v_cndmask_b32_e64 v16, v20, v19, s8
; %bb.363:
	s_or_b32 exec_lo, exec_lo, s17
	v_cmp_lt_i32_e64 s8, -1, v15
	v_perm_b32 v15, v16, v15, 0x7060302
	v_cndmask_b32_e64 v19, -1, 0xffff8000, s8
	v_cmp_lt_i32_e64 s8, -1, v16
	v_cndmask_b32_e64 v20, -1, 0xffff8000, s8
	v_perm_b32 v16, v20, v19, 0x5040100
	v_xor_b32_e32 v15, v16, v15
	v_cmp_le_u16_sdwa s8, v15, v15 src0_sel:DWORD src1_sel:WORD_1
	s_and_b32 s17, s8, exec_lo
.LBB1954_364:
	s_or_b32 exec_lo, exec_lo, s15
	s_orn2_b32 s15, s17, exec_lo
.LBB1954_365:
	s_or_b32 exec_lo, exec_lo, s16
	v_cndmask_b32_e64 v15, v17, v18, s15
	v_cndmask_b32_e64 v16, v53, v52, s15
	s_mov_b32 s17, -1
	s_mov_b32 s16, -1
	s_mov_b32 s18, exec_lo
	v_add_nc_u32_e32 v20, 1, v15
	v_add_nc_u32_e32 v16, -1, v16
	v_lshl_add_u32 v15, v15, 3, v13
	v_cndmask_b32_e64 v19, v20, v17, s15
	v_min_u32_e32 v16, v20, v16
	v_cndmask_b32_e64 v20, v18, v20, s15
	v_lshl_add_u32 v16, v16, 1, v10
	ds_read_u16 v21, v16
	ds_read_b64 v[15:16], v15 offset:4096
	s_waitcnt lgkmcnt(1)
	v_cndmask_b32_e64 v51, v21, v32, s15
	v_cndmask_b32_e64 v64, v55, v21, s15
	v_cmpx_lt_u32_e64 v19, v53
	s_cbranch_execz .LBB1954_377
; %bb.366:
	s_mov_b32 s19, 0
	s_mov_b32 s16, exec_lo
	v_cmpx_lt_u32_e64 v20, v52
	s_cbranch_execz .LBB1954_376
; %bb.367:
	v_lshlrev_b32_e32 v17, 16, v51
	v_add_f32_e32 v18, 0, v17
	v_and_b32_e32 v17, 0x7f800000, v18
	v_cmp_ne_u32_e64 s8, 0x7f800000, v17
                                        ; implicit-def: $vgpr17
	s_and_saveexec_b32 s19, s8
	s_xor_b32 s8, exec_lo, s19
; %bb.368:
	v_bfe_u32 v17, v18, 16, 1
	v_add3_u32 v17, v18, v17, 0x7fff
                                        ; implicit-def: $vgpr18
; %bb.369:
	s_andn2_saveexec_b32 s19, s8
; %bb.370:
	v_mov_b32_e32 v17, 0
	v_or_b32_e32 v21, 0x10000, v18
	v_cmp_eq_u32_sdwa s8, v18, v17 src0_sel:WORD_0 src1_sel:DWORD
	v_cndmask_b32_e64 v17, v21, v18, s8
; %bb.371:
	s_or_b32 exec_lo, exec_lo, s19
	v_lshlrev_b32_e32 v18, 16, v64
	v_add_f32_e32 v21, 0, v18
	v_and_b32_e32 v18, 0x7f800000, v21
	v_cmp_ne_u32_e64 s8, 0x7f800000, v18
                                        ; implicit-def: $vgpr18
	s_and_saveexec_b32 s19, s8
	s_xor_b32 s8, exec_lo, s19
; %bb.372:
	v_bfe_u32 v18, v21, 16, 1
	v_add3_u32 v18, v21, v18, 0x7fff
                                        ; implicit-def: $vgpr21
; %bb.373:
	s_andn2_saveexec_b32 s19, s8
; %bb.374:
	v_mov_b32_e32 v18, 0
	v_or_b32_e32 v22, 0x10000, v21
	v_cmp_eq_u32_sdwa s8, v21, v18 src0_sel:WORD_0 src1_sel:DWORD
	v_cndmask_b32_e64 v18, v22, v21, s8
; %bb.375:
	s_or_b32 exec_lo, exec_lo, s19
	v_cmp_lt_i32_e64 s8, -1, v17
	v_perm_b32 v17, v18, v17, 0x7060302
	v_cndmask_b32_e64 v21, -1, 0xffff8000, s8
	v_cmp_lt_i32_e64 s8, -1, v18
	v_cndmask_b32_e64 v22, -1, 0xffff8000, s8
	v_perm_b32 v18, v22, v21, 0x5040100
	v_xor_b32_e32 v17, v18, v17
	v_cmp_le_u16_sdwa s8, v17, v17 src0_sel:DWORD src1_sel:WORD_1
	s_and_b32 s19, s8, exec_lo
.LBB1954_376:
	s_or_b32 exec_lo, exec_lo, s16
	s_orn2_b32 s16, s19, exec_lo
.LBB1954_377:
	s_or_b32 exec_lo, exec_lo, s18
	v_cndmask_b32_e64 v17, v19, v20, s16
	v_cndmask_b32_e64 v18, v53, v52, s16
	s_mov_b32 s18, exec_lo
	v_add_nc_u32_e32 v22, 1, v17
	v_add_nc_u32_e32 v18, -1, v18
	v_lshl_add_u32 v17, v17, 3, v13
	v_cndmask_b32_e64 v21, v22, v19, s16
	v_min_u32_e32 v18, v22, v18
	v_cndmask_b32_e64 v22, v20, v22, s16
	v_lshl_add_u32 v18, v18, 1, v10
	ds_read_u16 v23, v18
	ds_read_b64 v[17:18], v17 offset:4096
	s_waitcnt lgkmcnt(1)
	v_cndmask_b32_e64 v49, v23, v51, s16
	v_cndmask_b32_e64 v65, v64, v23, s16
	v_cmpx_lt_u32_e64 v21, v53
	s_cbranch_execz .LBB1954_389
; %bb.378:
	s_mov_b32 s19, 0
	s_mov_b32 s17, exec_lo
	v_cmpx_lt_u32_e64 v22, v52
	s_cbranch_execz .LBB1954_388
; %bb.379:
	v_lshlrev_b32_e32 v19, 16, v49
	v_add_f32_e32 v20, 0, v19
	v_and_b32_e32 v19, 0x7f800000, v20
	v_cmp_ne_u32_e64 s8, 0x7f800000, v19
                                        ; implicit-def: $vgpr19
	s_and_saveexec_b32 s19, s8
	s_xor_b32 s8, exec_lo, s19
; %bb.380:
	v_bfe_u32 v19, v20, 16, 1
	v_add3_u32 v19, v20, v19, 0x7fff
                                        ; implicit-def: $vgpr20
; %bb.381:
	s_andn2_saveexec_b32 s19, s8
; %bb.382:
	v_mov_b32_e32 v19, 0
	v_or_b32_e32 v23, 0x10000, v20
	v_cmp_eq_u32_sdwa s8, v20, v19 src0_sel:WORD_0 src1_sel:DWORD
	v_cndmask_b32_e64 v19, v23, v20, s8
; %bb.383:
	s_or_b32 exec_lo, exec_lo, s19
	v_lshlrev_b32_e32 v20, 16, v65
	v_add_f32_e32 v23, 0, v20
	v_and_b32_e32 v20, 0x7f800000, v23
	v_cmp_ne_u32_e64 s8, 0x7f800000, v20
                                        ; implicit-def: $vgpr20
	s_and_saveexec_b32 s19, s8
	s_xor_b32 s8, exec_lo, s19
; %bb.384:
	v_bfe_u32 v20, v23, 16, 1
	v_add3_u32 v20, v23, v20, 0x7fff
                                        ; implicit-def: $vgpr23
; %bb.385:
	s_andn2_saveexec_b32 s19, s8
; %bb.386:
	v_mov_b32_e32 v20, 0
	v_or_b32_e32 v24, 0x10000, v23
	v_cmp_eq_u32_sdwa s8, v23, v20 src0_sel:WORD_0 src1_sel:DWORD
	v_cndmask_b32_e64 v20, v24, v23, s8
; %bb.387:
	s_or_b32 exec_lo, exec_lo, s19
	v_cmp_lt_i32_e64 s8, -1, v19
	v_perm_b32 v19, v20, v19, 0x7060302
	v_cndmask_b32_e64 v23, -1, 0xffff8000, s8
	v_cmp_lt_i32_e64 s8, -1, v20
	v_cndmask_b32_e64 v24, -1, 0xffff8000, s8
	v_perm_b32 v20, v24, v23, 0x5040100
	v_xor_b32_e32 v19, v20, v19
	v_cmp_le_u16_sdwa s8, v19, v19 src0_sel:DWORD src1_sel:WORD_1
	s_and_b32 s19, s8, exec_lo
.LBB1954_388:
	s_or_b32 exec_lo, exec_lo, s17
	s_orn2_b32 s17, s19, exec_lo
.LBB1954_389:
	s_or_b32 exec_lo, exec_lo, s18
	v_cndmask_b32_e64 v19, v21, v22, s17
	v_cndmask_b32_e64 v20, v53, v52, s17
	s_mov_b32 s19, -1
	s_mov_b32 s18, -1
	s_mov_b32 s20, exec_lo
	v_add_nc_u32_e32 v23, 1, v19
	v_add_nc_u32_e32 v20, -1, v20
	v_lshl_add_u32 v19, v19, 3, v13
	v_cndmask_b32_e64 v21, v23, v21, s17
	v_min_u32_e32 v20, v23, v20
	v_cndmask_b32_e64 v22, v22, v23, s17
	v_lshl_add_u32 v20, v20, 1, v10
	ds_read_u16 v24, v20
	ds_read_b64 v[19:20], v19 offset:4096
	s_waitcnt lgkmcnt(1)
	v_cndmask_b32_e64 v39, v24, v49, s17
	v_cndmask_b32_e64 v66, v65, v24, s17
	v_cmpx_lt_u32_e64 v21, v53
	s_cbranch_execz .LBB1954_401
; %bb.390:
	s_mov_b32 s21, 0
	s_mov_b32 s18, exec_lo
	v_cmpx_lt_u32_e64 v22, v52
	s_cbranch_execz .LBB1954_400
; %bb.391:
	v_lshlrev_b32_e32 v23, 16, v39
	v_add_f32_e32 v24, 0, v23
	v_and_b32_e32 v23, 0x7f800000, v24
	v_cmp_ne_u32_e64 s8, 0x7f800000, v23
                                        ; implicit-def: $vgpr23
	s_and_saveexec_b32 s21, s8
	s_xor_b32 s8, exec_lo, s21
; %bb.392:
	v_bfe_u32 v23, v24, 16, 1
	v_add3_u32 v23, v24, v23, 0x7fff
                                        ; implicit-def: $vgpr24
; %bb.393:
	s_andn2_saveexec_b32 s21, s8
; %bb.394:
	v_mov_b32_e32 v23, 0
	v_or_b32_e32 v25, 0x10000, v24
	v_cmp_eq_u32_sdwa s8, v24, v23 src0_sel:WORD_0 src1_sel:DWORD
	v_cndmask_b32_e64 v23, v25, v24, s8
; %bb.395:
	s_or_b32 exec_lo, exec_lo, s21
	v_lshlrev_b32_e32 v24, 16, v66
	v_add_f32_e32 v25, 0, v24
	v_and_b32_e32 v24, 0x7f800000, v25
	v_cmp_ne_u32_e64 s8, 0x7f800000, v24
                                        ; implicit-def: $vgpr24
	s_and_saveexec_b32 s21, s8
	s_xor_b32 s8, exec_lo, s21
; %bb.396:
	v_bfe_u32 v24, v25, 16, 1
	v_add3_u32 v24, v25, v24, 0x7fff
                                        ; implicit-def: $vgpr25
; %bb.397:
	s_andn2_saveexec_b32 s21, s8
; %bb.398:
	v_mov_b32_e32 v24, 0
	v_or_b32_e32 v26, 0x10000, v25
	v_cmp_eq_u32_sdwa s8, v25, v24 src0_sel:WORD_0 src1_sel:DWORD
	v_cndmask_b32_e64 v24, v26, v25, s8
; %bb.399:
	s_or_b32 exec_lo, exec_lo, s21
	v_cmp_lt_i32_e64 s8, -1, v23
	v_perm_b32 v23, v24, v23, 0x7060302
	v_cndmask_b32_e64 v25, -1, 0xffff8000, s8
	v_cmp_lt_i32_e64 s8, -1, v24
	v_cndmask_b32_e64 v26, -1, 0xffff8000, s8
	v_perm_b32 v24, v26, v25, 0x5040100
	v_xor_b32_e32 v23, v24, v23
	v_cmp_le_u16_sdwa s8, v23, v23 src0_sel:DWORD src1_sel:WORD_1
	s_and_b32 s21, s8, exec_lo
.LBB1954_400:
	s_or_b32 exec_lo, exec_lo, s18
	s_orn2_b32 s18, s21, exec_lo
.LBB1954_401:
	s_or_b32 exec_lo, exec_lo, s20
	v_cndmask_b32_e64 v23, v21, v22, s18
	v_cndmask_b32_e64 v24, v53, v52, s18
	s_mov_b32 s20, exec_lo
	v_add_nc_u32_e32 v26, 1, v23
	v_add_nc_u32_e32 v24, -1, v24
	v_lshl_add_u32 v23, v23, 3, v13
	v_cndmask_b32_e64 v25, v26, v21, s18
	v_min_u32_e32 v24, v26, v24
	v_cndmask_b32_e64 v26, v22, v26, s18
	v_lshl_add_u32 v24, v24, 1, v10
	ds_read_u16 v67, v24
	ds_read_b64 v[23:24], v23 offset:4096
	s_waitcnt lgkmcnt(1)
	v_cndmask_b32_e64 v50, v67, v39, s18
	v_cndmask_b32_e64 v67, v66, v67, s18
	v_cmpx_lt_u32_e64 v25, v53
	s_cbranch_execz .LBB1954_413
; %bb.402:
	s_mov_b32 s21, 0
	s_mov_b32 s19, exec_lo
	v_cmpx_lt_u32_e64 v26, v52
	s_cbranch_execz .LBB1954_412
; %bb.403:
	v_lshlrev_b32_e32 v21, 16, v50
	v_add_f32_e32 v22, 0, v21
	v_and_b32_e32 v21, 0x7f800000, v22
	v_cmp_ne_u32_e64 s8, 0x7f800000, v21
                                        ; implicit-def: $vgpr21
	s_and_saveexec_b32 s21, s8
	s_xor_b32 s8, exec_lo, s21
; %bb.404:
	v_bfe_u32 v21, v22, 16, 1
	v_add3_u32 v21, v22, v21, 0x7fff
                                        ; implicit-def: $vgpr22
; %bb.405:
	s_andn2_saveexec_b32 s21, s8
; %bb.406:
	v_mov_b32_e32 v21, 0
	v_or_b32_e32 v68, 0x10000, v22
	v_cmp_eq_u32_sdwa s8, v22, v21 src0_sel:WORD_0 src1_sel:DWORD
	v_cndmask_b32_e64 v21, v68, v22, s8
; %bb.407:
	s_or_b32 exec_lo, exec_lo, s21
	v_lshlrev_b32_e32 v22, 16, v67
	v_add_f32_e32 v68, 0, v22
	v_and_b32_e32 v22, 0x7f800000, v68
	v_cmp_ne_u32_e64 s8, 0x7f800000, v22
                                        ; implicit-def: $vgpr22
	s_and_saveexec_b32 s21, s8
	s_xor_b32 s8, exec_lo, s21
; %bb.408:
	v_bfe_u32 v22, v68, 16, 1
	v_add3_u32 v22, v68, v22, 0x7fff
                                        ; implicit-def: $vgpr68
; %bb.409:
	s_andn2_saveexec_b32 s21, s8
; %bb.410:
	v_mov_b32_e32 v22, 0
	v_or_b32_e32 v69, 0x10000, v68
	v_cmp_eq_u32_sdwa s8, v68, v22 src0_sel:WORD_0 src1_sel:DWORD
	v_cndmask_b32_e64 v22, v69, v68, s8
; %bb.411:
	s_or_b32 exec_lo, exec_lo, s21
	v_cmp_lt_i32_e64 s8, -1, v21
	v_perm_b32 v21, v22, v21, 0x7060302
	v_cndmask_b32_e64 v68, -1, 0xffff8000, s8
	v_cmp_lt_i32_e64 s8, -1, v22
	v_cndmask_b32_e64 v69, -1, 0xffff8000, s8
	v_perm_b32 v22, v69, v68, 0x5040100
	v_xor_b32_e32 v21, v22, v21
	v_cmp_le_u16_sdwa s8, v21, v21 src0_sel:DWORD src1_sel:WORD_1
	s_and_b32 s21, s8, exec_lo
.LBB1954_412:
	s_or_b32 exec_lo, exec_lo, s19
	s_orn2_b32 s19, s21, exec_lo
.LBB1954_413:
	s_or_b32 exec_lo, exec_lo, s20
	v_cndmask_b32_e64 v21, v25, v26, s19
	v_cndmask_b32_e64 v22, v53, v52, s19
	s_mov_b32 s21, -1
	s_mov_b32 s20, exec_lo
	v_add_nc_u32_e32 v68, 1, v21
	v_add_nc_u32_e32 v22, -1, v22
	v_lshl_add_u32 v21, v21, 3, v13
	v_cndmask_b32_e64 v25, v68, v25, s19
	v_min_u32_e32 v22, v68, v22
	v_cndmask_b32_e64 v26, v26, v68, s19
	v_lshl_add_u32 v22, v22, 1, v10
	ds_read_u16 v69, v22
	ds_read_b64 v[21:22], v21 offset:4096
	s_waitcnt lgkmcnt(1)
	v_cndmask_b32_e64 v68, v69, v50, s19
	v_cndmask_b32_e64 v69, v67, v69, s19
	v_cmpx_lt_u32_e64 v25, v53
	s_cbranch_execz .LBB1954_425
; %bb.414:
	s_mov_b32 s22, 0
	s_mov_b32 s21, exec_lo
	v_cmpx_lt_u32_e64 v26, v52
	s_cbranch_execz .LBB1954_424
; %bb.415:
	v_lshlrev_b32_e32 v52, 16, v68
	v_add_f32_e32 v53, 0, v52
	v_and_b32_e32 v52, 0x7f800000, v53
	v_cmp_ne_u32_e64 s8, 0x7f800000, v52
                                        ; implicit-def: $vgpr52
	s_and_saveexec_b32 s22, s8
	s_xor_b32 s8, exec_lo, s22
; %bb.416:
	v_bfe_u32 v52, v53, 16, 1
	v_add3_u32 v52, v53, v52, 0x7fff
                                        ; implicit-def: $vgpr53
; %bb.417:
	s_andn2_saveexec_b32 s22, s8
; %bb.418:
	v_mov_b32_e32 v52, 0
	v_or_b32_e32 v70, 0x10000, v53
	v_cmp_eq_u32_sdwa s8, v53, v52 src0_sel:WORD_0 src1_sel:DWORD
	v_cndmask_b32_e64 v52, v70, v53, s8
; %bb.419:
	s_or_b32 exec_lo, exec_lo, s22
	v_lshlrev_b32_e32 v53, 16, v69
	v_add_f32_e32 v70, 0, v53
	v_and_b32_e32 v53, 0x7f800000, v70
	v_cmp_ne_u32_e64 s8, 0x7f800000, v53
                                        ; implicit-def: $vgpr53
	s_and_saveexec_b32 s22, s8
	s_xor_b32 s8, exec_lo, s22
; %bb.420:
	v_bfe_u32 v53, v70, 16, 1
	v_add3_u32 v53, v70, v53, 0x7fff
                                        ; implicit-def: $vgpr70
; %bb.421:
	s_andn2_saveexec_b32 s22, s8
; %bb.422:
	v_mov_b32_e32 v53, 0
	v_or_b32_e32 v71, 0x10000, v70
	v_cmp_eq_u32_sdwa s8, v70, v53 src0_sel:WORD_0 src1_sel:DWORD
	v_cndmask_b32_e64 v53, v71, v70, s8
; %bb.423:
	s_or_b32 exec_lo, exec_lo, s22
	v_cmp_lt_i32_e64 s8, -1, v52
	v_perm_b32 v52, v53, v52, 0x7060302
	v_cndmask_b32_e64 v70, -1, 0xffff8000, s8
	v_cmp_lt_i32_e64 s8, -1, v53
	v_cndmask_b32_e64 v71, -1, 0xffff8000, s8
	v_perm_b32 v53, v71, v70, 0x5040100
	v_xor_b32_e32 v52, v53, v52
	v_cmp_le_u16_sdwa s8, v52, v52 src0_sel:DWORD src1_sel:WORD_1
	s_and_b32 s22, s8, exec_lo
.LBB1954_424:
	s_or_b32 exec_lo, exec_lo, s21
	s_orn2_b32 s21, s22, exec_lo
.LBB1954_425:
	s_or_b32 exec_lo, exec_lo, s20
	v_cndmask_b32_e64 v25, v25, v26, s21
	v_cndmask_b32_e64 v50, v50, v67, s19
	;; [unrolled: 1-line block ×5, first 2 shown]
	v_lshl_add_u32 v25, v25, 3, v13
	v_cndmask_b32_e64 v32, v32, v55, s15
	v_cndmask_b32_e64 v48, v48, v54, s9
	;; [unrolled: 1-line block ×4, first 2 shown]
	ds_read_b64 v[25:26], v25 offset:4096
.LBB1954_426:
	s_or_b32 exec_lo, exec_lo, s12
	v_and_b32_e32 v64, 0xe0, v36
	v_and_b32_e32 v54, 24, v36
	v_perm_b32 v68, v38, v50, 0x5040100
	v_perm_b32 v67, v39, v49, 0x5040100
	;; [unrolled: 1-line block ×3, first 2 shown]
	v_or_b32_e32 v52, 16, v64
	v_min_u32_e32 v65, v27, v54
	v_perm_b32 v69, v48, v37, 0x5040100
	s_mov_b32 s9, exec_lo
	v_min_u32_e32 v52, v27, v52
	; wave barrier
	ds_write2_b64 v31, v[4:5], v[8:9] offset1:1
	ds_write2_b64 v28, v[15:16], v[17:18] offset1:1
	;; [unrolled: 1-line block ×4, first 2 shown]
	s_waitcnt lgkmcnt(4)
	ds_write2_b64 v30, v[21:22], v[25:26] offset1:1
	v_add_nc_u32_e32 v53, 16, v52
	v_sub_nc_u32_e32 v55, v52, v64
	; wave barrier
	v_min_u32_e32 v53, v27, v53
	v_min_u32_e32 v66, v65, v55
	v_lshl_add_u32 v55, v64, 1, v10
	v_sub_nc_u32_e32 v54, v53, v52
	v_sub_nc_u32_e64 v54, v65, v54 clamp
	v_cmpx_lt_u32_e64 v54, v66
	s_cbranch_execz .LBB1954_438
; %bb.427:
	v_lshlrev_b32_e32 v67, 1, v52
	v_lshlrev_b32_e32 v68, 1, v65
	s_mov_b32 s12, 0
	v_add3_u32 v67, v10, v67, v68
	v_mov_b32_e32 v68, 0
	s_branch .LBB1954_429
.LBB1954_428:                           ;   in Loop: Header=BB1954_429 Depth=1
	s_or_b32 exec_lo, exec_lo, s13
	v_cmp_lt_i32_e64 s8, -1, v70
	v_cndmask_b32_e64 v80, -1, 0xffff8000, s8
	v_cmp_lt_i32_e64 s8, -1, v71
	v_xor_b32_sdwa v70, v80, v70 dst_sel:DWORD dst_unused:UNUSED_PAD src0_sel:DWORD src1_sel:WORD_1
	v_cndmask_b32_e64 v81, -1, 0xffff8000, s8
	v_add_nc_u32_e32 v80, 1, v69
	v_xor_b32_sdwa v71, v81, v71 dst_sel:DWORD dst_unused:UNUSED_PAD src0_sel:DWORD src1_sel:WORD_1
	v_cmp_gt_u16_e64 s8, v70, v71
	v_cndmask_b32_e64 v66, v66, v69, s8
	v_cndmask_b32_e64 v54, v80, v54, s8
	v_cmp_ge_u32_e64 s8, v54, v66
	s_or_b32 s12, s8, s12
	s_andn2_b32 exec_lo, exec_lo, s12
	s_cbranch_execz .LBB1954_437
.LBB1954_429:                           ; =>This Inner Loop Header: Depth=1
	v_add_nc_u32_e32 v70, v66, v54
	v_lshrrev_b32_e32 v69, 1, v70
	v_and_b32_e32 v70, -2, v70
	v_not_b32_e32 v71, v69
	v_add_nc_u32_e32 v70, v55, v70
	v_lshl_add_u32 v71, v71, 1, v67
	ds_read_u16 v80, v71
	ds_read_u16 v71, v70
	s_waitcnt lgkmcnt(1)
	v_lshlrev_b32_e32 v70, 16, v80
	v_add_f32_e32 v80, 0, v70
	v_and_b32_e32 v70, 0x7f800000, v80
	v_cmp_ne_u32_e64 s8, 0x7f800000, v70
                                        ; implicit-def: $vgpr70
	s_and_saveexec_b32 s13, s8
	s_xor_b32 s8, exec_lo, s13
; %bb.430:                              ;   in Loop: Header=BB1954_429 Depth=1
	v_bfe_u32 v70, v80, 16, 1
	v_add3_u32 v70, v80, v70, 0x7fff
                                        ; implicit-def: $vgpr80
; %bb.431:                              ;   in Loop: Header=BB1954_429 Depth=1
	s_andn2_saveexec_b32 s13, s8
; %bb.432:                              ;   in Loop: Header=BB1954_429 Depth=1
	v_or_b32_e32 v70, 0x10000, v80
	v_cmp_eq_u32_sdwa s8, v80, v68 src0_sel:WORD_0 src1_sel:DWORD
	v_cndmask_b32_e64 v70, v70, v80, s8
; %bb.433:                              ;   in Loop: Header=BB1954_429 Depth=1
	s_or_b32 exec_lo, exec_lo, s13
	s_waitcnt lgkmcnt(0)
	v_lshlrev_b32_e32 v71, 16, v71
	v_add_f32_e32 v80, 0, v71
	v_and_b32_e32 v71, 0x7f800000, v80
	v_cmp_ne_u32_e64 s8, 0x7f800000, v71
                                        ; implicit-def: $vgpr71
	s_and_saveexec_b32 s13, s8
	s_xor_b32 s8, exec_lo, s13
; %bb.434:                              ;   in Loop: Header=BB1954_429 Depth=1
	v_bfe_u32 v71, v80, 16, 1
	v_add3_u32 v71, v80, v71, 0x7fff
                                        ; implicit-def: $vgpr80
; %bb.435:                              ;   in Loop: Header=BB1954_429 Depth=1
	s_andn2_saveexec_b32 s13, s8
	s_cbranch_execz .LBB1954_428
; %bb.436:                              ;   in Loop: Header=BB1954_429 Depth=1
	v_or_b32_e32 v71, 0x10000, v80
	v_cmp_eq_u32_sdwa s8, v80, v68 src0_sel:WORD_0 src1_sel:DWORD
	v_cndmask_b32_e64 v71, v71, v80, s8
	s_branch .LBB1954_428
.LBB1954_437:
	s_or_b32 exec_lo, exec_lo, s12
.LBB1954_438:
	s_or_b32 exec_lo, exec_lo, s9
	v_add_nc_u32_e32 v65, v52, v65
	v_add_nc_u32_e32 v64, v54, v64
	v_sub_nc_u32_e32 v65, v65, v54
	v_cmp_le_u32_e64 s8, v64, v52
	v_cmp_le_u32_e64 s9, v65, v53
	s_or_b32 s8, s8, s9
	s_and_saveexec_b32 s12, s8
	s_cbranch_execz .LBB1954_538
; %bb.439:
	v_cmp_ge_u32_e64 s8, v64, v52
	s_mov_b32 s13, exec_lo
                                        ; implicit-def: $vgpr37
	v_cmpx_lt_u32_e64 v64, v52
; %bb.440:
	v_lshl_add_u32 v4, v54, 1, v55
	ds_read_u16 v37, v4
; %bb.441:
	s_or_b32 exec_lo, exec_lo, s13
	v_cmp_ge_u32_e64 s13, v65, v53
	s_mov_b32 s15, exec_lo
                                        ; implicit-def: $vgpr38
	v_cmpx_lt_u32_e64 v65, v53
; %bb.442:
	v_lshl_add_u32 v4, v65, 1, v10
	ds_read_u16 v38, v4
; %bb.443:
	s_or_b32 exec_lo, exec_lo, s15
	s_nor_b32 s8, s8, s13
	s_and_saveexec_b32 s9, s8
	s_cbranch_execz .LBB1954_453
; %bb.444:
	s_waitcnt lgkmcnt(0)
	v_lshlrev_b32_e32 v4, 16, v38
	v_add_f32_e32 v5, 0, v4
	v_and_b32_e32 v4, 0x7f800000, v5
	v_cmp_ne_u32_e64 s8, 0x7f800000, v4
                                        ; implicit-def: $vgpr4
	s_and_saveexec_b32 s15, s8
	s_xor_b32 s8, exec_lo, s15
; %bb.445:
	v_bfe_u32 v4, v5, 16, 1
	v_add3_u32 v4, v5, v4, 0x7fff
                                        ; implicit-def: $vgpr5
; %bb.446:
	s_andn2_saveexec_b32 s15, s8
; %bb.447:
	v_mov_b32_e32 v4, 0
	v_or_b32_e32 v8, 0x10000, v5
	v_cmp_eq_u32_sdwa s8, v5, v4 src0_sel:WORD_0 src1_sel:DWORD
	v_cndmask_b32_e64 v4, v8, v5, s8
; %bb.448:
	s_or_b32 exec_lo, exec_lo, s15
	v_lshlrev_b32_e32 v5, 16, v37
	v_add_f32_e32 v8, 0, v5
	v_and_b32_e32 v5, 0x7f800000, v8
	v_cmp_ne_u32_e64 s8, 0x7f800000, v5
                                        ; implicit-def: $vgpr5
	s_and_saveexec_b32 s15, s8
	s_xor_b32 s8, exec_lo, s15
; %bb.449:
	v_bfe_u32 v5, v8, 16, 1
	v_add3_u32 v5, v8, v5, 0x7fff
                                        ; implicit-def: $vgpr8
; %bb.450:
	s_andn2_saveexec_b32 s15, s8
; %bb.451:
	v_mov_b32_e32 v5, 0
	v_or_b32_e32 v9, 0x10000, v8
	v_cmp_eq_u32_sdwa s8, v8, v5 src0_sel:WORD_0 src1_sel:DWORD
	v_cndmask_b32_e64 v5, v9, v8, s8
; %bb.452:
	s_or_b32 exec_lo, exec_lo, s15
	v_cmp_lt_i32_e64 s8, -1, v4
	v_perm_b32 v4, v5, v4, 0x7060302
	s_andn2_b32 s13, s13, exec_lo
	v_cndmask_b32_e64 v8, -1, 0xffff8000, s8
	v_cmp_lt_i32_e64 s8, -1, v5
	v_cndmask_b32_e64 v9, -1, 0xffff8000, s8
	v_perm_b32 v5, v9, v8, 0x5040100
	v_xor_b32_e32 v4, v5, v4
	v_cmp_le_u16_sdwa s8, v4, v4 src0_sel:DWORD src1_sel:WORD_1
	s_and_b32 s8, s8, exec_lo
	s_or_b32 s13, s13, s8
.LBB1954_453:
	s_or_b32 exec_lo, exec_lo, s9
	v_cndmask_b32_e64 v4, v65, v64, s13
	v_cndmask_b32_e64 v5, v53, v52, s13
	s_mov_b32 s15, -1
	s_mov_b32 s9, -1
	s_mov_b32 s16, exec_lo
	v_add_nc_u32_e32 v8, 1, v4
	v_add_nc_u32_e32 v5, -1, v5
	v_lshl_add_u32 v4, v4, 3, v13
	v_cndmask_b32_e64 v15, v8, v65, s13
	v_min_u32_e32 v5, v8, v5
	v_cndmask_b32_e64 v16, v64, v8, s13
	v_lshl_add_u32 v5, v5, 1, v10
	ds_read_u16 v9, v5
	ds_read_b64 v[4:5], v4 offset:4096
	s_waitcnt lgkmcnt(1)
	v_cndmask_b32_e64 v48, v9, v38, s13
	v_cndmask_b32_e64 v54, v37, v9, s13
	v_cmpx_lt_u32_e64 v15, v53
	s_cbranch_execz .LBB1954_465
; %bb.454:
	s_mov_b32 s17, 0
	s_mov_b32 s9, exec_lo
	v_cmpx_lt_u32_e64 v16, v52
	s_cbranch_execz .LBB1954_464
; %bb.455:
	v_lshlrev_b32_e32 v8, 16, v48
	v_add_f32_e32 v9, 0, v8
	v_and_b32_e32 v8, 0x7f800000, v9
	v_cmp_ne_u32_e64 s8, 0x7f800000, v8
                                        ; implicit-def: $vgpr8
	s_and_saveexec_b32 s17, s8
	s_xor_b32 s8, exec_lo, s17
; %bb.456:
	v_bfe_u32 v8, v9, 16, 1
	v_add3_u32 v8, v9, v8, 0x7fff
                                        ; implicit-def: $vgpr9
; %bb.457:
	s_andn2_saveexec_b32 s17, s8
; %bb.458:
	v_mov_b32_e32 v8, 0
	v_or_b32_e32 v17, 0x10000, v9
	v_cmp_eq_u32_sdwa s8, v9, v8 src0_sel:WORD_0 src1_sel:DWORD
	v_cndmask_b32_e64 v8, v17, v9, s8
; %bb.459:
	s_or_b32 exec_lo, exec_lo, s17
	v_lshlrev_b32_e32 v9, 16, v54
	v_add_f32_e32 v17, 0, v9
	v_and_b32_e32 v9, 0x7f800000, v17
	v_cmp_ne_u32_e64 s8, 0x7f800000, v9
                                        ; implicit-def: $vgpr9
	s_and_saveexec_b32 s17, s8
	s_xor_b32 s8, exec_lo, s17
; %bb.460:
	v_bfe_u32 v9, v17, 16, 1
	v_add3_u32 v9, v17, v9, 0x7fff
                                        ; implicit-def: $vgpr17
; %bb.461:
	s_andn2_saveexec_b32 s17, s8
; %bb.462:
	v_mov_b32_e32 v9, 0
	v_or_b32_e32 v18, 0x10000, v17
	v_cmp_eq_u32_sdwa s8, v17, v9 src0_sel:WORD_0 src1_sel:DWORD
	v_cndmask_b32_e64 v9, v18, v17, s8
; %bb.463:
	s_or_b32 exec_lo, exec_lo, s17
	v_cmp_lt_i32_e64 s8, -1, v8
	v_perm_b32 v8, v9, v8, 0x7060302
	v_cndmask_b32_e64 v17, -1, 0xffff8000, s8
	v_cmp_lt_i32_e64 s8, -1, v9
	v_cndmask_b32_e64 v18, -1, 0xffff8000, s8
	v_perm_b32 v9, v18, v17, 0x5040100
	v_xor_b32_e32 v8, v9, v8
	v_cmp_le_u16_sdwa s8, v8, v8 src0_sel:DWORD src1_sel:WORD_1
	s_and_b32 s17, s8, exec_lo
.LBB1954_464:
	s_or_b32 exec_lo, exec_lo, s9
	s_orn2_b32 s9, s17, exec_lo
.LBB1954_465:
	s_or_b32 exec_lo, exec_lo, s16
	v_cndmask_b32_e64 v8, v15, v16, s9
	v_cndmask_b32_e64 v9, v53, v52, s9
	s_mov_b32 s16, exec_lo
	v_add_nc_u32_e32 v18, 1, v8
	v_add_nc_u32_e32 v9, -1, v9
	v_lshl_add_u32 v8, v8, 3, v13
	v_cndmask_b32_e64 v17, v18, v15, s9
	v_min_u32_e32 v9, v18, v9
	v_cndmask_b32_e64 v18, v16, v18, s9
	v_lshl_add_u32 v9, v9, 1, v10
	ds_read_u16 v19, v9
	ds_read_b64 v[8:9], v8 offset:4096
	s_waitcnt lgkmcnt(1)
	v_cndmask_b32_e64 v32, v19, v48, s9
	v_cndmask_b32_e64 v55, v54, v19, s9
	v_cmpx_lt_u32_e64 v17, v53
	s_cbranch_execz .LBB1954_477
; %bb.466:
	s_mov_b32 s17, 0
	s_mov_b32 s15, exec_lo
	v_cmpx_lt_u32_e64 v18, v52
	s_cbranch_execz .LBB1954_476
; %bb.467:
	v_lshlrev_b32_e32 v15, 16, v32
	v_add_f32_e32 v16, 0, v15
	v_and_b32_e32 v15, 0x7f800000, v16
	v_cmp_ne_u32_e64 s8, 0x7f800000, v15
                                        ; implicit-def: $vgpr15
	s_and_saveexec_b32 s17, s8
	s_xor_b32 s8, exec_lo, s17
; %bb.468:
	v_bfe_u32 v15, v16, 16, 1
	v_add3_u32 v15, v16, v15, 0x7fff
                                        ; implicit-def: $vgpr16
; %bb.469:
	s_andn2_saveexec_b32 s17, s8
; %bb.470:
	v_mov_b32_e32 v15, 0
	v_or_b32_e32 v19, 0x10000, v16
	v_cmp_eq_u32_sdwa s8, v16, v15 src0_sel:WORD_0 src1_sel:DWORD
	v_cndmask_b32_e64 v15, v19, v16, s8
; %bb.471:
	s_or_b32 exec_lo, exec_lo, s17
	v_lshlrev_b32_e32 v16, 16, v55
	v_add_f32_e32 v19, 0, v16
	v_and_b32_e32 v16, 0x7f800000, v19
	v_cmp_ne_u32_e64 s8, 0x7f800000, v16
                                        ; implicit-def: $vgpr16
	s_and_saveexec_b32 s17, s8
	s_xor_b32 s8, exec_lo, s17
; %bb.472:
	v_bfe_u32 v16, v19, 16, 1
	v_add3_u32 v16, v19, v16, 0x7fff
                                        ; implicit-def: $vgpr19
; %bb.473:
	s_andn2_saveexec_b32 s17, s8
; %bb.474:
	v_mov_b32_e32 v16, 0
	v_or_b32_e32 v20, 0x10000, v19
	v_cmp_eq_u32_sdwa s8, v19, v16 src0_sel:WORD_0 src1_sel:DWORD
	v_cndmask_b32_e64 v16, v20, v19, s8
; %bb.475:
	s_or_b32 exec_lo, exec_lo, s17
	v_cmp_lt_i32_e64 s8, -1, v15
	v_perm_b32 v15, v16, v15, 0x7060302
	v_cndmask_b32_e64 v19, -1, 0xffff8000, s8
	v_cmp_lt_i32_e64 s8, -1, v16
	v_cndmask_b32_e64 v20, -1, 0xffff8000, s8
	v_perm_b32 v16, v20, v19, 0x5040100
	v_xor_b32_e32 v15, v16, v15
	v_cmp_le_u16_sdwa s8, v15, v15 src0_sel:DWORD src1_sel:WORD_1
	s_and_b32 s17, s8, exec_lo
.LBB1954_476:
	s_or_b32 exec_lo, exec_lo, s15
	s_orn2_b32 s15, s17, exec_lo
.LBB1954_477:
	s_or_b32 exec_lo, exec_lo, s16
	v_cndmask_b32_e64 v15, v17, v18, s15
	v_cndmask_b32_e64 v16, v53, v52, s15
	s_mov_b32 s17, -1
	s_mov_b32 s16, -1
	s_mov_b32 s18, exec_lo
	v_add_nc_u32_e32 v20, 1, v15
	v_add_nc_u32_e32 v16, -1, v16
	v_lshl_add_u32 v15, v15, 3, v13
	v_cndmask_b32_e64 v19, v20, v17, s15
	v_min_u32_e32 v16, v20, v16
	v_cndmask_b32_e64 v20, v18, v20, s15
	v_lshl_add_u32 v16, v16, 1, v10
	ds_read_u16 v21, v16
	ds_read_b64 v[15:16], v15 offset:4096
	s_waitcnt lgkmcnt(1)
	v_cndmask_b32_e64 v51, v21, v32, s15
	v_cndmask_b32_e64 v64, v55, v21, s15
	v_cmpx_lt_u32_e64 v19, v53
	s_cbranch_execz .LBB1954_489
; %bb.478:
	s_mov_b32 s19, 0
	s_mov_b32 s16, exec_lo
	v_cmpx_lt_u32_e64 v20, v52
	s_cbranch_execz .LBB1954_488
; %bb.479:
	v_lshlrev_b32_e32 v17, 16, v51
	v_add_f32_e32 v18, 0, v17
	v_and_b32_e32 v17, 0x7f800000, v18
	v_cmp_ne_u32_e64 s8, 0x7f800000, v17
                                        ; implicit-def: $vgpr17
	s_and_saveexec_b32 s19, s8
	s_xor_b32 s8, exec_lo, s19
; %bb.480:
	v_bfe_u32 v17, v18, 16, 1
	v_add3_u32 v17, v18, v17, 0x7fff
                                        ; implicit-def: $vgpr18
; %bb.481:
	s_andn2_saveexec_b32 s19, s8
; %bb.482:
	v_mov_b32_e32 v17, 0
	v_or_b32_e32 v21, 0x10000, v18
	v_cmp_eq_u32_sdwa s8, v18, v17 src0_sel:WORD_0 src1_sel:DWORD
	v_cndmask_b32_e64 v17, v21, v18, s8
; %bb.483:
	s_or_b32 exec_lo, exec_lo, s19
	v_lshlrev_b32_e32 v18, 16, v64
	v_add_f32_e32 v21, 0, v18
	v_and_b32_e32 v18, 0x7f800000, v21
	v_cmp_ne_u32_e64 s8, 0x7f800000, v18
                                        ; implicit-def: $vgpr18
	s_and_saveexec_b32 s19, s8
	s_xor_b32 s8, exec_lo, s19
; %bb.484:
	v_bfe_u32 v18, v21, 16, 1
	v_add3_u32 v18, v21, v18, 0x7fff
                                        ; implicit-def: $vgpr21
; %bb.485:
	s_andn2_saveexec_b32 s19, s8
; %bb.486:
	v_mov_b32_e32 v18, 0
	v_or_b32_e32 v22, 0x10000, v21
	v_cmp_eq_u32_sdwa s8, v21, v18 src0_sel:WORD_0 src1_sel:DWORD
	v_cndmask_b32_e64 v18, v22, v21, s8
; %bb.487:
	s_or_b32 exec_lo, exec_lo, s19
	v_cmp_lt_i32_e64 s8, -1, v17
	v_perm_b32 v17, v18, v17, 0x7060302
	v_cndmask_b32_e64 v21, -1, 0xffff8000, s8
	v_cmp_lt_i32_e64 s8, -1, v18
	v_cndmask_b32_e64 v22, -1, 0xffff8000, s8
	v_perm_b32 v18, v22, v21, 0x5040100
	v_xor_b32_e32 v17, v18, v17
	v_cmp_le_u16_sdwa s8, v17, v17 src0_sel:DWORD src1_sel:WORD_1
	s_and_b32 s19, s8, exec_lo
.LBB1954_488:
	s_or_b32 exec_lo, exec_lo, s16
	s_orn2_b32 s16, s19, exec_lo
.LBB1954_489:
	s_or_b32 exec_lo, exec_lo, s18
	v_cndmask_b32_e64 v17, v19, v20, s16
	v_cndmask_b32_e64 v18, v53, v52, s16
	s_mov_b32 s18, exec_lo
	v_add_nc_u32_e32 v22, 1, v17
	v_add_nc_u32_e32 v18, -1, v18
	v_lshl_add_u32 v17, v17, 3, v13
	v_cndmask_b32_e64 v21, v22, v19, s16
	v_min_u32_e32 v18, v22, v18
	v_cndmask_b32_e64 v22, v20, v22, s16
	v_lshl_add_u32 v18, v18, 1, v10
	ds_read_u16 v23, v18
	ds_read_b64 v[17:18], v17 offset:4096
	s_waitcnt lgkmcnt(1)
	v_cndmask_b32_e64 v49, v23, v51, s16
	v_cndmask_b32_e64 v65, v64, v23, s16
	v_cmpx_lt_u32_e64 v21, v53
	s_cbranch_execz .LBB1954_501
; %bb.490:
	s_mov_b32 s19, 0
	s_mov_b32 s17, exec_lo
	v_cmpx_lt_u32_e64 v22, v52
	s_cbranch_execz .LBB1954_500
; %bb.491:
	v_lshlrev_b32_e32 v19, 16, v49
	v_add_f32_e32 v20, 0, v19
	v_and_b32_e32 v19, 0x7f800000, v20
	v_cmp_ne_u32_e64 s8, 0x7f800000, v19
                                        ; implicit-def: $vgpr19
	s_and_saveexec_b32 s19, s8
	s_xor_b32 s8, exec_lo, s19
; %bb.492:
	v_bfe_u32 v19, v20, 16, 1
	v_add3_u32 v19, v20, v19, 0x7fff
                                        ; implicit-def: $vgpr20
; %bb.493:
	s_andn2_saveexec_b32 s19, s8
; %bb.494:
	v_mov_b32_e32 v19, 0
	v_or_b32_e32 v23, 0x10000, v20
	v_cmp_eq_u32_sdwa s8, v20, v19 src0_sel:WORD_0 src1_sel:DWORD
	v_cndmask_b32_e64 v19, v23, v20, s8
; %bb.495:
	s_or_b32 exec_lo, exec_lo, s19
	v_lshlrev_b32_e32 v20, 16, v65
	v_add_f32_e32 v23, 0, v20
	v_and_b32_e32 v20, 0x7f800000, v23
	v_cmp_ne_u32_e64 s8, 0x7f800000, v20
                                        ; implicit-def: $vgpr20
	s_and_saveexec_b32 s19, s8
	s_xor_b32 s8, exec_lo, s19
; %bb.496:
	v_bfe_u32 v20, v23, 16, 1
	v_add3_u32 v20, v23, v20, 0x7fff
                                        ; implicit-def: $vgpr23
; %bb.497:
	s_andn2_saveexec_b32 s19, s8
; %bb.498:
	v_mov_b32_e32 v20, 0
	v_or_b32_e32 v24, 0x10000, v23
	v_cmp_eq_u32_sdwa s8, v23, v20 src0_sel:WORD_0 src1_sel:DWORD
	v_cndmask_b32_e64 v20, v24, v23, s8
; %bb.499:
	s_or_b32 exec_lo, exec_lo, s19
	v_cmp_lt_i32_e64 s8, -1, v19
	v_perm_b32 v19, v20, v19, 0x7060302
	v_cndmask_b32_e64 v23, -1, 0xffff8000, s8
	v_cmp_lt_i32_e64 s8, -1, v20
	v_cndmask_b32_e64 v24, -1, 0xffff8000, s8
	v_perm_b32 v20, v24, v23, 0x5040100
	v_xor_b32_e32 v19, v20, v19
	v_cmp_le_u16_sdwa s8, v19, v19 src0_sel:DWORD src1_sel:WORD_1
	s_and_b32 s19, s8, exec_lo
.LBB1954_500:
	s_or_b32 exec_lo, exec_lo, s17
	s_orn2_b32 s17, s19, exec_lo
.LBB1954_501:
	s_or_b32 exec_lo, exec_lo, s18
	v_cndmask_b32_e64 v19, v21, v22, s17
	v_cndmask_b32_e64 v20, v53, v52, s17
	s_mov_b32 s19, -1
	s_mov_b32 s18, -1
	s_mov_b32 s20, exec_lo
	v_add_nc_u32_e32 v23, 1, v19
	v_add_nc_u32_e32 v20, -1, v20
	v_lshl_add_u32 v19, v19, 3, v13
	v_cndmask_b32_e64 v21, v23, v21, s17
	v_min_u32_e32 v20, v23, v20
	v_cndmask_b32_e64 v22, v22, v23, s17
	v_lshl_add_u32 v20, v20, 1, v10
	ds_read_u16 v24, v20
	ds_read_b64 v[19:20], v19 offset:4096
	s_waitcnt lgkmcnt(1)
	v_cndmask_b32_e64 v39, v24, v49, s17
	v_cndmask_b32_e64 v66, v65, v24, s17
	v_cmpx_lt_u32_e64 v21, v53
	s_cbranch_execz .LBB1954_513
; %bb.502:
	s_mov_b32 s21, 0
	s_mov_b32 s18, exec_lo
	v_cmpx_lt_u32_e64 v22, v52
	s_cbranch_execz .LBB1954_512
; %bb.503:
	v_lshlrev_b32_e32 v23, 16, v39
	v_add_f32_e32 v24, 0, v23
	v_and_b32_e32 v23, 0x7f800000, v24
	v_cmp_ne_u32_e64 s8, 0x7f800000, v23
                                        ; implicit-def: $vgpr23
	s_and_saveexec_b32 s21, s8
	s_xor_b32 s8, exec_lo, s21
; %bb.504:
	v_bfe_u32 v23, v24, 16, 1
	v_add3_u32 v23, v24, v23, 0x7fff
                                        ; implicit-def: $vgpr24
; %bb.505:
	s_andn2_saveexec_b32 s21, s8
; %bb.506:
	v_mov_b32_e32 v23, 0
	v_or_b32_e32 v25, 0x10000, v24
	v_cmp_eq_u32_sdwa s8, v24, v23 src0_sel:WORD_0 src1_sel:DWORD
	v_cndmask_b32_e64 v23, v25, v24, s8
; %bb.507:
	s_or_b32 exec_lo, exec_lo, s21
	v_lshlrev_b32_e32 v24, 16, v66
	v_add_f32_e32 v25, 0, v24
	v_and_b32_e32 v24, 0x7f800000, v25
	v_cmp_ne_u32_e64 s8, 0x7f800000, v24
                                        ; implicit-def: $vgpr24
	s_and_saveexec_b32 s21, s8
	s_xor_b32 s8, exec_lo, s21
; %bb.508:
	v_bfe_u32 v24, v25, 16, 1
	v_add3_u32 v24, v25, v24, 0x7fff
                                        ; implicit-def: $vgpr25
; %bb.509:
	s_andn2_saveexec_b32 s21, s8
; %bb.510:
	v_mov_b32_e32 v24, 0
	v_or_b32_e32 v26, 0x10000, v25
	v_cmp_eq_u32_sdwa s8, v25, v24 src0_sel:WORD_0 src1_sel:DWORD
	v_cndmask_b32_e64 v24, v26, v25, s8
; %bb.511:
	s_or_b32 exec_lo, exec_lo, s21
	v_cmp_lt_i32_e64 s8, -1, v23
	v_perm_b32 v23, v24, v23, 0x7060302
	v_cndmask_b32_e64 v25, -1, 0xffff8000, s8
	v_cmp_lt_i32_e64 s8, -1, v24
	v_cndmask_b32_e64 v26, -1, 0xffff8000, s8
	v_perm_b32 v24, v26, v25, 0x5040100
	v_xor_b32_e32 v23, v24, v23
	v_cmp_le_u16_sdwa s8, v23, v23 src0_sel:DWORD src1_sel:WORD_1
	s_and_b32 s21, s8, exec_lo
.LBB1954_512:
	s_or_b32 exec_lo, exec_lo, s18
	s_orn2_b32 s18, s21, exec_lo
.LBB1954_513:
	s_or_b32 exec_lo, exec_lo, s20
	v_cndmask_b32_e64 v23, v21, v22, s18
	v_cndmask_b32_e64 v24, v53, v52, s18
	s_mov_b32 s20, exec_lo
	v_add_nc_u32_e32 v26, 1, v23
	v_add_nc_u32_e32 v24, -1, v24
	v_lshl_add_u32 v23, v23, 3, v13
	v_cndmask_b32_e64 v25, v26, v21, s18
	v_min_u32_e32 v24, v26, v24
	v_cndmask_b32_e64 v26, v22, v26, s18
	v_lshl_add_u32 v24, v24, 1, v10
	ds_read_u16 v67, v24
	ds_read_b64 v[23:24], v23 offset:4096
	s_waitcnt lgkmcnt(1)
	v_cndmask_b32_e64 v50, v67, v39, s18
	v_cndmask_b32_e64 v67, v66, v67, s18
	v_cmpx_lt_u32_e64 v25, v53
	s_cbranch_execz .LBB1954_525
; %bb.514:
	s_mov_b32 s21, 0
	s_mov_b32 s19, exec_lo
	v_cmpx_lt_u32_e64 v26, v52
	s_cbranch_execz .LBB1954_524
; %bb.515:
	v_lshlrev_b32_e32 v21, 16, v50
	v_add_f32_e32 v22, 0, v21
	v_and_b32_e32 v21, 0x7f800000, v22
	v_cmp_ne_u32_e64 s8, 0x7f800000, v21
                                        ; implicit-def: $vgpr21
	s_and_saveexec_b32 s21, s8
	s_xor_b32 s8, exec_lo, s21
; %bb.516:
	v_bfe_u32 v21, v22, 16, 1
	v_add3_u32 v21, v22, v21, 0x7fff
                                        ; implicit-def: $vgpr22
; %bb.517:
	s_andn2_saveexec_b32 s21, s8
; %bb.518:
	v_mov_b32_e32 v21, 0
	v_or_b32_e32 v68, 0x10000, v22
	v_cmp_eq_u32_sdwa s8, v22, v21 src0_sel:WORD_0 src1_sel:DWORD
	v_cndmask_b32_e64 v21, v68, v22, s8
; %bb.519:
	s_or_b32 exec_lo, exec_lo, s21
	v_lshlrev_b32_e32 v22, 16, v67
	v_add_f32_e32 v68, 0, v22
	v_and_b32_e32 v22, 0x7f800000, v68
	v_cmp_ne_u32_e64 s8, 0x7f800000, v22
                                        ; implicit-def: $vgpr22
	s_and_saveexec_b32 s21, s8
	s_xor_b32 s8, exec_lo, s21
; %bb.520:
	v_bfe_u32 v22, v68, 16, 1
	v_add3_u32 v22, v68, v22, 0x7fff
                                        ; implicit-def: $vgpr68
; %bb.521:
	s_andn2_saveexec_b32 s21, s8
; %bb.522:
	v_mov_b32_e32 v22, 0
	v_or_b32_e32 v69, 0x10000, v68
	v_cmp_eq_u32_sdwa s8, v68, v22 src0_sel:WORD_0 src1_sel:DWORD
	v_cndmask_b32_e64 v22, v69, v68, s8
; %bb.523:
	s_or_b32 exec_lo, exec_lo, s21
	v_cmp_lt_i32_e64 s8, -1, v21
	v_perm_b32 v21, v22, v21, 0x7060302
	v_cndmask_b32_e64 v68, -1, 0xffff8000, s8
	v_cmp_lt_i32_e64 s8, -1, v22
	v_cndmask_b32_e64 v69, -1, 0xffff8000, s8
	v_perm_b32 v22, v69, v68, 0x5040100
	v_xor_b32_e32 v21, v22, v21
	v_cmp_le_u16_sdwa s8, v21, v21 src0_sel:DWORD src1_sel:WORD_1
	s_and_b32 s21, s8, exec_lo
.LBB1954_524:
	s_or_b32 exec_lo, exec_lo, s19
	s_orn2_b32 s19, s21, exec_lo
.LBB1954_525:
	s_or_b32 exec_lo, exec_lo, s20
	v_cndmask_b32_e64 v21, v25, v26, s19
	v_cndmask_b32_e64 v22, v53, v52, s19
	s_mov_b32 s21, -1
	s_mov_b32 s20, exec_lo
	v_add_nc_u32_e32 v68, 1, v21
	v_add_nc_u32_e32 v22, -1, v22
	v_lshl_add_u32 v21, v21, 3, v13
	v_cndmask_b32_e64 v25, v68, v25, s19
	v_min_u32_e32 v22, v68, v22
	v_cndmask_b32_e64 v26, v26, v68, s19
	v_lshl_add_u32 v22, v22, 1, v10
	ds_read_u16 v69, v22
	ds_read_b64 v[21:22], v21 offset:4096
	s_waitcnt lgkmcnt(1)
	v_cndmask_b32_e64 v68, v69, v50, s19
	v_cndmask_b32_e64 v69, v67, v69, s19
	v_cmpx_lt_u32_e64 v25, v53
	s_cbranch_execz .LBB1954_537
; %bb.526:
	s_mov_b32 s22, 0
	s_mov_b32 s21, exec_lo
	v_cmpx_lt_u32_e64 v26, v52
	s_cbranch_execz .LBB1954_536
; %bb.527:
	v_lshlrev_b32_e32 v52, 16, v68
	v_add_f32_e32 v53, 0, v52
	v_and_b32_e32 v52, 0x7f800000, v53
	v_cmp_ne_u32_e64 s8, 0x7f800000, v52
                                        ; implicit-def: $vgpr52
	s_and_saveexec_b32 s22, s8
	s_xor_b32 s8, exec_lo, s22
; %bb.528:
	v_bfe_u32 v52, v53, 16, 1
	v_add3_u32 v52, v53, v52, 0x7fff
                                        ; implicit-def: $vgpr53
; %bb.529:
	s_andn2_saveexec_b32 s22, s8
; %bb.530:
	v_mov_b32_e32 v52, 0
	v_or_b32_e32 v70, 0x10000, v53
	v_cmp_eq_u32_sdwa s8, v53, v52 src0_sel:WORD_0 src1_sel:DWORD
	v_cndmask_b32_e64 v52, v70, v53, s8
; %bb.531:
	s_or_b32 exec_lo, exec_lo, s22
	v_lshlrev_b32_e32 v53, 16, v69
	v_add_f32_e32 v70, 0, v53
	v_and_b32_e32 v53, 0x7f800000, v70
	v_cmp_ne_u32_e64 s8, 0x7f800000, v53
                                        ; implicit-def: $vgpr53
	s_and_saveexec_b32 s22, s8
	s_xor_b32 s8, exec_lo, s22
; %bb.532:
	v_bfe_u32 v53, v70, 16, 1
	v_add3_u32 v53, v70, v53, 0x7fff
                                        ; implicit-def: $vgpr70
; %bb.533:
	s_andn2_saveexec_b32 s22, s8
; %bb.534:
	v_mov_b32_e32 v53, 0
	v_or_b32_e32 v71, 0x10000, v70
	v_cmp_eq_u32_sdwa s8, v70, v53 src0_sel:WORD_0 src1_sel:DWORD
	v_cndmask_b32_e64 v53, v71, v70, s8
; %bb.535:
	s_or_b32 exec_lo, exec_lo, s22
	v_cmp_lt_i32_e64 s8, -1, v52
	v_perm_b32 v52, v53, v52, 0x7060302
	v_cndmask_b32_e64 v70, -1, 0xffff8000, s8
	v_cmp_lt_i32_e64 s8, -1, v53
	v_cndmask_b32_e64 v71, -1, 0xffff8000, s8
	v_perm_b32 v53, v71, v70, 0x5040100
	v_xor_b32_e32 v52, v53, v52
	v_cmp_le_u16_sdwa s8, v52, v52 src0_sel:DWORD src1_sel:WORD_1
	s_and_b32 s22, s8, exec_lo
.LBB1954_536:
	s_or_b32 exec_lo, exec_lo, s21
	s_orn2_b32 s21, s22, exec_lo
.LBB1954_537:
	s_or_b32 exec_lo, exec_lo, s20
	v_cndmask_b32_e64 v25, v25, v26, s21
	v_cndmask_b32_e64 v50, v50, v67, s19
	;; [unrolled: 1-line block ×5, first 2 shown]
	v_lshl_add_u32 v25, v25, 3, v13
	v_cndmask_b32_e64 v32, v32, v55, s15
	v_cndmask_b32_e64 v48, v48, v54, s9
	;; [unrolled: 1-line block ×4, first 2 shown]
	ds_read_b64 v[25:26], v25 offset:4096
.LBB1954_538:
	s_or_b32 exec_lo, exec_lo, s12
	v_and_b32_e32 v64, 0xc0, v36
	v_and_b32_e32 v54, 56, v36
	v_perm_b32 v68, v38, v50, 0x5040100
	v_perm_b32 v67, v39, v49, 0x5040100
	;; [unrolled: 1-line block ×3, first 2 shown]
	v_or_b32_e32 v52, 32, v64
	v_min_u32_e32 v65, v27, v54
	v_perm_b32 v69, v48, v37, 0x5040100
	s_mov_b32 s9, exec_lo
	v_min_u32_e32 v52, v27, v52
	; wave barrier
	ds_write2_b64 v31, v[4:5], v[8:9] offset1:1
	ds_write2_b64 v28, v[15:16], v[17:18] offset1:1
	;; [unrolled: 1-line block ×4, first 2 shown]
	s_waitcnt lgkmcnt(4)
	ds_write2_b64 v30, v[21:22], v[25:26] offset1:1
	v_add_nc_u32_e32 v53, 32, v52
	v_sub_nc_u32_e32 v55, v52, v64
	; wave barrier
	v_min_u32_e32 v53, v27, v53
	v_min_u32_e32 v66, v65, v55
	v_lshl_add_u32 v55, v64, 1, v10
	v_sub_nc_u32_e32 v54, v53, v52
	v_sub_nc_u32_e64 v54, v65, v54 clamp
	v_cmpx_lt_u32_e64 v54, v66
	s_cbranch_execz .LBB1954_550
; %bb.539:
	v_lshlrev_b32_e32 v67, 1, v52
	v_lshlrev_b32_e32 v68, 1, v65
	s_mov_b32 s12, 0
	v_add3_u32 v67, v10, v67, v68
	v_mov_b32_e32 v68, 0
	s_branch .LBB1954_541
.LBB1954_540:                           ;   in Loop: Header=BB1954_541 Depth=1
	s_or_b32 exec_lo, exec_lo, s13
	v_cmp_lt_i32_e64 s8, -1, v70
	v_cndmask_b32_e64 v80, -1, 0xffff8000, s8
	v_cmp_lt_i32_e64 s8, -1, v71
	v_xor_b32_sdwa v70, v80, v70 dst_sel:DWORD dst_unused:UNUSED_PAD src0_sel:DWORD src1_sel:WORD_1
	v_cndmask_b32_e64 v81, -1, 0xffff8000, s8
	v_add_nc_u32_e32 v80, 1, v69
	v_xor_b32_sdwa v71, v81, v71 dst_sel:DWORD dst_unused:UNUSED_PAD src0_sel:DWORD src1_sel:WORD_1
	v_cmp_gt_u16_e64 s8, v70, v71
	v_cndmask_b32_e64 v66, v66, v69, s8
	v_cndmask_b32_e64 v54, v80, v54, s8
	v_cmp_ge_u32_e64 s8, v54, v66
	s_or_b32 s12, s8, s12
	s_andn2_b32 exec_lo, exec_lo, s12
	s_cbranch_execz .LBB1954_549
.LBB1954_541:                           ; =>This Inner Loop Header: Depth=1
	v_add_nc_u32_e32 v70, v66, v54
	v_lshrrev_b32_e32 v69, 1, v70
	v_and_b32_e32 v70, -2, v70
	v_not_b32_e32 v71, v69
	v_add_nc_u32_e32 v70, v55, v70
	v_lshl_add_u32 v71, v71, 1, v67
	ds_read_u16 v80, v71
	ds_read_u16 v71, v70
	s_waitcnt lgkmcnt(1)
	v_lshlrev_b32_e32 v70, 16, v80
	v_add_f32_e32 v80, 0, v70
	v_and_b32_e32 v70, 0x7f800000, v80
	v_cmp_ne_u32_e64 s8, 0x7f800000, v70
                                        ; implicit-def: $vgpr70
	s_and_saveexec_b32 s13, s8
	s_xor_b32 s8, exec_lo, s13
; %bb.542:                              ;   in Loop: Header=BB1954_541 Depth=1
	v_bfe_u32 v70, v80, 16, 1
	v_add3_u32 v70, v80, v70, 0x7fff
                                        ; implicit-def: $vgpr80
; %bb.543:                              ;   in Loop: Header=BB1954_541 Depth=1
	s_andn2_saveexec_b32 s13, s8
; %bb.544:                              ;   in Loop: Header=BB1954_541 Depth=1
	v_or_b32_e32 v70, 0x10000, v80
	v_cmp_eq_u32_sdwa s8, v80, v68 src0_sel:WORD_0 src1_sel:DWORD
	v_cndmask_b32_e64 v70, v70, v80, s8
; %bb.545:                              ;   in Loop: Header=BB1954_541 Depth=1
	s_or_b32 exec_lo, exec_lo, s13
	s_waitcnt lgkmcnt(0)
	v_lshlrev_b32_e32 v71, 16, v71
	v_add_f32_e32 v80, 0, v71
	v_and_b32_e32 v71, 0x7f800000, v80
	v_cmp_ne_u32_e64 s8, 0x7f800000, v71
                                        ; implicit-def: $vgpr71
	s_and_saveexec_b32 s13, s8
	s_xor_b32 s8, exec_lo, s13
; %bb.546:                              ;   in Loop: Header=BB1954_541 Depth=1
	v_bfe_u32 v71, v80, 16, 1
	v_add3_u32 v71, v80, v71, 0x7fff
                                        ; implicit-def: $vgpr80
; %bb.547:                              ;   in Loop: Header=BB1954_541 Depth=1
	s_andn2_saveexec_b32 s13, s8
	s_cbranch_execz .LBB1954_540
; %bb.548:                              ;   in Loop: Header=BB1954_541 Depth=1
	v_or_b32_e32 v71, 0x10000, v80
	v_cmp_eq_u32_sdwa s8, v80, v68 src0_sel:WORD_0 src1_sel:DWORD
	v_cndmask_b32_e64 v71, v71, v80, s8
	s_branch .LBB1954_540
.LBB1954_549:
	s_or_b32 exec_lo, exec_lo, s12
.LBB1954_550:
	s_or_b32 exec_lo, exec_lo, s9
	v_add_nc_u32_e32 v65, v52, v65
	v_add_nc_u32_e32 v64, v54, v64
	v_sub_nc_u32_e32 v65, v65, v54
	v_cmp_le_u32_e64 s8, v64, v52
	v_cmp_le_u32_e64 s9, v65, v53
	s_or_b32 s8, s8, s9
	s_and_saveexec_b32 s12, s8
	s_cbranch_execz .LBB1954_650
; %bb.551:
	v_cmp_ge_u32_e64 s8, v64, v52
	s_mov_b32 s13, exec_lo
                                        ; implicit-def: $vgpr37
	v_cmpx_lt_u32_e64 v64, v52
; %bb.552:
	v_lshl_add_u32 v4, v54, 1, v55
	ds_read_u16 v37, v4
; %bb.553:
	s_or_b32 exec_lo, exec_lo, s13
	v_cmp_ge_u32_e64 s13, v65, v53
	s_mov_b32 s15, exec_lo
                                        ; implicit-def: $vgpr38
	v_cmpx_lt_u32_e64 v65, v53
; %bb.554:
	v_lshl_add_u32 v4, v65, 1, v10
	ds_read_u16 v38, v4
; %bb.555:
	s_or_b32 exec_lo, exec_lo, s15
	s_nor_b32 s8, s8, s13
	s_and_saveexec_b32 s9, s8
	s_cbranch_execz .LBB1954_565
; %bb.556:
	s_waitcnt lgkmcnt(0)
	v_lshlrev_b32_e32 v4, 16, v38
	v_add_f32_e32 v5, 0, v4
	v_and_b32_e32 v4, 0x7f800000, v5
	v_cmp_ne_u32_e64 s8, 0x7f800000, v4
                                        ; implicit-def: $vgpr4
	s_and_saveexec_b32 s15, s8
	s_xor_b32 s8, exec_lo, s15
; %bb.557:
	v_bfe_u32 v4, v5, 16, 1
	v_add3_u32 v4, v5, v4, 0x7fff
                                        ; implicit-def: $vgpr5
; %bb.558:
	s_andn2_saveexec_b32 s15, s8
; %bb.559:
	v_mov_b32_e32 v4, 0
	v_or_b32_e32 v8, 0x10000, v5
	v_cmp_eq_u32_sdwa s8, v5, v4 src0_sel:WORD_0 src1_sel:DWORD
	v_cndmask_b32_e64 v4, v8, v5, s8
; %bb.560:
	s_or_b32 exec_lo, exec_lo, s15
	v_lshlrev_b32_e32 v5, 16, v37
	v_add_f32_e32 v8, 0, v5
	v_and_b32_e32 v5, 0x7f800000, v8
	v_cmp_ne_u32_e64 s8, 0x7f800000, v5
                                        ; implicit-def: $vgpr5
	s_and_saveexec_b32 s15, s8
	s_xor_b32 s8, exec_lo, s15
; %bb.561:
	v_bfe_u32 v5, v8, 16, 1
	v_add3_u32 v5, v8, v5, 0x7fff
                                        ; implicit-def: $vgpr8
; %bb.562:
	s_andn2_saveexec_b32 s15, s8
; %bb.563:
	v_mov_b32_e32 v5, 0
	v_or_b32_e32 v9, 0x10000, v8
	v_cmp_eq_u32_sdwa s8, v8, v5 src0_sel:WORD_0 src1_sel:DWORD
	v_cndmask_b32_e64 v5, v9, v8, s8
; %bb.564:
	s_or_b32 exec_lo, exec_lo, s15
	v_cmp_lt_i32_e64 s8, -1, v4
	v_perm_b32 v4, v5, v4, 0x7060302
	s_andn2_b32 s13, s13, exec_lo
	v_cndmask_b32_e64 v8, -1, 0xffff8000, s8
	v_cmp_lt_i32_e64 s8, -1, v5
	v_cndmask_b32_e64 v9, -1, 0xffff8000, s8
	v_perm_b32 v5, v9, v8, 0x5040100
	v_xor_b32_e32 v4, v5, v4
	v_cmp_le_u16_sdwa s8, v4, v4 src0_sel:DWORD src1_sel:WORD_1
	s_and_b32 s8, s8, exec_lo
	s_or_b32 s13, s13, s8
.LBB1954_565:
	s_or_b32 exec_lo, exec_lo, s9
	v_cndmask_b32_e64 v4, v65, v64, s13
	v_cndmask_b32_e64 v5, v53, v52, s13
	s_mov_b32 s15, -1
	s_mov_b32 s9, -1
	s_mov_b32 s16, exec_lo
	v_add_nc_u32_e32 v8, 1, v4
	v_add_nc_u32_e32 v5, -1, v5
	v_lshl_add_u32 v4, v4, 3, v13
	v_cndmask_b32_e64 v15, v8, v65, s13
	v_min_u32_e32 v5, v8, v5
	v_cndmask_b32_e64 v16, v64, v8, s13
	v_lshl_add_u32 v5, v5, 1, v10
	ds_read_u16 v9, v5
	ds_read_b64 v[4:5], v4 offset:4096
	s_waitcnt lgkmcnt(1)
	v_cndmask_b32_e64 v48, v9, v38, s13
	v_cndmask_b32_e64 v54, v37, v9, s13
	v_cmpx_lt_u32_e64 v15, v53
	s_cbranch_execz .LBB1954_577
; %bb.566:
	s_mov_b32 s17, 0
	s_mov_b32 s9, exec_lo
	v_cmpx_lt_u32_e64 v16, v52
	s_cbranch_execz .LBB1954_576
; %bb.567:
	v_lshlrev_b32_e32 v8, 16, v48
	v_add_f32_e32 v9, 0, v8
	v_and_b32_e32 v8, 0x7f800000, v9
	v_cmp_ne_u32_e64 s8, 0x7f800000, v8
                                        ; implicit-def: $vgpr8
	s_and_saveexec_b32 s17, s8
	s_xor_b32 s8, exec_lo, s17
; %bb.568:
	v_bfe_u32 v8, v9, 16, 1
	v_add3_u32 v8, v9, v8, 0x7fff
                                        ; implicit-def: $vgpr9
; %bb.569:
	s_andn2_saveexec_b32 s17, s8
; %bb.570:
	v_mov_b32_e32 v8, 0
	v_or_b32_e32 v17, 0x10000, v9
	v_cmp_eq_u32_sdwa s8, v9, v8 src0_sel:WORD_0 src1_sel:DWORD
	v_cndmask_b32_e64 v8, v17, v9, s8
; %bb.571:
	s_or_b32 exec_lo, exec_lo, s17
	v_lshlrev_b32_e32 v9, 16, v54
	v_add_f32_e32 v17, 0, v9
	v_and_b32_e32 v9, 0x7f800000, v17
	v_cmp_ne_u32_e64 s8, 0x7f800000, v9
                                        ; implicit-def: $vgpr9
	s_and_saveexec_b32 s17, s8
	s_xor_b32 s8, exec_lo, s17
; %bb.572:
	v_bfe_u32 v9, v17, 16, 1
	v_add3_u32 v9, v17, v9, 0x7fff
                                        ; implicit-def: $vgpr17
; %bb.573:
	s_andn2_saveexec_b32 s17, s8
; %bb.574:
	v_mov_b32_e32 v9, 0
	v_or_b32_e32 v18, 0x10000, v17
	v_cmp_eq_u32_sdwa s8, v17, v9 src0_sel:WORD_0 src1_sel:DWORD
	v_cndmask_b32_e64 v9, v18, v17, s8
; %bb.575:
	s_or_b32 exec_lo, exec_lo, s17
	v_cmp_lt_i32_e64 s8, -1, v8
	v_perm_b32 v8, v9, v8, 0x7060302
	v_cndmask_b32_e64 v17, -1, 0xffff8000, s8
	v_cmp_lt_i32_e64 s8, -1, v9
	v_cndmask_b32_e64 v18, -1, 0xffff8000, s8
	v_perm_b32 v9, v18, v17, 0x5040100
	v_xor_b32_e32 v8, v9, v8
	v_cmp_le_u16_sdwa s8, v8, v8 src0_sel:DWORD src1_sel:WORD_1
	s_and_b32 s17, s8, exec_lo
.LBB1954_576:
	s_or_b32 exec_lo, exec_lo, s9
	s_orn2_b32 s9, s17, exec_lo
.LBB1954_577:
	s_or_b32 exec_lo, exec_lo, s16
	v_cndmask_b32_e64 v8, v15, v16, s9
	v_cndmask_b32_e64 v9, v53, v52, s9
	s_mov_b32 s16, exec_lo
	v_add_nc_u32_e32 v18, 1, v8
	v_add_nc_u32_e32 v9, -1, v9
	v_lshl_add_u32 v8, v8, 3, v13
	v_cndmask_b32_e64 v17, v18, v15, s9
	v_min_u32_e32 v9, v18, v9
	v_cndmask_b32_e64 v18, v16, v18, s9
	v_lshl_add_u32 v9, v9, 1, v10
	ds_read_u16 v19, v9
	ds_read_b64 v[8:9], v8 offset:4096
	s_waitcnt lgkmcnt(1)
	v_cndmask_b32_e64 v32, v19, v48, s9
	v_cndmask_b32_e64 v55, v54, v19, s9
	v_cmpx_lt_u32_e64 v17, v53
	s_cbranch_execz .LBB1954_589
; %bb.578:
	s_mov_b32 s17, 0
	s_mov_b32 s15, exec_lo
	v_cmpx_lt_u32_e64 v18, v52
	s_cbranch_execz .LBB1954_588
; %bb.579:
	v_lshlrev_b32_e32 v15, 16, v32
	v_add_f32_e32 v16, 0, v15
	v_and_b32_e32 v15, 0x7f800000, v16
	v_cmp_ne_u32_e64 s8, 0x7f800000, v15
                                        ; implicit-def: $vgpr15
	s_and_saveexec_b32 s17, s8
	s_xor_b32 s8, exec_lo, s17
; %bb.580:
	v_bfe_u32 v15, v16, 16, 1
	v_add3_u32 v15, v16, v15, 0x7fff
                                        ; implicit-def: $vgpr16
; %bb.581:
	s_andn2_saveexec_b32 s17, s8
; %bb.582:
	v_mov_b32_e32 v15, 0
	v_or_b32_e32 v19, 0x10000, v16
	v_cmp_eq_u32_sdwa s8, v16, v15 src0_sel:WORD_0 src1_sel:DWORD
	v_cndmask_b32_e64 v15, v19, v16, s8
; %bb.583:
	s_or_b32 exec_lo, exec_lo, s17
	v_lshlrev_b32_e32 v16, 16, v55
	v_add_f32_e32 v19, 0, v16
	v_and_b32_e32 v16, 0x7f800000, v19
	v_cmp_ne_u32_e64 s8, 0x7f800000, v16
                                        ; implicit-def: $vgpr16
	s_and_saveexec_b32 s17, s8
	s_xor_b32 s8, exec_lo, s17
; %bb.584:
	v_bfe_u32 v16, v19, 16, 1
	v_add3_u32 v16, v19, v16, 0x7fff
                                        ; implicit-def: $vgpr19
; %bb.585:
	s_andn2_saveexec_b32 s17, s8
; %bb.586:
	v_mov_b32_e32 v16, 0
	v_or_b32_e32 v20, 0x10000, v19
	v_cmp_eq_u32_sdwa s8, v19, v16 src0_sel:WORD_0 src1_sel:DWORD
	v_cndmask_b32_e64 v16, v20, v19, s8
; %bb.587:
	s_or_b32 exec_lo, exec_lo, s17
	v_cmp_lt_i32_e64 s8, -1, v15
	v_perm_b32 v15, v16, v15, 0x7060302
	v_cndmask_b32_e64 v19, -1, 0xffff8000, s8
	v_cmp_lt_i32_e64 s8, -1, v16
	v_cndmask_b32_e64 v20, -1, 0xffff8000, s8
	v_perm_b32 v16, v20, v19, 0x5040100
	v_xor_b32_e32 v15, v16, v15
	v_cmp_le_u16_sdwa s8, v15, v15 src0_sel:DWORD src1_sel:WORD_1
	s_and_b32 s17, s8, exec_lo
.LBB1954_588:
	s_or_b32 exec_lo, exec_lo, s15
	s_orn2_b32 s15, s17, exec_lo
.LBB1954_589:
	s_or_b32 exec_lo, exec_lo, s16
	v_cndmask_b32_e64 v15, v17, v18, s15
	v_cndmask_b32_e64 v16, v53, v52, s15
	s_mov_b32 s17, -1
	s_mov_b32 s16, -1
	s_mov_b32 s18, exec_lo
	v_add_nc_u32_e32 v20, 1, v15
	v_add_nc_u32_e32 v16, -1, v16
	v_lshl_add_u32 v15, v15, 3, v13
	v_cndmask_b32_e64 v19, v20, v17, s15
	v_min_u32_e32 v16, v20, v16
	v_cndmask_b32_e64 v20, v18, v20, s15
	v_lshl_add_u32 v16, v16, 1, v10
	ds_read_u16 v21, v16
	ds_read_b64 v[15:16], v15 offset:4096
	s_waitcnt lgkmcnt(1)
	v_cndmask_b32_e64 v51, v21, v32, s15
	v_cndmask_b32_e64 v64, v55, v21, s15
	v_cmpx_lt_u32_e64 v19, v53
	s_cbranch_execz .LBB1954_601
; %bb.590:
	s_mov_b32 s19, 0
	s_mov_b32 s16, exec_lo
	v_cmpx_lt_u32_e64 v20, v52
	s_cbranch_execz .LBB1954_600
; %bb.591:
	v_lshlrev_b32_e32 v17, 16, v51
	v_add_f32_e32 v18, 0, v17
	v_and_b32_e32 v17, 0x7f800000, v18
	v_cmp_ne_u32_e64 s8, 0x7f800000, v17
                                        ; implicit-def: $vgpr17
	s_and_saveexec_b32 s19, s8
	s_xor_b32 s8, exec_lo, s19
; %bb.592:
	v_bfe_u32 v17, v18, 16, 1
	v_add3_u32 v17, v18, v17, 0x7fff
                                        ; implicit-def: $vgpr18
; %bb.593:
	s_andn2_saveexec_b32 s19, s8
; %bb.594:
	v_mov_b32_e32 v17, 0
	v_or_b32_e32 v21, 0x10000, v18
	v_cmp_eq_u32_sdwa s8, v18, v17 src0_sel:WORD_0 src1_sel:DWORD
	v_cndmask_b32_e64 v17, v21, v18, s8
; %bb.595:
	s_or_b32 exec_lo, exec_lo, s19
	v_lshlrev_b32_e32 v18, 16, v64
	v_add_f32_e32 v21, 0, v18
	v_and_b32_e32 v18, 0x7f800000, v21
	v_cmp_ne_u32_e64 s8, 0x7f800000, v18
                                        ; implicit-def: $vgpr18
	s_and_saveexec_b32 s19, s8
	s_xor_b32 s8, exec_lo, s19
; %bb.596:
	v_bfe_u32 v18, v21, 16, 1
	v_add3_u32 v18, v21, v18, 0x7fff
                                        ; implicit-def: $vgpr21
; %bb.597:
	s_andn2_saveexec_b32 s19, s8
; %bb.598:
	v_mov_b32_e32 v18, 0
	v_or_b32_e32 v22, 0x10000, v21
	v_cmp_eq_u32_sdwa s8, v21, v18 src0_sel:WORD_0 src1_sel:DWORD
	v_cndmask_b32_e64 v18, v22, v21, s8
; %bb.599:
	s_or_b32 exec_lo, exec_lo, s19
	v_cmp_lt_i32_e64 s8, -1, v17
	v_perm_b32 v17, v18, v17, 0x7060302
	v_cndmask_b32_e64 v21, -1, 0xffff8000, s8
	v_cmp_lt_i32_e64 s8, -1, v18
	v_cndmask_b32_e64 v22, -1, 0xffff8000, s8
	v_perm_b32 v18, v22, v21, 0x5040100
	v_xor_b32_e32 v17, v18, v17
	v_cmp_le_u16_sdwa s8, v17, v17 src0_sel:DWORD src1_sel:WORD_1
	s_and_b32 s19, s8, exec_lo
.LBB1954_600:
	s_or_b32 exec_lo, exec_lo, s16
	s_orn2_b32 s16, s19, exec_lo
.LBB1954_601:
	s_or_b32 exec_lo, exec_lo, s18
	v_cndmask_b32_e64 v17, v19, v20, s16
	v_cndmask_b32_e64 v18, v53, v52, s16
	s_mov_b32 s18, exec_lo
	v_add_nc_u32_e32 v22, 1, v17
	v_add_nc_u32_e32 v18, -1, v18
	v_lshl_add_u32 v17, v17, 3, v13
	v_cndmask_b32_e64 v21, v22, v19, s16
	v_min_u32_e32 v18, v22, v18
	v_cndmask_b32_e64 v22, v20, v22, s16
	v_lshl_add_u32 v18, v18, 1, v10
	ds_read_u16 v23, v18
	ds_read_b64 v[17:18], v17 offset:4096
	s_waitcnt lgkmcnt(1)
	v_cndmask_b32_e64 v49, v23, v51, s16
	v_cndmask_b32_e64 v65, v64, v23, s16
	v_cmpx_lt_u32_e64 v21, v53
	s_cbranch_execz .LBB1954_613
; %bb.602:
	s_mov_b32 s19, 0
	s_mov_b32 s17, exec_lo
	v_cmpx_lt_u32_e64 v22, v52
	s_cbranch_execz .LBB1954_612
; %bb.603:
	v_lshlrev_b32_e32 v19, 16, v49
	v_add_f32_e32 v20, 0, v19
	v_and_b32_e32 v19, 0x7f800000, v20
	v_cmp_ne_u32_e64 s8, 0x7f800000, v19
                                        ; implicit-def: $vgpr19
	s_and_saveexec_b32 s19, s8
	s_xor_b32 s8, exec_lo, s19
; %bb.604:
	v_bfe_u32 v19, v20, 16, 1
	v_add3_u32 v19, v20, v19, 0x7fff
                                        ; implicit-def: $vgpr20
; %bb.605:
	s_andn2_saveexec_b32 s19, s8
; %bb.606:
	v_mov_b32_e32 v19, 0
	v_or_b32_e32 v23, 0x10000, v20
	v_cmp_eq_u32_sdwa s8, v20, v19 src0_sel:WORD_0 src1_sel:DWORD
	v_cndmask_b32_e64 v19, v23, v20, s8
; %bb.607:
	s_or_b32 exec_lo, exec_lo, s19
	v_lshlrev_b32_e32 v20, 16, v65
	v_add_f32_e32 v23, 0, v20
	v_and_b32_e32 v20, 0x7f800000, v23
	v_cmp_ne_u32_e64 s8, 0x7f800000, v20
                                        ; implicit-def: $vgpr20
	s_and_saveexec_b32 s19, s8
	s_xor_b32 s8, exec_lo, s19
; %bb.608:
	v_bfe_u32 v20, v23, 16, 1
	v_add3_u32 v20, v23, v20, 0x7fff
                                        ; implicit-def: $vgpr23
; %bb.609:
	s_andn2_saveexec_b32 s19, s8
; %bb.610:
	v_mov_b32_e32 v20, 0
	v_or_b32_e32 v24, 0x10000, v23
	v_cmp_eq_u32_sdwa s8, v23, v20 src0_sel:WORD_0 src1_sel:DWORD
	v_cndmask_b32_e64 v20, v24, v23, s8
; %bb.611:
	s_or_b32 exec_lo, exec_lo, s19
	v_cmp_lt_i32_e64 s8, -1, v19
	v_perm_b32 v19, v20, v19, 0x7060302
	v_cndmask_b32_e64 v23, -1, 0xffff8000, s8
	v_cmp_lt_i32_e64 s8, -1, v20
	v_cndmask_b32_e64 v24, -1, 0xffff8000, s8
	v_perm_b32 v20, v24, v23, 0x5040100
	v_xor_b32_e32 v19, v20, v19
	v_cmp_le_u16_sdwa s8, v19, v19 src0_sel:DWORD src1_sel:WORD_1
	s_and_b32 s19, s8, exec_lo
.LBB1954_612:
	s_or_b32 exec_lo, exec_lo, s17
	s_orn2_b32 s17, s19, exec_lo
.LBB1954_613:
	s_or_b32 exec_lo, exec_lo, s18
	v_cndmask_b32_e64 v19, v21, v22, s17
	v_cndmask_b32_e64 v20, v53, v52, s17
	s_mov_b32 s19, -1
	s_mov_b32 s18, -1
	s_mov_b32 s20, exec_lo
	v_add_nc_u32_e32 v23, 1, v19
	v_add_nc_u32_e32 v20, -1, v20
	v_lshl_add_u32 v19, v19, 3, v13
	v_cndmask_b32_e64 v21, v23, v21, s17
	v_min_u32_e32 v20, v23, v20
	v_cndmask_b32_e64 v22, v22, v23, s17
	v_lshl_add_u32 v20, v20, 1, v10
	ds_read_u16 v24, v20
	ds_read_b64 v[19:20], v19 offset:4096
	s_waitcnt lgkmcnt(1)
	v_cndmask_b32_e64 v39, v24, v49, s17
	v_cndmask_b32_e64 v66, v65, v24, s17
	v_cmpx_lt_u32_e64 v21, v53
	s_cbranch_execz .LBB1954_625
; %bb.614:
	s_mov_b32 s21, 0
	s_mov_b32 s18, exec_lo
	v_cmpx_lt_u32_e64 v22, v52
	s_cbranch_execz .LBB1954_624
; %bb.615:
	v_lshlrev_b32_e32 v23, 16, v39
	v_add_f32_e32 v24, 0, v23
	v_and_b32_e32 v23, 0x7f800000, v24
	v_cmp_ne_u32_e64 s8, 0x7f800000, v23
                                        ; implicit-def: $vgpr23
	s_and_saveexec_b32 s21, s8
	s_xor_b32 s8, exec_lo, s21
; %bb.616:
	v_bfe_u32 v23, v24, 16, 1
	v_add3_u32 v23, v24, v23, 0x7fff
                                        ; implicit-def: $vgpr24
; %bb.617:
	s_andn2_saveexec_b32 s21, s8
; %bb.618:
	v_mov_b32_e32 v23, 0
	v_or_b32_e32 v25, 0x10000, v24
	v_cmp_eq_u32_sdwa s8, v24, v23 src0_sel:WORD_0 src1_sel:DWORD
	v_cndmask_b32_e64 v23, v25, v24, s8
; %bb.619:
	s_or_b32 exec_lo, exec_lo, s21
	v_lshlrev_b32_e32 v24, 16, v66
	v_add_f32_e32 v25, 0, v24
	v_and_b32_e32 v24, 0x7f800000, v25
	v_cmp_ne_u32_e64 s8, 0x7f800000, v24
                                        ; implicit-def: $vgpr24
	s_and_saveexec_b32 s21, s8
	s_xor_b32 s8, exec_lo, s21
; %bb.620:
	v_bfe_u32 v24, v25, 16, 1
	v_add3_u32 v24, v25, v24, 0x7fff
                                        ; implicit-def: $vgpr25
; %bb.621:
	s_andn2_saveexec_b32 s21, s8
; %bb.622:
	v_mov_b32_e32 v24, 0
	v_or_b32_e32 v26, 0x10000, v25
	v_cmp_eq_u32_sdwa s8, v25, v24 src0_sel:WORD_0 src1_sel:DWORD
	v_cndmask_b32_e64 v24, v26, v25, s8
; %bb.623:
	s_or_b32 exec_lo, exec_lo, s21
	v_cmp_lt_i32_e64 s8, -1, v23
	v_perm_b32 v23, v24, v23, 0x7060302
	v_cndmask_b32_e64 v25, -1, 0xffff8000, s8
	v_cmp_lt_i32_e64 s8, -1, v24
	v_cndmask_b32_e64 v26, -1, 0xffff8000, s8
	v_perm_b32 v24, v26, v25, 0x5040100
	v_xor_b32_e32 v23, v24, v23
	v_cmp_le_u16_sdwa s8, v23, v23 src0_sel:DWORD src1_sel:WORD_1
	s_and_b32 s21, s8, exec_lo
.LBB1954_624:
	s_or_b32 exec_lo, exec_lo, s18
	s_orn2_b32 s18, s21, exec_lo
.LBB1954_625:
	s_or_b32 exec_lo, exec_lo, s20
	v_cndmask_b32_e64 v23, v21, v22, s18
	v_cndmask_b32_e64 v24, v53, v52, s18
	s_mov_b32 s20, exec_lo
	v_add_nc_u32_e32 v26, 1, v23
	v_add_nc_u32_e32 v24, -1, v24
	v_lshl_add_u32 v23, v23, 3, v13
	v_cndmask_b32_e64 v25, v26, v21, s18
	v_min_u32_e32 v24, v26, v24
	v_cndmask_b32_e64 v26, v22, v26, s18
	v_lshl_add_u32 v24, v24, 1, v10
	ds_read_u16 v67, v24
	ds_read_b64 v[23:24], v23 offset:4096
	s_waitcnt lgkmcnt(1)
	v_cndmask_b32_e64 v50, v67, v39, s18
	v_cndmask_b32_e64 v67, v66, v67, s18
	v_cmpx_lt_u32_e64 v25, v53
	s_cbranch_execz .LBB1954_637
; %bb.626:
	s_mov_b32 s21, 0
	s_mov_b32 s19, exec_lo
	v_cmpx_lt_u32_e64 v26, v52
	s_cbranch_execz .LBB1954_636
; %bb.627:
	v_lshlrev_b32_e32 v21, 16, v50
	v_add_f32_e32 v22, 0, v21
	v_and_b32_e32 v21, 0x7f800000, v22
	v_cmp_ne_u32_e64 s8, 0x7f800000, v21
                                        ; implicit-def: $vgpr21
	s_and_saveexec_b32 s21, s8
	s_xor_b32 s8, exec_lo, s21
; %bb.628:
	v_bfe_u32 v21, v22, 16, 1
	v_add3_u32 v21, v22, v21, 0x7fff
                                        ; implicit-def: $vgpr22
; %bb.629:
	s_andn2_saveexec_b32 s21, s8
; %bb.630:
	v_mov_b32_e32 v21, 0
	v_or_b32_e32 v68, 0x10000, v22
	v_cmp_eq_u32_sdwa s8, v22, v21 src0_sel:WORD_0 src1_sel:DWORD
	v_cndmask_b32_e64 v21, v68, v22, s8
; %bb.631:
	s_or_b32 exec_lo, exec_lo, s21
	v_lshlrev_b32_e32 v22, 16, v67
	v_add_f32_e32 v68, 0, v22
	v_and_b32_e32 v22, 0x7f800000, v68
	v_cmp_ne_u32_e64 s8, 0x7f800000, v22
                                        ; implicit-def: $vgpr22
	s_and_saveexec_b32 s21, s8
	s_xor_b32 s8, exec_lo, s21
; %bb.632:
	v_bfe_u32 v22, v68, 16, 1
	v_add3_u32 v22, v68, v22, 0x7fff
                                        ; implicit-def: $vgpr68
; %bb.633:
	s_andn2_saveexec_b32 s21, s8
; %bb.634:
	v_mov_b32_e32 v22, 0
	v_or_b32_e32 v69, 0x10000, v68
	v_cmp_eq_u32_sdwa s8, v68, v22 src0_sel:WORD_0 src1_sel:DWORD
	v_cndmask_b32_e64 v22, v69, v68, s8
; %bb.635:
	s_or_b32 exec_lo, exec_lo, s21
	v_cmp_lt_i32_e64 s8, -1, v21
	v_perm_b32 v21, v22, v21, 0x7060302
	v_cndmask_b32_e64 v68, -1, 0xffff8000, s8
	v_cmp_lt_i32_e64 s8, -1, v22
	v_cndmask_b32_e64 v69, -1, 0xffff8000, s8
	v_perm_b32 v22, v69, v68, 0x5040100
	v_xor_b32_e32 v21, v22, v21
	v_cmp_le_u16_sdwa s8, v21, v21 src0_sel:DWORD src1_sel:WORD_1
	s_and_b32 s21, s8, exec_lo
.LBB1954_636:
	s_or_b32 exec_lo, exec_lo, s19
	s_orn2_b32 s19, s21, exec_lo
.LBB1954_637:
	s_or_b32 exec_lo, exec_lo, s20
	v_cndmask_b32_e64 v21, v25, v26, s19
	v_cndmask_b32_e64 v22, v53, v52, s19
	s_mov_b32 s21, -1
	s_mov_b32 s20, exec_lo
	v_add_nc_u32_e32 v68, 1, v21
	v_add_nc_u32_e32 v22, -1, v22
	v_lshl_add_u32 v21, v21, 3, v13
	v_cndmask_b32_e64 v25, v68, v25, s19
	v_min_u32_e32 v22, v68, v22
	v_cndmask_b32_e64 v26, v26, v68, s19
	v_lshl_add_u32 v22, v22, 1, v10
	ds_read_u16 v69, v22
	ds_read_b64 v[21:22], v21 offset:4096
	s_waitcnt lgkmcnt(1)
	v_cndmask_b32_e64 v68, v69, v50, s19
	v_cndmask_b32_e64 v69, v67, v69, s19
	v_cmpx_lt_u32_e64 v25, v53
	s_cbranch_execz .LBB1954_649
; %bb.638:
	s_mov_b32 s22, 0
	s_mov_b32 s21, exec_lo
	v_cmpx_lt_u32_e64 v26, v52
	s_cbranch_execz .LBB1954_648
; %bb.639:
	v_lshlrev_b32_e32 v52, 16, v68
	v_add_f32_e32 v53, 0, v52
	v_and_b32_e32 v52, 0x7f800000, v53
	v_cmp_ne_u32_e64 s8, 0x7f800000, v52
                                        ; implicit-def: $vgpr52
	s_and_saveexec_b32 s22, s8
	s_xor_b32 s8, exec_lo, s22
; %bb.640:
	v_bfe_u32 v52, v53, 16, 1
	v_add3_u32 v52, v53, v52, 0x7fff
                                        ; implicit-def: $vgpr53
; %bb.641:
	s_andn2_saveexec_b32 s22, s8
; %bb.642:
	v_mov_b32_e32 v52, 0
	v_or_b32_e32 v70, 0x10000, v53
	v_cmp_eq_u32_sdwa s8, v53, v52 src0_sel:WORD_0 src1_sel:DWORD
	v_cndmask_b32_e64 v52, v70, v53, s8
; %bb.643:
	s_or_b32 exec_lo, exec_lo, s22
	v_lshlrev_b32_e32 v53, 16, v69
	v_add_f32_e32 v70, 0, v53
	v_and_b32_e32 v53, 0x7f800000, v70
	v_cmp_ne_u32_e64 s8, 0x7f800000, v53
                                        ; implicit-def: $vgpr53
	s_and_saveexec_b32 s22, s8
	s_xor_b32 s8, exec_lo, s22
; %bb.644:
	v_bfe_u32 v53, v70, 16, 1
	v_add3_u32 v53, v70, v53, 0x7fff
                                        ; implicit-def: $vgpr70
; %bb.645:
	s_andn2_saveexec_b32 s22, s8
; %bb.646:
	v_mov_b32_e32 v53, 0
	v_or_b32_e32 v71, 0x10000, v70
	v_cmp_eq_u32_sdwa s8, v70, v53 src0_sel:WORD_0 src1_sel:DWORD
	v_cndmask_b32_e64 v53, v71, v70, s8
; %bb.647:
	s_or_b32 exec_lo, exec_lo, s22
	v_cmp_lt_i32_e64 s8, -1, v52
	v_perm_b32 v52, v53, v52, 0x7060302
	v_cndmask_b32_e64 v70, -1, 0xffff8000, s8
	v_cmp_lt_i32_e64 s8, -1, v53
	v_cndmask_b32_e64 v71, -1, 0xffff8000, s8
	v_perm_b32 v53, v71, v70, 0x5040100
	v_xor_b32_e32 v52, v53, v52
	v_cmp_le_u16_sdwa s8, v52, v52 src0_sel:DWORD src1_sel:WORD_1
	s_and_b32 s22, s8, exec_lo
.LBB1954_648:
	s_or_b32 exec_lo, exec_lo, s21
	s_orn2_b32 s21, s22, exec_lo
.LBB1954_649:
	s_or_b32 exec_lo, exec_lo, s20
	v_cndmask_b32_e64 v25, v25, v26, s21
	v_cndmask_b32_e64 v50, v50, v67, s19
	;; [unrolled: 1-line block ×5, first 2 shown]
	v_lshl_add_u32 v25, v25, 3, v13
	v_cndmask_b32_e64 v32, v32, v55, s15
	v_cndmask_b32_e64 v48, v48, v54, s9
	;; [unrolled: 1-line block ×4, first 2 shown]
	ds_read_b64 v[25:26], v25 offset:4096
.LBB1954_650:
	s_or_b32 exec_lo, exec_lo, s12
	v_and_b32_e32 v53, 0x80, v36
	; wave barrier
	ds_write2_b64 v31, v[4:5], v[8:9] offset1:1
	v_min_u32_e32 v31, v27, v35
	v_or_b32_e32 v36, 64, v53
	v_perm_b32 v55, v38, v50, 0x5040100
	v_perm_b32 v54, v39, v49, 0x5040100
	;; [unrolled: 1-line block ×4, first 2 shown]
	v_min_u32_e32 v36, v27, v36
	ds_write2_b64 v28, v[15:16], v[17:18] offset1:1
	ds_write2_b64 v29, v[19:20], v[23:24] offset1:1
	v_lshl_add_u32 v28, v53, 1, v10
	s_mov_b32 s9, exec_lo
	ds_write2_b64 v14, v[64:65], v[54:55] offset1:1
	s_waitcnt lgkmcnt(4)
	ds_write2_b64 v30, v[21:22], v[25:26] offset1:1
	v_add_nc_u32_e32 v52, 64, v36
	v_sub_nc_u32_e32 v35, v36, v53
	; wave barrier
	v_min_u32_e32 v52, v27, v52
	v_min_u32_e32 v35, v31, v35
	v_sub_nc_u32_e32 v27, v52, v36
	v_sub_nc_u32_e64 v27, v31, v27 clamp
	v_cmpx_lt_u32_e64 v27, v35
	s_cbranch_execz .LBB1954_662
; %bb.651:
	v_lshlrev_b32_e32 v14, 1, v36
	v_lshlrev_b32_e32 v29, 1, v31
	s_mov_b32 s12, 0
	v_add3_u32 v14, v10, v14, v29
	v_mov_b32_e32 v29, 0
	s_branch .LBB1954_653
.LBB1954_652:                           ;   in Loop: Header=BB1954_653 Depth=1
	s_or_b32 exec_lo, exec_lo, s13
	v_cmp_lt_i32_e64 s8, -1, v54
	v_cndmask_b32_e64 v64, -1, 0xffff8000, s8
	v_cmp_lt_i32_e64 s8, -1, v55
	v_xor_b32_sdwa v54, v64, v54 dst_sel:DWORD dst_unused:UNUSED_PAD src0_sel:DWORD src1_sel:WORD_1
	v_cndmask_b32_e64 v65, -1, 0xffff8000, s8
	v_add_nc_u32_e32 v64, 1, v30
	v_xor_b32_sdwa v55, v65, v55 dst_sel:DWORD dst_unused:UNUSED_PAD src0_sel:DWORD src1_sel:WORD_1
	v_cmp_gt_u16_e64 s8, v54, v55
	v_cndmask_b32_e64 v35, v35, v30, s8
	v_cndmask_b32_e64 v27, v64, v27, s8
	v_cmp_ge_u32_e64 s8, v27, v35
	s_or_b32 s12, s8, s12
	s_andn2_b32 exec_lo, exec_lo, s12
	s_cbranch_execz .LBB1954_661
.LBB1954_653:                           ; =>This Inner Loop Header: Depth=1
	v_add_nc_u32_e32 v54, v35, v27
	v_lshrrev_b32_e32 v30, 1, v54
	v_and_b32_e32 v54, -2, v54
	v_not_b32_e32 v55, v30
	v_add_nc_u32_e32 v54, v28, v54
	v_lshl_add_u32 v55, v55, 1, v14
	ds_read_u16 v64, v55
	ds_read_u16 v55, v54
	s_waitcnt lgkmcnt(1)
	v_lshlrev_b32_e32 v54, 16, v64
	v_add_f32_e32 v64, 0, v54
	v_and_b32_e32 v54, 0x7f800000, v64
	v_cmp_ne_u32_e64 s8, 0x7f800000, v54
                                        ; implicit-def: $vgpr54
	s_and_saveexec_b32 s13, s8
	s_xor_b32 s8, exec_lo, s13
; %bb.654:                              ;   in Loop: Header=BB1954_653 Depth=1
	v_bfe_u32 v54, v64, 16, 1
	v_add3_u32 v54, v64, v54, 0x7fff
                                        ; implicit-def: $vgpr64
; %bb.655:                              ;   in Loop: Header=BB1954_653 Depth=1
	s_andn2_saveexec_b32 s13, s8
; %bb.656:                              ;   in Loop: Header=BB1954_653 Depth=1
	v_or_b32_e32 v54, 0x10000, v64
	v_cmp_eq_u32_sdwa s8, v64, v29 src0_sel:WORD_0 src1_sel:DWORD
	v_cndmask_b32_e64 v54, v54, v64, s8
; %bb.657:                              ;   in Loop: Header=BB1954_653 Depth=1
	s_or_b32 exec_lo, exec_lo, s13
	s_waitcnt lgkmcnt(0)
	v_lshlrev_b32_e32 v55, 16, v55
	v_add_f32_e32 v64, 0, v55
	v_and_b32_e32 v55, 0x7f800000, v64
	v_cmp_ne_u32_e64 s8, 0x7f800000, v55
                                        ; implicit-def: $vgpr55
	s_and_saveexec_b32 s13, s8
	s_xor_b32 s8, exec_lo, s13
; %bb.658:                              ;   in Loop: Header=BB1954_653 Depth=1
	v_bfe_u32 v55, v64, 16, 1
	v_add3_u32 v55, v64, v55, 0x7fff
                                        ; implicit-def: $vgpr64
; %bb.659:                              ;   in Loop: Header=BB1954_653 Depth=1
	s_andn2_saveexec_b32 s13, s8
	s_cbranch_execz .LBB1954_652
; %bb.660:                              ;   in Loop: Header=BB1954_653 Depth=1
	v_or_b32_e32 v55, 0x10000, v64
	v_cmp_eq_u32_sdwa s8, v64, v29 src0_sel:WORD_0 src1_sel:DWORD
	v_cndmask_b32_e64 v55, v55, v64, s8
	s_branch .LBB1954_652
.LBB1954_661:
	s_or_b32 exec_lo, exec_lo, s12
.LBB1954_662:
	s_or_b32 exec_lo, exec_lo, s9
	v_add_nc_u32_e32 v14, v36, v31
	v_add_nc_u32_e32 v29, v27, v53
	v_sub_nc_u32_e32 v30, v14, v27
	v_cmp_le_u32_e64 s8, v29, v36
	v_cmp_le_u32_e64 s9, v30, v52
	s_or_b32 s8, s8, s9
	s_and_saveexec_b32 s12, s8
	s_cbranch_execz .LBB1954_762
; %bb.663:
	v_cmp_ge_u32_e64 s8, v29, v36
	s_mov_b32 s13, exec_lo
                                        ; implicit-def: $vgpr14
	v_cmpx_lt_u32_e64 v29, v36
; %bb.664:
	v_lshl_add_u32 v4, v27, 1, v28
	ds_read_u16 v14, v4
; %bb.665:
	s_or_b32 exec_lo, exec_lo, s13
	v_cmp_ge_u32_e64 s13, v30, v52
	s_mov_b32 s15, exec_lo
                                        ; implicit-def: $vgpr27
	v_cmpx_lt_u32_e64 v30, v52
; %bb.666:
	v_lshl_add_u32 v4, v30, 1, v10
	ds_read_u16 v27, v4
; %bb.667:
	s_or_b32 exec_lo, exec_lo, s15
	s_nor_b32 s8, s8, s13
	s_and_saveexec_b32 s9, s8
	s_cbranch_execz .LBB1954_677
; %bb.668:
	s_waitcnt lgkmcnt(0)
	v_lshlrev_b32_e32 v4, 16, v27
	v_add_f32_e32 v5, 0, v4
	v_and_b32_e32 v4, 0x7f800000, v5
	v_cmp_ne_u32_e64 s8, 0x7f800000, v4
                                        ; implicit-def: $vgpr4
	s_and_saveexec_b32 s15, s8
	s_xor_b32 s8, exec_lo, s15
; %bb.669:
	v_bfe_u32 v4, v5, 16, 1
	v_add3_u32 v4, v5, v4, 0x7fff
                                        ; implicit-def: $vgpr5
; %bb.670:
	s_andn2_saveexec_b32 s15, s8
; %bb.671:
	v_mov_b32_e32 v4, 0
	v_or_b32_e32 v8, 0x10000, v5
	v_cmp_eq_u32_sdwa s8, v5, v4 src0_sel:WORD_0 src1_sel:DWORD
	v_cndmask_b32_e64 v4, v8, v5, s8
; %bb.672:
	s_or_b32 exec_lo, exec_lo, s15
	v_lshlrev_b32_e32 v5, 16, v14
	v_add_f32_e32 v8, 0, v5
	v_and_b32_e32 v5, 0x7f800000, v8
	v_cmp_ne_u32_e64 s8, 0x7f800000, v5
                                        ; implicit-def: $vgpr5
	s_and_saveexec_b32 s15, s8
	s_xor_b32 s8, exec_lo, s15
; %bb.673:
	v_bfe_u32 v5, v8, 16, 1
	v_add3_u32 v5, v8, v5, 0x7fff
                                        ; implicit-def: $vgpr8
; %bb.674:
	s_andn2_saveexec_b32 s15, s8
; %bb.675:
	v_mov_b32_e32 v5, 0
	v_or_b32_e32 v9, 0x10000, v8
	v_cmp_eq_u32_sdwa s8, v8, v5 src0_sel:WORD_0 src1_sel:DWORD
	v_cndmask_b32_e64 v5, v9, v8, s8
; %bb.676:
	s_or_b32 exec_lo, exec_lo, s15
	v_cmp_lt_i32_e64 s8, -1, v4
	v_perm_b32 v4, v5, v4, 0x7060302
	s_andn2_b32 s13, s13, exec_lo
	v_cndmask_b32_e64 v8, -1, 0xffff8000, s8
	v_cmp_lt_i32_e64 s8, -1, v5
	v_cndmask_b32_e64 v9, -1, 0xffff8000, s8
	v_perm_b32 v5, v9, v8, 0x5040100
	v_xor_b32_e32 v4, v5, v4
	v_cmp_le_u16_sdwa s8, v4, v4 src0_sel:DWORD src1_sel:WORD_1
	s_and_b32 s8, s8, exec_lo
	s_or_b32 s13, s13, s8
.LBB1954_677:
	s_or_b32 exec_lo, exec_lo, s9
	v_cndmask_b32_e64 v4, v30, v29, s13
	v_cndmask_b32_e64 v5, v52, v36, s13
	s_mov_b32 s15, -1
	s_mov_b32 s9, -1
	s_mov_b32 s16, exec_lo
	v_add_nc_u32_e32 v8, 1, v4
	v_add_nc_u32_e32 v5, -1, v5
	v_lshl_add_u32 v4, v4, 3, v13
	v_cndmask_b32_e64 v15, v8, v30, s13
	v_min_u32_e32 v5, v8, v5
	v_cndmask_b32_e64 v16, v29, v8, s13
	v_lshl_add_u32 v5, v5, 1, v10
	ds_read_u16 v9, v5
	ds_read_b64 v[4:5], v4 offset:4096
	s_waitcnt lgkmcnt(1)
	v_cndmask_b32_e64 v28, v9, v27, s13
	v_cndmask_b32_e64 v29, v14, v9, s13
	v_cmpx_lt_u32_e64 v15, v52
	s_cbranch_execz .LBB1954_689
; %bb.678:
	s_mov_b32 s17, 0
	s_mov_b32 s9, exec_lo
	v_cmpx_lt_u32_e64 v16, v36
	s_cbranch_execz .LBB1954_688
; %bb.679:
	v_lshlrev_b32_e32 v8, 16, v28
	v_add_f32_e32 v9, 0, v8
	v_and_b32_e32 v8, 0x7f800000, v9
	v_cmp_ne_u32_e64 s8, 0x7f800000, v8
                                        ; implicit-def: $vgpr8
	s_and_saveexec_b32 s17, s8
	s_xor_b32 s8, exec_lo, s17
; %bb.680:
	v_bfe_u32 v8, v9, 16, 1
	v_add3_u32 v8, v9, v8, 0x7fff
                                        ; implicit-def: $vgpr9
; %bb.681:
	s_andn2_saveexec_b32 s17, s8
; %bb.682:
	v_mov_b32_e32 v8, 0
	v_or_b32_e32 v17, 0x10000, v9
	v_cmp_eq_u32_sdwa s8, v9, v8 src0_sel:WORD_0 src1_sel:DWORD
	v_cndmask_b32_e64 v8, v17, v9, s8
; %bb.683:
	s_or_b32 exec_lo, exec_lo, s17
	v_lshlrev_b32_e32 v9, 16, v29
	v_add_f32_e32 v17, 0, v9
	v_and_b32_e32 v9, 0x7f800000, v17
	v_cmp_ne_u32_e64 s8, 0x7f800000, v9
                                        ; implicit-def: $vgpr9
	s_and_saveexec_b32 s17, s8
	s_xor_b32 s8, exec_lo, s17
; %bb.684:
	v_bfe_u32 v9, v17, 16, 1
	v_add3_u32 v9, v17, v9, 0x7fff
                                        ; implicit-def: $vgpr17
; %bb.685:
	s_andn2_saveexec_b32 s17, s8
; %bb.686:
	v_mov_b32_e32 v9, 0
	v_or_b32_e32 v18, 0x10000, v17
	v_cmp_eq_u32_sdwa s8, v17, v9 src0_sel:WORD_0 src1_sel:DWORD
	v_cndmask_b32_e64 v9, v18, v17, s8
; %bb.687:
	s_or_b32 exec_lo, exec_lo, s17
	v_cmp_lt_i32_e64 s8, -1, v8
	v_perm_b32 v8, v9, v8, 0x7060302
	v_cndmask_b32_e64 v17, -1, 0xffff8000, s8
	v_cmp_lt_i32_e64 s8, -1, v9
	v_cndmask_b32_e64 v18, -1, 0xffff8000, s8
	v_perm_b32 v9, v18, v17, 0x5040100
	v_xor_b32_e32 v8, v9, v8
	v_cmp_le_u16_sdwa s8, v8, v8 src0_sel:DWORD src1_sel:WORD_1
	s_and_b32 s17, s8, exec_lo
.LBB1954_688:
	s_or_b32 exec_lo, exec_lo, s9
	s_orn2_b32 s9, s17, exec_lo
.LBB1954_689:
	s_or_b32 exec_lo, exec_lo, s16
	v_cndmask_b32_e64 v8, v15, v16, s9
	v_cndmask_b32_e64 v9, v52, v36, s9
	s_mov_b32 s16, exec_lo
	v_add_nc_u32_e32 v18, 1, v8
	v_add_nc_u32_e32 v9, -1, v9
	v_lshl_add_u32 v8, v8, 3, v13
	v_cndmask_b32_e64 v17, v18, v15, s9
	v_min_u32_e32 v9, v18, v9
	v_cndmask_b32_e64 v18, v16, v18, s9
	v_lshl_add_u32 v9, v9, 1, v10
	ds_read_u16 v19, v9
	ds_read_b64 v[8:9], v8 offset:4096
	s_waitcnt lgkmcnt(1)
	v_cndmask_b32_e64 v30, v19, v28, s9
	v_cndmask_b32_e64 v31, v29, v19, s9
	v_cmpx_lt_u32_e64 v17, v52
	s_cbranch_execz .LBB1954_701
; %bb.690:
	s_mov_b32 s17, 0
	s_mov_b32 s15, exec_lo
	v_cmpx_lt_u32_e64 v18, v36
	s_cbranch_execz .LBB1954_700
; %bb.691:
	v_lshlrev_b32_e32 v15, 16, v30
	v_add_f32_e32 v16, 0, v15
	v_and_b32_e32 v15, 0x7f800000, v16
	v_cmp_ne_u32_e64 s8, 0x7f800000, v15
                                        ; implicit-def: $vgpr15
	s_and_saveexec_b32 s17, s8
	s_xor_b32 s8, exec_lo, s17
; %bb.692:
	v_bfe_u32 v15, v16, 16, 1
	v_add3_u32 v15, v16, v15, 0x7fff
                                        ; implicit-def: $vgpr16
; %bb.693:
	s_andn2_saveexec_b32 s17, s8
; %bb.694:
	v_mov_b32_e32 v15, 0
	v_or_b32_e32 v19, 0x10000, v16
	v_cmp_eq_u32_sdwa s8, v16, v15 src0_sel:WORD_0 src1_sel:DWORD
	v_cndmask_b32_e64 v15, v19, v16, s8
; %bb.695:
	s_or_b32 exec_lo, exec_lo, s17
	v_lshlrev_b32_e32 v16, 16, v31
	v_add_f32_e32 v19, 0, v16
	v_and_b32_e32 v16, 0x7f800000, v19
	v_cmp_ne_u32_e64 s8, 0x7f800000, v16
                                        ; implicit-def: $vgpr16
	s_and_saveexec_b32 s17, s8
	s_xor_b32 s8, exec_lo, s17
; %bb.696:
	v_bfe_u32 v16, v19, 16, 1
	v_add3_u32 v16, v19, v16, 0x7fff
                                        ; implicit-def: $vgpr19
; %bb.697:
	s_andn2_saveexec_b32 s17, s8
; %bb.698:
	v_mov_b32_e32 v16, 0
	v_or_b32_e32 v20, 0x10000, v19
	v_cmp_eq_u32_sdwa s8, v19, v16 src0_sel:WORD_0 src1_sel:DWORD
	v_cndmask_b32_e64 v16, v20, v19, s8
; %bb.699:
	s_or_b32 exec_lo, exec_lo, s17
	v_cmp_lt_i32_e64 s8, -1, v15
	v_perm_b32 v15, v16, v15, 0x7060302
	v_cndmask_b32_e64 v19, -1, 0xffff8000, s8
	v_cmp_lt_i32_e64 s8, -1, v16
	v_cndmask_b32_e64 v20, -1, 0xffff8000, s8
	v_perm_b32 v16, v20, v19, 0x5040100
	v_xor_b32_e32 v15, v16, v15
	v_cmp_le_u16_sdwa s8, v15, v15 src0_sel:DWORD src1_sel:WORD_1
	s_and_b32 s17, s8, exec_lo
.LBB1954_700:
	s_or_b32 exec_lo, exec_lo, s15
	s_orn2_b32 s15, s17, exec_lo
.LBB1954_701:
	s_or_b32 exec_lo, exec_lo, s16
	v_cndmask_b32_e64 v15, v17, v18, s15
	v_cndmask_b32_e64 v16, v52, v36, s15
	s_mov_b32 s17, -1
	s_mov_b32 s16, -1
	s_mov_b32 s18, exec_lo
	v_add_nc_u32_e32 v20, 1, v15
	v_add_nc_u32_e32 v16, -1, v16
	v_lshl_add_u32 v15, v15, 3, v13
	v_cndmask_b32_e64 v19, v20, v17, s15
	v_min_u32_e32 v16, v20, v16
	v_cndmask_b32_e64 v20, v18, v20, s15
	v_lshl_add_u32 v16, v16, 1, v10
	ds_read_u16 v21, v16
	ds_read_b64 v[15:16], v15 offset:4096
	s_waitcnt lgkmcnt(1)
	v_cndmask_b32_e64 v32, v21, v30, s15
	v_cndmask_b32_e64 v35, v31, v21, s15
	v_cmpx_lt_u32_e64 v19, v52
	s_cbranch_execz .LBB1954_713
; %bb.702:
	s_mov_b32 s19, 0
	s_mov_b32 s16, exec_lo
	v_cmpx_lt_u32_e64 v20, v36
	s_cbranch_execz .LBB1954_712
; %bb.703:
	v_lshlrev_b32_e32 v17, 16, v32
	v_add_f32_e32 v18, 0, v17
	v_and_b32_e32 v17, 0x7f800000, v18
	v_cmp_ne_u32_e64 s8, 0x7f800000, v17
                                        ; implicit-def: $vgpr17
	s_and_saveexec_b32 s19, s8
	s_xor_b32 s8, exec_lo, s19
; %bb.704:
	v_bfe_u32 v17, v18, 16, 1
	v_add3_u32 v17, v18, v17, 0x7fff
                                        ; implicit-def: $vgpr18
; %bb.705:
	s_andn2_saveexec_b32 s19, s8
; %bb.706:
	v_mov_b32_e32 v17, 0
	v_or_b32_e32 v21, 0x10000, v18
	v_cmp_eq_u32_sdwa s8, v18, v17 src0_sel:WORD_0 src1_sel:DWORD
	v_cndmask_b32_e64 v17, v21, v18, s8
; %bb.707:
	s_or_b32 exec_lo, exec_lo, s19
	v_lshlrev_b32_e32 v18, 16, v35
	v_add_f32_e32 v21, 0, v18
	v_and_b32_e32 v18, 0x7f800000, v21
	v_cmp_ne_u32_e64 s8, 0x7f800000, v18
                                        ; implicit-def: $vgpr18
	s_and_saveexec_b32 s19, s8
	s_xor_b32 s8, exec_lo, s19
; %bb.708:
	v_bfe_u32 v18, v21, 16, 1
	v_add3_u32 v18, v21, v18, 0x7fff
                                        ; implicit-def: $vgpr21
; %bb.709:
	s_andn2_saveexec_b32 s19, s8
; %bb.710:
	v_mov_b32_e32 v18, 0
	v_or_b32_e32 v22, 0x10000, v21
	v_cmp_eq_u32_sdwa s8, v21, v18 src0_sel:WORD_0 src1_sel:DWORD
	v_cndmask_b32_e64 v18, v22, v21, s8
; %bb.711:
	s_or_b32 exec_lo, exec_lo, s19
	v_cmp_lt_i32_e64 s8, -1, v17
	v_perm_b32 v17, v18, v17, 0x7060302
	v_cndmask_b32_e64 v21, -1, 0xffff8000, s8
	v_cmp_lt_i32_e64 s8, -1, v18
	v_cndmask_b32_e64 v22, -1, 0xffff8000, s8
	v_perm_b32 v18, v22, v21, 0x5040100
	v_xor_b32_e32 v17, v18, v17
	v_cmp_le_u16_sdwa s8, v17, v17 src0_sel:DWORD src1_sel:WORD_1
	s_and_b32 s19, s8, exec_lo
.LBB1954_712:
	s_or_b32 exec_lo, exec_lo, s16
	s_orn2_b32 s16, s19, exec_lo
.LBB1954_713:
	s_or_b32 exec_lo, exec_lo, s18
	v_cndmask_b32_e64 v17, v19, v20, s16
	v_cndmask_b32_e64 v18, v52, v36, s16
	s_mov_b32 s18, exec_lo
	v_add_nc_u32_e32 v22, 1, v17
	v_add_nc_u32_e32 v18, -1, v18
	v_lshl_add_u32 v17, v17, 3, v13
	v_cndmask_b32_e64 v21, v22, v19, s16
	v_min_u32_e32 v18, v22, v18
	v_cndmask_b32_e64 v22, v20, v22, s16
	v_lshl_add_u32 v18, v18, 1, v10
	ds_read_u16 v23, v18
	ds_read_b64 v[17:18], v17 offset:4096
	s_waitcnt lgkmcnt(1)
	v_cndmask_b32_e64 v37, v23, v32, s16
	v_cndmask_b32_e64 v38, v35, v23, s16
	v_cmpx_lt_u32_e64 v21, v52
	s_cbranch_execz .LBB1954_725
; %bb.714:
	s_mov_b32 s19, 0
	s_mov_b32 s17, exec_lo
	v_cmpx_lt_u32_e64 v22, v36
	s_cbranch_execz .LBB1954_724
; %bb.715:
	v_lshlrev_b32_e32 v19, 16, v37
	v_add_f32_e32 v20, 0, v19
	v_and_b32_e32 v19, 0x7f800000, v20
	v_cmp_ne_u32_e64 s8, 0x7f800000, v19
                                        ; implicit-def: $vgpr19
	s_and_saveexec_b32 s19, s8
	s_xor_b32 s8, exec_lo, s19
; %bb.716:
	v_bfe_u32 v19, v20, 16, 1
	v_add3_u32 v19, v20, v19, 0x7fff
                                        ; implicit-def: $vgpr20
; %bb.717:
	s_andn2_saveexec_b32 s19, s8
; %bb.718:
	v_mov_b32_e32 v19, 0
	v_or_b32_e32 v23, 0x10000, v20
	v_cmp_eq_u32_sdwa s8, v20, v19 src0_sel:WORD_0 src1_sel:DWORD
	v_cndmask_b32_e64 v19, v23, v20, s8
; %bb.719:
	s_or_b32 exec_lo, exec_lo, s19
	v_lshlrev_b32_e32 v20, 16, v38
	v_add_f32_e32 v23, 0, v20
	v_and_b32_e32 v20, 0x7f800000, v23
	v_cmp_ne_u32_e64 s8, 0x7f800000, v20
                                        ; implicit-def: $vgpr20
	s_and_saveexec_b32 s19, s8
	s_xor_b32 s8, exec_lo, s19
; %bb.720:
	v_bfe_u32 v20, v23, 16, 1
	v_add3_u32 v20, v23, v20, 0x7fff
                                        ; implicit-def: $vgpr23
; %bb.721:
	s_andn2_saveexec_b32 s19, s8
; %bb.722:
	v_mov_b32_e32 v20, 0
	v_or_b32_e32 v24, 0x10000, v23
	v_cmp_eq_u32_sdwa s8, v23, v20 src0_sel:WORD_0 src1_sel:DWORD
	v_cndmask_b32_e64 v20, v24, v23, s8
; %bb.723:
	s_or_b32 exec_lo, exec_lo, s19
	v_cmp_lt_i32_e64 s8, -1, v19
	v_perm_b32 v19, v20, v19, 0x7060302
	v_cndmask_b32_e64 v23, -1, 0xffff8000, s8
	v_cmp_lt_i32_e64 s8, -1, v20
	v_cndmask_b32_e64 v24, -1, 0xffff8000, s8
	v_perm_b32 v20, v24, v23, 0x5040100
	v_xor_b32_e32 v19, v20, v19
	v_cmp_le_u16_sdwa s8, v19, v19 src0_sel:DWORD src1_sel:WORD_1
	s_and_b32 s19, s8, exec_lo
.LBB1954_724:
	s_or_b32 exec_lo, exec_lo, s17
	s_orn2_b32 s17, s19, exec_lo
.LBB1954_725:
	s_or_b32 exec_lo, exec_lo, s18
	v_cndmask_b32_e64 v19, v21, v22, s17
	v_cndmask_b32_e64 v20, v52, v36, s17
	s_mov_b32 s19, -1
	s_mov_b32 s18, -1
	s_mov_b32 s20, exec_lo
	v_add_nc_u32_e32 v23, 1, v19
	v_add_nc_u32_e32 v20, -1, v20
	v_lshl_add_u32 v19, v19, 3, v13
	v_cndmask_b32_e64 v21, v23, v21, s17
	v_min_u32_e32 v20, v23, v20
	v_cndmask_b32_e64 v22, v22, v23, s17
	v_lshl_add_u32 v20, v20, 1, v10
	ds_read_u16 v24, v20
	ds_read_b64 v[19:20], v19 offset:4096
	s_waitcnt lgkmcnt(1)
	v_cndmask_b32_e64 v39, v24, v37, s17
	v_cndmask_b32_e64 v48, v38, v24, s17
	v_cmpx_lt_u32_e64 v21, v52
	s_cbranch_execz .LBB1954_737
; %bb.726:
	s_mov_b32 s21, 0
	s_mov_b32 s18, exec_lo
	v_cmpx_lt_u32_e64 v22, v36
	s_cbranch_execz .LBB1954_736
; %bb.727:
	v_lshlrev_b32_e32 v23, 16, v39
	v_add_f32_e32 v24, 0, v23
	v_and_b32_e32 v23, 0x7f800000, v24
	v_cmp_ne_u32_e64 s8, 0x7f800000, v23
                                        ; implicit-def: $vgpr23
	s_and_saveexec_b32 s21, s8
	s_xor_b32 s8, exec_lo, s21
; %bb.728:
	v_bfe_u32 v23, v24, 16, 1
	v_add3_u32 v23, v24, v23, 0x7fff
                                        ; implicit-def: $vgpr24
; %bb.729:
	s_andn2_saveexec_b32 s21, s8
; %bb.730:
	v_mov_b32_e32 v23, 0
	v_or_b32_e32 v25, 0x10000, v24
	v_cmp_eq_u32_sdwa s8, v24, v23 src0_sel:WORD_0 src1_sel:DWORD
	v_cndmask_b32_e64 v23, v25, v24, s8
; %bb.731:
	s_or_b32 exec_lo, exec_lo, s21
	v_lshlrev_b32_e32 v24, 16, v48
	v_add_f32_e32 v25, 0, v24
	v_and_b32_e32 v24, 0x7f800000, v25
	v_cmp_ne_u32_e64 s8, 0x7f800000, v24
                                        ; implicit-def: $vgpr24
	s_and_saveexec_b32 s21, s8
	s_xor_b32 s8, exec_lo, s21
; %bb.732:
	v_bfe_u32 v24, v25, 16, 1
	v_add3_u32 v24, v25, v24, 0x7fff
                                        ; implicit-def: $vgpr25
; %bb.733:
	s_andn2_saveexec_b32 s21, s8
; %bb.734:
	v_mov_b32_e32 v24, 0
	v_or_b32_e32 v26, 0x10000, v25
	v_cmp_eq_u32_sdwa s8, v25, v24 src0_sel:WORD_0 src1_sel:DWORD
	v_cndmask_b32_e64 v24, v26, v25, s8
; %bb.735:
	s_or_b32 exec_lo, exec_lo, s21
	v_cmp_lt_i32_e64 s8, -1, v23
	v_perm_b32 v23, v24, v23, 0x7060302
	v_cndmask_b32_e64 v25, -1, 0xffff8000, s8
	v_cmp_lt_i32_e64 s8, -1, v24
	v_cndmask_b32_e64 v26, -1, 0xffff8000, s8
	v_perm_b32 v24, v26, v25, 0x5040100
	v_xor_b32_e32 v23, v24, v23
	v_cmp_le_u16_sdwa s8, v23, v23 src0_sel:DWORD src1_sel:WORD_1
	s_and_b32 s21, s8, exec_lo
.LBB1954_736:
	s_or_b32 exec_lo, exec_lo, s18
	s_orn2_b32 s18, s21, exec_lo
.LBB1954_737:
	s_or_b32 exec_lo, exec_lo, s20
	v_cndmask_b32_e64 v23, v21, v22, s18
	v_cndmask_b32_e64 v24, v52, v36, s18
	s_mov_b32 s20, exec_lo
	v_add_nc_u32_e32 v26, 1, v23
	v_add_nc_u32_e32 v24, -1, v24
	v_lshl_add_u32 v23, v23, 3, v13
	v_cndmask_b32_e64 v25, v26, v21, s18
	v_min_u32_e32 v24, v26, v24
	v_cndmask_b32_e64 v26, v22, v26, s18
	v_lshl_add_u32 v24, v24, 1, v10
	ds_read_u16 v50, v24
	ds_read_b64 v[23:24], v23 offset:4096
	s_waitcnt lgkmcnt(1)
	v_cndmask_b32_e64 v49, v50, v39, s18
	v_cndmask_b32_e64 v50, v48, v50, s18
	v_cmpx_lt_u32_e64 v25, v52
	s_cbranch_execz .LBB1954_749
; %bb.738:
	s_mov_b32 s21, 0
	s_mov_b32 s19, exec_lo
	v_cmpx_lt_u32_e64 v26, v36
	s_cbranch_execz .LBB1954_748
; %bb.739:
	v_lshlrev_b32_e32 v21, 16, v49
	v_add_f32_e32 v22, 0, v21
	v_and_b32_e32 v21, 0x7f800000, v22
	v_cmp_ne_u32_e64 s8, 0x7f800000, v21
                                        ; implicit-def: $vgpr21
	s_and_saveexec_b32 s21, s8
	s_xor_b32 s8, exec_lo, s21
; %bb.740:
	v_bfe_u32 v21, v22, 16, 1
	v_add3_u32 v21, v22, v21, 0x7fff
                                        ; implicit-def: $vgpr22
; %bb.741:
	s_andn2_saveexec_b32 s21, s8
; %bb.742:
	v_mov_b32_e32 v21, 0
	v_or_b32_e32 v51, 0x10000, v22
	v_cmp_eq_u32_sdwa s8, v22, v21 src0_sel:WORD_0 src1_sel:DWORD
	v_cndmask_b32_e64 v21, v51, v22, s8
; %bb.743:
	s_or_b32 exec_lo, exec_lo, s21
	v_lshlrev_b32_e32 v22, 16, v50
	v_add_f32_e32 v51, 0, v22
	v_and_b32_e32 v22, 0x7f800000, v51
	v_cmp_ne_u32_e64 s8, 0x7f800000, v22
                                        ; implicit-def: $vgpr22
	s_and_saveexec_b32 s21, s8
	s_xor_b32 s8, exec_lo, s21
; %bb.744:
	v_bfe_u32 v22, v51, 16, 1
	v_add3_u32 v22, v51, v22, 0x7fff
                                        ; implicit-def: $vgpr51
; %bb.745:
	s_andn2_saveexec_b32 s21, s8
; %bb.746:
	v_mov_b32_e32 v22, 0
	v_or_b32_e32 v53, 0x10000, v51
	v_cmp_eq_u32_sdwa s8, v51, v22 src0_sel:WORD_0 src1_sel:DWORD
	v_cndmask_b32_e64 v22, v53, v51, s8
; %bb.747:
	s_or_b32 exec_lo, exec_lo, s21
	v_cmp_lt_i32_e64 s8, -1, v21
	v_perm_b32 v21, v22, v21, 0x7060302
	v_cndmask_b32_e64 v51, -1, 0xffff8000, s8
	v_cmp_lt_i32_e64 s8, -1, v22
	v_cndmask_b32_e64 v53, -1, 0xffff8000, s8
	v_perm_b32 v22, v53, v51, 0x5040100
	v_xor_b32_e32 v21, v22, v21
	v_cmp_le_u16_sdwa s8, v21, v21 src0_sel:DWORD src1_sel:WORD_1
	s_and_b32 s21, s8, exec_lo
.LBB1954_748:
	s_or_b32 exec_lo, exec_lo, s19
	s_orn2_b32 s19, s21, exec_lo
.LBB1954_749:
	s_or_b32 exec_lo, exec_lo, s20
	v_cndmask_b32_e64 v21, v25, v26, s19
	v_cndmask_b32_e64 v22, v52, v36, s19
	s_mov_b32 s21, -1
	s_mov_b32 s20, exec_lo
	v_add_nc_u32_e32 v51, 1, v21
	v_add_nc_u32_e32 v22, -1, v22
	v_cndmask_b32_e64 v25, v51, v25, s19
	v_min_u32_e32 v22, v51, v22
	v_cndmask_b32_e64 v26, v26, v51, s19
	v_lshl_add_u32 v10, v22, 1, v10
	ds_read_u16 v53, v10
	v_lshl_add_u32 v10, v21, 3, v13
	ds_read_b64 v[21:22], v10 offset:4096
	s_waitcnt lgkmcnt(1)
	v_cndmask_b32_e64 v10, v53, v49, s19
	v_cndmask_b32_e64 v53, v50, v53, s19
	v_cmpx_lt_u32_e64 v25, v52
	s_cbranch_execz .LBB1954_761
; %bb.750:
	s_mov_b32 s22, 0
	s_mov_b32 s21, exec_lo
	v_cmpx_lt_u32_e64 v26, v36
	s_cbranch_execz .LBB1954_760
; %bb.751:
	v_lshlrev_b32_e32 v36, 16, v10
	v_add_f32_e32 v51, 0, v36
	v_and_b32_e32 v36, 0x7f800000, v51
	v_cmp_ne_u32_e64 s8, 0x7f800000, v36
                                        ; implicit-def: $vgpr36
	s_and_saveexec_b32 s22, s8
	s_xor_b32 s8, exec_lo, s22
; %bb.752:
	v_bfe_u32 v36, v51, 16, 1
	v_add3_u32 v36, v51, v36, 0x7fff
                                        ; implicit-def: $vgpr51
; %bb.753:
	s_andn2_saveexec_b32 s22, s8
; %bb.754:
	v_mov_b32_e32 v36, 0
	v_or_b32_e32 v52, 0x10000, v51
	v_cmp_eq_u32_sdwa s8, v51, v36 src0_sel:WORD_0 src1_sel:DWORD
	v_cndmask_b32_e64 v36, v52, v51, s8
; %bb.755:
	s_or_b32 exec_lo, exec_lo, s22
	v_lshlrev_b32_e32 v51, 16, v53
	v_add_f32_e32 v52, 0, v51
	v_and_b32_e32 v51, 0x7f800000, v52
	v_cmp_ne_u32_e64 s8, 0x7f800000, v51
                                        ; implicit-def: $vgpr51
	s_and_saveexec_b32 s22, s8
	s_xor_b32 s8, exec_lo, s22
; %bb.756:
	v_bfe_u32 v51, v52, 16, 1
	v_add3_u32 v51, v52, v51, 0x7fff
                                        ; implicit-def: $vgpr52
; %bb.757:
	s_andn2_saveexec_b32 s22, s8
; %bb.758:
	v_mov_b32_e32 v51, 0
	v_or_b32_e32 v54, 0x10000, v52
	v_cmp_eq_u32_sdwa s8, v52, v51 src0_sel:WORD_0 src1_sel:DWORD
	v_cndmask_b32_e64 v51, v54, v52, s8
; %bb.759:
	s_or_b32 exec_lo, exec_lo, s22
	v_cmp_lt_i32_e64 s8, -1, v36
	v_perm_b32 v36, v51, v36, 0x7060302
	v_cndmask_b32_e64 v52, -1, 0xffff8000, s8
	v_cmp_lt_i32_e64 s8, -1, v51
	v_cndmask_b32_e64 v54, -1, 0xffff8000, s8
	v_perm_b32 v51, v54, v52, 0x5040100
	v_xor_b32_e32 v36, v51, v36
	v_cmp_le_u16_sdwa s8, v36, v36 src0_sel:DWORD src1_sel:WORD_1
	s_and_b32 s22, s8, exec_lo
.LBB1954_760:
	s_or_b32 exec_lo, exec_lo, s21
	s_orn2_b32 s21, s22, exec_lo
.LBB1954_761:
	s_or_b32 exec_lo, exec_lo, s20
	v_cndmask_b32_e64 v25, v25, v26, s21
	v_cndmask_b32_e64 v50, v49, v50, s19
	;; [unrolled: 1-line block ×5, first 2 shown]
	v_lshl_add_u32 v13, v25, 3, v13
	v_cndmask_b32_e64 v32, v30, v31, s15
	v_cndmask_b32_e64 v48, v28, v29, s9
	;; [unrolled: 1-line block ×4, first 2 shown]
	ds_read_b64 v[25:26], v13 offset:4096
.LBB1954_762:
	s_or_b32 exec_lo, exec_lo, s12
	v_add_co_u32 v2, s8, v2, v11
	v_add_co_ci_u32_e64 v3, null, v3, v12, s8
	v_add_co_u32 v2, s8, v2, v33
	v_add_co_ci_u32_e64 v3, null, 0, v3, s8
	; wave barrier
	s_waitcnt lgkmcnt(0)
	s_waitcnt_vscnt null, 0x0
	s_barrier
	buffer_gl0_inv
	; wave barrier
	s_and_saveexec_b32 s8, vcc_lo
	s_cbranch_execnz .LBB1954_780
; %bb.763:
	s_or_b32 exec_lo, exec_lo, s8
	s_and_saveexec_b32 s8, s4
	s_cbranch_execnz .LBB1954_781
.LBB1954_764:
	s_or_b32 exec_lo, exec_lo, s8
	s_and_saveexec_b32 s8, s5
	s_cbranch_execnz .LBB1954_782
.LBB1954_765:
	s_or_b32 exec_lo, exec_lo, s8
	s_and_saveexec_b32 s8, s6
	s_cbranch_execnz .LBB1954_783
.LBB1954_766:
	s_or_b32 exec_lo, exec_lo, s8
	s_and_saveexec_b32 s8, s7
	s_cbranch_execnz .LBB1954_784
.LBB1954_767:
	s_or_b32 exec_lo, exec_lo, s8
	s_and_saveexec_b32 s8, s10
	s_cbranch_execnz .LBB1954_785
.LBB1954_768:
	s_or_b32 exec_lo, exec_lo, s8
	s_and_saveexec_b32 s8, s11
	s_cbranch_execnz .LBB1954_786
.LBB1954_769:
	s_or_b32 exec_lo, exec_lo, s8
	s_and_saveexec_b32 s8, s14
	s_cbranch_execz .LBB1954_771
.LBB1954_770:
	flat_store_short v[2:3], v38 offset:14
.LBB1954_771:
	s_or_b32 exec_lo, exec_lo, s8
	v_add_co_u32 v0, s8, v6, v0
	v_add_co_ci_u32_e64 v1, null, v7, v1, s8
	v_add_co_u32 v0, s8, v0, v34
	v_add_co_ci_u32_e64 v1, null, 0, v1, s8
	; wave barrier
	s_and_saveexec_b32 s8, vcc_lo
	s_cbranch_execnz .LBB1954_787
; %bb.772:
	s_or_b32 exec_lo, exec_lo, s8
	s_and_saveexec_b32 s8, s4
	s_cbranch_execnz .LBB1954_788
.LBB1954_773:
	s_or_b32 exec_lo, exec_lo, s8
	s_and_saveexec_b32 s4, s5
	s_cbranch_execnz .LBB1954_789
.LBB1954_774:
	s_or_b32 exec_lo, exec_lo, s4
	s_and_saveexec_b32 s4, s6
	s_cbranch_execnz .LBB1954_790
.LBB1954_775:
	s_or_b32 exec_lo, exec_lo, s4
	s_and_saveexec_b32 s4, s7
	s_cbranch_execnz .LBB1954_791
.LBB1954_776:
	s_or_b32 exec_lo, exec_lo, s4
	s_and_saveexec_b32 s4, s10
	s_cbranch_execnz .LBB1954_792
.LBB1954_777:
	s_or_b32 exec_lo, exec_lo, s4
	s_and_saveexec_b32 s4, s11
	s_cbranch_execnz .LBB1954_793
.LBB1954_778:
	s_or_b32 exec_lo, exec_lo, s4
	s_and_saveexec_b32 s4, s14
	s_cbranch_execnz .LBB1954_794
.LBB1954_779:
	s_or_b32 exec_lo, exec_lo, s4
	s_waitcnt lgkmcnt(0)
	s_setpc_b64 s[30:31]
.LBB1954_780:
	flat_store_short v[2:3], v37
	s_or_b32 exec_lo, exec_lo, s8
	s_and_saveexec_b32 s8, s4
	s_cbranch_execz .LBB1954_764
.LBB1954_781:
	flat_store_short v[2:3], v48 offset:2
	s_or_b32 exec_lo, exec_lo, s8
	s_and_saveexec_b32 s8, s5
	s_cbranch_execz .LBB1954_765
.LBB1954_782:
	flat_store_short v[2:3], v32 offset:4
	s_or_b32 exec_lo, exec_lo, s8
	s_and_saveexec_b32 s8, s6
	s_cbranch_execz .LBB1954_766
.LBB1954_783:
	flat_store_short v[2:3], v51 offset:6
	s_or_b32 exec_lo, exec_lo, s8
	s_and_saveexec_b32 s8, s7
	s_cbranch_execz .LBB1954_767
.LBB1954_784:
	flat_store_short v[2:3], v49 offset:8
	s_or_b32 exec_lo, exec_lo, s8
	s_and_saveexec_b32 s8, s10
	s_cbranch_execz .LBB1954_768
.LBB1954_785:
	flat_store_short v[2:3], v39 offset:10
	s_or_b32 exec_lo, exec_lo, s8
	s_and_saveexec_b32 s8, s11
	s_cbranch_execz .LBB1954_769
.LBB1954_786:
	flat_store_short v[2:3], v50 offset:12
	s_or_b32 exec_lo, exec_lo, s8
	s_and_saveexec_b32 s8, s14
	s_cbranch_execnz .LBB1954_770
	s_branch .LBB1954_771
.LBB1954_787:
	flat_store_dwordx2 v[0:1], v[4:5]
	s_or_b32 exec_lo, exec_lo, s8
	s_and_saveexec_b32 s8, s4
	s_cbranch_execz .LBB1954_773
.LBB1954_788:
	flat_store_dwordx2 v[0:1], v[8:9] offset:8
	s_or_b32 exec_lo, exec_lo, s8
	s_and_saveexec_b32 s4, s5
	s_cbranch_execz .LBB1954_774
.LBB1954_789:
	flat_store_dwordx2 v[0:1], v[15:16] offset:16
	s_or_b32 exec_lo, exec_lo, s4
	s_and_saveexec_b32 s4, s6
	s_cbranch_execz .LBB1954_775
.LBB1954_790:
	flat_store_dwordx2 v[0:1], v[17:18] offset:24
	s_or_b32 exec_lo, exec_lo, s4
	s_and_saveexec_b32 s4, s7
	s_cbranch_execz .LBB1954_776
.LBB1954_791:
	flat_store_dwordx2 v[0:1], v[19:20] offset:32
	s_or_b32 exec_lo, exec_lo, s4
	s_and_saveexec_b32 s4, s10
	s_cbranch_execz .LBB1954_777
.LBB1954_792:
	flat_store_dwordx2 v[0:1], v[23:24] offset:40
	s_or_b32 exec_lo, exec_lo, s4
	s_and_saveexec_b32 s4, s11
	s_cbranch_execz .LBB1954_778
.LBB1954_793:
	flat_store_dwordx2 v[0:1], v[21:22] offset:48
	s_or_b32 exec_lo, exec_lo, s4
	s_and_saveexec_b32 s4, s14
	s_cbranch_execz .LBB1954_779
.LBB1954_794:
	flat_store_dwordx2 v[0:1], v[25:26] offset:56
	s_or_b32 exec_lo, exec_lo, s4
	s_waitcnt lgkmcnt(0)
	s_setpc_b64 s[30:31]
.Lfunc_end1954:
	.size	_ZN7rocprim17ROCPRIM_400000_NS6detail26segmented_warp_sort_helperINS1_20WarpSortHelperConfigILj16ELj8ELj256EEE12hip_bfloat16lLi256ELb1EvE4sortIPKS5_PS5_PKlPlEEvT_T0_T1_T2_jjjjRNS6_12storage_typeE, .Lfunc_end1954-_ZN7rocprim17ROCPRIM_400000_NS6detail26segmented_warp_sort_helperINS1_20WarpSortHelperConfigILj16ELj8ELj256EEE12hip_bfloat16lLi256ELb1EvE4sortIPKS5_PS5_PKlPlEEvT_T0_T1_T2_jjjjRNS6_12storage_typeE
                                        ; -- End function
	.set .L_ZN7rocprim17ROCPRIM_400000_NS6detail26segmented_warp_sort_helperINS1_20WarpSortHelperConfigILj16ELj8ELj256EEE12hip_bfloat16lLi256ELb1EvE4sortIPKS5_PS5_PKlPlEEvT_T0_T1_T2_jjjjRNS6_12storage_typeE.num_vgpr, 82
	.set .L_ZN7rocprim17ROCPRIM_400000_NS6detail26segmented_warp_sort_helperINS1_20WarpSortHelperConfigILj16ELj8ELj256EEE12hip_bfloat16lLi256ELb1EvE4sortIPKS5_PS5_PKlPlEEvT_T0_T1_T2_jjjjRNS6_12storage_typeE.num_agpr, 0
	.set .L_ZN7rocprim17ROCPRIM_400000_NS6detail26segmented_warp_sort_helperINS1_20WarpSortHelperConfigILj16ELj8ELj256EEE12hip_bfloat16lLi256ELb1EvE4sortIPKS5_PS5_PKlPlEEvT_T0_T1_T2_jjjjRNS6_12storage_typeE.numbered_sgpr, 32
	.set .L_ZN7rocprim17ROCPRIM_400000_NS6detail26segmented_warp_sort_helperINS1_20WarpSortHelperConfigILj16ELj8ELj256EEE12hip_bfloat16lLi256ELb1EvE4sortIPKS5_PS5_PKlPlEEvT_T0_T1_T2_jjjjRNS6_12storage_typeE.num_named_barrier, 0
	.set .L_ZN7rocprim17ROCPRIM_400000_NS6detail26segmented_warp_sort_helperINS1_20WarpSortHelperConfigILj16ELj8ELj256EEE12hip_bfloat16lLi256ELb1EvE4sortIPKS5_PS5_PKlPlEEvT_T0_T1_T2_jjjjRNS6_12storage_typeE.private_seg_size, 0
	.set .L_ZN7rocprim17ROCPRIM_400000_NS6detail26segmented_warp_sort_helperINS1_20WarpSortHelperConfigILj16ELj8ELj256EEE12hip_bfloat16lLi256ELb1EvE4sortIPKS5_PS5_PKlPlEEvT_T0_T1_T2_jjjjRNS6_12storage_typeE.uses_vcc, 1
	.set .L_ZN7rocprim17ROCPRIM_400000_NS6detail26segmented_warp_sort_helperINS1_20WarpSortHelperConfigILj16ELj8ELj256EEE12hip_bfloat16lLi256ELb1EvE4sortIPKS5_PS5_PKlPlEEvT_T0_T1_T2_jjjjRNS6_12storage_typeE.uses_flat_scratch, 0
	.set .L_ZN7rocprim17ROCPRIM_400000_NS6detail26segmented_warp_sort_helperINS1_20WarpSortHelperConfigILj16ELj8ELj256EEE12hip_bfloat16lLi256ELb1EvE4sortIPKS5_PS5_PKlPlEEvT_T0_T1_T2_jjjjRNS6_12storage_typeE.has_dyn_sized_stack, 0
	.set .L_ZN7rocprim17ROCPRIM_400000_NS6detail26segmented_warp_sort_helperINS1_20WarpSortHelperConfigILj16ELj8ELj256EEE12hip_bfloat16lLi256ELb1EvE4sortIPKS5_PS5_PKlPlEEvT_T0_T1_T2_jjjjRNS6_12storage_typeE.has_recursion, 0
	.set .L_ZN7rocprim17ROCPRIM_400000_NS6detail26segmented_warp_sort_helperINS1_20WarpSortHelperConfigILj16ELj8ELj256EEE12hip_bfloat16lLi256ELb1EvE4sortIPKS5_PS5_PKlPlEEvT_T0_T1_T2_jjjjRNS6_12storage_typeE.has_indirect_call, 0
	.section	.AMDGPU.csdata,"",@progbits
; Function info:
; codeLenInByte = 25700
; TotalNumSgprs: 34
; NumVgprs: 82
; ScratchSize: 0
; MemoryBound: 0
	.section	.text._ZN7rocprim17ROCPRIM_400000_NS6detail17trampoline_kernelINS0_14default_configENS1_36segmented_radix_sort_config_selectorI12hip_bfloat16lEEZNS1_25segmented_radix_sort_implIS3_Lb1EPKS5_PS5_PKlPlN2at6native12_GLOBAL__N_18offset_tEEE10hipError_tPvRmT1_PNSt15iterator_traitsISL_E10value_typeET2_T3_PNSM_ISR_E10value_typeET4_jRbjT5_SX_jjP12ihipStream_tbEUlT_E0_NS1_11comp_targetILNS1_3genE8ELNS1_11target_archE1030ELNS1_3gpuE2ELNS1_3repE0EEENS1_60segmented_radix_sort_warp_sort_medium_config_static_selectorELNS0_4arch9wavefront6targetE0EEEvSL_,"axG",@progbits,_ZN7rocprim17ROCPRIM_400000_NS6detail17trampoline_kernelINS0_14default_configENS1_36segmented_radix_sort_config_selectorI12hip_bfloat16lEEZNS1_25segmented_radix_sort_implIS3_Lb1EPKS5_PS5_PKlPlN2at6native12_GLOBAL__N_18offset_tEEE10hipError_tPvRmT1_PNSt15iterator_traitsISL_E10value_typeET2_T3_PNSM_ISR_E10value_typeET4_jRbjT5_SX_jjP12ihipStream_tbEUlT_E0_NS1_11comp_targetILNS1_3genE8ELNS1_11target_archE1030ELNS1_3gpuE2ELNS1_3repE0EEENS1_60segmented_radix_sort_warp_sort_medium_config_static_selectorELNS0_4arch9wavefront6targetE0EEEvSL_,comdat
	.globl	_ZN7rocprim17ROCPRIM_400000_NS6detail17trampoline_kernelINS0_14default_configENS1_36segmented_radix_sort_config_selectorI12hip_bfloat16lEEZNS1_25segmented_radix_sort_implIS3_Lb1EPKS5_PS5_PKlPlN2at6native12_GLOBAL__N_18offset_tEEE10hipError_tPvRmT1_PNSt15iterator_traitsISL_E10value_typeET2_T3_PNSM_ISR_E10value_typeET4_jRbjT5_SX_jjP12ihipStream_tbEUlT_E0_NS1_11comp_targetILNS1_3genE8ELNS1_11target_archE1030ELNS1_3gpuE2ELNS1_3repE0EEENS1_60segmented_radix_sort_warp_sort_medium_config_static_selectorELNS0_4arch9wavefront6targetE0EEEvSL_ ; -- Begin function _ZN7rocprim17ROCPRIM_400000_NS6detail17trampoline_kernelINS0_14default_configENS1_36segmented_radix_sort_config_selectorI12hip_bfloat16lEEZNS1_25segmented_radix_sort_implIS3_Lb1EPKS5_PS5_PKlPlN2at6native12_GLOBAL__N_18offset_tEEE10hipError_tPvRmT1_PNSt15iterator_traitsISL_E10value_typeET2_T3_PNSM_ISR_E10value_typeET4_jRbjT5_SX_jjP12ihipStream_tbEUlT_E0_NS1_11comp_targetILNS1_3genE8ELNS1_11target_archE1030ELNS1_3gpuE2ELNS1_3repE0EEENS1_60segmented_radix_sort_warp_sort_medium_config_static_selectorELNS0_4arch9wavefront6targetE0EEEvSL_
	.p2align	8
	.type	_ZN7rocprim17ROCPRIM_400000_NS6detail17trampoline_kernelINS0_14default_configENS1_36segmented_radix_sort_config_selectorI12hip_bfloat16lEEZNS1_25segmented_radix_sort_implIS3_Lb1EPKS5_PS5_PKlPlN2at6native12_GLOBAL__N_18offset_tEEE10hipError_tPvRmT1_PNSt15iterator_traitsISL_E10value_typeET2_T3_PNSM_ISR_E10value_typeET4_jRbjT5_SX_jjP12ihipStream_tbEUlT_E0_NS1_11comp_targetILNS1_3genE8ELNS1_11target_archE1030ELNS1_3gpuE2ELNS1_3repE0EEENS1_60segmented_radix_sort_warp_sort_medium_config_static_selectorELNS0_4arch9wavefront6targetE0EEEvSL_,@function
_ZN7rocprim17ROCPRIM_400000_NS6detail17trampoline_kernelINS0_14default_configENS1_36segmented_radix_sort_config_selectorI12hip_bfloat16lEEZNS1_25segmented_radix_sort_implIS3_Lb1EPKS5_PS5_PKlPlN2at6native12_GLOBAL__N_18offset_tEEE10hipError_tPvRmT1_PNSt15iterator_traitsISL_E10value_typeET2_T3_PNSM_ISR_E10value_typeET4_jRbjT5_SX_jjP12ihipStream_tbEUlT_E0_NS1_11comp_targetILNS1_3genE8ELNS1_11target_archE1030ELNS1_3gpuE2ELNS1_3repE0EEENS1_60segmented_radix_sort_warp_sort_medium_config_static_selectorELNS0_4arch9wavefront6targetE0EEEvSL_: ; @_ZN7rocprim17ROCPRIM_400000_NS6detail17trampoline_kernelINS0_14default_configENS1_36segmented_radix_sort_config_selectorI12hip_bfloat16lEEZNS1_25segmented_radix_sort_implIS3_Lb1EPKS5_PS5_PKlPlN2at6native12_GLOBAL__N_18offset_tEEE10hipError_tPvRmT1_PNSt15iterator_traitsISL_E10value_typeET2_T3_PNSM_ISR_E10value_typeET4_jRbjT5_SX_jjP12ihipStream_tbEUlT_E0_NS1_11comp_targetILNS1_3genE8ELNS1_11target_archE1030ELNS1_3gpuE2ELNS1_3repE0EEENS1_60segmented_radix_sort_warp_sort_medium_config_static_selectorELNS0_4arch9wavefront6targetE0EEEvSL_
; %bb.0:
	s_add_u32 s0, s0, s8
	s_load_dword s8, s[4:5], 0x64
	s_addc_u32 s1, s1, 0
	s_mov_b32 s32, 0
	s_waitcnt lgkmcnt(0)
	s_lshr_b32 s9, s8, 16
	s_and_b32 s8, s8, 0xffff
	v_mad_u32_u24 v3, v2, s9, v1
	s_load_dword s9, s[4:5], 0x34
	v_mad_u64_u32 v[3:4], null, v3, s8, v[0:1]
	s_mov_b32 s8, exec_lo
	v_lshrrev_b32_e32 v3, 4, v3
	v_lshl_add_u32 v3, s6, 4, v3
	s_waitcnt lgkmcnt(0)
	v_cmpx_gt_u32_e64 s9, v3
	s_cbranch_execz .LBB1955_6
; %bb.1:
	s_clause 0x1
	s_load_dwordx2 s[12:13], s[4:5], 0x38
	s_load_dwordx4 s[8:11], s[4:5], 0x40
	v_mov_b32_e32 v4, 0
	v_lshlrev_b64 v[3:4], 2, v[3:4]
	s_waitcnt lgkmcnt(0)
	v_add_co_u32 v3, vcc_lo, s12, v3
	v_add_co_ci_u32_e64 v4, null, s13, v4, vcc_lo
	global_load_dword v3, v[3:4], off
	s_waitcnt vmcnt(0)
	v_add_nc_u32_e32 v4, s9, v3
	v_add_nc_u32_e32 v3, s11, v3
	v_mul_lo_u32 v40, v4, s8
	v_mul_lo_u32 v41, v3, s10
	v_cmp_gt_u32_e32 vcc_lo, v41, v40
	s_and_b32 exec_lo, exec_lo, vcc_lo
	s_cbranch_execz .LBB1955_6
; %bb.2:
	s_clause 0x2
	s_load_dword s8, s[4:5], 0x30
	s_load_dwordx4 s[24:27], s[4:5], 0x20
	s_load_dwordx8 s[36:43], s[4:5], 0x0
	v_lshlrev_b32_e32 v43, 20, v2
	v_lshlrev_b32_e32 v44, 10, v1
	s_waitcnt lgkmcnt(0)
	s_bitcmp0_b32 s8, 0
	s_mov_b32 s8, -1
	s_cbranch_scc0 .LBB1955_4
; %bb.3:
	v_or3_b32 v31, v0, v44, v43
	v_mov_b32_e32 v42, v0
	v_mov_b32_e32 v0, s36
	;; [unrolled: 1-line block ×11, first 2 shown]
	s_add_u32 s8, s4, 0x58
	s_addc_u32 s9, s5, 0
	s_getpc_b64 s[10:11]
	s_add_u32 s10, s10, _ZN7rocprim17ROCPRIM_400000_NS6detail26segmented_warp_sort_helperINS1_20WarpSortHelperConfigILj16ELj8ELj256EEE12hip_bfloat16lLi256ELb1EvE4sortIPKS5_PS5_PKlPlEEvT_T0_T1_T2_jjjjRNS6_12storage_typeE@rel32@lo+4
	s_addc_u32 s11, s11, _ZN7rocprim17ROCPRIM_400000_NS6detail26segmented_warp_sort_helperINS1_20WarpSortHelperConfigILj16ELj8ELj256EEE12hip_bfloat16lLi256ELb1EvE4sortIPKS5_PS5_PKlPlEEvT_T0_T1_T2_jjjjRNS6_12storage_typeE@rel32@hi+12
	s_mov_b32 s12, s6
	s_mov_b32 s13, s7
	s_mov_b64 s[24:25], s[4:5]
	s_mov_b32 s23, s7
	s_mov_b32 s28, s6
	s_swappc_b64 s[30:31], s[10:11]
	v_mov_b32_e32 v0, v42
	s_mov_b32 s6, s28
	s_mov_b32 s7, s23
	s_mov_b64 s[4:5], s[24:25]
	s_mov_b32 s8, 0
.LBB1955_4:
	s_andn2_b32 vcc_lo, exec_lo, s8
	s_cbranch_vccnz .LBB1955_6
; %bb.5:
	v_or3_b32 v31, v0, v44, v43
	v_mov_b32_e32 v0, s36
	v_mov_b32_e32 v1, s37
	;; [unrolled: 1-line block ×10, first 2 shown]
	s_add_u32 s8, s4, 0x58
	s_addc_u32 s9, s5, 0
	s_getpc_b64 s[4:5]
	s_add_u32 s4, s4, _ZN7rocprim17ROCPRIM_400000_NS6detail26segmented_warp_sort_helperINS1_20WarpSortHelperConfigILj16ELj8ELj256EEE12hip_bfloat16lLi256ELb1EvE4sortIPKS5_PS5_PKlPlEEvT_T0_T1_T2_jjjjRNS6_12storage_typeE@rel32@lo+4
	s_addc_u32 s5, s5, _ZN7rocprim17ROCPRIM_400000_NS6detail26segmented_warp_sort_helperINS1_20WarpSortHelperConfigILj16ELj8ELj256EEE12hip_bfloat16lLi256ELb1EvE4sortIPKS5_PS5_PKlPlEEvT_T0_T1_T2_jjjjRNS6_12storage_typeE@rel32@hi+12
	s_mov_b32 s12, s6
	s_mov_b32 s13, s7
	s_swappc_b64 s[30:31], s[4:5]
.LBB1955_6:
	s_endpgm
	.section	.rodata,"a",@progbits
	.p2align	6, 0x0
	.amdhsa_kernel _ZN7rocprim17ROCPRIM_400000_NS6detail17trampoline_kernelINS0_14default_configENS1_36segmented_radix_sort_config_selectorI12hip_bfloat16lEEZNS1_25segmented_radix_sort_implIS3_Lb1EPKS5_PS5_PKlPlN2at6native12_GLOBAL__N_18offset_tEEE10hipError_tPvRmT1_PNSt15iterator_traitsISL_E10value_typeET2_T3_PNSM_ISR_E10value_typeET4_jRbjT5_SX_jjP12ihipStream_tbEUlT_E0_NS1_11comp_targetILNS1_3genE8ELNS1_11target_archE1030ELNS1_3gpuE2ELNS1_3repE0EEENS1_60segmented_radix_sort_warp_sort_medium_config_static_selectorELNS0_4arch9wavefront6targetE0EEEvSL_
		.amdhsa_group_segment_fixed_size 20480
		.amdhsa_private_segment_fixed_size 0
		.amdhsa_kernarg_size 344
		.amdhsa_user_sgpr_count 6
		.amdhsa_user_sgpr_private_segment_buffer 1
		.amdhsa_user_sgpr_dispatch_ptr 0
		.amdhsa_user_sgpr_queue_ptr 0
		.amdhsa_user_sgpr_kernarg_segment_ptr 1
		.amdhsa_user_sgpr_dispatch_id 0
		.amdhsa_user_sgpr_flat_scratch_init 0
		.amdhsa_user_sgpr_private_segment_size 0
		.amdhsa_wavefront_size32 1
		.amdhsa_uses_dynamic_stack 0
		.amdhsa_system_sgpr_private_segment_wavefront_offset 0
		.amdhsa_system_sgpr_workgroup_id_x 1
		.amdhsa_system_sgpr_workgroup_id_y 1
		.amdhsa_system_sgpr_workgroup_id_z 0
		.amdhsa_system_sgpr_workgroup_info 0
		.amdhsa_system_vgpr_workitem_id 2
		.amdhsa_next_free_vgpr 82
		.amdhsa_next_free_sgpr 44
		.amdhsa_reserve_vcc 1
		.amdhsa_reserve_flat_scratch 0
		.amdhsa_float_round_mode_32 0
		.amdhsa_float_round_mode_16_64 0
		.amdhsa_float_denorm_mode_32 3
		.amdhsa_float_denorm_mode_16_64 3
		.amdhsa_dx10_clamp 1
		.amdhsa_ieee_mode 1
		.amdhsa_fp16_overflow 0
		.amdhsa_workgroup_processor_mode 1
		.amdhsa_memory_ordered 1
		.amdhsa_forward_progress 1
		.amdhsa_shared_vgpr_count 0
		.amdhsa_exception_fp_ieee_invalid_op 0
		.amdhsa_exception_fp_denorm_src 0
		.amdhsa_exception_fp_ieee_div_zero 0
		.amdhsa_exception_fp_ieee_overflow 0
		.amdhsa_exception_fp_ieee_underflow 0
		.amdhsa_exception_fp_ieee_inexact 0
		.amdhsa_exception_int_div_zero 0
	.end_amdhsa_kernel
	.section	.text._ZN7rocprim17ROCPRIM_400000_NS6detail17trampoline_kernelINS0_14default_configENS1_36segmented_radix_sort_config_selectorI12hip_bfloat16lEEZNS1_25segmented_radix_sort_implIS3_Lb1EPKS5_PS5_PKlPlN2at6native12_GLOBAL__N_18offset_tEEE10hipError_tPvRmT1_PNSt15iterator_traitsISL_E10value_typeET2_T3_PNSM_ISR_E10value_typeET4_jRbjT5_SX_jjP12ihipStream_tbEUlT_E0_NS1_11comp_targetILNS1_3genE8ELNS1_11target_archE1030ELNS1_3gpuE2ELNS1_3repE0EEENS1_60segmented_radix_sort_warp_sort_medium_config_static_selectorELNS0_4arch9wavefront6targetE0EEEvSL_,"axG",@progbits,_ZN7rocprim17ROCPRIM_400000_NS6detail17trampoline_kernelINS0_14default_configENS1_36segmented_radix_sort_config_selectorI12hip_bfloat16lEEZNS1_25segmented_radix_sort_implIS3_Lb1EPKS5_PS5_PKlPlN2at6native12_GLOBAL__N_18offset_tEEE10hipError_tPvRmT1_PNSt15iterator_traitsISL_E10value_typeET2_T3_PNSM_ISR_E10value_typeET4_jRbjT5_SX_jjP12ihipStream_tbEUlT_E0_NS1_11comp_targetILNS1_3genE8ELNS1_11target_archE1030ELNS1_3gpuE2ELNS1_3repE0EEENS1_60segmented_radix_sort_warp_sort_medium_config_static_selectorELNS0_4arch9wavefront6targetE0EEEvSL_,comdat
.Lfunc_end1955:
	.size	_ZN7rocprim17ROCPRIM_400000_NS6detail17trampoline_kernelINS0_14default_configENS1_36segmented_radix_sort_config_selectorI12hip_bfloat16lEEZNS1_25segmented_radix_sort_implIS3_Lb1EPKS5_PS5_PKlPlN2at6native12_GLOBAL__N_18offset_tEEE10hipError_tPvRmT1_PNSt15iterator_traitsISL_E10value_typeET2_T3_PNSM_ISR_E10value_typeET4_jRbjT5_SX_jjP12ihipStream_tbEUlT_E0_NS1_11comp_targetILNS1_3genE8ELNS1_11target_archE1030ELNS1_3gpuE2ELNS1_3repE0EEENS1_60segmented_radix_sort_warp_sort_medium_config_static_selectorELNS0_4arch9wavefront6targetE0EEEvSL_, .Lfunc_end1955-_ZN7rocprim17ROCPRIM_400000_NS6detail17trampoline_kernelINS0_14default_configENS1_36segmented_radix_sort_config_selectorI12hip_bfloat16lEEZNS1_25segmented_radix_sort_implIS3_Lb1EPKS5_PS5_PKlPlN2at6native12_GLOBAL__N_18offset_tEEE10hipError_tPvRmT1_PNSt15iterator_traitsISL_E10value_typeET2_T3_PNSM_ISR_E10value_typeET4_jRbjT5_SX_jjP12ihipStream_tbEUlT_E0_NS1_11comp_targetILNS1_3genE8ELNS1_11target_archE1030ELNS1_3gpuE2ELNS1_3repE0EEENS1_60segmented_radix_sort_warp_sort_medium_config_static_selectorELNS0_4arch9wavefront6targetE0EEEvSL_
                                        ; -- End function
	.set _ZN7rocprim17ROCPRIM_400000_NS6detail17trampoline_kernelINS0_14default_configENS1_36segmented_radix_sort_config_selectorI12hip_bfloat16lEEZNS1_25segmented_radix_sort_implIS3_Lb1EPKS5_PS5_PKlPlN2at6native12_GLOBAL__N_18offset_tEEE10hipError_tPvRmT1_PNSt15iterator_traitsISL_E10value_typeET2_T3_PNSM_ISR_E10value_typeET4_jRbjT5_SX_jjP12ihipStream_tbEUlT_E0_NS1_11comp_targetILNS1_3genE8ELNS1_11target_archE1030ELNS1_3gpuE2ELNS1_3repE0EEENS1_60segmented_radix_sort_warp_sort_medium_config_static_selectorELNS0_4arch9wavefront6targetE0EEEvSL_.num_vgpr, max(45, .L_ZN7rocprim17ROCPRIM_400000_NS6detail26segmented_warp_sort_helperINS1_20WarpSortHelperConfigILj16ELj8ELj256EEE12hip_bfloat16lLi256ELb1EvE4sortIPKS5_PS5_PKlPlEEvT_T0_T1_T2_jjjjRNS6_12storage_typeE.num_vgpr)
	.set _ZN7rocprim17ROCPRIM_400000_NS6detail17trampoline_kernelINS0_14default_configENS1_36segmented_radix_sort_config_selectorI12hip_bfloat16lEEZNS1_25segmented_radix_sort_implIS3_Lb1EPKS5_PS5_PKlPlN2at6native12_GLOBAL__N_18offset_tEEE10hipError_tPvRmT1_PNSt15iterator_traitsISL_E10value_typeET2_T3_PNSM_ISR_E10value_typeET4_jRbjT5_SX_jjP12ihipStream_tbEUlT_E0_NS1_11comp_targetILNS1_3genE8ELNS1_11target_archE1030ELNS1_3gpuE2ELNS1_3repE0EEENS1_60segmented_radix_sort_warp_sort_medium_config_static_selectorELNS0_4arch9wavefront6targetE0EEEvSL_.num_agpr, max(0, .L_ZN7rocprim17ROCPRIM_400000_NS6detail26segmented_warp_sort_helperINS1_20WarpSortHelperConfigILj16ELj8ELj256EEE12hip_bfloat16lLi256ELb1EvE4sortIPKS5_PS5_PKlPlEEvT_T0_T1_T2_jjjjRNS6_12storage_typeE.num_agpr)
	.set _ZN7rocprim17ROCPRIM_400000_NS6detail17trampoline_kernelINS0_14default_configENS1_36segmented_radix_sort_config_selectorI12hip_bfloat16lEEZNS1_25segmented_radix_sort_implIS3_Lb1EPKS5_PS5_PKlPlN2at6native12_GLOBAL__N_18offset_tEEE10hipError_tPvRmT1_PNSt15iterator_traitsISL_E10value_typeET2_T3_PNSM_ISR_E10value_typeET4_jRbjT5_SX_jjP12ihipStream_tbEUlT_E0_NS1_11comp_targetILNS1_3genE8ELNS1_11target_archE1030ELNS1_3gpuE2ELNS1_3repE0EEENS1_60segmented_radix_sort_warp_sort_medium_config_static_selectorELNS0_4arch9wavefront6targetE0EEEvSL_.numbered_sgpr, max(44, .L_ZN7rocprim17ROCPRIM_400000_NS6detail26segmented_warp_sort_helperINS1_20WarpSortHelperConfigILj16ELj8ELj256EEE12hip_bfloat16lLi256ELb1EvE4sortIPKS5_PS5_PKlPlEEvT_T0_T1_T2_jjjjRNS6_12storage_typeE.numbered_sgpr)
	.set _ZN7rocprim17ROCPRIM_400000_NS6detail17trampoline_kernelINS0_14default_configENS1_36segmented_radix_sort_config_selectorI12hip_bfloat16lEEZNS1_25segmented_radix_sort_implIS3_Lb1EPKS5_PS5_PKlPlN2at6native12_GLOBAL__N_18offset_tEEE10hipError_tPvRmT1_PNSt15iterator_traitsISL_E10value_typeET2_T3_PNSM_ISR_E10value_typeET4_jRbjT5_SX_jjP12ihipStream_tbEUlT_E0_NS1_11comp_targetILNS1_3genE8ELNS1_11target_archE1030ELNS1_3gpuE2ELNS1_3repE0EEENS1_60segmented_radix_sort_warp_sort_medium_config_static_selectorELNS0_4arch9wavefront6targetE0EEEvSL_.num_named_barrier, max(0, .L_ZN7rocprim17ROCPRIM_400000_NS6detail26segmented_warp_sort_helperINS1_20WarpSortHelperConfigILj16ELj8ELj256EEE12hip_bfloat16lLi256ELb1EvE4sortIPKS5_PS5_PKlPlEEvT_T0_T1_T2_jjjjRNS6_12storage_typeE.num_named_barrier)
	.set _ZN7rocprim17ROCPRIM_400000_NS6detail17trampoline_kernelINS0_14default_configENS1_36segmented_radix_sort_config_selectorI12hip_bfloat16lEEZNS1_25segmented_radix_sort_implIS3_Lb1EPKS5_PS5_PKlPlN2at6native12_GLOBAL__N_18offset_tEEE10hipError_tPvRmT1_PNSt15iterator_traitsISL_E10value_typeET2_T3_PNSM_ISR_E10value_typeET4_jRbjT5_SX_jjP12ihipStream_tbEUlT_E0_NS1_11comp_targetILNS1_3genE8ELNS1_11target_archE1030ELNS1_3gpuE2ELNS1_3repE0EEENS1_60segmented_radix_sort_warp_sort_medium_config_static_selectorELNS0_4arch9wavefront6targetE0EEEvSL_.private_seg_size, 0+max(.L_ZN7rocprim17ROCPRIM_400000_NS6detail26segmented_warp_sort_helperINS1_20WarpSortHelperConfigILj16ELj8ELj256EEE12hip_bfloat16lLi256ELb1EvE4sortIPKS5_PS5_PKlPlEEvT_T0_T1_T2_jjjjRNS6_12storage_typeE.private_seg_size)
	.set _ZN7rocprim17ROCPRIM_400000_NS6detail17trampoline_kernelINS0_14default_configENS1_36segmented_radix_sort_config_selectorI12hip_bfloat16lEEZNS1_25segmented_radix_sort_implIS3_Lb1EPKS5_PS5_PKlPlN2at6native12_GLOBAL__N_18offset_tEEE10hipError_tPvRmT1_PNSt15iterator_traitsISL_E10value_typeET2_T3_PNSM_ISR_E10value_typeET4_jRbjT5_SX_jjP12ihipStream_tbEUlT_E0_NS1_11comp_targetILNS1_3genE8ELNS1_11target_archE1030ELNS1_3gpuE2ELNS1_3repE0EEENS1_60segmented_radix_sort_warp_sort_medium_config_static_selectorELNS0_4arch9wavefront6targetE0EEEvSL_.uses_vcc, or(1, .L_ZN7rocprim17ROCPRIM_400000_NS6detail26segmented_warp_sort_helperINS1_20WarpSortHelperConfigILj16ELj8ELj256EEE12hip_bfloat16lLi256ELb1EvE4sortIPKS5_PS5_PKlPlEEvT_T0_T1_T2_jjjjRNS6_12storage_typeE.uses_vcc)
	.set _ZN7rocprim17ROCPRIM_400000_NS6detail17trampoline_kernelINS0_14default_configENS1_36segmented_radix_sort_config_selectorI12hip_bfloat16lEEZNS1_25segmented_radix_sort_implIS3_Lb1EPKS5_PS5_PKlPlN2at6native12_GLOBAL__N_18offset_tEEE10hipError_tPvRmT1_PNSt15iterator_traitsISL_E10value_typeET2_T3_PNSM_ISR_E10value_typeET4_jRbjT5_SX_jjP12ihipStream_tbEUlT_E0_NS1_11comp_targetILNS1_3genE8ELNS1_11target_archE1030ELNS1_3gpuE2ELNS1_3repE0EEENS1_60segmented_radix_sort_warp_sort_medium_config_static_selectorELNS0_4arch9wavefront6targetE0EEEvSL_.uses_flat_scratch, or(0, .L_ZN7rocprim17ROCPRIM_400000_NS6detail26segmented_warp_sort_helperINS1_20WarpSortHelperConfigILj16ELj8ELj256EEE12hip_bfloat16lLi256ELb1EvE4sortIPKS5_PS5_PKlPlEEvT_T0_T1_T2_jjjjRNS6_12storage_typeE.uses_flat_scratch)
	.set _ZN7rocprim17ROCPRIM_400000_NS6detail17trampoline_kernelINS0_14default_configENS1_36segmented_radix_sort_config_selectorI12hip_bfloat16lEEZNS1_25segmented_radix_sort_implIS3_Lb1EPKS5_PS5_PKlPlN2at6native12_GLOBAL__N_18offset_tEEE10hipError_tPvRmT1_PNSt15iterator_traitsISL_E10value_typeET2_T3_PNSM_ISR_E10value_typeET4_jRbjT5_SX_jjP12ihipStream_tbEUlT_E0_NS1_11comp_targetILNS1_3genE8ELNS1_11target_archE1030ELNS1_3gpuE2ELNS1_3repE0EEENS1_60segmented_radix_sort_warp_sort_medium_config_static_selectorELNS0_4arch9wavefront6targetE0EEEvSL_.has_dyn_sized_stack, or(0, .L_ZN7rocprim17ROCPRIM_400000_NS6detail26segmented_warp_sort_helperINS1_20WarpSortHelperConfigILj16ELj8ELj256EEE12hip_bfloat16lLi256ELb1EvE4sortIPKS5_PS5_PKlPlEEvT_T0_T1_T2_jjjjRNS6_12storage_typeE.has_dyn_sized_stack)
	.set _ZN7rocprim17ROCPRIM_400000_NS6detail17trampoline_kernelINS0_14default_configENS1_36segmented_radix_sort_config_selectorI12hip_bfloat16lEEZNS1_25segmented_radix_sort_implIS3_Lb1EPKS5_PS5_PKlPlN2at6native12_GLOBAL__N_18offset_tEEE10hipError_tPvRmT1_PNSt15iterator_traitsISL_E10value_typeET2_T3_PNSM_ISR_E10value_typeET4_jRbjT5_SX_jjP12ihipStream_tbEUlT_E0_NS1_11comp_targetILNS1_3genE8ELNS1_11target_archE1030ELNS1_3gpuE2ELNS1_3repE0EEENS1_60segmented_radix_sort_warp_sort_medium_config_static_selectorELNS0_4arch9wavefront6targetE0EEEvSL_.has_recursion, or(0, .L_ZN7rocprim17ROCPRIM_400000_NS6detail26segmented_warp_sort_helperINS1_20WarpSortHelperConfigILj16ELj8ELj256EEE12hip_bfloat16lLi256ELb1EvE4sortIPKS5_PS5_PKlPlEEvT_T0_T1_T2_jjjjRNS6_12storage_typeE.has_recursion)
	.set _ZN7rocprim17ROCPRIM_400000_NS6detail17trampoline_kernelINS0_14default_configENS1_36segmented_radix_sort_config_selectorI12hip_bfloat16lEEZNS1_25segmented_radix_sort_implIS3_Lb1EPKS5_PS5_PKlPlN2at6native12_GLOBAL__N_18offset_tEEE10hipError_tPvRmT1_PNSt15iterator_traitsISL_E10value_typeET2_T3_PNSM_ISR_E10value_typeET4_jRbjT5_SX_jjP12ihipStream_tbEUlT_E0_NS1_11comp_targetILNS1_3genE8ELNS1_11target_archE1030ELNS1_3gpuE2ELNS1_3repE0EEENS1_60segmented_radix_sort_warp_sort_medium_config_static_selectorELNS0_4arch9wavefront6targetE0EEEvSL_.has_indirect_call, or(0, .L_ZN7rocprim17ROCPRIM_400000_NS6detail26segmented_warp_sort_helperINS1_20WarpSortHelperConfigILj16ELj8ELj256EEE12hip_bfloat16lLi256ELb1EvE4sortIPKS5_PS5_PKlPlEEvT_T0_T1_T2_jjjjRNS6_12storage_typeE.has_indirect_call)
	.section	.AMDGPU.csdata,"",@progbits
; Kernel info:
; codeLenInByte = 476
; TotalNumSgprs: 46
; NumVgprs: 82
; ScratchSize: 0
; MemoryBound: 0
; FloatMode: 240
; IeeeMode: 1
; LDSByteSize: 20480 bytes/workgroup (compile time only)
; SGPRBlocks: 0
; VGPRBlocks: 10
; NumSGPRsForWavesPerEU: 46
; NumVGPRsForWavesPerEU: 82
; Occupancy: 10
; WaveLimiterHint : 0
; COMPUTE_PGM_RSRC2:SCRATCH_EN: 0
; COMPUTE_PGM_RSRC2:USER_SGPR: 6
; COMPUTE_PGM_RSRC2:TRAP_HANDLER: 0
; COMPUTE_PGM_RSRC2:TGID_X_EN: 1
; COMPUTE_PGM_RSRC2:TGID_Y_EN: 1
; COMPUTE_PGM_RSRC2:TGID_Z_EN: 0
; COMPUTE_PGM_RSRC2:TIDIG_COMP_CNT: 2
	.section	.text._ZN7rocprim17ROCPRIM_400000_NS6detail17trampoline_kernelINS0_14default_configENS1_36segmented_radix_sort_config_selectorI12hip_bfloat16lEEZNS1_25segmented_radix_sort_implIS3_Lb1EPKS5_PS5_PKlPlN2at6native12_GLOBAL__N_18offset_tEEE10hipError_tPvRmT1_PNSt15iterator_traitsISL_E10value_typeET2_T3_PNSM_ISR_E10value_typeET4_jRbjT5_SX_jjP12ihipStream_tbEUlT_E1_NS1_11comp_targetILNS1_3genE0ELNS1_11target_archE4294967295ELNS1_3gpuE0ELNS1_3repE0EEENS1_59segmented_radix_sort_warp_sort_small_config_static_selectorELNS0_4arch9wavefront6targetE0EEEvSL_,"axG",@progbits,_ZN7rocprim17ROCPRIM_400000_NS6detail17trampoline_kernelINS0_14default_configENS1_36segmented_radix_sort_config_selectorI12hip_bfloat16lEEZNS1_25segmented_radix_sort_implIS3_Lb1EPKS5_PS5_PKlPlN2at6native12_GLOBAL__N_18offset_tEEE10hipError_tPvRmT1_PNSt15iterator_traitsISL_E10value_typeET2_T3_PNSM_ISR_E10value_typeET4_jRbjT5_SX_jjP12ihipStream_tbEUlT_E1_NS1_11comp_targetILNS1_3genE0ELNS1_11target_archE4294967295ELNS1_3gpuE0ELNS1_3repE0EEENS1_59segmented_radix_sort_warp_sort_small_config_static_selectorELNS0_4arch9wavefront6targetE0EEEvSL_,comdat
	.globl	_ZN7rocprim17ROCPRIM_400000_NS6detail17trampoline_kernelINS0_14default_configENS1_36segmented_radix_sort_config_selectorI12hip_bfloat16lEEZNS1_25segmented_radix_sort_implIS3_Lb1EPKS5_PS5_PKlPlN2at6native12_GLOBAL__N_18offset_tEEE10hipError_tPvRmT1_PNSt15iterator_traitsISL_E10value_typeET2_T3_PNSM_ISR_E10value_typeET4_jRbjT5_SX_jjP12ihipStream_tbEUlT_E1_NS1_11comp_targetILNS1_3genE0ELNS1_11target_archE4294967295ELNS1_3gpuE0ELNS1_3repE0EEENS1_59segmented_radix_sort_warp_sort_small_config_static_selectorELNS0_4arch9wavefront6targetE0EEEvSL_ ; -- Begin function _ZN7rocprim17ROCPRIM_400000_NS6detail17trampoline_kernelINS0_14default_configENS1_36segmented_radix_sort_config_selectorI12hip_bfloat16lEEZNS1_25segmented_radix_sort_implIS3_Lb1EPKS5_PS5_PKlPlN2at6native12_GLOBAL__N_18offset_tEEE10hipError_tPvRmT1_PNSt15iterator_traitsISL_E10value_typeET2_T3_PNSM_ISR_E10value_typeET4_jRbjT5_SX_jjP12ihipStream_tbEUlT_E1_NS1_11comp_targetILNS1_3genE0ELNS1_11target_archE4294967295ELNS1_3gpuE0ELNS1_3repE0EEENS1_59segmented_radix_sort_warp_sort_small_config_static_selectorELNS0_4arch9wavefront6targetE0EEEvSL_
	.p2align	8
	.type	_ZN7rocprim17ROCPRIM_400000_NS6detail17trampoline_kernelINS0_14default_configENS1_36segmented_radix_sort_config_selectorI12hip_bfloat16lEEZNS1_25segmented_radix_sort_implIS3_Lb1EPKS5_PS5_PKlPlN2at6native12_GLOBAL__N_18offset_tEEE10hipError_tPvRmT1_PNSt15iterator_traitsISL_E10value_typeET2_T3_PNSM_ISR_E10value_typeET4_jRbjT5_SX_jjP12ihipStream_tbEUlT_E1_NS1_11comp_targetILNS1_3genE0ELNS1_11target_archE4294967295ELNS1_3gpuE0ELNS1_3repE0EEENS1_59segmented_radix_sort_warp_sort_small_config_static_selectorELNS0_4arch9wavefront6targetE0EEEvSL_,@function
_ZN7rocprim17ROCPRIM_400000_NS6detail17trampoline_kernelINS0_14default_configENS1_36segmented_radix_sort_config_selectorI12hip_bfloat16lEEZNS1_25segmented_radix_sort_implIS3_Lb1EPKS5_PS5_PKlPlN2at6native12_GLOBAL__N_18offset_tEEE10hipError_tPvRmT1_PNSt15iterator_traitsISL_E10value_typeET2_T3_PNSM_ISR_E10value_typeET4_jRbjT5_SX_jjP12ihipStream_tbEUlT_E1_NS1_11comp_targetILNS1_3genE0ELNS1_11target_archE4294967295ELNS1_3gpuE0ELNS1_3repE0EEENS1_59segmented_radix_sort_warp_sort_small_config_static_selectorELNS0_4arch9wavefront6targetE0EEEvSL_: ; @_ZN7rocprim17ROCPRIM_400000_NS6detail17trampoline_kernelINS0_14default_configENS1_36segmented_radix_sort_config_selectorI12hip_bfloat16lEEZNS1_25segmented_radix_sort_implIS3_Lb1EPKS5_PS5_PKlPlN2at6native12_GLOBAL__N_18offset_tEEE10hipError_tPvRmT1_PNSt15iterator_traitsISL_E10value_typeET2_T3_PNSM_ISR_E10value_typeET4_jRbjT5_SX_jjP12ihipStream_tbEUlT_E1_NS1_11comp_targetILNS1_3genE0ELNS1_11target_archE4294967295ELNS1_3gpuE0ELNS1_3repE0EEENS1_59segmented_radix_sort_warp_sort_small_config_static_selectorELNS0_4arch9wavefront6targetE0EEEvSL_
; %bb.0:
	.section	.rodata,"a",@progbits
	.p2align	6, 0x0
	.amdhsa_kernel _ZN7rocprim17ROCPRIM_400000_NS6detail17trampoline_kernelINS0_14default_configENS1_36segmented_radix_sort_config_selectorI12hip_bfloat16lEEZNS1_25segmented_radix_sort_implIS3_Lb1EPKS5_PS5_PKlPlN2at6native12_GLOBAL__N_18offset_tEEE10hipError_tPvRmT1_PNSt15iterator_traitsISL_E10value_typeET2_T3_PNSM_ISR_E10value_typeET4_jRbjT5_SX_jjP12ihipStream_tbEUlT_E1_NS1_11comp_targetILNS1_3genE0ELNS1_11target_archE4294967295ELNS1_3gpuE0ELNS1_3repE0EEENS1_59segmented_radix_sort_warp_sort_small_config_static_selectorELNS0_4arch9wavefront6targetE0EEEvSL_
		.amdhsa_group_segment_fixed_size 0
		.amdhsa_private_segment_fixed_size 0
		.amdhsa_kernarg_size 88
		.amdhsa_user_sgpr_count 6
		.amdhsa_user_sgpr_private_segment_buffer 1
		.amdhsa_user_sgpr_dispatch_ptr 0
		.amdhsa_user_sgpr_queue_ptr 0
		.amdhsa_user_sgpr_kernarg_segment_ptr 1
		.amdhsa_user_sgpr_dispatch_id 0
		.amdhsa_user_sgpr_flat_scratch_init 0
		.amdhsa_user_sgpr_private_segment_size 0
		.amdhsa_wavefront_size32 1
		.amdhsa_uses_dynamic_stack 0
		.amdhsa_system_sgpr_private_segment_wavefront_offset 0
		.amdhsa_system_sgpr_workgroup_id_x 1
		.amdhsa_system_sgpr_workgroup_id_y 0
		.amdhsa_system_sgpr_workgroup_id_z 0
		.amdhsa_system_sgpr_workgroup_info 0
		.amdhsa_system_vgpr_workitem_id 0
		.amdhsa_next_free_vgpr 1
		.amdhsa_next_free_sgpr 1
		.amdhsa_reserve_vcc 0
		.amdhsa_reserve_flat_scratch 0
		.amdhsa_float_round_mode_32 0
		.amdhsa_float_round_mode_16_64 0
		.amdhsa_float_denorm_mode_32 3
		.amdhsa_float_denorm_mode_16_64 3
		.amdhsa_dx10_clamp 1
		.amdhsa_ieee_mode 1
		.amdhsa_fp16_overflow 0
		.amdhsa_workgroup_processor_mode 1
		.amdhsa_memory_ordered 1
		.amdhsa_forward_progress 1
		.amdhsa_shared_vgpr_count 0
		.amdhsa_exception_fp_ieee_invalid_op 0
		.amdhsa_exception_fp_denorm_src 0
		.amdhsa_exception_fp_ieee_div_zero 0
		.amdhsa_exception_fp_ieee_overflow 0
		.amdhsa_exception_fp_ieee_underflow 0
		.amdhsa_exception_fp_ieee_inexact 0
		.amdhsa_exception_int_div_zero 0
	.end_amdhsa_kernel
	.section	.text._ZN7rocprim17ROCPRIM_400000_NS6detail17trampoline_kernelINS0_14default_configENS1_36segmented_radix_sort_config_selectorI12hip_bfloat16lEEZNS1_25segmented_radix_sort_implIS3_Lb1EPKS5_PS5_PKlPlN2at6native12_GLOBAL__N_18offset_tEEE10hipError_tPvRmT1_PNSt15iterator_traitsISL_E10value_typeET2_T3_PNSM_ISR_E10value_typeET4_jRbjT5_SX_jjP12ihipStream_tbEUlT_E1_NS1_11comp_targetILNS1_3genE0ELNS1_11target_archE4294967295ELNS1_3gpuE0ELNS1_3repE0EEENS1_59segmented_radix_sort_warp_sort_small_config_static_selectorELNS0_4arch9wavefront6targetE0EEEvSL_,"axG",@progbits,_ZN7rocprim17ROCPRIM_400000_NS6detail17trampoline_kernelINS0_14default_configENS1_36segmented_radix_sort_config_selectorI12hip_bfloat16lEEZNS1_25segmented_radix_sort_implIS3_Lb1EPKS5_PS5_PKlPlN2at6native12_GLOBAL__N_18offset_tEEE10hipError_tPvRmT1_PNSt15iterator_traitsISL_E10value_typeET2_T3_PNSM_ISR_E10value_typeET4_jRbjT5_SX_jjP12ihipStream_tbEUlT_E1_NS1_11comp_targetILNS1_3genE0ELNS1_11target_archE4294967295ELNS1_3gpuE0ELNS1_3repE0EEENS1_59segmented_radix_sort_warp_sort_small_config_static_selectorELNS0_4arch9wavefront6targetE0EEEvSL_,comdat
.Lfunc_end1956:
	.size	_ZN7rocprim17ROCPRIM_400000_NS6detail17trampoline_kernelINS0_14default_configENS1_36segmented_radix_sort_config_selectorI12hip_bfloat16lEEZNS1_25segmented_radix_sort_implIS3_Lb1EPKS5_PS5_PKlPlN2at6native12_GLOBAL__N_18offset_tEEE10hipError_tPvRmT1_PNSt15iterator_traitsISL_E10value_typeET2_T3_PNSM_ISR_E10value_typeET4_jRbjT5_SX_jjP12ihipStream_tbEUlT_E1_NS1_11comp_targetILNS1_3genE0ELNS1_11target_archE4294967295ELNS1_3gpuE0ELNS1_3repE0EEENS1_59segmented_radix_sort_warp_sort_small_config_static_selectorELNS0_4arch9wavefront6targetE0EEEvSL_, .Lfunc_end1956-_ZN7rocprim17ROCPRIM_400000_NS6detail17trampoline_kernelINS0_14default_configENS1_36segmented_radix_sort_config_selectorI12hip_bfloat16lEEZNS1_25segmented_radix_sort_implIS3_Lb1EPKS5_PS5_PKlPlN2at6native12_GLOBAL__N_18offset_tEEE10hipError_tPvRmT1_PNSt15iterator_traitsISL_E10value_typeET2_T3_PNSM_ISR_E10value_typeET4_jRbjT5_SX_jjP12ihipStream_tbEUlT_E1_NS1_11comp_targetILNS1_3genE0ELNS1_11target_archE4294967295ELNS1_3gpuE0ELNS1_3repE0EEENS1_59segmented_radix_sort_warp_sort_small_config_static_selectorELNS0_4arch9wavefront6targetE0EEEvSL_
                                        ; -- End function
	.set _ZN7rocprim17ROCPRIM_400000_NS6detail17trampoline_kernelINS0_14default_configENS1_36segmented_radix_sort_config_selectorI12hip_bfloat16lEEZNS1_25segmented_radix_sort_implIS3_Lb1EPKS5_PS5_PKlPlN2at6native12_GLOBAL__N_18offset_tEEE10hipError_tPvRmT1_PNSt15iterator_traitsISL_E10value_typeET2_T3_PNSM_ISR_E10value_typeET4_jRbjT5_SX_jjP12ihipStream_tbEUlT_E1_NS1_11comp_targetILNS1_3genE0ELNS1_11target_archE4294967295ELNS1_3gpuE0ELNS1_3repE0EEENS1_59segmented_radix_sort_warp_sort_small_config_static_selectorELNS0_4arch9wavefront6targetE0EEEvSL_.num_vgpr, 0
	.set _ZN7rocprim17ROCPRIM_400000_NS6detail17trampoline_kernelINS0_14default_configENS1_36segmented_radix_sort_config_selectorI12hip_bfloat16lEEZNS1_25segmented_radix_sort_implIS3_Lb1EPKS5_PS5_PKlPlN2at6native12_GLOBAL__N_18offset_tEEE10hipError_tPvRmT1_PNSt15iterator_traitsISL_E10value_typeET2_T3_PNSM_ISR_E10value_typeET4_jRbjT5_SX_jjP12ihipStream_tbEUlT_E1_NS1_11comp_targetILNS1_3genE0ELNS1_11target_archE4294967295ELNS1_3gpuE0ELNS1_3repE0EEENS1_59segmented_radix_sort_warp_sort_small_config_static_selectorELNS0_4arch9wavefront6targetE0EEEvSL_.num_agpr, 0
	.set _ZN7rocprim17ROCPRIM_400000_NS6detail17trampoline_kernelINS0_14default_configENS1_36segmented_radix_sort_config_selectorI12hip_bfloat16lEEZNS1_25segmented_radix_sort_implIS3_Lb1EPKS5_PS5_PKlPlN2at6native12_GLOBAL__N_18offset_tEEE10hipError_tPvRmT1_PNSt15iterator_traitsISL_E10value_typeET2_T3_PNSM_ISR_E10value_typeET4_jRbjT5_SX_jjP12ihipStream_tbEUlT_E1_NS1_11comp_targetILNS1_3genE0ELNS1_11target_archE4294967295ELNS1_3gpuE0ELNS1_3repE0EEENS1_59segmented_radix_sort_warp_sort_small_config_static_selectorELNS0_4arch9wavefront6targetE0EEEvSL_.numbered_sgpr, 0
	.set _ZN7rocprim17ROCPRIM_400000_NS6detail17trampoline_kernelINS0_14default_configENS1_36segmented_radix_sort_config_selectorI12hip_bfloat16lEEZNS1_25segmented_radix_sort_implIS3_Lb1EPKS5_PS5_PKlPlN2at6native12_GLOBAL__N_18offset_tEEE10hipError_tPvRmT1_PNSt15iterator_traitsISL_E10value_typeET2_T3_PNSM_ISR_E10value_typeET4_jRbjT5_SX_jjP12ihipStream_tbEUlT_E1_NS1_11comp_targetILNS1_3genE0ELNS1_11target_archE4294967295ELNS1_3gpuE0ELNS1_3repE0EEENS1_59segmented_radix_sort_warp_sort_small_config_static_selectorELNS0_4arch9wavefront6targetE0EEEvSL_.num_named_barrier, 0
	.set _ZN7rocprim17ROCPRIM_400000_NS6detail17trampoline_kernelINS0_14default_configENS1_36segmented_radix_sort_config_selectorI12hip_bfloat16lEEZNS1_25segmented_radix_sort_implIS3_Lb1EPKS5_PS5_PKlPlN2at6native12_GLOBAL__N_18offset_tEEE10hipError_tPvRmT1_PNSt15iterator_traitsISL_E10value_typeET2_T3_PNSM_ISR_E10value_typeET4_jRbjT5_SX_jjP12ihipStream_tbEUlT_E1_NS1_11comp_targetILNS1_3genE0ELNS1_11target_archE4294967295ELNS1_3gpuE0ELNS1_3repE0EEENS1_59segmented_radix_sort_warp_sort_small_config_static_selectorELNS0_4arch9wavefront6targetE0EEEvSL_.private_seg_size, 0
	.set _ZN7rocprim17ROCPRIM_400000_NS6detail17trampoline_kernelINS0_14default_configENS1_36segmented_radix_sort_config_selectorI12hip_bfloat16lEEZNS1_25segmented_radix_sort_implIS3_Lb1EPKS5_PS5_PKlPlN2at6native12_GLOBAL__N_18offset_tEEE10hipError_tPvRmT1_PNSt15iterator_traitsISL_E10value_typeET2_T3_PNSM_ISR_E10value_typeET4_jRbjT5_SX_jjP12ihipStream_tbEUlT_E1_NS1_11comp_targetILNS1_3genE0ELNS1_11target_archE4294967295ELNS1_3gpuE0ELNS1_3repE0EEENS1_59segmented_radix_sort_warp_sort_small_config_static_selectorELNS0_4arch9wavefront6targetE0EEEvSL_.uses_vcc, 0
	.set _ZN7rocprim17ROCPRIM_400000_NS6detail17trampoline_kernelINS0_14default_configENS1_36segmented_radix_sort_config_selectorI12hip_bfloat16lEEZNS1_25segmented_radix_sort_implIS3_Lb1EPKS5_PS5_PKlPlN2at6native12_GLOBAL__N_18offset_tEEE10hipError_tPvRmT1_PNSt15iterator_traitsISL_E10value_typeET2_T3_PNSM_ISR_E10value_typeET4_jRbjT5_SX_jjP12ihipStream_tbEUlT_E1_NS1_11comp_targetILNS1_3genE0ELNS1_11target_archE4294967295ELNS1_3gpuE0ELNS1_3repE0EEENS1_59segmented_radix_sort_warp_sort_small_config_static_selectorELNS0_4arch9wavefront6targetE0EEEvSL_.uses_flat_scratch, 0
	.set _ZN7rocprim17ROCPRIM_400000_NS6detail17trampoline_kernelINS0_14default_configENS1_36segmented_radix_sort_config_selectorI12hip_bfloat16lEEZNS1_25segmented_radix_sort_implIS3_Lb1EPKS5_PS5_PKlPlN2at6native12_GLOBAL__N_18offset_tEEE10hipError_tPvRmT1_PNSt15iterator_traitsISL_E10value_typeET2_T3_PNSM_ISR_E10value_typeET4_jRbjT5_SX_jjP12ihipStream_tbEUlT_E1_NS1_11comp_targetILNS1_3genE0ELNS1_11target_archE4294967295ELNS1_3gpuE0ELNS1_3repE0EEENS1_59segmented_radix_sort_warp_sort_small_config_static_selectorELNS0_4arch9wavefront6targetE0EEEvSL_.has_dyn_sized_stack, 0
	.set _ZN7rocprim17ROCPRIM_400000_NS6detail17trampoline_kernelINS0_14default_configENS1_36segmented_radix_sort_config_selectorI12hip_bfloat16lEEZNS1_25segmented_radix_sort_implIS3_Lb1EPKS5_PS5_PKlPlN2at6native12_GLOBAL__N_18offset_tEEE10hipError_tPvRmT1_PNSt15iterator_traitsISL_E10value_typeET2_T3_PNSM_ISR_E10value_typeET4_jRbjT5_SX_jjP12ihipStream_tbEUlT_E1_NS1_11comp_targetILNS1_3genE0ELNS1_11target_archE4294967295ELNS1_3gpuE0ELNS1_3repE0EEENS1_59segmented_radix_sort_warp_sort_small_config_static_selectorELNS0_4arch9wavefront6targetE0EEEvSL_.has_recursion, 0
	.set _ZN7rocprim17ROCPRIM_400000_NS6detail17trampoline_kernelINS0_14default_configENS1_36segmented_radix_sort_config_selectorI12hip_bfloat16lEEZNS1_25segmented_radix_sort_implIS3_Lb1EPKS5_PS5_PKlPlN2at6native12_GLOBAL__N_18offset_tEEE10hipError_tPvRmT1_PNSt15iterator_traitsISL_E10value_typeET2_T3_PNSM_ISR_E10value_typeET4_jRbjT5_SX_jjP12ihipStream_tbEUlT_E1_NS1_11comp_targetILNS1_3genE0ELNS1_11target_archE4294967295ELNS1_3gpuE0ELNS1_3repE0EEENS1_59segmented_radix_sort_warp_sort_small_config_static_selectorELNS0_4arch9wavefront6targetE0EEEvSL_.has_indirect_call, 0
	.section	.AMDGPU.csdata,"",@progbits
; Kernel info:
; codeLenInByte = 0
; TotalNumSgprs: 0
; NumVgprs: 0
; ScratchSize: 0
; MemoryBound: 0
; FloatMode: 240
; IeeeMode: 1
; LDSByteSize: 0 bytes/workgroup (compile time only)
; SGPRBlocks: 0
; VGPRBlocks: 0
; NumSGPRsForWavesPerEU: 1
; NumVGPRsForWavesPerEU: 1
; Occupancy: 16
; WaveLimiterHint : 0
; COMPUTE_PGM_RSRC2:SCRATCH_EN: 0
; COMPUTE_PGM_RSRC2:USER_SGPR: 6
; COMPUTE_PGM_RSRC2:TRAP_HANDLER: 0
; COMPUTE_PGM_RSRC2:TGID_X_EN: 1
; COMPUTE_PGM_RSRC2:TGID_Y_EN: 0
; COMPUTE_PGM_RSRC2:TGID_Z_EN: 0
; COMPUTE_PGM_RSRC2:TIDIG_COMP_CNT: 0
	.section	.text._ZN7rocprim17ROCPRIM_400000_NS6detail17trampoline_kernelINS0_14default_configENS1_36segmented_radix_sort_config_selectorI12hip_bfloat16lEEZNS1_25segmented_radix_sort_implIS3_Lb1EPKS5_PS5_PKlPlN2at6native12_GLOBAL__N_18offset_tEEE10hipError_tPvRmT1_PNSt15iterator_traitsISL_E10value_typeET2_T3_PNSM_ISR_E10value_typeET4_jRbjT5_SX_jjP12ihipStream_tbEUlT_E1_NS1_11comp_targetILNS1_3genE5ELNS1_11target_archE942ELNS1_3gpuE9ELNS1_3repE0EEENS1_59segmented_radix_sort_warp_sort_small_config_static_selectorELNS0_4arch9wavefront6targetE0EEEvSL_,"axG",@progbits,_ZN7rocprim17ROCPRIM_400000_NS6detail17trampoline_kernelINS0_14default_configENS1_36segmented_radix_sort_config_selectorI12hip_bfloat16lEEZNS1_25segmented_radix_sort_implIS3_Lb1EPKS5_PS5_PKlPlN2at6native12_GLOBAL__N_18offset_tEEE10hipError_tPvRmT1_PNSt15iterator_traitsISL_E10value_typeET2_T3_PNSM_ISR_E10value_typeET4_jRbjT5_SX_jjP12ihipStream_tbEUlT_E1_NS1_11comp_targetILNS1_3genE5ELNS1_11target_archE942ELNS1_3gpuE9ELNS1_3repE0EEENS1_59segmented_radix_sort_warp_sort_small_config_static_selectorELNS0_4arch9wavefront6targetE0EEEvSL_,comdat
	.globl	_ZN7rocprim17ROCPRIM_400000_NS6detail17trampoline_kernelINS0_14default_configENS1_36segmented_radix_sort_config_selectorI12hip_bfloat16lEEZNS1_25segmented_radix_sort_implIS3_Lb1EPKS5_PS5_PKlPlN2at6native12_GLOBAL__N_18offset_tEEE10hipError_tPvRmT1_PNSt15iterator_traitsISL_E10value_typeET2_T3_PNSM_ISR_E10value_typeET4_jRbjT5_SX_jjP12ihipStream_tbEUlT_E1_NS1_11comp_targetILNS1_3genE5ELNS1_11target_archE942ELNS1_3gpuE9ELNS1_3repE0EEENS1_59segmented_radix_sort_warp_sort_small_config_static_selectorELNS0_4arch9wavefront6targetE0EEEvSL_ ; -- Begin function _ZN7rocprim17ROCPRIM_400000_NS6detail17trampoline_kernelINS0_14default_configENS1_36segmented_radix_sort_config_selectorI12hip_bfloat16lEEZNS1_25segmented_radix_sort_implIS3_Lb1EPKS5_PS5_PKlPlN2at6native12_GLOBAL__N_18offset_tEEE10hipError_tPvRmT1_PNSt15iterator_traitsISL_E10value_typeET2_T3_PNSM_ISR_E10value_typeET4_jRbjT5_SX_jjP12ihipStream_tbEUlT_E1_NS1_11comp_targetILNS1_3genE5ELNS1_11target_archE942ELNS1_3gpuE9ELNS1_3repE0EEENS1_59segmented_radix_sort_warp_sort_small_config_static_selectorELNS0_4arch9wavefront6targetE0EEEvSL_
	.p2align	8
	.type	_ZN7rocprim17ROCPRIM_400000_NS6detail17trampoline_kernelINS0_14default_configENS1_36segmented_radix_sort_config_selectorI12hip_bfloat16lEEZNS1_25segmented_radix_sort_implIS3_Lb1EPKS5_PS5_PKlPlN2at6native12_GLOBAL__N_18offset_tEEE10hipError_tPvRmT1_PNSt15iterator_traitsISL_E10value_typeET2_T3_PNSM_ISR_E10value_typeET4_jRbjT5_SX_jjP12ihipStream_tbEUlT_E1_NS1_11comp_targetILNS1_3genE5ELNS1_11target_archE942ELNS1_3gpuE9ELNS1_3repE0EEENS1_59segmented_radix_sort_warp_sort_small_config_static_selectorELNS0_4arch9wavefront6targetE0EEEvSL_,@function
_ZN7rocprim17ROCPRIM_400000_NS6detail17trampoline_kernelINS0_14default_configENS1_36segmented_radix_sort_config_selectorI12hip_bfloat16lEEZNS1_25segmented_radix_sort_implIS3_Lb1EPKS5_PS5_PKlPlN2at6native12_GLOBAL__N_18offset_tEEE10hipError_tPvRmT1_PNSt15iterator_traitsISL_E10value_typeET2_T3_PNSM_ISR_E10value_typeET4_jRbjT5_SX_jjP12ihipStream_tbEUlT_E1_NS1_11comp_targetILNS1_3genE5ELNS1_11target_archE942ELNS1_3gpuE9ELNS1_3repE0EEENS1_59segmented_radix_sort_warp_sort_small_config_static_selectorELNS0_4arch9wavefront6targetE0EEEvSL_: ; @_ZN7rocprim17ROCPRIM_400000_NS6detail17trampoline_kernelINS0_14default_configENS1_36segmented_radix_sort_config_selectorI12hip_bfloat16lEEZNS1_25segmented_radix_sort_implIS3_Lb1EPKS5_PS5_PKlPlN2at6native12_GLOBAL__N_18offset_tEEE10hipError_tPvRmT1_PNSt15iterator_traitsISL_E10value_typeET2_T3_PNSM_ISR_E10value_typeET4_jRbjT5_SX_jjP12ihipStream_tbEUlT_E1_NS1_11comp_targetILNS1_3genE5ELNS1_11target_archE942ELNS1_3gpuE9ELNS1_3repE0EEENS1_59segmented_radix_sort_warp_sort_small_config_static_selectorELNS0_4arch9wavefront6targetE0EEEvSL_
; %bb.0:
	.section	.rodata,"a",@progbits
	.p2align	6, 0x0
	.amdhsa_kernel _ZN7rocprim17ROCPRIM_400000_NS6detail17trampoline_kernelINS0_14default_configENS1_36segmented_radix_sort_config_selectorI12hip_bfloat16lEEZNS1_25segmented_radix_sort_implIS3_Lb1EPKS5_PS5_PKlPlN2at6native12_GLOBAL__N_18offset_tEEE10hipError_tPvRmT1_PNSt15iterator_traitsISL_E10value_typeET2_T3_PNSM_ISR_E10value_typeET4_jRbjT5_SX_jjP12ihipStream_tbEUlT_E1_NS1_11comp_targetILNS1_3genE5ELNS1_11target_archE942ELNS1_3gpuE9ELNS1_3repE0EEENS1_59segmented_radix_sort_warp_sort_small_config_static_selectorELNS0_4arch9wavefront6targetE0EEEvSL_
		.amdhsa_group_segment_fixed_size 0
		.amdhsa_private_segment_fixed_size 0
		.amdhsa_kernarg_size 88
		.amdhsa_user_sgpr_count 6
		.amdhsa_user_sgpr_private_segment_buffer 1
		.amdhsa_user_sgpr_dispatch_ptr 0
		.amdhsa_user_sgpr_queue_ptr 0
		.amdhsa_user_sgpr_kernarg_segment_ptr 1
		.amdhsa_user_sgpr_dispatch_id 0
		.amdhsa_user_sgpr_flat_scratch_init 0
		.amdhsa_user_sgpr_private_segment_size 0
		.amdhsa_wavefront_size32 1
		.amdhsa_uses_dynamic_stack 0
		.amdhsa_system_sgpr_private_segment_wavefront_offset 0
		.amdhsa_system_sgpr_workgroup_id_x 1
		.amdhsa_system_sgpr_workgroup_id_y 0
		.amdhsa_system_sgpr_workgroup_id_z 0
		.amdhsa_system_sgpr_workgroup_info 0
		.amdhsa_system_vgpr_workitem_id 0
		.amdhsa_next_free_vgpr 1
		.amdhsa_next_free_sgpr 1
		.amdhsa_reserve_vcc 0
		.amdhsa_reserve_flat_scratch 0
		.amdhsa_float_round_mode_32 0
		.amdhsa_float_round_mode_16_64 0
		.amdhsa_float_denorm_mode_32 3
		.amdhsa_float_denorm_mode_16_64 3
		.amdhsa_dx10_clamp 1
		.amdhsa_ieee_mode 1
		.amdhsa_fp16_overflow 0
		.amdhsa_workgroup_processor_mode 1
		.amdhsa_memory_ordered 1
		.amdhsa_forward_progress 1
		.amdhsa_shared_vgpr_count 0
		.amdhsa_exception_fp_ieee_invalid_op 0
		.amdhsa_exception_fp_denorm_src 0
		.amdhsa_exception_fp_ieee_div_zero 0
		.amdhsa_exception_fp_ieee_overflow 0
		.amdhsa_exception_fp_ieee_underflow 0
		.amdhsa_exception_fp_ieee_inexact 0
		.amdhsa_exception_int_div_zero 0
	.end_amdhsa_kernel
	.section	.text._ZN7rocprim17ROCPRIM_400000_NS6detail17trampoline_kernelINS0_14default_configENS1_36segmented_radix_sort_config_selectorI12hip_bfloat16lEEZNS1_25segmented_radix_sort_implIS3_Lb1EPKS5_PS5_PKlPlN2at6native12_GLOBAL__N_18offset_tEEE10hipError_tPvRmT1_PNSt15iterator_traitsISL_E10value_typeET2_T3_PNSM_ISR_E10value_typeET4_jRbjT5_SX_jjP12ihipStream_tbEUlT_E1_NS1_11comp_targetILNS1_3genE5ELNS1_11target_archE942ELNS1_3gpuE9ELNS1_3repE0EEENS1_59segmented_radix_sort_warp_sort_small_config_static_selectorELNS0_4arch9wavefront6targetE0EEEvSL_,"axG",@progbits,_ZN7rocprim17ROCPRIM_400000_NS6detail17trampoline_kernelINS0_14default_configENS1_36segmented_radix_sort_config_selectorI12hip_bfloat16lEEZNS1_25segmented_radix_sort_implIS3_Lb1EPKS5_PS5_PKlPlN2at6native12_GLOBAL__N_18offset_tEEE10hipError_tPvRmT1_PNSt15iterator_traitsISL_E10value_typeET2_T3_PNSM_ISR_E10value_typeET4_jRbjT5_SX_jjP12ihipStream_tbEUlT_E1_NS1_11comp_targetILNS1_3genE5ELNS1_11target_archE942ELNS1_3gpuE9ELNS1_3repE0EEENS1_59segmented_radix_sort_warp_sort_small_config_static_selectorELNS0_4arch9wavefront6targetE0EEEvSL_,comdat
.Lfunc_end1957:
	.size	_ZN7rocprim17ROCPRIM_400000_NS6detail17trampoline_kernelINS0_14default_configENS1_36segmented_radix_sort_config_selectorI12hip_bfloat16lEEZNS1_25segmented_radix_sort_implIS3_Lb1EPKS5_PS5_PKlPlN2at6native12_GLOBAL__N_18offset_tEEE10hipError_tPvRmT1_PNSt15iterator_traitsISL_E10value_typeET2_T3_PNSM_ISR_E10value_typeET4_jRbjT5_SX_jjP12ihipStream_tbEUlT_E1_NS1_11comp_targetILNS1_3genE5ELNS1_11target_archE942ELNS1_3gpuE9ELNS1_3repE0EEENS1_59segmented_radix_sort_warp_sort_small_config_static_selectorELNS0_4arch9wavefront6targetE0EEEvSL_, .Lfunc_end1957-_ZN7rocprim17ROCPRIM_400000_NS6detail17trampoline_kernelINS0_14default_configENS1_36segmented_radix_sort_config_selectorI12hip_bfloat16lEEZNS1_25segmented_radix_sort_implIS3_Lb1EPKS5_PS5_PKlPlN2at6native12_GLOBAL__N_18offset_tEEE10hipError_tPvRmT1_PNSt15iterator_traitsISL_E10value_typeET2_T3_PNSM_ISR_E10value_typeET4_jRbjT5_SX_jjP12ihipStream_tbEUlT_E1_NS1_11comp_targetILNS1_3genE5ELNS1_11target_archE942ELNS1_3gpuE9ELNS1_3repE0EEENS1_59segmented_radix_sort_warp_sort_small_config_static_selectorELNS0_4arch9wavefront6targetE0EEEvSL_
                                        ; -- End function
	.set _ZN7rocprim17ROCPRIM_400000_NS6detail17trampoline_kernelINS0_14default_configENS1_36segmented_radix_sort_config_selectorI12hip_bfloat16lEEZNS1_25segmented_radix_sort_implIS3_Lb1EPKS5_PS5_PKlPlN2at6native12_GLOBAL__N_18offset_tEEE10hipError_tPvRmT1_PNSt15iterator_traitsISL_E10value_typeET2_T3_PNSM_ISR_E10value_typeET4_jRbjT5_SX_jjP12ihipStream_tbEUlT_E1_NS1_11comp_targetILNS1_3genE5ELNS1_11target_archE942ELNS1_3gpuE9ELNS1_3repE0EEENS1_59segmented_radix_sort_warp_sort_small_config_static_selectorELNS0_4arch9wavefront6targetE0EEEvSL_.num_vgpr, 0
	.set _ZN7rocprim17ROCPRIM_400000_NS6detail17trampoline_kernelINS0_14default_configENS1_36segmented_radix_sort_config_selectorI12hip_bfloat16lEEZNS1_25segmented_radix_sort_implIS3_Lb1EPKS5_PS5_PKlPlN2at6native12_GLOBAL__N_18offset_tEEE10hipError_tPvRmT1_PNSt15iterator_traitsISL_E10value_typeET2_T3_PNSM_ISR_E10value_typeET4_jRbjT5_SX_jjP12ihipStream_tbEUlT_E1_NS1_11comp_targetILNS1_3genE5ELNS1_11target_archE942ELNS1_3gpuE9ELNS1_3repE0EEENS1_59segmented_radix_sort_warp_sort_small_config_static_selectorELNS0_4arch9wavefront6targetE0EEEvSL_.num_agpr, 0
	.set _ZN7rocprim17ROCPRIM_400000_NS6detail17trampoline_kernelINS0_14default_configENS1_36segmented_radix_sort_config_selectorI12hip_bfloat16lEEZNS1_25segmented_radix_sort_implIS3_Lb1EPKS5_PS5_PKlPlN2at6native12_GLOBAL__N_18offset_tEEE10hipError_tPvRmT1_PNSt15iterator_traitsISL_E10value_typeET2_T3_PNSM_ISR_E10value_typeET4_jRbjT5_SX_jjP12ihipStream_tbEUlT_E1_NS1_11comp_targetILNS1_3genE5ELNS1_11target_archE942ELNS1_3gpuE9ELNS1_3repE0EEENS1_59segmented_radix_sort_warp_sort_small_config_static_selectorELNS0_4arch9wavefront6targetE0EEEvSL_.numbered_sgpr, 0
	.set _ZN7rocprim17ROCPRIM_400000_NS6detail17trampoline_kernelINS0_14default_configENS1_36segmented_radix_sort_config_selectorI12hip_bfloat16lEEZNS1_25segmented_radix_sort_implIS3_Lb1EPKS5_PS5_PKlPlN2at6native12_GLOBAL__N_18offset_tEEE10hipError_tPvRmT1_PNSt15iterator_traitsISL_E10value_typeET2_T3_PNSM_ISR_E10value_typeET4_jRbjT5_SX_jjP12ihipStream_tbEUlT_E1_NS1_11comp_targetILNS1_3genE5ELNS1_11target_archE942ELNS1_3gpuE9ELNS1_3repE0EEENS1_59segmented_radix_sort_warp_sort_small_config_static_selectorELNS0_4arch9wavefront6targetE0EEEvSL_.num_named_barrier, 0
	.set _ZN7rocprim17ROCPRIM_400000_NS6detail17trampoline_kernelINS0_14default_configENS1_36segmented_radix_sort_config_selectorI12hip_bfloat16lEEZNS1_25segmented_radix_sort_implIS3_Lb1EPKS5_PS5_PKlPlN2at6native12_GLOBAL__N_18offset_tEEE10hipError_tPvRmT1_PNSt15iterator_traitsISL_E10value_typeET2_T3_PNSM_ISR_E10value_typeET4_jRbjT5_SX_jjP12ihipStream_tbEUlT_E1_NS1_11comp_targetILNS1_3genE5ELNS1_11target_archE942ELNS1_3gpuE9ELNS1_3repE0EEENS1_59segmented_radix_sort_warp_sort_small_config_static_selectorELNS0_4arch9wavefront6targetE0EEEvSL_.private_seg_size, 0
	.set _ZN7rocprim17ROCPRIM_400000_NS6detail17trampoline_kernelINS0_14default_configENS1_36segmented_radix_sort_config_selectorI12hip_bfloat16lEEZNS1_25segmented_radix_sort_implIS3_Lb1EPKS5_PS5_PKlPlN2at6native12_GLOBAL__N_18offset_tEEE10hipError_tPvRmT1_PNSt15iterator_traitsISL_E10value_typeET2_T3_PNSM_ISR_E10value_typeET4_jRbjT5_SX_jjP12ihipStream_tbEUlT_E1_NS1_11comp_targetILNS1_3genE5ELNS1_11target_archE942ELNS1_3gpuE9ELNS1_3repE0EEENS1_59segmented_radix_sort_warp_sort_small_config_static_selectorELNS0_4arch9wavefront6targetE0EEEvSL_.uses_vcc, 0
	.set _ZN7rocprim17ROCPRIM_400000_NS6detail17trampoline_kernelINS0_14default_configENS1_36segmented_radix_sort_config_selectorI12hip_bfloat16lEEZNS1_25segmented_radix_sort_implIS3_Lb1EPKS5_PS5_PKlPlN2at6native12_GLOBAL__N_18offset_tEEE10hipError_tPvRmT1_PNSt15iterator_traitsISL_E10value_typeET2_T3_PNSM_ISR_E10value_typeET4_jRbjT5_SX_jjP12ihipStream_tbEUlT_E1_NS1_11comp_targetILNS1_3genE5ELNS1_11target_archE942ELNS1_3gpuE9ELNS1_3repE0EEENS1_59segmented_radix_sort_warp_sort_small_config_static_selectorELNS0_4arch9wavefront6targetE0EEEvSL_.uses_flat_scratch, 0
	.set _ZN7rocprim17ROCPRIM_400000_NS6detail17trampoline_kernelINS0_14default_configENS1_36segmented_radix_sort_config_selectorI12hip_bfloat16lEEZNS1_25segmented_radix_sort_implIS3_Lb1EPKS5_PS5_PKlPlN2at6native12_GLOBAL__N_18offset_tEEE10hipError_tPvRmT1_PNSt15iterator_traitsISL_E10value_typeET2_T3_PNSM_ISR_E10value_typeET4_jRbjT5_SX_jjP12ihipStream_tbEUlT_E1_NS1_11comp_targetILNS1_3genE5ELNS1_11target_archE942ELNS1_3gpuE9ELNS1_3repE0EEENS1_59segmented_radix_sort_warp_sort_small_config_static_selectorELNS0_4arch9wavefront6targetE0EEEvSL_.has_dyn_sized_stack, 0
	.set _ZN7rocprim17ROCPRIM_400000_NS6detail17trampoline_kernelINS0_14default_configENS1_36segmented_radix_sort_config_selectorI12hip_bfloat16lEEZNS1_25segmented_radix_sort_implIS3_Lb1EPKS5_PS5_PKlPlN2at6native12_GLOBAL__N_18offset_tEEE10hipError_tPvRmT1_PNSt15iterator_traitsISL_E10value_typeET2_T3_PNSM_ISR_E10value_typeET4_jRbjT5_SX_jjP12ihipStream_tbEUlT_E1_NS1_11comp_targetILNS1_3genE5ELNS1_11target_archE942ELNS1_3gpuE9ELNS1_3repE0EEENS1_59segmented_radix_sort_warp_sort_small_config_static_selectorELNS0_4arch9wavefront6targetE0EEEvSL_.has_recursion, 0
	.set _ZN7rocprim17ROCPRIM_400000_NS6detail17trampoline_kernelINS0_14default_configENS1_36segmented_radix_sort_config_selectorI12hip_bfloat16lEEZNS1_25segmented_radix_sort_implIS3_Lb1EPKS5_PS5_PKlPlN2at6native12_GLOBAL__N_18offset_tEEE10hipError_tPvRmT1_PNSt15iterator_traitsISL_E10value_typeET2_T3_PNSM_ISR_E10value_typeET4_jRbjT5_SX_jjP12ihipStream_tbEUlT_E1_NS1_11comp_targetILNS1_3genE5ELNS1_11target_archE942ELNS1_3gpuE9ELNS1_3repE0EEENS1_59segmented_radix_sort_warp_sort_small_config_static_selectorELNS0_4arch9wavefront6targetE0EEEvSL_.has_indirect_call, 0
	.section	.AMDGPU.csdata,"",@progbits
; Kernel info:
; codeLenInByte = 0
; TotalNumSgprs: 0
; NumVgprs: 0
; ScratchSize: 0
; MemoryBound: 0
; FloatMode: 240
; IeeeMode: 1
; LDSByteSize: 0 bytes/workgroup (compile time only)
; SGPRBlocks: 0
; VGPRBlocks: 0
; NumSGPRsForWavesPerEU: 1
; NumVGPRsForWavesPerEU: 1
; Occupancy: 16
; WaveLimiterHint : 0
; COMPUTE_PGM_RSRC2:SCRATCH_EN: 0
; COMPUTE_PGM_RSRC2:USER_SGPR: 6
; COMPUTE_PGM_RSRC2:TRAP_HANDLER: 0
; COMPUTE_PGM_RSRC2:TGID_X_EN: 1
; COMPUTE_PGM_RSRC2:TGID_Y_EN: 0
; COMPUTE_PGM_RSRC2:TGID_Z_EN: 0
; COMPUTE_PGM_RSRC2:TIDIG_COMP_CNT: 0
	.section	.text._ZN7rocprim17ROCPRIM_400000_NS6detail17trampoline_kernelINS0_14default_configENS1_36segmented_radix_sort_config_selectorI12hip_bfloat16lEEZNS1_25segmented_radix_sort_implIS3_Lb1EPKS5_PS5_PKlPlN2at6native12_GLOBAL__N_18offset_tEEE10hipError_tPvRmT1_PNSt15iterator_traitsISL_E10value_typeET2_T3_PNSM_ISR_E10value_typeET4_jRbjT5_SX_jjP12ihipStream_tbEUlT_E1_NS1_11comp_targetILNS1_3genE4ELNS1_11target_archE910ELNS1_3gpuE8ELNS1_3repE0EEENS1_59segmented_radix_sort_warp_sort_small_config_static_selectorELNS0_4arch9wavefront6targetE0EEEvSL_,"axG",@progbits,_ZN7rocprim17ROCPRIM_400000_NS6detail17trampoline_kernelINS0_14default_configENS1_36segmented_radix_sort_config_selectorI12hip_bfloat16lEEZNS1_25segmented_radix_sort_implIS3_Lb1EPKS5_PS5_PKlPlN2at6native12_GLOBAL__N_18offset_tEEE10hipError_tPvRmT1_PNSt15iterator_traitsISL_E10value_typeET2_T3_PNSM_ISR_E10value_typeET4_jRbjT5_SX_jjP12ihipStream_tbEUlT_E1_NS1_11comp_targetILNS1_3genE4ELNS1_11target_archE910ELNS1_3gpuE8ELNS1_3repE0EEENS1_59segmented_radix_sort_warp_sort_small_config_static_selectorELNS0_4arch9wavefront6targetE0EEEvSL_,comdat
	.globl	_ZN7rocprim17ROCPRIM_400000_NS6detail17trampoline_kernelINS0_14default_configENS1_36segmented_radix_sort_config_selectorI12hip_bfloat16lEEZNS1_25segmented_radix_sort_implIS3_Lb1EPKS5_PS5_PKlPlN2at6native12_GLOBAL__N_18offset_tEEE10hipError_tPvRmT1_PNSt15iterator_traitsISL_E10value_typeET2_T3_PNSM_ISR_E10value_typeET4_jRbjT5_SX_jjP12ihipStream_tbEUlT_E1_NS1_11comp_targetILNS1_3genE4ELNS1_11target_archE910ELNS1_3gpuE8ELNS1_3repE0EEENS1_59segmented_radix_sort_warp_sort_small_config_static_selectorELNS0_4arch9wavefront6targetE0EEEvSL_ ; -- Begin function _ZN7rocprim17ROCPRIM_400000_NS6detail17trampoline_kernelINS0_14default_configENS1_36segmented_radix_sort_config_selectorI12hip_bfloat16lEEZNS1_25segmented_radix_sort_implIS3_Lb1EPKS5_PS5_PKlPlN2at6native12_GLOBAL__N_18offset_tEEE10hipError_tPvRmT1_PNSt15iterator_traitsISL_E10value_typeET2_T3_PNSM_ISR_E10value_typeET4_jRbjT5_SX_jjP12ihipStream_tbEUlT_E1_NS1_11comp_targetILNS1_3genE4ELNS1_11target_archE910ELNS1_3gpuE8ELNS1_3repE0EEENS1_59segmented_radix_sort_warp_sort_small_config_static_selectorELNS0_4arch9wavefront6targetE0EEEvSL_
	.p2align	8
	.type	_ZN7rocprim17ROCPRIM_400000_NS6detail17trampoline_kernelINS0_14default_configENS1_36segmented_radix_sort_config_selectorI12hip_bfloat16lEEZNS1_25segmented_radix_sort_implIS3_Lb1EPKS5_PS5_PKlPlN2at6native12_GLOBAL__N_18offset_tEEE10hipError_tPvRmT1_PNSt15iterator_traitsISL_E10value_typeET2_T3_PNSM_ISR_E10value_typeET4_jRbjT5_SX_jjP12ihipStream_tbEUlT_E1_NS1_11comp_targetILNS1_3genE4ELNS1_11target_archE910ELNS1_3gpuE8ELNS1_3repE0EEENS1_59segmented_radix_sort_warp_sort_small_config_static_selectorELNS0_4arch9wavefront6targetE0EEEvSL_,@function
_ZN7rocprim17ROCPRIM_400000_NS6detail17trampoline_kernelINS0_14default_configENS1_36segmented_radix_sort_config_selectorI12hip_bfloat16lEEZNS1_25segmented_radix_sort_implIS3_Lb1EPKS5_PS5_PKlPlN2at6native12_GLOBAL__N_18offset_tEEE10hipError_tPvRmT1_PNSt15iterator_traitsISL_E10value_typeET2_T3_PNSM_ISR_E10value_typeET4_jRbjT5_SX_jjP12ihipStream_tbEUlT_E1_NS1_11comp_targetILNS1_3genE4ELNS1_11target_archE910ELNS1_3gpuE8ELNS1_3repE0EEENS1_59segmented_radix_sort_warp_sort_small_config_static_selectorELNS0_4arch9wavefront6targetE0EEEvSL_: ; @_ZN7rocprim17ROCPRIM_400000_NS6detail17trampoline_kernelINS0_14default_configENS1_36segmented_radix_sort_config_selectorI12hip_bfloat16lEEZNS1_25segmented_radix_sort_implIS3_Lb1EPKS5_PS5_PKlPlN2at6native12_GLOBAL__N_18offset_tEEE10hipError_tPvRmT1_PNSt15iterator_traitsISL_E10value_typeET2_T3_PNSM_ISR_E10value_typeET4_jRbjT5_SX_jjP12ihipStream_tbEUlT_E1_NS1_11comp_targetILNS1_3genE4ELNS1_11target_archE910ELNS1_3gpuE8ELNS1_3repE0EEENS1_59segmented_radix_sort_warp_sort_small_config_static_selectorELNS0_4arch9wavefront6targetE0EEEvSL_
; %bb.0:
	.section	.rodata,"a",@progbits
	.p2align	6, 0x0
	.amdhsa_kernel _ZN7rocprim17ROCPRIM_400000_NS6detail17trampoline_kernelINS0_14default_configENS1_36segmented_radix_sort_config_selectorI12hip_bfloat16lEEZNS1_25segmented_radix_sort_implIS3_Lb1EPKS5_PS5_PKlPlN2at6native12_GLOBAL__N_18offset_tEEE10hipError_tPvRmT1_PNSt15iterator_traitsISL_E10value_typeET2_T3_PNSM_ISR_E10value_typeET4_jRbjT5_SX_jjP12ihipStream_tbEUlT_E1_NS1_11comp_targetILNS1_3genE4ELNS1_11target_archE910ELNS1_3gpuE8ELNS1_3repE0EEENS1_59segmented_radix_sort_warp_sort_small_config_static_selectorELNS0_4arch9wavefront6targetE0EEEvSL_
		.amdhsa_group_segment_fixed_size 0
		.amdhsa_private_segment_fixed_size 0
		.amdhsa_kernarg_size 88
		.amdhsa_user_sgpr_count 6
		.amdhsa_user_sgpr_private_segment_buffer 1
		.amdhsa_user_sgpr_dispatch_ptr 0
		.amdhsa_user_sgpr_queue_ptr 0
		.amdhsa_user_sgpr_kernarg_segment_ptr 1
		.amdhsa_user_sgpr_dispatch_id 0
		.amdhsa_user_sgpr_flat_scratch_init 0
		.amdhsa_user_sgpr_private_segment_size 0
		.amdhsa_wavefront_size32 1
		.amdhsa_uses_dynamic_stack 0
		.amdhsa_system_sgpr_private_segment_wavefront_offset 0
		.amdhsa_system_sgpr_workgroup_id_x 1
		.amdhsa_system_sgpr_workgroup_id_y 0
		.amdhsa_system_sgpr_workgroup_id_z 0
		.amdhsa_system_sgpr_workgroup_info 0
		.amdhsa_system_vgpr_workitem_id 0
		.amdhsa_next_free_vgpr 1
		.amdhsa_next_free_sgpr 1
		.amdhsa_reserve_vcc 0
		.amdhsa_reserve_flat_scratch 0
		.amdhsa_float_round_mode_32 0
		.amdhsa_float_round_mode_16_64 0
		.amdhsa_float_denorm_mode_32 3
		.amdhsa_float_denorm_mode_16_64 3
		.amdhsa_dx10_clamp 1
		.amdhsa_ieee_mode 1
		.amdhsa_fp16_overflow 0
		.amdhsa_workgroup_processor_mode 1
		.amdhsa_memory_ordered 1
		.amdhsa_forward_progress 1
		.amdhsa_shared_vgpr_count 0
		.amdhsa_exception_fp_ieee_invalid_op 0
		.amdhsa_exception_fp_denorm_src 0
		.amdhsa_exception_fp_ieee_div_zero 0
		.amdhsa_exception_fp_ieee_overflow 0
		.amdhsa_exception_fp_ieee_underflow 0
		.amdhsa_exception_fp_ieee_inexact 0
		.amdhsa_exception_int_div_zero 0
	.end_amdhsa_kernel
	.section	.text._ZN7rocprim17ROCPRIM_400000_NS6detail17trampoline_kernelINS0_14default_configENS1_36segmented_radix_sort_config_selectorI12hip_bfloat16lEEZNS1_25segmented_radix_sort_implIS3_Lb1EPKS5_PS5_PKlPlN2at6native12_GLOBAL__N_18offset_tEEE10hipError_tPvRmT1_PNSt15iterator_traitsISL_E10value_typeET2_T3_PNSM_ISR_E10value_typeET4_jRbjT5_SX_jjP12ihipStream_tbEUlT_E1_NS1_11comp_targetILNS1_3genE4ELNS1_11target_archE910ELNS1_3gpuE8ELNS1_3repE0EEENS1_59segmented_radix_sort_warp_sort_small_config_static_selectorELNS0_4arch9wavefront6targetE0EEEvSL_,"axG",@progbits,_ZN7rocprim17ROCPRIM_400000_NS6detail17trampoline_kernelINS0_14default_configENS1_36segmented_radix_sort_config_selectorI12hip_bfloat16lEEZNS1_25segmented_radix_sort_implIS3_Lb1EPKS5_PS5_PKlPlN2at6native12_GLOBAL__N_18offset_tEEE10hipError_tPvRmT1_PNSt15iterator_traitsISL_E10value_typeET2_T3_PNSM_ISR_E10value_typeET4_jRbjT5_SX_jjP12ihipStream_tbEUlT_E1_NS1_11comp_targetILNS1_3genE4ELNS1_11target_archE910ELNS1_3gpuE8ELNS1_3repE0EEENS1_59segmented_radix_sort_warp_sort_small_config_static_selectorELNS0_4arch9wavefront6targetE0EEEvSL_,comdat
.Lfunc_end1958:
	.size	_ZN7rocprim17ROCPRIM_400000_NS6detail17trampoline_kernelINS0_14default_configENS1_36segmented_radix_sort_config_selectorI12hip_bfloat16lEEZNS1_25segmented_radix_sort_implIS3_Lb1EPKS5_PS5_PKlPlN2at6native12_GLOBAL__N_18offset_tEEE10hipError_tPvRmT1_PNSt15iterator_traitsISL_E10value_typeET2_T3_PNSM_ISR_E10value_typeET4_jRbjT5_SX_jjP12ihipStream_tbEUlT_E1_NS1_11comp_targetILNS1_3genE4ELNS1_11target_archE910ELNS1_3gpuE8ELNS1_3repE0EEENS1_59segmented_radix_sort_warp_sort_small_config_static_selectorELNS0_4arch9wavefront6targetE0EEEvSL_, .Lfunc_end1958-_ZN7rocprim17ROCPRIM_400000_NS6detail17trampoline_kernelINS0_14default_configENS1_36segmented_radix_sort_config_selectorI12hip_bfloat16lEEZNS1_25segmented_radix_sort_implIS3_Lb1EPKS5_PS5_PKlPlN2at6native12_GLOBAL__N_18offset_tEEE10hipError_tPvRmT1_PNSt15iterator_traitsISL_E10value_typeET2_T3_PNSM_ISR_E10value_typeET4_jRbjT5_SX_jjP12ihipStream_tbEUlT_E1_NS1_11comp_targetILNS1_3genE4ELNS1_11target_archE910ELNS1_3gpuE8ELNS1_3repE0EEENS1_59segmented_radix_sort_warp_sort_small_config_static_selectorELNS0_4arch9wavefront6targetE0EEEvSL_
                                        ; -- End function
	.set _ZN7rocprim17ROCPRIM_400000_NS6detail17trampoline_kernelINS0_14default_configENS1_36segmented_radix_sort_config_selectorI12hip_bfloat16lEEZNS1_25segmented_radix_sort_implIS3_Lb1EPKS5_PS5_PKlPlN2at6native12_GLOBAL__N_18offset_tEEE10hipError_tPvRmT1_PNSt15iterator_traitsISL_E10value_typeET2_T3_PNSM_ISR_E10value_typeET4_jRbjT5_SX_jjP12ihipStream_tbEUlT_E1_NS1_11comp_targetILNS1_3genE4ELNS1_11target_archE910ELNS1_3gpuE8ELNS1_3repE0EEENS1_59segmented_radix_sort_warp_sort_small_config_static_selectorELNS0_4arch9wavefront6targetE0EEEvSL_.num_vgpr, 0
	.set _ZN7rocprim17ROCPRIM_400000_NS6detail17trampoline_kernelINS0_14default_configENS1_36segmented_radix_sort_config_selectorI12hip_bfloat16lEEZNS1_25segmented_radix_sort_implIS3_Lb1EPKS5_PS5_PKlPlN2at6native12_GLOBAL__N_18offset_tEEE10hipError_tPvRmT1_PNSt15iterator_traitsISL_E10value_typeET2_T3_PNSM_ISR_E10value_typeET4_jRbjT5_SX_jjP12ihipStream_tbEUlT_E1_NS1_11comp_targetILNS1_3genE4ELNS1_11target_archE910ELNS1_3gpuE8ELNS1_3repE0EEENS1_59segmented_radix_sort_warp_sort_small_config_static_selectorELNS0_4arch9wavefront6targetE0EEEvSL_.num_agpr, 0
	.set _ZN7rocprim17ROCPRIM_400000_NS6detail17trampoline_kernelINS0_14default_configENS1_36segmented_radix_sort_config_selectorI12hip_bfloat16lEEZNS1_25segmented_radix_sort_implIS3_Lb1EPKS5_PS5_PKlPlN2at6native12_GLOBAL__N_18offset_tEEE10hipError_tPvRmT1_PNSt15iterator_traitsISL_E10value_typeET2_T3_PNSM_ISR_E10value_typeET4_jRbjT5_SX_jjP12ihipStream_tbEUlT_E1_NS1_11comp_targetILNS1_3genE4ELNS1_11target_archE910ELNS1_3gpuE8ELNS1_3repE0EEENS1_59segmented_radix_sort_warp_sort_small_config_static_selectorELNS0_4arch9wavefront6targetE0EEEvSL_.numbered_sgpr, 0
	.set _ZN7rocprim17ROCPRIM_400000_NS6detail17trampoline_kernelINS0_14default_configENS1_36segmented_radix_sort_config_selectorI12hip_bfloat16lEEZNS1_25segmented_radix_sort_implIS3_Lb1EPKS5_PS5_PKlPlN2at6native12_GLOBAL__N_18offset_tEEE10hipError_tPvRmT1_PNSt15iterator_traitsISL_E10value_typeET2_T3_PNSM_ISR_E10value_typeET4_jRbjT5_SX_jjP12ihipStream_tbEUlT_E1_NS1_11comp_targetILNS1_3genE4ELNS1_11target_archE910ELNS1_3gpuE8ELNS1_3repE0EEENS1_59segmented_radix_sort_warp_sort_small_config_static_selectorELNS0_4arch9wavefront6targetE0EEEvSL_.num_named_barrier, 0
	.set _ZN7rocprim17ROCPRIM_400000_NS6detail17trampoline_kernelINS0_14default_configENS1_36segmented_radix_sort_config_selectorI12hip_bfloat16lEEZNS1_25segmented_radix_sort_implIS3_Lb1EPKS5_PS5_PKlPlN2at6native12_GLOBAL__N_18offset_tEEE10hipError_tPvRmT1_PNSt15iterator_traitsISL_E10value_typeET2_T3_PNSM_ISR_E10value_typeET4_jRbjT5_SX_jjP12ihipStream_tbEUlT_E1_NS1_11comp_targetILNS1_3genE4ELNS1_11target_archE910ELNS1_3gpuE8ELNS1_3repE0EEENS1_59segmented_radix_sort_warp_sort_small_config_static_selectorELNS0_4arch9wavefront6targetE0EEEvSL_.private_seg_size, 0
	.set _ZN7rocprim17ROCPRIM_400000_NS6detail17trampoline_kernelINS0_14default_configENS1_36segmented_radix_sort_config_selectorI12hip_bfloat16lEEZNS1_25segmented_radix_sort_implIS3_Lb1EPKS5_PS5_PKlPlN2at6native12_GLOBAL__N_18offset_tEEE10hipError_tPvRmT1_PNSt15iterator_traitsISL_E10value_typeET2_T3_PNSM_ISR_E10value_typeET4_jRbjT5_SX_jjP12ihipStream_tbEUlT_E1_NS1_11comp_targetILNS1_3genE4ELNS1_11target_archE910ELNS1_3gpuE8ELNS1_3repE0EEENS1_59segmented_radix_sort_warp_sort_small_config_static_selectorELNS0_4arch9wavefront6targetE0EEEvSL_.uses_vcc, 0
	.set _ZN7rocprim17ROCPRIM_400000_NS6detail17trampoline_kernelINS0_14default_configENS1_36segmented_radix_sort_config_selectorI12hip_bfloat16lEEZNS1_25segmented_radix_sort_implIS3_Lb1EPKS5_PS5_PKlPlN2at6native12_GLOBAL__N_18offset_tEEE10hipError_tPvRmT1_PNSt15iterator_traitsISL_E10value_typeET2_T3_PNSM_ISR_E10value_typeET4_jRbjT5_SX_jjP12ihipStream_tbEUlT_E1_NS1_11comp_targetILNS1_3genE4ELNS1_11target_archE910ELNS1_3gpuE8ELNS1_3repE0EEENS1_59segmented_radix_sort_warp_sort_small_config_static_selectorELNS0_4arch9wavefront6targetE0EEEvSL_.uses_flat_scratch, 0
	.set _ZN7rocprim17ROCPRIM_400000_NS6detail17trampoline_kernelINS0_14default_configENS1_36segmented_radix_sort_config_selectorI12hip_bfloat16lEEZNS1_25segmented_radix_sort_implIS3_Lb1EPKS5_PS5_PKlPlN2at6native12_GLOBAL__N_18offset_tEEE10hipError_tPvRmT1_PNSt15iterator_traitsISL_E10value_typeET2_T3_PNSM_ISR_E10value_typeET4_jRbjT5_SX_jjP12ihipStream_tbEUlT_E1_NS1_11comp_targetILNS1_3genE4ELNS1_11target_archE910ELNS1_3gpuE8ELNS1_3repE0EEENS1_59segmented_radix_sort_warp_sort_small_config_static_selectorELNS0_4arch9wavefront6targetE0EEEvSL_.has_dyn_sized_stack, 0
	.set _ZN7rocprim17ROCPRIM_400000_NS6detail17trampoline_kernelINS0_14default_configENS1_36segmented_radix_sort_config_selectorI12hip_bfloat16lEEZNS1_25segmented_radix_sort_implIS3_Lb1EPKS5_PS5_PKlPlN2at6native12_GLOBAL__N_18offset_tEEE10hipError_tPvRmT1_PNSt15iterator_traitsISL_E10value_typeET2_T3_PNSM_ISR_E10value_typeET4_jRbjT5_SX_jjP12ihipStream_tbEUlT_E1_NS1_11comp_targetILNS1_3genE4ELNS1_11target_archE910ELNS1_3gpuE8ELNS1_3repE0EEENS1_59segmented_radix_sort_warp_sort_small_config_static_selectorELNS0_4arch9wavefront6targetE0EEEvSL_.has_recursion, 0
	.set _ZN7rocprim17ROCPRIM_400000_NS6detail17trampoline_kernelINS0_14default_configENS1_36segmented_radix_sort_config_selectorI12hip_bfloat16lEEZNS1_25segmented_radix_sort_implIS3_Lb1EPKS5_PS5_PKlPlN2at6native12_GLOBAL__N_18offset_tEEE10hipError_tPvRmT1_PNSt15iterator_traitsISL_E10value_typeET2_T3_PNSM_ISR_E10value_typeET4_jRbjT5_SX_jjP12ihipStream_tbEUlT_E1_NS1_11comp_targetILNS1_3genE4ELNS1_11target_archE910ELNS1_3gpuE8ELNS1_3repE0EEENS1_59segmented_radix_sort_warp_sort_small_config_static_selectorELNS0_4arch9wavefront6targetE0EEEvSL_.has_indirect_call, 0
	.section	.AMDGPU.csdata,"",@progbits
; Kernel info:
; codeLenInByte = 0
; TotalNumSgprs: 0
; NumVgprs: 0
; ScratchSize: 0
; MemoryBound: 0
; FloatMode: 240
; IeeeMode: 1
; LDSByteSize: 0 bytes/workgroup (compile time only)
; SGPRBlocks: 0
; VGPRBlocks: 0
; NumSGPRsForWavesPerEU: 1
; NumVGPRsForWavesPerEU: 1
; Occupancy: 16
; WaveLimiterHint : 0
; COMPUTE_PGM_RSRC2:SCRATCH_EN: 0
; COMPUTE_PGM_RSRC2:USER_SGPR: 6
; COMPUTE_PGM_RSRC2:TRAP_HANDLER: 0
; COMPUTE_PGM_RSRC2:TGID_X_EN: 1
; COMPUTE_PGM_RSRC2:TGID_Y_EN: 0
; COMPUTE_PGM_RSRC2:TGID_Z_EN: 0
; COMPUTE_PGM_RSRC2:TIDIG_COMP_CNT: 0
	.section	.text._ZN7rocprim17ROCPRIM_400000_NS6detail17trampoline_kernelINS0_14default_configENS1_36segmented_radix_sort_config_selectorI12hip_bfloat16lEEZNS1_25segmented_radix_sort_implIS3_Lb1EPKS5_PS5_PKlPlN2at6native12_GLOBAL__N_18offset_tEEE10hipError_tPvRmT1_PNSt15iterator_traitsISL_E10value_typeET2_T3_PNSM_ISR_E10value_typeET4_jRbjT5_SX_jjP12ihipStream_tbEUlT_E1_NS1_11comp_targetILNS1_3genE3ELNS1_11target_archE908ELNS1_3gpuE7ELNS1_3repE0EEENS1_59segmented_radix_sort_warp_sort_small_config_static_selectorELNS0_4arch9wavefront6targetE0EEEvSL_,"axG",@progbits,_ZN7rocprim17ROCPRIM_400000_NS6detail17trampoline_kernelINS0_14default_configENS1_36segmented_radix_sort_config_selectorI12hip_bfloat16lEEZNS1_25segmented_radix_sort_implIS3_Lb1EPKS5_PS5_PKlPlN2at6native12_GLOBAL__N_18offset_tEEE10hipError_tPvRmT1_PNSt15iterator_traitsISL_E10value_typeET2_T3_PNSM_ISR_E10value_typeET4_jRbjT5_SX_jjP12ihipStream_tbEUlT_E1_NS1_11comp_targetILNS1_3genE3ELNS1_11target_archE908ELNS1_3gpuE7ELNS1_3repE0EEENS1_59segmented_radix_sort_warp_sort_small_config_static_selectorELNS0_4arch9wavefront6targetE0EEEvSL_,comdat
	.globl	_ZN7rocprim17ROCPRIM_400000_NS6detail17trampoline_kernelINS0_14default_configENS1_36segmented_radix_sort_config_selectorI12hip_bfloat16lEEZNS1_25segmented_radix_sort_implIS3_Lb1EPKS5_PS5_PKlPlN2at6native12_GLOBAL__N_18offset_tEEE10hipError_tPvRmT1_PNSt15iterator_traitsISL_E10value_typeET2_T3_PNSM_ISR_E10value_typeET4_jRbjT5_SX_jjP12ihipStream_tbEUlT_E1_NS1_11comp_targetILNS1_3genE3ELNS1_11target_archE908ELNS1_3gpuE7ELNS1_3repE0EEENS1_59segmented_radix_sort_warp_sort_small_config_static_selectorELNS0_4arch9wavefront6targetE0EEEvSL_ ; -- Begin function _ZN7rocprim17ROCPRIM_400000_NS6detail17trampoline_kernelINS0_14default_configENS1_36segmented_radix_sort_config_selectorI12hip_bfloat16lEEZNS1_25segmented_radix_sort_implIS3_Lb1EPKS5_PS5_PKlPlN2at6native12_GLOBAL__N_18offset_tEEE10hipError_tPvRmT1_PNSt15iterator_traitsISL_E10value_typeET2_T3_PNSM_ISR_E10value_typeET4_jRbjT5_SX_jjP12ihipStream_tbEUlT_E1_NS1_11comp_targetILNS1_3genE3ELNS1_11target_archE908ELNS1_3gpuE7ELNS1_3repE0EEENS1_59segmented_radix_sort_warp_sort_small_config_static_selectorELNS0_4arch9wavefront6targetE0EEEvSL_
	.p2align	8
	.type	_ZN7rocprim17ROCPRIM_400000_NS6detail17trampoline_kernelINS0_14default_configENS1_36segmented_radix_sort_config_selectorI12hip_bfloat16lEEZNS1_25segmented_radix_sort_implIS3_Lb1EPKS5_PS5_PKlPlN2at6native12_GLOBAL__N_18offset_tEEE10hipError_tPvRmT1_PNSt15iterator_traitsISL_E10value_typeET2_T3_PNSM_ISR_E10value_typeET4_jRbjT5_SX_jjP12ihipStream_tbEUlT_E1_NS1_11comp_targetILNS1_3genE3ELNS1_11target_archE908ELNS1_3gpuE7ELNS1_3repE0EEENS1_59segmented_radix_sort_warp_sort_small_config_static_selectorELNS0_4arch9wavefront6targetE0EEEvSL_,@function
_ZN7rocprim17ROCPRIM_400000_NS6detail17trampoline_kernelINS0_14default_configENS1_36segmented_radix_sort_config_selectorI12hip_bfloat16lEEZNS1_25segmented_radix_sort_implIS3_Lb1EPKS5_PS5_PKlPlN2at6native12_GLOBAL__N_18offset_tEEE10hipError_tPvRmT1_PNSt15iterator_traitsISL_E10value_typeET2_T3_PNSM_ISR_E10value_typeET4_jRbjT5_SX_jjP12ihipStream_tbEUlT_E1_NS1_11comp_targetILNS1_3genE3ELNS1_11target_archE908ELNS1_3gpuE7ELNS1_3repE0EEENS1_59segmented_radix_sort_warp_sort_small_config_static_selectorELNS0_4arch9wavefront6targetE0EEEvSL_: ; @_ZN7rocprim17ROCPRIM_400000_NS6detail17trampoline_kernelINS0_14default_configENS1_36segmented_radix_sort_config_selectorI12hip_bfloat16lEEZNS1_25segmented_radix_sort_implIS3_Lb1EPKS5_PS5_PKlPlN2at6native12_GLOBAL__N_18offset_tEEE10hipError_tPvRmT1_PNSt15iterator_traitsISL_E10value_typeET2_T3_PNSM_ISR_E10value_typeET4_jRbjT5_SX_jjP12ihipStream_tbEUlT_E1_NS1_11comp_targetILNS1_3genE3ELNS1_11target_archE908ELNS1_3gpuE7ELNS1_3repE0EEENS1_59segmented_radix_sort_warp_sort_small_config_static_selectorELNS0_4arch9wavefront6targetE0EEEvSL_
; %bb.0:
	.section	.rodata,"a",@progbits
	.p2align	6, 0x0
	.amdhsa_kernel _ZN7rocprim17ROCPRIM_400000_NS6detail17trampoline_kernelINS0_14default_configENS1_36segmented_radix_sort_config_selectorI12hip_bfloat16lEEZNS1_25segmented_radix_sort_implIS3_Lb1EPKS5_PS5_PKlPlN2at6native12_GLOBAL__N_18offset_tEEE10hipError_tPvRmT1_PNSt15iterator_traitsISL_E10value_typeET2_T3_PNSM_ISR_E10value_typeET4_jRbjT5_SX_jjP12ihipStream_tbEUlT_E1_NS1_11comp_targetILNS1_3genE3ELNS1_11target_archE908ELNS1_3gpuE7ELNS1_3repE0EEENS1_59segmented_radix_sort_warp_sort_small_config_static_selectorELNS0_4arch9wavefront6targetE0EEEvSL_
		.amdhsa_group_segment_fixed_size 0
		.amdhsa_private_segment_fixed_size 0
		.amdhsa_kernarg_size 88
		.amdhsa_user_sgpr_count 6
		.amdhsa_user_sgpr_private_segment_buffer 1
		.amdhsa_user_sgpr_dispatch_ptr 0
		.amdhsa_user_sgpr_queue_ptr 0
		.amdhsa_user_sgpr_kernarg_segment_ptr 1
		.amdhsa_user_sgpr_dispatch_id 0
		.amdhsa_user_sgpr_flat_scratch_init 0
		.amdhsa_user_sgpr_private_segment_size 0
		.amdhsa_wavefront_size32 1
		.amdhsa_uses_dynamic_stack 0
		.amdhsa_system_sgpr_private_segment_wavefront_offset 0
		.amdhsa_system_sgpr_workgroup_id_x 1
		.amdhsa_system_sgpr_workgroup_id_y 0
		.amdhsa_system_sgpr_workgroup_id_z 0
		.amdhsa_system_sgpr_workgroup_info 0
		.amdhsa_system_vgpr_workitem_id 0
		.amdhsa_next_free_vgpr 1
		.amdhsa_next_free_sgpr 1
		.amdhsa_reserve_vcc 0
		.amdhsa_reserve_flat_scratch 0
		.amdhsa_float_round_mode_32 0
		.amdhsa_float_round_mode_16_64 0
		.amdhsa_float_denorm_mode_32 3
		.amdhsa_float_denorm_mode_16_64 3
		.amdhsa_dx10_clamp 1
		.amdhsa_ieee_mode 1
		.amdhsa_fp16_overflow 0
		.amdhsa_workgroup_processor_mode 1
		.amdhsa_memory_ordered 1
		.amdhsa_forward_progress 1
		.amdhsa_shared_vgpr_count 0
		.amdhsa_exception_fp_ieee_invalid_op 0
		.amdhsa_exception_fp_denorm_src 0
		.amdhsa_exception_fp_ieee_div_zero 0
		.amdhsa_exception_fp_ieee_overflow 0
		.amdhsa_exception_fp_ieee_underflow 0
		.amdhsa_exception_fp_ieee_inexact 0
		.amdhsa_exception_int_div_zero 0
	.end_amdhsa_kernel
	.section	.text._ZN7rocprim17ROCPRIM_400000_NS6detail17trampoline_kernelINS0_14default_configENS1_36segmented_radix_sort_config_selectorI12hip_bfloat16lEEZNS1_25segmented_radix_sort_implIS3_Lb1EPKS5_PS5_PKlPlN2at6native12_GLOBAL__N_18offset_tEEE10hipError_tPvRmT1_PNSt15iterator_traitsISL_E10value_typeET2_T3_PNSM_ISR_E10value_typeET4_jRbjT5_SX_jjP12ihipStream_tbEUlT_E1_NS1_11comp_targetILNS1_3genE3ELNS1_11target_archE908ELNS1_3gpuE7ELNS1_3repE0EEENS1_59segmented_radix_sort_warp_sort_small_config_static_selectorELNS0_4arch9wavefront6targetE0EEEvSL_,"axG",@progbits,_ZN7rocprim17ROCPRIM_400000_NS6detail17trampoline_kernelINS0_14default_configENS1_36segmented_radix_sort_config_selectorI12hip_bfloat16lEEZNS1_25segmented_radix_sort_implIS3_Lb1EPKS5_PS5_PKlPlN2at6native12_GLOBAL__N_18offset_tEEE10hipError_tPvRmT1_PNSt15iterator_traitsISL_E10value_typeET2_T3_PNSM_ISR_E10value_typeET4_jRbjT5_SX_jjP12ihipStream_tbEUlT_E1_NS1_11comp_targetILNS1_3genE3ELNS1_11target_archE908ELNS1_3gpuE7ELNS1_3repE0EEENS1_59segmented_radix_sort_warp_sort_small_config_static_selectorELNS0_4arch9wavefront6targetE0EEEvSL_,comdat
.Lfunc_end1959:
	.size	_ZN7rocprim17ROCPRIM_400000_NS6detail17trampoline_kernelINS0_14default_configENS1_36segmented_radix_sort_config_selectorI12hip_bfloat16lEEZNS1_25segmented_radix_sort_implIS3_Lb1EPKS5_PS5_PKlPlN2at6native12_GLOBAL__N_18offset_tEEE10hipError_tPvRmT1_PNSt15iterator_traitsISL_E10value_typeET2_T3_PNSM_ISR_E10value_typeET4_jRbjT5_SX_jjP12ihipStream_tbEUlT_E1_NS1_11comp_targetILNS1_3genE3ELNS1_11target_archE908ELNS1_3gpuE7ELNS1_3repE0EEENS1_59segmented_radix_sort_warp_sort_small_config_static_selectorELNS0_4arch9wavefront6targetE0EEEvSL_, .Lfunc_end1959-_ZN7rocprim17ROCPRIM_400000_NS6detail17trampoline_kernelINS0_14default_configENS1_36segmented_radix_sort_config_selectorI12hip_bfloat16lEEZNS1_25segmented_radix_sort_implIS3_Lb1EPKS5_PS5_PKlPlN2at6native12_GLOBAL__N_18offset_tEEE10hipError_tPvRmT1_PNSt15iterator_traitsISL_E10value_typeET2_T3_PNSM_ISR_E10value_typeET4_jRbjT5_SX_jjP12ihipStream_tbEUlT_E1_NS1_11comp_targetILNS1_3genE3ELNS1_11target_archE908ELNS1_3gpuE7ELNS1_3repE0EEENS1_59segmented_radix_sort_warp_sort_small_config_static_selectorELNS0_4arch9wavefront6targetE0EEEvSL_
                                        ; -- End function
	.set _ZN7rocprim17ROCPRIM_400000_NS6detail17trampoline_kernelINS0_14default_configENS1_36segmented_radix_sort_config_selectorI12hip_bfloat16lEEZNS1_25segmented_radix_sort_implIS3_Lb1EPKS5_PS5_PKlPlN2at6native12_GLOBAL__N_18offset_tEEE10hipError_tPvRmT1_PNSt15iterator_traitsISL_E10value_typeET2_T3_PNSM_ISR_E10value_typeET4_jRbjT5_SX_jjP12ihipStream_tbEUlT_E1_NS1_11comp_targetILNS1_3genE3ELNS1_11target_archE908ELNS1_3gpuE7ELNS1_3repE0EEENS1_59segmented_radix_sort_warp_sort_small_config_static_selectorELNS0_4arch9wavefront6targetE0EEEvSL_.num_vgpr, 0
	.set _ZN7rocprim17ROCPRIM_400000_NS6detail17trampoline_kernelINS0_14default_configENS1_36segmented_radix_sort_config_selectorI12hip_bfloat16lEEZNS1_25segmented_radix_sort_implIS3_Lb1EPKS5_PS5_PKlPlN2at6native12_GLOBAL__N_18offset_tEEE10hipError_tPvRmT1_PNSt15iterator_traitsISL_E10value_typeET2_T3_PNSM_ISR_E10value_typeET4_jRbjT5_SX_jjP12ihipStream_tbEUlT_E1_NS1_11comp_targetILNS1_3genE3ELNS1_11target_archE908ELNS1_3gpuE7ELNS1_3repE0EEENS1_59segmented_radix_sort_warp_sort_small_config_static_selectorELNS0_4arch9wavefront6targetE0EEEvSL_.num_agpr, 0
	.set _ZN7rocprim17ROCPRIM_400000_NS6detail17trampoline_kernelINS0_14default_configENS1_36segmented_radix_sort_config_selectorI12hip_bfloat16lEEZNS1_25segmented_radix_sort_implIS3_Lb1EPKS5_PS5_PKlPlN2at6native12_GLOBAL__N_18offset_tEEE10hipError_tPvRmT1_PNSt15iterator_traitsISL_E10value_typeET2_T3_PNSM_ISR_E10value_typeET4_jRbjT5_SX_jjP12ihipStream_tbEUlT_E1_NS1_11comp_targetILNS1_3genE3ELNS1_11target_archE908ELNS1_3gpuE7ELNS1_3repE0EEENS1_59segmented_radix_sort_warp_sort_small_config_static_selectorELNS0_4arch9wavefront6targetE0EEEvSL_.numbered_sgpr, 0
	.set _ZN7rocprim17ROCPRIM_400000_NS6detail17trampoline_kernelINS0_14default_configENS1_36segmented_radix_sort_config_selectorI12hip_bfloat16lEEZNS1_25segmented_radix_sort_implIS3_Lb1EPKS5_PS5_PKlPlN2at6native12_GLOBAL__N_18offset_tEEE10hipError_tPvRmT1_PNSt15iterator_traitsISL_E10value_typeET2_T3_PNSM_ISR_E10value_typeET4_jRbjT5_SX_jjP12ihipStream_tbEUlT_E1_NS1_11comp_targetILNS1_3genE3ELNS1_11target_archE908ELNS1_3gpuE7ELNS1_3repE0EEENS1_59segmented_radix_sort_warp_sort_small_config_static_selectorELNS0_4arch9wavefront6targetE0EEEvSL_.num_named_barrier, 0
	.set _ZN7rocprim17ROCPRIM_400000_NS6detail17trampoline_kernelINS0_14default_configENS1_36segmented_radix_sort_config_selectorI12hip_bfloat16lEEZNS1_25segmented_radix_sort_implIS3_Lb1EPKS5_PS5_PKlPlN2at6native12_GLOBAL__N_18offset_tEEE10hipError_tPvRmT1_PNSt15iterator_traitsISL_E10value_typeET2_T3_PNSM_ISR_E10value_typeET4_jRbjT5_SX_jjP12ihipStream_tbEUlT_E1_NS1_11comp_targetILNS1_3genE3ELNS1_11target_archE908ELNS1_3gpuE7ELNS1_3repE0EEENS1_59segmented_radix_sort_warp_sort_small_config_static_selectorELNS0_4arch9wavefront6targetE0EEEvSL_.private_seg_size, 0
	.set _ZN7rocprim17ROCPRIM_400000_NS6detail17trampoline_kernelINS0_14default_configENS1_36segmented_radix_sort_config_selectorI12hip_bfloat16lEEZNS1_25segmented_radix_sort_implIS3_Lb1EPKS5_PS5_PKlPlN2at6native12_GLOBAL__N_18offset_tEEE10hipError_tPvRmT1_PNSt15iterator_traitsISL_E10value_typeET2_T3_PNSM_ISR_E10value_typeET4_jRbjT5_SX_jjP12ihipStream_tbEUlT_E1_NS1_11comp_targetILNS1_3genE3ELNS1_11target_archE908ELNS1_3gpuE7ELNS1_3repE0EEENS1_59segmented_radix_sort_warp_sort_small_config_static_selectorELNS0_4arch9wavefront6targetE0EEEvSL_.uses_vcc, 0
	.set _ZN7rocprim17ROCPRIM_400000_NS6detail17trampoline_kernelINS0_14default_configENS1_36segmented_radix_sort_config_selectorI12hip_bfloat16lEEZNS1_25segmented_radix_sort_implIS3_Lb1EPKS5_PS5_PKlPlN2at6native12_GLOBAL__N_18offset_tEEE10hipError_tPvRmT1_PNSt15iterator_traitsISL_E10value_typeET2_T3_PNSM_ISR_E10value_typeET4_jRbjT5_SX_jjP12ihipStream_tbEUlT_E1_NS1_11comp_targetILNS1_3genE3ELNS1_11target_archE908ELNS1_3gpuE7ELNS1_3repE0EEENS1_59segmented_radix_sort_warp_sort_small_config_static_selectorELNS0_4arch9wavefront6targetE0EEEvSL_.uses_flat_scratch, 0
	.set _ZN7rocprim17ROCPRIM_400000_NS6detail17trampoline_kernelINS0_14default_configENS1_36segmented_radix_sort_config_selectorI12hip_bfloat16lEEZNS1_25segmented_radix_sort_implIS3_Lb1EPKS5_PS5_PKlPlN2at6native12_GLOBAL__N_18offset_tEEE10hipError_tPvRmT1_PNSt15iterator_traitsISL_E10value_typeET2_T3_PNSM_ISR_E10value_typeET4_jRbjT5_SX_jjP12ihipStream_tbEUlT_E1_NS1_11comp_targetILNS1_3genE3ELNS1_11target_archE908ELNS1_3gpuE7ELNS1_3repE0EEENS1_59segmented_radix_sort_warp_sort_small_config_static_selectorELNS0_4arch9wavefront6targetE0EEEvSL_.has_dyn_sized_stack, 0
	.set _ZN7rocprim17ROCPRIM_400000_NS6detail17trampoline_kernelINS0_14default_configENS1_36segmented_radix_sort_config_selectorI12hip_bfloat16lEEZNS1_25segmented_radix_sort_implIS3_Lb1EPKS5_PS5_PKlPlN2at6native12_GLOBAL__N_18offset_tEEE10hipError_tPvRmT1_PNSt15iterator_traitsISL_E10value_typeET2_T3_PNSM_ISR_E10value_typeET4_jRbjT5_SX_jjP12ihipStream_tbEUlT_E1_NS1_11comp_targetILNS1_3genE3ELNS1_11target_archE908ELNS1_3gpuE7ELNS1_3repE0EEENS1_59segmented_radix_sort_warp_sort_small_config_static_selectorELNS0_4arch9wavefront6targetE0EEEvSL_.has_recursion, 0
	.set _ZN7rocprim17ROCPRIM_400000_NS6detail17trampoline_kernelINS0_14default_configENS1_36segmented_radix_sort_config_selectorI12hip_bfloat16lEEZNS1_25segmented_radix_sort_implIS3_Lb1EPKS5_PS5_PKlPlN2at6native12_GLOBAL__N_18offset_tEEE10hipError_tPvRmT1_PNSt15iterator_traitsISL_E10value_typeET2_T3_PNSM_ISR_E10value_typeET4_jRbjT5_SX_jjP12ihipStream_tbEUlT_E1_NS1_11comp_targetILNS1_3genE3ELNS1_11target_archE908ELNS1_3gpuE7ELNS1_3repE0EEENS1_59segmented_radix_sort_warp_sort_small_config_static_selectorELNS0_4arch9wavefront6targetE0EEEvSL_.has_indirect_call, 0
	.section	.AMDGPU.csdata,"",@progbits
; Kernel info:
; codeLenInByte = 0
; TotalNumSgprs: 0
; NumVgprs: 0
; ScratchSize: 0
; MemoryBound: 0
; FloatMode: 240
; IeeeMode: 1
; LDSByteSize: 0 bytes/workgroup (compile time only)
; SGPRBlocks: 0
; VGPRBlocks: 0
; NumSGPRsForWavesPerEU: 1
; NumVGPRsForWavesPerEU: 1
; Occupancy: 16
; WaveLimiterHint : 0
; COMPUTE_PGM_RSRC2:SCRATCH_EN: 0
; COMPUTE_PGM_RSRC2:USER_SGPR: 6
; COMPUTE_PGM_RSRC2:TRAP_HANDLER: 0
; COMPUTE_PGM_RSRC2:TGID_X_EN: 1
; COMPUTE_PGM_RSRC2:TGID_Y_EN: 0
; COMPUTE_PGM_RSRC2:TGID_Z_EN: 0
; COMPUTE_PGM_RSRC2:TIDIG_COMP_CNT: 0
	.section	.text._ZN7rocprim17ROCPRIM_400000_NS6detail17trampoline_kernelINS0_14default_configENS1_36segmented_radix_sort_config_selectorI12hip_bfloat16lEEZNS1_25segmented_radix_sort_implIS3_Lb1EPKS5_PS5_PKlPlN2at6native12_GLOBAL__N_18offset_tEEE10hipError_tPvRmT1_PNSt15iterator_traitsISL_E10value_typeET2_T3_PNSM_ISR_E10value_typeET4_jRbjT5_SX_jjP12ihipStream_tbEUlT_E1_NS1_11comp_targetILNS1_3genE2ELNS1_11target_archE906ELNS1_3gpuE6ELNS1_3repE0EEENS1_59segmented_radix_sort_warp_sort_small_config_static_selectorELNS0_4arch9wavefront6targetE0EEEvSL_,"axG",@progbits,_ZN7rocprim17ROCPRIM_400000_NS6detail17trampoline_kernelINS0_14default_configENS1_36segmented_radix_sort_config_selectorI12hip_bfloat16lEEZNS1_25segmented_radix_sort_implIS3_Lb1EPKS5_PS5_PKlPlN2at6native12_GLOBAL__N_18offset_tEEE10hipError_tPvRmT1_PNSt15iterator_traitsISL_E10value_typeET2_T3_PNSM_ISR_E10value_typeET4_jRbjT5_SX_jjP12ihipStream_tbEUlT_E1_NS1_11comp_targetILNS1_3genE2ELNS1_11target_archE906ELNS1_3gpuE6ELNS1_3repE0EEENS1_59segmented_radix_sort_warp_sort_small_config_static_selectorELNS0_4arch9wavefront6targetE0EEEvSL_,comdat
	.globl	_ZN7rocprim17ROCPRIM_400000_NS6detail17trampoline_kernelINS0_14default_configENS1_36segmented_radix_sort_config_selectorI12hip_bfloat16lEEZNS1_25segmented_radix_sort_implIS3_Lb1EPKS5_PS5_PKlPlN2at6native12_GLOBAL__N_18offset_tEEE10hipError_tPvRmT1_PNSt15iterator_traitsISL_E10value_typeET2_T3_PNSM_ISR_E10value_typeET4_jRbjT5_SX_jjP12ihipStream_tbEUlT_E1_NS1_11comp_targetILNS1_3genE2ELNS1_11target_archE906ELNS1_3gpuE6ELNS1_3repE0EEENS1_59segmented_radix_sort_warp_sort_small_config_static_selectorELNS0_4arch9wavefront6targetE0EEEvSL_ ; -- Begin function _ZN7rocprim17ROCPRIM_400000_NS6detail17trampoline_kernelINS0_14default_configENS1_36segmented_radix_sort_config_selectorI12hip_bfloat16lEEZNS1_25segmented_radix_sort_implIS3_Lb1EPKS5_PS5_PKlPlN2at6native12_GLOBAL__N_18offset_tEEE10hipError_tPvRmT1_PNSt15iterator_traitsISL_E10value_typeET2_T3_PNSM_ISR_E10value_typeET4_jRbjT5_SX_jjP12ihipStream_tbEUlT_E1_NS1_11comp_targetILNS1_3genE2ELNS1_11target_archE906ELNS1_3gpuE6ELNS1_3repE0EEENS1_59segmented_radix_sort_warp_sort_small_config_static_selectorELNS0_4arch9wavefront6targetE0EEEvSL_
	.p2align	8
	.type	_ZN7rocprim17ROCPRIM_400000_NS6detail17trampoline_kernelINS0_14default_configENS1_36segmented_radix_sort_config_selectorI12hip_bfloat16lEEZNS1_25segmented_radix_sort_implIS3_Lb1EPKS5_PS5_PKlPlN2at6native12_GLOBAL__N_18offset_tEEE10hipError_tPvRmT1_PNSt15iterator_traitsISL_E10value_typeET2_T3_PNSM_ISR_E10value_typeET4_jRbjT5_SX_jjP12ihipStream_tbEUlT_E1_NS1_11comp_targetILNS1_3genE2ELNS1_11target_archE906ELNS1_3gpuE6ELNS1_3repE0EEENS1_59segmented_radix_sort_warp_sort_small_config_static_selectorELNS0_4arch9wavefront6targetE0EEEvSL_,@function
_ZN7rocprim17ROCPRIM_400000_NS6detail17trampoline_kernelINS0_14default_configENS1_36segmented_radix_sort_config_selectorI12hip_bfloat16lEEZNS1_25segmented_radix_sort_implIS3_Lb1EPKS5_PS5_PKlPlN2at6native12_GLOBAL__N_18offset_tEEE10hipError_tPvRmT1_PNSt15iterator_traitsISL_E10value_typeET2_T3_PNSM_ISR_E10value_typeET4_jRbjT5_SX_jjP12ihipStream_tbEUlT_E1_NS1_11comp_targetILNS1_3genE2ELNS1_11target_archE906ELNS1_3gpuE6ELNS1_3repE0EEENS1_59segmented_radix_sort_warp_sort_small_config_static_selectorELNS0_4arch9wavefront6targetE0EEEvSL_: ; @_ZN7rocprim17ROCPRIM_400000_NS6detail17trampoline_kernelINS0_14default_configENS1_36segmented_radix_sort_config_selectorI12hip_bfloat16lEEZNS1_25segmented_radix_sort_implIS3_Lb1EPKS5_PS5_PKlPlN2at6native12_GLOBAL__N_18offset_tEEE10hipError_tPvRmT1_PNSt15iterator_traitsISL_E10value_typeET2_T3_PNSM_ISR_E10value_typeET4_jRbjT5_SX_jjP12ihipStream_tbEUlT_E1_NS1_11comp_targetILNS1_3genE2ELNS1_11target_archE906ELNS1_3gpuE6ELNS1_3repE0EEENS1_59segmented_radix_sort_warp_sort_small_config_static_selectorELNS0_4arch9wavefront6targetE0EEEvSL_
; %bb.0:
	.section	.rodata,"a",@progbits
	.p2align	6, 0x0
	.amdhsa_kernel _ZN7rocprim17ROCPRIM_400000_NS6detail17trampoline_kernelINS0_14default_configENS1_36segmented_radix_sort_config_selectorI12hip_bfloat16lEEZNS1_25segmented_radix_sort_implIS3_Lb1EPKS5_PS5_PKlPlN2at6native12_GLOBAL__N_18offset_tEEE10hipError_tPvRmT1_PNSt15iterator_traitsISL_E10value_typeET2_T3_PNSM_ISR_E10value_typeET4_jRbjT5_SX_jjP12ihipStream_tbEUlT_E1_NS1_11comp_targetILNS1_3genE2ELNS1_11target_archE906ELNS1_3gpuE6ELNS1_3repE0EEENS1_59segmented_radix_sort_warp_sort_small_config_static_selectorELNS0_4arch9wavefront6targetE0EEEvSL_
		.amdhsa_group_segment_fixed_size 0
		.amdhsa_private_segment_fixed_size 0
		.amdhsa_kernarg_size 88
		.amdhsa_user_sgpr_count 6
		.amdhsa_user_sgpr_private_segment_buffer 1
		.amdhsa_user_sgpr_dispatch_ptr 0
		.amdhsa_user_sgpr_queue_ptr 0
		.amdhsa_user_sgpr_kernarg_segment_ptr 1
		.amdhsa_user_sgpr_dispatch_id 0
		.amdhsa_user_sgpr_flat_scratch_init 0
		.amdhsa_user_sgpr_private_segment_size 0
		.amdhsa_wavefront_size32 1
		.amdhsa_uses_dynamic_stack 0
		.amdhsa_system_sgpr_private_segment_wavefront_offset 0
		.amdhsa_system_sgpr_workgroup_id_x 1
		.amdhsa_system_sgpr_workgroup_id_y 0
		.amdhsa_system_sgpr_workgroup_id_z 0
		.amdhsa_system_sgpr_workgroup_info 0
		.amdhsa_system_vgpr_workitem_id 0
		.amdhsa_next_free_vgpr 1
		.amdhsa_next_free_sgpr 1
		.amdhsa_reserve_vcc 0
		.amdhsa_reserve_flat_scratch 0
		.amdhsa_float_round_mode_32 0
		.amdhsa_float_round_mode_16_64 0
		.amdhsa_float_denorm_mode_32 3
		.amdhsa_float_denorm_mode_16_64 3
		.amdhsa_dx10_clamp 1
		.amdhsa_ieee_mode 1
		.amdhsa_fp16_overflow 0
		.amdhsa_workgroup_processor_mode 1
		.amdhsa_memory_ordered 1
		.amdhsa_forward_progress 1
		.amdhsa_shared_vgpr_count 0
		.amdhsa_exception_fp_ieee_invalid_op 0
		.amdhsa_exception_fp_denorm_src 0
		.amdhsa_exception_fp_ieee_div_zero 0
		.amdhsa_exception_fp_ieee_overflow 0
		.amdhsa_exception_fp_ieee_underflow 0
		.amdhsa_exception_fp_ieee_inexact 0
		.amdhsa_exception_int_div_zero 0
	.end_amdhsa_kernel
	.section	.text._ZN7rocprim17ROCPRIM_400000_NS6detail17trampoline_kernelINS0_14default_configENS1_36segmented_radix_sort_config_selectorI12hip_bfloat16lEEZNS1_25segmented_radix_sort_implIS3_Lb1EPKS5_PS5_PKlPlN2at6native12_GLOBAL__N_18offset_tEEE10hipError_tPvRmT1_PNSt15iterator_traitsISL_E10value_typeET2_T3_PNSM_ISR_E10value_typeET4_jRbjT5_SX_jjP12ihipStream_tbEUlT_E1_NS1_11comp_targetILNS1_3genE2ELNS1_11target_archE906ELNS1_3gpuE6ELNS1_3repE0EEENS1_59segmented_radix_sort_warp_sort_small_config_static_selectorELNS0_4arch9wavefront6targetE0EEEvSL_,"axG",@progbits,_ZN7rocprim17ROCPRIM_400000_NS6detail17trampoline_kernelINS0_14default_configENS1_36segmented_radix_sort_config_selectorI12hip_bfloat16lEEZNS1_25segmented_radix_sort_implIS3_Lb1EPKS5_PS5_PKlPlN2at6native12_GLOBAL__N_18offset_tEEE10hipError_tPvRmT1_PNSt15iterator_traitsISL_E10value_typeET2_T3_PNSM_ISR_E10value_typeET4_jRbjT5_SX_jjP12ihipStream_tbEUlT_E1_NS1_11comp_targetILNS1_3genE2ELNS1_11target_archE906ELNS1_3gpuE6ELNS1_3repE0EEENS1_59segmented_radix_sort_warp_sort_small_config_static_selectorELNS0_4arch9wavefront6targetE0EEEvSL_,comdat
.Lfunc_end1960:
	.size	_ZN7rocprim17ROCPRIM_400000_NS6detail17trampoline_kernelINS0_14default_configENS1_36segmented_radix_sort_config_selectorI12hip_bfloat16lEEZNS1_25segmented_radix_sort_implIS3_Lb1EPKS5_PS5_PKlPlN2at6native12_GLOBAL__N_18offset_tEEE10hipError_tPvRmT1_PNSt15iterator_traitsISL_E10value_typeET2_T3_PNSM_ISR_E10value_typeET4_jRbjT5_SX_jjP12ihipStream_tbEUlT_E1_NS1_11comp_targetILNS1_3genE2ELNS1_11target_archE906ELNS1_3gpuE6ELNS1_3repE0EEENS1_59segmented_radix_sort_warp_sort_small_config_static_selectorELNS0_4arch9wavefront6targetE0EEEvSL_, .Lfunc_end1960-_ZN7rocprim17ROCPRIM_400000_NS6detail17trampoline_kernelINS0_14default_configENS1_36segmented_radix_sort_config_selectorI12hip_bfloat16lEEZNS1_25segmented_radix_sort_implIS3_Lb1EPKS5_PS5_PKlPlN2at6native12_GLOBAL__N_18offset_tEEE10hipError_tPvRmT1_PNSt15iterator_traitsISL_E10value_typeET2_T3_PNSM_ISR_E10value_typeET4_jRbjT5_SX_jjP12ihipStream_tbEUlT_E1_NS1_11comp_targetILNS1_3genE2ELNS1_11target_archE906ELNS1_3gpuE6ELNS1_3repE0EEENS1_59segmented_radix_sort_warp_sort_small_config_static_selectorELNS0_4arch9wavefront6targetE0EEEvSL_
                                        ; -- End function
	.set _ZN7rocprim17ROCPRIM_400000_NS6detail17trampoline_kernelINS0_14default_configENS1_36segmented_radix_sort_config_selectorI12hip_bfloat16lEEZNS1_25segmented_radix_sort_implIS3_Lb1EPKS5_PS5_PKlPlN2at6native12_GLOBAL__N_18offset_tEEE10hipError_tPvRmT1_PNSt15iterator_traitsISL_E10value_typeET2_T3_PNSM_ISR_E10value_typeET4_jRbjT5_SX_jjP12ihipStream_tbEUlT_E1_NS1_11comp_targetILNS1_3genE2ELNS1_11target_archE906ELNS1_3gpuE6ELNS1_3repE0EEENS1_59segmented_radix_sort_warp_sort_small_config_static_selectorELNS0_4arch9wavefront6targetE0EEEvSL_.num_vgpr, 0
	.set _ZN7rocprim17ROCPRIM_400000_NS6detail17trampoline_kernelINS0_14default_configENS1_36segmented_radix_sort_config_selectorI12hip_bfloat16lEEZNS1_25segmented_radix_sort_implIS3_Lb1EPKS5_PS5_PKlPlN2at6native12_GLOBAL__N_18offset_tEEE10hipError_tPvRmT1_PNSt15iterator_traitsISL_E10value_typeET2_T3_PNSM_ISR_E10value_typeET4_jRbjT5_SX_jjP12ihipStream_tbEUlT_E1_NS1_11comp_targetILNS1_3genE2ELNS1_11target_archE906ELNS1_3gpuE6ELNS1_3repE0EEENS1_59segmented_radix_sort_warp_sort_small_config_static_selectorELNS0_4arch9wavefront6targetE0EEEvSL_.num_agpr, 0
	.set _ZN7rocprim17ROCPRIM_400000_NS6detail17trampoline_kernelINS0_14default_configENS1_36segmented_radix_sort_config_selectorI12hip_bfloat16lEEZNS1_25segmented_radix_sort_implIS3_Lb1EPKS5_PS5_PKlPlN2at6native12_GLOBAL__N_18offset_tEEE10hipError_tPvRmT1_PNSt15iterator_traitsISL_E10value_typeET2_T3_PNSM_ISR_E10value_typeET4_jRbjT5_SX_jjP12ihipStream_tbEUlT_E1_NS1_11comp_targetILNS1_3genE2ELNS1_11target_archE906ELNS1_3gpuE6ELNS1_3repE0EEENS1_59segmented_radix_sort_warp_sort_small_config_static_selectorELNS0_4arch9wavefront6targetE0EEEvSL_.numbered_sgpr, 0
	.set _ZN7rocprim17ROCPRIM_400000_NS6detail17trampoline_kernelINS0_14default_configENS1_36segmented_radix_sort_config_selectorI12hip_bfloat16lEEZNS1_25segmented_radix_sort_implIS3_Lb1EPKS5_PS5_PKlPlN2at6native12_GLOBAL__N_18offset_tEEE10hipError_tPvRmT1_PNSt15iterator_traitsISL_E10value_typeET2_T3_PNSM_ISR_E10value_typeET4_jRbjT5_SX_jjP12ihipStream_tbEUlT_E1_NS1_11comp_targetILNS1_3genE2ELNS1_11target_archE906ELNS1_3gpuE6ELNS1_3repE0EEENS1_59segmented_radix_sort_warp_sort_small_config_static_selectorELNS0_4arch9wavefront6targetE0EEEvSL_.num_named_barrier, 0
	.set _ZN7rocprim17ROCPRIM_400000_NS6detail17trampoline_kernelINS0_14default_configENS1_36segmented_radix_sort_config_selectorI12hip_bfloat16lEEZNS1_25segmented_radix_sort_implIS3_Lb1EPKS5_PS5_PKlPlN2at6native12_GLOBAL__N_18offset_tEEE10hipError_tPvRmT1_PNSt15iterator_traitsISL_E10value_typeET2_T3_PNSM_ISR_E10value_typeET4_jRbjT5_SX_jjP12ihipStream_tbEUlT_E1_NS1_11comp_targetILNS1_3genE2ELNS1_11target_archE906ELNS1_3gpuE6ELNS1_3repE0EEENS1_59segmented_radix_sort_warp_sort_small_config_static_selectorELNS0_4arch9wavefront6targetE0EEEvSL_.private_seg_size, 0
	.set _ZN7rocprim17ROCPRIM_400000_NS6detail17trampoline_kernelINS0_14default_configENS1_36segmented_radix_sort_config_selectorI12hip_bfloat16lEEZNS1_25segmented_radix_sort_implIS3_Lb1EPKS5_PS5_PKlPlN2at6native12_GLOBAL__N_18offset_tEEE10hipError_tPvRmT1_PNSt15iterator_traitsISL_E10value_typeET2_T3_PNSM_ISR_E10value_typeET4_jRbjT5_SX_jjP12ihipStream_tbEUlT_E1_NS1_11comp_targetILNS1_3genE2ELNS1_11target_archE906ELNS1_3gpuE6ELNS1_3repE0EEENS1_59segmented_radix_sort_warp_sort_small_config_static_selectorELNS0_4arch9wavefront6targetE0EEEvSL_.uses_vcc, 0
	.set _ZN7rocprim17ROCPRIM_400000_NS6detail17trampoline_kernelINS0_14default_configENS1_36segmented_radix_sort_config_selectorI12hip_bfloat16lEEZNS1_25segmented_radix_sort_implIS3_Lb1EPKS5_PS5_PKlPlN2at6native12_GLOBAL__N_18offset_tEEE10hipError_tPvRmT1_PNSt15iterator_traitsISL_E10value_typeET2_T3_PNSM_ISR_E10value_typeET4_jRbjT5_SX_jjP12ihipStream_tbEUlT_E1_NS1_11comp_targetILNS1_3genE2ELNS1_11target_archE906ELNS1_3gpuE6ELNS1_3repE0EEENS1_59segmented_radix_sort_warp_sort_small_config_static_selectorELNS0_4arch9wavefront6targetE0EEEvSL_.uses_flat_scratch, 0
	.set _ZN7rocprim17ROCPRIM_400000_NS6detail17trampoline_kernelINS0_14default_configENS1_36segmented_radix_sort_config_selectorI12hip_bfloat16lEEZNS1_25segmented_radix_sort_implIS3_Lb1EPKS5_PS5_PKlPlN2at6native12_GLOBAL__N_18offset_tEEE10hipError_tPvRmT1_PNSt15iterator_traitsISL_E10value_typeET2_T3_PNSM_ISR_E10value_typeET4_jRbjT5_SX_jjP12ihipStream_tbEUlT_E1_NS1_11comp_targetILNS1_3genE2ELNS1_11target_archE906ELNS1_3gpuE6ELNS1_3repE0EEENS1_59segmented_radix_sort_warp_sort_small_config_static_selectorELNS0_4arch9wavefront6targetE0EEEvSL_.has_dyn_sized_stack, 0
	.set _ZN7rocprim17ROCPRIM_400000_NS6detail17trampoline_kernelINS0_14default_configENS1_36segmented_radix_sort_config_selectorI12hip_bfloat16lEEZNS1_25segmented_radix_sort_implIS3_Lb1EPKS5_PS5_PKlPlN2at6native12_GLOBAL__N_18offset_tEEE10hipError_tPvRmT1_PNSt15iterator_traitsISL_E10value_typeET2_T3_PNSM_ISR_E10value_typeET4_jRbjT5_SX_jjP12ihipStream_tbEUlT_E1_NS1_11comp_targetILNS1_3genE2ELNS1_11target_archE906ELNS1_3gpuE6ELNS1_3repE0EEENS1_59segmented_radix_sort_warp_sort_small_config_static_selectorELNS0_4arch9wavefront6targetE0EEEvSL_.has_recursion, 0
	.set _ZN7rocprim17ROCPRIM_400000_NS6detail17trampoline_kernelINS0_14default_configENS1_36segmented_radix_sort_config_selectorI12hip_bfloat16lEEZNS1_25segmented_radix_sort_implIS3_Lb1EPKS5_PS5_PKlPlN2at6native12_GLOBAL__N_18offset_tEEE10hipError_tPvRmT1_PNSt15iterator_traitsISL_E10value_typeET2_T3_PNSM_ISR_E10value_typeET4_jRbjT5_SX_jjP12ihipStream_tbEUlT_E1_NS1_11comp_targetILNS1_3genE2ELNS1_11target_archE906ELNS1_3gpuE6ELNS1_3repE0EEENS1_59segmented_radix_sort_warp_sort_small_config_static_selectorELNS0_4arch9wavefront6targetE0EEEvSL_.has_indirect_call, 0
	.section	.AMDGPU.csdata,"",@progbits
; Kernel info:
; codeLenInByte = 0
; TotalNumSgprs: 0
; NumVgprs: 0
; ScratchSize: 0
; MemoryBound: 0
; FloatMode: 240
; IeeeMode: 1
; LDSByteSize: 0 bytes/workgroup (compile time only)
; SGPRBlocks: 0
; VGPRBlocks: 0
; NumSGPRsForWavesPerEU: 1
; NumVGPRsForWavesPerEU: 1
; Occupancy: 16
; WaveLimiterHint : 0
; COMPUTE_PGM_RSRC2:SCRATCH_EN: 0
; COMPUTE_PGM_RSRC2:USER_SGPR: 6
; COMPUTE_PGM_RSRC2:TRAP_HANDLER: 0
; COMPUTE_PGM_RSRC2:TGID_X_EN: 1
; COMPUTE_PGM_RSRC2:TGID_Y_EN: 0
; COMPUTE_PGM_RSRC2:TGID_Z_EN: 0
; COMPUTE_PGM_RSRC2:TIDIG_COMP_CNT: 0
	.section	.text._ZN7rocprim17ROCPRIM_400000_NS6detail17trampoline_kernelINS0_14default_configENS1_36segmented_radix_sort_config_selectorI12hip_bfloat16lEEZNS1_25segmented_radix_sort_implIS3_Lb1EPKS5_PS5_PKlPlN2at6native12_GLOBAL__N_18offset_tEEE10hipError_tPvRmT1_PNSt15iterator_traitsISL_E10value_typeET2_T3_PNSM_ISR_E10value_typeET4_jRbjT5_SX_jjP12ihipStream_tbEUlT_E1_NS1_11comp_targetILNS1_3genE10ELNS1_11target_archE1201ELNS1_3gpuE5ELNS1_3repE0EEENS1_59segmented_radix_sort_warp_sort_small_config_static_selectorELNS0_4arch9wavefront6targetE0EEEvSL_,"axG",@progbits,_ZN7rocprim17ROCPRIM_400000_NS6detail17trampoline_kernelINS0_14default_configENS1_36segmented_radix_sort_config_selectorI12hip_bfloat16lEEZNS1_25segmented_radix_sort_implIS3_Lb1EPKS5_PS5_PKlPlN2at6native12_GLOBAL__N_18offset_tEEE10hipError_tPvRmT1_PNSt15iterator_traitsISL_E10value_typeET2_T3_PNSM_ISR_E10value_typeET4_jRbjT5_SX_jjP12ihipStream_tbEUlT_E1_NS1_11comp_targetILNS1_3genE10ELNS1_11target_archE1201ELNS1_3gpuE5ELNS1_3repE0EEENS1_59segmented_radix_sort_warp_sort_small_config_static_selectorELNS0_4arch9wavefront6targetE0EEEvSL_,comdat
	.globl	_ZN7rocprim17ROCPRIM_400000_NS6detail17trampoline_kernelINS0_14default_configENS1_36segmented_radix_sort_config_selectorI12hip_bfloat16lEEZNS1_25segmented_radix_sort_implIS3_Lb1EPKS5_PS5_PKlPlN2at6native12_GLOBAL__N_18offset_tEEE10hipError_tPvRmT1_PNSt15iterator_traitsISL_E10value_typeET2_T3_PNSM_ISR_E10value_typeET4_jRbjT5_SX_jjP12ihipStream_tbEUlT_E1_NS1_11comp_targetILNS1_3genE10ELNS1_11target_archE1201ELNS1_3gpuE5ELNS1_3repE0EEENS1_59segmented_radix_sort_warp_sort_small_config_static_selectorELNS0_4arch9wavefront6targetE0EEEvSL_ ; -- Begin function _ZN7rocprim17ROCPRIM_400000_NS6detail17trampoline_kernelINS0_14default_configENS1_36segmented_radix_sort_config_selectorI12hip_bfloat16lEEZNS1_25segmented_radix_sort_implIS3_Lb1EPKS5_PS5_PKlPlN2at6native12_GLOBAL__N_18offset_tEEE10hipError_tPvRmT1_PNSt15iterator_traitsISL_E10value_typeET2_T3_PNSM_ISR_E10value_typeET4_jRbjT5_SX_jjP12ihipStream_tbEUlT_E1_NS1_11comp_targetILNS1_3genE10ELNS1_11target_archE1201ELNS1_3gpuE5ELNS1_3repE0EEENS1_59segmented_radix_sort_warp_sort_small_config_static_selectorELNS0_4arch9wavefront6targetE0EEEvSL_
	.p2align	8
	.type	_ZN7rocprim17ROCPRIM_400000_NS6detail17trampoline_kernelINS0_14default_configENS1_36segmented_radix_sort_config_selectorI12hip_bfloat16lEEZNS1_25segmented_radix_sort_implIS3_Lb1EPKS5_PS5_PKlPlN2at6native12_GLOBAL__N_18offset_tEEE10hipError_tPvRmT1_PNSt15iterator_traitsISL_E10value_typeET2_T3_PNSM_ISR_E10value_typeET4_jRbjT5_SX_jjP12ihipStream_tbEUlT_E1_NS1_11comp_targetILNS1_3genE10ELNS1_11target_archE1201ELNS1_3gpuE5ELNS1_3repE0EEENS1_59segmented_radix_sort_warp_sort_small_config_static_selectorELNS0_4arch9wavefront6targetE0EEEvSL_,@function
_ZN7rocprim17ROCPRIM_400000_NS6detail17trampoline_kernelINS0_14default_configENS1_36segmented_radix_sort_config_selectorI12hip_bfloat16lEEZNS1_25segmented_radix_sort_implIS3_Lb1EPKS5_PS5_PKlPlN2at6native12_GLOBAL__N_18offset_tEEE10hipError_tPvRmT1_PNSt15iterator_traitsISL_E10value_typeET2_T3_PNSM_ISR_E10value_typeET4_jRbjT5_SX_jjP12ihipStream_tbEUlT_E1_NS1_11comp_targetILNS1_3genE10ELNS1_11target_archE1201ELNS1_3gpuE5ELNS1_3repE0EEENS1_59segmented_radix_sort_warp_sort_small_config_static_selectorELNS0_4arch9wavefront6targetE0EEEvSL_: ; @_ZN7rocprim17ROCPRIM_400000_NS6detail17trampoline_kernelINS0_14default_configENS1_36segmented_radix_sort_config_selectorI12hip_bfloat16lEEZNS1_25segmented_radix_sort_implIS3_Lb1EPKS5_PS5_PKlPlN2at6native12_GLOBAL__N_18offset_tEEE10hipError_tPvRmT1_PNSt15iterator_traitsISL_E10value_typeET2_T3_PNSM_ISR_E10value_typeET4_jRbjT5_SX_jjP12ihipStream_tbEUlT_E1_NS1_11comp_targetILNS1_3genE10ELNS1_11target_archE1201ELNS1_3gpuE5ELNS1_3repE0EEENS1_59segmented_radix_sort_warp_sort_small_config_static_selectorELNS0_4arch9wavefront6targetE0EEEvSL_
; %bb.0:
	.section	.rodata,"a",@progbits
	.p2align	6, 0x0
	.amdhsa_kernel _ZN7rocprim17ROCPRIM_400000_NS6detail17trampoline_kernelINS0_14default_configENS1_36segmented_radix_sort_config_selectorI12hip_bfloat16lEEZNS1_25segmented_radix_sort_implIS3_Lb1EPKS5_PS5_PKlPlN2at6native12_GLOBAL__N_18offset_tEEE10hipError_tPvRmT1_PNSt15iterator_traitsISL_E10value_typeET2_T3_PNSM_ISR_E10value_typeET4_jRbjT5_SX_jjP12ihipStream_tbEUlT_E1_NS1_11comp_targetILNS1_3genE10ELNS1_11target_archE1201ELNS1_3gpuE5ELNS1_3repE0EEENS1_59segmented_radix_sort_warp_sort_small_config_static_selectorELNS0_4arch9wavefront6targetE0EEEvSL_
		.amdhsa_group_segment_fixed_size 0
		.amdhsa_private_segment_fixed_size 0
		.amdhsa_kernarg_size 88
		.amdhsa_user_sgpr_count 6
		.amdhsa_user_sgpr_private_segment_buffer 1
		.amdhsa_user_sgpr_dispatch_ptr 0
		.amdhsa_user_sgpr_queue_ptr 0
		.amdhsa_user_sgpr_kernarg_segment_ptr 1
		.amdhsa_user_sgpr_dispatch_id 0
		.amdhsa_user_sgpr_flat_scratch_init 0
		.amdhsa_user_sgpr_private_segment_size 0
		.amdhsa_wavefront_size32 1
		.amdhsa_uses_dynamic_stack 0
		.amdhsa_system_sgpr_private_segment_wavefront_offset 0
		.amdhsa_system_sgpr_workgroup_id_x 1
		.amdhsa_system_sgpr_workgroup_id_y 0
		.amdhsa_system_sgpr_workgroup_id_z 0
		.amdhsa_system_sgpr_workgroup_info 0
		.amdhsa_system_vgpr_workitem_id 0
		.amdhsa_next_free_vgpr 1
		.amdhsa_next_free_sgpr 1
		.amdhsa_reserve_vcc 0
		.amdhsa_reserve_flat_scratch 0
		.amdhsa_float_round_mode_32 0
		.amdhsa_float_round_mode_16_64 0
		.amdhsa_float_denorm_mode_32 3
		.amdhsa_float_denorm_mode_16_64 3
		.amdhsa_dx10_clamp 1
		.amdhsa_ieee_mode 1
		.amdhsa_fp16_overflow 0
		.amdhsa_workgroup_processor_mode 1
		.amdhsa_memory_ordered 1
		.amdhsa_forward_progress 1
		.amdhsa_shared_vgpr_count 0
		.amdhsa_exception_fp_ieee_invalid_op 0
		.amdhsa_exception_fp_denorm_src 0
		.amdhsa_exception_fp_ieee_div_zero 0
		.amdhsa_exception_fp_ieee_overflow 0
		.amdhsa_exception_fp_ieee_underflow 0
		.amdhsa_exception_fp_ieee_inexact 0
		.amdhsa_exception_int_div_zero 0
	.end_amdhsa_kernel
	.section	.text._ZN7rocprim17ROCPRIM_400000_NS6detail17trampoline_kernelINS0_14default_configENS1_36segmented_radix_sort_config_selectorI12hip_bfloat16lEEZNS1_25segmented_radix_sort_implIS3_Lb1EPKS5_PS5_PKlPlN2at6native12_GLOBAL__N_18offset_tEEE10hipError_tPvRmT1_PNSt15iterator_traitsISL_E10value_typeET2_T3_PNSM_ISR_E10value_typeET4_jRbjT5_SX_jjP12ihipStream_tbEUlT_E1_NS1_11comp_targetILNS1_3genE10ELNS1_11target_archE1201ELNS1_3gpuE5ELNS1_3repE0EEENS1_59segmented_radix_sort_warp_sort_small_config_static_selectorELNS0_4arch9wavefront6targetE0EEEvSL_,"axG",@progbits,_ZN7rocprim17ROCPRIM_400000_NS6detail17trampoline_kernelINS0_14default_configENS1_36segmented_radix_sort_config_selectorI12hip_bfloat16lEEZNS1_25segmented_radix_sort_implIS3_Lb1EPKS5_PS5_PKlPlN2at6native12_GLOBAL__N_18offset_tEEE10hipError_tPvRmT1_PNSt15iterator_traitsISL_E10value_typeET2_T3_PNSM_ISR_E10value_typeET4_jRbjT5_SX_jjP12ihipStream_tbEUlT_E1_NS1_11comp_targetILNS1_3genE10ELNS1_11target_archE1201ELNS1_3gpuE5ELNS1_3repE0EEENS1_59segmented_radix_sort_warp_sort_small_config_static_selectorELNS0_4arch9wavefront6targetE0EEEvSL_,comdat
.Lfunc_end1961:
	.size	_ZN7rocprim17ROCPRIM_400000_NS6detail17trampoline_kernelINS0_14default_configENS1_36segmented_radix_sort_config_selectorI12hip_bfloat16lEEZNS1_25segmented_radix_sort_implIS3_Lb1EPKS5_PS5_PKlPlN2at6native12_GLOBAL__N_18offset_tEEE10hipError_tPvRmT1_PNSt15iterator_traitsISL_E10value_typeET2_T3_PNSM_ISR_E10value_typeET4_jRbjT5_SX_jjP12ihipStream_tbEUlT_E1_NS1_11comp_targetILNS1_3genE10ELNS1_11target_archE1201ELNS1_3gpuE5ELNS1_3repE0EEENS1_59segmented_radix_sort_warp_sort_small_config_static_selectorELNS0_4arch9wavefront6targetE0EEEvSL_, .Lfunc_end1961-_ZN7rocprim17ROCPRIM_400000_NS6detail17trampoline_kernelINS0_14default_configENS1_36segmented_radix_sort_config_selectorI12hip_bfloat16lEEZNS1_25segmented_radix_sort_implIS3_Lb1EPKS5_PS5_PKlPlN2at6native12_GLOBAL__N_18offset_tEEE10hipError_tPvRmT1_PNSt15iterator_traitsISL_E10value_typeET2_T3_PNSM_ISR_E10value_typeET4_jRbjT5_SX_jjP12ihipStream_tbEUlT_E1_NS1_11comp_targetILNS1_3genE10ELNS1_11target_archE1201ELNS1_3gpuE5ELNS1_3repE0EEENS1_59segmented_radix_sort_warp_sort_small_config_static_selectorELNS0_4arch9wavefront6targetE0EEEvSL_
                                        ; -- End function
	.set _ZN7rocprim17ROCPRIM_400000_NS6detail17trampoline_kernelINS0_14default_configENS1_36segmented_radix_sort_config_selectorI12hip_bfloat16lEEZNS1_25segmented_radix_sort_implIS3_Lb1EPKS5_PS5_PKlPlN2at6native12_GLOBAL__N_18offset_tEEE10hipError_tPvRmT1_PNSt15iterator_traitsISL_E10value_typeET2_T3_PNSM_ISR_E10value_typeET4_jRbjT5_SX_jjP12ihipStream_tbEUlT_E1_NS1_11comp_targetILNS1_3genE10ELNS1_11target_archE1201ELNS1_3gpuE5ELNS1_3repE0EEENS1_59segmented_radix_sort_warp_sort_small_config_static_selectorELNS0_4arch9wavefront6targetE0EEEvSL_.num_vgpr, 0
	.set _ZN7rocprim17ROCPRIM_400000_NS6detail17trampoline_kernelINS0_14default_configENS1_36segmented_radix_sort_config_selectorI12hip_bfloat16lEEZNS1_25segmented_radix_sort_implIS3_Lb1EPKS5_PS5_PKlPlN2at6native12_GLOBAL__N_18offset_tEEE10hipError_tPvRmT1_PNSt15iterator_traitsISL_E10value_typeET2_T3_PNSM_ISR_E10value_typeET4_jRbjT5_SX_jjP12ihipStream_tbEUlT_E1_NS1_11comp_targetILNS1_3genE10ELNS1_11target_archE1201ELNS1_3gpuE5ELNS1_3repE0EEENS1_59segmented_radix_sort_warp_sort_small_config_static_selectorELNS0_4arch9wavefront6targetE0EEEvSL_.num_agpr, 0
	.set _ZN7rocprim17ROCPRIM_400000_NS6detail17trampoline_kernelINS0_14default_configENS1_36segmented_radix_sort_config_selectorI12hip_bfloat16lEEZNS1_25segmented_radix_sort_implIS3_Lb1EPKS5_PS5_PKlPlN2at6native12_GLOBAL__N_18offset_tEEE10hipError_tPvRmT1_PNSt15iterator_traitsISL_E10value_typeET2_T3_PNSM_ISR_E10value_typeET4_jRbjT5_SX_jjP12ihipStream_tbEUlT_E1_NS1_11comp_targetILNS1_3genE10ELNS1_11target_archE1201ELNS1_3gpuE5ELNS1_3repE0EEENS1_59segmented_radix_sort_warp_sort_small_config_static_selectorELNS0_4arch9wavefront6targetE0EEEvSL_.numbered_sgpr, 0
	.set _ZN7rocprim17ROCPRIM_400000_NS6detail17trampoline_kernelINS0_14default_configENS1_36segmented_radix_sort_config_selectorI12hip_bfloat16lEEZNS1_25segmented_radix_sort_implIS3_Lb1EPKS5_PS5_PKlPlN2at6native12_GLOBAL__N_18offset_tEEE10hipError_tPvRmT1_PNSt15iterator_traitsISL_E10value_typeET2_T3_PNSM_ISR_E10value_typeET4_jRbjT5_SX_jjP12ihipStream_tbEUlT_E1_NS1_11comp_targetILNS1_3genE10ELNS1_11target_archE1201ELNS1_3gpuE5ELNS1_3repE0EEENS1_59segmented_radix_sort_warp_sort_small_config_static_selectorELNS0_4arch9wavefront6targetE0EEEvSL_.num_named_barrier, 0
	.set _ZN7rocprim17ROCPRIM_400000_NS6detail17trampoline_kernelINS0_14default_configENS1_36segmented_radix_sort_config_selectorI12hip_bfloat16lEEZNS1_25segmented_radix_sort_implIS3_Lb1EPKS5_PS5_PKlPlN2at6native12_GLOBAL__N_18offset_tEEE10hipError_tPvRmT1_PNSt15iterator_traitsISL_E10value_typeET2_T3_PNSM_ISR_E10value_typeET4_jRbjT5_SX_jjP12ihipStream_tbEUlT_E1_NS1_11comp_targetILNS1_3genE10ELNS1_11target_archE1201ELNS1_3gpuE5ELNS1_3repE0EEENS1_59segmented_radix_sort_warp_sort_small_config_static_selectorELNS0_4arch9wavefront6targetE0EEEvSL_.private_seg_size, 0
	.set _ZN7rocprim17ROCPRIM_400000_NS6detail17trampoline_kernelINS0_14default_configENS1_36segmented_radix_sort_config_selectorI12hip_bfloat16lEEZNS1_25segmented_radix_sort_implIS3_Lb1EPKS5_PS5_PKlPlN2at6native12_GLOBAL__N_18offset_tEEE10hipError_tPvRmT1_PNSt15iterator_traitsISL_E10value_typeET2_T3_PNSM_ISR_E10value_typeET4_jRbjT5_SX_jjP12ihipStream_tbEUlT_E1_NS1_11comp_targetILNS1_3genE10ELNS1_11target_archE1201ELNS1_3gpuE5ELNS1_3repE0EEENS1_59segmented_radix_sort_warp_sort_small_config_static_selectorELNS0_4arch9wavefront6targetE0EEEvSL_.uses_vcc, 0
	.set _ZN7rocprim17ROCPRIM_400000_NS6detail17trampoline_kernelINS0_14default_configENS1_36segmented_radix_sort_config_selectorI12hip_bfloat16lEEZNS1_25segmented_radix_sort_implIS3_Lb1EPKS5_PS5_PKlPlN2at6native12_GLOBAL__N_18offset_tEEE10hipError_tPvRmT1_PNSt15iterator_traitsISL_E10value_typeET2_T3_PNSM_ISR_E10value_typeET4_jRbjT5_SX_jjP12ihipStream_tbEUlT_E1_NS1_11comp_targetILNS1_3genE10ELNS1_11target_archE1201ELNS1_3gpuE5ELNS1_3repE0EEENS1_59segmented_radix_sort_warp_sort_small_config_static_selectorELNS0_4arch9wavefront6targetE0EEEvSL_.uses_flat_scratch, 0
	.set _ZN7rocprim17ROCPRIM_400000_NS6detail17trampoline_kernelINS0_14default_configENS1_36segmented_radix_sort_config_selectorI12hip_bfloat16lEEZNS1_25segmented_radix_sort_implIS3_Lb1EPKS5_PS5_PKlPlN2at6native12_GLOBAL__N_18offset_tEEE10hipError_tPvRmT1_PNSt15iterator_traitsISL_E10value_typeET2_T3_PNSM_ISR_E10value_typeET4_jRbjT5_SX_jjP12ihipStream_tbEUlT_E1_NS1_11comp_targetILNS1_3genE10ELNS1_11target_archE1201ELNS1_3gpuE5ELNS1_3repE0EEENS1_59segmented_radix_sort_warp_sort_small_config_static_selectorELNS0_4arch9wavefront6targetE0EEEvSL_.has_dyn_sized_stack, 0
	.set _ZN7rocprim17ROCPRIM_400000_NS6detail17trampoline_kernelINS0_14default_configENS1_36segmented_radix_sort_config_selectorI12hip_bfloat16lEEZNS1_25segmented_radix_sort_implIS3_Lb1EPKS5_PS5_PKlPlN2at6native12_GLOBAL__N_18offset_tEEE10hipError_tPvRmT1_PNSt15iterator_traitsISL_E10value_typeET2_T3_PNSM_ISR_E10value_typeET4_jRbjT5_SX_jjP12ihipStream_tbEUlT_E1_NS1_11comp_targetILNS1_3genE10ELNS1_11target_archE1201ELNS1_3gpuE5ELNS1_3repE0EEENS1_59segmented_radix_sort_warp_sort_small_config_static_selectorELNS0_4arch9wavefront6targetE0EEEvSL_.has_recursion, 0
	.set _ZN7rocprim17ROCPRIM_400000_NS6detail17trampoline_kernelINS0_14default_configENS1_36segmented_radix_sort_config_selectorI12hip_bfloat16lEEZNS1_25segmented_radix_sort_implIS3_Lb1EPKS5_PS5_PKlPlN2at6native12_GLOBAL__N_18offset_tEEE10hipError_tPvRmT1_PNSt15iterator_traitsISL_E10value_typeET2_T3_PNSM_ISR_E10value_typeET4_jRbjT5_SX_jjP12ihipStream_tbEUlT_E1_NS1_11comp_targetILNS1_3genE10ELNS1_11target_archE1201ELNS1_3gpuE5ELNS1_3repE0EEENS1_59segmented_radix_sort_warp_sort_small_config_static_selectorELNS0_4arch9wavefront6targetE0EEEvSL_.has_indirect_call, 0
	.section	.AMDGPU.csdata,"",@progbits
; Kernel info:
; codeLenInByte = 0
; TotalNumSgprs: 0
; NumVgprs: 0
; ScratchSize: 0
; MemoryBound: 0
; FloatMode: 240
; IeeeMode: 1
; LDSByteSize: 0 bytes/workgroup (compile time only)
; SGPRBlocks: 0
; VGPRBlocks: 0
; NumSGPRsForWavesPerEU: 1
; NumVGPRsForWavesPerEU: 1
; Occupancy: 16
; WaveLimiterHint : 0
; COMPUTE_PGM_RSRC2:SCRATCH_EN: 0
; COMPUTE_PGM_RSRC2:USER_SGPR: 6
; COMPUTE_PGM_RSRC2:TRAP_HANDLER: 0
; COMPUTE_PGM_RSRC2:TGID_X_EN: 1
; COMPUTE_PGM_RSRC2:TGID_Y_EN: 0
; COMPUTE_PGM_RSRC2:TGID_Z_EN: 0
; COMPUTE_PGM_RSRC2:TIDIG_COMP_CNT: 0
	.section	.text._ZN7rocprim17ROCPRIM_400000_NS6detail17trampoline_kernelINS0_14default_configENS1_36segmented_radix_sort_config_selectorI12hip_bfloat16lEEZNS1_25segmented_radix_sort_implIS3_Lb1EPKS5_PS5_PKlPlN2at6native12_GLOBAL__N_18offset_tEEE10hipError_tPvRmT1_PNSt15iterator_traitsISL_E10value_typeET2_T3_PNSM_ISR_E10value_typeET4_jRbjT5_SX_jjP12ihipStream_tbEUlT_E1_NS1_11comp_targetILNS1_3genE10ELNS1_11target_archE1200ELNS1_3gpuE4ELNS1_3repE0EEENS1_59segmented_radix_sort_warp_sort_small_config_static_selectorELNS0_4arch9wavefront6targetE0EEEvSL_,"axG",@progbits,_ZN7rocprim17ROCPRIM_400000_NS6detail17trampoline_kernelINS0_14default_configENS1_36segmented_radix_sort_config_selectorI12hip_bfloat16lEEZNS1_25segmented_radix_sort_implIS3_Lb1EPKS5_PS5_PKlPlN2at6native12_GLOBAL__N_18offset_tEEE10hipError_tPvRmT1_PNSt15iterator_traitsISL_E10value_typeET2_T3_PNSM_ISR_E10value_typeET4_jRbjT5_SX_jjP12ihipStream_tbEUlT_E1_NS1_11comp_targetILNS1_3genE10ELNS1_11target_archE1200ELNS1_3gpuE4ELNS1_3repE0EEENS1_59segmented_radix_sort_warp_sort_small_config_static_selectorELNS0_4arch9wavefront6targetE0EEEvSL_,comdat
	.globl	_ZN7rocprim17ROCPRIM_400000_NS6detail17trampoline_kernelINS0_14default_configENS1_36segmented_radix_sort_config_selectorI12hip_bfloat16lEEZNS1_25segmented_radix_sort_implIS3_Lb1EPKS5_PS5_PKlPlN2at6native12_GLOBAL__N_18offset_tEEE10hipError_tPvRmT1_PNSt15iterator_traitsISL_E10value_typeET2_T3_PNSM_ISR_E10value_typeET4_jRbjT5_SX_jjP12ihipStream_tbEUlT_E1_NS1_11comp_targetILNS1_3genE10ELNS1_11target_archE1200ELNS1_3gpuE4ELNS1_3repE0EEENS1_59segmented_radix_sort_warp_sort_small_config_static_selectorELNS0_4arch9wavefront6targetE0EEEvSL_ ; -- Begin function _ZN7rocprim17ROCPRIM_400000_NS6detail17trampoline_kernelINS0_14default_configENS1_36segmented_radix_sort_config_selectorI12hip_bfloat16lEEZNS1_25segmented_radix_sort_implIS3_Lb1EPKS5_PS5_PKlPlN2at6native12_GLOBAL__N_18offset_tEEE10hipError_tPvRmT1_PNSt15iterator_traitsISL_E10value_typeET2_T3_PNSM_ISR_E10value_typeET4_jRbjT5_SX_jjP12ihipStream_tbEUlT_E1_NS1_11comp_targetILNS1_3genE10ELNS1_11target_archE1200ELNS1_3gpuE4ELNS1_3repE0EEENS1_59segmented_radix_sort_warp_sort_small_config_static_selectorELNS0_4arch9wavefront6targetE0EEEvSL_
	.p2align	8
	.type	_ZN7rocprim17ROCPRIM_400000_NS6detail17trampoline_kernelINS0_14default_configENS1_36segmented_radix_sort_config_selectorI12hip_bfloat16lEEZNS1_25segmented_radix_sort_implIS3_Lb1EPKS5_PS5_PKlPlN2at6native12_GLOBAL__N_18offset_tEEE10hipError_tPvRmT1_PNSt15iterator_traitsISL_E10value_typeET2_T3_PNSM_ISR_E10value_typeET4_jRbjT5_SX_jjP12ihipStream_tbEUlT_E1_NS1_11comp_targetILNS1_3genE10ELNS1_11target_archE1200ELNS1_3gpuE4ELNS1_3repE0EEENS1_59segmented_radix_sort_warp_sort_small_config_static_selectorELNS0_4arch9wavefront6targetE0EEEvSL_,@function
_ZN7rocprim17ROCPRIM_400000_NS6detail17trampoline_kernelINS0_14default_configENS1_36segmented_radix_sort_config_selectorI12hip_bfloat16lEEZNS1_25segmented_radix_sort_implIS3_Lb1EPKS5_PS5_PKlPlN2at6native12_GLOBAL__N_18offset_tEEE10hipError_tPvRmT1_PNSt15iterator_traitsISL_E10value_typeET2_T3_PNSM_ISR_E10value_typeET4_jRbjT5_SX_jjP12ihipStream_tbEUlT_E1_NS1_11comp_targetILNS1_3genE10ELNS1_11target_archE1200ELNS1_3gpuE4ELNS1_3repE0EEENS1_59segmented_radix_sort_warp_sort_small_config_static_selectorELNS0_4arch9wavefront6targetE0EEEvSL_: ; @_ZN7rocprim17ROCPRIM_400000_NS6detail17trampoline_kernelINS0_14default_configENS1_36segmented_radix_sort_config_selectorI12hip_bfloat16lEEZNS1_25segmented_radix_sort_implIS3_Lb1EPKS5_PS5_PKlPlN2at6native12_GLOBAL__N_18offset_tEEE10hipError_tPvRmT1_PNSt15iterator_traitsISL_E10value_typeET2_T3_PNSM_ISR_E10value_typeET4_jRbjT5_SX_jjP12ihipStream_tbEUlT_E1_NS1_11comp_targetILNS1_3genE10ELNS1_11target_archE1200ELNS1_3gpuE4ELNS1_3repE0EEENS1_59segmented_radix_sort_warp_sort_small_config_static_selectorELNS0_4arch9wavefront6targetE0EEEvSL_
; %bb.0:
	.section	.rodata,"a",@progbits
	.p2align	6, 0x0
	.amdhsa_kernel _ZN7rocprim17ROCPRIM_400000_NS6detail17trampoline_kernelINS0_14default_configENS1_36segmented_radix_sort_config_selectorI12hip_bfloat16lEEZNS1_25segmented_radix_sort_implIS3_Lb1EPKS5_PS5_PKlPlN2at6native12_GLOBAL__N_18offset_tEEE10hipError_tPvRmT1_PNSt15iterator_traitsISL_E10value_typeET2_T3_PNSM_ISR_E10value_typeET4_jRbjT5_SX_jjP12ihipStream_tbEUlT_E1_NS1_11comp_targetILNS1_3genE10ELNS1_11target_archE1200ELNS1_3gpuE4ELNS1_3repE0EEENS1_59segmented_radix_sort_warp_sort_small_config_static_selectorELNS0_4arch9wavefront6targetE0EEEvSL_
		.amdhsa_group_segment_fixed_size 0
		.amdhsa_private_segment_fixed_size 0
		.amdhsa_kernarg_size 88
		.amdhsa_user_sgpr_count 6
		.amdhsa_user_sgpr_private_segment_buffer 1
		.amdhsa_user_sgpr_dispatch_ptr 0
		.amdhsa_user_sgpr_queue_ptr 0
		.amdhsa_user_sgpr_kernarg_segment_ptr 1
		.amdhsa_user_sgpr_dispatch_id 0
		.amdhsa_user_sgpr_flat_scratch_init 0
		.amdhsa_user_sgpr_private_segment_size 0
		.amdhsa_wavefront_size32 1
		.amdhsa_uses_dynamic_stack 0
		.amdhsa_system_sgpr_private_segment_wavefront_offset 0
		.amdhsa_system_sgpr_workgroup_id_x 1
		.amdhsa_system_sgpr_workgroup_id_y 0
		.amdhsa_system_sgpr_workgroup_id_z 0
		.amdhsa_system_sgpr_workgroup_info 0
		.amdhsa_system_vgpr_workitem_id 0
		.amdhsa_next_free_vgpr 1
		.amdhsa_next_free_sgpr 1
		.amdhsa_reserve_vcc 0
		.amdhsa_reserve_flat_scratch 0
		.amdhsa_float_round_mode_32 0
		.amdhsa_float_round_mode_16_64 0
		.amdhsa_float_denorm_mode_32 3
		.amdhsa_float_denorm_mode_16_64 3
		.amdhsa_dx10_clamp 1
		.amdhsa_ieee_mode 1
		.amdhsa_fp16_overflow 0
		.amdhsa_workgroup_processor_mode 1
		.amdhsa_memory_ordered 1
		.amdhsa_forward_progress 1
		.amdhsa_shared_vgpr_count 0
		.amdhsa_exception_fp_ieee_invalid_op 0
		.amdhsa_exception_fp_denorm_src 0
		.amdhsa_exception_fp_ieee_div_zero 0
		.amdhsa_exception_fp_ieee_overflow 0
		.amdhsa_exception_fp_ieee_underflow 0
		.amdhsa_exception_fp_ieee_inexact 0
		.amdhsa_exception_int_div_zero 0
	.end_amdhsa_kernel
	.section	.text._ZN7rocprim17ROCPRIM_400000_NS6detail17trampoline_kernelINS0_14default_configENS1_36segmented_radix_sort_config_selectorI12hip_bfloat16lEEZNS1_25segmented_radix_sort_implIS3_Lb1EPKS5_PS5_PKlPlN2at6native12_GLOBAL__N_18offset_tEEE10hipError_tPvRmT1_PNSt15iterator_traitsISL_E10value_typeET2_T3_PNSM_ISR_E10value_typeET4_jRbjT5_SX_jjP12ihipStream_tbEUlT_E1_NS1_11comp_targetILNS1_3genE10ELNS1_11target_archE1200ELNS1_3gpuE4ELNS1_3repE0EEENS1_59segmented_radix_sort_warp_sort_small_config_static_selectorELNS0_4arch9wavefront6targetE0EEEvSL_,"axG",@progbits,_ZN7rocprim17ROCPRIM_400000_NS6detail17trampoline_kernelINS0_14default_configENS1_36segmented_radix_sort_config_selectorI12hip_bfloat16lEEZNS1_25segmented_radix_sort_implIS3_Lb1EPKS5_PS5_PKlPlN2at6native12_GLOBAL__N_18offset_tEEE10hipError_tPvRmT1_PNSt15iterator_traitsISL_E10value_typeET2_T3_PNSM_ISR_E10value_typeET4_jRbjT5_SX_jjP12ihipStream_tbEUlT_E1_NS1_11comp_targetILNS1_3genE10ELNS1_11target_archE1200ELNS1_3gpuE4ELNS1_3repE0EEENS1_59segmented_radix_sort_warp_sort_small_config_static_selectorELNS0_4arch9wavefront6targetE0EEEvSL_,comdat
.Lfunc_end1962:
	.size	_ZN7rocprim17ROCPRIM_400000_NS6detail17trampoline_kernelINS0_14default_configENS1_36segmented_radix_sort_config_selectorI12hip_bfloat16lEEZNS1_25segmented_radix_sort_implIS3_Lb1EPKS5_PS5_PKlPlN2at6native12_GLOBAL__N_18offset_tEEE10hipError_tPvRmT1_PNSt15iterator_traitsISL_E10value_typeET2_T3_PNSM_ISR_E10value_typeET4_jRbjT5_SX_jjP12ihipStream_tbEUlT_E1_NS1_11comp_targetILNS1_3genE10ELNS1_11target_archE1200ELNS1_3gpuE4ELNS1_3repE0EEENS1_59segmented_radix_sort_warp_sort_small_config_static_selectorELNS0_4arch9wavefront6targetE0EEEvSL_, .Lfunc_end1962-_ZN7rocprim17ROCPRIM_400000_NS6detail17trampoline_kernelINS0_14default_configENS1_36segmented_radix_sort_config_selectorI12hip_bfloat16lEEZNS1_25segmented_radix_sort_implIS3_Lb1EPKS5_PS5_PKlPlN2at6native12_GLOBAL__N_18offset_tEEE10hipError_tPvRmT1_PNSt15iterator_traitsISL_E10value_typeET2_T3_PNSM_ISR_E10value_typeET4_jRbjT5_SX_jjP12ihipStream_tbEUlT_E1_NS1_11comp_targetILNS1_3genE10ELNS1_11target_archE1200ELNS1_3gpuE4ELNS1_3repE0EEENS1_59segmented_radix_sort_warp_sort_small_config_static_selectorELNS0_4arch9wavefront6targetE0EEEvSL_
                                        ; -- End function
	.set _ZN7rocprim17ROCPRIM_400000_NS6detail17trampoline_kernelINS0_14default_configENS1_36segmented_radix_sort_config_selectorI12hip_bfloat16lEEZNS1_25segmented_radix_sort_implIS3_Lb1EPKS5_PS5_PKlPlN2at6native12_GLOBAL__N_18offset_tEEE10hipError_tPvRmT1_PNSt15iterator_traitsISL_E10value_typeET2_T3_PNSM_ISR_E10value_typeET4_jRbjT5_SX_jjP12ihipStream_tbEUlT_E1_NS1_11comp_targetILNS1_3genE10ELNS1_11target_archE1200ELNS1_3gpuE4ELNS1_3repE0EEENS1_59segmented_radix_sort_warp_sort_small_config_static_selectorELNS0_4arch9wavefront6targetE0EEEvSL_.num_vgpr, 0
	.set _ZN7rocprim17ROCPRIM_400000_NS6detail17trampoline_kernelINS0_14default_configENS1_36segmented_radix_sort_config_selectorI12hip_bfloat16lEEZNS1_25segmented_radix_sort_implIS3_Lb1EPKS5_PS5_PKlPlN2at6native12_GLOBAL__N_18offset_tEEE10hipError_tPvRmT1_PNSt15iterator_traitsISL_E10value_typeET2_T3_PNSM_ISR_E10value_typeET4_jRbjT5_SX_jjP12ihipStream_tbEUlT_E1_NS1_11comp_targetILNS1_3genE10ELNS1_11target_archE1200ELNS1_3gpuE4ELNS1_3repE0EEENS1_59segmented_radix_sort_warp_sort_small_config_static_selectorELNS0_4arch9wavefront6targetE0EEEvSL_.num_agpr, 0
	.set _ZN7rocprim17ROCPRIM_400000_NS6detail17trampoline_kernelINS0_14default_configENS1_36segmented_radix_sort_config_selectorI12hip_bfloat16lEEZNS1_25segmented_radix_sort_implIS3_Lb1EPKS5_PS5_PKlPlN2at6native12_GLOBAL__N_18offset_tEEE10hipError_tPvRmT1_PNSt15iterator_traitsISL_E10value_typeET2_T3_PNSM_ISR_E10value_typeET4_jRbjT5_SX_jjP12ihipStream_tbEUlT_E1_NS1_11comp_targetILNS1_3genE10ELNS1_11target_archE1200ELNS1_3gpuE4ELNS1_3repE0EEENS1_59segmented_radix_sort_warp_sort_small_config_static_selectorELNS0_4arch9wavefront6targetE0EEEvSL_.numbered_sgpr, 0
	.set _ZN7rocprim17ROCPRIM_400000_NS6detail17trampoline_kernelINS0_14default_configENS1_36segmented_radix_sort_config_selectorI12hip_bfloat16lEEZNS1_25segmented_radix_sort_implIS3_Lb1EPKS5_PS5_PKlPlN2at6native12_GLOBAL__N_18offset_tEEE10hipError_tPvRmT1_PNSt15iterator_traitsISL_E10value_typeET2_T3_PNSM_ISR_E10value_typeET4_jRbjT5_SX_jjP12ihipStream_tbEUlT_E1_NS1_11comp_targetILNS1_3genE10ELNS1_11target_archE1200ELNS1_3gpuE4ELNS1_3repE0EEENS1_59segmented_radix_sort_warp_sort_small_config_static_selectorELNS0_4arch9wavefront6targetE0EEEvSL_.num_named_barrier, 0
	.set _ZN7rocprim17ROCPRIM_400000_NS6detail17trampoline_kernelINS0_14default_configENS1_36segmented_radix_sort_config_selectorI12hip_bfloat16lEEZNS1_25segmented_radix_sort_implIS3_Lb1EPKS5_PS5_PKlPlN2at6native12_GLOBAL__N_18offset_tEEE10hipError_tPvRmT1_PNSt15iterator_traitsISL_E10value_typeET2_T3_PNSM_ISR_E10value_typeET4_jRbjT5_SX_jjP12ihipStream_tbEUlT_E1_NS1_11comp_targetILNS1_3genE10ELNS1_11target_archE1200ELNS1_3gpuE4ELNS1_3repE0EEENS1_59segmented_radix_sort_warp_sort_small_config_static_selectorELNS0_4arch9wavefront6targetE0EEEvSL_.private_seg_size, 0
	.set _ZN7rocprim17ROCPRIM_400000_NS6detail17trampoline_kernelINS0_14default_configENS1_36segmented_radix_sort_config_selectorI12hip_bfloat16lEEZNS1_25segmented_radix_sort_implIS3_Lb1EPKS5_PS5_PKlPlN2at6native12_GLOBAL__N_18offset_tEEE10hipError_tPvRmT1_PNSt15iterator_traitsISL_E10value_typeET2_T3_PNSM_ISR_E10value_typeET4_jRbjT5_SX_jjP12ihipStream_tbEUlT_E1_NS1_11comp_targetILNS1_3genE10ELNS1_11target_archE1200ELNS1_3gpuE4ELNS1_3repE0EEENS1_59segmented_radix_sort_warp_sort_small_config_static_selectorELNS0_4arch9wavefront6targetE0EEEvSL_.uses_vcc, 0
	.set _ZN7rocprim17ROCPRIM_400000_NS6detail17trampoline_kernelINS0_14default_configENS1_36segmented_radix_sort_config_selectorI12hip_bfloat16lEEZNS1_25segmented_radix_sort_implIS3_Lb1EPKS5_PS5_PKlPlN2at6native12_GLOBAL__N_18offset_tEEE10hipError_tPvRmT1_PNSt15iterator_traitsISL_E10value_typeET2_T3_PNSM_ISR_E10value_typeET4_jRbjT5_SX_jjP12ihipStream_tbEUlT_E1_NS1_11comp_targetILNS1_3genE10ELNS1_11target_archE1200ELNS1_3gpuE4ELNS1_3repE0EEENS1_59segmented_radix_sort_warp_sort_small_config_static_selectorELNS0_4arch9wavefront6targetE0EEEvSL_.uses_flat_scratch, 0
	.set _ZN7rocprim17ROCPRIM_400000_NS6detail17trampoline_kernelINS0_14default_configENS1_36segmented_radix_sort_config_selectorI12hip_bfloat16lEEZNS1_25segmented_radix_sort_implIS3_Lb1EPKS5_PS5_PKlPlN2at6native12_GLOBAL__N_18offset_tEEE10hipError_tPvRmT1_PNSt15iterator_traitsISL_E10value_typeET2_T3_PNSM_ISR_E10value_typeET4_jRbjT5_SX_jjP12ihipStream_tbEUlT_E1_NS1_11comp_targetILNS1_3genE10ELNS1_11target_archE1200ELNS1_3gpuE4ELNS1_3repE0EEENS1_59segmented_radix_sort_warp_sort_small_config_static_selectorELNS0_4arch9wavefront6targetE0EEEvSL_.has_dyn_sized_stack, 0
	.set _ZN7rocprim17ROCPRIM_400000_NS6detail17trampoline_kernelINS0_14default_configENS1_36segmented_radix_sort_config_selectorI12hip_bfloat16lEEZNS1_25segmented_radix_sort_implIS3_Lb1EPKS5_PS5_PKlPlN2at6native12_GLOBAL__N_18offset_tEEE10hipError_tPvRmT1_PNSt15iterator_traitsISL_E10value_typeET2_T3_PNSM_ISR_E10value_typeET4_jRbjT5_SX_jjP12ihipStream_tbEUlT_E1_NS1_11comp_targetILNS1_3genE10ELNS1_11target_archE1200ELNS1_3gpuE4ELNS1_3repE0EEENS1_59segmented_radix_sort_warp_sort_small_config_static_selectorELNS0_4arch9wavefront6targetE0EEEvSL_.has_recursion, 0
	.set _ZN7rocprim17ROCPRIM_400000_NS6detail17trampoline_kernelINS0_14default_configENS1_36segmented_radix_sort_config_selectorI12hip_bfloat16lEEZNS1_25segmented_radix_sort_implIS3_Lb1EPKS5_PS5_PKlPlN2at6native12_GLOBAL__N_18offset_tEEE10hipError_tPvRmT1_PNSt15iterator_traitsISL_E10value_typeET2_T3_PNSM_ISR_E10value_typeET4_jRbjT5_SX_jjP12ihipStream_tbEUlT_E1_NS1_11comp_targetILNS1_3genE10ELNS1_11target_archE1200ELNS1_3gpuE4ELNS1_3repE0EEENS1_59segmented_radix_sort_warp_sort_small_config_static_selectorELNS0_4arch9wavefront6targetE0EEEvSL_.has_indirect_call, 0
	.section	.AMDGPU.csdata,"",@progbits
; Kernel info:
; codeLenInByte = 0
; TotalNumSgprs: 0
; NumVgprs: 0
; ScratchSize: 0
; MemoryBound: 0
; FloatMode: 240
; IeeeMode: 1
; LDSByteSize: 0 bytes/workgroup (compile time only)
; SGPRBlocks: 0
; VGPRBlocks: 0
; NumSGPRsForWavesPerEU: 1
; NumVGPRsForWavesPerEU: 1
; Occupancy: 16
; WaveLimiterHint : 0
; COMPUTE_PGM_RSRC2:SCRATCH_EN: 0
; COMPUTE_PGM_RSRC2:USER_SGPR: 6
; COMPUTE_PGM_RSRC2:TRAP_HANDLER: 0
; COMPUTE_PGM_RSRC2:TGID_X_EN: 1
; COMPUTE_PGM_RSRC2:TGID_Y_EN: 0
; COMPUTE_PGM_RSRC2:TGID_Z_EN: 0
; COMPUTE_PGM_RSRC2:TIDIG_COMP_CNT: 0
	.section	.text._ZN7rocprim17ROCPRIM_400000_NS6detail17trampoline_kernelINS0_14default_configENS1_36segmented_radix_sort_config_selectorI12hip_bfloat16lEEZNS1_25segmented_radix_sort_implIS3_Lb1EPKS5_PS5_PKlPlN2at6native12_GLOBAL__N_18offset_tEEE10hipError_tPvRmT1_PNSt15iterator_traitsISL_E10value_typeET2_T3_PNSM_ISR_E10value_typeET4_jRbjT5_SX_jjP12ihipStream_tbEUlT_E1_NS1_11comp_targetILNS1_3genE9ELNS1_11target_archE1100ELNS1_3gpuE3ELNS1_3repE0EEENS1_59segmented_radix_sort_warp_sort_small_config_static_selectorELNS0_4arch9wavefront6targetE0EEEvSL_,"axG",@progbits,_ZN7rocprim17ROCPRIM_400000_NS6detail17trampoline_kernelINS0_14default_configENS1_36segmented_radix_sort_config_selectorI12hip_bfloat16lEEZNS1_25segmented_radix_sort_implIS3_Lb1EPKS5_PS5_PKlPlN2at6native12_GLOBAL__N_18offset_tEEE10hipError_tPvRmT1_PNSt15iterator_traitsISL_E10value_typeET2_T3_PNSM_ISR_E10value_typeET4_jRbjT5_SX_jjP12ihipStream_tbEUlT_E1_NS1_11comp_targetILNS1_3genE9ELNS1_11target_archE1100ELNS1_3gpuE3ELNS1_3repE0EEENS1_59segmented_radix_sort_warp_sort_small_config_static_selectorELNS0_4arch9wavefront6targetE0EEEvSL_,comdat
	.globl	_ZN7rocprim17ROCPRIM_400000_NS6detail17trampoline_kernelINS0_14default_configENS1_36segmented_radix_sort_config_selectorI12hip_bfloat16lEEZNS1_25segmented_radix_sort_implIS3_Lb1EPKS5_PS5_PKlPlN2at6native12_GLOBAL__N_18offset_tEEE10hipError_tPvRmT1_PNSt15iterator_traitsISL_E10value_typeET2_T3_PNSM_ISR_E10value_typeET4_jRbjT5_SX_jjP12ihipStream_tbEUlT_E1_NS1_11comp_targetILNS1_3genE9ELNS1_11target_archE1100ELNS1_3gpuE3ELNS1_3repE0EEENS1_59segmented_radix_sort_warp_sort_small_config_static_selectorELNS0_4arch9wavefront6targetE0EEEvSL_ ; -- Begin function _ZN7rocprim17ROCPRIM_400000_NS6detail17trampoline_kernelINS0_14default_configENS1_36segmented_radix_sort_config_selectorI12hip_bfloat16lEEZNS1_25segmented_radix_sort_implIS3_Lb1EPKS5_PS5_PKlPlN2at6native12_GLOBAL__N_18offset_tEEE10hipError_tPvRmT1_PNSt15iterator_traitsISL_E10value_typeET2_T3_PNSM_ISR_E10value_typeET4_jRbjT5_SX_jjP12ihipStream_tbEUlT_E1_NS1_11comp_targetILNS1_3genE9ELNS1_11target_archE1100ELNS1_3gpuE3ELNS1_3repE0EEENS1_59segmented_radix_sort_warp_sort_small_config_static_selectorELNS0_4arch9wavefront6targetE0EEEvSL_
	.p2align	8
	.type	_ZN7rocprim17ROCPRIM_400000_NS6detail17trampoline_kernelINS0_14default_configENS1_36segmented_radix_sort_config_selectorI12hip_bfloat16lEEZNS1_25segmented_radix_sort_implIS3_Lb1EPKS5_PS5_PKlPlN2at6native12_GLOBAL__N_18offset_tEEE10hipError_tPvRmT1_PNSt15iterator_traitsISL_E10value_typeET2_T3_PNSM_ISR_E10value_typeET4_jRbjT5_SX_jjP12ihipStream_tbEUlT_E1_NS1_11comp_targetILNS1_3genE9ELNS1_11target_archE1100ELNS1_3gpuE3ELNS1_3repE0EEENS1_59segmented_radix_sort_warp_sort_small_config_static_selectorELNS0_4arch9wavefront6targetE0EEEvSL_,@function
_ZN7rocprim17ROCPRIM_400000_NS6detail17trampoline_kernelINS0_14default_configENS1_36segmented_radix_sort_config_selectorI12hip_bfloat16lEEZNS1_25segmented_radix_sort_implIS3_Lb1EPKS5_PS5_PKlPlN2at6native12_GLOBAL__N_18offset_tEEE10hipError_tPvRmT1_PNSt15iterator_traitsISL_E10value_typeET2_T3_PNSM_ISR_E10value_typeET4_jRbjT5_SX_jjP12ihipStream_tbEUlT_E1_NS1_11comp_targetILNS1_3genE9ELNS1_11target_archE1100ELNS1_3gpuE3ELNS1_3repE0EEENS1_59segmented_radix_sort_warp_sort_small_config_static_selectorELNS0_4arch9wavefront6targetE0EEEvSL_: ; @_ZN7rocprim17ROCPRIM_400000_NS6detail17trampoline_kernelINS0_14default_configENS1_36segmented_radix_sort_config_selectorI12hip_bfloat16lEEZNS1_25segmented_radix_sort_implIS3_Lb1EPKS5_PS5_PKlPlN2at6native12_GLOBAL__N_18offset_tEEE10hipError_tPvRmT1_PNSt15iterator_traitsISL_E10value_typeET2_T3_PNSM_ISR_E10value_typeET4_jRbjT5_SX_jjP12ihipStream_tbEUlT_E1_NS1_11comp_targetILNS1_3genE9ELNS1_11target_archE1100ELNS1_3gpuE3ELNS1_3repE0EEENS1_59segmented_radix_sort_warp_sort_small_config_static_selectorELNS0_4arch9wavefront6targetE0EEEvSL_
; %bb.0:
	.section	.rodata,"a",@progbits
	.p2align	6, 0x0
	.amdhsa_kernel _ZN7rocprim17ROCPRIM_400000_NS6detail17trampoline_kernelINS0_14default_configENS1_36segmented_radix_sort_config_selectorI12hip_bfloat16lEEZNS1_25segmented_radix_sort_implIS3_Lb1EPKS5_PS5_PKlPlN2at6native12_GLOBAL__N_18offset_tEEE10hipError_tPvRmT1_PNSt15iterator_traitsISL_E10value_typeET2_T3_PNSM_ISR_E10value_typeET4_jRbjT5_SX_jjP12ihipStream_tbEUlT_E1_NS1_11comp_targetILNS1_3genE9ELNS1_11target_archE1100ELNS1_3gpuE3ELNS1_3repE0EEENS1_59segmented_radix_sort_warp_sort_small_config_static_selectorELNS0_4arch9wavefront6targetE0EEEvSL_
		.amdhsa_group_segment_fixed_size 0
		.amdhsa_private_segment_fixed_size 0
		.amdhsa_kernarg_size 88
		.amdhsa_user_sgpr_count 6
		.amdhsa_user_sgpr_private_segment_buffer 1
		.amdhsa_user_sgpr_dispatch_ptr 0
		.amdhsa_user_sgpr_queue_ptr 0
		.amdhsa_user_sgpr_kernarg_segment_ptr 1
		.amdhsa_user_sgpr_dispatch_id 0
		.amdhsa_user_sgpr_flat_scratch_init 0
		.amdhsa_user_sgpr_private_segment_size 0
		.amdhsa_wavefront_size32 1
		.amdhsa_uses_dynamic_stack 0
		.amdhsa_system_sgpr_private_segment_wavefront_offset 0
		.amdhsa_system_sgpr_workgroup_id_x 1
		.amdhsa_system_sgpr_workgroup_id_y 0
		.amdhsa_system_sgpr_workgroup_id_z 0
		.amdhsa_system_sgpr_workgroup_info 0
		.amdhsa_system_vgpr_workitem_id 0
		.amdhsa_next_free_vgpr 1
		.amdhsa_next_free_sgpr 1
		.amdhsa_reserve_vcc 0
		.amdhsa_reserve_flat_scratch 0
		.amdhsa_float_round_mode_32 0
		.amdhsa_float_round_mode_16_64 0
		.amdhsa_float_denorm_mode_32 3
		.amdhsa_float_denorm_mode_16_64 3
		.amdhsa_dx10_clamp 1
		.amdhsa_ieee_mode 1
		.amdhsa_fp16_overflow 0
		.amdhsa_workgroup_processor_mode 1
		.amdhsa_memory_ordered 1
		.amdhsa_forward_progress 1
		.amdhsa_shared_vgpr_count 0
		.amdhsa_exception_fp_ieee_invalid_op 0
		.amdhsa_exception_fp_denorm_src 0
		.amdhsa_exception_fp_ieee_div_zero 0
		.amdhsa_exception_fp_ieee_overflow 0
		.amdhsa_exception_fp_ieee_underflow 0
		.amdhsa_exception_fp_ieee_inexact 0
		.amdhsa_exception_int_div_zero 0
	.end_amdhsa_kernel
	.section	.text._ZN7rocprim17ROCPRIM_400000_NS6detail17trampoline_kernelINS0_14default_configENS1_36segmented_radix_sort_config_selectorI12hip_bfloat16lEEZNS1_25segmented_radix_sort_implIS3_Lb1EPKS5_PS5_PKlPlN2at6native12_GLOBAL__N_18offset_tEEE10hipError_tPvRmT1_PNSt15iterator_traitsISL_E10value_typeET2_T3_PNSM_ISR_E10value_typeET4_jRbjT5_SX_jjP12ihipStream_tbEUlT_E1_NS1_11comp_targetILNS1_3genE9ELNS1_11target_archE1100ELNS1_3gpuE3ELNS1_3repE0EEENS1_59segmented_radix_sort_warp_sort_small_config_static_selectorELNS0_4arch9wavefront6targetE0EEEvSL_,"axG",@progbits,_ZN7rocprim17ROCPRIM_400000_NS6detail17trampoline_kernelINS0_14default_configENS1_36segmented_radix_sort_config_selectorI12hip_bfloat16lEEZNS1_25segmented_radix_sort_implIS3_Lb1EPKS5_PS5_PKlPlN2at6native12_GLOBAL__N_18offset_tEEE10hipError_tPvRmT1_PNSt15iterator_traitsISL_E10value_typeET2_T3_PNSM_ISR_E10value_typeET4_jRbjT5_SX_jjP12ihipStream_tbEUlT_E1_NS1_11comp_targetILNS1_3genE9ELNS1_11target_archE1100ELNS1_3gpuE3ELNS1_3repE0EEENS1_59segmented_radix_sort_warp_sort_small_config_static_selectorELNS0_4arch9wavefront6targetE0EEEvSL_,comdat
.Lfunc_end1963:
	.size	_ZN7rocprim17ROCPRIM_400000_NS6detail17trampoline_kernelINS0_14default_configENS1_36segmented_radix_sort_config_selectorI12hip_bfloat16lEEZNS1_25segmented_radix_sort_implIS3_Lb1EPKS5_PS5_PKlPlN2at6native12_GLOBAL__N_18offset_tEEE10hipError_tPvRmT1_PNSt15iterator_traitsISL_E10value_typeET2_T3_PNSM_ISR_E10value_typeET4_jRbjT5_SX_jjP12ihipStream_tbEUlT_E1_NS1_11comp_targetILNS1_3genE9ELNS1_11target_archE1100ELNS1_3gpuE3ELNS1_3repE0EEENS1_59segmented_radix_sort_warp_sort_small_config_static_selectorELNS0_4arch9wavefront6targetE0EEEvSL_, .Lfunc_end1963-_ZN7rocprim17ROCPRIM_400000_NS6detail17trampoline_kernelINS0_14default_configENS1_36segmented_radix_sort_config_selectorI12hip_bfloat16lEEZNS1_25segmented_radix_sort_implIS3_Lb1EPKS5_PS5_PKlPlN2at6native12_GLOBAL__N_18offset_tEEE10hipError_tPvRmT1_PNSt15iterator_traitsISL_E10value_typeET2_T3_PNSM_ISR_E10value_typeET4_jRbjT5_SX_jjP12ihipStream_tbEUlT_E1_NS1_11comp_targetILNS1_3genE9ELNS1_11target_archE1100ELNS1_3gpuE3ELNS1_3repE0EEENS1_59segmented_radix_sort_warp_sort_small_config_static_selectorELNS0_4arch9wavefront6targetE0EEEvSL_
                                        ; -- End function
	.set _ZN7rocprim17ROCPRIM_400000_NS6detail17trampoline_kernelINS0_14default_configENS1_36segmented_radix_sort_config_selectorI12hip_bfloat16lEEZNS1_25segmented_radix_sort_implIS3_Lb1EPKS5_PS5_PKlPlN2at6native12_GLOBAL__N_18offset_tEEE10hipError_tPvRmT1_PNSt15iterator_traitsISL_E10value_typeET2_T3_PNSM_ISR_E10value_typeET4_jRbjT5_SX_jjP12ihipStream_tbEUlT_E1_NS1_11comp_targetILNS1_3genE9ELNS1_11target_archE1100ELNS1_3gpuE3ELNS1_3repE0EEENS1_59segmented_radix_sort_warp_sort_small_config_static_selectorELNS0_4arch9wavefront6targetE0EEEvSL_.num_vgpr, 0
	.set _ZN7rocprim17ROCPRIM_400000_NS6detail17trampoline_kernelINS0_14default_configENS1_36segmented_radix_sort_config_selectorI12hip_bfloat16lEEZNS1_25segmented_radix_sort_implIS3_Lb1EPKS5_PS5_PKlPlN2at6native12_GLOBAL__N_18offset_tEEE10hipError_tPvRmT1_PNSt15iterator_traitsISL_E10value_typeET2_T3_PNSM_ISR_E10value_typeET4_jRbjT5_SX_jjP12ihipStream_tbEUlT_E1_NS1_11comp_targetILNS1_3genE9ELNS1_11target_archE1100ELNS1_3gpuE3ELNS1_3repE0EEENS1_59segmented_radix_sort_warp_sort_small_config_static_selectorELNS0_4arch9wavefront6targetE0EEEvSL_.num_agpr, 0
	.set _ZN7rocprim17ROCPRIM_400000_NS6detail17trampoline_kernelINS0_14default_configENS1_36segmented_radix_sort_config_selectorI12hip_bfloat16lEEZNS1_25segmented_radix_sort_implIS3_Lb1EPKS5_PS5_PKlPlN2at6native12_GLOBAL__N_18offset_tEEE10hipError_tPvRmT1_PNSt15iterator_traitsISL_E10value_typeET2_T3_PNSM_ISR_E10value_typeET4_jRbjT5_SX_jjP12ihipStream_tbEUlT_E1_NS1_11comp_targetILNS1_3genE9ELNS1_11target_archE1100ELNS1_3gpuE3ELNS1_3repE0EEENS1_59segmented_radix_sort_warp_sort_small_config_static_selectorELNS0_4arch9wavefront6targetE0EEEvSL_.numbered_sgpr, 0
	.set _ZN7rocprim17ROCPRIM_400000_NS6detail17trampoline_kernelINS0_14default_configENS1_36segmented_radix_sort_config_selectorI12hip_bfloat16lEEZNS1_25segmented_radix_sort_implIS3_Lb1EPKS5_PS5_PKlPlN2at6native12_GLOBAL__N_18offset_tEEE10hipError_tPvRmT1_PNSt15iterator_traitsISL_E10value_typeET2_T3_PNSM_ISR_E10value_typeET4_jRbjT5_SX_jjP12ihipStream_tbEUlT_E1_NS1_11comp_targetILNS1_3genE9ELNS1_11target_archE1100ELNS1_3gpuE3ELNS1_3repE0EEENS1_59segmented_radix_sort_warp_sort_small_config_static_selectorELNS0_4arch9wavefront6targetE0EEEvSL_.num_named_barrier, 0
	.set _ZN7rocprim17ROCPRIM_400000_NS6detail17trampoline_kernelINS0_14default_configENS1_36segmented_radix_sort_config_selectorI12hip_bfloat16lEEZNS1_25segmented_radix_sort_implIS3_Lb1EPKS5_PS5_PKlPlN2at6native12_GLOBAL__N_18offset_tEEE10hipError_tPvRmT1_PNSt15iterator_traitsISL_E10value_typeET2_T3_PNSM_ISR_E10value_typeET4_jRbjT5_SX_jjP12ihipStream_tbEUlT_E1_NS1_11comp_targetILNS1_3genE9ELNS1_11target_archE1100ELNS1_3gpuE3ELNS1_3repE0EEENS1_59segmented_radix_sort_warp_sort_small_config_static_selectorELNS0_4arch9wavefront6targetE0EEEvSL_.private_seg_size, 0
	.set _ZN7rocprim17ROCPRIM_400000_NS6detail17trampoline_kernelINS0_14default_configENS1_36segmented_radix_sort_config_selectorI12hip_bfloat16lEEZNS1_25segmented_radix_sort_implIS3_Lb1EPKS5_PS5_PKlPlN2at6native12_GLOBAL__N_18offset_tEEE10hipError_tPvRmT1_PNSt15iterator_traitsISL_E10value_typeET2_T3_PNSM_ISR_E10value_typeET4_jRbjT5_SX_jjP12ihipStream_tbEUlT_E1_NS1_11comp_targetILNS1_3genE9ELNS1_11target_archE1100ELNS1_3gpuE3ELNS1_3repE0EEENS1_59segmented_radix_sort_warp_sort_small_config_static_selectorELNS0_4arch9wavefront6targetE0EEEvSL_.uses_vcc, 0
	.set _ZN7rocprim17ROCPRIM_400000_NS6detail17trampoline_kernelINS0_14default_configENS1_36segmented_radix_sort_config_selectorI12hip_bfloat16lEEZNS1_25segmented_radix_sort_implIS3_Lb1EPKS5_PS5_PKlPlN2at6native12_GLOBAL__N_18offset_tEEE10hipError_tPvRmT1_PNSt15iterator_traitsISL_E10value_typeET2_T3_PNSM_ISR_E10value_typeET4_jRbjT5_SX_jjP12ihipStream_tbEUlT_E1_NS1_11comp_targetILNS1_3genE9ELNS1_11target_archE1100ELNS1_3gpuE3ELNS1_3repE0EEENS1_59segmented_radix_sort_warp_sort_small_config_static_selectorELNS0_4arch9wavefront6targetE0EEEvSL_.uses_flat_scratch, 0
	.set _ZN7rocprim17ROCPRIM_400000_NS6detail17trampoline_kernelINS0_14default_configENS1_36segmented_radix_sort_config_selectorI12hip_bfloat16lEEZNS1_25segmented_radix_sort_implIS3_Lb1EPKS5_PS5_PKlPlN2at6native12_GLOBAL__N_18offset_tEEE10hipError_tPvRmT1_PNSt15iterator_traitsISL_E10value_typeET2_T3_PNSM_ISR_E10value_typeET4_jRbjT5_SX_jjP12ihipStream_tbEUlT_E1_NS1_11comp_targetILNS1_3genE9ELNS1_11target_archE1100ELNS1_3gpuE3ELNS1_3repE0EEENS1_59segmented_radix_sort_warp_sort_small_config_static_selectorELNS0_4arch9wavefront6targetE0EEEvSL_.has_dyn_sized_stack, 0
	.set _ZN7rocprim17ROCPRIM_400000_NS6detail17trampoline_kernelINS0_14default_configENS1_36segmented_radix_sort_config_selectorI12hip_bfloat16lEEZNS1_25segmented_radix_sort_implIS3_Lb1EPKS5_PS5_PKlPlN2at6native12_GLOBAL__N_18offset_tEEE10hipError_tPvRmT1_PNSt15iterator_traitsISL_E10value_typeET2_T3_PNSM_ISR_E10value_typeET4_jRbjT5_SX_jjP12ihipStream_tbEUlT_E1_NS1_11comp_targetILNS1_3genE9ELNS1_11target_archE1100ELNS1_3gpuE3ELNS1_3repE0EEENS1_59segmented_radix_sort_warp_sort_small_config_static_selectorELNS0_4arch9wavefront6targetE0EEEvSL_.has_recursion, 0
	.set _ZN7rocprim17ROCPRIM_400000_NS6detail17trampoline_kernelINS0_14default_configENS1_36segmented_radix_sort_config_selectorI12hip_bfloat16lEEZNS1_25segmented_radix_sort_implIS3_Lb1EPKS5_PS5_PKlPlN2at6native12_GLOBAL__N_18offset_tEEE10hipError_tPvRmT1_PNSt15iterator_traitsISL_E10value_typeET2_T3_PNSM_ISR_E10value_typeET4_jRbjT5_SX_jjP12ihipStream_tbEUlT_E1_NS1_11comp_targetILNS1_3genE9ELNS1_11target_archE1100ELNS1_3gpuE3ELNS1_3repE0EEENS1_59segmented_radix_sort_warp_sort_small_config_static_selectorELNS0_4arch9wavefront6targetE0EEEvSL_.has_indirect_call, 0
	.section	.AMDGPU.csdata,"",@progbits
; Kernel info:
; codeLenInByte = 0
; TotalNumSgprs: 0
; NumVgprs: 0
; ScratchSize: 0
; MemoryBound: 0
; FloatMode: 240
; IeeeMode: 1
; LDSByteSize: 0 bytes/workgroup (compile time only)
; SGPRBlocks: 0
; VGPRBlocks: 0
; NumSGPRsForWavesPerEU: 1
; NumVGPRsForWavesPerEU: 1
; Occupancy: 16
; WaveLimiterHint : 0
; COMPUTE_PGM_RSRC2:SCRATCH_EN: 0
; COMPUTE_PGM_RSRC2:USER_SGPR: 6
; COMPUTE_PGM_RSRC2:TRAP_HANDLER: 0
; COMPUTE_PGM_RSRC2:TGID_X_EN: 1
; COMPUTE_PGM_RSRC2:TGID_Y_EN: 0
; COMPUTE_PGM_RSRC2:TGID_Z_EN: 0
; COMPUTE_PGM_RSRC2:TIDIG_COMP_CNT: 0
	.text
	.p2align	2                               ; -- Begin function _ZN7rocprim17ROCPRIM_400000_NS6detail26segmented_warp_sort_helperINS1_20WarpSortHelperConfigILj8ELj4ELj256EEE12hip_bfloat16lLi256ELb1EvE4sortIPKS5_PS5_PKlPlEEvT_T0_T1_T2_jjjjRNS6_12storage_typeE
	.type	_ZN7rocprim17ROCPRIM_400000_NS6detail26segmented_warp_sort_helperINS1_20WarpSortHelperConfigILj8ELj4ELj256EEE12hip_bfloat16lLi256ELb1EvE4sortIPKS5_PS5_PKlPlEEvT_T0_T1_T2_jjjjRNS6_12storage_typeE,@function
_ZN7rocprim17ROCPRIM_400000_NS6detail26segmented_warp_sort_helperINS1_20WarpSortHelperConfigILj8ELj4ELj256EEE12hip_bfloat16lLi256ELb1EvE4sortIPKS5_PS5_PKlPlEEvT_T0_T1_T2_jjjjRNS6_12storage_typeE: ; @_ZN7rocprim17ROCPRIM_400000_NS6detail26segmented_warp_sort_helperINS1_20WarpSortHelperConfigILj8ELj4ELj256EEE12hip_bfloat16lLi256ELb1EvE4sortIPKS5_PS5_PKlPlEEvT_T0_T1_T2_jjjjRNS6_12storage_typeE
; %bb.0:
	s_waitcnt vmcnt(0) expcnt(0) lgkmcnt(0)
	v_mov_b32_e32 v11, v9
	v_mbcnt_lo_u32_b32 v9, -1, 0
	v_mov_b32_e32 v34, -1
	v_mov_b32_e32 v35, -1
	v_sub_nc_u32_e32 v11, v11, v8
	v_lshlrev_b32_e32 v32, 2, v9
	v_mov_b32_e32 v9, 0
	v_and_b32_e32 v30, 28, v32
	v_lshlrev_b64 v[27:28], 1, v[8:9]
	v_lshlrev_b32_e32 v29, 1, v30
	v_add_co_u32 v0, vcc_lo, v0, v27
	v_add_co_ci_u32_e64 v1, null, v1, v28, vcc_lo
	v_add_co_u32 v0, vcc_lo, v0, v29
	v_add_co_ci_u32_e64 v1, null, 0, v1, vcc_lo
	v_cmp_lt_u32_e32 vcc_lo, v30, v11
	s_and_saveexec_b32 s4, vcc_lo
	s_cbranch_execz .LBB1964_2
; %bb.1:
	flat_load_ushort v35, v[0:1]
.LBB1964_2:
	s_or_b32 exec_lo, exec_lo, s4
	v_or_b32_e32 v12, 1, v30
	v_cmp_lt_u32_e64 s4, v12, v11
	s_and_saveexec_b32 s5, s4
	s_cbranch_execz .LBB1964_4
; %bb.3:
	flat_load_ushort v34, v[0:1] offset:2
.LBB1964_4:
	s_or_b32 exec_lo, exec_lo, s5
	v_or_b32_e32 v12, 2, v30
	v_mov_b32_e32 v33, -1
	v_mov_b32_e32 v36, -1
	v_cmp_lt_u32_e64 s5, v12, v11
	s_and_saveexec_b32 s6, s5
	s_cbranch_execz .LBB1964_6
; %bb.5:
	flat_load_ushort v36, v[0:1] offset:4
.LBB1964_6:
	s_or_b32 exec_lo, exec_lo, s6
	v_or_b32_e32 v12, 3, v30
	v_cmp_lt_u32_e64 s6, v12, v11
	s_and_saveexec_b32 s7, s6
	s_cbranch_execz .LBB1964_8
; %bb.7:
	flat_load_ushort v33, v[0:1] offset:6
.LBB1964_8:
	s_or_b32 exec_lo, exec_lo, s7
	v_lshlrev_b64 v[0:1], 3, v[8:9]
	v_lshlrev_b32_e32 v8, 3, v30
	v_mov_b32_e32 v11, 0
	; wave barrier
	v_add_co_u32 v4, s7, v4, v0
	v_add_co_ci_u32_e64 v5, null, v5, v1, s7
	v_mov_b32_e32 v12, v11
	v_add_co_u32 v4, s7, v4, v8
	v_add_co_ci_u32_e64 v5, null, 0, v5, s7
	v_mov_b32_e32 v13, v11
	v_mov_b32_e32 v14, v11
	;; [unrolled: 1-line block ×6, first 2 shown]
	s_and_saveexec_b32 s7, vcc_lo
	s_cbranch_execnz .LBB1964_82
; %bb.9:
	s_or_b32 exec_lo, exec_lo, s7
	s_and_saveexec_b32 s7, s4
	s_cbranch_execnz .LBB1964_83
.LBB1964_10:
	s_or_b32 exec_lo, exec_lo, s7
	s_and_saveexec_b32 s7, s5
	s_cbranch_execnz .LBB1964_84
.LBB1964_11:
	s_or_b32 exec_lo, exec_lo, s7
	s_and_saveexec_b32 s7, s6
	s_cbranch_execz .LBB1964_13
.LBB1964_12:
	flat_load_dwordx2 v[17:18], v[4:5] offset:24
.LBB1964_13:
	s_or_b32 exec_lo, exec_lo, s7
	; wave barrier
	s_load_dwordx2 s[10:11], s[8:9], 0x0
	v_mov_b32_e32 v4, 0
	v_bfe_u32 v9, v31, 10, 10
	v_bfe_u32 v19, v31, 20, 10
	s_waitcnt lgkmcnt(0)
	s_cmp_lt_u32 s13, s11
	s_cselect_b32 s7, 14, 20
	s_add_u32 s14, s8, s7
	s_addc_u32 s15, s9, 0
	s_cmp_lt_u32 s12, s10
	global_load_ushort v5, v4, s[14:15]
	s_cselect_b32 s7, 12, 18
	s_add_u32 s8, s8, s7
	s_addc_u32 s9, s9, 0
	global_load_ushort v4, v4, s[8:9]
	s_mov_b32 s9, exec_lo
	s_waitcnt vmcnt(1)
	v_mad_u32_u24 v5, v19, v5, v9
	s_waitcnt vmcnt(0)
	v_mul_lo_u32 v4, v5, v4
	v_and_b32_e32 v5, 0x3ff, v31
	v_add_lshl_u32 v4, v4, v5, 2
	v_cmpx_gt_u32_e32 0x400, v4
	s_cbranch_execz .LBB1964_71
; %bb.14:
	v_lshlrev_b32_e32 v5, 16, v34
	v_add_f32_e32 v9, 0, v5
	v_and_b32_e32 v5, 0x7f800000, v9
	v_cmp_ne_u32_e64 s7, 0x7f800000, v5
                                        ; implicit-def: $vgpr5
	s_and_saveexec_b32 s8, s7
	s_xor_b32 s7, exec_lo, s8
; %bb.15:
	v_bfe_u32 v5, v9, 16, 1
	v_add3_u32 v5, v9, v5, 0x7fff
                                        ; implicit-def: $vgpr9
; %bb.16:
	s_andn2_saveexec_b32 s8, s7
; %bb.17:
	v_mov_b32_e32 v5, 0
	v_or_b32_e32 v19, 0x10000, v9
	v_cmp_eq_u32_sdwa s7, v9, v5 src0_sel:WORD_0 src1_sel:DWORD
	v_cndmask_b32_e64 v5, v19, v9, s7
; %bb.18:
	s_or_b32 exec_lo, exec_lo, s8
	v_lshlrev_b32_e32 v9, 16, v35
	v_add_f32_e32 v9, 0, v9
	v_and_b32_e32 v19, 0x7f800000, v9
	v_cmp_ne_u32_e64 s7, 0x7f800000, v19
                                        ; implicit-def: $vgpr19
	s_and_saveexec_b32 s8, s7
	s_xor_b32 s7, exec_lo, s8
; %bb.19:
	v_bfe_u32 v19, v9, 16, 1
	v_add3_u32 v19, v9, v19, 0x7fff
                                        ; implicit-def: $vgpr9
; %bb.20:
	s_andn2_saveexec_b32 s8, s7
; %bb.21:
	v_mov_b32_e32 v19, 0
	v_or_b32_e32 v20, 0x10000, v9
	v_cmp_eq_u32_sdwa s7, v9, v19 src0_sel:WORD_0 src1_sel:DWORD
	v_cndmask_b32_e64 v19, v20, v9, s7
; %bb.22:
	s_or_b32 exec_lo, exec_lo, s8
	v_lshlrev_b32_e32 v9, 16, v33
	v_add_f32_e32 v9, 0, v9
	v_and_b32_e32 v20, 0x7f800000, v9
	v_cmp_ne_u32_e64 s7, 0x7f800000, v20
                                        ; implicit-def: $vgpr20
	s_and_saveexec_b32 s8, s7
	s_xor_b32 s7, exec_lo, s8
; %bb.23:
	v_bfe_u32 v20, v9, 16, 1
	v_add3_u32 v20, v9, v20, 0x7fff
; %bb.24:
	s_andn2_saveexec_b32 s8, s7
; %bb.25:
	v_mov_b32_e32 v20, 0
	v_or_b32_e32 v21, 0x10000, v9
	v_cmp_eq_u32_sdwa s7, v9, v20 src0_sel:WORD_0 src1_sel:DWORD
	v_cndmask_b32_e64 v20, v21, v9, s7
; %bb.26:
	s_or_b32 exec_lo, exec_lo, s8
	v_lshlrev_b32_e32 v21, 16, v36
	v_add_f32_e32 v31, 0, v21
	v_and_b32_e32 v21, 0x7f800000, v31
	v_cmp_ne_u32_e64 s7, 0x7f800000, v21
                                        ; implicit-def: $vgpr21
	s_and_saveexec_b32 s8, s7
	s_xor_b32 s7, exec_lo, s8
; %bb.27:
	v_bfe_u32 v21, v31, 16, 1
	v_add3_u32 v21, v31, v21, 0x7fff
; %bb.28:
	s_andn2_saveexec_b32 s8, s7
; %bb.29:
	v_mov_b32_e32 v21, 0
	v_or_b32_e32 v22, 0x10000, v31
	v_cmp_eq_u32_sdwa s7, v31, v21 src0_sel:WORD_0 src1_sel:DWORD
	v_cndmask_b32_e64 v21, v22, v31, s7
; %bb.30:
	s_or_b32 exec_lo, exec_lo, s8
	v_cmp_lt_i32_e64 s7, -1, v5
	v_perm_b32 v22, v19, v5, 0x7060302
	v_mov_b32_e32 v26, v18
	v_mov_b32_e32 v25, v17
	v_cndmask_b32_e64 v5, -1, 0xffff8000, s7
	v_cmp_lt_i32_e64 s7, -1, v19
	v_cndmask_b32_e64 v19, -1, 0xffff8000, s7
	v_cmp_lt_i32_e64 s7, -1, v20
	v_perm_b32 v5, v19, v5, 0x5040100
	v_cndmask_b32_e64 v23, -1, 0xffff8000, s7
	v_cmp_lt_i32_e64 s7, -1, v21
	v_perm_b32 v19, v21, v20, 0x7060302
	v_xor_b32_e32 v5, v5, v22
	v_cndmask_b32_e64 v24, -1, 0xffff8000, s7
	v_cmp_gt_u16_sdwa s7, v5, v5 src0_sel:DWORD src1_sel:WORD_1
	v_mov_b32_e32 v5, v36
	v_perm_b32 v20, v24, v23, 0x5040100
	v_mov_b32_e32 v24, v16
	v_mov_b32_e32 v23, v15
	v_cndmask_b32_e64 v22, v14, v12, s7
	v_cndmask_b32_e64 v21, v13, v11, s7
	v_xor_b32_e32 v19, v20, v19
	v_cndmask_b32_e64 v20, v12, v14, s7
	v_cmp_gt_u16_sdwa s10, v19, v19 src0_sel:DWORD src1_sel:WORD_1
	v_cndmask_b32_e64 v19, v11, v13, s7
	s_and_saveexec_b32 s8, s10
	s_cbranch_execz .LBB1964_32
; %bb.31:
	v_mov_b32_e32 v24, v18
	v_mov_b32_e32 v26, v16
	v_mov_b32_e32 v5, v33
	v_mov_b32_e32 v33, v36
	v_mov_b32_e32 v31, v9
	v_mov_b32_e32 v23, v17
	v_mov_b32_e32 v25, v15
.LBB1964_32:
	s_or_b32 exec_lo, exec_lo, s8
	v_and_b32_e32 v9, 0x7f800000, v31
	v_cmp_ne_u32_e64 s8, 0x7f800000, v9
                                        ; implicit-def: $vgpr9
	s_and_saveexec_b32 s10, s8
	s_xor_b32 s8, exec_lo, s10
; %bb.33:
	v_bfe_u32 v9, v31, 16, 1
	v_add3_u32 v9, v31, v9, 0x7fff
; %bb.34:
	s_andn2_saveexec_b32 s10, s8
; %bb.35:
	v_mov_b32_e32 v9, 0
	v_or_b32_e32 v11, 0x10000, v31
	v_cmp_eq_u32_sdwa s8, v31, v9 src0_sel:WORD_0 src1_sel:DWORD
	v_cndmask_b32_e64 v9, v11, v31, s8
; %bb.36:
	s_or_b32 exec_lo, exec_lo, s10
	v_cndmask_b32_e64 v11, v34, v35, s7
	v_lshlrev_b32_e32 v12, 16, v11
	v_add_f32_e32 v12, 0, v12
	v_and_b32_e32 v13, 0x7f800000, v12
	v_cmp_ne_u32_e64 s8, 0x7f800000, v13
                                        ; implicit-def: $vgpr13
	s_and_saveexec_b32 s10, s8
	s_xor_b32 s8, exec_lo, s10
; %bb.37:
	v_bfe_u32 v13, v12, 16, 1
	v_add3_u32 v13, v12, v13, 0x7fff
; %bb.38:
	s_andn2_saveexec_b32 s10, s8
; %bb.39:
	v_mov_b32_e32 v13, 0
	v_or_b32_e32 v14, 0x10000, v12
	v_cmp_eq_u32_sdwa s8, v12, v13 src0_sel:WORD_0 src1_sel:DWORD
	v_cndmask_b32_e64 v13, v14, v12, s8
; %bb.40:
	s_or_b32 exec_lo, exec_lo, s10
	v_cmp_lt_i32_e64 s8, -1, v9
	v_perm_b32 v9, v13, v9, 0x7060302
	v_cndmask_b32_e64 v14, -1, 0xffff8000, s8
	v_cmp_lt_i32_e64 s8, -1, v13
	v_cndmask_b32_e64 v15, -1, 0xffff8000, s8
	v_perm_b32 v13, v15, v14, 0x5040100
	v_xor_b32_e32 v9, v13, v9
	v_cmp_gt_u16_sdwa s10, v9, v9 src0_sel:DWORD src1_sel:WORD_1
	v_mov_b32_e32 v9, v11
	s_and_saveexec_b32 s8, s10
	s_cbranch_execz .LBB1964_42
; %bb.41:
	v_mov_b32_e32 v12, v19
	v_mov_b32_e32 v13, v20
	;; [unrolled: 1-line block ×25, first 2 shown]
.LBB1964_42:
	s_or_b32 exec_lo, exec_lo, s8
	v_and_b32_e32 v11, 0x7f800000, v12
	v_cmp_ne_u32_e64 s8, 0x7f800000, v11
                                        ; implicit-def: $vgpr11
	s_and_saveexec_b32 s10, s8
	s_xor_b32 s8, exec_lo, s10
; %bb.43:
	v_bfe_u32 v11, v12, 16, 1
	v_add3_u32 v11, v12, v11, 0x7fff
                                        ; implicit-def: $vgpr12
; %bb.44:
	s_andn2_saveexec_b32 s10, s8
; %bb.45:
	v_mov_b32_e32 v11, 0
	v_or_b32_e32 v13, 0x10000, v12
	v_cmp_eq_u32_sdwa s8, v12, v11 src0_sel:WORD_0 src1_sel:DWORD
	v_cndmask_b32_e64 v11, v13, v12, s8
; %bb.46:
	s_or_b32 exec_lo, exec_lo, s10
	v_cndmask_b32_e64 v31, v35, v34, s7
	v_lshlrev_b32_e32 v12, 16, v31
	v_add_f32_e32 v13, 0, v12
	v_and_b32_e32 v12, 0x7f800000, v13
	v_cmp_ne_u32_e64 s7, 0x7f800000, v12
                                        ; implicit-def: $vgpr12
	s_and_saveexec_b32 s8, s7
	s_xor_b32 s7, exec_lo, s8
; %bb.47:
	v_bfe_u32 v12, v13, 16, 1
	v_add3_u32 v12, v13, v12, 0x7fff
                                        ; implicit-def: $vgpr13
; %bb.48:
	s_andn2_saveexec_b32 s8, s7
; %bb.49:
	v_mov_b32_e32 v12, 0
	v_or_b32_e32 v14, 0x10000, v13
	v_cmp_eq_u32_sdwa s7, v13, v12 src0_sel:WORD_0 src1_sel:DWORD
	v_cndmask_b32_e64 v12, v14, v13, s7
; %bb.50:
	s_or_b32 exec_lo, exec_lo, s8
	v_lshlrev_b32_e32 v13, 16, v33
	v_add_f32_e32 v34, 0, v13
	v_and_b32_e32 v13, 0x7f800000, v34
	v_cmp_ne_u32_e64 s7, 0x7f800000, v13
                                        ; implicit-def: $vgpr13
	s_and_saveexec_b32 s8, s7
	s_xor_b32 s7, exec_lo, s8
; %bb.51:
	v_bfe_u32 v13, v34, 16, 1
	v_add3_u32 v13, v34, v13, 0x7fff
; %bb.52:
	s_andn2_saveexec_b32 s8, s7
; %bb.53:
	v_mov_b32_e32 v13, 0
	v_or_b32_e32 v14, 0x10000, v34
	v_cmp_eq_u32_sdwa s7, v34, v13 src0_sel:WORD_0 src1_sel:DWORD
	v_cndmask_b32_e64 v13, v14, v34, s7
; %bb.54:
	s_or_b32 exec_lo, exec_lo, s8
	v_lshlrev_b32_e32 v14, 16, v5
	v_add_f32_e32 v35, 0, v14
	v_and_b32_e32 v14, 0x7f800000, v35
	v_cmp_ne_u32_e64 s7, 0x7f800000, v14
                                        ; implicit-def: $vgpr14
	s_and_saveexec_b32 s8, s7
	s_xor_b32 s7, exec_lo, s8
; %bb.55:
	v_bfe_u32 v14, v35, 16, 1
	v_add3_u32 v14, v35, v14, 0x7fff
; %bb.56:
	s_andn2_saveexec_b32 s8, s7
; %bb.57:
	v_mov_b32_e32 v14, 0
	v_or_b32_e32 v15, 0x10000, v35
	v_cmp_eq_u32_sdwa s7, v35, v14 src0_sel:WORD_0 src1_sel:DWORD
	v_cndmask_b32_e64 v14, v15, v35, s7
; %bb.58:
	s_or_b32 exec_lo, exec_lo, s8
	v_cmp_lt_i32_e64 s7, -1, v11
	v_perm_b32 v11, v12, v11, 0x7060302
	v_mov_b32_e32 v17, v25
	v_mov_b32_e32 v18, v26
	v_cndmask_b32_e64 v15, -1, 0xffff8000, s7
	v_cmp_lt_i32_e64 s7, -1, v12
	v_cndmask_b32_e64 v16, -1, 0xffff8000, s7
	v_cmp_lt_i32_e64 s7, -1, v13
	v_perm_b32 v12, v16, v15, 0x5040100
	v_cndmask_b32_e64 v15, -1, 0xffff8000, s7
	v_cmp_lt_i32_e64 s7, -1, v14
	v_xor_b32_e32 v11, v12, v11
	v_perm_b32 v12, v14, v13, 0x7060302
	v_cndmask_b32_e64 v16, -1, 0xffff8000, s7
	v_cmp_gt_u16_sdwa s7, v11, v11 src0_sel:DWORD src1_sel:WORD_1
	v_perm_b32 v13, v16, v15, 0x5040100
	v_mov_b32_e32 v15, v23
	v_mov_b32_e32 v16, v24
	v_cndmask_b32_e64 v14, v22, v20, s7
	v_cndmask_b32_e64 v11, v19, v21, s7
	v_xor_b32_e32 v36, v13, v12
	v_cndmask_b32_e64 v13, v21, v19, s7
	v_cndmask_b32_e64 v12, v20, v22, s7
	v_mov_b32_e32 v19, v5
	v_cmp_gt_u16_sdwa s10, v36, v36 src0_sel:DWORD src1_sel:WORD_1
	s_and_saveexec_b32 s8, s10
	s_cbranch_execz .LBB1964_60
; %bb.59:
	v_mov_b32_e32 v15, v25
	v_mov_b32_e32 v16, v26
	;; [unrolled: 1-line block ×7, first 2 shown]
.LBB1964_60:
	s_or_b32 exec_lo, exec_lo, s8
	v_and_b32_e32 v5, 0x7f800000, v35
	v_cmp_ne_u32_e64 s8, 0x7f800000, v5
                                        ; implicit-def: $vgpr5
	s_and_saveexec_b32 s10, s8
	s_xor_b32 s8, exec_lo, s10
; %bb.61:
	v_bfe_u32 v5, v35, 16, 1
	v_add3_u32 v5, v35, v5, 0x7fff
                                        ; implicit-def: $vgpr35
; %bb.62:
	s_andn2_saveexec_b32 s10, s8
; %bb.63:
	v_mov_b32_e32 v5, 0
	v_or_b32_e32 v20, 0x10000, v35
	v_cmp_eq_u32_sdwa s8, v35, v5 src0_sel:WORD_0 src1_sel:DWORD
	v_cndmask_b32_e64 v5, v20, v35, s8
; %bb.64:
	s_or_b32 exec_lo, exec_lo, s10
	v_cndmask_b32_e64 v34, v9, v31, s7
	v_lshlrev_b32_e32 v20, 16, v34
	v_add_f32_e32 v21, 0, v20
	v_and_b32_e32 v20, 0x7f800000, v21
	v_cmp_ne_u32_e64 s8, 0x7f800000, v20
                                        ; implicit-def: $vgpr20
	s_and_saveexec_b32 s10, s8
	s_xor_b32 s8, exec_lo, s10
; %bb.65:
	v_bfe_u32 v20, v21, 16, 1
	v_add3_u32 v20, v21, v20, 0x7fff
                                        ; implicit-def: $vgpr21
; %bb.66:
	s_andn2_saveexec_b32 s10, s8
; %bb.67:
	v_mov_b32_e32 v20, 0
	v_or_b32_e32 v22, 0x10000, v21
	v_cmp_eq_u32_sdwa s8, v21, v20 src0_sel:WORD_0 src1_sel:DWORD
	v_cndmask_b32_e64 v20, v22, v21, s8
; %bb.68:
	s_or_b32 exec_lo, exec_lo, s10
	v_cmp_lt_i32_e64 s8, -1, v5
	v_perm_b32 v5, v20, v5, 0x7060302
	v_mov_b32_e32 v36, v19
	v_cndmask_b32_e64 v21, -1, 0xffff8000, s8
	v_cmp_lt_i32_e64 s8, -1, v20
	v_cndmask_b32_e64 v22, -1, 0xffff8000, s8
	v_perm_b32 v20, v22, v21, 0x5040100
	v_xor_b32_e32 v5, v20, v5
	v_cmp_gt_u16_sdwa s10, v5, v5 src0_sel:DWORD src1_sel:WORD_1
	s_and_saveexec_b32 s8, s10
	s_cbranch_execz .LBB1964_70
; %bb.69:
	v_mov_b32_e32 v48, v11
	v_mov_b32_e32 v49, v12
	;; [unrolled: 1-line block ×18, first 2 shown]
.LBB1964_70:
	s_or_b32 exec_lo, exec_lo, s8
	v_cndmask_b32_e64 v35, v31, v9, s7
.LBB1964_71:
	s_or_b32 exec_lo, exec_lo, s9
	v_and_b32_e32 v4, 0xffffff80, v4
	v_or_b32_e32 v9, 4, v32
	v_mov_b32_e32 v5, 0
	v_and_b32_e32 v37, 0x78, v32
	s_mov_b32 s8, exec_lo
	v_sub_nc_u32_e64 v19, 0x400, v4 clamp
	v_lshlrev_b64 v[20:21], 3, v[4:5]
	v_lshlrev_b64 v[21:22], 1, v[4:5]
	v_min_u32_e32 v26, v19, v9
	v_and_b32_e32 v9, 4, v32
	v_add_co_u32 v4, null, v10, v20
	v_add_nc_u32_e32 v23, 4, v26
	v_min_u32_e32 v38, v19, v9
	v_add_co_u32 v9, null, v10, v21
	v_add_co_u32 v4, null, 0x800, v4
	v_min_u32_e32 v31, v19, v23
	v_sub_nc_u32_e32 v22, v26, v37
	v_lshl_add_u32 v10, v32, 1, v9
	v_lshl_add_u32 v20, v32, 3, v4
	ds_write_b16 v10, v35
	ds_write_b16 v10, v34 offset:2
	ds_write2_b64 v20, v[11:12], v[13:14] offset1:1
	ds_write_b16 v10, v36 offset:4
	ds_write_b16 v10, v33 offset:6
	ds_write2_b64 v20, v[15:16], v[17:18] offset0:2 offset1:3
	v_sub_nc_u32_e32 v21, v31, v26
	; wave barrier
	v_sub_nc_u32_e64 v39, v38, v21 clamp
	v_min_u32_e32 v21, v38, v22
	v_cmpx_lt_u32_e64 v39, v21
	s_cbranch_execz .LBB1964_86
; %bb.72:
	v_lshlrev_b32_e32 v22, 1, v37
	v_lshlrev_b32_e32 v23, 1, v26
	s_mov_b32 s9, 0
	v_add_co_u32 v22, null, v9, v22
	v_add_co_u32 v23, null, v9, v23
	s_branch .LBB1964_74
.LBB1964_73:                            ;   in Loop: Header=BB1964_74 Depth=1
	s_or_b32 exec_lo, exec_lo, s10
	v_cmp_lt_i32_e64 s7, -1, v25
	v_cndmask_b32_e64 v49, -1, 0xffff8000, s7
	v_cmp_lt_i32_e64 s7, -1, v48
	v_xor_b32_sdwa v25, v49, v25 dst_sel:DWORD dst_unused:UNUSED_PAD src0_sel:DWORD src1_sel:WORD_1
	v_cndmask_b32_e64 v50, -1, 0xffff8000, s7
	v_add_nc_u32_e32 v49, 1, v24
	v_xor_b32_sdwa v48, v50, v48 dst_sel:DWORD dst_unused:UNUSED_PAD src0_sel:DWORD src1_sel:WORD_1
	v_cmp_gt_u16_e64 s7, v25, v48
	v_cndmask_b32_e64 v21, v21, v24, s7
	v_cndmask_b32_e64 v39, v49, v39, s7
	v_cmp_ge_u32_e64 s7, v39, v21
	s_or_b32 s9, s7, s9
	s_andn2_b32 exec_lo, exec_lo, s9
	s_cbranch_execz .LBB1964_85
.LBB1964_74:                            ; =>This Inner Loop Header: Depth=1
	v_add_nc_u32_e32 v25, v21, v39
	v_lshrrev_b32_e32 v24, 1, v25
	v_and_b32_e32 v25, -2, v25
	v_xad_u32 v48, v24, -1, v38
	v_add_nc_u32_e32 v25, v22, v25
	v_lshl_add_u32 v48, v48, 1, v23
	ds_read_u16 v49, v48
	ds_read_u16 v48, v25
	s_waitcnt lgkmcnt(1)
	v_lshlrev_b32_e32 v25, 16, v49
	v_add_f32_e32 v49, 0, v25
	v_and_b32_e32 v25, 0x7f800000, v49
	v_cmp_ne_u32_e64 s7, 0x7f800000, v25
                                        ; implicit-def: $vgpr25
	s_and_saveexec_b32 s10, s7
	s_xor_b32 s7, exec_lo, s10
; %bb.75:                               ;   in Loop: Header=BB1964_74 Depth=1
	v_bfe_u32 v25, v49, 16, 1
	v_add3_u32 v25, v49, v25, 0x7fff
                                        ; implicit-def: $vgpr49
; %bb.76:                               ;   in Loop: Header=BB1964_74 Depth=1
	s_andn2_saveexec_b32 s10, s7
; %bb.77:                               ;   in Loop: Header=BB1964_74 Depth=1
	v_or_b32_e32 v25, 0x10000, v49
	v_cmp_eq_u32_sdwa s7, v49, v5 src0_sel:WORD_0 src1_sel:DWORD
	v_cndmask_b32_e64 v25, v25, v49, s7
; %bb.78:                               ;   in Loop: Header=BB1964_74 Depth=1
	s_or_b32 exec_lo, exec_lo, s10
	s_waitcnt lgkmcnt(0)
	v_lshlrev_b32_e32 v48, 16, v48
	v_add_f32_e32 v49, 0, v48
	v_and_b32_e32 v48, 0x7f800000, v49
	v_cmp_ne_u32_e64 s7, 0x7f800000, v48
                                        ; implicit-def: $vgpr48
	s_and_saveexec_b32 s10, s7
	s_xor_b32 s7, exec_lo, s10
; %bb.79:                               ;   in Loop: Header=BB1964_74 Depth=1
	v_bfe_u32 v48, v49, 16, 1
	v_add3_u32 v48, v49, v48, 0x7fff
                                        ; implicit-def: $vgpr49
; %bb.80:                               ;   in Loop: Header=BB1964_74 Depth=1
	s_andn2_saveexec_b32 s10, s7
	s_cbranch_execz .LBB1964_73
; %bb.81:                               ;   in Loop: Header=BB1964_74 Depth=1
	v_or_b32_e32 v48, 0x10000, v49
	v_cmp_eq_u32_sdwa s7, v49, v5 src0_sel:WORD_0 src1_sel:DWORD
	v_cndmask_b32_e64 v48, v48, v49, s7
	s_branch .LBB1964_73
.LBB1964_82:
	flat_load_dwordx2 v[12:13], v[4:5]
	v_mov_b32_e32 v19, v11
	v_mov_b32_e32 v14, v11
	;; [unrolled: 1-line block ×6, first 2 shown]
	s_waitcnt vmcnt(0) lgkmcnt(0)
	v_mov_b32_e32 v11, v12
	v_mov_b32_e32 v12, v13
	v_mov_b32_e32 v13, v14
	v_mov_b32_e32 v14, v15
	v_mov_b32_e32 v15, v16
	v_mov_b32_e32 v16, v17
	v_mov_b32_e32 v17, v18
	v_mov_b32_e32 v18, v19
	s_or_b32 exec_lo, exec_lo, s7
	s_and_saveexec_b32 s7, s4
	s_cbranch_execz .LBB1964_10
.LBB1964_83:
	flat_load_dwordx2 v[13:14], v[4:5] offset:8
	s_or_b32 exec_lo, exec_lo, s7
	s_and_saveexec_b32 s7, s5
	s_cbranch_execz .LBB1964_11
.LBB1964_84:
	flat_load_dwordx2 v[15:16], v[4:5] offset:16
	s_or_b32 exec_lo, exec_lo, s7
	s_and_saveexec_b32 s7, s6
	s_cbranch_execnz .LBB1964_12
	s_branch .LBB1964_13
.LBB1964_85:
	s_or_b32 exec_lo, exec_lo, s9
.LBB1964_86:
	s_or_b32 exec_lo, exec_lo, s8
	v_add_nc_u32_e32 v38, v26, v38
	v_add_nc_u32_e32 v37, v39, v37
	;; [unrolled: 1-line block ×5, first 2 shown]
	v_sub_nc_u32_e32 v38, v38, v39
	v_cmp_le_u32_e64 s7, v37, v26
	v_add_nc_u32_e32 v24, 16, v20
	v_add_nc_u32_e32 v23, 6, v10
	;; [unrolled: 1-line block ×3, first 2 shown]
	v_cmp_le_u32_e64 s8, v38, v31
	s_or_b32 s7, s7, s8
	s_and_saveexec_b32 s9, s7
	s_cbranch_execz .LBB1964_138
; %bb.87:
	v_cmp_ge_u32_e64 s7, v37, v26
	s_mov_b32 s10, exec_lo
                                        ; implicit-def: $vgpr33
	v_cmpx_lt_u32_e64 v37, v26
; %bb.88:
	v_lshl_add_u32 v11, v37, 1, v9
	ds_read_u16 v33, v11
; %bb.89:
	s_or_b32 exec_lo, exec_lo, s10
	v_cmp_ge_u32_e64 s10, v38, v31
	s_mov_b32 s11, exec_lo
                                        ; implicit-def: $vgpr35
	v_cmpx_lt_u32_e64 v38, v31
; %bb.90:
	v_lshl_add_u32 v11, v38, 1, v9
	ds_read_u16 v35, v11
; %bb.91:
	s_or_b32 exec_lo, exec_lo, s11
	s_nor_b32 s7, s7, s10
	s_and_saveexec_b32 s8, s7
	s_cbranch_execz .LBB1964_101
; %bb.92:
	s_waitcnt lgkmcnt(0)
	v_lshlrev_b32_e32 v11, 16, v35
	v_add_f32_e32 v12, 0, v11
	v_and_b32_e32 v11, 0x7f800000, v12
	v_cmp_ne_u32_e64 s7, 0x7f800000, v11
                                        ; implicit-def: $vgpr11
	s_and_saveexec_b32 s11, s7
	s_xor_b32 s7, exec_lo, s11
; %bb.93:
	v_bfe_u32 v11, v12, 16, 1
	v_add3_u32 v11, v12, v11, 0x7fff
                                        ; implicit-def: $vgpr12
; %bb.94:
	s_andn2_saveexec_b32 s11, s7
; %bb.95:
	v_mov_b32_e32 v11, 0
	v_or_b32_e32 v13, 0x10000, v12
	v_cmp_eq_u32_sdwa s7, v12, v11 src0_sel:WORD_0 src1_sel:DWORD
	v_cndmask_b32_e64 v11, v13, v12, s7
; %bb.96:
	s_or_b32 exec_lo, exec_lo, s11
	v_lshlrev_b32_e32 v12, 16, v33
	v_add_f32_e32 v13, 0, v12
	v_and_b32_e32 v12, 0x7f800000, v13
	v_cmp_ne_u32_e64 s7, 0x7f800000, v12
                                        ; implicit-def: $vgpr12
	s_and_saveexec_b32 s11, s7
	s_xor_b32 s7, exec_lo, s11
; %bb.97:
	v_bfe_u32 v12, v13, 16, 1
	v_add3_u32 v12, v13, v12, 0x7fff
                                        ; implicit-def: $vgpr13
; %bb.98:
	s_andn2_saveexec_b32 s11, s7
; %bb.99:
	v_mov_b32_e32 v12, 0
	v_or_b32_e32 v14, 0x10000, v13
	v_cmp_eq_u32_sdwa s7, v13, v12 src0_sel:WORD_0 src1_sel:DWORD
	v_cndmask_b32_e64 v12, v14, v13, s7
; %bb.100:
	s_or_b32 exec_lo, exec_lo, s11
	v_cmp_lt_i32_e64 s7, -1, v11
	v_perm_b32 v11, v12, v11, 0x7060302
	s_andn2_b32 s10, s10, exec_lo
	v_cndmask_b32_e64 v13, -1, 0xffff8000, s7
	v_cmp_lt_i32_e64 s7, -1, v12
	v_cndmask_b32_e64 v14, -1, 0xffff8000, s7
	v_perm_b32 v12, v14, v13, 0x5040100
	v_xor_b32_e32 v11, v12, v11
	v_cmp_le_u16_sdwa s7, v11, v11 src0_sel:DWORD src1_sel:WORD_1
	s_and_b32 s7, s7, exec_lo
	s_or_b32 s10, s10, s7
.LBB1964_101:
	s_or_b32 exec_lo, exec_lo, s8
	v_cndmask_b32_e64 v11, v38, v37, s10
	v_cndmask_b32_e64 v12, v31, v26, s10
	s_mov_b32 s11, -1
	s_mov_b32 s8, -1
	s_mov_b32 s12, exec_lo
	v_add_nc_u32_e32 v13, 1, v11
	v_add_nc_u32_e32 v12, -1, v12
	v_lshl_add_u32 v11, v11, 3, v4
	v_cndmask_b32_e64 v15, v13, v38, s10
	v_min_u32_e32 v12, v13, v12
	v_cndmask_b32_e64 v16, v37, v13, s10
	v_lshl_add_u32 v12, v12, 1, v9
	ds_read_u16 v14, v12
	ds_read_b64 v[11:12], v11
	s_waitcnt lgkmcnt(1)
	v_cndmask_b32_e64 v34, v14, v35, s10
	v_cndmask_b32_e64 v37, v33, v14, s10
	v_cmpx_lt_u32_e64 v15, v31
	s_cbranch_execz .LBB1964_113
; %bb.102:
	s_mov_b32 s13, 0
	s_mov_b32 s8, exec_lo
	v_cmpx_lt_u32_e64 v16, v26
	s_cbranch_execz .LBB1964_112
; %bb.103:
	v_lshlrev_b32_e32 v13, 16, v34
	v_add_f32_e32 v14, 0, v13
	v_and_b32_e32 v13, 0x7f800000, v14
	v_cmp_ne_u32_e64 s7, 0x7f800000, v13
                                        ; implicit-def: $vgpr13
	s_and_saveexec_b32 s13, s7
	s_xor_b32 s7, exec_lo, s13
; %bb.104:
	v_bfe_u32 v13, v14, 16, 1
	v_add3_u32 v13, v14, v13, 0x7fff
                                        ; implicit-def: $vgpr14
; %bb.105:
	s_andn2_saveexec_b32 s13, s7
; %bb.106:
	v_mov_b32_e32 v13, 0
	v_or_b32_e32 v17, 0x10000, v14
	v_cmp_eq_u32_sdwa s7, v14, v13 src0_sel:WORD_0 src1_sel:DWORD
	v_cndmask_b32_e64 v13, v17, v14, s7
; %bb.107:
	s_or_b32 exec_lo, exec_lo, s13
	v_lshlrev_b32_e32 v14, 16, v37
	v_add_f32_e32 v17, 0, v14
	v_and_b32_e32 v14, 0x7f800000, v17
	v_cmp_ne_u32_e64 s7, 0x7f800000, v14
                                        ; implicit-def: $vgpr14
	s_and_saveexec_b32 s13, s7
	s_xor_b32 s7, exec_lo, s13
; %bb.108:
	v_bfe_u32 v14, v17, 16, 1
	v_add3_u32 v14, v17, v14, 0x7fff
                                        ; implicit-def: $vgpr17
; %bb.109:
	s_andn2_saveexec_b32 s13, s7
; %bb.110:
	v_mov_b32_e32 v14, 0
	v_or_b32_e32 v18, 0x10000, v17
	v_cmp_eq_u32_sdwa s7, v17, v14 src0_sel:WORD_0 src1_sel:DWORD
	v_cndmask_b32_e64 v14, v18, v17, s7
; %bb.111:
	s_or_b32 exec_lo, exec_lo, s13
	v_cmp_lt_i32_e64 s7, -1, v13
	v_perm_b32 v13, v14, v13, 0x7060302
	v_cndmask_b32_e64 v17, -1, 0xffff8000, s7
	v_cmp_lt_i32_e64 s7, -1, v14
	v_cndmask_b32_e64 v18, -1, 0xffff8000, s7
	v_perm_b32 v14, v18, v17, 0x5040100
	v_xor_b32_e32 v13, v14, v13
	v_cmp_le_u16_sdwa s7, v13, v13 src0_sel:DWORD src1_sel:WORD_1
	s_and_b32 s13, s7, exec_lo
.LBB1964_112:
	s_or_b32 exec_lo, exec_lo, s8
	s_orn2_b32 s8, s13, exec_lo
.LBB1964_113:
	s_or_b32 exec_lo, exec_lo, s12
	v_cndmask_b32_e64 v13, v15, v16, s8
	v_cndmask_b32_e64 v14, v31, v26, s8
	s_mov_b32 s12, exec_lo
	v_add_nc_u32_e32 v18, 1, v13
	v_add_nc_u32_e32 v14, -1, v14
	v_lshl_add_u32 v13, v13, 3, v4
	v_cndmask_b32_e64 v17, v18, v15, s8
	v_min_u32_e32 v14, v18, v14
	v_cndmask_b32_e64 v18, v16, v18, s8
	v_lshl_add_u32 v14, v14, 1, v9
	ds_read_u16 v38, v14
	ds_read_b64 v[13:14], v13
	s_waitcnt lgkmcnt(1)
	v_cndmask_b32_e64 v36, v38, v34, s8
	v_cndmask_b32_e64 v38, v37, v38, s8
	v_cmpx_lt_u32_e64 v17, v31
	s_cbranch_execz .LBB1964_125
; %bb.114:
	s_mov_b32 s13, 0
	s_mov_b32 s11, exec_lo
	v_cmpx_lt_u32_e64 v18, v26
	s_cbranch_execz .LBB1964_124
; %bb.115:
	v_lshlrev_b32_e32 v15, 16, v36
	v_add_f32_e32 v16, 0, v15
	v_and_b32_e32 v15, 0x7f800000, v16
	v_cmp_ne_u32_e64 s7, 0x7f800000, v15
                                        ; implicit-def: $vgpr15
	s_and_saveexec_b32 s13, s7
	s_xor_b32 s7, exec_lo, s13
; %bb.116:
	v_bfe_u32 v15, v16, 16, 1
	v_add3_u32 v15, v16, v15, 0x7fff
                                        ; implicit-def: $vgpr16
; %bb.117:
	s_andn2_saveexec_b32 s13, s7
; %bb.118:
	v_mov_b32_e32 v15, 0
	v_or_b32_e32 v39, 0x10000, v16
	v_cmp_eq_u32_sdwa s7, v16, v15 src0_sel:WORD_0 src1_sel:DWORD
	v_cndmask_b32_e64 v15, v39, v16, s7
; %bb.119:
	s_or_b32 exec_lo, exec_lo, s13
	v_lshlrev_b32_e32 v16, 16, v38
	v_add_f32_e32 v39, 0, v16
	v_and_b32_e32 v16, 0x7f800000, v39
	v_cmp_ne_u32_e64 s7, 0x7f800000, v16
                                        ; implicit-def: $vgpr16
	s_and_saveexec_b32 s13, s7
	s_xor_b32 s7, exec_lo, s13
; %bb.120:
	v_bfe_u32 v16, v39, 16, 1
	v_add3_u32 v16, v39, v16, 0x7fff
                                        ; implicit-def: $vgpr39
; %bb.121:
	s_andn2_saveexec_b32 s13, s7
; %bb.122:
	v_mov_b32_e32 v16, 0
	v_or_b32_e32 v48, 0x10000, v39
	v_cmp_eq_u32_sdwa s7, v39, v16 src0_sel:WORD_0 src1_sel:DWORD
	v_cndmask_b32_e64 v16, v48, v39, s7
; %bb.123:
	s_or_b32 exec_lo, exec_lo, s13
	v_cmp_lt_i32_e64 s7, -1, v15
	v_perm_b32 v15, v16, v15, 0x7060302
	v_cndmask_b32_e64 v39, -1, 0xffff8000, s7
	v_cmp_lt_i32_e64 s7, -1, v16
	v_cndmask_b32_e64 v48, -1, 0xffff8000, s7
	v_perm_b32 v16, v48, v39, 0x5040100
	v_xor_b32_e32 v15, v16, v15
	v_cmp_le_u16_sdwa s7, v15, v15 src0_sel:DWORD src1_sel:WORD_1
	s_and_b32 s13, s7, exec_lo
.LBB1964_124:
	s_or_b32 exec_lo, exec_lo, s11
	s_orn2_b32 s11, s13, exec_lo
.LBB1964_125:
	s_or_b32 exec_lo, exec_lo, s12
	v_cndmask_b32_e64 v15, v17, v18, s11
	v_cndmask_b32_e64 v16, v31, v26, s11
	s_mov_b32 s13, -1
	s_mov_b32 s12, exec_lo
	v_add_nc_u32_e32 v39, 1, v15
	v_add_nc_u32_e32 v16, -1, v16
	v_lshl_add_u32 v15, v15, 3, v4
	v_cndmask_b32_e64 v17, v39, v17, s11
	v_min_u32_e32 v16, v39, v16
	v_cndmask_b32_e64 v18, v18, v39, s11
	v_lshl_add_u32 v16, v16, 1, v9
	ds_read_u16 v48, v16
	ds_read_b64 v[15:16], v15
	s_waitcnt lgkmcnt(1)
	v_cndmask_b32_e64 v39, v48, v36, s11
	v_cndmask_b32_e64 v48, v38, v48, s11
	v_cmpx_lt_u32_e64 v17, v31
	s_cbranch_execz .LBB1964_137
; %bb.126:
	s_mov_b32 s14, 0
	s_mov_b32 s13, exec_lo
	v_cmpx_lt_u32_e64 v18, v26
	s_cbranch_execz .LBB1964_136
; %bb.127:
	v_lshlrev_b32_e32 v26, 16, v39
	v_add_f32_e32 v31, 0, v26
	v_and_b32_e32 v26, 0x7f800000, v31
	v_cmp_ne_u32_e64 s7, 0x7f800000, v26
                                        ; implicit-def: $vgpr26
	s_and_saveexec_b32 s14, s7
	s_xor_b32 s7, exec_lo, s14
; %bb.128:
	v_bfe_u32 v26, v31, 16, 1
	v_add3_u32 v26, v31, v26, 0x7fff
                                        ; implicit-def: $vgpr31
; %bb.129:
	s_andn2_saveexec_b32 s14, s7
; %bb.130:
	v_mov_b32_e32 v26, 0
	v_or_b32_e32 v49, 0x10000, v31
	v_cmp_eq_u32_sdwa s7, v31, v26 src0_sel:WORD_0 src1_sel:DWORD
	v_cndmask_b32_e64 v26, v49, v31, s7
; %bb.131:
	s_or_b32 exec_lo, exec_lo, s14
	v_lshlrev_b32_e32 v31, 16, v48
	v_add_f32_e32 v49, 0, v31
	v_and_b32_e32 v31, 0x7f800000, v49
	v_cmp_ne_u32_e64 s7, 0x7f800000, v31
                                        ; implicit-def: $vgpr31
	s_and_saveexec_b32 s14, s7
	s_xor_b32 s7, exec_lo, s14
; %bb.132:
	v_bfe_u32 v31, v49, 16, 1
	v_add3_u32 v31, v49, v31, 0x7fff
                                        ; implicit-def: $vgpr49
; %bb.133:
	s_andn2_saveexec_b32 s14, s7
; %bb.134:
	v_mov_b32_e32 v31, 0
	v_or_b32_e32 v50, 0x10000, v49
	v_cmp_eq_u32_sdwa s7, v49, v31 src0_sel:WORD_0 src1_sel:DWORD
	v_cndmask_b32_e64 v31, v50, v49, s7
; %bb.135:
	s_or_b32 exec_lo, exec_lo, s14
	v_cmp_lt_i32_e64 s7, -1, v26
	v_perm_b32 v26, v31, v26, 0x7060302
	v_cndmask_b32_e64 v49, -1, 0xffff8000, s7
	v_cmp_lt_i32_e64 s7, -1, v31
	v_cndmask_b32_e64 v50, -1, 0xffff8000, s7
	v_perm_b32 v31, v50, v49, 0x5040100
	v_xor_b32_e32 v26, v31, v26
	v_cmp_le_u16_sdwa s7, v26, v26 src0_sel:DWORD src1_sel:WORD_1
	s_and_b32 s14, s7, exec_lo
.LBB1964_136:
	s_or_b32 exec_lo, exec_lo, s13
	s_orn2_b32 s13, s14, exec_lo
.LBB1964_137:
	s_or_b32 exec_lo, exec_lo, s12
	v_cndmask_b32_e64 v17, v17, v18, s13
	v_cndmask_b32_e64 v36, v36, v38, s11
	;; [unrolled: 1-line block ×5, first 2 shown]
	v_lshl_add_u32 v17, v17, 3, v4
	ds_read_b64 v[17:18], v17
.LBB1964_138:
	s_or_b32 exec_lo, exec_lo, s9
	v_and_b32_e32 v37, 0x70, v32
	v_and_b32_e32 v38, 12, v32
	s_mov_b32 s8, exec_lo
	; wave barrier
	v_or_b32_e32 v26, 8, v37
	v_min_u32_e32 v38, v19, v38
	ds_write_b16 v10, v35
	ds_write_b64 v20, v[11:12]
	ds_write_b16 v5, v34
	ds_write_b64 v21, v[13:14]
	ds_write_b16 v22, v36
	s_waitcnt lgkmcnt(6)
	ds_write_b64 v24, v[15:16]
	ds_write_b16 v23, v33
	s_waitcnt lgkmcnt(7)
	ds_write_b64 v25, v[17:18]
	v_min_u32_e32 v26, v19, v26
	; wave barrier
	v_add_nc_u32_e32 v31, 8, v26
	v_sub_nc_u32_e32 v48, v26, v37
	v_min_u32_e32 v31, v19, v31
	v_min_u32_e32 v48, v38, v48
	v_sub_nc_u32_e32 v39, v31, v26
	v_sub_nc_u32_e64 v39, v38, v39 clamp
	v_cmpx_lt_u32_e64 v39, v48
	s_cbranch_execz .LBB1964_150
; %bb.139:
	v_lshlrev_b32_e32 v49, 1, v37
	v_lshlrev_b32_e32 v50, 1, v26
	v_mov_b32_e32 v51, 0
	s_mov_b32 s9, 0
	v_add_co_u32 v49, null, v9, v49
	v_add_co_u32 v50, null, v9, v50
	s_branch .LBB1964_141
.LBB1964_140:                           ;   in Loop: Header=BB1964_141 Depth=1
	s_or_b32 exec_lo, exec_lo, s10
	v_cmp_lt_i32_e64 s7, -1, v53
	v_cndmask_b32_e64 v55, -1, 0xffff8000, s7
	v_cmp_lt_i32_e64 s7, -1, v54
	v_xor_b32_sdwa v53, v55, v53 dst_sel:DWORD dst_unused:UNUSED_PAD src0_sel:DWORD src1_sel:WORD_1
	v_cndmask_b32_e64 v64, -1, 0xffff8000, s7
	v_add_nc_u32_e32 v55, 1, v52
	v_xor_b32_sdwa v54, v64, v54 dst_sel:DWORD dst_unused:UNUSED_PAD src0_sel:DWORD src1_sel:WORD_1
	v_cmp_gt_u16_e64 s7, v53, v54
	v_cndmask_b32_e64 v48, v48, v52, s7
	v_cndmask_b32_e64 v39, v55, v39, s7
	v_cmp_ge_u32_e64 s7, v39, v48
	s_or_b32 s9, s7, s9
	s_andn2_b32 exec_lo, exec_lo, s9
	s_cbranch_execz .LBB1964_149
.LBB1964_141:                           ; =>This Inner Loop Header: Depth=1
	v_add_nc_u32_e32 v53, v48, v39
	v_lshrrev_b32_e32 v52, 1, v53
	v_and_b32_e32 v53, -2, v53
	v_xad_u32 v54, v52, -1, v38
	v_add_nc_u32_e32 v53, v49, v53
	v_lshl_add_u32 v54, v54, 1, v50
	ds_read_u16 v55, v54
	ds_read_u16 v54, v53
	s_waitcnt lgkmcnt(1)
	v_lshlrev_b32_e32 v53, 16, v55
	v_add_f32_e32 v55, 0, v53
	v_and_b32_e32 v53, 0x7f800000, v55
	v_cmp_ne_u32_e64 s7, 0x7f800000, v53
                                        ; implicit-def: $vgpr53
	s_and_saveexec_b32 s10, s7
	s_xor_b32 s7, exec_lo, s10
; %bb.142:                              ;   in Loop: Header=BB1964_141 Depth=1
	v_bfe_u32 v53, v55, 16, 1
	v_add3_u32 v53, v55, v53, 0x7fff
                                        ; implicit-def: $vgpr55
; %bb.143:                              ;   in Loop: Header=BB1964_141 Depth=1
	s_andn2_saveexec_b32 s10, s7
; %bb.144:                              ;   in Loop: Header=BB1964_141 Depth=1
	v_or_b32_e32 v53, 0x10000, v55
	v_cmp_eq_u32_sdwa s7, v55, v51 src0_sel:WORD_0 src1_sel:DWORD
	v_cndmask_b32_e64 v53, v53, v55, s7
; %bb.145:                              ;   in Loop: Header=BB1964_141 Depth=1
	s_or_b32 exec_lo, exec_lo, s10
	s_waitcnt lgkmcnt(0)
	v_lshlrev_b32_e32 v54, 16, v54
	v_add_f32_e32 v55, 0, v54
	v_and_b32_e32 v54, 0x7f800000, v55
	v_cmp_ne_u32_e64 s7, 0x7f800000, v54
                                        ; implicit-def: $vgpr54
	s_and_saveexec_b32 s10, s7
	s_xor_b32 s7, exec_lo, s10
; %bb.146:                              ;   in Loop: Header=BB1964_141 Depth=1
	v_bfe_u32 v54, v55, 16, 1
	v_add3_u32 v54, v55, v54, 0x7fff
                                        ; implicit-def: $vgpr55
; %bb.147:                              ;   in Loop: Header=BB1964_141 Depth=1
	s_andn2_saveexec_b32 s10, s7
	s_cbranch_execz .LBB1964_140
; %bb.148:                              ;   in Loop: Header=BB1964_141 Depth=1
	v_or_b32_e32 v54, 0x10000, v55
	v_cmp_eq_u32_sdwa s7, v55, v51 src0_sel:WORD_0 src1_sel:DWORD
	v_cndmask_b32_e64 v54, v54, v55, s7
	s_branch .LBB1964_140
.LBB1964_149:
	s_or_b32 exec_lo, exec_lo, s9
.LBB1964_150:
	s_or_b32 exec_lo, exec_lo, s8
	v_add_nc_u32_e32 v38, v26, v38
	v_add_nc_u32_e32 v37, v39, v37
	v_sub_nc_u32_e32 v38, v38, v39
	v_cmp_le_u32_e64 s7, v37, v26
	v_cmp_le_u32_e64 s8, v38, v31
	s_or_b32 s7, s7, s8
	s_and_saveexec_b32 s9, s7
	s_cbranch_execz .LBB1964_202
; %bb.151:
	v_cmp_ge_u32_e64 s7, v37, v26
	s_mov_b32 s10, exec_lo
                                        ; implicit-def: $vgpr33
	v_cmpx_lt_u32_e64 v37, v26
; %bb.152:
	v_lshl_add_u32 v11, v37, 1, v9
	ds_read_u16 v33, v11
; %bb.153:
	s_or_b32 exec_lo, exec_lo, s10
	v_cmp_ge_u32_e64 s10, v38, v31
	s_mov_b32 s11, exec_lo
                                        ; implicit-def: $vgpr35
	v_cmpx_lt_u32_e64 v38, v31
; %bb.154:
	v_lshl_add_u32 v11, v38, 1, v9
	ds_read_u16 v35, v11
; %bb.155:
	s_or_b32 exec_lo, exec_lo, s11
	s_nor_b32 s7, s7, s10
	s_and_saveexec_b32 s8, s7
	s_cbranch_execz .LBB1964_165
; %bb.156:
	s_waitcnt lgkmcnt(0)
	v_lshlrev_b32_e32 v11, 16, v35
	v_add_f32_e32 v12, 0, v11
	v_and_b32_e32 v11, 0x7f800000, v12
	v_cmp_ne_u32_e64 s7, 0x7f800000, v11
                                        ; implicit-def: $vgpr11
	s_and_saveexec_b32 s11, s7
	s_xor_b32 s7, exec_lo, s11
; %bb.157:
	v_bfe_u32 v11, v12, 16, 1
	v_add3_u32 v11, v12, v11, 0x7fff
                                        ; implicit-def: $vgpr12
; %bb.158:
	s_andn2_saveexec_b32 s11, s7
; %bb.159:
	v_mov_b32_e32 v11, 0
	v_or_b32_e32 v13, 0x10000, v12
	v_cmp_eq_u32_sdwa s7, v12, v11 src0_sel:WORD_0 src1_sel:DWORD
	v_cndmask_b32_e64 v11, v13, v12, s7
; %bb.160:
	s_or_b32 exec_lo, exec_lo, s11
	v_lshlrev_b32_e32 v12, 16, v33
	v_add_f32_e32 v13, 0, v12
	v_and_b32_e32 v12, 0x7f800000, v13
	v_cmp_ne_u32_e64 s7, 0x7f800000, v12
                                        ; implicit-def: $vgpr12
	s_and_saveexec_b32 s11, s7
	s_xor_b32 s7, exec_lo, s11
; %bb.161:
	v_bfe_u32 v12, v13, 16, 1
	v_add3_u32 v12, v13, v12, 0x7fff
                                        ; implicit-def: $vgpr13
; %bb.162:
	s_andn2_saveexec_b32 s11, s7
; %bb.163:
	v_mov_b32_e32 v12, 0
	v_or_b32_e32 v14, 0x10000, v13
	v_cmp_eq_u32_sdwa s7, v13, v12 src0_sel:WORD_0 src1_sel:DWORD
	v_cndmask_b32_e64 v12, v14, v13, s7
; %bb.164:
	s_or_b32 exec_lo, exec_lo, s11
	v_cmp_lt_i32_e64 s7, -1, v11
	v_perm_b32 v11, v12, v11, 0x7060302
	s_andn2_b32 s10, s10, exec_lo
	v_cndmask_b32_e64 v13, -1, 0xffff8000, s7
	v_cmp_lt_i32_e64 s7, -1, v12
	v_cndmask_b32_e64 v14, -1, 0xffff8000, s7
	v_perm_b32 v12, v14, v13, 0x5040100
	v_xor_b32_e32 v11, v12, v11
	v_cmp_le_u16_sdwa s7, v11, v11 src0_sel:DWORD src1_sel:WORD_1
	s_and_b32 s7, s7, exec_lo
	s_or_b32 s10, s10, s7
.LBB1964_165:
	s_or_b32 exec_lo, exec_lo, s8
	v_cndmask_b32_e64 v11, v38, v37, s10
	v_cndmask_b32_e64 v12, v31, v26, s10
	s_mov_b32 s11, -1
	s_mov_b32 s8, -1
	s_mov_b32 s12, exec_lo
	v_add_nc_u32_e32 v13, 1, v11
	v_add_nc_u32_e32 v12, -1, v12
	v_lshl_add_u32 v11, v11, 3, v4
	v_cndmask_b32_e64 v15, v13, v38, s10
	v_min_u32_e32 v12, v13, v12
	v_cndmask_b32_e64 v16, v37, v13, s10
	v_lshl_add_u32 v12, v12, 1, v9
	ds_read_u16 v14, v12
	ds_read_b64 v[11:12], v11
	s_waitcnt lgkmcnt(1)
	v_cndmask_b32_e64 v34, v14, v35, s10
	v_cndmask_b32_e64 v37, v33, v14, s10
	v_cmpx_lt_u32_e64 v15, v31
	s_cbranch_execz .LBB1964_177
; %bb.166:
	s_mov_b32 s13, 0
	s_mov_b32 s8, exec_lo
	v_cmpx_lt_u32_e64 v16, v26
	s_cbranch_execz .LBB1964_176
; %bb.167:
	v_lshlrev_b32_e32 v13, 16, v34
	v_add_f32_e32 v14, 0, v13
	v_and_b32_e32 v13, 0x7f800000, v14
	v_cmp_ne_u32_e64 s7, 0x7f800000, v13
                                        ; implicit-def: $vgpr13
	s_and_saveexec_b32 s13, s7
	s_xor_b32 s7, exec_lo, s13
; %bb.168:
	v_bfe_u32 v13, v14, 16, 1
	v_add3_u32 v13, v14, v13, 0x7fff
                                        ; implicit-def: $vgpr14
; %bb.169:
	s_andn2_saveexec_b32 s13, s7
; %bb.170:
	v_mov_b32_e32 v13, 0
	v_or_b32_e32 v17, 0x10000, v14
	v_cmp_eq_u32_sdwa s7, v14, v13 src0_sel:WORD_0 src1_sel:DWORD
	v_cndmask_b32_e64 v13, v17, v14, s7
; %bb.171:
	s_or_b32 exec_lo, exec_lo, s13
	v_lshlrev_b32_e32 v14, 16, v37
	v_add_f32_e32 v17, 0, v14
	v_and_b32_e32 v14, 0x7f800000, v17
	v_cmp_ne_u32_e64 s7, 0x7f800000, v14
                                        ; implicit-def: $vgpr14
	s_and_saveexec_b32 s13, s7
	s_xor_b32 s7, exec_lo, s13
; %bb.172:
	v_bfe_u32 v14, v17, 16, 1
	v_add3_u32 v14, v17, v14, 0x7fff
                                        ; implicit-def: $vgpr17
; %bb.173:
	s_andn2_saveexec_b32 s13, s7
; %bb.174:
	v_mov_b32_e32 v14, 0
	v_or_b32_e32 v18, 0x10000, v17
	v_cmp_eq_u32_sdwa s7, v17, v14 src0_sel:WORD_0 src1_sel:DWORD
	v_cndmask_b32_e64 v14, v18, v17, s7
; %bb.175:
	s_or_b32 exec_lo, exec_lo, s13
	v_cmp_lt_i32_e64 s7, -1, v13
	v_perm_b32 v13, v14, v13, 0x7060302
	v_cndmask_b32_e64 v17, -1, 0xffff8000, s7
	v_cmp_lt_i32_e64 s7, -1, v14
	v_cndmask_b32_e64 v18, -1, 0xffff8000, s7
	v_perm_b32 v14, v18, v17, 0x5040100
	v_xor_b32_e32 v13, v14, v13
	v_cmp_le_u16_sdwa s7, v13, v13 src0_sel:DWORD src1_sel:WORD_1
	s_and_b32 s13, s7, exec_lo
.LBB1964_176:
	s_or_b32 exec_lo, exec_lo, s8
	s_orn2_b32 s8, s13, exec_lo
.LBB1964_177:
	s_or_b32 exec_lo, exec_lo, s12
	v_cndmask_b32_e64 v13, v15, v16, s8
	v_cndmask_b32_e64 v14, v31, v26, s8
	s_mov_b32 s12, exec_lo
	v_add_nc_u32_e32 v18, 1, v13
	v_add_nc_u32_e32 v14, -1, v14
	v_lshl_add_u32 v13, v13, 3, v4
	v_cndmask_b32_e64 v17, v18, v15, s8
	v_min_u32_e32 v14, v18, v14
	v_cndmask_b32_e64 v18, v16, v18, s8
	v_lshl_add_u32 v14, v14, 1, v9
	ds_read_u16 v38, v14
	ds_read_b64 v[13:14], v13
	s_waitcnt lgkmcnt(1)
	v_cndmask_b32_e64 v36, v38, v34, s8
	v_cndmask_b32_e64 v38, v37, v38, s8
	v_cmpx_lt_u32_e64 v17, v31
	s_cbranch_execz .LBB1964_189
; %bb.178:
	s_mov_b32 s13, 0
	s_mov_b32 s11, exec_lo
	v_cmpx_lt_u32_e64 v18, v26
	s_cbranch_execz .LBB1964_188
; %bb.179:
	v_lshlrev_b32_e32 v15, 16, v36
	v_add_f32_e32 v16, 0, v15
	v_and_b32_e32 v15, 0x7f800000, v16
	v_cmp_ne_u32_e64 s7, 0x7f800000, v15
                                        ; implicit-def: $vgpr15
	s_and_saveexec_b32 s13, s7
	s_xor_b32 s7, exec_lo, s13
; %bb.180:
	v_bfe_u32 v15, v16, 16, 1
	v_add3_u32 v15, v16, v15, 0x7fff
                                        ; implicit-def: $vgpr16
; %bb.181:
	s_andn2_saveexec_b32 s13, s7
; %bb.182:
	v_mov_b32_e32 v15, 0
	v_or_b32_e32 v39, 0x10000, v16
	v_cmp_eq_u32_sdwa s7, v16, v15 src0_sel:WORD_0 src1_sel:DWORD
	v_cndmask_b32_e64 v15, v39, v16, s7
; %bb.183:
	s_or_b32 exec_lo, exec_lo, s13
	v_lshlrev_b32_e32 v16, 16, v38
	v_add_f32_e32 v39, 0, v16
	v_and_b32_e32 v16, 0x7f800000, v39
	v_cmp_ne_u32_e64 s7, 0x7f800000, v16
                                        ; implicit-def: $vgpr16
	s_and_saveexec_b32 s13, s7
	s_xor_b32 s7, exec_lo, s13
; %bb.184:
	v_bfe_u32 v16, v39, 16, 1
	v_add3_u32 v16, v39, v16, 0x7fff
                                        ; implicit-def: $vgpr39
; %bb.185:
	s_andn2_saveexec_b32 s13, s7
; %bb.186:
	v_mov_b32_e32 v16, 0
	v_or_b32_e32 v48, 0x10000, v39
	v_cmp_eq_u32_sdwa s7, v39, v16 src0_sel:WORD_0 src1_sel:DWORD
	v_cndmask_b32_e64 v16, v48, v39, s7
; %bb.187:
	s_or_b32 exec_lo, exec_lo, s13
	v_cmp_lt_i32_e64 s7, -1, v15
	v_perm_b32 v15, v16, v15, 0x7060302
	v_cndmask_b32_e64 v39, -1, 0xffff8000, s7
	v_cmp_lt_i32_e64 s7, -1, v16
	v_cndmask_b32_e64 v48, -1, 0xffff8000, s7
	v_perm_b32 v16, v48, v39, 0x5040100
	v_xor_b32_e32 v15, v16, v15
	v_cmp_le_u16_sdwa s7, v15, v15 src0_sel:DWORD src1_sel:WORD_1
	s_and_b32 s13, s7, exec_lo
.LBB1964_188:
	s_or_b32 exec_lo, exec_lo, s11
	s_orn2_b32 s11, s13, exec_lo
.LBB1964_189:
	s_or_b32 exec_lo, exec_lo, s12
	v_cndmask_b32_e64 v15, v17, v18, s11
	v_cndmask_b32_e64 v16, v31, v26, s11
	s_mov_b32 s13, -1
	s_mov_b32 s12, exec_lo
	v_add_nc_u32_e32 v39, 1, v15
	v_add_nc_u32_e32 v16, -1, v16
	v_lshl_add_u32 v15, v15, 3, v4
	v_cndmask_b32_e64 v17, v39, v17, s11
	v_min_u32_e32 v16, v39, v16
	v_cndmask_b32_e64 v18, v18, v39, s11
	v_lshl_add_u32 v16, v16, 1, v9
	ds_read_u16 v48, v16
	ds_read_b64 v[15:16], v15
	s_waitcnt lgkmcnt(1)
	v_cndmask_b32_e64 v39, v48, v36, s11
	v_cndmask_b32_e64 v48, v38, v48, s11
	v_cmpx_lt_u32_e64 v17, v31
	s_cbranch_execz .LBB1964_201
; %bb.190:
	s_mov_b32 s14, 0
	s_mov_b32 s13, exec_lo
	v_cmpx_lt_u32_e64 v18, v26
	s_cbranch_execz .LBB1964_200
; %bb.191:
	v_lshlrev_b32_e32 v26, 16, v39
	v_add_f32_e32 v31, 0, v26
	v_and_b32_e32 v26, 0x7f800000, v31
	v_cmp_ne_u32_e64 s7, 0x7f800000, v26
                                        ; implicit-def: $vgpr26
	s_and_saveexec_b32 s14, s7
	s_xor_b32 s7, exec_lo, s14
; %bb.192:
	v_bfe_u32 v26, v31, 16, 1
	v_add3_u32 v26, v31, v26, 0x7fff
                                        ; implicit-def: $vgpr31
; %bb.193:
	s_andn2_saveexec_b32 s14, s7
; %bb.194:
	v_mov_b32_e32 v26, 0
	v_or_b32_e32 v49, 0x10000, v31
	v_cmp_eq_u32_sdwa s7, v31, v26 src0_sel:WORD_0 src1_sel:DWORD
	v_cndmask_b32_e64 v26, v49, v31, s7
; %bb.195:
	s_or_b32 exec_lo, exec_lo, s14
	v_lshlrev_b32_e32 v31, 16, v48
	v_add_f32_e32 v49, 0, v31
	v_and_b32_e32 v31, 0x7f800000, v49
	v_cmp_ne_u32_e64 s7, 0x7f800000, v31
                                        ; implicit-def: $vgpr31
	s_and_saveexec_b32 s14, s7
	s_xor_b32 s7, exec_lo, s14
; %bb.196:
	v_bfe_u32 v31, v49, 16, 1
	v_add3_u32 v31, v49, v31, 0x7fff
                                        ; implicit-def: $vgpr49
; %bb.197:
	s_andn2_saveexec_b32 s14, s7
; %bb.198:
	v_mov_b32_e32 v31, 0
	v_or_b32_e32 v50, 0x10000, v49
	v_cmp_eq_u32_sdwa s7, v49, v31 src0_sel:WORD_0 src1_sel:DWORD
	v_cndmask_b32_e64 v31, v50, v49, s7
; %bb.199:
	s_or_b32 exec_lo, exec_lo, s14
	v_cmp_lt_i32_e64 s7, -1, v26
	v_perm_b32 v26, v31, v26, 0x7060302
	v_cndmask_b32_e64 v49, -1, 0xffff8000, s7
	v_cmp_lt_i32_e64 s7, -1, v31
	v_cndmask_b32_e64 v50, -1, 0xffff8000, s7
	v_perm_b32 v31, v50, v49, 0x5040100
	v_xor_b32_e32 v26, v31, v26
	v_cmp_le_u16_sdwa s7, v26, v26 src0_sel:DWORD src1_sel:WORD_1
	s_and_b32 s14, s7, exec_lo
.LBB1964_200:
	s_or_b32 exec_lo, exec_lo, s13
	s_orn2_b32 s13, s14, exec_lo
.LBB1964_201:
	s_or_b32 exec_lo, exec_lo, s12
	v_cndmask_b32_e64 v17, v17, v18, s13
	v_cndmask_b32_e64 v36, v36, v38, s11
	;; [unrolled: 1-line block ×5, first 2 shown]
	v_lshl_add_u32 v17, v17, 3, v4
	ds_read_b64 v[17:18], v17
.LBB1964_202:
	s_or_b32 exec_lo, exec_lo, s9
	v_and_b32_e32 v32, 0x60, v32
	; wave barrier
	ds_write_b16 v10, v35
	ds_write_b64 v20, v[11:12]
	s_mov_b32 s8, exec_lo
	v_or_b32_e32 v26, 16, v32
	ds_write_b16 v5, v34
	ds_write_b64 v21, v[13:14]
	ds_write_b16 v22, v36
	s_waitcnt lgkmcnt(6)
	ds_write_b64 v24, v[15:16]
	ds_write_b16 v23, v33
	s_waitcnt lgkmcnt(7)
	ds_write_b64 v25, v[17:18]
	; wave barrier
	v_min_u32_e32 v26, v19, v26
	v_add_nc_u32_e32 v31, 16, v26
	v_sub_nc_u32_e32 v37, v26, v32
	v_min_u32_e32 v31, v19, v31
	v_min_u32_e32 v19, v19, v30
	v_sub_nc_u32_e32 v30, v31, v26
	v_min_u32_e32 v20, v19, v37
	v_sub_nc_u32_e64 v10, v19, v30 clamp
	v_cmpx_lt_u32_e64 v10, v20
	s_cbranch_execz .LBB1964_214
; %bb.203:
	v_lshlrev_b32_e32 v5, 1, v32
	v_lshlrev_b32_e32 v21, 1, v26
	v_mov_b32_e32 v22, 0
	s_mov_b32 s9, 0
	v_add_co_u32 v5, null, v9, v5
	v_add_co_u32 v21, null, v9, v21
	s_branch .LBB1964_205
.LBB1964_204:                           ;   in Loop: Header=BB1964_205 Depth=1
	s_or_b32 exec_lo, exec_lo, s10
	v_cmp_lt_i32_e64 s7, -1, v24
	v_cndmask_b32_e64 v30, -1, 0xffff8000, s7
	v_cmp_lt_i32_e64 s7, -1, v25
	v_xor_b32_sdwa v24, v30, v24 dst_sel:DWORD dst_unused:UNUSED_PAD src0_sel:DWORD src1_sel:WORD_1
	v_cndmask_b32_e64 v37, -1, 0xffff8000, s7
	v_add_nc_u32_e32 v30, 1, v23
	v_xor_b32_sdwa v25, v37, v25 dst_sel:DWORD dst_unused:UNUSED_PAD src0_sel:DWORD src1_sel:WORD_1
	v_cmp_gt_u16_e64 s7, v24, v25
	v_cndmask_b32_e64 v20, v20, v23, s7
	v_cndmask_b32_e64 v10, v30, v10, s7
	v_cmp_ge_u32_e64 s7, v10, v20
	s_or_b32 s9, s7, s9
	s_andn2_b32 exec_lo, exec_lo, s9
	s_cbranch_execz .LBB1964_213
.LBB1964_205:                           ; =>This Inner Loop Header: Depth=1
	v_add_nc_u32_e32 v24, v20, v10
	v_lshrrev_b32_e32 v23, 1, v24
	v_and_b32_e32 v24, -2, v24
	v_xad_u32 v25, v23, -1, v19
	v_add_nc_u32_e32 v24, v5, v24
	v_lshl_add_u32 v25, v25, 1, v21
	ds_read_u16 v30, v25
	ds_read_u16 v25, v24
	s_waitcnt lgkmcnt(1)
	v_lshlrev_b32_e32 v24, 16, v30
	v_add_f32_e32 v30, 0, v24
	v_and_b32_e32 v24, 0x7f800000, v30
	v_cmp_ne_u32_e64 s7, 0x7f800000, v24
                                        ; implicit-def: $vgpr24
	s_and_saveexec_b32 s10, s7
	s_xor_b32 s7, exec_lo, s10
; %bb.206:                              ;   in Loop: Header=BB1964_205 Depth=1
	v_bfe_u32 v24, v30, 16, 1
	v_add3_u32 v24, v30, v24, 0x7fff
                                        ; implicit-def: $vgpr30
; %bb.207:                              ;   in Loop: Header=BB1964_205 Depth=1
	s_andn2_saveexec_b32 s10, s7
; %bb.208:                              ;   in Loop: Header=BB1964_205 Depth=1
	v_or_b32_e32 v24, 0x10000, v30
	v_cmp_eq_u32_sdwa s7, v30, v22 src0_sel:WORD_0 src1_sel:DWORD
	v_cndmask_b32_e64 v24, v24, v30, s7
; %bb.209:                              ;   in Loop: Header=BB1964_205 Depth=1
	s_or_b32 exec_lo, exec_lo, s10
	s_waitcnt lgkmcnt(0)
	v_lshlrev_b32_e32 v25, 16, v25
	v_add_f32_e32 v30, 0, v25
	v_and_b32_e32 v25, 0x7f800000, v30
	v_cmp_ne_u32_e64 s7, 0x7f800000, v25
                                        ; implicit-def: $vgpr25
	s_and_saveexec_b32 s10, s7
	s_xor_b32 s7, exec_lo, s10
; %bb.210:                              ;   in Loop: Header=BB1964_205 Depth=1
	v_bfe_u32 v25, v30, 16, 1
	v_add3_u32 v25, v30, v25, 0x7fff
                                        ; implicit-def: $vgpr30
; %bb.211:                              ;   in Loop: Header=BB1964_205 Depth=1
	s_andn2_saveexec_b32 s10, s7
	s_cbranch_execz .LBB1964_204
; %bb.212:                              ;   in Loop: Header=BB1964_205 Depth=1
	v_or_b32_e32 v25, 0x10000, v30
	v_cmp_eq_u32_sdwa s7, v30, v22 src0_sel:WORD_0 src1_sel:DWORD
	v_cndmask_b32_e64 v25, v25, v30, s7
	s_branch .LBB1964_204
.LBB1964_213:
	s_or_b32 exec_lo, exec_lo, s9
.LBB1964_214:
	s_or_b32 exec_lo, exec_lo, s8
	v_add_nc_u32_e32 v5, v26, v19
	v_add_nc_u32_e32 v19, v10, v32
	v_sub_nc_u32_e32 v20, v5, v10
	v_cmp_le_u32_e64 s7, v19, v26
	v_cmp_le_u32_e64 s8, v20, v31
	s_or_b32 s7, s7, s8
	s_and_saveexec_b32 s9, s7
	s_cbranch_execz .LBB1964_266
; %bb.215:
	v_cmp_ge_u32_e64 s7, v19, v26
	s_mov_b32 s10, exec_lo
                                        ; implicit-def: $vgpr5
	v_cmpx_lt_u32_e64 v19, v26
; %bb.216:
	v_lshl_add_u32 v5, v19, 1, v9
	ds_read_u16 v5, v5
; %bb.217:
	s_or_b32 exec_lo, exec_lo, s10
	v_cmp_ge_u32_e64 s10, v20, v31
	s_mov_b32 s11, exec_lo
                                        ; implicit-def: $vgpr10
	v_cmpx_lt_u32_e64 v20, v31
; %bb.218:
	v_lshl_add_u32 v10, v20, 1, v9
	ds_read_u16 v10, v10
; %bb.219:
	s_or_b32 exec_lo, exec_lo, s11
	s_nor_b32 s7, s7, s10
	s_and_saveexec_b32 s8, s7
	s_cbranch_execz .LBB1964_229
; %bb.220:
	s_waitcnt lgkmcnt(0)
	v_lshlrev_b32_e32 v11, 16, v10
	v_add_f32_e32 v12, 0, v11
	v_and_b32_e32 v11, 0x7f800000, v12
	v_cmp_ne_u32_e64 s7, 0x7f800000, v11
                                        ; implicit-def: $vgpr11
	s_and_saveexec_b32 s11, s7
	s_xor_b32 s7, exec_lo, s11
; %bb.221:
	v_bfe_u32 v11, v12, 16, 1
	v_add3_u32 v11, v12, v11, 0x7fff
                                        ; implicit-def: $vgpr12
; %bb.222:
	s_andn2_saveexec_b32 s11, s7
; %bb.223:
	v_mov_b32_e32 v11, 0
	v_or_b32_e32 v13, 0x10000, v12
	v_cmp_eq_u32_sdwa s7, v12, v11 src0_sel:WORD_0 src1_sel:DWORD
	v_cndmask_b32_e64 v11, v13, v12, s7
; %bb.224:
	s_or_b32 exec_lo, exec_lo, s11
	v_lshlrev_b32_e32 v12, 16, v5
	v_add_f32_e32 v13, 0, v12
	v_and_b32_e32 v12, 0x7f800000, v13
	v_cmp_ne_u32_e64 s7, 0x7f800000, v12
                                        ; implicit-def: $vgpr12
	s_and_saveexec_b32 s11, s7
	s_xor_b32 s7, exec_lo, s11
; %bb.225:
	v_bfe_u32 v12, v13, 16, 1
	v_add3_u32 v12, v13, v12, 0x7fff
                                        ; implicit-def: $vgpr13
; %bb.226:
	s_andn2_saveexec_b32 s11, s7
; %bb.227:
	v_mov_b32_e32 v12, 0
	v_or_b32_e32 v14, 0x10000, v13
	v_cmp_eq_u32_sdwa s7, v13, v12 src0_sel:WORD_0 src1_sel:DWORD
	v_cndmask_b32_e64 v12, v14, v13, s7
; %bb.228:
	s_or_b32 exec_lo, exec_lo, s11
	v_cmp_lt_i32_e64 s7, -1, v11
	v_perm_b32 v11, v12, v11, 0x7060302
	s_andn2_b32 s10, s10, exec_lo
	v_cndmask_b32_e64 v13, -1, 0xffff8000, s7
	v_cmp_lt_i32_e64 s7, -1, v12
	v_cndmask_b32_e64 v14, -1, 0xffff8000, s7
	v_perm_b32 v12, v14, v13, 0x5040100
	v_xor_b32_e32 v11, v12, v11
	v_cmp_le_u16_sdwa s7, v11, v11 src0_sel:DWORD src1_sel:WORD_1
	s_and_b32 s7, s7, exec_lo
	s_or_b32 s10, s10, s7
.LBB1964_229:
	s_or_b32 exec_lo, exec_lo, s8
	v_cndmask_b32_e64 v11, v20, v19, s10
	v_cndmask_b32_e64 v12, v31, v26, s10
	s_mov_b32 s11, -1
	s_mov_b32 s8, -1
	s_mov_b32 s12, exec_lo
	v_add_nc_u32_e32 v13, 1, v11
	v_add_nc_u32_e32 v12, -1, v12
	v_lshl_add_u32 v11, v11, 3, v4
	v_cndmask_b32_e64 v15, v13, v20, s10
	v_min_u32_e32 v12, v13, v12
	v_cndmask_b32_e64 v16, v19, v13, s10
	v_lshl_add_u32 v12, v12, 1, v9
	ds_read_u16 v14, v12
	ds_read_b64 v[11:12], v11
	s_waitcnt lgkmcnt(1)
	v_cndmask_b32_e64 v19, v14, v10, s10
	v_cndmask_b32_e64 v20, v5, v14, s10
	v_cmpx_lt_u32_e64 v15, v31
	s_cbranch_execz .LBB1964_241
; %bb.230:
	s_mov_b32 s13, 0
	s_mov_b32 s8, exec_lo
	v_cmpx_lt_u32_e64 v16, v26
	s_cbranch_execz .LBB1964_240
; %bb.231:
	v_lshlrev_b32_e32 v13, 16, v19
	v_add_f32_e32 v14, 0, v13
	v_and_b32_e32 v13, 0x7f800000, v14
	v_cmp_ne_u32_e64 s7, 0x7f800000, v13
                                        ; implicit-def: $vgpr13
	s_and_saveexec_b32 s13, s7
	s_xor_b32 s7, exec_lo, s13
; %bb.232:
	v_bfe_u32 v13, v14, 16, 1
	v_add3_u32 v13, v14, v13, 0x7fff
                                        ; implicit-def: $vgpr14
; %bb.233:
	s_andn2_saveexec_b32 s13, s7
; %bb.234:
	v_mov_b32_e32 v13, 0
	v_or_b32_e32 v17, 0x10000, v14
	v_cmp_eq_u32_sdwa s7, v14, v13 src0_sel:WORD_0 src1_sel:DWORD
	v_cndmask_b32_e64 v13, v17, v14, s7
; %bb.235:
	s_or_b32 exec_lo, exec_lo, s13
	v_lshlrev_b32_e32 v14, 16, v20
	v_add_f32_e32 v17, 0, v14
	v_and_b32_e32 v14, 0x7f800000, v17
	v_cmp_ne_u32_e64 s7, 0x7f800000, v14
                                        ; implicit-def: $vgpr14
	s_and_saveexec_b32 s13, s7
	s_xor_b32 s7, exec_lo, s13
; %bb.236:
	v_bfe_u32 v14, v17, 16, 1
	v_add3_u32 v14, v17, v14, 0x7fff
                                        ; implicit-def: $vgpr17
; %bb.237:
	s_andn2_saveexec_b32 s13, s7
; %bb.238:
	v_mov_b32_e32 v14, 0
	v_or_b32_e32 v18, 0x10000, v17
	v_cmp_eq_u32_sdwa s7, v17, v14 src0_sel:WORD_0 src1_sel:DWORD
	v_cndmask_b32_e64 v14, v18, v17, s7
; %bb.239:
	s_or_b32 exec_lo, exec_lo, s13
	v_cmp_lt_i32_e64 s7, -1, v13
	v_perm_b32 v13, v14, v13, 0x7060302
	v_cndmask_b32_e64 v17, -1, 0xffff8000, s7
	v_cmp_lt_i32_e64 s7, -1, v14
	v_cndmask_b32_e64 v18, -1, 0xffff8000, s7
	v_perm_b32 v14, v18, v17, 0x5040100
	v_xor_b32_e32 v13, v14, v13
	v_cmp_le_u16_sdwa s7, v13, v13 src0_sel:DWORD src1_sel:WORD_1
	s_and_b32 s13, s7, exec_lo
.LBB1964_240:
	s_or_b32 exec_lo, exec_lo, s8
	s_orn2_b32 s8, s13, exec_lo
.LBB1964_241:
	s_or_b32 exec_lo, exec_lo, s12
	v_cndmask_b32_e64 v13, v15, v16, s8
	v_cndmask_b32_e64 v14, v31, v26, s8
	s_mov_b32 s12, exec_lo
	v_add_nc_u32_e32 v18, 1, v13
	v_add_nc_u32_e32 v14, -1, v14
	v_lshl_add_u32 v13, v13, 3, v4
	v_cndmask_b32_e64 v17, v18, v15, s8
	v_min_u32_e32 v14, v18, v14
	v_cndmask_b32_e64 v18, v16, v18, s8
	v_lshl_add_u32 v14, v14, 1, v9
	ds_read_u16 v22, v14
	ds_read_b64 v[13:14], v13
	s_waitcnt lgkmcnt(1)
	v_cndmask_b32_e64 v21, v22, v19, s8
	v_cndmask_b32_e64 v22, v20, v22, s8
	v_cmpx_lt_u32_e64 v17, v31
	s_cbranch_execz .LBB1964_253
; %bb.242:
	s_mov_b32 s13, 0
	s_mov_b32 s11, exec_lo
	v_cmpx_lt_u32_e64 v18, v26
	s_cbranch_execz .LBB1964_252
; %bb.243:
	v_lshlrev_b32_e32 v15, 16, v21
	v_add_f32_e32 v16, 0, v15
	v_and_b32_e32 v15, 0x7f800000, v16
	v_cmp_ne_u32_e64 s7, 0x7f800000, v15
                                        ; implicit-def: $vgpr15
	s_and_saveexec_b32 s13, s7
	s_xor_b32 s7, exec_lo, s13
; %bb.244:
	v_bfe_u32 v15, v16, 16, 1
	v_add3_u32 v15, v16, v15, 0x7fff
                                        ; implicit-def: $vgpr16
; %bb.245:
	s_andn2_saveexec_b32 s13, s7
; %bb.246:
	v_mov_b32_e32 v15, 0
	v_or_b32_e32 v23, 0x10000, v16
	v_cmp_eq_u32_sdwa s7, v16, v15 src0_sel:WORD_0 src1_sel:DWORD
	v_cndmask_b32_e64 v15, v23, v16, s7
; %bb.247:
	s_or_b32 exec_lo, exec_lo, s13
	v_lshlrev_b32_e32 v16, 16, v22
	v_add_f32_e32 v23, 0, v16
	v_and_b32_e32 v16, 0x7f800000, v23
	v_cmp_ne_u32_e64 s7, 0x7f800000, v16
                                        ; implicit-def: $vgpr16
	s_and_saveexec_b32 s13, s7
	s_xor_b32 s7, exec_lo, s13
; %bb.248:
	v_bfe_u32 v16, v23, 16, 1
	v_add3_u32 v16, v23, v16, 0x7fff
                                        ; implicit-def: $vgpr23
; %bb.249:
	s_andn2_saveexec_b32 s13, s7
; %bb.250:
	v_mov_b32_e32 v16, 0
	v_or_b32_e32 v24, 0x10000, v23
	v_cmp_eq_u32_sdwa s7, v23, v16 src0_sel:WORD_0 src1_sel:DWORD
	v_cndmask_b32_e64 v16, v24, v23, s7
; %bb.251:
	s_or_b32 exec_lo, exec_lo, s13
	v_cmp_lt_i32_e64 s7, -1, v15
	v_perm_b32 v15, v16, v15, 0x7060302
	v_cndmask_b32_e64 v23, -1, 0xffff8000, s7
	v_cmp_lt_i32_e64 s7, -1, v16
	v_cndmask_b32_e64 v24, -1, 0xffff8000, s7
	v_perm_b32 v16, v24, v23, 0x5040100
	v_xor_b32_e32 v15, v16, v15
	v_cmp_le_u16_sdwa s7, v15, v15 src0_sel:DWORD src1_sel:WORD_1
	s_and_b32 s13, s7, exec_lo
.LBB1964_252:
	s_or_b32 exec_lo, exec_lo, s11
	s_orn2_b32 s11, s13, exec_lo
.LBB1964_253:
	s_or_b32 exec_lo, exec_lo, s12
	v_cndmask_b32_e64 v15, v17, v18, s11
	v_cndmask_b32_e64 v16, v31, v26, s11
	s_mov_b32 s13, -1
	s_mov_b32 s12, exec_lo
	v_add_nc_u32_e32 v23, 1, v15
	v_add_nc_u32_e32 v16, -1, v16
	v_cndmask_b32_e64 v17, v23, v17, s11
	v_min_u32_e32 v16, v23, v16
	v_cndmask_b32_e64 v18, v18, v23, s11
	v_lshl_add_u32 v9, v16, 1, v9
	ds_read_u16 v24, v9
	v_lshl_add_u32 v9, v15, 3, v4
	ds_read_b64 v[15:16], v9
	s_waitcnt lgkmcnt(1)
	v_cndmask_b32_e64 v9, v24, v21, s11
	v_cndmask_b32_e64 v23, v22, v24, s11
	v_cmpx_lt_u32_e64 v17, v31
	s_cbranch_execz .LBB1964_265
; %bb.254:
	s_mov_b32 s14, 0
	s_mov_b32 s13, exec_lo
	v_cmpx_lt_u32_e64 v18, v26
	s_cbranch_execz .LBB1964_264
; %bb.255:
	v_lshlrev_b32_e32 v24, 16, v9
	v_add_f32_e32 v25, 0, v24
	v_and_b32_e32 v24, 0x7f800000, v25
	v_cmp_ne_u32_e64 s7, 0x7f800000, v24
                                        ; implicit-def: $vgpr24
	s_and_saveexec_b32 s14, s7
	s_xor_b32 s7, exec_lo, s14
; %bb.256:
	v_bfe_u32 v24, v25, 16, 1
	v_add3_u32 v24, v25, v24, 0x7fff
                                        ; implicit-def: $vgpr25
; %bb.257:
	s_andn2_saveexec_b32 s14, s7
; %bb.258:
	v_mov_b32_e32 v24, 0
	v_or_b32_e32 v26, 0x10000, v25
	v_cmp_eq_u32_sdwa s7, v25, v24 src0_sel:WORD_0 src1_sel:DWORD
	v_cndmask_b32_e64 v24, v26, v25, s7
; %bb.259:
	s_or_b32 exec_lo, exec_lo, s14
	v_lshlrev_b32_e32 v25, 16, v23
	v_add_f32_e32 v26, 0, v25
	v_and_b32_e32 v25, 0x7f800000, v26
	v_cmp_ne_u32_e64 s7, 0x7f800000, v25
                                        ; implicit-def: $vgpr25
	s_and_saveexec_b32 s14, s7
	s_xor_b32 s7, exec_lo, s14
; %bb.260:
	v_bfe_u32 v25, v26, 16, 1
	v_add3_u32 v25, v26, v25, 0x7fff
                                        ; implicit-def: $vgpr26
; %bb.261:
	s_andn2_saveexec_b32 s14, s7
; %bb.262:
	v_mov_b32_e32 v25, 0
	v_or_b32_e32 v30, 0x10000, v26
	v_cmp_eq_u32_sdwa s7, v26, v25 src0_sel:WORD_0 src1_sel:DWORD
	v_cndmask_b32_e64 v25, v30, v26, s7
; %bb.263:
	s_or_b32 exec_lo, exec_lo, s14
	v_cmp_lt_i32_e64 s7, -1, v24
	v_perm_b32 v24, v25, v24, 0x7060302
	v_cndmask_b32_e64 v26, -1, 0xffff8000, s7
	v_cmp_lt_i32_e64 s7, -1, v25
	v_cndmask_b32_e64 v30, -1, 0xffff8000, s7
	v_perm_b32 v25, v30, v26, 0x5040100
	v_xor_b32_e32 v24, v25, v24
	v_cmp_le_u16_sdwa s7, v24, v24 src0_sel:DWORD src1_sel:WORD_1
	s_and_b32 s14, s7, exec_lo
.LBB1964_264:
	s_or_b32 exec_lo, exec_lo, s13
	s_orn2_b32 s13, s14, exec_lo
.LBB1964_265:
	s_or_b32 exec_lo, exec_lo, s12
	v_cndmask_b32_e64 v17, v17, v18, s13
	v_cndmask_b32_e64 v36, v21, v22, s11
	;; [unrolled: 1-line block ×5, first 2 shown]
	v_lshl_add_u32 v4, v17, 3, v4
	ds_read_b64 v[17:18], v4
.LBB1964_266:
	s_or_b32 exec_lo, exec_lo, s9
	v_add_co_u32 v2, s7, v2, v27
	v_add_co_ci_u32_e64 v3, null, v3, v28, s7
	v_add_co_u32 v2, s7, v2, v29
	v_add_co_ci_u32_e64 v3, null, 0, v3, s7
	; wave barrier
	s_waitcnt lgkmcnt(0)
	s_waitcnt_vscnt null, 0x0
	s_barrier
	buffer_gl0_inv
	; wave barrier
	s_and_saveexec_b32 s7, vcc_lo
	s_cbranch_execnz .LBB1964_276
; %bb.267:
	s_or_b32 exec_lo, exec_lo, s7
	s_and_saveexec_b32 s7, s4
	s_cbranch_execnz .LBB1964_277
.LBB1964_268:
	s_or_b32 exec_lo, exec_lo, s7
	s_and_saveexec_b32 s7, s5
	s_cbranch_execnz .LBB1964_278
.LBB1964_269:
	s_or_b32 exec_lo, exec_lo, s7
	s_and_saveexec_b32 s7, s6
	s_cbranch_execz .LBB1964_271
.LBB1964_270:
	flat_store_short v[2:3], v33 offset:6
.LBB1964_271:
	s_or_b32 exec_lo, exec_lo, s7
	v_add_co_u32 v0, s7, v6, v0
	v_add_co_ci_u32_e64 v1, null, v7, v1, s7
	v_add_co_u32 v0, s7, v0, v8
	v_add_co_ci_u32_e64 v1, null, 0, v1, s7
	; wave barrier
	s_and_saveexec_b32 s7, vcc_lo
	s_cbranch_execnz .LBB1964_279
; %bb.272:
	s_or_b32 exec_lo, exec_lo, s7
	s_and_saveexec_b32 s7, s4
	s_cbranch_execnz .LBB1964_280
.LBB1964_273:
	s_or_b32 exec_lo, exec_lo, s7
	s_and_saveexec_b32 s4, s5
	s_cbranch_execnz .LBB1964_281
.LBB1964_274:
	s_or_b32 exec_lo, exec_lo, s4
	s_and_saveexec_b32 s4, s6
	s_cbranch_execnz .LBB1964_282
.LBB1964_275:
	s_or_b32 exec_lo, exec_lo, s4
	s_waitcnt lgkmcnt(0)
	s_setpc_b64 s[30:31]
.LBB1964_276:
	flat_store_short v[2:3], v35
	s_or_b32 exec_lo, exec_lo, s7
	s_and_saveexec_b32 s7, s4
	s_cbranch_execz .LBB1964_268
.LBB1964_277:
	flat_store_short v[2:3], v34 offset:2
	s_or_b32 exec_lo, exec_lo, s7
	s_and_saveexec_b32 s7, s5
	s_cbranch_execz .LBB1964_269
.LBB1964_278:
	flat_store_short v[2:3], v36 offset:4
	s_or_b32 exec_lo, exec_lo, s7
	s_and_saveexec_b32 s7, s6
	s_cbranch_execnz .LBB1964_270
	s_branch .LBB1964_271
.LBB1964_279:
	flat_store_dwordx2 v[0:1], v[11:12]
	s_or_b32 exec_lo, exec_lo, s7
	s_and_saveexec_b32 s7, s4
	s_cbranch_execz .LBB1964_273
.LBB1964_280:
	flat_store_dwordx2 v[0:1], v[13:14] offset:8
	s_or_b32 exec_lo, exec_lo, s7
	s_and_saveexec_b32 s4, s5
	s_cbranch_execz .LBB1964_274
.LBB1964_281:
	flat_store_dwordx2 v[0:1], v[15:16] offset:16
	s_or_b32 exec_lo, exec_lo, s4
	s_and_saveexec_b32 s4, s6
	s_cbranch_execz .LBB1964_275
.LBB1964_282:
	flat_store_dwordx2 v[0:1], v[17:18] offset:24
	s_or_b32 exec_lo, exec_lo, s4
	s_waitcnt lgkmcnt(0)
	s_setpc_b64 s[30:31]
.Lfunc_end1964:
	.size	_ZN7rocprim17ROCPRIM_400000_NS6detail26segmented_warp_sort_helperINS1_20WarpSortHelperConfigILj8ELj4ELj256EEE12hip_bfloat16lLi256ELb1EvE4sortIPKS5_PS5_PKlPlEEvT_T0_T1_T2_jjjjRNS6_12storage_typeE, .Lfunc_end1964-_ZN7rocprim17ROCPRIM_400000_NS6detail26segmented_warp_sort_helperINS1_20WarpSortHelperConfigILj8ELj4ELj256EEE12hip_bfloat16lLi256ELb1EvE4sortIPKS5_PS5_PKlPlEEvT_T0_T1_T2_jjjjRNS6_12storage_typeE
                                        ; -- End function
	.set .L_ZN7rocprim17ROCPRIM_400000_NS6detail26segmented_warp_sort_helperINS1_20WarpSortHelperConfigILj8ELj4ELj256EEE12hip_bfloat16lLi256ELb1EvE4sortIPKS5_PS5_PKlPlEEvT_T0_T1_T2_jjjjRNS6_12storage_typeE.num_vgpr, 65
	.set .L_ZN7rocprim17ROCPRIM_400000_NS6detail26segmented_warp_sort_helperINS1_20WarpSortHelperConfigILj8ELj4ELj256EEE12hip_bfloat16lLi256ELb1EvE4sortIPKS5_PS5_PKlPlEEvT_T0_T1_T2_jjjjRNS6_12storage_typeE.num_agpr, 0
	.set .L_ZN7rocprim17ROCPRIM_400000_NS6detail26segmented_warp_sort_helperINS1_20WarpSortHelperConfigILj8ELj4ELj256EEE12hip_bfloat16lLi256ELb1EvE4sortIPKS5_PS5_PKlPlEEvT_T0_T1_T2_jjjjRNS6_12storage_typeE.numbered_sgpr, 32
	.set .L_ZN7rocprim17ROCPRIM_400000_NS6detail26segmented_warp_sort_helperINS1_20WarpSortHelperConfigILj8ELj4ELj256EEE12hip_bfloat16lLi256ELb1EvE4sortIPKS5_PS5_PKlPlEEvT_T0_T1_T2_jjjjRNS6_12storage_typeE.num_named_barrier, 0
	.set .L_ZN7rocprim17ROCPRIM_400000_NS6detail26segmented_warp_sort_helperINS1_20WarpSortHelperConfigILj8ELj4ELj256EEE12hip_bfloat16lLi256ELb1EvE4sortIPKS5_PS5_PKlPlEEvT_T0_T1_T2_jjjjRNS6_12storage_typeE.private_seg_size, 0
	.set .L_ZN7rocprim17ROCPRIM_400000_NS6detail26segmented_warp_sort_helperINS1_20WarpSortHelperConfigILj8ELj4ELj256EEE12hip_bfloat16lLi256ELb1EvE4sortIPKS5_PS5_PKlPlEEvT_T0_T1_T2_jjjjRNS6_12storage_typeE.uses_vcc, 1
	.set .L_ZN7rocprim17ROCPRIM_400000_NS6detail26segmented_warp_sort_helperINS1_20WarpSortHelperConfigILj8ELj4ELj256EEE12hip_bfloat16lLi256ELb1EvE4sortIPKS5_PS5_PKlPlEEvT_T0_T1_T2_jjjjRNS6_12storage_typeE.uses_flat_scratch, 0
	.set .L_ZN7rocprim17ROCPRIM_400000_NS6detail26segmented_warp_sort_helperINS1_20WarpSortHelperConfigILj8ELj4ELj256EEE12hip_bfloat16lLi256ELb1EvE4sortIPKS5_PS5_PKlPlEEvT_T0_T1_T2_jjjjRNS6_12storage_typeE.has_dyn_sized_stack, 0
	.set .L_ZN7rocprim17ROCPRIM_400000_NS6detail26segmented_warp_sort_helperINS1_20WarpSortHelperConfigILj8ELj4ELj256EEE12hip_bfloat16lLi256ELb1EvE4sortIPKS5_PS5_PKlPlEEvT_T0_T1_T2_jjjjRNS6_12storage_typeE.has_recursion, 0
	.set .L_ZN7rocprim17ROCPRIM_400000_NS6detail26segmented_warp_sort_helperINS1_20WarpSortHelperConfigILj8ELj4ELj256EEE12hip_bfloat16lLi256ELb1EvE4sortIPKS5_PS5_PKlPlEEvT_T0_T1_T2_jjjjRNS6_12storage_typeE.has_indirect_call, 0
	.section	.AMDGPU.csdata,"",@progbits
; Function info:
; codeLenInByte = 9688
; TotalNumSgprs: 34
; NumVgprs: 65
; ScratchSize: 0
; MemoryBound: 1
	.section	.text._ZN7rocprim17ROCPRIM_400000_NS6detail17trampoline_kernelINS0_14default_configENS1_36segmented_radix_sort_config_selectorI12hip_bfloat16lEEZNS1_25segmented_radix_sort_implIS3_Lb1EPKS5_PS5_PKlPlN2at6native12_GLOBAL__N_18offset_tEEE10hipError_tPvRmT1_PNSt15iterator_traitsISL_E10value_typeET2_T3_PNSM_ISR_E10value_typeET4_jRbjT5_SX_jjP12ihipStream_tbEUlT_E1_NS1_11comp_targetILNS1_3genE8ELNS1_11target_archE1030ELNS1_3gpuE2ELNS1_3repE0EEENS1_59segmented_radix_sort_warp_sort_small_config_static_selectorELNS0_4arch9wavefront6targetE0EEEvSL_,"axG",@progbits,_ZN7rocprim17ROCPRIM_400000_NS6detail17trampoline_kernelINS0_14default_configENS1_36segmented_radix_sort_config_selectorI12hip_bfloat16lEEZNS1_25segmented_radix_sort_implIS3_Lb1EPKS5_PS5_PKlPlN2at6native12_GLOBAL__N_18offset_tEEE10hipError_tPvRmT1_PNSt15iterator_traitsISL_E10value_typeET2_T3_PNSM_ISR_E10value_typeET4_jRbjT5_SX_jjP12ihipStream_tbEUlT_E1_NS1_11comp_targetILNS1_3genE8ELNS1_11target_archE1030ELNS1_3gpuE2ELNS1_3repE0EEENS1_59segmented_radix_sort_warp_sort_small_config_static_selectorELNS0_4arch9wavefront6targetE0EEEvSL_,comdat
	.globl	_ZN7rocprim17ROCPRIM_400000_NS6detail17trampoline_kernelINS0_14default_configENS1_36segmented_radix_sort_config_selectorI12hip_bfloat16lEEZNS1_25segmented_radix_sort_implIS3_Lb1EPKS5_PS5_PKlPlN2at6native12_GLOBAL__N_18offset_tEEE10hipError_tPvRmT1_PNSt15iterator_traitsISL_E10value_typeET2_T3_PNSM_ISR_E10value_typeET4_jRbjT5_SX_jjP12ihipStream_tbEUlT_E1_NS1_11comp_targetILNS1_3genE8ELNS1_11target_archE1030ELNS1_3gpuE2ELNS1_3repE0EEENS1_59segmented_radix_sort_warp_sort_small_config_static_selectorELNS0_4arch9wavefront6targetE0EEEvSL_ ; -- Begin function _ZN7rocprim17ROCPRIM_400000_NS6detail17trampoline_kernelINS0_14default_configENS1_36segmented_radix_sort_config_selectorI12hip_bfloat16lEEZNS1_25segmented_radix_sort_implIS3_Lb1EPKS5_PS5_PKlPlN2at6native12_GLOBAL__N_18offset_tEEE10hipError_tPvRmT1_PNSt15iterator_traitsISL_E10value_typeET2_T3_PNSM_ISR_E10value_typeET4_jRbjT5_SX_jjP12ihipStream_tbEUlT_E1_NS1_11comp_targetILNS1_3genE8ELNS1_11target_archE1030ELNS1_3gpuE2ELNS1_3repE0EEENS1_59segmented_radix_sort_warp_sort_small_config_static_selectorELNS0_4arch9wavefront6targetE0EEEvSL_
	.p2align	8
	.type	_ZN7rocprim17ROCPRIM_400000_NS6detail17trampoline_kernelINS0_14default_configENS1_36segmented_radix_sort_config_selectorI12hip_bfloat16lEEZNS1_25segmented_radix_sort_implIS3_Lb1EPKS5_PS5_PKlPlN2at6native12_GLOBAL__N_18offset_tEEE10hipError_tPvRmT1_PNSt15iterator_traitsISL_E10value_typeET2_T3_PNSM_ISR_E10value_typeET4_jRbjT5_SX_jjP12ihipStream_tbEUlT_E1_NS1_11comp_targetILNS1_3genE8ELNS1_11target_archE1030ELNS1_3gpuE2ELNS1_3repE0EEENS1_59segmented_radix_sort_warp_sort_small_config_static_selectorELNS0_4arch9wavefront6targetE0EEEvSL_,@function
_ZN7rocprim17ROCPRIM_400000_NS6detail17trampoline_kernelINS0_14default_configENS1_36segmented_radix_sort_config_selectorI12hip_bfloat16lEEZNS1_25segmented_radix_sort_implIS3_Lb1EPKS5_PS5_PKlPlN2at6native12_GLOBAL__N_18offset_tEEE10hipError_tPvRmT1_PNSt15iterator_traitsISL_E10value_typeET2_T3_PNSM_ISR_E10value_typeET4_jRbjT5_SX_jjP12ihipStream_tbEUlT_E1_NS1_11comp_targetILNS1_3genE8ELNS1_11target_archE1030ELNS1_3gpuE2ELNS1_3repE0EEENS1_59segmented_radix_sort_warp_sort_small_config_static_selectorELNS0_4arch9wavefront6targetE0EEEvSL_: ; @_ZN7rocprim17ROCPRIM_400000_NS6detail17trampoline_kernelINS0_14default_configENS1_36segmented_radix_sort_config_selectorI12hip_bfloat16lEEZNS1_25segmented_radix_sort_implIS3_Lb1EPKS5_PS5_PKlPlN2at6native12_GLOBAL__N_18offset_tEEE10hipError_tPvRmT1_PNSt15iterator_traitsISL_E10value_typeET2_T3_PNSM_ISR_E10value_typeET4_jRbjT5_SX_jjP12ihipStream_tbEUlT_E1_NS1_11comp_targetILNS1_3genE8ELNS1_11target_archE1030ELNS1_3gpuE2ELNS1_3repE0EEENS1_59segmented_radix_sort_warp_sort_small_config_static_selectorELNS0_4arch9wavefront6targetE0EEEvSL_
; %bb.0:
	s_add_u32 s0, s0, s8
	s_load_dword s8, s[4:5], 0x64
	s_addc_u32 s1, s1, 0
	s_mov_b32 s32, 0
	s_waitcnt lgkmcnt(0)
	s_lshr_b32 s9, s8, 16
	s_and_b32 s8, s8, 0xffff
	v_mad_u32_u24 v3, v2, s9, v1
	s_load_dword s9, s[4:5], 0x34
	v_mad_u64_u32 v[3:4], null, v3, s8, v[0:1]
	s_mov_b32 s8, exec_lo
	v_lshrrev_b32_e32 v3, 3, v3
	v_lshl_add_u32 v3, s6, 5, v3
	s_waitcnt lgkmcnt(0)
	v_cmpx_gt_u32_e64 s9, v3
	s_cbranch_execz .LBB1965_6
; %bb.1:
	s_clause 0x1
	s_load_dwordx2 s[12:13], s[4:5], 0x38
	s_load_dwordx4 s[8:11], s[4:5], 0x40
	v_mov_b32_e32 v4, 0
	v_lshlrev_b64 v[3:4], 2, v[3:4]
	s_waitcnt lgkmcnt(0)
	v_sub_co_u32 v3, vcc_lo, s12, v3
	v_sub_co_ci_u32_e64 v4, null, s13, v4, vcc_lo
	global_load_dword v3, v[3:4], off offset:-4
	s_waitcnt vmcnt(0)
	v_add_nc_u32_e32 v4, s9, v3
	v_add_nc_u32_e32 v3, s11, v3
	v_mul_lo_u32 v40, v4, s8
	v_mul_lo_u32 v41, v3, s10
	v_cmp_gt_u32_e32 vcc_lo, v41, v40
	s_and_b32 exec_lo, exec_lo, vcc_lo
	s_cbranch_execz .LBB1965_6
; %bb.2:
	s_clause 0x2
	s_load_dword s8, s[4:5], 0x30
	s_load_dwordx4 s[24:27], s[4:5], 0x20
	s_load_dwordx8 s[16:23], s[4:5], 0x0
	v_lshlrev_b32_e32 v43, 20, v2
	v_lshlrev_b32_e32 v44, 10, v1
	s_waitcnt lgkmcnt(0)
	s_bitcmp0_b32 s8, 0
	s_mov_b32 s8, -1
	s_cbranch_scc0 .LBB1965_4
; %bb.3:
	s_mov_b64 s[10:11], src_shared_base
	v_or3_b32 v31, v0, v44, v43
	v_mov_b32_e32 v42, v0
	v_mov_b32_e32 v0, s16
	;; [unrolled: 1-line block ×13, first 2 shown]
	s_add_u32 s8, s4, 0x58
	s_addc_u32 s9, s5, 0
	s_getpc_b64 s[14:15]
	s_add_u32 s14, s14, _ZN7rocprim17ROCPRIM_400000_NS6detail26segmented_warp_sort_helperINS1_20WarpSortHelperConfigILj8ELj4ELj256EEE12hip_bfloat16lLi256ELb1EvE4sortIPKS5_PS5_PKlPlEEvT_T0_T1_T2_jjjjRNS6_12storage_typeE@rel32@lo+4
	s_addc_u32 s15, s15, _ZN7rocprim17ROCPRIM_400000_NS6detail26segmented_warp_sort_helperINS1_20WarpSortHelperConfigILj8ELj4ELj256EEE12hip_bfloat16lLi256ELb1EvE4sortIPKS5_PS5_PKlPlEEvT_T0_T1_T2_jjjjRNS6_12storage_typeE@rel32@hi+12
	s_mov_b32 s12, s6
	s_mov_b32 s13, s7
	s_mov_b64 s[18:19], s[4:5]
	s_mov_b32 s24, s7
	s_mov_b32 s25, s6
	s_swappc_b64 s[30:31], s[14:15]
	v_mov_b32_e32 v0, v42
	s_mov_b32 s6, s25
	s_mov_b32 s7, s24
	s_mov_b64 s[4:5], s[18:19]
	s_mov_b32 s8, 0
.LBB1965_4:
	s_andn2_b32 vcc_lo, exec_lo, s8
	s_cbranch_vccnz .LBB1965_6
; %bb.5:
	s_mov_b64 s[10:11], src_shared_base
	v_or3_b32 v31, v0, v44, v43
	v_mov_b32_e32 v0, s16
	v_mov_b32_e32 v1, s17
	;; [unrolled: 1-line block ×12, first 2 shown]
	s_add_u32 s8, s4, 0x58
	s_addc_u32 s9, s5, 0
	s_getpc_b64 s[4:5]
	s_add_u32 s4, s4, _ZN7rocprim17ROCPRIM_400000_NS6detail26segmented_warp_sort_helperINS1_20WarpSortHelperConfigILj8ELj4ELj256EEE12hip_bfloat16lLi256ELb1EvE4sortIPKS5_PS5_PKlPlEEvT_T0_T1_T2_jjjjRNS6_12storage_typeE@rel32@lo+4
	s_addc_u32 s5, s5, _ZN7rocprim17ROCPRIM_400000_NS6detail26segmented_warp_sort_helperINS1_20WarpSortHelperConfigILj8ELj4ELj256EEE12hip_bfloat16lLi256ELb1EvE4sortIPKS5_PS5_PKlPlEEvT_T0_T1_T2_jjjjRNS6_12storage_typeE@rel32@hi+12
	s_mov_b32 s12, s6
	s_mov_b32 s13, s7
	s_swappc_b64 s[30:31], s[4:5]
.LBB1965_6:
	s_endpgm
	.section	.rodata,"a",@progbits
	.p2align	6, 0x0
	.amdhsa_kernel _ZN7rocprim17ROCPRIM_400000_NS6detail17trampoline_kernelINS0_14default_configENS1_36segmented_radix_sort_config_selectorI12hip_bfloat16lEEZNS1_25segmented_radix_sort_implIS3_Lb1EPKS5_PS5_PKlPlN2at6native12_GLOBAL__N_18offset_tEEE10hipError_tPvRmT1_PNSt15iterator_traitsISL_E10value_typeET2_T3_PNSM_ISR_E10value_typeET4_jRbjT5_SX_jjP12ihipStream_tbEUlT_E1_NS1_11comp_targetILNS1_3genE8ELNS1_11target_archE1030ELNS1_3gpuE2ELNS1_3repE0EEENS1_59segmented_radix_sort_warp_sort_small_config_static_selectorELNS0_4arch9wavefront6targetE0EEEvSL_
		.amdhsa_group_segment_fixed_size 10240
		.amdhsa_private_segment_fixed_size 0
		.amdhsa_kernarg_size 344
		.amdhsa_user_sgpr_count 6
		.amdhsa_user_sgpr_private_segment_buffer 1
		.amdhsa_user_sgpr_dispatch_ptr 0
		.amdhsa_user_sgpr_queue_ptr 0
		.amdhsa_user_sgpr_kernarg_segment_ptr 1
		.amdhsa_user_sgpr_dispatch_id 0
		.amdhsa_user_sgpr_flat_scratch_init 0
		.amdhsa_user_sgpr_private_segment_size 0
		.amdhsa_wavefront_size32 1
		.amdhsa_uses_dynamic_stack 0
		.amdhsa_system_sgpr_private_segment_wavefront_offset 0
		.amdhsa_system_sgpr_workgroup_id_x 1
		.amdhsa_system_sgpr_workgroup_id_y 1
		.amdhsa_system_sgpr_workgroup_id_z 0
		.amdhsa_system_sgpr_workgroup_info 0
		.amdhsa_system_vgpr_workitem_id 2
		.amdhsa_next_free_vgpr 65
		.amdhsa_next_free_sgpr 33
		.amdhsa_reserve_vcc 1
		.amdhsa_reserve_flat_scratch 0
		.amdhsa_float_round_mode_32 0
		.amdhsa_float_round_mode_16_64 0
		.amdhsa_float_denorm_mode_32 3
		.amdhsa_float_denorm_mode_16_64 3
		.amdhsa_dx10_clamp 1
		.amdhsa_ieee_mode 1
		.amdhsa_fp16_overflow 0
		.amdhsa_workgroup_processor_mode 1
		.amdhsa_memory_ordered 1
		.amdhsa_forward_progress 1
		.amdhsa_shared_vgpr_count 0
		.amdhsa_exception_fp_ieee_invalid_op 0
		.amdhsa_exception_fp_denorm_src 0
		.amdhsa_exception_fp_ieee_div_zero 0
		.amdhsa_exception_fp_ieee_overflow 0
		.amdhsa_exception_fp_ieee_underflow 0
		.amdhsa_exception_fp_ieee_inexact 0
		.amdhsa_exception_int_div_zero 0
	.end_amdhsa_kernel
	.section	.text._ZN7rocprim17ROCPRIM_400000_NS6detail17trampoline_kernelINS0_14default_configENS1_36segmented_radix_sort_config_selectorI12hip_bfloat16lEEZNS1_25segmented_radix_sort_implIS3_Lb1EPKS5_PS5_PKlPlN2at6native12_GLOBAL__N_18offset_tEEE10hipError_tPvRmT1_PNSt15iterator_traitsISL_E10value_typeET2_T3_PNSM_ISR_E10value_typeET4_jRbjT5_SX_jjP12ihipStream_tbEUlT_E1_NS1_11comp_targetILNS1_3genE8ELNS1_11target_archE1030ELNS1_3gpuE2ELNS1_3repE0EEENS1_59segmented_radix_sort_warp_sort_small_config_static_selectorELNS0_4arch9wavefront6targetE0EEEvSL_,"axG",@progbits,_ZN7rocprim17ROCPRIM_400000_NS6detail17trampoline_kernelINS0_14default_configENS1_36segmented_radix_sort_config_selectorI12hip_bfloat16lEEZNS1_25segmented_radix_sort_implIS3_Lb1EPKS5_PS5_PKlPlN2at6native12_GLOBAL__N_18offset_tEEE10hipError_tPvRmT1_PNSt15iterator_traitsISL_E10value_typeET2_T3_PNSM_ISR_E10value_typeET4_jRbjT5_SX_jjP12ihipStream_tbEUlT_E1_NS1_11comp_targetILNS1_3genE8ELNS1_11target_archE1030ELNS1_3gpuE2ELNS1_3repE0EEENS1_59segmented_radix_sort_warp_sort_small_config_static_selectorELNS0_4arch9wavefront6targetE0EEEvSL_,comdat
.Lfunc_end1965:
	.size	_ZN7rocprim17ROCPRIM_400000_NS6detail17trampoline_kernelINS0_14default_configENS1_36segmented_radix_sort_config_selectorI12hip_bfloat16lEEZNS1_25segmented_radix_sort_implIS3_Lb1EPKS5_PS5_PKlPlN2at6native12_GLOBAL__N_18offset_tEEE10hipError_tPvRmT1_PNSt15iterator_traitsISL_E10value_typeET2_T3_PNSM_ISR_E10value_typeET4_jRbjT5_SX_jjP12ihipStream_tbEUlT_E1_NS1_11comp_targetILNS1_3genE8ELNS1_11target_archE1030ELNS1_3gpuE2ELNS1_3repE0EEENS1_59segmented_radix_sort_warp_sort_small_config_static_selectorELNS0_4arch9wavefront6targetE0EEEvSL_, .Lfunc_end1965-_ZN7rocprim17ROCPRIM_400000_NS6detail17trampoline_kernelINS0_14default_configENS1_36segmented_radix_sort_config_selectorI12hip_bfloat16lEEZNS1_25segmented_radix_sort_implIS3_Lb1EPKS5_PS5_PKlPlN2at6native12_GLOBAL__N_18offset_tEEE10hipError_tPvRmT1_PNSt15iterator_traitsISL_E10value_typeET2_T3_PNSM_ISR_E10value_typeET4_jRbjT5_SX_jjP12ihipStream_tbEUlT_E1_NS1_11comp_targetILNS1_3genE8ELNS1_11target_archE1030ELNS1_3gpuE2ELNS1_3repE0EEENS1_59segmented_radix_sort_warp_sort_small_config_static_selectorELNS0_4arch9wavefront6targetE0EEEvSL_
                                        ; -- End function
	.set _ZN7rocprim17ROCPRIM_400000_NS6detail17trampoline_kernelINS0_14default_configENS1_36segmented_radix_sort_config_selectorI12hip_bfloat16lEEZNS1_25segmented_radix_sort_implIS3_Lb1EPKS5_PS5_PKlPlN2at6native12_GLOBAL__N_18offset_tEEE10hipError_tPvRmT1_PNSt15iterator_traitsISL_E10value_typeET2_T3_PNSM_ISR_E10value_typeET4_jRbjT5_SX_jjP12ihipStream_tbEUlT_E1_NS1_11comp_targetILNS1_3genE8ELNS1_11target_archE1030ELNS1_3gpuE2ELNS1_3repE0EEENS1_59segmented_radix_sort_warp_sort_small_config_static_selectorELNS0_4arch9wavefront6targetE0EEEvSL_.num_vgpr, max(45, .L_ZN7rocprim17ROCPRIM_400000_NS6detail26segmented_warp_sort_helperINS1_20WarpSortHelperConfigILj8ELj4ELj256EEE12hip_bfloat16lLi256ELb1EvE4sortIPKS5_PS5_PKlPlEEvT_T0_T1_T2_jjjjRNS6_12storage_typeE.num_vgpr)
	.set _ZN7rocprim17ROCPRIM_400000_NS6detail17trampoline_kernelINS0_14default_configENS1_36segmented_radix_sort_config_selectorI12hip_bfloat16lEEZNS1_25segmented_radix_sort_implIS3_Lb1EPKS5_PS5_PKlPlN2at6native12_GLOBAL__N_18offset_tEEE10hipError_tPvRmT1_PNSt15iterator_traitsISL_E10value_typeET2_T3_PNSM_ISR_E10value_typeET4_jRbjT5_SX_jjP12ihipStream_tbEUlT_E1_NS1_11comp_targetILNS1_3genE8ELNS1_11target_archE1030ELNS1_3gpuE2ELNS1_3repE0EEENS1_59segmented_radix_sort_warp_sort_small_config_static_selectorELNS0_4arch9wavefront6targetE0EEEvSL_.num_agpr, max(0, .L_ZN7rocprim17ROCPRIM_400000_NS6detail26segmented_warp_sort_helperINS1_20WarpSortHelperConfigILj8ELj4ELj256EEE12hip_bfloat16lLi256ELb1EvE4sortIPKS5_PS5_PKlPlEEvT_T0_T1_T2_jjjjRNS6_12storage_typeE.num_agpr)
	.set _ZN7rocprim17ROCPRIM_400000_NS6detail17trampoline_kernelINS0_14default_configENS1_36segmented_radix_sort_config_selectorI12hip_bfloat16lEEZNS1_25segmented_radix_sort_implIS3_Lb1EPKS5_PS5_PKlPlN2at6native12_GLOBAL__N_18offset_tEEE10hipError_tPvRmT1_PNSt15iterator_traitsISL_E10value_typeET2_T3_PNSM_ISR_E10value_typeET4_jRbjT5_SX_jjP12ihipStream_tbEUlT_E1_NS1_11comp_targetILNS1_3genE8ELNS1_11target_archE1030ELNS1_3gpuE2ELNS1_3repE0EEENS1_59segmented_radix_sort_warp_sort_small_config_static_selectorELNS0_4arch9wavefront6targetE0EEEvSL_.numbered_sgpr, max(33, .L_ZN7rocprim17ROCPRIM_400000_NS6detail26segmented_warp_sort_helperINS1_20WarpSortHelperConfigILj8ELj4ELj256EEE12hip_bfloat16lLi256ELb1EvE4sortIPKS5_PS5_PKlPlEEvT_T0_T1_T2_jjjjRNS6_12storage_typeE.numbered_sgpr)
	.set _ZN7rocprim17ROCPRIM_400000_NS6detail17trampoline_kernelINS0_14default_configENS1_36segmented_radix_sort_config_selectorI12hip_bfloat16lEEZNS1_25segmented_radix_sort_implIS3_Lb1EPKS5_PS5_PKlPlN2at6native12_GLOBAL__N_18offset_tEEE10hipError_tPvRmT1_PNSt15iterator_traitsISL_E10value_typeET2_T3_PNSM_ISR_E10value_typeET4_jRbjT5_SX_jjP12ihipStream_tbEUlT_E1_NS1_11comp_targetILNS1_3genE8ELNS1_11target_archE1030ELNS1_3gpuE2ELNS1_3repE0EEENS1_59segmented_radix_sort_warp_sort_small_config_static_selectorELNS0_4arch9wavefront6targetE0EEEvSL_.num_named_barrier, max(0, .L_ZN7rocprim17ROCPRIM_400000_NS6detail26segmented_warp_sort_helperINS1_20WarpSortHelperConfigILj8ELj4ELj256EEE12hip_bfloat16lLi256ELb1EvE4sortIPKS5_PS5_PKlPlEEvT_T0_T1_T2_jjjjRNS6_12storage_typeE.num_named_barrier)
	.set _ZN7rocprim17ROCPRIM_400000_NS6detail17trampoline_kernelINS0_14default_configENS1_36segmented_radix_sort_config_selectorI12hip_bfloat16lEEZNS1_25segmented_radix_sort_implIS3_Lb1EPKS5_PS5_PKlPlN2at6native12_GLOBAL__N_18offset_tEEE10hipError_tPvRmT1_PNSt15iterator_traitsISL_E10value_typeET2_T3_PNSM_ISR_E10value_typeET4_jRbjT5_SX_jjP12ihipStream_tbEUlT_E1_NS1_11comp_targetILNS1_3genE8ELNS1_11target_archE1030ELNS1_3gpuE2ELNS1_3repE0EEENS1_59segmented_radix_sort_warp_sort_small_config_static_selectorELNS0_4arch9wavefront6targetE0EEEvSL_.private_seg_size, 0+max(.L_ZN7rocprim17ROCPRIM_400000_NS6detail26segmented_warp_sort_helperINS1_20WarpSortHelperConfigILj8ELj4ELj256EEE12hip_bfloat16lLi256ELb1EvE4sortIPKS5_PS5_PKlPlEEvT_T0_T1_T2_jjjjRNS6_12storage_typeE.private_seg_size)
	.set _ZN7rocprim17ROCPRIM_400000_NS6detail17trampoline_kernelINS0_14default_configENS1_36segmented_radix_sort_config_selectorI12hip_bfloat16lEEZNS1_25segmented_radix_sort_implIS3_Lb1EPKS5_PS5_PKlPlN2at6native12_GLOBAL__N_18offset_tEEE10hipError_tPvRmT1_PNSt15iterator_traitsISL_E10value_typeET2_T3_PNSM_ISR_E10value_typeET4_jRbjT5_SX_jjP12ihipStream_tbEUlT_E1_NS1_11comp_targetILNS1_3genE8ELNS1_11target_archE1030ELNS1_3gpuE2ELNS1_3repE0EEENS1_59segmented_radix_sort_warp_sort_small_config_static_selectorELNS0_4arch9wavefront6targetE0EEEvSL_.uses_vcc, or(1, .L_ZN7rocprim17ROCPRIM_400000_NS6detail26segmented_warp_sort_helperINS1_20WarpSortHelperConfigILj8ELj4ELj256EEE12hip_bfloat16lLi256ELb1EvE4sortIPKS5_PS5_PKlPlEEvT_T0_T1_T2_jjjjRNS6_12storage_typeE.uses_vcc)
	.set _ZN7rocprim17ROCPRIM_400000_NS6detail17trampoline_kernelINS0_14default_configENS1_36segmented_radix_sort_config_selectorI12hip_bfloat16lEEZNS1_25segmented_radix_sort_implIS3_Lb1EPKS5_PS5_PKlPlN2at6native12_GLOBAL__N_18offset_tEEE10hipError_tPvRmT1_PNSt15iterator_traitsISL_E10value_typeET2_T3_PNSM_ISR_E10value_typeET4_jRbjT5_SX_jjP12ihipStream_tbEUlT_E1_NS1_11comp_targetILNS1_3genE8ELNS1_11target_archE1030ELNS1_3gpuE2ELNS1_3repE0EEENS1_59segmented_radix_sort_warp_sort_small_config_static_selectorELNS0_4arch9wavefront6targetE0EEEvSL_.uses_flat_scratch, or(0, .L_ZN7rocprim17ROCPRIM_400000_NS6detail26segmented_warp_sort_helperINS1_20WarpSortHelperConfigILj8ELj4ELj256EEE12hip_bfloat16lLi256ELb1EvE4sortIPKS5_PS5_PKlPlEEvT_T0_T1_T2_jjjjRNS6_12storage_typeE.uses_flat_scratch)
	.set _ZN7rocprim17ROCPRIM_400000_NS6detail17trampoline_kernelINS0_14default_configENS1_36segmented_radix_sort_config_selectorI12hip_bfloat16lEEZNS1_25segmented_radix_sort_implIS3_Lb1EPKS5_PS5_PKlPlN2at6native12_GLOBAL__N_18offset_tEEE10hipError_tPvRmT1_PNSt15iterator_traitsISL_E10value_typeET2_T3_PNSM_ISR_E10value_typeET4_jRbjT5_SX_jjP12ihipStream_tbEUlT_E1_NS1_11comp_targetILNS1_3genE8ELNS1_11target_archE1030ELNS1_3gpuE2ELNS1_3repE0EEENS1_59segmented_radix_sort_warp_sort_small_config_static_selectorELNS0_4arch9wavefront6targetE0EEEvSL_.has_dyn_sized_stack, or(0, .L_ZN7rocprim17ROCPRIM_400000_NS6detail26segmented_warp_sort_helperINS1_20WarpSortHelperConfigILj8ELj4ELj256EEE12hip_bfloat16lLi256ELb1EvE4sortIPKS5_PS5_PKlPlEEvT_T0_T1_T2_jjjjRNS6_12storage_typeE.has_dyn_sized_stack)
	.set _ZN7rocprim17ROCPRIM_400000_NS6detail17trampoline_kernelINS0_14default_configENS1_36segmented_radix_sort_config_selectorI12hip_bfloat16lEEZNS1_25segmented_radix_sort_implIS3_Lb1EPKS5_PS5_PKlPlN2at6native12_GLOBAL__N_18offset_tEEE10hipError_tPvRmT1_PNSt15iterator_traitsISL_E10value_typeET2_T3_PNSM_ISR_E10value_typeET4_jRbjT5_SX_jjP12ihipStream_tbEUlT_E1_NS1_11comp_targetILNS1_3genE8ELNS1_11target_archE1030ELNS1_3gpuE2ELNS1_3repE0EEENS1_59segmented_radix_sort_warp_sort_small_config_static_selectorELNS0_4arch9wavefront6targetE0EEEvSL_.has_recursion, or(0, .L_ZN7rocprim17ROCPRIM_400000_NS6detail26segmented_warp_sort_helperINS1_20WarpSortHelperConfigILj8ELj4ELj256EEE12hip_bfloat16lLi256ELb1EvE4sortIPKS5_PS5_PKlPlEEvT_T0_T1_T2_jjjjRNS6_12storage_typeE.has_recursion)
	.set _ZN7rocprim17ROCPRIM_400000_NS6detail17trampoline_kernelINS0_14default_configENS1_36segmented_radix_sort_config_selectorI12hip_bfloat16lEEZNS1_25segmented_radix_sort_implIS3_Lb1EPKS5_PS5_PKlPlN2at6native12_GLOBAL__N_18offset_tEEE10hipError_tPvRmT1_PNSt15iterator_traitsISL_E10value_typeET2_T3_PNSM_ISR_E10value_typeET4_jRbjT5_SX_jjP12ihipStream_tbEUlT_E1_NS1_11comp_targetILNS1_3genE8ELNS1_11target_archE1030ELNS1_3gpuE2ELNS1_3repE0EEENS1_59segmented_radix_sort_warp_sort_small_config_static_selectorELNS0_4arch9wavefront6targetE0EEEvSL_.has_indirect_call, or(0, .L_ZN7rocprim17ROCPRIM_400000_NS6detail26segmented_warp_sort_helperINS1_20WarpSortHelperConfigILj8ELj4ELj256EEE12hip_bfloat16lLi256ELb1EvE4sortIPKS5_PS5_PKlPlEEvT_T0_T1_T2_jjjjRNS6_12storage_typeE.has_indirect_call)
	.section	.AMDGPU.csdata,"",@progbits
; Kernel info:
; codeLenInByte = 500
; TotalNumSgprs: 35
; NumVgprs: 65
; ScratchSize: 0
; MemoryBound: 0
; FloatMode: 240
; IeeeMode: 1
; LDSByteSize: 10240 bytes/workgroup (compile time only)
; SGPRBlocks: 0
; VGPRBlocks: 8
; NumSGPRsForWavesPerEU: 35
; NumVGPRsForWavesPerEU: 65
; Occupancy: 12
; WaveLimiterHint : 0
; COMPUTE_PGM_RSRC2:SCRATCH_EN: 0
; COMPUTE_PGM_RSRC2:USER_SGPR: 6
; COMPUTE_PGM_RSRC2:TRAP_HANDLER: 0
; COMPUTE_PGM_RSRC2:TGID_X_EN: 1
; COMPUTE_PGM_RSRC2:TGID_Y_EN: 1
; COMPUTE_PGM_RSRC2:TGID_Z_EN: 0
; COMPUTE_PGM_RSRC2:TIDIG_COMP_CNT: 2
	.section	.text._ZN7rocprim17ROCPRIM_400000_NS6detail17trampoline_kernelINS0_14default_configENS1_36segmented_radix_sort_config_selectorI12hip_bfloat16lEEZNS1_25segmented_radix_sort_implIS3_Lb1EPKS5_PS5_PKlPlN2at6native12_GLOBAL__N_18offset_tEEE10hipError_tPvRmT1_PNSt15iterator_traitsISL_E10value_typeET2_T3_PNSM_ISR_E10value_typeET4_jRbjT5_SX_jjP12ihipStream_tbEUlT_E2_NS1_11comp_targetILNS1_3genE0ELNS1_11target_archE4294967295ELNS1_3gpuE0ELNS1_3repE0EEENS1_30default_config_static_selectorELNS0_4arch9wavefront6targetE0EEEvSL_,"axG",@progbits,_ZN7rocprim17ROCPRIM_400000_NS6detail17trampoline_kernelINS0_14default_configENS1_36segmented_radix_sort_config_selectorI12hip_bfloat16lEEZNS1_25segmented_radix_sort_implIS3_Lb1EPKS5_PS5_PKlPlN2at6native12_GLOBAL__N_18offset_tEEE10hipError_tPvRmT1_PNSt15iterator_traitsISL_E10value_typeET2_T3_PNSM_ISR_E10value_typeET4_jRbjT5_SX_jjP12ihipStream_tbEUlT_E2_NS1_11comp_targetILNS1_3genE0ELNS1_11target_archE4294967295ELNS1_3gpuE0ELNS1_3repE0EEENS1_30default_config_static_selectorELNS0_4arch9wavefront6targetE0EEEvSL_,comdat
	.globl	_ZN7rocprim17ROCPRIM_400000_NS6detail17trampoline_kernelINS0_14default_configENS1_36segmented_radix_sort_config_selectorI12hip_bfloat16lEEZNS1_25segmented_radix_sort_implIS3_Lb1EPKS5_PS5_PKlPlN2at6native12_GLOBAL__N_18offset_tEEE10hipError_tPvRmT1_PNSt15iterator_traitsISL_E10value_typeET2_T3_PNSM_ISR_E10value_typeET4_jRbjT5_SX_jjP12ihipStream_tbEUlT_E2_NS1_11comp_targetILNS1_3genE0ELNS1_11target_archE4294967295ELNS1_3gpuE0ELNS1_3repE0EEENS1_30default_config_static_selectorELNS0_4arch9wavefront6targetE0EEEvSL_ ; -- Begin function _ZN7rocprim17ROCPRIM_400000_NS6detail17trampoline_kernelINS0_14default_configENS1_36segmented_radix_sort_config_selectorI12hip_bfloat16lEEZNS1_25segmented_radix_sort_implIS3_Lb1EPKS5_PS5_PKlPlN2at6native12_GLOBAL__N_18offset_tEEE10hipError_tPvRmT1_PNSt15iterator_traitsISL_E10value_typeET2_T3_PNSM_ISR_E10value_typeET4_jRbjT5_SX_jjP12ihipStream_tbEUlT_E2_NS1_11comp_targetILNS1_3genE0ELNS1_11target_archE4294967295ELNS1_3gpuE0ELNS1_3repE0EEENS1_30default_config_static_selectorELNS0_4arch9wavefront6targetE0EEEvSL_
	.p2align	8
	.type	_ZN7rocprim17ROCPRIM_400000_NS6detail17trampoline_kernelINS0_14default_configENS1_36segmented_radix_sort_config_selectorI12hip_bfloat16lEEZNS1_25segmented_radix_sort_implIS3_Lb1EPKS5_PS5_PKlPlN2at6native12_GLOBAL__N_18offset_tEEE10hipError_tPvRmT1_PNSt15iterator_traitsISL_E10value_typeET2_T3_PNSM_ISR_E10value_typeET4_jRbjT5_SX_jjP12ihipStream_tbEUlT_E2_NS1_11comp_targetILNS1_3genE0ELNS1_11target_archE4294967295ELNS1_3gpuE0ELNS1_3repE0EEENS1_30default_config_static_selectorELNS0_4arch9wavefront6targetE0EEEvSL_,@function
_ZN7rocprim17ROCPRIM_400000_NS6detail17trampoline_kernelINS0_14default_configENS1_36segmented_radix_sort_config_selectorI12hip_bfloat16lEEZNS1_25segmented_radix_sort_implIS3_Lb1EPKS5_PS5_PKlPlN2at6native12_GLOBAL__N_18offset_tEEE10hipError_tPvRmT1_PNSt15iterator_traitsISL_E10value_typeET2_T3_PNSM_ISR_E10value_typeET4_jRbjT5_SX_jjP12ihipStream_tbEUlT_E2_NS1_11comp_targetILNS1_3genE0ELNS1_11target_archE4294967295ELNS1_3gpuE0ELNS1_3repE0EEENS1_30default_config_static_selectorELNS0_4arch9wavefront6targetE0EEEvSL_: ; @_ZN7rocprim17ROCPRIM_400000_NS6detail17trampoline_kernelINS0_14default_configENS1_36segmented_radix_sort_config_selectorI12hip_bfloat16lEEZNS1_25segmented_radix_sort_implIS3_Lb1EPKS5_PS5_PKlPlN2at6native12_GLOBAL__N_18offset_tEEE10hipError_tPvRmT1_PNSt15iterator_traitsISL_E10value_typeET2_T3_PNSM_ISR_E10value_typeET4_jRbjT5_SX_jjP12ihipStream_tbEUlT_E2_NS1_11comp_targetILNS1_3genE0ELNS1_11target_archE4294967295ELNS1_3gpuE0ELNS1_3repE0EEENS1_30default_config_static_selectorELNS0_4arch9wavefront6targetE0EEEvSL_
; %bb.0:
	.section	.rodata,"a",@progbits
	.p2align	6, 0x0
	.amdhsa_kernel _ZN7rocprim17ROCPRIM_400000_NS6detail17trampoline_kernelINS0_14default_configENS1_36segmented_radix_sort_config_selectorI12hip_bfloat16lEEZNS1_25segmented_radix_sort_implIS3_Lb1EPKS5_PS5_PKlPlN2at6native12_GLOBAL__N_18offset_tEEE10hipError_tPvRmT1_PNSt15iterator_traitsISL_E10value_typeET2_T3_PNSM_ISR_E10value_typeET4_jRbjT5_SX_jjP12ihipStream_tbEUlT_E2_NS1_11comp_targetILNS1_3genE0ELNS1_11target_archE4294967295ELNS1_3gpuE0ELNS1_3repE0EEENS1_30default_config_static_selectorELNS0_4arch9wavefront6targetE0EEEvSL_
		.amdhsa_group_segment_fixed_size 0
		.amdhsa_private_segment_fixed_size 0
		.amdhsa_kernarg_size 80
		.amdhsa_user_sgpr_count 6
		.amdhsa_user_sgpr_private_segment_buffer 1
		.amdhsa_user_sgpr_dispatch_ptr 0
		.amdhsa_user_sgpr_queue_ptr 0
		.amdhsa_user_sgpr_kernarg_segment_ptr 1
		.amdhsa_user_sgpr_dispatch_id 0
		.amdhsa_user_sgpr_flat_scratch_init 0
		.amdhsa_user_sgpr_private_segment_size 0
		.amdhsa_wavefront_size32 1
		.amdhsa_uses_dynamic_stack 0
		.amdhsa_system_sgpr_private_segment_wavefront_offset 0
		.amdhsa_system_sgpr_workgroup_id_x 1
		.amdhsa_system_sgpr_workgroup_id_y 0
		.amdhsa_system_sgpr_workgroup_id_z 0
		.amdhsa_system_sgpr_workgroup_info 0
		.amdhsa_system_vgpr_workitem_id 0
		.amdhsa_next_free_vgpr 1
		.amdhsa_next_free_sgpr 1
		.amdhsa_reserve_vcc 0
		.amdhsa_reserve_flat_scratch 0
		.amdhsa_float_round_mode_32 0
		.amdhsa_float_round_mode_16_64 0
		.amdhsa_float_denorm_mode_32 3
		.amdhsa_float_denorm_mode_16_64 3
		.amdhsa_dx10_clamp 1
		.amdhsa_ieee_mode 1
		.amdhsa_fp16_overflow 0
		.amdhsa_workgroup_processor_mode 1
		.amdhsa_memory_ordered 1
		.amdhsa_forward_progress 1
		.amdhsa_shared_vgpr_count 0
		.amdhsa_exception_fp_ieee_invalid_op 0
		.amdhsa_exception_fp_denorm_src 0
		.amdhsa_exception_fp_ieee_div_zero 0
		.amdhsa_exception_fp_ieee_overflow 0
		.amdhsa_exception_fp_ieee_underflow 0
		.amdhsa_exception_fp_ieee_inexact 0
		.amdhsa_exception_int_div_zero 0
	.end_amdhsa_kernel
	.section	.text._ZN7rocprim17ROCPRIM_400000_NS6detail17trampoline_kernelINS0_14default_configENS1_36segmented_radix_sort_config_selectorI12hip_bfloat16lEEZNS1_25segmented_radix_sort_implIS3_Lb1EPKS5_PS5_PKlPlN2at6native12_GLOBAL__N_18offset_tEEE10hipError_tPvRmT1_PNSt15iterator_traitsISL_E10value_typeET2_T3_PNSM_ISR_E10value_typeET4_jRbjT5_SX_jjP12ihipStream_tbEUlT_E2_NS1_11comp_targetILNS1_3genE0ELNS1_11target_archE4294967295ELNS1_3gpuE0ELNS1_3repE0EEENS1_30default_config_static_selectorELNS0_4arch9wavefront6targetE0EEEvSL_,"axG",@progbits,_ZN7rocprim17ROCPRIM_400000_NS6detail17trampoline_kernelINS0_14default_configENS1_36segmented_radix_sort_config_selectorI12hip_bfloat16lEEZNS1_25segmented_radix_sort_implIS3_Lb1EPKS5_PS5_PKlPlN2at6native12_GLOBAL__N_18offset_tEEE10hipError_tPvRmT1_PNSt15iterator_traitsISL_E10value_typeET2_T3_PNSM_ISR_E10value_typeET4_jRbjT5_SX_jjP12ihipStream_tbEUlT_E2_NS1_11comp_targetILNS1_3genE0ELNS1_11target_archE4294967295ELNS1_3gpuE0ELNS1_3repE0EEENS1_30default_config_static_selectorELNS0_4arch9wavefront6targetE0EEEvSL_,comdat
.Lfunc_end1966:
	.size	_ZN7rocprim17ROCPRIM_400000_NS6detail17trampoline_kernelINS0_14default_configENS1_36segmented_radix_sort_config_selectorI12hip_bfloat16lEEZNS1_25segmented_radix_sort_implIS3_Lb1EPKS5_PS5_PKlPlN2at6native12_GLOBAL__N_18offset_tEEE10hipError_tPvRmT1_PNSt15iterator_traitsISL_E10value_typeET2_T3_PNSM_ISR_E10value_typeET4_jRbjT5_SX_jjP12ihipStream_tbEUlT_E2_NS1_11comp_targetILNS1_3genE0ELNS1_11target_archE4294967295ELNS1_3gpuE0ELNS1_3repE0EEENS1_30default_config_static_selectorELNS0_4arch9wavefront6targetE0EEEvSL_, .Lfunc_end1966-_ZN7rocprim17ROCPRIM_400000_NS6detail17trampoline_kernelINS0_14default_configENS1_36segmented_radix_sort_config_selectorI12hip_bfloat16lEEZNS1_25segmented_radix_sort_implIS3_Lb1EPKS5_PS5_PKlPlN2at6native12_GLOBAL__N_18offset_tEEE10hipError_tPvRmT1_PNSt15iterator_traitsISL_E10value_typeET2_T3_PNSM_ISR_E10value_typeET4_jRbjT5_SX_jjP12ihipStream_tbEUlT_E2_NS1_11comp_targetILNS1_3genE0ELNS1_11target_archE4294967295ELNS1_3gpuE0ELNS1_3repE0EEENS1_30default_config_static_selectorELNS0_4arch9wavefront6targetE0EEEvSL_
                                        ; -- End function
	.set _ZN7rocprim17ROCPRIM_400000_NS6detail17trampoline_kernelINS0_14default_configENS1_36segmented_radix_sort_config_selectorI12hip_bfloat16lEEZNS1_25segmented_radix_sort_implIS3_Lb1EPKS5_PS5_PKlPlN2at6native12_GLOBAL__N_18offset_tEEE10hipError_tPvRmT1_PNSt15iterator_traitsISL_E10value_typeET2_T3_PNSM_ISR_E10value_typeET4_jRbjT5_SX_jjP12ihipStream_tbEUlT_E2_NS1_11comp_targetILNS1_3genE0ELNS1_11target_archE4294967295ELNS1_3gpuE0ELNS1_3repE0EEENS1_30default_config_static_selectorELNS0_4arch9wavefront6targetE0EEEvSL_.num_vgpr, 0
	.set _ZN7rocprim17ROCPRIM_400000_NS6detail17trampoline_kernelINS0_14default_configENS1_36segmented_radix_sort_config_selectorI12hip_bfloat16lEEZNS1_25segmented_radix_sort_implIS3_Lb1EPKS5_PS5_PKlPlN2at6native12_GLOBAL__N_18offset_tEEE10hipError_tPvRmT1_PNSt15iterator_traitsISL_E10value_typeET2_T3_PNSM_ISR_E10value_typeET4_jRbjT5_SX_jjP12ihipStream_tbEUlT_E2_NS1_11comp_targetILNS1_3genE0ELNS1_11target_archE4294967295ELNS1_3gpuE0ELNS1_3repE0EEENS1_30default_config_static_selectorELNS0_4arch9wavefront6targetE0EEEvSL_.num_agpr, 0
	.set _ZN7rocprim17ROCPRIM_400000_NS6detail17trampoline_kernelINS0_14default_configENS1_36segmented_radix_sort_config_selectorI12hip_bfloat16lEEZNS1_25segmented_radix_sort_implIS3_Lb1EPKS5_PS5_PKlPlN2at6native12_GLOBAL__N_18offset_tEEE10hipError_tPvRmT1_PNSt15iterator_traitsISL_E10value_typeET2_T3_PNSM_ISR_E10value_typeET4_jRbjT5_SX_jjP12ihipStream_tbEUlT_E2_NS1_11comp_targetILNS1_3genE0ELNS1_11target_archE4294967295ELNS1_3gpuE0ELNS1_3repE0EEENS1_30default_config_static_selectorELNS0_4arch9wavefront6targetE0EEEvSL_.numbered_sgpr, 0
	.set _ZN7rocprim17ROCPRIM_400000_NS6detail17trampoline_kernelINS0_14default_configENS1_36segmented_radix_sort_config_selectorI12hip_bfloat16lEEZNS1_25segmented_radix_sort_implIS3_Lb1EPKS5_PS5_PKlPlN2at6native12_GLOBAL__N_18offset_tEEE10hipError_tPvRmT1_PNSt15iterator_traitsISL_E10value_typeET2_T3_PNSM_ISR_E10value_typeET4_jRbjT5_SX_jjP12ihipStream_tbEUlT_E2_NS1_11comp_targetILNS1_3genE0ELNS1_11target_archE4294967295ELNS1_3gpuE0ELNS1_3repE0EEENS1_30default_config_static_selectorELNS0_4arch9wavefront6targetE0EEEvSL_.num_named_barrier, 0
	.set _ZN7rocprim17ROCPRIM_400000_NS6detail17trampoline_kernelINS0_14default_configENS1_36segmented_radix_sort_config_selectorI12hip_bfloat16lEEZNS1_25segmented_radix_sort_implIS3_Lb1EPKS5_PS5_PKlPlN2at6native12_GLOBAL__N_18offset_tEEE10hipError_tPvRmT1_PNSt15iterator_traitsISL_E10value_typeET2_T3_PNSM_ISR_E10value_typeET4_jRbjT5_SX_jjP12ihipStream_tbEUlT_E2_NS1_11comp_targetILNS1_3genE0ELNS1_11target_archE4294967295ELNS1_3gpuE0ELNS1_3repE0EEENS1_30default_config_static_selectorELNS0_4arch9wavefront6targetE0EEEvSL_.private_seg_size, 0
	.set _ZN7rocprim17ROCPRIM_400000_NS6detail17trampoline_kernelINS0_14default_configENS1_36segmented_radix_sort_config_selectorI12hip_bfloat16lEEZNS1_25segmented_radix_sort_implIS3_Lb1EPKS5_PS5_PKlPlN2at6native12_GLOBAL__N_18offset_tEEE10hipError_tPvRmT1_PNSt15iterator_traitsISL_E10value_typeET2_T3_PNSM_ISR_E10value_typeET4_jRbjT5_SX_jjP12ihipStream_tbEUlT_E2_NS1_11comp_targetILNS1_3genE0ELNS1_11target_archE4294967295ELNS1_3gpuE0ELNS1_3repE0EEENS1_30default_config_static_selectorELNS0_4arch9wavefront6targetE0EEEvSL_.uses_vcc, 0
	.set _ZN7rocprim17ROCPRIM_400000_NS6detail17trampoline_kernelINS0_14default_configENS1_36segmented_radix_sort_config_selectorI12hip_bfloat16lEEZNS1_25segmented_radix_sort_implIS3_Lb1EPKS5_PS5_PKlPlN2at6native12_GLOBAL__N_18offset_tEEE10hipError_tPvRmT1_PNSt15iterator_traitsISL_E10value_typeET2_T3_PNSM_ISR_E10value_typeET4_jRbjT5_SX_jjP12ihipStream_tbEUlT_E2_NS1_11comp_targetILNS1_3genE0ELNS1_11target_archE4294967295ELNS1_3gpuE0ELNS1_3repE0EEENS1_30default_config_static_selectorELNS0_4arch9wavefront6targetE0EEEvSL_.uses_flat_scratch, 0
	.set _ZN7rocprim17ROCPRIM_400000_NS6detail17trampoline_kernelINS0_14default_configENS1_36segmented_radix_sort_config_selectorI12hip_bfloat16lEEZNS1_25segmented_radix_sort_implIS3_Lb1EPKS5_PS5_PKlPlN2at6native12_GLOBAL__N_18offset_tEEE10hipError_tPvRmT1_PNSt15iterator_traitsISL_E10value_typeET2_T3_PNSM_ISR_E10value_typeET4_jRbjT5_SX_jjP12ihipStream_tbEUlT_E2_NS1_11comp_targetILNS1_3genE0ELNS1_11target_archE4294967295ELNS1_3gpuE0ELNS1_3repE0EEENS1_30default_config_static_selectorELNS0_4arch9wavefront6targetE0EEEvSL_.has_dyn_sized_stack, 0
	.set _ZN7rocprim17ROCPRIM_400000_NS6detail17trampoline_kernelINS0_14default_configENS1_36segmented_radix_sort_config_selectorI12hip_bfloat16lEEZNS1_25segmented_radix_sort_implIS3_Lb1EPKS5_PS5_PKlPlN2at6native12_GLOBAL__N_18offset_tEEE10hipError_tPvRmT1_PNSt15iterator_traitsISL_E10value_typeET2_T3_PNSM_ISR_E10value_typeET4_jRbjT5_SX_jjP12ihipStream_tbEUlT_E2_NS1_11comp_targetILNS1_3genE0ELNS1_11target_archE4294967295ELNS1_3gpuE0ELNS1_3repE0EEENS1_30default_config_static_selectorELNS0_4arch9wavefront6targetE0EEEvSL_.has_recursion, 0
	.set _ZN7rocprim17ROCPRIM_400000_NS6detail17trampoline_kernelINS0_14default_configENS1_36segmented_radix_sort_config_selectorI12hip_bfloat16lEEZNS1_25segmented_radix_sort_implIS3_Lb1EPKS5_PS5_PKlPlN2at6native12_GLOBAL__N_18offset_tEEE10hipError_tPvRmT1_PNSt15iterator_traitsISL_E10value_typeET2_T3_PNSM_ISR_E10value_typeET4_jRbjT5_SX_jjP12ihipStream_tbEUlT_E2_NS1_11comp_targetILNS1_3genE0ELNS1_11target_archE4294967295ELNS1_3gpuE0ELNS1_3repE0EEENS1_30default_config_static_selectorELNS0_4arch9wavefront6targetE0EEEvSL_.has_indirect_call, 0
	.section	.AMDGPU.csdata,"",@progbits
; Kernel info:
; codeLenInByte = 0
; TotalNumSgprs: 0
; NumVgprs: 0
; ScratchSize: 0
; MemoryBound: 0
; FloatMode: 240
; IeeeMode: 1
; LDSByteSize: 0 bytes/workgroup (compile time only)
; SGPRBlocks: 0
; VGPRBlocks: 0
; NumSGPRsForWavesPerEU: 1
; NumVGPRsForWavesPerEU: 1
; Occupancy: 16
; WaveLimiterHint : 0
; COMPUTE_PGM_RSRC2:SCRATCH_EN: 0
; COMPUTE_PGM_RSRC2:USER_SGPR: 6
; COMPUTE_PGM_RSRC2:TRAP_HANDLER: 0
; COMPUTE_PGM_RSRC2:TGID_X_EN: 1
; COMPUTE_PGM_RSRC2:TGID_Y_EN: 0
; COMPUTE_PGM_RSRC2:TGID_Z_EN: 0
; COMPUTE_PGM_RSRC2:TIDIG_COMP_CNT: 0
	.section	.text._ZN7rocprim17ROCPRIM_400000_NS6detail17trampoline_kernelINS0_14default_configENS1_36segmented_radix_sort_config_selectorI12hip_bfloat16lEEZNS1_25segmented_radix_sort_implIS3_Lb1EPKS5_PS5_PKlPlN2at6native12_GLOBAL__N_18offset_tEEE10hipError_tPvRmT1_PNSt15iterator_traitsISL_E10value_typeET2_T3_PNSM_ISR_E10value_typeET4_jRbjT5_SX_jjP12ihipStream_tbEUlT_E2_NS1_11comp_targetILNS1_3genE5ELNS1_11target_archE942ELNS1_3gpuE9ELNS1_3repE0EEENS1_30default_config_static_selectorELNS0_4arch9wavefront6targetE0EEEvSL_,"axG",@progbits,_ZN7rocprim17ROCPRIM_400000_NS6detail17trampoline_kernelINS0_14default_configENS1_36segmented_radix_sort_config_selectorI12hip_bfloat16lEEZNS1_25segmented_radix_sort_implIS3_Lb1EPKS5_PS5_PKlPlN2at6native12_GLOBAL__N_18offset_tEEE10hipError_tPvRmT1_PNSt15iterator_traitsISL_E10value_typeET2_T3_PNSM_ISR_E10value_typeET4_jRbjT5_SX_jjP12ihipStream_tbEUlT_E2_NS1_11comp_targetILNS1_3genE5ELNS1_11target_archE942ELNS1_3gpuE9ELNS1_3repE0EEENS1_30default_config_static_selectorELNS0_4arch9wavefront6targetE0EEEvSL_,comdat
	.globl	_ZN7rocprim17ROCPRIM_400000_NS6detail17trampoline_kernelINS0_14default_configENS1_36segmented_radix_sort_config_selectorI12hip_bfloat16lEEZNS1_25segmented_radix_sort_implIS3_Lb1EPKS5_PS5_PKlPlN2at6native12_GLOBAL__N_18offset_tEEE10hipError_tPvRmT1_PNSt15iterator_traitsISL_E10value_typeET2_T3_PNSM_ISR_E10value_typeET4_jRbjT5_SX_jjP12ihipStream_tbEUlT_E2_NS1_11comp_targetILNS1_3genE5ELNS1_11target_archE942ELNS1_3gpuE9ELNS1_3repE0EEENS1_30default_config_static_selectorELNS0_4arch9wavefront6targetE0EEEvSL_ ; -- Begin function _ZN7rocprim17ROCPRIM_400000_NS6detail17trampoline_kernelINS0_14default_configENS1_36segmented_radix_sort_config_selectorI12hip_bfloat16lEEZNS1_25segmented_radix_sort_implIS3_Lb1EPKS5_PS5_PKlPlN2at6native12_GLOBAL__N_18offset_tEEE10hipError_tPvRmT1_PNSt15iterator_traitsISL_E10value_typeET2_T3_PNSM_ISR_E10value_typeET4_jRbjT5_SX_jjP12ihipStream_tbEUlT_E2_NS1_11comp_targetILNS1_3genE5ELNS1_11target_archE942ELNS1_3gpuE9ELNS1_3repE0EEENS1_30default_config_static_selectorELNS0_4arch9wavefront6targetE0EEEvSL_
	.p2align	8
	.type	_ZN7rocprim17ROCPRIM_400000_NS6detail17trampoline_kernelINS0_14default_configENS1_36segmented_radix_sort_config_selectorI12hip_bfloat16lEEZNS1_25segmented_radix_sort_implIS3_Lb1EPKS5_PS5_PKlPlN2at6native12_GLOBAL__N_18offset_tEEE10hipError_tPvRmT1_PNSt15iterator_traitsISL_E10value_typeET2_T3_PNSM_ISR_E10value_typeET4_jRbjT5_SX_jjP12ihipStream_tbEUlT_E2_NS1_11comp_targetILNS1_3genE5ELNS1_11target_archE942ELNS1_3gpuE9ELNS1_3repE0EEENS1_30default_config_static_selectorELNS0_4arch9wavefront6targetE0EEEvSL_,@function
_ZN7rocprim17ROCPRIM_400000_NS6detail17trampoline_kernelINS0_14default_configENS1_36segmented_radix_sort_config_selectorI12hip_bfloat16lEEZNS1_25segmented_radix_sort_implIS3_Lb1EPKS5_PS5_PKlPlN2at6native12_GLOBAL__N_18offset_tEEE10hipError_tPvRmT1_PNSt15iterator_traitsISL_E10value_typeET2_T3_PNSM_ISR_E10value_typeET4_jRbjT5_SX_jjP12ihipStream_tbEUlT_E2_NS1_11comp_targetILNS1_3genE5ELNS1_11target_archE942ELNS1_3gpuE9ELNS1_3repE0EEENS1_30default_config_static_selectorELNS0_4arch9wavefront6targetE0EEEvSL_: ; @_ZN7rocprim17ROCPRIM_400000_NS6detail17trampoline_kernelINS0_14default_configENS1_36segmented_radix_sort_config_selectorI12hip_bfloat16lEEZNS1_25segmented_radix_sort_implIS3_Lb1EPKS5_PS5_PKlPlN2at6native12_GLOBAL__N_18offset_tEEE10hipError_tPvRmT1_PNSt15iterator_traitsISL_E10value_typeET2_T3_PNSM_ISR_E10value_typeET4_jRbjT5_SX_jjP12ihipStream_tbEUlT_E2_NS1_11comp_targetILNS1_3genE5ELNS1_11target_archE942ELNS1_3gpuE9ELNS1_3repE0EEENS1_30default_config_static_selectorELNS0_4arch9wavefront6targetE0EEEvSL_
; %bb.0:
	.section	.rodata,"a",@progbits
	.p2align	6, 0x0
	.amdhsa_kernel _ZN7rocprim17ROCPRIM_400000_NS6detail17trampoline_kernelINS0_14default_configENS1_36segmented_radix_sort_config_selectorI12hip_bfloat16lEEZNS1_25segmented_radix_sort_implIS3_Lb1EPKS5_PS5_PKlPlN2at6native12_GLOBAL__N_18offset_tEEE10hipError_tPvRmT1_PNSt15iterator_traitsISL_E10value_typeET2_T3_PNSM_ISR_E10value_typeET4_jRbjT5_SX_jjP12ihipStream_tbEUlT_E2_NS1_11comp_targetILNS1_3genE5ELNS1_11target_archE942ELNS1_3gpuE9ELNS1_3repE0EEENS1_30default_config_static_selectorELNS0_4arch9wavefront6targetE0EEEvSL_
		.amdhsa_group_segment_fixed_size 0
		.amdhsa_private_segment_fixed_size 0
		.amdhsa_kernarg_size 80
		.amdhsa_user_sgpr_count 6
		.amdhsa_user_sgpr_private_segment_buffer 1
		.amdhsa_user_sgpr_dispatch_ptr 0
		.amdhsa_user_sgpr_queue_ptr 0
		.amdhsa_user_sgpr_kernarg_segment_ptr 1
		.amdhsa_user_sgpr_dispatch_id 0
		.amdhsa_user_sgpr_flat_scratch_init 0
		.amdhsa_user_sgpr_private_segment_size 0
		.amdhsa_wavefront_size32 1
		.amdhsa_uses_dynamic_stack 0
		.amdhsa_system_sgpr_private_segment_wavefront_offset 0
		.amdhsa_system_sgpr_workgroup_id_x 1
		.amdhsa_system_sgpr_workgroup_id_y 0
		.amdhsa_system_sgpr_workgroup_id_z 0
		.amdhsa_system_sgpr_workgroup_info 0
		.amdhsa_system_vgpr_workitem_id 0
		.amdhsa_next_free_vgpr 1
		.amdhsa_next_free_sgpr 1
		.amdhsa_reserve_vcc 0
		.amdhsa_reserve_flat_scratch 0
		.amdhsa_float_round_mode_32 0
		.amdhsa_float_round_mode_16_64 0
		.amdhsa_float_denorm_mode_32 3
		.amdhsa_float_denorm_mode_16_64 3
		.amdhsa_dx10_clamp 1
		.amdhsa_ieee_mode 1
		.amdhsa_fp16_overflow 0
		.amdhsa_workgroup_processor_mode 1
		.amdhsa_memory_ordered 1
		.amdhsa_forward_progress 1
		.amdhsa_shared_vgpr_count 0
		.amdhsa_exception_fp_ieee_invalid_op 0
		.amdhsa_exception_fp_denorm_src 0
		.amdhsa_exception_fp_ieee_div_zero 0
		.amdhsa_exception_fp_ieee_overflow 0
		.amdhsa_exception_fp_ieee_underflow 0
		.amdhsa_exception_fp_ieee_inexact 0
		.amdhsa_exception_int_div_zero 0
	.end_amdhsa_kernel
	.section	.text._ZN7rocprim17ROCPRIM_400000_NS6detail17trampoline_kernelINS0_14default_configENS1_36segmented_radix_sort_config_selectorI12hip_bfloat16lEEZNS1_25segmented_radix_sort_implIS3_Lb1EPKS5_PS5_PKlPlN2at6native12_GLOBAL__N_18offset_tEEE10hipError_tPvRmT1_PNSt15iterator_traitsISL_E10value_typeET2_T3_PNSM_ISR_E10value_typeET4_jRbjT5_SX_jjP12ihipStream_tbEUlT_E2_NS1_11comp_targetILNS1_3genE5ELNS1_11target_archE942ELNS1_3gpuE9ELNS1_3repE0EEENS1_30default_config_static_selectorELNS0_4arch9wavefront6targetE0EEEvSL_,"axG",@progbits,_ZN7rocprim17ROCPRIM_400000_NS6detail17trampoline_kernelINS0_14default_configENS1_36segmented_radix_sort_config_selectorI12hip_bfloat16lEEZNS1_25segmented_radix_sort_implIS3_Lb1EPKS5_PS5_PKlPlN2at6native12_GLOBAL__N_18offset_tEEE10hipError_tPvRmT1_PNSt15iterator_traitsISL_E10value_typeET2_T3_PNSM_ISR_E10value_typeET4_jRbjT5_SX_jjP12ihipStream_tbEUlT_E2_NS1_11comp_targetILNS1_3genE5ELNS1_11target_archE942ELNS1_3gpuE9ELNS1_3repE0EEENS1_30default_config_static_selectorELNS0_4arch9wavefront6targetE0EEEvSL_,comdat
.Lfunc_end1967:
	.size	_ZN7rocprim17ROCPRIM_400000_NS6detail17trampoline_kernelINS0_14default_configENS1_36segmented_radix_sort_config_selectorI12hip_bfloat16lEEZNS1_25segmented_radix_sort_implIS3_Lb1EPKS5_PS5_PKlPlN2at6native12_GLOBAL__N_18offset_tEEE10hipError_tPvRmT1_PNSt15iterator_traitsISL_E10value_typeET2_T3_PNSM_ISR_E10value_typeET4_jRbjT5_SX_jjP12ihipStream_tbEUlT_E2_NS1_11comp_targetILNS1_3genE5ELNS1_11target_archE942ELNS1_3gpuE9ELNS1_3repE0EEENS1_30default_config_static_selectorELNS0_4arch9wavefront6targetE0EEEvSL_, .Lfunc_end1967-_ZN7rocprim17ROCPRIM_400000_NS6detail17trampoline_kernelINS0_14default_configENS1_36segmented_radix_sort_config_selectorI12hip_bfloat16lEEZNS1_25segmented_radix_sort_implIS3_Lb1EPKS5_PS5_PKlPlN2at6native12_GLOBAL__N_18offset_tEEE10hipError_tPvRmT1_PNSt15iterator_traitsISL_E10value_typeET2_T3_PNSM_ISR_E10value_typeET4_jRbjT5_SX_jjP12ihipStream_tbEUlT_E2_NS1_11comp_targetILNS1_3genE5ELNS1_11target_archE942ELNS1_3gpuE9ELNS1_3repE0EEENS1_30default_config_static_selectorELNS0_4arch9wavefront6targetE0EEEvSL_
                                        ; -- End function
	.set _ZN7rocprim17ROCPRIM_400000_NS6detail17trampoline_kernelINS0_14default_configENS1_36segmented_radix_sort_config_selectorI12hip_bfloat16lEEZNS1_25segmented_radix_sort_implIS3_Lb1EPKS5_PS5_PKlPlN2at6native12_GLOBAL__N_18offset_tEEE10hipError_tPvRmT1_PNSt15iterator_traitsISL_E10value_typeET2_T3_PNSM_ISR_E10value_typeET4_jRbjT5_SX_jjP12ihipStream_tbEUlT_E2_NS1_11comp_targetILNS1_3genE5ELNS1_11target_archE942ELNS1_3gpuE9ELNS1_3repE0EEENS1_30default_config_static_selectorELNS0_4arch9wavefront6targetE0EEEvSL_.num_vgpr, 0
	.set _ZN7rocprim17ROCPRIM_400000_NS6detail17trampoline_kernelINS0_14default_configENS1_36segmented_radix_sort_config_selectorI12hip_bfloat16lEEZNS1_25segmented_radix_sort_implIS3_Lb1EPKS5_PS5_PKlPlN2at6native12_GLOBAL__N_18offset_tEEE10hipError_tPvRmT1_PNSt15iterator_traitsISL_E10value_typeET2_T3_PNSM_ISR_E10value_typeET4_jRbjT5_SX_jjP12ihipStream_tbEUlT_E2_NS1_11comp_targetILNS1_3genE5ELNS1_11target_archE942ELNS1_3gpuE9ELNS1_3repE0EEENS1_30default_config_static_selectorELNS0_4arch9wavefront6targetE0EEEvSL_.num_agpr, 0
	.set _ZN7rocprim17ROCPRIM_400000_NS6detail17trampoline_kernelINS0_14default_configENS1_36segmented_radix_sort_config_selectorI12hip_bfloat16lEEZNS1_25segmented_radix_sort_implIS3_Lb1EPKS5_PS5_PKlPlN2at6native12_GLOBAL__N_18offset_tEEE10hipError_tPvRmT1_PNSt15iterator_traitsISL_E10value_typeET2_T3_PNSM_ISR_E10value_typeET4_jRbjT5_SX_jjP12ihipStream_tbEUlT_E2_NS1_11comp_targetILNS1_3genE5ELNS1_11target_archE942ELNS1_3gpuE9ELNS1_3repE0EEENS1_30default_config_static_selectorELNS0_4arch9wavefront6targetE0EEEvSL_.numbered_sgpr, 0
	.set _ZN7rocprim17ROCPRIM_400000_NS6detail17trampoline_kernelINS0_14default_configENS1_36segmented_radix_sort_config_selectorI12hip_bfloat16lEEZNS1_25segmented_radix_sort_implIS3_Lb1EPKS5_PS5_PKlPlN2at6native12_GLOBAL__N_18offset_tEEE10hipError_tPvRmT1_PNSt15iterator_traitsISL_E10value_typeET2_T3_PNSM_ISR_E10value_typeET4_jRbjT5_SX_jjP12ihipStream_tbEUlT_E2_NS1_11comp_targetILNS1_3genE5ELNS1_11target_archE942ELNS1_3gpuE9ELNS1_3repE0EEENS1_30default_config_static_selectorELNS0_4arch9wavefront6targetE0EEEvSL_.num_named_barrier, 0
	.set _ZN7rocprim17ROCPRIM_400000_NS6detail17trampoline_kernelINS0_14default_configENS1_36segmented_radix_sort_config_selectorI12hip_bfloat16lEEZNS1_25segmented_radix_sort_implIS3_Lb1EPKS5_PS5_PKlPlN2at6native12_GLOBAL__N_18offset_tEEE10hipError_tPvRmT1_PNSt15iterator_traitsISL_E10value_typeET2_T3_PNSM_ISR_E10value_typeET4_jRbjT5_SX_jjP12ihipStream_tbEUlT_E2_NS1_11comp_targetILNS1_3genE5ELNS1_11target_archE942ELNS1_3gpuE9ELNS1_3repE0EEENS1_30default_config_static_selectorELNS0_4arch9wavefront6targetE0EEEvSL_.private_seg_size, 0
	.set _ZN7rocprim17ROCPRIM_400000_NS6detail17trampoline_kernelINS0_14default_configENS1_36segmented_radix_sort_config_selectorI12hip_bfloat16lEEZNS1_25segmented_radix_sort_implIS3_Lb1EPKS5_PS5_PKlPlN2at6native12_GLOBAL__N_18offset_tEEE10hipError_tPvRmT1_PNSt15iterator_traitsISL_E10value_typeET2_T3_PNSM_ISR_E10value_typeET4_jRbjT5_SX_jjP12ihipStream_tbEUlT_E2_NS1_11comp_targetILNS1_3genE5ELNS1_11target_archE942ELNS1_3gpuE9ELNS1_3repE0EEENS1_30default_config_static_selectorELNS0_4arch9wavefront6targetE0EEEvSL_.uses_vcc, 0
	.set _ZN7rocprim17ROCPRIM_400000_NS6detail17trampoline_kernelINS0_14default_configENS1_36segmented_radix_sort_config_selectorI12hip_bfloat16lEEZNS1_25segmented_radix_sort_implIS3_Lb1EPKS5_PS5_PKlPlN2at6native12_GLOBAL__N_18offset_tEEE10hipError_tPvRmT1_PNSt15iterator_traitsISL_E10value_typeET2_T3_PNSM_ISR_E10value_typeET4_jRbjT5_SX_jjP12ihipStream_tbEUlT_E2_NS1_11comp_targetILNS1_3genE5ELNS1_11target_archE942ELNS1_3gpuE9ELNS1_3repE0EEENS1_30default_config_static_selectorELNS0_4arch9wavefront6targetE0EEEvSL_.uses_flat_scratch, 0
	.set _ZN7rocprim17ROCPRIM_400000_NS6detail17trampoline_kernelINS0_14default_configENS1_36segmented_radix_sort_config_selectorI12hip_bfloat16lEEZNS1_25segmented_radix_sort_implIS3_Lb1EPKS5_PS5_PKlPlN2at6native12_GLOBAL__N_18offset_tEEE10hipError_tPvRmT1_PNSt15iterator_traitsISL_E10value_typeET2_T3_PNSM_ISR_E10value_typeET4_jRbjT5_SX_jjP12ihipStream_tbEUlT_E2_NS1_11comp_targetILNS1_3genE5ELNS1_11target_archE942ELNS1_3gpuE9ELNS1_3repE0EEENS1_30default_config_static_selectorELNS0_4arch9wavefront6targetE0EEEvSL_.has_dyn_sized_stack, 0
	.set _ZN7rocprim17ROCPRIM_400000_NS6detail17trampoline_kernelINS0_14default_configENS1_36segmented_radix_sort_config_selectorI12hip_bfloat16lEEZNS1_25segmented_radix_sort_implIS3_Lb1EPKS5_PS5_PKlPlN2at6native12_GLOBAL__N_18offset_tEEE10hipError_tPvRmT1_PNSt15iterator_traitsISL_E10value_typeET2_T3_PNSM_ISR_E10value_typeET4_jRbjT5_SX_jjP12ihipStream_tbEUlT_E2_NS1_11comp_targetILNS1_3genE5ELNS1_11target_archE942ELNS1_3gpuE9ELNS1_3repE0EEENS1_30default_config_static_selectorELNS0_4arch9wavefront6targetE0EEEvSL_.has_recursion, 0
	.set _ZN7rocprim17ROCPRIM_400000_NS6detail17trampoline_kernelINS0_14default_configENS1_36segmented_radix_sort_config_selectorI12hip_bfloat16lEEZNS1_25segmented_radix_sort_implIS3_Lb1EPKS5_PS5_PKlPlN2at6native12_GLOBAL__N_18offset_tEEE10hipError_tPvRmT1_PNSt15iterator_traitsISL_E10value_typeET2_T3_PNSM_ISR_E10value_typeET4_jRbjT5_SX_jjP12ihipStream_tbEUlT_E2_NS1_11comp_targetILNS1_3genE5ELNS1_11target_archE942ELNS1_3gpuE9ELNS1_3repE0EEENS1_30default_config_static_selectorELNS0_4arch9wavefront6targetE0EEEvSL_.has_indirect_call, 0
	.section	.AMDGPU.csdata,"",@progbits
; Kernel info:
; codeLenInByte = 0
; TotalNumSgprs: 0
; NumVgprs: 0
; ScratchSize: 0
; MemoryBound: 0
; FloatMode: 240
; IeeeMode: 1
; LDSByteSize: 0 bytes/workgroup (compile time only)
; SGPRBlocks: 0
; VGPRBlocks: 0
; NumSGPRsForWavesPerEU: 1
; NumVGPRsForWavesPerEU: 1
; Occupancy: 16
; WaveLimiterHint : 0
; COMPUTE_PGM_RSRC2:SCRATCH_EN: 0
; COMPUTE_PGM_RSRC2:USER_SGPR: 6
; COMPUTE_PGM_RSRC2:TRAP_HANDLER: 0
; COMPUTE_PGM_RSRC2:TGID_X_EN: 1
; COMPUTE_PGM_RSRC2:TGID_Y_EN: 0
; COMPUTE_PGM_RSRC2:TGID_Z_EN: 0
; COMPUTE_PGM_RSRC2:TIDIG_COMP_CNT: 0
	.section	.text._ZN7rocprim17ROCPRIM_400000_NS6detail17trampoline_kernelINS0_14default_configENS1_36segmented_radix_sort_config_selectorI12hip_bfloat16lEEZNS1_25segmented_radix_sort_implIS3_Lb1EPKS5_PS5_PKlPlN2at6native12_GLOBAL__N_18offset_tEEE10hipError_tPvRmT1_PNSt15iterator_traitsISL_E10value_typeET2_T3_PNSM_ISR_E10value_typeET4_jRbjT5_SX_jjP12ihipStream_tbEUlT_E2_NS1_11comp_targetILNS1_3genE4ELNS1_11target_archE910ELNS1_3gpuE8ELNS1_3repE0EEENS1_30default_config_static_selectorELNS0_4arch9wavefront6targetE0EEEvSL_,"axG",@progbits,_ZN7rocprim17ROCPRIM_400000_NS6detail17trampoline_kernelINS0_14default_configENS1_36segmented_radix_sort_config_selectorI12hip_bfloat16lEEZNS1_25segmented_radix_sort_implIS3_Lb1EPKS5_PS5_PKlPlN2at6native12_GLOBAL__N_18offset_tEEE10hipError_tPvRmT1_PNSt15iterator_traitsISL_E10value_typeET2_T3_PNSM_ISR_E10value_typeET4_jRbjT5_SX_jjP12ihipStream_tbEUlT_E2_NS1_11comp_targetILNS1_3genE4ELNS1_11target_archE910ELNS1_3gpuE8ELNS1_3repE0EEENS1_30default_config_static_selectorELNS0_4arch9wavefront6targetE0EEEvSL_,comdat
	.globl	_ZN7rocprim17ROCPRIM_400000_NS6detail17trampoline_kernelINS0_14default_configENS1_36segmented_radix_sort_config_selectorI12hip_bfloat16lEEZNS1_25segmented_radix_sort_implIS3_Lb1EPKS5_PS5_PKlPlN2at6native12_GLOBAL__N_18offset_tEEE10hipError_tPvRmT1_PNSt15iterator_traitsISL_E10value_typeET2_T3_PNSM_ISR_E10value_typeET4_jRbjT5_SX_jjP12ihipStream_tbEUlT_E2_NS1_11comp_targetILNS1_3genE4ELNS1_11target_archE910ELNS1_3gpuE8ELNS1_3repE0EEENS1_30default_config_static_selectorELNS0_4arch9wavefront6targetE0EEEvSL_ ; -- Begin function _ZN7rocprim17ROCPRIM_400000_NS6detail17trampoline_kernelINS0_14default_configENS1_36segmented_radix_sort_config_selectorI12hip_bfloat16lEEZNS1_25segmented_radix_sort_implIS3_Lb1EPKS5_PS5_PKlPlN2at6native12_GLOBAL__N_18offset_tEEE10hipError_tPvRmT1_PNSt15iterator_traitsISL_E10value_typeET2_T3_PNSM_ISR_E10value_typeET4_jRbjT5_SX_jjP12ihipStream_tbEUlT_E2_NS1_11comp_targetILNS1_3genE4ELNS1_11target_archE910ELNS1_3gpuE8ELNS1_3repE0EEENS1_30default_config_static_selectorELNS0_4arch9wavefront6targetE0EEEvSL_
	.p2align	8
	.type	_ZN7rocprim17ROCPRIM_400000_NS6detail17trampoline_kernelINS0_14default_configENS1_36segmented_radix_sort_config_selectorI12hip_bfloat16lEEZNS1_25segmented_radix_sort_implIS3_Lb1EPKS5_PS5_PKlPlN2at6native12_GLOBAL__N_18offset_tEEE10hipError_tPvRmT1_PNSt15iterator_traitsISL_E10value_typeET2_T3_PNSM_ISR_E10value_typeET4_jRbjT5_SX_jjP12ihipStream_tbEUlT_E2_NS1_11comp_targetILNS1_3genE4ELNS1_11target_archE910ELNS1_3gpuE8ELNS1_3repE0EEENS1_30default_config_static_selectorELNS0_4arch9wavefront6targetE0EEEvSL_,@function
_ZN7rocprim17ROCPRIM_400000_NS6detail17trampoline_kernelINS0_14default_configENS1_36segmented_radix_sort_config_selectorI12hip_bfloat16lEEZNS1_25segmented_radix_sort_implIS3_Lb1EPKS5_PS5_PKlPlN2at6native12_GLOBAL__N_18offset_tEEE10hipError_tPvRmT1_PNSt15iterator_traitsISL_E10value_typeET2_T3_PNSM_ISR_E10value_typeET4_jRbjT5_SX_jjP12ihipStream_tbEUlT_E2_NS1_11comp_targetILNS1_3genE4ELNS1_11target_archE910ELNS1_3gpuE8ELNS1_3repE0EEENS1_30default_config_static_selectorELNS0_4arch9wavefront6targetE0EEEvSL_: ; @_ZN7rocprim17ROCPRIM_400000_NS6detail17trampoline_kernelINS0_14default_configENS1_36segmented_radix_sort_config_selectorI12hip_bfloat16lEEZNS1_25segmented_radix_sort_implIS3_Lb1EPKS5_PS5_PKlPlN2at6native12_GLOBAL__N_18offset_tEEE10hipError_tPvRmT1_PNSt15iterator_traitsISL_E10value_typeET2_T3_PNSM_ISR_E10value_typeET4_jRbjT5_SX_jjP12ihipStream_tbEUlT_E2_NS1_11comp_targetILNS1_3genE4ELNS1_11target_archE910ELNS1_3gpuE8ELNS1_3repE0EEENS1_30default_config_static_selectorELNS0_4arch9wavefront6targetE0EEEvSL_
; %bb.0:
	.section	.rodata,"a",@progbits
	.p2align	6, 0x0
	.amdhsa_kernel _ZN7rocprim17ROCPRIM_400000_NS6detail17trampoline_kernelINS0_14default_configENS1_36segmented_radix_sort_config_selectorI12hip_bfloat16lEEZNS1_25segmented_radix_sort_implIS3_Lb1EPKS5_PS5_PKlPlN2at6native12_GLOBAL__N_18offset_tEEE10hipError_tPvRmT1_PNSt15iterator_traitsISL_E10value_typeET2_T3_PNSM_ISR_E10value_typeET4_jRbjT5_SX_jjP12ihipStream_tbEUlT_E2_NS1_11comp_targetILNS1_3genE4ELNS1_11target_archE910ELNS1_3gpuE8ELNS1_3repE0EEENS1_30default_config_static_selectorELNS0_4arch9wavefront6targetE0EEEvSL_
		.amdhsa_group_segment_fixed_size 0
		.amdhsa_private_segment_fixed_size 0
		.amdhsa_kernarg_size 80
		.amdhsa_user_sgpr_count 6
		.amdhsa_user_sgpr_private_segment_buffer 1
		.amdhsa_user_sgpr_dispatch_ptr 0
		.amdhsa_user_sgpr_queue_ptr 0
		.amdhsa_user_sgpr_kernarg_segment_ptr 1
		.amdhsa_user_sgpr_dispatch_id 0
		.amdhsa_user_sgpr_flat_scratch_init 0
		.amdhsa_user_sgpr_private_segment_size 0
		.amdhsa_wavefront_size32 1
		.amdhsa_uses_dynamic_stack 0
		.amdhsa_system_sgpr_private_segment_wavefront_offset 0
		.amdhsa_system_sgpr_workgroup_id_x 1
		.amdhsa_system_sgpr_workgroup_id_y 0
		.amdhsa_system_sgpr_workgroup_id_z 0
		.amdhsa_system_sgpr_workgroup_info 0
		.amdhsa_system_vgpr_workitem_id 0
		.amdhsa_next_free_vgpr 1
		.amdhsa_next_free_sgpr 1
		.amdhsa_reserve_vcc 0
		.amdhsa_reserve_flat_scratch 0
		.amdhsa_float_round_mode_32 0
		.amdhsa_float_round_mode_16_64 0
		.amdhsa_float_denorm_mode_32 3
		.amdhsa_float_denorm_mode_16_64 3
		.amdhsa_dx10_clamp 1
		.amdhsa_ieee_mode 1
		.amdhsa_fp16_overflow 0
		.amdhsa_workgroup_processor_mode 1
		.amdhsa_memory_ordered 1
		.amdhsa_forward_progress 1
		.amdhsa_shared_vgpr_count 0
		.amdhsa_exception_fp_ieee_invalid_op 0
		.amdhsa_exception_fp_denorm_src 0
		.amdhsa_exception_fp_ieee_div_zero 0
		.amdhsa_exception_fp_ieee_overflow 0
		.amdhsa_exception_fp_ieee_underflow 0
		.amdhsa_exception_fp_ieee_inexact 0
		.amdhsa_exception_int_div_zero 0
	.end_amdhsa_kernel
	.section	.text._ZN7rocprim17ROCPRIM_400000_NS6detail17trampoline_kernelINS0_14default_configENS1_36segmented_radix_sort_config_selectorI12hip_bfloat16lEEZNS1_25segmented_radix_sort_implIS3_Lb1EPKS5_PS5_PKlPlN2at6native12_GLOBAL__N_18offset_tEEE10hipError_tPvRmT1_PNSt15iterator_traitsISL_E10value_typeET2_T3_PNSM_ISR_E10value_typeET4_jRbjT5_SX_jjP12ihipStream_tbEUlT_E2_NS1_11comp_targetILNS1_3genE4ELNS1_11target_archE910ELNS1_3gpuE8ELNS1_3repE0EEENS1_30default_config_static_selectorELNS0_4arch9wavefront6targetE0EEEvSL_,"axG",@progbits,_ZN7rocprim17ROCPRIM_400000_NS6detail17trampoline_kernelINS0_14default_configENS1_36segmented_radix_sort_config_selectorI12hip_bfloat16lEEZNS1_25segmented_radix_sort_implIS3_Lb1EPKS5_PS5_PKlPlN2at6native12_GLOBAL__N_18offset_tEEE10hipError_tPvRmT1_PNSt15iterator_traitsISL_E10value_typeET2_T3_PNSM_ISR_E10value_typeET4_jRbjT5_SX_jjP12ihipStream_tbEUlT_E2_NS1_11comp_targetILNS1_3genE4ELNS1_11target_archE910ELNS1_3gpuE8ELNS1_3repE0EEENS1_30default_config_static_selectorELNS0_4arch9wavefront6targetE0EEEvSL_,comdat
.Lfunc_end1968:
	.size	_ZN7rocprim17ROCPRIM_400000_NS6detail17trampoline_kernelINS0_14default_configENS1_36segmented_radix_sort_config_selectorI12hip_bfloat16lEEZNS1_25segmented_radix_sort_implIS3_Lb1EPKS5_PS5_PKlPlN2at6native12_GLOBAL__N_18offset_tEEE10hipError_tPvRmT1_PNSt15iterator_traitsISL_E10value_typeET2_T3_PNSM_ISR_E10value_typeET4_jRbjT5_SX_jjP12ihipStream_tbEUlT_E2_NS1_11comp_targetILNS1_3genE4ELNS1_11target_archE910ELNS1_3gpuE8ELNS1_3repE0EEENS1_30default_config_static_selectorELNS0_4arch9wavefront6targetE0EEEvSL_, .Lfunc_end1968-_ZN7rocprim17ROCPRIM_400000_NS6detail17trampoline_kernelINS0_14default_configENS1_36segmented_radix_sort_config_selectorI12hip_bfloat16lEEZNS1_25segmented_radix_sort_implIS3_Lb1EPKS5_PS5_PKlPlN2at6native12_GLOBAL__N_18offset_tEEE10hipError_tPvRmT1_PNSt15iterator_traitsISL_E10value_typeET2_T3_PNSM_ISR_E10value_typeET4_jRbjT5_SX_jjP12ihipStream_tbEUlT_E2_NS1_11comp_targetILNS1_3genE4ELNS1_11target_archE910ELNS1_3gpuE8ELNS1_3repE0EEENS1_30default_config_static_selectorELNS0_4arch9wavefront6targetE0EEEvSL_
                                        ; -- End function
	.set _ZN7rocprim17ROCPRIM_400000_NS6detail17trampoline_kernelINS0_14default_configENS1_36segmented_radix_sort_config_selectorI12hip_bfloat16lEEZNS1_25segmented_radix_sort_implIS3_Lb1EPKS5_PS5_PKlPlN2at6native12_GLOBAL__N_18offset_tEEE10hipError_tPvRmT1_PNSt15iterator_traitsISL_E10value_typeET2_T3_PNSM_ISR_E10value_typeET4_jRbjT5_SX_jjP12ihipStream_tbEUlT_E2_NS1_11comp_targetILNS1_3genE4ELNS1_11target_archE910ELNS1_3gpuE8ELNS1_3repE0EEENS1_30default_config_static_selectorELNS0_4arch9wavefront6targetE0EEEvSL_.num_vgpr, 0
	.set _ZN7rocprim17ROCPRIM_400000_NS6detail17trampoline_kernelINS0_14default_configENS1_36segmented_radix_sort_config_selectorI12hip_bfloat16lEEZNS1_25segmented_radix_sort_implIS3_Lb1EPKS5_PS5_PKlPlN2at6native12_GLOBAL__N_18offset_tEEE10hipError_tPvRmT1_PNSt15iterator_traitsISL_E10value_typeET2_T3_PNSM_ISR_E10value_typeET4_jRbjT5_SX_jjP12ihipStream_tbEUlT_E2_NS1_11comp_targetILNS1_3genE4ELNS1_11target_archE910ELNS1_3gpuE8ELNS1_3repE0EEENS1_30default_config_static_selectorELNS0_4arch9wavefront6targetE0EEEvSL_.num_agpr, 0
	.set _ZN7rocprim17ROCPRIM_400000_NS6detail17trampoline_kernelINS0_14default_configENS1_36segmented_radix_sort_config_selectorI12hip_bfloat16lEEZNS1_25segmented_radix_sort_implIS3_Lb1EPKS5_PS5_PKlPlN2at6native12_GLOBAL__N_18offset_tEEE10hipError_tPvRmT1_PNSt15iterator_traitsISL_E10value_typeET2_T3_PNSM_ISR_E10value_typeET4_jRbjT5_SX_jjP12ihipStream_tbEUlT_E2_NS1_11comp_targetILNS1_3genE4ELNS1_11target_archE910ELNS1_3gpuE8ELNS1_3repE0EEENS1_30default_config_static_selectorELNS0_4arch9wavefront6targetE0EEEvSL_.numbered_sgpr, 0
	.set _ZN7rocprim17ROCPRIM_400000_NS6detail17trampoline_kernelINS0_14default_configENS1_36segmented_radix_sort_config_selectorI12hip_bfloat16lEEZNS1_25segmented_radix_sort_implIS3_Lb1EPKS5_PS5_PKlPlN2at6native12_GLOBAL__N_18offset_tEEE10hipError_tPvRmT1_PNSt15iterator_traitsISL_E10value_typeET2_T3_PNSM_ISR_E10value_typeET4_jRbjT5_SX_jjP12ihipStream_tbEUlT_E2_NS1_11comp_targetILNS1_3genE4ELNS1_11target_archE910ELNS1_3gpuE8ELNS1_3repE0EEENS1_30default_config_static_selectorELNS0_4arch9wavefront6targetE0EEEvSL_.num_named_barrier, 0
	.set _ZN7rocprim17ROCPRIM_400000_NS6detail17trampoline_kernelINS0_14default_configENS1_36segmented_radix_sort_config_selectorI12hip_bfloat16lEEZNS1_25segmented_radix_sort_implIS3_Lb1EPKS5_PS5_PKlPlN2at6native12_GLOBAL__N_18offset_tEEE10hipError_tPvRmT1_PNSt15iterator_traitsISL_E10value_typeET2_T3_PNSM_ISR_E10value_typeET4_jRbjT5_SX_jjP12ihipStream_tbEUlT_E2_NS1_11comp_targetILNS1_3genE4ELNS1_11target_archE910ELNS1_3gpuE8ELNS1_3repE0EEENS1_30default_config_static_selectorELNS0_4arch9wavefront6targetE0EEEvSL_.private_seg_size, 0
	.set _ZN7rocprim17ROCPRIM_400000_NS6detail17trampoline_kernelINS0_14default_configENS1_36segmented_radix_sort_config_selectorI12hip_bfloat16lEEZNS1_25segmented_radix_sort_implIS3_Lb1EPKS5_PS5_PKlPlN2at6native12_GLOBAL__N_18offset_tEEE10hipError_tPvRmT1_PNSt15iterator_traitsISL_E10value_typeET2_T3_PNSM_ISR_E10value_typeET4_jRbjT5_SX_jjP12ihipStream_tbEUlT_E2_NS1_11comp_targetILNS1_3genE4ELNS1_11target_archE910ELNS1_3gpuE8ELNS1_3repE0EEENS1_30default_config_static_selectorELNS0_4arch9wavefront6targetE0EEEvSL_.uses_vcc, 0
	.set _ZN7rocprim17ROCPRIM_400000_NS6detail17trampoline_kernelINS0_14default_configENS1_36segmented_radix_sort_config_selectorI12hip_bfloat16lEEZNS1_25segmented_radix_sort_implIS3_Lb1EPKS5_PS5_PKlPlN2at6native12_GLOBAL__N_18offset_tEEE10hipError_tPvRmT1_PNSt15iterator_traitsISL_E10value_typeET2_T3_PNSM_ISR_E10value_typeET4_jRbjT5_SX_jjP12ihipStream_tbEUlT_E2_NS1_11comp_targetILNS1_3genE4ELNS1_11target_archE910ELNS1_3gpuE8ELNS1_3repE0EEENS1_30default_config_static_selectorELNS0_4arch9wavefront6targetE0EEEvSL_.uses_flat_scratch, 0
	.set _ZN7rocprim17ROCPRIM_400000_NS6detail17trampoline_kernelINS0_14default_configENS1_36segmented_radix_sort_config_selectorI12hip_bfloat16lEEZNS1_25segmented_radix_sort_implIS3_Lb1EPKS5_PS5_PKlPlN2at6native12_GLOBAL__N_18offset_tEEE10hipError_tPvRmT1_PNSt15iterator_traitsISL_E10value_typeET2_T3_PNSM_ISR_E10value_typeET4_jRbjT5_SX_jjP12ihipStream_tbEUlT_E2_NS1_11comp_targetILNS1_3genE4ELNS1_11target_archE910ELNS1_3gpuE8ELNS1_3repE0EEENS1_30default_config_static_selectorELNS0_4arch9wavefront6targetE0EEEvSL_.has_dyn_sized_stack, 0
	.set _ZN7rocprim17ROCPRIM_400000_NS6detail17trampoline_kernelINS0_14default_configENS1_36segmented_radix_sort_config_selectorI12hip_bfloat16lEEZNS1_25segmented_radix_sort_implIS3_Lb1EPKS5_PS5_PKlPlN2at6native12_GLOBAL__N_18offset_tEEE10hipError_tPvRmT1_PNSt15iterator_traitsISL_E10value_typeET2_T3_PNSM_ISR_E10value_typeET4_jRbjT5_SX_jjP12ihipStream_tbEUlT_E2_NS1_11comp_targetILNS1_3genE4ELNS1_11target_archE910ELNS1_3gpuE8ELNS1_3repE0EEENS1_30default_config_static_selectorELNS0_4arch9wavefront6targetE0EEEvSL_.has_recursion, 0
	.set _ZN7rocprim17ROCPRIM_400000_NS6detail17trampoline_kernelINS0_14default_configENS1_36segmented_radix_sort_config_selectorI12hip_bfloat16lEEZNS1_25segmented_radix_sort_implIS3_Lb1EPKS5_PS5_PKlPlN2at6native12_GLOBAL__N_18offset_tEEE10hipError_tPvRmT1_PNSt15iterator_traitsISL_E10value_typeET2_T3_PNSM_ISR_E10value_typeET4_jRbjT5_SX_jjP12ihipStream_tbEUlT_E2_NS1_11comp_targetILNS1_3genE4ELNS1_11target_archE910ELNS1_3gpuE8ELNS1_3repE0EEENS1_30default_config_static_selectorELNS0_4arch9wavefront6targetE0EEEvSL_.has_indirect_call, 0
	.section	.AMDGPU.csdata,"",@progbits
; Kernel info:
; codeLenInByte = 0
; TotalNumSgprs: 0
; NumVgprs: 0
; ScratchSize: 0
; MemoryBound: 0
; FloatMode: 240
; IeeeMode: 1
; LDSByteSize: 0 bytes/workgroup (compile time only)
; SGPRBlocks: 0
; VGPRBlocks: 0
; NumSGPRsForWavesPerEU: 1
; NumVGPRsForWavesPerEU: 1
; Occupancy: 16
; WaveLimiterHint : 0
; COMPUTE_PGM_RSRC2:SCRATCH_EN: 0
; COMPUTE_PGM_RSRC2:USER_SGPR: 6
; COMPUTE_PGM_RSRC2:TRAP_HANDLER: 0
; COMPUTE_PGM_RSRC2:TGID_X_EN: 1
; COMPUTE_PGM_RSRC2:TGID_Y_EN: 0
; COMPUTE_PGM_RSRC2:TGID_Z_EN: 0
; COMPUTE_PGM_RSRC2:TIDIG_COMP_CNT: 0
	.section	.text._ZN7rocprim17ROCPRIM_400000_NS6detail17trampoline_kernelINS0_14default_configENS1_36segmented_radix_sort_config_selectorI12hip_bfloat16lEEZNS1_25segmented_radix_sort_implIS3_Lb1EPKS5_PS5_PKlPlN2at6native12_GLOBAL__N_18offset_tEEE10hipError_tPvRmT1_PNSt15iterator_traitsISL_E10value_typeET2_T3_PNSM_ISR_E10value_typeET4_jRbjT5_SX_jjP12ihipStream_tbEUlT_E2_NS1_11comp_targetILNS1_3genE3ELNS1_11target_archE908ELNS1_3gpuE7ELNS1_3repE0EEENS1_30default_config_static_selectorELNS0_4arch9wavefront6targetE0EEEvSL_,"axG",@progbits,_ZN7rocprim17ROCPRIM_400000_NS6detail17trampoline_kernelINS0_14default_configENS1_36segmented_radix_sort_config_selectorI12hip_bfloat16lEEZNS1_25segmented_radix_sort_implIS3_Lb1EPKS5_PS5_PKlPlN2at6native12_GLOBAL__N_18offset_tEEE10hipError_tPvRmT1_PNSt15iterator_traitsISL_E10value_typeET2_T3_PNSM_ISR_E10value_typeET4_jRbjT5_SX_jjP12ihipStream_tbEUlT_E2_NS1_11comp_targetILNS1_3genE3ELNS1_11target_archE908ELNS1_3gpuE7ELNS1_3repE0EEENS1_30default_config_static_selectorELNS0_4arch9wavefront6targetE0EEEvSL_,comdat
	.globl	_ZN7rocprim17ROCPRIM_400000_NS6detail17trampoline_kernelINS0_14default_configENS1_36segmented_radix_sort_config_selectorI12hip_bfloat16lEEZNS1_25segmented_radix_sort_implIS3_Lb1EPKS5_PS5_PKlPlN2at6native12_GLOBAL__N_18offset_tEEE10hipError_tPvRmT1_PNSt15iterator_traitsISL_E10value_typeET2_T3_PNSM_ISR_E10value_typeET4_jRbjT5_SX_jjP12ihipStream_tbEUlT_E2_NS1_11comp_targetILNS1_3genE3ELNS1_11target_archE908ELNS1_3gpuE7ELNS1_3repE0EEENS1_30default_config_static_selectorELNS0_4arch9wavefront6targetE0EEEvSL_ ; -- Begin function _ZN7rocprim17ROCPRIM_400000_NS6detail17trampoline_kernelINS0_14default_configENS1_36segmented_radix_sort_config_selectorI12hip_bfloat16lEEZNS1_25segmented_radix_sort_implIS3_Lb1EPKS5_PS5_PKlPlN2at6native12_GLOBAL__N_18offset_tEEE10hipError_tPvRmT1_PNSt15iterator_traitsISL_E10value_typeET2_T3_PNSM_ISR_E10value_typeET4_jRbjT5_SX_jjP12ihipStream_tbEUlT_E2_NS1_11comp_targetILNS1_3genE3ELNS1_11target_archE908ELNS1_3gpuE7ELNS1_3repE0EEENS1_30default_config_static_selectorELNS0_4arch9wavefront6targetE0EEEvSL_
	.p2align	8
	.type	_ZN7rocprim17ROCPRIM_400000_NS6detail17trampoline_kernelINS0_14default_configENS1_36segmented_radix_sort_config_selectorI12hip_bfloat16lEEZNS1_25segmented_radix_sort_implIS3_Lb1EPKS5_PS5_PKlPlN2at6native12_GLOBAL__N_18offset_tEEE10hipError_tPvRmT1_PNSt15iterator_traitsISL_E10value_typeET2_T3_PNSM_ISR_E10value_typeET4_jRbjT5_SX_jjP12ihipStream_tbEUlT_E2_NS1_11comp_targetILNS1_3genE3ELNS1_11target_archE908ELNS1_3gpuE7ELNS1_3repE0EEENS1_30default_config_static_selectorELNS0_4arch9wavefront6targetE0EEEvSL_,@function
_ZN7rocprim17ROCPRIM_400000_NS6detail17trampoline_kernelINS0_14default_configENS1_36segmented_radix_sort_config_selectorI12hip_bfloat16lEEZNS1_25segmented_radix_sort_implIS3_Lb1EPKS5_PS5_PKlPlN2at6native12_GLOBAL__N_18offset_tEEE10hipError_tPvRmT1_PNSt15iterator_traitsISL_E10value_typeET2_T3_PNSM_ISR_E10value_typeET4_jRbjT5_SX_jjP12ihipStream_tbEUlT_E2_NS1_11comp_targetILNS1_3genE3ELNS1_11target_archE908ELNS1_3gpuE7ELNS1_3repE0EEENS1_30default_config_static_selectorELNS0_4arch9wavefront6targetE0EEEvSL_: ; @_ZN7rocprim17ROCPRIM_400000_NS6detail17trampoline_kernelINS0_14default_configENS1_36segmented_radix_sort_config_selectorI12hip_bfloat16lEEZNS1_25segmented_radix_sort_implIS3_Lb1EPKS5_PS5_PKlPlN2at6native12_GLOBAL__N_18offset_tEEE10hipError_tPvRmT1_PNSt15iterator_traitsISL_E10value_typeET2_T3_PNSM_ISR_E10value_typeET4_jRbjT5_SX_jjP12ihipStream_tbEUlT_E2_NS1_11comp_targetILNS1_3genE3ELNS1_11target_archE908ELNS1_3gpuE7ELNS1_3repE0EEENS1_30default_config_static_selectorELNS0_4arch9wavefront6targetE0EEEvSL_
; %bb.0:
	.section	.rodata,"a",@progbits
	.p2align	6, 0x0
	.amdhsa_kernel _ZN7rocprim17ROCPRIM_400000_NS6detail17trampoline_kernelINS0_14default_configENS1_36segmented_radix_sort_config_selectorI12hip_bfloat16lEEZNS1_25segmented_radix_sort_implIS3_Lb1EPKS5_PS5_PKlPlN2at6native12_GLOBAL__N_18offset_tEEE10hipError_tPvRmT1_PNSt15iterator_traitsISL_E10value_typeET2_T3_PNSM_ISR_E10value_typeET4_jRbjT5_SX_jjP12ihipStream_tbEUlT_E2_NS1_11comp_targetILNS1_3genE3ELNS1_11target_archE908ELNS1_3gpuE7ELNS1_3repE0EEENS1_30default_config_static_selectorELNS0_4arch9wavefront6targetE0EEEvSL_
		.amdhsa_group_segment_fixed_size 0
		.amdhsa_private_segment_fixed_size 0
		.amdhsa_kernarg_size 80
		.amdhsa_user_sgpr_count 6
		.amdhsa_user_sgpr_private_segment_buffer 1
		.amdhsa_user_sgpr_dispatch_ptr 0
		.amdhsa_user_sgpr_queue_ptr 0
		.amdhsa_user_sgpr_kernarg_segment_ptr 1
		.amdhsa_user_sgpr_dispatch_id 0
		.amdhsa_user_sgpr_flat_scratch_init 0
		.amdhsa_user_sgpr_private_segment_size 0
		.amdhsa_wavefront_size32 1
		.amdhsa_uses_dynamic_stack 0
		.amdhsa_system_sgpr_private_segment_wavefront_offset 0
		.amdhsa_system_sgpr_workgroup_id_x 1
		.amdhsa_system_sgpr_workgroup_id_y 0
		.amdhsa_system_sgpr_workgroup_id_z 0
		.amdhsa_system_sgpr_workgroup_info 0
		.amdhsa_system_vgpr_workitem_id 0
		.amdhsa_next_free_vgpr 1
		.amdhsa_next_free_sgpr 1
		.amdhsa_reserve_vcc 0
		.amdhsa_reserve_flat_scratch 0
		.amdhsa_float_round_mode_32 0
		.amdhsa_float_round_mode_16_64 0
		.amdhsa_float_denorm_mode_32 3
		.amdhsa_float_denorm_mode_16_64 3
		.amdhsa_dx10_clamp 1
		.amdhsa_ieee_mode 1
		.amdhsa_fp16_overflow 0
		.amdhsa_workgroup_processor_mode 1
		.amdhsa_memory_ordered 1
		.amdhsa_forward_progress 1
		.amdhsa_shared_vgpr_count 0
		.amdhsa_exception_fp_ieee_invalid_op 0
		.amdhsa_exception_fp_denorm_src 0
		.amdhsa_exception_fp_ieee_div_zero 0
		.amdhsa_exception_fp_ieee_overflow 0
		.amdhsa_exception_fp_ieee_underflow 0
		.amdhsa_exception_fp_ieee_inexact 0
		.amdhsa_exception_int_div_zero 0
	.end_amdhsa_kernel
	.section	.text._ZN7rocprim17ROCPRIM_400000_NS6detail17trampoline_kernelINS0_14default_configENS1_36segmented_radix_sort_config_selectorI12hip_bfloat16lEEZNS1_25segmented_radix_sort_implIS3_Lb1EPKS5_PS5_PKlPlN2at6native12_GLOBAL__N_18offset_tEEE10hipError_tPvRmT1_PNSt15iterator_traitsISL_E10value_typeET2_T3_PNSM_ISR_E10value_typeET4_jRbjT5_SX_jjP12ihipStream_tbEUlT_E2_NS1_11comp_targetILNS1_3genE3ELNS1_11target_archE908ELNS1_3gpuE7ELNS1_3repE0EEENS1_30default_config_static_selectorELNS0_4arch9wavefront6targetE0EEEvSL_,"axG",@progbits,_ZN7rocprim17ROCPRIM_400000_NS6detail17trampoline_kernelINS0_14default_configENS1_36segmented_radix_sort_config_selectorI12hip_bfloat16lEEZNS1_25segmented_radix_sort_implIS3_Lb1EPKS5_PS5_PKlPlN2at6native12_GLOBAL__N_18offset_tEEE10hipError_tPvRmT1_PNSt15iterator_traitsISL_E10value_typeET2_T3_PNSM_ISR_E10value_typeET4_jRbjT5_SX_jjP12ihipStream_tbEUlT_E2_NS1_11comp_targetILNS1_3genE3ELNS1_11target_archE908ELNS1_3gpuE7ELNS1_3repE0EEENS1_30default_config_static_selectorELNS0_4arch9wavefront6targetE0EEEvSL_,comdat
.Lfunc_end1969:
	.size	_ZN7rocprim17ROCPRIM_400000_NS6detail17trampoline_kernelINS0_14default_configENS1_36segmented_radix_sort_config_selectorI12hip_bfloat16lEEZNS1_25segmented_radix_sort_implIS3_Lb1EPKS5_PS5_PKlPlN2at6native12_GLOBAL__N_18offset_tEEE10hipError_tPvRmT1_PNSt15iterator_traitsISL_E10value_typeET2_T3_PNSM_ISR_E10value_typeET4_jRbjT5_SX_jjP12ihipStream_tbEUlT_E2_NS1_11comp_targetILNS1_3genE3ELNS1_11target_archE908ELNS1_3gpuE7ELNS1_3repE0EEENS1_30default_config_static_selectorELNS0_4arch9wavefront6targetE0EEEvSL_, .Lfunc_end1969-_ZN7rocprim17ROCPRIM_400000_NS6detail17trampoline_kernelINS0_14default_configENS1_36segmented_radix_sort_config_selectorI12hip_bfloat16lEEZNS1_25segmented_radix_sort_implIS3_Lb1EPKS5_PS5_PKlPlN2at6native12_GLOBAL__N_18offset_tEEE10hipError_tPvRmT1_PNSt15iterator_traitsISL_E10value_typeET2_T3_PNSM_ISR_E10value_typeET4_jRbjT5_SX_jjP12ihipStream_tbEUlT_E2_NS1_11comp_targetILNS1_3genE3ELNS1_11target_archE908ELNS1_3gpuE7ELNS1_3repE0EEENS1_30default_config_static_selectorELNS0_4arch9wavefront6targetE0EEEvSL_
                                        ; -- End function
	.set _ZN7rocprim17ROCPRIM_400000_NS6detail17trampoline_kernelINS0_14default_configENS1_36segmented_radix_sort_config_selectorI12hip_bfloat16lEEZNS1_25segmented_radix_sort_implIS3_Lb1EPKS5_PS5_PKlPlN2at6native12_GLOBAL__N_18offset_tEEE10hipError_tPvRmT1_PNSt15iterator_traitsISL_E10value_typeET2_T3_PNSM_ISR_E10value_typeET4_jRbjT5_SX_jjP12ihipStream_tbEUlT_E2_NS1_11comp_targetILNS1_3genE3ELNS1_11target_archE908ELNS1_3gpuE7ELNS1_3repE0EEENS1_30default_config_static_selectorELNS0_4arch9wavefront6targetE0EEEvSL_.num_vgpr, 0
	.set _ZN7rocprim17ROCPRIM_400000_NS6detail17trampoline_kernelINS0_14default_configENS1_36segmented_radix_sort_config_selectorI12hip_bfloat16lEEZNS1_25segmented_radix_sort_implIS3_Lb1EPKS5_PS5_PKlPlN2at6native12_GLOBAL__N_18offset_tEEE10hipError_tPvRmT1_PNSt15iterator_traitsISL_E10value_typeET2_T3_PNSM_ISR_E10value_typeET4_jRbjT5_SX_jjP12ihipStream_tbEUlT_E2_NS1_11comp_targetILNS1_3genE3ELNS1_11target_archE908ELNS1_3gpuE7ELNS1_3repE0EEENS1_30default_config_static_selectorELNS0_4arch9wavefront6targetE0EEEvSL_.num_agpr, 0
	.set _ZN7rocprim17ROCPRIM_400000_NS6detail17trampoline_kernelINS0_14default_configENS1_36segmented_radix_sort_config_selectorI12hip_bfloat16lEEZNS1_25segmented_radix_sort_implIS3_Lb1EPKS5_PS5_PKlPlN2at6native12_GLOBAL__N_18offset_tEEE10hipError_tPvRmT1_PNSt15iterator_traitsISL_E10value_typeET2_T3_PNSM_ISR_E10value_typeET4_jRbjT5_SX_jjP12ihipStream_tbEUlT_E2_NS1_11comp_targetILNS1_3genE3ELNS1_11target_archE908ELNS1_3gpuE7ELNS1_3repE0EEENS1_30default_config_static_selectorELNS0_4arch9wavefront6targetE0EEEvSL_.numbered_sgpr, 0
	.set _ZN7rocprim17ROCPRIM_400000_NS6detail17trampoline_kernelINS0_14default_configENS1_36segmented_radix_sort_config_selectorI12hip_bfloat16lEEZNS1_25segmented_radix_sort_implIS3_Lb1EPKS5_PS5_PKlPlN2at6native12_GLOBAL__N_18offset_tEEE10hipError_tPvRmT1_PNSt15iterator_traitsISL_E10value_typeET2_T3_PNSM_ISR_E10value_typeET4_jRbjT5_SX_jjP12ihipStream_tbEUlT_E2_NS1_11comp_targetILNS1_3genE3ELNS1_11target_archE908ELNS1_3gpuE7ELNS1_3repE0EEENS1_30default_config_static_selectorELNS0_4arch9wavefront6targetE0EEEvSL_.num_named_barrier, 0
	.set _ZN7rocprim17ROCPRIM_400000_NS6detail17trampoline_kernelINS0_14default_configENS1_36segmented_radix_sort_config_selectorI12hip_bfloat16lEEZNS1_25segmented_radix_sort_implIS3_Lb1EPKS5_PS5_PKlPlN2at6native12_GLOBAL__N_18offset_tEEE10hipError_tPvRmT1_PNSt15iterator_traitsISL_E10value_typeET2_T3_PNSM_ISR_E10value_typeET4_jRbjT5_SX_jjP12ihipStream_tbEUlT_E2_NS1_11comp_targetILNS1_3genE3ELNS1_11target_archE908ELNS1_3gpuE7ELNS1_3repE0EEENS1_30default_config_static_selectorELNS0_4arch9wavefront6targetE0EEEvSL_.private_seg_size, 0
	.set _ZN7rocprim17ROCPRIM_400000_NS6detail17trampoline_kernelINS0_14default_configENS1_36segmented_radix_sort_config_selectorI12hip_bfloat16lEEZNS1_25segmented_radix_sort_implIS3_Lb1EPKS5_PS5_PKlPlN2at6native12_GLOBAL__N_18offset_tEEE10hipError_tPvRmT1_PNSt15iterator_traitsISL_E10value_typeET2_T3_PNSM_ISR_E10value_typeET4_jRbjT5_SX_jjP12ihipStream_tbEUlT_E2_NS1_11comp_targetILNS1_3genE3ELNS1_11target_archE908ELNS1_3gpuE7ELNS1_3repE0EEENS1_30default_config_static_selectorELNS0_4arch9wavefront6targetE0EEEvSL_.uses_vcc, 0
	.set _ZN7rocprim17ROCPRIM_400000_NS6detail17trampoline_kernelINS0_14default_configENS1_36segmented_radix_sort_config_selectorI12hip_bfloat16lEEZNS1_25segmented_radix_sort_implIS3_Lb1EPKS5_PS5_PKlPlN2at6native12_GLOBAL__N_18offset_tEEE10hipError_tPvRmT1_PNSt15iterator_traitsISL_E10value_typeET2_T3_PNSM_ISR_E10value_typeET4_jRbjT5_SX_jjP12ihipStream_tbEUlT_E2_NS1_11comp_targetILNS1_3genE3ELNS1_11target_archE908ELNS1_3gpuE7ELNS1_3repE0EEENS1_30default_config_static_selectorELNS0_4arch9wavefront6targetE0EEEvSL_.uses_flat_scratch, 0
	.set _ZN7rocprim17ROCPRIM_400000_NS6detail17trampoline_kernelINS0_14default_configENS1_36segmented_radix_sort_config_selectorI12hip_bfloat16lEEZNS1_25segmented_radix_sort_implIS3_Lb1EPKS5_PS5_PKlPlN2at6native12_GLOBAL__N_18offset_tEEE10hipError_tPvRmT1_PNSt15iterator_traitsISL_E10value_typeET2_T3_PNSM_ISR_E10value_typeET4_jRbjT5_SX_jjP12ihipStream_tbEUlT_E2_NS1_11comp_targetILNS1_3genE3ELNS1_11target_archE908ELNS1_3gpuE7ELNS1_3repE0EEENS1_30default_config_static_selectorELNS0_4arch9wavefront6targetE0EEEvSL_.has_dyn_sized_stack, 0
	.set _ZN7rocprim17ROCPRIM_400000_NS6detail17trampoline_kernelINS0_14default_configENS1_36segmented_radix_sort_config_selectorI12hip_bfloat16lEEZNS1_25segmented_radix_sort_implIS3_Lb1EPKS5_PS5_PKlPlN2at6native12_GLOBAL__N_18offset_tEEE10hipError_tPvRmT1_PNSt15iterator_traitsISL_E10value_typeET2_T3_PNSM_ISR_E10value_typeET4_jRbjT5_SX_jjP12ihipStream_tbEUlT_E2_NS1_11comp_targetILNS1_3genE3ELNS1_11target_archE908ELNS1_3gpuE7ELNS1_3repE0EEENS1_30default_config_static_selectorELNS0_4arch9wavefront6targetE0EEEvSL_.has_recursion, 0
	.set _ZN7rocprim17ROCPRIM_400000_NS6detail17trampoline_kernelINS0_14default_configENS1_36segmented_radix_sort_config_selectorI12hip_bfloat16lEEZNS1_25segmented_radix_sort_implIS3_Lb1EPKS5_PS5_PKlPlN2at6native12_GLOBAL__N_18offset_tEEE10hipError_tPvRmT1_PNSt15iterator_traitsISL_E10value_typeET2_T3_PNSM_ISR_E10value_typeET4_jRbjT5_SX_jjP12ihipStream_tbEUlT_E2_NS1_11comp_targetILNS1_3genE3ELNS1_11target_archE908ELNS1_3gpuE7ELNS1_3repE0EEENS1_30default_config_static_selectorELNS0_4arch9wavefront6targetE0EEEvSL_.has_indirect_call, 0
	.section	.AMDGPU.csdata,"",@progbits
; Kernel info:
; codeLenInByte = 0
; TotalNumSgprs: 0
; NumVgprs: 0
; ScratchSize: 0
; MemoryBound: 0
; FloatMode: 240
; IeeeMode: 1
; LDSByteSize: 0 bytes/workgroup (compile time only)
; SGPRBlocks: 0
; VGPRBlocks: 0
; NumSGPRsForWavesPerEU: 1
; NumVGPRsForWavesPerEU: 1
; Occupancy: 16
; WaveLimiterHint : 0
; COMPUTE_PGM_RSRC2:SCRATCH_EN: 0
; COMPUTE_PGM_RSRC2:USER_SGPR: 6
; COMPUTE_PGM_RSRC2:TRAP_HANDLER: 0
; COMPUTE_PGM_RSRC2:TGID_X_EN: 1
; COMPUTE_PGM_RSRC2:TGID_Y_EN: 0
; COMPUTE_PGM_RSRC2:TGID_Z_EN: 0
; COMPUTE_PGM_RSRC2:TIDIG_COMP_CNT: 0
	.section	.text._ZN7rocprim17ROCPRIM_400000_NS6detail17trampoline_kernelINS0_14default_configENS1_36segmented_radix_sort_config_selectorI12hip_bfloat16lEEZNS1_25segmented_radix_sort_implIS3_Lb1EPKS5_PS5_PKlPlN2at6native12_GLOBAL__N_18offset_tEEE10hipError_tPvRmT1_PNSt15iterator_traitsISL_E10value_typeET2_T3_PNSM_ISR_E10value_typeET4_jRbjT5_SX_jjP12ihipStream_tbEUlT_E2_NS1_11comp_targetILNS1_3genE2ELNS1_11target_archE906ELNS1_3gpuE6ELNS1_3repE0EEENS1_30default_config_static_selectorELNS0_4arch9wavefront6targetE0EEEvSL_,"axG",@progbits,_ZN7rocprim17ROCPRIM_400000_NS6detail17trampoline_kernelINS0_14default_configENS1_36segmented_radix_sort_config_selectorI12hip_bfloat16lEEZNS1_25segmented_radix_sort_implIS3_Lb1EPKS5_PS5_PKlPlN2at6native12_GLOBAL__N_18offset_tEEE10hipError_tPvRmT1_PNSt15iterator_traitsISL_E10value_typeET2_T3_PNSM_ISR_E10value_typeET4_jRbjT5_SX_jjP12ihipStream_tbEUlT_E2_NS1_11comp_targetILNS1_3genE2ELNS1_11target_archE906ELNS1_3gpuE6ELNS1_3repE0EEENS1_30default_config_static_selectorELNS0_4arch9wavefront6targetE0EEEvSL_,comdat
	.globl	_ZN7rocprim17ROCPRIM_400000_NS6detail17trampoline_kernelINS0_14default_configENS1_36segmented_radix_sort_config_selectorI12hip_bfloat16lEEZNS1_25segmented_radix_sort_implIS3_Lb1EPKS5_PS5_PKlPlN2at6native12_GLOBAL__N_18offset_tEEE10hipError_tPvRmT1_PNSt15iterator_traitsISL_E10value_typeET2_T3_PNSM_ISR_E10value_typeET4_jRbjT5_SX_jjP12ihipStream_tbEUlT_E2_NS1_11comp_targetILNS1_3genE2ELNS1_11target_archE906ELNS1_3gpuE6ELNS1_3repE0EEENS1_30default_config_static_selectorELNS0_4arch9wavefront6targetE0EEEvSL_ ; -- Begin function _ZN7rocprim17ROCPRIM_400000_NS6detail17trampoline_kernelINS0_14default_configENS1_36segmented_radix_sort_config_selectorI12hip_bfloat16lEEZNS1_25segmented_radix_sort_implIS3_Lb1EPKS5_PS5_PKlPlN2at6native12_GLOBAL__N_18offset_tEEE10hipError_tPvRmT1_PNSt15iterator_traitsISL_E10value_typeET2_T3_PNSM_ISR_E10value_typeET4_jRbjT5_SX_jjP12ihipStream_tbEUlT_E2_NS1_11comp_targetILNS1_3genE2ELNS1_11target_archE906ELNS1_3gpuE6ELNS1_3repE0EEENS1_30default_config_static_selectorELNS0_4arch9wavefront6targetE0EEEvSL_
	.p2align	8
	.type	_ZN7rocprim17ROCPRIM_400000_NS6detail17trampoline_kernelINS0_14default_configENS1_36segmented_radix_sort_config_selectorI12hip_bfloat16lEEZNS1_25segmented_radix_sort_implIS3_Lb1EPKS5_PS5_PKlPlN2at6native12_GLOBAL__N_18offset_tEEE10hipError_tPvRmT1_PNSt15iterator_traitsISL_E10value_typeET2_T3_PNSM_ISR_E10value_typeET4_jRbjT5_SX_jjP12ihipStream_tbEUlT_E2_NS1_11comp_targetILNS1_3genE2ELNS1_11target_archE906ELNS1_3gpuE6ELNS1_3repE0EEENS1_30default_config_static_selectorELNS0_4arch9wavefront6targetE0EEEvSL_,@function
_ZN7rocprim17ROCPRIM_400000_NS6detail17trampoline_kernelINS0_14default_configENS1_36segmented_radix_sort_config_selectorI12hip_bfloat16lEEZNS1_25segmented_radix_sort_implIS3_Lb1EPKS5_PS5_PKlPlN2at6native12_GLOBAL__N_18offset_tEEE10hipError_tPvRmT1_PNSt15iterator_traitsISL_E10value_typeET2_T3_PNSM_ISR_E10value_typeET4_jRbjT5_SX_jjP12ihipStream_tbEUlT_E2_NS1_11comp_targetILNS1_3genE2ELNS1_11target_archE906ELNS1_3gpuE6ELNS1_3repE0EEENS1_30default_config_static_selectorELNS0_4arch9wavefront6targetE0EEEvSL_: ; @_ZN7rocprim17ROCPRIM_400000_NS6detail17trampoline_kernelINS0_14default_configENS1_36segmented_radix_sort_config_selectorI12hip_bfloat16lEEZNS1_25segmented_radix_sort_implIS3_Lb1EPKS5_PS5_PKlPlN2at6native12_GLOBAL__N_18offset_tEEE10hipError_tPvRmT1_PNSt15iterator_traitsISL_E10value_typeET2_T3_PNSM_ISR_E10value_typeET4_jRbjT5_SX_jjP12ihipStream_tbEUlT_E2_NS1_11comp_targetILNS1_3genE2ELNS1_11target_archE906ELNS1_3gpuE6ELNS1_3repE0EEENS1_30default_config_static_selectorELNS0_4arch9wavefront6targetE0EEEvSL_
; %bb.0:
	.section	.rodata,"a",@progbits
	.p2align	6, 0x0
	.amdhsa_kernel _ZN7rocprim17ROCPRIM_400000_NS6detail17trampoline_kernelINS0_14default_configENS1_36segmented_radix_sort_config_selectorI12hip_bfloat16lEEZNS1_25segmented_radix_sort_implIS3_Lb1EPKS5_PS5_PKlPlN2at6native12_GLOBAL__N_18offset_tEEE10hipError_tPvRmT1_PNSt15iterator_traitsISL_E10value_typeET2_T3_PNSM_ISR_E10value_typeET4_jRbjT5_SX_jjP12ihipStream_tbEUlT_E2_NS1_11comp_targetILNS1_3genE2ELNS1_11target_archE906ELNS1_3gpuE6ELNS1_3repE0EEENS1_30default_config_static_selectorELNS0_4arch9wavefront6targetE0EEEvSL_
		.amdhsa_group_segment_fixed_size 0
		.amdhsa_private_segment_fixed_size 0
		.amdhsa_kernarg_size 80
		.amdhsa_user_sgpr_count 6
		.amdhsa_user_sgpr_private_segment_buffer 1
		.amdhsa_user_sgpr_dispatch_ptr 0
		.amdhsa_user_sgpr_queue_ptr 0
		.amdhsa_user_sgpr_kernarg_segment_ptr 1
		.amdhsa_user_sgpr_dispatch_id 0
		.amdhsa_user_sgpr_flat_scratch_init 0
		.amdhsa_user_sgpr_private_segment_size 0
		.amdhsa_wavefront_size32 1
		.amdhsa_uses_dynamic_stack 0
		.amdhsa_system_sgpr_private_segment_wavefront_offset 0
		.amdhsa_system_sgpr_workgroup_id_x 1
		.amdhsa_system_sgpr_workgroup_id_y 0
		.amdhsa_system_sgpr_workgroup_id_z 0
		.amdhsa_system_sgpr_workgroup_info 0
		.amdhsa_system_vgpr_workitem_id 0
		.amdhsa_next_free_vgpr 1
		.amdhsa_next_free_sgpr 1
		.amdhsa_reserve_vcc 0
		.amdhsa_reserve_flat_scratch 0
		.amdhsa_float_round_mode_32 0
		.amdhsa_float_round_mode_16_64 0
		.amdhsa_float_denorm_mode_32 3
		.amdhsa_float_denorm_mode_16_64 3
		.amdhsa_dx10_clamp 1
		.amdhsa_ieee_mode 1
		.amdhsa_fp16_overflow 0
		.amdhsa_workgroup_processor_mode 1
		.amdhsa_memory_ordered 1
		.amdhsa_forward_progress 1
		.amdhsa_shared_vgpr_count 0
		.amdhsa_exception_fp_ieee_invalid_op 0
		.amdhsa_exception_fp_denorm_src 0
		.amdhsa_exception_fp_ieee_div_zero 0
		.amdhsa_exception_fp_ieee_overflow 0
		.amdhsa_exception_fp_ieee_underflow 0
		.amdhsa_exception_fp_ieee_inexact 0
		.amdhsa_exception_int_div_zero 0
	.end_amdhsa_kernel
	.section	.text._ZN7rocprim17ROCPRIM_400000_NS6detail17trampoline_kernelINS0_14default_configENS1_36segmented_radix_sort_config_selectorI12hip_bfloat16lEEZNS1_25segmented_radix_sort_implIS3_Lb1EPKS5_PS5_PKlPlN2at6native12_GLOBAL__N_18offset_tEEE10hipError_tPvRmT1_PNSt15iterator_traitsISL_E10value_typeET2_T3_PNSM_ISR_E10value_typeET4_jRbjT5_SX_jjP12ihipStream_tbEUlT_E2_NS1_11comp_targetILNS1_3genE2ELNS1_11target_archE906ELNS1_3gpuE6ELNS1_3repE0EEENS1_30default_config_static_selectorELNS0_4arch9wavefront6targetE0EEEvSL_,"axG",@progbits,_ZN7rocprim17ROCPRIM_400000_NS6detail17trampoline_kernelINS0_14default_configENS1_36segmented_radix_sort_config_selectorI12hip_bfloat16lEEZNS1_25segmented_radix_sort_implIS3_Lb1EPKS5_PS5_PKlPlN2at6native12_GLOBAL__N_18offset_tEEE10hipError_tPvRmT1_PNSt15iterator_traitsISL_E10value_typeET2_T3_PNSM_ISR_E10value_typeET4_jRbjT5_SX_jjP12ihipStream_tbEUlT_E2_NS1_11comp_targetILNS1_3genE2ELNS1_11target_archE906ELNS1_3gpuE6ELNS1_3repE0EEENS1_30default_config_static_selectorELNS0_4arch9wavefront6targetE0EEEvSL_,comdat
.Lfunc_end1970:
	.size	_ZN7rocprim17ROCPRIM_400000_NS6detail17trampoline_kernelINS0_14default_configENS1_36segmented_radix_sort_config_selectorI12hip_bfloat16lEEZNS1_25segmented_radix_sort_implIS3_Lb1EPKS5_PS5_PKlPlN2at6native12_GLOBAL__N_18offset_tEEE10hipError_tPvRmT1_PNSt15iterator_traitsISL_E10value_typeET2_T3_PNSM_ISR_E10value_typeET4_jRbjT5_SX_jjP12ihipStream_tbEUlT_E2_NS1_11comp_targetILNS1_3genE2ELNS1_11target_archE906ELNS1_3gpuE6ELNS1_3repE0EEENS1_30default_config_static_selectorELNS0_4arch9wavefront6targetE0EEEvSL_, .Lfunc_end1970-_ZN7rocprim17ROCPRIM_400000_NS6detail17trampoline_kernelINS0_14default_configENS1_36segmented_radix_sort_config_selectorI12hip_bfloat16lEEZNS1_25segmented_radix_sort_implIS3_Lb1EPKS5_PS5_PKlPlN2at6native12_GLOBAL__N_18offset_tEEE10hipError_tPvRmT1_PNSt15iterator_traitsISL_E10value_typeET2_T3_PNSM_ISR_E10value_typeET4_jRbjT5_SX_jjP12ihipStream_tbEUlT_E2_NS1_11comp_targetILNS1_3genE2ELNS1_11target_archE906ELNS1_3gpuE6ELNS1_3repE0EEENS1_30default_config_static_selectorELNS0_4arch9wavefront6targetE0EEEvSL_
                                        ; -- End function
	.set _ZN7rocprim17ROCPRIM_400000_NS6detail17trampoline_kernelINS0_14default_configENS1_36segmented_radix_sort_config_selectorI12hip_bfloat16lEEZNS1_25segmented_radix_sort_implIS3_Lb1EPKS5_PS5_PKlPlN2at6native12_GLOBAL__N_18offset_tEEE10hipError_tPvRmT1_PNSt15iterator_traitsISL_E10value_typeET2_T3_PNSM_ISR_E10value_typeET4_jRbjT5_SX_jjP12ihipStream_tbEUlT_E2_NS1_11comp_targetILNS1_3genE2ELNS1_11target_archE906ELNS1_3gpuE6ELNS1_3repE0EEENS1_30default_config_static_selectorELNS0_4arch9wavefront6targetE0EEEvSL_.num_vgpr, 0
	.set _ZN7rocprim17ROCPRIM_400000_NS6detail17trampoline_kernelINS0_14default_configENS1_36segmented_radix_sort_config_selectorI12hip_bfloat16lEEZNS1_25segmented_radix_sort_implIS3_Lb1EPKS5_PS5_PKlPlN2at6native12_GLOBAL__N_18offset_tEEE10hipError_tPvRmT1_PNSt15iterator_traitsISL_E10value_typeET2_T3_PNSM_ISR_E10value_typeET4_jRbjT5_SX_jjP12ihipStream_tbEUlT_E2_NS1_11comp_targetILNS1_3genE2ELNS1_11target_archE906ELNS1_3gpuE6ELNS1_3repE0EEENS1_30default_config_static_selectorELNS0_4arch9wavefront6targetE0EEEvSL_.num_agpr, 0
	.set _ZN7rocprim17ROCPRIM_400000_NS6detail17trampoline_kernelINS0_14default_configENS1_36segmented_radix_sort_config_selectorI12hip_bfloat16lEEZNS1_25segmented_radix_sort_implIS3_Lb1EPKS5_PS5_PKlPlN2at6native12_GLOBAL__N_18offset_tEEE10hipError_tPvRmT1_PNSt15iterator_traitsISL_E10value_typeET2_T3_PNSM_ISR_E10value_typeET4_jRbjT5_SX_jjP12ihipStream_tbEUlT_E2_NS1_11comp_targetILNS1_3genE2ELNS1_11target_archE906ELNS1_3gpuE6ELNS1_3repE0EEENS1_30default_config_static_selectorELNS0_4arch9wavefront6targetE0EEEvSL_.numbered_sgpr, 0
	.set _ZN7rocprim17ROCPRIM_400000_NS6detail17trampoline_kernelINS0_14default_configENS1_36segmented_radix_sort_config_selectorI12hip_bfloat16lEEZNS1_25segmented_radix_sort_implIS3_Lb1EPKS5_PS5_PKlPlN2at6native12_GLOBAL__N_18offset_tEEE10hipError_tPvRmT1_PNSt15iterator_traitsISL_E10value_typeET2_T3_PNSM_ISR_E10value_typeET4_jRbjT5_SX_jjP12ihipStream_tbEUlT_E2_NS1_11comp_targetILNS1_3genE2ELNS1_11target_archE906ELNS1_3gpuE6ELNS1_3repE0EEENS1_30default_config_static_selectorELNS0_4arch9wavefront6targetE0EEEvSL_.num_named_barrier, 0
	.set _ZN7rocprim17ROCPRIM_400000_NS6detail17trampoline_kernelINS0_14default_configENS1_36segmented_radix_sort_config_selectorI12hip_bfloat16lEEZNS1_25segmented_radix_sort_implIS3_Lb1EPKS5_PS5_PKlPlN2at6native12_GLOBAL__N_18offset_tEEE10hipError_tPvRmT1_PNSt15iterator_traitsISL_E10value_typeET2_T3_PNSM_ISR_E10value_typeET4_jRbjT5_SX_jjP12ihipStream_tbEUlT_E2_NS1_11comp_targetILNS1_3genE2ELNS1_11target_archE906ELNS1_3gpuE6ELNS1_3repE0EEENS1_30default_config_static_selectorELNS0_4arch9wavefront6targetE0EEEvSL_.private_seg_size, 0
	.set _ZN7rocprim17ROCPRIM_400000_NS6detail17trampoline_kernelINS0_14default_configENS1_36segmented_radix_sort_config_selectorI12hip_bfloat16lEEZNS1_25segmented_radix_sort_implIS3_Lb1EPKS5_PS5_PKlPlN2at6native12_GLOBAL__N_18offset_tEEE10hipError_tPvRmT1_PNSt15iterator_traitsISL_E10value_typeET2_T3_PNSM_ISR_E10value_typeET4_jRbjT5_SX_jjP12ihipStream_tbEUlT_E2_NS1_11comp_targetILNS1_3genE2ELNS1_11target_archE906ELNS1_3gpuE6ELNS1_3repE0EEENS1_30default_config_static_selectorELNS0_4arch9wavefront6targetE0EEEvSL_.uses_vcc, 0
	.set _ZN7rocprim17ROCPRIM_400000_NS6detail17trampoline_kernelINS0_14default_configENS1_36segmented_radix_sort_config_selectorI12hip_bfloat16lEEZNS1_25segmented_radix_sort_implIS3_Lb1EPKS5_PS5_PKlPlN2at6native12_GLOBAL__N_18offset_tEEE10hipError_tPvRmT1_PNSt15iterator_traitsISL_E10value_typeET2_T3_PNSM_ISR_E10value_typeET4_jRbjT5_SX_jjP12ihipStream_tbEUlT_E2_NS1_11comp_targetILNS1_3genE2ELNS1_11target_archE906ELNS1_3gpuE6ELNS1_3repE0EEENS1_30default_config_static_selectorELNS0_4arch9wavefront6targetE0EEEvSL_.uses_flat_scratch, 0
	.set _ZN7rocprim17ROCPRIM_400000_NS6detail17trampoline_kernelINS0_14default_configENS1_36segmented_radix_sort_config_selectorI12hip_bfloat16lEEZNS1_25segmented_radix_sort_implIS3_Lb1EPKS5_PS5_PKlPlN2at6native12_GLOBAL__N_18offset_tEEE10hipError_tPvRmT1_PNSt15iterator_traitsISL_E10value_typeET2_T3_PNSM_ISR_E10value_typeET4_jRbjT5_SX_jjP12ihipStream_tbEUlT_E2_NS1_11comp_targetILNS1_3genE2ELNS1_11target_archE906ELNS1_3gpuE6ELNS1_3repE0EEENS1_30default_config_static_selectorELNS0_4arch9wavefront6targetE0EEEvSL_.has_dyn_sized_stack, 0
	.set _ZN7rocprim17ROCPRIM_400000_NS6detail17trampoline_kernelINS0_14default_configENS1_36segmented_radix_sort_config_selectorI12hip_bfloat16lEEZNS1_25segmented_radix_sort_implIS3_Lb1EPKS5_PS5_PKlPlN2at6native12_GLOBAL__N_18offset_tEEE10hipError_tPvRmT1_PNSt15iterator_traitsISL_E10value_typeET2_T3_PNSM_ISR_E10value_typeET4_jRbjT5_SX_jjP12ihipStream_tbEUlT_E2_NS1_11comp_targetILNS1_3genE2ELNS1_11target_archE906ELNS1_3gpuE6ELNS1_3repE0EEENS1_30default_config_static_selectorELNS0_4arch9wavefront6targetE0EEEvSL_.has_recursion, 0
	.set _ZN7rocprim17ROCPRIM_400000_NS6detail17trampoline_kernelINS0_14default_configENS1_36segmented_radix_sort_config_selectorI12hip_bfloat16lEEZNS1_25segmented_radix_sort_implIS3_Lb1EPKS5_PS5_PKlPlN2at6native12_GLOBAL__N_18offset_tEEE10hipError_tPvRmT1_PNSt15iterator_traitsISL_E10value_typeET2_T3_PNSM_ISR_E10value_typeET4_jRbjT5_SX_jjP12ihipStream_tbEUlT_E2_NS1_11comp_targetILNS1_3genE2ELNS1_11target_archE906ELNS1_3gpuE6ELNS1_3repE0EEENS1_30default_config_static_selectorELNS0_4arch9wavefront6targetE0EEEvSL_.has_indirect_call, 0
	.section	.AMDGPU.csdata,"",@progbits
; Kernel info:
; codeLenInByte = 0
; TotalNumSgprs: 0
; NumVgprs: 0
; ScratchSize: 0
; MemoryBound: 0
; FloatMode: 240
; IeeeMode: 1
; LDSByteSize: 0 bytes/workgroup (compile time only)
; SGPRBlocks: 0
; VGPRBlocks: 0
; NumSGPRsForWavesPerEU: 1
; NumVGPRsForWavesPerEU: 1
; Occupancy: 16
; WaveLimiterHint : 0
; COMPUTE_PGM_RSRC2:SCRATCH_EN: 0
; COMPUTE_PGM_RSRC2:USER_SGPR: 6
; COMPUTE_PGM_RSRC2:TRAP_HANDLER: 0
; COMPUTE_PGM_RSRC2:TGID_X_EN: 1
; COMPUTE_PGM_RSRC2:TGID_Y_EN: 0
; COMPUTE_PGM_RSRC2:TGID_Z_EN: 0
; COMPUTE_PGM_RSRC2:TIDIG_COMP_CNT: 0
	.section	.text._ZN7rocprim17ROCPRIM_400000_NS6detail17trampoline_kernelINS0_14default_configENS1_36segmented_radix_sort_config_selectorI12hip_bfloat16lEEZNS1_25segmented_radix_sort_implIS3_Lb1EPKS5_PS5_PKlPlN2at6native12_GLOBAL__N_18offset_tEEE10hipError_tPvRmT1_PNSt15iterator_traitsISL_E10value_typeET2_T3_PNSM_ISR_E10value_typeET4_jRbjT5_SX_jjP12ihipStream_tbEUlT_E2_NS1_11comp_targetILNS1_3genE10ELNS1_11target_archE1201ELNS1_3gpuE5ELNS1_3repE0EEENS1_30default_config_static_selectorELNS0_4arch9wavefront6targetE0EEEvSL_,"axG",@progbits,_ZN7rocprim17ROCPRIM_400000_NS6detail17trampoline_kernelINS0_14default_configENS1_36segmented_radix_sort_config_selectorI12hip_bfloat16lEEZNS1_25segmented_radix_sort_implIS3_Lb1EPKS5_PS5_PKlPlN2at6native12_GLOBAL__N_18offset_tEEE10hipError_tPvRmT1_PNSt15iterator_traitsISL_E10value_typeET2_T3_PNSM_ISR_E10value_typeET4_jRbjT5_SX_jjP12ihipStream_tbEUlT_E2_NS1_11comp_targetILNS1_3genE10ELNS1_11target_archE1201ELNS1_3gpuE5ELNS1_3repE0EEENS1_30default_config_static_selectorELNS0_4arch9wavefront6targetE0EEEvSL_,comdat
	.globl	_ZN7rocprim17ROCPRIM_400000_NS6detail17trampoline_kernelINS0_14default_configENS1_36segmented_radix_sort_config_selectorI12hip_bfloat16lEEZNS1_25segmented_radix_sort_implIS3_Lb1EPKS5_PS5_PKlPlN2at6native12_GLOBAL__N_18offset_tEEE10hipError_tPvRmT1_PNSt15iterator_traitsISL_E10value_typeET2_T3_PNSM_ISR_E10value_typeET4_jRbjT5_SX_jjP12ihipStream_tbEUlT_E2_NS1_11comp_targetILNS1_3genE10ELNS1_11target_archE1201ELNS1_3gpuE5ELNS1_3repE0EEENS1_30default_config_static_selectorELNS0_4arch9wavefront6targetE0EEEvSL_ ; -- Begin function _ZN7rocprim17ROCPRIM_400000_NS6detail17trampoline_kernelINS0_14default_configENS1_36segmented_radix_sort_config_selectorI12hip_bfloat16lEEZNS1_25segmented_radix_sort_implIS3_Lb1EPKS5_PS5_PKlPlN2at6native12_GLOBAL__N_18offset_tEEE10hipError_tPvRmT1_PNSt15iterator_traitsISL_E10value_typeET2_T3_PNSM_ISR_E10value_typeET4_jRbjT5_SX_jjP12ihipStream_tbEUlT_E2_NS1_11comp_targetILNS1_3genE10ELNS1_11target_archE1201ELNS1_3gpuE5ELNS1_3repE0EEENS1_30default_config_static_selectorELNS0_4arch9wavefront6targetE0EEEvSL_
	.p2align	8
	.type	_ZN7rocprim17ROCPRIM_400000_NS6detail17trampoline_kernelINS0_14default_configENS1_36segmented_radix_sort_config_selectorI12hip_bfloat16lEEZNS1_25segmented_radix_sort_implIS3_Lb1EPKS5_PS5_PKlPlN2at6native12_GLOBAL__N_18offset_tEEE10hipError_tPvRmT1_PNSt15iterator_traitsISL_E10value_typeET2_T3_PNSM_ISR_E10value_typeET4_jRbjT5_SX_jjP12ihipStream_tbEUlT_E2_NS1_11comp_targetILNS1_3genE10ELNS1_11target_archE1201ELNS1_3gpuE5ELNS1_3repE0EEENS1_30default_config_static_selectorELNS0_4arch9wavefront6targetE0EEEvSL_,@function
_ZN7rocprim17ROCPRIM_400000_NS6detail17trampoline_kernelINS0_14default_configENS1_36segmented_radix_sort_config_selectorI12hip_bfloat16lEEZNS1_25segmented_radix_sort_implIS3_Lb1EPKS5_PS5_PKlPlN2at6native12_GLOBAL__N_18offset_tEEE10hipError_tPvRmT1_PNSt15iterator_traitsISL_E10value_typeET2_T3_PNSM_ISR_E10value_typeET4_jRbjT5_SX_jjP12ihipStream_tbEUlT_E2_NS1_11comp_targetILNS1_3genE10ELNS1_11target_archE1201ELNS1_3gpuE5ELNS1_3repE0EEENS1_30default_config_static_selectorELNS0_4arch9wavefront6targetE0EEEvSL_: ; @_ZN7rocprim17ROCPRIM_400000_NS6detail17trampoline_kernelINS0_14default_configENS1_36segmented_radix_sort_config_selectorI12hip_bfloat16lEEZNS1_25segmented_radix_sort_implIS3_Lb1EPKS5_PS5_PKlPlN2at6native12_GLOBAL__N_18offset_tEEE10hipError_tPvRmT1_PNSt15iterator_traitsISL_E10value_typeET2_T3_PNSM_ISR_E10value_typeET4_jRbjT5_SX_jjP12ihipStream_tbEUlT_E2_NS1_11comp_targetILNS1_3genE10ELNS1_11target_archE1201ELNS1_3gpuE5ELNS1_3repE0EEENS1_30default_config_static_selectorELNS0_4arch9wavefront6targetE0EEEvSL_
; %bb.0:
	.section	.rodata,"a",@progbits
	.p2align	6, 0x0
	.amdhsa_kernel _ZN7rocprim17ROCPRIM_400000_NS6detail17trampoline_kernelINS0_14default_configENS1_36segmented_radix_sort_config_selectorI12hip_bfloat16lEEZNS1_25segmented_radix_sort_implIS3_Lb1EPKS5_PS5_PKlPlN2at6native12_GLOBAL__N_18offset_tEEE10hipError_tPvRmT1_PNSt15iterator_traitsISL_E10value_typeET2_T3_PNSM_ISR_E10value_typeET4_jRbjT5_SX_jjP12ihipStream_tbEUlT_E2_NS1_11comp_targetILNS1_3genE10ELNS1_11target_archE1201ELNS1_3gpuE5ELNS1_3repE0EEENS1_30default_config_static_selectorELNS0_4arch9wavefront6targetE0EEEvSL_
		.amdhsa_group_segment_fixed_size 0
		.amdhsa_private_segment_fixed_size 0
		.amdhsa_kernarg_size 80
		.amdhsa_user_sgpr_count 6
		.amdhsa_user_sgpr_private_segment_buffer 1
		.amdhsa_user_sgpr_dispatch_ptr 0
		.amdhsa_user_sgpr_queue_ptr 0
		.amdhsa_user_sgpr_kernarg_segment_ptr 1
		.amdhsa_user_sgpr_dispatch_id 0
		.amdhsa_user_sgpr_flat_scratch_init 0
		.amdhsa_user_sgpr_private_segment_size 0
		.amdhsa_wavefront_size32 1
		.amdhsa_uses_dynamic_stack 0
		.amdhsa_system_sgpr_private_segment_wavefront_offset 0
		.amdhsa_system_sgpr_workgroup_id_x 1
		.amdhsa_system_sgpr_workgroup_id_y 0
		.amdhsa_system_sgpr_workgroup_id_z 0
		.amdhsa_system_sgpr_workgroup_info 0
		.amdhsa_system_vgpr_workitem_id 0
		.amdhsa_next_free_vgpr 1
		.amdhsa_next_free_sgpr 1
		.amdhsa_reserve_vcc 0
		.amdhsa_reserve_flat_scratch 0
		.amdhsa_float_round_mode_32 0
		.amdhsa_float_round_mode_16_64 0
		.amdhsa_float_denorm_mode_32 3
		.amdhsa_float_denorm_mode_16_64 3
		.amdhsa_dx10_clamp 1
		.amdhsa_ieee_mode 1
		.amdhsa_fp16_overflow 0
		.amdhsa_workgroup_processor_mode 1
		.amdhsa_memory_ordered 1
		.amdhsa_forward_progress 1
		.amdhsa_shared_vgpr_count 0
		.amdhsa_exception_fp_ieee_invalid_op 0
		.amdhsa_exception_fp_denorm_src 0
		.amdhsa_exception_fp_ieee_div_zero 0
		.amdhsa_exception_fp_ieee_overflow 0
		.amdhsa_exception_fp_ieee_underflow 0
		.amdhsa_exception_fp_ieee_inexact 0
		.amdhsa_exception_int_div_zero 0
	.end_amdhsa_kernel
	.section	.text._ZN7rocprim17ROCPRIM_400000_NS6detail17trampoline_kernelINS0_14default_configENS1_36segmented_radix_sort_config_selectorI12hip_bfloat16lEEZNS1_25segmented_radix_sort_implIS3_Lb1EPKS5_PS5_PKlPlN2at6native12_GLOBAL__N_18offset_tEEE10hipError_tPvRmT1_PNSt15iterator_traitsISL_E10value_typeET2_T3_PNSM_ISR_E10value_typeET4_jRbjT5_SX_jjP12ihipStream_tbEUlT_E2_NS1_11comp_targetILNS1_3genE10ELNS1_11target_archE1201ELNS1_3gpuE5ELNS1_3repE0EEENS1_30default_config_static_selectorELNS0_4arch9wavefront6targetE0EEEvSL_,"axG",@progbits,_ZN7rocprim17ROCPRIM_400000_NS6detail17trampoline_kernelINS0_14default_configENS1_36segmented_radix_sort_config_selectorI12hip_bfloat16lEEZNS1_25segmented_radix_sort_implIS3_Lb1EPKS5_PS5_PKlPlN2at6native12_GLOBAL__N_18offset_tEEE10hipError_tPvRmT1_PNSt15iterator_traitsISL_E10value_typeET2_T3_PNSM_ISR_E10value_typeET4_jRbjT5_SX_jjP12ihipStream_tbEUlT_E2_NS1_11comp_targetILNS1_3genE10ELNS1_11target_archE1201ELNS1_3gpuE5ELNS1_3repE0EEENS1_30default_config_static_selectorELNS0_4arch9wavefront6targetE0EEEvSL_,comdat
.Lfunc_end1971:
	.size	_ZN7rocprim17ROCPRIM_400000_NS6detail17trampoline_kernelINS0_14default_configENS1_36segmented_radix_sort_config_selectorI12hip_bfloat16lEEZNS1_25segmented_radix_sort_implIS3_Lb1EPKS5_PS5_PKlPlN2at6native12_GLOBAL__N_18offset_tEEE10hipError_tPvRmT1_PNSt15iterator_traitsISL_E10value_typeET2_T3_PNSM_ISR_E10value_typeET4_jRbjT5_SX_jjP12ihipStream_tbEUlT_E2_NS1_11comp_targetILNS1_3genE10ELNS1_11target_archE1201ELNS1_3gpuE5ELNS1_3repE0EEENS1_30default_config_static_selectorELNS0_4arch9wavefront6targetE0EEEvSL_, .Lfunc_end1971-_ZN7rocprim17ROCPRIM_400000_NS6detail17trampoline_kernelINS0_14default_configENS1_36segmented_radix_sort_config_selectorI12hip_bfloat16lEEZNS1_25segmented_radix_sort_implIS3_Lb1EPKS5_PS5_PKlPlN2at6native12_GLOBAL__N_18offset_tEEE10hipError_tPvRmT1_PNSt15iterator_traitsISL_E10value_typeET2_T3_PNSM_ISR_E10value_typeET4_jRbjT5_SX_jjP12ihipStream_tbEUlT_E2_NS1_11comp_targetILNS1_3genE10ELNS1_11target_archE1201ELNS1_3gpuE5ELNS1_3repE0EEENS1_30default_config_static_selectorELNS0_4arch9wavefront6targetE0EEEvSL_
                                        ; -- End function
	.set _ZN7rocprim17ROCPRIM_400000_NS6detail17trampoline_kernelINS0_14default_configENS1_36segmented_radix_sort_config_selectorI12hip_bfloat16lEEZNS1_25segmented_radix_sort_implIS3_Lb1EPKS5_PS5_PKlPlN2at6native12_GLOBAL__N_18offset_tEEE10hipError_tPvRmT1_PNSt15iterator_traitsISL_E10value_typeET2_T3_PNSM_ISR_E10value_typeET4_jRbjT5_SX_jjP12ihipStream_tbEUlT_E2_NS1_11comp_targetILNS1_3genE10ELNS1_11target_archE1201ELNS1_3gpuE5ELNS1_3repE0EEENS1_30default_config_static_selectorELNS0_4arch9wavefront6targetE0EEEvSL_.num_vgpr, 0
	.set _ZN7rocprim17ROCPRIM_400000_NS6detail17trampoline_kernelINS0_14default_configENS1_36segmented_radix_sort_config_selectorI12hip_bfloat16lEEZNS1_25segmented_radix_sort_implIS3_Lb1EPKS5_PS5_PKlPlN2at6native12_GLOBAL__N_18offset_tEEE10hipError_tPvRmT1_PNSt15iterator_traitsISL_E10value_typeET2_T3_PNSM_ISR_E10value_typeET4_jRbjT5_SX_jjP12ihipStream_tbEUlT_E2_NS1_11comp_targetILNS1_3genE10ELNS1_11target_archE1201ELNS1_3gpuE5ELNS1_3repE0EEENS1_30default_config_static_selectorELNS0_4arch9wavefront6targetE0EEEvSL_.num_agpr, 0
	.set _ZN7rocprim17ROCPRIM_400000_NS6detail17trampoline_kernelINS0_14default_configENS1_36segmented_radix_sort_config_selectorI12hip_bfloat16lEEZNS1_25segmented_radix_sort_implIS3_Lb1EPKS5_PS5_PKlPlN2at6native12_GLOBAL__N_18offset_tEEE10hipError_tPvRmT1_PNSt15iterator_traitsISL_E10value_typeET2_T3_PNSM_ISR_E10value_typeET4_jRbjT5_SX_jjP12ihipStream_tbEUlT_E2_NS1_11comp_targetILNS1_3genE10ELNS1_11target_archE1201ELNS1_3gpuE5ELNS1_3repE0EEENS1_30default_config_static_selectorELNS0_4arch9wavefront6targetE0EEEvSL_.numbered_sgpr, 0
	.set _ZN7rocprim17ROCPRIM_400000_NS6detail17trampoline_kernelINS0_14default_configENS1_36segmented_radix_sort_config_selectorI12hip_bfloat16lEEZNS1_25segmented_radix_sort_implIS3_Lb1EPKS5_PS5_PKlPlN2at6native12_GLOBAL__N_18offset_tEEE10hipError_tPvRmT1_PNSt15iterator_traitsISL_E10value_typeET2_T3_PNSM_ISR_E10value_typeET4_jRbjT5_SX_jjP12ihipStream_tbEUlT_E2_NS1_11comp_targetILNS1_3genE10ELNS1_11target_archE1201ELNS1_3gpuE5ELNS1_3repE0EEENS1_30default_config_static_selectorELNS0_4arch9wavefront6targetE0EEEvSL_.num_named_barrier, 0
	.set _ZN7rocprim17ROCPRIM_400000_NS6detail17trampoline_kernelINS0_14default_configENS1_36segmented_radix_sort_config_selectorI12hip_bfloat16lEEZNS1_25segmented_radix_sort_implIS3_Lb1EPKS5_PS5_PKlPlN2at6native12_GLOBAL__N_18offset_tEEE10hipError_tPvRmT1_PNSt15iterator_traitsISL_E10value_typeET2_T3_PNSM_ISR_E10value_typeET4_jRbjT5_SX_jjP12ihipStream_tbEUlT_E2_NS1_11comp_targetILNS1_3genE10ELNS1_11target_archE1201ELNS1_3gpuE5ELNS1_3repE0EEENS1_30default_config_static_selectorELNS0_4arch9wavefront6targetE0EEEvSL_.private_seg_size, 0
	.set _ZN7rocprim17ROCPRIM_400000_NS6detail17trampoline_kernelINS0_14default_configENS1_36segmented_radix_sort_config_selectorI12hip_bfloat16lEEZNS1_25segmented_radix_sort_implIS3_Lb1EPKS5_PS5_PKlPlN2at6native12_GLOBAL__N_18offset_tEEE10hipError_tPvRmT1_PNSt15iterator_traitsISL_E10value_typeET2_T3_PNSM_ISR_E10value_typeET4_jRbjT5_SX_jjP12ihipStream_tbEUlT_E2_NS1_11comp_targetILNS1_3genE10ELNS1_11target_archE1201ELNS1_3gpuE5ELNS1_3repE0EEENS1_30default_config_static_selectorELNS0_4arch9wavefront6targetE0EEEvSL_.uses_vcc, 0
	.set _ZN7rocprim17ROCPRIM_400000_NS6detail17trampoline_kernelINS0_14default_configENS1_36segmented_radix_sort_config_selectorI12hip_bfloat16lEEZNS1_25segmented_radix_sort_implIS3_Lb1EPKS5_PS5_PKlPlN2at6native12_GLOBAL__N_18offset_tEEE10hipError_tPvRmT1_PNSt15iterator_traitsISL_E10value_typeET2_T3_PNSM_ISR_E10value_typeET4_jRbjT5_SX_jjP12ihipStream_tbEUlT_E2_NS1_11comp_targetILNS1_3genE10ELNS1_11target_archE1201ELNS1_3gpuE5ELNS1_3repE0EEENS1_30default_config_static_selectorELNS0_4arch9wavefront6targetE0EEEvSL_.uses_flat_scratch, 0
	.set _ZN7rocprim17ROCPRIM_400000_NS6detail17trampoline_kernelINS0_14default_configENS1_36segmented_radix_sort_config_selectorI12hip_bfloat16lEEZNS1_25segmented_radix_sort_implIS3_Lb1EPKS5_PS5_PKlPlN2at6native12_GLOBAL__N_18offset_tEEE10hipError_tPvRmT1_PNSt15iterator_traitsISL_E10value_typeET2_T3_PNSM_ISR_E10value_typeET4_jRbjT5_SX_jjP12ihipStream_tbEUlT_E2_NS1_11comp_targetILNS1_3genE10ELNS1_11target_archE1201ELNS1_3gpuE5ELNS1_3repE0EEENS1_30default_config_static_selectorELNS0_4arch9wavefront6targetE0EEEvSL_.has_dyn_sized_stack, 0
	.set _ZN7rocprim17ROCPRIM_400000_NS6detail17trampoline_kernelINS0_14default_configENS1_36segmented_radix_sort_config_selectorI12hip_bfloat16lEEZNS1_25segmented_radix_sort_implIS3_Lb1EPKS5_PS5_PKlPlN2at6native12_GLOBAL__N_18offset_tEEE10hipError_tPvRmT1_PNSt15iterator_traitsISL_E10value_typeET2_T3_PNSM_ISR_E10value_typeET4_jRbjT5_SX_jjP12ihipStream_tbEUlT_E2_NS1_11comp_targetILNS1_3genE10ELNS1_11target_archE1201ELNS1_3gpuE5ELNS1_3repE0EEENS1_30default_config_static_selectorELNS0_4arch9wavefront6targetE0EEEvSL_.has_recursion, 0
	.set _ZN7rocprim17ROCPRIM_400000_NS6detail17trampoline_kernelINS0_14default_configENS1_36segmented_radix_sort_config_selectorI12hip_bfloat16lEEZNS1_25segmented_radix_sort_implIS3_Lb1EPKS5_PS5_PKlPlN2at6native12_GLOBAL__N_18offset_tEEE10hipError_tPvRmT1_PNSt15iterator_traitsISL_E10value_typeET2_T3_PNSM_ISR_E10value_typeET4_jRbjT5_SX_jjP12ihipStream_tbEUlT_E2_NS1_11comp_targetILNS1_3genE10ELNS1_11target_archE1201ELNS1_3gpuE5ELNS1_3repE0EEENS1_30default_config_static_selectorELNS0_4arch9wavefront6targetE0EEEvSL_.has_indirect_call, 0
	.section	.AMDGPU.csdata,"",@progbits
; Kernel info:
; codeLenInByte = 0
; TotalNumSgprs: 0
; NumVgprs: 0
; ScratchSize: 0
; MemoryBound: 0
; FloatMode: 240
; IeeeMode: 1
; LDSByteSize: 0 bytes/workgroup (compile time only)
; SGPRBlocks: 0
; VGPRBlocks: 0
; NumSGPRsForWavesPerEU: 1
; NumVGPRsForWavesPerEU: 1
; Occupancy: 16
; WaveLimiterHint : 0
; COMPUTE_PGM_RSRC2:SCRATCH_EN: 0
; COMPUTE_PGM_RSRC2:USER_SGPR: 6
; COMPUTE_PGM_RSRC2:TRAP_HANDLER: 0
; COMPUTE_PGM_RSRC2:TGID_X_EN: 1
; COMPUTE_PGM_RSRC2:TGID_Y_EN: 0
; COMPUTE_PGM_RSRC2:TGID_Z_EN: 0
; COMPUTE_PGM_RSRC2:TIDIG_COMP_CNT: 0
	.section	.text._ZN7rocprim17ROCPRIM_400000_NS6detail17trampoline_kernelINS0_14default_configENS1_36segmented_radix_sort_config_selectorI12hip_bfloat16lEEZNS1_25segmented_radix_sort_implIS3_Lb1EPKS5_PS5_PKlPlN2at6native12_GLOBAL__N_18offset_tEEE10hipError_tPvRmT1_PNSt15iterator_traitsISL_E10value_typeET2_T3_PNSM_ISR_E10value_typeET4_jRbjT5_SX_jjP12ihipStream_tbEUlT_E2_NS1_11comp_targetILNS1_3genE10ELNS1_11target_archE1200ELNS1_3gpuE4ELNS1_3repE0EEENS1_30default_config_static_selectorELNS0_4arch9wavefront6targetE0EEEvSL_,"axG",@progbits,_ZN7rocprim17ROCPRIM_400000_NS6detail17trampoline_kernelINS0_14default_configENS1_36segmented_radix_sort_config_selectorI12hip_bfloat16lEEZNS1_25segmented_radix_sort_implIS3_Lb1EPKS5_PS5_PKlPlN2at6native12_GLOBAL__N_18offset_tEEE10hipError_tPvRmT1_PNSt15iterator_traitsISL_E10value_typeET2_T3_PNSM_ISR_E10value_typeET4_jRbjT5_SX_jjP12ihipStream_tbEUlT_E2_NS1_11comp_targetILNS1_3genE10ELNS1_11target_archE1200ELNS1_3gpuE4ELNS1_3repE0EEENS1_30default_config_static_selectorELNS0_4arch9wavefront6targetE0EEEvSL_,comdat
	.globl	_ZN7rocprim17ROCPRIM_400000_NS6detail17trampoline_kernelINS0_14default_configENS1_36segmented_radix_sort_config_selectorI12hip_bfloat16lEEZNS1_25segmented_radix_sort_implIS3_Lb1EPKS5_PS5_PKlPlN2at6native12_GLOBAL__N_18offset_tEEE10hipError_tPvRmT1_PNSt15iterator_traitsISL_E10value_typeET2_T3_PNSM_ISR_E10value_typeET4_jRbjT5_SX_jjP12ihipStream_tbEUlT_E2_NS1_11comp_targetILNS1_3genE10ELNS1_11target_archE1200ELNS1_3gpuE4ELNS1_3repE0EEENS1_30default_config_static_selectorELNS0_4arch9wavefront6targetE0EEEvSL_ ; -- Begin function _ZN7rocprim17ROCPRIM_400000_NS6detail17trampoline_kernelINS0_14default_configENS1_36segmented_radix_sort_config_selectorI12hip_bfloat16lEEZNS1_25segmented_radix_sort_implIS3_Lb1EPKS5_PS5_PKlPlN2at6native12_GLOBAL__N_18offset_tEEE10hipError_tPvRmT1_PNSt15iterator_traitsISL_E10value_typeET2_T3_PNSM_ISR_E10value_typeET4_jRbjT5_SX_jjP12ihipStream_tbEUlT_E2_NS1_11comp_targetILNS1_3genE10ELNS1_11target_archE1200ELNS1_3gpuE4ELNS1_3repE0EEENS1_30default_config_static_selectorELNS0_4arch9wavefront6targetE0EEEvSL_
	.p2align	8
	.type	_ZN7rocprim17ROCPRIM_400000_NS6detail17trampoline_kernelINS0_14default_configENS1_36segmented_radix_sort_config_selectorI12hip_bfloat16lEEZNS1_25segmented_radix_sort_implIS3_Lb1EPKS5_PS5_PKlPlN2at6native12_GLOBAL__N_18offset_tEEE10hipError_tPvRmT1_PNSt15iterator_traitsISL_E10value_typeET2_T3_PNSM_ISR_E10value_typeET4_jRbjT5_SX_jjP12ihipStream_tbEUlT_E2_NS1_11comp_targetILNS1_3genE10ELNS1_11target_archE1200ELNS1_3gpuE4ELNS1_3repE0EEENS1_30default_config_static_selectorELNS0_4arch9wavefront6targetE0EEEvSL_,@function
_ZN7rocprim17ROCPRIM_400000_NS6detail17trampoline_kernelINS0_14default_configENS1_36segmented_radix_sort_config_selectorI12hip_bfloat16lEEZNS1_25segmented_radix_sort_implIS3_Lb1EPKS5_PS5_PKlPlN2at6native12_GLOBAL__N_18offset_tEEE10hipError_tPvRmT1_PNSt15iterator_traitsISL_E10value_typeET2_T3_PNSM_ISR_E10value_typeET4_jRbjT5_SX_jjP12ihipStream_tbEUlT_E2_NS1_11comp_targetILNS1_3genE10ELNS1_11target_archE1200ELNS1_3gpuE4ELNS1_3repE0EEENS1_30default_config_static_selectorELNS0_4arch9wavefront6targetE0EEEvSL_: ; @_ZN7rocprim17ROCPRIM_400000_NS6detail17trampoline_kernelINS0_14default_configENS1_36segmented_radix_sort_config_selectorI12hip_bfloat16lEEZNS1_25segmented_radix_sort_implIS3_Lb1EPKS5_PS5_PKlPlN2at6native12_GLOBAL__N_18offset_tEEE10hipError_tPvRmT1_PNSt15iterator_traitsISL_E10value_typeET2_T3_PNSM_ISR_E10value_typeET4_jRbjT5_SX_jjP12ihipStream_tbEUlT_E2_NS1_11comp_targetILNS1_3genE10ELNS1_11target_archE1200ELNS1_3gpuE4ELNS1_3repE0EEENS1_30default_config_static_selectorELNS0_4arch9wavefront6targetE0EEEvSL_
; %bb.0:
	.section	.rodata,"a",@progbits
	.p2align	6, 0x0
	.amdhsa_kernel _ZN7rocprim17ROCPRIM_400000_NS6detail17trampoline_kernelINS0_14default_configENS1_36segmented_radix_sort_config_selectorI12hip_bfloat16lEEZNS1_25segmented_radix_sort_implIS3_Lb1EPKS5_PS5_PKlPlN2at6native12_GLOBAL__N_18offset_tEEE10hipError_tPvRmT1_PNSt15iterator_traitsISL_E10value_typeET2_T3_PNSM_ISR_E10value_typeET4_jRbjT5_SX_jjP12ihipStream_tbEUlT_E2_NS1_11comp_targetILNS1_3genE10ELNS1_11target_archE1200ELNS1_3gpuE4ELNS1_3repE0EEENS1_30default_config_static_selectorELNS0_4arch9wavefront6targetE0EEEvSL_
		.amdhsa_group_segment_fixed_size 0
		.amdhsa_private_segment_fixed_size 0
		.amdhsa_kernarg_size 80
		.amdhsa_user_sgpr_count 6
		.amdhsa_user_sgpr_private_segment_buffer 1
		.amdhsa_user_sgpr_dispatch_ptr 0
		.amdhsa_user_sgpr_queue_ptr 0
		.amdhsa_user_sgpr_kernarg_segment_ptr 1
		.amdhsa_user_sgpr_dispatch_id 0
		.amdhsa_user_sgpr_flat_scratch_init 0
		.amdhsa_user_sgpr_private_segment_size 0
		.amdhsa_wavefront_size32 1
		.amdhsa_uses_dynamic_stack 0
		.amdhsa_system_sgpr_private_segment_wavefront_offset 0
		.amdhsa_system_sgpr_workgroup_id_x 1
		.amdhsa_system_sgpr_workgroup_id_y 0
		.amdhsa_system_sgpr_workgroup_id_z 0
		.amdhsa_system_sgpr_workgroup_info 0
		.amdhsa_system_vgpr_workitem_id 0
		.amdhsa_next_free_vgpr 1
		.amdhsa_next_free_sgpr 1
		.amdhsa_reserve_vcc 0
		.amdhsa_reserve_flat_scratch 0
		.amdhsa_float_round_mode_32 0
		.amdhsa_float_round_mode_16_64 0
		.amdhsa_float_denorm_mode_32 3
		.amdhsa_float_denorm_mode_16_64 3
		.amdhsa_dx10_clamp 1
		.amdhsa_ieee_mode 1
		.amdhsa_fp16_overflow 0
		.amdhsa_workgroup_processor_mode 1
		.amdhsa_memory_ordered 1
		.amdhsa_forward_progress 1
		.amdhsa_shared_vgpr_count 0
		.amdhsa_exception_fp_ieee_invalid_op 0
		.amdhsa_exception_fp_denorm_src 0
		.amdhsa_exception_fp_ieee_div_zero 0
		.amdhsa_exception_fp_ieee_overflow 0
		.amdhsa_exception_fp_ieee_underflow 0
		.amdhsa_exception_fp_ieee_inexact 0
		.amdhsa_exception_int_div_zero 0
	.end_amdhsa_kernel
	.section	.text._ZN7rocprim17ROCPRIM_400000_NS6detail17trampoline_kernelINS0_14default_configENS1_36segmented_radix_sort_config_selectorI12hip_bfloat16lEEZNS1_25segmented_radix_sort_implIS3_Lb1EPKS5_PS5_PKlPlN2at6native12_GLOBAL__N_18offset_tEEE10hipError_tPvRmT1_PNSt15iterator_traitsISL_E10value_typeET2_T3_PNSM_ISR_E10value_typeET4_jRbjT5_SX_jjP12ihipStream_tbEUlT_E2_NS1_11comp_targetILNS1_3genE10ELNS1_11target_archE1200ELNS1_3gpuE4ELNS1_3repE0EEENS1_30default_config_static_selectorELNS0_4arch9wavefront6targetE0EEEvSL_,"axG",@progbits,_ZN7rocprim17ROCPRIM_400000_NS6detail17trampoline_kernelINS0_14default_configENS1_36segmented_radix_sort_config_selectorI12hip_bfloat16lEEZNS1_25segmented_radix_sort_implIS3_Lb1EPKS5_PS5_PKlPlN2at6native12_GLOBAL__N_18offset_tEEE10hipError_tPvRmT1_PNSt15iterator_traitsISL_E10value_typeET2_T3_PNSM_ISR_E10value_typeET4_jRbjT5_SX_jjP12ihipStream_tbEUlT_E2_NS1_11comp_targetILNS1_3genE10ELNS1_11target_archE1200ELNS1_3gpuE4ELNS1_3repE0EEENS1_30default_config_static_selectorELNS0_4arch9wavefront6targetE0EEEvSL_,comdat
.Lfunc_end1972:
	.size	_ZN7rocprim17ROCPRIM_400000_NS6detail17trampoline_kernelINS0_14default_configENS1_36segmented_radix_sort_config_selectorI12hip_bfloat16lEEZNS1_25segmented_radix_sort_implIS3_Lb1EPKS5_PS5_PKlPlN2at6native12_GLOBAL__N_18offset_tEEE10hipError_tPvRmT1_PNSt15iterator_traitsISL_E10value_typeET2_T3_PNSM_ISR_E10value_typeET4_jRbjT5_SX_jjP12ihipStream_tbEUlT_E2_NS1_11comp_targetILNS1_3genE10ELNS1_11target_archE1200ELNS1_3gpuE4ELNS1_3repE0EEENS1_30default_config_static_selectorELNS0_4arch9wavefront6targetE0EEEvSL_, .Lfunc_end1972-_ZN7rocprim17ROCPRIM_400000_NS6detail17trampoline_kernelINS0_14default_configENS1_36segmented_radix_sort_config_selectorI12hip_bfloat16lEEZNS1_25segmented_radix_sort_implIS3_Lb1EPKS5_PS5_PKlPlN2at6native12_GLOBAL__N_18offset_tEEE10hipError_tPvRmT1_PNSt15iterator_traitsISL_E10value_typeET2_T3_PNSM_ISR_E10value_typeET4_jRbjT5_SX_jjP12ihipStream_tbEUlT_E2_NS1_11comp_targetILNS1_3genE10ELNS1_11target_archE1200ELNS1_3gpuE4ELNS1_3repE0EEENS1_30default_config_static_selectorELNS0_4arch9wavefront6targetE0EEEvSL_
                                        ; -- End function
	.set _ZN7rocprim17ROCPRIM_400000_NS6detail17trampoline_kernelINS0_14default_configENS1_36segmented_radix_sort_config_selectorI12hip_bfloat16lEEZNS1_25segmented_radix_sort_implIS3_Lb1EPKS5_PS5_PKlPlN2at6native12_GLOBAL__N_18offset_tEEE10hipError_tPvRmT1_PNSt15iterator_traitsISL_E10value_typeET2_T3_PNSM_ISR_E10value_typeET4_jRbjT5_SX_jjP12ihipStream_tbEUlT_E2_NS1_11comp_targetILNS1_3genE10ELNS1_11target_archE1200ELNS1_3gpuE4ELNS1_3repE0EEENS1_30default_config_static_selectorELNS0_4arch9wavefront6targetE0EEEvSL_.num_vgpr, 0
	.set _ZN7rocprim17ROCPRIM_400000_NS6detail17trampoline_kernelINS0_14default_configENS1_36segmented_radix_sort_config_selectorI12hip_bfloat16lEEZNS1_25segmented_radix_sort_implIS3_Lb1EPKS5_PS5_PKlPlN2at6native12_GLOBAL__N_18offset_tEEE10hipError_tPvRmT1_PNSt15iterator_traitsISL_E10value_typeET2_T3_PNSM_ISR_E10value_typeET4_jRbjT5_SX_jjP12ihipStream_tbEUlT_E2_NS1_11comp_targetILNS1_3genE10ELNS1_11target_archE1200ELNS1_3gpuE4ELNS1_3repE0EEENS1_30default_config_static_selectorELNS0_4arch9wavefront6targetE0EEEvSL_.num_agpr, 0
	.set _ZN7rocprim17ROCPRIM_400000_NS6detail17trampoline_kernelINS0_14default_configENS1_36segmented_radix_sort_config_selectorI12hip_bfloat16lEEZNS1_25segmented_radix_sort_implIS3_Lb1EPKS5_PS5_PKlPlN2at6native12_GLOBAL__N_18offset_tEEE10hipError_tPvRmT1_PNSt15iterator_traitsISL_E10value_typeET2_T3_PNSM_ISR_E10value_typeET4_jRbjT5_SX_jjP12ihipStream_tbEUlT_E2_NS1_11comp_targetILNS1_3genE10ELNS1_11target_archE1200ELNS1_3gpuE4ELNS1_3repE0EEENS1_30default_config_static_selectorELNS0_4arch9wavefront6targetE0EEEvSL_.numbered_sgpr, 0
	.set _ZN7rocprim17ROCPRIM_400000_NS6detail17trampoline_kernelINS0_14default_configENS1_36segmented_radix_sort_config_selectorI12hip_bfloat16lEEZNS1_25segmented_radix_sort_implIS3_Lb1EPKS5_PS5_PKlPlN2at6native12_GLOBAL__N_18offset_tEEE10hipError_tPvRmT1_PNSt15iterator_traitsISL_E10value_typeET2_T3_PNSM_ISR_E10value_typeET4_jRbjT5_SX_jjP12ihipStream_tbEUlT_E2_NS1_11comp_targetILNS1_3genE10ELNS1_11target_archE1200ELNS1_3gpuE4ELNS1_3repE0EEENS1_30default_config_static_selectorELNS0_4arch9wavefront6targetE0EEEvSL_.num_named_barrier, 0
	.set _ZN7rocprim17ROCPRIM_400000_NS6detail17trampoline_kernelINS0_14default_configENS1_36segmented_radix_sort_config_selectorI12hip_bfloat16lEEZNS1_25segmented_radix_sort_implIS3_Lb1EPKS5_PS5_PKlPlN2at6native12_GLOBAL__N_18offset_tEEE10hipError_tPvRmT1_PNSt15iterator_traitsISL_E10value_typeET2_T3_PNSM_ISR_E10value_typeET4_jRbjT5_SX_jjP12ihipStream_tbEUlT_E2_NS1_11comp_targetILNS1_3genE10ELNS1_11target_archE1200ELNS1_3gpuE4ELNS1_3repE0EEENS1_30default_config_static_selectorELNS0_4arch9wavefront6targetE0EEEvSL_.private_seg_size, 0
	.set _ZN7rocprim17ROCPRIM_400000_NS6detail17trampoline_kernelINS0_14default_configENS1_36segmented_radix_sort_config_selectorI12hip_bfloat16lEEZNS1_25segmented_radix_sort_implIS3_Lb1EPKS5_PS5_PKlPlN2at6native12_GLOBAL__N_18offset_tEEE10hipError_tPvRmT1_PNSt15iterator_traitsISL_E10value_typeET2_T3_PNSM_ISR_E10value_typeET4_jRbjT5_SX_jjP12ihipStream_tbEUlT_E2_NS1_11comp_targetILNS1_3genE10ELNS1_11target_archE1200ELNS1_3gpuE4ELNS1_3repE0EEENS1_30default_config_static_selectorELNS0_4arch9wavefront6targetE0EEEvSL_.uses_vcc, 0
	.set _ZN7rocprim17ROCPRIM_400000_NS6detail17trampoline_kernelINS0_14default_configENS1_36segmented_radix_sort_config_selectorI12hip_bfloat16lEEZNS1_25segmented_radix_sort_implIS3_Lb1EPKS5_PS5_PKlPlN2at6native12_GLOBAL__N_18offset_tEEE10hipError_tPvRmT1_PNSt15iterator_traitsISL_E10value_typeET2_T3_PNSM_ISR_E10value_typeET4_jRbjT5_SX_jjP12ihipStream_tbEUlT_E2_NS1_11comp_targetILNS1_3genE10ELNS1_11target_archE1200ELNS1_3gpuE4ELNS1_3repE0EEENS1_30default_config_static_selectorELNS0_4arch9wavefront6targetE0EEEvSL_.uses_flat_scratch, 0
	.set _ZN7rocprim17ROCPRIM_400000_NS6detail17trampoline_kernelINS0_14default_configENS1_36segmented_radix_sort_config_selectorI12hip_bfloat16lEEZNS1_25segmented_radix_sort_implIS3_Lb1EPKS5_PS5_PKlPlN2at6native12_GLOBAL__N_18offset_tEEE10hipError_tPvRmT1_PNSt15iterator_traitsISL_E10value_typeET2_T3_PNSM_ISR_E10value_typeET4_jRbjT5_SX_jjP12ihipStream_tbEUlT_E2_NS1_11comp_targetILNS1_3genE10ELNS1_11target_archE1200ELNS1_3gpuE4ELNS1_3repE0EEENS1_30default_config_static_selectorELNS0_4arch9wavefront6targetE0EEEvSL_.has_dyn_sized_stack, 0
	.set _ZN7rocprim17ROCPRIM_400000_NS6detail17trampoline_kernelINS0_14default_configENS1_36segmented_radix_sort_config_selectorI12hip_bfloat16lEEZNS1_25segmented_radix_sort_implIS3_Lb1EPKS5_PS5_PKlPlN2at6native12_GLOBAL__N_18offset_tEEE10hipError_tPvRmT1_PNSt15iterator_traitsISL_E10value_typeET2_T3_PNSM_ISR_E10value_typeET4_jRbjT5_SX_jjP12ihipStream_tbEUlT_E2_NS1_11comp_targetILNS1_3genE10ELNS1_11target_archE1200ELNS1_3gpuE4ELNS1_3repE0EEENS1_30default_config_static_selectorELNS0_4arch9wavefront6targetE0EEEvSL_.has_recursion, 0
	.set _ZN7rocprim17ROCPRIM_400000_NS6detail17trampoline_kernelINS0_14default_configENS1_36segmented_radix_sort_config_selectorI12hip_bfloat16lEEZNS1_25segmented_radix_sort_implIS3_Lb1EPKS5_PS5_PKlPlN2at6native12_GLOBAL__N_18offset_tEEE10hipError_tPvRmT1_PNSt15iterator_traitsISL_E10value_typeET2_T3_PNSM_ISR_E10value_typeET4_jRbjT5_SX_jjP12ihipStream_tbEUlT_E2_NS1_11comp_targetILNS1_3genE10ELNS1_11target_archE1200ELNS1_3gpuE4ELNS1_3repE0EEENS1_30default_config_static_selectorELNS0_4arch9wavefront6targetE0EEEvSL_.has_indirect_call, 0
	.section	.AMDGPU.csdata,"",@progbits
; Kernel info:
; codeLenInByte = 0
; TotalNumSgprs: 0
; NumVgprs: 0
; ScratchSize: 0
; MemoryBound: 0
; FloatMode: 240
; IeeeMode: 1
; LDSByteSize: 0 bytes/workgroup (compile time only)
; SGPRBlocks: 0
; VGPRBlocks: 0
; NumSGPRsForWavesPerEU: 1
; NumVGPRsForWavesPerEU: 1
; Occupancy: 16
; WaveLimiterHint : 0
; COMPUTE_PGM_RSRC2:SCRATCH_EN: 0
; COMPUTE_PGM_RSRC2:USER_SGPR: 6
; COMPUTE_PGM_RSRC2:TRAP_HANDLER: 0
; COMPUTE_PGM_RSRC2:TGID_X_EN: 1
; COMPUTE_PGM_RSRC2:TGID_Y_EN: 0
; COMPUTE_PGM_RSRC2:TGID_Z_EN: 0
; COMPUTE_PGM_RSRC2:TIDIG_COMP_CNT: 0
	.section	.text._ZN7rocprim17ROCPRIM_400000_NS6detail17trampoline_kernelINS0_14default_configENS1_36segmented_radix_sort_config_selectorI12hip_bfloat16lEEZNS1_25segmented_radix_sort_implIS3_Lb1EPKS5_PS5_PKlPlN2at6native12_GLOBAL__N_18offset_tEEE10hipError_tPvRmT1_PNSt15iterator_traitsISL_E10value_typeET2_T3_PNSM_ISR_E10value_typeET4_jRbjT5_SX_jjP12ihipStream_tbEUlT_E2_NS1_11comp_targetILNS1_3genE9ELNS1_11target_archE1100ELNS1_3gpuE3ELNS1_3repE0EEENS1_30default_config_static_selectorELNS0_4arch9wavefront6targetE0EEEvSL_,"axG",@progbits,_ZN7rocprim17ROCPRIM_400000_NS6detail17trampoline_kernelINS0_14default_configENS1_36segmented_radix_sort_config_selectorI12hip_bfloat16lEEZNS1_25segmented_radix_sort_implIS3_Lb1EPKS5_PS5_PKlPlN2at6native12_GLOBAL__N_18offset_tEEE10hipError_tPvRmT1_PNSt15iterator_traitsISL_E10value_typeET2_T3_PNSM_ISR_E10value_typeET4_jRbjT5_SX_jjP12ihipStream_tbEUlT_E2_NS1_11comp_targetILNS1_3genE9ELNS1_11target_archE1100ELNS1_3gpuE3ELNS1_3repE0EEENS1_30default_config_static_selectorELNS0_4arch9wavefront6targetE0EEEvSL_,comdat
	.globl	_ZN7rocprim17ROCPRIM_400000_NS6detail17trampoline_kernelINS0_14default_configENS1_36segmented_radix_sort_config_selectorI12hip_bfloat16lEEZNS1_25segmented_radix_sort_implIS3_Lb1EPKS5_PS5_PKlPlN2at6native12_GLOBAL__N_18offset_tEEE10hipError_tPvRmT1_PNSt15iterator_traitsISL_E10value_typeET2_T3_PNSM_ISR_E10value_typeET4_jRbjT5_SX_jjP12ihipStream_tbEUlT_E2_NS1_11comp_targetILNS1_3genE9ELNS1_11target_archE1100ELNS1_3gpuE3ELNS1_3repE0EEENS1_30default_config_static_selectorELNS0_4arch9wavefront6targetE0EEEvSL_ ; -- Begin function _ZN7rocprim17ROCPRIM_400000_NS6detail17trampoline_kernelINS0_14default_configENS1_36segmented_radix_sort_config_selectorI12hip_bfloat16lEEZNS1_25segmented_radix_sort_implIS3_Lb1EPKS5_PS5_PKlPlN2at6native12_GLOBAL__N_18offset_tEEE10hipError_tPvRmT1_PNSt15iterator_traitsISL_E10value_typeET2_T3_PNSM_ISR_E10value_typeET4_jRbjT5_SX_jjP12ihipStream_tbEUlT_E2_NS1_11comp_targetILNS1_3genE9ELNS1_11target_archE1100ELNS1_3gpuE3ELNS1_3repE0EEENS1_30default_config_static_selectorELNS0_4arch9wavefront6targetE0EEEvSL_
	.p2align	8
	.type	_ZN7rocprim17ROCPRIM_400000_NS6detail17trampoline_kernelINS0_14default_configENS1_36segmented_radix_sort_config_selectorI12hip_bfloat16lEEZNS1_25segmented_radix_sort_implIS3_Lb1EPKS5_PS5_PKlPlN2at6native12_GLOBAL__N_18offset_tEEE10hipError_tPvRmT1_PNSt15iterator_traitsISL_E10value_typeET2_T3_PNSM_ISR_E10value_typeET4_jRbjT5_SX_jjP12ihipStream_tbEUlT_E2_NS1_11comp_targetILNS1_3genE9ELNS1_11target_archE1100ELNS1_3gpuE3ELNS1_3repE0EEENS1_30default_config_static_selectorELNS0_4arch9wavefront6targetE0EEEvSL_,@function
_ZN7rocprim17ROCPRIM_400000_NS6detail17trampoline_kernelINS0_14default_configENS1_36segmented_radix_sort_config_selectorI12hip_bfloat16lEEZNS1_25segmented_radix_sort_implIS3_Lb1EPKS5_PS5_PKlPlN2at6native12_GLOBAL__N_18offset_tEEE10hipError_tPvRmT1_PNSt15iterator_traitsISL_E10value_typeET2_T3_PNSM_ISR_E10value_typeET4_jRbjT5_SX_jjP12ihipStream_tbEUlT_E2_NS1_11comp_targetILNS1_3genE9ELNS1_11target_archE1100ELNS1_3gpuE3ELNS1_3repE0EEENS1_30default_config_static_selectorELNS0_4arch9wavefront6targetE0EEEvSL_: ; @_ZN7rocprim17ROCPRIM_400000_NS6detail17trampoline_kernelINS0_14default_configENS1_36segmented_radix_sort_config_selectorI12hip_bfloat16lEEZNS1_25segmented_radix_sort_implIS3_Lb1EPKS5_PS5_PKlPlN2at6native12_GLOBAL__N_18offset_tEEE10hipError_tPvRmT1_PNSt15iterator_traitsISL_E10value_typeET2_T3_PNSM_ISR_E10value_typeET4_jRbjT5_SX_jjP12ihipStream_tbEUlT_E2_NS1_11comp_targetILNS1_3genE9ELNS1_11target_archE1100ELNS1_3gpuE3ELNS1_3repE0EEENS1_30default_config_static_selectorELNS0_4arch9wavefront6targetE0EEEvSL_
; %bb.0:
	.section	.rodata,"a",@progbits
	.p2align	6, 0x0
	.amdhsa_kernel _ZN7rocprim17ROCPRIM_400000_NS6detail17trampoline_kernelINS0_14default_configENS1_36segmented_radix_sort_config_selectorI12hip_bfloat16lEEZNS1_25segmented_radix_sort_implIS3_Lb1EPKS5_PS5_PKlPlN2at6native12_GLOBAL__N_18offset_tEEE10hipError_tPvRmT1_PNSt15iterator_traitsISL_E10value_typeET2_T3_PNSM_ISR_E10value_typeET4_jRbjT5_SX_jjP12ihipStream_tbEUlT_E2_NS1_11comp_targetILNS1_3genE9ELNS1_11target_archE1100ELNS1_3gpuE3ELNS1_3repE0EEENS1_30default_config_static_selectorELNS0_4arch9wavefront6targetE0EEEvSL_
		.amdhsa_group_segment_fixed_size 0
		.amdhsa_private_segment_fixed_size 0
		.amdhsa_kernarg_size 80
		.amdhsa_user_sgpr_count 6
		.amdhsa_user_sgpr_private_segment_buffer 1
		.amdhsa_user_sgpr_dispatch_ptr 0
		.amdhsa_user_sgpr_queue_ptr 0
		.amdhsa_user_sgpr_kernarg_segment_ptr 1
		.amdhsa_user_sgpr_dispatch_id 0
		.amdhsa_user_sgpr_flat_scratch_init 0
		.amdhsa_user_sgpr_private_segment_size 0
		.amdhsa_wavefront_size32 1
		.amdhsa_uses_dynamic_stack 0
		.amdhsa_system_sgpr_private_segment_wavefront_offset 0
		.amdhsa_system_sgpr_workgroup_id_x 1
		.amdhsa_system_sgpr_workgroup_id_y 0
		.amdhsa_system_sgpr_workgroup_id_z 0
		.amdhsa_system_sgpr_workgroup_info 0
		.amdhsa_system_vgpr_workitem_id 0
		.amdhsa_next_free_vgpr 1
		.amdhsa_next_free_sgpr 1
		.amdhsa_reserve_vcc 0
		.amdhsa_reserve_flat_scratch 0
		.amdhsa_float_round_mode_32 0
		.amdhsa_float_round_mode_16_64 0
		.amdhsa_float_denorm_mode_32 3
		.amdhsa_float_denorm_mode_16_64 3
		.amdhsa_dx10_clamp 1
		.amdhsa_ieee_mode 1
		.amdhsa_fp16_overflow 0
		.amdhsa_workgroup_processor_mode 1
		.amdhsa_memory_ordered 1
		.amdhsa_forward_progress 1
		.amdhsa_shared_vgpr_count 0
		.amdhsa_exception_fp_ieee_invalid_op 0
		.amdhsa_exception_fp_denorm_src 0
		.amdhsa_exception_fp_ieee_div_zero 0
		.amdhsa_exception_fp_ieee_overflow 0
		.amdhsa_exception_fp_ieee_underflow 0
		.amdhsa_exception_fp_ieee_inexact 0
		.amdhsa_exception_int_div_zero 0
	.end_amdhsa_kernel
	.section	.text._ZN7rocprim17ROCPRIM_400000_NS6detail17trampoline_kernelINS0_14default_configENS1_36segmented_radix_sort_config_selectorI12hip_bfloat16lEEZNS1_25segmented_radix_sort_implIS3_Lb1EPKS5_PS5_PKlPlN2at6native12_GLOBAL__N_18offset_tEEE10hipError_tPvRmT1_PNSt15iterator_traitsISL_E10value_typeET2_T3_PNSM_ISR_E10value_typeET4_jRbjT5_SX_jjP12ihipStream_tbEUlT_E2_NS1_11comp_targetILNS1_3genE9ELNS1_11target_archE1100ELNS1_3gpuE3ELNS1_3repE0EEENS1_30default_config_static_selectorELNS0_4arch9wavefront6targetE0EEEvSL_,"axG",@progbits,_ZN7rocprim17ROCPRIM_400000_NS6detail17trampoline_kernelINS0_14default_configENS1_36segmented_radix_sort_config_selectorI12hip_bfloat16lEEZNS1_25segmented_radix_sort_implIS3_Lb1EPKS5_PS5_PKlPlN2at6native12_GLOBAL__N_18offset_tEEE10hipError_tPvRmT1_PNSt15iterator_traitsISL_E10value_typeET2_T3_PNSM_ISR_E10value_typeET4_jRbjT5_SX_jjP12ihipStream_tbEUlT_E2_NS1_11comp_targetILNS1_3genE9ELNS1_11target_archE1100ELNS1_3gpuE3ELNS1_3repE0EEENS1_30default_config_static_selectorELNS0_4arch9wavefront6targetE0EEEvSL_,comdat
.Lfunc_end1973:
	.size	_ZN7rocprim17ROCPRIM_400000_NS6detail17trampoline_kernelINS0_14default_configENS1_36segmented_radix_sort_config_selectorI12hip_bfloat16lEEZNS1_25segmented_radix_sort_implIS3_Lb1EPKS5_PS5_PKlPlN2at6native12_GLOBAL__N_18offset_tEEE10hipError_tPvRmT1_PNSt15iterator_traitsISL_E10value_typeET2_T3_PNSM_ISR_E10value_typeET4_jRbjT5_SX_jjP12ihipStream_tbEUlT_E2_NS1_11comp_targetILNS1_3genE9ELNS1_11target_archE1100ELNS1_3gpuE3ELNS1_3repE0EEENS1_30default_config_static_selectorELNS0_4arch9wavefront6targetE0EEEvSL_, .Lfunc_end1973-_ZN7rocprim17ROCPRIM_400000_NS6detail17trampoline_kernelINS0_14default_configENS1_36segmented_radix_sort_config_selectorI12hip_bfloat16lEEZNS1_25segmented_radix_sort_implIS3_Lb1EPKS5_PS5_PKlPlN2at6native12_GLOBAL__N_18offset_tEEE10hipError_tPvRmT1_PNSt15iterator_traitsISL_E10value_typeET2_T3_PNSM_ISR_E10value_typeET4_jRbjT5_SX_jjP12ihipStream_tbEUlT_E2_NS1_11comp_targetILNS1_3genE9ELNS1_11target_archE1100ELNS1_3gpuE3ELNS1_3repE0EEENS1_30default_config_static_selectorELNS0_4arch9wavefront6targetE0EEEvSL_
                                        ; -- End function
	.set _ZN7rocprim17ROCPRIM_400000_NS6detail17trampoline_kernelINS0_14default_configENS1_36segmented_radix_sort_config_selectorI12hip_bfloat16lEEZNS1_25segmented_radix_sort_implIS3_Lb1EPKS5_PS5_PKlPlN2at6native12_GLOBAL__N_18offset_tEEE10hipError_tPvRmT1_PNSt15iterator_traitsISL_E10value_typeET2_T3_PNSM_ISR_E10value_typeET4_jRbjT5_SX_jjP12ihipStream_tbEUlT_E2_NS1_11comp_targetILNS1_3genE9ELNS1_11target_archE1100ELNS1_3gpuE3ELNS1_3repE0EEENS1_30default_config_static_selectorELNS0_4arch9wavefront6targetE0EEEvSL_.num_vgpr, 0
	.set _ZN7rocprim17ROCPRIM_400000_NS6detail17trampoline_kernelINS0_14default_configENS1_36segmented_radix_sort_config_selectorI12hip_bfloat16lEEZNS1_25segmented_radix_sort_implIS3_Lb1EPKS5_PS5_PKlPlN2at6native12_GLOBAL__N_18offset_tEEE10hipError_tPvRmT1_PNSt15iterator_traitsISL_E10value_typeET2_T3_PNSM_ISR_E10value_typeET4_jRbjT5_SX_jjP12ihipStream_tbEUlT_E2_NS1_11comp_targetILNS1_3genE9ELNS1_11target_archE1100ELNS1_3gpuE3ELNS1_3repE0EEENS1_30default_config_static_selectorELNS0_4arch9wavefront6targetE0EEEvSL_.num_agpr, 0
	.set _ZN7rocprim17ROCPRIM_400000_NS6detail17trampoline_kernelINS0_14default_configENS1_36segmented_radix_sort_config_selectorI12hip_bfloat16lEEZNS1_25segmented_radix_sort_implIS3_Lb1EPKS5_PS5_PKlPlN2at6native12_GLOBAL__N_18offset_tEEE10hipError_tPvRmT1_PNSt15iterator_traitsISL_E10value_typeET2_T3_PNSM_ISR_E10value_typeET4_jRbjT5_SX_jjP12ihipStream_tbEUlT_E2_NS1_11comp_targetILNS1_3genE9ELNS1_11target_archE1100ELNS1_3gpuE3ELNS1_3repE0EEENS1_30default_config_static_selectorELNS0_4arch9wavefront6targetE0EEEvSL_.numbered_sgpr, 0
	.set _ZN7rocprim17ROCPRIM_400000_NS6detail17trampoline_kernelINS0_14default_configENS1_36segmented_radix_sort_config_selectorI12hip_bfloat16lEEZNS1_25segmented_radix_sort_implIS3_Lb1EPKS5_PS5_PKlPlN2at6native12_GLOBAL__N_18offset_tEEE10hipError_tPvRmT1_PNSt15iterator_traitsISL_E10value_typeET2_T3_PNSM_ISR_E10value_typeET4_jRbjT5_SX_jjP12ihipStream_tbEUlT_E2_NS1_11comp_targetILNS1_3genE9ELNS1_11target_archE1100ELNS1_3gpuE3ELNS1_3repE0EEENS1_30default_config_static_selectorELNS0_4arch9wavefront6targetE0EEEvSL_.num_named_barrier, 0
	.set _ZN7rocprim17ROCPRIM_400000_NS6detail17trampoline_kernelINS0_14default_configENS1_36segmented_radix_sort_config_selectorI12hip_bfloat16lEEZNS1_25segmented_radix_sort_implIS3_Lb1EPKS5_PS5_PKlPlN2at6native12_GLOBAL__N_18offset_tEEE10hipError_tPvRmT1_PNSt15iterator_traitsISL_E10value_typeET2_T3_PNSM_ISR_E10value_typeET4_jRbjT5_SX_jjP12ihipStream_tbEUlT_E2_NS1_11comp_targetILNS1_3genE9ELNS1_11target_archE1100ELNS1_3gpuE3ELNS1_3repE0EEENS1_30default_config_static_selectorELNS0_4arch9wavefront6targetE0EEEvSL_.private_seg_size, 0
	.set _ZN7rocprim17ROCPRIM_400000_NS6detail17trampoline_kernelINS0_14default_configENS1_36segmented_radix_sort_config_selectorI12hip_bfloat16lEEZNS1_25segmented_radix_sort_implIS3_Lb1EPKS5_PS5_PKlPlN2at6native12_GLOBAL__N_18offset_tEEE10hipError_tPvRmT1_PNSt15iterator_traitsISL_E10value_typeET2_T3_PNSM_ISR_E10value_typeET4_jRbjT5_SX_jjP12ihipStream_tbEUlT_E2_NS1_11comp_targetILNS1_3genE9ELNS1_11target_archE1100ELNS1_3gpuE3ELNS1_3repE0EEENS1_30default_config_static_selectorELNS0_4arch9wavefront6targetE0EEEvSL_.uses_vcc, 0
	.set _ZN7rocprim17ROCPRIM_400000_NS6detail17trampoline_kernelINS0_14default_configENS1_36segmented_radix_sort_config_selectorI12hip_bfloat16lEEZNS1_25segmented_radix_sort_implIS3_Lb1EPKS5_PS5_PKlPlN2at6native12_GLOBAL__N_18offset_tEEE10hipError_tPvRmT1_PNSt15iterator_traitsISL_E10value_typeET2_T3_PNSM_ISR_E10value_typeET4_jRbjT5_SX_jjP12ihipStream_tbEUlT_E2_NS1_11comp_targetILNS1_3genE9ELNS1_11target_archE1100ELNS1_3gpuE3ELNS1_3repE0EEENS1_30default_config_static_selectorELNS0_4arch9wavefront6targetE0EEEvSL_.uses_flat_scratch, 0
	.set _ZN7rocprim17ROCPRIM_400000_NS6detail17trampoline_kernelINS0_14default_configENS1_36segmented_radix_sort_config_selectorI12hip_bfloat16lEEZNS1_25segmented_radix_sort_implIS3_Lb1EPKS5_PS5_PKlPlN2at6native12_GLOBAL__N_18offset_tEEE10hipError_tPvRmT1_PNSt15iterator_traitsISL_E10value_typeET2_T3_PNSM_ISR_E10value_typeET4_jRbjT5_SX_jjP12ihipStream_tbEUlT_E2_NS1_11comp_targetILNS1_3genE9ELNS1_11target_archE1100ELNS1_3gpuE3ELNS1_3repE0EEENS1_30default_config_static_selectorELNS0_4arch9wavefront6targetE0EEEvSL_.has_dyn_sized_stack, 0
	.set _ZN7rocprim17ROCPRIM_400000_NS6detail17trampoline_kernelINS0_14default_configENS1_36segmented_radix_sort_config_selectorI12hip_bfloat16lEEZNS1_25segmented_radix_sort_implIS3_Lb1EPKS5_PS5_PKlPlN2at6native12_GLOBAL__N_18offset_tEEE10hipError_tPvRmT1_PNSt15iterator_traitsISL_E10value_typeET2_T3_PNSM_ISR_E10value_typeET4_jRbjT5_SX_jjP12ihipStream_tbEUlT_E2_NS1_11comp_targetILNS1_3genE9ELNS1_11target_archE1100ELNS1_3gpuE3ELNS1_3repE0EEENS1_30default_config_static_selectorELNS0_4arch9wavefront6targetE0EEEvSL_.has_recursion, 0
	.set _ZN7rocprim17ROCPRIM_400000_NS6detail17trampoline_kernelINS0_14default_configENS1_36segmented_radix_sort_config_selectorI12hip_bfloat16lEEZNS1_25segmented_radix_sort_implIS3_Lb1EPKS5_PS5_PKlPlN2at6native12_GLOBAL__N_18offset_tEEE10hipError_tPvRmT1_PNSt15iterator_traitsISL_E10value_typeET2_T3_PNSM_ISR_E10value_typeET4_jRbjT5_SX_jjP12ihipStream_tbEUlT_E2_NS1_11comp_targetILNS1_3genE9ELNS1_11target_archE1100ELNS1_3gpuE3ELNS1_3repE0EEENS1_30default_config_static_selectorELNS0_4arch9wavefront6targetE0EEEvSL_.has_indirect_call, 0
	.section	.AMDGPU.csdata,"",@progbits
; Kernel info:
; codeLenInByte = 0
; TotalNumSgprs: 0
; NumVgprs: 0
; ScratchSize: 0
; MemoryBound: 0
; FloatMode: 240
; IeeeMode: 1
; LDSByteSize: 0 bytes/workgroup (compile time only)
; SGPRBlocks: 0
; VGPRBlocks: 0
; NumSGPRsForWavesPerEU: 1
; NumVGPRsForWavesPerEU: 1
; Occupancy: 16
; WaveLimiterHint : 0
; COMPUTE_PGM_RSRC2:SCRATCH_EN: 0
; COMPUTE_PGM_RSRC2:USER_SGPR: 6
; COMPUTE_PGM_RSRC2:TRAP_HANDLER: 0
; COMPUTE_PGM_RSRC2:TGID_X_EN: 1
; COMPUTE_PGM_RSRC2:TGID_Y_EN: 0
; COMPUTE_PGM_RSRC2:TGID_Z_EN: 0
; COMPUTE_PGM_RSRC2:TIDIG_COMP_CNT: 0
	.section	.text._ZN7rocprim17ROCPRIM_400000_NS6detail17trampoline_kernelINS0_14default_configENS1_36segmented_radix_sort_config_selectorI12hip_bfloat16lEEZNS1_25segmented_radix_sort_implIS3_Lb1EPKS5_PS5_PKlPlN2at6native12_GLOBAL__N_18offset_tEEE10hipError_tPvRmT1_PNSt15iterator_traitsISL_E10value_typeET2_T3_PNSM_ISR_E10value_typeET4_jRbjT5_SX_jjP12ihipStream_tbEUlT_E2_NS1_11comp_targetILNS1_3genE8ELNS1_11target_archE1030ELNS1_3gpuE2ELNS1_3repE0EEENS1_30default_config_static_selectorELNS0_4arch9wavefront6targetE0EEEvSL_,"axG",@progbits,_ZN7rocprim17ROCPRIM_400000_NS6detail17trampoline_kernelINS0_14default_configENS1_36segmented_radix_sort_config_selectorI12hip_bfloat16lEEZNS1_25segmented_radix_sort_implIS3_Lb1EPKS5_PS5_PKlPlN2at6native12_GLOBAL__N_18offset_tEEE10hipError_tPvRmT1_PNSt15iterator_traitsISL_E10value_typeET2_T3_PNSM_ISR_E10value_typeET4_jRbjT5_SX_jjP12ihipStream_tbEUlT_E2_NS1_11comp_targetILNS1_3genE8ELNS1_11target_archE1030ELNS1_3gpuE2ELNS1_3repE0EEENS1_30default_config_static_selectorELNS0_4arch9wavefront6targetE0EEEvSL_,comdat
	.globl	_ZN7rocprim17ROCPRIM_400000_NS6detail17trampoline_kernelINS0_14default_configENS1_36segmented_radix_sort_config_selectorI12hip_bfloat16lEEZNS1_25segmented_radix_sort_implIS3_Lb1EPKS5_PS5_PKlPlN2at6native12_GLOBAL__N_18offset_tEEE10hipError_tPvRmT1_PNSt15iterator_traitsISL_E10value_typeET2_T3_PNSM_ISR_E10value_typeET4_jRbjT5_SX_jjP12ihipStream_tbEUlT_E2_NS1_11comp_targetILNS1_3genE8ELNS1_11target_archE1030ELNS1_3gpuE2ELNS1_3repE0EEENS1_30default_config_static_selectorELNS0_4arch9wavefront6targetE0EEEvSL_ ; -- Begin function _ZN7rocprim17ROCPRIM_400000_NS6detail17trampoline_kernelINS0_14default_configENS1_36segmented_radix_sort_config_selectorI12hip_bfloat16lEEZNS1_25segmented_radix_sort_implIS3_Lb1EPKS5_PS5_PKlPlN2at6native12_GLOBAL__N_18offset_tEEE10hipError_tPvRmT1_PNSt15iterator_traitsISL_E10value_typeET2_T3_PNSM_ISR_E10value_typeET4_jRbjT5_SX_jjP12ihipStream_tbEUlT_E2_NS1_11comp_targetILNS1_3genE8ELNS1_11target_archE1030ELNS1_3gpuE2ELNS1_3repE0EEENS1_30default_config_static_selectorELNS0_4arch9wavefront6targetE0EEEvSL_
	.p2align	8
	.type	_ZN7rocprim17ROCPRIM_400000_NS6detail17trampoline_kernelINS0_14default_configENS1_36segmented_radix_sort_config_selectorI12hip_bfloat16lEEZNS1_25segmented_radix_sort_implIS3_Lb1EPKS5_PS5_PKlPlN2at6native12_GLOBAL__N_18offset_tEEE10hipError_tPvRmT1_PNSt15iterator_traitsISL_E10value_typeET2_T3_PNSM_ISR_E10value_typeET4_jRbjT5_SX_jjP12ihipStream_tbEUlT_E2_NS1_11comp_targetILNS1_3genE8ELNS1_11target_archE1030ELNS1_3gpuE2ELNS1_3repE0EEENS1_30default_config_static_selectorELNS0_4arch9wavefront6targetE0EEEvSL_,@function
_ZN7rocprim17ROCPRIM_400000_NS6detail17trampoline_kernelINS0_14default_configENS1_36segmented_radix_sort_config_selectorI12hip_bfloat16lEEZNS1_25segmented_radix_sort_implIS3_Lb1EPKS5_PS5_PKlPlN2at6native12_GLOBAL__N_18offset_tEEE10hipError_tPvRmT1_PNSt15iterator_traitsISL_E10value_typeET2_T3_PNSM_ISR_E10value_typeET4_jRbjT5_SX_jjP12ihipStream_tbEUlT_E2_NS1_11comp_targetILNS1_3genE8ELNS1_11target_archE1030ELNS1_3gpuE2ELNS1_3repE0EEENS1_30default_config_static_selectorELNS0_4arch9wavefront6targetE0EEEvSL_: ; @_ZN7rocprim17ROCPRIM_400000_NS6detail17trampoline_kernelINS0_14default_configENS1_36segmented_radix_sort_config_selectorI12hip_bfloat16lEEZNS1_25segmented_radix_sort_implIS3_Lb1EPKS5_PS5_PKlPlN2at6native12_GLOBAL__N_18offset_tEEE10hipError_tPvRmT1_PNSt15iterator_traitsISL_E10value_typeET2_T3_PNSM_ISR_E10value_typeET4_jRbjT5_SX_jjP12ihipStream_tbEUlT_E2_NS1_11comp_targetILNS1_3genE8ELNS1_11target_archE1030ELNS1_3gpuE2ELNS1_3repE0EEENS1_30default_config_static_selectorELNS0_4arch9wavefront6targetE0EEEvSL_
; %bb.0:
	s_add_u32 s0, s0, s8
	s_load_dwordx4 s[8:11], s[4:5], 0x34
	s_addc_u32 s1, s1, 0
	s_mov_b32 s32, 0
	s_waitcnt lgkmcnt(0)
	s_add_i32 s33, s9, s6
	s_add_i32 s52, s11, s6
	s_mul_i32 s33, s33, s8
	s_mul_i32 s52, s52, s10
	s_cmp_le_u32 s52, s33
	s_cbranch_scc1 .LBB1974_678
; %bb.1:
	s_clause 0x3
	s_load_dword s8, s[4:5], 0x30
	s_load_dwordx4 s[44:47], s[4:5], 0x20
	s_load_dwordx4 s[48:51], s[4:5], 0x44
	s_load_dwordx8 s[36:43], s[4:5], 0x0
	s_waitcnt lgkmcnt(0)
	s_bitcmp1_b32 s8, 0
	s_mov_b32 s8, -1
	s_cselect_b32 s51, -1, 0
	s_sub_i32 s53, s52, s33
	s_cmpk_lt_u32 s53, 0x801
	s_cbranch_scc0 .LBB1974_15
; %bb.2:
	s_cmp_lt_u32 s53, 33
	s_cbranch_scc0 .LBB1974_9
; %bb.3:
	s_load_dword s8, s[4:5], 0x5c
	s_mov_b32 s18, exec_lo
	s_waitcnt lgkmcnt(0)
	s_lshr_b32 s9, s8, 16
	s_and_b32 s8, s8, 0xffff
	v_mad_u32_u24 v3, v2, s9, v1
	v_mad_u64_u32 v[3:4], null, v3, s8, v[0:1]
	v_cmpx_gt_u32_e32 8, v3
	s_cbranch_execz .LBB1974_8
; %bb.4:
	v_cndmask_b32_e64 v3, 0, 1, s51
	s_and_b32 s8, s48, 1
	v_cmp_ne_u32_e32 vcc_lo, s8, v3
	s_mov_b32 s8, -1
	s_cbranch_vccnz .LBB1974_6
; %bb.5:
	v_lshlrev_b32_e32 v3, 20, v2
	v_lshlrev_b32_e32 v4, 10, v1
	s_mov_b64 s[10:11], src_shared_base
	v_mov_b32_e32 v40, v0
	v_mov_b32_e32 v41, v1
	;; [unrolled: 1-line block ×3, first 2 shown]
	v_or3_b32 v31, v0, v4, v3
	v_mov_b32_e32 v0, s36
	v_mov_b32_e32 v42, v2
	;; [unrolled: 1-line block ×12, first 2 shown]
	s_add_u32 s8, s4, 0x50
	s_addc_u32 s9, s5, 0
	s_getpc_b64 s[14:15]
	s_add_u32 s14, s14, _ZN7rocprim17ROCPRIM_400000_NS6detail26segmented_warp_sort_helperINS1_20WarpSortHelperConfigILj8ELj4ELj256EEE12hip_bfloat16lLi256ELb1EvE4sortIPKS5_PS5_PKlPlEEvT_T0_T1_T2_jjjjRNS6_12storage_typeE@rel32@lo+4
	s_addc_u32 s15, s15, _ZN7rocprim17ROCPRIM_400000_NS6detail26segmented_warp_sort_helperINS1_20WarpSortHelperConfigILj8ELj4ELj256EEE12hip_bfloat16lLi256ELb1EvE4sortIPKS5_PS5_PKlPlEEvT_T0_T1_T2_jjjjRNS6_12storage_typeE@rel32@hi+12
	s_mov_b32 s12, s6
	s_mov_b32 s13, s7
	s_mov_b64 s[16:17], s[4:5]
	s_mov_b32 s19, s7
	s_mov_b32 s20, s6
	s_swappc_b64 s[30:31], s[14:15]
	v_mov_b32_e32 v1, v41
	v_mov_b32_e32 v2, v42
	v_mov_b32_e32 v0, v40
	s_mov_b32 s6, s20
	s_mov_b32 s7, s19
	s_mov_b64 s[4:5], s[16:17]
	s_mov_b32 s8, 0
.LBB1974_6:
	s_andn2_b32 vcc_lo, exec_lo, s8
	s_cbranch_vccnz .LBB1974_8
; %bb.7:
	v_lshlrev_b32_e32 v3, 20, v2
	v_lshlrev_b32_e32 v4, 10, v1
	s_mov_b64 s[10:11], src_shared_base
	v_mov_b32_e32 v40, v0
	v_mov_b32_e32 v41, v1
	;; [unrolled: 1-line block ×3, first 2 shown]
	v_or3_b32 v31, v0, v4, v3
	v_mov_b32_e32 v0, s36
	v_mov_b32_e32 v42, v2
	;; [unrolled: 1-line block ×12, first 2 shown]
	s_add_u32 s8, s4, 0x50
	s_addc_u32 s9, s5, 0
	s_getpc_b64 s[14:15]
	s_add_u32 s14, s14, _ZN7rocprim17ROCPRIM_400000_NS6detail26segmented_warp_sort_helperINS1_20WarpSortHelperConfigILj8ELj4ELj256EEE12hip_bfloat16lLi256ELb1EvE4sortIPKS5_PS5_PKlPlEEvT_T0_T1_T2_jjjjRNS6_12storage_typeE@rel32@lo+4
	s_addc_u32 s15, s15, _ZN7rocprim17ROCPRIM_400000_NS6detail26segmented_warp_sort_helperINS1_20WarpSortHelperConfigILj8ELj4ELj256EEE12hip_bfloat16lLi256ELb1EvE4sortIPKS5_PS5_PKlPlEEvT_T0_T1_T2_jjjjRNS6_12storage_typeE@rel32@hi+12
	s_mov_b32 s12, s6
	s_mov_b32 s13, s7
	s_mov_b64 s[16:17], s[4:5]
	s_mov_b32 s20, s7
	s_mov_b32 s19, s6
	s_swappc_b64 s[30:31], s[14:15]
	v_mov_b32_e32 v1, v41
	v_mov_b32_e32 v2, v42
	;; [unrolled: 1-line block ×3, first 2 shown]
	s_mov_b32 s6, s19
	s_mov_b32 s7, s20
	s_mov_b64 s[4:5], s[16:17]
.LBB1974_8:
	s_or_b32 exec_lo, exec_lo, s18
	s_mov_b32 s8, 0
.LBB1974_9:
	s_andn2_b32 vcc_lo, exec_lo, s8
	s_cbranch_vccnz .LBB1974_14
; %bb.10:
	v_cndmask_b32_e64 v3, 0, 1, s51
	s_and_b32 s8, s48, 1
	v_lshlrev_b32_e32 v41, 20, v2
	v_lshlrev_b32_e32 v42, 10, v1
	v_cmp_ne_u32_e32 vcc_lo, s8, v3
	s_mov_b32 s8, -1
	s_cbranch_vccnz .LBB1974_12
; %bb.11:
	s_mov_b64 s[10:11], src_shared_base
	v_or3_b32 v31, v0, v42, v41
	v_mov_b32_e32 v40, v0
	v_mov_b32_e32 v0, s36
	;; [unrolled: 1-line block ×17, first 2 shown]
	s_add_u32 s8, s4, 0x50
	s_addc_u32 s9, s5, 0
	s_getpc_b64 s[14:15]
	s_add_u32 s14, s14, _ZN7rocprim17ROCPRIM_400000_NS6detail40segmented_radix_sort_single_block_helperI12hip_bfloat16lLj256ELj8ELb1EE4sortIPKS3_PS3_PKlPlEEbT_T0_T1_T2_jjjjRNS4_12storage_typeE@rel32@lo+4
	s_addc_u32 s15, s15, _ZN7rocprim17ROCPRIM_400000_NS6detail40segmented_radix_sort_single_block_helperI12hip_bfloat16lLj256ELj8ELb1EE4sortIPKS3_PS3_PKlPlEEbT_T0_T1_T2_jjjjRNS4_12storage_typeE@rel32@hi+12
	s_mov_b32 s12, s6
	s_mov_b32 s13, s7
	s_mov_b64 s[28:29], s[4:5]
	s_mov_b32 s27, s7
	s_mov_b32 s34, s6
	s_swappc_b64 s[30:31], s[14:15]
	v_mov_b32_e32 v1, v43
	v_mov_b32_e32 v2, v44
	;; [unrolled: 1-line block ×3, first 2 shown]
	s_mov_b32 s6, s34
	s_mov_b32 s7, s27
	s_mov_b64 s[4:5], s[28:29]
	s_mov_b32 s8, 0
.LBB1974_12:
	s_andn2_b32 vcc_lo, exec_lo, s8
	s_cbranch_vccnz .LBB1974_14
; %bb.13:
	s_mov_b64 s[10:11], src_shared_base
	v_or3_b32 v31, v0, v42, v41
	v_mov_b32_e32 v40, v0
	v_mov_b32_e32 v0, s36
	v_mov_b32_e32 v41, v1
	v_mov_b32_e32 v1, s37
	v_mov_b32_e32 v42, v2
	v_mov_b32_e32 v2, s38
	v_mov_b32_e32 v3, s39
	v_mov_b32_e32 v4, s42
	v_mov_b32_e32 v5, s43
	v_mov_b32_e32 v6, s44
	v_mov_b32_e32 v7, s45
	v_mov_b32_e32 v8, s33
	v_mov_b32_e32 v9, s52
	v_mov_b32_e32 v10, s49
	v_mov_b32_e32 v11, s50
	v_mov_b32_e32 v12, 0
	v_mov_b32_e32 v13, s11
	s_add_u32 s8, s4, 0x50
	s_addc_u32 s9, s5, 0
	s_getpc_b64 s[14:15]
	s_add_u32 s14, s14, _ZN7rocprim17ROCPRIM_400000_NS6detail40segmented_radix_sort_single_block_helperI12hip_bfloat16lLj256ELj8ELb1EE4sortIPKS3_PS3_PKlPlEEbT_T0_T1_T2_jjjjRNS4_12storage_typeE@rel32@lo+4
	s_addc_u32 s15, s15, _ZN7rocprim17ROCPRIM_400000_NS6detail40segmented_radix_sort_single_block_helperI12hip_bfloat16lLj256ELj8ELb1EE4sortIPKS3_PS3_PKlPlEEbT_T0_T1_T2_jjjjRNS4_12storage_typeE@rel32@hi+12
	s_mov_b32 s12, s6
	s_mov_b32 s13, s7
	s_mov_b64 s[28:29], s[4:5]
	s_mov_b32 s34, s7
	s_mov_b32 s27, s6
	s_swappc_b64 s[30:31], s[14:15]
	v_mov_b32_e32 v1, v41
	v_mov_b32_e32 v2, v42
	v_mov_b32_e32 v0, v40
	s_mov_b32 s6, s27
	s_mov_b32 s7, s34
	s_mov_b64 s[4:5], s[28:29]
.LBB1974_14:
	s_mov_b32 s8, 0
.LBB1974_15:
	s_andn2_b32 vcc_lo, exec_lo, s8
	s_cbranch_vccnz .LBB1974_678
; %bb.16:
	s_cmp_ge_u32 s49, s50
	s_cbranch_scc1 .LBB1974_678
; %bb.17:
	v_lshlrev_b32_e32 v29, 2, v0
	v_and_b32_e32 v4, 3, v0
	v_lshrrev_b32_e32 v5, 3, v0
	v_or_b32_e32 v6, 31, v0
	v_lshlrev_b32_e32 v3, 1, v0
	v_mad_u32_u24 v41, v0, 12, v29
	v_lshlrev_b32_e32 v40, 2, v4
	v_lshlrev_b32_e32 v4, 3, v0
	v_and_b32_e32 v39, 28, v5
	v_lshlrev_b32_e32 v5, 5, v0
	v_mad_u32_u24 v44, v0, 20, v41
	v_cmp_eq_u32_e64 s9, v0, v6
	v_and_b32_e32 v4, 0x700, v4
	v_mbcnt_lo_u32_b32 v59, -1, 0
	v_or_b32_e32 v35, 0x400, v0
	v_sub_nc_u32_e32 v46, v44, v5
	v_or_b32_e32 v36, 0x500, v0
	v_lshlrev_b32_e32 v5, 3, v4
	v_lshlrev_b32_e32 v6, 1, v4
	;; [unrolled: 1-line block ×4, first 2 shown]
	v_or_b32_e32 v37, 0x600, v0
	v_add_co_u32 v7, s13, s46, v5
	v_add_co_ci_u32_e64 v8, null, s47, 0, s13
	v_add_co_u32 v9, s13, s40, v6
	v_add_co_ci_u32_e64 v10, null, s41, 0, s13
	;; [unrolled: 2-line block ×5, first 2 shown]
	v_add_co_u32 v55, s13, s36, v3
	v_or_b32_e32 v38, 0x700, v0
	v_or_b32_e32 v66, v59, v4
	v_add_co_ci_u32_e64 v56, null, s37, 0, s13
	v_add_co_u32 v57, s13, s42, v5
	v_add_co_u32 v83, vcc_lo, v7, v69
	v_add_co_u32 v33, s8, s40, v3
	v_add_co_ci_u32_e64 v58, null, s43, 0, s13
	v_add_co_u32 v60, s13, s36, v6
	v_add_co_ci_u32_e64 v84, null, 0, v8, vcc_lo
	v_add_co_u32 v85, vcc_lo, v9, v77
	v_or_b32_e32 v30, 0x100, v0
	v_or_b32_e32 v31, 0x200, v0
	;; [unrolled: 1-line block ×3, first 2 shown]
	v_add_co_ci_u32_e64 v34, null, s41, 0, s8
	v_cmp_gt_u32_e64 s8, 0x100, v0
	v_or_b32_e32 v42, 0x4400, v39
	v_cmp_gt_u32_e64 s10, 8, v0
	v_or_b32_e32 v43, 0x4400, v29
	v_cmp_lt_u32_e64 s11, 31, v0
	v_add_nc_u32_e32 v45, 0x43fc, v39
	s_add_u32 s30, s4, 0x50
	v_cmp_eq_u32_e64 s4, 0, v0
	v_cmp_ne_u32_e64 s12, 0xff, v0
	v_sub_nc_u32_e32 v47, v46, v3
	v_mul_u32_u24_e32 v48, 6, v0
	v_add_co_ci_u32_e64 v61, null, s37, 0, s13
	v_mov_b32_e32 v62, 1
	v_and_b32_e32 v63, 15, v59
	v_bfe_i32 v64, v59, 4, 1
	v_and_b32_e32 v65, 16, v59
	v_and_b32_e32 v67, 7, v59
	v_sub_co_u32 v68, s13, v59, 1
	v_or_b32_e32 v70, 32, v66
	v_or_b32_e32 v71, 64, v66
	;; [unrolled: 1-line block ×7, first 2 shown]
	v_add_nc_u32_e32 v78, 0x420, v44
	v_lshlrev_b32_e32 v79, 1, v0
	v_lshlrev_b32_e32 v80, 1, v35
	;; [unrolled: 1-line block ×4, first 2 shown]
	v_add_co_ci_u32_e64 v86, null, 0, v10, vcc_lo
	v_lshlrev_b32_e32 v87, 1, v38
	v_add_nc_u32_e32 v88, 0x428, v44
	v_add_nc_u32_e32 v89, 0x430, v44
	;; [unrolled: 1-line block ×3, first 2 shown]
	v_mov_b32_e32 v4, 0
	s_addc_u32 s31, s5, 0
	s_mov_b32 s35, 0
	s_mov_b32 s29, s49
	s_branch .LBB1974_20
.LBB1974_18:                            ;   in Loop: Header=BB1974_20 Depth=1
	s_waitcnt lgkmcnt(0)
	s_barrier
.LBB1974_19:                            ;   in Loop: Header=BB1974_20 Depth=1
	s_add_i32 s29, s29, 8
	buffer_gl0_inv
	s_cmp_ge_u32 s29, s50
	s_cbranch_scc1 .LBB1974_678
.LBB1974_20:                            ; =>This Loop Header: Depth=1
                                        ;     Child Loop BB1974_24 Depth 2
                                        ;     Child Loop BB1974_72 Depth 2
	;; [unrolled: 1-line block ×8, first 2 shown]
	s_sub_i32 s5, s50, s29
	s_xor_b32 s51, s51, -1
	s_min_u32 s5, s5, 8
	ds_write2st64_b32 v29, v4, v4 offset1:4
	s_lshl_b32 s5, -1, s5
	ds_write2st64_b32 v29, v4, v4 offset0:8 offset1:12
	s_not_b32 s42, s5
	s_cmp_lg_u32 s29, s49
	s_mov_b32 s5, -1
	s_waitcnt lgkmcnt(0)
	s_waitcnt_vscnt null, 0x0
	s_cbranch_scc0 .LBB1974_350
; %bb.21:                               ;   in Loop: Header=BB1974_20 Depth=1
	s_and_b32 vcc_lo, exec_lo, s51
	s_cbranch_vccz .LBB1974_185
; %bb.22:                               ;   in Loop: Header=BB1974_20 Depth=1
	s_mov_b32 s5, s53
	s_mov_b32 s34, s33
	s_barrier
	buffer_gl0_inv
                                        ; implicit-def: $vgpr3
                                        ; implicit-def: $vgpr5
                                        ; implicit-def: $vgpr6
                                        ; implicit-def: $vgpr7
                                        ; implicit-def: $vgpr8
                                        ; implicit-def: $vgpr9
                                        ; implicit-def: $vgpr10
                                        ; implicit-def: $vgpr11
	s_branch .LBB1974_24
.LBB1974_23:                            ;   in Loop: Header=BB1974_24 Depth=2
	s_or_b32 exec_lo, exec_lo, s14
	s_addk_i32 s5, 0xf800
	s_cmp_ge_u32 s16, s52
	s_mov_b32 s34, s16
	s_cbranch_scc1 .LBB1974_60
.LBB1974_24:                            ;   Parent Loop BB1974_20 Depth=1
                                        ; =>  This Inner Loop Header: Depth=2
	s_add_i32 s16, s34, 0x800
	s_mov_b32 s14, -1
	s_cmp_gt_u32 s16, s52
                                        ; implicit-def: $vgpr12
                                        ; implicit-def: $vgpr13
                                        ; implicit-def: $vgpr14
                                        ; implicit-def: $vgpr15
                                        ; implicit-def: $vgpr16
                                        ; implicit-def: $vgpr17
                                        ; implicit-def: $vgpr18
                                        ; implicit-def: $vgpr19
	s_cbranch_scc1 .LBB1974_26
; %bb.25:                               ;   in Loop: Header=BB1974_24 Depth=2
	s_lshl_b64 s[14:15], s[34:35], 1
	v_add_co_u32 v15, vcc_lo, v33, s14
	v_add_co_ci_u32_e64 v16, null, s15, v34, vcc_lo
	s_mov_b32 s14, 0
	v_add_co_u32 v19, vcc_lo, 0x800, v15
	v_add_co_ci_u32_e64 v20, null, 0, v16, vcc_lo
	s_clause 0x7
	global_load_ushort v12, v[15:16], off
	global_load_ushort v13, v[15:16], off offset:512
	global_load_ushort v14, v[15:16], off offset:1024
	;; [unrolled: 1-line block ×3, first 2 shown]
	global_load_ushort v16, v[19:20], off
	global_load_ushort v17, v[19:20], off offset:512
	global_load_ushort v18, v[19:20], off offset:1024
	;; [unrolled: 1-line block ×3, first 2 shown]
.LBB1974_26:                            ;   in Loop: Header=BB1974_24 Depth=2
	s_andn2_b32 vcc_lo, exec_lo, s14
	s_movk_i32 s14, 0x800
	s_cbranch_vccnz .LBB1974_37
; %bb.27:                               ;   in Loop: Header=BB1974_24 Depth=2
	s_lshl_b64 s[14:15], s[34:35], 1
	s_mov_b32 s17, exec_lo
	s_add_u32 s14, s40, s14
	s_addc_u32 s15, s41, s15
	v_cmpx_gt_u32_e64 s5, v0
	s_cbranch_execnz .LBB1974_53
; %bb.28:                               ;   in Loop: Header=BB1974_24 Depth=2
	s_or_b32 exec_lo, exec_lo, s17
	s_mov_b32 s17, exec_lo
	v_cmpx_gt_u32_e64 s5, v30
	s_cbranch_execnz .LBB1974_54
.LBB1974_29:                            ;   in Loop: Header=BB1974_24 Depth=2
	s_or_b32 exec_lo, exec_lo, s17
	s_mov_b32 s17, exec_lo
	v_cmpx_gt_u32_e64 s5, v31
	s_cbranch_execnz .LBB1974_55
.LBB1974_30:                            ;   in Loop: Header=BB1974_24 Depth=2
	s_or_b32 exec_lo, exec_lo, s17
	s_mov_b32 s17, exec_lo
	v_cmpx_gt_u32_e64 s5, v32
	s_cbranch_execnz .LBB1974_56
.LBB1974_31:                            ;   in Loop: Header=BB1974_24 Depth=2
	s_or_b32 exec_lo, exec_lo, s17
	s_mov_b32 s17, exec_lo
	v_cmpx_gt_u32_e64 s5, v35
	s_cbranch_execnz .LBB1974_57
.LBB1974_32:                            ;   in Loop: Header=BB1974_24 Depth=2
	s_or_b32 exec_lo, exec_lo, s17
	s_mov_b32 s17, exec_lo
	v_cmpx_gt_u32_e64 s5, v36
	s_cbranch_execnz .LBB1974_58
.LBB1974_33:                            ;   in Loop: Header=BB1974_24 Depth=2
	s_or_b32 exec_lo, exec_lo, s17
	s_mov_b32 s17, exec_lo
	v_cmpx_gt_u32_e64 s5, v37
	s_cbranch_execnz .LBB1974_59
.LBB1974_34:                            ;   in Loop: Header=BB1974_24 Depth=2
	s_or_b32 exec_lo, exec_lo, s17
	s_mov_b32 s17, exec_lo
	v_cmpx_gt_u32_e64 s5, v38
	s_cbranch_execz .LBB1974_36
.LBB1974_35:                            ;   in Loop: Header=BB1974_24 Depth=2
	global_load_ushort v3, v87, s[14:15]
.LBB1974_36:                            ;   in Loop: Header=BB1974_24 Depth=2
	s_or_b32 exec_lo, exec_lo, s17
	s_waitcnt vmcnt(0)
	v_mov_b32_e32 v12, v11
	v_mov_b32_e32 v13, v10
	;; [unrolled: 1-line block ×8, first 2 shown]
	s_mov_b32 s14, s5
.LBB1974_37:                            ;   in Loop: Header=BB1974_24 Depth=2
	s_waitcnt vmcnt(0)
	v_mov_b32_e32 v3, v19
	v_mov_b32_e32 v5, v18
	;; [unrolled: 1-line block ×8, first 2 shown]
	s_mov_b32 s15, exec_lo
	v_cmpx_gt_u32_e64 s14, v0
	s_cbranch_execnz .LBB1974_45
; %bb.38:                               ;   in Loop: Header=BB1974_24 Depth=2
	s_or_b32 exec_lo, exec_lo, s15
	s_mov_b32 s15, exec_lo
	v_cmpx_gt_u32_e64 s14, v30
	s_cbranch_execnz .LBB1974_46
.LBB1974_39:                            ;   in Loop: Header=BB1974_24 Depth=2
	s_or_b32 exec_lo, exec_lo, s15
	s_mov_b32 s15, exec_lo
	v_cmpx_gt_u32_e64 s14, v31
	s_cbranch_execnz .LBB1974_47
.LBB1974_40:                            ;   in Loop: Header=BB1974_24 Depth=2
	s_or_b32 exec_lo, exec_lo, s15
	s_mov_b32 s15, exec_lo
	v_cmpx_gt_u32_e64 s14, v32
	s_cbranch_execnz .LBB1974_48
.LBB1974_41:                            ;   in Loop: Header=BB1974_24 Depth=2
	s_or_b32 exec_lo, exec_lo, s15
	s_mov_b32 s15, exec_lo
	v_cmpx_gt_u32_e64 s14, v35
	s_cbranch_execnz .LBB1974_49
.LBB1974_42:                            ;   in Loop: Header=BB1974_24 Depth=2
	s_or_b32 exec_lo, exec_lo, s15
	s_mov_b32 s15, exec_lo
	v_cmpx_gt_u32_e64 s14, v36
	s_cbranch_execnz .LBB1974_50
.LBB1974_43:                            ;   in Loop: Header=BB1974_24 Depth=2
	s_or_b32 exec_lo, exec_lo, s15
	s_mov_b32 s15, exec_lo
	v_cmpx_gt_u32_e64 s14, v37
	s_cbranch_execnz .LBB1974_51
.LBB1974_44:                            ;   in Loop: Header=BB1974_24 Depth=2
	s_or_b32 exec_lo, exec_lo, s15
	v_cmp_gt_u32_e32 vcc_lo, s14, v38
	s_and_saveexec_b32 s14, vcc_lo
	s_cbranch_execz .LBB1974_23
	s_branch .LBB1974_52
.LBB1974_45:                            ;   in Loop: Header=BB1974_24 Depth=2
	v_cmp_gt_i16_e32 vcc_lo, 0, v11
	v_cndmask_b32_e64 v12, 0x7fff, 0, vcc_lo
	v_xor_b32_e32 v12, v12, v11
	v_cmp_ne_u16_e32 vcc_lo, 0x8000, v12
	v_cndmask_b32_e32 v12, 0x7fff, v12, vcc_lo
	v_lshrrev_b32_sdwa v12, s29, v12 dst_sel:DWORD dst_unused:UNUSED_PAD src0_sel:DWORD src1_sel:WORD_0
	v_and_b32_e32 v12, s42, v12
	v_lshl_or_b32 v12, v12, 4, v40
	ds_add_u32 v12, v62
	s_or_b32 exec_lo, exec_lo, s15
	s_mov_b32 s15, exec_lo
	v_cmpx_gt_u32_e64 s14, v30
	s_cbranch_execz .LBB1974_39
.LBB1974_46:                            ;   in Loop: Header=BB1974_24 Depth=2
	v_cmp_gt_i16_e32 vcc_lo, 0, v10
	v_cndmask_b32_e64 v12, 0x7fff, 0, vcc_lo
	v_xor_b32_e32 v12, v12, v10
	v_cmp_ne_u16_e32 vcc_lo, 0x8000, v12
	v_cndmask_b32_e32 v12, 0x7fff, v12, vcc_lo
	v_lshrrev_b32_sdwa v12, s29, v12 dst_sel:DWORD dst_unused:UNUSED_PAD src0_sel:DWORD src1_sel:WORD_0
	v_and_b32_e32 v12, s42, v12
	v_lshl_or_b32 v12, v12, 4, v40
	ds_add_u32 v12, v62
	s_or_b32 exec_lo, exec_lo, s15
	s_mov_b32 s15, exec_lo
	v_cmpx_gt_u32_e64 s14, v31
	s_cbranch_execz .LBB1974_40
.LBB1974_47:                            ;   in Loop: Header=BB1974_24 Depth=2
	v_cmp_gt_i16_e32 vcc_lo, 0, v9
	v_cndmask_b32_e64 v12, 0x7fff, 0, vcc_lo
	v_xor_b32_e32 v12, v12, v9
	v_cmp_ne_u16_e32 vcc_lo, 0x8000, v12
	v_cndmask_b32_e32 v12, 0x7fff, v12, vcc_lo
	v_lshrrev_b32_sdwa v12, s29, v12 dst_sel:DWORD dst_unused:UNUSED_PAD src0_sel:DWORD src1_sel:WORD_0
	v_and_b32_e32 v12, s42, v12
	v_lshl_or_b32 v12, v12, 4, v40
	ds_add_u32 v12, v62
	s_or_b32 exec_lo, exec_lo, s15
	s_mov_b32 s15, exec_lo
	v_cmpx_gt_u32_e64 s14, v32
	s_cbranch_execz .LBB1974_41
.LBB1974_48:                            ;   in Loop: Header=BB1974_24 Depth=2
	v_cmp_gt_i16_e32 vcc_lo, 0, v8
	v_cndmask_b32_e64 v12, 0x7fff, 0, vcc_lo
	v_xor_b32_e32 v12, v12, v8
	v_cmp_ne_u16_e32 vcc_lo, 0x8000, v12
	v_cndmask_b32_e32 v12, 0x7fff, v12, vcc_lo
	v_lshrrev_b32_sdwa v12, s29, v12 dst_sel:DWORD dst_unused:UNUSED_PAD src0_sel:DWORD src1_sel:WORD_0
	v_and_b32_e32 v12, s42, v12
	v_lshl_or_b32 v12, v12, 4, v40
	ds_add_u32 v12, v62
	s_or_b32 exec_lo, exec_lo, s15
	s_mov_b32 s15, exec_lo
	v_cmpx_gt_u32_e64 s14, v35
	s_cbranch_execz .LBB1974_42
.LBB1974_49:                            ;   in Loop: Header=BB1974_24 Depth=2
	v_cmp_gt_i16_e32 vcc_lo, 0, v7
	v_cndmask_b32_e64 v12, 0x7fff, 0, vcc_lo
	v_xor_b32_e32 v12, v12, v7
	v_cmp_ne_u16_e32 vcc_lo, 0x8000, v12
	v_cndmask_b32_e32 v12, 0x7fff, v12, vcc_lo
	v_lshrrev_b32_sdwa v12, s29, v12 dst_sel:DWORD dst_unused:UNUSED_PAD src0_sel:DWORD src1_sel:WORD_0
	v_and_b32_e32 v12, s42, v12
	v_lshl_or_b32 v12, v12, 4, v40
	ds_add_u32 v12, v62
	s_or_b32 exec_lo, exec_lo, s15
	s_mov_b32 s15, exec_lo
	v_cmpx_gt_u32_e64 s14, v36
	s_cbranch_execz .LBB1974_43
.LBB1974_50:                            ;   in Loop: Header=BB1974_24 Depth=2
	v_cmp_gt_i16_e32 vcc_lo, 0, v6
	v_cndmask_b32_e64 v12, 0x7fff, 0, vcc_lo
	v_xor_b32_e32 v12, v12, v6
	v_cmp_ne_u16_e32 vcc_lo, 0x8000, v12
	v_cndmask_b32_e32 v12, 0x7fff, v12, vcc_lo
	v_lshrrev_b32_sdwa v12, s29, v12 dst_sel:DWORD dst_unused:UNUSED_PAD src0_sel:DWORD src1_sel:WORD_0
	v_and_b32_e32 v12, s42, v12
	v_lshl_or_b32 v12, v12, 4, v40
	ds_add_u32 v12, v62
	s_or_b32 exec_lo, exec_lo, s15
	s_mov_b32 s15, exec_lo
	v_cmpx_gt_u32_e64 s14, v37
	s_cbranch_execz .LBB1974_44
.LBB1974_51:                            ;   in Loop: Header=BB1974_24 Depth=2
	v_cmp_gt_i16_e32 vcc_lo, 0, v5
	v_cndmask_b32_e64 v12, 0x7fff, 0, vcc_lo
	v_xor_b32_e32 v12, v12, v5
	v_cmp_ne_u16_e32 vcc_lo, 0x8000, v12
	v_cndmask_b32_e32 v12, 0x7fff, v12, vcc_lo
	v_lshrrev_b32_sdwa v12, s29, v12 dst_sel:DWORD dst_unused:UNUSED_PAD src0_sel:DWORD src1_sel:WORD_0
	v_and_b32_e32 v12, s42, v12
	v_lshl_or_b32 v12, v12, 4, v40
	ds_add_u32 v12, v62
	s_or_b32 exec_lo, exec_lo, s15
	v_cmp_gt_u32_e32 vcc_lo, s14, v38
	s_and_saveexec_b32 s14, vcc_lo
	s_cbranch_execz .LBB1974_23
.LBB1974_52:                            ;   in Loop: Header=BB1974_24 Depth=2
	v_cmp_gt_i16_e32 vcc_lo, 0, v3
	v_cndmask_b32_e64 v12, 0x7fff, 0, vcc_lo
	v_xor_b32_e32 v12, v12, v3
	v_cmp_ne_u16_e32 vcc_lo, 0x8000, v12
	v_cndmask_b32_e32 v12, 0x7fff, v12, vcc_lo
	v_lshrrev_b32_sdwa v12, s29, v12 dst_sel:DWORD dst_unused:UNUSED_PAD src0_sel:DWORD src1_sel:WORD_0
	v_and_b32_e32 v12, s42, v12
	v_lshl_or_b32 v12, v12, 4, v40
	ds_add_u32 v12, v62
	s_branch .LBB1974_23
.LBB1974_53:                            ;   in Loop: Header=BB1974_24 Depth=2
	global_load_ushort v11, v79, s[14:15]
	s_or_b32 exec_lo, exec_lo, s17
	s_mov_b32 s17, exec_lo
	v_cmpx_gt_u32_e64 s5, v30
	s_cbranch_execz .LBB1974_29
.LBB1974_54:                            ;   in Loop: Header=BB1974_24 Depth=2
	global_load_ushort v10, v79, s[14:15] offset:512
	s_or_b32 exec_lo, exec_lo, s17
	s_mov_b32 s17, exec_lo
	v_cmpx_gt_u32_e64 s5, v31
	s_cbranch_execz .LBB1974_30
.LBB1974_55:                            ;   in Loop: Header=BB1974_24 Depth=2
	global_load_ushort v9, v79, s[14:15] offset:1024
	s_or_b32 exec_lo, exec_lo, s17
	s_mov_b32 s17, exec_lo
	v_cmpx_gt_u32_e64 s5, v32
	s_cbranch_execz .LBB1974_31
.LBB1974_56:                            ;   in Loop: Header=BB1974_24 Depth=2
	global_load_ushort v8, v79, s[14:15] offset:1536
	s_or_b32 exec_lo, exec_lo, s17
	s_mov_b32 s17, exec_lo
	v_cmpx_gt_u32_e64 s5, v35
	s_cbranch_execz .LBB1974_32
.LBB1974_57:                            ;   in Loop: Header=BB1974_24 Depth=2
	global_load_ushort v7, v80, s[14:15]
	s_or_b32 exec_lo, exec_lo, s17
	s_mov_b32 s17, exec_lo
	v_cmpx_gt_u32_e64 s5, v36
	s_cbranch_execz .LBB1974_33
.LBB1974_58:                            ;   in Loop: Header=BB1974_24 Depth=2
	global_load_ushort v6, v81, s[14:15]
	s_or_b32 exec_lo, exec_lo, s17
	s_mov_b32 s17, exec_lo
	v_cmpx_gt_u32_e64 s5, v37
	s_cbranch_execz .LBB1974_34
.LBB1974_59:                            ;   in Loop: Header=BB1974_24 Depth=2
	global_load_ushort v5, v82, s[14:15]
	s_or_b32 exec_lo, exec_lo, s17
	s_mov_b32 s17, exec_lo
	v_cmpx_gt_u32_e64 s5, v38
	s_cbranch_execnz .LBB1974_35
	s_branch .LBB1974_36
.LBB1974_60:                            ;   in Loop: Header=BB1974_20 Depth=1
	v_mov_b32_e32 v3, 0
	s_waitcnt lgkmcnt(0)
	s_barrier
	buffer_gl0_inv
	s_and_saveexec_b32 s5, s8
	s_cbranch_execz .LBB1974_62
; %bb.61:                               ;   in Loop: Header=BB1974_20 Depth=1
	ds_read2_b64 v[5:8], v41 offset1:1
	s_waitcnt lgkmcnt(0)
	v_add_nc_u32_e32 v3, v6, v5
	v_add3_u32 v3, v3, v7, v8
.LBB1974_62:                            ;   in Loop: Header=BB1974_20 Depth=1
	s_or_b32 exec_lo, exec_lo, s5
	v_mov_b32_dpp v5, v3 row_shr:1 row_mask:0xf bank_mask:0xf
	v_cmp_eq_u32_e64 s5, 0, v63
	v_cmp_lt_u32_e64 s14, 1, v63
	v_cmp_lt_u32_e64 s15, 3, v63
	;; [unrolled: 1-line block ×3, first 2 shown]
	v_cmp_eq_u32_e64 s17, 0, v65
	v_cndmask_b32_e64 v5, v5, 0, s5
	v_add_nc_u32_e32 v3, v5, v3
	v_mov_b32_dpp v5, v3 row_shr:2 row_mask:0xf bank_mask:0xf
	v_cndmask_b32_e64 v5, 0, v5, s14
	v_add_nc_u32_e32 v3, v3, v5
	v_mov_b32_dpp v5, v3 row_shr:4 row_mask:0xf bank_mask:0xf
	v_cndmask_b32_e64 v5, 0, v5, s15
	v_add_nc_u32_e32 v3, v3, v5
	v_mov_b32_dpp v5, v3 row_shr:8 row_mask:0xf bank_mask:0xf
	v_cndmask_b32_e64 v5, 0, v5, s16
	v_add_nc_u32_e32 v3, v3, v5
	ds_swizzle_b32 v5, v3 offset:swizzle(BROADCAST,32,15)
	s_waitcnt lgkmcnt(0)
	v_and_b32_e32 v5, v64, v5
	v_add_nc_u32_e32 v3, v3, v5
	s_and_saveexec_b32 s18, s9
; %bb.63:                               ;   in Loop: Header=BB1974_20 Depth=1
	ds_write_b32 v42, v3
; %bb.64:                               ;   in Loop: Header=BB1974_20 Depth=1
	s_or_b32 exec_lo, exec_lo, s18
	s_waitcnt lgkmcnt(0)
	s_barrier
	buffer_gl0_inv
	s_and_saveexec_b32 s18, s10
	s_cbranch_execz .LBB1974_66
; %bb.65:                               ;   in Loop: Header=BB1974_20 Depth=1
	ds_read_b32 v5, v43
	v_cmp_ne_u32_e32 vcc_lo, 0, v67
	s_waitcnt lgkmcnt(0)
	v_mov_b32_dpp v6, v5 row_shr:1 row_mask:0xf bank_mask:0xf
	v_cndmask_b32_e32 v6, 0, v6, vcc_lo
	v_cmp_lt_u32_e32 vcc_lo, 1, v67
	v_add_nc_u32_e32 v5, v6, v5
	v_mov_b32_dpp v6, v5 row_shr:2 row_mask:0xf bank_mask:0xf
	v_cndmask_b32_e32 v6, 0, v6, vcc_lo
	v_cmp_lt_u32_e32 vcc_lo, 3, v67
	v_add_nc_u32_e32 v5, v5, v6
	v_mov_b32_dpp v6, v5 row_shr:4 row_mask:0xf bank_mask:0xf
	v_cndmask_b32_e32 v6, 0, v6, vcc_lo
	v_add_nc_u32_e32 v5, v5, v6
	ds_write_b32 v43, v5
.LBB1974_66:                            ;   in Loop: Header=BB1974_20 Depth=1
	s_or_b32 exec_lo, exec_lo, s18
	v_mov_b32_e32 v5, 0
	s_waitcnt lgkmcnt(0)
	s_barrier
	buffer_gl0_inv
	s_and_saveexec_b32 s18, s11
; %bb.67:                               ;   in Loop: Header=BB1974_20 Depth=1
	ds_read_b32 v5, v45
; %bb.68:                               ;   in Loop: Header=BB1974_20 Depth=1
	s_or_b32 exec_lo, exec_lo, s18
	v_cmp_gt_i32_e32 vcc_lo, 0, v68
	s_waitcnt lgkmcnt(0)
	v_add_nc_u32_e32 v3, v5, v3
	s_barrier
	buffer_gl0_inv
	v_cndmask_b32_e32 v6, v68, v59, vcc_lo
	v_lshlrev_b32_e32 v91, 2, v6
	ds_bpermute_b32 v3, v91, v3
	s_and_saveexec_b32 s18, s8
	s_cbranch_execz .LBB1974_70
; %bb.69:                               ;   in Loop: Header=BB1974_20 Depth=1
	s_waitcnt lgkmcnt(0)
	v_cndmask_b32_e64 v3, v3, v5, s13
	v_add_nc_u32_e32 v3, s33, v3
	ds_write_b32 v29, v3
.LBB1974_70:                            ;   in Loop: Header=BB1974_20 Depth=1
	s_or_b32 exec_lo, exec_lo, s18
	s_clause 0x1
	s_load_dword s18, s[30:31], 0x4
	s_load_dword s20, s[30:31], 0xc
	s_mov_b32 s43, s53
	s_mov_b32 s34, s33
                                        ; implicit-def: $vgpr7_vgpr8
                                        ; implicit-def: $vgpr9_vgpr10
                                        ; implicit-def: $vgpr11_vgpr12
                                        ; implicit-def: $vgpr13_vgpr14
                                        ; implicit-def: $vgpr15_vgpr16
                                        ; implicit-def: $vgpr17_vgpr18
                                        ; implicit-def: $vgpr19_vgpr20
                                        ; implicit-def: $vgpr93
                                        ; implicit-def: $vgpr94
                                        ; implicit-def: $vgpr95
                                        ; implicit-def: $vgpr96
                                        ; implicit-def: $vgpr97
                                        ; implicit-def: $vgpr98
                                        ; implicit-def: $vgpr99
                                        ; implicit-def: $vgpr100
	s_waitcnt lgkmcnt(0)
	s_cmp_lt_u32 s7, s18
	s_cselect_b32 s18, 14, 20
	s_add_u32 s18, s30, s18
	s_addc_u32 s19, s31, 0
	global_load_ushort v3, v4, s[18:19]
	s_and_b32 s18, s20, 0xffff
	v_cmp_lt_u32_e64 s19, 1, v67
	v_cmp_lt_u32_e64 s20, 3, v67
	s_waitcnt vmcnt(0)
	v_mad_u32_u24 v3, v2, v3, v1
	v_mad_u64_u32 v[5:6], null, v3, s18, v[0:1]
	v_cmp_eq_u32_e64 s18, 0, v67
	v_lshrrev_b32_e32 v3, 3, v5
                                        ; implicit-def: $vgpr5_vgpr6
	v_and_b32_e32 v92, 0x1ffffffc, v3
	s_branch .LBB1974_72
.LBB1974_71:                            ;   in Loop: Header=BB1974_72 Depth=2
	s_or_b32 exec_lo, exec_lo, s21
	s_addk_i32 s43, 0xf800
	s_cmp_lt_u32 s48, s52
	s_mov_b32 s34, s48
	s_cbranch_scc0 .LBB1974_184
.LBB1974_72:                            ;   Parent Loop BB1974_20 Depth=1
                                        ; =>  This Inner Loop Header: Depth=2
	s_add_i32 s48, s34, 0x800
	s_cmp_gt_u32 s48, s52
	s_cbranch_scc1 .LBB1974_74
; %bb.73:                               ;   in Loop: Header=BB1974_72 Depth=2
	s_lshl_b64 s[22:23], s[34:35], 1
	s_mov_b32 s21, -1
	v_add_co_u32 v21, vcc_lo, v85, s22
	v_add_co_ci_u32_e64 v22, null, s23, v86, vcc_lo
	s_clause 0x6
	global_load_ushort v3, v[21:22], off
	global_load_ushort v28, v[21:22], off offset:64
	global_load_ushort v27, v[21:22], off offset:128
	;; [unrolled: 1-line block ×6, first 2 shown]
	s_movk_i32 s22, 0x800
	s_cbranch_execz .LBB1974_75
	s_branch .LBB1974_90
.LBB1974_74:                            ;   in Loop: Header=BB1974_72 Depth=2
	s_mov_b32 s21, 0
                                        ; implicit-def: $vgpr3
                                        ; implicit-def: $vgpr28
                                        ; implicit-def: $vgpr27
                                        ; implicit-def: $vgpr26
                                        ; implicit-def: $vgpr25
                                        ; implicit-def: $vgpr24
                                        ; implicit-def: $vgpr23
	s_movk_i32 s22, 0x800
.LBB1974_75:                            ;   in Loop: Header=BB1974_72 Depth=2
	s_lshl_b64 s[22:23], s[34:35], 1
	s_waitcnt vmcnt(5)
	v_mov_b32_e32 v28, -1
	v_add_co_u32 v21, vcc_lo, v85, s22
	v_add_co_ci_u32_e64 v22, null, s23, v86, vcc_lo
	v_mov_b32_e32 v3, -1
	s_mov_b32 s21, exec_lo
	v_cmpx_gt_u32_e64 s43, v66
	s_cbranch_execz .LBB1974_77
; %bb.76:                               ;   in Loop: Header=BB1974_72 Depth=2
	global_load_ushort v3, v[21:22], off
.LBB1974_77:                            ;   in Loop: Header=BB1974_72 Depth=2
	s_or_b32 exec_lo, exec_lo, s21
	s_mov_b32 s21, exec_lo
	v_cmpx_gt_u32_e64 s43, v70
	s_cbranch_execz .LBB1974_79
; %bb.78:                               ;   in Loop: Header=BB1974_72 Depth=2
	global_load_ushort v28, v[21:22], off offset:64
.LBB1974_79:                            ;   in Loop: Header=BB1974_72 Depth=2
	s_or_b32 exec_lo, exec_lo, s21
	s_waitcnt vmcnt(3)
	v_mov_b32_e32 v26, -1
	v_mov_b32_e32 v27, -1
	s_mov_b32 s21, exec_lo
	v_cmpx_gt_u32_e64 s43, v71
	s_cbranch_execz .LBB1974_81
; %bb.80:                               ;   in Loop: Header=BB1974_72 Depth=2
	global_load_ushort v27, v[21:22], off offset:128
.LBB1974_81:                            ;   in Loop: Header=BB1974_72 Depth=2
	s_or_b32 exec_lo, exec_lo, s21
	s_mov_b32 s21, exec_lo
	v_cmpx_gt_u32_e64 s43, v72
	s_cbranch_execz .LBB1974_83
; %bb.82:                               ;   in Loop: Header=BB1974_72 Depth=2
	global_load_ushort v26, v[21:22], off offset:192
.LBB1974_83:                            ;   in Loop: Header=BB1974_72 Depth=2
	s_or_b32 exec_lo, exec_lo, s21
	s_waitcnt vmcnt(1)
	v_mov_b32_e32 v24, -1
	v_mov_b32_e32 v25, -1
	s_mov_b32 s21, exec_lo
	v_cmpx_gt_u32_e64 s43, v73
	s_cbranch_execz .LBB1974_85
; %bb.84:                               ;   in Loop: Header=BB1974_72 Depth=2
	global_load_ushort v25, v[21:22], off offset:256
.LBB1974_85:                            ;   in Loop: Header=BB1974_72 Depth=2
	s_or_b32 exec_lo, exec_lo, s21
	s_mov_b32 s21, exec_lo
	v_cmpx_gt_u32_e64 s43, v74
	s_cbranch_execz .LBB1974_87
; %bb.86:                               ;   in Loop: Header=BB1974_72 Depth=2
	global_load_ushort v24, v[21:22], off offset:320
.LBB1974_87:                            ;   in Loop: Header=BB1974_72 Depth=2
	s_or_b32 exec_lo, exec_lo, s21
	s_waitcnt vmcnt(0)
	v_mov_b32_e32 v23, -1
	s_mov_b32 s21, exec_lo
	v_cmpx_gt_u32_e64 s43, v75
	s_cbranch_execz .LBB1974_89
; %bb.88:                               ;   in Loop: Header=BB1974_72 Depth=2
	global_load_ushort v23, v[21:22], off offset:384
.LBB1974_89:                            ;   in Loop: Header=BB1974_72 Depth=2
	s_or_b32 exec_lo, exec_lo, s21
	v_cmp_gt_u32_e64 s21, s43, v76
	s_sub_i32 s22, s52, s34
.LBB1974_90:                            ;   in Loop: Header=BB1974_72 Depth=2
	v_mov_b32_e32 v21, -1
	v_mov_b32_e32 v101, s43
	s_and_saveexec_b32 s23, s21
	s_cbranch_execz .LBB1974_92
; %bb.91:                               ;   in Loop: Header=BB1974_72 Depth=2
	s_lshl_b64 s[24:25], s[34:35], 1
	v_mov_b32_e32 v101, s22
	v_add_co_u32 v21, vcc_lo, v85, s24
	v_add_co_ci_u32_e64 v22, null, s25, v86, vcc_lo
	global_load_ushort v21, v[21:22], off offset:448
.LBB1974_92:                            ;   in Loop: Header=BB1974_72 Depth=2
	s_or_b32 exec_lo, exec_lo, s23
	s_waitcnt vmcnt(6)
	v_cmp_gt_i16_e32 vcc_lo, 0, v3
	ds_write2_b32 v78, v4, v4 offset1:1
	ds_write2_b32 v88, v4, v4 offset1:1
	;; [unrolled: 1-line block ×4, first 2 shown]
	ds_write_b32 v44, v4 offset:1088
	s_waitcnt vmcnt(0) lgkmcnt(0)
	s_barrier
	v_cndmask_b32_e64 v22, 0x7fff, 0, vcc_lo
	buffer_gl0_inv
	; wave barrier
	v_xor_b32_e32 v3, v22, v3
	v_cmp_ne_u16_e32 vcc_lo, 0x8000, v3
	v_cndmask_b32_e32 v22, 0x7fff, v3, vcc_lo
	v_lshrrev_b32_sdwa v22, s29, v22 dst_sel:DWORD dst_unused:UNUSED_PAD src0_sel:DWORD src1_sel:WORD_0
	v_and_b32_e32 v103, s42, v22
	v_and_b32_e32 v22, 1, v103
	v_lshlrev_b32_e32 v102, 30, v103
	v_lshlrev_b32_e32 v104, 29, v103
	;; [unrolled: 1-line block ×4, first 2 shown]
	v_add_co_u32 v22, s21, v22, -1
	v_cndmask_b32_e64 v106, 0, 1, s21
	v_not_b32_e32 v110, v102
	v_cmp_gt_i32_e64 s21, 0, v102
	v_not_b32_e32 v102, v104
	v_lshlrev_b32_e32 v108, 26, v103
	v_cmp_ne_u32_e32 vcc_lo, 0, v106
	v_ashrrev_i32_e32 v110, 31, v110
	v_lshlrev_b32_e32 v109, 25, v103
	v_ashrrev_i32_e32 v102, 31, v102
	v_lshlrev_b32_e32 v106, 24, v103
	v_xor_b32_e32 v22, vcc_lo, v22
	v_cmp_gt_i32_e32 vcc_lo, 0, v104
	v_not_b32_e32 v104, v105
	v_xor_b32_e32 v110, s21, v110
	v_cmp_gt_i32_e64 s21, 0, v105
	v_and_b32_e32 v22, exec_lo, v22
	v_not_b32_e32 v105, v107
	v_ashrrev_i32_e32 v104, 31, v104
	v_xor_b32_e32 v102, vcc_lo, v102
	v_cmp_gt_i32_e32 vcc_lo, 0, v107
	v_and_b32_e32 v22, v22, v110
	v_not_b32_e32 v107, v108
	v_ashrrev_i32_e32 v105, 31, v105
	v_xor_b32_e32 v104, s21, v104
	v_cmp_gt_i32_e64 s21, 0, v108
	v_and_b32_e32 v22, v22, v102
	v_not_b32_e32 v102, v109
	v_ashrrev_i32_e32 v107, 31, v107
	v_xor_b32_e32 v105, vcc_lo, v105
	v_cmp_gt_i32_e32 vcc_lo, 0, v109
	v_and_b32_e32 v22, v22, v104
	v_not_b32_e32 v104, v106
	v_ashrrev_i32_e32 v102, 31, v102
	v_xor_b32_e32 v107, s21, v107
	v_cmp_gt_i32_e64 s21, 0, v106
	v_and_b32_e32 v22, v22, v105
	v_ashrrev_i32_e32 v104, 31, v104
	v_xor_b32_e32 v102, vcc_lo, v102
	v_mul_u32_u24_e32 v103, 36, v103
	v_and_b32_e32 v22, v22, v107
	v_xor_b32_e32 v104, s21, v104
	v_and_b32_e32 v22, v22, v102
	v_and_b32_e32 v22, v22, v104
	v_add_nc_u32_e32 v104, v92, v103
	v_mbcnt_lo_u32_b32 v102, v22, 0
	v_cmp_ne_u32_e64 s21, 0, v22
	v_cmp_eq_u32_e32 vcc_lo, 0, v102
	s_and_b32 s22, s21, vcc_lo
	s_and_saveexec_b32 s21, s22
; %bb.93:                               ;   in Loop: Header=BB1974_72 Depth=2
	v_bcnt_u32_b32 v22, v22, 0
	ds_write_b32 v104, v22 offset:1056
; %bb.94:                               ;   in Loop: Header=BB1974_72 Depth=2
	s_or_b32 exec_lo, exec_lo, s21
	v_cmp_gt_i16_e32 vcc_lo, 0, v28
	; wave barrier
	v_cndmask_b32_e64 v22, 0x7fff, 0, vcc_lo
	v_xor_b32_e32 v103, v22, v28
	v_cmp_ne_u16_e32 vcc_lo, 0x8000, v103
	v_cndmask_b32_e32 v22, 0x7fff, v103, vcc_lo
	v_lshrrev_b32_sdwa v22, s29, v22 dst_sel:DWORD dst_unused:UNUSED_PAD src0_sel:DWORD src1_sel:WORD_0
	v_and_b32_e32 v28, s42, v22
	v_and_b32_e32 v22, 1, v28
	v_lshlrev_b32_e32 v105, 30, v28
	v_lshlrev_b32_e32 v106, 29, v28
	;; [unrolled: 1-line block ×4, first 2 shown]
	v_add_co_u32 v22, s21, v22, -1
	v_cndmask_b32_e64 v108, 0, 1, s21
	v_not_b32_e32 v112, v105
	v_cmp_gt_i32_e64 s21, 0, v105
	v_not_b32_e32 v105, v106
	v_lshlrev_b32_e32 v110, 26, v28
	v_cmp_ne_u32_e32 vcc_lo, 0, v108
	v_ashrrev_i32_e32 v112, 31, v112
	v_lshlrev_b32_e32 v111, 25, v28
	v_ashrrev_i32_e32 v105, 31, v105
	v_lshlrev_b32_e32 v108, 24, v28
	v_xor_b32_e32 v22, vcc_lo, v22
	v_cmp_gt_i32_e32 vcc_lo, 0, v106
	v_not_b32_e32 v106, v107
	v_xor_b32_e32 v112, s21, v112
	v_cmp_gt_i32_e64 s21, 0, v107
	v_and_b32_e32 v22, exec_lo, v22
	v_not_b32_e32 v107, v109
	v_ashrrev_i32_e32 v106, 31, v106
	v_xor_b32_e32 v105, vcc_lo, v105
	v_cmp_gt_i32_e32 vcc_lo, 0, v109
	v_and_b32_e32 v22, v22, v112
	v_not_b32_e32 v109, v110
	v_ashrrev_i32_e32 v107, 31, v107
	v_xor_b32_e32 v106, s21, v106
	v_cmp_gt_i32_e64 s21, 0, v110
	v_and_b32_e32 v22, v22, v105
	v_not_b32_e32 v105, v111
	v_ashrrev_i32_e32 v109, 31, v109
	v_xor_b32_e32 v107, vcc_lo, v107
	v_cmp_gt_i32_e32 vcc_lo, 0, v111
	v_and_b32_e32 v22, v22, v106
	v_not_b32_e32 v106, v108
	v_ashrrev_i32_e32 v105, 31, v105
	v_xor_b32_e32 v109, s21, v109
	v_cmp_gt_i32_e64 s21, 0, v108
	v_and_b32_e32 v22, v22, v107
	v_ashrrev_i32_e32 v106, 31, v106
	v_xor_b32_e32 v105, vcc_lo, v105
	v_mad_u32_u24 v107, v28, 36, v92
	v_mul_u32_u24_e32 v28, 36, v28
	v_and_b32_e32 v22, v22, v109
	v_xor_b32_e32 v106, s21, v106
	v_add_nc_u32_e32 v108, v92, v28
	v_and_b32_e32 v22, v22, v105
	ds_read_b32 v105, v107 offset:1056
	; wave barrier
	v_and_b32_e32 v22, v22, v106
	v_mbcnt_lo_u32_b32 v106, v22, 0
	v_cmp_ne_u32_e64 s21, 0, v22
	v_cmp_eq_u32_e32 vcc_lo, 0, v106
	s_and_b32 s22, s21, vcc_lo
	s_and_saveexec_b32 s21, s22
	s_cbranch_execz .LBB1974_96
; %bb.95:                               ;   in Loop: Header=BB1974_72 Depth=2
	s_waitcnt lgkmcnt(0)
	v_bcnt_u32_b32 v22, v22, v105
	ds_write_b32 v108, v22 offset:1056
.LBB1974_96:                            ;   in Loop: Header=BB1974_72 Depth=2
	s_or_b32 exec_lo, exec_lo, s21
	v_cmp_gt_i16_e32 vcc_lo, 0, v27
	; wave barrier
	v_cndmask_b32_e64 v22, 0x7fff, 0, vcc_lo
	v_xor_b32_e32 v107, v22, v27
	v_cmp_ne_u16_e32 vcc_lo, 0x8000, v107
	v_cndmask_b32_e32 v22, 0x7fff, v107, vcc_lo
	v_lshrrev_b32_sdwa v22, s29, v22 dst_sel:DWORD dst_unused:UNUSED_PAD src0_sel:DWORD src1_sel:WORD_0
	v_and_b32_e32 v27, s42, v22
	v_and_b32_e32 v22, 1, v27
	v_lshlrev_b32_e32 v28, 30, v27
	v_lshlrev_b32_e32 v109, 29, v27
	;; [unrolled: 1-line block ×4, first 2 shown]
	v_add_co_u32 v22, s21, v22, -1
	v_cndmask_b32_e64 v111, 0, 1, s21
	v_not_b32_e32 v115, v28
	v_cmp_gt_i32_e64 s21, 0, v28
	v_not_b32_e32 v28, v109
	v_lshlrev_b32_e32 v113, 26, v27
	v_cmp_ne_u32_e32 vcc_lo, 0, v111
	v_ashrrev_i32_e32 v115, 31, v115
	v_lshlrev_b32_e32 v114, 25, v27
	v_ashrrev_i32_e32 v28, 31, v28
	v_lshlrev_b32_e32 v111, 24, v27
	v_xor_b32_e32 v22, vcc_lo, v22
	v_cmp_gt_i32_e32 vcc_lo, 0, v109
	v_not_b32_e32 v109, v110
	v_xor_b32_e32 v115, s21, v115
	v_cmp_gt_i32_e64 s21, 0, v110
	v_and_b32_e32 v22, exec_lo, v22
	v_not_b32_e32 v110, v112
	v_ashrrev_i32_e32 v109, 31, v109
	v_xor_b32_e32 v28, vcc_lo, v28
	v_cmp_gt_i32_e32 vcc_lo, 0, v112
	v_and_b32_e32 v22, v22, v115
	v_not_b32_e32 v112, v113
	v_ashrrev_i32_e32 v110, 31, v110
	v_xor_b32_e32 v109, s21, v109
	v_cmp_gt_i32_e64 s21, 0, v113
	v_and_b32_e32 v22, v22, v28
	v_not_b32_e32 v28, v114
	v_ashrrev_i32_e32 v112, 31, v112
	v_xor_b32_e32 v110, vcc_lo, v110
	v_cmp_gt_i32_e32 vcc_lo, 0, v114
	v_and_b32_e32 v22, v22, v109
	v_not_b32_e32 v109, v111
	v_ashrrev_i32_e32 v28, 31, v28
	v_xor_b32_e32 v112, s21, v112
	v_cmp_gt_i32_e64 s21, 0, v111
	v_and_b32_e32 v22, v22, v110
	v_ashrrev_i32_e32 v109, 31, v109
	v_xor_b32_e32 v28, vcc_lo, v28
	v_mad_u32_u24 v110, v27, 36, v92
	v_mul_u32_u24_e32 v27, 36, v27
	v_and_b32_e32 v22, v22, v112
	v_xor_b32_e32 v111, s21, v109
	ds_read_b32 v109, v110 offset:1056
	v_add_nc_u32_e32 v112, v92, v27
	v_and_b32_e32 v22, v22, v28
	; wave barrier
	v_and_b32_e32 v22, v22, v111
	v_mbcnt_lo_u32_b32 v111, v22, 0
	v_cmp_ne_u32_e64 s21, 0, v22
	v_cmp_eq_u32_e32 vcc_lo, 0, v111
	s_and_b32 s22, s21, vcc_lo
	s_and_saveexec_b32 s21, s22
	s_cbranch_execz .LBB1974_98
; %bb.97:                               ;   in Loop: Header=BB1974_72 Depth=2
	s_waitcnt lgkmcnt(0)
	v_bcnt_u32_b32 v22, v22, v109
	ds_write_b32 v112, v22 offset:1056
.LBB1974_98:                            ;   in Loop: Header=BB1974_72 Depth=2
	s_or_b32 exec_lo, exec_lo, s21
	v_cmp_gt_i16_e32 vcc_lo, 0, v26
	; wave barrier
	v_cndmask_b32_e64 v22, 0x7fff, 0, vcc_lo
	v_xor_b32_e32 v110, v22, v26
	v_cmp_ne_u16_e32 vcc_lo, 0x8000, v110
	v_cndmask_b32_e32 v22, 0x7fff, v110, vcc_lo
	v_lshrrev_b32_sdwa v22, s29, v22 dst_sel:DWORD dst_unused:UNUSED_PAD src0_sel:DWORD src1_sel:WORD_0
	v_and_b32_e32 v26, s42, v22
	v_and_b32_e32 v22, 1, v26
	v_lshlrev_b32_e32 v27, 30, v26
	v_lshlrev_b32_e32 v28, 29, v26
	;; [unrolled: 1-line block ×4, first 2 shown]
	v_add_co_u32 v22, s21, v22, -1
	v_cndmask_b32_e64 v114, 0, 1, s21
	v_not_b32_e32 v118, v27
	v_cmp_gt_i32_e64 s21, 0, v27
	v_not_b32_e32 v27, v28
	v_lshlrev_b32_e32 v116, 26, v26
	v_cmp_ne_u32_e32 vcc_lo, 0, v114
	v_ashrrev_i32_e32 v118, 31, v118
	v_lshlrev_b32_e32 v117, 25, v26
	v_ashrrev_i32_e32 v27, 31, v27
	v_lshlrev_b32_e32 v114, 24, v26
	v_xor_b32_e32 v22, vcc_lo, v22
	v_cmp_gt_i32_e32 vcc_lo, 0, v28
	v_not_b32_e32 v28, v113
	v_xor_b32_e32 v118, s21, v118
	v_cmp_gt_i32_e64 s21, 0, v113
	v_and_b32_e32 v22, exec_lo, v22
	v_not_b32_e32 v113, v115
	v_ashrrev_i32_e32 v28, 31, v28
	v_xor_b32_e32 v27, vcc_lo, v27
	v_cmp_gt_i32_e32 vcc_lo, 0, v115
	v_and_b32_e32 v22, v22, v118
	v_not_b32_e32 v115, v116
	v_ashrrev_i32_e32 v113, 31, v113
	v_xor_b32_e32 v28, s21, v28
	v_cmp_gt_i32_e64 s21, 0, v116
	v_and_b32_e32 v22, v22, v27
	v_not_b32_e32 v27, v117
	v_ashrrev_i32_e32 v115, 31, v115
	v_xor_b32_e32 v113, vcc_lo, v113
	v_cmp_gt_i32_e32 vcc_lo, 0, v117
	v_and_b32_e32 v22, v22, v28
	v_not_b32_e32 v28, v114
	v_ashrrev_i32_e32 v27, 31, v27
	v_xor_b32_e32 v115, s21, v115
	v_cmp_gt_i32_e64 s21, 0, v114
	v_and_b32_e32 v22, v22, v113
	v_ashrrev_i32_e32 v28, 31, v28
	v_xor_b32_e32 v27, vcc_lo, v27
	v_mad_u32_u24 v113, v26, 36, v92
	v_mul_u32_u24_e32 v26, 36, v26
	v_and_b32_e32 v22, v22, v115
	v_xor_b32_e32 v28, s21, v28
	ds_read_b32 v113, v113 offset:1056
	v_add_nc_u32_e32 v116, v92, v26
	v_and_b32_e32 v22, v22, v27
	; wave barrier
	v_and_b32_e32 v22, v22, v28
	v_mbcnt_lo_u32_b32 v115, v22, 0
	v_cmp_ne_u32_e64 s21, 0, v22
	v_cmp_eq_u32_e32 vcc_lo, 0, v115
	s_and_b32 s22, s21, vcc_lo
	s_and_saveexec_b32 s21, s22
	s_cbranch_execz .LBB1974_100
; %bb.99:                               ;   in Loop: Header=BB1974_72 Depth=2
	s_waitcnt lgkmcnt(0)
	v_bcnt_u32_b32 v22, v22, v113
	ds_write_b32 v116, v22 offset:1056
.LBB1974_100:                           ;   in Loop: Header=BB1974_72 Depth=2
	s_or_b32 exec_lo, exec_lo, s21
	v_cmp_gt_i16_e32 vcc_lo, 0, v25
	; wave barrier
	v_cndmask_b32_e64 v22, 0x7fff, 0, vcc_lo
	v_xor_b32_e32 v114, v22, v25
	v_cmp_ne_u16_e32 vcc_lo, 0x8000, v114
	v_cndmask_b32_e32 v22, 0x7fff, v114, vcc_lo
	v_lshrrev_b32_sdwa v22, s29, v22 dst_sel:DWORD dst_unused:UNUSED_PAD src0_sel:DWORD src1_sel:WORD_0
	v_and_b32_e32 v25, s42, v22
	v_and_b32_e32 v22, 1, v25
	v_lshlrev_b32_e32 v26, 30, v25
	v_lshlrev_b32_e32 v27, 29, v25
	;; [unrolled: 1-line block ×4, first 2 shown]
	v_add_co_u32 v22, s21, v22, -1
	v_cndmask_b32_e64 v117, 0, 1, s21
	v_not_b32_e32 v121, v26
	v_cmp_gt_i32_e64 s21, 0, v26
	v_not_b32_e32 v26, v27
	v_lshlrev_b32_e32 v119, 26, v25
	v_cmp_ne_u32_e32 vcc_lo, 0, v117
	v_ashrrev_i32_e32 v121, 31, v121
	v_lshlrev_b32_e32 v120, 25, v25
	v_ashrrev_i32_e32 v26, 31, v26
	v_lshlrev_b32_e32 v117, 24, v25
	v_xor_b32_e32 v22, vcc_lo, v22
	v_cmp_gt_i32_e32 vcc_lo, 0, v27
	v_not_b32_e32 v27, v28
	v_xor_b32_e32 v121, s21, v121
	v_cmp_gt_i32_e64 s21, 0, v28
	v_and_b32_e32 v22, exec_lo, v22
	v_not_b32_e32 v28, v118
	v_ashrrev_i32_e32 v27, 31, v27
	v_xor_b32_e32 v26, vcc_lo, v26
	v_cmp_gt_i32_e32 vcc_lo, 0, v118
	v_and_b32_e32 v22, v22, v121
	v_not_b32_e32 v118, v119
	v_ashrrev_i32_e32 v28, 31, v28
	v_xor_b32_e32 v27, s21, v27
	v_cmp_gt_i32_e64 s21, 0, v119
	v_and_b32_e32 v22, v22, v26
	v_not_b32_e32 v26, v120
	v_ashrrev_i32_e32 v118, 31, v118
	v_xor_b32_e32 v28, vcc_lo, v28
	v_cmp_gt_i32_e32 vcc_lo, 0, v120
	v_and_b32_e32 v22, v22, v27
	v_not_b32_e32 v27, v117
	v_ashrrev_i32_e32 v26, 31, v26
	v_xor_b32_e32 v118, s21, v118
	v_cmp_gt_i32_e64 s21, 0, v117
	v_and_b32_e32 v22, v22, v28
	v_ashrrev_i32_e32 v27, 31, v27
	v_xor_b32_e32 v26, vcc_lo, v26
	v_mad_u32_u24 v28, v25, 36, v92
	v_mul_u32_u24_e32 v25, 36, v25
	v_and_b32_e32 v22, v22, v118
	v_xor_b32_e32 v27, s21, v27
	ds_read_b32 v117, v28 offset:1056
	v_add_nc_u32_e32 v120, v92, v25
	v_and_b32_e32 v22, v22, v26
	; wave barrier
	v_and_b32_e32 v22, v22, v27
	v_mbcnt_lo_u32_b32 v119, v22, 0
	v_cmp_ne_u32_e64 s21, 0, v22
	v_cmp_eq_u32_e32 vcc_lo, 0, v119
	s_and_b32 s22, s21, vcc_lo
	s_and_saveexec_b32 s21, s22
	s_cbranch_execz .LBB1974_102
; %bb.101:                              ;   in Loop: Header=BB1974_72 Depth=2
	s_waitcnt lgkmcnt(0)
	v_bcnt_u32_b32 v22, v22, v117
	ds_write_b32 v120, v22 offset:1056
.LBB1974_102:                           ;   in Loop: Header=BB1974_72 Depth=2
	s_or_b32 exec_lo, exec_lo, s21
	v_cmp_gt_i16_e32 vcc_lo, 0, v24
	; wave barrier
	v_cndmask_b32_e64 v22, 0x7fff, 0, vcc_lo
	v_xor_b32_e32 v118, v22, v24
	v_cmp_ne_u16_e32 vcc_lo, 0x8000, v118
	v_cndmask_b32_e32 v22, 0x7fff, v118, vcc_lo
	v_lshrrev_b32_sdwa v22, s29, v22 dst_sel:DWORD dst_unused:UNUSED_PAD src0_sel:DWORD src1_sel:WORD_0
	v_and_b32_e32 v24, s42, v22
	v_and_b32_e32 v22, 1, v24
	v_lshlrev_b32_e32 v25, 30, v24
	v_lshlrev_b32_e32 v26, 29, v24
	;; [unrolled: 1-line block ×4, first 2 shown]
	v_add_co_u32 v22, s21, v22, -1
	v_cndmask_b32_e64 v28, 0, 1, s21
	v_not_b32_e32 v124, v25
	v_cmp_gt_i32_e64 s21, 0, v25
	v_not_b32_e32 v25, v26
	v_lshlrev_b32_e32 v122, 26, v24
	v_cmp_ne_u32_e32 vcc_lo, 0, v28
	v_ashrrev_i32_e32 v124, 31, v124
	v_lshlrev_b32_e32 v123, 25, v24
	v_ashrrev_i32_e32 v25, 31, v25
	v_lshlrev_b32_e32 v28, 24, v24
	v_xor_b32_e32 v22, vcc_lo, v22
	v_cmp_gt_i32_e32 vcc_lo, 0, v26
	v_not_b32_e32 v26, v27
	v_xor_b32_e32 v124, s21, v124
	v_cmp_gt_i32_e64 s21, 0, v27
	v_and_b32_e32 v22, exec_lo, v22
	v_not_b32_e32 v27, v121
	v_ashrrev_i32_e32 v26, 31, v26
	v_xor_b32_e32 v25, vcc_lo, v25
	v_cmp_gt_i32_e32 vcc_lo, 0, v121
	v_and_b32_e32 v22, v22, v124
	v_not_b32_e32 v121, v122
	v_ashrrev_i32_e32 v27, 31, v27
	v_xor_b32_e32 v26, s21, v26
	v_cmp_gt_i32_e64 s21, 0, v122
	v_and_b32_e32 v22, v22, v25
	v_not_b32_e32 v25, v123
	v_ashrrev_i32_e32 v121, 31, v121
	v_xor_b32_e32 v27, vcc_lo, v27
	v_cmp_gt_i32_e32 vcc_lo, 0, v123
	v_and_b32_e32 v22, v22, v26
	v_not_b32_e32 v26, v28
	v_ashrrev_i32_e32 v25, 31, v25
	v_xor_b32_e32 v121, s21, v121
	v_cmp_gt_i32_e64 s21, 0, v28
	v_and_b32_e32 v22, v22, v27
	v_ashrrev_i32_e32 v26, 31, v26
	v_xor_b32_e32 v25, vcc_lo, v25
	v_mad_u32_u24 v27, v24, 36, v92
	v_mul_u32_u24_e32 v24, 36, v24
	v_and_b32_e32 v22, v22, v121
	v_xor_b32_e32 v26, s21, v26
	ds_read_b32 v121, v27 offset:1056
	v_add_nc_u32_e32 v124, v92, v24
	v_and_b32_e32 v22, v22, v25
	; wave barrier
	v_and_b32_e32 v22, v22, v26
	v_mbcnt_lo_u32_b32 v123, v22, 0
	v_cmp_ne_u32_e64 s21, 0, v22
	v_cmp_eq_u32_e32 vcc_lo, 0, v123
	s_and_b32 s22, s21, vcc_lo
	s_and_saveexec_b32 s21, s22
	s_cbranch_execz .LBB1974_104
; %bb.103:                              ;   in Loop: Header=BB1974_72 Depth=2
	s_waitcnt lgkmcnt(0)
	v_bcnt_u32_b32 v22, v22, v121
	ds_write_b32 v124, v22 offset:1056
.LBB1974_104:                           ;   in Loop: Header=BB1974_72 Depth=2
	s_or_b32 exec_lo, exec_lo, s21
	v_cmp_gt_i16_e32 vcc_lo, 0, v23
	; wave barrier
	v_cndmask_b32_e64 v22, 0x7fff, 0, vcc_lo
	v_xor_b32_e32 v122, v22, v23
	v_cmp_ne_u16_e32 vcc_lo, 0x8000, v122
	v_cndmask_b32_e32 v22, 0x7fff, v122, vcc_lo
	v_lshrrev_b32_sdwa v22, s29, v22 dst_sel:DWORD dst_unused:UNUSED_PAD src0_sel:DWORD src1_sel:WORD_0
	v_and_b32_e32 v23, s42, v22
	v_and_b32_e32 v22, 1, v23
	v_lshlrev_b32_e32 v24, 30, v23
	v_lshlrev_b32_e32 v25, 29, v23
	;; [unrolled: 1-line block ×4, first 2 shown]
	v_add_co_u32 v22, s21, v22, -1
	v_cndmask_b32_e64 v27, 0, 1, s21
	v_not_b32_e32 v127, v24
	v_cmp_gt_i32_e64 s21, 0, v24
	v_not_b32_e32 v24, v25
	v_lshlrev_b32_e32 v125, 26, v23
	v_cmp_ne_u32_e32 vcc_lo, 0, v27
	v_ashrrev_i32_e32 v127, 31, v127
	v_lshlrev_b32_e32 v126, 25, v23
	v_ashrrev_i32_e32 v24, 31, v24
	v_lshlrev_b32_e32 v27, 24, v23
	v_xor_b32_e32 v22, vcc_lo, v22
	v_cmp_gt_i32_e32 vcc_lo, 0, v25
	v_not_b32_e32 v25, v26
	v_xor_b32_e32 v127, s21, v127
	v_cmp_gt_i32_e64 s21, 0, v26
	v_and_b32_e32 v22, exec_lo, v22
	v_not_b32_e32 v26, v28
	v_ashrrev_i32_e32 v25, 31, v25
	v_xor_b32_e32 v24, vcc_lo, v24
	v_cmp_gt_i32_e32 vcc_lo, 0, v28
	v_and_b32_e32 v22, v22, v127
	v_not_b32_e32 v28, v125
	v_ashrrev_i32_e32 v26, 31, v26
	v_xor_b32_e32 v25, s21, v25
	v_cmp_gt_i32_e64 s21, 0, v125
	v_and_b32_e32 v22, v22, v24
	v_not_b32_e32 v24, v126
	v_ashrrev_i32_e32 v28, 31, v28
	v_xor_b32_e32 v26, vcc_lo, v26
	v_cmp_gt_i32_e32 vcc_lo, 0, v126
	v_and_b32_e32 v22, v22, v25
	v_not_b32_e32 v25, v27
	v_ashrrev_i32_e32 v24, 31, v24
	v_xor_b32_e32 v28, s21, v28
	v_cmp_gt_i32_e64 s21, 0, v27
	v_and_b32_e32 v22, v22, v26
	v_ashrrev_i32_e32 v25, 31, v25
	v_xor_b32_e32 v24, vcc_lo, v24
	v_mad_u32_u24 v26, v23, 36, v92
	v_mul_u32_u24_e32 v23, 36, v23
	v_and_b32_e32 v22, v22, v28
	v_xor_b32_e32 v25, s21, v25
	ds_read_b32 v125, v26 offset:1056
	v_add_nc_u32_e32 v128, v92, v23
	v_and_b32_e32 v22, v22, v24
	; wave barrier
	v_and_b32_e32 v22, v22, v25
	v_mbcnt_lo_u32_b32 v127, v22, 0
	v_cmp_ne_u32_e64 s21, 0, v22
	v_cmp_eq_u32_e32 vcc_lo, 0, v127
	s_and_b32 s22, s21, vcc_lo
	s_and_saveexec_b32 s21, s22
	s_cbranch_execz .LBB1974_106
; %bb.105:                              ;   in Loop: Header=BB1974_72 Depth=2
	s_waitcnt lgkmcnt(0)
	v_bcnt_u32_b32 v22, v22, v125
	ds_write_b32 v128, v22 offset:1056
.LBB1974_106:                           ;   in Loop: Header=BB1974_72 Depth=2
	s_or_b32 exec_lo, exec_lo, s21
	v_cmp_gt_i16_e32 vcc_lo, 0, v21
	; wave barrier
	v_cndmask_b32_e64 v22, 0x7fff, 0, vcc_lo
	v_xor_b32_e32 v126, v22, v21
	v_cmp_ne_u16_e32 vcc_lo, 0x8000, v126
	v_cndmask_b32_e32 v21, 0x7fff, v126, vcc_lo
	v_lshrrev_b32_sdwa v21, s29, v21 dst_sel:DWORD dst_unused:UNUSED_PAD src0_sel:DWORD src1_sel:WORD_0
	v_and_b32_e32 v22, s42, v21
	v_and_b32_e32 v21, 1, v22
	v_lshlrev_b32_e32 v23, 30, v22
	v_lshlrev_b32_e32 v24, 29, v22
	;; [unrolled: 1-line block ×4, first 2 shown]
	v_add_co_u32 v21, s21, v21, -1
	v_cndmask_b32_e64 v26, 0, 1, s21
	v_not_b32_e32 v130, v23
	v_cmp_gt_i32_e64 s21, 0, v23
	v_not_b32_e32 v23, v24
	v_lshlrev_b32_e32 v28, 26, v22
	v_cmp_ne_u32_e32 vcc_lo, 0, v26
	v_ashrrev_i32_e32 v130, 31, v130
	v_lshlrev_b32_e32 v129, 25, v22
	v_ashrrev_i32_e32 v23, 31, v23
	v_lshlrev_b32_e32 v26, 24, v22
	v_xor_b32_e32 v21, vcc_lo, v21
	v_cmp_gt_i32_e32 vcc_lo, 0, v24
	v_not_b32_e32 v24, v25
	v_xor_b32_e32 v130, s21, v130
	v_cmp_gt_i32_e64 s21, 0, v25
	v_and_b32_e32 v21, exec_lo, v21
	v_not_b32_e32 v25, v27
	v_ashrrev_i32_e32 v24, 31, v24
	v_xor_b32_e32 v23, vcc_lo, v23
	v_cmp_gt_i32_e32 vcc_lo, 0, v27
	v_and_b32_e32 v21, v21, v130
	v_not_b32_e32 v27, v28
	v_ashrrev_i32_e32 v25, 31, v25
	v_xor_b32_e32 v24, s21, v24
	v_cmp_gt_i32_e64 s21, 0, v28
	v_and_b32_e32 v21, v21, v23
	v_not_b32_e32 v23, v129
	v_ashrrev_i32_e32 v27, 31, v27
	v_xor_b32_e32 v25, vcc_lo, v25
	v_cmp_gt_i32_e32 vcc_lo, 0, v129
	v_and_b32_e32 v21, v21, v24
	v_not_b32_e32 v24, v26
	v_ashrrev_i32_e32 v23, 31, v23
	v_xor_b32_e32 v27, s21, v27
	v_cmp_gt_i32_e64 s21, 0, v26
	v_and_b32_e32 v21, v21, v25
	v_ashrrev_i32_e32 v24, 31, v24
	v_xor_b32_e32 v23, vcc_lo, v23
	v_mad_u32_u24 v25, v22, 36, v92
	v_mul_u32_u24_e32 v22, 36, v22
	v_and_b32_e32 v21, v21, v27
	v_xor_b32_e32 v24, s21, v24
	ds_read_b32 v129, v25 offset:1056
	v_add_nc_u32_e32 v131, v92, v22
	v_and_b32_e32 v21, v21, v23
	; wave barrier
	v_and_b32_e32 v21, v21, v24
	v_mbcnt_lo_u32_b32 v130, v21, 0
	v_cmp_ne_u32_e64 s21, 0, v21
	v_cmp_eq_u32_e32 vcc_lo, 0, v130
	s_and_b32 s22, s21, vcc_lo
	s_and_saveexec_b32 s21, s22
	s_cbranch_execz .LBB1974_108
; %bb.107:                              ;   in Loop: Header=BB1974_72 Depth=2
	s_waitcnt lgkmcnt(0)
	v_bcnt_u32_b32 v21, v21, v129
	ds_write_b32 v131, v21 offset:1056
.LBB1974_108:                           ;   in Loop: Header=BB1974_72 Depth=2
	s_or_b32 exec_lo, exec_lo, s21
	; wave barrier
	s_waitcnt lgkmcnt(0)
	s_barrier
	buffer_gl0_inv
	ds_read2_b32 v[27:28], v78 offset1:1
	ds_read2_b32 v[25:26], v88 offset1:1
	;; [unrolled: 1-line block ×4, first 2 shown]
	ds_read_b32 v132, v44 offset:1088
	s_waitcnt lgkmcnt(3)
	v_add3_u32 v133, v28, v27, v25
	s_waitcnt lgkmcnt(2)
	v_add3_u32 v133, v133, v26, v23
	;; [unrolled: 2-line block ×4, first 2 shown]
	v_mov_b32_dpp v133, v132 row_shr:1 row_mask:0xf bank_mask:0xf
	v_cndmask_b32_e64 v133, v133, 0, s5
	v_add_nc_u32_e32 v132, v133, v132
	v_mov_b32_dpp v133, v132 row_shr:2 row_mask:0xf bank_mask:0xf
	v_cndmask_b32_e64 v133, 0, v133, s14
	v_add_nc_u32_e32 v132, v132, v133
	;; [unrolled: 3-line block ×4, first 2 shown]
	ds_swizzle_b32 v133, v132 offset:swizzle(BROADCAST,32,15)
	s_waitcnt lgkmcnt(0)
	v_cndmask_b32_e64 v133, v133, 0, s17
	v_add_nc_u32_e32 v132, v132, v133
	s_and_saveexec_b32 s21, s9
; %bb.109:                              ;   in Loop: Header=BB1974_72 Depth=2
	ds_write_b32 v39, v132 offset:1024
; %bb.110:                              ;   in Loop: Header=BB1974_72 Depth=2
	s_or_b32 exec_lo, exec_lo, s21
	s_waitcnt lgkmcnt(0)
	s_barrier
	buffer_gl0_inv
	s_and_saveexec_b32 s21, s10
	s_cbranch_execz .LBB1974_112
; %bb.111:                              ;   in Loop: Header=BB1974_72 Depth=2
	ds_read_b32 v133, v46 offset:1024
	s_waitcnt lgkmcnt(0)
	v_mov_b32_dpp v134, v133 row_shr:1 row_mask:0xf bank_mask:0xf
	v_cndmask_b32_e64 v134, v134, 0, s18
	v_add_nc_u32_e32 v133, v134, v133
	v_mov_b32_dpp v134, v133 row_shr:2 row_mask:0xf bank_mask:0xf
	v_cndmask_b32_e64 v134, 0, v134, s19
	v_add_nc_u32_e32 v133, v133, v134
	;; [unrolled: 3-line block ×3, first 2 shown]
	ds_write_b32 v46, v133 offset:1024
.LBB1974_112:                           ;   in Loop: Header=BB1974_72 Depth=2
	s_or_b32 exec_lo, exec_lo, s21
	v_mov_b32_e32 v133, 0
	s_waitcnt lgkmcnt(0)
	s_barrier
	buffer_gl0_inv
	s_and_saveexec_b32 s21, s11
; %bb.113:                              ;   in Loop: Header=BB1974_72 Depth=2
	ds_read_b32 v133, v39 offset:1020
; %bb.114:                              ;   in Loop: Header=BB1974_72 Depth=2
	s_or_b32 exec_lo, exec_lo, s21
	s_waitcnt lgkmcnt(0)
	v_add_nc_u32_e32 v132, v133, v132
	ds_bpermute_b32 v132, v91, v132
	s_waitcnt lgkmcnt(0)
	v_cndmask_b32_e64 v132, v132, v133, s13
	v_cndmask_b32_e64 v132, v132, 0, s4
	v_add_nc_u32_e32 v27, v132, v27
	v_add_nc_u32_e32 v28, v27, v28
	;; [unrolled: 1-line block ×8, first 2 shown]
	ds_write2_b32 v78, v132, v27 offset1:1
	ds_write2_b32 v88, v28, v25 offset1:1
	;; [unrolled: 1-line block ×4, first 2 shown]
	ds_write_b32 v44, v22 offset:1088
	s_waitcnt lgkmcnt(0)
	s_barrier
	buffer_gl0_inv
	ds_read_b32 v24, v104 offset:1056
	ds_read_b32 v25, v108 offset:1056
	;; [unrolled: 1-line block ×9, first 2 shown]
	v_mov_b32_e32 v23, 0x800
	s_and_saveexec_b32 s21, s12
; %bb.115:                              ;   in Loop: Header=BB1974_72 Depth=2
	ds_read_b32 v23, v44 offset:1092
; %bb.116:                              ;   in Loop: Header=BB1974_72 Depth=2
	s_or_b32 exec_lo, exec_lo, s21
	s_waitcnt lgkmcnt(0)
	s_barrier
	buffer_gl0_inv
	s_and_saveexec_b32 s21, s8
	s_cbranch_execz .LBB1974_118
; %bb.117:                              ;   in Loop: Header=BB1974_72 Depth=2
	ds_read_b32 v108, v29
	s_waitcnt lgkmcnt(0)
	v_sub_nc_u32_e32 v104, v108, v104
	ds_write_b32 v29, v104
.LBB1974_118:                           ;   in Loop: Header=BB1974_72 Depth=2
	s_or_b32 exec_lo, exec_lo, s21
	v_add_nc_u32_e32 v108, v24, v102
	v_add3_u32 v104, v106, v105, v25
	v_add3_u32 v102, v111, v109, v26
	;; [unrolled: 1-line block ×4, first 2 shown]
	v_lshlrev_b32_e32 v105, 1, v108
	v_lshlrev_b32_e32 v106, 1, v104
	v_add3_u32 v27, v127, v125, v22
	v_lshlrev_b32_e32 v22, 1, v102
	v_add3_u32 v28, v130, v129, v21
	ds_write_b16 v105, v3 offset:1024
	ds_write_b16 v106, v103 offset:1024
	v_lshlrev_b32_e32 v3, 1, v26
	v_add3_u32 v24, v123, v121, v112
	ds_write_b16 v22, v107 offset:1024
	v_lshlrev_b32_e32 v21, 1, v25
	v_cmp_lt_u32_e32 vcc_lo, v0, v101
	ds_write_b16 v3, v110 offset:1024
	v_lshlrev_b32_e32 v3, 1, v28
	v_lshlrev_b32_e32 v22, 1, v24
	;; [unrolled: 1-line block ×3, first 2 shown]
	ds_write_b16 v21, v114 offset:1024
	ds_write_b16 v22, v118 offset:1024
	;; [unrolled: 1-line block ×4, first 2 shown]
	s_waitcnt lgkmcnt(0)
	s_barrier
	buffer_gl0_inv
	s_and_saveexec_b32 s22, vcc_lo
	s_cbranch_execnz .LBB1974_155
; %bb.119:                              ;   in Loop: Header=BB1974_72 Depth=2
	s_or_b32 exec_lo, exec_lo, s22
	v_cmp_lt_u32_e64 s21, v30, v101
	s_and_saveexec_b32 s23, s21
	s_cbranch_execnz .LBB1974_156
.LBB1974_120:                           ;   in Loop: Header=BB1974_72 Depth=2
	s_or_b32 exec_lo, exec_lo, s23
	v_cmp_lt_u32_e64 s22, v31, v101
	s_and_saveexec_b32 s24, s22
	s_cbranch_execnz .LBB1974_157
.LBB1974_121:                           ;   in Loop: Header=BB1974_72 Depth=2
	s_or_b32 exec_lo, exec_lo, s24
	v_cmp_lt_u32_e64 s23, v32, v101
	s_and_saveexec_b32 s25, s23
	s_cbranch_execnz .LBB1974_158
.LBB1974_122:                           ;   in Loop: Header=BB1974_72 Depth=2
	s_or_b32 exec_lo, exec_lo, s25
	v_cmp_lt_u32_e64 s24, v35, v101
	s_and_saveexec_b32 s26, s24
	s_cbranch_execnz .LBB1974_159
.LBB1974_123:                           ;   in Loop: Header=BB1974_72 Depth=2
	s_or_b32 exec_lo, exec_lo, s26
	v_cmp_lt_u32_e64 s25, v36, v101
	s_and_saveexec_b32 s27, s25
	s_cbranch_execnz .LBB1974_160
.LBB1974_124:                           ;   in Loop: Header=BB1974_72 Depth=2
	s_or_b32 exec_lo, exec_lo, s27
	v_cmp_lt_u32_e64 s26, v37, v101
	s_and_saveexec_b32 s28, s26
	s_cbranch_execnz .LBB1974_161
.LBB1974_125:                           ;   in Loop: Header=BB1974_72 Depth=2
	s_or_b32 exec_lo, exec_lo, s28
	v_cmp_lt_u32_e64 s27, v38, v101
	s_and_saveexec_b32 s54, s27
	s_cbranch_execz .LBB1974_127
.LBB1974_126:                           ;   in Loop: Header=BB1974_72 Depth=2
	ds_read_u16 v103, v47 offset:4608
	s_waitcnt lgkmcnt(0)
	v_cmp_ne_u16_e64 s28, 0x8000, v103
	v_cndmask_b32_e64 v3, 0x7fff, v103, s28
	v_cmp_gt_i16_e64 s28, 0, v103
	v_lshrrev_b32_sdwa v3, s29, v3 dst_sel:DWORD dst_unused:UNUSED_PAD src0_sel:DWORD src1_sel:WORD_0
	v_cndmask_b32_e64 v105, 0x7fff, 0, s28
	v_and_b32_e32 v3, s42, v3
	v_lshlrev_b32_e32 v3, 2, v3
	ds_read_b32 v3, v3
	s_waitcnt lgkmcnt(0)
	v_add_nc_u32_e32 v3, v3, v38
	v_lshlrev_b64 v[21:22], 1, v[3:4]
	v_xor_b32_e32 v3, v105, v103
	v_add_co_u32 v21, s28, s38, v21
	v_add_co_ci_u32_e64 v22, null, s39, v22, s28
	global_store_short v[21:22], v3, off
.LBB1974_127:                           ;   in Loop: Header=BB1974_72 Depth=2
	s_or_b32 exec_lo, exec_lo, s54
	s_lshl_b64 s[54:55], s[34:35], 3
	v_add_co_u32 v21, s28, v83, s54
	v_add_co_ci_u32_e64 v22, null, s55, v84, s28
	v_cmp_lt_u32_e64 s28, v66, v101
	s_and_saveexec_b32 s34, s28
	s_xor_b32 s28, exec_lo, s34
	s_cbranch_execnz .LBB1974_162
; %bb.128:                              ;   in Loop: Header=BB1974_72 Depth=2
	s_or_b32 exec_lo, exec_lo, s28
	s_mov_b32 s34, exec_lo
	v_cmpx_lt_u32_e64 v70, v101
	s_cbranch_execnz .LBB1974_163
.LBB1974_129:                           ;   in Loop: Header=BB1974_72 Depth=2
	s_or_b32 exec_lo, exec_lo, s34
	s_mov_b32 s34, exec_lo
	v_cmpx_lt_u32_e64 v71, v101
	s_cbranch_execnz .LBB1974_164
.LBB1974_130:                           ;   in Loop: Header=BB1974_72 Depth=2
	s_or_b32 exec_lo, exec_lo, s34
	s_mov_b32 s34, exec_lo
	v_cmpx_lt_u32_e64 v72, v101
	s_cbranch_execnz .LBB1974_165
.LBB1974_131:                           ;   in Loop: Header=BB1974_72 Depth=2
	s_or_b32 exec_lo, exec_lo, s34
	s_mov_b32 s34, exec_lo
	v_cmpx_lt_u32_e64 v73, v101
	s_cbranch_execnz .LBB1974_166
.LBB1974_132:                           ;   in Loop: Header=BB1974_72 Depth=2
	s_or_b32 exec_lo, exec_lo, s34
	s_mov_b32 s34, exec_lo
	v_cmpx_lt_u32_e64 v74, v101
	s_cbranch_execnz .LBB1974_167
.LBB1974_133:                           ;   in Loop: Header=BB1974_72 Depth=2
	s_or_b32 exec_lo, exec_lo, s34
	s_mov_b32 s34, exec_lo
	v_cmpx_lt_u32_e64 v75, v101
	s_cbranch_execnz .LBB1974_168
.LBB1974_134:                           ;   in Loop: Header=BB1974_72 Depth=2
	s_or_b32 exec_lo, exec_lo, s34
	s_mov_b32 s34, exec_lo
	v_cmpx_lt_u32_e64 v76, v101
	s_cbranch_execnz .LBB1974_169
.LBB1974_135:                           ;   in Loop: Header=BB1974_72 Depth=2
	s_or_b32 exec_lo, exec_lo, s34
	s_and_saveexec_b32 s34, vcc_lo
	s_cbranch_execnz .LBB1974_170
.LBB1974_136:                           ;   in Loop: Header=BB1974_72 Depth=2
	s_or_b32 exec_lo, exec_lo, s34
	s_and_saveexec_b32 s34, s21
	s_cbranch_execnz .LBB1974_171
.LBB1974_137:                           ;   in Loop: Header=BB1974_72 Depth=2
	s_or_b32 exec_lo, exec_lo, s34
	s_and_saveexec_b32 s34, s22
	s_cbranch_execnz .LBB1974_172
.LBB1974_138:                           ;   in Loop: Header=BB1974_72 Depth=2
	s_or_b32 exec_lo, exec_lo, s34
	s_and_saveexec_b32 s34, s23
	s_cbranch_execnz .LBB1974_173
.LBB1974_139:                           ;   in Loop: Header=BB1974_72 Depth=2
	s_or_b32 exec_lo, exec_lo, s34
	s_and_saveexec_b32 s34, s24
	s_cbranch_execnz .LBB1974_174
.LBB1974_140:                           ;   in Loop: Header=BB1974_72 Depth=2
	s_or_b32 exec_lo, exec_lo, s34
	s_and_saveexec_b32 s34, s25
	s_cbranch_execnz .LBB1974_175
.LBB1974_141:                           ;   in Loop: Header=BB1974_72 Depth=2
	s_or_b32 exec_lo, exec_lo, s34
	s_and_saveexec_b32 s34, s26
	s_cbranch_execnz .LBB1974_176
.LBB1974_142:                           ;   in Loop: Header=BB1974_72 Depth=2
	s_or_b32 exec_lo, exec_lo, s34
	s_and_saveexec_b32 s34, s27
	s_cbranch_execz .LBB1974_144
.LBB1974_143:                           ;   in Loop: Header=BB1974_72 Depth=2
	ds_read_u16 v3, v47 offset:4608
	s_waitcnt lgkmcnt(0)
	v_cmp_ne_u16_e64 s28, 0x8000, v3
	v_cndmask_b32_e64 v3, 0x7fff, v3, s28
	v_lshrrev_b32_sdwa v3, s29, v3 dst_sel:DWORD dst_unused:UNUSED_PAD src0_sel:DWORD src1_sel:WORD_0
	v_and_b32_e32 v93, s42, v3
.LBB1974_144:                           ;   in Loop: Header=BB1974_72 Depth=2
	s_or_b32 exec_lo, exec_lo, s34
	v_lshlrev_b32_e32 v3, 3, v108
	v_lshlrev_b32_e32 v21, 3, v104
	;; [unrolled: 1-line block ×3, first 2 shown]
	s_waitcnt vmcnt(0)
	s_waitcnt_vscnt null, 0x0
	s_barrier
	buffer_gl0_inv
	ds_write_b64 v3, v[19:20] offset:1024
	ds_write_b64 v21, v[17:18] offset:1024
	;; [unrolled: 1-line block ×3, first 2 shown]
	v_lshlrev_b32_e32 v3, 3, v26
	v_lshlrev_b32_e32 v21, 3, v25
	v_lshlrev_b32_e32 v22, 3, v24
	v_lshlrev_b32_e32 v24, 3, v27
	v_lshlrev_b32_e32 v25, 3, v28
	ds_write_b64 v3, v[13:14] offset:1024
	ds_write_b64 v21, v[11:12] offset:1024
	ds_write_b64 v22, v[9:10] offset:1024
	ds_write_b64 v24, v[7:8] offset:1024
	ds_write_b64 v25, v[5:6] offset:1024
	s_waitcnt lgkmcnt(0)
	s_barrier
	buffer_gl0_inv
	s_and_saveexec_b32 s28, vcc_lo
	s_cbranch_execnz .LBB1974_177
; %bb.145:                              ;   in Loop: Header=BB1974_72 Depth=2
	s_or_b32 exec_lo, exec_lo, s28
	s_and_saveexec_b32 s28, s21
	s_cbranch_execnz .LBB1974_178
.LBB1974_146:                           ;   in Loop: Header=BB1974_72 Depth=2
	s_or_b32 exec_lo, exec_lo, s28
	s_and_saveexec_b32 s21, s22
	s_cbranch_execnz .LBB1974_179
.LBB1974_147:                           ;   in Loop: Header=BB1974_72 Depth=2
	s_or_b32 exec_lo, exec_lo, s21
	s_and_saveexec_b32 s21, s23
	s_cbranch_execnz .LBB1974_180
.LBB1974_148:                           ;   in Loop: Header=BB1974_72 Depth=2
	s_or_b32 exec_lo, exec_lo, s21
	s_and_saveexec_b32 s21, s24
	s_cbranch_execnz .LBB1974_181
.LBB1974_149:                           ;   in Loop: Header=BB1974_72 Depth=2
	s_or_b32 exec_lo, exec_lo, s21
	s_and_saveexec_b32 s21, s25
	s_cbranch_execnz .LBB1974_182
.LBB1974_150:                           ;   in Loop: Header=BB1974_72 Depth=2
	s_or_b32 exec_lo, exec_lo, s21
	s_and_saveexec_b32 s21, s26
	s_cbranch_execnz .LBB1974_183
.LBB1974_151:                           ;   in Loop: Header=BB1974_72 Depth=2
	s_or_b32 exec_lo, exec_lo, s21
	s_and_saveexec_b32 s21, s27
	s_cbranch_execz .LBB1974_153
.LBB1974_152:                           ;   in Loop: Header=BB1974_72 Depth=2
	v_lshlrev_b32_e32 v3, 2, v93
	v_add_nc_u32_e32 v21, v47, v48
	ds_read_b32 v3, v3
	ds_read_b64 v[21:22], v21 offset:15360
	s_waitcnt lgkmcnt(1)
	v_add_nc_u32_e32 v3, v3, v38
	v_lshlrev_b64 v[24:25], 3, v[3:4]
	v_add_co_u32 v24, vcc_lo, s44, v24
	v_add_co_ci_u32_e64 v25, null, s45, v25, vcc_lo
	s_waitcnt lgkmcnt(0)
	global_store_dwordx2 v[24:25], v[21:22], off
.LBB1974_153:                           ;   in Loop: Header=BB1974_72 Depth=2
	s_or_b32 exec_lo, exec_lo, s21
	s_waitcnt_vscnt null, 0x0
	s_barrier
	buffer_gl0_inv
	s_and_saveexec_b32 s21, s8
	s_cbranch_execz .LBB1974_71
; %bb.154:                              ;   in Loop: Header=BB1974_72 Depth=2
	ds_read_b32 v3, v29
	s_waitcnt lgkmcnt(0)
	v_add_nc_u32_e32 v3, v3, v23
	ds_write_b32 v29, v3
	s_branch .LBB1974_71
.LBB1974_155:                           ;   in Loop: Header=BB1974_72 Depth=2
	ds_read_u16 v103, v47 offset:1024
	s_waitcnt lgkmcnt(0)
	v_cmp_ne_u16_e64 s21, 0x8000, v103
	v_cndmask_b32_e64 v3, 0x7fff, v103, s21
	v_cmp_gt_i16_e64 s21, 0, v103
	v_lshrrev_b32_sdwa v3, s29, v3 dst_sel:DWORD dst_unused:UNUSED_PAD src0_sel:DWORD src1_sel:WORD_0
	v_cndmask_b32_e64 v105, 0x7fff, 0, s21
	v_and_b32_e32 v3, s42, v3
	v_lshlrev_b32_e32 v3, 2, v3
	ds_read_b32 v3, v3
	s_waitcnt lgkmcnt(0)
	v_add_nc_u32_e32 v3, v3, v0
	v_lshlrev_b64 v[21:22], 1, v[3:4]
	v_xor_b32_e32 v3, v105, v103
	v_add_co_u32 v21, s21, s38, v21
	v_add_co_ci_u32_e64 v22, null, s39, v22, s21
	global_store_short v[21:22], v3, off
	s_or_b32 exec_lo, exec_lo, s22
	v_cmp_lt_u32_e64 s21, v30, v101
	s_and_saveexec_b32 s23, s21
	s_cbranch_execz .LBB1974_120
.LBB1974_156:                           ;   in Loop: Header=BB1974_72 Depth=2
	ds_read_u16 v103, v47 offset:1536
	s_waitcnt lgkmcnt(0)
	v_cmp_ne_u16_e64 s22, 0x8000, v103
	v_cndmask_b32_e64 v3, 0x7fff, v103, s22
	v_cmp_gt_i16_e64 s22, 0, v103
	v_lshrrev_b32_sdwa v3, s29, v3 dst_sel:DWORD dst_unused:UNUSED_PAD src0_sel:DWORD src1_sel:WORD_0
	v_cndmask_b32_e64 v105, 0x7fff, 0, s22
	v_and_b32_e32 v3, s42, v3
	v_lshlrev_b32_e32 v3, 2, v3
	ds_read_b32 v3, v3
	s_waitcnt lgkmcnt(0)
	v_add_nc_u32_e32 v3, v3, v30
	v_lshlrev_b64 v[21:22], 1, v[3:4]
	v_xor_b32_e32 v3, v105, v103
	v_add_co_u32 v21, s22, s38, v21
	v_add_co_ci_u32_e64 v22, null, s39, v22, s22
	global_store_short v[21:22], v3, off
	s_or_b32 exec_lo, exec_lo, s23
	v_cmp_lt_u32_e64 s22, v31, v101
	s_and_saveexec_b32 s24, s22
	s_cbranch_execz .LBB1974_121
.LBB1974_157:                           ;   in Loop: Header=BB1974_72 Depth=2
	ds_read_u16 v103, v47 offset:2048
	s_waitcnt lgkmcnt(0)
	v_cmp_ne_u16_e64 s23, 0x8000, v103
	v_cndmask_b32_e64 v3, 0x7fff, v103, s23
	v_cmp_gt_i16_e64 s23, 0, v103
	v_lshrrev_b32_sdwa v3, s29, v3 dst_sel:DWORD dst_unused:UNUSED_PAD src0_sel:DWORD src1_sel:WORD_0
	v_cndmask_b32_e64 v105, 0x7fff, 0, s23
	v_and_b32_e32 v3, s42, v3
	v_lshlrev_b32_e32 v3, 2, v3
	ds_read_b32 v3, v3
	s_waitcnt lgkmcnt(0)
	v_add_nc_u32_e32 v3, v3, v31
	v_lshlrev_b64 v[21:22], 1, v[3:4]
	v_xor_b32_e32 v3, v105, v103
	v_add_co_u32 v21, s23, s38, v21
	v_add_co_ci_u32_e64 v22, null, s39, v22, s23
	global_store_short v[21:22], v3, off
	s_or_b32 exec_lo, exec_lo, s24
	v_cmp_lt_u32_e64 s23, v32, v101
	s_and_saveexec_b32 s25, s23
	s_cbranch_execz .LBB1974_122
.LBB1974_158:                           ;   in Loop: Header=BB1974_72 Depth=2
	ds_read_u16 v103, v47 offset:2560
	s_waitcnt lgkmcnt(0)
	v_cmp_ne_u16_e64 s24, 0x8000, v103
	v_cndmask_b32_e64 v3, 0x7fff, v103, s24
	v_cmp_gt_i16_e64 s24, 0, v103
	v_lshrrev_b32_sdwa v3, s29, v3 dst_sel:DWORD dst_unused:UNUSED_PAD src0_sel:DWORD src1_sel:WORD_0
	v_cndmask_b32_e64 v105, 0x7fff, 0, s24
	v_and_b32_e32 v3, s42, v3
	v_lshlrev_b32_e32 v3, 2, v3
	ds_read_b32 v3, v3
	s_waitcnt lgkmcnt(0)
	v_add_nc_u32_e32 v3, v3, v32
	v_lshlrev_b64 v[21:22], 1, v[3:4]
	v_xor_b32_e32 v3, v105, v103
	v_add_co_u32 v21, s24, s38, v21
	v_add_co_ci_u32_e64 v22, null, s39, v22, s24
	global_store_short v[21:22], v3, off
	s_or_b32 exec_lo, exec_lo, s25
	v_cmp_lt_u32_e64 s24, v35, v101
	s_and_saveexec_b32 s26, s24
	s_cbranch_execz .LBB1974_123
.LBB1974_159:                           ;   in Loop: Header=BB1974_72 Depth=2
	ds_read_u16 v103, v47 offset:3072
	s_waitcnt lgkmcnt(0)
	v_cmp_ne_u16_e64 s25, 0x8000, v103
	v_cndmask_b32_e64 v3, 0x7fff, v103, s25
	v_cmp_gt_i16_e64 s25, 0, v103
	v_lshrrev_b32_sdwa v3, s29, v3 dst_sel:DWORD dst_unused:UNUSED_PAD src0_sel:DWORD src1_sel:WORD_0
	v_cndmask_b32_e64 v105, 0x7fff, 0, s25
	v_and_b32_e32 v3, s42, v3
	v_lshlrev_b32_e32 v3, 2, v3
	ds_read_b32 v3, v3
	s_waitcnt lgkmcnt(0)
	v_add_nc_u32_e32 v3, v3, v35
	v_lshlrev_b64 v[21:22], 1, v[3:4]
	v_xor_b32_e32 v3, v105, v103
	v_add_co_u32 v21, s25, s38, v21
	v_add_co_ci_u32_e64 v22, null, s39, v22, s25
	global_store_short v[21:22], v3, off
	s_or_b32 exec_lo, exec_lo, s26
	v_cmp_lt_u32_e64 s25, v36, v101
	s_and_saveexec_b32 s27, s25
	s_cbranch_execz .LBB1974_124
.LBB1974_160:                           ;   in Loop: Header=BB1974_72 Depth=2
	ds_read_u16 v103, v47 offset:3584
	s_waitcnt lgkmcnt(0)
	v_cmp_ne_u16_e64 s26, 0x8000, v103
	v_cndmask_b32_e64 v3, 0x7fff, v103, s26
	v_cmp_gt_i16_e64 s26, 0, v103
	v_lshrrev_b32_sdwa v3, s29, v3 dst_sel:DWORD dst_unused:UNUSED_PAD src0_sel:DWORD src1_sel:WORD_0
	v_cndmask_b32_e64 v105, 0x7fff, 0, s26
	v_and_b32_e32 v3, s42, v3
	v_lshlrev_b32_e32 v3, 2, v3
	ds_read_b32 v3, v3
	s_waitcnt lgkmcnt(0)
	v_add_nc_u32_e32 v3, v3, v36
	v_lshlrev_b64 v[21:22], 1, v[3:4]
	v_xor_b32_e32 v3, v105, v103
	v_add_co_u32 v21, s26, s38, v21
	v_add_co_ci_u32_e64 v22, null, s39, v22, s26
	global_store_short v[21:22], v3, off
	s_or_b32 exec_lo, exec_lo, s27
	v_cmp_lt_u32_e64 s26, v37, v101
	s_and_saveexec_b32 s28, s26
	s_cbranch_execz .LBB1974_125
.LBB1974_161:                           ;   in Loop: Header=BB1974_72 Depth=2
	ds_read_u16 v103, v47 offset:4096
	s_waitcnt lgkmcnt(0)
	v_cmp_ne_u16_e64 s27, 0x8000, v103
	v_cndmask_b32_e64 v3, 0x7fff, v103, s27
	v_cmp_gt_i16_e64 s27, 0, v103
	v_lshrrev_b32_sdwa v3, s29, v3 dst_sel:DWORD dst_unused:UNUSED_PAD src0_sel:DWORD src1_sel:WORD_0
	v_cndmask_b32_e64 v105, 0x7fff, 0, s27
	v_and_b32_e32 v3, s42, v3
	v_lshlrev_b32_e32 v3, 2, v3
	ds_read_b32 v3, v3
	s_waitcnt lgkmcnt(0)
	v_add_nc_u32_e32 v3, v3, v37
	v_lshlrev_b64 v[21:22], 1, v[3:4]
	v_xor_b32_e32 v3, v105, v103
	v_add_co_u32 v21, s27, s38, v21
	v_add_co_ci_u32_e64 v22, null, s39, v22, s27
	global_store_short v[21:22], v3, off
	s_or_b32 exec_lo, exec_lo, s28
	v_cmp_lt_u32_e64 s27, v38, v101
	s_and_saveexec_b32 s54, s27
	s_cbranch_execnz .LBB1974_126
	s_branch .LBB1974_127
.LBB1974_162:                           ;   in Loop: Header=BB1974_72 Depth=2
	global_load_dwordx2 v[19:20], v[21:22], off
	s_or_b32 exec_lo, exec_lo, s28
	s_mov_b32 s34, exec_lo
	v_cmpx_lt_u32_e64 v70, v101
	s_cbranch_execz .LBB1974_129
.LBB1974_163:                           ;   in Loop: Header=BB1974_72 Depth=2
	global_load_dwordx2 v[17:18], v[21:22], off offset:256
	s_or_b32 exec_lo, exec_lo, s34
	s_mov_b32 s34, exec_lo
	v_cmpx_lt_u32_e64 v71, v101
	s_cbranch_execz .LBB1974_130
.LBB1974_164:                           ;   in Loop: Header=BB1974_72 Depth=2
	global_load_dwordx2 v[15:16], v[21:22], off offset:512
	s_or_b32 exec_lo, exec_lo, s34
	s_mov_b32 s34, exec_lo
	v_cmpx_lt_u32_e64 v72, v101
	s_cbranch_execz .LBB1974_131
.LBB1974_165:                           ;   in Loop: Header=BB1974_72 Depth=2
	global_load_dwordx2 v[13:14], v[21:22], off offset:768
	s_or_b32 exec_lo, exec_lo, s34
	s_mov_b32 s34, exec_lo
	v_cmpx_lt_u32_e64 v73, v101
	s_cbranch_execz .LBB1974_132
.LBB1974_166:                           ;   in Loop: Header=BB1974_72 Depth=2
	global_load_dwordx2 v[11:12], v[21:22], off offset:1024
	s_or_b32 exec_lo, exec_lo, s34
	s_mov_b32 s34, exec_lo
	v_cmpx_lt_u32_e64 v74, v101
	s_cbranch_execz .LBB1974_133
.LBB1974_167:                           ;   in Loop: Header=BB1974_72 Depth=2
	global_load_dwordx2 v[9:10], v[21:22], off offset:1280
	s_or_b32 exec_lo, exec_lo, s34
	s_mov_b32 s34, exec_lo
	v_cmpx_lt_u32_e64 v75, v101
	s_cbranch_execz .LBB1974_134
.LBB1974_168:                           ;   in Loop: Header=BB1974_72 Depth=2
	global_load_dwordx2 v[7:8], v[21:22], off offset:1536
	s_or_b32 exec_lo, exec_lo, s34
	s_mov_b32 s34, exec_lo
	v_cmpx_lt_u32_e64 v76, v101
	s_cbranch_execz .LBB1974_135
.LBB1974_169:                           ;   in Loop: Header=BB1974_72 Depth=2
	global_load_dwordx2 v[5:6], v[21:22], off offset:1792
	s_or_b32 exec_lo, exec_lo, s34
	s_and_saveexec_b32 s34, vcc_lo
	s_cbranch_execz .LBB1974_136
.LBB1974_170:                           ;   in Loop: Header=BB1974_72 Depth=2
	ds_read_u16 v3, v47 offset:1024
	s_waitcnt lgkmcnt(0)
	v_cmp_ne_u16_e64 s28, 0x8000, v3
	v_cndmask_b32_e64 v3, 0x7fff, v3, s28
	v_lshrrev_b32_sdwa v3, s29, v3 dst_sel:DWORD dst_unused:UNUSED_PAD src0_sel:DWORD src1_sel:WORD_0
	v_and_b32_e32 v100, s42, v3
	s_or_b32 exec_lo, exec_lo, s34
	s_and_saveexec_b32 s34, s21
	s_cbranch_execz .LBB1974_137
.LBB1974_171:                           ;   in Loop: Header=BB1974_72 Depth=2
	ds_read_u16 v3, v47 offset:1536
	s_waitcnt lgkmcnt(0)
	v_cmp_ne_u16_e64 s28, 0x8000, v3
	v_cndmask_b32_e64 v3, 0x7fff, v3, s28
	v_lshrrev_b32_sdwa v3, s29, v3 dst_sel:DWORD dst_unused:UNUSED_PAD src0_sel:DWORD src1_sel:WORD_0
	v_and_b32_e32 v99, s42, v3
	s_or_b32 exec_lo, exec_lo, s34
	s_and_saveexec_b32 s34, s22
	s_cbranch_execz .LBB1974_138
.LBB1974_172:                           ;   in Loop: Header=BB1974_72 Depth=2
	ds_read_u16 v3, v47 offset:2048
	s_waitcnt lgkmcnt(0)
	v_cmp_ne_u16_e64 s28, 0x8000, v3
	v_cndmask_b32_e64 v3, 0x7fff, v3, s28
	v_lshrrev_b32_sdwa v3, s29, v3 dst_sel:DWORD dst_unused:UNUSED_PAD src0_sel:DWORD src1_sel:WORD_0
	v_and_b32_e32 v98, s42, v3
	s_or_b32 exec_lo, exec_lo, s34
	s_and_saveexec_b32 s34, s23
	s_cbranch_execz .LBB1974_139
.LBB1974_173:                           ;   in Loop: Header=BB1974_72 Depth=2
	ds_read_u16 v3, v47 offset:2560
	s_waitcnt lgkmcnt(0)
	v_cmp_ne_u16_e64 s28, 0x8000, v3
	v_cndmask_b32_e64 v3, 0x7fff, v3, s28
	v_lshrrev_b32_sdwa v3, s29, v3 dst_sel:DWORD dst_unused:UNUSED_PAD src0_sel:DWORD src1_sel:WORD_0
	v_and_b32_e32 v97, s42, v3
	s_or_b32 exec_lo, exec_lo, s34
	s_and_saveexec_b32 s34, s24
	s_cbranch_execz .LBB1974_140
.LBB1974_174:                           ;   in Loop: Header=BB1974_72 Depth=2
	ds_read_u16 v3, v47 offset:3072
	s_waitcnt lgkmcnt(0)
	v_cmp_ne_u16_e64 s28, 0x8000, v3
	v_cndmask_b32_e64 v3, 0x7fff, v3, s28
	v_lshrrev_b32_sdwa v3, s29, v3 dst_sel:DWORD dst_unused:UNUSED_PAD src0_sel:DWORD src1_sel:WORD_0
	v_and_b32_e32 v96, s42, v3
	s_or_b32 exec_lo, exec_lo, s34
	s_and_saveexec_b32 s34, s25
	s_cbranch_execz .LBB1974_141
.LBB1974_175:                           ;   in Loop: Header=BB1974_72 Depth=2
	ds_read_u16 v3, v47 offset:3584
	s_waitcnt lgkmcnt(0)
	v_cmp_ne_u16_e64 s28, 0x8000, v3
	v_cndmask_b32_e64 v3, 0x7fff, v3, s28
	v_lshrrev_b32_sdwa v3, s29, v3 dst_sel:DWORD dst_unused:UNUSED_PAD src0_sel:DWORD src1_sel:WORD_0
	v_and_b32_e32 v95, s42, v3
	s_or_b32 exec_lo, exec_lo, s34
	s_and_saveexec_b32 s34, s26
	s_cbranch_execz .LBB1974_142
.LBB1974_176:                           ;   in Loop: Header=BB1974_72 Depth=2
	ds_read_u16 v3, v47 offset:4096
	s_waitcnt lgkmcnt(0)
	v_cmp_ne_u16_e64 s28, 0x8000, v3
	v_cndmask_b32_e64 v3, 0x7fff, v3, s28
	v_lshrrev_b32_sdwa v3, s29, v3 dst_sel:DWORD dst_unused:UNUSED_PAD src0_sel:DWORD src1_sel:WORD_0
	v_and_b32_e32 v94, s42, v3
	s_or_b32 exec_lo, exec_lo, s34
	s_and_saveexec_b32 s34, s27
	s_cbranch_execnz .LBB1974_143
	s_branch .LBB1974_144
.LBB1974_177:                           ;   in Loop: Header=BB1974_72 Depth=2
	v_lshlrev_b32_e32 v3, 2, v100
	v_add_nc_u32_e32 v21, v47, v48
	ds_read_b32 v3, v3
	ds_read_b64 v[21:22], v21 offset:1024
	s_waitcnt lgkmcnt(1)
	v_add_nc_u32_e32 v3, v3, v0
	v_lshlrev_b64 v[24:25], 3, v[3:4]
	v_add_co_u32 v24, vcc_lo, s44, v24
	v_add_co_ci_u32_e64 v25, null, s45, v25, vcc_lo
	s_waitcnt lgkmcnt(0)
	global_store_dwordx2 v[24:25], v[21:22], off
	s_or_b32 exec_lo, exec_lo, s28
	s_and_saveexec_b32 s28, s21
	s_cbranch_execz .LBB1974_146
.LBB1974_178:                           ;   in Loop: Header=BB1974_72 Depth=2
	v_lshlrev_b32_e32 v3, 2, v99
	v_add_nc_u32_e32 v21, v47, v48
	ds_read_b32 v3, v3
	ds_read_b64 v[21:22], v21 offset:3072
	s_waitcnt lgkmcnt(1)
	v_add_nc_u32_e32 v3, v3, v30
	v_lshlrev_b64 v[24:25], 3, v[3:4]
	v_add_co_u32 v24, vcc_lo, s44, v24
	v_add_co_ci_u32_e64 v25, null, s45, v25, vcc_lo
	s_waitcnt lgkmcnt(0)
	global_store_dwordx2 v[24:25], v[21:22], off
	s_or_b32 exec_lo, exec_lo, s28
	s_and_saveexec_b32 s21, s22
	s_cbranch_execz .LBB1974_147
.LBB1974_179:                           ;   in Loop: Header=BB1974_72 Depth=2
	v_lshlrev_b32_e32 v3, 2, v98
	v_add_nc_u32_e32 v21, v47, v48
	ds_read_b32 v3, v3
	ds_read_b64 v[21:22], v21 offset:5120
	s_waitcnt lgkmcnt(1)
	v_add_nc_u32_e32 v3, v3, v31
	v_lshlrev_b64 v[24:25], 3, v[3:4]
	v_add_co_u32 v24, vcc_lo, s44, v24
	v_add_co_ci_u32_e64 v25, null, s45, v25, vcc_lo
	s_waitcnt lgkmcnt(0)
	global_store_dwordx2 v[24:25], v[21:22], off
	s_or_b32 exec_lo, exec_lo, s21
	s_and_saveexec_b32 s21, s23
	s_cbranch_execz .LBB1974_148
.LBB1974_180:                           ;   in Loop: Header=BB1974_72 Depth=2
	v_lshlrev_b32_e32 v3, 2, v97
	v_add_nc_u32_e32 v21, v47, v48
	ds_read_b32 v3, v3
	ds_read_b64 v[21:22], v21 offset:7168
	s_waitcnt lgkmcnt(1)
	v_add_nc_u32_e32 v3, v3, v32
	v_lshlrev_b64 v[24:25], 3, v[3:4]
	v_add_co_u32 v24, vcc_lo, s44, v24
	v_add_co_ci_u32_e64 v25, null, s45, v25, vcc_lo
	s_waitcnt lgkmcnt(0)
	global_store_dwordx2 v[24:25], v[21:22], off
	s_or_b32 exec_lo, exec_lo, s21
	s_and_saveexec_b32 s21, s24
	s_cbranch_execz .LBB1974_149
.LBB1974_181:                           ;   in Loop: Header=BB1974_72 Depth=2
	v_lshlrev_b32_e32 v3, 2, v96
	v_add_nc_u32_e32 v21, v47, v48
	ds_read_b32 v3, v3
	ds_read_b64 v[21:22], v21 offset:9216
	s_waitcnt lgkmcnt(1)
	v_add_nc_u32_e32 v3, v3, v35
	v_lshlrev_b64 v[24:25], 3, v[3:4]
	v_add_co_u32 v24, vcc_lo, s44, v24
	v_add_co_ci_u32_e64 v25, null, s45, v25, vcc_lo
	s_waitcnt lgkmcnt(0)
	global_store_dwordx2 v[24:25], v[21:22], off
	s_or_b32 exec_lo, exec_lo, s21
	s_and_saveexec_b32 s21, s25
	s_cbranch_execz .LBB1974_150
.LBB1974_182:                           ;   in Loop: Header=BB1974_72 Depth=2
	v_lshlrev_b32_e32 v3, 2, v95
	v_add_nc_u32_e32 v21, v47, v48
	ds_read_b32 v3, v3
	ds_read_b64 v[21:22], v21 offset:11264
	s_waitcnt lgkmcnt(1)
	v_add_nc_u32_e32 v3, v3, v36
	v_lshlrev_b64 v[24:25], 3, v[3:4]
	v_add_co_u32 v24, vcc_lo, s44, v24
	v_add_co_ci_u32_e64 v25, null, s45, v25, vcc_lo
	s_waitcnt lgkmcnt(0)
	global_store_dwordx2 v[24:25], v[21:22], off
	s_or_b32 exec_lo, exec_lo, s21
	s_and_saveexec_b32 s21, s26
	s_cbranch_execz .LBB1974_151
.LBB1974_183:                           ;   in Loop: Header=BB1974_72 Depth=2
	v_lshlrev_b32_e32 v3, 2, v94
	v_add_nc_u32_e32 v21, v47, v48
	ds_read_b32 v3, v3
	ds_read_b64 v[21:22], v21 offset:13312
	s_waitcnt lgkmcnt(1)
	v_add_nc_u32_e32 v3, v3, v37
	v_lshlrev_b64 v[24:25], 3, v[3:4]
	v_add_co_u32 v24, vcc_lo, s44, v24
	v_add_co_ci_u32_e64 v25, null, s45, v25, vcc_lo
	s_waitcnt lgkmcnt(0)
	global_store_dwordx2 v[24:25], v[21:22], off
	s_or_b32 exec_lo, exec_lo, s21
	s_and_saveexec_b32 s21, s27
	s_cbranch_execnz .LBB1974_152
	s_branch .LBB1974_153
.LBB1974_184:                           ;   in Loop: Header=BB1974_20 Depth=1
	s_waitcnt lgkmcnt(0)
	s_mov_b32 s5, 0
	s_barrier
.LBB1974_185:                           ;   in Loop: Header=BB1974_20 Depth=1
	s_and_b32 vcc_lo, exec_lo, s5
	s_cbranch_vccz .LBB1974_349
; %bb.186:                              ;   in Loop: Header=BB1974_20 Depth=1
	s_mov_b32 s5, s53
	s_mov_b32 s34, s33
	s_barrier
	buffer_gl0_inv
                                        ; implicit-def: $vgpr3
                                        ; implicit-def: $vgpr5
                                        ; implicit-def: $vgpr6
                                        ; implicit-def: $vgpr7
                                        ; implicit-def: $vgpr8
                                        ; implicit-def: $vgpr9
                                        ; implicit-def: $vgpr10
                                        ; implicit-def: $vgpr11
	s_branch .LBB1974_188
.LBB1974_187:                           ;   in Loop: Header=BB1974_188 Depth=2
	s_or_b32 exec_lo, exec_lo, s14
	s_addk_i32 s5, 0xf800
	s_cmp_ge_u32 s16, s52
	s_mov_b32 s34, s16
	s_cbranch_scc1 .LBB1974_224
.LBB1974_188:                           ;   Parent Loop BB1974_20 Depth=1
                                        ; =>  This Inner Loop Header: Depth=2
	s_add_i32 s16, s34, 0x800
	s_mov_b32 s14, -1
	s_cmp_gt_u32 s16, s52
                                        ; implicit-def: $vgpr12
                                        ; implicit-def: $vgpr13
                                        ; implicit-def: $vgpr14
                                        ; implicit-def: $vgpr15
                                        ; implicit-def: $vgpr16
                                        ; implicit-def: $vgpr17
                                        ; implicit-def: $vgpr18
                                        ; implicit-def: $vgpr19
	s_cbranch_scc1 .LBB1974_190
; %bb.189:                              ;   in Loop: Header=BB1974_188 Depth=2
	s_lshl_b64 s[14:15], s[34:35], 1
	v_add_co_u32 v15, vcc_lo, v49, s14
	v_add_co_ci_u32_e64 v16, null, s15, v50, vcc_lo
	s_mov_b32 s14, 0
	v_add_co_u32 v19, vcc_lo, 0x800, v15
	v_add_co_ci_u32_e64 v20, null, 0, v16, vcc_lo
	s_clause 0x7
	global_load_ushort v12, v[15:16], off
	global_load_ushort v13, v[15:16], off offset:512
	global_load_ushort v14, v[15:16], off offset:1024
	;; [unrolled: 1-line block ×3, first 2 shown]
	global_load_ushort v16, v[19:20], off
	global_load_ushort v17, v[19:20], off offset:512
	global_load_ushort v18, v[19:20], off offset:1024
	;; [unrolled: 1-line block ×3, first 2 shown]
.LBB1974_190:                           ;   in Loop: Header=BB1974_188 Depth=2
	s_andn2_b32 vcc_lo, exec_lo, s14
	s_movk_i32 s14, 0x800
	s_cbranch_vccnz .LBB1974_201
; %bb.191:                              ;   in Loop: Header=BB1974_188 Depth=2
	s_lshl_b64 s[14:15], s[34:35], 1
	s_mov_b32 s17, exec_lo
	s_add_u32 s14, s38, s14
	s_addc_u32 s15, s39, s15
	v_cmpx_gt_u32_e64 s5, v0
	s_cbranch_execnz .LBB1974_217
; %bb.192:                              ;   in Loop: Header=BB1974_188 Depth=2
	s_or_b32 exec_lo, exec_lo, s17
	s_mov_b32 s17, exec_lo
	v_cmpx_gt_u32_e64 s5, v30
	s_cbranch_execnz .LBB1974_218
.LBB1974_193:                           ;   in Loop: Header=BB1974_188 Depth=2
	s_or_b32 exec_lo, exec_lo, s17
	s_mov_b32 s17, exec_lo
	v_cmpx_gt_u32_e64 s5, v31
	s_cbranch_execnz .LBB1974_219
.LBB1974_194:                           ;   in Loop: Header=BB1974_188 Depth=2
	s_or_b32 exec_lo, exec_lo, s17
	s_mov_b32 s17, exec_lo
	v_cmpx_gt_u32_e64 s5, v32
	s_cbranch_execnz .LBB1974_220
.LBB1974_195:                           ;   in Loop: Header=BB1974_188 Depth=2
	s_or_b32 exec_lo, exec_lo, s17
	s_mov_b32 s17, exec_lo
	v_cmpx_gt_u32_e64 s5, v35
	s_cbranch_execnz .LBB1974_221
.LBB1974_196:                           ;   in Loop: Header=BB1974_188 Depth=2
	s_or_b32 exec_lo, exec_lo, s17
	s_mov_b32 s17, exec_lo
	v_cmpx_gt_u32_e64 s5, v36
	s_cbranch_execnz .LBB1974_222
.LBB1974_197:                           ;   in Loop: Header=BB1974_188 Depth=2
	s_or_b32 exec_lo, exec_lo, s17
	s_mov_b32 s17, exec_lo
	v_cmpx_gt_u32_e64 s5, v37
	s_cbranch_execnz .LBB1974_223
.LBB1974_198:                           ;   in Loop: Header=BB1974_188 Depth=2
	s_or_b32 exec_lo, exec_lo, s17
	s_mov_b32 s17, exec_lo
	v_cmpx_gt_u32_e64 s5, v38
	s_cbranch_execz .LBB1974_200
.LBB1974_199:                           ;   in Loop: Header=BB1974_188 Depth=2
	global_load_ushort v3, v87, s[14:15]
.LBB1974_200:                           ;   in Loop: Header=BB1974_188 Depth=2
	s_or_b32 exec_lo, exec_lo, s17
	s_waitcnt vmcnt(0)
	v_mov_b32_e32 v12, v11
	v_mov_b32_e32 v13, v10
	;; [unrolled: 1-line block ×8, first 2 shown]
	s_mov_b32 s14, s5
.LBB1974_201:                           ;   in Loop: Header=BB1974_188 Depth=2
	s_waitcnt vmcnt(0)
	v_mov_b32_e32 v3, v19
	v_mov_b32_e32 v5, v18
	v_mov_b32_e32 v6, v17
	v_mov_b32_e32 v7, v16
	v_mov_b32_e32 v8, v15
	v_mov_b32_e32 v9, v14
	v_mov_b32_e32 v10, v13
	v_mov_b32_e32 v11, v12
	s_mov_b32 s15, exec_lo
	v_cmpx_gt_u32_e64 s14, v0
	s_cbranch_execnz .LBB1974_209
; %bb.202:                              ;   in Loop: Header=BB1974_188 Depth=2
	s_or_b32 exec_lo, exec_lo, s15
	s_mov_b32 s15, exec_lo
	v_cmpx_gt_u32_e64 s14, v30
	s_cbranch_execnz .LBB1974_210
.LBB1974_203:                           ;   in Loop: Header=BB1974_188 Depth=2
	s_or_b32 exec_lo, exec_lo, s15
	s_mov_b32 s15, exec_lo
	v_cmpx_gt_u32_e64 s14, v31
	s_cbranch_execnz .LBB1974_211
.LBB1974_204:                           ;   in Loop: Header=BB1974_188 Depth=2
	s_or_b32 exec_lo, exec_lo, s15
	s_mov_b32 s15, exec_lo
	v_cmpx_gt_u32_e64 s14, v32
	s_cbranch_execnz .LBB1974_212
.LBB1974_205:                           ;   in Loop: Header=BB1974_188 Depth=2
	s_or_b32 exec_lo, exec_lo, s15
	s_mov_b32 s15, exec_lo
	v_cmpx_gt_u32_e64 s14, v35
	s_cbranch_execnz .LBB1974_213
.LBB1974_206:                           ;   in Loop: Header=BB1974_188 Depth=2
	s_or_b32 exec_lo, exec_lo, s15
	s_mov_b32 s15, exec_lo
	v_cmpx_gt_u32_e64 s14, v36
	s_cbranch_execnz .LBB1974_214
.LBB1974_207:                           ;   in Loop: Header=BB1974_188 Depth=2
	s_or_b32 exec_lo, exec_lo, s15
	s_mov_b32 s15, exec_lo
	v_cmpx_gt_u32_e64 s14, v37
	s_cbranch_execnz .LBB1974_215
.LBB1974_208:                           ;   in Loop: Header=BB1974_188 Depth=2
	s_or_b32 exec_lo, exec_lo, s15
	v_cmp_gt_u32_e32 vcc_lo, s14, v38
	s_and_saveexec_b32 s14, vcc_lo
	s_cbranch_execz .LBB1974_187
	s_branch .LBB1974_216
.LBB1974_209:                           ;   in Loop: Header=BB1974_188 Depth=2
	v_cmp_gt_i16_e32 vcc_lo, 0, v11
	v_cndmask_b32_e64 v12, 0x7fff, 0, vcc_lo
	v_xor_b32_e32 v12, v12, v11
	v_cmp_ne_u16_e32 vcc_lo, 0x8000, v12
	v_cndmask_b32_e32 v12, 0x7fff, v12, vcc_lo
	v_lshrrev_b32_sdwa v12, s29, v12 dst_sel:DWORD dst_unused:UNUSED_PAD src0_sel:DWORD src1_sel:WORD_0
	v_and_b32_e32 v12, s42, v12
	v_lshl_or_b32 v12, v12, 4, v40
	ds_add_u32 v12, v62
	s_or_b32 exec_lo, exec_lo, s15
	s_mov_b32 s15, exec_lo
	v_cmpx_gt_u32_e64 s14, v30
	s_cbranch_execz .LBB1974_203
.LBB1974_210:                           ;   in Loop: Header=BB1974_188 Depth=2
	v_cmp_gt_i16_e32 vcc_lo, 0, v10
	v_cndmask_b32_e64 v12, 0x7fff, 0, vcc_lo
	v_xor_b32_e32 v12, v12, v10
	v_cmp_ne_u16_e32 vcc_lo, 0x8000, v12
	v_cndmask_b32_e32 v12, 0x7fff, v12, vcc_lo
	v_lshrrev_b32_sdwa v12, s29, v12 dst_sel:DWORD dst_unused:UNUSED_PAD src0_sel:DWORD src1_sel:WORD_0
	v_and_b32_e32 v12, s42, v12
	v_lshl_or_b32 v12, v12, 4, v40
	ds_add_u32 v12, v62
	s_or_b32 exec_lo, exec_lo, s15
	s_mov_b32 s15, exec_lo
	v_cmpx_gt_u32_e64 s14, v31
	s_cbranch_execz .LBB1974_204
.LBB1974_211:                           ;   in Loop: Header=BB1974_188 Depth=2
	v_cmp_gt_i16_e32 vcc_lo, 0, v9
	v_cndmask_b32_e64 v12, 0x7fff, 0, vcc_lo
	v_xor_b32_e32 v12, v12, v9
	v_cmp_ne_u16_e32 vcc_lo, 0x8000, v12
	v_cndmask_b32_e32 v12, 0x7fff, v12, vcc_lo
	v_lshrrev_b32_sdwa v12, s29, v12 dst_sel:DWORD dst_unused:UNUSED_PAD src0_sel:DWORD src1_sel:WORD_0
	v_and_b32_e32 v12, s42, v12
	v_lshl_or_b32 v12, v12, 4, v40
	ds_add_u32 v12, v62
	s_or_b32 exec_lo, exec_lo, s15
	s_mov_b32 s15, exec_lo
	v_cmpx_gt_u32_e64 s14, v32
	s_cbranch_execz .LBB1974_205
.LBB1974_212:                           ;   in Loop: Header=BB1974_188 Depth=2
	v_cmp_gt_i16_e32 vcc_lo, 0, v8
	v_cndmask_b32_e64 v12, 0x7fff, 0, vcc_lo
	v_xor_b32_e32 v12, v12, v8
	v_cmp_ne_u16_e32 vcc_lo, 0x8000, v12
	v_cndmask_b32_e32 v12, 0x7fff, v12, vcc_lo
	v_lshrrev_b32_sdwa v12, s29, v12 dst_sel:DWORD dst_unused:UNUSED_PAD src0_sel:DWORD src1_sel:WORD_0
	v_and_b32_e32 v12, s42, v12
	v_lshl_or_b32 v12, v12, 4, v40
	ds_add_u32 v12, v62
	s_or_b32 exec_lo, exec_lo, s15
	s_mov_b32 s15, exec_lo
	v_cmpx_gt_u32_e64 s14, v35
	s_cbranch_execz .LBB1974_206
.LBB1974_213:                           ;   in Loop: Header=BB1974_188 Depth=2
	v_cmp_gt_i16_e32 vcc_lo, 0, v7
	v_cndmask_b32_e64 v12, 0x7fff, 0, vcc_lo
	v_xor_b32_e32 v12, v12, v7
	v_cmp_ne_u16_e32 vcc_lo, 0x8000, v12
	v_cndmask_b32_e32 v12, 0x7fff, v12, vcc_lo
	v_lshrrev_b32_sdwa v12, s29, v12 dst_sel:DWORD dst_unused:UNUSED_PAD src0_sel:DWORD src1_sel:WORD_0
	v_and_b32_e32 v12, s42, v12
	v_lshl_or_b32 v12, v12, 4, v40
	ds_add_u32 v12, v62
	s_or_b32 exec_lo, exec_lo, s15
	s_mov_b32 s15, exec_lo
	v_cmpx_gt_u32_e64 s14, v36
	s_cbranch_execz .LBB1974_207
.LBB1974_214:                           ;   in Loop: Header=BB1974_188 Depth=2
	v_cmp_gt_i16_e32 vcc_lo, 0, v6
	v_cndmask_b32_e64 v12, 0x7fff, 0, vcc_lo
	v_xor_b32_e32 v12, v12, v6
	v_cmp_ne_u16_e32 vcc_lo, 0x8000, v12
	v_cndmask_b32_e32 v12, 0x7fff, v12, vcc_lo
	v_lshrrev_b32_sdwa v12, s29, v12 dst_sel:DWORD dst_unused:UNUSED_PAD src0_sel:DWORD src1_sel:WORD_0
	v_and_b32_e32 v12, s42, v12
	v_lshl_or_b32 v12, v12, 4, v40
	ds_add_u32 v12, v62
	s_or_b32 exec_lo, exec_lo, s15
	s_mov_b32 s15, exec_lo
	v_cmpx_gt_u32_e64 s14, v37
	s_cbranch_execz .LBB1974_208
.LBB1974_215:                           ;   in Loop: Header=BB1974_188 Depth=2
	v_cmp_gt_i16_e32 vcc_lo, 0, v5
	v_cndmask_b32_e64 v12, 0x7fff, 0, vcc_lo
	v_xor_b32_e32 v12, v12, v5
	v_cmp_ne_u16_e32 vcc_lo, 0x8000, v12
	v_cndmask_b32_e32 v12, 0x7fff, v12, vcc_lo
	v_lshrrev_b32_sdwa v12, s29, v12 dst_sel:DWORD dst_unused:UNUSED_PAD src0_sel:DWORD src1_sel:WORD_0
	v_and_b32_e32 v12, s42, v12
	v_lshl_or_b32 v12, v12, 4, v40
	ds_add_u32 v12, v62
	s_or_b32 exec_lo, exec_lo, s15
	v_cmp_gt_u32_e32 vcc_lo, s14, v38
	s_and_saveexec_b32 s14, vcc_lo
	s_cbranch_execz .LBB1974_187
.LBB1974_216:                           ;   in Loop: Header=BB1974_188 Depth=2
	v_cmp_gt_i16_e32 vcc_lo, 0, v3
	v_cndmask_b32_e64 v12, 0x7fff, 0, vcc_lo
	v_xor_b32_e32 v12, v12, v3
	v_cmp_ne_u16_e32 vcc_lo, 0x8000, v12
	v_cndmask_b32_e32 v12, 0x7fff, v12, vcc_lo
	v_lshrrev_b32_sdwa v12, s29, v12 dst_sel:DWORD dst_unused:UNUSED_PAD src0_sel:DWORD src1_sel:WORD_0
	v_and_b32_e32 v12, s42, v12
	v_lshl_or_b32 v12, v12, 4, v40
	ds_add_u32 v12, v62
	s_branch .LBB1974_187
.LBB1974_217:                           ;   in Loop: Header=BB1974_188 Depth=2
	global_load_ushort v11, v79, s[14:15]
	s_or_b32 exec_lo, exec_lo, s17
	s_mov_b32 s17, exec_lo
	v_cmpx_gt_u32_e64 s5, v30
	s_cbranch_execz .LBB1974_193
.LBB1974_218:                           ;   in Loop: Header=BB1974_188 Depth=2
	global_load_ushort v10, v79, s[14:15] offset:512
	s_or_b32 exec_lo, exec_lo, s17
	s_mov_b32 s17, exec_lo
	v_cmpx_gt_u32_e64 s5, v31
	s_cbranch_execz .LBB1974_194
.LBB1974_219:                           ;   in Loop: Header=BB1974_188 Depth=2
	global_load_ushort v9, v79, s[14:15] offset:1024
	s_or_b32 exec_lo, exec_lo, s17
	s_mov_b32 s17, exec_lo
	v_cmpx_gt_u32_e64 s5, v32
	s_cbranch_execz .LBB1974_195
.LBB1974_220:                           ;   in Loop: Header=BB1974_188 Depth=2
	global_load_ushort v8, v79, s[14:15] offset:1536
	s_or_b32 exec_lo, exec_lo, s17
	s_mov_b32 s17, exec_lo
	v_cmpx_gt_u32_e64 s5, v35
	s_cbranch_execz .LBB1974_196
.LBB1974_221:                           ;   in Loop: Header=BB1974_188 Depth=2
	global_load_ushort v7, v80, s[14:15]
	s_or_b32 exec_lo, exec_lo, s17
	s_mov_b32 s17, exec_lo
	v_cmpx_gt_u32_e64 s5, v36
	s_cbranch_execz .LBB1974_197
.LBB1974_222:                           ;   in Loop: Header=BB1974_188 Depth=2
	global_load_ushort v6, v81, s[14:15]
	s_or_b32 exec_lo, exec_lo, s17
	s_mov_b32 s17, exec_lo
	v_cmpx_gt_u32_e64 s5, v37
	s_cbranch_execz .LBB1974_198
.LBB1974_223:                           ;   in Loop: Header=BB1974_188 Depth=2
	global_load_ushort v5, v82, s[14:15]
	s_or_b32 exec_lo, exec_lo, s17
	s_mov_b32 s17, exec_lo
	v_cmpx_gt_u32_e64 s5, v38
	s_cbranch_execnz .LBB1974_199
	s_branch .LBB1974_200
.LBB1974_224:                           ;   in Loop: Header=BB1974_20 Depth=1
	v_mov_b32_e32 v3, 0
	s_waitcnt lgkmcnt(0)
	s_barrier
	buffer_gl0_inv
	s_and_saveexec_b32 s5, s8
	s_cbranch_execz .LBB1974_226
; %bb.225:                              ;   in Loop: Header=BB1974_20 Depth=1
	ds_read2_b64 v[5:8], v41 offset1:1
	s_waitcnt lgkmcnt(0)
	v_add_nc_u32_e32 v3, v6, v5
	v_add3_u32 v3, v3, v7, v8
.LBB1974_226:                           ;   in Loop: Header=BB1974_20 Depth=1
	s_or_b32 exec_lo, exec_lo, s5
	v_mov_b32_dpp v5, v3 row_shr:1 row_mask:0xf bank_mask:0xf
	v_cmp_eq_u32_e64 s5, 0, v63
	v_cmp_lt_u32_e64 s14, 1, v63
	v_cmp_lt_u32_e64 s15, 3, v63
	;; [unrolled: 1-line block ×3, first 2 shown]
	v_cmp_eq_u32_e64 s17, 0, v65
	v_cndmask_b32_e64 v5, v5, 0, s5
	v_add_nc_u32_e32 v3, v5, v3
	v_mov_b32_dpp v5, v3 row_shr:2 row_mask:0xf bank_mask:0xf
	v_cndmask_b32_e64 v5, 0, v5, s14
	v_add_nc_u32_e32 v3, v3, v5
	v_mov_b32_dpp v5, v3 row_shr:4 row_mask:0xf bank_mask:0xf
	;; [unrolled: 3-line block ×3, first 2 shown]
	v_cndmask_b32_e64 v5, 0, v5, s16
	v_add_nc_u32_e32 v3, v3, v5
	ds_swizzle_b32 v5, v3 offset:swizzle(BROADCAST,32,15)
	s_waitcnt lgkmcnt(0)
	v_and_b32_e32 v5, v64, v5
	v_add_nc_u32_e32 v3, v3, v5
	s_and_saveexec_b32 s18, s9
; %bb.227:                              ;   in Loop: Header=BB1974_20 Depth=1
	ds_write_b32 v42, v3
; %bb.228:                              ;   in Loop: Header=BB1974_20 Depth=1
	s_or_b32 exec_lo, exec_lo, s18
	s_waitcnt lgkmcnt(0)
	s_barrier
	buffer_gl0_inv
	s_and_saveexec_b32 s18, s10
	s_cbranch_execz .LBB1974_230
; %bb.229:                              ;   in Loop: Header=BB1974_20 Depth=1
	ds_read_b32 v5, v43
	v_cmp_ne_u32_e32 vcc_lo, 0, v67
	s_waitcnt lgkmcnt(0)
	v_mov_b32_dpp v6, v5 row_shr:1 row_mask:0xf bank_mask:0xf
	v_cndmask_b32_e32 v6, 0, v6, vcc_lo
	v_cmp_lt_u32_e32 vcc_lo, 1, v67
	v_add_nc_u32_e32 v5, v6, v5
	v_mov_b32_dpp v6, v5 row_shr:2 row_mask:0xf bank_mask:0xf
	v_cndmask_b32_e32 v6, 0, v6, vcc_lo
	v_cmp_lt_u32_e32 vcc_lo, 3, v67
	v_add_nc_u32_e32 v5, v5, v6
	v_mov_b32_dpp v6, v5 row_shr:4 row_mask:0xf bank_mask:0xf
	v_cndmask_b32_e32 v6, 0, v6, vcc_lo
	v_add_nc_u32_e32 v5, v5, v6
	ds_write_b32 v43, v5
.LBB1974_230:                           ;   in Loop: Header=BB1974_20 Depth=1
	s_or_b32 exec_lo, exec_lo, s18
	v_mov_b32_e32 v5, 0
	s_waitcnt lgkmcnt(0)
	s_barrier
	buffer_gl0_inv
	s_and_saveexec_b32 s18, s11
; %bb.231:                              ;   in Loop: Header=BB1974_20 Depth=1
	ds_read_b32 v5, v45
; %bb.232:                              ;   in Loop: Header=BB1974_20 Depth=1
	s_or_b32 exec_lo, exec_lo, s18
	v_cmp_gt_i32_e32 vcc_lo, 0, v68
	s_waitcnt lgkmcnt(0)
	v_add_nc_u32_e32 v3, v5, v3
	s_barrier
	buffer_gl0_inv
	v_cndmask_b32_e32 v6, v68, v59, vcc_lo
	v_lshlrev_b32_e32 v91, 2, v6
	ds_bpermute_b32 v3, v91, v3
	s_and_saveexec_b32 s18, s8
	s_cbranch_execz .LBB1974_234
; %bb.233:                              ;   in Loop: Header=BB1974_20 Depth=1
	s_waitcnt lgkmcnt(0)
	v_cndmask_b32_e64 v3, v3, v5, s13
	v_add_nc_u32_e32 v3, s33, v3
	ds_write_b32 v29, v3
.LBB1974_234:                           ;   in Loop: Header=BB1974_20 Depth=1
	s_or_b32 exec_lo, exec_lo, s18
	s_load_dwordx2 s[18:19], s[30:31], 0x0
	v_add_co_u32 v92, vcc_lo, v51, v69
	v_add_co_ci_u32_e64 v93, null, 0, v52, vcc_lo
	v_add_co_u32 v94, vcc_lo, v53, v77
	v_add_co_ci_u32_e64 v95, null, 0, v54, vcc_lo
	s_mov_b32 s43, s53
	s_mov_b32 s34, s33
                                        ; implicit-def: $vgpr7_vgpr8
                                        ; implicit-def: $vgpr9_vgpr10
                                        ; implicit-def: $vgpr11_vgpr12
                                        ; implicit-def: $vgpr13_vgpr14
                                        ; implicit-def: $vgpr15_vgpr16
                                        ; implicit-def: $vgpr17_vgpr18
                                        ; implicit-def: $vgpr19_vgpr20
                                        ; implicit-def: $vgpr97
                                        ; implicit-def: $vgpr98
                                        ; implicit-def: $vgpr99
                                        ; implicit-def: $vgpr100
                                        ; implicit-def: $vgpr101
                                        ; implicit-def: $vgpr102
                                        ; implicit-def: $vgpr103
                                        ; implicit-def: $vgpr104
	s_waitcnt lgkmcnt(0)
	s_cmp_lt_u32 s7, s19
	s_cselect_b32 s19, 14, 20
	s_add_u32 s20, s30, s19
	s_addc_u32 s21, s31, 0
	s_cmp_lt_u32 s6, s18
	global_load_ushort v3, v4, s[20:21]
	s_cselect_b32 s18, 12, 18
	s_add_u32 s18, s30, s18
	s_addc_u32 s19, s31, 0
	global_load_ushort v5, v4, s[18:19]
	v_cmp_eq_u32_e64 s18, 0, v67
	v_cmp_lt_u32_e64 s19, 1, v67
	v_cmp_lt_u32_e64 s20, 3, v67
	s_waitcnt vmcnt(1)
	v_mad_u32_u24 v3, v2, v3, v1
	s_waitcnt vmcnt(0)
	v_mad_u64_u32 v[5:6], null, v3, v5, v[0:1]
	v_lshrrev_b32_e32 v3, 3, v5
                                        ; implicit-def: $vgpr5_vgpr6
	v_and_b32_e32 v96, 0x1ffffffc, v3
	s_branch .LBB1974_236
.LBB1974_235:                           ;   in Loop: Header=BB1974_236 Depth=2
	s_or_b32 exec_lo, exec_lo, s21
	s_addk_i32 s43, 0xf800
	s_cmp_lt_u32 s48, s52
	s_mov_b32 s34, s48
	s_cbranch_scc0 .LBB1974_348
.LBB1974_236:                           ;   Parent Loop BB1974_20 Depth=1
                                        ; =>  This Inner Loop Header: Depth=2
	s_add_i32 s48, s34, 0x800
	s_cmp_gt_u32 s48, s52
	s_cbranch_scc1 .LBB1974_238
; %bb.237:                              ;   in Loop: Header=BB1974_236 Depth=2
	s_lshl_b64 s[22:23], s[34:35], 1
	s_mov_b32 s21, -1
	v_add_co_u32 v21, vcc_lo, v94, s22
	v_add_co_ci_u32_e64 v22, null, s23, v95, vcc_lo
	s_clause 0x6
	global_load_ushort v3, v[21:22], off
	global_load_ushort v28, v[21:22], off offset:64
	global_load_ushort v27, v[21:22], off offset:128
	global_load_ushort v26, v[21:22], off offset:192
	global_load_ushort v25, v[21:22], off offset:256
	global_load_ushort v24, v[21:22], off offset:320
	global_load_ushort v23, v[21:22], off offset:384
	s_movk_i32 s22, 0x800
	s_cbranch_execz .LBB1974_239
	s_branch .LBB1974_254
.LBB1974_238:                           ;   in Loop: Header=BB1974_236 Depth=2
	s_mov_b32 s21, 0
                                        ; implicit-def: $vgpr3
                                        ; implicit-def: $vgpr28
                                        ; implicit-def: $vgpr27
                                        ; implicit-def: $vgpr26
                                        ; implicit-def: $vgpr25
                                        ; implicit-def: $vgpr24
                                        ; implicit-def: $vgpr23
	s_movk_i32 s22, 0x800
.LBB1974_239:                           ;   in Loop: Header=BB1974_236 Depth=2
	s_lshl_b64 s[22:23], s[34:35], 1
	s_waitcnt vmcnt(5)
	v_mov_b32_e32 v28, -1
	v_add_co_u32 v21, vcc_lo, v94, s22
	v_add_co_ci_u32_e64 v22, null, s23, v95, vcc_lo
	v_mov_b32_e32 v3, -1
	s_mov_b32 s21, exec_lo
	v_cmpx_gt_u32_e64 s43, v66
	s_cbranch_execz .LBB1974_241
; %bb.240:                              ;   in Loop: Header=BB1974_236 Depth=2
	global_load_ushort v3, v[21:22], off
.LBB1974_241:                           ;   in Loop: Header=BB1974_236 Depth=2
	s_or_b32 exec_lo, exec_lo, s21
	s_mov_b32 s21, exec_lo
	v_cmpx_gt_u32_e64 s43, v70
	s_cbranch_execz .LBB1974_243
; %bb.242:                              ;   in Loop: Header=BB1974_236 Depth=2
	global_load_ushort v28, v[21:22], off offset:64
.LBB1974_243:                           ;   in Loop: Header=BB1974_236 Depth=2
	s_or_b32 exec_lo, exec_lo, s21
	s_waitcnt vmcnt(3)
	v_mov_b32_e32 v26, -1
	v_mov_b32_e32 v27, -1
	s_mov_b32 s21, exec_lo
	v_cmpx_gt_u32_e64 s43, v71
	s_cbranch_execz .LBB1974_245
; %bb.244:                              ;   in Loop: Header=BB1974_236 Depth=2
	global_load_ushort v27, v[21:22], off offset:128
.LBB1974_245:                           ;   in Loop: Header=BB1974_236 Depth=2
	s_or_b32 exec_lo, exec_lo, s21
	s_mov_b32 s21, exec_lo
	v_cmpx_gt_u32_e64 s43, v72
	s_cbranch_execz .LBB1974_247
; %bb.246:                              ;   in Loop: Header=BB1974_236 Depth=2
	global_load_ushort v26, v[21:22], off offset:192
.LBB1974_247:                           ;   in Loop: Header=BB1974_236 Depth=2
	s_or_b32 exec_lo, exec_lo, s21
	s_waitcnt vmcnt(1)
	v_mov_b32_e32 v24, -1
	v_mov_b32_e32 v25, -1
	s_mov_b32 s21, exec_lo
	v_cmpx_gt_u32_e64 s43, v73
	s_cbranch_execz .LBB1974_249
; %bb.248:                              ;   in Loop: Header=BB1974_236 Depth=2
	global_load_ushort v25, v[21:22], off offset:256
.LBB1974_249:                           ;   in Loop: Header=BB1974_236 Depth=2
	s_or_b32 exec_lo, exec_lo, s21
	s_mov_b32 s21, exec_lo
	v_cmpx_gt_u32_e64 s43, v74
	s_cbranch_execz .LBB1974_251
; %bb.250:                              ;   in Loop: Header=BB1974_236 Depth=2
	global_load_ushort v24, v[21:22], off offset:320
.LBB1974_251:                           ;   in Loop: Header=BB1974_236 Depth=2
	s_or_b32 exec_lo, exec_lo, s21
	s_waitcnt vmcnt(0)
	v_mov_b32_e32 v23, -1
	s_mov_b32 s21, exec_lo
	v_cmpx_gt_u32_e64 s43, v75
	s_cbranch_execz .LBB1974_253
; %bb.252:                              ;   in Loop: Header=BB1974_236 Depth=2
	global_load_ushort v23, v[21:22], off offset:384
.LBB1974_253:                           ;   in Loop: Header=BB1974_236 Depth=2
	s_or_b32 exec_lo, exec_lo, s21
	v_cmp_gt_u32_e64 s21, s43, v76
	s_sub_i32 s22, s52, s34
.LBB1974_254:                           ;   in Loop: Header=BB1974_236 Depth=2
	v_mov_b32_e32 v21, -1
	v_mov_b32_e32 v105, s43
	s_and_saveexec_b32 s23, s21
	s_cbranch_execz .LBB1974_256
; %bb.255:                              ;   in Loop: Header=BB1974_236 Depth=2
	s_lshl_b64 s[24:25], s[34:35], 1
	v_mov_b32_e32 v105, s22
	v_add_co_u32 v21, vcc_lo, v94, s24
	v_add_co_ci_u32_e64 v22, null, s25, v95, vcc_lo
	global_load_ushort v21, v[21:22], off offset:448
.LBB1974_256:                           ;   in Loop: Header=BB1974_236 Depth=2
	s_or_b32 exec_lo, exec_lo, s23
	s_waitcnt vmcnt(6)
	v_cmp_gt_i16_e32 vcc_lo, 0, v3
	ds_write2_b32 v78, v4, v4 offset1:1
	ds_write2_b32 v88, v4, v4 offset1:1
	;; [unrolled: 1-line block ×4, first 2 shown]
	ds_write_b32 v44, v4 offset:1088
	s_waitcnt vmcnt(0) lgkmcnt(0)
	s_barrier
	v_cndmask_b32_e64 v22, 0x7fff, 0, vcc_lo
	buffer_gl0_inv
	; wave barrier
	v_xor_b32_e32 v3, v22, v3
	v_cmp_ne_u16_e32 vcc_lo, 0x8000, v3
	v_cndmask_b32_e32 v22, 0x7fff, v3, vcc_lo
	v_lshrrev_b32_sdwa v22, s29, v22 dst_sel:DWORD dst_unused:UNUSED_PAD src0_sel:DWORD src1_sel:WORD_0
	v_and_b32_e32 v107, s42, v22
	v_and_b32_e32 v22, 1, v107
	v_lshlrev_b32_e32 v106, 30, v107
	v_lshlrev_b32_e32 v108, 29, v107
	;; [unrolled: 1-line block ×4, first 2 shown]
	v_add_co_u32 v22, s21, v22, -1
	v_cndmask_b32_e64 v110, 0, 1, s21
	v_not_b32_e32 v114, v106
	v_cmp_gt_i32_e64 s21, 0, v106
	v_not_b32_e32 v106, v108
	v_lshlrev_b32_e32 v112, 26, v107
	v_cmp_ne_u32_e32 vcc_lo, 0, v110
	v_ashrrev_i32_e32 v114, 31, v114
	v_lshlrev_b32_e32 v113, 25, v107
	v_ashrrev_i32_e32 v106, 31, v106
	v_lshlrev_b32_e32 v110, 24, v107
	v_xor_b32_e32 v22, vcc_lo, v22
	v_cmp_gt_i32_e32 vcc_lo, 0, v108
	v_not_b32_e32 v108, v109
	v_xor_b32_e32 v114, s21, v114
	v_cmp_gt_i32_e64 s21, 0, v109
	v_and_b32_e32 v22, exec_lo, v22
	v_not_b32_e32 v109, v111
	v_ashrrev_i32_e32 v108, 31, v108
	v_xor_b32_e32 v106, vcc_lo, v106
	v_cmp_gt_i32_e32 vcc_lo, 0, v111
	v_and_b32_e32 v22, v22, v114
	v_not_b32_e32 v111, v112
	v_ashrrev_i32_e32 v109, 31, v109
	v_xor_b32_e32 v108, s21, v108
	v_cmp_gt_i32_e64 s21, 0, v112
	v_and_b32_e32 v22, v22, v106
	v_not_b32_e32 v106, v113
	v_ashrrev_i32_e32 v111, 31, v111
	v_xor_b32_e32 v109, vcc_lo, v109
	v_cmp_gt_i32_e32 vcc_lo, 0, v113
	v_and_b32_e32 v22, v22, v108
	v_not_b32_e32 v108, v110
	v_ashrrev_i32_e32 v106, 31, v106
	v_xor_b32_e32 v111, s21, v111
	v_cmp_gt_i32_e64 s21, 0, v110
	v_and_b32_e32 v22, v22, v109
	v_ashrrev_i32_e32 v108, 31, v108
	v_xor_b32_e32 v106, vcc_lo, v106
	v_mul_u32_u24_e32 v107, 36, v107
	v_and_b32_e32 v22, v22, v111
	v_xor_b32_e32 v108, s21, v108
	v_and_b32_e32 v22, v22, v106
	v_and_b32_e32 v22, v22, v108
	v_add_nc_u32_e32 v108, v96, v107
	v_mbcnt_lo_u32_b32 v106, v22, 0
	v_cmp_ne_u32_e64 s21, 0, v22
	v_cmp_eq_u32_e32 vcc_lo, 0, v106
	s_and_b32 s22, s21, vcc_lo
	s_and_saveexec_b32 s21, s22
; %bb.257:                              ;   in Loop: Header=BB1974_236 Depth=2
	v_bcnt_u32_b32 v22, v22, 0
	ds_write_b32 v108, v22 offset:1056
; %bb.258:                              ;   in Loop: Header=BB1974_236 Depth=2
	s_or_b32 exec_lo, exec_lo, s21
	v_cmp_gt_i16_e32 vcc_lo, 0, v28
	; wave barrier
	v_cndmask_b32_e64 v22, 0x7fff, 0, vcc_lo
	v_xor_b32_e32 v107, v22, v28
	v_cmp_ne_u16_e32 vcc_lo, 0x8000, v107
	v_cndmask_b32_e32 v22, 0x7fff, v107, vcc_lo
	v_lshrrev_b32_sdwa v22, s29, v22 dst_sel:DWORD dst_unused:UNUSED_PAD src0_sel:DWORD src1_sel:WORD_0
	v_and_b32_e32 v28, s42, v22
	v_and_b32_e32 v22, 1, v28
	v_lshlrev_b32_e32 v109, 30, v28
	v_lshlrev_b32_e32 v110, 29, v28
	;; [unrolled: 1-line block ×4, first 2 shown]
	v_add_co_u32 v22, s21, v22, -1
	v_cndmask_b32_e64 v112, 0, 1, s21
	v_not_b32_e32 v116, v109
	v_cmp_gt_i32_e64 s21, 0, v109
	v_not_b32_e32 v109, v110
	v_lshlrev_b32_e32 v114, 26, v28
	v_cmp_ne_u32_e32 vcc_lo, 0, v112
	v_ashrrev_i32_e32 v116, 31, v116
	v_lshlrev_b32_e32 v115, 25, v28
	v_ashrrev_i32_e32 v109, 31, v109
	v_lshlrev_b32_e32 v112, 24, v28
	v_xor_b32_e32 v22, vcc_lo, v22
	v_cmp_gt_i32_e32 vcc_lo, 0, v110
	v_not_b32_e32 v110, v111
	v_xor_b32_e32 v116, s21, v116
	v_cmp_gt_i32_e64 s21, 0, v111
	v_and_b32_e32 v22, exec_lo, v22
	v_not_b32_e32 v111, v113
	v_ashrrev_i32_e32 v110, 31, v110
	v_xor_b32_e32 v109, vcc_lo, v109
	v_cmp_gt_i32_e32 vcc_lo, 0, v113
	v_and_b32_e32 v22, v22, v116
	v_not_b32_e32 v113, v114
	v_ashrrev_i32_e32 v111, 31, v111
	v_xor_b32_e32 v110, s21, v110
	v_cmp_gt_i32_e64 s21, 0, v114
	v_and_b32_e32 v22, v22, v109
	v_not_b32_e32 v109, v115
	v_ashrrev_i32_e32 v113, 31, v113
	v_xor_b32_e32 v111, vcc_lo, v111
	v_cmp_gt_i32_e32 vcc_lo, 0, v115
	v_and_b32_e32 v22, v22, v110
	v_not_b32_e32 v110, v112
	v_ashrrev_i32_e32 v109, 31, v109
	v_xor_b32_e32 v113, s21, v113
	v_cmp_gt_i32_e64 s21, 0, v112
	v_and_b32_e32 v22, v22, v111
	v_ashrrev_i32_e32 v110, 31, v110
	v_xor_b32_e32 v109, vcc_lo, v109
	v_mad_u32_u24 v111, v28, 36, v96
	v_mul_u32_u24_e32 v28, 36, v28
	v_and_b32_e32 v22, v22, v113
	v_xor_b32_e32 v110, s21, v110
	v_add_nc_u32_e32 v112, v96, v28
	v_and_b32_e32 v22, v22, v109
	ds_read_b32 v109, v111 offset:1056
	; wave barrier
	v_and_b32_e32 v22, v22, v110
	v_mbcnt_lo_u32_b32 v110, v22, 0
	v_cmp_ne_u32_e64 s21, 0, v22
	v_cmp_eq_u32_e32 vcc_lo, 0, v110
	s_and_b32 s22, s21, vcc_lo
	s_and_saveexec_b32 s21, s22
	s_cbranch_execz .LBB1974_260
; %bb.259:                              ;   in Loop: Header=BB1974_236 Depth=2
	s_waitcnt lgkmcnt(0)
	v_bcnt_u32_b32 v22, v22, v109
	ds_write_b32 v112, v22 offset:1056
.LBB1974_260:                           ;   in Loop: Header=BB1974_236 Depth=2
	s_or_b32 exec_lo, exec_lo, s21
	v_cmp_gt_i16_e32 vcc_lo, 0, v27
	; wave barrier
	v_cndmask_b32_e64 v22, 0x7fff, 0, vcc_lo
	v_xor_b32_e32 v111, v22, v27
	v_cmp_ne_u16_e32 vcc_lo, 0x8000, v111
	v_cndmask_b32_e32 v22, 0x7fff, v111, vcc_lo
	v_lshrrev_b32_sdwa v22, s29, v22 dst_sel:DWORD dst_unused:UNUSED_PAD src0_sel:DWORD src1_sel:WORD_0
	v_and_b32_e32 v27, s42, v22
	v_and_b32_e32 v22, 1, v27
	v_lshlrev_b32_e32 v28, 30, v27
	v_lshlrev_b32_e32 v113, 29, v27
	;; [unrolled: 1-line block ×4, first 2 shown]
	v_add_co_u32 v22, s21, v22, -1
	v_cndmask_b32_e64 v115, 0, 1, s21
	v_not_b32_e32 v119, v28
	v_cmp_gt_i32_e64 s21, 0, v28
	v_not_b32_e32 v28, v113
	v_lshlrev_b32_e32 v117, 26, v27
	v_cmp_ne_u32_e32 vcc_lo, 0, v115
	v_ashrrev_i32_e32 v119, 31, v119
	v_lshlrev_b32_e32 v118, 25, v27
	v_ashrrev_i32_e32 v28, 31, v28
	v_lshlrev_b32_e32 v115, 24, v27
	v_xor_b32_e32 v22, vcc_lo, v22
	v_cmp_gt_i32_e32 vcc_lo, 0, v113
	v_not_b32_e32 v113, v114
	v_xor_b32_e32 v119, s21, v119
	v_cmp_gt_i32_e64 s21, 0, v114
	v_and_b32_e32 v22, exec_lo, v22
	v_not_b32_e32 v114, v116
	v_ashrrev_i32_e32 v113, 31, v113
	v_xor_b32_e32 v28, vcc_lo, v28
	v_cmp_gt_i32_e32 vcc_lo, 0, v116
	v_and_b32_e32 v22, v22, v119
	v_not_b32_e32 v116, v117
	v_ashrrev_i32_e32 v114, 31, v114
	v_xor_b32_e32 v113, s21, v113
	v_cmp_gt_i32_e64 s21, 0, v117
	v_and_b32_e32 v22, v22, v28
	v_not_b32_e32 v28, v118
	v_ashrrev_i32_e32 v116, 31, v116
	v_xor_b32_e32 v114, vcc_lo, v114
	v_cmp_gt_i32_e32 vcc_lo, 0, v118
	v_and_b32_e32 v22, v22, v113
	v_not_b32_e32 v113, v115
	v_ashrrev_i32_e32 v28, 31, v28
	v_xor_b32_e32 v116, s21, v116
	v_cmp_gt_i32_e64 s21, 0, v115
	v_and_b32_e32 v22, v22, v114
	v_ashrrev_i32_e32 v113, 31, v113
	v_xor_b32_e32 v28, vcc_lo, v28
	v_mad_u32_u24 v114, v27, 36, v96
	v_mul_u32_u24_e32 v27, 36, v27
	v_and_b32_e32 v22, v22, v116
	v_xor_b32_e32 v115, s21, v113
	ds_read_b32 v113, v114 offset:1056
	v_add_nc_u32_e32 v116, v96, v27
	v_and_b32_e32 v22, v22, v28
	; wave barrier
	v_and_b32_e32 v22, v22, v115
	v_mbcnt_lo_u32_b32 v115, v22, 0
	v_cmp_ne_u32_e64 s21, 0, v22
	v_cmp_eq_u32_e32 vcc_lo, 0, v115
	s_and_b32 s22, s21, vcc_lo
	s_and_saveexec_b32 s21, s22
	s_cbranch_execz .LBB1974_262
; %bb.261:                              ;   in Loop: Header=BB1974_236 Depth=2
	s_waitcnt lgkmcnt(0)
	v_bcnt_u32_b32 v22, v22, v113
	ds_write_b32 v116, v22 offset:1056
.LBB1974_262:                           ;   in Loop: Header=BB1974_236 Depth=2
	s_or_b32 exec_lo, exec_lo, s21
	v_cmp_gt_i16_e32 vcc_lo, 0, v26
	; wave barrier
	v_cndmask_b32_e64 v22, 0x7fff, 0, vcc_lo
	v_xor_b32_e32 v114, v22, v26
	v_cmp_ne_u16_e32 vcc_lo, 0x8000, v114
	v_cndmask_b32_e32 v22, 0x7fff, v114, vcc_lo
	v_lshrrev_b32_sdwa v22, s29, v22 dst_sel:DWORD dst_unused:UNUSED_PAD src0_sel:DWORD src1_sel:WORD_0
	v_and_b32_e32 v26, s42, v22
	v_and_b32_e32 v22, 1, v26
	v_lshlrev_b32_e32 v27, 30, v26
	v_lshlrev_b32_e32 v28, 29, v26
	;; [unrolled: 1-line block ×4, first 2 shown]
	v_add_co_u32 v22, s21, v22, -1
	v_cndmask_b32_e64 v118, 0, 1, s21
	v_not_b32_e32 v122, v27
	v_cmp_gt_i32_e64 s21, 0, v27
	v_not_b32_e32 v27, v28
	v_lshlrev_b32_e32 v120, 26, v26
	v_cmp_ne_u32_e32 vcc_lo, 0, v118
	v_ashrrev_i32_e32 v122, 31, v122
	v_lshlrev_b32_e32 v121, 25, v26
	v_ashrrev_i32_e32 v27, 31, v27
	v_lshlrev_b32_e32 v118, 24, v26
	v_xor_b32_e32 v22, vcc_lo, v22
	v_cmp_gt_i32_e32 vcc_lo, 0, v28
	v_not_b32_e32 v28, v117
	v_xor_b32_e32 v122, s21, v122
	v_cmp_gt_i32_e64 s21, 0, v117
	v_and_b32_e32 v22, exec_lo, v22
	v_not_b32_e32 v117, v119
	v_ashrrev_i32_e32 v28, 31, v28
	v_xor_b32_e32 v27, vcc_lo, v27
	v_cmp_gt_i32_e32 vcc_lo, 0, v119
	v_and_b32_e32 v22, v22, v122
	v_not_b32_e32 v119, v120
	v_ashrrev_i32_e32 v117, 31, v117
	v_xor_b32_e32 v28, s21, v28
	v_cmp_gt_i32_e64 s21, 0, v120
	v_and_b32_e32 v22, v22, v27
	v_not_b32_e32 v27, v121
	v_ashrrev_i32_e32 v119, 31, v119
	v_xor_b32_e32 v117, vcc_lo, v117
	v_cmp_gt_i32_e32 vcc_lo, 0, v121
	v_and_b32_e32 v22, v22, v28
	v_not_b32_e32 v28, v118
	v_ashrrev_i32_e32 v27, 31, v27
	v_xor_b32_e32 v119, s21, v119
	v_cmp_gt_i32_e64 s21, 0, v118
	v_and_b32_e32 v22, v22, v117
	v_ashrrev_i32_e32 v28, 31, v28
	v_xor_b32_e32 v27, vcc_lo, v27
	v_mad_u32_u24 v117, v26, 36, v96
	v_mul_u32_u24_e32 v26, 36, v26
	v_and_b32_e32 v22, v22, v119
	v_xor_b32_e32 v28, s21, v28
	ds_read_b32 v117, v117 offset:1056
	v_add_nc_u32_e32 v120, v96, v26
	v_and_b32_e32 v22, v22, v27
	; wave barrier
	v_and_b32_e32 v22, v22, v28
	v_mbcnt_lo_u32_b32 v119, v22, 0
	v_cmp_ne_u32_e64 s21, 0, v22
	v_cmp_eq_u32_e32 vcc_lo, 0, v119
	s_and_b32 s22, s21, vcc_lo
	s_and_saveexec_b32 s21, s22
	s_cbranch_execz .LBB1974_264
; %bb.263:                              ;   in Loop: Header=BB1974_236 Depth=2
	s_waitcnt lgkmcnt(0)
	v_bcnt_u32_b32 v22, v22, v117
	ds_write_b32 v120, v22 offset:1056
.LBB1974_264:                           ;   in Loop: Header=BB1974_236 Depth=2
	s_or_b32 exec_lo, exec_lo, s21
	v_cmp_gt_i16_e32 vcc_lo, 0, v25
	; wave barrier
	v_cndmask_b32_e64 v22, 0x7fff, 0, vcc_lo
	v_xor_b32_e32 v118, v22, v25
	v_cmp_ne_u16_e32 vcc_lo, 0x8000, v118
	v_cndmask_b32_e32 v22, 0x7fff, v118, vcc_lo
	v_lshrrev_b32_sdwa v22, s29, v22 dst_sel:DWORD dst_unused:UNUSED_PAD src0_sel:DWORD src1_sel:WORD_0
	v_and_b32_e32 v25, s42, v22
	v_and_b32_e32 v22, 1, v25
	v_lshlrev_b32_e32 v26, 30, v25
	v_lshlrev_b32_e32 v27, 29, v25
	;; [unrolled: 1-line block ×4, first 2 shown]
	v_add_co_u32 v22, s21, v22, -1
	v_cndmask_b32_e64 v121, 0, 1, s21
	v_not_b32_e32 v125, v26
	v_cmp_gt_i32_e64 s21, 0, v26
	v_not_b32_e32 v26, v27
	v_lshlrev_b32_e32 v123, 26, v25
	v_cmp_ne_u32_e32 vcc_lo, 0, v121
	v_ashrrev_i32_e32 v125, 31, v125
	v_lshlrev_b32_e32 v124, 25, v25
	v_ashrrev_i32_e32 v26, 31, v26
	v_lshlrev_b32_e32 v121, 24, v25
	v_xor_b32_e32 v22, vcc_lo, v22
	v_cmp_gt_i32_e32 vcc_lo, 0, v27
	v_not_b32_e32 v27, v28
	v_xor_b32_e32 v125, s21, v125
	v_cmp_gt_i32_e64 s21, 0, v28
	v_and_b32_e32 v22, exec_lo, v22
	v_not_b32_e32 v28, v122
	v_ashrrev_i32_e32 v27, 31, v27
	v_xor_b32_e32 v26, vcc_lo, v26
	v_cmp_gt_i32_e32 vcc_lo, 0, v122
	v_and_b32_e32 v22, v22, v125
	v_not_b32_e32 v122, v123
	v_ashrrev_i32_e32 v28, 31, v28
	v_xor_b32_e32 v27, s21, v27
	v_cmp_gt_i32_e64 s21, 0, v123
	v_and_b32_e32 v22, v22, v26
	v_not_b32_e32 v26, v124
	v_ashrrev_i32_e32 v122, 31, v122
	v_xor_b32_e32 v28, vcc_lo, v28
	v_cmp_gt_i32_e32 vcc_lo, 0, v124
	v_and_b32_e32 v22, v22, v27
	v_not_b32_e32 v27, v121
	v_ashrrev_i32_e32 v26, 31, v26
	v_xor_b32_e32 v122, s21, v122
	v_cmp_gt_i32_e64 s21, 0, v121
	v_and_b32_e32 v22, v22, v28
	v_ashrrev_i32_e32 v27, 31, v27
	v_xor_b32_e32 v26, vcc_lo, v26
	v_mad_u32_u24 v28, v25, 36, v96
	v_mul_u32_u24_e32 v25, 36, v25
	v_and_b32_e32 v22, v22, v122
	v_xor_b32_e32 v27, s21, v27
	ds_read_b32 v121, v28 offset:1056
	v_add_nc_u32_e32 v124, v96, v25
	v_and_b32_e32 v22, v22, v26
	; wave barrier
	v_and_b32_e32 v22, v22, v27
	v_mbcnt_lo_u32_b32 v123, v22, 0
	v_cmp_ne_u32_e64 s21, 0, v22
	v_cmp_eq_u32_e32 vcc_lo, 0, v123
	s_and_b32 s22, s21, vcc_lo
	s_and_saveexec_b32 s21, s22
	s_cbranch_execz .LBB1974_266
; %bb.265:                              ;   in Loop: Header=BB1974_236 Depth=2
	s_waitcnt lgkmcnt(0)
	v_bcnt_u32_b32 v22, v22, v121
	ds_write_b32 v124, v22 offset:1056
.LBB1974_266:                           ;   in Loop: Header=BB1974_236 Depth=2
	s_or_b32 exec_lo, exec_lo, s21
	v_cmp_gt_i16_e32 vcc_lo, 0, v24
	; wave barrier
	v_cndmask_b32_e64 v22, 0x7fff, 0, vcc_lo
	v_xor_b32_e32 v122, v22, v24
	v_cmp_ne_u16_e32 vcc_lo, 0x8000, v122
	v_cndmask_b32_e32 v22, 0x7fff, v122, vcc_lo
	v_lshrrev_b32_sdwa v22, s29, v22 dst_sel:DWORD dst_unused:UNUSED_PAD src0_sel:DWORD src1_sel:WORD_0
	v_and_b32_e32 v24, s42, v22
	v_and_b32_e32 v22, 1, v24
	v_lshlrev_b32_e32 v25, 30, v24
	v_lshlrev_b32_e32 v26, 29, v24
	;; [unrolled: 1-line block ×4, first 2 shown]
	v_add_co_u32 v22, s21, v22, -1
	v_cndmask_b32_e64 v28, 0, 1, s21
	v_not_b32_e32 v128, v25
	v_cmp_gt_i32_e64 s21, 0, v25
	v_not_b32_e32 v25, v26
	v_lshlrev_b32_e32 v126, 26, v24
	v_cmp_ne_u32_e32 vcc_lo, 0, v28
	v_ashrrev_i32_e32 v128, 31, v128
	v_lshlrev_b32_e32 v127, 25, v24
	v_ashrrev_i32_e32 v25, 31, v25
	v_lshlrev_b32_e32 v28, 24, v24
	v_xor_b32_e32 v22, vcc_lo, v22
	v_cmp_gt_i32_e32 vcc_lo, 0, v26
	v_not_b32_e32 v26, v27
	v_xor_b32_e32 v128, s21, v128
	v_cmp_gt_i32_e64 s21, 0, v27
	v_and_b32_e32 v22, exec_lo, v22
	v_not_b32_e32 v27, v125
	v_ashrrev_i32_e32 v26, 31, v26
	v_xor_b32_e32 v25, vcc_lo, v25
	v_cmp_gt_i32_e32 vcc_lo, 0, v125
	v_and_b32_e32 v22, v22, v128
	v_not_b32_e32 v125, v126
	v_ashrrev_i32_e32 v27, 31, v27
	v_xor_b32_e32 v26, s21, v26
	v_cmp_gt_i32_e64 s21, 0, v126
	v_and_b32_e32 v22, v22, v25
	v_not_b32_e32 v25, v127
	v_ashrrev_i32_e32 v125, 31, v125
	v_xor_b32_e32 v27, vcc_lo, v27
	v_cmp_gt_i32_e32 vcc_lo, 0, v127
	v_and_b32_e32 v22, v22, v26
	v_not_b32_e32 v26, v28
	v_ashrrev_i32_e32 v25, 31, v25
	v_xor_b32_e32 v125, s21, v125
	v_cmp_gt_i32_e64 s21, 0, v28
	v_and_b32_e32 v22, v22, v27
	v_ashrrev_i32_e32 v26, 31, v26
	v_xor_b32_e32 v25, vcc_lo, v25
	v_mad_u32_u24 v27, v24, 36, v96
	v_mul_u32_u24_e32 v24, 36, v24
	v_and_b32_e32 v22, v22, v125
	v_xor_b32_e32 v26, s21, v26
	ds_read_b32 v125, v27 offset:1056
	v_add_nc_u32_e32 v128, v96, v24
	v_and_b32_e32 v22, v22, v25
	; wave barrier
	v_and_b32_e32 v22, v22, v26
	v_mbcnt_lo_u32_b32 v127, v22, 0
	v_cmp_ne_u32_e64 s21, 0, v22
	v_cmp_eq_u32_e32 vcc_lo, 0, v127
	s_and_b32 s22, s21, vcc_lo
	s_and_saveexec_b32 s21, s22
	s_cbranch_execz .LBB1974_268
; %bb.267:                              ;   in Loop: Header=BB1974_236 Depth=2
	s_waitcnt lgkmcnt(0)
	v_bcnt_u32_b32 v22, v22, v125
	ds_write_b32 v128, v22 offset:1056
.LBB1974_268:                           ;   in Loop: Header=BB1974_236 Depth=2
	s_or_b32 exec_lo, exec_lo, s21
	v_cmp_gt_i16_e32 vcc_lo, 0, v23
	; wave barrier
	v_cndmask_b32_e64 v22, 0x7fff, 0, vcc_lo
	v_xor_b32_e32 v126, v22, v23
	v_cmp_ne_u16_e32 vcc_lo, 0x8000, v126
	v_cndmask_b32_e32 v22, 0x7fff, v126, vcc_lo
	v_lshrrev_b32_sdwa v22, s29, v22 dst_sel:DWORD dst_unused:UNUSED_PAD src0_sel:DWORD src1_sel:WORD_0
	v_and_b32_e32 v23, s42, v22
	v_and_b32_e32 v22, 1, v23
	v_lshlrev_b32_e32 v24, 30, v23
	v_lshlrev_b32_e32 v25, 29, v23
	;; [unrolled: 1-line block ×4, first 2 shown]
	v_add_co_u32 v22, s21, v22, -1
	v_cndmask_b32_e64 v27, 0, 1, s21
	v_not_b32_e32 v131, v24
	v_cmp_gt_i32_e64 s21, 0, v24
	v_not_b32_e32 v24, v25
	v_lshlrev_b32_e32 v129, 26, v23
	v_cmp_ne_u32_e32 vcc_lo, 0, v27
	v_ashrrev_i32_e32 v131, 31, v131
	v_lshlrev_b32_e32 v130, 25, v23
	v_ashrrev_i32_e32 v24, 31, v24
	v_lshlrev_b32_e32 v27, 24, v23
	v_xor_b32_e32 v22, vcc_lo, v22
	v_cmp_gt_i32_e32 vcc_lo, 0, v25
	v_not_b32_e32 v25, v26
	v_xor_b32_e32 v131, s21, v131
	v_cmp_gt_i32_e64 s21, 0, v26
	v_and_b32_e32 v22, exec_lo, v22
	v_not_b32_e32 v26, v28
	v_ashrrev_i32_e32 v25, 31, v25
	v_xor_b32_e32 v24, vcc_lo, v24
	v_cmp_gt_i32_e32 vcc_lo, 0, v28
	v_and_b32_e32 v22, v22, v131
	v_not_b32_e32 v28, v129
	v_ashrrev_i32_e32 v26, 31, v26
	v_xor_b32_e32 v25, s21, v25
	v_cmp_gt_i32_e64 s21, 0, v129
	v_and_b32_e32 v22, v22, v24
	v_not_b32_e32 v24, v130
	v_ashrrev_i32_e32 v28, 31, v28
	v_xor_b32_e32 v26, vcc_lo, v26
	v_cmp_gt_i32_e32 vcc_lo, 0, v130
	v_and_b32_e32 v22, v22, v25
	v_not_b32_e32 v25, v27
	v_ashrrev_i32_e32 v24, 31, v24
	v_xor_b32_e32 v28, s21, v28
	v_cmp_gt_i32_e64 s21, 0, v27
	v_and_b32_e32 v22, v22, v26
	v_ashrrev_i32_e32 v25, 31, v25
	v_xor_b32_e32 v24, vcc_lo, v24
	v_mad_u32_u24 v26, v23, 36, v96
	v_mul_u32_u24_e32 v23, 36, v23
	v_and_b32_e32 v22, v22, v28
	v_xor_b32_e32 v25, s21, v25
	ds_read_b32 v129, v26 offset:1056
	v_add_nc_u32_e32 v132, v96, v23
	v_and_b32_e32 v22, v22, v24
	; wave barrier
	v_and_b32_e32 v22, v22, v25
	v_mbcnt_lo_u32_b32 v131, v22, 0
	v_cmp_ne_u32_e64 s21, 0, v22
	v_cmp_eq_u32_e32 vcc_lo, 0, v131
	s_and_b32 s22, s21, vcc_lo
	s_and_saveexec_b32 s21, s22
	s_cbranch_execz .LBB1974_270
; %bb.269:                              ;   in Loop: Header=BB1974_236 Depth=2
	s_waitcnt lgkmcnt(0)
	v_bcnt_u32_b32 v22, v22, v129
	ds_write_b32 v132, v22 offset:1056
.LBB1974_270:                           ;   in Loop: Header=BB1974_236 Depth=2
	s_or_b32 exec_lo, exec_lo, s21
	v_cmp_gt_i16_e32 vcc_lo, 0, v21
	; wave barrier
	v_cndmask_b32_e64 v22, 0x7fff, 0, vcc_lo
	v_xor_b32_e32 v130, v22, v21
	v_cmp_ne_u16_e32 vcc_lo, 0x8000, v130
	v_cndmask_b32_e32 v21, 0x7fff, v130, vcc_lo
	v_lshrrev_b32_sdwa v21, s29, v21 dst_sel:DWORD dst_unused:UNUSED_PAD src0_sel:DWORD src1_sel:WORD_0
	v_and_b32_e32 v22, s42, v21
	v_and_b32_e32 v21, 1, v22
	v_lshlrev_b32_e32 v23, 30, v22
	v_lshlrev_b32_e32 v24, 29, v22
	;; [unrolled: 1-line block ×4, first 2 shown]
	v_add_co_u32 v21, s21, v21, -1
	v_cndmask_b32_e64 v26, 0, 1, s21
	v_not_b32_e32 v134, v23
	v_cmp_gt_i32_e64 s21, 0, v23
	v_not_b32_e32 v23, v24
	v_lshlrev_b32_e32 v28, 26, v22
	v_cmp_ne_u32_e32 vcc_lo, 0, v26
	v_ashrrev_i32_e32 v134, 31, v134
	v_lshlrev_b32_e32 v133, 25, v22
	v_ashrrev_i32_e32 v23, 31, v23
	v_lshlrev_b32_e32 v26, 24, v22
	v_xor_b32_e32 v21, vcc_lo, v21
	v_cmp_gt_i32_e32 vcc_lo, 0, v24
	v_not_b32_e32 v24, v25
	v_xor_b32_e32 v134, s21, v134
	v_cmp_gt_i32_e64 s21, 0, v25
	v_and_b32_e32 v21, exec_lo, v21
	v_not_b32_e32 v25, v27
	v_ashrrev_i32_e32 v24, 31, v24
	v_xor_b32_e32 v23, vcc_lo, v23
	v_cmp_gt_i32_e32 vcc_lo, 0, v27
	v_and_b32_e32 v21, v21, v134
	v_not_b32_e32 v27, v28
	v_ashrrev_i32_e32 v25, 31, v25
	v_xor_b32_e32 v24, s21, v24
	v_cmp_gt_i32_e64 s21, 0, v28
	v_and_b32_e32 v21, v21, v23
	v_not_b32_e32 v23, v133
	v_ashrrev_i32_e32 v27, 31, v27
	v_xor_b32_e32 v25, vcc_lo, v25
	v_cmp_gt_i32_e32 vcc_lo, 0, v133
	v_and_b32_e32 v21, v21, v24
	v_not_b32_e32 v24, v26
	v_ashrrev_i32_e32 v23, 31, v23
	v_xor_b32_e32 v27, s21, v27
	v_cmp_gt_i32_e64 s21, 0, v26
	v_and_b32_e32 v21, v21, v25
	v_ashrrev_i32_e32 v24, 31, v24
	v_xor_b32_e32 v23, vcc_lo, v23
	v_mad_u32_u24 v25, v22, 36, v96
	v_mul_u32_u24_e32 v22, 36, v22
	v_and_b32_e32 v21, v21, v27
	v_xor_b32_e32 v24, s21, v24
	ds_read_b32 v133, v25 offset:1056
	v_add_nc_u32_e32 v135, v96, v22
	v_and_b32_e32 v21, v21, v23
	; wave barrier
	v_and_b32_e32 v21, v21, v24
	v_mbcnt_lo_u32_b32 v134, v21, 0
	v_cmp_ne_u32_e64 s21, 0, v21
	v_cmp_eq_u32_e32 vcc_lo, 0, v134
	s_and_b32 s22, s21, vcc_lo
	s_and_saveexec_b32 s21, s22
	s_cbranch_execz .LBB1974_272
; %bb.271:                              ;   in Loop: Header=BB1974_236 Depth=2
	s_waitcnt lgkmcnt(0)
	v_bcnt_u32_b32 v21, v21, v133
	ds_write_b32 v135, v21 offset:1056
.LBB1974_272:                           ;   in Loop: Header=BB1974_236 Depth=2
	s_or_b32 exec_lo, exec_lo, s21
	; wave barrier
	s_waitcnt lgkmcnt(0)
	s_barrier
	buffer_gl0_inv
	ds_read2_b32 v[27:28], v78 offset1:1
	ds_read2_b32 v[25:26], v88 offset1:1
	ds_read2_b32 v[23:24], v89 offset1:1
	ds_read2_b32 v[21:22], v90 offset1:1
	ds_read_b32 v136, v44 offset:1088
	s_waitcnt lgkmcnt(3)
	v_add3_u32 v137, v28, v27, v25
	s_waitcnt lgkmcnt(2)
	v_add3_u32 v137, v137, v26, v23
	s_waitcnt lgkmcnt(1)
	v_add3_u32 v137, v137, v24, v21
	s_waitcnt lgkmcnt(0)
	v_add3_u32 v136, v137, v22, v136
	v_mov_b32_dpp v137, v136 row_shr:1 row_mask:0xf bank_mask:0xf
	v_cndmask_b32_e64 v137, v137, 0, s5
	v_add_nc_u32_e32 v136, v137, v136
	v_mov_b32_dpp v137, v136 row_shr:2 row_mask:0xf bank_mask:0xf
	v_cndmask_b32_e64 v137, 0, v137, s14
	v_add_nc_u32_e32 v136, v136, v137
	;; [unrolled: 3-line block ×4, first 2 shown]
	ds_swizzle_b32 v137, v136 offset:swizzle(BROADCAST,32,15)
	s_waitcnt lgkmcnt(0)
	v_cndmask_b32_e64 v137, v137, 0, s17
	v_add_nc_u32_e32 v136, v136, v137
	s_and_saveexec_b32 s21, s9
; %bb.273:                              ;   in Loop: Header=BB1974_236 Depth=2
	ds_write_b32 v39, v136 offset:1024
; %bb.274:                              ;   in Loop: Header=BB1974_236 Depth=2
	s_or_b32 exec_lo, exec_lo, s21
	s_waitcnt lgkmcnt(0)
	s_barrier
	buffer_gl0_inv
	s_and_saveexec_b32 s21, s10
	s_cbranch_execz .LBB1974_276
; %bb.275:                              ;   in Loop: Header=BB1974_236 Depth=2
	ds_read_b32 v137, v46 offset:1024
	s_waitcnt lgkmcnt(0)
	v_mov_b32_dpp v138, v137 row_shr:1 row_mask:0xf bank_mask:0xf
	v_cndmask_b32_e64 v138, v138, 0, s18
	v_add_nc_u32_e32 v137, v138, v137
	v_mov_b32_dpp v138, v137 row_shr:2 row_mask:0xf bank_mask:0xf
	v_cndmask_b32_e64 v138, 0, v138, s19
	v_add_nc_u32_e32 v137, v137, v138
	v_mov_b32_dpp v138, v137 row_shr:4 row_mask:0xf bank_mask:0xf
	v_cndmask_b32_e64 v138, 0, v138, s20
	v_add_nc_u32_e32 v137, v137, v138
	ds_write_b32 v46, v137 offset:1024
.LBB1974_276:                           ;   in Loop: Header=BB1974_236 Depth=2
	s_or_b32 exec_lo, exec_lo, s21
	v_mov_b32_e32 v137, 0
	s_waitcnt lgkmcnt(0)
	s_barrier
	buffer_gl0_inv
	s_and_saveexec_b32 s21, s11
; %bb.277:                              ;   in Loop: Header=BB1974_236 Depth=2
	ds_read_b32 v137, v39 offset:1020
; %bb.278:                              ;   in Loop: Header=BB1974_236 Depth=2
	s_or_b32 exec_lo, exec_lo, s21
	s_waitcnt lgkmcnt(0)
	v_add_nc_u32_e32 v136, v137, v136
	ds_bpermute_b32 v136, v91, v136
	s_waitcnt lgkmcnt(0)
	v_cndmask_b32_e64 v136, v136, v137, s13
	v_cndmask_b32_e64 v136, v136, 0, s4
	v_add_nc_u32_e32 v27, v136, v27
	v_add_nc_u32_e32 v28, v27, v28
	;; [unrolled: 1-line block ×8, first 2 shown]
	ds_write2_b32 v78, v136, v27 offset1:1
	ds_write2_b32 v88, v28, v25 offset1:1
	;; [unrolled: 1-line block ×4, first 2 shown]
	ds_write_b32 v44, v22 offset:1088
	s_waitcnt lgkmcnt(0)
	s_barrier
	buffer_gl0_inv
	ds_read_b32 v24, v108 offset:1056
	ds_read_b32 v25, v112 offset:1056
	ds_read_b32 v26, v116 offset:1056
	ds_read_b32 v27, v120 offset:1056
	ds_read_b32 v28, v124 offset:1056
	ds_read_b32 v116, v128 offset:1056
	ds_read_b32 v22, v132 offset:1056
	ds_read_b32 v21, v135 offset:1056
	ds_read_b32 v108, v44 offset:1056
	v_mov_b32_e32 v23, 0x800
	s_and_saveexec_b32 s21, s12
; %bb.279:                              ;   in Loop: Header=BB1974_236 Depth=2
	ds_read_b32 v23, v44 offset:1092
; %bb.280:                              ;   in Loop: Header=BB1974_236 Depth=2
	s_or_b32 exec_lo, exec_lo, s21
	s_waitcnt lgkmcnt(0)
	s_barrier
	buffer_gl0_inv
	s_and_saveexec_b32 s21, s8
	s_cbranch_execz .LBB1974_282
; %bb.281:                              ;   in Loop: Header=BB1974_236 Depth=2
	ds_read_b32 v112, v29
	s_waitcnt lgkmcnt(0)
	v_sub_nc_u32_e32 v108, v112, v108
	ds_write_b32 v29, v108
.LBB1974_282:                           ;   in Loop: Header=BB1974_236 Depth=2
	s_or_b32 exec_lo, exec_lo, s21
	v_add_nc_u32_e32 v112, v24, v106
	v_add3_u32 v108, v110, v109, v25
	v_add3_u32 v106, v115, v113, v26
	;; [unrolled: 1-line block ×4, first 2 shown]
	v_lshlrev_b32_e32 v109, 1, v112
	v_lshlrev_b32_e32 v110, 1, v108
	v_add3_u32 v27, v131, v129, v22
	v_lshlrev_b32_e32 v22, 1, v106
	v_add3_u32 v28, v134, v133, v21
	ds_write_b16 v109, v3 offset:1024
	ds_write_b16 v110, v107 offset:1024
	v_lshlrev_b32_e32 v3, 1, v26
	v_add3_u32 v24, v127, v125, v116
	ds_write_b16 v22, v111 offset:1024
	v_lshlrev_b32_e32 v21, 1, v25
	v_cmp_lt_u32_e32 vcc_lo, v0, v105
	ds_write_b16 v3, v114 offset:1024
	v_lshlrev_b32_e32 v3, 1, v28
	v_lshlrev_b32_e32 v22, 1, v24
	v_lshlrev_b32_e32 v107, 1, v27
	ds_write_b16 v21, v118 offset:1024
	ds_write_b16 v22, v122 offset:1024
	;; [unrolled: 1-line block ×4, first 2 shown]
	s_waitcnt lgkmcnt(0)
	s_barrier
	buffer_gl0_inv
	s_and_saveexec_b32 s22, vcc_lo
	s_cbranch_execnz .LBB1974_319
; %bb.283:                              ;   in Loop: Header=BB1974_236 Depth=2
	s_or_b32 exec_lo, exec_lo, s22
	v_cmp_lt_u32_e64 s21, v30, v105
	s_and_saveexec_b32 s23, s21
	s_cbranch_execnz .LBB1974_320
.LBB1974_284:                           ;   in Loop: Header=BB1974_236 Depth=2
	s_or_b32 exec_lo, exec_lo, s23
	v_cmp_lt_u32_e64 s22, v31, v105
	s_and_saveexec_b32 s24, s22
	s_cbranch_execnz .LBB1974_321
.LBB1974_285:                           ;   in Loop: Header=BB1974_236 Depth=2
	s_or_b32 exec_lo, exec_lo, s24
	v_cmp_lt_u32_e64 s23, v32, v105
	s_and_saveexec_b32 s25, s23
	s_cbranch_execnz .LBB1974_322
.LBB1974_286:                           ;   in Loop: Header=BB1974_236 Depth=2
	s_or_b32 exec_lo, exec_lo, s25
	v_cmp_lt_u32_e64 s24, v35, v105
	s_and_saveexec_b32 s26, s24
	s_cbranch_execnz .LBB1974_323
.LBB1974_287:                           ;   in Loop: Header=BB1974_236 Depth=2
	s_or_b32 exec_lo, exec_lo, s26
	v_cmp_lt_u32_e64 s25, v36, v105
	s_and_saveexec_b32 s27, s25
	s_cbranch_execnz .LBB1974_324
.LBB1974_288:                           ;   in Loop: Header=BB1974_236 Depth=2
	s_or_b32 exec_lo, exec_lo, s27
	v_cmp_lt_u32_e64 s26, v37, v105
	s_and_saveexec_b32 s28, s26
	s_cbranch_execnz .LBB1974_325
.LBB1974_289:                           ;   in Loop: Header=BB1974_236 Depth=2
	s_or_b32 exec_lo, exec_lo, s28
	v_cmp_lt_u32_e64 s27, v38, v105
	s_and_saveexec_b32 s54, s27
	s_cbranch_execz .LBB1974_291
.LBB1974_290:                           ;   in Loop: Header=BB1974_236 Depth=2
	ds_read_u16 v107, v47 offset:4608
	s_waitcnt lgkmcnt(0)
	v_cmp_ne_u16_e64 s28, 0x8000, v107
	v_cndmask_b32_e64 v3, 0x7fff, v107, s28
	v_cmp_gt_i16_e64 s28, 0, v107
	v_lshrrev_b32_sdwa v3, s29, v3 dst_sel:DWORD dst_unused:UNUSED_PAD src0_sel:DWORD src1_sel:WORD_0
	v_cndmask_b32_e64 v109, 0x7fff, 0, s28
	v_and_b32_e32 v3, s42, v3
	v_lshlrev_b32_e32 v3, 2, v3
	ds_read_b32 v3, v3
	s_waitcnt lgkmcnt(0)
	v_add_nc_u32_e32 v3, v3, v38
	v_lshlrev_b64 v[21:22], 1, v[3:4]
	v_xor_b32_e32 v3, v109, v107
	v_add_co_u32 v21, s28, s40, v21
	v_add_co_ci_u32_e64 v22, null, s41, v22, s28
	global_store_short v[21:22], v3, off
.LBB1974_291:                           ;   in Loop: Header=BB1974_236 Depth=2
	s_or_b32 exec_lo, exec_lo, s54
	s_lshl_b64 s[54:55], s[34:35], 3
	v_add_co_u32 v21, s28, v92, s54
	v_add_co_ci_u32_e64 v22, null, s55, v93, s28
	v_cmp_lt_u32_e64 s28, v66, v105
	s_and_saveexec_b32 s34, s28
	s_xor_b32 s28, exec_lo, s34
	s_cbranch_execnz .LBB1974_326
; %bb.292:                              ;   in Loop: Header=BB1974_236 Depth=2
	s_or_b32 exec_lo, exec_lo, s28
	s_mov_b32 s34, exec_lo
	v_cmpx_lt_u32_e64 v70, v105
	s_cbranch_execnz .LBB1974_327
.LBB1974_293:                           ;   in Loop: Header=BB1974_236 Depth=2
	s_or_b32 exec_lo, exec_lo, s34
	s_mov_b32 s34, exec_lo
	v_cmpx_lt_u32_e64 v71, v105
	s_cbranch_execnz .LBB1974_328
.LBB1974_294:                           ;   in Loop: Header=BB1974_236 Depth=2
	s_or_b32 exec_lo, exec_lo, s34
	s_mov_b32 s34, exec_lo
	v_cmpx_lt_u32_e64 v72, v105
	s_cbranch_execnz .LBB1974_329
.LBB1974_295:                           ;   in Loop: Header=BB1974_236 Depth=2
	s_or_b32 exec_lo, exec_lo, s34
	s_mov_b32 s34, exec_lo
	v_cmpx_lt_u32_e64 v73, v105
	s_cbranch_execnz .LBB1974_330
.LBB1974_296:                           ;   in Loop: Header=BB1974_236 Depth=2
	s_or_b32 exec_lo, exec_lo, s34
	s_mov_b32 s34, exec_lo
	v_cmpx_lt_u32_e64 v74, v105
	s_cbranch_execnz .LBB1974_331
.LBB1974_297:                           ;   in Loop: Header=BB1974_236 Depth=2
	s_or_b32 exec_lo, exec_lo, s34
	s_mov_b32 s34, exec_lo
	v_cmpx_lt_u32_e64 v75, v105
	s_cbranch_execnz .LBB1974_332
.LBB1974_298:                           ;   in Loop: Header=BB1974_236 Depth=2
	s_or_b32 exec_lo, exec_lo, s34
	s_mov_b32 s34, exec_lo
	v_cmpx_lt_u32_e64 v76, v105
	s_cbranch_execnz .LBB1974_333
.LBB1974_299:                           ;   in Loop: Header=BB1974_236 Depth=2
	s_or_b32 exec_lo, exec_lo, s34
	s_and_saveexec_b32 s34, vcc_lo
	s_cbranch_execnz .LBB1974_334
.LBB1974_300:                           ;   in Loop: Header=BB1974_236 Depth=2
	s_or_b32 exec_lo, exec_lo, s34
	s_and_saveexec_b32 s34, s21
	s_cbranch_execnz .LBB1974_335
.LBB1974_301:                           ;   in Loop: Header=BB1974_236 Depth=2
	s_or_b32 exec_lo, exec_lo, s34
	s_and_saveexec_b32 s34, s22
	s_cbranch_execnz .LBB1974_336
.LBB1974_302:                           ;   in Loop: Header=BB1974_236 Depth=2
	s_or_b32 exec_lo, exec_lo, s34
	s_and_saveexec_b32 s34, s23
	s_cbranch_execnz .LBB1974_337
.LBB1974_303:                           ;   in Loop: Header=BB1974_236 Depth=2
	s_or_b32 exec_lo, exec_lo, s34
	s_and_saveexec_b32 s34, s24
	s_cbranch_execnz .LBB1974_338
.LBB1974_304:                           ;   in Loop: Header=BB1974_236 Depth=2
	s_or_b32 exec_lo, exec_lo, s34
	s_and_saveexec_b32 s34, s25
	s_cbranch_execnz .LBB1974_339
.LBB1974_305:                           ;   in Loop: Header=BB1974_236 Depth=2
	s_or_b32 exec_lo, exec_lo, s34
	s_and_saveexec_b32 s34, s26
	s_cbranch_execnz .LBB1974_340
.LBB1974_306:                           ;   in Loop: Header=BB1974_236 Depth=2
	s_or_b32 exec_lo, exec_lo, s34
	s_and_saveexec_b32 s34, s27
	s_cbranch_execz .LBB1974_308
.LBB1974_307:                           ;   in Loop: Header=BB1974_236 Depth=2
	ds_read_u16 v3, v47 offset:4608
	s_waitcnt lgkmcnt(0)
	v_cmp_ne_u16_e64 s28, 0x8000, v3
	v_cndmask_b32_e64 v3, 0x7fff, v3, s28
	v_lshrrev_b32_sdwa v3, s29, v3 dst_sel:DWORD dst_unused:UNUSED_PAD src0_sel:DWORD src1_sel:WORD_0
	v_and_b32_e32 v97, s42, v3
.LBB1974_308:                           ;   in Loop: Header=BB1974_236 Depth=2
	s_or_b32 exec_lo, exec_lo, s34
	v_lshlrev_b32_e32 v3, 3, v112
	v_lshlrev_b32_e32 v21, 3, v108
	;; [unrolled: 1-line block ×3, first 2 shown]
	s_waitcnt vmcnt(0)
	s_waitcnt_vscnt null, 0x0
	s_barrier
	buffer_gl0_inv
	ds_write_b64 v3, v[19:20] offset:1024
	ds_write_b64 v21, v[17:18] offset:1024
	;; [unrolled: 1-line block ×3, first 2 shown]
	v_lshlrev_b32_e32 v3, 3, v26
	v_lshlrev_b32_e32 v21, 3, v25
	;; [unrolled: 1-line block ×5, first 2 shown]
	ds_write_b64 v3, v[13:14] offset:1024
	ds_write_b64 v21, v[11:12] offset:1024
	;; [unrolled: 1-line block ×5, first 2 shown]
	s_waitcnt lgkmcnt(0)
	s_barrier
	buffer_gl0_inv
	s_and_saveexec_b32 s28, vcc_lo
	s_cbranch_execnz .LBB1974_341
; %bb.309:                              ;   in Loop: Header=BB1974_236 Depth=2
	s_or_b32 exec_lo, exec_lo, s28
	s_and_saveexec_b32 s28, s21
	s_cbranch_execnz .LBB1974_342
.LBB1974_310:                           ;   in Loop: Header=BB1974_236 Depth=2
	s_or_b32 exec_lo, exec_lo, s28
	s_and_saveexec_b32 s21, s22
	s_cbranch_execnz .LBB1974_343
.LBB1974_311:                           ;   in Loop: Header=BB1974_236 Depth=2
	s_or_b32 exec_lo, exec_lo, s21
	s_and_saveexec_b32 s21, s23
	s_cbranch_execnz .LBB1974_344
.LBB1974_312:                           ;   in Loop: Header=BB1974_236 Depth=2
	s_or_b32 exec_lo, exec_lo, s21
	s_and_saveexec_b32 s21, s24
	s_cbranch_execnz .LBB1974_345
.LBB1974_313:                           ;   in Loop: Header=BB1974_236 Depth=2
	s_or_b32 exec_lo, exec_lo, s21
	s_and_saveexec_b32 s21, s25
	s_cbranch_execnz .LBB1974_346
.LBB1974_314:                           ;   in Loop: Header=BB1974_236 Depth=2
	s_or_b32 exec_lo, exec_lo, s21
	s_and_saveexec_b32 s21, s26
	s_cbranch_execnz .LBB1974_347
.LBB1974_315:                           ;   in Loop: Header=BB1974_236 Depth=2
	s_or_b32 exec_lo, exec_lo, s21
	s_and_saveexec_b32 s21, s27
	s_cbranch_execz .LBB1974_317
.LBB1974_316:                           ;   in Loop: Header=BB1974_236 Depth=2
	v_lshlrev_b32_e32 v3, 2, v97
	v_add_nc_u32_e32 v21, v47, v48
	ds_read_b32 v3, v3
	ds_read_b64 v[21:22], v21 offset:15360
	s_waitcnt lgkmcnt(1)
	v_add_nc_u32_e32 v3, v3, v38
	v_lshlrev_b64 v[24:25], 3, v[3:4]
	v_add_co_u32 v24, vcc_lo, s46, v24
	v_add_co_ci_u32_e64 v25, null, s47, v25, vcc_lo
	s_waitcnt lgkmcnt(0)
	global_store_dwordx2 v[24:25], v[21:22], off
.LBB1974_317:                           ;   in Loop: Header=BB1974_236 Depth=2
	s_or_b32 exec_lo, exec_lo, s21
	s_waitcnt_vscnt null, 0x0
	s_barrier
	buffer_gl0_inv
	s_and_saveexec_b32 s21, s8
	s_cbranch_execz .LBB1974_235
; %bb.318:                              ;   in Loop: Header=BB1974_236 Depth=2
	ds_read_b32 v3, v29
	s_waitcnt lgkmcnt(0)
	v_add_nc_u32_e32 v3, v3, v23
	ds_write_b32 v29, v3
	s_branch .LBB1974_235
.LBB1974_319:                           ;   in Loop: Header=BB1974_236 Depth=2
	ds_read_u16 v107, v47 offset:1024
	s_waitcnt lgkmcnt(0)
	v_cmp_ne_u16_e64 s21, 0x8000, v107
	v_cndmask_b32_e64 v3, 0x7fff, v107, s21
	v_cmp_gt_i16_e64 s21, 0, v107
	v_lshrrev_b32_sdwa v3, s29, v3 dst_sel:DWORD dst_unused:UNUSED_PAD src0_sel:DWORD src1_sel:WORD_0
	v_cndmask_b32_e64 v109, 0x7fff, 0, s21
	v_and_b32_e32 v3, s42, v3
	v_lshlrev_b32_e32 v3, 2, v3
	ds_read_b32 v3, v3
	s_waitcnt lgkmcnt(0)
	v_add_nc_u32_e32 v3, v3, v0
	v_lshlrev_b64 v[21:22], 1, v[3:4]
	v_xor_b32_e32 v3, v109, v107
	v_add_co_u32 v21, s21, s40, v21
	v_add_co_ci_u32_e64 v22, null, s41, v22, s21
	global_store_short v[21:22], v3, off
	s_or_b32 exec_lo, exec_lo, s22
	v_cmp_lt_u32_e64 s21, v30, v105
	s_and_saveexec_b32 s23, s21
	s_cbranch_execz .LBB1974_284
.LBB1974_320:                           ;   in Loop: Header=BB1974_236 Depth=2
	ds_read_u16 v107, v47 offset:1536
	s_waitcnt lgkmcnt(0)
	v_cmp_ne_u16_e64 s22, 0x8000, v107
	v_cndmask_b32_e64 v3, 0x7fff, v107, s22
	v_cmp_gt_i16_e64 s22, 0, v107
	v_lshrrev_b32_sdwa v3, s29, v3 dst_sel:DWORD dst_unused:UNUSED_PAD src0_sel:DWORD src1_sel:WORD_0
	v_cndmask_b32_e64 v109, 0x7fff, 0, s22
	v_and_b32_e32 v3, s42, v3
	v_lshlrev_b32_e32 v3, 2, v3
	ds_read_b32 v3, v3
	s_waitcnt lgkmcnt(0)
	v_add_nc_u32_e32 v3, v3, v30
	v_lshlrev_b64 v[21:22], 1, v[3:4]
	v_xor_b32_e32 v3, v109, v107
	v_add_co_u32 v21, s22, s40, v21
	v_add_co_ci_u32_e64 v22, null, s41, v22, s22
	global_store_short v[21:22], v3, off
	s_or_b32 exec_lo, exec_lo, s23
	v_cmp_lt_u32_e64 s22, v31, v105
	s_and_saveexec_b32 s24, s22
	s_cbranch_execz .LBB1974_285
.LBB1974_321:                           ;   in Loop: Header=BB1974_236 Depth=2
	ds_read_u16 v107, v47 offset:2048
	s_waitcnt lgkmcnt(0)
	v_cmp_ne_u16_e64 s23, 0x8000, v107
	v_cndmask_b32_e64 v3, 0x7fff, v107, s23
	v_cmp_gt_i16_e64 s23, 0, v107
	v_lshrrev_b32_sdwa v3, s29, v3 dst_sel:DWORD dst_unused:UNUSED_PAD src0_sel:DWORD src1_sel:WORD_0
	v_cndmask_b32_e64 v109, 0x7fff, 0, s23
	v_and_b32_e32 v3, s42, v3
	v_lshlrev_b32_e32 v3, 2, v3
	ds_read_b32 v3, v3
	s_waitcnt lgkmcnt(0)
	v_add_nc_u32_e32 v3, v3, v31
	v_lshlrev_b64 v[21:22], 1, v[3:4]
	v_xor_b32_e32 v3, v109, v107
	v_add_co_u32 v21, s23, s40, v21
	v_add_co_ci_u32_e64 v22, null, s41, v22, s23
	global_store_short v[21:22], v3, off
	s_or_b32 exec_lo, exec_lo, s24
	v_cmp_lt_u32_e64 s23, v32, v105
	s_and_saveexec_b32 s25, s23
	s_cbranch_execz .LBB1974_286
.LBB1974_322:                           ;   in Loop: Header=BB1974_236 Depth=2
	ds_read_u16 v107, v47 offset:2560
	s_waitcnt lgkmcnt(0)
	v_cmp_ne_u16_e64 s24, 0x8000, v107
	v_cndmask_b32_e64 v3, 0x7fff, v107, s24
	v_cmp_gt_i16_e64 s24, 0, v107
	v_lshrrev_b32_sdwa v3, s29, v3 dst_sel:DWORD dst_unused:UNUSED_PAD src0_sel:DWORD src1_sel:WORD_0
	v_cndmask_b32_e64 v109, 0x7fff, 0, s24
	v_and_b32_e32 v3, s42, v3
	v_lshlrev_b32_e32 v3, 2, v3
	ds_read_b32 v3, v3
	s_waitcnt lgkmcnt(0)
	v_add_nc_u32_e32 v3, v3, v32
	v_lshlrev_b64 v[21:22], 1, v[3:4]
	v_xor_b32_e32 v3, v109, v107
	v_add_co_u32 v21, s24, s40, v21
	v_add_co_ci_u32_e64 v22, null, s41, v22, s24
	global_store_short v[21:22], v3, off
	s_or_b32 exec_lo, exec_lo, s25
	v_cmp_lt_u32_e64 s24, v35, v105
	s_and_saveexec_b32 s26, s24
	s_cbranch_execz .LBB1974_287
.LBB1974_323:                           ;   in Loop: Header=BB1974_236 Depth=2
	ds_read_u16 v107, v47 offset:3072
	s_waitcnt lgkmcnt(0)
	v_cmp_ne_u16_e64 s25, 0x8000, v107
	v_cndmask_b32_e64 v3, 0x7fff, v107, s25
	v_cmp_gt_i16_e64 s25, 0, v107
	v_lshrrev_b32_sdwa v3, s29, v3 dst_sel:DWORD dst_unused:UNUSED_PAD src0_sel:DWORD src1_sel:WORD_0
	v_cndmask_b32_e64 v109, 0x7fff, 0, s25
	v_and_b32_e32 v3, s42, v3
	v_lshlrev_b32_e32 v3, 2, v3
	ds_read_b32 v3, v3
	s_waitcnt lgkmcnt(0)
	v_add_nc_u32_e32 v3, v3, v35
	v_lshlrev_b64 v[21:22], 1, v[3:4]
	v_xor_b32_e32 v3, v109, v107
	v_add_co_u32 v21, s25, s40, v21
	v_add_co_ci_u32_e64 v22, null, s41, v22, s25
	global_store_short v[21:22], v3, off
	s_or_b32 exec_lo, exec_lo, s26
	v_cmp_lt_u32_e64 s25, v36, v105
	s_and_saveexec_b32 s27, s25
	s_cbranch_execz .LBB1974_288
.LBB1974_324:                           ;   in Loop: Header=BB1974_236 Depth=2
	ds_read_u16 v107, v47 offset:3584
	s_waitcnt lgkmcnt(0)
	v_cmp_ne_u16_e64 s26, 0x8000, v107
	v_cndmask_b32_e64 v3, 0x7fff, v107, s26
	v_cmp_gt_i16_e64 s26, 0, v107
	v_lshrrev_b32_sdwa v3, s29, v3 dst_sel:DWORD dst_unused:UNUSED_PAD src0_sel:DWORD src1_sel:WORD_0
	v_cndmask_b32_e64 v109, 0x7fff, 0, s26
	v_and_b32_e32 v3, s42, v3
	v_lshlrev_b32_e32 v3, 2, v3
	ds_read_b32 v3, v3
	s_waitcnt lgkmcnt(0)
	v_add_nc_u32_e32 v3, v3, v36
	v_lshlrev_b64 v[21:22], 1, v[3:4]
	v_xor_b32_e32 v3, v109, v107
	v_add_co_u32 v21, s26, s40, v21
	v_add_co_ci_u32_e64 v22, null, s41, v22, s26
	global_store_short v[21:22], v3, off
	s_or_b32 exec_lo, exec_lo, s27
	v_cmp_lt_u32_e64 s26, v37, v105
	s_and_saveexec_b32 s28, s26
	s_cbranch_execz .LBB1974_289
.LBB1974_325:                           ;   in Loop: Header=BB1974_236 Depth=2
	ds_read_u16 v107, v47 offset:4096
	s_waitcnt lgkmcnt(0)
	v_cmp_ne_u16_e64 s27, 0x8000, v107
	v_cndmask_b32_e64 v3, 0x7fff, v107, s27
	v_cmp_gt_i16_e64 s27, 0, v107
	v_lshrrev_b32_sdwa v3, s29, v3 dst_sel:DWORD dst_unused:UNUSED_PAD src0_sel:DWORD src1_sel:WORD_0
	v_cndmask_b32_e64 v109, 0x7fff, 0, s27
	v_and_b32_e32 v3, s42, v3
	v_lshlrev_b32_e32 v3, 2, v3
	ds_read_b32 v3, v3
	s_waitcnt lgkmcnt(0)
	v_add_nc_u32_e32 v3, v3, v37
	v_lshlrev_b64 v[21:22], 1, v[3:4]
	v_xor_b32_e32 v3, v109, v107
	v_add_co_u32 v21, s27, s40, v21
	v_add_co_ci_u32_e64 v22, null, s41, v22, s27
	global_store_short v[21:22], v3, off
	s_or_b32 exec_lo, exec_lo, s28
	v_cmp_lt_u32_e64 s27, v38, v105
	s_and_saveexec_b32 s54, s27
	s_cbranch_execnz .LBB1974_290
	s_branch .LBB1974_291
.LBB1974_326:                           ;   in Loop: Header=BB1974_236 Depth=2
	global_load_dwordx2 v[19:20], v[21:22], off
	s_or_b32 exec_lo, exec_lo, s28
	s_mov_b32 s34, exec_lo
	v_cmpx_lt_u32_e64 v70, v105
	s_cbranch_execz .LBB1974_293
.LBB1974_327:                           ;   in Loop: Header=BB1974_236 Depth=2
	global_load_dwordx2 v[17:18], v[21:22], off offset:256
	s_or_b32 exec_lo, exec_lo, s34
	s_mov_b32 s34, exec_lo
	v_cmpx_lt_u32_e64 v71, v105
	s_cbranch_execz .LBB1974_294
.LBB1974_328:                           ;   in Loop: Header=BB1974_236 Depth=2
	global_load_dwordx2 v[15:16], v[21:22], off offset:512
	s_or_b32 exec_lo, exec_lo, s34
	s_mov_b32 s34, exec_lo
	v_cmpx_lt_u32_e64 v72, v105
	s_cbranch_execz .LBB1974_295
.LBB1974_329:                           ;   in Loop: Header=BB1974_236 Depth=2
	global_load_dwordx2 v[13:14], v[21:22], off offset:768
	s_or_b32 exec_lo, exec_lo, s34
	s_mov_b32 s34, exec_lo
	v_cmpx_lt_u32_e64 v73, v105
	s_cbranch_execz .LBB1974_296
.LBB1974_330:                           ;   in Loop: Header=BB1974_236 Depth=2
	global_load_dwordx2 v[11:12], v[21:22], off offset:1024
	s_or_b32 exec_lo, exec_lo, s34
	s_mov_b32 s34, exec_lo
	v_cmpx_lt_u32_e64 v74, v105
	s_cbranch_execz .LBB1974_297
.LBB1974_331:                           ;   in Loop: Header=BB1974_236 Depth=2
	global_load_dwordx2 v[9:10], v[21:22], off offset:1280
	s_or_b32 exec_lo, exec_lo, s34
	s_mov_b32 s34, exec_lo
	v_cmpx_lt_u32_e64 v75, v105
	s_cbranch_execz .LBB1974_298
.LBB1974_332:                           ;   in Loop: Header=BB1974_236 Depth=2
	global_load_dwordx2 v[7:8], v[21:22], off offset:1536
	s_or_b32 exec_lo, exec_lo, s34
	s_mov_b32 s34, exec_lo
	v_cmpx_lt_u32_e64 v76, v105
	s_cbranch_execz .LBB1974_299
.LBB1974_333:                           ;   in Loop: Header=BB1974_236 Depth=2
	global_load_dwordx2 v[5:6], v[21:22], off offset:1792
	s_or_b32 exec_lo, exec_lo, s34
	s_and_saveexec_b32 s34, vcc_lo
	s_cbranch_execz .LBB1974_300
.LBB1974_334:                           ;   in Loop: Header=BB1974_236 Depth=2
	ds_read_u16 v3, v47 offset:1024
	s_waitcnt lgkmcnt(0)
	v_cmp_ne_u16_e64 s28, 0x8000, v3
	v_cndmask_b32_e64 v3, 0x7fff, v3, s28
	v_lshrrev_b32_sdwa v3, s29, v3 dst_sel:DWORD dst_unused:UNUSED_PAD src0_sel:DWORD src1_sel:WORD_0
	v_and_b32_e32 v104, s42, v3
	s_or_b32 exec_lo, exec_lo, s34
	s_and_saveexec_b32 s34, s21
	s_cbranch_execz .LBB1974_301
.LBB1974_335:                           ;   in Loop: Header=BB1974_236 Depth=2
	ds_read_u16 v3, v47 offset:1536
	s_waitcnt lgkmcnt(0)
	v_cmp_ne_u16_e64 s28, 0x8000, v3
	v_cndmask_b32_e64 v3, 0x7fff, v3, s28
	v_lshrrev_b32_sdwa v3, s29, v3 dst_sel:DWORD dst_unused:UNUSED_PAD src0_sel:DWORD src1_sel:WORD_0
	v_and_b32_e32 v103, s42, v3
	s_or_b32 exec_lo, exec_lo, s34
	s_and_saveexec_b32 s34, s22
	s_cbranch_execz .LBB1974_302
.LBB1974_336:                           ;   in Loop: Header=BB1974_236 Depth=2
	ds_read_u16 v3, v47 offset:2048
	s_waitcnt lgkmcnt(0)
	v_cmp_ne_u16_e64 s28, 0x8000, v3
	v_cndmask_b32_e64 v3, 0x7fff, v3, s28
	v_lshrrev_b32_sdwa v3, s29, v3 dst_sel:DWORD dst_unused:UNUSED_PAD src0_sel:DWORD src1_sel:WORD_0
	v_and_b32_e32 v102, s42, v3
	s_or_b32 exec_lo, exec_lo, s34
	s_and_saveexec_b32 s34, s23
	s_cbranch_execz .LBB1974_303
.LBB1974_337:                           ;   in Loop: Header=BB1974_236 Depth=2
	ds_read_u16 v3, v47 offset:2560
	s_waitcnt lgkmcnt(0)
	v_cmp_ne_u16_e64 s28, 0x8000, v3
	v_cndmask_b32_e64 v3, 0x7fff, v3, s28
	v_lshrrev_b32_sdwa v3, s29, v3 dst_sel:DWORD dst_unused:UNUSED_PAD src0_sel:DWORD src1_sel:WORD_0
	v_and_b32_e32 v101, s42, v3
	s_or_b32 exec_lo, exec_lo, s34
	s_and_saveexec_b32 s34, s24
	s_cbranch_execz .LBB1974_304
.LBB1974_338:                           ;   in Loop: Header=BB1974_236 Depth=2
	ds_read_u16 v3, v47 offset:3072
	s_waitcnt lgkmcnt(0)
	v_cmp_ne_u16_e64 s28, 0x8000, v3
	v_cndmask_b32_e64 v3, 0x7fff, v3, s28
	v_lshrrev_b32_sdwa v3, s29, v3 dst_sel:DWORD dst_unused:UNUSED_PAD src0_sel:DWORD src1_sel:WORD_0
	v_and_b32_e32 v100, s42, v3
	s_or_b32 exec_lo, exec_lo, s34
	s_and_saveexec_b32 s34, s25
	s_cbranch_execz .LBB1974_305
.LBB1974_339:                           ;   in Loop: Header=BB1974_236 Depth=2
	ds_read_u16 v3, v47 offset:3584
	s_waitcnt lgkmcnt(0)
	v_cmp_ne_u16_e64 s28, 0x8000, v3
	v_cndmask_b32_e64 v3, 0x7fff, v3, s28
	v_lshrrev_b32_sdwa v3, s29, v3 dst_sel:DWORD dst_unused:UNUSED_PAD src0_sel:DWORD src1_sel:WORD_0
	v_and_b32_e32 v99, s42, v3
	s_or_b32 exec_lo, exec_lo, s34
	s_and_saveexec_b32 s34, s26
	s_cbranch_execz .LBB1974_306
.LBB1974_340:                           ;   in Loop: Header=BB1974_236 Depth=2
	ds_read_u16 v3, v47 offset:4096
	s_waitcnt lgkmcnt(0)
	v_cmp_ne_u16_e64 s28, 0x8000, v3
	v_cndmask_b32_e64 v3, 0x7fff, v3, s28
	v_lshrrev_b32_sdwa v3, s29, v3 dst_sel:DWORD dst_unused:UNUSED_PAD src0_sel:DWORD src1_sel:WORD_0
	v_and_b32_e32 v98, s42, v3
	s_or_b32 exec_lo, exec_lo, s34
	s_and_saveexec_b32 s34, s27
	s_cbranch_execnz .LBB1974_307
	s_branch .LBB1974_308
.LBB1974_341:                           ;   in Loop: Header=BB1974_236 Depth=2
	v_lshlrev_b32_e32 v3, 2, v104
	v_add_nc_u32_e32 v21, v47, v48
	ds_read_b32 v3, v3
	ds_read_b64 v[21:22], v21 offset:1024
	s_waitcnt lgkmcnt(1)
	v_add_nc_u32_e32 v3, v3, v0
	v_lshlrev_b64 v[24:25], 3, v[3:4]
	v_add_co_u32 v24, vcc_lo, s46, v24
	v_add_co_ci_u32_e64 v25, null, s47, v25, vcc_lo
	s_waitcnt lgkmcnt(0)
	global_store_dwordx2 v[24:25], v[21:22], off
	s_or_b32 exec_lo, exec_lo, s28
	s_and_saveexec_b32 s28, s21
	s_cbranch_execz .LBB1974_310
.LBB1974_342:                           ;   in Loop: Header=BB1974_236 Depth=2
	v_lshlrev_b32_e32 v3, 2, v103
	v_add_nc_u32_e32 v21, v47, v48
	ds_read_b32 v3, v3
	ds_read_b64 v[21:22], v21 offset:3072
	s_waitcnt lgkmcnt(1)
	v_add_nc_u32_e32 v3, v3, v30
	v_lshlrev_b64 v[24:25], 3, v[3:4]
	v_add_co_u32 v24, vcc_lo, s46, v24
	v_add_co_ci_u32_e64 v25, null, s47, v25, vcc_lo
	s_waitcnt lgkmcnt(0)
	global_store_dwordx2 v[24:25], v[21:22], off
	s_or_b32 exec_lo, exec_lo, s28
	s_and_saveexec_b32 s21, s22
	s_cbranch_execz .LBB1974_311
.LBB1974_343:                           ;   in Loop: Header=BB1974_236 Depth=2
	v_lshlrev_b32_e32 v3, 2, v102
	v_add_nc_u32_e32 v21, v47, v48
	ds_read_b32 v3, v3
	ds_read_b64 v[21:22], v21 offset:5120
	s_waitcnt lgkmcnt(1)
	v_add_nc_u32_e32 v3, v3, v31
	v_lshlrev_b64 v[24:25], 3, v[3:4]
	v_add_co_u32 v24, vcc_lo, s46, v24
	v_add_co_ci_u32_e64 v25, null, s47, v25, vcc_lo
	s_waitcnt lgkmcnt(0)
	global_store_dwordx2 v[24:25], v[21:22], off
	s_or_b32 exec_lo, exec_lo, s21
	s_and_saveexec_b32 s21, s23
	s_cbranch_execz .LBB1974_312
.LBB1974_344:                           ;   in Loop: Header=BB1974_236 Depth=2
	v_lshlrev_b32_e32 v3, 2, v101
	v_add_nc_u32_e32 v21, v47, v48
	ds_read_b32 v3, v3
	ds_read_b64 v[21:22], v21 offset:7168
	s_waitcnt lgkmcnt(1)
	v_add_nc_u32_e32 v3, v3, v32
	v_lshlrev_b64 v[24:25], 3, v[3:4]
	v_add_co_u32 v24, vcc_lo, s46, v24
	v_add_co_ci_u32_e64 v25, null, s47, v25, vcc_lo
	s_waitcnt lgkmcnt(0)
	global_store_dwordx2 v[24:25], v[21:22], off
	s_or_b32 exec_lo, exec_lo, s21
	s_and_saveexec_b32 s21, s24
	s_cbranch_execz .LBB1974_313
.LBB1974_345:                           ;   in Loop: Header=BB1974_236 Depth=2
	v_lshlrev_b32_e32 v3, 2, v100
	v_add_nc_u32_e32 v21, v47, v48
	ds_read_b32 v3, v3
	ds_read_b64 v[21:22], v21 offset:9216
	s_waitcnt lgkmcnt(1)
	v_add_nc_u32_e32 v3, v3, v35
	v_lshlrev_b64 v[24:25], 3, v[3:4]
	v_add_co_u32 v24, vcc_lo, s46, v24
	v_add_co_ci_u32_e64 v25, null, s47, v25, vcc_lo
	s_waitcnt lgkmcnt(0)
	global_store_dwordx2 v[24:25], v[21:22], off
	s_or_b32 exec_lo, exec_lo, s21
	s_and_saveexec_b32 s21, s25
	s_cbranch_execz .LBB1974_314
.LBB1974_346:                           ;   in Loop: Header=BB1974_236 Depth=2
	v_lshlrev_b32_e32 v3, 2, v99
	v_add_nc_u32_e32 v21, v47, v48
	ds_read_b32 v3, v3
	ds_read_b64 v[21:22], v21 offset:11264
	s_waitcnt lgkmcnt(1)
	v_add_nc_u32_e32 v3, v3, v36
	v_lshlrev_b64 v[24:25], 3, v[3:4]
	v_add_co_u32 v24, vcc_lo, s46, v24
	v_add_co_ci_u32_e64 v25, null, s47, v25, vcc_lo
	s_waitcnt lgkmcnt(0)
	global_store_dwordx2 v[24:25], v[21:22], off
	s_or_b32 exec_lo, exec_lo, s21
	s_and_saveexec_b32 s21, s26
	s_cbranch_execz .LBB1974_315
.LBB1974_347:                           ;   in Loop: Header=BB1974_236 Depth=2
	v_lshlrev_b32_e32 v3, 2, v98
	v_add_nc_u32_e32 v21, v47, v48
	ds_read_b32 v3, v3
	ds_read_b64 v[21:22], v21 offset:13312
	s_waitcnt lgkmcnt(1)
	v_add_nc_u32_e32 v3, v3, v37
	v_lshlrev_b64 v[24:25], 3, v[3:4]
	v_add_co_u32 v24, vcc_lo, s46, v24
	v_add_co_ci_u32_e64 v25, null, s47, v25, vcc_lo
	s_waitcnt lgkmcnt(0)
	global_store_dwordx2 v[24:25], v[21:22], off
	s_or_b32 exec_lo, exec_lo, s21
	s_and_saveexec_b32 s21, s27
	s_cbranch_execnz .LBB1974_316
	s_branch .LBB1974_317
.LBB1974_348:                           ;   in Loop: Header=BB1974_20 Depth=1
	s_waitcnt lgkmcnt(0)
	s_barrier
.LBB1974_349:                           ;   in Loop: Header=BB1974_20 Depth=1
	s_mov_b32 s5, 0
.LBB1974_350:                           ;   in Loop: Header=BB1974_20 Depth=1
	s_andn2_b32 vcc_lo, exec_lo, s5
	s_cbranch_vccnz .LBB1974_19
; %bb.351:                              ;   in Loop: Header=BB1974_20 Depth=1
	s_and_b32 vcc_lo, exec_lo, s51
	s_mov_b32 s5, -1
	s_cbranch_vccz .LBB1974_515
; %bb.352:                              ;   in Loop: Header=BB1974_20 Depth=1
	s_mov_b32 s5, s53
	s_mov_b32 s34, s33
	s_barrier
	buffer_gl0_inv
                                        ; implicit-def: $vgpr3
                                        ; implicit-def: $vgpr5
                                        ; implicit-def: $vgpr6
                                        ; implicit-def: $vgpr7
                                        ; implicit-def: $vgpr8
                                        ; implicit-def: $vgpr9
                                        ; implicit-def: $vgpr10
                                        ; implicit-def: $vgpr11
	s_branch .LBB1974_354
.LBB1974_353:                           ;   in Loop: Header=BB1974_354 Depth=2
	s_or_b32 exec_lo, exec_lo, s14
	s_addk_i32 s5, 0xf800
	s_cmp_ge_u32 s16, s52
	s_mov_b32 s34, s16
	s_cbranch_scc1 .LBB1974_390
.LBB1974_354:                           ;   Parent Loop BB1974_20 Depth=1
                                        ; =>  This Inner Loop Header: Depth=2
	s_add_i32 s16, s34, 0x800
	s_mov_b32 s14, -1
	s_cmp_gt_u32 s16, s52
                                        ; implicit-def: $vgpr12
                                        ; implicit-def: $vgpr13
                                        ; implicit-def: $vgpr14
                                        ; implicit-def: $vgpr15
                                        ; implicit-def: $vgpr16
                                        ; implicit-def: $vgpr17
                                        ; implicit-def: $vgpr18
                                        ; implicit-def: $vgpr19
	s_cbranch_scc1 .LBB1974_356
; %bb.355:                              ;   in Loop: Header=BB1974_354 Depth=2
	s_lshl_b64 s[14:15], s[34:35], 1
	v_add_co_u32 v15, vcc_lo, v55, s14
	v_add_co_ci_u32_e64 v16, null, s15, v56, vcc_lo
	s_mov_b32 s14, 0
	v_add_co_u32 v19, vcc_lo, 0x800, v15
	v_add_co_ci_u32_e64 v20, null, 0, v16, vcc_lo
	s_clause 0x7
	global_load_ushort v12, v[15:16], off
	global_load_ushort v13, v[15:16], off offset:512
	global_load_ushort v14, v[15:16], off offset:1024
	;; [unrolled: 1-line block ×3, first 2 shown]
	global_load_ushort v16, v[19:20], off
	global_load_ushort v17, v[19:20], off offset:512
	global_load_ushort v18, v[19:20], off offset:1024
	;; [unrolled: 1-line block ×3, first 2 shown]
.LBB1974_356:                           ;   in Loop: Header=BB1974_354 Depth=2
	s_andn2_b32 vcc_lo, exec_lo, s14
	s_movk_i32 s14, 0x800
	s_cbranch_vccnz .LBB1974_367
; %bb.357:                              ;   in Loop: Header=BB1974_354 Depth=2
	s_lshl_b64 s[14:15], s[34:35], 1
	s_mov_b32 s17, exec_lo
	s_add_u32 s14, s36, s14
	s_addc_u32 s15, s37, s15
	v_cmpx_gt_u32_e64 s5, v0
	s_cbranch_execnz .LBB1974_383
; %bb.358:                              ;   in Loop: Header=BB1974_354 Depth=2
	s_or_b32 exec_lo, exec_lo, s17
	s_mov_b32 s17, exec_lo
	v_cmpx_gt_u32_e64 s5, v30
	s_cbranch_execnz .LBB1974_384
.LBB1974_359:                           ;   in Loop: Header=BB1974_354 Depth=2
	s_or_b32 exec_lo, exec_lo, s17
	s_mov_b32 s17, exec_lo
	v_cmpx_gt_u32_e64 s5, v31
	s_cbranch_execnz .LBB1974_385
.LBB1974_360:                           ;   in Loop: Header=BB1974_354 Depth=2
	s_or_b32 exec_lo, exec_lo, s17
	s_mov_b32 s17, exec_lo
	v_cmpx_gt_u32_e64 s5, v32
	s_cbranch_execnz .LBB1974_386
.LBB1974_361:                           ;   in Loop: Header=BB1974_354 Depth=2
	s_or_b32 exec_lo, exec_lo, s17
	s_mov_b32 s17, exec_lo
	v_cmpx_gt_u32_e64 s5, v35
	s_cbranch_execnz .LBB1974_387
.LBB1974_362:                           ;   in Loop: Header=BB1974_354 Depth=2
	s_or_b32 exec_lo, exec_lo, s17
	s_mov_b32 s17, exec_lo
	v_cmpx_gt_u32_e64 s5, v36
	s_cbranch_execnz .LBB1974_388
.LBB1974_363:                           ;   in Loop: Header=BB1974_354 Depth=2
	s_or_b32 exec_lo, exec_lo, s17
	s_mov_b32 s17, exec_lo
	v_cmpx_gt_u32_e64 s5, v37
	s_cbranch_execnz .LBB1974_389
.LBB1974_364:                           ;   in Loop: Header=BB1974_354 Depth=2
	s_or_b32 exec_lo, exec_lo, s17
	s_mov_b32 s17, exec_lo
	v_cmpx_gt_u32_e64 s5, v38
	s_cbranch_execz .LBB1974_366
.LBB1974_365:                           ;   in Loop: Header=BB1974_354 Depth=2
	global_load_ushort v3, v87, s[14:15]
.LBB1974_366:                           ;   in Loop: Header=BB1974_354 Depth=2
	s_or_b32 exec_lo, exec_lo, s17
	s_waitcnt vmcnt(0)
	v_mov_b32_e32 v12, v11
	v_mov_b32_e32 v13, v10
	;; [unrolled: 1-line block ×8, first 2 shown]
	s_mov_b32 s14, s5
.LBB1974_367:                           ;   in Loop: Header=BB1974_354 Depth=2
	s_waitcnt vmcnt(0)
	v_mov_b32_e32 v3, v19
	v_mov_b32_e32 v5, v18
	;; [unrolled: 1-line block ×8, first 2 shown]
	s_mov_b32 s15, exec_lo
	v_cmpx_gt_u32_e64 s14, v0
	s_cbranch_execnz .LBB1974_375
; %bb.368:                              ;   in Loop: Header=BB1974_354 Depth=2
	s_or_b32 exec_lo, exec_lo, s15
	s_mov_b32 s15, exec_lo
	v_cmpx_gt_u32_e64 s14, v30
	s_cbranch_execnz .LBB1974_376
.LBB1974_369:                           ;   in Loop: Header=BB1974_354 Depth=2
	s_or_b32 exec_lo, exec_lo, s15
	s_mov_b32 s15, exec_lo
	v_cmpx_gt_u32_e64 s14, v31
	s_cbranch_execnz .LBB1974_377
.LBB1974_370:                           ;   in Loop: Header=BB1974_354 Depth=2
	s_or_b32 exec_lo, exec_lo, s15
	s_mov_b32 s15, exec_lo
	v_cmpx_gt_u32_e64 s14, v32
	s_cbranch_execnz .LBB1974_378
.LBB1974_371:                           ;   in Loop: Header=BB1974_354 Depth=2
	s_or_b32 exec_lo, exec_lo, s15
	s_mov_b32 s15, exec_lo
	v_cmpx_gt_u32_e64 s14, v35
	s_cbranch_execnz .LBB1974_379
.LBB1974_372:                           ;   in Loop: Header=BB1974_354 Depth=2
	s_or_b32 exec_lo, exec_lo, s15
	s_mov_b32 s15, exec_lo
	v_cmpx_gt_u32_e64 s14, v36
	s_cbranch_execnz .LBB1974_380
.LBB1974_373:                           ;   in Loop: Header=BB1974_354 Depth=2
	s_or_b32 exec_lo, exec_lo, s15
	s_mov_b32 s15, exec_lo
	v_cmpx_gt_u32_e64 s14, v37
	s_cbranch_execnz .LBB1974_381
.LBB1974_374:                           ;   in Loop: Header=BB1974_354 Depth=2
	s_or_b32 exec_lo, exec_lo, s15
	v_cmp_gt_u32_e32 vcc_lo, s14, v38
	s_and_saveexec_b32 s14, vcc_lo
	s_cbranch_execz .LBB1974_353
	s_branch .LBB1974_382
.LBB1974_375:                           ;   in Loop: Header=BB1974_354 Depth=2
	v_cmp_gt_i16_e32 vcc_lo, 0, v11
	v_cndmask_b32_e64 v12, 0x7fff, 0, vcc_lo
	v_xor_b32_e32 v12, v12, v11
	v_cmp_ne_u16_e32 vcc_lo, 0x8000, v12
	v_cndmask_b32_e32 v12, 0x7fff, v12, vcc_lo
	v_lshrrev_b32_sdwa v12, s49, v12 dst_sel:DWORD dst_unused:UNUSED_PAD src0_sel:DWORD src1_sel:WORD_0
	v_and_b32_e32 v12, s42, v12
	v_lshl_or_b32 v12, v12, 4, v40
	ds_add_u32 v12, v62
	s_or_b32 exec_lo, exec_lo, s15
	s_mov_b32 s15, exec_lo
	v_cmpx_gt_u32_e64 s14, v30
	s_cbranch_execz .LBB1974_369
.LBB1974_376:                           ;   in Loop: Header=BB1974_354 Depth=2
	v_cmp_gt_i16_e32 vcc_lo, 0, v10
	v_cndmask_b32_e64 v12, 0x7fff, 0, vcc_lo
	v_xor_b32_e32 v12, v12, v10
	v_cmp_ne_u16_e32 vcc_lo, 0x8000, v12
	v_cndmask_b32_e32 v12, 0x7fff, v12, vcc_lo
	v_lshrrev_b32_sdwa v12, s49, v12 dst_sel:DWORD dst_unused:UNUSED_PAD src0_sel:DWORD src1_sel:WORD_0
	v_and_b32_e32 v12, s42, v12
	v_lshl_or_b32 v12, v12, 4, v40
	ds_add_u32 v12, v62
	s_or_b32 exec_lo, exec_lo, s15
	s_mov_b32 s15, exec_lo
	v_cmpx_gt_u32_e64 s14, v31
	s_cbranch_execz .LBB1974_370
.LBB1974_377:                           ;   in Loop: Header=BB1974_354 Depth=2
	v_cmp_gt_i16_e32 vcc_lo, 0, v9
	v_cndmask_b32_e64 v12, 0x7fff, 0, vcc_lo
	v_xor_b32_e32 v12, v12, v9
	v_cmp_ne_u16_e32 vcc_lo, 0x8000, v12
	v_cndmask_b32_e32 v12, 0x7fff, v12, vcc_lo
	v_lshrrev_b32_sdwa v12, s49, v12 dst_sel:DWORD dst_unused:UNUSED_PAD src0_sel:DWORD src1_sel:WORD_0
	v_and_b32_e32 v12, s42, v12
	v_lshl_or_b32 v12, v12, 4, v40
	ds_add_u32 v12, v62
	s_or_b32 exec_lo, exec_lo, s15
	s_mov_b32 s15, exec_lo
	v_cmpx_gt_u32_e64 s14, v32
	s_cbranch_execz .LBB1974_371
.LBB1974_378:                           ;   in Loop: Header=BB1974_354 Depth=2
	v_cmp_gt_i16_e32 vcc_lo, 0, v8
	v_cndmask_b32_e64 v12, 0x7fff, 0, vcc_lo
	v_xor_b32_e32 v12, v12, v8
	v_cmp_ne_u16_e32 vcc_lo, 0x8000, v12
	v_cndmask_b32_e32 v12, 0x7fff, v12, vcc_lo
	v_lshrrev_b32_sdwa v12, s49, v12 dst_sel:DWORD dst_unused:UNUSED_PAD src0_sel:DWORD src1_sel:WORD_0
	v_and_b32_e32 v12, s42, v12
	v_lshl_or_b32 v12, v12, 4, v40
	ds_add_u32 v12, v62
	s_or_b32 exec_lo, exec_lo, s15
	s_mov_b32 s15, exec_lo
	v_cmpx_gt_u32_e64 s14, v35
	s_cbranch_execz .LBB1974_372
.LBB1974_379:                           ;   in Loop: Header=BB1974_354 Depth=2
	v_cmp_gt_i16_e32 vcc_lo, 0, v7
	v_cndmask_b32_e64 v12, 0x7fff, 0, vcc_lo
	v_xor_b32_e32 v12, v12, v7
	v_cmp_ne_u16_e32 vcc_lo, 0x8000, v12
	v_cndmask_b32_e32 v12, 0x7fff, v12, vcc_lo
	v_lshrrev_b32_sdwa v12, s49, v12 dst_sel:DWORD dst_unused:UNUSED_PAD src0_sel:DWORD src1_sel:WORD_0
	v_and_b32_e32 v12, s42, v12
	v_lshl_or_b32 v12, v12, 4, v40
	ds_add_u32 v12, v62
	s_or_b32 exec_lo, exec_lo, s15
	s_mov_b32 s15, exec_lo
	v_cmpx_gt_u32_e64 s14, v36
	s_cbranch_execz .LBB1974_373
.LBB1974_380:                           ;   in Loop: Header=BB1974_354 Depth=2
	v_cmp_gt_i16_e32 vcc_lo, 0, v6
	v_cndmask_b32_e64 v12, 0x7fff, 0, vcc_lo
	v_xor_b32_e32 v12, v12, v6
	v_cmp_ne_u16_e32 vcc_lo, 0x8000, v12
	v_cndmask_b32_e32 v12, 0x7fff, v12, vcc_lo
	v_lshrrev_b32_sdwa v12, s49, v12 dst_sel:DWORD dst_unused:UNUSED_PAD src0_sel:DWORD src1_sel:WORD_0
	v_and_b32_e32 v12, s42, v12
	v_lshl_or_b32 v12, v12, 4, v40
	ds_add_u32 v12, v62
	s_or_b32 exec_lo, exec_lo, s15
	s_mov_b32 s15, exec_lo
	v_cmpx_gt_u32_e64 s14, v37
	s_cbranch_execz .LBB1974_374
.LBB1974_381:                           ;   in Loop: Header=BB1974_354 Depth=2
	v_cmp_gt_i16_e32 vcc_lo, 0, v5
	v_cndmask_b32_e64 v12, 0x7fff, 0, vcc_lo
	v_xor_b32_e32 v12, v12, v5
	v_cmp_ne_u16_e32 vcc_lo, 0x8000, v12
	v_cndmask_b32_e32 v12, 0x7fff, v12, vcc_lo
	v_lshrrev_b32_sdwa v12, s49, v12 dst_sel:DWORD dst_unused:UNUSED_PAD src0_sel:DWORD src1_sel:WORD_0
	v_and_b32_e32 v12, s42, v12
	v_lshl_or_b32 v12, v12, 4, v40
	ds_add_u32 v12, v62
	s_or_b32 exec_lo, exec_lo, s15
	v_cmp_gt_u32_e32 vcc_lo, s14, v38
	s_and_saveexec_b32 s14, vcc_lo
	s_cbranch_execz .LBB1974_353
.LBB1974_382:                           ;   in Loop: Header=BB1974_354 Depth=2
	v_cmp_gt_i16_e32 vcc_lo, 0, v3
	v_cndmask_b32_e64 v12, 0x7fff, 0, vcc_lo
	v_xor_b32_e32 v12, v12, v3
	v_cmp_ne_u16_e32 vcc_lo, 0x8000, v12
	v_cndmask_b32_e32 v12, 0x7fff, v12, vcc_lo
	v_lshrrev_b32_sdwa v12, s49, v12 dst_sel:DWORD dst_unused:UNUSED_PAD src0_sel:DWORD src1_sel:WORD_0
	v_and_b32_e32 v12, s42, v12
	v_lshl_or_b32 v12, v12, 4, v40
	ds_add_u32 v12, v62
	s_branch .LBB1974_353
.LBB1974_383:                           ;   in Loop: Header=BB1974_354 Depth=2
	global_load_ushort v11, v79, s[14:15]
	s_or_b32 exec_lo, exec_lo, s17
	s_mov_b32 s17, exec_lo
	v_cmpx_gt_u32_e64 s5, v30
	s_cbranch_execz .LBB1974_359
.LBB1974_384:                           ;   in Loop: Header=BB1974_354 Depth=2
	global_load_ushort v10, v79, s[14:15] offset:512
	s_or_b32 exec_lo, exec_lo, s17
	s_mov_b32 s17, exec_lo
	v_cmpx_gt_u32_e64 s5, v31
	s_cbranch_execz .LBB1974_360
.LBB1974_385:                           ;   in Loop: Header=BB1974_354 Depth=2
	global_load_ushort v9, v79, s[14:15] offset:1024
	s_or_b32 exec_lo, exec_lo, s17
	s_mov_b32 s17, exec_lo
	v_cmpx_gt_u32_e64 s5, v32
	s_cbranch_execz .LBB1974_361
.LBB1974_386:                           ;   in Loop: Header=BB1974_354 Depth=2
	global_load_ushort v8, v79, s[14:15] offset:1536
	s_or_b32 exec_lo, exec_lo, s17
	s_mov_b32 s17, exec_lo
	v_cmpx_gt_u32_e64 s5, v35
	s_cbranch_execz .LBB1974_362
.LBB1974_387:                           ;   in Loop: Header=BB1974_354 Depth=2
	global_load_ushort v7, v80, s[14:15]
	s_or_b32 exec_lo, exec_lo, s17
	s_mov_b32 s17, exec_lo
	v_cmpx_gt_u32_e64 s5, v36
	s_cbranch_execz .LBB1974_363
.LBB1974_388:                           ;   in Loop: Header=BB1974_354 Depth=2
	global_load_ushort v6, v81, s[14:15]
	s_or_b32 exec_lo, exec_lo, s17
	s_mov_b32 s17, exec_lo
	v_cmpx_gt_u32_e64 s5, v37
	s_cbranch_execz .LBB1974_364
.LBB1974_389:                           ;   in Loop: Header=BB1974_354 Depth=2
	global_load_ushort v5, v82, s[14:15]
	s_or_b32 exec_lo, exec_lo, s17
	s_mov_b32 s17, exec_lo
	v_cmpx_gt_u32_e64 s5, v38
	s_cbranch_execnz .LBB1974_365
	s_branch .LBB1974_366
.LBB1974_390:                           ;   in Loop: Header=BB1974_20 Depth=1
	v_mov_b32_e32 v3, 0
	s_waitcnt lgkmcnt(0)
	s_barrier
	buffer_gl0_inv
	s_and_saveexec_b32 s5, s8
	s_cbranch_execz .LBB1974_392
; %bb.391:                              ;   in Loop: Header=BB1974_20 Depth=1
	ds_read2_b64 v[5:8], v41 offset1:1
	s_waitcnt lgkmcnt(0)
	v_add_nc_u32_e32 v3, v6, v5
	v_add3_u32 v3, v3, v7, v8
.LBB1974_392:                           ;   in Loop: Header=BB1974_20 Depth=1
	s_or_b32 exec_lo, exec_lo, s5
	v_mov_b32_dpp v5, v3 row_shr:1 row_mask:0xf bank_mask:0xf
	v_cmp_eq_u32_e64 s5, 0, v63
	v_cmp_lt_u32_e64 s14, 1, v63
	v_cmp_lt_u32_e64 s15, 3, v63
	;; [unrolled: 1-line block ×3, first 2 shown]
	v_cmp_eq_u32_e64 s17, 0, v65
	v_cndmask_b32_e64 v5, v5, 0, s5
	v_add_nc_u32_e32 v3, v5, v3
	v_mov_b32_dpp v5, v3 row_shr:2 row_mask:0xf bank_mask:0xf
	v_cndmask_b32_e64 v5, 0, v5, s14
	v_add_nc_u32_e32 v3, v3, v5
	v_mov_b32_dpp v5, v3 row_shr:4 row_mask:0xf bank_mask:0xf
	;; [unrolled: 3-line block ×3, first 2 shown]
	v_cndmask_b32_e64 v5, 0, v5, s16
	v_add_nc_u32_e32 v3, v3, v5
	ds_swizzle_b32 v5, v3 offset:swizzle(BROADCAST,32,15)
	s_waitcnt lgkmcnt(0)
	v_and_b32_e32 v5, v64, v5
	v_add_nc_u32_e32 v3, v3, v5
	s_and_saveexec_b32 s18, s9
; %bb.393:                              ;   in Loop: Header=BB1974_20 Depth=1
	ds_write_b32 v42, v3
; %bb.394:                              ;   in Loop: Header=BB1974_20 Depth=1
	s_or_b32 exec_lo, exec_lo, s18
	s_waitcnt lgkmcnt(0)
	s_barrier
	buffer_gl0_inv
	s_and_saveexec_b32 s18, s10
	s_cbranch_execz .LBB1974_396
; %bb.395:                              ;   in Loop: Header=BB1974_20 Depth=1
	ds_read_b32 v5, v43
	v_cmp_ne_u32_e32 vcc_lo, 0, v67
	s_waitcnt lgkmcnt(0)
	v_mov_b32_dpp v6, v5 row_shr:1 row_mask:0xf bank_mask:0xf
	v_cndmask_b32_e32 v6, 0, v6, vcc_lo
	v_cmp_lt_u32_e32 vcc_lo, 1, v67
	v_add_nc_u32_e32 v5, v6, v5
	v_mov_b32_dpp v6, v5 row_shr:2 row_mask:0xf bank_mask:0xf
	v_cndmask_b32_e32 v6, 0, v6, vcc_lo
	v_cmp_lt_u32_e32 vcc_lo, 3, v67
	v_add_nc_u32_e32 v5, v5, v6
	v_mov_b32_dpp v6, v5 row_shr:4 row_mask:0xf bank_mask:0xf
	v_cndmask_b32_e32 v6, 0, v6, vcc_lo
	v_add_nc_u32_e32 v5, v5, v6
	ds_write_b32 v43, v5
.LBB1974_396:                           ;   in Loop: Header=BB1974_20 Depth=1
	s_or_b32 exec_lo, exec_lo, s18
	v_mov_b32_e32 v5, 0
	s_waitcnt lgkmcnt(0)
	s_barrier
	buffer_gl0_inv
	s_and_saveexec_b32 s18, s11
; %bb.397:                              ;   in Loop: Header=BB1974_20 Depth=1
	ds_read_b32 v5, v45
; %bb.398:                              ;   in Loop: Header=BB1974_20 Depth=1
	s_or_b32 exec_lo, exec_lo, s18
	v_cmp_gt_i32_e32 vcc_lo, 0, v68
	s_waitcnt lgkmcnt(0)
	v_add_nc_u32_e32 v3, v5, v3
	s_barrier
	buffer_gl0_inv
	v_cndmask_b32_e32 v6, v68, v59, vcc_lo
	v_lshlrev_b32_e32 v91, 2, v6
	ds_bpermute_b32 v3, v91, v3
	s_and_saveexec_b32 s18, s8
	s_cbranch_execz .LBB1974_400
; %bb.399:                              ;   in Loop: Header=BB1974_20 Depth=1
	s_waitcnt lgkmcnt(0)
	v_cndmask_b32_e64 v3, v3, v5, s13
	v_add_nc_u32_e32 v3, s33, v3
	ds_write_b32 v29, v3
.LBB1974_400:                           ;   in Loop: Header=BB1974_20 Depth=1
	s_or_b32 exec_lo, exec_lo, s18
	s_load_dwordx2 s[18:19], s[30:31], 0x0
	v_add_co_u32 v92, vcc_lo, v57, v69
	v_add_co_ci_u32_e64 v93, null, 0, v58, vcc_lo
	v_add_co_u32 v94, vcc_lo, v60, v77
	v_add_co_ci_u32_e64 v95, null, 0, v61, vcc_lo
	s_mov_b32 s43, s53
	s_mov_b32 s34, s33
                                        ; implicit-def: $vgpr7_vgpr8
                                        ; implicit-def: $vgpr9_vgpr10
                                        ; implicit-def: $vgpr11_vgpr12
                                        ; implicit-def: $vgpr13_vgpr14
                                        ; implicit-def: $vgpr15_vgpr16
                                        ; implicit-def: $vgpr17_vgpr18
                                        ; implicit-def: $vgpr19_vgpr20
                                        ; implicit-def: $vgpr97
                                        ; implicit-def: $vgpr98
                                        ; implicit-def: $vgpr99
                                        ; implicit-def: $vgpr100
                                        ; implicit-def: $vgpr101
                                        ; implicit-def: $vgpr102
                                        ; implicit-def: $vgpr103
                                        ; implicit-def: $vgpr104
	s_waitcnt lgkmcnt(0)
	s_cmp_lt_u32 s7, s19
	s_cselect_b32 s19, 14, 20
	s_add_u32 s20, s30, s19
	s_addc_u32 s21, s31, 0
	s_cmp_lt_u32 s6, s18
	global_load_ushort v3, v4, s[20:21]
	s_cselect_b32 s18, 12, 18
	s_add_u32 s18, s30, s18
	s_addc_u32 s19, s31, 0
	global_load_ushort v5, v4, s[18:19]
	v_cmp_eq_u32_e64 s18, 0, v67
	v_cmp_lt_u32_e64 s19, 1, v67
	v_cmp_lt_u32_e64 s20, 3, v67
	s_waitcnt vmcnt(1)
	v_mad_u32_u24 v3, v2, v3, v1
	s_waitcnt vmcnt(0)
	v_mad_u64_u32 v[5:6], null, v3, v5, v[0:1]
	v_lshrrev_b32_e32 v3, 3, v5
                                        ; implicit-def: $vgpr5_vgpr6
	v_and_b32_e32 v96, 0x1ffffffc, v3
	s_branch .LBB1974_402
.LBB1974_401:                           ;   in Loop: Header=BB1974_402 Depth=2
	s_or_b32 exec_lo, exec_lo, s21
	s_addk_i32 s43, 0xf800
	s_cmp_lt_u32 s48, s52
	s_mov_b32 s34, s48
	s_cbranch_scc0 .LBB1974_514
.LBB1974_402:                           ;   Parent Loop BB1974_20 Depth=1
                                        ; =>  This Inner Loop Header: Depth=2
	s_add_i32 s48, s34, 0x800
	s_cmp_gt_u32 s48, s52
	s_cbranch_scc1 .LBB1974_404
; %bb.403:                              ;   in Loop: Header=BB1974_402 Depth=2
	s_lshl_b64 s[22:23], s[34:35], 1
	s_mov_b32 s21, -1
	v_add_co_u32 v21, vcc_lo, v94, s22
	v_add_co_ci_u32_e64 v22, null, s23, v95, vcc_lo
	s_clause 0x6
	global_load_ushort v3, v[21:22], off
	global_load_ushort v28, v[21:22], off offset:64
	global_load_ushort v27, v[21:22], off offset:128
	;; [unrolled: 1-line block ×6, first 2 shown]
	s_movk_i32 s22, 0x800
	s_cbranch_execz .LBB1974_405
	s_branch .LBB1974_420
.LBB1974_404:                           ;   in Loop: Header=BB1974_402 Depth=2
	s_mov_b32 s21, 0
                                        ; implicit-def: $vgpr3
                                        ; implicit-def: $vgpr28
                                        ; implicit-def: $vgpr27
                                        ; implicit-def: $vgpr26
                                        ; implicit-def: $vgpr25
                                        ; implicit-def: $vgpr24
                                        ; implicit-def: $vgpr23
	s_movk_i32 s22, 0x800
.LBB1974_405:                           ;   in Loop: Header=BB1974_402 Depth=2
	s_lshl_b64 s[22:23], s[34:35], 1
	s_waitcnt vmcnt(5)
	v_mov_b32_e32 v28, -1
	v_add_co_u32 v21, vcc_lo, v94, s22
	v_add_co_ci_u32_e64 v22, null, s23, v95, vcc_lo
	v_mov_b32_e32 v3, -1
	s_mov_b32 s21, exec_lo
	v_cmpx_gt_u32_e64 s43, v66
	s_cbranch_execz .LBB1974_407
; %bb.406:                              ;   in Loop: Header=BB1974_402 Depth=2
	global_load_ushort v3, v[21:22], off
.LBB1974_407:                           ;   in Loop: Header=BB1974_402 Depth=2
	s_or_b32 exec_lo, exec_lo, s21
	s_mov_b32 s21, exec_lo
	v_cmpx_gt_u32_e64 s43, v70
	s_cbranch_execz .LBB1974_409
; %bb.408:                              ;   in Loop: Header=BB1974_402 Depth=2
	global_load_ushort v28, v[21:22], off offset:64
.LBB1974_409:                           ;   in Loop: Header=BB1974_402 Depth=2
	s_or_b32 exec_lo, exec_lo, s21
	s_waitcnt vmcnt(3)
	v_mov_b32_e32 v26, -1
	v_mov_b32_e32 v27, -1
	s_mov_b32 s21, exec_lo
	v_cmpx_gt_u32_e64 s43, v71
	s_cbranch_execz .LBB1974_411
; %bb.410:                              ;   in Loop: Header=BB1974_402 Depth=2
	global_load_ushort v27, v[21:22], off offset:128
.LBB1974_411:                           ;   in Loop: Header=BB1974_402 Depth=2
	s_or_b32 exec_lo, exec_lo, s21
	s_mov_b32 s21, exec_lo
	v_cmpx_gt_u32_e64 s43, v72
	s_cbranch_execz .LBB1974_413
; %bb.412:                              ;   in Loop: Header=BB1974_402 Depth=2
	global_load_ushort v26, v[21:22], off offset:192
.LBB1974_413:                           ;   in Loop: Header=BB1974_402 Depth=2
	s_or_b32 exec_lo, exec_lo, s21
	s_waitcnt vmcnt(1)
	v_mov_b32_e32 v24, -1
	v_mov_b32_e32 v25, -1
	s_mov_b32 s21, exec_lo
	v_cmpx_gt_u32_e64 s43, v73
	s_cbranch_execz .LBB1974_415
; %bb.414:                              ;   in Loop: Header=BB1974_402 Depth=2
	global_load_ushort v25, v[21:22], off offset:256
.LBB1974_415:                           ;   in Loop: Header=BB1974_402 Depth=2
	s_or_b32 exec_lo, exec_lo, s21
	s_mov_b32 s21, exec_lo
	v_cmpx_gt_u32_e64 s43, v74
	s_cbranch_execz .LBB1974_417
; %bb.416:                              ;   in Loop: Header=BB1974_402 Depth=2
	global_load_ushort v24, v[21:22], off offset:320
.LBB1974_417:                           ;   in Loop: Header=BB1974_402 Depth=2
	s_or_b32 exec_lo, exec_lo, s21
	s_waitcnt vmcnt(0)
	v_mov_b32_e32 v23, -1
	s_mov_b32 s21, exec_lo
	v_cmpx_gt_u32_e64 s43, v75
	s_cbranch_execz .LBB1974_419
; %bb.418:                              ;   in Loop: Header=BB1974_402 Depth=2
	global_load_ushort v23, v[21:22], off offset:384
.LBB1974_419:                           ;   in Loop: Header=BB1974_402 Depth=2
	s_or_b32 exec_lo, exec_lo, s21
	v_cmp_gt_u32_e64 s21, s43, v76
	s_sub_i32 s22, s52, s34
.LBB1974_420:                           ;   in Loop: Header=BB1974_402 Depth=2
	v_mov_b32_e32 v21, -1
	v_mov_b32_e32 v105, s43
	s_and_saveexec_b32 s23, s21
	s_cbranch_execz .LBB1974_422
; %bb.421:                              ;   in Loop: Header=BB1974_402 Depth=2
	s_lshl_b64 s[24:25], s[34:35], 1
	v_mov_b32_e32 v105, s22
	v_add_co_u32 v21, vcc_lo, v94, s24
	v_add_co_ci_u32_e64 v22, null, s25, v95, vcc_lo
	global_load_ushort v21, v[21:22], off offset:448
.LBB1974_422:                           ;   in Loop: Header=BB1974_402 Depth=2
	s_or_b32 exec_lo, exec_lo, s23
	s_waitcnt vmcnt(6)
	v_cmp_gt_i16_e32 vcc_lo, 0, v3
	ds_write2_b32 v78, v4, v4 offset1:1
	ds_write2_b32 v88, v4, v4 offset1:1
	;; [unrolled: 1-line block ×4, first 2 shown]
	ds_write_b32 v44, v4 offset:1088
	s_waitcnt vmcnt(0) lgkmcnt(0)
	s_barrier
	v_cndmask_b32_e64 v22, 0x7fff, 0, vcc_lo
	buffer_gl0_inv
	; wave barrier
	v_xor_b32_e32 v3, v22, v3
	v_cmp_ne_u16_e32 vcc_lo, 0x8000, v3
	v_cndmask_b32_e32 v22, 0x7fff, v3, vcc_lo
	v_lshrrev_b32_sdwa v22, s49, v22 dst_sel:DWORD dst_unused:UNUSED_PAD src0_sel:DWORD src1_sel:WORD_0
	v_and_b32_e32 v107, s42, v22
	v_and_b32_e32 v22, 1, v107
	v_lshlrev_b32_e32 v106, 30, v107
	v_lshlrev_b32_e32 v108, 29, v107
	;; [unrolled: 1-line block ×4, first 2 shown]
	v_add_co_u32 v22, s21, v22, -1
	v_cndmask_b32_e64 v110, 0, 1, s21
	v_not_b32_e32 v114, v106
	v_cmp_gt_i32_e64 s21, 0, v106
	v_not_b32_e32 v106, v108
	v_lshlrev_b32_e32 v112, 26, v107
	v_cmp_ne_u32_e32 vcc_lo, 0, v110
	v_ashrrev_i32_e32 v114, 31, v114
	v_lshlrev_b32_e32 v113, 25, v107
	v_ashrrev_i32_e32 v106, 31, v106
	v_lshlrev_b32_e32 v110, 24, v107
	v_xor_b32_e32 v22, vcc_lo, v22
	v_cmp_gt_i32_e32 vcc_lo, 0, v108
	v_not_b32_e32 v108, v109
	v_xor_b32_e32 v114, s21, v114
	v_cmp_gt_i32_e64 s21, 0, v109
	v_and_b32_e32 v22, exec_lo, v22
	v_not_b32_e32 v109, v111
	v_ashrrev_i32_e32 v108, 31, v108
	v_xor_b32_e32 v106, vcc_lo, v106
	v_cmp_gt_i32_e32 vcc_lo, 0, v111
	v_and_b32_e32 v22, v22, v114
	v_not_b32_e32 v111, v112
	v_ashrrev_i32_e32 v109, 31, v109
	v_xor_b32_e32 v108, s21, v108
	v_cmp_gt_i32_e64 s21, 0, v112
	v_and_b32_e32 v22, v22, v106
	v_not_b32_e32 v106, v113
	v_ashrrev_i32_e32 v111, 31, v111
	v_xor_b32_e32 v109, vcc_lo, v109
	v_cmp_gt_i32_e32 vcc_lo, 0, v113
	v_and_b32_e32 v22, v22, v108
	v_not_b32_e32 v108, v110
	v_ashrrev_i32_e32 v106, 31, v106
	v_xor_b32_e32 v111, s21, v111
	v_cmp_gt_i32_e64 s21, 0, v110
	v_and_b32_e32 v22, v22, v109
	v_ashrrev_i32_e32 v108, 31, v108
	v_xor_b32_e32 v106, vcc_lo, v106
	v_mul_u32_u24_e32 v107, 36, v107
	v_and_b32_e32 v22, v22, v111
	v_xor_b32_e32 v108, s21, v108
	v_and_b32_e32 v22, v22, v106
	v_and_b32_e32 v22, v22, v108
	v_add_nc_u32_e32 v108, v96, v107
	v_mbcnt_lo_u32_b32 v106, v22, 0
	v_cmp_ne_u32_e64 s21, 0, v22
	v_cmp_eq_u32_e32 vcc_lo, 0, v106
	s_and_b32 s22, s21, vcc_lo
	s_and_saveexec_b32 s21, s22
; %bb.423:                              ;   in Loop: Header=BB1974_402 Depth=2
	v_bcnt_u32_b32 v22, v22, 0
	ds_write_b32 v108, v22 offset:1056
; %bb.424:                              ;   in Loop: Header=BB1974_402 Depth=2
	s_or_b32 exec_lo, exec_lo, s21
	v_cmp_gt_i16_e32 vcc_lo, 0, v28
	; wave barrier
	v_cndmask_b32_e64 v22, 0x7fff, 0, vcc_lo
	v_xor_b32_e32 v107, v22, v28
	v_cmp_ne_u16_e32 vcc_lo, 0x8000, v107
	v_cndmask_b32_e32 v22, 0x7fff, v107, vcc_lo
	v_lshrrev_b32_sdwa v22, s49, v22 dst_sel:DWORD dst_unused:UNUSED_PAD src0_sel:DWORD src1_sel:WORD_0
	v_and_b32_e32 v28, s42, v22
	v_and_b32_e32 v22, 1, v28
	v_lshlrev_b32_e32 v109, 30, v28
	v_lshlrev_b32_e32 v110, 29, v28
	;; [unrolled: 1-line block ×4, first 2 shown]
	v_add_co_u32 v22, s21, v22, -1
	v_cndmask_b32_e64 v112, 0, 1, s21
	v_not_b32_e32 v116, v109
	v_cmp_gt_i32_e64 s21, 0, v109
	v_not_b32_e32 v109, v110
	v_lshlrev_b32_e32 v114, 26, v28
	v_cmp_ne_u32_e32 vcc_lo, 0, v112
	v_ashrrev_i32_e32 v116, 31, v116
	v_lshlrev_b32_e32 v115, 25, v28
	v_ashrrev_i32_e32 v109, 31, v109
	v_lshlrev_b32_e32 v112, 24, v28
	v_xor_b32_e32 v22, vcc_lo, v22
	v_cmp_gt_i32_e32 vcc_lo, 0, v110
	v_not_b32_e32 v110, v111
	v_xor_b32_e32 v116, s21, v116
	v_cmp_gt_i32_e64 s21, 0, v111
	v_and_b32_e32 v22, exec_lo, v22
	v_not_b32_e32 v111, v113
	v_ashrrev_i32_e32 v110, 31, v110
	v_xor_b32_e32 v109, vcc_lo, v109
	v_cmp_gt_i32_e32 vcc_lo, 0, v113
	v_and_b32_e32 v22, v22, v116
	v_not_b32_e32 v113, v114
	v_ashrrev_i32_e32 v111, 31, v111
	v_xor_b32_e32 v110, s21, v110
	v_cmp_gt_i32_e64 s21, 0, v114
	v_and_b32_e32 v22, v22, v109
	v_not_b32_e32 v109, v115
	v_ashrrev_i32_e32 v113, 31, v113
	v_xor_b32_e32 v111, vcc_lo, v111
	v_cmp_gt_i32_e32 vcc_lo, 0, v115
	v_and_b32_e32 v22, v22, v110
	v_not_b32_e32 v110, v112
	v_ashrrev_i32_e32 v109, 31, v109
	v_xor_b32_e32 v113, s21, v113
	v_cmp_gt_i32_e64 s21, 0, v112
	v_and_b32_e32 v22, v22, v111
	v_ashrrev_i32_e32 v110, 31, v110
	v_xor_b32_e32 v109, vcc_lo, v109
	v_mad_u32_u24 v111, v28, 36, v96
	v_mul_u32_u24_e32 v28, 36, v28
	v_and_b32_e32 v22, v22, v113
	v_xor_b32_e32 v110, s21, v110
	v_add_nc_u32_e32 v112, v96, v28
	v_and_b32_e32 v22, v22, v109
	ds_read_b32 v109, v111 offset:1056
	; wave barrier
	v_and_b32_e32 v22, v22, v110
	v_mbcnt_lo_u32_b32 v110, v22, 0
	v_cmp_ne_u32_e64 s21, 0, v22
	v_cmp_eq_u32_e32 vcc_lo, 0, v110
	s_and_b32 s22, s21, vcc_lo
	s_and_saveexec_b32 s21, s22
	s_cbranch_execz .LBB1974_426
; %bb.425:                              ;   in Loop: Header=BB1974_402 Depth=2
	s_waitcnt lgkmcnt(0)
	v_bcnt_u32_b32 v22, v22, v109
	ds_write_b32 v112, v22 offset:1056
.LBB1974_426:                           ;   in Loop: Header=BB1974_402 Depth=2
	s_or_b32 exec_lo, exec_lo, s21
	v_cmp_gt_i16_e32 vcc_lo, 0, v27
	; wave barrier
	v_cndmask_b32_e64 v22, 0x7fff, 0, vcc_lo
	v_xor_b32_e32 v111, v22, v27
	v_cmp_ne_u16_e32 vcc_lo, 0x8000, v111
	v_cndmask_b32_e32 v22, 0x7fff, v111, vcc_lo
	v_lshrrev_b32_sdwa v22, s49, v22 dst_sel:DWORD dst_unused:UNUSED_PAD src0_sel:DWORD src1_sel:WORD_0
	v_and_b32_e32 v27, s42, v22
	v_and_b32_e32 v22, 1, v27
	v_lshlrev_b32_e32 v28, 30, v27
	v_lshlrev_b32_e32 v113, 29, v27
	;; [unrolled: 1-line block ×4, first 2 shown]
	v_add_co_u32 v22, s21, v22, -1
	v_cndmask_b32_e64 v115, 0, 1, s21
	v_not_b32_e32 v119, v28
	v_cmp_gt_i32_e64 s21, 0, v28
	v_not_b32_e32 v28, v113
	v_lshlrev_b32_e32 v117, 26, v27
	v_cmp_ne_u32_e32 vcc_lo, 0, v115
	v_ashrrev_i32_e32 v119, 31, v119
	v_lshlrev_b32_e32 v118, 25, v27
	v_ashrrev_i32_e32 v28, 31, v28
	v_lshlrev_b32_e32 v115, 24, v27
	v_xor_b32_e32 v22, vcc_lo, v22
	v_cmp_gt_i32_e32 vcc_lo, 0, v113
	v_not_b32_e32 v113, v114
	v_xor_b32_e32 v119, s21, v119
	v_cmp_gt_i32_e64 s21, 0, v114
	v_and_b32_e32 v22, exec_lo, v22
	v_not_b32_e32 v114, v116
	v_ashrrev_i32_e32 v113, 31, v113
	v_xor_b32_e32 v28, vcc_lo, v28
	v_cmp_gt_i32_e32 vcc_lo, 0, v116
	v_and_b32_e32 v22, v22, v119
	v_not_b32_e32 v116, v117
	v_ashrrev_i32_e32 v114, 31, v114
	v_xor_b32_e32 v113, s21, v113
	v_cmp_gt_i32_e64 s21, 0, v117
	v_and_b32_e32 v22, v22, v28
	v_not_b32_e32 v28, v118
	v_ashrrev_i32_e32 v116, 31, v116
	v_xor_b32_e32 v114, vcc_lo, v114
	v_cmp_gt_i32_e32 vcc_lo, 0, v118
	v_and_b32_e32 v22, v22, v113
	v_not_b32_e32 v113, v115
	v_ashrrev_i32_e32 v28, 31, v28
	v_xor_b32_e32 v116, s21, v116
	v_cmp_gt_i32_e64 s21, 0, v115
	v_and_b32_e32 v22, v22, v114
	v_ashrrev_i32_e32 v113, 31, v113
	v_xor_b32_e32 v28, vcc_lo, v28
	v_mad_u32_u24 v114, v27, 36, v96
	v_mul_u32_u24_e32 v27, 36, v27
	v_and_b32_e32 v22, v22, v116
	v_xor_b32_e32 v115, s21, v113
	ds_read_b32 v113, v114 offset:1056
	v_add_nc_u32_e32 v116, v96, v27
	v_and_b32_e32 v22, v22, v28
	; wave barrier
	v_and_b32_e32 v22, v22, v115
	v_mbcnt_lo_u32_b32 v115, v22, 0
	v_cmp_ne_u32_e64 s21, 0, v22
	v_cmp_eq_u32_e32 vcc_lo, 0, v115
	s_and_b32 s22, s21, vcc_lo
	s_and_saveexec_b32 s21, s22
	s_cbranch_execz .LBB1974_428
; %bb.427:                              ;   in Loop: Header=BB1974_402 Depth=2
	s_waitcnt lgkmcnt(0)
	v_bcnt_u32_b32 v22, v22, v113
	ds_write_b32 v116, v22 offset:1056
.LBB1974_428:                           ;   in Loop: Header=BB1974_402 Depth=2
	s_or_b32 exec_lo, exec_lo, s21
	v_cmp_gt_i16_e32 vcc_lo, 0, v26
	; wave barrier
	v_cndmask_b32_e64 v22, 0x7fff, 0, vcc_lo
	v_xor_b32_e32 v114, v22, v26
	v_cmp_ne_u16_e32 vcc_lo, 0x8000, v114
	v_cndmask_b32_e32 v22, 0x7fff, v114, vcc_lo
	v_lshrrev_b32_sdwa v22, s49, v22 dst_sel:DWORD dst_unused:UNUSED_PAD src0_sel:DWORD src1_sel:WORD_0
	v_and_b32_e32 v26, s42, v22
	v_and_b32_e32 v22, 1, v26
	v_lshlrev_b32_e32 v27, 30, v26
	v_lshlrev_b32_e32 v28, 29, v26
	;; [unrolled: 1-line block ×4, first 2 shown]
	v_add_co_u32 v22, s21, v22, -1
	v_cndmask_b32_e64 v118, 0, 1, s21
	v_not_b32_e32 v122, v27
	v_cmp_gt_i32_e64 s21, 0, v27
	v_not_b32_e32 v27, v28
	v_lshlrev_b32_e32 v120, 26, v26
	v_cmp_ne_u32_e32 vcc_lo, 0, v118
	v_ashrrev_i32_e32 v122, 31, v122
	v_lshlrev_b32_e32 v121, 25, v26
	v_ashrrev_i32_e32 v27, 31, v27
	v_lshlrev_b32_e32 v118, 24, v26
	v_xor_b32_e32 v22, vcc_lo, v22
	v_cmp_gt_i32_e32 vcc_lo, 0, v28
	v_not_b32_e32 v28, v117
	v_xor_b32_e32 v122, s21, v122
	v_cmp_gt_i32_e64 s21, 0, v117
	v_and_b32_e32 v22, exec_lo, v22
	v_not_b32_e32 v117, v119
	v_ashrrev_i32_e32 v28, 31, v28
	v_xor_b32_e32 v27, vcc_lo, v27
	v_cmp_gt_i32_e32 vcc_lo, 0, v119
	v_and_b32_e32 v22, v22, v122
	v_not_b32_e32 v119, v120
	v_ashrrev_i32_e32 v117, 31, v117
	v_xor_b32_e32 v28, s21, v28
	v_cmp_gt_i32_e64 s21, 0, v120
	v_and_b32_e32 v22, v22, v27
	v_not_b32_e32 v27, v121
	v_ashrrev_i32_e32 v119, 31, v119
	v_xor_b32_e32 v117, vcc_lo, v117
	v_cmp_gt_i32_e32 vcc_lo, 0, v121
	v_and_b32_e32 v22, v22, v28
	v_not_b32_e32 v28, v118
	v_ashrrev_i32_e32 v27, 31, v27
	v_xor_b32_e32 v119, s21, v119
	v_cmp_gt_i32_e64 s21, 0, v118
	v_and_b32_e32 v22, v22, v117
	v_ashrrev_i32_e32 v28, 31, v28
	v_xor_b32_e32 v27, vcc_lo, v27
	v_mad_u32_u24 v117, v26, 36, v96
	v_mul_u32_u24_e32 v26, 36, v26
	v_and_b32_e32 v22, v22, v119
	v_xor_b32_e32 v28, s21, v28
	ds_read_b32 v117, v117 offset:1056
	v_add_nc_u32_e32 v120, v96, v26
	v_and_b32_e32 v22, v22, v27
	; wave barrier
	v_and_b32_e32 v22, v22, v28
	v_mbcnt_lo_u32_b32 v119, v22, 0
	v_cmp_ne_u32_e64 s21, 0, v22
	v_cmp_eq_u32_e32 vcc_lo, 0, v119
	s_and_b32 s22, s21, vcc_lo
	s_and_saveexec_b32 s21, s22
	s_cbranch_execz .LBB1974_430
; %bb.429:                              ;   in Loop: Header=BB1974_402 Depth=2
	s_waitcnt lgkmcnt(0)
	v_bcnt_u32_b32 v22, v22, v117
	ds_write_b32 v120, v22 offset:1056
.LBB1974_430:                           ;   in Loop: Header=BB1974_402 Depth=2
	s_or_b32 exec_lo, exec_lo, s21
	v_cmp_gt_i16_e32 vcc_lo, 0, v25
	; wave barrier
	v_cndmask_b32_e64 v22, 0x7fff, 0, vcc_lo
	v_xor_b32_e32 v118, v22, v25
	v_cmp_ne_u16_e32 vcc_lo, 0x8000, v118
	v_cndmask_b32_e32 v22, 0x7fff, v118, vcc_lo
	v_lshrrev_b32_sdwa v22, s49, v22 dst_sel:DWORD dst_unused:UNUSED_PAD src0_sel:DWORD src1_sel:WORD_0
	v_and_b32_e32 v25, s42, v22
	v_and_b32_e32 v22, 1, v25
	v_lshlrev_b32_e32 v26, 30, v25
	v_lshlrev_b32_e32 v27, 29, v25
	;; [unrolled: 1-line block ×4, first 2 shown]
	v_add_co_u32 v22, s21, v22, -1
	v_cndmask_b32_e64 v121, 0, 1, s21
	v_not_b32_e32 v125, v26
	v_cmp_gt_i32_e64 s21, 0, v26
	v_not_b32_e32 v26, v27
	v_lshlrev_b32_e32 v123, 26, v25
	v_cmp_ne_u32_e32 vcc_lo, 0, v121
	v_ashrrev_i32_e32 v125, 31, v125
	v_lshlrev_b32_e32 v124, 25, v25
	v_ashrrev_i32_e32 v26, 31, v26
	v_lshlrev_b32_e32 v121, 24, v25
	v_xor_b32_e32 v22, vcc_lo, v22
	v_cmp_gt_i32_e32 vcc_lo, 0, v27
	v_not_b32_e32 v27, v28
	v_xor_b32_e32 v125, s21, v125
	v_cmp_gt_i32_e64 s21, 0, v28
	v_and_b32_e32 v22, exec_lo, v22
	v_not_b32_e32 v28, v122
	v_ashrrev_i32_e32 v27, 31, v27
	v_xor_b32_e32 v26, vcc_lo, v26
	v_cmp_gt_i32_e32 vcc_lo, 0, v122
	v_and_b32_e32 v22, v22, v125
	v_not_b32_e32 v122, v123
	v_ashrrev_i32_e32 v28, 31, v28
	v_xor_b32_e32 v27, s21, v27
	v_cmp_gt_i32_e64 s21, 0, v123
	v_and_b32_e32 v22, v22, v26
	v_not_b32_e32 v26, v124
	v_ashrrev_i32_e32 v122, 31, v122
	v_xor_b32_e32 v28, vcc_lo, v28
	v_cmp_gt_i32_e32 vcc_lo, 0, v124
	v_and_b32_e32 v22, v22, v27
	v_not_b32_e32 v27, v121
	v_ashrrev_i32_e32 v26, 31, v26
	v_xor_b32_e32 v122, s21, v122
	v_cmp_gt_i32_e64 s21, 0, v121
	v_and_b32_e32 v22, v22, v28
	v_ashrrev_i32_e32 v27, 31, v27
	v_xor_b32_e32 v26, vcc_lo, v26
	v_mad_u32_u24 v28, v25, 36, v96
	v_mul_u32_u24_e32 v25, 36, v25
	v_and_b32_e32 v22, v22, v122
	v_xor_b32_e32 v27, s21, v27
	ds_read_b32 v121, v28 offset:1056
	v_add_nc_u32_e32 v124, v96, v25
	v_and_b32_e32 v22, v22, v26
	; wave barrier
	v_and_b32_e32 v22, v22, v27
	v_mbcnt_lo_u32_b32 v123, v22, 0
	v_cmp_ne_u32_e64 s21, 0, v22
	v_cmp_eq_u32_e32 vcc_lo, 0, v123
	s_and_b32 s22, s21, vcc_lo
	s_and_saveexec_b32 s21, s22
	s_cbranch_execz .LBB1974_432
; %bb.431:                              ;   in Loop: Header=BB1974_402 Depth=2
	s_waitcnt lgkmcnt(0)
	v_bcnt_u32_b32 v22, v22, v121
	ds_write_b32 v124, v22 offset:1056
.LBB1974_432:                           ;   in Loop: Header=BB1974_402 Depth=2
	s_or_b32 exec_lo, exec_lo, s21
	v_cmp_gt_i16_e32 vcc_lo, 0, v24
	; wave barrier
	v_cndmask_b32_e64 v22, 0x7fff, 0, vcc_lo
	v_xor_b32_e32 v122, v22, v24
	v_cmp_ne_u16_e32 vcc_lo, 0x8000, v122
	v_cndmask_b32_e32 v22, 0x7fff, v122, vcc_lo
	v_lshrrev_b32_sdwa v22, s49, v22 dst_sel:DWORD dst_unused:UNUSED_PAD src0_sel:DWORD src1_sel:WORD_0
	v_and_b32_e32 v24, s42, v22
	v_and_b32_e32 v22, 1, v24
	v_lshlrev_b32_e32 v25, 30, v24
	v_lshlrev_b32_e32 v26, 29, v24
	;; [unrolled: 1-line block ×4, first 2 shown]
	v_add_co_u32 v22, s21, v22, -1
	v_cndmask_b32_e64 v28, 0, 1, s21
	v_not_b32_e32 v128, v25
	v_cmp_gt_i32_e64 s21, 0, v25
	v_not_b32_e32 v25, v26
	v_lshlrev_b32_e32 v126, 26, v24
	v_cmp_ne_u32_e32 vcc_lo, 0, v28
	v_ashrrev_i32_e32 v128, 31, v128
	v_lshlrev_b32_e32 v127, 25, v24
	v_ashrrev_i32_e32 v25, 31, v25
	v_lshlrev_b32_e32 v28, 24, v24
	v_xor_b32_e32 v22, vcc_lo, v22
	v_cmp_gt_i32_e32 vcc_lo, 0, v26
	v_not_b32_e32 v26, v27
	v_xor_b32_e32 v128, s21, v128
	v_cmp_gt_i32_e64 s21, 0, v27
	v_and_b32_e32 v22, exec_lo, v22
	v_not_b32_e32 v27, v125
	v_ashrrev_i32_e32 v26, 31, v26
	v_xor_b32_e32 v25, vcc_lo, v25
	v_cmp_gt_i32_e32 vcc_lo, 0, v125
	v_and_b32_e32 v22, v22, v128
	v_not_b32_e32 v125, v126
	v_ashrrev_i32_e32 v27, 31, v27
	v_xor_b32_e32 v26, s21, v26
	v_cmp_gt_i32_e64 s21, 0, v126
	v_and_b32_e32 v22, v22, v25
	v_not_b32_e32 v25, v127
	v_ashrrev_i32_e32 v125, 31, v125
	v_xor_b32_e32 v27, vcc_lo, v27
	v_cmp_gt_i32_e32 vcc_lo, 0, v127
	v_and_b32_e32 v22, v22, v26
	v_not_b32_e32 v26, v28
	v_ashrrev_i32_e32 v25, 31, v25
	v_xor_b32_e32 v125, s21, v125
	v_cmp_gt_i32_e64 s21, 0, v28
	v_and_b32_e32 v22, v22, v27
	v_ashrrev_i32_e32 v26, 31, v26
	v_xor_b32_e32 v25, vcc_lo, v25
	v_mad_u32_u24 v27, v24, 36, v96
	v_mul_u32_u24_e32 v24, 36, v24
	v_and_b32_e32 v22, v22, v125
	v_xor_b32_e32 v26, s21, v26
	ds_read_b32 v125, v27 offset:1056
	v_add_nc_u32_e32 v128, v96, v24
	v_and_b32_e32 v22, v22, v25
	; wave barrier
	v_and_b32_e32 v22, v22, v26
	v_mbcnt_lo_u32_b32 v127, v22, 0
	v_cmp_ne_u32_e64 s21, 0, v22
	v_cmp_eq_u32_e32 vcc_lo, 0, v127
	s_and_b32 s22, s21, vcc_lo
	s_and_saveexec_b32 s21, s22
	s_cbranch_execz .LBB1974_434
; %bb.433:                              ;   in Loop: Header=BB1974_402 Depth=2
	s_waitcnt lgkmcnt(0)
	v_bcnt_u32_b32 v22, v22, v125
	ds_write_b32 v128, v22 offset:1056
.LBB1974_434:                           ;   in Loop: Header=BB1974_402 Depth=2
	s_or_b32 exec_lo, exec_lo, s21
	v_cmp_gt_i16_e32 vcc_lo, 0, v23
	; wave barrier
	v_cndmask_b32_e64 v22, 0x7fff, 0, vcc_lo
	v_xor_b32_e32 v126, v22, v23
	v_cmp_ne_u16_e32 vcc_lo, 0x8000, v126
	v_cndmask_b32_e32 v22, 0x7fff, v126, vcc_lo
	v_lshrrev_b32_sdwa v22, s49, v22 dst_sel:DWORD dst_unused:UNUSED_PAD src0_sel:DWORD src1_sel:WORD_0
	v_and_b32_e32 v23, s42, v22
	v_and_b32_e32 v22, 1, v23
	v_lshlrev_b32_e32 v24, 30, v23
	v_lshlrev_b32_e32 v25, 29, v23
	;; [unrolled: 1-line block ×4, first 2 shown]
	v_add_co_u32 v22, s21, v22, -1
	v_cndmask_b32_e64 v27, 0, 1, s21
	v_not_b32_e32 v131, v24
	v_cmp_gt_i32_e64 s21, 0, v24
	v_not_b32_e32 v24, v25
	v_lshlrev_b32_e32 v129, 26, v23
	v_cmp_ne_u32_e32 vcc_lo, 0, v27
	v_ashrrev_i32_e32 v131, 31, v131
	v_lshlrev_b32_e32 v130, 25, v23
	v_ashrrev_i32_e32 v24, 31, v24
	v_lshlrev_b32_e32 v27, 24, v23
	v_xor_b32_e32 v22, vcc_lo, v22
	v_cmp_gt_i32_e32 vcc_lo, 0, v25
	v_not_b32_e32 v25, v26
	v_xor_b32_e32 v131, s21, v131
	v_cmp_gt_i32_e64 s21, 0, v26
	v_and_b32_e32 v22, exec_lo, v22
	v_not_b32_e32 v26, v28
	v_ashrrev_i32_e32 v25, 31, v25
	v_xor_b32_e32 v24, vcc_lo, v24
	v_cmp_gt_i32_e32 vcc_lo, 0, v28
	v_and_b32_e32 v22, v22, v131
	v_not_b32_e32 v28, v129
	v_ashrrev_i32_e32 v26, 31, v26
	v_xor_b32_e32 v25, s21, v25
	v_cmp_gt_i32_e64 s21, 0, v129
	v_and_b32_e32 v22, v22, v24
	v_not_b32_e32 v24, v130
	v_ashrrev_i32_e32 v28, 31, v28
	v_xor_b32_e32 v26, vcc_lo, v26
	v_cmp_gt_i32_e32 vcc_lo, 0, v130
	v_and_b32_e32 v22, v22, v25
	v_not_b32_e32 v25, v27
	v_ashrrev_i32_e32 v24, 31, v24
	v_xor_b32_e32 v28, s21, v28
	v_cmp_gt_i32_e64 s21, 0, v27
	v_and_b32_e32 v22, v22, v26
	v_ashrrev_i32_e32 v25, 31, v25
	v_xor_b32_e32 v24, vcc_lo, v24
	v_mad_u32_u24 v26, v23, 36, v96
	v_mul_u32_u24_e32 v23, 36, v23
	v_and_b32_e32 v22, v22, v28
	v_xor_b32_e32 v25, s21, v25
	ds_read_b32 v129, v26 offset:1056
	v_add_nc_u32_e32 v132, v96, v23
	v_and_b32_e32 v22, v22, v24
	; wave barrier
	v_and_b32_e32 v22, v22, v25
	v_mbcnt_lo_u32_b32 v131, v22, 0
	v_cmp_ne_u32_e64 s21, 0, v22
	v_cmp_eq_u32_e32 vcc_lo, 0, v131
	s_and_b32 s22, s21, vcc_lo
	s_and_saveexec_b32 s21, s22
	s_cbranch_execz .LBB1974_436
; %bb.435:                              ;   in Loop: Header=BB1974_402 Depth=2
	s_waitcnt lgkmcnt(0)
	v_bcnt_u32_b32 v22, v22, v129
	ds_write_b32 v132, v22 offset:1056
.LBB1974_436:                           ;   in Loop: Header=BB1974_402 Depth=2
	s_or_b32 exec_lo, exec_lo, s21
	v_cmp_gt_i16_e32 vcc_lo, 0, v21
	; wave barrier
	v_cndmask_b32_e64 v22, 0x7fff, 0, vcc_lo
	v_xor_b32_e32 v130, v22, v21
	v_cmp_ne_u16_e32 vcc_lo, 0x8000, v130
	v_cndmask_b32_e32 v21, 0x7fff, v130, vcc_lo
	v_lshrrev_b32_sdwa v21, s49, v21 dst_sel:DWORD dst_unused:UNUSED_PAD src0_sel:DWORD src1_sel:WORD_0
	v_and_b32_e32 v22, s42, v21
	v_and_b32_e32 v21, 1, v22
	v_lshlrev_b32_e32 v23, 30, v22
	v_lshlrev_b32_e32 v24, 29, v22
	;; [unrolled: 1-line block ×4, first 2 shown]
	v_add_co_u32 v21, s21, v21, -1
	v_cndmask_b32_e64 v26, 0, 1, s21
	v_not_b32_e32 v134, v23
	v_cmp_gt_i32_e64 s21, 0, v23
	v_not_b32_e32 v23, v24
	v_lshlrev_b32_e32 v28, 26, v22
	v_cmp_ne_u32_e32 vcc_lo, 0, v26
	v_ashrrev_i32_e32 v134, 31, v134
	v_lshlrev_b32_e32 v133, 25, v22
	v_ashrrev_i32_e32 v23, 31, v23
	v_lshlrev_b32_e32 v26, 24, v22
	v_xor_b32_e32 v21, vcc_lo, v21
	v_cmp_gt_i32_e32 vcc_lo, 0, v24
	v_not_b32_e32 v24, v25
	v_xor_b32_e32 v134, s21, v134
	v_cmp_gt_i32_e64 s21, 0, v25
	v_and_b32_e32 v21, exec_lo, v21
	v_not_b32_e32 v25, v27
	v_ashrrev_i32_e32 v24, 31, v24
	v_xor_b32_e32 v23, vcc_lo, v23
	v_cmp_gt_i32_e32 vcc_lo, 0, v27
	v_and_b32_e32 v21, v21, v134
	v_not_b32_e32 v27, v28
	v_ashrrev_i32_e32 v25, 31, v25
	v_xor_b32_e32 v24, s21, v24
	v_cmp_gt_i32_e64 s21, 0, v28
	v_and_b32_e32 v21, v21, v23
	v_not_b32_e32 v23, v133
	v_ashrrev_i32_e32 v27, 31, v27
	v_xor_b32_e32 v25, vcc_lo, v25
	v_cmp_gt_i32_e32 vcc_lo, 0, v133
	v_and_b32_e32 v21, v21, v24
	v_not_b32_e32 v24, v26
	v_ashrrev_i32_e32 v23, 31, v23
	v_xor_b32_e32 v27, s21, v27
	v_cmp_gt_i32_e64 s21, 0, v26
	v_and_b32_e32 v21, v21, v25
	v_ashrrev_i32_e32 v24, 31, v24
	v_xor_b32_e32 v23, vcc_lo, v23
	v_mad_u32_u24 v25, v22, 36, v96
	v_mul_u32_u24_e32 v22, 36, v22
	v_and_b32_e32 v21, v21, v27
	v_xor_b32_e32 v24, s21, v24
	ds_read_b32 v133, v25 offset:1056
	v_add_nc_u32_e32 v135, v96, v22
	v_and_b32_e32 v21, v21, v23
	; wave barrier
	v_and_b32_e32 v21, v21, v24
	v_mbcnt_lo_u32_b32 v134, v21, 0
	v_cmp_ne_u32_e64 s21, 0, v21
	v_cmp_eq_u32_e32 vcc_lo, 0, v134
	s_and_b32 s22, s21, vcc_lo
	s_and_saveexec_b32 s21, s22
	s_cbranch_execz .LBB1974_438
; %bb.437:                              ;   in Loop: Header=BB1974_402 Depth=2
	s_waitcnt lgkmcnt(0)
	v_bcnt_u32_b32 v21, v21, v133
	ds_write_b32 v135, v21 offset:1056
.LBB1974_438:                           ;   in Loop: Header=BB1974_402 Depth=2
	s_or_b32 exec_lo, exec_lo, s21
	; wave barrier
	s_waitcnt lgkmcnt(0)
	s_barrier
	buffer_gl0_inv
	ds_read2_b32 v[27:28], v78 offset1:1
	ds_read2_b32 v[25:26], v88 offset1:1
	;; [unrolled: 1-line block ×4, first 2 shown]
	ds_read_b32 v136, v44 offset:1088
	s_waitcnt lgkmcnt(3)
	v_add3_u32 v137, v28, v27, v25
	s_waitcnt lgkmcnt(2)
	v_add3_u32 v137, v137, v26, v23
	;; [unrolled: 2-line block ×4, first 2 shown]
	v_mov_b32_dpp v137, v136 row_shr:1 row_mask:0xf bank_mask:0xf
	v_cndmask_b32_e64 v137, v137, 0, s5
	v_add_nc_u32_e32 v136, v137, v136
	v_mov_b32_dpp v137, v136 row_shr:2 row_mask:0xf bank_mask:0xf
	v_cndmask_b32_e64 v137, 0, v137, s14
	v_add_nc_u32_e32 v136, v136, v137
	;; [unrolled: 3-line block ×4, first 2 shown]
	ds_swizzle_b32 v137, v136 offset:swizzle(BROADCAST,32,15)
	s_waitcnt lgkmcnt(0)
	v_cndmask_b32_e64 v137, v137, 0, s17
	v_add_nc_u32_e32 v136, v136, v137
	s_and_saveexec_b32 s21, s9
; %bb.439:                              ;   in Loop: Header=BB1974_402 Depth=2
	ds_write_b32 v39, v136 offset:1024
; %bb.440:                              ;   in Loop: Header=BB1974_402 Depth=2
	s_or_b32 exec_lo, exec_lo, s21
	s_waitcnt lgkmcnt(0)
	s_barrier
	buffer_gl0_inv
	s_and_saveexec_b32 s21, s10
	s_cbranch_execz .LBB1974_442
; %bb.441:                              ;   in Loop: Header=BB1974_402 Depth=2
	ds_read_b32 v137, v46 offset:1024
	s_waitcnt lgkmcnt(0)
	v_mov_b32_dpp v138, v137 row_shr:1 row_mask:0xf bank_mask:0xf
	v_cndmask_b32_e64 v138, v138, 0, s18
	v_add_nc_u32_e32 v137, v138, v137
	v_mov_b32_dpp v138, v137 row_shr:2 row_mask:0xf bank_mask:0xf
	v_cndmask_b32_e64 v138, 0, v138, s19
	v_add_nc_u32_e32 v137, v137, v138
	;; [unrolled: 3-line block ×3, first 2 shown]
	ds_write_b32 v46, v137 offset:1024
.LBB1974_442:                           ;   in Loop: Header=BB1974_402 Depth=2
	s_or_b32 exec_lo, exec_lo, s21
	v_mov_b32_e32 v137, 0
	s_waitcnt lgkmcnt(0)
	s_barrier
	buffer_gl0_inv
	s_and_saveexec_b32 s21, s11
; %bb.443:                              ;   in Loop: Header=BB1974_402 Depth=2
	ds_read_b32 v137, v39 offset:1020
; %bb.444:                              ;   in Loop: Header=BB1974_402 Depth=2
	s_or_b32 exec_lo, exec_lo, s21
	s_waitcnt lgkmcnt(0)
	v_add_nc_u32_e32 v136, v137, v136
	ds_bpermute_b32 v136, v91, v136
	s_waitcnt lgkmcnt(0)
	v_cndmask_b32_e64 v136, v136, v137, s13
	v_cndmask_b32_e64 v136, v136, 0, s4
	v_add_nc_u32_e32 v27, v136, v27
	v_add_nc_u32_e32 v28, v27, v28
	;; [unrolled: 1-line block ×8, first 2 shown]
	ds_write2_b32 v78, v136, v27 offset1:1
	ds_write2_b32 v88, v28, v25 offset1:1
	;; [unrolled: 1-line block ×4, first 2 shown]
	ds_write_b32 v44, v22 offset:1088
	s_waitcnt lgkmcnt(0)
	s_barrier
	buffer_gl0_inv
	ds_read_b32 v24, v108 offset:1056
	ds_read_b32 v25, v112 offset:1056
	;; [unrolled: 1-line block ×9, first 2 shown]
	v_mov_b32_e32 v23, 0x800
	s_and_saveexec_b32 s21, s12
; %bb.445:                              ;   in Loop: Header=BB1974_402 Depth=2
	ds_read_b32 v23, v44 offset:1092
; %bb.446:                              ;   in Loop: Header=BB1974_402 Depth=2
	s_or_b32 exec_lo, exec_lo, s21
	s_waitcnt lgkmcnt(0)
	s_barrier
	buffer_gl0_inv
	s_and_saveexec_b32 s21, s8
	s_cbranch_execz .LBB1974_448
; %bb.447:                              ;   in Loop: Header=BB1974_402 Depth=2
	ds_read_b32 v112, v29
	s_waitcnt lgkmcnt(0)
	v_sub_nc_u32_e32 v108, v112, v108
	ds_write_b32 v29, v108
.LBB1974_448:                           ;   in Loop: Header=BB1974_402 Depth=2
	s_or_b32 exec_lo, exec_lo, s21
	v_add_nc_u32_e32 v112, v24, v106
	v_add3_u32 v108, v110, v109, v25
	v_add3_u32 v106, v115, v113, v26
	;; [unrolled: 1-line block ×4, first 2 shown]
	v_lshlrev_b32_e32 v109, 1, v112
	v_lshlrev_b32_e32 v110, 1, v108
	v_add3_u32 v27, v131, v129, v22
	v_lshlrev_b32_e32 v22, 1, v106
	v_add3_u32 v28, v134, v133, v21
	ds_write_b16 v109, v3 offset:1024
	ds_write_b16 v110, v107 offset:1024
	v_lshlrev_b32_e32 v3, 1, v26
	v_add3_u32 v24, v127, v125, v116
	ds_write_b16 v22, v111 offset:1024
	v_lshlrev_b32_e32 v21, 1, v25
	v_cmp_lt_u32_e32 vcc_lo, v0, v105
	ds_write_b16 v3, v114 offset:1024
	v_lshlrev_b32_e32 v3, 1, v28
	v_lshlrev_b32_e32 v22, 1, v24
	;; [unrolled: 1-line block ×3, first 2 shown]
	ds_write_b16 v21, v118 offset:1024
	ds_write_b16 v22, v122 offset:1024
	;; [unrolled: 1-line block ×4, first 2 shown]
	s_waitcnt lgkmcnt(0)
	s_barrier
	buffer_gl0_inv
	s_and_saveexec_b32 s22, vcc_lo
	s_cbranch_execnz .LBB1974_485
; %bb.449:                              ;   in Loop: Header=BB1974_402 Depth=2
	s_or_b32 exec_lo, exec_lo, s22
	v_cmp_lt_u32_e64 s21, v30, v105
	s_and_saveexec_b32 s23, s21
	s_cbranch_execnz .LBB1974_486
.LBB1974_450:                           ;   in Loop: Header=BB1974_402 Depth=2
	s_or_b32 exec_lo, exec_lo, s23
	v_cmp_lt_u32_e64 s22, v31, v105
	s_and_saveexec_b32 s24, s22
	s_cbranch_execnz .LBB1974_487
.LBB1974_451:                           ;   in Loop: Header=BB1974_402 Depth=2
	s_or_b32 exec_lo, exec_lo, s24
	v_cmp_lt_u32_e64 s23, v32, v105
	s_and_saveexec_b32 s25, s23
	s_cbranch_execnz .LBB1974_488
.LBB1974_452:                           ;   in Loop: Header=BB1974_402 Depth=2
	s_or_b32 exec_lo, exec_lo, s25
	v_cmp_lt_u32_e64 s24, v35, v105
	s_and_saveexec_b32 s26, s24
	s_cbranch_execnz .LBB1974_489
.LBB1974_453:                           ;   in Loop: Header=BB1974_402 Depth=2
	s_or_b32 exec_lo, exec_lo, s26
	v_cmp_lt_u32_e64 s25, v36, v105
	s_and_saveexec_b32 s27, s25
	s_cbranch_execnz .LBB1974_490
.LBB1974_454:                           ;   in Loop: Header=BB1974_402 Depth=2
	s_or_b32 exec_lo, exec_lo, s27
	v_cmp_lt_u32_e64 s26, v37, v105
	s_and_saveexec_b32 s28, s26
	s_cbranch_execnz .LBB1974_491
.LBB1974_455:                           ;   in Loop: Header=BB1974_402 Depth=2
	s_or_b32 exec_lo, exec_lo, s28
	v_cmp_lt_u32_e64 s27, v38, v105
	s_and_saveexec_b32 s54, s27
	s_cbranch_execz .LBB1974_457
.LBB1974_456:                           ;   in Loop: Header=BB1974_402 Depth=2
	ds_read_u16 v107, v47 offset:4608
	s_waitcnt lgkmcnt(0)
	v_cmp_ne_u16_e64 s28, 0x8000, v107
	v_cndmask_b32_e64 v3, 0x7fff, v107, s28
	v_cmp_gt_i16_e64 s28, 0, v107
	v_lshrrev_b32_sdwa v3, s49, v3 dst_sel:DWORD dst_unused:UNUSED_PAD src0_sel:DWORD src1_sel:WORD_0
	v_cndmask_b32_e64 v109, 0x7fff, 0, s28
	v_and_b32_e32 v3, s42, v3
	v_lshlrev_b32_e32 v3, 2, v3
	ds_read_b32 v3, v3
	s_waitcnt lgkmcnt(0)
	v_add_nc_u32_e32 v3, v3, v38
	v_lshlrev_b64 v[21:22], 1, v[3:4]
	v_xor_b32_e32 v3, v109, v107
	v_add_co_u32 v21, s28, s38, v21
	v_add_co_ci_u32_e64 v22, null, s39, v22, s28
	global_store_short v[21:22], v3, off
.LBB1974_457:                           ;   in Loop: Header=BB1974_402 Depth=2
	s_or_b32 exec_lo, exec_lo, s54
	s_lshl_b64 s[54:55], s[34:35], 3
	v_add_co_u32 v21, s28, v92, s54
	v_add_co_ci_u32_e64 v22, null, s55, v93, s28
	v_cmp_lt_u32_e64 s28, v66, v105
	s_and_saveexec_b32 s34, s28
	s_xor_b32 s28, exec_lo, s34
	s_cbranch_execnz .LBB1974_492
; %bb.458:                              ;   in Loop: Header=BB1974_402 Depth=2
	s_or_b32 exec_lo, exec_lo, s28
	s_mov_b32 s34, exec_lo
	v_cmpx_lt_u32_e64 v70, v105
	s_cbranch_execnz .LBB1974_493
.LBB1974_459:                           ;   in Loop: Header=BB1974_402 Depth=2
	s_or_b32 exec_lo, exec_lo, s34
	s_mov_b32 s34, exec_lo
	v_cmpx_lt_u32_e64 v71, v105
	s_cbranch_execnz .LBB1974_494
.LBB1974_460:                           ;   in Loop: Header=BB1974_402 Depth=2
	s_or_b32 exec_lo, exec_lo, s34
	s_mov_b32 s34, exec_lo
	v_cmpx_lt_u32_e64 v72, v105
	s_cbranch_execnz .LBB1974_495
.LBB1974_461:                           ;   in Loop: Header=BB1974_402 Depth=2
	s_or_b32 exec_lo, exec_lo, s34
	s_mov_b32 s34, exec_lo
	v_cmpx_lt_u32_e64 v73, v105
	s_cbranch_execnz .LBB1974_496
.LBB1974_462:                           ;   in Loop: Header=BB1974_402 Depth=2
	s_or_b32 exec_lo, exec_lo, s34
	s_mov_b32 s34, exec_lo
	v_cmpx_lt_u32_e64 v74, v105
	s_cbranch_execnz .LBB1974_497
.LBB1974_463:                           ;   in Loop: Header=BB1974_402 Depth=2
	s_or_b32 exec_lo, exec_lo, s34
	s_mov_b32 s34, exec_lo
	v_cmpx_lt_u32_e64 v75, v105
	s_cbranch_execnz .LBB1974_498
.LBB1974_464:                           ;   in Loop: Header=BB1974_402 Depth=2
	s_or_b32 exec_lo, exec_lo, s34
	s_mov_b32 s34, exec_lo
	v_cmpx_lt_u32_e64 v76, v105
	s_cbranch_execnz .LBB1974_499
.LBB1974_465:                           ;   in Loop: Header=BB1974_402 Depth=2
	s_or_b32 exec_lo, exec_lo, s34
	s_and_saveexec_b32 s34, vcc_lo
	s_cbranch_execnz .LBB1974_500
.LBB1974_466:                           ;   in Loop: Header=BB1974_402 Depth=2
	s_or_b32 exec_lo, exec_lo, s34
	s_and_saveexec_b32 s34, s21
	s_cbranch_execnz .LBB1974_501
.LBB1974_467:                           ;   in Loop: Header=BB1974_402 Depth=2
	s_or_b32 exec_lo, exec_lo, s34
	s_and_saveexec_b32 s34, s22
	s_cbranch_execnz .LBB1974_502
.LBB1974_468:                           ;   in Loop: Header=BB1974_402 Depth=2
	s_or_b32 exec_lo, exec_lo, s34
	s_and_saveexec_b32 s34, s23
	s_cbranch_execnz .LBB1974_503
.LBB1974_469:                           ;   in Loop: Header=BB1974_402 Depth=2
	s_or_b32 exec_lo, exec_lo, s34
	s_and_saveexec_b32 s34, s24
	s_cbranch_execnz .LBB1974_504
.LBB1974_470:                           ;   in Loop: Header=BB1974_402 Depth=2
	s_or_b32 exec_lo, exec_lo, s34
	s_and_saveexec_b32 s34, s25
	s_cbranch_execnz .LBB1974_505
.LBB1974_471:                           ;   in Loop: Header=BB1974_402 Depth=2
	s_or_b32 exec_lo, exec_lo, s34
	s_and_saveexec_b32 s34, s26
	s_cbranch_execnz .LBB1974_506
.LBB1974_472:                           ;   in Loop: Header=BB1974_402 Depth=2
	s_or_b32 exec_lo, exec_lo, s34
	s_and_saveexec_b32 s34, s27
	s_cbranch_execz .LBB1974_474
.LBB1974_473:                           ;   in Loop: Header=BB1974_402 Depth=2
	ds_read_u16 v3, v47 offset:4608
	s_waitcnt lgkmcnt(0)
	v_cmp_ne_u16_e64 s28, 0x8000, v3
	v_cndmask_b32_e64 v3, 0x7fff, v3, s28
	v_lshrrev_b32_sdwa v3, s49, v3 dst_sel:DWORD dst_unused:UNUSED_PAD src0_sel:DWORD src1_sel:WORD_0
	v_and_b32_e32 v97, s42, v3
.LBB1974_474:                           ;   in Loop: Header=BB1974_402 Depth=2
	s_or_b32 exec_lo, exec_lo, s34
	v_lshlrev_b32_e32 v3, 3, v112
	v_lshlrev_b32_e32 v21, 3, v108
	;; [unrolled: 1-line block ×3, first 2 shown]
	s_waitcnt vmcnt(0)
	s_waitcnt_vscnt null, 0x0
	s_barrier
	buffer_gl0_inv
	ds_write_b64 v3, v[19:20] offset:1024
	ds_write_b64 v21, v[17:18] offset:1024
	ds_write_b64 v22, v[15:16] offset:1024
	v_lshlrev_b32_e32 v3, 3, v26
	v_lshlrev_b32_e32 v21, 3, v25
	;; [unrolled: 1-line block ×5, first 2 shown]
	ds_write_b64 v3, v[13:14] offset:1024
	ds_write_b64 v21, v[11:12] offset:1024
	;; [unrolled: 1-line block ×5, first 2 shown]
	s_waitcnt lgkmcnt(0)
	s_barrier
	buffer_gl0_inv
	s_and_saveexec_b32 s28, vcc_lo
	s_cbranch_execnz .LBB1974_507
; %bb.475:                              ;   in Loop: Header=BB1974_402 Depth=2
	s_or_b32 exec_lo, exec_lo, s28
	s_and_saveexec_b32 s28, s21
	s_cbranch_execnz .LBB1974_508
.LBB1974_476:                           ;   in Loop: Header=BB1974_402 Depth=2
	s_or_b32 exec_lo, exec_lo, s28
	s_and_saveexec_b32 s21, s22
	s_cbranch_execnz .LBB1974_509
.LBB1974_477:                           ;   in Loop: Header=BB1974_402 Depth=2
	s_or_b32 exec_lo, exec_lo, s21
	s_and_saveexec_b32 s21, s23
	s_cbranch_execnz .LBB1974_510
.LBB1974_478:                           ;   in Loop: Header=BB1974_402 Depth=2
	s_or_b32 exec_lo, exec_lo, s21
	s_and_saveexec_b32 s21, s24
	s_cbranch_execnz .LBB1974_511
.LBB1974_479:                           ;   in Loop: Header=BB1974_402 Depth=2
	s_or_b32 exec_lo, exec_lo, s21
	s_and_saveexec_b32 s21, s25
	s_cbranch_execnz .LBB1974_512
.LBB1974_480:                           ;   in Loop: Header=BB1974_402 Depth=2
	s_or_b32 exec_lo, exec_lo, s21
	s_and_saveexec_b32 s21, s26
	s_cbranch_execnz .LBB1974_513
.LBB1974_481:                           ;   in Loop: Header=BB1974_402 Depth=2
	s_or_b32 exec_lo, exec_lo, s21
	s_and_saveexec_b32 s21, s27
	s_cbranch_execz .LBB1974_483
.LBB1974_482:                           ;   in Loop: Header=BB1974_402 Depth=2
	v_lshlrev_b32_e32 v3, 2, v97
	v_add_nc_u32_e32 v21, v47, v48
	ds_read_b32 v3, v3
	ds_read_b64 v[21:22], v21 offset:15360
	s_waitcnt lgkmcnt(1)
	v_add_nc_u32_e32 v3, v3, v38
	v_lshlrev_b64 v[24:25], 3, v[3:4]
	v_add_co_u32 v24, vcc_lo, s44, v24
	v_add_co_ci_u32_e64 v25, null, s45, v25, vcc_lo
	s_waitcnt lgkmcnt(0)
	global_store_dwordx2 v[24:25], v[21:22], off
.LBB1974_483:                           ;   in Loop: Header=BB1974_402 Depth=2
	s_or_b32 exec_lo, exec_lo, s21
	s_waitcnt_vscnt null, 0x0
	s_barrier
	buffer_gl0_inv
	s_and_saveexec_b32 s21, s8
	s_cbranch_execz .LBB1974_401
; %bb.484:                              ;   in Loop: Header=BB1974_402 Depth=2
	ds_read_b32 v3, v29
	s_waitcnt lgkmcnt(0)
	v_add_nc_u32_e32 v3, v3, v23
	ds_write_b32 v29, v3
	s_branch .LBB1974_401
.LBB1974_485:                           ;   in Loop: Header=BB1974_402 Depth=2
	ds_read_u16 v107, v47 offset:1024
	s_waitcnt lgkmcnt(0)
	v_cmp_ne_u16_e64 s21, 0x8000, v107
	v_cndmask_b32_e64 v3, 0x7fff, v107, s21
	v_cmp_gt_i16_e64 s21, 0, v107
	v_lshrrev_b32_sdwa v3, s49, v3 dst_sel:DWORD dst_unused:UNUSED_PAD src0_sel:DWORD src1_sel:WORD_0
	v_cndmask_b32_e64 v109, 0x7fff, 0, s21
	v_and_b32_e32 v3, s42, v3
	v_lshlrev_b32_e32 v3, 2, v3
	ds_read_b32 v3, v3
	s_waitcnt lgkmcnt(0)
	v_add_nc_u32_e32 v3, v3, v0
	v_lshlrev_b64 v[21:22], 1, v[3:4]
	v_xor_b32_e32 v3, v109, v107
	v_add_co_u32 v21, s21, s38, v21
	v_add_co_ci_u32_e64 v22, null, s39, v22, s21
	global_store_short v[21:22], v3, off
	s_or_b32 exec_lo, exec_lo, s22
	v_cmp_lt_u32_e64 s21, v30, v105
	s_and_saveexec_b32 s23, s21
	s_cbranch_execz .LBB1974_450
.LBB1974_486:                           ;   in Loop: Header=BB1974_402 Depth=2
	ds_read_u16 v107, v47 offset:1536
	s_waitcnt lgkmcnt(0)
	v_cmp_ne_u16_e64 s22, 0x8000, v107
	v_cndmask_b32_e64 v3, 0x7fff, v107, s22
	v_cmp_gt_i16_e64 s22, 0, v107
	v_lshrrev_b32_sdwa v3, s49, v3 dst_sel:DWORD dst_unused:UNUSED_PAD src0_sel:DWORD src1_sel:WORD_0
	v_cndmask_b32_e64 v109, 0x7fff, 0, s22
	v_and_b32_e32 v3, s42, v3
	v_lshlrev_b32_e32 v3, 2, v3
	ds_read_b32 v3, v3
	s_waitcnt lgkmcnt(0)
	v_add_nc_u32_e32 v3, v3, v30
	v_lshlrev_b64 v[21:22], 1, v[3:4]
	v_xor_b32_e32 v3, v109, v107
	v_add_co_u32 v21, s22, s38, v21
	v_add_co_ci_u32_e64 v22, null, s39, v22, s22
	global_store_short v[21:22], v3, off
	s_or_b32 exec_lo, exec_lo, s23
	v_cmp_lt_u32_e64 s22, v31, v105
	s_and_saveexec_b32 s24, s22
	s_cbranch_execz .LBB1974_451
.LBB1974_487:                           ;   in Loop: Header=BB1974_402 Depth=2
	ds_read_u16 v107, v47 offset:2048
	s_waitcnt lgkmcnt(0)
	v_cmp_ne_u16_e64 s23, 0x8000, v107
	v_cndmask_b32_e64 v3, 0x7fff, v107, s23
	v_cmp_gt_i16_e64 s23, 0, v107
	v_lshrrev_b32_sdwa v3, s49, v3 dst_sel:DWORD dst_unused:UNUSED_PAD src0_sel:DWORD src1_sel:WORD_0
	v_cndmask_b32_e64 v109, 0x7fff, 0, s23
	v_and_b32_e32 v3, s42, v3
	v_lshlrev_b32_e32 v3, 2, v3
	ds_read_b32 v3, v3
	s_waitcnt lgkmcnt(0)
	v_add_nc_u32_e32 v3, v3, v31
	v_lshlrev_b64 v[21:22], 1, v[3:4]
	v_xor_b32_e32 v3, v109, v107
	v_add_co_u32 v21, s23, s38, v21
	v_add_co_ci_u32_e64 v22, null, s39, v22, s23
	global_store_short v[21:22], v3, off
	s_or_b32 exec_lo, exec_lo, s24
	v_cmp_lt_u32_e64 s23, v32, v105
	s_and_saveexec_b32 s25, s23
	s_cbranch_execz .LBB1974_452
.LBB1974_488:                           ;   in Loop: Header=BB1974_402 Depth=2
	ds_read_u16 v107, v47 offset:2560
	s_waitcnt lgkmcnt(0)
	v_cmp_ne_u16_e64 s24, 0x8000, v107
	v_cndmask_b32_e64 v3, 0x7fff, v107, s24
	v_cmp_gt_i16_e64 s24, 0, v107
	v_lshrrev_b32_sdwa v3, s49, v3 dst_sel:DWORD dst_unused:UNUSED_PAD src0_sel:DWORD src1_sel:WORD_0
	v_cndmask_b32_e64 v109, 0x7fff, 0, s24
	v_and_b32_e32 v3, s42, v3
	v_lshlrev_b32_e32 v3, 2, v3
	ds_read_b32 v3, v3
	s_waitcnt lgkmcnt(0)
	v_add_nc_u32_e32 v3, v3, v32
	v_lshlrev_b64 v[21:22], 1, v[3:4]
	v_xor_b32_e32 v3, v109, v107
	v_add_co_u32 v21, s24, s38, v21
	v_add_co_ci_u32_e64 v22, null, s39, v22, s24
	global_store_short v[21:22], v3, off
	s_or_b32 exec_lo, exec_lo, s25
	v_cmp_lt_u32_e64 s24, v35, v105
	s_and_saveexec_b32 s26, s24
	s_cbranch_execz .LBB1974_453
.LBB1974_489:                           ;   in Loop: Header=BB1974_402 Depth=2
	ds_read_u16 v107, v47 offset:3072
	s_waitcnt lgkmcnt(0)
	v_cmp_ne_u16_e64 s25, 0x8000, v107
	v_cndmask_b32_e64 v3, 0x7fff, v107, s25
	v_cmp_gt_i16_e64 s25, 0, v107
	v_lshrrev_b32_sdwa v3, s49, v3 dst_sel:DWORD dst_unused:UNUSED_PAD src0_sel:DWORD src1_sel:WORD_0
	v_cndmask_b32_e64 v109, 0x7fff, 0, s25
	v_and_b32_e32 v3, s42, v3
	v_lshlrev_b32_e32 v3, 2, v3
	ds_read_b32 v3, v3
	s_waitcnt lgkmcnt(0)
	v_add_nc_u32_e32 v3, v3, v35
	v_lshlrev_b64 v[21:22], 1, v[3:4]
	v_xor_b32_e32 v3, v109, v107
	v_add_co_u32 v21, s25, s38, v21
	v_add_co_ci_u32_e64 v22, null, s39, v22, s25
	global_store_short v[21:22], v3, off
	s_or_b32 exec_lo, exec_lo, s26
	v_cmp_lt_u32_e64 s25, v36, v105
	s_and_saveexec_b32 s27, s25
	s_cbranch_execz .LBB1974_454
.LBB1974_490:                           ;   in Loop: Header=BB1974_402 Depth=2
	ds_read_u16 v107, v47 offset:3584
	s_waitcnt lgkmcnt(0)
	v_cmp_ne_u16_e64 s26, 0x8000, v107
	v_cndmask_b32_e64 v3, 0x7fff, v107, s26
	v_cmp_gt_i16_e64 s26, 0, v107
	v_lshrrev_b32_sdwa v3, s49, v3 dst_sel:DWORD dst_unused:UNUSED_PAD src0_sel:DWORD src1_sel:WORD_0
	v_cndmask_b32_e64 v109, 0x7fff, 0, s26
	v_and_b32_e32 v3, s42, v3
	v_lshlrev_b32_e32 v3, 2, v3
	ds_read_b32 v3, v3
	s_waitcnt lgkmcnt(0)
	v_add_nc_u32_e32 v3, v3, v36
	v_lshlrev_b64 v[21:22], 1, v[3:4]
	v_xor_b32_e32 v3, v109, v107
	v_add_co_u32 v21, s26, s38, v21
	v_add_co_ci_u32_e64 v22, null, s39, v22, s26
	global_store_short v[21:22], v3, off
	s_or_b32 exec_lo, exec_lo, s27
	v_cmp_lt_u32_e64 s26, v37, v105
	s_and_saveexec_b32 s28, s26
	s_cbranch_execz .LBB1974_455
.LBB1974_491:                           ;   in Loop: Header=BB1974_402 Depth=2
	ds_read_u16 v107, v47 offset:4096
	s_waitcnt lgkmcnt(0)
	v_cmp_ne_u16_e64 s27, 0x8000, v107
	v_cndmask_b32_e64 v3, 0x7fff, v107, s27
	v_cmp_gt_i16_e64 s27, 0, v107
	v_lshrrev_b32_sdwa v3, s49, v3 dst_sel:DWORD dst_unused:UNUSED_PAD src0_sel:DWORD src1_sel:WORD_0
	v_cndmask_b32_e64 v109, 0x7fff, 0, s27
	v_and_b32_e32 v3, s42, v3
	v_lshlrev_b32_e32 v3, 2, v3
	ds_read_b32 v3, v3
	s_waitcnt lgkmcnt(0)
	v_add_nc_u32_e32 v3, v3, v37
	v_lshlrev_b64 v[21:22], 1, v[3:4]
	v_xor_b32_e32 v3, v109, v107
	v_add_co_u32 v21, s27, s38, v21
	v_add_co_ci_u32_e64 v22, null, s39, v22, s27
	global_store_short v[21:22], v3, off
	s_or_b32 exec_lo, exec_lo, s28
	v_cmp_lt_u32_e64 s27, v38, v105
	s_and_saveexec_b32 s54, s27
	s_cbranch_execnz .LBB1974_456
	s_branch .LBB1974_457
.LBB1974_492:                           ;   in Loop: Header=BB1974_402 Depth=2
	global_load_dwordx2 v[19:20], v[21:22], off
	s_or_b32 exec_lo, exec_lo, s28
	s_mov_b32 s34, exec_lo
	v_cmpx_lt_u32_e64 v70, v105
	s_cbranch_execz .LBB1974_459
.LBB1974_493:                           ;   in Loop: Header=BB1974_402 Depth=2
	global_load_dwordx2 v[17:18], v[21:22], off offset:256
	s_or_b32 exec_lo, exec_lo, s34
	s_mov_b32 s34, exec_lo
	v_cmpx_lt_u32_e64 v71, v105
	s_cbranch_execz .LBB1974_460
.LBB1974_494:                           ;   in Loop: Header=BB1974_402 Depth=2
	global_load_dwordx2 v[15:16], v[21:22], off offset:512
	s_or_b32 exec_lo, exec_lo, s34
	s_mov_b32 s34, exec_lo
	v_cmpx_lt_u32_e64 v72, v105
	s_cbranch_execz .LBB1974_461
.LBB1974_495:                           ;   in Loop: Header=BB1974_402 Depth=2
	global_load_dwordx2 v[13:14], v[21:22], off offset:768
	s_or_b32 exec_lo, exec_lo, s34
	s_mov_b32 s34, exec_lo
	v_cmpx_lt_u32_e64 v73, v105
	s_cbranch_execz .LBB1974_462
.LBB1974_496:                           ;   in Loop: Header=BB1974_402 Depth=2
	global_load_dwordx2 v[11:12], v[21:22], off offset:1024
	s_or_b32 exec_lo, exec_lo, s34
	s_mov_b32 s34, exec_lo
	v_cmpx_lt_u32_e64 v74, v105
	s_cbranch_execz .LBB1974_463
.LBB1974_497:                           ;   in Loop: Header=BB1974_402 Depth=2
	global_load_dwordx2 v[9:10], v[21:22], off offset:1280
	s_or_b32 exec_lo, exec_lo, s34
	s_mov_b32 s34, exec_lo
	v_cmpx_lt_u32_e64 v75, v105
	s_cbranch_execz .LBB1974_464
.LBB1974_498:                           ;   in Loop: Header=BB1974_402 Depth=2
	global_load_dwordx2 v[7:8], v[21:22], off offset:1536
	s_or_b32 exec_lo, exec_lo, s34
	s_mov_b32 s34, exec_lo
	v_cmpx_lt_u32_e64 v76, v105
	s_cbranch_execz .LBB1974_465
.LBB1974_499:                           ;   in Loop: Header=BB1974_402 Depth=2
	global_load_dwordx2 v[5:6], v[21:22], off offset:1792
	s_or_b32 exec_lo, exec_lo, s34
	s_and_saveexec_b32 s34, vcc_lo
	s_cbranch_execz .LBB1974_466
.LBB1974_500:                           ;   in Loop: Header=BB1974_402 Depth=2
	ds_read_u16 v3, v47 offset:1024
	s_waitcnt lgkmcnt(0)
	v_cmp_ne_u16_e64 s28, 0x8000, v3
	v_cndmask_b32_e64 v3, 0x7fff, v3, s28
	v_lshrrev_b32_sdwa v3, s49, v3 dst_sel:DWORD dst_unused:UNUSED_PAD src0_sel:DWORD src1_sel:WORD_0
	v_and_b32_e32 v104, s42, v3
	s_or_b32 exec_lo, exec_lo, s34
	s_and_saveexec_b32 s34, s21
	s_cbranch_execz .LBB1974_467
.LBB1974_501:                           ;   in Loop: Header=BB1974_402 Depth=2
	ds_read_u16 v3, v47 offset:1536
	s_waitcnt lgkmcnt(0)
	v_cmp_ne_u16_e64 s28, 0x8000, v3
	v_cndmask_b32_e64 v3, 0x7fff, v3, s28
	v_lshrrev_b32_sdwa v3, s49, v3 dst_sel:DWORD dst_unused:UNUSED_PAD src0_sel:DWORD src1_sel:WORD_0
	v_and_b32_e32 v103, s42, v3
	s_or_b32 exec_lo, exec_lo, s34
	s_and_saveexec_b32 s34, s22
	s_cbranch_execz .LBB1974_468
.LBB1974_502:                           ;   in Loop: Header=BB1974_402 Depth=2
	ds_read_u16 v3, v47 offset:2048
	s_waitcnt lgkmcnt(0)
	v_cmp_ne_u16_e64 s28, 0x8000, v3
	v_cndmask_b32_e64 v3, 0x7fff, v3, s28
	v_lshrrev_b32_sdwa v3, s49, v3 dst_sel:DWORD dst_unused:UNUSED_PAD src0_sel:DWORD src1_sel:WORD_0
	v_and_b32_e32 v102, s42, v3
	s_or_b32 exec_lo, exec_lo, s34
	s_and_saveexec_b32 s34, s23
	s_cbranch_execz .LBB1974_469
.LBB1974_503:                           ;   in Loop: Header=BB1974_402 Depth=2
	ds_read_u16 v3, v47 offset:2560
	s_waitcnt lgkmcnt(0)
	v_cmp_ne_u16_e64 s28, 0x8000, v3
	v_cndmask_b32_e64 v3, 0x7fff, v3, s28
	v_lshrrev_b32_sdwa v3, s49, v3 dst_sel:DWORD dst_unused:UNUSED_PAD src0_sel:DWORD src1_sel:WORD_0
	v_and_b32_e32 v101, s42, v3
	s_or_b32 exec_lo, exec_lo, s34
	s_and_saveexec_b32 s34, s24
	s_cbranch_execz .LBB1974_470
.LBB1974_504:                           ;   in Loop: Header=BB1974_402 Depth=2
	ds_read_u16 v3, v47 offset:3072
	s_waitcnt lgkmcnt(0)
	v_cmp_ne_u16_e64 s28, 0x8000, v3
	v_cndmask_b32_e64 v3, 0x7fff, v3, s28
	v_lshrrev_b32_sdwa v3, s49, v3 dst_sel:DWORD dst_unused:UNUSED_PAD src0_sel:DWORD src1_sel:WORD_0
	v_and_b32_e32 v100, s42, v3
	s_or_b32 exec_lo, exec_lo, s34
	s_and_saveexec_b32 s34, s25
	s_cbranch_execz .LBB1974_471
.LBB1974_505:                           ;   in Loop: Header=BB1974_402 Depth=2
	ds_read_u16 v3, v47 offset:3584
	s_waitcnt lgkmcnt(0)
	v_cmp_ne_u16_e64 s28, 0x8000, v3
	v_cndmask_b32_e64 v3, 0x7fff, v3, s28
	v_lshrrev_b32_sdwa v3, s49, v3 dst_sel:DWORD dst_unused:UNUSED_PAD src0_sel:DWORD src1_sel:WORD_0
	v_and_b32_e32 v99, s42, v3
	s_or_b32 exec_lo, exec_lo, s34
	s_and_saveexec_b32 s34, s26
	s_cbranch_execz .LBB1974_472
.LBB1974_506:                           ;   in Loop: Header=BB1974_402 Depth=2
	ds_read_u16 v3, v47 offset:4096
	s_waitcnt lgkmcnt(0)
	v_cmp_ne_u16_e64 s28, 0x8000, v3
	v_cndmask_b32_e64 v3, 0x7fff, v3, s28
	v_lshrrev_b32_sdwa v3, s49, v3 dst_sel:DWORD dst_unused:UNUSED_PAD src0_sel:DWORD src1_sel:WORD_0
	v_and_b32_e32 v98, s42, v3
	s_or_b32 exec_lo, exec_lo, s34
	s_and_saveexec_b32 s34, s27
	s_cbranch_execnz .LBB1974_473
	s_branch .LBB1974_474
.LBB1974_507:                           ;   in Loop: Header=BB1974_402 Depth=2
	v_lshlrev_b32_e32 v3, 2, v104
	v_add_nc_u32_e32 v21, v47, v48
	ds_read_b32 v3, v3
	ds_read_b64 v[21:22], v21 offset:1024
	s_waitcnt lgkmcnt(1)
	v_add_nc_u32_e32 v3, v3, v0
	v_lshlrev_b64 v[24:25], 3, v[3:4]
	v_add_co_u32 v24, vcc_lo, s44, v24
	v_add_co_ci_u32_e64 v25, null, s45, v25, vcc_lo
	s_waitcnt lgkmcnt(0)
	global_store_dwordx2 v[24:25], v[21:22], off
	s_or_b32 exec_lo, exec_lo, s28
	s_and_saveexec_b32 s28, s21
	s_cbranch_execz .LBB1974_476
.LBB1974_508:                           ;   in Loop: Header=BB1974_402 Depth=2
	v_lshlrev_b32_e32 v3, 2, v103
	v_add_nc_u32_e32 v21, v47, v48
	ds_read_b32 v3, v3
	ds_read_b64 v[21:22], v21 offset:3072
	s_waitcnt lgkmcnt(1)
	v_add_nc_u32_e32 v3, v3, v30
	v_lshlrev_b64 v[24:25], 3, v[3:4]
	v_add_co_u32 v24, vcc_lo, s44, v24
	v_add_co_ci_u32_e64 v25, null, s45, v25, vcc_lo
	s_waitcnt lgkmcnt(0)
	global_store_dwordx2 v[24:25], v[21:22], off
	s_or_b32 exec_lo, exec_lo, s28
	s_and_saveexec_b32 s21, s22
	s_cbranch_execz .LBB1974_477
.LBB1974_509:                           ;   in Loop: Header=BB1974_402 Depth=2
	v_lshlrev_b32_e32 v3, 2, v102
	v_add_nc_u32_e32 v21, v47, v48
	ds_read_b32 v3, v3
	ds_read_b64 v[21:22], v21 offset:5120
	s_waitcnt lgkmcnt(1)
	v_add_nc_u32_e32 v3, v3, v31
	v_lshlrev_b64 v[24:25], 3, v[3:4]
	v_add_co_u32 v24, vcc_lo, s44, v24
	v_add_co_ci_u32_e64 v25, null, s45, v25, vcc_lo
	s_waitcnt lgkmcnt(0)
	global_store_dwordx2 v[24:25], v[21:22], off
	s_or_b32 exec_lo, exec_lo, s21
	s_and_saveexec_b32 s21, s23
	s_cbranch_execz .LBB1974_478
.LBB1974_510:                           ;   in Loop: Header=BB1974_402 Depth=2
	v_lshlrev_b32_e32 v3, 2, v101
	v_add_nc_u32_e32 v21, v47, v48
	ds_read_b32 v3, v3
	ds_read_b64 v[21:22], v21 offset:7168
	s_waitcnt lgkmcnt(1)
	v_add_nc_u32_e32 v3, v3, v32
	v_lshlrev_b64 v[24:25], 3, v[3:4]
	v_add_co_u32 v24, vcc_lo, s44, v24
	v_add_co_ci_u32_e64 v25, null, s45, v25, vcc_lo
	s_waitcnt lgkmcnt(0)
	global_store_dwordx2 v[24:25], v[21:22], off
	s_or_b32 exec_lo, exec_lo, s21
	s_and_saveexec_b32 s21, s24
	s_cbranch_execz .LBB1974_479
.LBB1974_511:                           ;   in Loop: Header=BB1974_402 Depth=2
	v_lshlrev_b32_e32 v3, 2, v100
	v_add_nc_u32_e32 v21, v47, v48
	ds_read_b32 v3, v3
	ds_read_b64 v[21:22], v21 offset:9216
	s_waitcnt lgkmcnt(1)
	v_add_nc_u32_e32 v3, v3, v35
	v_lshlrev_b64 v[24:25], 3, v[3:4]
	v_add_co_u32 v24, vcc_lo, s44, v24
	v_add_co_ci_u32_e64 v25, null, s45, v25, vcc_lo
	s_waitcnt lgkmcnt(0)
	global_store_dwordx2 v[24:25], v[21:22], off
	s_or_b32 exec_lo, exec_lo, s21
	s_and_saveexec_b32 s21, s25
	s_cbranch_execz .LBB1974_480
.LBB1974_512:                           ;   in Loop: Header=BB1974_402 Depth=2
	v_lshlrev_b32_e32 v3, 2, v99
	v_add_nc_u32_e32 v21, v47, v48
	ds_read_b32 v3, v3
	ds_read_b64 v[21:22], v21 offset:11264
	s_waitcnt lgkmcnt(1)
	v_add_nc_u32_e32 v3, v3, v36
	v_lshlrev_b64 v[24:25], 3, v[3:4]
	v_add_co_u32 v24, vcc_lo, s44, v24
	v_add_co_ci_u32_e64 v25, null, s45, v25, vcc_lo
	s_waitcnt lgkmcnt(0)
	global_store_dwordx2 v[24:25], v[21:22], off
	s_or_b32 exec_lo, exec_lo, s21
	s_and_saveexec_b32 s21, s26
	s_cbranch_execz .LBB1974_481
.LBB1974_513:                           ;   in Loop: Header=BB1974_402 Depth=2
	v_lshlrev_b32_e32 v3, 2, v98
	v_add_nc_u32_e32 v21, v47, v48
	ds_read_b32 v3, v3
	ds_read_b64 v[21:22], v21 offset:13312
	s_waitcnt lgkmcnt(1)
	v_add_nc_u32_e32 v3, v3, v37
	v_lshlrev_b64 v[24:25], 3, v[3:4]
	v_add_co_u32 v24, vcc_lo, s44, v24
	v_add_co_ci_u32_e64 v25, null, s45, v25, vcc_lo
	s_waitcnt lgkmcnt(0)
	global_store_dwordx2 v[24:25], v[21:22], off
	s_or_b32 exec_lo, exec_lo, s21
	s_and_saveexec_b32 s21, s27
	s_cbranch_execnz .LBB1974_482
	s_branch .LBB1974_483
.LBB1974_514:                           ;   in Loop: Header=BB1974_20 Depth=1
	s_waitcnt lgkmcnt(0)
	s_mov_b32 s5, 0
	s_barrier
.LBB1974_515:                           ;   in Loop: Header=BB1974_20 Depth=1
	s_and_b32 vcc_lo, exec_lo, s5
	s_cbranch_vccz .LBB1974_19
; %bb.516:                              ;   in Loop: Header=BB1974_20 Depth=1
	s_mov_b32 s5, s53
	s_mov_b32 s34, s33
	s_barrier
	buffer_gl0_inv
                                        ; implicit-def: $vgpr3
                                        ; implicit-def: $vgpr5
                                        ; implicit-def: $vgpr6
                                        ; implicit-def: $vgpr7
                                        ; implicit-def: $vgpr8
                                        ; implicit-def: $vgpr9
                                        ; implicit-def: $vgpr10
                                        ; implicit-def: $vgpr11
	s_branch .LBB1974_518
.LBB1974_517:                           ;   in Loop: Header=BB1974_518 Depth=2
	s_or_b32 exec_lo, exec_lo, s14
	s_addk_i32 s5, 0xf800
	s_cmp_ge_u32 s16, s52
	s_mov_b32 s34, s16
	s_cbranch_scc1 .LBB1974_554
.LBB1974_518:                           ;   Parent Loop BB1974_20 Depth=1
                                        ; =>  This Inner Loop Header: Depth=2
	s_add_i32 s16, s34, 0x800
	s_mov_b32 s14, -1
	s_cmp_gt_u32 s16, s52
                                        ; implicit-def: $vgpr12
                                        ; implicit-def: $vgpr13
                                        ; implicit-def: $vgpr14
                                        ; implicit-def: $vgpr15
                                        ; implicit-def: $vgpr16
                                        ; implicit-def: $vgpr17
                                        ; implicit-def: $vgpr18
                                        ; implicit-def: $vgpr19
	s_cbranch_scc1 .LBB1974_520
; %bb.519:                              ;   in Loop: Header=BB1974_518 Depth=2
	s_lshl_b64 s[14:15], s[34:35], 1
	v_add_co_u32 v15, vcc_lo, v55, s14
	v_add_co_ci_u32_e64 v16, null, s15, v56, vcc_lo
	s_mov_b32 s14, 0
	v_add_co_u32 v19, vcc_lo, 0x800, v15
	v_add_co_ci_u32_e64 v20, null, 0, v16, vcc_lo
	s_clause 0x7
	global_load_ushort v12, v[15:16], off
	global_load_ushort v13, v[15:16], off offset:512
	global_load_ushort v14, v[15:16], off offset:1024
	global_load_ushort v15, v[15:16], off offset:1536
	global_load_ushort v16, v[19:20], off
	global_load_ushort v17, v[19:20], off offset:512
	global_load_ushort v18, v[19:20], off offset:1024
	;; [unrolled: 1-line block ×3, first 2 shown]
.LBB1974_520:                           ;   in Loop: Header=BB1974_518 Depth=2
	s_andn2_b32 vcc_lo, exec_lo, s14
	s_movk_i32 s14, 0x800
	s_cbranch_vccnz .LBB1974_531
; %bb.521:                              ;   in Loop: Header=BB1974_518 Depth=2
	s_lshl_b64 s[14:15], s[34:35], 1
	s_mov_b32 s17, exec_lo
	s_add_u32 s14, s36, s14
	s_addc_u32 s15, s37, s15
	v_cmpx_gt_u32_e64 s5, v0
	s_cbranch_execnz .LBB1974_547
; %bb.522:                              ;   in Loop: Header=BB1974_518 Depth=2
	s_or_b32 exec_lo, exec_lo, s17
	s_mov_b32 s17, exec_lo
	v_cmpx_gt_u32_e64 s5, v30
	s_cbranch_execnz .LBB1974_548
.LBB1974_523:                           ;   in Loop: Header=BB1974_518 Depth=2
	s_or_b32 exec_lo, exec_lo, s17
	s_mov_b32 s17, exec_lo
	v_cmpx_gt_u32_e64 s5, v31
	s_cbranch_execnz .LBB1974_549
.LBB1974_524:                           ;   in Loop: Header=BB1974_518 Depth=2
	s_or_b32 exec_lo, exec_lo, s17
	s_mov_b32 s17, exec_lo
	v_cmpx_gt_u32_e64 s5, v32
	s_cbranch_execnz .LBB1974_550
.LBB1974_525:                           ;   in Loop: Header=BB1974_518 Depth=2
	s_or_b32 exec_lo, exec_lo, s17
	s_mov_b32 s17, exec_lo
	v_cmpx_gt_u32_e64 s5, v35
	s_cbranch_execnz .LBB1974_551
.LBB1974_526:                           ;   in Loop: Header=BB1974_518 Depth=2
	s_or_b32 exec_lo, exec_lo, s17
	s_mov_b32 s17, exec_lo
	v_cmpx_gt_u32_e64 s5, v36
	s_cbranch_execnz .LBB1974_552
.LBB1974_527:                           ;   in Loop: Header=BB1974_518 Depth=2
	s_or_b32 exec_lo, exec_lo, s17
	s_mov_b32 s17, exec_lo
	v_cmpx_gt_u32_e64 s5, v37
	s_cbranch_execnz .LBB1974_553
.LBB1974_528:                           ;   in Loop: Header=BB1974_518 Depth=2
	s_or_b32 exec_lo, exec_lo, s17
	s_mov_b32 s17, exec_lo
	v_cmpx_gt_u32_e64 s5, v38
	s_cbranch_execz .LBB1974_530
.LBB1974_529:                           ;   in Loop: Header=BB1974_518 Depth=2
	global_load_ushort v3, v87, s[14:15]
.LBB1974_530:                           ;   in Loop: Header=BB1974_518 Depth=2
	s_or_b32 exec_lo, exec_lo, s17
	s_waitcnt vmcnt(0)
	v_mov_b32_e32 v12, v11
	v_mov_b32_e32 v13, v10
	;; [unrolled: 1-line block ×8, first 2 shown]
	s_mov_b32 s14, s5
.LBB1974_531:                           ;   in Loop: Header=BB1974_518 Depth=2
	s_waitcnt vmcnt(0)
	v_mov_b32_e32 v3, v19
	v_mov_b32_e32 v5, v18
	;; [unrolled: 1-line block ×8, first 2 shown]
	s_mov_b32 s15, exec_lo
	v_cmpx_gt_u32_e64 s14, v0
	s_cbranch_execnz .LBB1974_539
; %bb.532:                              ;   in Loop: Header=BB1974_518 Depth=2
	s_or_b32 exec_lo, exec_lo, s15
	s_mov_b32 s15, exec_lo
	v_cmpx_gt_u32_e64 s14, v30
	s_cbranch_execnz .LBB1974_540
.LBB1974_533:                           ;   in Loop: Header=BB1974_518 Depth=2
	s_or_b32 exec_lo, exec_lo, s15
	s_mov_b32 s15, exec_lo
	v_cmpx_gt_u32_e64 s14, v31
	s_cbranch_execnz .LBB1974_541
.LBB1974_534:                           ;   in Loop: Header=BB1974_518 Depth=2
	s_or_b32 exec_lo, exec_lo, s15
	s_mov_b32 s15, exec_lo
	v_cmpx_gt_u32_e64 s14, v32
	s_cbranch_execnz .LBB1974_542
.LBB1974_535:                           ;   in Loop: Header=BB1974_518 Depth=2
	s_or_b32 exec_lo, exec_lo, s15
	s_mov_b32 s15, exec_lo
	v_cmpx_gt_u32_e64 s14, v35
	s_cbranch_execnz .LBB1974_543
.LBB1974_536:                           ;   in Loop: Header=BB1974_518 Depth=2
	s_or_b32 exec_lo, exec_lo, s15
	s_mov_b32 s15, exec_lo
	v_cmpx_gt_u32_e64 s14, v36
	s_cbranch_execnz .LBB1974_544
.LBB1974_537:                           ;   in Loop: Header=BB1974_518 Depth=2
	s_or_b32 exec_lo, exec_lo, s15
	s_mov_b32 s15, exec_lo
	v_cmpx_gt_u32_e64 s14, v37
	s_cbranch_execnz .LBB1974_545
.LBB1974_538:                           ;   in Loop: Header=BB1974_518 Depth=2
	s_or_b32 exec_lo, exec_lo, s15
	v_cmp_gt_u32_e32 vcc_lo, s14, v38
	s_and_saveexec_b32 s14, vcc_lo
	s_cbranch_execz .LBB1974_517
	s_branch .LBB1974_546
.LBB1974_539:                           ;   in Loop: Header=BB1974_518 Depth=2
	v_cmp_gt_i16_e32 vcc_lo, 0, v11
	v_cndmask_b32_e64 v12, 0x7fff, 0, vcc_lo
	v_xor_b32_e32 v12, v12, v11
	v_cmp_ne_u16_e32 vcc_lo, 0x8000, v12
	v_cndmask_b32_e32 v12, 0x7fff, v12, vcc_lo
	v_lshrrev_b32_sdwa v12, s49, v12 dst_sel:DWORD dst_unused:UNUSED_PAD src0_sel:DWORD src1_sel:WORD_0
	v_and_b32_e32 v12, s42, v12
	v_lshl_or_b32 v12, v12, 4, v40
	ds_add_u32 v12, v62
	s_or_b32 exec_lo, exec_lo, s15
	s_mov_b32 s15, exec_lo
	v_cmpx_gt_u32_e64 s14, v30
	s_cbranch_execz .LBB1974_533
.LBB1974_540:                           ;   in Loop: Header=BB1974_518 Depth=2
	v_cmp_gt_i16_e32 vcc_lo, 0, v10
	v_cndmask_b32_e64 v12, 0x7fff, 0, vcc_lo
	v_xor_b32_e32 v12, v12, v10
	v_cmp_ne_u16_e32 vcc_lo, 0x8000, v12
	v_cndmask_b32_e32 v12, 0x7fff, v12, vcc_lo
	v_lshrrev_b32_sdwa v12, s49, v12 dst_sel:DWORD dst_unused:UNUSED_PAD src0_sel:DWORD src1_sel:WORD_0
	v_and_b32_e32 v12, s42, v12
	v_lshl_or_b32 v12, v12, 4, v40
	ds_add_u32 v12, v62
	s_or_b32 exec_lo, exec_lo, s15
	s_mov_b32 s15, exec_lo
	v_cmpx_gt_u32_e64 s14, v31
	s_cbranch_execz .LBB1974_534
.LBB1974_541:                           ;   in Loop: Header=BB1974_518 Depth=2
	v_cmp_gt_i16_e32 vcc_lo, 0, v9
	v_cndmask_b32_e64 v12, 0x7fff, 0, vcc_lo
	v_xor_b32_e32 v12, v12, v9
	v_cmp_ne_u16_e32 vcc_lo, 0x8000, v12
	v_cndmask_b32_e32 v12, 0x7fff, v12, vcc_lo
	v_lshrrev_b32_sdwa v12, s49, v12 dst_sel:DWORD dst_unused:UNUSED_PAD src0_sel:DWORD src1_sel:WORD_0
	v_and_b32_e32 v12, s42, v12
	v_lshl_or_b32 v12, v12, 4, v40
	ds_add_u32 v12, v62
	s_or_b32 exec_lo, exec_lo, s15
	s_mov_b32 s15, exec_lo
	v_cmpx_gt_u32_e64 s14, v32
	s_cbranch_execz .LBB1974_535
.LBB1974_542:                           ;   in Loop: Header=BB1974_518 Depth=2
	v_cmp_gt_i16_e32 vcc_lo, 0, v8
	v_cndmask_b32_e64 v12, 0x7fff, 0, vcc_lo
	v_xor_b32_e32 v12, v12, v8
	v_cmp_ne_u16_e32 vcc_lo, 0x8000, v12
	v_cndmask_b32_e32 v12, 0x7fff, v12, vcc_lo
	v_lshrrev_b32_sdwa v12, s49, v12 dst_sel:DWORD dst_unused:UNUSED_PAD src0_sel:DWORD src1_sel:WORD_0
	v_and_b32_e32 v12, s42, v12
	v_lshl_or_b32 v12, v12, 4, v40
	ds_add_u32 v12, v62
	s_or_b32 exec_lo, exec_lo, s15
	s_mov_b32 s15, exec_lo
	v_cmpx_gt_u32_e64 s14, v35
	s_cbranch_execz .LBB1974_536
.LBB1974_543:                           ;   in Loop: Header=BB1974_518 Depth=2
	v_cmp_gt_i16_e32 vcc_lo, 0, v7
	v_cndmask_b32_e64 v12, 0x7fff, 0, vcc_lo
	v_xor_b32_e32 v12, v12, v7
	v_cmp_ne_u16_e32 vcc_lo, 0x8000, v12
	v_cndmask_b32_e32 v12, 0x7fff, v12, vcc_lo
	v_lshrrev_b32_sdwa v12, s49, v12 dst_sel:DWORD dst_unused:UNUSED_PAD src0_sel:DWORD src1_sel:WORD_0
	v_and_b32_e32 v12, s42, v12
	v_lshl_or_b32 v12, v12, 4, v40
	ds_add_u32 v12, v62
	s_or_b32 exec_lo, exec_lo, s15
	s_mov_b32 s15, exec_lo
	v_cmpx_gt_u32_e64 s14, v36
	s_cbranch_execz .LBB1974_537
.LBB1974_544:                           ;   in Loop: Header=BB1974_518 Depth=2
	v_cmp_gt_i16_e32 vcc_lo, 0, v6
	v_cndmask_b32_e64 v12, 0x7fff, 0, vcc_lo
	v_xor_b32_e32 v12, v12, v6
	v_cmp_ne_u16_e32 vcc_lo, 0x8000, v12
	v_cndmask_b32_e32 v12, 0x7fff, v12, vcc_lo
	v_lshrrev_b32_sdwa v12, s49, v12 dst_sel:DWORD dst_unused:UNUSED_PAD src0_sel:DWORD src1_sel:WORD_0
	v_and_b32_e32 v12, s42, v12
	v_lshl_or_b32 v12, v12, 4, v40
	ds_add_u32 v12, v62
	s_or_b32 exec_lo, exec_lo, s15
	s_mov_b32 s15, exec_lo
	v_cmpx_gt_u32_e64 s14, v37
	s_cbranch_execz .LBB1974_538
.LBB1974_545:                           ;   in Loop: Header=BB1974_518 Depth=2
	v_cmp_gt_i16_e32 vcc_lo, 0, v5
	v_cndmask_b32_e64 v12, 0x7fff, 0, vcc_lo
	v_xor_b32_e32 v12, v12, v5
	v_cmp_ne_u16_e32 vcc_lo, 0x8000, v12
	v_cndmask_b32_e32 v12, 0x7fff, v12, vcc_lo
	v_lshrrev_b32_sdwa v12, s49, v12 dst_sel:DWORD dst_unused:UNUSED_PAD src0_sel:DWORD src1_sel:WORD_0
	v_and_b32_e32 v12, s42, v12
	v_lshl_or_b32 v12, v12, 4, v40
	ds_add_u32 v12, v62
	s_or_b32 exec_lo, exec_lo, s15
	v_cmp_gt_u32_e32 vcc_lo, s14, v38
	s_and_saveexec_b32 s14, vcc_lo
	s_cbranch_execz .LBB1974_517
.LBB1974_546:                           ;   in Loop: Header=BB1974_518 Depth=2
	v_cmp_gt_i16_e32 vcc_lo, 0, v3
	v_cndmask_b32_e64 v12, 0x7fff, 0, vcc_lo
	v_xor_b32_e32 v12, v12, v3
	v_cmp_ne_u16_e32 vcc_lo, 0x8000, v12
	v_cndmask_b32_e32 v12, 0x7fff, v12, vcc_lo
	v_lshrrev_b32_sdwa v12, s49, v12 dst_sel:DWORD dst_unused:UNUSED_PAD src0_sel:DWORD src1_sel:WORD_0
	v_and_b32_e32 v12, s42, v12
	v_lshl_or_b32 v12, v12, 4, v40
	ds_add_u32 v12, v62
	s_branch .LBB1974_517
.LBB1974_547:                           ;   in Loop: Header=BB1974_518 Depth=2
	global_load_ushort v11, v79, s[14:15]
	s_or_b32 exec_lo, exec_lo, s17
	s_mov_b32 s17, exec_lo
	v_cmpx_gt_u32_e64 s5, v30
	s_cbranch_execz .LBB1974_523
.LBB1974_548:                           ;   in Loop: Header=BB1974_518 Depth=2
	global_load_ushort v10, v79, s[14:15] offset:512
	s_or_b32 exec_lo, exec_lo, s17
	s_mov_b32 s17, exec_lo
	v_cmpx_gt_u32_e64 s5, v31
	s_cbranch_execz .LBB1974_524
.LBB1974_549:                           ;   in Loop: Header=BB1974_518 Depth=2
	global_load_ushort v9, v79, s[14:15] offset:1024
	s_or_b32 exec_lo, exec_lo, s17
	s_mov_b32 s17, exec_lo
	v_cmpx_gt_u32_e64 s5, v32
	s_cbranch_execz .LBB1974_525
.LBB1974_550:                           ;   in Loop: Header=BB1974_518 Depth=2
	global_load_ushort v8, v79, s[14:15] offset:1536
	s_or_b32 exec_lo, exec_lo, s17
	s_mov_b32 s17, exec_lo
	v_cmpx_gt_u32_e64 s5, v35
	s_cbranch_execz .LBB1974_526
.LBB1974_551:                           ;   in Loop: Header=BB1974_518 Depth=2
	global_load_ushort v7, v80, s[14:15]
	s_or_b32 exec_lo, exec_lo, s17
	s_mov_b32 s17, exec_lo
	v_cmpx_gt_u32_e64 s5, v36
	s_cbranch_execz .LBB1974_527
.LBB1974_552:                           ;   in Loop: Header=BB1974_518 Depth=2
	global_load_ushort v6, v81, s[14:15]
	s_or_b32 exec_lo, exec_lo, s17
	s_mov_b32 s17, exec_lo
	v_cmpx_gt_u32_e64 s5, v37
	s_cbranch_execz .LBB1974_528
.LBB1974_553:                           ;   in Loop: Header=BB1974_518 Depth=2
	global_load_ushort v5, v82, s[14:15]
	s_or_b32 exec_lo, exec_lo, s17
	s_mov_b32 s17, exec_lo
	v_cmpx_gt_u32_e64 s5, v38
	s_cbranch_execnz .LBB1974_529
	s_branch .LBB1974_530
.LBB1974_554:                           ;   in Loop: Header=BB1974_20 Depth=1
	v_mov_b32_e32 v3, 0
	s_waitcnt lgkmcnt(0)
	s_barrier
	buffer_gl0_inv
	s_and_saveexec_b32 s5, s8
	s_cbranch_execz .LBB1974_556
; %bb.555:                              ;   in Loop: Header=BB1974_20 Depth=1
	ds_read2_b64 v[5:8], v41 offset1:1
	s_waitcnt lgkmcnt(0)
	v_add_nc_u32_e32 v3, v6, v5
	v_add3_u32 v3, v3, v7, v8
.LBB1974_556:                           ;   in Loop: Header=BB1974_20 Depth=1
	s_or_b32 exec_lo, exec_lo, s5
	v_mov_b32_dpp v5, v3 row_shr:1 row_mask:0xf bank_mask:0xf
	v_cmp_eq_u32_e64 s5, 0, v63
	v_cmp_lt_u32_e64 s14, 1, v63
	v_cmp_lt_u32_e64 s15, 3, v63
	;; [unrolled: 1-line block ×3, first 2 shown]
	v_cmp_eq_u32_e64 s17, 0, v65
	v_cndmask_b32_e64 v5, v5, 0, s5
	v_add_nc_u32_e32 v3, v5, v3
	v_mov_b32_dpp v5, v3 row_shr:2 row_mask:0xf bank_mask:0xf
	v_cndmask_b32_e64 v5, 0, v5, s14
	v_add_nc_u32_e32 v3, v3, v5
	v_mov_b32_dpp v5, v3 row_shr:4 row_mask:0xf bank_mask:0xf
	;; [unrolled: 3-line block ×3, first 2 shown]
	v_cndmask_b32_e64 v5, 0, v5, s16
	v_add_nc_u32_e32 v3, v3, v5
	ds_swizzle_b32 v5, v3 offset:swizzle(BROADCAST,32,15)
	s_waitcnt lgkmcnt(0)
	v_and_b32_e32 v5, v64, v5
	v_add_nc_u32_e32 v3, v3, v5
	s_and_saveexec_b32 s18, s9
; %bb.557:                              ;   in Loop: Header=BB1974_20 Depth=1
	ds_write_b32 v42, v3
; %bb.558:                              ;   in Loop: Header=BB1974_20 Depth=1
	s_or_b32 exec_lo, exec_lo, s18
	s_waitcnt lgkmcnt(0)
	s_barrier
	buffer_gl0_inv
	s_and_saveexec_b32 s18, s10
	s_cbranch_execz .LBB1974_560
; %bb.559:                              ;   in Loop: Header=BB1974_20 Depth=1
	ds_read_b32 v5, v43
	v_cmp_ne_u32_e32 vcc_lo, 0, v67
	s_waitcnt lgkmcnt(0)
	v_mov_b32_dpp v6, v5 row_shr:1 row_mask:0xf bank_mask:0xf
	v_cndmask_b32_e32 v6, 0, v6, vcc_lo
	v_cmp_lt_u32_e32 vcc_lo, 1, v67
	v_add_nc_u32_e32 v5, v6, v5
	v_mov_b32_dpp v6, v5 row_shr:2 row_mask:0xf bank_mask:0xf
	v_cndmask_b32_e32 v6, 0, v6, vcc_lo
	v_cmp_lt_u32_e32 vcc_lo, 3, v67
	v_add_nc_u32_e32 v5, v5, v6
	v_mov_b32_dpp v6, v5 row_shr:4 row_mask:0xf bank_mask:0xf
	v_cndmask_b32_e32 v6, 0, v6, vcc_lo
	v_add_nc_u32_e32 v5, v5, v6
	ds_write_b32 v43, v5
.LBB1974_560:                           ;   in Loop: Header=BB1974_20 Depth=1
	s_or_b32 exec_lo, exec_lo, s18
	v_mov_b32_e32 v5, 0
	s_waitcnt lgkmcnt(0)
	s_barrier
	buffer_gl0_inv
	s_and_saveexec_b32 s18, s11
; %bb.561:                              ;   in Loop: Header=BB1974_20 Depth=1
	ds_read_b32 v5, v45
; %bb.562:                              ;   in Loop: Header=BB1974_20 Depth=1
	s_or_b32 exec_lo, exec_lo, s18
	v_cmp_gt_i32_e32 vcc_lo, 0, v68
	s_waitcnt lgkmcnt(0)
	v_add_nc_u32_e32 v3, v5, v3
	s_barrier
	buffer_gl0_inv
	v_cndmask_b32_e32 v6, v68, v59, vcc_lo
	v_lshlrev_b32_e32 v91, 2, v6
	ds_bpermute_b32 v3, v91, v3
	s_and_saveexec_b32 s18, s8
	s_cbranch_execz .LBB1974_564
; %bb.563:                              ;   in Loop: Header=BB1974_20 Depth=1
	s_waitcnt lgkmcnt(0)
	v_cndmask_b32_e64 v3, v3, v5, s13
	v_add_nc_u32_e32 v3, s33, v3
	ds_write_b32 v29, v3
.LBB1974_564:                           ;   in Loop: Header=BB1974_20 Depth=1
	s_or_b32 exec_lo, exec_lo, s18
	s_load_dwordx2 s[18:19], s[30:31], 0x0
	v_add_co_u32 v92, vcc_lo, v57, v69
	v_add_co_ci_u32_e64 v93, null, 0, v58, vcc_lo
	v_add_co_u32 v94, vcc_lo, v60, v77
	v_add_co_ci_u32_e64 v95, null, 0, v61, vcc_lo
	s_mov_b32 s43, s53
	s_mov_b32 s34, s33
                                        ; implicit-def: $vgpr7_vgpr8
                                        ; implicit-def: $vgpr9_vgpr10
                                        ; implicit-def: $vgpr11_vgpr12
                                        ; implicit-def: $vgpr13_vgpr14
                                        ; implicit-def: $vgpr15_vgpr16
                                        ; implicit-def: $vgpr17_vgpr18
                                        ; implicit-def: $vgpr19_vgpr20
                                        ; implicit-def: $vgpr97
                                        ; implicit-def: $vgpr98
                                        ; implicit-def: $vgpr99
                                        ; implicit-def: $vgpr100
                                        ; implicit-def: $vgpr101
                                        ; implicit-def: $vgpr102
                                        ; implicit-def: $vgpr103
                                        ; implicit-def: $vgpr104
	s_waitcnt lgkmcnt(0)
	s_cmp_lt_u32 s7, s19
	s_cselect_b32 s19, 14, 20
	s_add_u32 s20, s30, s19
	s_addc_u32 s21, s31, 0
	s_cmp_lt_u32 s6, s18
	global_load_ushort v3, v4, s[20:21]
	s_cselect_b32 s18, 12, 18
	s_add_u32 s18, s30, s18
	s_addc_u32 s19, s31, 0
	global_load_ushort v5, v4, s[18:19]
	v_cmp_eq_u32_e64 s18, 0, v67
	v_cmp_lt_u32_e64 s19, 1, v67
	v_cmp_lt_u32_e64 s20, 3, v67
	s_waitcnt vmcnt(1)
	v_mad_u32_u24 v3, v2, v3, v1
	s_waitcnt vmcnt(0)
	v_mad_u64_u32 v[5:6], null, v3, v5, v[0:1]
	v_lshrrev_b32_e32 v3, 3, v5
                                        ; implicit-def: $vgpr5_vgpr6
	v_and_b32_e32 v96, 0x1ffffffc, v3
	s_branch .LBB1974_566
.LBB1974_565:                           ;   in Loop: Header=BB1974_566 Depth=2
	s_or_b32 exec_lo, exec_lo, s21
	s_addk_i32 s43, 0xf800
	s_cmp_lt_u32 s48, s52
	s_mov_b32 s34, s48
	s_cbranch_scc0 .LBB1974_18
.LBB1974_566:                           ;   Parent Loop BB1974_20 Depth=1
                                        ; =>  This Inner Loop Header: Depth=2
	s_add_i32 s48, s34, 0x800
	s_cmp_gt_u32 s48, s52
	s_cbranch_scc1 .LBB1974_568
; %bb.567:                              ;   in Loop: Header=BB1974_566 Depth=2
	s_lshl_b64 s[22:23], s[34:35], 1
	s_mov_b32 s21, -1
	v_add_co_u32 v21, vcc_lo, v94, s22
	v_add_co_ci_u32_e64 v22, null, s23, v95, vcc_lo
	s_clause 0x6
	global_load_ushort v3, v[21:22], off
	global_load_ushort v28, v[21:22], off offset:64
	global_load_ushort v27, v[21:22], off offset:128
	;; [unrolled: 1-line block ×6, first 2 shown]
	s_movk_i32 s22, 0x800
	s_cbranch_execz .LBB1974_569
	s_branch .LBB1974_584
.LBB1974_568:                           ;   in Loop: Header=BB1974_566 Depth=2
	s_mov_b32 s21, 0
                                        ; implicit-def: $vgpr3
                                        ; implicit-def: $vgpr28
                                        ; implicit-def: $vgpr27
                                        ; implicit-def: $vgpr26
                                        ; implicit-def: $vgpr25
                                        ; implicit-def: $vgpr24
                                        ; implicit-def: $vgpr23
	s_movk_i32 s22, 0x800
.LBB1974_569:                           ;   in Loop: Header=BB1974_566 Depth=2
	s_lshl_b64 s[22:23], s[34:35], 1
	s_waitcnt vmcnt(5)
	v_mov_b32_e32 v28, -1
	v_add_co_u32 v21, vcc_lo, v94, s22
	v_add_co_ci_u32_e64 v22, null, s23, v95, vcc_lo
	v_mov_b32_e32 v3, -1
	s_mov_b32 s21, exec_lo
	v_cmpx_gt_u32_e64 s43, v66
	s_cbranch_execz .LBB1974_571
; %bb.570:                              ;   in Loop: Header=BB1974_566 Depth=2
	global_load_ushort v3, v[21:22], off
.LBB1974_571:                           ;   in Loop: Header=BB1974_566 Depth=2
	s_or_b32 exec_lo, exec_lo, s21
	s_mov_b32 s21, exec_lo
	v_cmpx_gt_u32_e64 s43, v70
	s_cbranch_execz .LBB1974_573
; %bb.572:                              ;   in Loop: Header=BB1974_566 Depth=2
	global_load_ushort v28, v[21:22], off offset:64
.LBB1974_573:                           ;   in Loop: Header=BB1974_566 Depth=2
	s_or_b32 exec_lo, exec_lo, s21
	s_waitcnt vmcnt(3)
	v_mov_b32_e32 v26, -1
	v_mov_b32_e32 v27, -1
	s_mov_b32 s21, exec_lo
	v_cmpx_gt_u32_e64 s43, v71
	s_cbranch_execz .LBB1974_575
; %bb.574:                              ;   in Loop: Header=BB1974_566 Depth=2
	global_load_ushort v27, v[21:22], off offset:128
.LBB1974_575:                           ;   in Loop: Header=BB1974_566 Depth=2
	s_or_b32 exec_lo, exec_lo, s21
	s_mov_b32 s21, exec_lo
	v_cmpx_gt_u32_e64 s43, v72
	s_cbranch_execz .LBB1974_577
; %bb.576:                              ;   in Loop: Header=BB1974_566 Depth=2
	global_load_ushort v26, v[21:22], off offset:192
.LBB1974_577:                           ;   in Loop: Header=BB1974_566 Depth=2
	s_or_b32 exec_lo, exec_lo, s21
	s_waitcnt vmcnt(1)
	v_mov_b32_e32 v24, -1
	v_mov_b32_e32 v25, -1
	s_mov_b32 s21, exec_lo
	v_cmpx_gt_u32_e64 s43, v73
	s_cbranch_execz .LBB1974_579
; %bb.578:                              ;   in Loop: Header=BB1974_566 Depth=2
	global_load_ushort v25, v[21:22], off offset:256
.LBB1974_579:                           ;   in Loop: Header=BB1974_566 Depth=2
	s_or_b32 exec_lo, exec_lo, s21
	s_mov_b32 s21, exec_lo
	v_cmpx_gt_u32_e64 s43, v74
	s_cbranch_execz .LBB1974_581
; %bb.580:                              ;   in Loop: Header=BB1974_566 Depth=2
	global_load_ushort v24, v[21:22], off offset:320
.LBB1974_581:                           ;   in Loop: Header=BB1974_566 Depth=2
	s_or_b32 exec_lo, exec_lo, s21
	s_waitcnt vmcnt(0)
	v_mov_b32_e32 v23, -1
	s_mov_b32 s21, exec_lo
	v_cmpx_gt_u32_e64 s43, v75
	s_cbranch_execz .LBB1974_583
; %bb.582:                              ;   in Loop: Header=BB1974_566 Depth=2
	global_load_ushort v23, v[21:22], off offset:384
.LBB1974_583:                           ;   in Loop: Header=BB1974_566 Depth=2
	s_or_b32 exec_lo, exec_lo, s21
	v_cmp_gt_u32_e64 s21, s43, v76
	s_sub_i32 s22, s52, s34
.LBB1974_584:                           ;   in Loop: Header=BB1974_566 Depth=2
	v_mov_b32_e32 v21, -1
	v_mov_b32_e32 v105, s43
	s_and_saveexec_b32 s23, s21
	s_cbranch_execz .LBB1974_586
; %bb.585:                              ;   in Loop: Header=BB1974_566 Depth=2
	s_lshl_b64 s[24:25], s[34:35], 1
	v_mov_b32_e32 v105, s22
	v_add_co_u32 v21, vcc_lo, v94, s24
	v_add_co_ci_u32_e64 v22, null, s25, v95, vcc_lo
	global_load_ushort v21, v[21:22], off offset:448
.LBB1974_586:                           ;   in Loop: Header=BB1974_566 Depth=2
	s_or_b32 exec_lo, exec_lo, s23
	s_waitcnt vmcnt(6)
	v_cmp_gt_i16_e32 vcc_lo, 0, v3
	ds_write2_b32 v78, v4, v4 offset1:1
	ds_write2_b32 v88, v4, v4 offset1:1
	;; [unrolled: 1-line block ×4, first 2 shown]
	ds_write_b32 v44, v4 offset:1088
	s_waitcnt vmcnt(0) lgkmcnt(0)
	s_barrier
	v_cndmask_b32_e64 v22, 0x7fff, 0, vcc_lo
	buffer_gl0_inv
	; wave barrier
	v_xor_b32_e32 v3, v22, v3
	v_cmp_ne_u16_e32 vcc_lo, 0x8000, v3
	v_cndmask_b32_e32 v22, 0x7fff, v3, vcc_lo
	v_lshrrev_b32_sdwa v22, s49, v22 dst_sel:DWORD dst_unused:UNUSED_PAD src0_sel:DWORD src1_sel:WORD_0
	v_and_b32_e32 v107, s42, v22
	v_and_b32_e32 v22, 1, v107
	v_lshlrev_b32_e32 v106, 30, v107
	v_lshlrev_b32_e32 v108, 29, v107
	;; [unrolled: 1-line block ×4, first 2 shown]
	v_add_co_u32 v22, s21, v22, -1
	v_cndmask_b32_e64 v110, 0, 1, s21
	v_not_b32_e32 v114, v106
	v_cmp_gt_i32_e64 s21, 0, v106
	v_not_b32_e32 v106, v108
	v_lshlrev_b32_e32 v112, 26, v107
	v_cmp_ne_u32_e32 vcc_lo, 0, v110
	v_ashrrev_i32_e32 v114, 31, v114
	v_lshlrev_b32_e32 v113, 25, v107
	v_ashrrev_i32_e32 v106, 31, v106
	v_lshlrev_b32_e32 v110, 24, v107
	v_xor_b32_e32 v22, vcc_lo, v22
	v_cmp_gt_i32_e32 vcc_lo, 0, v108
	v_not_b32_e32 v108, v109
	v_xor_b32_e32 v114, s21, v114
	v_cmp_gt_i32_e64 s21, 0, v109
	v_and_b32_e32 v22, exec_lo, v22
	v_not_b32_e32 v109, v111
	v_ashrrev_i32_e32 v108, 31, v108
	v_xor_b32_e32 v106, vcc_lo, v106
	v_cmp_gt_i32_e32 vcc_lo, 0, v111
	v_and_b32_e32 v22, v22, v114
	v_not_b32_e32 v111, v112
	v_ashrrev_i32_e32 v109, 31, v109
	v_xor_b32_e32 v108, s21, v108
	v_cmp_gt_i32_e64 s21, 0, v112
	v_and_b32_e32 v22, v22, v106
	v_not_b32_e32 v106, v113
	v_ashrrev_i32_e32 v111, 31, v111
	v_xor_b32_e32 v109, vcc_lo, v109
	v_cmp_gt_i32_e32 vcc_lo, 0, v113
	v_and_b32_e32 v22, v22, v108
	v_not_b32_e32 v108, v110
	v_ashrrev_i32_e32 v106, 31, v106
	v_xor_b32_e32 v111, s21, v111
	v_cmp_gt_i32_e64 s21, 0, v110
	v_and_b32_e32 v22, v22, v109
	v_ashrrev_i32_e32 v108, 31, v108
	v_xor_b32_e32 v106, vcc_lo, v106
	v_mul_u32_u24_e32 v107, 36, v107
	v_and_b32_e32 v22, v22, v111
	v_xor_b32_e32 v108, s21, v108
	v_and_b32_e32 v22, v22, v106
	v_and_b32_e32 v22, v22, v108
	v_add_nc_u32_e32 v108, v96, v107
	v_mbcnt_lo_u32_b32 v106, v22, 0
	v_cmp_ne_u32_e64 s21, 0, v22
	v_cmp_eq_u32_e32 vcc_lo, 0, v106
	s_and_b32 s22, s21, vcc_lo
	s_and_saveexec_b32 s21, s22
; %bb.587:                              ;   in Loop: Header=BB1974_566 Depth=2
	v_bcnt_u32_b32 v22, v22, 0
	ds_write_b32 v108, v22 offset:1056
; %bb.588:                              ;   in Loop: Header=BB1974_566 Depth=2
	s_or_b32 exec_lo, exec_lo, s21
	v_cmp_gt_i16_e32 vcc_lo, 0, v28
	; wave barrier
	v_cndmask_b32_e64 v22, 0x7fff, 0, vcc_lo
	v_xor_b32_e32 v107, v22, v28
	v_cmp_ne_u16_e32 vcc_lo, 0x8000, v107
	v_cndmask_b32_e32 v22, 0x7fff, v107, vcc_lo
	v_lshrrev_b32_sdwa v22, s49, v22 dst_sel:DWORD dst_unused:UNUSED_PAD src0_sel:DWORD src1_sel:WORD_0
	v_and_b32_e32 v28, s42, v22
	v_and_b32_e32 v22, 1, v28
	v_lshlrev_b32_e32 v109, 30, v28
	v_lshlrev_b32_e32 v110, 29, v28
	;; [unrolled: 1-line block ×4, first 2 shown]
	v_add_co_u32 v22, s21, v22, -1
	v_cndmask_b32_e64 v112, 0, 1, s21
	v_not_b32_e32 v116, v109
	v_cmp_gt_i32_e64 s21, 0, v109
	v_not_b32_e32 v109, v110
	v_lshlrev_b32_e32 v114, 26, v28
	v_cmp_ne_u32_e32 vcc_lo, 0, v112
	v_ashrrev_i32_e32 v116, 31, v116
	v_lshlrev_b32_e32 v115, 25, v28
	v_ashrrev_i32_e32 v109, 31, v109
	v_lshlrev_b32_e32 v112, 24, v28
	v_xor_b32_e32 v22, vcc_lo, v22
	v_cmp_gt_i32_e32 vcc_lo, 0, v110
	v_not_b32_e32 v110, v111
	v_xor_b32_e32 v116, s21, v116
	v_cmp_gt_i32_e64 s21, 0, v111
	v_and_b32_e32 v22, exec_lo, v22
	v_not_b32_e32 v111, v113
	v_ashrrev_i32_e32 v110, 31, v110
	v_xor_b32_e32 v109, vcc_lo, v109
	v_cmp_gt_i32_e32 vcc_lo, 0, v113
	v_and_b32_e32 v22, v22, v116
	v_not_b32_e32 v113, v114
	v_ashrrev_i32_e32 v111, 31, v111
	v_xor_b32_e32 v110, s21, v110
	v_cmp_gt_i32_e64 s21, 0, v114
	v_and_b32_e32 v22, v22, v109
	v_not_b32_e32 v109, v115
	v_ashrrev_i32_e32 v113, 31, v113
	v_xor_b32_e32 v111, vcc_lo, v111
	v_cmp_gt_i32_e32 vcc_lo, 0, v115
	v_and_b32_e32 v22, v22, v110
	v_not_b32_e32 v110, v112
	v_ashrrev_i32_e32 v109, 31, v109
	v_xor_b32_e32 v113, s21, v113
	v_cmp_gt_i32_e64 s21, 0, v112
	v_and_b32_e32 v22, v22, v111
	v_ashrrev_i32_e32 v110, 31, v110
	v_xor_b32_e32 v109, vcc_lo, v109
	v_mad_u32_u24 v111, v28, 36, v96
	v_mul_u32_u24_e32 v28, 36, v28
	v_and_b32_e32 v22, v22, v113
	v_xor_b32_e32 v110, s21, v110
	v_add_nc_u32_e32 v112, v96, v28
	v_and_b32_e32 v22, v22, v109
	ds_read_b32 v109, v111 offset:1056
	; wave barrier
	v_and_b32_e32 v22, v22, v110
	v_mbcnt_lo_u32_b32 v110, v22, 0
	v_cmp_ne_u32_e64 s21, 0, v22
	v_cmp_eq_u32_e32 vcc_lo, 0, v110
	s_and_b32 s22, s21, vcc_lo
	s_and_saveexec_b32 s21, s22
	s_cbranch_execz .LBB1974_590
; %bb.589:                              ;   in Loop: Header=BB1974_566 Depth=2
	s_waitcnt lgkmcnt(0)
	v_bcnt_u32_b32 v22, v22, v109
	ds_write_b32 v112, v22 offset:1056
.LBB1974_590:                           ;   in Loop: Header=BB1974_566 Depth=2
	s_or_b32 exec_lo, exec_lo, s21
	v_cmp_gt_i16_e32 vcc_lo, 0, v27
	; wave barrier
	v_cndmask_b32_e64 v22, 0x7fff, 0, vcc_lo
	v_xor_b32_e32 v111, v22, v27
	v_cmp_ne_u16_e32 vcc_lo, 0x8000, v111
	v_cndmask_b32_e32 v22, 0x7fff, v111, vcc_lo
	v_lshrrev_b32_sdwa v22, s49, v22 dst_sel:DWORD dst_unused:UNUSED_PAD src0_sel:DWORD src1_sel:WORD_0
	v_and_b32_e32 v27, s42, v22
	v_and_b32_e32 v22, 1, v27
	v_lshlrev_b32_e32 v28, 30, v27
	v_lshlrev_b32_e32 v113, 29, v27
	;; [unrolled: 1-line block ×4, first 2 shown]
	v_add_co_u32 v22, s21, v22, -1
	v_cndmask_b32_e64 v115, 0, 1, s21
	v_not_b32_e32 v119, v28
	v_cmp_gt_i32_e64 s21, 0, v28
	v_not_b32_e32 v28, v113
	v_lshlrev_b32_e32 v117, 26, v27
	v_cmp_ne_u32_e32 vcc_lo, 0, v115
	v_ashrrev_i32_e32 v119, 31, v119
	v_lshlrev_b32_e32 v118, 25, v27
	v_ashrrev_i32_e32 v28, 31, v28
	v_lshlrev_b32_e32 v115, 24, v27
	v_xor_b32_e32 v22, vcc_lo, v22
	v_cmp_gt_i32_e32 vcc_lo, 0, v113
	v_not_b32_e32 v113, v114
	v_xor_b32_e32 v119, s21, v119
	v_cmp_gt_i32_e64 s21, 0, v114
	v_and_b32_e32 v22, exec_lo, v22
	v_not_b32_e32 v114, v116
	v_ashrrev_i32_e32 v113, 31, v113
	v_xor_b32_e32 v28, vcc_lo, v28
	v_cmp_gt_i32_e32 vcc_lo, 0, v116
	v_and_b32_e32 v22, v22, v119
	v_not_b32_e32 v116, v117
	v_ashrrev_i32_e32 v114, 31, v114
	v_xor_b32_e32 v113, s21, v113
	v_cmp_gt_i32_e64 s21, 0, v117
	v_and_b32_e32 v22, v22, v28
	v_not_b32_e32 v28, v118
	v_ashrrev_i32_e32 v116, 31, v116
	v_xor_b32_e32 v114, vcc_lo, v114
	v_cmp_gt_i32_e32 vcc_lo, 0, v118
	v_and_b32_e32 v22, v22, v113
	v_not_b32_e32 v113, v115
	v_ashrrev_i32_e32 v28, 31, v28
	v_xor_b32_e32 v116, s21, v116
	v_cmp_gt_i32_e64 s21, 0, v115
	v_and_b32_e32 v22, v22, v114
	v_ashrrev_i32_e32 v113, 31, v113
	v_xor_b32_e32 v28, vcc_lo, v28
	v_mad_u32_u24 v114, v27, 36, v96
	v_mul_u32_u24_e32 v27, 36, v27
	v_and_b32_e32 v22, v22, v116
	v_xor_b32_e32 v115, s21, v113
	ds_read_b32 v113, v114 offset:1056
	v_add_nc_u32_e32 v116, v96, v27
	v_and_b32_e32 v22, v22, v28
	; wave barrier
	v_and_b32_e32 v22, v22, v115
	v_mbcnt_lo_u32_b32 v115, v22, 0
	v_cmp_ne_u32_e64 s21, 0, v22
	v_cmp_eq_u32_e32 vcc_lo, 0, v115
	s_and_b32 s22, s21, vcc_lo
	s_and_saveexec_b32 s21, s22
	s_cbranch_execz .LBB1974_592
; %bb.591:                              ;   in Loop: Header=BB1974_566 Depth=2
	s_waitcnt lgkmcnt(0)
	v_bcnt_u32_b32 v22, v22, v113
	ds_write_b32 v116, v22 offset:1056
.LBB1974_592:                           ;   in Loop: Header=BB1974_566 Depth=2
	s_or_b32 exec_lo, exec_lo, s21
	v_cmp_gt_i16_e32 vcc_lo, 0, v26
	; wave barrier
	v_cndmask_b32_e64 v22, 0x7fff, 0, vcc_lo
	v_xor_b32_e32 v114, v22, v26
	v_cmp_ne_u16_e32 vcc_lo, 0x8000, v114
	v_cndmask_b32_e32 v22, 0x7fff, v114, vcc_lo
	v_lshrrev_b32_sdwa v22, s49, v22 dst_sel:DWORD dst_unused:UNUSED_PAD src0_sel:DWORD src1_sel:WORD_0
	v_and_b32_e32 v26, s42, v22
	v_and_b32_e32 v22, 1, v26
	v_lshlrev_b32_e32 v27, 30, v26
	v_lshlrev_b32_e32 v28, 29, v26
	;; [unrolled: 1-line block ×4, first 2 shown]
	v_add_co_u32 v22, s21, v22, -1
	v_cndmask_b32_e64 v118, 0, 1, s21
	v_not_b32_e32 v122, v27
	v_cmp_gt_i32_e64 s21, 0, v27
	v_not_b32_e32 v27, v28
	v_lshlrev_b32_e32 v120, 26, v26
	v_cmp_ne_u32_e32 vcc_lo, 0, v118
	v_ashrrev_i32_e32 v122, 31, v122
	v_lshlrev_b32_e32 v121, 25, v26
	v_ashrrev_i32_e32 v27, 31, v27
	v_lshlrev_b32_e32 v118, 24, v26
	v_xor_b32_e32 v22, vcc_lo, v22
	v_cmp_gt_i32_e32 vcc_lo, 0, v28
	v_not_b32_e32 v28, v117
	v_xor_b32_e32 v122, s21, v122
	v_cmp_gt_i32_e64 s21, 0, v117
	v_and_b32_e32 v22, exec_lo, v22
	v_not_b32_e32 v117, v119
	v_ashrrev_i32_e32 v28, 31, v28
	v_xor_b32_e32 v27, vcc_lo, v27
	v_cmp_gt_i32_e32 vcc_lo, 0, v119
	v_and_b32_e32 v22, v22, v122
	v_not_b32_e32 v119, v120
	v_ashrrev_i32_e32 v117, 31, v117
	v_xor_b32_e32 v28, s21, v28
	v_cmp_gt_i32_e64 s21, 0, v120
	v_and_b32_e32 v22, v22, v27
	v_not_b32_e32 v27, v121
	v_ashrrev_i32_e32 v119, 31, v119
	v_xor_b32_e32 v117, vcc_lo, v117
	v_cmp_gt_i32_e32 vcc_lo, 0, v121
	v_and_b32_e32 v22, v22, v28
	v_not_b32_e32 v28, v118
	v_ashrrev_i32_e32 v27, 31, v27
	v_xor_b32_e32 v119, s21, v119
	v_cmp_gt_i32_e64 s21, 0, v118
	v_and_b32_e32 v22, v22, v117
	v_ashrrev_i32_e32 v28, 31, v28
	v_xor_b32_e32 v27, vcc_lo, v27
	v_mad_u32_u24 v117, v26, 36, v96
	v_mul_u32_u24_e32 v26, 36, v26
	v_and_b32_e32 v22, v22, v119
	v_xor_b32_e32 v28, s21, v28
	ds_read_b32 v117, v117 offset:1056
	v_add_nc_u32_e32 v120, v96, v26
	v_and_b32_e32 v22, v22, v27
	; wave barrier
	v_and_b32_e32 v22, v22, v28
	v_mbcnt_lo_u32_b32 v119, v22, 0
	v_cmp_ne_u32_e64 s21, 0, v22
	v_cmp_eq_u32_e32 vcc_lo, 0, v119
	s_and_b32 s22, s21, vcc_lo
	s_and_saveexec_b32 s21, s22
	s_cbranch_execz .LBB1974_594
; %bb.593:                              ;   in Loop: Header=BB1974_566 Depth=2
	s_waitcnt lgkmcnt(0)
	v_bcnt_u32_b32 v22, v22, v117
	ds_write_b32 v120, v22 offset:1056
.LBB1974_594:                           ;   in Loop: Header=BB1974_566 Depth=2
	s_or_b32 exec_lo, exec_lo, s21
	v_cmp_gt_i16_e32 vcc_lo, 0, v25
	; wave barrier
	v_cndmask_b32_e64 v22, 0x7fff, 0, vcc_lo
	v_xor_b32_e32 v118, v22, v25
	v_cmp_ne_u16_e32 vcc_lo, 0x8000, v118
	v_cndmask_b32_e32 v22, 0x7fff, v118, vcc_lo
	v_lshrrev_b32_sdwa v22, s49, v22 dst_sel:DWORD dst_unused:UNUSED_PAD src0_sel:DWORD src1_sel:WORD_0
	v_and_b32_e32 v25, s42, v22
	v_and_b32_e32 v22, 1, v25
	v_lshlrev_b32_e32 v26, 30, v25
	v_lshlrev_b32_e32 v27, 29, v25
	;; [unrolled: 1-line block ×4, first 2 shown]
	v_add_co_u32 v22, s21, v22, -1
	v_cndmask_b32_e64 v121, 0, 1, s21
	v_not_b32_e32 v125, v26
	v_cmp_gt_i32_e64 s21, 0, v26
	v_not_b32_e32 v26, v27
	v_lshlrev_b32_e32 v123, 26, v25
	v_cmp_ne_u32_e32 vcc_lo, 0, v121
	v_ashrrev_i32_e32 v125, 31, v125
	v_lshlrev_b32_e32 v124, 25, v25
	v_ashrrev_i32_e32 v26, 31, v26
	v_lshlrev_b32_e32 v121, 24, v25
	v_xor_b32_e32 v22, vcc_lo, v22
	v_cmp_gt_i32_e32 vcc_lo, 0, v27
	v_not_b32_e32 v27, v28
	v_xor_b32_e32 v125, s21, v125
	v_cmp_gt_i32_e64 s21, 0, v28
	v_and_b32_e32 v22, exec_lo, v22
	v_not_b32_e32 v28, v122
	v_ashrrev_i32_e32 v27, 31, v27
	v_xor_b32_e32 v26, vcc_lo, v26
	v_cmp_gt_i32_e32 vcc_lo, 0, v122
	v_and_b32_e32 v22, v22, v125
	v_not_b32_e32 v122, v123
	v_ashrrev_i32_e32 v28, 31, v28
	v_xor_b32_e32 v27, s21, v27
	v_cmp_gt_i32_e64 s21, 0, v123
	v_and_b32_e32 v22, v22, v26
	v_not_b32_e32 v26, v124
	v_ashrrev_i32_e32 v122, 31, v122
	v_xor_b32_e32 v28, vcc_lo, v28
	v_cmp_gt_i32_e32 vcc_lo, 0, v124
	v_and_b32_e32 v22, v22, v27
	v_not_b32_e32 v27, v121
	v_ashrrev_i32_e32 v26, 31, v26
	v_xor_b32_e32 v122, s21, v122
	v_cmp_gt_i32_e64 s21, 0, v121
	v_and_b32_e32 v22, v22, v28
	v_ashrrev_i32_e32 v27, 31, v27
	v_xor_b32_e32 v26, vcc_lo, v26
	v_mad_u32_u24 v28, v25, 36, v96
	v_mul_u32_u24_e32 v25, 36, v25
	v_and_b32_e32 v22, v22, v122
	v_xor_b32_e32 v27, s21, v27
	ds_read_b32 v121, v28 offset:1056
	v_add_nc_u32_e32 v124, v96, v25
	v_and_b32_e32 v22, v22, v26
	; wave barrier
	v_and_b32_e32 v22, v22, v27
	v_mbcnt_lo_u32_b32 v123, v22, 0
	v_cmp_ne_u32_e64 s21, 0, v22
	v_cmp_eq_u32_e32 vcc_lo, 0, v123
	s_and_b32 s22, s21, vcc_lo
	s_and_saveexec_b32 s21, s22
	s_cbranch_execz .LBB1974_596
; %bb.595:                              ;   in Loop: Header=BB1974_566 Depth=2
	s_waitcnt lgkmcnt(0)
	v_bcnt_u32_b32 v22, v22, v121
	ds_write_b32 v124, v22 offset:1056
.LBB1974_596:                           ;   in Loop: Header=BB1974_566 Depth=2
	s_or_b32 exec_lo, exec_lo, s21
	v_cmp_gt_i16_e32 vcc_lo, 0, v24
	; wave barrier
	v_cndmask_b32_e64 v22, 0x7fff, 0, vcc_lo
	v_xor_b32_e32 v122, v22, v24
	v_cmp_ne_u16_e32 vcc_lo, 0x8000, v122
	v_cndmask_b32_e32 v22, 0x7fff, v122, vcc_lo
	v_lshrrev_b32_sdwa v22, s49, v22 dst_sel:DWORD dst_unused:UNUSED_PAD src0_sel:DWORD src1_sel:WORD_0
	v_and_b32_e32 v24, s42, v22
	v_and_b32_e32 v22, 1, v24
	v_lshlrev_b32_e32 v25, 30, v24
	v_lshlrev_b32_e32 v26, 29, v24
	;; [unrolled: 1-line block ×4, first 2 shown]
	v_add_co_u32 v22, s21, v22, -1
	v_cndmask_b32_e64 v28, 0, 1, s21
	v_not_b32_e32 v128, v25
	v_cmp_gt_i32_e64 s21, 0, v25
	v_not_b32_e32 v25, v26
	v_lshlrev_b32_e32 v126, 26, v24
	v_cmp_ne_u32_e32 vcc_lo, 0, v28
	v_ashrrev_i32_e32 v128, 31, v128
	v_lshlrev_b32_e32 v127, 25, v24
	v_ashrrev_i32_e32 v25, 31, v25
	v_lshlrev_b32_e32 v28, 24, v24
	v_xor_b32_e32 v22, vcc_lo, v22
	v_cmp_gt_i32_e32 vcc_lo, 0, v26
	v_not_b32_e32 v26, v27
	v_xor_b32_e32 v128, s21, v128
	v_cmp_gt_i32_e64 s21, 0, v27
	v_and_b32_e32 v22, exec_lo, v22
	v_not_b32_e32 v27, v125
	v_ashrrev_i32_e32 v26, 31, v26
	v_xor_b32_e32 v25, vcc_lo, v25
	v_cmp_gt_i32_e32 vcc_lo, 0, v125
	v_and_b32_e32 v22, v22, v128
	v_not_b32_e32 v125, v126
	v_ashrrev_i32_e32 v27, 31, v27
	v_xor_b32_e32 v26, s21, v26
	v_cmp_gt_i32_e64 s21, 0, v126
	v_and_b32_e32 v22, v22, v25
	v_not_b32_e32 v25, v127
	v_ashrrev_i32_e32 v125, 31, v125
	v_xor_b32_e32 v27, vcc_lo, v27
	v_cmp_gt_i32_e32 vcc_lo, 0, v127
	v_and_b32_e32 v22, v22, v26
	v_not_b32_e32 v26, v28
	v_ashrrev_i32_e32 v25, 31, v25
	v_xor_b32_e32 v125, s21, v125
	v_cmp_gt_i32_e64 s21, 0, v28
	v_and_b32_e32 v22, v22, v27
	v_ashrrev_i32_e32 v26, 31, v26
	v_xor_b32_e32 v25, vcc_lo, v25
	v_mad_u32_u24 v27, v24, 36, v96
	v_mul_u32_u24_e32 v24, 36, v24
	v_and_b32_e32 v22, v22, v125
	v_xor_b32_e32 v26, s21, v26
	ds_read_b32 v125, v27 offset:1056
	v_add_nc_u32_e32 v128, v96, v24
	v_and_b32_e32 v22, v22, v25
	; wave barrier
	v_and_b32_e32 v22, v22, v26
	v_mbcnt_lo_u32_b32 v127, v22, 0
	v_cmp_ne_u32_e64 s21, 0, v22
	v_cmp_eq_u32_e32 vcc_lo, 0, v127
	s_and_b32 s22, s21, vcc_lo
	s_and_saveexec_b32 s21, s22
	s_cbranch_execz .LBB1974_598
; %bb.597:                              ;   in Loop: Header=BB1974_566 Depth=2
	s_waitcnt lgkmcnt(0)
	v_bcnt_u32_b32 v22, v22, v125
	ds_write_b32 v128, v22 offset:1056
.LBB1974_598:                           ;   in Loop: Header=BB1974_566 Depth=2
	s_or_b32 exec_lo, exec_lo, s21
	v_cmp_gt_i16_e32 vcc_lo, 0, v23
	; wave barrier
	v_cndmask_b32_e64 v22, 0x7fff, 0, vcc_lo
	v_xor_b32_e32 v126, v22, v23
	v_cmp_ne_u16_e32 vcc_lo, 0x8000, v126
	v_cndmask_b32_e32 v22, 0x7fff, v126, vcc_lo
	v_lshrrev_b32_sdwa v22, s49, v22 dst_sel:DWORD dst_unused:UNUSED_PAD src0_sel:DWORD src1_sel:WORD_0
	v_and_b32_e32 v23, s42, v22
	v_and_b32_e32 v22, 1, v23
	v_lshlrev_b32_e32 v24, 30, v23
	v_lshlrev_b32_e32 v25, 29, v23
	;; [unrolled: 1-line block ×4, first 2 shown]
	v_add_co_u32 v22, s21, v22, -1
	v_cndmask_b32_e64 v27, 0, 1, s21
	v_not_b32_e32 v131, v24
	v_cmp_gt_i32_e64 s21, 0, v24
	v_not_b32_e32 v24, v25
	v_lshlrev_b32_e32 v129, 26, v23
	v_cmp_ne_u32_e32 vcc_lo, 0, v27
	v_ashrrev_i32_e32 v131, 31, v131
	v_lshlrev_b32_e32 v130, 25, v23
	v_ashrrev_i32_e32 v24, 31, v24
	v_lshlrev_b32_e32 v27, 24, v23
	v_xor_b32_e32 v22, vcc_lo, v22
	v_cmp_gt_i32_e32 vcc_lo, 0, v25
	v_not_b32_e32 v25, v26
	v_xor_b32_e32 v131, s21, v131
	v_cmp_gt_i32_e64 s21, 0, v26
	v_and_b32_e32 v22, exec_lo, v22
	v_not_b32_e32 v26, v28
	v_ashrrev_i32_e32 v25, 31, v25
	v_xor_b32_e32 v24, vcc_lo, v24
	v_cmp_gt_i32_e32 vcc_lo, 0, v28
	v_and_b32_e32 v22, v22, v131
	v_not_b32_e32 v28, v129
	v_ashrrev_i32_e32 v26, 31, v26
	v_xor_b32_e32 v25, s21, v25
	v_cmp_gt_i32_e64 s21, 0, v129
	v_and_b32_e32 v22, v22, v24
	v_not_b32_e32 v24, v130
	v_ashrrev_i32_e32 v28, 31, v28
	v_xor_b32_e32 v26, vcc_lo, v26
	v_cmp_gt_i32_e32 vcc_lo, 0, v130
	v_and_b32_e32 v22, v22, v25
	v_not_b32_e32 v25, v27
	v_ashrrev_i32_e32 v24, 31, v24
	v_xor_b32_e32 v28, s21, v28
	v_cmp_gt_i32_e64 s21, 0, v27
	v_and_b32_e32 v22, v22, v26
	v_ashrrev_i32_e32 v25, 31, v25
	v_xor_b32_e32 v24, vcc_lo, v24
	v_mad_u32_u24 v26, v23, 36, v96
	v_mul_u32_u24_e32 v23, 36, v23
	v_and_b32_e32 v22, v22, v28
	v_xor_b32_e32 v25, s21, v25
	ds_read_b32 v129, v26 offset:1056
	v_add_nc_u32_e32 v132, v96, v23
	v_and_b32_e32 v22, v22, v24
	; wave barrier
	v_and_b32_e32 v22, v22, v25
	v_mbcnt_lo_u32_b32 v131, v22, 0
	v_cmp_ne_u32_e64 s21, 0, v22
	v_cmp_eq_u32_e32 vcc_lo, 0, v131
	s_and_b32 s22, s21, vcc_lo
	s_and_saveexec_b32 s21, s22
	s_cbranch_execz .LBB1974_600
; %bb.599:                              ;   in Loop: Header=BB1974_566 Depth=2
	s_waitcnt lgkmcnt(0)
	v_bcnt_u32_b32 v22, v22, v129
	ds_write_b32 v132, v22 offset:1056
.LBB1974_600:                           ;   in Loop: Header=BB1974_566 Depth=2
	s_or_b32 exec_lo, exec_lo, s21
	v_cmp_gt_i16_e32 vcc_lo, 0, v21
	; wave barrier
	v_cndmask_b32_e64 v22, 0x7fff, 0, vcc_lo
	v_xor_b32_e32 v130, v22, v21
	v_cmp_ne_u16_e32 vcc_lo, 0x8000, v130
	v_cndmask_b32_e32 v21, 0x7fff, v130, vcc_lo
	v_lshrrev_b32_sdwa v21, s49, v21 dst_sel:DWORD dst_unused:UNUSED_PAD src0_sel:DWORD src1_sel:WORD_0
	v_and_b32_e32 v22, s42, v21
	v_and_b32_e32 v21, 1, v22
	v_lshlrev_b32_e32 v23, 30, v22
	v_lshlrev_b32_e32 v24, 29, v22
	;; [unrolled: 1-line block ×4, first 2 shown]
	v_add_co_u32 v21, s21, v21, -1
	v_cndmask_b32_e64 v26, 0, 1, s21
	v_not_b32_e32 v134, v23
	v_cmp_gt_i32_e64 s21, 0, v23
	v_not_b32_e32 v23, v24
	v_lshlrev_b32_e32 v28, 26, v22
	v_cmp_ne_u32_e32 vcc_lo, 0, v26
	v_ashrrev_i32_e32 v134, 31, v134
	v_lshlrev_b32_e32 v133, 25, v22
	v_ashrrev_i32_e32 v23, 31, v23
	v_lshlrev_b32_e32 v26, 24, v22
	v_xor_b32_e32 v21, vcc_lo, v21
	v_cmp_gt_i32_e32 vcc_lo, 0, v24
	v_not_b32_e32 v24, v25
	v_xor_b32_e32 v134, s21, v134
	v_cmp_gt_i32_e64 s21, 0, v25
	v_and_b32_e32 v21, exec_lo, v21
	v_not_b32_e32 v25, v27
	v_ashrrev_i32_e32 v24, 31, v24
	v_xor_b32_e32 v23, vcc_lo, v23
	v_cmp_gt_i32_e32 vcc_lo, 0, v27
	v_and_b32_e32 v21, v21, v134
	v_not_b32_e32 v27, v28
	v_ashrrev_i32_e32 v25, 31, v25
	v_xor_b32_e32 v24, s21, v24
	v_cmp_gt_i32_e64 s21, 0, v28
	v_and_b32_e32 v21, v21, v23
	v_not_b32_e32 v23, v133
	v_ashrrev_i32_e32 v27, 31, v27
	v_xor_b32_e32 v25, vcc_lo, v25
	v_cmp_gt_i32_e32 vcc_lo, 0, v133
	v_and_b32_e32 v21, v21, v24
	v_not_b32_e32 v24, v26
	v_ashrrev_i32_e32 v23, 31, v23
	v_xor_b32_e32 v27, s21, v27
	v_cmp_gt_i32_e64 s21, 0, v26
	v_and_b32_e32 v21, v21, v25
	v_ashrrev_i32_e32 v24, 31, v24
	v_xor_b32_e32 v23, vcc_lo, v23
	v_mad_u32_u24 v25, v22, 36, v96
	v_mul_u32_u24_e32 v22, 36, v22
	v_and_b32_e32 v21, v21, v27
	v_xor_b32_e32 v24, s21, v24
	ds_read_b32 v133, v25 offset:1056
	v_add_nc_u32_e32 v135, v96, v22
	v_and_b32_e32 v21, v21, v23
	; wave barrier
	v_and_b32_e32 v21, v21, v24
	v_mbcnt_lo_u32_b32 v134, v21, 0
	v_cmp_ne_u32_e64 s21, 0, v21
	v_cmp_eq_u32_e32 vcc_lo, 0, v134
	s_and_b32 s22, s21, vcc_lo
	s_and_saveexec_b32 s21, s22
	s_cbranch_execz .LBB1974_602
; %bb.601:                              ;   in Loop: Header=BB1974_566 Depth=2
	s_waitcnt lgkmcnt(0)
	v_bcnt_u32_b32 v21, v21, v133
	ds_write_b32 v135, v21 offset:1056
.LBB1974_602:                           ;   in Loop: Header=BB1974_566 Depth=2
	s_or_b32 exec_lo, exec_lo, s21
	; wave barrier
	s_waitcnt lgkmcnt(0)
	s_barrier
	buffer_gl0_inv
	ds_read2_b32 v[27:28], v78 offset1:1
	ds_read2_b32 v[25:26], v88 offset1:1
	;; [unrolled: 1-line block ×4, first 2 shown]
	ds_read_b32 v136, v44 offset:1088
	s_waitcnt lgkmcnt(3)
	v_add3_u32 v137, v28, v27, v25
	s_waitcnt lgkmcnt(2)
	v_add3_u32 v137, v137, v26, v23
	;; [unrolled: 2-line block ×4, first 2 shown]
	v_mov_b32_dpp v137, v136 row_shr:1 row_mask:0xf bank_mask:0xf
	v_cndmask_b32_e64 v137, v137, 0, s5
	v_add_nc_u32_e32 v136, v137, v136
	v_mov_b32_dpp v137, v136 row_shr:2 row_mask:0xf bank_mask:0xf
	v_cndmask_b32_e64 v137, 0, v137, s14
	v_add_nc_u32_e32 v136, v136, v137
	;; [unrolled: 3-line block ×4, first 2 shown]
	ds_swizzle_b32 v137, v136 offset:swizzle(BROADCAST,32,15)
	s_waitcnt lgkmcnt(0)
	v_cndmask_b32_e64 v137, v137, 0, s17
	v_add_nc_u32_e32 v136, v136, v137
	s_and_saveexec_b32 s21, s9
; %bb.603:                              ;   in Loop: Header=BB1974_566 Depth=2
	ds_write_b32 v39, v136 offset:1024
; %bb.604:                              ;   in Loop: Header=BB1974_566 Depth=2
	s_or_b32 exec_lo, exec_lo, s21
	s_waitcnt lgkmcnt(0)
	s_barrier
	buffer_gl0_inv
	s_and_saveexec_b32 s21, s10
	s_cbranch_execz .LBB1974_606
; %bb.605:                              ;   in Loop: Header=BB1974_566 Depth=2
	ds_read_b32 v137, v46 offset:1024
	s_waitcnt lgkmcnt(0)
	v_mov_b32_dpp v138, v137 row_shr:1 row_mask:0xf bank_mask:0xf
	v_cndmask_b32_e64 v138, v138, 0, s18
	v_add_nc_u32_e32 v137, v138, v137
	v_mov_b32_dpp v138, v137 row_shr:2 row_mask:0xf bank_mask:0xf
	v_cndmask_b32_e64 v138, 0, v138, s19
	v_add_nc_u32_e32 v137, v137, v138
	;; [unrolled: 3-line block ×3, first 2 shown]
	ds_write_b32 v46, v137 offset:1024
.LBB1974_606:                           ;   in Loop: Header=BB1974_566 Depth=2
	s_or_b32 exec_lo, exec_lo, s21
	v_mov_b32_e32 v137, 0
	s_waitcnt lgkmcnt(0)
	s_barrier
	buffer_gl0_inv
	s_and_saveexec_b32 s21, s11
; %bb.607:                              ;   in Loop: Header=BB1974_566 Depth=2
	ds_read_b32 v137, v39 offset:1020
; %bb.608:                              ;   in Loop: Header=BB1974_566 Depth=2
	s_or_b32 exec_lo, exec_lo, s21
	s_waitcnt lgkmcnt(0)
	v_add_nc_u32_e32 v136, v137, v136
	ds_bpermute_b32 v136, v91, v136
	s_waitcnt lgkmcnt(0)
	v_cndmask_b32_e64 v136, v136, v137, s13
	v_cndmask_b32_e64 v136, v136, 0, s4
	v_add_nc_u32_e32 v27, v136, v27
	v_add_nc_u32_e32 v28, v27, v28
	;; [unrolled: 1-line block ×8, first 2 shown]
	ds_write2_b32 v78, v136, v27 offset1:1
	ds_write2_b32 v88, v28, v25 offset1:1
	;; [unrolled: 1-line block ×4, first 2 shown]
	ds_write_b32 v44, v22 offset:1088
	s_waitcnt lgkmcnt(0)
	s_barrier
	buffer_gl0_inv
	ds_read_b32 v24, v108 offset:1056
	ds_read_b32 v25, v112 offset:1056
	ds_read_b32 v26, v116 offset:1056
	ds_read_b32 v27, v120 offset:1056
	ds_read_b32 v28, v124 offset:1056
	ds_read_b32 v116, v128 offset:1056
	ds_read_b32 v22, v132 offset:1056
	ds_read_b32 v21, v135 offset:1056
	ds_read_b32 v108, v44 offset:1056
	v_mov_b32_e32 v23, 0x800
	s_and_saveexec_b32 s21, s12
; %bb.609:                              ;   in Loop: Header=BB1974_566 Depth=2
	ds_read_b32 v23, v44 offset:1092
; %bb.610:                              ;   in Loop: Header=BB1974_566 Depth=2
	s_or_b32 exec_lo, exec_lo, s21
	s_waitcnt lgkmcnt(0)
	s_barrier
	buffer_gl0_inv
	s_and_saveexec_b32 s21, s8
	s_cbranch_execz .LBB1974_612
; %bb.611:                              ;   in Loop: Header=BB1974_566 Depth=2
	ds_read_b32 v112, v29
	s_waitcnt lgkmcnt(0)
	v_sub_nc_u32_e32 v108, v112, v108
	ds_write_b32 v29, v108
.LBB1974_612:                           ;   in Loop: Header=BB1974_566 Depth=2
	s_or_b32 exec_lo, exec_lo, s21
	v_add_nc_u32_e32 v112, v24, v106
	v_add3_u32 v108, v110, v109, v25
	v_add3_u32 v106, v115, v113, v26
	;; [unrolled: 1-line block ×4, first 2 shown]
	v_lshlrev_b32_e32 v109, 1, v112
	v_lshlrev_b32_e32 v110, 1, v108
	v_add3_u32 v27, v131, v129, v22
	v_lshlrev_b32_e32 v22, 1, v106
	v_add3_u32 v28, v134, v133, v21
	ds_write_b16 v109, v3 offset:1024
	ds_write_b16 v110, v107 offset:1024
	v_lshlrev_b32_e32 v3, 1, v26
	v_add3_u32 v24, v127, v125, v116
	ds_write_b16 v22, v111 offset:1024
	v_lshlrev_b32_e32 v21, 1, v25
	v_cmp_lt_u32_e32 vcc_lo, v0, v105
	ds_write_b16 v3, v114 offset:1024
	v_lshlrev_b32_e32 v3, 1, v28
	v_lshlrev_b32_e32 v22, 1, v24
	;; [unrolled: 1-line block ×3, first 2 shown]
	ds_write_b16 v21, v118 offset:1024
	ds_write_b16 v22, v122 offset:1024
	;; [unrolled: 1-line block ×4, first 2 shown]
	s_waitcnt lgkmcnt(0)
	s_barrier
	buffer_gl0_inv
	s_and_saveexec_b32 s22, vcc_lo
	s_cbranch_execnz .LBB1974_649
; %bb.613:                              ;   in Loop: Header=BB1974_566 Depth=2
	s_or_b32 exec_lo, exec_lo, s22
	v_cmp_lt_u32_e64 s21, v30, v105
	s_and_saveexec_b32 s23, s21
	s_cbranch_execnz .LBB1974_650
.LBB1974_614:                           ;   in Loop: Header=BB1974_566 Depth=2
	s_or_b32 exec_lo, exec_lo, s23
	v_cmp_lt_u32_e64 s22, v31, v105
	s_and_saveexec_b32 s24, s22
	s_cbranch_execnz .LBB1974_651
.LBB1974_615:                           ;   in Loop: Header=BB1974_566 Depth=2
	s_or_b32 exec_lo, exec_lo, s24
	v_cmp_lt_u32_e64 s23, v32, v105
	s_and_saveexec_b32 s25, s23
	s_cbranch_execnz .LBB1974_652
.LBB1974_616:                           ;   in Loop: Header=BB1974_566 Depth=2
	s_or_b32 exec_lo, exec_lo, s25
	v_cmp_lt_u32_e64 s24, v35, v105
	s_and_saveexec_b32 s26, s24
	s_cbranch_execnz .LBB1974_653
.LBB1974_617:                           ;   in Loop: Header=BB1974_566 Depth=2
	s_or_b32 exec_lo, exec_lo, s26
	v_cmp_lt_u32_e64 s25, v36, v105
	s_and_saveexec_b32 s27, s25
	s_cbranch_execnz .LBB1974_654
.LBB1974_618:                           ;   in Loop: Header=BB1974_566 Depth=2
	s_or_b32 exec_lo, exec_lo, s27
	v_cmp_lt_u32_e64 s26, v37, v105
	s_and_saveexec_b32 s28, s26
	s_cbranch_execnz .LBB1974_655
.LBB1974_619:                           ;   in Loop: Header=BB1974_566 Depth=2
	s_or_b32 exec_lo, exec_lo, s28
	v_cmp_lt_u32_e64 s27, v38, v105
	s_and_saveexec_b32 s54, s27
	s_cbranch_execz .LBB1974_621
.LBB1974_620:                           ;   in Loop: Header=BB1974_566 Depth=2
	ds_read_u16 v107, v47 offset:4608
	s_waitcnt lgkmcnt(0)
	v_cmp_ne_u16_e64 s28, 0x8000, v107
	v_cndmask_b32_e64 v3, 0x7fff, v107, s28
	v_cmp_gt_i16_e64 s28, 0, v107
	v_lshrrev_b32_sdwa v3, s49, v3 dst_sel:DWORD dst_unused:UNUSED_PAD src0_sel:DWORD src1_sel:WORD_0
	v_cndmask_b32_e64 v109, 0x7fff, 0, s28
	v_and_b32_e32 v3, s42, v3
	v_lshlrev_b32_e32 v3, 2, v3
	ds_read_b32 v3, v3
	s_waitcnt lgkmcnt(0)
	v_add_nc_u32_e32 v3, v3, v38
	v_lshlrev_b64 v[21:22], 1, v[3:4]
	v_xor_b32_e32 v3, v109, v107
	v_add_co_u32 v21, s28, s40, v21
	v_add_co_ci_u32_e64 v22, null, s41, v22, s28
	global_store_short v[21:22], v3, off
.LBB1974_621:                           ;   in Loop: Header=BB1974_566 Depth=2
	s_or_b32 exec_lo, exec_lo, s54
	s_lshl_b64 s[54:55], s[34:35], 3
	v_add_co_u32 v21, s28, v92, s54
	v_add_co_ci_u32_e64 v22, null, s55, v93, s28
	v_cmp_lt_u32_e64 s28, v66, v105
	s_and_saveexec_b32 s34, s28
	s_xor_b32 s28, exec_lo, s34
	s_cbranch_execnz .LBB1974_656
; %bb.622:                              ;   in Loop: Header=BB1974_566 Depth=2
	s_or_b32 exec_lo, exec_lo, s28
	s_mov_b32 s34, exec_lo
	v_cmpx_lt_u32_e64 v70, v105
	s_cbranch_execnz .LBB1974_657
.LBB1974_623:                           ;   in Loop: Header=BB1974_566 Depth=2
	s_or_b32 exec_lo, exec_lo, s34
	s_mov_b32 s34, exec_lo
	v_cmpx_lt_u32_e64 v71, v105
	s_cbranch_execnz .LBB1974_658
.LBB1974_624:                           ;   in Loop: Header=BB1974_566 Depth=2
	s_or_b32 exec_lo, exec_lo, s34
	s_mov_b32 s34, exec_lo
	v_cmpx_lt_u32_e64 v72, v105
	s_cbranch_execnz .LBB1974_659
.LBB1974_625:                           ;   in Loop: Header=BB1974_566 Depth=2
	s_or_b32 exec_lo, exec_lo, s34
	s_mov_b32 s34, exec_lo
	v_cmpx_lt_u32_e64 v73, v105
	s_cbranch_execnz .LBB1974_660
.LBB1974_626:                           ;   in Loop: Header=BB1974_566 Depth=2
	s_or_b32 exec_lo, exec_lo, s34
	s_mov_b32 s34, exec_lo
	v_cmpx_lt_u32_e64 v74, v105
	s_cbranch_execnz .LBB1974_661
.LBB1974_627:                           ;   in Loop: Header=BB1974_566 Depth=2
	s_or_b32 exec_lo, exec_lo, s34
	s_mov_b32 s34, exec_lo
	v_cmpx_lt_u32_e64 v75, v105
	s_cbranch_execnz .LBB1974_662
.LBB1974_628:                           ;   in Loop: Header=BB1974_566 Depth=2
	s_or_b32 exec_lo, exec_lo, s34
	s_mov_b32 s34, exec_lo
	v_cmpx_lt_u32_e64 v76, v105
	s_cbranch_execnz .LBB1974_663
.LBB1974_629:                           ;   in Loop: Header=BB1974_566 Depth=2
	s_or_b32 exec_lo, exec_lo, s34
	s_and_saveexec_b32 s34, vcc_lo
	s_cbranch_execnz .LBB1974_664
.LBB1974_630:                           ;   in Loop: Header=BB1974_566 Depth=2
	s_or_b32 exec_lo, exec_lo, s34
	s_and_saveexec_b32 s34, s21
	s_cbranch_execnz .LBB1974_665
.LBB1974_631:                           ;   in Loop: Header=BB1974_566 Depth=2
	s_or_b32 exec_lo, exec_lo, s34
	s_and_saveexec_b32 s34, s22
	s_cbranch_execnz .LBB1974_666
.LBB1974_632:                           ;   in Loop: Header=BB1974_566 Depth=2
	s_or_b32 exec_lo, exec_lo, s34
	s_and_saveexec_b32 s34, s23
	s_cbranch_execnz .LBB1974_667
.LBB1974_633:                           ;   in Loop: Header=BB1974_566 Depth=2
	s_or_b32 exec_lo, exec_lo, s34
	s_and_saveexec_b32 s34, s24
	s_cbranch_execnz .LBB1974_668
.LBB1974_634:                           ;   in Loop: Header=BB1974_566 Depth=2
	s_or_b32 exec_lo, exec_lo, s34
	s_and_saveexec_b32 s34, s25
	s_cbranch_execnz .LBB1974_669
.LBB1974_635:                           ;   in Loop: Header=BB1974_566 Depth=2
	s_or_b32 exec_lo, exec_lo, s34
	s_and_saveexec_b32 s34, s26
	s_cbranch_execnz .LBB1974_670
.LBB1974_636:                           ;   in Loop: Header=BB1974_566 Depth=2
	s_or_b32 exec_lo, exec_lo, s34
	s_and_saveexec_b32 s34, s27
	s_cbranch_execz .LBB1974_638
.LBB1974_637:                           ;   in Loop: Header=BB1974_566 Depth=2
	ds_read_u16 v3, v47 offset:4608
	s_waitcnt lgkmcnt(0)
	v_cmp_ne_u16_e64 s28, 0x8000, v3
	v_cndmask_b32_e64 v3, 0x7fff, v3, s28
	v_lshrrev_b32_sdwa v3, s49, v3 dst_sel:DWORD dst_unused:UNUSED_PAD src0_sel:DWORD src1_sel:WORD_0
	v_and_b32_e32 v97, s42, v3
.LBB1974_638:                           ;   in Loop: Header=BB1974_566 Depth=2
	s_or_b32 exec_lo, exec_lo, s34
	v_lshlrev_b32_e32 v3, 3, v112
	v_lshlrev_b32_e32 v21, 3, v108
	;; [unrolled: 1-line block ×3, first 2 shown]
	s_waitcnt vmcnt(0)
	s_waitcnt_vscnt null, 0x0
	s_barrier
	buffer_gl0_inv
	ds_write_b64 v3, v[19:20] offset:1024
	ds_write_b64 v21, v[17:18] offset:1024
	v_lshlrev_b32_e32 v3, 3, v26
	v_lshlrev_b32_e32 v21, 3, v25
	ds_write_b64 v22, v[15:16] offset:1024
	v_lshlrev_b32_e32 v22, 3, v24
	v_lshlrev_b32_e32 v24, 3, v27
	ds_write_b64 v3, v[13:14] offset:1024
	v_lshlrev_b32_e32 v3, 3, v28
	ds_write_b64 v21, v[11:12] offset:1024
	ds_write_b64 v22, v[9:10] offset:1024
	;; [unrolled: 1-line block ×3, first 2 shown]
	v_add_nc_u32_e32 v21, v47, v48
	ds_write_b64 v3, v[5:6] offset:1024
	s_waitcnt lgkmcnt(0)
	s_barrier
	buffer_gl0_inv
	s_and_saveexec_b32 s28, vcc_lo
	s_cbranch_execnz .LBB1974_671
; %bb.639:                              ;   in Loop: Header=BB1974_566 Depth=2
	s_or_b32 exec_lo, exec_lo, s28
	s_and_saveexec_b32 s28, s21
	s_cbranch_execnz .LBB1974_672
.LBB1974_640:                           ;   in Loop: Header=BB1974_566 Depth=2
	s_or_b32 exec_lo, exec_lo, s28
	s_and_saveexec_b32 s21, s22
	s_cbranch_execnz .LBB1974_673
.LBB1974_641:                           ;   in Loop: Header=BB1974_566 Depth=2
	s_or_b32 exec_lo, exec_lo, s21
	s_and_saveexec_b32 s21, s23
	s_cbranch_execnz .LBB1974_674
.LBB1974_642:                           ;   in Loop: Header=BB1974_566 Depth=2
	s_or_b32 exec_lo, exec_lo, s21
	s_and_saveexec_b32 s21, s24
	s_cbranch_execnz .LBB1974_675
.LBB1974_643:                           ;   in Loop: Header=BB1974_566 Depth=2
	s_or_b32 exec_lo, exec_lo, s21
	s_and_saveexec_b32 s21, s25
	s_cbranch_execnz .LBB1974_676
.LBB1974_644:                           ;   in Loop: Header=BB1974_566 Depth=2
	s_or_b32 exec_lo, exec_lo, s21
	s_and_saveexec_b32 s21, s26
	s_cbranch_execnz .LBB1974_677
.LBB1974_645:                           ;   in Loop: Header=BB1974_566 Depth=2
	s_or_b32 exec_lo, exec_lo, s21
	s_and_saveexec_b32 s21, s27
	s_cbranch_execz .LBB1974_647
.LBB1974_646:                           ;   in Loop: Header=BB1974_566 Depth=2
	v_lshlrev_b32_e32 v3, 2, v97
	ds_read_b32 v3, v3
	ds_read_b64 v[21:22], v21 offset:15360
	s_waitcnt lgkmcnt(1)
	v_add_nc_u32_e32 v3, v3, v38
	v_lshlrev_b64 v[24:25], 3, v[3:4]
	v_add_co_u32 v24, vcc_lo, s46, v24
	v_add_co_ci_u32_e64 v25, null, s47, v25, vcc_lo
	s_waitcnt lgkmcnt(0)
	global_store_dwordx2 v[24:25], v[21:22], off
.LBB1974_647:                           ;   in Loop: Header=BB1974_566 Depth=2
	s_or_b32 exec_lo, exec_lo, s21
	s_waitcnt_vscnt null, 0x0
	s_barrier
	buffer_gl0_inv
	s_and_saveexec_b32 s21, s8
	s_cbranch_execz .LBB1974_565
; %bb.648:                              ;   in Loop: Header=BB1974_566 Depth=2
	ds_read_b32 v3, v29
	s_waitcnt lgkmcnt(0)
	v_add_nc_u32_e32 v3, v3, v23
	ds_write_b32 v29, v3
	s_branch .LBB1974_565
.LBB1974_649:                           ;   in Loop: Header=BB1974_566 Depth=2
	ds_read_u16 v107, v47 offset:1024
	s_waitcnt lgkmcnt(0)
	v_cmp_ne_u16_e64 s21, 0x8000, v107
	v_cndmask_b32_e64 v3, 0x7fff, v107, s21
	v_cmp_gt_i16_e64 s21, 0, v107
	v_lshrrev_b32_sdwa v3, s49, v3 dst_sel:DWORD dst_unused:UNUSED_PAD src0_sel:DWORD src1_sel:WORD_0
	v_cndmask_b32_e64 v109, 0x7fff, 0, s21
	v_and_b32_e32 v3, s42, v3
	v_lshlrev_b32_e32 v3, 2, v3
	ds_read_b32 v3, v3
	s_waitcnt lgkmcnt(0)
	v_add_nc_u32_e32 v3, v3, v0
	v_lshlrev_b64 v[21:22], 1, v[3:4]
	v_xor_b32_e32 v3, v109, v107
	v_add_co_u32 v21, s21, s40, v21
	v_add_co_ci_u32_e64 v22, null, s41, v22, s21
	global_store_short v[21:22], v3, off
	s_or_b32 exec_lo, exec_lo, s22
	v_cmp_lt_u32_e64 s21, v30, v105
	s_and_saveexec_b32 s23, s21
	s_cbranch_execz .LBB1974_614
.LBB1974_650:                           ;   in Loop: Header=BB1974_566 Depth=2
	ds_read_u16 v107, v47 offset:1536
	s_waitcnt lgkmcnt(0)
	v_cmp_ne_u16_e64 s22, 0x8000, v107
	v_cndmask_b32_e64 v3, 0x7fff, v107, s22
	v_cmp_gt_i16_e64 s22, 0, v107
	v_lshrrev_b32_sdwa v3, s49, v3 dst_sel:DWORD dst_unused:UNUSED_PAD src0_sel:DWORD src1_sel:WORD_0
	v_cndmask_b32_e64 v109, 0x7fff, 0, s22
	v_and_b32_e32 v3, s42, v3
	v_lshlrev_b32_e32 v3, 2, v3
	ds_read_b32 v3, v3
	s_waitcnt lgkmcnt(0)
	v_add_nc_u32_e32 v3, v3, v30
	v_lshlrev_b64 v[21:22], 1, v[3:4]
	v_xor_b32_e32 v3, v109, v107
	v_add_co_u32 v21, s22, s40, v21
	v_add_co_ci_u32_e64 v22, null, s41, v22, s22
	global_store_short v[21:22], v3, off
	s_or_b32 exec_lo, exec_lo, s23
	v_cmp_lt_u32_e64 s22, v31, v105
	s_and_saveexec_b32 s24, s22
	s_cbranch_execz .LBB1974_615
.LBB1974_651:                           ;   in Loop: Header=BB1974_566 Depth=2
	ds_read_u16 v107, v47 offset:2048
	s_waitcnt lgkmcnt(0)
	v_cmp_ne_u16_e64 s23, 0x8000, v107
	v_cndmask_b32_e64 v3, 0x7fff, v107, s23
	v_cmp_gt_i16_e64 s23, 0, v107
	v_lshrrev_b32_sdwa v3, s49, v3 dst_sel:DWORD dst_unused:UNUSED_PAD src0_sel:DWORD src1_sel:WORD_0
	v_cndmask_b32_e64 v109, 0x7fff, 0, s23
	v_and_b32_e32 v3, s42, v3
	v_lshlrev_b32_e32 v3, 2, v3
	ds_read_b32 v3, v3
	s_waitcnt lgkmcnt(0)
	v_add_nc_u32_e32 v3, v3, v31
	v_lshlrev_b64 v[21:22], 1, v[3:4]
	v_xor_b32_e32 v3, v109, v107
	v_add_co_u32 v21, s23, s40, v21
	v_add_co_ci_u32_e64 v22, null, s41, v22, s23
	global_store_short v[21:22], v3, off
	s_or_b32 exec_lo, exec_lo, s24
	v_cmp_lt_u32_e64 s23, v32, v105
	s_and_saveexec_b32 s25, s23
	s_cbranch_execz .LBB1974_616
.LBB1974_652:                           ;   in Loop: Header=BB1974_566 Depth=2
	ds_read_u16 v107, v47 offset:2560
	s_waitcnt lgkmcnt(0)
	v_cmp_ne_u16_e64 s24, 0x8000, v107
	v_cndmask_b32_e64 v3, 0x7fff, v107, s24
	v_cmp_gt_i16_e64 s24, 0, v107
	v_lshrrev_b32_sdwa v3, s49, v3 dst_sel:DWORD dst_unused:UNUSED_PAD src0_sel:DWORD src1_sel:WORD_0
	v_cndmask_b32_e64 v109, 0x7fff, 0, s24
	v_and_b32_e32 v3, s42, v3
	v_lshlrev_b32_e32 v3, 2, v3
	ds_read_b32 v3, v3
	s_waitcnt lgkmcnt(0)
	v_add_nc_u32_e32 v3, v3, v32
	v_lshlrev_b64 v[21:22], 1, v[3:4]
	v_xor_b32_e32 v3, v109, v107
	v_add_co_u32 v21, s24, s40, v21
	v_add_co_ci_u32_e64 v22, null, s41, v22, s24
	global_store_short v[21:22], v3, off
	s_or_b32 exec_lo, exec_lo, s25
	v_cmp_lt_u32_e64 s24, v35, v105
	s_and_saveexec_b32 s26, s24
	s_cbranch_execz .LBB1974_617
.LBB1974_653:                           ;   in Loop: Header=BB1974_566 Depth=2
	ds_read_u16 v107, v47 offset:3072
	s_waitcnt lgkmcnt(0)
	v_cmp_ne_u16_e64 s25, 0x8000, v107
	v_cndmask_b32_e64 v3, 0x7fff, v107, s25
	v_cmp_gt_i16_e64 s25, 0, v107
	v_lshrrev_b32_sdwa v3, s49, v3 dst_sel:DWORD dst_unused:UNUSED_PAD src0_sel:DWORD src1_sel:WORD_0
	v_cndmask_b32_e64 v109, 0x7fff, 0, s25
	v_and_b32_e32 v3, s42, v3
	v_lshlrev_b32_e32 v3, 2, v3
	ds_read_b32 v3, v3
	s_waitcnt lgkmcnt(0)
	v_add_nc_u32_e32 v3, v3, v35
	v_lshlrev_b64 v[21:22], 1, v[3:4]
	v_xor_b32_e32 v3, v109, v107
	v_add_co_u32 v21, s25, s40, v21
	v_add_co_ci_u32_e64 v22, null, s41, v22, s25
	global_store_short v[21:22], v3, off
	s_or_b32 exec_lo, exec_lo, s26
	v_cmp_lt_u32_e64 s25, v36, v105
	s_and_saveexec_b32 s27, s25
	s_cbranch_execz .LBB1974_618
.LBB1974_654:                           ;   in Loop: Header=BB1974_566 Depth=2
	ds_read_u16 v107, v47 offset:3584
	s_waitcnt lgkmcnt(0)
	v_cmp_ne_u16_e64 s26, 0x8000, v107
	v_cndmask_b32_e64 v3, 0x7fff, v107, s26
	v_cmp_gt_i16_e64 s26, 0, v107
	v_lshrrev_b32_sdwa v3, s49, v3 dst_sel:DWORD dst_unused:UNUSED_PAD src0_sel:DWORD src1_sel:WORD_0
	v_cndmask_b32_e64 v109, 0x7fff, 0, s26
	v_and_b32_e32 v3, s42, v3
	v_lshlrev_b32_e32 v3, 2, v3
	ds_read_b32 v3, v3
	s_waitcnt lgkmcnt(0)
	v_add_nc_u32_e32 v3, v3, v36
	v_lshlrev_b64 v[21:22], 1, v[3:4]
	v_xor_b32_e32 v3, v109, v107
	v_add_co_u32 v21, s26, s40, v21
	v_add_co_ci_u32_e64 v22, null, s41, v22, s26
	global_store_short v[21:22], v3, off
	s_or_b32 exec_lo, exec_lo, s27
	v_cmp_lt_u32_e64 s26, v37, v105
	s_and_saveexec_b32 s28, s26
	s_cbranch_execz .LBB1974_619
.LBB1974_655:                           ;   in Loop: Header=BB1974_566 Depth=2
	ds_read_u16 v107, v47 offset:4096
	s_waitcnt lgkmcnt(0)
	v_cmp_ne_u16_e64 s27, 0x8000, v107
	v_cndmask_b32_e64 v3, 0x7fff, v107, s27
	v_cmp_gt_i16_e64 s27, 0, v107
	v_lshrrev_b32_sdwa v3, s49, v3 dst_sel:DWORD dst_unused:UNUSED_PAD src0_sel:DWORD src1_sel:WORD_0
	v_cndmask_b32_e64 v109, 0x7fff, 0, s27
	v_and_b32_e32 v3, s42, v3
	v_lshlrev_b32_e32 v3, 2, v3
	ds_read_b32 v3, v3
	s_waitcnt lgkmcnt(0)
	v_add_nc_u32_e32 v3, v3, v37
	v_lshlrev_b64 v[21:22], 1, v[3:4]
	v_xor_b32_e32 v3, v109, v107
	v_add_co_u32 v21, s27, s40, v21
	v_add_co_ci_u32_e64 v22, null, s41, v22, s27
	global_store_short v[21:22], v3, off
	s_or_b32 exec_lo, exec_lo, s28
	v_cmp_lt_u32_e64 s27, v38, v105
	s_and_saveexec_b32 s54, s27
	s_cbranch_execnz .LBB1974_620
	s_branch .LBB1974_621
.LBB1974_656:                           ;   in Loop: Header=BB1974_566 Depth=2
	global_load_dwordx2 v[19:20], v[21:22], off
	s_or_b32 exec_lo, exec_lo, s28
	s_mov_b32 s34, exec_lo
	v_cmpx_lt_u32_e64 v70, v105
	s_cbranch_execz .LBB1974_623
.LBB1974_657:                           ;   in Loop: Header=BB1974_566 Depth=2
	global_load_dwordx2 v[17:18], v[21:22], off offset:256
	s_or_b32 exec_lo, exec_lo, s34
	s_mov_b32 s34, exec_lo
	v_cmpx_lt_u32_e64 v71, v105
	s_cbranch_execz .LBB1974_624
.LBB1974_658:                           ;   in Loop: Header=BB1974_566 Depth=2
	global_load_dwordx2 v[15:16], v[21:22], off offset:512
	s_or_b32 exec_lo, exec_lo, s34
	s_mov_b32 s34, exec_lo
	v_cmpx_lt_u32_e64 v72, v105
	s_cbranch_execz .LBB1974_625
.LBB1974_659:                           ;   in Loop: Header=BB1974_566 Depth=2
	global_load_dwordx2 v[13:14], v[21:22], off offset:768
	s_or_b32 exec_lo, exec_lo, s34
	s_mov_b32 s34, exec_lo
	v_cmpx_lt_u32_e64 v73, v105
	s_cbranch_execz .LBB1974_626
.LBB1974_660:                           ;   in Loop: Header=BB1974_566 Depth=2
	global_load_dwordx2 v[11:12], v[21:22], off offset:1024
	s_or_b32 exec_lo, exec_lo, s34
	s_mov_b32 s34, exec_lo
	v_cmpx_lt_u32_e64 v74, v105
	s_cbranch_execz .LBB1974_627
.LBB1974_661:                           ;   in Loop: Header=BB1974_566 Depth=2
	global_load_dwordx2 v[9:10], v[21:22], off offset:1280
	s_or_b32 exec_lo, exec_lo, s34
	s_mov_b32 s34, exec_lo
	v_cmpx_lt_u32_e64 v75, v105
	s_cbranch_execz .LBB1974_628
.LBB1974_662:                           ;   in Loop: Header=BB1974_566 Depth=2
	global_load_dwordx2 v[7:8], v[21:22], off offset:1536
	s_or_b32 exec_lo, exec_lo, s34
	s_mov_b32 s34, exec_lo
	v_cmpx_lt_u32_e64 v76, v105
	s_cbranch_execz .LBB1974_629
.LBB1974_663:                           ;   in Loop: Header=BB1974_566 Depth=2
	global_load_dwordx2 v[5:6], v[21:22], off offset:1792
	s_or_b32 exec_lo, exec_lo, s34
	s_and_saveexec_b32 s34, vcc_lo
	s_cbranch_execz .LBB1974_630
.LBB1974_664:                           ;   in Loop: Header=BB1974_566 Depth=2
	ds_read_u16 v3, v47 offset:1024
	s_waitcnt lgkmcnt(0)
	v_cmp_ne_u16_e64 s28, 0x8000, v3
	v_cndmask_b32_e64 v3, 0x7fff, v3, s28
	v_lshrrev_b32_sdwa v3, s49, v3 dst_sel:DWORD dst_unused:UNUSED_PAD src0_sel:DWORD src1_sel:WORD_0
	v_and_b32_e32 v104, s42, v3
	s_or_b32 exec_lo, exec_lo, s34
	s_and_saveexec_b32 s34, s21
	s_cbranch_execz .LBB1974_631
.LBB1974_665:                           ;   in Loop: Header=BB1974_566 Depth=2
	ds_read_u16 v3, v47 offset:1536
	s_waitcnt lgkmcnt(0)
	v_cmp_ne_u16_e64 s28, 0x8000, v3
	v_cndmask_b32_e64 v3, 0x7fff, v3, s28
	v_lshrrev_b32_sdwa v3, s49, v3 dst_sel:DWORD dst_unused:UNUSED_PAD src0_sel:DWORD src1_sel:WORD_0
	v_and_b32_e32 v103, s42, v3
	s_or_b32 exec_lo, exec_lo, s34
	s_and_saveexec_b32 s34, s22
	s_cbranch_execz .LBB1974_632
.LBB1974_666:                           ;   in Loop: Header=BB1974_566 Depth=2
	ds_read_u16 v3, v47 offset:2048
	s_waitcnt lgkmcnt(0)
	v_cmp_ne_u16_e64 s28, 0x8000, v3
	v_cndmask_b32_e64 v3, 0x7fff, v3, s28
	v_lshrrev_b32_sdwa v3, s49, v3 dst_sel:DWORD dst_unused:UNUSED_PAD src0_sel:DWORD src1_sel:WORD_0
	v_and_b32_e32 v102, s42, v3
	s_or_b32 exec_lo, exec_lo, s34
	s_and_saveexec_b32 s34, s23
	s_cbranch_execz .LBB1974_633
.LBB1974_667:                           ;   in Loop: Header=BB1974_566 Depth=2
	ds_read_u16 v3, v47 offset:2560
	s_waitcnt lgkmcnt(0)
	v_cmp_ne_u16_e64 s28, 0x8000, v3
	v_cndmask_b32_e64 v3, 0x7fff, v3, s28
	v_lshrrev_b32_sdwa v3, s49, v3 dst_sel:DWORD dst_unused:UNUSED_PAD src0_sel:DWORD src1_sel:WORD_0
	v_and_b32_e32 v101, s42, v3
	s_or_b32 exec_lo, exec_lo, s34
	s_and_saveexec_b32 s34, s24
	s_cbranch_execz .LBB1974_634
.LBB1974_668:                           ;   in Loop: Header=BB1974_566 Depth=2
	ds_read_u16 v3, v47 offset:3072
	s_waitcnt lgkmcnt(0)
	v_cmp_ne_u16_e64 s28, 0x8000, v3
	v_cndmask_b32_e64 v3, 0x7fff, v3, s28
	v_lshrrev_b32_sdwa v3, s49, v3 dst_sel:DWORD dst_unused:UNUSED_PAD src0_sel:DWORD src1_sel:WORD_0
	v_and_b32_e32 v100, s42, v3
	s_or_b32 exec_lo, exec_lo, s34
	s_and_saveexec_b32 s34, s25
	s_cbranch_execz .LBB1974_635
.LBB1974_669:                           ;   in Loop: Header=BB1974_566 Depth=2
	ds_read_u16 v3, v47 offset:3584
	s_waitcnt lgkmcnt(0)
	v_cmp_ne_u16_e64 s28, 0x8000, v3
	v_cndmask_b32_e64 v3, 0x7fff, v3, s28
	v_lshrrev_b32_sdwa v3, s49, v3 dst_sel:DWORD dst_unused:UNUSED_PAD src0_sel:DWORD src1_sel:WORD_0
	v_and_b32_e32 v99, s42, v3
	s_or_b32 exec_lo, exec_lo, s34
	s_and_saveexec_b32 s34, s26
	s_cbranch_execz .LBB1974_636
.LBB1974_670:                           ;   in Loop: Header=BB1974_566 Depth=2
	ds_read_u16 v3, v47 offset:4096
	s_waitcnt lgkmcnt(0)
	v_cmp_ne_u16_e64 s28, 0x8000, v3
	v_cndmask_b32_e64 v3, 0x7fff, v3, s28
	v_lshrrev_b32_sdwa v3, s49, v3 dst_sel:DWORD dst_unused:UNUSED_PAD src0_sel:DWORD src1_sel:WORD_0
	v_and_b32_e32 v98, s42, v3
	s_or_b32 exec_lo, exec_lo, s34
	s_and_saveexec_b32 s34, s27
	s_cbranch_execnz .LBB1974_637
	s_branch .LBB1974_638
.LBB1974_671:                           ;   in Loop: Header=BB1974_566 Depth=2
	v_lshlrev_b32_e32 v3, 2, v104
	ds_read_b32 v3, v3
	ds_read_b64 v[24:25], v21 offset:1024
	s_waitcnt lgkmcnt(1)
	v_add_nc_u32_e32 v3, v3, v0
	v_lshlrev_b64 v[26:27], 3, v[3:4]
	v_add_co_u32 v26, vcc_lo, s46, v26
	v_add_co_ci_u32_e64 v27, null, s47, v27, vcc_lo
	s_waitcnt lgkmcnt(0)
	global_store_dwordx2 v[26:27], v[24:25], off
	s_or_b32 exec_lo, exec_lo, s28
	s_and_saveexec_b32 s28, s21
	s_cbranch_execz .LBB1974_640
.LBB1974_672:                           ;   in Loop: Header=BB1974_566 Depth=2
	v_lshlrev_b32_e32 v3, 2, v103
	ds_read_b32 v3, v3
	ds_read_b64 v[24:25], v21 offset:3072
	s_waitcnt lgkmcnt(1)
	v_add_nc_u32_e32 v3, v3, v30
	v_lshlrev_b64 v[26:27], 3, v[3:4]
	v_add_co_u32 v26, vcc_lo, s46, v26
	v_add_co_ci_u32_e64 v27, null, s47, v27, vcc_lo
	s_waitcnt lgkmcnt(0)
	global_store_dwordx2 v[26:27], v[24:25], off
	s_or_b32 exec_lo, exec_lo, s28
	s_and_saveexec_b32 s21, s22
	s_cbranch_execz .LBB1974_641
.LBB1974_673:                           ;   in Loop: Header=BB1974_566 Depth=2
	v_lshlrev_b32_e32 v3, 2, v102
	ds_read_b32 v3, v3
	ds_read_b64 v[24:25], v21 offset:5120
	s_waitcnt lgkmcnt(1)
	v_add_nc_u32_e32 v3, v3, v31
	v_lshlrev_b64 v[26:27], 3, v[3:4]
	v_add_co_u32 v26, vcc_lo, s46, v26
	v_add_co_ci_u32_e64 v27, null, s47, v27, vcc_lo
	s_waitcnt lgkmcnt(0)
	global_store_dwordx2 v[26:27], v[24:25], off
	s_or_b32 exec_lo, exec_lo, s21
	s_and_saveexec_b32 s21, s23
	s_cbranch_execz .LBB1974_642
.LBB1974_674:                           ;   in Loop: Header=BB1974_566 Depth=2
	v_lshlrev_b32_e32 v3, 2, v101
	ds_read_b32 v3, v3
	ds_read_b64 v[24:25], v21 offset:7168
	s_waitcnt lgkmcnt(1)
	v_add_nc_u32_e32 v3, v3, v32
	v_lshlrev_b64 v[26:27], 3, v[3:4]
	v_add_co_u32 v26, vcc_lo, s46, v26
	v_add_co_ci_u32_e64 v27, null, s47, v27, vcc_lo
	s_waitcnt lgkmcnt(0)
	global_store_dwordx2 v[26:27], v[24:25], off
	s_or_b32 exec_lo, exec_lo, s21
	s_and_saveexec_b32 s21, s24
	s_cbranch_execz .LBB1974_643
.LBB1974_675:                           ;   in Loop: Header=BB1974_566 Depth=2
	v_lshlrev_b32_e32 v3, 2, v100
	ds_read_b32 v3, v3
	ds_read_b64 v[24:25], v21 offset:9216
	s_waitcnt lgkmcnt(1)
	v_add_nc_u32_e32 v3, v3, v35
	v_lshlrev_b64 v[26:27], 3, v[3:4]
	v_add_co_u32 v26, vcc_lo, s46, v26
	v_add_co_ci_u32_e64 v27, null, s47, v27, vcc_lo
	s_waitcnt lgkmcnt(0)
	global_store_dwordx2 v[26:27], v[24:25], off
	s_or_b32 exec_lo, exec_lo, s21
	s_and_saveexec_b32 s21, s25
	s_cbranch_execz .LBB1974_644
.LBB1974_676:                           ;   in Loop: Header=BB1974_566 Depth=2
	v_lshlrev_b32_e32 v3, 2, v99
	ds_read_b32 v3, v3
	ds_read_b64 v[24:25], v21 offset:11264
	s_waitcnt lgkmcnt(1)
	v_add_nc_u32_e32 v3, v3, v36
	v_lshlrev_b64 v[26:27], 3, v[3:4]
	v_add_co_u32 v26, vcc_lo, s46, v26
	v_add_co_ci_u32_e64 v27, null, s47, v27, vcc_lo
	s_waitcnt lgkmcnt(0)
	global_store_dwordx2 v[26:27], v[24:25], off
	s_or_b32 exec_lo, exec_lo, s21
	s_and_saveexec_b32 s21, s26
	s_cbranch_execz .LBB1974_645
.LBB1974_677:                           ;   in Loop: Header=BB1974_566 Depth=2
	v_lshlrev_b32_e32 v3, 2, v98
	ds_read_b32 v3, v3
	ds_read_b64 v[24:25], v21 offset:13312
	s_waitcnt lgkmcnt(1)
	v_add_nc_u32_e32 v3, v3, v37
	v_lshlrev_b64 v[26:27], 3, v[3:4]
	v_add_co_u32 v26, vcc_lo, s46, v26
	v_add_co_ci_u32_e64 v27, null, s47, v27, vcc_lo
	s_waitcnt lgkmcnt(0)
	global_store_dwordx2 v[26:27], v[24:25], off
	s_or_b32 exec_lo, exec_lo, s21
	s_and_saveexec_b32 s21, s27
	s_cbranch_execnz .LBB1974_646
	s_branch .LBB1974_647
.LBB1974_678:
	s_endpgm
	.section	.rodata,"a",@progbits
	.p2align	6, 0x0
	.amdhsa_kernel _ZN7rocprim17ROCPRIM_400000_NS6detail17trampoline_kernelINS0_14default_configENS1_36segmented_radix_sort_config_selectorI12hip_bfloat16lEEZNS1_25segmented_radix_sort_implIS3_Lb1EPKS5_PS5_PKlPlN2at6native12_GLOBAL__N_18offset_tEEE10hipError_tPvRmT1_PNSt15iterator_traitsISL_E10value_typeET2_T3_PNSM_ISR_E10value_typeET4_jRbjT5_SX_jjP12ihipStream_tbEUlT_E2_NS1_11comp_targetILNS1_3genE8ELNS1_11target_archE1030ELNS1_3gpuE2ELNS1_3repE0EEENS1_30default_config_static_selectorELNS0_4arch9wavefront6targetE0EEEvSL_
		.amdhsa_group_segment_fixed_size 17440
		.amdhsa_private_segment_fixed_size 0
		.amdhsa_kernarg_size 336
		.amdhsa_user_sgpr_count 6
		.amdhsa_user_sgpr_private_segment_buffer 1
		.amdhsa_user_sgpr_dispatch_ptr 0
		.amdhsa_user_sgpr_queue_ptr 0
		.amdhsa_user_sgpr_kernarg_segment_ptr 1
		.amdhsa_user_sgpr_dispatch_id 0
		.amdhsa_user_sgpr_flat_scratch_init 0
		.amdhsa_user_sgpr_private_segment_size 0
		.amdhsa_wavefront_size32 1
		.amdhsa_uses_dynamic_stack 0
		.amdhsa_system_sgpr_private_segment_wavefront_offset 0
		.amdhsa_system_sgpr_workgroup_id_x 1
		.amdhsa_system_sgpr_workgroup_id_y 1
		.amdhsa_system_sgpr_workgroup_id_z 0
		.amdhsa_system_sgpr_workgroup_info 0
		.amdhsa_system_vgpr_workitem_id 2
		.amdhsa_next_free_vgpr 184
		.amdhsa_next_free_sgpr 56
		.amdhsa_reserve_vcc 1
		.amdhsa_reserve_flat_scratch 0
		.amdhsa_float_round_mode_32 0
		.amdhsa_float_round_mode_16_64 0
		.amdhsa_float_denorm_mode_32 3
		.amdhsa_float_denorm_mode_16_64 3
		.amdhsa_dx10_clamp 1
		.amdhsa_ieee_mode 1
		.amdhsa_fp16_overflow 0
		.amdhsa_workgroup_processor_mode 1
		.amdhsa_memory_ordered 1
		.amdhsa_forward_progress 1
		.amdhsa_shared_vgpr_count 0
		.amdhsa_exception_fp_ieee_invalid_op 0
		.amdhsa_exception_fp_denorm_src 0
		.amdhsa_exception_fp_ieee_div_zero 0
		.amdhsa_exception_fp_ieee_overflow 0
		.amdhsa_exception_fp_ieee_underflow 0
		.amdhsa_exception_fp_ieee_inexact 0
		.amdhsa_exception_int_div_zero 0
	.end_amdhsa_kernel
	.section	.text._ZN7rocprim17ROCPRIM_400000_NS6detail17trampoline_kernelINS0_14default_configENS1_36segmented_radix_sort_config_selectorI12hip_bfloat16lEEZNS1_25segmented_radix_sort_implIS3_Lb1EPKS5_PS5_PKlPlN2at6native12_GLOBAL__N_18offset_tEEE10hipError_tPvRmT1_PNSt15iterator_traitsISL_E10value_typeET2_T3_PNSM_ISR_E10value_typeET4_jRbjT5_SX_jjP12ihipStream_tbEUlT_E2_NS1_11comp_targetILNS1_3genE8ELNS1_11target_archE1030ELNS1_3gpuE2ELNS1_3repE0EEENS1_30default_config_static_selectorELNS0_4arch9wavefront6targetE0EEEvSL_,"axG",@progbits,_ZN7rocprim17ROCPRIM_400000_NS6detail17trampoline_kernelINS0_14default_configENS1_36segmented_radix_sort_config_selectorI12hip_bfloat16lEEZNS1_25segmented_radix_sort_implIS3_Lb1EPKS5_PS5_PKlPlN2at6native12_GLOBAL__N_18offset_tEEE10hipError_tPvRmT1_PNSt15iterator_traitsISL_E10value_typeET2_T3_PNSM_ISR_E10value_typeET4_jRbjT5_SX_jjP12ihipStream_tbEUlT_E2_NS1_11comp_targetILNS1_3genE8ELNS1_11target_archE1030ELNS1_3gpuE2ELNS1_3repE0EEENS1_30default_config_static_selectorELNS0_4arch9wavefront6targetE0EEEvSL_,comdat
.Lfunc_end1974:
	.size	_ZN7rocprim17ROCPRIM_400000_NS6detail17trampoline_kernelINS0_14default_configENS1_36segmented_radix_sort_config_selectorI12hip_bfloat16lEEZNS1_25segmented_radix_sort_implIS3_Lb1EPKS5_PS5_PKlPlN2at6native12_GLOBAL__N_18offset_tEEE10hipError_tPvRmT1_PNSt15iterator_traitsISL_E10value_typeET2_T3_PNSM_ISR_E10value_typeET4_jRbjT5_SX_jjP12ihipStream_tbEUlT_E2_NS1_11comp_targetILNS1_3genE8ELNS1_11target_archE1030ELNS1_3gpuE2ELNS1_3repE0EEENS1_30default_config_static_selectorELNS0_4arch9wavefront6targetE0EEEvSL_, .Lfunc_end1974-_ZN7rocprim17ROCPRIM_400000_NS6detail17trampoline_kernelINS0_14default_configENS1_36segmented_radix_sort_config_selectorI12hip_bfloat16lEEZNS1_25segmented_radix_sort_implIS3_Lb1EPKS5_PS5_PKlPlN2at6native12_GLOBAL__N_18offset_tEEE10hipError_tPvRmT1_PNSt15iterator_traitsISL_E10value_typeET2_T3_PNSM_ISR_E10value_typeET4_jRbjT5_SX_jjP12ihipStream_tbEUlT_E2_NS1_11comp_targetILNS1_3genE8ELNS1_11target_archE1030ELNS1_3gpuE2ELNS1_3repE0EEENS1_30default_config_static_selectorELNS0_4arch9wavefront6targetE0EEEvSL_
                                        ; -- End function
	.set _ZN7rocprim17ROCPRIM_400000_NS6detail17trampoline_kernelINS0_14default_configENS1_36segmented_radix_sort_config_selectorI12hip_bfloat16lEEZNS1_25segmented_radix_sort_implIS3_Lb1EPKS5_PS5_PKlPlN2at6native12_GLOBAL__N_18offset_tEEE10hipError_tPvRmT1_PNSt15iterator_traitsISL_E10value_typeET2_T3_PNSM_ISR_E10value_typeET4_jRbjT5_SX_jjP12ihipStream_tbEUlT_E2_NS1_11comp_targetILNS1_3genE8ELNS1_11target_archE1030ELNS1_3gpuE2ELNS1_3repE0EEENS1_30default_config_static_selectorELNS0_4arch9wavefront6targetE0EEEvSL_.num_vgpr, max(139, .L_ZN7rocprim17ROCPRIM_400000_NS6detail26segmented_warp_sort_helperINS1_20WarpSortHelperConfigILj8ELj4ELj256EEE12hip_bfloat16lLi256ELb1EvE4sortIPKS5_PS5_PKlPlEEvT_T0_T1_T2_jjjjRNS6_12storage_typeE.num_vgpr, .L_ZN7rocprim17ROCPRIM_400000_NS6detail40segmented_radix_sort_single_block_helperI12hip_bfloat16lLj256ELj8ELb1EE4sortIPKS3_PS3_PKlPlEEbT_T0_T1_T2_jjjjRNS4_12storage_typeE.num_vgpr)
	.set _ZN7rocprim17ROCPRIM_400000_NS6detail17trampoline_kernelINS0_14default_configENS1_36segmented_radix_sort_config_selectorI12hip_bfloat16lEEZNS1_25segmented_radix_sort_implIS3_Lb1EPKS5_PS5_PKlPlN2at6native12_GLOBAL__N_18offset_tEEE10hipError_tPvRmT1_PNSt15iterator_traitsISL_E10value_typeET2_T3_PNSM_ISR_E10value_typeET4_jRbjT5_SX_jjP12ihipStream_tbEUlT_E2_NS1_11comp_targetILNS1_3genE8ELNS1_11target_archE1030ELNS1_3gpuE2ELNS1_3repE0EEENS1_30default_config_static_selectorELNS0_4arch9wavefront6targetE0EEEvSL_.num_agpr, max(0, .L_ZN7rocprim17ROCPRIM_400000_NS6detail26segmented_warp_sort_helperINS1_20WarpSortHelperConfigILj8ELj4ELj256EEE12hip_bfloat16lLi256ELb1EvE4sortIPKS5_PS5_PKlPlEEvT_T0_T1_T2_jjjjRNS6_12storage_typeE.num_agpr, .L_ZN7rocprim17ROCPRIM_400000_NS6detail40segmented_radix_sort_single_block_helperI12hip_bfloat16lLj256ELj8ELb1EE4sortIPKS3_PS3_PKlPlEEbT_T0_T1_T2_jjjjRNS4_12storage_typeE.num_agpr)
	.set _ZN7rocprim17ROCPRIM_400000_NS6detail17trampoline_kernelINS0_14default_configENS1_36segmented_radix_sort_config_selectorI12hip_bfloat16lEEZNS1_25segmented_radix_sort_implIS3_Lb1EPKS5_PS5_PKlPlN2at6native12_GLOBAL__N_18offset_tEEE10hipError_tPvRmT1_PNSt15iterator_traitsISL_E10value_typeET2_T3_PNSM_ISR_E10value_typeET4_jRbjT5_SX_jjP12ihipStream_tbEUlT_E2_NS1_11comp_targetILNS1_3genE8ELNS1_11target_archE1030ELNS1_3gpuE2ELNS1_3repE0EEENS1_30default_config_static_selectorELNS0_4arch9wavefront6targetE0EEEvSL_.numbered_sgpr, max(56, .L_ZN7rocprim17ROCPRIM_400000_NS6detail26segmented_warp_sort_helperINS1_20WarpSortHelperConfigILj8ELj4ELj256EEE12hip_bfloat16lLi256ELb1EvE4sortIPKS5_PS5_PKlPlEEvT_T0_T1_T2_jjjjRNS6_12storage_typeE.numbered_sgpr, .L_ZN7rocprim17ROCPRIM_400000_NS6detail40segmented_radix_sort_single_block_helperI12hip_bfloat16lLj256ELj8ELb1EE4sortIPKS3_PS3_PKlPlEEbT_T0_T1_T2_jjjjRNS4_12storage_typeE.numbered_sgpr)
	.set _ZN7rocprim17ROCPRIM_400000_NS6detail17trampoline_kernelINS0_14default_configENS1_36segmented_radix_sort_config_selectorI12hip_bfloat16lEEZNS1_25segmented_radix_sort_implIS3_Lb1EPKS5_PS5_PKlPlN2at6native12_GLOBAL__N_18offset_tEEE10hipError_tPvRmT1_PNSt15iterator_traitsISL_E10value_typeET2_T3_PNSM_ISR_E10value_typeET4_jRbjT5_SX_jjP12ihipStream_tbEUlT_E2_NS1_11comp_targetILNS1_3genE8ELNS1_11target_archE1030ELNS1_3gpuE2ELNS1_3repE0EEENS1_30default_config_static_selectorELNS0_4arch9wavefront6targetE0EEEvSL_.num_named_barrier, max(0, .L_ZN7rocprim17ROCPRIM_400000_NS6detail26segmented_warp_sort_helperINS1_20WarpSortHelperConfigILj8ELj4ELj256EEE12hip_bfloat16lLi256ELb1EvE4sortIPKS5_PS5_PKlPlEEvT_T0_T1_T2_jjjjRNS6_12storage_typeE.num_named_barrier, .L_ZN7rocprim17ROCPRIM_400000_NS6detail40segmented_radix_sort_single_block_helperI12hip_bfloat16lLj256ELj8ELb1EE4sortIPKS3_PS3_PKlPlEEbT_T0_T1_T2_jjjjRNS4_12storage_typeE.num_named_barrier)
	.set _ZN7rocprim17ROCPRIM_400000_NS6detail17trampoline_kernelINS0_14default_configENS1_36segmented_radix_sort_config_selectorI12hip_bfloat16lEEZNS1_25segmented_radix_sort_implIS3_Lb1EPKS5_PS5_PKlPlN2at6native12_GLOBAL__N_18offset_tEEE10hipError_tPvRmT1_PNSt15iterator_traitsISL_E10value_typeET2_T3_PNSM_ISR_E10value_typeET4_jRbjT5_SX_jjP12ihipStream_tbEUlT_E2_NS1_11comp_targetILNS1_3genE8ELNS1_11target_archE1030ELNS1_3gpuE2ELNS1_3repE0EEENS1_30default_config_static_selectorELNS0_4arch9wavefront6targetE0EEEvSL_.private_seg_size, 0+max(.L_ZN7rocprim17ROCPRIM_400000_NS6detail26segmented_warp_sort_helperINS1_20WarpSortHelperConfigILj8ELj4ELj256EEE12hip_bfloat16lLi256ELb1EvE4sortIPKS5_PS5_PKlPlEEvT_T0_T1_T2_jjjjRNS6_12storage_typeE.private_seg_size, .L_ZN7rocprim17ROCPRIM_400000_NS6detail40segmented_radix_sort_single_block_helperI12hip_bfloat16lLj256ELj8ELb1EE4sortIPKS3_PS3_PKlPlEEbT_T0_T1_T2_jjjjRNS4_12storage_typeE.private_seg_size)
	.set _ZN7rocprim17ROCPRIM_400000_NS6detail17trampoline_kernelINS0_14default_configENS1_36segmented_radix_sort_config_selectorI12hip_bfloat16lEEZNS1_25segmented_radix_sort_implIS3_Lb1EPKS5_PS5_PKlPlN2at6native12_GLOBAL__N_18offset_tEEE10hipError_tPvRmT1_PNSt15iterator_traitsISL_E10value_typeET2_T3_PNSM_ISR_E10value_typeET4_jRbjT5_SX_jjP12ihipStream_tbEUlT_E2_NS1_11comp_targetILNS1_3genE8ELNS1_11target_archE1030ELNS1_3gpuE2ELNS1_3repE0EEENS1_30default_config_static_selectorELNS0_4arch9wavefront6targetE0EEEvSL_.uses_vcc, or(1, .L_ZN7rocprim17ROCPRIM_400000_NS6detail26segmented_warp_sort_helperINS1_20WarpSortHelperConfigILj8ELj4ELj256EEE12hip_bfloat16lLi256ELb1EvE4sortIPKS5_PS5_PKlPlEEvT_T0_T1_T2_jjjjRNS6_12storage_typeE.uses_vcc, .L_ZN7rocprim17ROCPRIM_400000_NS6detail40segmented_radix_sort_single_block_helperI12hip_bfloat16lLj256ELj8ELb1EE4sortIPKS3_PS3_PKlPlEEbT_T0_T1_T2_jjjjRNS4_12storage_typeE.uses_vcc)
	.set _ZN7rocprim17ROCPRIM_400000_NS6detail17trampoline_kernelINS0_14default_configENS1_36segmented_radix_sort_config_selectorI12hip_bfloat16lEEZNS1_25segmented_radix_sort_implIS3_Lb1EPKS5_PS5_PKlPlN2at6native12_GLOBAL__N_18offset_tEEE10hipError_tPvRmT1_PNSt15iterator_traitsISL_E10value_typeET2_T3_PNSM_ISR_E10value_typeET4_jRbjT5_SX_jjP12ihipStream_tbEUlT_E2_NS1_11comp_targetILNS1_3genE8ELNS1_11target_archE1030ELNS1_3gpuE2ELNS1_3repE0EEENS1_30default_config_static_selectorELNS0_4arch9wavefront6targetE0EEEvSL_.uses_flat_scratch, or(0, .L_ZN7rocprim17ROCPRIM_400000_NS6detail26segmented_warp_sort_helperINS1_20WarpSortHelperConfigILj8ELj4ELj256EEE12hip_bfloat16lLi256ELb1EvE4sortIPKS5_PS5_PKlPlEEvT_T0_T1_T2_jjjjRNS6_12storage_typeE.uses_flat_scratch, .L_ZN7rocprim17ROCPRIM_400000_NS6detail40segmented_radix_sort_single_block_helperI12hip_bfloat16lLj256ELj8ELb1EE4sortIPKS3_PS3_PKlPlEEbT_T0_T1_T2_jjjjRNS4_12storage_typeE.uses_flat_scratch)
	.set _ZN7rocprim17ROCPRIM_400000_NS6detail17trampoline_kernelINS0_14default_configENS1_36segmented_radix_sort_config_selectorI12hip_bfloat16lEEZNS1_25segmented_radix_sort_implIS3_Lb1EPKS5_PS5_PKlPlN2at6native12_GLOBAL__N_18offset_tEEE10hipError_tPvRmT1_PNSt15iterator_traitsISL_E10value_typeET2_T3_PNSM_ISR_E10value_typeET4_jRbjT5_SX_jjP12ihipStream_tbEUlT_E2_NS1_11comp_targetILNS1_3genE8ELNS1_11target_archE1030ELNS1_3gpuE2ELNS1_3repE0EEENS1_30default_config_static_selectorELNS0_4arch9wavefront6targetE0EEEvSL_.has_dyn_sized_stack, or(0, .L_ZN7rocprim17ROCPRIM_400000_NS6detail26segmented_warp_sort_helperINS1_20WarpSortHelperConfigILj8ELj4ELj256EEE12hip_bfloat16lLi256ELb1EvE4sortIPKS5_PS5_PKlPlEEvT_T0_T1_T2_jjjjRNS6_12storage_typeE.has_dyn_sized_stack, .L_ZN7rocprim17ROCPRIM_400000_NS6detail40segmented_radix_sort_single_block_helperI12hip_bfloat16lLj256ELj8ELb1EE4sortIPKS3_PS3_PKlPlEEbT_T0_T1_T2_jjjjRNS4_12storage_typeE.has_dyn_sized_stack)
	.set _ZN7rocprim17ROCPRIM_400000_NS6detail17trampoline_kernelINS0_14default_configENS1_36segmented_radix_sort_config_selectorI12hip_bfloat16lEEZNS1_25segmented_radix_sort_implIS3_Lb1EPKS5_PS5_PKlPlN2at6native12_GLOBAL__N_18offset_tEEE10hipError_tPvRmT1_PNSt15iterator_traitsISL_E10value_typeET2_T3_PNSM_ISR_E10value_typeET4_jRbjT5_SX_jjP12ihipStream_tbEUlT_E2_NS1_11comp_targetILNS1_3genE8ELNS1_11target_archE1030ELNS1_3gpuE2ELNS1_3repE0EEENS1_30default_config_static_selectorELNS0_4arch9wavefront6targetE0EEEvSL_.has_recursion, or(0, .L_ZN7rocprim17ROCPRIM_400000_NS6detail26segmented_warp_sort_helperINS1_20WarpSortHelperConfigILj8ELj4ELj256EEE12hip_bfloat16lLi256ELb1EvE4sortIPKS5_PS5_PKlPlEEvT_T0_T1_T2_jjjjRNS6_12storage_typeE.has_recursion, .L_ZN7rocprim17ROCPRIM_400000_NS6detail40segmented_radix_sort_single_block_helperI12hip_bfloat16lLj256ELj8ELb1EE4sortIPKS3_PS3_PKlPlEEbT_T0_T1_T2_jjjjRNS4_12storage_typeE.has_recursion)
	.set _ZN7rocprim17ROCPRIM_400000_NS6detail17trampoline_kernelINS0_14default_configENS1_36segmented_radix_sort_config_selectorI12hip_bfloat16lEEZNS1_25segmented_radix_sort_implIS3_Lb1EPKS5_PS5_PKlPlN2at6native12_GLOBAL__N_18offset_tEEE10hipError_tPvRmT1_PNSt15iterator_traitsISL_E10value_typeET2_T3_PNSM_ISR_E10value_typeET4_jRbjT5_SX_jjP12ihipStream_tbEUlT_E2_NS1_11comp_targetILNS1_3genE8ELNS1_11target_archE1030ELNS1_3gpuE2ELNS1_3repE0EEENS1_30default_config_static_selectorELNS0_4arch9wavefront6targetE0EEEvSL_.has_indirect_call, or(0, .L_ZN7rocprim17ROCPRIM_400000_NS6detail26segmented_warp_sort_helperINS1_20WarpSortHelperConfigILj8ELj4ELj256EEE12hip_bfloat16lLi256ELb1EvE4sortIPKS5_PS5_PKlPlEEvT_T0_T1_T2_jjjjRNS6_12storage_typeE.has_indirect_call, .L_ZN7rocprim17ROCPRIM_400000_NS6detail40segmented_radix_sort_single_block_helperI12hip_bfloat16lLj256ELj8ELb1EE4sortIPKS3_PS3_PKlPlEEbT_T0_T1_T2_jjjjRNS4_12storage_typeE.has_indirect_call)
	.section	.AMDGPU.csdata,"",@progbits
; Kernel info:
; codeLenInByte = 38736
; TotalNumSgprs: 58
; NumVgprs: 184
; ScratchSize: 0
; MemoryBound: 0
; FloatMode: 240
; IeeeMode: 1
; LDSByteSize: 17440 bytes/workgroup (compile time only)
; SGPRBlocks: 0
; VGPRBlocks: 22
; NumSGPRsForWavesPerEU: 58
; NumVGPRsForWavesPerEU: 184
; Occupancy: 5
; WaveLimiterHint : 1
; COMPUTE_PGM_RSRC2:SCRATCH_EN: 0
; COMPUTE_PGM_RSRC2:USER_SGPR: 6
; COMPUTE_PGM_RSRC2:TRAP_HANDLER: 0
; COMPUTE_PGM_RSRC2:TGID_X_EN: 1
; COMPUTE_PGM_RSRC2:TGID_Y_EN: 1
; COMPUTE_PGM_RSRC2:TGID_Z_EN: 0
; COMPUTE_PGM_RSRC2:TIDIG_COMP_CNT: 2
	.section	.text._ZN7rocprim17ROCPRIM_400000_NS6detail17trampoline_kernelINS0_13select_configILj256ELj13ELNS0_17block_load_methodE3ELS4_3ELS4_3ELNS0_20block_scan_algorithmE0ELj4294967295EEENS1_25partition_config_selectorILNS1_17partition_subalgoE4EjNS0_10empty_typeEbEEZZNS1_14partition_implILS8_4ELb0ES6_15HIP_vector_typeIjLj2EENS0_17counting_iteratorIjlEEPS9_SG_NS0_5tupleIJPjSI_NS0_16reverse_iteratorISI_EEEEENSH_IJSG_SG_SG_EEES9_SI_JZNS1_25segmented_radix_sort_implINS0_14default_configELb0EPK12hip_bfloat16PSP_PKlPlN2at6native12_GLOBAL__N_18offset_tEEE10hipError_tPvRmT1_PNSt15iterator_traitsIS13_E10value_typeET2_T3_PNS14_IS19_E10value_typeET4_jRbjT5_S1F_jjP12ihipStream_tbEUljE_ZNSN_ISO_Lb0ESR_SS_SU_SV_SZ_EES10_S11_S12_S13_S17_S18_S19_S1C_S1D_jS1E_jS1F_S1F_jjS1H_bEUljE0_EEES10_S11_S12_S19_S1D_S1F_T6_T7_T9_mT8_S1H_bDpT10_ENKUlT_T0_E_clISt17integral_constantIbLb0EES1V_EEDaS1Q_S1R_EUlS1Q_E_NS1_11comp_targetILNS1_3genE0ELNS1_11target_archE4294967295ELNS1_3gpuE0ELNS1_3repE0EEENS1_30default_config_static_selectorELNS0_4arch9wavefront6targetE0EEEvS13_,"axG",@progbits,_ZN7rocprim17ROCPRIM_400000_NS6detail17trampoline_kernelINS0_13select_configILj256ELj13ELNS0_17block_load_methodE3ELS4_3ELS4_3ELNS0_20block_scan_algorithmE0ELj4294967295EEENS1_25partition_config_selectorILNS1_17partition_subalgoE4EjNS0_10empty_typeEbEEZZNS1_14partition_implILS8_4ELb0ES6_15HIP_vector_typeIjLj2EENS0_17counting_iteratorIjlEEPS9_SG_NS0_5tupleIJPjSI_NS0_16reverse_iteratorISI_EEEEENSH_IJSG_SG_SG_EEES9_SI_JZNS1_25segmented_radix_sort_implINS0_14default_configELb0EPK12hip_bfloat16PSP_PKlPlN2at6native12_GLOBAL__N_18offset_tEEE10hipError_tPvRmT1_PNSt15iterator_traitsIS13_E10value_typeET2_T3_PNS14_IS19_E10value_typeET4_jRbjT5_S1F_jjP12ihipStream_tbEUljE_ZNSN_ISO_Lb0ESR_SS_SU_SV_SZ_EES10_S11_S12_S13_S17_S18_S19_S1C_S1D_jS1E_jS1F_S1F_jjS1H_bEUljE0_EEES10_S11_S12_S19_S1D_S1F_T6_T7_T9_mT8_S1H_bDpT10_ENKUlT_T0_E_clISt17integral_constantIbLb0EES1V_EEDaS1Q_S1R_EUlS1Q_E_NS1_11comp_targetILNS1_3genE0ELNS1_11target_archE4294967295ELNS1_3gpuE0ELNS1_3repE0EEENS1_30default_config_static_selectorELNS0_4arch9wavefront6targetE0EEEvS13_,comdat
	.globl	_ZN7rocprim17ROCPRIM_400000_NS6detail17trampoline_kernelINS0_13select_configILj256ELj13ELNS0_17block_load_methodE3ELS4_3ELS4_3ELNS0_20block_scan_algorithmE0ELj4294967295EEENS1_25partition_config_selectorILNS1_17partition_subalgoE4EjNS0_10empty_typeEbEEZZNS1_14partition_implILS8_4ELb0ES6_15HIP_vector_typeIjLj2EENS0_17counting_iteratorIjlEEPS9_SG_NS0_5tupleIJPjSI_NS0_16reverse_iteratorISI_EEEEENSH_IJSG_SG_SG_EEES9_SI_JZNS1_25segmented_radix_sort_implINS0_14default_configELb0EPK12hip_bfloat16PSP_PKlPlN2at6native12_GLOBAL__N_18offset_tEEE10hipError_tPvRmT1_PNSt15iterator_traitsIS13_E10value_typeET2_T3_PNS14_IS19_E10value_typeET4_jRbjT5_S1F_jjP12ihipStream_tbEUljE_ZNSN_ISO_Lb0ESR_SS_SU_SV_SZ_EES10_S11_S12_S13_S17_S18_S19_S1C_S1D_jS1E_jS1F_S1F_jjS1H_bEUljE0_EEES10_S11_S12_S19_S1D_S1F_T6_T7_T9_mT8_S1H_bDpT10_ENKUlT_T0_E_clISt17integral_constantIbLb0EES1V_EEDaS1Q_S1R_EUlS1Q_E_NS1_11comp_targetILNS1_3genE0ELNS1_11target_archE4294967295ELNS1_3gpuE0ELNS1_3repE0EEENS1_30default_config_static_selectorELNS0_4arch9wavefront6targetE0EEEvS13_ ; -- Begin function _ZN7rocprim17ROCPRIM_400000_NS6detail17trampoline_kernelINS0_13select_configILj256ELj13ELNS0_17block_load_methodE3ELS4_3ELS4_3ELNS0_20block_scan_algorithmE0ELj4294967295EEENS1_25partition_config_selectorILNS1_17partition_subalgoE4EjNS0_10empty_typeEbEEZZNS1_14partition_implILS8_4ELb0ES6_15HIP_vector_typeIjLj2EENS0_17counting_iteratorIjlEEPS9_SG_NS0_5tupleIJPjSI_NS0_16reverse_iteratorISI_EEEEENSH_IJSG_SG_SG_EEES9_SI_JZNS1_25segmented_radix_sort_implINS0_14default_configELb0EPK12hip_bfloat16PSP_PKlPlN2at6native12_GLOBAL__N_18offset_tEEE10hipError_tPvRmT1_PNSt15iterator_traitsIS13_E10value_typeET2_T3_PNS14_IS19_E10value_typeET4_jRbjT5_S1F_jjP12ihipStream_tbEUljE_ZNSN_ISO_Lb0ESR_SS_SU_SV_SZ_EES10_S11_S12_S13_S17_S18_S19_S1C_S1D_jS1E_jS1F_S1F_jjS1H_bEUljE0_EEES10_S11_S12_S19_S1D_S1F_T6_T7_T9_mT8_S1H_bDpT10_ENKUlT_T0_E_clISt17integral_constantIbLb0EES1V_EEDaS1Q_S1R_EUlS1Q_E_NS1_11comp_targetILNS1_3genE0ELNS1_11target_archE4294967295ELNS1_3gpuE0ELNS1_3repE0EEENS1_30default_config_static_selectorELNS0_4arch9wavefront6targetE0EEEvS13_
	.p2align	8
	.type	_ZN7rocprim17ROCPRIM_400000_NS6detail17trampoline_kernelINS0_13select_configILj256ELj13ELNS0_17block_load_methodE3ELS4_3ELS4_3ELNS0_20block_scan_algorithmE0ELj4294967295EEENS1_25partition_config_selectorILNS1_17partition_subalgoE4EjNS0_10empty_typeEbEEZZNS1_14partition_implILS8_4ELb0ES6_15HIP_vector_typeIjLj2EENS0_17counting_iteratorIjlEEPS9_SG_NS0_5tupleIJPjSI_NS0_16reverse_iteratorISI_EEEEENSH_IJSG_SG_SG_EEES9_SI_JZNS1_25segmented_radix_sort_implINS0_14default_configELb0EPK12hip_bfloat16PSP_PKlPlN2at6native12_GLOBAL__N_18offset_tEEE10hipError_tPvRmT1_PNSt15iterator_traitsIS13_E10value_typeET2_T3_PNS14_IS19_E10value_typeET4_jRbjT5_S1F_jjP12ihipStream_tbEUljE_ZNSN_ISO_Lb0ESR_SS_SU_SV_SZ_EES10_S11_S12_S13_S17_S18_S19_S1C_S1D_jS1E_jS1F_S1F_jjS1H_bEUljE0_EEES10_S11_S12_S19_S1D_S1F_T6_T7_T9_mT8_S1H_bDpT10_ENKUlT_T0_E_clISt17integral_constantIbLb0EES1V_EEDaS1Q_S1R_EUlS1Q_E_NS1_11comp_targetILNS1_3genE0ELNS1_11target_archE4294967295ELNS1_3gpuE0ELNS1_3repE0EEENS1_30default_config_static_selectorELNS0_4arch9wavefront6targetE0EEEvS13_,@function
_ZN7rocprim17ROCPRIM_400000_NS6detail17trampoline_kernelINS0_13select_configILj256ELj13ELNS0_17block_load_methodE3ELS4_3ELS4_3ELNS0_20block_scan_algorithmE0ELj4294967295EEENS1_25partition_config_selectorILNS1_17partition_subalgoE4EjNS0_10empty_typeEbEEZZNS1_14partition_implILS8_4ELb0ES6_15HIP_vector_typeIjLj2EENS0_17counting_iteratorIjlEEPS9_SG_NS0_5tupleIJPjSI_NS0_16reverse_iteratorISI_EEEEENSH_IJSG_SG_SG_EEES9_SI_JZNS1_25segmented_radix_sort_implINS0_14default_configELb0EPK12hip_bfloat16PSP_PKlPlN2at6native12_GLOBAL__N_18offset_tEEE10hipError_tPvRmT1_PNSt15iterator_traitsIS13_E10value_typeET2_T3_PNS14_IS19_E10value_typeET4_jRbjT5_S1F_jjP12ihipStream_tbEUljE_ZNSN_ISO_Lb0ESR_SS_SU_SV_SZ_EES10_S11_S12_S13_S17_S18_S19_S1C_S1D_jS1E_jS1F_S1F_jjS1H_bEUljE0_EEES10_S11_S12_S19_S1D_S1F_T6_T7_T9_mT8_S1H_bDpT10_ENKUlT_T0_E_clISt17integral_constantIbLb0EES1V_EEDaS1Q_S1R_EUlS1Q_E_NS1_11comp_targetILNS1_3genE0ELNS1_11target_archE4294967295ELNS1_3gpuE0ELNS1_3repE0EEENS1_30default_config_static_selectorELNS0_4arch9wavefront6targetE0EEEvS13_: ; @_ZN7rocprim17ROCPRIM_400000_NS6detail17trampoline_kernelINS0_13select_configILj256ELj13ELNS0_17block_load_methodE3ELS4_3ELS4_3ELNS0_20block_scan_algorithmE0ELj4294967295EEENS1_25partition_config_selectorILNS1_17partition_subalgoE4EjNS0_10empty_typeEbEEZZNS1_14partition_implILS8_4ELb0ES6_15HIP_vector_typeIjLj2EENS0_17counting_iteratorIjlEEPS9_SG_NS0_5tupleIJPjSI_NS0_16reverse_iteratorISI_EEEEENSH_IJSG_SG_SG_EEES9_SI_JZNS1_25segmented_radix_sort_implINS0_14default_configELb0EPK12hip_bfloat16PSP_PKlPlN2at6native12_GLOBAL__N_18offset_tEEE10hipError_tPvRmT1_PNSt15iterator_traitsIS13_E10value_typeET2_T3_PNS14_IS19_E10value_typeET4_jRbjT5_S1F_jjP12ihipStream_tbEUljE_ZNSN_ISO_Lb0ESR_SS_SU_SV_SZ_EES10_S11_S12_S13_S17_S18_S19_S1C_S1D_jS1E_jS1F_S1F_jjS1H_bEUljE0_EEES10_S11_S12_S19_S1D_S1F_T6_T7_T9_mT8_S1H_bDpT10_ENKUlT_T0_E_clISt17integral_constantIbLb0EES1V_EEDaS1Q_S1R_EUlS1Q_E_NS1_11comp_targetILNS1_3genE0ELNS1_11target_archE4294967295ELNS1_3gpuE0ELNS1_3repE0EEENS1_30default_config_static_selectorELNS0_4arch9wavefront6targetE0EEEvS13_
; %bb.0:
	.section	.rodata,"a",@progbits
	.p2align	6, 0x0
	.amdhsa_kernel _ZN7rocprim17ROCPRIM_400000_NS6detail17trampoline_kernelINS0_13select_configILj256ELj13ELNS0_17block_load_methodE3ELS4_3ELS4_3ELNS0_20block_scan_algorithmE0ELj4294967295EEENS1_25partition_config_selectorILNS1_17partition_subalgoE4EjNS0_10empty_typeEbEEZZNS1_14partition_implILS8_4ELb0ES6_15HIP_vector_typeIjLj2EENS0_17counting_iteratorIjlEEPS9_SG_NS0_5tupleIJPjSI_NS0_16reverse_iteratorISI_EEEEENSH_IJSG_SG_SG_EEES9_SI_JZNS1_25segmented_radix_sort_implINS0_14default_configELb0EPK12hip_bfloat16PSP_PKlPlN2at6native12_GLOBAL__N_18offset_tEEE10hipError_tPvRmT1_PNSt15iterator_traitsIS13_E10value_typeET2_T3_PNS14_IS19_E10value_typeET4_jRbjT5_S1F_jjP12ihipStream_tbEUljE_ZNSN_ISO_Lb0ESR_SS_SU_SV_SZ_EES10_S11_S12_S13_S17_S18_S19_S1C_S1D_jS1E_jS1F_S1F_jjS1H_bEUljE0_EEES10_S11_S12_S19_S1D_S1F_T6_T7_T9_mT8_S1H_bDpT10_ENKUlT_T0_E_clISt17integral_constantIbLb0EES1V_EEDaS1Q_S1R_EUlS1Q_E_NS1_11comp_targetILNS1_3genE0ELNS1_11target_archE4294967295ELNS1_3gpuE0ELNS1_3repE0EEENS1_30default_config_static_selectorELNS0_4arch9wavefront6targetE0EEEvS13_
		.amdhsa_group_segment_fixed_size 0
		.amdhsa_private_segment_fixed_size 0
		.amdhsa_kernarg_size 176
		.amdhsa_user_sgpr_count 6
		.amdhsa_user_sgpr_private_segment_buffer 1
		.amdhsa_user_sgpr_dispatch_ptr 0
		.amdhsa_user_sgpr_queue_ptr 0
		.amdhsa_user_sgpr_kernarg_segment_ptr 1
		.amdhsa_user_sgpr_dispatch_id 0
		.amdhsa_user_sgpr_flat_scratch_init 0
		.amdhsa_user_sgpr_private_segment_size 0
		.amdhsa_wavefront_size32 1
		.amdhsa_uses_dynamic_stack 0
		.amdhsa_system_sgpr_private_segment_wavefront_offset 0
		.amdhsa_system_sgpr_workgroup_id_x 1
		.amdhsa_system_sgpr_workgroup_id_y 0
		.amdhsa_system_sgpr_workgroup_id_z 0
		.amdhsa_system_sgpr_workgroup_info 0
		.amdhsa_system_vgpr_workitem_id 0
		.amdhsa_next_free_vgpr 1
		.amdhsa_next_free_sgpr 1
		.amdhsa_reserve_vcc 0
		.amdhsa_reserve_flat_scratch 0
		.amdhsa_float_round_mode_32 0
		.amdhsa_float_round_mode_16_64 0
		.amdhsa_float_denorm_mode_32 3
		.amdhsa_float_denorm_mode_16_64 3
		.amdhsa_dx10_clamp 1
		.amdhsa_ieee_mode 1
		.amdhsa_fp16_overflow 0
		.amdhsa_workgroup_processor_mode 1
		.amdhsa_memory_ordered 1
		.amdhsa_forward_progress 1
		.amdhsa_shared_vgpr_count 0
		.amdhsa_exception_fp_ieee_invalid_op 0
		.amdhsa_exception_fp_denorm_src 0
		.amdhsa_exception_fp_ieee_div_zero 0
		.amdhsa_exception_fp_ieee_overflow 0
		.amdhsa_exception_fp_ieee_underflow 0
		.amdhsa_exception_fp_ieee_inexact 0
		.amdhsa_exception_int_div_zero 0
	.end_amdhsa_kernel
	.section	.text._ZN7rocprim17ROCPRIM_400000_NS6detail17trampoline_kernelINS0_13select_configILj256ELj13ELNS0_17block_load_methodE3ELS4_3ELS4_3ELNS0_20block_scan_algorithmE0ELj4294967295EEENS1_25partition_config_selectorILNS1_17partition_subalgoE4EjNS0_10empty_typeEbEEZZNS1_14partition_implILS8_4ELb0ES6_15HIP_vector_typeIjLj2EENS0_17counting_iteratorIjlEEPS9_SG_NS0_5tupleIJPjSI_NS0_16reverse_iteratorISI_EEEEENSH_IJSG_SG_SG_EEES9_SI_JZNS1_25segmented_radix_sort_implINS0_14default_configELb0EPK12hip_bfloat16PSP_PKlPlN2at6native12_GLOBAL__N_18offset_tEEE10hipError_tPvRmT1_PNSt15iterator_traitsIS13_E10value_typeET2_T3_PNS14_IS19_E10value_typeET4_jRbjT5_S1F_jjP12ihipStream_tbEUljE_ZNSN_ISO_Lb0ESR_SS_SU_SV_SZ_EES10_S11_S12_S13_S17_S18_S19_S1C_S1D_jS1E_jS1F_S1F_jjS1H_bEUljE0_EEES10_S11_S12_S19_S1D_S1F_T6_T7_T9_mT8_S1H_bDpT10_ENKUlT_T0_E_clISt17integral_constantIbLb0EES1V_EEDaS1Q_S1R_EUlS1Q_E_NS1_11comp_targetILNS1_3genE0ELNS1_11target_archE4294967295ELNS1_3gpuE0ELNS1_3repE0EEENS1_30default_config_static_selectorELNS0_4arch9wavefront6targetE0EEEvS13_,"axG",@progbits,_ZN7rocprim17ROCPRIM_400000_NS6detail17trampoline_kernelINS0_13select_configILj256ELj13ELNS0_17block_load_methodE3ELS4_3ELS4_3ELNS0_20block_scan_algorithmE0ELj4294967295EEENS1_25partition_config_selectorILNS1_17partition_subalgoE4EjNS0_10empty_typeEbEEZZNS1_14partition_implILS8_4ELb0ES6_15HIP_vector_typeIjLj2EENS0_17counting_iteratorIjlEEPS9_SG_NS0_5tupleIJPjSI_NS0_16reverse_iteratorISI_EEEEENSH_IJSG_SG_SG_EEES9_SI_JZNS1_25segmented_radix_sort_implINS0_14default_configELb0EPK12hip_bfloat16PSP_PKlPlN2at6native12_GLOBAL__N_18offset_tEEE10hipError_tPvRmT1_PNSt15iterator_traitsIS13_E10value_typeET2_T3_PNS14_IS19_E10value_typeET4_jRbjT5_S1F_jjP12ihipStream_tbEUljE_ZNSN_ISO_Lb0ESR_SS_SU_SV_SZ_EES10_S11_S12_S13_S17_S18_S19_S1C_S1D_jS1E_jS1F_S1F_jjS1H_bEUljE0_EEES10_S11_S12_S19_S1D_S1F_T6_T7_T9_mT8_S1H_bDpT10_ENKUlT_T0_E_clISt17integral_constantIbLb0EES1V_EEDaS1Q_S1R_EUlS1Q_E_NS1_11comp_targetILNS1_3genE0ELNS1_11target_archE4294967295ELNS1_3gpuE0ELNS1_3repE0EEENS1_30default_config_static_selectorELNS0_4arch9wavefront6targetE0EEEvS13_,comdat
.Lfunc_end1975:
	.size	_ZN7rocprim17ROCPRIM_400000_NS6detail17trampoline_kernelINS0_13select_configILj256ELj13ELNS0_17block_load_methodE3ELS4_3ELS4_3ELNS0_20block_scan_algorithmE0ELj4294967295EEENS1_25partition_config_selectorILNS1_17partition_subalgoE4EjNS0_10empty_typeEbEEZZNS1_14partition_implILS8_4ELb0ES6_15HIP_vector_typeIjLj2EENS0_17counting_iteratorIjlEEPS9_SG_NS0_5tupleIJPjSI_NS0_16reverse_iteratorISI_EEEEENSH_IJSG_SG_SG_EEES9_SI_JZNS1_25segmented_radix_sort_implINS0_14default_configELb0EPK12hip_bfloat16PSP_PKlPlN2at6native12_GLOBAL__N_18offset_tEEE10hipError_tPvRmT1_PNSt15iterator_traitsIS13_E10value_typeET2_T3_PNS14_IS19_E10value_typeET4_jRbjT5_S1F_jjP12ihipStream_tbEUljE_ZNSN_ISO_Lb0ESR_SS_SU_SV_SZ_EES10_S11_S12_S13_S17_S18_S19_S1C_S1D_jS1E_jS1F_S1F_jjS1H_bEUljE0_EEES10_S11_S12_S19_S1D_S1F_T6_T7_T9_mT8_S1H_bDpT10_ENKUlT_T0_E_clISt17integral_constantIbLb0EES1V_EEDaS1Q_S1R_EUlS1Q_E_NS1_11comp_targetILNS1_3genE0ELNS1_11target_archE4294967295ELNS1_3gpuE0ELNS1_3repE0EEENS1_30default_config_static_selectorELNS0_4arch9wavefront6targetE0EEEvS13_, .Lfunc_end1975-_ZN7rocprim17ROCPRIM_400000_NS6detail17trampoline_kernelINS0_13select_configILj256ELj13ELNS0_17block_load_methodE3ELS4_3ELS4_3ELNS0_20block_scan_algorithmE0ELj4294967295EEENS1_25partition_config_selectorILNS1_17partition_subalgoE4EjNS0_10empty_typeEbEEZZNS1_14partition_implILS8_4ELb0ES6_15HIP_vector_typeIjLj2EENS0_17counting_iteratorIjlEEPS9_SG_NS0_5tupleIJPjSI_NS0_16reverse_iteratorISI_EEEEENSH_IJSG_SG_SG_EEES9_SI_JZNS1_25segmented_radix_sort_implINS0_14default_configELb0EPK12hip_bfloat16PSP_PKlPlN2at6native12_GLOBAL__N_18offset_tEEE10hipError_tPvRmT1_PNSt15iterator_traitsIS13_E10value_typeET2_T3_PNS14_IS19_E10value_typeET4_jRbjT5_S1F_jjP12ihipStream_tbEUljE_ZNSN_ISO_Lb0ESR_SS_SU_SV_SZ_EES10_S11_S12_S13_S17_S18_S19_S1C_S1D_jS1E_jS1F_S1F_jjS1H_bEUljE0_EEES10_S11_S12_S19_S1D_S1F_T6_T7_T9_mT8_S1H_bDpT10_ENKUlT_T0_E_clISt17integral_constantIbLb0EES1V_EEDaS1Q_S1R_EUlS1Q_E_NS1_11comp_targetILNS1_3genE0ELNS1_11target_archE4294967295ELNS1_3gpuE0ELNS1_3repE0EEENS1_30default_config_static_selectorELNS0_4arch9wavefront6targetE0EEEvS13_
                                        ; -- End function
	.set _ZN7rocprim17ROCPRIM_400000_NS6detail17trampoline_kernelINS0_13select_configILj256ELj13ELNS0_17block_load_methodE3ELS4_3ELS4_3ELNS0_20block_scan_algorithmE0ELj4294967295EEENS1_25partition_config_selectorILNS1_17partition_subalgoE4EjNS0_10empty_typeEbEEZZNS1_14partition_implILS8_4ELb0ES6_15HIP_vector_typeIjLj2EENS0_17counting_iteratorIjlEEPS9_SG_NS0_5tupleIJPjSI_NS0_16reverse_iteratorISI_EEEEENSH_IJSG_SG_SG_EEES9_SI_JZNS1_25segmented_radix_sort_implINS0_14default_configELb0EPK12hip_bfloat16PSP_PKlPlN2at6native12_GLOBAL__N_18offset_tEEE10hipError_tPvRmT1_PNSt15iterator_traitsIS13_E10value_typeET2_T3_PNS14_IS19_E10value_typeET4_jRbjT5_S1F_jjP12ihipStream_tbEUljE_ZNSN_ISO_Lb0ESR_SS_SU_SV_SZ_EES10_S11_S12_S13_S17_S18_S19_S1C_S1D_jS1E_jS1F_S1F_jjS1H_bEUljE0_EEES10_S11_S12_S19_S1D_S1F_T6_T7_T9_mT8_S1H_bDpT10_ENKUlT_T0_E_clISt17integral_constantIbLb0EES1V_EEDaS1Q_S1R_EUlS1Q_E_NS1_11comp_targetILNS1_3genE0ELNS1_11target_archE4294967295ELNS1_3gpuE0ELNS1_3repE0EEENS1_30default_config_static_selectorELNS0_4arch9wavefront6targetE0EEEvS13_.num_vgpr, 0
	.set _ZN7rocprim17ROCPRIM_400000_NS6detail17trampoline_kernelINS0_13select_configILj256ELj13ELNS0_17block_load_methodE3ELS4_3ELS4_3ELNS0_20block_scan_algorithmE0ELj4294967295EEENS1_25partition_config_selectorILNS1_17partition_subalgoE4EjNS0_10empty_typeEbEEZZNS1_14partition_implILS8_4ELb0ES6_15HIP_vector_typeIjLj2EENS0_17counting_iteratorIjlEEPS9_SG_NS0_5tupleIJPjSI_NS0_16reverse_iteratorISI_EEEEENSH_IJSG_SG_SG_EEES9_SI_JZNS1_25segmented_radix_sort_implINS0_14default_configELb0EPK12hip_bfloat16PSP_PKlPlN2at6native12_GLOBAL__N_18offset_tEEE10hipError_tPvRmT1_PNSt15iterator_traitsIS13_E10value_typeET2_T3_PNS14_IS19_E10value_typeET4_jRbjT5_S1F_jjP12ihipStream_tbEUljE_ZNSN_ISO_Lb0ESR_SS_SU_SV_SZ_EES10_S11_S12_S13_S17_S18_S19_S1C_S1D_jS1E_jS1F_S1F_jjS1H_bEUljE0_EEES10_S11_S12_S19_S1D_S1F_T6_T7_T9_mT8_S1H_bDpT10_ENKUlT_T0_E_clISt17integral_constantIbLb0EES1V_EEDaS1Q_S1R_EUlS1Q_E_NS1_11comp_targetILNS1_3genE0ELNS1_11target_archE4294967295ELNS1_3gpuE0ELNS1_3repE0EEENS1_30default_config_static_selectorELNS0_4arch9wavefront6targetE0EEEvS13_.num_agpr, 0
	.set _ZN7rocprim17ROCPRIM_400000_NS6detail17trampoline_kernelINS0_13select_configILj256ELj13ELNS0_17block_load_methodE3ELS4_3ELS4_3ELNS0_20block_scan_algorithmE0ELj4294967295EEENS1_25partition_config_selectorILNS1_17partition_subalgoE4EjNS0_10empty_typeEbEEZZNS1_14partition_implILS8_4ELb0ES6_15HIP_vector_typeIjLj2EENS0_17counting_iteratorIjlEEPS9_SG_NS0_5tupleIJPjSI_NS0_16reverse_iteratorISI_EEEEENSH_IJSG_SG_SG_EEES9_SI_JZNS1_25segmented_radix_sort_implINS0_14default_configELb0EPK12hip_bfloat16PSP_PKlPlN2at6native12_GLOBAL__N_18offset_tEEE10hipError_tPvRmT1_PNSt15iterator_traitsIS13_E10value_typeET2_T3_PNS14_IS19_E10value_typeET4_jRbjT5_S1F_jjP12ihipStream_tbEUljE_ZNSN_ISO_Lb0ESR_SS_SU_SV_SZ_EES10_S11_S12_S13_S17_S18_S19_S1C_S1D_jS1E_jS1F_S1F_jjS1H_bEUljE0_EEES10_S11_S12_S19_S1D_S1F_T6_T7_T9_mT8_S1H_bDpT10_ENKUlT_T0_E_clISt17integral_constantIbLb0EES1V_EEDaS1Q_S1R_EUlS1Q_E_NS1_11comp_targetILNS1_3genE0ELNS1_11target_archE4294967295ELNS1_3gpuE0ELNS1_3repE0EEENS1_30default_config_static_selectorELNS0_4arch9wavefront6targetE0EEEvS13_.numbered_sgpr, 0
	.set _ZN7rocprim17ROCPRIM_400000_NS6detail17trampoline_kernelINS0_13select_configILj256ELj13ELNS0_17block_load_methodE3ELS4_3ELS4_3ELNS0_20block_scan_algorithmE0ELj4294967295EEENS1_25partition_config_selectorILNS1_17partition_subalgoE4EjNS0_10empty_typeEbEEZZNS1_14partition_implILS8_4ELb0ES6_15HIP_vector_typeIjLj2EENS0_17counting_iteratorIjlEEPS9_SG_NS0_5tupleIJPjSI_NS0_16reverse_iteratorISI_EEEEENSH_IJSG_SG_SG_EEES9_SI_JZNS1_25segmented_radix_sort_implINS0_14default_configELb0EPK12hip_bfloat16PSP_PKlPlN2at6native12_GLOBAL__N_18offset_tEEE10hipError_tPvRmT1_PNSt15iterator_traitsIS13_E10value_typeET2_T3_PNS14_IS19_E10value_typeET4_jRbjT5_S1F_jjP12ihipStream_tbEUljE_ZNSN_ISO_Lb0ESR_SS_SU_SV_SZ_EES10_S11_S12_S13_S17_S18_S19_S1C_S1D_jS1E_jS1F_S1F_jjS1H_bEUljE0_EEES10_S11_S12_S19_S1D_S1F_T6_T7_T9_mT8_S1H_bDpT10_ENKUlT_T0_E_clISt17integral_constantIbLb0EES1V_EEDaS1Q_S1R_EUlS1Q_E_NS1_11comp_targetILNS1_3genE0ELNS1_11target_archE4294967295ELNS1_3gpuE0ELNS1_3repE0EEENS1_30default_config_static_selectorELNS0_4arch9wavefront6targetE0EEEvS13_.num_named_barrier, 0
	.set _ZN7rocprim17ROCPRIM_400000_NS6detail17trampoline_kernelINS0_13select_configILj256ELj13ELNS0_17block_load_methodE3ELS4_3ELS4_3ELNS0_20block_scan_algorithmE0ELj4294967295EEENS1_25partition_config_selectorILNS1_17partition_subalgoE4EjNS0_10empty_typeEbEEZZNS1_14partition_implILS8_4ELb0ES6_15HIP_vector_typeIjLj2EENS0_17counting_iteratorIjlEEPS9_SG_NS0_5tupleIJPjSI_NS0_16reverse_iteratorISI_EEEEENSH_IJSG_SG_SG_EEES9_SI_JZNS1_25segmented_radix_sort_implINS0_14default_configELb0EPK12hip_bfloat16PSP_PKlPlN2at6native12_GLOBAL__N_18offset_tEEE10hipError_tPvRmT1_PNSt15iterator_traitsIS13_E10value_typeET2_T3_PNS14_IS19_E10value_typeET4_jRbjT5_S1F_jjP12ihipStream_tbEUljE_ZNSN_ISO_Lb0ESR_SS_SU_SV_SZ_EES10_S11_S12_S13_S17_S18_S19_S1C_S1D_jS1E_jS1F_S1F_jjS1H_bEUljE0_EEES10_S11_S12_S19_S1D_S1F_T6_T7_T9_mT8_S1H_bDpT10_ENKUlT_T0_E_clISt17integral_constantIbLb0EES1V_EEDaS1Q_S1R_EUlS1Q_E_NS1_11comp_targetILNS1_3genE0ELNS1_11target_archE4294967295ELNS1_3gpuE0ELNS1_3repE0EEENS1_30default_config_static_selectorELNS0_4arch9wavefront6targetE0EEEvS13_.private_seg_size, 0
	.set _ZN7rocprim17ROCPRIM_400000_NS6detail17trampoline_kernelINS0_13select_configILj256ELj13ELNS0_17block_load_methodE3ELS4_3ELS4_3ELNS0_20block_scan_algorithmE0ELj4294967295EEENS1_25partition_config_selectorILNS1_17partition_subalgoE4EjNS0_10empty_typeEbEEZZNS1_14partition_implILS8_4ELb0ES6_15HIP_vector_typeIjLj2EENS0_17counting_iteratorIjlEEPS9_SG_NS0_5tupleIJPjSI_NS0_16reverse_iteratorISI_EEEEENSH_IJSG_SG_SG_EEES9_SI_JZNS1_25segmented_radix_sort_implINS0_14default_configELb0EPK12hip_bfloat16PSP_PKlPlN2at6native12_GLOBAL__N_18offset_tEEE10hipError_tPvRmT1_PNSt15iterator_traitsIS13_E10value_typeET2_T3_PNS14_IS19_E10value_typeET4_jRbjT5_S1F_jjP12ihipStream_tbEUljE_ZNSN_ISO_Lb0ESR_SS_SU_SV_SZ_EES10_S11_S12_S13_S17_S18_S19_S1C_S1D_jS1E_jS1F_S1F_jjS1H_bEUljE0_EEES10_S11_S12_S19_S1D_S1F_T6_T7_T9_mT8_S1H_bDpT10_ENKUlT_T0_E_clISt17integral_constantIbLb0EES1V_EEDaS1Q_S1R_EUlS1Q_E_NS1_11comp_targetILNS1_3genE0ELNS1_11target_archE4294967295ELNS1_3gpuE0ELNS1_3repE0EEENS1_30default_config_static_selectorELNS0_4arch9wavefront6targetE0EEEvS13_.uses_vcc, 0
	.set _ZN7rocprim17ROCPRIM_400000_NS6detail17trampoline_kernelINS0_13select_configILj256ELj13ELNS0_17block_load_methodE3ELS4_3ELS4_3ELNS0_20block_scan_algorithmE0ELj4294967295EEENS1_25partition_config_selectorILNS1_17partition_subalgoE4EjNS0_10empty_typeEbEEZZNS1_14partition_implILS8_4ELb0ES6_15HIP_vector_typeIjLj2EENS0_17counting_iteratorIjlEEPS9_SG_NS0_5tupleIJPjSI_NS0_16reverse_iteratorISI_EEEEENSH_IJSG_SG_SG_EEES9_SI_JZNS1_25segmented_radix_sort_implINS0_14default_configELb0EPK12hip_bfloat16PSP_PKlPlN2at6native12_GLOBAL__N_18offset_tEEE10hipError_tPvRmT1_PNSt15iterator_traitsIS13_E10value_typeET2_T3_PNS14_IS19_E10value_typeET4_jRbjT5_S1F_jjP12ihipStream_tbEUljE_ZNSN_ISO_Lb0ESR_SS_SU_SV_SZ_EES10_S11_S12_S13_S17_S18_S19_S1C_S1D_jS1E_jS1F_S1F_jjS1H_bEUljE0_EEES10_S11_S12_S19_S1D_S1F_T6_T7_T9_mT8_S1H_bDpT10_ENKUlT_T0_E_clISt17integral_constantIbLb0EES1V_EEDaS1Q_S1R_EUlS1Q_E_NS1_11comp_targetILNS1_3genE0ELNS1_11target_archE4294967295ELNS1_3gpuE0ELNS1_3repE0EEENS1_30default_config_static_selectorELNS0_4arch9wavefront6targetE0EEEvS13_.uses_flat_scratch, 0
	.set _ZN7rocprim17ROCPRIM_400000_NS6detail17trampoline_kernelINS0_13select_configILj256ELj13ELNS0_17block_load_methodE3ELS4_3ELS4_3ELNS0_20block_scan_algorithmE0ELj4294967295EEENS1_25partition_config_selectorILNS1_17partition_subalgoE4EjNS0_10empty_typeEbEEZZNS1_14partition_implILS8_4ELb0ES6_15HIP_vector_typeIjLj2EENS0_17counting_iteratorIjlEEPS9_SG_NS0_5tupleIJPjSI_NS0_16reverse_iteratorISI_EEEEENSH_IJSG_SG_SG_EEES9_SI_JZNS1_25segmented_radix_sort_implINS0_14default_configELb0EPK12hip_bfloat16PSP_PKlPlN2at6native12_GLOBAL__N_18offset_tEEE10hipError_tPvRmT1_PNSt15iterator_traitsIS13_E10value_typeET2_T3_PNS14_IS19_E10value_typeET4_jRbjT5_S1F_jjP12ihipStream_tbEUljE_ZNSN_ISO_Lb0ESR_SS_SU_SV_SZ_EES10_S11_S12_S13_S17_S18_S19_S1C_S1D_jS1E_jS1F_S1F_jjS1H_bEUljE0_EEES10_S11_S12_S19_S1D_S1F_T6_T7_T9_mT8_S1H_bDpT10_ENKUlT_T0_E_clISt17integral_constantIbLb0EES1V_EEDaS1Q_S1R_EUlS1Q_E_NS1_11comp_targetILNS1_3genE0ELNS1_11target_archE4294967295ELNS1_3gpuE0ELNS1_3repE0EEENS1_30default_config_static_selectorELNS0_4arch9wavefront6targetE0EEEvS13_.has_dyn_sized_stack, 0
	.set _ZN7rocprim17ROCPRIM_400000_NS6detail17trampoline_kernelINS0_13select_configILj256ELj13ELNS0_17block_load_methodE3ELS4_3ELS4_3ELNS0_20block_scan_algorithmE0ELj4294967295EEENS1_25partition_config_selectorILNS1_17partition_subalgoE4EjNS0_10empty_typeEbEEZZNS1_14partition_implILS8_4ELb0ES6_15HIP_vector_typeIjLj2EENS0_17counting_iteratorIjlEEPS9_SG_NS0_5tupleIJPjSI_NS0_16reverse_iteratorISI_EEEEENSH_IJSG_SG_SG_EEES9_SI_JZNS1_25segmented_radix_sort_implINS0_14default_configELb0EPK12hip_bfloat16PSP_PKlPlN2at6native12_GLOBAL__N_18offset_tEEE10hipError_tPvRmT1_PNSt15iterator_traitsIS13_E10value_typeET2_T3_PNS14_IS19_E10value_typeET4_jRbjT5_S1F_jjP12ihipStream_tbEUljE_ZNSN_ISO_Lb0ESR_SS_SU_SV_SZ_EES10_S11_S12_S13_S17_S18_S19_S1C_S1D_jS1E_jS1F_S1F_jjS1H_bEUljE0_EEES10_S11_S12_S19_S1D_S1F_T6_T7_T9_mT8_S1H_bDpT10_ENKUlT_T0_E_clISt17integral_constantIbLb0EES1V_EEDaS1Q_S1R_EUlS1Q_E_NS1_11comp_targetILNS1_3genE0ELNS1_11target_archE4294967295ELNS1_3gpuE0ELNS1_3repE0EEENS1_30default_config_static_selectorELNS0_4arch9wavefront6targetE0EEEvS13_.has_recursion, 0
	.set _ZN7rocprim17ROCPRIM_400000_NS6detail17trampoline_kernelINS0_13select_configILj256ELj13ELNS0_17block_load_methodE3ELS4_3ELS4_3ELNS0_20block_scan_algorithmE0ELj4294967295EEENS1_25partition_config_selectorILNS1_17partition_subalgoE4EjNS0_10empty_typeEbEEZZNS1_14partition_implILS8_4ELb0ES6_15HIP_vector_typeIjLj2EENS0_17counting_iteratorIjlEEPS9_SG_NS0_5tupleIJPjSI_NS0_16reverse_iteratorISI_EEEEENSH_IJSG_SG_SG_EEES9_SI_JZNS1_25segmented_radix_sort_implINS0_14default_configELb0EPK12hip_bfloat16PSP_PKlPlN2at6native12_GLOBAL__N_18offset_tEEE10hipError_tPvRmT1_PNSt15iterator_traitsIS13_E10value_typeET2_T3_PNS14_IS19_E10value_typeET4_jRbjT5_S1F_jjP12ihipStream_tbEUljE_ZNSN_ISO_Lb0ESR_SS_SU_SV_SZ_EES10_S11_S12_S13_S17_S18_S19_S1C_S1D_jS1E_jS1F_S1F_jjS1H_bEUljE0_EEES10_S11_S12_S19_S1D_S1F_T6_T7_T9_mT8_S1H_bDpT10_ENKUlT_T0_E_clISt17integral_constantIbLb0EES1V_EEDaS1Q_S1R_EUlS1Q_E_NS1_11comp_targetILNS1_3genE0ELNS1_11target_archE4294967295ELNS1_3gpuE0ELNS1_3repE0EEENS1_30default_config_static_selectorELNS0_4arch9wavefront6targetE0EEEvS13_.has_indirect_call, 0
	.section	.AMDGPU.csdata,"",@progbits
; Kernel info:
; codeLenInByte = 0
; TotalNumSgprs: 0
; NumVgprs: 0
; ScratchSize: 0
; MemoryBound: 0
; FloatMode: 240
; IeeeMode: 1
; LDSByteSize: 0 bytes/workgroup (compile time only)
; SGPRBlocks: 0
; VGPRBlocks: 0
; NumSGPRsForWavesPerEU: 1
; NumVGPRsForWavesPerEU: 1
; Occupancy: 16
; WaveLimiterHint : 0
; COMPUTE_PGM_RSRC2:SCRATCH_EN: 0
; COMPUTE_PGM_RSRC2:USER_SGPR: 6
; COMPUTE_PGM_RSRC2:TRAP_HANDLER: 0
; COMPUTE_PGM_RSRC2:TGID_X_EN: 1
; COMPUTE_PGM_RSRC2:TGID_Y_EN: 0
; COMPUTE_PGM_RSRC2:TGID_Z_EN: 0
; COMPUTE_PGM_RSRC2:TIDIG_COMP_CNT: 0
	.section	.text._ZN7rocprim17ROCPRIM_400000_NS6detail17trampoline_kernelINS0_13select_configILj256ELj13ELNS0_17block_load_methodE3ELS4_3ELS4_3ELNS0_20block_scan_algorithmE0ELj4294967295EEENS1_25partition_config_selectorILNS1_17partition_subalgoE4EjNS0_10empty_typeEbEEZZNS1_14partition_implILS8_4ELb0ES6_15HIP_vector_typeIjLj2EENS0_17counting_iteratorIjlEEPS9_SG_NS0_5tupleIJPjSI_NS0_16reverse_iteratorISI_EEEEENSH_IJSG_SG_SG_EEES9_SI_JZNS1_25segmented_radix_sort_implINS0_14default_configELb0EPK12hip_bfloat16PSP_PKlPlN2at6native12_GLOBAL__N_18offset_tEEE10hipError_tPvRmT1_PNSt15iterator_traitsIS13_E10value_typeET2_T3_PNS14_IS19_E10value_typeET4_jRbjT5_S1F_jjP12ihipStream_tbEUljE_ZNSN_ISO_Lb0ESR_SS_SU_SV_SZ_EES10_S11_S12_S13_S17_S18_S19_S1C_S1D_jS1E_jS1F_S1F_jjS1H_bEUljE0_EEES10_S11_S12_S19_S1D_S1F_T6_T7_T9_mT8_S1H_bDpT10_ENKUlT_T0_E_clISt17integral_constantIbLb0EES1V_EEDaS1Q_S1R_EUlS1Q_E_NS1_11comp_targetILNS1_3genE5ELNS1_11target_archE942ELNS1_3gpuE9ELNS1_3repE0EEENS1_30default_config_static_selectorELNS0_4arch9wavefront6targetE0EEEvS13_,"axG",@progbits,_ZN7rocprim17ROCPRIM_400000_NS6detail17trampoline_kernelINS0_13select_configILj256ELj13ELNS0_17block_load_methodE3ELS4_3ELS4_3ELNS0_20block_scan_algorithmE0ELj4294967295EEENS1_25partition_config_selectorILNS1_17partition_subalgoE4EjNS0_10empty_typeEbEEZZNS1_14partition_implILS8_4ELb0ES6_15HIP_vector_typeIjLj2EENS0_17counting_iteratorIjlEEPS9_SG_NS0_5tupleIJPjSI_NS0_16reverse_iteratorISI_EEEEENSH_IJSG_SG_SG_EEES9_SI_JZNS1_25segmented_radix_sort_implINS0_14default_configELb0EPK12hip_bfloat16PSP_PKlPlN2at6native12_GLOBAL__N_18offset_tEEE10hipError_tPvRmT1_PNSt15iterator_traitsIS13_E10value_typeET2_T3_PNS14_IS19_E10value_typeET4_jRbjT5_S1F_jjP12ihipStream_tbEUljE_ZNSN_ISO_Lb0ESR_SS_SU_SV_SZ_EES10_S11_S12_S13_S17_S18_S19_S1C_S1D_jS1E_jS1F_S1F_jjS1H_bEUljE0_EEES10_S11_S12_S19_S1D_S1F_T6_T7_T9_mT8_S1H_bDpT10_ENKUlT_T0_E_clISt17integral_constantIbLb0EES1V_EEDaS1Q_S1R_EUlS1Q_E_NS1_11comp_targetILNS1_3genE5ELNS1_11target_archE942ELNS1_3gpuE9ELNS1_3repE0EEENS1_30default_config_static_selectorELNS0_4arch9wavefront6targetE0EEEvS13_,comdat
	.globl	_ZN7rocprim17ROCPRIM_400000_NS6detail17trampoline_kernelINS0_13select_configILj256ELj13ELNS0_17block_load_methodE3ELS4_3ELS4_3ELNS0_20block_scan_algorithmE0ELj4294967295EEENS1_25partition_config_selectorILNS1_17partition_subalgoE4EjNS0_10empty_typeEbEEZZNS1_14partition_implILS8_4ELb0ES6_15HIP_vector_typeIjLj2EENS0_17counting_iteratorIjlEEPS9_SG_NS0_5tupleIJPjSI_NS0_16reverse_iteratorISI_EEEEENSH_IJSG_SG_SG_EEES9_SI_JZNS1_25segmented_radix_sort_implINS0_14default_configELb0EPK12hip_bfloat16PSP_PKlPlN2at6native12_GLOBAL__N_18offset_tEEE10hipError_tPvRmT1_PNSt15iterator_traitsIS13_E10value_typeET2_T3_PNS14_IS19_E10value_typeET4_jRbjT5_S1F_jjP12ihipStream_tbEUljE_ZNSN_ISO_Lb0ESR_SS_SU_SV_SZ_EES10_S11_S12_S13_S17_S18_S19_S1C_S1D_jS1E_jS1F_S1F_jjS1H_bEUljE0_EEES10_S11_S12_S19_S1D_S1F_T6_T7_T9_mT8_S1H_bDpT10_ENKUlT_T0_E_clISt17integral_constantIbLb0EES1V_EEDaS1Q_S1R_EUlS1Q_E_NS1_11comp_targetILNS1_3genE5ELNS1_11target_archE942ELNS1_3gpuE9ELNS1_3repE0EEENS1_30default_config_static_selectorELNS0_4arch9wavefront6targetE0EEEvS13_ ; -- Begin function _ZN7rocprim17ROCPRIM_400000_NS6detail17trampoline_kernelINS0_13select_configILj256ELj13ELNS0_17block_load_methodE3ELS4_3ELS4_3ELNS0_20block_scan_algorithmE0ELj4294967295EEENS1_25partition_config_selectorILNS1_17partition_subalgoE4EjNS0_10empty_typeEbEEZZNS1_14partition_implILS8_4ELb0ES6_15HIP_vector_typeIjLj2EENS0_17counting_iteratorIjlEEPS9_SG_NS0_5tupleIJPjSI_NS0_16reverse_iteratorISI_EEEEENSH_IJSG_SG_SG_EEES9_SI_JZNS1_25segmented_radix_sort_implINS0_14default_configELb0EPK12hip_bfloat16PSP_PKlPlN2at6native12_GLOBAL__N_18offset_tEEE10hipError_tPvRmT1_PNSt15iterator_traitsIS13_E10value_typeET2_T3_PNS14_IS19_E10value_typeET4_jRbjT5_S1F_jjP12ihipStream_tbEUljE_ZNSN_ISO_Lb0ESR_SS_SU_SV_SZ_EES10_S11_S12_S13_S17_S18_S19_S1C_S1D_jS1E_jS1F_S1F_jjS1H_bEUljE0_EEES10_S11_S12_S19_S1D_S1F_T6_T7_T9_mT8_S1H_bDpT10_ENKUlT_T0_E_clISt17integral_constantIbLb0EES1V_EEDaS1Q_S1R_EUlS1Q_E_NS1_11comp_targetILNS1_3genE5ELNS1_11target_archE942ELNS1_3gpuE9ELNS1_3repE0EEENS1_30default_config_static_selectorELNS0_4arch9wavefront6targetE0EEEvS13_
	.p2align	8
	.type	_ZN7rocprim17ROCPRIM_400000_NS6detail17trampoline_kernelINS0_13select_configILj256ELj13ELNS0_17block_load_methodE3ELS4_3ELS4_3ELNS0_20block_scan_algorithmE0ELj4294967295EEENS1_25partition_config_selectorILNS1_17partition_subalgoE4EjNS0_10empty_typeEbEEZZNS1_14partition_implILS8_4ELb0ES6_15HIP_vector_typeIjLj2EENS0_17counting_iteratorIjlEEPS9_SG_NS0_5tupleIJPjSI_NS0_16reverse_iteratorISI_EEEEENSH_IJSG_SG_SG_EEES9_SI_JZNS1_25segmented_radix_sort_implINS0_14default_configELb0EPK12hip_bfloat16PSP_PKlPlN2at6native12_GLOBAL__N_18offset_tEEE10hipError_tPvRmT1_PNSt15iterator_traitsIS13_E10value_typeET2_T3_PNS14_IS19_E10value_typeET4_jRbjT5_S1F_jjP12ihipStream_tbEUljE_ZNSN_ISO_Lb0ESR_SS_SU_SV_SZ_EES10_S11_S12_S13_S17_S18_S19_S1C_S1D_jS1E_jS1F_S1F_jjS1H_bEUljE0_EEES10_S11_S12_S19_S1D_S1F_T6_T7_T9_mT8_S1H_bDpT10_ENKUlT_T0_E_clISt17integral_constantIbLb0EES1V_EEDaS1Q_S1R_EUlS1Q_E_NS1_11comp_targetILNS1_3genE5ELNS1_11target_archE942ELNS1_3gpuE9ELNS1_3repE0EEENS1_30default_config_static_selectorELNS0_4arch9wavefront6targetE0EEEvS13_,@function
_ZN7rocprim17ROCPRIM_400000_NS6detail17trampoline_kernelINS0_13select_configILj256ELj13ELNS0_17block_load_methodE3ELS4_3ELS4_3ELNS0_20block_scan_algorithmE0ELj4294967295EEENS1_25partition_config_selectorILNS1_17partition_subalgoE4EjNS0_10empty_typeEbEEZZNS1_14partition_implILS8_4ELb0ES6_15HIP_vector_typeIjLj2EENS0_17counting_iteratorIjlEEPS9_SG_NS0_5tupleIJPjSI_NS0_16reverse_iteratorISI_EEEEENSH_IJSG_SG_SG_EEES9_SI_JZNS1_25segmented_radix_sort_implINS0_14default_configELb0EPK12hip_bfloat16PSP_PKlPlN2at6native12_GLOBAL__N_18offset_tEEE10hipError_tPvRmT1_PNSt15iterator_traitsIS13_E10value_typeET2_T3_PNS14_IS19_E10value_typeET4_jRbjT5_S1F_jjP12ihipStream_tbEUljE_ZNSN_ISO_Lb0ESR_SS_SU_SV_SZ_EES10_S11_S12_S13_S17_S18_S19_S1C_S1D_jS1E_jS1F_S1F_jjS1H_bEUljE0_EEES10_S11_S12_S19_S1D_S1F_T6_T7_T9_mT8_S1H_bDpT10_ENKUlT_T0_E_clISt17integral_constantIbLb0EES1V_EEDaS1Q_S1R_EUlS1Q_E_NS1_11comp_targetILNS1_3genE5ELNS1_11target_archE942ELNS1_3gpuE9ELNS1_3repE0EEENS1_30default_config_static_selectorELNS0_4arch9wavefront6targetE0EEEvS13_: ; @_ZN7rocprim17ROCPRIM_400000_NS6detail17trampoline_kernelINS0_13select_configILj256ELj13ELNS0_17block_load_methodE3ELS4_3ELS4_3ELNS0_20block_scan_algorithmE0ELj4294967295EEENS1_25partition_config_selectorILNS1_17partition_subalgoE4EjNS0_10empty_typeEbEEZZNS1_14partition_implILS8_4ELb0ES6_15HIP_vector_typeIjLj2EENS0_17counting_iteratorIjlEEPS9_SG_NS0_5tupleIJPjSI_NS0_16reverse_iteratorISI_EEEEENSH_IJSG_SG_SG_EEES9_SI_JZNS1_25segmented_radix_sort_implINS0_14default_configELb0EPK12hip_bfloat16PSP_PKlPlN2at6native12_GLOBAL__N_18offset_tEEE10hipError_tPvRmT1_PNSt15iterator_traitsIS13_E10value_typeET2_T3_PNS14_IS19_E10value_typeET4_jRbjT5_S1F_jjP12ihipStream_tbEUljE_ZNSN_ISO_Lb0ESR_SS_SU_SV_SZ_EES10_S11_S12_S13_S17_S18_S19_S1C_S1D_jS1E_jS1F_S1F_jjS1H_bEUljE0_EEES10_S11_S12_S19_S1D_S1F_T6_T7_T9_mT8_S1H_bDpT10_ENKUlT_T0_E_clISt17integral_constantIbLb0EES1V_EEDaS1Q_S1R_EUlS1Q_E_NS1_11comp_targetILNS1_3genE5ELNS1_11target_archE942ELNS1_3gpuE9ELNS1_3repE0EEENS1_30default_config_static_selectorELNS0_4arch9wavefront6targetE0EEEvS13_
; %bb.0:
	.section	.rodata,"a",@progbits
	.p2align	6, 0x0
	.amdhsa_kernel _ZN7rocprim17ROCPRIM_400000_NS6detail17trampoline_kernelINS0_13select_configILj256ELj13ELNS0_17block_load_methodE3ELS4_3ELS4_3ELNS0_20block_scan_algorithmE0ELj4294967295EEENS1_25partition_config_selectorILNS1_17partition_subalgoE4EjNS0_10empty_typeEbEEZZNS1_14partition_implILS8_4ELb0ES6_15HIP_vector_typeIjLj2EENS0_17counting_iteratorIjlEEPS9_SG_NS0_5tupleIJPjSI_NS0_16reverse_iteratorISI_EEEEENSH_IJSG_SG_SG_EEES9_SI_JZNS1_25segmented_radix_sort_implINS0_14default_configELb0EPK12hip_bfloat16PSP_PKlPlN2at6native12_GLOBAL__N_18offset_tEEE10hipError_tPvRmT1_PNSt15iterator_traitsIS13_E10value_typeET2_T3_PNS14_IS19_E10value_typeET4_jRbjT5_S1F_jjP12ihipStream_tbEUljE_ZNSN_ISO_Lb0ESR_SS_SU_SV_SZ_EES10_S11_S12_S13_S17_S18_S19_S1C_S1D_jS1E_jS1F_S1F_jjS1H_bEUljE0_EEES10_S11_S12_S19_S1D_S1F_T6_T7_T9_mT8_S1H_bDpT10_ENKUlT_T0_E_clISt17integral_constantIbLb0EES1V_EEDaS1Q_S1R_EUlS1Q_E_NS1_11comp_targetILNS1_3genE5ELNS1_11target_archE942ELNS1_3gpuE9ELNS1_3repE0EEENS1_30default_config_static_selectorELNS0_4arch9wavefront6targetE0EEEvS13_
		.amdhsa_group_segment_fixed_size 0
		.amdhsa_private_segment_fixed_size 0
		.amdhsa_kernarg_size 176
		.amdhsa_user_sgpr_count 6
		.amdhsa_user_sgpr_private_segment_buffer 1
		.amdhsa_user_sgpr_dispatch_ptr 0
		.amdhsa_user_sgpr_queue_ptr 0
		.amdhsa_user_sgpr_kernarg_segment_ptr 1
		.amdhsa_user_sgpr_dispatch_id 0
		.amdhsa_user_sgpr_flat_scratch_init 0
		.amdhsa_user_sgpr_private_segment_size 0
		.amdhsa_wavefront_size32 1
		.amdhsa_uses_dynamic_stack 0
		.amdhsa_system_sgpr_private_segment_wavefront_offset 0
		.amdhsa_system_sgpr_workgroup_id_x 1
		.amdhsa_system_sgpr_workgroup_id_y 0
		.amdhsa_system_sgpr_workgroup_id_z 0
		.amdhsa_system_sgpr_workgroup_info 0
		.amdhsa_system_vgpr_workitem_id 0
		.amdhsa_next_free_vgpr 1
		.amdhsa_next_free_sgpr 1
		.amdhsa_reserve_vcc 0
		.amdhsa_reserve_flat_scratch 0
		.amdhsa_float_round_mode_32 0
		.amdhsa_float_round_mode_16_64 0
		.amdhsa_float_denorm_mode_32 3
		.amdhsa_float_denorm_mode_16_64 3
		.amdhsa_dx10_clamp 1
		.amdhsa_ieee_mode 1
		.amdhsa_fp16_overflow 0
		.amdhsa_workgroup_processor_mode 1
		.amdhsa_memory_ordered 1
		.amdhsa_forward_progress 1
		.amdhsa_shared_vgpr_count 0
		.amdhsa_exception_fp_ieee_invalid_op 0
		.amdhsa_exception_fp_denorm_src 0
		.amdhsa_exception_fp_ieee_div_zero 0
		.amdhsa_exception_fp_ieee_overflow 0
		.amdhsa_exception_fp_ieee_underflow 0
		.amdhsa_exception_fp_ieee_inexact 0
		.amdhsa_exception_int_div_zero 0
	.end_amdhsa_kernel
	.section	.text._ZN7rocprim17ROCPRIM_400000_NS6detail17trampoline_kernelINS0_13select_configILj256ELj13ELNS0_17block_load_methodE3ELS4_3ELS4_3ELNS0_20block_scan_algorithmE0ELj4294967295EEENS1_25partition_config_selectorILNS1_17partition_subalgoE4EjNS0_10empty_typeEbEEZZNS1_14partition_implILS8_4ELb0ES6_15HIP_vector_typeIjLj2EENS0_17counting_iteratorIjlEEPS9_SG_NS0_5tupleIJPjSI_NS0_16reverse_iteratorISI_EEEEENSH_IJSG_SG_SG_EEES9_SI_JZNS1_25segmented_radix_sort_implINS0_14default_configELb0EPK12hip_bfloat16PSP_PKlPlN2at6native12_GLOBAL__N_18offset_tEEE10hipError_tPvRmT1_PNSt15iterator_traitsIS13_E10value_typeET2_T3_PNS14_IS19_E10value_typeET4_jRbjT5_S1F_jjP12ihipStream_tbEUljE_ZNSN_ISO_Lb0ESR_SS_SU_SV_SZ_EES10_S11_S12_S13_S17_S18_S19_S1C_S1D_jS1E_jS1F_S1F_jjS1H_bEUljE0_EEES10_S11_S12_S19_S1D_S1F_T6_T7_T9_mT8_S1H_bDpT10_ENKUlT_T0_E_clISt17integral_constantIbLb0EES1V_EEDaS1Q_S1R_EUlS1Q_E_NS1_11comp_targetILNS1_3genE5ELNS1_11target_archE942ELNS1_3gpuE9ELNS1_3repE0EEENS1_30default_config_static_selectorELNS0_4arch9wavefront6targetE0EEEvS13_,"axG",@progbits,_ZN7rocprim17ROCPRIM_400000_NS6detail17trampoline_kernelINS0_13select_configILj256ELj13ELNS0_17block_load_methodE3ELS4_3ELS4_3ELNS0_20block_scan_algorithmE0ELj4294967295EEENS1_25partition_config_selectorILNS1_17partition_subalgoE4EjNS0_10empty_typeEbEEZZNS1_14partition_implILS8_4ELb0ES6_15HIP_vector_typeIjLj2EENS0_17counting_iteratorIjlEEPS9_SG_NS0_5tupleIJPjSI_NS0_16reverse_iteratorISI_EEEEENSH_IJSG_SG_SG_EEES9_SI_JZNS1_25segmented_radix_sort_implINS0_14default_configELb0EPK12hip_bfloat16PSP_PKlPlN2at6native12_GLOBAL__N_18offset_tEEE10hipError_tPvRmT1_PNSt15iterator_traitsIS13_E10value_typeET2_T3_PNS14_IS19_E10value_typeET4_jRbjT5_S1F_jjP12ihipStream_tbEUljE_ZNSN_ISO_Lb0ESR_SS_SU_SV_SZ_EES10_S11_S12_S13_S17_S18_S19_S1C_S1D_jS1E_jS1F_S1F_jjS1H_bEUljE0_EEES10_S11_S12_S19_S1D_S1F_T6_T7_T9_mT8_S1H_bDpT10_ENKUlT_T0_E_clISt17integral_constantIbLb0EES1V_EEDaS1Q_S1R_EUlS1Q_E_NS1_11comp_targetILNS1_3genE5ELNS1_11target_archE942ELNS1_3gpuE9ELNS1_3repE0EEENS1_30default_config_static_selectorELNS0_4arch9wavefront6targetE0EEEvS13_,comdat
.Lfunc_end1976:
	.size	_ZN7rocprim17ROCPRIM_400000_NS6detail17trampoline_kernelINS0_13select_configILj256ELj13ELNS0_17block_load_methodE3ELS4_3ELS4_3ELNS0_20block_scan_algorithmE0ELj4294967295EEENS1_25partition_config_selectorILNS1_17partition_subalgoE4EjNS0_10empty_typeEbEEZZNS1_14partition_implILS8_4ELb0ES6_15HIP_vector_typeIjLj2EENS0_17counting_iteratorIjlEEPS9_SG_NS0_5tupleIJPjSI_NS0_16reverse_iteratorISI_EEEEENSH_IJSG_SG_SG_EEES9_SI_JZNS1_25segmented_radix_sort_implINS0_14default_configELb0EPK12hip_bfloat16PSP_PKlPlN2at6native12_GLOBAL__N_18offset_tEEE10hipError_tPvRmT1_PNSt15iterator_traitsIS13_E10value_typeET2_T3_PNS14_IS19_E10value_typeET4_jRbjT5_S1F_jjP12ihipStream_tbEUljE_ZNSN_ISO_Lb0ESR_SS_SU_SV_SZ_EES10_S11_S12_S13_S17_S18_S19_S1C_S1D_jS1E_jS1F_S1F_jjS1H_bEUljE0_EEES10_S11_S12_S19_S1D_S1F_T6_T7_T9_mT8_S1H_bDpT10_ENKUlT_T0_E_clISt17integral_constantIbLb0EES1V_EEDaS1Q_S1R_EUlS1Q_E_NS1_11comp_targetILNS1_3genE5ELNS1_11target_archE942ELNS1_3gpuE9ELNS1_3repE0EEENS1_30default_config_static_selectorELNS0_4arch9wavefront6targetE0EEEvS13_, .Lfunc_end1976-_ZN7rocprim17ROCPRIM_400000_NS6detail17trampoline_kernelINS0_13select_configILj256ELj13ELNS0_17block_load_methodE3ELS4_3ELS4_3ELNS0_20block_scan_algorithmE0ELj4294967295EEENS1_25partition_config_selectorILNS1_17partition_subalgoE4EjNS0_10empty_typeEbEEZZNS1_14partition_implILS8_4ELb0ES6_15HIP_vector_typeIjLj2EENS0_17counting_iteratorIjlEEPS9_SG_NS0_5tupleIJPjSI_NS0_16reverse_iteratorISI_EEEEENSH_IJSG_SG_SG_EEES9_SI_JZNS1_25segmented_radix_sort_implINS0_14default_configELb0EPK12hip_bfloat16PSP_PKlPlN2at6native12_GLOBAL__N_18offset_tEEE10hipError_tPvRmT1_PNSt15iterator_traitsIS13_E10value_typeET2_T3_PNS14_IS19_E10value_typeET4_jRbjT5_S1F_jjP12ihipStream_tbEUljE_ZNSN_ISO_Lb0ESR_SS_SU_SV_SZ_EES10_S11_S12_S13_S17_S18_S19_S1C_S1D_jS1E_jS1F_S1F_jjS1H_bEUljE0_EEES10_S11_S12_S19_S1D_S1F_T6_T7_T9_mT8_S1H_bDpT10_ENKUlT_T0_E_clISt17integral_constantIbLb0EES1V_EEDaS1Q_S1R_EUlS1Q_E_NS1_11comp_targetILNS1_3genE5ELNS1_11target_archE942ELNS1_3gpuE9ELNS1_3repE0EEENS1_30default_config_static_selectorELNS0_4arch9wavefront6targetE0EEEvS13_
                                        ; -- End function
	.set _ZN7rocprim17ROCPRIM_400000_NS6detail17trampoline_kernelINS0_13select_configILj256ELj13ELNS0_17block_load_methodE3ELS4_3ELS4_3ELNS0_20block_scan_algorithmE0ELj4294967295EEENS1_25partition_config_selectorILNS1_17partition_subalgoE4EjNS0_10empty_typeEbEEZZNS1_14partition_implILS8_4ELb0ES6_15HIP_vector_typeIjLj2EENS0_17counting_iteratorIjlEEPS9_SG_NS0_5tupleIJPjSI_NS0_16reverse_iteratorISI_EEEEENSH_IJSG_SG_SG_EEES9_SI_JZNS1_25segmented_radix_sort_implINS0_14default_configELb0EPK12hip_bfloat16PSP_PKlPlN2at6native12_GLOBAL__N_18offset_tEEE10hipError_tPvRmT1_PNSt15iterator_traitsIS13_E10value_typeET2_T3_PNS14_IS19_E10value_typeET4_jRbjT5_S1F_jjP12ihipStream_tbEUljE_ZNSN_ISO_Lb0ESR_SS_SU_SV_SZ_EES10_S11_S12_S13_S17_S18_S19_S1C_S1D_jS1E_jS1F_S1F_jjS1H_bEUljE0_EEES10_S11_S12_S19_S1D_S1F_T6_T7_T9_mT8_S1H_bDpT10_ENKUlT_T0_E_clISt17integral_constantIbLb0EES1V_EEDaS1Q_S1R_EUlS1Q_E_NS1_11comp_targetILNS1_3genE5ELNS1_11target_archE942ELNS1_3gpuE9ELNS1_3repE0EEENS1_30default_config_static_selectorELNS0_4arch9wavefront6targetE0EEEvS13_.num_vgpr, 0
	.set _ZN7rocprim17ROCPRIM_400000_NS6detail17trampoline_kernelINS0_13select_configILj256ELj13ELNS0_17block_load_methodE3ELS4_3ELS4_3ELNS0_20block_scan_algorithmE0ELj4294967295EEENS1_25partition_config_selectorILNS1_17partition_subalgoE4EjNS0_10empty_typeEbEEZZNS1_14partition_implILS8_4ELb0ES6_15HIP_vector_typeIjLj2EENS0_17counting_iteratorIjlEEPS9_SG_NS0_5tupleIJPjSI_NS0_16reverse_iteratorISI_EEEEENSH_IJSG_SG_SG_EEES9_SI_JZNS1_25segmented_radix_sort_implINS0_14default_configELb0EPK12hip_bfloat16PSP_PKlPlN2at6native12_GLOBAL__N_18offset_tEEE10hipError_tPvRmT1_PNSt15iterator_traitsIS13_E10value_typeET2_T3_PNS14_IS19_E10value_typeET4_jRbjT5_S1F_jjP12ihipStream_tbEUljE_ZNSN_ISO_Lb0ESR_SS_SU_SV_SZ_EES10_S11_S12_S13_S17_S18_S19_S1C_S1D_jS1E_jS1F_S1F_jjS1H_bEUljE0_EEES10_S11_S12_S19_S1D_S1F_T6_T7_T9_mT8_S1H_bDpT10_ENKUlT_T0_E_clISt17integral_constantIbLb0EES1V_EEDaS1Q_S1R_EUlS1Q_E_NS1_11comp_targetILNS1_3genE5ELNS1_11target_archE942ELNS1_3gpuE9ELNS1_3repE0EEENS1_30default_config_static_selectorELNS0_4arch9wavefront6targetE0EEEvS13_.num_agpr, 0
	.set _ZN7rocprim17ROCPRIM_400000_NS6detail17trampoline_kernelINS0_13select_configILj256ELj13ELNS0_17block_load_methodE3ELS4_3ELS4_3ELNS0_20block_scan_algorithmE0ELj4294967295EEENS1_25partition_config_selectorILNS1_17partition_subalgoE4EjNS0_10empty_typeEbEEZZNS1_14partition_implILS8_4ELb0ES6_15HIP_vector_typeIjLj2EENS0_17counting_iteratorIjlEEPS9_SG_NS0_5tupleIJPjSI_NS0_16reverse_iteratorISI_EEEEENSH_IJSG_SG_SG_EEES9_SI_JZNS1_25segmented_radix_sort_implINS0_14default_configELb0EPK12hip_bfloat16PSP_PKlPlN2at6native12_GLOBAL__N_18offset_tEEE10hipError_tPvRmT1_PNSt15iterator_traitsIS13_E10value_typeET2_T3_PNS14_IS19_E10value_typeET4_jRbjT5_S1F_jjP12ihipStream_tbEUljE_ZNSN_ISO_Lb0ESR_SS_SU_SV_SZ_EES10_S11_S12_S13_S17_S18_S19_S1C_S1D_jS1E_jS1F_S1F_jjS1H_bEUljE0_EEES10_S11_S12_S19_S1D_S1F_T6_T7_T9_mT8_S1H_bDpT10_ENKUlT_T0_E_clISt17integral_constantIbLb0EES1V_EEDaS1Q_S1R_EUlS1Q_E_NS1_11comp_targetILNS1_3genE5ELNS1_11target_archE942ELNS1_3gpuE9ELNS1_3repE0EEENS1_30default_config_static_selectorELNS0_4arch9wavefront6targetE0EEEvS13_.numbered_sgpr, 0
	.set _ZN7rocprim17ROCPRIM_400000_NS6detail17trampoline_kernelINS0_13select_configILj256ELj13ELNS0_17block_load_methodE3ELS4_3ELS4_3ELNS0_20block_scan_algorithmE0ELj4294967295EEENS1_25partition_config_selectorILNS1_17partition_subalgoE4EjNS0_10empty_typeEbEEZZNS1_14partition_implILS8_4ELb0ES6_15HIP_vector_typeIjLj2EENS0_17counting_iteratorIjlEEPS9_SG_NS0_5tupleIJPjSI_NS0_16reverse_iteratorISI_EEEEENSH_IJSG_SG_SG_EEES9_SI_JZNS1_25segmented_radix_sort_implINS0_14default_configELb0EPK12hip_bfloat16PSP_PKlPlN2at6native12_GLOBAL__N_18offset_tEEE10hipError_tPvRmT1_PNSt15iterator_traitsIS13_E10value_typeET2_T3_PNS14_IS19_E10value_typeET4_jRbjT5_S1F_jjP12ihipStream_tbEUljE_ZNSN_ISO_Lb0ESR_SS_SU_SV_SZ_EES10_S11_S12_S13_S17_S18_S19_S1C_S1D_jS1E_jS1F_S1F_jjS1H_bEUljE0_EEES10_S11_S12_S19_S1D_S1F_T6_T7_T9_mT8_S1H_bDpT10_ENKUlT_T0_E_clISt17integral_constantIbLb0EES1V_EEDaS1Q_S1R_EUlS1Q_E_NS1_11comp_targetILNS1_3genE5ELNS1_11target_archE942ELNS1_3gpuE9ELNS1_3repE0EEENS1_30default_config_static_selectorELNS0_4arch9wavefront6targetE0EEEvS13_.num_named_barrier, 0
	.set _ZN7rocprim17ROCPRIM_400000_NS6detail17trampoline_kernelINS0_13select_configILj256ELj13ELNS0_17block_load_methodE3ELS4_3ELS4_3ELNS0_20block_scan_algorithmE0ELj4294967295EEENS1_25partition_config_selectorILNS1_17partition_subalgoE4EjNS0_10empty_typeEbEEZZNS1_14partition_implILS8_4ELb0ES6_15HIP_vector_typeIjLj2EENS0_17counting_iteratorIjlEEPS9_SG_NS0_5tupleIJPjSI_NS0_16reverse_iteratorISI_EEEEENSH_IJSG_SG_SG_EEES9_SI_JZNS1_25segmented_radix_sort_implINS0_14default_configELb0EPK12hip_bfloat16PSP_PKlPlN2at6native12_GLOBAL__N_18offset_tEEE10hipError_tPvRmT1_PNSt15iterator_traitsIS13_E10value_typeET2_T3_PNS14_IS19_E10value_typeET4_jRbjT5_S1F_jjP12ihipStream_tbEUljE_ZNSN_ISO_Lb0ESR_SS_SU_SV_SZ_EES10_S11_S12_S13_S17_S18_S19_S1C_S1D_jS1E_jS1F_S1F_jjS1H_bEUljE0_EEES10_S11_S12_S19_S1D_S1F_T6_T7_T9_mT8_S1H_bDpT10_ENKUlT_T0_E_clISt17integral_constantIbLb0EES1V_EEDaS1Q_S1R_EUlS1Q_E_NS1_11comp_targetILNS1_3genE5ELNS1_11target_archE942ELNS1_3gpuE9ELNS1_3repE0EEENS1_30default_config_static_selectorELNS0_4arch9wavefront6targetE0EEEvS13_.private_seg_size, 0
	.set _ZN7rocprim17ROCPRIM_400000_NS6detail17trampoline_kernelINS0_13select_configILj256ELj13ELNS0_17block_load_methodE3ELS4_3ELS4_3ELNS0_20block_scan_algorithmE0ELj4294967295EEENS1_25partition_config_selectorILNS1_17partition_subalgoE4EjNS0_10empty_typeEbEEZZNS1_14partition_implILS8_4ELb0ES6_15HIP_vector_typeIjLj2EENS0_17counting_iteratorIjlEEPS9_SG_NS0_5tupleIJPjSI_NS0_16reverse_iteratorISI_EEEEENSH_IJSG_SG_SG_EEES9_SI_JZNS1_25segmented_radix_sort_implINS0_14default_configELb0EPK12hip_bfloat16PSP_PKlPlN2at6native12_GLOBAL__N_18offset_tEEE10hipError_tPvRmT1_PNSt15iterator_traitsIS13_E10value_typeET2_T3_PNS14_IS19_E10value_typeET4_jRbjT5_S1F_jjP12ihipStream_tbEUljE_ZNSN_ISO_Lb0ESR_SS_SU_SV_SZ_EES10_S11_S12_S13_S17_S18_S19_S1C_S1D_jS1E_jS1F_S1F_jjS1H_bEUljE0_EEES10_S11_S12_S19_S1D_S1F_T6_T7_T9_mT8_S1H_bDpT10_ENKUlT_T0_E_clISt17integral_constantIbLb0EES1V_EEDaS1Q_S1R_EUlS1Q_E_NS1_11comp_targetILNS1_3genE5ELNS1_11target_archE942ELNS1_3gpuE9ELNS1_3repE0EEENS1_30default_config_static_selectorELNS0_4arch9wavefront6targetE0EEEvS13_.uses_vcc, 0
	.set _ZN7rocprim17ROCPRIM_400000_NS6detail17trampoline_kernelINS0_13select_configILj256ELj13ELNS0_17block_load_methodE3ELS4_3ELS4_3ELNS0_20block_scan_algorithmE0ELj4294967295EEENS1_25partition_config_selectorILNS1_17partition_subalgoE4EjNS0_10empty_typeEbEEZZNS1_14partition_implILS8_4ELb0ES6_15HIP_vector_typeIjLj2EENS0_17counting_iteratorIjlEEPS9_SG_NS0_5tupleIJPjSI_NS0_16reverse_iteratorISI_EEEEENSH_IJSG_SG_SG_EEES9_SI_JZNS1_25segmented_radix_sort_implINS0_14default_configELb0EPK12hip_bfloat16PSP_PKlPlN2at6native12_GLOBAL__N_18offset_tEEE10hipError_tPvRmT1_PNSt15iterator_traitsIS13_E10value_typeET2_T3_PNS14_IS19_E10value_typeET4_jRbjT5_S1F_jjP12ihipStream_tbEUljE_ZNSN_ISO_Lb0ESR_SS_SU_SV_SZ_EES10_S11_S12_S13_S17_S18_S19_S1C_S1D_jS1E_jS1F_S1F_jjS1H_bEUljE0_EEES10_S11_S12_S19_S1D_S1F_T6_T7_T9_mT8_S1H_bDpT10_ENKUlT_T0_E_clISt17integral_constantIbLb0EES1V_EEDaS1Q_S1R_EUlS1Q_E_NS1_11comp_targetILNS1_3genE5ELNS1_11target_archE942ELNS1_3gpuE9ELNS1_3repE0EEENS1_30default_config_static_selectorELNS0_4arch9wavefront6targetE0EEEvS13_.uses_flat_scratch, 0
	.set _ZN7rocprim17ROCPRIM_400000_NS6detail17trampoline_kernelINS0_13select_configILj256ELj13ELNS0_17block_load_methodE3ELS4_3ELS4_3ELNS0_20block_scan_algorithmE0ELj4294967295EEENS1_25partition_config_selectorILNS1_17partition_subalgoE4EjNS0_10empty_typeEbEEZZNS1_14partition_implILS8_4ELb0ES6_15HIP_vector_typeIjLj2EENS0_17counting_iteratorIjlEEPS9_SG_NS0_5tupleIJPjSI_NS0_16reverse_iteratorISI_EEEEENSH_IJSG_SG_SG_EEES9_SI_JZNS1_25segmented_radix_sort_implINS0_14default_configELb0EPK12hip_bfloat16PSP_PKlPlN2at6native12_GLOBAL__N_18offset_tEEE10hipError_tPvRmT1_PNSt15iterator_traitsIS13_E10value_typeET2_T3_PNS14_IS19_E10value_typeET4_jRbjT5_S1F_jjP12ihipStream_tbEUljE_ZNSN_ISO_Lb0ESR_SS_SU_SV_SZ_EES10_S11_S12_S13_S17_S18_S19_S1C_S1D_jS1E_jS1F_S1F_jjS1H_bEUljE0_EEES10_S11_S12_S19_S1D_S1F_T6_T7_T9_mT8_S1H_bDpT10_ENKUlT_T0_E_clISt17integral_constantIbLb0EES1V_EEDaS1Q_S1R_EUlS1Q_E_NS1_11comp_targetILNS1_3genE5ELNS1_11target_archE942ELNS1_3gpuE9ELNS1_3repE0EEENS1_30default_config_static_selectorELNS0_4arch9wavefront6targetE0EEEvS13_.has_dyn_sized_stack, 0
	.set _ZN7rocprim17ROCPRIM_400000_NS6detail17trampoline_kernelINS0_13select_configILj256ELj13ELNS0_17block_load_methodE3ELS4_3ELS4_3ELNS0_20block_scan_algorithmE0ELj4294967295EEENS1_25partition_config_selectorILNS1_17partition_subalgoE4EjNS0_10empty_typeEbEEZZNS1_14partition_implILS8_4ELb0ES6_15HIP_vector_typeIjLj2EENS0_17counting_iteratorIjlEEPS9_SG_NS0_5tupleIJPjSI_NS0_16reverse_iteratorISI_EEEEENSH_IJSG_SG_SG_EEES9_SI_JZNS1_25segmented_radix_sort_implINS0_14default_configELb0EPK12hip_bfloat16PSP_PKlPlN2at6native12_GLOBAL__N_18offset_tEEE10hipError_tPvRmT1_PNSt15iterator_traitsIS13_E10value_typeET2_T3_PNS14_IS19_E10value_typeET4_jRbjT5_S1F_jjP12ihipStream_tbEUljE_ZNSN_ISO_Lb0ESR_SS_SU_SV_SZ_EES10_S11_S12_S13_S17_S18_S19_S1C_S1D_jS1E_jS1F_S1F_jjS1H_bEUljE0_EEES10_S11_S12_S19_S1D_S1F_T6_T7_T9_mT8_S1H_bDpT10_ENKUlT_T0_E_clISt17integral_constantIbLb0EES1V_EEDaS1Q_S1R_EUlS1Q_E_NS1_11comp_targetILNS1_3genE5ELNS1_11target_archE942ELNS1_3gpuE9ELNS1_3repE0EEENS1_30default_config_static_selectorELNS0_4arch9wavefront6targetE0EEEvS13_.has_recursion, 0
	.set _ZN7rocprim17ROCPRIM_400000_NS6detail17trampoline_kernelINS0_13select_configILj256ELj13ELNS0_17block_load_methodE3ELS4_3ELS4_3ELNS0_20block_scan_algorithmE0ELj4294967295EEENS1_25partition_config_selectorILNS1_17partition_subalgoE4EjNS0_10empty_typeEbEEZZNS1_14partition_implILS8_4ELb0ES6_15HIP_vector_typeIjLj2EENS0_17counting_iteratorIjlEEPS9_SG_NS0_5tupleIJPjSI_NS0_16reverse_iteratorISI_EEEEENSH_IJSG_SG_SG_EEES9_SI_JZNS1_25segmented_radix_sort_implINS0_14default_configELb0EPK12hip_bfloat16PSP_PKlPlN2at6native12_GLOBAL__N_18offset_tEEE10hipError_tPvRmT1_PNSt15iterator_traitsIS13_E10value_typeET2_T3_PNS14_IS19_E10value_typeET4_jRbjT5_S1F_jjP12ihipStream_tbEUljE_ZNSN_ISO_Lb0ESR_SS_SU_SV_SZ_EES10_S11_S12_S13_S17_S18_S19_S1C_S1D_jS1E_jS1F_S1F_jjS1H_bEUljE0_EEES10_S11_S12_S19_S1D_S1F_T6_T7_T9_mT8_S1H_bDpT10_ENKUlT_T0_E_clISt17integral_constantIbLb0EES1V_EEDaS1Q_S1R_EUlS1Q_E_NS1_11comp_targetILNS1_3genE5ELNS1_11target_archE942ELNS1_3gpuE9ELNS1_3repE0EEENS1_30default_config_static_selectorELNS0_4arch9wavefront6targetE0EEEvS13_.has_indirect_call, 0
	.section	.AMDGPU.csdata,"",@progbits
; Kernel info:
; codeLenInByte = 0
; TotalNumSgprs: 0
; NumVgprs: 0
; ScratchSize: 0
; MemoryBound: 0
; FloatMode: 240
; IeeeMode: 1
; LDSByteSize: 0 bytes/workgroup (compile time only)
; SGPRBlocks: 0
; VGPRBlocks: 0
; NumSGPRsForWavesPerEU: 1
; NumVGPRsForWavesPerEU: 1
; Occupancy: 16
; WaveLimiterHint : 0
; COMPUTE_PGM_RSRC2:SCRATCH_EN: 0
; COMPUTE_PGM_RSRC2:USER_SGPR: 6
; COMPUTE_PGM_RSRC2:TRAP_HANDLER: 0
; COMPUTE_PGM_RSRC2:TGID_X_EN: 1
; COMPUTE_PGM_RSRC2:TGID_Y_EN: 0
; COMPUTE_PGM_RSRC2:TGID_Z_EN: 0
; COMPUTE_PGM_RSRC2:TIDIG_COMP_CNT: 0
	.section	.text._ZN7rocprim17ROCPRIM_400000_NS6detail17trampoline_kernelINS0_13select_configILj256ELj13ELNS0_17block_load_methodE3ELS4_3ELS4_3ELNS0_20block_scan_algorithmE0ELj4294967295EEENS1_25partition_config_selectorILNS1_17partition_subalgoE4EjNS0_10empty_typeEbEEZZNS1_14partition_implILS8_4ELb0ES6_15HIP_vector_typeIjLj2EENS0_17counting_iteratorIjlEEPS9_SG_NS0_5tupleIJPjSI_NS0_16reverse_iteratorISI_EEEEENSH_IJSG_SG_SG_EEES9_SI_JZNS1_25segmented_radix_sort_implINS0_14default_configELb0EPK12hip_bfloat16PSP_PKlPlN2at6native12_GLOBAL__N_18offset_tEEE10hipError_tPvRmT1_PNSt15iterator_traitsIS13_E10value_typeET2_T3_PNS14_IS19_E10value_typeET4_jRbjT5_S1F_jjP12ihipStream_tbEUljE_ZNSN_ISO_Lb0ESR_SS_SU_SV_SZ_EES10_S11_S12_S13_S17_S18_S19_S1C_S1D_jS1E_jS1F_S1F_jjS1H_bEUljE0_EEES10_S11_S12_S19_S1D_S1F_T6_T7_T9_mT8_S1H_bDpT10_ENKUlT_T0_E_clISt17integral_constantIbLb0EES1V_EEDaS1Q_S1R_EUlS1Q_E_NS1_11comp_targetILNS1_3genE4ELNS1_11target_archE910ELNS1_3gpuE8ELNS1_3repE0EEENS1_30default_config_static_selectorELNS0_4arch9wavefront6targetE0EEEvS13_,"axG",@progbits,_ZN7rocprim17ROCPRIM_400000_NS6detail17trampoline_kernelINS0_13select_configILj256ELj13ELNS0_17block_load_methodE3ELS4_3ELS4_3ELNS0_20block_scan_algorithmE0ELj4294967295EEENS1_25partition_config_selectorILNS1_17partition_subalgoE4EjNS0_10empty_typeEbEEZZNS1_14partition_implILS8_4ELb0ES6_15HIP_vector_typeIjLj2EENS0_17counting_iteratorIjlEEPS9_SG_NS0_5tupleIJPjSI_NS0_16reverse_iteratorISI_EEEEENSH_IJSG_SG_SG_EEES9_SI_JZNS1_25segmented_radix_sort_implINS0_14default_configELb0EPK12hip_bfloat16PSP_PKlPlN2at6native12_GLOBAL__N_18offset_tEEE10hipError_tPvRmT1_PNSt15iterator_traitsIS13_E10value_typeET2_T3_PNS14_IS19_E10value_typeET4_jRbjT5_S1F_jjP12ihipStream_tbEUljE_ZNSN_ISO_Lb0ESR_SS_SU_SV_SZ_EES10_S11_S12_S13_S17_S18_S19_S1C_S1D_jS1E_jS1F_S1F_jjS1H_bEUljE0_EEES10_S11_S12_S19_S1D_S1F_T6_T7_T9_mT8_S1H_bDpT10_ENKUlT_T0_E_clISt17integral_constantIbLb0EES1V_EEDaS1Q_S1R_EUlS1Q_E_NS1_11comp_targetILNS1_3genE4ELNS1_11target_archE910ELNS1_3gpuE8ELNS1_3repE0EEENS1_30default_config_static_selectorELNS0_4arch9wavefront6targetE0EEEvS13_,comdat
	.globl	_ZN7rocprim17ROCPRIM_400000_NS6detail17trampoline_kernelINS0_13select_configILj256ELj13ELNS0_17block_load_methodE3ELS4_3ELS4_3ELNS0_20block_scan_algorithmE0ELj4294967295EEENS1_25partition_config_selectorILNS1_17partition_subalgoE4EjNS0_10empty_typeEbEEZZNS1_14partition_implILS8_4ELb0ES6_15HIP_vector_typeIjLj2EENS0_17counting_iteratorIjlEEPS9_SG_NS0_5tupleIJPjSI_NS0_16reverse_iteratorISI_EEEEENSH_IJSG_SG_SG_EEES9_SI_JZNS1_25segmented_radix_sort_implINS0_14default_configELb0EPK12hip_bfloat16PSP_PKlPlN2at6native12_GLOBAL__N_18offset_tEEE10hipError_tPvRmT1_PNSt15iterator_traitsIS13_E10value_typeET2_T3_PNS14_IS19_E10value_typeET4_jRbjT5_S1F_jjP12ihipStream_tbEUljE_ZNSN_ISO_Lb0ESR_SS_SU_SV_SZ_EES10_S11_S12_S13_S17_S18_S19_S1C_S1D_jS1E_jS1F_S1F_jjS1H_bEUljE0_EEES10_S11_S12_S19_S1D_S1F_T6_T7_T9_mT8_S1H_bDpT10_ENKUlT_T0_E_clISt17integral_constantIbLb0EES1V_EEDaS1Q_S1R_EUlS1Q_E_NS1_11comp_targetILNS1_3genE4ELNS1_11target_archE910ELNS1_3gpuE8ELNS1_3repE0EEENS1_30default_config_static_selectorELNS0_4arch9wavefront6targetE0EEEvS13_ ; -- Begin function _ZN7rocprim17ROCPRIM_400000_NS6detail17trampoline_kernelINS0_13select_configILj256ELj13ELNS0_17block_load_methodE3ELS4_3ELS4_3ELNS0_20block_scan_algorithmE0ELj4294967295EEENS1_25partition_config_selectorILNS1_17partition_subalgoE4EjNS0_10empty_typeEbEEZZNS1_14partition_implILS8_4ELb0ES6_15HIP_vector_typeIjLj2EENS0_17counting_iteratorIjlEEPS9_SG_NS0_5tupleIJPjSI_NS0_16reverse_iteratorISI_EEEEENSH_IJSG_SG_SG_EEES9_SI_JZNS1_25segmented_radix_sort_implINS0_14default_configELb0EPK12hip_bfloat16PSP_PKlPlN2at6native12_GLOBAL__N_18offset_tEEE10hipError_tPvRmT1_PNSt15iterator_traitsIS13_E10value_typeET2_T3_PNS14_IS19_E10value_typeET4_jRbjT5_S1F_jjP12ihipStream_tbEUljE_ZNSN_ISO_Lb0ESR_SS_SU_SV_SZ_EES10_S11_S12_S13_S17_S18_S19_S1C_S1D_jS1E_jS1F_S1F_jjS1H_bEUljE0_EEES10_S11_S12_S19_S1D_S1F_T6_T7_T9_mT8_S1H_bDpT10_ENKUlT_T0_E_clISt17integral_constantIbLb0EES1V_EEDaS1Q_S1R_EUlS1Q_E_NS1_11comp_targetILNS1_3genE4ELNS1_11target_archE910ELNS1_3gpuE8ELNS1_3repE0EEENS1_30default_config_static_selectorELNS0_4arch9wavefront6targetE0EEEvS13_
	.p2align	8
	.type	_ZN7rocprim17ROCPRIM_400000_NS6detail17trampoline_kernelINS0_13select_configILj256ELj13ELNS0_17block_load_methodE3ELS4_3ELS4_3ELNS0_20block_scan_algorithmE0ELj4294967295EEENS1_25partition_config_selectorILNS1_17partition_subalgoE4EjNS0_10empty_typeEbEEZZNS1_14partition_implILS8_4ELb0ES6_15HIP_vector_typeIjLj2EENS0_17counting_iteratorIjlEEPS9_SG_NS0_5tupleIJPjSI_NS0_16reverse_iteratorISI_EEEEENSH_IJSG_SG_SG_EEES9_SI_JZNS1_25segmented_radix_sort_implINS0_14default_configELb0EPK12hip_bfloat16PSP_PKlPlN2at6native12_GLOBAL__N_18offset_tEEE10hipError_tPvRmT1_PNSt15iterator_traitsIS13_E10value_typeET2_T3_PNS14_IS19_E10value_typeET4_jRbjT5_S1F_jjP12ihipStream_tbEUljE_ZNSN_ISO_Lb0ESR_SS_SU_SV_SZ_EES10_S11_S12_S13_S17_S18_S19_S1C_S1D_jS1E_jS1F_S1F_jjS1H_bEUljE0_EEES10_S11_S12_S19_S1D_S1F_T6_T7_T9_mT8_S1H_bDpT10_ENKUlT_T0_E_clISt17integral_constantIbLb0EES1V_EEDaS1Q_S1R_EUlS1Q_E_NS1_11comp_targetILNS1_3genE4ELNS1_11target_archE910ELNS1_3gpuE8ELNS1_3repE0EEENS1_30default_config_static_selectorELNS0_4arch9wavefront6targetE0EEEvS13_,@function
_ZN7rocprim17ROCPRIM_400000_NS6detail17trampoline_kernelINS0_13select_configILj256ELj13ELNS0_17block_load_methodE3ELS4_3ELS4_3ELNS0_20block_scan_algorithmE0ELj4294967295EEENS1_25partition_config_selectorILNS1_17partition_subalgoE4EjNS0_10empty_typeEbEEZZNS1_14partition_implILS8_4ELb0ES6_15HIP_vector_typeIjLj2EENS0_17counting_iteratorIjlEEPS9_SG_NS0_5tupleIJPjSI_NS0_16reverse_iteratorISI_EEEEENSH_IJSG_SG_SG_EEES9_SI_JZNS1_25segmented_radix_sort_implINS0_14default_configELb0EPK12hip_bfloat16PSP_PKlPlN2at6native12_GLOBAL__N_18offset_tEEE10hipError_tPvRmT1_PNSt15iterator_traitsIS13_E10value_typeET2_T3_PNS14_IS19_E10value_typeET4_jRbjT5_S1F_jjP12ihipStream_tbEUljE_ZNSN_ISO_Lb0ESR_SS_SU_SV_SZ_EES10_S11_S12_S13_S17_S18_S19_S1C_S1D_jS1E_jS1F_S1F_jjS1H_bEUljE0_EEES10_S11_S12_S19_S1D_S1F_T6_T7_T9_mT8_S1H_bDpT10_ENKUlT_T0_E_clISt17integral_constantIbLb0EES1V_EEDaS1Q_S1R_EUlS1Q_E_NS1_11comp_targetILNS1_3genE4ELNS1_11target_archE910ELNS1_3gpuE8ELNS1_3repE0EEENS1_30default_config_static_selectorELNS0_4arch9wavefront6targetE0EEEvS13_: ; @_ZN7rocprim17ROCPRIM_400000_NS6detail17trampoline_kernelINS0_13select_configILj256ELj13ELNS0_17block_load_methodE3ELS4_3ELS4_3ELNS0_20block_scan_algorithmE0ELj4294967295EEENS1_25partition_config_selectorILNS1_17partition_subalgoE4EjNS0_10empty_typeEbEEZZNS1_14partition_implILS8_4ELb0ES6_15HIP_vector_typeIjLj2EENS0_17counting_iteratorIjlEEPS9_SG_NS0_5tupleIJPjSI_NS0_16reverse_iteratorISI_EEEEENSH_IJSG_SG_SG_EEES9_SI_JZNS1_25segmented_radix_sort_implINS0_14default_configELb0EPK12hip_bfloat16PSP_PKlPlN2at6native12_GLOBAL__N_18offset_tEEE10hipError_tPvRmT1_PNSt15iterator_traitsIS13_E10value_typeET2_T3_PNS14_IS19_E10value_typeET4_jRbjT5_S1F_jjP12ihipStream_tbEUljE_ZNSN_ISO_Lb0ESR_SS_SU_SV_SZ_EES10_S11_S12_S13_S17_S18_S19_S1C_S1D_jS1E_jS1F_S1F_jjS1H_bEUljE0_EEES10_S11_S12_S19_S1D_S1F_T6_T7_T9_mT8_S1H_bDpT10_ENKUlT_T0_E_clISt17integral_constantIbLb0EES1V_EEDaS1Q_S1R_EUlS1Q_E_NS1_11comp_targetILNS1_3genE4ELNS1_11target_archE910ELNS1_3gpuE8ELNS1_3repE0EEENS1_30default_config_static_selectorELNS0_4arch9wavefront6targetE0EEEvS13_
; %bb.0:
	.section	.rodata,"a",@progbits
	.p2align	6, 0x0
	.amdhsa_kernel _ZN7rocprim17ROCPRIM_400000_NS6detail17trampoline_kernelINS0_13select_configILj256ELj13ELNS0_17block_load_methodE3ELS4_3ELS4_3ELNS0_20block_scan_algorithmE0ELj4294967295EEENS1_25partition_config_selectorILNS1_17partition_subalgoE4EjNS0_10empty_typeEbEEZZNS1_14partition_implILS8_4ELb0ES6_15HIP_vector_typeIjLj2EENS0_17counting_iteratorIjlEEPS9_SG_NS0_5tupleIJPjSI_NS0_16reverse_iteratorISI_EEEEENSH_IJSG_SG_SG_EEES9_SI_JZNS1_25segmented_radix_sort_implINS0_14default_configELb0EPK12hip_bfloat16PSP_PKlPlN2at6native12_GLOBAL__N_18offset_tEEE10hipError_tPvRmT1_PNSt15iterator_traitsIS13_E10value_typeET2_T3_PNS14_IS19_E10value_typeET4_jRbjT5_S1F_jjP12ihipStream_tbEUljE_ZNSN_ISO_Lb0ESR_SS_SU_SV_SZ_EES10_S11_S12_S13_S17_S18_S19_S1C_S1D_jS1E_jS1F_S1F_jjS1H_bEUljE0_EEES10_S11_S12_S19_S1D_S1F_T6_T7_T9_mT8_S1H_bDpT10_ENKUlT_T0_E_clISt17integral_constantIbLb0EES1V_EEDaS1Q_S1R_EUlS1Q_E_NS1_11comp_targetILNS1_3genE4ELNS1_11target_archE910ELNS1_3gpuE8ELNS1_3repE0EEENS1_30default_config_static_selectorELNS0_4arch9wavefront6targetE0EEEvS13_
		.amdhsa_group_segment_fixed_size 0
		.amdhsa_private_segment_fixed_size 0
		.amdhsa_kernarg_size 176
		.amdhsa_user_sgpr_count 6
		.amdhsa_user_sgpr_private_segment_buffer 1
		.amdhsa_user_sgpr_dispatch_ptr 0
		.amdhsa_user_sgpr_queue_ptr 0
		.amdhsa_user_sgpr_kernarg_segment_ptr 1
		.amdhsa_user_sgpr_dispatch_id 0
		.amdhsa_user_sgpr_flat_scratch_init 0
		.amdhsa_user_sgpr_private_segment_size 0
		.amdhsa_wavefront_size32 1
		.amdhsa_uses_dynamic_stack 0
		.amdhsa_system_sgpr_private_segment_wavefront_offset 0
		.amdhsa_system_sgpr_workgroup_id_x 1
		.amdhsa_system_sgpr_workgroup_id_y 0
		.amdhsa_system_sgpr_workgroup_id_z 0
		.amdhsa_system_sgpr_workgroup_info 0
		.amdhsa_system_vgpr_workitem_id 0
		.amdhsa_next_free_vgpr 1
		.amdhsa_next_free_sgpr 1
		.amdhsa_reserve_vcc 0
		.amdhsa_reserve_flat_scratch 0
		.amdhsa_float_round_mode_32 0
		.amdhsa_float_round_mode_16_64 0
		.amdhsa_float_denorm_mode_32 3
		.amdhsa_float_denorm_mode_16_64 3
		.amdhsa_dx10_clamp 1
		.amdhsa_ieee_mode 1
		.amdhsa_fp16_overflow 0
		.amdhsa_workgroup_processor_mode 1
		.amdhsa_memory_ordered 1
		.amdhsa_forward_progress 1
		.amdhsa_shared_vgpr_count 0
		.amdhsa_exception_fp_ieee_invalid_op 0
		.amdhsa_exception_fp_denorm_src 0
		.amdhsa_exception_fp_ieee_div_zero 0
		.amdhsa_exception_fp_ieee_overflow 0
		.amdhsa_exception_fp_ieee_underflow 0
		.amdhsa_exception_fp_ieee_inexact 0
		.amdhsa_exception_int_div_zero 0
	.end_amdhsa_kernel
	.section	.text._ZN7rocprim17ROCPRIM_400000_NS6detail17trampoline_kernelINS0_13select_configILj256ELj13ELNS0_17block_load_methodE3ELS4_3ELS4_3ELNS0_20block_scan_algorithmE0ELj4294967295EEENS1_25partition_config_selectorILNS1_17partition_subalgoE4EjNS0_10empty_typeEbEEZZNS1_14partition_implILS8_4ELb0ES6_15HIP_vector_typeIjLj2EENS0_17counting_iteratorIjlEEPS9_SG_NS0_5tupleIJPjSI_NS0_16reverse_iteratorISI_EEEEENSH_IJSG_SG_SG_EEES9_SI_JZNS1_25segmented_radix_sort_implINS0_14default_configELb0EPK12hip_bfloat16PSP_PKlPlN2at6native12_GLOBAL__N_18offset_tEEE10hipError_tPvRmT1_PNSt15iterator_traitsIS13_E10value_typeET2_T3_PNS14_IS19_E10value_typeET4_jRbjT5_S1F_jjP12ihipStream_tbEUljE_ZNSN_ISO_Lb0ESR_SS_SU_SV_SZ_EES10_S11_S12_S13_S17_S18_S19_S1C_S1D_jS1E_jS1F_S1F_jjS1H_bEUljE0_EEES10_S11_S12_S19_S1D_S1F_T6_T7_T9_mT8_S1H_bDpT10_ENKUlT_T0_E_clISt17integral_constantIbLb0EES1V_EEDaS1Q_S1R_EUlS1Q_E_NS1_11comp_targetILNS1_3genE4ELNS1_11target_archE910ELNS1_3gpuE8ELNS1_3repE0EEENS1_30default_config_static_selectorELNS0_4arch9wavefront6targetE0EEEvS13_,"axG",@progbits,_ZN7rocprim17ROCPRIM_400000_NS6detail17trampoline_kernelINS0_13select_configILj256ELj13ELNS0_17block_load_methodE3ELS4_3ELS4_3ELNS0_20block_scan_algorithmE0ELj4294967295EEENS1_25partition_config_selectorILNS1_17partition_subalgoE4EjNS0_10empty_typeEbEEZZNS1_14partition_implILS8_4ELb0ES6_15HIP_vector_typeIjLj2EENS0_17counting_iteratorIjlEEPS9_SG_NS0_5tupleIJPjSI_NS0_16reverse_iteratorISI_EEEEENSH_IJSG_SG_SG_EEES9_SI_JZNS1_25segmented_radix_sort_implINS0_14default_configELb0EPK12hip_bfloat16PSP_PKlPlN2at6native12_GLOBAL__N_18offset_tEEE10hipError_tPvRmT1_PNSt15iterator_traitsIS13_E10value_typeET2_T3_PNS14_IS19_E10value_typeET4_jRbjT5_S1F_jjP12ihipStream_tbEUljE_ZNSN_ISO_Lb0ESR_SS_SU_SV_SZ_EES10_S11_S12_S13_S17_S18_S19_S1C_S1D_jS1E_jS1F_S1F_jjS1H_bEUljE0_EEES10_S11_S12_S19_S1D_S1F_T6_T7_T9_mT8_S1H_bDpT10_ENKUlT_T0_E_clISt17integral_constantIbLb0EES1V_EEDaS1Q_S1R_EUlS1Q_E_NS1_11comp_targetILNS1_3genE4ELNS1_11target_archE910ELNS1_3gpuE8ELNS1_3repE0EEENS1_30default_config_static_selectorELNS0_4arch9wavefront6targetE0EEEvS13_,comdat
.Lfunc_end1977:
	.size	_ZN7rocprim17ROCPRIM_400000_NS6detail17trampoline_kernelINS0_13select_configILj256ELj13ELNS0_17block_load_methodE3ELS4_3ELS4_3ELNS0_20block_scan_algorithmE0ELj4294967295EEENS1_25partition_config_selectorILNS1_17partition_subalgoE4EjNS0_10empty_typeEbEEZZNS1_14partition_implILS8_4ELb0ES6_15HIP_vector_typeIjLj2EENS0_17counting_iteratorIjlEEPS9_SG_NS0_5tupleIJPjSI_NS0_16reverse_iteratorISI_EEEEENSH_IJSG_SG_SG_EEES9_SI_JZNS1_25segmented_radix_sort_implINS0_14default_configELb0EPK12hip_bfloat16PSP_PKlPlN2at6native12_GLOBAL__N_18offset_tEEE10hipError_tPvRmT1_PNSt15iterator_traitsIS13_E10value_typeET2_T3_PNS14_IS19_E10value_typeET4_jRbjT5_S1F_jjP12ihipStream_tbEUljE_ZNSN_ISO_Lb0ESR_SS_SU_SV_SZ_EES10_S11_S12_S13_S17_S18_S19_S1C_S1D_jS1E_jS1F_S1F_jjS1H_bEUljE0_EEES10_S11_S12_S19_S1D_S1F_T6_T7_T9_mT8_S1H_bDpT10_ENKUlT_T0_E_clISt17integral_constantIbLb0EES1V_EEDaS1Q_S1R_EUlS1Q_E_NS1_11comp_targetILNS1_3genE4ELNS1_11target_archE910ELNS1_3gpuE8ELNS1_3repE0EEENS1_30default_config_static_selectorELNS0_4arch9wavefront6targetE0EEEvS13_, .Lfunc_end1977-_ZN7rocprim17ROCPRIM_400000_NS6detail17trampoline_kernelINS0_13select_configILj256ELj13ELNS0_17block_load_methodE3ELS4_3ELS4_3ELNS0_20block_scan_algorithmE0ELj4294967295EEENS1_25partition_config_selectorILNS1_17partition_subalgoE4EjNS0_10empty_typeEbEEZZNS1_14partition_implILS8_4ELb0ES6_15HIP_vector_typeIjLj2EENS0_17counting_iteratorIjlEEPS9_SG_NS0_5tupleIJPjSI_NS0_16reverse_iteratorISI_EEEEENSH_IJSG_SG_SG_EEES9_SI_JZNS1_25segmented_radix_sort_implINS0_14default_configELb0EPK12hip_bfloat16PSP_PKlPlN2at6native12_GLOBAL__N_18offset_tEEE10hipError_tPvRmT1_PNSt15iterator_traitsIS13_E10value_typeET2_T3_PNS14_IS19_E10value_typeET4_jRbjT5_S1F_jjP12ihipStream_tbEUljE_ZNSN_ISO_Lb0ESR_SS_SU_SV_SZ_EES10_S11_S12_S13_S17_S18_S19_S1C_S1D_jS1E_jS1F_S1F_jjS1H_bEUljE0_EEES10_S11_S12_S19_S1D_S1F_T6_T7_T9_mT8_S1H_bDpT10_ENKUlT_T0_E_clISt17integral_constantIbLb0EES1V_EEDaS1Q_S1R_EUlS1Q_E_NS1_11comp_targetILNS1_3genE4ELNS1_11target_archE910ELNS1_3gpuE8ELNS1_3repE0EEENS1_30default_config_static_selectorELNS0_4arch9wavefront6targetE0EEEvS13_
                                        ; -- End function
	.set _ZN7rocprim17ROCPRIM_400000_NS6detail17trampoline_kernelINS0_13select_configILj256ELj13ELNS0_17block_load_methodE3ELS4_3ELS4_3ELNS0_20block_scan_algorithmE0ELj4294967295EEENS1_25partition_config_selectorILNS1_17partition_subalgoE4EjNS0_10empty_typeEbEEZZNS1_14partition_implILS8_4ELb0ES6_15HIP_vector_typeIjLj2EENS0_17counting_iteratorIjlEEPS9_SG_NS0_5tupleIJPjSI_NS0_16reverse_iteratorISI_EEEEENSH_IJSG_SG_SG_EEES9_SI_JZNS1_25segmented_radix_sort_implINS0_14default_configELb0EPK12hip_bfloat16PSP_PKlPlN2at6native12_GLOBAL__N_18offset_tEEE10hipError_tPvRmT1_PNSt15iterator_traitsIS13_E10value_typeET2_T3_PNS14_IS19_E10value_typeET4_jRbjT5_S1F_jjP12ihipStream_tbEUljE_ZNSN_ISO_Lb0ESR_SS_SU_SV_SZ_EES10_S11_S12_S13_S17_S18_S19_S1C_S1D_jS1E_jS1F_S1F_jjS1H_bEUljE0_EEES10_S11_S12_S19_S1D_S1F_T6_T7_T9_mT8_S1H_bDpT10_ENKUlT_T0_E_clISt17integral_constantIbLb0EES1V_EEDaS1Q_S1R_EUlS1Q_E_NS1_11comp_targetILNS1_3genE4ELNS1_11target_archE910ELNS1_3gpuE8ELNS1_3repE0EEENS1_30default_config_static_selectorELNS0_4arch9wavefront6targetE0EEEvS13_.num_vgpr, 0
	.set _ZN7rocprim17ROCPRIM_400000_NS6detail17trampoline_kernelINS0_13select_configILj256ELj13ELNS0_17block_load_methodE3ELS4_3ELS4_3ELNS0_20block_scan_algorithmE0ELj4294967295EEENS1_25partition_config_selectorILNS1_17partition_subalgoE4EjNS0_10empty_typeEbEEZZNS1_14partition_implILS8_4ELb0ES6_15HIP_vector_typeIjLj2EENS0_17counting_iteratorIjlEEPS9_SG_NS0_5tupleIJPjSI_NS0_16reverse_iteratorISI_EEEEENSH_IJSG_SG_SG_EEES9_SI_JZNS1_25segmented_radix_sort_implINS0_14default_configELb0EPK12hip_bfloat16PSP_PKlPlN2at6native12_GLOBAL__N_18offset_tEEE10hipError_tPvRmT1_PNSt15iterator_traitsIS13_E10value_typeET2_T3_PNS14_IS19_E10value_typeET4_jRbjT5_S1F_jjP12ihipStream_tbEUljE_ZNSN_ISO_Lb0ESR_SS_SU_SV_SZ_EES10_S11_S12_S13_S17_S18_S19_S1C_S1D_jS1E_jS1F_S1F_jjS1H_bEUljE0_EEES10_S11_S12_S19_S1D_S1F_T6_T7_T9_mT8_S1H_bDpT10_ENKUlT_T0_E_clISt17integral_constantIbLb0EES1V_EEDaS1Q_S1R_EUlS1Q_E_NS1_11comp_targetILNS1_3genE4ELNS1_11target_archE910ELNS1_3gpuE8ELNS1_3repE0EEENS1_30default_config_static_selectorELNS0_4arch9wavefront6targetE0EEEvS13_.num_agpr, 0
	.set _ZN7rocprim17ROCPRIM_400000_NS6detail17trampoline_kernelINS0_13select_configILj256ELj13ELNS0_17block_load_methodE3ELS4_3ELS4_3ELNS0_20block_scan_algorithmE0ELj4294967295EEENS1_25partition_config_selectorILNS1_17partition_subalgoE4EjNS0_10empty_typeEbEEZZNS1_14partition_implILS8_4ELb0ES6_15HIP_vector_typeIjLj2EENS0_17counting_iteratorIjlEEPS9_SG_NS0_5tupleIJPjSI_NS0_16reverse_iteratorISI_EEEEENSH_IJSG_SG_SG_EEES9_SI_JZNS1_25segmented_radix_sort_implINS0_14default_configELb0EPK12hip_bfloat16PSP_PKlPlN2at6native12_GLOBAL__N_18offset_tEEE10hipError_tPvRmT1_PNSt15iterator_traitsIS13_E10value_typeET2_T3_PNS14_IS19_E10value_typeET4_jRbjT5_S1F_jjP12ihipStream_tbEUljE_ZNSN_ISO_Lb0ESR_SS_SU_SV_SZ_EES10_S11_S12_S13_S17_S18_S19_S1C_S1D_jS1E_jS1F_S1F_jjS1H_bEUljE0_EEES10_S11_S12_S19_S1D_S1F_T6_T7_T9_mT8_S1H_bDpT10_ENKUlT_T0_E_clISt17integral_constantIbLb0EES1V_EEDaS1Q_S1R_EUlS1Q_E_NS1_11comp_targetILNS1_3genE4ELNS1_11target_archE910ELNS1_3gpuE8ELNS1_3repE0EEENS1_30default_config_static_selectorELNS0_4arch9wavefront6targetE0EEEvS13_.numbered_sgpr, 0
	.set _ZN7rocprim17ROCPRIM_400000_NS6detail17trampoline_kernelINS0_13select_configILj256ELj13ELNS0_17block_load_methodE3ELS4_3ELS4_3ELNS0_20block_scan_algorithmE0ELj4294967295EEENS1_25partition_config_selectorILNS1_17partition_subalgoE4EjNS0_10empty_typeEbEEZZNS1_14partition_implILS8_4ELb0ES6_15HIP_vector_typeIjLj2EENS0_17counting_iteratorIjlEEPS9_SG_NS0_5tupleIJPjSI_NS0_16reverse_iteratorISI_EEEEENSH_IJSG_SG_SG_EEES9_SI_JZNS1_25segmented_radix_sort_implINS0_14default_configELb0EPK12hip_bfloat16PSP_PKlPlN2at6native12_GLOBAL__N_18offset_tEEE10hipError_tPvRmT1_PNSt15iterator_traitsIS13_E10value_typeET2_T3_PNS14_IS19_E10value_typeET4_jRbjT5_S1F_jjP12ihipStream_tbEUljE_ZNSN_ISO_Lb0ESR_SS_SU_SV_SZ_EES10_S11_S12_S13_S17_S18_S19_S1C_S1D_jS1E_jS1F_S1F_jjS1H_bEUljE0_EEES10_S11_S12_S19_S1D_S1F_T6_T7_T9_mT8_S1H_bDpT10_ENKUlT_T0_E_clISt17integral_constantIbLb0EES1V_EEDaS1Q_S1R_EUlS1Q_E_NS1_11comp_targetILNS1_3genE4ELNS1_11target_archE910ELNS1_3gpuE8ELNS1_3repE0EEENS1_30default_config_static_selectorELNS0_4arch9wavefront6targetE0EEEvS13_.num_named_barrier, 0
	.set _ZN7rocprim17ROCPRIM_400000_NS6detail17trampoline_kernelINS0_13select_configILj256ELj13ELNS0_17block_load_methodE3ELS4_3ELS4_3ELNS0_20block_scan_algorithmE0ELj4294967295EEENS1_25partition_config_selectorILNS1_17partition_subalgoE4EjNS0_10empty_typeEbEEZZNS1_14partition_implILS8_4ELb0ES6_15HIP_vector_typeIjLj2EENS0_17counting_iteratorIjlEEPS9_SG_NS0_5tupleIJPjSI_NS0_16reverse_iteratorISI_EEEEENSH_IJSG_SG_SG_EEES9_SI_JZNS1_25segmented_radix_sort_implINS0_14default_configELb0EPK12hip_bfloat16PSP_PKlPlN2at6native12_GLOBAL__N_18offset_tEEE10hipError_tPvRmT1_PNSt15iterator_traitsIS13_E10value_typeET2_T3_PNS14_IS19_E10value_typeET4_jRbjT5_S1F_jjP12ihipStream_tbEUljE_ZNSN_ISO_Lb0ESR_SS_SU_SV_SZ_EES10_S11_S12_S13_S17_S18_S19_S1C_S1D_jS1E_jS1F_S1F_jjS1H_bEUljE0_EEES10_S11_S12_S19_S1D_S1F_T6_T7_T9_mT8_S1H_bDpT10_ENKUlT_T0_E_clISt17integral_constantIbLb0EES1V_EEDaS1Q_S1R_EUlS1Q_E_NS1_11comp_targetILNS1_3genE4ELNS1_11target_archE910ELNS1_3gpuE8ELNS1_3repE0EEENS1_30default_config_static_selectorELNS0_4arch9wavefront6targetE0EEEvS13_.private_seg_size, 0
	.set _ZN7rocprim17ROCPRIM_400000_NS6detail17trampoline_kernelINS0_13select_configILj256ELj13ELNS0_17block_load_methodE3ELS4_3ELS4_3ELNS0_20block_scan_algorithmE0ELj4294967295EEENS1_25partition_config_selectorILNS1_17partition_subalgoE4EjNS0_10empty_typeEbEEZZNS1_14partition_implILS8_4ELb0ES6_15HIP_vector_typeIjLj2EENS0_17counting_iteratorIjlEEPS9_SG_NS0_5tupleIJPjSI_NS0_16reverse_iteratorISI_EEEEENSH_IJSG_SG_SG_EEES9_SI_JZNS1_25segmented_radix_sort_implINS0_14default_configELb0EPK12hip_bfloat16PSP_PKlPlN2at6native12_GLOBAL__N_18offset_tEEE10hipError_tPvRmT1_PNSt15iterator_traitsIS13_E10value_typeET2_T3_PNS14_IS19_E10value_typeET4_jRbjT5_S1F_jjP12ihipStream_tbEUljE_ZNSN_ISO_Lb0ESR_SS_SU_SV_SZ_EES10_S11_S12_S13_S17_S18_S19_S1C_S1D_jS1E_jS1F_S1F_jjS1H_bEUljE0_EEES10_S11_S12_S19_S1D_S1F_T6_T7_T9_mT8_S1H_bDpT10_ENKUlT_T0_E_clISt17integral_constantIbLb0EES1V_EEDaS1Q_S1R_EUlS1Q_E_NS1_11comp_targetILNS1_3genE4ELNS1_11target_archE910ELNS1_3gpuE8ELNS1_3repE0EEENS1_30default_config_static_selectorELNS0_4arch9wavefront6targetE0EEEvS13_.uses_vcc, 0
	.set _ZN7rocprim17ROCPRIM_400000_NS6detail17trampoline_kernelINS0_13select_configILj256ELj13ELNS0_17block_load_methodE3ELS4_3ELS4_3ELNS0_20block_scan_algorithmE0ELj4294967295EEENS1_25partition_config_selectorILNS1_17partition_subalgoE4EjNS0_10empty_typeEbEEZZNS1_14partition_implILS8_4ELb0ES6_15HIP_vector_typeIjLj2EENS0_17counting_iteratorIjlEEPS9_SG_NS0_5tupleIJPjSI_NS0_16reverse_iteratorISI_EEEEENSH_IJSG_SG_SG_EEES9_SI_JZNS1_25segmented_radix_sort_implINS0_14default_configELb0EPK12hip_bfloat16PSP_PKlPlN2at6native12_GLOBAL__N_18offset_tEEE10hipError_tPvRmT1_PNSt15iterator_traitsIS13_E10value_typeET2_T3_PNS14_IS19_E10value_typeET4_jRbjT5_S1F_jjP12ihipStream_tbEUljE_ZNSN_ISO_Lb0ESR_SS_SU_SV_SZ_EES10_S11_S12_S13_S17_S18_S19_S1C_S1D_jS1E_jS1F_S1F_jjS1H_bEUljE0_EEES10_S11_S12_S19_S1D_S1F_T6_T7_T9_mT8_S1H_bDpT10_ENKUlT_T0_E_clISt17integral_constantIbLb0EES1V_EEDaS1Q_S1R_EUlS1Q_E_NS1_11comp_targetILNS1_3genE4ELNS1_11target_archE910ELNS1_3gpuE8ELNS1_3repE0EEENS1_30default_config_static_selectorELNS0_4arch9wavefront6targetE0EEEvS13_.uses_flat_scratch, 0
	.set _ZN7rocprim17ROCPRIM_400000_NS6detail17trampoline_kernelINS0_13select_configILj256ELj13ELNS0_17block_load_methodE3ELS4_3ELS4_3ELNS0_20block_scan_algorithmE0ELj4294967295EEENS1_25partition_config_selectorILNS1_17partition_subalgoE4EjNS0_10empty_typeEbEEZZNS1_14partition_implILS8_4ELb0ES6_15HIP_vector_typeIjLj2EENS0_17counting_iteratorIjlEEPS9_SG_NS0_5tupleIJPjSI_NS0_16reverse_iteratorISI_EEEEENSH_IJSG_SG_SG_EEES9_SI_JZNS1_25segmented_radix_sort_implINS0_14default_configELb0EPK12hip_bfloat16PSP_PKlPlN2at6native12_GLOBAL__N_18offset_tEEE10hipError_tPvRmT1_PNSt15iterator_traitsIS13_E10value_typeET2_T3_PNS14_IS19_E10value_typeET4_jRbjT5_S1F_jjP12ihipStream_tbEUljE_ZNSN_ISO_Lb0ESR_SS_SU_SV_SZ_EES10_S11_S12_S13_S17_S18_S19_S1C_S1D_jS1E_jS1F_S1F_jjS1H_bEUljE0_EEES10_S11_S12_S19_S1D_S1F_T6_T7_T9_mT8_S1H_bDpT10_ENKUlT_T0_E_clISt17integral_constantIbLb0EES1V_EEDaS1Q_S1R_EUlS1Q_E_NS1_11comp_targetILNS1_3genE4ELNS1_11target_archE910ELNS1_3gpuE8ELNS1_3repE0EEENS1_30default_config_static_selectorELNS0_4arch9wavefront6targetE0EEEvS13_.has_dyn_sized_stack, 0
	.set _ZN7rocprim17ROCPRIM_400000_NS6detail17trampoline_kernelINS0_13select_configILj256ELj13ELNS0_17block_load_methodE3ELS4_3ELS4_3ELNS0_20block_scan_algorithmE0ELj4294967295EEENS1_25partition_config_selectorILNS1_17partition_subalgoE4EjNS0_10empty_typeEbEEZZNS1_14partition_implILS8_4ELb0ES6_15HIP_vector_typeIjLj2EENS0_17counting_iteratorIjlEEPS9_SG_NS0_5tupleIJPjSI_NS0_16reverse_iteratorISI_EEEEENSH_IJSG_SG_SG_EEES9_SI_JZNS1_25segmented_radix_sort_implINS0_14default_configELb0EPK12hip_bfloat16PSP_PKlPlN2at6native12_GLOBAL__N_18offset_tEEE10hipError_tPvRmT1_PNSt15iterator_traitsIS13_E10value_typeET2_T3_PNS14_IS19_E10value_typeET4_jRbjT5_S1F_jjP12ihipStream_tbEUljE_ZNSN_ISO_Lb0ESR_SS_SU_SV_SZ_EES10_S11_S12_S13_S17_S18_S19_S1C_S1D_jS1E_jS1F_S1F_jjS1H_bEUljE0_EEES10_S11_S12_S19_S1D_S1F_T6_T7_T9_mT8_S1H_bDpT10_ENKUlT_T0_E_clISt17integral_constantIbLb0EES1V_EEDaS1Q_S1R_EUlS1Q_E_NS1_11comp_targetILNS1_3genE4ELNS1_11target_archE910ELNS1_3gpuE8ELNS1_3repE0EEENS1_30default_config_static_selectorELNS0_4arch9wavefront6targetE0EEEvS13_.has_recursion, 0
	.set _ZN7rocprim17ROCPRIM_400000_NS6detail17trampoline_kernelINS0_13select_configILj256ELj13ELNS0_17block_load_methodE3ELS4_3ELS4_3ELNS0_20block_scan_algorithmE0ELj4294967295EEENS1_25partition_config_selectorILNS1_17partition_subalgoE4EjNS0_10empty_typeEbEEZZNS1_14partition_implILS8_4ELb0ES6_15HIP_vector_typeIjLj2EENS0_17counting_iteratorIjlEEPS9_SG_NS0_5tupleIJPjSI_NS0_16reverse_iteratorISI_EEEEENSH_IJSG_SG_SG_EEES9_SI_JZNS1_25segmented_radix_sort_implINS0_14default_configELb0EPK12hip_bfloat16PSP_PKlPlN2at6native12_GLOBAL__N_18offset_tEEE10hipError_tPvRmT1_PNSt15iterator_traitsIS13_E10value_typeET2_T3_PNS14_IS19_E10value_typeET4_jRbjT5_S1F_jjP12ihipStream_tbEUljE_ZNSN_ISO_Lb0ESR_SS_SU_SV_SZ_EES10_S11_S12_S13_S17_S18_S19_S1C_S1D_jS1E_jS1F_S1F_jjS1H_bEUljE0_EEES10_S11_S12_S19_S1D_S1F_T6_T7_T9_mT8_S1H_bDpT10_ENKUlT_T0_E_clISt17integral_constantIbLb0EES1V_EEDaS1Q_S1R_EUlS1Q_E_NS1_11comp_targetILNS1_3genE4ELNS1_11target_archE910ELNS1_3gpuE8ELNS1_3repE0EEENS1_30default_config_static_selectorELNS0_4arch9wavefront6targetE0EEEvS13_.has_indirect_call, 0
	.section	.AMDGPU.csdata,"",@progbits
; Kernel info:
; codeLenInByte = 0
; TotalNumSgprs: 0
; NumVgprs: 0
; ScratchSize: 0
; MemoryBound: 0
; FloatMode: 240
; IeeeMode: 1
; LDSByteSize: 0 bytes/workgroup (compile time only)
; SGPRBlocks: 0
; VGPRBlocks: 0
; NumSGPRsForWavesPerEU: 1
; NumVGPRsForWavesPerEU: 1
; Occupancy: 16
; WaveLimiterHint : 0
; COMPUTE_PGM_RSRC2:SCRATCH_EN: 0
; COMPUTE_PGM_RSRC2:USER_SGPR: 6
; COMPUTE_PGM_RSRC2:TRAP_HANDLER: 0
; COMPUTE_PGM_RSRC2:TGID_X_EN: 1
; COMPUTE_PGM_RSRC2:TGID_Y_EN: 0
; COMPUTE_PGM_RSRC2:TGID_Z_EN: 0
; COMPUTE_PGM_RSRC2:TIDIG_COMP_CNT: 0
	.section	.text._ZN7rocprim17ROCPRIM_400000_NS6detail17trampoline_kernelINS0_13select_configILj256ELj13ELNS0_17block_load_methodE3ELS4_3ELS4_3ELNS0_20block_scan_algorithmE0ELj4294967295EEENS1_25partition_config_selectorILNS1_17partition_subalgoE4EjNS0_10empty_typeEbEEZZNS1_14partition_implILS8_4ELb0ES6_15HIP_vector_typeIjLj2EENS0_17counting_iteratorIjlEEPS9_SG_NS0_5tupleIJPjSI_NS0_16reverse_iteratorISI_EEEEENSH_IJSG_SG_SG_EEES9_SI_JZNS1_25segmented_radix_sort_implINS0_14default_configELb0EPK12hip_bfloat16PSP_PKlPlN2at6native12_GLOBAL__N_18offset_tEEE10hipError_tPvRmT1_PNSt15iterator_traitsIS13_E10value_typeET2_T3_PNS14_IS19_E10value_typeET4_jRbjT5_S1F_jjP12ihipStream_tbEUljE_ZNSN_ISO_Lb0ESR_SS_SU_SV_SZ_EES10_S11_S12_S13_S17_S18_S19_S1C_S1D_jS1E_jS1F_S1F_jjS1H_bEUljE0_EEES10_S11_S12_S19_S1D_S1F_T6_T7_T9_mT8_S1H_bDpT10_ENKUlT_T0_E_clISt17integral_constantIbLb0EES1V_EEDaS1Q_S1R_EUlS1Q_E_NS1_11comp_targetILNS1_3genE3ELNS1_11target_archE908ELNS1_3gpuE7ELNS1_3repE0EEENS1_30default_config_static_selectorELNS0_4arch9wavefront6targetE0EEEvS13_,"axG",@progbits,_ZN7rocprim17ROCPRIM_400000_NS6detail17trampoline_kernelINS0_13select_configILj256ELj13ELNS0_17block_load_methodE3ELS4_3ELS4_3ELNS0_20block_scan_algorithmE0ELj4294967295EEENS1_25partition_config_selectorILNS1_17partition_subalgoE4EjNS0_10empty_typeEbEEZZNS1_14partition_implILS8_4ELb0ES6_15HIP_vector_typeIjLj2EENS0_17counting_iteratorIjlEEPS9_SG_NS0_5tupleIJPjSI_NS0_16reverse_iteratorISI_EEEEENSH_IJSG_SG_SG_EEES9_SI_JZNS1_25segmented_radix_sort_implINS0_14default_configELb0EPK12hip_bfloat16PSP_PKlPlN2at6native12_GLOBAL__N_18offset_tEEE10hipError_tPvRmT1_PNSt15iterator_traitsIS13_E10value_typeET2_T3_PNS14_IS19_E10value_typeET4_jRbjT5_S1F_jjP12ihipStream_tbEUljE_ZNSN_ISO_Lb0ESR_SS_SU_SV_SZ_EES10_S11_S12_S13_S17_S18_S19_S1C_S1D_jS1E_jS1F_S1F_jjS1H_bEUljE0_EEES10_S11_S12_S19_S1D_S1F_T6_T7_T9_mT8_S1H_bDpT10_ENKUlT_T0_E_clISt17integral_constantIbLb0EES1V_EEDaS1Q_S1R_EUlS1Q_E_NS1_11comp_targetILNS1_3genE3ELNS1_11target_archE908ELNS1_3gpuE7ELNS1_3repE0EEENS1_30default_config_static_selectorELNS0_4arch9wavefront6targetE0EEEvS13_,comdat
	.globl	_ZN7rocprim17ROCPRIM_400000_NS6detail17trampoline_kernelINS0_13select_configILj256ELj13ELNS0_17block_load_methodE3ELS4_3ELS4_3ELNS0_20block_scan_algorithmE0ELj4294967295EEENS1_25partition_config_selectorILNS1_17partition_subalgoE4EjNS0_10empty_typeEbEEZZNS1_14partition_implILS8_4ELb0ES6_15HIP_vector_typeIjLj2EENS0_17counting_iteratorIjlEEPS9_SG_NS0_5tupleIJPjSI_NS0_16reverse_iteratorISI_EEEEENSH_IJSG_SG_SG_EEES9_SI_JZNS1_25segmented_radix_sort_implINS0_14default_configELb0EPK12hip_bfloat16PSP_PKlPlN2at6native12_GLOBAL__N_18offset_tEEE10hipError_tPvRmT1_PNSt15iterator_traitsIS13_E10value_typeET2_T3_PNS14_IS19_E10value_typeET4_jRbjT5_S1F_jjP12ihipStream_tbEUljE_ZNSN_ISO_Lb0ESR_SS_SU_SV_SZ_EES10_S11_S12_S13_S17_S18_S19_S1C_S1D_jS1E_jS1F_S1F_jjS1H_bEUljE0_EEES10_S11_S12_S19_S1D_S1F_T6_T7_T9_mT8_S1H_bDpT10_ENKUlT_T0_E_clISt17integral_constantIbLb0EES1V_EEDaS1Q_S1R_EUlS1Q_E_NS1_11comp_targetILNS1_3genE3ELNS1_11target_archE908ELNS1_3gpuE7ELNS1_3repE0EEENS1_30default_config_static_selectorELNS0_4arch9wavefront6targetE0EEEvS13_ ; -- Begin function _ZN7rocprim17ROCPRIM_400000_NS6detail17trampoline_kernelINS0_13select_configILj256ELj13ELNS0_17block_load_methodE3ELS4_3ELS4_3ELNS0_20block_scan_algorithmE0ELj4294967295EEENS1_25partition_config_selectorILNS1_17partition_subalgoE4EjNS0_10empty_typeEbEEZZNS1_14partition_implILS8_4ELb0ES6_15HIP_vector_typeIjLj2EENS0_17counting_iteratorIjlEEPS9_SG_NS0_5tupleIJPjSI_NS0_16reverse_iteratorISI_EEEEENSH_IJSG_SG_SG_EEES9_SI_JZNS1_25segmented_radix_sort_implINS0_14default_configELb0EPK12hip_bfloat16PSP_PKlPlN2at6native12_GLOBAL__N_18offset_tEEE10hipError_tPvRmT1_PNSt15iterator_traitsIS13_E10value_typeET2_T3_PNS14_IS19_E10value_typeET4_jRbjT5_S1F_jjP12ihipStream_tbEUljE_ZNSN_ISO_Lb0ESR_SS_SU_SV_SZ_EES10_S11_S12_S13_S17_S18_S19_S1C_S1D_jS1E_jS1F_S1F_jjS1H_bEUljE0_EEES10_S11_S12_S19_S1D_S1F_T6_T7_T9_mT8_S1H_bDpT10_ENKUlT_T0_E_clISt17integral_constantIbLb0EES1V_EEDaS1Q_S1R_EUlS1Q_E_NS1_11comp_targetILNS1_3genE3ELNS1_11target_archE908ELNS1_3gpuE7ELNS1_3repE0EEENS1_30default_config_static_selectorELNS0_4arch9wavefront6targetE0EEEvS13_
	.p2align	8
	.type	_ZN7rocprim17ROCPRIM_400000_NS6detail17trampoline_kernelINS0_13select_configILj256ELj13ELNS0_17block_load_methodE3ELS4_3ELS4_3ELNS0_20block_scan_algorithmE0ELj4294967295EEENS1_25partition_config_selectorILNS1_17partition_subalgoE4EjNS0_10empty_typeEbEEZZNS1_14partition_implILS8_4ELb0ES6_15HIP_vector_typeIjLj2EENS0_17counting_iteratorIjlEEPS9_SG_NS0_5tupleIJPjSI_NS0_16reverse_iteratorISI_EEEEENSH_IJSG_SG_SG_EEES9_SI_JZNS1_25segmented_radix_sort_implINS0_14default_configELb0EPK12hip_bfloat16PSP_PKlPlN2at6native12_GLOBAL__N_18offset_tEEE10hipError_tPvRmT1_PNSt15iterator_traitsIS13_E10value_typeET2_T3_PNS14_IS19_E10value_typeET4_jRbjT5_S1F_jjP12ihipStream_tbEUljE_ZNSN_ISO_Lb0ESR_SS_SU_SV_SZ_EES10_S11_S12_S13_S17_S18_S19_S1C_S1D_jS1E_jS1F_S1F_jjS1H_bEUljE0_EEES10_S11_S12_S19_S1D_S1F_T6_T7_T9_mT8_S1H_bDpT10_ENKUlT_T0_E_clISt17integral_constantIbLb0EES1V_EEDaS1Q_S1R_EUlS1Q_E_NS1_11comp_targetILNS1_3genE3ELNS1_11target_archE908ELNS1_3gpuE7ELNS1_3repE0EEENS1_30default_config_static_selectorELNS0_4arch9wavefront6targetE0EEEvS13_,@function
_ZN7rocprim17ROCPRIM_400000_NS6detail17trampoline_kernelINS0_13select_configILj256ELj13ELNS0_17block_load_methodE3ELS4_3ELS4_3ELNS0_20block_scan_algorithmE0ELj4294967295EEENS1_25partition_config_selectorILNS1_17partition_subalgoE4EjNS0_10empty_typeEbEEZZNS1_14partition_implILS8_4ELb0ES6_15HIP_vector_typeIjLj2EENS0_17counting_iteratorIjlEEPS9_SG_NS0_5tupleIJPjSI_NS0_16reverse_iteratorISI_EEEEENSH_IJSG_SG_SG_EEES9_SI_JZNS1_25segmented_radix_sort_implINS0_14default_configELb0EPK12hip_bfloat16PSP_PKlPlN2at6native12_GLOBAL__N_18offset_tEEE10hipError_tPvRmT1_PNSt15iterator_traitsIS13_E10value_typeET2_T3_PNS14_IS19_E10value_typeET4_jRbjT5_S1F_jjP12ihipStream_tbEUljE_ZNSN_ISO_Lb0ESR_SS_SU_SV_SZ_EES10_S11_S12_S13_S17_S18_S19_S1C_S1D_jS1E_jS1F_S1F_jjS1H_bEUljE0_EEES10_S11_S12_S19_S1D_S1F_T6_T7_T9_mT8_S1H_bDpT10_ENKUlT_T0_E_clISt17integral_constantIbLb0EES1V_EEDaS1Q_S1R_EUlS1Q_E_NS1_11comp_targetILNS1_3genE3ELNS1_11target_archE908ELNS1_3gpuE7ELNS1_3repE0EEENS1_30default_config_static_selectorELNS0_4arch9wavefront6targetE0EEEvS13_: ; @_ZN7rocprim17ROCPRIM_400000_NS6detail17trampoline_kernelINS0_13select_configILj256ELj13ELNS0_17block_load_methodE3ELS4_3ELS4_3ELNS0_20block_scan_algorithmE0ELj4294967295EEENS1_25partition_config_selectorILNS1_17partition_subalgoE4EjNS0_10empty_typeEbEEZZNS1_14partition_implILS8_4ELb0ES6_15HIP_vector_typeIjLj2EENS0_17counting_iteratorIjlEEPS9_SG_NS0_5tupleIJPjSI_NS0_16reverse_iteratorISI_EEEEENSH_IJSG_SG_SG_EEES9_SI_JZNS1_25segmented_radix_sort_implINS0_14default_configELb0EPK12hip_bfloat16PSP_PKlPlN2at6native12_GLOBAL__N_18offset_tEEE10hipError_tPvRmT1_PNSt15iterator_traitsIS13_E10value_typeET2_T3_PNS14_IS19_E10value_typeET4_jRbjT5_S1F_jjP12ihipStream_tbEUljE_ZNSN_ISO_Lb0ESR_SS_SU_SV_SZ_EES10_S11_S12_S13_S17_S18_S19_S1C_S1D_jS1E_jS1F_S1F_jjS1H_bEUljE0_EEES10_S11_S12_S19_S1D_S1F_T6_T7_T9_mT8_S1H_bDpT10_ENKUlT_T0_E_clISt17integral_constantIbLb0EES1V_EEDaS1Q_S1R_EUlS1Q_E_NS1_11comp_targetILNS1_3genE3ELNS1_11target_archE908ELNS1_3gpuE7ELNS1_3repE0EEENS1_30default_config_static_selectorELNS0_4arch9wavefront6targetE0EEEvS13_
; %bb.0:
	.section	.rodata,"a",@progbits
	.p2align	6, 0x0
	.amdhsa_kernel _ZN7rocprim17ROCPRIM_400000_NS6detail17trampoline_kernelINS0_13select_configILj256ELj13ELNS0_17block_load_methodE3ELS4_3ELS4_3ELNS0_20block_scan_algorithmE0ELj4294967295EEENS1_25partition_config_selectorILNS1_17partition_subalgoE4EjNS0_10empty_typeEbEEZZNS1_14partition_implILS8_4ELb0ES6_15HIP_vector_typeIjLj2EENS0_17counting_iteratorIjlEEPS9_SG_NS0_5tupleIJPjSI_NS0_16reverse_iteratorISI_EEEEENSH_IJSG_SG_SG_EEES9_SI_JZNS1_25segmented_radix_sort_implINS0_14default_configELb0EPK12hip_bfloat16PSP_PKlPlN2at6native12_GLOBAL__N_18offset_tEEE10hipError_tPvRmT1_PNSt15iterator_traitsIS13_E10value_typeET2_T3_PNS14_IS19_E10value_typeET4_jRbjT5_S1F_jjP12ihipStream_tbEUljE_ZNSN_ISO_Lb0ESR_SS_SU_SV_SZ_EES10_S11_S12_S13_S17_S18_S19_S1C_S1D_jS1E_jS1F_S1F_jjS1H_bEUljE0_EEES10_S11_S12_S19_S1D_S1F_T6_T7_T9_mT8_S1H_bDpT10_ENKUlT_T0_E_clISt17integral_constantIbLb0EES1V_EEDaS1Q_S1R_EUlS1Q_E_NS1_11comp_targetILNS1_3genE3ELNS1_11target_archE908ELNS1_3gpuE7ELNS1_3repE0EEENS1_30default_config_static_selectorELNS0_4arch9wavefront6targetE0EEEvS13_
		.amdhsa_group_segment_fixed_size 0
		.amdhsa_private_segment_fixed_size 0
		.amdhsa_kernarg_size 176
		.amdhsa_user_sgpr_count 6
		.amdhsa_user_sgpr_private_segment_buffer 1
		.amdhsa_user_sgpr_dispatch_ptr 0
		.amdhsa_user_sgpr_queue_ptr 0
		.amdhsa_user_sgpr_kernarg_segment_ptr 1
		.amdhsa_user_sgpr_dispatch_id 0
		.amdhsa_user_sgpr_flat_scratch_init 0
		.amdhsa_user_sgpr_private_segment_size 0
		.amdhsa_wavefront_size32 1
		.amdhsa_uses_dynamic_stack 0
		.amdhsa_system_sgpr_private_segment_wavefront_offset 0
		.amdhsa_system_sgpr_workgroup_id_x 1
		.amdhsa_system_sgpr_workgroup_id_y 0
		.amdhsa_system_sgpr_workgroup_id_z 0
		.amdhsa_system_sgpr_workgroup_info 0
		.amdhsa_system_vgpr_workitem_id 0
		.amdhsa_next_free_vgpr 1
		.amdhsa_next_free_sgpr 1
		.amdhsa_reserve_vcc 0
		.amdhsa_reserve_flat_scratch 0
		.amdhsa_float_round_mode_32 0
		.amdhsa_float_round_mode_16_64 0
		.amdhsa_float_denorm_mode_32 3
		.amdhsa_float_denorm_mode_16_64 3
		.amdhsa_dx10_clamp 1
		.amdhsa_ieee_mode 1
		.amdhsa_fp16_overflow 0
		.amdhsa_workgroup_processor_mode 1
		.amdhsa_memory_ordered 1
		.amdhsa_forward_progress 1
		.amdhsa_shared_vgpr_count 0
		.amdhsa_exception_fp_ieee_invalid_op 0
		.amdhsa_exception_fp_denorm_src 0
		.amdhsa_exception_fp_ieee_div_zero 0
		.amdhsa_exception_fp_ieee_overflow 0
		.amdhsa_exception_fp_ieee_underflow 0
		.amdhsa_exception_fp_ieee_inexact 0
		.amdhsa_exception_int_div_zero 0
	.end_amdhsa_kernel
	.section	.text._ZN7rocprim17ROCPRIM_400000_NS6detail17trampoline_kernelINS0_13select_configILj256ELj13ELNS0_17block_load_methodE3ELS4_3ELS4_3ELNS0_20block_scan_algorithmE0ELj4294967295EEENS1_25partition_config_selectorILNS1_17partition_subalgoE4EjNS0_10empty_typeEbEEZZNS1_14partition_implILS8_4ELb0ES6_15HIP_vector_typeIjLj2EENS0_17counting_iteratorIjlEEPS9_SG_NS0_5tupleIJPjSI_NS0_16reverse_iteratorISI_EEEEENSH_IJSG_SG_SG_EEES9_SI_JZNS1_25segmented_radix_sort_implINS0_14default_configELb0EPK12hip_bfloat16PSP_PKlPlN2at6native12_GLOBAL__N_18offset_tEEE10hipError_tPvRmT1_PNSt15iterator_traitsIS13_E10value_typeET2_T3_PNS14_IS19_E10value_typeET4_jRbjT5_S1F_jjP12ihipStream_tbEUljE_ZNSN_ISO_Lb0ESR_SS_SU_SV_SZ_EES10_S11_S12_S13_S17_S18_S19_S1C_S1D_jS1E_jS1F_S1F_jjS1H_bEUljE0_EEES10_S11_S12_S19_S1D_S1F_T6_T7_T9_mT8_S1H_bDpT10_ENKUlT_T0_E_clISt17integral_constantIbLb0EES1V_EEDaS1Q_S1R_EUlS1Q_E_NS1_11comp_targetILNS1_3genE3ELNS1_11target_archE908ELNS1_3gpuE7ELNS1_3repE0EEENS1_30default_config_static_selectorELNS0_4arch9wavefront6targetE0EEEvS13_,"axG",@progbits,_ZN7rocprim17ROCPRIM_400000_NS6detail17trampoline_kernelINS0_13select_configILj256ELj13ELNS0_17block_load_methodE3ELS4_3ELS4_3ELNS0_20block_scan_algorithmE0ELj4294967295EEENS1_25partition_config_selectorILNS1_17partition_subalgoE4EjNS0_10empty_typeEbEEZZNS1_14partition_implILS8_4ELb0ES6_15HIP_vector_typeIjLj2EENS0_17counting_iteratorIjlEEPS9_SG_NS0_5tupleIJPjSI_NS0_16reverse_iteratorISI_EEEEENSH_IJSG_SG_SG_EEES9_SI_JZNS1_25segmented_radix_sort_implINS0_14default_configELb0EPK12hip_bfloat16PSP_PKlPlN2at6native12_GLOBAL__N_18offset_tEEE10hipError_tPvRmT1_PNSt15iterator_traitsIS13_E10value_typeET2_T3_PNS14_IS19_E10value_typeET4_jRbjT5_S1F_jjP12ihipStream_tbEUljE_ZNSN_ISO_Lb0ESR_SS_SU_SV_SZ_EES10_S11_S12_S13_S17_S18_S19_S1C_S1D_jS1E_jS1F_S1F_jjS1H_bEUljE0_EEES10_S11_S12_S19_S1D_S1F_T6_T7_T9_mT8_S1H_bDpT10_ENKUlT_T0_E_clISt17integral_constantIbLb0EES1V_EEDaS1Q_S1R_EUlS1Q_E_NS1_11comp_targetILNS1_3genE3ELNS1_11target_archE908ELNS1_3gpuE7ELNS1_3repE0EEENS1_30default_config_static_selectorELNS0_4arch9wavefront6targetE0EEEvS13_,comdat
.Lfunc_end1978:
	.size	_ZN7rocprim17ROCPRIM_400000_NS6detail17trampoline_kernelINS0_13select_configILj256ELj13ELNS0_17block_load_methodE3ELS4_3ELS4_3ELNS0_20block_scan_algorithmE0ELj4294967295EEENS1_25partition_config_selectorILNS1_17partition_subalgoE4EjNS0_10empty_typeEbEEZZNS1_14partition_implILS8_4ELb0ES6_15HIP_vector_typeIjLj2EENS0_17counting_iteratorIjlEEPS9_SG_NS0_5tupleIJPjSI_NS0_16reverse_iteratorISI_EEEEENSH_IJSG_SG_SG_EEES9_SI_JZNS1_25segmented_radix_sort_implINS0_14default_configELb0EPK12hip_bfloat16PSP_PKlPlN2at6native12_GLOBAL__N_18offset_tEEE10hipError_tPvRmT1_PNSt15iterator_traitsIS13_E10value_typeET2_T3_PNS14_IS19_E10value_typeET4_jRbjT5_S1F_jjP12ihipStream_tbEUljE_ZNSN_ISO_Lb0ESR_SS_SU_SV_SZ_EES10_S11_S12_S13_S17_S18_S19_S1C_S1D_jS1E_jS1F_S1F_jjS1H_bEUljE0_EEES10_S11_S12_S19_S1D_S1F_T6_T7_T9_mT8_S1H_bDpT10_ENKUlT_T0_E_clISt17integral_constantIbLb0EES1V_EEDaS1Q_S1R_EUlS1Q_E_NS1_11comp_targetILNS1_3genE3ELNS1_11target_archE908ELNS1_3gpuE7ELNS1_3repE0EEENS1_30default_config_static_selectorELNS0_4arch9wavefront6targetE0EEEvS13_, .Lfunc_end1978-_ZN7rocprim17ROCPRIM_400000_NS6detail17trampoline_kernelINS0_13select_configILj256ELj13ELNS0_17block_load_methodE3ELS4_3ELS4_3ELNS0_20block_scan_algorithmE0ELj4294967295EEENS1_25partition_config_selectorILNS1_17partition_subalgoE4EjNS0_10empty_typeEbEEZZNS1_14partition_implILS8_4ELb0ES6_15HIP_vector_typeIjLj2EENS0_17counting_iteratorIjlEEPS9_SG_NS0_5tupleIJPjSI_NS0_16reverse_iteratorISI_EEEEENSH_IJSG_SG_SG_EEES9_SI_JZNS1_25segmented_radix_sort_implINS0_14default_configELb0EPK12hip_bfloat16PSP_PKlPlN2at6native12_GLOBAL__N_18offset_tEEE10hipError_tPvRmT1_PNSt15iterator_traitsIS13_E10value_typeET2_T3_PNS14_IS19_E10value_typeET4_jRbjT5_S1F_jjP12ihipStream_tbEUljE_ZNSN_ISO_Lb0ESR_SS_SU_SV_SZ_EES10_S11_S12_S13_S17_S18_S19_S1C_S1D_jS1E_jS1F_S1F_jjS1H_bEUljE0_EEES10_S11_S12_S19_S1D_S1F_T6_T7_T9_mT8_S1H_bDpT10_ENKUlT_T0_E_clISt17integral_constantIbLb0EES1V_EEDaS1Q_S1R_EUlS1Q_E_NS1_11comp_targetILNS1_3genE3ELNS1_11target_archE908ELNS1_3gpuE7ELNS1_3repE0EEENS1_30default_config_static_selectorELNS0_4arch9wavefront6targetE0EEEvS13_
                                        ; -- End function
	.set _ZN7rocprim17ROCPRIM_400000_NS6detail17trampoline_kernelINS0_13select_configILj256ELj13ELNS0_17block_load_methodE3ELS4_3ELS4_3ELNS0_20block_scan_algorithmE0ELj4294967295EEENS1_25partition_config_selectorILNS1_17partition_subalgoE4EjNS0_10empty_typeEbEEZZNS1_14partition_implILS8_4ELb0ES6_15HIP_vector_typeIjLj2EENS0_17counting_iteratorIjlEEPS9_SG_NS0_5tupleIJPjSI_NS0_16reverse_iteratorISI_EEEEENSH_IJSG_SG_SG_EEES9_SI_JZNS1_25segmented_radix_sort_implINS0_14default_configELb0EPK12hip_bfloat16PSP_PKlPlN2at6native12_GLOBAL__N_18offset_tEEE10hipError_tPvRmT1_PNSt15iterator_traitsIS13_E10value_typeET2_T3_PNS14_IS19_E10value_typeET4_jRbjT5_S1F_jjP12ihipStream_tbEUljE_ZNSN_ISO_Lb0ESR_SS_SU_SV_SZ_EES10_S11_S12_S13_S17_S18_S19_S1C_S1D_jS1E_jS1F_S1F_jjS1H_bEUljE0_EEES10_S11_S12_S19_S1D_S1F_T6_T7_T9_mT8_S1H_bDpT10_ENKUlT_T0_E_clISt17integral_constantIbLb0EES1V_EEDaS1Q_S1R_EUlS1Q_E_NS1_11comp_targetILNS1_3genE3ELNS1_11target_archE908ELNS1_3gpuE7ELNS1_3repE0EEENS1_30default_config_static_selectorELNS0_4arch9wavefront6targetE0EEEvS13_.num_vgpr, 0
	.set _ZN7rocprim17ROCPRIM_400000_NS6detail17trampoline_kernelINS0_13select_configILj256ELj13ELNS0_17block_load_methodE3ELS4_3ELS4_3ELNS0_20block_scan_algorithmE0ELj4294967295EEENS1_25partition_config_selectorILNS1_17partition_subalgoE4EjNS0_10empty_typeEbEEZZNS1_14partition_implILS8_4ELb0ES6_15HIP_vector_typeIjLj2EENS0_17counting_iteratorIjlEEPS9_SG_NS0_5tupleIJPjSI_NS0_16reverse_iteratorISI_EEEEENSH_IJSG_SG_SG_EEES9_SI_JZNS1_25segmented_radix_sort_implINS0_14default_configELb0EPK12hip_bfloat16PSP_PKlPlN2at6native12_GLOBAL__N_18offset_tEEE10hipError_tPvRmT1_PNSt15iterator_traitsIS13_E10value_typeET2_T3_PNS14_IS19_E10value_typeET4_jRbjT5_S1F_jjP12ihipStream_tbEUljE_ZNSN_ISO_Lb0ESR_SS_SU_SV_SZ_EES10_S11_S12_S13_S17_S18_S19_S1C_S1D_jS1E_jS1F_S1F_jjS1H_bEUljE0_EEES10_S11_S12_S19_S1D_S1F_T6_T7_T9_mT8_S1H_bDpT10_ENKUlT_T0_E_clISt17integral_constantIbLb0EES1V_EEDaS1Q_S1R_EUlS1Q_E_NS1_11comp_targetILNS1_3genE3ELNS1_11target_archE908ELNS1_3gpuE7ELNS1_3repE0EEENS1_30default_config_static_selectorELNS0_4arch9wavefront6targetE0EEEvS13_.num_agpr, 0
	.set _ZN7rocprim17ROCPRIM_400000_NS6detail17trampoline_kernelINS0_13select_configILj256ELj13ELNS0_17block_load_methodE3ELS4_3ELS4_3ELNS0_20block_scan_algorithmE0ELj4294967295EEENS1_25partition_config_selectorILNS1_17partition_subalgoE4EjNS0_10empty_typeEbEEZZNS1_14partition_implILS8_4ELb0ES6_15HIP_vector_typeIjLj2EENS0_17counting_iteratorIjlEEPS9_SG_NS0_5tupleIJPjSI_NS0_16reverse_iteratorISI_EEEEENSH_IJSG_SG_SG_EEES9_SI_JZNS1_25segmented_radix_sort_implINS0_14default_configELb0EPK12hip_bfloat16PSP_PKlPlN2at6native12_GLOBAL__N_18offset_tEEE10hipError_tPvRmT1_PNSt15iterator_traitsIS13_E10value_typeET2_T3_PNS14_IS19_E10value_typeET4_jRbjT5_S1F_jjP12ihipStream_tbEUljE_ZNSN_ISO_Lb0ESR_SS_SU_SV_SZ_EES10_S11_S12_S13_S17_S18_S19_S1C_S1D_jS1E_jS1F_S1F_jjS1H_bEUljE0_EEES10_S11_S12_S19_S1D_S1F_T6_T7_T9_mT8_S1H_bDpT10_ENKUlT_T0_E_clISt17integral_constantIbLb0EES1V_EEDaS1Q_S1R_EUlS1Q_E_NS1_11comp_targetILNS1_3genE3ELNS1_11target_archE908ELNS1_3gpuE7ELNS1_3repE0EEENS1_30default_config_static_selectorELNS0_4arch9wavefront6targetE0EEEvS13_.numbered_sgpr, 0
	.set _ZN7rocprim17ROCPRIM_400000_NS6detail17trampoline_kernelINS0_13select_configILj256ELj13ELNS0_17block_load_methodE3ELS4_3ELS4_3ELNS0_20block_scan_algorithmE0ELj4294967295EEENS1_25partition_config_selectorILNS1_17partition_subalgoE4EjNS0_10empty_typeEbEEZZNS1_14partition_implILS8_4ELb0ES6_15HIP_vector_typeIjLj2EENS0_17counting_iteratorIjlEEPS9_SG_NS0_5tupleIJPjSI_NS0_16reverse_iteratorISI_EEEEENSH_IJSG_SG_SG_EEES9_SI_JZNS1_25segmented_radix_sort_implINS0_14default_configELb0EPK12hip_bfloat16PSP_PKlPlN2at6native12_GLOBAL__N_18offset_tEEE10hipError_tPvRmT1_PNSt15iterator_traitsIS13_E10value_typeET2_T3_PNS14_IS19_E10value_typeET4_jRbjT5_S1F_jjP12ihipStream_tbEUljE_ZNSN_ISO_Lb0ESR_SS_SU_SV_SZ_EES10_S11_S12_S13_S17_S18_S19_S1C_S1D_jS1E_jS1F_S1F_jjS1H_bEUljE0_EEES10_S11_S12_S19_S1D_S1F_T6_T7_T9_mT8_S1H_bDpT10_ENKUlT_T0_E_clISt17integral_constantIbLb0EES1V_EEDaS1Q_S1R_EUlS1Q_E_NS1_11comp_targetILNS1_3genE3ELNS1_11target_archE908ELNS1_3gpuE7ELNS1_3repE0EEENS1_30default_config_static_selectorELNS0_4arch9wavefront6targetE0EEEvS13_.num_named_barrier, 0
	.set _ZN7rocprim17ROCPRIM_400000_NS6detail17trampoline_kernelINS0_13select_configILj256ELj13ELNS0_17block_load_methodE3ELS4_3ELS4_3ELNS0_20block_scan_algorithmE0ELj4294967295EEENS1_25partition_config_selectorILNS1_17partition_subalgoE4EjNS0_10empty_typeEbEEZZNS1_14partition_implILS8_4ELb0ES6_15HIP_vector_typeIjLj2EENS0_17counting_iteratorIjlEEPS9_SG_NS0_5tupleIJPjSI_NS0_16reverse_iteratorISI_EEEEENSH_IJSG_SG_SG_EEES9_SI_JZNS1_25segmented_radix_sort_implINS0_14default_configELb0EPK12hip_bfloat16PSP_PKlPlN2at6native12_GLOBAL__N_18offset_tEEE10hipError_tPvRmT1_PNSt15iterator_traitsIS13_E10value_typeET2_T3_PNS14_IS19_E10value_typeET4_jRbjT5_S1F_jjP12ihipStream_tbEUljE_ZNSN_ISO_Lb0ESR_SS_SU_SV_SZ_EES10_S11_S12_S13_S17_S18_S19_S1C_S1D_jS1E_jS1F_S1F_jjS1H_bEUljE0_EEES10_S11_S12_S19_S1D_S1F_T6_T7_T9_mT8_S1H_bDpT10_ENKUlT_T0_E_clISt17integral_constantIbLb0EES1V_EEDaS1Q_S1R_EUlS1Q_E_NS1_11comp_targetILNS1_3genE3ELNS1_11target_archE908ELNS1_3gpuE7ELNS1_3repE0EEENS1_30default_config_static_selectorELNS0_4arch9wavefront6targetE0EEEvS13_.private_seg_size, 0
	.set _ZN7rocprim17ROCPRIM_400000_NS6detail17trampoline_kernelINS0_13select_configILj256ELj13ELNS0_17block_load_methodE3ELS4_3ELS4_3ELNS0_20block_scan_algorithmE0ELj4294967295EEENS1_25partition_config_selectorILNS1_17partition_subalgoE4EjNS0_10empty_typeEbEEZZNS1_14partition_implILS8_4ELb0ES6_15HIP_vector_typeIjLj2EENS0_17counting_iteratorIjlEEPS9_SG_NS0_5tupleIJPjSI_NS0_16reverse_iteratorISI_EEEEENSH_IJSG_SG_SG_EEES9_SI_JZNS1_25segmented_radix_sort_implINS0_14default_configELb0EPK12hip_bfloat16PSP_PKlPlN2at6native12_GLOBAL__N_18offset_tEEE10hipError_tPvRmT1_PNSt15iterator_traitsIS13_E10value_typeET2_T3_PNS14_IS19_E10value_typeET4_jRbjT5_S1F_jjP12ihipStream_tbEUljE_ZNSN_ISO_Lb0ESR_SS_SU_SV_SZ_EES10_S11_S12_S13_S17_S18_S19_S1C_S1D_jS1E_jS1F_S1F_jjS1H_bEUljE0_EEES10_S11_S12_S19_S1D_S1F_T6_T7_T9_mT8_S1H_bDpT10_ENKUlT_T0_E_clISt17integral_constantIbLb0EES1V_EEDaS1Q_S1R_EUlS1Q_E_NS1_11comp_targetILNS1_3genE3ELNS1_11target_archE908ELNS1_3gpuE7ELNS1_3repE0EEENS1_30default_config_static_selectorELNS0_4arch9wavefront6targetE0EEEvS13_.uses_vcc, 0
	.set _ZN7rocprim17ROCPRIM_400000_NS6detail17trampoline_kernelINS0_13select_configILj256ELj13ELNS0_17block_load_methodE3ELS4_3ELS4_3ELNS0_20block_scan_algorithmE0ELj4294967295EEENS1_25partition_config_selectorILNS1_17partition_subalgoE4EjNS0_10empty_typeEbEEZZNS1_14partition_implILS8_4ELb0ES6_15HIP_vector_typeIjLj2EENS0_17counting_iteratorIjlEEPS9_SG_NS0_5tupleIJPjSI_NS0_16reverse_iteratorISI_EEEEENSH_IJSG_SG_SG_EEES9_SI_JZNS1_25segmented_radix_sort_implINS0_14default_configELb0EPK12hip_bfloat16PSP_PKlPlN2at6native12_GLOBAL__N_18offset_tEEE10hipError_tPvRmT1_PNSt15iterator_traitsIS13_E10value_typeET2_T3_PNS14_IS19_E10value_typeET4_jRbjT5_S1F_jjP12ihipStream_tbEUljE_ZNSN_ISO_Lb0ESR_SS_SU_SV_SZ_EES10_S11_S12_S13_S17_S18_S19_S1C_S1D_jS1E_jS1F_S1F_jjS1H_bEUljE0_EEES10_S11_S12_S19_S1D_S1F_T6_T7_T9_mT8_S1H_bDpT10_ENKUlT_T0_E_clISt17integral_constantIbLb0EES1V_EEDaS1Q_S1R_EUlS1Q_E_NS1_11comp_targetILNS1_3genE3ELNS1_11target_archE908ELNS1_3gpuE7ELNS1_3repE0EEENS1_30default_config_static_selectorELNS0_4arch9wavefront6targetE0EEEvS13_.uses_flat_scratch, 0
	.set _ZN7rocprim17ROCPRIM_400000_NS6detail17trampoline_kernelINS0_13select_configILj256ELj13ELNS0_17block_load_methodE3ELS4_3ELS4_3ELNS0_20block_scan_algorithmE0ELj4294967295EEENS1_25partition_config_selectorILNS1_17partition_subalgoE4EjNS0_10empty_typeEbEEZZNS1_14partition_implILS8_4ELb0ES6_15HIP_vector_typeIjLj2EENS0_17counting_iteratorIjlEEPS9_SG_NS0_5tupleIJPjSI_NS0_16reverse_iteratorISI_EEEEENSH_IJSG_SG_SG_EEES9_SI_JZNS1_25segmented_radix_sort_implINS0_14default_configELb0EPK12hip_bfloat16PSP_PKlPlN2at6native12_GLOBAL__N_18offset_tEEE10hipError_tPvRmT1_PNSt15iterator_traitsIS13_E10value_typeET2_T3_PNS14_IS19_E10value_typeET4_jRbjT5_S1F_jjP12ihipStream_tbEUljE_ZNSN_ISO_Lb0ESR_SS_SU_SV_SZ_EES10_S11_S12_S13_S17_S18_S19_S1C_S1D_jS1E_jS1F_S1F_jjS1H_bEUljE0_EEES10_S11_S12_S19_S1D_S1F_T6_T7_T9_mT8_S1H_bDpT10_ENKUlT_T0_E_clISt17integral_constantIbLb0EES1V_EEDaS1Q_S1R_EUlS1Q_E_NS1_11comp_targetILNS1_3genE3ELNS1_11target_archE908ELNS1_3gpuE7ELNS1_3repE0EEENS1_30default_config_static_selectorELNS0_4arch9wavefront6targetE0EEEvS13_.has_dyn_sized_stack, 0
	.set _ZN7rocprim17ROCPRIM_400000_NS6detail17trampoline_kernelINS0_13select_configILj256ELj13ELNS0_17block_load_methodE3ELS4_3ELS4_3ELNS0_20block_scan_algorithmE0ELj4294967295EEENS1_25partition_config_selectorILNS1_17partition_subalgoE4EjNS0_10empty_typeEbEEZZNS1_14partition_implILS8_4ELb0ES6_15HIP_vector_typeIjLj2EENS0_17counting_iteratorIjlEEPS9_SG_NS0_5tupleIJPjSI_NS0_16reverse_iteratorISI_EEEEENSH_IJSG_SG_SG_EEES9_SI_JZNS1_25segmented_radix_sort_implINS0_14default_configELb0EPK12hip_bfloat16PSP_PKlPlN2at6native12_GLOBAL__N_18offset_tEEE10hipError_tPvRmT1_PNSt15iterator_traitsIS13_E10value_typeET2_T3_PNS14_IS19_E10value_typeET4_jRbjT5_S1F_jjP12ihipStream_tbEUljE_ZNSN_ISO_Lb0ESR_SS_SU_SV_SZ_EES10_S11_S12_S13_S17_S18_S19_S1C_S1D_jS1E_jS1F_S1F_jjS1H_bEUljE0_EEES10_S11_S12_S19_S1D_S1F_T6_T7_T9_mT8_S1H_bDpT10_ENKUlT_T0_E_clISt17integral_constantIbLb0EES1V_EEDaS1Q_S1R_EUlS1Q_E_NS1_11comp_targetILNS1_3genE3ELNS1_11target_archE908ELNS1_3gpuE7ELNS1_3repE0EEENS1_30default_config_static_selectorELNS0_4arch9wavefront6targetE0EEEvS13_.has_recursion, 0
	.set _ZN7rocprim17ROCPRIM_400000_NS6detail17trampoline_kernelINS0_13select_configILj256ELj13ELNS0_17block_load_methodE3ELS4_3ELS4_3ELNS0_20block_scan_algorithmE0ELj4294967295EEENS1_25partition_config_selectorILNS1_17partition_subalgoE4EjNS0_10empty_typeEbEEZZNS1_14partition_implILS8_4ELb0ES6_15HIP_vector_typeIjLj2EENS0_17counting_iteratorIjlEEPS9_SG_NS0_5tupleIJPjSI_NS0_16reverse_iteratorISI_EEEEENSH_IJSG_SG_SG_EEES9_SI_JZNS1_25segmented_radix_sort_implINS0_14default_configELb0EPK12hip_bfloat16PSP_PKlPlN2at6native12_GLOBAL__N_18offset_tEEE10hipError_tPvRmT1_PNSt15iterator_traitsIS13_E10value_typeET2_T3_PNS14_IS19_E10value_typeET4_jRbjT5_S1F_jjP12ihipStream_tbEUljE_ZNSN_ISO_Lb0ESR_SS_SU_SV_SZ_EES10_S11_S12_S13_S17_S18_S19_S1C_S1D_jS1E_jS1F_S1F_jjS1H_bEUljE0_EEES10_S11_S12_S19_S1D_S1F_T6_T7_T9_mT8_S1H_bDpT10_ENKUlT_T0_E_clISt17integral_constantIbLb0EES1V_EEDaS1Q_S1R_EUlS1Q_E_NS1_11comp_targetILNS1_3genE3ELNS1_11target_archE908ELNS1_3gpuE7ELNS1_3repE0EEENS1_30default_config_static_selectorELNS0_4arch9wavefront6targetE0EEEvS13_.has_indirect_call, 0
	.section	.AMDGPU.csdata,"",@progbits
; Kernel info:
; codeLenInByte = 0
; TotalNumSgprs: 0
; NumVgprs: 0
; ScratchSize: 0
; MemoryBound: 0
; FloatMode: 240
; IeeeMode: 1
; LDSByteSize: 0 bytes/workgroup (compile time only)
; SGPRBlocks: 0
; VGPRBlocks: 0
; NumSGPRsForWavesPerEU: 1
; NumVGPRsForWavesPerEU: 1
; Occupancy: 16
; WaveLimiterHint : 0
; COMPUTE_PGM_RSRC2:SCRATCH_EN: 0
; COMPUTE_PGM_RSRC2:USER_SGPR: 6
; COMPUTE_PGM_RSRC2:TRAP_HANDLER: 0
; COMPUTE_PGM_RSRC2:TGID_X_EN: 1
; COMPUTE_PGM_RSRC2:TGID_Y_EN: 0
; COMPUTE_PGM_RSRC2:TGID_Z_EN: 0
; COMPUTE_PGM_RSRC2:TIDIG_COMP_CNT: 0
	.section	.text._ZN7rocprim17ROCPRIM_400000_NS6detail17trampoline_kernelINS0_13select_configILj256ELj13ELNS0_17block_load_methodE3ELS4_3ELS4_3ELNS0_20block_scan_algorithmE0ELj4294967295EEENS1_25partition_config_selectorILNS1_17partition_subalgoE4EjNS0_10empty_typeEbEEZZNS1_14partition_implILS8_4ELb0ES6_15HIP_vector_typeIjLj2EENS0_17counting_iteratorIjlEEPS9_SG_NS0_5tupleIJPjSI_NS0_16reverse_iteratorISI_EEEEENSH_IJSG_SG_SG_EEES9_SI_JZNS1_25segmented_radix_sort_implINS0_14default_configELb0EPK12hip_bfloat16PSP_PKlPlN2at6native12_GLOBAL__N_18offset_tEEE10hipError_tPvRmT1_PNSt15iterator_traitsIS13_E10value_typeET2_T3_PNS14_IS19_E10value_typeET4_jRbjT5_S1F_jjP12ihipStream_tbEUljE_ZNSN_ISO_Lb0ESR_SS_SU_SV_SZ_EES10_S11_S12_S13_S17_S18_S19_S1C_S1D_jS1E_jS1F_S1F_jjS1H_bEUljE0_EEES10_S11_S12_S19_S1D_S1F_T6_T7_T9_mT8_S1H_bDpT10_ENKUlT_T0_E_clISt17integral_constantIbLb0EES1V_EEDaS1Q_S1R_EUlS1Q_E_NS1_11comp_targetILNS1_3genE2ELNS1_11target_archE906ELNS1_3gpuE6ELNS1_3repE0EEENS1_30default_config_static_selectorELNS0_4arch9wavefront6targetE0EEEvS13_,"axG",@progbits,_ZN7rocprim17ROCPRIM_400000_NS6detail17trampoline_kernelINS0_13select_configILj256ELj13ELNS0_17block_load_methodE3ELS4_3ELS4_3ELNS0_20block_scan_algorithmE0ELj4294967295EEENS1_25partition_config_selectorILNS1_17partition_subalgoE4EjNS0_10empty_typeEbEEZZNS1_14partition_implILS8_4ELb0ES6_15HIP_vector_typeIjLj2EENS0_17counting_iteratorIjlEEPS9_SG_NS0_5tupleIJPjSI_NS0_16reverse_iteratorISI_EEEEENSH_IJSG_SG_SG_EEES9_SI_JZNS1_25segmented_radix_sort_implINS0_14default_configELb0EPK12hip_bfloat16PSP_PKlPlN2at6native12_GLOBAL__N_18offset_tEEE10hipError_tPvRmT1_PNSt15iterator_traitsIS13_E10value_typeET2_T3_PNS14_IS19_E10value_typeET4_jRbjT5_S1F_jjP12ihipStream_tbEUljE_ZNSN_ISO_Lb0ESR_SS_SU_SV_SZ_EES10_S11_S12_S13_S17_S18_S19_S1C_S1D_jS1E_jS1F_S1F_jjS1H_bEUljE0_EEES10_S11_S12_S19_S1D_S1F_T6_T7_T9_mT8_S1H_bDpT10_ENKUlT_T0_E_clISt17integral_constantIbLb0EES1V_EEDaS1Q_S1R_EUlS1Q_E_NS1_11comp_targetILNS1_3genE2ELNS1_11target_archE906ELNS1_3gpuE6ELNS1_3repE0EEENS1_30default_config_static_selectorELNS0_4arch9wavefront6targetE0EEEvS13_,comdat
	.globl	_ZN7rocprim17ROCPRIM_400000_NS6detail17trampoline_kernelINS0_13select_configILj256ELj13ELNS0_17block_load_methodE3ELS4_3ELS4_3ELNS0_20block_scan_algorithmE0ELj4294967295EEENS1_25partition_config_selectorILNS1_17partition_subalgoE4EjNS0_10empty_typeEbEEZZNS1_14partition_implILS8_4ELb0ES6_15HIP_vector_typeIjLj2EENS0_17counting_iteratorIjlEEPS9_SG_NS0_5tupleIJPjSI_NS0_16reverse_iteratorISI_EEEEENSH_IJSG_SG_SG_EEES9_SI_JZNS1_25segmented_radix_sort_implINS0_14default_configELb0EPK12hip_bfloat16PSP_PKlPlN2at6native12_GLOBAL__N_18offset_tEEE10hipError_tPvRmT1_PNSt15iterator_traitsIS13_E10value_typeET2_T3_PNS14_IS19_E10value_typeET4_jRbjT5_S1F_jjP12ihipStream_tbEUljE_ZNSN_ISO_Lb0ESR_SS_SU_SV_SZ_EES10_S11_S12_S13_S17_S18_S19_S1C_S1D_jS1E_jS1F_S1F_jjS1H_bEUljE0_EEES10_S11_S12_S19_S1D_S1F_T6_T7_T9_mT8_S1H_bDpT10_ENKUlT_T0_E_clISt17integral_constantIbLb0EES1V_EEDaS1Q_S1R_EUlS1Q_E_NS1_11comp_targetILNS1_3genE2ELNS1_11target_archE906ELNS1_3gpuE6ELNS1_3repE0EEENS1_30default_config_static_selectorELNS0_4arch9wavefront6targetE0EEEvS13_ ; -- Begin function _ZN7rocprim17ROCPRIM_400000_NS6detail17trampoline_kernelINS0_13select_configILj256ELj13ELNS0_17block_load_methodE3ELS4_3ELS4_3ELNS0_20block_scan_algorithmE0ELj4294967295EEENS1_25partition_config_selectorILNS1_17partition_subalgoE4EjNS0_10empty_typeEbEEZZNS1_14partition_implILS8_4ELb0ES6_15HIP_vector_typeIjLj2EENS0_17counting_iteratorIjlEEPS9_SG_NS0_5tupleIJPjSI_NS0_16reverse_iteratorISI_EEEEENSH_IJSG_SG_SG_EEES9_SI_JZNS1_25segmented_radix_sort_implINS0_14default_configELb0EPK12hip_bfloat16PSP_PKlPlN2at6native12_GLOBAL__N_18offset_tEEE10hipError_tPvRmT1_PNSt15iterator_traitsIS13_E10value_typeET2_T3_PNS14_IS19_E10value_typeET4_jRbjT5_S1F_jjP12ihipStream_tbEUljE_ZNSN_ISO_Lb0ESR_SS_SU_SV_SZ_EES10_S11_S12_S13_S17_S18_S19_S1C_S1D_jS1E_jS1F_S1F_jjS1H_bEUljE0_EEES10_S11_S12_S19_S1D_S1F_T6_T7_T9_mT8_S1H_bDpT10_ENKUlT_T0_E_clISt17integral_constantIbLb0EES1V_EEDaS1Q_S1R_EUlS1Q_E_NS1_11comp_targetILNS1_3genE2ELNS1_11target_archE906ELNS1_3gpuE6ELNS1_3repE0EEENS1_30default_config_static_selectorELNS0_4arch9wavefront6targetE0EEEvS13_
	.p2align	8
	.type	_ZN7rocprim17ROCPRIM_400000_NS6detail17trampoline_kernelINS0_13select_configILj256ELj13ELNS0_17block_load_methodE3ELS4_3ELS4_3ELNS0_20block_scan_algorithmE0ELj4294967295EEENS1_25partition_config_selectorILNS1_17partition_subalgoE4EjNS0_10empty_typeEbEEZZNS1_14partition_implILS8_4ELb0ES6_15HIP_vector_typeIjLj2EENS0_17counting_iteratorIjlEEPS9_SG_NS0_5tupleIJPjSI_NS0_16reverse_iteratorISI_EEEEENSH_IJSG_SG_SG_EEES9_SI_JZNS1_25segmented_radix_sort_implINS0_14default_configELb0EPK12hip_bfloat16PSP_PKlPlN2at6native12_GLOBAL__N_18offset_tEEE10hipError_tPvRmT1_PNSt15iterator_traitsIS13_E10value_typeET2_T3_PNS14_IS19_E10value_typeET4_jRbjT5_S1F_jjP12ihipStream_tbEUljE_ZNSN_ISO_Lb0ESR_SS_SU_SV_SZ_EES10_S11_S12_S13_S17_S18_S19_S1C_S1D_jS1E_jS1F_S1F_jjS1H_bEUljE0_EEES10_S11_S12_S19_S1D_S1F_T6_T7_T9_mT8_S1H_bDpT10_ENKUlT_T0_E_clISt17integral_constantIbLb0EES1V_EEDaS1Q_S1R_EUlS1Q_E_NS1_11comp_targetILNS1_3genE2ELNS1_11target_archE906ELNS1_3gpuE6ELNS1_3repE0EEENS1_30default_config_static_selectorELNS0_4arch9wavefront6targetE0EEEvS13_,@function
_ZN7rocprim17ROCPRIM_400000_NS6detail17trampoline_kernelINS0_13select_configILj256ELj13ELNS0_17block_load_methodE3ELS4_3ELS4_3ELNS0_20block_scan_algorithmE0ELj4294967295EEENS1_25partition_config_selectorILNS1_17partition_subalgoE4EjNS0_10empty_typeEbEEZZNS1_14partition_implILS8_4ELb0ES6_15HIP_vector_typeIjLj2EENS0_17counting_iteratorIjlEEPS9_SG_NS0_5tupleIJPjSI_NS0_16reverse_iteratorISI_EEEEENSH_IJSG_SG_SG_EEES9_SI_JZNS1_25segmented_radix_sort_implINS0_14default_configELb0EPK12hip_bfloat16PSP_PKlPlN2at6native12_GLOBAL__N_18offset_tEEE10hipError_tPvRmT1_PNSt15iterator_traitsIS13_E10value_typeET2_T3_PNS14_IS19_E10value_typeET4_jRbjT5_S1F_jjP12ihipStream_tbEUljE_ZNSN_ISO_Lb0ESR_SS_SU_SV_SZ_EES10_S11_S12_S13_S17_S18_S19_S1C_S1D_jS1E_jS1F_S1F_jjS1H_bEUljE0_EEES10_S11_S12_S19_S1D_S1F_T6_T7_T9_mT8_S1H_bDpT10_ENKUlT_T0_E_clISt17integral_constantIbLb0EES1V_EEDaS1Q_S1R_EUlS1Q_E_NS1_11comp_targetILNS1_3genE2ELNS1_11target_archE906ELNS1_3gpuE6ELNS1_3repE0EEENS1_30default_config_static_selectorELNS0_4arch9wavefront6targetE0EEEvS13_: ; @_ZN7rocprim17ROCPRIM_400000_NS6detail17trampoline_kernelINS0_13select_configILj256ELj13ELNS0_17block_load_methodE3ELS4_3ELS4_3ELNS0_20block_scan_algorithmE0ELj4294967295EEENS1_25partition_config_selectorILNS1_17partition_subalgoE4EjNS0_10empty_typeEbEEZZNS1_14partition_implILS8_4ELb0ES6_15HIP_vector_typeIjLj2EENS0_17counting_iteratorIjlEEPS9_SG_NS0_5tupleIJPjSI_NS0_16reverse_iteratorISI_EEEEENSH_IJSG_SG_SG_EEES9_SI_JZNS1_25segmented_radix_sort_implINS0_14default_configELb0EPK12hip_bfloat16PSP_PKlPlN2at6native12_GLOBAL__N_18offset_tEEE10hipError_tPvRmT1_PNSt15iterator_traitsIS13_E10value_typeET2_T3_PNS14_IS19_E10value_typeET4_jRbjT5_S1F_jjP12ihipStream_tbEUljE_ZNSN_ISO_Lb0ESR_SS_SU_SV_SZ_EES10_S11_S12_S13_S17_S18_S19_S1C_S1D_jS1E_jS1F_S1F_jjS1H_bEUljE0_EEES10_S11_S12_S19_S1D_S1F_T6_T7_T9_mT8_S1H_bDpT10_ENKUlT_T0_E_clISt17integral_constantIbLb0EES1V_EEDaS1Q_S1R_EUlS1Q_E_NS1_11comp_targetILNS1_3genE2ELNS1_11target_archE906ELNS1_3gpuE6ELNS1_3repE0EEENS1_30default_config_static_selectorELNS0_4arch9wavefront6targetE0EEEvS13_
; %bb.0:
	.section	.rodata,"a",@progbits
	.p2align	6, 0x0
	.amdhsa_kernel _ZN7rocprim17ROCPRIM_400000_NS6detail17trampoline_kernelINS0_13select_configILj256ELj13ELNS0_17block_load_methodE3ELS4_3ELS4_3ELNS0_20block_scan_algorithmE0ELj4294967295EEENS1_25partition_config_selectorILNS1_17partition_subalgoE4EjNS0_10empty_typeEbEEZZNS1_14partition_implILS8_4ELb0ES6_15HIP_vector_typeIjLj2EENS0_17counting_iteratorIjlEEPS9_SG_NS0_5tupleIJPjSI_NS0_16reverse_iteratorISI_EEEEENSH_IJSG_SG_SG_EEES9_SI_JZNS1_25segmented_radix_sort_implINS0_14default_configELb0EPK12hip_bfloat16PSP_PKlPlN2at6native12_GLOBAL__N_18offset_tEEE10hipError_tPvRmT1_PNSt15iterator_traitsIS13_E10value_typeET2_T3_PNS14_IS19_E10value_typeET4_jRbjT5_S1F_jjP12ihipStream_tbEUljE_ZNSN_ISO_Lb0ESR_SS_SU_SV_SZ_EES10_S11_S12_S13_S17_S18_S19_S1C_S1D_jS1E_jS1F_S1F_jjS1H_bEUljE0_EEES10_S11_S12_S19_S1D_S1F_T6_T7_T9_mT8_S1H_bDpT10_ENKUlT_T0_E_clISt17integral_constantIbLb0EES1V_EEDaS1Q_S1R_EUlS1Q_E_NS1_11comp_targetILNS1_3genE2ELNS1_11target_archE906ELNS1_3gpuE6ELNS1_3repE0EEENS1_30default_config_static_selectorELNS0_4arch9wavefront6targetE0EEEvS13_
		.amdhsa_group_segment_fixed_size 0
		.amdhsa_private_segment_fixed_size 0
		.amdhsa_kernarg_size 176
		.amdhsa_user_sgpr_count 6
		.amdhsa_user_sgpr_private_segment_buffer 1
		.amdhsa_user_sgpr_dispatch_ptr 0
		.amdhsa_user_sgpr_queue_ptr 0
		.amdhsa_user_sgpr_kernarg_segment_ptr 1
		.amdhsa_user_sgpr_dispatch_id 0
		.amdhsa_user_sgpr_flat_scratch_init 0
		.amdhsa_user_sgpr_private_segment_size 0
		.amdhsa_wavefront_size32 1
		.amdhsa_uses_dynamic_stack 0
		.amdhsa_system_sgpr_private_segment_wavefront_offset 0
		.amdhsa_system_sgpr_workgroup_id_x 1
		.amdhsa_system_sgpr_workgroup_id_y 0
		.amdhsa_system_sgpr_workgroup_id_z 0
		.amdhsa_system_sgpr_workgroup_info 0
		.amdhsa_system_vgpr_workitem_id 0
		.amdhsa_next_free_vgpr 1
		.amdhsa_next_free_sgpr 1
		.amdhsa_reserve_vcc 0
		.amdhsa_reserve_flat_scratch 0
		.amdhsa_float_round_mode_32 0
		.amdhsa_float_round_mode_16_64 0
		.amdhsa_float_denorm_mode_32 3
		.amdhsa_float_denorm_mode_16_64 3
		.amdhsa_dx10_clamp 1
		.amdhsa_ieee_mode 1
		.amdhsa_fp16_overflow 0
		.amdhsa_workgroup_processor_mode 1
		.amdhsa_memory_ordered 1
		.amdhsa_forward_progress 1
		.amdhsa_shared_vgpr_count 0
		.amdhsa_exception_fp_ieee_invalid_op 0
		.amdhsa_exception_fp_denorm_src 0
		.amdhsa_exception_fp_ieee_div_zero 0
		.amdhsa_exception_fp_ieee_overflow 0
		.amdhsa_exception_fp_ieee_underflow 0
		.amdhsa_exception_fp_ieee_inexact 0
		.amdhsa_exception_int_div_zero 0
	.end_amdhsa_kernel
	.section	.text._ZN7rocprim17ROCPRIM_400000_NS6detail17trampoline_kernelINS0_13select_configILj256ELj13ELNS0_17block_load_methodE3ELS4_3ELS4_3ELNS0_20block_scan_algorithmE0ELj4294967295EEENS1_25partition_config_selectorILNS1_17partition_subalgoE4EjNS0_10empty_typeEbEEZZNS1_14partition_implILS8_4ELb0ES6_15HIP_vector_typeIjLj2EENS0_17counting_iteratorIjlEEPS9_SG_NS0_5tupleIJPjSI_NS0_16reverse_iteratorISI_EEEEENSH_IJSG_SG_SG_EEES9_SI_JZNS1_25segmented_radix_sort_implINS0_14default_configELb0EPK12hip_bfloat16PSP_PKlPlN2at6native12_GLOBAL__N_18offset_tEEE10hipError_tPvRmT1_PNSt15iterator_traitsIS13_E10value_typeET2_T3_PNS14_IS19_E10value_typeET4_jRbjT5_S1F_jjP12ihipStream_tbEUljE_ZNSN_ISO_Lb0ESR_SS_SU_SV_SZ_EES10_S11_S12_S13_S17_S18_S19_S1C_S1D_jS1E_jS1F_S1F_jjS1H_bEUljE0_EEES10_S11_S12_S19_S1D_S1F_T6_T7_T9_mT8_S1H_bDpT10_ENKUlT_T0_E_clISt17integral_constantIbLb0EES1V_EEDaS1Q_S1R_EUlS1Q_E_NS1_11comp_targetILNS1_3genE2ELNS1_11target_archE906ELNS1_3gpuE6ELNS1_3repE0EEENS1_30default_config_static_selectorELNS0_4arch9wavefront6targetE0EEEvS13_,"axG",@progbits,_ZN7rocprim17ROCPRIM_400000_NS6detail17trampoline_kernelINS0_13select_configILj256ELj13ELNS0_17block_load_methodE3ELS4_3ELS4_3ELNS0_20block_scan_algorithmE0ELj4294967295EEENS1_25partition_config_selectorILNS1_17partition_subalgoE4EjNS0_10empty_typeEbEEZZNS1_14partition_implILS8_4ELb0ES6_15HIP_vector_typeIjLj2EENS0_17counting_iteratorIjlEEPS9_SG_NS0_5tupleIJPjSI_NS0_16reverse_iteratorISI_EEEEENSH_IJSG_SG_SG_EEES9_SI_JZNS1_25segmented_radix_sort_implINS0_14default_configELb0EPK12hip_bfloat16PSP_PKlPlN2at6native12_GLOBAL__N_18offset_tEEE10hipError_tPvRmT1_PNSt15iterator_traitsIS13_E10value_typeET2_T3_PNS14_IS19_E10value_typeET4_jRbjT5_S1F_jjP12ihipStream_tbEUljE_ZNSN_ISO_Lb0ESR_SS_SU_SV_SZ_EES10_S11_S12_S13_S17_S18_S19_S1C_S1D_jS1E_jS1F_S1F_jjS1H_bEUljE0_EEES10_S11_S12_S19_S1D_S1F_T6_T7_T9_mT8_S1H_bDpT10_ENKUlT_T0_E_clISt17integral_constantIbLb0EES1V_EEDaS1Q_S1R_EUlS1Q_E_NS1_11comp_targetILNS1_3genE2ELNS1_11target_archE906ELNS1_3gpuE6ELNS1_3repE0EEENS1_30default_config_static_selectorELNS0_4arch9wavefront6targetE0EEEvS13_,comdat
.Lfunc_end1979:
	.size	_ZN7rocprim17ROCPRIM_400000_NS6detail17trampoline_kernelINS0_13select_configILj256ELj13ELNS0_17block_load_methodE3ELS4_3ELS4_3ELNS0_20block_scan_algorithmE0ELj4294967295EEENS1_25partition_config_selectorILNS1_17partition_subalgoE4EjNS0_10empty_typeEbEEZZNS1_14partition_implILS8_4ELb0ES6_15HIP_vector_typeIjLj2EENS0_17counting_iteratorIjlEEPS9_SG_NS0_5tupleIJPjSI_NS0_16reverse_iteratorISI_EEEEENSH_IJSG_SG_SG_EEES9_SI_JZNS1_25segmented_radix_sort_implINS0_14default_configELb0EPK12hip_bfloat16PSP_PKlPlN2at6native12_GLOBAL__N_18offset_tEEE10hipError_tPvRmT1_PNSt15iterator_traitsIS13_E10value_typeET2_T3_PNS14_IS19_E10value_typeET4_jRbjT5_S1F_jjP12ihipStream_tbEUljE_ZNSN_ISO_Lb0ESR_SS_SU_SV_SZ_EES10_S11_S12_S13_S17_S18_S19_S1C_S1D_jS1E_jS1F_S1F_jjS1H_bEUljE0_EEES10_S11_S12_S19_S1D_S1F_T6_T7_T9_mT8_S1H_bDpT10_ENKUlT_T0_E_clISt17integral_constantIbLb0EES1V_EEDaS1Q_S1R_EUlS1Q_E_NS1_11comp_targetILNS1_3genE2ELNS1_11target_archE906ELNS1_3gpuE6ELNS1_3repE0EEENS1_30default_config_static_selectorELNS0_4arch9wavefront6targetE0EEEvS13_, .Lfunc_end1979-_ZN7rocprim17ROCPRIM_400000_NS6detail17trampoline_kernelINS0_13select_configILj256ELj13ELNS0_17block_load_methodE3ELS4_3ELS4_3ELNS0_20block_scan_algorithmE0ELj4294967295EEENS1_25partition_config_selectorILNS1_17partition_subalgoE4EjNS0_10empty_typeEbEEZZNS1_14partition_implILS8_4ELb0ES6_15HIP_vector_typeIjLj2EENS0_17counting_iteratorIjlEEPS9_SG_NS0_5tupleIJPjSI_NS0_16reverse_iteratorISI_EEEEENSH_IJSG_SG_SG_EEES9_SI_JZNS1_25segmented_radix_sort_implINS0_14default_configELb0EPK12hip_bfloat16PSP_PKlPlN2at6native12_GLOBAL__N_18offset_tEEE10hipError_tPvRmT1_PNSt15iterator_traitsIS13_E10value_typeET2_T3_PNS14_IS19_E10value_typeET4_jRbjT5_S1F_jjP12ihipStream_tbEUljE_ZNSN_ISO_Lb0ESR_SS_SU_SV_SZ_EES10_S11_S12_S13_S17_S18_S19_S1C_S1D_jS1E_jS1F_S1F_jjS1H_bEUljE0_EEES10_S11_S12_S19_S1D_S1F_T6_T7_T9_mT8_S1H_bDpT10_ENKUlT_T0_E_clISt17integral_constantIbLb0EES1V_EEDaS1Q_S1R_EUlS1Q_E_NS1_11comp_targetILNS1_3genE2ELNS1_11target_archE906ELNS1_3gpuE6ELNS1_3repE0EEENS1_30default_config_static_selectorELNS0_4arch9wavefront6targetE0EEEvS13_
                                        ; -- End function
	.set _ZN7rocprim17ROCPRIM_400000_NS6detail17trampoline_kernelINS0_13select_configILj256ELj13ELNS0_17block_load_methodE3ELS4_3ELS4_3ELNS0_20block_scan_algorithmE0ELj4294967295EEENS1_25partition_config_selectorILNS1_17partition_subalgoE4EjNS0_10empty_typeEbEEZZNS1_14partition_implILS8_4ELb0ES6_15HIP_vector_typeIjLj2EENS0_17counting_iteratorIjlEEPS9_SG_NS0_5tupleIJPjSI_NS0_16reverse_iteratorISI_EEEEENSH_IJSG_SG_SG_EEES9_SI_JZNS1_25segmented_radix_sort_implINS0_14default_configELb0EPK12hip_bfloat16PSP_PKlPlN2at6native12_GLOBAL__N_18offset_tEEE10hipError_tPvRmT1_PNSt15iterator_traitsIS13_E10value_typeET2_T3_PNS14_IS19_E10value_typeET4_jRbjT5_S1F_jjP12ihipStream_tbEUljE_ZNSN_ISO_Lb0ESR_SS_SU_SV_SZ_EES10_S11_S12_S13_S17_S18_S19_S1C_S1D_jS1E_jS1F_S1F_jjS1H_bEUljE0_EEES10_S11_S12_S19_S1D_S1F_T6_T7_T9_mT8_S1H_bDpT10_ENKUlT_T0_E_clISt17integral_constantIbLb0EES1V_EEDaS1Q_S1R_EUlS1Q_E_NS1_11comp_targetILNS1_3genE2ELNS1_11target_archE906ELNS1_3gpuE6ELNS1_3repE0EEENS1_30default_config_static_selectorELNS0_4arch9wavefront6targetE0EEEvS13_.num_vgpr, 0
	.set _ZN7rocprim17ROCPRIM_400000_NS6detail17trampoline_kernelINS0_13select_configILj256ELj13ELNS0_17block_load_methodE3ELS4_3ELS4_3ELNS0_20block_scan_algorithmE0ELj4294967295EEENS1_25partition_config_selectorILNS1_17partition_subalgoE4EjNS0_10empty_typeEbEEZZNS1_14partition_implILS8_4ELb0ES6_15HIP_vector_typeIjLj2EENS0_17counting_iteratorIjlEEPS9_SG_NS0_5tupleIJPjSI_NS0_16reverse_iteratorISI_EEEEENSH_IJSG_SG_SG_EEES9_SI_JZNS1_25segmented_radix_sort_implINS0_14default_configELb0EPK12hip_bfloat16PSP_PKlPlN2at6native12_GLOBAL__N_18offset_tEEE10hipError_tPvRmT1_PNSt15iterator_traitsIS13_E10value_typeET2_T3_PNS14_IS19_E10value_typeET4_jRbjT5_S1F_jjP12ihipStream_tbEUljE_ZNSN_ISO_Lb0ESR_SS_SU_SV_SZ_EES10_S11_S12_S13_S17_S18_S19_S1C_S1D_jS1E_jS1F_S1F_jjS1H_bEUljE0_EEES10_S11_S12_S19_S1D_S1F_T6_T7_T9_mT8_S1H_bDpT10_ENKUlT_T0_E_clISt17integral_constantIbLb0EES1V_EEDaS1Q_S1R_EUlS1Q_E_NS1_11comp_targetILNS1_3genE2ELNS1_11target_archE906ELNS1_3gpuE6ELNS1_3repE0EEENS1_30default_config_static_selectorELNS0_4arch9wavefront6targetE0EEEvS13_.num_agpr, 0
	.set _ZN7rocprim17ROCPRIM_400000_NS6detail17trampoline_kernelINS0_13select_configILj256ELj13ELNS0_17block_load_methodE3ELS4_3ELS4_3ELNS0_20block_scan_algorithmE0ELj4294967295EEENS1_25partition_config_selectorILNS1_17partition_subalgoE4EjNS0_10empty_typeEbEEZZNS1_14partition_implILS8_4ELb0ES6_15HIP_vector_typeIjLj2EENS0_17counting_iteratorIjlEEPS9_SG_NS0_5tupleIJPjSI_NS0_16reverse_iteratorISI_EEEEENSH_IJSG_SG_SG_EEES9_SI_JZNS1_25segmented_radix_sort_implINS0_14default_configELb0EPK12hip_bfloat16PSP_PKlPlN2at6native12_GLOBAL__N_18offset_tEEE10hipError_tPvRmT1_PNSt15iterator_traitsIS13_E10value_typeET2_T3_PNS14_IS19_E10value_typeET4_jRbjT5_S1F_jjP12ihipStream_tbEUljE_ZNSN_ISO_Lb0ESR_SS_SU_SV_SZ_EES10_S11_S12_S13_S17_S18_S19_S1C_S1D_jS1E_jS1F_S1F_jjS1H_bEUljE0_EEES10_S11_S12_S19_S1D_S1F_T6_T7_T9_mT8_S1H_bDpT10_ENKUlT_T0_E_clISt17integral_constantIbLb0EES1V_EEDaS1Q_S1R_EUlS1Q_E_NS1_11comp_targetILNS1_3genE2ELNS1_11target_archE906ELNS1_3gpuE6ELNS1_3repE0EEENS1_30default_config_static_selectorELNS0_4arch9wavefront6targetE0EEEvS13_.numbered_sgpr, 0
	.set _ZN7rocprim17ROCPRIM_400000_NS6detail17trampoline_kernelINS0_13select_configILj256ELj13ELNS0_17block_load_methodE3ELS4_3ELS4_3ELNS0_20block_scan_algorithmE0ELj4294967295EEENS1_25partition_config_selectorILNS1_17partition_subalgoE4EjNS0_10empty_typeEbEEZZNS1_14partition_implILS8_4ELb0ES6_15HIP_vector_typeIjLj2EENS0_17counting_iteratorIjlEEPS9_SG_NS0_5tupleIJPjSI_NS0_16reverse_iteratorISI_EEEEENSH_IJSG_SG_SG_EEES9_SI_JZNS1_25segmented_radix_sort_implINS0_14default_configELb0EPK12hip_bfloat16PSP_PKlPlN2at6native12_GLOBAL__N_18offset_tEEE10hipError_tPvRmT1_PNSt15iterator_traitsIS13_E10value_typeET2_T3_PNS14_IS19_E10value_typeET4_jRbjT5_S1F_jjP12ihipStream_tbEUljE_ZNSN_ISO_Lb0ESR_SS_SU_SV_SZ_EES10_S11_S12_S13_S17_S18_S19_S1C_S1D_jS1E_jS1F_S1F_jjS1H_bEUljE0_EEES10_S11_S12_S19_S1D_S1F_T6_T7_T9_mT8_S1H_bDpT10_ENKUlT_T0_E_clISt17integral_constantIbLb0EES1V_EEDaS1Q_S1R_EUlS1Q_E_NS1_11comp_targetILNS1_3genE2ELNS1_11target_archE906ELNS1_3gpuE6ELNS1_3repE0EEENS1_30default_config_static_selectorELNS0_4arch9wavefront6targetE0EEEvS13_.num_named_barrier, 0
	.set _ZN7rocprim17ROCPRIM_400000_NS6detail17trampoline_kernelINS0_13select_configILj256ELj13ELNS0_17block_load_methodE3ELS4_3ELS4_3ELNS0_20block_scan_algorithmE0ELj4294967295EEENS1_25partition_config_selectorILNS1_17partition_subalgoE4EjNS0_10empty_typeEbEEZZNS1_14partition_implILS8_4ELb0ES6_15HIP_vector_typeIjLj2EENS0_17counting_iteratorIjlEEPS9_SG_NS0_5tupleIJPjSI_NS0_16reverse_iteratorISI_EEEEENSH_IJSG_SG_SG_EEES9_SI_JZNS1_25segmented_radix_sort_implINS0_14default_configELb0EPK12hip_bfloat16PSP_PKlPlN2at6native12_GLOBAL__N_18offset_tEEE10hipError_tPvRmT1_PNSt15iterator_traitsIS13_E10value_typeET2_T3_PNS14_IS19_E10value_typeET4_jRbjT5_S1F_jjP12ihipStream_tbEUljE_ZNSN_ISO_Lb0ESR_SS_SU_SV_SZ_EES10_S11_S12_S13_S17_S18_S19_S1C_S1D_jS1E_jS1F_S1F_jjS1H_bEUljE0_EEES10_S11_S12_S19_S1D_S1F_T6_T7_T9_mT8_S1H_bDpT10_ENKUlT_T0_E_clISt17integral_constantIbLb0EES1V_EEDaS1Q_S1R_EUlS1Q_E_NS1_11comp_targetILNS1_3genE2ELNS1_11target_archE906ELNS1_3gpuE6ELNS1_3repE0EEENS1_30default_config_static_selectorELNS0_4arch9wavefront6targetE0EEEvS13_.private_seg_size, 0
	.set _ZN7rocprim17ROCPRIM_400000_NS6detail17trampoline_kernelINS0_13select_configILj256ELj13ELNS0_17block_load_methodE3ELS4_3ELS4_3ELNS0_20block_scan_algorithmE0ELj4294967295EEENS1_25partition_config_selectorILNS1_17partition_subalgoE4EjNS0_10empty_typeEbEEZZNS1_14partition_implILS8_4ELb0ES6_15HIP_vector_typeIjLj2EENS0_17counting_iteratorIjlEEPS9_SG_NS0_5tupleIJPjSI_NS0_16reverse_iteratorISI_EEEEENSH_IJSG_SG_SG_EEES9_SI_JZNS1_25segmented_radix_sort_implINS0_14default_configELb0EPK12hip_bfloat16PSP_PKlPlN2at6native12_GLOBAL__N_18offset_tEEE10hipError_tPvRmT1_PNSt15iterator_traitsIS13_E10value_typeET2_T3_PNS14_IS19_E10value_typeET4_jRbjT5_S1F_jjP12ihipStream_tbEUljE_ZNSN_ISO_Lb0ESR_SS_SU_SV_SZ_EES10_S11_S12_S13_S17_S18_S19_S1C_S1D_jS1E_jS1F_S1F_jjS1H_bEUljE0_EEES10_S11_S12_S19_S1D_S1F_T6_T7_T9_mT8_S1H_bDpT10_ENKUlT_T0_E_clISt17integral_constantIbLb0EES1V_EEDaS1Q_S1R_EUlS1Q_E_NS1_11comp_targetILNS1_3genE2ELNS1_11target_archE906ELNS1_3gpuE6ELNS1_3repE0EEENS1_30default_config_static_selectorELNS0_4arch9wavefront6targetE0EEEvS13_.uses_vcc, 0
	.set _ZN7rocprim17ROCPRIM_400000_NS6detail17trampoline_kernelINS0_13select_configILj256ELj13ELNS0_17block_load_methodE3ELS4_3ELS4_3ELNS0_20block_scan_algorithmE0ELj4294967295EEENS1_25partition_config_selectorILNS1_17partition_subalgoE4EjNS0_10empty_typeEbEEZZNS1_14partition_implILS8_4ELb0ES6_15HIP_vector_typeIjLj2EENS0_17counting_iteratorIjlEEPS9_SG_NS0_5tupleIJPjSI_NS0_16reverse_iteratorISI_EEEEENSH_IJSG_SG_SG_EEES9_SI_JZNS1_25segmented_radix_sort_implINS0_14default_configELb0EPK12hip_bfloat16PSP_PKlPlN2at6native12_GLOBAL__N_18offset_tEEE10hipError_tPvRmT1_PNSt15iterator_traitsIS13_E10value_typeET2_T3_PNS14_IS19_E10value_typeET4_jRbjT5_S1F_jjP12ihipStream_tbEUljE_ZNSN_ISO_Lb0ESR_SS_SU_SV_SZ_EES10_S11_S12_S13_S17_S18_S19_S1C_S1D_jS1E_jS1F_S1F_jjS1H_bEUljE0_EEES10_S11_S12_S19_S1D_S1F_T6_T7_T9_mT8_S1H_bDpT10_ENKUlT_T0_E_clISt17integral_constantIbLb0EES1V_EEDaS1Q_S1R_EUlS1Q_E_NS1_11comp_targetILNS1_3genE2ELNS1_11target_archE906ELNS1_3gpuE6ELNS1_3repE0EEENS1_30default_config_static_selectorELNS0_4arch9wavefront6targetE0EEEvS13_.uses_flat_scratch, 0
	.set _ZN7rocprim17ROCPRIM_400000_NS6detail17trampoline_kernelINS0_13select_configILj256ELj13ELNS0_17block_load_methodE3ELS4_3ELS4_3ELNS0_20block_scan_algorithmE0ELj4294967295EEENS1_25partition_config_selectorILNS1_17partition_subalgoE4EjNS0_10empty_typeEbEEZZNS1_14partition_implILS8_4ELb0ES6_15HIP_vector_typeIjLj2EENS0_17counting_iteratorIjlEEPS9_SG_NS0_5tupleIJPjSI_NS0_16reverse_iteratorISI_EEEEENSH_IJSG_SG_SG_EEES9_SI_JZNS1_25segmented_radix_sort_implINS0_14default_configELb0EPK12hip_bfloat16PSP_PKlPlN2at6native12_GLOBAL__N_18offset_tEEE10hipError_tPvRmT1_PNSt15iterator_traitsIS13_E10value_typeET2_T3_PNS14_IS19_E10value_typeET4_jRbjT5_S1F_jjP12ihipStream_tbEUljE_ZNSN_ISO_Lb0ESR_SS_SU_SV_SZ_EES10_S11_S12_S13_S17_S18_S19_S1C_S1D_jS1E_jS1F_S1F_jjS1H_bEUljE0_EEES10_S11_S12_S19_S1D_S1F_T6_T7_T9_mT8_S1H_bDpT10_ENKUlT_T0_E_clISt17integral_constantIbLb0EES1V_EEDaS1Q_S1R_EUlS1Q_E_NS1_11comp_targetILNS1_3genE2ELNS1_11target_archE906ELNS1_3gpuE6ELNS1_3repE0EEENS1_30default_config_static_selectorELNS0_4arch9wavefront6targetE0EEEvS13_.has_dyn_sized_stack, 0
	.set _ZN7rocprim17ROCPRIM_400000_NS6detail17trampoline_kernelINS0_13select_configILj256ELj13ELNS0_17block_load_methodE3ELS4_3ELS4_3ELNS0_20block_scan_algorithmE0ELj4294967295EEENS1_25partition_config_selectorILNS1_17partition_subalgoE4EjNS0_10empty_typeEbEEZZNS1_14partition_implILS8_4ELb0ES6_15HIP_vector_typeIjLj2EENS0_17counting_iteratorIjlEEPS9_SG_NS0_5tupleIJPjSI_NS0_16reverse_iteratorISI_EEEEENSH_IJSG_SG_SG_EEES9_SI_JZNS1_25segmented_radix_sort_implINS0_14default_configELb0EPK12hip_bfloat16PSP_PKlPlN2at6native12_GLOBAL__N_18offset_tEEE10hipError_tPvRmT1_PNSt15iterator_traitsIS13_E10value_typeET2_T3_PNS14_IS19_E10value_typeET4_jRbjT5_S1F_jjP12ihipStream_tbEUljE_ZNSN_ISO_Lb0ESR_SS_SU_SV_SZ_EES10_S11_S12_S13_S17_S18_S19_S1C_S1D_jS1E_jS1F_S1F_jjS1H_bEUljE0_EEES10_S11_S12_S19_S1D_S1F_T6_T7_T9_mT8_S1H_bDpT10_ENKUlT_T0_E_clISt17integral_constantIbLb0EES1V_EEDaS1Q_S1R_EUlS1Q_E_NS1_11comp_targetILNS1_3genE2ELNS1_11target_archE906ELNS1_3gpuE6ELNS1_3repE0EEENS1_30default_config_static_selectorELNS0_4arch9wavefront6targetE0EEEvS13_.has_recursion, 0
	.set _ZN7rocprim17ROCPRIM_400000_NS6detail17trampoline_kernelINS0_13select_configILj256ELj13ELNS0_17block_load_methodE3ELS4_3ELS4_3ELNS0_20block_scan_algorithmE0ELj4294967295EEENS1_25partition_config_selectorILNS1_17partition_subalgoE4EjNS0_10empty_typeEbEEZZNS1_14partition_implILS8_4ELb0ES6_15HIP_vector_typeIjLj2EENS0_17counting_iteratorIjlEEPS9_SG_NS0_5tupleIJPjSI_NS0_16reverse_iteratorISI_EEEEENSH_IJSG_SG_SG_EEES9_SI_JZNS1_25segmented_radix_sort_implINS0_14default_configELb0EPK12hip_bfloat16PSP_PKlPlN2at6native12_GLOBAL__N_18offset_tEEE10hipError_tPvRmT1_PNSt15iterator_traitsIS13_E10value_typeET2_T3_PNS14_IS19_E10value_typeET4_jRbjT5_S1F_jjP12ihipStream_tbEUljE_ZNSN_ISO_Lb0ESR_SS_SU_SV_SZ_EES10_S11_S12_S13_S17_S18_S19_S1C_S1D_jS1E_jS1F_S1F_jjS1H_bEUljE0_EEES10_S11_S12_S19_S1D_S1F_T6_T7_T9_mT8_S1H_bDpT10_ENKUlT_T0_E_clISt17integral_constantIbLb0EES1V_EEDaS1Q_S1R_EUlS1Q_E_NS1_11comp_targetILNS1_3genE2ELNS1_11target_archE906ELNS1_3gpuE6ELNS1_3repE0EEENS1_30default_config_static_selectorELNS0_4arch9wavefront6targetE0EEEvS13_.has_indirect_call, 0
	.section	.AMDGPU.csdata,"",@progbits
; Kernel info:
; codeLenInByte = 0
; TotalNumSgprs: 0
; NumVgprs: 0
; ScratchSize: 0
; MemoryBound: 0
; FloatMode: 240
; IeeeMode: 1
; LDSByteSize: 0 bytes/workgroup (compile time only)
; SGPRBlocks: 0
; VGPRBlocks: 0
; NumSGPRsForWavesPerEU: 1
; NumVGPRsForWavesPerEU: 1
; Occupancy: 16
; WaveLimiterHint : 0
; COMPUTE_PGM_RSRC2:SCRATCH_EN: 0
; COMPUTE_PGM_RSRC2:USER_SGPR: 6
; COMPUTE_PGM_RSRC2:TRAP_HANDLER: 0
; COMPUTE_PGM_RSRC2:TGID_X_EN: 1
; COMPUTE_PGM_RSRC2:TGID_Y_EN: 0
; COMPUTE_PGM_RSRC2:TGID_Z_EN: 0
; COMPUTE_PGM_RSRC2:TIDIG_COMP_CNT: 0
	.section	.text._ZN7rocprim17ROCPRIM_400000_NS6detail17trampoline_kernelINS0_13select_configILj256ELj13ELNS0_17block_load_methodE3ELS4_3ELS4_3ELNS0_20block_scan_algorithmE0ELj4294967295EEENS1_25partition_config_selectorILNS1_17partition_subalgoE4EjNS0_10empty_typeEbEEZZNS1_14partition_implILS8_4ELb0ES6_15HIP_vector_typeIjLj2EENS0_17counting_iteratorIjlEEPS9_SG_NS0_5tupleIJPjSI_NS0_16reverse_iteratorISI_EEEEENSH_IJSG_SG_SG_EEES9_SI_JZNS1_25segmented_radix_sort_implINS0_14default_configELb0EPK12hip_bfloat16PSP_PKlPlN2at6native12_GLOBAL__N_18offset_tEEE10hipError_tPvRmT1_PNSt15iterator_traitsIS13_E10value_typeET2_T3_PNS14_IS19_E10value_typeET4_jRbjT5_S1F_jjP12ihipStream_tbEUljE_ZNSN_ISO_Lb0ESR_SS_SU_SV_SZ_EES10_S11_S12_S13_S17_S18_S19_S1C_S1D_jS1E_jS1F_S1F_jjS1H_bEUljE0_EEES10_S11_S12_S19_S1D_S1F_T6_T7_T9_mT8_S1H_bDpT10_ENKUlT_T0_E_clISt17integral_constantIbLb0EES1V_EEDaS1Q_S1R_EUlS1Q_E_NS1_11comp_targetILNS1_3genE10ELNS1_11target_archE1200ELNS1_3gpuE4ELNS1_3repE0EEENS1_30default_config_static_selectorELNS0_4arch9wavefront6targetE0EEEvS13_,"axG",@progbits,_ZN7rocprim17ROCPRIM_400000_NS6detail17trampoline_kernelINS0_13select_configILj256ELj13ELNS0_17block_load_methodE3ELS4_3ELS4_3ELNS0_20block_scan_algorithmE0ELj4294967295EEENS1_25partition_config_selectorILNS1_17partition_subalgoE4EjNS0_10empty_typeEbEEZZNS1_14partition_implILS8_4ELb0ES6_15HIP_vector_typeIjLj2EENS0_17counting_iteratorIjlEEPS9_SG_NS0_5tupleIJPjSI_NS0_16reverse_iteratorISI_EEEEENSH_IJSG_SG_SG_EEES9_SI_JZNS1_25segmented_radix_sort_implINS0_14default_configELb0EPK12hip_bfloat16PSP_PKlPlN2at6native12_GLOBAL__N_18offset_tEEE10hipError_tPvRmT1_PNSt15iterator_traitsIS13_E10value_typeET2_T3_PNS14_IS19_E10value_typeET4_jRbjT5_S1F_jjP12ihipStream_tbEUljE_ZNSN_ISO_Lb0ESR_SS_SU_SV_SZ_EES10_S11_S12_S13_S17_S18_S19_S1C_S1D_jS1E_jS1F_S1F_jjS1H_bEUljE0_EEES10_S11_S12_S19_S1D_S1F_T6_T7_T9_mT8_S1H_bDpT10_ENKUlT_T0_E_clISt17integral_constantIbLb0EES1V_EEDaS1Q_S1R_EUlS1Q_E_NS1_11comp_targetILNS1_3genE10ELNS1_11target_archE1200ELNS1_3gpuE4ELNS1_3repE0EEENS1_30default_config_static_selectorELNS0_4arch9wavefront6targetE0EEEvS13_,comdat
	.globl	_ZN7rocprim17ROCPRIM_400000_NS6detail17trampoline_kernelINS0_13select_configILj256ELj13ELNS0_17block_load_methodE3ELS4_3ELS4_3ELNS0_20block_scan_algorithmE0ELj4294967295EEENS1_25partition_config_selectorILNS1_17partition_subalgoE4EjNS0_10empty_typeEbEEZZNS1_14partition_implILS8_4ELb0ES6_15HIP_vector_typeIjLj2EENS0_17counting_iteratorIjlEEPS9_SG_NS0_5tupleIJPjSI_NS0_16reverse_iteratorISI_EEEEENSH_IJSG_SG_SG_EEES9_SI_JZNS1_25segmented_radix_sort_implINS0_14default_configELb0EPK12hip_bfloat16PSP_PKlPlN2at6native12_GLOBAL__N_18offset_tEEE10hipError_tPvRmT1_PNSt15iterator_traitsIS13_E10value_typeET2_T3_PNS14_IS19_E10value_typeET4_jRbjT5_S1F_jjP12ihipStream_tbEUljE_ZNSN_ISO_Lb0ESR_SS_SU_SV_SZ_EES10_S11_S12_S13_S17_S18_S19_S1C_S1D_jS1E_jS1F_S1F_jjS1H_bEUljE0_EEES10_S11_S12_S19_S1D_S1F_T6_T7_T9_mT8_S1H_bDpT10_ENKUlT_T0_E_clISt17integral_constantIbLb0EES1V_EEDaS1Q_S1R_EUlS1Q_E_NS1_11comp_targetILNS1_3genE10ELNS1_11target_archE1200ELNS1_3gpuE4ELNS1_3repE0EEENS1_30default_config_static_selectorELNS0_4arch9wavefront6targetE0EEEvS13_ ; -- Begin function _ZN7rocprim17ROCPRIM_400000_NS6detail17trampoline_kernelINS0_13select_configILj256ELj13ELNS0_17block_load_methodE3ELS4_3ELS4_3ELNS0_20block_scan_algorithmE0ELj4294967295EEENS1_25partition_config_selectorILNS1_17partition_subalgoE4EjNS0_10empty_typeEbEEZZNS1_14partition_implILS8_4ELb0ES6_15HIP_vector_typeIjLj2EENS0_17counting_iteratorIjlEEPS9_SG_NS0_5tupleIJPjSI_NS0_16reverse_iteratorISI_EEEEENSH_IJSG_SG_SG_EEES9_SI_JZNS1_25segmented_radix_sort_implINS0_14default_configELb0EPK12hip_bfloat16PSP_PKlPlN2at6native12_GLOBAL__N_18offset_tEEE10hipError_tPvRmT1_PNSt15iterator_traitsIS13_E10value_typeET2_T3_PNS14_IS19_E10value_typeET4_jRbjT5_S1F_jjP12ihipStream_tbEUljE_ZNSN_ISO_Lb0ESR_SS_SU_SV_SZ_EES10_S11_S12_S13_S17_S18_S19_S1C_S1D_jS1E_jS1F_S1F_jjS1H_bEUljE0_EEES10_S11_S12_S19_S1D_S1F_T6_T7_T9_mT8_S1H_bDpT10_ENKUlT_T0_E_clISt17integral_constantIbLb0EES1V_EEDaS1Q_S1R_EUlS1Q_E_NS1_11comp_targetILNS1_3genE10ELNS1_11target_archE1200ELNS1_3gpuE4ELNS1_3repE0EEENS1_30default_config_static_selectorELNS0_4arch9wavefront6targetE0EEEvS13_
	.p2align	8
	.type	_ZN7rocprim17ROCPRIM_400000_NS6detail17trampoline_kernelINS0_13select_configILj256ELj13ELNS0_17block_load_methodE3ELS4_3ELS4_3ELNS0_20block_scan_algorithmE0ELj4294967295EEENS1_25partition_config_selectorILNS1_17partition_subalgoE4EjNS0_10empty_typeEbEEZZNS1_14partition_implILS8_4ELb0ES6_15HIP_vector_typeIjLj2EENS0_17counting_iteratorIjlEEPS9_SG_NS0_5tupleIJPjSI_NS0_16reverse_iteratorISI_EEEEENSH_IJSG_SG_SG_EEES9_SI_JZNS1_25segmented_radix_sort_implINS0_14default_configELb0EPK12hip_bfloat16PSP_PKlPlN2at6native12_GLOBAL__N_18offset_tEEE10hipError_tPvRmT1_PNSt15iterator_traitsIS13_E10value_typeET2_T3_PNS14_IS19_E10value_typeET4_jRbjT5_S1F_jjP12ihipStream_tbEUljE_ZNSN_ISO_Lb0ESR_SS_SU_SV_SZ_EES10_S11_S12_S13_S17_S18_S19_S1C_S1D_jS1E_jS1F_S1F_jjS1H_bEUljE0_EEES10_S11_S12_S19_S1D_S1F_T6_T7_T9_mT8_S1H_bDpT10_ENKUlT_T0_E_clISt17integral_constantIbLb0EES1V_EEDaS1Q_S1R_EUlS1Q_E_NS1_11comp_targetILNS1_3genE10ELNS1_11target_archE1200ELNS1_3gpuE4ELNS1_3repE0EEENS1_30default_config_static_selectorELNS0_4arch9wavefront6targetE0EEEvS13_,@function
_ZN7rocprim17ROCPRIM_400000_NS6detail17trampoline_kernelINS0_13select_configILj256ELj13ELNS0_17block_load_methodE3ELS4_3ELS4_3ELNS0_20block_scan_algorithmE0ELj4294967295EEENS1_25partition_config_selectorILNS1_17partition_subalgoE4EjNS0_10empty_typeEbEEZZNS1_14partition_implILS8_4ELb0ES6_15HIP_vector_typeIjLj2EENS0_17counting_iteratorIjlEEPS9_SG_NS0_5tupleIJPjSI_NS0_16reverse_iteratorISI_EEEEENSH_IJSG_SG_SG_EEES9_SI_JZNS1_25segmented_radix_sort_implINS0_14default_configELb0EPK12hip_bfloat16PSP_PKlPlN2at6native12_GLOBAL__N_18offset_tEEE10hipError_tPvRmT1_PNSt15iterator_traitsIS13_E10value_typeET2_T3_PNS14_IS19_E10value_typeET4_jRbjT5_S1F_jjP12ihipStream_tbEUljE_ZNSN_ISO_Lb0ESR_SS_SU_SV_SZ_EES10_S11_S12_S13_S17_S18_S19_S1C_S1D_jS1E_jS1F_S1F_jjS1H_bEUljE0_EEES10_S11_S12_S19_S1D_S1F_T6_T7_T9_mT8_S1H_bDpT10_ENKUlT_T0_E_clISt17integral_constantIbLb0EES1V_EEDaS1Q_S1R_EUlS1Q_E_NS1_11comp_targetILNS1_3genE10ELNS1_11target_archE1200ELNS1_3gpuE4ELNS1_3repE0EEENS1_30default_config_static_selectorELNS0_4arch9wavefront6targetE0EEEvS13_: ; @_ZN7rocprim17ROCPRIM_400000_NS6detail17trampoline_kernelINS0_13select_configILj256ELj13ELNS0_17block_load_methodE3ELS4_3ELS4_3ELNS0_20block_scan_algorithmE0ELj4294967295EEENS1_25partition_config_selectorILNS1_17partition_subalgoE4EjNS0_10empty_typeEbEEZZNS1_14partition_implILS8_4ELb0ES6_15HIP_vector_typeIjLj2EENS0_17counting_iteratorIjlEEPS9_SG_NS0_5tupleIJPjSI_NS0_16reverse_iteratorISI_EEEEENSH_IJSG_SG_SG_EEES9_SI_JZNS1_25segmented_radix_sort_implINS0_14default_configELb0EPK12hip_bfloat16PSP_PKlPlN2at6native12_GLOBAL__N_18offset_tEEE10hipError_tPvRmT1_PNSt15iterator_traitsIS13_E10value_typeET2_T3_PNS14_IS19_E10value_typeET4_jRbjT5_S1F_jjP12ihipStream_tbEUljE_ZNSN_ISO_Lb0ESR_SS_SU_SV_SZ_EES10_S11_S12_S13_S17_S18_S19_S1C_S1D_jS1E_jS1F_S1F_jjS1H_bEUljE0_EEES10_S11_S12_S19_S1D_S1F_T6_T7_T9_mT8_S1H_bDpT10_ENKUlT_T0_E_clISt17integral_constantIbLb0EES1V_EEDaS1Q_S1R_EUlS1Q_E_NS1_11comp_targetILNS1_3genE10ELNS1_11target_archE1200ELNS1_3gpuE4ELNS1_3repE0EEENS1_30default_config_static_selectorELNS0_4arch9wavefront6targetE0EEEvS13_
; %bb.0:
	.section	.rodata,"a",@progbits
	.p2align	6, 0x0
	.amdhsa_kernel _ZN7rocprim17ROCPRIM_400000_NS6detail17trampoline_kernelINS0_13select_configILj256ELj13ELNS0_17block_load_methodE3ELS4_3ELS4_3ELNS0_20block_scan_algorithmE0ELj4294967295EEENS1_25partition_config_selectorILNS1_17partition_subalgoE4EjNS0_10empty_typeEbEEZZNS1_14partition_implILS8_4ELb0ES6_15HIP_vector_typeIjLj2EENS0_17counting_iteratorIjlEEPS9_SG_NS0_5tupleIJPjSI_NS0_16reverse_iteratorISI_EEEEENSH_IJSG_SG_SG_EEES9_SI_JZNS1_25segmented_radix_sort_implINS0_14default_configELb0EPK12hip_bfloat16PSP_PKlPlN2at6native12_GLOBAL__N_18offset_tEEE10hipError_tPvRmT1_PNSt15iterator_traitsIS13_E10value_typeET2_T3_PNS14_IS19_E10value_typeET4_jRbjT5_S1F_jjP12ihipStream_tbEUljE_ZNSN_ISO_Lb0ESR_SS_SU_SV_SZ_EES10_S11_S12_S13_S17_S18_S19_S1C_S1D_jS1E_jS1F_S1F_jjS1H_bEUljE0_EEES10_S11_S12_S19_S1D_S1F_T6_T7_T9_mT8_S1H_bDpT10_ENKUlT_T0_E_clISt17integral_constantIbLb0EES1V_EEDaS1Q_S1R_EUlS1Q_E_NS1_11comp_targetILNS1_3genE10ELNS1_11target_archE1200ELNS1_3gpuE4ELNS1_3repE0EEENS1_30default_config_static_selectorELNS0_4arch9wavefront6targetE0EEEvS13_
		.amdhsa_group_segment_fixed_size 0
		.amdhsa_private_segment_fixed_size 0
		.amdhsa_kernarg_size 176
		.amdhsa_user_sgpr_count 6
		.amdhsa_user_sgpr_private_segment_buffer 1
		.amdhsa_user_sgpr_dispatch_ptr 0
		.amdhsa_user_sgpr_queue_ptr 0
		.amdhsa_user_sgpr_kernarg_segment_ptr 1
		.amdhsa_user_sgpr_dispatch_id 0
		.amdhsa_user_sgpr_flat_scratch_init 0
		.amdhsa_user_sgpr_private_segment_size 0
		.amdhsa_wavefront_size32 1
		.amdhsa_uses_dynamic_stack 0
		.amdhsa_system_sgpr_private_segment_wavefront_offset 0
		.amdhsa_system_sgpr_workgroup_id_x 1
		.amdhsa_system_sgpr_workgroup_id_y 0
		.amdhsa_system_sgpr_workgroup_id_z 0
		.amdhsa_system_sgpr_workgroup_info 0
		.amdhsa_system_vgpr_workitem_id 0
		.amdhsa_next_free_vgpr 1
		.amdhsa_next_free_sgpr 1
		.amdhsa_reserve_vcc 0
		.amdhsa_reserve_flat_scratch 0
		.amdhsa_float_round_mode_32 0
		.amdhsa_float_round_mode_16_64 0
		.amdhsa_float_denorm_mode_32 3
		.amdhsa_float_denorm_mode_16_64 3
		.amdhsa_dx10_clamp 1
		.amdhsa_ieee_mode 1
		.amdhsa_fp16_overflow 0
		.amdhsa_workgroup_processor_mode 1
		.amdhsa_memory_ordered 1
		.amdhsa_forward_progress 1
		.amdhsa_shared_vgpr_count 0
		.amdhsa_exception_fp_ieee_invalid_op 0
		.amdhsa_exception_fp_denorm_src 0
		.amdhsa_exception_fp_ieee_div_zero 0
		.amdhsa_exception_fp_ieee_overflow 0
		.amdhsa_exception_fp_ieee_underflow 0
		.amdhsa_exception_fp_ieee_inexact 0
		.amdhsa_exception_int_div_zero 0
	.end_amdhsa_kernel
	.section	.text._ZN7rocprim17ROCPRIM_400000_NS6detail17trampoline_kernelINS0_13select_configILj256ELj13ELNS0_17block_load_methodE3ELS4_3ELS4_3ELNS0_20block_scan_algorithmE0ELj4294967295EEENS1_25partition_config_selectorILNS1_17partition_subalgoE4EjNS0_10empty_typeEbEEZZNS1_14partition_implILS8_4ELb0ES6_15HIP_vector_typeIjLj2EENS0_17counting_iteratorIjlEEPS9_SG_NS0_5tupleIJPjSI_NS0_16reverse_iteratorISI_EEEEENSH_IJSG_SG_SG_EEES9_SI_JZNS1_25segmented_radix_sort_implINS0_14default_configELb0EPK12hip_bfloat16PSP_PKlPlN2at6native12_GLOBAL__N_18offset_tEEE10hipError_tPvRmT1_PNSt15iterator_traitsIS13_E10value_typeET2_T3_PNS14_IS19_E10value_typeET4_jRbjT5_S1F_jjP12ihipStream_tbEUljE_ZNSN_ISO_Lb0ESR_SS_SU_SV_SZ_EES10_S11_S12_S13_S17_S18_S19_S1C_S1D_jS1E_jS1F_S1F_jjS1H_bEUljE0_EEES10_S11_S12_S19_S1D_S1F_T6_T7_T9_mT8_S1H_bDpT10_ENKUlT_T0_E_clISt17integral_constantIbLb0EES1V_EEDaS1Q_S1R_EUlS1Q_E_NS1_11comp_targetILNS1_3genE10ELNS1_11target_archE1200ELNS1_3gpuE4ELNS1_3repE0EEENS1_30default_config_static_selectorELNS0_4arch9wavefront6targetE0EEEvS13_,"axG",@progbits,_ZN7rocprim17ROCPRIM_400000_NS6detail17trampoline_kernelINS0_13select_configILj256ELj13ELNS0_17block_load_methodE3ELS4_3ELS4_3ELNS0_20block_scan_algorithmE0ELj4294967295EEENS1_25partition_config_selectorILNS1_17partition_subalgoE4EjNS0_10empty_typeEbEEZZNS1_14partition_implILS8_4ELb0ES6_15HIP_vector_typeIjLj2EENS0_17counting_iteratorIjlEEPS9_SG_NS0_5tupleIJPjSI_NS0_16reverse_iteratorISI_EEEEENSH_IJSG_SG_SG_EEES9_SI_JZNS1_25segmented_radix_sort_implINS0_14default_configELb0EPK12hip_bfloat16PSP_PKlPlN2at6native12_GLOBAL__N_18offset_tEEE10hipError_tPvRmT1_PNSt15iterator_traitsIS13_E10value_typeET2_T3_PNS14_IS19_E10value_typeET4_jRbjT5_S1F_jjP12ihipStream_tbEUljE_ZNSN_ISO_Lb0ESR_SS_SU_SV_SZ_EES10_S11_S12_S13_S17_S18_S19_S1C_S1D_jS1E_jS1F_S1F_jjS1H_bEUljE0_EEES10_S11_S12_S19_S1D_S1F_T6_T7_T9_mT8_S1H_bDpT10_ENKUlT_T0_E_clISt17integral_constantIbLb0EES1V_EEDaS1Q_S1R_EUlS1Q_E_NS1_11comp_targetILNS1_3genE10ELNS1_11target_archE1200ELNS1_3gpuE4ELNS1_3repE0EEENS1_30default_config_static_selectorELNS0_4arch9wavefront6targetE0EEEvS13_,comdat
.Lfunc_end1980:
	.size	_ZN7rocprim17ROCPRIM_400000_NS6detail17trampoline_kernelINS0_13select_configILj256ELj13ELNS0_17block_load_methodE3ELS4_3ELS4_3ELNS0_20block_scan_algorithmE0ELj4294967295EEENS1_25partition_config_selectorILNS1_17partition_subalgoE4EjNS0_10empty_typeEbEEZZNS1_14partition_implILS8_4ELb0ES6_15HIP_vector_typeIjLj2EENS0_17counting_iteratorIjlEEPS9_SG_NS0_5tupleIJPjSI_NS0_16reverse_iteratorISI_EEEEENSH_IJSG_SG_SG_EEES9_SI_JZNS1_25segmented_radix_sort_implINS0_14default_configELb0EPK12hip_bfloat16PSP_PKlPlN2at6native12_GLOBAL__N_18offset_tEEE10hipError_tPvRmT1_PNSt15iterator_traitsIS13_E10value_typeET2_T3_PNS14_IS19_E10value_typeET4_jRbjT5_S1F_jjP12ihipStream_tbEUljE_ZNSN_ISO_Lb0ESR_SS_SU_SV_SZ_EES10_S11_S12_S13_S17_S18_S19_S1C_S1D_jS1E_jS1F_S1F_jjS1H_bEUljE0_EEES10_S11_S12_S19_S1D_S1F_T6_T7_T9_mT8_S1H_bDpT10_ENKUlT_T0_E_clISt17integral_constantIbLb0EES1V_EEDaS1Q_S1R_EUlS1Q_E_NS1_11comp_targetILNS1_3genE10ELNS1_11target_archE1200ELNS1_3gpuE4ELNS1_3repE0EEENS1_30default_config_static_selectorELNS0_4arch9wavefront6targetE0EEEvS13_, .Lfunc_end1980-_ZN7rocprim17ROCPRIM_400000_NS6detail17trampoline_kernelINS0_13select_configILj256ELj13ELNS0_17block_load_methodE3ELS4_3ELS4_3ELNS0_20block_scan_algorithmE0ELj4294967295EEENS1_25partition_config_selectorILNS1_17partition_subalgoE4EjNS0_10empty_typeEbEEZZNS1_14partition_implILS8_4ELb0ES6_15HIP_vector_typeIjLj2EENS0_17counting_iteratorIjlEEPS9_SG_NS0_5tupleIJPjSI_NS0_16reverse_iteratorISI_EEEEENSH_IJSG_SG_SG_EEES9_SI_JZNS1_25segmented_radix_sort_implINS0_14default_configELb0EPK12hip_bfloat16PSP_PKlPlN2at6native12_GLOBAL__N_18offset_tEEE10hipError_tPvRmT1_PNSt15iterator_traitsIS13_E10value_typeET2_T3_PNS14_IS19_E10value_typeET4_jRbjT5_S1F_jjP12ihipStream_tbEUljE_ZNSN_ISO_Lb0ESR_SS_SU_SV_SZ_EES10_S11_S12_S13_S17_S18_S19_S1C_S1D_jS1E_jS1F_S1F_jjS1H_bEUljE0_EEES10_S11_S12_S19_S1D_S1F_T6_T7_T9_mT8_S1H_bDpT10_ENKUlT_T0_E_clISt17integral_constantIbLb0EES1V_EEDaS1Q_S1R_EUlS1Q_E_NS1_11comp_targetILNS1_3genE10ELNS1_11target_archE1200ELNS1_3gpuE4ELNS1_3repE0EEENS1_30default_config_static_selectorELNS0_4arch9wavefront6targetE0EEEvS13_
                                        ; -- End function
	.set _ZN7rocprim17ROCPRIM_400000_NS6detail17trampoline_kernelINS0_13select_configILj256ELj13ELNS0_17block_load_methodE3ELS4_3ELS4_3ELNS0_20block_scan_algorithmE0ELj4294967295EEENS1_25partition_config_selectorILNS1_17partition_subalgoE4EjNS0_10empty_typeEbEEZZNS1_14partition_implILS8_4ELb0ES6_15HIP_vector_typeIjLj2EENS0_17counting_iteratorIjlEEPS9_SG_NS0_5tupleIJPjSI_NS0_16reverse_iteratorISI_EEEEENSH_IJSG_SG_SG_EEES9_SI_JZNS1_25segmented_radix_sort_implINS0_14default_configELb0EPK12hip_bfloat16PSP_PKlPlN2at6native12_GLOBAL__N_18offset_tEEE10hipError_tPvRmT1_PNSt15iterator_traitsIS13_E10value_typeET2_T3_PNS14_IS19_E10value_typeET4_jRbjT5_S1F_jjP12ihipStream_tbEUljE_ZNSN_ISO_Lb0ESR_SS_SU_SV_SZ_EES10_S11_S12_S13_S17_S18_S19_S1C_S1D_jS1E_jS1F_S1F_jjS1H_bEUljE0_EEES10_S11_S12_S19_S1D_S1F_T6_T7_T9_mT8_S1H_bDpT10_ENKUlT_T0_E_clISt17integral_constantIbLb0EES1V_EEDaS1Q_S1R_EUlS1Q_E_NS1_11comp_targetILNS1_3genE10ELNS1_11target_archE1200ELNS1_3gpuE4ELNS1_3repE0EEENS1_30default_config_static_selectorELNS0_4arch9wavefront6targetE0EEEvS13_.num_vgpr, 0
	.set _ZN7rocprim17ROCPRIM_400000_NS6detail17trampoline_kernelINS0_13select_configILj256ELj13ELNS0_17block_load_methodE3ELS4_3ELS4_3ELNS0_20block_scan_algorithmE0ELj4294967295EEENS1_25partition_config_selectorILNS1_17partition_subalgoE4EjNS0_10empty_typeEbEEZZNS1_14partition_implILS8_4ELb0ES6_15HIP_vector_typeIjLj2EENS0_17counting_iteratorIjlEEPS9_SG_NS0_5tupleIJPjSI_NS0_16reverse_iteratorISI_EEEEENSH_IJSG_SG_SG_EEES9_SI_JZNS1_25segmented_radix_sort_implINS0_14default_configELb0EPK12hip_bfloat16PSP_PKlPlN2at6native12_GLOBAL__N_18offset_tEEE10hipError_tPvRmT1_PNSt15iterator_traitsIS13_E10value_typeET2_T3_PNS14_IS19_E10value_typeET4_jRbjT5_S1F_jjP12ihipStream_tbEUljE_ZNSN_ISO_Lb0ESR_SS_SU_SV_SZ_EES10_S11_S12_S13_S17_S18_S19_S1C_S1D_jS1E_jS1F_S1F_jjS1H_bEUljE0_EEES10_S11_S12_S19_S1D_S1F_T6_T7_T9_mT8_S1H_bDpT10_ENKUlT_T0_E_clISt17integral_constantIbLb0EES1V_EEDaS1Q_S1R_EUlS1Q_E_NS1_11comp_targetILNS1_3genE10ELNS1_11target_archE1200ELNS1_3gpuE4ELNS1_3repE0EEENS1_30default_config_static_selectorELNS0_4arch9wavefront6targetE0EEEvS13_.num_agpr, 0
	.set _ZN7rocprim17ROCPRIM_400000_NS6detail17trampoline_kernelINS0_13select_configILj256ELj13ELNS0_17block_load_methodE3ELS4_3ELS4_3ELNS0_20block_scan_algorithmE0ELj4294967295EEENS1_25partition_config_selectorILNS1_17partition_subalgoE4EjNS0_10empty_typeEbEEZZNS1_14partition_implILS8_4ELb0ES6_15HIP_vector_typeIjLj2EENS0_17counting_iteratorIjlEEPS9_SG_NS0_5tupleIJPjSI_NS0_16reverse_iteratorISI_EEEEENSH_IJSG_SG_SG_EEES9_SI_JZNS1_25segmented_radix_sort_implINS0_14default_configELb0EPK12hip_bfloat16PSP_PKlPlN2at6native12_GLOBAL__N_18offset_tEEE10hipError_tPvRmT1_PNSt15iterator_traitsIS13_E10value_typeET2_T3_PNS14_IS19_E10value_typeET4_jRbjT5_S1F_jjP12ihipStream_tbEUljE_ZNSN_ISO_Lb0ESR_SS_SU_SV_SZ_EES10_S11_S12_S13_S17_S18_S19_S1C_S1D_jS1E_jS1F_S1F_jjS1H_bEUljE0_EEES10_S11_S12_S19_S1D_S1F_T6_T7_T9_mT8_S1H_bDpT10_ENKUlT_T0_E_clISt17integral_constantIbLb0EES1V_EEDaS1Q_S1R_EUlS1Q_E_NS1_11comp_targetILNS1_3genE10ELNS1_11target_archE1200ELNS1_3gpuE4ELNS1_3repE0EEENS1_30default_config_static_selectorELNS0_4arch9wavefront6targetE0EEEvS13_.numbered_sgpr, 0
	.set _ZN7rocprim17ROCPRIM_400000_NS6detail17trampoline_kernelINS0_13select_configILj256ELj13ELNS0_17block_load_methodE3ELS4_3ELS4_3ELNS0_20block_scan_algorithmE0ELj4294967295EEENS1_25partition_config_selectorILNS1_17partition_subalgoE4EjNS0_10empty_typeEbEEZZNS1_14partition_implILS8_4ELb0ES6_15HIP_vector_typeIjLj2EENS0_17counting_iteratorIjlEEPS9_SG_NS0_5tupleIJPjSI_NS0_16reverse_iteratorISI_EEEEENSH_IJSG_SG_SG_EEES9_SI_JZNS1_25segmented_radix_sort_implINS0_14default_configELb0EPK12hip_bfloat16PSP_PKlPlN2at6native12_GLOBAL__N_18offset_tEEE10hipError_tPvRmT1_PNSt15iterator_traitsIS13_E10value_typeET2_T3_PNS14_IS19_E10value_typeET4_jRbjT5_S1F_jjP12ihipStream_tbEUljE_ZNSN_ISO_Lb0ESR_SS_SU_SV_SZ_EES10_S11_S12_S13_S17_S18_S19_S1C_S1D_jS1E_jS1F_S1F_jjS1H_bEUljE0_EEES10_S11_S12_S19_S1D_S1F_T6_T7_T9_mT8_S1H_bDpT10_ENKUlT_T0_E_clISt17integral_constantIbLb0EES1V_EEDaS1Q_S1R_EUlS1Q_E_NS1_11comp_targetILNS1_3genE10ELNS1_11target_archE1200ELNS1_3gpuE4ELNS1_3repE0EEENS1_30default_config_static_selectorELNS0_4arch9wavefront6targetE0EEEvS13_.num_named_barrier, 0
	.set _ZN7rocprim17ROCPRIM_400000_NS6detail17trampoline_kernelINS0_13select_configILj256ELj13ELNS0_17block_load_methodE3ELS4_3ELS4_3ELNS0_20block_scan_algorithmE0ELj4294967295EEENS1_25partition_config_selectorILNS1_17partition_subalgoE4EjNS0_10empty_typeEbEEZZNS1_14partition_implILS8_4ELb0ES6_15HIP_vector_typeIjLj2EENS0_17counting_iteratorIjlEEPS9_SG_NS0_5tupleIJPjSI_NS0_16reverse_iteratorISI_EEEEENSH_IJSG_SG_SG_EEES9_SI_JZNS1_25segmented_radix_sort_implINS0_14default_configELb0EPK12hip_bfloat16PSP_PKlPlN2at6native12_GLOBAL__N_18offset_tEEE10hipError_tPvRmT1_PNSt15iterator_traitsIS13_E10value_typeET2_T3_PNS14_IS19_E10value_typeET4_jRbjT5_S1F_jjP12ihipStream_tbEUljE_ZNSN_ISO_Lb0ESR_SS_SU_SV_SZ_EES10_S11_S12_S13_S17_S18_S19_S1C_S1D_jS1E_jS1F_S1F_jjS1H_bEUljE0_EEES10_S11_S12_S19_S1D_S1F_T6_T7_T9_mT8_S1H_bDpT10_ENKUlT_T0_E_clISt17integral_constantIbLb0EES1V_EEDaS1Q_S1R_EUlS1Q_E_NS1_11comp_targetILNS1_3genE10ELNS1_11target_archE1200ELNS1_3gpuE4ELNS1_3repE0EEENS1_30default_config_static_selectorELNS0_4arch9wavefront6targetE0EEEvS13_.private_seg_size, 0
	.set _ZN7rocprim17ROCPRIM_400000_NS6detail17trampoline_kernelINS0_13select_configILj256ELj13ELNS0_17block_load_methodE3ELS4_3ELS4_3ELNS0_20block_scan_algorithmE0ELj4294967295EEENS1_25partition_config_selectorILNS1_17partition_subalgoE4EjNS0_10empty_typeEbEEZZNS1_14partition_implILS8_4ELb0ES6_15HIP_vector_typeIjLj2EENS0_17counting_iteratorIjlEEPS9_SG_NS0_5tupleIJPjSI_NS0_16reverse_iteratorISI_EEEEENSH_IJSG_SG_SG_EEES9_SI_JZNS1_25segmented_radix_sort_implINS0_14default_configELb0EPK12hip_bfloat16PSP_PKlPlN2at6native12_GLOBAL__N_18offset_tEEE10hipError_tPvRmT1_PNSt15iterator_traitsIS13_E10value_typeET2_T3_PNS14_IS19_E10value_typeET4_jRbjT5_S1F_jjP12ihipStream_tbEUljE_ZNSN_ISO_Lb0ESR_SS_SU_SV_SZ_EES10_S11_S12_S13_S17_S18_S19_S1C_S1D_jS1E_jS1F_S1F_jjS1H_bEUljE0_EEES10_S11_S12_S19_S1D_S1F_T6_T7_T9_mT8_S1H_bDpT10_ENKUlT_T0_E_clISt17integral_constantIbLb0EES1V_EEDaS1Q_S1R_EUlS1Q_E_NS1_11comp_targetILNS1_3genE10ELNS1_11target_archE1200ELNS1_3gpuE4ELNS1_3repE0EEENS1_30default_config_static_selectorELNS0_4arch9wavefront6targetE0EEEvS13_.uses_vcc, 0
	.set _ZN7rocprim17ROCPRIM_400000_NS6detail17trampoline_kernelINS0_13select_configILj256ELj13ELNS0_17block_load_methodE3ELS4_3ELS4_3ELNS0_20block_scan_algorithmE0ELj4294967295EEENS1_25partition_config_selectorILNS1_17partition_subalgoE4EjNS0_10empty_typeEbEEZZNS1_14partition_implILS8_4ELb0ES6_15HIP_vector_typeIjLj2EENS0_17counting_iteratorIjlEEPS9_SG_NS0_5tupleIJPjSI_NS0_16reverse_iteratorISI_EEEEENSH_IJSG_SG_SG_EEES9_SI_JZNS1_25segmented_radix_sort_implINS0_14default_configELb0EPK12hip_bfloat16PSP_PKlPlN2at6native12_GLOBAL__N_18offset_tEEE10hipError_tPvRmT1_PNSt15iterator_traitsIS13_E10value_typeET2_T3_PNS14_IS19_E10value_typeET4_jRbjT5_S1F_jjP12ihipStream_tbEUljE_ZNSN_ISO_Lb0ESR_SS_SU_SV_SZ_EES10_S11_S12_S13_S17_S18_S19_S1C_S1D_jS1E_jS1F_S1F_jjS1H_bEUljE0_EEES10_S11_S12_S19_S1D_S1F_T6_T7_T9_mT8_S1H_bDpT10_ENKUlT_T0_E_clISt17integral_constantIbLb0EES1V_EEDaS1Q_S1R_EUlS1Q_E_NS1_11comp_targetILNS1_3genE10ELNS1_11target_archE1200ELNS1_3gpuE4ELNS1_3repE0EEENS1_30default_config_static_selectorELNS0_4arch9wavefront6targetE0EEEvS13_.uses_flat_scratch, 0
	.set _ZN7rocprim17ROCPRIM_400000_NS6detail17trampoline_kernelINS0_13select_configILj256ELj13ELNS0_17block_load_methodE3ELS4_3ELS4_3ELNS0_20block_scan_algorithmE0ELj4294967295EEENS1_25partition_config_selectorILNS1_17partition_subalgoE4EjNS0_10empty_typeEbEEZZNS1_14partition_implILS8_4ELb0ES6_15HIP_vector_typeIjLj2EENS0_17counting_iteratorIjlEEPS9_SG_NS0_5tupleIJPjSI_NS0_16reverse_iteratorISI_EEEEENSH_IJSG_SG_SG_EEES9_SI_JZNS1_25segmented_radix_sort_implINS0_14default_configELb0EPK12hip_bfloat16PSP_PKlPlN2at6native12_GLOBAL__N_18offset_tEEE10hipError_tPvRmT1_PNSt15iterator_traitsIS13_E10value_typeET2_T3_PNS14_IS19_E10value_typeET4_jRbjT5_S1F_jjP12ihipStream_tbEUljE_ZNSN_ISO_Lb0ESR_SS_SU_SV_SZ_EES10_S11_S12_S13_S17_S18_S19_S1C_S1D_jS1E_jS1F_S1F_jjS1H_bEUljE0_EEES10_S11_S12_S19_S1D_S1F_T6_T7_T9_mT8_S1H_bDpT10_ENKUlT_T0_E_clISt17integral_constantIbLb0EES1V_EEDaS1Q_S1R_EUlS1Q_E_NS1_11comp_targetILNS1_3genE10ELNS1_11target_archE1200ELNS1_3gpuE4ELNS1_3repE0EEENS1_30default_config_static_selectorELNS0_4arch9wavefront6targetE0EEEvS13_.has_dyn_sized_stack, 0
	.set _ZN7rocprim17ROCPRIM_400000_NS6detail17trampoline_kernelINS0_13select_configILj256ELj13ELNS0_17block_load_methodE3ELS4_3ELS4_3ELNS0_20block_scan_algorithmE0ELj4294967295EEENS1_25partition_config_selectorILNS1_17partition_subalgoE4EjNS0_10empty_typeEbEEZZNS1_14partition_implILS8_4ELb0ES6_15HIP_vector_typeIjLj2EENS0_17counting_iteratorIjlEEPS9_SG_NS0_5tupleIJPjSI_NS0_16reverse_iteratorISI_EEEEENSH_IJSG_SG_SG_EEES9_SI_JZNS1_25segmented_radix_sort_implINS0_14default_configELb0EPK12hip_bfloat16PSP_PKlPlN2at6native12_GLOBAL__N_18offset_tEEE10hipError_tPvRmT1_PNSt15iterator_traitsIS13_E10value_typeET2_T3_PNS14_IS19_E10value_typeET4_jRbjT5_S1F_jjP12ihipStream_tbEUljE_ZNSN_ISO_Lb0ESR_SS_SU_SV_SZ_EES10_S11_S12_S13_S17_S18_S19_S1C_S1D_jS1E_jS1F_S1F_jjS1H_bEUljE0_EEES10_S11_S12_S19_S1D_S1F_T6_T7_T9_mT8_S1H_bDpT10_ENKUlT_T0_E_clISt17integral_constantIbLb0EES1V_EEDaS1Q_S1R_EUlS1Q_E_NS1_11comp_targetILNS1_3genE10ELNS1_11target_archE1200ELNS1_3gpuE4ELNS1_3repE0EEENS1_30default_config_static_selectorELNS0_4arch9wavefront6targetE0EEEvS13_.has_recursion, 0
	.set _ZN7rocprim17ROCPRIM_400000_NS6detail17trampoline_kernelINS0_13select_configILj256ELj13ELNS0_17block_load_methodE3ELS4_3ELS4_3ELNS0_20block_scan_algorithmE0ELj4294967295EEENS1_25partition_config_selectorILNS1_17partition_subalgoE4EjNS0_10empty_typeEbEEZZNS1_14partition_implILS8_4ELb0ES6_15HIP_vector_typeIjLj2EENS0_17counting_iteratorIjlEEPS9_SG_NS0_5tupleIJPjSI_NS0_16reverse_iteratorISI_EEEEENSH_IJSG_SG_SG_EEES9_SI_JZNS1_25segmented_radix_sort_implINS0_14default_configELb0EPK12hip_bfloat16PSP_PKlPlN2at6native12_GLOBAL__N_18offset_tEEE10hipError_tPvRmT1_PNSt15iterator_traitsIS13_E10value_typeET2_T3_PNS14_IS19_E10value_typeET4_jRbjT5_S1F_jjP12ihipStream_tbEUljE_ZNSN_ISO_Lb0ESR_SS_SU_SV_SZ_EES10_S11_S12_S13_S17_S18_S19_S1C_S1D_jS1E_jS1F_S1F_jjS1H_bEUljE0_EEES10_S11_S12_S19_S1D_S1F_T6_T7_T9_mT8_S1H_bDpT10_ENKUlT_T0_E_clISt17integral_constantIbLb0EES1V_EEDaS1Q_S1R_EUlS1Q_E_NS1_11comp_targetILNS1_3genE10ELNS1_11target_archE1200ELNS1_3gpuE4ELNS1_3repE0EEENS1_30default_config_static_selectorELNS0_4arch9wavefront6targetE0EEEvS13_.has_indirect_call, 0
	.section	.AMDGPU.csdata,"",@progbits
; Kernel info:
; codeLenInByte = 0
; TotalNumSgprs: 0
; NumVgprs: 0
; ScratchSize: 0
; MemoryBound: 0
; FloatMode: 240
; IeeeMode: 1
; LDSByteSize: 0 bytes/workgroup (compile time only)
; SGPRBlocks: 0
; VGPRBlocks: 0
; NumSGPRsForWavesPerEU: 1
; NumVGPRsForWavesPerEU: 1
; Occupancy: 16
; WaveLimiterHint : 0
; COMPUTE_PGM_RSRC2:SCRATCH_EN: 0
; COMPUTE_PGM_RSRC2:USER_SGPR: 6
; COMPUTE_PGM_RSRC2:TRAP_HANDLER: 0
; COMPUTE_PGM_RSRC2:TGID_X_EN: 1
; COMPUTE_PGM_RSRC2:TGID_Y_EN: 0
; COMPUTE_PGM_RSRC2:TGID_Z_EN: 0
; COMPUTE_PGM_RSRC2:TIDIG_COMP_CNT: 0
	.section	.text._ZN7rocprim17ROCPRIM_400000_NS6detail17trampoline_kernelINS0_13select_configILj256ELj13ELNS0_17block_load_methodE3ELS4_3ELS4_3ELNS0_20block_scan_algorithmE0ELj4294967295EEENS1_25partition_config_selectorILNS1_17partition_subalgoE4EjNS0_10empty_typeEbEEZZNS1_14partition_implILS8_4ELb0ES6_15HIP_vector_typeIjLj2EENS0_17counting_iteratorIjlEEPS9_SG_NS0_5tupleIJPjSI_NS0_16reverse_iteratorISI_EEEEENSH_IJSG_SG_SG_EEES9_SI_JZNS1_25segmented_radix_sort_implINS0_14default_configELb0EPK12hip_bfloat16PSP_PKlPlN2at6native12_GLOBAL__N_18offset_tEEE10hipError_tPvRmT1_PNSt15iterator_traitsIS13_E10value_typeET2_T3_PNS14_IS19_E10value_typeET4_jRbjT5_S1F_jjP12ihipStream_tbEUljE_ZNSN_ISO_Lb0ESR_SS_SU_SV_SZ_EES10_S11_S12_S13_S17_S18_S19_S1C_S1D_jS1E_jS1F_S1F_jjS1H_bEUljE0_EEES10_S11_S12_S19_S1D_S1F_T6_T7_T9_mT8_S1H_bDpT10_ENKUlT_T0_E_clISt17integral_constantIbLb0EES1V_EEDaS1Q_S1R_EUlS1Q_E_NS1_11comp_targetILNS1_3genE9ELNS1_11target_archE1100ELNS1_3gpuE3ELNS1_3repE0EEENS1_30default_config_static_selectorELNS0_4arch9wavefront6targetE0EEEvS13_,"axG",@progbits,_ZN7rocprim17ROCPRIM_400000_NS6detail17trampoline_kernelINS0_13select_configILj256ELj13ELNS0_17block_load_methodE3ELS4_3ELS4_3ELNS0_20block_scan_algorithmE0ELj4294967295EEENS1_25partition_config_selectorILNS1_17partition_subalgoE4EjNS0_10empty_typeEbEEZZNS1_14partition_implILS8_4ELb0ES6_15HIP_vector_typeIjLj2EENS0_17counting_iteratorIjlEEPS9_SG_NS0_5tupleIJPjSI_NS0_16reverse_iteratorISI_EEEEENSH_IJSG_SG_SG_EEES9_SI_JZNS1_25segmented_radix_sort_implINS0_14default_configELb0EPK12hip_bfloat16PSP_PKlPlN2at6native12_GLOBAL__N_18offset_tEEE10hipError_tPvRmT1_PNSt15iterator_traitsIS13_E10value_typeET2_T3_PNS14_IS19_E10value_typeET4_jRbjT5_S1F_jjP12ihipStream_tbEUljE_ZNSN_ISO_Lb0ESR_SS_SU_SV_SZ_EES10_S11_S12_S13_S17_S18_S19_S1C_S1D_jS1E_jS1F_S1F_jjS1H_bEUljE0_EEES10_S11_S12_S19_S1D_S1F_T6_T7_T9_mT8_S1H_bDpT10_ENKUlT_T0_E_clISt17integral_constantIbLb0EES1V_EEDaS1Q_S1R_EUlS1Q_E_NS1_11comp_targetILNS1_3genE9ELNS1_11target_archE1100ELNS1_3gpuE3ELNS1_3repE0EEENS1_30default_config_static_selectorELNS0_4arch9wavefront6targetE0EEEvS13_,comdat
	.globl	_ZN7rocprim17ROCPRIM_400000_NS6detail17trampoline_kernelINS0_13select_configILj256ELj13ELNS0_17block_load_methodE3ELS4_3ELS4_3ELNS0_20block_scan_algorithmE0ELj4294967295EEENS1_25partition_config_selectorILNS1_17partition_subalgoE4EjNS0_10empty_typeEbEEZZNS1_14partition_implILS8_4ELb0ES6_15HIP_vector_typeIjLj2EENS0_17counting_iteratorIjlEEPS9_SG_NS0_5tupleIJPjSI_NS0_16reverse_iteratorISI_EEEEENSH_IJSG_SG_SG_EEES9_SI_JZNS1_25segmented_radix_sort_implINS0_14default_configELb0EPK12hip_bfloat16PSP_PKlPlN2at6native12_GLOBAL__N_18offset_tEEE10hipError_tPvRmT1_PNSt15iterator_traitsIS13_E10value_typeET2_T3_PNS14_IS19_E10value_typeET4_jRbjT5_S1F_jjP12ihipStream_tbEUljE_ZNSN_ISO_Lb0ESR_SS_SU_SV_SZ_EES10_S11_S12_S13_S17_S18_S19_S1C_S1D_jS1E_jS1F_S1F_jjS1H_bEUljE0_EEES10_S11_S12_S19_S1D_S1F_T6_T7_T9_mT8_S1H_bDpT10_ENKUlT_T0_E_clISt17integral_constantIbLb0EES1V_EEDaS1Q_S1R_EUlS1Q_E_NS1_11comp_targetILNS1_3genE9ELNS1_11target_archE1100ELNS1_3gpuE3ELNS1_3repE0EEENS1_30default_config_static_selectorELNS0_4arch9wavefront6targetE0EEEvS13_ ; -- Begin function _ZN7rocprim17ROCPRIM_400000_NS6detail17trampoline_kernelINS0_13select_configILj256ELj13ELNS0_17block_load_methodE3ELS4_3ELS4_3ELNS0_20block_scan_algorithmE0ELj4294967295EEENS1_25partition_config_selectorILNS1_17partition_subalgoE4EjNS0_10empty_typeEbEEZZNS1_14partition_implILS8_4ELb0ES6_15HIP_vector_typeIjLj2EENS0_17counting_iteratorIjlEEPS9_SG_NS0_5tupleIJPjSI_NS0_16reverse_iteratorISI_EEEEENSH_IJSG_SG_SG_EEES9_SI_JZNS1_25segmented_radix_sort_implINS0_14default_configELb0EPK12hip_bfloat16PSP_PKlPlN2at6native12_GLOBAL__N_18offset_tEEE10hipError_tPvRmT1_PNSt15iterator_traitsIS13_E10value_typeET2_T3_PNS14_IS19_E10value_typeET4_jRbjT5_S1F_jjP12ihipStream_tbEUljE_ZNSN_ISO_Lb0ESR_SS_SU_SV_SZ_EES10_S11_S12_S13_S17_S18_S19_S1C_S1D_jS1E_jS1F_S1F_jjS1H_bEUljE0_EEES10_S11_S12_S19_S1D_S1F_T6_T7_T9_mT8_S1H_bDpT10_ENKUlT_T0_E_clISt17integral_constantIbLb0EES1V_EEDaS1Q_S1R_EUlS1Q_E_NS1_11comp_targetILNS1_3genE9ELNS1_11target_archE1100ELNS1_3gpuE3ELNS1_3repE0EEENS1_30default_config_static_selectorELNS0_4arch9wavefront6targetE0EEEvS13_
	.p2align	8
	.type	_ZN7rocprim17ROCPRIM_400000_NS6detail17trampoline_kernelINS0_13select_configILj256ELj13ELNS0_17block_load_methodE3ELS4_3ELS4_3ELNS0_20block_scan_algorithmE0ELj4294967295EEENS1_25partition_config_selectorILNS1_17partition_subalgoE4EjNS0_10empty_typeEbEEZZNS1_14partition_implILS8_4ELb0ES6_15HIP_vector_typeIjLj2EENS0_17counting_iteratorIjlEEPS9_SG_NS0_5tupleIJPjSI_NS0_16reverse_iteratorISI_EEEEENSH_IJSG_SG_SG_EEES9_SI_JZNS1_25segmented_radix_sort_implINS0_14default_configELb0EPK12hip_bfloat16PSP_PKlPlN2at6native12_GLOBAL__N_18offset_tEEE10hipError_tPvRmT1_PNSt15iterator_traitsIS13_E10value_typeET2_T3_PNS14_IS19_E10value_typeET4_jRbjT5_S1F_jjP12ihipStream_tbEUljE_ZNSN_ISO_Lb0ESR_SS_SU_SV_SZ_EES10_S11_S12_S13_S17_S18_S19_S1C_S1D_jS1E_jS1F_S1F_jjS1H_bEUljE0_EEES10_S11_S12_S19_S1D_S1F_T6_T7_T9_mT8_S1H_bDpT10_ENKUlT_T0_E_clISt17integral_constantIbLb0EES1V_EEDaS1Q_S1R_EUlS1Q_E_NS1_11comp_targetILNS1_3genE9ELNS1_11target_archE1100ELNS1_3gpuE3ELNS1_3repE0EEENS1_30default_config_static_selectorELNS0_4arch9wavefront6targetE0EEEvS13_,@function
_ZN7rocprim17ROCPRIM_400000_NS6detail17trampoline_kernelINS0_13select_configILj256ELj13ELNS0_17block_load_methodE3ELS4_3ELS4_3ELNS0_20block_scan_algorithmE0ELj4294967295EEENS1_25partition_config_selectorILNS1_17partition_subalgoE4EjNS0_10empty_typeEbEEZZNS1_14partition_implILS8_4ELb0ES6_15HIP_vector_typeIjLj2EENS0_17counting_iteratorIjlEEPS9_SG_NS0_5tupleIJPjSI_NS0_16reverse_iteratorISI_EEEEENSH_IJSG_SG_SG_EEES9_SI_JZNS1_25segmented_radix_sort_implINS0_14default_configELb0EPK12hip_bfloat16PSP_PKlPlN2at6native12_GLOBAL__N_18offset_tEEE10hipError_tPvRmT1_PNSt15iterator_traitsIS13_E10value_typeET2_T3_PNS14_IS19_E10value_typeET4_jRbjT5_S1F_jjP12ihipStream_tbEUljE_ZNSN_ISO_Lb0ESR_SS_SU_SV_SZ_EES10_S11_S12_S13_S17_S18_S19_S1C_S1D_jS1E_jS1F_S1F_jjS1H_bEUljE0_EEES10_S11_S12_S19_S1D_S1F_T6_T7_T9_mT8_S1H_bDpT10_ENKUlT_T0_E_clISt17integral_constantIbLb0EES1V_EEDaS1Q_S1R_EUlS1Q_E_NS1_11comp_targetILNS1_3genE9ELNS1_11target_archE1100ELNS1_3gpuE3ELNS1_3repE0EEENS1_30default_config_static_selectorELNS0_4arch9wavefront6targetE0EEEvS13_: ; @_ZN7rocprim17ROCPRIM_400000_NS6detail17trampoline_kernelINS0_13select_configILj256ELj13ELNS0_17block_load_methodE3ELS4_3ELS4_3ELNS0_20block_scan_algorithmE0ELj4294967295EEENS1_25partition_config_selectorILNS1_17partition_subalgoE4EjNS0_10empty_typeEbEEZZNS1_14partition_implILS8_4ELb0ES6_15HIP_vector_typeIjLj2EENS0_17counting_iteratorIjlEEPS9_SG_NS0_5tupleIJPjSI_NS0_16reverse_iteratorISI_EEEEENSH_IJSG_SG_SG_EEES9_SI_JZNS1_25segmented_radix_sort_implINS0_14default_configELb0EPK12hip_bfloat16PSP_PKlPlN2at6native12_GLOBAL__N_18offset_tEEE10hipError_tPvRmT1_PNSt15iterator_traitsIS13_E10value_typeET2_T3_PNS14_IS19_E10value_typeET4_jRbjT5_S1F_jjP12ihipStream_tbEUljE_ZNSN_ISO_Lb0ESR_SS_SU_SV_SZ_EES10_S11_S12_S13_S17_S18_S19_S1C_S1D_jS1E_jS1F_S1F_jjS1H_bEUljE0_EEES10_S11_S12_S19_S1D_S1F_T6_T7_T9_mT8_S1H_bDpT10_ENKUlT_T0_E_clISt17integral_constantIbLb0EES1V_EEDaS1Q_S1R_EUlS1Q_E_NS1_11comp_targetILNS1_3genE9ELNS1_11target_archE1100ELNS1_3gpuE3ELNS1_3repE0EEENS1_30default_config_static_selectorELNS0_4arch9wavefront6targetE0EEEvS13_
; %bb.0:
	.section	.rodata,"a",@progbits
	.p2align	6, 0x0
	.amdhsa_kernel _ZN7rocprim17ROCPRIM_400000_NS6detail17trampoline_kernelINS0_13select_configILj256ELj13ELNS0_17block_load_methodE3ELS4_3ELS4_3ELNS0_20block_scan_algorithmE0ELj4294967295EEENS1_25partition_config_selectorILNS1_17partition_subalgoE4EjNS0_10empty_typeEbEEZZNS1_14partition_implILS8_4ELb0ES6_15HIP_vector_typeIjLj2EENS0_17counting_iteratorIjlEEPS9_SG_NS0_5tupleIJPjSI_NS0_16reverse_iteratorISI_EEEEENSH_IJSG_SG_SG_EEES9_SI_JZNS1_25segmented_radix_sort_implINS0_14default_configELb0EPK12hip_bfloat16PSP_PKlPlN2at6native12_GLOBAL__N_18offset_tEEE10hipError_tPvRmT1_PNSt15iterator_traitsIS13_E10value_typeET2_T3_PNS14_IS19_E10value_typeET4_jRbjT5_S1F_jjP12ihipStream_tbEUljE_ZNSN_ISO_Lb0ESR_SS_SU_SV_SZ_EES10_S11_S12_S13_S17_S18_S19_S1C_S1D_jS1E_jS1F_S1F_jjS1H_bEUljE0_EEES10_S11_S12_S19_S1D_S1F_T6_T7_T9_mT8_S1H_bDpT10_ENKUlT_T0_E_clISt17integral_constantIbLb0EES1V_EEDaS1Q_S1R_EUlS1Q_E_NS1_11comp_targetILNS1_3genE9ELNS1_11target_archE1100ELNS1_3gpuE3ELNS1_3repE0EEENS1_30default_config_static_selectorELNS0_4arch9wavefront6targetE0EEEvS13_
		.amdhsa_group_segment_fixed_size 0
		.amdhsa_private_segment_fixed_size 0
		.amdhsa_kernarg_size 176
		.amdhsa_user_sgpr_count 6
		.amdhsa_user_sgpr_private_segment_buffer 1
		.amdhsa_user_sgpr_dispatch_ptr 0
		.amdhsa_user_sgpr_queue_ptr 0
		.amdhsa_user_sgpr_kernarg_segment_ptr 1
		.amdhsa_user_sgpr_dispatch_id 0
		.amdhsa_user_sgpr_flat_scratch_init 0
		.amdhsa_user_sgpr_private_segment_size 0
		.amdhsa_wavefront_size32 1
		.amdhsa_uses_dynamic_stack 0
		.amdhsa_system_sgpr_private_segment_wavefront_offset 0
		.amdhsa_system_sgpr_workgroup_id_x 1
		.amdhsa_system_sgpr_workgroup_id_y 0
		.amdhsa_system_sgpr_workgroup_id_z 0
		.amdhsa_system_sgpr_workgroup_info 0
		.amdhsa_system_vgpr_workitem_id 0
		.amdhsa_next_free_vgpr 1
		.amdhsa_next_free_sgpr 1
		.amdhsa_reserve_vcc 0
		.amdhsa_reserve_flat_scratch 0
		.amdhsa_float_round_mode_32 0
		.amdhsa_float_round_mode_16_64 0
		.amdhsa_float_denorm_mode_32 3
		.amdhsa_float_denorm_mode_16_64 3
		.amdhsa_dx10_clamp 1
		.amdhsa_ieee_mode 1
		.amdhsa_fp16_overflow 0
		.amdhsa_workgroup_processor_mode 1
		.amdhsa_memory_ordered 1
		.amdhsa_forward_progress 1
		.amdhsa_shared_vgpr_count 0
		.amdhsa_exception_fp_ieee_invalid_op 0
		.amdhsa_exception_fp_denorm_src 0
		.amdhsa_exception_fp_ieee_div_zero 0
		.amdhsa_exception_fp_ieee_overflow 0
		.amdhsa_exception_fp_ieee_underflow 0
		.amdhsa_exception_fp_ieee_inexact 0
		.amdhsa_exception_int_div_zero 0
	.end_amdhsa_kernel
	.section	.text._ZN7rocprim17ROCPRIM_400000_NS6detail17trampoline_kernelINS0_13select_configILj256ELj13ELNS0_17block_load_methodE3ELS4_3ELS4_3ELNS0_20block_scan_algorithmE0ELj4294967295EEENS1_25partition_config_selectorILNS1_17partition_subalgoE4EjNS0_10empty_typeEbEEZZNS1_14partition_implILS8_4ELb0ES6_15HIP_vector_typeIjLj2EENS0_17counting_iteratorIjlEEPS9_SG_NS0_5tupleIJPjSI_NS0_16reverse_iteratorISI_EEEEENSH_IJSG_SG_SG_EEES9_SI_JZNS1_25segmented_radix_sort_implINS0_14default_configELb0EPK12hip_bfloat16PSP_PKlPlN2at6native12_GLOBAL__N_18offset_tEEE10hipError_tPvRmT1_PNSt15iterator_traitsIS13_E10value_typeET2_T3_PNS14_IS19_E10value_typeET4_jRbjT5_S1F_jjP12ihipStream_tbEUljE_ZNSN_ISO_Lb0ESR_SS_SU_SV_SZ_EES10_S11_S12_S13_S17_S18_S19_S1C_S1D_jS1E_jS1F_S1F_jjS1H_bEUljE0_EEES10_S11_S12_S19_S1D_S1F_T6_T7_T9_mT8_S1H_bDpT10_ENKUlT_T0_E_clISt17integral_constantIbLb0EES1V_EEDaS1Q_S1R_EUlS1Q_E_NS1_11comp_targetILNS1_3genE9ELNS1_11target_archE1100ELNS1_3gpuE3ELNS1_3repE0EEENS1_30default_config_static_selectorELNS0_4arch9wavefront6targetE0EEEvS13_,"axG",@progbits,_ZN7rocprim17ROCPRIM_400000_NS6detail17trampoline_kernelINS0_13select_configILj256ELj13ELNS0_17block_load_methodE3ELS4_3ELS4_3ELNS0_20block_scan_algorithmE0ELj4294967295EEENS1_25partition_config_selectorILNS1_17partition_subalgoE4EjNS0_10empty_typeEbEEZZNS1_14partition_implILS8_4ELb0ES6_15HIP_vector_typeIjLj2EENS0_17counting_iteratorIjlEEPS9_SG_NS0_5tupleIJPjSI_NS0_16reverse_iteratorISI_EEEEENSH_IJSG_SG_SG_EEES9_SI_JZNS1_25segmented_radix_sort_implINS0_14default_configELb0EPK12hip_bfloat16PSP_PKlPlN2at6native12_GLOBAL__N_18offset_tEEE10hipError_tPvRmT1_PNSt15iterator_traitsIS13_E10value_typeET2_T3_PNS14_IS19_E10value_typeET4_jRbjT5_S1F_jjP12ihipStream_tbEUljE_ZNSN_ISO_Lb0ESR_SS_SU_SV_SZ_EES10_S11_S12_S13_S17_S18_S19_S1C_S1D_jS1E_jS1F_S1F_jjS1H_bEUljE0_EEES10_S11_S12_S19_S1D_S1F_T6_T7_T9_mT8_S1H_bDpT10_ENKUlT_T0_E_clISt17integral_constantIbLb0EES1V_EEDaS1Q_S1R_EUlS1Q_E_NS1_11comp_targetILNS1_3genE9ELNS1_11target_archE1100ELNS1_3gpuE3ELNS1_3repE0EEENS1_30default_config_static_selectorELNS0_4arch9wavefront6targetE0EEEvS13_,comdat
.Lfunc_end1981:
	.size	_ZN7rocprim17ROCPRIM_400000_NS6detail17trampoline_kernelINS0_13select_configILj256ELj13ELNS0_17block_load_methodE3ELS4_3ELS4_3ELNS0_20block_scan_algorithmE0ELj4294967295EEENS1_25partition_config_selectorILNS1_17partition_subalgoE4EjNS0_10empty_typeEbEEZZNS1_14partition_implILS8_4ELb0ES6_15HIP_vector_typeIjLj2EENS0_17counting_iteratorIjlEEPS9_SG_NS0_5tupleIJPjSI_NS0_16reverse_iteratorISI_EEEEENSH_IJSG_SG_SG_EEES9_SI_JZNS1_25segmented_radix_sort_implINS0_14default_configELb0EPK12hip_bfloat16PSP_PKlPlN2at6native12_GLOBAL__N_18offset_tEEE10hipError_tPvRmT1_PNSt15iterator_traitsIS13_E10value_typeET2_T3_PNS14_IS19_E10value_typeET4_jRbjT5_S1F_jjP12ihipStream_tbEUljE_ZNSN_ISO_Lb0ESR_SS_SU_SV_SZ_EES10_S11_S12_S13_S17_S18_S19_S1C_S1D_jS1E_jS1F_S1F_jjS1H_bEUljE0_EEES10_S11_S12_S19_S1D_S1F_T6_T7_T9_mT8_S1H_bDpT10_ENKUlT_T0_E_clISt17integral_constantIbLb0EES1V_EEDaS1Q_S1R_EUlS1Q_E_NS1_11comp_targetILNS1_3genE9ELNS1_11target_archE1100ELNS1_3gpuE3ELNS1_3repE0EEENS1_30default_config_static_selectorELNS0_4arch9wavefront6targetE0EEEvS13_, .Lfunc_end1981-_ZN7rocprim17ROCPRIM_400000_NS6detail17trampoline_kernelINS0_13select_configILj256ELj13ELNS0_17block_load_methodE3ELS4_3ELS4_3ELNS0_20block_scan_algorithmE0ELj4294967295EEENS1_25partition_config_selectorILNS1_17partition_subalgoE4EjNS0_10empty_typeEbEEZZNS1_14partition_implILS8_4ELb0ES6_15HIP_vector_typeIjLj2EENS0_17counting_iteratorIjlEEPS9_SG_NS0_5tupleIJPjSI_NS0_16reverse_iteratorISI_EEEEENSH_IJSG_SG_SG_EEES9_SI_JZNS1_25segmented_radix_sort_implINS0_14default_configELb0EPK12hip_bfloat16PSP_PKlPlN2at6native12_GLOBAL__N_18offset_tEEE10hipError_tPvRmT1_PNSt15iterator_traitsIS13_E10value_typeET2_T3_PNS14_IS19_E10value_typeET4_jRbjT5_S1F_jjP12ihipStream_tbEUljE_ZNSN_ISO_Lb0ESR_SS_SU_SV_SZ_EES10_S11_S12_S13_S17_S18_S19_S1C_S1D_jS1E_jS1F_S1F_jjS1H_bEUljE0_EEES10_S11_S12_S19_S1D_S1F_T6_T7_T9_mT8_S1H_bDpT10_ENKUlT_T0_E_clISt17integral_constantIbLb0EES1V_EEDaS1Q_S1R_EUlS1Q_E_NS1_11comp_targetILNS1_3genE9ELNS1_11target_archE1100ELNS1_3gpuE3ELNS1_3repE0EEENS1_30default_config_static_selectorELNS0_4arch9wavefront6targetE0EEEvS13_
                                        ; -- End function
	.set _ZN7rocprim17ROCPRIM_400000_NS6detail17trampoline_kernelINS0_13select_configILj256ELj13ELNS0_17block_load_methodE3ELS4_3ELS4_3ELNS0_20block_scan_algorithmE0ELj4294967295EEENS1_25partition_config_selectorILNS1_17partition_subalgoE4EjNS0_10empty_typeEbEEZZNS1_14partition_implILS8_4ELb0ES6_15HIP_vector_typeIjLj2EENS0_17counting_iteratorIjlEEPS9_SG_NS0_5tupleIJPjSI_NS0_16reverse_iteratorISI_EEEEENSH_IJSG_SG_SG_EEES9_SI_JZNS1_25segmented_radix_sort_implINS0_14default_configELb0EPK12hip_bfloat16PSP_PKlPlN2at6native12_GLOBAL__N_18offset_tEEE10hipError_tPvRmT1_PNSt15iterator_traitsIS13_E10value_typeET2_T3_PNS14_IS19_E10value_typeET4_jRbjT5_S1F_jjP12ihipStream_tbEUljE_ZNSN_ISO_Lb0ESR_SS_SU_SV_SZ_EES10_S11_S12_S13_S17_S18_S19_S1C_S1D_jS1E_jS1F_S1F_jjS1H_bEUljE0_EEES10_S11_S12_S19_S1D_S1F_T6_T7_T9_mT8_S1H_bDpT10_ENKUlT_T0_E_clISt17integral_constantIbLb0EES1V_EEDaS1Q_S1R_EUlS1Q_E_NS1_11comp_targetILNS1_3genE9ELNS1_11target_archE1100ELNS1_3gpuE3ELNS1_3repE0EEENS1_30default_config_static_selectorELNS0_4arch9wavefront6targetE0EEEvS13_.num_vgpr, 0
	.set _ZN7rocprim17ROCPRIM_400000_NS6detail17trampoline_kernelINS0_13select_configILj256ELj13ELNS0_17block_load_methodE3ELS4_3ELS4_3ELNS0_20block_scan_algorithmE0ELj4294967295EEENS1_25partition_config_selectorILNS1_17partition_subalgoE4EjNS0_10empty_typeEbEEZZNS1_14partition_implILS8_4ELb0ES6_15HIP_vector_typeIjLj2EENS0_17counting_iteratorIjlEEPS9_SG_NS0_5tupleIJPjSI_NS0_16reverse_iteratorISI_EEEEENSH_IJSG_SG_SG_EEES9_SI_JZNS1_25segmented_radix_sort_implINS0_14default_configELb0EPK12hip_bfloat16PSP_PKlPlN2at6native12_GLOBAL__N_18offset_tEEE10hipError_tPvRmT1_PNSt15iterator_traitsIS13_E10value_typeET2_T3_PNS14_IS19_E10value_typeET4_jRbjT5_S1F_jjP12ihipStream_tbEUljE_ZNSN_ISO_Lb0ESR_SS_SU_SV_SZ_EES10_S11_S12_S13_S17_S18_S19_S1C_S1D_jS1E_jS1F_S1F_jjS1H_bEUljE0_EEES10_S11_S12_S19_S1D_S1F_T6_T7_T9_mT8_S1H_bDpT10_ENKUlT_T0_E_clISt17integral_constantIbLb0EES1V_EEDaS1Q_S1R_EUlS1Q_E_NS1_11comp_targetILNS1_3genE9ELNS1_11target_archE1100ELNS1_3gpuE3ELNS1_3repE0EEENS1_30default_config_static_selectorELNS0_4arch9wavefront6targetE0EEEvS13_.num_agpr, 0
	.set _ZN7rocprim17ROCPRIM_400000_NS6detail17trampoline_kernelINS0_13select_configILj256ELj13ELNS0_17block_load_methodE3ELS4_3ELS4_3ELNS0_20block_scan_algorithmE0ELj4294967295EEENS1_25partition_config_selectorILNS1_17partition_subalgoE4EjNS0_10empty_typeEbEEZZNS1_14partition_implILS8_4ELb0ES6_15HIP_vector_typeIjLj2EENS0_17counting_iteratorIjlEEPS9_SG_NS0_5tupleIJPjSI_NS0_16reverse_iteratorISI_EEEEENSH_IJSG_SG_SG_EEES9_SI_JZNS1_25segmented_radix_sort_implINS0_14default_configELb0EPK12hip_bfloat16PSP_PKlPlN2at6native12_GLOBAL__N_18offset_tEEE10hipError_tPvRmT1_PNSt15iterator_traitsIS13_E10value_typeET2_T3_PNS14_IS19_E10value_typeET4_jRbjT5_S1F_jjP12ihipStream_tbEUljE_ZNSN_ISO_Lb0ESR_SS_SU_SV_SZ_EES10_S11_S12_S13_S17_S18_S19_S1C_S1D_jS1E_jS1F_S1F_jjS1H_bEUljE0_EEES10_S11_S12_S19_S1D_S1F_T6_T7_T9_mT8_S1H_bDpT10_ENKUlT_T0_E_clISt17integral_constantIbLb0EES1V_EEDaS1Q_S1R_EUlS1Q_E_NS1_11comp_targetILNS1_3genE9ELNS1_11target_archE1100ELNS1_3gpuE3ELNS1_3repE0EEENS1_30default_config_static_selectorELNS0_4arch9wavefront6targetE0EEEvS13_.numbered_sgpr, 0
	.set _ZN7rocprim17ROCPRIM_400000_NS6detail17trampoline_kernelINS0_13select_configILj256ELj13ELNS0_17block_load_methodE3ELS4_3ELS4_3ELNS0_20block_scan_algorithmE0ELj4294967295EEENS1_25partition_config_selectorILNS1_17partition_subalgoE4EjNS0_10empty_typeEbEEZZNS1_14partition_implILS8_4ELb0ES6_15HIP_vector_typeIjLj2EENS0_17counting_iteratorIjlEEPS9_SG_NS0_5tupleIJPjSI_NS0_16reverse_iteratorISI_EEEEENSH_IJSG_SG_SG_EEES9_SI_JZNS1_25segmented_radix_sort_implINS0_14default_configELb0EPK12hip_bfloat16PSP_PKlPlN2at6native12_GLOBAL__N_18offset_tEEE10hipError_tPvRmT1_PNSt15iterator_traitsIS13_E10value_typeET2_T3_PNS14_IS19_E10value_typeET4_jRbjT5_S1F_jjP12ihipStream_tbEUljE_ZNSN_ISO_Lb0ESR_SS_SU_SV_SZ_EES10_S11_S12_S13_S17_S18_S19_S1C_S1D_jS1E_jS1F_S1F_jjS1H_bEUljE0_EEES10_S11_S12_S19_S1D_S1F_T6_T7_T9_mT8_S1H_bDpT10_ENKUlT_T0_E_clISt17integral_constantIbLb0EES1V_EEDaS1Q_S1R_EUlS1Q_E_NS1_11comp_targetILNS1_3genE9ELNS1_11target_archE1100ELNS1_3gpuE3ELNS1_3repE0EEENS1_30default_config_static_selectorELNS0_4arch9wavefront6targetE0EEEvS13_.num_named_barrier, 0
	.set _ZN7rocprim17ROCPRIM_400000_NS6detail17trampoline_kernelINS0_13select_configILj256ELj13ELNS0_17block_load_methodE3ELS4_3ELS4_3ELNS0_20block_scan_algorithmE0ELj4294967295EEENS1_25partition_config_selectorILNS1_17partition_subalgoE4EjNS0_10empty_typeEbEEZZNS1_14partition_implILS8_4ELb0ES6_15HIP_vector_typeIjLj2EENS0_17counting_iteratorIjlEEPS9_SG_NS0_5tupleIJPjSI_NS0_16reverse_iteratorISI_EEEEENSH_IJSG_SG_SG_EEES9_SI_JZNS1_25segmented_radix_sort_implINS0_14default_configELb0EPK12hip_bfloat16PSP_PKlPlN2at6native12_GLOBAL__N_18offset_tEEE10hipError_tPvRmT1_PNSt15iterator_traitsIS13_E10value_typeET2_T3_PNS14_IS19_E10value_typeET4_jRbjT5_S1F_jjP12ihipStream_tbEUljE_ZNSN_ISO_Lb0ESR_SS_SU_SV_SZ_EES10_S11_S12_S13_S17_S18_S19_S1C_S1D_jS1E_jS1F_S1F_jjS1H_bEUljE0_EEES10_S11_S12_S19_S1D_S1F_T6_T7_T9_mT8_S1H_bDpT10_ENKUlT_T0_E_clISt17integral_constantIbLb0EES1V_EEDaS1Q_S1R_EUlS1Q_E_NS1_11comp_targetILNS1_3genE9ELNS1_11target_archE1100ELNS1_3gpuE3ELNS1_3repE0EEENS1_30default_config_static_selectorELNS0_4arch9wavefront6targetE0EEEvS13_.private_seg_size, 0
	.set _ZN7rocprim17ROCPRIM_400000_NS6detail17trampoline_kernelINS0_13select_configILj256ELj13ELNS0_17block_load_methodE3ELS4_3ELS4_3ELNS0_20block_scan_algorithmE0ELj4294967295EEENS1_25partition_config_selectorILNS1_17partition_subalgoE4EjNS0_10empty_typeEbEEZZNS1_14partition_implILS8_4ELb0ES6_15HIP_vector_typeIjLj2EENS0_17counting_iteratorIjlEEPS9_SG_NS0_5tupleIJPjSI_NS0_16reverse_iteratorISI_EEEEENSH_IJSG_SG_SG_EEES9_SI_JZNS1_25segmented_radix_sort_implINS0_14default_configELb0EPK12hip_bfloat16PSP_PKlPlN2at6native12_GLOBAL__N_18offset_tEEE10hipError_tPvRmT1_PNSt15iterator_traitsIS13_E10value_typeET2_T3_PNS14_IS19_E10value_typeET4_jRbjT5_S1F_jjP12ihipStream_tbEUljE_ZNSN_ISO_Lb0ESR_SS_SU_SV_SZ_EES10_S11_S12_S13_S17_S18_S19_S1C_S1D_jS1E_jS1F_S1F_jjS1H_bEUljE0_EEES10_S11_S12_S19_S1D_S1F_T6_T7_T9_mT8_S1H_bDpT10_ENKUlT_T0_E_clISt17integral_constantIbLb0EES1V_EEDaS1Q_S1R_EUlS1Q_E_NS1_11comp_targetILNS1_3genE9ELNS1_11target_archE1100ELNS1_3gpuE3ELNS1_3repE0EEENS1_30default_config_static_selectorELNS0_4arch9wavefront6targetE0EEEvS13_.uses_vcc, 0
	.set _ZN7rocprim17ROCPRIM_400000_NS6detail17trampoline_kernelINS0_13select_configILj256ELj13ELNS0_17block_load_methodE3ELS4_3ELS4_3ELNS0_20block_scan_algorithmE0ELj4294967295EEENS1_25partition_config_selectorILNS1_17partition_subalgoE4EjNS0_10empty_typeEbEEZZNS1_14partition_implILS8_4ELb0ES6_15HIP_vector_typeIjLj2EENS0_17counting_iteratorIjlEEPS9_SG_NS0_5tupleIJPjSI_NS0_16reverse_iteratorISI_EEEEENSH_IJSG_SG_SG_EEES9_SI_JZNS1_25segmented_radix_sort_implINS0_14default_configELb0EPK12hip_bfloat16PSP_PKlPlN2at6native12_GLOBAL__N_18offset_tEEE10hipError_tPvRmT1_PNSt15iterator_traitsIS13_E10value_typeET2_T3_PNS14_IS19_E10value_typeET4_jRbjT5_S1F_jjP12ihipStream_tbEUljE_ZNSN_ISO_Lb0ESR_SS_SU_SV_SZ_EES10_S11_S12_S13_S17_S18_S19_S1C_S1D_jS1E_jS1F_S1F_jjS1H_bEUljE0_EEES10_S11_S12_S19_S1D_S1F_T6_T7_T9_mT8_S1H_bDpT10_ENKUlT_T0_E_clISt17integral_constantIbLb0EES1V_EEDaS1Q_S1R_EUlS1Q_E_NS1_11comp_targetILNS1_3genE9ELNS1_11target_archE1100ELNS1_3gpuE3ELNS1_3repE0EEENS1_30default_config_static_selectorELNS0_4arch9wavefront6targetE0EEEvS13_.uses_flat_scratch, 0
	.set _ZN7rocprim17ROCPRIM_400000_NS6detail17trampoline_kernelINS0_13select_configILj256ELj13ELNS0_17block_load_methodE3ELS4_3ELS4_3ELNS0_20block_scan_algorithmE0ELj4294967295EEENS1_25partition_config_selectorILNS1_17partition_subalgoE4EjNS0_10empty_typeEbEEZZNS1_14partition_implILS8_4ELb0ES6_15HIP_vector_typeIjLj2EENS0_17counting_iteratorIjlEEPS9_SG_NS0_5tupleIJPjSI_NS0_16reverse_iteratorISI_EEEEENSH_IJSG_SG_SG_EEES9_SI_JZNS1_25segmented_radix_sort_implINS0_14default_configELb0EPK12hip_bfloat16PSP_PKlPlN2at6native12_GLOBAL__N_18offset_tEEE10hipError_tPvRmT1_PNSt15iterator_traitsIS13_E10value_typeET2_T3_PNS14_IS19_E10value_typeET4_jRbjT5_S1F_jjP12ihipStream_tbEUljE_ZNSN_ISO_Lb0ESR_SS_SU_SV_SZ_EES10_S11_S12_S13_S17_S18_S19_S1C_S1D_jS1E_jS1F_S1F_jjS1H_bEUljE0_EEES10_S11_S12_S19_S1D_S1F_T6_T7_T9_mT8_S1H_bDpT10_ENKUlT_T0_E_clISt17integral_constantIbLb0EES1V_EEDaS1Q_S1R_EUlS1Q_E_NS1_11comp_targetILNS1_3genE9ELNS1_11target_archE1100ELNS1_3gpuE3ELNS1_3repE0EEENS1_30default_config_static_selectorELNS0_4arch9wavefront6targetE0EEEvS13_.has_dyn_sized_stack, 0
	.set _ZN7rocprim17ROCPRIM_400000_NS6detail17trampoline_kernelINS0_13select_configILj256ELj13ELNS0_17block_load_methodE3ELS4_3ELS4_3ELNS0_20block_scan_algorithmE0ELj4294967295EEENS1_25partition_config_selectorILNS1_17partition_subalgoE4EjNS0_10empty_typeEbEEZZNS1_14partition_implILS8_4ELb0ES6_15HIP_vector_typeIjLj2EENS0_17counting_iteratorIjlEEPS9_SG_NS0_5tupleIJPjSI_NS0_16reverse_iteratorISI_EEEEENSH_IJSG_SG_SG_EEES9_SI_JZNS1_25segmented_radix_sort_implINS0_14default_configELb0EPK12hip_bfloat16PSP_PKlPlN2at6native12_GLOBAL__N_18offset_tEEE10hipError_tPvRmT1_PNSt15iterator_traitsIS13_E10value_typeET2_T3_PNS14_IS19_E10value_typeET4_jRbjT5_S1F_jjP12ihipStream_tbEUljE_ZNSN_ISO_Lb0ESR_SS_SU_SV_SZ_EES10_S11_S12_S13_S17_S18_S19_S1C_S1D_jS1E_jS1F_S1F_jjS1H_bEUljE0_EEES10_S11_S12_S19_S1D_S1F_T6_T7_T9_mT8_S1H_bDpT10_ENKUlT_T0_E_clISt17integral_constantIbLb0EES1V_EEDaS1Q_S1R_EUlS1Q_E_NS1_11comp_targetILNS1_3genE9ELNS1_11target_archE1100ELNS1_3gpuE3ELNS1_3repE0EEENS1_30default_config_static_selectorELNS0_4arch9wavefront6targetE0EEEvS13_.has_recursion, 0
	.set _ZN7rocprim17ROCPRIM_400000_NS6detail17trampoline_kernelINS0_13select_configILj256ELj13ELNS0_17block_load_methodE3ELS4_3ELS4_3ELNS0_20block_scan_algorithmE0ELj4294967295EEENS1_25partition_config_selectorILNS1_17partition_subalgoE4EjNS0_10empty_typeEbEEZZNS1_14partition_implILS8_4ELb0ES6_15HIP_vector_typeIjLj2EENS0_17counting_iteratorIjlEEPS9_SG_NS0_5tupleIJPjSI_NS0_16reverse_iteratorISI_EEEEENSH_IJSG_SG_SG_EEES9_SI_JZNS1_25segmented_radix_sort_implINS0_14default_configELb0EPK12hip_bfloat16PSP_PKlPlN2at6native12_GLOBAL__N_18offset_tEEE10hipError_tPvRmT1_PNSt15iterator_traitsIS13_E10value_typeET2_T3_PNS14_IS19_E10value_typeET4_jRbjT5_S1F_jjP12ihipStream_tbEUljE_ZNSN_ISO_Lb0ESR_SS_SU_SV_SZ_EES10_S11_S12_S13_S17_S18_S19_S1C_S1D_jS1E_jS1F_S1F_jjS1H_bEUljE0_EEES10_S11_S12_S19_S1D_S1F_T6_T7_T9_mT8_S1H_bDpT10_ENKUlT_T0_E_clISt17integral_constantIbLb0EES1V_EEDaS1Q_S1R_EUlS1Q_E_NS1_11comp_targetILNS1_3genE9ELNS1_11target_archE1100ELNS1_3gpuE3ELNS1_3repE0EEENS1_30default_config_static_selectorELNS0_4arch9wavefront6targetE0EEEvS13_.has_indirect_call, 0
	.section	.AMDGPU.csdata,"",@progbits
; Kernel info:
; codeLenInByte = 0
; TotalNumSgprs: 0
; NumVgprs: 0
; ScratchSize: 0
; MemoryBound: 0
; FloatMode: 240
; IeeeMode: 1
; LDSByteSize: 0 bytes/workgroup (compile time only)
; SGPRBlocks: 0
; VGPRBlocks: 0
; NumSGPRsForWavesPerEU: 1
; NumVGPRsForWavesPerEU: 1
; Occupancy: 16
; WaveLimiterHint : 0
; COMPUTE_PGM_RSRC2:SCRATCH_EN: 0
; COMPUTE_PGM_RSRC2:USER_SGPR: 6
; COMPUTE_PGM_RSRC2:TRAP_HANDLER: 0
; COMPUTE_PGM_RSRC2:TGID_X_EN: 1
; COMPUTE_PGM_RSRC2:TGID_Y_EN: 0
; COMPUTE_PGM_RSRC2:TGID_Z_EN: 0
; COMPUTE_PGM_RSRC2:TIDIG_COMP_CNT: 0
	.section	.text._ZN7rocprim17ROCPRIM_400000_NS6detail17trampoline_kernelINS0_13select_configILj256ELj13ELNS0_17block_load_methodE3ELS4_3ELS4_3ELNS0_20block_scan_algorithmE0ELj4294967295EEENS1_25partition_config_selectorILNS1_17partition_subalgoE4EjNS0_10empty_typeEbEEZZNS1_14partition_implILS8_4ELb0ES6_15HIP_vector_typeIjLj2EENS0_17counting_iteratorIjlEEPS9_SG_NS0_5tupleIJPjSI_NS0_16reverse_iteratorISI_EEEEENSH_IJSG_SG_SG_EEES9_SI_JZNS1_25segmented_radix_sort_implINS0_14default_configELb0EPK12hip_bfloat16PSP_PKlPlN2at6native12_GLOBAL__N_18offset_tEEE10hipError_tPvRmT1_PNSt15iterator_traitsIS13_E10value_typeET2_T3_PNS14_IS19_E10value_typeET4_jRbjT5_S1F_jjP12ihipStream_tbEUljE_ZNSN_ISO_Lb0ESR_SS_SU_SV_SZ_EES10_S11_S12_S13_S17_S18_S19_S1C_S1D_jS1E_jS1F_S1F_jjS1H_bEUljE0_EEES10_S11_S12_S19_S1D_S1F_T6_T7_T9_mT8_S1H_bDpT10_ENKUlT_T0_E_clISt17integral_constantIbLb0EES1V_EEDaS1Q_S1R_EUlS1Q_E_NS1_11comp_targetILNS1_3genE8ELNS1_11target_archE1030ELNS1_3gpuE2ELNS1_3repE0EEENS1_30default_config_static_selectorELNS0_4arch9wavefront6targetE0EEEvS13_,"axG",@progbits,_ZN7rocprim17ROCPRIM_400000_NS6detail17trampoline_kernelINS0_13select_configILj256ELj13ELNS0_17block_load_methodE3ELS4_3ELS4_3ELNS0_20block_scan_algorithmE0ELj4294967295EEENS1_25partition_config_selectorILNS1_17partition_subalgoE4EjNS0_10empty_typeEbEEZZNS1_14partition_implILS8_4ELb0ES6_15HIP_vector_typeIjLj2EENS0_17counting_iteratorIjlEEPS9_SG_NS0_5tupleIJPjSI_NS0_16reverse_iteratorISI_EEEEENSH_IJSG_SG_SG_EEES9_SI_JZNS1_25segmented_radix_sort_implINS0_14default_configELb0EPK12hip_bfloat16PSP_PKlPlN2at6native12_GLOBAL__N_18offset_tEEE10hipError_tPvRmT1_PNSt15iterator_traitsIS13_E10value_typeET2_T3_PNS14_IS19_E10value_typeET4_jRbjT5_S1F_jjP12ihipStream_tbEUljE_ZNSN_ISO_Lb0ESR_SS_SU_SV_SZ_EES10_S11_S12_S13_S17_S18_S19_S1C_S1D_jS1E_jS1F_S1F_jjS1H_bEUljE0_EEES10_S11_S12_S19_S1D_S1F_T6_T7_T9_mT8_S1H_bDpT10_ENKUlT_T0_E_clISt17integral_constantIbLb0EES1V_EEDaS1Q_S1R_EUlS1Q_E_NS1_11comp_targetILNS1_3genE8ELNS1_11target_archE1030ELNS1_3gpuE2ELNS1_3repE0EEENS1_30default_config_static_selectorELNS0_4arch9wavefront6targetE0EEEvS13_,comdat
	.globl	_ZN7rocprim17ROCPRIM_400000_NS6detail17trampoline_kernelINS0_13select_configILj256ELj13ELNS0_17block_load_methodE3ELS4_3ELS4_3ELNS0_20block_scan_algorithmE0ELj4294967295EEENS1_25partition_config_selectorILNS1_17partition_subalgoE4EjNS0_10empty_typeEbEEZZNS1_14partition_implILS8_4ELb0ES6_15HIP_vector_typeIjLj2EENS0_17counting_iteratorIjlEEPS9_SG_NS0_5tupleIJPjSI_NS0_16reverse_iteratorISI_EEEEENSH_IJSG_SG_SG_EEES9_SI_JZNS1_25segmented_radix_sort_implINS0_14default_configELb0EPK12hip_bfloat16PSP_PKlPlN2at6native12_GLOBAL__N_18offset_tEEE10hipError_tPvRmT1_PNSt15iterator_traitsIS13_E10value_typeET2_T3_PNS14_IS19_E10value_typeET4_jRbjT5_S1F_jjP12ihipStream_tbEUljE_ZNSN_ISO_Lb0ESR_SS_SU_SV_SZ_EES10_S11_S12_S13_S17_S18_S19_S1C_S1D_jS1E_jS1F_S1F_jjS1H_bEUljE0_EEES10_S11_S12_S19_S1D_S1F_T6_T7_T9_mT8_S1H_bDpT10_ENKUlT_T0_E_clISt17integral_constantIbLb0EES1V_EEDaS1Q_S1R_EUlS1Q_E_NS1_11comp_targetILNS1_3genE8ELNS1_11target_archE1030ELNS1_3gpuE2ELNS1_3repE0EEENS1_30default_config_static_selectorELNS0_4arch9wavefront6targetE0EEEvS13_ ; -- Begin function _ZN7rocprim17ROCPRIM_400000_NS6detail17trampoline_kernelINS0_13select_configILj256ELj13ELNS0_17block_load_methodE3ELS4_3ELS4_3ELNS0_20block_scan_algorithmE0ELj4294967295EEENS1_25partition_config_selectorILNS1_17partition_subalgoE4EjNS0_10empty_typeEbEEZZNS1_14partition_implILS8_4ELb0ES6_15HIP_vector_typeIjLj2EENS0_17counting_iteratorIjlEEPS9_SG_NS0_5tupleIJPjSI_NS0_16reverse_iteratorISI_EEEEENSH_IJSG_SG_SG_EEES9_SI_JZNS1_25segmented_radix_sort_implINS0_14default_configELb0EPK12hip_bfloat16PSP_PKlPlN2at6native12_GLOBAL__N_18offset_tEEE10hipError_tPvRmT1_PNSt15iterator_traitsIS13_E10value_typeET2_T3_PNS14_IS19_E10value_typeET4_jRbjT5_S1F_jjP12ihipStream_tbEUljE_ZNSN_ISO_Lb0ESR_SS_SU_SV_SZ_EES10_S11_S12_S13_S17_S18_S19_S1C_S1D_jS1E_jS1F_S1F_jjS1H_bEUljE0_EEES10_S11_S12_S19_S1D_S1F_T6_T7_T9_mT8_S1H_bDpT10_ENKUlT_T0_E_clISt17integral_constantIbLb0EES1V_EEDaS1Q_S1R_EUlS1Q_E_NS1_11comp_targetILNS1_3genE8ELNS1_11target_archE1030ELNS1_3gpuE2ELNS1_3repE0EEENS1_30default_config_static_selectorELNS0_4arch9wavefront6targetE0EEEvS13_
	.p2align	8
	.type	_ZN7rocprim17ROCPRIM_400000_NS6detail17trampoline_kernelINS0_13select_configILj256ELj13ELNS0_17block_load_methodE3ELS4_3ELS4_3ELNS0_20block_scan_algorithmE0ELj4294967295EEENS1_25partition_config_selectorILNS1_17partition_subalgoE4EjNS0_10empty_typeEbEEZZNS1_14partition_implILS8_4ELb0ES6_15HIP_vector_typeIjLj2EENS0_17counting_iteratorIjlEEPS9_SG_NS0_5tupleIJPjSI_NS0_16reverse_iteratorISI_EEEEENSH_IJSG_SG_SG_EEES9_SI_JZNS1_25segmented_radix_sort_implINS0_14default_configELb0EPK12hip_bfloat16PSP_PKlPlN2at6native12_GLOBAL__N_18offset_tEEE10hipError_tPvRmT1_PNSt15iterator_traitsIS13_E10value_typeET2_T3_PNS14_IS19_E10value_typeET4_jRbjT5_S1F_jjP12ihipStream_tbEUljE_ZNSN_ISO_Lb0ESR_SS_SU_SV_SZ_EES10_S11_S12_S13_S17_S18_S19_S1C_S1D_jS1E_jS1F_S1F_jjS1H_bEUljE0_EEES10_S11_S12_S19_S1D_S1F_T6_T7_T9_mT8_S1H_bDpT10_ENKUlT_T0_E_clISt17integral_constantIbLb0EES1V_EEDaS1Q_S1R_EUlS1Q_E_NS1_11comp_targetILNS1_3genE8ELNS1_11target_archE1030ELNS1_3gpuE2ELNS1_3repE0EEENS1_30default_config_static_selectorELNS0_4arch9wavefront6targetE0EEEvS13_,@function
_ZN7rocprim17ROCPRIM_400000_NS6detail17trampoline_kernelINS0_13select_configILj256ELj13ELNS0_17block_load_methodE3ELS4_3ELS4_3ELNS0_20block_scan_algorithmE0ELj4294967295EEENS1_25partition_config_selectorILNS1_17partition_subalgoE4EjNS0_10empty_typeEbEEZZNS1_14partition_implILS8_4ELb0ES6_15HIP_vector_typeIjLj2EENS0_17counting_iteratorIjlEEPS9_SG_NS0_5tupleIJPjSI_NS0_16reverse_iteratorISI_EEEEENSH_IJSG_SG_SG_EEES9_SI_JZNS1_25segmented_radix_sort_implINS0_14default_configELb0EPK12hip_bfloat16PSP_PKlPlN2at6native12_GLOBAL__N_18offset_tEEE10hipError_tPvRmT1_PNSt15iterator_traitsIS13_E10value_typeET2_T3_PNS14_IS19_E10value_typeET4_jRbjT5_S1F_jjP12ihipStream_tbEUljE_ZNSN_ISO_Lb0ESR_SS_SU_SV_SZ_EES10_S11_S12_S13_S17_S18_S19_S1C_S1D_jS1E_jS1F_S1F_jjS1H_bEUljE0_EEES10_S11_S12_S19_S1D_S1F_T6_T7_T9_mT8_S1H_bDpT10_ENKUlT_T0_E_clISt17integral_constantIbLb0EES1V_EEDaS1Q_S1R_EUlS1Q_E_NS1_11comp_targetILNS1_3genE8ELNS1_11target_archE1030ELNS1_3gpuE2ELNS1_3repE0EEENS1_30default_config_static_selectorELNS0_4arch9wavefront6targetE0EEEvS13_: ; @_ZN7rocprim17ROCPRIM_400000_NS6detail17trampoline_kernelINS0_13select_configILj256ELj13ELNS0_17block_load_methodE3ELS4_3ELS4_3ELNS0_20block_scan_algorithmE0ELj4294967295EEENS1_25partition_config_selectorILNS1_17partition_subalgoE4EjNS0_10empty_typeEbEEZZNS1_14partition_implILS8_4ELb0ES6_15HIP_vector_typeIjLj2EENS0_17counting_iteratorIjlEEPS9_SG_NS0_5tupleIJPjSI_NS0_16reverse_iteratorISI_EEEEENSH_IJSG_SG_SG_EEES9_SI_JZNS1_25segmented_radix_sort_implINS0_14default_configELb0EPK12hip_bfloat16PSP_PKlPlN2at6native12_GLOBAL__N_18offset_tEEE10hipError_tPvRmT1_PNSt15iterator_traitsIS13_E10value_typeET2_T3_PNS14_IS19_E10value_typeET4_jRbjT5_S1F_jjP12ihipStream_tbEUljE_ZNSN_ISO_Lb0ESR_SS_SU_SV_SZ_EES10_S11_S12_S13_S17_S18_S19_S1C_S1D_jS1E_jS1F_S1F_jjS1H_bEUljE0_EEES10_S11_S12_S19_S1D_S1F_T6_T7_T9_mT8_S1H_bDpT10_ENKUlT_T0_E_clISt17integral_constantIbLb0EES1V_EEDaS1Q_S1R_EUlS1Q_E_NS1_11comp_targetILNS1_3genE8ELNS1_11target_archE1030ELNS1_3gpuE2ELNS1_3repE0EEENS1_30default_config_static_selectorELNS0_4arch9wavefront6targetE0EEEvS13_
; %bb.0:
	s_clause 0x6
	s_load_dword s3, s[4:5], 0x80
	s_load_dwordx2 s[34:35], s[4:5], 0x10
	s_load_dwordx2 s[0:1], s[4:5], 0x68
	s_load_dword s7, s[4:5], 0x8
	s_load_dwordx4 s[24:27], s[4:5], 0x58
	s_load_dwordx2 s[40:41], s[4:5], 0xa8
	s_load_dwordx8 s[16:23], s[4:5], 0x88
	s_mul_i32 s42, s6, 0xd00
	s_waitcnt lgkmcnt(0)
	s_mul_i32 s2, s3, 0xd00
	s_add_i32 s3, s3, -1
	s_add_u32 s8, s34, s2
	s_addc_u32 s9, s35, 0
	s_load_dwordx4 s[28:31], s[26:27], 0x0
	s_cmp_eq_u32 s6, s3
	v_cmp_gt_u64_e64 s1, s[0:1], s[8:9]
	s_cselect_b32 s33, -1, 0
	s_cmp_lg_u32 s6, s3
	s_cselect_b32 s3, -1, 0
	s_add_i32 s7, s7, s42
	s_or_b32 s1, s3, s1
	s_add_i32 s7, s7, s34
	s_and_b32 vcc_lo, exec_lo, s1
	v_add_nc_u32_e32 v1, s7, v0
	s_mov_b32 s3, -1
	v_add_nc_u32_e32 v2, 0x100, v1
	v_add_nc_u32_e32 v3, 0x200, v1
	;; [unrolled: 1-line block ×12, first 2 shown]
	s_cbranch_vccz .LBB1982_2
; %bb.1:
	v_lshlrev_b32_e32 v14, 2, v0
	s_mov_b32 s3, 0
	ds_write2st64_b32 v14, v1, v2 offset1:4
	ds_write2st64_b32 v14, v3, v4 offset0:8 offset1:12
	ds_write2st64_b32 v14, v5, v6 offset0:16 offset1:20
	ds_write2st64_b32 v14, v7, v8 offset0:24 offset1:28
	ds_write2st64_b32 v14, v9, v10 offset0:32 offset1:36
	ds_write2st64_b32 v14, v11, v12 offset0:40 offset1:44
	ds_write_b32 v14, v13 offset:12288
	s_waitcnt lgkmcnt(0)
	s_barrier
.LBB1982_2:
	s_andn2_b32 vcc_lo, exec_lo, s3
	s_add_i32 s2, s2, s34
	s_cbranch_vccnz .LBB1982_4
; %bb.3:
	v_lshlrev_b32_e32 v14, 2, v0
	ds_write2st64_b32 v14, v1, v2 offset1:4
	ds_write2st64_b32 v14, v3, v4 offset0:8 offset1:12
	ds_write2st64_b32 v14, v5, v6 offset0:16 offset1:20
	;; [unrolled: 1-line block ×5, first 2 shown]
	ds_write_b32 v14, v13 offset:12288
	s_waitcnt lgkmcnt(0)
	s_barrier
.LBB1982_4:
	v_mul_u32_u24_e32 v29, 13, v0
	s_clause 0x1
	s_load_dwordx4 s[36:39], s[4:5], 0x28
	s_load_dwordx2 s[26:27], s[4:5], 0x38
	s_waitcnt lgkmcnt(0)
	buffer_gl0_inv
	v_cndmask_b32_e64 v27, 0, 1, s1
	s_sub_i32 s43, s0, s2
	v_lshlrev_b32_e32 v1, 2, v29
	s_andn2_b32 vcc_lo, exec_lo, s1
	ds_read_b32 v28, v1 offset:48
	ds_read2_b32 v[9:10], v1 offset0:10 offset1:11
	ds_read2_b32 v[11:12], v1 offset0:8 offset1:9
	;; [unrolled: 1-line block ×4, first 2 shown]
	ds_read2_b32 v[19:20], v1 offset1:1
	ds_read2_b32 v[17:18], v1 offset0:2 offset1:3
	s_waitcnt lgkmcnt(0)
	s_barrier
	buffer_gl0_inv
	s_cbranch_vccnz .LBB1982_32
; %bb.5:
	v_add_nc_u32_e32 v1, s17, v19
	v_add_nc_u32_e32 v2, s19, v19
	s_mov_b32 s45, 0
	s_mov_b32 s44, 0
	s_mov_b32 s1, exec_lo
	v_mul_lo_u32 v1, v1, s16
	v_mul_lo_u32 v2, v2, s18
	v_sub_nc_u32_e32 v1, v1, v2
	v_cmp_lt_u32_e32 vcc_lo, s20, v1
	v_cmpx_ge_u32_e64 s20, v1
	s_cbranch_execz .LBB1982_7
; %bb.6:
	v_add_nc_u32_e32 v1, s22, v19
	v_add_nc_u32_e32 v2, s40, v19
	v_mul_lo_u32 v1, v1, s21
	v_mul_lo_u32 v2, v2, s23
	v_sub_nc_u32_e32 v1, v1, v2
	v_cmp_lt_u32_e64 s0, s41, v1
	s_and_b32 s44, s0, exec_lo
.LBB1982_7:
	s_or_b32 exec_lo, exec_lo, s1
	v_add_nc_u32_e32 v1, s17, v20
	v_add_nc_u32_e32 v2, s19, v20
	s_mov_b32 s2, exec_lo
	v_mul_lo_u32 v1, v1, s16
	v_mul_lo_u32 v2, v2, s18
	v_sub_nc_u32_e32 v1, v1, v2
	v_cmp_lt_u32_e64 s0, s20, v1
	v_cmpx_ge_u32_e64 s20, v1
	s_cbranch_execz .LBB1982_9
; %bb.8:
	v_add_nc_u32_e32 v1, s22, v20
	v_add_nc_u32_e32 v2, s40, v20
	v_mul_lo_u32 v1, v1, s21
	v_mul_lo_u32 v2, v2, s23
	v_sub_nc_u32_e32 v1, v1, v2
	v_cmp_lt_u32_e64 s1, s41, v1
	s_and_b32 s45, s1, exec_lo
.LBB1982_9:
	s_or_b32 exec_lo, exec_lo, s2
	v_add_nc_u32_e32 v1, s17, v17
	v_add_nc_u32_e32 v2, s19, v17
	s_mov_b32 s47, 0
	s_mov_b32 s46, 0
	s_mov_b32 s3, exec_lo
	v_mul_lo_u32 v1, v1, s16
	v_mul_lo_u32 v2, v2, s18
	v_sub_nc_u32_e32 v1, v1, v2
	v_cmp_lt_u32_e64 s1, s20, v1
	v_cmpx_ge_u32_e64 s20, v1
	s_cbranch_execz .LBB1982_11
; %bb.10:
	v_add_nc_u32_e32 v1, s22, v17
	v_add_nc_u32_e32 v2, s40, v17
	v_mul_lo_u32 v1, v1, s21
	v_mul_lo_u32 v2, v2, s23
	v_sub_nc_u32_e32 v1, v1, v2
	v_cmp_lt_u32_e64 s2, s41, v1
	s_and_b32 s46, s2, exec_lo
.LBB1982_11:
	s_or_b32 exec_lo, exec_lo, s3
	v_add_nc_u32_e32 v1, s17, v18
	v_add_nc_u32_e32 v2, s19, v18
	s_mov_b32 s7, exec_lo
	v_mul_lo_u32 v1, v1, s16
	v_mul_lo_u32 v2, v2, s18
	v_sub_nc_u32_e32 v1, v1, v2
	v_cmp_lt_u32_e64 s2, s20, v1
	v_cmpx_ge_u32_e64 s20, v1
	s_cbranch_execz .LBB1982_13
; %bb.12:
	v_add_nc_u32_e32 v1, s22, v18
	v_add_nc_u32_e32 v2, s40, v18
	v_mul_lo_u32 v1, v1, s21
	v_mul_lo_u32 v2, v2, s23
	v_sub_nc_u32_e32 v1, v1, v2
	v_cmp_lt_u32_e64 s3, s41, v1
	s_and_b32 s47, s3, exec_lo
.LBB1982_13:
	s_or_b32 exec_lo, exec_lo, s7
	v_add_nc_u32_e32 v1, s17, v15
	v_add_nc_u32_e32 v2, s19, v15
	s_mov_b32 s49, 0
	s_mov_b32 s48, 0
	s_mov_b32 s8, exec_lo
	v_mul_lo_u32 v1, v1, s16
	v_mul_lo_u32 v2, v2, s18
	v_sub_nc_u32_e32 v1, v1, v2
	v_cmp_lt_u32_e64 s3, s20, v1
	;; [unrolled: 40-line block ×6, first 2 shown]
	v_cmpx_ge_u32_e64 s20, v1
	s_cbranch_execz .LBB1982_31
; %bb.30:
	v_add_nc_u32_e32 v1, s22, v28
	v_add_nc_u32_e32 v2, s40, v28
	v_mul_lo_u32 v1, v1, s21
	v_mul_lo_u32 v2, v2, s23
	v_sub_nc_u32_e32 v1, v1, v2
	v_cmp_lt_u32_e64 s15, s41, v1
	s_and_b32 s57, s15, exec_lo
.LBB1982_31:
	s_or_b32 exec_lo, exec_lo, s58
	v_cndmask_b32_e64 v2, 0, 1, s0
	v_cndmask_b32_e64 v4, 0, 1, s2
	v_cndmask_b32_e64 v1, 0, 1, vcc_lo
	v_cndmask_b32_e64 v3, 0, 1, s1
	v_cndmask_b32_e64 v6, 0, 1, s7
	v_lshlrev_b16 v2, 8, v2
	v_lshlrev_b16 v4, 8, v4
	v_cndmask_b32_e64 v8, 0, 1, s9
	v_cndmask_b32_e64 v22, 0, 1, s11
	;; [unrolled: 1-line block ×3, first 2 shown]
	v_or_b32_e32 v1, v1, v2
	v_or_b32_sdwa v2, v3, v4 dst_sel:WORD_1 dst_unused:UNUSED_PAD src0_sel:DWORD src1_sel:DWORD
	v_cndmask_b32_e64 v3, 0, 1, s44
	v_cndmask_b32_e64 v5, 0, 1, s3
	;; [unrolled: 1-line block ×11, first 2 shown]
	v_or_b32_sdwa v30, v1, v2 dst_sel:DWORD dst_unused:UNUSED_PAD src0_sel:WORD_0 src1_sel:DWORD
	v_lshlrev_b16 v1, 8, v6
	v_lshlrev_b16 v2, 8, v8
	;; [unrolled: 1-line block ×5, first 2 shown]
	v_cndmask_b32_e64 v26, 0, 1, s53
	v_cndmask_b32_e64 v32, 0, 1, s51
	;; [unrolled: 1-line block ×5, first 2 shown]
	v_or_b32_e32 v1, v5, v1
	v_or_b32_sdwa v2, v7, v2 dst_sel:WORD_1 dst_unused:UNUSED_PAD src0_sel:DWORD src1_sel:DWORD
	v_or_b32_e32 v5, v21, v6
	v_or_b32_sdwa v6, v23, v8 dst_sel:WORD_1 dst_unused:UNUSED_PAD src0_sel:DWORD src1_sel:DWORD
	v_or_b32_e32 v3, v4, v3
	v_lshlrev_b16 v4, 8, v39
	v_lshlrev_b16 v7, 8, v36
	;; [unrolled: 1-line block ×5, first 2 shown]
	v_or_b32_sdwa v4, v40, v4 dst_sel:WORD_1 dst_unused:UNUSED_PAD src0_sel:DWORD src1_sel:DWORD
	v_or_b32_e32 v7, v38, v7
	v_or_b32_sdwa v8, v35, v8 dst_sel:WORD_1 dst_unused:UNUSED_PAD src0_sel:DWORD src1_sel:DWORD
	v_or_b32_e32 v21, v32, v21
	v_or_b32_sdwa v22, v26, v22 dst_sel:WORD_1 dst_unused:UNUSED_PAD src0_sel:DWORD src1_sel:DWORD
	v_cndmask_b32_e64 v34, 0, 1, s55
	v_cndmask_b32_e64 v37, 0, 1, s57
	v_or_b32_sdwa v32, v1, v2 dst_sel:DWORD dst_unused:UNUSED_PAD src0_sel:WORD_0 src1_sel:DWORD
	v_or_b32_sdwa v35, v5, v6 dst_sel:DWORD dst_unused:UNUSED_PAD src0_sel:WORD_0 src1_sel:DWORD
	;; [unrolled: 1-line block ×5, first 2 shown]
	s_load_dwordx2 s[4:5], s[4:5], 0x78
	s_and_b32 vcc_lo, exec_lo, s54
	s_add_i32 s7, s43, 0xd00
	s_cbranch_vccnz .LBB1982_33
	s_branch .LBB1982_110
.LBB1982_32:
                                        ; implicit-def: $vgpr37
                                        ; implicit-def: $vgpr34
                                        ; implicit-def: $vgpr33
                                        ; implicit-def: $vgpr31
                                        ; implicit-def: $vgpr36
                                        ; implicit-def: $vgpr35
                                        ; implicit-def: $vgpr32
                                        ; implicit-def: $vgpr30
	s_load_dwordx2 s[4:5], s[4:5], 0x78
	s_add_i32 s7, s43, 0xd00
	s_cbranch_execz .LBB1982_110
.LBB1982_33:
	v_mov_b32_e32 v2, 0
	v_mov_b32_e32 v1, 0
	s_mov_b32 s1, exec_lo
	v_cmpx_gt_u32_e64 s7, v29
	s_cbranch_execz .LBB1982_37
; %bb.34:
	v_add_nc_u32_e32 v1, s17, v19
	v_add_nc_u32_e32 v2, s19, v19
	s_mov_b32 s3, 0
	s_mov_b32 s2, exec_lo
	v_mul_lo_u32 v1, v1, s16
	v_mul_lo_u32 v2, v2, s18
	v_sub_nc_u32_e32 v1, v1, v2
	v_cmp_lt_u32_e32 vcc_lo, s20, v1
	v_cmpx_ge_u32_e64 s20, v1
	s_cbranch_execz .LBB1982_36
; %bb.35:
	v_add_nc_u32_e32 v1, s22, v19
	v_add_nc_u32_e32 v2, s40, v19
	v_mul_lo_u32 v1, v1, s21
	v_mul_lo_u32 v2, v2, s23
	v_sub_nc_u32_e32 v1, v1, v2
	v_cmp_lt_u32_e64 s0, s41, v1
	s_and_b32 s3, s0, exec_lo
.LBB1982_36:
	s_or_b32 exec_lo, exec_lo, s2
	v_cndmask_b32_e64 v2, 0, 1, s3
	v_cndmask_b32_e64 v1, 0, 1, vcc_lo
.LBB1982_37:
	s_or_b32 exec_lo, exec_lo, s1
	v_add_nc_u32_e32 v3, 1, v29
	v_lshlrev_b16 v21, 8, v2
	v_and_b32_e32 v6, 0xff, v1
	v_lshlrev_b16 v7, 8, 0
                                        ; implicit-def: $vgpr5
                                        ; implicit-def: $vgpr8
                                        ; implicit-def: $vgpr2
                                        ; implicit-def: $vgpr4
	v_cmp_le_u32_e32 vcc_lo, s7, v3
                                        ; implicit-def: $vgpr3
	s_and_saveexec_b32 s0, vcc_lo
	s_xor_b32 s0, exec_lo, s0
	s_cbranch_execz .LBB1982_39
; %bb.38:
	v_mov_b32_e32 v1, 8
	v_mov_b32_e32 v2, 0xff
	;; [unrolled: 1-line block ×3, first 2 shown]
	v_and_b32_e32 v4, 0xffff, v7
	v_and_b32_e32 v3, 0xffff, v7
	v_lshrrev_b32_sdwa v1, v1, v21 dst_sel:BYTE_1 dst_unused:UNUSED_PAD src0_sel:DWORD src1_sel:WORD_0
	v_and_b32_sdwa v2, v21, v2 dst_sel:DWORD dst_unused:UNUSED_PAD src0_sel:WORD_0 src1_sel:DWORD
                                        ; implicit-def: $vgpr21
	v_or_b32_e32 v1, v2, v1
	v_and_b32_e32 v2, 0xffff, v7
                                        ; implicit-def: $vgpr7
	v_and_b32_e32 v8, 0xffff, v1
                                        ; implicit-def: $vgpr1
.LBB1982_39:
	s_andn2_saveexec_b32 s1, s0
	s_cbranch_execz .LBB1982_43
; %bb.40:
	v_add_nc_u32_e32 v2, s17, v20
	v_add_nc_u32_e32 v3, s19, v20
	s_mov_b32 s2, 0
	s_mov_b32 s3, exec_lo
	v_mul_lo_u32 v2, v2, s16
	v_mul_lo_u32 v3, v3, s18
	v_sub_nc_u32_e32 v2, v2, v3
	v_cmp_lt_u32_e32 vcc_lo, s20, v2
	v_cmpx_ge_u32_e64 s20, v2
	s_cbranch_execz .LBB1982_42
; %bb.41:
	v_add_nc_u32_e32 v2, s22, v20
	v_add_nc_u32_e32 v3, s40, v20
	v_mul_lo_u32 v2, v2, s21
	v_mul_lo_u32 v3, v3, s23
	v_sub_nc_u32_e32 v2, v2, v3
	v_cmp_lt_u32_e64 s0, s41, v2
	s_and_b32 s2, s0, exec_lo
.LBB1982_42:
	s_or_b32 exec_lo, exec_lo, s3
	v_mov_b32_e32 v2, 0xff
	v_mov_b32_e32 v3, 8
	v_cndmask_b32_e64 v4, 0, 1, vcc_lo
	v_mov_b32_e32 v5, 0
	v_and_b32_sdwa v2, v21, v2 dst_sel:DWORD dst_unused:UNUSED_PAD src0_sel:WORD_0 src1_sel:DWORD
	v_lshrrev_b32_sdwa v3, v3, v21 dst_sel:BYTE_1 dst_unused:UNUSED_PAD src0_sel:DWORD src1_sel:WORD_0
	v_lshlrev_b16 v4, 8, v4
	v_or_b32_e32 v2, v2, v3
	v_cndmask_b32_e64 v3, 0, 1, s2
	v_or_b32_sdwa v1, v1, v4 dst_sel:DWORD dst_unused:UNUSED_PAD src0_sel:BYTE_0 src1_sel:DWORD
	v_and_b32_e32 v4, 0xffff, v7
	v_and_b32_e32 v8, 0xffff, v2
	v_mov_b32_e32 v2, 0
	v_and_b32_e32 v6, 0xffff, v1
	v_lshl_or_b32 v8, v3, 16, v8
	v_and_b32_e32 v3, 0xffff, v7
.LBB1982_43:
	s_or_b32 exec_lo, exec_lo, s1
	v_add_nc_u32_e32 v1, 2, v29
                                        ; implicit-def: $vgpr7
	v_cmp_le_u32_e32 vcc_lo, s7, v1
                                        ; implicit-def: $vgpr1
	s_and_saveexec_b32 s0, vcc_lo
	s_xor_b32 s0, exec_lo, s0
	s_cbranch_execz .LBB1982_45
; %bb.44:
	v_lshrrev_b32_e32 v1, 24, v6
	v_mov_b32_e32 v7, 8
	v_and_b32_e32 v21, 0xff0000, v8
	v_perm_b32 v4, v4, v4, 0x3060504
	v_perm_b32 v1, v1, v6, 0x40c0100
	v_lshrrev_b32_sdwa v6, v7, v1 dst_sel:BYTE_1 dst_unused:UNUSED_PAD src0_sel:DWORD src1_sel:DWORD
	v_or_b32_sdwa v6, v1, v6 dst_sel:DWORD dst_unused:UNUSED_PAD src0_sel:BYTE_0 src1_sel:DWORD
	v_and_b32_e32 v6, 0xffff, v6
	v_and_or_b32 v7, 0xff000000, v1, v6
	v_perm_b32 v1, v8, v21, 0x3020504
                                        ; implicit-def: $vgpr6
                                        ; implicit-def: $vgpr8
.LBB1982_45:
	s_andn2_saveexec_b32 s1, s0
	s_cbranch_execz .LBB1982_49
; %bb.46:
	v_add_nc_u32_e32 v1, s17, v17
	v_add_nc_u32_e32 v7, s19, v17
	s_mov_b32 s2, 0
	s_mov_b32 s3, exec_lo
	v_mul_lo_u32 v1, v1, s16
	v_mul_lo_u32 v7, v7, s18
	v_sub_nc_u32_e32 v1, v1, v7
	v_cmp_lt_u32_e32 vcc_lo, s20, v1
	v_cmpx_ge_u32_e64 s20, v1
	s_cbranch_execz .LBB1982_48
; %bb.47:
	v_add_nc_u32_e32 v1, s22, v17
	v_add_nc_u32_e32 v7, s40, v17
	v_mul_lo_u32 v1, v1, s21
	v_mul_lo_u32 v7, v7, s23
	v_sub_nc_u32_e32 v1, v1, v7
	v_cmp_lt_u32_e64 s0, s41, v1
	s_and_b32 s2, s0, exec_lo
.LBB1982_48:
	s_or_b32 exec_lo, exec_lo, s3
	v_mov_b32_e32 v1, 8
	v_mov_b32_e32 v7, 24
	v_cndmask_b32_e64 v22, 0, 1, s2
	v_mov_b32_e32 v23, 0xff
	v_cndmask_b32_e64 v21, 0, 1, vcc_lo
	v_lshrrev_b32_sdwa v24, v1, v6 dst_sel:BYTE_1 dst_unused:UNUSED_PAD src0_sel:DWORD src1_sel:DWORD
	v_lshrrev_b32_sdwa v7, v7, v6 dst_sel:BYTE_1 dst_unused:UNUSED_PAD src0_sel:DWORD src1_sel:DWORD
	;; [unrolled: 1-line block ×3, first 2 shown]
	v_lshlrev_b16 v22, 8, v22
	v_and_b32_sdwa v23, v8, v23 dst_sel:DWORD dst_unused:UNUSED_PAD src0_sel:WORD_1 src1_sel:DWORD
	v_or_b32_sdwa v6, v6, v24 dst_sel:DWORD dst_unused:UNUSED_PAD src0_sel:BYTE_0 src1_sel:DWORD
	v_or_b32_sdwa v7, v21, v7 dst_sel:WORD_1 dst_unused:UNUSED_PAD src0_sel:DWORD src1_sel:DWORD
	v_or_b32_sdwa v1, v8, v1 dst_sel:DWORD dst_unused:UNUSED_PAD src0_sel:BYTE_0 src1_sel:DWORD
	v_or_b32_sdwa v8, v23, v22 dst_sel:WORD_1 dst_unused:UNUSED_PAD src0_sel:DWORD src1_sel:DWORD
	v_or_b32_sdwa v7, v6, v7 dst_sel:DWORD dst_unused:UNUSED_PAD src0_sel:WORD_0 src1_sel:DWORD
	v_or_b32_sdwa v1, v1, v8 dst_sel:DWORD dst_unused:UNUSED_PAD src0_sel:WORD_0 src1_sel:DWORD
.LBB1982_49:
	s_or_b32 exec_lo, exec_lo, s1
	v_add_nc_u32_e32 v6, 3, v29
                                        ; implicit-def: $vgpr30
	v_cmp_le_u32_e32 vcc_lo, s7, v6
                                        ; implicit-def: $vgpr6
	s_and_saveexec_b32 s0, vcc_lo
	s_xor_b32 s0, exec_lo, s0
	s_cbranch_execz .LBB1982_51
; %bb.50:
	v_mov_b32_e32 v6, 24
	v_mov_b32_e32 v8, 0xff
	v_mov_b32_e32 v21, 8
	v_and_b32_e32 v22, 0xff0000, v7
	v_perm_b32 v4, v4, v4, 0x3060504
	v_lshrrev_b32_sdwa v6, v6, v5 dst_sel:BYTE_1 dst_unused:UNUSED_PAD src0_sel:DWORD src1_sel:DWORD
	v_and_b32_sdwa v8, v5, v8 dst_sel:DWORD dst_unused:UNUSED_PAD src0_sel:WORD_1 src1_sel:DWORD
	v_lshrrev_b32_sdwa v5, v21, v5 dst_sel:BYTE_1 dst_unused:UNUSED_PAD src0_sel:DWORD src1_sel:DWORD
	v_perm_b32 v30, v7, v22, 0x3020504
	v_perm_b32 v3, v3, v3, 0x3060504
                                        ; implicit-def: $vgpr7
	v_or_b32_sdwa v6, v8, v6 dst_sel:WORD_1 dst_unused:UNUSED_PAD src0_sel:DWORD src1_sel:DWORD
	v_or_b32_sdwa v6, v5, v6 dst_sel:DWORD dst_unused:UNUSED_PAD src0_sel:WORD_0 src1_sel:DWORD
                                        ; implicit-def: $vgpr5
.LBB1982_51:
	s_andn2_saveexec_b32 s1, s0
	s_cbranch_execz .LBB1982_55
; %bb.52:
	v_add_nc_u32_e32 v6, s17, v18
	v_add_nc_u32_e32 v8, s19, v18
	s_mov_b32 s2, 0
	s_mov_b32 s3, exec_lo
	v_mul_lo_u32 v6, v6, s16
	v_mul_lo_u32 v8, v8, s18
	v_sub_nc_u32_e32 v6, v6, v8
	v_cmp_lt_u32_e32 vcc_lo, s20, v6
	v_cmpx_ge_u32_e64 s20, v6
	s_cbranch_execz .LBB1982_54
; %bb.53:
	v_add_nc_u32_e32 v6, s22, v18
	v_add_nc_u32_e32 v8, s40, v18
	v_mul_lo_u32 v6, v6, s21
	v_mul_lo_u32 v8, v8, s23
	v_sub_nc_u32_e32 v6, v6, v8
	v_cmp_lt_u32_e64 s0, s41, v6
	s_and_b32 s2, s0, exec_lo
.LBB1982_54:
	s_or_b32 exec_lo, exec_lo, s3
	v_mov_b32_e32 v6, 8
	v_cndmask_b32_e64 v8, 0, 1, vcc_lo
	v_mov_b32_e32 v21, 0xff
	v_mov_b32_e32 v22, 24
	v_cndmask_b32_e64 v23, 0, 1, s2
	v_lshrrev_b32_sdwa v24, v6, v7 dst_sel:BYTE_1 dst_unused:UNUSED_PAD src0_sel:DWORD src1_sel:DWORD
	v_lshlrev_b16 v8, 8, v8
	v_and_b32_sdwa v25, v7, v21 dst_sel:DWORD dst_unused:UNUSED_PAD src0_sel:WORD_1 src1_sel:DWORD
	v_lshrrev_b32_sdwa v22, v22, v5 dst_sel:BYTE_1 dst_unused:UNUSED_PAD src0_sel:DWORD src1_sel:DWORD
	v_and_b32_sdwa v21, v5, v21 dst_sel:DWORD dst_unused:UNUSED_PAD src0_sel:WORD_1 src1_sel:DWORD
	v_lshrrev_b32_sdwa v5, v6, v5 dst_sel:BYTE_1 dst_unused:UNUSED_PAD src0_sel:DWORD src1_sel:DWORD
	v_or_b32_sdwa v6, v7, v24 dst_sel:DWORD dst_unused:UNUSED_PAD src0_sel:BYTE_0 src1_sel:DWORD
	v_or_b32_sdwa v7, v25, v8 dst_sel:WORD_1 dst_unused:UNUSED_PAD src0_sel:DWORD src1_sel:DWORD
	v_or_b32_sdwa v8, v21, v22 dst_sel:WORD_1 dst_unused:UNUSED_PAD src0_sel:DWORD src1_sel:DWORD
	v_or_b32_e32 v5, v23, v5
	v_or_b32_sdwa v30, v6, v7 dst_sel:DWORD dst_unused:UNUSED_PAD src0_sel:WORD_0 src1_sel:DWORD
	v_or_b32_sdwa v6, v5, v8 dst_sel:DWORD dst_unused:UNUSED_PAD src0_sel:WORD_0 src1_sel:DWORD
.LBB1982_55:
	s_or_b32 exec_lo, exec_lo, s1
	v_add_nc_u32_e32 v5, 4, v29
                                        ; implicit-def: $vgpr7
	v_cmp_le_u32_e32 vcc_lo, s7, v5
                                        ; implicit-def: $vgpr5
	s_and_saveexec_b32 s0, vcc_lo
	s_xor_b32 s0, exec_lo, s0
	s_cbranch_execz .LBB1982_57
; %bb.56:
	v_mov_b32_e32 v5, 24
	v_mov_b32_e32 v7, 0xff
	;; [unrolled: 1-line block ×3, first 2 shown]
	v_perm_b32 v3, v3, v3, 0x3060504
	v_lshrrev_b32_sdwa v21, v5, v4 dst_sel:BYTE_1 dst_unused:UNUSED_PAD src0_sel:DWORD src1_sel:DWORD
	v_and_b32_sdwa v22, v4, v7 dst_sel:DWORD dst_unused:UNUSED_PAD src0_sel:WORD_1 src1_sel:DWORD
	v_lshrrev_b32_sdwa v5, v5, v6 dst_sel:BYTE_1 dst_unused:UNUSED_PAD src0_sel:DWORD src1_sel:DWORD
	v_and_b32_sdwa v7, v6, v7 dst_sel:DWORD dst_unused:UNUSED_PAD src0_sel:WORD_1 src1_sel:DWORD
	v_lshrrev_b32_sdwa v4, v8, v4 dst_sel:BYTE_1 dst_unused:UNUSED_PAD src0_sel:DWORD src1_sel:DWORD
	v_or_b32_sdwa v8, v22, v21 dst_sel:WORD_1 dst_unused:UNUSED_PAD src0_sel:DWORD src1_sel:DWORD
	v_or_b32_e32 v7, v7, v5
	v_or_b32_sdwa v5, v4, v8 dst_sel:DWORD dst_unused:UNUSED_PAD src0_sel:WORD_0 src1_sel:DWORD
                                        ; implicit-def: $vgpr4
	v_perm_b32 v7, v7, v6, 0x5040c00
                                        ; implicit-def: $vgpr6
.LBB1982_57:
	s_andn2_saveexec_b32 s1, s0
	s_cbranch_execz .LBB1982_61
; %bb.58:
	v_add_nc_u32_e32 v5, s17, v15
	v_add_nc_u32_e32 v7, s19, v15
	s_mov_b32 s2, 0
	s_mov_b32 s3, exec_lo
	v_mul_lo_u32 v5, v5, s16
	v_mul_lo_u32 v7, v7, s18
	v_sub_nc_u32_e32 v5, v5, v7
	v_cmp_lt_u32_e32 vcc_lo, s20, v5
	v_cmpx_ge_u32_e64 s20, v5
	s_cbranch_execz .LBB1982_60
; %bb.59:
	v_add_nc_u32_e32 v5, s22, v15
	v_add_nc_u32_e32 v7, s40, v15
	v_mul_lo_u32 v5, v5, s21
	v_mul_lo_u32 v7, v7, s23
	v_sub_nc_u32_e32 v5, v5, v7
	v_cmp_lt_u32_e64 s0, s41, v5
	s_and_b32 s2, s0, exec_lo
.LBB1982_60:
	s_or_b32 exec_lo, exec_lo, s3
	v_mov_b32_e32 v5, 24
	v_mov_b32_e32 v7, 0xff
	;; [unrolled: 1-line block ×3, first 2 shown]
	v_cndmask_b32_e64 v21, 0, 1, s2
	v_cndmask_b32_e64 v22, 0, 1, vcc_lo
	v_lshrrev_b32_sdwa v23, v5, v4 dst_sel:BYTE_1 dst_unused:UNUSED_PAD src0_sel:DWORD src1_sel:DWORD
	v_and_b32_sdwa v24, v4, v7 dst_sel:DWORD dst_unused:UNUSED_PAD src0_sel:WORD_1 src1_sel:DWORD
	v_lshrrev_b32_sdwa v4, v8, v4 dst_sel:BYTE_1 dst_unused:UNUSED_PAD src0_sel:DWORD src1_sel:DWORD
	v_lshlrev_b16 v8, 8, v21
	v_lshrrev_b32_sdwa v5, v5, v6 dst_sel:BYTE_1 dst_unused:UNUSED_PAD src0_sel:DWORD src1_sel:DWORD
	v_and_b32_sdwa v7, v6, v7 dst_sel:DWORD dst_unused:UNUSED_PAD src0_sel:WORD_1 src1_sel:DWORD
	v_or_b32_sdwa v21, v24, v23 dst_sel:WORD_1 dst_unused:UNUSED_PAD src0_sel:DWORD src1_sel:DWORD
	v_or_b32_e32 v4, v22, v4
	v_or_b32_sdwa v6, v6, v8 dst_sel:DWORD dst_unused:UNUSED_PAD src0_sel:BYTE_0 src1_sel:DWORD
	v_or_b32_sdwa v7, v7, v5 dst_sel:WORD_1 dst_unused:UNUSED_PAD src0_sel:DWORD src1_sel:DWORD
	v_or_b32_sdwa v5, v4, v21 dst_sel:DWORD dst_unused:UNUSED_PAD src0_sel:WORD_0 src1_sel:DWORD
	v_or_b32_sdwa v7, v6, v7 dst_sel:DWORD dst_unused:UNUSED_PAD src0_sel:WORD_0 src1_sel:DWORD
.LBB1982_61:
	s_or_b32 exec_lo, exec_lo, s1
	v_add_nc_u32_e32 v4, 5, v29
                                        ; implicit-def: $vgpr6
	v_cmp_le_u32_e32 vcc_lo, s7, v4
                                        ; implicit-def: $vgpr4
	s_and_saveexec_b32 s0, vcc_lo
	s_xor_b32 s0, exec_lo, s0
	s_cbranch_execz .LBB1982_63
; %bb.62:
	v_lshrrev_b32_e32 v4, 24, v7
	v_mov_b32_e32 v6, 8
	v_mov_b32_e32 v8, 0xff
	v_perm_b32 v3, v3, v3, 0x3060504
	v_perm_b32 v4, v4, v7, 0x40c0100
	v_mov_b32_e32 v7, 24
	v_and_b32_sdwa v8, v5, v8 dst_sel:DWORD dst_unused:UNUSED_PAD src0_sel:WORD_1 src1_sel:DWORD
	v_lshrrev_b32_sdwa v6, v6, v4 dst_sel:BYTE_1 dst_unused:UNUSED_PAD src0_sel:DWORD src1_sel:DWORD
	v_lshrrev_b32_sdwa v7, v7, v5 dst_sel:BYTE_1 dst_unused:UNUSED_PAD src0_sel:DWORD src1_sel:DWORD
	v_or_b32_sdwa v6, v4, v6 dst_sel:DWORD dst_unused:UNUSED_PAD src0_sel:BYTE_0 src1_sel:DWORD
	v_or_b32_e32 v7, v8, v7
	v_and_b32_e32 v8, 0xffff, v6
	v_perm_b32 v6, v7, v5, 0x5040c00
                                        ; implicit-def: $vgpr5
                                        ; implicit-def: $vgpr7
	v_and_or_b32 v4, 0xff000000, v4, v8
.LBB1982_63:
	s_andn2_saveexec_b32 s1, s0
	s_cbranch_execz .LBB1982_67
; %bb.64:
	v_add_nc_u32_e32 v4, s17, v16
	v_add_nc_u32_e32 v6, s19, v16
	s_mov_b32 s2, 0
	s_mov_b32 s3, exec_lo
	v_mul_lo_u32 v4, v4, s16
	v_mul_lo_u32 v6, v6, s18
	v_sub_nc_u32_e32 v4, v4, v6
	v_cmp_lt_u32_e32 vcc_lo, s20, v4
	v_cmpx_ge_u32_e64 s20, v4
	s_cbranch_execz .LBB1982_66
; %bb.65:
	v_add_nc_u32_e32 v4, s22, v16
	v_add_nc_u32_e32 v6, s40, v16
	v_mul_lo_u32 v4, v4, s21
	v_mul_lo_u32 v6, v6, s23
	v_sub_nc_u32_e32 v4, v4, v6
	v_cmp_lt_u32_e64 s0, s41, v4
	s_and_b32 s2, s0, exec_lo
.LBB1982_66:
	s_or_b32 exec_lo, exec_lo, s3
	v_cndmask_b32_e64 v4, 0, 1, vcc_lo
	v_mov_b32_e32 v6, 24
	v_mov_b32_e32 v8, 0xff
	;; [unrolled: 1-line block ×3, first 2 shown]
	v_cndmask_b32_e64 v22, 0, 1, s2
	v_lshlrev_b16 v4, 8, v4
	v_lshrrev_b32_sdwa v23, v6, v5 dst_sel:BYTE_1 dst_unused:UNUSED_PAD src0_sel:DWORD src1_sel:DWORD
	v_and_b32_sdwa v8, v5, v8 dst_sel:DWORD dst_unused:UNUSED_PAD src0_sel:WORD_1 src1_sel:DWORD
	v_lshrrev_b32_sdwa v21, v21, v7 dst_sel:BYTE_1 dst_unused:UNUSED_PAD src0_sel:DWORD src1_sel:DWORD
	v_lshrrev_b32_sdwa v6, v6, v7 dst_sel:BYTE_1 dst_unused:UNUSED_PAD src0_sel:DWORD src1_sel:DWORD
	v_or_b32_sdwa v4, v5, v4 dst_sel:DWORD dst_unused:UNUSED_PAD src0_sel:BYTE_0 src1_sel:DWORD
	v_or_b32_sdwa v5, v8, v23 dst_sel:WORD_1 dst_unused:UNUSED_PAD src0_sel:DWORD src1_sel:DWORD
	v_or_b32_sdwa v7, v7, v21 dst_sel:DWORD dst_unused:UNUSED_PAD src0_sel:BYTE_0 src1_sel:DWORD
	v_or_b32_sdwa v8, v22, v6 dst_sel:WORD_1 dst_unused:UNUSED_PAD src0_sel:DWORD src1_sel:DWORD
	v_or_b32_sdwa v6, v4, v5 dst_sel:DWORD dst_unused:UNUSED_PAD src0_sel:WORD_0 src1_sel:DWORD
	v_or_b32_sdwa v4, v7, v8 dst_sel:DWORD dst_unused:UNUSED_PAD src0_sel:WORD_0 src1_sel:DWORD
.LBB1982_67:
	s_or_b32 exec_lo, exec_lo, s1
	v_add_nc_u32_e32 v5, 6, v29
                                        ; implicit-def: $vgpr31
	v_cmp_le_u32_e32 vcc_lo, s7, v5
                                        ; implicit-def: $vgpr5
	s_and_saveexec_b32 s0, vcc_lo
	s_xor_b32 s0, exec_lo, s0
	s_cbranch_execz .LBB1982_69
; %bb.68:
	v_lshrrev_b32_e32 v5, 24, v6
	v_mov_b32_e32 v7, 8
	v_perm_b32 v3, v3, v3, 0x3060504
	v_perm_b32 v5, v5, v6, 0x40c0100
	v_lshrrev_b32_sdwa v6, v7, v5 dst_sel:BYTE_1 dst_unused:UNUSED_PAD src0_sel:DWORD src1_sel:DWORD
	v_and_b32_e32 v7, 0xff0000, v4
	v_or_b32_sdwa v6, v5, v6 dst_sel:DWORD dst_unused:UNUSED_PAD src0_sel:BYTE_0 src1_sel:DWORD
	v_perm_b32 v31, v4, v7, 0x3020504
                                        ; implicit-def: $vgpr4
	v_and_b32_e32 v6, 0xffff, v6
	v_and_or_b32 v5, 0xff000000, v5, v6
                                        ; implicit-def: $vgpr6
.LBB1982_69:
	s_andn2_saveexec_b32 s1, s0
	s_cbranch_execz .LBB1982_73
; %bb.70:
	v_add_nc_u32_e32 v5, s17, v13
	v_add_nc_u32_e32 v7, s19, v13
	s_mov_b32 s2, 0
	s_mov_b32 s3, exec_lo
	v_mul_lo_u32 v5, v5, s16
	v_mul_lo_u32 v7, v7, s18
	v_sub_nc_u32_e32 v5, v5, v7
	v_cmp_lt_u32_e32 vcc_lo, s20, v5
	v_cmpx_ge_u32_e64 s20, v5
	s_cbranch_execz .LBB1982_72
; %bb.71:
	v_add_nc_u32_e32 v5, s22, v13
	v_add_nc_u32_e32 v7, s40, v13
	v_mul_lo_u32 v5, v5, s21
	v_mul_lo_u32 v7, v7, s23
	v_sub_nc_u32_e32 v5, v5, v7
	v_cmp_lt_u32_e64 s0, s41, v5
	s_and_b32 s2, s0, exec_lo
.LBB1982_72:
	s_or_b32 exec_lo, exec_lo, s3
	v_mov_b32_e32 v5, 8
	v_mov_b32_e32 v7, 24
	v_cndmask_b32_e64 v21, 0, 1, s2
	v_mov_b32_e32 v22, 0xff
	v_cndmask_b32_e64 v8, 0, 1, vcc_lo
	v_lshrrev_b32_sdwa v23, v5, v6 dst_sel:BYTE_1 dst_unused:UNUSED_PAD src0_sel:DWORD src1_sel:DWORD
	v_lshrrev_b32_sdwa v7, v7, v6 dst_sel:BYTE_1 dst_unused:UNUSED_PAD src0_sel:DWORD src1_sel:DWORD
	v_lshrrev_b32_sdwa v5, v5, v4 dst_sel:BYTE_1 dst_unused:UNUSED_PAD src0_sel:DWORD src1_sel:DWORD
	v_lshlrev_b16 v21, 8, v21
	v_and_b32_sdwa v22, v4, v22 dst_sel:DWORD dst_unused:UNUSED_PAD src0_sel:WORD_1 src1_sel:DWORD
	v_or_b32_sdwa v6, v6, v23 dst_sel:DWORD dst_unused:UNUSED_PAD src0_sel:BYTE_0 src1_sel:DWORD
	v_or_b32_sdwa v7, v8, v7 dst_sel:WORD_1 dst_unused:UNUSED_PAD src0_sel:DWORD src1_sel:DWORD
	v_or_b32_sdwa v4, v4, v5 dst_sel:DWORD dst_unused:UNUSED_PAD src0_sel:BYTE_0 src1_sel:DWORD
	v_or_b32_sdwa v8, v22, v21 dst_sel:WORD_1 dst_unused:UNUSED_PAD src0_sel:DWORD src1_sel:DWORD
	v_or_b32_sdwa v5, v6, v7 dst_sel:DWORD dst_unused:UNUSED_PAD src0_sel:WORD_0 src1_sel:DWORD
	v_or_b32_sdwa v31, v4, v8 dst_sel:DWORD dst_unused:UNUSED_PAD src0_sel:WORD_0 src1_sel:DWORD
.LBB1982_73:
	s_or_b32 exec_lo, exec_lo, s1
	v_add_nc_u32_e32 v4, 7, v29
                                        ; implicit-def: $vgpr32
	v_cmp_le_u32_e32 vcc_lo, s7, v4
                                        ; implicit-def: $vgpr4
	s_and_saveexec_b32 s0, vcc_lo
	s_xor_b32 s0, exec_lo, s0
	s_cbranch_execz .LBB1982_75
; %bb.74:
	v_mov_b32_e32 v4, 24
	v_mov_b32_e32 v6, 0xff
	;; [unrolled: 1-line block ×3, first 2 shown]
	v_lshrrev_b32_sdwa v4, v4, v3 dst_sel:BYTE_1 dst_unused:UNUSED_PAD src0_sel:DWORD src1_sel:DWORD
	v_and_b32_sdwa v6, v3, v6 dst_sel:DWORD dst_unused:UNUSED_PAD src0_sel:WORD_1 src1_sel:DWORD
	v_lshrrev_b32_sdwa v3, v7, v3 dst_sel:BYTE_1 dst_unused:UNUSED_PAD src0_sel:DWORD src1_sel:DWORD
	v_and_b32_e32 v7, 0xff0000, v5
	v_or_b32_sdwa v4, v6, v4 dst_sel:WORD_1 dst_unused:UNUSED_PAD src0_sel:DWORD src1_sel:DWORD
	v_perm_b32 v32, v5, v7, 0x3020504
                                        ; implicit-def: $vgpr5
	v_or_b32_sdwa v4, v3, v4 dst_sel:DWORD dst_unused:UNUSED_PAD src0_sel:WORD_0 src1_sel:DWORD
                                        ; implicit-def: $vgpr3
.LBB1982_75:
	s_andn2_saveexec_b32 s1, s0
	s_cbranch_execz .LBB1982_79
; %bb.76:
	v_add_nc_u32_e32 v4, s17, v14
	v_add_nc_u32_e32 v6, s19, v14
	s_mov_b32 s2, 0
	s_mov_b32 s3, exec_lo
	v_mul_lo_u32 v4, v4, s16
	v_mul_lo_u32 v6, v6, s18
	v_sub_nc_u32_e32 v4, v4, v6
	v_cmp_lt_u32_e32 vcc_lo, s20, v4
	v_cmpx_ge_u32_e64 s20, v4
	s_cbranch_execz .LBB1982_78
; %bb.77:
	v_add_nc_u32_e32 v4, s22, v14
	v_add_nc_u32_e32 v6, s40, v14
	v_mul_lo_u32 v4, v4, s21
	v_mul_lo_u32 v6, v6, s23
	v_sub_nc_u32_e32 v4, v4, v6
	v_cmp_lt_u32_e64 s0, s41, v4
	s_and_b32 s2, s0, exec_lo
.LBB1982_78:
	s_or_b32 exec_lo, exec_lo, s3
	v_mov_b32_e32 v4, 8
	v_cndmask_b32_e64 v6, 0, 1, vcc_lo
	v_mov_b32_e32 v7, 0xff
	v_mov_b32_e32 v8, 24
	v_cndmask_b32_e64 v21, 0, 1, s2
	v_lshrrev_b32_sdwa v22, v4, v5 dst_sel:BYTE_1 dst_unused:UNUSED_PAD src0_sel:DWORD src1_sel:DWORD
	v_lshlrev_b16 v6, 8, v6
	v_and_b32_sdwa v23, v5, v7 dst_sel:DWORD dst_unused:UNUSED_PAD src0_sel:WORD_1 src1_sel:DWORD
	v_lshrrev_b32_sdwa v8, v8, v3 dst_sel:BYTE_1 dst_unused:UNUSED_PAD src0_sel:DWORD src1_sel:DWORD
	v_and_b32_sdwa v7, v3, v7 dst_sel:DWORD dst_unused:UNUSED_PAD src0_sel:WORD_1 src1_sel:DWORD
	v_lshrrev_b32_sdwa v3, v4, v3 dst_sel:BYTE_1 dst_unused:UNUSED_PAD src0_sel:DWORD src1_sel:DWORD
	v_or_b32_sdwa v4, v5, v22 dst_sel:DWORD dst_unused:UNUSED_PAD src0_sel:BYTE_0 src1_sel:DWORD
	v_or_b32_sdwa v5, v23, v6 dst_sel:WORD_1 dst_unused:UNUSED_PAD src0_sel:DWORD src1_sel:DWORD
	v_or_b32_sdwa v6, v7, v8 dst_sel:WORD_1 dst_unused:UNUSED_PAD src0_sel:DWORD src1_sel:DWORD
	v_or_b32_e32 v3, v21, v3
	v_or_b32_sdwa v32, v4, v5 dst_sel:DWORD dst_unused:UNUSED_PAD src0_sel:WORD_0 src1_sel:DWORD
	v_or_b32_sdwa v4, v3, v6 dst_sel:DWORD dst_unused:UNUSED_PAD src0_sel:WORD_0 src1_sel:DWORD
.LBB1982_79:
	s_or_b32 exec_lo, exec_lo, s1
	v_add_nc_u32_e32 v3, 8, v29
                                        ; implicit-def: $vgpr5
	v_cmp_le_u32_e32 vcc_lo, s7, v3
                                        ; implicit-def: $vgpr3
	s_and_saveexec_b32 s0, vcc_lo
	s_xor_b32 s0, exec_lo, s0
	s_cbranch_execz .LBB1982_81
; %bb.80:
	v_mov_b32_e32 v3, 24
	v_mov_b32_e32 v5, 0xff
	;; [unrolled: 1-line block ×3, first 2 shown]
	v_perm_b32 v1, v1, v1, 0x3060504
	v_lshrrev_b32_sdwa v7, v3, v4 dst_sel:BYTE_1 dst_unused:UNUSED_PAD src0_sel:DWORD src1_sel:DWORD
	v_lshrrev_b32_sdwa v3, v3, v2 dst_sel:BYTE_1 dst_unused:UNUSED_PAD src0_sel:DWORD src1_sel:DWORD
	v_and_b32_sdwa v8, v2, v5 dst_sel:DWORD dst_unused:UNUSED_PAD src0_sel:WORD_1 src1_sel:DWORD
	v_and_b32_sdwa v5, v4, v5 dst_sel:DWORD dst_unused:UNUSED_PAD src0_sel:WORD_1 src1_sel:DWORD
	v_lshrrev_b32_sdwa v2, v6, v2 dst_sel:BYTE_1 dst_unused:UNUSED_PAD src0_sel:DWORD src1_sel:DWORD
	v_or_b32_sdwa v3, v8, v3 dst_sel:WORD_1 dst_unused:UNUSED_PAD src0_sel:DWORD src1_sel:DWORD
	v_or_b32_e32 v5, v5, v7
	v_or_b32_sdwa v3, v2, v3 dst_sel:DWORD dst_unused:UNUSED_PAD src0_sel:WORD_0 src1_sel:DWORD
	v_perm_b32 v5, v5, v4, 0x5040c00
                                        ; implicit-def: $vgpr2
                                        ; implicit-def: $vgpr4
.LBB1982_81:
	s_andn2_saveexec_b32 s1, s0
	s_cbranch_execz .LBB1982_85
; %bb.82:
	v_add_nc_u32_e32 v3, s17, v11
	v_add_nc_u32_e32 v5, s19, v11
	s_mov_b32 s2, 0
	s_mov_b32 s3, exec_lo
	v_mul_lo_u32 v3, v3, s16
	v_mul_lo_u32 v5, v5, s18
	v_sub_nc_u32_e32 v3, v3, v5
	v_cmp_lt_u32_e32 vcc_lo, s20, v3
	v_cmpx_ge_u32_e64 s20, v3
	s_cbranch_execz .LBB1982_84
; %bb.83:
	v_add_nc_u32_e32 v3, s22, v11
	v_add_nc_u32_e32 v5, s40, v11
	v_mul_lo_u32 v3, v3, s21
	v_mul_lo_u32 v5, v5, s23
	v_sub_nc_u32_e32 v3, v3, v5
	v_cmp_lt_u32_e64 s0, s41, v3
	s_and_b32 s2, s0, exec_lo
.LBB1982_84:
	s_or_b32 exec_lo, exec_lo, s3
	v_mov_b32_e32 v3, 24
	v_mov_b32_e32 v5, 0xff
	v_mov_b32_e32 v6, 8
	v_cndmask_b32_e64 v7, 0, 1, s2
	v_cndmask_b32_e64 v8, 0, 1, vcc_lo
	v_lshrrev_b32_sdwa v21, v3, v2 dst_sel:BYTE_1 dst_unused:UNUSED_PAD src0_sel:DWORD src1_sel:DWORD
	v_and_b32_sdwa v22, v2, v5 dst_sel:DWORD dst_unused:UNUSED_PAD src0_sel:WORD_1 src1_sel:DWORD
	v_lshrrev_b32_sdwa v2, v6, v2 dst_sel:BYTE_1 dst_unused:UNUSED_PAD src0_sel:DWORD src1_sel:DWORD
	v_lshlrev_b16 v6, 8, v7
	v_lshrrev_b32_sdwa v3, v3, v4 dst_sel:BYTE_1 dst_unused:UNUSED_PAD src0_sel:DWORD src1_sel:DWORD
	v_and_b32_sdwa v5, v4, v5 dst_sel:DWORD dst_unused:UNUSED_PAD src0_sel:WORD_1 src1_sel:DWORD
	v_or_b32_sdwa v7, v22, v21 dst_sel:WORD_1 dst_unused:UNUSED_PAD src0_sel:DWORD src1_sel:DWORD
	v_or_b32_e32 v2, v8, v2
	v_or_b32_sdwa v4, v4, v6 dst_sel:DWORD dst_unused:UNUSED_PAD src0_sel:BYTE_0 src1_sel:DWORD
	v_or_b32_sdwa v5, v5, v3 dst_sel:WORD_1 dst_unused:UNUSED_PAD src0_sel:DWORD src1_sel:DWORD
	v_or_b32_sdwa v3, v2, v7 dst_sel:DWORD dst_unused:UNUSED_PAD src0_sel:WORD_0 src1_sel:DWORD
	v_or_b32_sdwa v5, v4, v5 dst_sel:DWORD dst_unused:UNUSED_PAD src0_sel:WORD_0 src1_sel:DWORD
.LBB1982_85:
	s_or_b32 exec_lo, exec_lo, s1
	v_add_nc_u32_e32 v2, 9, v29
                                        ; implicit-def: $vgpr4
	v_cmp_le_u32_e32 vcc_lo, s7, v2
                                        ; implicit-def: $vgpr2
	s_and_saveexec_b32 s0, vcc_lo
	s_xor_b32 s0, exec_lo, s0
	s_cbranch_execz .LBB1982_87
; %bb.86:
	v_lshrrev_b32_e32 v2, 24, v5
	v_mov_b32_e32 v4, 8
	v_mov_b32_e32 v6, 0xff
	v_perm_b32 v1, v1, v1, 0x3060504
	v_perm_b32 v2, v2, v5, 0x40c0100
	v_mov_b32_e32 v5, 24
	v_and_b32_sdwa v6, v3, v6 dst_sel:DWORD dst_unused:UNUSED_PAD src0_sel:WORD_1 src1_sel:DWORD
	v_lshrrev_b32_sdwa v4, v4, v2 dst_sel:BYTE_1 dst_unused:UNUSED_PAD src0_sel:DWORD src1_sel:DWORD
	v_lshrrev_b32_sdwa v5, v5, v3 dst_sel:BYTE_1 dst_unused:UNUSED_PAD src0_sel:DWORD src1_sel:DWORD
	v_or_b32_sdwa v4, v2, v4 dst_sel:DWORD dst_unused:UNUSED_PAD src0_sel:BYTE_0 src1_sel:DWORD
	v_or_b32_e32 v5, v6, v5
	v_and_b32_e32 v6, 0xffff, v4
	v_perm_b32 v4, v5, v3, 0x5040c00
                                        ; implicit-def: $vgpr3
                                        ; implicit-def: $vgpr5
	v_and_or_b32 v2, 0xff000000, v2, v6
.LBB1982_87:
	s_andn2_saveexec_b32 s1, s0
	s_cbranch_execz .LBB1982_91
; %bb.88:
	v_add_nc_u32_e32 v2, s17, v12
	v_add_nc_u32_e32 v4, s19, v12
	s_mov_b32 s2, 0
	s_mov_b32 s3, exec_lo
	v_mul_lo_u32 v2, v2, s16
	v_mul_lo_u32 v4, v4, s18
	v_sub_nc_u32_e32 v2, v2, v4
	v_cmp_lt_u32_e32 vcc_lo, s20, v2
	v_cmpx_ge_u32_e64 s20, v2
	s_cbranch_execz .LBB1982_90
; %bb.89:
	v_add_nc_u32_e32 v2, s22, v12
	v_add_nc_u32_e32 v4, s40, v12
	v_mul_lo_u32 v2, v2, s21
	v_mul_lo_u32 v4, v4, s23
	v_sub_nc_u32_e32 v2, v2, v4
	v_cmp_lt_u32_e64 s0, s41, v2
	s_and_b32 s2, s0, exec_lo
.LBB1982_90:
	s_or_b32 exec_lo, exec_lo, s3
	v_cndmask_b32_e64 v2, 0, 1, vcc_lo
	v_mov_b32_e32 v4, 24
	v_mov_b32_e32 v6, 0xff
	v_mov_b32_e32 v7, 8
	v_cndmask_b32_e64 v8, 0, 1, s2
	v_lshlrev_b16 v2, 8, v2
	v_lshrrev_b32_sdwa v21, v4, v3 dst_sel:BYTE_1 dst_unused:UNUSED_PAD src0_sel:DWORD src1_sel:DWORD
	v_and_b32_sdwa v6, v3, v6 dst_sel:DWORD dst_unused:UNUSED_PAD src0_sel:WORD_1 src1_sel:DWORD
	v_lshrrev_b32_sdwa v7, v7, v5 dst_sel:BYTE_1 dst_unused:UNUSED_PAD src0_sel:DWORD src1_sel:DWORD
	v_lshrrev_b32_sdwa v4, v4, v5 dst_sel:BYTE_1 dst_unused:UNUSED_PAD src0_sel:DWORD src1_sel:DWORD
	v_or_b32_sdwa v2, v3, v2 dst_sel:DWORD dst_unused:UNUSED_PAD src0_sel:BYTE_0 src1_sel:DWORD
	v_or_b32_sdwa v3, v6, v21 dst_sel:WORD_1 dst_unused:UNUSED_PAD src0_sel:DWORD src1_sel:DWORD
	v_or_b32_sdwa v5, v5, v7 dst_sel:DWORD dst_unused:UNUSED_PAD src0_sel:BYTE_0 src1_sel:DWORD
	v_or_b32_sdwa v6, v8, v4 dst_sel:WORD_1 dst_unused:UNUSED_PAD src0_sel:DWORD src1_sel:DWORD
	v_or_b32_sdwa v4, v2, v3 dst_sel:DWORD dst_unused:UNUSED_PAD src0_sel:WORD_0 src1_sel:DWORD
	v_or_b32_sdwa v2, v5, v6 dst_sel:DWORD dst_unused:UNUSED_PAD src0_sel:WORD_0 src1_sel:DWORD
.LBB1982_91:
	s_or_b32 exec_lo, exec_lo, s1
	v_add_nc_u32_e32 v3, 10, v29
                                        ; implicit-def: $vgpr33
	v_cmp_le_u32_e32 vcc_lo, s7, v3
                                        ; implicit-def: $vgpr3
	s_and_saveexec_b32 s0, vcc_lo
	s_xor_b32 s0, exec_lo, s0
	s_cbranch_execz .LBB1982_93
; %bb.92:
	v_lshrrev_b32_e32 v3, 24, v4
	v_mov_b32_e32 v5, 8
	v_perm_b32 v1, v1, v1, 0x3060504
	v_perm_b32 v3, v3, v4, 0x40c0100
	v_lshrrev_b32_sdwa v4, v5, v3 dst_sel:BYTE_1 dst_unused:UNUSED_PAD src0_sel:DWORD src1_sel:DWORD
	v_and_b32_e32 v5, 0xff0000, v2
	v_or_b32_sdwa v4, v3, v4 dst_sel:DWORD dst_unused:UNUSED_PAD src0_sel:BYTE_0 src1_sel:DWORD
	v_perm_b32 v33, v2, v5, 0x3020504
                                        ; implicit-def: $vgpr2
	v_and_b32_e32 v4, 0xffff, v4
	v_and_or_b32 v3, 0xff000000, v3, v4
                                        ; implicit-def: $vgpr4
.LBB1982_93:
	s_andn2_saveexec_b32 s1, s0
	s_cbranch_execz .LBB1982_97
; %bb.94:
	v_add_nc_u32_e32 v3, s17, v9
	v_add_nc_u32_e32 v5, s19, v9
	s_mov_b32 s2, 0
	s_mov_b32 s3, exec_lo
	v_mul_lo_u32 v3, v3, s16
	v_mul_lo_u32 v5, v5, s18
	v_sub_nc_u32_e32 v3, v3, v5
	v_cmp_lt_u32_e32 vcc_lo, s20, v3
	v_cmpx_ge_u32_e64 s20, v3
	s_cbranch_execz .LBB1982_96
; %bb.95:
	v_add_nc_u32_e32 v3, s22, v9
	v_add_nc_u32_e32 v5, s40, v9
	v_mul_lo_u32 v3, v3, s21
	v_mul_lo_u32 v5, v5, s23
	v_sub_nc_u32_e32 v3, v3, v5
	v_cmp_lt_u32_e64 s0, s41, v3
	s_and_b32 s2, s0, exec_lo
.LBB1982_96:
	s_or_b32 exec_lo, exec_lo, s3
	v_mov_b32_e32 v3, 8
	v_mov_b32_e32 v5, 24
	v_cndmask_b32_e64 v7, 0, 1, s2
	v_mov_b32_e32 v8, 0xff
	v_cndmask_b32_e64 v6, 0, 1, vcc_lo
	v_lshrrev_b32_sdwa v21, v3, v4 dst_sel:BYTE_1 dst_unused:UNUSED_PAD src0_sel:DWORD src1_sel:DWORD
	v_lshrrev_b32_sdwa v5, v5, v4 dst_sel:BYTE_1 dst_unused:UNUSED_PAD src0_sel:DWORD src1_sel:DWORD
	;; [unrolled: 1-line block ×3, first 2 shown]
	v_lshlrev_b16 v7, 8, v7
	v_and_b32_sdwa v8, v2, v8 dst_sel:DWORD dst_unused:UNUSED_PAD src0_sel:WORD_1 src1_sel:DWORD
	v_or_b32_sdwa v4, v4, v21 dst_sel:DWORD dst_unused:UNUSED_PAD src0_sel:BYTE_0 src1_sel:DWORD
	v_or_b32_sdwa v5, v6, v5 dst_sel:WORD_1 dst_unused:UNUSED_PAD src0_sel:DWORD src1_sel:DWORD
	v_or_b32_sdwa v2, v2, v3 dst_sel:DWORD dst_unused:UNUSED_PAD src0_sel:BYTE_0 src1_sel:DWORD
	v_or_b32_sdwa v6, v8, v7 dst_sel:WORD_1 dst_unused:UNUSED_PAD src0_sel:DWORD src1_sel:DWORD
	v_or_b32_sdwa v3, v4, v5 dst_sel:DWORD dst_unused:UNUSED_PAD src0_sel:WORD_0 src1_sel:DWORD
	v_or_b32_sdwa v33, v2, v6 dst_sel:DWORD dst_unused:UNUSED_PAD src0_sel:WORD_0 src1_sel:DWORD
.LBB1982_97:
	s_or_b32 exec_lo, exec_lo, s1
	v_add_nc_u32_e32 v2, 11, v29
	v_mov_b32_e32 v34, 0
	s_mov_b32 s0, exec_lo
                                        ; implicit-def: $vgpr35
	v_cmpx_le_u32_e64 s7, v2
	s_xor_b32 s0, exec_lo, s0
; %bb.98:
	v_and_b32_e32 v2, 0xff0000, v3
	v_perm_b32 v1, v1, v1, 0x3060504
	v_perm_b32 v35, v3, v2, 0x3020504
                                        ; implicit-def: $vgpr3
; %bb.99:
	s_andn2_saveexec_b32 s1, s0
	s_cbranch_execz .LBB1982_103
; %bb.100:
	v_add_nc_u32_e32 v2, s17, v10
	v_add_nc_u32_e32 v4, s19, v10
	s_mov_b32 s2, 0
	s_mov_b32 s3, exec_lo
	v_mul_lo_u32 v2, v2, s16
	v_mul_lo_u32 v4, v4, s18
	v_sub_nc_u32_e32 v2, v2, v4
	v_cmp_lt_u32_e32 vcc_lo, s20, v2
	v_cmpx_ge_u32_e64 s20, v2
	s_cbranch_execz .LBB1982_102
; %bb.101:
	v_add_nc_u32_e32 v2, s22, v10
	v_add_nc_u32_e32 v4, s40, v10
	v_mul_lo_u32 v2, v2, s21
	v_mul_lo_u32 v4, v4, s23
	v_sub_nc_u32_e32 v2, v2, v4
	v_cmp_lt_u32_e64 s0, s41, v2
	s_and_b32 s2, s0, exec_lo
.LBB1982_102:
	s_or_b32 exec_lo, exec_lo, s3
	v_mov_b32_e32 v2, 8
	v_cndmask_b32_e64 v4, 0, 1, vcc_lo
	v_mov_b32_e32 v5, 0xff
	v_cndmask_b32_e64 v34, 0, 1, s2
	v_lshrrev_b32_sdwa v2, v2, v3 dst_sel:BYTE_1 dst_unused:UNUSED_PAD src0_sel:DWORD src1_sel:DWORD
	v_lshlrev_b16 v4, 8, v4
	v_and_b32_sdwa v5, v3, v5 dst_sel:DWORD dst_unused:UNUSED_PAD src0_sel:WORD_1 src1_sel:DWORD
	v_or_b32_sdwa v2, v3, v2 dst_sel:DWORD dst_unused:UNUSED_PAD src0_sel:BYTE_0 src1_sel:DWORD
	v_or_b32_sdwa v3, v5, v4 dst_sel:WORD_1 dst_unused:UNUSED_PAD src0_sel:DWORD src1_sel:DWORD
	v_or_b32_sdwa v35, v2, v3 dst_sel:DWORD dst_unused:UNUSED_PAD src0_sel:WORD_0 src1_sel:DWORD
.LBB1982_103:
	s_or_b32 exec_lo, exec_lo, s1
	v_add_nc_u32_e32 v2, 12, v29
	s_mov_b32 s0, exec_lo
                                        ; implicit-def: $vgpr36
	v_cmpx_le_u32_e64 s7, v2
	s_xor_b32 s0, exec_lo, s0
	s_cbranch_execz .LBB1982_105
; %bb.104:
	v_mov_b32_e32 v2, 24
	v_mov_b32_e32 v3, 0xff
	;; [unrolled: 1-line block ×3, first 2 shown]
	v_lshrrev_b32_sdwa v2, v2, v1 dst_sel:BYTE_1 dst_unused:UNUSED_PAD src0_sel:DWORD src1_sel:DWORD
	v_and_b32_sdwa v3, v1, v3 dst_sel:DWORD dst_unused:UNUSED_PAD src0_sel:WORD_1 src1_sel:DWORD
	v_lshrrev_b32_sdwa v1, v4, v1 dst_sel:BYTE_1 dst_unused:UNUSED_PAD src0_sel:DWORD src1_sel:DWORD
	v_or_b32_sdwa v2, v3, v2 dst_sel:WORD_1 dst_unused:UNUSED_PAD src0_sel:DWORD src1_sel:DWORD
	v_or_b32_sdwa v36, v1, v2 dst_sel:DWORD dst_unused:UNUSED_PAD src0_sel:WORD_0 src1_sel:DWORD
                                        ; implicit-def: $vgpr1
.LBB1982_105:
	s_or_saveexec_b32 s1, s0
	v_mov_b32_e32 v37, 0
	s_xor_b32 exec_lo, exec_lo, s1
	s_cbranch_execz .LBB1982_109
; %bb.106:
	v_add_nc_u32_e32 v2, s17, v28
	v_add_nc_u32_e32 v3, s19, v28
	s_mov_b32 s2, 0
	s_mov_b32 s3, exec_lo
	v_mul_lo_u32 v2, v2, s16
	v_mul_lo_u32 v3, v3, s18
	v_sub_nc_u32_e32 v2, v2, v3
	v_cmp_lt_u32_e32 vcc_lo, s20, v2
	v_cmpx_ge_u32_e64 s20, v2
	s_cbranch_execz .LBB1982_108
; %bb.107:
	v_add_nc_u32_e32 v2, s22, v28
	v_add_nc_u32_e32 v3, s40, v28
	v_mul_lo_u32 v2, v2, s21
	v_mul_lo_u32 v3, v3, s23
	v_sub_nc_u32_e32 v2, v2, v3
	v_cmp_lt_u32_e64 s0, s41, v2
	s_and_b32 s2, s0, exec_lo
.LBB1982_108:
	s_or_b32 exec_lo, exec_lo, s3
	v_mov_b32_e32 v2, 24
	v_mov_b32_e32 v3, 0xff
	;; [unrolled: 1-line block ×3, first 2 shown]
	v_cndmask_b32_e64 v5, 0, 1, vcc_lo
	v_cndmask_b32_e64 v37, 0, 1, s2
	v_lshrrev_b32_sdwa v2, v2, v1 dst_sel:BYTE_1 dst_unused:UNUSED_PAD src0_sel:DWORD src1_sel:DWORD
	v_and_b32_sdwa v3, v1, v3 dst_sel:DWORD dst_unused:UNUSED_PAD src0_sel:WORD_1 src1_sel:DWORD
	v_lshrrev_b32_sdwa v1, v4, v1 dst_sel:BYTE_1 dst_unused:UNUSED_PAD src0_sel:DWORD src1_sel:DWORD
	v_or_b32_sdwa v2, v3, v2 dst_sel:WORD_1 dst_unused:UNUSED_PAD src0_sel:DWORD src1_sel:DWORD
	v_or_b32_e32 v1, v5, v1
	v_or_b32_sdwa v36, v1, v2 dst_sel:DWORD dst_unused:UNUSED_PAD src0_sel:WORD_0 src1_sel:DWORD
.LBB1982_109:
	s_or_b32 exec_lo, exec_lo, s1
.LBB1982_110:
	v_and_b32_e32 v60, 0xff, v30
	v_bfe_u32 v61, v36, 8, 8
	v_bfe_u32 v57, v30, 8, 8
	;; [unrolled: 1-line block ×4, first 2 shown]
	v_lshrrev_b32_e32 v43, 24, v36
	v_lshrrev_b32_e32 v42, 24, v30
	v_and_b32_e32 v56, 0xff, v31
	v_and_b32_e32 v54, 0xff, v32
	v_bfe_u32 v55, v31, 8, 8
	v_add3_u32 v1, v57, v60, v59
	v_add3_u32 v2, v58, v61, v43
	v_bfe_u32 v52, v32, 8, 8
	v_bfe_u32 v53, v31, 16, 8
	;; [unrolled: 1-line block ×3, first 2 shown]
	v_lshrrev_b32_e32 v41, 24, v31
	v_add3_u32 v1, v1, v42, v54
	v_add3_u32 v2, v2, v56, v55
	v_lshrrev_b32_e32 v40, 24, v32
	v_and_b32_e32 v51, 0xff, v33
	v_and_b32_e32 v49, 0xff, v35
	v_bfe_u32 v50, v33, 8, 8
	v_add3_u32 v1, v1, v52, v46
	v_add3_u32 v2, v2, v53, v41
	v_bfe_u32 v47, v35, 8, 8
	v_bfe_u32 v48, v33, 16, 8
	;; [unrolled: 1-line block ×3, first 2 shown]
	v_lshrrev_b32_e32 v39, 24, v33
	v_add3_u32 v1, v1, v40, v49
	v_add3_u32 v2, v2, v51, v50
	v_mbcnt_lo_u32_b32 v62, -1, 0
	v_lshrrev_b32_e32 v38, 24, v35
	v_and_b32_e32 v44, 0xff, v34
	v_and_b32_e32 v3, 0xff, v36
	;; [unrolled: 1-line block ×3, first 2 shown]
	v_add3_u32 v1, v1, v47, v45
	v_add3_u32 v2, v2, v48, v39
	v_and_b32_e32 v64, 15, v62
	v_and_b32_e32 v66, 16, v62
	v_lshrrev_b32_e32 v63, 5, v0
	v_add3_u32 v67, v1, v38, v3
	v_add3_u32 v68, v2, v44, v4
	v_cmp_eq_u32_e64 s1, 0, v64
	v_cmp_lt_u32_e64 s0, 1, v64
	v_cmp_lt_u32_e64 s2, 3, v64
	v_or_b32_e32 v65, 31, v0
	s_cmp_lg_u32 s6, 0
	s_mov_b32 s3, -1
	v_cmp_lt_u32_e32 vcc_lo, 7, v64
	s_cbranch_scc0 .LBB1982_132
; %bb.111:
	v_mov_b32_dpp v1, v68 row_shr:1 row_mask:0xf bank_mask:0xf
	v_mov_b32_dpp v2, v67 row_shr:1 row_mask:0xf bank_mask:0xf
	s_mov_b32 s3, exec_lo
	v_add_nc_u32_e32 v1, v1, v68
	v_add_nc_u32_e32 v2, v2, v67
	v_cndmask_b32_e64 v1, v1, v68, s1
	v_cndmask_b32_e64 v2, v2, v67, s1
	v_mov_b32_dpp v3, v1 row_shr:2 row_mask:0xf bank_mask:0xf
	v_mov_b32_dpp v4, v2 row_shr:2 row_mask:0xf bank_mask:0xf
	v_add_nc_u32_e32 v3, v1, v3
	v_add_nc_u32_e32 v4, v2, v4
	v_cndmask_b32_e64 v1, v1, v3, s0
	v_cndmask_b32_e64 v2, v2, v4, s0
	v_mov_b32_dpp v3, v1 row_shr:4 row_mask:0xf bank_mask:0xf
	v_mov_b32_dpp v4, v2 row_shr:4 row_mask:0xf bank_mask:0xf
	;; [unrolled: 6-line block ×3, first 2 shown]
	v_add_nc_u32_e32 v3, v1, v3
	v_add_nc_u32_e32 v4, v2, v4
	v_cndmask_b32_e32 v1, v1, v3, vcc_lo
	v_cndmask_b32_e32 v2, v2, v4, vcc_lo
	v_cmp_eq_u32_e32 vcc_lo, 0, v66
	ds_swizzle_b32 v3, v1 offset:swizzle(BROADCAST,32,15)
	ds_swizzle_b32 v4, v2 offset:swizzle(BROADCAST,32,15)
	s_waitcnt lgkmcnt(0)
	v_add_nc_u32_e32 v3, v1, v3
	v_add_nc_u32_e32 v4, v2, v4
	v_cmpx_eq_u32_e64 v0, v65
	s_cbranch_execz .LBB1982_113
; %bb.112:
	v_lshlrev_b32_e32 v7, 3, v63
	v_cndmask_b32_e32 v6, v3, v1, vcc_lo
	v_cndmask_b32_e32 v5, v4, v2, vcc_lo
	ds_write_b64 v7, v[5:6]
.LBB1982_113:
	s_or_b32 exec_lo, exec_lo, s3
	s_mov_b32 s3, exec_lo
	s_waitcnt lgkmcnt(0)
	s_barrier
	buffer_gl0_inv
	v_cmpx_gt_u32_e32 8, v0
	s_cbranch_execz .LBB1982_115
; %bb.114:
	v_lshlrev_b32_e32 v7, 3, v0
	v_and_b32_e32 v22, 7, v62
	ds_read_b64 v[5:6], v7
	v_cmp_eq_u32_e64 s2, 0, v22
	s_waitcnt lgkmcnt(0)
	v_mov_b32_dpp v8, v5 row_shr:1 row_mask:0xf bank_mask:0xf
	v_mov_b32_dpp v21, v6 row_shr:1 row_mask:0xf bank_mask:0xf
	v_add_nc_u32_e32 v8, v8, v5
	v_add_nc_u32_e32 v21, v21, v6
	v_cndmask_b32_e64 v5, v8, v5, s2
	v_cndmask_b32_e64 v6, v21, v6, s2
	v_cmp_lt_u32_e64 s2, 1, v22
	v_mov_b32_dpp v8, v5 row_shr:2 row_mask:0xf bank_mask:0xf
	v_mov_b32_dpp v21, v6 row_shr:2 row_mask:0xf bank_mask:0xf
	v_add_nc_u32_e32 v8, v5, v8
	v_add_nc_u32_e32 v21, v6, v21
	v_cndmask_b32_e64 v5, v5, v8, s2
	v_cndmask_b32_e64 v6, v6, v21, s2
	v_cmp_lt_u32_e64 s2, 3, v22
	v_mov_b32_dpp v8, v5 row_shr:4 row_mask:0xf bank_mask:0xf
	v_mov_b32_dpp v21, v6 row_shr:4 row_mask:0xf bank_mask:0xf
	v_cndmask_b32_e64 v8, 0, v8, s2
	v_cndmask_b32_e64 v21, 0, v21, s2
	v_add_nc_u32_e32 v5, v8, v5
	v_add_nc_u32_e32 v6, v21, v6
	ds_write_b64 v7, v[5:6]
.LBB1982_115:
	s_or_b32 exec_lo, exec_lo, s3
	v_cndmask_b32_e32 v1, v3, v1, vcc_lo
	v_cndmask_b32_e32 v2, v4, v2, vcc_lo
	s_mov_b32 s3, exec_lo
	v_cmp_gt_u32_e32 vcc_lo, 32, v0
	s_waitcnt lgkmcnt(0)
	s_barrier
	buffer_gl0_inv
                                        ; implicit-def: $vgpr21
	v_cmpx_lt_u32_e32 31, v0
	s_cbranch_execz .LBB1982_117
; %bb.116:
	v_lshl_add_u32 v3, v63, 3, -8
	ds_read_b64 v[21:22], v3
	s_waitcnt lgkmcnt(0)
	v_add_nc_u32_e32 v1, v22, v1
	v_add_nc_u32_e32 v2, v21, v2
.LBB1982_117:
	s_or_b32 exec_lo, exec_lo, s3
	v_sub_co_u32 v3, s2, v62, 1
	v_cmp_gt_i32_e64 s3, 0, v3
	v_cndmask_b32_e64 v3, v3, v62, s3
	v_lshlrev_b32_e32 v3, 2, v3
	ds_bpermute_b32 v69, v3, v2
	ds_bpermute_b32 v70, v3, v1
	s_and_saveexec_b32 s3, vcc_lo
	s_cbranch_execz .LBB1982_137
; %bb.118:
	v_mov_b32_e32 v4, 0
	ds_read_b64 v[1:2], v4 offset:56
	s_and_saveexec_b32 s8, s2
	s_cbranch_execz .LBB1982_120
; %bb.119:
	s_add_i32 s10, s6, 32
	s_mov_b32 s11, 0
	v_mov_b32_e32 v3, 1
	s_lshl_b64 s[10:11], s[10:11], 4
	s_add_u32 s10, s4, s10
	s_addc_u32 s11, s5, s11
	v_mov_b32_e32 v5, s10
	v_mov_b32_e32 v6, s11
	s_waitcnt lgkmcnt(0)
	;;#ASMSTART
	global_store_dwordx4 v[5:6], v[1:4] off	
s_waitcnt vmcnt(0)
	;;#ASMEND
.LBB1982_120:
	s_or_b32 exec_lo, exec_lo, s8
	v_xad_u32 v23, v62, -1, s6
	s_mov_b32 s9, 0
	v_add_nc_u32_e32 v3, 32, v23
	v_lshlrev_b64 v[5:6], 4, v[3:4]
	v_add_co_u32 v24, vcc_lo, s4, v5
	v_add_co_ci_u32_e64 v25, null, s5, v6, vcc_lo
	;;#ASMSTART
	global_load_dwordx4 v[5:8], v[24:25] off glc dlc	
s_waitcnt vmcnt(0)
	;;#ASMEND
	v_cmp_eq_u16_sdwa s10, v7, v4 src0_sel:BYTE_0 src1_sel:DWORD
	s_and_saveexec_b32 s8, s10
	s_cbranch_execz .LBB1982_124
; %bb.121:
	v_mov_b32_e32 v3, 0
.LBB1982_122:                           ; =>This Inner Loop Header: Depth=1
	;;#ASMSTART
	global_load_dwordx4 v[5:8], v[24:25] off glc dlc	
s_waitcnt vmcnt(0)
	;;#ASMEND
	v_cmp_ne_u16_sdwa s10, v7, v3 src0_sel:BYTE_0 src1_sel:DWORD
	s_or_b32 s9, s10, s9
	s_andn2_b32 exec_lo, exec_lo, s9
	s_cbranch_execnz .LBB1982_122
; %bb.123:
	s_or_b32 exec_lo, exec_lo, s9
.LBB1982_124:
	s_or_b32 exec_lo, exec_lo, s8
	v_cmp_ne_u32_e32 vcc_lo, 31, v62
	v_mov_b32_e32 v72, 2
	v_lshlrev_b32_e64 v73, v62, -1
	v_add_nc_u32_e32 v75, 2, v62
	v_add_nc_u32_e32 v77, 4, v62
	v_add_co_ci_u32_e64 v3, null, 0, v62, vcc_lo
	v_cmp_eq_u16_sdwa s8, v7, v72 src0_sel:BYTE_0 src1_sel:DWORD
	v_cmp_gt_u32_e32 vcc_lo, 30, v62
	v_add_nc_u32_e32 v79, 8, v62
	v_lshlrev_b32_e32 v71, 2, v3
	v_lshl_or_b32 v80, v62, 2, 64
	v_and_b32_e32 v8, s8, v73
	v_cndmask_b32_e64 v24, 0, 2, vcc_lo
	v_add_nc_u32_e32 v81, 16, v62
	ds_bpermute_b32 v3, v71, v6
	ds_bpermute_b32 v4, v71, v5
	v_or_b32_e32 v8, 0x80000000, v8
	v_add_lshl_u32 v74, v24, v62, 2
	v_ffbl_b32_e32 v8, v8
	v_cmp_lt_u32_e32 vcc_lo, v62, v8
	s_waitcnt lgkmcnt(1)
	v_add_nc_u32_e32 v3, v3, v6
	s_waitcnt lgkmcnt(0)
	v_add_nc_u32_e32 v4, v4, v5
	v_cndmask_b32_e32 v3, v6, v3, vcc_lo
	v_cndmask_b32_e32 v4, v5, v4, vcc_lo
	v_cmp_gt_u32_e32 vcc_lo, 28, v62
	ds_bpermute_b32 v5, v74, v3
	ds_bpermute_b32 v6, v74, v4
	v_cndmask_b32_e64 v24, 0, 4, vcc_lo
	v_cmp_gt_u32_e32 vcc_lo, v75, v8
	v_add_lshl_u32 v76, v24, v62, 2
	s_waitcnt lgkmcnt(1)
	v_add_nc_u32_e32 v5, v3, v5
	s_waitcnt lgkmcnt(0)
	v_add_nc_u32_e32 v6, v4, v6
	v_cndmask_b32_e32 v3, v5, v3, vcc_lo
	v_cndmask_b32_e32 v4, v6, v4, vcc_lo
	v_cmp_gt_u32_e32 vcc_lo, 24, v62
	ds_bpermute_b32 v5, v76, v3
	ds_bpermute_b32 v6, v76, v4
	v_cndmask_b32_e64 v24, 0, 8, vcc_lo
	v_cmp_gt_u32_e32 vcc_lo, v77, v8
	v_add_lshl_u32 v78, v24, v62, 2
	v_mov_b32_e32 v24, 0
	s_waitcnt lgkmcnt(1)
	v_add_nc_u32_e32 v5, v3, v5
	s_waitcnt lgkmcnt(0)
	v_add_nc_u32_e32 v6, v4, v6
	v_cndmask_b32_e32 v3, v5, v3, vcc_lo
	v_cndmask_b32_e32 v4, v6, v4, vcc_lo
	v_cmp_gt_u32_e32 vcc_lo, v79, v8
	ds_bpermute_b32 v5, v78, v3
	ds_bpermute_b32 v6, v78, v4
	s_waitcnt lgkmcnt(1)
	v_add_nc_u32_e32 v5, v3, v5
	s_waitcnt lgkmcnt(0)
	v_add_nc_u32_e32 v6, v4, v6
	v_cndmask_b32_e32 v3, v5, v3, vcc_lo
	v_cndmask_b32_e32 v4, v6, v4, vcc_lo
	v_cmp_le_u32_e32 vcc_lo, v81, v8
	ds_bpermute_b32 v6, v80, v3
	ds_bpermute_b32 v5, v80, v4
	s_waitcnt lgkmcnt(1)
	v_cndmask_b32_e32 v6, 0, v6, vcc_lo
	s_waitcnt lgkmcnt(0)
	v_cndmask_b32_e32 v5, 0, v5, vcc_lo
	v_add_nc_u32_e32 v6, v6, v3
	v_add_nc_u32_e32 v5, v5, v4
	s_branch .LBB1982_128
.LBB1982_125:                           ;   in Loop: Header=BB1982_128 Depth=1
	s_or_b32 exec_lo, exec_lo, s9
.LBB1982_126:                           ;   in Loop: Header=BB1982_128 Depth=1
	s_or_b32 exec_lo, exec_lo, s8
	ds_bpermute_b32 v8, v71, v5
	ds_bpermute_b32 v25, v71, v6
	v_cmp_eq_u16_sdwa s8, v7, v72 src0_sel:BYTE_0 src1_sel:DWORD
	v_subrev_nc_u32_e32 v23, 32, v23
	v_and_or_b32 v26, s8, v73, 0x80000000
	s_mov_b32 s8, 0
	v_ffbl_b32_e32 v26, v26
	v_cmp_lt_u32_e32 vcc_lo, v62, v26
	s_waitcnt lgkmcnt(1)
	v_add_nc_u32_e32 v8, v8, v5
	s_waitcnt lgkmcnt(0)
	v_add_nc_u32_e32 v25, v25, v6
	v_cndmask_b32_e32 v5, v5, v8, vcc_lo
	v_cndmask_b32_e32 v6, v6, v25, vcc_lo
	v_cmp_gt_u32_e32 vcc_lo, v75, v26
	ds_bpermute_b32 v8, v74, v5
	ds_bpermute_b32 v25, v74, v6
	s_waitcnt lgkmcnt(1)
	v_add_nc_u32_e32 v8, v5, v8
	s_waitcnt lgkmcnt(0)
	v_add_nc_u32_e32 v25, v6, v25
	v_cndmask_b32_e32 v5, v8, v5, vcc_lo
	v_cndmask_b32_e32 v6, v25, v6, vcc_lo
	v_cmp_gt_u32_e32 vcc_lo, v77, v26
	ds_bpermute_b32 v8, v76, v5
	ds_bpermute_b32 v25, v76, v6
	;; [unrolled: 9-line block ×3, first 2 shown]
	s_waitcnt lgkmcnt(1)
	v_add_nc_u32_e32 v8, v5, v8
	s_waitcnt lgkmcnt(0)
	v_add_nc_u32_e32 v25, v6, v25
	v_cndmask_b32_e32 v5, v8, v5, vcc_lo
	v_cndmask_b32_e32 v6, v25, v6, vcc_lo
	v_cmp_le_u32_e32 vcc_lo, v81, v26
	ds_bpermute_b32 v8, v80, v5
	ds_bpermute_b32 v25, v80, v6
	s_waitcnt lgkmcnt(1)
	v_cndmask_b32_e32 v8, 0, v8, vcc_lo
	s_waitcnt lgkmcnt(0)
	v_cndmask_b32_e32 v25, 0, v25, vcc_lo
	v_add3_u32 v5, v5, v3, v8
	v_add3_u32 v6, v6, v4, v25
.LBB1982_127:                           ;   in Loop: Header=BB1982_128 Depth=1
	s_and_b32 vcc_lo, exec_lo, s8
	s_cbranch_vccnz .LBB1982_133
.LBB1982_128:                           ; =>This Loop Header: Depth=1
                                        ;     Child Loop BB1982_131 Depth 2
	v_cmp_ne_u16_sdwa s8, v7, v72 src0_sel:BYTE_0 src1_sel:DWORD
	v_mov_b32_e32 v3, v5
	v_mov_b32_e32 v4, v6
                                        ; implicit-def: $vgpr7
                                        ; implicit-def: $vgpr5_vgpr6
	s_cmp_lg_u32 s8, exec_lo
	s_mov_b32 s8, -1
	s_cbranch_scc1 .LBB1982_127
; %bb.129:                              ;   in Loop: Header=BB1982_128 Depth=1
	v_lshlrev_b64 v[5:6], 4, v[23:24]
	v_add_co_u32 v25, vcc_lo, s4, v5
	v_add_co_ci_u32_e64 v26, null, s5, v6, vcc_lo
	;;#ASMSTART
	global_load_dwordx4 v[5:8], v[25:26] off glc dlc	
s_waitcnt vmcnt(0)
	;;#ASMEND
	v_cmp_eq_u16_sdwa s9, v7, v24 src0_sel:BYTE_0 src1_sel:DWORD
	s_and_saveexec_b32 s8, s9
	s_cbranch_execz .LBB1982_126
; %bb.130:                              ;   in Loop: Header=BB1982_128 Depth=1
	s_mov_b32 s9, 0
.LBB1982_131:                           ;   Parent Loop BB1982_128 Depth=1
                                        ; =>  This Inner Loop Header: Depth=2
	;;#ASMSTART
	global_load_dwordx4 v[5:8], v[25:26] off glc dlc	
s_waitcnt vmcnt(0)
	;;#ASMEND
	v_cmp_ne_u16_sdwa s10, v7, v24 src0_sel:BYTE_0 src1_sel:DWORD
	s_or_b32 s9, s10, s9
	s_andn2_b32 exec_lo, exec_lo, s9
	s_cbranch_execnz .LBB1982_131
	s_branch .LBB1982_125
.LBB1982_132:
                                        ; implicit-def: $vgpr23
                                        ; implicit-def: $vgpr3
                                        ; implicit-def: $vgpr24
	s_and_b32 vcc_lo, exec_lo, s3
	s_cbranch_vccnz .LBB1982_138
	s_branch .LBB1982_147
.LBB1982_133:
	s_and_saveexec_b32 s8, s2
	s_cbranch_execnz .LBB1982_375
; %bb.134:
	s_or_b32 exec_lo, exec_lo, s8
	s_and_saveexec_b32 s6, s2
	s_cbranch_execnz .LBB1982_376
.LBB1982_135:
	s_or_b32 exec_lo, exec_lo, s6
	v_cmp_eq_u32_e32 vcc_lo, 0, v0
	s_and_b32 exec_lo, exec_lo, vcc_lo
.LBB1982_136:
	v_mov_b32_e32 v1, 0
	ds_write_b64 v1, v[3:4] offset:56
.LBB1982_137:
	s_or_b32 exec_lo, exec_lo, s3
	v_mov_b32_e32 v1, 0
	s_waitcnt lgkmcnt(0)
	s_barrier
	buffer_gl0_inv
	v_cndmask_b32_e64 v7, v69, v21, s2
	ds_read_b64 v[5:6], v1 offset:56
	s_waitcnt lgkmcnt(0)
	s_barrier
	buffer_gl0_inv
	ds_read_b128 v[1:4], v1 offset:13312
	v_cndmask_b32_e64 v8, v70, v22, s2
	v_cmp_eq_u32_e32 vcc_lo, 0, v0
	v_add_nc_u32_e32 v7, v5, v7
	v_add_nc_u32_e32 v8, v6, v8
	v_cndmask_b32_e32 v24, v7, v5, vcc_lo
	v_cndmask_b32_e32 v23, v8, v6, vcc_lo
	s_branch .LBB1982_147
.LBB1982_138:
	s_waitcnt lgkmcnt(0)
	v_mov_b32_dpp v1, v67 row_shr:1 row_mask:0xf bank_mask:0xf
	v_mov_b32_dpp v2, v68 row_shr:1 row_mask:0xf bank_mask:0xf
	v_cmp_lt_u32_e32 vcc_lo, 3, v64
	v_add_nc_u32_e32 v1, v1, v67
	v_add_nc_u32_e32 v2, v2, v68
	v_cndmask_b32_e64 v1, v1, v67, s1
	v_cndmask_b32_e64 v2, v2, v68, s1
	s_mov_b32 s1, exec_lo
	v_mov_b32_dpp v3, v1 row_shr:2 row_mask:0xf bank_mask:0xf
	v_mov_b32_dpp v4, v2 row_shr:2 row_mask:0xf bank_mask:0xf
	v_add_nc_u32_e32 v3, v1, v3
	v_add_nc_u32_e32 v4, v2, v4
	v_cndmask_b32_e64 v1, v1, v3, s0
	v_cndmask_b32_e64 v2, v2, v4, s0
	v_mov_b32_dpp v3, v1 row_shr:4 row_mask:0xf bank_mask:0xf
	v_mov_b32_dpp v4, v2 row_shr:4 row_mask:0xf bank_mask:0xf
	v_add_nc_u32_e32 v3, v1, v3
	v_add_nc_u32_e32 v4, v2, v4
	v_cndmask_b32_e32 v3, v1, v3, vcc_lo
	v_cndmask_b32_e32 v2, v2, v4, vcc_lo
	v_cmp_lt_u32_e32 vcc_lo, 7, v64
	v_mov_b32_dpp v1, v3 row_shr:8 row_mask:0xf bank_mask:0xf
	v_mov_b32_dpp v4, v2 row_shr:8 row_mask:0xf bank_mask:0xf
	v_add_nc_u32_e32 v5, v3, v1
	v_add_nc_u32_e32 v1, v2, v4
	v_cndmask_b32_e32 v1, v2, v1, vcc_lo
	v_cndmask_b32_e32 v2, v3, v5, vcc_lo
	v_cmp_eq_u32_e32 vcc_lo, 0, v66
	ds_swizzle_b32 v3, v1 offset:swizzle(BROADCAST,32,15)
	ds_swizzle_b32 v4, v2 offset:swizzle(BROADCAST,32,15)
	s_waitcnt lgkmcnt(1)
	v_add_nc_u32_e32 v3, v1, v3
	s_waitcnt lgkmcnt(0)
	v_add_nc_u32_e32 v4, v2, v4
	v_cmpx_eq_u32_e64 v0, v65
	s_cbranch_execz .LBB1982_140
; %bb.139:
	v_cndmask_b32_e32 v5, v4, v2, vcc_lo
	v_cndmask_b32_e32 v6, v3, v1, vcc_lo
	v_lshlrev_b32_e32 v7, 3, v63
	ds_write_b64 v7, v[5:6]
.LBB1982_140:
	s_or_b32 exec_lo, exec_lo, s1
	s_mov_b32 s1, exec_lo
	s_waitcnt lgkmcnt(0)
	s_barrier
	buffer_gl0_inv
	v_cmpx_gt_u32_e32 8, v0
	s_cbranch_execz .LBB1982_142
; %bb.141:
	v_lshlrev_b32_e32 v7, 3, v0
	v_and_b32_e32 v22, 7, v62
	ds_read_b64 v[5:6], v7
	v_cmp_eq_u32_e64 s0, 0, v22
	s_waitcnt lgkmcnt(0)
	v_mov_b32_dpp v8, v5 row_shr:1 row_mask:0xf bank_mask:0xf
	v_mov_b32_dpp v21, v6 row_shr:1 row_mask:0xf bank_mask:0xf
	v_add_nc_u32_e32 v8, v8, v5
	v_add_nc_u32_e32 v21, v21, v6
	v_cndmask_b32_e64 v5, v8, v5, s0
	v_cndmask_b32_e64 v6, v21, v6, s0
	v_cmp_lt_u32_e64 s0, 1, v22
	v_mov_b32_dpp v8, v5 row_shr:2 row_mask:0xf bank_mask:0xf
	v_mov_b32_dpp v21, v6 row_shr:2 row_mask:0xf bank_mask:0xf
	v_add_nc_u32_e32 v8, v5, v8
	v_add_nc_u32_e32 v21, v6, v21
	v_cndmask_b32_e64 v5, v5, v8, s0
	v_cndmask_b32_e64 v6, v6, v21, s0
	v_cmp_lt_u32_e64 s0, 3, v22
	v_mov_b32_dpp v8, v5 row_shr:4 row_mask:0xf bank_mask:0xf
	v_mov_b32_dpp v21, v6 row_shr:4 row_mask:0xf bank_mask:0xf
	v_cndmask_b32_e64 v8, 0, v8, s0
	v_cndmask_b32_e64 v21, 0, v21, s0
	v_add_nc_u32_e32 v5, v8, v5
	v_add_nc_u32_e32 v6, v21, v6
	ds_write_b64 v7, v[5:6]
.LBB1982_142:
	s_or_b32 exec_lo, exec_lo, s1
	v_mov_b32_e32 v7, 0
	v_mov_b32_e32 v5, 0
	;; [unrolled: 1-line block ×3, first 2 shown]
	s_mov_b32 s1, exec_lo
	s_waitcnt lgkmcnt(0)
	s_barrier
	buffer_gl0_inv
	v_cmpx_lt_u32_e32 31, v0
; %bb.143:
	v_lshl_add_u32 v5, v63, 3, -8
	ds_read_b64 v[5:6], v5
; %bb.144:
	s_or_b32 exec_lo, exec_lo, s1
	v_sub_co_u32 v8, s0, v62, 1
	v_cndmask_b32_e32 v2, v4, v2, vcc_lo
	v_cndmask_b32_e32 v1, v3, v1, vcc_lo
	v_cmp_eq_u32_e32 vcc_lo, 0, v0
	v_cmp_gt_i32_e64 s1, 0, v8
	s_waitcnt lgkmcnt(0)
	v_add_nc_u32_e32 v2, v5, v2
	v_add_nc_u32_e32 v1, v6, v1
	v_cndmask_b32_e64 v4, v8, v62, s1
	v_lshlrev_b32_e32 v3, 2, v4
	ds_bpermute_b32 v8, v3, v2
	ds_bpermute_b32 v21, v3, v1
	ds_read_b64 v[1:2], v7 offset:56
	s_and_saveexec_b32 s1, vcc_lo
	s_cbranch_execz .LBB1982_146
; %bb.145:
	s_add_u32 s2, s4, 0x200
	s_addc_u32 s3, s5, 0
	v_mov_b32_e32 v3, 2
	v_mov_b32_e32 v23, s3
	v_mov_b32_e32 v4, 0
	v_mov_b32_e32 v22, s2
	s_waitcnt lgkmcnt(0)
	;;#ASMSTART
	global_store_dwordx4 v[22:23], v[1:4] off	
s_waitcnt vmcnt(0)
	;;#ASMEND
.LBB1982_146:
	s_or_b32 exec_lo, exec_lo, s1
	s_waitcnt lgkmcnt(1)
	v_cndmask_b32_e64 v3, v21, v6, s0
	v_cndmask_b32_e64 v5, v8, v5, s0
	v_mov_b32_e32 v4, 0
	s_waitcnt lgkmcnt(0)
	s_barrier
	v_cndmask_b32_e64 v23, v3, 0, vcc_lo
	v_cndmask_b32_e64 v24, v5, 0, vcc_lo
	v_mov_b32_e32 v3, 0
	buffer_gl0_inv
.LBB1982_147:
	v_add_nc_u32_e32 v61, v23, v61
	v_add_nc_u32_e32 v60, v24, v60
	s_waitcnt lgkmcnt(0)
	v_sub_nc_u32_e32 v23, v23, v4
	v_lshrrev_b32_e32 v26, 8, v36
	v_lshlrev_b32_e32 v66, 1, v1
	v_add_nc_u32_e32 v58, v61, v58
	v_sub_nc_u32_e32 v61, v61, v4
	v_add_nc_u32_e32 v57, v60, v57
	v_sub_nc_u32_e32 v24, v24, v3
	v_sub_nc_u32_e32 v60, v60, v3
	v_add_nc_u32_e32 v23, v23, v1
	v_add_nc_u32_e32 v61, v61, v1
	v_and_b32_e32 v26, 1, v26
	v_mov_b32_e32 v68, 1
	v_add3_u32 v29, v66, v2, v29
	v_add_nc_u32_e32 v73, v24, v23
	v_add_nc_u32_e32 v72, v61, v60
	v_cmp_eq_u32_e32 vcc_lo, 1, v26
	v_and_b32_sdwa v71, v68, v36 dst_sel:DWORD dst_unused:UNUSED_PAD src0_sel:DWORD src1_sel:WORD_1
	v_lshrrev_b32_e32 v25, 8, v30
	v_sub_nc_u32_e32 v73, v29, v73
	v_sub_nc_u32_e32 v72, v29, v72
	v_and_b32_e32 v67, 1, v30
	v_add_nc_u32_e32 v62, v58, v43
	v_and_b32_e32 v25, 1, v25
	v_cndmask_b32_e32 v23, v73, v23, vcc_lo
	v_add_nc_u32_e32 v72, 1, v72
	v_cmp_eq_u32_e32 vcc_lo, 1, v71
	v_sub_nc_u32_e32 v58, v58, v4
	v_add_nc_u32_e32 v59, v57, v59
	v_sub_nc_u32_e32 v57, v57, v3
	v_add_co_u32 v5, s0, s28, v3
	v_cndmask_b32_e32 v26, v72, v61, vcc_lo
	v_cmp_eq_u32_e32 vcc_lo, 1, v67
	v_add_nc_u32_e32 v58, v58, v1
	v_add_co_ci_u32_e64 v6, null, s29, 0, s0
	v_sub_co_u32 v64, s0, s30, v1
	v_cndmask_b32_e32 v67, v23, v24, vcc_lo
	v_cmp_eq_u32_e32 vcc_lo, 1, v25
	v_sub_co_ci_u32_e64 v65, null, s31, 0, s0
	v_and_b32_e32 v43, 1, v43
	v_add_nc_u32_e32 v56, v62, v56
	v_cndmask_b32_e32 v25, v26, v60, vcc_lo
	v_add_nc_u32_e32 v26, v58, v57
	v_add_co_u32 v23, vcc_lo, v64, v4
	v_add_co_ci_u32_e64 v24, null, 0, v65, vcc_lo
	v_sub_nc_u32_e32 v26, v29, v26
	v_sub_nc_u32_e32 v62, v62, v4
	v_and_b32_sdwa v30, v68, v30 dst_sel:DWORD dst_unused:UNUSED_PAD src0_sel:DWORD src1_sel:WORD_1
	v_cmp_eq_u32_e32 vcc_lo, 1, v43
	v_add_nc_u32_e32 v63, v59, v42
	v_add_nc_u32_e32 v26, 2, v26
	v_sub_nc_u32_e32 v59, v59, v3
	v_add_nc_u32_e32 v62, v62, v1
	v_add_nc_u32_e32 v55, v56, v55
	v_lshlrev_b32_e32 v60, 2, v67
	v_cndmask_b32_e32 v26, v26, v58, vcc_lo
	v_cmp_eq_u32_e32 vcc_lo, 1, v30
	v_lshlrev_b32_e32 v25, 2, v25
	v_sub_nc_u32_e32 v56, v56, v4
	v_add_nc_u32_e32 v43, v59, v62
	v_sub_nc_u32_e32 v58, v63, v3
	v_cndmask_b32_e32 v26, v26, v57, vcc_lo
	ds_write_b32 v60, v19
	v_add_nc_u32_e32 v56, v56, v1
	v_sub_nc_u32_e32 v19, v29, v43
	ds_write_b32 v25, v20
	v_lshlrev_b32_e32 v25, 2, v26
	v_and_b32_e32 v26, 1, v31
	v_lshrrev_b32_e32 v22, 8, v31
	v_add_nc_u32_e32 v54, v63, v54
	v_add_nc_u32_e32 v20, v58, v56
	;; [unrolled: 1-line block ×3, first 2 shown]
	v_and_b32_e32 v30, 1, v42
	v_sub_nc_u32_e32 v42, v55, v4
	v_cmp_eq_u32_e32 vcc_lo, 1, v26
	v_sub_nc_u32_e32 v20, v29, v20
	v_and_b32_e32 v22, 1, v22
	v_sub_nc_u32_e32 v26, v54, v3
	v_add_nc_u32_e32 v42, v42, v1
	v_cndmask_b32_e32 v19, v19, v62, vcc_lo
	v_cmp_eq_u32_e32 vcc_lo, 1, v30
	v_add_nc_u32_e32 v20, 4, v20
	v_and_b32_e32 v30, 1, v32
	v_add_nc_u32_e32 v43, v26, v42
	v_lshrrev_b32_e32 v21, 8, v32
	v_cndmask_b32_e32 v19, v19, v59, vcc_lo
	v_cmp_eq_u32_e32 vcc_lo, 1, v22
	v_add_nc_u32_e32 v53, v55, v53
	ds_write_b32 v25, v17
	v_and_b32_sdwa v25, v68, v31 dst_sel:DWORD dst_unused:UNUSED_PAD src0_sel:DWORD src1_sel:WORD_1
	v_lshlrev_b32_e32 v17, 2, v19
	v_cndmask_b32_e32 v20, v20, v56, vcc_lo
	v_sub_nc_u32_e32 v19, v29, v43
	v_cmp_eq_u32_e32 vcc_lo, 1, v30
	v_add_nc_u32_e32 v52, v54, v52
	v_add_nc_u32_e32 v69, v53, v41
	v_and_b32_e32 v21, 1, v21
	v_sub_nc_u32_e32 v22, v53, v4
	v_cndmask_b32_e32 v20, v20, v58, vcc_lo
	v_add_nc_u32_e32 v19, 5, v19
	v_cmp_eq_u32_e32 vcc_lo, 1, v25
	v_add_nc_u32_e32 v46, v52, v46
	v_sub_nc_u32_e32 v30, v52, v3
	v_sub_nc_u32_e32 v31, v69, v4
	v_add_nc_u32_e32 v22, v22, v1
	v_cndmask_b32_e32 v19, v19, v42, vcc_lo
	v_cmp_eq_u32_e32 vcc_lo, 1, v21
	v_sub_nc_u32_e32 v25, v46, v3
	v_add_nc_u32_e32 v31, v31, v1
	v_lshlrev_b32_e32 v20, 2, v20
	v_add_nc_u32_e32 v42, v30, v22
	v_cndmask_b32_e32 v19, v19, v26, vcc_lo
	ds_write_b32 v17, v18
	v_add_nc_u32_e32 v21, v25, v31
	ds_write_b32 v20, v15
	v_sub_nc_u32_e32 v17, v29, v42
	v_lshlrev_b32_e32 v15, 2, v19
	v_and_b32_e32 v19, 1, v41
	v_sub_nc_u32_e32 v18, v29, v21
	v_and_b32_e32 v21, 1, v33
	v_add_nc_u32_e32 v17, 6, v17
	v_add_nc_u32_e32 v51, v69, v51
	v_cmp_eq_u32_e32 vcc_lo, 1, v19
	v_and_b32_sdwa v20, v68, v32 dst_sel:DWORD dst_unused:UNUSED_PAD src0_sel:DWORD src1_sel:WORD_1
	v_add_nc_u32_e32 v18, 7, v18
	v_add_nc_u32_e32 v70, v46, v40
	v_sub_nc_u32_e32 v19, v51, v4
	v_cndmask_b32_e32 v17, v17, v22, vcc_lo
	v_cmp_eq_u32_e32 vcc_lo, 1, v21
	v_and_b32_e32 v22, 1, v40
	v_add_nc_u32_e32 v50, v51, v50
	v_sub_nc_u32_e32 v21, v70, v3
	v_add_nc_u32_e32 v19, v19, v1
	v_cndmask_b32_e32 v18, v18, v31, vcc_lo
	v_cmp_eq_u32_e32 vcc_lo, 1, v20
	v_lshrrev_b32_e32 v8, 8, v33
	v_add_nc_u32_e32 v49, v70, v49
	v_add_nc_u32_e32 v20, v21, v19
	ds_write_b32 v15, v16
	v_cndmask_b32_e32 v17, v17, v30, vcc_lo
	v_cmp_eq_u32_e32 vcc_lo, 1, v22
	v_sub_nc_u32_e32 v15, v50, v4
	v_add_nc_u32_e32 v48, v50, v48
	v_and_b32_e32 v8, 1, v8
	v_lshlrev_b32_e32 v16, 2, v17
	v_cndmask_b32_e32 v18, v18, v25, vcc_lo
	v_add_nc_u32_e32 v15, v15, v1
	v_add_nc_u32_e32 v47, v49, v47
	v_cmp_eq_u32_e32 vcc_lo, 1, v8
	v_lshrrev_b32_e32 v7, 8, v35
	v_lshlrev_b32_e32 v17, 2, v18
	v_sub_nc_u32_e32 v18, v29, v20
	v_sub_nc_u32_e32 v20, v49, v3
	ds_write_b32 v16, v13
	ds_write_b32 v17, v14
	v_and_b32_e32 v16, 1, v35
	v_add_nc_u32_e32 v13, 8, v18
	v_add_nc_u32_e32 v14, v20, v15
	v_sub_nc_u32_e32 v17, v48, v4
	v_add_nc_u32_e32 v74, v48, v39
	v_add_nc_u32_e32 v45, v47, v45
	v_cndmask_b32_e32 v8, v13, v19, vcc_lo
	v_sub_nc_u32_e32 v13, v29, v14
	v_sub_nc_u32_e32 v14, v47, v3
	v_add_nc_u32_e32 v17, v17, v1
	v_cmp_eq_u32_e32 vcc_lo, 1, v16
	v_and_b32_sdwa v16, v68, v33 dst_sel:DWORD dst_unused:UNUSED_PAD src0_sel:DWORD src1_sel:WORD_1
	v_add_nc_u32_e32 v44, v74, v44
	v_add_nc_u32_e32 v13, 9, v13
	v_and_b32_e32 v7, 1, v7
	v_cndmask_b32_e32 v8, v8, v21, vcc_lo
	v_add_nc_u32_e32 v18, v14, v17
	v_sub_nc_u32_e32 v19, v74, v4
	v_cmp_eq_u32_e32 vcc_lo, 1, v16
	v_add_nc_u32_e32 v61, v45, v38
	v_and_b32_e32 v25, 1, v37
	v_sub_nc_u32_e32 v16, v29, v18
	v_sub_nc_u32_e32 v18, v45, v3
	v_cndmask_b32_e32 v13, v13, v15, vcc_lo
	v_sub_nc_u32_e32 v15, v44, v4
	v_add_nc_u32_e32 v19, v19, v1
	v_cmp_eq_u32_e32 vcc_lo, 1, v7
	v_sub_nc_u32_e32 v3, v61, v3
	v_add_nc_u32_e32 v16, 10, v16
	v_add_nc_u32_e32 v15, v15, v1
	v_and_b32_sdwa v22, v68, v35 dst_sel:DWORD dst_unused:UNUSED_PAD src0_sel:DWORD src1_sel:WORD_1
	v_cndmask_b32_e32 v7, v13, v20, vcc_lo
	v_add_nc_u32_e32 v13, v18, v19
	v_and_b32_e32 v20, 1, v39
	v_add_nc_u32_e32 v21, v3, v15
	v_lshlrev_b32_e32 v8, 2, v8
	v_lshlrev_b32_e32 v7, 2, v7
	v_sub_nc_u32_e32 v13, v29, v13
	v_cmp_eq_u32_e32 vcc_lo, 1, v20
	v_and_b32_e32 v20, 1, v34
	v_add_nc_u32_e32 v13, 11, v13
	v_cndmask_b32_e32 v16, v16, v17, vcc_lo
	v_sub_nc_u32_e32 v17, v29, v21
	v_cmp_eq_u32_e32 vcc_lo, 1, v20
	v_and_b32_e32 v21, 1, v38
	v_add_nc_u32_e32 v17, 12, v17
	v_cndmask_b32_e32 v13, v13, v19, vcc_lo
	v_cmp_eq_u32_e32 vcc_lo, 1, v25
	v_and_b32_e32 v19, 1, v36
	v_cndmask_b32_e32 v15, v17, v15, vcc_lo
	v_cmp_eq_u32_e32 vcc_lo, 1, v22
	v_cndmask_b32_e32 v14, v16, v14, vcc_lo
	v_cmp_eq_u32_e32 vcc_lo, 1, v21
	v_lshlrev_b32_e32 v14, 2, v14
	v_cndmask_b32_e32 v13, v13, v18, vcc_lo
	v_cmp_eq_u32_e32 vcc_lo, 1, v19
	v_lshlrev_b32_e32 v13, 2, v13
	v_cndmask_b32_e32 v3, v15, v3, vcc_lo
	v_lshlrev_b32_e32 v3, 2, v3
	ds_write_b32 v8, v11
	ds_write_b32 v7, v12
	;; [unrolled: 1-line block ×5, first 2 shown]
	v_add_co_u32 v3, s0, v2, v66
	v_add_co_ci_u32_e64 v7, null, 0, 0, s0
	s_add_u32 s0, s34, s42
	v_add_co_u32 v3, vcc_lo, v3, v23
	v_add_co_ci_u32_e64 v7, null, v7, v24, vcc_lo
	s_addc_u32 s1, s35, 0
	v_add_co_u32 v3, vcc_lo, v3, v5
	v_add_co_ci_u32_e64 v9, null, v7, v6, vcc_lo
	v_lshlrev_b64 v[7:8], 2, v[23:24]
	v_sub_co_u32 v3, vcc_lo, s0, v3
	v_sub_co_ci_u32_e64 v11, null, s1, v9, vcc_lo
	v_lshlrev_b64 v[9:10], 2, v[5:6]
	v_add_co_u32 v7, vcc_lo, s38, v7
	v_add_co_ci_u32_e64 v8, null, s39, v8, vcc_lo
	v_cmp_ne_u32_e32 vcc_lo, 1, v27
	v_add_co_u32 v9, s0, s36, v9
	v_add_nc_u32_e32 v12, v1, v2
	v_add_co_ci_u32_e64 v10, null, s37, v10, s0
	s_and_b32 vcc_lo, exec_lo, vcc_lo
	s_mov_b32 s0, -1
	s_waitcnt lgkmcnt(0)
	s_barrier
	buffer_gl0_inv
	s_cbranch_vccz .LBB1982_151
; %bb.148:
	s_and_b32 vcc_lo, exec_lo, s0
	s_cbranch_vccnz .LBB1982_256
.LBB1982_149:
	v_cmp_eq_u32_e32 vcc_lo, 0, v0
	s_and_b32 s0, vcc_lo, s33
	s_and_saveexec_b32 s1, s0
	s_cbranch_execnz .LBB1982_374
.LBB1982_150:
	s_endpgm
.LBB1982_151:
	s_mov_b32 s0, exec_lo
	v_cmpx_ge_u32_e64 v0, v1
	s_xor_b32 s0, exec_lo, s0
	s_cbranch_execz .LBB1982_157
; %bb.152:
	s_mov_b32 s1, exec_lo
	v_cmpx_ge_u32_e64 v0, v12
	s_xor_b32 s1, exec_lo, s1
	s_cbranch_execz .LBB1982_154
; %bb.153:
	v_lshlrev_b32_e32 v13, 2, v0
	ds_read_b32 v15, v13
	v_add_co_u32 v13, vcc_lo, v3, v0
	v_add_co_ci_u32_e64 v14, null, 0, v11, vcc_lo
	v_lshlrev_b64 v[13:14], 2, v[13:14]
	v_sub_co_u32 v13, vcc_lo, s26, v13
	v_sub_co_ci_u32_e64 v14, null, s27, v14, vcc_lo
	s_waitcnt lgkmcnt(0)
	global_store_dword v[13:14], v15, off offset:-4
.LBB1982_154:
	s_andn2_saveexec_b32 s1, s1
	s_cbranch_execz .LBB1982_156
; %bb.155:
	v_lshlrev_b32_e32 v13, 2, v0
	v_readfirstlane_b32 s2, v7
	v_readfirstlane_b32 s3, v8
	ds_read_b32 v14, v13
	s_waitcnt lgkmcnt(0)
	global_store_dword v13, v14, s[2:3]
.LBB1982_156:
	s_or_b32 exec_lo, exec_lo, s1
.LBB1982_157:
	s_andn2_saveexec_b32 s0, s0
	s_cbranch_execz .LBB1982_159
; %bb.158:
	v_lshlrev_b32_e32 v13, 2, v0
	v_readfirstlane_b32 s2, v9
	v_readfirstlane_b32 s3, v10
	ds_read_b32 v14, v13
	s_waitcnt lgkmcnt(0)
	global_store_dword v13, v14, s[2:3]
.LBB1982_159:
	s_or_b32 exec_lo, exec_lo, s0
	v_or_b32_e32 v13, 0x100, v0
	s_mov_b32 s0, exec_lo
	v_cmpx_ge_u32_e64 v13, v1
	s_xor_b32 s0, exec_lo, s0
	s_cbranch_execz .LBB1982_165
; %bb.160:
	s_mov_b32 s1, exec_lo
	v_cmpx_ge_u32_e64 v13, v12
	s_xor_b32 s1, exec_lo, s1
	s_cbranch_execz .LBB1982_162
; %bb.161:
	v_lshlrev_b32_e32 v13, 2, v0
	ds_read_b32 v15, v13 offset:1024
	v_add_co_u32 v13, vcc_lo, v3, v0
	v_add_co_ci_u32_e64 v14, null, 0, v11, vcc_lo
	v_lshlrev_b64 v[13:14], 2, v[13:14]
	v_sub_co_u32 v13, vcc_lo, s26, v13
	v_sub_co_ci_u32_e64 v14, null, s27, v14, vcc_lo
	s_waitcnt lgkmcnt(0)
	global_store_dword v[13:14], v15, off offset:-1028
.LBB1982_162:
	s_andn2_saveexec_b32 s1, s1
	s_cbranch_execz .LBB1982_164
; %bb.163:
	v_lshlrev_b32_e32 v13, 2, v0
	v_readfirstlane_b32 s2, v7
	v_readfirstlane_b32 s3, v8
	ds_read_b32 v14, v13 offset:1024
	s_waitcnt lgkmcnt(0)
	global_store_dword v13, v14, s[2:3] offset:1024
.LBB1982_164:
	s_or_b32 exec_lo, exec_lo, s1
.LBB1982_165:
	s_andn2_saveexec_b32 s0, s0
	s_cbranch_execz .LBB1982_167
; %bb.166:
	v_lshlrev_b32_e32 v13, 2, v0
	v_readfirstlane_b32 s2, v9
	v_readfirstlane_b32 s3, v10
	ds_read_b32 v14, v13 offset:1024
	s_waitcnt lgkmcnt(0)
	global_store_dword v13, v14, s[2:3] offset:1024
.LBB1982_167:
	s_or_b32 exec_lo, exec_lo, s0
	v_or_b32_e32 v13, 0x200, v0
	s_mov_b32 s0, exec_lo
	v_cmpx_ge_u32_e64 v13, v1
	s_xor_b32 s0, exec_lo, s0
	s_cbranch_execz .LBB1982_173
; %bb.168:
	s_mov_b32 s1, exec_lo
	v_cmpx_ge_u32_e64 v13, v12
	s_xor_b32 s1, exec_lo, s1
	s_cbranch_execz .LBB1982_170
; %bb.169:
	v_lshlrev_b32_e32 v15, 2, v0
	v_add_co_u32 v13, vcc_lo, v3, v0
	v_add_co_ci_u32_e64 v14, null, 0, v11, vcc_lo
	ds_read_b32 v15, v15 offset:2048
	v_lshlrev_b64 v[13:14], 2, v[13:14]
	v_sub_co_u32 v13, vcc_lo, s26, v13
	v_sub_co_ci_u32_e64 v14, null, s27, v14, vcc_lo
	v_add_co_u32 v13, vcc_lo, 0xfffff800, v13
	v_add_co_ci_u32_e64 v14, null, -1, v14, vcc_lo
	s_waitcnt lgkmcnt(0)
	global_store_dword v[13:14], v15, off offset:-4
                                        ; implicit-def: $vgpr13
.LBB1982_170:
	s_andn2_saveexec_b32 s1, s1
	s_cbranch_execz .LBB1982_172
; %bb.171:
	v_lshlrev_b32_e32 v14, 2, v0
	v_lshlrev_b32_e32 v13, 2, v13
	v_readfirstlane_b32 s2, v7
	v_readfirstlane_b32 s3, v8
	ds_read_b32 v14, v14 offset:2048
	s_waitcnt lgkmcnt(0)
	global_store_dword v13, v14, s[2:3]
.LBB1982_172:
	s_or_b32 exec_lo, exec_lo, s1
                                        ; implicit-def: $vgpr13
.LBB1982_173:
	s_andn2_saveexec_b32 s0, s0
	s_cbranch_execz .LBB1982_175
; %bb.174:
	v_lshlrev_b32_e32 v14, 2, v0
	v_lshlrev_b32_e32 v13, 2, v13
	v_readfirstlane_b32 s2, v9
	v_readfirstlane_b32 s3, v10
	ds_read_b32 v14, v14 offset:2048
	s_waitcnt lgkmcnt(0)
	global_store_dword v13, v14, s[2:3]
.LBB1982_175:
	s_or_b32 exec_lo, exec_lo, s0
	v_or_b32_e32 v13, 0x300, v0
	s_mov_b32 s0, exec_lo
	v_cmpx_ge_u32_e64 v13, v1
	s_xor_b32 s0, exec_lo, s0
	s_cbranch_execz .LBB1982_181
; %bb.176:
	s_mov_b32 s1, exec_lo
	v_cmpx_ge_u32_e64 v13, v12
	s_xor_b32 s1, exec_lo, s1
	s_cbranch_execz .LBB1982_178
; %bb.177:
	v_lshlrev_b32_e32 v14, 2, v0
	v_add_co_u32 v13, vcc_lo, v3, v13
	ds_read_b32 v15, v14 offset:3072
	v_add_co_ci_u32_e64 v14, null, 0, v11, vcc_lo
	v_lshlrev_b64 v[13:14], 2, v[13:14]
	v_sub_co_u32 v13, vcc_lo, s26, v13
	v_sub_co_ci_u32_e64 v14, null, s27, v14, vcc_lo
	s_waitcnt lgkmcnt(0)
	global_store_dword v[13:14], v15, off offset:-4
                                        ; implicit-def: $vgpr13
.LBB1982_178:
	s_andn2_saveexec_b32 s1, s1
	s_cbranch_execz .LBB1982_180
; %bb.179:
	v_lshlrev_b32_e32 v14, 2, v0
	v_lshlrev_b32_e32 v13, 2, v13
	v_readfirstlane_b32 s2, v7
	v_readfirstlane_b32 s3, v8
	ds_read_b32 v14, v14 offset:3072
	s_waitcnt lgkmcnt(0)
	global_store_dword v13, v14, s[2:3]
.LBB1982_180:
	s_or_b32 exec_lo, exec_lo, s1
                                        ; implicit-def: $vgpr13
.LBB1982_181:
	s_andn2_saveexec_b32 s0, s0
	s_cbranch_execz .LBB1982_183
; %bb.182:
	v_lshlrev_b32_e32 v14, 2, v0
	v_lshlrev_b32_e32 v13, 2, v13
	v_readfirstlane_b32 s2, v9
	v_readfirstlane_b32 s3, v10
	ds_read_b32 v14, v14 offset:3072
	s_waitcnt lgkmcnt(0)
	global_store_dword v13, v14, s[2:3]
.LBB1982_183:
	s_or_b32 exec_lo, exec_lo, s0
	v_or_b32_e32 v13, 0x400, v0
	s_mov_b32 s0, exec_lo
	v_cmpx_ge_u32_e64 v13, v1
	s_xor_b32 s0, exec_lo, s0
	s_cbranch_execz .LBB1982_189
; %bb.184:
	s_mov_b32 s1, exec_lo
	v_cmpx_ge_u32_e64 v13, v12
	s_xor_b32 s1, exec_lo, s1
	s_cbranch_execz .LBB1982_186
; %bb.185:
	v_lshlrev_b32_e32 v14, 2, v0
	v_add_co_u32 v13, vcc_lo, v3, v13
	ds_read_b32 v15, v14 offset:4096
	v_add_co_ci_u32_e64 v14, null, 0, v11, vcc_lo
	v_lshlrev_b64 v[13:14], 2, v[13:14]
	v_sub_co_u32 v13, vcc_lo, s26, v13
	v_sub_co_ci_u32_e64 v14, null, s27, v14, vcc_lo
	s_waitcnt lgkmcnt(0)
	global_store_dword v[13:14], v15, off offset:-4
                                        ; implicit-def: $vgpr13
.LBB1982_186:
	s_andn2_saveexec_b32 s1, s1
	s_cbranch_execz .LBB1982_188
; %bb.187:
	v_lshlrev_b32_e32 v14, 2, v0
	v_lshlrev_b32_e32 v13, 2, v13
	v_readfirstlane_b32 s2, v7
	v_readfirstlane_b32 s3, v8
	ds_read_b32 v14, v14 offset:4096
	s_waitcnt lgkmcnt(0)
	global_store_dword v13, v14, s[2:3]
.LBB1982_188:
	s_or_b32 exec_lo, exec_lo, s1
                                        ; implicit-def: $vgpr13
.LBB1982_189:
	;; [unrolled: 48-line block ×10, first 2 shown]
	s_andn2_saveexec_b32 s0, s0
	s_cbranch_execz .LBB1982_255
; %bb.254:
	v_lshlrev_b32_e32 v14, 2, v0
	v_lshlrev_b32_e32 v13, 2, v13
	v_readfirstlane_b32 s2, v9
	v_readfirstlane_b32 s3, v10
	ds_read_b32 v14, v14 offset:12288
	s_waitcnt lgkmcnt(0)
	global_store_dword v13, v14, s[2:3]
.LBB1982_255:
	s_or_b32 exec_lo, exec_lo, s0
	s_branch .LBB1982_149
.LBB1982_256:
	s_mov_b32 s0, exec_lo
	v_cmpx_gt_u32_e64 s7, v0
	s_cbranch_execz .LBB1982_265
; %bb.257:
	s_mov_b32 s1, exec_lo
	v_cmpx_ge_u32_e64 v0, v1
	s_xor_b32 s1, exec_lo, s1
	s_cbranch_execz .LBB1982_263
; %bb.258:
	s_mov_b32 s2, exec_lo
	v_cmpx_ge_u32_e64 v0, v12
	s_xor_b32 s2, exec_lo, s2
	s_cbranch_execz .LBB1982_260
; %bb.259:
	v_lshlrev_b32_e32 v13, 2, v0
	ds_read_b32 v15, v13
	v_add_co_u32 v13, vcc_lo, v3, v0
	v_add_co_ci_u32_e64 v14, null, 0, v11, vcc_lo
	v_lshlrev_b64 v[13:14], 2, v[13:14]
	v_sub_co_u32 v13, vcc_lo, s26, v13
	v_sub_co_ci_u32_e64 v14, null, s27, v14, vcc_lo
	s_waitcnt lgkmcnt(0)
	global_store_dword v[13:14], v15, off offset:-4
.LBB1982_260:
	s_andn2_saveexec_b32 s2, s2
	s_cbranch_execz .LBB1982_262
; %bb.261:
	v_lshlrev_b32_e32 v13, 2, v0
	v_readfirstlane_b32 s4, v7
	v_readfirstlane_b32 s5, v8
	ds_read_b32 v14, v13
	s_waitcnt lgkmcnt(0)
	global_store_dword v13, v14, s[4:5]
.LBB1982_262:
	s_or_b32 exec_lo, exec_lo, s2
.LBB1982_263:
	s_andn2_saveexec_b32 s1, s1
	s_cbranch_execz .LBB1982_265
; %bb.264:
	v_lshlrev_b32_e32 v13, 2, v0
	v_readfirstlane_b32 s2, v9
	v_readfirstlane_b32 s3, v10
	ds_read_b32 v14, v13
	s_waitcnt lgkmcnt(0)
	global_store_dword v13, v14, s[2:3]
.LBB1982_265:
	s_or_b32 exec_lo, exec_lo, s0
	v_or_b32_e32 v13, 0x100, v0
	s_mov_b32 s0, exec_lo
	v_cmpx_gt_u32_e64 s7, v13
	s_cbranch_execz .LBB1982_274
; %bb.266:
	s_mov_b32 s1, exec_lo
	v_cmpx_ge_u32_e64 v13, v1
	s_xor_b32 s1, exec_lo, s1
	s_cbranch_execz .LBB1982_272
; %bb.267:
	s_mov_b32 s2, exec_lo
	v_cmpx_ge_u32_e64 v13, v12
	s_xor_b32 s2, exec_lo, s2
	s_cbranch_execz .LBB1982_269
; %bb.268:
	v_lshlrev_b32_e32 v13, 2, v0
	ds_read_b32 v15, v13 offset:1024
	v_add_co_u32 v13, vcc_lo, v3, v0
	v_add_co_ci_u32_e64 v14, null, 0, v11, vcc_lo
	v_lshlrev_b64 v[13:14], 2, v[13:14]
	v_sub_co_u32 v13, vcc_lo, s26, v13
	v_sub_co_ci_u32_e64 v14, null, s27, v14, vcc_lo
	s_waitcnt lgkmcnt(0)
	global_store_dword v[13:14], v15, off offset:-1028
.LBB1982_269:
	s_andn2_saveexec_b32 s2, s2
	s_cbranch_execz .LBB1982_271
; %bb.270:
	v_lshlrev_b32_e32 v13, 2, v0
	v_readfirstlane_b32 s4, v7
	v_readfirstlane_b32 s5, v8
	ds_read_b32 v14, v13 offset:1024
	s_waitcnt lgkmcnt(0)
	global_store_dword v13, v14, s[4:5] offset:1024
.LBB1982_271:
	s_or_b32 exec_lo, exec_lo, s2
.LBB1982_272:
	s_andn2_saveexec_b32 s1, s1
	s_cbranch_execz .LBB1982_274
; %bb.273:
	v_lshlrev_b32_e32 v13, 2, v0
	v_readfirstlane_b32 s2, v9
	v_readfirstlane_b32 s3, v10
	ds_read_b32 v14, v13 offset:1024
	s_waitcnt lgkmcnt(0)
	global_store_dword v13, v14, s[2:3] offset:1024
.LBB1982_274:
	s_or_b32 exec_lo, exec_lo, s0
	v_or_b32_e32 v13, 0x200, v0
	s_mov_b32 s0, exec_lo
	v_cmpx_gt_u32_e64 s7, v13
	s_cbranch_execz .LBB1982_283
; %bb.275:
	s_mov_b32 s1, exec_lo
	v_cmpx_ge_u32_e64 v13, v1
	s_xor_b32 s1, exec_lo, s1
	s_cbranch_execz .LBB1982_281
; %bb.276:
	s_mov_b32 s2, exec_lo
	v_cmpx_ge_u32_e64 v13, v12
	s_xor_b32 s2, exec_lo, s2
	s_cbranch_execz .LBB1982_278
; %bb.277:
	v_lshlrev_b32_e32 v15, 2, v0
	v_add_co_u32 v13, vcc_lo, v3, v0
	v_add_co_ci_u32_e64 v14, null, 0, v11, vcc_lo
	ds_read_b32 v15, v15 offset:2048
	v_lshlrev_b64 v[13:14], 2, v[13:14]
	v_sub_co_u32 v13, vcc_lo, s26, v13
	v_sub_co_ci_u32_e64 v14, null, s27, v14, vcc_lo
	v_add_co_u32 v13, vcc_lo, 0xfffff800, v13
	v_add_co_ci_u32_e64 v14, null, -1, v14, vcc_lo
	s_waitcnt lgkmcnt(0)
	global_store_dword v[13:14], v15, off offset:-4
                                        ; implicit-def: $vgpr13
.LBB1982_278:
	s_andn2_saveexec_b32 s2, s2
	s_cbranch_execz .LBB1982_280
; %bb.279:
	v_lshlrev_b32_e32 v14, 2, v0
	v_lshlrev_b32_e32 v13, 2, v13
	v_readfirstlane_b32 s4, v7
	v_readfirstlane_b32 s5, v8
	ds_read_b32 v14, v14 offset:2048
	s_waitcnt lgkmcnt(0)
	global_store_dword v13, v14, s[4:5]
.LBB1982_280:
	s_or_b32 exec_lo, exec_lo, s2
                                        ; implicit-def: $vgpr13
.LBB1982_281:
	s_andn2_saveexec_b32 s1, s1
	s_cbranch_execz .LBB1982_283
; %bb.282:
	v_lshlrev_b32_e32 v14, 2, v0
	v_lshlrev_b32_e32 v13, 2, v13
	v_readfirstlane_b32 s2, v9
	v_readfirstlane_b32 s3, v10
	ds_read_b32 v14, v14 offset:2048
	s_waitcnt lgkmcnt(0)
	global_store_dword v13, v14, s[2:3]
.LBB1982_283:
	s_or_b32 exec_lo, exec_lo, s0
	v_or_b32_e32 v13, 0x300, v0
	s_mov_b32 s0, exec_lo
	v_cmpx_gt_u32_e64 s7, v13
	s_cbranch_execz .LBB1982_292
; %bb.284:
	s_mov_b32 s1, exec_lo
	v_cmpx_ge_u32_e64 v13, v1
	s_xor_b32 s1, exec_lo, s1
	s_cbranch_execz .LBB1982_290
; %bb.285:
	s_mov_b32 s2, exec_lo
	v_cmpx_ge_u32_e64 v13, v12
	s_xor_b32 s2, exec_lo, s2
	s_cbranch_execz .LBB1982_287
; %bb.286:
	v_lshlrev_b32_e32 v14, 2, v0
	v_add_co_u32 v13, vcc_lo, v3, v13
	ds_read_b32 v15, v14 offset:3072
	v_add_co_ci_u32_e64 v14, null, 0, v11, vcc_lo
	v_lshlrev_b64 v[13:14], 2, v[13:14]
	v_sub_co_u32 v13, vcc_lo, s26, v13
	v_sub_co_ci_u32_e64 v14, null, s27, v14, vcc_lo
	s_waitcnt lgkmcnt(0)
	global_store_dword v[13:14], v15, off offset:-4
                                        ; implicit-def: $vgpr13
.LBB1982_287:
	s_andn2_saveexec_b32 s2, s2
	s_cbranch_execz .LBB1982_289
; %bb.288:
	v_lshlrev_b32_e32 v14, 2, v0
	v_lshlrev_b32_e32 v13, 2, v13
	v_readfirstlane_b32 s4, v7
	v_readfirstlane_b32 s5, v8
	ds_read_b32 v14, v14 offset:3072
	s_waitcnt lgkmcnt(0)
	global_store_dword v13, v14, s[4:5]
.LBB1982_289:
	s_or_b32 exec_lo, exec_lo, s2
                                        ; implicit-def: $vgpr13
.LBB1982_290:
	s_andn2_saveexec_b32 s1, s1
	s_cbranch_execz .LBB1982_292
; %bb.291:
	v_lshlrev_b32_e32 v14, 2, v0
	v_lshlrev_b32_e32 v13, 2, v13
	v_readfirstlane_b32 s2, v9
	v_readfirstlane_b32 s3, v10
	ds_read_b32 v14, v14 offset:3072
	s_waitcnt lgkmcnt(0)
	global_store_dword v13, v14, s[2:3]
.LBB1982_292:
	s_or_b32 exec_lo, exec_lo, s0
	v_or_b32_e32 v13, 0x400, v0
	s_mov_b32 s0, exec_lo
	v_cmpx_gt_u32_e64 s7, v13
	s_cbranch_execz .LBB1982_301
; %bb.293:
	s_mov_b32 s1, exec_lo
	v_cmpx_ge_u32_e64 v13, v1
	s_xor_b32 s1, exec_lo, s1
	s_cbranch_execz .LBB1982_299
; %bb.294:
	s_mov_b32 s2, exec_lo
	v_cmpx_ge_u32_e64 v13, v12
	s_xor_b32 s2, exec_lo, s2
	s_cbranch_execz .LBB1982_296
; %bb.295:
	v_lshlrev_b32_e32 v14, 2, v0
	v_add_co_u32 v13, vcc_lo, v3, v13
	ds_read_b32 v15, v14 offset:4096
	v_add_co_ci_u32_e64 v14, null, 0, v11, vcc_lo
	v_lshlrev_b64 v[13:14], 2, v[13:14]
	v_sub_co_u32 v13, vcc_lo, s26, v13
	v_sub_co_ci_u32_e64 v14, null, s27, v14, vcc_lo
	s_waitcnt lgkmcnt(0)
	global_store_dword v[13:14], v15, off offset:-4
                                        ; implicit-def: $vgpr13
.LBB1982_296:
	s_andn2_saveexec_b32 s2, s2
	s_cbranch_execz .LBB1982_298
; %bb.297:
	v_lshlrev_b32_e32 v14, 2, v0
	v_lshlrev_b32_e32 v13, 2, v13
	v_readfirstlane_b32 s4, v7
	v_readfirstlane_b32 s5, v8
	ds_read_b32 v14, v14 offset:4096
	s_waitcnt lgkmcnt(0)
	global_store_dword v13, v14, s[4:5]
.LBB1982_298:
	s_or_b32 exec_lo, exec_lo, s2
                                        ; implicit-def: $vgpr13
.LBB1982_299:
	s_andn2_saveexec_b32 s1, s1
	s_cbranch_execz .LBB1982_301
; %bb.300:
	v_lshlrev_b32_e32 v14, 2, v0
	v_lshlrev_b32_e32 v13, 2, v13
	v_readfirstlane_b32 s2, v9
	v_readfirstlane_b32 s3, v10
	ds_read_b32 v14, v14 offset:4096
	s_waitcnt lgkmcnt(0)
	global_store_dword v13, v14, s[2:3]
.LBB1982_301:
	;; [unrolled: 52-line block ×9, first 2 shown]
	s_or_b32 exec_lo, exec_lo, s0
	v_or_b32_e32 v13, 0xc00, v0
	s_mov_b32 s0, exec_lo
	v_cmpx_gt_u32_e64 s7, v13
	s_cbranch_execz .LBB1982_373
; %bb.365:
	s_mov_b32 s1, exec_lo
	v_cmpx_ge_u32_e64 v13, v1
	s_xor_b32 s1, exec_lo, s1
	s_cbranch_execz .LBB1982_371
; %bb.366:
	s_mov_b32 s2, exec_lo
	v_cmpx_ge_u32_e64 v13, v12
	s_xor_b32 s2, exec_lo, s2
	s_cbranch_execz .LBB1982_368
; %bb.367:
	v_lshlrev_b32_e32 v7, 2, v0
	ds_read_b32 v9, v7 offset:12288
	v_add_co_u32 v7, vcc_lo, v3, v13
	v_add_co_ci_u32_e64 v8, null, 0, v11, vcc_lo
                                        ; implicit-def: $vgpr13
	v_lshlrev_b64 v[7:8], 2, v[7:8]
	v_sub_co_u32 v7, vcc_lo, s26, v7
	v_sub_co_ci_u32_e64 v8, null, s27, v8, vcc_lo
	s_waitcnt lgkmcnt(0)
	global_store_dword v[7:8], v9, off offset:-4
                                        ; implicit-def: $vgpr7_vgpr8
.LBB1982_368:
	s_andn2_saveexec_b32 s2, s2
	s_cbranch_execz .LBB1982_370
; %bb.369:
	v_lshlrev_b32_e32 v3, 2, v0
	v_lshlrev_b32_e32 v9, 2, v13
	v_readfirstlane_b32 s4, v7
	v_readfirstlane_b32 s5, v8
	ds_read_b32 v3, v3 offset:12288
	s_waitcnt lgkmcnt(0)
	global_store_dword v9, v3, s[4:5]
.LBB1982_370:
	s_or_b32 exec_lo, exec_lo, s2
                                        ; implicit-def: $vgpr13
                                        ; implicit-def: $vgpr9_vgpr10
.LBB1982_371:
	s_andn2_saveexec_b32 s1, s1
	s_cbranch_execz .LBB1982_373
; %bb.372:
	v_lshlrev_b32_e32 v3, 2, v0
	v_lshlrev_b32_e32 v7, 2, v13
	v_readfirstlane_b32 s2, v9
	v_readfirstlane_b32 s3, v10
	ds_read_b32 v3, v3 offset:12288
	s_waitcnt lgkmcnt(0)
	global_store_dword v7, v3, s[2:3]
.LBB1982_373:
	s_or_b32 exec_lo, exec_lo, s0
	v_cmp_eq_u32_e32 vcc_lo, 0, v0
	s_and_b32 s0, vcc_lo, s33
	s_and_saveexec_b32 s1, s0
	s_cbranch_execz .LBB1982_150
.LBB1982_374:
	v_add_co_u32 v0, s0, s30, v2
	v_add_co_ci_u32_e64 v3, null, s31, 0, s0
	v_mov_b32_e32 v7, 0
	v_add_co_u32 v2, vcc_lo, v0, v4
	v_add_co_ci_u32_e64 v3, null, 0, v3, vcc_lo
	v_add_co_u32 v0, vcc_lo, v5, v1
	v_add_co_ci_u32_e64 v1, null, 0, v6, vcc_lo
	global_store_dwordx4 v7, v[0:3], s[24:25]
	s_endpgm
.LBB1982_375:
	s_add_i32 s10, s6, 32
	s_mov_b32 s11, 0
	v_add_nc_u32_e32 v6, v4, v2
	s_lshl_b64 s[10:11], s[10:11], 4
	v_add_nc_u32_e32 v5, v3, v1
	s_add_u32 s10, s4, s10
	s_addc_u32 s11, s5, s11
	v_mov_b32_e32 v7, 2
	v_mov_b32_e32 v24, s11
	v_mov_b32_e32 v8, 0
	v_mov_b32_e32 v23, s10
	;;#ASMSTART
	global_store_dwordx4 v[23:24], v[5:8] off	
s_waitcnt vmcnt(0)
	;;#ASMEND
	s_or_b32 exec_lo, exec_lo, s8
	s_and_saveexec_b32 s6, s2
	s_cbranch_execz .LBB1982_135
.LBB1982_376:
	v_mov_b32_e32 v5, 0
	ds_write_b128 v5, v[1:4] offset:13312
	s_or_b32 exec_lo, exec_lo, s6
	v_cmp_eq_u32_e32 vcc_lo, 0, v0
	s_and_b32 exec_lo, exec_lo, vcc_lo
	s_cbranch_execnz .LBB1982_136
	s_branch .LBB1982_137
	.section	.rodata,"a",@progbits
	.p2align	6, 0x0
	.amdhsa_kernel _ZN7rocprim17ROCPRIM_400000_NS6detail17trampoline_kernelINS0_13select_configILj256ELj13ELNS0_17block_load_methodE3ELS4_3ELS4_3ELNS0_20block_scan_algorithmE0ELj4294967295EEENS1_25partition_config_selectorILNS1_17partition_subalgoE4EjNS0_10empty_typeEbEEZZNS1_14partition_implILS8_4ELb0ES6_15HIP_vector_typeIjLj2EENS0_17counting_iteratorIjlEEPS9_SG_NS0_5tupleIJPjSI_NS0_16reverse_iteratorISI_EEEEENSH_IJSG_SG_SG_EEES9_SI_JZNS1_25segmented_radix_sort_implINS0_14default_configELb0EPK12hip_bfloat16PSP_PKlPlN2at6native12_GLOBAL__N_18offset_tEEE10hipError_tPvRmT1_PNSt15iterator_traitsIS13_E10value_typeET2_T3_PNS14_IS19_E10value_typeET4_jRbjT5_S1F_jjP12ihipStream_tbEUljE_ZNSN_ISO_Lb0ESR_SS_SU_SV_SZ_EES10_S11_S12_S13_S17_S18_S19_S1C_S1D_jS1E_jS1F_S1F_jjS1H_bEUljE0_EEES10_S11_S12_S19_S1D_S1F_T6_T7_T9_mT8_S1H_bDpT10_ENKUlT_T0_E_clISt17integral_constantIbLb0EES1V_EEDaS1Q_S1R_EUlS1Q_E_NS1_11comp_targetILNS1_3genE8ELNS1_11target_archE1030ELNS1_3gpuE2ELNS1_3repE0EEENS1_30default_config_static_selectorELNS0_4arch9wavefront6targetE0EEEvS13_
		.amdhsa_group_segment_fixed_size 13328
		.amdhsa_private_segment_fixed_size 0
		.amdhsa_kernarg_size 176
		.amdhsa_user_sgpr_count 6
		.amdhsa_user_sgpr_private_segment_buffer 1
		.amdhsa_user_sgpr_dispatch_ptr 0
		.amdhsa_user_sgpr_queue_ptr 0
		.amdhsa_user_sgpr_kernarg_segment_ptr 1
		.amdhsa_user_sgpr_dispatch_id 0
		.amdhsa_user_sgpr_flat_scratch_init 0
		.amdhsa_user_sgpr_private_segment_size 0
		.amdhsa_wavefront_size32 1
		.amdhsa_uses_dynamic_stack 0
		.amdhsa_system_sgpr_private_segment_wavefront_offset 0
		.amdhsa_system_sgpr_workgroup_id_x 1
		.amdhsa_system_sgpr_workgroup_id_y 0
		.amdhsa_system_sgpr_workgroup_id_z 0
		.amdhsa_system_sgpr_workgroup_info 0
		.amdhsa_system_vgpr_workitem_id 0
		.amdhsa_next_free_vgpr 82
		.amdhsa_next_free_sgpr 59
		.amdhsa_reserve_vcc 1
		.amdhsa_reserve_flat_scratch 0
		.amdhsa_float_round_mode_32 0
		.amdhsa_float_round_mode_16_64 0
		.amdhsa_float_denorm_mode_32 3
		.amdhsa_float_denorm_mode_16_64 3
		.amdhsa_dx10_clamp 1
		.amdhsa_ieee_mode 1
		.amdhsa_fp16_overflow 0
		.amdhsa_workgroup_processor_mode 1
		.amdhsa_memory_ordered 1
		.amdhsa_forward_progress 1
		.amdhsa_shared_vgpr_count 0
		.amdhsa_exception_fp_ieee_invalid_op 0
		.amdhsa_exception_fp_denorm_src 0
		.amdhsa_exception_fp_ieee_div_zero 0
		.amdhsa_exception_fp_ieee_overflow 0
		.amdhsa_exception_fp_ieee_underflow 0
		.amdhsa_exception_fp_ieee_inexact 0
		.amdhsa_exception_int_div_zero 0
	.end_amdhsa_kernel
	.section	.text._ZN7rocprim17ROCPRIM_400000_NS6detail17trampoline_kernelINS0_13select_configILj256ELj13ELNS0_17block_load_methodE3ELS4_3ELS4_3ELNS0_20block_scan_algorithmE0ELj4294967295EEENS1_25partition_config_selectorILNS1_17partition_subalgoE4EjNS0_10empty_typeEbEEZZNS1_14partition_implILS8_4ELb0ES6_15HIP_vector_typeIjLj2EENS0_17counting_iteratorIjlEEPS9_SG_NS0_5tupleIJPjSI_NS0_16reverse_iteratorISI_EEEEENSH_IJSG_SG_SG_EEES9_SI_JZNS1_25segmented_radix_sort_implINS0_14default_configELb0EPK12hip_bfloat16PSP_PKlPlN2at6native12_GLOBAL__N_18offset_tEEE10hipError_tPvRmT1_PNSt15iterator_traitsIS13_E10value_typeET2_T3_PNS14_IS19_E10value_typeET4_jRbjT5_S1F_jjP12ihipStream_tbEUljE_ZNSN_ISO_Lb0ESR_SS_SU_SV_SZ_EES10_S11_S12_S13_S17_S18_S19_S1C_S1D_jS1E_jS1F_S1F_jjS1H_bEUljE0_EEES10_S11_S12_S19_S1D_S1F_T6_T7_T9_mT8_S1H_bDpT10_ENKUlT_T0_E_clISt17integral_constantIbLb0EES1V_EEDaS1Q_S1R_EUlS1Q_E_NS1_11comp_targetILNS1_3genE8ELNS1_11target_archE1030ELNS1_3gpuE2ELNS1_3repE0EEENS1_30default_config_static_selectorELNS0_4arch9wavefront6targetE0EEEvS13_,"axG",@progbits,_ZN7rocprim17ROCPRIM_400000_NS6detail17trampoline_kernelINS0_13select_configILj256ELj13ELNS0_17block_load_methodE3ELS4_3ELS4_3ELNS0_20block_scan_algorithmE0ELj4294967295EEENS1_25partition_config_selectorILNS1_17partition_subalgoE4EjNS0_10empty_typeEbEEZZNS1_14partition_implILS8_4ELb0ES6_15HIP_vector_typeIjLj2EENS0_17counting_iteratorIjlEEPS9_SG_NS0_5tupleIJPjSI_NS0_16reverse_iteratorISI_EEEEENSH_IJSG_SG_SG_EEES9_SI_JZNS1_25segmented_radix_sort_implINS0_14default_configELb0EPK12hip_bfloat16PSP_PKlPlN2at6native12_GLOBAL__N_18offset_tEEE10hipError_tPvRmT1_PNSt15iterator_traitsIS13_E10value_typeET2_T3_PNS14_IS19_E10value_typeET4_jRbjT5_S1F_jjP12ihipStream_tbEUljE_ZNSN_ISO_Lb0ESR_SS_SU_SV_SZ_EES10_S11_S12_S13_S17_S18_S19_S1C_S1D_jS1E_jS1F_S1F_jjS1H_bEUljE0_EEES10_S11_S12_S19_S1D_S1F_T6_T7_T9_mT8_S1H_bDpT10_ENKUlT_T0_E_clISt17integral_constantIbLb0EES1V_EEDaS1Q_S1R_EUlS1Q_E_NS1_11comp_targetILNS1_3genE8ELNS1_11target_archE1030ELNS1_3gpuE2ELNS1_3repE0EEENS1_30default_config_static_selectorELNS0_4arch9wavefront6targetE0EEEvS13_,comdat
.Lfunc_end1982:
	.size	_ZN7rocprim17ROCPRIM_400000_NS6detail17trampoline_kernelINS0_13select_configILj256ELj13ELNS0_17block_load_methodE3ELS4_3ELS4_3ELNS0_20block_scan_algorithmE0ELj4294967295EEENS1_25partition_config_selectorILNS1_17partition_subalgoE4EjNS0_10empty_typeEbEEZZNS1_14partition_implILS8_4ELb0ES6_15HIP_vector_typeIjLj2EENS0_17counting_iteratorIjlEEPS9_SG_NS0_5tupleIJPjSI_NS0_16reverse_iteratorISI_EEEEENSH_IJSG_SG_SG_EEES9_SI_JZNS1_25segmented_radix_sort_implINS0_14default_configELb0EPK12hip_bfloat16PSP_PKlPlN2at6native12_GLOBAL__N_18offset_tEEE10hipError_tPvRmT1_PNSt15iterator_traitsIS13_E10value_typeET2_T3_PNS14_IS19_E10value_typeET4_jRbjT5_S1F_jjP12ihipStream_tbEUljE_ZNSN_ISO_Lb0ESR_SS_SU_SV_SZ_EES10_S11_S12_S13_S17_S18_S19_S1C_S1D_jS1E_jS1F_S1F_jjS1H_bEUljE0_EEES10_S11_S12_S19_S1D_S1F_T6_T7_T9_mT8_S1H_bDpT10_ENKUlT_T0_E_clISt17integral_constantIbLb0EES1V_EEDaS1Q_S1R_EUlS1Q_E_NS1_11comp_targetILNS1_3genE8ELNS1_11target_archE1030ELNS1_3gpuE2ELNS1_3repE0EEENS1_30default_config_static_selectorELNS0_4arch9wavefront6targetE0EEEvS13_, .Lfunc_end1982-_ZN7rocprim17ROCPRIM_400000_NS6detail17trampoline_kernelINS0_13select_configILj256ELj13ELNS0_17block_load_methodE3ELS4_3ELS4_3ELNS0_20block_scan_algorithmE0ELj4294967295EEENS1_25partition_config_selectorILNS1_17partition_subalgoE4EjNS0_10empty_typeEbEEZZNS1_14partition_implILS8_4ELb0ES6_15HIP_vector_typeIjLj2EENS0_17counting_iteratorIjlEEPS9_SG_NS0_5tupleIJPjSI_NS0_16reverse_iteratorISI_EEEEENSH_IJSG_SG_SG_EEES9_SI_JZNS1_25segmented_radix_sort_implINS0_14default_configELb0EPK12hip_bfloat16PSP_PKlPlN2at6native12_GLOBAL__N_18offset_tEEE10hipError_tPvRmT1_PNSt15iterator_traitsIS13_E10value_typeET2_T3_PNS14_IS19_E10value_typeET4_jRbjT5_S1F_jjP12ihipStream_tbEUljE_ZNSN_ISO_Lb0ESR_SS_SU_SV_SZ_EES10_S11_S12_S13_S17_S18_S19_S1C_S1D_jS1E_jS1F_S1F_jjS1H_bEUljE0_EEES10_S11_S12_S19_S1D_S1F_T6_T7_T9_mT8_S1H_bDpT10_ENKUlT_T0_E_clISt17integral_constantIbLb0EES1V_EEDaS1Q_S1R_EUlS1Q_E_NS1_11comp_targetILNS1_3genE8ELNS1_11target_archE1030ELNS1_3gpuE2ELNS1_3repE0EEENS1_30default_config_static_selectorELNS0_4arch9wavefront6targetE0EEEvS13_
                                        ; -- End function
	.set _ZN7rocprim17ROCPRIM_400000_NS6detail17trampoline_kernelINS0_13select_configILj256ELj13ELNS0_17block_load_methodE3ELS4_3ELS4_3ELNS0_20block_scan_algorithmE0ELj4294967295EEENS1_25partition_config_selectorILNS1_17partition_subalgoE4EjNS0_10empty_typeEbEEZZNS1_14partition_implILS8_4ELb0ES6_15HIP_vector_typeIjLj2EENS0_17counting_iteratorIjlEEPS9_SG_NS0_5tupleIJPjSI_NS0_16reverse_iteratorISI_EEEEENSH_IJSG_SG_SG_EEES9_SI_JZNS1_25segmented_radix_sort_implINS0_14default_configELb0EPK12hip_bfloat16PSP_PKlPlN2at6native12_GLOBAL__N_18offset_tEEE10hipError_tPvRmT1_PNSt15iterator_traitsIS13_E10value_typeET2_T3_PNS14_IS19_E10value_typeET4_jRbjT5_S1F_jjP12ihipStream_tbEUljE_ZNSN_ISO_Lb0ESR_SS_SU_SV_SZ_EES10_S11_S12_S13_S17_S18_S19_S1C_S1D_jS1E_jS1F_S1F_jjS1H_bEUljE0_EEES10_S11_S12_S19_S1D_S1F_T6_T7_T9_mT8_S1H_bDpT10_ENKUlT_T0_E_clISt17integral_constantIbLb0EES1V_EEDaS1Q_S1R_EUlS1Q_E_NS1_11comp_targetILNS1_3genE8ELNS1_11target_archE1030ELNS1_3gpuE2ELNS1_3repE0EEENS1_30default_config_static_selectorELNS0_4arch9wavefront6targetE0EEEvS13_.num_vgpr, 82
	.set _ZN7rocprim17ROCPRIM_400000_NS6detail17trampoline_kernelINS0_13select_configILj256ELj13ELNS0_17block_load_methodE3ELS4_3ELS4_3ELNS0_20block_scan_algorithmE0ELj4294967295EEENS1_25partition_config_selectorILNS1_17partition_subalgoE4EjNS0_10empty_typeEbEEZZNS1_14partition_implILS8_4ELb0ES6_15HIP_vector_typeIjLj2EENS0_17counting_iteratorIjlEEPS9_SG_NS0_5tupleIJPjSI_NS0_16reverse_iteratorISI_EEEEENSH_IJSG_SG_SG_EEES9_SI_JZNS1_25segmented_radix_sort_implINS0_14default_configELb0EPK12hip_bfloat16PSP_PKlPlN2at6native12_GLOBAL__N_18offset_tEEE10hipError_tPvRmT1_PNSt15iterator_traitsIS13_E10value_typeET2_T3_PNS14_IS19_E10value_typeET4_jRbjT5_S1F_jjP12ihipStream_tbEUljE_ZNSN_ISO_Lb0ESR_SS_SU_SV_SZ_EES10_S11_S12_S13_S17_S18_S19_S1C_S1D_jS1E_jS1F_S1F_jjS1H_bEUljE0_EEES10_S11_S12_S19_S1D_S1F_T6_T7_T9_mT8_S1H_bDpT10_ENKUlT_T0_E_clISt17integral_constantIbLb0EES1V_EEDaS1Q_S1R_EUlS1Q_E_NS1_11comp_targetILNS1_3genE8ELNS1_11target_archE1030ELNS1_3gpuE2ELNS1_3repE0EEENS1_30default_config_static_selectorELNS0_4arch9wavefront6targetE0EEEvS13_.num_agpr, 0
	.set _ZN7rocprim17ROCPRIM_400000_NS6detail17trampoline_kernelINS0_13select_configILj256ELj13ELNS0_17block_load_methodE3ELS4_3ELS4_3ELNS0_20block_scan_algorithmE0ELj4294967295EEENS1_25partition_config_selectorILNS1_17partition_subalgoE4EjNS0_10empty_typeEbEEZZNS1_14partition_implILS8_4ELb0ES6_15HIP_vector_typeIjLj2EENS0_17counting_iteratorIjlEEPS9_SG_NS0_5tupleIJPjSI_NS0_16reverse_iteratorISI_EEEEENSH_IJSG_SG_SG_EEES9_SI_JZNS1_25segmented_radix_sort_implINS0_14default_configELb0EPK12hip_bfloat16PSP_PKlPlN2at6native12_GLOBAL__N_18offset_tEEE10hipError_tPvRmT1_PNSt15iterator_traitsIS13_E10value_typeET2_T3_PNS14_IS19_E10value_typeET4_jRbjT5_S1F_jjP12ihipStream_tbEUljE_ZNSN_ISO_Lb0ESR_SS_SU_SV_SZ_EES10_S11_S12_S13_S17_S18_S19_S1C_S1D_jS1E_jS1F_S1F_jjS1H_bEUljE0_EEES10_S11_S12_S19_S1D_S1F_T6_T7_T9_mT8_S1H_bDpT10_ENKUlT_T0_E_clISt17integral_constantIbLb0EES1V_EEDaS1Q_S1R_EUlS1Q_E_NS1_11comp_targetILNS1_3genE8ELNS1_11target_archE1030ELNS1_3gpuE2ELNS1_3repE0EEENS1_30default_config_static_selectorELNS0_4arch9wavefront6targetE0EEEvS13_.numbered_sgpr, 59
	.set _ZN7rocprim17ROCPRIM_400000_NS6detail17trampoline_kernelINS0_13select_configILj256ELj13ELNS0_17block_load_methodE3ELS4_3ELS4_3ELNS0_20block_scan_algorithmE0ELj4294967295EEENS1_25partition_config_selectorILNS1_17partition_subalgoE4EjNS0_10empty_typeEbEEZZNS1_14partition_implILS8_4ELb0ES6_15HIP_vector_typeIjLj2EENS0_17counting_iteratorIjlEEPS9_SG_NS0_5tupleIJPjSI_NS0_16reverse_iteratorISI_EEEEENSH_IJSG_SG_SG_EEES9_SI_JZNS1_25segmented_radix_sort_implINS0_14default_configELb0EPK12hip_bfloat16PSP_PKlPlN2at6native12_GLOBAL__N_18offset_tEEE10hipError_tPvRmT1_PNSt15iterator_traitsIS13_E10value_typeET2_T3_PNS14_IS19_E10value_typeET4_jRbjT5_S1F_jjP12ihipStream_tbEUljE_ZNSN_ISO_Lb0ESR_SS_SU_SV_SZ_EES10_S11_S12_S13_S17_S18_S19_S1C_S1D_jS1E_jS1F_S1F_jjS1H_bEUljE0_EEES10_S11_S12_S19_S1D_S1F_T6_T7_T9_mT8_S1H_bDpT10_ENKUlT_T0_E_clISt17integral_constantIbLb0EES1V_EEDaS1Q_S1R_EUlS1Q_E_NS1_11comp_targetILNS1_3genE8ELNS1_11target_archE1030ELNS1_3gpuE2ELNS1_3repE0EEENS1_30default_config_static_selectorELNS0_4arch9wavefront6targetE0EEEvS13_.num_named_barrier, 0
	.set _ZN7rocprim17ROCPRIM_400000_NS6detail17trampoline_kernelINS0_13select_configILj256ELj13ELNS0_17block_load_methodE3ELS4_3ELS4_3ELNS0_20block_scan_algorithmE0ELj4294967295EEENS1_25partition_config_selectorILNS1_17partition_subalgoE4EjNS0_10empty_typeEbEEZZNS1_14partition_implILS8_4ELb0ES6_15HIP_vector_typeIjLj2EENS0_17counting_iteratorIjlEEPS9_SG_NS0_5tupleIJPjSI_NS0_16reverse_iteratorISI_EEEEENSH_IJSG_SG_SG_EEES9_SI_JZNS1_25segmented_radix_sort_implINS0_14default_configELb0EPK12hip_bfloat16PSP_PKlPlN2at6native12_GLOBAL__N_18offset_tEEE10hipError_tPvRmT1_PNSt15iterator_traitsIS13_E10value_typeET2_T3_PNS14_IS19_E10value_typeET4_jRbjT5_S1F_jjP12ihipStream_tbEUljE_ZNSN_ISO_Lb0ESR_SS_SU_SV_SZ_EES10_S11_S12_S13_S17_S18_S19_S1C_S1D_jS1E_jS1F_S1F_jjS1H_bEUljE0_EEES10_S11_S12_S19_S1D_S1F_T6_T7_T9_mT8_S1H_bDpT10_ENKUlT_T0_E_clISt17integral_constantIbLb0EES1V_EEDaS1Q_S1R_EUlS1Q_E_NS1_11comp_targetILNS1_3genE8ELNS1_11target_archE1030ELNS1_3gpuE2ELNS1_3repE0EEENS1_30default_config_static_selectorELNS0_4arch9wavefront6targetE0EEEvS13_.private_seg_size, 0
	.set _ZN7rocprim17ROCPRIM_400000_NS6detail17trampoline_kernelINS0_13select_configILj256ELj13ELNS0_17block_load_methodE3ELS4_3ELS4_3ELNS0_20block_scan_algorithmE0ELj4294967295EEENS1_25partition_config_selectorILNS1_17partition_subalgoE4EjNS0_10empty_typeEbEEZZNS1_14partition_implILS8_4ELb0ES6_15HIP_vector_typeIjLj2EENS0_17counting_iteratorIjlEEPS9_SG_NS0_5tupleIJPjSI_NS0_16reverse_iteratorISI_EEEEENSH_IJSG_SG_SG_EEES9_SI_JZNS1_25segmented_radix_sort_implINS0_14default_configELb0EPK12hip_bfloat16PSP_PKlPlN2at6native12_GLOBAL__N_18offset_tEEE10hipError_tPvRmT1_PNSt15iterator_traitsIS13_E10value_typeET2_T3_PNS14_IS19_E10value_typeET4_jRbjT5_S1F_jjP12ihipStream_tbEUljE_ZNSN_ISO_Lb0ESR_SS_SU_SV_SZ_EES10_S11_S12_S13_S17_S18_S19_S1C_S1D_jS1E_jS1F_S1F_jjS1H_bEUljE0_EEES10_S11_S12_S19_S1D_S1F_T6_T7_T9_mT8_S1H_bDpT10_ENKUlT_T0_E_clISt17integral_constantIbLb0EES1V_EEDaS1Q_S1R_EUlS1Q_E_NS1_11comp_targetILNS1_3genE8ELNS1_11target_archE1030ELNS1_3gpuE2ELNS1_3repE0EEENS1_30default_config_static_selectorELNS0_4arch9wavefront6targetE0EEEvS13_.uses_vcc, 1
	.set _ZN7rocprim17ROCPRIM_400000_NS6detail17trampoline_kernelINS0_13select_configILj256ELj13ELNS0_17block_load_methodE3ELS4_3ELS4_3ELNS0_20block_scan_algorithmE0ELj4294967295EEENS1_25partition_config_selectorILNS1_17partition_subalgoE4EjNS0_10empty_typeEbEEZZNS1_14partition_implILS8_4ELb0ES6_15HIP_vector_typeIjLj2EENS0_17counting_iteratorIjlEEPS9_SG_NS0_5tupleIJPjSI_NS0_16reverse_iteratorISI_EEEEENSH_IJSG_SG_SG_EEES9_SI_JZNS1_25segmented_radix_sort_implINS0_14default_configELb0EPK12hip_bfloat16PSP_PKlPlN2at6native12_GLOBAL__N_18offset_tEEE10hipError_tPvRmT1_PNSt15iterator_traitsIS13_E10value_typeET2_T3_PNS14_IS19_E10value_typeET4_jRbjT5_S1F_jjP12ihipStream_tbEUljE_ZNSN_ISO_Lb0ESR_SS_SU_SV_SZ_EES10_S11_S12_S13_S17_S18_S19_S1C_S1D_jS1E_jS1F_S1F_jjS1H_bEUljE0_EEES10_S11_S12_S19_S1D_S1F_T6_T7_T9_mT8_S1H_bDpT10_ENKUlT_T0_E_clISt17integral_constantIbLb0EES1V_EEDaS1Q_S1R_EUlS1Q_E_NS1_11comp_targetILNS1_3genE8ELNS1_11target_archE1030ELNS1_3gpuE2ELNS1_3repE0EEENS1_30default_config_static_selectorELNS0_4arch9wavefront6targetE0EEEvS13_.uses_flat_scratch, 0
	.set _ZN7rocprim17ROCPRIM_400000_NS6detail17trampoline_kernelINS0_13select_configILj256ELj13ELNS0_17block_load_methodE3ELS4_3ELS4_3ELNS0_20block_scan_algorithmE0ELj4294967295EEENS1_25partition_config_selectorILNS1_17partition_subalgoE4EjNS0_10empty_typeEbEEZZNS1_14partition_implILS8_4ELb0ES6_15HIP_vector_typeIjLj2EENS0_17counting_iteratorIjlEEPS9_SG_NS0_5tupleIJPjSI_NS0_16reverse_iteratorISI_EEEEENSH_IJSG_SG_SG_EEES9_SI_JZNS1_25segmented_radix_sort_implINS0_14default_configELb0EPK12hip_bfloat16PSP_PKlPlN2at6native12_GLOBAL__N_18offset_tEEE10hipError_tPvRmT1_PNSt15iterator_traitsIS13_E10value_typeET2_T3_PNS14_IS19_E10value_typeET4_jRbjT5_S1F_jjP12ihipStream_tbEUljE_ZNSN_ISO_Lb0ESR_SS_SU_SV_SZ_EES10_S11_S12_S13_S17_S18_S19_S1C_S1D_jS1E_jS1F_S1F_jjS1H_bEUljE0_EEES10_S11_S12_S19_S1D_S1F_T6_T7_T9_mT8_S1H_bDpT10_ENKUlT_T0_E_clISt17integral_constantIbLb0EES1V_EEDaS1Q_S1R_EUlS1Q_E_NS1_11comp_targetILNS1_3genE8ELNS1_11target_archE1030ELNS1_3gpuE2ELNS1_3repE0EEENS1_30default_config_static_selectorELNS0_4arch9wavefront6targetE0EEEvS13_.has_dyn_sized_stack, 0
	.set _ZN7rocprim17ROCPRIM_400000_NS6detail17trampoline_kernelINS0_13select_configILj256ELj13ELNS0_17block_load_methodE3ELS4_3ELS4_3ELNS0_20block_scan_algorithmE0ELj4294967295EEENS1_25partition_config_selectorILNS1_17partition_subalgoE4EjNS0_10empty_typeEbEEZZNS1_14partition_implILS8_4ELb0ES6_15HIP_vector_typeIjLj2EENS0_17counting_iteratorIjlEEPS9_SG_NS0_5tupleIJPjSI_NS0_16reverse_iteratorISI_EEEEENSH_IJSG_SG_SG_EEES9_SI_JZNS1_25segmented_radix_sort_implINS0_14default_configELb0EPK12hip_bfloat16PSP_PKlPlN2at6native12_GLOBAL__N_18offset_tEEE10hipError_tPvRmT1_PNSt15iterator_traitsIS13_E10value_typeET2_T3_PNS14_IS19_E10value_typeET4_jRbjT5_S1F_jjP12ihipStream_tbEUljE_ZNSN_ISO_Lb0ESR_SS_SU_SV_SZ_EES10_S11_S12_S13_S17_S18_S19_S1C_S1D_jS1E_jS1F_S1F_jjS1H_bEUljE0_EEES10_S11_S12_S19_S1D_S1F_T6_T7_T9_mT8_S1H_bDpT10_ENKUlT_T0_E_clISt17integral_constantIbLb0EES1V_EEDaS1Q_S1R_EUlS1Q_E_NS1_11comp_targetILNS1_3genE8ELNS1_11target_archE1030ELNS1_3gpuE2ELNS1_3repE0EEENS1_30default_config_static_selectorELNS0_4arch9wavefront6targetE0EEEvS13_.has_recursion, 0
	.set _ZN7rocprim17ROCPRIM_400000_NS6detail17trampoline_kernelINS0_13select_configILj256ELj13ELNS0_17block_load_methodE3ELS4_3ELS4_3ELNS0_20block_scan_algorithmE0ELj4294967295EEENS1_25partition_config_selectorILNS1_17partition_subalgoE4EjNS0_10empty_typeEbEEZZNS1_14partition_implILS8_4ELb0ES6_15HIP_vector_typeIjLj2EENS0_17counting_iteratorIjlEEPS9_SG_NS0_5tupleIJPjSI_NS0_16reverse_iteratorISI_EEEEENSH_IJSG_SG_SG_EEES9_SI_JZNS1_25segmented_radix_sort_implINS0_14default_configELb0EPK12hip_bfloat16PSP_PKlPlN2at6native12_GLOBAL__N_18offset_tEEE10hipError_tPvRmT1_PNSt15iterator_traitsIS13_E10value_typeET2_T3_PNS14_IS19_E10value_typeET4_jRbjT5_S1F_jjP12ihipStream_tbEUljE_ZNSN_ISO_Lb0ESR_SS_SU_SV_SZ_EES10_S11_S12_S13_S17_S18_S19_S1C_S1D_jS1E_jS1F_S1F_jjS1H_bEUljE0_EEES10_S11_S12_S19_S1D_S1F_T6_T7_T9_mT8_S1H_bDpT10_ENKUlT_T0_E_clISt17integral_constantIbLb0EES1V_EEDaS1Q_S1R_EUlS1Q_E_NS1_11comp_targetILNS1_3genE8ELNS1_11target_archE1030ELNS1_3gpuE2ELNS1_3repE0EEENS1_30default_config_static_selectorELNS0_4arch9wavefront6targetE0EEEvS13_.has_indirect_call, 0
	.section	.AMDGPU.csdata,"",@progbits
; Kernel info:
; codeLenInByte = 16236
; TotalNumSgprs: 61
; NumVgprs: 82
; ScratchSize: 0
; MemoryBound: 0
; FloatMode: 240
; IeeeMode: 1
; LDSByteSize: 13328 bytes/workgroup (compile time only)
; SGPRBlocks: 0
; VGPRBlocks: 10
; NumSGPRsForWavesPerEU: 61
; NumVGPRsForWavesPerEU: 82
; Occupancy: 10
; WaveLimiterHint : 1
; COMPUTE_PGM_RSRC2:SCRATCH_EN: 0
; COMPUTE_PGM_RSRC2:USER_SGPR: 6
; COMPUTE_PGM_RSRC2:TRAP_HANDLER: 0
; COMPUTE_PGM_RSRC2:TGID_X_EN: 1
; COMPUTE_PGM_RSRC2:TGID_Y_EN: 0
; COMPUTE_PGM_RSRC2:TGID_Z_EN: 0
; COMPUTE_PGM_RSRC2:TIDIG_COMP_CNT: 0
	.section	.text._ZN7rocprim17ROCPRIM_400000_NS6detail17trampoline_kernelINS0_13select_configILj256ELj13ELNS0_17block_load_methodE3ELS4_3ELS4_3ELNS0_20block_scan_algorithmE0ELj4294967295EEENS1_25partition_config_selectorILNS1_17partition_subalgoE4EjNS0_10empty_typeEbEEZZNS1_14partition_implILS8_4ELb0ES6_15HIP_vector_typeIjLj2EENS0_17counting_iteratorIjlEEPS9_SG_NS0_5tupleIJPjSI_NS0_16reverse_iteratorISI_EEEEENSH_IJSG_SG_SG_EEES9_SI_JZNS1_25segmented_radix_sort_implINS0_14default_configELb0EPK12hip_bfloat16PSP_PKlPlN2at6native12_GLOBAL__N_18offset_tEEE10hipError_tPvRmT1_PNSt15iterator_traitsIS13_E10value_typeET2_T3_PNS14_IS19_E10value_typeET4_jRbjT5_S1F_jjP12ihipStream_tbEUljE_ZNSN_ISO_Lb0ESR_SS_SU_SV_SZ_EES10_S11_S12_S13_S17_S18_S19_S1C_S1D_jS1E_jS1F_S1F_jjS1H_bEUljE0_EEES10_S11_S12_S19_S1D_S1F_T6_T7_T9_mT8_S1H_bDpT10_ENKUlT_T0_E_clISt17integral_constantIbLb1EES1V_EEDaS1Q_S1R_EUlS1Q_E_NS1_11comp_targetILNS1_3genE0ELNS1_11target_archE4294967295ELNS1_3gpuE0ELNS1_3repE0EEENS1_30default_config_static_selectorELNS0_4arch9wavefront6targetE0EEEvS13_,"axG",@progbits,_ZN7rocprim17ROCPRIM_400000_NS6detail17trampoline_kernelINS0_13select_configILj256ELj13ELNS0_17block_load_methodE3ELS4_3ELS4_3ELNS0_20block_scan_algorithmE0ELj4294967295EEENS1_25partition_config_selectorILNS1_17partition_subalgoE4EjNS0_10empty_typeEbEEZZNS1_14partition_implILS8_4ELb0ES6_15HIP_vector_typeIjLj2EENS0_17counting_iteratorIjlEEPS9_SG_NS0_5tupleIJPjSI_NS0_16reverse_iteratorISI_EEEEENSH_IJSG_SG_SG_EEES9_SI_JZNS1_25segmented_radix_sort_implINS0_14default_configELb0EPK12hip_bfloat16PSP_PKlPlN2at6native12_GLOBAL__N_18offset_tEEE10hipError_tPvRmT1_PNSt15iterator_traitsIS13_E10value_typeET2_T3_PNS14_IS19_E10value_typeET4_jRbjT5_S1F_jjP12ihipStream_tbEUljE_ZNSN_ISO_Lb0ESR_SS_SU_SV_SZ_EES10_S11_S12_S13_S17_S18_S19_S1C_S1D_jS1E_jS1F_S1F_jjS1H_bEUljE0_EEES10_S11_S12_S19_S1D_S1F_T6_T7_T9_mT8_S1H_bDpT10_ENKUlT_T0_E_clISt17integral_constantIbLb1EES1V_EEDaS1Q_S1R_EUlS1Q_E_NS1_11comp_targetILNS1_3genE0ELNS1_11target_archE4294967295ELNS1_3gpuE0ELNS1_3repE0EEENS1_30default_config_static_selectorELNS0_4arch9wavefront6targetE0EEEvS13_,comdat
	.globl	_ZN7rocprim17ROCPRIM_400000_NS6detail17trampoline_kernelINS0_13select_configILj256ELj13ELNS0_17block_load_methodE3ELS4_3ELS4_3ELNS0_20block_scan_algorithmE0ELj4294967295EEENS1_25partition_config_selectorILNS1_17partition_subalgoE4EjNS0_10empty_typeEbEEZZNS1_14partition_implILS8_4ELb0ES6_15HIP_vector_typeIjLj2EENS0_17counting_iteratorIjlEEPS9_SG_NS0_5tupleIJPjSI_NS0_16reverse_iteratorISI_EEEEENSH_IJSG_SG_SG_EEES9_SI_JZNS1_25segmented_radix_sort_implINS0_14default_configELb0EPK12hip_bfloat16PSP_PKlPlN2at6native12_GLOBAL__N_18offset_tEEE10hipError_tPvRmT1_PNSt15iterator_traitsIS13_E10value_typeET2_T3_PNS14_IS19_E10value_typeET4_jRbjT5_S1F_jjP12ihipStream_tbEUljE_ZNSN_ISO_Lb0ESR_SS_SU_SV_SZ_EES10_S11_S12_S13_S17_S18_S19_S1C_S1D_jS1E_jS1F_S1F_jjS1H_bEUljE0_EEES10_S11_S12_S19_S1D_S1F_T6_T7_T9_mT8_S1H_bDpT10_ENKUlT_T0_E_clISt17integral_constantIbLb1EES1V_EEDaS1Q_S1R_EUlS1Q_E_NS1_11comp_targetILNS1_3genE0ELNS1_11target_archE4294967295ELNS1_3gpuE0ELNS1_3repE0EEENS1_30default_config_static_selectorELNS0_4arch9wavefront6targetE0EEEvS13_ ; -- Begin function _ZN7rocprim17ROCPRIM_400000_NS6detail17trampoline_kernelINS0_13select_configILj256ELj13ELNS0_17block_load_methodE3ELS4_3ELS4_3ELNS0_20block_scan_algorithmE0ELj4294967295EEENS1_25partition_config_selectorILNS1_17partition_subalgoE4EjNS0_10empty_typeEbEEZZNS1_14partition_implILS8_4ELb0ES6_15HIP_vector_typeIjLj2EENS0_17counting_iteratorIjlEEPS9_SG_NS0_5tupleIJPjSI_NS0_16reverse_iteratorISI_EEEEENSH_IJSG_SG_SG_EEES9_SI_JZNS1_25segmented_radix_sort_implINS0_14default_configELb0EPK12hip_bfloat16PSP_PKlPlN2at6native12_GLOBAL__N_18offset_tEEE10hipError_tPvRmT1_PNSt15iterator_traitsIS13_E10value_typeET2_T3_PNS14_IS19_E10value_typeET4_jRbjT5_S1F_jjP12ihipStream_tbEUljE_ZNSN_ISO_Lb0ESR_SS_SU_SV_SZ_EES10_S11_S12_S13_S17_S18_S19_S1C_S1D_jS1E_jS1F_S1F_jjS1H_bEUljE0_EEES10_S11_S12_S19_S1D_S1F_T6_T7_T9_mT8_S1H_bDpT10_ENKUlT_T0_E_clISt17integral_constantIbLb1EES1V_EEDaS1Q_S1R_EUlS1Q_E_NS1_11comp_targetILNS1_3genE0ELNS1_11target_archE4294967295ELNS1_3gpuE0ELNS1_3repE0EEENS1_30default_config_static_selectorELNS0_4arch9wavefront6targetE0EEEvS13_
	.p2align	8
	.type	_ZN7rocprim17ROCPRIM_400000_NS6detail17trampoline_kernelINS0_13select_configILj256ELj13ELNS0_17block_load_methodE3ELS4_3ELS4_3ELNS0_20block_scan_algorithmE0ELj4294967295EEENS1_25partition_config_selectorILNS1_17partition_subalgoE4EjNS0_10empty_typeEbEEZZNS1_14partition_implILS8_4ELb0ES6_15HIP_vector_typeIjLj2EENS0_17counting_iteratorIjlEEPS9_SG_NS0_5tupleIJPjSI_NS0_16reverse_iteratorISI_EEEEENSH_IJSG_SG_SG_EEES9_SI_JZNS1_25segmented_radix_sort_implINS0_14default_configELb0EPK12hip_bfloat16PSP_PKlPlN2at6native12_GLOBAL__N_18offset_tEEE10hipError_tPvRmT1_PNSt15iterator_traitsIS13_E10value_typeET2_T3_PNS14_IS19_E10value_typeET4_jRbjT5_S1F_jjP12ihipStream_tbEUljE_ZNSN_ISO_Lb0ESR_SS_SU_SV_SZ_EES10_S11_S12_S13_S17_S18_S19_S1C_S1D_jS1E_jS1F_S1F_jjS1H_bEUljE0_EEES10_S11_S12_S19_S1D_S1F_T6_T7_T9_mT8_S1H_bDpT10_ENKUlT_T0_E_clISt17integral_constantIbLb1EES1V_EEDaS1Q_S1R_EUlS1Q_E_NS1_11comp_targetILNS1_3genE0ELNS1_11target_archE4294967295ELNS1_3gpuE0ELNS1_3repE0EEENS1_30default_config_static_selectorELNS0_4arch9wavefront6targetE0EEEvS13_,@function
_ZN7rocprim17ROCPRIM_400000_NS6detail17trampoline_kernelINS0_13select_configILj256ELj13ELNS0_17block_load_methodE3ELS4_3ELS4_3ELNS0_20block_scan_algorithmE0ELj4294967295EEENS1_25partition_config_selectorILNS1_17partition_subalgoE4EjNS0_10empty_typeEbEEZZNS1_14partition_implILS8_4ELb0ES6_15HIP_vector_typeIjLj2EENS0_17counting_iteratorIjlEEPS9_SG_NS0_5tupleIJPjSI_NS0_16reverse_iteratorISI_EEEEENSH_IJSG_SG_SG_EEES9_SI_JZNS1_25segmented_radix_sort_implINS0_14default_configELb0EPK12hip_bfloat16PSP_PKlPlN2at6native12_GLOBAL__N_18offset_tEEE10hipError_tPvRmT1_PNSt15iterator_traitsIS13_E10value_typeET2_T3_PNS14_IS19_E10value_typeET4_jRbjT5_S1F_jjP12ihipStream_tbEUljE_ZNSN_ISO_Lb0ESR_SS_SU_SV_SZ_EES10_S11_S12_S13_S17_S18_S19_S1C_S1D_jS1E_jS1F_S1F_jjS1H_bEUljE0_EEES10_S11_S12_S19_S1D_S1F_T6_T7_T9_mT8_S1H_bDpT10_ENKUlT_T0_E_clISt17integral_constantIbLb1EES1V_EEDaS1Q_S1R_EUlS1Q_E_NS1_11comp_targetILNS1_3genE0ELNS1_11target_archE4294967295ELNS1_3gpuE0ELNS1_3repE0EEENS1_30default_config_static_selectorELNS0_4arch9wavefront6targetE0EEEvS13_: ; @_ZN7rocprim17ROCPRIM_400000_NS6detail17trampoline_kernelINS0_13select_configILj256ELj13ELNS0_17block_load_methodE3ELS4_3ELS4_3ELNS0_20block_scan_algorithmE0ELj4294967295EEENS1_25partition_config_selectorILNS1_17partition_subalgoE4EjNS0_10empty_typeEbEEZZNS1_14partition_implILS8_4ELb0ES6_15HIP_vector_typeIjLj2EENS0_17counting_iteratorIjlEEPS9_SG_NS0_5tupleIJPjSI_NS0_16reverse_iteratorISI_EEEEENSH_IJSG_SG_SG_EEES9_SI_JZNS1_25segmented_radix_sort_implINS0_14default_configELb0EPK12hip_bfloat16PSP_PKlPlN2at6native12_GLOBAL__N_18offset_tEEE10hipError_tPvRmT1_PNSt15iterator_traitsIS13_E10value_typeET2_T3_PNS14_IS19_E10value_typeET4_jRbjT5_S1F_jjP12ihipStream_tbEUljE_ZNSN_ISO_Lb0ESR_SS_SU_SV_SZ_EES10_S11_S12_S13_S17_S18_S19_S1C_S1D_jS1E_jS1F_S1F_jjS1H_bEUljE0_EEES10_S11_S12_S19_S1D_S1F_T6_T7_T9_mT8_S1H_bDpT10_ENKUlT_T0_E_clISt17integral_constantIbLb1EES1V_EEDaS1Q_S1R_EUlS1Q_E_NS1_11comp_targetILNS1_3genE0ELNS1_11target_archE4294967295ELNS1_3gpuE0ELNS1_3repE0EEENS1_30default_config_static_selectorELNS0_4arch9wavefront6targetE0EEEvS13_
; %bb.0:
	.section	.rodata,"a",@progbits
	.p2align	6, 0x0
	.amdhsa_kernel _ZN7rocprim17ROCPRIM_400000_NS6detail17trampoline_kernelINS0_13select_configILj256ELj13ELNS0_17block_load_methodE3ELS4_3ELS4_3ELNS0_20block_scan_algorithmE0ELj4294967295EEENS1_25partition_config_selectorILNS1_17partition_subalgoE4EjNS0_10empty_typeEbEEZZNS1_14partition_implILS8_4ELb0ES6_15HIP_vector_typeIjLj2EENS0_17counting_iteratorIjlEEPS9_SG_NS0_5tupleIJPjSI_NS0_16reverse_iteratorISI_EEEEENSH_IJSG_SG_SG_EEES9_SI_JZNS1_25segmented_radix_sort_implINS0_14default_configELb0EPK12hip_bfloat16PSP_PKlPlN2at6native12_GLOBAL__N_18offset_tEEE10hipError_tPvRmT1_PNSt15iterator_traitsIS13_E10value_typeET2_T3_PNS14_IS19_E10value_typeET4_jRbjT5_S1F_jjP12ihipStream_tbEUljE_ZNSN_ISO_Lb0ESR_SS_SU_SV_SZ_EES10_S11_S12_S13_S17_S18_S19_S1C_S1D_jS1E_jS1F_S1F_jjS1H_bEUljE0_EEES10_S11_S12_S19_S1D_S1F_T6_T7_T9_mT8_S1H_bDpT10_ENKUlT_T0_E_clISt17integral_constantIbLb1EES1V_EEDaS1Q_S1R_EUlS1Q_E_NS1_11comp_targetILNS1_3genE0ELNS1_11target_archE4294967295ELNS1_3gpuE0ELNS1_3repE0EEENS1_30default_config_static_selectorELNS0_4arch9wavefront6targetE0EEEvS13_
		.amdhsa_group_segment_fixed_size 0
		.amdhsa_private_segment_fixed_size 0
		.amdhsa_kernarg_size 184
		.amdhsa_user_sgpr_count 6
		.amdhsa_user_sgpr_private_segment_buffer 1
		.amdhsa_user_sgpr_dispatch_ptr 0
		.amdhsa_user_sgpr_queue_ptr 0
		.amdhsa_user_sgpr_kernarg_segment_ptr 1
		.amdhsa_user_sgpr_dispatch_id 0
		.amdhsa_user_sgpr_flat_scratch_init 0
		.amdhsa_user_sgpr_private_segment_size 0
		.amdhsa_wavefront_size32 1
		.amdhsa_uses_dynamic_stack 0
		.amdhsa_system_sgpr_private_segment_wavefront_offset 0
		.amdhsa_system_sgpr_workgroup_id_x 1
		.amdhsa_system_sgpr_workgroup_id_y 0
		.amdhsa_system_sgpr_workgroup_id_z 0
		.amdhsa_system_sgpr_workgroup_info 0
		.amdhsa_system_vgpr_workitem_id 0
		.amdhsa_next_free_vgpr 1
		.amdhsa_next_free_sgpr 1
		.amdhsa_reserve_vcc 0
		.amdhsa_reserve_flat_scratch 0
		.amdhsa_float_round_mode_32 0
		.amdhsa_float_round_mode_16_64 0
		.amdhsa_float_denorm_mode_32 3
		.amdhsa_float_denorm_mode_16_64 3
		.amdhsa_dx10_clamp 1
		.amdhsa_ieee_mode 1
		.amdhsa_fp16_overflow 0
		.amdhsa_workgroup_processor_mode 1
		.amdhsa_memory_ordered 1
		.amdhsa_forward_progress 1
		.amdhsa_shared_vgpr_count 0
		.amdhsa_exception_fp_ieee_invalid_op 0
		.amdhsa_exception_fp_denorm_src 0
		.amdhsa_exception_fp_ieee_div_zero 0
		.amdhsa_exception_fp_ieee_overflow 0
		.amdhsa_exception_fp_ieee_underflow 0
		.amdhsa_exception_fp_ieee_inexact 0
		.amdhsa_exception_int_div_zero 0
	.end_amdhsa_kernel
	.section	.text._ZN7rocprim17ROCPRIM_400000_NS6detail17trampoline_kernelINS0_13select_configILj256ELj13ELNS0_17block_load_methodE3ELS4_3ELS4_3ELNS0_20block_scan_algorithmE0ELj4294967295EEENS1_25partition_config_selectorILNS1_17partition_subalgoE4EjNS0_10empty_typeEbEEZZNS1_14partition_implILS8_4ELb0ES6_15HIP_vector_typeIjLj2EENS0_17counting_iteratorIjlEEPS9_SG_NS0_5tupleIJPjSI_NS0_16reverse_iteratorISI_EEEEENSH_IJSG_SG_SG_EEES9_SI_JZNS1_25segmented_radix_sort_implINS0_14default_configELb0EPK12hip_bfloat16PSP_PKlPlN2at6native12_GLOBAL__N_18offset_tEEE10hipError_tPvRmT1_PNSt15iterator_traitsIS13_E10value_typeET2_T3_PNS14_IS19_E10value_typeET4_jRbjT5_S1F_jjP12ihipStream_tbEUljE_ZNSN_ISO_Lb0ESR_SS_SU_SV_SZ_EES10_S11_S12_S13_S17_S18_S19_S1C_S1D_jS1E_jS1F_S1F_jjS1H_bEUljE0_EEES10_S11_S12_S19_S1D_S1F_T6_T7_T9_mT8_S1H_bDpT10_ENKUlT_T0_E_clISt17integral_constantIbLb1EES1V_EEDaS1Q_S1R_EUlS1Q_E_NS1_11comp_targetILNS1_3genE0ELNS1_11target_archE4294967295ELNS1_3gpuE0ELNS1_3repE0EEENS1_30default_config_static_selectorELNS0_4arch9wavefront6targetE0EEEvS13_,"axG",@progbits,_ZN7rocprim17ROCPRIM_400000_NS6detail17trampoline_kernelINS0_13select_configILj256ELj13ELNS0_17block_load_methodE3ELS4_3ELS4_3ELNS0_20block_scan_algorithmE0ELj4294967295EEENS1_25partition_config_selectorILNS1_17partition_subalgoE4EjNS0_10empty_typeEbEEZZNS1_14partition_implILS8_4ELb0ES6_15HIP_vector_typeIjLj2EENS0_17counting_iteratorIjlEEPS9_SG_NS0_5tupleIJPjSI_NS0_16reverse_iteratorISI_EEEEENSH_IJSG_SG_SG_EEES9_SI_JZNS1_25segmented_radix_sort_implINS0_14default_configELb0EPK12hip_bfloat16PSP_PKlPlN2at6native12_GLOBAL__N_18offset_tEEE10hipError_tPvRmT1_PNSt15iterator_traitsIS13_E10value_typeET2_T3_PNS14_IS19_E10value_typeET4_jRbjT5_S1F_jjP12ihipStream_tbEUljE_ZNSN_ISO_Lb0ESR_SS_SU_SV_SZ_EES10_S11_S12_S13_S17_S18_S19_S1C_S1D_jS1E_jS1F_S1F_jjS1H_bEUljE0_EEES10_S11_S12_S19_S1D_S1F_T6_T7_T9_mT8_S1H_bDpT10_ENKUlT_T0_E_clISt17integral_constantIbLb1EES1V_EEDaS1Q_S1R_EUlS1Q_E_NS1_11comp_targetILNS1_3genE0ELNS1_11target_archE4294967295ELNS1_3gpuE0ELNS1_3repE0EEENS1_30default_config_static_selectorELNS0_4arch9wavefront6targetE0EEEvS13_,comdat
.Lfunc_end1983:
	.size	_ZN7rocprim17ROCPRIM_400000_NS6detail17trampoline_kernelINS0_13select_configILj256ELj13ELNS0_17block_load_methodE3ELS4_3ELS4_3ELNS0_20block_scan_algorithmE0ELj4294967295EEENS1_25partition_config_selectorILNS1_17partition_subalgoE4EjNS0_10empty_typeEbEEZZNS1_14partition_implILS8_4ELb0ES6_15HIP_vector_typeIjLj2EENS0_17counting_iteratorIjlEEPS9_SG_NS0_5tupleIJPjSI_NS0_16reverse_iteratorISI_EEEEENSH_IJSG_SG_SG_EEES9_SI_JZNS1_25segmented_radix_sort_implINS0_14default_configELb0EPK12hip_bfloat16PSP_PKlPlN2at6native12_GLOBAL__N_18offset_tEEE10hipError_tPvRmT1_PNSt15iterator_traitsIS13_E10value_typeET2_T3_PNS14_IS19_E10value_typeET4_jRbjT5_S1F_jjP12ihipStream_tbEUljE_ZNSN_ISO_Lb0ESR_SS_SU_SV_SZ_EES10_S11_S12_S13_S17_S18_S19_S1C_S1D_jS1E_jS1F_S1F_jjS1H_bEUljE0_EEES10_S11_S12_S19_S1D_S1F_T6_T7_T9_mT8_S1H_bDpT10_ENKUlT_T0_E_clISt17integral_constantIbLb1EES1V_EEDaS1Q_S1R_EUlS1Q_E_NS1_11comp_targetILNS1_3genE0ELNS1_11target_archE4294967295ELNS1_3gpuE0ELNS1_3repE0EEENS1_30default_config_static_selectorELNS0_4arch9wavefront6targetE0EEEvS13_, .Lfunc_end1983-_ZN7rocprim17ROCPRIM_400000_NS6detail17trampoline_kernelINS0_13select_configILj256ELj13ELNS0_17block_load_methodE3ELS4_3ELS4_3ELNS0_20block_scan_algorithmE0ELj4294967295EEENS1_25partition_config_selectorILNS1_17partition_subalgoE4EjNS0_10empty_typeEbEEZZNS1_14partition_implILS8_4ELb0ES6_15HIP_vector_typeIjLj2EENS0_17counting_iteratorIjlEEPS9_SG_NS0_5tupleIJPjSI_NS0_16reverse_iteratorISI_EEEEENSH_IJSG_SG_SG_EEES9_SI_JZNS1_25segmented_radix_sort_implINS0_14default_configELb0EPK12hip_bfloat16PSP_PKlPlN2at6native12_GLOBAL__N_18offset_tEEE10hipError_tPvRmT1_PNSt15iterator_traitsIS13_E10value_typeET2_T3_PNS14_IS19_E10value_typeET4_jRbjT5_S1F_jjP12ihipStream_tbEUljE_ZNSN_ISO_Lb0ESR_SS_SU_SV_SZ_EES10_S11_S12_S13_S17_S18_S19_S1C_S1D_jS1E_jS1F_S1F_jjS1H_bEUljE0_EEES10_S11_S12_S19_S1D_S1F_T6_T7_T9_mT8_S1H_bDpT10_ENKUlT_T0_E_clISt17integral_constantIbLb1EES1V_EEDaS1Q_S1R_EUlS1Q_E_NS1_11comp_targetILNS1_3genE0ELNS1_11target_archE4294967295ELNS1_3gpuE0ELNS1_3repE0EEENS1_30default_config_static_selectorELNS0_4arch9wavefront6targetE0EEEvS13_
                                        ; -- End function
	.set _ZN7rocprim17ROCPRIM_400000_NS6detail17trampoline_kernelINS0_13select_configILj256ELj13ELNS0_17block_load_methodE3ELS4_3ELS4_3ELNS0_20block_scan_algorithmE0ELj4294967295EEENS1_25partition_config_selectorILNS1_17partition_subalgoE4EjNS0_10empty_typeEbEEZZNS1_14partition_implILS8_4ELb0ES6_15HIP_vector_typeIjLj2EENS0_17counting_iteratorIjlEEPS9_SG_NS0_5tupleIJPjSI_NS0_16reverse_iteratorISI_EEEEENSH_IJSG_SG_SG_EEES9_SI_JZNS1_25segmented_radix_sort_implINS0_14default_configELb0EPK12hip_bfloat16PSP_PKlPlN2at6native12_GLOBAL__N_18offset_tEEE10hipError_tPvRmT1_PNSt15iterator_traitsIS13_E10value_typeET2_T3_PNS14_IS19_E10value_typeET4_jRbjT5_S1F_jjP12ihipStream_tbEUljE_ZNSN_ISO_Lb0ESR_SS_SU_SV_SZ_EES10_S11_S12_S13_S17_S18_S19_S1C_S1D_jS1E_jS1F_S1F_jjS1H_bEUljE0_EEES10_S11_S12_S19_S1D_S1F_T6_T7_T9_mT8_S1H_bDpT10_ENKUlT_T0_E_clISt17integral_constantIbLb1EES1V_EEDaS1Q_S1R_EUlS1Q_E_NS1_11comp_targetILNS1_3genE0ELNS1_11target_archE4294967295ELNS1_3gpuE0ELNS1_3repE0EEENS1_30default_config_static_selectorELNS0_4arch9wavefront6targetE0EEEvS13_.num_vgpr, 0
	.set _ZN7rocprim17ROCPRIM_400000_NS6detail17trampoline_kernelINS0_13select_configILj256ELj13ELNS0_17block_load_methodE3ELS4_3ELS4_3ELNS0_20block_scan_algorithmE0ELj4294967295EEENS1_25partition_config_selectorILNS1_17partition_subalgoE4EjNS0_10empty_typeEbEEZZNS1_14partition_implILS8_4ELb0ES6_15HIP_vector_typeIjLj2EENS0_17counting_iteratorIjlEEPS9_SG_NS0_5tupleIJPjSI_NS0_16reverse_iteratorISI_EEEEENSH_IJSG_SG_SG_EEES9_SI_JZNS1_25segmented_radix_sort_implINS0_14default_configELb0EPK12hip_bfloat16PSP_PKlPlN2at6native12_GLOBAL__N_18offset_tEEE10hipError_tPvRmT1_PNSt15iterator_traitsIS13_E10value_typeET2_T3_PNS14_IS19_E10value_typeET4_jRbjT5_S1F_jjP12ihipStream_tbEUljE_ZNSN_ISO_Lb0ESR_SS_SU_SV_SZ_EES10_S11_S12_S13_S17_S18_S19_S1C_S1D_jS1E_jS1F_S1F_jjS1H_bEUljE0_EEES10_S11_S12_S19_S1D_S1F_T6_T7_T9_mT8_S1H_bDpT10_ENKUlT_T0_E_clISt17integral_constantIbLb1EES1V_EEDaS1Q_S1R_EUlS1Q_E_NS1_11comp_targetILNS1_3genE0ELNS1_11target_archE4294967295ELNS1_3gpuE0ELNS1_3repE0EEENS1_30default_config_static_selectorELNS0_4arch9wavefront6targetE0EEEvS13_.num_agpr, 0
	.set _ZN7rocprim17ROCPRIM_400000_NS6detail17trampoline_kernelINS0_13select_configILj256ELj13ELNS0_17block_load_methodE3ELS4_3ELS4_3ELNS0_20block_scan_algorithmE0ELj4294967295EEENS1_25partition_config_selectorILNS1_17partition_subalgoE4EjNS0_10empty_typeEbEEZZNS1_14partition_implILS8_4ELb0ES6_15HIP_vector_typeIjLj2EENS0_17counting_iteratorIjlEEPS9_SG_NS0_5tupleIJPjSI_NS0_16reverse_iteratorISI_EEEEENSH_IJSG_SG_SG_EEES9_SI_JZNS1_25segmented_radix_sort_implINS0_14default_configELb0EPK12hip_bfloat16PSP_PKlPlN2at6native12_GLOBAL__N_18offset_tEEE10hipError_tPvRmT1_PNSt15iterator_traitsIS13_E10value_typeET2_T3_PNS14_IS19_E10value_typeET4_jRbjT5_S1F_jjP12ihipStream_tbEUljE_ZNSN_ISO_Lb0ESR_SS_SU_SV_SZ_EES10_S11_S12_S13_S17_S18_S19_S1C_S1D_jS1E_jS1F_S1F_jjS1H_bEUljE0_EEES10_S11_S12_S19_S1D_S1F_T6_T7_T9_mT8_S1H_bDpT10_ENKUlT_T0_E_clISt17integral_constantIbLb1EES1V_EEDaS1Q_S1R_EUlS1Q_E_NS1_11comp_targetILNS1_3genE0ELNS1_11target_archE4294967295ELNS1_3gpuE0ELNS1_3repE0EEENS1_30default_config_static_selectorELNS0_4arch9wavefront6targetE0EEEvS13_.numbered_sgpr, 0
	.set _ZN7rocprim17ROCPRIM_400000_NS6detail17trampoline_kernelINS0_13select_configILj256ELj13ELNS0_17block_load_methodE3ELS4_3ELS4_3ELNS0_20block_scan_algorithmE0ELj4294967295EEENS1_25partition_config_selectorILNS1_17partition_subalgoE4EjNS0_10empty_typeEbEEZZNS1_14partition_implILS8_4ELb0ES6_15HIP_vector_typeIjLj2EENS0_17counting_iteratorIjlEEPS9_SG_NS0_5tupleIJPjSI_NS0_16reverse_iteratorISI_EEEEENSH_IJSG_SG_SG_EEES9_SI_JZNS1_25segmented_radix_sort_implINS0_14default_configELb0EPK12hip_bfloat16PSP_PKlPlN2at6native12_GLOBAL__N_18offset_tEEE10hipError_tPvRmT1_PNSt15iterator_traitsIS13_E10value_typeET2_T3_PNS14_IS19_E10value_typeET4_jRbjT5_S1F_jjP12ihipStream_tbEUljE_ZNSN_ISO_Lb0ESR_SS_SU_SV_SZ_EES10_S11_S12_S13_S17_S18_S19_S1C_S1D_jS1E_jS1F_S1F_jjS1H_bEUljE0_EEES10_S11_S12_S19_S1D_S1F_T6_T7_T9_mT8_S1H_bDpT10_ENKUlT_T0_E_clISt17integral_constantIbLb1EES1V_EEDaS1Q_S1R_EUlS1Q_E_NS1_11comp_targetILNS1_3genE0ELNS1_11target_archE4294967295ELNS1_3gpuE0ELNS1_3repE0EEENS1_30default_config_static_selectorELNS0_4arch9wavefront6targetE0EEEvS13_.num_named_barrier, 0
	.set _ZN7rocprim17ROCPRIM_400000_NS6detail17trampoline_kernelINS0_13select_configILj256ELj13ELNS0_17block_load_methodE3ELS4_3ELS4_3ELNS0_20block_scan_algorithmE0ELj4294967295EEENS1_25partition_config_selectorILNS1_17partition_subalgoE4EjNS0_10empty_typeEbEEZZNS1_14partition_implILS8_4ELb0ES6_15HIP_vector_typeIjLj2EENS0_17counting_iteratorIjlEEPS9_SG_NS0_5tupleIJPjSI_NS0_16reverse_iteratorISI_EEEEENSH_IJSG_SG_SG_EEES9_SI_JZNS1_25segmented_radix_sort_implINS0_14default_configELb0EPK12hip_bfloat16PSP_PKlPlN2at6native12_GLOBAL__N_18offset_tEEE10hipError_tPvRmT1_PNSt15iterator_traitsIS13_E10value_typeET2_T3_PNS14_IS19_E10value_typeET4_jRbjT5_S1F_jjP12ihipStream_tbEUljE_ZNSN_ISO_Lb0ESR_SS_SU_SV_SZ_EES10_S11_S12_S13_S17_S18_S19_S1C_S1D_jS1E_jS1F_S1F_jjS1H_bEUljE0_EEES10_S11_S12_S19_S1D_S1F_T6_T7_T9_mT8_S1H_bDpT10_ENKUlT_T0_E_clISt17integral_constantIbLb1EES1V_EEDaS1Q_S1R_EUlS1Q_E_NS1_11comp_targetILNS1_3genE0ELNS1_11target_archE4294967295ELNS1_3gpuE0ELNS1_3repE0EEENS1_30default_config_static_selectorELNS0_4arch9wavefront6targetE0EEEvS13_.private_seg_size, 0
	.set _ZN7rocprim17ROCPRIM_400000_NS6detail17trampoline_kernelINS0_13select_configILj256ELj13ELNS0_17block_load_methodE3ELS4_3ELS4_3ELNS0_20block_scan_algorithmE0ELj4294967295EEENS1_25partition_config_selectorILNS1_17partition_subalgoE4EjNS0_10empty_typeEbEEZZNS1_14partition_implILS8_4ELb0ES6_15HIP_vector_typeIjLj2EENS0_17counting_iteratorIjlEEPS9_SG_NS0_5tupleIJPjSI_NS0_16reverse_iteratorISI_EEEEENSH_IJSG_SG_SG_EEES9_SI_JZNS1_25segmented_radix_sort_implINS0_14default_configELb0EPK12hip_bfloat16PSP_PKlPlN2at6native12_GLOBAL__N_18offset_tEEE10hipError_tPvRmT1_PNSt15iterator_traitsIS13_E10value_typeET2_T3_PNS14_IS19_E10value_typeET4_jRbjT5_S1F_jjP12ihipStream_tbEUljE_ZNSN_ISO_Lb0ESR_SS_SU_SV_SZ_EES10_S11_S12_S13_S17_S18_S19_S1C_S1D_jS1E_jS1F_S1F_jjS1H_bEUljE0_EEES10_S11_S12_S19_S1D_S1F_T6_T7_T9_mT8_S1H_bDpT10_ENKUlT_T0_E_clISt17integral_constantIbLb1EES1V_EEDaS1Q_S1R_EUlS1Q_E_NS1_11comp_targetILNS1_3genE0ELNS1_11target_archE4294967295ELNS1_3gpuE0ELNS1_3repE0EEENS1_30default_config_static_selectorELNS0_4arch9wavefront6targetE0EEEvS13_.uses_vcc, 0
	.set _ZN7rocprim17ROCPRIM_400000_NS6detail17trampoline_kernelINS0_13select_configILj256ELj13ELNS0_17block_load_methodE3ELS4_3ELS4_3ELNS0_20block_scan_algorithmE0ELj4294967295EEENS1_25partition_config_selectorILNS1_17partition_subalgoE4EjNS0_10empty_typeEbEEZZNS1_14partition_implILS8_4ELb0ES6_15HIP_vector_typeIjLj2EENS0_17counting_iteratorIjlEEPS9_SG_NS0_5tupleIJPjSI_NS0_16reverse_iteratorISI_EEEEENSH_IJSG_SG_SG_EEES9_SI_JZNS1_25segmented_radix_sort_implINS0_14default_configELb0EPK12hip_bfloat16PSP_PKlPlN2at6native12_GLOBAL__N_18offset_tEEE10hipError_tPvRmT1_PNSt15iterator_traitsIS13_E10value_typeET2_T3_PNS14_IS19_E10value_typeET4_jRbjT5_S1F_jjP12ihipStream_tbEUljE_ZNSN_ISO_Lb0ESR_SS_SU_SV_SZ_EES10_S11_S12_S13_S17_S18_S19_S1C_S1D_jS1E_jS1F_S1F_jjS1H_bEUljE0_EEES10_S11_S12_S19_S1D_S1F_T6_T7_T9_mT8_S1H_bDpT10_ENKUlT_T0_E_clISt17integral_constantIbLb1EES1V_EEDaS1Q_S1R_EUlS1Q_E_NS1_11comp_targetILNS1_3genE0ELNS1_11target_archE4294967295ELNS1_3gpuE0ELNS1_3repE0EEENS1_30default_config_static_selectorELNS0_4arch9wavefront6targetE0EEEvS13_.uses_flat_scratch, 0
	.set _ZN7rocprim17ROCPRIM_400000_NS6detail17trampoline_kernelINS0_13select_configILj256ELj13ELNS0_17block_load_methodE3ELS4_3ELS4_3ELNS0_20block_scan_algorithmE0ELj4294967295EEENS1_25partition_config_selectorILNS1_17partition_subalgoE4EjNS0_10empty_typeEbEEZZNS1_14partition_implILS8_4ELb0ES6_15HIP_vector_typeIjLj2EENS0_17counting_iteratorIjlEEPS9_SG_NS0_5tupleIJPjSI_NS0_16reverse_iteratorISI_EEEEENSH_IJSG_SG_SG_EEES9_SI_JZNS1_25segmented_radix_sort_implINS0_14default_configELb0EPK12hip_bfloat16PSP_PKlPlN2at6native12_GLOBAL__N_18offset_tEEE10hipError_tPvRmT1_PNSt15iterator_traitsIS13_E10value_typeET2_T3_PNS14_IS19_E10value_typeET4_jRbjT5_S1F_jjP12ihipStream_tbEUljE_ZNSN_ISO_Lb0ESR_SS_SU_SV_SZ_EES10_S11_S12_S13_S17_S18_S19_S1C_S1D_jS1E_jS1F_S1F_jjS1H_bEUljE0_EEES10_S11_S12_S19_S1D_S1F_T6_T7_T9_mT8_S1H_bDpT10_ENKUlT_T0_E_clISt17integral_constantIbLb1EES1V_EEDaS1Q_S1R_EUlS1Q_E_NS1_11comp_targetILNS1_3genE0ELNS1_11target_archE4294967295ELNS1_3gpuE0ELNS1_3repE0EEENS1_30default_config_static_selectorELNS0_4arch9wavefront6targetE0EEEvS13_.has_dyn_sized_stack, 0
	.set _ZN7rocprim17ROCPRIM_400000_NS6detail17trampoline_kernelINS0_13select_configILj256ELj13ELNS0_17block_load_methodE3ELS4_3ELS4_3ELNS0_20block_scan_algorithmE0ELj4294967295EEENS1_25partition_config_selectorILNS1_17partition_subalgoE4EjNS0_10empty_typeEbEEZZNS1_14partition_implILS8_4ELb0ES6_15HIP_vector_typeIjLj2EENS0_17counting_iteratorIjlEEPS9_SG_NS0_5tupleIJPjSI_NS0_16reverse_iteratorISI_EEEEENSH_IJSG_SG_SG_EEES9_SI_JZNS1_25segmented_radix_sort_implINS0_14default_configELb0EPK12hip_bfloat16PSP_PKlPlN2at6native12_GLOBAL__N_18offset_tEEE10hipError_tPvRmT1_PNSt15iterator_traitsIS13_E10value_typeET2_T3_PNS14_IS19_E10value_typeET4_jRbjT5_S1F_jjP12ihipStream_tbEUljE_ZNSN_ISO_Lb0ESR_SS_SU_SV_SZ_EES10_S11_S12_S13_S17_S18_S19_S1C_S1D_jS1E_jS1F_S1F_jjS1H_bEUljE0_EEES10_S11_S12_S19_S1D_S1F_T6_T7_T9_mT8_S1H_bDpT10_ENKUlT_T0_E_clISt17integral_constantIbLb1EES1V_EEDaS1Q_S1R_EUlS1Q_E_NS1_11comp_targetILNS1_3genE0ELNS1_11target_archE4294967295ELNS1_3gpuE0ELNS1_3repE0EEENS1_30default_config_static_selectorELNS0_4arch9wavefront6targetE0EEEvS13_.has_recursion, 0
	.set _ZN7rocprim17ROCPRIM_400000_NS6detail17trampoline_kernelINS0_13select_configILj256ELj13ELNS0_17block_load_methodE3ELS4_3ELS4_3ELNS0_20block_scan_algorithmE0ELj4294967295EEENS1_25partition_config_selectorILNS1_17partition_subalgoE4EjNS0_10empty_typeEbEEZZNS1_14partition_implILS8_4ELb0ES6_15HIP_vector_typeIjLj2EENS0_17counting_iteratorIjlEEPS9_SG_NS0_5tupleIJPjSI_NS0_16reverse_iteratorISI_EEEEENSH_IJSG_SG_SG_EEES9_SI_JZNS1_25segmented_radix_sort_implINS0_14default_configELb0EPK12hip_bfloat16PSP_PKlPlN2at6native12_GLOBAL__N_18offset_tEEE10hipError_tPvRmT1_PNSt15iterator_traitsIS13_E10value_typeET2_T3_PNS14_IS19_E10value_typeET4_jRbjT5_S1F_jjP12ihipStream_tbEUljE_ZNSN_ISO_Lb0ESR_SS_SU_SV_SZ_EES10_S11_S12_S13_S17_S18_S19_S1C_S1D_jS1E_jS1F_S1F_jjS1H_bEUljE0_EEES10_S11_S12_S19_S1D_S1F_T6_T7_T9_mT8_S1H_bDpT10_ENKUlT_T0_E_clISt17integral_constantIbLb1EES1V_EEDaS1Q_S1R_EUlS1Q_E_NS1_11comp_targetILNS1_3genE0ELNS1_11target_archE4294967295ELNS1_3gpuE0ELNS1_3repE0EEENS1_30default_config_static_selectorELNS0_4arch9wavefront6targetE0EEEvS13_.has_indirect_call, 0
	.section	.AMDGPU.csdata,"",@progbits
; Kernel info:
; codeLenInByte = 0
; TotalNumSgprs: 0
; NumVgprs: 0
; ScratchSize: 0
; MemoryBound: 0
; FloatMode: 240
; IeeeMode: 1
; LDSByteSize: 0 bytes/workgroup (compile time only)
; SGPRBlocks: 0
; VGPRBlocks: 0
; NumSGPRsForWavesPerEU: 1
; NumVGPRsForWavesPerEU: 1
; Occupancy: 16
; WaveLimiterHint : 0
; COMPUTE_PGM_RSRC2:SCRATCH_EN: 0
; COMPUTE_PGM_RSRC2:USER_SGPR: 6
; COMPUTE_PGM_RSRC2:TRAP_HANDLER: 0
; COMPUTE_PGM_RSRC2:TGID_X_EN: 1
; COMPUTE_PGM_RSRC2:TGID_Y_EN: 0
; COMPUTE_PGM_RSRC2:TGID_Z_EN: 0
; COMPUTE_PGM_RSRC2:TIDIG_COMP_CNT: 0
	.section	.text._ZN7rocprim17ROCPRIM_400000_NS6detail17trampoline_kernelINS0_13select_configILj256ELj13ELNS0_17block_load_methodE3ELS4_3ELS4_3ELNS0_20block_scan_algorithmE0ELj4294967295EEENS1_25partition_config_selectorILNS1_17partition_subalgoE4EjNS0_10empty_typeEbEEZZNS1_14partition_implILS8_4ELb0ES6_15HIP_vector_typeIjLj2EENS0_17counting_iteratorIjlEEPS9_SG_NS0_5tupleIJPjSI_NS0_16reverse_iteratorISI_EEEEENSH_IJSG_SG_SG_EEES9_SI_JZNS1_25segmented_radix_sort_implINS0_14default_configELb0EPK12hip_bfloat16PSP_PKlPlN2at6native12_GLOBAL__N_18offset_tEEE10hipError_tPvRmT1_PNSt15iterator_traitsIS13_E10value_typeET2_T3_PNS14_IS19_E10value_typeET4_jRbjT5_S1F_jjP12ihipStream_tbEUljE_ZNSN_ISO_Lb0ESR_SS_SU_SV_SZ_EES10_S11_S12_S13_S17_S18_S19_S1C_S1D_jS1E_jS1F_S1F_jjS1H_bEUljE0_EEES10_S11_S12_S19_S1D_S1F_T6_T7_T9_mT8_S1H_bDpT10_ENKUlT_T0_E_clISt17integral_constantIbLb1EES1V_EEDaS1Q_S1R_EUlS1Q_E_NS1_11comp_targetILNS1_3genE5ELNS1_11target_archE942ELNS1_3gpuE9ELNS1_3repE0EEENS1_30default_config_static_selectorELNS0_4arch9wavefront6targetE0EEEvS13_,"axG",@progbits,_ZN7rocprim17ROCPRIM_400000_NS6detail17trampoline_kernelINS0_13select_configILj256ELj13ELNS0_17block_load_methodE3ELS4_3ELS4_3ELNS0_20block_scan_algorithmE0ELj4294967295EEENS1_25partition_config_selectorILNS1_17partition_subalgoE4EjNS0_10empty_typeEbEEZZNS1_14partition_implILS8_4ELb0ES6_15HIP_vector_typeIjLj2EENS0_17counting_iteratorIjlEEPS9_SG_NS0_5tupleIJPjSI_NS0_16reverse_iteratorISI_EEEEENSH_IJSG_SG_SG_EEES9_SI_JZNS1_25segmented_radix_sort_implINS0_14default_configELb0EPK12hip_bfloat16PSP_PKlPlN2at6native12_GLOBAL__N_18offset_tEEE10hipError_tPvRmT1_PNSt15iterator_traitsIS13_E10value_typeET2_T3_PNS14_IS19_E10value_typeET4_jRbjT5_S1F_jjP12ihipStream_tbEUljE_ZNSN_ISO_Lb0ESR_SS_SU_SV_SZ_EES10_S11_S12_S13_S17_S18_S19_S1C_S1D_jS1E_jS1F_S1F_jjS1H_bEUljE0_EEES10_S11_S12_S19_S1D_S1F_T6_T7_T9_mT8_S1H_bDpT10_ENKUlT_T0_E_clISt17integral_constantIbLb1EES1V_EEDaS1Q_S1R_EUlS1Q_E_NS1_11comp_targetILNS1_3genE5ELNS1_11target_archE942ELNS1_3gpuE9ELNS1_3repE0EEENS1_30default_config_static_selectorELNS0_4arch9wavefront6targetE0EEEvS13_,comdat
	.globl	_ZN7rocprim17ROCPRIM_400000_NS6detail17trampoline_kernelINS0_13select_configILj256ELj13ELNS0_17block_load_methodE3ELS4_3ELS4_3ELNS0_20block_scan_algorithmE0ELj4294967295EEENS1_25partition_config_selectorILNS1_17partition_subalgoE4EjNS0_10empty_typeEbEEZZNS1_14partition_implILS8_4ELb0ES6_15HIP_vector_typeIjLj2EENS0_17counting_iteratorIjlEEPS9_SG_NS0_5tupleIJPjSI_NS0_16reverse_iteratorISI_EEEEENSH_IJSG_SG_SG_EEES9_SI_JZNS1_25segmented_radix_sort_implINS0_14default_configELb0EPK12hip_bfloat16PSP_PKlPlN2at6native12_GLOBAL__N_18offset_tEEE10hipError_tPvRmT1_PNSt15iterator_traitsIS13_E10value_typeET2_T3_PNS14_IS19_E10value_typeET4_jRbjT5_S1F_jjP12ihipStream_tbEUljE_ZNSN_ISO_Lb0ESR_SS_SU_SV_SZ_EES10_S11_S12_S13_S17_S18_S19_S1C_S1D_jS1E_jS1F_S1F_jjS1H_bEUljE0_EEES10_S11_S12_S19_S1D_S1F_T6_T7_T9_mT8_S1H_bDpT10_ENKUlT_T0_E_clISt17integral_constantIbLb1EES1V_EEDaS1Q_S1R_EUlS1Q_E_NS1_11comp_targetILNS1_3genE5ELNS1_11target_archE942ELNS1_3gpuE9ELNS1_3repE0EEENS1_30default_config_static_selectorELNS0_4arch9wavefront6targetE0EEEvS13_ ; -- Begin function _ZN7rocprim17ROCPRIM_400000_NS6detail17trampoline_kernelINS0_13select_configILj256ELj13ELNS0_17block_load_methodE3ELS4_3ELS4_3ELNS0_20block_scan_algorithmE0ELj4294967295EEENS1_25partition_config_selectorILNS1_17partition_subalgoE4EjNS0_10empty_typeEbEEZZNS1_14partition_implILS8_4ELb0ES6_15HIP_vector_typeIjLj2EENS0_17counting_iteratorIjlEEPS9_SG_NS0_5tupleIJPjSI_NS0_16reverse_iteratorISI_EEEEENSH_IJSG_SG_SG_EEES9_SI_JZNS1_25segmented_radix_sort_implINS0_14default_configELb0EPK12hip_bfloat16PSP_PKlPlN2at6native12_GLOBAL__N_18offset_tEEE10hipError_tPvRmT1_PNSt15iterator_traitsIS13_E10value_typeET2_T3_PNS14_IS19_E10value_typeET4_jRbjT5_S1F_jjP12ihipStream_tbEUljE_ZNSN_ISO_Lb0ESR_SS_SU_SV_SZ_EES10_S11_S12_S13_S17_S18_S19_S1C_S1D_jS1E_jS1F_S1F_jjS1H_bEUljE0_EEES10_S11_S12_S19_S1D_S1F_T6_T7_T9_mT8_S1H_bDpT10_ENKUlT_T0_E_clISt17integral_constantIbLb1EES1V_EEDaS1Q_S1R_EUlS1Q_E_NS1_11comp_targetILNS1_3genE5ELNS1_11target_archE942ELNS1_3gpuE9ELNS1_3repE0EEENS1_30default_config_static_selectorELNS0_4arch9wavefront6targetE0EEEvS13_
	.p2align	8
	.type	_ZN7rocprim17ROCPRIM_400000_NS6detail17trampoline_kernelINS0_13select_configILj256ELj13ELNS0_17block_load_methodE3ELS4_3ELS4_3ELNS0_20block_scan_algorithmE0ELj4294967295EEENS1_25partition_config_selectorILNS1_17partition_subalgoE4EjNS0_10empty_typeEbEEZZNS1_14partition_implILS8_4ELb0ES6_15HIP_vector_typeIjLj2EENS0_17counting_iteratorIjlEEPS9_SG_NS0_5tupleIJPjSI_NS0_16reverse_iteratorISI_EEEEENSH_IJSG_SG_SG_EEES9_SI_JZNS1_25segmented_radix_sort_implINS0_14default_configELb0EPK12hip_bfloat16PSP_PKlPlN2at6native12_GLOBAL__N_18offset_tEEE10hipError_tPvRmT1_PNSt15iterator_traitsIS13_E10value_typeET2_T3_PNS14_IS19_E10value_typeET4_jRbjT5_S1F_jjP12ihipStream_tbEUljE_ZNSN_ISO_Lb0ESR_SS_SU_SV_SZ_EES10_S11_S12_S13_S17_S18_S19_S1C_S1D_jS1E_jS1F_S1F_jjS1H_bEUljE0_EEES10_S11_S12_S19_S1D_S1F_T6_T7_T9_mT8_S1H_bDpT10_ENKUlT_T0_E_clISt17integral_constantIbLb1EES1V_EEDaS1Q_S1R_EUlS1Q_E_NS1_11comp_targetILNS1_3genE5ELNS1_11target_archE942ELNS1_3gpuE9ELNS1_3repE0EEENS1_30default_config_static_selectorELNS0_4arch9wavefront6targetE0EEEvS13_,@function
_ZN7rocprim17ROCPRIM_400000_NS6detail17trampoline_kernelINS0_13select_configILj256ELj13ELNS0_17block_load_methodE3ELS4_3ELS4_3ELNS0_20block_scan_algorithmE0ELj4294967295EEENS1_25partition_config_selectorILNS1_17partition_subalgoE4EjNS0_10empty_typeEbEEZZNS1_14partition_implILS8_4ELb0ES6_15HIP_vector_typeIjLj2EENS0_17counting_iteratorIjlEEPS9_SG_NS0_5tupleIJPjSI_NS0_16reverse_iteratorISI_EEEEENSH_IJSG_SG_SG_EEES9_SI_JZNS1_25segmented_radix_sort_implINS0_14default_configELb0EPK12hip_bfloat16PSP_PKlPlN2at6native12_GLOBAL__N_18offset_tEEE10hipError_tPvRmT1_PNSt15iterator_traitsIS13_E10value_typeET2_T3_PNS14_IS19_E10value_typeET4_jRbjT5_S1F_jjP12ihipStream_tbEUljE_ZNSN_ISO_Lb0ESR_SS_SU_SV_SZ_EES10_S11_S12_S13_S17_S18_S19_S1C_S1D_jS1E_jS1F_S1F_jjS1H_bEUljE0_EEES10_S11_S12_S19_S1D_S1F_T6_T7_T9_mT8_S1H_bDpT10_ENKUlT_T0_E_clISt17integral_constantIbLb1EES1V_EEDaS1Q_S1R_EUlS1Q_E_NS1_11comp_targetILNS1_3genE5ELNS1_11target_archE942ELNS1_3gpuE9ELNS1_3repE0EEENS1_30default_config_static_selectorELNS0_4arch9wavefront6targetE0EEEvS13_: ; @_ZN7rocprim17ROCPRIM_400000_NS6detail17trampoline_kernelINS0_13select_configILj256ELj13ELNS0_17block_load_methodE3ELS4_3ELS4_3ELNS0_20block_scan_algorithmE0ELj4294967295EEENS1_25partition_config_selectorILNS1_17partition_subalgoE4EjNS0_10empty_typeEbEEZZNS1_14partition_implILS8_4ELb0ES6_15HIP_vector_typeIjLj2EENS0_17counting_iteratorIjlEEPS9_SG_NS0_5tupleIJPjSI_NS0_16reverse_iteratorISI_EEEEENSH_IJSG_SG_SG_EEES9_SI_JZNS1_25segmented_radix_sort_implINS0_14default_configELb0EPK12hip_bfloat16PSP_PKlPlN2at6native12_GLOBAL__N_18offset_tEEE10hipError_tPvRmT1_PNSt15iterator_traitsIS13_E10value_typeET2_T3_PNS14_IS19_E10value_typeET4_jRbjT5_S1F_jjP12ihipStream_tbEUljE_ZNSN_ISO_Lb0ESR_SS_SU_SV_SZ_EES10_S11_S12_S13_S17_S18_S19_S1C_S1D_jS1E_jS1F_S1F_jjS1H_bEUljE0_EEES10_S11_S12_S19_S1D_S1F_T6_T7_T9_mT8_S1H_bDpT10_ENKUlT_T0_E_clISt17integral_constantIbLb1EES1V_EEDaS1Q_S1R_EUlS1Q_E_NS1_11comp_targetILNS1_3genE5ELNS1_11target_archE942ELNS1_3gpuE9ELNS1_3repE0EEENS1_30default_config_static_selectorELNS0_4arch9wavefront6targetE0EEEvS13_
; %bb.0:
	.section	.rodata,"a",@progbits
	.p2align	6, 0x0
	.amdhsa_kernel _ZN7rocprim17ROCPRIM_400000_NS6detail17trampoline_kernelINS0_13select_configILj256ELj13ELNS0_17block_load_methodE3ELS4_3ELS4_3ELNS0_20block_scan_algorithmE0ELj4294967295EEENS1_25partition_config_selectorILNS1_17partition_subalgoE4EjNS0_10empty_typeEbEEZZNS1_14partition_implILS8_4ELb0ES6_15HIP_vector_typeIjLj2EENS0_17counting_iteratorIjlEEPS9_SG_NS0_5tupleIJPjSI_NS0_16reverse_iteratorISI_EEEEENSH_IJSG_SG_SG_EEES9_SI_JZNS1_25segmented_radix_sort_implINS0_14default_configELb0EPK12hip_bfloat16PSP_PKlPlN2at6native12_GLOBAL__N_18offset_tEEE10hipError_tPvRmT1_PNSt15iterator_traitsIS13_E10value_typeET2_T3_PNS14_IS19_E10value_typeET4_jRbjT5_S1F_jjP12ihipStream_tbEUljE_ZNSN_ISO_Lb0ESR_SS_SU_SV_SZ_EES10_S11_S12_S13_S17_S18_S19_S1C_S1D_jS1E_jS1F_S1F_jjS1H_bEUljE0_EEES10_S11_S12_S19_S1D_S1F_T6_T7_T9_mT8_S1H_bDpT10_ENKUlT_T0_E_clISt17integral_constantIbLb1EES1V_EEDaS1Q_S1R_EUlS1Q_E_NS1_11comp_targetILNS1_3genE5ELNS1_11target_archE942ELNS1_3gpuE9ELNS1_3repE0EEENS1_30default_config_static_selectorELNS0_4arch9wavefront6targetE0EEEvS13_
		.amdhsa_group_segment_fixed_size 0
		.amdhsa_private_segment_fixed_size 0
		.amdhsa_kernarg_size 184
		.amdhsa_user_sgpr_count 6
		.amdhsa_user_sgpr_private_segment_buffer 1
		.amdhsa_user_sgpr_dispatch_ptr 0
		.amdhsa_user_sgpr_queue_ptr 0
		.amdhsa_user_sgpr_kernarg_segment_ptr 1
		.amdhsa_user_sgpr_dispatch_id 0
		.amdhsa_user_sgpr_flat_scratch_init 0
		.amdhsa_user_sgpr_private_segment_size 0
		.amdhsa_wavefront_size32 1
		.amdhsa_uses_dynamic_stack 0
		.amdhsa_system_sgpr_private_segment_wavefront_offset 0
		.amdhsa_system_sgpr_workgroup_id_x 1
		.amdhsa_system_sgpr_workgroup_id_y 0
		.amdhsa_system_sgpr_workgroup_id_z 0
		.amdhsa_system_sgpr_workgroup_info 0
		.amdhsa_system_vgpr_workitem_id 0
		.amdhsa_next_free_vgpr 1
		.amdhsa_next_free_sgpr 1
		.amdhsa_reserve_vcc 0
		.amdhsa_reserve_flat_scratch 0
		.amdhsa_float_round_mode_32 0
		.amdhsa_float_round_mode_16_64 0
		.amdhsa_float_denorm_mode_32 3
		.amdhsa_float_denorm_mode_16_64 3
		.amdhsa_dx10_clamp 1
		.amdhsa_ieee_mode 1
		.amdhsa_fp16_overflow 0
		.amdhsa_workgroup_processor_mode 1
		.amdhsa_memory_ordered 1
		.amdhsa_forward_progress 1
		.amdhsa_shared_vgpr_count 0
		.amdhsa_exception_fp_ieee_invalid_op 0
		.amdhsa_exception_fp_denorm_src 0
		.amdhsa_exception_fp_ieee_div_zero 0
		.amdhsa_exception_fp_ieee_overflow 0
		.amdhsa_exception_fp_ieee_underflow 0
		.amdhsa_exception_fp_ieee_inexact 0
		.amdhsa_exception_int_div_zero 0
	.end_amdhsa_kernel
	.section	.text._ZN7rocprim17ROCPRIM_400000_NS6detail17trampoline_kernelINS0_13select_configILj256ELj13ELNS0_17block_load_methodE3ELS4_3ELS4_3ELNS0_20block_scan_algorithmE0ELj4294967295EEENS1_25partition_config_selectorILNS1_17partition_subalgoE4EjNS0_10empty_typeEbEEZZNS1_14partition_implILS8_4ELb0ES6_15HIP_vector_typeIjLj2EENS0_17counting_iteratorIjlEEPS9_SG_NS0_5tupleIJPjSI_NS0_16reverse_iteratorISI_EEEEENSH_IJSG_SG_SG_EEES9_SI_JZNS1_25segmented_radix_sort_implINS0_14default_configELb0EPK12hip_bfloat16PSP_PKlPlN2at6native12_GLOBAL__N_18offset_tEEE10hipError_tPvRmT1_PNSt15iterator_traitsIS13_E10value_typeET2_T3_PNS14_IS19_E10value_typeET4_jRbjT5_S1F_jjP12ihipStream_tbEUljE_ZNSN_ISO_Lb0ESR_SS_SU_SV_SZ_EES10_S11_S12_S13_S17_S18_S19_S1C_S1D_jS1E_jS1F_S1F_jjS1H_bEUljE0_EEES10_S11_S12_S19_S1D_S1F_T6_T7_T9_mT8_S1H_bDpT10_ENKUlT_T0_E_clISt17integral_constantIbLb1EES1V_EEDaS1Q_S1R_EUlS1Q_E_NS1_11comp_targetILNS1_3genE5ELNS1_11target_archE942ELNS1_3gpuE9ELNS1_3repE0EEENS1_30default_config_static_selectorELNS0_4arch9wavefront6targetE0EEEvS13_,"axG",@progbits,_ZN7rocprim17ROCPRIM_400000_NS6detail17trampoline_kernelINS0_13select_configILj256ELj13ELNS0_17block_load_methodE3ELS4_3ELS4_3ELNS0_20block_scan_algorithmE0ELj4294967295EEENS1_25partition_config_selectorILNS1_17partition_subalgoE4EjNS0_10empty_typeEbEEZZNS1_14partition_implILS8_4ELb0ES6_15HIP_vector_typeIjLj2EENS0_17counting_iteratorIjlEEPS9_SG_NS0_5tupleIJPjSI_NS0_16reverse_iteratorISI_EEEEENSH_IJSG_SG_SG_EEES9_SI_JZNS1_25segmented_radix_sort_implINS0_14default_configELb0EPK12hip_bfloat16PSP_PKlPlN2at6native12_GLOBAL__N_18offset_tEEE10hipError_tPvRmT1_PNSt15iterator_traitsIS13_E10value_typeET2_T3_PNS14_IS19_E10value_typeET4_jRbjT5_S1F_jjP12ihipStream_tbEUljE_ZNSN_ISO_Lb0ESR_SS_SU_SV_SZ_EES10_S11_S12_S13_S17_S18_S19_S1C_S1D_jS1E_jS1F_S1F_jjS1H_bEUljE0_EEES10_S11_S12_S19_S1D_S1F_T6_T7_T9_mT8_S1H_bDpT10_ENKUlT_T0_E_clISt17integral_constantIbLb1EES1V_EEDaS1Q_S1R_EUlS1Q_E_NS1_11comp_targetILNS1_3genE5ELNS1_11target_archE942ELNS1_3gpuE9ELNS1_3repE0EEENS1_30default_config_static_selectorELNS0_4arch9wavefront6targetE0EEEvS13_,comdat
.Lfunc_end1984:
	.size	_ZN7rocprim17ROCPRIM_400000_NS6detail17trampoline_kernelINS0_13select_configILj256ELj13ELNS0_17block_load_methodE3ELS4_3ELS4_3ELNS0_20block_scan_algorithmE0ELj4294967295EEENS1_25partition_config_selectorILNS1_17partition_subalgoE4EjNS0_10empty_typeEbEEZZNS1_14partition_implILS8_4ELb0ES6_15HIP_vector_typeIjLj2EENS0_17counting_iteratorIjlEEPS9_SG_NS0_5tupleIJPjSI_NS0_16reverse_iteratorISI_EEEEENSH_IJSG_SG_SG_EEES9_SI_JZNS1_25segmented_radix_sort_implINS0_14default_configELb0EPK12hip_bfloat16PSP_PKlPlN2at6native12_GLOBAL__N_18offset_tEEE10hipError_tPvRmT1_PNSt15iterator_traitsIS13_E10value_typeET2_T3_PNS14_IS19_E10value_typeET4_jRbjT5_S1F_jjP12ihipStream_tbEUljE_ZNSN_ISO_Lb0ESR_SS_SU_SV_SZ_EES10_S11_S12_S13_S17_S18_S19_S1C_S1D_jS1E_jS1F_S1F_jjS1H_bEUljE0_EEES10_S11_S12_S19_S1D_S1F_T6_T7_T9_mT8_S1H_bDpT10_ENKUlT_T0_E_clISt17integral_constantIbLb1EES1V_EEDaS1Q_S1R_EUlS1Q_E_NS1_11comp_targetILNS1_3genE5ELNS1_11target_archE942ELNS1_3gpuE9ELNS1_3repE0EEENS1_30default_config_static_selectorELNS0_4arch9wavefront6targetE0EEEvS13_, .Lfunc_end1984-_ZN7rocprim17ROCPRIM_400000_NS6detail17trampoline_kernelINS0_13select_configILj256ELj13ELNS0_17block_load_methodE3ELS4_3ELS4_3ELNS0_20block_scan_algorithmE0ELj4294967295EEENS1_25partition_config_selectorILNS1_17partition_subalgoE4EjNS0_10empty_typeEbEEZZNS1_14partition_implILS8_4ELb0ES6_15HIP_vector_typeIjLj2EENS0_17counting_iteratorIjlEEPS9_SG_NS0_5tupleIJPjSI_NS0_16reverse_iteratorISI_EEEEENSH_IJSG_SG_SG_EEES9_SI_JZNS1_25segmented_radix_sort_implINS0_14default_configELb0EPK12hip_bfloat16PSP_PKlPlN2at6native12_GLOBAL__N_18offset_tEEE10hipError_tPvRmT1_PNSt15iterator_traitsIS13_E10value_typeET2_T3_PNS14_IS19_E10value_typeET4_jRbjT5_S1F_jjP12ihipStream_tbEUljE_ZNSN_ISO_Lb0ESR_SS_SU_SV_SZ_EES10_S11_S12_S13_S17_S18_S19_S1C_S1D_jS1E_jS1F_S1F_jjS1H_bEUljE0_EEES10_S11_S12_S19_S1D_S1F_T6_T7_T9_mT8_S1H_bDpT10_ENKUlT_T0_E_clISt17integral_constantIbLb1EES1V_EEDaS1Q_S1R_EUlS1Q_E_NS1_11comp_targetILNS1_3genE5ELNS1_11target_archE942ELNS1_3gpuE9ELNS1_3repE0EEENS1_30default_config_static_selectorELNS0_4arch9wavefront6targetE0EEEvS13_
                                        ; -- End function
	.set _ZN7rocprim17ROCPRIM_400000_NS6detail17trampoline_kernelINS0_13select_configILj256ELj13ELNS0_17block_load_methodE3ELS4_3ELS4_3ELNS0_20block_scan_algorithmE0ELj4294967295EEENS1_25partition_config_selectorILNS1_17partition_subalgoE4EjNS0_10empty_typeEbEEZZNS1_14partition_implILS8_4ELb0ES6_15HIP_vector_typeIjLj2EENS0_17counting_iteratorIjlEEPS9_SG_NS0_5tupleIJPjSI_NS0_16reverse_iteratorISI_EEEEENSH_IJSG_SG_SG_EEES9_SI_JZNS1_25segmented_radix_sort_implINS0_14default_configELb0EPK12hip_bfloat16PSP_PKlPlN2at6native12_GLOBAL__N_18offset_tEEE10hipError_tPvRmT1_PNSt15iterator_traitsIS13_E10value_typeET2_T3_PNS14_IS19_E10value_typeET4_jRbjT5_S1F_jjP12ihipStream_tbEUljE_ZNSN_ISO_Lb0ESR_SS_SU_SV_SZ_EES10_S11_S12_S13_S17_S18_S19_S1C_S1D_jS1E_jS1F_S1F_jjS1H_bEUljE0_EEES10_S11_S12_S19_S1D_S1F_T6_T7_T9_mT8_S1H_bDpT10_ENKUlT_T0_E_clISt17integral_constantIbLb1EES1V_EEDaS1Q_S1R_EUlS1Q_E_NS1_11comp_targetILNS1_3genE5ELNS1_11target_archE942ELNS1_3gpuE9ELNS1_3repE0EEENS1_30default_config_static_selectorELNS0_4arch9wavefront6targetE0EEEvS13_.num_vgpr, 0
	.set _ZN7rocprim17ROCPRIM_400000_NS6detail17trampoline_kernelINS0_13select_configILj256ELj13ELNS0_17block_load_methodE3ELS4_3ELS4_3ELNS0_20block_scan_algorithmE0ELj4294967295EEENS1_25partition_config_selectorILNS1_17partition_subalgoE4EjNS0_10empty_typeEbEEZZNS1_14partition_implILS8_4ELb0ES6_15HIP_vector_typeIjLj2EENS0_17counting_iteratorIjlEEPS9_SG_NS0_5tupleIJPjSI_NS0_16reverse_iteratorISI_EEEEENSH_IJSG_SG_SG_EEES9_SI_JZNS1_25segmented_radix_sort_implINS0_14default_configELb0EPK12hip_bfloat16PSP_PKlPlN2at6native12_GLOBAL__N_18offset_tEEE10hipError_tPvRmT1_PNSt15iterator_traitsIS13_E10value_typeET2_T3_PNS14_IS19_E10value_typeET4_jRbjT5_S1F_jjP12ihipStream_tbEUljE_ZNSN_ISO_Lb0ESR_SS_SU_SV_SZ_EES10_S11_S12_S13_S17_S18_S19_S1C_S1D_jS1E_jS1F_S1F_jjS1H_bEUljE0_EEES10_S11_S12_S19_S1D_S1F_T6_T7_T9_mT8_S1H_bDpT10_ENKUlT_T0_E_clISt17integral_constantIbLb1EES1V_EEDaS1Q_S1R_EUlS1Q_E_NS1_11comp_targetILNS1_3genE5ELNS1_11target_archE942ELNS1_3gpuE9ELNS1_3repE0EEENS1_30default_config_static_selectorELNS0_4arch9wavefront6targetE0EEEvS13_.num_agpr, 0
	.set _ZN7rocprim17ROCPRIM_400000_NS6detail17trampoline_kernelINS0_13select_configILj256ELj13ELNS0_17block_load_methodE3ELS4_3ELS4_3ELNS0_20block_scan_algorithmE0ELj4294967295EEENS1_25partition_config_selectorILNS1_17partition_subalgoE4EjNS0_10empty_typeEbEEZZNS1_14partition_implILS8_4ELb0ES6_15HIP_vector_typeIjLj2EENS0_17counting_iteratorIjlEEPS9_SG_NS0_5tupleIJPjSI_NS0_16reverse_iteratorISI_EEEEENSH_IJSG_SG_SG_EEES9_SI_JZNS1_25segmented_radix_sort_implINS0_14default_configELb0EPK12hip_bfloat16PSP_PKlPlN2at6native12_GLOBAL__N_18offset_tEEE10hipError_tPvRmT1_PNSt15iterator_traitsIS13_E10value_typeET2_T3_PNS14_IS19_E10value_typeET4_jRbjT5_S1F_jjP12ihipStream_tbEUljE_ZNSN_ISO_Lb0ESR_SS_SU_SV_SZ_EES10_S11_S12_S13_S17_S18_S19_S1C_S1D_jS1E_jS1F_S1F_jjS1H_bEUljE0_EEES10_S11_S12_S19_S1D_S1F_T6_T7_T9_mT8_S1H_bDpT10_ENKUlT_T0_E_clISt17integral_constantIbLb1EES1V_EEDaS1Q_S1R_EUlS1Q_E_NS1_11comp_targetILNS1_3genE5ELNS1_11target_archE942ELNS1_3gpuE9ELNS1_3repE0EEENS1_30default_config_static_selectorELNS0_4arch9wavefront6targetE0EEEvS13_.numbered_sgpr, 0
	.set _ZN7rocprim17ROCPRIM_400000_NS6detail17trampoline_kernelINS0_13select_configILj256ELj13ELNS0_17block_load_methodE3ELS4_3ELS4_3ELNS0_20block_scan_algorithmE0ELj4294967295EEENS1_25partition_config_selectorILNS1_17partition_subalgoE4EjNS0_10empty_typeEbEEZZNS1_14partition_implILS8_4ELb0ES6_15HIP_vector_typeIjLj2EENS0_17counting_iteratorIjlEEPS9_SG_NS0_5tupleIJPjSI_NS0_16reverse_iteratorISI_EEEEENSH_IJSG_SG_SG_EEES9_SI_JZNS1_25segmented_radix_sort_implINS0_14default_configELb0EPK12hip_bfloat16PSP_PKlPlN2at6native12_GLOBAL__N_18offset_tEEE10hipError_tPvRmT1_PNSt15iterator_traitsIS13_E10value_typeET2_T3_PNS14_IS19_E10value_typeET4_jRbjT5_S1F_jjP12ihipStream_tbEUljE_ZNSN_ISO_Lb0ESR_SS_SU_SV_SZ_EES10_S11_S12_S13_S17_S18_S19_S1C_S1D_jS1E_jS1F_S1F_jjS1H_bEUljE0_EEES10_S11_S12_S19_S1D_S1F_T6_T7_T9_mT8_S1H_bDpT10_ENKUlT_T0_E_clISt17integral_constantIbLb1EES1V_EEDaS1Q_S1R_EUlS1Q_E_NS1_11comp_targetILNS1_3genE5ELNS1_11target_archE942ELNS1_3gpuE9ELNS1_3repE0EEENS1_30default_config_static_selectorELNS0_4arch9wavefront6targetE0EEEvS13_.num_named_barrier, 0
	.set _ZN7rocprim17ROCPRIM_400000_NS6detail17trampoline_kernelINS0_13select_configILj256ELj13ELNS0_17block_load_methodE3ELS4_3ELS4_3ELNS0_20block_scan_algorithmE0ELj4294967295EEENS1_25partition_config_selectorILNS1_17partition_subalgoE4EjNS0_10empty_typeEbEEZZNS1_14partition_implILS8_4ELb0ES6_15HIP_vector_typeIjLj2EENS0_17counting_iteratorIjlEEPS9_SG_NS0_5tupleIJPjSI_NS0_16reverse_iteratorISI_EEEEENSH_IJSG_SG_SG_EEES9_SI_JZNS1_25segmented_radix_sort_implINS0_14default_configELb0EPK12hip_bfloat16PSP_PKlPlN2at6native12_GLOBAL__N_18offset_tEEE10hipError_tPvRmT1_PNSt15iterator_traitsIS13_E10value_typeET2_T3_PNS14_IS19_E10value_typeET4_jRbjT5_S1F_jjP12ihipStream_tbEUljE_ZNSN_ISO_Lb0ESR_SS_SU_SV_SZ_EES10_S11_S12_S13_S17_S18_S19_S1C_S1D_jS1E_jS1F_S1F_jjS1H_bEUljE0_EEES10_S11_S12_S19_S1D_S1F_T6_T7_T9_mT8_S1H_bDpT10_ENKUlT_T0_E_clISt17integral_constantIbLb1EES1V_EEDaS1Q_S1R_EUlS1Q_E_NS1_11comp_targetILNS1_3genE5ELNS1_11target_archE942ELNS1_3gpuE9ELNS1_3repE0EEENS1_30default_config_static_selectorELNS0_4arch9wavefront6targetE0EEEvS13_.private_seg_size, 0
	.set _ZN7rocprim17ROCPRIM_400000_NS6detail17trampoline_kernelINS0_13select_configILj256ELj13ELNS0_17block_load_methodE3ELS4_3ELS4_3ELNS0_20block_scan_algorithmE0ELj4294967295EEENS1_25partition_config_selectorILNS1_17partition_subalgoE4EjNS0_10empty_typeEbEEZZNS1_14partition_implILS8_4ELb0ES6_15HIP_vector_typeIjLj2EENS0_17counting_iteratorIjlEEPS9_SG_NS0_5tupleIJPjSI_NS0_16reverse_iteratorISI_EEEEENSH_IJSG_SG_SG_EEES9_SI_JZNS1_25segmented_radix_sort_implINS0_14default_configELb0EPK12hip_bfloat16PSP_PKlPlN2at6native12_GLOBAL__N_18offset_tEEE10hipError_tPvRmT1_PNSt15iterator_traitsIS13_E10value_typeET2_T3_PNS14_IS19_E10value_typeET4_jRbjT5_S1F_jjP12ihipStream_tbEUljE_ZNSN_ISO_Lb0ESR_SS_SU_SV_SZ_EES10_S11_S12_S13_S17_S18_S19_S1C_S1D_jS1E_jS1F_S1F_jjS1H_bEUljE0_EEES10_S11_S12_S19_S1D_S1F_T6_T7_T9_mT8_S1H_bDpT10_ENKUlT_T0_E_clISt17integral_constantIbLb1EES1V_EEDaS1Q_S1R_EUlS1Q_E_NS1_11comp_targetILNS1_3genE5ELNS1_11target_archE942ELNS1_3gpuE9ELNS1_3repE0EEENS1_30default_config_static_selectorELNS0_4arch9wavefront6targetE0EEEvS13_.uses_vcc, 0
	.set _ZN7rocprim17ROCPRIM_400000_NS6detail17trampoline_kernelINS0_13select_configILj256ELj13ELNS0_17block_load_methodE3ELS4_3ELS4_3ELNS0_20block_scan_algorithmE0ELj4294967295EEENS1_25partition_config_selectorILNS1_17partition_subalgoE4EjNS0_10empty_typeEbEEZZNS1_14partition_implILS8_4ELb0ES6_15HIP_vector_typeIjLj2EENS0_17counting_iteratorIjlEEPS9_SG_NS0_5tupleIJPjSI_NS0_16reverse_iteratorISI_EEEEENSH_IJSG_SG_SG_EEES9_SI_JZNS1_25segmented_radix_sort_implINS0_14default_configELb0EPK12hip_bfloat16PSP_PKlPlN2at6native12_GLOBAL__N_18offset_tEEE10hipError_tPvRmT1_PNSt15iterator_traitsIS13_E10value_typeET2_T3_PNS14_IS19_E10value_typeET4_jRbjT5_S1F_jjP12ihipStream_tbEUljE_ZNSN_ISO_Lb0ESR_SS_SU_SV_SZ_EES10_S11_S12_S13_S17_S18_S19_S1C_S1D_jS1E_jS1F_S1F_jjS1H_bEUljE0_EEES10_S11_S12_S19_S1D_S1F_T6_T7_T9_mT8_S1H_bDpT10_ENKUlT_T0_E_clISt17integral_constantIbLb1EES1V_EEDaS1Q_S1R_EUlS1Q_E_NS1_11comp_targetILNS1_3genE5ELNS1_11target_archE942ELNS1_3gpuE9ELNS1_3repE0EEENS1_30default_config_static_selectorELNS0_4arch9wavefront6targetE0EEEvS13_.uses_flat_scratch, 0
	.set _ZN7rocprim17ROCPRIM_400000_NS6detail17trampoline_kernelINS0_13select_configILj256ELj13ELNS0_17block_load_methodE3ELS4_3ELS4_3ELNS0_20block_scan_algorithmE0ELj4294967295EEENS1_25partition_config_selectorILNS1_17partition_subalgoE4EjNS0_10empty_typeEbEEZZNS1_14partition_implILS8_4ELb0ES6_15HIP_vector_typeIjLj2EENS0_17counting_iteratorIjlEEPS9_SG_NS0_5tupleIJPjSI_NS0_16reverse_iteratorISI_EEEEENSH_IJSG_SG_SG_EEES9_SI_JZNS1_25segmented_radix_sort_implINS0_14default_configELb0EPK12hip_bfloat16PSP_PKlPlN2at6native12_GLOBAL__N_18offset_tEEE10hipError_tPvRmT1_PNSt15iterator_traitsIS13_E10value_typeET2_T3_PNS14_IS19_E10value_typeET4_jRbjT5_S1F_jjP12ihipStream_tbEUljE_ZNSN_ISO_Lb0ESR_SS_SU_SV_SZ_EES10_S11_S12_S13_S17_S18_S19_S1C_S1D_jS1E_jS1F_S1F_jjS1H_bEUljE0_EEES10_S11_S12_S19_S1D_S1F_T6_T7_T9_mT8_S1H_bDpT10_ENKUlT_T0_E_clISt17integral_constantIbLb1EES1V_EEDaS1Q_S1R_EUlS1Q_E_NS1_11comp_targetILNS1_3genE5ELNS1_11target_archE942ELNS1_3gpuE9ELNS1_3repE0EEENS1_30default_config_static_selectorELNS0_4arch9wavefront6targetE0EEEvS13_.has_dyn_sized_stack, 0
	.set _ZN7rocprim17ROCPRIM_400000_NS6detail17trampoline_kernelINS0_13select_configILj256ELj13ELNS0_17block_load_methodE3ELS4_3ELS4_3ELNS0_20block_scan_algorithmE0ELj4294967295EEENS1_25partition_config_selectorILNS1_17partition_subalgoE4EjNS0_10empty_typeEbEEZZNS1_14partition_implILS8_4ELb0ES6_15HIP_vector_typeIjLj2EENS0_17counting_iteratorIjlEEPS9_SG_NS0_5tupleIJPjSI_NS0_16reverse_iteratorISI_EEEEENSH_IJSG_SG_SG_EEES9_SI_JZNS1_25segmented_radix_sort_implINS0_14default_configELb0EPK12hip_bfloat16PSP_PKlPlN2at6native12_GLOBAL__N_18offset_tEEE10hipError_tPvRmT1_PNSt15iterator_traitsIS13_E10value_typeET2_T3_PNS14_IS19_E10value_typeET4_jRbjT5_S1F_jjP12ihipStream_tbEUljE_ZNSN_ISO_Lb0ESR_SS_SU_SV_SZ_EES10_S11_S12_S13_S17_S18_S19_S1C_S1D_jS1E_jS1F_S1F_jjS1H_bEUljE0_EEES10_S11_S12_S19_S1D_S1F_T6_T7_T9_mT8_S1H_bDpT10_ENKUlT_T0_E_clISt17integral_constantIbLb1EES1V_EEDaS1Q_S1R_EUlS1Q_E_NS1_11comp_targetILNS1_3genE5ELNS1_11target_archE942ELNS1_3gpuE9ELNS1_3repE0EEENS1_30default_config_static_selectorELNS0_4arch9wavefront6targetE0EEEvS13_.has_recursion, 0
	.set _ZN7rocprim17ROCPRIM_400000_NS6detail17trampoline_kernelINS0_13select_configILj256ELj13ELNS0_17block_load_methodE3ELS4_3ELS4_3ELNS0_20block_scan_algorithmE0ELj4294967295EEENS1_25partition_config_selectorILNS1_17partition_subalgoE4EjNS0_10empty_typeEbEEZZNS1_14partition_implILS8_4ELb0ES6_15HIP_vector_typeIjLj2EENS0_17counting_iteratorIjlEEPS9_SG_NS0_5tupleIJPjSI_NS0_16reverse_iteratorISI_EEEEENSH_IJSG_SG_SG_EEES9_SI_JZNS1_25segmented_radix_sort_implINS0_14default_configELb0EPK12hip_bfloat16PSP_PKlPlN2at6native12_GLOBAL__N_18offset_tEEE10hipError_tPvRmT1_PNSt15iterator_traitsIS13_E10value_typeET2_T3_PNS14_IS19_E10value_typeET4_jRbjT5_S1F_jjP12ihipStream_tbEUljE_ZNSN_ISO_Lb0ESR_SS_SU_SV_SZ_EES10_S11_S12_S13_S17_S18_S19_S1C_S1D_jS1E_jS1F_S1F_jjS1H_bEUljE0_EEES10_S11_S12_S19_S1D_S1F_T6_T7_T9_mT8_S1H_bDpT10_ENKUlT_T0_E_clISt17integral_constantIbLb1EES1V_EEDaS1Q_S1R_EUlS1Q_E_NS1_11comp_targetILNS1_3genE5ELNS1_11target_archE942ELNS1_3gpuE9ELNS1_3repE0EEENS1_30default_config_static_selectorELNS0_4arch9wavefront6targetE0EEEvS13_.has_indirect_call, 0
	.section	.AMDGPU.csdata,"",@progbits
; Kernel info:
; codeLenInByte = 0
; TotalNumSgprs: 0
; NumVgprs: 0
; ScratchSize: 0
; MemoryBound: 0
; FloatMode: 240
; IeeeMode: 1
; LDSByteSize: 0 bytes/workgroup (compile time only)
; SGPRBlocks: 0
; VGPRBlocks: 0
; NumSGPRsForWavesPerEU: 1
; NumVGPRsForWavesPerEU: 1
; Occupancy: 16
; WaveLimiterHint : 0
; COMPUTE_PGM_RSRC2:SCRATCH_EN: 0
; COMPUTE_PGM_RSRC2:USER_SGPR: 6
; COMPUTE_PGM_RSRC2:TRAP_HANDLER: 0
; COMPUTE_PGM_RSRC2:TGID_X_EN: 1
; COMPUTE_PGM_RSRC2:TGID_Y_EN: 0
; COMPUTE_PGM_RSRC2:TGID_Z_EN: 0
; COMPUTE_PGM_RSRC2:TIDIG_COMP_CNT: 0
	.section	.text._ZN7rocprim17ROCPRIM_400000_NS6detail17trampoline_kernelINS0_13select_configILj256ELj13ELNS0_17block_load_methodE3ELS4_3ELS4_3ELNS0_20block_scan_algorithmE0ELj4294967295EEENS1_25partition_config_selectorILNS1_17partition_subalgoE4EjNS0_10empty_typeEbEEZZNS1_14partition_implILS8_4ELb0ES6_15HIP_vector_typeIjLj2EENS0_17counting_iteratorIjlEEPS9_SG_NS0_5tupleIJPjSI_NS0_16reverse_iteratorISI_EEEEENSH_IJSG_SG_SG_EEES9_SI_JZNS1_25segmented_radix_sort_implINS0_14default_configELb0EPK12hip_bfloat16PSP_PKlPlN2at6native12_GLOBAL__N_18offset_tEEE10hipError_tPvRmT1_PNSt15iterator_traitsIS13_E10value_typeET2_T3_PNS14_IS19_E10value_typeET4_jRbjT5_S1F_jjP12ihipStream_tbEUljE_ZNSN_ISO_Lb0ESR_SS_SU_SV_SZ_EES10_S11_S12_S13_S17_S18_S19_S1C_S1D_jS1E_jS1F_S1F_jjS1H_bEUljE0_EEES10_S11_S12_S19_S1D_S1F_T6_T7_T9_mT8_S1H_bDpT10_ENKUlT_T0_E_clISt17integral_constantIbLb1EES1V_EEDaS1Q_S1R_EUlS1Q_E_NS1_11comp_targetILNS1_3genE4ELNS1_11target_archE910ELNS1_3gpuE8ELNS1_3repE0EEENS1_30default_config_static_selectorELNS0_4arch9wavefront6targetE0EEEvS13_,"axG",@progbits,_ZN7rocprim17ROCPRIM_400000_NS6detail17trampoline_kernelINS0_13select_configILj256ELj13ELNS0_17block_load_methodE3ELS4_3ELS4_3ELNS0_20block_scan_algorithmE0ELj4294967295EEENS1_25partition_config_selectorILNS1_17partition_subalgoE4EjNS0_10empty_typeEbEEZZNS1_14partition_implILS8_4ELb0ES6_15HIP_vector_typeIjLj2EENS0_17counting_iteratorIjlEEPS9_SG_NS0_5tupleIJPjSI_NS0_16reverse_iteratorISI_EEEEENSH_IJSG_SG_SG_EEES9_SI_JZNS1_25segmented_radix_sort_implINS0_14default_configELb0EPK12hip_bfloat16PSP_PKlPlN2at6native12_GLOBAL__N_18offset_tEEE10hipError_tPvRmT1_PNSt15iterator_traitsIS13_E10value_typeET2_T3_PNS14_IS19_E10value_typeET4_jRbjT5_S1F_jjP12ihipStream_tbEUljE_ZNSN_ISO_Lb0ESR_SS_SU_SV_SZ_EES10_S11_S12_S13_S17_S18_S19_S1C_S1D_jS1E_jS1F_S1F_jjS1H_bEUljE0_EEES10_S11_S12_S19_S1D_S1F_T6_T7_T9_mT8_S1H_bDpT10_ENKUlT_T0_E_clISt17integral_constantIbLb1EES1V_EEDaS1Q_S1R_EUlS1Q_E_NS1_11comp_targetILNS1_3genE4ELNS1_11target_archE910ELNS1_3gpuE8ELNS1_3repE0EEENS1_30default_config_static_selectorELNS0_4arch9wavefront6targetE0EEEvS13_,comdat
	.globl	_ZN7rocprim17ROCPRIM_400000_NS6detail17trampoline_kernelINS0_13select_configILj256ELj13ELNS0_17block_load_methodE3ELS4_3ELS4_3ELNS0_20block_scan_algorithmE0ELj4294967295EEENS1_25partition_config_selectorILNS1_17partition_subalgoE4EjNS0_10empty_typeEbEEZZNS1_14partition_implILS8_4ELb0ES6_15HIP_vector_typeIjLj2EENS0_17counting_iteratorIjlEEPS9_SG_NS0_5tupleIJPjSI_NS0_16reverse_iteratorISI_EEEEENSH_IJSG_SG_SG_EEES9_SI_JZNS1_25segmented_radix_sort_implINS0_14default_configELb0EPK12hip_bfloat16PSP_PKlPlN2at6native12_GLOBAL__N_18offset_tEEE10hipError_tPvRmT1_PNSt15iterator_traitsIS13_E10value_typeET2_T3_PNS14_IS19_E10value_typeET4_jRbjT5_S1F_jjP12ihipStream_tbEUljE_ZNSN_ISO_Lb0ESR_SS_SU_SV_SZ_EES10_S11_S12_S13_S17_S18_S19_S1C_S1D_jS1E_jS1F_S1F_jjS1H_bEUljE0_EEES10_S11_S12_S19_S1D_S1F_T6_T7_T9_mT8_S1H_bDpT10_ENKUlT_T0_E_clISt17integral_constantIbLb1EES1V_EEDaS1Q_S1R_EUlS1Q_E_NS1_11comp_targetILNS1_3genE4ELNS1_11target_archE910ELNS1_3gpuE8ELNS1_3repE0EEENS1_30default_config_static_selectorELNS0_4arch9wavefront6targetE0EEEvS13_ ; -- Begin function _ZN7rocprim17ROCPRIM_400000_NS6detail17trampoline_kernelINS0_13select_configILj256ELj13ELNS0_17block_load_methodE3ELS4_3ELS4_3ELNS0_20block_scan_algorithmE0ELj4294967295EEENS1_25partition_config_selectorILNS1_17partition_subalgoE4EjNS0_10empty_typeEbEEZZNS1_14partition_implILS8_4ELb0ES6_15HIP_vector_typeIjLj2EENS0_17counting_iteratorIjlEEPS9_SG_NS0_5tupleIJPjSI_NS0_16reverse_iteratorISI_EEEEENSH_IJSG_SG_SG_EEES9_SI_JZNS1_25segmented_radix_sort_implINS0_14default_configELb0EPK12hip_bfloat16PSP_PKlPlN2at6native12_GLOBAL__N_18offset_tEEE10hipError_tPvRmT1_PNSt15iterator_traitsIS13_E10value_typeET2_T3_PNS14_IS19_E10value_typeET4_jRbjT5_S1F_jjP12ihipStream_tbEUljE_ZNSN_ISO_Lb0ESR_SS_SU_SV_SZ_EES10_S11_S12_S13_S17_S18_S19_S1C_S1D_jS1E_jS1F_S1F_jjS1H_bEUljE0_EEES10_S11_S12_S19_S1D_S1F_T6_T7_T9_mT8_S1H_bDpT10_ENKUlT_T0_E_clISt17integral_constantIbLb1EES1V_EEDaS1Q_S1R_EUlS1Q_E_NS1_11comp_targetILNS1_3genE4ELNS1_11target_archE910ELNS1_3gpuE8ELNS1_3repE0EEENS1_30default_config_static_selectorELNS0_4arch9wavefront6targetE0EEEvS13_
	.p2align	8
	.type	_ZN7rocprim17ROCPRIM_400000_NS6detail17trampoline_kernelINS0_13select_configILj256ELj13ELNS0_17block_load_methodE3ELS4_3ELS4_3ELNS0_20block_scan_algorithmE0ELj4294967295EEENS1_25partition_config_selectorILNS1_17partition_subalgoE4EjNS0_10empty_typeEbEEZZNS1_14partition_implILS8_4ELb0ES6_15HIP_vector_typeIjLj2EENS0_17counting_iteratorIjlEEPS9_SG_NS0_5tupleIJPjSI_NS0_16reverse_iteratorISI_EEEEENSH_IJSG_SG_SG_EEES9_SI_JZNS1_25segmented_radix_sort_implINS0_14default_configELb0EPK12hip_bfloat16PSP_PKlPlN2at6native12_GLOBAL__N_18offset_tEEE10hipError_tPvRmT1_PNSt15iterator_traitsIS13_E10value_typeET2_T3_PNS14_IS19_E10value_typeET4_jRbjT5_S1F_jjP12ihipStream_tbEUljE_ZNSN_ISO_Lb0ESR_SS_SU_SV_SZ_EES10_S11_S12_S13_S17_S18_S19_S1C_S1D_jS1E_jS1F_S1F_jjS1H_bEUljE0_EEES10_S11_S12_S19_S1D_S1F_T6_T7_T9_mT8_S1H_bDpT10_ENKUlT_T0_E_clISt17integral_constantIbLb1EES1V_EEDaS1Q_S1R_EUlS1Q_E_NS1_11comp_targetILNS1_3genE4ELNS1_11target_archE910ELNS1_3gpuE8ELNS1_3repE0EEENS1_30default_config_static_selectorELNS0_4arch9wavefront6targetE0EEEvS13_,@function
_ZN7rocprim17ROCPRIM_400000_NS6detail17trampoline_kernelINS0_13select_configILj256ELj13ELNS0_17block_load_methodE3ELS4_3ELS4_3ELNS0_20block_scan_algorithmE0ELj4294967295EEENS1_25partition_config_selectorILNS1_17partition_subalgoE4EjNS0_10empty_typeEbEEZZNS1_14partition_implILS8_4ELb0ES6_15HIP_vector_typeIjLj2EENS0_17counting_iteratorIjlEEPS9_SG_NS0_5tupleIJPjSI_NS0_16reverse_iteratorISI_EEEEENSH_IJSG_SG_SG_EEES9_SI_JZNS1_25segmented_radix_sort_implINS0_14default_configELb0EPK12hip_bfloat16PSP_PKlPlN2at6native12_GLOBAL__N_18offset_tEEE10hipError_tPvRmT1_PNSt15iterator_traitsIS13_E10value_typeET2_T3_PNS14_IS19_E10value_typeET4_jRbjT5_S1F_jjP12ihipStream_tbEUljE_ZNSN_ISO_Lb0ESR_SS_SU_SV_SZ_EES10_S11_S12_S13_S17_S18_S19_S1C_S1D_jS1E_jS1F_S1F_jjS1H_bEUljE0_EEES10_S11_S12_S19_S1D_S1F_T6_T7_T9_mT8_S1H_bDpT10_ENKUlT_T0_E_clISt17integral_constantIbLb1EES1V_EEDaS1Q_S1R_EUlS1Q_E_NS1_11comp_targetILNS1_3genE4ELNS1_11target_archE910ELNS1_3gpuE8ELNS1_3repE0EEENS1_30default_config_static_selectorELNS0_4arch9wavefront6targetE0EEEvS13_: ; @_ZN7rocprim17ROCPRIM_400000_NS6detail17trampoline_kernelINS0_13select_configILj256ELj13ELNS0_17block_load_methodE3ELS4_3ELS4_3ELNS0_20block_scan_algorithmE0ELj4294967295EEENS1_25partition_config_selectorILNS1_17partition_subalgoE4EjNS0_10empty_typeEbEEZZNS1_14partition_implILS8_4ELb0ES6_15HIP_vector_typeIjLj2EENS0_17counting_iteratorIjlEEPS9_SG_NS0_5tupleIJPjSI_NS0_16reverse_iteratorISI_EEEEENSH_IJSG_SG_SG_EEES9_SI_JZNS1_25segmented_radix_sort_implINS0_14default_configELb0EPK12hip_bfloat16PSP_PKlPlN2at6native12_GLOBAL__N_18offset_tEEE10hipError_tPvRmT1_PNSt15iterator_traitsIS13_E10value_typeET2_T3_PNS14_IS19_E10value_typeET4_jRbjT5_S1F_jjP12ihipStream_tbEUljE_ZNSN_ISO_Lb0ESR_SS_SU_SV_SZ_EES10_S11_S12_S13_S17_S18_S19_S1C_S1D_jS1E_jS1F_S1F_jjS1H_bEUljE0_EEES10_S11_S12_S19_S1D_S1F_T6_T7_T9_mT8_S1H_bDpT10_ENKUlT_T0_E_clISt17integral_constantIbLb1EES1V_EEDaS1Q_S1R_EUlS1Q_E_NS1_11comp_targetILNS1_3genE4ELNS1_11target_archE910ELNS1_3gpuE8ELNS1_3repE0EEENS1_30default_config_static_selectorELNS0_4arch9wavefront6targetE0EEEvS13_
; %bb.0:
	.section	.rodata,"a",@progbits
	.p2align	6, 0x0
	.amdhsa_kernel _ZN7rocprim17ROCPRIM_400000_NS6detail17trampoline_kernelINS0_13select_configILj256ELj13ELNS0_17block_load_methodE3ELS4_3ELS4_3ELNS0_20block_scan_algorithmE0ELj4294967295EEENS1_25partition_config_selectorILNS1_17partition_subalgoE4EjNS0_10empty_typeEbEEZZNS1_14partition_implILS8_4ELb0ES6_15HIP_vector_typeIjLj2EENS0_17counting_iteratorIjlEEPS9_SG_NS0_5tupleIJPjSI_NS0_16reverse_iteratorISI_EEEEENSH_IJSG_SG_SG_EEES9_SI_JZNS1_25segmented_radix_sort_implINS0_14default_configELb0EPK12hip_bfloat16PSP_PKlPlN2at6native12_GLOBAL__N_18offset_tEEE10hipError_tPvRmT1_PNSt15iterator_traitsIS13_E10value_typeET2_T3_PNS14_IS19_E10value_typeET4_jRbjT5_S1F_jjP12ihipStream_tbEUljE_ZNSN_ISO_Lb0ESR_SS_SU_SV_SZ_EES10_S11_S12_S13_S17_S18_S19_S1C_S1D_jS1E_jS1F_S1F_jjS1H_bEUljE0_EEES10_S11_S12_S19_S1D_S1F_T6_T7_T9_mT8_S1H_bDpT10_ENKUlT_T0_E_clISt17integral_constantIbLb1EES1V_EEDaS1Q_S1R_EUlS1Q_E_NS1_11comp_targetILNS1_3genE4ELNS1_11target_archE910ELNS1_3gpuE8ELNS1_3repE0EEENS1_30default_config_static_selectorELNS0_4arch9wavefront6targetE0EEEvS13_
		.amdhsa_group_segment_fixed_size 0
		.amdhsa_private_segment_fixed_size 0
		.amdhsa_kernarg_size 184
		.amdhsa_user_sgpr_count 6
		.amdhsa_user_sgpr_private_segment_buffer 1
		.amdhsa_user_sgpr_dispatch_ptr 0
		.amdhsa_user_sgpr_queue_ptr 0
		.amdhsa_user_sgpr_kernarg_segment_ptr 1
		.amdhsa_user_sgpr_dispatch_id 0
		.amdhsa_user_sgpr_flat_scratch_init 0
		.amdhsa_user_sgpr_private_segment_size 0
		.amdhsa_wavefront_size32 1
		.amdhsa_uses_dynamic_stack 0
		.amdhsa_system_sgpr_private_segment_wavefront_offset 0
		.amdhsa_system_sgpr_workgroup_id_x 1
		.amdhsa_system_sgpr_workgroup_id_y 0
		.amdhsa_system_sgpr_workgroup_id_z 0
		.amdhsa_system_sgpr_workgroup_info 0
		.amdhsa_system_vgpr_workitem_id 0
		.amdhsa_next_free_vgpr 1
		.amdhsa_next_free_sgpr 1
		.amdhsa_reserve_vcc 0
		.amdhsa_reserve_flat_scratch 0
		.amdhsa_float_round_mode_32 0
		.amdhsa_float_round_mode_16_64 0
		.amdhsa_float_denorm_mode_32 3
		.amdhsa_float_denorm_mode_16_64 3
		.amdhsa_dx10_clamp 1
		.amdhsa_ieee_mode 1
		.amdhsa_fp16_overflow 0
		.amdhsa_workgroup_processor_mode 1
		.amdhsa_memory_ordered 1
		.amdhsa_forward_progress 1
		.amdhsa_shared_vgpr_count 0
		.amdhsa_exception_fp_ieee_invalid_op 0
		.amdhsa_exception_fp_denorm_src 0
		.amdhsa_exception_fp_ieee_div_zero 0
		.amdhsa_exception_fp_ieee_overflow 0
		.amdhsa_exception_fp_ieee_underflow 0
		.amdhsa_exception_fp_ieee_inexact 0
		.amdhsa_exception_int_div_zero 0
	.end_amdhsa_kernel
	.section	.text._ZN7rocprim17ROCPRIM_400000_NS6detail17trampoline_kernelINS0_13select_configILj256ELj13ELNS0_17block_load_methodE3ELS4_3ELS4_3ELNS0_20block_scan_algorithmE0ELj4294967295EEENS1_25partition_config_selectorILNS1_17partition_subalgoE4EjNS0_10empty_typeEbEEZZNS1_14partition_implILS8_4ELb0ES6_15HIP_vector_typeIjLj2EENS0_17counting_iteratorIjlEEPS9_SG_NS0_5tupleIJPjSI_NS0_16reverse_iteratorISI_EEEEENSH_IJSG_SG_SG_EEES9_SI_JZNS1_25segmented_radix_sort_implINS0_14default_configELb0EPK12hip_bfloat16PSP_PKlPlN2at6native12_GLOBAL__N_18offset_tEEE10hipError_tPvRmT1_PNSt15iterator_traitsIS13_E10value_typeET2_T3_PNS14_IS19_E10value_typeET4_jRbjT5_S1F_jjP12ihipStream_tbEUljE_ZNSN_ISO_Lb0ESR_SS_SU_SV_SZ_EES10_S11_S12_S13_S17_S18_S19_S1C_S1D_jS1E_jS1F_S1F_jjS1H_bEUljE0_EEES10_S11_S12_S19_S1D_S1F_T6_T7_T9_mT8_S1H_bDpT10_ENKUlT_T0_E_clISt17integral_constantIbLb1EES1V_EEDaS1Q_S1R_EUlS1Q_E_NS1_11comp_targetILNS1_3genE4ELNS1_11target_archE910ELNS1_3gpuE8ELNS1_3repE0EEENS1_30default_config_static_selectorELNS0_4arch9wavefront6targetE0EEEvS13_,"axG",@progbits,_ZN7rocprim17ROCPRIM_400000_NS6detail17trampoline_kernelINS0_13select_configILj256ELj13ELNS0_17block_load_methodE3ELS4_3ELS4_3ELNS0_20block_scan_algorithmE0ELj4294967295EEENS1_25partition_config_selectorILNS1_17partition_subalgoE4EjNS0_10empty_typeEbEEZZNS1_14partition_implILS8_4ELb0ES6_15HIP_vector_typeIjLj2EENS0_17counting_iteratorIjlEEPS9_SG_NS0_5tupleIJPjSI_NS0_16reverse_iteratorISI_EEEEENSH_IJSG_SG_SG_EEES9_SI_JZNS1_25segmented_radix_sort_implINS0_14default_configELb0EPK12hip_bfloat16PSP_PKlPlN2at6native12_GLOBAL__N_18offset_tEEE10hipError_tPvRmT1_PNSt15iterator_traitsIS13_E10value_typeET2_T3_PNS14_IS19_E10value_typeET4_jRbjT5_S1F_jjP12ihipStream_tbEUljE_ZNSN_ISO_Lb0ESR_SS_SU_SV_SZ_EES10_S11_S12_S13_S17_S18_S19_S1C_S1D_jS1E_jS1F_S1F_jjS1H_bEUljE0_EEES10_S11_S12_S19_S1D_S1F_T6_T7_T9_mT8_S1H_bDpT10_ENKUlT_T0_E_clISt17integral_constantIbLb1EES1V_EEDaS1Q_S1R_EUlS1Q_E_NS1_11comp_targetILNS1_3genE4ELNS1_11target_archE910ELNS1_3gpuE8ELNS1_3repE0EEENS1_30default_config_static_selectorELNS0_4arch9wavefront6targetE0EEEvS13_,comdat
.Lfunc_end1985:
	.size	_ZN7rocprim17ROCPRIM_400000_NS6detail17trampoline_kernelINS0_13select_configILj256ELj13ELNS0_17block_load_methodE3ELS4_3ELS4_3ELNS0_20block_scan_algorithmE0ELj4294967295EEENS1_25partition_config_selectorILNS1_17partition_subalgoE4EjNS0_10empty_typeEbEEZZNS1_14partition_implILS8_4ELb0ES6_15HIP_vector_typeIjLj2EENS0_17counting_iteratorIjlEEPS9_SG_NS0_5tupleIJPjSI_NS0_16reverse_iteratorISI_EEEEENSH_IJSG_SG_SG_EEES9_SI_JZNS1_25segmented_radix_sort_implINS0_14default_configELb0EPK12hip_bfloat16PSP_PKlPlN2at6native12_GLOBAL__N_18offset_tEEE10hipError_tPvRmT1_PNSt15iterator_traitsIS13_E10value_typeET2_T3_PNS14_IS19_E10value_typeET4_jRbjT5_S1F_jjP12ihipStream_tbEUljE_ZNSN_ISO_Lb0ESR_SS_SU_SV_SZ_EES10_S11_S12_S13_S17_S18_S19_S1C_S1D_jS1E_jS1F_S1F_jjS1H_bEUljE0_EEES10_S11_S12_S19_S1D_S1F_T6_T7_T9_mT8_S1H_bDpT10_ENKUlT_T0_E_clISt17integral_constantIbLb1EES1V_EEDaS1Q_S1R_EUlS1Q_E_NS1_11comp_targetILNS1_3genE4ELNS1_11target_archE910ELNS1_3gpuE8ELNS1_3repE0EEENS1_30default_config_static_selectorELNS0_4arch9wavefront6targetE0EEEvS13_, .Lfunc_end1985-_ZN7rocprim17ROCPRIM_400000_NS6detail17trampoline_kernelINS0_13select_configILj256ELj13ELNS0_17block_load_methodE3ELS4_3ELS4_3ELNS0_20block_scan_algorithmE0ELj4294967295EEENS1_25partition_config_selectorILNS1_17partition_subalgoE4EjNS0_10empty_typeEbEEZZNS1_14partition_implILS8_4ELb0ES6_15HIP_vector_typeIjLj2EENS0_17counting_iteratorIjlEEPS9_SG_NS0_5tupleIJPjSI_NS0_16reverse_iteratorISI_EEEEENSH_IJSG_SG_SG_EEES9_SI_JZNS1_25segmented_radix_sort_implINS0_14default_configELb0EPK12hip_bfloat16PSP_PKlPlN2at6native12_GLOBAL__N_18offset_tEEE10hipError_tPvRmT1_PNSt15iterator_traitsIS13_E10value_typeET2_T3_PNS14_IS19_E10value_typeET4_jRbjT5_S1F_jjP12ihipStream_tbEUljE_ZNSN_ISO_Lb0ESR_SS_SU_SV_SZ_EES10_S11_S12_S13_S17_S18_S19_S1C_S1D_jS1E_jS1F_S1F_jjS1H_bEUljE0_EEES10_S11_S12_S19_S1D_S1F_T6_T7_T9_mT8_S1H_bDpT10_ENKUlT_T0_E_clISt17integral_constantIbLb1EES1V_EEDaS1Q_S1R_EUlS1Q_E_NS1_11comp_targetILNS1_3genE4ELNS1_11target_archE910ELNS1_3gpuE8ELNS1_3repE0EEENS1_30default_config_static_selectorELNS0_4arch9wavefront6targetE0EEEvS13_
                                        ; -- End function
	.set _ZN7rocprim17ROCPRIM_400000_NS6detail17trampoline_kernelINS0_13select_configILj256ELj13ELNS0_17block_load_methodE3ELS4_3ELS4_3ELNS0_20block_scan_algorithmE0ELj4294967295EEENS1_25partition_config_selectorILNS1_17partition_subalgoE4EjNS0_10empty_typeEbEEZZNS1_14partition_implILS8_4ELb0ES6_15HIP_vector_typeIjLj2EENS0_17counting_iteratorIjlEEPS9_SG_NS0_5tupleIJPjSI_NS0_16reverse_iteratorISI_EEEEENSH_IJSG_SG_SG_EEES9_SI_JZNS1_25segmented_radix_sort_implINS0_14default_configELb0EPK12hip_bfloat16PSP_PKlPlN2at6native12_GLOBAL__N_18offset_tEEE10hipError_tPvRmT1_PNSt15iterator_traitsIS13_E10value_typeET2_T3_PNS14_IS19_E10value_typeET4_jRbjT5_S1F_jjP12ihipStream_tbEUljE_ZNSN_ISO_Lb0ESR_SS_SU_SV_SZ_EES10_S11_S12_S13_S17_S18_S19_S1C_S1D_jS1E_jS1F_S1F_jjS1H_bEUljE0_EEES10_S11_S12_S19_S1D_S1F_T6_T7_T9_mT8_S1H_bDpT10_ENKUlT_T0_E_clISt17integral_constantIbLb1EES1V_EEDaS1Q_S1R_EUlS1Q_E_NS1_11comp_targetILNS1_3genE4ELNS1_11target_archE910ELNS1_3gpuE8ELNS1_3repE0EEENS1_30default_config_static_selectorELNS0_4arch9wavefront6targetE0EEEvS13_.num_vgpr, 0
	.set _ZN7rocprim17ROCPRIM_400000_NS6detail17trampoline_kernelINS0_13select_configILj256ELj13ELNS0_17block_load_methodE3ELS4_3ELS4_3ELNS0_20block_scan_algorithmE0ELj4294967295EEENS1_25partition_config_selectorILNS1_17partition_subalgoE4EjNS0_10empty_typeEbEEZZNS1_14partition_implILS8_4ELb0ES6_15HIP_vector_typeIjLj2EENS0_17counting_iteratorIjlEEPS9_SG_NS0_5tupleIJPjSI_NS0_16reverse_iteratorISI_EEEEENSH_IJSG_SG_SG_EEES9_SI_JZNS1_25segmented_radix_sort_implINS0_14default_configELb0EPK12hip_bfloat16PSP_PKlPlN2at6native12_GLOBAL__N_18offset_tEEE10hipError_tPvRmT1_PNSt15iterator_traitsIS13_E10value_typeET2_T3_PNS14_IS19_E10value_typeET4_jRbjT5_S1F_jjP12ihipStream_tbEUljE_ZNSN_ISO_Lb0ESR_SS_SU_SV_SZ_EES10_S11_S12_S13_S17_S18_S19_S1C_S1D_jS1E_jS1F_S1F_jjS1H_bEUljE0_EEES10_S11_S12_S19_S1D_S1F_T6_T7_T9_mT8_S1H_bDpT10_ENKUlT_T0_E_clISt17integral_constantIbLb1EES1V_EEDaS1Q_S1R_EUlS1Q_E_NS1_11comp_targetILNS1_3genE4ELNS1_11target_archE910ELNS1_3gpuE8ELNS1_3repE0EEENS1_30default_config_static_selectorELNS0_4arch9wavefront6targetE0EEEvS13_.num_agpr, 0
	.set _ZN7rocprim17ROCPRIM_400000_NS6detail17trampoline_kernelINS0_13select_configILj256ELj13ELNS0_17block_load_methodE3ELS4_3ELS4_3ELNS0_20block_scan_algorithmE0ELj4294967295EEENS1_25partition_config_selectorILNS1_17partition_subalgoE4EjNS0_10empty_typeEbEEZZNS1_14partition_implILS8_4ELb0ES6_15HIP_vector_typeIjLj2EENS0_17counting_iteratorIjlEEPS9_SG_NS0_5tupleIJPjSI_NS0_16reverse_iteratorISI_EEEEENSH_IJSG_SG_SG_EEES9_SI_JZNS1_25segmented_radix_sort_implINS0_14default_configELb0EPK12hip_bfloat16PSP_PKlPlN2at6native12_GLOBAL__N_18offset_tEEE10hipError_tPvRmT1_PNSt15iterator_traitsIS13_E10value_typeET2_T3_PNS14_IS19_E10value_typeET4_jRbjT5_S1F_jjP12ihipStream_tbEUljE_ZNSN_ISO_Lb0ESR_SS_SU_SV_SZ_EES10_S11_S12_S13_S17_S18_S19_S1C_S1D_jS1E_jS1F_S1F_jjS1H_bEUljE0_EEES10_S11_S12_S19_S1D_S1F_T6_T7_T9_mT8_S1H_bDpT10_ENKUlT_T0_E_clISt17integral_constantIbLb1EES1V_EEDaS1Q_S1R_EUlS1Q_E_NS1_11comp_targetILNS1_3genE4ELNS1_11target_archE910ELNS1_3gpuE8ELNS1_3repE0EEENS1_30default_config_static_selectorELNS0_4arch9wavefront6targetE0EEEvS13_.numbered_sgpr, 0
	.set _ZN7rocprim17ROCPRIM_400000_NS6detail17trampoline_kernelINS0_13select_configILj256ELj13ELNS0_17block_load_methodE3ELS4_3ELS4_3ELNS0_20block_scan_algorithmE0ELj4294967295EEENS1_25partition_config_selectorILNS1_17partition_subalgoE4EjNS0_10empty_typeEbEEZZNS1_14partition_implILS8_4ELb0ES6_15HIP_vector_typeIjLj2EENS0_17counting_iteratorIjlEEPS9_SG_NS0_5tupleIJPjSI_NS0_16reverse_iteratorISI_EEEEENSH_IJSG_SG_SG_EEES9_SI_JZNS1_25segmented_radix_sort_implINS0_14default_configELb0EPK12hip_bfloat16PSP_PKlPlN2at6native12_GLOBAL__N_18offset_tEEE10hipError_tPvRmT1_PNSt15iterator_traitsIS13_E10value_typeET2_T3_PNS14_IS19_E10value_typeET4_jRbjT5_S1F_jjP12ihipStream_tbEUljE_ZNSN_ISO_Lb0ESR_SS_SU_SV_SZ_EES10_S11_S12_S13_S17_S18_S19_S1C_S1D_jS1E_jS1F_S1F_jjS1H_bEUljE0_EEES10_S11_S12_S19_S1D_S1F_T6_T7_T9_mT8_S1H_bDpT10_ENKUlT_T0_E_clISt17integral_constantIbLb1EES1V_EEDaS1Q_S1R_EUlS1Q_E_NS1_11comp_targetILNS1_3genE4ELNS1_11target_archE910ELNS1_3gpuE8ELNS1_3repE0EEENS1_30default_config_static_selectorELNS0_4arch9wavefront6targetE0EEEvS13_.num_named_barrier, 0
	.set _ZN7rocprim17ROCPRIM_400000_NS6detail17trampoline_kernelINS0_13select_configILj256ELj13ELNS0_17block_load_methodE3ELS4_3ELS4_3ELNS0_20block_scan_algorithmE0ELj4294967295EEENS1_25partition_config_selectorILNS1_17partition_subalgoE4EjNS0_10empty_typeEbEEZZNS1_14partition_implILS8_4ELb0ES6_15HIP_vector_typeIjLj2EENS0_17counting_iteratorIjlEEPS9_SG_NS0_5tupleIJPjSI_NS0_16reverse_iteratorISI_EEEEENSH_IJSG_SG_SG_EEES9_SI_JZNS1_25segmented_radix_sort_implINS0_14default_configELb0EPK12hip_bfloat16PSP_PKlPlN2at6native12_GLOBAL__N_18offset_tEEE10hipError_tPvRmT1_PNSt15iterator_traitsIS13_E10value_typeET2_T3_PNS14_IS19_E10value_typeET4_jRbjT5_S1F_jjP12ihipStream_tbEUljE_ZNSN_ISO_Lb0ESR_SS_SU_SV_SZ_EES10_S11_S12_S13_S17_S18_S19_S1C_S1D_jS1E_jS1F_S1F_jjS1H_bEUljE0_EEES10_S11_S12_S19_S1D_S1F_T6_T7_T9_mT8_S1H_bDpT10_ENKUlT_T0_E_clISt17integral_constantIbLb1EES1V_EEDaS1Q_S1R_EUlS1Q_E_NS1_11comp_targetILNS1_3genE4ELNS1_11target_archE910ELNS1_3gpuE8ELNS1_3repE0EEENS1_30default_config_static_selectorELNS0_4arch9wavefront6targetE0EEEvS13_.private_seg_size, 0
	.set _ZN7rocprim17ROCPRIM_400000_NS6detail17trampoline_kernelINS0_13select_configILj256ELj13ELNS0_17block_load_methodE3ELS4_3ELS4_3ELNS0_20block_scan_algorithmE0ELj4294967295EEENS1_25partition_config_selectorILNS1_17partition_subalgoE4EjNS0_10empty_typeEbEEZZNS1_14partition_implILS8_4ELb0ES6_15HIP_vector_typeIjLj2EENS0_17counting_iteratorIjlEEPS9_SG_NS0_5tupleIJPjSI_NS0_16reverse_iteratorISI_EEEEENSH_IJSG_SG_SG_EEES9_SI_JZNS1_25segmented_radix_sort_implINS0_14default_configELb0EPK12hip_bfloat16PSP_PKlPlN2at6native12_GLOBAL__N_18offset_tEEE10hipError_tPvRmT1_PNSt15iterator_traitsIS13_E10value_typeET2_T3_PNS14_IS19_E10value_typeET4_jRbjT5_S1F_jjP12ihipStream_tbEUljE_ZNSN_ISO_Lb0ESR_SS_SU_SV_SZ_EES10_S11_S12_S13_S17_S18_S19_S1C_S1D_jS1E_jS1F_S1F_jjS1H_bEUljE0_EEES10_S11_S12_S19_S1D_S1F_T6_T7_T9_mT8_S1H_bDpT10_ENKUlT_T0_E_clISt17integral_constantIbLb1EES1V_EEDaS1Q_S1R_EUlS1Q_E_NS1_11comp_targetILNS1_3genE4ELNS1_11target_archE910ELNS1_3gpuE8ELNS1_3repE0EEENS1_30default_config_static_selectorELNS0_4arch9wavefront6targetE0EEEvS13_.uses_vcc, 0
	.set _ZN7rocprim17ROCPRIM_400000_NS6detail17trampoline_kernelINS0_13select_configILj256ELj13ELNS0_17block_load_methodE3ELS4_3ELS4_3ELNS0_20block_scan_algorithmE0ELj4294967295EEENS1_25partition_config_selectorILNS1_17partition_subalgoE4EjNS0_10empty_typeEbEEZZNS1_14partition_implILS8_4ELb0ES6_15HIP_vector_typeIjLj2EENS0_17counting_iteratorIjlEEPS9_SG_NS0_5tupleIJPjSI_NS0_16reverse_iteratorISI_EEEEENSH_IJSG_SG_SG_EEES9_SI_JZNS1_25segmented_radix_sort_implINS0_14default_configELb0EPK12hip_bfloat16PSP_PKlPlN2at6native12_GLOBAL__N_18offset_tEEE10hipError_tPvRmT1_PNSt15iterator_traitsIS13_E10value_typeET2_T3_PNS14_IS19_E10value_typeET4_jRbjT5_S1F_jjP12ihipStream_tbEUljE_ZNSN_ISO_Lb0ESR_SS_SU_SV_SZ_EES10_S11_S12_S13_S17_S18_S19_S1C_S1D_jS1E_jS1F_S1F_jjS1H_bEUljE0_EEES10_S11_S12_S19_S1D_S1F_T6_T7_T9_mT8_S1H_bDpT10_ENKUlT_T0_E_clISt17integral_constantIbLb1EES1V_EEDaS1Q_S1R_EUlS1Q_E_NS1_11comp_targetILNS1_3genE4ELNS1_11target_archE910ELNS1_3gpuE8ELNS1_3repE0EEENS1_30default_config_static_selectorELNS0_4arch9wavefront6targetE0EEEvS13_.uses_flat_scratch, 0
	.set _ZN7rocprim17ROCPRIM_400000_NS6detail17trampoline_kernelINS0_13select_configILj256ELj13ELNS0_17block_load_methodE3ELS4_3ELS4_3ELNS0_20block_scan_algorithmE0ELj4294967295EEENS1_25partition_config_selectorILNS1_17partition_subalgoE4EjNS0_10empty_typeEbEEZZNS1_14partition_implILS8_4ELb0ES6_15HIP_vector_typeIjLj2EENS0_17counting_iteratorIjlEEPS9_SG_NS0_5tupleIJPjSI_NS0_16reverse_iteratorISI_EEEEENSH_IJSG_SG_SG_EEES9_SI_JZNS1_25segmented_radix_sort_implINS0_14default_configELb0EPK12hip_bfloat16PSP_PKlPlN2at6native12_GLOBAL__N_18offset_tEEE10hipError_tPvRmT1_PNSt15iterator_traitsIS13_E10value_typeET2_T3_PNS14_IS19_E10value_typeET4_jRbjT5_S1F_jjP12ihipStream_tbEUljE_ZNSN_ISO_Lb0ESR_SS_SU_SV_SZ_EES10_S11_S12_S13_S17_S18_S19_S1C_S1D_jS1E_jS1F_S1F_jjS1H_bEUljE0_EEES10_S11_S12_S19_S1D_S1F_T6_T7_T9_mT8_S1H_bDpT10_ENKUlT_T0_E_clISt17integral_constantIbLb1EES1V_EEDaS1Q_S1R_EUlS1Q_E_NS1_11comp_targetILNS1_3genE4ELNS1_11target_archE910ELNS1_3gpuE8ELNS1_3repE0EEENS1_30default_config_static_selectorELNS0_4arch9wavefront6targetE0EEEvS13_.has_dyn_sized_stack, 0
	.set _ZN7rocprim17ROCPRIM_400000_NS6detail17trampoline_kernelINS0_13select_configILj256ELj13ELNS0_17block_load_methodE3ELS4_3ELS4_3ELNS0_20block_scan_algorithmE0ELj4294967295EEENS1_25partition_config_selectorILNS1_17partition_subalgoE4EjNS0_10empty_typeEbEEZZNS1_14partition_implILS8_4ELb0ES6_15HIP_vector_typeIjLj2EENS0_17counting_iteratorIjlEEPS9_SG_NS0_5tupleIJPjSI_NS0_16reverse_iteratorISI_EEEEENSH_IJSG_SG_SG_EEES9_SI_JZNS1_25segmented_radix_sort_implINS0_14default_configELb0EPK12hip_bfloat16PSP_PKlPlN2at6native12_GLOBAL__N_18offset_tEEE10hipError_tPvRmT1_PNSt15iterator_traitsIS13_E10value_typeET2_T3_PNS14_IS19_E10value_typeET4_jRbjT5_S1F_jjP12ihipStream_tbEUljE_ZNSN_ISO_Lb0ESR_SS_SU_SV_SZ_EES10_S11_S12_S13_S17_S18_S19_S1C_S1D_jS1E_jS1F_S1F_jjS1H_bEUljE0_EEES10_S11_S12_S19_S1D_S1F_T6_T7_T9_mT8_S1H_bDpT10_ENKUlT_T0_E_clISt17integral_constantIbLb1EES1V_EEDaS1Q_S1R_EUlS1Q_E_NS1_11comp_targetILNS1_3genE4ELNS1_11target_archE910ELNS1_3gpuE8ELNS1_3repE0EEENS1_30default_config_static_selectorELNS0_4arch9wavefront6targetE0EEEvS13_.has_recursion, 0
	.set _ZN7rocprim17ROCPRIM_400000_NS6detail17trampoline_kernelINS0_13select_configILj256ELj13ELNS0_17block_load_methodE3ELS4_3ELS4_3ELNS0_20block_scan_algorithmE0ELj4294967295EEENS1_25partition_config_selectorILNS1_17partition_subalgoE4EjNS0_10empty_typeEbEEZZNS1_14partition_implILS8_4ELb0ES6_15HIP_vector_typeIjLj2EENS0_17counting_iteratorIjlEEPS9_SG_NS0_5tupleIJPjSI_NS0_16reverse_iteratorISI_EEEEENSH_IJSG_SG_SG_EEES9_SI_JZNS1_25segmented_radix_sort_implINS0_14default_configELb0EPK12hip_bfloat16PSP_PKlPlN2at6native12_GLOBAL__N_18offset_tEEE10hipError_tPvRmT1_PNSt15iterator_traitsIS13_E10value_typeET2_T3_PNS14_IS19_E10value_typeET4_jRbjT5_S1F_jjP12ihipStream_tbEUljE_ZNSN_ISO_Lb0ESR_SS_SU_SV_SZ_EES10_S11_S12_S13_S17_S18_S19_S1C_S1D_jS1E_jS1F_S1F_jjS1H_bEUljE0_EEES10_S11_S12_S19_S1D_S1F_T6_T7_T9_mT8_S1H_bDpT10_ENKUlT_T0_E_clISt17integral_constantIbLb1EES1V_EEDaS1Q_S1R_EUlS1Q_E_NS1_11comp_targetILNS1_3genE4ELNS1_11target_archE910ELNS1_3gpuE8ELNS1_3repE0EEENS1_30default_config_static_selectorELNS0_4arch9wavefront6targetE0EEEvS13_.has_indirect_call, 0
	.section	.AMDGPU.csdata,"",@progbits
; Kernel info:
; codeLenInByte = 0
; TotalNumSgprs: 0
; NumVgprs: 0
; ScratchSize: 0
; MemoryBound: 0
; FloatMode: 240
; IeeeMode: 1
; LDSByteSize: 0 bytes/workgroup (compile time only)
; SGPRBlocks: 0
; VGPRBlocks: 0
; NumSGPRsForWavesPerEU: 1
; NumVGPRsForWavesPerEU: 1
; Occupancy: 16
; WaveLimiterHint : 0
; COMPUTE_PGM_RSRC2:SCRATCH_EN: 0
; COMPUTE_PGM_RSRC2:USER_SGPR: 6
; COMPUTE_PGM_RSRC2:TRAP_HANDLER: 0
; COMPUTE_PGM_RSRC2:TGID_X_EN: 1
; COMPUTE_PGM_RSRC2:TGID_Y_EN: 0
; COMPUTE_PGM_RSRC2:TGID_Z_EN: 0
; COMPUTE_PGM_RSRC2:TIDIG_COMP_CNT: 0
	.section	.text._ZN7rocprim17ROCPRIM_400000_NS6detail17trampoline_kernelINS0_13select_configILj256ELj13ELNS0_17block_load_methodE3ELS4_3ELS4_3ELNS0_20block_scan_algorithmE0ELj4294967295EEENS1_25partition_config_selectorILNS1_17partition_subalgoE4EjNS0_10empty_typeEbEEZZNS1_14partition_implILS8_4ELb0ES6_15HIP_vector_typeIjLj2EENS0_17counting_iteratorIjlEEPS9_SG_NS0_5tupleIJPjSI_NS0_16reverse_iteratorISI_EEEEENSH_IJSG_SG_SG_EEES9_SI_JZNS1_25segmented_radix_sort_implINS0_14default_configELb0EPK12hip_bfloat16PSP_PKlPlN2at6native12_GLOBAL__N_18offset_tEEE10hipError_tPvRmT1_PNSt15iterator_traitsIS13_E10value_typeET2_T3_PNS14_IS19_E10value_typeET4_jRbjT5_S1F_jjP12ihipStream_tbEUljE_ZNSN_ISO_Lb0ESR_SS_SU_SV_SZ_EES10_S11_S12_S13_S17_S18_S19_S1C_S1D_jS1E_jS1F_S1F_jjS1H_bEUljE0_EEES10_S11_S12_S19_S1D_S1F_T6_T7_T9_mT8_S1H_bDpT10_ENKUlT_T0_E_clISt17integral_constantIbLb1EES1V_EEDaS1Q_S1R_EUlS1Q_E_NS1_11comp_targetILNS1_3genE3ELNS1_11target_archE908ELNS1_3gpuE7ELNS1_3repE0EEENS1_30default_config_static_selectorELNS0_4arch9wavefront6targetE0EEEvS13_,"axG",@progbits,_ZN7rocprim17ROCPRIM_400000_NS6detail17trampoline_kernelINS0_13select_configILj256ELj13ELNS0_17block_load_methodE3ELS4_3ELS4_3ELNS0_20block_scan_algorithmE0ELj4294967295EEENS1_25partition_config_selectorILNS1_17partition_subalgoE4EjNS0_10empty_typeEbEEZZNS1_14partition_implILS8_4ELb0ES6_15HIP_vector_typeIjLj2EENS0_17counting_iteratorIjlEEPS9_SG_NS0_5tupleIJPjSI_NS0_16reverse_iteratorISI_EEEEENSH_IJSG_SG_SG_EEES9_SI_JZNS1_25segmented_radix_sort_implINS0_14default_configELb0EPK12hip_bfloat16PSP_PKlPlN2at6native12_GLOBAL__N_18offset_tEEE10hipError_tPvRmT1_PNSt15iterator_traitsIS13_E10value_typeET2_T3_PNS14_IS19_E10value_typeET4_jRbjT5_S1F_jjP12ihipStream_tbEUljE_ZNSN_ISO_Lb0ESR_SS_SU_SV_SZ_EES10_S11_S12_S13_S17_S18_S19_S1C_S1D_jS1E_jS1F_S1F_jjS1H_bEUljE0_EEES10_S11_S12_S19_S1D_S1F_T6_T7_T9_mT8_S1H_bDpT10_ENKUlT_T0_E_clISt17integral_constantIbLb1EES1V_EEDaS1Q_S1R_EUlS1Q_E_NS1_11comp_targetILNS1_3genE3ELNS1_11target_archE908ELNS1_3gpuE7ELNS1_3repE0EEENS1_30default_config_static_selectorELNS0_4arch9wavefront6targetE0EEEvS13_,comdat
	.globl	_ZN7rocprim17ROCPRIM_400000_NS6detail17trampoline_kernelINS0_13select_configILj256ELj13ELNS0_17block_load_methodE3ELS4_3ELS4_3ELNS0_20block_scan_algorithmE0ELj4294967295EEENS1_25partition_config_selectorILNS1_17partition_subalgoE4EjNS0_10empty_typeEbEEZZNS1_14partition_implILS8_4ELb0ES6_15HIP_vector_typeIjLj2EENS0_17counting_iteratorIjlEEPS9_SG_NS0_5tupleIJPjSI_NS0_16reverse_iteratorISI_EEEEENSH_IJSG_SG_SG_EEES9_SI_JZNS1_25segmented_radix_sort_implINS0_14default_configELb0EPK12hip_bfloat16PSP_PKlPlN2at6native12_GLOBAL__N_18offset_tEEE10hipError_tPvRmT1_PNSt15iterator_traitsIS13_E10value_typeET2_T3_PNS14_IS19_E10value_typeET4_jRbjT5_S1F_jjP12ihipStream_tbEUljE_ZNSN_ISO_Lb0ESR_SS_SU_SV_SZ_EES10_S11_S12_S13_S17_S18_S19_S1C_S1D_jS1E_jS1F_S1F_jjS1H_bEUljE0_EEES10_S11_S12_S19_S1D_S1F_T6_T7_T9_mT8_S1H_bDpT10_ENKUlT_T0_E_clISt17integral_constantIbLb1EES1V_EEDaS1Q_S1R_EUlS1Q_E_NS1_11comp_targetILNS1_3genE3ELNS1_11target_archE908ELNS1_3gpuE7ELNS1_3repE0EEENS1_30default_config_static_selectorELNS0_4arch9wavefront6targetE0EEEvS13_ ; -- Begin function _ZN7rocprim17ROCPRIM_400000_NS6detail17trampoline_kernelINS0_13select_configILj256ELj13ELNS0_17block_load_methodE3ELS4_3ELS4_3ELNS0_20block_scan_algorithmE0ELj4294967295EEENS1_25partition_config_selectorILNS1_17partition_subalgoE4EjNS0_10empty_typeEbEEZZNS1_14partition_implILS8_4ELb0ES6_15HIP_vector_typeIjLj2EENS0_17counting_iteratorIjlEEPS9_SG_NS0_5tupleIJPjSI_NS0_16reverse_iteratorISI_EEEEENSH_IJSG_SG_SG_EEES9_SI_JZNS1_25segmented_radix_sort_implINS0_14default_configELb0EPK12hip_bfloat16PSP_PKlPlN2at6native12_GLOBAL__N_18offset_tEEE10hipError_tPvRmT1_PNSt15iterator_traitsIS13_E10value_typeET2_T3_PNS14_IS19_E10value_typeET4_jRbjT5_S1F_jjP12ihipStream_tbEUljE_ZNSN_ISO_Lb0ESR_SS_SU_SV_SZ_EES10_S11_S12_S13_S17_S18_S19_S1C_S1D_jS1E_jS1F_S1F_jjS1H_bEUljE0_EEES10_S11_S12_S19_S1D_S1F_T6_T7_T9_mT8_S1H_bDpT10_ENKUlT_T0_E_clISt17integral_constantIbLb1EES1V_EEDaS1Q_S1R_EUlS1Q_E_NS1_11comp_targetILNS1_3genE3ELNS1_11target_archE908ELNS1_3gpuE7ELNS1_3repE0EEENS1_30default_config_static_selectorELNS0_4arch9wavefront6targetE0EEEvS13_
	.p2align	8
	.type	_ZN7rocprim17ROCPRIM_400000_NS6detail17trampoline_kernelINS0_13select_configILj256ELj13ELNS0_17block_load_methodE3ELS4_3ELS4_3ELNS0_20block_scan_algorithmE0ELj4294967295EEENS1_25partition_config_selectorILNS1_17partition_subalgoE4EjNS0_10empty_typeEbEEZZNS1_14partition_implILS8_4ELb0ES6_15HIP_vector_typeIjLj2EENS0_17counting_iteratorIjlEEPS9_SG_NS0_5tupleIJPjSI_NS0_16reverse_iteratorISI_EEEEENSH_IJSG_SG_SG_EEES9_SI_JZNS1_25segmented_radix_sort_implINS0_14default_configELb0EPK12hip_bfloat16PSP_PKlPlN2at6native12_GLOBAL__N_18offset_tEEE10hipError_tPvRmT1_PNSt15iterator_traitsIS13_E10value_typeET2_T3_PNS14_IS19_E10value_typeET4_jRbjT5_S1F_jjP12ihipStream_tbEUljE_ZNSN_ISO_Lb0ESR_SS_SU_SV_SZ_EES10_S11_S12_S13_S17_S18_S19_S1C_S1D_jS1E_jS1F_S1F_jjS1H_bEUljE0_EEES10_S11_S12_S19_S1D_S1F_T6_T7_T9_mT8_S1H_bDpT10_ENKUlT_T0_E_clISt17integral_constantIbLb1EES1V_EEDaS1Q_S1R_EUlS1Q_E_NS1_11comp_targetILNS1_3genE3ELNS1_11target_archE908ELNS1_3gpuE7ELNS1_3repE0EEENS1_30default_config_static_selectorELNS0_4arch9wavefront6targetE0EEEvS13_,@function
_ZN7rocprim17ROCPRIM_400000_NS6detail17trampoline_kernelINS0_13select_configILj256ELj13ELNS0_17block_load_methodE3ELS4_3ELS4_3ELNS0_20block_scan_algorithmE0ELj4294967295EEENS1_25partition_config_selectorILNS1_17partition_subalgoE4EjNS0_10empty_typeEbEEZZNS1_14partition_implILS8_4ELb0ES6_15HIP_vector_typeIjLj2EENS0_17counting_iteratorIjlEEPS9_SG_NS0_5tupleIJPjSI_NS0_16reverse_iteratorISI_EEEEENSH_IJSG_SG_SG_EEES9_SI_JZNS1_25segmented_radix_sort_implINS0_14default_configELb0EPK12hip_bfloat16PSP_PKlPlN2at6native12_GLOBAL__N_18offset_tEEE10hipError_tPvRmT1_PNSt15iterator_traitsIS13_E10value_typeET2_T3_PNS14_IS19_E10value_typeET4_jRbjT5_S1F_jjP12ihipStream_tbEUljE_ZNSN_ISO_Lb0ESR_SS_SU_SV_SZ_EES10_S11_S12_S13_S17_S18_S19_S1C_S1D_jS1E_jS1F_S1F_jjS1H_bEUljE0_EEES10_S11_S12_S19_S1D_S1F_T6_T7_T9_mT8_S1H_bDpT10_ENKUlT_T0_E_clISt17integral_constantIbLb1EES1V_EEDaS1Q_S1R_EUlS1Q_E_NS1_11comp_targetILNS1_3genE3ELNS1_11target_archE908ELNS1_3gpuE7ELNS1_3repE0EEENS1_30default_config_static_selectorELNS0_4arch9wavefront6targetE0EEEvS13_: ; @_ZN7rocprim17ROCPRIM_400000_NS6detail17trampoline_kernelINS0_13select_configILj256ELj13ELNS0_17block_load_methodE3ELS4_3ELS4_3ELNS0_20block_scan_algorithmE0ELj4294967295EEENS1_25partition_config_selectorILNS1_17partition_subalgoE4EjNS0_10empty_typeEbEEZZNS1_14partition_implILS8_4ELb0ES6_15HIP_vector_typeIjLj2EENS0_17counting_iteratorIjlEEPS9_SG_NS0_5tupleIJPjSI_NS0_16reverse_iteratorISI_EEEEENSH_IJSG_SG_SG_EEES9_SI_JZNS1_25segmented_radix_sort_implINS0_14default_configELb0EPK12hip_bfloat16PSP_PKlPlN2at6native12_GLOBAL__N_18offset_tEEE10hipError_tPvRmT1_PNSt15iterator_traitsIS13_E10value_typeET2_T3_PNS14_IS19_E10value_typeET4_jRbjT5_S1F_jjP12ihipStream_tbEUljE_ZNSN_ISO_Lb0ESR_SS_SU_SV_SZ_EES10_S11_S12_S13_S17_S18_S19_S1C_S1D_jS1E_jS1F_S1F_jjS1H_bEUljE0_EEES10_S11_S12_S19_S1D_S1F_T6_T7_T9_mT8_S1H_bDpT10_ENKUlT_T0_E_clISt17integral_constantIbLb1EES1V_EEDaS1Q_S1R_EUlS1Q_E_NS1_11comp_targetILNS1_3genE3ELNS1_11target_archE908ELNS1_3gpuE7ELNS1_3repE0EEENS1_30default_config_static_selectorELNS0_4arch9wavefront6targetE0EEEvS13_
; %bb.0:
	.section	.rodata,"a",@progbits
	.p2align	6, 0x0
	.amdhsa_kernel _ZN7rocprim17ROCPRIM_400000_NS6detail17trampoline_kernelINS0_13select_configILj256ELj13ELNS0_17block_load_methodE3ELS4_3ELS4_3ELNS0_20block_scan_algorithmE0ELj4294967295EEENS1_25partition_config_selectorILNS1_17partition_subalgoE4EjNS0_10empty_typeEbEEZZNS1_14partition_implILS8_4ELb0ES6_15HIP_vector_typeIjLj2EENS0_17counting_iteratorIjlEEPS9_SG_NS0_5tupleIJPjSI_NS0_16reverse_iteratorISI_EEEEENSH_IJSG_SG_SG_EEES9_SI_JZNS1_25segmented_radix_sort_implINS0_14default_configELb0EPK12hip_bfloat16PSP_PKlPlN2at6native12_GLOBAL__N_18offset_tEEE10hipError_tPvRmT1_PNSt15iterator_traitsIS13_E10value_typeET2_T3_PNS14_IS19_E10value_typeET4_jRbjT5_S1F_jjP12ihipStream_tbEUljE_ZNSN_ISO_Lb0ESR_SS_SU_SV_SZ_EES10_S11_S12_S13_S17_S18_S19_S1C_S1D_jS1E_jS1F_S1F_jjS1H_bEUljE0_EEES10_S11_S12_S19_S1D_S1F_T6_T7_T9_mT8_S1H_bDpT10_ENKUlT_T0_E_clISt17integral_constantIbLb1EES1V_EEDaS1Q_S1R_EUlS1Q_E_NS1_11comp_targetILNS1_3genE3ELNS1_11target_archE908ELNS1_3gpuE7ELNS1_3repE0EEENS1_30default_config_static_selectorELNS0_4arch9wavefront6targetE0EEEvS13_
		.amdhsa_group_segment_fixed_size 0
		.amdhsa_private_segment_fixed_size 0
		.amdhsa_kernarg_size 184
		.amdhsa_user_sgpr_count 6
		.amdhsa_user_sgpr_private_segment_buffer 1
		.amdhsa_user_sgpr_dispatch_ptr 0
		.amdhsa_user_sgpr_queue_ptr 0
		.amdhsa_user_sgpr_kernarg_segment_ptr 1
		.amdhsa_user_sgpr_dispatch_id 0
		.amdhsa_user_sgpr_flat_scratch_init 0
		.amdhsa_user_sgpr_private_segment_size 0
		.amdhsa_wavefront_size32 1
		.amdhsa_uses_dynamic_stack 0
		.amdhsa_system_sgpr_private_segment_wavefront_offset 0
		.amdhsa_system_sgpr_workgroup_id_x 1
		.amdhsa_system_sgpr_workgroup_id_y 0
		.amdhsa_system_sgpr_workgroup_id_z 0
		.amdhsa_system_sgpr_workgroup_info 0
		.amdhsa_system_vgpr_workitem_id 0
		.amdhsa_next_free_vgpr 1
		.amdhsa_next_free_sgpr 1
		.amdhsa_reserve_vcc 0
		.amdhsa_reserve_flat_scratch 0
		.amdhsa_float_round_mode_32 0
		.amdhsa_float_round_mode_16_64 0
		.amdhsa_float_denorm_mode_32 3
		.amdhsa_float_denorm_mode_16_64 3
		.amdhsa_dx10_clamp 1
		.amdhsa_ieee_mode 1
		.amdhsa_fp16_overflow 0
		.amdhsa_workgroup_processor_mode 1
		.amdhsa_memory_ordered 1
		.amdhsa_forward_progress 1
		.amdhsa_shared_vgpr_count 0
		.amdhsa_exception_fp_ieee_invalid_op 0
		.amdhsa_exception_fp_denorm_src 0
		.amdhsa_exception_fp_ieee_div_zero 0
		.amdhsa_exception_fp_ieee_overflow 0
		.amdhsa_exception_fp_ieee_underflow 0
		.amdhsa_exception_fp_ieee_inexact 0
		.amdhsa_exception_int_div_zero 0
	.end_amdhsa_kernel
	.section	.text._ZN7rocprim17ROCPRIM_400000_NS6detail17trampoline_kernelINS0_13select_configILj256ELj13ELNS0_17block_load_methodE3ELS4_3ELS4_3ELNS0_20block_scan_algorithmE0ELj4294967295EEENS1_25partition_config_selectorILNS1_17partition_subalgoE4EjNS0_10empty_typeEbEEZZNS1_14partition_implILS8_4ELb0ES6_15HIP_vector_typeIjLj2EENS0_17counting_iteratorIjlEEPS9_SG_NS0_5tupleIJPjSI_NS0_16reverse_iteratorISI_EEEEENSH_IJSG_SG_SG_EEES9_SI_JZNS1_25segmented_radix_sort_implINS0_14default_configELb0EPK12hip_bfloat16PSP_PKlPlN2at6native12_GLOBAL__N_18offset_tEEE10hipError_tPvRmT1_PNSt15iterator_traitsIS13_E10value_typeET2_T3_PNS14_IS19_E10value_typeET4_jRbjT5_S1F_jjP12ihipStream_tbEUljE_ZNSN_ISO_Lb0ESR_SS_SU_SV_SZ_EES10_S11_S12_S13_S17_S18_S19_S1C_S1D_jS1E_jS1F_S1F_jjS1H_bEUljE0_EEES10_S11_S12_S19_S1D_S1F_T6_T7_T9_mT8_S1H_bDpT10_ENKUlT_T0_E_clISt17integral_constantIbLb1EES1V_EEDaS1Q_S1R_EUlS1Q_E_NS1_11comp_targetILNS1_3genE3ELNS1_11target_archE908ELNS1_3gpuE7ELNS1_3repE0EEENS1_30default_config_static_selectorELNS0_4arch9wavefront6targetE0EEEvS13_,"axG",@progbits,_ZN7rocprim17ROCPRIM_400000_NS6detail17trampoline_kernelINS0_13select_configILj256ELj13ELNS0_17block_load_methodE3ELS4_3ELS4_3ELNS0_20block_scan_algorithmE0ELj4294967295EEENS1_25partition_config_selectorILNS1_17partition_subalgoE4EjNS0_10empty_typeEbEEZZNS1_14partition_implILS8_4ELb0ES6_15HIP_vector_typeIjLj2EENS0_17counting_iteratorIjlEEPS9_SG_NS0_5tupleIJPjSI_NS0_16reverse_iteratorISI_EEEEENSH_IJSG_SG_SG_EEES9_SI_JZNS1_25segmented_radix_sort_implINS0_14default_configELb0EPK12hip_bfloat16PSP_PKlPlN2at6native12_GLOBAL__N_18offset_tEEE10hipError_tPvRmT1_PNSt15iterator_traitsIS13_E10value_typeET2_T3_PNS14_IS19_E10value_typeET4_jRbjT5_S1F_jjP12ihipStream_tbEUljE_ZNSN_ISO_Lb0ESR_SS_SU_SV_SZ_EES10_S11_S12_S13_S17_S18_S19_S1C_S1D_jS1E_jS1F_S1F_jjS1H_bEUljE0_EEES10_S11_S12_S19_S1D_S1F_T6_T7_T9_mT8_S1H_bDpT10_ENKUlT_T0_E_clISt17integral_constantIbLb1EES1V_EEDaS1Q_S1R_EUlS1Q_E_NS1_11comp_targetILNS1_3genE3ELNS1_11target_archE908ELNS1_3gpuE7ELNS1_3repE0EEENS1_30default_config_static_selectorELNS0_4arch9wavefront6targetE0EEEvS13_,comdat
.Lfunc_end1986:
	.size	_ZN7rocprim17ROCPRIM_400000_NS6detail17trampoline_kernelINS0_13select_configILj256ELj13ELNS0_17block_load_methodE3ELS4_3ELS4_3ELNS0_20block_scan_algorithmE0ELj4294967295EEENS1_25partition_config_selectorILNS1_17partition_subalgoE4EjNS0_10empty_typeEbEEZZNS1_14partition_implILS8_4ELb0ES6_15HIP_vector_typeIjLj2EENS0_17counting_iteratorIjlEEPS9_SG_NS0_5tupleIJPjSI_NS0_16reverse_iteratorISI_EEEEENSH_IJSG_SG_SG_EEES9_SI_JZNS1_25segmented_radix_sort_implINS0_14default_configELb0EPK12hip_bfloat16PSP_PKlPlN2at6native12_GLOBAL__N_18offset_tEEE10hipError_tPvRmT1_PNSt15iterator_traitsIS13_E10value_typeET2_T3_PNS14_IS19_E10value_typeET4_jRbjT5_S1F_jjP12ihipStream_tbEUljE_ZNSN_ISO_Lb0ESR_SS_SU_SV_SZ_EES10_S11_S12_S13_S17_S18_S19_S1C_S1D_jS1E_jS1F_S1F_jjS1H_bEUljE0_EEES10_S11_S12_S19_S1D_S1F_T6_T7_T9_mT8_S1H_bDpT10_ENKUlT_T0_E_clISt17integral_constantIbLb1EES1V_EEDaS1Q_S1R_EUlS1Q_E_NS1_11comp_targetILNS1_3genE3ELNS1_11target_archE908ELNS1_3gpuE7ELNS1_3repE0EEENS1_30default_config_static_selectorELNS0_4arch9wavefront6targetE0EEEvS13_, .Lfunc_end1986-_ZN7rocprim17ROCPRIM_400000_NS6detail17trampoline_kernelINS0_13select_configILj256ELj13ELNS0_17block_load_methodE3ELS4_3ELS4_3ELNS0_20block_scan_algorithmE0ELj4294967295EEENS1_25partition_config_selectorILNS1_17partition_subalgoE4EjNS0_10empty_typeEbEEZZNS1_14partition_implILS8_4ELb0ES6_15HIP_vector_typeIjLj2EENS0_17counting_iteratorIjlEEPS9_SG_NS0_5tupleIJPjSI_NS0_16reverse_iteratorISI_EEEEENSH_IJSG_SG_SG_EEES9_SI_JZNS1_25segmented_radix_sort_implINS0_14default_configELb0EPK12hip_bfloat16PSP_PKlPlN2at6native12_GLOBAL__N_18offset_tEEE10hipError_tPvRmT1_PNSt15iterator_traitsIS13_E10value_typeET2_T3_PNS14_IS19_E10value_typeET4_jRbjT5_S1F_jjP12ihipStream_tbEUljE_ZNSN_ISO_Lb0ESR_SS_SU_SV_SZ_EES10_S11_S12_S13_S17_S18_S19_S1C_S1D_jS1E_jS1F_S1F_jjS1H_bEUljE0_EEES10_S11_S12_S19_S1D_S1F_T6_T7_T9_mT8_S1H_bDpT10_ENKUlT_T0_E_clISt17integral_constantIbLb1EES1V_EEDaS1Q_S1R_EUlS1Q_E_NS1_11comp_targetILNS1_3genE3ELNS1_11target_archE908ELNS1_3gpuE7ELNS1_3repE0EEENS1_30default_config_static_selectorELNS0_4arch9wavefront6targetE0EEEvS13_
                                        ; -- End function
	.set _ZN7rocprim17ROCPRIM_400000_NS6detail17trampoline_kernelINS0_13select_configILj256ELj13ELNS0_17block_load_methodE3ELS4_3ELS4_3ELNS0_20block_scan_algorithmE0ELj4294967295EEENS1_25partition_config_selectorILNS1_17partition_subalgoE4EjNS0_10empty_typeEbEEZZNS1_14partition_implILS8_4ELb0ES6_15HIP_vector_typeIjLj2EENS0_17counting_iteratorIjlEEPS9_SG_NS0_5tupleIJPjSI_NS0_16reverse_iteratorISI_EEEEENSH_IJSG_SG_SG_EEES9_SI_JZNS1_25segmented_radix_sort_implINS0_14default_configELb0EPK12hip_bfloat16PSP_PKlPlN2at6native12_GLOBAL__N_18offset_tEEE10hipError_tPvRmT1_PNSt15iterator_traitsIS13_E10value_typeET2_T3_PNS14_IS19_E10value_typeET4_jRbjT5_S1F_jjP12ihipStream_tbEUljE_ZNSN_ISO_Lb0ESR_SS_SU_SV_SZ_EES10_S11_S12_S13_S17_S18_S19_S1C_S1D_jS1E_jS1F_S1F_jjS1H_bEUljE0_EEES10_S11_S12_S19_S1D_S1F_T6_T7_T9_mT8_S1H_bDpT10_ENKUlT_T0_E_clISt17integral_constantIbLb1EES1V_EEDaS1Q_S1R_EUlS1Q_E_NS1_11comp_targetILNS1_3genE3ELNS1_11target_archE908ELNS1_3gpuE7ELNS1_3repE0EEENS1_30default_config_static_selectorELNS0_4arch9wavefront6targetE0EEEvS13_.num_vgpr, 0
	.set _ZN7rocprim17ROCPRIM_400000_NS6detail17trampoline_kernelINS0_13select_configILj256ELj13ELNS0_17block_load_methodE3ELS4_3ELS4_3ELNS0_20block_scan_algorithmE0ELj4294967295EEENS1_25partition_config_selectorILNS1_17partition_subalgoE4EjNS0_10empty_typeEbEEZZNS1_14partition_implILS8_4ELb0ES6_15HIP_vector_typeIjLj2EENS0_17counting_iteratorIjlEEPS9_SG_NS0_5tupleIJPjSI_NS0_16reverse_iteratorISI_EEEEENSH_IJSG_SG_SG_EEES9_SI_JZNS1_25segmented_radix_sort_implINS0_14default_configELb0EPK12hip_bfloat16PSP_PKlPlN2at6native12_GLOBAL__N_18offset_tEEE10hipError_tPvRmT1_PNSt15iterator_traitsIS13_E10value_typeET2_T3_PNS14_IS19_E10value_typeET4_jRbjT5_S1F_jjP12ihipStream_tbEUljE_ZNSN_ISO_Lb0ESR_SS_SU_SV_SZ_EES10_S11_S12_S13_S17_S18_S19_S1C_S1D_jS1E_jS1F_S1F_jjS1H_bEUljE0_EEES10_S11_S12_S19_S1D_S1F_T6_T7_T9_mT8_S1H_bDpT10_ENKUlT_T0_E_clISt17integral_constantIbLb1EES1V_EEDaS1Q_S1R_EUlS1Q_E_NS1_11comp_targetILNS1_3genE3ELNS1_11target_archE908ELNS1_3gpuE7ELNS1_3repE0EEENS1_30default_config_static_selectorELNS0_4arch9wavefront6targetE0EEEvS13_.num_agpr, 0
	.set _ZN7rocprim17ROCPRIM_400000_NS6detail17trampoline_kernelINS0_13select_configILj256ELj13ELNS0_17block_load_methodE3ELS4_3ELS4_3ELNS0_20block_scan_algorithmE0ELj4294967295EEENS1_25partition_config_selectorILNS1_17partition_subalgoE4EjNS0_10empty_typeEbEEZZNS1_14partition_implILS8_4ELb0ES6_15HIP_vector_typeIjLj2EENS0_17counting_iteratorIjlEEPS9_SG_NS0_5tupleIJPjSI_NS0_16reverse_iteratorISI_EEEEENSH_IJSG_SG_SG_EEES9_SI_JZNS1_25segmented_radix_sort_implINS0_14default_configELb0EPK12hip_bfloat16PSP_PKlPlN2at6native12_GLOBAL__N_18offset_tEEE10hipError_tPvRmT1_PNSt15iterator_traitsIS13_E10value_typeET2_T3_PNS14_IS19_E10value_typeET4_jRbjT5_S1F_jjP12ihipStream_tbEUljE_ZNSN_ISO_Lb0ESR_SS_SU_SV_SZ_EES10_S11_S12_S13_S17_S18_S19_S1C_S1D_jS1E_jS1F_S1F_jjS1H_bEUljE0_EEES10_S11_S12_S19_S1D_S1F_T6_T7_T9_mT8_S1H_bDpT10_ENKUlT_T0_E_clISt17integral_constantIbLb1EES1V_EEDaS1Q_S1R_EUlS1Q_E_NS1_11comp_targetILNS1_3genE3ELNS1_11target_archE908ELNS1_3gpuE7ELNS1_3repE0EEENS1_30default_config_static_selectorELNS0_4arch9wavefront6targetE0EEEvS13_.numbered_sgpr, 0
	.set _ZN7rocprim17ROCPRIM_400000_NS6detail17trampoline_kernelINS0_13select_configILj256ELj13ELNS0_17block_load_methodE3ELS4_3ELS4_3ELNS0_20block_scan_algorithmE0ELj4294967295EEENS1_25partition_config_selectorILNS1_17partition_subalgoE4EjNS0_10empty_typeEbEEZZNS1_14partition_implILS8_4ELb0ES6_15HIP_vector_typeIjLj2EENS0_17counting_iteratorIjlEEPS9_SG_NS0_5tupleIJPjSI_NS0_16reverse_iteratorISI_EEEEENSH_IJSG_SG_SG_EEES9_SI_JZNS1_25segmented_radix_sort_implINS0_14default_configELb0EPK12hip_bfloat16PSP_PKlPlN2at6native12_GLOBAL__N_18offset_tEEE10hipError_tPvRmT1_PNSt15iterator_traitsIS13_E10value_typeET2_T3_PNS14_IS19_E10value_typeET4_jRbjT5_S1F_jjP12ihipStream_tbEUljE_ZNSN_ISO_Lb0ESR_SS_SU_SV_SZ_EES10_S11_S12_S13_S17_S18_S19_S1C_S1D_jS1E_jS1F_S1F_jjS1H_bEUljE0_EEES10_S11_S12_S19_S1D_S1F_T6_T7_T9_mT8_S1H_bDpT10_ENKUlT_T0_E_clISt17integral_constantIbLb1EES1V_EEDaS1Q_S1R_EUlS1Q_E_NS1_11comp_targetILNS1_3genE3ELNS1_11target_archE908ELNS1_3gpuE7ELNS1_3repE0EEENS1_30default_config_static_selectorELNS0_4arch9wavefront6targetE0EEEvS13_.num_named_barrier, 0
	.set _ZN7rocprim17ROCPRIM_400000_NS6detail17trampoline_kernelINS0_13select_configILj256ELj13ELNS0_17block_load_methodE3ELS4_3ELS4_3ELNS0_20block_scan_algorithmE0ELj4294967295EEENS1_25partition_config_selectorILNS1_17partition_subalgoE4EjNS0_10empty_typeEbEEZZNS1_14partition_implILS8_4ELb0ES6_15HIP_vector_typeIjLj2EENS0_17counting_iteratorIjlEEPS9_SG_NS0_5tupleIJPjSI_NS0_16reverse_iteratorISI_EEEEENSH_IJSG_SG_SG_EEES9_SI_JZNS1_25segmented_radix_sort_implINS0_14default_configELb0EPK12hip_bfloat16PSP_PKlPlN2at6native12_GLOBAL__N_18offset_tEEE10hipError_tPvRmT1_PNSt15iterator_traitsIS13_E10value_typeET2_T3_PNS14_IS19_E10value_typeET4_jRbjT5_S1F_jjP12ihipStream_tbEUljE_ZNSN_ISO_Lb0ESR_SS_SU_SV_SZ_EES10_S11_S12_S13_S17_S18_S19_S1C_S1D_jS1E_jS1F_S1F_jjS1H_bEUljE0_EEES10_S11_S12_S19_S1D_S1F_T6_T7_T9_mT8_S1H_bDpT10_ENKUlT_T0_E_clISt17integral_constantIbLb1EES1V_EEDaS1Q_S1R_EUlS1Q_E_NS1_11comp_targetILNS1_3genE3ELNS1_11target_archE908ELNS1_3gpuE7ELNS1_3repE0EEENS1_30default_config_static_selectorELNS0_4arch9wavefront6targetE0EEEvS13_.private_seg_size, 0
	.set _ZN7rocprim17ROCPRIM_400000_NS6detail17trampoline_kernelINS0_13select_configILj256ELj13ELNS0_17block_load_methodE3ELS4_3ELS4_3ELNS0_20block_scan_algorithmE0ELj4294967295EEENS1_25partition_config_selectorILNS1_17partition_subalgoE4EjNS0_10empty_typeEbEEZZNS1_14partition_implILS8_4ELb0ES6_15HIP_vector_typeIjLj2EENS0_17counting_iteratorIjlEEPS9_SG_NS0_5tupleIJPjSI_NS0_16reverse_iteratorISI_EEEEENSH_IJSG_SG_SG_EEES9_SI_JZNS1_25segmented_radix_sort_implINS0_14default_configELb0EPK12hip_bfloat16PSP_PKlPlN2at6native12_GLOBAL__N_18offset_tEEE10hipError_tPvRmT1_PNSt15iterator_traitsIS13_E10value_typeET2_T3_PNS14_IS19_E10value_typeET4_jRbjT5_S1F_jjP12ihipStream_tbEUljE_ZNSN_ISO_Lb0ESR_SS_SU_SV_SZ_EES10_S11_S12_S13_S17_S18_S19_S1C_S1D_jS1E_jS1F_S1F_jjS1H_bEUljE0_EEES10_S11_S12_S19_S1D_S1F_T6_T7_T9_mT8_S1H_bDpT10_ENKUlT_T0_E_clISt17integral_constantIbLb1EES1V_EEDaS1Q_S1R_EUlS1Q_E_NS1_11comp_targetILNS1_3genE3ELNS1_11target_archE908ELNS1_3gpuE7ELNS1_3repE0EEENS1_30default_config_static_selectorELNS0_4arch9wavefront6targetE0EEEvS13_.uses_vcc, 0
	.set _ZN7rocprim17ROCPRIM_400000_NS6detail17trampoline_kernelINS0_13select_configILj256ELj13ELNS0_17block_load_methodE3ELS4_3ELS4_3ELNS0_20block_scan_algorithmE0ELj4294967295EEENS1_25partition_config_selectorILNS1_17partition_subalgoE4EjNS0_10empty_typeEbEEZZNS1_14partition_implILS8_4ELb0ES6_15HIP_vector_typeIjLj2EENS0_17counting_iteratorIjlEEPS9_SG_NS0_5tupleIJPjSI_NS0_16reverse_iteratorISI_EEEEENSH_IJSG_SG_SG_EEES9_SI_JZNS1_25segmented_radix_sort_implINS0_14default_configELb0EPK12hip_bfloat16PSP_PKlPlN2at6native12_GLOBAL__N_18offset_tEEE10hipError_tPvRmT1_PNSt15iterator_traitsIS13_E10value_typeET2_T3_PNS14_IS19_E10value_typeET4_jRbjT5_S1F_jjP12ihipStream_tbEUljE_ZNSN_ISO_Lb0ESR_SS_SU_SV_SZ_EES10_S11_S12_S13_S17_S18_S19_S1C_S1D_jS1E_jS1F_S1F_jjS1H_bEUljE0_EEES10_S11_S12_S19_S1D_S1F_T6_T7_T9_mT8_S1H_bDpT10_ENKUlT_T0_E_clISt17integral_constantIbLb1EES1V_EEDaS1Q_S1R_EUlS1Q_E_NS1_11comp_targetILNS1_3genE3ELNS1_11target_archE908ELNS1_3gpuE7ELNS1_3repE0EEENS1_30default_config_static_selectorELNS0_4arch9wavefront6targetE0EEEvS13_.uses_flat_scratch, 0
	.set _ZN7rocprim17ROCPRIM_400000_NS6detail17trampoline_kernelINS0_13select_configILj256ELj13ELNS0_17block_load_methodE3ELS4_3ELS4_3ELNS0_20block_scan_algorithmE0ELj4294967295EEENS1_25partition_config_selectorILNS1_17partition_subalgoE4EjNS0_10empty_typeEbEEZZNS1_14partition_implILS8_4ELb0ES6_15HIP_vector_typeIjLj2EENS0_17counting_iteratorIjlEEPS9_SG_NS0_5tupleIJPjSI_NS0_16reverse_iteratorISI_EEEEENSH_IJSG_SG_SG_EEES9_SI_JZNS1_25segmented_radix_sort_implINS0_14default_configELb0EPK12hip_bfloat16PSP_PKlPlN2at6native12_GLOBAL__N_18offset_tEEE10hipError_tPvRmT1_PNSt15iterator_traitsIS13_E10value_typeET2_T3_PNS14_IS19_E10value_typeET4_jRbjT5_S1F_jjP12ihipStream_tbEUljE_ZNSN_ISO_Lb0ESR_SS_SU_SV_SZ_EES10_S11_S12_S13_S17_S18_S19_S1C_S1D_jS1E_jS1F_S1F_jjS1H_bEUljE0_EEES10_S11_S12_S19_S1D_S1F_T6_T7_T9_mT8_S1H_bDpT10_ENKUlT_T0_E_clISt17integral_constantIbLb1EES1V_EEDaS1Q_S1R_EUlS1Q_E_NS1_11comp_targetILNS1_3genE3ELNS1_11target_archE908ELNS1_3gpuE7ELNS1_3repE0EEENS1_30default_config_static_selectorELNS0_4arch9wavefront6targetE0EEEvS13_.has_dyn_sized_stack, 0
	.set _ZN7rocprim17ROCPRIM_400000_NS6detail17trampoline_kernelINS0_13select_configILj256ELj13ELNS0_17block_load_methodE3ELS4_3ELS4_3ELNS0_20block_scan_algorithmE0ELj4294967295EEENS1_25partition_config_selectorILNS1_17partition_subalgoE4EjNS0_10empty_typeEbEEZZNS1_14partition_implILS8_4ELb0ES6_15HIP_vector_typeIjLj2EENS0_17counting_iteratorIjlEEPS9_SG_NS0_5tupleIJPjSI_NS0_16reverse_iteratorISI_EEEEENSH_IJSG_SG_SG_EEES9_SI_JZNS1_25segmented_radix_sort_implINS0_14default_configELb0EPK12hip_bfloat16PSP_PKlPlN2at6native12_GLOBAL__N_18offset_tEEE10hipError_tPvRmT1_PNSt15iterator_traitsIS13_E10value_typeET2_T3_PNS14_IS19_E10value_typeET4_jRbjT5_S1F_jjP12ihipStream_tbEUljE_ZNSN_ISO_Lb0ESR_SS_SU_SV_SZ_EES10_S11_S12_S13_S17_S18_S19_S1C_S1D_jS1E_jS1F_S1F_jjS1H_bEUljE0_EEES10_S11_S12_S19_S1D_S1F_T6_T7_T9_mT8_S1H_bDpT10_ENKUlT_T0_E_clISt17integral_constantIbLb1EES1V_EEDaS1Q_S1R_EUlS1Q_E_NS1_11comp_targetILNS1_3genE3ELNS1_11target_archE908ELNS1_3gpuE7ELNS1_3repE0EEENS1_30default_config_static_selectorELNS0_4arch9wavefront6targetE0EEEvS13_.has_recursion, 0
	.set _ZN7rocprim17ROCPRIM_400000_NS6detail17trampoline_kernelINS0_13select_configILj256ELj13ELNS0_17block_load_methodE3ELS4_3ELS4_3ELNS0_20block_scan_algorithmE0ELj4294967295EEENS1_25partition_config_selectorILNS1_17partition_subalgoE4EjNS0_10empty_typeEbEEZZNS1_14partition_implILS8_4ELb0ES6_15HIP_vector_typeIjLj2EENS0_17counting_iteratorIjlEEPS9_SG_NS0_5tupleIJPjSI_NS0_16reverse_iteratorISI_EEEEENSH_IJSG_SG_SG_EEES9_SI_JZNS1_25segmented_radix_sort_implINS0_14default_configELb0EPK12hip_bfloat16PSP_PKlPlN2at6native12_GLOBAL__N_18offset_tEEE10hipError_tPvRmT1_PNSt15iterator_traitsIS13_E10value_typeET2_T3_PNS14_IS19_E10value_typeET4_jRbjT5_S1F_jjP12ihipStream_tbEUljE_ZNSN_ISO_Lb0ESR_SS_SU_SV_SZ_EES10_S11_S12_S13_S17_S18_S19_S1C_S1D_jS1E_jS1F_S1F_jjS1H_bEUljE0_EEES10_S11_S12_S19_S1D_S1F_T6_T7_T9_mT8_S1H_bDpT10_ENKUlT_T0_E_clISt17integral_constantIbLb1EES1V_EEDaS1Q_S1R_EUlS1Q_E_NS1_11comp_targetILNS1_3genE3ELNS1_11target_archE908ELNS1_3gpuE7ELNS1_3repE0EEENS1_30default_config_static_selectorELNS0_4arch9wavefront6targetE0EEEvS13_.has_indirect_call, 0
	.section	.AMDGPU.csdata,"",@progbits
; Kernel info:
; codeLenInByte = 0
; TotalNumSgprs: 0
; NumVgprs: 0
; ScratchSize: 0
; MemoryBound: 0
; FloatMode: 240
; IeeeMode: 1
; LDSByteSize: 0 bytes/workgroup (compile time only)
; SGPRBlocks: 0
; VGPRBlocks: 0
; NumSGPRsForWavesPerEU: 1
; NumVGPRsForWavesPerEU: 1
; Occupancy: 16
; WaveLimiterHint : 0
; COMPUTE_PGM_RSRC2:SCRATCH_EN: 0
; COMPUTE_PGM_RSRC2:USER_SGPR: 6
; COMPUTE_PGM_RSRC2:TRAP_HANDLER: 0
; COMPUTE_PGM_RSRC2:TGID_X_EN: 1
; COMPUTE_PGM_RSRC2:TGID_Y_EN: 0
; COMPUTE_PGM_RSRC2:TGID_Z_EN: 0
; COMPUTE_PGM_RSRC2:TIDIG_COMP_CNT: 0
	.section	.text._ZN7rocprim17ROCPRIM_400000_NS6detail17trampoline_kernelINS0_13select_configILj256ELj13ELNS0_17block_load_methodE3ELS4_3ELS4_3ELNS0_20block_scan_algorithmE0ELj4294967295EEENS1_25partition_config_selectorILNS1_17partition_subalgoE4EjNS0_10empty_typeEbEEZZNS1_14partition_implILS8_4ELb0ES6_15HIP_vector_typeIjLj2EENS0_17counting_iteratorIjlEEPS9_SG_NS0_5tupleIJPjSI_NS0_16reverse_iteratorISI_EEEEENSH_IJSG_SG_SG_EEES9_SI_JZNS1_25segmented_radix_sort_implINS0_14default_configELb0EPK12hip_bfloat16PSP_PKlPlN2at6native12_GLOBAL__N_18offset_tEEE10hipError_tPvRmT1_PNSt15iterator_traitsIS13_E10value_typeET2_T3_PNS14_IS19_E10value_typeET4_jRbjT5_S1F_jjP12ihipStream_tbEUljE_ZNSN_ISO_Lb0ESR_SS_SU_SV_SZ_EES10_S11_S12_S13_S17_S18_S19_S1C_S1D_jS1E_jS1F_S1F_jjS1H_bEUljE0_EEES10_S11_S12_S19_S1D_S1F_T6_T7_T9_mT8_S1H_bDpT10_ENKUlT_T0_E_clISt17integral_constantIbLb1EES1V_EEDaS1Q_S1R_EUlS1Q_E_NS1_11comp_targetILNS1_3genE2ELNS1_11target_archE906ELNS1_3gpuE6ELNS1_3repE0EEENS1_30default_config_static_selectorELNS0_4arch9wavefront6targetE0EEEvS13_,"axG",@progbits,_ZN7rocprim17ROCPRIM_400000_NS6detail17trampoline_kernelINS0_13select_configILj256ELj13ELNS0_17block_load_methodE3ELS4_3ELS4_3ELNS0_20block_scan_algorithmE0ELj4294967295EEENS1_25partition_config_selectorILNS1_17partition_subalgoE4EjNS0_10empty_typeEbEEZZNS1_14partition_implILS8_4ELb0ES6_15HIP_vector_typeIjLj2EENS0_17counting_iteratorIjlEEPS9_SG_NS0_5tupleIJPjSI_NS0_16reverse_iteratorISI_EEEEENSH_IJSG_SG_SG_EEES9_SI_JZNS1_25segmented_radix_sort_implINS0_14default_configELb0EPK12hip_bfloat16PSP_PKlPlN2at6native12_GLOBAL__N_18offset_tEEE10hipError_tPvRmT1_PNSt15iterator_traitsIS13_E10value_typeET2_T3_PNS14_IS19_E10value_typeET4_jRbjT5_S1F_jjP12ihipStream_tbEUljE_ZNSN_ISO_Lb0ESR_SS_SU_SV_SZ_EES10_S11_S12_S13_S17_S18_S19_S1C_S1D_jS1E_jS1F_S1F_jjS1H_bEUljE0_EEES10_S11_S12_S19_S1D_S1F_T6_T7_T9_mT8_S1H_bDpT10_ENKUlT_T0_E_clISt17integral_constantIbLb1EES1V_EEDaS1Q_S1R_EUlS1Q_E_NS1_11comp_targetILNS1_3genE2ELNS1_11target_archE906ELNS1_3gpuE6ELNS1_3repE0EEENS1_30default_config_static_selectorELNS0_4arch9wavefront6targetE0EEEvS13_,comdat
	.globl	_ZN7rocprim17ROCPRIM_400000_NS6detail17trampoline_kernelINS0_13select_configILj256ELj13ELNS0_17block_load_methodE3ELS4_3ELS4_3ELNS0_20block_scan_algorithmE0ELj4294967295EEENS1_25partition_config_selectorILNS1_17partition_subalgoE4EjNS0_10empty_typeEbEEZZNS1_14partition_implILS8_4ELb0ES6_15HIP_vector_typeIjLj2EENS0_17counting_iteratorIjlEEPS9_SG_NS0_5tupleIJPjSI_NS0_16reverse_iteratorISI_EEEEENSH_IJSG_SG_SG_EEES9_SI_JZNS1_25segmented_radix_sort_implINS0_14default_configELb0EPK12hip_bfloat16PSP_PKlPlN2at6native12_GLOBAL__N_18offset_tEEE10hipError_tPvRmT1_PNSt15iterator_traitsIS13_E10value_typeET2_T3_PNS14_IS19_E10value_typeET4_jRbjT5_S1F_jjP12ihipStream_tbEUljE_ZNSN_ISO_Lb0ESR_SS_SU_SV_SZ_EES10_S11_S12_S13_S17_S18_S19_S1C_S1D_jS1E_jS1F_S1F_jjS1H_bEUljE0_EEES10_S11_S12_S19_S1D_S1F_T6_T7_T9_mT8_S1H_bDpT10_ENKUlT_T0_E_clISt17integral_constantIbLb1EES1V_EEDaS1Q_S1R_EUlS1Q_E_NS1_11comp_targetILNS1_3genE2ELNS1_11target_archE906ELNS1_3gpuE6ELNS1_3repE0EEENS1_30default_config_static_selectorELNS0_4arch9wavefront6targetE0EEEvS13_ ; -- Begin function _ZN7rocprim17ROCPRIM_400000_NS6detail17trampoline_kernelINS0_13select_configILj256ELj13ELNS0_17block_load_methodE3ELS4_3ELS4_3ELNS0_20block_scan_algorithmE0ELj4294967295EEENS1_25partition_config_selectorILNS1_17partition_subalgoE4EjNS0_10empty_typeEbEEZZNS1_14partition_implILS8_4ELb0ES6_15HIP_vector_typeIjLj2EENS0_17counting_iteratorIjlEEPS9_SG_NS0_5tupleIJPjSI_NS0_16reverse_iteratorISI_EEEEENSH_IJSG_SG_SG_EEES9_SI_JZNS1_25segmented_radix_sort_implINS0_14default_configELb0EPK12hip_bfloat16PSP_PKlPlN2at6native12_GLOBAL__N_18offset_tEEE10hipError_tPvRmT1_PNSt15iterator_traitsIS13_E10value_typeET2_T3_PNS14_IS19_E10value_typeET4_jRbjT5_S1F_jjP12ihipStream_tbEUljE_ZNSN_ISO_Lb0ESR_SS_SU_SV_SZ_EES10_S11_S12_S13_S17_S18_S19_S1C_S1D_jS1E_jS1F_S1F_jjS1H_bEUljE0_EEES10_S11_S12_S19_S1D_S1F_T6_T7_T9_mT8_S1H_bDpT10_ENKUlT_T0_E_clISt17integral_constantIbLb1EES1V_EEDaS1Q_S1R_EUlS1Q_E_NS1_11comp_targetILNS1_3genE2ELNS1_11target_archE906ELNS1_3gpuE6ELNS1_3repE0EEENS1_30default_config_static_selectorELNS0_4arch9wavefront6targetE0EEEvS13_
	.p2align	8
	.type	_ZN7rocprim17ROCPRIM_400000_NS6detail17trampoline_kernelINS0_13select_configILj256ELj13ELNS0_17block_load_methodE3ELS4_3ELS4_3ELNS0_20block_scan_algorithmE0ELj4294967295EEENS1_25partition_config_selectorILNS1_17partition_subalgoE4EjNS0_10empty_typeEbEEZZNS1_14partition_implILS8_4ELb0ES6_15HIP_vector_typeIjLj2EENS0_17counting_iteratorIjlEEPS9_SG_NS0_5tupleIJPjSI_NS0_16reverse_iteratorISI_EEEEENSH_IJSG_SG_SG_EEES9_SI_JZNS1_25segmented_radix_sort_implINS0_14default_configELb0EPK12hip_bfloat16PSP_PKlPlN2at6native12_GLOBAL__N_18offset_tEEE10hipError_tPvRmT1_PNSt15iterator_traitsIS13_E10value_typeET2_T3_PNS14_IS19_E10value_typeET4_jRbjT5_S1F_jjP12ihipStream_tbEUljE_ZNSN_ISO_Lb0ESR_SS_SU_SV_SZ_EES10_S11_S12_S13_S17_S18_S19_S1C_S1D_jS1E_jS1F_S1F_jjS1H_bEUljE0_EEES10_S11_S12_S19_S1D_S1F_T6_T7_T9_mT8_S1H_bDpT10_ENKUlT_T0_E_clISt17integral_constantIbLb1EES1V_EEDaS1Q_S1R_EUlS1Q_E_NS1_11comp_targetILNS1_3genE2ELNS1_11target_archE906ELNS1_3gpuE6ELNS1_3repE0EEENS1_30default_config_static_selectorELNS0_4arch9wavefront6targetE0EEEvS13_,@function
_ZN7rocprim17ROCPRIM_400000_NS6detail17trampoline_kernelINS0_13select_configILj256ELj13ELNS0_17block_load_methodE3ELS4_3ELS4_3ELNS0_20block_scan_algorithmE0ELj4294967295EEENS1_25partition_config_selectorILNS1_17partition_subalgoE4EjNS0_10empty_typeEbEEZZNS1_14partition_implILS8_4ELb0ES6_15HIP_vector_typeIjLj2EENS0_17counting_iteratorIjlEEPS9_SG_NS0_5tupleIJPjSI_NS0_16reverse_iteratorISI_EEEEENSH_IJSG_SG_SG_EEES9_SI_JZNS1_25segmented_radix_sort_implINS0_14default_configELb0EPK12hip_bfloat16PSP_PKlPlN2at6native12_GLOBAL__N_18offset_tEEE10hipError_tPvRmT1_PNSt15iterator_traitsIS13_E10value_typeET2_T3_PNS14_IS19_E10value_typeET4_jRbjT5_S1F_jjP12ihipStream_tbEUljE_ZNSN_ISO_Lb0ESR_SS_SU_SV_SZ_EES10_S11_S12_S13_S17_S18_S19_S1C_S1D_jS1E_jS1F_S1F_jjS1H_bEUljE0_EEES10_S11_S12_S19_S1D_S1F_T6_T7_T9_mT8_S1H_bDpT10_ENKUlT_T0_E_clISt17integral_constantIbLb1EES1V_EEDaS1Q_S1R_EUlS1Q_E_NS1_11comp_targetILNS1_3genE2ELNS1_11target_archE906ELNS1_3gpuE6ELNS1_3repE0EEENS1_30default_config_static_selectorELNS0_4arch9wavefront6targetE0EEEvS13_: ; @_ZN7rocprim17ROCPRIM_400000_NS6detail17trampoline_kernelINS0_13select_configILj256ELj13ELNS0_17block_load_methodE3ELS4_3ELS4_3ELNS0_20block_scan_algorithmE0ELj4294967295EEENS1_25partition_config_selectorILNS1_17partition_subalgoE4EjNS0_10empty_typeEbEEZZNS1_14partition_implILS8_4ELb0ES6_15HIP_vector_typeIjLj2EENS0_17counting_iteratorIjlEEPS9_SG_NS0_5tupleIJPjSI_NS0_16reverse_iteratorISI_EEEEENSH_IJSG_SG_SG_EEES9_SI_JZNS1_25segmented_radix_sort_implINS0_14default_configELb0EPK12hip_bfloat16PSP_PKlPlN2at6native12_GLOBAL__N_18offset_tEEE10hipError_tPvRmT1_PNSt15iterator_traitsIS13_E10value_typeET2_T3_PNS14_IS19_E10value_typeET4_jRbjT5_S1F_jjP12ihipStream_tbEUljE_ZNSN_ISO_Lb0ESR_SS_SU_SV_SZ_EES10_S11_S12_S13_S17_S18_S19_S1C_S1D_jS1E_jS1F_S1F_jjS1H_bEUljE0_EEES10_S11_S12_S19_S1D_S1F_T6_T7_T9_mT8_S1H_bDpT10_ENKUlT_T0_E_clISt17integral_constantIbLb1EES1V_EEDaS1Q_S1R_EUlS1Q_E_NS1_11comp_targetILNS1_3genE2ELNS1_11target_archE906ELNS1_3gpuE6ELNS1_3repE0EEENS1_30default_config_static_selectorELNS0_4arch9wavefront6targetE0EEEvS13_
; %bb.0:
	.section	.rodata,"a",@progbits
	.p2align	6, 0x0
	.amdhsa_kernel _ZN7rocprim17ROCPRIM_400000_NS6detail17trampoline_kernelINS0_13select_configILj256ELj13ELNS0_17block_load_methodE3ELS4_3ELS4_3ELNS0_20block_scan_algorithmE0ELj4294967295EEENS1_25partition_config_selectorILNS1_17partition_subalgoE4EjNS0_10empty_typeEbEEZZNS1_14partition_implILS8_4ELb0ES6_15HIP_vector_typeIjLj2EENS0_17counting_iteratorIjlEEPS9_SG_NS0_5tupleIJPjSI_NS0_16reverse_iteratorISI_EEEEENSH_IJSG_SG_SG_EEES9_SI_JZNS1_25segmented_radix_sort_implINS0_14default_configELb0EPK12hip_bfloat16PSP_PKlPlN2at6native12_GLOBAL__N_18offset_tEEE10hipError_tPvRmT1_PNSt15iterator_traitsIS13_E10value_typeET2_T3_PNS14_IS19_E10value_typeET4_jRbjT5_S1F_jjP12ihipStream_tbEUljE_ZNSN_ISO_Lb0ESR_SS_SU_SV_SZ_EES10_S11_S12_S13_S17_S18_S19_S1C_S1D_jS1E_jS1F_S1F_jjS1H_bEUljE0_EEES10_S11_S12_S19_S1D_S1F_T6_T7_T9_mT8_S1H_bDpT10_ENKUlT_T0_E_clISt17integral_constantIbLb1EES1V_EEDaS1Q_S1R_EUlS1Q_E_NS1_11comp_targetILNS1_3genE2ELNS1_11target_archE906ELNS1_3gpuE6ELNS1_3repE0EEENS1_30default_config_static_selectorELNS0_4arch9wavefront6targetE0EEEvS13_
		.amdhsa_group_segment_fixed_size 0
		.amdhsa_private_segment_fixed_size 0
		.amdhsa_kernarg_size 184
		.amdhsa_user_sgpr_count 6
		.amdhsa_user_sgpr_private_segment_buffer 1
		.amdhsa_user_sgpr_dispatch_ptr 0
		.amdhsa_user_sgpr_queue_ptr 0
		.amdhsa_user_sgpr_kernarg_segment_ptr 1
		.amdhsa_user_sgpr_dispatch_id 0
		.amdhsa_user_sgpr_flat_scratch_init 0
		.amdhsa_user_sgpr_private_segment_size 0
		.amdhsa_wavefront_size32 1
		.amdhsa_uses_dynamic_stack 0
		.amdhsa_system_sgpr_private_segment_wavefront_offset 0
		.amdhsa_system_sgpr_workgroup_id_x 1
		.amdhsa_system_sgpr_workgroup_id_y 0
		.amdhsa_system_sgpr_workgroup_id_z 0
		.amdhsa_system_sgpr_workgroup_info 0
		.amdhsa_system_vgpr_workitem_id 0
		.amdhsa_next_free_vgpr 1
		.amdhsa_next_free_sgpr 1
		.amdhsa_reserve_vcc 0
		.amdhsa_reserve_flat_scratch 0
		.amdhsa_float_round_mode_32 0
		.amdhsa_float_round_mode_16_64 0
		.amdhsa_float_denorm_mode_32 3
		.amdhsa_float_denorm_mode_16_64 3
		.amdhsa_dx10_clamp 1
		.amdhsa_ieee_mode 1
		.amdhsa_fp16_overflow 0
		.amdhsa_workgroup_processor_mode 1
		.amdhsa_memory_ordered 1
		.amdhsa_forward_progress 1
		.amdhsa_shared_vgpr_count 0
		.amdhsa_exception_fp_ieee_invalid_op 0
		.amdhsa_exception_fp_denorm_src 0
		.amdhsa_exception_fp_ieee_div_zero 0
		.amdhsa_exception_fp_ieee_overflow 0
		.amdhsa_exception_fp_ieee_underflow 0
		.amdhsa_exception_fp_ieee_inexact 0
		.amdhsa_exception_int_div_zero 0
	.end_amdhsa_kernel
	.section	.text._ZN7rocprim17ROCPRIM_400000_NS6detail17trampoline_kernelINS0_13select_configILj256ELj13ELNS0_17block_load_methodE3ELS4_3ELS4_3ELNS0_20block_scan_algorithmE0ELj4294967295EEENS1_25partition_config_selectorILNS1_17partition_subalgoE4EjNS0_10empty_typeEbEEZZNS1_14partition_implILS8_4ELb0ES6_15HIP_vector_typeIjLj2EENS0_17counting_iteratorIjlEEPS9_SG_NS0_5tupleIJPjSI_NS0_16reverse_iteratorISI_EEEEENSH_IJSG_SG_SG_EEES9_SI_JZNS1_25segmented_radix_sort_implINS0_14default_configELb0EPK12hip_bfloat16PSP_PKlPlN2at6native12_GLOBAL__N_18offset_tEEE10hipError_tPvRmT1_PNSt15iterator_traitsIS13_E10value_typeET2_T3_PNS14_IS19_E10value_typeET4_jRbjT5_S1F_jjP12ihipStream_tbEUljE_ZNSN_ISO_Lb0ESR_SS_SU_SV_SZ_EES10_S11_S12_S13_S17_S18_S19_S1C_S1D_jS1E_jS1F_S1F_jjS1H_bEUljE0_EEES10_S11_S12_S19_S1D_S1F_T6_T7_T9_mT8_S1H_bDpT10_ENKUlT_T0_E_clISt17integral_constantIbLb1EES1V_EEDaS1Q_S1R_EUlS1Q_E_NS1_11comp_targetILNS1_3genE2ELNS1_11target_archE906ELNS1_3gpuE6ELNS1_3repE0EEENS1_30default_config_static_selectorELNS0_4arch9wavefront6targetE0EEEvS13_,"axG",@progbits,_ZN7rocprim17ROCPRIM_400000_NS6detail17trampoline_kernelINS0_13select_configILj256ELj13ELNS0_17block_load_methodE3ELS4_3ELS4_3ELNS0_20block_scan_algorithmE0ELj4294967295EEENS1_25partition_config_selectorILNS1_17partition_subalgoE4EjNS0_10empty_typeEbEEZZNS1_14partition_implILS8_4ELb0ES6_15HIP_vector_typeIjLj2EENS0_17counting_iteratorIjlEEPS9_SG_NS0_5tupleIJPjSI_NS0_16reverse_iteratorISI_EEEEENSH_IJSG_SG_SG_EEES9_SI_JZNS1_25segmented_radix_sort_implINS0_14default_configELb0EPK12hip_bfloat16PSP_PKlPlN2at6native12_GLOBAL__N_18offset_tEEE10hipError_tPvRmT1_PNSt15iterator_traitsIS13_E10value_typeET2_T3_PNS14_IS19_E10value_typeET4_jRbjT5_S1F_jjP12ihipStream_tbEUljE_ZNSN_ISO_Lb0ESR_SS_SU_SV_SZ_EES10_S11_S12_S13_S17_S18_S19_S1C_S1D_jS1E_jS1F_S1F_jjS1H_bEUljE0_EEES10_S11_S12_S19_S1D_S1F_T6_T7_T9_mT8_S1H_bDpT10_ENKUlT_T0_E_clISt17integral_constantIbLb1EES1V_EEDaS1Q_S1R_EUlS1Q_E_NS1_11comp_targetILNS1_3genE2ELNS1_11target_archE906ELNS1_3gpuE6ELNS1_3repE0EEENS1_30default_config_static_selectorELNS0_4arch9wavefront6targetE0EEEvS13_,comdat
.Lfunc_end1987:
	.size	_ZN7rocprim17ROCPRIM_400000_NS6detail17trampoline_kernelINS0_13select_configILj256ELj13ELNS0_17block_load_methodE3ELS4_3ELS4_3ELNS0_20block_scan_algorithmE0ELj4294967295EEENS1_25partition_config_selectorILNS1_17partition_subalgoE4EjNS0_10empty_typeEbEEZZNS1_14partition_implILS8_4ELb0ES6_15HIP_vector_typeIjLj2EENS0_17counting_iteratorIjlEEPS9_SG_NS0_5tupleIJPjSI_NS0_16reverse_iteratorISI_EEEEENSH_IJSG_SG_SG_EEES9_SI_JZNS1_25segmented_radix_sort_implINS0_14default_configELb0EPK12hip_bfloat16PSP_PKlPlN2at6native12_GLOBAL__N_18offset_tEEE10hipError_tPvRmT1_PNSt15iterator_traitsIS13_E10value_typeET2_T3_PNS14_IS19_E10value_typeET4_jRbjT5_S1F_jjP12ihipStream_tbEUljE_ZNSN_ISO_Lb0ESR_SS_SU_SV_SZ_EES10_S11_S12_S13_S17_S18_S19_S1C_S1D_jS1E_jS1F_S1F_jjS1H_bEUljE0_EEES10_S11_S12_S19_S1D_S1F_T6_T7_T9_mT8_S1H_bDpT10_ENKUlT_T0_E_clISt17integral_constantIbLb1EES1V_EEDaS1Q_S1R_EUlS1Q_E_NS1_11comp_targetILNS1_3genE2ELNS1_11target_archE906ELNS1_3gpuE6ELNS1_3repE0EEENS1_30default_config_static_selectorELNS0_4arch9wavefront6targetE0EEEvS13_, .Lfunc_end1987-_ZN7rocprim17ROCPRIM_400000_NS6detail17trampoline_kernelINS0_13select_configILj256ELj13ELNS0_17block_load_methodE3ELS4_3ELS4_3ELNS0_20block_scan_algorithmE0ELj4294967295EEENS1_25partition_config_selectorILNS1_17partition_subalgoE4EjNS0_10empty_typeEbEEZZNS1_14partition_implILS8_4ELb0ES6_15HIP_vector_typeIjLj2EENS0_17counting_iteratorIjlEEPS9_SG_NS0_5tupleIJPjSI_NS0_16reverse_iteratorISI_EEEEENSH_IJSG_SG_SG_EEES9_SI_JZNS1_25segmented_radix_sort_implINS0_14default_configELb0EPK12hip_bfloat16PSP_PKlPlN2at6native12_GLOBAL__N_18offset_tEEE10hipError_tPvRmT1_PNSt15iterator_traitsIS13_E10value_typeET2_T3_PNS14_IS19_E10value_typeET4_jRbjT5_S1F_jjP12ihipStream_tbEUljE_ZNSN_ISO_Lb0ESR_SS_SU_SV_SZ_EES10_S11_S12_S13_S17_S18_S19_S1C_S1D_jS1E_jS1F_S1F_jjS1H_bEUljE0_EEES10_S11_S12_S19_S1D_S1F_T6_T7_T9_mT8_S1H_bDpT10_ENKUlT_T0_E_clISt17integral_constantIbLb1EES1V_EEDaS1Q_S1R_EUlS1Q_E_NS1_11comp_targetILNS1_3genE2ELNS1_11target_archE906ELNS1_3gpuE6ELNS1_3repE0EEENS1_30default_config_static_selectorELNS0_4arch9wavefront6targetE0EEEvS13_
                                        ; -- End function
	.set _ZN7rocprim17ROCPRIM_400000_NS6detail17trampoline_kernelINS0_13select_configILj256ELj13ELNS0_17block_load_methodE3ELS4_3ELS4_3ELNS0_20block_scan_algorithmE0ELj4294967295EEENS1_25partition_config_selectorILNS1_17partition_subalgoE4EjNS0_10empty_typeEbEEZZNS1_14partition_implILS8_4ELb0ES6_15HIP_vector_typeIjLj2EENS0_17counting_iteratorIjlEEPS9_SG_NS0_5tupleIJPjSI_NS0_16reverse_iteratorISI_EEEEENSH_IJSG_SG_SG_EEES9_SI_JZNS1_25segmented_radix_sort_implINS0_14default_configELb0EPK12hip_bfloat16PSP_PKlPlN2at6native12_GLOBAL__N_18offset_tEEE10hipError_tPvRmT1_PNSt15iterator_traitsIS13_E10value_typeET2_T3_PNS14_IS19_E10value_typeET4_jRbjT5_S1F_jjP12ihipStream_tbEUljE_ZNSN_ISO_Lb0ESR_SS_SU_SV_SZ_EES10_S11_S12_S13_S17_S18_S19_S1C_S1D_jS1E_jS1F_S1F_jjS1H_bEUljE0_EEES10_S11_S12_S19_S1D_S1F_T6_T7_T9_mT8_S1H_bDpT10_ENKUlT_T0_E_clISt17integral_constantIbLb1EES1V_EEDaS1Q_S1R_EUlS1Q_E_NS1_11comp_targetILNS1_3genE2ELNS1_11target_archE906ELNS1_3gpuE6ELNS1_3repE0EEENS1_30default_config_static_selectorELNS0_4arch9wavefront6targetE0EEEvS13_.num_vgpr, 0
	.set _ZN7rocprim17ROCPRIM_400000_NS6detail17trampoline_kernelINS0_13select_configILj256ELj13ELNS0_17block_load_methodE3ELS4_3ELS4_3ELNS0_20block_scan_algorithmE0ELj4294967295EEENS1_25partition_config_selectorILNS1_17partition_subalgoE4EjNS0_10empty_typeEbEEZZNS1_14partition_implILS8_4ELb0ES6_15HIP_vector_typeIjLj2EENS0_17counting_iteratorIjlEEPS9_SG_NS0_5tupleIJPjSI_NS0_16reverse_iteratorISI_EEEEENSH_IJSG_SG_SG_EEES9_SI_JZNS1_25segmented_radix_sort_implINS0_14default_configELb0EPK12hip_bfloat16PSP_PKlPlN2at6native12_GLOBAL__N_18offset_tEEE10hipError_tPvRmT1_PNSt15iterator_traitsIS13_E10value_typeET2_T3_PNS14_IS19_E10value_typeET4_jRbjT5_S1F_jjP12ihipStream_tbEUljE_ZNSN_ISO_Lb0ESR_SS_SU_SV_SZ_EES10_S11_S12_S13_S17_S18_S19_S1C_S1D_jS1E_jS1F_S1F_jjS1H_bEUljE0_EEES10_S11_S12_S19_S1D_S1F_T6_T7_T9_mT8_S1H_bDpT10_ENKUlT_T0_E_clISt17integral_constantIbLb1EES1V_EEDaS1Q_S1R_EUlS1Q_E_NS1_11comp_targetILNS1_3genE2ELNS1_11target_archE906ELNS1_3gpuE6ELNS1_3repE0EEENS1_30default_config_static_selectorELNS0_4arch9wavefront6targetE0EEEvS13_.num_agpr, 0
	.set _ZN7rocprim17ROCPRIM_400000_NS6detail17trampoline_kernelINS0_13select_configILj256ELj13ELNS0_17block_load_methodE3ELS4_3ELS4_3ELNS0_20block_scan_algorithmE0ELj4294967295EEENS1_25partition_config_selectorILNS1_17partition_subalgoE4EjNS0_10empty_typeEbEEZZNS1_14partition_implILS8_4ELb0ES6_15HIP_vector_typeIjLj2EENS0_17counting_iteratorIjlEEPS9_SG_NS0_5tupleIJPjSI_NS0_16reverse_iteratorISI_EEEEENSH_IJSG_SG_SG_EEES9_SI_JZNS1_25segmented_radix_sort_implINS0_14default_configELb0EPK12hip_bfloat16PSP_PKlPlN2at6native12_GLOBAL__N_18offset_tEEE10hipError_tPvRmT1_PNSt15iterator_traitsIS13_E10value_typeET2_T3_PNS14_IS19_E10value_typeET4_jRbjT5_S1F_jjP12ihipStream_tbEUljE_ZNSN_ISO_Lb0ESR_SS_SU_SV_SZ_EES10_S11_S12_S13_S17_S18_S19_S1C_S1D_jS1E_jS1F_S1F_jjS1H_bEUljE0_EEES10_S11_S12_S19_S1D_S1F_T6_T7_T9_mT8_S1H_bDpT10_ENKUlT_T0_E_clISt17integral_constantIbLb1EES1V_EEDaS1Q_S1R_EUlS1Q_E_NS1_11comp_targetILNS1_3genE2ELNS1_11target_archE906ELNS1_3gpuE6ELNS1_3repE0EEENS1_30default_config_static_selectorELNS0_4arch9wavefront6targetE0EEEvS13_.numbered_sgpr, 0
	.set _ZN7rocprim17ROCPRIM_400000_NS6detail17trampoline_kernelINS0_13select_configILj256ELj13ELNS0_17block_load_methodE3ELS4_3ELS4_3ELNS0_20block_scan_algorithmE0ELj4294967295EEENS1_25partition_config_selectorILNS1_17partition_subalgoE4EjNS0_10empty_typeEbEEZZNS1_14partition_implILS8_4ELb0ES6_15HIP_vector_typeIjLj2EENS0_17counting_iteratorIjlEEPS9_SG_NS0_5tupleIJPjSI_NS0_16reverse_iteratorISI_EEEEENSH_IJSG_SG_SG_EEES9_SI_JZNS1_25segmented_radix_sort_implINS0_14default_configELb0EPK12hip_bfloat16PSP_PKlPlN2at6native12_GLOBAL__N_18offset_tEEE10hipError_tPvRmT1_PNSt15iterator_traitsIS13_E10value_typeET2_T3_PNS14_IS19_E10value_typeET4_jRbjT5_S1F_jjP12ihipStream_tbEUljE_ZNSN_ISO_Lb0ESR_SS_SU_SV_SZ_EES10_S11_S12_S13_S17_S18_S19_S1C_S1D_jS1E_jS1F_S1F_jjS1H_bEUljE0_EEES10_S11_S12_S19_S1D_S1F_T6_T7_T9_mT8_S1H_bDpT10_ENKUlT_T0_E_clISt17integral_constantIbLb1EES1V_EEDaS1Q_S1R_EUlS1Q_E_NS1_11comp_targetILNS1_3genE2ELNS1_11target_archE906ELNS1_3gpuE6ELNS1_3repE0EEENS1_30default_config_static_selectorELNS0_4arch9wavefront6targetE0EEEvS13_.num_named_barrier, 0
	.set _ZN7rocprim17ROCPRIM_400000_NS6detail17trampoline_kernelINS0_13select_configILj256ELj13ELNS0_17block_load_methodE3ELS4_3ELS4_3ELNS0_20block_scan_algorithmE0ELj4294967295EEENS1_25partition_config_selectorILNS1_17partition_subalgoE4EjNS0_10empty_typeEbEEZZNS1_14partition_implILS8_4ELb0ES6_15HIP_vector_typeIjLj2EENS0_17counting_iteratorIjlEEPS9_SG_NS0_5tupleIJPjSI_NS0_16reverse_iteratorISI_EEEEENSH_IJSG_SG_SG_EEES9_SI_JZNS1_25segmented_radix_sort_implINS0_14default_configELb0EPK12hip_bfloat16PSP_PKlPlN2at6native12_GLOBAL__N_18offset_tEEE10hipError_tPvRmT1_PNSt15iterator_traitsIS13_E10value_typeET2_T3_PNS14_IS19_E10value_typeET4_jRbjT5_S1F_jjP12ihipStream_tbEUljE_ZNSN_ISO_Lb0ESR_SS_SU_SV_SZ_EES10_S11_S12_S13_S17_S18_S19_S1C_S1D_jS1E_jS1F_S1F_jjS1H_bEUljE0_EEES10_S11_S12_S19_S1D_S1F_T6_T7_T9_mT8_S1H_bDpT10_ENKUlT_T0_E_clISt17integral_constantIbLb1EES1V_EEDaS1Q_S1R_EUlS1Q_E_NS1_11comp_targetILNS1_3genE2ELNS1_11target_archE906ELNS1_3gpuE6ELNS1_3repE0EEENS1_30default_config_static_selectorELNS0_4arch9wavefront6targetE0EEEvS13_.private_seg_size, 0
	.set _ZN7rocprim17ROCPRIM_400000_NS6detail17trampoline_kernelINS0_13select_configILj256ELj13ELNS0_17block_load_methodE3ELS4_3ELS4_3ELNS0_20block_scan_algorithmE0ELj4294967295EEENS1_25partition_config_selectorILNS1_17partition_subalgoE4EjNS0_10empty_typeEbEEZZNS1_14partition_implILS8_4ELb0ES6_15HIP_vector_typeIjLj2EENS0_17counting_iteratorIjlEEPS9_SG_NS0_5tupleIJPjSI_NS0_16reverse_iteratorISI_EEEEENSH_IJSG_SG_SG_EEES9_SI_JZNS1_25segmented_radix_sort_implINS0_14default_configELb0EPK12hip_bfloat16PSP_PKlPlN2at6native12_GLOBAL__N_18offset_tEEE10hipError_tPvRmT1_PNSt15iterator_traitsIS13_E10value_typeET2_T3_PNS14_IS19_E10value_typeET4_jRbjT5_S1F_jjP12ihipStream_tbEUljE_ZNSN_ISO_Lb0ESR_SS_SU_SV_SZ_EES10_S11_S12_S13_S17_S18_S19_S1C_S1D_jS1E_jS1F_S1F_jjS1H_bEUljE0_EEES10_S11_S12_S19_S1D_S1F_T6_T7_T9_mT8_S1H_bDpT10_ENKUlT_T0_E_clISt17integral_constantIbLb1EES1V_EEDaS1Q_S1R_EUlS1Q_E_NS1_11comp_targetILNS1_3genE2ELNS1_11target_archE906ELNS1_3gpuE6ELNS1_3repE0EEENS1_30default_config_static_selectorELNS0_4arch9wavefront6targetE0EEEvS13_.uses_vcc, 0
	.set _ZN7rocprim17ROCPRIM_400000_NS6detail17trampoline_kernelINS0_13select_configILj256ELj13ELNS0_17block_load_methodE3ELS4_3ELS4_3ELNS0_20block_scan_algorithmE0ELj4294967295EEENS1_25partition_config_selectorILNS1_17partition_subalgoE4EjNS0_10empty_typeEbEEZZNS1_14partition_implILS8_4ELb0ES6_15HIP_vector_typeIjLj2EENS0_17counting_iteratorIjlEEPS9_SG_NS0_5tupleIJPjSI_NS0_16reverse_iteratorISI_EEEEENSH_IJSG_SG_SG_EEES9_SI_JZNS1_25segmented_radix_sort_implINS0_14default_configELb0EPK12hip_bfloat16PSP_PKlPlN2at6native12_GLOBAL__N_18offset_tEEE10hipError_tPvRmT1_PNSt15iterator_traitsIS13_E10value_typeET2_T3_PNS14_IS19_E10value_typeET4_jRbjT5_S1F_jjP12ihipStream_tbEUljE_ZNSN_ISO_Lb0ESR_SS_SU_SV_SZ_EES10_S11_S12_S13_S17_S18_S19_S1C_S1D_jS1E_jS1F_S1F_jjS1H_bEUljE0_EEES10_S11_S12_S19_S1D_S1F_T6_T7_T9_mT8_S1H_bDpT10_ENKUlT_T0_E_clISt17integral_constantIbLb1EES1V_EEDaS1Q_S1R_EUlS1Q_E_NS1_11comp_targetILNS1_3genE2ELNS1_11target_archE906ELNS1_3gpuE6ELNS1_3repE0EEENS1_30default_config_static_selectorELNS0_4arch9wavefront6targetE0EEEvS13_.uses_flat_scratch, 0
	.set _ZN7rocprim17ROCPRIM_400000_NS6detail17trampoline_kernelINS0_13select_configILj256ELj13ELNS0_17block_load_methodE3ELS4_3ELS4_3ELNS0_20block_scan_algorithmE0ELj4294967295EEENS1_25partition_config_selectorILNS1_17partition_subalgoE4EjNS0_10empty_typeEbEEZZNS1_14partition_implILS8_4ELb0ES6_15HIP_vector_typeIjLj2EENS0_17counting_iteratorIjlEEPS9_SG_NS0_5tupleIJPjSI_NS0_16reverse_iteratorISI_EEEEENSH_IJSG_SG_SG_EEES9_SI_JZNS1_25segmented_radix_sort_implINS0_14default_configELb0EPK12hip_bfloat16PSP_PKlPlN2at6native12_GLOBAL__N_18offset_tEEE10hipError_tPvRmT1_PNSt15iterator_traitsIS13_E10value_typeET2_T3_PNS14_IS19_E10value_typeET4_jRbjT5_S1F_jjP12ihipStream_tbEUljE_ZNSN_ISO_Lb0ESR_SS_SU_SV_SZ_EES10_S11_S12_S13_S17_S18_S19_S1C_S1D_jS1E_jS1F_S1F_jjS1H_bEUljE0_EEES10_S11_S12_S19_S1D_S1F_T6_T7_T9_mT8_S1H_bDpT10_ENKUlT_T0_E_clISt17integral_constantIbLb1EES1V_EEDaS1Q_S1R_EUlS1Q_E_NS1_11comp_targetILNS1_3genE2ELNS1_11target_archE906ELNS1_3gpuE6ELNS1_3repE0EEENS1_30default_config_static_selectorELNS0_4arch9wavefront6targetE0EEEvS13_.has_dyn_sized_stack, 0
	.set _ZN7rocprim17ROCPRIM_400000_NS6detail17trampoline_kernelINS0_13select_configILj256ELj13ELNS0_17block_load_methodE3ELS4_3ELS4_3ELNS0_20block_scan_algorithmE0ELj4294967295EEENS1_25partition_config_selectorILNS1_17partition_subalgoE4EjNS0_10empty_typeEbEEZZNS1_14partition_implILS8_4ELb0ES6_15HIP_vector_typeIjLj2EENS0_17counting_iteratorIjlEEPS9_SG_NS0_5tupleIJPjSI_NS0_16reverse_iteratorISI_EEEEENSH_IJSG_SG_SG_EEES9_SI_JZNS1_25segmented_radix_sort_implINS0_14default_configELb0EPK12hip_bfloat16PSP_PKlPlN2at6native12_GLOBAL__N_18offset_tEEE10hipError_tPvRmT1_PNSt15iterator_traitsIS13_E10value_typeET2_T3_PNS14_IS19_E10value_typeET4_jRbjT5_S1F_jjP12ihipStream_tbEUljE_ZNSN_ISO_Lb0ESR_SS_SU_SV_SZ_EES10_S11_S12_S13_S17_S18_S19_S1C_S1D_jS1E_jS1F_S1F_jjS1H_bEUljE0_EEES10_S11_S12_S19_S1D_S1F_T6_T7_T9_mT8_S1H_bDpT10_ENKUlT_T0_E_clISt17integral_constantIbLb1EES1V_EEDaS1Q_S1R_EUlS1Q_E_NS1_11comp_targetILNS1_3genE2ELNS1_11target_archE906ELNS1_3gpuE6ELNS1_3repE0EEENS1_30default_config_static_selectorELNS0_4arch9wavefront6targetE0EEEvS13_.has_recursion, 0
	.set _ZN7rocprim17ROCPRIM_400000_NS6detail17trampoline_kernelINS0_13select_configILj256ELj13ELNS0_17block_load_methodE3ELS4_3ELS4_3ELNS0_20block_scan_algorithmE0ELj4294967295EEENS1_25partition_config_selectorILNS1_17partition_subalgoE4EjNS0_10empty_typeEbEEZZNS1_14partition_implILS8_4ELb0ES6_15HIP_vector_typeIjLj2EENS0_17counting_iteratorIjlEEPS9_SG_NS0_5tupleIJPjSI_NS0_16reverse_iteratorISI_EEEEENSH_IJSG_SG_SG_EEES9_SI_JZNS1_25segmented_radix_sort_implINS0_14default_configELb0EPK12hip_bfloat16PSP_PKlPlN2at6native12_GLOBAL__N_18offset_tEEE10hipError_tPvRmT1_PNSt15iterator_traitsIS13_E10value_typeET2_T3_PNS14_IS19_E10value_typeET4_jRbjT5_S1F_jjP12ihipStream_tbEUljE_ZNSN_ISO_Lb0ESR_SS_SU_SV_SZ_EES10_S11_S12_S13_S17_S18_S19_S1C_S1D_jS1E_jS1F_S1F_jjS1H_bEUljE0_EEES10_S11_S12_S19_S1D_S1F_T6_T7_T9_mT8_S1H_bDpT10_ENKUlT_T0_E_clISt17integral_constantIbLb1EES1V_EEDaS1Q_S1R_EUlS1Q_E_NS1_11comp_targetILNS1_3genE2ELNS1_11target_archE906ELNS1_3gpuE6ELNS1_3repE0EEENS1_30default_config_static_selectorELNS0_4arch9wavefront6targetE0EEEvS13_.has_indirect_call, 0
	.section	.AMDGPU.csdata,"",@progbits
; Kernel info:
; codeLenInByte = 0
; TotalNumSgprs: 0
; NumVgprs: 0
; ScratchSize: 0
; MemoryBound: 0
; FloatMode: 240
; IeeeMode: 1
; LDSByteSize: 0 bytes/workgroup (compile time only)
; SGPRBlocks: 0
; VGPRBlocks: 0
; NumSGPRsForWavesPerEU: 1
; NumVGPRsForWavesPerEU: 1
; Occupancy: 16
; WaveLimiterHint : 0
; COMPUTE_PGM_RSRC2:SCRATCH_EN: 0
; COMPUTE_PGM_RSRC2:USER_SGPR: 6
; COMPUTE_PGM_RSRC2:TRAP_HANDLER: 0
; COMPUTE_PGM_RSRC2:TGID_X_EN: 1
; COMPUTE_PGM_RSRC2:TGID_Y_EN: 0
; COMPUTE_PGM_RSRC2:TGID_Z_EN: 0
; COMPUTE_PGM_RSRC2:TIDIG_COMP_CNT: 0
	.section	.text._ZN7rocprim17ROCPRIM_400000_NS6detail17trampoline_kernelINS0_13select_configILj256ELj13ELNS0_17block_load_methodE3ELS4_3ELS4_3ELNS0_20block_scan_algorithmE0ELj4294967295EEENS1_25partition_config_selectorILNS1_17partition_subalgoE4EjNS0_10empty_typeEbEEZZNS1_14partition_implILS8_4ELb0ES6_15HIP_vector_typeIjLj2EENS0_17counting_iteratorIjlEEPS9_SG_NS0_5tupleIJPjSI_NS0_16reverse_iteratorISI_EEEEENSH_IJSG_SG_SG_EEES9_SI_JZNS1_25segmented_radix_sort_implINS0_14default_configELb0EPK12hip_bfloat16PSP_PKlPlN2at6native12_GLOBAL__N_18offset_tEEE10hipError_tPvRmT1_PNSt15iterator_traitsIS13_E10value_typeET2_T3_PNS14_IS19_E10value_typeET4_jRbjT5_S1F_jjP12ihipStream_tbEUljE_ZNSN_ISO_Lb0ESR_SS_SU_SV_SZ_EES10_S11_S12_S13_S17_S18_S19_S1C_S1D_jS1E_jS1F_S1F_jjS1H_bEUljE0_EEES10_S11_S12_S19_S1D_S1F_T6_T7_T9_mT8_S1H_bDpT10_ENKUlT_T0_E_clISt17integral_constantIbLb1EES1V_EEDaS1Q_S1R_EUlS1Q_E_NS1_11comp_targetILNS1_3genE10ELNS1_11target_archE1200ELNS1_3gpuE4ELNS1_3repE0EEENS1_30default_config_static_selectorELNS0_4arch9wavefront6targetE0EEEvS13_,"axG",@progbits,_ZN7rocprim17ROCPRIM_400000_NS6detail17trampoline_kernelINS0_13select_configILj256ELj13ELNS0_17block_load_methodE3ELS4_3ELS4_3ELNS0_20block_scan_algorithmE0ELj4294967295EEENS1_25partition_config_selectorILNS1_17partition_subalgoE4EjNS0_10empty_typeEbEEZZNS1_14partition_implILS8_4ELb0ES6_15HIP_vector_typeIjLj2EENS0_17counting_iteratorIjlEEPS9_SG_NS0_5tupleIJPjSI_NS0_16reverse_iteratorISI_EEEEENSH_IJSG_SG_SG_EEES9_SI_JZNS1_25segmented_radix_sort_implINS0_14default_configELb0EPK12hip_bfloat16PSP_PKlPlN2at6native12_GLOBAL__N_18offset_tEEE10hipError_tPvRmT1_PNSt15iterator_traitsIS13_E10value_typeET2_T3_PNS14_IS19_E10value_typeET4_jRbjT5_S1F_jjP12ihipStream_tbEUljE_ZNSN_ISO_Lb0ESR_SS_SU_SV_SZ_EES10_S11_S12_S13_S17_S18_S19_S1C_S1D_jS1E_jS1F_S1F_jjS1H_bEUljE0_EEES10_S11_S12_S19_S1D_S1F_T6_T7_T9_mT8_S1H_bDpT10_ENKUlT_T0_E_clISt17integral_constantIbLb1EES1V_EEDaS1Q_S1R_EUlS1Q_E_NS1_11comp_targetILNS1_3genE10ELNS1_11target_archE1200ELNS1_3gpuE4ELNS1_3repE0EEENS1_30default_config_static_selectorELNS0_4arch9wavefront6targetE0EEEvS13_,comdat
	.globl	_ZN7rocprim17ROCPRIM_400000_NS6detail17trampoline_kernelINS0_13select_configILj256ELj13ELNS0_17block_load_methodE3ELS4_3ELS4_3ELNS0_20block_scan_algorithmE0ELj4294967295EEENS1_25partition_config_selectorILNS1_17partition_subalgoE4EjNS0_10empty_typeEbEEZZNS1_14partition_implILS8_4ELb0ES6_15HIP_vector_typeIjLj2EENS0_17counting_iteratorIjlEEPS9_SG_NS0_5tupleIJPjSI_NS0_16reverse_iteratorISI_EEEEENSH_IJSG_SG_SG_EEES9_SI_JZNS1_25segmented_radix_sort_implINS0_14default_configELb0EPK12hip_bfloat16PSP_PKlPlN2at6native12_GLOBAL__N_18offset_tEEE10hipError_tPvRmT1_PNSt15iterator_traitsIS13_E10value_typeET2_T3_PNS14_IS19_E10value_typeET4_jRbjT5_S1F_jjP12ihipStream_tbEUljE_ZNSN_ISO_Lb0ESR_SS_SU_SV_SZ_EES10_S11_S12_S13_S17_S18_S19_S1C_S1D_jS1E_jS1F_S1F_jjS1H_bEUljE0_EEES10_S11_S12_S19_S1D_S1F_T6_T7_T9_mT8_S1H_bDpT10_ENKUlT_T0_E_clISt17integral_constantIbLb1EES1V_EEDaS1Q_S1R_EUlS1Q_E_NS1_11comp_targetILNS1_3genE10ELNS1_11target_archE1200ELNS1_3gpuE4ELNS1_3repE0EEENS1_30default_config_static_selectorELNS0_4arch9wavefront6targetE0EEEvS13_ ; -- Begin function _ZN7rocprim17ROCPRIM_400000_NS6detail17trampoline_kernelINS0_13select_configILj256ELj13ELNS0_17block_load_methodE3ELS4_3ELS4_3ELNS0_20block_scan_algorithmE0ELj4294967295EEENS1_25partition_config_selectorILNS1_17partition_subalgoE4EjNS0_10empty_typeEbEEZZNS1_14partition_implILS8_4ELb0ES6_15HIP_vector_typeIjLj2EENS0_17counting_iteratorIjlEEPS9_SG_NS0_5tupleIJPjSI_NS0_16reverse_iteratorISI_EEEEENSH_IJSG_SG_SG_EEES9_SI_JZNS1_25segmented_radix_sort_implINS0_14default_configELb0EPK12hip_bfloat16PSP_PKlPlN2at6native12_GLOBAL__N_18offset_tEEE10hipError_tPvRmT1_PNSt15iterator_traitsIS13_E10value_typeET2_T3_PNS14_IS19_E10value_typeET4_jRbjT5_S1F_jjP12ihipStream_tbEUljE_ZNSN_ISO_Lb0ESR_SS_SU_SV_SZ_EES10_S11_S12_S13_S17_S18_S19_S1C_S1D_jS1E_jS1F_S1F_jjS1H_bEUljE0_EEES10_S11_S12_S19_S1D_S1F_T6_T7_T9_mT8_S1H_bDpT10_ENKUlT_T0_E_clISt17integral_constantIbLb1EES1V_EEDaS1Q_S1R_EUlS1Q_E_NS1_11comp_targetILNS1_3genE10ELNS1_11target_archE1200ELNS1_3gpuE4ELNS1_3repE0EEENS1_30default_config_static_selectorELNS0_4arch9wavefront6targetE0EEEvS13_
	.p2align	8
	.type	_ZN7rocprim17ROCPRIM_400000_NS6detail17trampoline_kernelINS0_13select_configILj256ELj13ELNS0_17block_load_methodE3ELS4_3ELS4_3ELNS0_20block_scan_algorithmE0ELj4294967295EEENS1_25partition_config_selectorILNS1_17partition_subalgoE4EjNS0_10empty_typeEbEEZZNS1_14partition_implILS8_4ELb0ES6_15HIP_vector_typeIjLj2EENS0_17counting_iteratorIjlEEPS9_SG_NS0_5tupleIJPjSI_NS0_16reverse_iteratorISI_EEEEENSH_IJSG_SG_SG_EEES9_SI_JZNS1_25segmented_radix_sort_implINS0_14default_configELb0EPK12hip_bfloat16PSP_PKlPlN2at6native12_GLOBAL__N_18offset_tEEE10hipError_tPvRmT1_PNSt15iterator_traitsIS13_E10value_typeET2_T3_PNS14_IS19_E10value_typeET4_jRbjT5_S1F_jjP12ihipStream_tbEUljE_ZNSN_ISO_Lb0ESR_SS_SU_SV_SZ_EES10_S11_S12_S13_S17_S18_S19_S1C_S1D_jS1E_jS1F_S1F_jjS1H_bEUljE0_EEES10_S11_S12_S19_S1D_S1F_T6_T7_T9_mT8_S1H_bDpT10_ENKUlT_T0_E_clISt17integral_constantIbLb1EES1V_EEDaS1Q_S1R_EUlS1Q_E_NS1_11comp_targetILNS1_3genE10ELNS1_11target_archE1200ELNS1_3gpuE4ELNS1_3repE0EEENS1_30default_config_static_selectorELNS0_4arch9wavefront6targetE0EEEvS13_,@function
_ZN7rocprim17ROCPRIM_400000_NS6detail17trampoline_kernelINS0_13select_configILj256ELj13ELNS0_17block_load_methodE3ELS4_3ELS4_3ELNS0_20block_scan_algorithmE0ELj4294967295EEENS1_25partition_config_selectorILNS1_17partition_subalgoE4EjNS0_10empty_typeEbEEZZNS1_14partition_implILS8_4ELb0ES6_15HIP_vector_typeIjLj2EENS0_17counting_iteratorIjlEEPS9_SG_NS0_5tupleIJPjSI_NS0_16reverse_iteratorISI_EEEEENSH_IJSG_SG_SG_EEES9_SI_JZNS1_25segmented_radix_sort_implINS0_14default_configELb0EPK12hip_bfloat16PSP_PKlPlN2at6native12_GLOBAL__N_18offset_tEEE10hipError_tPvRmT1_PNSt15iterator_traitsIS13_E10value_typeET2_T3_PNS14_IS19_E10value_typeET4_jRbjT5_S1F_jjP12ihipStream_tbEUljE_ZNSN_ISO_Lb0ESR_SS_SU_SV_SZ_EES10_S11_S12_S13_S17_S18_S19_S1C_S1D_jS1E_jS1F_S1F_jjS1H_bEUljE0_EEES10_S11_S12_S19_S1D_S1F_T6_T7_T9_mT8_S1H_bDpT10_ENKUlT_T0_E_clISt17integral_constantIbLb1EES1V_EEDaS1Q_S1R_EUlS1Q_E_NS1_11comp_targetILNS1_3genE10ELNS1_11target_archE1200ELNS1_3gpuE4ELNS1_3repE0EEENS1_30default_config_static_selectorELNS0_4arch9wavefront6targetE0EEEvS13_: ; @_ZN7rocprim17ROCPRIM_400000_NS6detail17trampoline_kernelINS0_13select_configILj256ELj13ELNS0_17block_load_methodE3ELS4_3ELS4_3ELNS0_20block_scan_algorithmE0ELj4294967295EEENS1_25partition_config_selectorILNS1_17partition_subalgoE4EjNS0_10empty_typeEbEEZZNS1_14partition_implILS8_4ELb0ES6_15HIP_vector_typeIjLj2EENS0_17counting_iteratorIjlEEPS9_SG_NS0_5tupleIJPjSI_NS0_16reverse_iteratorISI_EEEEENSH_IJSG_SG_SG_EEES9_SI_JZNS1_25segmented_radix_sort_implINS0_14default_configELb0EPK12hip_bfloat16PSP_PKlPlN2at6native12_GLOBAL__N_18offset_tEEE10hipError_tPvRmT1_PNSt15iterator_traitsIS13_E10value_typeET2_T3_PNS14_IS19_E10value_typeET4_jRbjT5_S1F_jjP12ihipStream_tbEUljE_ZNSN_ISO_Lb0ESR_SS_SU_SV_SZ_EES10_S11_S12_S13_S17_S18_S19_S1C_S1D_jS1E_jS1F_S1F_jjS1H_bEUljE0_EEES10_S11_S12_S19_S1D_S1F_T6_T7_T9_mT8_S1H_bDpT10_ENKUlT_T0_E_clISt17integral_constantIbLb1EES1V_EEDaS1Q_S1R_EUlS1Q_E_NS1_11comp_targetILNS1_3genE10ELNS1_11target_archE1200ELNS1_3gpuE4ELNS1_3repE0EEENS1_30default_config_static_selectorELNS0_4arch9wavefront6targetE0EEEvS13_
; %bb.0:
	.section	.rodata,"a",@progbits
	.p2align	6, 0x0
	.amdhsa_kernel _ZN7rocprim17ROCPRIM_400000_NS6detail17trampoline_kernelINS0_13select_configILj256ELj13ELNS0_17block_load_methodE3ELS4_3ELS4_3ELNS0_20block_scan_algorithmE0ELj4294967295EEENS1_25partition_config_selectorILNS1_17partition_subalgoE4EjNS0_10empty_typeEbEEZZNS1_14partition_implILS8_4ELb0ES6_15HIP_vector_typeIjLj2EENS0_17counting_iteratorIjlEEPS9_SG_NS0_5tupleIJPjSI_NS0_16reverse_iteratorISI_EEEEENSH_IJSG_SG_SG_EEES9_SI_JZNS1_25segmented_radix_sort_implINS0_14default_configELb0EPK12hip_bfloat16PSP_PKlPlN2at6native12_GLOBAL__N_18offset_tEEE10hipError_tPvRmT1_PNSt15iterator_traitsIS13_E10value_typeET2_T3_PNS14_IS19_E10value_typeET4_jRbjT5_S1F_jjP12ihipStream_tbEUljE_ZNSN_ISO_Lb0ESR_SS_SU_SV_SZ_EES10_S11_S12_S13_S17_S18_S19_S1C_S1D_jS1E_jS1F_S1F_jjS1H_bEUljE0_EEES10_S11_S12_S19_S1D_S1F_T6_T7_T9_mT8_S1H_bDpT10_ENKUlT_T0_E_clISt17integral_constantIbLb1EES1V_EEDaS1Q_S1R_EUlS1Q_E_NS1_11comp_targetILNS1_3genE10ELNS1_11target_archE1200ELNS1_3gpuE4ELNS1_3repE0EEENS1_30default_config_static_selectorELNS0_4arch9wavefront6targetE0EEEvS13_
		.amdhsa_group_segment_fixed_size 0
		.amdhsa_private_segment_fixed_size 0
		.amdhsa_kernarg_size 184
		.amdhsa_user_sgpr_count 6
		.amdhsa_user_sgpr_private_segment_buffer 1
		.amdhsa_user_sgpr_dispatch_ptr 0
		.amdhsa_user_sgpr_queue_ptr 0
		.amdhsa_user_sgpr_kernarg_segment_ptr 1
		.amdhsa_user_sgpr_dispatch_id 0
		.amdhsa_user_sgpr_flat_scratch_init 0
		.amdhsa_user_sgpr_private_segment_size 0
		.amdhsa_wavefront_size32 1
		.amdhsa_uses_dynamic_stack 0
		.amdhsa_system_sgpr_private_segment_wavefront_offset 0
		.amdhsa_system_sgpr_workgroup_id_x 1
		.amdhsa_system_sgpr_workgroup_id_y 0
		.amdhsa_system_sgpr_workgroup_id_z 0
		.amdhsa_system_sgpr_workgroup_info 0
		.amdhsa_system_vgpr_workitem_id 0
		.amdhsa_next_free_vgpr 1
		.amdhsa_next_free_sgpr 1
		.amdhsa_reserve_vcc 0
		.amdhsa_reserve_flat_scratch 0
		.amdhsa_float_round_mode_32 0
		.amdhsa_float_round_mode_16_64 0
		.amdhsa_float_denorm_mode_32 3
		.amdhsa_float_denorm_mode_16_64 3
		.amdhsa_dx10_clamp 1
		.amdhsa_ieee_mode 1
		.amdhsa_fp16_overflow 0
		.amdhsa_workgroup_processor_mode 1
		.amdhsa_memory_ordered 1
		.amdhsa_forward_progress 1
		.amdhsa_shared_vgpr_count 0
		.amdhsa_exception_fp_ieee_invalid_op 0
		.amdhsa_exception_fp_denorm_src 0
		.amdhsa_exception_fp_ieee_div_zero 0
		.amdhsa_exception_fp_ieee_overflow 0
		.amdhsa_exception_fp_ieee_underflow 0
		.amdhsa_exception_fp_ieee_inexact 0
		.amdhsa_exception_int_div_zero 0
	.end_amdhsa_kernel
	.section	.text._ZN7rocprim17ROCPRIM_400000_NS6detail17trampoline_kernelINS0_13select_configILj256ELj13ELNS0_17block_load_methodE3ELS4_3ELS4_3ELNS0_20block_scan_algorithmE0ELj4294967295EEENS1_25partition_config_selectorILNS1_17partition_subalgoE4EjNS0_10empty_typeEbEEZZNS1_14partition_implILS8_4ELb0ES6_15HIP_vector_typeIjLj2EENS0_17counting_iteratorIjlEEPS9_SG_NS0_5tupleIJPjSI_NS0_16reverse_iteratorISI_EEEEENSH_IJSG_SG_SG_EEES9_SI_JZNS1_25segmented_radix_sort_implINS0_14default_configELb0EPK12hip_bfloat16PSP_PKlPlN2at6native12_GLOBAL__N_18offset_tEEE10hipError_tPvRmT1_PNSt15iterator_traitsIS13_E10value_typeET2_T3_PNS14_IS19_E10value_typeET4_jRbjT5_S1F_jjP12ihipStream_tbEUljE_ZNSN_ISO_Lb0ESR_SS_SU_SV_SZ_EES10_S11_S12_S13_S17_S18_S19_S1C_S1D_jS1E_jS1F_S1F_jjS1H_bEUljE0_EEES10_S11_S12_S19_S1D_S1F_T6_T7_T9_mT8_S1H_bDpT10_ENKUlT_T0_E_clISt17integral_constantIbLb1EES1V_EEDaS1Q_S1R_EUlS1Q_E_NS1_11comp_targetILNS1_3genE10ELNS1_11target_archE1200ELNS1_3gpuE4ELNS1_3repE0EEENS1_30default_config_static_selectorELNS0_4arch9wavefront6targetE0EEEvS13_,"axG",@progbits,_ZN7rocprim17ROCPRIM_400000_NS6detail17trampoline_kernelINS0_13select_configILj256ELj13ELNS0_17block_load_methodE3ELS4_3ELS4_3ELNS0_20block_scan_algorithmE0ELj4294967295EEENS1_25partition_config_selectorILNS1_17partition_subalgoE4EjNS0_10empty_typeEbEEZZNS1_14partition_implILS8_4ELb0ES6_15HIP_vector_typeIjLj2EENS0_17counting_iteratorIjlEEPS9_SG_NS0_5tupleIJPjSI_NS0_16reverse_iteratorISI_EEEEENSH_IJSG_SG_SG_EEES9_SI_JZNS1_25segmented_radix_sort_implINS0_14default_configELb0EPK12hip_bfloat16PSP_PKlPlN2at6native12_GLOBAL__N_18offset_tEEE10hipError_tPvRmT1_PNSt15iterator_traitsIS13_E10value_typeET2_T3_PNS14_IS19_E10value_typeET4_jRbjT5_S1F_jjP12ihipStream_tbEUljE_ZNSN_ISO_Lb0ESR_SS_SU_SV_SZ_EES10_S11_S12_S13_S17_S18_S19_S1C_S1D_jS1E_jS1F_S1F_jjS1H_bEUljE0_EEES10_S11_S12_S19_S1D_S1F_T6_T7_T9_mT8_S1H_bDpT10_ENKUlT_T0_E_clISt17integral_constantIbLb1EES1V_EEDaS1Q_S1R_EUlS1Q_E_NS1_11comp_targetILNS1_3genE10ELNS1_11target_archE1200ELNS1_3gpuE4ELNS1_3repE0EEENS1_30default_config_static_selectorELNS0_4arch9wavefront6targetE0EEEvS13_,comdat
.Lfunc_end1988:
	.size	_ZN7rocprim17ROCPRIM_400000_NS6detail17trampoline_kernelINS0_13select_configILj256ELj13ELNS0_17block_load_methodE3ELS4_3ELS4_3ELNS0_20block_scan_algorithmE0ELj4294967295EEENS1_25partition_config_selectorILNS1_17partition_subalgoE4EjNS0_10empty_typeEbEEZZNS1_14partition_implILS8_4ELb0ES6_15HIP_vector_typeIjLj2EENS0_17counting_iteratorIjlEEPS9_SG_NS0_5tupleIJPjSI_NS0_16reverse_iteratorISI_EEEEENSH_IJSG_SG_SG_EEES9_SI_JZNS1_25segmented_radix_sort_implINS0_14default_configELb0EPK12hip_bfloat16PSP_PKlPlN2at6native12_GLOBAL__N_18offset_tEEE10hipError_tPvRmT1_PNSt15iterator_traitsIS13_E10value_typeET2_T3_PNS14_IS19_E10value_typeET4_jRbjT5_S1F_jjP12ihipStream_tbEUljE_ZNSN_ISO_Lb0ESR_SS_SU_SV_SZ_EES10_S11_S12_S13_S17_S18_S19_S1C_S1D_jS1E_jS1F_S1F_jjS1H_bEUljE0_EEES10_S11_S12_S19_S1D_S1F_T6_T7_T9_mT8_S1H_bDpT10_ENKUlT_T0_E_clISt17integral_constantIbLb1EES1V_EEDaS1Q_S1R_EUlS1Q_E_NS1_11comp_targetILNS1_3genE10ELNS1_11target_archE1200ELNS1_3gpuE4ELNS1_3repE0EEENS1_30default_config_static_selectorELNS0_4arch9wavefront6targetE0EEEvS13_, .Lfunc_end1988-_ZN7rocprim17ROCPRIM_400000_NS6detail17trampoline_kernelINS0_13select_configILj256ELj13ELNS0_17block_load_methodE3ELS4_3ELS4_3ELNS0_20block_scan_algorithmE0ELj4294967295EEENS1_25partition_config_selectorILNS1_17partition_subalgoE4EjNS0_10empty_typeEbEEZZNS1_14partition_implILS8_4ELb0ES6_15HIP_vector_typeIjLj2EENS0_17counting_iteratorIjlEEPS9_SG_NS0_5tupleIJPjSI_NS0_16reverse_iteratorISI_EEEEENSH_IJSG_SG_SG_EEES9_SI_JZNS1_25segmented_radix_sort_implINS0_14default_configELb0EPK12hip_bfloat16PSP_PKlPlN2at6native12_GLOBAL__N_18offset_tEEE10hipError_tPvRmT1_PNSt15iterator_traitsIS13_E10value_typeET2_T3_PNS14_IS19_E10value_typeET4_jRbjT5_S1F_jjP12ihipStream_tbEUljE_ZNSN_ISO_Lb0ESR_SS_SU_SV_SZ_EES10_S11_S12_S13_S17_S18_S19_S1C_S1D_jS1E_jS1F_S1F_jjS1H_bEUljE0_EEES10_S11_S12_S19_S1D_S1F_T6_T7_T9_mT8_S1H_bDpT10_ENKUlT_T0_E_clISt17integral_constantIbLb1EES1V_EEDaS1Q_S1R_EUlS1Q_E_NS1_11comp_targetILNS1_3genE10ELNS1_11target_archE1200ELNS1_3gpuE4ELNS1_3repE0EEENS1_30default_config_static_selectorELNS0_4arch9wavefront6targetE0EEEvS13_
                                        ; -- End function
	.set _ZN7rocprim17ROCPRIM_400000_NS6detail17trampoline_kernelINS0_13select_configILj256ELj13ELNS0_17block_load_methodE3ELS4_3ELS4_3ELNS0_20block_scan_algorithmE0ELj4294967295EEENS1_25partition_config_selectorILNS1_17partition_subalgoE4EjNS0_10empty_typeEbEEZZNS1_14partition_implILS8_4ELb0ES6_15HIP_vector_typeIjLj2EENS0_17counting_iteratorIjlEEPS9_SG_NS0_5tupleIJPjSI_NS0_16reverse_iteratorISI_EEEEENSH_IJSG_SG_SG_EEES9_SI_JZNS1_25segmented_radix_sort_implINS0_14default_configELb0EPK12hip_bfloat16PSP_PKlPlN2at6native12_GLOBAL__N_18offset_tEEE10hipError_tPvRmT1_PNSt15iterator_traitsIS13_E10value_typeET2_T3_PNS14_IS19_E10value_typeET4_jRbjT5_S1F_jjP12ihipStream_tbEUljE_ZNSN_ISO_Lb0ESR_SS_SU_SV_SZ_EES10_S11_S12_S13_S17_S18_S19_S1C_S1D_jS1E_jS1F_S1F_jjS1H_bEUljE0_EEES10_S11_S12_S19_S1D_S1F_T6_T7_T9_mT8_S1H_bDpT10_ENKUlT_T0_E_clISt17integral_constantIbLb1EES1V_EEDaS1Q_S1R_EUlS1Q_E_NS1_11comp_targetILNS1_3genE10ELNS1_11target_archE1200ELNS1_3gpuE4ELNS1_3repE0EEENS1_30default_config_static_selectorELNS0_4arch9wavefront6targetE0EEEvS13_.num_vgpr, 0
	.set _ZN7rocprim17ROCPRIM_400000_NS6detail17trampoline_kernelINS0_13select_configILj256ELj13ELNS0_17block_load_methodE3ELS4_3ELS4_3ELNS0_20block_scan_algorithmE0ELj4294967295EEENS1_25partition_config_selectorILNS1_17partition_subalgoE4EjNS0_10empty_typeEbEEZZNS1_14partition_implILS8_4ELb0ES6_15HIP_vector_typeIjLj2EENS0_17counting_iteratorIjlEEPS9_SG_NS0_5tupleIJPjSI_NS0_16reverse_iteratorISI_EEEEENSH_IJSG_SG_SG_EEES9_SI_JZNS1_25segmented_radix_sort_implINS0_14default_configELb0EPK12hip_bfloat16PSP_PKlPlN2at6native12_GLOBAL__N_18offset_tEEE10hipError_tPvRmT1_PNSt15iterator_traitsIS13_E10value_typeET2_T3_PNS14_IS19_E10value_typeET4_jRbjT5_S1F_jjP12ihipStream_tbEUljE_ZNSN_ISO_Lb0ESR_SS_SU_SV_SZ_EES10_S11_S12_S13_S17_S18_S19_S1C_S1D_jS1E_jS1F_S1F_jjS1H_bEUljE0_EEES10_S11_S12_S19_S1D_S1F_T6_T7_T9_mT8_S1H_bDpT10_ENKUlT_T0_E_clISt17integral_constantIbLb1EES1V_EEDaS1Q_S1R_EUlS1Q_E_NS1_11comp_targetILNS1_3genE10ELNS1_11target_archE1200ELNS1_3gpuE4ELNS1_3repE0EEENS1_30default_config_static_selectorELNS0_4arch9wavefront6targetE0EEEvS13_.num_agpr, 0
	.set _ZN7rocprim17ROCPRIM_400000_NS6detail17trampoline_kernelINS0_13select_configILj256ELj13ELNS0_17block_load_methodE3ELS4_3ELS4_3ELNS0_20block_scan_algorithmE0ELj4294967295EEENS1_25partition_config_selectorILNS1_17partition_subalgoE4EjNS0_10empty_typeEbEEZZNS1_14partition_implILS8_4ELb0ES6_15HIP_vector_typeIjLj2EENS0_17counting_iteratorIjlEEPS9_SG_NS0_5tupleIJPjSI_NS0_16reverse_iteratorISI_EEEEENSH_IJSG_SG_SG_EEES9_SI_JZNS1_25segmented_radix_sort_implINS0_14default_configELb0EPK12hip_bfloat16PSP_PKlPlN2at6native12_GLOBAL__N_18offset_tEEE10hipError_tPvRmT1_PNSt15iterator_traitsIS13_E10value_typeET2_T3_PNS14_IS19_E10value_typeET4_jRbjT5_S1F_jjP12ihipStream_tbEUljE_ZNSN_ISO_Lb0ESR_SS_SU_SV_SZ_EES10_S11_S12_S13_S17_S18_S19_S1C_S1D_jS1E_jS1F_S1F_jjS1H_bEUljE0_EEES10_S11_S12_S19_S1D_S1F_T6_T7_T9_mT8_S1H_bDpT10_ENKUlT_T0_E_clISt17integral_constantIbLb1EES1V_EEDaS1Q_S1R_EUlS1Q_E_NS1_11comp_targetILNS1_3genE10ELNS1_11target_archE1200ELNS1_3gpuE4ELNS1_3repE0EEENS1_30default_config_static_selectorELNS0_4arch9wavefront6targetE0EEEvS13_.numbered_sgpr, 0
	.set _ZN7rocprim17ROCPRIM_400000_NS6detail17trampoline_kernelINS0_13select_configILj256ELj13ELNS0_17block_load_methodE3ELS4_3ELS4_3ELNS0_20block_scan_algorithmE0ELj4294967295EEENS1_25partition_config_selectorILNS1_17partition_subalgoE4EjNS0_10empty_typeEbEEZZNS1_14partition_implILS8_4ELb0ES6_15HIP_vector_typeIjLj2EENS0_17counting_iteratorIjlEEPS9_SG_NS0_5tupleIJPjSI_NS0_16reverse_iteratorISI_EEEEENSH_IJSG_SG_SG_EEES9_SI_JZNS1_25segmented_radix_sort_implINS0_14default_configELb0EPK12hip_bfloat16PSP_PKlPlN2at6native12_GLOBAL__N_18offset_tEEE10hipError_tPvRmT1_PNSt15iterator_traitsIS13_E10value_typeET2_T3_PNS14_IS19_E10value_typeET4_jRbjT5_S1F_jjP12ihipStream_tbEUljE_ZNSN_ISO_Lb0ESR_SS_SU_SV_SZ_EES10_S11_S12_S13_S17_S18_S19_S1C_S1D_jS1E_jS1F_S1F_jjS1H_bEUljE0_EEES10_S11_S12_S19_S1D_S1F_T6_T7_T9_mT8_S1H_bDpT10_ENKUlT_T0_E_clISt17integral_constantIbLb1EES1V_EEDaS1Q_S1R_EUlS1Q_E_NS1_11comp_targetILNS1_3genE10ELNS1_11target_archE1200ELNS1_3gpuE4ELNS1_3repE0EEENS1_30default_config_static_selectorELNS0_4arch9wavefront6targetE0EEEvS13_.num_named_barrier, 0
	.set _ZN7rocprim17ROCPRIM_400000_NS6detail17trampoline_kernelINS0_13select_configILj256ELj13ELNS0_17block_load_methodE3ELS4_3ELS4_3ELNS0_20block_scan_algorithmE0ELj4294967295EEENS1_25partition_config_selectorILNS1_17partition_subalgoE4EjNS0_10empty_typeEbEEZZNS1_14partition_implILS8_4ELb0ES6_15HIP_vector_typeIjLj2EENS0_17counting_iteratorIjlEEPS9_SG_NS0_5tupleIJPjSI_NS0_16reverse_iteratorISI_EEEEENSH_IJSG_SG_SG_EEES9_SI_JZNS1_25segmented_radix_sort_implINS0_14default_configELb0EPK12hip_bfloat16PSP_PKlPlN2at6native12_GLOBAL__N_18offset_tEEE10hipError_tPvRmT1_PNSt15iterator_traitsIS13_E10value_typeET2_T3_PNS14_IS19_E10value_typeET4_jRbjT5_S1F_jjP12ihipStream_tbEUljE_ZNSN_ISO_Lb0ESR_SS_SU_SV_SZ_EES10_S11_S12_S13_S17_S18_S19_S1C_S1D_jS1E_jS1F_S1F_jjS1H_bEUljE0_EEES10_S11_S12_S19_S1D_S1F_T6_T7_T9_mT8_S1H_bDpT10_ENKUlT_T0_E_clISt17integral_constantIbLb1EES1V_EEDaS1Q_S1R_EUlS1Q_E_NS1_11comp_targetILNS1_3genE10ELNS1_11target_archE1200ELNS1_3gpuE4ELNS1_3repE0EEENS1_30default_config_static_selectorELNS0_4arch9wavefront6targetE0EEEvS13_.private_seg_size, 0
	.set _ZN7rocprim17ROCPRIM_400000_NS6detail17trampoline_kernelINS0_13select_configILj256ELj13ELNS0_17block_load_methodE3ELS4_3ELS4_3ELNS0_20block_scan_algorithmE0ELj4294967295EEENS1_25partition_config_selectorILNS1_17partition_subalgoE4EjNS0_10empty_typeEbEEZZNS1_14partition_implILS8_4ELb0ES6_15HIP_vector_typeIjLj2EENS0_17counting_iteratorIjlEEPS9_SG_NS0_5tupleIJPjSI_NS0_16reverse_iteratorISI_EEEEENSH_IJSG_SG_SG_EEES9_SI_JZNS1_25segmented_radix_sort_implINS0_14default_configELb0EPK12hip_bfloat16PSP_PKlPlN2at6native12_GLOBAL__N_18offset_tEEE10hipError_tPvRmT1_PNSt15iterator_traitsIS13_E10value_typeET2_T3_PNS14_IS19_E10value_typeET4_jRbjT5_S1F_jjP12ihipStream_tbEUljE_ZNSN_ISO_Lb0ESR_SS_SU_SV_SZ_EES10_S11_S12_S13_S17_S18_S19_S1C_S1D_jS1E_jS1F_S1F_jjS1H_bEUljE0_EEES10_S11_S12_S19_S1D_S1F_T6_T7_T9_mT8_S1H_bDpT10_ENKUlT_T0_E_clISt17integral_constantIbLb1EES1V_EEDaS1Q_S1R_EUlS1Q_E_NS1_11comp_targetILNS1_3genE10ELNS1_11target_archE1200ELNS1_3gpuE4ELNS1_3repE0EEENS1_30default_config_static_selectorELNS0_4arch9wavefront6targetE0EEEvS13_.uses_vcc, 0
	.set _ZN7rocprim17ROCPRIM_400000_NS6detail17trampoline_kernelINS0_13select_configILj256ELj13ELNS0_17block_load_methodE3ELS4_3ELS4_3ELNS0_20block_scan_algorithmE0ELj4294967295EEENS1_25partition_config_selectorILNS1_17partition_subalgoE4EjNS0_10empty_typeEbEEZZNS1_14partition_implILS8_4ELb0ES6_15HIP_vector_typeIjLj2EENS0_17counting_iteratorIjlEEPS9_SG_NS0_5tupleIJPjSI_NS0_16reverse_iteratorISI_EEEEENSH_IJSG_SG_SG_EEES9_SI_JZNS1_25segmented_radix_sort_implINS0_14default_configELb0EPK12hip_bfloat16PSP_PKlPlN2at6native12_GLOBAL__N_18offset_tEEE10hipError_tPvRmT1_PNSt15iterator_traitsIS13_E10value_typeET2_T3_PNS14_IS19_E10value_typeET4_jRbjT5_S1F_jjP12ihipStream_tbEUljE_ZNSN_ISO_Lb0ESR_SS_SU_SV_SZ_EES10_S11_S12_S13_S17_S18_S19_S1C_S1D_jS1E_jS1F_S1F_jjS1H_bEUljE0_EEES10_S11_S12_S19_S1D_S1F_T6_T7_T9_mT8_S1H_bDpT10_ENKUlT_T0_E_clISt17integral_constantIbLb1EES1V_EEDaS1Q_S1R_EUlS1Q_E_NS1_11comp_targetILNS1_3genE10ELNS1_11target_archE1200ELNS1_3gpuE4ELNS1_3repE0EEENS1_30default_config_static_selectorELNS0_4arch9wavefront6targetE0EEEvS13_.uses_flat_scratch, 0
	.set _ZN7rocprim17ROCPRIM_400000_NS6detail17trampoline_kernelINS0_13select_configILj256ELj13ELNS0_17block_load_methodE3ELS4_3ELS4_3ELNS0_20block_scan_algorithmE0ELj4294967295EEENS1_25partition_config_selectorILNS1_17partition_subalgoE4EjNS0_10empty_typeEbEEZZNS1_14partition_implILS8_4ELb0ES6_15HIP_vector_typeIjLj2EENS0_17counting_iteratorIjlEEPS9_SG_NS0_5tupleIJPjSI_NS0_16reverse_iteratorISI_EEEEENSH_IJSG_SG_SG_EEES9_SI_JZNS1_25segmented_radix_sort_implINS0_14default_configELb0EPK12hip_bfloat16PSP_PKlPlN2at6native12_GLOBAL__N_18offset_tEEE10hipError_tPvRmT1_PNSt15iterator_traitsIS13_E10value_typeET2_T3_PNS14_IS19_E10value_typeET4_jRbjT5_S1F_jjP12ihipStream_tbEUljE_ZNSN_ISO_Lb0ESR_SS_SU_SV_SZ_EES10_S11_S12_S13_S17_S18_S19_S1C_S1D_jS1E_jS1F_S1F_jjS1H_bEUljE0_EEES10_S11_S12_S19_S1D_S1F_T6_T7_T9_mT8_S1H_bDpT10_ENKUlT_T0_E_clISt17integral_constantIbLb1EES1V_EEDaS1Q_S1R_EUlS1Q_E_NS1_11comp_targetILNS1_3genE10ELNS1_11target_archE1200ELNS1_3gpuE4ELNS1_3repE0EEENS1_30default_config_static_selectorELNS0_4arch9wavefront6targetE0EEEvS13_.has_dyn_sized_stack, 0
	.set _ZN7rocprim17ROCPRIM_400000_NS6detail17trampoline_kernelINS0_13select_configILj256ELj13ELNS0_17block_load_methodE3ELS4_3ELS4_3ELNS0_20block_scan_algorithmE0ELj4294967295EEENS1_25partition_config_selectorILNS1_17partition_subalgoE4EjNS0_10empty_typeEbEEZZNS1_14partition_implILS8_4ELb0ES6_15HIP_vector_typeIjLj2EENS0_17counting_iteratorIjlEEPS9_SG_NS0_5tupleIJPjSI_NS0_16reverse_iteratorISI_EEEEENSH_IJSG_SG_SG_EEES9_SI_JZNS1_25segmented_radix_sort_implINS0_14default_configELb0EPK12hip_bfloat16PSP_PKlPlN2at6native12_GLOBAL__N_18offset_tEEE10hipError_tPvRmT1_PNSt15iterator_traitsIS13_E10value_typeET2_T3_PNS14_IS19_E10value_typeET4_jRbjT5_S1F_jjP12ihipStream_tbEUljE_ZNSN_ISO_Lb0ESR_SS_SU_SV_SZ_EES10_S11_S12_S13_S17_S18_S19_S1C_S1D_jS1E_jS1F_S1F_jjS1H_bEUljE0_EEES10_S11_S12_S19_S1D_S1F_T6_T7_T9_mT8_S1H_bDpT10_ENKUlT_T0_E_clISt17integral_constantIbLb1EES1V_EEDaS1Q_S1R_EUlS1Q_E_NS1_11comp_targetILNS1_3genE10ELNS1_11target_archE1200ELNS1_3gpuE4ELNS1_3repE0EEENS1_30default_config_static_selectorELNS0_4arch9wavefront6targetE0EEEvS13_.has_recursion, 0
	.set _ZN7rocprim17ROCPRIM_400000_NS6detail17trampoline_kernelINS0_13select_configILj256ELj13ELNS0_17block_load_methodE3ELS4_3ELS4_3ELNS0_20block_scan_algorithmE0ELj4294967295EEENS1_25partition_config_selectorILNS1_17partition_subalgoE4EjNS0_10empty_typeEbEEZZNS1_14partition_implILS8_4ELb0ES6_15HIP_vector_typeIjLj2EENS0_17counting_iteratorIjlEEPS9_SG_NS0_5tupleIJPjSI_NS0_16reverse_iteratorISI_EEEEENSH_IJSG_SG_SG_EEES9_SI_JZNS1_25segmented_radix_sort_implINS0_14default_configELb0EPK12hip_bfloat16PSP_PKlPlN2at6native12_GLOBAL__N_18offset_tEEE10hipError_tPvRmT1_PNSt15iterator_traitsIS13_E10value_typeET2_T3_PNS14_IS19_E10value_typeET4_jRbjT5_S1F_jjP12ihipStream_tbEUljE_ZNSN_ISO_Lb0ESR_SS_SU_SV_SZ_EES10_S11_S12_S13_S17_S18_S19_S1C_S1D_jS1E_jS1F_S1F_jjS1H_bEUljE0_EEES10_S11_S12_S19_S1D_S1F_T6_T7_T9_mT8_S1H_bDpT10_ENKUlT_T0_E_clISt17integral_constantIbLb1EES1V_EEDaS1Q_S1R_EUlS1Q_E_NS1_11comp_targetILNS1_3genE10ELNS1_11target_archE1200ELNS1_3gpuE4ELNS1_3repE0EEENS1_30default_config_static_selectorELNS0_4arch9wavefront6targetE0EEEvS13_.has_indirect_call, 0
	.section	.AMDGPU.csdata,"",@progbits
; Kernel info:
; codeLenInByte = 0
; TotalNumSgprs: 0
; NumVgprs: 0
; ScratchSize: 0
; MemoryBound: 0
; FloatMode: 240
; IeeeMode: 1
; LDSByteSize: 0 bytes/workgroup (compile time only)
; SGPRBlocks: 0
; VGPRBlocks: 0
; NumSGPRsForWavesPerEU: 1
; NumVGPRsForWavesPerEU: 1
; Occupancy: 16
; WaveLimiterHint : 0
; COMPUTE_PGM_RSRC2:SCRATCH_EN: 0
; COMPUTE_PGM_RSRC2:USER_SGPR: 6
; COMPUTE_PGM_RSRC2:TRAP_HANDLER: 0
; COMPUTE_PGM_RSRC2:TGID_X_EN: 1
; COMPUTE_PGM_RSRC2:TGID_Y_EN: 0
; COMPUTE_PGM_RSRC2:TGID_Z_EN: 0
; COMPUTE_PGM_RSRC2:TIDIG_COMP_CNT: 0
	.section	.text._ZN7rocprim17ROCPRIM_400000_NS6detail17trampoline_kernelINS0_13select_configILj256ELj13ELNS0_17block_load_methodE3ELS4_3ELS4_3ELNS0_20block_scan_algorithmE0ELj4294967295EEENS1_25partition_config_selectorILNS1_17partition_subalgoE4EjNS0_10empty_typeEbEEZZNS1_14partition_implILS8_4ELb0ES6_15HIP_vector_typeIjLj2EENS0_17counting_iteratorIjlEEPS9_SG_NS0_5tupleIJPjSI_NS0_16reverse_iteratorISI_EEEEENSH_IJSG_SG_SG_EEES9_SI_JZNS1_25segmented_radix_sort_implINS0_14default_configELb0EPK12hip_bfloat16PSP_PKlPlN2at6native12_GLOBAL__N_18offset_tEEE10hipError_tPvRmT1_PNSt15iterator_traitsIS13_E10value_typeET2_T3_PNS14_IS19_E10value_typeET4_jRbjT5_S1F_jjP12ihipStream_tbEUljE_ZNSN_ISO_Lb0ESR_SS_SU_SV_SZ_EES10_S11_S12_S13_S17_S18_S19_S1C_S1D_jS1E_jS1F_S1F_jjS1H_bEUljE0_EEES10_S11_S12_S19_S1D_S1F_T6_T7_T9_mT8_S1H_bDpT10_ENKUlT_T0_E_clISt17integral_constantIbLb1EES1V_EEDaS1Q_S1R_EUlS1Q_E_NS1_11comp_targetILNS1_3genE9ELNS1_11target_archE1100ELNS1_3gpuE3ELNS1_3repE0EEENS1_30default_config_static_selectorELNS0_4arch9wavefront6targetE0EEEvS13_,"axG",@progbits,_ZN7rocprim17ROCPRIM_400000_NS6detail17trampoline_kernelINS0_13select_configILj256ELj13ELNS0_17block_load_methodE3ELS4_3ELS4_3ELNS0_20block_scan_algorithmE0ELj4294967295EEENS1_25partition_config_selectorILNS1_17partition_subalgoE4EjNS0_10empty_typeEbEEZZNS1_14partition_implILS8_4ELb0ES6_15HIP_vector_typeIjLj2EENS0_17counting_iteratorIjlEEPS9_SG_NS0_5tupleIJPjSI_NS0_16reverse_iteratorISI_EEEEENSH_IJSG_SG_SG_EEES9_SI_JZNS1_25segmented_radix_sort_implINS0_14default_configELb0EPK12hip_bfloat16PSP_PKlPlN2at6native12_GLOBAL__N_18offset_tEEE10hipError_tPvRmT1_PNSt15iterator_traitsIS13_E10value_typeET2_T3_PNS14_IS19_E10value_typeET4_jRbjT5_S1F_jjP12ihipStream_tbEUljE_ZNSN_ISO_Lb0ESR_SS_SU_SV_SZ_EES10_S11_S12_S13_S17_S18_S19_S1C_S1D_jS1E_jS1F_S1F_jjS1H_bEUljE0_EEES10_S11_S12_S19_S1D_S1F_T6_T7_T9_mT8_S1H_bDpT10_ENKUlT_T0_E_clISt17integral_constantIbLb1EES1V_EEDaS1Q_S1R_EUlS1Q_E_NS1_11comp_targetILNS1_3genE9ELNS1_11target_archE1100ELNS1_3gpuE3ELNS1_3repE0EEENS1_30default_config_static_selectorELNS0_4arch9wavefront6targetE0EEEvS13_,comdat
	.globl	_ZN7rocprim17ROCPRIM_400000_NS6detail17trampoline_kernelINS0_13select_configILj256ELj13ELNS0_17block_load_methodE3ELS4_3ELS4_3ELNS0_20block_scan_algorithmE0ELj4294967295EEENS1_25partition_config_selectorILNS1_17partition_subalgoE4EjNS0_10empty_typeEbEEZZNS1_14partition_implILS8_4ELb0ES6_15HIP_vector_typeIjLj2EENS0_17counting_iteratorIjlEEPS9_SG_NS0_5tupleIJPjSI_NS0_16reverse_iteratorISI_EEEEENSH_IJSG_SG_SG_EEES9_SI_JZNS1_25segmented_radix_sort_implINS0_14default_configELb0EPK12hip_bfloat16PSP_PKlPlN2at6native12_GLOBAL__N_18offset_tEEE10hipError_tPvRmT1_PNSt15iterator_traitsIS13_E10value_typeET2_T3_PNS14_IS19_E10value_typeET4_jRbjT5_S1F_jjP12ihipStream_tbEUljE_ZNSN_ISO_Lb0ESR_SS_SU_SV_SZ_EES10_S11_S12_S13_S17_S18_S19_S1C_S1D_jS1E_jS1F_S1F_jjS1H_bEUljE0_EEES10_S11_S12_S19_S1D_S1F_T6_T7_T9_mT8_S1H_bDpT10_ENKUlT_T0_E_clISt17integral_constantIbLb1EES1V_EEDaS1Q_S1R_EUlS1Q_E_NS1_11comp_targetILNS1_3genE9ELNS1_11target_archE1100ELNS1_3gpuE3ELNS1_3repE0EEENS1_30default_config_static_selectorELNS0_4arch9wavefront6targetE0EEEvS13_ ; -- Begin function _ZN7rocprim17ROCPRIM_400000_NS6detail17trampoline_kernelINS0_13select_configILj256ELj13ELNS0_17block_load_methodE3ELS4_3ELS4_3ELNS0_20block_scan_algorithmE0ELj4294967295EEENS1_25partition_config_selectorILNS1_17partition_subalgoE4EjNS0_10empty_typeEbEEZZNS1_14partition_implILS8_4ELb0ES6_15HIP_vector_typeIjLj2EENS0_17counting_iteratorIjlEEPS9_SG_NS0_5tupleIJPjSI_NS0_16reverse_iteratorISI_EEEEENSH_IJSG_SG_SG_EEES9_SI_JZNS1_25segmented_radix_sort_implINS0_14default_configELb0EPK12hip_bfloat16PSP_PKlPlN2at6native12_GLOBAL__N_18offset_tEEE10hipError_tPvRmT1_PNSt15iterator_traitsIS13_E10value_typeET2_T3_PNS14_IS19_E10value_typeET4_jRbjT5_S1F_jjP12ihipStream_tbEUljE_ZNSN_ISO_Lb0ESR_SS_SU_SV_SZ_EES10_S11_S12_S13_S17_S18_S19_S1C_S1D_jS1E_jS1F_S1F_jjS1H_bEUljE0_EEES10_S11_S12_S19_S1D_S1F_T6_T7_T9_mT8_S1H_bDpT10_ENKUlT_T0_E_clISt17integral_constantIbLb1EES1V_EEDaS1Q_S1R_EUlS1Q_E_NS1_11comp_targetILNS1_3genE9ELNS1_11target_archE1100ELNS1_3gpuE3ELNS1_3repE0EEENS1_30default_config_static_selectorELNS0_4arch9wavefront6targetE0EEEvS13_
	.p2align	8
	.type	_ZN7rocprim17ROCPRIM_400000_NS6detail17trampoline_kernelINS0_13select_configILj256ELj13ELNS0_17block_load_methodE3ELS4_3ELS4_3ELNS0_20block_scan_algorithmE0ELj4294967295EEENS1_25partition_config_selectorILNS1_17partition_subalgoE4EjNS0_10empty_typeEbEEZZNS1_14partition_implILS8_4ELb0ES6_15HIP_vector_typeIjLj2EENS0_17counting_iteratorIjlEEPS9_SG_NS0_5tupleIJPjSI_NS0_16reverse_iteratorISI_EEEEENSH_IJSG_SG_SG_EEES9_SI_JZNS1_25segmented_radix_sort_implINS0_14default_configELb0EPK12hip_bfloat16PSP_PKlPlN2at6native12_GLOBAL__N_18offset_tEEE10hipError_tPvRmT1_PNSt15iterator_traitsIS13_E10value_typeET2_T3_PNS14_IS19_E10value_typeET4_jRbjT5_S1F_jjP12ihipStream_tbEUljE_ZNSN_ISO_Lb0ESR_SS_SU_SV_SZ_EES10_S11_S12_S13_S17_S18_S19_S1C_S1D_jS1E_jS1F_S1F_jjS1H_bEUljE0_EEES10_S11_S12_S19_S1D_S1F_T6_T7_T9_mT8_S1H_bDpT10_ENKUlT_T0_E_clISt17integral_constantIbLb1EES1V_EEDaS1Q_S1R_EUlS1Q_E_NS1_11comp_targetILNS1_3genE9ELNS1_11target_archE1100ELNS1_3gpuE3ELNS1_3repE0EEENS1_30default_config_static_selectorELNS0_4arch9wavefront6targetE0EEEvS13_,@function
_ZN7rocprim17ROCPRIM_400000_NS6detail17trampoline_kernelINS0_13select_configILj256ELj13ELNS0_17block_load_methodE3ELS4_3ELS4_3ELNS0_20block_scan_algorithmE0ELj4294967295EEENS1_25partition_config_selectorILNS1_17partition_subalgoE4EjNS0_10empty_typeEbEEZZNS1_14partition_implILS8_4ELb0ES6_15HIP_vector_typeIjLj2EENS0_17counting_iteratorIjlEEPS9_SG_NS0_5tupleIJPjSI_NS0_16reverse_iteratorISI_EEEEENSH_IJSG_SG_SG_EEES9_SI_JZNS1_25segmented_radix_sort_implINS0_14default_configELb0EPK12hip_bfloat16PSP_PKlPlN2at6native12_GLOBAL__N_18offset_tEEE10hipError_tPvRmT1_PNSt15iterator_traitsIS13_E10value_typeET2_T3_PNS14_IS19_E10value_typeET4_jRbjT5_S1F_jjP12ihipStream_tbEUljE_ZNSN_ISO_Lb0ESR_SS_SU_SV_SZ_EES10_S11_S12_S13_S17_S18_S19_S1C_S1D_jS1E_jS1F_S1F_jjS1H_bEUljE0_EEES10_S11_S12_S19_S1D_S1F_T6_T7_T9_mT8_S1H_bDpT10_ENKUlT_T0_E_clISt17integral_constantIbLb1EES1V_EEDaS1Q_S1R_EUlS1Q_E_NS1_11comp_targetILNS1_3genE9ELNS1_11target_archE1100ELNS1_3gpuE3ELNS1_3repE0EEENS1_30default_config_static_selectorELNS0_4arch9wavefront6targetE0EEEvS13_: ; @_ZN7rocprim17ROCPRIM_400000_NS6detail17trampoline_kernelINS0_13select_configILj256ELj13ELNS0_17block_load_methodE3ELS4_3ELS4_3ELNS0_20block_scan_algorithmE0ELj4294967295EEENS1_25partition_config_selectorILNS1_17partition_subalgoE4EjNS0_10empty_typeEbEEZZNS1_14partition_implILS8_4ELb0ES6_15HIP_vector_typeIjLj2EENS0_17counting_iteratorIjlEEPS9_SG_NS0_5tupleIJPjSI_NS0_16reverse_iteratorISI_EEEEENSH_IJSG_SG_SG_EEES9_SI_JZNS1_25segmented_radix_sort_implINS0_14default_configELb0EPK12hip_bfloat16PSP_PKlPlN2at6native12_GLOBAL__N_18offset_tEEE10hipError_tPvRmT1_PNSt15iterator_traitsIS13_E10value_typeET2_T3_PNS14_IS19_E10value_typeET4_jRbjT5_S1F_jjP12ihipStream_tbEUljE_ZNSN_ISO_Lb0ESR_SS_SU_SV_SZ_EES10_S11_S12_S13_S17_S18_S19_S1C_S1D_jS1E_jS1F_S1F_jjS1H_bEUljE0_EEES10_S11_S12_S19_S1D_S1F_T6_T7_T9_mT8_S1H_bDpT10_ENKUlT_T0_E_clISt17integral_constantIbLb1EES1V_EEDaS1Q_S1R_EUlS1Q_E_NS1_11comp_targetILNS1_3genE9ELNS1_11target_archE1100ELNS1_3gpuE3ELNS1_3repE0EEENS1_30default_config_static_selectorELNS0_4arch9wavefront6targetE0EEEvS13_
; %bb.0:
	.section	.rodata,"a",@progbits
	.p2align	6, 0x0
	.amdhsa_kernel _ZN7rocprim17ROCPRIM_400000_NS6detail17trampoline_kernelINS0_13select_configILj256ELj13ELNS0_17block_load_methodE3ELS4_3ELS4_3ELNS0_20block_scan_algorithmE0ELj4294967295EEENS1_25partition_config_selectorILNS1_17partition_subalgoE4EjNS0_10empty_typeEbEEZZNS1_14partition_implILS8_4ELb0ES6_15HIP_vector_typeIjLj2EENS0_17counting_iteratorIjlEEPS9_SG_NS0_5tupleIJPjSI_NS0_16reverse_iteratorISI_EEEEENSH_IJSG_SG_SG_EEES9_SI_JZNS1_25segmented_radix_sort_implINS0_14default_configELb0EPK12hip_bfloat16PSP_PKlPlN2at6native12_GLOBAL__N_18offset_tEEE10hipError_tPvRmT1_PNSt15iterator_traitsIS13_E10value_typeET2_T3_PNS14_IS19_E10value_typeET4_jRbjT5_S1F_jjP12ihipStream_tbEUljE_ZNSN_ISO_Lb0ESR_SS_SU_SV_SZ_EES10_S11_S12_S13_S17_S18_S19_S1C_S1D_jS1E_jS1F_S1F_jjS1H_bEUljE0_EEES10_S11_S12_S19_S1D_S1F_T6_T7_T9_mT8_S1H_bDpT10_ENKUlT_T0_E_clISt17integral_constantIbLb1EES1V_EEDaS1Q_S1R_EUlS1Q_E_NS1_11comp_targetILNS1_3genE9ELNS1_11target_archE1100ELNS1_3gpuE3ELNS1_3repE0EEENS1_30default_config_static_selectorELNS0_4arch9wavefront6targetE0EEEvS13_
		.amdhsa_group_segment_fixed_size 0
		.amdhsa_private_segment_fixed_size 0
		.amdhsa_kernarg_size 184
		.amdhsa_user_sgpr_count 6
		.amdhsa_user_sgpr_private_segment_buffer 1
		.amdhsa_user_sgpr_dispatch_ptr 0
		.amdhsa_user_sgpr_queue_ptr 0
		.amdhsa_user_sgpr_kernarg_segment_ptr 1
		.amdhsa_user_sgpr_dispatch_id 0
		.amdhsa_user_sgpr_flat_scratch_init 0
		.amdhsa_user_sgpr_private_segment_size 0
		.amdhsa_wavefront_size32 1
		.amdhsa_uses_dynamic_stack 0
		.amdhsa_system_sgpr_private_segment_wavefront_offset 0
		.amdhsa_system_sgpr_workgroup_id_x 1
		.amdhsa_system_sgpr_workgroup_id_y 0
		.amdhsa_system_sgpr_workgroup_id_z 0
		.amdhsa_system_sgpr_workgroup_info 0
		.amdhsa_system_vgpr_workitem_id 0
		.amdhsa_next_free_vgpr 1
		.amdhsa_next_free_sgpr 1
		.amdhsa_reserve_vcc 0
		.amdhsa_reserve_flat_scratch 0
		.amdhsa_float_round_mode_32 0
		.amdhsa_float_round_mode_16_64 0
		.amdhsa_float_denorm_mode_32 3
		.amdhsa_float_denorm_mode_16_64 3
		.amdhsa_dx10_clamp 1
		.amdhsa_ieee_mode 1
		.amdhsa_fp16_overflow 0
		.amdhsa_workgroup_processor_mode 1
		.amdhsa_memory_ordered 1
		.amdhsa_forward_progress 1
		.amdhsa_shared_vgpr_count 0
		.amdhsa_exception_fp_ieee_invalid_op 0
		.amdhsa_exception_fp_denorm_src 0
		.amdhsa_exception_fp_ieee_div_zero 0
		.amdhsa_exception_fp_ieee_overflow 0
		.amdhsa_exception_fp_ieee_underflow 0
		.amdhsa_exception_fp_ieee_inexact 0
		.amdhsa_exception_int_div_zero 0
	.end_amdhsa_kernel
	.section	.text._ZN7rocprim17ROCPRIM_400000_NS6detail17trampoline_kernelINS0_13select_configILj256ELj13ELNS0_17block_load_methodE3ELS4_3ELS4_3ELNS0_20block_scan_algorithmE0ELj4294967295EEENS1_25partition_config_selectorILNS1_17partition_subalgoE4EjNS0_10empty_typeEbEEZZNS1_14partition_implILS8_4ELb0ES6_15HIP_vector_typeIjLj2EENS0_17counting_iteratorIjlEEPS9_SG_NS0_5tupleIJPjSI_NS0_16reverse_iteratorISI_EEEEENSH_IJSG_SG_SG_EEES9_SI_JZNS1_25segmented_radix_sort_implINS0_14default_configELb0EPK12hip_bfloat16PSP_PKlPlN2at6native12_GLOBAL__N_18offset_tEEE10hipError_tPvRmT1_PNSt15iterator_traitsIS13_E10value_typeET2_T3_PNS14_IS19_E10value_typeET4_jRbjT5_S1F_jjP12ihipStream_tbEUljE_ZNSN_ISO_Lb0ESR_SS_SU_SV_SZ_EES10_S11_S12_S13_S17_S18_S19_S1C_S1D_jS1E_jS1F_S1F_jjS1H_bEUljE0_EEES10_S11_S12_S19_S1D_S1F_T6_T7_T9_mT8_S1H_bDpT10_ENKUlT_T0_E_clISt17integral_constantIbLb1EES1V_EEDaS1Q_S1R_EUlS1Q_E_NS1_11comp_targetILNS1_3genE9ELNS1_11target_archE1100ELNS1_3gpuE3ELNS1_3repE0EEENS1_30default_config_static_selectorELNS0_4arch9wavefront6targetE0EEEvS13_,"axG",@progbits,_ZN7rocprim17ROCPRIM_400000_NS6detail17trampoline_kernelINS0_13select_configILj256ELj13ELNS0_17block_load_methodE3ELS4_3ELS4_3ELNS0_20block_scan_algorithmE0ELj4294967295EEENS1_25partition_config_selectorILNS1_17partition_subalgoE4EjNS0_10empty_typeEbEEZZNS1_14partition_implILS8_4ELb0ES6_15HIP_vector_typeIjLj2EENS0_17counting_iteratorIjlEEPS9_SG_NS0_5tupleIJPjSI_NS0_16reverse_iteratorISI_EEEEENSH_IJSG_SG_SG_EEES9_SI_JZNS1_25segmented_radix_sort_implINS0_14default_configELb0EPK12hip_bfloat16PSP_PKlPlN2at6native12_GLOBAL__N_18offset_tEEE10hipError_tPvRmT1_PNSt15iterator_traitsIS13_E10value_typeET2_T3_PNS14_IS19_E10value_typeET4_jRbjT5_S1F_jjP12ihipStream_tbEUljE_ZNSN_ISO_Lb0ESR_SS_SU_SV_SZ_EES10_S11_S12_S13_S17_S18_S19_S1C_S1D_jS1E_jS1F_S1F_jjS1H_bEUljE0_EEES10_S11_S12_S19_S1D_S1F_T6_T7_T9_mT8_S1H_bDpT10_ENKUlT_T0_E_clISt17integral_constantIbLb1EES1V_EEDaS1Q_S1R_EUlS1Q_E_NS1_11comp_targetILNS1_3genE9ELNS1_11target_archE1100ELNS1_3gpuE3ELNS1_3repE0EEENS1_30default_config_static_selectorELNS0_4arch9wavefront6targetE0EEEvS13_,comdat
.Lfunc_end1989:
	.size	_ZN7rocprim17ROCPRIM_400000_NS6detail17trampoline_kernelINS0_13select_configILj256ELj13ELNS0_17block_load_methodE3ELS4_3ELS4_3ELNS0_20block_scan_algorithmE0ELj4294967295EEENS1_25partition_config_selectorILNS1_17partition_subalgoE4EjNS0_10empty_typeEbEEZZNS1_14partition_implILS8_4ELb0ES6_15HIP_vector_typeIjLj2EENS0_17counting_iteratorIjlEEPS9_SG_NS0_5tupleIJPjSI_NS0_16reverse_iteratorISI_EEEEENSH_IJSG_SG_SG_EEES9_SI_JZNS1_25segmented_radix_sort_implINS0_14default_configELb0EPK12hip_bfloat16PSP_PKlPlN2at6native12_GLOBAL__N_18offset_tEEE10hipError_tPvRmT1_PNSt15iterator_traitsIS13_E10value_typeET2_T3_PNS14_IS19_E10value_typeET4_jRbjT5_S1F_jjP12ihipStream_tbEUljE_ZNSN_ISO_Lb0ESR_SS_SU_SV_SZ_EES10_S11_S12_S13_S17_S18_S19_S1C_S1D_jS1E_jS1F_S1F_jjS1H_bEUljE0_EEES10_S11_S12_S19_S1D_S1F_T6_T7_T9_mT8_S1H_bDpT10_ENKUlT_T0_E_clISt17integral_constantIbLb1EES1V_EEDaS1Q_S1R_EUlS1Q_E_NS1_11comp_targetILNS1_3genE9ELNS1_11target_archE1100ELNS1_3gpuE3ELNS1_3repE0EEENS1_30default_config_static_selectorELNS0_4arch9wavefront6targetE0EEEvS13_, .Lfunc_end1989-_ZN7rocprim17ROCPRIM_400000_NS6detail17trampoline_kernelINS0_13select_configILj256ELj13ELNS0_17block_load_methodE3ELS4_3ELS4_3ELNS0_20block_scan_algorithmE0ELj4294967295EEENS1_25partition_config_selectorILNS1_17partition_subalgoE4EjNS0_10empty_typeEbEEZZNS1_14partition_implILS8_4ELb0ES6_15HIP_vector_typeIjLj2EENS0_17counting_iteratorIjlEEPS9_SG_NS0_5tupleIJPjSI_NS0_16reverse_iteratorISI_EEEEENSH_IJSG_SG_SG_EEES9_SI_JZNS1_25segmented_radix_sort_implINS0_14default_configELb0EPK12hip_bfloat16PSP_PKlPlN2at6native12_GLOBAL__N_18offset_tEEE10hipError_tPvRmT1_PNSt15iterator_traitsIS13_E10value_typeET2_T3_PNS14_IS19_E10value_typeET4_jRbjT5_S1F_jjP12ihipStream_tbEUljE_ZNSN_ISO_Lb0ESR_SS_SU_SV_SZ_EES10_S11_S12_S13_S17_S18_S19_S1C_S1D_jS1E_jS1F_S1F_jjS1H_bEUljE0_EEES10_S11_S12_S19_S1D_S1F_T6_T7_T9_mT8_S1H_bDpT10_ENKUlT_T0_E_clISt17integral_constantIbLb1EES1V_EEDaS1Q_S1R_EUlS1Q_E_NS1_11comp_targetILNS1_3genE9ELNS1_11target_archE1100ELNS1_3gpuE3ELNS1_3repE0EEENS1_30default_config_static_selectorELNS0_4arch9wavefront6targetE0EEEvS13_
                                        ; -- End function
	.set _ZN7rocprim17ROCPRIM_400000_NS6detail17trampoline_kernelINS0_13select_configILj256ELj13ELNS0_17block_load_methodE3ELS4_3ELS4_3ELNS0_20block_scan_algorithmE0ELj4294967295EEENS1_25partition_config_selectorILNS1_17partition_subalgoE4EjNS0_10empty_typeEbEEZZNS1_14partition_implILS8_4ELb0ES6_15HIP_vector_typeIjLj2EENS0_17counting_iteratorIjlEEPS9_SG_NS0_5tupleIJPjSI_NS0_16reverse_iteratorISI_EEEEENSH_IJSG_SG_SG_EEES9_SI_JZNS1_25segmented_radix_sort_implINS0_14default_configELb0EPK12hip_bfloat16PSP_PKlPlN2at6native12_GLOBAL__N_18offset_tEEE10hipError_tPvRmT1_PNSt15iterator_traitsIS13_E10value_typeET2_T3_PNS14_IS19_E10value_typeET4_jRbjT5_S1F_jjP12ihipStream_tbEUljE_ZNSN_ISO_Lb0ESR_SS_SU_SV_SZ_EES10_S11_S12_S13_S17_S18_S19_S1C_S1D_jS1E_jS1F_S1F_jjS1H_bEUljE0_EEES10_S11_S12_S19_S1D_S1F_T6_T7_T9_mT8_S1H_bDpT10_ENKUlT_T0_E_clISt17integral_constantIbLb1EES1V_EEDaS1Q_S1R_EUlS1Q_E_NS1_11comp_targetILNS1_3genE9ELNS1_11target_archE1100ELNS1_3gpuE3ELNS1_3repE0EEENS1_30default_config_static_selectorELNS0_4arch9wavefront6targetE0EEEvS13_.num_vgpr, 0
	.set _ZN7rocprim17ROCPRIM_400000_NS6detail17trampoline_kernelINS0_13select_configILj256ELj13ELNS0_17block_load_methodE3ELS4_3ELS4_3ELNS0_20block_scan_algorithmE0ELj4294967295EEENS1_25partition_config_selectorILNS1_17partition_subalgoE4EjNS0_10empty_typeEbEEZZNS1_14partition_implILS8_4ELb0ES6_15HIP_vector_typeIjLj2EENS0_17counting_iteratorIjlEEPS9_SG_NS0_5tupleIJPjSI_NS0_16reverse_iteratorISI_EEEEENSH_IJSG_SG_SG_EEES9_SI_JZNS1_25segmented_radix_sort_implINS0_14default_configELb0EPK12hip_bfloat16PSP_PKlPlN2at6native12_GLOBAL__N_18offset_tEEE10hipError_tPvRmT1_PNSt15iterator_traitsIS13_E10value_typeET2_T3_PNS14_IS19_E10value_typeET4_jRbjT5_S1F_jjP12ihipStream_tbEUljE_ZNSN_ISO_Lb0ESR_SS_SU_SV_SZ_EES10_S11_S12_S13_S17_S18_S19_S1C_S1D_jS1E_jS1F_S1F_jjS1H_bEUljE0_EEES10_S11_S12_S19_S1D_S1F_T6_T7_T9_mT8_S1H_bDpT10_ENKUlT_T0_E_clISt17integral_constantIbLb1EES1V_EEDaS1Q_S1R_EUlS1Q_E_NS1_11comp_targetILNS1_3genE9ELNS1_11target_archE1100ELNS1_3gpuE3ELNS1_3repE0EEENS1_30default_config_static_selectorELNS0_4arch9wavefront6targetE0EEEvS13_.num_agpr, 0
	.set _ZN7rocprim17ROCPRIM_400000_NS6detail17trampoline_kernelINS0_13select_configILj256ELj13ELNS0_17block_load_methodE3ELS4_3ELS4_3ELNS0_20block_scan_algorithmE0ELj4294967295EEENS1_25partition_config_selectorILNS1_17partition_subalgoE4EjNS0_10empty_typeEbEEZZNS1_14partition_implILS8_4ELb0ES6_15HIP_vector_typeIjLj2EENS0_17counting_iteratorIjlEEPS9_SG_NS0_5tupleIJPjSI_NS0_16reverse_iteratorISI_EEEEENSH_IJSG_SG_SG_EEES9_SI_JZNS1_25segmented_radix_sort_implINS0_14default_configELb0EPK12hip_bfloat16PSP_PKlPlN2at6native12_GLOBAL__N_18offset_tEEE10hipError_tPvRmT1_PNSt15iterator_traitsIS13_E10value_typeET2_T3_PNS14_IS19_E10value_typeET4_jRbjT5_S1F_jjP12ihipStream_tbEUljE_ZNSN_ISO_Lb0ESR_SS_SU_SV_SZ_EES10_S11_S12_S13_S17_S18_S19_S1C_S1D_jS1E_jS1F_S1F_jjS1H_bEUljE0_EEES10_S11_S12_S19_S1D_S1F_T6_T7_T9_mT8_S1H_bDpT10_ENKUlT_T0_E_clISt17integral_constantIbLb1EES1V_EEDaS1Q_S1R_EUlS1Q_E_NS1_11comp_targetILNS1_3genE9ELNS1_11target_archE1100ELNS1_3gpuE3ELNS1_3repE0EEENS1_30default_config_static_selectorELNS0_4arch9wavefront6targetE0EEEvS13_.numbered_sgpr, 0
	.set _ZN7rocprim17ROCPRIM_400000_NS6detail17trampoline_kernelINS0_13select_configILj256ELj13ELNS0_17block_load_methodE3ELS4_3ELS4_3ELNS0_20block_scan_algorithmE0ELj4294967295EEENS1_25partition_config_selectorILNS1_17partition_subalgoE4EjNS0_10empty_typeEbEEZZNS1_14partition_implILS8_4ELb0ES6_15HIP_vector_typeIjLj2EENS0_17counting_iteratorIjlEEPS9_SG_NS0_5tupleIJPjSI_NS0_16reverse_iteratorISI_EEEEENSH_IJSG_SG_SG_EEES9_SI_JZNS1_25segmented_radix_sort_implINS0_14default_configELb0EPK12hip_bfloat16PSP_PKlPlN2at6native12_GLOBAL__N_18offset_tEEE10hipError_tPvRmT1_PNSt15iterator_traitsIS13_E10value_typeET2_T3_PNS14_IS19_E10value_typeET4_jRbjT5_S1F_jjP12ihipStream_tbEUljE_ZNSN_ISO_Lb0ESR_SS_SU_SV_SZ_EES10_S11_S12_S13_S17_S18_S19_S1C_S1D_jS1E_jS1F_S1F_jjS1H_bEUljE0_EEES10_S11_S12_S19_S1D_S1F_T6_T7_T9_mT8_S1H_bDpT10_ENKUlT_T0_E_clISt17integral_constantIbLb1EES1V_EEDaS1Q_S1R_EUlS1Q_E_NS1_11comp_targetILNS1_3genE9ELNS1_11target_archE1100ELNS1_3gpuE3ELNS1_3repE0EEENS1_30default_config_static_selectorELNS0_4arch9wavefront6targetE0EEEvS13_.num_named_barrier, 0
	.set _ZN7rocprim17ROCPRIM_400000_NS6detail17trampoline_kernelINS0_13select_configILj256ELj13ELNS0_17block_load_methodE3ELS4_3ELS4_3ELNS0_20block_scan_algorithmE0ELj4294967295EEENS1_25partition_config_selectorILNS1_17partition_subalgoE4EjNS0_10empty_typeEbEEZZNS1_14partition_implILS8_4ELb0ES6_15HIP_vector_typeIjLj2EENS0_17counting_iteratorIjlEEPS9_SG_NS0_5tupleIJPjSI_NS0_16reverse_iteratorISI_EEEEENSH_IJSG_SG_SG_EEES9_SI_JZNS1_25segmented_radix_sort_implINS0_14default_configELb0EPK12hip_bfloat16PSP_PKlPlN2at6native12_GLOBAL__N_18offset_tEEE10hipError_tPvRmT1_PNSt15iterator_traitsIS13_E10value_typeET2_T3_PNS14_IS19_E10value_typeET4_jRbjT5_S1F_jjP12ihipStream_tbEUljE_ZNSN_ISO_Lb0ESR_SS_SU_SV_SZ_EES10_S11_S12_S13_S17_S18_S19_S1C_S1D_jS1E_jS1F_S1F_jjS1H_bEUljE0_EEES10_S11_S12_S19_S1D_S1F_T6_T7_T9_mT8_S1H_bDpT10_ENKUlT_T0_E_clISt17integral_constantIbLb1EES1V_EEDaS1Q_S1R_EUlS1Q_E_NS1_11comp_targetILNS1_3genE9ELNS1_11target_archE1100ELNS1_3gpuE3ELNS1_3repE0EEENS1_30default_config_static_selectorELNS0_4arch9wavefront6targetE0EEEvS13_.private_seg_size, 0
	.set _ZN7rocprim17ROCPRIM_400000_NS6detail17trampoline_kernelINS0_13select_configILj256ELj13ELNS0_17block_load_methodE3ELS4_3ELS4_3ELNS0_20block_scan_algorithmE0ELj4294967295EEENS1_25partition_config_selectorILNS1_17partition_subalgoE4EjNS0_10empty_typeEbEEZZNS1_14partition_implILS8_4ELb0ES6_15HIP_vector_typeIjLj2EENS0_17counting_iteratorIjlEEPS9_SG_NS0_5tupleIJPjSI_NS0_16reverse_iteratorISI_EEEEENSH_IJSG_SG_SG_EEES9_SI_JZNS1_25segmented_radix_sort_implINS0_14default_configELb0EPK12hip_bfloat16PSP_PKlPlN2at6native12_GLOBAL__N_18offset_tEEE10hipError_tPvRmT1_PNSt15iterator_traitsIS13_E10value_typeET2_T3_PNS14_IS19_E10value_typeET4_jRbjT5_S1F_jjP12ihipStream_tbEUljE_ZNSN_ISO_Lb0ESR_SS_SU_SV_SZ_EES10_S11_S12_S13_S17_S18_S19_S1C_S1D_jS1E_jS1F_S1F_jjS1H_bEUljE0_EEES10_S11_S12_S19_S1D_S1F_T6_T7_T9_mT8_S1H_bDpT10_ENKUlT_T0_E_clISt17integral_constantIbLb1EES1V_EEDaS1Q_S1R_EUlS1Q_E_NS1_11comp_targetILNS1_3genE9ELNS1_11target_archE1100ELNS1_3gpuE3ELNS1_3repE0EEENS1_30default_config_static_selectorELNS0_4arch9wavefront6targetE0EEEvS13_.uses_vcc, 0
	.set _ZN7rocprim17ROCPRIM_400000_NS6detail17trampoline_kernelINS0_13select_configILj256ELj13ELNS0_17block_load_methodE3ELS4_3ELS4_3ELNS0_20block_scan_algorithmE0ELj4294967295EEENS1_25partition_config_selectorILNS1_17partition_subalgoE4EjNS0_10empty_typeEbEEZZNS1_14partition_implILS8_4ELb0ES6_15HIP_vector_typeIjLj2EENS0_17counting_iteratorIjlEEPS9_SG_NS0_5tupleIJPjSI_NS0_16reverse_iteratorISI_EEEEENSH_IJSG_SG_SG_EEES9_SI_JZNS1_25segmented_radix_sort_implINS0_14default_configELb0EPK12hip_bfloat16PSP_PKlPlN2at6native12_GLOBAL__N_18offset_tEEE10hipError_tPvRmT1_PNSt15iterator_traitsIS13_E10value_typeET2_T3_PNS14_IS19_E10value_typeET4_jRbjT5_S1F_jjP12ihipStream_tbEUljE_ZNSN_ISO_Lb0ESR_SS_SU_SV_SZ_EES10_S11_S12_S13_S17_S18_S19_S1C_S1D_jS1E_jS1F_S1F_jjS1H_bEUljE0_EEES10_S11_S12_S19_S1D_S1F_T6_T7_T9_mT8_S1H_bDpT10_ENKUlT_T0_E_clISt17integral_constantIbLb1EES1V_EEDaS1Q_S1R_EUlS1Q_E_NS1_11comp_targetILNS1_3genE9ELNS1_11target_archE1100ELNS1_3gpuE3ELNS1_3repE0EEENS1_30default_config_static_selectorELNS0_4arch9wavefront6targetE0EEEvS13_.uses_flat_scratch, 0
	.set _ZN7rocprim17ROCPRIM_400000_NS6detail17trampoline_kernelINS0_13select_configILj256ELj13ELNS0_17block_load_methodE3ELS4_3ELS4_3ELNS0_20block_scan_algorithmE0ELj4294967295EEENS1_25partition_config_selectorILNS1_17partition_subalgoE4EjNS0_10empty_typeEbEEZZNS1_14partition_implILS8_4ELb0ES6_15HIP_vector_typeIjLj2EENS0_17counting_iteratorIjlEEPS9_SG_NS0_5tupleIJPjSI_NS0_16reverse_iteratorISI_EEEEENSH_IJSG_SG_SG_EEES9_SI_JZNS1_25segmented_radix_sort_implINS0_14default_configELb0EPK12hip_bfloat16PSP_PKlPlN2at6native12_GLOBAL__N_18offset_tEEE10hipError_tPvRmT1_PNSt15iterator_traitsIS13_E10value_typeET2_T3_PNS14_IS19_E10value_typeET4_jRbjT5_S1F_jjP12ihipStream_tbEUljE_ZNSN_ISO_Lb0ESR_SS_SU_SV_SZ_EES10_S11_S12_S13_S17_S18_S19_S1C_S1D_jS1E_jS1F_S1F_jjS1H_bEUljE0_EEES10_S11_S12_S19_S1D_S1F_T6_T7_T9_mT8_S1H_bDpT10_ENKUlT_T0_E_clISt17integral_constantIbLb1EES1V_EEDaS1Q_S1R_EUlS1Q_E_NS1_11comp_targetILNS1_3genE9ELNS1_11target_archE1100ELNS1_3gpuE3ELNS1_3repE0EEENS1_30default_config_static_selectorELNS0_4arch9wavefront6targetE0EEEvS13_.has_dyn_sized_stack, 0
	.set _ZN7rocprim17ROCPRIM_400000_NS6detail17trampoline_kernelINS0_13select_configILj256ELj13ELNS0_17block_load_methodE3ELS4_3ELS4_3ELNS0_20block_scan_algorithmE0ELj4294967295EEENS1_25partition_config_selectorILNS1_17partition_subalgoE4EjNS0_10empty_typeEbEEZZNS1_14partition_implILS8_4ELb0ES6_15HIP_vector_typeIjLj2EENS0_17counting_iteratorIjlEEPS9_SG_NS0_5tupleIJPjSI_NS0_16reverse_iteratorISI_EEEEENSH_IJSG_SG_SG_EEES9_SI_JZNS1_25segmented_radix_sort_implINS0_14default_configELb0EPK12hip_bfloat16PSP_PKlPlN2at6native12_GLOBAL__N_18offset_tEEE10hipError_tPvRmT1_PNSt15iterator_traitsIS13_E10value_typeET2_T3_PNS14_IS19_E10value_typeET4_jRbjT5_S1F_jjP12ihipStream_tbEUljE_ZNSN_ISO_Lb0ESR_SS_SU_SV_SZ_EES10_S11_S12_S13_S17_S18_S19_S1C_S1D_jS1E_jS1F_S1F_jjS1H_bEUljE0_EEES10_S11_S12_S19_S1D_S1F_T6_T7_T9_mT8_S1H_bDpT10_ENKUlT_T0_E_clISt17integral_constantIbLb1EES1V_EEDaS1Q_S1R_EUlS1Q_E_NS1_11comp_targetILNS1_3genE9ELNS1_11target_archE1100ELNS1_3gpuE3ELNS1_3repE0EEENS1_30default_config_static_selectorELNS0_4arch9wavefront6targetE0EEEvS13_.has_recursion, 0
	.set _ZN7rocprim17ROCPRIM_400000_NS6detail17trampoline_kernelINS0_13select_configILj256ELj13ELNS0_17block_load_methodE3ELS4_3ELS4_3ELNS0_20block_scan_algorithmE0ELj4294967295EEENS1_25partition_config_selectorILNS1_17partition_subalgoE4EjNS0_10empty_typeEbEEZZNS1_14partition_implILS8_4ELb0ES6_15HIP_vector_typeIjLj2EENS0_17counting_iteratorIjlEEPS9_SG_NS0_5tupleIJPjSI_NS0_16reverse_iteratorISI_EEEEENSH_IJSG_SG_SG_EEES9_SI_JZNS1_25segmented_radix_sort_implINS0_14default_configELb0EPK12hip_bfloat16PSP_PKlPlN2at6native12_GLOBAL__N_18offset_tEEE10hipError_tPvRmT1_PNSt15iterator_traitsIS13_E10value_typeET2_T3_PNS14_IS19_E10value_typeET4_jRbjT5_S1F_jjP12ihipStream_tbEUljE_ZNSN_ISO_Lb0ESR_SS_SU_SV_SZ_EES10_S11_S12_S13_S17_S18_S19_S1C_S1D_jS1E_jS1F_S1F_jjS1H_bEUljE0_EEES10_S11_S12_S19_S1D_S1F_T6_T7_T9_mT8_S1H_bDpT10_ENKUlT_T0_E_clISt17integral_constantIbLb1EES1V_EEDaS1Q_S1R_EUlS1Q_E_NS1_11comp_targetILNS1_3genE9ELNS1_11target_archE1100ELNS1_3gpuE3ELNS1_3repE0EEENS1_30default_config_static_selectorELNS0_4arch9wavefront6targetE0EEEvS13_.has_indirect_call, 0
	.section	.AMDGPU.csdata,"",@progbits
; Kernel info:
; codeLenInByte = 0
; TotalNumSgprs: 0
; NumVgprs: 0
; ScratchSize: 0
; MemoryBound: 0
; FloatMode: 240
; IeeeMode: 1
; LDSByteSize: 0 bytes/workgroup (compile time only)
; SGPRBlocks: 0
; VGPRBlocks: 0
; NumSGPRsForWavesPerEU: 1
; NumVGPRsForWavesPerEU: 1
; Occupancy: 16
; WaveLimiterHint : 0
; COMPUTE_PGM_RSRC2:SCRATCH_EN: 0
; COMPUTE_PGM_RSRC2:USER_SGPR: 6
; COMPUTE_PGM_RSRC2:TRAP_HANDLER: 0
; COMPUTE_PGM_RSRC2:TGID_X_EN: 1
; COMPUTE_PGM_RSRC2:TGID_Y_EN: 0
; COMPUTE_PGM_RSRC2:TGID_Z_EN: 0
; COMPUTE_PGM_RSRC2:TIDIG_COMP_CNT: 0
	.section	.text._ZN7rocprim17ROCPRIM_400000_NS6detail17trampoline_kernelINS0_13select_configILj256ELj13ELNS0_17block_load_methodE3ELS4_3ELS4_3ELNS0_20block_scan_algorithmE0ELj4294967295EEENS1_25partition_config_selectorILNS1_17partition_subalgoE4EjNS0_10empty_typeEbEEZZNS1_14partition_implILS8_4ELb0ES6_15HIP_vector_typeIjLj2EENS0_17counting_iteratorIjlEEPS9_SG_NS0_5tupleIJPjSI_NS0_16reverse_iteratorISI_EEEEENSH_IJSG_SG_SG_EEES9_SI_JZNS1_25segmented_radix_sort_implINS0_14default_configELb0EPK12hip_bfloat16PSP_PKlPlN2at6native12_GLOBAL__N_18offset_tEEE10hipError_tPvRmT1_PNSt15iterator_traitsIS13_E10value_typeET2_T3_PNS14_IS19_E10value_typeET4_jRbjT5_S1F_jjP12ihipStream_tbEUljE_ZNSN_ISO_Lb0ESR_SS_SU_SV_SZ_EES10_S11_S12_S13_S17_S18_S19_S1C_S1D_jS1E_jS1F_S1F_jjS1H_bEUljE0_EEES10_S11_S12_S19_S1D_S1F_T6_T7_T9_mT8_S1H_bDpT10_ENKUlT_T0_E_clISt17integral_constantIbLb1EES1V_EEDaS1Q_S1R_EUlS1Q_E_NS1_11comp_targetILNS1_3genE8ELNS1_11target_archE1030ELNS1_3gpuE2ELNS1_3repE0EEENS1_30default_config_static_selectorELNS0_4arch9wavefront6targetE0EEEvS13_,"axG",@progbits,_ZN7rocprim17ROCPRIM_400000_NS6detail17trampoline_kernelINS0_13select_configILj256ELj13ELNS0_17block_load_methodE3ELS4_3ELS4_3ELNS0_20block_scan_algorithmE0ELj4294967295EEENS1_25partition_config_selectorILNS1_17partition_subalgoE4EjNS0_10empty_typeEbEEZZNS1_14partition_implILS8_4ELb0ES6_15HIP_vector_typeIjLj2EENS0_17counting_iteratorIjlEEPS9_SG_NS0_5tupleIJPjSI_NS0_16reverse_iteratorISI_EEEEENSH_IJSG_SG_SG_EEES9_SI_JZNS1_25segmented_radix_sort_implINS0_14default_configELb0EPK12hip_bfloat16PSP_PKlPlN2at6native12_GLOBAL__N_18offset_tEEE10hipError_tPvRmT1_PNSt15iterator_traitsIS13_E10value_typeET2_T3_PNS14_IS19_E10value_typeET4_jRbjT5_S1F_jjP12ihipStream_tbEUljE_ZNSN_ISO_Lb0ESR_SS_SU_SV_SZ_EES10_S11_S12_S13_S17_S18_S19_S1C_S1D_jS1E_jS1F_S1F_jjS1H_bEUljE0_EEES10_S11_S12_S19_S1D_S1F_T6_T7_T9_mT8_S1H_bDpT10_ENKUlT_T0_E_clISt17integral_constantIbLb1EES1V_EEDaS1Q_S1R_EUlS1Q_E_NS1_11comp_targetILNS1_3genE8ELNS1_11target_archE1030ELNS1_3gpuE2ELNS1_3repE0EEENS1_30default_config_static_selectorELNS0_4arch9wavefront6targetE0EEEvS13_,comdat
	.globl	_ZN7rocprim17ROCPRIM_400000_NS6detail17trampoline_kernelINS0_13select_configILj256ELj13ELNS0_17block_load_methodE3ELS4_3ELS4_3ELNS0_20block_scan_algorithmE0ELj4294967295EEENS1_25partition_config_selectorILNS1_17partition_subalgoE4EjNS0_10empty_typeEbEEZZNS1_14partition_implILS8_4ELb0ES6_15HIP_vector_typeIjLj2EENS0_17counting_iteratorIjlEEPS9_SG_NS0_5tupleIJPjSI_NS0_16reverse_iteratorISI_EEEEENSH_IJSG_SG_SG_EEES9_SI_JZNS1_25segmented_radix_sort_implINS0_14default_configELb0EPK12hip_bfloat16PSP_PKlPlN2at6native12_GLOBAL__N_18offset_tEEE10hipError_tPvRmT1_PNSt15iterator_traitsIS13_E10value_typeET2_T3_PNS14_IS19_E10value_typeET4_jRbjT5_S1F_jjP12ihipStream_tbEUljE_ZNSN_ISO_Lb0ESR_SS_SU_SV_SZ_EES10_S11_S12_S13_S17_S18_S19_S1C_S1D_jS1E_jS1F_S1F_jjS1H_bEUljE0_EEES10_S11_S12_S19_S1D_S1F_T6_T7_T9_mT8_S1H_bDpT10_ENKUlT_T0_E_clISt17integral_constantIbLb1EES1V_EEDaS1Q_S1R_EUlS1Q_E_NS1_11comp_targetILNS1_3genE8ELNS1_11target_archE1030ELNS1_3gpuE2ELNS1_3repE0EEENS1_30default_config_static_selectorELNS0_4arch9wavefront6targetE0EEEvS13_ ; -- Begin function _ZN7rocprim17ROCPRIM_400000_NS6detail17trampoline_kernelINS0_13select_configILj256ELj13ELNS0_17block_load_methodE3ELS4_3ELS4_3ELNS0_20block_scan_algorithmE0ELj4294967295EEENS1_25partition_config_selectorILNS1_17partition_subalgoE4EjNS0_10empty_typeEbEEZZNS1_14partition_implILS8_4ELb0ES6_15HIP_vector_typeIjLj2EENS0_17counting_iteratorIjlEEPS9_SG_NS0_5tupleIJPjSI_NS0_16reverse_iteratorISI_EEEEENSH_IJSG_SG_SG_EEES9_SI_JZNS1_25segmented_radix_sort_implINS0_14default_configELb0EPK12hip_bfloat16PSP_PKlPlN2at6native12_GLOBAL__N_18offset_tEEE10hipError_tPvRmT1_PNSt15iterator_traitsIS13_E10value_typeET2_T3_PNS14_IS19_E10value_typeET4_jRbjT5_S1F_jjP12ihipStream_tbEUljE_ZNSN_ISO_Lb0ESR_SS_SU_SV_SZ_EES10_S11_S12_S13_S17_S18_S19_S1C_S1D_jS1E_jS1F_S1F_jjS1H_bEUljE0_EEES10_S11_S12_S19_S1D_S1F_T6_T7_T9_mT8_S1H_bDpT10_ENKUlT_T0_E_clISt17integral_constantIbLb1EES1V_EEDaS1Q_S1R_EUlS1Q_E_NS1_11comp_targetILNS1_3genE8ELNS1_11target_archE1030ELNS1_3gpuE2ELNS1_3repE0EEENS1_30default_config_static_selectorELNS0_4arch9wavefront6targetE0EEEvS13_
	.p2align	8
	.type	_ZN7rocprim17ROCPRIM_400000_NS6detail17trampoline_kernelINS0_13select_configILj256ELj13ELNS0_17block_load_methodE3ELS4_3ELS4_3ELNS0_20block_scan_algorithmE0ELj4294967295EEENS1_25partition_config_selectorILNS1_17partition_subalgoE4EjNS0_10empty_typeEbEEZZNS1_14partition_implILS8_4ELb0ES6_15HIP_vector_typeIjLj2EENS0_17counting_iteratorIjlEEPS9_SG_NS0_5tupleIJPjSI_NS0_16reverse_iteratorISI_EEEEENSH_IJSG_SG_SG_EEES9_SI_JZNS1_25segmented_radix_sort_implINS0_14default_configELb0EPK12hip_bfloat16PSP_PKlPlN2at6native12_GLOBAL__N_18offset_tEEE10hipError_tPvRmT1_PNSt15iterator_traitsIS13_E10value_typeET2_T3_PNS14_IS19_E10value_typeET4_jRbjT5_S1F_jjP12ihipStream_tbEUljE_ZNSN_ISO_Lb0ESR_SS_SU_SV_SZ_EES10_S11_S12_S13_S17_S18_S19_S1C_S1D_jS1E_jS1F_S1F_jjS1H_bEUljE0_EEES10_S11_S12_S19_S1D_S1F_T6_T7_T9_mT8_S1H_bDpT10_ENKUlT_T0_E_clISt17integral_constantIbLb1EES1V_EEDaS1Q_S1R_EUlS1Q_E_NS1_11comp_targetILNS1_3genE8ELNS1_11target_archE1030ELNS1_3gpuE2ELNS1_3repE0EEENS1_30default_config_static_selectorELNS0_4arch9wavefront6targetE0EEEvS13_,@function
_ZN7rocprim17ROCPRIM_400000_NS6detail17trampoline_kernelINS0_13select_configILj256ELj13ELNS0_17block_load_methodE3ELS4_3ELS4_3ELNS0_20block_scan_algorithmE0ELj4294967295EEENS1_25partition_config_selectorILNS1_17partition_subalgoE4EjNS0_10empty_typeEbEEZZNS1_14partition_implILS8_4ELb0ES6_15HIP_vector_typeIjLj2EENS0_17counting_iteratorIjlEEPS9_SG_NS0_5tupleIJPjSI_NS0_16reverse_iteratorISI_EEEEENSH_IJSG_SG_SG_EEES9_SI_JZNS1_25segmented_radix_sort_implINS0_14default_configELb0EPK12hip_bfloat16PSP_PKlPlN2at6native12_GLOBAL__N_18offset_tEEE10hipError_tPvRmT1_PNSt15iterator_traitsIS13_E10value_typeET2_T3_PNS14_IS19_E10value_typeET4_jRbjT5_S1F_jjP12ihipStream_tbEUljE_ZNSN_ISO_Lb0ESR_SS_SU_SV_SZ_EES10_S11_S12_S13_S17_S18_S19_S1C_S1D_jS1E_jS1F_S1F_jjS1H_bEUljE0_EEES10_S11_S12_S19_S1D_S1F_T6_T7_T9_mT8_S1H_bDpT10_ENKUlT_T0_E_clISt17integral_constantIbLb1EES1V_EEDaS1Q_S1R_EUlS1Q_E_NS1_11comp_targetILNS1_3genE8ELNS1_11target_archE1030ELNS1_3gpuE2ELNS1_3repE0EEENS1_30default_config_static_selectorELNS0_4arch9wavefront6targetE0EEEvS13_: ; @_ZN7rocprim17ROCPRIM_400000_NS6detail17trampoline_kernelINS0_13select_configILj256ELj13ELNS0_17block_load_methodE3ELS4_3ELS4_3ELNS0_20block_scan_algorithmE0ELj4294967295EEENS1_25partition_config_selectorILNS1_17partition_subalgoE4EjNS0_10empty_typeEbEEZZNS1_14partition_implILS8_4ELb0ES6_15HIP_vector_typeIjLj2EENS0_17counting_iteratorIjlEEPS9_SG_NS0_5tupleIJPjSI_NS0_16reverse_iteratorISI_EEEEENSH_IJSG_SG_SG_EEES9_SI_JZNS1_25segmented_radix_sort_implINS0_14default_configELb0EPK12hip_bfloat16PSP_PKlPlN2at6native12_GLOBAL__N_18offset_tEEE10hipError_tPvRmT1_PNSt15iterator_traitsIS13_E10value_typeET2_T3_PNS14_IS19_E10value_typeET4_jRbjT5_S1F_jjP12ihipStream_tbEUljE_ZNSN_ISO_Lb0ESR_SS_SU_SV_SZ_EES10_S11_S12_S13_S17_S18_S19_S1C_S1D_jS1E_jS1F_S1F_jjS1H_bEUljE0_EEES10_S11_S12_S19_S1D_S1F_T6_T7_T9_mT8_S1H_bDpT10_ENKUlT_T0_E_clISt17integral_constantIbLb1EES1V_EEDaS1Q_S1R_EUlS1Q_E_NS1_11comp_targetILNS1_3genE8ELNS1_11target_archE1030ELNS1_3gpuE2ELNS1_3repE0EEENS1_30default_config_static_selectorELNS0_4arch9wavefront6targetE0EEEvS13_
; %bb.0:
	s_endpgm
	.section	.rodata,"a",@progbits
	.p2align	6, 0x0
	.amdhsa_kernel _ZN7rocprim17ROCPRIM_400000_NS6detail17trampoline_kernelINS0_13select_configILj256ELj13ELNS0_17block_load_methodE3ELS4_3ELS4_3ELNS0_20block_scan_algorithmE0ELj4294967295EEENS1_25partition_config_selectorILNS1_17partition_subalgoE4EjNS0_10empty_typeEbEEZZNS1_14partition_implILS8_4ELb0ES6_15HIP_vector_typeIjLj2EENS0_17counting_iteratorIjlEEPS9_SG_NS0_5tupleIJPjSI_NS0_16reverse_iteratorISI_EEEEENSH_IJSG_SG_SG_EEES9_SI_JZNS1_25segmented_radix_sort_implINS0_14default_configELb0EPK12hip_bfloat16PSP_PKlPlN2at6native12_GLOBAL__N_18offset_tEEE10hipError_tPvRmT1_PNSt15iterator_traitsIS13_E10value_typeET2_T3_PNS14_IS19_E10value_typeET4_jRbjT5_S1F_jjP12ihipStream_tbEUljE_ZNSN_ISO_Lb0ESR_SS_SU_SV_SZ_EES10_S11_S12_S13_S17_S18_S19_S1C_S1D_jS1E_jS1F_S1F_jjS1H_bEUljE0_EEES10_S11_S12_S19_S1D_S1F_T6_T7_T9_mT8_S1H_bDpT10_ENKUlT_T0_E_clISt17integral_constantIbLb1EES1V_EEDaS1Q_S1R_EUlS1Q_E_NS1_11comp_targetILNS1_3genE8ELNS1_11target_archE1030ELNS1_3gpuE2ELNS1_3repE0EEENS1_30default_config_static_selectorELNS0_4arch9wavefront6targetE0EEEvS13_
		.amdhsa_group_segment_fixed_size 0
		.amdhsa_private_segment_fixed_size 0
		.amdhsa_kernarg_size 184
		.amdhsa_user_sgpr_count 6
		.amdhsa_user_sgpr_private_segment_buffer 1
		.amdhsa_user_sgpr_dispatch_ptr 0
		.amdhsa_user_sgpr_queue_ptr 0
		.amdhsa_user_sgpr_kernarg_segment_ptr 1
		.amdhsa_user_sgpr_dispatch_id 0
		.amdhsa_user_sgpr_flat_scratch_init 0
		.amdhsa_user_sgpr_private_segment_size 0
		.amdhsa_wavefront_size32 1
		.amdhsa_uses_dynamic_stack 0
		.amdhsa_system_sgpr_private_segment_wavefront_offset 0
		.amdhsa_system_sgpr_workgroup_id_x 1
		.amdhsa_system_sgpr_workgroup_id_y 0
		.amdhsa_system_sgpr_workgroup_id_z 0
		.amdhsa_system_sgpr_workgroup_info 0
		.amdhsa_system_vgpr_workitem_id 0
		.amdhsa_next_free_vgpr 1
		.amdhsa_next_free_sgpr 1
		.amdhsa_reserve_vcc 0
		.amdhsa_reserve_flat_scratch 0
		.amdhsa_float_round_mode_32 0
		.amdhsa_float_round_mode_16_64 0
		.amdhsa_float_denorm_mode_32 3
		.amdhsa_float_denorm_mode_16_64 3
		.amdhsa_dx10_clamp 1
		.amdhsa_ieee_mode 1
		.amdhsa_fp16_overflow 0
		.amdhsa_workgroup_processor_mode 1
		.amdhsa_memory_ordered 1
		.amdhsa_forward_progress 1
		.amdhsa_shared_vgpr_count 0
		.amdhsa_exception_fp_ieee_invalid_op 0
		.amdhsa_exception_fp_denorm_src 0
		.amdhsa_exception_fp_ieee_div_zero 0
		.amdhsa_exception_fp_ieee_overflow 0
		.amdhsa_exception_fp_ieee_underflow 0
		.amdhsa_exception_fp_ieee_inexact 0
		.amdhsa_exception_int_div_zero 0
	.end_amdhsa_kernel
	.section	.text._ZN7rocprim17ROCPRIM_400000_NS6detail17trampoline_kernelINS0_13select_configILj256ELj13ELNS0_17block_load_methodE3ELS4_3ELS4_3ELNS0_20block_scan_algorithmE0ELj4294967295EEENS1_25partition_config_selectorILNS1_17partition_subalgoE4EjNS0_10empty_typeEbEEZZNS1_14partition_implILS8_4ELb0ES6_15HIP_vector_typeIjLj2EENS0_17counting_iteratorIjlEEPS9_SG_NS0_5tupleIJPjSI_NS0_16reverse_iteratorISI_EEEEENSH_IJSG_SG_SG_EEES9_SI_JZNS1_25segmented_radix_sort_implINS0_14default_configELb0EPK12hip_bfloat16PSP_PKlPlN2at6native12_GLOBAL__N_18offset_tEEE10hipError_tPvRmT1_PNSt15iterator_traitsIS13_E10value_typeET2_T3_PNS14_IS19_E10value_typeET4_jRbjT5_S1F_jjP12ihipStream_tbEUljE_ZNSN_ISO_Lb0ESR_SS_SU_SV_SZ_EES10_S11_S12_S13_S17_S18_S19_S1C_S1D_jS1E_jS1F_S1F_jjS1H_bEUljE0_EEES10_S11_S12_S19_S1D_S1F_T6_T7_T9_mT8_S1H_bDpT10_ENKUlT_T0_E_clISt17integral_constantIbLb1EES1V_EEDaS1Q_S1R_EUlS1Q_E_NS1_11comp_targetILNS1_3genE8ELNS1_11target_archE1030ELNS1_3gpuE2ELNS1_3repE0EEENS1_30default_config_static_selectorELNS0_4arch9wavefront6targetE0EEEvS13_,"axG",@progbits,_ZN7rocprim17ROCPRIM_400000_NS6detail17trampoline_kernelINS0_13select_configILj256ELj13ELNS0_17block_load_methodE3ELS4_3ELS4_3ELNS0_20block_scan_algorithmE0ELj4294967295EEENS1_25partition_config_selectorILNS1_17partition_subalgoE4EjNS0_10empty_typeEbEEZZNS1_14partition_implILS8_4ELb0ES6_15HIP_vector_typeIjLj2EENS0_17counting_iteratorIjlEEPS9_SG_NS0_5tupleIJPjSI_NS0_16reverse_iteratorISI_EEEEENSH_IJSG_SG_SG_EEES9_SI_JZNS1_25segmented_radix_sort_implINS0_14default_configELb0EPK12hip_bfloat16PSP_PKlPlN2at6native12_GLOBAL__N_18offset_tEEE10hipError_tPvRmT1_PNSt15iterator_traitsIS13_E10value_typeET2_T3_PNS14_IS19_E10value_typeET4_jRbjT5_S1F_jjP12ihipStream_tbEUljE_ZNSN_ISO_Lb0ESR_SS_SU_SV_SZ_EES10_S11_S12_S13_S17_S18_S19_S1C_S1D_jS1E_jS1F_S1F_jjS1H_bEUljE0_EEES10_S11_S12_S19_S1D_S1F_T6_T7_T9_mT8_S1H_bDpT10_ENKUlT_T0_E_clISt17integral_constantIbLb1EES1V_EEDaS1Q_S1R_EUlS1Q_E_NS1_11comp_targetILNS1_3genE8ELNS1_11target_archE1030ELNS1_3gpuE2ELNS1_3repE0EEENS1_30default_config_static_selectorELNS0_4arch9wavefront6targetE0EEEvS13_,comdat
.Lfunc_end1990:
	.size	_ZN7rocprim17ROCPRIM_400000_NS6detail17trampoline_kernelINS0_13select_configILj256ELj13ELNS0_17block_load_methodE3ELS4_3ELS4_3ELNS0_20block_scan_algorithmE0ELj4294967295EEENS1_25partition_config_selectorILNS1_17partition_subalgoE4EjNS0_10empty_typeEbEEZZNS1_14partition_implILS8_4ELb0ES6_15HIP_vector_typeIjLj2EENS0_17counting_iteratorIjlEEPS9_SG_NS0_5tupleIJPjSI_NS0_16reverse_iteratorISI_EEEEENSH_IJSG_SG_SG_EEES9_SI_JZNS1_25segmented_radix_sort_implINS0_14default_configELb0EPK12hip_bfloat16PSP_PKlPlN2at6native12_GLOBAL__N_18offset_tEEE10hipError_tPvRmT1_PNSt15iterator_traitsIS13_E10value_typeET2_T3_PNS14_IS19_E10value_typeET4_jRbjT5_S1F_jjP12ihipStream_tbEUljE_ZNSN_ISO_Lb0ESR_SS_SU_SV_SZ_EES10_S11_S12_S13_S17_S18_S19_S1C_S1D_jS1E_jS1F_S1F_jjS1H_bEUljE0_EEES10_S11_S12_S19_S1D_S1F_T6_T7_T9_mT8_S1H_bDpT10_ENKUlT_T0_E_clISt17integral_constantIbLb1EES1V_EEDaS1Q_S1R_EUlS1Q_E_NS1_11comp_targetILNS1_3genE8ELNS1_11target_archE1030ELNS1_3gpuE2ELNS1_3repE0EEENS1_30default_config_static_selectorELNS0_4arch9wavefront6targetE0EEEvS13_, .Lfunc_end1990-_ZN7rocprim17ROCPRIM_400000_NS6detail17trampoline_kernelINS0_13select_configILj256ELj13ELNS0_17block_load_methodE3ELS4_3ELS4_3ELNS0_20block_scan_algorithmE0ELj4294967295EEENS1_25partition_config_selectorILNS1_17partition_subalgoE4EjNS0_10empty_typeEbEEZZNS1_14partition_implILS8_4ELb0ES6_15HIP_vector_typeIjLj2EENS0_17counting_iteratorIjlEEPS9_SG_NS0_5tupleIJPjSI_NS0_16reverse_iteratorISI_EEEEENSH_IJSG_SG_SG_EEES9_SI_JZNS1_25segmented_radix_sort_implINS0_14default_configELb0EPK12hip_bfloat16PSP_PKlPlN2at6native12_GLOBAL__N_18offset_tEEE10hipError_tPvRmT1_PNSt15iterator_traitsIS13_E10value_typeET2_T3_PNS14_IS19_E10value_typeET4_jRbjT5_S1F_jjP12ihipStream_tbEUljE_ZNSN_ISO_Lb0ESR_SS_SU_SV_SZ_EES10_S11_S12_S13_S17_S18_S19_S1C_S1D_jS1E_jS1F_S1F_jjS1H_bEUljE0_EEES10_S11_S12_S19_S1D_S1F_T6_T7_T9_mT8_S1H_bDpT10_ENKUlT_T0_E_clISt17integral_constantIbLb1EES1V_EEDaS1Q_S1R_EUlS1Q_E_NS1_11comp_targetILNS1_3genE8ELNS1_11target_archE1030ELNS1_3gpuE2ELNS1_3repE0EEENS1_30default_config_static_selectorELNS0_4arch9wavefront6targetE0EEEvS13_
                                        ; -- End function
	.set _ZN7rocprim17ROCPRIM_400000_NS6detail17trampoline_kernelINS0_13select_configILj256ELj13ELNS0_17block_load_methodE3ELS4_3ELS4_3ELNS0_20block_scan_algorithmE0ELj4294967295EEENS1_25partition_config_selectorILNS1_17partition_subalgoE4EjNS0_10empty_typeEbEEZZNS1_14partition_implILS8_4ELb0ES6_15HIP_vector_typeIjLj2EENS0_17counting_iteratorIjlEEPS9_SG_NS0_5tupleIJPjSI_NS0_16reverse_iteratorISI_EEEEENSH_IJSG_SG_SG_EEES9_SI_JZNS1_25segmented_radix_sort_implINS0_14default_configELb0EPK12hip_bfloat16PSP_PKlPlN2at6native12_GLOBAL__N_18offset_tEEE10hipError_tPvRmT1_PNSt15iterator_traitsIS13_E10value_typeET2_T3_PNS14_IS19_E10value_typeET4_jRbjT5_S1F_jjP12ihipStream_tbEUljE_ZNSN_ISO_Lb0ESR_SS_SU_SV_SZ_EES10_S11_S12_S13_S17_S18_S19_S1C_S1D_jS1E_jS1F_S1F_jjS1H_bEUljE0_EEES10_S11_S12_S19_S1D_S1F_T6_T7_T9_mT8_S1H_bDpT10_ENKUlT_T0_E_clISt17integral_constantIbLb1EES1V_EEDaS1Q_S1R_EUlS1Q_E_NS1_11comp_targetILNS1_3genE8ELNS1_11target_archE1030ELNS1_3gpuE2ELNS1_3repE0EEENS1_30default_config_static_selectorELNS0_4arch9wavefront6targetE0EEEvS13_.num_vgpr, 0
	.set _ZN7rocprim17ROCPRIM_400000_NS6detail17trampoline_kernelINS0_13select_configILj256ELj13ELNS0_17block_load_methodE3ELS4_3ELS4_3ELNS0_20block_scan_algorithmE0ELj4294967295EEENS1_25partition_config_selectorILNS1_17partition_subalgoE4EjNS0_10empty_typeEbEEZZNS1_14partition_implILS8_4ELb0ES6_15HIP_vector_typeIjLj2EENS0_17counting_iteratorIjlEEPS9_SG_NS0_5tupleIJPjSI_NS0_16reverse_iteratorISI_EEEEENSH_IJSG_SG_SG_EEES9_SI_JZNS1_25segmented_radix_sort_implINS0_14default_configELb0EPK12hip_bfloat16PSP_PKlPlN2at6native12_GLOBAL__N_18offset_tEEE10hipError_tPvRmT1_PNSt15iterator_traitsIS13_E10value_typeET2_T3_PNS14_IS19_E10value_typeET4_jRbjT5_S1F_jjP12ihipStream_tbEUljE_ZNSN_ISO_Lb0ESR_SS_SU_SV_SZ_EES10_S11_S12_S13_S17_S18_S19_S1C_S1D_jS1E_jS1F_S1F_jjS1H_bEUljE0_EEES10_S11_S12_S19_S1D_S1F_T6_T7_T9_mT8_S1H_bDpT10_ENKUlT_T0_E_clISt17integral_constantIbLb1EES1V_EEDaS1Q_S1R_EUlS1Q_E_NS1_11comp_targetILNS1_3genE8ELNS1_11target_archE1030ELNS1_3gpuE2ELNS1_3repE0EEENS1_30default_config_static_selectorELNS0_4arch9wavefront6targetE0EEEvS13_.num_agpr, 0
	.set _ZN7rocprim17ROCPRIM_400000_NS6detail17trampoline_kernelINS0_13select_configILj256ELj13ELNS0_17block_load_methodE3ELS4_3ELS4_3ELNS0_20block_scan_algorithmE0ELj4294967295EEENS1_25partition_config_selectorILNS1_17partition_subalgoE4EjNS0_10empty_typeEbEEZZNS1_14partition_implILS8_4ELb0ES6_15HIP_vector_typeIjLj2EENS0_17counting_iteratorIjlEEPS9_SG_NS0_5tupleIJPjSI_NS0_16reverse_iteratorISI_EEEEENSH_IJSG_SG_SG_EEES9_SI_JZNS1_25segmented_radix_sort_implINS0_14default_configELb0EPK12hip_bfloat16PSP_PKlPlN2at6native12_GLOBAL__N_18offset_tEEE10hipError_tPvRmT1_PNSt15iterator_traitsIS13_E10value_typeET2_T3_PNS14_IS19_E10value_typeET4_jRbjT5_S1F_jjP12ihipStream_tbEUljE_ZNSN_ISO_Lb0ESR_SS_SU_SV_SZ_EES10_S11_S12_S13_S17_S18_S19_S1C_S1D_jS1E_jS1F_S1F_jjS1H_bEUljE0_EEES10_S11_S12_S19_S1D_S1F_T6_T7_T9_mT8_S1H_bDpT10_ENKUlT_T0_E_clISt17integral_constantIbLb1EES1V_EEDaS1Q_S1R_EUlS1Q_E_NS1_11comp_targetILNS1_3genE8ELNS1_11target_archE1030ELNS1_3gpuE2ELNS1_3repE0EEENS1_30default_config_static_selectorELNS0_4arch9wavefront6targetE0EEEvS13_.numbered_sgpr, 0
	.set _ZN7rocprim17ROCPRIM_400000_NS6detail17trampoline_kernelINS0_13select_configILj256ELj13ELNS0_17block_load_methodE3ELS4_3ELS4_3ELNS0_20block_scan_algorithmE0ELj4294967295EEENS1_25partition_config_selectorILNS1_17partition_subalgoE4EjNS0_10empty_typeEbEEZZNS1_14partition_implILS8_4ELb0ES6_15HIP_vector_typeIjLj2EENS0_17counting_iteratorIjlEEPS9_SG_NS0_5tupleIJPjSI_NS0_16reverse_iteratorISI_EEEEENSH_IJSG_SG_SG_EEES9_SI_JZNS1_25segmented_radix_sort_implINS0_14default_configELb0EPK12hip_bfloat16PSP_PKlPlN2at6native12_GLOBAL__N_18offset_tEEE10hipError_tPvRmT1_PNSt15iterator_traitsIS13_E10value_typeET2_T3_PNS14_IS19_E10value_typeET4_jRbjT5_S1F_jjP12ihipStream_tbEUljE_ZNSN_ISO_Lb0ESR_SS_SU_SV_SZ_EES10_S11_S12_S13_S17_S18_S19_S1C_S1D_jS1E_jS1F_S1F_jjS1H_bEUljE0_EEES10_S11_S12_S19_S1D_S1F_T6_T7_T9_mT8_S1H_bDpT10_ENKUlT_T0_E_clISt17integral_constantIbLb1EES1V_EEDaS1Q_S1R_EUlS1Q_E_NS1_11comp_targetILNS1_3genE8ELNS1_11target_archE1030ELNS1_3gpuE2ELNS1_3repE0EEENS1_30default_config_static_selectorELNS0_4arch9wavefront6targetE0EEEvS13_.num_named_barrier, 0
	.set _ZN7rocprim17ROCPRIM_400000_NS6detail17trampoline_kernelINS0_13select_configILj256ELj13ELNS0_17block_load_methodE3ELS4_3ELS4_3ELNS0_20block_scan_algorithmE0ELj4294967295EEENS1_25partition_config_selectorILNS1_17partition_subalgoE4EjNS0_10empty_typeEbEEZZNS1_14partition_implILS8_4ELb0ES6_15HIP_vector_typeIjLj2EENS0_17counting_iteratorIjlEEPS9_SG_NS0_5tupleIJPjSI_NS0_16reverse_iteratorISI_EEEEENSH_IJSG_SG_SG_EEES9_SI_JZNS1_25segmented_radix_sort_implINS0_14default_configELb0EPK12hip_bfloat16PSP_PKlPlN2at6native12_GLOBAL__N_18offset_tEEE10hipError_tPvRmT1_PNSt15iterator_traitsIS13_E10value_typeET2_T3_PNS14_IS19_E10value_typeET4_jRbjT5_S1F_jjP12ihipStream_tbEUljE_ZNSN_ISO_Lb0ESR_SS_SU_SV_SZ_EES10_S11_S12_S13_S17_S18_S19_S1C_S1D_jS1E_jS1F_S1F_jjS1H_bEUljE0_EEES10_S11_S12_S19_S1D_S1F_T6_T7_T9_mT8_S1H_bDpT10_ENKUlT_T0_E_clISt17integral_constantIbLb1EES1V_EEDaS1Q_S1R_EUlS1Q_E_NS1_11comp_targetILNS1_3genE8ELNS1_11target_archE1030ELNS1_3gpuE2ELNS1_3repE0EEENS1_30default_config_static_selectorELNS0_4arch9wavefront6targetE0EEEvS13_.private_seg_size, 0
	.set _ZN7rocprim17ROCPRIM_400000_NS6detail17trampoline_kernelINS0_13select_configILj256ELj13ELNS0_17block_load_methodE3ELS4_3ELS4_3ELNS0_20block_scan_algorithmE0ELj4294967295EEENS1_25partition_config_selectorILNS1_17partition_subalgoE4EjNS0_10empty_typeEbEEZZNS1_14partition_implILS8_4ELb0ES6_15HIP_vector_typeIjLj2EENS0_17counting_iteratorIjlEEPS9_SG_NS0_5tupleIJPjSI_NS0_16reverse_iteratorISI_EEEEENSH_IJSG_SG_SG_EEES9_SI_JZNS1_25segmented_radix_sort_implINS0_14default_configELb0EPK12hip_bfloat16PSP_PKlPlN2at6native12_GLOBAL__N_18offset_tEEE10hipError_tPvRmT1_PNSt15iterator_traitsIS13_E10value_typeET2_T3_PNS14_IS19_E10value_typeET4_jRbjT5_S1F_jjP12ihipStream_tbEUljE_ZNSN_ISO_Lb0ESR_SS_SU_SV_SZ_EES10_S11_S12_S13_S17_S18_S19_S1C_S1D_jS1E_jS1F_S1F_jjS1H_bEUljE0_EEES10_S11_S12_S19_S1D_S1F_T6_T7_T9_mT8_S1H_bDpT10_ENKUlT_T0_E_clISt17integral_constantIbLb1EES1V_EEDaS1Q_S1R_EUlS1Q_E_NS1_11comp_targetILNS1_3genE8ELNS1_11target_archE1030ELNS1_3gpuE2ELNS1_3repE0EEENS1_30default_config_static_selectorELNS0_4arch9wavefront6targetE0EEEvS13_.uses_vcc, 0
	.set _ZN7rocprim17ROCPRIM_400000_NS6detail17trampoline_kernelINS0_13select_configILj256ELj13ELNS0_17block_load_methodE3ELS4_3ELS4_3ELNS0_20block_scan_algorithmE0ELj4294967295EEENS1_25partition_config_selectorILNS1_17partition_subalgoE4EjNS0_10empty_typeEbEEZZNS1_14partition_implILS8_4ELb0ES6_15HIP_vector_typeIjLj2EENS0_17counting_iteratorIjlEEPS9_SG_NS0_5tupleIJPjSI_NS0_16reverse_iteratorISI_EEEEENSH_IJSG_SG_SG_EEES9_SI_JZNS1_25segmented_radix_sort_implINS0_14default_configELb0EPK12hip_bfloat16PSP_PKlPlN2at6native12_GLOBAL__N_18offset_tEEE10hipError_tPvRmT1_PNSt15iterator_traitsIS13_E10value_typeET2_T3_PNS14_IS19_E10value_typeET4_jRbjT5_S1F_jjP12ihipStream_tbEUljE_ZNSN_ISO_Lb0ESR_SS_SU_SV_SZ_EES10_S11_S12_S13_S17_S18_S19_S1C_S1D_jS1E_jS1F_S1F_jjS1H_bEUljE0_EEES10_S11_S12_S19_S1D_S1F_T6_T7_T9_mT8_S1H_bDpT10_ENKUlT_T0_E_clISt17integral_constantIbLb1EES1V_EEDaS1Q_S1R_EUlS1Q_E_NS1_11comp_targetILNS1_3genE8ELNS1_11target_archE1030ELNS1_3gpuE2ELNS1_3repE0EEENS1_30default_config_static_selectorELNS0_4arch9wavefront6targetE0EEEvS13_.uses_flat_scratch, 0
	.set _ZN7rocprim17ROCPRIM_400000_NS6detail17trampoline_kernelINS0_13select_configILj256ELj13ELNS0_17block_load_methodE3ELS4_3ELS4_3ELNS0_20block_scan_algorithmE0ELj4294967295EEENS1_25partition_config_selectorILNS1_17partition_subalgoE4EjNS0_10empty_typeEbEEZZNS1_14partition_implILS8_4ELb0ES6_15HIP_vector_typeIjLj2EENS0_17counting_iteratorIjlEEPS9_SG_NS0_5tupleIJPjSI_NS0_16reverse_iteratorISI_EEEEENSH_IJSG_SG_SG_EEES9_SI_JZNS1_25segmented_radix_sort_implINS0_14default_configELb0EPK12hip_bfloat16PSP_PKlPlN2at6native12_GLOBAL__N_18offset_tEEE10hipError_tPvRmT1_PNSt15iterator_traitsIS13_E10value_typeET2_T3_PNS14_IS19_E10value_typeET4_jRbjT5_S1F_jjP12ihipStream_tbEUljE_ZNSN_ISO_Lb0ESR_SS_SU_SV_SZ_EES10_S11_S12_S13_S17_S18_S19_S1C_S1D_jS1E_jS1F_S1F_jjS1H_bEUljE0_EEES10_S11_S12_S19_S1D_S1F_T6_T7_T9_mT8_S1H_bDpT10_ENKUlT_T0_E_clISt17integral_constantIbLb1EES1V_EEDaS1Q_S1R_EUlS1Q_E_NS1_11comp_targetILNS1_3genE8ELNS1_11target_archE1030ELNS1_3gpuE2ELNS1_3repE0EEENS1_30default_config_static_selectorELNS0_4arch9wavefront6targetE0EEEvS13_.has_dyn_sized_stack, 0
	.set _ZN7rocprim17ROCPRIM_400000_NS6detail17trampoline_kernelINS0_13select_configILj256ELj13ELNS0_17block_load_methodE3ELS4_3ELS4_3ELNS0_20block_scan_algorithmE0ELj4294967295EEENS1_25partition_config_selectorILNS1_17partition_subalgoE4EjNS0_10empty_typeEbEEZZNS1_14partition_implILS8_4ELb0ES6_15HIP_vector_typeIjLj2EENS0_17counting_iteratorIjlEEPS9_SG_NS0_5tupleIJPjSI_NS0_16reverse_iteratorISI_EEEEENSH_IJSG_SG_SG_EEES9_SI_JZNS1_25segmented_radix_sort_implINS0_14default_configELb0EPK12hip_bfloat16PSP_PKlPlN2at6native12_GLOBAL__N_18offset_tEEE10hipError_tPvRmT1_PNSt15iterator_traitsIS13_E10value_typeET2_T3_PNS14_IS19_E10value_typeET4_jRbjT5_S1F_jjP12ihipStream_tbEUljE_ZNSN_ISO_Lb0ESR_SS_SU_SV_SZ_EES10_S11_S12_S13_S17_S18_S19_S1C_S1D_jS1E_jS1F_S1F_jjS1H_bEUljE0_EEES10_S11_S12_S19_S1D_S1F_T6_T7_T9_mT8_S1H_bDpT10_ENKUlT_T0_E_clISt17integral_constantIbLb1EES1V_EEDaS1Q_S1R_EUlS1Q_E_NS1_11comp_targetILNS1_3genE8ELNS1_11target_archE1030ELNS1_3gpuE2ELNS1_3repE0EEENS1_30default_config_static_selectorELNS0_4arch9wavefront6targetE0EEEvS13_.has_recursion, 0
	.set _ZN7rocprim17ROCPRIM_400000_NS6detail17trampoline_kernelINS0_13select_configILj256ELj13ELNS0_17block_load_methodE3ELS4_3ELS4_3ELNS0_20block_scan_algorithmE0ELj4294967295EEENS1_25partition_config_selectorILNS1_17partition_subalgoE4EjNS0_10empty_typeEbEEZZNS1_14partition_implILS8_4ELb0ES6_15HIP_vector_typeIjLj2EENS0_17counting_iteratorIjlEEPS9_SG_NS0_5tupleIJPjSI_NS0_16reverse_iteratorISI_EEEEENSH_IJSG_SG_SG_EEES9_SI_JZNS1_25segmented_radix_sort_implINS0_14default_configELb0EPK12hip_bfloat16PSP_PKlPlN2at6native12_GLOBAL__N_18offset_tEEE10hipError_tPvRmT1_PNSt15iterator_traitsIS13_E10value_typeET2_T3_PNS14_IS19_E10value_typeET4_jRbjT5_S1F_jjP12ihipStream_tbEUljE_ZNSN_ISO_Lb0ESR_SS_SU_SV_SZ_EES10_S11_S12_S13_S17_S18_S19_S1C_S1D_jS1E_jS1F_S1F_jjS1H_bEUljE0_EEES10_S11_S12_S19_S1D_S1F_T6_T7_T9_mT8_S1H_bDpT10_ENKUlT_T0_E_clISt17integral_constantIbLb1EES1V_EEDaS1Q_S1R_EUlS1Q_E_NS1_11comp_targetILNS1_3genE8ELNS1_11target_archE1030ELNS1_3gpuE2ELNS1_3repE0EEENS1_30default_config_static_selectorELNS0_4arch9wavefront6targetE0EEEvS13_.has_indirect_call, 0
	.section	.AMDGPU.csdata,"",@progbits
; Kernel info:
; codeLenInByte = 4
; TotalNumSgprs: 0
; NumVgprs: 0
; ScratchSize: 0
; MemoryBound: 0
; FloatMode: 240
; IeeeMode: 1
; LDSByteSize: 0 bytes/workgroup (compile time only)
; SGPRBlocks: 0
; VGPRBlocks: 0
; NumSGPRsForWavesPerEU: 1
; NumVGPRsForWavesPerEU: 1
; Occupancy: 16
; WaveLimiterHint : 0
; COMPUTE_PGM_RSRC2:SCRATCH_EN: 0
; COMPUTE_PGM_RSRC2:USER_SGPR: 6
; COMPUTE_PGM_RSRC2:TRAP_HANDLER: 0
; COMPUTE_PGM_RSRC2:TGID_X_EN: 1
; COMPUTE_PGM_RSRC2:TGID_Y_EN: 0
; COMPUTE_PGM_RSRC2:TGID_Z_EN: 0
; COMPUTE_PGM_RSRC2:TIDIG_COMP_CNT: 0
	.section	.text._ZN7rocprim17ROCPRIM_400000_NS6detail17trampoline_kernelINS0_13select_configILj256ELj13ELNS0_17block_load_methodE3ELS4_3ELS4_3ELNS0_20block_scan_algorithmE0ELj4294967295EEENS1_25partition_config_selectorILNS1_17partition_subalgoE4EjNS0_10empty_typeEbEEZZNS1_14partition_implILS8_4ELb0ES6_15HIP_vector_typeIjLj2EENS0_17counting_iteratorIjlEEPS9_SG_NS0_5tupleIJPjSI_NS0_16reverse_iteratorISI_EEEEENSH_IJSG_SG_SG_EEES9_SI_JZNS1_25segmented_radix_sort_implINS0_14default_configELb0EPK12hip_bfloat16PSP_PKlPlN2at6native12_GLOBAL__N_18offset_tEEE10hipError_tPvRmT1_PNSt15iterator_traitsIS13_E10value_typeET2_T3_PNS14_IS19_E10value_typeET4_jRbjT5_S1F_jjP12ihipStream_tbEUljE_ZNSN_ISO_Lb0ESR_SS_SU_SV_SZ_EES10_S11_S12_S13_S17_S18_S19_S1C_S1D_jS1E_jS1F_S1F_jjS1H_bEUljE0_EEES10_S11_S12_S19_S1D_S1F_T6_T7_T9_mT8_S1H_bDpT10_ENKUlT_T0_E_clISt17integral_constantIbLb1EES1U_IbLb0EEEEDaS1Q_S1R_EUlS1Q_E_NS1_11comp_targetILNS1_3genE0ELNS1_11target_archE4294967295ELNS1_3gpuE0ELNS1_3repE0EEENS1_30default_config_static_selectorELNS0_4arch9wavefront6targetE0EEEvS13_,"axG",@progbits,_ZN7rocprim17ROCPRIM_400000_NS6detail17trampoline_kernelINS0_13select_configILj256ELj13ELNS0_17block_load_methodE3ELS4_3ELS4_3ELNS0_20block_scan_algorithmE0ELj4294967295EEENS1_25partition_config_selectorILNS1_17partition_subalgoE4EjNS0_10empty_typeEbEEZZNS1_14partition_implILS8_4ELb0ES6_15HIP_vector_typeIjLj2EENS0_17counting_iteratorIjlEEPS9_SG_NS0_5tupleIJPjSI_NS0_16reverse_iteratorISI_EEEEENSH_IJSG_SG_SG_EEES9_SI_JZNS1_25segmented_radix_sort_implINS0_14default_configELb0EPK12hip_bfloat16PSP_PKlPlN2at6native12_GLOBAL__N_18offset_tEEE10hipError_tPvRmT1_PNSt15iterator_traitsIS13_E10value_typeET2_T3_PNS14_IS19_E10value_typeET4_jRbjT5_S1F_jjP12ihipStream_tbEUljE_ZNSN_ISO_Lb0ESR_SS_SU_SV_SZ_EES10_S11_S12_S13_S17_S18_S19_S1C_S1D_jS1E_jS1F_S1F_jjS1H_bEUljE0_EEES10_S11_S12_S19_S1D_S1F_T6_T7_T9_mT8_S1H_bDpT10_ENKUlT_T0_E_clISt17integral_constantIbLb1EES1U_IbLb0EEEEDaS1Q_S1R_EUlS1Q_E_NS1_11comp_targetILNS1_3genE0ELNS1_11target_archE4294967295ELNS1_3gpuE0ELNS1_3repE0EEENS1_30default_config_static_selectorELNS0_4arch9wavefront6targetE0EEEvS13_,comdat
	.globl	_ZN7rocprim17ROCPRIM_400000_NS6detail17trampoline_kernelINS0_13select_configILj256ELj13ELNS0_17block_load_methodE3ELS4_3ELS4_3ELNS0_20block_scan_algorithmE0ELj4294967295EEENS1_25partition_config_selectorILNS1_17partition_subalgoE4EjNS0_10empty_typeEbEEZZNS1_14partition_implILS8_4ELb0ES6_15HIP_vector_typeIjLj2EENS0_17counting_iteratorIjlEEPS9_SG_NS0_5tupleIJPjSI_NS0_16reverse_iteratorISI_EEEEENSH_IJSG_SG_SG_EEES9_SI_JZNS1_25segmented_radix_sort_implINS0_14default_configELb0EPK12hip_bfloat16PSP_PKlPlN2at6native12_GLOBAL__N_18offset_tEEE10hipError_tPvRmT1_PNSt15iterator_traitsIS13_E10value_typeET2_T3_PNS14_IS19_E10value_typeET4_jRbjT5_S1F_jjP12ihipStream_tbEUljE_ZNSN_ISO_Lb0ESR_SS_SU_SV_SZ_EES10_S11_S12_S13_S17_S18_S19_S1C_S1D_jS1E_jS1F_S1F_jjS1H_bEUljE0_EEES10_S11_S12_S19_S1D_S1F_T6_T7_T9_mT8_S1H_bDpT10_ENKUlT_T0_E_clISt17integral_constantIbLb1EES1U_IbLb0EEEEDaS1Q_S1R_EUlS1Q_E_NS1_11comp_targetILNS1_3genE0ELNS1_11target_archE4294967295ELNS1_3gpuE0ELNS1_3repE0EEENS1_30default_config_static_selectorELNS0_4arch9wavefront6targetE0EEEvS13_ ; -- Begin function _ZN7rocprim17ROCPRIM_400000_NS6detail17trampoline_kernelINS0_13select_configILj256ELj13ELNS0_17block_load_methodE3ELS4_3ELS4_3ELNS0_20block_scan_algorithmE0ELj4294967295EEENS1_25partition_config_selectorILNS1_17partition_subalgoE4EjNS0_10empty_typeEbEEZZNS1_14partition_implILS8_4ELb0ES6_15HIP_vector_typeIjLj2EENS0_17counting_iteratorIjlEEPS9_SG_NS0_5tupleIJPjSI_NS0_16reverse_iteratorISI_EEEEENSH_IJSG_SG_SG_EEES9_SI_JZNS1_25segmented_radix_sort_implINS0_14default_configELb0EPK12hip_bfloat16PSP_PKlPlN2at6native12_GLOBAL__N_18offset_tEEE10hipError_tPvRmT1_PNSt15iterator_traitsIS13_E10value_typeET2_T3_PNS14_IS19_E10value_typeET4_jRbjT5_S1F_jjP12ihipStream_tbEUljE_ZNSN_ISO_Lb0ESR_SS_SU_SV_SZ_EES10_S11_S12_S13_S17_S18_S19_S1C_S1D_jS1E_jS1F_S1F_jjS1H_bEUljE0_EEES10_S11_S12_S19_S1D_S1F_T6_T7_T9_mT8_S1H_bDpT10_ENKUlT_T0_E_clISt17integral_constantIbLb1EES1U_IbLb0EEEEDaS1Q_S1R_EUlS1Q_E_NS1_11comp_targetILNS1_3genE0ELNS1_11target_archE4294967295ELNS1_3gpuE0ELNS1_3repE0EEENS1_30default_config_static_selectorELNS0_4arch9wavefront6targetE0EEEvS13_
	.p2align	8
	.type	_ZN7rocprim17ROCPRIM_400000_NS6detail17trampoline_kernelINS0_13select_configILj256ELj13ELNS0_17block_load_methodE3ELS4_3ELS4_3ELNS0_20block_scan_algorithmE0ELj4294967295EEENS1_25partition_config_selectorILNS1_17partition_subalgoE4EjNS0_10empty_typeEbEEZZNS1_14partition_implILS8_4ELb0ES6_15HIP_vector_typeIjLj2EENS0_17counting_iteratorIjlEEPS9_SG_NS0_5tupleIJPjSI_NS0_16reverse_iteratorISI_EEEEENSH_IJSG_SG_SG_EEES9_SI_JZNS1_25segmented_radix_sort_implINS0_14default_configELb0EPK12hip_bfloat16PSP_PKlPlN2at6native12_GLOBAL__N_18offset_tEEE10hipError_tPvRmT1_PNSt15iterator_traitsIS13_E10value_typeET2_T3_PNS14_IS19_E10value_typeET4_jRbjT5_S1F_jjP12ihipStream_tbEUljE_ZNSN_ISO_Lb0ESR_SS_SU_SV_SZ_EES10_S11_S12_S13_S17_S18_S19_S1C_S1D_jS1E_jS1F_S1F_jjS1H_bEUljE0_EEES10_S11_S12_S19_S1D_S1F_T6_T7_T9_mT8_S1H_bDpT10_ENKUlT_T0_E_clISt17integral_constantIbLb1EES1U_IbLb0EEEEDaS1Q_S1R_EUlS1Q_E_NS1_11comp_targetILNS1_3genE0ELNS1_11target_archE4294967295ELNS1_3gpuE0ELNS1_3repE0EEENS1_30default_config_static_selectorELNS0_4arch9wavefront6targetE0EEEvS13_,@function
_ZN7rocprim17ROCPRIM_400000_NS6detail17trampoline_kernelINS0_13select_configILj256ELj13ELNS0_17block_load_methodE3ELS4_3ELS4_3ELNS0_20block_scan_algorithmE0ELj4294967295EEENS1_25partition_config_selectorILNS1_17partition_subalgoE4EjNS0_10empty_typeEbEEZZNS1_14partition_implILS8_4ELb0ES6_15HIP_vector_typeIjLj2EENS0_17counting_iteratorIjlEEPS9_SG_NS0_5tupleIJPjSI_NS0_16reverse_iteratorISI_EEEEENSH_IJSG_SG_SG_EEES9_SI_JZNS1_25segmented_radix_sort_implINS0_14default_configELb0EPK12hip_bfloat16PSP_PKlPlN2at6native12_GLOBAL__N_18offset_tEEE10hipError_tPvRmT1_PNSt15iterator_traitsIS13_E10value_typeET2_T3_PNS14_IS19_E10value_typeET4_jRbjT5_S1F_jjP12ihipStream_tbEUljE_ZNSN_ISO_Lb0ESR_SS_SU_SV_SZ_EES10_S11_S12_S13_S17_S18_S19_S1C_S1D_jS1E_jS1F_S1F_jjS1H_bEUljE0_EEES10_S11_S12_S19_S1D_S1F_T6_T7_T9_mT8_S1H_bDpT10_ENKUlT_T0_E_clISt17integral_constantIbLb1EES1U_IbLb0EEEEDaS1Q_S1R_EUlS1Q_E_NS1_11comp_targetILNS1_3genE0ELNS1_11target_archE4294967295ELNS1_3gpuE0ELNS1_3repE0EEENS1_30default_config_static_selectorELNS0_4arch9wavefront6targetE0EEEvS13_: ; @_ZN7rocprim17ROCPRIM_400000_NS6detail17trampoline_kernelINS0_13select_configILj256ELj13ELNS0_17block_load_methodE3ELS4_3ELS4_3ELNS0_20block_scan_algorithmE0ELj4294967295EEENS1_25partition_config_selectorILNS1_17partition_subalgoE4EjNS0_10empty_typeEbEEZZNS1_14partition_implILS8_4ELb0ES6_15HIP_vector_typeIjLj2EENS0_17counting_iteratorIjlEEPS9_SG_NS0_5tupleIJPjSI_NS0_16reverse_iteratorISI_EEEEENSH_IJSG_SG_SG_EEES9_SI_JZNS1_25segmented_radix_sort_implINS0_14default_configELb0EPK12hip_bfloat16PSP_PKlPlN2at6native12_GLOBAL__N_18offset_tEEE10hipError_tPvRmT1_PNSt15iterator_traitsIS13_E10value_typeET2_T3_PNS14_IS19_E10value_typeET4_jRbjT5_S1F_jjP12ihipStream_tbEUljE_ZNSN_ISO_Lb0ESR_SS_SU_SV_SZ_EES10_S11_S12_S13_S17_S18_S19_S1C_S1D_jS1E_jS1F_S1F_jjS1H_bEUljE0_EEES10_S11_S12_S19_S1D_S1F_T6_T7_T9_mT8_S1H_bDpT10_ENKUlT_T0_E_clISt17integral_constantIbLb1EES1U_IbLb0EEEEDaS1Q_S1R_EUlS1Q_E_NS1_11comp_targetILNS1_3genE0ELNS1_11target_archE4294967295ELNS1_3gpuE0ELNS1_3repE0EEENS1_30default_config_static_selectorELNS0_4arch9wavefront6targetE0EEEvS13_
; %bb.0:
	.section	.rodata,"a",@progbits
	.p2align	6, 0x0
	.amdhsa_kernel _ZN7rocprim17ROCPRIM_400000_NS6detail17trampoline_kernelINS0_13select_configILj256ELj13ELNS0_17block_load_methodE3ELS4_3ELS4_3ELNS0_20block_scan_algorithmE0ELj4294967295EEENS1_25partition_config_selectorILNS1_17partition_subalgoE4EjNS0_10empty_typeEbEEZZNS1_14partition_implILS8_4ELb0ES6_15HIP_vector_typeIjLj2EENS0_17counting_iteratorIjlEEPS9_SG_NS0_5tupleIJPjSI_NS0_16reverse_iteratorISI_EEEEENSH_IJSG_SG_SG_EEES9_SI_JZNS1_25segmented_radix_sort_implINS0_14default_configELb0EPK12hip_bfloat16PSP_PKlPlN2at6native12_GLOBAL__N_18offset_tEEE10hipError_tPvRmT1_PNSt15iterator_traitsIS13_E10value_typeET2_T3_PNS14_IS19_E10value_typeET4_jRbjT5_S1F_jjP12ihipStream_tbEUljE_ZNSN_ISO_Lb0ESR_SS_SU_SV_SZ_EES10_S11_S12_S13_S17_S18_S19_S1C_S1D_jS1E_jS1F_S1F_jjS1H_bEUljE0_EEES10_S11_S12_S19_S1D_S1F_T6_T7_T9_mT8_S1H_bDpT10_ENKUlT_T0_E_clISt17integral_constantIbLb1EES1U_IbLb0EEEEDaS1Q_S1R_EUlS1Q_E_NS1_11comp_targetILNS1_3genE0ELNS1_11target_archE4294967295ELNS1_3gpuE0ELNS1_3repE0EEENS1_30default_config_static_selectorELNS0_4arch9wavefront6targetE0EEEvS13_
		.amdhsa_group_segment_fixed_size 0
		.amdhsa_private_segment_fixed_size 0
		.amdhsa_kernarg_size 176
		.amdhsa_user_sgpr_count 6
		.amdhsa_user_sgpr_private_segment_buffer 1
		.amdhsa_user_sgpr_dispatch_ptr 0
		.amdhsa_user_sgpr_queue_ptr 0
		.amdhsa_user_sgpr_kernarg_segment_ptr 1
		.amdhsa_user_sgpr_dispatch_id 0
		.amdhsa_user_sgpr_flat_scratch_init 0
		.amdhsa_user_sgpr_private_segment_size 0
		.amdhsa_wavefront_size32 1
		.amdhsa_uses_dynamic_stack 0
		.amdhsa_system_sgpr_private_segment_wavefront_offset 0
		.amdhsa_system_sgpr_workgroup_id_x 1
		.amdhsa_system_sgpr_workgroup_id_y 0
		.amdhsa_system_sgpr_workgroup_id_z 0
		.amdhsa_system_sgpr_workgroup_info 0
		.amdhsa_system_vgpr_workitem_id 0
		.amdhsa_next_free_vgpr 1
		.amdhsa_next_free_sgpr 1
		.amdhsa_reserve_vcc 0
		.amdhsa_reserve_flat_scratch 0
		.amdhsa_float_round_mode_32 0
		.amdhsa_float_round_mode_16_64 0
		.amdhsa_float_denorm_mode_32 3
		.amdhsa_float_denorm_mode_16_64 3
		.amdhsa_dx10_clamp 1
		.amdhsa_ieee_mode 1
		.amdhsa_fp16_overflow 0
		.amdhsa_workgroup_processor_mode 1
		.amdhsa_memory_ordered 1
		.amdhsa_forward_progress 1
		.amdhsa_shared_vgpr_count 0
		.amdhsa_exception_fp_ieee_invalid_op 0
		.amdhsa_exception_fp_denorm_src 0
		.amdhsa_exception_fp_ieee_div_zero 0
		.amdhsa_exception_fp_ieee_overflow 0
		.amdhsa_exception_fp_ieee_underflow 0
		.amdhsa_exception_fp_ieee_inexact 0
		.amdhsa_exception_int_div_zero 0
	.end_amdhsa_kernel
	.section	.text._ZN7rocprim17ROCPRIM_400000_NS6detail17trampoline_kernelINS0_13select_configILj256ELj13ELNS0_17block_load_methodE3ELS4_3ELS4_3ELNS0_20block_scan_algorithmE0ELj4294967295EEENS1_25partition_config_selectorILNS1_17partition_subalgoE4EjNS0_10empty_typeEbEEZZNS1_14partition_implILS8_4ELb0ES6_15HIP_vector_typeIjLj2EENS0_17counting_iteratorIjlEEPS9_SG_NS0_5tupleIJPjSI_NS0_16reverse_iteratorISI_EEEEENSH_IJSG_SG_SG_EEES9_SI_JZNS1_25segmented_radix_sort_implINS0_14default_configELb0EPK12hip_bfloat16PSP_PKlPlN2at6native12_GLOBAL__N_18offset_tEEE10hipError_tPvRmT1_PNSt15iterator_traitsIS13_E10value_typeET2_T3_PNS14_IS19_E10value_typeET4_jRbjT5_S1F_jjP12ihipStream_tbEUljE_ZNSN_ISO_Lb0ESR_SS_SU_SV_SZ_EES10_S11_S12_S13_S17_S18_S19_S1C_S1D_jS1E_jS1F_S1F_jjS1H_bEUljE0_EEES10_S11_S12_S19_S1D_S1F_T6_T7_T9_mT8_S1H_bDpT10_ENKUlT_T0_E_clISt17integral_constantIbLb1EES1U_IbLb0EEEEDaS1Q_S1R_EUlS1Q_E_NS1_11comp_targetILNS1_3genE0ELNS1_11target_archE4294967295ELNS1_3gpuE0ELNS1_3repE0EEENS1_30default_config_static_selectorELNS0_4arch9wavefront6targetE0EEEvS13_,"axG",@progbits,_ZN7rocprim17ROCPRIM_400000_NS6detail17trampoline_kernelINS0_13select_configILj256ELj13ELNS0_17block_load_methodE3ELS4_3ELS4_3ELNS0_20block_scan_algorithmE0ELj4294967295EEENS1_25partition_config_selectorILNS1_17partition_subalgoE4EjNS0_10empty_typeEbEEZZNS1_14partition_implILS8_4ELb0ES6_15HIP_vector_typeIjLj2EENS0_17counting_iteratorIjlEEPS9_SG_NS0_5tupleIJPjSI_NS0_16reverse_iteratorISI_EEEEENSH_IJSG_SG_SG_EEES9_SI_JZNS1_25segmented_radix_sort_implINS0_14default_configELb0EPK12hip_bfloat16PSP_PKlPlN2at6native12_GLOBAL__N_18offset_tEEE10hipError_tPvRmT1_PNSt15iterator_traitsIS13_E10value_typeET2_T3_PNS14_IS19_E10value_typeET4_jRbjT5_S1F_jjP12ihipStream_tbEUljE_ZNSN_ISO_Lb0ESR_SS_SU_SV_SZ_EES10_S11_S12_S13_S17_S18_S19_S1C_S1D_jS1E_jS1F_S1F_jjS1H_bEUljE0_EEES10_S11_S12_S19_S1D_S1F_T6_T7_T9_mT8_S1H_bDpT10_ENKUlT_T0_E_clISt17integral_constantIbLb1EES1U_IbLb0EEEEDaS1Q_S1R_EUlS1Q_E_NS1_11comp_targetILNS1_3genE0ELNS1_11target_archE4294967295ELNS1_3gpuE0ELNS1_3repE0EEENS1_30default_config_static_selectorELNS0_4arch9wavefront6targetE0EEEvS13_,comdat
.Lfunc_end1991:
	.size	_ZN7rocprim17ROCPRIM_400000_NS6detail17trampoline_kernelINS0_13select_configILj256ELj13ELNS0_17block_load_methodE3ELS4_3ELS4_3ELNS0_20block_scan_algorithmE0ELj4294967295EEENS1_25partition_config_selectorILNS1_17partition_subalgoE4EjNS0_10empty_typeEbEEZZNS1_14partition_implILS8_4ELb0ES6_15HIP_vector_typeIjLj2EENS0_17counting_iteratorIjlEEPS9_SG_NS0_5tupleIJPjSI_NS0_16reverse_iteratorISI_EEEEENSH_IJSG_SG_SG_EEES9_SI_JZNS1_25segmented_radix_sort_implINS0_14default_configELb0EPK12hip_bfloat16PSP_PKlPlN2at6native12_GLOBAL__N_18offset_tEEE10hipError_tPvRmT1_PNSt15iterator_traitsIS13_E10value_typeET2_T3_PNS14_IS19_E10value_typeET4_jRbjT5_S1F_jjP12ihipStream_tbEUljE_ZNSN_ISO_Lb0ESR_SS_SU_SV_SZ_EES10_S11_S12_S13_S17_S18_S19_S1C_S1D_jS1E_jS1F_S1F_jjS1H_bEUljE0_EEES10_S11_S12_S19_S1D_S1F_T6_T7_T9_mT8_S1H_bDpT10_ENKUlT_T0_E_clISt17integral_constantIbLb1EES1U_IbLb0EEEEDaS1Q_S1R_EUlS1Q_E_NS1_11comp_targetILNS1_3genE0ELNS1_11target_archE4294967295ELNS1_3gpuE0ELNS1_3repE0EEENS1_30default_config_static_selectorELNS0_4arch9wavefront6targetE0EEEvS13_, .Lfunc_end1991-_ZN7rocprim17ROCPRIM_400000_NS6detail17trampoline_kernelINS0_13select_configILj256ELj13ELNS0_17block_load_methodE3ELS4_3ELS4_3ELNS0_20block_scan_algorithmE0ELj4294967295EEENS1_25partition_config_selectorILNS1_17partition_subalgoE4EjNS0_10empty_typeEbEEZZNS1_14partition_implILS8_4ELb0ES6_15HIP_vector_typeIjLj2EENS0_17counting_iteratorIjlEEPS9_SG_NS0_5tupleIJPjSI_NS0_16reverse_iteratorISI_EEEEENSH_IJSG_SG_SG_EEES9_SI_JZNS1_25segmented_radix_sort_implINS0_14default_configELb0EPK12hip_bfloat16PSP_PKlPlN2at6native12_GLOBAL__N_18offset_tEEE10hipError_tPvRmT1_PNSt15iterator_traitsIS13_E10value_typeET2_T3_PNS14_IS19_E10value_typeET4_jRbjT5_S1F_jjP12ihipStream_tbEUljE_ZNSN_ISO_Lb0ESR_SS_SU_SV_SZ_EES10_S11_S12_S13_S17_S18_S19_S1C_S1D_jS1E_jS1F_S1F_jjS1H_bEUljE0_EEES10_S11_S12_S19_S1D_S1F_T6_T7_T9_mT8_S1H_bDpT10_ENKUlT_T0_E_clISt17integral_constantIbLb1EES1U_IbLb0EEEEDaS1Q_S1R_EUlS1Q_E_NS1_11comp_targetILNS1_3genE0ELNS1_11target_archE4294967295ELNS1_3gpuE0ELNS1_3repE0EEENS1_30default_config_static_selectorELNS0_4arch9wavefront6targetE0EEEvS13_
                                        ; -- End function
	.set _ZN7rocprim17ROCPRIM_400000_NS6detail17trampoline_kernelINS0_13select_configILj256ELj13ELNS0_17block_load_methodE3ELS4_3ELS4_3ELNS0_20block_scan_algorithmE0ELj4294967295EEENS1_25partition_config_selectorILNS1_17partition_subalgoE4EjNS0_10empty_typeEbEEZZNS1_14partition_implILS8_4ELb0ES6_15HIP_vector_typeIjLj2EENS0_17counting_iteratorIjlEEPS9_SG_NS0_5tupleIJPjSI_NS0_16reverse_iteratorISI_EEEEENSH_IJSG_SG_SG_EEES9_SI_JZNS1_25segmented_radix_sort_implINS0_14default_configELb0EPK12hip_bfloat16PSP_PKlPlN2at6native12_GLOBAL__N_18offset_tEEE10hipError_tPvRmT1_PNSt15iterator_traitsIS13_E10value_typeET2_T3_PNS14_IS19_E10value_typeET4_jRbjT5_S1F_jjP12ihipStream_tbEUljE_ZNSN_ISO_Lb0ESR_SS_SU_SV_SZ_EES10_S11_S12_S13_S17_S18_S19_S1C_S1D_jS1E_jS1F_S1F_jjS1H_bEUljE0_EEES10_S11_S12_S19_S1D_S1F_T6_T7_T9_mT8_S1H_bDpT10_ENKUlT_T0_E_clISt17integral_constantIbLb1EES1U_IbLb0EEEEDaS1Q_S1R_EUlS1Q_E_NS1_11comp_targetILNS1_3genE0ELNS1_11target_archE4294967295ELNS1_3gpuE0ELNS1_3repE0EEENS1_30default_config_static_selectorELNS0_4arch9wavefront6targetE0EEEvS13_.num_vgpr, 0
	.set _ZN7rocprim17ROCPRIM_400000_NS6detail17trampoline_kernelINS0_13select_configILj256ELj13ELNS0_17block_load_methodE3ELS4_3ELS4_3ELNS0_20block_scan_algorithmE0ELj4294967295EEENS1_25partition_config_selectorILNS1_17partition_subalgoE4EjNS0_10empty_typeEbEEZZNS1_14partition_implILS8_4ELb0ES6_15HIP_vector_typeIjLj2EENS0_17counting_iteratorIjlEEPS9_SG_NS0_5tupleIJPjSI_NS0_16reverse_iteratorISI_EEEEENSH_IJSG_SG_SG_EEES9_SI_JZNS1_25segmented_radix_sort_implINS0_14default_configELb0EPK12hip_bfloat16PSP_PKlPlN2at6native12_GLOBAL__N_18offset_tEEE10hipError_tPvRmT1_PNSt15iterator_traitsIS13_E10value_typeET2_T3_PNS14_IS19_E10value_typeET4_jRbjT5_S1F_jjP12ihipStream_tbEUljE_ZNSN_ISO_Lb0ESR_SS_SU_SV_SZ_EES10_S11_S12_S13_S17_S18_S19_S1C_S1D_jS1E_jS1F_S1F_jjS1H_bEUljE0_EEES10_S11_S12_S19_S1D_S1F_T6_T7_T9_mT8_S1H_bDpT10_ENKUlT_T0_E_clISt17integral_constantIbLb1EES1U_IbLb0EEEEDaS1Q_S1R_EUlS1Q_E_NS1_11comp_targetILNS1_3genE0ELNS1_11target_archE4294967295ELNS1_3gpuE0ELNS1_3repE0EEENS1_30default_config_static_selectorELNS0_4arch9wavefront6targetE0EEEvS13_.num_agpr, 0
	.set _ZN7rocprim17ROCPRIM_400000_NS6detail17trampoline_kernelINS0_13select_configILj256ELj13ELNS0_17block_load_methodE3ELS4_3ELS4_3ELNS0_20block_scan_algorithmE0ELj4294967295EEENS1_25partition_config_selectorILNS1_17partition_subalgoE4EjNS0_10empty_typeEbEEZZNS1_14partition_implILS8_4ELb0ES6_15HIP_vector_typeIjLj2EENS0_17counting_iteratorIjlEEPS9_SG_NS0_5tupleIJPjSI_NS0_16reverse_iteratorISI_EEEEENSH_IJSG_SG_SG_EEES9_SI_JZNS1_25segmented_radix_sort_implINS0_14default_configELb0EPK12hip_bfloat16PSP_PKlPlN2at6native12_GLOBAL__N_18offset_tEEE10hipError_tPvRmT1_PNSt15iterator_traitsIS13_E10value_typeET2_T3_PNS14_IS19_E10value_typeET4_jRbjT5_S1F_jjP12ihipStream_tbEUljE_ZNSN_ISO_Lb0ESR_SS_SU_SV_SZ_EES10_S11_S12_S13_S17_S18_S19_S1C_S1D_jS1E_jS1F_S1F_jjS1H_bEUljE0_EEES10_S11_S12_S19_S1D_S1F_T6_T7_T9_mT8_S1H_bDpT10_ENKUlT_T0_E_clISt17integral_constantIbLb1EES1U_IbLb0EEEEDaS1Q_S1R_EUlS1Q_E_NS1_11comp_targetILNS1_3genE0ELNS1_11target_archE4294967295ELNS1_3gpuE0ELNS1_3repE0EEENS1_30default_config_static_selectorELNS0_4arch9wavefront6targetE0EEEvS13_.numbered_sgpr, 0
	.set _ZN7rocprim17ROCPRIM_400000_NS6detail17trampoline_kernelINS0_13select_configILj256ELj13ELNS0_17block_load_methodE3ELS4_3ELS4_3ELNS0_20block_scan_algorithmE0ELj4294967295EEENS1_25partition_config_selectorILNS1_17partition_subalgoE4EjNS0_10empty_typeEbEEZZNS1_14partition_implILS8_4ELb0ES6_15HIP_vector_typeIjLj2EENS0_17counting_iteratorIjlEEPS9_SG_NS0_5tupleIJPjSI_NS0_16reverse_iteratorISI_EEEEENSH_IJSG_SG_SG_EEES9_SI_JZNS1_25segmented_radix_sort_implINS0_14default_configELb0EPK12hip_bfloat16PSP_PKlPlN2at6native12_GLOBAL__N_18offset_tEEE10hipError_tPvRmT1_PNSt15iterator_traitsIS13_E10value_typeET2_T3_PNS14_IS19_E10value_typeET4_jRbjT5_S1F_jjP12ihipStream_tbEUljE_ZNSN_ISO_Lb0ESR_SS_SU_SV_SZ_EES10_S11_S12_S13_S17_S18_S19_S1C_S1D_jS1E_jS1F_S1F_jjS1H_bEUljE0_EEES10_S11_S12_S19_S1D_S1F_T6_T7_T9_mT8_S1H_bDpT10_ENKUlT_T0_E_clISt17integral_constantIbLb1EES1U_IbLb0EEEEDaS1Q_S1R_EUlS1Q_E_NS1_11comp_targetILNS1_3genE0ELNS1_11target_archE4294967295ELNS1_3gpuE0ELNS1_3repE0EEENS1_30default_config_static_selectorELNS0_4arch9wavefront6targetE0EEEvS13_.num_named_barrier, 0
	.set _ZN7rocprim17ROCPRIM_400000_NS6detail17trampoline_kernelINS0_13select_configILj256ELj13ELNS0_17block_load_methodE3ELS4_3ELS4_3ELNS0_20block_scan_algorithmE0ELj4294967295EEENS1_25partition_config_selectorILNS1_17partition_subalgoE4EjNS0_10empty_typeEbEEZZNS1_14partition_implILS8_4ELb0ES6_15HIP_vector_typeIjLj2EENS0_17counting_iteratorIjlEEPS9_SG_NS0_5tupleIJPjSI_NS0_16reverse_iteratorISI_EEEEENSH_IJSG_SG_SG_EEES9_SI_JZNS1_25segmented_radix_sort_implINS0_14default_configELb0EPK12hip_bfloat16PSP_PKlPlN2at6native12_GLOBAL__N_18offset_tEEE10hipError_tPvRmT1_PNSt15iterator_traitsIS13_E10value_typeET2_T3_PNS14_IS19_E10value_typeET4_jRbjT5_S1F_jjP12ihipStream_tbEUljE_ZNSN_ISO_Lb0ESR_SS_SU_SV_SZ_EES10_S11_S12_S13_S17_S18_S19_S1C_S1D_jS1E_jS1F_S1F_jjS1H_bEUljE0_EEES10_S11_S12_S19_S1D_S1F_T6_T7_T9_mT8_S1H_bDpT10_ENKUlT_T0_E_clISt17integral_constantIbLb1EES1U_IbLb0EEEEDaS1Q_S1R_EUlS1Q_E_NS1_11comp_targetILNS1_3genE0ELNS1_11target_archE4294967295ELNS1_3gpuE0ELNS1_3repE0EEENS1_30default_config_static_selectorELNS0_4arch9wavefront6targetE0EEEvS13_.private_seg_size, 0
	.set _ZN7rocprim17ROCPRIM_400000_NS6detail17trampoline_kernelINS0_13select_configILj256ELj13ELNS0_17block_load_methodE3ELS4_3ELS4_3ELNS0_20block_scan_algorithmE0ELj4294967295EEENS1_25partition_config_selectorILNS1_17partition_subalgoE4EjNS0_10empty_typeEbEEZZNS1_14partition_implILS8_4ELb0ES6_15HIP_vector_typeIjLj2EENS0_17counting_iteratorIjlEEPS9_SG_NS0_5tupleIJPjSI_NS0_16reverse_iteratorISI_EEEEENSH_IJSG_SG_SG_EEES9_SI_JZNS1_25segmented_radix_sort_implINS0_14default_configELb0EPK12hip_bfloat16PSP_PKlPlN2at6native12_GLOBAL__N_18offset_tEEE10hipError_tPvRmT1_PNSt15iterator_traitsIS13_E10value_typeET2_T3_PNS14_IS19_E10value_typeET4_jRbjT5_S1F_jjP12ihipStream_tbEUljE_ZNSN_ISO_Lb0ESR_SS_SU_SV_SZ_EES10_S11_S12_S13_S17_S18_S19_S1C_S1D_jS1E_jS1F_S1F_jjS1H_bEUljE0_EEES10_S11_S12_S19_S1D_S1F_T6_T7_T9_mT8_S1H_bDpT10_ENKUlT_T0_E_clISt17integral_constantIbLb1EES1U_IbLb0EEEEDaS1Q_S1R_EUlS1Q_E_NS1_11comp_targetILNS1_3genE0ELNS1_11target_archE4294967295ELNS1_3gpuE0ELNS1_3repE0EEENS1_30default_config_static_selectorELNS0_4arch9wavefront6targetE0EEEvS13_.uses_vcc, 0
	.set _ZN7rocprim17ROCPRIM_400000_NS6detail17trampoline_kernelINS0_13select_configILj256ELj13ELNS0_17block_load_methodE3ELS4_3ELS4_3ELNS0_20block_scan_algorithmE0ELj4294967295EEENS1_25partition_config_selectorILNS1_17partition_subalgoE4EjNS0_10empty_typeEbEEZZNS1_14partition_implILS8_4ELb0ES6_15HIP_vector_typeIjLj2EENS0_17counting_iteratorIjlEEPS9_SG_NS0_5tupleIJPjSI_NS0_16reverse_iteratorISI_EEEEENSH_IJSG_SG_SG_EEES9_SI_JZNS1_25segmented_radix_sort_implINS0_14default_configELb0EPK12hip_bfloat16PSP_PKlPlN2at6native12_GLOBAL__N_18offset_tEEE10hipError_tPvRmT1_PNSt15iterator_traitsIS13_E10value_typeET2_T3_PNS14_IS19_E10value_typeET4_jRbjT5_S1F_jjP12ihipStream_tbEUljE_ZNSN_ISO_Lb0ESR_SS_SU_SV_SZ_EES10_S11_S12_S13_S17_S18_S19_S1C_S1D_jS1E_jS1F_S1F_jjS1H_bEUljE0_EEES10_S11_S12_S19_S1D_S1F_T6_T7_T9_mT8_S1H_bDpT10_ENKUlT_T0_E_clISt17integral_constantIbLb1EES1U_IbLb0EEEEDaS1Q_S1R_EUlS1Q_E_NS1_11comp_targetILNS1_3genE0ELNS1_11target_archE4294967295ELNS1_3gpuE0ELNS1_3repE0EEENS1_30default_config_static_selectorELNS0_4arch9wavefront6targetE0EEEvS13_.uses_flat_scratch, 0
	.set _ZN7rocprim17ROCPRIM_400000_NS6detail17trampoline_kernelINS0_13select_configILj256ELj13ELNS0_17block_load_methodE3ELS4_3ELS4_3ELNS0_20block_scan_algorithmE0ELj4294967295EEENS1_25partition_config_selectorILNS1_17partition_subalgoE4EjNS0_10empty_typeEbEEZZNS1_14partition_implILS8_4ELb0ES6_15HIP_vector_typeIjLj2EENS0_17counting_iteratorIjlEEPS9_SG_NS0_5tupleIJPjSI_NS0_16reverse_iteratorISI_EEEEENSH_IJSG_SG_SG_EEES9_SI_JZNS1_25segmented_radix_sort_implINS0_14default_configELb0EPK12hip_bfloat16PSP_PKlPlN2at6native12_GLOBAL__N_18offset_tEEE10hipError_tPvRmT1_PNSt15iterator_traitsIS13_E10value_typeET2_T3_PNS14_IS19_E10value_typeET4_jRbjT5_S1F_jjP12ihipStream_tbEUljE_ZNSN_ISO_Lb0ESR_SS_SU_SV_SZ_EES10_S11_S12_S13_S17_S18_S19_S1C_S1D_jS1E_jS1F_S1F_jjS1H_bEUljE0_EEES10_S11_S12_S19_S1D_S1F_T6_T7_T9_mT8_S1H_bDpT10_ENKUlT_T0_E_clISt17integral_constantIbLb1EES1U_IbLb0EEEEDaS1Q_S1R_EUlS1Q_E_NS1_11comp_targetILNS1_3genE0ELNS1_11target_archE4294967295ELNS1_3gpuE0ELNS1_3repE0EEENS1_30default_config_static_selectorELNS0_4arch9wavefront6targetE0EEEvS13_.has_dyn_sized_stack, 0
	.set _ZN7rocprim17ROCPRIM_400000_NS6detail17trampoline_kernelINS0_13select_configILj256ELj13ELNS0_17block_load_methodE3ELS4_3ELS4_3ELNS0_20block_scan_algorithmE0ELj4294967295EEENS1_25partition_config_selectorILNS1_17partition_subalgoE4EjNS0_10empty_typeEbEEZZNS1_14partition_implILS8_4ELb0ES6_15HIP_vector_typeIjLj2EENS0_17counting_iteratorIjlEEPS9_SG_NS0_5tupleIJPjSI_NS0_16reverse_iteratorISI_EEEEENSH_IJSG_SG_SG_EEES9_SI_JZNS1_25segmented_radix_sort_implINS0_14default_configELb0EPK12hip_bfloat16PSP_PKlPlN2at6native12_GLOBAL__N_18offset_tEEE10hipError_tPvRmT1_PNSt15iterator_traitsIS13_E10value_typeET2_T3_PNS14_IS19_E10value_typeET4_jRbjT5_S1F_jjP12ihipStream_tbEUljE_ZNSN_ISO_Lb0ESR_SS_SU_SV_SZ_EES10_S11_S12_S13_S17_S18_S19_S1C_S1D_jS1E_jS1F_S1F_jjS1H_bEUljE0_EEES10_S11_S12_S19_S1D_S1F_T6_T7_T9_mT8_S1H_bDpT10_ENKUlT_T0_E_clISt17integral_constantIbLb1EES1U_IbLb0EEEEDaS1Q_S1R_EUlS1Q_E_NS1_11comp_targetILNS1_3genE0ELNS1_11target_archE4294967295ELNS1_3gpuE0ELNS1_3repE0EEENS1_30default_config_static_selectorELNS0_4arch9wavefront6targetE0EEEvS13_.has_recursion, 0
	.set _ZN7rocprim17ROCPRIM_400000_NS6detail17trampoline_kernelINS0_13select_configILj256ELj13ELNS0_17block_load_methodE3ELS4_3ELS4_3ELNS0_20block_scan_algorithmE0ELj4294967295EEENS1_25partition_config_selectorILNS1_17partition_subalgoE4EjNS0_10empty_typeEbEEZZNS1_14partition_implILS8_4ELb0ES6_15HIP_vector_typeIjLj2EENS0_17counting_iteratorIjlEEPS9_SG_NS0_5tupleIJPjSI_NS0_16reverse_iteratorISI_EEEEENSH_IJSG_SG_SG_EEES9_SI_JZNS1_25segmented_radix_sort_implINS0_14default_configELb0EPK12hip_bfloat16PSP_PKlPlN2at6native12_GLOBAL__N_18offset_tEEE10hipError_tPvRmT1_PNSt15iterator_traitsIS13_E10value_typeET2_T3_PNS14_IS19_E10value_typeET4_jRbjT5_S1F_jjP12ihipStream_tbEUljE_ZNSN_ISO_Lb0ESR_SS_SU_SV_SZ_EES10_S11_S12_S13_S17_S18_S19_S1C_S1D_jS1E_jS1F_S1F_jjS1H_bEUljE0_EEES10_S11_S12_S19_S1D_S1F_T6_T7_T9_mT8_S1H_bDpT10_ENKUlT_T0_E_clISt17integral_constantIbLb1EES1U_IbLb0EEEEDaS1Q_S1R_EUlS1Q_E_NS1_11comp_targetILNS1_3genE0ELNS1_11target_archE4294967295ELNS1_3gpuE0ELNS1_3repE0EEENS1_30default_config_static_selectorELNS0_4arch9wavefront6targetE0EEEvS13_.has_indirect_call, 0
	.section	.AMDGPU.csdata,"",@progbits
; Kernel info:
; codeLenInByte = 0
; TotalNumSgprs: 0
; NumVgprs: 0
; ScratchSize: 0
; MemoryBound: 0
; FloatMode: 240
; IeeeMode: 1
; LDSByteSize: 0 bytes/workgroup (compile time only)
; SGPRBlocks: 0
; VGPRBlocks: 0
; NumSGPRsForWavesPerEU: 1
; NumVGPRsForWavesPerEU: 1
; Occupancy: 16
; WaveLimiterHint : 0
; COMPUTE_PGM_RSRC2:SCRATCH_EN: 0
; COMPUTE_PGM_RSRC2:USER_SGPR: 6
; COMPUTE_PGM_RSRC2:TRAP_HANDLER: 0
; COMPUTE_PGM_RSRC2:TGID_X_EN: 1
; COMPUTE_PGM_RSRC2:TGID_Y_EN: 0
; COMPUTE_PGM_RSRC2:TGID_Z_EN: 0
; COMPUTE_PGM_RSRC2:TIDIG_COMP_CNT: 0
	.section	.text._ZN7rocprim17ROCPRIM_400000_NS6detail17trampoline_kernelINS0_13select_configILj256ELj13ELNS0_17block_load_methodE3ELS4_3ELS4_3ELNS0_20block_scan_algorithmE0ELj4294967295EEENS1_25partition_config_selectorILNS1_17partition_subalgoE4EjNS0_10empty_typeEbEEZZNS1_14partition_implILS8_4ELb0ES6_15HIP_vector_typeIjLj2EENS0_17counting_iteratorIjlEEPS9_SG_NS0_5tupleIJPjSI_NS0_16reverse_iteratorISI_EEEEENSH_IJSG_SG_SG_EEES9_SI_JZNS1_25segmented_radix_sort_implINS0_14default_configELb0EPK12hip_bfloat16PSP_PKlPlN2at6native12_GLOBAL__N_18offset_tEEE10hipError_tPvRmT1_PNSt15iterator_traitsIS13_E10value_typeET2_T3_PNS14_IS19_E10value_typeET4_jRbjT5_S1F_jjP12ihipStream_tbEUljE_ZNSN_ISO_Lb0ESR_SS_SU_SV_SZ_EES10_S11_S12_S13_S17_S18_S19_S1C_S1D_jS1E_jS1F_S1F_jjS1H_bEUljE0_EEES10_S11_S12_S19_S1D_S1F_T6_T7_T9_mT8_S1H_bDpT10_ENKUlT_T0_E_clISt17integral_constantIbLb1EES1U_IbLb0EEEEDaS1Q_S1R_EUlS1Q_E_NS1_11comp_targetILNS1_3genE5ELNS1_11target_archE942ELNS1_3gpuE9ELNS1_3repE0EEENS1_30default_config_static_selectorELNS0_4arch9wavefront6targetE0EEEvS13_,"axG",@progbits,_ZN7rocprim17ROCPRIM_400000_NS6detail17trampoline_kernelINS0_13select_configILj256ELj13ELNS0_17block_load_methodE3ELS4_3ELS4_3ELNS0_20block_scan_algorithmE0ELj4294967295EEENS1_25partition_config_selectorILNS1_17partition_subalgoE4EjNS0_10empty_typeEbEEZZNS1_14partition_implILS8_4ELb0ES6_15HIP_vector_typeIjLj2EENS0_17counting_iteratorIjlEEPS9_SG_NS0_5tupleIJPjSI_NS0_16reverse_iteratorISI_EEEEENSH_IJSG_SG_SG_EEES9_SI_JZNS1_25segmented_radix_sort_implINS0_14default_configELb0EPK12hip_bfloat16PSP_PKlPlN2at6native12_GLOBAL__N_18offset_tEEE10hipError_tPvRmT1_PNSt15iterator_traitsIS13_E10value_typeET2_T3_PNS14_IS19_E10value_typeET4_jRbjT5_S1F_jjP12ihipStream_tbEUljE_ZNSN_ISO_Lb0ESR_SS_SU_SV_SZ_EES10_S11_S12_S13_S17_S18_S19_S1C_S1D_jS1E_jS1F_S1F_jjS1H_bEUljE0_EEES10_S11_S12_S19_S1D_S1F_T6_T7_T9_mT8_S1H_bDpT10_ENKUlT_T0_E_clISt17integral_constantIbLb1EES1U_IbLb0EEEEDaS1Q_S1R_EUlS1Q_E_NS1_11comp_targetILNS1_3genE5ELNS1_11target_archE942ELNS1_3gpuE9ELNS1_3repE0EEENS1_30default_config_static_selectorELNS0_4arch9wavefront6targetE0EEEvS13_,comdat
	.globl	_ZN7rocprim17ROCPRIM_400000_NS6detail17trampoline_kernelINS0_13select_configILj256ELj13ELNS0_17block_load_methodE3ELS4_3ELS4_3ELNS0_20block_scan_algorithmE0ELj4294967295EEENS1_25partition_config_selectorILNS1_17partition_subalgoE4EjNS0_10empty_typeEbEEZZNS1_14partition_implILS8_4ELb0ES6_15HIP_vector_typeIjLj2EENS0_17counting_iteratorIjlEEPS9_SG_NS0_5tupleIJPjSI_NS0_16reverse_iteratorISI_EEEEENSH_IJSG_SG_SG_EEES9_SI_JZNS1_25segmented_radix_sort_implINS0_14default_configELb0EPK12hip_bfloat16PSP_PKlPlN2at6native12_GLOBAL__N_18offset_tEEE10hipError_tPvRmT1_PNSt15iterator_traitsIS13_E10value_typeET2_T3_PNS14_IS19_E10value_typeET4_jRbjT5_S1F_jjP12ihipStream_tbEUljE_ZNSN_ISO_Lb0ESR_SS_SU_SV_SZ_EES10_S11_S12_S13_S17_S18_S19_S1C_S1D_jS1E_jS1F_S1F_jjS1H_bEUljE0_EEES10_S11_S12_S19_S1D_S1F_T6_T7_T9_mT8_S1H_bDpT10_ENKUlT_T0_E_clISt17integral_constantIbLb1EES1U_IbLb0EEEEDaS1Q_S1R_EUlS1Q_E_NS1_11comp_targetILNS1_3genE5ELNS1_11target_archE942ELNS1_3gpuE9ELNS1_3repE0EEENS1_30default_config_static_selectorELNS0_4arch9wavefront6targetE0EEEvS13_ ; -- Begin function _ZN7rocprim17ROCPRIM_400000_NS6detail17trampoline_kernelINS0_13select_configILj256ELj13ELNS0_17block_load_methodE3ELS4_3ELS4_3ELNS0_20block_scan_algorithmE0ELj4294967295EEENS1_25partition_config_selectorILNS1_17partition_subalgoE4EjNS0_10empty_typeEbEEZZNS1_14partition_implILS8_4ELb0ES6_15HIP_vector_typeIjLj2EENS0_17counting_iteratorIjlEEPS9_SG_NS0_5tupleIJPjSI_NS0_16reverse_iteratorISI_EEEEENSH_IJSG_SG_SG_EEES9_SI_JZNS1_25segmented_radix_sort_implINS0_14default_configELb0EPK12hip_bfloat16PSP_PKlPlN2at6native12_GLOBAL__N_18offset_tEEE10hipError_tPvRmT1_PNSt15iterator_traitsIS13_E10value_typeET2_T3_PNS14_IS19_E10value_typeET4_jRbjT5_S1F_jjP12ihipStream_tbEUljE_ZNSN_ISO_Lb0ESR_SS_SU_SV_SZ_EES10_S11_S12_S13_S17_S18_S19_S1C_S1D_jS1E_jS1F_S1F_jjS1H_bEUljE0_EEES10_S11_S12_S19_S1D_S1F_T6_T7_T9_mT8_S1H_bDpT10_ENKUlT_T0_E_clISt17integral_constantIbLb1EES1U_IbLb0EEEEDaS1Q_S1R_EUlS1Q_E_NS1_11comp_targetILNS1_3genE5ELNS1_11target_archE942ELNS1_3gpuE9ELNS1_3repE0EEENS1_30default_config_static_selectorELNS0_4arch9wavefront6targetE0EEEvS13_
	.p2align	8
	.type	_ZN7rocprim17ROCPRIM_400000_NS6detail17trampoline_kernelINS0_13select_configILj256ELj13ELNS0_17block_load_methodE3ELS4_3ELS4_3ELNS0_20block_scan_algorithmE0ELj4294967295EEENS1_25partition_config_selectorILNS1_17partition_subalgoE4EjNS0_10empty_typeEbEEZZNS1_14partition_implILS8_4ELb0ES6_15HIP_vector_typeIjLj2EENS0_17counting_iteratorIjlEEPS9_SG_NS0_5tupleIJPjSI_NS0_16reverse_iteratorISI_EEEEENSH_IJSG_SG_SG_EEES9_SI_JZNS1_25segmented_radix_sort_implINS0_14default_configELb0EPK12hip_bfloat16PSP_PKlPlN2at6native12_GLOBAL__N_18offset_tEEE10hipError_tPvRmT1_PNSt15iterator_traitsIS13_E10value_typeET2_T3_PNS14_IS19_E10value_typeET4_jRbjT5_S1F_jjP12ihipStream_tbEUljE_ZNSN_ISO_Lb0ESR_SS_SU_SV_SZ_EES10_S11_S12_S13_S17_S18_S19_S1C_S1D_jS1E_jS1F_S1F_jjS1H_bEUljE0_EEES10_S11_S12_S19_S1D_S1F_T6_T7_T9_mT8_S1H_bDpT10_ENKUlT_T0_E_clISt17integral_constantIbLb1EES1U_IbLb0EEEEDaS1Q_S1R_EUlS1Q_E_NS1_11comp_targetILNS1_3genE5ELNS1_11target_archE942ELNS1_3gpuE9ELNS1_3repE0EEENS1_30default_config_static_selectorELNS0_4arch9wavefront6targetE0EEEvS13_,@function
_ZN7rocprim17ROCPRIM_400000_NS6detail17trampoline_kernelINS0_13select_configILj256ELj13ELNS0_17block_load_methodE3ELS4_3ELS4_3ELNS0_20block_scan_algorithmE0ELj4294967295EEENS1_25partition_config_selectorILNS1_17partition_subalgoE4EjNS0_10empty_typeEbEEZZNS1_14partition_implILS8_4ELb0ES6_15HIP_vector_typeIjLj2EENS0_17counting_iteratorIjlEEPS9_SG_NS0_5tupleIJPjSI_NS0_16reverse_iteratorISI_EEEEENSH_IJSG_SG_SG_EEES9_SI_JZNS1_25segmented_radix_sort_implINS0_14default_configELb0EPK12hip_bfloat16PSP_PKlPlN2at6native12_GLOBAL__N_18offset_tEEE10hipError_tPvRmT1_PNSt15iterator_traitsIS13_E10value_typeET2_T3_PNS14_IS19_E10value_typeET4_jRbjT5_S1F_jjP12ihipStream_tbEUljE_ZNSN_ISO_Lb0ESR_SS_SU_SV_SZ_EES10_S11_S12_S13_S17_S18_S19_S1C_S1D_jS1E_jS1F_S1F_jjS1H_bEUljE0_EEES10_S11_S12_S19_S1D_S1F_T6_T7_T9_mT8_S1H_bDpT10_ENKUlT_T0_E_clISt17integral_constantIbLb1EES1U_IbLb0EEEEDaS1Q_S1R_EUlS1Q_E_NS1_11comp_targetILNS1_3genE5ELNS1_11target_archE942ELNS1_3gpuE9ELNS1_3repE0EEENS1_30default_config_static_selectorELNS0_4arch9wavefront6targetE0EEEvS13_: ; @_ZN7rocprim17ROCPRIM_400000_NS6detail17trampoline_kernelINS0_13select_configILj256ELj13ELNS0_17block_load_methodE3ELS4_3ELS4_3ELNS0_20block_scan_algorithmE0ELj4294967295EEENS1_25partition_config_selectorILNS1_17partition_subalgoE4EjNS0_10empty_typeEbEEZZNS1_14partition_implILS8_4ELb0ES6_15HIP_vector_typeIjLj2EENS0_17counting_iteratorIjlEEPS9_SG_NS0_5tupleIJPjSI_NS0_16reverse_iteratorISI_EEEEENSH_IJSG_SG_SG_EEES9_SI_JZNS1_25segmented_radix_sort_implINS0_14default_configELb0EPK12hip_bfloat16PSP_PKlPlN2at6native12_GLOBAL__N_18offset_tEEE10hipError_tPvRmT1_PNSt15iterator_traitsIS13_E10value_typeET2_T3_PNS14_IS19_E10value_typeET4_jRbjT5_S1F_jjP12ihipStream_tbEUljE_ZNSN_ISO_Lb0ESR_SS_SU_SV_SZ_EES10_S11_S12_S13_S17_S18_S19_S1C_S1D_jS1E_jS1F_S1F_jjS1H_bEUljE0_EEES10_S11_S12_S19_S1D_S1F_T6_T7_T9_mT8_S1H_bDpT10_ENKUlT_T0_E_clISt17integral_constantIbLb1EES1U_IbLb0EEEEDaS1Q_S1R_EUlS1Q_E_NS1_11comp_targetILNS1_3genE5ELNS1_11target_archE942ELNS1_3gpuE9ELNS1_3repE0EEENS1_30default_config_static_selectorELNS0_4arch9wavefront6targetE0EEEvS13_
; %bb.0:
	.section	.rodata,"a",@progbits
	.p2align	6, 0x0
	.amdhsa_kernel _ZN7rocprim17ROCPRIM_400000_NS6detail17trampoline_kernelINS0_13select_configILj256ELj13ELNS0_17block_load_methodE3ELS4_3ELS4_3ELNS0_20block_scan_algorithmE0ELj4294967295EEENS1_25partition_config_selectorILNS1_17partition_subalgoE4EjNS0_10empty_typeEbEEZZNS1_14partition_implILS8_4ELb0ES6_15HIP_vector_typeIjLj2EENS0_17counting_iteratorIjlEEPS9_SG_NS0_5tupleIJPjSI_NS0_16reverse_iteratorISI_EEEEENSH_IJSG_SG_SG_EEES9_SI_JZNS1_25segmented_radix_sort_implINS0_14default_configELb0EPK12hip_bfloat16PSP_PKlPlN2at6native12_GLOBAL__N_18offset_tEEE10hipError_tPvRmT1_PNSt15iterator_traitsIS13_E10value_typeET2_T3_PNS14_IS19_E10value_typeET4_jRbjT5_S1F_jjP12ihipStream_tbEUljE_ZNSN_ISO_Lb0ESR_SS_SU_SV_SZ_EES10_S11_S12_S13_S17_S18_S19_S1C_S1D_jS1E_jS1F_S1F_jjS1H_bEUljE0_EEES10_S11_S12_S19_S1D_S1F_T6_T7_T9_mT8_S1H_bDpT10_ENKUlT_T0_E_clISt17integral_constantIbLb1EES1U_IbLb0EEEEDaS1Q_S1R_EUlS1Q_E_NS1_11comp_targetILNS1_3genE5ELNS1_11target_archE942ELNS1_3gpuE9ELNS1_3repE0EEENS1_30default_config_static_selectorELNS0_4arch9wavefront6targetE0EEEvS13_
		.amdhsa_group_segment_fixed_size 0
		.amdhsa_private_segment_fixed_size 0
		.amdhsa_kernarg_size 176
		.amdhsa_user_sgpr_count 6
		.amdhsa_user_sgpr_private_segment_buffer 1
		.amdhsa_user_sgpr_dispatch_ptr 0
		.amdhsa_user_sgpr_queue_ptr 0
		.amdhsa_user_sgpr_kernarg_segment_ptr 1
		.amdhsa_user_sgpr_dispatch_id 0
		.amdhsa_user_sgpr_flat_scratch_init 0
		.amdhsa_user_sgpr_private_segment_size 0
		.amdhsa_wavefront_size32 1
		.amdhsa_uses_dynamic_stack 0
		.amdhsa_system_sgpr_private_segment_wavefront_offset 0
		.amdhsa_system_sgpr_workgroup_id_x 1
		.amdhsa_system_sgpr_workgroup_id_y 0
		.amdhsa_system_sgpr_workgroup_id_z 0
		.amdhsa_system_sgpr_workgroup_info 0
		.amdhsa_system_vgpr_workitem_id 0
		.amdhsa_next_free_vgpr 1
		.amdhsa_next_free_sgpr 1
		.amdhsa_reserve_vcc 0
		.amdhsa_reserve_flat_scratch 0
		.amdhsa_float_round_mode_32 0
		.amdhsa_float_round_mode_16_64 0
		.amdhsa_float_denorm_mode_32 3
		.amdhsa_float_denorm_mode_16_64 3
		.amdhsa_dx10_clamp 1
		.amdhsa_ieee_mode 1
		.amdhsa_fp16_overflow 0
		.amdhsa_workgroup_processor_mode 1
		.amdhsa_memory_ordered 1
		.amdhsa_forward_progress 1
		.amdhsa_shared_vgpr_count 0
		.amdhsa_exception_fp_ieee_invalid_op 0
		.amdhsa_exception_fp_denorm_src 0
		.amdhsa_exception_fp_ieee_div_zero 0
		.amdhsa_exception_fp_ieee_overflow 0
		.amdhsa_exception_fp_ieee_underflow 0
		.amdhsa_exception_fp_ieee_inexact 0
		.amdhsa_exception_int_div_zero 0
	.end_amdhsa_kernel
	.section	.text._ZN7rocprim17ROCPRIM_400000_NS6detail17trampoline_kernelINS0_13select_configILj256ELj13ELNS0_17block_load_methodE3ELS4_3ELS4_3ELNS0_20block_scan_algorithmE0ELj4294967295EEENS1_25partition_config_selectorILNS1_17partition_subalgoE4EjNS0_10empty_typeEbEEZZNS1_14partition_implILS8_4ELb0ES6_15HIP_vector_typeIjLj2EENS0_17counting_iteratorIjlEEPS9_SG_NS0_5tupleIJPjSI_NS0_16reverse_iteratorISI_EEEEENSH_IJSG_SG_SG_EEES9_SI_JZNS1_25segmented_radix_sort_implINS0_14default_configELb0EPK12hip_bfloat16PSP_PKlPlN2at6native12_GLOBAL__N_18offset_tEEE10hipError_tPvRmT1_PNSt15iterator_traitsIS13_E10value_typeET2_T3_PNS14_IS19_E10value_typeET4_jRbjT5_S1F_jjP12ihipStream_tbEUljE_ZNSN_ISO_Lb0ESR_SS_SU_SV_SZ_EES10_S11_S12_S13_S17_S18_S19_S1C_S1D_jS1E_jS1F_S1F_jjS1H_bEUljE0_EEES10_S11_S12_S19_S1D_S1F_T6_T7_T9_mT8_S1H_bDpT10_ENKUlT_T0_E_clISt17integral_constantIbLb1EES1U_IbLb0EEEEDaS1Q_S1R_EUlS1Q_E_NS1_11comp_targetILNS1_3genE5ELNS1_11target_archE942ELNS1_3gpuE9ELNS1_3repE0EEENS1_30default_config_static_selectorELNS0_4arch9wavefront6targetE0EEEvS13_,"axG",@progbits,_ZN7rocprim17ROCPRIM_400000_NS6detail17trampoline_kernelINS0_13select_configILj256ELj13ELNS0_17block_load_methodE3ELS4_3ELS4_3ELNS0_20block_scan_algorithmE0ELj4294967295EEENS1_25partition_config_selectorILNS1_17partition_subalgoE4EjNS0_10empty_typeEbEEZZNS1_14partition_implILS8_4ELb0ES6_15HIP_vector_typeIjLj2EENS0_17counting_iteratorIjlEEPS9_SG_NS0_5tupleIJPjSI_NS0_16reverse_iteratorISI_EEEEENSH_IJSG_SG_SG_EEES9_SI_JZNS1_25segmented_radix_sort_implINS0_14default_configELb0EPK12hip_bfloat16PSP_PKlPlN2at6native12_GLOBAL__N_18offset_tEEE10hipError_tPvRmT1_PNSt15iterator_traitsIS13_E10value_typeET2_T3_PNS14_IS19_E10value_typeET4_jRbjT5_S1F_jjP12ihipStream_tbEUljE_ZNSN_ISO_Lb0ESR_SS_SU_SV_SZ_EES10_S11_S12_S13_S17_S18_S19_S1C_S1D_jS1E_jS1F_S1F_jjS1H_bEUljE0_EEES10_S11_S12_S19_S1D_S1F_T6_T7_T9_mT8_S1H_bDpT10_ENKUlT_T0_E_clISt17integral_constantIbLb1EES1U_IbLb0EEEEDaS1Q_S1R_EUlS1Q_E_NS1_11comp_targetILNS1_3genE5ELNS1_11target_archE942ELNS1_3gpuE9ELNS1_3repE0EEENS1_30default_config_static_selectorELNS0_4arch9wavefront6targetE0EEEvS13_,comdat
.Lfunc_end1992:
	.size	_ZN7rocprim17ROCPRIM_400000_NS6detail17trampoline_kernelINS0_13select_configILj256ELj13ELNS0_17block_load_methodE3ELS4_3ELS4_3ELNS0_20block_scan_algorithmE0ELj4294967295EEENS1_25partition_config_selectorILNS1_17partition_subalgoE4EjNS0_10empty_typeEbEEZZNS1_14partition_implILS8_4ELb0ES6_15HIP_vector_typeIjLj2EENS0_17counting_iteratorIjlEEPS9_SG_NS0_5tupleIJPjSI_NS0_16reverse_iteratorISI_EEEEENSH_IJSG_SG_SG_EEES9_SI_JZNS1_25segmented_radix_sort_implINS0_14default_configELb0EPK12hip_bfloat16PSP_PKlPlN2at6native12_GLOBAL__N_18offset_tEEE10hipError_tPvRmT1_PNSt15iterator_traitsIS13_E10value_typeET2_T3_PNS14_IS19_E10value_typeET4_jRbjT5_S1F_jjP12ihipStream_tbEUljE_ZNSN_ISO_Lb0ESR_SS_SU_SV_SZ_EES10_S11_S12_S13_S17_S18_S19_S1C_S1D_jS1E_jS1F_S1F_jjS1H_bEUljE0_EEES10_S11_S12_S19_S1D_S1F_T6_T7_T9_mT8_S1H_bDpT10_ENKUlT_T0_E_clISt17integral_constantIbLb1EES1U_IbLb0EEEEDaS1Q_S1R_EUlS1Q_E_NS1_11comp_targetILNS1_3genE5ELNS1_11target_archE942ELNS1_3gpuE9ELNS1_3repE0EEENS1_30default_config_static_selectorELNS0_4arch9wavefront6targetE0EEEvS13_, .Lfunc_end1992-_ZN7rocprim17ROCPRIM_400000_NS6detail17trampoline_kernelINS0_13select_configILj256ELj13ELNS0_17block_load_methodE3ELS4_3ELS4_3ELNS0_20block_scan_algorithmE0ELj4294967295EEENS1_25partition_config_selectorILNS1_17partition_subalgoE4EjNS0_10empty_typeEbEEZZNS1_14partition_implILS8_4ELb0ES6_15HIP_vector_typeIjLj2EENS0_17counting_iteratorIjlEEPS9_SG_NS0_5tupleIJPjSI_NS0_16reverse_iteratorISI_EEEEENSH_IJSG_SG_SG_EEES9_SI_JZNS1_25segmented_radix_sort_implINS0_14default_configELb0EPK12hip_bfloat16PSP_PKlPlN2at6native12_GLOBAL__N_18offset_tEEE10hipError_tPvRmT1_PNSt15iterator_traitsIS13_E10value_typeET2_T3_PNS14_IS19_E10value_typeET4_jRbjT5_S1F_jjP12ihipStream_tbEUljE_ZNSN_ISO_Lb0ESR_SS_SU_SV_SZ_EES10_S11_S12_S13_S17_S18_S19_S1C_S1D_jS1E_jS1F_S1F_jjS1H_bEUljE0_EEES10_S11_S12_S19_S1D_S1F_T6_T7_T9_mT8_S1H_bDpT10_ENKUlT_T0_E_clISt17integral_constantIbLb1EES1U_IbLb0EEEEDaS1Q_S1R_EUlS1Q_E_NS1_11comp_targetILNS1_3genE5ELNS1_11target_archE942ELNS1_3gpuE9ELNS1_3repE0EEENS1_30default_config_static_selectorELNS0_4arch9wavefront6targetE0EEEvS13_
                                        ; -- End function
	.set _ZN7rocprim17ROCPRIM_400000_NS6detail17trampoline_kernelINS0_13select_configILj256ELj13ELNS0_17block_load_methodE3ELS4_3ELS4_3ELNS0_20block_scan_algorithmE0ELj4294967295EEENS1_25partition_config_selectorILNS1_17partition_subalgoE4EjNS0_10empty_typeEbEEZZNS1_14partition_implILS8_4ELb0ES6_15HIP_vector_typeIjLj2EENS0_17counting_iteratorIjlEEPS9_SG_NS0_5tupleIJPjSI_NS0_16reverse_iteratorISI_EEEEENSH_IJSG_SG_SG_EEES9_SI_JZNS1_25segmented_radix_sort_implINS0_14default_configELb0EPK12hip_bfloat16PSP_PKlPlN2at6native12_GLOBAL__N_18offset_tEEE10hipError_tPvRmT1_PNSt15iterator_traitsIS13_E10value_typeET2_T3_PNS14_IS19_E10value_typeET4_jRbjT5_S1F_jjP12ihipStream_tbEUljE_ZNSN_ISO_Lb0ESR_SS_SU_SV_SZ_EES10_S11_S12_S13_S17_S18_S19_S1C_S1D_jS1E_jS1F_S1F_jjS1H_bEUljE0_EEES10_S11_S12_S19_S1D_S1F_T6_T7_T9_mT8_S1H_bDpT10_ENKUlT_T0_E_clISt17integral_constantIbLb1EES1U_IbLb0EEEEDaS1Q_S1R_EUlS1Q_E_NS1_11comp_targetILNS1_3genE5ELNS1_11target_archE942ELNS1_3gpuE9ELNS1_3repE0EEENS1_30default_config_static_selectorELNS0_4arch9wavefront6targetE0EEEvS13_.num_vgpr, 0
	.set _ZN7rocprim17ROCPRIM_400000_NS6detail17trampoline_kernelINS0_13select_configILj256ELj13ELNS0_17block_load_methodE3ELS4_3ELS4_3ELNS0_20block_scan_algorithmE0ELj4294967295EEENS1_25partition_config_selectorILNS1_17partition_subalgoE4EjNS0_10empty_typeEbEEZZNS1_14partition_implILS8_4ELb0ES6_15HIP_vector_typeIjLj2EENS0_17counting_iteratorIjlEEPS9_SG_NS0_5tupleIJPjSI_NS0_16reverse_iteratorISI_EEEEENSH_IJSG_SG_SG_EEES9_SI_JZNS1_25segmented_radix_sort_implINS0_14default_configELb0EPK12hip_bfloat16PSP_PKlPlN2at6native12_GLOBAL__N_18offset_tEEE10hipError_tPvRmT1_PNSt15iterator_traitsIS13_E10value_typeET2_T3_PNS14_IS19_E10value_typeET4_jRbjT5_S1F_jjP12ihipStream_tbEUljE_ZNSN_ISO_Lb0ESR_SS_SU_SV_SZ_EES10_S11_S12_S13_S17_S18_S19_S1C_S1D_jS1E_jS1F_S1F_jjS1H_bEUljE0_EEES10_S11_S12_S19_S1D_S1F_T6_T7_T9_mT8_S1H_bDpT10_ENKUlT_T0_E_clISt17integral_constantIbLb1EES1U_IbLb0EEEEDaS1Q_S1R_EUlS1Q_E_NS1_11comp_targetILNS1_3genE5ELNS1_11target_archE942ELNS1_3gpuE9ELNS1_3repE0EEENS1_30default_config_static_selectorELNS0_4arch9wavefront6targetE0EEEvS13_.num_agpr, 0
	.set _ZN7rocprim17ROCPRIM_400000_NS6detail17trampoline_kernelINS0_13select_configILj256ELj13ELNS0_17block_load_methodE3ELS4_3ELS4_3ELNS0_20block_scan_algorithmE0ELj4294967295EEENS1_25partition_config_selectorILNS1_17partition_subalgoE4EjNS0_10empty_typeEbEEZZNS1_14partition_implILS8_4ELb0ES6_15HIP_vector_typeIjLj2EENS0_17counting_iteratorIjlEEPS9_SG_NS0_5tupleIJPjSI_NS0_16reverse_iteratorISI_EEEEENSH_IJSG_SG_SG_EEES9_SI_JZNS1_25segmented_radix_sort_implINS0_14default_configELb0EPK12hip_bfloat16PSP_PKlPlN2at6native12_GLOBAL__N_18offset_tEEE10hipError_tPvRmT1_PNSt15iterator_traitsIS13_E10value_typeET2_T3_PNS14_IS19_E10value_typeET4_jRbjT5_S1F_jjP12ihipStream_tbEUljE_ZNSN_ISO_Lb0ESR_SS_SU_SV_SZ_EES10_S11_S12_S13_S17_S18_S19_S1C_S1D_jS1E_jS1F_S1F_jjS1H_bEUljE0_EEES10_S11_S12_S19_S1D_S1F_T6_T7_T9_mT8_S1H_bDpT10_ENKUlT_T0_E_clISt17integral_constantIbLb1EES1U_IbLb0EEEEDaS1Q_S1R_EUlS1Q_E_NS1_11comp_targetILNS1_3genE5ELNS1_11target_archE942ELNS1_3gpuE9ELNS1_3repE0EEENS1_30default_config_static_selectorELNS0_4arch9wavefront6targetE0EEEvS13_.numbered_sgpr, 0
	.set _ZN7rocprim17ROCPRIM_400000_NS6detail17trampoline_kernelINS0_13select_configILj256ELj13ELNS0_17block_load_methodE3ELS4_3ELS4_3ELNS0_20block_scan_algorithmE0ELj4294967295EEENS1_25partition_config_selectorILNS1_17partition_subalgoE4EjNS0_10empty_typeEbEEZZNS1_14partition_implILS8_4ELb0ES6_15HIP_vector_typeIjLj2EENS0_17counting_iteratorIjlEEPS9_SG_NS0_5tupleIJPjSI_NS0_16reverse_iteratorISI_EEEEENSH_IJSG_SG_SG_EEES9_SI_JZNS1_25segmented_radix_sort_implINS0_14default_configELb0EPK12hip_bfloat16PSP_PKlPlN2at6native12_GLOBAL__N_18offset_tEEE10hipError_tPvRmT1_PNSt15iterator_traitsIS13_E10value_typeET2_T3_PNS14_IS19_E10value_typeET4_jRbjT5_S1F_jjP12ihipStream_tbEUljE_ZNSN_ISO_Lb0ESR_SS_SU_SV_SZ_EES10_S11_S12_S13_S17_S18_S19_S1C_S1D_jS1E_jS1F_S1F_jjS1H_bEUljE0_EEES10_S11_S12_S19_S1D_S1F_T6_T7_T9_mT8_S1H_bDpT10_ENKUlT_T0_E_clISt17integral_constantIbLb1EES1U_IbLb0EEEEDaS1Q_S1R_EUlS1Q_E_NS1_11comp_targetILNS1_3genE5ELNS1_11target_archE942ELNS1_3gpuE9ELNS1_3repE0EEENS1_30default_config_static_selectorELNS0_4arch9wavefront6targetE0EEEvS13_.num_named_barrier, 0
	.set _ZN7rocprim17ROCPRIM_400000_NS6detail17trampoline_kernelINS0_13select_configILj256ELj13ELNS0_17block_load_methodE3ELS4_3ELS4_3ELNS0_20block_scan_algorithmE0ELj4294967295EEENS1_25partition_config_selectorILNS1_17partition_subalgoE4EjNS0_10empty_typeEbEEZZNS1_14partition_implILS8_4ELb0ES6_15HIP_vector_typeIjLj2EENS0_17counting_iteratorIjlEEPS9_SG_NS0_5tupleIJPjSI_NS0_16reverse_iteratorISI_EEEEENSH_IJSG_SG_SG_EEES9_SI_JZNS1_25segmented_radix_sort_implINS0_14default_configELb0EPK12hip_bfloat16PSP_PKlPlN2at6native12_GLOBAL__N_18offset_tEEE10hipError_tPvRmT1_PNSt15iterator_traitsIS13_E10value_typeET2_T3_PNS14_IS19_E10value_typeET4_jRbjT5_S1F_jjP12ihipStream_tbEUljE_ZNSN_ISO_Lb0ESR_SS_SU_SV_SZ_EES10_S11_S12_S13_S17_S18_S19_S1C_S1D_jS1E_jS1F_S1F_jjS1H_bEUljE0_EEES10_S11_S12_S19_S1D_S1F_T6_T7_T9_mT8_S1H_bDpT10_ENKUlT_T0_E_clISt17integral_constantIbLb1EES1U_IbLb0EEEEDaS1Q_S1R_EUlS1Q_E_NS1_11comp_targetILNS1_3genE5ELNS1_11target_archE942ELNS1_3gpuE9ELNS1_3repE0EEENS1_30default_config_static_selectorELNS0_4arch9wavefront6targetE0EEEvS13_.private_seg_size, 0
	.set _ZN7rocprim17ROCPRIM_400000_NS6detail17trampoline_kernelINS0_13select_configILj256ELj13ELNS0_17block_load_methodE3ELS4_3ELS4_3ELNS0_20block_scan_algorithmE0ELj4294967295EEENS1_25partition_config_selectorILNS1_17partition_subalgoE4EjNS0_10empty_typeEbEEZZNS1_14partition_implILS8_4ELb0ES6_15HIP_vector_typeIjLj2EENS0_17counting_iteratorIjlEEPS9_SG_NS0_5tupleIJPjSI_NS0_16reverse_iteratorISI_EEEEENSH_IJSG_SG_SG_EEES9_SI_JZNS1_25segmented_radix_sort_implINS0_14default_configELb0EPK12hip_bfloat16PSP_PKlPlN2at6native12_GLOBAL__N_18offset_tEEE10hipError_tPvRmT1_PNSt15iterator_traitsIS13_E10value_typeET2_T3_PNS14_IS19_E10value_typeET4_jRbjT5_S1F_jjP12ihipStream_tbEUljE_ZNSN_ISO_Lb0ESR_SS_SU_SV_SZ_EES10_S11_S12_S13_S17_S18_S19_S1C_S1D_jS1E_jS1F_S1F_jjS1H_bEUljE0_EEES10_S11_S12_S19_S1D_S1F_T6_T7_T9_mT8_S1H_bDpT10_ENKUlT_T0_E_clISt17integral_constantIbLb1EES1U_IbLb0EEEEDaS1Q_S1R_EUlS1Q_E_NS1_11comp_targetILNS1_3genE5ELNS1_11target_archE942ELNS1_3gpuE9ELNS1_3repE0EEENS1_30default_config_static_selectorELNS0_4arch9wavefront6targetE0EEEvS13_.uses_vcc, 0
	.set _ZN7rocprim17ROCPRIM_400000_NS6detail17trampoline_kernelINS0_13select_configILj256ELj13ELNS0_17block_load_methodE3ELS4_3ELS4_3ELNS0_20block_scan_algorithmE0ELj4294967295EEENS1_25partition_config_selectorILNS1_17partition_subalgoE4EjNS0_10empty_typeEbEEZZNS1_14partition_implILS8_4ELb0ES6_15HIP_vector_typeIjLj2EENS0_17counting_iteratorIjlEEPS9_SG_NS0_5tupleIJPjSI_NS0_16reverse_iteratorISI_EEEEENSH_IJSG_SG_SG_EEES9_SI_JZNS1_25segmented_radix_sort_implINS0_14default_configELb0EPK12hip_bfloat16PSP_PKlPlN2at6native12_GLOBAL__N_18offset_tEEE10hipError_tPvRmT1_PNSt15iterator_traitsIS13_E10value_typeET2_T3_PNS14_IS19_E10value_typeET4_jRbjT5_S1F_jjP12ihipStream_tbEUljE_ZNSN_ISO_Lb0ESR_SS_SU_SV_SZ_EES10_S11_S12_S13_S17_S18_S19_S1C_S1D_jS1E_jS1F_S1F_jjS1H_bEUljE0_EEES10_S11_S12_S19_S1D_S1F_T6_T7_T9_mT8_S1H_bDpT10_ENKUlT_T0_E_clISt17integral_constantIbLb1EES1U_IbLb0EEEEDaS1Q_S1R_EUlS1Q_E_NS1_11comp_targetILNS1_3genE5ELNS1_11target_archE942ELNS1_3gpuE9ELNS1_3repE0EEENS1_30default_config_static_selectorELNS0_4arch9wavefront6targetE0EEEvS13_.uses_flat_scratch, 0
	.set _ZN7rocprim17ROCPRIM_400000_NS6detail17trampoline_kernelINS0_13select_configILj256ELj13ELNS0_17block_load_methodE3ELS4_3ELS4_3ELNS0_20block_scan_algorithmE0ELj4294967295EEENS1_25partition_config_selectorILNS1_17partition_subalgoE4EjNS0_10empty_typeEbEEZZNS1_14partition_implILS8_4ELb0ES6_15HIP_vector_typeIjLj2EENS0_17counting_iteratorIjlEEPS9_SG_NS0_5tupleIJPjSI_NS0_16reverse_iteratorISI_EEEEENSH_IJSG_SG_SG_EEES9_SI_JZNS1_25segmented_radix_sort_implINS0_14default_configELb0EPK12hip_bfloat16PSP_PKlPlN2at6native12_GLOBAL__N_18offset_tEEE10hipError_tPvRmT1_PNSt15iterator_traitsIS13_E10value_typeET2_T3_PNS14_IS19_E10value_typeET4_jRbjT5_S1F_jjP12ihipStream_tbEUljE_ZNSN_ISO_Lb0ESR_SS_SU_SV_SZ_EES10_S11_S12_S13_S17_S18_S19_S1C_S1D_jS1E_jS1F_S1F_jjS1H_bEUljE0_EEES10_S11_S12_S19_S1D_S1F_T6_T7_T9_mT8_S1H_bDpT10_ENKUlT_T0_E_clISt17integral_constantIbLb1EES1U_IbLb0EEEEDaS1Q_S1R_EUlS1Q_E_NS1_11comp_targetILNS1_3genE5ELNS1_11target_archE942ELNS1_3gpuE9ELNS1_3repE0EEENS1_30default_config_static_selectorELNS0_4arch9wavefront6targetE0EEEvS13_.has_dyn_sized_stack, 0
	.set _ZN7rocprim17ROCPRIM_400000_NS6detail17trampoline_kernelINS0_13select_configILj256ELj13ELNS0_17block_load_methodE3ELS4_3ELS4_3ELNS0_20block_scan_algorithmE0ELj4294967295EEENS1_25partition_config_selectorILNS1_17partition_subalgoE4EjNS0_10empty_typeEbEEZZNS1_14partition_implILS8_4ELb0ES6_15HIP_vector_typeIjLj2EENS0_17counting_iteratorIjlEEPS9_SG_NS0_5tupleIJPjSI_NS0_16reverse_iteratorISI_EEEEENSH_IJSG_SG_SG_EEES9_SI_JZNS1_25segmented_radix_sort_implINS0_14default_configELb0EPK12hip_bfloat16PSP_PKlPlN2at6native12_GLOBAL__N_18offset_tEEE10hipError_tPvRmT1_PNSt15iterator_traitsIS13_E10value_typeET2_T3_PNS14_IS19_E10value_typeET4_jRbjT5_S1F_jjP12ihipStream_tbEUljE_ZNSN_ISO_Lb0ESR_SS_SU_SV_SZ_EES10_S11_S12_S13_S17_S18_S19_S1C_S1D_jS1E_jS1F_S1F_jjS1H_bEUljE0_EEES10_S11_S12_S19_S1D_S1F_T6_T7_T9_mT8_S1H_bDpT10_ENKUlT_T0_E_clISt17integral_constantIbLb1EES1U_IbLb0EEEEDaS1Q_S1R_EUlS1Q_E_NS1_11comp_targetILNS1_3genE5ELNS1_11target_archE942ELNS1_3gpuE9ELNS1_3repE0EEENS1_30default_config_static_selectorELNS0_4arch9wavefront6targetE0EEEvS13_.has_recursion, 0
	.set _ZN7rocprim17ROCPRIM_400000_NS6detail17trampoline_kernelINS0_13select_configILj256ELj13ELNS0_17block_load_methodE3ELS4_3ELS4_3ELNS0_20block_scan_algorithmE0ELj4294967295EEENS1_25partition_config_selectorILNS1_17partition_subalgoE4EjNS0_10empty_typeEbEEZZNS1_14partition_implILS8_4ELb0ES6_15HIP_vector_typeIjLj2EENS0_17counting_iteratorIjlEEPS9_SG_NS0_5tupleIJPjSI_NS0_16reverse_iteratorISI_EEEEENSH_IJSG_SG_SG_EEES9_SI_JZNS1_25segmented_radix_sort_implINS0_14default_configELb0EPK12hip_bfloat16PSP_PKlPlN2at6native12_GLOBAL__N_18offset_tEEE10hipError_tPvRmT1_PNSt15iterator_traitsIS13_E10value_typeET2_T3_PNS14_IS19_E10value_typeET4_jRbjT5_S1F_jjP12ihipStream_tbEUljE_ZNSN_ISO_Lb0ESR_SS_SU_SV_SZ_EES10_S11_S12_S13_S17_S18_S19_S1C_S1D_jS1E_jS1F_S1F_jjS1H_bEUljE0_EEES10_S11_S12_S19_S1D_S1F_T6_T7_T9_mT8_S1H_bDpT10_ENKUlT_T0_E_clISt17integral_constantIbLb1EES1U_IbLb0EEEEDaS1Q_S1R_EUlS1Q_E_NS1_11comp_targetILNS1_3genE5ELNS1_11target_archE942ELNS1_3gpuE9ELNS1_3repE0EEENS1_30default_config_static_selectorELNS0_4arch9wavefront6targetE0EEEvS13_.has_indirect_call, 0
	.section	.AMDGPU.csdata,"",@progbits
; Kernel info:
; codeLenInByte = 0
; TotalNumSgprs: 0
; NumVgprs: 0
; ScratchSize: 0
; MemoryBound: 0
; FloatMode: 240
; IeeeMode: 1
; LDSByteSize: 0 bytes/workgroup (compile time only)
; SGPRBlocks: 0
; VGPRBlocks: 0
; NumSGPRsForWavesPerEU: 1
; NumVGPRsForWavesPerEU: 1
; Occupancy: 16
; WaveLimiterHint : 0
; COMPUTE_PGM_RSRC2:SCRATCH_EN: 0
; COMPUTE_PGM_RSRC2:USER_SGPR: 6
; COMPUTE_PGM_RSRC2:TRAP_HANDLER: 0
; COMPUTE_PGM_RSRC2:TGID_X_EN: 1
; COMPUTE_PGM_RSRC2:TGID_Y_EN: 0
; COMPUTE_PGM_RSRC2:TGID_Z_EN: 0
; COMPUTE_PGM_RSRC2:TIDIG_COMP_CNT: 0
	.section	.text._ZN7rocprim17ROCPRIM_400000_NS6detail17trampoline_kernelINS0_13select_configILj256ELj13ELNS0_17block_load_methodE3ELS4_3ELS4_3ELNS0_20block_scan_algorithmE0ELj4294967295EEENS1_25partition_config_selectorILNS1_17partition_subalgoE4EjNS0_10empty_typeEbEEZZNS1_14partition_implILS8_4ELb0ES6_15HIP_vector_typeIjLj2EENS0_17counting_iteratorIjlEEPS9_SG_NS0_5tupleIJPjSI_NS0_16reverse_iteratorISI_EEEEENSH_IJSG_SG_SG_EEES9_SI_JZNS1_25segmented_radix_sort_implINS0_14default_configELb0EPK12hip_bfloat16PSP_PKlPlN2at6native12_GLOBAL__N_18offset_tEEE10hipError_tPvRmT1_PNSt15iterator_traitsIS13_E10value_typeET2_T3_PNS14_IS19_E10value_typeET4_jRbjT5_S1F_jjP12ihipStream_tbEUljE_ZNSN_ISO_Lb0ESR_SS_SU_SV_SZ_EES10_S11_S12_S13_S17_S18_S19_S1C_S1D_jS1E_jS1F_S1F_jjS1H_bEUljE0_EEES10_S11_S12_S19_S1D_S1F_T6_T7_T9_mT8_S1H_bDpT10_ENKUlT_T0_E_clISt17integral_constantIbLb1EES1U_IbLb0EEEEDaS1Q_S1R_EUlS1Q_E_NS1_11comp_targetILNS1_3genE4ELNS1_11target_archE910ELNS1_3gpuE8ELNS1_3repE0EEENS1_30default_config_static_selectorELNS0_4arch9wavefront6targetE0EEEvS13_,"axG",@progbits,_ZN7rocprim17ROCPRIM_400000_NS6detail17trampoline_kernelINS0_13select_configILj256ELj13ELNS0_17block_load_methodE3ELS4_3ELS4_3ELNS0_20block_scan_algorithmE0ELj4294967295EEENS1_25partition_config_selectorILNS1_17partition_subalgoE4EjNS0_10empty_typeEbEEZZNS1_14partition_implILS8_4ELb0ES6_15HIP_vector_typeIjLj2EENS0_17counting_iteratorIjlEEPS9_SG_NS0_5tupleIJPjSI_NS0_16reverse_iteratorISI_EEEEENSH_IJSG_SG_SG_EEES9_SI_JZNS1_25segmented_radix_sort_implINS0_14default_configELb0EPK12hip_bfloat16PSP_PKlPlN2at6native12_GLOBAL__N_18offset_tEEE10hipError_tPvRmT1_PNSt15iterator_traitsIS13_E10value_typeET2_T3_PNS14_IS19_E10value_typeET4_jRbjT5_S1F_jjP12ihipStream_tbEUljE_ZNSN_ISO_Lb0ESR_SS_SU_SV_SZ_EES10_S11_S12_S13_S17_S18_S19_S1C_S1D_jS1E_jS1F_S1F_jjS1H_bEUljE0_EEES10_S11_S12_S19_S1D_S1F_T6_T7_T9_mT8_S1H_bDpT10_ENKUlT_T0_E_clISt17integral_constantIbLb1EES1U_IbLb0EEEEDaS1Q_S1R_EUlS1Q_E_NS1_11comp_targetILNS1_3genE4ELNS1_11target_archE910ELNS1_3gpuE8ELNS1_3repE0EEENS1_30default_config_static_selectorELNS0_4arch9wavefront6targetE0EEEvS13_,comdat
	.globl	_ZN7rocprim17ROCPRIM_400000_NS6detail17trampoline_kernelINS0_13select_configILj256ELj13ELNS0_17block_load_methodE3ELS4_3ELS4_3ELNS0_20block_scan_algorithmE0ELj4294967295EEENS1_25partition_config_selectorILNS1_17partition_subalgoE4EjNS0_10empty_typeEbEEZZNS1_14partition_implILS8_4ELb0ES6_15HIP_vector_typeIjLj2EENS0_17counting_iteratorIjlEEPS9_SG_NS0_5tupleIJPjSI_NS0_16reverse_iteratorISI_EEEEENSH_IJSG_SG_SG_EEES9_SI_JZNS1_25segmented_radix_sort_implINS0_14default_configELb0EPK12hip_bfloat16PSP_PKlPlN2at6native12_GLOBAL__N_18offset_tEEE10hipError_tPvRmT1_PNSt15iterator_traitsIS13_E10value_typeET2_T3_PNS14_IS19_E10value_typeET4_jRbjT5_S1F_jjP12ihipStream_tbEUljE_ZNSN_ISO_Lb0ESR_SS_SU_SV_SZ_EES10_S11_S12_S13_S17_S18_S19_S1C_S1D_jS1E_jS1F_S1F_jjS1H_bEUljE0_EEES10_S11_S12_S19_S1D_S1F_T6_T7_T9_mT8_S1H_bDpT10_ENKUlT_T0_E_clISt17integral_constantIbLb1EES1U_IbLb0EEEEDaS1Q_S1R_EUlS1Q_E_NS1_11comp_targetILNS1_3genE4ELNS1_11target_archE910ELNS1_3gpuE8ELNS1_3repE0EEENS1_30default_config_static_selectorELNS0_4arch9wavefront6targetE0EEEvS13_ ; -- Begin function _ZN7rocprim17ROCPRIM_400000_NS6detail17trampoline_kernelINS0_13select_configILj256ELj13ELNS0_17block_load_methodE3ELS4_3ELS4_3ELNS0_20block_scan_algorithmE0ELj4294967295EEENS1_25partition_config_selectorILNS1_17partition_subalgoE4EjNS0_10empty_typeEbEEZZNS1_14partition_implILS8_4ELb0ES6_15HIP_vector_typeIjLj2EENS0_17counting_iteratorIjlEEPS9_SG_NS0_5tupleIJPjSI_NS0_16reverse_iteratorISI_EEEEENSH_IJSG_SG_SG_EEES9_SI_JZNS1_25segmented_radix_sort_implINS0_14default_configELb0EPK12hip_bfloat16PSP_PKlPlN2at6native12_GLOBAL__N_18offset_tEEE10hipError_tPvRmT1_PNSt15iterator_traitsIS13_E10value_typeET2_T3_PNS14_IS19_E10value_typeET4_jRbjT5_S1F_jjP12ihipStream_tbEUljE_ZNSN_ISO_Lb0ESR_SS_SU_SV_SZ_EES10_S11_S12_S13_S17_S18_S19_S1C_S1D_jS1E_jS1F_S1F_jjS1H_bEUljE0_EEES10_S11_S12_S19_S1D_S1F_T6_T7_T9_mT8_S1H_bDpT10_ENKUlT_T0_E_clISt17integral_constantIbLb1EES1U_IbLb0EEEEDaS1Q_S1R_EUlS1Q_E_NS1_11comp_targetILNS1_3genE4ELNS1_11target_archE910ELNS1_3gpuE8ELNS1_3repE0EEENS1_30default_config_static_selectorELNS0_4arch9wavefront6targetE0EEEvS13_
	.p2align	8
	.type	_ZN7rocprim17ROCPRIM_400000_NS6detail17trampoline_kernelINS0_13select_configILj256ELj13ELNS0_17block_load_methodE3ELS4_3ELS4_3ELNS0_20block_scan_algorithmE0ELj4294967295EEENS1_25partition_config_selectorILNS1_17partition_subalgoE4EjNS0_10empty_typeEbEEZZNS1_14partition_implILS8_4ELb0ES6_15HIP_vector_typeIjLj2EENS0_17counting_iteratorIjlEEPS9_SG_NS0_5tupleIJPjSI_NS0_16reverse_iteratorISI_EEEEENSH_IJSG_SG_SG_EEES9_SI_JZNS1_25segmented_radix_sort_implINS0_14default_configELb0EPK12hip_bfloat16PSP_PKlPlN2at6native12_GLOBAL__N_18offset_tEEE10hipError_tPvRmT1_PNSt15iterator_traitsIS13_E10value_typeET2_T3_PNS14_IS19_E10value_typeET4_jRbjT5_S1F_jjP12ihipStream_tbEUljE_ZNSN_ISO_Lb0ESR_SS_SU_SV_SZ_EES10_S11_S12_S13_S17_S18_S19_S1C_S1D_jS1E_jS1F_S1F_jjS1H_bEUljE0_EEES10_S11_S12_S19_S1D_S1F_T6_T7_T9_mT8_S1H_bDpT10_ENKUlT_T0_E_clISt17integral_constantIbLb1EES1U_IbLb0EEEEDaS1Q_S1R_EUlS1Q_E_NS1_11comp_targetILNS1_3genE4ELNS1_11target_archE910ELNS1_3gpuE8ELNS1_3repE0EEENS1_30default_config_static_selectorELNS0_4arch9wavefront6targetE0EEEvS13_,@function
_ZN7rocprim17ROCPRIM_400000_NS6detail17trampoline_kernelINS0_13select_configILj256ELj13ELNS0_17block_load_methodE3ELS4_3ELS4_3ELNS0_20block_scan_algorithmE0ELj4294967295EEENS1_25partition_config_selectorILNS1_17partition_subalgoE4EjNS0_10empty_typeEbEEZZNS1_14partition_implILS8_4ELb0ES6_15HIP_vector_typeIjLj2EENS0_17counting_iteratorIjlEEPS9_SG_NS0_5tupleIJPjSI_NS0_16reverse_iteratorISI_EEEEENSH_IJSG_SG_SG_EEES9_SI_JZNS1_25segmented_radix_sort_implINS0_14default_configELb0EPK12hip_bfloat16PSP_PKlPlN2at6native12_GLOBAL__N_18offset_tEEE10hipError_tPvRmT1_PNSt15iterator_traitsIS13_E10value_typeET2_T3_PNS14_IS19_E10value_typeET4_jRbjT5_S1F_jjP12ihipStream_tbEUljE_ZNSN_ISO_Lb0ESR_SS_SU_SV_SZ_EES10_S11_S12_S13_S17_S18_S19_S1C_S1D_jS1E_jS1F_S1F_jjS1H_bEUljE0_EEES10_S11_S12_S19_S1D_S1F_T6_T7_T9_mT8_S1H_bDpT10_ENKUlT_T0_E_clISt17integral_constantIbLb1EES1U_IbLb0EEEEDaS1Q_S1R_EUlS1Q_E_NS1_11comp_targetILNS1_3genE4ELNS1_11target_archE910ELNS1_3gpuE8ELNS1_3repE0EEENS1_30default_config_static_selectorELNS0_4arch9wavefront6targetE0EEEvS13_: ; @_ZN7rocprim17ROCPRIM_400000_NS6detail17trampoline_kernelINS0_13select_configILj256ELj13ELNS0_17block_load_methodE3ELS4_3ELS4_3ELNS0_20block_scan_algorithmE0ELj4294967295EEENS1_25partition_config_selectorILNS1_17partition_subalgoE4EjNS0_10empty_typeEbEEZZNS1_14partition_implILS8_4ELb0ES6_15HIP_vector_typeIjLj2EENS0_17counting_iteratorIjlEEPS9_SG_NS0_5tupleIJPjSI_NS0_16reverse_iteratorISI_EEEEENSH_IJSG_SG_SG_EEES9_SI_JZNS1_25segmented_radix_sort_implINS0_14default_configELb0EPK12hip_bfloat16PSP_PKlPlN2at6native12_GLOBAL__N_18offset_tEEE10hipError_tPvRmT1_PNSt15iterator_traitsIS13_E10value_typeET2_T3_PNS14_IS19_E10value_typeET4_jRbjT5_S1F_jjP12ihipStream_tbEUljE_ZNSN_ISO_Lb0ESR_SS_SU_SV_SZ_EES10_S11_S12_S13_S17_S18_S19_S1C_S1D_jS1E_jS1F_S1F_jjS1H_bEUljE0_EEES10_S11_S12_S19_S1D_S1F_T6_T7_T9_mT8_S1H_bDpT10_ENKUlT_T0_E_clISt17integral_constantIbLb1EES1U_IbLb0EEEEDaS1Q_S1R_EUlS1Q_E_NS1_11comp_targetILNS1_3genE4ELNS1_11target_archE910ELNS1_3gpuE8ELNS1_3repE0EEENS1_30default_config_static_selectorELNS0_4arch9wavefront6targetE0EEEvS13_
; %bb.0:
	.section	.rodata,"a",@progbits
	.p2align	6, 0x0
	.amdhsa_kernel _ZN7rocprim17ROCPRIM_400000_NS6detail17trampoline_kernelINS0_13select_configILj256ELj13ELNS0_17block_load_methodE3ELS4_3ELS4_3ELNS0_20block_scan_algorithmE0ELj4294967295EEENS1_25partition_config_selectorILNS1_17partition_subalgoE4EjNS0_10empty_typeEbEEZZNS1_14partition_implILS8_4ELb0ES6_15HIP_vector_typeIjLj2EENS0_17counting_iteratorIjlEEPS9_SG_NS0_5tupleIJPjSI_NS0_16reverse_iteratorISI_EEEEENSH_IJSG_SG_SG_EEES9_SI_JZNS1_25segmented_radix_sort_implINS0_14default_configELb0EPK12hip_bfloat16PSP_PKlPlN2at6native12_GLOBAL__N_18offset_tEEE10hipError_tPvRmT1_PNSt15iterator_traitsIS13_E10value_typeET2_T3_PNS14_IS19_E10value_typeET4_jRbjT5_S1F_jjP12ihipStream_tbEUljE_ZNSN_ISO_Lb0ESR_SS_SU_SV_SZ_EES10_S11_S12_S13_S17_S18_S19_S1C_S1D_jS1E_jS1F_S1F_jjS1H_bEUljE0_EEES10_S11_S12_S19_S1D_S1F_T6_T7_T9_mT8_S1H_bDpT10_ENKUlT_T0_E_clISt17integral_constantIbLb1EES1U_IbLb0EEEEDaS1Q_S1R_EUlS1Q_E_NS1_11comp_targetILNS1_3genE4ELNS1_11target_archE910ELNS1_3gpuE8ELNS1_3repE0EEENS1_30default_config_static_selectorELNS0_4arch9wavefront6targetE0EEEvS13_
		.amdhsa_group_segment_fixed_size 0
		.amdhsa_private_segment_fixed_size 0
		.amdhsa_kernarg_size 176
		.amdhsa_user_sgpr_count 6
		.amdhsa_user_sgpr_private_segment_buffer 1
		.amdhsa_user_sgpr_dispatch_ptr 0
		.amdhsa_user_sgpr_queue_ptr 0
		.amdhsa_user_sgpr_kernarg_segment_ptr 1
		.amdhsa_user_sgpr_dispatch_id 0
		.amdhsa_user_sgpr_flat_scratch_init 0
		.amdhsa_user_sgpr_private_segment_size 0
		.amdhsa_wavefront_size32 1
		.amdhsa_uses_dynamic_stack 0
		.amdhsa_system_sgpr_private_segment_wavefront_offset 0
		.amdhsa_system_sgpr_workgroup_id_x 1
		.amdhsa_system_sgpr_workgroup_id_y 0
		.amdhsa_system_sgpr_workgroup_id_z 0
		.amdhsa_system_sgpr_workgroup_info 0
		.amdhsa_system_vgpr_workitem_id 0
		.amdhsa_next_free_vgpr 1
		.amdhsa_next_free_sgpr 1
		.amdhsa_reserve_vcc 0
		.amdhsa_reserve_flat_scratch 0
		.amdhsa_float_round_mode_32 0
		.amdhsa_float_round_mode_16_64 0
		.amdhsa_float_denorm_mode_32 3
		.amdhsa_float_denorm_mode_16_64 3
		.amdhsa_dx10_clamp 1
		.amdhsa_ieee_mode 1
		.amdhsa_fp16_overflow 0
		.amdhsa_workgroup_processor_mode 1
		.amdhsa_memory_ordered 1
		.amdhsa_forward_progress 1
		.amdhsa_shared_vgpr_count 0
		.amdhsa_exception_fp_ieee_invalid_op 0
		.amdhsa_exception_fp_denorm_src 0
		.amdhsa_exception_fp_ieee_div_zero 0
		.amdhsa_exception_fp_ieee_overflow 0
		.amdhsa_exception_fp_ieee_underflow 0
		.amdhsa_exception_fp_ieee_inexact 0
		.amdhsa_exception_int_div_zero 0
	.end_amdhsa_kernel
	.section	.text._ZN7rocprim17ROCPRIM_400000_NS6detail17trampoline_kernelINS0_13select_configILj256ELj13ELNS0_17block_load_methodE3ELS4_3ELS4_3ELNS0_20block_scan_algorithmE0ELj4294967295EEENS1_25partition_config_selectorILNS1_17partition_subalgoE4EjNS0_10empty_typeEbEEZZNS1_14partition_implILS8_4ELb0ES6_15HIP_vector_typeIjLj2EENS0_17counting_iteratorIjlEEPS9_SG_NS0_5tupleIJPjSI_NS0_16reverse_iteratorISI_EEEEENSH_IJSG_SG_SG_EEES9_SI_JZNS1_25segmented_radix_sort_implINS0_14default_configELb0EPK12hip_bfloat16PSP_PKlPlN2at6native12_GLOBAL__N_18offset_tEEE10hipError_tPvRmT1_PNSt15iterator_traitsIS13_E10value_typeET2_T3_PNS14_IS19_E10value_typeET4_jRbjT5_S1F_jjP12ihipStream_tbEUljE_ZNSN_ISO_Lb0ESR_SS_SU_SV_SZ_EES10_S11_S12_S13_S17_S18_S19_S1C_S1D_jS1E_jS1F_S1F_jjS1H_bEUljE0_EEES10_S11_S12_S19_S1D_S1F_T6_T7_T9_mT8_S1H_bDpT10_ENKUlT_T0_E_clISt17integral_constantIbLb1EES1U_IbLb0EEEEDaS1Q_S1R_EUlS1Q_E_NS1_11comp_targetILNS1_3genE4ELNS1_11target_archE910ELNS1_3gpuE8ELNS1_3repE0EEENS1_30default_config_static_selectorELNS0_4arch9wavefront6targetE0EEEvS13_,"axG",@progbits,_ZN7rocprim17ROCPRIM_400000_NS6detail17trampoline_kernelINS0_13select_configILj256ELj13ELNS0_17block_load_methodE3ELS4_3ELS4_3ELNS0_20block_scan_algorithmE0ELj4294967295EEENS1_25partition_config_selectorILNS1_17partition_subalgoE4EjNS0_10empty_typeEbEEZZNS1_14partition_implILS8_4ELb0ES6_15HIP_vector_typeIjLj2EENS0_17counting_iteratorIjlEEPS9_SG_NS0_5tupleIJPjSI_NS0_16reverse_iteratorISI_EEEEENSH_IJSG_SG_SG_EEES9_SI_JZNS1_25segmented_radix_sort_implINS0_14default_configELb0EPK12hip_bfloat16PSP_PKlPlN2at6native12_GLOBAL__N_18offset_tEEE10hipError_tPvRmT1_PNSt15iterator_traitsIS13_E10value_typeET2_T3_PNS14_IS19_E10value_typeET4_jRbjT5_S1F_jjP12ihipStream_tbEUljE_ZNSN_ISO_Lb0ESR_SS_SU_SV_SZ_EES10_S11_S12_S13_S17_S18_S19_S1C_S1D_jS1E_jS1F_S1F_jjS1H_bEUljE0_EEES10_S11_S12_S19_S1D_S1F_T6_T7_T9_mT8_S1H_bDpT10_ENKUlT_T0_E_clISt17integral_constantIbLb1EES1U_IbLb0EEEEDaS1Q_S1R_EUlS1Q_E_NS1_11comp_targetILNS1_3genE4ELNS1_11target_archE910ELNS1_3gpuE8ELNS1_3repE0EEENS1_30default_config_static_selectorELNS0_4arch9wavefront6targetE0EEEvS13_,comdat
.Lfunc_end1993:
	.size	_ZN7rocprim17ROCPRIM_400000_NS6detail17trampoline_kernelINS0_13select_configILj256ELj13ELNS0_17block_load_methodE3ELS4_3ELS4_3ELNS0_20block_scan_algorithmE0ELj4294967295EEENS1_25partition_config_selectorILNS1_17partition_subalgoE4EjNS0_10empty_typeEbEEZZNS1_14partition_implILS8_4ELb0ES6_15HIP_vector_typeIjLj2EENS0_17counting_iteratorIjlEEPS9_SG_NS0_5tupleIJPjSI_NS0_16reverse_iteratorISI_EEEEENSH_IJSG_SG_SG_EEES9_SI_JZNS1_25segmented_radix_sort_implINS0_14default_configELb0EPK12hip_bfloat16PSP_PKlPlN2at6native12_GLOBAL__N_18offset_tEEE10hipError_tPvRmT1_PNSt15iterator_traitsIS13_E10value_typeET2_T3_PNS14_IS19_E10value_typeET4_jRbjT5_S1F_jjP12ihipStream_tbEUljE_ZNSN_ISO_Lb0ESR_SS_SU_SV_SZ_EES10_S11_S12_S13_S17_S18_S19_S1C_S1D_jS1E_jS1F_S1F_jjS1H_bEUljE0_EEES10_S11_S12_S19_S1D_S1F_T6_T7_T9_mT8_S1H_bDpT10_ENKUlT_T0_E_clISt17integral_constantIbLb1EES1U_IbLb0EEEEDaS1Q_S1R_EUlS1Q_E_NS1_11comp_targetILNS1_3genE4ELNS1_11target_archE910ELNS1_3gpuE8ELNS1_3repE0EEENS1_30default_config_static_selectorELNS0_4arch9wavefront6targetE0EEEvS13_, .Lfunc_end1993-_ZN7rocprim17ROCPRIM_400000_NS6detail17trampoline_kernelINS0_13select_configILj256ELj13ELNS0_17block_load_methodE3ELS4_3ELS4_3ELNS0_20block_scan_algorithmE0ELj4294967295EEENS1_25partition_config_selectorILNS1_17partition_subalgoE4EjNS0_10empty_typeEbEEZZNS1_14partition_implILS8_4ELb0ES6_15HIP_vector_typeIjLj2EENS0_17counting_iteratorIjlEEPS9_SG_NS0_5tupleIJPjSI_NS0_16reverse_iteratorISI_EEEEENSH_IJSG_SG_SG_EEES9_SI_JZNS1_25segmented_radix_sort_implINS0_14default_configELb0EPK12hip_bfloat16PSP_PKlPlN2at6native12_GLOBAL__N_18offset_tEEE10hipError_tPvRmT1_PNSt15iterator_traitsIS13_E10value_typeET2_T3_PNS14_IS19_E10value_typeET4_jRbjT5_S1F_jjP12ihipStream_tbEUljE_ZNSN_ISO_Lb0ESR_SS_SU_SV_SZ_EES10_S11_S12_S13_S17_S18_S19_S1C_S1D_jS1E_jS1F_S1F_jjS1H_bEUljE0_EEES10_S11_S12_S19_S1D_S1F_T6_T7_T9_mT8_S1H_bDpT10_ENKUlT_T0_E_clISt17integral_constantIbLb1EES1U_IbLb0EEEEDaS1Q_S1R_EUlS1Q_E_NS1_11comp_targetILNS1_3genE4ELNS1_11target_archE910ELNS1_3gpuE8ELNS1_3repE0EEENS1_30default_config_static_selectorELNS0_4arch9wavefront6targetE0EEEvS13_
                                        ; -- End function
	.set _ZN7rocprim17ROCPRIM_400000_NS6detail17trampoline_kernelINS0_13select_configILj256ELj13ELNS0_17block_load_methodE3ELS4_3ELS4_3ELNS0_20block_scan_algorithmE0ELj4294967295EEENS1_25partition_config_selectorILNS1_17partition_subalgoE4EjNS0_10empty_typeEbEEZZNS1_14partition_implILS8_4ELb0ES6_15HIP_vector_typeIjLj2EENS0_17counting_iteratorIjlEEPS9_SG_NS0_5tupleIJPjSI_NS0_16reverse_iteratorISI_EEEEENSH_IJSG_SG_SG_EEES9_SI_JZNS1_25segmented_radix_sort_implINS0_14default_configELb0EPK12hip_bfloat16PSP_PKlPlN2at6native12_GLOBAL__N_18offset_tEEE10hipError_tPvRmT1_PNSt15iterator_traitsIS13_E10value_typeET2_T3_PNS14_IS19_E10value_typeET4_jRbjT5_S1F_jjP12ihipStream_tbEUljE_ZNSN_ISO_Lb0ESR_SS_SU_SV_SZ_EES10_S11_S12_S13_S17_S18_S19_S1C_S1D_jS1E_jS1F_S1F_jjS1H_bEUljE0_EEES10_S11_S12_S19_S1D_S1F_T6_T7_T9_mT8_S1H_bDpT10_ENKUlT_T0_E_clISt17integral_constantIbLb1EES1U_IbLb0EEEEDaS1Q_S1R_EUlS1Q_E_NS1_11comp_targetILNS1_3genE4ELNS1_11target_archE910ELNS1_3gpuE8ELNS1_3repE0EEENS1_30default_config_static_selectorELNS0_4arch9wavefront6targetE0EEEvS13_.num_vgpr, 0
	.set _ZN7rocprim17ROCPRIM_400000_NS6detail17trampoline_kernelINS0_13select_configILj256ELj13ELNS0_17block_load_methodE3ELS4_3ELS4_3ELNS0_20block_scan_algorithmE0ELj4294967295EEENS1_25partition_config_selectorILNS1_17partition_subalgoE4EjNS0_10empty_typeEbEEZZNS1_14partition_implILS8_4ELb0ES6_15HIP_vector_typeIjLj2EENS0_17counting_iteratorIjlEEPS9_SG_NS0_5tupleIJPjSI_NS0_16reverse_iteratorISI_EEEEENSH_IJSG_SG_SG_EEES9_SI_JZNS1_25segmented_radix_sort_implINS0_14default_configELb0EPK12hip_bfloat16PSP_PKlPlN2at6native12_GLOBAL__N_18offset_tEEE10hipError_tPvRmT1_PNSt15iterator_traitsIS13_E10value_typeET2_T3_PNS14_IS19_E10value_typeET4_jRbjT5_S1F_jjP12ihipStream_tbEUljE_ZNSN_ISO_Lb0ESR_SS_SU_SV_SZ_EES10_S11_S12_S13_S17_S18_S19_S1C_S1D_jS1E_jS1F_S1F_jjS1H_bEUljE0_EEES10_S11_S12_S19_S1D_S1F_T6_T7_T9_mT8_S1H_bDpT10_ENKUlT_T0_E_clISt17integral_constantIbLb1EES1U_IbLb0EEEEDaS1Q_S1R_EUlS1Q_E_NS1_11comp_targetILNS1_3genE4ELNS1_11target_archE910ELNS1_3gpuE8ELNS1_3repE0EEENS1_30default_config_static_selectorELNS0_4arch9wavefront6targetE0EEEvS13_.num_agpr, 0
	.set _ZN7rocprim17ROCPRIM_400000_NS6detail17trampoline_kernelINS0_13select_configILj256ELj13ELNS0_17block_load_methodE3ELS4_3ELS4_3ELNS0_20block_scan_algorithmE0ELj4294967295EEENS1_25partition_config_selectorILNS1_17partition_subalgoE4EjNS0_10empty_typeEbEEZZNS1_14partition_implILS8_4ELb0ES6_15HIP_vector_typeIjLj2EENS0_17counting_iteratorIjlEEPS9_SG_NS0_5tupleIJPjSI_NS0_16reverse_iteratorISI_EEEEENSH_IJSG_SG_SG_EEES9_SI_JZNS1_25segmented_radix_sort_implINS0_14default_configELb0EPK12hip_bfloat16PSP_PKlPlN2at6native12_GLOBAL__N_18offset_tEEE10hipError_tPvRmT1_PNSt15iterator_traitsIS13_E10value_typeET2_T3_PNS14_IS19_E10value_typeET4_jRbjT5_S1F_jjP12ihipStream_tbEUljE_ZNSN_ISO_Lb0ESR_SS_SU_SV_SZ_EES10_S11_S12_S13_S17_S18_S19_S1C_S1D_jS1E_jS1F_S1F_jjS1H_bEUljE0_EEES10_S11_S12_S19_S1D_S1F_T6_T7_T9_mT8_S1H_bDpT10_ENKUlT_T0_E_clISt17integral_constantIbLb1EES1U_IbLb0EEEEDaS1Q_S1R_EUlS1Q_E_NS1_11comp_targetILNS1_3genE4ELNS1_11target_archE910ELNS1_3gpuE8ELNS1_3repE0EEENS1_30default_config_static_selectorELNS0_4arch9wavefront6targetE0EEEvS13_.numbered_sgpr, 0
	.set _ZN7rocprim17ROCPRIM_400000_NS6detail17trampoline_kernelINS0_13select_configILj256ELj13ELNS0_17block_load_methodE3ELS4_3ELS4_3ELNS0_20block_scan_algorithmE0ELj4294967295EEENS1_25partition_config_selectorILNS1_17partition_subalgoE4EjNS0_10empty_typeEbEEZZNS1_14partition_implILS8_4ELb0ES6_15HIP_vector_typeIjLj2EENS0_17counting_iteratorIjlEEPS9_SG_NS0_5tupleIJPjSI_NS0_16reverse_iteratorISI_EEEEENSH_IJSG_SG_SG_EEES9_SI_JZNS1_25segmented_radix_sort_implINS0_14default_configELb0EPK12hip_bfloat16PSP_PKlPlN2at6native12_GLOBAL__N_18offset_tEEE10hipError_tPvRmT1_PNSt15iterator_traitsIS13_E10value_typeET2_T3_PNS14_IS19_E10value_typeET4_jRbjT5_S1F_jjP12ihipStream_tbEUljE_ZNSN_ISO_Lb0ESR_SS_SU_SV_SZ_EES10_S11_S12_S13_S17_S18_S19_S1C_S1D_jS1E_jS1F_S1F_jjS1H_bEUljE0_EEES10_S11_S12_S19_S1D_S1F_T6_T7_T9_mT8_S1H_bDpT10_ENKUlT_T0_E_clISt17integral_constantIbLb1EES1U_IbLb0EEEEDaS1Q_S1R_EUlS1Q_E_NS1_11comp_targetILNS1_3genE4ELNS1_11target_archE910ELNS1_3gpuE8ELNS1_3repE0EEENS1_30default_config_static_selectorELNS0_4arch9wavefront6targetE0EEEvS13_.num_named_barrier, 0
	.set _ZN7rocprim17ROCPRIM_400000_NS6detail17trampoline_kernelINS0_13select_configILj256ELj13ELNS0_17block_load_methodE3ELS4_3ELS4_3ELNS0_20block_scan_algorithmE0ELj4294967295EEENS1_25partition_config_selectorILNS1_17partition_subalgoE4EjNS0_10empty_typeEbEEZZNS1_14partition_implILS8_4ELb0ES6_15HIP_vector_typeIjLj2EENS0_17counting_iteratorIjlEEPS9_SG_NS0_5tupleIJPjSI_NS0_16reverse_iteratorISI_EEEEENSH_IJSG_SG_SG_EEES9_SI_JZNS1_25segmented_radix_sort_implINS0_14default_configELb0EPK12hip_bfloat16PSP_PKlPlN2at6native12_GLOBAL__N_18offset_tEEE10hipError_tPvRmT1_PNSt15iterator_traitsIS13_E10value_typeET2_T3_PNS14_IS19_E10value_typeET4_jRbjT5_S1F_jjP12ihipStream_tbEUljE_ZNSN_ISO_Lb0ESR_SS_SU_SV_SZ_EES10_S11_S12_S13_S17_S18_S19_S1C_S1D_jS1E_jS1F_S1F_jjS1H_bEUljE0_EEES10_S11_S12_S19_S1D_S1F_T6_T7_T9_mT8_S1H_bDpT10_ENKUlT_T0_E_clISt17integral_constantIbLb1EES1U_IbLb0EEEEDaS1Q_S1R_EUlS1Q_E_NS1_11comp_targetILNS1_3genE4ELNS1_11target_archE910ELNS1_3gpuE8ELNS1_3repE0EEENS1_30default_config_static_selectorELNS0_4arch9wavefront6targetE0EEEvS13_.private_seg_size, 0
	.set _ZN7rocprim17ROCPRIM_400000_NS6detail17trampoline_kernelINS0_13select_configILj256ELj13ELNS0_17block_load_methodE3ELS4_3ELS4_3ELNS0_20block_scan_algorithmE0ELj4294967295EEENS1_25partition_config_selectorILNS1_17partition_subalgoE4EjNS0_10empty_typeEbEEZZNS1_14partition_implILS8_4ELb0ES6_15HIP_vector_typeIjLj2EENS0_17counting_iteratorIjlEEPS9_SG_NS0_5tupleIJPjSI_NS0_16reverse_iteratorISI_EEEEENSH_IJSG_SG_SG_EEES9_SI_JZNS1_25segmented_radix_sort_implINS0_14default_configELb0EPK12hip_bfloat16PSP_PKlPlN2at6native12_GLOBAL__N_18offset_tEEE10hipError_tPvRmT1_PNSt15iterator_traitsIS13_E10value_typeET2_T3_PNS14_IS19_E10value_typeET4_jRbjT5_S1F_jjP12ihipStream_tbEUljE_ZNSN_ISO_Lb0ESR_SS_SU_SV_SZ_EES10_S11_S12_S13_S17_S18_S19_S1C_S1D_jS1E_jS1F_S1F_jjS1H_bEUljE0_EEES10_S11_S12_S19_S1D_S1F_T6_T7_T9_mT8_S1H_bDpT10_ENKUlT_T0_E_clISt17integral_constantIbLb1EES1U_IbLb0EEEEDaS1Q_S1R_EUlS1Q_E_NS1_11comp_targetILNS1_3genE4ELNS1_11target_archE910ELNS1_3gpuE8ELNS1_3repE0EEENS1_30default_config_static_selectorELNS0_4arch9wavefront6targetE0EEEvS13_.uses_vcc, 0
	.set _ZN7rocprim17ROCPRIM_400000_NS6detail17trampoline_kernelINS0_13select_configILj256ELj13ELNS0_17block_load_methodE3ELS4_3ELS4_3ELNS0_20block_scan_algorithmE0ELj4294967295EEENS1_25partition_config_selectorILNS1_17partition_subalgoE4EjNS0_10empty_typeEbEEZZNS1_14partition_implILS8_4ELb0ES6_15HIP_vector_typeIjLj2EENS0_17counting_iteratorIjlEEPS9_SG_NS0_5tupleIJPjSI_NS0_16reverse_iteratorISI_EEEEENSH_IJSG_SG_SG_EEES9_SI_JZNS1_25segmented_radix_sort_implINS0_14default_configELb0EPK12hip_bfloat16PSP_PKlPlN2at6native12_GLOBAL__N_18offset_tEEE10hipError_tPvRmT1_PNSt15iterator_traitsIS13_E10value_typeET2_T3_PNS14_IS19_E10value_typeET4_jRbjT5_S1F_jjP12ihipStream_tbEUljE_ZNSN_ISO_Lb0ESR_SS_SU_SV_SZ_EES10_S11_S12_S13_S17_S18_S19_S1C_S1D_jS1E_jS1F_S1F_jjS1H_bEUljE0_EEES10_S11_S12_S19_S1D_S1F_T6_T7_T9_mT8_S1H_bDpT10_ENKUlT_T0_E_clISt17integral_constantIbLb1EES1U_IbLb0EEEEDaS1Q_S1R_EUlS1Q_E_NS1_11comp_targetILNS1_3genE4ELNS1_11target_archE910ELNS1_3gpuE8ELNS1_3repE0EEENS1_30default_config_static_selectorELNS0_4arch9wavefront6targetE0EEEvS13_.uses_flat_scratch, 0
	.set _ZN7rocprim17ROCPRIM_400000_NS6detail17trampoline_kernelINS0_13select_configILj256ELj13ELNS0_17block_load_methodE3ELS4_3ELS4_3ELNS0_20block_scan_algorithmE0ELj4294967295EEENS1_25partition_config_selectorILNS1_17partition_subalgoE4EjNS0_10empty_typeEbEEZZNS1_14partition_implILS8_4ELb0ES6_15HIP_vector_typeIjLj2EENS0_17counting_iteratorIjlEEPS9_SG_NS0_5tupleIJPjSI_NS0_16reverse_iteratorISI_EEEEENSH_IJSG_SG_SG_EEES9_SI_JZNS1_25segmented_radix_sort_implINS0_14default_configELb0EPK12hip_bfloat16PSP_PKlPlN2at6native12_GLOBAL__N_18offset_tEEE10hipError_tPvRmT1_PNSt15iterator_traitsIS13_E10value_typeET2_T3_PNS14_IS19_E10value_typeET4_jRbjT5_S1F_jjP12ihipStream_tbEUljE_ZNSN_ISO_Lb0ESR_SS_SU_SV_SZ_EES10_S11_S12_S13_S17_S18_S19_S1C_S1D_jS1E_jS1F_S1F_jjS1H_bEUljE0_EEES10_S11_S12_S19_S1D_S1F_T6_T7_T9_mT8_S1H_bDpT10_ENKUlT_T0_E_clISt17integral_constantIbLb1EES1U_IbLb0EEEEDaS1Q_S1R_EUlS1Q_E_NS1_11comp_targetILNS1_3genE4ELNS1_11target_archE910ELNS1_3gpuE8ELNS1_3repE0EEENS1_30default_config_static_selectorELNS0_4arch9wavefront6targetE0EEEvS13_.has_dyn_sized_stack, 0
	.set _ZN7rocprim17ROCPRIM_400000_NS6detail17trampoline_kernelINS0_13select_configILj256ELj13ELNS0_17block_load_methodE3ELS4_3ELS4_3ELNS0_20block_scan_algorithmE0ELj4294967295EEENS1_25partition_config_selectorILNS1_17partition_subalgoE4EjNS0_10empty_typeEbEEZZNS1_14partition_implILS8_4ELb0ES6_15HIP_vector_typeIjLj2EENS0_17counting_iteratorIjlEEPS9_SG_NS0_5tupleIJPjSI_NS0_16reverse_iteratorISI_EEEEENSH_IJSG_SG_SG_EEES9_SI_JZNS1_25segmented_radix_sort_implINS0_14default_configELb0EPK12hip_bfloat16PSP_PKlPlN2at6native12_GLOBAL__N_18offset_tEEE10hipError_tPvRmT1_PNSt15iterator_traitsIS13_E10value_typeET2_T3_PNS14_IS19_E10value_typeET4_jRbjT5_S1F_jjP12ihipStream_tbEUljE_ZNSN_ISO_Lb0ESR_SS_SU_SV_SZ_EES10_S11_S12_S13_S17_S18_S19_S1C_S1D_jS1E_jS1F_S1F_jjS1H_bEUljE0_EEES10_S11_S12_S19_S1D_S1F_T6_T7_T9_mT8_S1H_bDpT10_ENKUlT_T0_E_clISt17integral_constantIbLb1EES1U_IbLb0EEEEDaS1Q_S1R_EUlS1Q_E_NS1_11comp_targetILNS1_3genE4ELNS1_11target_archE910ELNS1_3gpuE8ELNS1_3repE0EEENS1_30default_config_static_selectorELNS0_4arch9wavefront6targetE0EEEvS13_.has_recursion, 0
	.set _ZN7rocprim17ROCPRIM_400000_NS6detail17trampoline_kernelINS0_13select_configILj256ELj13ELNS0_17block_load_methodE3ELS4_3ELS4_3ELNS0_20block_scan_algorithmE0ELj4294967295EEENS1_25partition_config_selectorILNS1_17partition_subalgoE4EjNS0_10empty_typeEbEEZZNS1_14partition_implILS8_4ELb0ES6_15HIP_vector_typeIjLj2EENS0_17counting_iteratorIjlEEPS9_SG_NS0_5tupleIJPjSI_NS0_16reverse_iteratorISI_EEEEENSH_IJSG_SG_SG_EEES9_SI_JZNS1_25segmented_radix_sort_implINS0_14default_configELb0EPK12hip_bfloat16PSP_PKlPlN2at6native12_GLOBAL__N_18offset_tEEE10hipError_tPvRmT1_PNSt15iterator_traitsIS13_E10value_typeET2_T3_PNS14_IS19_E10value_typeET4_jRbjT5_S1F_jjP12ihipStream_tbEUljE_ZNSN_ISO_Lb0ESR_SS_SU_SV_SZ_EES10_S11_S12_S13_S17_S18_S19_S1C_S1D_jS1E_jS1F_S1F_jjS1H_bEUljE0_EEES10_S11_S12_S19_S1D_S1F_T6_T7_T9_mT8_S1H_bDpT10_ENKUlT_T0_E_clISt17integral_constantIbLb1EES1U_IbLb0EEEEDaS1Q_S1R_EUlS1Q_E_NS1_11comp_targetILNS1_3genE4ELNS1_11target_archE910ELNS1_3gpuE8ELNS1_3repE0EEENS1_30default_config_static_selectorELNS0_4arch9wavefront6targetE0EEEvS13_.has_indirect_call, 0
	.section	.AMDGPU.csdata,"",@progbits
; Kernel info:
; codeLenInByte = 0
; TotalNumSgprs: 0
; NumVgprs: 0
; ScratchSize: 0
; MemoryBound: 0
; FloatMode: 240
; IeeeMode: 1
; LDSByteSize: 0 bytes/workgroup (compile time only)
; SGPRBlocks: 0
; VGPRBlocks: 0
; NumSGPRsForWavesPerEU: 1
; NumVGPRsForWavesPerEU: 1
; Occupancy: 16
; WaveLimiterHint : 0
; COMPUTE_PGM_RSRC2:SCRATCH_EN: 0
; COMPUTE_PGM_RSRC2:USER_SGPR: 6
; COMPUTE_PGM_RSRC2:TRAP_HANDLER: 0
; COMPUTE_PGM_RSRC2:TGID_X_EN: 1
; COMPUTE_PGM_RSRC2:TGID_Y_EN: 0
; COMPUTE_PGM_RSRC2:TGID_Z_EN: 0
; COMPUTE_PGM_RSRC2:TIDIG_COMP_CNT: 0
	.section	.text._ZN7rocprim17ROCPRIM_400000_NS6detail17trampoline_kernelINS0_13select_configILj256ELj13ELNS0_17block_load_methodE3ELS4_3ELS4_3ELNS0_20block_scan_algorithmE0ELj4294967295EEENS1_25partition_config_selectorILNS1_17partition_subalgoE4EjNS0_10empty_typeEbEEZZNS1_14partition_implILS8_4ELb0ES6_15HIP_vector_typeIjLj2EENS0_17counting_iteratorIjlEEPS9_SG_NS0_5tupleIJPjSI_NS0_16reverse_iteratorISI_EEEEENSH_IJSG_SG_SG_EEES9_SI_JZNS1_25segmented_radix_sort_implINS0_14default_configELb0EPK12hip_bfloat16PSP_PKlPlN2at6native12_GLOBAL__N_18offset_tEEE10hipError_tPvRmT1_PNSt15iterator_traitsIS13_E10value_typeET2_T3_PNS14_IS19_E10value_typeET4_jRbjT5_S1F_jjP12ihipStream_tbEUljE_ZNSN_ISO_Lb0ESR_SS_SU_SV_SZ_EES10_S11_S12_S13_S17_S18_S19_S1C_S1D_jS1E_jS1F_S1F_jjS1H_bEUljE0_EEES10_S11_S12_S19_S1D_S1F_T6_T7_T9_mT8_S1H_bDpT10_ENKUlT_T0_E_clISt17integral_constantIbLb1EES1U_IbLb0EEEEDaS1Q_S1R_EUlS1Q_E_NS1_11comp_targetILNS1_3genE3ELNS1_11target_archE908ELNS1_3gpuE7ELNS1_3repE0EEENS1_30default_config_static_selectorELNS0_4arch9wavefront6targetE0EEEvS13_,"axG",@progbits,_ZN7rocprim17ROCPRIM_400000_NS6detail17trampoline_kernelINS0_13select_configILj256ELj13ELNS0_17block_load_methodE3ELS4_3ELS4_3ELNS0_20block_scan_algorithmE0ELj4294967295EEENS1_25partition_config_selectorILNS1_17partition_subalgoE4EjNS0_10empty_typeEbEEZZNS1_14partition_implILS8_4ELb0ES6_15HIP_vector_typeIjLj2EENS0_17counting_iteratorIjlEEPS9_SG_NS0_5tupleIJPjSI_NS0_16reverse_iteratorISI_EEEEENSH_IJSG_SG_SG_EEES9_SI_JZNS1_25segmented_radix_sort_implINS0_14default_configELb0EPK12hip_bfloat16PSP_PKlPlN2at6native12_GLOBAL__N_18offset_tEEE10hipError_tPvRmT1_PNSt15iterator_traitsIS13_E10value_typeET2_T3_PNS14_IS19_E10value_typeET4_jRbjT5_S1F_jjP12ihipStream_tbEUljE_ZNSN_ISO_Lb0ESR_SS_SU_SV_SZ_EES10_S11_S12_S13_S17_S18_S19_S1C_S1D_jS1E_jS1F_S1F_jjS1H_bEUljE0_EEES10_S11_S12_S19_S1D_S1F_T6_T7_T9_mT8_S1H_bDpT10_ENKUlT_T0_E_clISt17integral_constantIbLb1EES1U_IbLb0EEEEDaS1Q_S1R_EUlS1Q_E_NS1_11comp_targetILNS1_3genE3ELNS1_11target_archE908ELNS1_3gpuE7ELNS1_3repE0EEENS1_30default_config_static_selectorELNS0_4arch9wavefront6targetE0EEEvS13_,comdat
	.globl	_ZN7rocprim17ROCPRIM_400000_NS6detail17trampoline_kernelINS0_13select_configILj256ELj13ELNS0_17block_load_methodE3ELS4_3ELS4_3ELNS0_20block_scan_algorithmE0ELj4294967295EEENS1_25partition_config_selectorILNS1_17partition_subalgoE4EjNS0_10empty_typeEbEEZZNS1_14partition_implILS8_4ELb0ES6_15HIP_vector_typeIjLj2EENS0_17counting_iteratorIjlEEPS9_SG_NS0_5tupleIJPjSI_NS0_16reverse_iteratorISI_EEEEENSH_IJSG_SG_SG_EEES9_SI_JZNS1_25segmented_radix_sort_implINS0_14default_configELb0EPK12hip_bfloat16PSP_PKlPlN2at6native12_GLOBAL__N_18offset_tEEE10hipError_tPvRmT1_PNSt15iterator_traitsIS13_E10value_typeET2_T3_PNS14_IS19_E10value_typeET4_jRbjT5_S1F_jjP12ihipStream_tbEUljE_ZNSN_ISO_Lb0ESR_SS_SU_SV_SZ_EES10_S11_S12_S13_S17_S18_S19_S1C_S1D_jS1E_jS1F_S1F_jjS1H_bEUljE0_EEES10_S11_S12_S19_S1D_S1F_T6_T7_T9_mT8_S1H_bDpT10_ENKUlT_T0_E_clISt17integral_constantIbLb1EES1U_IbLb0EEEEDaS1Q_S1R_EUlS1Q_E_NS1_11comp_targetILNS1_3genE3ELNS1_11target_archE908ELNS1_3gpuE7ELNS1_3repE0EEENS1_30default_config_static_selectorELNS0_4arch9wavefront6targetE0EEEvS13_ ; -- Begin function _ZN7rocprim17ROCPRIM_400000_NS6detail17trampoline_kernelINS0_13select_configILj256ELj13ELNS0_17block_load_methodE3ELS4_3ELS4_3ELNS0_20block_scan_algorithmE0ELj4294967295EEENS1_25partition_config_selectorILNS1_17partition_subalgoE4EjNS0_10empty_typeEbEEZZNS1_14partition_implILS8_4ELb0ES6_15HIP_vector_typeIjLj2EENS0_17counting_iteratorIjlEEPS9_SG_NS0_5tupleIJPjSI_NS0_16reverse_iteratorISI_EEEEENSH_IJSG_SG_SG_EEES9_SI_JZNS1_25segmented_radix_sort_implINS0_14default_configELb0EPK12hip_bfloat16PSP_PKlPlN2at6native12_GLOBAL__N_18offset_tEEE10hipError_tPvRmT1_PNSt15iterator_traitsIS13_E10value_typeET2_T3_PNS14_IS19_E10value_typeET4_jRbjT5_S1F_jjP12ihipStream_tbEUljE_ZNSN_ISO_Lb0ESR_SS_SU_SV_SZ_EES10_S11_S12_S13_S17_S18_S19_S1C_S1D_jS1E_jS1F_S1F_jjS1H_bEUljE0_EEES10_S11_S12_S19_S1D_S1F_T6_T7_T9_mT8_S1H_bDpT10_ENKUlT_T0_E_clISt17integral_constantIbLb1EES1U_IbLb0EEEEDaS1Q_S1R_EUlS1Q_E_NS1_11comp_targetILNS1_3genE3ELNS1_11target_archE908ELNS1_3gpuE7ELNS1_3repE0EEENS1_30default_config_static_selectorELNS0_4arch9wavefront6targetE0EEEvS13_
	.p2align	8
	.type	_ZN7rocprim17ROCPRIM_400000_NS6detail17trampoline_kernelINS0_13select_configILj256ELj13ELNS0_17block_load_methodE3ELS4_3ELS4_3ELNS0_20block_scan_algorithmE0ELj4294967295EEENS1_25partition_config_selectorILNS1_17partition_subalgoE4EjNS0_10empty_typeEbEEZZNS1_14partition_implILS8_4ELb0ES6_15HIP_vector_typeIjLj2EENS0_17counting_iteratorIjlEEPS9_SG_NS0_5tupleIJPjSI_NS0_16reverse_iteratorISI_EEEEENSH_IJSG_SG_SG_EEES9_SI_JZNS1_25segmented_radix_sort_implINS0_14default_configELb0EPK12hip_bfloat16PSP_PKlPlN2at6native12_GLOBAL__N_18offset_tEEE10hipError_tPvRmT1_PNSt15iterator_traitsIS13_E10value_typeET2_T3_PNS14_IS19_E10value_typeET4_jRbjT5_S1F_jjP12ihipStream_tbEUljE_ZNSN_ISO_Lb0ESR_SS_SU_SV_SZ_EES10_S11_S12_S13_S17_S18_S19_S1C_S1D_jS1E_jS1F_S1F_jjS1H_bEUljE0_EEES10_S11_S12_S19_S1D_S1F_T6_T7_T9_mT8_S1H_bDpT10_ENKUlT_T0_E_clISt17integral_constantIbLb1EES1U_IbLb0EEEEDaS1Q_S1R_EUlS1Q_E_NS1_11comp_targetILNS1_3genE3ELNS1_11target_archE908ELNS1_3gpuE7ELNS1_3repE0EEENS1_30default_config_static_selectorELNS0_4arch9wavefront6targetE0EEEvS13_,@function
_ZN7rocprim17ROCPRIM_400000_NS6detail17trampoline_kernelINS0_13select_configILj256ELj13ELNS0_17block_load_methodE3ELS4_3ELS4_3ELNS0_20block_scan_algorithmE0ELj4294967295EEENS1_25partition_config_selectorILNS1_17partition_subalgoE4EjNS0_10empty_typeEbEEZZNS1_14partition_implILS8_4ELb0ES6_15HIP_vector_typeIjLj2EENS0_17counting_iteratorIjlEEPS9_SG_NS0_5tupleIJPjSI_NS0_16reverse_iteratorISI_EEEEENSH_IJSG_SG_SG_EEES9_SI_JZNS1_25segmented_radix_sort_implINS0_14default_configELb0EPK12hip_bfloat16PSP_PKlPlN2at6native12_GLOBAL__N_18offset_tEEE10hipError_tPvRmT1_PNSt15iterator_traitsIS13_E10value_typeET2_T3_PNS14_IS19_E10value_typeET4_jRbjT5_S1F_jjP12ihipStream_tbEUljE_ZNSN_ISO_Lb0ESR_SS_SU_SV_SZ_EES10_S11_S12_S13_S17_S18_S19_S1C_S1D_jS1E_jS1F_S1F_jjS1H_bEUljE0_EEES10_S11_S12_S19_S1D_S1F_T6_T7_T9_mT8_S1H_bDpT10_ENKUlT_T0_E_clISt17integral_constantIbLb1EES1U_IbLb0EEEEDaS1Q_S1R_EUlS1Q_E_NS1_11comp_targetILNS1_3genE3ELNS1_11target_archE908ELNS1_3gpuE7ELNS1_3repE0EEENS1_30default_config_static_selectorELNS0_4arch9wavefront6targetE0EEEvS13_: ; @_ZN7rocprim17ROCPRIM_400000_NS6detail17trampoline_kernelINS0_13select_configILj256ELj13ELNS0_17block_load_methodE3ELS4_3ELS4_3ELNS0_20block_scan_algorithmE0ELj4294967295EEENS1_25partition_config_selectorILNS1_17partition_subalgoE4EjNS0_10empty_typeEbEEZZNS1_14partition_implILS8_4ELb0ES6_15HIP_vector_typeIjLj2EENS0_17counting_iteratorIjlEEPS9_SG_NS0_5tupleIJPjSI_NS0_16reverse_iteratorISI_EEEEENSH_IJSG_SG_SG_EEES9_SI_JZNS1_25segmented_radix_sort_implINS0_14default_configELb0EPK12hip_bfloat16PSP_PKlPlN2at6native12_GLOBAL__N_18offset_tEEE10hipError_tPvRmT1_PNSt15iterator_traitsIS13_E10value_typeET2_T3_PNS14_IS19_E10value_typeET4_jRbjT5_S1F_jjP12ihipStream_tbEUljE_ZNSN_ISO_Lb0ESR_SS_SU_SV_SZ_EES10_S11_S12_S13_S17_S18_S19_S1C_S1D_jS1E_jS1F_S1F_jjS1H_bEUljE0_EEES10_S11_S12_S19_S1D_S1F_T6_T7_T9_mT8_S1H_bDpT10_ENKUlT_T0_E_clISt17integral_constantIbLb1EES1U_IbLb0EEEEDaS1Q_S1R_EUlS1Q_E_NS1_11comp_targetILNS1_3genE3ELNS1_11target_archE908ELNS1_3gpuE7ELNS1_3repE0EEENS1_30default_config_static_selectorELNS0_4arch9wavefront6targetE0EEEvS13_
; %bb.0:
	.section	.rodata,"a",@progbits
	.p2align	6, 0x0
	.amdhsa_kernel _ZN7rocprim17ROCPRIM_400000_NS6detail17trampoline_kernelINS0_13select_configILj256ELj13ELNS0_17block_load_methodE3ELS4_3ELS4_3ELNS0_20block_scan_algorithmE0ELj4294967295EEENS1_25partition_config_selectorILNS1_17partition_subalgoE4EjNS0_10empty_typeEbEEZZNS1_14partition_implILS8_4ELb0ES6_15HIP_vector_typeIjLj2EENS0_17counting_iteratorIjlEEPS9_SG_NS0_5tupleIJPjSI_NS0_16reverse_iteratorISI_EEEEENSH_IJSG_SG_SG_EEES9_SI_JZNS1_25segmented_radix_sort_implINS0_14default_configELb0EPK12hip_bfloat16PSP_PKlPlN2at6native12_GLOBAL__N_18offset_tEEE10hipError_tPvRmT1_PNSt15iterator_traitsIS13_E10value_typeET2_T3_PNS14_IS19_E10value_typeET4_jRbjT5_S1F_jjP12ihipStream_tbEUljE_ZNSN_ISO_Lb0ESR_SS_SU_SV_SZ_EES10_S11_S12_S13_S17_S18_S19_S1C_S1D_jS1E_jS1F_S1F_jjS1H_bEUljE0_EEES10_S11_S12_S19_S1D_S1F_T6_T7_T9_mT8_S1H_bDpT10_ENKUlT_T0_E_clISt17integral_constantIbLb1EES1U_IbLb0EEEEDaS1Q_S1R_EUlS1Q_E_NS1_11comp_targetILNS1_3genE3ELNS1_11target_archE908ELNS1_3gpuE7ELNS1_3repE0EEENS1_30default_config_static_selectorELNS0_4arch9wavefront6targetE0EEEvS13_
		.amdhsa_group_segment_fixed_size 0
		.amdhsa_private_segment_fixed_size 0
		.amdhsa_kernarg_size 176
		.amdhsa_user_sgpr_count 6
		.amdhsa_user_sgpr_private_segment_buffer 1
		.amdhsa_user_sgpr_dispatch_ptr 0
		.amdhsa_user_sgpr_queue_ptr 0
		.amdhsa_user_sgpr_kernarg_segment_ptr 1
		.amdhsa_user_sgpr_dispatch_id 0
		.amdhsa_user_sgpr_flat_scratch_init 0
		.amdhsa_user_sgpr_private_segment_size 0
		.amdhsa_wavefront_size32 1
		.amdhsa_uses_dynamic_stack 0
		.amdhsa_system_sgpr_private_segment_wavefront_offset 0
		.amdhsa_system_sgpr_workgroup_id_x 1
		.amdhsa_system_sgpr_workgroup_id_y 0
		.amdhsa_system_sgpr_workgroup_id_z 0
		.amdhsa_system_sgpr_workgroup_info 0
		.amdhsa_system_vgpr_workitem_id 0
		.amdhsa_next_free_vgpr 1
		.amdhsa_next_free_sgpr 1
		.amdhsa_reserve_vcc 0
		.amdhsa_reserve_flat_scratch 0
		.amdhsa_float_round_mode_32 0
		.amdhsa_float_round_mode_16_64 0
		.amdhsa_float_denorm_mode_32 3
		.amdhsa_float_denorm_mode_16_64 3
		.amdhsa_dx10_clamp 1
		.amdhsa_ieee_mode 1
		.amdhsa_fp16_overflow 0
		.amdhsa_workgroup_processor_mode 1
		.amdhsa_memory_ordered 1
		.amdhsa_forward_progress 1
		.amdhsa_shared_vgpr_count 0
		.amdhsa_exception_fp_ieee_invalid_op 0
		.amdhsa_exception_fp_denorm_src 0
		.amdhsa_exception_fp_ieee_div_zero 0
		.amdhsa_exception_fp_ieee_overflow 0
		.amdhsa_exception_fp_ieee_underflow 0
		.amdhsa_exception_fp_ieee_inexact 0
		.amdhsa_exception_int_div_zero 0
	.end_amdhsa_kernel
	.section	.text._ZN7rocprim17ROCPRIM_400000_NS6detail17trampoline_kernelINS0_13select_configILj256ELj13ELNS0_17block_load_methodE3ELS4_3ELS4_3ELNS0_20block_scan_algorithmE0ELj4294967295EEENS1_25partition_config_selectorILNS1_17partition_subalgoE4EjNS0_10empty_typeEbEEZZNS1_14partition_implILS8_4ELb0ES6_15HIP_vector_typeIjLj2EENS0_17counting_iteratorIjlEEPS9_SG_NS0_5tupleIJPjSI_NS0_16reverse_iteratorISI_EEEEENSH_IJSG_SG_SG_EEES9_SI_JZNS1_25segmented_radix_sort_implINS0_14default_configELb0EPK12hip_bfloat16PSP_PKlPlN2at6native12_GLOBAL__N_18offset_tEEE10hipError_tPvRmT1_PNSt15iterator_traitsIS13_E10value_typeET2_T3_PNS14_IS19_E10value_typeET4_jRbjT5_S1F_jjP12ihipStream_tbEUljE_ZNSN_ISO_Lb0ESR_SS_SU_SV_SZ_EES10_S11_S12_S13_S17_S18_S19_S1C_S1D_jS1E_jS1F_S1F_jjS1H_bEUljE0_EEES10_S11_S12_S19_S1D_S1F_T6_T7_T9_mT8_S1H_bDpT10_ENKUlT_T0_E_clISt17integral_constantIbLb1EES1U_IbLb0EEEEDaS1Q_S1R_EUlS1Q_E_NS1_11comp_targetILNS1_3genE3ELNS1_11target_archE908ELNS1_3gpuE7ELNS1_3repE0EEENS1_30default_config_static_selectorELNS0_4arch9wavefront6targetE0EEEvS13_,"axG",@progbits,_ZN7rocprim17ROCPRIM_400000_NS6detail17trampoline_kernelINS0_13select_configILj256ELj13ELNS0_17block_load_methodE3ELS4_3ELS4_3ELNS0_20block_scan_algorithmE0ELj4294967295EEENS1_25partition_config_selectorILNS1_17partition_subalgoE4EjNS0_10empty_typeEbEEZZNS1_14partition_implILS8_4ELb0ES6_15HIP_vector_typeIjLj2EENS0_17counting_iteratorIjlEEPS9_SG_NS0_5tupleIJPjSI_NS0_16reverse_iteratorISI_EEEEENSH_IJSG_SG_SG_EEES9_SI_JZNS1_25segmented_radix_sort_implINS0_14default_configELb0EPK12hip_bfloat16PSP_PKlPlN2at6native12_GLOBAL__N_18offset_tEEE10hipError_tPvRmT1_PNSt15iterator_traitsIS13_E10value_typeET2_T3_PNS14_IS19_E10value_typeET4_jRbjT5_S1F_jjP12ihipStream_tbEUljE_ZNSN_ISO_Lb0ESR_SS_SU_SV_SZ_EES10_S11_S12_S13_S17_S18_S19_S1C_S1D_jS1E_jS1F_S1F_jjS1H_bEUljE0_EEES10_S11_S12_S19_S1D_S1F_T6_T7_T9_mT8_S1H_bDpT10_ENKUlT_T0_E_clISt17integral_constantIbLb1EES1U_IbLb0EEEEDaS1Q_S1R_EUlS1Q_E_NS1_11comp_targetILNS1_3genE3ELNS1_11target_archE908ELNS1_3gpuE7ELNS1_3repE0EEENS1_30default_config_static_selectorELNS0_4arch9wavefront6targetE0EEEvS13_,comdat
.Lfunc_end1994:
	.size	_ZN7rocprim17ROCPRIM_400000_NS6detail17trampoline_kernelINS0_13select_configILj256ELj13ELNS0_17block_load_methodE3ELS4_3ELS4_3ELNS0_20block_scan_algorithmE0ELj4294967295EEENS1_25partition_config_selectorILNS1_17partition_subalgoE4EjNS0_10empty_typeEbEEZZNS1_14partition_implILS8_4ELb0ES6_15HIP_vector_typeIjLj2EENS0_17counting_iteratorIjlEEPS9_SG_NS0_5tupleIJPjSI_NS0_16reverse_iteratorISI_EEEEENSH_IJSG_SG_SG_EEES9_SI_JZNS1_25segmented_radix_sort_implINS0_14default_configELb0EPK12hip_bfloat16PSP_PKlPlN2at6native12_GLOBAL__N_18offset_tEEE10hipError_tPvRmT1_PNSt15iterator_traitsIS13_E10value_typeET2_T3_PNS14_IS19_E10value_typeET4_jRbjT5_S1F_jjP12ihipStream_tbEUljE_ZNSN_ISO_Lb0ESR_SS_SU_SV_SZ_EES10_S11_S12_S13_S17_S18_S19_S1C_S1D_jS1E_jS1F_S1F_jjS1H_bEUljE0_EEES10_S11_S12_S19_S1D_S1F_T6_T7_T9_mT8_S1H_bDpT10_ENKUlT_T0_E_clISt17integral_constantIbLb1EES1U_IbLb0EEEEDaS1Q_S1R_EUlS1Q_E_NS1_11comp_targetILNS1_3genE3ELNS1_11target_archE908ELNS1_3gpuE7ELNS1_3repE0EEENS1_30default_config_static_selectorELNS0_4arch9wavefront6targetE0EEEvS13_, .Lfunc_end1994-_ZN7rocprim17ROCPRIM_400000_NS6detail17trampoline_kernelINS0_13select_configILj256ELj13ELNS0_17block_load_methodE3ELS4_3ELS4_3ELNS0_20block_scan_algorithmE0ELj4294967295EEENS1_25partition_config_selectorILNS1_17partition_subalgoE4EjNS0_10empty_typeEbEEZZNS1_14partition_implILS8_4ELb0ES6_15HIP_vector_typeIjLj2EENS0_17counting_iteratorIjlEEPS9_SG_NS0_5tupleIJPjSI_NS0_16reverse_iteratorISI_EEEEENSH_IJSG_SG_SG_EEES9_SI_JZNS1_25segmented_radix_sort_implINS0_14default_configELb0EPK12hip_bfloat16PSP_PKlPlN2at6native12_GLOBAL__N_18offset_tEEE10hipError_tPvRmT1_PNSt15iterator_traitsIS13_E10value_typeET2_T3_PNS14_IS19_E10value_typeET4_jRbjT5_S1F_jjP12ihipStream_tbEUljE_ZNSN_ISO_Lb0ESR_SS_SU_SV_SZ_EES10_S11_S12_S13_S17_S18_S19_S1C_S1D_jS1E_jS1F_S1F_jjS1H_bEUljE0_EEES10_S11_S12_S19_S1D_S1F_T6_T7_T9_mT8_S1H_bDpT10_ENKUlT_T0_E_clISt17integral_constantIbLb1EES1U_IbLb0EEEEDaS1Q_S1R_EUlS1Q_E_NS1_11comp_targetILNS1_3genE3ELNS1_11target_archE908ELNS1_3gpuE7ELNS1_3repE0EEENS1_30default_config_static_selectorELNS0_4arch9wavefront6targetE0EEEvS13_
                                        ; -- End function
	.set _ZN7rocprim17ROCPRIM_400000_NS6detail17trampoline_kernelINS0_13select_configILj256ELj13ELNS0_17block_load_methodE3ELS4_3ELS4_3ELNS0_20block_scan_algorithmE0ELj4294967295EEENS1_25partition_config_selectorILNS1_17partition_subalgoE4EjNS0_10empty_typeEbEEZZNS1_14partition_implILS8_4ELb0ES6_15HIP_vector_typeIjLj2EENS0_17counting_iteratorIjlEEPS9_SG_NS0_5tupleIJPjSI_NS0_16reverse_iteratorISI_EEEEENSH_IJSG_SG_SG_EEES9_SI_JZNS1_25segmented_radix_sort_implINS0_14default_configELb0EPK12hip_bfloat16PSP_PKlPlN2at6native12_GLOBAL__N_18offset_tEEE10hipError_tPvRmT1_PNSt15iterator_traitsIS13_E10value_typeET2_T3_PNS14_IS19_E10value_typeET4_jRbjT5_S1F_jjP12ihipStream_tbEUljE_ZNSN_ISO_Lb0ESR_SS_SU_SV_SZ_EES10_S11_S12_S13_S17_S18_S19_S1C_S1D_jS1E_jS1F_S1F_jjS1H_bEUljE0_EEES10_S11_S12_S19_S1D_S1F_T6_T7_T9_mT8_S1H_bDpT10_ENKUlT_T0_E_clISt17integral_constantIbLb1EES1U_IbLb0EEEEDaS1Q_S1R_EUlS1Q_E_NS1_11comp_targetILNS1_3genE3ELNS1_11target_archE908ELNS1_3gpuE7ELNS1_3repE0EEENS1_30default_config_static_selectorELNS0_4arch9wavefront6targetE0EEEvS13_.num_vgpr, 0
	.set _ZN7rocprim17ROCPRIM_400000_NS6detail17trampoline_kernelINS0_13select_configILj256ELj13ELNS0_17block_load_methodE3ELS4_3ELS4_3ELNS0_20block_scan_algorithmE0ELj4294967295EEENS1_25partition_config_selectorILNS1_17partition_subalgoE4EjNS0_10empty_typeEbEEZZNS1_14partition_implILS8_4ELb0ES6_15HIP_vector_typeIjLj2EENS0_17counting_iteratorIjlEEPS9_SG_NS0_5tupleIJPjSI_NS0_16reverse_iteratorISI_EEEEENSH_IJSG_SG_SG_EEES9_SI_JZNS1_25segmented_radix_sort_implINS0_14default_configELb0EPK12hip_bfloat16PSP_PKlPlN2at6native12_GLOBAL__N_18offset_tEEE10hipError_tPvRmT1_PNSt15iterator_traitsIS13_E10value_typeET2_T3_PNS14_IS19_E10value_typeET4_jRbjT5_S1F_jjP12ihipStream_tbEUljE_ZNSN_ISO_Lb0ESR_SS_SU_SV_SZ_EES10_S11_S12_S13_S17_S18_S19_S1C_S1D_jS1E_jS1F_S1F_jjS1H_bEUljE0_EEES10_S11_S12_S19_S1D_S1F_T6_T7_T9_mT8_S1H_bDpT10_ENKUlT_T0_E_clISt17integral_constantIbLb1EES1U_IbLb0EEEEDaS1Q_S1R_EUlS1Q_E_NS1_11comp_targetILNS1_3genE3ELNS1_11target_archE908ELNS1_3gpuE7ELNS1_3repE0EEENS1_30default_config_static_selectorELNS0_4arch9wavefront6targetE0EEEvS13_.num_agpr, 0
	.set _ZN7rocprim17ROCPRIM_400000_NS6detail17trampoline_kernelINS0_13select_configILj256ELj13ELNS0_17block_load_methodE3ELS4_3ELS4_3ELNS0_20block_scan_algorithmE0ELj4294967295EEENS1_25partition_config_selectorILNS1_17partition_subalgoE4EjNS0_10empty_typeEbEEZZNS1_14partition_implILS8_4ELb0ES6_15HIP_vector_typeIjLj2EENS0_17counting_iteratorIjlEEPS9_SG_NS0_5tupleIJPjSI_NS0_16reverse_iteratorISI_EEEEENSH_IJSG_SG_SG_EEES9_SI_JZNS1_25segmented_radix_sort_implINS0_14default_configELb0EPK12hip_bfloat16PSP_PKlPlN2at6native12_GLOBAL__N_18offset_tEEE10hipError_tPvRmT1_PNSt15iterator_traitsIS13_E10value_typeET2_T3_PNS14_IS19_E10value_typeET4_jRbjT5_S1F_jjP12ihipStream_tbEUljE_ZNSN_ISO_Lb0ESR_SS_SU_SV_SZ_EES10_S11_S12_S13_S17_S18_S19_S1C_S1D_jS1E_jS1F_S1F_jjS1H_bEUljE0_EEES10_S11_S12_S19_S1D_S1F_T6_T7_T9_mT8_S1H_bDpT10_ENKUlT_T0_E_clISt17integral_constantIbLb1EES1U_IbLb0EEEEDaS1Q_S1R_EUlS1Q_E_NS1_11comp_targetILNS1_3genE3ELNS1_11target_archE908ELNS1_3gpuE7ELNS1_3repE0EEENS1_30default_config_static_selectorELNS0_4arch9wavefront6targetE0EEEvS13_.numbered_sgpr, 0
	.set _ZN7rocprim17ROCPRIM_400000_NS6detail17trampoline_kernelINS0_13select_configILj256ELj13ELNS0_17block_load_methodE3ELS4_3ELS4_3ELNS0_20block_scan_algorithmE0ELj4294967295EEENS1_25partition_config_selectorILNS1_17partition_subalgoE4EjNS0_10empty_typeEbEEZZNS1_14partition_implILS8_4ELb0ES6_15HIP_vector_typeIjLj2EENS0_17counting_iteratorIjlEEPS9_SG_NS0_5tupleIJPjSI_NS0_16reverse_iteratorISI_EEEEENSH_IJSG_SG_SG_EEES9_SI_JZNS1_25segmented_radix_sort_implINS0_14default_configELb0EPK12hip_bfloat16PSP_PKlPlN2at6native12_GLOBAL__N_18offset_tEEE10hipError_tPvRmT1_PNSt15iterator_traitsIS13_E10value_typeET2_T3_PNS14_IS19_E10value_typeET4_jRbjT5_S1F_jjP12ihipStream_tbEUljE_ZNSN_ISO_Lb0ESR_SS_SU_SV_SZ_EES10_S11_S12_S13_S17_S18_S19_S1C_S1D_jS1E_jS1F_S1F_jjS1H_bEUljE0_EEES10_S11_S12_S19_S1D_S1F_T6_T7_T9_mT8_S1H_bDpT10_ENKUlT_T0_E_clISt17integral_constantIbLb1EES1U_IbLb0EEEEDaS1Q_S1R_EUlS1Q_E_NS1_11comp_targetILNS1_3genE3ELNS1_11target_archE908ELNS1_3gpuE7ELNS1_3repE0EEENS1_30default_config_static_selectorELNS0_4arch9wavefront6targetE0EEEvS13_.num_named_barrier, 0
	.set _ZN7rocprim17ROCPRIM_400000_NS6detail17trampoline_kernelINS0_13select_configILj256ELj13ELNS0_17block_load_methodE3ELS4_3ELS4_3ELNS0_20block_scan_algorithmE0ELj4294967295EEENS1_25partition_config_selectorILNS1_17partition_subalgoE4EjNS0_10empty_typeEbEEZZNS1_14partition_implILS8_4ELb0ES6_15HIP_vector_typeIjLj2EENS0_17counting_iteratorIjlEEPS9_SG_NS0_5tupleIJPjSI_NS0_16reverse_iteratorISI_EEEEENSH_IJSG_SG_SG_EEES9_SI_JZNS1_25segmented_radix_sort_implINS0_14default_configELb0EPK12hip_bfloat16PSP_PKlPlN2at6native12_GLOBAL__N_18offset_tEEE10hipError_tPvRmT1_PNSt15iterator_traitsIS13_E10value_typeET2_T3_PNS14_IS19_E10value_typeET4_jRbjT5_S1F_jjP12ihipStream_tbEUljE_ZNSN_ISO_Lb0ESR_SS_SU_SV_SZ_EES10_S11_S12_S13_S17_S18_S19_S1C_S1D_jS1E_jS1F_S1F_jjS1H_bEUljE0_EEES10_S11_S12_S19_S1D_S1F_T6_T7_T9_mT8_S1H_bDpT10_ENKUlT_T0_E_clISt17integral_constantIbLb1EES1U_IbLb0EEEEDaS1Q_S1R_EUlS1Q_E_NS1_11comp_targetILNS1_3genE3ELNS1_11target_archE908ELNS1_3gpuE7ELNS1_3repE0EEENS1_30default_config_static_selectorELNS0_4arch9wavefront6targetE0EEEvS13_.private_seg_size, 0
	.set _ZN7rocprim17ROCPRIM_400000_NS6detail17trampoline_kernelINS0_13select_configILj256ELj13ELNS0_17block_load_methodE3ELS4_3ELS4_3ELNS0_20block_scan_algorithmE0ELj4294967295EEENS1_25partition_config_selectorILNS1_17partition_subalgoE4EjNS0_10empty_typeEbEEZZNS1_14partition_implILS8_4ELb0ES6_15HIP_vector_typeIjLj2EENS0_17counting_iteratorIjlEEPS9_SG_NS0_5tupleIJPjSI_NS0_16reverse_iteratorISI_EEEEENSH_IJSG_SG_SG_EEES9_SI_JZNS1_25segmented_radix_sort_implINS0_14default_configELb0EPK12hip_bfloat16PSP_PKlPlN2at6native12_GLOBAL__N_18offset_tEEE10hipError_tPvRmT1_PNSt15iterator_traitsIS13_E10value_typeET2_T3_PNS14_IS19_E10value_typeET4_jRbjT5_S1F_jjP12ihipStream_tbEUljE_ZNSN_ISO_Lb0ESR_SS_SU_SV_SZ_EES10_S11_S12_S13_S17_S18_S19_S1C_S1D_jS1E_jS1F_S1F_jjS1H_bEUljE0_EEES10_S11_S12_S19_S1D_S1F_T6_T7_T9_mT8_S1H_bDpT10_ENKUlT_T0_E_clISt17integral_constantIbLb1EES1U_IbLb0EEEEDaS1Q_S1R_EUlS1Q_E_NS1_11comp_targetILNS1_3genE3ELNS1_11target_archE908ELNS1_3gpuE7ELNS1_3repE0EEENS1_30default_config_static_selectorELNS0_4arch9wavefront6targetE0EEEvS13_.uses_vcc, 0
	.set _ZN7rocprim17ROCPRIM_400000_NS6detail17trampoline_kernelINS0_13select_configILj256ELj13ELNS0_17block_load_methodE3ELS4_3ELS4_3ELNS0_20block_scan_algorithmE0ELj4294967295EEENS1_25partition_config_selectorILNS1_17partition_subalgoE4EjNS0_10empty_typeEbEEZZNS1_14partition_implILS8_4ELb0ES6_15HIP_vector_typeIjLj2EENS0_17counting_iteratorIjlEEPS9_SG_NS0_5tupleIJPjSI_NS0_16reverse_iteratorISI_EEEEENSH_IJSG_SG_SG_EEES9_SI_JZNS1_25segmented_radix_sort_implINS0_14default_configELb0EPK12hip_bfloat16PSP_PKlPlN2at6native12_GLOBAL__N_18offset_tEEE10hipError_tPvRmT1_PNSt15iterator_traitsIS13_E10value_typeET2_T3_PNS14_IS19_E10value_typeET4_jRbjT5_S1F_jjP12ihipStream_tbEUljE_ZNSN_ISO_Lb0ESR_SS_SU_SV_SZ_EES10_S11_S12_S13_S17_S18_S19_S1C_S1D_jS1E_jS1F_S1F_jjS1H_bEUljE0_EEES10_S11_S12_S19_S1D_S1F_T6_T7_T9_mT8_S1H_bDpT10_ENKUlT_T0_E_clISt17integral_constantIbLb1EES1U_IbLb0EEEEDaS1Q_S1R_EUlS1Q_E_NS1_11comp_targetILNS1_3genE3ELNS1_11target_archE908ELNS1_3gpuE7ELNS1_3repE0EEENS1_30default_config_static_selectorELNS0_4arch9wavefront6targetE0EEEvS13_.uses_flat_scratch, 0
	.set _ZN7rocprim17ROCPRIM_400000_NS6detail17trampoline_kernelINS0_13select_configILj256ELj13ELNS0_17block_load_methodE3ELS4_3ELS4_3ELNS0_20block_scan_algorithmE0ELj4294967295EEENS1_25partition_config_selectorILNS1_17partition_subalgoE4EjNS0_10empty_typeEbEEZZNS1_14partition_implILS8_4ELb0ES6_15HIP_vector_typeIjLj2EENS0_17counting_iteratorIjlEEPS9_SG_NS0_5tupleIJPjSI_NS0_16reverse_iteratorISI_EEEEENSH_IJSG_SG_SG_EEES9_SI_JZNS1_25segmented_radix_sort_implINS0_14default_configELb0EPK12hip_bfloat16PSP_PKlPlN2at6native12_GLOBAL__N_18offset_tEEE10hipError_tPvRmT1_PNSt15iterator_traitsIS13_E10value_typeET2_T3_PNS14_IS19_E10value_typeET4_jRbjT5_S1F_jjP12ihipStream_tbEUljE_ZNSN_ISO_Lb0ESR_SS_SU_SV_SZ_EES10_S11_S12_S13_S17_S18_S19_S1C_S1D_jS1E_jS1F_S1F_jjS1H_bEUljE0_EEES10_S11_S12_S19_S1D_S1F_T6_T7_T9_mT8_S1H_bDpT10_ENKUlT_T0_E_clISt17integral_constantIbLb1EES1U_IbLb0EEEEDaS1Q_S1R_EUlS1Q_E_NS1_11comp_targetILNS1_3genE3ELNS1_11target_archE908ELNS1_3gpuE7ELNS1_3repE0EEENS1_30default_config_static_selectorELNS0_4arch9wavefront6targetE0EEEvS13_.has_dyn_sized_stack, 0
	.set _ZN7rocprim17ROCPRIM_400000_NS6detail17trampoline_kernelINS0_13select_configILj256ELj13ELNS0_17block_load_methodE3ELS4_3ELS4_3ELNS0_20block_scan_algorithmE0ELj4294967295EEENS1_25partition_config_selectorILNS1_17partition_subalgoE4EjNS0_10empty_typeEbEEZZNS1_14partition_implILS8_4ELb0ES6_15HIP_vector_typeIjLj2EENS0_17counting_iteratorIjlEEPS9_SG_NS0_5tupleIJPjSI_NS0_16reverse_iteratorISI_EEEEENSH_IJSG_SG_SG_EEES9_SI_JZNS1_25segmented_radix_sort_implINS0_14default_configELb0EPK12hip_bfloat16PSP_PKlPlN2at6native12_GLOBAL__N_18offset_tEEE10hipError_tPvRmT1_PNSt15iterator_traitsIS13_E10value_typeET2_T3_PNS14_IS19_E10value_typeET4_jRbjT5_S1F_jjP12ihipStream_tbEUljE_ZNSN_ISO_Lb0ESR_SS_SU_SV_SZ_EES10_S11_S12_S13_S17_S18_S19_S1C_S1D_jS1E_jS1F_S1F_jjS1H_bEUljE0_EEES10_S11_S12_S19_S1D_S1F_T6_T7_T9_mT8_S1H_bDpT10_ENKUlT_T0_E_clISt17integral_constantIbLb1EES1U_IbLb0EEEEDaS1Q_S1R_EUlS1Q_E_NS1_11comp_targetILNS1_3genE3ELNS1_11target_archE908ELNS1_3gpuE7ELNS1_3repE0EEENS1_30default_config_static_selectorELNS0_4arch9wavefront6targetE0EEEvS13_.has_recursion, 0
	.set _ZN7rocprim17ROCPRIM_400000_NS6detail17trampoline_kernelINS0_13select_configILj256ELj13ELNS0_17block_load_methodE3ELS4_3ELS4_3ELNS0_20block_scan_algorithmE0ELj4294967295EEENS1_25partition_config_selectorILNS1_17partition_subalgoE4EjNS0_10empty_typeEbEEZZNS1_14partition_implILS8_4ELb0ES6_15HIP_vector_typeIjLj2EENS0_17counting_iteratorIjlEEPS9_SG_NS0_5tupleIJPjSI_NS0_16reverse_iteratorISI_EEEEENSH_IJSG_SG_SG_EEES9_SI_JZNS1_25segmented_radix_sort_implINS0_14default_configELb0EPK12hip_bfloat16PSP_PKlPlN2at6native12_GLOBAL__N_18offset_tEEE10hipError_tPvRmT1_PNSt15iterator_traitsIS13_E10value_typeET2_T3_PNS14_IS19_E10value_typeET4_jRbjT5_S1F_jjP12ihipStream_tbEUljE_ZNSN_ISO_Lb0ESR_SS_SU_SV_SZ_EES10_S11_S12_S13_S17_S18_S19_S1C_S1D_jS1E_jS1F_S1F_jjS1H_bEUljE0_EEES10_S11_S12_S19_S1D_S1F_T6_T7_T9_mT8_S1H_bDpT10_ENKUlT_T0_E_clISt17integral_constantIbLb1EES1U_IbLb0EEEEDaS1Q_S1R_EUlS1Q_E_NS1_11comp_targetILNS1_3genE3ELNS1_11target_archE908ELNS1_3gpuE7ELNS1_3repE0EEENS1_30default_config_static_selectorELNS0_4arch9wavefront6targetE0EEEvS13_.has_indirect_call, 0
	.section	.AMDGPU.csdata,"",@progbits
; Kernel info:
; codeLenInByte = 0
; TotalNumSgprs: 0
; NumVgprs: 0
; ScratchSize: 0
; MemoryBound: 0
; FloatMode: 240
; IeeeMode: 1
; LDSByteSize: 0 bytes/workgroup (compile time only)
; SGPRBlocks: 0
; VGPRBlocks: 0
; NumSGPRsForWavesPerEU: 1
; NumVGPRsForWavesPerEU: 1
; Occupancy: 16
; WaveLimiterHint : 0
; COMPUTE_PGM_RSRC2:SCRATCH_EN: 0
; COMPUTE_PGM_RSRC2:USER_SGPR: 6
; COMPUTE_PGM_RSRC2:TRAP_HANDLER: 0
; COMPUTE_PGM_RSRC2:TGID_X_EN: 1
; COMPUTE_PGM_RSRC2:TGID_Y_EN: 0
; COMPUTE_PGM_RSRC2:TGID_Z_EN: 0
; COMPUTE_PGM_RSRC2:TIDIG_COMP_CNT: 0
	.section	.text._ZN7rocprim17ROCPRIM_400000_NS6detail17trampoline_kernelINS0_13select_configILj256ELj13ELNS0_17block_load_methodE3ELS4_3ELS4_3ELNS0_20block_scan_algorithmE0ELj4294967295EEENS1_25partition_config_selectorILNS1_17partition_subalgoE4EjNS0_10empty_typeEbEEZZNS1_14partition_implILS8_4ELb0ES6_15HIP_vector_typeIjLj2EENS0_17counting_iteratorIjlEEPS9_SG_NS0_5tupleIJPjSI_NS0_16reverse_iteratorISI_EEEEENSH_IJSG_SG_SG_EEES9_SI_JZNS1_25segmented_radix_sort_implINS0_14default_configELb0EPK12hip_bfloat16PSP_PKlPlN2at6native12_GLOBAL__N_18offset_tEEE10hipError_tPvRmT1_PNSt15iterator_traitsIS13_E10value_typeET2_T3_PNS14_IS19_E10value_typeET4_jRbjT5_S1F_jjP12ihipStream_tbEUljE_ZNSN_ISO_Lb0ESR_SS_SU_SV_SZ_EES10_S11_S12_S13_S17_S18_S19_S1C_S1D_jS1E_jS1F_S1F_jjS1H_bEUljE0_EEES10_S11_S12_S19_S1D_S1F_T6_T7_T9_mT8_S1H_bDpT10_ENKUlT_T0_E_clISt17integral_constantIbLb1EES1U_IbLb0EEEEDaS1Q_S1R_EUlS1Q_E_NS1_11comp_targetILNS1_3genE2ELNS1_11target_archE906ELNS1_3gpuE6ELNS1_3repE0EEENS1_30default_config_static_selectorELNS0_4arch9wavefront6targetE0EEEvS13_,"axG",@progbits,_ZN7rocprim17ROCPRIM_400000_NS6detail17trampoline_kernelINS0_13select_configILj256ELj13ELNS0_17block_load_methodE3ELS4_3ELS4_3ELNS0_20block_scan_algorithmE0ELj4294967295EEENS1_25partition_config_selectorILNS1_17partition_subalgoE4EjNS0_10empty_typeEbEEZZNS1_14partition_implILS8_4ELb0ES6_15HIP_vector_typeIjLj2EENS0_17counting_iteratorIjlEEPS9_SG_NS0_5tupleIJPjSI_NS0_16reverse_iteratorISI_EEEEENSH_IJSG_SG_SG_EEES9_SI_JZNS1_25segmented_radix_sort_implINS0_14default_configELb0EPK12hip_bfloat16PSP_PKlPlN2at6native12_GLOBAL__N_18offset_tEEE10hipError_tPvRmT1_PNSt15iterator_traitsIS13_E10value_typeET2_T3_PNS14_IS19_E10value_typeET4_jRbjT5_S1F_jjP12ihipStream_tbEUljE_ZNSN_ISO_Lb0ESR_SS_SU_SV_SZ_EES10_S11_S12_S13_S17_S18_S19_S1C_S1D_jS1E_jS1F_S1F_jjS1H_bEUljE0_EEES10_S11_S12_S19_S1D_S1F_T6_T7_T9_mT8_S1H_bDpT10_ENKUlT_T0_E_clISt17integral_constantIbLb1EES1U_IbLb0EEEEDaS1Q_S1R_EUlS1Q_E_NS1_11comp_targetILNS1_3genE2ELNS1_11target_archE906ELNS1_3gpuE6ELNS1_3repE0EEENS1_30default_config_static_selectorELNS0_4arch9wavefront6targetE0EEEvS13_,comdat
	.globl	_ZN7rocprim17ROCPRIM_400000_NS6detail17trampoline_kernelINS0_13select_configILj256ELj13ELNS0_17block_load_methodE3ELS4_3ELS4_3ELNS0_20block_scan_algorithmE0ELj4294967295EEENS1_25partition_config_selectorILNS1_17partition_subalgoE4EjNS0_10empty_typeEbEEZZNS1_14partition_implILS8_4ELb0ES6_15HIP_vector_typeIjLj2EENS0_17counting_iteratorIjlEEPS9_SG_NS0_5tupleIJPjSI_NS0_16reverse_iteratorISI_EEEEENSH_IJSG_SG_SG_EEES9_SI_JZNS1_25segmented_radix_sort_implINS0_14default_configELb0EPK12hip_bfloat16PSP_PKlPlN2at6native12_GLOBAL__N_18offset_tEEE10hipError_tPvRmT1_PNSt15iterator_traitsIS13_E10value_typeET2_T3_PNS14_IS19_E10value_typeET4_jRbjT5_S1F_jjP12ihipStream_tbEUljE_ZNSN_ISO_Lb0ESR_SS_SU_SV_SZ_EES10_S11_S12_S13_S17_S18_S19_S1C_S1D_jS1E_jS1F_S1F_jjS1H_bEUljE0_EEES10_S11_S12_S19_S1D_S1F_T6_T7_T9_mT8_S1H_bDpT10_ENKUlT_T0_E_clISt17integral_constantIbLb1EES1U_IbLb0EEEEDaS1Q_S1R_EUlS1Q_E_NS1_11comp_targetILNS1_3genE2ELNS1_11target_archE906ELNS1_3gpuE6ELNS1_3repE0EEENS1_30default_config_static_selectorELNS0_4arch9wavefront6targetE0EEEvS13_ ; -- Begin function _ZN7rocprim17ROCPRIM_400000_NS6detail17trampoline_kernelINS0_13select_configILj256ELj13ELNS0_17block_load_methodE3ELS4_3ELS4_3ELNS0_20block_scan_algorithmE0ELj4294967295EEENS1_25partition_config_selectorILNS1_17partition_subalgoE4EjNS0_10empty_typeEbEEZZNS1_14partition_implILS8_4ELb0ES6_15HIP_vector_typeIjLj2EENS0_17counting_iteratorIjlEEPS9_SG_NS0_5tupleIJPjSI_NS0_16reverse_iteratorISI_EEEEENSH_IJSG_SG_SG_EEES9_SI_JZNS1_25segmented_radix_sort_implINS0_14default_configELb0EPK12hip_bfloat16PSP_PKlPlN2at6native12_GLOBAL__N_18offset_tEEE10hipError_tPvRmT1_PNSt15iterator_traitsIS13_E10value_typeET2_T3_PNS14_IS19_E10value_typeET4_jRbjT5_S1F_jjP12ihipStream_tbEUljE_ZNSN_ISO_Lb0ESR_SS_SU_SV_SZ_EES10_S11_S12_S13_S17_S18_S19_S1C_S1D_jS1E_jS1F_S1F_jjS1H_bEUljE0_EEES10_S11_S12_S19_S1D_S1F_T6_T7_T9_mT8_S1H_bDpT10_ENKUlT_T0_E_clISt17integral_constantIbLb1EES1U_IbLb0EEEEDaS1Q_S1R_EUlS1Q_E_NS1_11comp_targetILNS1_3genE2ELNS1_11target_archE906ELNS1_3gpuE6ELNS1_3repE0EEENS1_30default_config_static_selectorELNS0_4arch9wavefront6targetE0EEEvS13_
	.p2align	8
	.type	_ZN7rocprim17ROCPRIM_400000_NS6detail17trampoline_kernelINS0_13select_configILj256ELj13ELNS0_17block_load_methodE3ELS4_3ELS4_3ELNS0_20block_scan_algorithmE0ELj4294967295EEENS1_25partition_config_selectorILNS1_17partition_subalgoE4EjNS0_10empty_typeEbEEZZNS1_14partition_implILS8_4ELb0ES6_15HIP_vector_typeIjLj2EENS0_17counting_iteratorIjlEEPS9_SG_NS0_5tupleIJPjSI_NS0_16reverse_iteratorISI_EEEEENSH_IJSG_SG_SG_EEES9_SI_JZNS1_25segmented_radix_sort_implINS0_14default_configELb0EPK12hip_bfloat16PSP_PKlPlN2at6native12_GLOBAL__N_18offset_tEEE10hipError_tPvRmT1_PNSt15iterator_traitsIS13_E10value_typeET2_T3_PNS14_IS19_E10value_typeET4_jRbjT5_S1F_jjP12ihipStream_tbEUljE_ZNSN_ISO_Lb0ESR_SS_SU_SV_SZ_EES10_S11_S12_S13_S17_S18_S19_S1C_S1D_jS1E_jS1F_S1F_jjS1H_bEUljE0_EEES10_S11_S12_S19_S1D_S1F_T6_T7_T9_mT8_S1H_bDpT10_ENKUlT_T0_E_clISt17integral_constantIbLb1EES1U_IbLb0EEEEDaS1Q_S1R_EUlS1Q_E_NS1_11comp_targetILNS1_3genE2ELNS1_11target_archE906ELNS1_3gpuE6ELNS1_3repE0EEENS1_30default_config_static_selectorELNS0_4arch9wavefront6targetE0EEEvS13_,@function
_ZN7rocprim17ROCPRIM_400000_NS6detail17trampoline_kernelINS0_13select_configILj256ELj13ELNS0_17block_load_methodE3ELS4_3ELS4_3ELNS0_20block_scan_algorithmE0ELj4294967295EEENS1_25partition_config_selectorILNS1_17partition_subalgoE4EjNS0_10empty_typeEbEEZZNS1_14partition_implILS8_4ELb0ES6_15HIP_vector_typeIjLj2EENS0_17counting_iteratorIjlEEPS9_SG_NS0_5tupleIJPjSI_NS0_16reverse_iteratorISI_EEEEENSH_IJSG_SG_SG_EEES9_SI_JZNS1_25segmented_radix_sort_implINS0_14default_configELb0EPK12hip_bfloat16PSP_PKlPlN2at6native12_GLOBAL__N_18offset_tEEE10hipError_tPvRmT1_PNSt15iterator_traitsIS13_E10value_typeET2_T3_PNS14_IS19_E10value_typeET4_jRbjT5_S1F_jjP12ihipStream_tbEUljE_ZNSN_ISO_Lb0ESR_SS_SU_SV_SZ_EES10_S11_S12_S13_S17_S18_S19_S1C_S1D_jS1E_jS1F_S1F_jjS1H_bEUljE0_EEES10_S11_S12_S19_S1D_S1F_T6_T7_T9_mT8_S1H_bDpT10_ENKUlT_T0_E_clISt17integral_constantIbLb1EES1U_IbLb0EEEEDaS1Q_S1R_EUlS1Q_E_NS1_11comp_targetILNS1_3genE2ELNS1_11target_archE906ELNS1_3gpuE6ELNS1_3repE0EEENS1_30default_config_static_selectorELNS0_4arch9wavefront6targetE0EEEvS13_: ; @_ZN7rocprim17ROCPRIM_400000_NS6detail17trampoline_kernelINS0_13select_configILj256ELj13ELNS0_17block_load_methodE3ELS4_3ELS4_3ELNS0_20block_scan_algorithmE0ELj4294967295EEENS1_25partition_config_selectorILNS1_17partition_subalgoE4EjNS0_10empty_typeEbEEZZNS1_14partition_implILS8_4ELb0ES6_15HIP_vector_typeIjLj2EENS0_17counting_iteratorIjlEEPS9_SG_NS0_5tupleIJPjSI_NS0_16reverse_iteratorISI_EEEEENSH_IJSG_SG_SG_EEES9_SI_JZNS1_25segmented_radix_sort_implINS0_14default_configELb0EPK12hip_bfloat16PSP_PKlPlN2at6native12_GLOBAL__N_18offset_tEEE10hipError_tPvRmT1_PNSt15iterator_traitsIS13_E10value_typeET2_T3_PNS14_IS19_E10value_typeET4_jRbjT5_S1F_jjP12ihipStream_tbEUljE_ZNSN_ISO_Lb0ESR_SS_SU_SV_SZ_EES10_S11_S12_S13_S17_S18_S19_S1C_S1D_jS1E_jS1F_S1F_jjS1H_bEUljE0_EEES10_S11_S12_S19_S1D_S1F_T6_T7_T9_mT8_S1H_bDpT10_ENKUlT_T0_E_clISt17integral_constantIbLb1EES1U_IbLb0EEEEDaS1Q_S1R_EUlS1Q_E_NS1_11comp_targetILNS1_3genE2ELNS1_11target_archE906ELNS1_3gpuE6ELNS1_3repE0EEENS1_30default_config_static_selectorELNS0_4arch9wavefront6targetE0EEEvS13_
; %bb.0:
	.section	.rodata,"a",@progbits
	.p2align	6, 0x0
	.amdhsa_kernel _ZN7rocprim17ROCPRIM_400000_NS6detail17trampoline_kernelINS0_13select_configILj256ELj13ELNS0_17block_load_methodE3ELS4_3ELS4_3ELNS0_20block_scan_algorithmE0ELj4294967295EEENS1_25partition_config_selectorILNS1_17partition_subalgoE4EjNS0_10empty_typeEbEEZZNS1_14partition_implILS8_4ELb0ES6_15HIP_vector_typeIjLj2EENS0_17counting_iteratorIjlEEPS9_SG_NS0_5tupleIJPjSI_NS0_16reverse_iteratorISI_EEEEENSH_IJSG_SG_SG_EEES9_SI_JZNS1_25segmented_radix_sort_implINS0_14default_configELb0EPK12hip_bfloat16PSP_PKlPlN2at6native12_GLOBAL__N_18offset_tEEE10hipError_tPvRmT1_PNSt15iterator_traitsIS13_E10value_typeET2_T3_PNS14_IS19_E10value_typeET4_jRbjT5_S1F_jjP12ihipStream_tbEUljE_ZNSN_ISO_Lb0ESR_SS_SU_SV_SZ_EES10_S11_S12_S13_S17_S18_S19_S1C_S1D_jS1E_jS1F_S1F_jjS1H_bEUljE0_EEES10_S11_S12_S19_S1D_S1F_T6_T7_T9_mT8_S1H_bDpT10_ENKUlT_T0_E_clISt17integral_constantIbLb1EES1U_IbLb0EEEEDaS1Q_S1R_EUlS1Q_E_NS1_11comp_targetILNS1_3genE2ELNS1_11target_archE906ELNS1_3gpuE6ELNS1_3repE0EEENS1_30default_config_static_selectorELNS0_4arch9wavefront6targetE0EEEvS13_
		.amdhsa_group_segment_fixed_size 0
		.amdhsa_private_segment_fixed_size 0
		.amdhsa_kernarg_size 176
		.amdhsa_user_sgpr_count 6
		.amdhsa_user_sgpr_private_segment_buffer 1
		.amdhsa_user_sgpr_dispatch_ptr 0
		.amdhsa_user_sgpr_queue_ptr 0
		.amdhsa_user_sgpr_kernarg_segment_ptr 1
		.amdhsa_user_sgpr_dispatch_id 0
		.amdhsa_user_sgpr_flat_scratch_init 0
		.amdhsa_user_sgpr_private_segment_size 0
		.amdhsa_wavefront_size32 1
		.amdhsa_uses_dynamic_stack 0
		.amdhsa_system_sgpr_private_segment_wavefront_offset 0
		.amdhsa_system_sgpr_workgroup_id_x 1
		.amdhsa_system_sgpr_workgroup_id_y 0
		.amdhsa_system_sgpr_workgroup_id_z 0
		.amdhsa_system_sgpr_workgroup_info 0
		.amdhsa_system_vgpr_workitem_id 0
		.amdhsa_next_free_vgpr 1
		.amdhsa_next_free_sgpr 1
		.amdhsa_reserve_vcc 0
		.amdhsa_reserve_flat_scratch 0
		.amdhsa_float_round_mode_32 0
		.amdhsa_float_round_mode_16_64 0
		.amdhsa_float_denorm_mode_32 3
		.amdhsa_float_denorm_mode_16_64 3
		.amdhsa_dx10_clamp 1
		.amdhsa_ieee_mode 1
		.amdhsa_fp16_overflow 0
		.amdhsa_workgroup_processor_mode 1
		.amdhsa_memory_ordered 1
		.amdhsa_forward_progress 1
		.amdhsa_shared_vgpr_count 0
		.amdhsa_exception_fp_ieee_invalid_op 0
		.amdhsa_exception_fp_denorm_src 0
		.amdhsa_exception_fp_ieee_div_zero 0
		.amdhsa_exception_fp_ieee_overflow 0
		.amdhsa_exception_fp_ieee_underflow 0
		.amdhsa_exception_fp_ieee_inexact 0
		.amdhsa_exception_int_div_zero 0
	.end_amdhsa_kernel
	.section	.text._ZN7rocprim17ROCPRIM_400000_NS6detail17trampoline_kernelINS0_13select_configILj256ELj13ELNS0_17block_load_methodE3ELS4_3ELS4_3ELNS0_20block_scan_algorithmE0ELj4294967295EEENS1_25partition_config_selectorILNS1_17partition_subalgoE4EjNS0_10empty_typeEbEEZZNS1_14partition_implILS8_4ELb0ES6_15HIP_vector_typeIjLj2EENS0_17counting_iteratorIjlEEPS9_SG_NS0_5tupleIJPjSI_NS0_16reverse_iteratorISI_EEEEENSH_IJSG_SG_SG_EEES9_SI_JZNS1_25segmented_radix_sort_implINS0_14default_configELb0EPK12hip_bfloat16PSP_PKlPlN2at6native12_GLOBAL__N_18offset_tEEE10hipError_tPvRmT1_PNSt15iterator_traitsIS13_E10value_typeET2_T3_PNS14_IS19_E10value_typeET4_jRbjT5_S1F_jjP12ihipStream_tbEUljE_ZNSN_ISO_Lb0ESR_SS_SU_SV_SZ_EES10_S11_S12_S13_S17_S18_S19_S1C_S1D_jS1E_jS1F_S1F_jjS1H_bEUljE0_EEES10_S11_S12_S19_S1D_S1F_T6_T7_T9_mT8_S1H_bDpT10_ENKUlT_T0_E_clISt17integral_constantIbLb1EES1U_IbLb0EEEEDaS1Q_S1R_EUlS1Q_E_NS1_11comp_targetILNS1_3genE2ELNS1_11target_archE906ELNS1_3gpuE6ELNS1_3repE0EEENS1_30default_config_static_selectorELNS0_4arch9wavefront6targetE0EEEvS13_,"axG",@progbits,_ZN7rocprim17ROCPRIM_400000_NS6detail17trampoline_kernelINS0_13select_configILj256ELj13ELNS0_17block_load_methodE3ELS4_3ELS4_3ELNS0_20block_scan_algorithmE0ELj4294967295EEENS1_25partition_config_selectorILNS1_17partition_subalgoE4EjNS0_10empty_typeEbEEZZNS1_14partition_implILS8_4ELb0ES6_15HIP_vector_typeIjLj2EENS0_17counting_iteratorIjlEEPS9_SG_NS0_5tupleIJPjSI_NS0_16reverse_iteratorISI_EEEEENSH_IJSG_SG_SG_EEES9_SI_JZNS1_25segmented_radix_sort_implINS0_14default_configELb0EPK12hip_bfloat16PSP_PKlPlN2at6native12_GLOBAL__N_18offset_tEEE10hipError_tPvRmT1_PNSt15iterator_traitsIS13_E10value_typeET2_T3_PNS14_IS19_E10value_typeET4_jRbjT5_S1F_jjP12ihipStream_tbEUljE_ZNSN_ISO_Lb0ESR_SS_SU_SV_SZ_EES10_S11_S12_S13_S17_S18_S19_S1C_S1D_jS1E_jS1F_S1F_jjS1H_bEUljE0_EEES10_S11_S12_S19_S1D_S1F_T6_T7_T9_mT8_S1H_bDpT10_ENKUlT_T0_E_clISt17integral_constantIbLb1EES1U_IbLb0EEEEDaS1Q_S1R_EUlS1Q_E_NS1_11comp_targetILNS1_3genE2ELNS1_11target_archE906ELNS1_3gpuE6ELNS1_3repE0EEENS1_30default_config_static_selectorELNS0_4arch9wavefront6targetE0EEEvS13_,comdat
.Lfunc_end1995:
	.size	_ZN7rocprim17ROCPRIM_400000_NS6detail17trampoline_kernelINS0_13select_configILj256ELj13ELNS0_17block_load_methodE3ELS4_3ELS4_3ELNS0_20block_scan_algorithmE0ELj4294967295EEENS1_25partition_config_selectorILNS1_17partition_subalgoE4EjNS0_10empty_typeEbEEZZNS1_14partition_implILS8_4ELb0ES6_15HIP_vector_typeIjLj2EENS0_17counting_iteratorIjlEEPS9_SG_NS0_5tupleIJPjSI_NS0_16reverse_iteratorISI_EEEEENSH_IJSG_SG_SG_EEES9_SI_JZNS1_25segmented_radix_sort_implINS0_14default_configELb0EPK12hip_bfloat16PSP_PKlPlN2at6native12_GLOBAL__N_18offset_tEEE10hipError_tPvRmT1_PNSt15iterator_traitsIS13_E10value_typeET2_T3_PNS14_IS19_E10value_typeET4_jRbjT5_S1F_jjP12ihipStream_tbEUljE_ZNSN_ISO_Lb0ESR_SS_SU_SV_SZ_EES10_S11_S12_S13_S17_S18_S19_S1C_S1D_jS1E_jS1F_S1F_jjS1H_bEUljE0_EEES10_S11_S12_S19_S1D_S1F_T6_T7_T9_mT8_S1H_bDpT10_ENKUlT_T0_E_clISt17integral_constantIbLb1EES1U_IbLb0EEEEDaS1Q_S1R_EUlS1Q_E_NS1_11comp_targetILNS1_3genE2ELNS1_11target_archE906ELNS1_3gpuE6ELNS1_3repE0EEENS1_30default_config_static_selectorELNS0_4arch9wavefront6targetE0EEEvS13_, .Lfunc_end1995-_ZN7rocprim17ROCPRIM_400000_NS6detail17trampoline_kernelINS0_13select_configILj256ELj13ELNS0_17block_load_methodE3ELS4_3ELS4_3ELNS0_20block_scan_algorithmE0ELj4294967295EEENS1_25partition_config_selectorILNS1_17partition_subalgoE4EjNS0_10empty_typeEbEEZZNS1_14partition_implILS8_4ELb0ES6_15HIP_vector_typeIjLj2EENS0_17counting_iteratorIjlEEPS9_SG_NS0_5tupleIJPjSI_NS0_16reverse_iteratorISI_EEEEENSH_IJSG_SG_SG_EEES9_SI_JZNS1_25segmented_radix_sort_implINS0_14default_configELb0EPK12hip_bfloat16PSP_PKlPlN2at6native12_GLOBAL__N_18offset_tEEE10hipError_tPvRmT1_PNSt15iterator_traitsIS13_E10value_typeET2_T3_PNS14_IS19_E10value_typeET4_jRbjT5_S1F_jjP12ihipStream_tbEUljE_ZNSN_ISO_Lb0ESR_SS_SU_SV_SZ_EES10_S11_S12_S13_S17_S18_S19_S1C_S1D_jS1E_jS1F_S1F_jjS1H_bEUljE0_EEES10_S11_S12_S19_S1D_S1F_T6_T7_T9_mT8_S1H_bDpT10_ENKUlT_T0_E_clISt17integral_constantIbLb1EES1U_IbLb0EEEEDaS1Q_S1R_EUlS1Q_E_NS1_11comp_targetILNS1_3genE2ELNS1_11target_archE906ELNS1_3gpuE6ELNS1_3repE0EEENS1_30default_config_static_selectorELNS0_4arch9wavefront6targetE0EEEvS13_
                                        ; -- End function
	.set _ZN7rocprim17ROCPRIM_400000_NS6detail17trampoline_kernelINS0_13select_configILj256ELj13ELNS0_17block_load_methodE3ELS4_3ELS4_3ELNS0_20block_scan_algorithmE0ELj4294967295EEENS1_25partition_config_selectorILNS1_17partition_subalgoE4EjNS0_10empty_typeEbEEZZNS1_14partition_implILS8_4ELb0ES6_15HIP_vector_typeIjLj2EENS0_17counting_iteratorIjlEEPS9_SG_NS0_5tupleIJPjSI_NS0_16reverse_iteratorISI_EEEEENSH_IJSG_SG_SG_EEES9_SI_JZNS1_25segmented_radix_sort_implINS0_14default_configELb0EPK12hip_bfloat16PSP_PKlPlN2at6native12_GLOBAL__N_18offset_tEEE10hipError_tPvRmT1_PNSt15iterator_traitsIS13_E10value_typeET2_T3_PNS14_IS19_E10value_typeET4_jRbjT5_S1F_jjP12ihipStream_tbEUljE_ZNSN_ISO_Lb0ESR_SS_SU_SV_SZ_EES10_S11_S12_S13_S17_S18_S19_S1C_S1D_jS1E_jS1F_S1F_jjS1H_bEUljE0_EEES10_S11_S12_S19_S1D_S1F_T6_T7_T9_mT8_S1H_bDpT10_ENKUlT_T0_E_clISt17integral_constantIbLb1EES1U_IbLb0EEEEDaS1Q_S1R_EUlS1Q_E_NS1_11comp_targetILNS1_3genE2ELNS1_11target_archE906ELNS1_3gpuE6ELNS1_3repE0EEENS1_30default_config_static_selectorELNS0_4arch9wavefront6targetE0EEEvS13_.num_vgpr, 0
	.set _ZN7rocprim17ROCPRIM_400000_NS6detail17trampoline_kernelINS0_13select_configILj256ELj13ELNS0_17block_load_methodE3ELS4_3ELS4_3ELNS0_20block_scan_algorithmE0ELj4294967295EEENS1_25partition_config_selectorILNS1_17partition_subalgoE4EjNS0_10empty_typeEbEEZZNS1_14partition_implILS8_4ELb0ES6_15HIP_vector_typeIjLj2EENS0_17counting_iteratorIjlEEPS9_SG_NS0_5tupleIJPjSI_NS0_16reverse_iteratorISI_EEEEENSH_IJSG_SG_SG_EEES9_SI_JZNS1_25segmented_radix_sort_implINS0_14default_configELb0EPK12hip_bfloat16PSP_PKlPlN2at6native12_GLOBAL__N_18offset_tEEE10hipError_tPvRmT1_PNSt15iterator_traitsIS13_E10value_typeET2_T3_PNS14_IS19_E10value_typeET4_jRbjT5_S1F_jjP12ihipStream_tbEUljE_ZNSN_ISO_Lb0ESR_SS_SU_SV_SZ_EES10_S11_S12_S13_S17_S18_S19_S1C_S1D_jS1E_jS1F_S1F_jjS1H_bEUljE0_EEES10_S11_S12_S19_S1D_S1F_T6_T7_T9_mT8_S1H_bDpT10_ENKUlT_T0_E_clISt17integral_constantIbLb1EES1U_IbLb0EEEEDaS1Q_S1R_EUlS1Q_E_NS1_11comp_targetILNS1_3genE2ELNS1_11target_archE906ELNS1_3gpuE6ELNS1_3repE0EEENS1_30default_config_static_selectorELNS0_4arch9wavefront6targetE0EEEvS13_.num_agpr, 0
	.set _ZN7rocprim17ROCPRIM_400000_NS6detail17trampoline_kernelINS0_13select_configILj256ELj13ELNS0_17block_load_methodE3ELS4_3ELS4_3ELNS0_20block_scan_algorithmE0ELj4294967295EEENS1_25partition_config_selectorILNS1_17partition_subalgoE4EjNS0_10empty_typeEbEEZZNS1_14partition_implILS8_4ELb0ES6_15HIP_vector_typeIjLj2EENS0_17counting_iteratorIjlEEPS9_SG_NS0_5tupleIJPjSI_NS0_16reverse_iteratorISI_EEEEENSH_IJSG_SG_SG_EEES9_SI_JZNS1_25segmented_radix_sort_implINS0_14default_configELb0EPK12hip_bfloat16PSP_PKlPlN2at6native12_GLOBAL__N_18offset_tEEE10hipError_tPvRmT1_PNSt15iterator_traitsIS13_E10value_typeET2_T3_PNS14_IS19_E10value_typeET4_jRbjT5_S1F_jjP12ihipStream_tbEUljE_ZNSN_ISO_Lb0ESR_SS_SU_SV_SZ_EES10_S11_S12_S13_S17_S18_S19_S1C_S1D_jS1E_jS1F_S1F_jjS1H_bEUljE0_EEES10_S11_S12_S19_S1D_S1F_T6_T7_T9_mT8_S1H_bDpT10_ENKUlT_T0_E_clISt17integral_constantIbLb1EES1U_IbLb0EEEEDaS1Q_S1R_EUlS1Q_E_NS1_11comp_targetILNS1_3genE2ELNS1_11target_archE906ELNS1_3gpuE6ELNS1_3repE0EEENS1_30default_config_static_selectorELNS0_4arch9wavefront6targetE0EEEvS13_.numbered_sgpr, 0
	.set _ZN7rocprim17ROCPRIM_400000_NS6detail17trampoline_kernelINS0_13select_configILj256ELj13ELNS0_17block_load_methodE3ELS4_3ELS4_3ELNS0_20block_scan_algorithmE0ELj4294967295EEENS1_25partition_config_selectorILNS1_17partition_subalgoE4EjNS0_10empty_typeEbEEZZNS1_14partition_implILS8_4ELb0ES6_15HIP_vector_typeIjLj2EENS0_17counting_iteratorIjlEEPS9_SG_NS0_5tupleIJPjSI_NS0_16reverse_iteratorISI_EEEEENSH_IJSG_SG_SG_EEES9_SI_JZNS1_25segmented_radix_sort_implINS0_14default_configELb0EPK12hip_bfloat16PSP_PKlPlN2at6native12_GLOBAL__N_18offset_tEEE10hipError_tPvRmT1_PNSt15iterator_traitsIS13_E10value_typeET2_T3_PNS14_IS19_E10value_typeET4_jRbjT5_S1F_jjP12ihipStream_tbEUljE_ZNSN_ISO_Lb0ESR_SS_SU_SV_SZ_EES10_S11_S12_S13_S17_S18_S19_S1C_S1D_jS1E_jS1F_S1F_jjS1H_bEUljE0_EEES10_S11_S12_S19_S1D_S1F_T6_T7_T9_mT8_S1H_bDpT10_ENKUlT_T0_E_clISt17integral_constantIbLb1EES1U_IbLb0EEEEDaS1Q_S1R_EUlS1Q_E_NS1_11comp_targetILNS1_3genE2ELNS1_11target_archE906ELNS1_3gpuE6ELNS1_3repE0EEENS1_30default_config_static_selectorELNS0_4arch9wavefront6targetE0EEEvS13_.num_named_barrier, 0
	.set _ZN7rocprim17ROCPRIM_400000_NS6detail17trampoline_kernelINS0_13select_configILj256ELj13ELNS0_17block_load_methodE3ELS4_3ELS4_3ELNS0_20block_scan_algorithmE0ELj4294967295EEENS1_25partition_config_selectorILNS1_17partition_subalgoE4EjNS0_10empty_typeEbEEZZNS1_14partition_implILS8_4ELb0ES6_15HIP_vector_typeIjLj2EENS0_17counting_iteratorIjlEEPS9_SG_NS0_5tupleIJPjSI_NS0_16reverse_iteratorISI_EEEEENSH_IJSG_SG_SG_EEES9_SI_JZNS1_25segmented_radix_sort_implINS0_14default_configELb0EPK12hip_bfloat16PSP_PKlPlN2at6native12_GLOBAL__N_18offset_tEEE10hipError_tPvRmT1_PNSt15iterator_traitsIS13_E10value_typeET2_T3_PNS14_IS19_E10value_typeET4_jRbjT5_S1F_jjP12ihipStream_tbEUljE_ZNSN_ISO_Lb0ESR_SS_SU_SV_SZ_EES10_S11_S12_S13_S17_S18_S19_S1C_S1D_jS1E_jS1F_S1F_jjS1H_bEUljE0_EEES10_S11_S12_S19_S1D_S1F_T6_T7_T9_mT8_S1H_bDpT10_ENKUlT_T0_E_clISt17integral_constantIbLb1EES1U_IbLb0EEEEDaS1Q_S1R_EUlS1Q_E_NS1_11comp_targetILNS1_3genE2ELNS1_11target_archE906ELNS1_3gpuE6ELNS1_3repE0EEENS1_30default_config_static_selectorELNS0_4arch9wavefront6targetE0EEEvS13_.private_seg_size, 0
	.set _ZN7rocprim17ROCPRIM_400000_NS6detail17trampoline_kernelINS0_13select_configILj256ELj13ELNS0_17block_load_methodE3ELS4_3ELS4_3ELNS0_20block_scan_algorithmE0ELj4294967295EEENS1_25partition_config_selectorILNS1_17partition_subalgoE4EjNS0_10empty_typeEbEEZZNS1_14partition_implILS8_4ELb0ES6_15HIP_vector_typeIjLj2EENS0_17counting_iteratorIjlEEPS9_SG_NS0_5tupleIJPjSI_NS0_16reverse_iteratorISI_EEEEENSH_IJSG_SG_SG_EEES9_SI_JZNS1_25segmented_radix_sort_implINS0_14default_configELb0EPK12hip_bfloat16PSP_PKlPlN2at6native12_GLOBAL__N_18offset_tEEE10hipError_tPvRmT1_PNSt15iterator_traitsIS13_E10value_typeET2_T3_PNS14_IS19_E10value_typeET4_jRbjT5_S1F_jjP12ihipStream_tbEUljE_ZNSN_ISO_Lb0ESR_SS_SU_SV_SZ_EES10_S11_S12_S13_S17_S18_S19_S1C_S1D_jS1E_jS1F_S1F_jjS1H_bEUljE0_EEES10_S11_S12_S19_S1D_S1F_T6_T7_T9_mT8_S1H_bDpT10_ENKUlT_T0_E_clISt17integral_constantIbLb1EES1U_IbLb0EEEEDaS1Q_S1R_EUlS1Q_E_NS1_11comp_targetILNS1_3genE2ELNS1_11target_archE906ELNS1_3gpuE6ELNS1_3repE0EEENS1_30default_config_static_selectorELNS0_4arch9wavefront6targetE0EEEvS13_.uses_vcc, 0
	.set _ZN7rocprim17ROCPRIM_400000_NS6detail17trampoline_kernelINS0_13select_configILj256ELj13ELNS0_17block_load_methodE3ELS4_3ELS4_3ELNS0_20block_scan_algorithmE0ELj4294967295EEENS1_25partition_config_selectorILNS1_17partition_subalgoE4EjNS0_10empty_typeEbEEZZNS1_14partition_implILS8_4ELb0ES6_15HIP_vector_typeIjLj2EENS0_17counting_iteratorIjlEEPS9_SG_NS0_5tupleIJPjSI_NS0_16reverse_iteratorISI_EEEEENSH_IJSG_SG_SG_EEES9_SI_JZNS1_25segmented_radix_sort_implINS0_14default_configELb0EPK12hip_bfloat16PSP_PKlPlN2at6native12_GLOBAL__N_18offset_tEEE10hipError_tPvRmT1_PNSt15iterator_traitsIS13_E10value_typeET2_T3_PNS14_IS19_E10value_typeET4_jRbjT5_S1F_jjP12ihipStream_tbEUljE_ZNSN_ISO_Lb0ESR_SS_SU_SV_SZ_EES10_S11_S12_S13_S17_S18_S19_S1C_S1D_jS1E_jS1F_S1F_jjS1H_bEUljE0_EEES10_S11_S12_S19_S1D_S1F_T6_T7_T9_mT8_S1H_bDpT10_ENKUlT_T0_E_clISt17integral_constantIbLb1EES1U_IbLb0EEEEDaS1Q_S1R_EUlS1Q_E_NS1_11comp_targetILNS1_3genE2ELNS1_11target_archE906ELNS1_3gpuE6ELNS1_3repE0EEENS1_30default_config_static_selectorELNS0_4arch9wavefront6targetE0EEEvS13_.uses_flat_scratch, 0
	.set _ZN7rocprim17ROCPRIM_400000_NS6detail17trampoline_kernelINS0_13select_configILj256ELj13ELNS0_17block_load_methodE3ELS4_3ELS4_3ELNS0_20block_scan_algorithmE0ELj4294967295EEENS1_25partition_config_selectorILNS1_17partition_subalgoE4EjNS0_10empty_typeEbEEZZNS1_14partition_implILS8_4ELb0ES6_15HIP_vector_typeIjLj2EENS0_17counting_iteratorIjlEEPS9_SG_NS0_5tupleIJPjSI_NS0_16reverse_iteratorISI_EEEEENSH_IJSG_SG_SG_EEES9_SI_JZNS1_25segmented_radix_sort_implINS0_14default_configELb0EPK12hip_bfloat16PSP_PKlPlN2at6native12_GLOBAL__N_18offset_tEEE10hipError_tPvRmT1_PNSt15iterator_traitsIS13_E10value_typeET2_T3_PNS14_IS19_E10value_typeET4_jRbjT5_S1F_jjP12ihipStream_tbEUljE_ZNSN_ISO_Lb0ESR_SS_SU_SV_SZ_EES10_S11_S12_S13_S17_S18_S19_S1C_S1D_jS1E_jS1F_S1F_jjS1H_bEUljE0_EEES10_S11_S12_S19_S1D_S1F_T6_T7_T9_mT8_S1H_bDpT10_ENKUlT_T0_E_clISt17integral_constantIbLb1EES1U_IbLb0EEEEDaS1Q_S1R_EUlS1Q_E_NS1_11comp_targetILNS1_3genE2ELNS1_11target_archE906ELNS1_3gpuE6ELNS1_3repE0EEENS1_30default_config_static_selectorELNS0_4arch9wavefront6targetE0EEEvS13_.has_dyn_sized_stack, 0
	.set _ZN7rocprim17ROCPRIM_400000_NS6detail17trampoline_kernelINS0_13select_configILj256ELj13ELNS0_17block_load_methodE3ELS4_3ELS4_3ELNS0_20block_scan_algorithmE0ELj4294967295EEENS1_25partition_config_selectorILNS1_17partition_subalgoE4EjNS0_10empty_typeEbEEZZNS1_14partition_implILS8_4ELb0ES6_15HIP_vector_typeIjLj2EENS0_17counting_iteratorIjlEEPS9_SG_NS0_5tupleIJPjSI_NS0_16reverse_iteratorISI_EEEEENSH_IJSG_SG_SG_EEES9_SI_JZNS1_25segmented_radix_sort_implINS0_14default_configELb0EPK12hip_bfloat16PSP_PKlPlN2at6native12_GLOBAL__N_18offset_tEEE10hipError_tPvRmT1_PNSt15iterator_traitsIS13_E10value_typeET2_T3_PNS14_IS19_E10value_typeET4_jRbjT5_S1F_jjP12ihipStream_tbEUljE_ZNSN_ISO_Lb0ESR_SS_SU_SV_SZ_EES10_S11_S12_S13_S17_S18_S19_S1C_S1D_jS1E_jS1F_S1F_jjS1H_bEUljE0_EEES10_S11_S12_S19_S1D_S1F_T6_T7_T9_mT8_S1H_bDpT10_ENKUlT_T0_E_clISt17integral_constantIbLb1EES1U_IbLb0EEEEDaS1Q_S1R_EUlS1Q_E_NS1_11comp_targetILNS1_3genE2ELNS1_11target_archE906ELNS1_3gpuE6ELNS1_3repE0EEENS1_30default_config_static_selectorELNS0_4arch9wavefront6targetE0EEEvS13_.has_recursion, 0
	.set _ZN7rocprim17ROCPRIM_400000_NS6detail17trampoline_kernelINS0_13select_configILj256ELj13ELNS0_17block_load_methodE3ELS4_3ELS4_3ELNS0_20block_scan_algorithmE0ELj4294967295EEENS1_25partition_config_selectorILNS1_17partition_subalgoE4EjNS0_10empty_typeEbEEZZNS1_14partition_implILS8_4ELb0ES6_15HIP_vector_typeIjLj2EENS0_17counting_iteratorIjlEEPS9_SG_NS0_5tupleIJPjSI_NS0_16reverse_iteratorISI_EEEEENSH_IJSG_SG_SG_EEES9_SI_JZNS1_25segmented_radix_sort_implINS0_14default_configELb0EPK12hip_bfloat16PSP_PKlPlN2at6native12_GLOBAL__N_18offset_tEEE10hipError_tPvRmT1_PNSt15iterator_traitsIS13_E10value_typeET2_T3_PNS14_IS19_E10value_typeET4_jRbjT5_S1F_jjP12ihipStream_tbEUljE_ZNSN_ISO_Lb0ESR_SS_SU_SV_SZ_EES10_S11_S12_S13_S17_S18_S19_S1C_S1D_jS1E_jS1F_S1F_jjS1H_bEUljE0_EEES10_S11_S12_S19_S1D_S1F_T6_T7_T9_mT8_S1H_bDpT10_ENKUlT_T0_E_clISt17integral_constantIbLb1EES1U_IbLb0EEEEDaS1Q_S1R_EUlS1Q_E_NS1_11comp_targetILNS1_3genE2ELNS1_11target_archE906ELNS1_3gpuE6ELNS1_3repE0EEENS1_30default_config_static_selectorELNS0_4arch9wavefront6targetE0EEEvS13_.has_indirect_call, 0
	.section	.AMDGPU.csdata,"",@progbits
; Kernel info:
; codeLenInByte = 0
; TotalNumSgprs: 0
; NumVgprs: 0
; ScratchSize: 0
; MemoryBound: 0
; FloatMode: 240
; IeeeMode: 1
; LDSByteSize: 0 bytes/workgroup (compile time only)
; SGPRBlocks: 0
; VGPRBlocks: 0
; NumSGPRsForWavesPerEU: 1
; NumVGPRsForWavesPerEU: 1
; Occupancy: 16
; WaveLimiterHint : 0
; COMPUTE_PGM_RSRC2:SCRATCH_EN: 0
; COMPUTE_PGM_RSRC2:USER_SGPR: 6
; COMPUTE_PGM_RSRC2:TRAP_HANDLER: 0
; COMPUTE_PGM_RSRC2:TGID_X_EN: 1
; COMPUTE_PGM_RSRC2:TGID_Y_EN: 0
; COMPUTE_PGM_RSRC2:TGID_Z_EN: 0
; COMPUTE_PGM_RSRC2:TIDIG_COMP_CNT: 0
	.section	.text._ZN7rocprim17ROCPRIM_400000_NS6detail17trampoline_kernelINS0_13select_configILj256ELj13ELNS0_17block_load_methodE3ELS4_3ELS4_3ELNS0_20block_scan_algorithmE0ELj4294967295EEENS1_25partition_config_selectorILNS1_17partition_subalgoE4EjNS0_10empty_typeEbEEZZNS1_14partition_implILS8_4ELb0ES6_15HIP_vector_typeIjLj2EENS0_17counting_iteratorIjlEEPS9_SG_NS0_5tupleIJPjSI_NS0_16reverse_iteratorISI_EEEEENSH_IJSG_SG_SG_EEES9_SI_JZNS1_25segmented_radix_sort_implINS0_14default_configELb0EPK12hip_bfloat16PSP_PKlPlN2at6native12_GLOBAL__N_18offset_tEEE10hipError_tPvRmT1_PNSt15iterator_traitsIS13_E10value_typeET2_T3_PNS14_IS19_E10value_typeET4_jRbjT5_S1F_jjP12ihipStream_tbEUljE_ZNSN_ISO_Lb0ESR_SS_SU_SV_SZ_EES10_S11_S12_S13_S17_S18_S19_S1C_S1D_jS1E_jS1F_S1F_jjS1H_bEUljE0_EEES10_S11_S12_S19_S1D_S1F_T6_T7_T9_mT8_S1H_bDpT10_ENKUlT_T0_E_clISt17integral_constantIbLb1EES1U_IbLb0EEEEDaS1Q_S1R_EUlS1Q_E_NS1_11comp_targetILNS1_3genE10ELNS1_11target_archE1200ELNS1_3gpuE4ELNS1_3repE0EEENS1_30default_config_static_selectorELNS0_4arch9wavefront6targetE0EEEvS13_,"axG",@progbits,_ZN7rocprim17ROCPRIM_400000_NS6detail17trampoline_kernelINS0_13select_configILj256ELj13ELNS0_17block_load_methodE3ELS4_3ELS4_3ELNS0_20block_scan_algorithmE0ELj4294967295EEENS1_25partition_config_selectorILNS1_17partition_subalgoE4EjNS0_10empty_typeEbEEZZNS1_14partition_implILS8_4ELb0ES6_15HIP_vector_typeIjLj2EENS0_17counting_iteratorIjlEEPS9_SG_NS0_5tupleIJPjSI_NS0_16reverse_iteratorISI_EEEEENSH_IJSG_SG_SG_EEES9_SI_JZNS1_25segmented_radix_sort_implINS0_14default_configELb0EPK12hip_bfloat16PSP_PKlPlN2at6native12_GLOBAL__N_18offset_tEEE10hipError_tPvRmT1_PNSt15iterator_traitsIS13_E10value_typeET2_T3_PNS14_IS19_E10value_typeET4_jRbjT5_S1F_jjP12ihipStream_tbEUljE_ZNSN_ISO_Lb0ESR_SS_SU_SV_SZ_EES10_S11_S12_S13_S17_S18_S19_S1C_S1D_jS1E_jS1F_S1F_jjS1H_bEUljE0_EEES10_S11_S12_S19_S1D_S1F_T6_T7_T9_mT8_S1H_bDpT10_ENKUlT_T0_E_clISt17integral_constantIbLb1EES1U_IbLb0EEEEDaS1Q_S1R_EUlS1Q_E_NS1_11comp_targetILNS1_3genE10ELNS1_11target_archE1200ELNS1_3gpuE4ELNS1_3repE0EEENS1_30default_config_static_selectorELNS0_4arch9wavefront6targetE0EEEvS13_,comdat
	.globl	_ZN7rocprim17ROCPRIM_400000_NS6detail17trampoline_kernelINS0_13select_configILj256ELj13ELNS0_17block_load_methodE3ELS4_3ELS4_3ELNS0_20block_scan_algorithmE0ELj4294967295EEENS1_25partition_config_selectorILNS1_17partition_subalgoE4EjNS0_10empty_typeEbEEZZNS1_14partition_implILS8_4ELb0ES6_15HIP_vector_typeIjLj2EENS0_17counting_iteratorIjlEEPS9_SG_NS0_5tupleIJPjSI_NS0_16reverse_iteratorISI_EEEEENSH_IJSG_SG_SG_EEES9_SI_JZNS1_25segmented_radix_sort_implINS0_14default_configELb0EPK12hip_bfloat16PSP_PKlPlN2at6native12_GLOBAL__N_18offset_tEEE10hipError_tPvRmT1_PNSt15iterator_traitsIS13_E10value_typeET2_T3_PNS14_IS19_E10value_typeET4_jRbjT5_S1F_jjP12ihipStream_tbEUljE_ZNSN_ISO_Lb0ESR_SS_SU_SV_SZ_EES10_S11_S12_S13_S17_S18_S19_S1C_S1D_jS1E_jS1F_S1F_jjS1H_bEUljE0_EEES10_S11_S12_S19_S1D_S1F_T6_T7_T9_mT8_S1H_bDpT10_ENKUlT_T0_E_clISt17integral_constantIbLb1EES1U_IbLb0EEEEDaS1Q_S1R_EUlS1Q_E_NS1_11comp_targetILNS1_3genE10ELNS1_11target_archE1200ELNS1_3gpuE4ELNS1_3repE0EEENS1_30default_config_static_selectorELNS0_4arch9wavefront6targetE0EEEvS13_ ; -- Begin function _ZN7rocprim17ROCPRIM_400000_NS6detail17trampoline_kernelINS0_13select_configILj256ELj13ELNS0_17block_load_methodE3ELS4_3ELS4_3ELNS0_20block_scan_algorithmE0ELj4294967295EEENS1_25partition_config_selectorILNS1_17partition_subalgoE4EjNS0_10empty_typeEbEEZZNS1_14partition_implILS8_4ELb0ES6_15HIP_vector_typeIjLj2EENS0_17counting_iteratorIjlEEPS9_SG_NS0_5tupleIJPjSI_NS0_16reverse_iteratorISI_EEEEENSH_IJSG_SG_SG_EEES9_SI_JZNS1_25segmented_radix_sort_implINS0_14default_configELb0EPK12hip_bfloat16PSP_PKlPlN2at6native12_GLOBAL__N_18offset_tEEE10hipError_tPvRmT1_PNSt15iterator_traitsIS13_E10value_typeET2_T3_PNS14_IS19_E10value_typeET4_jRbjT5_S1F_jjP12ihipStream_tbEUljE_ZNSN_ISO_Lb0ESR_SS_SU_SV_SZ_EES10_S11_S12_S13_S17_S18_S19_S1C_S1D_jS1E_jS1F_S1F_jjS1H_bEUljE0_EEES10_S11_S12_S19_S1D_S1F_T6_T7_T9_mT8_S1H_bDpT10_ENKUlT_T0_E_clISt17integral_constantIbLb1EES1U_IbLb0EEEEDaS1Q_S1R_EUlS1Q_E_NS1_11comp_targetILNS1_3genE10ELNS1_11target_archE1200ELNS1_3gpuE4ELNS1_3repE0EEENS1_30default_config_static_selectorELNS0_4arch9wavefront6targetE0EEEvS13_
	.p2align	8
	.type	_ZN7rocprim17ROCPRIM_400000_NS6detail17trampoline_kernelINS0_13select_configILj256ELj13ELNS0_17block_load_methodE3ELS4_3ELS4_3ELNS0_20block_scan_algorithmE0ELj4294967295EEENS1_25partition_config_selectorILNS1_17partition_subalgoE4EjNS0_10empty_typeEbEEZZNS1_14partition_implILS8_4ELb0ES6_15HIP_vector_typeIjLj2EENS0_17counting_iteratorIjlEEPS9_SG_NS0_5tupleIJPjSI_NS0_16reverse_iteratorISI_EEEEENSH_IJSG_SG_SG_EEES9_SI_JZNS1_25segmented_radix_sort_implINS0_14default_configELb0EPK12hip_bfloat16PSP_PKlPlN2at6native12_GLOBAL__N_18offset_tEEE10hipError_tPvRmT1_PNSt15iterator_traitsIS13_E10value_typeET2_T3_PNS14_IS19_E10value_typeET4_jRbjT5_S1F_jjP12ihipStream_tbEUljE_ZNSN_ISO_Lb0ESR_SS_SU_SV_SZ_EES10_S11_S12_S13_S17_S18_S19_S1C_S1D_jS1E_jS1F_S1F_jjS1H_bEUljE0_EEES10_S11_S12_S19_S1D_S1F_T6_T7_T9_mT8_S1H_bDpT10_ENKUlT_T0_E_clISt17integral_constantIbLb1EES1U_IbLb0EEEEDaS1Q_S1R_EUlS1Q_E_NS1_11comp_targetILNS1_3genE10ELNS1_11target_archE1200ELNS1_3gpuE4ELNS1_3repE0EEENS1_30default_config_static_selectorELNS0_4arch9wavefront6targetE0EEEvS13_,@function
_ZN7rocprim17ROCPRIM_400000_NS6detail17trampoline_kernelINS0_13select_configILj256ELj13ELNS0_17block_load_methodE3ELS4_3ELS4_3ELNS0_20block_scan_algorithmE0ELj4294967295EEENS1_25partition_config_selectorILNS1_17partition_subalgoE4EjNS0_10empty_typeEbEEZZNS1_14partition_implILS8_4ELb0ES6_15HIP_vector_typeIjLj2EENS0_17counting_iteratorIjlEEPS9_SG_NS0_5tupleIJPjSI_NS0_16reverse_iteratorISI_EEEEENSH_IJSG_SG_SG_EEES9_SI_JZNS1_25segmented_radix_sort_implINS0_14default_configELb0EPK12hip_bfloat16PSP_PKlPlN2at6native12_GLOBAL__N_18offset_tEEE10hipError_tPvRmT1_PNSt15iterator_traitsIS13_E10value_typeET2_T3_PNS14_IS19_E10value_typeET4_jRbjT5_S1F_jjP12ihipStream_tbEUljE_ZNSN_ISO_Lb0ESR_SS_SU_SV_SZ_EES10_S11_S12_S13_S17_S18_S19_S1C_S1D_jS1E_jS1F_S1F_jjS1H_bEUljE0_EEES10_S11_S12_S19_S1D_S1F_T6_T7_T9_mT8_S1H_bDpT10_ENKUlT_T0_E_clISt17integral_constantIbLb1EES1U_IbLb0EEEEDaS1Q_S1R_EUlS1Q_E_NS1_11comp_targetILNS1_3genE10ELNS1_11target_archE1200ELNS1_3gpuE4ELNS1_3repE0EEENS1_30default_config_static_selectorELNS0_4arch9wavefront6targetE0EEEvS13_: ; @_ZN7rocprim17ROCPRIM_400000_NS6detail17trampoline_kernelINS0_13select_configILj256ELj13ELNS0_17block_load_methodE3ELS4_3ELS4_3ELNS0_20block_scan_algorithmE0ELj4294967295EEENS1_25partition_config_selectorILNS1_17partition_subalgoE4EjNS0_10empty_typeEbEEZZNS1_14partition_implILS8_4ELb0ES6_15HIP_vector_typeIjLj2EENS0_17counting_iteratorIjlEEPS9_SG_NS0_5tupleIJPjSI_NS0_16reverse_iteratorISI_EEEEENSH_IJSG_SG_SG_EEES9_SI_JZNS1_25segmented_radix_sort_implINS0_14default_configELb0EPK12hip_bfloat16PSP_PKlPlN2at6native12_GLOBAL__N_18offset_tEEE10hipError_tPvRmT1_PNSt15iterator_traitsIS13_E10value_typeET2_T3_PNS14_IS19_E10value_typeET4_jRbjT5_S1F_jjP12ihipStream_tbEUljE_ZNSN_ISO_Lb0ESR_SS_SU_SV_SZ_EES10_S11_S12_S13_S17_S18_S19_S1C_S1D_jS1E_jS1F_S1F_jjS1H_bEUljE0_EEES10_S11_S12_S19_S1D_S1F_T6_T7_T9_mT8_S1H_bDpT10_ENKUlT_T0_E_clISt17integral_constantIbLb1EES1U_IbLb0EEEEDaS1Q_S1R_EUlS1Q_E_NS1_11comp_targetILNS1_3genE10ELNS1_11target_archE1200ELNS1_3gpuE4ELNS1_3repE0EEENS1_30default_config_static_selectorELNS0_4arch9wavefront6targetE0EEEvS13_
; %bb.0:
	.section	.rodata,"a",@progbits
	.p2align	6, 0x0
	.amdhsa_kernel _ZN7rocprim17ROCPRIM_400000_NS6detail17trampoline_kernelINS0_13select_configILj256ELj13ELNS0_17block_load_methodE3ELS4_3ELS4_3ELNS0_20block_scan_algorithmE0ELj4294967295EEENS1_25partition_config_selectorILNS1_17partition_subalgoE4EjNS0_10empty_typeEbEEZZNS1_14partition_implILS8_4ELb0ES6_15HIP_vector_typeIjLj2EENS0_17counting_iteratorIjlEEPS9_SG_NS0_5tupleIJPjSI_NS0_16reverse_iteratorISI_EEEEENSH_IJSG_SG_SG_EEES9_SI_JZNS1_25segmented_radix_sort_implINS0_14default_configELb0EPK12hip_bfloat16PSP_PKlPlN2at6native12_GLOBAL__N_18offset_tEEE10hipError_tPvRmT1_PNSt15iterator_traitsIS13_E10value_typeET2_T3_PNS14_IS19_E10value_typeET4_jRbjT5_S1F_jjP12ihipStream_tbEUljE_ZNSN_ISO_Lb0ESR_SS_SU_SV_SZ_EES10_S11_S12_S13_S17_S18_S19_S1C_S1D_jS1E_jS1F_S1F_jjS1H_bEUljE0_EEES10_S11_S12_S19_S1D_S1F_T6_T7_T9_mT8_S1H_bDpT10_ENKUlT_T0_E_clISt17integral_constantIbLb1EES1U_IbLb0EEEEDaS1Q_S1R_EUlS1Q_E_NS1_11comp_targetILNS1_3genE10ELNS1_11target_archE1200ELNS1_3gpuE4ELNS1_3repE0EEENS1_30default_config_static_selectorELNS0_4arch9wavefront6targetE0EEEvS13_
		.amdhsa_group_segment_fixed_size 0
		.amdhsa_private_segment_fixed_size 0
		.amdhsa_kernarg_size 176
		.amdhsa_user_sgpr_count 6
		.amdhsa_user_sgpr_private_segment_buffer 1
		.amdhsa_user_sgpr_dispatch_ptr 0
		.amdhsa_user_sgpr_queue_ptr 0
		.amdhsa_user_sgpr_kernarg_segment_ptr 1
		.amdhsa_user_sgpr_dispatch_id 0
		.amdhsa_user_sgpr_flat_scratch_init 0
		.amdhsa_user_sgpr_private_segment_size 0
		.amdhsa_wavefront_size32 1
		.amdhsa_uses_dynamic_stack 0
		.amdhsa_system_sgpr_private_segment_wavefront_offset 0
		.amdhsa_system_sgpr_workgroup_id_x 1
		.amdhsa_system_sgpr_workgroup_id_y 0
		.amdhsa_system_sgpr_workgroup_id_z 0
		.amdhsa_system_sgpr_workgroup_info 0
		.amdhsa_system_vgpr_workitem_id 0
		.amdhsa_next_free_vgpr 1
		.amdhsa_next_free_sgpr 1
		.amdhsa_reserve_vcc 0
		.amdhsa_reserve_flat_scratch 0
		.amdhsa_float_round_mode_32 0
		.amdhsa_float_round_mode_16_64 0
		.amdhsa_float_denorm_mode_32 3
		.amdhsa_float_denorm_mode_16_64 3
		.amdhsa_dx10_clamp 1
		.amdhsa_ieee_mode 1
		.amdhsa_fp16_overflow 0
		.amdhsa_workgroup_processor_mode 1
		.amdhsa_memory_ordered 1
		.amdhsa_forward_progress 1
		.amdhsa_shared_vgpr_count 0
		.amdhsa_exception_fp_ieee_invalid_op 0
		.amdhsa_exception_fp_denorm_src 0
		.amdhsa_exception_fp_ieee_div_zero 0
		.amdhsa_exception_fp_ieee_overflow 0
		.amdhsa_exception_fp_ieee_underflow 0
		.amdhsa_exception_fp_ieee_inexact 0
		.amdhsa_exception_int_div_zero 0
	.end_amdhsa_kernel
	.section	.text._ZN7rocprim17ROCPRIM_400000_NS6detail17trampoline_kernelINS0_13select_configILj256ELj13ELNS0_17block_load_methodE3ELS4_3ELS4_3ELNS0_20block_scan_algorithmE0ELj4294967295EEENS1_25partition_config_selectorILNS1_17partition_subalgoE4EjNS0_10empty_typeEbEEZZNS1_14partition_implILS8_4ELb0ES6_15HIP_vector_typeIjLj2EENS0_17counting_iteratorIjlEEPS9_SG_NS0_5tupleIJPjSI_NS0_16reverse_iteratorISI_EEEEENSH_IJSG_SG_SG_EEES9_SI_JZNS1_25segmented_radix_sort_implINS0_14default_configELb0EPK12hip_bfloat16PSP_PKlPlN2at6native12_GLOBAL__N_18offset_tEEE10hipError_tPvRmT1_PNSt15iterator_traitsIS13_E10value_typeET2_T3_PNS14_IS19_E10value_typeET4_jRbjT5_S1F_jjP12ihipStream_tbEUljE_ZNSN_ISO_Lb0ESR_SS_SU_SV_SZ_EES10_S11_S12_S13_S17_S18_S19_S1C_S1D_jS1E_jS1F_S1F_jjS1H_bEUljE0_EEES10_S11_S12_S19_S1D_S1F_T6_T7_T9_mT8_S1H_bDpT10_ENKUlT_T0_E_clISt17integral_constantIbLb1EES1U_IbLb0EEEEDaS1Q_S1R_EUlS1Q_E_NS1_11comp_targetILNS1_3genE10ELNS1_11target_archE1200ELNS1_3gpuE4ELNS1_3repE0EEENS1_30default_config_static_selectorELNS0_4arch9wavefront6targetE0EEEvS13_,"axG",@progbits,_ZN7rocprim17ROCPRIM_400000_NS6detail17trampoline_kernelINS0_13select_configILj256ELj13ELNS0_17block_load_methodE3ELS4_3ELS4_3ELNS0_20block_scan_algorithmE0ELj4294967295EEENS1_25partition_config_selectorILNS1_17partition_subalgoE4EjNS0_10empty_typeEbEEZZNS1_14partition_implILS8_4ELb0ES6_15HIP_vector_typeIjLj2EENS0_17counting_iteratorIjlEEPS9_SG_NS0_5tupleIJPjSI_NS0_16reverse_iteratorISI_EEEEENSH_IJSG_SG_SG_EEES9_SI_JZNS1_25segmented_radix_sort_implINS0_14default_configELb0EPK12hip_bfloat16PSP_PKlPlN2at6native12_GLOBAL__N_18offset_tEEE10hipError_tPvRmT1_PNSt15iterator_traitsIS13_E10value_typeET2_T3_PNS14_IS19_E10value_typeET4_jRbjT5_S1F_jjP12ihipStream_tbEUljE_ZNSN_ISO_Lb0ESR_SS_SU_SV_SZ_EES10_S11_S12_S13_S17_S18_S19_S1C_S1D_jS1E_jS1F_S1F_jjS1H_bEUljE0_EEES10_S11_S12_S19_S1D_S1F_T6_T7_T9_mT8_S1H_bDpT10_ENKUlT_T0_E_clISt17integral_constantIbLb1EES1U_IbLb0EEEEDaS1Q_S1R_EUlS1Q_E_NS1_11comp_targetILNS1_3genE10ELNS1_11target_archE1200ELNS1_3gpuE4ELNS1_3repE0EEENS1_30default_config_static_selectorELNS0_4arch9wavefront6targetE0EEEvS13_,comdat
.Lfunc_end1996:
	.size	_ZN7rocprim17ROCPRIM_400000_NS6detail17trampoline_kernelINS0_13select_configILj256ELj13ELNS0_17block_load_methodE3ELS4_3ELS4_3ELNS0_20block_scan_algorithmE0ELj4294967295EEENS1_25partition_config_selectorILNS1_17partition_subalgoE4EjNS0_10empty_typeEbEEZZNS1_14partition_implILS8_4ELb0ES6_15HIP_vector_typeIjLj2EENS0_17counting_iteratorIjlEEPS9_SG_NS0_5tupleIJPjSI_NS0_16reverse_iteratorISI_EEEEENSH_IJSG_SG_SG_EEES9_SI_JZNS1_25segmented_radix_sort_implINS0_14default_configELb0EPK12hip_bfloat16PSP_PKlPlN2at6native12_GLOBAL__N_18offset_tEEE10hipError_tPvRmT1_PNSt15iterator_traitsIS13_E10value_typeET2_T3_PNS14_IS19_E10value_typeET4_jRbjT5_S1F_jjP12ihipStream_tbEUljE_ZNSN_ISO_Lb0ESR_SS_SU_SV_SZ_EES10_S11_S12_S13_S17_S18_S19_S1C_S1D_jS1E_jS1F_S1F_jjS1H_bEUljE0_EEES10_S11_S12_S19_S1D_S1F_T6_T7_T9_mT8_S1H_bDpT10_ENKUlT_T0_E_clISt17integral_constantIbLb1EES1U_IbLb0EEEEDaS1Q_S1R_EUlS1Q_E_NS1_11comp_targetILNS1_3genE10ELNS1_11target_archE1200ELNS1_3gpuE4ELNS1_3repE0EEENS1_30default_config_static_selectorELNS0_4arch9wavefront6targetE0EEEvS13_, .Lfunc_end1996-_ZN7rocprim17ROCPRIM_400000_NS6detail17trampoline_kernelINS0_13select_configILj256ELj13ELNS0_17block_load_methodE3ELS4_3ELS4_3ELNS0_20block_scan_algorithmE0ELj4294967295EEENS1_25partition_config_selectorILNS1_17partition_subalgoE4EjNS0_10empty_typeEbEEZZNS1_14partition_implILS8_4ELb0ES6_15HIP_vector_typeIjLj2EENS0_17counting_iteratorIjlEEPS9_SG_NS0_5tupleIJPjSI_NS0_16reverse_iteratorISI_EEEEENSH_IJSG_SG_SG_EEES9_SI_JZNS1_25segmented_radix_sort_implINS0_14default_configELb0EPK12hip_bfloat16PSP_PKlPlN2at6native12_GLOBAL__N_18offset_tEEE10hipError_tPvRmT1_PNSt15iterator_traitsIS13_E10value_typeET2_T3_PNS14_IS19_E10value_typeET4_jRbjT5_S1F_jjP12ihipStream_tbEUljE_ZNSN_ISO_Lb0ESR_SS_SU_SV_SZ_EES10_S11_S12_S13_S17_S18_S19_S1C_S1D_jS1E_jS1F_S1F_jjS1H_bEUljE0_EEES10_S11_S12_S19_S1D_S1F_T6_T7_T9_mT8_S1H_bDpT10_ENKUlT_T0_E_clISt17integral_constantIbLb1EES1U_IbLb0EEEEDaS1Q_S1R_EUlS1Q_E_NS1_11comp_targetILNS1_3genE10ELNS1_11target_archE1200ELNS1_3gpuE4ELNS1_3repE0EEENS1_30default_config_static_selectorELNS0_4arch9wavefront6targetE0EEEvS13_
                                        ; -- End function
	.set _ZN7rocprim17ROCPRIM_400000_NS6detail17trampoline_kernelINS0_13select_configILj256ELj13ELNS0_17block_load_methodE3ELS4_3ELS4_3ELNS0_20block_scan_algorithmE0ELj4294967295EEENS1_25partition_config_selectorILNS1_17partition_subalgoE4EjNS0_10empty_typeEbEEZZNS1_14partition_implILS8_4ELb0ES6_15HIP_vector_typeIjLj2EENS0_17counting_iteratorIjlEEPS9_SG_NS0_5tupleIJPjSI_NS0_16reverse_iteratorISI_EEEEENSH_IJSG_SG_SG_EEES9_SI_JZNS1_25segmented_radix_sort_implINS0_14default_configELb0EPK12hip_bfloat16PSP_PKlPlN2at6native12_GLOBAL__N_18offset_tEEE10hipError_tPvRmT1_PNSt15iterator_traitsIS13_E10value_typeET2_T3_PNS14_IS19_E10value_typeET4_jRbjT5_S1F_jjP12ihipStream_tbEUljE_ZNSN_ISO_Lb0ESR_SS_SU_SV_SZ_EES10_S11_S12_S13_S17_S18_S19_S1C_S1D_jS1E_jS1F_S1F_jjS1H_bEUljE0_EEES10_S11_S12_S19_S1D_S1F_T6_T7_T9_mT8_S1H_bDpT10_ENKUlT_T0_E_clISt17integral_constantIbLb1EES1U_IbLb0EEEEDaS1Q_S1R_EUlS1Q_E_NS1_11comp_targetILNS1_3genE10ELNS1_11target_archE1200ELNS1_3gpuE4ELNS1_3repE0EEENS1_30default_config_static_selectorELNS0_4arch9wavefront6targetE0EEEvS13_.num_vgpr, 0
	.set _ZN7rocprim17ROCPRIM_400000_NS6detail17trampoline_kernelINS0_13select_configILj256ELj13ELNS0_17block_load_methodE3ELS4_3ELS4_3ELNS0_20block_scan_algorithmE0ELj4294967295EEENS1_25partition_config_selectorILNS1_17partition_subalgoE4EjNS0_10empty_typeEbEEZZNS1_14partition_implILS8_4ELb0ES6_15HIP_vector_typeIjLj2EENS0_17counting_iteratorIjlEEPS9_SG_NS0_5tupleIJPjSI_NS0_16reverse_iteratorISI_EEEEENSH_IJSG_SG_SG_EEES9_SI_JZNS1_25segmented_radix_sort_implINS0_14default_configELb0EPK12hip_bfloat16PSP_PKlPlN2at6native12_GLOBAL__N_18offset_tEEE10hipError_tPvRmT1_PNSt15iterator_traitsIS13_E10value_typeET2_T3_PNS14_IS19_E10value_typeET4_jRbjT5_S1F_jjP12ihipStream_tbEUljE_ZNSN_ISO_Lb0ESR_SS_SU_SV_SZ_EES10_S11_S12_S13_S17_S18_S19_S1C_S1D_jS1E_jS1F_S1F_jjS1H_bEUljE0_EEES10_S11_S12_S19_S1D_S1F_T6_T7_T9_mT8_S1H_bDpT10_ENKUlT_T0_E_clISt17integral_constantIbLb1EES1U_IbLb0EEEEDaS1Q_S1R_EUlS1Q_E_NS1_11comp_targetILNS1_3genE10ELNS1_11target_archE1200ELNS1_3gpuE4ELNS1_3repE0EEENS1_30default_config_static_selectorELNS0_4arch9wavefront6targetE0EEEvS13_.num_agpr, 0
	.set _ZN7rocprim17ROCPRIM_400000_NS6detail17trampoline_kernelINS0_13select_configILj256ELj13ELNS0_17block_load_methodE3ELS4_3ELS4_3ELNS0_20block_scan_algorithmE0ELj4294967295EEENS1_25partition_config_selectorILNS1_17partition_subalgoE4EjNS0_10empty_typeEbEEZZNS1_14partition_implILS8_4ELb0ES6_15HIP_vector_typeIjLj2EENS0_17counting_iteratorIjlEEPS9_SG_NS0_5tupleIJPjSI_NS0_16reverse_iteratorISI_EEEEENSH_IJSG_SG_SG_EEES9_SI_JZNS1_25segmented_radix_sort_implINS0_14default_configELb0EPK12hip_bfloat16PSP_PKlPlN2at6native12_GLOBAL__N_18offset_tEEE10hipError_tPvRmT1_PNSt15iterator_traitsIS13_E10value_typeET2_T3_PNS14_IS19_E10value_typeET4_jRbjT5_S1F_jjP12ihipStream_tbEUljE_ZNSN_ISO_Lb0ESR_SS_SU_SV_SZ_EES10_S11_S12_S13_S17_S18_S19_S1C_S1D_jS1E_jS1F_S1F_jjS1H_bEUljE0_EEES10_S11_S12_S19_S1D_S1F_T6_T7_T9_mT8_S1H_bDpT10_ENKUlT_T0_E_clISt17integral_constantIbLb1EES1U_IbLb0EEEEDaS1Q_S1R_EUlS1Q_E_NS1_11comp_targetILNS1_3genE10ELNS1_11target_archE1200ELNS1_3gpuE4ELNS1_3repE0EEENS1_30default_config_static_selectorELNS0_4arch9wavefront6targetE0EEEvS13_.numbered_sgpr, 0
	.set _ZN7rocprim17ROCPRIM_400000_NS6detail17trampoline_kernelINS0_13select_configILj256ELj13ELNS0_17block_load_methodE3ELS4_3ELS4_3ELNS0_20block_scan_algorithmE0ELj4294967295EEENS1_25partition_config_selectorILNS1_17partition_subalgoE4EjNS0_10empty_typeEbEEZZNS1_14partition_implILS8_4ELb0ES6_15HIP_vector_typeIjLj2EENS0_17counting_iteratorIjlEEPS9_SG_NS0_5tupleIJPjSI_NS0_16reverse_iteratorISI_EEEEENSH_IJSG_SG_SG_EEES9_SI_JZNS1_25segmented_radix_sort_implINS0_14default_configELb0EPK12hip_bfloat16PSP_PKlPlN2at6native12_GLOBAL__N_18offset_tEEE10hipError_tPvRmT1_PNSt15iterator_traitsIS13_E10value_typeET2_T3_PNS14_IS19_E10value_typeET4_jRbjT5_S1F_jjP12ihipStream_tbEUljE_ZNSN_ISO_Lb0ESR_SS_SU_SV_SZ_EES10_S11_S12_S13_S17_S18_S19_S1C_S1D_jS1E_jS1F_S1F_jjS1H_bEUljE0_EEES10_S11_S12_S19_S1D_S1F_T6_T7_T9_mT8_S1H_bDpT10_ENKUlT_T0_E_clISt17integral_constantIbLb1EES1U_IbLb0EEEEDaS1Q_S1R_EUlS1Q_E_NS1_11comp_targetILNS1_3genE10ELNS1_11target_archE1200ELNS1_3gpuE4ELNS1_3repE0EEENS1_30default_config_static_selectorELNS0_4arch9wavefront6targetE0EEEvS13_.num_named_barrier, 0
	.set _ZN7rocprim17ROCPRIM_400000_NS6detail17trampoline_kernelINS0_13select_configILj256ELj13ELNS0_17block_load_methodE3ELS4_3ELS4_3ELNS0_20block_scan_algorithmE0ELj4294967295EEENS1_25partition_config_selectorILNS1_17partition_subalgoE4EjNS0_10empty_typeEbEEZZNS1_14partition_implILS8_4ELb0ES6_15HIP_vector_typeIjLj2EENS0_17counting_iteratorIjlEEPS9_SG_NS0_5tupleIJPjSI_NS0_16reverse_iteratorISI_EEEEENSH_IJSG_SG_SG_EEES9_SI_JZNS1_25segmented_radix_sort_implINS0_14default_configELb0EPK12hip_bfloat16PSP_PKlPlN2at6native12_GLOBAL__N_18offset_tEEE10hipError_tPvRmT1_PNSt15iterator_traitsIS13_E10value_typeET2_T3_PNS14_IS19_E10value_typeET4_jRbjT5_S1F_jjP12ihipStream_tbEUljE_ZNSN_ISO_Lb0ESR_SS_SU_SV_SZ_EES10_S11_S12_S13_S17_S18_S19_S1C_S1D_jS1E_jS1F_S1F_jjS1H_bEUljE0_EEES10_S11_S12_S19_S1D_S1F_T6_T7_T9_mT8_S1H_bDpT10_ENKUlT_T0_E_clISt17integral_constantIbLb1EES1U_IbLb0EEEEDaS1Q_S1R_EUlS1Q_E_NS1_11comp_targetILNS1_3genE10ELNS1_11target_archE1200ELNS1_3gpuE4ELNS1_3repE0EEENS1_30default_config_static_selectorELNS0_4arch9wavefront6targetE0EEEvS13_.private_seg_size, 0
	.set _ZN7rocprim17ROCPRIM_400000_NS6detail17trampoline_kernelINS0_13select_configILj256ELj13ELNS0_17block_load_methodE3ELS4_3ELS4_3ELNS0_20block_scan_algorithmE0ELj4294967295EEENS1_25partition_config_selectorILNS1_17partition_subalgoE4EjNS0_10empty_typeEbEEZZNS1_14partition_implILS8_4ELb0ES6_15HIP_vector_typeIjLj2EENS0_17counting_iteratorIjlEEPS9_SG_NS0_5tupleIJPjSI_NS0_16reverse_iteratorISI_EEEEENSH_IJSG_SG_SG_EEES9_SI_JZNS1_25segmented_radix_sort_implINS0_14default_configELb0EPK12hip_bfloat16PSP_PKlPlN2at6native12_GLOBAL__N_18offset_tEEE10hipError_tPvRmT1_PNSt15iterator_traitsIS13_E10value_typeET2_T3_PNS14_IS19_E10value_typeET4_jRbjT5_S1F_jjP12ihipStream_tbEUljE_ZNSN_ISO_Lb0ESR_SS_SU_SV_SZ_EES10_S11_S12_S13_S17_S18_S19_S1C_S1D_jS1E_jS1F_S1F_jjS1H_bEUljE0_EEES10_S11_S12_S19_S1D_S1F_T6_T7_T9_mT8_S1H_bDpT10_ENKUlT_T0_E_clISt17integral_constantIbLb1EES1U_IbLb0EEEEDaS1Q_S1R_EUlS1Q_E_NS1_11comp_targetILNS1_3genE10ELNS1_11target_archE1200ELNS1_3gpuE4ELNS1_3repE0EEENS1_30default_config_static_selectorELNS0_4arch9wavefront6targetE0EEEvS13_.uses_vcc, 0
	.set _ZN7rocprim17ROCPRIM_400000_NS6detail17trampoline_kernelINS0_13select_configILj256ELj13ELNS0_17block_load_methodE3ELS4_3ELS4_3ELNS0_20block_scan_algorithmE0ELj4294967295EEENS1_25partition_config_selectorILNS1_17partition_subalgoE4EjNS0_10empty_typeEbEEZZNS1_14partition_implILS8_4ELb0ES6_15HIP_vector_typeIjLj2EENS0_17counting_iteratorIjlEEPS9_SG_NS0_5tupleIJPjSI_NS0_16reverse_iteratorISI_EEEEENSH_IJSG_SG_SG_EEES9_SI_JZNS1_25segmented_radix_sort_implINS0_14default_configELb0EPK12hip_bfloat16PSP_PKlPlN2at6native12_GLOBAL__N_18offset_tEEE10hipError_tPvRmT1_PNSt15iterator_traitsIS13_E10value_typeET2_T3_PNS14_IS19_E10value_typeET4_jRbjT5_S1F_jjP12ihipStream_tbEUljE_ZNSN_ISO_Lb0ESR_SS_SU_SV_SZ_EES10_S11_S12_S13_S17_S18_S19_S1C_S1D_jS1E_jS1F_S1F_jjS1H_bEUljE0_EEES10_S11_S12_S19_S1D_S1F_T6_T7_T9_mT8_S1H_bDpT10_ENKUlT_T0_E_clISt17integral_constantIbLb1EES1U_IbLb0EEEEDaS1Q_S1R_EUlS1Q_E_NS1_11comp_targetILNS1_3genE10ELNS1_11target_archE1200ELNS1_3gpuE4ELNS1_3repE0EEENS1_30default_config_static_selectorELNS0_4arch9wavefront6targetE0EEEvS13_.uses_flat_scratch, 0
	.set _ZN7rocprim17ROCPRIM_400000_NS6detail17trampoline_kernelINS0_13select_configILj256ELj13ELNS0_17block_load_methodE3ELS4_3ELS4_3ELNS0_20block_scan_algorithmE0ELj4294967295EEENS1_25partition_config_selectorILNS1_17partition_subalgoE4EjNS0_10empty_typeEbEEZZNS1_14partition_implILS8_4ELb0ES6_15HIP_vector_typeIjLj2EENS0_17counting_iteratorIjlEEPS9_SG_NS0_5tupleIJPjSI_NS0_16reverse_iteratorISI_EEEEENSH_IJSG_SG_SG_EEES9_SI_JZNS1_25segmented_radix_sort_implINS0_14default_configELb0EPK12hip_bfloat16PSP_PKlPlN2at6native12_GLOBAL__N_18offset_tEEE10hipError_tPvRmT1_PNSt15iterator_traitsIS13_E10value_typeET2_T3_PNS14_IS19_E10value_typeET4_jRbjT5_S1F_jjP12ihipStream_tbEUljE_ZNSN_ISO_Lb0ESR_SS_SU_SV_SZ_EES10_S11_S12_S13_S17_S18_S19_S1C_S1D_jS1E_jS1F_S1F_jjS1H_bEUljE0_EEES10_S11_S12_S19_S1D_S1F_T6_T7_T9_mT8_S1H_bDpT10_ENKUlT_T0_E_clISt17integral_constantIbLb1EES1U_IbLb0EEEEDaS1Q_S1R_EUlS1Q_E_NS1_11comp_targetILNS1_3genE10ELNS1_11target_archE1200ELNS1_3gpuE4ELNS1_3repE0EEENS1_30default_config_static_selectorELNS0_4arch9wavefront6targetE0EEEvS13_.has_dyn_sized_stack, 0
	.set _ZN7rocprim17ROCPRIM_400000_NS6detail17trampoline_kernelINS0_13select_configILj256ELj13ELNS0_17block_load_methodE3ELS4_3ELS4_3ELNS0_20block_scan_algorithmE0ELj4294967295EEENS1_25partition_config_selectorILNS1_17partition_subalgoE4EjNS0_10empty_typeEbEEZZNS1_14partition_implILS8_4ELb0ES6_15HIP_vector_typeIjLj2EENS0_17counting_iteratorIjlEEPS9_SG_NS0_5tupleIJPjSI_NS0_16reverse_iteratorISI_EEEEENSH_IJSG_SG_SG_EEES9_SI_JZNS1_25segmented_radix_sort_implINS0_14default_configELb0EPK12hip_bfloat16PSP_PKlPlN2at6native12_GLOBAL__N_18offset_tEEE10hipError_tPvRmT1_PNSt15iterator_traitsIS13_E10value_typeET2_T3_PNS14_IS19_E10value_typeET4_jRbjT5_S1F_jjP12ihipStream_tbEUljE_ZNSN_ISO_Lb0ESR_SS_SU_SV_SZ_EES10_S11_S12_S13_S17_S18_S19_S1C_S1D_jS1E_jS1F_S1F_jjS1H_bEUljE0_EEES10_S11_S12_S19_S1D_S1F_T6_T7_T9_mT8_S1H_bDpT10_ENKUlT_T0_E_clISt17integral_constantIbLb1EES1U_IbLb0EEEEDaS1Q_S1R_EUlS1Q_E_NS1_11comp_targetILNS1_3genE10ELNS1_11target_archE1200ELNS1_3gpuE4ELNS1_3repE0EEENS1_30default_config_static_selectorELNS0_4arch9wavefront6targetE0EEEvS13_.has_recursion, 0
	.set _ZN7rocprim17ROCPRIM_400000_NS6detail17trampoline_kernelINS0_13select_configILj256ELj13ELNS0_17block_load_methodE3ELS4_3ELS4_3ELNS0_20block_scan_algorithmE0ELj4294967295EEENS1_25partition_config_selectorILNS1_17partition_subalgoE4EjNS0_10empty_typeEbEEZZNS1_14partition_implILS8_4ELb0ES6_15HIP_vector_typeIjLj2EENS0_17counting_iteratorIjlEEPS9_SG_NS0_5tupleIJPjSI_NS0_16reverse_iteratorISI_EEEEENSH_IJSG_SG_SG_EEES9_SI_JZNS1_25segmented_radix_sort_implINS0_14default_configELb0EPK12hip_bfloat16PSP_PKlPlN2at6native12_GLOBAL__N_18offset_tEEE10hipError_tPvRmT1_PNSt15iterator_traitsIS13_E10value_typeET2_T3_PNS14_IS19_E10value_typeET4_jRbjT5_S1F_jjP12ihipStream_tbEUljE_ZNSN_ISO_Lb0ESR_SS_SU_SV_SZ_EES10_S11_S12_S13_S17_S18_S19_S1C_S1D_jS1E_jS1F_S1F_jjS1H_bEUljE0_EEES10_S11_S12_S19_S1D_S1F_T6_T7_T9_mT8_S1H_bDpT10_ENKUlT_T0_E_clISt17integral_constantIbLb1EES1U_IbLb0EEEEDaS1Q_S1R_EUlS1Q_E_NS1_11comp_targetILNS1_3genE10ELNS1_11target_archE1200ELNS1_3gpuE4ELNS1_3repE0EEENS1_30default_config_static_selectorELNS0_4arch9wavefront6targetE0EEEvS13_.has_indirect_call, 0
	.section	.AMDGPU.csdata,"",@progbits
; Kernel info:
; codeLenInByte = 0
; TotalNumSgprs: 0
; NumVgprs: 0
; ScratchSize: 0
; MemoryBound: 0
; FloatMode: 240
; IeeeMode: 1
; LDSByteSize: 0 bytes/workgroup (compile time only)
; SGPRBlocks: 0
; VGPRBlocks: 0
; NumSGPRsForWavesPerEU: 1
; NumVGPRsForWavesPerEU: 1
; Occupancy: 16
; WaveLimiterHint : 0
; COMPUTE_PGM_RSRC2:SCRATCH_EN: 0
; COMPUTE_PGM_RSRC2:USER_SGPR: 6
; COMPUTE_PGM_RSRC2:TRAP_HANDLER: 0
; COMPUTE_PGM_RSRC2:TGID_X_EN: 1
; COMPUTE_PGM_RSRC2:TGID_Y_EN: 0
; COMPUTE_PGM_RSRC2:TGID_Z_EN: 0
; COMPUTE_PGM_RSRC2:TIDIG_COMP_CNT: 0
	.section	.text._ZN7rocprim17ROCPRIM_400000_NS6detail17trampoline_kernelINS0_13select_configILj256ELj13ELNS0_17block_load_methodE3ELS4_3ELS4_3ELNS0_20block_scan_algorithmE0ELj4294967295EEENS1_25partition_config_selectorILNS1_17partition_subalgoE4EjNS0_10empty_typeEbEEZZNS1_14partition_implILS8_4ELb0ES6_15HIP_vector_typeIjLj2EENS0_17counting_iteratorIjlEEPS9_SG_NS0_5tupleIJPjSI_NS0_16reverse_iteratorISI_EEEEENSH_IJSG_SG_SG_EEES9_SI_JZNS1_25segmented_radix_sort_implINS0_14default_configELb0EPK12hip_bfloat16PSP_PKlPlN2at6native12_GLOBAL__N_18offset_tEEE10hipError_tPvRmT1_PNSt15iterator_traitsIS13_E10value_typeET2_T3_PNS14_IS19_E10value_typeET4_jRbjT5_S1F_jjP12ihipStream_tbEUljE_ZNSN_ISO_Lb0ESR_SS_SU_SV_SZ_EES10_S11_S12_S13_S17_S18_S19_S1C_S1D_jS1E_jS1F_S1F_jjS1H_bEUljE0_EEES10_S11_S12_S19_S1D_S1F_T6_T7_T9_mT8_S1H_bDpT10_ENKUlT_T0_E_clISt17integral_constantIbLb1EES1U_IbLb0EEEEDaS1Q_S1R_EUlS1Q_E_NS1_11comp_targetILNS1_3genE9ELNS1_11target_archE1100ELNS1_3gpuE3ELNS1_3repE0EEENS1_30default_config_static_selectorELNS0_4arch9wavefront6targetE0EEEvS13_,"axG",@progbits,_ZN7rocprim17ROCPRIM_400000_NS6detail17trampoline_kernelINS0_13select_configILj256ELj13ELNS0_17block_load_methodE3ELS4_3ELS4_3ELNS0_20block_scan_algorithmE0ELj4294967295EEENS1_25partition_config_selectorILNS1_17partition_subalgoE4EjNS0_10empty_typeEbEEZZNS1_14partition_implILS8_4ELb0ES6_15HIP_vector_typeIjLj2EENS0_17counting_iteratorIjlEEPS9_SG_NS0_5tupleIJPjSI_NS0_16reverse_iteratorISI_EEEEENSH_IJSG_SG_SG_EEES9_SI_JZNS1_25segmented_radix_sort_implINS0_14default_configELb0EPK12hip_bfloat16PSP_PKlPlN2at6native12_GLOBAL__N_18offset_tEEE10hipError_tPvRmT1_PNSt15iterator_traitsIS13_E10value_typeET2_T3_PNS14_IS19_E10value_typeET4_jRbjT5_S1F_jjP12ihipStream_tbEUljE_ZNSN_ISO_Lb0ESR_SS_SU_SV_SZ_EES10_S11_S12_S13_S17_S18_S19_S1C_S1D_jS1E_jS1F_S1F_jjS1H_bEUljE0_EEES10_S11_S12_S19_S1D_S1F_T6_T7_T9_mT8_S1H_bDpT10_ENKUlT_T0_E_clISt17integral_constantIbLb1EES1U_IbLb0EEEEDaS1Q_S1R_EUlS1Q_E_NS1_11comp_targetILNS1_3genE9ELNS1_11target_archE1100ELNS1_3gpuE3ELNS1_3repE0EEENS1_30default_config_static_selectorELNS0_4arch9wavefront6targetE0EEEvS13_,comdat
	.globl	_ZN7rocprim17ROCPRIM_400000_NS6detail17trampoline_kernelINS0_13select_configILj256ELj13ELNS0_17block_load_methodE3ELS4_3ELS4_3ELNS0_20block_scan_algorithmE0ELj4294967295EEENS1_25partition_config_selectorILNS1_17partition_subalgoE4EjNS0_10empty_typeEbEEZZNS1_14partition_implILS8_4ELb0ES6_15HIP_vector_typeIjLj2EENS0_17counting_iteratorIjlEEPS9_SG_NS0_5tupleIJPjSI_NS0_16reverse_iteratorISI_EEEEENSH_IJSG_SG_SG_EEES9_SI_JZNS1_25segmented_radix_sort_implINS0_14default_configELb0EPK12hip_bfloat16PSP_PKlPlN2at6native12_GLOBAL__N_18offset_tEEE10hipError_tPvRmT1_PNSt15iterator_traitsIS13_E10value_typeET2_T3_PNS14_IS19_E10value_typeET4_jRbjT5_S1F_jjP12ihipStream_tbEUljE_ZNSN_ISO_Lb0ESR_SS_SU_SV_SZ_EES10_S11_S12_S13_S17_S18_S19_S1C_S1D_jS1E_jS1F_S1F_jjS1H_bEUljE0_EEES10_S11_S12_S19_S1D_S1F_T6_T7_T9_mT8_S1H_bDpT10_ENKUlT_T0_E_clISt17integral_constantIbLb1EES1U_IbLb0EEEEDaS1Q_S1R_EUlS1Q_E_NS1_11comp_targetILNS1_3genE9ELNS1_11target_archE1100ELNS1_3gpuE3ELNS1_3repE0EEENS1_30default_config_static_selectorELNS0_4arch9wavefront6targetE0EEEvS13_ ; -- Begin function _ZN7rocprim17ROCPRIM_400000_NS6detail17trampoline_kernelINS0_13select_configILj256ELj13ELNS0_17block_load_methodE3ELS4_3ELS4_3ELNS0_20block_scan_algorithmE0ELj4294967295EEENS1_25partition_config_selectorILNS1_17partition_subalgoE4EjNS0_10empty_typeEbEEZZNS1_14partition_implILS8_4ELb0ES6_15HIP_vector_typeIjLj2EENS0_17counting_iteratorIjlEEPS9_SG_NS0_5tupleIJPjSI_NS0_16reverse_iteratorISI_EEEEENSH_IJSG_SG_SG_EEES9_SI_JZNS1_25segmented_radix_sort_implINS0_14default_configELb0EPK12hip_bfloat16PSP_PKlPlN2at6native12_GLOBAL__N_18offset_tEEE10hipError_tPvRmT1_PNSt15iterator_traitsIS13_E10value_typeET2_T3_PNS14_IS19_E10value_typeET4_jRbjT5_S1F_jjP12ihipStream_tbEUljE_ZNSN_ISO_Lb0ESR_SS_SU_SV_SZ_EES10_S11_S12_S13_S17_S18_S19_S1C_S1D_jS1E_jS1F_S1F_jjS1H_bEUljE0_EEES10_S11_S12_S19_S1D_S1F_T6_T7_T9_mT8_S1H_bDpT10_ENKUlT_T0_E_clISt17integral_constantIbLb1EES1U_IbLb0EEEEDaS1Q_S1R_EUlS1Q_E_NS1_11comp_targetILNS1_3genE9ELNS1_11target_archE1100ELNS1_3gpuE3ELNS1_3repE0EEENS1_30default_config_static_selectorELNS0_4arch9wavefront6targetE0EEEvS13_
	.p2align	8
	.type	_ZN7rocprim17ROCPRIM_400000_NS6detail17trampoline_kernelINS0_13select_configILj256ELj13ELNS0_17block_load_methodE3ELS4_3ELS4_3ELNS0_20block_scan_algorithmE0ELj4294967295EEENS1_25partition_config_selectorILNS1_17partition_subalgoE4EjNS0_10empty_typeEbEEZZNS1_14partition_implILS8_4ELb0ES6_15HIP_vector_typeIjLj2EENS0_17counting_iteratorIjlEEPS9_SG_NS0_5tupleIJPjSI_NS0_16reverse_iteratorISI_EEEEENSH_IJSG_SG_SG_EEES9_SI_JZNS1_25segmented_radix_sort_implINS0_14default_configELb0EPK12hip_bfloat16PSP_PKlPlN2at6native12_GLOBAL__N_18offset_tEEE10hipError_tPvRmT1_PNSt15iterator_traitsIS13_E10value_typeET2_T3_PNS14_IS19_E10value_typeET4_jRbjT5_S1F_jjP12ihipStream_tbEUljE_ZNSN_ISO_Lb0ESR_SS_SU_SV_SZ_EES10_S11_S12_S13_S17_S18_S19_S1C_S1D_jS1E_jS1F_S1F_jjS1H_bEUljE0_EEES10_S11_S12_S19_S1D_S1F_T6_T7_T9_mT8_S1H_bDpT10_ENKUlT_T0_E_clISt17integral_constantIbLb1EES1U_IbLb0EEEEDaS1Q_S1R_EUlS1Q_E_NS1_11comp_targetILNS1_3genE9ELNS1_11target_archE1100ELNS1_3gpuE3ELNS1_3repE0EEENS1_30default_config_static_selectorELNS0_4arch9wavefront6targetE0EEEvS13_,@function
_ZN7rocprim17ROCPRIM_400000_NS6detail17trampoline_kernelINS0_13select_configILj256ELj13ELNS0_17block_load_methodE3ELS4_3ELS4_3ELNS0_20block_scan_algorithmE0ELj4294967295EEENS1_25partition_config_selectorILNS1_17partition_subalgoE4EjNS0_10empty_typeEbEEZZNS1_14partition_implILS8_4ELb0ES6_15HIP_vector_typeIjLj2EENS0_17counting_iteratorIjlEEPS9_SG_NS0_5tupleIJPjSI_NS0_16reverse_iteratorISI_EEEEENSH_IJSG_SG_SG_EEES9_SI_JZNS1_25segmented_radix_sort_implINS0_14default_configELb0EPK12hip_bfloat16PSP_PKlPlN2at6native12_GLOBAL__N_18offset_tEEE10hipError_tPvRmT1_PNSt15iterator_traitsIS13_E10value_typeET2_T3_PNS14_IS19_E10value_typeET4_jRbjT5_S1F_jjP12ihipStream_tbEUljE_ZNSN_ISO_Lb0ESR_SS_SU_SV_SZ_EES10_S11_S12_S13_S17_S18_S19_S1C_S1D_jS1E_jS1F_S1F_jjS1H_bEUljE0_EEES10_S11_S12_S19_S1D_S1F_T6_T7_T9_mT8_S1H_bDpT10_ENKUlT_T0_E_clISt17integral_constantIbLb1EES1U_IbLb0EEEEDaS1Q_S1R_EUlS1Q_E_NS1_11comp_targetILNS1_3genE9ELNS1_11target_archE1100ELNS1_3gpuE3ELNS1_3repE0EEENS1_30default_config_static_selectorELNS0_4arch9wavefront6targetE0EEEvS13_: ; @_ZN7rocprim17ROCPRIM_400000_NS6detail17trampoline_kernelINS0_13select_configILj256ELj13ELNS0_17block_load_methodE3ELS4_3ELS4_3ELNS0_20block_scan_algorithmE0ELj4294967295EEENS1_25partition_config_selectorILNS1_17partition_subalgoE4EjNS0_10empty_typeEbEEZZNS1_14partition_implILS8_4ELb0ES6_15HIP_vector_typeIjLj2EENS0_17counting_iteratorIjlEEPS9_SG_NS0_5tupleIJPjSI_NS0_16reverse_iteratorISI_EEEEENSH_IJSG_SG_SG_EEES9_SI_JZNS1_25segmented_radix_sort_implINS0_14default_configELb0EPK12hip_bfloat16PSP_PKlPlN2at6native12_GLOBAL__N_18offset_tEEE10hipError_tPvRmT1_PNSt15iterator_traitsIS13_E10value_typeET2_T3_PNS14_IS19_E10value_typeET4_jRbjT5_S1F_jjP12ihipStream_tbEUljE_ZNSN_ISO_Lb0ESR_SS_SU_SV_SZ_EES10_S11_S12_S13_S17_S18_S19_S1C_S1D_jS1E_jS1F_S1F_jjS1H_bEUljE0_EEES10_S11_S12_S19_S1D_S1F_T6_T7_T9_mT8_S1H_bDpT10_ENKUlT_T0_E_clISt17integral_constantIbLb1EES1U_IbLb0EEEEDaS1Q_S1R_EUlS1Q_E_NS1_11comp_targetILNS1_3genE9ELNS1_11target_archE1100ELNS1_3gpuE3ELNS1_3repE0EEENS1_30default_config_static_selectorELNS0_4arch9wavefront6targetE0EEEvS13_
; %bb.0:
	.section	.rodata,"a",@progbits
	.p2align	6, 0x0
	.amdhsa_kernel _ZN7rocprim17ROCPRIM_400000_NS6detail17trampoline_kernelINS0_13select_configILj256ELj13ELNS0_17block_load_methodE3ELS4_3ELS4_3ELNS0_20block_scan_algorithmE0ELj4294967295EEENS1_25partition_config_selectorILNS1_17partition_subalgoE4EjNS0_10empty_typeEbEEZZNS1_14partition_implILS8_4ELb0ES6_15HIP_vector_typeIjLj2EENS0_17counting_iteratorIjlEEPS9_SG_NS0_5tupleIJPjSI_NS0_16reverse_iteratorISI_EEEEENSH_IJSG_SG_SG_EEES9_SI_JZNS1_25segmented_radix_sort_implINS0_14default_configELb0EPK12hip_bfloat16PSP_PKlPlN2at6native12_GLOBAL__N_18offset_tEEE10hipError_tPvRmT1_PNSt15iterator_traitsIS13_E10value_typeET2_T3_PNS14_IS19_E10value_typeET4_jRbjT5_S1F_jjP12ihipStream_tbEUljE_ZNSN_ISO_Lb0ESR_SS_SU_SV_SZ_EES10_S11_S12_S13_S17_S18_S19_S1C_S1D_jS1E_jS1F_S1F_jjS1H_bEUljE0_EEES10_S11_S12_S19_S1D_S1F_T6_T7_T9_mT8_S1H_bDpT10_ENKUlT_T0_E_clISt17integral_constantIbLb1EES1U_IbLb0EEEEDaS1Q_S1R_EUlS1Q_E_NS1_11comp_targetILNS1_3genE9ELNS1_11target_archE1100ELNS1_3gpuE3ELNS1_3repE0EEENS1_30default_config_static_selectorELNS0_4arch9wavefront6targetE0EEEvS13_
		.amdhsa_group_segment_fixed_size 0
		.amdhsa_private_segment_fixed_size 0
		.amdhsa_kernarg_size 176
		.amdhsa_user_sgpr_count 6
		.amdhsa_user_sgpr_private_segment_buffer 1
		.amdhsa_user_sgpr_dispatch_ptr 0
		.amdhsa_user_sgpr_queue_ptr 0
		.amdhsa_user_sgpr_kernarg_segment_ptr 1
		.amdhsa_user_sgpr_dispatch_id 0
		.amdhsa_user_sgpr_flat_scratch_init 0
		.amdhsa_user_sgpr_private_segment_size 0
		.amdhsa_wavefront_size32 1
		.amdhsa_uses_dynamic_stack 0
		.amdhsa_system_sgpr_private_segment_wavefront_offset 0
		.amdhsa_system_sgpr_workgroup_id_x 1
		.amdhsa_system_sgpr_workgroup_id_y 0
		.amdhsa_system_sgpr_workgroup_id_z 0
		.amdhsa_system_sgpr_workgroup_info 0
		.amdhsa_system_vgpr_workitem_id 0
		.amdhsa_next_free_vgpr 1
		.amdhsa_next_free_sgpr 1
		.amdhsa_reserve_vcc 0
		.amdhsa_reserve_flat_scratch 0
		.amdhsa_float_round_mode_32 0
		.amdhsa_float_round_mode_16_64 0
		.amdhsa_float_denorm_mode_32 3
		.amdhsa_float_denorm_mode_16_64 3
		.amdhsa_dx10_clamp 1
		.amdhsa_ieee_mode 1
		.amdhsa_fp16_overflow 0
		.amdhsa_workgroup_processor_mode 1
		.amdhsa_memory_ordered 1
		.amdhsa_forward_progress 1
		.amdhsa_shared_vgpr_count 0
		.amdhsa_exception_fp_ieee_invalid_op 0
		.amdhsa_exception_fp_denorm_src 0
		.amdhsa_exception_fp_ieee_div_zero 0
		.amdhsa_exception_fp_ieee_overflow 0
		.amdhsa_exception_fp_ieee_underflow 0
		.amdhsa_exception_fp_ieee_inexact 0
		.amdhsa_exception_int_div_zero 0
	.end_amdhsa_kernel
	.section	.text._ZN7rocprim17ROCPRIM_400000_NS6detail17trampoline_kernelINS0_13select_configILj256ELj13ELNS0_17block_load_methodE3ELS4_3ELS4_3ELNS0_20block_scan_algorithmE0ELj4294967295EEENS1_25partition_config_selectorILNS1_17partition_subalgoE4EjNS0_10empty_typeEbEEZZNS1_14partition_implILS8_4ELb0ES6_15HIP_vector_typeIjLj2EENS0_17counting_iteratorIjlEEPS9_SG_NS0_5tupleIJPjSI_NS0_16reverse_iteratorISI_EEEEENSH_IJSG_SG_SG_EEES9_SI_JZNS1_25segmented_radix_sort_implINS0_14default_configELb0EPK12hip_bfloat16PSP_PKlPlN2at6native12_GLOBAL__N_18offset_tEEE10hipError_tPvRmT1_PNSt15iterator_traitsIS13_E10value_typeET2_T3_PNS14_IS19_E10value_typeET4_jRbjT5_S1F_jjP12ihipStream_tbEUljE_ZNSN_ISO_Lb0ESR_SS_SU_SV_SZ_EES10_S11_S12_S13_S17_S18_S19_S1C_S1D_jS1E_jS1F_S1F_jjS1H_bEUljE0_EEES10_S11_S12_S19_S1D_S1F_T6_T7_T9_mT8_S1H_bDpT10_ENKUlT_T0_E_clISt17integral_constantIbLb1EES1U_IbLb0EEEEDaS1Q_S1R_EUlS1Q_E_NS1_11comp_targetILNS1_3genE9ELNS1_11target_archE1100ELNS1_3gpuE3ELNS1_3repE0EEENS1_30default_config_static_selectorELNS0_4arch9wavefront6targetE0EEEvS13_,"axG",@progbits,_ZN7rocprim17ROCPRIM_400000_NS6detail17trampoline_kernelINS0_13select_configILj256ELj13ELNS0_17block_load_methodE3ELS4_3ELS4_3ELNS0_20block_scan_algorithmE0ELj4294967295EEENS1_25partition_config_selectorILNS1_17partition_subalgoE4EjNS0_10empty_typeEbEEZZNS1_14partition_implILS8_4ELb0ES6_15HIP_vector_typeIjLj2EENS0_17counting_iteratorIjlEEPS9_SG_NS0_5tupleIJPjSI_NS0_16reverse_iteratorISI_EEEEENSH_IJSG_SG_SG_EEES9_SI_JZNS1_25segmented_radix_sort_implINS0_14default_configELb0EPK12hip_bfloat16PSP_PKlPlN2at6native12_GLOBAL__N_18offset_tEEE10hipError_tPvRmT1_PNSt15iterator_traitsIS13_E10value_typeET2_T3_PNS14_IS19_E10value_typeET4_jRbjT5_S1F_jjP12ihipStream_tbEUljE_ZNSN_ISO_Lb0ESR_SS_SU_SV_SZ_EES10_S11_S12_S13_S17_S18_S19_S1C_S1D_jS1E_jS1F_S1F_jjS1H_bEUljE0_EEES10_S11_S12_S19_S1D_S1F_T6_T7_T9_mT8_S1H_bDpT10_ENKUlT_T0_E_clISt17integral_constantIbLb1EES1U_IbLb0EEEEDaS1Q_S1R_EUlS1Q_E_NS1_11comp_targetILNS1_3genE9ELNS1_11target_archE1100ELNS1_3gpuE3ELNS1_3repE0EEENS1_30default_config_static_selectorELNS0_4arch9wavefront6targetE0EEEvS13_,comdat
.Lfunc_end1997:
	.size	_ZN7rocprim17ROCPRIM_400000_NS6detail17trampoline_kernelINS0_13select_configILj256ELj13ELNS0_17block_load_methodE3ELS4_3ELS4_3ELNS0_20block_scan_algorithmE0ELj4294967295EEENS1_25partition_config_selectorILNS1_17partition_subalgoE4EjNS0_10empty_typeEbEEZZNS1_14partition_implILS8_4ELb0ES6_15HIP_vector_typeIjLj2EENS0_17counting_iteratorIjlEEPS9_SG_NS0_5tupleIJPjSI_NS0_16reverse_iteratorISI_EEEEENSH_IJSG_SG_SG_EEES9_SI_JZNS1_25segmented_radix_sort_implINS0_14default_configELb0EPK12hip_bfloat16PSP_PKlPlN2at6native12_GLOBAL__N_18offset_tEEE10hipError_tPvRmT1_PNSt15iterator_traitsIS13_E10value_typeET2_T3_PNS14_IS19_E10value_typeET4_jRbjT5_S1F_jjP12ihipStream_tbEUljE_ZNSN_ISO_Lb0ESR_SS_SU_SV_SZ_EES10_S11_S12_S13_S17_S18_S19_S1C_S1D_jS1E_jS1F_S1F_jjS1H_bEUljE0_EEES10_S11_S12_S19_S1D_S1F_T6_T7_T9_mT8_S1H_bDpT10_ENKUlT_T0_E_clISt17integral_constantIbLb1EES1U_IbLb0EEEEDaS1Q_S1R_EUlS1Q_E_NS1_11comp_targetILNS1_3genE9ELNS1_11target_archE1100ELNS1_3gpuE3ELNS1_3repE0EEENS1_30default_config_static_selectorELNS0_4arch9wavefront6targetE0EEEvS13_, .Lfunc_end1997-_ZN7rocprim17ROCPRIM_400000_NS6detail17trampoline_kernelINS0_13select_configILj256ELj13ELNS0_17block_load_methodE3ELS4_3ELS4_3ELNS0_20block_scan_algorithmE0ELj4294967295EEENS1_25partition_config_selectorILNS1_17partition_subalgoE4EjNS0_10empty_typeEbEEZZNS1_14partition_implILS8_4ELb0ES6_15HIP_vector_typeIjLj2EENS0_17counting_iteratorIjlEEPS9_SG_NS0_5tupleIJPjSI_NS0_16reverse_iteratorISI_EEEEENSH_IJSG_SG_SG_EEES9_SI_JZNS1_25segmented_radix_sort_implINS0_14default_configELb0EPK12hip_bfloat16PSP_PKlPlN2at6native12_GLOBAL__N_18offset_tEEE10hipError_tPvRmT1_PNSt15iterator_traitsIS13_E10value_typeET2_T3_PNS14_IS19_E10value_typeET4_jRbjT5_S1F_jjP12ihipStream_tbEUljE_ZNSN_ISO_Lb0ESR_SS_SU_SV_SZ_EES10_S11_S12_S13_S17_S18_S19_S1C_S1D_jS1E_jS1F_S1F_jjS1H_bEUljE0_EEES10_S11_S12_S19_S1D_S1F_T6_T7_T9_mT8_S1H_bDpT10_ENKUlT_T0_E_clISt17integral_constantIbLb1EES1U_IbLb0EEEEDaS1Q_S1R_EUlS1Q_E_NS1_11comp_targetILNS1_3genE9ELNS1_11target_archE1100ELNS1_3gpuE3ELNS1_3repE0EEENS1_30default_config_static_selectorELNS0_4arch9wavefront6targetE0EEEvS13_
                                        ; -- End function
	.set _ZN7rocprim17ROCPRIM_400000_NS6detail17trampoline_kernelINS0_13select_configILj256ELj13ELNS0_17block_load_methodE3ELS4_3ELS4_3ELNS0_20block_scan_algorithmE0ELj4294967295EEENS1_25partition_config_selectorILNS1_17partition_subalgoE4EjNS0_10empty_typeEbEEZZNS1_14partition_implILS8_4ELb0ES6_15HIP_vector_typeIjLj2EENS0_17counting_iteratorIjlEEPS9_SG_NS0_5tupleIJPjSI_NS0_16reverse_iteratorISI_EEEEENSH_IJSG_SG_SG_EEES9_SI_JZNS1_25segmented_radix_sort_implINS0_14default_configELb0EPK12hip_bfloat16PSP_PKlPlN2at6native12_GLOBAL__N_18offset_tEEE10hipError_tPvRmT1_PNSt15iterator_traitsIS13_E10value_typeET2_T3_PNS14_IS19_E10value_typeET4_jRbjT5_S1F_jjP12ihipStream_tbEUljE_ZNSN_ISO_Lb0ESR_SS_SU_SV_SZ_EES10_S11_S12_S13_S17_S18_S19_S1C_S1D_jS1E_jS1F_S1F_jjS1H_bEUljE0_EEES10_S11_S12_S19_S1D_S1F_T6_T7_T9_mT8_S1H_bDpT10_ENKUlT_T0_E_clISt17integral_constantIbLb1EES1U_IbLb0EEEEDaS1Q_S1R_EUlS1Q_E_NS1_11comp_targetILNS1_3genE9ELNS1_11target_archE1100ELNS1_3gpuE3ELNS1_3repE0EEENS1_30default_config_static_selectorELNS0_4arch9wavefront6targetE0EEEvS13_.num_vgpr, 0
	.set _ZN7rocprim17ROCPRIM_400000_NS6detail17trampoline_kernelINS0_13select_configILj256ELj13ELNS0_17block_load_methodE3ELS4_3ELS4_3ELNS0_20block_scan_algorithmE0ELj4294967295EEENS1_25partition_config_selectorILNS1_17partition_subalgoE4EjNS0_10empty_typeEbEEZZNS1_14partition_implILS8_4ELb0ES6_15HIP_vector_typeIjLj2EENS0_17counting_iteratorIjlEEPS9_SG_NS0_5tupleIJPjSI_NS0_16reverse_iteratorISI_EEEEENSH_IJSG_SG_SG_EEES9_SI_JZNS1_25segmented_radix_sort_implINS0_14default_configELb0EPK12hip_bfloat16PSP_PKlPlN2at6native12_GLOBAL__N_18offset_tEEE10hipError_tPvRmT1_PNSt15iterator_traitsIS13_E10value_typeET2_T3_PNS14_IS19_E10value_typeET4_jRbjT5_S1F_jjP12ihipStream_tbEUljE_ZNSN_ISO_Lb0ESR_SS_SU_SV_SZ_EES10_S11_S12_S13_S17_S18_S19_S1C_S1D_jS1E_jS1F_S1F_jjS1H_bEUljE0_EEES10_S11_S12_S19_S1D_S1F_T6_T7_T9_mT8_S1H_bDpT10_ENKUlT_T0_E_clISt17integral_constantIbLb1EES1U_IbLb0EEEEDaS1Q_S1R_EUlS1Q_E_NS1_11comp_targetILNS1_3genE9ELNS1_11target_archE1100ELNS1_3gpuE3ELNS1_3repE0EEENS1_30default_config_static_selectorELNS0_4arch9wavefront6targetE0EEEvS13_.num_agpr, 0
	.set _ZN7rocprim17ROCPRIM_400000_NS6detail17trampoline_kernelINS0_13select_configILj256ELj13ELNS0_17block_load_methodE3ELS4_3ELS4_3ELNS0_20block_scan_algorithmE0ELj4294967295EEENS1_25partition_config_selectorILNS1_17partition_subalgoE4EjNS0_10empty_typeEbEEZZNS1_14partition_implILS8_4ELb0ES6_15HIP_vector_typeIjLj2EENS0_17counting_iteratorIjlEEPS9_SG_NS0_5tupleIJPjSI_NS0_16reverse_iteratorISI_EEEEENSH_IJSG_SG_SG_EEES9_SI_JZNS1_25segmented_radix_sort_implINS0_14default_configELb0EPK12hip_bfloat16PSP_PKlPlN2at6native12_GLOBAL__N_18offset_tEEE10hipError_tPvRmT1_PNSt15iterator_traitsIS13_E10value_typeET2_T3_PNS14_IS19_E10value_typeET4_jRbjT5_S1F_jjP12ihipStream_tbEUljE_ZNSN_ISO_Lb0ESR_SS_SU_SV_SZ_EES10_S11_S12_S13_S17_S18_S19_S1C_S1D_jS1E_jS1F_S1F_jjS1H_bEUljE0_EEES10_S11_S12_S19_S1D_S1F_T6_T7_T9_mT8_S1H_bDpT10_ENKUlT_T0_E_clISt17integral_constantIbLb1EES1U_IbLb0EEEEDaS1Q_S1R_EUlS1Q_E_NS1_11comp_targetILNS1_3genE9ELNS1_11target_archE1100ELNS1_3gpuE3ELNS1_3repE0EEENS1_30default_config_static_selectorELNS0_4arch9wavefront6targetE0EEEvS13_.numbered_sgpr, 0
	.set _ZN7rocprim17ROCPRIM_400000_NS6detail17trampoline_kernelINS0_13select_configILj256ELj13ELNS0_17block_load_methodE3ELS4_3ELS4_3ELNS0_20block_scan_algorithmE0ELj4294967295EEENS1_25partition_config_selectorILNS1_17partition_subalgoE4EjNS0_10empty_typeEbEEZZNS1_14partition_implILS8_4ELb0ES6_15HIP_vector_typeIjLj2EENS0_17counting_iteratorIjlEEPS9_SG_NS0_5tupleIJPjSI_NS0_16reverse_iteratorISI_EEEEENSH_IJSG_SG_SG_EEES9_SI_JZNS1_25segmented_radix_sort_implINS0_14default_configELb0EPK12hip_bfloat16PSP_PKlPlN2at6native12_GLOBAL__N_18offset_tEEE10hipError_tPvRmT1_PNSt15iterator_traitsIS13_E10value_typeET2_T3_PNS14_IS19_E10value_typeET4_jRbjT5_S1F_jjP12ihipStream_tbEUljE_ZNSN_ISO_Lb0ESR_SS_SU_SV_SZ_EES10_S11_S12_S13_S17_S18_S19_S1C_S1D_jS1E_jS1F_S1F_jjS1H_bEUljE0_EEES10_S11_S12_S19_S1D_S1F_T6_T7_T9_mT8_S1H_bDpT10_ENKUlT_T0_E_clISt17integral_constantIbLb1EES1U_IbLb0EEEEDaS1Q_S1R_EUlS1Q_E_NS1_11comp_targetILNS1_3genE9ELNS1_11target_archE1100ELNS1_3gpuE3ELNS1_3repE0EEENS1_30default_config_static_selectorELNS0_4arch9wavefront6targetE0EEEvS13_.num_named_barrier, 0
	.set _ZN7rocprim17ROCPRIM_400000_NS6detail17trampoline_kernelINS0_13select_configILj256ELj13ELNS0_17block_load_methodE3ELS4_3ELS4_3ELNS0_20block_scan_algorithmE0ELj4294967295EEENS1_25partition_config_selectorILNS1_17partition_subalgoE4EjNS0_10empty_typeEbEEZZNS1_14partition_implILS8_4ELb0ES6_15HIP_vector_typeIjLj2EENS0_17counting_iteratorIjlEEPS9_SG_NS0_5tupleIJPjSI_NS0_16reverse_iteratorISI_EEEEENSH_IJSG_SG_SG_EEES9_SI_JZNS1_25segmented_radix_sort_implINS0_14default_configELb0EPK12hip_bfloat16PSP_PKlPlN2at6native12_GLOBAL__N_18offset_tEEE10hipError_tPvRmT1_PNSt15iterator_traitsIS13_E10value_typeET2_T3_PNS14_IS19_E10value_typeET4_jRbjT5_S1F_jjP12ihipStream_tbEUljE_ZNSN_ISO_Lb0ESR_SS_SU_SV_SZ_EES10_S11_S12_S13_S17_S18_S19_S1C_S1D_jS1E_jS1F_S1F_jjS1H_bEUljE0_EEES10_S11_S12_S19_S1D_S1F_T6_T7_T9_mT8_S1H_bDpT10_ENKUlT_T0_E_clISt17integral_constantIbLb1EES1U_IbLb0EEEEDaS1Q_S1R_EUlS1Q_E_NS1_11comp_targetILNS1_3genE9ELNS1_11target_archE1100ELNS1_3gpuE3ELNS1_3repE0EEENS1_30default_config_static_selectorELNS0_4arch9wavefront6targetE0EEEvS13_.private_seg_size, 0
	.set _ZN7rocprim17ROCPRIM_400000_NS6detail17trampoline_kernelINS0_13select_configILj256ELj13ELNS0_17block_load_methodE3ELS4_3ELS4_3ELNS0_20block_scan_algorithmE0ELj4294967295EEENS1_25partition_config_selectorILNS1_17partition_subalgoE4EjNS0_10empty_typeEbEEZZNS1_14partition_implILS8_4ELb0ES6_15HIP_vector_typeIjLj2EENS0_17counting_iteratorIjlEEPS9_SG_NS0_5tupleIJPjSI_NS0_16reverse_iteratorISI_EEEEENSH_IJSG_SG_SG_EEES9_SI_JZNS1_25segmented_radix_sort_implINS0_14default_configELb0EPK12hip_bfloat16PSP_PKlPlN2at6native12_GLOBAL__N_18offset_tEEE10hipError_tPvRmT1_PNSt15iterator_traitsIS13_E10value_typeET2_T3_PNS14_IS19_E10value_typeET4_jRbjT5_S1F_jjP12ihipStream_tbEUljE_ZNSN_ISO_Lb0ESR_SS_SU_SV_SZ_EES10_S11_S12_S13_S17_S18_S19_S1C_S1D_jS1E_jS1F_S1F_jjS1H_bEUljE0_EEES10_S11_S12_S19_S1D_S1F_T6_T7_T9_mT8_S1H_bDpT10_ENKUlT_T0_E_clISt17integral_constantIbLb1EES1U_IbLb0EEEEDaS1Q_S1R_EUlS1Q_E_NS1_11comp_targetILNS1_3genE9ELNS1_11target_archE1100ELNS1_3gpuE3ELNS1_3repE0EEENS1_30default_config_static_selectorELNS0_4arch9wavefront6targetE0EEEvS13_.uses_vcc, 0
	.set _ZN7rocprim17ROCPRIM_400000_NS6detail17trampoline_kernelINS0_13select_configILj256ELj13ELNS0_17block_load_methodE3ELS4_3ELS4_3ELNS0_20block_scan_algorithmE0ELj4294967295EEENS1_25partition_config_selectorILNS1_17partition_subalgoE4EjNS0_10empty_typeEbEEZZNS1_14partition_implILS8_4ELb0ES6_15HIP_vector_typeIjLj2EENS0_17counting_iteratorIjlEEPS9_SG_NS0_5tupleIJPjSI_NS0_16reverse_iteratorISI_EEEEENSH_IJSG_SG_SG_EEES9_SI_JZNS1_25segmented_radix_sort_implINS0_14default_configELb0EPK12hip_bfloat16PSP_PKlPlN2at6native12_GLOBAL__N_18offset_tEEE10hipError_tPvRmT1_PNSt15iterator_traitsIS13_E10value_typeET2_T3_PNS14_IS19_E10value_typeET4_jRbjT5_S1F_jjP12ihipStream_tbEUljE_ZNSN_ISO_Lb0ESR_SS_SU_SV_SZ_EES10_S11_S12_S13_S17_S18_S19_S1C_S1D_jS1E_jS1F_S1F_jjS1H_bEUljE0_EEES10_S11_S12_S19_S1D_S1F_T6_T7_T9_mT8_S1H_bDpT10_ENKUlT_T0_E_clISt17integral_constantIbLb1EES1U_IbLb0EEEEDaS1Q_S1R_EUlS1Q_E_NS1_11comp_targetILNS1_3genE9ELNS1_11target_archE1100ELNS1_3gpuE3ELNS1_3repE0EEENS1_30default_config_static_selectorELNS0_4arch9wavefront6targetE0EEEvS13_.uses_flat_scratch, 0
	.set _ZN7rocprim17ROCPRIM_400000_NS6detail17trampoline_kernelINS0_13select_configILj256ELj13ELNS0_17block_load_methodE3ELS4_3ELS4_3ELNS0_20block_scan_algorithmE0ELj4294967295EEENS1_25partition_config_selectorILNS1_17partition_subalgoE4EjNS0_10empty_typeEbEEZZNS1_14partition_implILS8_4ELb0ES6_15HIP_vector_typeIjLj2EENS0_17counting_iteratorIjlEEPS9_SG_NS0_5tupleIJPjSI_NS0_16reverse_iteratorISI_EEEEENSH_IJSG_SG_SG_EEES9_SI_JZNS1_25segmented_radix_sort_implINS0_14default_configELb0EPK12hip_bfloat16PSP_PKlPlN2at6native12_GLOBAL__N_18offset_tEEE10hipError_tPvRmT1_PNSt15iterator_traitsIS13_E10value_typeET2_T3_PNS14_IS19_E10value_typeET4_jRbjT5_S1F_jjP12ihipStream_tbEUljE_ZNSN_ISO_Lb0ESR_SS_SU_SV_SZ_EES10_S11_S12_S13_S17_S18_S19_S1C_S1D_jS1E_jS1F_S1F_jjS1H_bEUljE0_EEES10_S11_S12_S19_S1D_S1F_T6_T7_T9_mT8_S1H_bDpT10_ENKUlT_T0_E_clISt17integral_constantIbLb1EES1U_IbLb0EEEEDaS1Q_S1R_EUlS1Q_E_NS1_11comp_targetILNS1_3genE9ELNS1_11target_archE1100ELNS1_3gpuE3ELNS1_3repE0EEENS1_30default_config_static_selectorELNS0_4arch9wavefront6targetE0EEEvS13_.has_dyn_sized_stack, 0
	.set _ZN7rocprim17ROCPRIM_400000_NS6detail17trampoline_kernelINS0_13select_configILj256ELj13ELNS0_17block_load_methodE3ELS4_3ELS4_3ELNS0_20block_scan_algorithmE0ELj4294967295EEENS1_25partition_config_selectorILNS1_17partition_subalgoE4EjNS0_10empty_typeEbEEZZNS1_14partition_implILS8_4ELb0ES6_15HIP_vector_typeIjLj2EENS0_17counting_iteratorIjlEEPS9_SG_NS0_5tupleIJPjSI_NS0_16reverse_iteratorISI_EEEEENSH_IJSG_SG_SG_EEES9_SI_JZNS1_25segmented_radix_sort_implINS0_14default_configELb0EPK12hip_bfloat16PSP_PKlPlN2at6native12_GLOBAL__N_18offset_tEEE10hipError_tPvRmT1_PNSt15iterator_traitsIS13_E10value_typeET2_T3_PNS14_IS19_E10value_typeET4_jRbjT5_S1F_jjP12ihipStream_tbEUljE_ZNSN_ISO_Lb0ESR_SS_SU_SV_SZ_EES10_S11_S12_S13_S17_S18_S19_S1C_S1D_jS1E_jS1F_S1F_jjS1H_bEUljE0_EEES10_S11_S12_S19_S1D_S1F_T6_T7_T9_mT8_S1H_bDpT10_ENKUlT_T0_E_clISt17integral_constantIbLb1EES1U_IbLb0EEEEDaS1Q_S1R_EUlS1Q_E_NS1_11comp_targetILNS1_3genE9ELNS1_11target_archE1100ELNS1_3gpuE3ELNS1_3repE0EEENS1_30default_config_static_selectorELNS0_4arch9wavefront6targetE0EEEvS13_.has_recursion, 0
	.set _ZN7rocprim17ROCPRIM_400000_NS6detail17trampoline_kernelINS0_13select_configILj256ELj13ELNS0_17block_load_methodE3ELS4_3ELS4_3ELNS0_20block_scan_algorithmE0ELj4294967295EEENS1_25partition_config_selectorILNS1_17partition_subalgoE4EjNS0_10empty_typeEbEEZZNS1_14partition_implILS8_4ELb0ES6_15HIP_vector_typeIjLj2EENS0_17counting_iteratorIjlEEPS9_SG_NS0_5tupleIJPjSI_NS0_16reverse_iteratorISI_EEEEENSH_IJSG_SG_SG_EEES9_SI_JZNS1_25segmented_radix_sort_implINS0_14default_configELb0EPK12hip_bfloat16PSP_PKlPlN2at6native12_GLOBAL__N_18offset_tEEE10hipError_tPvRmT1_PNSt15iterator_traitsIS13_E10value_typeET2_T3_PNS14_IS19_E10value_typeET4_jRbjT5_S1F_jjP12ihipStream_tbEUljE_ZNSN_ISO_Lb0ESR_SS_SU_SV_SZ_EES10_S11_S12_S13_S17_S18_S19_S1C_S1D_jS1E_jS1F_S1F_jjS1H_bEUljE0_EEES10_S11_S12_S19_S1D_S1F_T6_T7_T9_mT8_S1H_bDpT10_ENKUlT_T0_E_clISt17integral_constantIbLb1EES1U_IbLb0EEEEDaS1Q_S1R_EUlS1Q_E_NS1_11comp_targetILNS1_3genE9ELNS1_11target_archE1100ELNS1_3gpuE3ELNS1_3repE0EEENS1_30default_config_static_selectorELNS0_4arch9wavefront6targetE0EEEvS13_.has_indirect_call, 0
	.section	.AMDGPU.csdata,"",@progbits
; Kernel info:
; codeLenInByte = 0
; TotalNumSgprs: 0
; NumVgprs: 0
; ScratchSize: 0
; MemoryBound: 0
; FloatMode: 240
; IeeeMode: 1
; LDSByteSize: 0 bytes/workgroup (compile time only)
; SGPRBlocks: 0
; VGPRBlocks: 0
; NumSGPRsForWavesPerEU: 1
; NumVGPRsForWavesPerEU: 1
; Occupancy: 16
; WaveLimiterHint : 0
; COMPUTE_PGM_RSRC2:SCRATCH_EN: 0
; COMPUTE_PGM_RSRC2:USER_SGPR: 6
; COMPUTE_PGM_RSRC2:TRAP_HANDLER: 0
; COMPUTE_PGM_RSRC2:TGID_X_EN: 1
; COMPUTE_PGM_RSRC2:TGID_Y_EN: 0
; COMPUTE_PGM_RSRC2:TGID_Z_EN: 0
; COMPUTE_PGM_RSRC2:TIDIG_COMP_CNT: 0
	.section	.text._ZN7rocprim17ROCPRIM_400000_NS6detail17trampoline_kernelINS0_13select_configILj256ELj13ELNS0_17block_load_methodE3ELS4_3ELS4_3ELNS0_20block_scan_algorithmE0ELj4294967295EEENS1_25partition_config_selectorILNS1_17partition_subalgoE4EjNS0_10empty_typeEbEEZZNS1_14partition_implILS8_4ELb0ES6_15HIP_vector_typeIjLj2EENS0_17counting_iteratorIjlEEPS9_SG_NS0_5tupleIJPjSI_NS0_16reverse_iteratorISI_EEEEENSH_IJSG_SG_SG_EEES9_SI_JZNS1_25segmented_radix_sort_implINS0_14default_configELb0EPK12hip_bfloat16PSP_PKlPlN2at6native12_GLOBAL__N_18offset_tEEE10hipError_tPvRmT1_PNSt15iterator_traitsIS13_E10value_typeET2_T3_PNS14_IS19_E10value_typeET4_jRbjT5_S1F_jjP12ihipStream_tbEUljE_ZNSN_ISO_Lb0ESR_SS_SU_SV_SZ_EES10_S11_S12_S13_S17_S18_S19_S1C_S1D_jS1E_jS1F_S1F_jjS1H_bEUljE0_EEES10_S11_S12_S19_S1D_S1F_T6_T7_T9_mT8_S1H_bDpT10_ENKUlT_T0_E_clISt17integral_constantIbLb1EES1U_IbLb0EEEEDaS1Q_S1R_EUlS1Q_E_NS1_11comp_targetILNS1_3genE8ELNS1_11target_archE1030ELNS1_3gpuE2ELNS1_3repE0EEENS1_30default_config_static_selectorELNS0_4arch9wavefront6targetE0EEEvS13_,"axG",@progbits,_ZN7rocprim17ROCPRIM_400000_NS6detail17trampoline_kernelINS0_13select_configILj256ELj13ELNS0_17block_load_methodE3ELS4_3ELS4_3ELNS0_20block_scan_algorithmE0ELj4294967295EEENS1_25partition_config_selectorILNS1_17partition_subalgoE4EjNS0_10empty_typeEbEEZZNS1_14partition_implILS8_4ELb0ES6_15HIP_vector_typeIjLj2EENS0_17counting_iteratorIjlEEPS9_SG_NS0_5tupleIJPjSI_NS0_16reverse_iteratorISI_EEEEENSH_IJSG_SG_SG_EEES9_SI_JZNS1_25segmented_radix_sort_implINS0_14default_configELb0EPK12hip_bfloat16PSP_PKlPlN2at6native12_GLOBAL__N_18offset_tEEE10hipError_tPvRmT1_PNSt15iterator_traitsIS13_E10value_typeET2_T3_PNS14_IS19_E10value_typeET4_jRbjT5_S1F_jjP12ihipStream_tbEUljE_ZNSN_ISO_Lb0ESR_SS_SU_SV_SZ_EES10_S11_S12_S13_S17_S18_S19_S1C_S1D_jS1E_jS1F_S1F_jjS1H_bEUljE0_EEES10_S11_S12_S19_S1D_S1F_T6_T7_T9_mT8_S1H_bDpT10_ENKUlT_T0_E_clISt17integral_constantIbLb1EES1U_IbLb0EEEEDaS1Q_S1R_EUlS1Q_E_NS1_11comp_targetILNS1_3genE8ELNS1_11target_archE1030ELNS1_3gpuE2ELNS1_3repE0EEENS1_30default_config_static_selectorELNS0_4arch9wavefront6targetE0EEEvS13_,comdat
	.globl	_ZN7rocprim17ROCPRIM_400000_NS6detail17trampoline_kernelINS0_13select_configILj256ELj13ELNS0_17block_load_methodE3ELS4_3ELS4_3ELNS0_20block_scan_algorithmE0ELj4294967295EEENS1_25partition_config_selectorILNS1_17partition_subalgoE4EjNS0_10empty_typeEbEEZZNS1_14partition_implILS8_4ELb0ES6_15HIP_vector_typeIjLj2EENS0_17counting_iteratorIjlEEPS9_SG_NS0_5tupleIJPjSI_NS0_16reverse_iteratorISI_EEEEENSH_IJSG_SG_SG_EEES9_SI_JZNS1_25segmented_radix_sort_implINS0_14default_configELb0EPK12hip_bfloat16PSP_PKlPlN2at6native12_GLOBAL__N_18offset_tEEE10hipError_tPvRmT1_PNSt15iterator_traitsIS13_E10value_typeET2_T3_PNS14_IS19_E10value_typeET4_jRbjT5_S1F_jjP12ihipStream_tbEUljE_ZNSN_ISO_Lb0ESR_SS_SU_SV_SZ_EES10_S11_S12_S13_S17_S18_S19_S1C_S1D_jS1E_jS1F_S1F_jjS1H_bEUljE0_EEES10_S11_S12_S19_S1D_S1F_T6_T7_T9_mT8_S1H_bDpT10_ENKUlT_T0_E_clISt17integral_constantIbLb1EES1U_IbLb0EEEEDaS1Q_S1R_EUlS1Q_E_NS1_11comp_targetILNS1_3genE8ELNS1_11target_archE1030ELNS1_3gpuE2ELNS1_3repE0EEENS1_30default_config_static_selectorELNS0_4arch9wavefront6targetE0EEEvS13_ ; -- Begin function _ZN7rocprim17ROCPRIM_400000_NS6detail17trampoline_kernelINS0_13select_configILj256ELj13ELNS0_17block_load_methodE3ELS4_3ELS4_3ELNS0_20block_scan_algorithmE0ELj4294967295EEENS1_25partition_config_selectorILNS1_17partition_subalgoE4EjNS0_10empty_typeEbEEZZNS1_14partition_implILS8_4ELb0ES6_15HIP_vector_typeIjLj2EENS0_17counting_iteratorIjlEEPS9_SG_NS0_5tupleIJPjSI_NS0_16reverse_iteratorISI_EEEEENSH_IJSG_SG_SG_EEES9_SI_JZNS1_25segmented_radix_sort_implINS0_14default_configELb0EPK12hip_bfloat16PSP_PKlPlN2at6native12_GLOBAL__N_18offset_tEEE10hipError_tPvRmT1_PNSt15iterator_traitsIS13_E10value_typeET2_T3_PNS14_IS19_E10value_typeET4_jRbjT5_S1F_jjP12ihipStream_tbEUljE_ZNSN_ISO_Lb0ESR_SS_SU_SV_SZ_EES10_S11_S12_S13_S17_S18_S19_S1C_S1D_jS1E_jS1F_S1F_jjS1H_bEUljE0_EEES10_S11_S12_S19_S1D_S1F_T6_T7_T9_mT8_S1H_bDpT10_ENKUlT_T0_E_clISt17integral_constantIbLb1EES1U_IbLb0EEEEDaS1Q_S1R_EUlS1Q_E_NS1_11comp_targetILNS1_3genE8ELNS1_11target_archE1030ELNS1_3gpuE2ELNS1_3repE0EEENS1_30default_config_static_selectorELNS0_4arch9wavefront6targetE0EEEvS13_
	.p2align	8
	.type	_ZN7rocprim17ROCPRIM_400000_NS6detail17trampoline_kernelINS0_13select_configILj256ELj13ELNS0_17block_load_methodE3ELS4_3ELS4_3ELNS0_20block_scan_algorithmE0ELj4294967295EEENS1_25partition_config_selectorILNS1_17partition_subalgoE4EjNS0_10empty_typeEbEEZZNS1_14partition_implILS8_4ELb0ES6_15HIP_vector_typeIjLj2EENS0_17counting_iteratorIjlEEPS9_SG_NS0_5tupleIJPjSI_NS0_16reverse_iteratorISI_EEEEENSH_IJSG_SG_SG_EEES9_SI_JZNS1_25segmented_radix_sort_implINS0_14default_configELb0EPK12hip_bfloat16PSP_PKlPlN2at6native12_GLOBAL__N_18offset_tEEE10hipError_tPvRmT1_PNSt15iterator_traitsIS13_E10value_typeET2_T3_PNS14_IS19_E10value_typeET4_jRbjT5_S1F_jjP12ihipStream_tbEUljE_ZNSN_ISO_Lb0ESR_SS_SU_SV_SZ_EES10_S11_S12_S13_S17_S18_S19_S1C_S1D_jS1E_jS1F_S1F_jjS1H_bEUljE0_EEES10_S11_S12_S19_S1D_S1F_T6_T7_T9_mT8_S1H_bDpT10_ENKUlT_T0_E_clISt17integral_constantIbLb1EES1U_IbLb0EEEEDaS1Q_S1R_EUlS1Q_E_NS1_11comp_targetILNS1_3genE8ELNS1_11target_archE1030ELNS1_3gpuE2ELNS1_3repE0EEENS1_30default_config_static_selectorELNS0_4arch9wavefront6targetE0EEEvS13_,@function
_ZN7rocprim17ROCPRIM_400000_NS6detail17trampoline_kernelINS0_13select_configILj256ELj13ELNS0_17block_load_methodE3ELS4_3ELS4_3ELNS0_20block_scan_algorithmE0ELj4294967295EEENS1_25partition_config_selectorILNS1_17partition_subalgoE4EjNS0_10empty_typeEbEEZZNS1_14partition_implILS8_4ELb0ES6_15HIP_vector_typeIjLj2EENS0_17counting_iteratorIjlEEPS9_SG_NS0_5tupleIJPjSI_NS0_16reverse_iteratorISI_EEEEENSH_IJSG_SG_SG_EEES9_SI_JZNS1_25segmented_radix_sort_implINS0_14default_configELb0EPK12hip_bfloat16PSP_PKlPlN2at6native12_GLOBAL__N_18offset_tEEE10hipError_tPvRmT1_PNSt15iterator_traitsIS13_E10value_typeET2_T3_PNS14_IS19_E10value_typeET4_jRbjT5_S1F_jjP12ihipStream_tbEUljE_ZNSN_ISO_Lb0ESR_SS_SU_SV_SZ_EES10_S11_S12_S13_S17_S18_S19_S1C_S1D_jS1E_jS1F_S1F_jjS1H_bEUljE0_EEES10_S11_S12_S19_S1D_S1F_T6_T7_T9_mT8_S1H_bDpT10_ENKUlT_T0_E_clISt17integral_constantIbLb1EES1U_IbLb0EEEEDaS1Q_S1R_EUlS1Q_E_NS1_11comp_targetILNS1_3genE8ELNS1_11target_archE1030ELNS1_3gpuE2ELNS1_3repE0EEENS1_30default_config_static_selectorELNS0_4arch9wavefront6targetE0EEEvS13_: ; @_ZN7rocprim17ROCPRIM_400000_NS6detail17trampoline_kernelINS0_13select_configILj256ELj13ELNS0_17block_load_methodE3ELS4_3ELS4_3ELNS0_20block_scan_algorithmE0ELj4294967295EEENS1_25partition_config_selectorILNS1_17partition_subalgoE4EjNS0_10empty_typeEbEEZZNS1_14partition_implILS8_4ELb0ES6_15HIP_vector_typeIjLj2EENS0_17counting_iteratorIjlEEPS9_SG_NS0_5tupleIJPjSI_NS0_16reverse_iteratorISI_EEEEENSH_IJSG_SG_SG_EEES9_SI_JZNS1_25segmented_radix_sort_implINS0_14default_configELb0EPK12hip_bfloat16PSP_PKlPlN2at6native12_GLOBAL__N_18offset_tEEE10hipError_tPvRmT1_PNSt15iterator_traitsIS13_E10value_typeET2_T3_PNS14_IS19_E10value_typeET4_jRbjT5_S1F_jjP12ihipStream_tbEUljE_ZNSN_ISO_Lb0ESR_SS_SU_SV_SZ_EES10_S11_S12_S13_S17_S18_S19_S1C_S1D_jS1E_jS1F_S1F_jjS1H_bEUljE0_EEES10_S11_S12_S19_S1D_S1F_T6_T7_T9_mT8_S1H_bDpT10_ENKUlT_T0_E_clISt17integral_constantIbLb1EES1U_IbLb0EEEEDaS1Q_S1R_EUlS1Q_E_NS1_11comp_targetILNS1_3genE8ELNS1_11target_archE1030ELNS1_3gpuE2ELNS1_3repE0EEENS1_30default_config_static_selectorELNS0_4arch9wavefront6targetE0EEEvS13_
; %bb.0:
	s_endpgm
	.section	.rodata,"a",@progbits
	.p2align	6, 0x0
	.amdhsa_kernel _ZN7rocprim17ROCPRIM_400000_NS6detail17trampoline_kernelINS0_13select_configILj256ELj13ELNS0_17block_load_methodE3ELS4_3ELS4_3ELNS0_20block_scan_algorithmE0ELj4294967295EEENS1_25partition_config_selectorILNS1_17partition_subalgoE4EjNS0_10empty_typeEbEEZZNS1_14partition_implILS8_4ELb0ES6_15HIP_vector_typeIjLj2EENS0_17counting_iteratorIjlEEPS9_SG_NS0_5tupleIJPjSI_NS0_16reverse_iteratorISI_EEEEENSH_IJSG_SG_SG_EEES9_SI_JZNS1_25segmented_radix_sort_implINS0_14default_configELb0EPK12hip_bfloat16PSP_PKlPlN2at6native12_GLOBAL__N_18offset_tEEE10hipError_tPvRmT1_PNSt15iterator_traitsIS13_E10value_typeET2_T3_PNS14_IS19_E10value_typeET4_jRbjT5_S1F_jjP12ihipStream_tbEUljE_ZNSN_ISO_Lb0ESR_SS_SU_SV_SZ_EES10_S11_S12_S13_S17_S18_S19_S1C_S1D_jS1E_jS1F_S1F_jjS1H_bEUljE0_EEES10_S11_S12_S19_S1D_S1F_T6_T7_T9_mT8_S1H_bDpT10_ENKUlT_T0_E_clISt17integral_constantIbLb1EES1U_IbLb0EEEEDaS1Q_S1R_EUlS1Q_E_NS1_11comp_targetILNS1_3genE8ELNS1_11target_archE1030ELNS1_3gpuE2ELNS1_3repE0EEENS1_30default_config_static_selectorELNS0_4arch9wavefront6targetE0EEEvS13_
		.amdhsa_group_segment_fixed_size 0
		.amdhsa_private_segment_fixed_size 0
		.amdhsa_kernarg_size 176
		.amdhsa_user_sgpr_count 6
		.amdhsa_user_sgpr_private_segment_buffer 1
		.amdhsa_user_sgpr_dispatch_ptr 0
		.amdhsa_user_sgpr_queue_ptr 0
		.amdhsa_user_sgpr_kernarg_segment_ptr 1
		.amdhsa_user_sgpr_dispatch_id 0
		.amdhsa_user_sgpr_flat_scratch_init 0
		.amdhsa_user_sgpr_private_segment_size 0
		.amdhsa_wavefront_size32 1
		.amdhsa_uses_dynamic_stack 0
		.amdhsa_system_sgpr_private_segment_wavefront_offset 0
		.amdhsa_system_sgpr_workgroup_id_x 1
		.amdhsa_system_sgpr_workgroup_id_y 0
		.amdhsa_system_sgpr_workgroup_id_z 0
		.amdhsa_system_sgpr_workgroup_info 0
		.amdhsa_system_vgpr_workitem_id 0
		.amdhsa_next_free_vgpr 1
		.amdhsa_next_free_sgpr 1
		.amdhsa_reserve_vcc 0
		.amdhsa_reserve_flat_scratch 0
		.amdhsa_float_round_mode_32 0
		.amdhsa_float_round_mode_16_64 0
		.amdhsa_float_denorm_mode_32 3
		.amdhsa_float_denorm_mode_16_64 3
		.amdhsa_dx10_clamp 1
		.amdhsa_ieee_mode 1
		.amdhsa_fp16_overflow 0
		.amdhsa_workgroup_processor_mode 1
		.amdhsa_memory_ordered 1
		.amdhsa_forward_progress 1
		.amdhsa_shared_vgpr_count 0
		.amdhsa_exception_fp_ieee_invalid_op 0
		.amdhsa_exception_fp_denorm_src 0
		.amdhsa_exception_fp_ieee_div_zero 0
		.amdhsa_exception_fp_ieee_overflow 0
		.amdhsa_exception_fp_ieee_underflow 0
		.amdhsa_exception_fp_ieee_inexact 0
		.amdhsa_exception_int_div_zero 0
	.end_amdhsa_kernel
	.section	.text._ZN7rocprim17ROCPRIM_400000_NS6detail17trampoline_kernelINS0_13select_configILj256ELj13ELNS0_17block_load_methodE3ELS4_3ELS4_3ELNS0_20block_scan_algorithmE0ELj4294967295EEENS1_25partition_config_selectorILNS1_17partition_subalgoE4EjNS0_10empty_typeEbEEZZNS1_14partition_implILS8_4ELb0ES6_15HIP_vector_typeIjLj2EENS0_17counting_iteratorIjlEEPS9_SG_NS0_5tupleIJPjSI_NS0_16reverse_iteratorISI_EEEEENSH_IJSG_SG_SG_EEES9_SI_JZNS1_25segmented_radix_sort_implINS0_14default_configELb0EPK12hip_bfloat16PSP_PKlPlN2at6native12_GLOBAL__N_18offset_tEEE10hipError_tPvRmT1_PNSt15iterator_traitsIS13_E10value_typeET2_T3_PNS14_IS19_E10value_typeET4_jRbjT5_S1F_jjP12ihipStream_tbEUljE_ZNSN_ISO_Lb0ESR_SS_SU_SV_SZ_EES10_S11_S12_S13_S17_S18_S19_S1C_S1D_jS1E_jS1F_S1F_jjS1H_bEUljE0_EEES10_S11_S12_S19_S1D_S1F_T6_T7_T9_mT8_S1H_bDpT10_ENKUlT_T0_E_clISt17integral_constantIbLb1EES1U_IbLb0EEEEDaS1Q_S1R_EUlS1Q_E_NS1_11comp_targetILNS1_3genE8ELNS1_11target_archE1030ELNS1_3gpuE2ELNS1_3repE0EEENS1_30default_config_static_selectorELNS0_4arch9wavefront6targetE0EEEvS13_,"axG",@progbits,_ZN7rocprim17ROCPRIM_400000_NS6detail17trampoline_kernelINS0_13select_configILj256ELj13ELNS0_17block_load_methodE3ELS4_3ELS4_3ELNS0_20block_scan_algorithmE0ELj4294967295EEENS1_25partition_config_selectorILNS1_17partition_subalgoE4EjNS0_10empty_typeEbEEZZNS1_14partition_implILS8_4ELb0ES6_15HIP_vector_typeIjLj2EENS0_17counting_iteratorIjlEEPS9_SG_NS0_5tupleIJPjSI_NS0_16reverse_iteratorISI_EEEEENSH_IJSG_SG_SG_EEES9_SI_JZNS1_25segmented_radix_sort_implINS0_14default_configELb0EPK12hip_bfloat16PSP_PKlPlN2at6native12_GLOBAL__N_18offset_tEEE10hipError_tPvRmT1_PNSt15iterator_traitsIS13_E10value_typeET2_T3_PNS14_IS19_E10value_typeET4_jRbjT5_S1F_jjP12ihipStream_tbEUljE_ZNSN_ISO_Lb0ESR_SS_SU_SV_SZ_EES10_S11_S12_S13_S17_S18_S19_S1C_S1D_jS1E_jS1F_S1F_jjS1H_bEUljE0_EEES10_S11_S12_S19_S1D_S1F_T6_T7_T9_mT8_S1H_bDpT10_ENKUlT_T0_E_clISt17integral_constantIbLb1EES1U_IbLb0EEEEDaS1Q_S1R_EUlS1Q_E_NS1_11comp_targetILNS1_3genE8ELNS1_11target_archE1030ELNS1_3gpuE2ELNS1_3repE0EEENS1_30default_config_static_selectorELNS0_4arch9wavefront6targetE0EEEvS13_,comdat
.Lfunc_end1998:
	.size	_ZN7rocprim17ROCPRIM_400000_NS6detail17trampoline_kernelINS0_13select_configILj256ELj13ELNS0_17block_load_methodE3ELS4_3ELS4_3ELNS0_20block_scan_algorithmE0ELj4294967295EEENS1_25partition_config_selectorILNS1_17partition_subalgoE4EjNS0_10empty_typeEbEEZZNS1_14partition_implILS8_4ELb0ES6_15HIP_vector_typeIjLj2EENS0_17counting_iteratorIjlEEPS9_SG_NS0_5tupleIJPjSI_NS0_16reverse_iteratorISI_EEEEENSH_IJSG_SG_SG_EEES9_SI_JZNS1_25segmented_radix_sort_implINS0_14default_configELb0EPK12hip_bfloat16PSP_PKlPlN2at6native12_GLOBAL__N_18offset_tEEE10hipError_tPvRmT1_PNSt15iterator_traitsIS13_E10value_typeET2_T3_PNS14_IS19_E10value_typeET4_jRbjT5_S1F_jjP12ihipStream_tbEUljE_ZNSN_ISO_Lb0ESR_SS_SU_SV_SZ_EES10_S11_S12_S13_S17_S18_S19_S1C_S1D_jS1E_jS1F_S1F_jjS1H_bEUljE0_EEES10_S11_S12_S19_S1D_S1F_T6_T7_T9_mT8_S1H_bDpT10_ENKUlT_T0_E_clISt17integral_constantIbLb1EES1U_IbLb0EEEEDaS1Q_S1R_EUlS1Q_E_NS1_11comp_targetILNS1_3genE8ELNS1_11target_archE1030ELNS1_3gpuE2ELNS1_3repE0EEENS1_30default_config_static_selectorELNS0_4arch9wavefront6targetE0EEEvS13_, .Lfunc_end1998-_ZN7rocprim17ROCPRIM_400000_NS6detail17trampoline_kernelINS0_13select_configILj256ELj13ELNS0_17block_load_methodE3ELS4_3ELS4_3ELNS0_20block_scan_algorithmE0ELj4294967295EEENS1_25partition_config_selectorILNS1_17partition_subalgoE4EjNS0_10empty_typeEbEEZZNS1_14partition_implILS8_4ELb0ES6_15HIP_vector_typeIjLj2EENS0_17counting_iteratorIjlEEPS9_SG_NS0_5tupleIJPjSI_NS0_16reverse_iteratorISI_EEEEENSH_IJSG_SG_SG_EEES9_SI_JZNS1_25segmented_radix_sort_implINS0_14default_configELb0EPK12hip_bfloat16PSP_PKlPlN2at6native12_GLOBAL__N_18offset_tEEE10hipError_tPvRmT1_PNSt15iterator_traitsIS13_E10value_typeET2_T3_PNS14_IS19_E10value_typeET4_jRbjT5_S1F_jjP12ihipStream_tbEUljE_ZNSN_ISO_Lb0ESR_SS_SU_SV_SZ_EES10_S11_S12_S13_S17_S18_S19_S1C_S1D_jS1E_jS1F_S1F_jjS1H_bEUljE0_EEES10_S11_S12_S19_S1D_S1F_T6_T7_T9_mT8_S1H_bDpT10_ENKUlT_T0_E_clISt17integral_constantIbLb1EES1U_IbLb0EEEEDaS1Q_S1R_EUlS1Q_E_NS1_11comp_targetILNS1_3genE8ELNS1_11target_archE1030ELNS1_3gpuE2ELNS1_3repE0EEENS1_30default_config_static_selectorELNS0_4arch9wavefront6targetE0EEEvS13_
                                        ; -- End function
	.set _ZN7rocprim17ROCPRIM_400000_NS6detail17trampoline_kernelINS0_13select_configILj256ELj13ELNS0_17block_load_methodE3ELS4_3ELS4_3ELNS0_20block_scan_algorithmE0ELj4294967295EEENS1_25partition_config_selectorILNS1_17partition_subalgoE4EjNS0_10empty_typeEbEEZZNS1_14partition_implILS8_4ELb0ES6_15HIP_vector_typeIjLj2EENS0_17counting_iteratorIjlEEPS9_SG_NS0_5tupleIJPjSI_NS0_16reverse_iteratorISI_EEEEENSH_IJSG_SG_SG_EEES9_SI_JZNS1_25segmented_radix_sort_implINS0_14default_configELb0EPK12hip_bfloat16PSP_PKlPlN2at6native12_GLOBAL__N_18offset_tEEE10hipError_tPvRmT1_PNSt15iterator_traitsIS13_E10value_typeET2_T3_PNS14_IS19_E10value_typeET4_jRbjT5_S1F_jjP12ihipStream_tbEUljE_ZNSN_ISO_Lb0ESR_SS_SU_SV_SZ_EES10_S11_S12_S13_S17_S18_S19_S1C_S1D_jS1E_jS1F_S1F_jjS1H_bEUljE0_EEES10_S11_S12_S19_S1D_S1F_T6_T7_T9_mT8_S1H_bDpT10_ENKUlT_T0_E_clISt17integral_constantIbLb1EES1U_IbLb0EEEEDaS1Q_S1R_EUlS1Q_E_NS1_11comp_targetILNS1_3genE8ELNS1_11target_archE1030ELNS1_3gpuE2ELNS1_3repE0EEENS1_30default_config_static_selectorELNS0_4arch9wavefront6targetE0EEEvS13_.num_vgpr, 0
	.set _ZN7rocprim17ROCPRIM_400000_NS6detail17trampoline_kernelINS0_13select_configILj256ELj13ELNS0_17block_load_methodE3ELS4_3ELS4_3ELNS0_20block_scan_algorithmE0ELj4294967295EEENS1_25partition_config_selectorILNS1_17partition_subalgoE4EjNS0_10empty_typeEbEEZZNS1_14partition_implILS8_4ELb0ES6_15HIP_vector_typeIjLj2EENS0_17counting_iteratorIjlEEPS9_SG_NS0_5tupleIJPjSI_NS0_16reverse_iteratorISI_EEEEENSH_IJSG_SG_SG_EEES9_SI_JZNS1_25segmented_radix_sort_implINS0_14default_configELb0EPK12hip_bfloat16PSP_PKlPlN2at6native12_GLOBAL__N_18offset_tEEE10hipError_tPvRmT1_PNSt15iterator_traitsIS13_E10value_typeET2_T3_PNS14_IS19_E10value_typeET4_jRbjT5_S1F_jjP12ihipStream_tbEUljE_ZNSN_ISO_Lb0ESR_SS_SU_SV_SZ_EES10_S11_S12_S13_S17_S18_S19_S1C_S1D_jS1E_jS1F_S1F_jjS1H_bEUljE0_EEES10_S11_S12_S19_S1D_S1F_T6_T7_T9_mT8_S1H_bDpT10_ENKUlT_T0_E_clISt17integral_constantIbLb1EES1U_IbLb0EEEEDaS1Q_S1R_EUlS1Q_E_NS1_11comp_targetILNS1_3genE8ELNS1_11target_archE1030ELNS1_3gpuE2ELNS1_3repE0EEENS1_30default_config_static_selectorELNS0_4arch9wavefront6targetE0EEEvS13_.num_agpr, 0
	.set _ZN7rocprim17ROCPRIM_400000_NS6detail17trampoline_kernelINS0_13select_configILj256ELj13ELNS0_17block_load_methodE3ELS4_3ELS4_3ELNS0_20block_scan_algorithmE0ELj4294967295EEENS1_25partition_config_selectorILNS1_17partition_subalgoE4EjNS0_10empty_typeEbEEZZNS1_14partition_implILS8_4ELb0ES6_15HIP_vector_typeIjLj2EENS0_17counting_iteratorIjlEEPS9_SG_NS0_5tupleIJPjSI_NS0_16reverse_iteratorISI_EEEEENSH_IJSG_SG_SG_EEES9_SI_JZNS1_25segmented_radix_sort_implINS0_14default_configELb0EPK12hip_bfloat16PSP_PKlPlN2at6native12_GLOBAL__N_18offset_tEEE10hipError_tPvRmT1_PNSt15iterator_traitsIS13_E10value_typeET2_T3_PNS14_IS19_E10value_typeET4_jRbjT5_S1F_jjP12ihipStream_tbEUljE_ZNSN_ISO_Lb0ESR_SS_SU_SV_SZ_EES10_S11_S12_S13_S17_S18_S19_S1C_S1D_jS1E_jS1F_S1F_jjS1H_bEUljE0_EEES10_S11_S12_S19_S1D_S1F_T6_T7_T9_mT8_S1H_bDpT10_ENKUlT_T0_E_clISt17integral_constantIbLb1EES1U_IbLb0EEEEDaS1Q_S1R_EUlS1Q_E_NS1_11comp_targetILNS1_3genE8ELNS1_11target_archE1030ELNS1_3gpuE2ELNS1_3repE0EEENS1_30default_config_static_selectorELNS0_4arch9wavefront6targetE0EEEvS13_.numbered_sgpr, 0
	.set _ZN7rocprim17ROCPRIM_400000_NS6detail17trampoline_kernelINS0_13select_configILj256ELj13ELNS0_17block_load_methodE3ELS4_3ELS4_3ELNS0_20block_scan_algorithmE0ELj4294967295EEENS1_25partition_config_selectorILNS1_17partition_subalgoE4EjNS0_10empty_typeEbEEZZNS1_14partition_implILS8_4ELb0ES6_15HIP_vector_typeIjLj2EENS0_17counting_iteratorIjlEEPS9_SG_NS0_5tupleIJPjSI_NS0_16reverse_iteratorISI_EEEEENSH_IJSG_SG_SG_EEES9_SI_JZNS1_25segmented_radix_sort_implINS0_14default_configELb0EPK12hip_bfloat16PSP_PKlPlN2at6native12_GLOBAL__N_18offset_tEEE10hipError_tPvRmT1_PNSt15iterator_traitsIS13_E10value_typeET2_T3_PNS14_IS19_E10value_typeET4_jRbjT5_S1F_jjP12ihipStream_tbEUljE_ZNSN_ISO_Lb0ESR_SS_SU_SV_SZ_EES10_S11_S12_S13_S17_S18_S19_S1C_S1D_jS1E_jS1F_S1F_jjS1H_bEUljE0_EEES10_S11_S12_S19_S1D_S1F_T6_T7_T9_mT8_S1H_bDpT10_ENKUlT_T0_E_clISt17integral_constantIbLb1EES1U_IbLb0EEEEDaS1Q_S1R_EUlS1Q_E_NS1_11comp_targetILNS1_3genE8ELNS1_11target_archE1030ELNS1_3gpuE2ELNS1_3repE0EEENS1_30default_config_static_selectorELNS0_4arch9wavefront6targetE0EEEvS13_.num_named_barrier, 0
	.set _ZN7rocprim17ROCPRIM_400000_NS6detail17trampoline_kernelINS0_13select_configILj256ELj13ELNS0_17block_load_methodE3ELS4_3ELS4_3ELNS0_20block_scan_algorithmE0ELj4294967295EEENS1_25partition_config_selectorILNS1_17partition_subalgoE4EjNS0_10empty_typeEbEEZZNS1_14partition_implILS8_4ELb0ES6_15HIP_vector_typeIjLj2EENS0_17counting_iteratorIjlEEPS9_SG_NS0_5tupleIJPjSI_NS0_16reverse_iteratorISI_EEEEENSH_IJSG_SG_SG_EEES9_SI_JZNS1_25segmented_radix_sort_implINS0_14default_configELb0EPK12hip_bfloat16PSP_PKlPlN2at6native12_GLOBAL__N_18offset_tEEE10hipError_tPvRmT1_PNSt15iterator_traitsIS13_E10value_typeET2_T3_PNS14_IS19_E10value_typeET4_jRbjT5_S1F_jjP12ihipStream_tbEUljE_ZNSN_ISO_Lb0ESR_SS_SU_SV_SZ_EES10_S11_S12_S13_S17_S18_S19_S1C_S1D_jS1E_jS1F_S1F_jjS1H_bEUljE0_EEES10_S11_S12_S19_S1D_S1F_T6_T7_T9_mT8_S1H_bDpT10_ENKUlT_T0_E_clISt17integral_constantIbLb1EES1U_IbLb0EEEEDaS1Q_S1R_EUlS1Q_E_NS1_11comp_targetILNS1_3genE8ELNS1_11target_archE1030ELNS1_3gpuE2ELNS1_3repE0EEENS1_30default_config_static_selectorELNS0_4arch9wavefront6targetE0EEEvS13_.private_seg_size, 0
	.set _ZN7rocprim17ROCPRIM_400000_NS6detail17trampoline_kernelINS0_13select_configILj256ELj13ELNS0_17block_load_methodE3ELS4_3ELS4_3ELNS0_20block_scan_algorithmE0ELj4294967295EEENS1_25partition_config_selectorILNS1_17partition_subalgoE4EjNS0_10empty_typeEbEEZZNS1_14partition_implILS8_4ELb0ES6_15HIP_vector_typeIjLj2EENS0_17counting_iteratorIjlEEPS9_SG_NS0_5tupleIJPjSI_NS0_16reverse_iteratorISI_EEEEENSH_IJSG_SG_SG_EEES9_SI_JZNS1_25segmented_radix_sort_implINS0_14default_configELb0EPK12hip_bfloat16PSP_PKlPlN2at6native12_GLOBAL__N_18offset_tEEE10hipError_tPvRmT1_PNSt15iterator_traitsIS13_E10value_typeET2_T3_PNS14_IS19_E10value_typeET4_jRbjT5_S1F_jjP12ihipStream_tbEUljE_ZNSN_ISO_Lb0ESR_SS_SU_SV_SZ_EES10_S11_S12_S13_S17_S18_S19_S1C_S1D_jS1E_jS1F_S1F_jjS1H_bEUljE0_EEES10_S11_S12_S19_S1D_S1F_T6_T7_T9_mT8_S1H_bDpT10_ENKUlT_T0_E_clISt17integral_constantIbLb1EES1U_IbLb0EEEEDaS1Q_S1R_EUlS1Q_E_NS1_11comp_targetILNS1_3genE8ELNS1_11target_archE1030ELNS1_3gpuE2ELNS1_3repE0EEENS1_30default_config_static_selectorELNS0_4arch9wavefront6targetE0EEEvS13_.uses_vcc, 0
	.set _ZN7rocprim17ROCPRIM_400000_NS6detail17trampoline_kernelINS0_13select_configILj256ELj13ELNS0_17block_load_methodE3ELS4_3ELS4_3ELNS0_20block_scan_algorithmE0ELj4294967295EEENS1_25partition_config_selectorILNS1_17partition_subalgoE4EjNS0_10empty_typeEbEEZZNS1_14partition_implILS8_4ELb0ES6_15HIP_vector_typeIjLj2EENS0_17counting_iteratorIjlEEPS9_SG_NS0_5tupleIJPjSI_NS0_16reverse_iteratorISI_EEEEENSH_IJSG_SG_SG_EEES9_SI_JZNS1_25segmented_radix_sort_implINS0_14default_configELb0EPK12hip_bfloat16PSP_PKlPlN2at6native12_GLOBAL__N_18offset_tEEE10hipError_tPvRmT1_PNSt15iterator_traitsIS13_E10value_typeET2_T3_PNS14_IS19_E10value_typeET4_jRbjT5_S1F_jjP12ihipStream_tbEUljE_ZNSN_ISO_Lb0ESR_SS_SU_SV_SZ_EES10_S11_S12_S13_S17_S18_S19_S1C_S1D_jS1E_jS1F_S1F_jjS1H_bEUljE0_EEES10_S11_S12_S19_S1D_S1F_T6_T7_T9_mT8_S1H_bDpT10_ENKUlT_T0_E_clISt17integral_constantIbLb1EES1U_IbLb0EEEEDaS1Q_S1R_EUlS1Q_E_NS1_11comp_targetILNS1_3genE8ELNS1_11target_archE1030ELNS1_3gpuE2ELNS1_3repE0EEENS1_30default_config_static_selectorELNS0_4arch9wavefront6targetE0EEEvS13_.uses_flat_scratch, 0
	.set _ZN7rocprim17ROCPRIM_400000_NS6detail17trampoline_kernelINS0_13select_configILj256ELj13ELNS0_17block_load_methodE3ELS4_3ELS4_3ELNS0_20block_scan_algorithmE0ELj4294967295EEENS1_25partition_config_selectorILNS1_17partition_subalgoE4EjNS0_10empty_typeEbEEZZNS1_14partition_implILS8_4ELb0ES6_15HIP_vector_typeIjLj2EENS0_17counting_iteratorIjlEEPS9_SG_NS0_5tupleIJPjSI_NS0_16reverse_iteratorISI_EEEEENSH_IJSG_SG_SG_EEES9_SI_JZNS1_25segmented_radix_sort_implINS0_14default_configELb0EPK12hip_bfloat16PSP_PKlPlN2at6native12_GLOBAL__N_18offset_tEEE10hipError_tPvRmT1_PNSt15iterator_traitsIS13_E10value_typeET2_T3_PNS14_IS19_E10value_typeET4_jRbjT5_S1F_jjP12ihipStream_tbEUljE_ZNSN_ISO_Lb0ESR_SS_SU_SV_SZ_EES10_S11_S12_S13_S17_S18_S19_S1C_S1D_jS1E_jS1F_S1F_jjS1H_bEUljE0_EEES10_S11_S12_S19_S1D_S1F_T6_T7_T9_mT8_S1H_bDpT10_ENKUlT_T0_E_clISt17integral_constantIbLb1EES1U_IbLb0EEEEDaS1Q_S1R_EUlS1Q_E_NS1_11comp_targetILNS1_3genE8ELNS1_11target_archE1030ELNS1_3gpuE2ELNS1_3repE0EEENS1_30default_config_static_selectorELNS0_4arch9wavefront6targetE0EEEvS13_.has_dyn_sized_stack, 0
	.set _ZN7rocprim17ROCPRIM_400000_NS6detail17trampoline_kernelINS0_13select_configILj256ELj13ELNS0_17block_load_methodE3ELS4_3ELS4_3ELNS0_20block_scan_algorithmE0ELj4294967295EEENS1_25partition_config_selectorILNS1_17partition_subalgoE4EjNS0_10empty_typeEbEEZZNS1_14partition_implILS8_4ELb0ES6_15HIP_vector_typeIjLj2EENS0_17counting_iteratorIjlEEPS9_SG_NS0_5tupleIJPjSI_NS0_16reverse_iteratorISI_EEEEENSH_IJSG_SG_SG_EEES9_SI_JZNS1_25segmented_radix_sort_implINS0_14default_configELb0EPK12hip_bfloat16PSP_PKlPlN2at6native12_GLOBAL__N_18offset_tEEE10hipError_tPvRmT1_PNSt15iterator_traitsIS13_E10value_typeET2_T3_PNS14_IS19_E10value_typeET4_jRbjT5_S1F_jjP12ihipStream_tbEUljE_ZNSN_ISO_Lb0ESR_SS_SU_SV_SZ_EES10_S11_S12_S13_S17_S18_S19_S1C_S1D_jS1E_jS1F_S1F_jjS1H_bEUljE0_EEES10_S11_S12_S19_S1D_S1F_T6_T7_T9_mT8_S1H_bDpT10_ENKUlT_T0_E_clISt17integral_constantIbLb1EES1U_IbLb0EEEEDaS1Q_S1R_EUlS1Q_E_NS1_11comp_targetILNS1_3genE8ELNS1_11target_archE1030ELNS1_3gpuE2ELNS1_3repE0EEENS1_30default_config_static_selectorELNS0_4arch9wavefront6targetE0EEEvS13_.has_recursion, 0
	.set _ZN7rocprim17ROCPRIM_400000_NS6detail17trampoline_kernelINS0_13select_configILj256ELj13ELNS0_17block_load_methodE3ELS4_3ELS4_3ELNS0_20block_scan_algorithmE0ELj4294967295EEENS1_25partition_config_selectorILNS1_17partition_subalgoE4EjNS0_10empty_typeEbEEZZNS1_14partition_implILS8_4ELb0ES6_15HIP_vector_typeIjLj2EENS0_17counting_iteratorIjlEEPS9_SG_NS0_5tupleIJPjSI_NS0_16reverse_iteratorISI_EEEEENSH_IJSG_SG_SG_EEES9_SI_JZNS1_25segmented_radix_sort_implINS0_14default_configELb0EPK12hip_bfloat16PSP_PKlPlN2at6native12_GLOBAL__N_18offset_tEEE10hipError_tPvRmT1_PNSt15iterator_traitsIS13_E10value_typeET2_T3_PNS14_IS19_E10value_typeET4_jRbjT5_S1F_jjP12ihipStream_tbEUljE_ZNSN_ISO_Lb0ESR_SS_SU_SV_SZ_EES10_S11_S12_S13_S17_S18_S19_S1C_S1D_jS1E_jS1F_S1F_jjS1H_bEUljE0_EEES10_S11_S12_S19_S1D_S1F_T6_T7_T9_mT8_S1H_bDpT10_ENKUlT_T0_E_clISt17integral_constantIbLb1EES1U_IbLb0EEEEDaS1Q_S1R_EUlS1Q_E_NS1_11comp_targetILNS1_3genE8ELNS1_11target_archE1030ELNS1_3gpuE2ELNS1_3repE0EEENS1_30default_config_static_selectorELNS0_4arch9wavefront6targetE0EEEvS13_.has_indirect_call, 0
	.section	.AMDGPU.csdata,"",@progbits
; Kernel info:
; codeLenInByte = 4
; TotalNumSgprs: 0
; NumVgprs: 0
; ScratchSize: 0
; MemoryBound: 0
; FloatMode: 240
; IeeeMode: 1
; LDSByteSize: 0 bytes/workgroup (compile time only)
; SGPRBlocks: 0
; VGPRBlocks: 0
; NumSGPRsForWavesPerEU: 1
; NumVGPRsForWavesPerEU: 1
; Occupancy: 16
; WaveLimiterHint : 0
; COMPUTE_PGM_RSRC2:SCRATCH_EN: 0
; COMPUTE_PGM_RSRC2:USER_SGPR: 6
; COMPUTE_PGM_RSRC2:TRAP_HANDLER: 0
; COMPUTE_PGM_RSRC2:TGID_X_EN: 1
; COMPUTE_PGM_RSRC2:TGID_Y_EN: 0
; COMPUTE_PGM_RSRC2:TGID_Z_EN: 0
; COMPUTE_PGM_RSRC2:TIDIG_COMP_CNT: 0
	.section	.text._ZN7rocprim17ROCPRIM_400000_NS6detail17trampoline_kernelINS0_13select_configILj256ELj13ELNS0_17block_load_methodE3ELS4_3ELS4_3ELNS0_20block_scan_algorithmE0ELj4294967295EEENS1_25partition_config_selectorILNS1_17partition_subalgoE4EjNS0_10empty_typeEbEEZZNS1_14partition_implILS8_4ELb0ES6_15HIP_vector_typeIjLj2EENS0_17counting_iteratorIjlEEPS9_SG_NS0_5tupleIJPjSI_NS0_16reverse_iteratorISI_EEEEENSH_IJSG_SG_SG_EEES9_SI_JZNS1_25segmented_radix_sort_implINS0_14default_configELb0EPK12hip_bfloat16PSP_PKlPlN2at6native12_GLOBAL__N_18offset_tEEE10hipError_tPvRmT1_PNSt15iterator_traitsIS13_E10value_typeET2_T3_PNS14_IS19_E10value_typeET4_jRbjT5_S1F_jjP12ihipStream_tbEUljE_ZNSN_ISO_Lb0ESR_SS_SU_SV_SZ_EES10_S11_S12_S13_S17_S18_S19_S1C_S1D_jS1E_jS1F_S1F_jjS1H_bEUljE0_EEES10_S11_S12_S19_S1D_S1F_T6_T7_T9_mT8_S1H_bDpT10_ENKUlT_T0_E_clISt17integral_constantIbLb0EES1U_IbLb1EEEEDaS1Q_S1R_EUlS1Q_E_NS1_11comp_targetILNS1_3genE0ELNS1_11target_archE4294967295ELNS1_3gpuE0ELNS1_3repE0EEENS1_30default_config_static_selectorELNS0_4arch9wavefront6targetE0EEEvS13_,"axG",@progbits,_ZN7rocprim17ROCPRIM_400000_NS6detail17trampoline_kernelINS0_13select_configILj256ELj13ELNS0_17block_load_methodE3ELS4_3ELS4_3ELNS0_20block_scan_algorithmE0ELj4294967295EEENS1_25partition_config_selectorILNS1_17partition_subalgoE4EjNS0_10empty_typeEbEEZZNS1_14partition_implILS8_4ELb0ES6_15HIP_vector_typeIjLj2EENS0_17counting_iteratorIjlEEPS9_SG_NS0_5tupleIJPjSI_NS0_16reverse_iteratorISI_EEEEENSH_IJSG_SG_SG_EEES9_SI_JZNS1_25segmented_radix_sort_implINS0_14default_configELb0EPK12hip_bfloat16PSP_PKlPlN2at6native12_GLOBAL__N_18offset_tEEE10hipError_tPvRmT1_PNSt15iterator_traitsIS13_E10value_typeET2_T3_PNS14_IS19_E10value_typeET4_jRbjT5_S1F_jjP12ihipStream_tbEUljE_ZNSN_ISO_Lb0ESR_SS_SU_SV_SZ_EES10_S11_S12_S13_S17_S18_S19_S1C_S1D_jS1E_jS1F_S1F_jjS1H_bEUljE0_EEES10_S11_S12_S19_S1D_S1F_T6_T7_T9_mT8_S1H_bDpT10_ENKUlT_T0_E_clISt17integral_constantIbLb0EES1U_IbLb1EEEEDaS1Q_S1R_EUlS1Q_E_NS1_11comp_targetILNS1_3genE0ELNS1_11target_archE4294967295ELNS1_3gpuE0ELNS1_3repE0EEENS1_30default_config_static_selectorELNS0_4arch9wavefront6targetE0EEEvS13_,comdat
	.globl	_ZN7rocprim17ROCPRIM_400000_NS6detail17trampoline_kernelINS0_13select_configILj256ELj13ELNS0_17block_load_methodE3ELS4_3ELS4_3ELNS0_20block_scan_algorithmE0ELj4294967295EEENS1_25partition_config_selectorILNS1_17partition_subalgoE4EjNS0_10empty_typeEbEEZZNS1_14partition_implILS8_4ELb0ES6_15HIP_vector_typeIjLj2EENS0_17counting_iteratorIjlEEPS9_SG_NS0_5tupleIJPjSI_NS0_16reverse_iteratorISI_EEEEENSH_IJSG_SG_SG_EEES9_SI_JZNS1_25segmented_radix_sort_implINS0_14default_configELb0EPK12hip_bfloat16PSP_PKlPlN2at6native12_GLOBAL__N_18offset_tEEE10hipError_tPvRmT1_PNSt15iterator_traitsIS13_E10value_typeET2_T3_PNS14_IS19_E10value_typeET4_jRbjT5_S1F_jjP12ihipStream_tbEUljE_ZNSN_ISO_Lb0ESR_SS_SU_SV_SZ_EES10_S11_S12_S13_S17_S18_S19_S1C_S1D_jS1E_jS1F_S1F_jjS1H_bEUljE0_EEES10_S11_S12_S19_S1D_S1F_T6_T7_T9_mT8_S1H_bDpT10_ENKUlT_T0_E_clISt17integral_constantIbLb0EES1U_IbLb1EEEEDaS1Q_S1R_EUlS1Q_E_NS1_11comp_targetILNS1_3genE0ELNS1_11target_archE4294967295ELNS1_3gpuE0ELNS1_3repE0EEENS1_30default_config_static_selectorELNS0_4arch9wavefront6targetE0EEEvS13_ ; -- Begin function _ZN7rocprim17ROCPRIM_400000_NS6detail17trampoline_kernelINS0_13select_configILj256ELj13ELNS0_17block_load_methodE3ELS4_3ELS4_3ELNS0_20block_scan_algorithmE0ELj4294967295EEENS1_25partition_config_selectorILNS1_17partition_subalgoE4EjNS0_10empty_typeEbEEZZNS1_14partition_implILS8_4ELb0ES6_15HIP_vector_typeIjLj2EENS0_17counting_iteratorIjlEEPS9_SG_NS0_5tupleIJPjSI_NS0_16reverse_iteratorISI_EEEEENSH_IJSG_SG_SG_EEES9_SI_JZNS1_25segmented_radix_sort_implINS0_14default_configELb0EPK12hip_bfloat16PSP_PKlPlN2at6native12_GLOBAL__N_18offset_tEEE10hipError_tPvRmT1_PNSt15iterator_traitsIS13_E10value_typeET2_T3_PNS14_IS19_E10value_typeET4_jRbjT5_S1F_jjP12ihipStream_tbEUljE_ZNSN_ISO_Lb0ESR_SS_SU_SV_SZ_EES10_S11_S12_S13_S17_S18_S19_S1C_S1D_jS1E_jS1F_S1F_jjS1H_bEUljE0_EEES10_S11_S12_S19_S1D_S1F_T6_T7_T9_mT8_S1H_bDpT10_ENKUlT_T0_E_clISt17integral_constantIbLb0EES1U_IbLb1EEEEDaS1Q_S1R_EUlS1Q_E_NS1_11comp_targetILNS1_3genE0ELNS1_11target_archE4294967295ELNS1_3gpuE0ELNS1_3repE0EEENS1_30default_config_static_selectorELNS0_4arch9wavefront6targetE0EEEvS13_
	.p2align	8
	.type	_ZN7rocprim17ROCPRIM_400000_NS6detail17trampoline_kernelINS0_13select_configILj256ELj13ELNS0_17block_load_methodE3ELS4_3ELS4_3ELNS0_20block_scan_algorithmE0ELj4294967295EEENS1_25partition_config_selectorILNS1_17partition_subalgoE4EjNS0_10empty_typeEbEEZZNS1_14partition_implILS8_4ELb0ES6_15HIP_vector_typeIjLj2EENS0_17counting_iteratorIjlEEPS9_SG_NS0_5tupleIJPjSI_NS0_16reverse_iteratorISI_EEEEENSH_IJSG_SG_SG_EEES9_SI_JZNS1_25segmented_radix_sort_implINS0_14default_configELb0EPK12hip_bfloat16PSP_PKlPlN2at6native12_GLOBAL__N_18offset_tEEE10hipError_tPvRmT1_PNSt15iterator_traitsIS13_E10value_typeET2_T3_PNS14_IS19_E10value_typeET4_jRbjT5_S1F_jjP12ihipStream_tbEUljE_ZNSN_ISO_Lb0ESR_SS_SU_SV_SZ_EES10_S11_S12_S13_S17_S18_S19_S1C_S1D_jS1E_jS1F_S1F_jjS1H_bEUljE0_EEES10_S11_S12_S19_S1D_S1F_T6_T7_T9_mT8_S1H_bDpT10_ENKUlT_T0_E_clISt17integral_constantIbLb0EES1U_IbLb1EEEEDaS1Q_S1R_EUlS1Q_E_NS1_11comp_targetILNS1_3genE0ELNS1_11target_archE4294967295ELNS1_3gpuE0ELNS1_3repE0EEENS1_30default_config_static_selectorELNS0_4arch9wavefront6targetE0EEEvS13_,@function
_ZN7rocprim17ROCPRIM_400000_NS6detail17trampoline_kernelINS0_13select_configILj256ELj13ELNS0_17block_load_methodE3ELS4_3ELS4_3ELNS0_20block_scan_algorithmE0ELj4294967295EEENS1_25partition_config_selectorILNS1_17partition_subalgoE4EjNS0_10empty_typeEbEEZZNS1_14partition_implILS8_4ELb0ES6_15HIP_vector_typeIjLj2EENS0_17counting_iteratorIjlEEPS9_SG_NS0_5tupleIJPjSI_NS0_16reverse_iteratorISI_EEEEENSH_IJSG_SG_SG_EEES9_SI_JZNS1_25segmented_radix_sort_implINS0_14default_configELb0EPK12hip_bfloat16PSP_PKlPlN2at6native12_GLOBAL__N_18offset_tEEE10hipError_tPvRmT1_PNSt15iterator_traitsIS13_E10value_typeET2_T3_PNS14_IS19_E10value_typeET4_jRbjT5_S1F_jjP12ihipStream_tbEUljE_ZNSN_ISO_Lb0ESR_SS_SU_SV_SZ_EES10_S11_S12_S13_S17_S18_S19_S1C_S1D_jS1E_jS1F_S1F_jjS1H_bEUljE0_EEES10_S11_S12_S19_S1D_S1F_T6_T7_T9_mT8_S1H_bDpT10_ENKUlT_T0_E_clISt17integral_constantIbLb0EES1U_IbLb1EEEEDaS1Q_S1R_EUlS1Q_E_NS1_11comp_targetILNS1_3genE0ELNS1_11target_archE4294967295ELNS1_3gpuE0ELNS1_3repE0EEENS1_30default_config_static_selectorELNS0_4arch9wavefront6targetE0EEEvS13_: ; @_ZN7rocprim17ROCPRIM_400000_NS6detail17trampoline_kernelINS0_13select_configILj256ELj13ELNS0_17block_load_methodE3ELS4_3ELS4_3ELNS0_20block_scan_algorithmE0ELj4294967295EEENS1_25partition_config_selectorILNS1_17partition_subalgoE4EjNS0_10empty_typeEbEEZZNS1_14partition_implILS8_4ELb0ES6_15HIP_vector_typeIjLj2EENS0_17counting_iteratorIjlEEPS9_SG_NS0_5tupleIJPjSI_NS0_16reverse_iteratorISI_EEEEENSH_IJSG_SG_SG_EEES9_SI_JZNS1_25segmented_radix_sort_implINS0_14default_configELb0EPK12hip_bfloat16PSP_PKlPlN2at6native12_GLOBAL__N_18offset_tEEE10hipError_tPvRmT1_PNSt15iterator_traitsIS13_E10value_typeET2_T3_PNS14_IS19_E10value_typeET4_jRbjT5_S1F_jjP12ihipStream_tbEUljE_ZNSN_ISO_Lb0ESR_SS_SU_SV_SZ_EES10_S11_S12_S13_S17_S18_S19_S1C_S1D_jS1E_jS1F_S1F_jjS1H_bEUljE0_EEES10_S11_S12_S19_S1D_S1F_T6_T7_T9_mT8_S1H_bDpT10_ENKUlT_T0_E_clISt17integral_constantIbLb0EES1U_IbLb1EEEEDaS1Q_S1R_EUlS1Q_E_NS1_11comp_targetILNS1_3genE0ELNS1_11target_archE4294967295ELNS1_3gpuE0ELNS1_3repE0EEENS1_30default_config_static_selectorELNS0_4arch9wavefront6targetE0EEEvS13_
; %bb.0:
	.section	.rodata,"a",@progbits
	.p2align	6, 0x0
	.amdhsa_kernel _ZN7rocprim17ROCPRIM_400000_NS6detail17trampoline_kernelINS0_13select_configILj256ELj13ELNS0_17block_load_methodE3ELS4_3ELS4_3ELNS0_20block_scan_algorithmE0ELj4294967295EEENS1_25partition_config_selectorILNS1_17partition_subalgoE4EjNS0_10empty_typeEbEEZZNS1_14partition_implILS8_4ELb0ES6_15HIP_vector_typeIjLj2EENS0_17counting_iteratorIjlEEPS9_SG_NS0_5tupleIJPjSI_NS0_16reverse_iteratorISI_EEEEENSH_IJSG_SG_SG_EEES9_SI_JZNS1_25segmented_radix_sort_implINS0_14default_configELb0EPK12hip_bfloat16PSP_PKlPlN2at6native12_GLOBAL__N_18offset_tEEE10hipError_tPvRmT1_PNSt15iterator_traitsIS13_E10value_typeET2_T3_PNS14_IS19_E10value_typeET4_jRbjT5_S1F_jjP12ihipStream_tbEUljE_ZNSN_ISO_Lb0ESR_SS_SU_SV_SZ_EES10_S11_S12_S13_S17_S18_S19_S1C_S1D_jS1E_jS1F_S1F_jjS1H_bEUljE0_EEES10_S11_S12_S19_S1D_S1F_T6_T7_T9_mT8_S1H_bDpT10_ENKUlT_T0_E_clISt17integral_constantIbLb0EES1U_IbLb1EEEEDaS1Q_S1R_EUlS1Q_E_NS1_11comp_targetILNS1_3genE0ELNS1_11target_archE4294967295ELNS1_3gpuE0ELNS1_3repE0EEENS1_30default_config_static_selectorELNS0_4arch9wavefront6targetE0EEEvS13_
		.amdhsa_group_segment_fixed_size 0
		.amdhsa_private_segment_fixed_size 0
		.amdhsa_kernarg_size 184
		.amdhsa_user_sgpr_count 6
		.amdhsa_user_sgpr_private_segment_buffer 1
		.amdhsa_user_sgpr_dispatch_ptr 0
		.amdhsa_user_sgpr_queue_ptr 0
		.amdhsa_user_sgpr_kernarg_segment_ptr 1
		.amdhsa_user_sgpr_dispatch_id 0
		.amdhsa_user_sgpr_flat_scratch_init 0
		.amdhsa_user_sgpr_private_segment_size 0
		.amdhsa_wavefront_size32 1
		.amdhsa_uses_dynamic_stack 0
		.amdhsa_system_sgpr_private_segment_wavefront_offset 0
		.amdhsa_system_sgpr_workgroup_id_x 1
		.amdhsa_system_sgpr_workgroup_id_y 0
		.amdhsa_system_sgpr_workgroup_id_z 0
		.amdhsa_system_sgpr_workgroup_info 0
		.amdhsa_system_vgpr_workitem_id 0
		.amdhsa_next_free_vgpr 1
		.amdhsa_next_free_sgpr 1
		.amdhsa_reserve_vcc 0
		.amdhsa_reserve_flat_scratch 0
		.amdhsa_float_round_mode_32 0
		.amdhsa_float_round_mode_16_64 0
		.amdhsa_float_denorm_mode_32 3
		.amdhsa_float_denorm_mode_16_64 3
		.amdhsa_dx10_clamp 1
		.amdhsa_ieee_mode 1
		.amdhsa_fp16_overflow 0
		.amdhsa_workgroup_processor_mode 1
		.amdhsa_memory_ordered 1
		.amdhsa_forward_progress 1
		.amdhsa_shared_vgpr_count 0
		.amdhsa_exception_fp_ieee_invalid_op 0
		.amdhsa_exception_fp_denorm_src 0
		.amdhsa_exception_fp_ieee_div_zero 0
		.amdhsa_exception_fp_ieee_overflow 0
		.amdhsa_exception_fp_ieee_underflow 0
		.amdhsa_exception_fp_ieee_inexact 0
		.amdhsa_exception_int_div_zero 0
	.end_amdhsa_kernel
	.section	.text._ZN7rocprim17ROCPRIM_400000_NS6detail17trampoline_kernelINS0_13select_configILj256ELj13ELNS0_17block_load_methodE3ELS4_3ELS4_3ELNS0_20block_scan_algorithmE0ELj4294967295EEENS1_25partition_config_selectorILNS1_17partition_subalgoE4EjNS0_10empty_typeEbEEZZNS1_14partition_implILS8_4ELb0ES6_15HIP_vector_typeIjLj2EENS0_17counting_iteratorIjlEEPS9_SG_NS0_5tupleIJPjSI_NS0_16reverse_iteratorISI_EEEEENSH_IJSG_SG_SG_EEES9_SI_JZNS1_25segmented_radix_sort_implINS0_14default_configELb0EPK12hip_bfloat16PSP_PKlPlN2at6native12_GLOBAL__N_18offset_tEEE10hipError_tPvRmT1_PNSt15iterator_traitsIS13_E10value_typeET2_T3_PNS14_IS19_E10value_typeET4_jRbjT5_S1F_jjP12ihipStream_tbEUljE_ZNSN_ISO_Lb0ESR_SS_SU_SV_SZ_EES10_S11_S12_S13_S17_S18_S19_S1C_S1D_jS1E_jS1F_S1F_jjS1H_bEUljE0_EEES10_S11_S12_S19_S1D_S1F_T6_T7_T9_mT8_S1H_bDpT10_ENKUlT_T0_E_clISt17integral_constantIbLb0EES1U_IbLb1EEEEDaS1Q_S1R_EUlS1Q_E_NS1_11comp_targetILNS1_3genE0ELNS1_11target_archE4294967295ELNS1_3gpuE0ELNS1_3repE0EEENS1_30default_config_static_selectorELNS0_4arch9wavefront6targetE0EEEvS13_,"axG",@progbits,_ZN7rocprim17ROCPRIM_400000_NS6detail17trampoline_kernelINS0_13select_configILj256ELj13ELNS0_17block_load_methodE3ELS4_3ELS4_3ELNS0_20block_scan_algorithmE0ELj4294967295EEENS1_25partition_config_selectorILNS1_17partition_subalgoE4EjNS0_10empty_typeEbEEZZNS1_14partition_implILS8_4ELb0ES6_15HIP_vector_typeIjLj2EENS0_17counting_iteratorIjlEEPS9_SG_NS0_5tupleIJPjSI_NS0_16reverse_iteratorISI_EEEEENSH_IJSG_SG_SG_EEES9_SI_JZNS1_25segmented_radix_sort_implINS0_14default_configELb0EPK12hip_bfloat16PSP_PKlPlN2at6native12_GLOBAL__N_18offset_tEEE10hipError_tPvRmT1_PNSt15iterator_traitsIS13_E10value_typeET2_T3_PNS14_IS19_E10value_typeET4_jRbjT5_S1F_jjP12ihipStream_tbEUljE_ZNSN_ISO_Lb0ESR_SS_SU_SV_SZ_EES10_S11_S12_S13_S17_S18_S19_S1C_S1D_jS1E_jS1F_S1F_jjS1H_bEUljE0_EEES10_S11_S12_S19_S1D_S1F_T6_T7_T9_mT8_S1H_bDpT10_ENKUlT_T0_E_clISt17integral_constantIbLb0EES1U_IbLb1EEEEDaS1Q_S1R_EUlS1Q_E_NS1_11comp_targetILNS1_3genE0ELNS1_11target_archE4294967295ELNS1_3gpuE0ELNS1_3repE0EEENS1_30default_config_static_selectorELNS0_4arch9wavefront6targetE0EEEvS13_,comdat
.Lfunc_end1999:
	.size	_ZN7rocprim17ROCPRIM_400000_NS6detail17trampoline_kernelINS0_13select_configILj256ELj13ELNS0_17block_load_methodE3ELS4_3ELS4_3ELNS0_20block_scan_algorithmE0ELj4294967295EEENS1_25partition_config_selectorILNS1_17partition_subalgoE4EjNS0_10empty_typeEbEEZZNS1_14partition_implILS8_4ELb0ES6_15HIP_vector_typeIjLj2EENS0_17counting_iteratorIjlEEPS9_SG_NS0_5tupleIJPjSI_NS0_16reverse_iteratorISI_EEEEENSH_IJSG_SG_SG_EEES9_SI_JZNS1_25segmented_radix_sort_implINS0_14default_configELb0EPK12hip_bfloat16PSP_PKlPlN2at6native12_GLOBAL__N_18offset_tEEE10hipError_tPvRmT1_PNSt15iterator_traitsIS13_E10value_typeET2_T3_PNS14_IS19_E10value_typeET4_jRbjT5_S1F_jjP12ihipStream_tbEUljE_ZNSN_ISO_Lb0ESR_SS_SU_SV_SZ_EES10_S11_S12_S13_S17_S18_S19_S1C_S1D_jS1E_jS1F_S1F_jjS1H_bEUljE0_EEES10_S11_S12_S19_S1D_S1F_T6_T7_T9_mT8_S1H_bDpT10_ENKUlT_T0_E_clISt17integral_constantIbLb0EES1U_IbLb1EEEEDaS1Q_S1R_EUlS1Q_E_NS1_11comp_targetILNS1_3genE0ELNS1_11target_archE4294967295ELNS1_3gpuE0ELNS1_3repE0EEENS1_30default_config_static_selectorELNS0_4arch9wavefront6targetE0EEEvS13_, .Lfunc_end1999-_ZN7rocprim17ROCPRIM_400000_NS6detail17trampoline_kernelINS0_13select_configILj256ELj13ELNS0_17block_load_methodE3ELS4_3ELS4_3ELNS0_20block_scan_algorithmE0ELj4294967295EEENS1_25partition_config_selectorILNS1_17partition_subalgoE4EjNS0_10empty_typeEbEEZZNS1_14partition_implILS8_4ELb0ES6_15HIP_vector_typeIjLj2EENS0_17counting_iteratorIjlEEPS9_SG_NS0_5tupleIJPjSI_NS0_16reverse_iteratorISI_EEEEENSH_IJSG_SG_SG_EEES9_SI_JZNS1_25segmented_radix_sort_implINS0_14default_configELb0EPK12hip_bfloat16PSP_PKlPlN2at6native12_GLOBAL__N_18offset_tEEE10hipError_tPvRmT1_PNSt15iterator_traitsIS13_E10value_typeET2_T3_PNS14_IS19_E10value_typeET4_jRbjT5_S1F_jjP12ihipStream_tbEUljE_ZNSN_ISO_Lb0ESR_SS_SU_SV_SZ_EES10_S11_S12_S13_S17_S18_S19_S1C_S1D_jS1E_jS1F_S1F_jjS1H_bEUljE0_EEES10_S11_S12_S19_S1D_S1F_T6_T7_T9_mT8_S1H_bDpT10_ENKUlT_T0_E_clISt17integral_constantIbLb0EES1U_IbLb1EEEEDaS1Q_S1R_EUlS1Q_E_NS1_11comp_targetILNS1_3genE0ELNS1_11target_archE4294967295ELNS1_3gpuE0ELNS1_3repE0EEENS1_30default_config_static_selectorELNS0_4arch9wavefront6targetE0EEEvS13_
                                        ; -- End function
	.set _ZN7rocprim17ROCPRIM_400000_NS6detail17trampoline_kernelINS0_13select_configILj256ELj13ELNS0_17block_load_methodE3ELS4_3ELS4_3ELNS0_20block_scan_algorithmE0ELj4294967295EEENS1_25partition_config_selectorILNS1_17partition_subalgoE4EjNS0_10empty_typeEbEEZZNS1_14partition_implILS8_4ELb0ES6_15HIP_vector_typeIjLj2EENS0_17counting_iteratorIjlEEPS9_SG_NS0_5tupleIJPjSI_NS0_16reverse_iteratorISI_EEEEENSH_IJSG_SG_SG_EEES9_SI_JZNS1_25segmented_radix_sort_implINS0_14default_configELb0EPK12hip_bfloat16PSP_PKlPlN2at6native12_GLOBAL__N_18offset_tEEE10hipError_tPvRmT1_PNSt15iterator_traitsIS13_E10value_typeET2_T3_PNS14_IS19_E10value_typeET4_jRbjT5_S1F_jjP12ihipStream_tbEUljE_ZNSN_ISO_Lb0ESR_SS_SU_SV_SZ_EES10_S11_S12_S13_S17_S18_S19_S1C_S1D_jS1E_jS1F_S1F_jjS1H_bEUljE0_EEES10_S11_S12_S19_S1D_S1F_T6_T7_T9_mT8_S1H_bDpT10_ENKUlT_T0_E_clISt17integral_constantIbLb0EES1U_IbLb1EEEEDaS1Q_S1R_EUlS1Q_E_NS1_11comp_targetILNS1_3genE0ELNS1_11target_archE4294967295ELNS1_3gpuE0ELNS1_3repE0EEENS1_30default_config_static_selectorELNS0_4arch9wavefront6targetE0EEEvS13_.num_vgpr, 0
	.set _ZN7rocprim17ROCPRIM_400000_NS6detail17trampoline_kernelINS0_13select_configILj256ELj13ELNS0_17block_load_methodE3ELS4_3ELS4_3ELNS0_20block_scan_algorithmE0ELj4294967295EEENS1_25partition_config_selectorILNS1_17partition_subalgoE4EjNS0_10empty_typeEbEEZZNS1_14partition_implILS8_4ELb0ES6_15HIP_vector_typeIjLj2EENS0_17counting_iteratorIjlEEPS9_SG_NS0_5tupleIJPjSI_NS0_16reverse_iteratorISI_EEEEENSH_IJSG_SG_SG_EEES9_SI_JZNS1_25segmented_radix_sort_implINS0_14default_configELb0EPK12hip_bfloat16PSP_PKlPlN2at6native12_GLOBAL__N_18offset_tEEE10hipError_tPvRmT1_PNSt15iterator_traitsIS13_E10value_typeET2_T3_PNS14_IS19_E10value_typeET4_jRbjT5_S1F_jjP12ihipStream_tbEUljE_ZNSN_ISO_Lb0ESR_SS_SU_SV_SZ_EES10_S11_S12_S13_S17_S18_S19_S1C_S1D_jS1E_jS1F_S1F_jjS1H_bEUljE0_EEES10_S11_S12_S19_S1D_S1F_T6_T7_T9_mT8_S1H_bDpT10_ENKUlT_T0_E_clISt17integral_constantIbLb0EES1U_IbLb1EEEEDaS1Q_S1R_EUlS1Q_E_NS1_11comp_targetILNS1_3genE0ELNS1_11target_archE4294967295ELNS1_3gpuE0ELNS1_3repE0EEENS1_30default_config_static_selectorELNS0_4arch9wavefront6targetE0EEEvS13_.num_agpr, 0
	.set _ZN7rocprim17ROCPRIM_400000_NS6detail17trampoline_kernelINS0_13select_configILj256ELj13ELNS0_17block_load_methodE3ELS4_3ELS4_3ELNS0_20block_scan_algorithmE0ELj4294967295EEENS1_25partition_config_selectorILNS1_17partition_subalgoE4EjNS0_10empty_typeEbEEZZNS1_14partition_implILS8_4ELb0ES6_15HIP_vector_typeIjLj2EENS0_17counting_iteratorIjlEEPS9_SG_NS0_5tupleIJPjSI_NS0_16reverse_iteratorISI_EEEEENSH_IJSG_SG_SG_EEES9_SI_JZNS1_25segmented_radix_sort_implINS0_14default_configELb0EPK12hip_bfloat16PSP_PKlPlN2at6native12_GLOBAL__N_18offset_tEEE10hipError_tPvRmT1_PNSt15iterator_traitsIS13_E10value_typeET2_T3_PNS14_IS19_E10value_typeET4_jRbjT5_S1F_jjP12ihipStream_tbEUljE_ZNSN_ISO_Lb0ESR_SS_SU_SV_SZ_EES10_S11_S12_S13_S17_S18_S19_S1C_S1D_jS1E_jS1F_S1F_jjS1H_bEUljE0_EEES10_S11_S12_S19_S1D_S1F_T6_T7_T9_mT8_S1H_bDpT10_ENKUlT_T0_E_clISt17integral_constantIbLb0EES1U_IbLb1EEEEDaS1Q_S1R_EUlS1Q_E_NS1_11comp_targetILNS1_3genE0ELNS1_11target_archE4294967295ELNS1_3gpuE0ELNS1_3repE0EEENS1_30default_config_static_selectorELNS0_4arch9wavefront6targetE0EEEvS13_.numbered_sgpr, 0
	.set _ZN7rocprim17ROCPRIM_400000_NS6detail17trampoline_kernelINS0_13select_configILj256ELj13ELNS0_17block_load_methodE3ELS4_3ELS4_3ELNS0_20block_scan_algorithmE0ELj4294967295EEENS1_25partition_config_selectorILNS1_17partition_subalgoE4EjNS0_10empty_typeEbEEZZNS1_14partition_implILS8_4ELb0ES6_15HIP_vector_typeIjLj2EENS0_17counting_iteratorIjlEEPS9_SG_NS0_5tupleIJPjSI_NS0_16reverse_iteratorISI_EEEEENSH_IJSG_SG_SG_EEES9_SI_JZNS1_25segmented_radix_sort_implINS0_14default_configELb0EPK12hip_bfloat16PSP_PKlPlN2at6native12_GLOBAL__N_18offset_tEEE10hipError_tPvRmT1_PNSt15iterator_traitsIS13_E10value_typeET2_T3_PNS14_IS19_E10value_typeET4_jRbjT5_S1F_jjP12ihipStream_tbEUljE_ZNSN_ISO_Lb0ESR_SS_SU_SV_SZ_EES10_S11_S12_S13_S17_S18_S19_S1C_S1D_jS1E_jS1F_S1F_jjS1H_bEUljE0_EEES10_S11_S12_S19_S1D_S1F_T6_T7_T9_mT8_S1H_bDpT10_ENKUlT_T0_E_clISt17integral_constantIbLb0EES1U_IbLb1EEEEDaS1Q_S1R_EUlS1Q_E_NS1_11comp_targetILNS1_3genE0ELNS1_11target_archE4294967295ELNS1_3gpuE0ELNS1_3repE0EEENS1_30default_config_static_selectorELNS0_4arch9wavefront6targetE0EEEvS13_.num_named_barrier, 0
	.set _ZN7rocprim17ROCPRIM_400000_NS6detail17trampoline_kernelINS0_13select_configILj256ELj13ELNS0_17block_load_methodE3ELS4_3ELS4_3ELNS0_20block_scan_algorithmE0ELj4294967295EEENS1_25partition_config_selectorILNS1_17partition_subalgoE4EjNS0_10empty_typeEbEEZZNS1_14partition_implILS8_4ELb0ES6_15HIP_vector_typeIjLj2EENS0_17counting_iteratorIjlEEPS9_SG_NS0_5tupleIJPjSI_NS0_16reverse_iteratorISI_EEEEENSH_IJSG_SG_SG_EEES9_SI_JZNS1_25segmented_radix_sort_implINS0_14default_configELb0EPK12hip_bfloat16PSP_PKlPlN2at6native12_GLOBAL__N_18offset_tEEE10hipError_tPvRmT1_PNSt15iterator_traitsIS13_E10value_typeET2_T3_PNS14_IS19_E10value_typeET4_jRbjT5_S1F_jjP12ihipStream_tbEUljE_ZNSN_ISO_Lb0ESR_SS_SU_SV_SZ_EES10_S11_S12_S13_S17_S18_S19_S1C_S1D_jS1E_jS1F_S1F_jjS1H_bEUljE0_EEES10_S11_S12_S19_S1D_S1F_T6_T7_T9_mT8_S1H_bDpT10_ENKUlT_T0_E_clISt17integral_constantIbLb0EES1U_IbLb1EEEEDaS1Q_S1R_EUlS1Q_E_NS1_11comp_targetILNS1_3genE0ELNS1_11target_archE4294967295ELNS1_3gpuE0ELNS1_3repE0EEENS1_30default_config_static_selectorELNS0_4arch9wavefront6targetE0EEEvS13_.private_seg_size, 0
	.set _ZN7rocprim17ROCPRIM_400000_NS6detail17trampoline_kernelINS0_13select_configILj256ELj13ELNS0_17block_load_methodE3ELS4_3ELS4_3ELNS0_20block_scan_algorithmE0ELj4294967295EEENS1_25partition_config_selectorILNS1_17partition_subalgoE4EjNS0_10empty_typeEbEEZZNS1_14partition_implILS8_4ELb0ES6_15HIP_vector_typeIjLj2EENS0_17counting_iteratorIjlEEPS9_SG_NS0_5tupleIJPjSI_NS0_16reverse_iteratorISI_EEEEENSH_IJSG_SG_SG_EEES9_SI_JZNS1_25segmented_radix_sort_implINS0_14default_configELb0EPK12hip_bfloat16PSP_PKlPlN2at6native12_GLOBAL__N_18offset_tEEE10hipError_tPvRmT1_PNSt15iterator_traitsIS13_E10value_typeET2_T3_PNS14_IS19_E10value_typeET4_jRbjT5_S1F_jjP12ihipStream_tbEUljE_ZNSN_ISO_Lb0ESR_SS_SU_SV_SZ_EES10_S11_S12_S13_S17_S18_S19_S1C_S1D_jS1E_jS1F_S1F_jjS1H_bEUljE0_EEES10_S11_S12_S19_S1D_S1F_T6_T7_T9_mT8_S1H_bDpT10_ENKUlT_T0_E_clISt17integral_constantIbLb0EES1U_IbLb1EEEEDaS1Q_S1R_EUlS1Q_E_NS1_11comp_targetILNS1_3genE0ELNS1_11target_archE4294967295ELNS1_3gpuE0ELNS1_3repE0EEENS1_30default_config_static_selectorELNS0_4arch9wavefront6targetE0EEEvS13_.uses_vcc, 0
	.set _ZN7rocprim17ROCPRIM_400000_NS6detail17trampoline_kernelINS0_13select_configILj256ELj13ELNS0_17block_load_methodE3ELS4_3ELS4_3ELNS0_20block_scan_algorithmE0ELj4294967295EEENS1_25partition_config_selectorILNS1_17partition_subalgoE4EjNS0_10empty_typeEbEEZZNS1_14partition_implILS8_4ELb0ES6_15HIP_vector_typeIjLj2EENS0_17counting_iteratorIjlEEPS9_SG_NS0_5tupleIJPjSI_NS0_16reverse_iteratorISI_EEEEENSH_IJSG_SG_SG_EEES9_SI_JZNS1_25segmented_radix_sort_implINS0_14default_configELb0EPK12hip_bfloat16PSP_PKlPlN2at6native12_GLOBAL__N_18offset_tEEE10hipError_tPvRmT1_PNSt15iterator_traitsIS13_E10value_typeET2_T3_PNS14_IS19_E10value_typeET4_jRbjT5_S1F_jjP12ihipStream_tbEUljE_ZNSN_ISO_Lb0ESR_SS_SU_SV_SZ_EES10_S11_S12_S13_S17_S18_S19_S1C_S1D_jS1E_jS1F_S1F_jjS1H_bEUljE0_EEES10_S11_S12_S19_S1D_S1F_T6_T7_T9_mT8_S1H_bDpT10_ENKUlT_T0_E_clISt17integral_constantIbLb0EES1U_IbLb1EEEEDaS1Q_S1R_EUlS1Q_E_NS1_11comp_targetILNS1_3genE0ELNS1_11target_archE4294967295ELNS1_3gpuE0ELNS1_3repE0EEENS1_30default_config_static_selectorELNS0_4arch9wavefront6targetE0EEEvS13_.uses_flat_scratch, 0
	.set _ZN7rocprim17ROCPRIM_400000_NS6detail17trampoline_kernelINS0_13select_configILj256ELj13ELNS0_17block_load_methodE3ELS4_3ELS4_3ELNS0_20block_scan_algorithmE0ELj4294967295EEENS1_25partition_config_selectorILNS1_17partition_subalgoE4EjNS0_10empty_typeEbEEZZNS1_14partition_implILS8_4ELb0ES6_15HIP_vector_typeIjLj2EENS0_17counting_iteratorIjlEEPS9_SG_NS0_5tupleIJPjSI_NS0_16reverse_iteratorISI_EEEEENSH_IJSG_SG_SG_EEES9_SI_JZNS1_25segmented_radix_sort_implINS0_14default_configELb0EPK12hip_bfloat16PSP_PKlPlN2at6native12_GLOBAL__N_18offset_tEEE10hipError_tPvRmT1_PNSt15iterator_traitsIS13_E10value_typeET2_T3_PNS14_IS19_E10value_typeET4_jRbjT5_S1F_jjP12ihipStream_tbEUljE_ZNSN_ISO_Lb0ESR_SS_SU_SV_SZ_EES10_S11_S12_S13_S17_S18_S19_S1C_S1D_jS1E_jS1F_S1F_jjS1H_bEUljE0_EEES10_S11_S12_S19_S1D_S1F_T6_T7_T9_mT8_S1H_bDpT10_ENKUlT_T0_E_clISt17integral_constantIbLb0EES1U_IbLb1EEEEDaS1Q_S1R_EUlS1Q_E_NS1_11comp_targetILNS1_3genE0ELNS1_11target_archE4294967295ELNS1_3gpuE0ELNS1_3repE0EEENS1_30default_config_static_selectorELNS0_4arch9wavefront6targetE0EEEvS13_.has_dyn_sized_stack, 0
	.set _ZN7rocprim17ROCPRIM_400000_NS6detail17trampoline_kernelINS0_13select_configILj256ELj13ELNS0_17block_load_methodE3ELS4_3ELS4_3ELNS0_20block_scan_algorithmE0ELj4294967295EEENS1_25partition_config_selectorILNS1_17partition_subalgoE4EjNS0_10empty_typeEbEEZZNS1_14partition_implILS8_4ELb0ES6_15HIP_vector_typeIjLj2EENS0_17counting_iteratorIjlEEPS9_SG_NS0_5tupleIJPjSI_NS0_16reverse_iteratorISI_EEEEENSH_IJSG_SG_SG_EEES9_SI_JZNS1_25segmented_radix_sort_implINS0_14default_configELb0EPK12hip_bfloat16PSP_PKlPlN2at6native12_GLOBAL__N_18offset_tEEE10hipError_tPvRmT1_PNSt15iterator_traitsIS13_E10value_typeET2_T3_PNS14_IS19_E10value_typeET4_jRbjT5_S1F_jjP12ihipStream_tbEUljE_ZNSN_ISO_Lb0ESR_SS_SU_SV_SZ_EES10_S11_S12_S13_S17_S18_S19_S1C_S1D_jS1E_jS1F_S1F_jjS1H_bEUljE0_EEES10_S11_S12_S19_S1D_S1F_T6_T7_T9_mT8_S1H_bDpT10_ENKUlT_T0_E_clISt17integral_constantIbLb0EES1U_IbLb1EEEEDaS1Q_S1R_EUlS1Q_E_NS1_11comp_targetILNS1_3genE0ELNS1_11target_archE4294967295ELNS1_3gpuE0ELNS1_3repE0EEENS1_30default_config_static_selectorELNS0_4arch9wavefront6targetE0EEEvS13_.has_recursion, 0
	.set _ZN7rocprim17ROCPRIM_400000_NS6detail17trampoline_kernelINS0_13select_configILj256ELj13ELNS0_17block_load_methodE3ELS4_3ELS4_3ELNS0_20block_scan_algorithmE0ELj4294967295EEENS1_25partition_config_selectorILNS1_17partition_subalgoE4EjNS0_10empty_typeEbEEZZNS1_14partition_implILS8_4ELb0ES6_15HIP_vector_typeIjLj2EENS0_17counting_iteratorIjlEEPS9_SG_NS0_5tupleIJPjSI_NS0_16reverse_iteratorISI_EEEEENSH_IJSG_SG_SG_EEES9_SI_JZNS1_25segmented_radix_sort_implINS0_14default_configELb0EPK12hip_bfloat16PSP_PKlPlN2at6native12_GLOBAL__N_18offset_tEEE10hipError_tPvRmT1_PNSt15iterator_traitsIS13_E10value_typeET2_T3_PNS14_IS19_E10value_typeET4_jRbjT5_S1F_jjP12ihipStream_tbEUljE_ZNSN_ISO_Lb0ESR_SS_SU_SV_SZ_EES10_S11_S12_S13_S17_S18_S19_S1C_S1D_jS1E_jS1F_S1F_jjS1H_bEUljE0_EEES10_S11_S12_S19_S1D_S1F_T6_T7_T9_mT8_S1H_bDpT10_ENKUlT_T0_E_clISt17integral_constantIbLb0EES1U_IbLb1EEEEDaS1Q_S1R_EUlS1Q_E_NS1_11comp_targetILNS1_3genE0ELNS1_11target_archE4294967295ELNS1_3gpuE0ELNS1_3repE0EEENS1_30default_config_static_selectorELNS0_4arch9wavefront6targetE0EEEvS13_.has_indirect_call, 0
	.section	.AMDGPU.csdata,"",@progbits
; Kernel info:
; codeLenInByte = 0
; TotalNumSgprs: 0
; NumVgprs: 0
; ScratchSize: 0
; MemoryBound: 0
; FloatMode: 240
; IeeeMode: 1
; LDSByteSize: 0 bytes/workgroup (compile time only)
; SGPRBlocks: 0
; VGPRBlocks: 0
; NumSGPRsForWavesPerEU: 1
; NumVGPRsForWavesPerEU: 1
; Occupancy: 16
; WaveLimiterHint : 0
; COMPUTE_PGM_RSRC2:SCRATCH_EN: 0
; COMPUTE_PGM_RSRC2:USER_SGPR: 6
; COMPUTE_PGM_RSRC2:TRAP_HANDLER: 0
; COMPUTE_PGM_RSRC2:TGID_X_EN: 1
; COMPUTE_PGM_RSRC2:TGID_Y_EN: 0
; COMPUTE_PGM_RSRC2:TGID_Z_EN: 0
; COMPUTE_PGM_RSRC2:TIDIG_COMP_CNT: 0
	.section	.text._ZN7rocprim17ROCPRIM_400000_NS6detail17trampoline_kernelINS0_13select_configILj256ELj13ELNS0_17block_load_methodE3ELS4_3ELS4_3ELNS0_20block_scan_algorithmE0ELj4294967295EEENS1_25partition_config_selectorILNS1_17partition_subalgoE4EjNS0_10empty_typeEbEEZZNS1_14partition_implILS8_4ELb0ES6_15HIP_vector_typeIjLj2EENS0_17counting_iteratorIjlEEPS9_SG_NS0_5tupleIJPjSI_NS0_16reverse_iteratorISI_EEEEENSH_IJSG_SG_SG_EEES9_SI_JZNS1_25segmented_radix_sort_implINS0_14default_configELb0EPK12hip_bfloat16PSP_PKlPlN2at6native12_GLOBAL__N_18offset_tEEE10hipError_tPvRmT1_PNSt15iterator_traitsIS13_E10value_typeET2_T3_PNS14_IS19_E10value_typeET4_jRbjT5_S1F_jjP12ihipStream_tbEUljE_ZNSN_ISO_Lb0ESR_SS_SU_SV_SZ_EES10_S11_S12_S13_S17_S18_S19_S1C_S1D_jS1E_jS1F_S1F_jjS1H_bEUljE0_EEES10_S11_S12_S19_S1D_S1F_T6_T7_T9_mT8_S1H_bDpT10_ENKUlT_T0_E_clISt17integral_constantIbLb0EES1U_IbLb1EEEEDaS1Q_S1R_EUlS1Q_E_NS1_11comp_targetILNS1_3genE5ELNS1_11target_archE942ELNS1_3gpuE9ELNS1_3repE0EEENS1_30default_config_static_selectorELNS0_4arch9wavefront6targetE0EEEvS13_,"axG",@progbits,_ZN7rocprim17ROCPRIM_400000_NS6detail17trampoline_kernelINS0_13select_configILj256ELj13ELNS0_17block_load_methodE3ELS4_3ELS4_3ELNS0_20block_scan_algorithmE0ELj4294967295EEENS1_25partition_config_selectorILNS1_17partition_subalgoE4EjNS0_10empty_typeEbEEZZNS1_14partition_implILS8_4ELb0ES6_15HIP_vector_typeIjLj2EENS0_17counting_iteratorIjlEEPS9_SG_NS0_5tupleIJPjSI_NS0_16reverse_iteratorISI_EEEEENSH_IJSG_SG_SG_EEES9_SI_JZNS1_25segmented_radix_sort_implINS0_14default_configELb0EPK12hip_bfloat16PSP_PKlPlN2at6native12_GLOBAL__N_18offset_tEEE10hipError_tPvRmT1_PNSt15iterator_traitsIS13_E10value_typeET2_T3_PNS14_IS19_E10value_typeET4_jRbjT5_S1F_jjP12ihipStream_tbEUljE_ZNSN_ISO_Lb0ESR_SS_SU_SV_SZ_EES10_S11_S12_S13_S17_S18_S19_S1C_S1D_jS1E_jS1F_S1F_jjS1H_bEUljE0_EEES10_S11_S12_S19_S1D_S1F_T6_T7_T9_mT8_S1H_bDpT10_ENKUlT_T0_E_clISt17integral_constantIbLb0EES1U_IbLb1EEEEDaS1Q_S1R_EUlS1Q_E_NS1_11comp_targetILNS1_3genE5ELNS1_11target_archE942ELNS1_3gpuE9ELNS1_3repE0EEENS1_30default_config_static_selectorELNS0_4arch9wavefront6targetE0EEEvS13_,comdat
	.globl	_ZN7rocprim17ROCPRIM_400000_NS6detail17trampoline_kernelINS0_13select_configILj256ELj13ELNS0_17block_load_methodE3ELS4_3ELS4_3ELNS0_20block_scan_algorithmE0ELj4294967295EEENS1_25partition_config_selectorILNS1_17partition_subalgoE4EjNS0_10empty_typeEbEEZZNS1_14partition_implILS8_4ELb0ES6_15HIP_vector_typeIjLj2EENS0_17counting_iteratorIjlEEPS9_SG_NS0_5tupleIJPjSI_NS0_16reverse_iteratorISI_EEEEENSH_IJSG_SG_SG_EEES9_SI_JZNS1_25segmented_radix_sort_implINS0_14default_configELb0EPK12hip_bfloat16PSP_PKlPlN2at6native12_GLOBAL__N_18offset_tEEE10hipError_tPvRmT1_PNSt15iterator_traitsIS13_E10value_typeET2_T3_PNS14_IS19_E10value_typeET4_jRbjT5_S1F_jjP12ihipStream_tbEUljE_ZNSN_ISO_Lb0ESR_SS_SU_SV_SZ_EES10_S11_S12_S13_S17_S18_S19_S1C_S1D_jS1E_jS1F_S1F_jjS1H_bEUljE0_EEES10_S11_S12_S19_S1D_S1F_T6_T7_T9_mT8_S1H_bDpT10_ENKUlT_T0_E_clISt17integral_constantIbLb0EES1U_IbLb1EEEEDaS1Q_S1R_EUlS1Q_E_NS1_11comp_targetILNS1_3genE5ELNS1_11target_archE942ELNS1_3gpuE9ELNS1_3repE0EEENS1_30default_config_static_selectorELNS0_4arch9wavefront6targetE0EEEvS13_ ; -- Begin function _ZN7rocprim17ROCPRIM_400000_NS6detail17trampoline_kernelINS0_13select_configILj256ELj13ELNS0_17block_load_methodE3ELS4_3ELS4_3ELNS0_20block_scan_algorithmE0ELj4294967295EEENS1_25partition_config_selectorILNS1_17partition_subalgoE4EjNS0_10empty_typeEbEEZZNS1_14partition_implILS8_4ELb0ES6_15HIP_vector_typeIjLj2EENS0_17counting_iteratorIjlEEPS9_SG_NS0_5tupleIJPjSI_NS0_16reverse_iteratorISI_EEEEENSH_IJSG_SG_SG_EEES9_SI_JZNS1_25segmented_radix_sort_implINS0_14default_configELb0EPK12hip_bfloat16PSP_PKlPlN2at6native12_GLOBAL__N_18offset_tEEE10hipError_tPvRmT1_PNSt15iterator_traitsIS13_E10value_typeET2_T3_PNS14_IS19_E10value_typeET4_jRbjT5_S1F_jjP12ihipStream_tbEUljE_ZNSN_ISO_Lb0ESR_SS_SU_SV_SZ_EES10_S11_S12_S13_S17_S18_S19_S1C_S1D_jS1E_jS1F_S1F_jjS1H_bEUljE0_EEES10_S11_S12_S19_S1D_S1F_T6_T7_T9_mT8_S1H_bDpT10_ENKUlT_T0_E_clISt17integral_constantIbLb0EES1U_IbLb1EEEEDaS1Q_S1R_EUlS1Q_E_NS1_11comp_targetILNS1_3genE5ELNS1_11target_archE942ELNS1_3gpuE9ELNS1_3repE0EEENS1_30default_config_static_selectorELNS0_4arch9wavefront6targetE0EEEvS13_
	.p2align	8
	.type	_ZN7rocprim17ROCPRIM_400000_NS6detail17trampoline_kernelINS0_13select_configILj256ELj13ELNS0_17block_load_methodE3ELS4_3ELS4_3ELNS0_20block_scan_algorithmE0ELj4294967295EEENS1_25partition_config_selectorILNS1_17partition_subalgoE4EjNS0_10empty_typeEbEEZZNS1_14partition_implILS8_4ELb0ES6_15HIP_vector_typeIjLj2EENS0_17counting_iteratorIjlEEPS9_SG_NS0_5tupleIJPjSI_NS0_16reverse_iteratorISI_EEEEENSH_IJSG_SG_SG_EEES9_SI_JZNS1_25segmented_radix_sort_implINS0_14default_configELb0EPK12hip_bfloat16PSP_PKlPlN2at6native12_GLOBAL__N_18offset_tEEE10hipError_tPvRmT1_PNSt15iterator_traitsIS13_E10value_typeET2_T3_PNS14_IS19_E10value_typeET4_jRbjT5_S1F_jjP12ihipStream_tbEUljE_ZNSN_ISO_Lb0ESR_SS_SU_SV_SZ_EES10_S11_S12_S13_S17_S18_S19_S1C_S1D_jS1E_jS1F_S1F_jjS1H_bEUljE0_EEES10_S11_S12_S19_S1D_S1F_T6_T7_T9_mT8_S1H_bDpT10_ENKUlT_T0_E_clISt17integral_constantIbLb0EES1U_IbLb1EEEEDaS1Q_S1R_EUlS1Q_E_NS1_11comp_targetILNS1_3genE5ELNS1_11target_archE942ELNS1_3gpuE9ELNS1_3repE0EEENS1_30default_config_static_selectorELNS0_4arch9wavefront6targetE0EEEvS13_,@function
_ZN7rocprim17ROCPRIM_400000_NS6detail17trampoline_kernelINS0_13select_configILj256ELj13ELNS0_17block_load_methodE3ELS4_3ELS4_3ELNS0_20block_scan_algorithmE0ELj4294967295EEENS1_25partition_config_selectorILNS1_17partition_subalgoE4EjNS0_10empty_typeEbEEZZNS1_14partition_implILS8_4ELb0ES6_15HIP_vector_typeIjLj2EENS0_17counting_iteratorIjlEEPS9_SG_NS0_5tupleIJPjSI_NS0_16reverse_iteratorISI_EEEEENSH_IJSG_SG_SG_EEES9_SI_JZNS1_25segmented_radix_sort_implINS0_14default_configELb0EPK12hip_bfloat16PSP_PKlPlN2at6native12_GLOBAL__N_18offset_tEEE10hipError_tPvRmT1_PNSt15iterator_traitsIS13_E10value_typeET2_T3_PNS14_IS19_E10value_typeET4_jRbjT5_S1F_jjP12ihipStream_tbEUljE_ZNSN_ISO_Lb0ESR_SS_SU_SV_SZ_EES10_S11_S12_S13_S17_S18_S19_S1C_S1D_jS1E_jS1F_S1F_jjS1H_bEUljE0_EEES10_S11_S12_S19_S1D_S1F_T6_T7_T9_mT8_S1H_bDpT10_ENKUlT_T0_E_clISt17integral_constantIbLb0EES1U_IbLb1EEEEDaS1Q_S1R_EUlS1Q_E_NS1_11comp_targetILNS1_3genE5ELNS1_11target_archE942ELNS1_3gpuE9ELNS1_3repE0EEENS1_30default_config_static_selectorELNS0_4arch9wavefront6targetE0EEEvS13_: ; @_ZN7rocprim17ROCPRIM_400000_NS6detail17trampoline_kernelINS0_13select_configILj256ELj13ELNS0_17block_load_methodE3ELS4_3ELS4_3ELNS0_20block_scan_algorithmE0ELj4294967295EEENS1_25partition_config_selectorILNS1_17partition_subalgoE4EjNS0_10empty_typeEbEEZZNS1_14partition_implILS8_4ELb0ES6_15HIP_vector_typeIjLj2EENS0_17counting_iteratorIjlEEPS9_SG_NS0_5tupleIJPjSI_NS0_16reverse_iteratorISI_EEEEENSH_IJSG_SG_SG_EEES9_SI_JZNS1_25segmented_radix_sort_implINS0_14default_configELb0EPK12hip_bfloat16PSP_PKlPlN2at6native12_GLOBAL__N_18offset_tEEE10hipError_tPvRmT1_PNSt15iterator_traitsIS13_E10value_typeET2_T3_PNS14_IS19_E10value_typeET4_jRbjT5_S1F_jjP12ihipStream_tbEUljE_ZNSN_ISO_Lb0ESR_SS_SU_SV_SZ_EES10_S11_S12_S13_S17_S18_S19_S1C_S1D_jS1E_jS1F_S1F_jjS1H_bEUljE0_EEES10_S11_S12_S19_S1D_S1F_T6_T7_T9_mT8_S1H_bDpT10_ENKUlT_T0_E_clISt17integral_constantIbLb0EES1U_IbLb1EEEEDaS1Q_S1R_EUlS1Q_E_NS1_11comp_targetILNS1_3genE5ELNS1_11target_archE942ELNS1_3gpuE9ELNS1_3repE0EEENS1_30default_config_static_selectorELNS0_4arch9wavefront6targetE0EEEvS13_
; %bb.0:
	.section	.rodata,"a",@progbits
	.p2align	6, 0x0
	.amdhsa_kernel _ZN7rocprim17ROCPRIM_400000_NS6detail17trampoline_kernelINS0_13select_configILj256ELj13ELNS0_17block_load_methodE3ELS4_3ELS4_3ELNS0_20block_scan_algorithmE0ELj4294967295EEENS1_25partition_config_selectorILNS1_17partition_subalgoE4EjNS0_10empty_typeEbEEZZNS1_14partition_implILS8_4ELb0ES6_15HIP_vector_typeIjLj2EENS0_17counting_iteratorIjlEEPS9_SG_NS0_5tupleIJPjSI_NS0_16reverse_iteratorISI_EEEEENSH_IJSG_SG_SG_EEES9_SI_JZNS1_25segmented_radix_sort_implINS0_14default_configELb0EPK12hip_bfloat16PSP_PKlPlN2at6native12_GLOBAL__N_18offset_tEEE10hipError_tPvRmT1_PNSt15iterator_traitsIS13_E10value_typeET2_T3_PNS14_IS19_E10value_typeET4_jRbjT5_S1F_jjP12ihipStream_tbEUljE_ZNSN_ISO_Lb0ESR_SS_SU_SV_SZ_EES10_S11_S12_S13_S17_S18_S19_S1C_S1D_jS1E_jS1F_S1F_jjS1H_bEUljE0_EEES10_S11_S12_S19_S1D_S1F_T6_T7_T9_mT8_S1H_bDpT10_ENKUlT_T0_E_clISt17integral_constantIbLb0EES1U_IbLb1EEEEDaS1Q_S1R_EUlS1Q_E_NS1_11comp_targetILNS1_3genE5ELNS1_11target_archE942ELNS1_3gpuE9ELNS1_3repE0EEENS1_30default_config_static_selectorELNS0_4arch9wavefront6targetE0EEEvS13_
		.amdhsa_group_segment_fixed_size 0
		.amdhsa_private_segment_fixed_size 0
		.amdhsa_kernarg_size 184
		.amdhsa_user_sgpr_count 6
		.amdhsa_user_sgpr_private_segment_buffer 1
		.amdhsa_user_sgpr_dispatch_ptr 0
		.amdhsa_user_sgpr_queue_ptr 0
		.amdhsa_user_sgpr_kernarg_segment_ptr 1
		.amdhsa_user_sgpr_dispatch_id 0
		.amdhsa_user_sgpr_flat_scratch_init 0
		.amdhsa_user_sgpr_private_segment_size 0
		.amdhsa_wavefront_size32 1
		.amdhsa_uses_dynamic_stack 0
		.amdhsa_system_sgpr_private_segment_wavefront_offset 0
		.amdhsa_system_sgpr_workgroup_id_x 1
		.amdhsa_system_sgpr_workgroup_id_y 0
		.amdhsa_system_sgpr_workgroup_id_z 0
		.amdhsa_system_sgpr_workgroup_info 0
		.amdhsa_system_vgpr_workitem_id 0
		.amdhsa_next_free_vgpr 1
		.amdhsa_next_free_sgpr 1
		.amdhsa_reserve_vcc 0
		.amdhsa_reserve_flat_scratch 0
		.amdhsa_float_round_mode_32 0
		.amdhsa_float_round_mode_16_64 0
		.amdhsa_float_denorm_mode_32 3
		.amdhsa_float_denorm_mode_16_64 3
		.amdhsa_dx10_clamp 1
		.amdhsa_ieee_mode 1
		.amdhsa_fp16_overflow 0
		.amdhsa_workgroup_processor_mode 1
		.amdhsa_memory_ordered 1
		.amdhsa_forward_progress 1
		.amdhsa_shared_vgpr_count 0
		.amdhsa_exception_fp_ieee_invalid_op 0
		.amdhsa_exception_fp_denorm_src 0
		.amdhsa_exception_fp_ieee_div_zero 0
		.amdhsa_exception_fp_ieee_overflow 0
		.amdhsa_exception_fp_ieee_underflow 0
		.amdhsa_exception_fp_ieee_inexact 0
		.amdhsa_exception_int_div_zero 0
	.end_amdhsa_kernel
	.section	.text._ZN7rocprim17ROCPRIM_400000_NS6detail17trampoline_kernelINS0_13select_configILj256ELj13ELNS0_17block_load_methodE3ELS4_3ELS4_3ELNS0_20block_scan_algorithmE0ELj4294967295EEENS1_25partition_config_selectorILNS1_17partition_subalgoE4EjNS0_10empty_typeEbEEZZNS1_14partition_implILS8_4ELb0ES6_15HIP_vector_typeIjLj2EENS0_17counting_iteratorIjlEEPS9_SG_NS0_5tupleIJPjSI_NS0_16reverse_iteratorISI_EEEEENSH_IJSG_SG_SG_EEES9_SI_JZNS1_25segmented_radix_sort_implINS0_14default_configELb0EPK12hip_bfloat16PSP_PKlPlN2at6native12_GLOBAL__N_18offset_tEEE10hipError_tPvRmT1_PNSt15iterator_traitsIS13_E10value_typeET2_T3_PNS14_IS19_E10value_typeET4_jRbjT5_S1F_jjP12ihipStream_tbEUljE_ZNSN_ISO_Lb0ESR_SS_SU_SV_SZ_EES10_S11_S12_S13_S17_S18_S19_S1C_S1D_jS1E_jS1F_S1F_jjS1H_bEUljE0_EEES10_S11_S12_S19_S1D_S1F_T6_T7_T9_mT8_S1H_bDpT10_ENKUlT_T0_E_clISt17integral_constantIbLb0EES1U_IbLb1EEEEDaS1Q_S1R_EUlS1Q_E_NS1_11comp_targetILNS1_3genE5ELNS1_11target_archE942ELNS1_3gpuE9ELNS1_3repE0EEENS1_30default_config_static_selectorELNS0_4arch9wavefront6targetE0EEEvS13_,"axG",@progbits,_ZN7rocprim17ROCPRIM_400000_NS6detail17trampoline_kernelINS0_13select_configILj256ELj13ELNS0_17block_load_methodE3ELS4_3ELS4_3ELNS0_20block_scan_algorithmE0ELj4294967295EEENS1_25partition_config_selectorILNS1_17partition_subalgoE4EjNS0_10empty_typeEbEEZZNS1_14partition_implILS8_4ELb0ES6_15HIP_vector_typeIjLj2EENS0_17counting_iteratorIjlEEPS9_SG_NS0_5tupleIJPjSI_NS0_16reverse_iteratorISI_EEEEENSH_IJSG_SG_SG_EEES9_SI_JZNS1_25segmented_radix_sort_implINS0_14default_configELb0EPK12hip_bfloat16PSP_PKlPlN2at6native12_GLOBAL__N_18offset_tEEE10hipError_tPvRmT1_PNSt15iterator_traitsIS13_E10value_typeET2_T3_PNS14_IS19_E10value_typeET4_jRbjT5_S1F_jjP12ihipStream_tbEUljE_ZNSN_ISO_Lb0ESR_SS_SU_SV_SZ_EES10_S11_S12_S13_S17_S18_S19_S1C_S1D_jS1E_jS1F_S1F_jjS1H_bEUljE0_EEES10_S11_S12_S19_S1D_S1F_T6_T7_T9_mT8_S1H_bDpT10_ENKUlT_T0_E_clISt17integral_constantIbLb0EES1U_IbLb1EEEEDaS1Q_S1R_EUlS1Q_E_NS1_11comp_targetILNS1_3genE5ELNS1_11target_archE942ELNS1_3gpuE9ELNS1_3repE0EEENS1_30default_config_static_selectorELNS0_4arch9wavefront6targetE0EEEvS13_,comdat
.Lfunc_end2000:
	.size	_ZN7rocprim17ROCPRIM_400000_NS6detail17trampoline_kernelINS0_13select_configILj256ELj13ELNS0_17block_load_methodE3ELS4_3ELS4_3ELNS0_20block_scan_algorithmE0ELj4294967295EEENS1_25partition_config_selectorILNS1_17partition_subalgoE4EjNS0_10empty_typeEbEEZZNS1_14partition_implILS8_4ELb0ES6_15HIP_vector_typeIjLj2EENS0_17counting_iteratorIjlEEPS9_SG_NS0_5tupleIJPjSI_NS0_16reverse_iteratorISI_EEEEENSH_IJSG_SG_SG_EEES9_SI_JZNS1_25segmented_radix_sort_implINS0_14default_configELb0EPK12hip_bfloat16PSP_PKlPlN2at6native12_GLOBAL__N_18offset_tEEE10hipError_tPvRmT1_PNSt15iterator_traitsIS13_E10value_typeET2_T3_PNS14_IS19_E10value_typeET4_jRbjT5_S1F_jjP12ihipStream_tbEUljE_ZNSN_ISO_Lb0ESR_SS_SU_SV_SZ_EES10_S11_S12_S13_S17_S18_S19_S1C_S1D_jS1E_jS1F_S1F_jjS1H_bEUljE0_EEES10_S11_S12_S19_S1D_S1F_T6_T7_T9_mT8_S1H_bDpT10_ENKUlT_T0_E_clISt17integral_constantIbLb0EES1U_IbLb1EEEEDaS1Q_S1R_EUlS1Q_E_NS1_11comp_targetILNS1_3genE5ELNS1_11target_archE942ELNS1_3gpuE9ELNS1_3repE0EEENS1_30default_config_static_selectorELNS0_4arch9wavefront6targetE0EEEvS13_, .Lfunc_end2000-_ZN7rocprim17ROCPRIM_400000_NS6detail17trampoline_kernelINS0_13select_configILj256ELj13ELNS0_17block_load_methodE3ELS4_3ELS4_3ELNS0_20block_scan_algorithmE0ELj4294967295EEENS1_25partition_config_selectorILNS1_17partition_subalgoE4EjNS0_10empty_typeEbEEZZNS1_14partition_implILS8_4ELb0ES6_15HIP_vector_typeIjLj2EENS0_17counting_iteratorIjlEEPS9_SG_NS0_5tupleIJPjSI_NS0_16reverse_iteratorISI_EEEEENSH_IJSG_SG_SG_EEES9_SI_JZNS1_25segmented_radix_sort_implINS0_14default_configELb0EPK12hip_bfloat16PSP_PKlPlN2at6native12_GLOBAL__N_18offset_tEEE10hipError_tPvRmT1_PNSt15iterator_traitsIS13_E10value_typeET2_T3_PNS14_IS19_E10value_typeET4_jRbjT5_S1F_jjP12ihipStream_tbEUljE_ZNSN_ISO_Lb0ESR_SS_SU_SV_SZ_EES10_S11_S12_S13_S17_S18_S19_S1C_S1D_jS1E_jS1F_S1F_jjS1H_bEUljE0_EEES10_S11_S12_S19_S1D_S1F_T6_T7_T9_mT8_S1H_bDpT10_ENKUlT_T0_E_clISt17integral_constantIbLb0EES1U_IbLb1EEEEDaS1Q_S1R_EUlS1Q_E_NS1_11comp_targetILNS1_3genE5ELNS1_11target_archE942ELNS1_3gpuE9ELNS1_3repE0EEENS1_30default_config_static_selectorELNS0_4arch9wavefront6targetE0EEEvS13_
                                        ; -- End function
	.set _ZN7rocprim17ROCPRIM_400000_NS6detail17trampoline_kernelINS0_13select_configILj256ELj13ELNS0_17block_load_methodE3ELS4_3ELS4_3ELNS0_20block_scan_algorithmE0ELj4294967295EEENS1_25partition_config_selectorILNS1_17partition_subalgoE4EjNS0_10empty_typeEbEEZZNS1_14partition_implILS8_4ELb0ES6_15HIP_vector_typeIjLj2EENS0_17counting_iteratorIjlEEPS9_SG_NS0_5tupleIJPjSI_NS0_16reverse_iteratorISI_EEEEENSH_IJSG_SG_SG_EEES9_SI_JZNS1_25segmented_radix_sort_implINS0_14default_configELb0EPK12hip_bfloat16PSP_PKlPlN2at6native12_GLOBAL__N_18offset_tEEE10hipError_tPvRmT1_PNSt15iterator_traitsIS13_E10value_typeET2_T3_PNS14_IS19_E10value_typeET4_jRbjT5_S1F_jjP12ihipStream_tbEUljE_ZNSN_ISO_Lb0ESR_SS_SU_SV_SZ_EES10_S11_S12_S13_S17_S18_S19_S1C_S1D_jS1E_jS1F_S1F_jjS1H_bEUljE0_EEES10_S11_S12_S19_S1D_S1F_T6_T7_T9_mT8_S1H_bDpT10_ENKUlT_T0_E_clISt17integral_constantIbLb0EES1U_IbLb1EEEEDaS1Q_S1R_EUlS1Q_E_NS1_11comp_targetILNS1_3genE5ELNS1_11target_archE942ELNS1_3gpuE9ELNS1_3repE0EEENS1_30default_config_static_selectorELNS0_4arch9wavefront6targetE0EEEvS13_.num_vgpr, 0
	.set _ZN7rocprim17ROCPRIM_400000_NS6detail17trampoline_kernelINS0_13select_configILj256ELj13ELNS0_17block_load_methodE3ELS4_3ELS4_3ELNS0_20block_scan_algorithmE0ELj4294967295EEENS1_25partition_config_selectorILNS1_17partition_subalgoE4EjNS0_10empty_typeEbEEZZNS1_14partition_implILS8_4ELb0ES6_15HIP_vector_typeIjLj2EENS0_17counting_iteratorIjlEEPS9_SG_NS0_5tupleIJPjSI_NS0_16reverse_iteratorISI_EEEEENSH_IJSG_SG_SG_EEES9_SI_JZNS1_25segmented_radix_sort_implINS0_14default_configELb0EPK12hip_bfloat16PSP_PKlPlN2at6native12_GLOBAL__N_18offset_tEEE10hipError_tPvRmT1_PNSt15iterator_traitsIS13_E10value_typeET2_T3_PNS14_IS19_E10value_typeET4_jRbjT5_S1F_jjP12ihipStream_tbEUljE_ZNSN_ISO_Lb0ESR_SS_SU_SV_SZ_EES10_S11_S12_S13_S17_S18_S19_S1C_S1D_jS1E_jS1F_S1F_jjS1H_bEUljE0_EEES10_S11_S12_S19_S1D_S1F_T6_T7_T9_mT8_S1H_bDpT10_ENKUlT_T0_E_clISt17integral_constantIbLb0EES1U_IbLb1EEEEDaS1Q_S1R_EUlS1Q_E_NS1_11comp_targetILNS1_3genE5ELNS1_11target_archE942ELNS1_3gpuE9ELNS1_3repE0EEENS1_30default_config_static_selectorELNS0_4arch9wavefront6targetE0EEEvS13_.num_agpr, 0
	.set _ZN7rocprim17ROCPRIM_400000_NS6detail17trampoline_kernelINS0_13select_configILj256ELj13ELNS0_17block_load_methodE3ELS4_3ELS4_3ELNS0_20block_scan_algorithmE0ELj4294967295EEENS1_25partition_config_selectorILNS1_17partition_subalgoE4EjNS0_10empty_typeEbEEZZNS1_14partition_implILS8_4ELb0ES6_15HIP_vector_typeIjLj2EENS0_17counting_iteratorIjlEEPS9_SG_NS0_5tupleIJPjSI_NS0_16reverse_iteratorISI_EEEEENSH_IJSG_SG_SG_EEES9_SI_JZNS1_25segmented_radix_sort_implINS0_14default_configELb0EPK12hip_bfloat16PSP_PKlPlN2at6native12_GLOBAL__N_18offset_tEEE10hipError_tPvRmT1_PNSt15iterator_traitsIS13_E10value_typeET2_T3_PNS14_IS19_E10value_typeET4_jRbjT5_S1F_jjP12ihipStream_tbEUljE_ZNSN_ISO_Lb0ESR_SS_SU_SV_SZ_EES10_S11_S12_S13_S17_S18_S19_S1C_S1D_jS1E_jS1F_S1F_jjS1H_bEUljE0_EEES10_S11_S12_S19_S1D_S1F_T6_T7_T9_mT8_S1H_bDpT10_ENKUlT_T0_E_clISt17integral_constantIbLb0EES1U_IbLb1EEEEDaS1Q_S1R_EUlS1Q_E_NS1_11comp_targetILNS1_3genE5ELNS1_11target_archE942ELNS1_3gpuE9ELNS1_3repE0EEENS1_30default_config_static_selectorELNS0_4arch9wavefront6targetE0EEEvS13_.numbered_sgpr, 0
	.set _ZN7rocprim17ROCPRIM_400000_NS6detail17trampoline_kernelINS0_13select_configILj256ELj13ELNS0_17block_load_methodE3ELS4_3ELS4_3ELNS0_20block_scan_algorithmE0ELj4294967295EEENS1_25partition_config_selectorILNS1_17partition_subalgoE4EjNS0_10empty_typeEbEEZZNS1_14partition_implILS8_4ELb0ES6_15HIP_vector_typeIjLj2EENS0_17counting_iteratorIjlEEPS9_SG_NS0_5tupleIJPjSI_NS0_16reverse_iteratorISI_EEEEENSH_IJSG_SG_SG_EEES9_SI_JZNS1_25segmented_radix_sort_implINS0_14default_configELb0EPK12hip_bfloat16PSP_PKlPlN2at6native12_GLOBAL__N_18offset_tEEE10hipError_tPvRmT1_PNSt15iterator_traitsIS13_E10value_typeET2_T3_PNS14_IS19_E10value_typeET4_jRbjT5_S1F_jjP12ihipStream_tbEUljE_ZNSN_ISO_Lb0ESR_SS_SU_SV_SZ_EES10_S11_S12_S13_S17_S18_S19_S1C_S1D_jS1E_jS1F_S1F_jjS1H_bEUljE0_EEES10_S11_S12_S19_S1D_S1F_T6_T7_T9_mT8_S1H_bDpT10_ENKUlT_T0_E_clISt17integral_constantIbLb0EES1U_IbLb1EEEEDaS1Q_S1R_EUlS1Q_E_NS1_11comp_targetILNS1_3genE5ELNS1_11target_archE942ELNS1_3gpuE9ELNS1_3repE0EEENS1_30default_config_static_selectorELNS0_4arch9wavefront6targetE0EEEvS13_.num_named_barrier, 0
	.set _ZN7rocprim17ROCPRIM_400000_NS6detail17trampoline_kernelINS0_13select_configILj256ELj13ELNS0_17block_load_methodE3ELS4_3ELS4_3ELNS0_20block_scan_algorithmE0ELj4294967295EEENS1_25partition_config_selectorILNS1_17partition_subalgoE4EjNS0_10empty_typeEbEEZZNS1_14partition_implILS8_4ELb0ES6_15HIP_vector_typeIjLj2EENS0_17counting_iteratorIjlEEPS9_SG_NS0_5tupleIJPjSI_NS0_16reverse_iteratorISI_EEEEENSH_IJSG_SG_SG_EEES9_SI_JZNS1_25segmented_radix_sort_implINS0_14default_configELb0EPK12hip_bfloat16PSP_PKlPlN2at6native12_GLOBAL__N_18offset_tEEE10hipError_tPvRmT1_PNSt15iterator_traitsIS13_E10value_typeET2_T3_PNS14_IS19_E10value_typeET4_jRbjT5_S1F_jjP12ihipStream_tbEUljE_ZNSN_ISO_Lb0ESR_SS_SU_SV_SZ_EES10_S11_S12_S13_S17_S18_S19_S1C_S1D_jS1E_jS1F_S1F_jjS1H_bEUljE0_EEES10_S11_S12_S19_S1D_S1F_T6_T7_T9_mT8_S1H_bDpT10_ENKUlT_T0_E_clISt17integral_constantIbLb0EES1U_IbLb1EEEEDaS1Q_S1R_EUlS1Q_E_NS1_11comp_targetILNS1_3genE5ELNS1_11target_archE942ELNS1_3gpuE9ELNS1_3repE0EEENS1_30default_config_static_selectorELNS0_4arch9wavefront6targetE0EEEvS13_.private_seg_size, 0
	.set _ZN7rocprim17ROCPRIM_400000_NS6detail17trampoline_kernelINS0_13select_configILj256ELj13ELNS0_17block_load_methodE3ELS4_3ELS4_3ELNS0_20block_scan_algorithmE0ELj4294967295EEENS1_25partition_config_selectorILNS1_17partition_subalgoE4EjNS0_10empty_typeEbEEZZNS1_14partition_implILS8_4ELb0ES6_15HIP_vector_typeIjLj2EENS0_17counting_iteratorIjlEEPS9_SG_NS0_5tupleIJPjSI_NS0_16reverse_iteratorISI_EEEEENSH_IJSG_SG_SG_EEES9_SI_JZNS1_25segmented_radix_sort_implINS0_14default_configELb0EPK12hip_bfloat16PSP_PKlPlN2at6native12_GLOBAL__N_18offset_tEEE10hipError_tPvRmT1_PNSt15iterator_traitsIS13_E10value_typeET2_T3_PNS14_IS19_E10value_typeET4_jRbjT5_S1F_jjP12ihipStream_tbEUljE_ZNSN_ISO_Lb0ESR_SS_SU_SV_SZ_EES10_S11_S12_S13_S17_S18_S19_S1C_S1D_jS1E_jS1F_S1F_jjS1H_bEUljE0_EEES10_S11_S12_S19_S1D_S1F_T6_T7_T9_mT8_S1H_bDpT10_ENKUlT_T0_E_clISt17integral_constantIbLb0EES1U_IbLb1EEEEDaS1Q_S1R_EUlS1Q_E_NS1_11comp_targetILNS1_3genE5ELNS1_11target_archE942ELNS1_3gpuE9ELNS1_3repE0EEENS1_30default_config_static_selectorELNS0_4arch9wavefront6targetE0EEEvS13_.uses_vcc, 0
	.set _ZN7rocprim17ROCPRIM_400000_NS6detail17trampoline_kernelINS0_13select_configILj256ELj13ELNS0_17block_load_methodE3ELS4_3ELS4_3ELNS0_20block_scan_algorithmE0ELj4294967295EEENS1_25partition_config_selectorILNS1_17partition_subalgoE4EjNS0_10empty_typeEbEEZZNS1_14partition_implILS8_4ELb0ES6_15HIP_vector_typeIjLj2EENS0_17counting_iteratorIjlEEPS9_SG_NS0_5tupleIJPjSI_NS0_16reverse_iteratorISI_EEEEENSH_IJSG_SG_SG_EEES9_SI_JZNS1_25segmented_radix_sort_implINS0_14default_configELb0EPK12hip_bfloat16PSP_PKlPlN2at6native12_GLOBAL__N_18offset_tEEE10hipError_tPvRmT1_PNSt15iterator_traitsIS13_E10value_typeET2_T3_PNS14_IS19_E10value_typeET4_jRbjT5_S1F_jjP12ihipStream_tbEUljE_ZNSN_ISO_Lb0ESR_SS_SU_SV_SZ_EES10_S11_S12_S13_S17_S18_S19_S1C_S1D_jS1E_jS1F_S1F_jjS1H_bEUljE0_EEES10_S11_S12_S19_S1D_S1F_T6_T7_T9_mT8_S1H_bDpT10_ENKUlT_T0_E_clISt17integral_constantIbLb0EES1U_IbLb1EEEEDaS1Q_S1R_EUlS1Q_E_NS1_11comp_targetILNS1_3genE5ELNS1_11target_archE942ELNS1_3gpuE9ELNS1_3repE0EEENS1_30default_config_static_selectorELNS0_4arch9wavefront6targetE0EEEvS13_.uses_flat_scratch, 0
	.set _ZN7rocprim17ROCPRIM_400000_NS6detail17trampoline_kernelINS0_13select_configILj256ELj13ELNS0_17block_load_methodE3ELS4_3ELS4_3ELNS0_20block_scan_algorithmE0ELj4294967295EEENS1_25partition_config_selectorILNS1_17partition_subalgoE4EjNS0_10empty_typeEbEEZZNS1_14partition_implILS8_4ELb0ES6_15HIP_vector_typeIjLj2EENS0_17counting_iteratorIjlEEPS9_SG_NS0_5tupleIJPjSI_NS0_16reverse_iteratorISI_EEEEENSH_IJSG_SG_SG_EEES9_SI_JZNS1_25segmented_radix_sort_implINS0_14default_configELb0EPK12hip_bfloat16PSP_PKlPlN2at6native12_GLOBAL__N_18offset_tEEE10hipError_tPvRmT1_PNSt15iterator_traitsIS13_E10value_typeET2_T3_PNS14_IS19_E10value_typeET4_jRbjT5_S1F_jjP12ihipStream_tbEUljE_ZNSN_ISO_Lb0ESR_SS_SU_SV_SZ_EES10_S11_S12_S13_S17_S18_S19_S1C_S1D_jS1E_jS1F_S1F_jjS1H_bEUljE0_EEES10_S11_S12_S19_S1D_S1F_T6_T7_T9_mT8_S1H_bDpT10_ENKUlT_T0_E_clISt17integral_constantIbLb0EES1U_IbLb1EEEEDaS1Q_S1R_EUlS1Q_E_NS1_11comp_targetILNS1_3genE5ELNS1_11target_archE942ELNS1_3gpuE9ELNS1_3repE0EEENS1_30default_config_static_selectorELNS0_4arch9wavefront6targetE0EEEvS13_.has_dyn_sized_stack, 0
	.set _ZN7rocprim17ROCPRIM_400000_NS6detail17trampoline_kernelINS0_13select_configILj256ELj13ELNS0_17block_load_methodE3ELS4_3ELS4_3ELNS0_20block_scan_algorithmE0ELj4294967295EEENS1_25partition_config_selectorILNS1_17partition_subalgoE4EjNS0_10empty_typeEbEEZZNS1_14partition_implILS8_4ELb0ES6_15HIP_vector_typeIjLj2EENS0_17counting_iteratorIjlEEPS9_SG_NS0_5tupleIJPjSI_NS0_16reverse_iteratorISI_EEEEENSH_IJSG_SG_SG_EEES9_SI_JZNS1_25segmented_radix_sort_implINS0_14default_configELb0EPK12hip_bfloat16PSP_PKlPlN2at6native12_GLOBAL__N_18offset_tEEE10hipError_tPvRmT1_PNSt15iterator_traitsIS13_E10value_typeET2_T3_PNS14_IS19_E10value_typeET4_jRbjT5_S1F_jjP12ihipStream_tbEUljE_ZNSN_ISO_Lb0ESR_SS_SU_SV_SZ_EES10_S11_S12_S13_S17_S18_S19_S1C_S1D_jS1E_jS1F_S1F_jjS1H_bEUljE0_EEES10_S11_S12_S19_S1D_S1F_T6_T7_T9_mT8_S1H_bDpT10_ENKUlT_T0_E_clISt17integral_constantIbLb0EES1U_IbLb1EEEEDaS1Q_S1R_EUlS1Q_E_NS1_11comp_targetILNS1_3genE5ELNS1_11target_archE942ELNS1_3gpuE9ELNS1_3repE0EEENS1_30default_config_static_selectorELNS0_4arch9wavefront6targetE0EEEvS13_.has_recursion, 0
	.set _ZN7rocprim17ROCPRIM_400000_NS6detail17trampoline_kernelINS0_13select_configILj256ELj13ELNS0_17block_load_methodE3ELS4_3ELS4_3ELNS0_20block_scan_algorithmE0ELj4294967295EEENS1_25partition_config_selectorILNS1_17partition_subalgoE4EjNS0_10empty_typeEbEEZZNS1_14partition_implILS8_4ELb0ES6_15HIP_vector_typeIjLj2EENS0_17counting_iteratorIjlEEPS9_SG_NS0_5tupleIJPjSI_NS0_16reverse_iteratorISI_EEEEENSH_IJSG_SG_SG_EEES9_SI_JZNS1_25segmented_radix_sort_implINS0_14default_configELb0EPK12hip_bfloat16PSP_PKlPlN2at6native12_GLOBAL__N_18offset_tEEE10hipError_tPvRmT1_PNSt15iterator_traitsIS13_E10value_typeET2_T3_PNS14_IS19_E10value_typeET4_jRbjT5_S1F_jjP12ihipStream_tbEUljE_ZNSN_ISO_Lb0ESR_SS_SU_SV_SZ_EES10_S11_S12_S13_S17_S18_S19_S1C_S1D_jS1E_jS1F_S1F_jjS1H_bEUljE0_EEES10_S11_S12_S19_S1D_S1F_T6_T7_T9_mT8_S1H_bDpT10_ENKUlT_T0_E_clISt17integral_constantIbLb0EES1U_IbLb1EEEEDaS1Q_S1R_EUlS1Q_E_NS1_11comp_targetILNS1_3genE5ELNS1_11target_archE942ELNS1_3gpuE9ELNS1_3repE0EEENS1_30default_config_static_selectorELNS0_4arch9wavefront6targetE0EEEvS13_.has_indirect_call, 0
	.section	.AMDGPU.csdata,"",@progbits
; Kernel info:
; codeLenInByte = 0
; TotalNumSgprs: 0
; NumVgprs: 0
; ScratchSize: 0
; MemoryBound: 0
; FloatMode: 240
; IeeeMode: 1
; LDSByteSize: 0 bytes/workgroup (compile time only)
; SGPRBlocks: 0
; VGPRBlocks: 0
; NumSGPRsForWavesPerEU: 1
; NumVGPRsForWavesPerEU: 1
; Occupancy: 16
; WaveLimiterHint : 0
; COMPUTE_PGM_RSRC2:SCRATCH_EN: 0
; COMPUTE_PGM_RSRC2:USER_SGPR: 6
; COMPUTE_PGM_RSRC2:TRAP_HANDLER: 0
; COMPUTE_PGM_RSRC2:TGID_X_EN: 1
; COMPUTE_PGM_RSRC2:TGID_Y_EN: 0
; COMPUTE_PGM_RSRC2:TGID_Z_EN: 0
; COMPUTE_PGM_RSRC2:TIDIG_COMP_CNT: 0
	.section	.text._ZN7rocprim17ROCPRIM_400000_NS6detail17trampoline_kernelINS0_13select_configILj256ELj13ELNS0_17block_load_methodE3ELS4_3ELS4_3ELNS0_20block_scan_algorithmE0ELj4294967295EEENS1_25partition_config_selectorILNS1_17partition_subalgoE4EjNS0_10empty_typeEbEEZZNS1_14partition_implILS8_4ELb0ES6_15HIP_vector_typeIjLj2EENS0_17counting_iteratorIjlEEPS9_SG_NS0_5tupleIJPjSI_NS0_16reverse_iteratorISI_EEEEENSH_IJSG_SG_SG_EEES9_SI_JZNS1_25segmented_radix_sort_implINS0_14default_configELb0EPK12hip_bfloat16PSP_PKlPlN2at6native12_GLOBAL__N_18offset_tEEE10hipError_tPvRmT1_PNSt15iterator_traitsIS13_E10value_typeET2_T3_PNS14_IS19_E10value_typeET4_jRbjT5_S1F_jjP12ihipStream_tbEUljE_ZNSN_ISO_Lb0ESR_SS_SU_SV_SZ_EES10_S11_S12_S13_S17_S18_S19_S1C_S1D_jS1E_jS1F_S1F_jjS1H_bEUljE0_EEES10_S11_S12_S19_S1D_S1F_T6_T7_T9_mT8_S1H_bDpT10_ENKUlT_T0_E_clISt17integral_constantIbLb0EES1U_IbLb1EEEEDaS1Q_S1R_EUlS1Q_E_NS1_11comp_targetILNS1_3genE4ELNS1_11target_archE910ELNS1_3gpuE8ELNS1_3repE0EEENS1_30default_config_static_selectorELNS0_4arch9wavefront6targetE0EEEvS13_,"axG",@progbits,_ZN7rocprim17ROCPRIM_400000_NS6detail17trampoline_kernelINS0_13select_configILj256ELj13ELNS0_17block_load_methodE3ELS4_3ELS4_3ELNS0_20block_scan_algorithmE0ELj4294967295EEENS1_25partition_config_selectorILNS1_17partition_subalgoE4EjNS0_10empty_typeEbEEZZNS1_14partition_implILS8_4ELb0ES6_15HIP_vector_typeIjLj2EENS0_17counting_iteratorIjlEEPS9_SG_NS0_5tupleIJPjSI_NS0_16reverse_iteratorISI_EEEEENSH_IJSG_SG_SG_EEES9_SI_JZNS1_25segmented_radix_sort_implINS0_14default_configELb0EPK12hip_bfloat16PSP_PKlPlN2at6native12_GLOBAL__N_18offset_tEEE10hipError_tPvRmT1_PNSt15iterator_traitsIS13_E10value_typeET2_T3_PNS14_IS19_E10value_typeET4_jRbjT5_S1F_jjP12ihipStream_tbEUljE_ZNSN_ISO_Lb0ESR_SS_SU_SV_SZ_EES10_S11_S12_S13_S17_S18_S19_S1C_S1D_jS1E_jS1F_S1F_jjS1H_bEUljE0_EEES10_S11_S12_S19_S1D_S1F_T6_T7_T9_mT8_S1H_bDpT10_ENKUlT_T0_E_clISt17integral_constantIbLb0EES1U_IbLb1EEEEDaS1Q_S1R_EUlS1Q_E_NS1_11comp_targetILNS1_3genE4ELNS1_11target_archE910ELNS1_3gpuE8ELNS1_3repE0EEENS1_30default_config_static_selectorELNS0_4arch9wavefront6targetE0EEEvS13_,comdat
	.globl	_ZN7rocprim17ROCPRIM_400000_NS6detail17trampoline_kernelINS0_13select_configILj256ELj13ELNS0_17block_load_methodE3ELS4_3ELS4_3ELNS0_20block_scan_algorithmE0ELj4294967295EEENS1_25partition_config_selectorILNS1_17partition_subalgoE4EjNS0_10empty_typeEbEEZZNS1_14partition_implILS8_4ELb0ES6_15HIP_vector_typeIjLj2EENS0_17counting_iteratorIjlEEPS9_SG_NS0_5tupleIJPjSI_NS0_16reverse_iteratorISI_EEEEENSH_IJSG_SG_SG_EEES9_SI_JZNS1_25segmented_radix_sort_implINS0_14default_configELb0EPK12hip_bfloat16PSP_PKlPlN2at6native12_GLOBAL__N_18offset_tEEE10hipError_tPvRmT1_PNSt15iterator_traitsIS13_E10value_typeET2_T3_PNS14_IS19_E10value_typeET4_jRbjT5_S1F_jjP12ihipStream_tbEUljE_ZNSN_ISO_Lb0ESR_SS_SU_SV_SZ_EES10_S11_S12_S13_S17_S18_S19_S1C_S1D_jS1E_jS1F_S1F_jjS1H_bEUljE0_EEES10_S11_S12_S19_S1D_S1F_T6_T7_T9_mT8_S1H_bDpT10_ENKUlT_T0_E_clISt17integral_constantIbLb0EES1U_IbLb1EEEEDaS1Q_S1R_EUlS1Q_E_NS1_11comp_targetILNS1_3genE4ELNS1_11target_archE910ELNS1_3gpuE8ELNS1_3repE0EEENS1_30default_config_static_selectorELNS0_4arch9wavefront6targetE0EEEvS13_ ; -- Begin function _ZN7rocprim17ROCPRIM_400000_NS6detail17trampoline_kernelINS0_13select_configILj256ELj13ELNS0_17block_load_methodE3ELS4_3ELS4_3ELNS0_20block_scan_algorithmE0ELj4294967295EEENS1_25partition_config_selectorILNS1_17partition_subalgoE4EjNS0_10empty_typeEbEEZZNS1_14partition_implILS8_4ELb0ES6_15HIP_vector_typeIjLj2EENS0_17counting_iteratorIjlEEPS9_SG_NS0_5tupleIJPjSI_NS0_16reverse_iteratorISI_EEEEENSH_IJSG_SG_SG_EEES9_SI_JZNS1_25segmented_radix_sort_implINS0_14default_configELb0EPK12hip_bfloat16PSP_PKlPlN2at6native12_GLOBAL__N_18offset_tEEE10hipError_tPvRmT1_PNSt15iterator_traitsIS13_E10value_typeET2_T3_PNS14_IS19_E10value_typeET4_jRbjT5_S1F_jjP12ihipStream_tbEUljE_ZNSN_ISO_Lb0ESR_SS_SU_SV_SZ_EES10_S11_S12_S13_S17_S18_S19_S1C_S1D_jS1E_jS1F_S1F_jjS1H_bEUljE0_EEES10_S11_S12_S19_S1D_S1F_T6_T7_T9_mT8_S1H_bDpT10_ENKUlT_T0_E_clISt17integral_constantIbLb0EES1U_IbLb1EEEEDaS1Q_S1R_EUlS1Q_E_NS1_11comp_targetILNS1_3genE4ELNS1_11target_archE910ELNS1_3gpuE8ELNS1_3repE0EEENS1_30default_config_static_selectorELNS0_4arch9wavefront6targetE0EEEvS13_
	.p2align	8
	.type	_ZN7rocprim17ROCPRIM_400000_NS6detail17trampoline_kernelINS0_13select_configILj256ELj13ELNS0_17block_load_methodE3ELS4_3ELS4_3ELNS0_20block_scan_algorithmE0ELj4294967295EEENS1_25partition_config_selectorILNS1_17partition_subalgoE4EjNS0_10empty_typeEbEEZZNS1_14partition_implILS8_4ELb0ES6_15HIP_vector_typeIjLj2EENS0_17counting_iteratorIjlEEPS9_SG_NS0_5tupleIJPjSI_NS0_16reverse_iteratorISI_EEEEENSH_IJSG_SG_SG_EEES9_SI_JZNS1_25segmented_radix_sort_implINS0_14default_configELb0EPK12hip_bfloat16PSP_PKlPlN2at6native12_GLOBAL__N_18offset_tEEE10hipError_tPvRmT1_PNSt15iterator_traitsIS13_E10value_typeET2_T3_PNS14_IS19_E10value_typeET4_jRbjT5_S1F_jjP12ihipStream_tbEUljE_ZNSN_ISO_Lb0ESR_SS_SU_SV_SZ_EES10_S11_S12_S13_S17_S18_S19_S1C_S1D_jS1E_jS1F_S1F_jjS1H_bEUljE0_EEES10_S11_S12_S19_S1D_S1F_T6_T7_T9_mT8_S1H_bDpT10_ENKUlT_T0_E_clISt17integral_constantIbLb0EES1U_IbLb1EEEEDaS1Q_S1R_EUlS1Q_E_NS1_11comp_targetILNS1_3genE4ELNS1_11target_archE910ELNS1_3gpuE8ELNS1_3repE0EEENS1_30default_config_static_selectorELNS0_4arch9wavefront6targetE0EEEvS13_,@function
_ZN7rocprim17ROCPRIM_400000_NS6detail17trampoline_kernelINS0_13select_configILj256ELj13ELNS0_17block_load_methodE3ELS4_3ELS4_3ELNS0_20block_scan_algorithmE0ELj4294967295EEENS1_25partition_config_selectorILNS1_17partition_subalgoE4EjNS0_10empty_typeEbEEZZNS1_14partition_implILS8_4ELb0ES6_15HIP_vector_typeIjLj2EENS0_17counting_iteratorIjlEEPS9_SG_NS0_5tupleIJPjSI_NS0_16reverse_iteratorISI_EEEEENSH_IJSG_SG_SG_EEES9_SI_JZNS1_25segmented_radix_sort_implINS0_14default_configELb0EPK12hip_bfloat16PSP_PKlPlN2at6native12_GLOBAL__N_18offset_tEEE10hipError_tPvRmT1_PNSt15iterator_traitsIS13_E10value_typeET2_T3_PNS14_IS19_E10value_typeET4_jRbjT5_S1F_jjP12ihipStream_tbEUljE_ZNSN_ISO_Lb0ESR_SS_SU_SV_SZ_EES10_S11_S12_S13_S17_S18_S19_S1C_S1D_jS1E_jS1F_S1F_jjS1H_bEUljE0_EEES10_S11_S12_S19_S1D_S1F_T6_T7_T9_mT8_S1H_bDpT10_ENKUlT_T0_E_clISt17integral_constantIbLb0EES1U_IbLb1EEEEDaS1Q_S1R_EUlS1Q_E_NS1_11comp_targetILNS1_3genE4ELNS1_11target_archE910ELNS1_3gpuE8ELNS1_3repE0EEENS1_30default_config_static_selectorELNS0_4arch9wavefront6targetE0EEEvS13_: ; @_ZN7rocprim17ROCPRIM_400000_NS6detail17trampoline_kernelINS0_13select_configILj256ELj13ELNS0_17block_load_methodE3ELS4_3ELS4_3ELNS0_20block_scan_algorithmE0ELj4294967295EEENS1_25partition_config_selectorILNS1_17partition_subalgoE4EjNS0_10empty_typeEbEEZZNS1_14partition_implILS8_4ELb0ES6_15HIP_vector_typeIjLj2EENS0_17counting_iteratorIjlEEPS9_SG_NS0_5tupleIJPjSI_NS0_16reverse_iteratorISI_EEEEENSH_IJSG_SG_SG_EEES9_SI_JZNS1_25segmented_radix_sort_implINS0_14default_configELb0EPK12hip_bfloat16PSP_PKlPlN2at6native12_GLOBAL__N_18offset_tEEE10hipError_tPvRmT1_PNSt15iterator_traitsIS13_E10value_typeET2_T3_PNS14_IS19_E10value_typeET4_jRbjT5_S1F_jjP12ihipStream_tbEUljE_ZNSN_ISO_Lb0ESR_SS_SU_SV_SZ_EES10_S11_S12_S13_S17_S18_S19_S1C_S1D_jS1E_jS1F_S1F_jjS1H_bEUljE0_EEES10_S11_S12_S19_S1D_S1F_T6_T7_T9_mT8_S1H_bDpT10_ENKUlT_T0_E_clISt17integral_constantIbLb0EES1U_IbLb1EEEEDaS1Q_S1R_EUlS1Q_E_NS1_11comp_targetILNS1_3genE4ELNS1_11target_archE910ELNS1_3gpuE8ELNS1_3repE0EEENS1_30default_config_static_selectorELNS0_4arch9wavefront6targetE0EEEvS13_
; %bb.0:
	.section	.rodata,"a",@progbits
	.p2align	6, 0x0
	.amdhsa_kernel _ZN7rocprim17ROCPRIM_400000_NS6detail17trampoline_kernelINS0_13select_configILj256ELj13ELNS0_17block_load_methodE3ELS4_3ELS4_3ELNS0_20block_scan_algorithmE0ELj4294967295EEENS1_25partition_config_selectorILNS1_17partition_subalgoE4EjNS0_10empty_typeEbEEZZNS1_14partition_implILS8_4ELb0ES6_15HIP_vector_typeIjLj2EENS0_17counting_iteratorIjlEEPS9_SG_NS0_5tupleIJPjSI_NS0_16reverse_iteratorISI_EEEEENSH_IJSG_SG_SG_EEES9_SI_JZNS1_25segmented_radix_sort_implINS0_14default_configELb0EPK12hip_bfloat16PSP_PKlPlN2at6native12_GLOBAL__N_18offset_tEEE10hipError_tPvRmT1_PNSt15iterator_traitsIS13_E10value_typeET2_T3_PNS14_IS19_E10value_typeET4_jRbjT5_S1F_jjP12ihipStream_tbEUljE_ZNSN_ISO_Lb0ESR_SS_SU_SV_SZ_EES10_S11_S12_S13_S17_S18_S19_S1C_S1D_jS1E_jS1F_S1F_jjS1H_bEUljE0_EEES10_S11_S12_S19_S1D_S1F_T6_T7_T9_mT8_S1H_bDpT10_ENKUlT_T0_E_clISt17integral_constantIbLb0EES1U_IbLb1EEEEDaS1Q_S1R_EUlS1Q_E_NS1_11comp_targetILNS1_3genE4ELNS1_11target_archE910ELNS1_3gpuE8ELNS1_3repE0EEENS1_30default_config_static_selectorELNS0_4arch9wavefront6targetE0EEEvS13_
		.amdhsa_group_segment_fixed_size 0
		.amdhsa_private_segment_fixed_size 0
		.amdhsa_kernarg_size 184
		.amdhsa_user_sgpr_count 6
		.amdhsa_user_sgpr_private_segment_buffer 1
		.amdhsa_user_sgpr_dispatch_ptr 0
		.amdhsa_user_sgpr_queue_ptr 0
		.amdhsa_user_sgpr_kernarg_segment_ptr 1
		.amdhsa_user_sgpr_dispatch_id 0
		.amdhsa_user_sgpr_flat_scratch_init 0
		.amdhsa_user_sgpr_private_segment_size 0
		.amdhsa_wavefront_size32 1
		.amdhsa_uses_dynamic_stack 0
		.amdhsa_system_sgpr_private_segment_wavefront_offset 0
		.amdhsa_system_sgpr_workgroup_id_x 1
		.amdhsa_system_sgpr_workgroup_id_y 0
		.amdhsa_system_sgpr_workgroup_id_z 0
		.amdhsa_system_sgpr_workgroup_info 0
		.amdhsa_system_vgpr_workitem_id 0
		.amdhsa_next_free_vgpr 1
		.amdhsa_next_free_sgpr 1
		.amdhsa_reserve_vcc 0
		.amdhsa_reserve_flat_scratch 0
		.amdhsa_float_round_mode_32 0
		.amdhsa_float_round_mode_16_64 0
		.amdhsa_float_denorm_mode_32 3
		.amdhsa_float_denorm_mode_16_64 3
		.amdhsa_dx10_clamp 1
		.amdhsa_ieee_mode 1
		.amdhsa_fp16_overflow 0
		.amdhsa_workgroup_processor_mode 1
		.amdhsa_memory_ordered 1
		.amdhsa_forward_progress 1
		.amdhsa_shared_vgpr_count 0
		.amdhsa_exception_fp_ieee_invalid_op 0
		.amdhsa_exception_fp_denorm_src 0
		.amdhsa_exception_fp_ieee_div_zero 0
		.amdhsa_exception_fp_ieee_overflow 0
		.amdhsa_exception_fp_ieee_underflow 0
		.amdhsa_exception_fp_ieee_inexact 0
		.amdhsa_exception_int_div_zero 0
	.end_amdhsa_kernel
	.section	.text._ZN7rocprim17ROCPRIM_400000_NS6detail17trampoline_kernelINS0_13select_configILj256ELj13ELNS0_17block_load_methodE3ELS4_3ELS4_3ELNS0_20block_scan_algorithmE0ELj4294967295EEENS1_25partition_config_selectorILNS1_17partition_subalgoE4EjNS0_10empty_typeEbEEZZNS1_14partition_implILS8_4ELb0ES6_15HIP_vector_typeIjLj2EENS0_17counting_iteratorIjlEEPS9_SG_NS0_5tupleIJPjSI_NS0_16reverse_iteratorISI_EEEEENSH_IJSG_SG_SG_EEES9_SI_JZNS1_25segmented_radix_sort_implINS0_14default_configELb0EPK12hip_bfloat16PSP_PKlPlN2at6native12_GLOBAL__N_18offset_tEEE10hipError_tPvRmT1_PNSt15iterator_traitsIS13_E10value_typeET2_T3_PNS14_IS19_E10value_typeET4_jRbjT5_S1F_jjP12ihipStream_tbEUljE_ZNSN_ISO_Lb0ESR_SS_SU_SV_SZ_EES10_S11_S12_S13_S17_S18_S19_S1C_S1D_jS1E_jS1F_S1F_jjS1H_bEUljE0_EEES10_S11_S12_S19_S1D_S1F_T6_T7_T9_mT8_S1H_bDpT10_ENKUlT_T0_E_clISt17integral_constantIbLb0EES1U_IbLb1EEEEDaS1Q_S1R_EUlS1Q_E_NS1_11comp_targetILNS1_3genE4ELNS1_11target_archE910ELNS1_3gpuE8ELNS1_3repE0EEENS1_30default_config_static_selectorELNS0_4arch9wavefront6targetE0EEEvS13_,"axG",@progbits,_ZN7rocprim17ROCPRIM_400000_NS6detail17trampoline_kernelINS0_13select_configILj256ELj13ELNS0_17block_load_methodE3ELS4_3ELS4_3ELNS0_20block_scan_algorithmE0ELj4294967295EEENS1_25partition_config_selectorILNS1_17partition_subalgoE4EjNS0_10empty_typeEbEEZZNS1_14partition_implILS8_4ELb0ES6_15HIP_vector_typeIjLj2EENS0_17counting_iteratorIjlEEPS9_SG_NS0_5tupleIJPjSI_NS0_16reverse_iteratorISI_EEEEENSH_IJSG_SG_SG_EEES9_SI_JZNS1_25segmented_radix_sort_implINS0_14default_configELb0EPK12hip_bfloat16PSP_PKlPlN2at6native12_GLOBAL__N_18offset_tEEE10hipError_tPvRmT1_PNSt15iterator_traitsIS13_E10value_typeET2_T3_PNS14_IS19_E10value_typeET4_jRbjT5_S1F_jjP12ihipStream_tbEUljE_ZNSN_ISO_Lb0ESR_SS_SU_SV_SZ_EES10_S11_S12_S13_S17_S18_S19_S1C_S1D_jS1E_jS1F_S1F_jjS1H_bEUljE0_EEES10_S11_S12_S19_S1D_S1F_T6_T7_T9_mT8_S1H_bDpT10_ENKUlT_T0_E_clISt17integral_constantIbLb0EES1U_IbLb1EEEEDaS1Q_S1R_EUlS1Q_E_NS1_11comp_targetILNS1_3genE4ELNS1_11target_archE910ELNS1_3gpuE8ELNS1_3repE0EEENS1_30default_config_static_selectorELNS0_4arch9wavefront6targetE0EEEvS13_,comdat
.Lfunc_end2001:
	.size	_ZN7rocprim17ROCPRIM_400000_NS6detail17trampoline_kernelINS0_13select_configILj256ELj13ELNS0_17block_load_methodE3ELS4_3ELS4_3ELNS0_20block_scan_algorithmE0ELj4294967295EEENS1_25partition_config_selectorILNS1_17partition_subalgoE4EjNS0_10empty_typeEbEEZZNS1_14partition_implILS8_4ELb0ES6_15HIP_vector_typeIjLj2EENS0_17counting_iteratorIjlEEPS9_SG_NS0_5tupleIJPjSI_NS0_16reverse_iteratorISI_EEEEENSH_IJSG_SG_SG_EEES9_SI_JZNS1_25segmented_radix_sort_implINS0_14default_configELb0EPK12hip_bfloat16PSP_PKlPlN2at6native12_GLOBAL__N_18offset_tEEE10hipError_tPvRmT1_PNSt15iterator_traitsIS13_E10value_typeET2_T3_PNS14_IS19_E10value_typeET4_jRbjT5_S1F_jjP12ihipStream_tbEUljE_ZNSN_ISO_Lb0ESR_SS_SU_SV_SZ_EES10_S11_S12_S13_S17_S18_S19_S1C_S1D_jS1E_jS1F_S1F_jjS1H_bEUljE0_EEES10_S11_S12_S19_S1D_S1F_T6_T7_T9_mT8_S1H_bDpT10_ENKUlT_T0_E_clISt17integral_constantIbLb0EES1U_IbLb1EEEEDaS1Q_S1R_EUlS1Q_E_NS1_11comp_targetILNS1_3genE4ELNS1_11target_archE910ELNS1_3gpuE8ELNS1_3repE0EEENS1_30default_config_static_selectorELNS0_4arch9wavefront6targetE0EEEvS13_, .Lfunc_end2001-_ZN7rocprim17ROCPRIM_400000_NS6detail17trampoline_kernelINS0_13select_configILj256ELj13ELNS0_17block_load_methodE3ELS4_3ELS4_3ELNS0_20block_scan_algorithmE0ELj4294967295EEENS1_25partition_config_selectorILNS1_17partition_subalgoE4EjNS0_10empty_typeEbEEZZNS1_14partition_implILS8_4ELb0ES6_15HIP_vector_typeIjLj2EENS0_17counting_iteratorIjlEEPS9_SG_NS0_5tupleIJPjSI_NS0_16reverse_iteratorISI_EEEEENSH_IJSG_SG_SG_EEES9_SI_JZNS1_25segmented_radix_sort_implINS0_14default_configELb0EPK12hip_bfloat16PSP_PKlPlN2at6native12_GLOBAL__N_18offset_tEEE10hipError_tPvRmT1_PNSt15iterator_traitsIS13_E10value_typeET2_T3_PNS14_IS19_E10value_typeET4_jRbjT5_S1F_jjP12ihipStream_tbEUljE_ZNSN_ISO_Lb0ESR_SS_SU_SV_SZ_EES10_S11_S12_S13_S17_S18_S19_S1C_S1D_jS1E_jS1F_S1F_jjS1H_bEUljE0_EEES10_S11_S12_S19_S1D_S1F_T6_T7_T9_mT8_S1H_bDpT10_ENKUlT_T0_E_clISt17integral_constantIbLb0EES1U_IbLb1EEEEDaS1Q_S1R_EUlS1Q_E_NS1_11comp_targetILNS1_3genE4ELNS1_11target_archE910ELNS1_3gpuE8ELNS1_3repE0EEENS1_30default_config_static_selectorELNS0_4arch9wavefront6targetE0EEEvS13_
                                        ; -- End function
	.set _ZN7rocprim17ROCPRIM_400000_NS6detail17trampoline_kernelINS0_13select_configILj256ELj13ELNS0_17block_load_methodE3ELS4_3ELS4_3ELNS0_20block_scan_algorithmE0ELj4294967295EEENS1_25partition_config_selectorILNS1_17partition_subalgoE4EjNS0_10empty_typeEbEEZZNS1_14partition_implILS8_4ELb0ES6_15HIP_vector_typeIjLj2EENS0_17counting_iteratorIjlEEPS9_SG_NS0_5tupleIJPjSI_NS0_16reverse_iteratorISI_EEEEENSH_IJSG_SG_SG_EEES9_SI_JZNS1_25segmented_radix_sort_implINS0_14default_configELb0EPK12hip_bfloat16PSP_PKlPlN2at6native12_GLOBAL__N_18offset_tEEE10hipError_tPvRmT1_PNSt15iterator_traitsIS13_E10value_typeET2_T3_PNS14_IS19_E10value_typeET4_jRbjT5_S1F_jjP12ihipStream_tbEUljE_ZNSN_ISO_Lb0ESR_SS_SU_SV_SZ_EES10_S11_S12_S13_S17_S18_S19_S1C_S1D_jS1E_jS1F_S1F_jjS1H_bEUljE0_EEES10_S11_S12_S19_S1D_S1F_T6_T7_T9_mT8_S1H_bDpT10_ENKUlT_T0_E_clISt17integral_constantIbLb0EES1U_IbLb1EEEEDaS1Q_S1R_EUlS1Q_E_NS1_11comp_targetILNS1_3genE4ELNS1_11target_archE910ELNS1_3gpuE8ELNS1_3repE0EEENS1_30default_config_static_selectorELNS0_4arch9wavefront6targetE0EEEvS13_.num_vgpr, 0
	.set _ZN7rocprim17ROCPRIM_400000_NS6detail17trampoline_kernelINS0_13select_configILj256ELj13ELNS0_17block_load_methodE3ELS4_3ELS4_3ELNS0_20block_scan_algorithmE0ELj4294967295EEENS1_25partition_config_selectorILNS1_17partition_subalgoE4EjNS0_10empty_typeEbEEZZNS1_14partition_implILS8_4ELb0ES6_15HIP_vector_typeIjLj2EENS0_17counting_iteratorIjlEEPS9_SG_NS0_5tupleIJPjSI_NS0_16reverse_iteratorISI_EEEEENSH_IJSG_SG_SG_EEES9_SI_JZNS1_25segmented_radix_sort_implINS0_14default_configELb0EPK12hip_bfloat16PSP_PKlPlN2at6native12_GLOBAL__N_18offset_tEEE10hipError_tPvRmT1_PNSt15iterator_traitsIS13_E10value_typeET2_T3_PNS14_IS19_E10value_typeET4_jRbjT5_S1F_jjP12ihipStream_tbEUljE_ZNSN_ISO_Lb0ESR_SS_SU_SV_SZ_EES10_S11_S12_S13_S17_S18_S19_S1C_S1D_jS1E_jS1F_S1F_jjS1H_bEUljE0_EEES10_S11_S12_S19_S1D_S1F_T6_T7_T9_mT8_S1H_bDpT10_ENKUlT_T0_E_clISt17integral_constantIbLb0EES1U_IbLb1EEEEDaS1Q_S1R_EUlS1Q_E_NS1_11comp_targetILNS1_3genE4ELNS1_11target_archE910ELNS1_3gpuE8ELNS1_3repE0EEENS1_30default_config_static_selectorELNS0_4arch9wavefront6targetE0EEEvS13_.num_agpr, 0
	.set _ZN7rocprim17ROCPRIM_400000_NS6detail17trampoline_kernelINS0_13select_configILj256ELj13ELNS0_17block_load_methodE3ELS4_3ELS4_3ELNS0_20block_scan_algorithmE0ELj4294967295EEENS1_25partition_config_selectorILNS1_17partition_subalgoE4EjNS0_10empty_typeEbEEZZNS1_14partition_implILS8_4ELb0ES6_15HIP_vector_typeIjLj2EENS0_17counting_iteratorIjlEEPS9_SG_NS0_5tupleIJPjSI_NS0_16reverse_iteratorISI_EEEEENSH_IJSG_SG_SG_EEES9_SI_JZNS1_25segmented_radix_sort_implINS0_14default_configELb0EPK12hip_bfloat16PSP_PKlPlN2at6native12_GLOBAL__N_18offset_tEEE10hipError_tPvRmT1_PNSt15iterator_traitsIS13_E10value_typeET2_T3_PNS14_IS19_E10value_typeET4_jRbjT5_S1F_jjP12ihipStream_tbEUljE_ZNSN_ISO_Lb0ESR_SS_SU_SV_SZ_EES10_S11_S12_S13_S17_S18_S19_S1C_S1D_jS1E_jS1F_S1F_jjS1H_bEUljE0_EEES10_S11_S12_S19_S1D_S1F_T6_T7_T9_mT8_S1H_bDpT10_ENKUlT_T0_E_clISt17integral_constantIbLb0EES1U_IbLb1EEEEDaS1Q_S1R_EUlS1Q_E_NS1_11comp_targetILNS1_3genE4ELNS1_11target_archE910ELNS1_3gpuE8ELNS1_3repE0EEENS1_30default_config_static_selectorELNS0_4arch9wavefront6targetE0EEEvS13_.numbered_sgpr, 0
	.set _ZN7rocprim17ROCPRIM_400000_NS6detail17trampoline_kernelINS0_13select_configILj256ELj13ELNS0_17block_load_methodE3ELS4_3ELS4_3ELNS0_20block_scan_algorithmE0ELj4294967295EEENS1_25partition_config_selectorILNS1_17partition_subalgoE4EjNS0_10empty_typeEbEEZZNS1_14partition_implILS8_4ELb0ES6_15HIP_vector_typeIjLj2EENS0_17counting_iteratorIjlEEPS9_SG_NS0_5tupleIJPjSI_NS0_16reverse_iteratorISI_EEEEENSH_IJSG_SG_SG_EEES9_SI_JZNS1_25segmented_radix_sort_implINS0_14default_configELb0EPK12hip_bfloat16PSP_PKlPlN2at6native12_GLOBAL__N_18offset_tEEE10hipError_tPvRmT1_PNSt15iterator_traitsIS13_E10value_typeET2_T3_PNS14_IS19_E10value_typeET4_jRbjT5_S1F_jjP12ihipStream_tbEUljE_ZNSN_ISO_Lb0ESR_SS_SU_SV_SZ_EES10_S11_S12_S13_S17_S18_S19_S1C_S1D_jS1E_jS1F_S1F_jjS1H_bEUljE0_EEES10_S11_S12_S19_S1D_S1F_T6_T7_T9_mT8_S1H_bDpT10_ENKUlT_T0_E_clISt17integral_constantIbLb0EES1U_IbLb1EEEEDaS1Q_S1R_EUlS1Q_E_NS1_11comp_targetILNS1_3genE4ELNS1_11target_archE910ELNS1_3gpuE8ELNS1_3repE0EEENS1_30default_config_static_selectorELNS0_4arch9wavefront6targetE0EEEvS13_.num_named_barrier, 0
	.set _ZN7rocprim17ROCPRIM_400000_NS6detail17trampoline_kernelINS0_13select_configILj256ELj13ELNS0_17block_load_methodE3ELS4_3ELS4_3ELNS0_20block_scan_algorithmE0ELj4294967295EEENS1_25partition_config_selectorILNS1_17partition_subalgoE4EjNS0_10empty_typeEbEEZZNS1_14partition_implILS8_4ELb0ES6_15HIP_vector_typeIjLj2EENS0_17counting_iteratorIjlEEPS9_SG_NS0_5tupleIJPjSI_NS0_16reverse_iteratorISI_EEEEENSH_IJSG_SG_SG_EEES9_SI_JZNS1_25segmented_radix_sort_implINS0_14default_configELb0EPK12hip_bfloat16PSP_PKlPlN2at6native12_GLOBAL__N_18offset_tEEE10hipError_tPvRmT1_PNSt15iterator_traitsIS13_E10value_typeET2_T3_PNS14_IS19_E10value_typeET4_jRbjT5_S1F_jjP12ihipStream_tbEUljE_ZNSN_ISO_Lb0ESR_SS_SU_SV_SZ_EES10_S11_S12_S13_S17_S18_S19_S1C_S1D_jS1E_jS1F_S1F_jjS1H_bEUljE0_EEES10_S11_S12_S19_S1D_S1F_T6_T7_T9_mT8_S1H_bDpT10_ENKUlT_T0_E_clISt17integral_constantIbLb0EES1U_IbLb1EEEEDaS1Q_S1R_EUlS1Q_E_NS1_11comp_targetILNS1_3genE4ELNS1_11target_archE910ELNS1_3gpuE8ELNS1_3repE0EEENS1_30default_config_static_selectorELNS0_4arch9wavefront6targetE0EEEvS13_.private_seg_size, 0
	.set _ZN7rocprim17ROCPRIM_400000_NS6detail17trampoline_kernelINS0_13select_configILj256ELj13ELNS0_17block_load_methodE3ELS4_3ELS4_3ELNS0_20block_scan_algorithmE0ELj4294967295EEENS1_25partition_config_selectorILNS1_17partition_subalgoE4EjNS0_10empty_typeEbEEZZNS1_14partition_implILS8_4ELb0ES6_15HIP_vector_typeIjLj2EENS0_17counting_iteratorIjlEEPS9_SG_NS0_5tupleIJPjSI_NS0_16reverse_iteratorISI_EEEEENSH_IJSG_SG_SG_EEES9_SI_JZNS1_25segmented_radix_sort_implINS0_14default_configELb0EPK12hip_bfloat16PSP_PKlPlN2at6native12_GLOBAL__N_18offset_tEEE10hipError_tPvRmT1_PNSt15iterator_traitsIS13_E10value_typeET2_T3_PNS14_IS19_E10value_typeET4_jRbjT5_S1F_jjP12ihipStream_tbEUljE_ZNSN_ISO_Lb0ESR_SS_SU_SV_SZ_EES10_S11_S12_S13_S17_S18_S19_S1C_S1D_jS1E_jS1F_S1F_jjS1H_bEUljE0_EEES10_S11_S12_S19_S1D_S1F_T6_T7_T9_mT8_S1H_bDpT10_ENKUlT_T0_E_clISt17integral_constantIbLb0EES1U_IbLb1EEEEDaS1Q_S1R_EUlS1Q_E_NS1_11comp_targetILNS1_3genE4ELNS1_11target_archE910ELNS1_3gpuE8ELNS1_3repE0EEENS1_30default_config_static_selectorELNS0_4arch9wavefront6targetE0EEEvS13_.uses_vcc, 0
	.set _ZN7rocprim17ROCPRIM_400000_NS6detail17trampoline_kernelINS0_13select_configILj256ELj13ELNS0_17block_load_methodE3ELS4_3ELS4_3ELNS0_20block_scan_algorithmE0ELj4294967295EEENS1_25partition_config_selectorILNS1_17partition_subalgoE4EjNS0_10empty_typeEbEEZZNS1_14partition_implILS8_4ELb0ES6_15HIP_vector_typeIjLj2EENS0_17counting_iteratorIjlEEPS9_SG_NS0_5tupleIJPjSI_NS0_16reverse_iteratorISI_EEEEENSH_IJSG_SG_SG_EEES9_SI_JZNS1_25segmented_radix_sort_implINS0_14default_configELb0EPK12hip_bfloat16PSP_PKlPlN2at6native12_GLOBAL__N_18offset_tEEE10hipError_tPvRmT1_PNSt15iterator_traitsIS13_E10value_typeET2_T3_PNS14_IS19_E10value_typeET4_jRbjT5_S1F_jjP12ihipStream_tbEUljE_ZNSN_ISO_Lb0ESR_SS_SU_SV_SZ_EES10_S11_S12_S13_S17_S18_S19_S1C_S1D_jS1E_jS1F_S1F_jjS1H_bEUljE0_EEES10_S11_S12_S19_S1D_S1F_T6_T7_T9_mT8_S1H_bDpT10_ENKUlT_T0_E_clISt17integral_constantIbLb0EES1U_IbLb1EEEEDaS1Q_S1R_EUlS1Q_E_NS1_11comp_targetILNS1_3genE4ELNS1_11target_archE910ELNS1_3gpuE8ELNS1_3repE0EEENS1_30default_config_static_selectorELNS0_4arch9wavefront6targetE0EEEvS13_.uses_flat_scratch, 0
	.set _ZN7rocprim17ROCPRIM_400000_NS6detail17trampoline_kernelINS0_13select_configILj256ELj13ELNS0_17block_load_methodE3ELS4_3ELS4_3ELNS0_20block_scan_algorithmE0ELj4294967295EEENS1_25partition_config_selectorILNS1_17partition_subalgoE4EjNS0_10empty_typeEbEEZZNS1_14partition_implILS8_4ELb0ES6_15HIP_vector_typeIjLj2EENS0_17counting_iteratorIjlEEPS9_SG_NS0_5tupleIJPjSI_NS0_16reverse_iteratorISI_EEEEENSH_IJSG_SG_SG_EEES9_SI_JZNS1_25segmented_radix_sort_implINS0_14default_configELb0EPK12hip_bfloat16PSP_PKlPlN2at6native12_GLOBAL__N_18offset_tEEE10hipError_tPvRmT1_PNSt15iterator_traitsIS13_E10value_typeET2_T3_PNS14_IS19_E10value_typeET4_jRbjT5_S1F_jjP12ihipStream_tbEUljE_ZNSN_ISO_Lb0ESR_SS_SU_SV_SZ_EES10_S11_S12_S13_S17_S18_S19_S1C_S1D_jS1E_jS1F_S1F_jjS1H_bEUljE0_EEES10_S11_S12_S19_S1D_S1F_T6_T7_T9_mT8_S1H_bDpT10_ENKUlT_T0_E_clISt17integral_constantIbLb0EES1U_IbLb1EEEEDaS1Q_S1R_EUlS1Q_E_NS1_11comp_targetILNS1_3genE4ELNS1_11target_archE910ELNS1_3gpuE8ELNS1_3repE0EEENS1_30default_config_static_selectorELNS0_4arch9wavefront6targetE0EEEvS13_.has_dyn_sized_stack, 0
	.set _ZN7rocprim17ROCPRIM_400000_NS6detail17trampoline_kernelINS0_13select_configILj256ELj13ELNS0_17block_load_methodE3ELS4_3ELS4_3ELNS0_20block_scan_algorithmE0ELj4294967295EEENS1_25partition_config_selectorILNS1_17partition_subalgoE4EjNS0_10empty_typeEbEEZZNS1_14partition_implILS8_4ELb0ES6_15HIP_vector_typeIjLj2EENS0_17counting_iteratorIjlEEPS9_SG_NS0_5tupleIJPjSI_NS0_16reverse_iteratorISI_EEEEENSH_IJSG_SG_SG_EEES9_SI_JZNS1_25segmented_radix_sort_implINS0_14default_configELb0EPK12hip_bfloat16PSP_PKlPlN2at6native12_GLOBAL__N_18offset_tEEE10hipError_tPvRmT1_PNSt15iterator_traitsIS13_E10value_typeET2_T3_PNS14_IS19_E10value_typeET4_jRbjT5_S1F_jjP12ihipStream_tbEUljE_ZNSN_ISO_Lb0ESR_SS_SU_SV_SZ_EES10_S11_S12_S13_S17_S18_S19_S1C_S1D_jS1E_jS1F_S1F_jjS1H_bEUljE0_EEES10_S11_S12_S19_S1D_S1F_T6_T7_T9_mT8_S1H_bDpT10_ENKUlT_T0_E_clISt17integral_constantIbLb0EES1U_IbLb1EEEEDaS1Q_S1R_EUlS1Q_E_NS1_11comp_targetILNS1_3genE4ELNS1_11target_archE910ELNS1_3gpuE8ELNS1_3repE0EEENS1_30default_config_static_selectorELNS0_4arch9wavefront6targetE0EEEvS13_.has_recursion, 0
	.set _ZN7rocprim17ROCPRIM_400000_NS6detail17trampoline_kernelINS0_13select_configILj256ELj13ELNS0_17block_load_methodE3ELS4_3ELS4_3ELNS0_20block_scan_algorithmE0ELj4294967295EEENS1_25partition_config_selectorILNS1_17partition_subalgoE4EjNS0_10empty_typeEbEEZZNS1_14partition_implILS8_4ELb0ES6_15HIP_vector_typeIjLj2EENS0_17counting_iteratorIjlEEPS9_SG_NS0_5tupleIJPjSI_NS0_16reverse_iteratorISI_EEEEENSH_IJSG_SG_SG_EEES9_SI_JZNS1_25segmented_radix_sort_implINS0_14default_configELb0EPK12hip_bfloat16PSP_PKlPlN2at6native12_GLOBAL__N_18offset_tEEE10hipError_tPvRmT1_PNSt15iterator_traitsIS13_E10value_typeET2_T3_PNS14_IS19_E10value_typeET4_jRbjT5_S1F_jjP12ihipStream_tbEUljE_ZNSN_ISO_Lb0ESR_SS_SU_SV_SZ_EES10_S11_S12_S13_S17_S18_S19_S1C_S1D_jS1E_jS1F_S1F_jjS1H_bEUljE0_EEES10_S11_S12_S19_S1D_S1F_T6_T7_T9_mT8_S1H_bDpT10_ENKUlT_T0_E_clISt17integral_constantIbLb0EES1U_IbLb1EEEEDaS1Q_S1R_EUlS1Q_E_NS1_11comp_targetILNS1_3genE4ELNS1_11target_archE910ELNS1_3gpuE8ELNS1_3repE0EEENS1_30default_config_static_selectorELNS0_4arch9wavefront6targetE0EEEvS13_.has_indirect_call, 0
	.section	.AMDGPU.csdata,"",@progbits
; Kernel info:
; codeLenInByte = 0
; TotalNumSgprs: 0
; NumVgprs: 0
; ScratchSize: 0
; MemoryBound: 0
; FloatMode: 240
; IeeeMode: 1
; LDSByteSize: 0 bytes/workgroup (compile time only)
; SGPRBlocks: 0
; VGPRBlocks: 0
; NumSGPRsForWavesPerEU: 1
; NumVGPRsForWavesPerEU: 1
; Occupancy: 16
; WaveLimiterHint : 0
; COMPUTE_PGM_RSRC2:SCRATCH_EN: 0
; COMPUTE_PGM_RSRC2:USER_SGPR: 6
; COMPUTE_PGM_RSRC2:TRAP_HANDLER: 0
; COMPUTE_PGM_RSRC2:TGID_X_EN: 1
; COMPUTE_PGM_RSRC2:TGID_Y_EN: 0
; COMPUTE_PGM_RSRC2:TGID_Z_EN: 0
; COMPUTE_PGM_RSRC2:TIDIG_COMP_CNT: 0
	.section	.text._ZN7rocprim17ROCPRIM_400000_NS6detail17trampoline_kernelINS0_13select_configILj256ELj13ELNS0_17block_load_methodE3ELS4_3ELS4_3ELNS0_20block_scan_algorithmE0ELj4294967295EEENS1_25partition_config_selectorILNS1_17partition_subalgoE4EjNS0_10empty_typeEbEEZZNS1_14partition_implILS8_4ELb0ES6_15HIP_vector_typeIjLj2EENS0_17counting_iteratorIjlEEPS9_SG_NS0_5tupleIJPjSI_NS0_16reverse_iteratorISI_EEEEENSH_IJSG_SG_SG_EEES9_SI_JZNS1_25segmented_radix_sort_implINS0_14default_configELb0EPK12hip_bfloat16PSP_PKlPlN2at6native12_GLOBAL__N_18offset_tEEE10hipError_tPvRmT1_PNSt15iterator_traitsIS13_E10value_typeET2_T3_PNS14_IS19_E10value_typeET4_jRbjT5_S1F_jjP12ihipStream_tbEUljE_ZNSN_ISO_Lb0ESR_SS_SU_SV_SZ_EES10_S11_S12_S13_S17_S18_S19_S1C_S1D_jS1E_jS1F_S1F_jjS1H_bEUljE0_EEES10_S11_S12_S19_S1D_S1F_T6_T7_T9_mT8_S1H_bDpT10_ENKUlT_T0_E_clISt17integral_constantIbLb0EES1U_IbLb1EEEEDaS1Q_S1R_EUlS1Q_E_NS1_11comp_targetILNS1_3genE3ELNS1_11target_archE908ELNS1_3gpuE7ELNS1_3repE0EEENS1_30default_config_static_selectorELNS0_4arch9wavefront6targetE0EEEvS13_,"axG",@progbits,_ZN7rocprim17ROCPRIM_400000_NS6detail17trampoline_kernelINS0_13select_configILj256ELj13ELNS0_17block_load_methodE3ELS4_3ELS4_3ELNS0_20block_scan_algorithmE0ELj4294967295EEENS1_25partition_config_selectorILNS1_17partition_subalgoE4EjNS0_10empty_typeEbEEZZNS1_14partition_implILS8_4ELb0ES6_15HIP_vector_typeIjLj2EENS0_17counting_iteratorIjlEEPS9_SG_NS0_5tupleIJPjSI_NS0_16reverse_iteratorISI_EEEEENSH_IJSG_SG_SG_EEES9_SI_JZNS1_25segmented_radix_sort_implINS0_14default_configELb0EPK12hip_bfloat16PSP_PKlPlN2at6native12_GLOBAL__N_18offset_tEEE10hipError_tPvRmT1_PNSt15iterator_traitsIS13_E10value_typeET2_T3_PNS14_IS19_E10value_typeET4_jRbjT5_S1F_jjP12ihipStream_tbEUljE_ZNSN_ISO_Lb0ESR_SS_SU_SV_SZ_EES10_S11_S12_S13_S17_S18_S19_S1C_S1D_jS1E_jS1F_S1F_jjS1H_bEUljE0_EEES10_S11_S12_S19_S1D_S1F_T6_T7_T9_mT8_S1H_bDpT10_ENKUlT_T0_E_clISt17integral_constantIbLb0EES1U_IbLb1EEEEDaS1Q_S1R_EUlS1Q_E_NS1_11comp_targetILNS1_3genE3ELNS1_11target_archE908ELNS1_3gpuE7ELNS1_3repE0EEENS1_30default_config_static_selectorELNS0_4arch9wavefront6targetE0EEEvS13_,comdat
	.globl	_ZN7rocprim17ROCPRIM_400000_NS6detail17trampoline_kernelINS0_13select_configILj256ELj13ELNS0_17block_load_methodE3ELS4_3ELS4_3ELNS0_20block_scan_algorithmE0ELj4294967295EEENS1_25partition_config_selectorILNS1_17partition_subalgoE4EjNS0_10empty_typeEbEEZZNS1_14partition_implILS8_4ELb0ES6_15HIP_vector_typeIjLj2EENS0_17counting_iteratorIjlEEPS9_SG_NS0_5tupleIJPjSI_NS0_16reverse_iteratorISI_EEEEENSH_IJSG_SG_SG_EEES9_SI_JZNS1_25segmented_radix_sort_implINS0_14default_configELb0EPK12hip_bfloat16PSP_PKlPlN2at6native12_GLOBAL__N_18offset_tEEE10hipError_tPvRmT1_PNSt15iterator_traitsIS13_E10value_typeET2_T3_PNS14_IS19_E10value_typeET4_jRbjT5_S1F_jjP12ihipStream_tbEUljE_ZNSN_ISO_Lb0ESR_SS_SU_SV_SZ_EES10_S11_S12_S13_S17_S18_S19_S1C_S1D_jS1E_jS1F_S1F_jjS1H_bEUljE0_EEES10_S11_S12_S19_S1D_S1F_T6_T7_T9_mT8_S1H_bDpT10_ENKUlT_T0_E_clISt17integral_constantIbLb0EES1U_IbLb1EEEEDaS1Q_S1R_EUlS1Q_E_NS1_11comp_targetILNS1_3genE3ELNS1_11target_archE908ELNS1_3gpuE7ELNS1_3repE0EEENS1_30default_config_static_selectorELNS0_4arch9wavefront6targetE0EEEvS13_ ; -- Begin function _ZN7rocprim17ROCPRIM_400000_NS6detail17trampoline_kernelINS0_13select_configILj256ELj13ELNS0_17block_load_methodE3ELS4_3ELS4_3ELNS0_20block_scan_algorithmE0ELj4294967295EEENS1_25partition_config_selectorILNS1_17partition_subalgoE4EjNS0_10empty_typeEbEEZZNS1_14partition_implILS8_4ELb0ES6_15HIP_vector_typeIjLj2EENS0_17counting_iteratorIjlEEPS9_SG_NS0_5tupleIJPjSI_NS0_16reverse_iteratorISI_EEEEENSH_IJSG_SG_SG_EEES9_SI_JZNS1_25segmented_radix_sort_implINS0_14default_configELb0EPK12hip_bfloat16PSP_PKlPlN2at6native12_GLOBAL__N_18offset_tEEE10hipError_tPvRmT1_PNSt15iterator_traitsIS13_E10value_typeET2_T3_PNS14_IS19_E10value_typeET4_jRbjT5_S1F_jjP12ihipStream_tbEUljE_ZNSN_ISO_Lb0ESR_SS_SU_SV_SZ_EES10_S11_S12_S13_S17_S18_S19_S1C_S1D_jS1E_jS1F_S1F_jjS1H_bEUljE0_EEES10_S11_S12_S19_S1D_S1F_T6_T7_T9_mT8_S1H_bDpT10_ENKUlT_T0_E_clISt17integral_constantIbLb0EES1U_IbLb1EEEEDaS1Q_S1R_EUlS1Q_E_NS1_11comp_targetILNS1_3genE3ELNS1_11target_archE908ELNS1_3gpuE7ELNS1_3repE0EEENS1_30default_config_static_selectorELNS0_4arch9wavefront6targetE0EEEvS13_
	.p2align	8
	.type	_ZN7rocprim17ROCPRIM_400000_NS6detail17trampoline_kernelINS0_13select_configILj256ELj13ELNS0_17block_load_methodE3ELS4_3ELS4_3ELNS0_20block_scan_algorithmE0ELj4294967295EEENS1_25partition_config_selectorILNS1_17partition_subalgoE4EjNS0_10empty_typeEbEEZZNS1_14partition_implILS8_4ELb0ES6_15HIP_vector_typeIjLj2EENS0_17counting_iteratorIjlEEPS9_SG_NS0_5tupleIJPjSI_NS0_16reverse_iteratorISI_EEEEENSH_IJSG_SG_SG_EEES9_SI_JZNS1_25segmented_radix_sort_implINS0_14default_configELb0EPK12hip_bfloat16PSP_PKlPlN2at6native12_GLOBAL__N_18offset_tEEE10hipError_tPvRmT1_PNSt15iterator_traitsIS13_E10value_typeET2_T3_PNS14_IS19_E10value_typeET4_jRbjT5_S1F_jjP12ihipStream_tbEUljE_ZNSN_ISO_Lb0ESR_SS_SU_SV_SZ_EES10_S11_S12_S13_S17_S18_S19_S1C_S1D_jS1E_jS1F_S1F_jjS1H_bEUljE0_EEES10_S11_S12_S19_S1D_S1F_T6_T7_T9_mT8_S1H_bDpT10_ENKUlT_T0_E_clISt17integral_constantIbLb0EES1U_IbLb1EEEEDaS1Q_S1R_EUlS1Q_E_NS1_11comp_targetILNS1_3genE3ELNS1_11target_archE908ELNS1_3gpuE7ELNS1_3repE0EEENS1_30default_config_static_selectorELNS0_4arch9wavefront6targetE0EEEvS13_,@function
_ZN7rocprim17ROCPRIM_400000_NS6detail17trampoline_kernelINS0_13select_configILj256ELj13ELNS0_17block_load_methodE3ELS4_3ELS4_3ELNS0_20block_scan_algorithmE0ELj4294967295EEENS1_25partition_config_selectorILNS1_17partition_subalgoE4EjNS0_10empty_typeEbEEZZNS1_14partition_implILS8_4ELb0ES6_15HIP_vector_typeIjLj2EENS0_17counting_iteratorIjlEEPS9_SG_NS0_5tupleIJPjSI_NS0_16reverse_iteratorISI_EEEEENSH_IJSG_SG_SG_EEES9_SI_JZNS1_25segmented_radix_sort_implINS0_14default_configELb0EPK12hip_bfloat16PSP_PKlPlN2at6native12_GLOBAL__N_18offset_tEEE10hipError_tPvRmT1_PNSt15iterator_traitsIS13_E10value_typeET2_T3_PNS14_IS19_E10value_typeET4_jRbjT5_S1F_jjP12ihipStream_tbEUljE_ZNSN_ISO_Lb0ESR_SS_SU_SV_SZ_EES10_S11_S12_S13_S17_S18_S19_S1C_S1D_jS1E_jS1F_S1F_jjS1H_bEUljE0_EEES10_S11_S12_S19_S1D_S1F_T6_T7_T9_mT8_S1H_bDpT10_ENKUlT_T0_E_clISt17integral_constantIbLb0EES1U_IbLb1EEEEDaS1Q_S1R_EUlS1Q_E_NS1_11comp_targetILNS1_3genE3ELNS1_11target_archE908ELNS1_3gpuE7ELNS1_3repE0EEENS1_30default_config_static_selectorELNS0_4arch9wavefront6targetE0EEEvS13_: ; @_ZN7rocprim17ROCPRIM_400000_NS6detail17trampoline_kernelINS0_13select_configILj256ELj13ELNS0_17block_load_methodE3ELS4_3ELS4_3ELNS0_20block_scan_algorithmE0ELj4294967295EEENS1_25partition_config_selectorILNS1_17partition_subalgoE4EjNS0_10empty_typeEbEEZZNS1_14partition_implILS8_4ELb0ES6_15HIP_vector_typeIjLj2EENS0_17counting_iteratorIjlEEPS9_SG_NS0_5tupleIJPjSI_NS0_16reverse_iteratorISI_EEEEENSH_IJSG_SG_SG_EEES9_SI_JZNS1_25segmented_radix_sort_implINS0_14default_configELb0EPK12hip_bfloat16PSP_PKlPlN2at6native12_GLOBAL__N_18offset_tEEE10hipError_tPvRmT1_PNSt15iterator_traitsIS13_E10value_typeET2_T3_PNS14_IS19_E10value_typeET4_jRbjT5_S1F_jjP12ihipStream_tbEUljE_ZNSN_ISO_Lb0ESR_SS_SU_SV_SZ_EES10_S11_S12_S13_S17_S18_S19_S1C_S1D_jS1E_jS1F_S1F_jjS1H_bEUljE0_EEES10_S11_S12_S19_S1D_S1F_T6_T7_T9_mT8_S1H_bDpT10_ENKUlT_T0_E_clISt17integral_constantIbLb0EES1U_IbLb1EEEEDaS1Q_S1R_EUlS1Q_E_NS1_11comp_targetILNS1_3genE3ELNS1_11target_archE908ELNS1_3gpuE7ELNS1_3repE0EEENS1_30default_config_static_selectorELNS0_4arch9wavefront6targetE0EEEvS13_
; %bb.0:
	.section	.rodata,"a",@progbits
	.p2align	6, 0x0
	.amdhsa_kernel _ZN7rocprim17ROCPRIM_400000_NS6detail17trampoline_kernelINS0_13select_configILj256ELj13ELNS0_17block_load_methodE3ELS4_3ELS4_3ELNS0_20block_scan_algorithmE0ELj4294967295EEENS1_25partition_config_selectorILNS1_17partition_subalgoE4EjNS0_10empty_typeEbEEZZNS1_14partition_implILS8_4ELb0ES6_15HIP_vector_typeIjLj2EENS0_17counting_iteratorIjlEEPS9_SG_NS0_5tupleIJPjSI_NS0_16reverse_iteratorISI_EEEEENSH_IJSG_SG_SG_EEES9_SI_JZNS1_25segmented_radix_sort_implINS0_14default_configELb0EPK12hip_bfloat16PSP_PKlPlN2at6native12_GLOBAL__N_18offset_tEEE10hipError_tPvRmT1_PNSt15iterator_traitsIS13_E10value_typeET2_T3_PNS14_IS19_E10value_typeET4_jRbjT5_S1F_jjP12ihipStream_tbEUljE_ZNSN_ISO_Lb0ESR_SS_SU_SV_SZ_EES10_S11_S12_S13_S17_S18_S19_S1C_S1D_jS1E_jS1F_S1F_jjS1H_bEUljE0_EEES10_S11_S12_S19_S1D_S1F_T6_T7_T9_mT8_S1H_bDpT10_ENKUlT_T0_E_clISt17integral_constantIbLb0EES1U_IbLb1EEEEDaS1Q_S1R_EUlS1Q_E_NS1_11comp_targetILNS1_3genE3ELNS1_11target_archE908ELNS1_3gpuE7ELNS1_3repE0EEENS1_30default_config_static_selectorELNS0_4arch9wavefront6targetE0EEEvS13_
		.amdhsa_group_segment_fixed_size 0
		.amdhsa_private_segment_fixed_size 0
		.amdhsa_kernarg_size 184
		.amdhsa_user_sgpr_count 6
		.amdhsa_user_sgpr_private_segment_buffer 1
		.amdhsa_user_sgpr_dispatch_ptr 0
		.amdhsa_user_sgpr_queue_ptr 0
		.amdhsa_user_sgpr_kernarg_segment_ptr 1
		.amdhsa_user_sgpr_dispatch_id 0
		.amdhsa_user_sgpr_flat_scratch_init 0
		.amdhsa_user_sgpr_private_segment_size 0
		.amdhsa_wavefront_size32 1
		.amdhsa_uses_dynamic_stack 0
		.amdhsa_system_sgpr_private_segment_wavefront_offset 0
		.amdhsa_system_sgpr_workgroup_id_x 1
		.amdhsa_system_sgpr_workgroup_id_y 0
		.amdhsa_system_sgpr_workgroup_id_z 0
		.amdhsa_system_sgpr_workgroup_info 0
		.amdhsa_system_vgpr_workitem_id 0
		.amdhsa_next_free_vgpr 1
		.amdhsa_next_free_sgpr 1
		.amdhsa_reserve_vcc 0
		.amdhsa_reserve_flat_scratch 0
		.amdhsa_float_round_mode_32 0
		.amdhsa_float_round_mode_16_64 0
		.amdhsa_float_denorm_mode_32 3
		.amdhsa_float_denorm_mode_16_64 3
		.amdhsa_dx10_clamp 1
		.amdhsa_ieee_mode 1
		.amdhsa_fp16_overflow 0
		.amdhsa_workgroup_processor_mode 1
		.amdhsa_memory_ordered 1
		.amdhsa_forward_progress 1
		.amdhsa_shared_vgpr_count 0
		.amdhsa_exception_fp_ieee_invalid_op 0
		.amdhsa_exception_fp_denorm_src 0
		.amdhsa_exception_fp_ieee_div_zero 0
		.amdhsa_exception_fp_ieee_overflow 0
		.amdhsa_exception_fp_ieee_underflow 0
		.amdhsa_exception_fp_ieee_inexact 0
		.amdhsa_exception_int_div_zero 0
	.end_amdhsa_kernel
	.section	.text._ZN7rocprim17ROCPRIM_400000_NS6detail17trampoline_kernelINS0_13select_configILj256ELj13ELNS0_17block_load_methodE3ELS4_3ELS4_3ELNS0_20block_scan_algorithmE0ELj4294967295EEENS1_25partition_config_selectorILNS1_17partition_subalgoE4EjNS0_10empty_typeEbEEZZNS1_14partition_implILS8_4ELb0ES6_15HIP_vector_typeIjLj2EENS0_17counting_iteratorIjlEEPS9_SG_NS0_5tupleIJPjSI_NS0_16reverse_iteratorISI_EEEEENSH_IJSG_SG_SG_EEES9_SI_JZNS1_25segmented_radix_sort_implINS0_14default_configELb0EPK12hip_bfloat16PSP_PKlPlN2at6native12_GLOBAL__N_18offset_tEEE10hipError_tPvRmT1_PNSt15iterator_traitsIS13_E10value_typeET2_T3_PNS14_IS19_E10value_typeET4_jRbjT5_S1F_jjP12ihipStream_tbEUljE_ZNSN_ISO_Lb0ESR_SS_SU_SV_SZ_EES10_S11_S12_S13_S17_S18_S19_S1C_S1D_jS1E_jS1F_S1F_jjS1H_bEUljE0_EEES10_S11_S12_S19_S1D_S1F_T6_T7_T9_mT8_S1H_bDpT10_ENKUlT_T0_E_clISt17integral_constantIbLb0EES1U_IbLb1EEEEDaS1Q_S1R_EUlS1Q_E_NS1_11comp_targetILNS1_3genE3ELNS1_11target_archE908ELNS1_3gpuE7ELNS1_3repE0EEENS1_30default_config_static_selectorELNS0_4arch9wavefront6targetE0EEEvS13_,"axG",@progbits,_ZN7rocprim17ROCPRIM_400000_NS6detail17trampoline_kernelINS0_13select_configILj256ELj13ELNS0_17block_load_methodE3ELS4_3ELS4_3ELNS0_20block_scan_algorithmE0ELj4294967295EEENS1_25partition_config_selectorILNS1_17partition_subalgoE4EjNS0_10empty_typeEbEEZZNS1_14partition_implILS8_4ELb0ES6_15HIP_vector_typeIjLj2EENS0_17counting_iteratorIjlEEPS9_SG_NS0_5tupleIJPjSI_NS0_16reverse_iteratorISI_EEEEENSH_IJSG_SG_SG_EEES9_SI_JZNS1_25segmented_radix_sort_implINS0_14default_configELb0EPK12hip_bfloat16PSP_PKlPlN2at6native12_GLOBAL__N_18offset_tEEE10hipError_tPvRmT1_PNSt15iterator_traitsIS13_E10value_typeET2_T3_PNS14_IS19_E10value_typeET4_jRbjT5_S1F_jjP12ihipStream_tbEUljE_ZNSN_ISO_Lb0ESR_SS_SU_SV_SZ_EES10_S11_S12_S13_S17_S18_S19_S1C_S1D_jS1E_jS1F_S1F_jjS1H_bEUljE0_EEES10_S11_S12_S19_S1D_S1F_T6_T7_T9_mT8_S1H_bDpT10_ENKUlT_T0_E_clISt17integral_constantIbLb0EES1U_IbLb1EEEEDaS1Q_S1R_EUlS1Q_E_NS1_11comp_targetILNS1_3genE3ELNS1_11target_archE908ELNS1_3gpuE7ELNS1_3repE0EEENS1_30default_config_static_selectorELNS0_4arch9wavefront6targetE0EEEvS13_,comdat
.Lfunc_end2002:
	.size	_ZN7rocprim17ROCPRIM_400000_NS6detail17trampoline_kernelINS0_13select_configILj256ELj13ELNS0_17block_load_methodE3ELS4_3ELS4_3ELNS0_20block_scan_algorithmE0ELj4294967295EEENS1_25partition_config_selectorILNS1_17partition_subalgoE4EjNS0_10empty_typeEbEEZZNS1_14partition_implILS8_4ELb0ES6_15HIP_vector_typeIjLj2EENS0_17counting_iteratorIjlEEPS9_SG_NS0_5tupleIJPjSI_NS0_16reverse_iteratorISI_EEEEENSH_IJSG_SG_SG_EEES9_SI_JZNS1_25segmented_radix_sort_implINS0_14default_configELb0EPK12hip_bfloat16PSP_PKlPlN2at6native12_GLOBAL__N_18offset_tEEE10hipError_tPvRmT1_PNSt15iterator_traitsIS13_E10value_typeET2_T3_PNS14_IS19_E10value_typeET4_jRbjT5_S1F_jjP12ihipStream_tbEUljE_ZNSN_ISO_Lb0ESR_SS_SU_SV_SZ_EES10_S11_S12_S13_S17_S18_S19_S1C_S1D_jS1E_jS1F_S1F_jjS1H_bEUljE0_EEES10_S11_S12_S19_S1D_S1F_T6_T7_T9_mT8_S1H_bDpT10_ENKUlT_T0_E_clISt17integral_constantIbLb0EES1U_IbLb1EEEEDaS1Q_S1R_EUlS1Q_E_NS1_11comp_targetILNS1_3genE3ELNS1_11target_archE908ELNS1_3gpuE7ELNS1_3repE0EEENS1_30default_config_static_selectorELNS0_4arch9wavefront6targetE0EEEvS13_, .Lfunc_end2002-_ZN7rocprim17ROCPRIM_400000_NS6detail17trampoline_kernelINS0_13select_configILj256ELj13ELNS0_17block_load_methodE3ELS4_3ELS4_3ELNS0_20block_scan_algorithmE0ELj4294967295EEENS1_25partition_config_selectorILNS1_17partition_subalgoE4EjNS0_10empty_typeEbEEZZNS1_14partition_implILS8_4ELb0ES6_15HIP_vector_typeIjLj2EENS0_17counting_iteratorIjlEEPS9_SG_NS0_5tupleIJPjSI_NS0_16reverse_iteratorISI_EEEEENSH_IJSG_SG_SG_EEES9_SI_JZNS1_25segmented_radix_sort_implINS0_14default_configELb0EPK12hip_bfloat16PSP_PKlPlN2at6native12_GLOBAL__N_18offset_tEEE10hipError_tPvRmT1_PNSt15iterator_traitsIS13_E10value_typeET2_T3_PNS14_IS19_E10value_typeET4_jRbjT5_S1F_jjP12ihipStream_tbEUljE_ZNSN_ISO_Lb0ESR_SS_SU_SV_SZ_EES10_S11_S12_S13_S17_S18_S19_S1C_S1D_jS1E_jS1F_S1F_jjS1H_bEUljE0_EEES10_S11_S12_S19_S1D_S1F_T6_T7_T9_mT8_S1H_bDpT10_ENKUlT_T0_E_clISt17integral_constantIbLb0EES1U_IbLb1EEEEDaS1Q_S1R_EUlS1Q_E_NS1_11comp_targetILNS1_3genE3ELNS1_11target_archE908ELNS1_3gpuE7ELNS1_3repE0EEENS1_30default_config_static_selectorELNS0_4arch9wavefront6targetE0EEEvS13_
                                        ; -- End function
	.set _ZN7rocprim17ROCPRIM_400000_NS6detail17trampoline_kernelINS0_13select_configILj256ELj13ELNS0_17block_load_methodE3ELS4_3ELS4_3ELNS0_20block_scan_algorithmE0ELj4294967295EEENS1_25partition_config_selectorILNS1_17partition_subalgoE4EjNS0_10empty_typeEbEEZZNS1_14partition_implILS8_4ELb0ES6_15HIP_vector_typeIjLj2EENS0_17counting_iteratorIjlEEPS9_SG_NS0_5tupleIJPjSI_NS0_16reverse_iteratorISI_EEEEENSH_IJSG_SG_SG_EEES9_SI_JZNS1_25segmented_radix_sort_implINS0_14default_configELb0EPK12hip_bfloat16PSP_PKlPlN2at6native12_GLOBAL__N_18offset_tEEE10hipError_tPvRmT1_PNSt15iterator_traitsIS13_E10value_typeET2_T3_PNS14_IS19_E10value_typeET4_jRbjT5_S1F_jjP12ihipStream_tbEUljE_ZNSN_ISO_Lb0ESR_SS_SU_SV_SZ_EES10_S11_S12_S13_S17_S18_S19_S1C_S1D_jS1E_jS1F_S1F_jjS1H_bEUljE0_EEES10_S11_S12_S19_S1D_S1F_T6_T7_T9_mT8_S1H_bDpT10_ENKUlT_T0_E_clISt17integral_constantIbLb0EES1U_IbLb1EEEEDaS1Q_S1R_EUlS1Q_E_NS1_11comp_targetILNS1_3genE3ELNS1_11target_archE908ELNS1_3gpuE7ELNS1_3repE0EEENS1_30default_config_static_selectorELNS0_4arch9wavefront6targetE0EEEvS13_.num_vgpr, 0
	.set _ZN7rocprim17ROCPRIM_400000_NS6detail17trampoline_kernelINS0_13select_configILj256ELj13ELNS0_17block_load_methodE3ELS4_3ELS4_3ELNS0_20block_scan_algorithmE0ELj4294967295EEENS1_25partition_config_selectorILNS1_17partition_subalgoE4EjNS0_10empty_typeEbEEZZNS1_14partition_implILS8_4ELb0ES6_15HIP_vector_typeIjLj2EENS0_17counting_iteratorIjlEEPS9_SG_NS0_5tupleIJPjSI_NS0_16reverse_iteratorISI_EEEEENSH_IJSG_SG_SG_EEES9_SI_JZNS1_25segmented_radix_sort_implINS0_14default_configELb0EPK12hip_bfloat16PSP_PKlPlN2at6native12_GLOBAL__N_18offset_tEEE10hipError_tPvRmT1_PNSt15iterator_traitsIS13_E10value_typeET2_T3_PNS14_IS19_E10value_typeET4_jRbjT5_S1F_jjP12ihipStream_tbEUljE_ZNSN_ISO_Lb0ESR_SS_SU_SV_SZ_EES10_S11_S12_S13_S17_S18_S19_S1C_S1D_jS1E_jS1F_S1F_jjS1H_bEUljE0_EEES10_S11_S12_S19_S1D_S1F_T6_T7_T9_mT8_S1H_bDpT10_ENKUlT_T0_E_clISt17integral_constantIbLb0EES1U_IbLb1EEEEDaS1Q_S1R_EUlS1Q_E_NS1_11comp_targetILNS1_3genE3ELNS1_11target_archE908ELNS1_3gpuE7ELNS1_3repE0EEENS1_30default_config_static_selectorELNS0_4arch9wavefront6targetE0EEEvS13_.num_agpr, 0
	.set _ZN7rocprim17ROCPRIM_400000_NS6detail17trampoline_kernelINS0_13select_configILj256ELj13ELNS0_17block_load_methodE3ELS4_3ELS4_3ELNS0_20block_scan_algorithmE0ELj4294967295EEENS1_25partition_config_selectorILNS1_17partition_subalgoE4EjNS0_10empty_typeEbEEZZNS1_14partition_implILS8_4ELb0ES6_15HIP_vector_typeIjLj2EENS0_17counting_iteratorIjlEEPS9_SG_NS0_5tupleIJPjSI_NS0_16reverse_iteratorISI_EEEEENSH_IJSG_SG_SG_EEES9_SI_JZNS1_25segmented_radix_sort_implINS0_14default_configELb0EPK12hip_bfloat16PSP_PKlPlN2at6native12_GLOBAL__N_18offset_tEEE10hipError_tPvRmT1_PNSt15iterator_traitsIS13_E10value_typeET2_T3_PNS14_IS19_E10value_typeET4_jRbjT5_S1F_jjP12ihipStream_tbEUljE_ZNSN_ISO_Lb0ESR_SS_SU_SV_SZ_EES10_S11_S12_S13_S17_S18_S19_S1C_S1D_jS1E_jS1F_S1F_jjS1H_bEUljE0_EEES10_S11_S12_S19_S1D_S1F_T6_T7_T9_mT8_S1H_bDpT10_ENKUlT_T0_E_clISt17integral_constantIbLb0EES1U_IbLb1EEEEDaS1Q_S1R_EUlS1Q_E_NS1_11comp_targetILNS1_3genE3ELNS1_11target_archE908ELNS1_3gpuE7ELNS1_3repE0EEENS1_30default_config_static_selectorELNS0_4arch9wavefront6targetE0EEEvS13_.numbered_sgpr, 0
	.set _ZN7rocprim17ROCPRIM_400000_NS6detail17trampoline_kernelINS0_13select_configILj256ELj13ELNS0_17block_load_methodE3ELS4_3ELS4_3ELNS0_20block_scan_algorithmE0ELj4294967295EEENS1_25partition_config_selectorILNS1_17partition_subalgoE4EjNS0_10empty_typeEbEEZZNS1_14partition_implILS8_4ELb0ES6_15HIP_vector_typeIjLj2EENS0_17counting_iteratorIjlEEPS9_SG_NS0_5tupleIJPjSI_NS0_16reverse_iteratorISI_EEEEENSH_IJSG_SG_SG_EEES9_SI_JZNS1_25segmented_radix_sort_implINS0_14default_configELb0EPK12hip_bfloat16PSP_PKlPlN2at6native12_GLOBAL__N_18offset_tEEE10hipError_tPvRmT1_PNSt15iterator_traitsIS13_E10value_typeET2_T3_PNS14_IS19_E10value_typeET4_jRbjT5_S1F_jjP12ihipStream_tbEUljE_ZNSN_ISO_Lb0ESR_SS_SU_SV_SZ_EES10_S11_S12_S13_S17_S18_S19_S1C_S1D_jS1E_jS1F_S1F_jjS1H_bEUljE0_EEES10_S11_S12_S19_S1D_S1F_T6_T7_T9_mT8_S1H_bDpT10_ENKUlT_T0_E_clISt17integral_constantIbLb0EES1U_IbLb1EEEEDaS1Q_S1R_EUlS1Q_E_NS1_11comp_targetILNS1_3genE3ELNS1_11target_archE908ELNS1_3gpuE7ELNS1_3repE0EEENS1_30default_config_static_selectorELNS0_4arch9wavefront6targetE0EEEvS13_.num_named_barrier, 0
	.set _ZN7rocprim17ROCPRIM_400000_NS6detail17trampoline_kernelINS0_13select_configILj256ELj13ELNS0_17block_load_methodE3ELS4_3ELS4_3ELNS0_20block_scan_algorithmE0ELj4294967295EEENS1_25partition_config_selectorILNS1_17partition_subalgoE4EjNS0_10empty_typeEbEEZZNS1_14partition_implILS8_4ELb0ES6_15HIP_vector_typeIjLj2EENS0_17counting_iteratorIjlEEPS9_SG_NS0_5tupleIJPjSI_NS0_16reverse_iteratorISI_EEEEENSH_IJSG_SG_SG_EEES9_SI_JZNS1_25segmented_radix_sort_implINS0_14default_configELb0EPK12hip_bfloat16PSP_PKlPlN2at6native12_GLOBAL__N_18offset_tEEE10hipError_tPvRmT1_PNSt15iterator_traitsIS13_E10value_typeET2_T3_PNS14_IS19_E10value_typeET4_jRbjT5_S1F_jjP12ihipStream_tbEUljE_ZNSN_ISO_Lb0ESR_SS_SU_SV_SZ_EES10_S11_S12_S13_S17_S18_S19_S1C_S1D_jS1E_jS1F_S1F_jjS1H_bEUljE0_EEES10_S11_S12_S19_S1D_S1F_T6_T7_T9_mT8_S1H_bDpT10_ENKUlT_T0_E_clISt17integral_constantIbLb0EES1U_IbLb1EEEEDaS1Q_S1R_EUlS1Q_E_NS1_11comp_targetILNS1_3genE3ELNS1_11target_archE908ELNS1_3gpuE7ELNS1_3repE0EEENS1_30default_config_static_selectorELNS0_4arch9wavefront6targetE0EEEvS13_.private_seg_size, 0
	.set _ZN7rocprim17ROCPRIM_400000_NS6detail17trampoline_kernelINS0_13select_configILj256ELj13ELNS0_17block_load_methodE3ELS4_3ELS4_3ELNS0_20block_scan_algorithmE0ELj4294967295EEENS1_25partition_config_selectorILNS1_17partition_subalgoE4EjNS0_10empty_typeEbEEZZNS1_14partition_implILS8_4ELb0ES6_15HIP_vector_typeIjLj2EENS0_17counting_iteratorIjlEEPS9_SG_NS0_5tupleIJPjSI_NS0_16reverse_iteratorISI_EEEEENSH_IJSG_SG_SG_EEES9_SI_JZNS1_25segmented_radix_sort_implINS0_14default_configELb0EPK12hip_bfloat16PSP_PKlPlN2at6native12_GLOBAL__N_18offset_tEEE10hipError_tPvRmT1_PNSt15iterator_traitsIS13_E10value_typeET2_T3_PNS14_IS19_E10value_typeET4_jRbjT5_S1F_jjP12ihipStream_tbEUljE_ZNSN_ISO_Lb0ESR_SS_SU_SV_SZ_EES10_S11_S12_S13_S17_S18_S19_S1C_S1D_jS1E_jS1F_S1F_jjS1H_bEUljE0_EEES10_S11_S12_S19_S1D_S1F_T6_T7_T9_mT8_S1H_bDpT10_ENKUlT_T0_E_clISt17integral_constantIbLb0EES1U_IbLb1EEEEDaS1Q_S1R_EUlS1Q_E_NS1_11comp_targetILNS1_3genE3ELNS1_11target_archE908ELNS1_3gpuE7ELNS1_3repE0EEENS1_30default_config_static_selectorELNS0_4arch9wavefront6targetE0EEEvS13_.uses_vcc, 0
	.set _ZN7rocprim17ROCPRIM_400000_NS6detail17trampoline_kernelINS0_13select_configILj256ELj13ELNS0_17block_load_methodE3ELS4_3ELS4_3ELNS0_20block_scan_algorithmE0ELj4294967295EEENS1_25partition_config_selectorILNS1_17partition_subalgoE4EjNS0_10empty_typeEbEEZZNS1_14partition_implILS8_4ELb0ES6_15HIP_vector_typeIjLj2EENS0_17counting_iteratorIjlEEPS9_SG_NS0_5tupleIJPjSI_NS0_16reverse_iteratorISI_EEEEENSH_IJSG_SG_SG_EEES9_SI_JZNS1_25segmented_radix_sort_implINS0_14default_configELb0EPK12hip_bfloat16PSP_PKlPlN2at6native12_GLOBAL__N_18offset_tEEE10hipError_tPvRmT1_PNSt15iterator_traitsIS13_E10value_typeET2_T3_PNS14_IS19_E10value_typeET4_jRbjT5_S1F_jjP12ihipStream_tbEUljE_ZNSN_ISO_Lb0ESR_SS_SU_SV_SZ_EES10_S11_S12_S13_S17_S18_S19_S1C_S1D_jS1E_jS1F_S1F_jjS1H_bEUljE0_EEES10_S11_S12_S19_S1D_S1F_T6_T7_T9_mT8_S1H_bDpT10_ENKUlT_T0_E_clISt17integral_constantIbLb0EES1U_IbLb1EEEEDaS1Q_S1R_EUlS1Q_E_NS1_11comp_targetILNS1_3genE3ELNS1_11target_archE908ELNS1_3gpuE7ELNS1_3repE0EEENS1_30default_config_static_selectorELNS0_4arch9wavefront6targetE0EEEvS13_.uses_flat_scratch, 0
	.set _ZN7rocprim17ROCPRIM_400000_NS6detail17trampoline_kernelINS0_13select_configILj256ELj13ELNS0_17block_load_methodE3ELS4_3ELS4_3ELNS0_20block_scan_algorithmE0ELj4294967295EEENS1_25partition_config_selectorILNS1_17partition_subalgoE4EjNS0_10empty_typeEbEEZZNS1_14partition_implILS8_4ELb0ES6_15HIP_vector_typeIjLj2EENS0_17counting_iteratorIjlEEPS9_SG_NS0_5tupleIJPjSI_NS0_16reverse_iteratorISI_EEEEENSH_IJSG_SG_SG_EEES9_SI_JZNS1_25segmented_radix_sort_implINS0_14default_configELb0EPK12hip_bfloat16PSP_PKlPlN2at6native12_GLOBAL__N_18offset_tEEE10hipError_tPvRmT1_PNSt15iterator_traitsIS13_E10value_typeET2_T3_PNS14_IS19_E10value_typeET4_jRbjT5_S1F_jjP12ihipStream_tbEUljE_ZNSN_ISO_Lb0ESR_SS_SU_SV_SZ_EES10_S11_S12_S13_S17_S18_S19_S1C_S1D_jS1E_jS1F_S1F_jjS1H_bEUljE0_EEES10_S11_S12_S19_S1D_S1F_T6_T7_T9_mT8_S1H_bDpT10_ENKUlT_T0_E_clISt17integral_constantIbLb0EES1U_IbLb1EEEEDaS1Q_S1R_EUlS1Q_E_NS1_11comp_targetILNS1_3genE3ELNS1_11target_archE908ELNS1_3gpuE7ELNS1_3repE0EEENS1_30default_config_static_selectorELNS0_4arch9wavefront6targetE0EEEvS13_.has_dyn_sized_stack, 0
	.set _ZN7rocprim17ROCPRIM_400000_NS6detail17trampoline_kernelINS0_13select_configILj256ELj13ELNS0_17block_load_methodE3ELS4_3ELS4_3ELNS0_20block_scan_algorithmE0ELj4294967295EEENS1_25partition_config_selectorILNS1_17partition_subalgoE4EjNS0_10empty_typeEbEEZZNS1_14partition_implILS8_4ELb0ES6_15HIP_vector_typeIjLj2EENS0_17counting_iteratorIjlEEPS9_SG_NS0_5tupleIJPjSI_NS0_16reverse_iteratorISI_EEEEENSH_IJSG_SG_SG_EEES9_SI_JZNS1_25segmented_radix_sort_implINS0_14default_configELb0EPK12hip_bfloat16PSP_PKlPlN2at6native12_GLOBAL__N_18offset_tEEE10hipError_tPvRmT1_PNSt15iterator_traitsIS13_E10value_typeET2_T3_PNS14_IS19_E10value_typeET4_jRbjT5_S1F_jjP12ihipStream_tbEUljE_ZNSN_ISO_Lb0ESR_SS_SU_SV_SZ_EES10_S11_S12_S13_S17_S18_S19_S1C_S1D_jS1E_jS1F_S1F_jjS1H_bEUljE0_EEES10_S11_S12_S19_S1D_S1F_T6_T7_T9_mT8_S1H_bDpT10_ENKUlT_T0_E_clISt17integral_constantIbLb0EES1U_IbLb1EEEEDaS1Q_S1R_EUlS1Q_E_NS1_11comp_targetILNS1_3genE3ELNS1_11target_archE908ELNS1_3gpuE7ELNS1_3repE0EEENS1_30default_config_static_selectorELNS0_4arch9wavefront6targetE0EEEvS13_.has_recursion, 0
	.set _ZN7rocprim17ROCPRIM_400000_NS6detail17trampoline_kernelINS0_13select_configILj256ELj13ELNS0_17block_load_methodE3ELS4_3ELS4_3ELNS0_20block_scan_algorithmE0ELj4294967295EEENS1_25partition_config_selectorILNS1_17partition_subalgoE4EjNS0_10empty_typeEbEEZZNS1_14partition_implILS8_4ELb0ES6_15HIP_vector_typeIjLj2EENS0_17counting_iteratorIjlEEPS9_SG_NS0_5tupleIJPjSI_NS0_16reverse_iteratorISI_EEEEENSH_IJSG_SG_SG_EEES9_SI_JZNS1_25segmented_radix_sort_implINS0_14default_configELb0EPK12hip_bfloat16PSP_PKlPlN2at6native12_GLOBAL__N_18offset_tEEE10hipError_tPvRmT1_PNSt15iterator_traitsIS13_E10value_typeET2_T3_PNS14_IS19_E10value_typeET4_jRbjT5_S1F_jjP12ihipStream_tbEUljE_ZNSN_ISO_Lb0ESR_SS_SU_SV_SZ_EES10_S11_S12_S13_S17_S18_S19_S1C_S1D_jS1E_jS1F_S1F_jjS1H_bEUljE0_EEES10_S11_S12_S19_S1D_S1F_T6_T7_T9_mT8_S1H_bDpT10_ENKUlT_T0_E_clISt17integral_constantIbLb0EES1U_IbLb1EEEEDaS1Q_S1R_EUlS1Q_E_NS1_11comp_targetILNS1_3genE3ELNS1_11target_archE908ELNS1_3gpuE7ELNS1_3repE0EEENS1_30default_config_static_selectorELNS0_4arch9wavefront6targetE0EEEvS13_.has_indirect_call, 0
	.section	.AMDGPU.csdata,"",@progbits
; Kernel info:
; codeLenInByte = 0
; TotalNumSgprs: 0
; NumVgprs: 0
; ScratchSize: 0
; MemoryBound: 0
; FloatMode: 240
; IeeeMode: 1
; LDSByteSize: 0 bytes/workgroup (compile time only)
; SGPRBlocks: 0
; VGPRBlocks: 0
; NumSGPRsForWavesPerEU: 1
; NumVGPRsForWavesPerEU: 1
; Occupancy: 16
; WaveLimiterHint : 0
; COMPUTE_PGM_RSRC2:SCRATCH_EN: 0
; COMPUTE_PGM_RSRC2:USER_SGPR: 6
; COMPUTE_PGM_RSRC2:TRAP_HANDLER: 0
; COMPUTE_PGM_RSRC2:TGID_X_EN: 1
; COMPUTE_PGM_RSRC2:TGID_Y_EN: 0
; COMPUTE_PGM_RSRC2:TGID_Z_EN: 0
; COMPUTE_PGM_RSRC2:TIDIG_COMP_CNT: 0
	.section	.text._ZN7rocprim17ROCPRIM_400000_NS6detail17trampoline_kernelINS0_13select_configILj256ELj13ELNS0_17block_load_methodE3ELS4_3ELS4_3ELNS0_20block_scan_algorithmE0ELj4294967295EEENS1_25partition_config_selectorILNS1_17partition_subalgoE4EjNS0_10empty_typeEbEEZZNS1_14partition_implILS8_4ELb0ES6_15HIP_vector_typeIjLj2EENS0_17counting_iteratorIjlEEPS9_SG_NS0_5tupleIJPjSI_NS0_16reverse_iteratorISI_EEEEENSH_IJSG_SG_SG_EEES9_SI_JZNS1_25segmented_radix_sort_implINS0_14default_configELb0EPK12hip_bfloat16PSP_PKlPlN2at6native12_GLOBAL__N_18offset_tEEE10hipError_tPvRmT1_PNSt15iterator_traitsIS13_E10value_typeET2_T3_PNS14_IS19_E10value_typeET4_jRbjT5_S1F_jjP12ihipStream_tbEUljE_ZNSN_ISO_Lb0ESR_SS_SU_SV_SZ_EES10_S11_S12_S13_S17_S18_S19_S1C_S1D_jS1E_jS1F_S1F_jjS1H_bEUljE0_EEES10_S11_S12_S19_S1D_S1F_T6_T7_T9_mT8_S1H_bDpT10_ENKUlT_T0_E_clISt17integral_constantIbLb0EES1U_IbLb1EEEEDaS1Q_S1R_EUlS1Q_E_NS1_11comp_targetILNS1_3genE2ELNS1_11target_archE906ELNS1_3gpuE6ELNS1_3repE0EEENS1_30default_config_static_selectorELNS0_4arch9wavefront6targetE0EEEvS13_,"axG",@progbits,_ZN7rocprim17ROCPRIM_400000_NS6detail17trampoline_kernelINS0_13select_configILj256ELj13ELNS0_17block_load_methodE3ELS4_3ELS4_3ELNS0_20block_scan_algorithmE0ELj4294967295EEENS1_25partition_config_selectorILNS1_17partition_subalgoE4EjNS0_10empty_typeEbEEZZNS1_14partition_implILS8_4ELb0ES6_15HIP_vector_typeIjLj2EENS0_17counting_iteratorIjlEEPS9_SG_NS0_5tupleIJPjSI_NS0_16reverse_iteratorISI_EEEEENSH_IJSG_SG_SG_EEES9_SI_JZNS1_25segmented_radix_sort_implINS0_14default_configELb0EPK12hip_bfloat16PSP_PKlPlN2at6native12_GLOBAL__N_18offset_tEEE10hipError_tPvRmT1_PNSt15iterator_traitsIS13_E10value_typeET2_T3_PNS14_IS19_E10value_typeET4_jRbjT5_S1F_jjP12ihipStream_tbEUljE_ZNSN_ISO_Lb0ESR_SS_SU_SV_SZ_EES10_S11_S12_S13_S17_S18_S19_S1C_S1D_jS1E_jS1F_S1F_jjS1H_bEUljE0_EEES10_S11_S12_S19_S1D_S1F_T6_T7_T9_mT8_S1H_bDpT10_ENKUlT_T0_E_clISt17integral_constantIbLb0EES1U_IbLb1EEEEDaS1Q_S1R_EUlS1Q_E_NS1_11comp_targetILNS1_3genE2ELNS1_11target_archE906ELNS1_3gpuE6ELNS1_3repE0EEENS1_30default_config_static_selectorELNS0_4arch9wavefront6targetE0EEEvS13_,comdat
	.globl	_ZN7rocprim17ROCPRIM_400000_NS6detail17trampoline_kernelINS0_13select_configILj256ELj13ELNS0_17block_load_methodE3ELS4_3ELS4_3ELNS0_20block_scan_algorithmE0ELj4294967295EEENS1_25partition_config_selectorILNS1_17partition_subalgoE4EjNS0_10empty_typeEbEEZZNS1_14partition_implILS8_4ELb0ES6_15HIP_vector_typeIjLj2EENS0_17counting_iteratorIjlEEPS9_SG_NS0_5tupleIJPjSI_NS0_16reverse_iteratorISI_EEEEENSH_IJSG_SG_SG_EEES9_SI_JZNS1_25segmented_radix_sort_implINS0_14default_configELb0EPK12hip_bfloat16PSP_PKlPlN2at6native12_GLOBAL__N_18offset_tEEE10hipError_tPvRmT1_PNSt15iterator_traitsIS13_E10value_typeET2_T3_PNS14_IS19_E10value_typeET4_jRbjT5_S1F_jjP12ihipStream_tbEUljE_ZNSN_ISO_Lb0ESR_SS_SU_SV_SZ_EES10_S11_S12_S13_S17_S18_S19_S1C_S1D_jS1E_jS1F_S1F_jjS1H_bEUljE0_EEES10_S11_S12_S19_S1D_S1F_T6_T7_T9_mT8_S1H_bDpT10_ENKUlT_T0_E_clISt17integral_constantIbLb0EES1U_IbLb1EEEEDaS1Q_S1R_EUlS1Q_E_NS1_11comp_targetILNS1_3genE2ELNS1_11target_archE906ELNS1_3gpuE6ELNS1_3repE0EEENS1_30default_config_static_selectorELNS0_4arch9wavefront6targetE0EEEvS13_ ; -- Begin function _ZN7rocprim17ROCPRIM_400000_NS6detail17trampoline_kernelINS0_13select_configILj256ELj13ELNS0_17block_load_methodE3ELS4_3ELS4_3ELNS0_20block_scan_algorithmE0ELj4294967295EEENS1_25partition_config_selectorILNS1_17partition_subalgoE4EjNS0_10empty_typeEbEEZZNS1_14partition_implILS8_4ELb0ES6_15HIP_vector_typeIjLj2EENS0_17counting_iteratorIjlEEPS9_SG_NS0_5tupleIJPjSI_NS0_16reverse_iteratorISI_EEEEENSH_IJSG_SG_SG_EEES9_SI_JZNS1_25segmented_radix_sort_implINS0_14default_configELb0EPK12hip_bfloat16PSP_PKlPlN2at6native12_GLOBAL__N_18offset_tEEE10hipError_tPvRmT1_PNSt15iterator_traitsIS13_E10value_typeET2_T3_PNS14_IS19_E10value_typeET4_jRbjT5_S1F_jjP12ihipStream_tbEUljE_ZNSN_ISO_Lb0ESR_SS_SU_SV_SZ_EES10_S11_S12_S13_S17_S18_S19_S1C_S1D_jS1E_jS1F_S1F_jjS1H_bEUljE0_EEES10_S11_S12_S19_S1D_S1F_T6_T7_T9_mT8_S1H_bDpT10_ENKUlT_T0_E_clISt17integral_constantIbLb0EES1U_IbLb1EEEEDaS1Q_S1R_EUlS1Q_E_NS1_11comp_targetILNS1_3genE2ELNS1_11target_archE906ELNS1_3gpuE6ELNS1_3repE0EEENS1_30default_config_static_selectorELNS0_4arch9wavefront6targetE0EEEvS13_
	.p2align	8
	.type	_ZN7rocprim17ROCPRIM_400000_NS6detail17trampoline_kernelINS0_13select_configILj256ELj13ELNS0_17block_load_methodE3ELS4_3ELS4_3ELNS0_20block_scan_algorithmE0ELj4294967295EEENS1_25partition_config_selectorILNS1_17partition_subalgoE4EjNS0_10empty_typeEbEEZZNS1_14partition_implILS8_4ELb0ES6_15HIP_vector_typeIjLj2EENS0_17counting_iteratorIjlEEPS9_SG_NS0_5tupleIJPjSI_NS0_16reverse_iteratorISI_EEEEENSH_IJSG_SG_SG_EEES9_SI_JZNS1_25segmented_radix_sort_implINS0_14default_configELb0EPK12hip_bfloat16PSP_PKlPlN2at6native12_GLOBAL__N_18offset_tEEE10hipError_tPvRmT1_PNSt15iterator_traitsIS13_E10value_typeET2_T3_PNS14_IS19_E10value_typeET4_jRbjT5_S1F_jjP12ihipStream_tbEUljE_ZNSN_ISO_Lb0ESR_SS_SU_SV_SZ_EES10_S11_S12_S13_S17_S18_S19_S1C_S1D_jS1E_jS1F_S1F_jjS1H_bEUljE0_EEES10_S11_S12_S19_S1D_S1F_T6_T7_T9_mT8_S1H_bDpT10_ENKUlT_T0_E_clISt17integral_constantIbLb0EES1U_IbLb1EEEEDaS1Q_S1R_EUlS1Q_E_NS1_11comp_targetILNS1_3genE2ELNS1_11target_archE906ELNS1_3gpuE6ELNS1_3repE0EEENS1_30default_config_static_selectorELNS0_4arch9wavefront6targetE0EEEvS13_,@function
_ZN7rocprim17ROCPRIM_400000_NS6detail17trampoline_kernelINS0_13select_configILj256ELj13ELNS0_17block_load_methodE3ELS4_3ELS4_3ELNS0_20block_scan_algorithmE0ELj4294967295EEENS1_25partition_config_selectorILNS1_17partition_subalgoE4EjNS0_10empty_typeEbEEZZNS1_14partition_implILS8_4ELb0ES6_15HIP_vector_typeIjLj2EENS0_17counting_iteratorIjlEEPS9_SG_NS0_5tupleIJPjSI_NS0_16reverse_iteratorISI_EEEEENSH_IJSG_SG_SG_EEES9_SI_JZNS1_25segmented_radix_sort_implINS0_14default_configELb0EPK12hip_bfloat16PSP_PKlPlN2at6native12_GLOBAL__N_18offset_tEEE10hipError_tPvRmT1_PNSt15iterator_traitsIS13_E10value_typeET2_T3_PNS14_IS19_E10value_typeET4_jRbjT5_S1F_jjP12ihipStream_tbEUljE_ZNSN_ISO_Lb0ESR_SS_SU_SV_SZ_EES10_S11_S12_S13_S17_S18_S19_S1C_S1D_jS1E_jS1F_S1F_jjS1H_bEUljE0_EEES10_S11_S12_S19_S1D_S1F_T6_T7_T9_mT8_S1H_bDpT10_ENKUlT_T0_E_clISt17integral_constantIbLb0EES1U_IbLb1EEEEDaS1Q_S1R_EUlS1Q_E_NS1_11comp_targetILNS1_3genE2ELNS1_11target_archE906ELNS1_3gpuE6ELNS1_3repE0EEENS1_30default_config_static_selectorELNS0_4arch9wavefront6targetE0EEEvS13_: ; @_ZN7rocprim17ROCPRIM_400000_NS6detail17trampoline_kernelINS0_13select_configILj256ELj13ELNS0_17block_load_methodE3ELS4_3ELS4_3ELNS0_20block_scan_algorithmE0ELj4294967295EEENS1_25partition_config_selectorILNS1_17partition_subalgoE4EjNS0_10empty_typeEbEEZZNS1_14partition_implILS8_4ELb0ES6_15HIP_vector_typeIjLj2EENS0_17counting_iteratorIjlEEPS9_SG_NS0_5tupleIJPjSI_NS0_16reverse_iteratorISI_EEEEENSH_IJSG_SG_SG_EEES9_SI_JZNS1_25segmented_radix_sort_implINS0_14default_configELb0EPK12hip_bfloat16PSP_PKlPlN2at6native12_GLOBAL__N_18offset_tEEE10hipError_tPvRmT1_PNSt15iterator_traitsIS13_E10value_typeET2_T3_PNS14_IS19_E10value_typeET4_jRbjT5_S1F_jjP12ihipStream_tbEUljE_ZNSN_ISO_Lb0ESR_SS_SU_SV_SZ_EES10_S11_S12_S13_S17_S18_S19_S1C_S1D_jS1E_jS1F_S1F_jjS1H_bEUljE0_EEES10_S11_S12_S19_S1D_S1F_T6_T7_T9_mT8_S1H_bDpT10_ENKUlT_T0_E_clISt17integral_constantIbLb0EES1U_IbLb1EEEEDaS1Q_S1R_EUlS1Q_E_NS1_11comp_targetILNS1_3genE2ELNS1_11target_archE906ELNS1_3gpuE6ELNS1_3repE0EEENS1_30default_config_static_selectorELNS0_4arch9wavefront6targetE0EEEvS13_
; %bb.0:
	.section	.rodata,"a",@progbits
	.p2align	6, 0x0
	.amdhsa_kernel _ZN7rocprim17ROCPRIM_400000_NS6detail17trampoline_kernelINS0_13select_configILj256ELj13ELNS0_17block_load_methodE3ELS4_3ELS4_3ELNS0_20block_scan_algorithmE0ELj4294967295EEENS1_25partition_config_selectorILNS1_17partition_subalgoE4EjNS0_10empty_typeEbEEZZNS1_14partition_implILS8_4ELb0ES6_15HIP_vector_typeIjLj2EENS0_17counting_iteratorIjlEEPS9_SG_NS0_5tupleIJPjSI_NS0_16reverse_iteratorISI_EEEEENSH_IJSG_SG_SG_EEES9_SI_JZNS1_25segmented_radix_sort_implINS0_14default_configELb0EPK12hip_bfloat16PSP_PKlPlN2at6native12_GLOBAL__N_18offset_tEEE10hipError_tPvRmT1_PNSt15iterator_traitsIS13_E10value_typeET2_T3_PNS14_IS19_E10value_typeET4_jRbjT5_S1F_jjP12ihipStream_tbEUljE_ZNSN_ISO_Lb0ESR_SS_SU_SV_SZ_EES10_S11_S12_S13_S17_S18_S19_S1C_S1D_jS1E_jS1F_S1F_jjS1H_bEUljE0_EEES10_S11_S12_S19_S1D_S1F_T6_T7_T9_mT8_S1H_bDpT10_ENKUlT_T0_E_clISt17integral_constantIbLb0EES1U_IbLb1EEEEDaS1Q_S1R_EUlS1Q_E_NS1_11comp_targetILNS1_3genE2ELNS1_11target_archE906ELNS1_3gpuE6ELNS1_3repE0EEENS1_30default_config_static_selectorELNS0_4arch9wavefront6targetE0EEEvS13_
		.amdhsa_group_segment_fixed_size 0
		.amdhsa_private_segment_fixed_size 0
		.amdhsa_kernarg_size 184
		.amdhsa_user_sgpr_count 6
		.amdhsa_user_sgpr_private_segment_buffer 1
		.amdhsa_user_sgpr_dispatch_ptr 0
		.amdhsa_user_sgpr_queue_ptr 0
		.amdhsa_user_sgpr_kernarg_segment_ptr 1
		.amdhsa_user_sgpr_dispatch_id 0
		.amdhsa_user_sgpr_flat_scratch_init 0
		.amdhsa_user_sgpr_private_segment_size 0
		.amdhsa_wavefront_size32 1
		.amdhsa_uses_dynamic_stack 0
		.amdhsa_system_sgpr_private_segment_wavefront_offset 0
		.amdhsa_system_sgpr_workgroup_id_x 1
		.amdhsa_system_sgpr_workgroup_id_y 0
		.amdhsa_system_sgpr_workgroup_id_z 0
		.amdhsa_system_sgpr_workgroup_info 0
		.amdhsa_system_vgpr_workitem_id 0
		.amdhsa_next_free_vgpr 1
		.amdhsa_next_free_sgpr 1
		.amdhsa_reserve_vcc 0
		.amdhsa_reserve_flat_scratch 0
		.amdhsa_float_round_mode_32 0
		.amdhsa_float_round_mode_16_64 0
		.amdhsa_float_denorm_mode_32 3
		.amdhsa_float_denorm_mode_16_64 3
		.amdhsa_dx10_clamp 1
		.amdhsa_ieee_mode 1
		.amdhsa_fp16_overflow 0
		.amdhsa_workgroup_processor_mode 1
		.amdhsa_memory_ordered 1
		.amdhsa_forward_progress 1
		.amdhsa_shared_vgpr_count 0
		.amdhsa_exception_fp_ieee_invalid_op 0
		.amdhsa_exception_fp_denorm_src 0
		.amdhsa_exception_fp_ieee_div_zero 0
		.amdhsa_exception_fp_ieee_overflow 0
		.amdhsa_exception_fp_ieee_underflow 0
		.amdhsa_exception_fp_ieee_inexact 0
		.amdhsa_exception_int_div_zero 0
	.end_amdhsa_kernel
	.section	.text._ZN7rocprim17ROCPRIM_400000_NS6detail17trampoline_kernelINS0_13select_configILj256ELj13ELNS0_17block_load_methodE3ELS4_3ELS4_3ELNS0_20block_scan_algorithmE0ELj4294967295EEENS1_25partition_config_selectorILNS1_17partition_subalgoE4EjNS0_10empty_typeEbEEZZNS1_14partition_implILS8_4ELb0ES6_15HIP_vector_typeIjLj2EENS0_17counting_iteratorIjlEEPS9_SG_NS0_5tupleIJPjSI_NS0_16reverse_iteratorISI_EEEEENSH_IJSG_SG_SG_EEES9_SI_JZNS1_25segmented_radix_sort_implINS0_14default_configELb0EPK12hip_bfloat16PSP_PKlPlN2at6native12_GLOBAL__N_18offset_tEEE10hipError_tPvRmT1_PNSt15iterator_traitsIS13_E10value_typeET2_T3_PNS14_IS19_E10value_typeET4_jRbjT5_S1F_jjP12ihipStream_tbEUljE_ZNSN_ISO_Lb0ESR_SS_SU_SV_SZ_EES10_S11_S12_S13_S17_S18_S19_S1C_S1D_jS1E_jS1F_S1F_jjS1H_bEUljE0_EEES10_S11_S12_S19_S1D_S1F_T6_T7_T9_mT8_S1H_bDpT10_ENKUlT_T0_E_clISt17integral_constantIbLb0EES1U_IbLb1EEEEDaS1Q_S1R_EUlS1Q_E_NS1_11comp_targetILNS1_3genE2ELNS1_11target_archE906ELNS1_3gpuE6ELNS1_3repE0EEENS1_30default_config_static_selectorELNS0_4arch9wavefront6targetE0EEEvS13_,"axG",@progbits,_ZN7rocprim17ROCPRIM_400000_NS6detail17trampoline_kernelINS0_13select_configILj256ELj13ELNS0_17block_load_methodE3ELS4_3ELS4_3ELNS0_20block_scan_algorithmE0ELj4294967295EEENS1_25partition_config_selectorILNS1_17partition_subalgoE4EjNS0_10empty_typeEbEEZZNS1_14partition_implILS8_4ELb0ES6_15HIP_vector_typeIjLj2EENS0_17counting_iteratorIjlEEPS9_SG_NS0_5tupleIJPjSI_NS0_16reverse_iteratorISI_EEEEENSH_IJSG_SG_SG_EEES9_SI_JZNS1_25segmented_radix_sort_implINS0_14default_configELb0EPK12hip_bfloat16PSP_PKlPlN2at6native12_GLOBAL__N_18offset_tEEE10hipError_tPvRmT1_PNSt15iterator_traitsIS13_E10value_typeET2_T3_PNS14_IS19_E10value_typeET4_jRbjT5_S1F_jjP12ihipStream_tbEUljE_ZNSN_ISO_Lb0ESR_SS_SU_SV_SZ_EES10_S11_S12_S13_S17_S18_S19_S1C_S1D_jS1E_jS1F_S1F_jjS1H_bEUljE0_EEES10_S11_S12_S19_S1D_S1F_T6_T7_T9_mT8_S1H_bDpT10_ENKUlT_T0_E_clISt17integral_constantIbLb0EES1U_IbLb1EEEEDaS1Q_S1R_EUlS1Q_E_NS1_11comp_targetILNS1_3genE2ELNS1_11target_archE906ELNS1_3gpuE6ELNS1_3repE0EEENS1_30default_config_static_selectorELNS0_4arch9wavefront6targetE0EEEvS13_,comdat
.Lfunc_end2003:
	.size	_ZN7rocprim17ROCPRIM_400000_NS6detail17trampoline_kernelINS0_13select_configILj256ELj13ELNS0_17block_load_methodE3ELS4_3ELS4_3ELNS0_20block_scan_algorithmE0ELj4294967295EEENS1_25partition_config_selectorILNS1_17partition_subalgoE4EjNS0_10empty_typeEbEEZZNS1_14partition_implILS8_4ELb0ES6_15HIP_vector_typeIjLj2EENS0_17counting_iteratorIjlEEPS9_SG_NS0_5tupleIJPjSI_NS0_16reverse_iteratorISI_EEEEENSH_IJSG_SG_SG_EEES9_SI_JZNS1_25segmented_radix_sort_implINS0_14default_configELb0EPK12hip_bfloat16PSP_PKlPlN2at6native12_GLOBAL__N_18offset_tEEE10hipError_tPvRmT1_PNSt15iterator_traitsIS13_E10value_typeET2_T3_PNS14_IS19_E10value_typeET4_jRbjT5_S1F_jjP12ihipStream_tbEUljE_ZNSN_ISO_Lb0ESR_SS_SU_SV_SZ_EES10_S11_S12_S13_S17_S18_S19_S1C_S1D_jS1E_jS1F_S1F_jjS1H_bEUljE0_EEES10_S11_S12_S19_S1D_S1F_T6_T7_T9_mT8_S1H_bDpT10_ENKUlT_T0_E_clISt17integral_constantIbLb0EES1U_IbLb1EEEEDaS1Q_S1R_EUlS1Q_E_NS1_11comp_targetILNS1_3genE2ELNS1_11target_archE906ELNS1_3gpuE6ELNS1_3repE0EEENS1_30default_config_static_selectorELNS0_4arch9wavefront6targetE0EEEvS13_, .Lfunc_end2003-_ZN7rocprim17ROCPRIM_400000_NS6detail17trampoline_kernelINS0_13select_configILj256ELj13ELNS0_17block_load_methodE3ELS4_3ELS4_3ELNS0_20block_scan_algorithmE0ELj4294967295EEENS1_25partition_config_selectorILNS1_17partition_subalgoE4EjNS0_10empty_typeEbEEZZNS1_14partition_implILS8_4ELb0ES6_15HIP_vector_typeIjLj2EENS0_17counting_iteratorIjlEEPS9_SG_NS0_5tupleIJPjSI_NS0_16reverse_iteratorISI_EEEEENSH_IJSG_SG_SG_EEES9_SI_JZNS1_25segmented_radix_sort_implINS0_14default_configELb0EPK12hip_bfloat16PSP_PKlPlN2at6native12_GLOBAL__N_18offset_tEEE10hipError_tPvRmT1_PNSt15iterator_traitsIS13_E10value_typeET2_T3_PNS14_IS19_E10value_typeET4_jRbjT5_S1F_jjP12ihipStream_tbEUljE_ZNSN_ISO_Lb0ESR_SS_SU_SV_SZ_EES10_S11_S12_S13_S17_S18_S19_S1C_S1D_jS1E_jS1F_S1F_jjS1H_bEUljE0_EEES10_S11_S12_S19_S1D_S1F_T6_T7_T9_mT8_S1H_bDpT10_ENKUlT_T0_E_clISt17integral_constantIbLb0EES1U_IbLb1EEEEDaS1Q_S1R_EUlS1Q_E_NS1_11comp_targetILNS1_3genE2ELNS1_11target_archE906ELNS1_3gpuE6ELNS1_3repE0EEENS1_30default_config_static_selectorELNS0_4arch9wavefront6targetE0EEEvS13_
                                        ; -- End function
	.set _ZN7rocprim17ROCPRIM_400000_NS6detail17trampoline_kernelINS0_13select_configILj256ELj13ELNS0_17block_load_methodE3ELS4_3ELS4_3ELNS0_20block_scan_algorithmE0ELj4294967295EEENS1_25partition_config_selectorILNS1_17partition_subalgoE4EjNS0_10empty_typeEbEEZZNS1_14partition_implILS8_4ELb0ES6_15HIP_vector_typeIjLj2EENS0_17counting_iteratorIjlEEPS9_SG_NS0_5tupleIJPjSI_NS0_16reverse_iteratorISI_EEEEENSH_IJSG_SG_SG_EEES9_SI_JZNS1_25segmented_radix_sort_implINS0_14default_configELb0EPK12hip_bfloat16PSP_PKlPlN2at6native12_GLOBAL__N_18offset_tEEE10hipError_tPvRmT1_PNSt15iterator_traitsIS13_E10value_typeET2_T3_PNS14_IS19_E10value_typeET4_jRbjT5_S1F_jjP12ihipStream_tbEUljE_ZNSN_ISO_Lb0ESR_SS_SU_SV_SZ_EES10_S11_S12_S13_S17_S18_S19_S1C_S1D_jS1E_jS1F_S1F_jjS1H_bEUljE0_EEES10_S11_S12_S19_S1D_S1F_T6_T7_T9_mT8_S1H_bDpT10_ENKUlT_T0_E_clISt17integral_constantIbLb0EES1U_IbLb1EEEEDaS1Q_S1R_EUlS1Q_E_NS1_11comp_targetILNS1_3genE2ELNS1_11target_archE906ELNS1_3gpuE6ELNS1_3repE0EEENS1_30default_config_static_selectorELNS0_4arch9wavefront6targetE0EEEvS13_.num_vgpr, 0
	.set _ZN7rocprim17ROCPRIM_400000_NS6detail17trampoline_kernelINS0_13select_configILj256ELj13ELNS0_17block_load_methodE3ELS4_3ELS4_3ELNS0_20block_scan_algorithmE0ELj4294967295EEENS1_25partition_config_selectorILNS1_17partition_subalgoE4EjNS0_10empty_typeEbEEZZNS1_14partition_implILS8_4ELb0ES6_15HIP_vector_typeIjLj2EENS0_17counting_iteratorIjlEEPS9_SG_NS0_5tupleIJPjSI_NS0_16reverse_iteratorISI_EEEEENSH_IJSG_SG_SG_EEES9_SI_JZNS1_25segmented_radix_sort_implINS0_14default_configELb0EPK12hip_bfloat16PSP_PKlPlN2at6native12_GLOBAL__N_18offset_tEEE10hipError_tPvRmT1_PNSt15iterator_traitsIS13_E10value_typeET2_T3_PNS14_IS19_E10value_typeET4_jRbjT5_S1F_jjP12ihipStream_tbEUljE_ZNSN_ISO_Lb0ESR_SS_SU_SV_SZ_EES10_S11_S12_S13_S17_S18_S19_S1C_S1D_jS1E_jS1F_S1F_jjS1H_bEUljE0_EEES10_S11_S12_S19_S1D_S1F_T6_T7_T9_mT8_S1H_bDpT10_ENKUlT_T0_E_clISt17integral_constantIbLb0EES1U_IbLb1EEEEDaS1Q_S1R_EUlS1Q_E_NS1_11comp_targetILNS1_3genE2ELNS1_11target_archE906ELNS1_3gpuE6ELNS1_3repE0EEENS1_30default_config_static_selectorELNS0_4arch9wavefront6targetE0EEEvS13_.num_agpr, 0
	.set _ZN7rocprim17ROCPRIM_400000_NS6detail17trampoline_kernelINS0_13select_configILj256ELj13ELNS0_17block_load_methodE3ELS4_3ELS4_3ELNS0_20block_scan_algorithmE0ELj4294967295EEENS1_25partition_config_selectorILNS1_17partition_subalgoE4EjNS0_10empty_typeEbEEZZNS1_14partition_implILS8_4ELb0ES6_15HIP_vector_typeIjLj2EENS0_17counting_iteratorIjlEEPS9_SG_NS0_5tupleIJPjSI_NS0_16reverse_iteratorISI_EEEEENSH_IJSG_SG_SG_EEES9_SI_JZNS1_25segmented_radix_sort_implINS0_14default_configELb0EPK12hip_bfloat16PSP_PKlPlN2at6native12_GLOBAL__N_18offset_tEEE10hipError_tPvRmT1_PNSt15iterator_traitsIS13_E10value_typeET2_T3_PNS14_IS19_E10value_typeET4_jRbjT5_S1F_jjP12ihipStream_tbEUljE_ZNSN_ISO_Lb0ESR_SS_SU_SV_SZ_EES10_S11_S12_S13_S17_S18_S19_S1C_S1D_jS1E_jS1F_S1F_jjS1H_bEUljE0_EEES10_S11_S12_S19_S1D_S1F_T6_T7_T9_mT8_S1H_bDpT10_ENKUlT_T0_E_clISt17integral_constantIbLb0EES1U_IbLb1EEEEDaS1Q_S1R_EUlS1Q_E_NS1_11comp_targetILNS1_3genE2ELNS1_11target_archE906ELNS1_3gpuE6ELNS1_3repE0EEENS1_30default_config_static_selectorELNS0_4arch9wavefront6targetE0EEEvS13_.numbered_sgpr, 0
	.set _ZN7rocprim17ROCPRIM_400000_NS6detail17trampoline_kernelINS0_13select_configILj256ELj13ELNS0_17block_load_methodE3ELS4_3ELS4_3ELNS0_20block_scan_algorithmE0ELj4294967295EEENS1_25partition_config_selectorILNS1_17partition_subalgoE4EjNS0_10empty_typeEbEEZZNS1_14partition_implILS8_4ELb0ES6_15HIP_vector_typeIjLj2EENS0_17counting_iteratorIjlEEPS9_SG_NS0_5tupleIJPjSI_NS0_16reverse_iteratorISI_EEEEENSH_IJSG_SG_SG_EEES9_SI_JZNS1_25segmented_radix_sort_implINS0_14default_configELb0EPK12hip_bfloat16PSP_PKlPlN2at6native12_GLOBAL__N_18offset_tEEE10hipError_tPvRmT1_PNSt15iterator_traitsIS13_E10value_typeET2_T3_PNS14_IS19_E10value_typeET4_jRbjT5_S1F_jjP12ihipStream_tbEUljE_ZNSN_ISO_Lb0ESR_SS_SU_SV_SZ_EES10_S11_S12_S13_S17_S18_S19_S1C_S1D_jS1E_jS1F_S1F_jjS1H_bEUljE0_EEES10_S11_S12_S19_S1D_S1F_T6_T7_T9_mT8_S1H_bDpT10_ENKUlT_T0_E_clISt17integral_constantIbLb0EES1U_IbLb1EEEEDaS1Q_S1R_EUlS1Q_E_NS1_11comp_targetILNS1_3genE2ELNS1_11target_archE906ELNS1_3gpuE6ELNS1_3repE0EEENS1_30default_config_static_selectorELNS0_4arch9wavefront6targetE0EEEvS13_.num_named_barrier, 0
	.set _ZN7rocprim17ROCPRIM_400000_NS6detail17trampoline_kernelINS0_13select_configILj256ELj13ELNS0_17block_load_methodE3ELS4_3ELS4_3ELNS0_20block_scan_algorithmE0ELj4294967295EEENS1_25partition_config_selectorILNS1_17partition_subalgoE4EjNS0_10empty_typeEbEEZZNS1_14partition_implILS8_4ELb0ES6_15HIP_vector_typeIjLj2EENS0_17counting_iteratorIjlEEPS9_SG_NS0_5tupleIJPjSI_NS0_16reverse_iteratorISI_EEEEENSH_IJSG_SG_SG_EEES9_SI_JZNS1_25segmented_radix_sort_implINS0_14default_configELb0EPK12hip_bfloat16PSP_PKlPlN2at6native12_GLOBAL__N_18offset_tEEE10hipError_tPvRmT1_PNSt15iterator_traitsIS13_E10value_typeET2_T3_PNS14_IS19_E10value_typeET4_jRbjT5_S1F_jjP12ihipStream_tbEUljE_ZNSN_ISO_Lb0ESR_SS_SU_SV_SZ_EES10_S11_S12_S13_S17_S18_S19_S1C_S1D_jS1E_jS1F_S1F_jjS1H_bEUljE0_EEES10_S11_S12_S19_S1D_S1F_T6_T7_T9_mT8_S1H_bDpT10_ENKUlT_T0_E_clISt17integral_constantIbLb0EES1U_IbLb1EEEEDaS1Q_S1R_EUlS1Q_E_NS1_11comp_targetILNS1_3genE2ELNS1_11target_archE906ELNS1_3gpuE6ELNS1_3repE0EEENS1_30default_config_static_selectorELNS0_4arch9wavefront6targetE0EEEvS13_.private_seg_size, 0
	.set _ZN7rocprim17ROCPRIM_400000_NS6detail17trampoline_kernelINS0_13select_configILj256ELj13ELNS0_17block_load_methodE3ELS4_3ELS4_3ELNS0_20block_scan_algorithmE0ELj4294967295EEENS1_25partition_config_selectorILNS1_17partition_subalgoE4EjNS0_10empty_typeEbEEZZNS1_14partition_implILS8_4ELb0ES6_15HIP_vector_typeIjLj2EENS0_17counting_iteratorIjlEEPS9_SG_NS0_5tupleIJPjSI_NS0_16reverse_iteratorISI_EEEEENSH_IJSG_SG_SG_EEES9_SI_JZNS1_25segmented_radix_sort_implINS0_14default_configELb0EPK12hip_bfloat16PSP_PKlPlN2at6native12_GLOBAL__N_18offset_tEEE10hipError_tPvRmT1_PNSt15iterator_traitsIS13_E10value_typeET2_T3_PNS14_IS19_E10value_typeET4_jRbjT5_S1F_jjP12ihipStream_tbEUljE_ZNSN_ISO_Lb0ESR_SS_SU_SV_SZ_EES10_S11_S12_S13_S17_S18_S19_S1C_S1D_jS1E_jS1F_S1F_jjS1H_bEUljE0_EEES10_S11_S12_S19_S1D_S1F_T6_T7_T9_mT8_S1H_bDpT10_ENKUlT_T0_E_clISt17integral_constantIbLb0EES1U_IbLb1EEEEDaS1Q_S1R_EUlS1Q_E_NS1_11comp_targetILNS1_3genE2ELNS1_11target_archE906ELNS1_3gpuE6ELNS1_3repE0EEENS1_30default_config_static_selectorELNS0_4arch9wavefront6targetE0EEEvS13_.uses_vcc, 0
	.set _ZN7rocprim17ROCPRIM_400000_NS6detail17trampoline_kernelINS0_13select_configILj256ELj13ELNS0_17block_load_methodE3ELS4_3ELS4_3ELNS0_20block_scan_algorithmE0ELj4294967295EEENS1_25partition_config_selectorILNS1_17partition_subalgoE4EjNS0_10empty_typeEbEEZZNS1_14partition_implILS8_4ELb0ES6_15HIP_vector_typeIjLj2EENS0_17counting_iteratorIjlEEPS9_SG_NS0_5tupleIJPjSI_NS0_16reverse_iteratorISI_EEEEENSH_IJSG_SG_SG_EEES9_SI_JZNS1_25segmented_radix_sort_implINS0_14default_configELb0EPK12hip_bfloat16PSP_PKlPlN2at6native12_GLOBAL__N_18offset_tEEE10hipError_tPvRmT1_PNSt15iterator_traitsIS13_E10value_typeET2_T3_PNS14_IS19_E10value_typeET4_jRbjT5_S1F_jjP12ihipStream_tbEUljE_ZNSN_ISO_Lb0ESR_SS_SU_SV_SZ_EES10_S11_S12_S13_S17_S18_S19_S1C_S1D_jS1E_jS1F_S1F_jjS1H_bEUljE0_EEES10_S11_S12_S19_S1D_S1F_T6_T7_T9_mT8_S1H_bDpT10_ENKUlT_T0_E_clISt17integral_constantIbLb0EES1U_IbLb1EEEEDaS1Q_S1R_EUlS1Q_E_NS1_11comp_targetILNS1_3genE2ELNS1_11target_archE906ELNS1_3gpuE6ELNS1_3repE0EEENS1_30default_config_static_selectorELNS0_4arch9wavefront6targetE0EEEvS13_.uses_flat_scratch, 0
	.set _ZN7rocprim17ROCPRIM_400000_NS6detail17trampoline_kernelINS0_13select_configILj256ELj13ELNS0_17block_load_methodE3ELS4_3ELS4_3ELNS0_20block_scan_algorithmE0ELj4294967295EEENS1_25partition_config_selectorILNS1_17partition_subalgoE4EjNS0_10empty_typeEbEEZZNS1_14partition_implILS8_4ELb0ES6_15HIP_vector_typeIjLj2EENS0_17counting_iteratorIjlEEPS9_SG_NS0_5tupleIJPjSI_NS0_16reverse_iteratorISI_EEEEENSH_IJSG_SG_SG_EEES9_SI_JZNS1_25segmented_radix_sort_implINS0_14default_configELb0EPK12hip_bfloat16PSP_PKlPlN2at6native12_GLOBAL__N_18offset_tEEE10hipError_tPvRmT1_PNSt15iterator_traitsIS13_E10value_typeET2_T3_PNS14_IS19_E10value_typeET4_jRbjT5_S1F_jjP12ihipStream_tbEUljE_ZNSN_ISO_Lb0ESR_SS_SU_SV_SZ_EES10_S11_S12_S13_S17_S18_S19_S1C_S1D_jS1E_jS1F_S1F_jjS1H_bEUljE0_EEES10_S11_S12_S19_S1D_S1F_T6_T7_T9_mT8_S1H_bDpT10_ENKUlT_T0_E_clISt17integral_constantIbLb0EES1U_IbLb1EEEEDaS1Q_S1R_EUlS1Q_E_NS1_11comp_targetILNS1_3genE2ELNS1_11target_archE906ELNS1_3gpuE6ELNS1_3repE0EEENS1_30default_config_static_selectorELNS0_4arch9wavefront6targetE0EEEvS13_.has_dyn_sized_stack, 0
	.set _ZN7rocprim17ROCPRIM_400000_NS6detail17trampoline_kernelINS0_13select_configILj256ELj13ELNS0_17block_load_methodE3ELS4_3ELS4_3ELNS0_20block_scan_algorithmE0ELj4294967295EEENS1_25partition_config_selectorILNS1_17partition_subalgoE4EjNS0_10empty_typeEbEEZZNS1_14partition_implILS8_4ELb0ES6_15HIP_vector_typeIjLj2EENS0_17counting_iteratorIjlEEPS9_SG_NS0_5tupleIJPjSI_NS0_16reverse_iteratorISI_EEEEENSH_IJSG_SG_SG_EEES9_SI_JZNS1_25segmented_radix_sort_implINS0_14default_configELb0EPK12hip_bfloat16PSP_PKlPlN2at6native12_GLOBAL__N_18offset_tEEE10hipError_tPvRmT1_PNSt15iterator_traitsIS13_E10value_typeET2_T3_PNS14_IS19_E10value_typeET4_jRbjT5_S1F_jjP12ihipStream_tbEUljE_ZNSN_ISO_Lb0ESR_SS_SU_SV_SZ_EES10_S11_S12_S13_S17_S18_S19_S1C_S1D_jS1E_jS1F_S1F_jjS1H_bEUljE0_EEES10_S11_S12_S19_S1D_S1F_T6_T7_T9_mT8_S1H_bDpT10_ENKUlT_T0_E_clISt17integral_constantIbLb0EES1U_IbLb1EEEEDaS1Q_S1R_EUlS1Q_E_NS1_11comp_targetILNS1_3genE2ELNS1_11target_archE906ELNS1_3gpuE6ELNS1_3repE0EEENS1_30default_config_static_selectorELNS0_4arch9wavefront6targetE0EEEvS13_.has_recursion, 0
	.set _ZN7rocprim17ROCPRIM_400000_NS6detail17trampoline_kernelINS0_13select_configILj256ELj13ELNS0_17block_load_methodE3ELS4_3ELS4_3ELNS0_20block_scan_algorithmE0ELj4294967295EEENS1_25partition_config_selectorILNS1_17partition_subalgoE4EjNS0_10empty_typeEbEEZZNS1_14partition_implILS8_4ELb0ES6_15HIP_vector_typeIjLj2EENS0_17counting_iteratorIjlEEPS9_SG_NS0_5tupleIJPjSI_NS0_16reverse_iteratorISI_EEEEENSH_IJSG_SG_SG_EEES9_SI_JZNS1_25segmented_radix_sort_implINS0_14default_configELb0EPK12hip_bfloat16PSP_PKlPlN2at6native12_GLOBAL__N_18offset_tEEE10hipError_tPvRmT1_PNSt15iterator_traitsIS13_E10value_typeET2_T3_PNS14_IS19_E10value_typeET4_jRbjT5_S1F_jjP12ihipStream_tbEUljE_ZNSN_ISO_Lb0ESR_SS_SU_SV_SZ_EES10_S11_S12_S13_S17_S18_S19_S1C_S1D_jS1E_jS1F_S1F_jjS1H_bEUljE0_EEES10_S11_S12_S19_S1D_S1F_T6_T7_T9_mT8_S1H_bDpT10_ENKUlT_T0_E_clISt17integral_constantIbLb0EES1U_IbLb1EEEEDaS1Q_S1R_EUlS1Q_E_NS1_11comp_targetILNS1_3genE2ELNS1_11target_archE906ELNS1_3gpuE6ELNS1_3repE0EEENS1_30default_config_static_selectorELNS0_4arch9wavefront6targetE0EEEvS13_.has_indirect_call, 0
	.section	.AMDGPU.csdata,"",@progbits
; Kernel info:
; codeLenInByte = 0
; TotalNumSgprs: 0
; NumVgprs: 0
; ScratchSize: 0
; MemoryBound: 0
; FloatMode: 240
; IeeeMode: 1
; LDSByteSize: 0 bytes/workgroup (compile time only)
; SGPRBlocks: 0
; VGPRBlocks: 0
; NumSGPRsForWavesPerEU: 1
; NumVGPRsForWavesPerEU: 1
; Occupancy: 16
; WaveLimiterHint : 0
; COMPUTE_PGM_RSRC2:SCRATCH_EN: 0
; COMPUTE_PGM_RSRC2:USER_SGPR: 6
; COMPUTE_PGM_RSRC2:TRAP_HANDLER: 0
; COMPUTE_PGM_RSRC2:TGID_X_EN: 1
; COMPUTE_PGM_RSRC2:TGID_Y_EN: 0
; COMPUTE_PGM_RSRC2:TGID_Z_EN: 0
; COMPUTE_PGM_RSRC2:TIDIG_COMP_CNT: 0
	.section	.text._ZN7rocprim17ROCPRIM_400000_NS6detail17trampoline_kernelINS0_13select_configILj256ELj13ELNS0_17block_load_methodE3ELS4_3ELS4_3ELNS0_20block_scan_algorithmE0ELj4294967295EEENS1_25partition_config_selectorILNS1_17partition_subalgoE4EjNS0_10empty_typeEbEEZZNS1_14partition_implILS8_4ELb0ES6_15HIP_vector_typeIjLj2EENS0_17counting_iteratorIjlEEPS9_SG_NS0_5tupleIJPjSI_NS0_16reverse_iteratorISI_EEEEENSH_IJSG_SG_SG_EEES9_SI_JZNS1_25segmented_radix_sort_implINS0_14default_configELb0EPK12hip_bfloat16PSP_PKlPlN2at6native12_GLOBAL__N_18offset_tEEE10hipError_tPvRmT1_PNSt15iterator_traitsIS13_E10value_typeET2_T3_PNS14_IS19_E10value_typeET4_jRbjT5_S1F_jjP12ihipStream_tbEUljE_ZNSN_ISO_Lb0ESR_SS_SU_SV_SZ_EES10_S11_S12_S13_S17_S18_S19_S1C_S1D_jS1E_jS1F_S1F_jjS1H_bEUljE0_EEES10_S11_S12_S19_S1D_S1F_T6_T7_T9_mT8_S1H_bDpT10_ENKUlT_T0_E_clISt17integral_constantIbLb0EES1U_IbLb1EEEEDaS1Q_S1R_EUlS1Q_E_NS1_11comp_targetILNS1_3genE10ELNS1_11target_archE1200ELNS1_3gpuE4ELNS1_3repE0EEENS1_30default_config_static_selectorELNS0_4arch9wavefront6targetE0EEEvS13_,"axG",@progbits,_ZN7rocprim17ROCPRIM_400000_NS6detail17trampoline_kernelINS0_13select_configILj256ELj13ELNS0_17block_load_methodE3ELS4_3ELS4_3ELNS0_20block_scan_algorithmE0ELj4294967295EEENS1_25partition_config_selectorILNS1_17partition_subalgoE4EjNS0_10empty_typeEbEEZZNS1_14partition_implILS8_4ELb0ES6_15HIP_vector_typeIjLj2EENS0_17counting_iteratorIjlEEPS9_SG_NS0_5tupleIJPjSI_NS0_16reverse_iteratorISI_EEEEENSH_IJSG_SG_SG_EEES9_SI_JZNS1_25segmented_radix_sort_implINS0_14default_configELb0EPK12hip_bfloat16PSP_PKlPlN2at6native12_GLOBAL__N_18offset_tEEE10hipError_tPvRmT1_PNSt15iterator_traitsIS13_E10value_typeET2_T3_PNS14_IS19_E10value_typeET4_jRbjT5_S1F_jjP12ihipStream_tbEUljE_ZNSN_ISO_Lb0ESR_SS_SU_SV_SZ_EES10_S11_S12_S13_S17_S18_S19_S1C_S1D_jS1E_jS1F_S1F_jjS1H_bEUljE0_EEES10_S11_S12_S19_S1D_S1F_T6_T7_T9_mT8_S1H_bDpT10_ENKUlT_T0_E_clISt17integral_constantIbLb0EES1U_IbLb1EEEEDaS1Q_S1R_EUlS1Q_E_NS1_11comp_targetILNS1_3genE10ELNS1_11target_archE1200ELNS1_3gpuE4ELNS1_3repE0EEENS1_30default_config_static_selectorELNS0_4arch9wavefront6targetE0EEEvS13_,comdat
	.globl	_ZN7rocprim17ROCPRIM_400000_NS6detail17trampoline_kernelINS0_13select_configILj256ELj13ELNS0_17block_load_methodE3ELS4_3ELS4_3ELNS0_20block_scan_algorithmE0ELj4294967295EEENS1_25partition_config_selectorILNS1_17partition_subalgoE4EjNS0_10empty_typeEbEEZZNS1_14partition_implILS8_4ELb0ES6_15HIP_vector_typeIjLj2EENS0_17counting_iteratorIjlEEPS9_SG_NS0_5tupleIJPjSI_NS0_16reverse_iteratorISI_EEEEENSH_IJSG_SG_SG_EEES9_SI_JZNS1_25segmented_radix_sort_implINS0_14default_configELb0EPK12hip_bfloat16PSP_PKlPlN2at6native12_GLOBAL__N_18offset_tEEE10hipError_tPvRmT1_PNSt15iterator_traitsIS13_E10value_typeET2_T3_PNS14_IS19_E10value_typeET4_jRbjT5_S1F_jjP12ihipStream_tbEUljE_ZNSN_ISO_Lb0ESR_SS_SU_SV_SZ_EES10_S11_S12_S13_S17_S18_S19_S1C_S1D_jS1E_jS1F_S1F_jjS1H_bEUljE0_EEES10_S11_S12_S19_S1D_S1F_T6_T7_T9_mT8_S1H_bDpT10_ENKUlT_T0_E_clISt17integral_constantIbLb0EES1U_IbLb1EEEEDaS1Q_S1R_EUlS1Q_E_NS1_11comp_targetILNS1_3genE10ELNS1_11target_archE1200ELNS1_3gpuE4ELNS1_3repE0EEENS1_30default_config_static_selectorELNS0_4arch9wavefront6targetE0EEEvS13_ ; -- Begin function _ZN7rocprim17ROCPRIM_400000_NS6detail17trampoline_kernelINS0_13select_configILj256ELj13ELNS0_17block_load_methodE3ELS4_3ELS4_3ELNS0_20block_scan_algorithmE0ELj4294967295EEENS1_25partition_config_selectorILNS1_17partition_subalgoE4EjNS0_10empty_typeEbEEZZNS1_14partition_implILS8_4ELb0ES6_15HIP_vector_typeIjLj2EENS0_17counting_iteratorIjlEEPS9_SG_NS0_5tupleIJPjSI_NS0_16reverse_iteratorISI_EEEEENSH_IJSG_SG_SG_EEES9_SI_JZNS1_25segmented_radix_sort_implINS0_14default_configELb0EPK12hip_bfloat16PSP_PKlPlN2at6native12_GLOBAL__N_18offset_tEEE10hipError_tPvRmT1_PNSt15iterator_traitsIS13_E10value_typeET2_T3_PNS14_IS19_E10value_typeET4_jRbjT5_S1F_jjP12ihipStream_tbEUljE_ZNSN_ISO_Lb0ESR_SS_SU_SV_SZ_EES10_S11_S12_S13_S17_S18_S19_S1C_S1D_jS1E_jS1F_S1F_jjS1H_bEUljE0_EEES10_S11_S12_S19_S1D_S1F_T6_T7_T9_mT8_S1H_bDpT10_ENKUlT_T0_E_clISt17integral_constantIbLb0EES1U_IbLb1EEEEDaS1Q_S1R_EUlS1Q_E_NS1_11comp_targetILNS1_3genE10ELNS1_11target_archE1200ELNS1_3gpuE4ELNS1_3repE0EEENS1_30default_config_static_selectorELNS0_4arch9wavefront6targetE0EEEvS13_
	.p2align	8
	.type	_ZN7rocprim17ROCPRIM_400000_NS6detail17trampoline_kernelINS0_13select_configILj256ELj13ELNS0_17block_load_methodE3ELS4_3ELS4_3ELNS0_20block_scan_algorithmE0ELj4294967295EEENS1_25partition_config_selectorILNS1_17partition_subalgoE4EjNS0_10empty_typeEbEEZZNS1_14partition_implILS8_4ELb0ES6_15HIP_vector_typeIjLj2EENS0_17counting_iteratorIjlEEPS9_SG_NS0_5tupleIJPjSI_NS0_16reverse_iteratorISI_EEEEENSH_IJSG_SG_SG_EEES9_SI_JZNS1_25segmented_radix_sort_implINS0_14default_configELb0EPK12hip_bfloat16PSP_PKlPlN2at6native12_GLOBAL__N_18offset_tEEE10hipError_tPvRmT1_PNSt15iterator_traitsIS13_E10value_typeET2_T3_PNS14_IS19_E10value_typeET4_jRbjT5_S1F_jjP12ihipStream_tbEUljE_ZNSN_ISO_Lb0ESR_SS_SU_SV_SZ_EES10_S11_S12_S13_S17_S18_S19_S1C_S1D_jS1E_jS1F_S1F_jjS1H_bEUljE0_EEES10_S11_S12_S19_S1D_S1F_T6_T7_T9_mT8_S1H_bDpT10_ENKUlT_T0_E_clISt17integral_constantIbLb0EES1U_IbLb1EEEEDaS1Q_S1R_EUlS1Q_E_NS1_11comp_targetILNS1_3genE10ELNS1_11target_archE1200ELNS1_3gpuE4ELNS1_3repE0EEENS1_30default_config_static_selectorELNS0_4arch9wavefront6targetE0EEEvS13_,@function
_ZN7rocprim17ROCPRIM_400000_NS6detail17trampoline_kernelINS0_13select_configILj256ELj13ELNS0_17block_load_methodE3ELS4_3ELS4_3ELNS0_20block_scan_algorithmE0ELj4294967295EEENS1_25partition_config_selectorILNS1_17partition_subalgoE4EjNS0_10empty_typeEbEEZZNS1_14partition_implILS8_4ELb0ES6_15HIP_vector_typeIjLj2EENS0_17counting_iteratorIjlEEPS9_SG_NS0_5tupleIJPjSI_NS0_16reverse_iteratorISI_EEEEENSH_IJSG_SG_SG_EEES9_SI_JZNS1_25segmented_radix_sort_implINS0_14default_configELb0EPK12hip_bfloat16PSP_PKlPlN2at6native12_GLOBAL__N_18offset_tEEE10hipError_tPvRmT1_PNSt15iterator_traitsIS13_E10value_typeET2_T3_PNS14_IS19_E10value_typeET4_jRbjT5_S1F_jjP12ihipStream_tbEUljE_ZNSN_ISO_Lb0ESR_SS_SU_SV_SZ_EES10_S11_S12_S13_S17_S18_S19_S1C_S1D_jS1E_jS1F_S1F_jjS1H_bEUljE0_EEES10_S11_S12_S19_S1D_S1F_T6_T7_T9_mT8_S1H_bDpT10_ENKUlT_T0_E_clISt17integral_constantIbLb0EES1U_IbLb1EEEEDaS1Q_S1R_EUlS1Q_E_NS1_11comp_targetILNS1_3genE10ELNS1_11target_archE1200ELNS1_3gpuE4ELNS1_3repE0EEENS1_30default_config_static_selectorELNS0_4arch9wavefront6targetE0EEEvS13_: ; @_ZN7rocprim17ROCPRIM_400000_NS6detail17trampoline_kernelINS0_13select_configILj256ELj13ELNS0_17block_load_methodE3ELS4_3ELS4_3ELNS0_20block_scan_algorithmE0ELj4294967295EEENS1_25partition_config_selectorILNS1_17partition_subalgoE4EjNS0_10empty_typeEbEEZZNS1_14partition_implILS8_4ELb0ES6_15HIP_vector_typeIjLj2EENS0_17counting_iteratorIjlEEPS9_SG_NS0_5tupleIJPjSI_NS0_16reverse_iteratorISI_EEEEENSH_IJSG_SG_SG_EEES9_SI_JZNS1_25segmented_radix_sort_implINS0_14default_configELb0EPK12hip_bfloat16PSP_PKlPlN2at6native12_GLOBAL__N_18offset_tEEE10hipError_tPvRmT1_PNSt15iterator_traitsIS13_E10value_typeET2_T3_PNS14_IS19_E10value_typeET4_jRbjT5_S1F_jjP12ihipStream_tbEUljE_ZNSN_ISO_Lb0ESR_SS_SU_SV_SZ_EES10_S11_S12_S13_S17_S18_S19_S1C_S1D_jS1E_jS1F_S1F_jjS1H_bEUljE0_EEES10_S11_S12_S19_S1D_S1F_T6_T7_T9_mT8_S1H_bDpT10_ENKUlT_T0_E_clISt17integral_constantIbLb0EES1U_IbLb1EEEEDaS1Q_S1R_EUlS1Q_E_NS1_11comp_targetILNS1_3genE10ELNS1_11target_archE1200ELNS1_3gpuE4ELNS1_3repE0EEENS1_30default_config_static_selectorELNS0_4arch9wavefront6targetE0EEEvS13_
; %bb.0:
	.section	.rodata,"a",@progbits
	.p2align	6, 0x0
	.amdhsa_kernel _ZN7rocprim17ROCPRIM_400000_NS6detail17trampoline_kernelINS0_13select_configILj256ELj13ELNS0_17block_load_methodE3ELS4_3ELS4_3ELNS0_20block_scan_algorithmE0ELj4294967295EEENS1_25partition_config_selectorILNS1_17partition_subalgoE4EjNS0_10empty_typeEbEEZZNS1_14partition_implILS8_4ELb0ES6_15HIP_vector_typeIjLj2EENS0_17counting_iteratorIjlEEPS9_SG_NS0_5tupleIJPjSI_NS0_16reverse_iteratorISI_EEEEENSH_IJSG_SG_SG_EEES9_SI_JZNS1_25segmented_radix_sort_implINS0_14default_configELb0EPK12hip_bfloat16PSP_PKlPlN2at6native12_GLOBAL__N_18offset_tEEE10hipError_tPvRmT1_PNSt15iterator_traitsIS13_E10value_typeET2_T3_PNS14_IS19_E10value_typeET4_jRbjT5_S1F_jjP12ihipStream_tbEUljE_ZNSN_ISO_Lb0ESR_SS_SU_SV_SZ_EES10_S11_S12_S13_S17_S18_S19_S1C_S1D_jS1E_jS1F_S1F_jjS1H_bEUljE0_EEES10_S11_S12_S19_S1D_S1F_T6_T7_T9_mT8_S1H_bDpT10_ENKUlT_T0_E_clISt17integral_constantIbLb0EES1U_IbLb1EEEEDaS1Q_S1R_EUlS1Q_E_NS1_11comp_targetILNS1_3genE10ELNS1_11target_archE1200ELNS1_3gpuE4ELNS1_3repE0EEENS1_30default_config_static_selectorELNS0_4arch9wavefront6targetE0EEEvS13_
		.amdhsa_group_segment_fixed_size 0
		.amdhsa_private_segment_fixed_size 0
		.amdhsa_kernarg_size 184
		.amdhsa_user_sgpr_count 6
		.amdhsa_user_sgpr_private_segment_buffer 1
		.amdhsa_user_sgpr_dispatch_ptr 0
		.amdhsa_user_sgpr_queue_ptr 0
		.amdhsa_user_sgpr_kernarg_segment_ptr 1
		.amdhsa_user_sgpr_dispatch_id 0
		.amdhsa_user_sgpr_flat_scratch_init 0
		.amdhsa_user_sgpr_private_segment_size 0
		.amdhsa_wavefront_size32 1
		.amdhsa_uses_dynamic_stack 0
		.amdhsa_system_sgpr_private_segment_wavefront_offset 0
		.amdhsa_system_sgpr_workgroup_id_x 1
		.amdhsa_system_sgpr_workgroup_id_y 0
		.amdhsa_system_sgpr_workgroup_id_z 0
		.amdhsa_system_sgpr_workgroup_info 0
		.amdhsa_system_vgpr_workitem_id 0
		.amdhsa_next_free_vgpr 1
		.amdhsa_next_free_sgpr 1
		.amdhsa_reserve_vcc 0
		.amdhsa_reserve_flat_scratch 0
		.amdhsa_float_round_mode_32 0
		.amdhsa_float_round_mode_16_64 0
		.amdhsa_float_denorm_mode_32 3
		.amdhsa_float_denorm_mode_16_64 3
		.amdhsa_dx10_clamp 1
		.amdhsa_ieee_mode 1
		.amdhsa_fp16_overflow 0
		.amdhsa_workgroup_processor_mode 1
		.amdhsa_memory_ordered 1
		.amdhsa_forward_progress 1
		.amdhsa_shared_vgpr_count 0
		.amdhsa_exception_fp_ieee_invalid_op 0
		.amdhsa_exception_fp_denorm_src 0
		.amdhsa_exception_fp_ieee_div_zero 0
		.amdhsa_exception_fp_ieee_overflow 0
		.amdhsa_exception_fp_ieee_underflow 0
		.amdhsa_exception_fp_ieee_inexact 0
		.amdhsa_exception_int_div_zero 0
	.end_amdhsa_kernel
	.section	.text._ZN7rocprim17ROCPRIM_400000_NS6detail17trampoline_kernelINS0_13select_configILj256ELj13ELNS0_17block_load_methodE3ELS4_3ELS4_3ELNS0_20block_scan_algorithmE0ELj4294967295EEENS1_25partition_config_selectorILNS1_17partition_subalgoE4EjNS0_10empty_typeEbEEZZNS1_14partition_implILS8_4ELb0ES6_15HIP_vector_typeIjLj2EENS0_17counting_iteratorIjlEEPS9_SG_NS0_5tupleIJPjSI_NS0_16reverse_iteratorISI_EEEEENSH_IJSG_SG_SG_EEES9_SI_JZNS1_25segmented_radix_sort_implINS0_14default_configELb0EPK12hip_bfloat16PSP_PKlPlN2at6native12_GLOBAL__N_18offset_tEEE10hipError_tPvRmT1_PNSt15iterator_traitsIS13_E10value_typeET2_T3_PNS14_IS19_E10value_typeET4_jRbjT5_S1F_jjP12ihipStream_tbEUljE_ZNSN_ISO_Lb0ESR_SS_SU_SV_SZ_EES10_S11_S12_S13_S17_S18_S19_S1C_S1D_jS1E_jS1F_S1F_jjS1H_bEUljE0_EEES10_S11_S12_S19_S1D_S1F_T6_T7_T9_mT8_S1H_bDpT10_ENKUlT_T0_E_clISt17integral_constantIbLb0EES1U_IbLb1EEEEDaS1Q_S1R_EUlS1Q_E_NS1_11comp_targetILNS1_3genE10ELNS1_11target_archE1200ELNS1_3gpuE4ELNS1_3repE0EEENS1_30default_config_static_selectorELNS0_4arch9wavefront6targetE0EEEvS13_,"axG",@progbits,_ZN7rocprim17ROCPRIM_400000_NS6detail17trampoline_kernelINS0_13select_configILj256ELj13ELNS0_17block_load_methodE3ELS4_3ELS4_3ELNS0_20block_scan_algorithmE0ELj4294967295EEENS1_25partition_config_selectorILNS1_17partition_subalgoE4EjNS0_10empty_typeEbEEZZNS1_14partition_implILS8_4ELb0ES6_15HIP_vector_typeIjLj2EENS0_17counting_iteratorIjlEEPS9_SG_NS0_5tupleIJPjSI_NS0_16reverse_iteratorISI_EEEEENSH_IJSG_SG_SG_EEES9_SI_JZNS1_25segmented_radix_sort_implINS0_14default_configELb0EPK12hip_bfloat16PSP_PKlPlN2at6native12_GLOBAL__N_18offset_tEEE10hipError_tPvRmT1_PNSt15iterator_traitsIS13_E10value_typeET2_T3_PNS14_IS19_E10value_typeET4_jRbjT5_S1F_jjP12ihipStream_tbEUljE_ZNSN_ISO_Lb0ESR_SS_SU_SV_SZ_EES10_S11_S12_S13_S17_S18_S19_S1C_S1D_jS1E_jS1F_S1F_jjS1H_bEUljE0_EEES10_S11_S12_S19_S1D_S1F_T6_T7_T9_mT8_S1H_bDpT10_ENKUlT_T0_E_clISt17integral_constantIbLb0EES1U_IbLb1EEEEDaS1Q_S1R_EUlS1Q_E_NS1_11comp_targetILNS1_3genE10ELNS1_11target_archE1200ELNS1_3gpuE4ELNS1_3repE0EEENS1_30default_config_static_selectorELNS0_4arch9wavefront6targetE0EEEvS13_,comdat
.Lfunc_end2004:
	.size	_ZN7rocprim17ROCPRIM_400000_NS6detail17trampoline_kernelINS0_13select_configILj256ELj13ELNS0_17block_load_methodE3ELS4_3ELS4_3ELNS0_20block_scan_algorithmE0ELj4294967295EEENS1_25partition_config_selectorILNS1_17partition_subalgoE4EjNS0_10empty_typeEbEEZZNS1_14partition_implILS8_4ELb0ES6_15HIP_vector_typeIjLj2EENS0_17counting_iteratorIjlEEPS9_SG_NS0_5tupleIJPjSI_NS0_16reverse_iteratorISI_EEEEENSH_IJSG_SG_SG_EEES9_SI_JZNS1_25segmented_radix_sort_implINS0_14default_configELb0EPK12hip_bfloat16PSP_PKlPlN2at6native12_GLOBAL__N_18offset_tEEE10hipError_tPvRmT1_PNSt15iterator_traitsIS13_E10value_typeET2_T3_PNS14_IS19_E10value_typeET4_jRbjT5_S1F_jjP12ihipStream_tbEUljE_ZNSN_ISO_Lb0ESR_SS_SU_SV_SZ_EES10_S11_S12_S13_S17_S18_S19_S1C_S1D_jS1E_jS1F_S1F_jjS1H_bEUljE0_EEES10_S11_S12_S19_S1D_S1F_T6_T7_T9_mT8_S1H_bDpT10_ENKUlT_T0_E_clISt17integral_constantIbLb0EES1U_IbLb1EEEEDaS1Q_S1R_EUlS1Q_E_NS1_11comp_targetILNS1_3genE10ELNS1_11target_archE1200ELNS1_3gpuE4ELNS1_3repE0EEENS1_30default_config_static_selectorELNS0_4arch9wavefront6targetE0EEEvS13_, .Lfunc_end2004-_ZN7rocprim17ROCPRIM_400000_NS6detail17trampoline_kernelINS0_13select_configILj256ELj13ELNS0_17block_load_methodE3ELS4_3ELS4_3ELNS0_20block_scan_algorithmE0ELj4294967295EEENS1_25partition_config_selectorILNS1_17partition_subalgoE4EjNS0_10empty_typeEbEEZZNS1_14partition_implILS8_4ELb0ES6_15HIP_vector_typeIjLj2EENS0_17counting_iteratorIjlEEPS9_SG_NS0_5tupleIJPjSI_NS0_16reverse_iteratorISI_EEEEENSH_IJSG_SG_SG_EEES9_SI_JZNS1_25segmented_radix_sort_implINS0_14default_configELb0EPK12hip_bfloat16PSP_PKlPlN2at6native12_GLOBAL__N_18offset_tEEE10hipError_tPvRmT1_PNSt15iterator_traitsIS13_E10value_typeET2_T3_PNS14_IS19_E10value_typeET4_jRbjT5_S1F_jjP12ihipStream_tbEUljE_ZNSN_ISO_Lb0ESR_SS_SU_SV_SZ_EES10_S11_S12_S13_S17_S18_S19_S1C_S1D_jS1E_jS1F_S1F_jjS1H_bEUljE0_EEES10_S11_S12_S19_S1D_S1F_T6_T7_T9_mT8_S1H_bDpT10_ENKUlT_T0_E_clISt17integral_constantIbLb0EES1U_IbLb1EEEEDaS1Q_S1R_EUlS1Q_E_NS1_11comp_targetILNS1_3genE10ELNS1_11target_archE1200ELNS1_3gpuE4ELNS1_3repE0EEENS1_30default_config_static_selectorELNS0_4arch9wavefront6targetE0EEEvS13_
                                        ; -- End function
	.set _ZN7rocprim17ROCPRIM_400000_NS6detail17trampoline_kernelINS0_13select_configILj256ELj13ELNS0_17block_load_methodE3ELS4_3ELS4_3ELNS0_20block_scan_algorithmE0ELj4294967295EEENS1_25partition_config_selectorILNS1_17partition_subalgoE4EjNS0_10empty_typeEbEEZZNS1_14partition_implILS8_4ELb0ES6_15HIP_vector_typeIjLj2EENS0_17counting_iteratorIjlEEPS9_SG_NS0_5tupleIJPjSI_NS0_16reverse_iteratorISI_EEEEENSH_IJSG_SG_SG_EEES9_SI_JZNS1_25segmented_radix_sort_implINS0_14default_configELb0EPK12hip_bfloat16PSP_PKlPlN2at6native12_GLOBAL__N_18offset_tEEE10hipError_tPvRmT1_PNSt15iterator_traitsIS13_E10value_typeET2_T3_PNS14_IS19_E10value_typeET4_jRbjT5_S1F_jjP12ihipStream_tbEUljE_ZNSN_ISO_Lb0ESR_SS_SU_SV_SZ_EES10_S11_S12_S13_S17_S18_S19_S1C_S1D_jS1E_jS1F_S1F_jjS1H_bEUljE0_EEES10_S11_S12_S19_S1D_S1F_T6_T7_T9_mT8_S1H_bDpT10_ENKUlT_T0_E_clISt17integral_constantIbLb0EES1U_IbLb1EEEEDaS1Q_S1R_EUlS1Q_E_NS1_11comp_targetILNS1_3genE10ELNS1_11target_archE1200ELNS1_3gpuE4ELNS1_3repE0EEENS1_30default_config_static_selectorELNS0_4arch9wavefront6targetE0EEEvS13_.num_vgpr, 0
	.set _ZN7rocprim17ROCPRIM_400000_NS6detail17trampoline_kernelINS0_13select_configILj256ELj13ELNS0_17block_load_methodE3ELS4_3ELS4_3ELNS0_20block_scan_algorithmE0ELj4294967295EEENS1_25partition_config_selectorILNS1_17partition_subalgoE4EjNS0_10empty_typeEbEEZZNS1_14partition_implILS8_4ELb0ES6_15HIP_vector_typeIjLj2EENS0_17counting_iteratorIjlEEPS9_SG_NS0_5tupleIJPjSI_NS0_16reverse_iteratorISI_EEEEENSH_IJSG_SG_SG_EEES9_SI_JZNS1_25segmented_radix_sort_implINS0_14default_configELb0EPK12hip_bfloat16PSP_PKlPlN2at6native12_GLOBAL__N_18offset_tEEE10hipError_tPvRmT1_PNSt15iterator_traitsIS13_E10value_typeET2_T3_PNS14_IS19_E10value_typeET4_jRbjT5_S1F_jjP12ihipStream_tbEUljE_ZNSN_ISO_Lb0ESR_SS_SU_SV_SZ_EES10_S11_S12_S13_S17_S18_S19_S1C_S1D_jS1E_jS1F_S1F_jjS1H_bEUljE0_EEES10_S11_S12_S19_S1D_S1F_T6_T7_T9_mT8_S1H_bDpT10_ENKUlT_T0_E_clISt17integral_constantIbLb0EES1U_IbLb1EEEEDaS1Q_S1R_EUlS1Q_E_NS1_11comp_targetILNS1_3genE10ELNS1_11target_archE1200ELNS1_3gpuE4ELNS1_3repE0EEENS1_30default_config_static_selectorELNS0_4arch9wavefront6targetE0EEEvS13_.num_agpr, 0
	.set _ZN7rocprim17ROCPRIM_400000_NS6detail17trampoline_kernelINS0_13select_configILj256ELj13ELNS0_17block_load_methodE3ELS4_3ELS4_3ELNS0_20block_scan_algorithmE0ELj4294967295EEENS1_25partition_config_selectorILNS1_17partition_subalgoE4EjNS0_10empty_typeEbEEZZNS1_14partition_implILS8_4ELb0ES6_15HIP_vector_typeIjLj2EENS0_17counting_iteratorIjlEEPS9_SG_NS0_5tupleIJPjSI_NS0_16reverse_iteratorISI_EEEEENSH_IJSG_SG_SG_EEES9_SI_JZNS1_25segmented_radix_sort_implINS0_14default_configELb0EPK12hip_bfloat16PSP_PKlPlN2at6native12_GLOBAL__N_18offset_tEEE10hipError_tPvRmT1_PNSt15iterator_traitsIS13_E10value_typeET2_T3_PNS14_IS19_E10value_typeET4_jRbjT5_S1F_jjP12ihipStream_tbEUljE_ZNSN_ISO_Lb0ESR_SS_SU_SV_SZ_EES10_S11_S12_S13_S17_S18_S19_S1C_S1D_jS1E_jS1F_S1F_jjS1H_bEUljE0_EEES10_S11_S12_S19_S1D_S1F_T6_T7_T9_mT8_S1H_bDpT10_ENKUlT_T0_E_clISt17integral_constantIbLb0EES1U_IbLb1EEEEDaS1Q_S1R_EUlS1Q_E_NS1_11comp_targetILNS1_3genE10ELNS1_11target_archE1200ELNS1_3gpuE4ELNS1_3repE0EEENS1_30default_config_static_selectorELNS0_4arch9wavefront6targetE0EEEvS13_.numbered_sgpr, 0
	.set _ZN7rocprim17ROCPRIM_400000_NS6detail17trampoline_kernelINS0_13select_configILj256ELj13ELNS0_17block_load_methodE3ELS4_3ELS4_3ELNS0_20block_scan_algorithmE0ELj4294967295EEENS1_25partition_config_selectorILNS1_17partition_subalgoE4EjNS0_10empty_typeEbEEZZNS1_14partition_implILS8_4ELb0ES6_15HIP_vector_typeIjLj2EENS0_17counting_iteratorIjlEEPS9_SG_NS0_5tupleIJPjSI_NS0_16reverse_iteratorISI_EEEEENSH_IJSG_SG_SG_EEES9_SI_JZNS1_25segmented_radix_sort_implINS0_14default_configELb0EPK12hip_bfloat16PSP_PKlPlN2at6native12_GLOBAL__N_18offset_tEEE10hipError_tPvRmT1_PNSt15iterator_traitsIS13_E10value_typeET2_T3_PNS14_IS19_E10value_typeET4_jRbjT5_S1F_jjP12ihipStream_tbEUljE_ZNSN_ISO_Lb0ESR_SS_SU_SV_SZ_EES10_S11_S12_S13_S17_S18_S19_S1C_S1D_jS1E_jS1F_S1F_jjS1H_bEUljE0_EEES10_S11_S12_S19_S1D_S1F_T6_T7_T9_mT8_S1H_bDpT10_ENKUlT_T0_E_clISt17integral_constantIbLb0EES1U_IbLb1EEEEDaS1Q_S1R_EUlS1Q_E_NS1_11comp_targetILNS1_3genE10ELNS1_11target_archE1200ELNS1_3gpuE4ELNS1_3repE0EEENS1_30default_config_static_selectorELNS0_4arch9wavefront6targetE0EEEvS13_.num_named_barrier, 0
	.set _ZN7rocprim17ROCPRIM_400000_NS6detail17trampoline_kernelINS0_13select_configILj256ELj13ELNS0_17block_load_methodE3ELS4_3ELS4_3ELNS0_20block_scan_algorithmE0ELj4294967295EEENS1_25partition_config_selectorILNS1_17partition_subalgoE4EjNS0_10empty_typeEbEEZZNS1_14partition_implILS8_4ELb0ES6_15HIP_vector_typeIjLj2EENS0_17counting_iteratorIjlEEPS9_SG_NS0_5tupleIJPjSI_NS0_16reverse_iteratorISI_EEEEENSH_IJSG_SG_SG_EEES9_SI_JZNS1_25segmented_radix_sort_implINS0_14default_configELb0EPK12hip_bfloat16PSP_PKlPlN2at6native12_GLOBAL__N_18offset_tEEE10hipError_tPvRmT1_PNSt15iterator_traitsIS13_E10value_typeET2_T3_PNS14_IS19_E10value_typeET4_jRbjT5_S1F_jjP12ihipStream_tbEUljE_ZNSN_ISO_Lb0ESR_SS_SU_SV_SZ_EES10_S11_S12_S13_S17_S18_S19_S1C_S1D_jS1E_jS1F_S1F_jjS1H_bEUljE0_EEES10_S11_S12_S19_S1D_S1F_T6_T7_T9_mT8_S1H_bDpT10_ENKUlT_T0_E_clISt17integral_constantIbLb0EES1U_IbLb1EEEEDaS1Q_S1R_EUlS1Q_E_NS1_11comp_targetILNS1_3genE10ELNS1_11target_archE1200ELNS1_3gpuE4ELNS1_3repE0EEENS1_30default_config_static_selectorELNS0_4arch9wavefront6targetE0EEEvS13_.private_seg_size, 0
	.set _ZN7rocprim17ROCPRIM_400000_NS6detail17trampoline_kernelINS0_13select_configILj256ELj13ELNS0_17block_load_methodE3ELS4_3ELS4_3ELNS0_20block_scan_algorithmE0ELj4294967295EEENS1_25partition_config_selectorILNS1_17partition_subalgoE4EjNS0_10empty_typeEbEEZZNS1_14partition_implILS8_4ELb0ES6_15HIP_vector_typeIjLj2EENS0_17counting_iteratorIjlEEPS9_SG_NS0_5tupleIJPjSI_NS0_16reverse_iteratorISI_EEEEENSH_IJSG_SG_SG_EEES9_SI_JZNS1_25segmented_radix_sort_implINS0_14default_configELb0EPK12hip_bfloat16PSP_PKlPlN2at6native12_GLOBAL__N_18offset_tEEE10hipError_tPvRmT1_PNSt15iterator_traitsIS13_E10value_typeET2_T3_PNS14_IS19_E10value_typeET4_jRbjT5_S1F_jjP12ihipStream_tbEUljE_ZNSN_ISO_Lb0ESR_SS_SU_SV_SZ_EES10_S11_S12_S13_S17_S18_S19_S1C_S1D_jS1E_jS1F_S1F_jjS1H_bEUljE0_EEES10_S11_S12_S19_S1D_S1F_T6_T7_T9_mT8_S1H_bDpT10_ENKUlT_T0_E_clISt17integral_constantIbLb0EES1U_IbLb1EEEEDaS1Q_S1R_EUlS1Q_E_NS1_11comp_targetILNS1_3genE10ELNS1_11target_archE1200ELNS1_3gpuE4ELNS1_3repE0EEENS1_30default_config_static_selectorELNS0_4arch9wavefront6targetE0EEEvS13_.uses_vcc, 0
	.set _ZN7rocprim17ROCPRIM_400000_NS6detail17trampoline_kernelINS0_13select_configILj256ELj13ELNS0_17block_load_methodE3ELS4_3ELS4_3ELNS0_20block_scan_algorithmE0ELj4294967295EEENS1_25partition_config_selectorILNS1_17partition_subalgoE4EjNS0_10empty_typeEbEEZZNS1_14partition_implILS8_4ELb0ES6_15HIP_vector_typeIjLj2EENS0_17counting_iteratorIjlEEPS9_SG_NS0_5tupleIJPjSI_NS0_16reverse_iteratorISI_EEEEENSH_IJSG_SG_SG_EEES9_SI_JZNS1_25segmented_radix_sort_implINS0_14default_configELb0EPK12hip_bfloat16PSP_PKlPlN2at6native12_GLOBAL__N_18offset_tEEE10hipError_tPvRmT1_PNSt15iterator_traitsIS13_E10value_typeET2_T3_PNS14_IS19_E10value_typeET4_jRbjT5_S1F_jjP12ihipStream_tbEUljE_ZNSN_ISO_Lb0ESR_SS_SU_SV_SZ_EES10_S11_S12_S13_S17_S18_S19_S1C_S1D_jS1E_jS1F_S1F_jjS1H_bEUljE0_EEES10_S11_S12_S19_S1D_S1F_T6_T7_T9_mT8_S1H_bDpT10_ENKUlT_T0_E_clISt17integral_constantIbLb0EES1U_IbLb1EEEEDaS1Q_S1R_EUlS1Q_E_NS1_11comp_targetILNS1_3genE10ELNS1_11target_archE1200ELNS1_3gpuE4ELNS1_3repE0EEENS1_30default_config_static_selectorELNS0_4arch9wavefront6targetE0EEEvS13_.uses_flat_scratch, 0
	.set _ZN7rocprim17ROCPRIM_400000_NS6detail17trampoline_kernelINS0_13select_configILj256ELj13ELNS0_17block_load_methodE3ELS4_3ELS4_3ELNS0_20block_scan_algorithmE0ELj4294967295EEENS1_25partition_config_selectorILNS1_17partition_subalgoE4EjNS0_10empty_typeEbEEZZNS1_14partition_implILS8_4ELb0ES6_15HIP_vector_typeIjLj2EENS0_17counting_iteratorIjlEEPS9_SG_NS0_5tupleIJPjSI_NS0_16reverse_iteratorISI_EEEEENSH_IJSG_SG_SG_EEES9_SI_JZNS1_25segmented_radix_sort_implINS0_14default_configELb0EPK12hip_bfloat16PSP_PKlPlN2at6native12_GLOBAL__N_18offset_tEEE10hipError_tPvRmT1_PNSt15iterator_traitsIS13_E10value_typeET2_T3_PNS14_IS19_E10value_typeET4_jRbjT5_S1F_jjP12ihipStream_tbEUljE_ZNSN_ISO_Lb0ESR_SS_SU_SV_SZ_EES10_S11_S12_S13_S17_S18_S19_S1C_S1D_jS1E_jS1F_S1F_jjS1H_bEUljE0_EEES10_S11_S12_S19_S1D_S1F_T6_T7_T9_mT8_S1H_bDpT10_ENKUlT_T0_E_clISt17integral_constantIbLb0EES1U_IbLb1EEEEDaS1Q_S1R_EUlS1Q_E_NS1_11comp_targetILNS1_3genE10ELNS1_11target_archE1200ELNS1_3gpuE4ELNS1_3repE0EEENS1_30default_config_static_selectorELNS0_4arch9wavefront6targetE0EEEvS13_.has_dyn_sized_stack, 0
	.set _ZN7rocprim17ROCPRIM_400000_NS6detail17trampoline_kernelINS0_13select_configILj256ELj13ELNS0_17block_load_methodE3ELS4_3ELS4_3ELNS0_20block_scan_algorithmE0ELj4294967295EEENS1_25partition_config_selectorILNS1_17partition_subalgoE4EjNS0_10empty_typeEbEEZZNS1_14partition_implILS8_4ELb0ES6_15HIP_vector_typeIjLj2EENS0_17counting_iteratorIjlEEPS9_SG_NS0_5tupleIJPjSI_NS0_16reverse_iteratorISI_EEEEENSH_IJSG_SG_SG_EEES9_SI_JZNS1_25segmented_radix_sort_implINS0_14default_configELb0EPK12hip_bfloat16PSP_PKlPlN2at6native12_GLOBAL__N_18offset_tEEE10hipError_tPvRmT1_PNSt15iterator_traitsIS13_E10value_typeET2_T3_PNS14_IS19_E10value_typeET4_jRbjT5_S1F_jjP12ihipStream_tbEUljE_ZNSN_ISO_Lb0ESR_SS_SU_SV_SZ_EES10_S11_S12_S13_S17_S18_S19_S1C_S1D_jS1E_jS1F_S1F_jjS1H_bEUljE0_EEES10_S11_S12_S19_S1D_S1F_T6_T7_T9_mT8_S1H_bDpT10_ENKUlT_T0_E_clISt17integral_constantIbLb0EES1U_IbLb1EEEEDaS1Q_S1R_EUlS1Q_E_NS1_11comp_targetILNS1_3genE10ELNS1_11target_archE1200ELNS1_3gpuE4ELNS1_3repE0EEENS1_30default_config_static_selectorELNS0_4arch9wavefront6targetE0EEEvS13_.has_recursion, 0
	.set _ZN7rocprim17ROCPRIM_400000_NS6detail17trampoline_kernelINS0_13select_configILj256ELj13ELNS0_17block_load_methodE3ELS4_3ELS4_3ELNS0_20block_scan_algorithmE0ELj4294967295EEENS1_25partition_config_selectorILNS1_17partition_subalgoE4EjNS0_10empty_typeEbEEZZNS1_14partition_implILS8_4ELb0ES6_15HIP_vector_typeIjLj2EENS0_17counting_iteratorIjlEEPS9_SG_NS0_5tupleIJPjSI_NS0_16reverse_iteratorISI_EEEEENSH_IJSG_SG_SG_EEES9_SI_JZNS1_25segmented_radix_sort_implINS0_14default_configELb0EPK12hip_bfloat16PSP_PKlPlN2at6native12_GLOBAL__N_18offset_tEEE10hipError_tPvRmT1_PNSt15iterator_traitsIS13_E10value_typeET2_T3_PNS14_IS19_E10value_typeET4_jRbjT5_S1F_jjP12ihipStream_tbEUljE_ZNSN_ISO_Lb0ESR_SS_SU_SV_SZ_EES10_S11_S12_S13_S17_S18_S19_S1C_S1D_jS1E_jS1F_S1F_jjS1H_bEUljE0_EEES10_S11_S12_S19_S1D_S1F_T6_T7_T9_mT8_S1H_bDpT10_ENKUlT_T0_E_clISt17integral_constantIbLb0EES1U_IbLb1EEEEDaS1Q_S1R_EUlS1Q_E_NS1_11comp_targetILNS1_3genE10ELNS1_11target_archE1200ELNS1_3gpuE4ELNS1_3repE0EEENS1_30default_config_static_selectorELNS0_4arch9wavefront6targetE0EEEvS13_.has_indirect_call, 0
	.section	.AMDGPU.csdata,"",@progbits
; Kernel info:
; codeLenInByte = 0
; TotalNumSgprs: 0
; NumVgprs: 0
; ScratchSize: 0
; MemoryBound: 0
; FloatMode: 240
; IeeeMode: 1
; LDSByteSize: 0 bytes/workgroup (compile time only)
; SGPRBlocks: 0
; VGPRBlocks: 0
; NumSGPRsForWavesPerEU: 1
; NumVGPRsForWavesPerEU: 1
; Occupancy: 16
; WaveLimiterHint : 0
; COMPUTE_PGM_RSRC2:SCRATCH_EN: 0
; COMPUTE_PGM_RSRC2:USER_SGPR: 6
; COMPUTE_PGM_RSRC2:TRAP_HANDLER: 0
; COMPUTE_PGM_RSRC2:TGID_X_EN: 1
; COMPUTE_PGM_RSRC2:TGID_Y_EN: 0
; COMPUTE_PGM_RSRC2:TGID_Z_EN: 0
; COMPUTE_PGM_RSRC2:TIDIG_COMP_CNT: 0
	.section	.text._ZN7rocprim17ROCPRIM_400000_NS6detail17trampoline_kernelINS0_13select_configILj256ELj13ELNS0_17block_load_methodE3ELS4_3ELS4_3ELNS0_20block_scan_algorithmE0ELj4294967295EEENS1_25partition_config_selectorILNS1_17partition_subalgoE4EjNS0_10empty_typeEbEEZZNS1_14partition_implILS8_4ELb0ES6_15HIP_vector_typeIjLj2EENS0_17counting_iteratorIjlEEPS9_SG_NS0_5tupleIJPjSI_NS0_16reverse_iteratorISI_EEEEENSH_IJSG_SG_SG_EEES9_SI_JZNS1_25segmented_radix_sort_implINS0_14default_configELb0EPK12hip_bfloat16PSP_PKlPlN2at6native12_GLOBAL__N_18offset_tEEE10hipError_tPvRmT1_PNSt15iterator_traitsIS13_E10value_typeET2_T3_PNS14_IS19_E10value_typeET4_jRbjT5_S1F_jjP12ihipStream_tbEUljE_ZNSN_ISO_Lb0ESR_SS_SU_SV_SZ_EES10_S11_S12_S13_S17_S18_S19_S1C_S1D_jS1E_jS1F_S1F_jjS1H_bEUljE0_EEES10_S11_S12_S19_S1D_S1F_T6_T7_T9_mT8_S1H_bDpT10_ENKUlT_T0_E_clISt17integral_constantIbLb0EES1U_IbLb1EEEEDaS1Q_S1R_EUlS1Q_E_NS1_11comp_targetILNS1_3genE9ELNS1_11target_archE1100ELNS1_3gpuE3ELNS1_3repE0EEENS1_30default_config_static_selectorELNS0_4arch9wavefront6targetE0EEEvS13_,"axG",@progbits,_ZN7rocprim17ROCPRIM_400000_NS6detail17trampoline_kernelINS0_13select_configILj256ELj13ELNS0_17block_load_methodE3ELS4_3ELS4_3ELNS0_20block_scan_algorithmE0ELj4294967295EEENS1_25partition_config_selectorILNS1_17partition_subalgoE4EjNS0_10empty_typeEbEEZZNS1_14partition_implILS8_4ELb0ES6_15HIP_vector_typeIjLj2EENS0_17counting_iteratorIjlEEPS9_SG_NS0_5tupleIJPjSI_NS0_16reverse_iteratorISI_EEEEENSH_IJSG_SG_SG_EEES9_SI_JZNS1_25segmented_radix_sort_implINS0_14default_configELb0EPK12hip_bfloat16PSP_PKlPlN2at6native12_GLOBAL__N_18offset_tEEE10hipError_tPvRmT1_PNSt15iterator_traitsIS13_E10value_typeET2_T3_PNS14_IS19_E10value_typeET4_jRbjT5_S1F_jjP12ihipStream_tbEUljE_ZNSN_ISO_Lb0ESR_SS_SU_SV_SZ_EES10_S11_S12_S13_S17_S18_S19_S1C_S1D_jS1E_jS1F_S1F_jjS1H_bEUljE0_EEES10_S11_S12_S19_S1D_S1F_T6_T7_T9_mT8_S1H_bDpT10_ENKUlT_T0_E_clISt17integral_constantIbLb0EES1U_IbLb1EEEEDaS1Q_S1R_EUlS1Q_E_NS1_11comp_targetILNS1_3genE9ELNS1_11target_archE1100ELNS1_3gpuE3ELNS1_3repE0EEENS1_30default_config_static_selectorELNS0_4arch9wavefront6targetE0EEEvS13_,comdat
	.globl	_ZN7rocprim17ROCPRIM_400000_NS6detail17trampoline_kernelINS0_13select_configILj256ELj13ELNS0_17block_load_methodE3ELS4_3ELS4_3ELNS0_20block_scan_algorithmE0ELj4294967295EEENS1_25partition_config_selectorILNS1_17partition_subalgoE4EjNS0_10empty_typeEbEEZZNS1_14partition_implILS8_4ELb0ES6_15HIP_vector_typeIjLj2EENS0_17counting_iteratorIjlEEPS9_SG_NS0_5tupleIJPjSI_NS0_16reverse_iteratorISI_EEEEENSH_IJSG_SG_SG_EEES9_SI_JZNS1_25segmented_radix_sort_implINS0_14default_configELb0EPK12hip_bfloat16PSP_PKlPlN2at6native12_GLOBAL__N_18offset_tEEE10hipError_tPvRmT1_PNSt15iterator_traitsIS13_E10value_typeET2_T3_PNS14_IS19_E10value_typeET4_jRbjT5_S1F_jjP12ihipStream_tbEUljE_ZNSN_ISO_Lb0ESR_SS_SU_SV_SZ_EES10_S11_S12_S13_S17_S18_S19_S1C_S1D_jS1E_jS1F_S1F_jjS1H_bEUljE0_EEES10_S11_S12_S19_S1D_S1F_T6_T7_T9_mT8_S1H_bDpT10_ENKUlT_T0_E_clISt17integral_constantIbLb0EES1U_IbLb1EEEEDaS1Q_S1R_EUlS1Q_E_NS1_11comp_targetILNS1_3genE9ELNS1_11target_archE1100ELNS1_3gpuE3ELNS1_3repE0EEENS1_30default_config_static_selectorELNS0_4arch9wavefront6targetE0EEEvS13_ ; -- Begin function _ZN7rocprim17ROCPRIM_400000_NS6detail17trampoline_kernelINS0_13select_configILj256ELj13ELNS0_17block_load_methodE3ELS4_3ELS4_3ELNS0_20block_scan_algorithmE0ELj4294967295EEENS1_25partition_config_selectorILNS1_17partition_subalgoE4EjNS0_10empty_typeEbEEZZNS1_14partition_implILS8_4ELb0ES6_15HIP_vector_typeIjLj2EENS0_17counting_iteratorIjlEEPS9_SG_NS0_5tupleIJPjSI_NS0_16reverse_iteratorISI_EEEEENSH_IJSG_SG_SG_EEES9_SI_JZNS1_25segmented_radix_sort_implINS0_14default_configELb0EPK12hip_bfloat16PSP_PKlPlN2at6native12_GLOBAL__N_18offset_tEEE10hipError_tPvRmT1_PNSt15iterator_traitsIS13_E10value_typeET2_T3_PNS14_IS19_E10value_typeET4_jRbjT5_S1F_jjP12ihipStream_tbEUljE_ZNSN_ISO_Lb0ESR_SS_SU_SV_SZ_EES10_S11_S12_S13_S17_S18_S19_S1C_S1D_jS1E_jS1F_S1F_jjS1H_bEUljE0_EEES10_S11_S12_S19_S1D_S1F_T6_T7_T9_mT8_S1H_bDpT10_ENKUlT_T0_E_clISt17integral_constantIbLb0EES1U_IbLb1EEEEDaS1Q_S1R_EUlS1Q_E_NS1_11comp_targetILNS1_3genE9ELNS1_11target_archE1100ELNS1_3gpuE3ELNS1_3repE0EEENS1_30default_config_static_selectorELNS0_4arch9wavefront6targetE0EEEvS13_
	.p2align	8
	.type	_ZN7rocprim17ROCPRIM_400000_NS6detail17trampoline_kernelINS0_13select_configILj256ELj13ELNS0_17block_load_methodE3ELS4_3ELS4_3ELNS0_20block_scan_algorithmE0ELj4294967295EEENS1_25partition_config_selectorILNS1_17partition_subalgoE4EjNS0_10empty_typeEbEEZZNS1_14partition_implILS8_4ELb0ES6_15HIP_vector_typeIjLj2EENS0_17counting_iteratorIjlEEPS9_SG_NS0_5tupleIJPjSI_NS0_16reverse_iteratorISI_EEEEENSH_IJSG_SG_SG_EEES9_SI_JZNS1_25segmented_radix_sort_implINS0_14default_configELb0EPK12hip_bfloat16PSP_PKlPlN2at6native12_GLOBAL__N_18offset_tEEE10hipError_tPvRmT1_PNSt15iterator_traitsIS13_E10value_typeET2_T3_PNS14_IS19_E10value_typeET4_jRbjT5_S1F_jjP12ihipStream_tbEUljE_ZNSN_ISO_Lb0ESR_SS_SU_SV_SZ_EES10_S11_S12_S13_S17_S18_S19_S1C_S1D_jS1E_jS1F_S1F_jjS1H_bEUljE0_EEES10_S11_S12_S19_S1D_S1F_T6_T7_T9_mT8_S1H_bDpT10_ENKUlT_T0_E_clISt17integral_constantIbLb0EES1U_IbLb1EEEEDaS1Q_S1R_EUlS1Q_E_NS1_11comp_targetILNS1_3genE9ELNS1_11target_archE1100ELNS1_3gpuE3ELNS1_3repE0EEENS1_30default_config_static_selectorELNS0_4arch9wavefront6targetE0EEEvS13_,@function
_ZN7rocprim17ROCPRIM_400000_NS6detail17trampoline_kernelINS0_13select_configILj256ELj13ELNS0_17block_load_methodE3ELS4_3ELS4_3ELNS0_20block_scan_algorithmE0ELj4294967295EEENS1_25partition_config_selectorILNS1_17partition_subalgoE4EjNS0_10empty_typeEbEEZZNS1_14partition_implILS8_4ELb0ES6_15HIP_vector_typeIjLj2EENS0_17counting_iteratorIjlEEPS9_SG_NS0_5tupleIJPjSI_NS0_16reverse_iteratorISI_EEEEENSH_IJSG_SG_SG_EEES9_SI_JZNS1_25segmented_radix_sort_implINS0_14default_configELb0EPK12hip_bfloat16PSP_PKlPlN2at6native12_GLOBAL__N_18offset_tEEE10hipError_tPvRmT1_PNSt15iterator_traitsIS13_E10value_typeET2_T3_PNS14_IS19_E10value_typeET4_jRbjT5_S1F_jjP12ihipStream_tbEUljE_ZNSN_ISO_Lb0ESR_SS_SU_SV_SZ_EES10_S11_S12_S13_S17_S18_S19_S1C_S1D_jS1E_jS1F_S1F_jjS1H_bEUljE0_EEES10_S11_S12_S19_S1D_S1F_T6_T7_T9_mT8_S1H_bDpT10_ENKUlT_T0_E_clISt17integral_constantIbLb0EES1U_IbLb1EEEEDaS1Q_S1R_EUlS1Q_E_NS1_11comp_targetILNS1_3genE9ELNS1_11target_archE1100ELNS1_3gpuE3ELNS1_3repE0EEENS1_30default_config_static_selectorELNS0_4arch9wavefront6targetE0EEEvS13_: ; @_ZN7rocprim17ROCPRIM_400000_NS6detail17trampoline_kernelINS0_13select_configILj256ELj13ELNS0_17block_load_methodE3ELS4_3ELS4_3ELNS0_20block_scan_algorithmE0ELj4294967295EEENS1_25partition_config_selectorILNS1_17partition_subalgoE4EjNS0_10empty_typeEbEEZZNS1_14partition_implILS8_4ELb0ES6_15HIP_vector_typeIjLj2EENS0_17counting_iteratorIjlEEPS9_SG_NS0_5tupleIJPjSI_NS0_16reverse_iteratorISI_EEEEENSH_IJSG_SG_SG_EEES9_SI_JZNS1_25segmented_radix_sort_implINS0_14default_configELb0EPK12hip_bfloat16PSP_PKlPlN2at6native12_GLOBAL__N_18offset_tEEE10hipError_tPvRmT1_PNSt15iterator_traitsIS13_E10value_typeET2_T3_PNS14_IS19_E10value_typeET4_jRbjT5_S1F_jjP12ihipStream_tbEUljE_ZNSN_ISO_Lb0ESR_SS_SU_SV_SZ_EES10_S11_S12_S13_S17_S18_S19_S1C_S1D_jS1E_jS1F_S1F_jjS1H_bEUljE0_EEES10_S11_S12_S19_S1D_S1F_T6_T7_T9_mT8_S1H_bDpT10_ENKUlT_T0_E_clISt17integral_constantIbLb0EES1U_IbLb1EEEEDaS1Q_S1R_EUlS1Q_E_NS1_11comp_targetILNS1_3genE9ELNS1_11target_archE1100ELNS1_3gpuE3ELNS1_3repE0EEENS1_30default_config_static_selectorELNS0_4arch9wavefront6targetE0EEEvS13_
; %bb.0:
	.section	.rodata,"a",@progbits
	.p2align	6, 0x0
	.amdhsa_kernel _ZN7rocprim17ROCPRIM_400000_NS6detail17trampoline_kernelINS0_13select_configILj256ELj13ELNS0_17block_load_methodE3ELS4_3ELS4_3ELNS0_20block_scan_algorithmE0ELj4294967295EEENS1_25partition_config_selectorILNS1_17partition_subalgoE4EjNS0_10empty_typeEbEEZZNS1_14partition_implILS8_4ELb0ES6_15HIP_vector_typeIjLj2EENS0_17counting_iteratorIjlEEPS9_SG_NS0_5tupleIJPjSI_NS0_16reverse_iteratorISI_EEEEENSH_IJSG_SG_SG_EEES9_SI_JZNS1_25segmented_radix_sort_implINS0_14default_configELb0EPK12hip_bfloat16PSP_PKlPlN2at6native12_GLOBAL__N_18offset_tEEE10hipError_tPvRmT1_PNSt15iterator_traitsIS13_E10value_typeET2_T3_PNS14_IS19_E10value_typeET4_jRbjT5_S1F_jjP12ihipStream_tbEUljE_ZNSN_ISO_Lb0ESR_SS_SU_SV_SZ_EES10_S11_S12_S13_S17_S18_S19_S1C_S1D_jS1E_jS1F_S1F_jjS1H_bEUljE0_EEES10_S11_S12_S19_S1D_S1F_T6_T7_T9_mT8_S1H_bDpT10_ENKUlT_T0_E_clISt17integral_constantIbLb0EES1U_IbLb1EEEEDaS1Q_S1R_EUlS1Q_E_NS1_11comp_targetILNS1_3genE9ELNS1_11target_archE1100ELNS1_3gpuE3ELNS1_3repE0EEENS1_30default_config_static_selectorELNS0_4arch9wavefront6targetE0EEEvS13_
		.amdhsa_group_segment_fixed_size 0
		.amdhsa_private_segment_fixed_size 0
		.amdhsa_kernarg_size 184
		.amdhsa_user_sgpr_count 6
		.amdhsa_user_sgpr_private_segment_buffer 1
		.amdhsa_user_sgpr_dispatch_ptr 0
		.amdhsa_user_sgpr_queue_ptr 0
		.amdhsa_user_sgpr_kernarg_segment_ptr 1
		.amdhsa_user_sgpr_dispatch_id 0
		.amdhsa_user_sgpr_flat_scratch_init 0
		.amdhsa_user_sgpr_private_segment_size 0
		.amdhsa_wavefront_size32 1
		.amdhsa_uses_dynamic_stack 0
		.amdhsa_system_sgpr_private_segment_wavefront_offset 0
		.amdhsa_system_sgpr_workgroup_id_x 1
		.amdhsa_system_sgpr_workgroup_id_y 0
		.amdhsa_system_sgpr_workgroup_id_z 0
		.amdhsa_system_sgpr_workgroup_info 0
		.amdhsa_system_vgpr_workitem_id 0
		.amdhsa_next_free_vgpr 1
		.amdhsa_next_free_sgpr 1
		.amdhsa_reserve_vcc 0
		.amdhsa_reserve_flat_scratch 0
		.amdhsa_float_round_mode_32 0
		.amdhsa_float_round_mode_16_64 0
		.amdhsa_float_denorm_mode_32 3
		.amdhsa_float_denorm_mode_16_64 3
		.amdhsa_dx10_clamp 1
		.amdhsa_ieee_mode 1
		.amdhsa_fp16_overflow 0
		.amdhsa_workgroup_processor_mode 1
		.amdhsa_memory_ordered 1
		.amdhsa_forward_progress 1
		.amdhsa_shared_vgpr_count 0
		.amdhsa_exception_fp_ieee_invalid_op 0
		.amdhsa_exception_fp_denorm_src 0
		.amdhsa_exception_fp_ieee_div_zero 0
		.amdhsa_exception_fp_ieee_overflow 0
		.amdhsa_exception_fp_ieee_underflow 0
		.amdhsa_exception_fp_ieee_inexact 0
		.amdhsa_exception_int_div_zero 0
	.end_amdhsa_kernel
	.section	.text._ZN7rocprim17ROCPRIM_400000_NS6detail17trampoline_kernelINS0_13select_configILj256ELj13ELNS0_17block_load_methodE3ELS4_3ELS4_3ELNS0_20block_scan_algorithmE0ELj4294967295EEENS1_25partition_config_selectorILNS1_17partition_subalgoE4EjNS0_10empty_typeEbEEZZNS1_14partition_implILS8_4ELb0ES6_15HIP_vector_typeIjLj2EENS0_17counting_iteratorIjlEEPS9_SG_NS0_5tupleIJPjSI_NS0_16reverse_iteratorISI_EEEEENSH_IJSG_SG_SG_EEES9_SI_JZNS1_25segmented_radix_sort_implINS0_14default_configELb0EPK12hip_bfloat16PSP_PKlPlN2at6native12_GLOBAL__N_18offset_tEEE10hipError_tPvRmT1_PNSt15iterator_traitsIS13_E10value_typeET2_T3_PNS14_IS19_E10value_typeET4_jRbjT5_S1F_jjP12ihipStream_tbEUljE_ZNSN_ISO_Lb0ESR_SS_SU_SV_SZ_EES10_S11_S12_S13_S17_S18_S19_S1C_S1D_jS1E_jS1F_S1F_jjS1H_bEUljE0_EEES10_S11_S12_S19_S1D_S1F_T6_T7_T9_mT8_S1H_bDpT10_ENKUlT_T0_E_clISt17integral_constantIbLb0EES1U_IbLb1EEEEDaS1Q_S1R_EUlS1Q_E_NS1_11comp_targetILNS1_3genE9ELNS1_11target_archE1100ELNS1_3gpuE3ELNS1_3repE0EEENS1_30default_config_static_selectorELNS0_4arch9wavefront6targetE0EEEvS13_,"axG",@progbits,_ZN7rocprim17ROCPRIM_400000_NS6detail17trampoline_kernelINS0_13select_configILj256ELj13ELNS0_17block_load_methodE3ELS4_3ELS4_3ELNS0_20block_scan_algorithmE0ELj4294967295EEENS1_25partition_config_selectorILNS1_17partition_subalgoE4EjNS0_10empty_typeEbEEZZNS1_14partition_implILS8_4ELb0ES6_15HIP_vector_typeIjLj2EENS0_17counting_iteratorIjlEEPS9_SG_NS0_5tupleIJPjSI_NS0_16reverse_iteratorISI_EEEEENSH_IJSG_SG_SG_EEES9_SI_JZNS1_25segmented_radix_sort_implINS0_14default_configELb0EPK12hip_bfloat16PSP_PKlPlN2at6native12_GLOBAL__N_18offset_tEEE10hipError_tPvRmT1_PNSt15iterator_traitsIS13_E10value_typeET2_T3_PNS14_IS19_E10value_typeET4_jRbjT5_S1F_jjP12ihipStream_tbEUljE_ZNSN_ISO_Lb0ESR_SS_SU_SV_SZ_EES10_S11_S12_S13_S17_S18_S19_S1C_S1D_jS1E_jS1F_S1F_jjS1H_bEUljE0_EEES10_S11_S12_S19_S1D_S1F_T6_T7_T9_mT8_S1H_bDpT10_ENKUlT_T0_E_clISt17integral_constantIbLb0EES1U_IbLb1EEEEDaS1Q_S1R_EUlS1Q_E_NS1_11comp_targetILNS1_3genE9ELNS1_11target_archE1100ELNS1_3gpuE3ELNS1_3repE0EEENS1_30default_config_static_selectorELNS0_4arch9wavefront6targetE0EEEvS13_,comdat
.Lfunc_end2005:
	.size	_ZN7rocprim17ROCPRIM_400000_NS6detail17trampoline_kernelINS0_13select_configILj256ELj13ELNS0_17block_load_methodE3ELS4_3ELS4_3ELNS0_20block_scan_algorithmE0ELj4294967295EEENS1_25partition_config_selectorILNS1_17partition_subalgoE4EjNS0_10empty_typeEbEEZZNS1_14partition_implILS8_4ELb0ES6_15HIP_vector_typeIjLj2EENS0_17counting_iteratorIjlEEPS9_SG_NS0_5tupleIJPjSI_NS0_16reverse_iteratorISI_EEEEENSH_IJSG_SG_SG_EEES9_SI_JZNS1_25segmented_radix_sort_implINS0_14default_configELb0EPK12hip_bfloat16PSP_PKlPlN2at6native12_GLOBAL__N_18offset_tEEE10hipError_tPvRmT1_PNSt15iterator_traitsIS13_E10value_typeET2_T3_PNS14_IS19_E10value_typeET4_jRbjT5_S1F_jjP12ihipStream_tbEUljE_ZNSN_ISO_Lb0ESR_SS_SU_SV_SZ_EES10_S11_S12_S13_S17_S18_S19_S1C_S1D_jS1E_jS1F_S1F_jjS1H_bEUljE0_EEES10_S11_S12_S19_S1D_S1F_T6_T7_T9_mT8_S1H_bDpT10_ENKUlT_T0_E_clISt17integral_constantIbLb0EES1U_IbLb1EEEEDaS1Q_S1R_EUlS1Q_E_NS1_11comp_targetILNS1_3genE9ELNS1_11target_archE1100ELNS1_3gpuE3ELNS1_3repE0EEENS1_30default_config_static_selectorELNS0_4arch9wavefront6targetE0EEEvS13_, .Lfunc_end2005-_ZN7rocprim17ROCPRIM_400000_NS6detail17trampoline_kernelINS0_13select_configILj256ELj13ELNS0_17block_load_methodE3ELS4_3ELS4_3ELNS0_20block_scan_algorithmE0ELj4294967295EEENS1_25partition_config_selectorILNS1_17partition_subalgoE4EjNS0_10empty_typeEbEEZZNS1_14partition_implILS8_4ELb0ES6_15HIP_vector_typeIjLj2EENS0_17counting_iteratorIjlEEPS9_SG_NS0_5tupleIJPjSI_NS0_16reverse_iteratorISI_EEEEENSH_IJSG_SG_SG_EEES9_SI_JZNS1_25segmented_radix_sort_implINS0_14default_configELb0EPK12hip_bfloat16PSP_PKlPlN2at6native12_GLOBAL__N_18offset_tEEE10hipError_tPvRmT1_PNSt15iterator_traitsIS13_E10value_typeET2_T3_PNS14_IS19_E10value_typeET4_jRbjT5_S1F_jjP12ihipStream_tbEUljE_ZNSN_ISO_Lb0ESR_SS_SU_SV_SZ_EES10_S11_S12_S13_S17_S18_S19_S1C_S1D_jS1E_jS1F_S1F_jjS1H_bEUljE0_EEES10_S11_S12_S19_S1D_S1F_T6_T7_T9_mT8_S1H_bDpT10_ENKUlT_T0_E_clISt17integral_constantIbLb0EES1U_IbLb1EEEEDaS1Q_S1R_EUlS1Q_E_NS1_11comp_targetILNS1_3genE9ELNS1_11target_archE1100ELNS1_3gpuE3ELNS1_3repE0EEENS1_30default_config_static_selectorELNS0_4arch9wavefront6targetE0EEEvS13_
                                        ; -- End function
	.set _ZN7rocprim17ROCPRIM_400000_NS6detail17trampoline_kernelINS0_13select_configILj256ELj13ELNS0_17block_load_methodE3ELS4_3ELS4_3ELNS0_20block_scan_algorithmE0ELj4294967295EEENS1_25partition_config_selectorILNS1_17partition_subalgoE4EjNS0_10empty_typeEbEEZZNS1_14partition_implILS8_4ELb0ES6_15HIP_vector_typeIjLj2EENS0_17counting_iteratorIjlEEPS9_SG_NS0_5tupleIJPjSI_NS0_16reverse_iteratorISI_EEEEENSH_IJSG_SG_SG_EEES9_SI_JZNS1_25segmented_radix_sort_implINS0_14default_configELb0EPK12hip_bfloat16PSP_PKlPlN2at6native12_GLOBAL__N_18offset_tEEE10hipError_tPvRmT1_PNSt15iterator_traitsIS13_E10value_typeET2_T3_PNS14_IS19_E10value_typeET4_jRbjT5_S1F_jjP12ihipStream_tbEUljE_ZNSN_ISO_Lb0ESR_SS_SU_SV_SZ_EES10_S11_S12_S13_S17_S18_S19_S1C_S1D_jS1E_jS1F_S1F_jjS1H_bEUljE0_EEES10_S11_S12_S19_S1D_S1F_T6_T7_T9_mT8_S1H_bDpT10_ENKUlT_T0_E_clISt17integral_constantIbLb0EES1U_IbLb1EEEEDaS1Q_S1R_EUlS1Q_E_NS1_11comp_targetILNS1_3genE9ELNS1_11target_archE1100ELNS1_3gpuE3ELNS1_3repE0EEENS1_30default_config_static_selectorELNS0_4arch9wavefront6targetE0EEEvS13_.num_vgpr, 0
	.set _ZN7rocprim17ROCPRIM_400000_NS6detail17trampoline_kernelINS0_13select_configILj256ELj13ELNS0_17block_load_methodE3ELS4_3ELS4_3ELNS0_20block_scan_algorithmE0ELj4294967295EEENS1_25partition_config_selectorILNS1_17partition_subalgoE4EjNS0_10empty_typeEbEEZZNS1_14partition_implILS8_4ELb0ES6_15HIP_vector_typeIjLj2EENS0_17counting_iteratorIjlEEPS9_SG_NS0_5tupleIJPjSI_NS0_16reverse_iteratorISI_EEEEENSH_IJSG_SG_SG_EEES9_SI_JZNS1_25segmented_radix_sort_implINS0_14default_configELb0EPK12hip_bfloat16PSP_PKlPlN2at6native12_GLOBAL__N_18offset_tEEE10hipError_tPvRmT1_PNSt15iterator_traitsIS13_E10value_typeET2_T3_PNS14_IS19_E10value_typeET4_jRbjT5_S1F_jjP12ihipStream_tbEUljE_ZNSN_ISO_Lb0ESR_SS_SU_SV_SZ_EES10_S11_S12_S13_S17_S18_S19_S1C_S1D_jS1E_jS1F_S1F_jjS1H_bEUljE0_EEES10_S11_S12_S19_S1D_S1F_T6_T7_T9_mT8_S1H_bDpT10_ENKUlT_T0_E_clISt17integral_constantIbLb0EES1U_IbLb1EEEEDaS1Q_S1R_EUlS1Q_E_NS1_11comp_targetILNS1_3genE9ELNS1_11target_archE1100ELNS1_3gpuE3ELNS1_3repE0EEENS1_30default_config_static_selectorELNS0_4arch9wavefront6targetE0EEEvS13_.num_agpr, 0
	.set _ZN7rocprim17ROCPRIM_400000_NS6detail17trampoline_kernelINS0_13select_configILj256ELj13ELNS0_17block_load_methodE3ELS4_3ELS4_3ELNS0_20block_scan_algorithmE0ELj4294967295EEENS1_25partition_config_selectorILNS1_17partition_subalgoE4EjNS0_10empty_typeEbEEZZNS1_14partition_implILS8_4ELb0ES6_15HIP_vector_typeIjLj2EENS0_17counting_iteratorIjlEEPS9_SG_NS0_5tupleIJPjSI_NS0_16reverse_iteratorISI_EEEEENSH_IJSG_SG_SG_EEES9_SI_JZNS1_25segmented_radix_sort_implINS0_14default_configELb0EPK12hip_bfloat16PSP_PKlPlN2at6native12_GLOBAL__N_18offset_tEEE10hipError_tPvRmT1_PNSt15iterator_traitsIS13_E10value_typeET2_T3_PNS14_IS19_E10value_typeET4_jRbjT5_S1F_jjP12ihipStream_tbEUljE_ZNSN_ISO_Lb0ESR_SS_SU_SV_SZ_EES10_S11_S12_S13_S17_S18_S19_S1C_S1D_jS1E_jS1F_S1F_jjS1H_bEUljE0_EEES10_S11_S12_S19_S1D_S1F_T6_T7_T9_mT8_S1H_bDpT10_ENKUlT_T0_E_clISt17integral_constantIbLb0EES1U_IbLb1EEEEDaS1Q_S1R_EUlS1Q_E_NS1_11comp_targetILNS1_3genE9ELNS1_11target_archE1100ELNS1_3gpuE3ELNS1_3repE0EEENS1_30default_config_static_selectorELNS0_4arch9wavefront6targetE0EEEvS13_.numbered_sgpr, 0
	.set _ZN7rocprim17ROCPRIM_400000_NS6detail17trampoline_kernelINS0_13select_configILj256ELj13ELNS0_17block_load_methodE3ELS4_3ELS4_3ELNS0_20block_scan_algorithmE0ELj4294967295EEENS1_25partition_config_selectorILNS1_17partition_subalgoE4EjNS0_10empty_typeEbEEZZNS1_14partition_implILS8_4ELb0ES6_15HIP_vector_typeIjLj2EENS0_17counting_iteratorIjlEEPS9_SG_NS0_5tupleIJPjSI_NS0_16reverse_iteratorISI_EEEEENSH_IJSG_SG_SG_EEES9_SI_JZNS1_25segmented_radix_sort_implINS0_14default_configELb0EPK12hip_bfloat16PSP_PKlPlN2at6native12_GLOBAL__N_18offset_tEEE10hipError_tPvRmT1_PNSt15iterator_traitsIS13_E10value_typeET2_T3_PNS14_IS19_E10value_typeET4_jRbjT5_S1F_jjP12ihipStream_tbEUljE_ZNSN_ISO_Lb0ESR_SS_SU_SV_SZ_EES10_S11_S12_S13_S17_S18_S19_S1C_S1D_jS1E_jS1F_S1F_jjS1H_bEUljE0_EEES10_S11_S12_S19_S1D_S1F_T6_T7_T9_mT8_S1H_bDpT10_ENKUlT_T0_E_clISt17integral_constantIbLb0EES1U_IbLb1EEEEDaS1Q_S1R_EUlS1Q_E_NS1_11comp_targetILNS1_3genE9ELNS1_11target_archE1100ELNS1_3gpuE3ELNS1_3repE0EEENS1_30default_config_static_selectorELNS0_4arch9wavefront6targetE0EEEvS13_.num_named_barrier, 0
	.set _ZN7rocprim17ROCPRIM_400000_NS6detail17trampoline_kernelINS0_13select_configILj256ELj13ELNS0_17block_load_methodE3ELS4_3ELS4_3ELNS0_20block_scan_algorithmE0ELj4294967295EEENS1_25partition_config_selectorILNS1_17partition_subalgoE4EjNS0_10empty_typeEbEEZZNS1_14partition_implILS8_4ELb0ES6_15HIP_vector_typeIjLj2EENS0_17counting_iteratorIjlEEPS9_SG_NS0_5tupleIJPjSI_NS0_16reverse_iteratorISI_EEEEENSH_IJSG_SG_SG_EEES9_SI_JZNS1_25segmented_radix_sort_implINS0_14default_configELb0EPK12hip_bfloat16PSP_PKlPlN2at6native12_GLOBAL__N_18offset_tEEE10hipError_tPvRmT1_PNSt15iterator_traitsIS13_E10value_typeET2_T3_PNS14_IS19_E10value_typeET4_jRbjT5_S1F_jjP12ihipStream_tbEUljE_ZNSN_ISO_Lb0ESR_SS_SU_SV_SZ_EES10_S11_S12_S13_S17_S18_S19_S1C_S1D_jS1E_jS1F_S1F_jjS1H_bEUljE0_EEES10_S11_S12_S19_S1D_S1F_T6_T7_T9_mT8_S1H_bDpT10_ENKUlT_T0_E_clISt17integral_constantIbLb0EES1U_IbLb1EEEEDaS1Q_S1R_EUlS1Q_E_NS1_11comp_targetILNS1_3genE9ELNS1_11target_archE1100ELNS1_3gpuE3ELNS1_3repE0EEENS1_30default_config_static_selectorELNS0_4arch9wavefront6targetE0EEEvS13_.private_seg_size, 0
	.set _ZN7rocprim17ROCPRIM_400000_NS6detail17trampoline_kernelINS0_13select_configILj256ELj13ELNS0_17block_load_methodE3ELS4_3ELS4_3ELNS0_20block_scan_algorithmE0ELj4294967295EEENS1_25partition_config_selectorILNS1_17partition_subalgoE4EjNS0_10empty_typeEbEEZZNS1_14partition_implILS8_4ELb0ES6_15HIP_vector_typeIjLj2EENS0_17counting_iteratorIjlEEPS9_SG_NS0_5tupleIJPjSI_NS0_16reverse_iteratorISI_EEEEENSH_IJSG_SG_SG_EEES9_SI_JZNS1_25segmented_radix_sort_implINS0_14default_configELb0EPK12hip_bfloat16PSP_PKlPlN2at6native12_GLOBAL__N_18offset_tEEE10hipError_tPvRmT1_PNSt15iterator_traitsIS13_E10value_typeET2_T3_PNS14_IS19_E10value_typeET4_jRbjT5_S1F_jjP12ihipStream_tbEUljE_ZNSN_ISO_Lb0ESR_SS_SU_SV_SZ_EES10_S11_S12_S13_S17_S18_S19_S1C_S1D_jS1E_jS1F_S1F_jjS1H_bEUljE0_EEES10_S11_S12_S19_S1D_S1F_T6_T7_T9_mT8_S1H_bDpT10_ENKUlT_T0_E_clISt17integral_constantIbLb0EES1U_IbLb1EEEEDaS1Q_S1R_EUlS1Q_E_NS1_11comp_targetILNS1_3genE9ELNS1_11target_archE1100ELNS1_3gpuE3ELNS1_3repE0EEENS1_30default_config_static_selectorELNS0_4arch9wavefront6targetE0EEEvS13_.uses_vcc, 0
	.set _ZN7rocprim17ROCPRIM_400000_NS6detail17trampoline_kernelINS0_13select_configILj256ELj13ELNS0_17block_load_methodE3ELS4_3ELS4_3ELNS0_20block_scan_algorithmE0ELj4294967295EEENS1_25partition_config_selectorILNS1_17partition_subalgoE4EjNS0_10empty_typeEbEEZZNS1_14partition_implILS8_4ELb0ES6_15HIP_vector_typeIjLj2EENS0_17counting_iteratorIjlEEPS9_SG_NS0_5tupleIJPjSI_NS0_16reverse_iteratorISI_EEEEENSH_IJSG_SG_SG_EEES9_SI_JZNS1_25segmented_radix_sort_implINS0_14default_configELb0EPK12hip_bfloat16PSP_PKlPlN2at6native12_GLOBAL__N_18offset_tEEE10hipError_tPvRmT1_PNSt15iterator_traitsIS13_E10value_typeET2_T3_PNS14_IS19_E10value_typeET4_jRbjT5_S1F_jjP12ihipStream_tbEUljE_ZNSN_ISO_Lb0ESR_SS_SU_SV_SZ_EES10_S11_S12_S13_S17_S18_S19_S1C_S1D_jS1E_jS1F_S1F_jjS1H_bEUljE0_EEES10_S11_S12_S19_S1D_S1F_T6_T7_T9_mT8_S1H_bDpT10_ENKUlT_T0_E_clISt17integral_constantIbLb0EES1U_IbLb1EEEEDaS1Q_S1R_EUlS1Q_E_NS1_11comp_targetILNS1_3genE9ELNS1_11target_archE1100ELNS1_3gpuE3ELNS1_3repE0EEENS1_30default_config_static_selectorELNS0_4arch9wavefront6targetE0EEEvS13_.uses_flat_scratch, 0
	.set _ZN7rocprim17ROCPRIM_400000_NS6detail17trampoline_kernelINS0_13select_configILj256ELj13ELNS0_17block_load_methodE3ELS4_3ELS4_3ELNS0_20block_scan_algorithmE0ELj4294967295EEENS1_25partition_config_selectorILNS1_17partition_subalgoE4EjNS0_10empty_typeEbEEZZNS1_14partition_implILS8_4ELb0ES6_15HIP_vector_typeIjLj2EENS0_17counting_iteratorIjlEEPS9_SG_NS0_5tupleIJPjSI_NS0_16reverse_iteratorISI_EEEEENSH_IJSG_SG_SG_EEES9_SI_JZNS1_25segmented_radix_sort_implINS0_14default_configELb0EPK12hip_bfloat16PSP_PKlPlN2at6native12_GLOBAL__N_18offset_tEEE10hipError_tPvRmT1_PNSt15iterator_traitsIS13_E10value_typeET2_T3_PNS14_IS19_E10value_typeET4_jRbjT5_S1F_jjP12ihipStream_tbEUljE_ZNSN_ISO_Lb0ESR_SS_SU_SV_SZ_EES10_S11_S12_S13_S17_S18_S19_S1C_S1D_jS1E_jS1F_S1F_jjS1H_bEUljE0_EEES10_S11_S12_S19_S1D_S1F_T6_T7_T9_mT8_S1H_bDpT10_ENKUlT_T0_E_clISt17integral_constantIbLb0EES1U_IbLb1EEEEDaS1Q_S1R_EUlS1Q_E_NS1_11comp_targetILNS1_3genE9ELNS1_11target_archE1100ELNS1_3gpuE3ELNS1_3repE0EEENS1_30default_config_static_selectorELNS0_4arch9wavefront6targetE0EEEvS13_.has_dyn_sized_stack, 0
	.set _ZN7rocprim17ROCPRIM_400000_NS6detail17trampoline_kernelINS0_13select_configILj256ELj13ELNS0_17block_load_methodE3ELS4_3ELS4_3ELNS0_20block_scan_algorithmE0ELj4294967295EEENS1_25partition_config_selectorILNS1_17partition_subalgoE4EjNS0_10empty_typeEbEEZZNS1_14partition_implILS8_4ELb0ES6_15HIP_vector_typeIjLj2EENS0_17counting_iteratorIjlEEPS9_SG_NS0_5tupleIJPjSI_NS0_16reverse_iteratorISI_EEEEENSH_IJSG_SG_SG_EEES9_SI_JZNS1_25segmented_radix_sort_implINS0_14default_configELb0EPK12hip_bfloat16PSP_PKlPlN2at6native12_GLOBAL__N_18offset_tEEE10hipError_tPvRmT1_PNSt15iterator_traitsIS13_E10value_typeET2_T3_PNS14_IS19_E10value_typeET4_jRbjT5_S1F_jjP12ihipStream_tbEUljE_ZNSN_ISO_Lb0ESR_SS_SU_SV_SZ_EES10_S11_S12_S13_S17_S18_S19_S1C_S1D_jS1E_jS1F_S1F_jjS1H_bEUljE0_EEES10_S11_S12_S19_S1D_S1F_T6_T7_T9_mT8_S1H_bDpT10_ENKUlT_T0_E_clISt17integral_constantIbLb0EES1U_IbLb1EEEEDaS1Q_S1R_EUlS1Q_E_NS1_11comp_targetILNS1_3genE9ELNS1_11target_archE1100ELNS1_3gpuE3ELNS1_3repE0EEENS1_30default_config_static_selectorELNS0_4arch9wavefront6targetE0EEEvS13_.has_recursion, 0
	.set _ZN7rocprim17ROCPRIM_400000_NS6detail17trampoline_kernelINS0_13select_configILj256ELj13ELNS0_17block_load_methodE3ELS4_3ELS4_3ELNS0_20block_scan_algorithmE0ELj4294967295EEENS1_25partition_config_selectorILNS1_17partition_subalgoE4EjNS0_10empty_typeEbEEZZNS1_14partition_implILS8_4ELb0ES6_15HIP_vector_typeIjLj2EENS0_17counting_iteratorIjlEEPS9_SG_NS0_5tupleIJPjSI_NS0_16reverse_iteratorISI_EEEEENSH_IJSG_SG_SG_EEES9_SI_JZNS1_25segmented_radix_sort_implINS0_14default_configELb0EPK12hip_bfloat16PSP_PKlPlN2at6native12_GLOBAL__N_18offset_tEEE10hipError_tPvRmT1_PNSt15iterator_traitsIS13_E10value_typeET2_T3_PNS14_IS19_E10value_typeET4_jRbjT5_S1F_jjP12ihipStream_tbEUljE_ZNSN_ISO_Lb0ESR_SS_SU_SV_SZ_EES10_S11_S12_S13_S17_S18_S19_S1C_S1D_jS1E_jS1F_S1F_jjS1H_bEUljE0_EEES10_S11_S12_S19_S1D_S1F_T6_T7_T9_mT8_S1H_bDpT10_ENKUlT_T0_E_clISt17integral_constantIbLb0EES1U_IbLb1EEEEDaS1Q_S1R_EUlS1Q_E_NS1_11comp_targetILNS1_3genE9ELNS1_11target_archE1100ELNS1_3gpuE3ELNS1_3repE0EEENS1_30default_config_static_selectorELNS0_4arch9wavefront6targetE0EEEvS13_.has_indirect_call, 0
	.section	.AMDGPU.csdata,"",@progbits
; Kernel info:
; codeLenInByte = 0
; TotalNumSgprs: 0
; NumVgprs: 0
; ScratchSize: 0
; MemoryBound: 0
; FloatMode: 240
; IeeeMode: 1
; LDSByteSize: 0 bytes/workgroup (compile time only)
; SGPRBlocks: 0
; VGPRBlocks: 0
; NumSGPRsForWavesPerEU: 1
; NumVGPRsForWavesPerEU: 1
; Occupancy: 16
; WaveLimiterHint : 0
; COMPUTE_PGM_RSRC2:SCRATCH_EN: 0
; COMPUTE_PGM_RSRC2:USER_SGPR: 6
; COMPUTE_PGM_RSRC2:TRAP_HANDLER: 0
; COMPUTE_PGM_RSRC2:TGID_X_EN: 1
; COMPUTE_PGM_RSRC2:TGID_Y_EN: 0
; COMPUTE_PGM_RSRC2:TGID_Z_EN: 0
; COMPUTE_PGM_RSRC2:TIDIG_COMP_CNT: 0
	.section	.text._ZN7rocprim17ROCPRIM_400000_NS6detail17trampoline_kernelINS0_13select_configILj256ELj13ELNS0_17block_load_methodE3ELS4_3ELS4_3ELNS0_20block_scan_algorithmE0ELj4294967295EEENS1_25partition_config_selectorILNS1_17partition_subalgoE4EjNS0_10empty_typeEbEEZZNS1_14partition_implILS8_4ELb0ES6_15HIP_vector_typeIjLj2EENS0_17counting_iteratorIjlEEPS9_SG_NS0_5tupleIJPjSI_NS0_16reverse_iteratorISI_EEEEENSH_IJSG_SG_SG_EEES9_SI_JZNS1_25segmented_radix_sort_implINS0_14default_configELb0EPK12hip_bfloat16PSP_PKlPlN2at6native12_GLOBAL__N_18offset_tEEE10hipError_tPvRmT1_PNSt15iterator_traitsIS13_E10value_typeET2_T3_PNS14_IS19_E10value_typeET4_jRbjT5_S1F_jjP12ihipStream_tbEUljE_ZNSN_ISO_Lb0ESR_SS_SU_SV_SZ_EES10_S11_S12_S13_S17_S18_S19_S1C_S1D_jS1E_jS1F_S1F_jjS1H_bEUljE0_EEES10_S11_S12_S19_S1D_S1F_T6_T7_T9_mT8_S1H_bDpT10_ENKUlT_T0_E_clISt17integral_constantIbLb0EES1U_IbLb1EEEEDaS1Q_S1R_EUlS1Q_E_NS1_11comp_targetILNS1_3genE8ELNS1_11target_archE1030ELNS1_3gpuE2ELNS1_3repE0EEENS1_30default_config_static_selectorELNS0_4arch9wavefront6targetE0EEEvS13_,"axG",@progbits,_ZN7rocprim17ROCPRIM_400000_NS6detail17trampoline_kernelINS0_13select_configILj256ELj13ELNS0_17block_load_methodE3ELS4_3ELS4_3ELNS0_20block_scan_algorithmE0ELj4294967295EEENS1_25partition_config_selectorILNS1_17partition_subalgoE4EjNS0_10empty_typeEbEEZZNS1_14partition_implILS8_4ELb0ES6_15HIP_vector_typeIjLj2EENS0_17counting_iteratorIjlEEPS9_SG_NS0_5tupleIJPjSI_NS0_16reverse_iteratorISI_EEEEENSH_IJSG_SG_SG_EEES9_SI_JZNS1_25segmented_radix_sort_implINS0_14default_configELb0EPK12hip_bfloat16PSP_PKlPlN2at6native12_GLOBAL__N_18offset_tEEE10hipError_tPvRmT1_PNSt15iterator_traitsIS13_E10value_typeET2_T3_PNS14_IS19_E10value_typeET4_jRbjT5_S1F_jjP12ihipStream_tbEUljE_ZNSN_ISO_Lb0ESR_SS_SU_SV_SZ_EES10_S11_S12_S13_S17_S18_S19_S1C_S1D_jS1E_jS1F_S1F_jjS1H_bEUljE0_EEES10_S11_S12_S19_S1D_S1F_T6_T7_T9_mT8_S1H_bDpT10_ENKUlT_T0_E_clISt17integral_constantIbLb0EES1U_IbLb1EEEEDaS1Q_S1R_EUlS1Q_E_NS1_11comp_targetILNS1_3genE8ELNS1_11target_archE1030ELNS1_3gpuE2ELNS1_3repE0EEENS1_30default_config_static_selectorELNS0_4arch9wavefront6targetE0EEEvS13_,comdat
	.globl	_ZN7rocprim17ROCPRIM_400000_NS6detail17trampoline_kernelINS0_13select_configILj256ELj13ELNS0_17block_load_methodE3ELS4_3ELS4_3ELNS0_20block_scan_algorithmE0ELj4294967295EEENS1_25partition_config_selectorILNS1_17partition_subalgoE4EjNS0_10empty_typeEbEEZZNS1_14partition_implILS8_4ELb0ES6_15HIP_vector_typeIjLj2EENS0_17counting_iteratorIjlEEPS9_SG_NS0_5tupleIJPjSI_NS0_16reverse_iteratorISI_EEEEENSH_IJSG_SG_SG_EEES9_SI_JZNS1_25segmented_radix_sort_implINS0_14default_configELb0EPK12hip_bfloat16PSP_PKlPlN2at6native12_GLOBAL__N_18offset_tEEE10hipError_tPvRmT1_PNSt15iterator_traitsIS13_E10value_typeET2_T3_PNS14_IS19_E10value_typeET4_jRbjT5_S1F_jjP12ihipStream_tbEUljE_ZNSN_ISO_Lb0ESR_SS_SU_SV_SZ_EES10_S11_S12_S13_S17_S18_S19_S1C_S1D_jS1E_jS1F_S1F_jjS1H_bEUljE0_EEES10_S11_S12_S19_S1D_S1F_T6_T7_T9_mT8_S1H_bDpT10_ENKUlT_T0_E_clISt17integral_constantIbLb0EES1U_IbLb1EEEEDaS1Q_S1R_EUlS1Q_E_NS1_11comp_targetILNS1_3genE8ELNS1_11target_archE1030ELNS1_3gpuE2ELNS1_3repE0EEENS1_30default_config_static_selectorELNS0_4arch9wavefront6targetE0EEEvS13_ ; -- Begin function _ZN7rocprim17ROCPRIM_400000_NS6detail17trampoline_kernelINS0_13select_configILj256ELj13ELNS0_17block_load_methodE3ELS4_3ELS4_3ELNS0_20block_scan_algorithmE0ELj4294967295EEENS1_25partition_config_selectorILNS1_17partition_subalgoE4EjNS0_10empty_typeEbEEZZNS1_14partition_implILS8_4ELb0ES6_15HIP_vector_typeIjLj2EENS0_17counting_iteratorIjlEEPS9_SG_NS0_5tupleIJPjSI_NS0_16reverse_iteratorISI_EEEEENSH_IJSG_SG_SG_EEES9_SI_JZNS1_25segmented_radix_sort_implINS0_14default_configELb0EPK12hip_bfloat16PSP_PKlPlN2at6native12_GLOBAL__N_18offset_tEEE10hipError_tPvRmT1_PNSt15iterator_traitsIS13_E10value_typeET2_T3_PNS14_IS19_E10value_typeET4_jRbjT5_S1F_jjP12ihipStream_tbEUljE_ZNSN_ISO_Lb0ESR_SS_SU_SV_SZ_EES10_S11_S12_S13_S17_S18_S19_S1C_S1D_jS1E_jS1F_S1F_jjS1H_bEUljE0_EEES10_S11_S12_S19_S1D_S1F_T6_T7_T9_mT8_S1H_bDpT10_ENKUlT_T0_E_clISt17integral_constantIbLb0EES1U_IbLb1EEEEDaS1Q_S1R_EUlS1Q_E_NS1_11comp_targetILNS1_3genE8ELNS1_11target_archE1030ELNS1_3gpuE2ELNS1_3repE0EEENS1_30default_config_static_selectorELNS0_4arch9wavefront6targetE0EEEvS13_
	.p2align	8
	.type	_ZN7rocprim17ROCPRIM_400000_NS6detail17trampoline_kernelINS0_13select_configILj256ELj13ELNS0_17block_load_methodE3ELS4_3ELS4_3ELNS0_20block_scan_algorithmE0ELj4294967295EEENS1_25partition_config_selectorILNS1_17partition_subalgoE4EjNS0_10empty_typeEbEEZZNS1_14partition_implILS8_4ELb0ES6_15HIP_vector_typeIjLj2EENS0_17counting_iteratorIjlEEPS9_SG_NS0_5tupleIJPjSI_NS0_16reverse_iteratorISI_EEEEENSH_IJSG_SG_SG_EEES9_SI_JZNS1_25segmented_radix_sort_implINS0_14default_configELb0EPK12hip_bfloat16PSP_PKlPlN2at6native12_GLOBAL__N_18offset_tEEE10hipError_tPvRmT1_PNSt15iterator_traitsIS13_E10value_typeET2_T3_PNS14_IS19_E10value_typeET4_jRbjT5_S1F_jjP12ihipStream_tbEUljE_ZNSN_ISO_Lb0ESR_SS_SU_SV_SZ_EES10_S11_S12_S13_S17_S18_S19_S1C_S1D_jS1E_jS1F_S1F_jjS1H_bEUljE0_EEES10_S11_S12_S19_S1D_S1F_T6_T7_T9_mT8_S1H_bDpT10_ENKUlT_T0_E_clISt17integral_constantIbLb0EES1U_IbLb1EEEEDaS1Q_S1R_EUlS1Q_E_NS1_11comp_targetILNS1_3genE8ELNS1_11target_archE1030ELNS1_3gpuE2ELNS1_3repE0EEENS1_30default_config_static_selectorELNS0_4arch9wavefront6targetE0EEEvS13_,@function
_ZN7rocprim17ROCPRIM_400000_NS6detail17trampoline_kernelINS0_13select_configILj256ELj13ELNS0_17block_load_methodE3ELS4_3ELS4_3ELNS0_20block_scan_algorithmE0ELj4294967295EEENS1_25partition_config_selectorILNS1_17partition_subalgoE4EjNS0_10empty_typeEbEEZZNS1_14partition_implILS8_4ELb0ES6_15HIP_vector_typeIjLj2EENS0_17counting_iteratorIjlEEPS9_SG_NS0_5tupleIJPjSI_NS0_16reverse_iteratorISI_EEEEENSH_IJSG_SG_SG_EEES9_SI_JZNS1_25segmented_radix_sort_implINS0_14default_configELb0EPK12hip_bfloat16PSP_PKlPlN2at6native12_GLOBAL__N_18offset_tEEE10hipError_tPvRmT1_PNSt15iterator_traitsIS13_E10value_typeET2_T3_PNS14_IS19_E10value_typeET4_jRbjT5_S1F_jjP12ihipStream_tbEUljE_ZNSN_ISO_Lb0ESR_SS_SU_SV_SZ_EES10_S11_S12_S13_S17_S18_S19_S1C_S1D_jS1E_jS1F_S1F_jjS1H_bEUljE0_EEES10_S11_S12_S19_S1D_S1F_T6_T7_T9_mT8_S1H_bDpT10_ENKUlT_T0_E_clISt17integral_constantIbLb0EES1U_IbLb1EEEEDaS1Q_S1R_EUlS1Q_E_NS1_11comp_targetILNS1_3genE8ELNS1_11target_archE1030ELNS1_3gpuE2ELNS1_3repE0EEENS1_30default_config_static_selectorELNS0_4arch9wavefront6targetE0EEEvS13_: ; @_ZN7rocprim17ROCPRIM_400000_NS6detail17trampoline_kernelINS0_13select_configILj256ELj13ELNS0_17block_load_methodE3ELS4_3ELS4_3ELNS0_20block_scan_algorithmE0ELj4294967295EEENS1_25partition_config_selectorILNS1_17partition_subalgoE4EjNS0_10empty_typeEbEEZZNS1_14partition_implILS8_4ELb0ES6_15HIP_vector_typeIjLj2EENS0_17counting_iteratorIjlEEPS9_SG_NS0_5tupleIJPjSI_NS0_16reverse_iteratorISI_EEEEENSH_IJSG_SG_SG_EEES9_SI_JZNS1_25segmented_radix_sort_implINS0_14default_configELb0EPK12hip_bfloat16PSP_PKlPlN2at6native12_GLOBAL__N_18offset_tEEE10hipError_tPvRmT1_PNSt15iterator_traitsIS13_E10value_typeET2_T3_PNS14_IS19_E10value_typeET4_jRbjT5_S1F_jjP12ihipStream_tbEUljE_ZNSN_ISO_Lb0ESR_SS_SU_SV_SZ_EES10_S11_S12_S13_S17_S18_S19_S1C_S1D_jS1E_jS1F_S1F_jjS1H_bEUljE0_EEES10_S11_S12_S19_S1D_S1F_T6_T7_T9_mT8_S1H_bDpT10_ENKUlT_T0_E_clISt17integral_constantIbLb0EES1U_IbLb1EEEEDaS1Q_S1R_EUlS1Q_E_NS1_11comp_targetILNS1_3genE8ELNS1_11target_archE1030ELNS1_3gpuE2ELNS1_3repE0EEENS1_30default_config_static_selectorELNS0_4arch9wavefront6targetE0EEEvS13_
; %bb.0:
	s_clause 0x7
	s_load_dwordx2 s[34:35], s[4:5], 0x10
	s_load_dwordx4 s[28:31], s[4:5], 0x28
	s_load_dwordx2 s[14:15], s[4:5], 0x38
	s_load_dwordx4 s[24:27], s[4:5], 0x58
	s_load_dwordx2 s[2:3], s[4:5], 0x68
	s_load_dwordx2 s[36:37], s[4:5], 0x78
	s_load_dwordx2 s[38:39], s[4:5], 0xb0
	s_load_dwordx8 s[16:23], s[4:5], 0x90
	v_cmp_eq_u32_e64 s0, 0, v0
	s_and_saveexec_b32 s1, s0
	s_cbranch_execz .LBB2006_4
; %bb.1:
	s_mov_b32 s7, exec_lo
	s_mov_b32 s6, exec_lo
	v_mbcnt_lo_u32_b32 v1, s7, 0
                                        ; implicit-def: $vgpr2
	v_cmpx_eq_u32_e32 0, v1
	s_cbranch_execz .LBB2006_3
; %bb.2:
	s_load_dwordx2 s[8:9], s[4:5], 0x88
	s_bcnt1_i32_b32 s7, s7
	v_mov_b32_e32 v2, 0
	v_mov_b32_e32 v3, s7
	s_waitcnt lgkmcnt(0)
	global_atomic_add v2, v2, v3, s[8:9] glc
.LBB2006_3:
	s_or_b32 exec_lo, exec_lo, s6
	s_waitcnt vmcnt(0)
	v_readfirstlane_b32 s6, v2
	v_mov_b32_e32 v2, 0
	v_add_nc_u32_e32 v1, s6, v1
	ds_write_b32 v2, v1
.LBB2006_4:
	s_or_b32 exec_lo, exec_lo, s1
	v_mov_b32_e32 v1, 0
	s_clause 0x1
	s_load_dword s6, s[4:5], 0x8
	s_load_dword s1, s[4:5], 0x80
	s_waitcnt lgkmcnt(0)
	s_barrier
	buffer_gl0_inv
	ds_read_b32 v5, v1
	s_waitcnt lgkmcnt(0)
	s_barrier
	buffer_gl0_inv
	global_load_dwordx4 v[1:4], v1, s[26:27]
	s_add_i32 s5, s6, s34
	s_mul_i32 s4, s1, 0xd00
	s_add_i32 s1, s1, -1
	s_add_u32 s6, s34, s4
	s_addc_u32 s7, s35, 0
	v_mul_lo_u32 v31, 0xd00, v5
	v_readfirstlane_b32 s27, v5
	v_cmp_gt_u64_e64 s3, s[2:3], s[6:7]
	v_cmp_ne_u32_e32 vcc_lo, s1, v5
	s_cmp_eq_u32 s27, s1
	s_cselect_b32 s26, -1, 0
	v_add3_u32 v5, v31, s5, v0
	s_or_b32 s1, s3, vcc_lo
	s_mov_b32 s3, -1
	s_and_b32 vcc_lo, exec_lo, s1
	v_add_nc_u32_e32 v6, 0x100, v5
	v_add_nc_u32_e32 v7, 0x200, v5
	;; [unrolled: 1-line block ×12, first 2 shown]
	s_cbranch_vccz .LBB2006_6
; %bb.5:
	v_lshlrev_b32_e32 v18, 2, v0
	s_mov_b32 s3, 0
	ds_write2st64_b32 v18, v5, v6 offset1:4
	ds_write2st64_b32 v18, v7, v8 offset0:8 offset1:12
	ds_write2st64_b32 v18, v9, v10 offset0:16 offset1:20
	;; [unrolled: 1-line block ×5, first 2 shown]
	ds_write_b32 v18, v17 offset:12288
	s_waitcnt vmcnt(0) lgkmcnt(0)
	s_barrier
.LBB2006_6:
	s_andn2_b32 vcc_lo, exec_lo, s3
	s_add_i32 s4, s4, s34
	s_cbranch_vccnz .LBB2006_8
; %bb.7:
	v_lshlrev_b32_e32 v18, 2, v0
	ds_write2st64_b32 v18, v5, v6 offset1:4
	ds_write2st64_b32 v18, v7, v8 offset0:8 offset1:12
	ds_write2st64_b32 v18, v9, v10 offset0:16 offset1:20
	;; [unrolled: 1-line block ×5, first 2 shown]
	ds_write_b32 v18, v17 offset:12288
	s_waitcnt vmcnt(0) lgkmcnt(0)
	s_barrier
.LBB2006_8:
	v_mul_u32_u24_e32 v34, 13, v0
	s_waitcnt vmcnt(0)
	buffer_gl0_inv
	v_cndmask_b32_e64 v32, 0, 1, s1
	s_sub_i32 s33, s2, s4
	s_andn2_b32 vcc_lo, exec_lo, s1
	v_lshlrev_b32_e32 v5, 2, v34
	ds_read_b32 v33, v5 offset:48
	ds_read2_b32 v[13:14], v5 offset0:10 offset1:11
	ds_read2_b32 v[15:16], v5 offset0:8 offset1:9
	;; [unrolled: 1-line block ×4, first 2 shown]
	ds_read2_b32 v[23:24], v5 offset1:1
	ds_read2_b32 v[21:22], v5 offset0:2 offset1:3
	s_waitcnt lgkmcnt(0)
	s_barrier
	buffer_gl0_inv
	s_cbranch_vccnz .LBB2006_36
; %bb.9:
	v_add_nc_u32_e32 v5, s17, v23
	v_add_nc_u32_e32 v6, s19, v23
	s_mov_b32 s41, 0
	s_mov_b32 s40, 0
	s_mov_b32 s2, exec_lo
	v_mul_lo_u32 v5, v5, s16
	v_mul_lo_u32 v6, v6, s18
	v_sub_nc_u32_e32 v5, v5, v6
	v_cmp_lt_u32_e32 vcc_lo, s20, v5
	v_cmpx_ge_u32_e64 s20, v5
	s_cbranch_execz .LBB2006_11
; %bb.10:
	v_add_nc_u32_e32 v5, s22, v23
	v_add_nc_u32_e32 v6, s38, v23
	v_mul_lo_u32 v5, v5, s21
	v_mul_lo_u32 v6, v6, s23
	v_sub_nc_u32_e32 v5, v5, v6
	v_cmp_lt_u32_e64 s1, s39, v5
	s_and_b32 s40, s1, exec_lo
.LBB2006_11:
	s_or_b32 exec_lo, exec_lo, s2
	v_add_nc_u32_e32 v5, s17, v24
	v_add_nc_u32_e32 v6, s19, v24
	s_mov_b32 s3, exec_lo
	v_mul_lo_u32 v5, v5, s16
	v_mul_lo_u32 v6, v6, s18
	v_sub_nc_u32_e32 v5, v5, v6
	v_cmp_lt_u32_e64 s1, s20, v5
	v_cmpx_ge_u32_e64 s20, v5
	s_cbranch_execz .LBB2006_13
; %bb.12:
	v_add_nc_u32_e32 v5, s22, v24
	v_add_nc_u32_e32 v6, s38, v24
	v_mul_lo_u32 v5, v5, s21
	v_mul_lo_u32 v6, v6, s23
	v_sub_nc_u32_e32 v5, v5, v6
	v_cmp_lt_u32_e64 s2, s39, v5
	s_and_b32 s41, s2, exec_lo
.LBB2006_13:
	s_or_b32 exec_lo, exec_lo, s3
	v_add_nc_u32_e32 v5, s17, v21
	v_add_nc_u32_e32 v6, s19, v21
	s_mov_b32 s43, 0
	s_mov_b32 s42, 0
	s_mov_b32 s4, exec_lo
	v_mul_lo_u32 v5, v5, s16
	v_mul_lo_u32 v6, v6, s18
	v_sub_nc_u32_e32 v5, v5, v6
	v_cmp_lt_u32_e64 s2, s20, v5
	v_cmpx_ge_u32_e64 s20, v5
	s_cbranch_execz .LBB2006_15
; %bb.14:
	v_add_nc_u32_e32 v5, s22, v21
	v_add_nc_u32_e32 v6, s38, v21
	v_mul_lo_u32 v5, v5, s21
	v_mul_lo_u32 v6, v6, s23
	v_sub_nc_u32_e32 v5, v5, v6
	v_cmp_lt_u32_e64 s3, s39, v5
	s_and_b32 s42, s3, exec_lo
.LBB2006_15:
	s_or_b32 exec_lo, exec_lo, s4
	v_add_nc_u32_e32 v5, s17, v22
	v_add_nc_u32_e32 v6, s19, v22
	s_mov_b32 s5, exec_lo
	v_mul_lo_u32 v5, v5, s16
	v_mul_lo_u32 v6, v6, s18
	v_sub_nc_u32_e32 v5, v5, v6
	v_cmp_lt_u32_e64 s3, s20, v5
	v_cmpx_ge_u32_e64 s20, v5
	s_cbranch_execz .LBB2006_17
; %bb.16:
	v_add_nc_u32_e32 v5, s22, v22
	v_add_nc_u32_e32 v6, s38, v22
	v_mul_lo_u32 v5, v5, s21
	v_mul_lo_u32 v6, v6, s23
	v_sub_nc_u32_e32 v5, v5, v6
	v_cmp_lt_u32_e64 s4, s39, v5
	s_and_b32 s43, s4, exec_lo
.LBB2006_17:
	s_or_b32 exec_lo, exec_lo, s5
	v_add_nc_u32_e32 v5, s17, v19
	v_add_nc_u32_e32 v6, s19, v19
	s_mov_b32 s45, 0
	s_mov_b32 s44, 0
	s_mov_b32 s6, exec_lo
	v_mul_lo_u32 v5, v5, s16
	v_mul_lo_u32 v6, v6, s18
	v_sub_nc_u32_e32 v5, v5, v6
	v_cmp_lt_u32_e64 s4, s20, v5
	;; [unrolled: 40-line block ×6, first 2 shown]
	v_cmpx_ge_u32_e64 s20, v5
	s_cbranch_execz .LBB2006_35
; %bb.34:
	v_add_nc_u32_e32 v5, s22, v33
	v_add_nc_u32_e32 v6, s38, v33
	v_mul_lo_u32 v5, v5, s21
	v_mul_lo_u32 v6, v6, s23
	v_sub_nc_u32_e32 v5, v5, v6
	v_cmp_lt_u32_e64 s13, s39, v5
	s_and_b32 s53, s13, exec_lo
.LBB2006_35:
	s_or_b32 exec_lo, exec_lo, s54
	v_cndmask_b32_e64 v6, 0, 1, s1
	v_cndmask_b32_e64 v8, 0, 1, s3
	v_cndmask_b32_e64 v5, 0, 1, vcc_lo
	v_cndmask_b32_e64 v7, 0, 1, s2
	v_cndmask_b32_e64 v10, 0, 1, s5
	v_lshlrev_b16 v6, 8, v6
	v_lshlrev_b16 v8, 8, v8
	v_cndmask_b32_e64 v12, 0, 1, s7
	v_cndmask_b32_e64 v26, 0, 1, s9
	;; [unrolled: 1-line block ×3, first 2 shown]
	v_or_b32_e32 v5, v5, v6
	v_or_b32_sdwa v6, v7, v8 dst_sel:WORD_1 dst_unused:UNUSED_PAD src0_sel:DWORD src1_sel:DWORD
	v_cndmask_b32_e64 v7, 0, 1, s40
	v_cndmask_b32_e64 v9, 0, 1, s4
	;; [unrolled: 1-line block ×11, first 2 shown]
	v_or_b32_sdwa v35, v5, v6 dst_sel:DWORD dst_unused:UNUSED_PAD src0_sel:WORD_0 src1_sel:DWORD
	v_lshlrev_b16 v5, 8, v10
	v_lshlrev_b16 v6, 8, v12
	;; [unrolled: 1-line block ×5, first 2 shown]
	v_cndmask_b32_e64 v30, 0, 1, s49
	v_cndmask_b32_e64 v37, 0, 1, s47
	;; [unrolled: 1-line block ×5, first 2 shown]
	v_or_b32_e32 v5, v9, v5
	v_or_b32_sdwa v6, v11, v6 dst_sel:WORD_1 dst_unused:UNUSED_PAD src0_sel:DWORD src1_sel:DWORD
	v_or_b32_e32 v9, v25, v10
	v_or_b32_sdwa v10, v27, v12 dst_sel:WORD_1 dst_unused:UNUSED_PAD src0_sel:DWORD src1_sel:DWORD
	v_or_b32_e32 v7, v8, v7
	v_lshlrev_b16 v8, 8, v44
	v_lshlrev_b16 v11, 8, v41
	;; [unrolled: 1-line block ×5, first 2 shown]
	v_or_b32_sdwa v8, v45, v8 dst_sel:WORD_1 dst_unused:UNUSED_PAD src0_sel:DWORD src1_sel:DWORD
	v_or_b32_e32 v11, v43, v11
	v_or_b32_sdwa v12, v40, v12 dst_sel:WORD_1 dst_unused:UNUSED_PAD src0_sel:DWORD src1_sel:DWORD
	v_or_b32_e32 v25, v37, v25
	v_or_b32_sdwa v26, v30, v26 dst_sel:WORD_1 dst_unused:UNUSED_PAD src0_sel:DWORD src1_sel:DWORD
	v_cndmask_b32_e64 v39, 0, 1, s51
	v_cndmask_b32_e64 v42, 0, 1, s53
	v_or_b32_sdwa v37, v5, v6 dst_sel:DWORD dst_unused:UNUSED_PAD src0_sel:WORD_0 src1_sel:DWORD
	v_or_b32_sdwa v40, v9, v10 dst_sel:DWORD dst_unused:UNUSED_PAD src0_sel:WORD_0 src1_sel:DWORD
	;; [unrolled: 1-line block ×5, first 2 shown]
	s_and_b32 vcc_lo, exec_lo, s50
	s_add_i32 s5, s33, 0xd00
	s_cbranch_vccnz .LBB2006_37
	s_branch .LBB2006_114
.LBB2006_36:
                                        ; implicit-def: $vgpr42
                                        ; implicit-def: $vgpr39
                                        ; implicit-def: $vgpr38
                                        ; implicit-def: $vgpr36
                                        ; implicit-def: $vgpr41
                                        ; implicit-def: $vgpr40
                                        ; implicit-def: $vgpr37
                                        ; implicit-def: $vgpr35
	s_add_i32 s5, s33, 0xd00
	s_cbranch_execz .LBB2006_114
.LBB2006_37:
	v_mov_b32_e32 v6, 0
	v_mov_b32_e32 v5, 0
	s_mov_b32 s2, exec_lo
	v_cmpx_gt_u32_e64 s5, v34
	s_cbranch_execz .LBB2006_41
; %bb.38:
	v_add_nc_u32_e32 v5, s17, v23
	v_add_nc_u32_e32 v6, s19, v23
	s_mov_b32 s4, 0
	s_mov_b32 s3, exec_lo
	v_mul_lo_u32 v5, v5, s16
	v_mul_lo_u32 v6, v6, s18
	v_sub_nc_u32_e32 v5, v5, v6
	v_cmp_lt_u32_e32 vcc_lo, s20, v5
	v_cmpx_ge_u32_e64 s20, v5
	s_cbranch_execz .LBB2006_40
; %bb.39:
	v_add_nc_u32_e32 v5, s22, v23
	v_add_nc_u32_e32 v6, s38, v23
	v_mul_lo_u32 v5, v5, s21
	v_mul_lo_u32 v6, v6, s23
	v_sub_nc_u32_e32 v5, v5, v6
	v_cmp_lt_u32_e64 s1, s39, v5
	s_and_b32 s4, s1, exec_lo
.LBB2006_40:
	s_or_b32 exec_lo, exec_lo, s3
	v_cndmask_b32_e64 v6, 0, 1, s4
	v_cndmask_b32_e64 v5, 0, 1, vcc_lo
.LBB2006_41:
	s_or_b32 exec_lo, exec_lo, s2
	v_add_nc_u32_e32 v7, 1, v34
	v_lshlrev_b16 v25, 8, v6
	v_and_b32_e32 v10, 0xff, v5
	v_lshlrev_b16 v11, 8, 0
                                        ; implicit-def: $vgpr9
                                        ; implicit-def: $vgpr12
                                        ; implicit-def: $vgpr6
                                        ; implicit-def: $vgpr8
	v_cmp_le_u32_e32 vcc_lo, s5, v7
                                        ; implicit-def: $vgpr7
	s_and_saveexec_b32 s1, vcc_lo
	s_xor_b32 s1, exec_lo, s1
	s_cbranch_execz .LBB2006_43
; %bb.42:
	v_mov_b32_e32 v5, 8
	v_mov_b32_e32 v6, 0xff
	;; [unrolled: 1-line block ×3, first 2 shown]
	v_and_b32_e32 v8, 0xffff, v11
	v_and_b32_e32 v7, 0xffff, v11
	v_lshrrev_b32_sdwa v5, v5, v25 dst_sel:BYTE_1 dst_unused:UNUSED_PAD src0_sel:DWORD src1_sel:WORD_0
	v_and_b32_sdwa v6, v25, v6 dst_sel:DWORD dst_unused:UNUSED_PAD src0_sel:WORD_0 src1_sel:DWORD
                                        ; implicit-def: $vgpr25
	v_or_b32_e32 v5, v6, v5
	v_and_b32_e32 v6, 0xffff, v11
                                        ; implicit-def: $vgpr11
	v_and_b32_e32 v12, 0xffff, v5
                                        ; implicit-def: $vgpr5
.LBB2006_43:
	s_andn2_saveexec_b32 s2, s1
	s_cbranch_execz .LBB2006_47
; %bb.44:
	v_add_nc_u32_e32 v6, s17, v24
	v_add_nc_u32_e32 v7, s19, v24
	s_mov_b32 s3, 0
	s_mov_b32 s4, exec_lo
	v_mul_lo_u32 v6, v6, s16
	v_mul_lo_u32 v7, v7, s18
	v_sub_nc_u32_e32 v6, v6, v7
	v_cmp_lt_u32_e32 vcc_lo, s20, v6
	v_cmpx_ge_u32_e64 s20, v6
	s_cbranch_execz .LBB2006_46
; %bb.45:
	v_add_nc_u32_e32 v6, s22, v24
	v_add_nc_u32_e32 v7, s38, v24
	v_mul_lo_u32 v6, v6, s21
	v_mul_lo_u32 v7, v7, s23
	v_sub_nc_u32_e32 v6, v6, v7
	v_cmp_lt_u32_e64 s1, s39, v6
	s_and_b32 s3, s1, exec_lo
.LBB2006_46:
	s_or_b32 exec_lo, exec_lo, s4
	v_mov_b32_e32 v6, 0xff
	v_mov_b32_e32 v7, 8
	v_cndmask_b32_e64 v8, 0, 1, vcc_lo
	v_mov_b32_e32 v9, 0
	v_and_b32_sdwa v6, v25, v6 dst_sel:DWORD dst_unused:UNUSED_PAD src0_sel:WORD_0 src1_sel:DWORD
	v_lshrrev_b32_sdwa v7, v7, v25 dst_sel:BYTE_1 dst_unused:UNUSED_PAD src0_sel:DWORD src1_sel:WORD_0
	v_lshlrev_b16 v8, 8, v8
	v_or_b32_e32 v6, v6, v7
	v_cndmask_b32_e64 v7, 0, 1, s3
	v_or_b32_sdwa v5, v5, v8 dst_sel:DWORD dst_unused:UNUSED_PAD src0_sel:BYTE_0 src1_sel:DWORD
	v_and_b32_e32 v8, 0xffff, v11
	v_and_b32_e32 v12, 0xffff, v6
	v_mov_b32_e32 v6, 0
	v_and_b32_e32 v10, 0xffff, v5
	v_lshl_or_b32 v12, v7, 16, v12
	v_and_b32_e32 v7, 0xffff, v11
.LBB2006_47:
	s_or_b32 exec_lo, exec_lo, s2
	v_add_nc_u32_e32 v5, 2, v34
                                        ; implicit-def: $vgpr11
	v_cmp_le_u32_e32 vcc_lo, s5, v5
                                        ; implicit-def: $vgpr5
	s_and_saveexec_b32 s1, vcc_lo
	s_xor_b32 s1, exec_lo, s1
	s_cbranch_execz .LBB2006_49
; %bb.48:
	v_lshrrev_b32_e32 v5, 24, v10
	v_mov_b32_e32 v11, 8
	v_and_b32_e32 v25, 0xff0000, v12
	v_perm_b32 v8, v8, v8, 0x3060504
	v_perm_b32 v5, v5, v10, 0x40c0100
	v_lshrrev_b32_sdwa v10, v11, v5 dst_sel:BYTE_1 dst_unused:UNUSED_PAD src0_sel:DWORD src1_sel:DWORD
	v_or_b32_sdwa v10, v5, v10 dst_sel:DWORD dst_unused:UNUSED_PAD src0_sel:BYTE_0 src1_sel:DWORD
	v_and_b32_e32 v10, 0xffff, v10
	v_and_or_b32 v11, 0xff000000, v5, v10
	v_perm_b32 v5, v12, v25, 0x3020504
                                        ; implicit-def: $vgpr10
                                        ; implicit-def: $vgpr12
.LBB2006_49:
	s_andn2_saveexec_b32 s2, s1
	s_cbranch_execz .LBB2006_53
; %bb.50:
	v_add_nc_u32_e32 v5, s17, v21
	v_add_nc_u32_e32 v11, s19, v21
	s_mov_b32 s3, 0
	s_mov_b32 s4, exec_lo
	v_mul_lo_u32 v5, v5, s16
	v_mul_lo_u32 v11, v11, s18
	v_sub_nc_u32_e32 v5, v5, v11
	v_cmp_lt_u32_e32 vcc_lo, s20, v5
	v_cmpx_ge_u32_e64 s20, v5
	s_cbranch_execz .LBB2006_52
; %bb.51:
	v_add_nc_u32_e32 v5, s22, v21
	v_add_nc_u32_e32 v11, s38, v21
	v_mul_lo_u32 v5, v5, s21
	v_mul_lo_u32 v11, v11, s23
	v_sub_nc_u32_e32 v5, v5, v11
	v_cmp_lt_u32_e64 s1, s39, v5
	s_and_b32 s3, s1, exec_lo
.LBB2006_52:
	s_or_b32 exec_lo, exec_lo, s4
	v_mov_b32_e32 v5, 8
	v_mov_b32_e32 v11, 24
	v_cndmask_b32_e64 v26, 0, 1, s3
	v_mov_b32_e32 v27, 0xff
	v_cndmask_b32_e64 v25, 0, 1, vcc_lo
	v_lshrrev_b32_sdwa v28, v5, v10 dst_sel:BYTE_1 dst_unused:UNUSED_PAD src0_sel:DWORD src1_sel:DWORD
	v_lshrrev_b32_sdwa v11, v11, v10 dst_sel:BYTE_1 dst_unused:UNUSED_PAD src0_sel:DWORD src1_sel:DWORD
	v_lshrrev_b32_sdwa v5, v5, v12 dst_sel:BYTE_1 dst_unused:UNUSED_PAD src0_sel:DWORD src1_sel:DWORD
	v_lshlrev_b16 v26, 8, v26
	v_and_b32_sdwa v27, v12, v27 dst_sel:DWORD dst_unused:UNUSED_PAD src0_sel:WORD_1 src1_sel:DWORD
	v_or_b32_sdwa v10, v10, v28 dst_sel:DWORD dst_unused:UNUSED_PAD src0_sel:BYTE_0 src1_sel:DWORD
	v_or_b32_sdwa v11, v25, v11 dst_sel:WORD_1 dst_unused:UNUSED_PAD src0_sel:DWORD src1_sel:DWORD
	v_or_b32_sdwa v5, v12, v5 dst_sel:DWORD dst_unused:UNUSED_PAD src0_sel:BYTE_0 src1_sel:DWORD
	v_or_b32_sdwa v12, v27, v26 dst_sel:WORD_1 dst_unused:UNUSED_PAD src0_sel:DWORD src1_sel:DWORD
	v_or_b32_sdwa v11, v10, v11 dst_sel:DWORD dst_unused:UNUSED_PAD src0_sel:WORD_0 src1_sel:DWORD
	v_or_b32_sdwa v5, v5, v12 dst_sel:DWORD dst_unused:UNUSED_PAD src0_sel:WORD_0 src1_sel:DWORD
.LBB2006_53:
	s_or_b32 exec_lo, exec_lo, s2
	v_add_nc_u32_e32 v10, 3, v34
                                        ; implicit-def: $vgpr35
	v_cmp_le_u32_e32 vcc_lo, s5, v10
                                        ; implicit-def: $vgpr10
	s_and_saveexec_b32 s1, vcc_lo
	s_xor_b32 s1, exec_lo, s1
	s_cbranch_execz .LBB2006_55
; %bb.54:
	v_mov_b32_e32 v10, 24
	v_mov_b32_e32 v12, 0xff
	;; [unrolled: 1-line block ×3, first 2 shown]
	v_and_b32_e32 v26, 0xff0000, v11
	v_perm_b32 v8, v8, v8, 0x3060504
	v_lshrrev_b32_sdwa v10, v10, v9 dst_sel:BYTE_1 dst_unused:UNUSED_PAD src0_sel:DWORD src1_sel:DWORD
	v_and_b32_sdwa v12, v9, v12 dst_sel:DWORD dst_unused:UNUSED_PAD src0_sel:WORD_1 src1_sel:DWORD
	v_lshrrev_b32_sdwa v9, v25, v9 dst_sel:BYTE_1 dst_unused:UNUSED_PAD src0_sel:DWORD src1_sel:DWORD
	v_perm_b32 v35, v11, v26, 0x3020504
	v_perm_b32 v7, v7, v7, 0x3060504
                                        ; implicit-def: $vgpr11
	v_or_b32_sdwa v10, v12, v10 dst_sel:WORD_1 dst_unused:UNUSED_PAD src0_sel:DWORD src1_sel:DWORD
	v_or_b32_sdwa v10, v9, v10 dst_sel:DWORD dst_unused:UNUSED_PAD src0_sel:WORD_0 src1_sel:DWORD
                                        ; implicit-def: $vgpr9
.LBB2006_55:
	s_andn2_saveexec_b32 s2, s1
	s_cbranch_execz .LBB2006_59
; %bb.56:
	v_add_nc_u32_e32 v10, s17, v22
	v_add_nc_u32_e32 v12, s19, v22
	s_mov_b32 s3, 0
	s_mov_b32 s4, exec_lo
	v_mul_lo_u32 v10, v10, s16
	v_mul_lo_u32 v12, v12, s18
	v_sub_nc_u32_e32 v10, v10, v12
	v_cmp_lt_u32_e32 vcc_lo, s20, v10
	v_cmpx_ge_u32_e64 s20, v10
	s_cbranch_execz .LBB2006_58
; %bb.57:
	v_add_nc_u32_e32 v10, s22, v22
	v_add_nc_u32_e32 v12, s38, v22
	v_mul_lo_u32 v10, v10, s21
	v_mul_lo_u32 v12, v12, s23
	v_sub_nc_u32_e32 v10, v10, v12
	v_cmp_lt_u32_e64 s1, s39, v10
	s_and_b32 s3, s1, exec_lo
.LBB2006_58:
	s_or_b32 exec_lo, exec_lo, s4
	v_mov_b32_e32 v10, 8
	v_cndmask_b32_e64 v12, 0, 1, vcc_lo
	v_mov_b32_e32 v25, 0xff
	v_mov_b32_e32 v26, 24
	v_cndmask_b32_e64 v27, 0, 1, s3
	v_lshrrev_b32_sdwa v28, v10, v11 dst_sel:BYTE_1 dst_unused:UNUSED_PAD src0_sel:DWORD src1_sel:DWORD
	v_lshlrev_b16 v12, 8, v12
	v_and_b32_sdwa v29, v11, v25 dst_sel:DWORD dst_unused:UNUSED_PAD src0_sel:WORD_1 src1_sel:DWORD
	v_lshrrev_b32_sdwa v26, v26, v9 dst_sel:BYTE_1 dst_unused:UNUSED_PAD src0_sel:DWORD src1_sel:DWORD
	v_and_b32_sdwa v25, v9, v25 dst_sel:DWORD dst_unused:UNUSED_PAD src0_sel:WORD_1 src1_sel:DWORD
	v_lshrrev_b32_sdwa v9, v10, v9 dst_sel:BYTE_1 dst_unused:UNUSED_PAD src0_sel:DWORD src1_sel:DWORD
	v_or_b32_sdwa v10, v11, v28 dst_sel:DWORD dst_unused:UNUSED_PAD src0_sel:BYTE_0 src1_sel:DWORD
	v_or_b32_sdwa v11, v29, v12 dst_sel:WORD_1 dst_unused:UNUSED_PAD src0_sel:DWORD src1_sel:DWORD
	v_or_b32_sdwa v12, v25, v26 dst_sel:WORD_1 dst_unused:UNUSED_PAD src0_sel:DWORD src1_sel:DWORD
	v_or_b32_e32 v9, v27, v9
	v_or_b32_sdwa v35, v10, v11 dst_sel:DWORD dst_unused:UNUSED_PAD src0_sel:WORD_0 src1_sel:DWORD
	v_or_b32_sdwa v10, v9, v12 dst_sel:DWORD dst_unused:UNUSED_PAD src0_sel:WORD_0 src1_sel:DWORD
.LBB2006_59:
	s_or_b32 exec_lo, exec_lo, s2
	v_add_nc_u32_e32 v9, 4, v34
                                        ; implicit-def: $vgpr11
	v_cmp_le_u32_e32 vcc_lo, s5, v9
                                        ; implicit-def: $vgpr9
	s_and_saveexec_b32 s1, vcc_lo
	s_xor_b32 s1, exec_lo, s1
	s_cbranch_execz .LBB2006_61
; %bb.60:
	v_mov_b32_e32 v9, 24
	v_mov_b32_e32 v11, 0xff
	;; [unrolled: 1-line block ×3, first 2 shown]
	v_perm_b32 v7, v7, v7, 0x3060504
	v_lshrrev_b32_sdwa v25, v9, v8 dst_sel:BYTE_1 dst_unused:UNUSED_PAD src0_sel:DWORD src1_sel:DWORD
	v_and_b32_sdwa v26, v8, v11 dst_sel:DWORD dst_unused:UNUSED_PAD src0_sel:WORD_1 src1_sel:DWORD
	v_lshrrev_b32_sdwa v9, v9, v10 dst_sel:BYTE_1 dst_unused:UNUSED_PAD src0_sel:DWORD src1_sel:DWORD
	v_and_b32_sdwa v11, v10, v11 dst_sel:DWORD dst_unused:UNUSED_PAD src0_sel:WORD_1 src1_sel:DWORD
	v_lshrrev_b32_sdwa v8, v12, v8 dst_sel:BYTE_1 dst_unused:UNUSED_PAD src0_sel:DWORD src1_sel:DWORD
	v_or_b32_sdwa v12, v26, v25 dst_sel:WORD_1 dst_unused:UNUSED_PAD src0_sel:DWORD src1_sel:DWORD
	v_or_b32_e32 v11, v11, v9
	v_or_b32_sdwa v9, v8, v12 dst_sel:DWORD dst_unused:UNUSED_PAD src0_sel:WORD_0 src1_sel:DWORD
                                        ; implicit-def: $vgpr8
	v_perm_b32 v11, v11, v10, 0x5040c00
                                        ; implicit-def: $vgpr10
.LBB2006_61:
	s_andn2_saveexec_b32 s2, s1
	s_cbranch_execz .LBB2006_65
; %bb.62:
	v_add_nc_u32_e32 v9, s17, v19
	v_add_nc_u32_e32 v11, s19, v19
	s_mov_b32 s3, 0
	s_mov_b32 s4, exec_lo
	v_mul_lo_u32 v9, v9, s16
	v_mul_lo_u32 v11, v11, s18
	v_sub_nc_u32_e32 v9, v9, v11
	v_cmp_lt_u32_e32 vcc_lo, s20, v9
	v_cmpx_ge_u32_e64 s20, v9
	s_cbranch_execz .LBB2006_64
; %bb.63:
	v_add_nc_u32_e32 v9, s22, v19
	v_add_nc_u32_e32 v11, s38, v19
	v_mul_lo_u32 v9, v9, s21
	v_mul_lo_u32 v11, v11, s23
	v_sub_nc_u32_e32 v9, v9, v11
	v_cmp_lt_u32_e64 s1, s39, v9
	s_and_b32 s3, s1, exec_lo
.LBB2006_64:
	s_or_b32 exec_lo, exec_lo, s4
	v_mov_b32_e32 v9, 24
	v_mov_b32_e32 v11, 0xff
	v_mov_b32_e32 v12, 8
	v_cndmask_b32_e64 v25, 0, 1, s3
	v_cndmask_b32_e64 v26, 0, 1, vcc_lo
	v_lshrrev_b32_sdwa v27, v9, v8 dst_sel:BYTE_1 dst_unused:UNUSED_PAD src0_sel:DWORD src1_sel:DWORD
	v_and_b32_sdwa v28, v8, v11 dst_sel:DWORD dst_unused:UNUSED_PAD src0_sel:WORD_1 src1_sel:DWORD
	v_lshrrev_b32_sdwa v8, v12, v8 dst_sel:BYTE_1 dst_unused:UNUSED_PAD src0_sel:DWORD src1_sel:DWORD
	v_lshlrev_b16 v12, 8, v25
	v_lshrrev_b32_sdwa v9, v9, v10 dst_sel:BYTE_1 dst_unused:UNUSED_PAD src0_sel:DWORD src1_sel:DWORD
	v_and_b32_sdwa v11, v10, v11 dst_sel:DWORD dst_unused:UNUSED_PAD src0_sel:WORD_1 src1_sel:DWORD
	v_or_b32_sdwa v25, v28, v27 dst_sel:WORD_1 dst_unused:UNUSED_PAD src0_sel:DWORD src1_sel:DWORD
	v_or_b32_e32 v8, v26, v8
	v_or_b32_sdwa v10, v10, v12 dst_sel:DWORD dst_unused:UNUSED_PAD src0_sel:BYTE_0 src1_sel:DWORD
	v_or_b32_sdwa v11, v11, v9 dst_sel:WORD_1 dst_unused:UNUSED_PAD src0_sel:DWORD src1_sel:DWORD
	v_or_b32_sdwa v9, v8, v25 dst_sel:DWORD dst_unused:UNUSED_PAD src0_sel:WORD_0 src1_sel:DWORD
	v_or_b32_sdwa v11, v10, v11 dst_sel:DWORD dst_unused:UNUSED_PAD src0_sel:WORD_0 src1_sel:DWORD
.LBB2006_65:
	s_or_b32 exec_lo, exec_lo, s2
	v_add_nc_u32_e32 v8, 5, v34
                                        ; implicit-def: $vgpr10
	v_cmp_le_u32_e32 vcc_lo, s5, v8
                                        ; implicit-def: $vgpr8
	s_and_saveexec_b32 s1, vcc_lo
	s_xor_b32 s1, exec_lo, s1
	s_cbranch_execz .LBB2006_67
; %bb.66:
	v_lshrrev_b32_e32 v8, 24, v11
	v_mov_b32_e32 v10, 8
	v_mov_b32_e32 v12, 0xff
	v_perm_b32 v7, v7, v7, 0x3060504
	v_perm_b32 v8, v8, v11, 0x40c0100
	v_mov_b32_e32 v11, 24
	v_and_b32_sdwa v12, v9, v12 dst_sel:DWORD dst_unused:UNUSED_PAD src0_sel:WORD_1 src1_sel:DWORD
	v_lshrrev_b32_sdwa v10, v10, v8 dst_sel:BYTE_1 dst_unused:UNUSED_PAD src0_sel:DWORD src1_sel:DWORD
	v_lshrrev_b32_sdwa v11, v11, v9 dst_sel:BYTE_1 dst_unused:UNUSED_PAD src0_sel:DWORD src1_sel:DWORD
	v_or_b32_sdwa v10, v8, v10 dst_sel:DWORD dst_unused:UNUSED_PAD src0_sel:BYTE_0 src1_sel:DWORD
	v_or_b32_e32 v11, v12, v11
	v_and_b32_e32 v12, 0xffff, v10
	v_perm_b32 v10, v11, v9, 0x5040c00
                                        ; implicit-def: $vgpr9
                                        ; implicit-def: $vgpr11
	v_and_or_b32 v8, 0xff000000, v8, v12
.LBB2006_67:
	s_andn2_saveexec_b32 s2, s1
	s_cbranch_execz .LBB2006_71
; %bb.68:
	v_add_nc_u32_e32 v8, s17, v20
	v_add_nc_u32_e32 v10, s19, v20
	s_mov_b32 s3, 0
	s_mov_b32 s4, exec_lo
	v_mul_lo_u32 v8, v8, s16
	v_mul_lo_u32 v10, v10, s18
	v_sub_nc_u32_e32 v8, v8, v10
	v_cmp_lt_u32_e32 vcc_lo, s20, v8
	v_cmpx_ge_u32_e64 s20, v8
	s_cbranch_execz .LBB2006_70
; %bb.69:
	v_add_nc_u32_e32 v8, s22, v20
	v_add_nc_u32_e32 v10, s38, v20
	v_mul_lo_u32 v8, v8, s21
	v_mul_lo_u32 v10, v10, s23
	v_sub_nc_u32_e32 v8, v8, v10
	v_cmp_lt_u32_e64 s1, s39, v8
	s_and_b32 s3, s1, exec_lo
.LBB2006_70:
	s_or_b32 exec_lo, exec_lo, s4
	v_cndmask_b32_e64 v8, 0, 1, vcc_lo
	v_mov_b32_e32 v10, 24
	v_mov_b32_e32 v12, 0xff
	;; [unrolled: 1-line block ×3, first 2 shown]
	v_cndmask_b32_e64 v26, 0, 1, s3
	v_lshlrev_b16 v8, 8, v8
	v_lshrrev_b32_sdwa v27, v10, v9 dst_sel:BYTE_1 dst_unused:UNUSED_PAD src0_sel:DWORD src1_sel:DWORD
	v_and_b32_sdwa v12, v9, v12 dst_sel:DWORD dst_unused:UNUSED_PAD src0_sel:WORD_1 src1_sel:DWORD
	v_lshrrev_b32_sdwa v25, v25, v11 dst_sel:BYTE_1 dst_unused:UNUSED_PAD src0_sel:DWORD src1_sel:DWORD
	v_lshrrev_b32_sdwa v10, v10, v11 dst_sel:BYTE_1 dst_unused:UNUSED_PAD src0_sel:DWORD src1_sel:DWORD
	v_or_b32_sdwa v8, v9, v8 dst_sel:DWORD dst_unused:UNUSED_PAD src0_sel:BYTE_0 src1_sel:DWORD
	v_or_b32_sdwa v9, v12, v27 dst_sel:WORD_1 dst_unused:UNUSED_PAD src0_sel:DWORD src1_sel:DWORD
	v_or_b32_sdwa v11, v11, v25 dst_sel:DWORD dst_unused:UNUSED_PAD src0_sel:BYTE_0 src1_sel:DWORD
	v_or_b32_sdwa v12, v26, v10 dst_sel:WORD_1 dst_unused:UNUSED_PAD src0_sel:DWORD src1_sel:DWORD
	v_or_b32_sdwa v10, v8, v9 dst_sel:DWORD dst_unused:UNUSED_PAD src0_sel:WORD_0 src1_sel:DWORD
	v_or_b32_sdwa v8, v11, v12 dst_sel:DWORD dst_unused:UNUSED_PAD src0_sel:WORD_0 src1_sel:DWORD
.LBB2006_71:
	s_or_b32 exec_lo, exec_lo, s2
	v_add_nc_u32_e32 v9, 6, v34
                                        ; implicit-def: $vgpr36
	v_cmp_le_u32_e32 vcc_lo, s5, v9
                                        ; implicit-def: $vgpr9
	s_and_saveexec_b32 s1, vcc_lo
	s_xor_b32 s1, exec_lo, s1
	s_cbranch_execz .LBB2006_73
; %bb.72:
	v_lshrrev_b32_e32 v9, 24, v10
	v_mov_b32_e32 v11, 8
	v_perm_b32 v7, v7, v7, 0x3060504
	v_perm_b32 v9, v9, v10, 0x40c0100
	v_lshrrev_b32_sdwa v10, v11, v9 dst_sel:BYTE_1 dst_unused:UNUSED_PAD src0_sel:DWORD src1_sel:DWORD
	v_and_b32_e32 v11, 0xff0000, v8
	v_or_b32_sdwa v10, v9, v10 dst_sel:DWORD dst_unused:UNUSED_PAD src0_sel:BYTE_0 src1_sel:DWORD
	v_perm_b32 v36, v8, v11, 0x3020504
                                        ; implicit-def: $vgpr8
	v_and_b32_e32 v10, 0xffff, v10
	v_and_or_b32 v9, 0xff000000, v9, v10
                                        ; implicit-def: $vgpr10
.LBB2006_73:
	s_andn2_saveexec_b32 s2, s1
	s_cbranch_execz .LBB2006_77
; %bb.74:
	v_add_nc_u32_e32 v9, s17, v17
	v_add_nc_u32_e32 v11, s19, v17
	s_mov_b32 s3, 0
	s_mov_b32 s4, exec_lo
	v_mul_lo_u32 v9, v9, s16
	v_mul_lo_u32 v11, v11, s18
	v_sub_nc_u32_e32 v9, v9, v11
	v_cmp_lt_u32_e32 vcc_lo, s20, v9
	v_cmpx_ge_u32_e64 s20, v9
	s_cbranch_execz .LBB2006_76
; %bb.75:
	v_add_nc_u32_e32 v9, s22, v17
	v_add_nc_u32_e32 v11, s38, v17
	v_mul_lo_u32 v9, v9, s21
	v_mul_lo_u32 v11, v11, s23
	v_sub_nc_u32_e32 v9, v9, v11
	v_cmp_lt_u32_e64 s1, s39, v9
	s_and_b32 s3, s1, exec_lo
.LBB2006_76:
	s_or_b32 exec_lo, exec_lo, s4
	v_mov_b32_e32 v9, 8
	v_mov_b32_e32 v11, 24
	v_cndmask_b32_e64 v25, 0, 1, s3
	v_mov_b32_e32 v26, 0xff
	v_cndmask_b32_e64 v12, 0, 1, vcc_lo
	v_lshrrev_b32_sdwa v27, v9, v10 dst_sel:BYTE_1 dst_unused:UNUSED_PAD src0_sel:DWORD src1_sel:DWORD
	v_lshrrev_b32_sdwa v11, v11, v10 dst_sel:BYTE_1 dst_unused:UNUSED_PAD src0_sel:DWORD src1_sel:DWORD
	;; [unrolled: 1-line block ×3, first 2 shown]
	v_lshlrev_b16 v25, 8, v25
	v_and_b32_sdwa v26, v8, v26 dst_sel:DWORD dst_unused:UNUSED_PAD src0_sel:WORD_1 src1_sel:DWORD
	v_or_b32_sdwa v10, v10, v27 dst_sel:DWORD dst_unused:UNUSED_PAD src0_sel:BYTE_0 src1_sel:DWORD
	v_or_b32_sdwa v11, v12, v11 dst_sel:WORD_1 dst_unused:UNUSED_PAD src0_sel:DWORD src1_sel:DWORD
	v_or_b32_sdwa v8, v8, v9 dst_sel:DWORD dst_unused:UNUSED_PAD src0_sel:BYTE_0 src1_sel:DWORD
	v_or_b32_sdwa v12, v26, v25 dst_sel:WORD_1 dst_unused:UNUSED_PAD src0_sel:DWORD src1_sel:DWORD
	v_or_b32_sdwa v9, v10, v11 dst_sel:DWORD dst_unused:UNUSED_PAD src0_sel:WORD_0 src1_sel:DWORD
	v_or_b32_sdwa v36, v8, v12 dst_sel:DWORD dst_unused:UNUSED_PAD src0_sel:WORD_0 src1_sel:DWORD
.LBB2006_77:
	s_or_b32 exec_lo, exec_lo, s2
	v_add_nc_u32_e32 v8, 7, v34
                                        ; implicit-def: $vgpr37
	v_cmp_le_u32_e32 vcc_lo, s5, v8
                                        ; implicit-def: $vgpr8
	s_and_saveexec_b32 s1, vcc_lo
	s_xor_b32 s1, exec_lo, s1
	s_cbranch_execz .LBB2006_79
; %bb.78:
	v_mov_b32_e32 v8, 24
	v_mov_b32_e32 v10, 0xff
	;; [unrolled: 1-line block ×3, first 2 shown]
	v_lshrrev_b32_sdwa v8, v8, v7 dst_sel:BYTE_1 dst_unused:UNUSED_PAD src0_sel:DWORD src1_sel:DWORD
	v_and_b32_sdwa v10, v7, v10 dst_sel:DWORD dst_unused:UNUSED_PAD src0_sel:WORD_1 src1_sel:DWORD
	v_lshrrev_b32_sdwa v7, v11, v7 dst_sel:BYTE_1 dst_unused:UNUSED_PAD src0_sel:DWORD src1_sel:DWORD
	v_and_b32_e32 v11, 0xff0000, v9
	v_or_b32_sdwa v8, v10, v8 dst_sel:WORD_1 dst_unused:UNUSED_PAD src0_sel:DWORD src1_sel:DWORD
	v_perm_b32 v37, v9, v11, 0x3020504
                                        ; implicit-def: $vgpr9
	v_or_b32_sdwa v8, v7, v8 dst_sel:DWORD dst_unused:UNUSED_PAD src0_sel:WORD_0 src1_sel:DWORD
                                        ; implicit-def: $vgpr7
.LBB2006_79:
	s_andn2_saveexec_b32 s2, s1
	s_cbranch_execz .LBB2006_83
; %bb.80:
	v_add_nc_u32_e32 v8, s17, v18
	v_add_nc_u32_e32 v10, s19, v18
	s_mov_b32 s3, 0
	s_mov_b32 s4, exec_lo
	v_mul_lo_u32 v8, v8, s16
	v_mul_lo_u32 v10, v10, s18
	v_sub_nc_u32_e32 v8, v8, v10
	v_cmp_lt_u32_e32 vcc_lo, s20, v8
	v_cmpx_ge_u32_e64 s20, v8
	s_cbranch_execz .LBB2006_82
; %bb.81:
	v_add_nc_u32_e32 v8, s22, v18
	v_add_nc_u32_e32 v10, s38, v18
	v_mul_lo_u32 v8, v8, s21
	v_mul_lo_u32 v10, v10, s23
	v_sub_nc_u32_e32 v8, v8, v10
	v_cmp_lt_u32_e64 s1, s39, v8
	s_and_b32 s3, s1, exec_lo
.LBB2006_82:
	s_or_b32 exec_lo, exec_lo, s4
	v_mov_b32_e32 v8, 8
	v_cndmask_b32_e64 v10, 0, 1, vcc_lo
	v_mov_b32_e32 v11, 0xff
	v_mov_b32_e32 v12, 24
	v_cndmask_b32_e64 v25, 0, 1, s3
	v_lshrrev_b32_sdwa v26, v8, v9 dst_sel:BYTE_1 dst_unused:UNUSED_PAD src0_sel:DWORD src1_sel:DWORD
	v_lshlrev_b16 v10, 8, v10
	v_and_b32_sdwa v27, v9, v11 dst_sel:DWORD dst_unused:UNUSED_PAD src0_sel:WORD_1 src1_sel:DWORD
	v_lshrrev_b32_sdwa v12, v12, v7 dst_sel:BYTE_1 dst_unused:UNUSED_PAD src0_sel:DWORD src1_sel:DWORD
	v_and_b32_sdwa v11, v7, v11 dst_sel:DWORD dst_unused:UNUSED_PAD src0_sel:WORD_1 src1_sel:DWORD
	v_lshrrev_b32_sdwa v7, v8, v7 dst_sel:BYTE_1 dst_unused:UNUSED_PAD src0_sel:DWORD src1_sel:DWORD
	v_or_b32_sdwa v8, v9, v26 dst_sel:DWORD dst_unused:UNUSED_PAD src0_sel:BYTE_0 src1_sel:DWORD
	v_or_b32_sdwa v9, v27, v10 dst_sel:WORD_1 dst_unused:UNUSED_PAD src0_sel:DWORD src1_sel:DWORD
	v_or_b32_sdwa v10, v11, v12 dst_sel:WORD_1 dst_unused:UNUSED_PAD src0_sel:DWORD src1_sel:DWORD
	v_or_b32_e32 v7, v25, v7
	v_or_b32_sdwa v37, v8, v9 dst_sel:DWORD dst_unused:UNUSED_PAD src0_sel:WORD_0 src1_sel:DWORD
	v_or_b32_sdwa v8, v7, v10 dst_sel:DWORD dst_unused:UNUSED_PAD src0_sel:WORD_0 src1_sel:DWORD
.LBB2006_83:
	s_or_b32 exec_lo, exec_lo, s2
	v_add_nc_u32_e32 v7, 8, v34
                                        ; implicit-def: $vgpr9
	v_cmp_le_u32_e32 vcc_lo, s5, v7
                                        ; implicit-def: $vgpr7
	s_and_saveexec_b32 s1, vcc_lo
	s_xor_b32 s1, exec_lo, s1
	s_cbranch_execz .LBB2006_85
; %bb.84:
	v_mov_b32_e32 v7, 24
	v_mov_b32_e32 v9, 0xff
	;; [unrolled: 1-line block ×3, first 2 shown]
	v_perm_b32 v5, v5, v5, 0x3060504
	v_lshrrev_b32_sdwa v11, v7, v8 dst_sel:BYTE_1 dst_unused:UNUSED_PAD src0_sel:DWORD src1_sel:DWORD
	v_lshrrev_b32_sdwa v7, v7, v6 dst_sel:BYTE_1 dst_unused:UNUSED_PAD src0_sel:DWORD src1_sel:DWORD
	v_and_b32_sdwa v12, v6, v9 dst_sel:DWORD dst_unused:UNUSED_PAD src0_sel:WORD_1 src1_sel:DWORD
	v_and_b32_sdwa v9, v8, v9 dst_sel:DWORD dst_unused:UNUSED_PAD src0_sel:WORD_1 src1_sel:DWORD
	v_lshrrev_b32_sdwa v6, v10, v6 dst_sel:BYTE_1 dst_unused:UNUSED_PAD src0_sel:DWORD src1_sel:DWORD
	v_or_b32_sdwa v7, v12, v7 dst_sel:WORD_1 dst_unused:UNUSED_PAD src0_sel:DWORD src1_sel:DWORD
	v_or_b32_e32 v9, v9, v11
	v_or_b32_sdwa v7, v6, v7 dst_sel:DWORD dst_unused:UNUSED_PAD src0_sel:WORD_0 src1_sel:DWORD
	v_perm_b32 v9, v9, v8, 0x5040c00
                                        ; implicit-def: $vgpr6
                                        ; implicit-def: $vgpr8
.LBB2006_85:
	s_andn2_saveexec_b32 s2, s1
	s_cbranch_execz .LBB2006_89
; %bb.86:
	v_add_nc_u32_e32 v7, s17, v15
	v_add_nc_u32_e32 v9, s19, v15
	s_mov_b32 s3, 0
	s_mov_b32 s4, exec_lo
	v_mul_lo_u32 v7, v7, s16
	v_mul_lo_u32 v9, v9, s18
	v_sub_nc_u32_e32 v7, v7, v9
	v_cmp_lt_u32_e32 vcc_lo, s20, v7
	v_cmpx_ge_u32_e64 s20, v7
	s_cbranch_execz .LBB2006_88
; %bb.87:
	v_add_nc_u32_e32 v7, s22, v15
	v_add_nc_u32_e32 v9, s38, v15
	v_mul_lo_u32 v7, v7, s21
	v_mul_lo_u32 v9, v9, s23
	v_sub_nc_u32_e32 v7, v7, v9
	v_cmp_lt_u32_e64 s1, s39, v7
	s_and_b32 s3, s1, exec_lo
.LBB2006_88:
	s_or_b32 exec_lo, exec_lo, s4
	v_mov_b32_e32 v7, 24
	v_mov_b32_e32 v9, 0xff
	;; [unrolled: 1-line block ×3, first 2 shown]
	v_cndmask_b32_e64 v11, 0, 1, s3
	v_cndmask_b32_e64 v12, 0, 1, vcc_lo
	v_lshrrev_b32_sdwa v25, v7, v6 dst_sel:BYTE_1 dst_unused:UNUSED_PAD src0_sel:DWORD src1_sel:DWORD
	v_and_b32_sdwa v26, v6, v9 dst_sel:DWORD dst_unused:UNUSED_PAD src0_sel:WORD_1 src1_sel:DWORD
	v_lshrrev_b32_sdwa v6, v10, v6 dst_sel:BYTE_1 dst_unused:UNUSED_PAD src0_sel:DWORD src1_sel:DWORD
	v_lshlrev_b16 v10, 8, v11
	v_lshrrev_b32_sdwa v7, v7, v8 dst_sel:BYTE_1 dst_unused:UNUSED_PAD src0_sel:DWORD src1_sel:DWORD
	v_and_b32_sdwa v9, v8, v9 dst_sel:DWORD dst_unused:UNUSED_PAD src0_sel:WORD_1 src1_sel:DWORD
	v_or_b32_sdwa v11, v26, v25 dst_sel:WORD_1 dst_unused:UNUSED_PAD src0_sel:DWORD src1_sel:DWORD
	v_or_b32_e32 v6, v12, v6
	v_or_b32_sdwa v8, v8, v10 dst_sel:DWORD dst_unused:UNUSED_PAD src0_sel:BYTE_0 src1_sel:DWORD
	v_or_b32_sdwa v9, v9, v7 dst_sel:WORD_1 dst_unused:UNUSED_PAD src0_sel:DWORD src1_sel:DWORD
	v_or_b32_sdwa v7, v6, v11 dst_sel:DWORD dst_unused:UNUSED_PAD src0_sel:WORD_0 src1_sel:DWORD
	v_or_b32_sdwa v9, v8, v9 dst_sel:DWORD dst_unused:UNUSED_PAD src0_sel:WORD_0 src1_sel:DWORD
.LBB2006_89:
	s_or_b32 exec_lo, exec_lo, s2
	v_add_nc_u32_e32 v6, 9, v34
                                        ; implicit-def: $vgpr8
	v_cmp_le_u32_e32 vcc_lo, s5, v6
                                        ; implicit-def: $vgpr6
	s_and_saveexec_b32 s1, vcc_lo
	s_xor_b32 s1, exec_lo, s1
	s_cbranch_execz .LBB2006_91
; %bb.90:
	v_lshrrev_b32_e32 v6, 24, v9
	v_mov_b32_e32 v8, 8
	v_mov_b32_e32 v10, 0xff
	v_perm_b32 v5, v5, v5, 0x3060504
	v_perm_b32 v6, v6, v9, 0x40c0100
	v_mov_b32_e32 v9, 24
	v_and_b32_sdwa v10, v7, v10 dst_sel:DWORD dst_unused:UNUSED_PAD src0_sel:WORD_1 src1_sel:DWORD
	v_lshrrev_b32_sdwa v8, v8, v6 dst_sel:BYTE_1 dst_unused:UNUSED_PAD src0_sel:DWORD src1_sel:DWORD
	v_lshrrev_b32_sdwa v9, v9, v7 dst_sel:BYTE_1 dst_unused:UNUSED_PAD src0_sel:DWORD src1_sel:DWORD
	v_or_b32_sdwa v8, v6, v8 dst_sel:DWORD dst_unused:UNUSED_PAD src0_sel:BYTE_0 src1_sel:DWORD
	v_or_b32_e32 v9, v10, v9
	v_and_b32_e32 v10, 0xffff, v8
	v_perm_b32 v8, v9, v7, 0x5040c00
                                        ; implicit-def: $vgpr7
                                        ; implicit-def: $vgpr9
	v_and_or_b32 v6, 0xff000000, v6, v10
.LBB2006_91:
	s_andn2_saveexec_b32 s2, s1
	s_cbranch_execz .LBB2006_95
; %bb.92:
	v_add_nc_u32_e32 v6, s17, v16
	v_add_nc_u32_e32 v8, s19, v16
	s_mov_b32 s3, 0
	s_mov_b32 s4, exec_lo
	v_mul_lo_u32 v6, v6, s16
	v_mul_lo_u32 v8, v8, s18
	v_sub_nc_u32_e32 v6, v6, v8
	v_cmp_lt_u32_e32 vcc_lo, s20, v6
	v_cmpx_ge_u32_e64 s20, v6
	s_cbranch_execz .LBB2006_94
; %bb.93:
	v_add_nc_u32_e32 v6, s22, v16
	v_add_nc_u32_e32 v8, s38, v16
	v_mul_lo_u32 v6, v6, s21
	v_mul_lo_u32 v8, v8, s23
	v_sub_nc_u32_e32 v6, v6, v8
	v_cmp_lt_u32_e64 s1, s39, v6
	s_and_b32 s3, s1, exec_lo
.LBB2006_94:
	s_or_b32 exec_lo, exec_lo, s4
	v_cndmask_b32_e64 v6, 0, 1, vcc_lo
	v_mov_b32_e32 v8, 24
	v_mov_b32_e32 v10, 0xff
	;; [unrolled: 1-line block ×3, first 2 shown]
	v_cndmask_b32_e64 v12, 0, 1, s3
	v_lshlrev_b16 v6, 8, v6
	v_lshrrev_b32_sdwa v25, v8, v7 dst_sel:BYTE_1 dst_unused:UNUSED_PAD src0_sel:DWORD src1_sel:DWORD
	v_and_b32_sdwa v10, v7, v10 dst_sel:DWORD dst_unused:UNUSED_PAD src0_sel:WORD_1 src1_sel:DWORD
	v_lshrrev_b32_sdwa v11, v11, v9 dst_sel:BYTE_1 dst_unused:UNUSED_PAD src0_sel:DWORD src1_sel:DWORD
	v_lshrrev_b32_sdwa v8, v8, v9 dst_sel:BYTE_1 dst_unused:UNUSED_PAD src0_sel:DWORD src1_sel:DWORD
	v_or_b32_sdwa v6, v7, v6 dst_sel:DWORD dst_unused:UNUSED_PAD src0_sel:BYTE_0 src1_sel:DWORD
	v_or_b32_sdwa v7, v10, v25 dst_sel:WORD_1 dst_unused:UNUSED_PAD src0_sel:DWORD src1_sel:DWORD
	v_or_b32_sdwa v9, v9, v11 dst_sel:DWORD dst_unused:UNUSED_PAD src0_sel:BYTE_0 src1_sel:DWORD
	v_or_b32_sdwa v10, v12, v8 dst_sel:WORD_1 dst_unused:UNUSED_PAD src0_sel:DWORD src1_sel:DWORD
	v_or_b32_sdwa v8, v6, v7 dst_sel:DWORD dst_unused:UNUSED_PAD src0_sel:WORD_0 src1_sel:DWORD
	v_or_b32_sdwa v6, v9, v10 dst_sel:DWORD dst_unused:UNUSED_PAD src0_sel:WORD_0 src1_sel:DWORD
.LBB2006_95:
	s_or_b32 exec_lo, exec_lo, s2
	v_add_nc_u32_e32 v7, 10, v34
                                        ; implicit-def: $vgpr38
	v_cmp_le_u32_e32 vcc_lo, s5, v7
                                        ; implicit-def: $vgpr7
	s_and_saveexec_b32 s1, vcc_lo
	s_xor_b32 s1, exec_lo, s1
	s_cbranch_execz .LBB2006_97
; %bb.96:
	v_lshrrev_b32_e32 v7, 24, v8
	v_mov_b32_e32 v9, 8
	v_perm_b32 v5, v5, v5, 0x3060504
	v_perm_b32 v7, v7, v8, 0x40c0100
	v_lshrrev_b32_sdwa v8, v9, v7 dst_sel:BYTE_1 dst_unused:UNUSED_PAD src0_sel:DWORD src1_sel:DWORD
	v_and_b32_e32 v9, 0xff0000, v6
	v_or_b32_sdwa v8, v7, v8 dst_sel:DWORD dst_unused:UNUSED_PAD src0_sel:BYTE_0 src1_sel:DWORD
	v_perm_b32 v38, v6, v9, 0x3020504
                                        ; implicit-def: $vgpr6
	v_and_b32_e32 v8, 0xffff, v8
	v_and_or_b32 v7, 0xff000000, v7, v8
                                        ; implicit-def: $vgpr8
.LBB2006_97:
	s_andn2_saveexec_b32 s2, s1
	s_cbranch_execz .LBB2006_101
; %bb.98:
	v_add_nc_u32_e32 v7, s17, v13
	v_add_nc_u32_e32 v9, s19, v13
	s_mov_b32 s3, 0
	s_mov_b32 s4, exec_lo
	v_mul_lo_u32 v7, v7, s16
	v_mul_lo_u32 v9, v9, s18
	v_sub_nc_u32_e32 v7, v7, v9
	v_cmp_lt_u32_e32 vcc_lo, s20, v7
	v_cmpx_ge_u32_e64 s20, v7
	s_cbranch_execz .LBB2006_100
; %bb.99:
	v_add_nc_u32_e32 v7, s22, v13
	v_add_nc_u32_e32 v9, s38, v13
	v_mul_lo_u32 v7, v7, s21
	v_mul_lo_u32 v9, v9, s23
	v_sub_nc_u32_e32 v7, v7, v9
	v_cmp_lt_u32_e64 s1, s39, v7
	s_and_b32 s3, s1, exec_lo
.LBB2006_100:
	s_or_b32 exec_lo, exec_lo, s4
	v_mov_b32_e32 v7, 8
	v_mov_b32_e32 v9, 24
	v_cndmask_b32_e64 v11, 0, 1, s3
	v_mov_b32_e32 v12, 0xff
	v_cndmask_b32_e64 v10, 0, 1, vcc_lo
	v_lshrrev_b32_sdwa v25, v7, v8 dst_sel:BYTE_1 dst_unused:UNUSED_PAD src0_sel:DWORD src1_sel:DWORD
	v_lshrrev_b32_sdwa v9, v9, v8 dst_sel:BYTE_1 dst_unused:UNUSED_PAD src0_sel:DWORD src1_sel:DWORD
	;; [unrolled: 1-line block ×3, first 2 shown]
	v_lshlrev_b16 v11, 8, v11
	v_and_b32_sdwa v12, v6, v12 dst_sel:DWORD dst_unused:UNUSED_PAD src0_sel:WORD_1 src1_sel:DWORD
	v_or_b32_sdwa v8, v8, v25 dst_sel:DWORD dst_unused:UNUSED_PAD src0_sel:BYTE_0 src1_sel:DWORD
	v_or_b32_sdwa v9, v10, v9 dst_sel:WORD_1 dst_unused:UNUSED_PAD src0_sel:DWORD src1_sel:DWORD
	v_or_b32_sdwa v6, v6, v7 dst_sel:DWORD dst_unused:UNUSED_PAD src0_sel:BYTE_0 src1_sel:DWORD
	v_or_b32_sdwa v10, v12, v11 dst_sel:WORD_1 dst_unused:UNUSED_PAD src0_sel:DWORD src1_sel:DWORD
	v_or_b32_sdwa v7, v8, v9 dst_sel:DWORD dst_unused:UNUSED_PAD src0_sel:WORD_0 src1_sel:DWORD
	v_or_b32_sdwa v38, v6, v10 dst_sel:DWORD dst_unused:UNUSED_PAD src0_sel:WORD_0 src1_sel:DWORD
.LBB2006_101:
	s_or_b32 exec_lo, exec_lo, s2
	v_add_nc_u32_e32 v6, 11, v34
	v_mov_b32_e32 v39, 0
	s_mov_b32 s1, exec_lo
                                        ; implicit-def: $vgpr40
	v_cmpx_le_u32_e64 s5, v6
	s_xor_b32 s1, exec_lo, s1
; %bb.102:
	v_and_b32_e32 v6, 0xff0000, v7
	v_perm_b32 v5, v5, v5, 0x3060504
	v_perm_b32 v40, v7, v6, 0x3020504
                                        ; implicit-def: $vgpr7
; %bb.103:
	s_andn2_saveexec_b32 s2, s1
	s_cbranch_execz .LBB2006_107
; %bb.104:
	v_add_nc_u32_e32 v6, s17, v14
	v_add_nc_u32_e32 v8, s19, v14
	s_mov_b32 s3, 0
	s_mov_b32 s4, exec_lo
	v_mul_lo_u32 v6, v6, s16
	v_mul_lo_u32 v8, v8, s18
	v_sub_nc_u32_e32 v6, v6, v8
	v_cmp_lt_u32_e32 vcc_lo, s20, v6
	v_cmpx_ge_u32_e64 s20, v6
	s_cbranch_execz .LBB2006_106
; %bb.105:
	v_add_nc_u32_e32 v6, s22, v14
	v_add_nc_u32_e32 v8, s38, v14
	v_mul_lo_u32 v6, v6, s21
	v_mul_lo_u32 v8, v8, s23
	v_sub_nc_u32_e32 v6, v6, v8
	v_cmp_lt_u32_e64 s1, s39, v6
	s_and_b32 s3, s1, exec_lo
.LBB2006_106:
	s_or_b32 exec_lo, exec_lo, s4
	v_mov_b32_e32 v6, 8
	v_cndmask_b32_e64 v8, 0, 1, vcc_lo
	v_mov_b32_e32 v9, 0xff
	v_cndmask_b32_e64 v39, 0, 1, s3
	v_lshrrev_b32_sdwa v6, v6, v7 dst_sel:BYTE_1 dst_unused:UNUSED_PAD src0_sel:DWORD src1_sel:DWORD
	v_lshlrev_b16 v8, 8, v8
	v_and_b32_sdwa v9, v7, v9 dst_sel:DWORD dst_unused:UNUSED_PAD src0_sel:WORD_1 src1_sel:DWORD
	v_or_b32_sdwa v6, v7, v6 dst_sel:DWORD dst_unused:UNUSED_PAD src0_sel:BYTE_0 src1_sel:DWORD
	v_or_b32_sdwa v7, v9, v8 dst_sel:WORD_1 dst_unused:UNUSED_PAD src0_sel:DWORD src1_sel:DWORD
	v_or_b32_sdwa v40, v6, v7 dst_sel:DWORD dst_unused:UNUSED_PAD src0_sel:WORD_0 src1_sel:DWORD
.LBB2006_107:
	s_or_b32 exec_lo, exec_lo, s2
	v_add_nc_u32_e32 v6, 12, v34
	s_mov_b32 s1, exec_lo
                                        ; implicit-def: $vgpr41
	v_cmpx_le_u32_e64 s5, v6
	s_xor_b32 s1, exec_lo, s1
	s_cbranch_execz .LBB2006_109
; %bb.108:
	v_mov_b32_e32 v6, 24
	v_mov_b32_e32 v7, 0xff
	;; [unrolled: 1-line block ×3, first 2 shown]
	v_lshrrev_b32_sdwa v6, v6, v5 dst_sel:BYTE_1 dst_unused:UNUSED_PAD src0_sel:DWORD src1_sel:DWORD
	v_and_b32_sdwa v7, v5, v7 dst_sel:DWORD dst_unused:UNUSED_PAD src0_sel:WORD_1 src1_sel:DWORD
	v_lshrrev_b32_sdwa v5, v8, v5 dst_sel:BYTE_1 dst_unused:UNUSED_PAD src0_sel:DWORD src1_sel:DWORD
	v_or_b32_sdwa v6, v7, v6 dst_sel:WORD_1 dst_unused:UNUSED_PAD src0_sel:DWORD src1_sel:DWORD
	v_or_b32_sdwa v41, v5, v6 dst_sel:DWORD dst_unused:UNUSED_PAD src0_sel:WORD_0 src1_sel:DWORD
                                        ; implicit-def: $vgpr5
.LBB2006_109:
	s_or_saveexec_b32 s2, s1
	v_mov_b32_e32 v42, 0
	s_xor_b32 exec_lo, exec_lo, s2
	s_cbranch_execz .LBB2006_113
; %bb.110:
	v_add_nc_u32_e32 v6, s17, v33
	v_add_nc_u32_e32 v7, s19, v33
	s_mov_b32 s3, 0
	s_mov_b32 s4, exec_lo
	v_mul_lo_u32 v6, v6, s16
	v_mul_lo_u32 v7, v7, s18
	v_sub_nc_u32_e32 v6, v6, v7
	v_cmp_lt_u32_e32 vcc_lo, s20, v6
	v_cmpx_ge_u32_e64 s20, v6
	s_cbranch_execz .LBB2006_112
; %bb.111:
	v_add_nc_u32_e32 v6, s22, v33
	v_add_nc_u32_e32 v7, s38, v33
	v_mul_lo_u32 v6, v6, s21
	v_mul_lo_u32 v7, v7, s23
	v_sub_nc_u32_e32 v6, v6, v7
	v_cmp_lt_u32_e64 s1, s39, v6
	s_and_b32 s3, s1, exec_lo
.LBB2006_112:
	s_or_b32 exec_lo, exec_lo, s4
	v_mov_b32_e32 v6, 24
	v_mov_b32_e32 v7, 0xff
	;; [unrolled: 1-line block ×3, first 2 shown]
	v_cndmask_b32_e64 v9, 0, 1, vcc_lo
	v_cndmask_b32_e64 v42, 0, 1, s3
	v_lshrrev_b32_sdwa v6, v6, v5 dst_sel:BYTE_1 dst_unused:UNUSED_PAD src0_sel:DWORD src1_sel:DWORD
	v_and_b32_sdwa v7, v5, v7 dst_sel:DWORD dst_unused:UNUSED_PAD src0_sel:WORD_1 src1_sel:DWORD
	v_lshrrev_b32_sdwa v5, v8, v5 dst_sel:BYTE_1 dst_unused:UNUSED_PAD src0_sel:DWORD src1_sel:DWORD
	v_or_b32_sdwa v6, v7, v6 dst_sel:WORD_1 dst_unused:UNUSED_PAD src0_sel:DWORD src1_sel:DWORD
	v_or_b32_e32 v5, v9, v5
	v_or_b32_sdwa v41, v5, v6 dst_sel:DWORD dst_unused:UNUSED_PAD src0_sel:WORD_0 src1_sel:DWORD
.LBB2006_113:
	s_or_b32 exec_lo, exec_lo, s2
.LBB2006_114:
	v_and_b32_e32 v65, 0xff, v35
	v_bfe_u32 v66, v41, 8, 8
	v_bfe_u32 v62, v35, 8, 8
	;; [unrolled: 1-line block ×4, first 2 shown]
	v_lshrrev_b32_e32 v48, 24, v41
	v_lshrrev_b32_e32 v47, 24, v35
	v_and_b32_e32 v61, 0xff, v36
	v_and_b32_e32 v59, 0xff, v37
	v_bfe_u32 v60, v36, 8, 8
	v_add3_u32 v5, v62, v65, v64
	v_add3_u32 v6, v63, v66, v48
	v_bfe_u32 v57, v37, 8, 8
	v_bfe_u32 v58, v36, 16, 8
	;; [unrolled: 1-line block ×3, first 2 shown]
	v_lshrrev_b32_e32 v46, 24, v36
	v_add3_u32 v5, v5, v47, v59
	v_add3_u32 v6, v6, v61, v60
	v_lshrrev_b32_e32 v45, 24, v37
	v_and_b32_e32 v56, 0xff, v38
	v_and_b32_e32 v54, 0xff, v40
	v_bfe_u32 v55, v38, 8, 8
	v_add3_u32 v5, v5, v57, v52
	v_add3_u32 v6, v6, v58, v46
	v_bfe_u32 v51, v40, 8, 8
	v_bfe_u32 v53, v38, 16, 8
	;; [unrolled: 1-line block ×3, first 2 shown]
	v_lshrrev_b32_e32 v44, 24, v38
	v_add3_u32 v5, v5, v45, v54
	v_add3_u32 v6, v6, v56, v55
	v_mbcnt_lo_u32_b32 v67, -1, 0
	v_lshrrev_b32_e32 v43, 24, v40
	v_and_b32_e32 v50, 0xff, v39
	v_and_b32_e32 v7, 0xff, v41
	;; [unrolled: 1-line block ×3, first 2 shown]
	v_add3_u32 v5, v5, v51, v49
	v_add3_u32 v6, v6, v53, v44
	v_and_b32_e32 v69, 15, v67
	v_and_b32_e32 v71, 16, v67
	v_lshrrev_b32_e32 v68, 5, v0
	v_add3_u32 v72, v5, v43, v7
	v_add3_u32 v73, v6, v50, v8
	v_cmp_eq_u32_e64 s2, 0, v69
	v_cmp_lt_u32_e64 s1, 1, v69
	v_cmp_lt_u32_e64 s3, 3, v69
	v_or_b32_e32 v70, 31, v0
	s_cmp_lg_u32 s27, 0
	s_mov_b32 s4, -1
	v_cmp_lt_u32_e32 vcc_lo, 7, v69
	s_cbranch_scc0 .LBB2006_136
; %bb.115:
	v_mov_b32_dpp v5, v73 row_shr:1 row_mask:0xf bank_mask:0xf
	v_mov_b32_dpp v6, v72 row_shr:1 row_mask:0xf bank_mask:0xf
	s_mov_b32 s4, exec_lo
	v_add_nc_u32_e32 v5, v5, v73
	v_add_nc_u32_e32 v6, v6, v72
	v_cndmask_b32_e64 v5, v5, v73, s2
	v_cndmask_b32_e64 v6, v6, v72, s2
	v_mov_b32_dpp v7, v5 row_shr:2 row_mask:0xf bank_mask:0xf
	v_mov_b32_dpp v8, v6 row_shr:2 row_mask:0xf bank_mask:0xf
	v_add_nc_u32_e32 v7, v5, v7
	v_add_nc_u32_e32 v8, v6, v8
	v_cndmask_b32_e64 v5, v5, v7, s1
	v_cndmask_b32_e64 v6, v6, v8, s1
	v_mov_b32_dpp v7, v5 row_shr:4 row_mask:0xf bank_mask:0xf
	v_mov_b32_dpp v8, v6 row_shr:4 row_mask:0xf bank_mask:0xf
	v_add_nc_u32_e32 v7, v5, v7
	v_add_nc_u32_e32 v8, v6, v8
	v_cndmask_b32_e64 v5, v5, v7, s3
	v_cndmask_b32_e64 v6, v6, v8, s3
	v_mov_b32_dpp v7, v5 row_shr:8 row_mask:0xf bank_mask:0xf
	v_mov_b32_dpp v8, v6 row_shr:8 row_mask:0xf bank_mask:0xf
	v_add_nc_u32_e32 v7, v5, v7
	v_add_nc_u32_e32 v8, v6, v8
	v_cndmask_b32_e32 v5, v5, v7, vcc_lo
	v_cndmask_b32_e32 v6, v6, v8, vcc_lo
	v_cmp_eq_u32_e32 vcc_lo, 0, v71
	ds_swizzle_b32 v7, v5 offset:swizzle(BROADCAST,32,15)
	ds_swizzle_b32 v8, v6 offset:swizzle(BROADCAST,32,15)
	s_waitcnt lgkmcnt(1)
	v_add_nc_u32_e32 v7, v5, v7
	s_waitcnt lgkmcnt(0)
	v_add_nc_u32_e32 v8, v6, v8
	v_cmpx_eq_u32_e64 v0, v70
	s_cbranch_execz .LBB2006_117
; %bb.116:
	v_lshlrev_b32_e32 v11, 3, v68
	v_cndmask_b32_e32 v10, v7, v5, vcc_lo
	v_cndmask_b32_e32 v9, v8, v6, vcc_lo
	ds_write_b64 v11, v[9:10]
.LBB2006_117:
	s_or_b32 exec_lo, exec_lo, s4
	s_mov_b32 s4, exec_lo
	s_waitcnt lgkmcnt(0)
	s_barrier
	buffer_gl0_inv
	v_cmpx_gt_u32_e32 8, v0
	s_cbranch_execz .LBB2006_119
; %bb.118:
	v_lshlrev_b32_e32 v11, 3, v0
	v_and_b32_e32 v26, 7, v67
	ds_read_b64 v[9:10], v11
	v_cmp_eq_u32_e64 s3, 0, v26
	s_waitcnt lgkmcnt(0)
	v_mov_b32_dpp v12, v9 row_shr:1 row_mask:0xf bank_mask:0xf
	v_mov_b32_dpp v25, v10 row_shr:1 row_mask:0xf bank_mask:0xf
	v_add_nc_u32_e32 v12, v12, v9
	v_add_nc_u32_e32 v25, v25, v10
	v_cndmask_b32_e64 v9, v12, v9, s3
	v_cndmask_b32_e64 v10, v25, v10, s3
	v_cmp_lt_u32_e64 s3, 1, v26
	v_mov_b32_dpp v12, v9 row_shr:2 row_mask:0xf bank_mask:0xf
	v_mov_b32_dpp v25, v10 row_shr:2 row_mask:0xf bank_mask:0xf
	v_add_nc_u32_e32 v12, v9, v12
	v_add_nc_u32_e32 v25, v10, v25
	v_cndmask_b32_e64 v9, v9, v12, s3
	v_cndmask_b32_e64 v10, v10, v25, s3
	v_cmp_lt_u32_e64 s3, 3, v26
	v_mov_b32_dpp v12, v9 row_shr:4 row_mask:0xf bank_mask:0xf
	v_mov_b32_dpp v25, v10 row_shr:4 row_mask:0xf bank_mask:0xf
	v_cndmask_b32_e64 v12, 0, v12, s3
	v_cndmask_b32_e64 v25, 0, v25, s3
	v_add_nc_u32_e32 v9, v12, v9
	v_add_nc_u32_e32 v10, v25, v10
	ds_write_b64 v11, v[9:10]
.LBB2006_119:
	s_or_b32 exec_lo, exec_lo, s4
	v_cndmask_b32_e32 v5, v7, v5, vcc_lo
	v_cndmask_b32_e32 v6, v8, v6, vcc_lo
	s_mov_b32 s4, exec_lo
	v_cmp_gt_u32_e32 vcc_lo, 32, v0
	s_waitcnt lgkmcnt(0)
	s_barrier
	buffer_gl0_inv
                                        ; implicit-def: $vgpr25
	v_cmpx_lt_u32_e32 31, v0
	s_cbranch_execz .LBB2006_121
; %bb.120:
	v_lshl_add_u32 v7, v68, 3, -8
	ds_read_b64 v[25:26], v7
	s_waitcnt lgkmcnt(0)
	v_add_nc_u32_e32 v5, v26, v5
	v_add_nc_u32_e32 v6, v25, v6
.LBB2006_121:
	s_or_b32 exec_lo, exec_lo, s4
	v_sub_co_u32 v7, s3, v67, 1
	v_cmp_gt_i32_e64 s4, 0, v7
	v_cndmask_b32_e64 v7, v7, v67, s4
	v_lshlrev_b32_e32 v7, 2, v7
	ds_bpermute_b32 v74, v7, v6
	ds_bpermute_b32 v75, v7, v5
	s_and_saveexec_b32 s4, vcc_lo
	s_cbranch_execz .LBB2006_141
; %bb.122:
	v_mov_b32_e32 v8, 0
	ds_read_b64 v[5:6], v8 offset:56
	s_and_saveexec_b32 s6, s3
	s_cbranch_execz .LBB2006_124
; %bb.123:
	s_add_i32 s8, s27, 32
	s_mov_b32 s9, 0
	v_mov_b32_e32 v7, 1
	s_lshl_b64 s[8:9], s[8:9], 4
	s_add_u32 s8, s36, s8
	s_addc_u32 s9, s37, s9
	v_mov_b32_e32 v10, s9
	v_mov_b32_e32 v9, s8
	s_waitcnt lgkmcnt(0)
	;;#ASMSTART
	global_store_dwordx4 v[9:10], v[5:8] off	
s_waitcnt vmcnt(0)
	;;#ASMEND
.LBB2006_124:
	s_or_b32 exec_lo, exec_lo, s6
	v_xad_u32 v27, v67, -1, s27
	s_mov_b32 s7, 0
	v_add_nc_u32_e32 v7, 32, v27
	v_lshlrev_b64 v[9:10], 4, v[7:8]
	v_add_co_u32 v28, vcc_lo, s36, v9
	v_add_co_ci_u32_e64 v29, null, s37, v10, vcc_lo
	;;#ASMSTART
	global_load_dwordx4 v[9:12], v[28:29] off glc dlc	
s_waitcnt vmcnt(0)
	;;#ASMEND
	v_cmp_eq_u16_sdwa s8, v11, v8 src0_sel:BYTE_0 src1_sel:DWORD
	s_and_saveexec_b32 s6, s8
	s_cbranch_execz .LBB2006_128
; %bb.125:
	v_mov_b32_e32 v7, 0
.LBB2006_126:                           ; =>This Inner Loop Header: Depth=1
	;;#ASMSTART
	global_load_dwordx4 v[9:12], v[28:29] off glc dlc	
s_waitcnt vmcnt(0)
	;;#ASMEND
	v_cmp_ne_u16_sdwa s8, v11, v7 src0_sel:BYTE_0 src1_sel:DWORD
	s_or_b32 s7, s8, s7
	s_andn2_b32 exec_lo, exec_lo, s7
	s_cbranch_execnz .LBB2006_126
; %bb.127:
	s_or_b32 exec_lo, exec_lo, s7
.LBB2006_128:
	s_or_b32 exec_lo, exec_lo, s6
	v_cmp_ne_u32_e32 vcc_lo, 31, v67
	v_mov_b32_e32 v77, 2
	v_lshlrev_b32_e64 v78, v67, -1
	v_add_nc_u32_e32 v80, 2, v67
	v_add_nc_u32_e32 v82, 4, v67
	v_add_co_ci_u32_e64 v7, null, 0, v67, vcc_lo
	v_cmp_eq_u16_sdwa s6, v11, v77 src0_sel:BYTE_0 src1_sel:DWORD
	v_cmp_gt_u32_e32 vcc_lo, 30, v67
	v_add_nc_u32_e32 v84, 8, v67
	v_lshlrev_b32_e32 v76, 2, v7
	v_lshl_or_b32 v85, v67, 2, 64
	v_and_b32_e32 v12, s6, v78
	v_cndmask_b32_e64 v28, 0, 2, vcc_lo
	v_add_nc_u32_e32 v86, 16, v67
	ds_bpermute_b32 v7, v76, v10
	ds_bpermute_b32 v8, v76, v9
	v_or_b32_e32 v12, 0x80000000, v12
	v_add_lshl_u32 v79, v28, v67, 2
	v_ffbl_b32_e32 v12, v12
	v_cmp_lt_u32_e32 vcc_lo, v67, v12
	s_waitcnt lgkmcnt(1)
	v_add_nc_u32_e32 v7, v7, v10
	s_waitcnt lgkmcnt(0)
	v_add_nc_u32_e32 v8, v8, v9
	v_cndmask_b32_e32 v7, v10, v7, vcc_lo
	v_cndmask_b32_e32 v8, v9, v8, vcc_lo
	v_cmp_gt_u32_e32 vcc_lo, 28, v67
	ds_bpermute_b32 v9, v79, v7
	ds_bpermute_b32 v10, v79, v8
	v_cndmask_b32_e64 v28, 0, 4, vcc_lo
	v_cmp_gt_u32_e32 vcc_lo, v80, v12
	v_add_lshl_u32 v81, v28, v67, 2
	s_waitcnt lgkmcnt(1)
	v_add_nc_u32_e32 v9, v7, v9
	s_waitcnt lgkmcnt(0)
	v_add_nc_u32_e32 v10, v8, v10
	v_cndmask_b32_e32 v7, v9, v7, vcc_lo
	v_cndmask_b32_e32 v8, v10, v8, vcc_lo
	v_cmp_gt_u32_e32 vcc_lo, 24, v67
	ds_bpermute_b32 v9, v81, v7
	ds_bpermute_b32 v10, v81, v8
	v_cndmask_b32_e64 v28, 0, 8, vcc_lo
	v_cmp_gt_u32_e32 vcc_lo, v82, v12
	v_add_lshl_u32 v83, v28, v67, 2
	v_mov_b32_e32 v28, 0
	s_waitcnt lgkmcnt(1)
	v_add_nc_u32_e32 v9, v7, v9
	s_waitcnt lgkmcnt(0)
	v_add_nc_u32_e32 v10, v8, v10
	v_cndmask_b32_e32 v7, v9, v7, vcc_lo
	v_cndmask_b32_e32 v8, v10, v8, vcc_lo
	v_cmp_gt_u32_e32 vcc_lo, v84, v12
	ds_bpermute_b32 v9, v83, v7
	ds_bpermute_b32 v10, v83, v8
	s_waitcnt lgkmcnt(1)
	v_add_nc_u32_e32 v9, v7, v9
	s_waitcnt lgkmcnt(0)
	v_add_nc_u32_e32 v10, v8, v10
	v_cndmask_b32_e32 v7, v9, v7, vcc_lo
	v_cndmask_b32_e32 v8, v10, v8, vcc_lo
	v_cmp_le_u32_e32 vcc_lo, v86, v12
	ds_bpermute_b32 v10, v85, v7
	ds_bpermute_b32 v9, v85, v8
	s_waitcnt lgkmcnt(1)
	v_cndmask_b32_e32 v10, 0, v10, vcc_lo
	s_waitcnt lgkmcnt(0)
	v_cndmask_b32_e32 v9, 0, v9, vcc_lo
	v_add_nc_u32_e32 v10, v10, v7
	v_add_nc_u32_e32 v9, v9, v8
	s_branch .LBB2006_132
.LBB2006_129:                           ;   in Loop: Header=BB2006_132 Depth=1
	s_or_b32 exec_lo, exec_lo, s7
.LBB2006_130:                           ;   in Loop: Header=BB2006_132 Depth=1
	s_or_b32 exec_lo, exec_lo, s6
	ds_bpermute_b32 v12, v76, v9
	ds_bpermute_b32 v29, v76, v10
	v_cmp_eq_u16_sdwa s6, v11, v77 src0_sel:BYTE_0 src1_sel:DWORD
	v_subrev_nc_u32_e32 v27, 32, v27
	v_and_or_b32 v30, s6, v78, 0x80000000
	s_mov_b32 s6, 0
	v_ffbl_b32_e32 v30, v30
	v_cmp_lt_u32_e32 vcc_lo, v67, v30
	s_waitcnt lgkmcnt(1)
	v_add_nc_u32_e32 v12, v12, v9
	s_waitcnt lgkmcnt(0)
	v_add_nc_u32_e32 v29, v29, v10
	v_cndmask_b32_e32 v9, v9, v12, vcc_lo
	v_cndmask_b32_e32 v10, v10, v29, vcc_lo
	v_cmp_gt_u32_e32 vcc_lo, v80, v30
	ds_bpermute_b32 v12, v79, v9
	ds_bpermute_b32 v29, v79, v10
	s_waitcnt lgkmcnt(1)
	v_add_nc_u32_e32 v12, v9, v12
	s_waitcnt lgkmcnt(0)
	v_add_nc_u32_e32 v29, v10, v29
	v_cndmask_b32_e32 v9, v12, v9, vcc_lo
	v_cndmask_b32_e32 v10, v29, v10, vcc_lo
	v_cmp_gt_u32_e32 vcc_lo, v82, v30
	ds_bpermute_b32 v12, v81, v9
	ds_bpermute_b32 v29, v81, v10
	;; [unrolled: 9-line block ×3, first 2 shown]
	s_waitcnt lgkmcnt(1)
	v_add_nc_u32_e32 v12, v9, v12
	s_waitcnt lgkmcnt(0)
	v_add_nc_u32_e32 v29, v10, v29
	v_cndmask_b32_e32 v9, v12, v9, vcc_lo
	v_cndmask_b32_e32 v10, v29, v10, vcc_lo
	v_cmp_le_u32_e32 vcc_lo, v86, v30
	ds_bpermute_b32 v12, v85, v9
	ds_bpermute_b32 v29, v85, v10
	s_waitcnt lgkmcnt(1)
	v_cndmask_b32_e32 v12, 0, v12, vcc_lo
	s_waitcnt lgkmcnt(0)
	v_cndmask_b32_e32 v29, 0, v29, vcc_lo
	v_add3_u32 v9, v9, v7, v12
	v_add3_u32 v10, v10, v8, v29
.LBB2006_131:                           ;   in Loop: Header=BB2006_132 Depth=1
	s_and_b32 vcc_lo, exec_lo, s6
	s_cbranch_vccnz .LBB2006_137
.LBB2006_132:                           ; =>This Loop Header: Depth=1
                                        ;     Child Loop BB2006_135 Depth 2
	v_cmp_ne_u16_sdwa s6, v11, v77 src0_sel:BYTE_0 src1_sel:DWORD
	v_mov_b32_e32 v7, v9
	v_mov_b32_e32 v8, v10
                                        ; implicit-def: $vgpr11
                                        ; implicit-def: $vgpr9_vgpr10
	s_cmp_lg_u32 s6, exec_lo
	s_mov_b32 s6, -1
	s_cbranch_scc1 .LBB2006_131
; %bb.133:                              ;   in Loop: Header=BB2006_132 Depth=1
	v_lshlrev_b64 v[9:10], 4, v[27:28]
	v_add_co_u32 v29, vcc_lo, s36, v9
	v_add_co_ci_u32_e64 v30, null, s37, v10, vcc_lo
	;;#ASMSTART
	global_load_dwordx4 v[9:12], v[29:30] off glc dlc	
s_waitcnt vmcnt(0)
	;;#ASMEND
	v_cmp_eq_u16_sdwa s7, v11, v28 src0_sel:BYTE_0 src1_sel:DWORD
	s_and_saveexec_b32 s6, s7
	s_cbranch_execz .LBB2006_130
; %bb.134:                              ;   in Loop: Header=BB2006_132 Depth=1
	s_mov_b32 s7, 0
.LBB2006_135:                           ;   Parent Loop BB2006_132 Depth=1
                                        ; =>  This Inner Loop Header: Depth=2
	;;#ASMSTART
	global_load_dwordx4 v[9:12], v[29:30] off glc dlc	
s_waitcnt vmcnt(0)
	;;#ASMEND
	v_cmp_ne_u16_sdwa s8, v11, v28 src0_sel:BYTE_0 src1_sel:DWORD
	s_or_b32 s7, s8, s7
	s_andn2_b32 exec_lo, exec_lo, s7
	s_cbranch_execnz .LBB2006_135
	s_branch .LBB2006_129
.LBB2006_136:
                                        ; implicit-def: $vgpr25
                                        ; implicit-def: $vgpr7
                                        ; implicit-def: $vgpr26
	s_and_b32 vcc_lo, exec_lo, s4
	s_cbranch_vccnz .LBB2006_142
	s_branch .LBB2006_151
.LBB2006_137:
	s_and_saveexec_b32 s6, s3
	s_cbranch_execnz .LBB2006_379
; %bb.138:
	s_or_b32 exec_lo, exec_lo, s6
	s_and_saveexec_b32 s6, s3
	s_cbranch_execnz .LBB2006_380
.LBB2006_139:
	s_or_b32 exec_lo, exec_lo, s6
	s_and_b32 exec_lo, exec_lo, s0
.LBB2006_140:
	v_mov_b32_e32 v5, 0
	ds_write_b64 v5, v[7:8] offset:56
.LBB2006_141:
	s_or_b32 exec_lo, exec_lo, s4
	v_mov_b32_e32 v5, 0
	s_waitcnt lgkmcnt(0)
	s_barrier
	buffer_gl0_inv
	v_cndmask_b32_e64 v11, v75, v26, s3
	ds_read_b64 v[9:10], v5 offset:56
	s_waitcnt lgkmcnt(0)
	s_barrier
	buffer_gl0_inv
	ds_read_b128 v[5:8], v5 offset:13312
	v_cndmask_b32_e64 v12, v74, v25, s3
	v_add_nc_u32_e32 v11, v10, v11
	v_add_nc_u32_e32 v12, v9, v12
	v_cndmask_b32_e64 v25, v11, v10, s0
	v_cndmask_b32_e64 v26, v12, v9, s0
	s_branch .LBB2006_151
.LBB2006_142:
	s_waitcnt lgkmcnt(0)
	v_mov_b32_dpp v5, v72 row_shr:1 row_mask:0xf bank_mask:0xf
	v_mov_b32_dpp v6, v73 row_shr:1 row_mask:0xf bank_mask:0xf
	v_cmp_lt_u32_e32 vcc_lo, 3, v69
	v_add_nc_u32_e32 v5, v5, v72
	v_add_nc_u32_e32 v6, v6, v73
	v_cndmask_b32_e64 v5, v5, v72, s2
	v_cndmask_b32_e64 v6, v6, v73, s2
	s_mov_b32 s2, exec_lo
	v_mov_b32_dpp v7, v5 row_shr:2 row_mask:0xf bank_mask:0xf
	v_mov_b32_dpp v8, v6 row_shr:2 row_mask:0xf bank_mask:0xf
	v_add_nc_u32_e32 v7, v5, v7
	v_add_nc_u32_e32 v8, v6, v8
	v_cndmask_b32_e64 v5, v5, v7, s1
	v_cndmask_b32_e64 v6, v6, v8, s1
	v_mov_b32_dpp v7, v5 row_shr:4 row_mask:0xf bank_mask:0xf
	v_mov_b32_dpp v8, v6 row_shr:4 row_mask:0xf bank_mask:0xf
	v_add_nc_u32_e32 v7, v5, v7
	v_add_nc_u32_e32 v8, v6, v8
	v_cndmask_b32_e32 v7, v5, v7, vcc_lo
	v_cndmask_b32_e32 v6, v6, v8, vcc_lo
	v_cmp_lt_u32_e32 vcc_lo, 7, v69
	v_mov_b32_dpp v5, v7 row_shr:8 row_mask:0xf bank_mask:0xf
	v_mov_b32_dpp v8, v6 row_shr:8 row_mask:0xf bank_mask:0xf
	v_add_nc_u32_e32 v9, v7, v5
	v_add_nc_u32_e32 v5, v6, v8
	v_cndmask_b32_e32 v5, v6, v5, vcc_lo
	v_cndmask_b32_e32 v6, v7, v9, vcc_lo
	v_cmp_eq_u32_e32 vcc_lo, 0, v71
	ds_swizzle_b32 v7, v5 offset:swizzle(BROADCAST,32,15)
	ds_swizzle_b32 v8, v6 offset:swizzle(BROADCAST,32,15)
	s_waitcnt lgkmcnt(1)
	v_add_nc_u32_e32 v7, v5, v7
	s_waitcnt lgkmcnt(0)
	v_add_nc_u32_e32 v8, v6, v8
	v_cmpx_eq_u32_e64 v0, v70
	s_cbranch_execz .LBB2006_144
; %bb.143:
	v_cndmask_b32_e32 v9, v8, v6, vcc_lo
	v_cndmask_b32_e32 v10, v7, v5, vcc_lo
	v_lshlrev_b32_e32 v11, 3, v68
	ds_write_b64 v11, v[9:10]
.LBB2006_144:
	s_or_b32 exec_lo, exec_lo, s2
	s_mov_b32 s2, exec_lo
	s_waitcnt lgkmcnt(0)
	s_barrier
	buffer_gl0_inv
	v_cmpx_gt_u32_e32 8, v0
	s_cbranch_execz .LBB2006_146
; %bb.145:
	v_lshlrev_b32_e32 v11, 3, v0
	v_and_b32_e32 v26, 7, v67
	ds_read_b64 v[9:10], v11
	v_cmp_eq_u32_e64 s1, 0, v26
	s_waitcnt lgkmcnt(0)
	v_mov_b32_dpp v12, v9 row_shr:1 row_mask:0xf bank_mask:0xf
	v_mov_b32_dpp v25, v10 row_shr:1 row_mask:0xf bank_mask:0xf
	v_add_nc_u32_e32 v12, v12, v9
	v_add_nc_u32_e32 v25, v25, v10
	v_cndmask_b32_e64 v9, v12, v9, s1
	v_cndmask_b32_e64 v10, v25, v10, s1
	v_cmp_lt_u32_e64 s1, 1, v26
	v_mov_b32_dpp v12, v9 row_shr:2 row_mask:0xf bank_mask:0xf
	v_mov_b32_dpp v25, v10 row_shr:2 row_mask:0xf bank_mask:0xf
	v_add_nc_u32_e32 v12, v9, v12
	v_add_nc_u32_e32 v25, v10, v25
	v_cndmask_b32_e64 v9, v9, v12, s1
	v_cndmask_b32_e64 v10, v10, v25, s1
	v_cmp_lt_u32_e64 s1, 3, v26
	v_mov_b32_dpp v12, v9 row_shr:4 row_mask:0xf bank_mask:0xf
	v_mov_b32_dpp v25, v10 row_shr:4 row_mask:0xf bank_mask:0xf
	v_cndmask_b32_e64 v12, 0, v12, s1
	v_cndmask_b32_e64 v25, 0, v25, s1
	v_add_nc_u32_e32 v9, v12, v9
	v_add_nc_u32_e32 v10, v25, v10
	ds_write_b64 v11, v[9:10]
.LBB2006_146:
	s_or_b32 exec_lo, exec_lo, s2
	v_mov_b32_e32 v11, 0
	v_mov_b32_e32 v9, 0
	v_mov_b32_e32 v10, 0
	s_mov_b32 s2, exec_lo
	s_waitcnt lgkmcnt(0)
	s_barrier
	buffer_gl0_inv
	v_cmpx_lt_u32_e32 31, v0
; %bb.147:
	v_lshl_add_u32 v9, v68, 3, -8
	ds_read_b64 v[9:10], v9
; %bb.148:
	s_or_b32 exec_lo, exec_lo, s2
	v_sub_co_u32 v12, s1, v67, 1
	v_cndmask_b32_e32 v6, v8, v6, vcc_lo
	v_cndmask_b32_e32 v5, v7, v5, vcc_lo
	v_cmp_gt_i32_e64 s2, 0, v12
	s_waitcnt lgkmcnt(0)
	v_add_nc_u32_e32 v6, v9, v6
	v_add_nc_u32_e32 v5, v10, v5
	v_cndmask_b32_e64 v8, v12, v67, s2
	v_lshlrev_b32_e32 v7, 2, v8
	ds_bpermute_b32 v12, v7, v6
	ds_bpermute_b32 v25, v7, v5
	ds_read_b64 v[5:6], v11 offset:56
	s_and_saveexec_b32 s2, s0
	s_cbranch_execz .LBB2006_150
; %bb.149:
	s_add_u32 s6, s36, 0x200
	s_addc_u32 s7, s37, 0
	v_mov_b32_e32 v7, 2
	v_mov_b32_e32 v27, s7
	;; [unrolled: 1-line block ×4, first 2 shown]
	s_waitcnt lgkmcnt(0)
	;;#ASMSTART
	global_store_dwordx4 v[26:27], v[5:8] off	
s_waitcnt vmcnt(0)
	;;#ASMEND
.LBB2006_150:
	s_or_b32 exec_lo, exec_lo, s2
	s_waitcnt lgkmcnt(1)
	v_cndmask_b32_e64 v7, v25, v10, s1
	v_cndmask_b32_e64 v9, v12, v9, s1
	v_mov_b32_e32 v8, 0
	s_waitcnt lgkmcnt(0)
	s_barrier
	v_cndmask_b32_e64 v25, v7, 0, s0
	v_cndmask_b32_e64 v26, v9, 0, s0
	v_mov_b32_e32 v7, 0
	buffer_gl0_inv
.LBB2006_151:
	v_add_nc_u32_e32 v30, v25, v66
	v_add_nc_u32_e32 v29, v26, v65
	s_waitcnt lgkmcnt(0)
	v_sub_nc_u32_e32 v25, v25, v8
	v_lshrrev_b32_e32 v28, 8, v41
	v_lshlrev_b32_e32 v69, 1, v5
	v_add_nc_u32_e32 v63, v30, v63
	v_sub_nc_u32_e32 v30, v30, v8
	v_add_nc_u32_e32 v62, v29, v62
	v_sub_nc_u32_e32 v26, v26, v7
	;; [unrolled: 2-line block ×3, first 2 shown]
	v_add_nc_u32_e32 v30, v30, v5
	v_and_b32_e32 v28, 1, v28
	v_mov_b32_e32 v71, 1
	v_add3_u32 v34, v69, v6, v34
	v_add_nc_u32_e32 v75, v26, v25
	v_add_nc_u32_e32 v76, v30, v29
	v_add_co_u32 v1, vcc_lo, v1, v7
	v_add_co_ci_u32_e64 v2, null, 0, v2, vcc_lo
	v_sub_co_u32 v67, vcc_lo, v3, v5
	v_subrev_co_ci_u32_e64 v68, null, 0, v4, vcc_lo
	v_and_b32_sdwa v74, v71, v41 dst_sel:DWORD dst_unused:UNUSED_PAD src0_sel:DWORD src1_sel:WORD_1
	v_sub_nc_u32_e32 v76, v34, v76
	v_sub_nc_u32_e32 v75, v34, v75
	v_cmp_eq_u32_e32 vcc_lo, 1, v28
	v_lshrrev_b32_e32 v27, 8, v35
	v_add_nc_u32_e32 v65, v63, v48
	v_and_b32_e32 v70, 1, v35
	v_sub_nc_u32_e32 v63, v63, v8
	v_add_nc_u32_e32 v76, 1, v76
	v_cndmask_b32_e32 v25, v75, v25, vcc_lo
	v_cmp_eq_u32_e32 vcc_lo, 1, v74
	v_add_nc_u32_e32 v64, v62, v64
	v_and_b32_e32 v27, 1, v27
	v_sub_nc_u32_e32 v62, v62, v7
	v_add_nc_u32_e32 v63, v63, v5
	v_cndmask_b32_e32 v30, v76, v30, vcc_lo
	v_cmp_eq_u32_e32 vcc_lo, 1, v70
	v_and_b32_e32 v48, 1, v48
	v_add_nc_u32_e32 v61, v65, v61
	v_add_nc_u32_e32 v74, v63, v62
	v_and_b32_sdwa v35, v71, v35 dst_sel:DWORD dst_unused:UNUSED_PAD src0_sel:DWORD src1_sel:WORD_1
	v_cndmask_b32_e32 v70, v25, v26, vcc_lo
	v_cmp_eq_u32_e32 vcc_lo, 1, v27
	v_sub_nc_u32_e32 v65, v65, v8
	v_add_nc_u32_e32 v66, v64, v47
	v_add_nc_u32_e32 v60, v61, v60
	v_sub_nc_u32_e32 v61, v61, v8
	v_cndmask_b32_e32 v27, v30, v29, vcc_lo
	v_sub_nc_u32_e32 v29, v34, v74
	v_add_co_u32 v25, vcc_lo, v67, v8
	v_add_co_ci_u32_e64 v26, null, 0, v68, vcc_lo
	v_add_nc_u32_e32 v29, 2, v29
	v_cmp_eq_u32_e32 vcc_lo, 1, v48
	v_sub_nc_u32_e32 v48, v64, v7
	v_lshlrev_b32_e32 v30, 2, v70
	v_add_nc_u32_e32 v61, v61, v5
	v_lshlrev_b32_e32 v27, 2, v27
	v_cndmask_b32_e32 v29, v29, v63, vcc_lo
	v_add_nc_u32_e32 v63, v65, v5
	v_cmp_eq_u32_e32 vcc_lo, 1, v35
	v_sub_nc_u32_e32 v35, v66, v7
	v_lshrrev_b32_e32 v12, 8, v36
	ds_write_b32 v30, v23
	ds_write_b32 v27, v24
	v_and_b32_e32 v30, 1, v36
	v_cndmask_b32_e32 v29, v29, v62, vcc_lo
	v_add_nc_u32_e32 v62, v48, v63
	v_add_nc_u32_e32 v24, v35, v61
	;; [unrolled: 1-line block ×3, first 2 shown]
	v_and_b32_e32 v12, 1, v12
	v_lshlrev_b32_e32 v23, 2, v29
	v_sub_nc_u32_e32 v27, v34, v62
	v_and_b32_e32 v29, 1, v47
	v_sub_nc_u32_e32 v47, v60, v8
	v_sub_nc_u32_e32 v24, v34, v24
	v_cmp_eq_u32_e32 vcc_lo, 1, v30
	v_add_nc_u32_e32 v27, 3, v27
	v_add_nc_u32_e32 v57, v59, v57
	v_sub_nc_u32_e32 v59, v59, v7
	v_add_nc_u32_e32 v47, v47, v5
	v_add_nc_u32_e32 v24, 4, v24
	v_cndmask_b32_e32 v27, v27, v63, vcc_lo
	v_cmp_eq_u32_e32 vcc_lo, 1, v12
	v_add_nc_u32_e32 v58, v60, v58
	v_and_b32_e32 v30, 1, v37
	v_add_nc_u32_e32 v60, v59, v47
	v_lshrrev_b32_e32 v11, 8, v37
	v_cndmask_b32_e32 v12, v24, v61, vcc_lo
	v_cmp_eq_u32_e32 vcc_lo, 1, v29
	ds_write_b32 v23, v21
	v_and_b32_sdwa v23, v71, v36 dst_sel:DWORD dst_unused:UNUSED_PAD src0_sel:DWORD src1_sel:WORD_1
	v_add_nc_u32_e32 v72, v58, v46
	v_and_b32_e32 v11, 1, v11
	v_cndmask_b32_e32 v24, v27, v48, vcc_lo
	v_sub_nc_u32_e32 v27, v34, v60
	v_cmp_eq_u32_e32 vcc_lo, 1, v30
	v_add_nc_u32_e32 v52, v57, v52
	v_sub_nc_u32_e32 v29, v72, v8
	v_lshlrev_b32_e32 v21, 2, v24
	v_add_nc_u32_e32 v24, 5, v27
	v_cndmask_b32_e32 v12, v12, v35, vcc_lo
	v_sub_nc_u32_e32 v27, v58, v8
	v_cmp_eq_u32_e32 vcc_lo, 1, v23
	v_add_nc_u32_e32 v29, v29, v5
	v_add_nc_u32_e32 v56, v72, v56
	v_lshlrev_b32_e32 v12, 2, v12
	v_add_nc_u32_e32 v27, v27, v5
	v_cndmask_b32_e32 v23, v24, v47, vcc_lo
	v_sub_nc_u32_e32 v24, v57, v7
	v_cmp_eq_u32_e32 vcc_lo, 1, v11
	ds_write_b32 v21, v22
	ds_write_b32 v12, v19
	v_and_b32_e32 v22, 1, v46
	v_and_b32_e32 v35, 1, v38
	v_add_nc_u32_e32 v30, v24, v27
	v_cndmask_b32_e32 v11, v23, v59, vcc_lo
	v_sub_nc_u32_e32 v23, v52, v7
	v_cmp_eq_u32_e32 vcc_lo, 1, v22
	v_add_nc_u32_e32 v73, v52, v45
	v_sub_nc_u32_e32 v19, v34, v30
	v_sub_nc_u32_e32 v30, v56, v8
	v_add_nc_u32_e32 v12, v23, v29
	v_and_b32_sdwa v21, v71, v37 dst_sel:DWORD dst_unused:UNUSED_PAD src0_sel:DWORD src1_sel:WORD_1
	v_sub_nc_u32_e32 v36, v73, v7
	v_add_nc_u32_e32 v19, 6, v19
	v_add_nc_u32_e32 v30, v30, v5
	v_sub_nc_u32_e32 v12, v34, v12
	v_and_b32_e32 v22, 1, v45
	v_lshrrev_b32_e32 v10, 8, v38
	v_cndmask_b32_e32 v19, v19, v27, vcc_lo
	v_cmp_eq_u32_e32 vcc_lo, 1, v35
	v_add_nc_u32_e32 v12, 7, v12
	v_add_nc_u32_e32 v55, v56, v55
	;; [unrolled: 1-line block ×4, first 2 shown]
	v_and_b32_e32 v10, 1, v10
	v_cndmask_b32_e32 v12, v12, v29, vcc_lo
	v_cmp_eq_u32_e32 vcc_lo, 1, v21
	v_sub_nc_u32_e32 v21, v34, v27
	v_add_nc_u32_e32 v53, v55, v53
	v_lshlrev_b32_e32 v11, 2, v11
	v_add_nc_u32_e32 v51, v54, v51
	v_cndmask_b32_e32 v19, v19, v24, vcc_lo
	v_cmp_eq_u32_e32 vcc_lo, 1, v22
	v_sub_nc_u32_e32 v22, v55, v8
	v_add_nc_u32_e32 v21, 8, v21
	v_sub_nc_u32_e32 v24, v54, v7
	v_lshlrev_b32_e32 v19, 2, v19
	v_cndmask_b32_e32 v12, v12, v23, vcc_lo
	v_add_nc_u32_e32 v22, v22, v5
	v_cmp_eq_u32_e32 vcc_lo, 1, v10
	v_add_nc_u32_e32 v77, v53, v44
	v_and_b32_e32 v23, 1, v40
	v_lshlrev_b32_e32 v12, 2, v12
	ds_write_b32 v11, v20
	ds_write_b32 v19, v17
	;; [unrolled: 1-line block ×3, first 2 shown]
	v_cndmask_b32_e32 v10, v21, v30, vcc_lo
	v_add_nc_u32_e32 v21, v24, v22
	v_sub_nc_u32_e32 v12, v53, v8
	v_lshrrev_b32_e32 v9, 8, v40
	v_add_nc_u32_e32 v49, v51, v49
	v_cmp_eq_u32_e32 vcc_lo, 1, v23
	v_sub_nc_u32_e32 v11, v34, v21
	v_and_b32_sdwa v17, v71, v38 dst_sel:DWORD dst_unused:UNUSED_PAD src0_sel:DWORD src1_sel:WORD_1
	v_sub_nc_u32_e32 v18, v51, v7
	v_sub_nc_u32_e32 v19, v77, v8
	v_add_nc_u32_e32 v12, v12, v5
	v_cndmask_b32_e32 v10, v10, v36, vcc_lo
	v_and_b32_e32 v9, 1, v9
	v_add_nc_u32_e32 v11, 9, v11
	v_cmp_eq_u32_e32 vcc_lo, 1, v17
	v_sub_nc_u32_e32 v17, v49, v7
	v_add_nc_u32_e32 v19, v19, v5
	v_add_nc_u32_e32 v20, v18, v12
	;; [unrolled: 1-line block ×3, first 2 shown]
	v_cndmask_b32_e32 v11, v11, v22, vcc_lo
	v_cmp_eq_u32_e32 vcc_lo, 1, v9
	v_add_nc_u32_e32 v21, v17, v19
	v_sub_nc_u32_e32 v20, v34, v20
	v_and_b32_e32 v23, 1, v44
	v_add_nc_u32_e32 v50, v49, v43
	v_cndmask_b32_e32 v9, v11, v24, vcc_lo
	v_sub_nc_u32_e32 v11, v28, v8
	v_sub_nc_u32_e32 v21, v34, v21
	v_add_nc_u32_e32 v20, 10, v20
	v_and_b32_e32 v24, 1, v39
	v_cmp_eq_u32_e32 vcc_lo, 1, v23
	v_and_b32_sdwa v22, v71, v40 dst_sel:DWORD dst_unused:UNUSED_PAD src0_sel:DWORD src1_sel:WORD_1
	v_sub_nc_u32_e32 v7, v50, v7
	v_add_nc_u32_e32 v11, v11, v5
	v_add_nc_u32_e32 v21, 11, v21
	v_cndmask_b32_e32 v12, v20, v12, vcc_lo
	v_cmp_eq_u32_e32 vcc_lo, 1, v24
	v_and_b32_e32 v20, 1, v43
	v_add_nc_u32_e32 v27, v7, v11
	v_lshlrev_b32_e32 v10, 2, v10
	v_lshlrev_b32_e32 v9, 2, v9
	v_cndmask_b32_e32 v19, v21, v19, vcc_lo
	v_cmp_eq_u32_e32 vcc_lo, 1, v22
	v_sub_nc_u32_e32 v23, v34, v27
	v_cndmask_b32_e32 v12, v12, v18, vcc_lo
	v_and_b32_e32 v18, 1, v42
	v_cmp_eq_u32_e32 vcc_lo, 1, v20
	v_add_nc_u32_e32 v21, 12, v23
	v_lshlrev_b32_e32 v12, 2, v12
	v_cndmask_b32_e32 v17, v19, v17, vcc_lo
	v_and_b32_e32 v19, 1, v41
	v_cmp_eq_u32_e32 vcc_lo, 1, v18
	v_lshlrev_b32_e32 v17, 2, v17
	ds_write_b32 v10, v15
	ds_write_b32 v9, v16
	;; [unrolled: 1-line block ×4, first 2 shown]
	v_cndmask_b32_e32 v11, v21, v11, vcc_lo
	v_cmp_eq_u32_e32 vcc_lo, 1, v19
	v_add_co_u32 v9, s1, v6, v69
	v_add_co_ci_u32_e64 v10, null, 0, 0, s1
	v_cndmask_b32_e32 v7, v11, v7, vcc_lo
	v_add_co_u32 v11, s1, s34, v31
	v_add_co_ci_u32_e64 v12, null, s35, 0, s1
	v_lshlrev_b32_e32 v7, 2, v7
	v_add_nc_u32_e32 v14, v5, v6
	ds_write_b32 v7, v33
	v_add_co_u32 v7, vcc_lo, v9, v25
	v_add_co_ci_u32_e64 v9, null, v10, v26, vcc_lo
	s_waitcnt lgkmcnt(0)
	v_add_co_u32 v7, vcc_lo, v7, v1
	v_add_co_ci_u32_e64 v13, null, v9, v2, vcc_lo
	v_lshlrev_b64 v[9:10], 2, v[25:26]
	v_sub_co_u32 v7, vcc_lo, v11, v7
	v_sub_co_ci_u32_e64 v13, null, v12, v13, vcc_lo
	v_lshlrev_b64 v[11:12], 2, v[1:2]
	v_add_co_u32 v9, vcc_lo, s30, v9
	v_add_co_ci_u32_e64 v10, null, s31, v10, vcc_lo
	v_cmp_ne_u32_e32 vcc_lo, 1, v32
	v_add_co_u32 v11, s1, s28, v11
	v_add_co_ci_u32_e64 v12, null, s29, v12, s1
	s_mov_b32 s1, -1
	s_barrier
	buffer_gl0_inv
	s_cbranch_vccz .LBB2006_155
; %bb.152:
	s_and_b32 vcc_lo, exec_lo, s1
	s_cbranch_vccnz .LBB2006_260
.LBB2006_153:
	s_and_b32 s0, s0, s26
	s_and_saveexec_b32 s1, s0
	s_cbranch_execnz .LBB2006_378
.LBB2006_154:
	s_endpgm
.LBB2006_155:
	s_mov_b32 s1, exec_lo
	v_cmpx_ge_u32_e64 v0, v5
	s_xor_b32 s1, exec_lo, s1
	s_cbranch_execz .LBB2006_161
; %bb.156:
	s_mov_b32 s2, exec_lo
	v_cmpx_ge_u32_e64 v0, v14
	s_xor_b32 s2, exec_lo, s2
	s_cbranch_execz .LBB2006_158
; %bb.157:
	v_lshlrev_b32_e32 v15, 2, v0
	ds_read_b32 v17, v15
	v_add_co_u32 v15, vcc_lo, v7, v0
	v_add_co_ci_u32_e64 v16, null, 0, v13, vcc_lo
	v_lshlrev_b64 v[15:16], 2, v[15:16]
	v_sub_co_u32 v15, vcc_lo, s14, v15
	v_sub_co_ci_u32_e64 v16, null, s15, v16, vcc_lo
	s_waitcnt lgkmcnt(0)
	global_store_dword v[15:16], v17, off offset:-4
.LBB2006_158:
	s_andn2_saveexec_b32 s2, s2
	s_cbranch_execz .LBB2006_160
; %bb.159:
	v_lshlrev_b32_e32 v15, 2, v0
	v_readfirstlane_b32 s6, v9
	v_readfirstlane_b32 s7, v10
	ds_read_b32 v16, v15
	s_waitcnt lgkmcnt(0)
	global_store_dword v15, v16, s[6:7]
.LBB2006_160:
	s_or_b32 exec_lo, exec_lo, s2
.LBB2006_161:
	s_andn2_saveexec_b32 s1, s1
	s_cbranch_execz .LBB2006_163
; %bb.162:
	v_lshlrev_b32_e32 v15, 2, v0
	v_readfirstlane_b32 s2, v11
	v_readfirstlane_b32 s3, v12
	ds_read_b32 v16, v15
	s_waitcnt lgkmcnt(0)
	global_store_dword v15, v16, s[2:3]
.LBB2006_163:
	s_or_b32 exec_lo, exec_lo, s1
	v_or_b32_e32 v15, 0x100, v0
	s_mov_b32 s1, exec_lo
	v_cmpx_ge_u32_e64 v15, v5
	s_xor_b32 s1, exec_lo, s1
	s_cbranch_execz .LBB2006_169
; %bb.164:
	s_mov_b32 s2, exec_lo
	v_cmpx_ge_u32_e64 v15, v14
	s_xor_b32 s2, exec_lo, s2
	s_cbranch_execz .LBB2006_166
; %bb.165:
	v_lshlrev_b32_e32 v15, 2, v0
	ds_read_b32 v17, v15 offset:1024
	v_add_co_u32 v15, vcc_lo, v7, v0
	v_add_co_ci_u32_e64 v16, null, 0, v13, vcc_lo
	v_lshlrev_b64 v[15:16], 2, v[15:16]
	v_sub_co_u32 v15, vcc_lo, s14, v15
	v_sub_co_ci_u32_e64 v16, null, s15, v16, vcc_lo
	s_waitcnt lgkmcnt(0)
	global_store_dword v[15:16], v17, off offset:-1028
.LBB2006_166:
	s_andn2_saveexec_b32 s2, s2
	s_cbranch_execz .LBB2006_168
; %bb.167:
	v_lshlrev_b32_e32 v15, 2, v0
	v_readfirstlane_b32 s6, v9
	v_readfirstlane_b32 s7, v10
	ds_read_b32 v16, v15 offset:1024
	s_waitcnt lgkmcnt(0)
	global_store_dword v15, v16, s[6:7] offset:1024
.LBB2006_168:
	s_or_b32 exec_lo, exec_lo, s2
.LBB2006_169:
	s_andn2_saveexec_b32 s1, s1
	s_cbranch_execz .LBB2006_171
; %bb.170:
	v_lshlrev_b32_e32 v15, 2, v0
	v_readfirstlane_b32 s2, v11
	v_readfirstlane_b32 s3, v12
	ds_read_b32 v16, v15 offset:1024
	s_waitcnt lgkmcnt(0)
	global_store_dword v15, v16, s[2:3] offset:1024
.LBB2006_171:
	s_or_b32 exec_lo, exec_lo, s1
	v_or_b32_e32 v15, 0x200, v0
	s_mov_b32 s1, exec_lo
	v_cmpx_ge_u32_e64 v15, v5
	s_xor_b32 s1, exec_lo, s1
	s_cbranch_execz .LBB2006_177
; %bb.172:
	s_mov_b32 s2, exec_lo
	v_cmpx_ge_u32_e64 v15, v14
	s_xor_b32 s2, exec_lo, s2
	s_cbranch_execz .LBB2006_174
; %bb.173:
	v_lshlrev_b32_e32 v17, 2, v0
	v_add_co_u32 v15, vcc_lo, v7, v0
	v_add_co_ci_u32_e64 v16, null, 0, v13, vcc_lo
	ds_read_b32 v17, v17 offset:2048
	v_lshlrev_b64 v[15:16], 2, v[15:16]
	v_sub_co_u32 v15, vcc_lo, s14, v15
	v_sub_co_ci_u32_e64 v16, null, s15, v16, vcc_lo
	v_add_co_u32 v15, vcc_lo, 0xfffff800, v15
	v_add_co_ci_u32_e64 v16, null, -1, v16, vcc_lo
	s_waitcnt lgkmcnt(0)
	global_store_dword v[15:16], v17, off offset:-4
                                        ; implicit-def: $vgpr15
.LBB2006_174:
	s_andn2_saveexec_b32 s2, s2
	s_cbranch_execz .LBB2006_176
; %bb.175:
	v_lshlrev_b32_e32 v16, 2, v0
	v_lshlrev_b32_e32 v15, 2, v15
	v_readfirstlane_b32 s6, v9
	v_readfirstlane_b32 s7, v10
	ds_read_b32 v16, v16 offset:2048
	s_waitcnt lgkmcnt(0)
	global_store_dword v15, v16, s[6:7]
.LBB2006_176:
	s_or_b32 exec_lo, exec_lo, s2
                                        ; implicit-def: $vgpr15
.LBB2006_177:
	s_andn2_saveexec_b32 s1, s1
	s_cbranch_execz .LBB2006_179
; %bb.178:
	v_lshlrev_b32_e32 v16, 2, v0
	v_lshlrev_b32_e32 v15, 2, v15
	v_readfirstlane_b32 s2, v11
	v_readfirstlane_b32 s3, v12
	ds_read_b32 v16, v16 offset:2048
	s_waitcnt lgkmcnt(0)
	global_store_dword v15, v16, s[2:3]
.LBB2006_179:
	s_or_b32 exec_lo, exec_lo, s1
	v_or_b32_e32 v15, 0x300, v0
	s_mov_b32 s1, exec_lo
	v_cmpx_ge_u32_e64 v15, v5
	s_xor_b32 s1, exec_lo, s1
	s_cbranch_execz .LBB2006_185
; %bb.180:
	s_mov_b32 s2, exec_lo
	v_cmpx_ge_u32_e64 v15, v14
	s_xor_b32 s2, exec_lo, s2
	s_cbranch_execz .LBB2006_182
; %bb.181:
	v_lshlrev_b32_e32 v16, 2, v0
	v_add_co_u32 v15, vcc_lo, v7, v15
	ds_read_b32 v17, v16 offset:3072
	v_add_co_ci_u32_e64 v16, null, 0, v13, vcc_lo
	v_lshlrev_b64 v[15:16], 2, v[15:16]
	v_sub_co_u32 v15, vcc_lo, s14, v15
	v_sub_co_ci_u32_e64 v16, null, s15, v16, vcc_lo
	s_waitcnt lgkmcnt(0)
	global_store_dword v[15:16], v17, off offset:-4
                                        ; implicit-def: $vgpr15
.LBB2006_182:
	s_andn2_saveexec_b32 s2, s2
	s_cbranch_execz .LBB2006_184
; %bb.183:
	v_lshlrev_b32_e32 v16, 2, v0
	v_lshlrev_b32_e32 v15, 2, v15
	v_readfirstlane_b32 s6, v9
	v_readfirstlane_b32 s7, v10
	ds_read_b32 v16, v16 offset:3072
	s_waitcnt lgkmcnt(0)
	global_store_dword v15, v16, s[6:7]
.LBB2006_184:
	s_or_b32 exec_lo, exec_lo, s2
                                        ; implicit-def: $vgpr15
.LBB2006_185:
	s_andn2_saveexec_b32 s1, s1
	s_cbranch_execz .LBB2006_187
; %bb.186:
	v_lshlrev_b32_e32 v16, 2, v0
	v_lshlrev_b32_e32 v15, 2, v15
	v_readfirstlane_b32 s2, v11
	v_readfirstlane_b32 s3, v12
	ds_read_b32 v16, v16 offset:3072
	s_waitcnt lgkmcnt(0)
	global_store_dword v15, v16, s[2:3]
.LBB2006_187:
	s_or_b32 exec_lo, exec_lo, s1
	v_or_b32_e32 v15, 0x400, v0
	s_mov_b32 s1, exec_lo
	v_cmpx_ge_u32_e64 v15, v5
	s_xor_b32 s1, exec_lo, s1
	s_cbranch_execz .LBB2006_193
; %bb.188:
	s_mov_b32 s2, exec_lo
	v_cmpx_ge_u32_e64 v15, v14
	s_xor_b32 s2, exec_lo, s2
	s_cbranch_execz .LBB2006_190
; %bb.189:
	v_lshlrev_b32_e32 v16, 2, v0
	v_add_co_u32 v15, vcc_lo, v7, v15
	ds_read_b32 v17, v16 offset:4096
	v_add_co_ci_u32_e64 v16, null, 0, v13, vcc_lo
	v_lshlrev_b64 v[15:16], 2, v[15:16]
	v_sub_co_u32 v15, vcc_lo, s14, v15
	v_sub_co_ci_u32_e64 v16, null, s15, v16, vcc_lo
	s_waitcnt lgkmcnt(0)
	global_store_dword v[15:16], v17, off offset:-4
                                        ; implicit-def: $vgpr15
.LBB2006_190:
	s_andn2_saveexec_b32 s2, s2
	s_cbranch_execz .LBB2006_192
; %bb.191:
	v_lshlrev_b32_e32 v16, 2, v0
	v_lshlrev_b32_e32 v15, 2, v15
	v_readfirstlane_b32 s6, v9
	v_readfirstlane_b32 s7, v10
	ds_read_b32 v16, v16 offset:4096
	s_waitcnt lgkmcnt(0)
	global_store_dword v15, v16, s[6:7]
.LBB2006_192:
	s_or_b32 exec_lo, exec_lo, s2
                                        ; implicit-def: $vgpr15
.LBB2006_193:
	;; [unrolled: 48-line block ×10, first 2 shown]
	s_andn2_saveexec_b32 s1, s1
	s_cbranch_execz .LBB2006_259
; %bb.258:
	v_lshlrev_b32_e32 v16, 2, v0
	v_lshlrev_b32_e32 v15, 2, v15
	v_readfirstlane_b32 s2, v11
	v_readfirstlane_b32 s3, v12
	ds_read_b32 v16, v16 offset:12288
	s_waitcnt lgkmcnt(0)
	global_store_dword v15, v16, s[2:3]
.LBB2006_259:
	s_or_b32 exec_lo, exec_lo, s1
	s_branch .LBB2006_153
.LBB2006_260:
	s_mov_b32 s1, exec_lo
	v_cmpx_gt_u32_e64 s5, v0
	s_cbranch_execz .LBB2006_269
; %bb.261:
	s_mov_b32 s2, exec_lo
	v_cmpx_ge_u32_e64 v0, v5
	s_xor_b32 s2, exec_lo, s2
	s_cbranch_execz .LBB2006_267
; %bb.262:
	s_mov_b32 s3, exec_lo
	v_cmpx_ge_u32_e64 v0, v14
	s_xor_b32 s3, exec_lo, s3
	s_cbranch_execz .LBB2006_264
; %bb.263:
	v_lshlrev_b32_e32 v15, 2, v0
	ds_read_b32 v17, v15
	v_add_co_u32 v15, vcc_lo, v7, v0
	v_add_co_ci_u32_e64 v16, null, 0, v13, vcc_lo
	v_lshlrev_b64 v[15:16], 2, v[15:16]
	v_sub_co_u32 v15, vcc_lo, s14, v15
	v_sub_co_ci_u32_e64 v16, null, s15, v16, vcc_lo
	s_waitcnt lgkmcnt(0)
	global_store_dword v[15:16], v17, off offset:-4
.LBB2006_264:
	s_andn2_saveexec_b32 s3, s3
	s_cbranch_execz .LBB2006_266
; %bb.265:
	v_lshlrev_b32_e32 v15, 2, v0
	v_readfirstlane_b32 s6, v9
	v_readfirstlane_b32 s7, v10
	ds_read_b32 v16, v15
	s_waitcnt lgkmcnt(0)
	global_store_dword v15, v16, s[6:7]
.LBB2006_266:
	s_or_b32 exec_lo, exec_lo, s3
.LBB2006_267:
	s_andn2_saveexec_b32 s2, s2
	s_cbranch_execz .LBB2006_269
; %bb.268:
	v_lshlrev_b32_e32 v15, 2, v0
	v_readfirstlane_b32 s2, v11
	v_readfirstlane_b32 s3, v12
	ds_read_b32 v16, v15
	s_waitcnt lgkmcnt(0)
	global_store_dword v15, v16, s[2:3]
.LBB2006_269:
	s_or_b32 exec_lo, exec_lo, s1
	v_or_b32_e32 v15, 0x100, v0
	s_mov_b32 s1, exec_lo
	v_cmpx_gt_u32_e64 s5, v15
	s_cbranch_execz .LBB2006_278
; %bb.270:
	s_mov_b32 s2, exec_lo
	v_cmpx_ge_u32_e64 v15, v5
	s_xor_b32 s2, exec_lo, s2
	s_cbranch_execz .LBB2006_276
; %bb.271:
	s_mov_b32 s3, exec_lo
	v_cmpx_ge_u32_e64 v15, v14
	s_xor_b32 s3, exec_lo, s3
	s_cbranch_execz .LBB2006_273
; %bb.272:
	v_lshlrev_b32_e32 v15, 2, v0
	ds_read_b32 v17, v15 offset:1024
	v_add_co_u32 v15, vcc_lo, v7, v0
	v_add_co_ci_u32_e64 v16, null, 0, v13, vcc_lo
	v_lshlrev_b64 v[15:16], 2, v[15:16]
	v_sub_co_u32 v15, vcc_lo, s14, v15
	v_sub_co_ci_u32_e64 v16, null, s15, v16, vcc_lo
	s_waitcnt lgkmcnt(0)
	global_store_dword v[15:16], v17, off offset:-1028
.LBB2006_273:
	s_andn2_saveexec_b32 s3, s3
	s_cbranch_execz .LBB2006_275
; %bb.274:
	v_lshlrev_b32_e32 v15, 2, v0
	v_readfirstlane_b32 s6, v9
	v_readfirstlane_b32 s7, v10
	ds_read_b32 v16, v15 offset:1024
	s_waitcnt lgkmcnt(0)
	global_store_dword v15, v16, s[6:7] offset:1024
.LBB2006_275:
	s_or_b32 exec_lo, exec_lo, s3
.LBB2006_276:
	s_andn2_saveexec_b32 s2, s2
	s_cbranch_execz .LBB2006_278
; %bb.277:
	v_lshlrev_b32_e32 v15, 2, v0
	v_readfirstlane_b32 s2, v11
	v_readfirstlane_b32 s3, v12
	ds_read_b32 v16, v15 offset:1024
	s_waitcnt lgkmcnt(0)
	global_store_dword v15, v16, s[2:3] offset:1024
.LBB2006_278:
	s_or_b32 exec_lo, exec_lo, s1
	v_or_b32_e32 v15, 0x200, v0
	s_mov_b32 s1, exec_lo
	v_cmpx_gt_u32_e64 s5, v15
	s_cbranch_execz .LBB2006_287
; %bb.279:
	s_mov_b32 s2, exec_lo
	v_cmpx_ge_u32_e64 v15, v5
	s_xor_b32 s2, exec_lo, s2
	s_cbranch_execz .LBB2006_285
; %bb.280:
	s_mov_b32 s3, exec_lo
	v_cmpx_ge_u32_e64 v15, v14
	s_xor_b32 s3, exec_lo, s3
	s_cbranch_execz .LBB2006_282
; %bb.281:
	v_lshlrev_b32_e32 v17, 2, v0
	v_add_co_u32 v15, vcc_lo, v7, v0
	v_add_co_ci_u32_e64 v16, null, 0, v13, vcc_lo
	ds_read_b32 v17, v17 offset:2048
	v_lshlrev_b64 v[15:16], 2, v[15:16]
	v_sub_co_u32 v15, vcc_lo, s14, v15
	v_sub_co_ci_u32_e64 v16, null, s15, v16, vcc_lo
	v_add_co_u32 v15, vcc_lo, 0xfffff800, v15
	v_add_co_ci_u32_e64 v16, null, -1, v16, vcc_lo
	s_waitcnt lgkmcnt(0)
	global_store_dword v[15:16], v17, off offset:-4
                                        ; implicit-def: $vgpr15
.LBB2006_282:
	s_andn2_saveexec_b32 s3, s3
	s_cbranch_execz .LBB2006_284
; %bb.283:
	v_lshlrev_b32_e32 v16, 2, v0
	v_lshlrev_b32_e32 v15, 2, v15
	v_readfirstlane_b32 s6, v9
	v_readfirstlane_b32 s7, v10
	ds_read_b32 v16, v16 offset:2048
	s_waitcnt lgkmcnt(0)
	global_store_dword v15, v16, s[6:7]
.LBB2006_284:
	s_or_b32 exec_lo, exec_lo, s3
                                        ; implicit-def: $vgpr15
.LBB2006_285:
	s_andn2_saveexec_b32 s2, s2
	s_cbranch_execz .LBB2006_287
; %bb.286:
	v_lshlrev_b32_e32 v16, 2, v0
	v_lshlrev_b32_e32 v15, 2, v15
	v_readfirstlane_b32 s2, v11
	v_readfirstlane_b32 s3, v12
	ds_read_b32 v16, v16 offset:2048
	s_waitcnt lgkmcnt(0)
	global_store_dword v15, v16, s[2:3]
.LBB2006_287:
	s_or_b32 exec_lo, exec_lo, s1
	v_or_b32_e32 v15, 0x300, v0
	s_mov_b32 s1, exec_lo
	v_cmpx_gt_u32_e64 s5, v15
	s_cbranch_execz .LBB2006_296
; %bb.288:
	s_mov_b32 s2, exec_lo
	v_cmpx_ge_u32_e64 v15, v5
	s_xor_b32 s2, exec_lo, s2
	s_cbranch_execz .LBB2006_294
; %bb.289:
	s_mov_b32 s3, exec_lo
	v_cmpx_ge_u32_e64 v15, v14
	s_xor_b32 s3, exec_lo, s3
	s_cbranch_execz .LBB2006_291
; %bb.290:
	v_lshlrev_b32_e32 v16, 2, v0
	v_add_co_u32 v15, vcc_lo, v7, v15
	ds_read_b32 v17, v16 offset:3072
	v_add_co_ci_u32_e64 v16, null, 0, v13, vcc_lo
	v_lshlrev_b64 v[15:16], 2, v[15:16]
	v_sub_co_u32 v15, vcc_lo, s14, v15
	v_sub_co_ci_u32_e64 v16, null, s15, v16, vcc_lo
	s_waitcnt lgkmcnt(0)
	global_store_dword v[15:16], v17, off offset:-4
                                        ; implicit-def: $vgpr15
.LBB2006_291:
	s_andn2_saveexec_b32 s3, s3
	s_cbranch_execz .LBB2006_293
; %bb.292:
	v_lshlrev_b32_e32 v16, 2, v0
	v_lshlrev_b32_e32 v15, 2, v15
	v_readfirstlane_b32 s6, v9
	v_readfirstlane_b32 s7, v10
	ds_read_b32 v16, v16 offset:3072
	s_waitcnt lgkmcnt(0)
	global_store_dword v15, v16, s[6:7]
.LBB2006_293:
	s_or_b32 exec_lo, exec_lo, s3
                                        ; implicit-def: $vgpr15
.LBB2006_294:
	s_andn2_saveexec_b32 s2, s2
	s_cbranch_execz .LBB2006_296
; %bb.295:
	v_lshlrev_b32_e32 v16, 2, v0
	v_lshlrev_b32_e32 v15, 2, v15
	v_readfirstlane_b32 s2, v11
	v_readfirstlane_b32 s3, v12
	ds_read_b32 v16, v16 offset:3072
	s_waitcnt lgkmcnt(0)
	global_store_dword v15, v16, s[2:3]
.LBB2006_296:
	s_or_b32 exec_lo, exec_lo, s1
	v_or_b32_e32 v15, 0x400, v0
	s_mov_b32 s1, exec_lo
	v_cmpx_gt_u32_e64 s5, v15
	s_cbranch_execz .LBB2006_305
; %bb.297:
	s_mov_b32 s2, exec_lo
	v_cmpx_ge_u32_e64 v15, v5
	s_xor_b32 s2, exec_lo, s2
	s_cbranch_execz .LBB2006_303
; %bb.298:
	s_mov_b32 s3, exec_lo
	v_cmpx_ge_u32_e64 v15, v14
	s_xor_b32 s3, exec_lo, s3
	s_cbranch_execz .LBB2006_300
; %bb.299:
	v_lshlrev_b32_e32 v16, 2, v0
	v_add_co_u32 v15, vcc_lo, v7, v15
	ds_read_b32 v17, v16 offset:4096
	v_add_co_ci_u32_e64 v16, null, 0, v13, vcc_lo
	v_lshlrev_b64 v[15:16], 2, v[15:16]
	v_sub_co_u32 v15, vcc_lo, s14, v15
	v_sub_co_ci_u32_e64 v16, null, s15, v16, vcc_lo
	s_waitcnt lgkmcnt(0)
	global_store_dword v[15:16], v17, off offset:-4
                                        ; implicit-def: $vgpr15
.LBB2006_300:
	s_andn2_saveexec_b32 s3, s3
	s_cbranch_execz .LBB2006_302
; %bb.301:
	v_lshlrev_b32_e32 v16, 2, v0
	v_lshlrev_b32_e32 v15, 2, v15
	v_readfirstlane_b32 s6, v9
	v_readfirstlane_b32 s7, v10
	ds_read_b32 v16, v16 offset:4096
	s_waitcnt lgkmcnt(0)
	global_store_dword v15, v16, s[6:7]
.LBB2006_302:
	s_or_b32 exec_lo, exec_lo, s3
                                        ; implicit-def: $vgpr15
.LBB2006_303:
	s_andn2_saveexec_b32 s2, s2
	s_cbranch_execz .LBB2006_305
; %bb.304:
	v_lshlrev_b32_e32 v16, 2, v0
	v_lshlrev_b32_e32 v15, 2, v15
	v_readfirstlane_b32 s2, v11
	v_readfirstlane_b32 s3, v12
	ds_read_b32 v16, v16 offset:4096
	s_waitcnt lgkmcnt(0)
	global_store_dword v15, v16, s[2:3]
.LBB2006_305:
	;; [unrolled: 52-line block ×9, first 2 shown]
	s_or_b32 exec_lo, exec_lo, s1
	v_or_b32_e32 v15, 0xc00, v0
	s_mov_b32 s1, exec_lo
	v_cmpx_gt_u32_e64 s5, v15
	s_cbranch_execz .LBB2006_377
; %bb.369:
	s_mov_b32 s2, exec_lo
	v_cmpx_ge_u32_e64 v15, v5
	s_xor_b32 s2, exec_lo, s2
	s_cbranch_execz .LBB2006_375
; %bb.370:
	s_mov_b32 s3, exec_lo
	v_cmpx_ge_u32_e64 v15, v14
	s_xor_b32 s3, exec_lo, s3
	s_cbranch_execz .LBB2006_372
; %bb.371:
	v_lshlrev_b32_e32 v0, 2, v0
	v_add_co_u32 v9, vcc_lo, v7, v15
	v_add_co_ci_u32_e64 v10, null, 0, v13, vcc_lo
	ds_read_b32 v0, v0 offset:12288
                                        ; implicit-def: $vgpr15
	v_lshlrev_b64 v[9:10], 2, v[9:10]
	v_sub_co_u32 v9, vcc_lo, s14, v9
	v_sub_co_ci_u32_e64 v10, null, s15, v10, vcc_lo
	s_waitcnt lgkmcnt(0)
	global_store_dword v[9:10], v0, off offset:-4
                                        ; implicit-def: $vgpr0
                                        ; implicit-def: $vgpr9_vgpr10
.LBB2006_372:
	s_andn2_saveexec_b32 s3, s3
	s_cbranch_execz .LBB2006_374
; %bb.373:
	v_lshlrev_b32_e32 v0, 2, v0
	v_lshlrev_b32_e32 v7, 2, v15
	v_readfirstlane_b32 s4, v9
	v_readfirstlane_b32 s5, v10
	ds_read_b32 v0, v0 offset:12288
	s_waitcnt lgkmcnt(0)
	global_store_dword v7, v0, s[4:5]
.LBB2006_374:
	s_or_b32 exec_lo, exec_lo, s3
                                        ; implicit-def: $vgpr0
                                        ; implicit-def: $vgpr15
                                        ; implicit-def: $vgpr11_vgpr12
.LBB2006_375:
	s_andn2_saveexec_b32 s2, s2
	s_cbranch_execz .LBB2006_377
; %bb.376:
	v_lshlrev_b32_e32 v0, 2, v0
	v_lshlrev_b32_e32 v7, 2, v15
	v_readfirstlane_b32 s2, v11
	v_readfirstlane_b32 s3, v12
	ds_read_b32 v0, v0 offset:12288
	s_waitcnt lgkmcnt(0)
	global_store_dword v7, v0, s[2:3]
.LBB2006_377:
	s_or_b32 exec_lo, exec_lo, s1
	s_and_b32 s0, s0, s26
	s_and_saveexec_b32 s1, s0
	s_cbranch_execz .LBB2006_154
.LBB2006_378:
	v_add_co_u32 v0, vcc_lo, v3, v6
	v_add_co_ci_u32_e64 v4, null, 0, v4, vcc_lo
	v_mov_b32_e32 v6, 0
	v_add_co_u32 v3, vcc_lo, v0, v8
	v_add_co_ci_u32_e64 v4, null, 0, v4, vcc_lo
	v_add_co_u32 v1, vcc_lo, v1, v5
	v_add_co_ci_u32_e64 v2, null, 0, v2, vcc_lo
	global_store_dwordx4 v6, v[1:4], s[24:25]
	s_endpgm
.LBB2006_379:
	s_add_i32 s8, s27, 32
	s_mov_b32 s9, 0
	v_add_nc_u32_e32 v10, v8, v6
	s_lshl_b64 s[8:9], s[8:9], 4
	v_add_nc_u32_e32 v9, v7, v5
	s_add_u32 s8, s36, s8
	s_addc_u32 s9, s37, s9
	v_mov_b32_e32 v11, 2
	v_mov_b32_e32 v28, s9
	;; [unrolled: 1-line block ×4, first 2 shown]
	;;#ASMSTART
	global_store_dwordx4 v[27:28], v[9:12] off	
s_waitcnt vmcnt(0)
	;;#ASMEND
	s_or_b32 exec_lo, exec_lo, s6
	s_and_saveexec_b32 s6, s3
	s_cbranch_execz .LBB2006_139
.LBB2006_380:
	v_mov_b32_e32 v9, 0
	ds_write_b128 v9, v[5:8] offset:13312
	s_or_b32 exec_lo, exec_lo, s6
	s_and_b32 exec_lo, exec_lo, s0
	s_cbranch_execnz .LBB2006_140
	s_branch .LBB2006_141
	.section	.rodata,"a",@progbits
	.p2align	6, 0x0
	.amdhsa_kernel _ZN7rocprim17ROCPRIM_400000_NS6detail17trampoline_kernelINS0_13select_configILj256ELj13ELNS0_17block_load_methodE3ELS4_3ELS4_3ELNS0_20block_scan_algorithmE0ELj4294967295EEENS1_25partition_config_selectorILNS1_17partition_subalgoE4EjNS0_10empty_typeEbEEZZNS1_14partition_implILS8_4ELb0ES6_15HIP_vector_typeIjLj2EENS0_17counting_iteratorIjlEEPS9_SG_NS0_5tupleIJPjSI_NS0_16reverse_iteratorISI_EEEEENSH_IJSG_SG_SG_EEES9_SI_JZNS1_25segmented_radix_sort_implINS0_14default_configELb0EPK12hip_bfloat16PSP_PKlPlN2at6native12_GLOBAL__N_18offset_tEEE10hipError_tPvRmT1_PNSt15iterator_traitsIS13_E10value_typeET2_T3_PNS14_IS19_E10value_typeET4_jRbjT5_S1F_jjP12ihipStream_tbEUljE_ZNSN_ISO_Lb0ESR_SS_SU_SV_SZ_EES10_S11_S12_S13_S17_S18_S19_S1C_S1D_jS1E_jS1F_S1F_jjS1H_bEUljE0_EEES10_S11_S12_S19_S1D_S1F_T6_T7_T9_mT8_S1H_bDpT10_ENKUlT_T0_E_clISt17integral_constantIbLb0EES1U_IbLb1EEEEDaS1Q_S1R_EUlS1Q_E_NS1_11comp_targetILNS1_3genE8ELNS1_11target_archE1030ELNS1_3gpuE2ELNS1_3repE0EEENS1_30default_config_static_selectorELNS0_4arch9wavefront6targetE0EEEvS13_
		.amdhsa_group_segment_fixed_size 13328
		.amdhsa_private_segment_fixed_size 0
		.amdhsa_kernarg_size 184
		.amdhsa_user_sgpr_count 6
		.amdhsa_user_sgpr_private_segment_buffer 1
		.amdhsa_user_sgpr_dispatch_ptr 0
		.amdhsa_user_sgpr_queue_ptr 0
		.amdhsa_user_sgpr_kernarg_segment_ptr 1
		.amdhsa_user_sgpr_dispatch_id 0
		.amdhsa_user_sgpr_flat_scratch_init 0
		.amdhsa_user_sgpr_private_segment_size 0
		.amdhsa_wavefront_size32 1
		.amdhsa_uses_dynamic_stack 0
		.amdhsa_system_sgpr_private_segment_wavefront_offset 0
		.amdhsa_system_sgpr_workgroup_id_x 1
		.amdhsa_system_sgpr_workgroup_id_y 0
		.amdhsa_system_sgpr_workgroup_id_z 0
		.amdhsa_system_sgpr_workgroup_info 0
		.amdhsa_system_vgpr_workitem_id 0
		.amdhsa_next_free_vgpr 87
		.amdhsa_next_free_sgpr 55
		.amdhsa_reserve_vcc 1
		.amdhsa_reserve_flat_scratch 0
		.amdhsa_float_round_mode_32 0
		.amdhsa_float_round_mode_16_64 0
		.amdhsa_float_denorm_mode_32 3
		.amdhsa_float_denorm_mode_16_64 3
		.amdhsa_dx10_clamp 1
		.amdhsa_ieee_mode 1
		.amdhsa_fp16_overflow 0
		.amdhsa_workgroup_processor_mode 1
		.amdhsa_memory_ordered 1
		.amdhsa_forward_progress 1
		.amdhsa_shared_vgpr_count 0
		.amdhsa_exception_fp_ieee_invalid_op 0
		.amdhsa_exception_fp_denorm_src 0
		.amdhsa_exception_fp_ieee_div_zero 0
		.amdhsa_exception_fp_ieee_overflow 0
		.amdhsa_exception_fp_ieee_underflow 0
		.amdhsa_exception_fp_ieee_inexact 0
		.amdhsa_exception_int_div_zero 0
	.end_amdhsa_kernel
	.section	.text._ZN7rocprim17ROCPRIM_400000_NS6detail17trampoline_kernelINS0_13select_configILj256ELj13ELNS0_17block_load_methodE3ELS4_3ELS4_3ELNS0_20block_scan_algorithmE0ELj4294967295EEENS1_25partition_config_selectorILNS1_17partition_subalgoE4EjNS0_10empty_typeEbEEZZNS1_14partition_implILS8_4ELb0ES6_15HIP_vector_typeIjLj2EENS0_17counting_iteratorIjlEEPS9_SG_NS0_5tupleIJPjSI_NS0_16reverse_iteratorISI_EEEEENSH_IJSG_SG_SG_EEES9_SI_JZNS1_25segmented_radix_sort_implINS0_14default_configELb0EPK12hip_bfloat16PSP_PKlPlN2at6native12_GLOBAL__N_18offset_tEEE10hipError_tPvRmT1_PNSt15iterator_traitsIS13_E10value_typeET2_T3_PNS14_IS19_E10value_typeET4_jRbjT5_S1F_jjP12ihipStream_tbEUljE_ZNSN_ISO_Lb0ESR_SS_SU_SV_SZ_EES10_S11_S12_S13_S17_S18_S19_S1C_S1D_jS1E_jS1F_S1F_jjS1H_bEUljE0_EEES10_S11_S12_S19_S1D_S1F_T6_T7_T9_mT8_S1H_bDpT10_ENKUlT_T0_E_clISt17integral_constantIbLb0EES1U_IbLb1EEEEDaS1Q_S1R_EUlS1Q_E_NS1_11comp_targetILNS1_3genE8ELNS1_11target_archE1030ELNS1_3gpuE2ELNS1_3repE0EEENS1_30default_config_static_selectorELNS0_4arch9wavefront6targetE0EEEvS13_,"axG",@progbits,_ZN7rocprim17ROCPRIM_400000_NS6detail17trampoline_kernelINS0_13select_configILj256ELj13ELNS0_17block_load_methodE3ELS4_3ELS4_3ELNS0_20block_scan_algorithmE0ELj4294967295EEENS1_25partition_config_selectorILNS1_17partition_subalgoE4EjNS0_10empty_typeEbEEZZNS1_14partition_implILS8_4ELb0ES6_15HIP_vector_typeIjLj2EENS0_17counting_iteratorIjlEEPS9_SG_NS0_5tupleIJPjSI_NS0_16reverse_iteratorISI_EEEEENSH_IJSG_SG_SG_EEES9_SI_JZNS1_25segmented_radix_sort_implINS0_14default_configELb0EPK12hip_bfloat16PSP_PKlPlN2at6native12_GLOBAL__N_18offset_tEEE10hipError_tPvRmT1_PNSt15iterator_traitsIS13_E10value_typeET2_T3_PNS14_IS19_E10value_typeET4_jRbjT5_S1F_jjP12ihipStream_tbEUljE_ZNSN_ISO_Lb0ESR_SS_SU_SV_SZ_EES10_S11_S12_S13_S17_S18_S19_S1C_S1D_jS1E_jS1F_S1F_jjS1H_bEUljE0_EEES10_S11_S12_S19_S1D_S1F_T6_T7_T9_mT8_S1H_bDpT10_ENKUlT_T0_E_clISt17integral_constantIbLb0EES1U_IbLb1EEEEDaS1Q_S1R_EUlS1Q_E_NS1_11comp_targetILNS1_3genE8ELNS1_11target_archE1030ELNS1_3gpuE2ELNS1_3repE0EEENS1_30default_config_static_selectorELNS0_4arch9wavefront6targetE0EEEvS13_,comdat
.Lfunc_end2006:
	.size	_ZN7rocprim17ROCPRIM_400000_NS6detail17trampoline_kernelINS0_13select_configILj256ELj13ELNS0_17block_load_methodE3ELS4_3ELS4_3ELNS0_20block_scan_algorithmE0ELj4294967295EEENS1_25partition_config_selectorILNS1_17partition_subalgoE4EjNS0_10empty_typeEbEEZZNS1_14partition_implILS8_4ELb0ES6_15HIP_vector_typeIjLj2EENS0_17counting_iteratorIjlEEPS9_SG_NS0_5tupleIJPjSI_NS0_16reverse_iteratorISI_EEEEENSH_IJSG_SG_SG_EEES9_SI_JZNS1_25segmented_radix_sort_implINS0_14default_configELb0EPK12hip_bfloat16PSP_PKlPlN2at6native12_GLOBAL__N_18offset_tEEE10hipError_tPvRmT1_PNSt15iterator_traitsIS13_E10value_typeET2_T3_PNS14_IS19_E10value_typeET4_jRbjT5_S1F_jjP12ihipStream_tbEUljE_ZNSN_ISO_Lb0ESR_SS_SU_SV_SZ_EES10_S11_S12_S13_S17_S18_S19_S1C_S1D_jS1E_jS1F_S1F_jjS1H_bEUljE0_EEES10_S11_S12_S19_S1D_S1F_T6_T7_T9_mT8_S1H_bDpT10_ENKUlT_T0_E_clISt17integral_constantIbLb0EES1U_IbLb1EEEEDaS1Q_S1R_EUlS1Q_E_NS1_11comp_targetILNS1_3genE8ELNS1_11target_archE1030ELNS1_3gpuE2ELNS1_3repE0EEENS1_30default_config_static_selectorELNS0_4arch9wavefront6targetE0EEEvS13_, .Lfunc_end2006-_ZN7rocprim17ROCPRIM_400000_NS6detail17trampoline_kernelINS0_13select_configILj256ELj13ELNS0_17block_load_methodE3ELS4_3ELS4_3ELNS0_20block_scan_algorithmE0ELj4294967295EEENS1_25partition_config_selectorILNS1_17partition_subalgoE4EjNS0_10empty_typeEbEEZZNS1_14partition_implILS8_4ELb0ES6_15HIP_vector_typeIjLj2EENS0_17counting_iteratorIjlEEPS9_SG_NS0_5tupleIJPjSI_NS0_16reverse_iteratorISI_EEEEENSH_IJSG_SG_SG_EEES9_SI_JZNS1_25segmented_radix_sort_implINS0_14default_configELb0EPK12hip_bfloat16PSP_PKlPlN2at6native12_GLOBAL__N_18offset_tEEE10hipError_tPvRmT1_PNSt15iterator_traitsIS13_E10value_typeET2_T3_PNS14_IS19_E10value_typeET4_jRbjT5_S1F_jjP12ihipStream_tbEUljE_ZNSN_ISO_Lb0ESR_SS_SU_SV_SZ_EES10_S11_S12_S13_S17_S18_S19_S1C_S1D_jS1E_jS1F_S1F_jjS1H_bEUljE0_EEES10_S11_S12_S19_S1D_S1F_T6_T7_T9_mT8_S1H_bDpT10_ENKUlT_T0_E_clISt17integral_constantIbLb0EES1U_IbLb1EEEEDaS1Q_S1R_EUlS1Q_E_NS1_11comp_targetILNS1_3genE8ELNS1_11target_archE1030ELNS1_3gpuE2ELNS1_3repE0EEENS1_30default_config_static_selectorELNS0_4arch9wavefront6targetE0EEEvS13_
                                        ; -- End function
	.set _ZN7rocprim17ROCPRIM_400000_NS6detail17trampoline_kernelINS0_13select_configILj256ELj13ELNS0_17block_load_methodE3ELS4_3ELS4_3ELNS0_20block_scan_algorithmE0ELj4294967295EEENS1_25partition_config_selectorILNS1_17partition_subalgoE4EjNS0_10empty_typeEbEEZZNS1_14partition_implILS8_4ELb0ES6_15HIP_vector_typeIjLj2EENS0_17counting_iteratorIjlEEPS9_SG_NS0_5tupleIJPjSI_NS0_16reverse_iteratorISI_EEEEENSH_IJSG_SG_SG_EEES9_SI_JZNS1_25segmented_radix_sort_implINS0_14default_configELb0EPK12hip_bfloat16PSP_PKlPlN2at6native12_GLOBAL__N_18offset_tEEE10hipError_tPvRmT1_PNSt15iterator_traitsIS13_E10value_typeET2_T3_PNS14_IS19_E10value_typeET4_jRbjT5_S1F_jjP12ihipStream_tbEUljE_ZNSN_ISO_Lb0ESR_SS_SU_SV_SZ_EES10_S11_S12_S13_S17_S18_S19_S1C_S1D_jS1E_jS1F_S1F_jjS1H_bEUljE0_EEES10_S11_S12_S19_S1D_S1F_T6_T7_T9_mT8_S1H_bDpT10_ENKUlT_T0_E_clISt17integral_constantIbLb0EES1U_IbLb1EEEEDaS1Q_S1R_EUlS1Q_E_NS1_11comp_targetILNS1_3genE8ELNS1_11target_archE1030ELNS1_3gpuE2ELNS1_3repE0EEENS1_30default_config_static_selectorELNS0_4arch9wavefront6targetE0EEEvS13_.num_vgpr, 87
	.set _ZN7rocprim17ROCPRIM_400000_NS6detail17trampoline_kernelINS0_13select_configILj256ELj13ELNS0_17block_load_methodE3ELS4_3ELS4_3ELNS0_20block_scan_algorithmE0ELj4294967295EEENS1_25partition_config_selectorILNS1_17partition_subalgoE4EjNS0_10empty_typeEbEEZZNS1_14partition_implILS8_4ELb0ES6_15HIP_vector_typeIjLj2EENS0_17counting_iteratorIjlEEPS9_SG_NS0_5tupleIJPjSI_NS0_16reverse_iteratorISI_EEEEENSH_IJSG_SG_SG_EEES9_SI_JZNS1_25segmented_radix_sort_implINS0_14default_configELb0EPK12hip_bfloat16PSP_PKlPlN2at6native12_GLOBAL__N_18offset_tEEE10hipError_tPvRmT1_PNSt15iterator_traitsIS13_E10value_typeET2_T3_PNS14_IS19_E10value_typeET4_jRbjT5_S1F_jjP12ihipStream_tbEUljE_ZNSN_ISO_Lb0ESR_SS_SU_SV_SZ_EES10_S11_S12_S13_S17_S18_S19_S1C_S1D_jS1E_jS1F_S1F_jjS1H_bEUljE0_EEES10_S11_S12_S19_S1D_S1F_T6_T7_T9_mT8_S1H_bDpT10_ENKUlT_T0_E_clISt17integral_constantIbLb0EES1U_IbLb1EEEEDaS1Q_S1R_EUlS1Q_E_NS1_11comp_targetILNS1_3genE8ELNS1_11target_archE1030ELNS1_3gpuE2ELNS1_3repE0EEENS1_30default_config_static_selectorELNS0_4arch9wavefront6targetE0EEEvS13_.num_agpr, 0
	.set _ZN7rocprim17ROCPRIM_400000_NS6detail17trampoline_kernelINS0_13select_configILj256ELj13ELNS0_17block_load_methodE3ELS4_3ELS4_3ELNS0_20block_scan_algorithmE0ELj4294967295EEENS1_25partition_config_selectorILNS1_17partition_subalgoE4EjNS0_10empty_typeEbEEZZNS1_14partition_implILS8_4ELb0ES6_15HIP_vector_typeIjLj2EENS0_17counting_iteratorIjlEEPS9_SG_NS0_5tupleIJPjSI_NS0_16reverse_iteratorISI_EEEEENSH_IJSG_SG_SG_EEES9_SI_JZNS1_25segmented_radix_sort_implINS0_14default_configELb0EPK12hip_bfloat16PSP_PKlPlN2at6native12_GLOBAL__N_18offset_tEEE10hipError_tPvRmT1_PNSt15iterator_traitsIS13_E10value_typeET2_T3_PNS14_IS19_E10value_typeET4_jRbjT5_S1F_jjP12ihipStream_tbEUljE_ZNSN_ISO_Lb0ESR_SS_SU_SV_SZ_EES10_S11_S12_S13_S17_S18_S19_S1C_S1D_jS1E_jS1F_S1F_jjS1H_bEUljE0_EEES10_S11_S12_S19_S1D_S1F_T6_T7_T9_mT8_S1H_bDpT10_ENKUlT_T0_E_clISt17integral_constantIbLb0EES1U_IbLb1EEEEDaS1Q_S1R_EUlS1Q_E_NS1_11comp_targetILNS1_3genE8ELNS1_11target_archE1030ELNS1_3gpuE2ELNS1_3repE0EEENS1_30default_config_static_selectorELNS0_4arch9wavefront6targetE0EEEvS13_.numbered_sgpr, 55
	.set _ZN7rocprim17ROCPRIM_400000_NS6detail17trampoline_kernelINS0_13select_configILj256ELj13ELNS0_17block_load_methodE3ELS4_3ELS4_3ELNS0_20block_scan_algorithmE0ELj4294967295EEENS1_25partition_config_selectorILNS1_17partition_subalgoE4EjNS0_10empty_typeEbEEZZNS1_14partition_implILS8_4ELb0ES6_15HIP_vector_typeIjLj2EENS0_17counting_iteratorIjlEEPS9_SG_NS0_5tupleIJPjSI_NS0_16reverse_iteratorISI_EEEEENSH_IJSG_SG_SG_EEES9_SI_JZNS1_25segmented_radix_sort_implINS0_14default_configELb0EPK12hip_bfloat16PSP_PKlPlN2at6native12_GLOBAL__N_18offset_tEEE10hipError_tPvRmT1_PNSt15iterator_traitsIS13_E10value_typeET2_T3_PNS14_IS19_E10value_typeET4_jRbjT5_S1F_jjP12ihipStream_tbEUljE_ZNSN_ISO_Lb0ESR_SS_SU_SV_SZ_EES10_S11_S12_S13_S17_S18_S19_S1C_S1D_jS1E_jS1F_S1F_jjS1H_bEUljE0_EEES10_S11_S12_S19_S1D_S1F_T6_T7_T9_mT8_S1H_bDpT10_ENKUlT_T0_E_clISt17integral_constantIbLb0EES1U_IbLb1EEEEDaS1Q_S1R_EUlS1Q_E_NS1_11comp_targetILNS1_3genE8ELNS1_11target_archE1030ELNS1_3gpuE2ELNS1_3repE0EEENS1_30default_config_static_selectorELNS0_4arch9wavefront6targetE0EEEvS13_.num_named_barrier, 0
	.set _ZN7rocprim17ROCPRIM_400000_NS6detail17trampoline_kernelINS0_13select_configILj256ELj13ELNS0_17block_load_methodE3ELS4_3ELS4_3ELNS0_20block_scan_algorithmE0ELj4294967295EEENS1_25partition_config_selectorILNS1_17partition_subalgoE4EjNS0_10empty_typeEbEEZZNS1_14partition_implILS8_4ELb0ES6_15HIP_vector_typeIjLj2EENS0_17counting_iteratorIjlEEPS9_SG_NS0_5tupleIJPjSI_NS0_16reverse_iteratorISI_EEEEENSH_IJSG_SG_SG_EEES9_SI_JZNS1_25segmented_radix_sort_implINS0_14default_configELb0EPK12hip_bfloat16PSP_PKlPlN2at6native12_GLOBAL__N_18offset_tEEE10hipError_tPvRmT1_PNSt15iterator_traitsIS13_E10value_typeET2_T3_PNS14_IS19_E10value_typeET4_jRbjT5_S1F_jjP12ihipStream_tbEUljE_ZNSN_ISO_Lb0ESR_SS_SU_SV_SZ_EES10_S11_S12_S13_S17_S18_S19_S1C_S1D_jS1E_jS1F_S1F_jjS1H_bEUljE0_EEES10_S11_S12_S19_S1D_S1F_T6_T7_T9_mT8_S1H_bDpT10_ENKUlT_T0_E_clISt17integral_constantIbLb0EES1U_IbLb1EEEEDaS1Q_S1R_EUlS1Q_E_NS1_11comp_targetILNS1_3genE8ELNS1_11target_archE1030ELNS1_3gpuE2ELNS1_3repE0EEENS1_30default_config_static_selectorELNS0_4arch9wavefront6targetE0EEEvS13_.private_seg_size, 0
	.set _ZN7rocprim17ROCPRIM_400000_NS6detail17trampoline_kernelINS0_13select_configILj256ELj13ELNS0_17block_load_methodE3ELS4_3ELS4_3ELNS0_20block_scan_algorithmE0ELj4294967295EEENS1_25partition_config_selectorILNS1_17partition_subalgoE4EjNS0_10empty_typeEbEEZZNS1_14partition_implILS8_4ELb0ES6_15HIP_vector_typeIjLj2EENS0_17counting_iteratorIjlEEPS9_SG_NS0_5tupleIJPjSI_NS0_16reverse_iteratorISI_EEEEENSH_IJSG_SG_SG_EEES9_SI_JZNS1_25segmented_radix_sort_implINS0_14default_configELb0EPK12hip_bfloat16PSP_PKlPlN2at6native12_GLOBAL__N_18offset_tEEE10hipError_tPvRmT1_PNSt15iterator_traitsIS13_E10value_typeET2_T3_PNS14_IS19_E10value_typeET4_jRbjT5_S1F_jjP12ihipStream_tbEUljE_ZNSN_ISO_Lb0ESR_SS_SU_SV_SZ_EES10_S11_S12_S13_S17_S18_S19_S1C_S1D_jS1E_jS1F_S1F_jjS1H_bEUljE0_EEES10_S11_S12_S19_S1D_S1F_T6_T7_T9_mT8_S1H_bDpT10_ENKUlT_T0_E_clISt17integral_constantIbLb0EES1U_IbLb1EEEEDaS1Q_S1R_EUlS1Q_E_NS1_11comp_targetILNS1_3genE8ELNS1_11target_archE1030ELNS1_3gpuE2ELNS1_3repE0EEENS1_30default_config_static_selectorELNS0_4arch9wavefront6targetE0EEEvS13_.uses_vcc, 1
	.set _ZN7rocprim17ROCPRIM_400000_NS6detail17trampoline_kernelINS0_13select_configILj256ELj13ELNS0_17block_load_methodE3ELS4_3ELS4_3ELNS0_20block_scan_algorithmE0ELj4294967295EEENS1_25partition_config_selectorILNS1_17partition_subalgoE4EjNS0_10empty_typeEbEEZZNS1_14partition_implILS8_4ELb0ES6_15HIP_vector_typeIjLj2EENS0_17counting_iteratorIjlEEPS9_SG_NS0_5tupleIJPjSI_NS0_16reverse_iteratorISI_EEEEENSH_IJSG_SG_SG_EEES9_SI_JZNS1_25segmented_radix_sort_implINS0_14default_configELb0EPK12hip_bfloat16PSP_PKlPlN2at6native12_GLOBAL__N_18offset_tEEE10hipError_tPvRmT1_PNSt15iterator_traitsIS13_E10value_typeET2_T3_PNS14_IS19_E10value_typeET4_jRbjT5_S1F_jjP12ihipStream_tbEUljE_ZNSN_ISO_Lb0ESR_SS_SU_SV_SZ_EES10_S11_S12_S13_S17_S18_S19_S1C_S1D_jS1E_jS1F_S1F_jjS1H_bEUljE0_EEES10_S11_S12_S19_S1D_S1F_T6_T7_T9_mT8_S1H_bDpT10_ENKUlT_T0_E_clISt17integral_constantIbLb0EES1U_IbLb1EEEEDaS1Q_S1R_EUlS1Q_E_NS1_11comp_targetILNS1_3genE8ELNS1_11target_archE1030ELNS1_3gpuE2ELNS1_3repE0EEENS1_30default_config_static_selectorELNS0_4arch9wavefront6targetE0EEEvS13_.uses_flat_scratch, 0
	.set _ZN7rocprim17ROCPRIM_400000_NS6detail17trampoline_kernelINS0_13select_configILj256ELj13ELNS0_17block_load_methodE3ELS4_3ELS4_3ELNS0_20block_scan_algorithmE0ELj4294967295EEENS1_25partition_config_selectorILNS1_17partition_subalgoE4EjNS0_10empty_typeEbEEZZNS1_14partition_implILS8_4ELb0ES6_15HIP_vector_typeIjLj2EENS0_17counting_iteratorIjlEEPS9_SG_NS0_5tupleIJPjSI_NS0_16reverse_iteratorISI_EEEEENSH_IJSG_SG_SG_EEES9_SI_JZNS1_25segmented_radix_sort_implINS0_14default_configELb0EPK12hip_bfloat16PSP_PKlPlN2at6native12_GLOBAL__N_18offset_tEEE10hipError_tPvRmT1_PNSt15iterator_traitsIS13_E10value_typeET2_T3_PNS14_IS19_E10value_typeET4_jRbjT5_S1F_jjP12ihipStream_tbEUljE_ZNSN_ISO_Lb0ESR_SS_SU_SV_SZ_EES10_S11_S12_S13_S17_S18_S19_S1C_S1D_jS1E_jS1F_S1F_jjS1H_bEUljE0_EEES10_S11_S12_S19_S1D_S1F_T6_T7_T9_mT8_S1H_bDpT10_ENKUlT_T0_E_clISt17integral_constantIbLb0EES1U_IbLb1EEEEDaS1Q_S1R_EUlS1Q_E_NS1_11comp_targetILNS1_3genE8ELNS1_11target_archE1030ELNS1_3gpuE2ELNS1_3repE0EEENS1_30default_config_static_selectorELNS0_4arch9wavefront6targetE0EEEvS13_.has_dyn_sized_stack, 0
	.set _ZN7rocprim17ROCPRIM_400000_NS6detail17trampoline_kernelINS0_13select_configILj256ELj13ELNS0_17block_load_methodE3ELS4_3ELS4_3ELNS0_20block_scan_algorithmE0ELj4294967295EEENS1_25partition_config_selectorILNS1_17partition_subalgoE4EjNS0_10empty_typeEbEEZZNS1_14partition_implILS8_4ELb0ES6_15HIP_vector_typeIjLj2EENS0_17counting_iteratorIjlEEPS9_SG_NS0_5tupleIJPjSI_NS0_16reverse_iteratorISI_EEEEENSH_IJSG_SG_SG_EEES9_SI_JZNS1_25segmented_radix_sort_implINS0_14default_configELb0EPK12hip_bfloat16PSP_PKlPlN2at6native12_GLOBAL__N_18offset_tEEE10hipError_tPvRmT1_PNSt15iterator_traitsIS13_E10value_typeET2_T3_PNS14_IS19_E10value_typeET4_jRbjT5_S1F_jjP12ihipStream_tbEUljE_ZNSN_ISO_Lb0ESR_SS_SU_SV_SZ_EES10_S11_S12_S13_S17_S18_S19_S1C_S1D_jS1E_jS1F_S1F_jjS1H_bEUljE0_EEES10_S11_S12_S19_S1D_S1F_T6_T7_T9_mT8_S1H_bDpT10_ENKUlT_T0_E_clISt17integral_constantIbLb0EES1U_IbLb1EEEEDaS1Q_S1R_EUlS1Q_E_NS1_11comp_targetILNS1_3genE8ELNS1_11target_archE1030ELNS1_3gpuE2ELNS1_3repE0EEENS1_30default_config_static_selectorELNS0_4arch9wavefront6targetE0EEEvS13_.has_recursion, 0
	.set _ZN7rocprim17ROCPRIM_400000_NS6detail17trampoline_kernelINS0_13select_configILj256ELj13ELNS0_17block_load_methodE3ELS4_3ELS4_3ELNS0_20block_scan_algorithmE0ELj4294967295EEENS1_25partition_config_selectorILNS1_17partition_subalgoE4EjNS0_10empty_typeEbEEZZNS1_14partition_implILS8_4ELb0ES6_15HIP_vector_typeIjLj2EENS0_17counting_iteratorIjlEEPS9_SG_NS0_5tupleIJPjSI_NS0_16reverse_iteratorISI_EEEEENSH_IJSG_SG_SG_EEES9_SI_JZNS1_25segmented_radix_sort_implINS0_14default_configELb0EPK12hip_bfloat16PSP_PKlPlN2at6native12_GLOBAL__N_18offset_tEEE10hipError_tPvRmT1_PNSt15iterator_traitsIS13_E10value_typeET2_T3_PNS14_IS19_E10value_typeET4_jRbjT5_S1F_jjP12ihipStream_tbEUljE_ZNSN_ISO_Lb0ESR_SS_SU_SV_SZ_EES10_S11_S12_S13_S17_S18_S19_S1C_S1D_jS1E_jS1F_S1F_jjS1H_bEUljE0_EEES10_S11_S12_S19_S1D_S1F_T6_T7_T9_mT8_S1H_bDpT10_ENKUlT_T0_E_clISt17integral_constantIbLb0EES1U_IbLb1EEEEDaS1Q_S1R_EUlS1Q_E_NS1_11comp_targetILNS1_3genE8ELNS1_11target_archE1030ELNS1_3gpuE2ELNS1_3repE0EEENS1_30default_config_static_selectorELNS0_4arch9wavefront6targetE0EEEvS13_.has_indirect_call, 0
	.section	.AMDGPU.csdata,"",@progbits
; Kernel info:
; codeLenInByte = 16368
; TotalNumSgprs: 57
; NumVgprs: 87
; ScratchSize: 0
; MemoryBound: 0
; FloatMode: 240
; IeeeMode: 1
; LDSByteSize: 13328 bytes/workgroup (compile time only)
; SGPRBlocks: 0
; VGPRBlocks: 10
; NumSGPRsForWavesPerEU: 57
; NumVGPRsForWavesPerEU: 87
; Occupancy: 10
; WaveLimiterHint : 1
; COMPUTE_PGM_RSRC2:SCRATCH_EN: 0
; COMPUTE_PGM_RSRC2:USER_SGPR: 6
; COMPUTE_PGM_RSRC2:TRAP_HANDLER: 0
; COMPUTE_PGM_RSRC2:TGID_X_EN: 1
; COMPUTE_PGM_RSRC2:TGID_Y_EN: 0
; COMPUTE_PGM_RSRC2:TGID_Z_EN: 0
; COMPUTE_PGM_RSRC2:TIDIG_COMP_CNT: 0
	.section	.text._ZN7rocprim17ROCPRIM_400000_NS6detail17trampoline_kernelINS0_13select_configILj256ELj13ELNS0_17block_load_methodE3ELS4_3ELS4_3ELNS0_20block_scan_algorithmE0ELj4294967295EEENS1_25partition_config_selectorILNS1_17partition_subalgoE3EjNS0_10empty_typeEbEEZZNS1_14partition_implILS8_3ELb0ES6_jNS0_17counting_iteratorIjlEEPS9_SE_NS0_5tupleIJPjSE_EEENSF_IJSE_SE_EEES9_SG_JZNS1_25segmented_radix_sort_implINS0_14default_configELb0EPK12hip_bfloat16PSL_PKlPlN2at6native12_GLOBAL__N_18offset_tEEE10hipError_tPvRmT1_PNSt15iterator_traitsISZ_E10value_typeET2_T3_PNS10_IS15_E10value_typeET4_jRbjT5_S1B_jjP12ihipStream_tbEUljE_EEESW_SX_SY_S15_S19_S1B_T6_T7_T9_mT8_S1D_bDpT10_ENKUlT_T0_E_clISt17integral_constantIbLb0EES1Q_EEDaS1L_S1M_EUlS1L_E_NS1_11comp_targetILNS1_3genE0ELNS1_11target_archE4294967295ELNS1_3gpuE0ELNS1_3repE0EEENS1_30default_config_static_selectorELNS0_4arch9wavefront6targetE0EEEvSZ_,"axG",@progbits,_ZN7rocprim17ROCPRIM_400000_NS6detail17trampoline_kernelINS0_13select_configILj256ELj13ELNS0_17block_load_methodE3ELS4_3ELS4_3ELNS0_20block_scan_algorithmE0ELj4294967295EEENS1_25partition_config_selectorILNS1_17partition_subalgoE3EjNS0_10empty_typeEbEEZZNS1_14partition_implILS8_3ELb0ES6_jNS0_17counting_iteratorIjlEEPS9_SE_NS0_5tupleIJPjSE_EEENSF_IJSE_SE_EEES9_SG_JZNS1_25segmented_radix_sort_implINS0_14default_configELb0EPK12hip_bfloat16PSL_PKlPlN2at6native12_GLOBAL__N_18offset_tEEE10hipError_tPvRmT1_PNSt15iterator_traitsISZ_E10value_typeET2_T3_PNS10_IS15_E10value_typeET4_jRbjT5_S1B_jjP12ihipStream_tbEUljE_EEESW_SX_SY_S15_S19_S1B_T6_T7_T9_mT8_S1D_bDpT10_ENKUlT_T0_E_clISt17integral_constantIbLb0EES1Q_EEDaS1L_S1M_EUlS1L_E_NS1_11comp_targetILNS1_3genE0ELNS1_11target_archE4294967295ELNS1_3gpuE0ELNS1_3repE0EEENS1_30default_config_static_selectorELNS0_4arch9wavefront6targetE0EEEvSZ_,comdat
	.globl	_ZN7rocprim17ROCPRIM_400000_NS6detail17trampoline_kernelINS0_13select_configILj256ELj13ELNS0_17block_load_methodE3ELS4_3ELS4_3ELNS0_20block_scan_algorithmE0ELj4294967295EEENS1_25partition_config_selectorILNS1_17partition_subalgoE3EjNS0_10empty_typeEbEEZZNS1_14partition_implILS8_3ELb0ES6_jNS0_17counting_iteratorIjlEEPS9_SE_NS0_5tupleIJPjSE_EEENSF_IJSE_SE_EEES9_SG_JZNS1_25segmented_radix_sort_implINS0_14default_configELb0EPK12hip_bfloat16PSL_PKlPlN2at6native12_GLOBAL__N_18offset_tEEE10hipError_tPvRmT1_PNSt15iterator_traitsISZ_E10value_typeET2_T3_PNS10_IS15_E10value_typeET4_jRbjT5_S1B_jjP12ihipStream_tbEUljE_EEESW_SX_SY_S15_S19_S1B_T6_T7_T9_mT8_S1D_bDpT10_ENKUlT_T0_E_clISt17integral_constantIbLb0EES1Q_EEDaS1L_S1M_EUlS1L_E_NS1_11comp_targetILNS1_3genE0ELNS1_11target_archE4294967295ELNS1_3gpuE0ELNS1_3repE0EEENS1_30default_config_static_selectorELNS0_4arch9wavefront6targetE0EEEvSZ_ ; -- Begin function _ZN7rocprim17ROCPRIM_400000_NS6detail17trampoline_kernelINS0_13select_configILj256ELj13ELNS0_17block_load_methodE3ELS4_3ELS4_3ELNS0_20block_scan_algorithmE0ELj4294967295EEENS1_25partition_config_selectorILNS1_17partition_subalgoE3EjNS0_10empty_typeEbEEZZNS1_14partition_implILS8_3ELb0ES6_jNS0_17counting_iteratorIjlEEPS9_SE_NS0_5tupleIJPjSE_EEENSF_IJSE_SE_EEES9_SG_JZNS1_25segmented_radix_sort_implINS0_14default_configELb0EPK12hip_bfloat16PSL_PKlPlN2at6native12_GLOBAL__N_18offset_tEEE10hipError_tPvRmT1_PNSt15iterator_traitsISZ_E10value_typeET2_T3_PNS10_IS15_E10value_typeET4_jRbjT5_S1B_jjP12ihipStream_tbEUljE_EEESW_SX_SY_S15_S19_S1B_T6_T7_T9_mT8_S1D_bDpT10_ENKUlT_T0_E_clISt17integral_constantIbLb0EES1Q_EEDaS1L_S1M_EUlS1L_E_NS1_11comp_targetILNS1_3genE0ELNS1_11target_archE4294967295ELNS1_3gpuE0ELNS1_3repE0EEENS1_30default_config_static_selectorELNS0_4arch9wavefront6targetE0EEEvSZ_
	.p2align	8
	.type	_ZN7rocprim17ROCPRIM_400000_NS6detail17trampoline_kernelINS0_13select_configILj256ELj13ELNS0_17block_load_methodE3ELS4_3ELS4_3ELNS0_20block_scan_algorithmE0ELj4294967295EEENS1_25partition_config_selectorILNS1_17partition_subalgoE3EjNS0_10empty_typeEbEEZZNS1_14partition_implILS8_3ELb0ES6_jNS0_17counting_iteratorIjlEEPS9_SE_NS0_5tupleIJPjSE_EEENSF_IJSE_SE_EEES9_SG_JZNS1_25segmented_radix_sort_implINS0_14default_configELb0EPK12hip_bfloat16PSL_PKlPlN2at6native12_GLOBAL__N_18offset_tEEE10hipError_tPvRmT1_PNSt15iterator_traitsISZ_E10value_typeET2_T3_PNS10_IS15_E10value_typeET4_jRbjT5_S1B_jjP12ihipStream_tbEUljE_EEESW_SX_SY_S15_S19_S1B_T6_T7_T9_mT8_S1D_bDpT10_ENKUlT_T0_E_clISt17integral_constantIbLb0EES1Q_EEDaS1L_S1M_EUlS1L_E_NS1_11comp_targetILNS1_3genE0ELNS1_11target_archE4294967295ELNS1_3gpuE0ELNS1_3repE0EEENS1_30default_config_static_selectorELNS0_4arch9wavefront6targetE0EEEvSZ_,@function
_ZN7rocprim17ROCPRIM_400000_NS6detail17trampoline_kernelINS0_13select_configILj256ELj13ELNS0_17block_load_methodE3ELS4_3ELS4_3ELNS0_20block_scan_algorithmE0ELj4294967295EEENS1_25partition_config_selectorILNS1_17partition_subalgoE3EjNS0_10empty_typeEbEEZZNS1_14partition_implILS8_3ELb0ES6_jNS0_17counting_iteratorIjlEEPS9_SE_NS0_5tupleIJPjSE_EEENSF_IJSE_SE_EEES9_SG_JZNS1_25segmented_radix_sort_implINS0_14default_configELb0EPK12hip_bfloat16PSL_PKlPlN2at6native12_GLOBAL__N_18offset_tEEE10hipError_tPvRmT1_PNSt15iterator_traitsISZ_E10value_typeET2_T3_PNS10_IS15_E10value_typeET4_jRbjT5_S1B_jjP12ihipStream_tbEUljE_EEESW_SX_SY_S15_S19_S1B_T6_T7_T9_mT8_S1D_bDpT10_ENKUlT_T0_E_clISt17integral_constantIbLb0EES1Q_EEDaS1L_S1M_EUlS1L_E_NS1_11comp_targetILNS1_3genE0ELNS1_11target_archE4294967295ELNS1_3gpuE0ELNS1_3repE0EEENS1_30default_config_static_selectorELNS0_4arch9wavefront6targetE0EEEvSZ_: ; @_ZN7rocprim17ROCPRIM_400000_NS6detail17trampoline_kernelINS0_13select_configILj256ELj13ELNS0_17block_load_methodE3ELS4_3ELS4_3ELNS0_20block_scan_algorithmE0ELj4294967295EEENS1_25partition_config_selectorILNS1_17partition_subalgoE3EjNS0_10empty_typeEbEEZZNS1_14partition_implILS8_3ELb0ES6_jNS0_17counting_iteratorIjlEEPS9_SE_NS0_5tupleIJPjSE_EEENSF_IJSE_SE_EEES9_SG_JZNS1_25segmented_radix_sort_implINS0_14default_configELb0EPK12hip_bfloat16PSL_PKlPlN2at6native12_GLOBAL__N_18offset_tEEE10hipError_tPvRmT1_PNSt15iterator_traitsISZ_E10value_typeET2_T3_PNS10_IS15_E10value_typeET4_jRbjT5_S1B_jjP12ihipStream_tbEUljE_EEESW_SX_SY_S15_S19_S1B_T6_T7_T9_mT8_S1D_bDpT10_ENKUlT_T0_E_clISt17integral_constantIbLb0EES1Q_EEDaS1L_S1M_EUlS1L_E_NS1_11comp_targetILNS1_3genE0ELNS1_11target_archE4294967295ELNS1_3gpuE0ELNS1_3repE0EEENS1_30default_config_static_selectorELNS0_4arch9wavefront6targetE0EEEvSZ_
; %bb.0:
	.section	.rodata,"a",@progbits
	.p2align	6, 0x0
	.amdhsa_kernel _ZN7rocprim17ROCPRIM_400000_NS6detail17trampoline_kernelINS0_13select_configILj256ELj13ELNS0_17block_load_methodE3ELS4_3ELS4_3ELNS0_20block_scan_algorithmE0ELj4294967295EEENS1_25partition_config_selectorILNS1_17partition_subalgoE3EjNS0_10empty_typeEbEEZZNS1_14partition_implILS8_3ELb0ES6_jNS0_17counting_iteratorIjlEEPS9_SE_NS0_5tupleIJPjSE_EEENSF_IJSE_SE_EEES9_SG_JZNS1_25segmented_radix_sort_implINS0_14default_configELb0EPK12hip_bfloat16PSL_PKlPlN2at6native12_GLOBAL__N_18offset_tEEE10hipError_tPvRmT1_PNSt15iterator_traitsISZ_E10value_typeET2_T3_PNS10_IS15_E10value_typeET4_jRbjT5_S1B_jjP12ihipStream_tbEUljE_EEESW_SX_SY_S15_S19_S1B_T6_T7_T9_mT8_S1D_bDpT10_ENKUlT_T0_E_clISt17integral_constantIbLb0EES1Q_EEDaS1L_S1M_EUlS1L_E_NS1_11comp_targetILNS1_3genE0ELNS1_11target_archE4294967295ELNS1_3gpuE0ELNS1_3repE0EEENS1_30default_config_static_selectorELNS0_4arch9wavefront6targetE0EEEvSZ_
		.amdhsa_group_segment_fixed_size 0
		.amdhsa_private_segment_fixed_size 0
		.amdhsa_kernarg_size 144
		.amdhsa_user_sgpr_count 6
		.amdhsa_user_sgpr_private_segment_buffer 1
		.amdhsa_user_sgpr_dispatch_ptr 0
		.amdhsa_user_sgpr_queue_ptr 0
		.amdhsa_user_sgpr_kernarg_segment_ptr 1
		.amdhsa_user_sgpr_dispatch_id 0
		.amdhsa_user_sgpr_flat_scratch_init 0
		.amdhsa_user_sgpr_private_segment_size 0
		.amdhsa_wavefront_size32 1
		.amdhsa_uses_dynamic_stack 0
		.amdhsa_system_sgpr_private_segment_wavefront_offset 0
		.amdhsa_system_sgpr_workgroup_id_x 1
		.amdhsa_system_sgpr_workgroup_id_y 0
		.amdhsa_system_sgpr_workgroup_id_z 0
		.amdhsa_system_sgpr_workgroup_info 0
		.amdhsa_system_vgpr_workitem_id 0
		.amdhsa_next_free_vgpr 1
		.amdhsa_next_free_sgpr 1
		.amdhsa_reserve_vcc 0
		.amdhsa_reserve_flat_scratch 0
		.amdhsa_float_round_mode_32 0
		.amdhsa_float_round_mode_16_64 0
		.amdhsa_float_denorm_mode_32 3
		.amdhsa_float_denorm_mode_16_64 3
		.amdhsa_dx10_clamp 1
		.amdhsa_ieee_mode 1
		.amdhsa_fp16_overflow 0
		.amdhsa_workgroup_processor_mode 1
		.amdhsa_memory_ordered 1
		.amdhsa_forward_progress 1
		.amdhsa_shared_vgpr_count 0
		.amdhsa_exception_fp_ieee_invalid_op 0
		.amdhsa_exception_fp_denorm_src 0
		.amdhsa_exception_fp_ieee_div_zero 0
		.amdhsa_exception_fp_ieee_overflow 0
		.amdhsa_exception_fp_ieee_underflow 0
		.amdhsa_exception_fp_ieee_inexact 0
		.amdhsa_exception_int_div_zero 0
	.end_amdhsa_kernel
	.section	.text._ZN7rocprim17ROCPRIM_400000_NS6detail17trampoline_kernelINS0_13select_configILj256ELj13ELNS0_17block_load_methodE3ELS4_3ELS4_3ELNS0_20block_scan_algorithmE0ELj4294967295EEENS1_25partition_config_selectorILNS1_17partition_subalgoE3EjNS0_10empty_typeEbEEZZNS1_14partition_implILS8_3ELb0ES6_jNS0_17counting_iteratorIjlEEPS9_SE_NS0_5tupleIJPjSE_EEENSF_IJSE_SE_EEES9_SG_JZNS1_25segmented_radix_sort_implINS0_14default_configELb0EPK12hip_bfloat16PSL_PKlPlN2at6native12_GLOBAL__N_18offset_tEEE10hipError_tPvRmT1_PNSt15iterator_traitsISZ_E10value_typeET2_T3_PNS10_IS15_E10value_typeET4_jRbjT5_S1B_jjP12ihipStream_tbEUljE_EEESW_SX_SY_S15_S19_S1B_T6_T7_T9_mT8_S1D_bDpT10_ENKUlT_T0_E_clISt17integral_constantIbLb0EES1Q_EEDaS1L_S1M_EUlS1L_E_NS1_11comp_targetILNS1_3genE0ELNS1_11target_archE4294967295ELNS1_3gpuE0ELNS1_3repE0EEENS1_30default_config_static_selectorELNS0_4arch9wavefront6targetE0EEEvSZ_,"axG",@progbits,_ZN7rocprim17ROCPRIM_400000_NS6detail17trampoline_kernelINS0_13select_configILj256ELj13ELNS0_17block_load_methodE3ELS4_3ELS4_3ELNS0_20block_scan_algorithmE0ELj4294967295EEENS1_25partition_config_selectorILNS1_17partition_subalgoE3EjNS0_10empty_typeEbEEZZNS1_14partition_implILS8_3ELb0ES6_jNS0_17counting_iteratorIjlEEPS9_SE_NS0_5tupleIJPjSE_EEENSF_IJSE_SE_EEES9_SG_JZNS1_25segmented_radix_sort_implINS0_14default_configELb0EPK12hip_bfloat16PSL_PKlPlN2at6native12_GLOBAL__N_18offset_tEEE10hipError_tPvRmT1_PNSt15iterator_traitsISZ_E10value_typeET2_T3_PNS10_IS15_E10value_typeET4_jRbjT5_S1B_jjP12ihipStream_tbEUljE_EEESW_SX_SY_S15_S19_S1B_T6_T7_T9_mT8_S1D_bDpT10_ENKUlT_T0_E_clISt17integral_constantIbLb0EES1Q_EEDaS1L_S1M_EUlS1L_E_NS1_11comp_targetILNS1_3genE0ELNS1_11target_archE4294967295ELNS1_3gpuE0ELNS1_3repE0EEENS1_30default_config_static_selectorELNS0_4arch9wavefront6targetE0EEEvSZ_,comdat
.Lfunc_end2007:
	.size	_ZN7rocprim17ROCPRIM_400000_NS6detail17trampoline_kernelINS0_13select_configILj256ELj13ELNS0_17block_load_methodE3ELS4_3ELS4_3ELNS0_20block_scan_algorithmE0ELj4294967295EEENS1_25partition_config_selectorILNS1_17partition_subalgoE3EjNS0_10empty_typeEbEEZZNS1_14partition_implILS8_3ELb0ES6_jNS0_17counting_iteratorIjlEEPS9_SE_NS0_5tupleIJPjSE_EEENSF_IJSE_SE_EEES9_SG_JZNS1_25segmented_radix_sort_implINS0_14default_configELb0EPK12hip_bfloat16PSL_PKlPlN2at6native12_GLOBAL__N_18offset_tEEE10hipError_tPvRmT1_PNSt15iterator_traitsISZ_E10value_typeET2_T3_PNS10_IS15_E10value_typeET4_jRbjT5_S1B_jjP12ihipStream_tbEUljE_EEESW_SX_SY_S15_S19_S1B_T6_T7_T9_mT8_S1D_bDpT10_ENKUlT_T0_E_clISt17integral_constantIbLb0EES1Q_EEDaS1L_S1M_EUlS1L_E_NS1_11comp_targetILNS1_3genE0ELNS1_11target_archE4294967295ELNS1_3gpuE0ELNS1_3repE0EEENS1_30default_config_static_selectorELNS0_4arch9wavefront6targetE0EEEvSZ_, .Lfunc_end2007-_ZN7rocprim17ROCPRIM_400000_NS6detail17trampoline_kernelINS0_13select_configILj256ELj13ELNS0_17block_load_methodE3ELS4_3ELS4_3ELNS0_20block_scan_algorithmE0ELj4294967295EEENS1_25partition_config_selectorILNS1_17partition_subalgoE3EjNS0_10empty_typeEbEEZZNS1_14partition_implILS8_3ELb0ES6_jNS0_17counting_iteratorIjlEEPS9_SE_NS0_5tupleIJPjSE_EEENSF_IJSE_SE_EEES9_SG_JZNS1_25segmented_radix_sort_implINS0_14default_configELb0EPK12hip_bfloat16PSL_PKlPlN2at6native12_GLOBAL__N_18offset_tEEE10hipError_tPvRmT1_PNSt15iterator_traitsISZ_E10value_typeET2_T3_PNS10_IS15_E10value_typeET4_jRbjT5_S1B_jjP12ihipStream_tbEUljE_EEESW_SX_SY_S15_S19_S1B_T6_T7_T9_mT8_S1D_bDpT10_ENKUlT_T0_E_clISt17integral_constantIbLb0EES1Q_EEDaS1L_S1M_EUlS1L_E_NS1_11comp_targetILNS1_3genE0ELNS1_11target_archE4294967295ELNS1_3gpuE0ELNS1_3repE0EEENS1_30default_config_static_selectorELNS0_4arch9wavefront6targetE0EEEvSZ_
                                        ; -- End function
	.set _ZN7rocprim17ROCPRIM_400000_NS6detail17trampoline_kernelINS0_13select_configILj256ELj13ELNS0_17block_load_methodE3ELS4_3ELS4_3ELNS0_20block_scan_algorithmE0ELj4294967295EEENS1_25partition_config_selectorILNS1_17partition_subalgoE3EjNS0_10empty_typeEbEEZZNS1_14partition_implILS8_3ELb0ES6_jNS0_17counting_iteratorIjlEEPS9_SE_NS0_5tupleIJPjSE_EEENSF_IJSE_SE_EEES9_SG_JZNS1_25segmented_radix_sort_implINS0_14default_configELb0EPK12hip_bfloat16PSL_PKlPlN2at6native12_GLOBAL__N_18offset_tEEE10hipError_tPvRmT1_PNSt15iterator_traitsISZ_E10value_typeET2_T3_PNS10_IS15_E10value_typeET4_jRbjT5_S1B_jjP12ihipStream_tbEUljE_EEESW_SX_SY_S15_S19_S1B_T6_T7_T9_mT8_S1D_bDpT10_ENKUlT_T0_E_clISt17integral_constantIbLb0EES1Q_EEDaS1L_S1M_EUlS1L_E_NS1_11comp_targetILNS1_3genE0ELNS1_11target_archE4294967295ELNS1_3gpuE0ELNS1_3repE0EEENS1_30default_config_static_selectorELNS0_4arch9wavefront6targetE0EEEvSZ_.num_vgpr, 0
	.set _ZN7rocprim17ROCPRIM_400000_NS6detail17trampoline_kernelINS0_13select_configILj256ELj13ELNS0_17block_load_methodE3ELS4_3ELS4_3ELNS0_20block_scan_algorithmE0ELj4294967295EEENS1_25partition_config_selectorILNS1_17partition_subalgoE3EjNS0_10empty_typeEbEEZZNS1_14partition_implILS8_3ELb0ES6_jNS0_17counting_iteratorIjlEEPS9_SE_NS0_5tupleIJPjSE_EEENSF_IJSE_SE_EEES9_SG_JZNS1_25segmented_radix_sort_implINS0_14default_configELb0EPK12hip_bfloat16PSL_PKlPlN2at6native12_GLOBAL__N_18offset_tEEE10hipError_tPvRmT1_PNSt15iterator_traitsISZ_E10value_typeET2_T3_PNS10_IS15_E10value_typeET4_jRbjT5_S1B_jjP12ihipStream_tbEUljE_EEESW_SX_SY_S15_S19_S1B_T6_T7_T9_mT8_S1D_bDpT10_ENKUlT_T0_E_clISt17integral_constantIbLb0EES1Q_EEDaS1L_S1M_EUlS1L_E_NS1_11comp_targetILNS1_3genE0ELNS1_11target_archE4294967295ELNS1_3gpuE0ELNS1_3repE0EEENS1_30default_config_static_selectorELNS0_4arch9wavefront6targetE0EEEvSZ_.num_agpr, 0
	.set _ZN7rocprim17ROCPRIM_400000_NS6detail17trampoline_kernelINS0_13select_configILj256ELj13ELNS0_17block_load_methodE3ELS4_3ELS4_3ELNS0_20block_scan_algorithmE0ELj4294967295EEENS1_25partition_config_selectorILNS1_17partition_subalgoE3EjNS0_10empty_typeEbEEZZNS1_14partition_implILS8_3ELb0ES6_jNS0_17counting_iteratorIjlEEPS9_SE_NS0_5tupleIJPjSE_EEENSF_IJSE_SE_EEES9_SG_JZNS1_25segmented_radix_sort_implINS0_14default_configELb0EPK12hip_bfloat16PSL_PKlPlN2at6native12_GLOBAL__N_18offset_tEEE10hipError_tPvRmT1_PNSt15iterator_traitsISZ_E10value_typeET2_T3_PNS10_IS15_E10value_typeET4_jRbjT5_S1B_jjP12ihipStream_tbEUljE_EEESW_SX_SY_S15_S19_S1B_T6_T7_T9_mT8_S1D_bDpT10_ENKUlT_T0_E_clISt17integral_constantIbLb0EES1Q_EEDaS1L_S1M_EUlS1L_E_NS1_11comp_targetILNS1_3genE0ELNS1_11target_archE4294967295ELNS1_3gpuE0ELNS1_3repE0EEENS1_30default_config_static_selectorELNS0_4arch9wavefront6targetE0EEEvSZ_.numbered_sgpr, 0
	.set _ZN7rocprim17ROCPRIM_400000_NS6detail17trampoline_kernelINS0_13select_configILj256ELj13ELNS0_17block_load_methodE3ELS4_3ELS4_3ELNS0_20block_scan_algorithmE0ELj4294967295EEENS1_25partition_config_selectorILNS1_17partition_subalgoE3EjNS0_10empty_typeEbEEZZNS1_14partition_implILS8_3ELb0ES6_jNS0_17counting_iteratorIjlEEPS9_SE_NS0_5tupleIJPjSE_EEENSF_IJSE_SE_EEES9_SG_JZNS1_25segmented_radix_sort_implINS0_14default_configELb0EPK12hip_bfloat16PSL_PKlPlN2at6native12_GLOBAL__N_18offset_tEEE10hipError_tPvRmT1_PNSt15iterator_traitsISZ_E10value_typeET2_T3_PNS10_IS15_E10value_typeET4_jRbjT5_S1B_jjP12ihipStream_tbEUljE_EEESW_SX_SY_S15_S19_S1B_T6_T7_T9_mT8_S1D_bDpT10_ENKUlT_T0_E_clISt17integral_constantIbLb0EES1Q_EEDaS1L_S1M_EUlS1L_E_NS1_11comp_targetILNS1_3genE0ELNS1_11target_archE4294967295ELNS1_3gpuE0ELNS1_3repE0EEENS1_30default_config_static_selectorELNS0_4arch9wavefront6targetE0EEEvSZ_.num_named_barrier, 0
	.set _ZN7rocprim17ROCPRIM_400000_NS6detail17trampoline_kernelINS0_13select_configILj256ELj13ELNS0_17block_load_methodE3ELS4_3ELS4_3ELNS0_20block_scan_algorithmE0ELj4294967295EEENS1_25partition_config_selectorILNS1_17partition_subalgoE3EjNS0_10empty_typeEbEEZZNS1_14partition_implILS8_3ELb0ES6_jNS0_17counting_iteratorIjlEEPS9_SE_NS0_5tupleIJPjSE_EEENSF_IJSE_SE_EEES9_SG_JZNS1_25segmented_radix_sort_implINS0_14default_configELb0EPK12hip_bfloat16PSL_PKlPlN2at6native12_GLOBAL__N_18offset_tEEE10hipError_tPvRmT1_PNSt15iterator_traitsISZ_E10value_typeET2_T3_PNS10_IS15_E10value_typeET4_jRbjT5_S1B_jjP12ihipStream_tbEUljE_EEESW_SX_SY_S15_S19_S1B_T6_T7_T9_mT8_S1D_bDpT10_ENKUlT_T0_E_clISt17integral_constantIbLb0EES1Q_EEDaS1L_S1M_EUlS1L_E_NS1_11comp_targetILNS1_3genE0ELNS1_11target_archE4294967295ELNS1_3gpuE0ELNS1_3repE0EEENS1_30default_config_static_selectorELNS0_4arch9wavefront6targetE0EEEvSZ_.private_seg_size, 0
	.set _ZN7rocprim17ROCPRIM_400000_NS6detail17trampoline_kernelINS0_13select_configILj256ELj13ELNS0_17block_load_methodE3ELS4_3ELS4_3ELNS0_20block_scan_algorithmE0ELj4294967295EEENS1_25partition_config_selectorILNS1_17partition_subalgoE3EjNS0_10empty_typeEbEEZZNS1_14partition_implILS8_3ELb0ES6_jNS0_17counting_iteratorIjlEEPS9_SE_NS0_5tupleIJPjSE_EEENSF_IJSE_SE_EEES9_SG_JZNS1_25segmented_radix_sort_implINS0_14default_configELb0EPK12hip_bfloat16PSL_PKlPlN2at6native12_GLOBAL__N_18offset_tEEE10hipError_tPvRmT1_PNSt15iterator_traitsISZ_E10value_typeET2_T3_PNS10_IS15_E10value_typeET4_jRbjT5_S1B_jjP12ihipStream_tbEUljE_EEESW_SX_SY_S15_S19_S1B_T6_T7_T9_mT8_S1D_bDpT10_ENKUlT_T0_E_clISt17integral_constantIbLb0EES1Q_EEDaS1L_S1M_EUlS1L_E_NS1_11comp_targetILNS1_3genE0ELNS1_11target_archE4294967295ELNS1_3gpuE0ELNS1_3repE0EEENS1_30default_config_static_selectorELNS0_4arch9wavefront6targetE0EEEvSZ_.uses_vcc, 0
	.set _ZN7rocprim17ROCPRIM_400000_NS6detail17trampoline_kernelINS0_13select_configILj256ELj13ELNS0_17block_load_methodE3ELS4_3ELS4_3ELNS0_20block_scan_algorithmE0ELj4294967295EEENS1_25partition_config_selectorILNS1_17partition_subalgoE3EjNS0_10empty_typeEbEEZZNS1_14partition_implILS8_3ELb0ES6_jNS0_17counting_iteratorIjlEEPS9_SE_NS0_5tupleIJPjSE_EEENSF_IJSE_SE_EEES9_SG_JZNS1_25segmented_radix_sort_implINS0_14default_configELb0EPK12hip_bfloat16PSL_PKlPlN2at6native12_GLOBAL__N_18offset_tEEE10hipError_tPvRmT1_PNSt15iterator_traitsISZ_E10value_typeET2_T3_PNS10_IS15_E10value_typeET4_jRbjT5_S1B_jjP12ihipStream_tbEUljE_EEESW_SX_SY_S15_S19_S1B_T6_T7_T9_mT8_S1D_bDpT10_ENKUlT_T0_E_clISt17integral_constantIbLb0EES1Q_EEDaS1L_S1M_EUlS1L_E_NS1_11comp_targetILNS1_3genE0ELNS1_11target_archE4294967295ELNS1_3gpuE0ELNS1_3repE0EEENS1_30default_config_static_selectorELNS0_4arch9wavefront6targetE0EEEvSZ_.uses_flat_scratch, 0
	.set _ZN7rocprim17ROCPRIM_400000_NS6detail17trampoline_kernelINS0_13select_configILj256ELj13ELNS0_17block_load_methodE3ELS4_3ELS4_3ELNS0_20block_scan_algorithmE0ELj4294967295EEENS1_25partition_config_selectorILNS1_17partition_subalgoE3EjNS0_10empty_typeEbEEZZNS1_14partition_implILS8_3ELb0ES6_jNS0_17counting_iteratorIjlEEPS9_SE_NS0_5tupleIJPjSE_EEENSF_IJSE_SE_EEES9_SG_JZNS1_25segmented_radix_sort_implINS0_14default_configELb0EPK12hip_bfloat16PSL_PKlPlN2at6native12_GLOBAL__N_18offset_tEEE10hipError_tPvRmT1_PNSt15iterator_traitsISZ_E10value_typeET2_T3_PNS10_IS15_E10value_typeET4_jRbjT5_S1B_jjP12ihipStream_tbEUljE_EEESW_SX_SY_S15_S19_S1B_T6_T7_T9_mT8_S1D_bDpT10_ENKUlT_T0_E_clISt17integral_constantIbLb0EES1Q_EEDaS1L_S1M_EUlS1L_E_NS1_11comp_targetILNS1_3genE0ELNS1_11target_archE4294967295ELNS1_3gpuE0ELNS1_3repE0EEENS1_30default_config_static_selectorELNS0_4arch9wavefront6targetE0EEEvSZ_.has_dyn_sized_stack, 0
	.set _ZN7rocprim17ROCPRIM_400000_NS6detail17trampoline_kernelINS0_13select_configILj256ELj13ELNS0_17block_load_methodE3ELS4_3ELS4_3ELNS0_20block_scan_algorithmE0ELj4294967295EEENS1_25partition_config_selectorILNS1_17partition_subalgoE3EjNS0_10empty_typeEbEEZZNS1_14partition_implILS8_3ELb0ES6_jNS0_17counting_iteratorIjlEEPS9_SE_NS0_5tupleIJPjSE_EEENSF_IJSE_SE_EEES9_SG_JZNS1_25segmented_radix_sort_implINS0_14default_configELb0EPK12hip_bfloat16PSL_PKlPlN2at6native12_GLOBAL__N_18offset_tEEE10hipError_tPvRmT1_PNSt15iterator_traitsISZ_E10value_typeET2_T3_PNS10_IS15_E10value_typeET4_jRbjT5_S1B_jjP12ihipStream_tbEUljE_EEESW_SX_SY_S15_S19_S1B_T6_T7_T9_mT8_S1D_bDpT10_ENKUlT_T0_E_clISt17integral_constantIbLb0EES1Q_EEDaS1L_S1M_EUlS1L_E_NS1_11comp_targetILNS1_3genE0ELNS1_11target_archE4294967295ELNS1_3gpuE0ELNS1_3repE0EEENS1_30default_config_static_selectorELNS0_4arch9wavefront6targetE0EEEvSZ_.has_recursion, 0
	.set _ZN7rocprim17ROCPRIM_400000_NS6detail17trampoline_kernelINS0_13select_configILj256ELj13ELNS0_17block_load_methodE3ELS4_3ELS4_3ELNS0_20block_scan_algorithmE0ELj4294967295EEENS1_25partition_config_selectorILNS1_17partition_subalgoE3EjNS0_10empty_typeEbEEZZNS1_14partition_implILS8_3ELb0ES6_jNS0_17counting_iteratorIjlEEPS9_SE_NS0_5tupleIJPjSE_EEENSF_IJSE_SE_EEES9_SG_JZNS1_25segmented_radix_sort_implINS0_14default_configELb0EPK12hip_bfloat16PSL_PKlPlN2at6native12_GLOBAL__N_18offset_tEEE10hipError_tPvRmT1_PNSt15iterator_traitsISZ_E10value_typeET2_T3_PNS10_IS15_E10value_typeET4_jRbjT5_S1B_jjP12ihipStream_tbEUljE_EEESW_SX_SY_S15_S19_S1B_T6_T7_T9_mT8_S1D_bDpT10_ENKUlT_T0_E_clISt17integral_constantIbLb0EES1Q_EEDaS1L_S1M_EUlS1L_E_NS1_11comp_targetILNS1_3genE0ELNS1_11target_archE4294967295ELNS1_3gpuE0ELNS1_3repE0EEENS1_30default_config_static_selectorELNS0_4arch9wavefront6targetE0EEEvSZ_.has_indirect_call, 0
	.section	.AMDGPU.csdata,"",@progbits
; Kernel info:
; codeLenInByte = 0
; TotalNumSgprs: 0
; NumVgprs: 0
; ScratchSize: 0
; MemoryBound: 0
; FloatMode: 240
; IeeeMode: 1
; LDSByteSize: 0 bytes/workgroup (compile time only)
; SGPRBlocks: 0
; VGPRBlocks: 0
; NumSGPRsForWavesPerEU: 1
; NumVGPRsForWavesPerEU: 1
; Occupancy: 16
; WaveLimiterHint : 0
; COMPUTE_PGM_RSRC2:SCRATCH_EN: 0
; COMPUTE_PGM_RSRC2:USER_SGPR: 6
; COMPUTE_PGM_RSRC2:TRAP_HANDLER: 0
; COMPUTE_PGM_RSRC2:TGID_X_EN: 1
; COMPUTE_PGM_RSRC2:TGID_Y_EN: 0
; COMPUTE_PGM_RSRC2:TGID_Z_EN: 0
; COMPUTE_PGM_RSRC2:TIDIG_COMP_CNT: 0
	.section	.text._ZN7rocprim17ROCPRIM_400000_NS6detail17trampoline_kernelINS0_13select_configILj256ELj13ELNS0_17block_load_methodE3ELS4_3ELS4_3ELNS0_20block_scan_algorithmE0ELj4294967295EEENS1_25partition_config_selectorILNS1_17partition_subalgoE3EjNS0_10empty_typeEbEEZZNS1_14partition_implILS8_3ELb0ES6_jNS0_17counting_iteratorIjlEEPS9_SE_NS0_5tupleIJPjSE_EEENSF_IJSE_SE_EEES9_SG_JZNS1_25segmented_radix_sort_implINS0_14default_configELb0EPK12hip_bfloat16PSL_PKlPlN2at6native12_GLOBAL__N_18offset_tEEE10hipError_tPvRmT1_PNSt15iterator_traitsISZ_E10value_typeET2_T3_PNS10_IS15_E10value_typeET4_jRbjT5_S1B_jjP12ihipStream_tbEUljE_EEESW_SX_SY_S15_S19_S1B_T6_T7_T9_mT8_S1D_bDpT10_ENKUlT_T0_E_clISt17integral_constantIbLb0EES1Q_EEDaS1L_S1M_EUlS1L_E_NS1_11comp_targetILNS1_3genE5ELNS1_11target_archE942ELNS1_3gpuE9ELNS1_3repE0EEENS1_30default_config_static_selectorELNS0_4arch9wavefront6targetE0EEEvSZ_,"axG",@progbits,_ZN7rocprim17ROCPRIM_400000_NS6detail17trampoline_kernelINS0_13select_configILj256ELj13ELNS0_17block_load_methodE3ELS4_3ELS4_3ELNS0_20block_scan_algorithmE0ELj4294967295EEENS1_25partition_config_selectorILNS1_17partition_subalgoE3EjNS0_10empty_typeEbEEZZNS1_14partition_implILS8_3ELb0ES6_jNS0_17counting_iteratorIjlEEPS9_SE_NS0_5tupleIJPjSE_EEENSF_IJSE_SE_EEES9_SG_JZNS1_25segmented_radix_sort_implINS0_14default_configELb0EPK12hip_bfloat16PSL_PKlPlN2at6native12_GLOBAL__N_18offset_tEEE10hipError_tPvRmT1_PNSt15iterator_traitsISZ_E10value_typeET2_T3_PNS10_IS15_E10value_typeET4_jRbjT5_S1B_jjP12ihipStream_tbEUljE_EEESW_SX_SY_S15_S19_S1B_T6_T7_T9_mT8_S1D_bDpT10_ENKUlT_T0_E_clISt17integral_constantIbLb0EES1Q_EEDaS1L_S1M_EUlS1L_E_NS1_11comp_targetILNS1_3genE5ELNS1_11target_archE942ELNS1_3gpuE9ELNS1_3repE0EEENS1_30default_config_static_selectorELNS0_4arch9wavefront6targetE0EEEvSZ_,comdat
	.globl	_ZN7rocprim17ROCPRIM_400000_NS6detail17trampoline_kernelINS0_13select_configILj256ELj13ELNS0_17block_load_methodE3ELS4_3ELS4_3ELNS0_20block_scan_algorithmE0ELj4294967295EEENS1_25partition_config_selectorILNS1_17partition_subalgoE3EjNS0_10empty_typeEbEEZZNS1_14partition_implILS8_3ELb0ES6_jNS0_17counting_iteratorIjlEEPS9_SE_NS0_5tupleIJPjSE_EEENSF_IJSE_SE_EEES9_SG_JZNS1_25segmented_radix_sort_implINS0_14default_configELb0EPK12hip_bfloat16PSL_PKlPlN2at6native12_GLOBAL__N_18offset_tEEE10hipError_tPvRmT1_PNSt15iterator_traitsISZ_E10value_typeET2_T3_PNS10_IS15_E10value_typeET4_jRbjT5_S1B_jjP12ihipStream_tbEUljE_EEESW_SX_SY_S15_S19_S1B_T6_T7_T9_mT8_S1D_bDpT10_ENKUlT_T0_E_clISt17integral_constantIbLb0EES1Q_EEDaS1L_S1M_EUlS1L_E_NS1_11comp_targetILNS1_3genE5ELNS1_11target_archE942ELNS1_3gpuE9ELNS1_3repE0EEENS1_30default_config_static_selectorELNS0_4arch9wavefront6targetE0EEEvSZ_ ; -- Begin function _ZN7rocprim17ROCPRIM_400000_NS6detail17trampoline_kernelINS0_13select_configILj256ELj13ELNS0_17block_load_methodE3ELS4_3ELS4_3ELNS0_20block_scan_algorithmE0ELj4294967295EEENS1_25partition_config_selectorILNS1_17partition_subalgoE3EjNS0_10empty_typeEbEEZZNS1_14partition_implILS8_3ELb0ES6_jNS0_17counting_iteratorIjlEEPS9_SE_NS0_5tupleIJPjSE_EEENSF_IJSE_SE_EEES9_SG_JZNS1_25segmented_radix_sort_implINS0_14default_configELb0EPK12hip_bfloat16PSL_PKlPlN2at6native12_GLOBAL__N_18offset_tEEE10hipError_tPvRmT1_PNSt15iterator_traitsISZ_E10value_typeET2_T3_PNS10_IS15_E10value_typeET4_jRbjT5_S1B_jjP12ihipStream_tbEUljE_EEESW_SX_SY_S15_S19_S1B_T6_T7_T9_mT8_S1D_bDpT10_ENKUlT_T0_E_clISt17integral_constantIbLb0EES1Q_EEDaS1L_S1M_EUlS1L_E_NS1_11comp_targetILNS1_3genE5ELNS1_11target_archE942ELNS1_3gpuE9ELNS1_3repE0EEENS1_30default_config_static_selectorELNS0_4arch9wavefront6targetE0EEEvSZ_
	.p2align	8
	.type	_ZN7rocprim17ROCPRIM_400000_NS6detail17trampoline_kernelINS0_13select_configILj256ELj13ELNS0_17block_load_methodE3ELS4_3ELS4_3ELNS0_20block_scan_algorithmE0ELj4294967295EEENS1_25partition_config_selectorILNS1_17partition_subalgoE3EjNS0_10empty_typeEbEEZZNS1_14partition_implILS8_3ELb0ES6_jNS0_17counting_iteratorIjlEEPS9_SE_NS0_5tupleIJPjSE_EEENSF_IJSE_SE_EEES9_SG_JZNS1_25segmented_radix_sort_implINS0_14default_configELb0EPK12hip_bfloat16PSL_PKlPlN2at6native12_GLOBAL__N_18offset_tEEE10hipError_tPvRmT1_PNSt15iterator_traitsISZ_E10value_typeET2_T3_PNS10_IS15_E10value_typeET4_jRbjT5_S1B_jjP12ihipStream_tbEUljE_EEESW_SX_SY_S15_S19_S1B_T6_T7_T9_mT8_S1D_bDpT10_ENKUlT_T0_E_clISt17integral_constantIbLb0EES1Q_EEDaS1L_S1M_EUlS1L_E_NS1_11comp_targetILNS1_3genE5ELNS1_11target_archE942ELNS1_3gpuE9ELNS1_3repE0EEENS1_30default_config_static_selectorELNS0_4arch9wavefront6targetE0EEEvSZ_,@function
_ZN7rocprim17ROCPRIM_400000_NS6detail17trampoline_kernelINS0_13select_configILj256ELj13ELNS0_17block_load_methodE3ELS4_3ELS4_3ELNS0_20block_scan_algorithmE0ELj4294967295EEENS1_25partition_config_selectorILNS1_17partition_subalgoE3EjNS0_10empty_typeEbEEZZNS1_14partition_implILS8_3ELb0ES6_jNS0_17counting_iteratorIjlEEPS9_SE_NS0_5tupleIJPjSE_EEENSF_IJSE_SE_EEES9_SG_JZNS1_25segmented_radix_sort_implINS0_14default_configELb0EPK12hip_bfloat16PSL_PKlPlN2at6native12_GLOBAL__N_18offset_tEEE10hipError_tPvRmT1_PNSt15iterator_traitsISZ_E10value_typeET2_T3_PNS10_IS15_E10value_typeET4_jRbjT5_S1B_jjP12ihipStream_tbEUljE_EEESW_SX_SY_S15_S19_S1B_T6_T7_T9_mT8_S1D_bDpT10_ENKUlT_T0_E_clISt17integral_constantIbLb0EES1Q_EEDaS1L_S1M_EUlS1L_E_NS1_11comp_targetILNS1_3genE5ELNS1_11target_archE942ELNS1_3gpuE9ELNS1_3repE0EEENS1_30default_config_static_selectorELNS0_4arch9wavefront6targetE0EEEvSZ_: ; @_ZN7rocprim17ROCPRIM_400000_NS6detail17trampoline_kernelINS0_13select_configILj256ELj13ELNS0_17block_load_methodE3ELS4_3ELS4_3ELNS0_20block_scan_algorithmE0ELj4294967295EEENS1_25partition_config_selectorILNS1_17partition_subalgoE3EjNS0_10empty_typeEbEEZZNS1_14partition_implILS8_3ELb0ES6_jNS0_17counting_iteratorIjlEEPS9_SE_NS0_5tupleIJPjSE_EEENSF_IJSE_SE_EEES9_SG_JZNS1_25segmented_radix_sort_implINS0_14default_configELb0EPK12hip_bfloat16PSL_PKlPlN2at6native12_GLOBAL__N_18offset_tEEE10hipError_tPvRmT1_PNSt15iterator_traitsISZ_E10value_typeET2_T3_PNS10_IS15_E10value_typeET4_jRbjT5_S1B_jjP12ihipStream_tbEUljE_EEESW_SX_SY_S15_S19_S1B_T6_T7_T9_mT8_S1D_bDpT10_ENKUlT_T0_E_clISt17integral_constantIbLb0EES1Q_EEDaS1L_S1M_EUlS1L_E_NS1_11comp_targetILNS1_3genE5ELNS1_11target_archE942ELNS1_3gpuE9ELNS1_3repE0EEENS1_30default_config_static_selectorELNS0_4arch9wavefront6targetE0EEEvSZ_
; %bb.0:
	.section	.rodata,"a",@progbits
	.p2align	6, 0x0
	.amdhsa_kernel _ZN7rocprim17ROCPRIM_400000_NS6detail17trampoline_kernelINS0_13select_configILj256ELj13ELNS0_17block_load_methodE3ELS4_3ELS4_3ELNS0_20block_scan_algorithmE0ELj4294967295EEENS1_25partition_config_selectorILNS1_17partition_subalgoE3EjNS0_10empty_typeEbEEZZNS1_14partition_implILS8_3ELb0ES6_jNS0_17counting_iteratorIjlEEPS9_SE_NS0_5tupleIJPjSE_EEENSF_IJSE_SE_EEES9_SG_JZNS1_25segmented_radix_sort_implINS0_14default_configELb0EPK12hip_bfloat16PSL_PKlPlN2at6native12_GLOBAL__N_18offset_tEEE10hipError_tPvRmT1_PNSt15iterator_traitsISZ_E10value_typeET2_T3_PNS10_IS15_E10value_typeET4_jRbjT5_S1B_jjP12ihipStream_tbEUljE_EEESW_SX_SY_S15_S19_S1B_T6_T7_T9_mT8_S1D_bDpT10_ENKUlT_T0_E_clISt17integral_constantIbLb0EES1Q_EEDaS1L_S1M_EUlS1L_E_NS1_11comp_targetILNS1_3genE5ELNS1_11target_archE942ELNS1_3gpuE9ELNS1_3repE0EEENS1_30default_config_static_selectorELNS0_4arch9wavefront6targetE0EEEvSZ_
		.amdhsa_group_segment_fixed_size 0
		.amdhsa_private_segment_fixed_size 0
		.amdhsa_kernarg_size 144
		.amdhsa_user_sgpr_count 6
		.amdhsa_user_sgpr_private_segment_buffer 1
		.amdhsa_user_sgpr_dispatch_ptr 0
		.amdhsa_user_sgpr_queue_ptr 0
		.amdhsa_user_sgpr_kernarg_segment_ptr 1
		.amdhsa_user_sgpr_dispatch_id 0
		.amdhsa_user_sgpr_flat_scratch_init 0
		.amdhsa_user_sgpr_private_segment_size 0
		.amdhsa_wavefront_size32 1
		.amdhsa_uses_dynamic_stack 0
		.amdhsa_system_sgpr_private_segment_wavefront_offset 0
		.amdhsa_system_sgpr_workgroup_id_x 1
		.amdhsa_system_sgpr_workgroup_id_y 0
		.amdhsa_system_sgpr_workgroup_id_z 0
		.amdhsa_system_sgpr_workgroup_info 0
		.amdhsa_system_vgpr_workitem_id 0
		.amdhsa_next_free_vgpr 1
		.amdhsa_next_free_sgpr 1
		.amdhsa_reserve_vcc 0
		.amdhsa_reserve_flat_scratch 0
		.amdhsa_float_round_mode_32 0
		.amdhsa_float_round_mode_16_64 0
		.amdhsa_float_denorm_mode_32 3
		.amdhsa_float_denorm_mode_16_64 3
		.amdhsa_dx10_clamp 1
		.amdhsa_ieee_mode 1
		.amdhsa_fp16_overflow 0
		.amdhsa_workgroup_processor_mode 1
		.amdhsa_memory_ordered 1
		.amdhsa_forward_progress 1
		.amdhsa_shared_vgpr_count 0
		.amdhsa_exception_fp_ieee_invalid_op 0
		.amdhsa_exception_fp_denorm_src 0
		.amdhsa_exception_fp_ieee_div_zero 0
		.amdhsa_exception_fp_ieee_overflow 0
		.amdhsa_exception_fp_ieee_underflow 0
		.amdhsa_exception_fp_ieee_inexact 0
		.amdhsa_exception_int_div_zero 0
	.end_amdhsa_kernel
	.section	.text._ZN7rocprim17ROCPRIM_400000_NS6detail17trampoline_kernelINS0_13select_configILj256ELj13ELNS0_17block_load_methodE3ELS4_3ELS4_3ELNS0_20block_scan_algorithmE0ELj4294967295EEENS1_25partition_config_selectorILNS1_17partition_subalgoE3EjNS0_10empty_typeEbEEZZNS1_14partition_implILS8_3ELb0ES6_jNS0_17counting_iteratorIjlEEPS9_SE_NS0_5tupleIJPjSE_EEENSF_IJSE_SE_EEES9_SG_JZNS1_25segmented_radix_sort_implINS0_14default_configELb0EPK12hip_bfloat16PSL_PKlPlN2at6native12_GLOBAL__N_18offset_tEEE10hipError_tPvRmT1_PNSt15iterator_traitsISZ_E10value_typeET2_T3_PNS10_IS15_E10value_typeET4_jRbjT5_S1B_jjP12ihipStream_tbEUljE_EEESW_SX_SY_S15_S19_S1B_T6_T7_T9_mT8_S1D_bDpT10_ENKUlT_T0_E_clISt17integral_constantIbLb0EES1Q_EEDaS1L_S1M_EUlS1L_E_NS1_11comp_targetILNS1_3genE5ELNS1_11target_archE942ELNS1_3gpuE9ELNS1_3repE0EEENS1_30default_config_static_selectorELNS0_4arch9wavefront6targetE0EEEvSZ_,"axG",@progbits,_ZN7rocprim17ROCPRIM_400000_NS6detail17trampoline_kernelINS0_13select_configILj256ELj13ELNS0_17block_load_methodE3ELS4_3ELS4_3ELNS0_20block_scan_algorithmE0ELj4294967295EEENS1_25partition_config_selectorILNS1_17partition_subalgoE3EjNS0_10empty_typeEbEEZZNS1_14partition_implILS8_3ELb0ES6_jNS0_17counting_iteratorIjlEEPS9_SE_NS0_5tupleIJPjSE_EEENSF_IJSE_SE_EEES9_SG_JZNS1_25segmented_radix_sort_implINS0_14default_configELb0EPK12hip_bfloat16PSL_PKlPlN2at6native12_GLOBAL__N_18offset_tEEE10hipError_tPvRmT1_PNSt15iterator_traitsISZ_E10value_typeET2_T3_PNS10_IS15_E10value_typeET4_jRbjT5_S1B_jjP12ihipStream_tbEUljE_EEESW_SX_SY_S15_S19_S1B_T6_T7_T9_mT8_S1D_bDpT10_ENKUlT_T0_E_clISt17integral_constantIbLb0EES1Q_EEDaS1L_S1M_EUlS1L_E_NS1_11comp_targetILNS1_3genE5ELNS1_11target_archE942ELNS1_3gpuE9ELNS1_3repE0EEENS1_30default_config_static_selectorELNS0_4arch9wavefront6targetE0EEEvSZ_,comdat
.Lfunc_end2008:
	.size	_ZN7rocprim17ROCPRIM_400000_NS6detail17trampoline_kernelINS0_13select_configILj256ELj13ELNS0_17block_load_methodE3ELS4_3ELS4_3ELNS0_20block_scan_algorithmE0ELj4294967295EEENS1_25partition_config_selectorILNS1_17partition_subalgoE3EjNS0_10empty_typeEbEEZZNS1_14partition_implILS8_3ELb0ES6_jNS0_17counting_iteratorIjlEEPS9_SE_NS0_5tupleIJPjSE_EEENSF_IJSE_SE_EEES9_SG_JZNS1_25segmented_radix_sort_implINS0_14default_configELb0EPK12hip_bfloat16PSL_PKlPlN2at6native12_GLOBAL__N_18offset_tEEE10hipError_tPvRmT1_PNSt15iterator_traitsISZ_E10value_typeET2_T3_PNS10_IS15_E10value_typeET4_jRbjT5_S1B_jjP12ihipStream_tbEUljE_EEESW_SX_SY_S15_S19_S1B_T6_T7_T9_mT8_S1D_bDpT10_ENKUlT_T0_E_clISt17integral_constantIbLb0EES1Q_EEDaS1L_S1M_EUlS1L_E_NS1_11comp_targetILNS1_3genE5ELNS1_11target_archE942ELNS1_3gpuE9ELNS1_3repE0EEENS1_30default_config_static_selectorELNS0_4arch9wavefront6targetE0EEEvSZ_, .Lfunc_end2008-_ZN7rocprim17ROCPRIM_400000_NS6detail17trampoline_kernelINS0_13select_configILj256ELj13ELNS0_17block_load_methodE3ELS4_3ELS4_3ELNS0_20block_scan_algorithmE0ELj4294967295EEENS1_25partition_config_selectorILNS1_17partition_subalgoE3EjNS0_10empty_typeEbEEZZNS1_14partition_implILS8_3ELb0ES6_jNS0_17counting_iteratorIjlEEPS9_SE_NS0_5tupleIJPjSE_EEENSF_IJSE_SE_EEES9_SG_JZNS1_25segmented_radix_sort_implINS0_14default_configELb0EPK12hip_bfloat16PSL_PKlPlN2at6native12_GLOBAL__N_18offset_tEEE10hipError_tPvRmT1_PNSt15iterator_traitsISZ_E10value_typeET2_T3_PNS10_IS15_E10value_typeET4_jRbjT5_S1B_jjP12ihipStream_tbEUljE_EEESW_SX_SY_S15_S19_S1B_T6_T7_T9_mT8_S1D_bDpT10_ENKUlT_T0_E_clISt17integral_constantIbLb0EES1Q_EEDaS1L_S1M_EUlS1L_E_NS1_11comp_targetILNS1_3genE5ELNS1_11target_archE942ELNS1_3gpuE9ELNS1_3repE0EEENS1_30default_config_static_selectorELNS0_4arch9wavefront6targetE0EEEvSZ_
                                        ; -- End function
	.set _ZN7rocprim17ROCPRIM_400000_NS6detail17trampoline_kernelINS0_13select_configILj256ELj13ELNS0_17block_load_methodE3ELS4_3ELS4_3ELNS0_20block_scan_algorithmE0ELj4294967295EEENS1_25partition_config_selectorILNS1_17partition_subalgoE3EjNS0_10empty_typeEbEEZZNS1_14partition_implILS8_3ELb0ES6_jNS0_17counting_iteratorIjlEEPS9_SE_NS0_5tupleIJPjSE_EEENSF_IJSE_SE_EEES9_SG_JZNS1_25segmented_radix_sort_implINS0_14default_configELb0EPK12hip_bfloat16PSL_PKlPlN2at6native12_GLOBAL__N_18offset_tEEE10hipError_tPvRmT1_PNSt15iterator_traitsISZ_E10value_typeET2_T3_PNS10_IS15_E10value_typeET4_jRbjT5_S1B_jjP12ihipStream_tbEUljE_EEESW_SX_SY_S15_S19_S1B_T6_T7_T9_mT8_S1D_bDpT10_ENKUlT_T0_E_clISt17integral_constantIbLb0EES1Q_EEDaS1L_S1M_EUlS1L_E_NS1_11comp_targetILNS1_3genE5ELNS1_11target_archE942ELNS1_3gpuE9ELNS1_3repE0EEENS1_30default_config_static_selectorELNS0_4arch9wavefront6targetE0EEEvSZ_.num_vgpr, 0
	.set _ZN7rocprim17ROCPRIM_400000_NS6detail17trampoline_kernelINS0_13select_configILj256ELj13ELNS0_17block_load_methodE3ELS4_3ELS4_3ELNS0_20block_scan_algorithmE0ELj4294967295EEENS1_25partition_config_selectorILNS1_17partition_subalgoE3EjNS0_10empty_typeEbEEZZNS1_14partition_implILS8_3ELb0ES6_jNS0_17counting_iteratorIjlEEPS9_SE_NS0_5tupleIJPjSE_EEENSF_IJSE_SE_EEES9_SG_JZNS1_25segmented_radix_sort_implINS0_14default_configELb0EPK12hip_bfloat16PSL_PKlPlN2at6native12_GLOBAL__N_18offset_tEEE10hipError_tPvRmT1_PNSt15iterator_traitsISZ_E10value_typeET2_T3_PNS10_IS15_E10value_typeET4_jRbjT5_S1B_jjP12ihipStream_tbEUljE_EEESW_SX_SY_S15_S19_S1B_T6_T7_T9_mT8_S1D_bDpT10_ENKUlT_T0_E_clISt17integral_constantIbLb0EES1Q_EEDaS1L_S1M_EUlS1L_E_NS1_11comp_targetILNS1_3genE5ELNS1_11target_archE942ELNS1_3gpuE9ELNS1_3repE0EEENS1_30default_config_static_selectorELNS0_4arch9wavefront6targetE0EEEvSZ_.num_agpr, 0
	.set _ZN7rocprim17ROCPRIM_400000_NS6detail17trampoline_kernelINS0_13select_configILj256ELj13ELNS0_17block_load_methodE3ELS4_3ELS4_3ELNS0_20block_scan_algorithmE0ELj4294967295EEENS1_25partition_config_selectorILNS1_17partition_subalgoE3EjNS0_10empty_typeEbEEZZNS1_14partition_implILS8_3ELb0ES6_jNS0_17counting_iteratorIjlEEPS9_SE_NS0_5tupleIJPjSE_EEENSF_IJSE_SE_EEES9_SG_JZNS1_25segmented_radix_sort_implINS0_14default_configELb0EPK12hip_bfloat16PSL_PKlPlN2at6native12_GLOBAL__N_18offset_tEEE10hipError_tPvRmT1_PNSt15iterator_traitsISZ_E10value_typeET2_T3_PNS10_IS15_E10value_typeET4_jRbjT5_S1B_jjP12ihipStream_tbEUljE_EEESW_SX_SY_S15_S19_S1B_T6_T7_T9_mT8_S1D_bDpT10_ENKUlT_T0_E_clISt17integral_constantIbLb0EES1Q_EEDaS1L_S1M_EUlS1L_E_NS1_11comp_targetILNS1_3genE5ELNS1_11target_archE942ELNS1_3gpuE9ELNS1_3repE0EEENS1_30default_config_static_selectorELNS0_4arch9wavefront6targetE0EEEvSZ_.numbered_sgpr, 0
	.set _ZN7rocprim17ROCPRIM_400000_NS6detail17trampoline_kernelINS0_13select_configILj256ELj13ELNS0_17block_load_methodE3ELS4_3ELS4_3ELNS0_20block_scan_algorithmE0ELj4294967295EEENS1_25partition_config_selectorILNS1_17partition_subalgoE3EjNS0_10empty_typeEbEEZZNS1_14partition_implILS8_3ELb0ES6_jNS0_17counting_iteratorIjlEEPS9_SE_NS0_5tupleIJPjSE_EEENSF_IJSE_SE_EEES9_SG_JZNS1_25segmented_radix_sort_implINS0_14default_configELb0EPK12hip_bfloat16PSL_PKlPlN2at6native12_GLOBAL__N_18offset_tEEE10hipError_tPvRmT1_PNSt15iterator_traitsISZ_E10value_typeET2_T3_PNS10_IS15_E10value_typeET4_jRbjT5_S1B_jjP12ihipStream_tbEUljE_EEESW_SX_SY_S15_S19_S1B_T6_T7_T9_mT8_S1D_bDpT10_ENKUlT_T0_E_clISt17integral_constantIbLb0EES1Q_EEDaS1L_S1M_EUlS1L_E_NS1_11comp_targetILNS1_3genE5ELNS1_11target_archE942ELNS1_3gpuE9ELNS1_3repE0EEENS1_30default_config_static_selectorELNS0_4arch9wavefront6targetE0EEEvSZ_.num_named_barrier, 0
	.set _ZN7rocprim17ROCPRIM_400000_NS6detail17trampoline_kernelINS0_13select_configILj256ELj13ELNS0_17block_load_methodE3ELS4_3ELS4_3ELNS0_20block_scan_algorithmE0ELj4294967295EEENS1_25partition_config_selectorILNS1_17partition_subalgoE3EjNS0_10empty_typeEbEEZZNS1_14partition_implILS8_3ELb0ES6_jNS0_17counting_iteratorIjlEEPS9_SE_NS0_5tupleIJPjSE_EEENSF_IJSE_SE_EEES9_SG_JZNS1_25segmented_radix_sort_implINS0_14default_configELb0EPK12hip_bfloat16PSL_PKlPlN2at6native12_GLOBAL__N_18offset_tEEE10hipError_tPvRmT1_PNSt15iterator_traitsISZ_E10value_typeET2_T3_PNS10_IS15_E10value_typeET4_jRbjT5_S1B_jjP12ihipStream_tbEUljE_EEESW_SX_SY_S15_S19_S1B_T6_T7_T9_mT8_S1D_bDpT10_ENKUlT_T0_E_clISt17integral_constantIbLb0EES1Q_EEDaS1L_S1M_EUlS1L_E_NS1_11comp_targetILNS1_3genE5ELNS1_11target_archE942ELNS1_3gpuE9ELNS1_3repE0EEENS1_30default_config_static_selectorELNS0_4arch9wavefront6targetE0EEEvSZ_.private_seg_size, 0
	.set _ZN7rocprim17ROCPRIM_400000_NS6detail17trampoline_kernelINS0_13select_configILj256ELj13ELNS0_17block_load_methodE3ELS4_3ELS4_3ELNS0_20block_scan_algorithmE0ELj4294967295EEENS1_25partition_config_selectorILNS1_17partition_subalgoE3EjNS0_10empty_typeEbEEZZNS1_14partition_implILS8_3ELb0ES6_jNS0_17counting_iteratorIjlEEPS9_SE_NS0_5tupleIJPjSE_EEENSF_IJSE_SE_EEES9_SG_JZNS1_25segmented_radix_sort_implINS0_14default_configELb0EPK12hip_bfloat16PSL_PKlPlN2at6native12_GLOBAL__N_18offset_tEEE10hipError_tPvRmT1_PNSt15iterator_traitsISZ_E10value_typeET2_T3_PNS10_IS15_E10value_typeET4_jRbjT5_S1B_jjP12ihipStream_tbEUljE_EEESW_SX_SY_S15_S19_S1B_T6_T7_T9_mT8_S1D_bDpT10_ENKUlT_T0_E_clISt17integral_constantIbLb0EES1Q_EEDaS1L_S1M_EUlS1L_E_NS1_11comp_targetILNS1_3genE5ELNS1_11target_archE942ELNS1_3gpuE9ELNS1_3repE0EEENS1_30default_config_static_selectorELNS0_4arch9wavefront6targetE0EEEvSZ_.uses_vcc, 0
	.set _ZN7rocprim17ROCPRIM_400000_NS6detail17trampoline_kernelINS0_13select_configILj256ELj13ELNS0_17block_load_methodE3ELS4_3ELS4_3ELNS0_20block_scan_algorithmE0ELj4294967295EEENS1_25partition_config_selectorILNS1_17partition_subalgoE3EjNS0_10empty_typeEbEEZZNS1_14partition_implILS8_3ELb0ES6_jNS0_17counting_iteratorIjlEEPS9_SE_NS0_5tupleIJPjSE_EEENSF_IJSE_SE_EEES9_SG_JZNS1_25segmented_radix_sort_implINS0_14default_configELb0EPK12hip_bfloat16PSL_PKlPlN2at6native12_GLOBAL__N_18offset_tEEE10hipError_tPvRmT1_PNSt15iterator_traitsISZ_E10value_typeET2_T3_PNS10_IS15_E10value_typeET4_jRbjT5_S1B_jjP12ihipStream_tbEUljE_EEESW_SX_SY_S15_S19_S1B_T6_T7_T9_mT8_S1D_bDpT10_ENKUlT_T0_E_clISt17integral_constantIbLb0EES1Q_EEDaS1L_S1M_EUlS1L_E_NS1_11comp_targetILNS1_3genE5ELNS1_11target_archE942ELNS1_3gpuE9ELNS1_3repE0EEENS1_30default_config_static_selectorELNS0_4arch9wavefront6targetE0EEEvSZ_.uses_flat_scratch, 0
	.set _ZN7rocprim17ROCPRIM_400000_NS6detail17trampoline_kernelINS0_13select_configILj256ELj13ELNS0_17block_load_methodE3ELS4_3ELS4_3ELNS0_20block_scan_algorithmE0ELj4294967295EEENS1_25partition_config_selectorILNS1_17partition_subalgoE3EjNS0_10empty_typeEbEEZZNS1_14partition_implILS8_3ELb0ES6_jNS0_17counting_iteratorIjlEEPS9_SE_NS0_5tupleIJPjSE_EEENSF_IJSE_SE_EEES9_SG_JZNS1_25segmented_radix_sort_implINS0_14default_configELb0EPK12hip_bfloat16PSL_PKlPlN2at6native12_GLOBAL__N_18offset_tEEE10hipError_tPvRmT1_PNSt15iterator_traitsISZ_E10value_typeET2_T3_PNS10_IS15_E10value_typeET4_jRbjT5_S1B_jjP12ihipStream_tbEUljE_EEESW_SX_SY_S15_S19_S1B_T6_T7_T9_mT8_S1D_bDpT10_ENKUlT_T0_E_clISt17integral_constantIbLb0EES1Q_EEDaS1L_S1M_EUlS1L_E_NS1_11comp_targetILNS1_3genE5ELNS1_11target_archE942ELNS1_3gpuE9ELNS1_3repE0EEENS1_30default_config_static_selectorELNS0_4arch9wavefront6targetE0EEEvSZ_.has_dyn_sized_stack, 0
	.set _ZN7rocprim17ROCPRIM_400000_NS6detail17trampoline_kernelINS0_13select_configILj256ELj13ELNS0_17block_load_methodE3ELS4_3ELS4_3ELNS0_20block_scan_algorithmE0ELj4294967295EEENS1_25partition_config_selectorILNS1_17partition_subalgoE3EjNS0_10empty_typeEbEEZZNS1_14partition_implILS8_3ELb0ES6_jNS0_17counting_iteratorIjlEEPS9_SE_NS0_5tupleIJPjSE_EEENSF_IJSE_SE_EEES9_SG_JZNS1_25segmented_radix_sort_implINS0_14default_configELb0EPK12hip_bfloat16PSL_PKlPlN2at6native12_GLOBAL__N_18offset_tEEE10hipError_tPvRmT1_PNSt15iterator_traitsISZ_E10value_typeET2_T3_PNS10_IS15_E10value_typeET4_jRbjT5_S1B_jjP12ihipStream_tbEUljE_EEESW_SX_SY_S15_S19_S1B_T6_T7_T9_mT8_S1D_bDpT10_ENKUlT_T0_E_clISt17integral_constantIbLb0EES1Q_EEDaS1L_S1M_EUlS1L_E_NS1_11comp_targetILNS1_3genE5ELNS1_11target_archE942ELNS1_3gpuE9ELNS1_3repE0EEENS1_30default_config_static_selectorELNS0_4arch9wavefront6targetE0EEEvSZ_.has_recursion, 0
	.set _ZN7rocprim17ROCPRIM_400000_NS6detail17trampoline_kernelINS0_13select_configILj256ELj13ELNS0_17block_load_methodE3ELS4_3ELS4_3ELNS0_20block_scan_algorithmE0ELj4294967295EEENS1_25partition_config_selectorILNS1_17partition_subalgoE3EjNS0_10empty_typeEbEEZZNS1_14partition_implILS8_3ELb0ES6_jNS0_17counting_iteratorIjlEEPS9_SE_NS0_5tupleIJPjSE_EEENSF_IJSE_SE_EEES9_SG_JZNS1_25segmented_radix_sort_implINS0_14default_configELb0EPK12hip_bfloat16PSL_PKlPlN2at6native12_GLOBAL__N_18offset_tEEE10hipError_tPvRmT1_PNSt15iterator_traitsISZ_E10value_typeET2_T3_PNS10_IS15_E10value_typeET4_jRbjT5_S1B_jjP12ihipStream_tbEUljE_EEESW_SX_SY_S15_S19_S1B_T6_T7_T9_mT8_S1D_bDpT10_ENKUlT_T0_E_clISt17integral_constantIbLb0EES1Q_EEDaS1L_S1M_EUlS1L_E_NS1_11comp_targetILNS1_3genE5ELNS1_11target_archE942ELNS1_3gpuE9ELNS1_3repE0EEENS1_30default_config_static_selectorELNS0_4arch9wavefront6targetE0EEEvSZ_.has_indirect_call, 0
	.section	.AMDGPU.csdata,"",@progbits
; Kernel info:
; codeLenInByte = 0
; TotalNumSgprs: 0
; NumVgprs: 0
; ScratchSize: 0
; MemoryBound: 0
; FloatMode: 240
; IeeeMode: 1
; LDSByteSize: 0 bytes/workgroup (compile time only)
; SGPRBlocks: 0
; VGPRBlocks: 0
; NumSGPRsForWavesPerEU: 1
; NumVGPRsForWavesPerEU: 1
; Occupancy: 16
; WaveLimiterHint : 0
; COMPUTE_PGM_RSRC2:SCRATCH_EN: 0
; COMPUTE_PGM_RSRC2:USER_SGPR: 6
; COMPUTE_PGM_RSRC2:TRAP_HANDLER: 0
; COMPUTE_PGM_RSRC2:TGID_X_EN: 1
; COMPUTE_PGM_RSRC2:TGID_Y_EN: 0
; COMPUTE_PGM_RSRC2:TGID_Z_EN: 0
; COMPUTE_PGM_RSRC2:TIDIG_COMP_CNT: 0
	.section	.text._ZN7rocprim17ROCPRIM_400000_NS6detail17trampoline_kernelINS0_13select_configILj256ELj13ELNS0_17block_load_methodE3ELS4_3ELS4_3ELNS0_20block_scan_algorithmE0ELj4294967295EEENS1_25partition_config_selectorILNS1_17partition_subalgoE3EjNS0_10empty_typeEbEEZZNS1_14partition_implILS8_3ELb0ES6_jNS0_17counting_iteratorIjlEEPS9_SE_NS0_5tupleIJPjSE_EEENSF_IJSE_SE_EEES9_SG_JZNS1_25segmented_radix_sort_implINS0_14default_configELb0EPK12hip_bfloat16PSL_PKlPlN2at6native12_GLOBAL__N_18offset_tEEE10hipError_tPvRmT1_PNSt15iterator_traitsISZ_E10value_typeET2_T3_PNS10_IS15_E10value_typeET4_jRbjT5_S1B_jjP12ihipStream_tbEUljE_EEESW_SX_SY_S15_S19_S1B_T6_T7_T9_mT8_S1D_bDpT10_ENKUlT_T0_E_clISt17integral_constantIbLb0EES1Q_EEDaS1L_S1M_EUlS1L_E_NS1_11comp_targetILNS1_3genE4ELNS1_11target_archE910ELNS1_3gpuE8ELNS1_3repE0EEENS1_30default_config_static_selectorELNS0_4arch9wavefront6targetE0EEEvSZ_,"axG",@progbits,_ZN7rocprim17ROCPRIM_400000_NS6detail17trampoline_kernelINS0_13select_configILj256ELj13ELNS0_17block_load_methodE3ELS4_3ELS4_3ELNS0_20block_scan_algorithmE0ELj4294967295EEENS1_25partition_config_selectorILNS1_17partition_subalgoE3EjNS0_10empty_typeEbEEZZNS1_14partition_implILS8_3ELb0ES6_jNS0_17counting_iteratorIjlEEPS9_SE_NS0_5tupleIJPjSE_EEENSF_IJSE_SE_EEES9_SG_JZNS1_25segmented_radix_sort_implINS0_14default_configELb0EPK12hip_bfloat16PSL_PKlPlN2at6native12_GLOBAL__N_18offset_tEEE10hipError_tPvRmT1_PNSt15iterator_traitsISZ_E10value_typeET2_T3_PNS10_IS15_E10value_typeET4_jRbjT5_S1B_jjP12ihipStream_tbEUljE_EEESW_SX_SY_S15_S19_S1B_T6_T7_T9_mT8_S1D_bDpT10_ENKUlT_T0_E_clISt17integral_constantIbLb0EES1Q_EEDaS1L_S1M_EUlS1L_E_NS1_11comp_targetILNS1_3genE4ELNS1_11target_archE910ELNS1_3gpuE8ELNS1_3repE0EEENS1_30default_config_static_selectorELNS0_4arch9wavefront6targetE0EEEvSZ_,comdat
	.globl	_ZN7rocprim17ROCPRIM_400000_NS6detail17trampoline_kernelINS0_13select_configILj256ELj13ELNS0_17block_load_methodE3ELS4_3ELS4_3ELNS0_20block_scan_algorithmE0ELj4294967295EEENS1_25partition_config_selectorILNS1_17partition_subalgoE3EjNS0_10empty_typeEbEEZZNS1_14partition_implILS8_3ELb0ES6_jNS0_17counting_iteratorIjlEEPS9_SE_NS0_5tupleIJPjSE_EEENSF_IJSE_SE_EEES9_SG_JZNS1_25segmented_radix_sort_implINS0_14default_configELb0EPK12hip_bfloat16PSL_PKlPlN2at6native12_GLOBAL__N_18offset_tEEE10hipError_tPvRmT1_PNSt15iterator_traitsISZ_E10value_typeET2_T3_PNS10_IS15_E10value_typeET4_jRbjT5_S1B_jjP12ihipStream_tbEUljE_EEESW_SX_SY_S15_S19_S1B_T6_T7_T9_mT8_S1D_bDpT10_ENKUlT_T0_E_clISt17integral_constantIbLb0EES1Q_EEDaS1L_S1M_EUlS1L_E_NS1_11comp_targetILNS1_3genE4ELNS1_11target_archE910ELNS1_3gpuE8ELNS1_3repE0EEENS1_30default_config_static_selectorELNS0_4arch9wavefront6targetE0EEEvSZ_ ; -- Begin function _ZN7rocprim17ROCPRIM_400000_NS6detail17trampoline_kernelINS0_13select_configILj256ELj13ELNS0_17block_load_methodE3ELS4_3ELS4_3ELNS0_20block_scan_algorithmE0ELj4294967295EEENS1_25partition_config_selectorILNS1_17partition_subalgoE3EjNS0_10empty_typeEbEEZZNS1_14partition_implILS8_3ELb0ES6_jNS0_17counting_iteratorIjlEEPS9_SE_NS0_5tupleIJPjSE_EEENSF_IJSE_SE_EEES9_SG_JZNS1_25segmented_radix_sort_implINS0_14default_configELb0EPK12hip_bfloat16PSL_PKlPlN2at6native12_GLOBAL__N_18offset_tEEE10hipError_tPvRmT1_PNSt15iterator_traitsISZ_E10value_typeET2_T3_PNS10_IS15_E10value_typeET4_jRbjT5_S1B_jjP12ihipStream_tbEUljE_EEESW_SX_SY_S15_S19_S1B_T6_T7_T9_mT8_S1D_bDpT10_ENKUlT_T0_E_clISt17integral_constantIbLb0EES1Q_EEDaS1L_S1M_EUlS1L_E_NS1_11comp_targetILNS1_3genE4ELNS1_11target_archE910ELNS1_3gpuE8ELNS1_3repE0EEENS1_30default_config_static_selectorELNS0_4arch9wavefront6targetE0EEEvSZ_
	.p2align	8
	.type	_ZN7rocprim17ROCPRIM_400000_NS6detail17trampoline_kernelINS0_13select_configILj256ELj13ELNS0_17block_load_methodE3ELS4_3ELS4_3ELNS0_20block_scan_algorithmE0ELj4294967295EEENS1_25partition_config_selectorILNS1_17partition_subalgoE3EjNS0_10empty_typeEbEEZZNS1_14partition_implILS8_3ELb0ES6_jNS0_17counting_iteratorIjlEEPS9_SE_NS0_5tupleIJPjSE_EEENSF_IJSE_SE_EEES9_SG_JZNS1_25segmented_radix_sort_implINS0_14default_configELb0EPK12hip_bfloat16PSL_PKlPlN2at6native12_GLOBAL__N_18offset_tEEE10hipError_tPvRmT1_PNSt15iterator_traitsISZ_E10value_typeET2_T3_PNS10_IS15_E10value_typeET4_jRbjT5_S1B_jjP12ihipStream_tbEUljE_EEESW_SX_SY_S15_S19_S1B_T6_T7_T9_mT8_S1D_bDpT10_ENKUlT_T0_E_clISt17integral_constantIbLb0EES1Q_EEDaS1L_S1M_EUlS1L_E_NS1_11comp_targetILNS1_3genE4ELNS1_11target_archE910ELNS1_3gpuE8ELNS1_3repE0EEENS1_30default_config_static_selectorELNS0_4arch9wavefront6targetE0EEEvSZ_,@function
_ZN7rocprim17ROCPRIM_400000_NS6detail17trampoline_kernelINS0_13select_configILj256ELj13ELNS0_17block_load_methodE3ELS4_3ELS4_3ELNS0_20block_scan_algorithmE0ELj4294967295EEENS1_25partition_config_selectorILNS1_17partition_subalgoE3EjNS0_10empty_typeEbEEZZNS1_14partition_implILS8_3ELb0ES6_jNS0_17counting_iteratorIjlEEPS9_SE_NS0_5tupleIJPjSE_EEENSF_IJSE_SE_EEES9_SG_JZNS1_25segmented_radix_sort_implINS0_14default_configELb0EPK12hip_bfloat16PSL_PKlPlN2at6native12_GLOBAL__N_18offset_tEEE10hipError_tPvRmT1_PNSt15iterator_traitsISZ_E10value_typeET2_T3_PNS10_IS15_E10value_typeET4_jRbjT5_S1B_jjP12ihipStream_tbEUljE_EEESW_SX_SY_S15_S19_S1B_T6_T7_T9_mT8_S1D_bDpT10_ENKUlT_T0_E_clISt17integral_constantIbLb0EES1Q_EEDaS1L_S1M_EUlS1L_E_NS1_11comp_targetILNS1_3genE4ELNS1_11target_archE910ELNS1_3gpuE8ELNS1_3repE0EEENS1_30default_config_static_selectorELNS0_4arch9wavefront6targetE0EEEvSZ_: ; @_ZN7rocprim17ROCPRIM_400000_NS6detail17trampoline_kernelINS0_13select_configILj256ELj13ELNS0_17block_load_methodE3ELS4_3ELS4_3ELNS0_20block_scan_algorithmE0ELj4294967295EEENS1_25partition_config_selectorILNS1_17partition_subalgoE3EjNS0_10empty_typeEbEEZZNS1_14partition_implILS8_3ELb0ES6_jNS0_17counting_iteratorIjlEEPS9_SE_NS0_5tupleIJPjSE_EEENSF_IJSE_SE_EEES9_SG_JZNS1_25segmented_radix_sort_implINS0_14default_configELb0EPK12hip_bfloat16PSL_PKlPlN2at6native12_GLOBAL__N_18offset_tEEE10hipError_tPvRmT1_PNSt15iterator_traitsISZ_E10value_typeET2_T3_PNS10_IS15_E10value_typeET4_jRbjT5_S1B_jjP12ihipStream_tbEUljE_EEESW_SX_SY_S15_S19_S1B_T6_T7_T9_mT8_S1D_bDpT10_ENKUlT_T0_E_clISt17integral_constantIbLb0EES1Q_EEDaS1L_S1M_EUlS1L_E_NS1_11comp_targetILNS1_3genE4ELNS1_11target_archE910ELNS1_3gpuE8ELNS1_3repE0EEENS1_30default_config_static_selectorELNS0_4arch9wavefront6targetE0EEEvSZ_
; %bb.0:
	.section	.rodata,"a",@progbits
	.p2align	6, 0x0
	.amdhsa_kernel _ZN7rocprim17ROCPRIM_400000_NS6detail17trampoline_kernelINS0_13select_configILj256ELj13ELNS0_17block_load_methodE3ELS4_3ELS4_3ELNS0_20block_scan_algorithmE0ELj4294967295EEENS1_25partition_config_selectorILNS1_17partition_subalgoE3EjNS0_10empty_typeEbEEZZNS1_14partition_implILS8_3ELb0ES6_jNS0_17counting_iteratorIjlEEPS9_SE_NS0_5tupleIJPjSE_EEENSF_IJSE_SE_EEES9_SG_JZNS1_25segmented_radix_sort_implINS0_14default_configELb0EPK12hip_bfloat16PSL_PKlPlN2at6native12_GLOBAL__N_18offset_tEEE10hipError_tPvRmT1_PNSt15iterator_traitsISZ_E10value_typeET2_T3_PNS10_IS15_E10value_typeET4_jRbjT5_S1B_jjP12ihipStream_tbEUljE_EEESW_SX_SY_S15_S19_S1B_T6_T7_T9_mT8_S1D_bDpT10_ENKUlT_T0_E_clISt17integral_constantIbLb0EES1Q_EEDaS1L_S1M_EUlS1L_E_NS1_11comp_targetILNS1_3genE4ELNS1_11target_archE910ELNS1_3gpuE8ELNS1_3repE0EEENS1_30default_config_static_selectorELNS0_4arch9wavefront6targetE0EEEvSZ_
		.amdhsa_group_segment_fixed_size 0
		.amdhsa_private_segment_fixed_size 0
		.amdhsa_kernarg_size 144
		.amdhsa_user_sgpr_count 6
		.amdhsa_user_sgpr_private_segment_buffer 1
		.amdhsa_user_sgpr_dispatch_ptr 0
		.amdhsa_user_sgpr_queue_ptr 0
		.amdhsa_user_sgpr_kernarg_segment_ptr 1
		.amdhsa_user_sgpr_dispatch_id 0
		.amdhsa_user_sgpr_flat_scratch_init 0
		.amdhsa_user_sgpr_private_segment_size 0
		.amdhsa_wavefront_size32 1
		.amdhsa_uses_dynamic_stack 0
		.amdhsa_system_sgpr_private_segment_wavefront_offset 0
		.amdhsa_system_sgpr_workgroup_id_x 1
		.amdhsa_system_sgpr_workgroup_id_y 0
		.amdhsa_system_sgpr_workgroup_id_z 0
		.amdhsa_system_sgpr_workgroup_info 0
		.amdhsa_system_vgpr_workitem_id 0
		.amdhsa_next_free_vgpr 1
		.amdhsa_next_free_sgpr 1
		.amdhsa_reserve_vcc 0
		.amdhsa_reserve_flat_scratch 0
		.amdhsa_float_round_mode_32 0
		.amdhsa_float_round_mode_16_64 0
		.amdhsa_float_denorm_mode_32 3
		.amdhsa_float_denorm_mode_16_64 3
		.amdhsa_dx10_clamp 1
		.amdhsa_ieee_mode 1
		.amdhsa_fp16_overflow 0
		.amdhsa_workgroup_processor_mode 1
		.amdhsa_memory_ordered 1
		.amdhsa_forward_progress 1
		.amdhsa_shared_vgpr_count 0
		.amdhsa_exception_fp_ieee_invalid_op 0
		.amdhsa_exception_fp_denorm_src 0
		.amdhsa_exception_fp_ieee_div_zero 0
		.amdhsa_exception_fp_ieee_overflow 0
		.amdhsa_exception_fp_ieee_underflow 0
		.amdhsa_exception_fp_ieee_inexact 0
		.amdhsa_exception_int_div_zero 0
	.end_amdhsa_kernel
	.section	.text._ZN7rocprim17ROCPRIM_400000_NS6detail17trampoline_kernelINS0_13select_configILj256ELj13ELNS0_17block_load_methodE3ELS4_3ELS4_3ELNS0_20block_scan_algorithmE0ELj4294967295EEENS1_25partition_config_selectorILNS1_17partition_subalgoE3EjNS0_10empty_typeEbEEZZNS1_14partition_implILS8_3ELb0ES6_jNS0_17counting_iteratorIjlEEPS9_SE_NS0_5tupleIJPjSE_EEENSF_IJSE_SE_EEES9_SG_JZNS1_25segmented_radix_sort_implINS0_14default_configELb0EPK12hip_bfloat16PSL_PKlPlN2at6native12_GLOBAL__N_18offset_tEEE10hipError_tPvRmT1_PNSt15iterator_traitsISZ_E10value_typeET2_T3_PNS10_IS15_E10value_typeET4_jRbjT5_S1B_jjP12ihipStream_tbEUljE_EEESW_SX_SY_S15_S19_S1B_T6_T7_T9_mT8_S1D_bDpT10_ENKUlT_T0_E_clISt17integral_constantIbLb0EES1Q_EEDaS1L_S1M_EUlS1L_E_NS1_11comp_targetILNS1_3genE4ELNS1_11target_archE910ELNS1_3gpuE8ELNS1_3repE0EEENS1_30default_config_static_selectorELNS0_4arch9wavefront6targetE0EEEvSZ_,"axG",@progbits,_ZN7rocprim17ROCPRIM_400000_NS6detail17trampoline_kernelINS0_13select_configILj256ELj13ELNS0_17block_load_methodE3ELS4_3ELS4_3ELNS0_20block_scan_algorithmE0ELj4294967295EEENS1_25partition_config_selectorILNS1_17partition_subalgoE3EjNS0_10empty_typeEbEEZZNS1_14partition_implILS8_3ELb0ES6_jNS0_17counting_iteratorIjlEEPS9_SE_NS0_5tupleIJPjSE_EEENSF_IJSE_SE_EEES9_SG_JZNS1_25segmented_radix_sort_implINS0_14default_configELb0EPK12hip_bfloat16PSL_PKlPlN2at6native12_GLOBAL__N_18offset_tEEE10hipError_tPvRmT1_PNSt15iterator_traitsISZ_E10value_typeET2_T3_PNS10_IS15_E10value_typeET4_jRbjT5_S1B_jjP12ihipStream_tbEUljE_EEESW_SX_SY_S15_S19_S1B_T6_T7_T9_mT8_S1D_bDpT10_ENKUlT_T0_E_clISt17integral_constantIbLb0EES1Q_EEDaS1L_S1M_EUlS1L_E_NS1_11comp_targetILNS1_3genE4ELNS1_11target_archE910ELNS1_3gpuE8ELNS1_3repE0EEENS1_30default_config_static_selectorELNS0_4arch9wavefront6targetE0EEEvSZ_,comdat
.Lfunc_end2009:
	.size	_ZN7rocprim17ROCPRIM_400000_NS6detail17trampoline_kernelINS0_13select_configILj256ELj13ELNS0_17block_load_methodE3ELS4_3ELS4_3ELNS0_20block_scan_algorithmE0ELj4294967295EEENS1_25partition_config_selectorILNS1_17partition_subalgoE3EjNS0_10empty_typeEbEEZZNS1_14partition_implILS8_3ELb0ES6_jNS0_17counting_iteratorIjlEEPS9_SE_NS0_5tupleIJPjSE_EEENSF_IJSE_SE_EEES9_SG_JZNS1_25segmented_radix_sort_implINS0_14default_configELb0EPK12hip_bfloat16PSL_PKlPlN2at6native12_GLOBAL__N_18offset_tEEE10hipError_tPvRmT1_PNSt15iterator_traitsISZ_E10value_typeET2_T3_PNS10_IS15_E10value_typeET4_jRbjT5_S1B_jjP12ihipStream_tbEUljE_EEESW_SX_SY_S15_S19_S1B_T6_T7_T9_mT8_S1D_bDpT10_ENKUlT_T0_E_clISt17integral_constantIbLb0EES1Q_EEDaS1L_S1M_EUlS1L_E_NS1_11comp_targetILNS1_3genE4ELNS1_11target_archE910ELNS1_3gpuE8ELNS1_3repE0EEENS1_30default_config_static_selectorELNS0_4arch9wavefront6targetE0EEEvSZ_, .Lfunc_end2009-_ZN7rocprim17ROCPRIM_400000_NS6detail17trampoline_kernelINS0_13select_configILj256ELj13ELNS0_17block_load_methodE3ELS4_3ELS4_3ELNS0_20block_scan_algorithmE0ELj4294967295EEENS1_25partition_config_selectorILNS1_17partition_subalgoE3EjNS0_10empty_typeEbEEZZNS1_14partition_implILS8_3ELb0ES6_jNS0_17counting_iteratorIjlEEPS9_SE_NS0_5tupleIJPjSE_EEENSF_IJSE_SE_EEES9_SG_JZNS1_25segmented_radix_sort_implINS0_14default_configELb0EPK12hip_bfloat16PSL_PKlPlN2at6native12_GLOBAL__N_18offset_tEEE10hipError_tPvRmT1_PNSt15iterator_traitsISZ_E10value_typeET2_T3_PNS10_IS15_E10value_typeET4_jRbjT5_S1B_jjP12ihipStream_tbEUljE_EEESW_SX_SY_S15_S19_S1B_T6_T7_T9_mT8_S1D_bDpT10_ENKUlT_T0_E_clISt17integral_constantIbLb0EES1Q_EEDaS1L_S1M_EUlS1L_E_NS1_11comp_targetILNS1_3genE4ELNS1_11target_archE910ELNS1_3gpuE8ELNS1_3repE0EEENS1_30default_config_static_selectorELNS0_4arch9wavefront6targetE0EEEvSZ_
                                        ; -- End function
	.set _ZN7rocprim17ROCPRIM_400000_NS6detail17trampoline_kernelINS0_13select_configILj256ELj13ELNS0_17block_load_methodE3ELS4_3ELS4_3ELNS0_20block_scan_algorithmE0ELj4294967295EEENS1_25partition_config_selectorILNS1_17partition_subalgoE3EjNS0_10empty_typeEbEEZZNS1_14partition_implILS8_3ELb0ES6_jNS0_17counting_iteratorIjlEEPS9_SE_NS0_5tupleIJPjSE_EEENSF_IJSE_SE_EEES9_SG_JZNS1_25segmented_radix_sort_implINS0_14default_configELb0EPK12hip_bfloat16PSL_PKlPlN2at6native12_GLOBAL__N_18offset_tEEE10hipError_tPvRmT1_PNSt15iterator_traitsISZ_E10value_typeET2_T3_PNS10_IS15_E10value_typeET4_jRbjT5_S1B_jjP12ihipStream_tbEUljE_EEESW_SX_SY_S15_S19_S1B_T6_T7_T9_mT8_S1D_bDpT10_ENKUlT_T0_E_clISt17integral_constantIbLb0EES1Q_EEDaS1L_S1M_EUlS1L_E_NS1_11comp_targetILNS1_3genE4ELNS1_11target_archE910ELNS1_3gpuE8ELNS1_3repE0EEENS1_30default_config_static_selectorELNS0_4arch9wavefront6targetE0EEEvSZ_.num_vgpr, 0
	.set _ZN7rocprim17ROCPRIM_400000_NS6detail17trampoline_kernelINS0_13select_configILj256ELj13ELNS0_17block_load_methodE3ELS4_3ELS4_3ELNS0_20block_scan_algorithmE0ELj4294967295EEENS1_25partition_config_selectorILNS1_17partition_subalgoE3EjNS0_10empty_typeEbEEZZNS1_14partition_implILS8_3ELb0ES6_jNS0_17counting_iteratorIjlEEPS9_SE_NS0_5tupleIJPjSE_EEENSF_IJSE_SE_EEES9_SG_JZNS1_25segmented_radix_sort_implINS0_14default_configELb0EPK12hip_bfloat16PSL_PKlPlN2at6native12_GLOBAL__N_18offset_tEEE10hipError_tPvRmT1_PNSt15iterator_traitsISZ_E10value_typeET2_T3_PNS10_IS15_E10value_typeET4_jRbjT5_S1B_jjP12ihipStream_tbEUljE_EEESW_SX_SY_S15_S19_S1B_T6_T7_T9_mT8_S1D_bDpT10_ENKUlT_T0_E_clISt17integral_constantIbLb0EES1Q_EEDaS1L_S1M_EUlS1L_E_NS1_11comp_targetILNS1_3genE4ELNS1_11target_archE910ELNS1_3gpuE8ELNS1_3repE0EEENS1_30default_config_static_selectorELNS0_4arch9wavefront6targetE0EEEvSZ_.num_agpr, 0
	.set _ZN7rocprim17ROCPRIM_400000_NS6detail17trampoline_kernelINS0_13select_configILj256ELj13ELNS0_17block_load_methodE3ELS4_3ELS4_3ELNS0_20block_scan_algorithmE0ELj4294967295EEENS1_25partition_config_selectorILNS1_17partition_subalgoE3EjNS0_10empty_typeEbEEZZNS1_14partition_implILS8_3ELb0ES6_jNS0_17counting_iteratorIjlEEPS9_SE_NS0_5tupleIJPjSE_EEENSF_IJSE_SE_EEES9_SG_JZNS1_25segmented_radix_sort_implINS0_14default_configELb0EPK12hip_bfloat16PSL_PKlPlN2at6native12_GLOBAL__N_18offset_tEEE10hipError_tPvRmT1_PNSt15iterator_traitsISZ_E10value_typeET2_T3_PNS10_IS15_E10value_typeET4_jRbjT5_S1B_jjP12ihipStream_tbEUljE_EEESW_SX_SY_S15_S19_S1B_T6_T7_T9_mT8_S1D_bDpT10_ENKUlT_T0_E_clISt17integral_constantIbLb0EES1Q_EEDaS1L_S1M_EUlS1L_E_NS1_11comp_targetILNS1_3genE4ELNS1_11target_archE910ELNS1_3gpuE8ELNS1_3repE0EEENS1_30default_config_static_selectorELNS0_4arch9wavefront6targetE0EEEvSZ_.numbered_sgpr, 0
	.set _ZN7rocprim17ROCPRIM_400000_NS6detail17trampoline_kernelINS0_13select_configILj256ELj13ELNS0_17block_load_methodE3ELS4_3ELS4_3ELNS0_20block_scan_algorithmE0ELj4294967295EEENS1_25partition_config_selectorILNS1_17partition_subalgoE3EjNS0_10empty_typeEbEEZZNS1_14partition_implILS8_3ELb0ES6_jNS0_17counting_iteratorIjlEEPS9_SE_NS0_5tupleIJPjSE_EEENSF_IJSE_SE_EEES9_SG_JZNS1_25segmented_radix_sort_implINS0_14default_configELb0EPK12hip_bfloat16PSL_PKlPlN2at6native12_GLOBAL__N_18offset_tEEE10hipError_tPvRmT1_PNSt15iterator_traitsISZ_E10value_typeET2_T3_PNS10_IS15_E10value_typeET4_jRbjT5_S1B_jjP12ihipStream_tbEUljE_EEESW_SX_SY_S15_S19_S1B_T6_T7_T9_mT8_S1D_bDpT10_ENKUlT_T0_E_clISt17integral_constantIbLb0EES1Q_EEDaS1L_S1M_EUlS1L_E_NS1_11comp_targetILNS1_3genE4ELNS1_11target_archE910ELNS1_3gpuE8ELNS1_3repE0EEENS1_30default_config_static_selectorELNS0_4arch9wavefront6targetE0EEEvSZ_.num_named_barrier, 0
	.set _ZN7rocprim17ROCPRIM_400000_NS6detail17trampoline_kernelINS0_13select_configILj256ELj13ELNS0_17block_load_methodE3ELS4_3ELS4_3ELNS0_20block_scan_algorithmE0ELj4294967295EEENS1_25partition_config_selectorILNS1_17partition_subalgoE3EjNS0_10empty_typeEbEEZZNS1_14partition_implILS8_3ELb0ES6_jNS0_17counting_iteratorIjlEEPS9_SE_NS0_5tupleIJPjSE_EEENSF_IJSE_SE_EEES9_SG_JZNS1_25segmented_radix_sort_implINS0_14default_configELb0EPK12hip_bfloat16PSL_PKlPlN2at6native12_GLOBAL__N_18offset_tEEE10hipError_tPvRmT1_PNSt15iterator_traitsISZ_E10value_typeET2_T3_PNS10_IS15_E10value_typeET4_jRbjT5_S1B_jjP12ihipStream_tbEUljE_EEESW_SX_SY_S15_S19_S1B_T6_T7_T9_mT8_S1D_bDpT10_ENKUlT_T0_E_clISt17integral_constantIbLb0EES1Q_EEDaS1L_S1M_EUlS1L_E_NS1_11comp_targetILNS1_3genE4ELNS1_11target_archE910ELNS1_3gpuE8ELNS1_3repE0EEENS1_30default_config_static_selectorELNS0_4arch9wavefront6targetE0EEEvSZ_.private_seg_size, 0
	.set _ZN7rocprim17ROCPRIM_400000_NS6detail17trampoline_kernelINS0_13select_configILj256ELj13ELNS0_17block_load_methodE3ELS4_3ELS4_3ELNS0_20block_scan_algorithmE0ELj4294967295EEENS1_25partition_config_selectorILNS1_17partition_subalgoE3EjNS0_10empty_typeEbEEZZNS1_14partition_implILS8_3ELb0ES6_jNS0_17counting_iteratorIjlEEPS9_SE_NS0_5tupleIJPjSE_EEENSF_IJSE_SE_EEES9_SG_JZNS1_25segmented_radix_sort_implINS0_14default_configELb0EPK12hip_bfloat16PSL_PKlPlN2at6native12_GLOBAL__N_18offset_tEEE10hipError_tPvRmT1_PNSt15iterator_traitsISZ_E10value_typeET2_T3_PNS10_IS15_E10value_typeET4_jRbjT5_S1B_jjP12ihipStream_tbEUljE_EEESW_SX_SY_S15_S19_S1B_T6_T7_T9_mT8_S1D_bDpT10_ENKUlT_T0_E_clISt17integral_constantIbLb0EES1Q_EEDaS1L_S1M_EUlS1L_E_NS1_11comp_targetILNS1_3genE4ELNS1_11target_archE910ELNS1_3gpuE8ELNS1_3repE0EEENS1_30default_config_static_selectorELNS0_4arch9wavefront6targetE0EEEvSZ_.uses_vcc, 0
	.set _ZN7rocprim17ROCPRIM_400000_NS6detail17trampoline_kernelINS0_13select_configILj256ELj13ELNS0_17block_load_methodE3ELS4_3ELS4_3ELNS0_20block_scan_algorithmE0ELj4294967295EEENS1_25partition_config_selectorILNS1_17partition_subalgoE3EjNS0_10empty_typeEbEEZZNS1_14partition_implILS8_3ELb0ES6_jNS0_17counting_iteratorIjlEEPS9_SE_NS0_5tupleIJPjSE_EEENSF_IJSE_SE_EEES9_SG_JZNS1_25segmented_radix_sort_implINS0_14default_configELb0EPK12hip_bfloat16PSL_PKlPlN2at6native12_GLOBAL__N_18offset_tEEE10hipError_tPvRmT1_PNSt15iterator_traitsISZ_E10value_typeET2_T3_PNS10_IS15_E10value_typeET4_jRbjT5_S1B_jjP12ihipStream_tbEUljE_EEESW_SX_SY_S15_S19_S1B_T6_T7_T9_mT8_S1D_bDpT10_ENKUlT_T0_E_clISt17integral_constantIbLb0EES1Q_EEDaS1L_S1M_EUlS1L_E_NS1_11comp_targetILNS1_3genE4ELNS1_11target_archE910ELNS1_3gpuE8ELNS1_3repE0EEENS1_30default_config_static_selectorELNS0_4arch9wavefront6targetE0EEEvSZ_.uses_flat_scratch, 0
	.set _ZN7rocprim17ROCPRIM_400000_NS6detail17trampoline_kernelINS0_13select_configILj256ELj13ELNS0_17block_load_methodE3ELS4_3ELS4_3ELNS0_20block_scan_algorithmE0ELj4294967295EEENS1_25partition_config_selectorILNS1_17partition_subalgoE3EjNS0_10empty_typeEbEEZZNS1_14partition_implILS8_3ELb0ES6_jNS0_17counting_iteratorIjlEEPS9_SE_NS0_5tupleIJPjSE_EEENSF_IJSE_SE_EEES9_SG_JZNS1_25segmented_radix_sort_implINS0_14default_configELb0EPK12hip_bfloat16PSL_PKlPlN2at6native12_GLOBAL__N_18offset_tEEE10hipError_tPvRmT1_PNSt15iterator_traitsISZ_E10value_typeET2_T3_PNS10_IS15_E10value_typeET4_jRbjT5_S1B_jjP12ihipStream_tbEUljE_EEESW_SX_SY_S15_S19_S1B_T6_T7_T9_mT8_S1D_bDpT10_ENKUlT_T0_E_clISt17integral_constantIbLb0EES1Q_EEDaS1L_S1M_EUlS1L_E_NS1_11comp_targetILNS1_3genE4ELNS1_11target_archE910ELNS1_3gpuE8ELNS1_3repE0EEENS1_30default_config_static_selectorELNS0_4arch9wavefront6targetE0EEEvSZ_.has_dyn_sized_stack, 0
	.set _ZN7rocprim17ROCPRIM_400000_NS6detail17trampoline_kernelINS0_13select_configILj256ELj13ELNS0_17block_load_methodE3ELS4_3ELS4_3ELNS0_20block_scan_algorithmE0ELj4294967295EEENS1_25partition_config_selectorILNS1_17partition_subalgoE3EjNS0_10empty_typeEbEEZZNS1_14partition_implILS8_3ELb0ES6_jNS0_17counting_iteratorIjlEEPS9_SE_NS0_5tupleIJPjSE_EEENSF_IJSE_SE_EEES9_SG_JZNS1_25segmented_radix_sort_implINS0_14default_configELb0EPK12hip_bfloat16PSL_PKlPlN2at6native12_GLOBAL__N_18offset_tEEE10hipError_tPvRmT1_PNSt15iterator_traitsISZ_E10value_typeET2_T3_PNS10_IS15_E10value_typeET4_jRbjT5_S1B_jjP12ihipStream_tbEUljE_EEESW_SX_SY_S15_S19_S1B_T6_T7_T9_mT8_S1D_bDpT10_ENKUlT_T0_E_clISt17integral_constantIbLb0EES1Q_EEDaS1L_S1M_EUlS1L_E_NS1_11comp_targetILNS1_3genE4ELNS1_11target_archE910ELNS1_3gpuE8ELNS1_3repE0EEENS1_30default_config_static_selectorELNS0_4arch9wavefront6targetE0EEEvSZ_.has_recursion, 0
	.set _ZN7rocprim17ROCPRIM_400000_NS6detail17trampoline_kernelINS0_13select_configILj256ELj13ELNS0_17block_load_methodE3ELS4_3ELS4_3ELNS0_20block_scan_algorithmE0ELj4294967295EEENS1_25partition_config_selectorILNS1_17partition_subalgoE3EjNS0_10empty_typeEbEEZZNS1_14partition_implILS8_3ELb0ES6_jNS0_17counting_iteratorIjlEEPS9_SE_NS0_5tupleIJPjSE_EEENSF_IJSE_SE_EEES9_SG_JZNS1_25segmented_radix_sort_implINS0_14default_configELb0EPK12hip_bfloat16PSL_PKlPlN2at6native12_GLOBAL__N_18offset_tEEE10hipError_tPvRmT1_PNSt15iterator_traitsISZ_E10value_typeET2_T3_PNS10_IS15_E10value_typeET4_jRbjT5_S1B_jjP12ihipStream_tbEUljE_EEESW_SX_SY_S15_S19_S1B_T6_T7_T9_mT8_S1D_bDpT10_ENKUlT_T0_E_clISt17integral_constantIbLb0EES1Q_EEDaS1L_S1M_EUlS1L_E_NS1_11comp_targetILNS1_3genE4ELNS1_11target_archE910ELNS1_3gpuE8ELNS1_3repE0EEENS1_30default_config_static_selectorELNS0_4arch9wavefront6targetE0EEEvSZ_.has_indirect_call, 0
	.section	.AMDGPU.csdata,"",@progbits
; Kernel info:
; codeLenInByte = 0
; TotalNumSgprs: 0
; NumVgprs: 0
; ScratchSize: 0
; MemoryBound: 0
; FloatMode: 240
; IeeeMode: 1
; LDSByteSize: 0 bytes/workgroup (compile time only)
; SGPRBlocks: 0
; VGPRBlocks: 0
; NumSGPRsForWavesPerEU: 1
; NumVGPRsForWavesPerEU: 1
; Occupancy: 16
; WaveLimiterHint : 0
; COMPUTE_PGM_RSRC2:SCRATCH_EN: 0
; COMPUTE_PGM_RSRC2:USER_SGPR: 6
; COMPUTE_PGM_RSRC2:TRAP_HANDLER: 0
; COMPUTE_PGM_RSRC2:TGID_X_EN: 1
; COMPUTE_PGM_RSRC2:TGID_Y_EN: 0
; COMPUTE_PGM_RSRC2:TGID_Z_EN: 0
; COMPUTE_PGM_RSRC2:TIDIG_COMP_CNT: 0
	.section	.text._ZN7rocprim17ROCPRIM_400000_NS6detail17trampoline_kernelINS0_13select_configILj256ELj13ELNS0_17block_load_methodE3ELS4_3ELS4_3ELNS0_20block_scan_algorithmE0ELj4294967295EEENS1_25partition_config_selectorILNS1_17partition_subalgoE3EjNS0_10empty_typeEbEEZZNS1_14partition_implILS8_3ELb0ES6_jNS0_17counting_iteratorIjlEEPS9_SE_NS0_5tupleIJPjSE_EEENSF_IJSE_SE_EEES9_SG_JZNS1_25segmented_radix_sort_implINS0_14default_configELb0EPK12hip_bfloat16PSL_PKlPlN2at6native12_GLOBAL__N_18offset_tEEE10hipError_tPvRmT1_PNSt15iterator_traitsISZ_E10value_typeET2_T3_PNS10_IS15_E10value_typeET4_jRbjT5_S1B_jjP12ihipStream_tbEUljE_EEESW_SX_SY_S15_S19_S1B_T6_T7_T9_mT8_S1D_bDpT10_ENKUlT_T0_E_clISt17integral_constantIbLb0EES1Q_EEDaS1L_S1M_EUlS1L_E_NS1_11comp_targetILNS1_3genE3ELNS1_11target_archE908ELNS1_3gpuE7ELNS1_3repE0EEENS1_30default_config_static_selectorELNS0_4arch9wavefront6targetE0EEEvSZ_,"axG",@progbits,_ZN7rocprim17ROCPRIM_400000_NS6detail17trampoline_kernelINS0_13select_configILj256ELj13ELNS0_17block_load_methodE3ELS4_3ELS4_3ELNS0_20block_scan_algorithmE0ELj4294967295EEENS1_25partition_config_selectorILNS1_17partition_subalgoE3EjNS0_10empty_typeEbEEZZNS1_14partition_implILS8_3ELb0ES6_jNS0_17counting_iteratorIjlEEPS9_SE_NS0_5tupleIJPjSE_EEENSF_IJSE_SE_EEES9_SG_JZNS1_25segmented_radix_sort_implINS0_14default_configELb0EPK12hip_bfloat16PSL_PKlPlN2at6native12_GLOBAL__N_18offset_tEEE10hipError_tPvRmT1_PNSt15iterator_traitsISZ_E10value_typeET2_T3_PNS10_IS15_E10value_typeET4_jRbjT5_S1B_jjP12ihipStream_tbEUljE_EEESW_SX_SY_S15_S19_S1B_T6_T7_T9_mT8_S1D_bDpT10_ENKUlT_T0_E_clISt17integral_constantIbLb0EES1Q_EEDaS1L_S1M_EUlS1L_E_NS1_11comp_targetILNS1_3genE3ELNS1_11target_archE908ELNS1_3gpuE7ELNS1_3repE0EEENS1_30default_config_static_selectorELNS0_4arch9wavefront6targetE0EEEvSZ_,comdat
	.globl	_ZN7rocprim17ROCPRIM_400000_NS6detail17trampoline_kernelINS0_13select_configILj256ELj13ELNS0_17block_load_methodE3ELS4_3ELS4_3ELNS0_20block_scan_algorithmE0ELj4294967295EEENS1_25partition_config_selectorILNS1_17partition_subalgoE3EjNS0_10empty_typeEbEEZZNS1_14partition_implILS8_3ELb0ES6_jNS0_17counting_iteratorIjlEEPS9_SE_NS0_5tupleIJPjSE_EEENSF_IJSE_SE_EEES9_SG_JZNS1_25segmented_radix_sort_implINS0_14default_configELb0EPK12hip_bfloat16PSL_PKlPlN2at6native12_GLOBAL__N_18offset_tEEE10hipError_tPvRmT1_PNSt15iterator_traitsISZ_E10value_typeET2_T3_PNS10_IS15_E10value_typeET4_jRbjT5_S1B_jjP12ihipStream_tbEUljE_EEESW_SX_SY_S15_S19_S1B_T6_T7_T9_mT8_S1D_bDpT10_ENKUlT_T0_E_clISt17integral_constantIbLb0EES1Q_EEDaS1L_S1M_EUlS1L_E_NS1_11comp_targetILNS1_3genE3ELNS1_11target_archE908ELNS1_3gpuE7ELNS1_3repE0EEENS1_30default_config_static_selectorELNS0_4arch9wavefront6targetE0EEEvSZ_ ; -- Begin function _ZN7rocprim17ROCPRIM_400000_NS6detail17trampoline_kernelINS0_13select_configILj256ELj13ELNS0_17block_load_methodE3ELS4_3ELS4_3ELNS0_20block_scan_algorithmE0ELj4294967295EEENS1_25partition_config_selectorILNS1_17partition_subalgoE3EjNS0_10empty_typeEbEEZZNS1_14partition_implILS8_3ELb0ES6_jNS0_17counting_iteratorIjlEEPS9_SE_NS0_5tupleIJPjSE_EEENSF_IJSE_SE_EEES9_SG_JZNS1_25segmented_radix_sort_implINS0_14default_configELb0EPK12hip_bfloat16PSL_PKlPlN2at6native12_GLOBAL__N_18offset_tEEE10hipError_tPvRmT1_PNSt15iterator_traitsISZ_E10value_typeET2_T3_PNS10_IS15_E10value_typeET4_jRbjT5_S1B_jjP12ihipStream_tbEUljE_EEESW_SX_SY_S15_S19_S1B_T6_T7_T9_mT8_S1D_bDpT10_ENKUlT_T0_E_clISt17integral_constantIbLb0EES1Q_EEDaS1L_S1M_EUlS1L_E_NS1_11comp_targetILNS1_3genE3ELNS1_11target_archE908ELNS1_3gpuE7ELNS1_3repE0EEENS1_30default_config_static_selectorELNS0_4arch9wavefront6targetE0EEEvSZ_
	.p2align	8
	.type	_ZN7rocprim17ROCPRIM_400000_NS6detail17trampoline_kernelINS0_13select_configILj256ELj13ELNS0_17block_load_methodE3ELS4_3ELS4_3ELNS0_20block_scan_algorithmE0ELj4294967295EEENS1_25partition_config_selectorILNS1_17partition_subalgoE3EjNS0_10empty_typeEbEEZZNS1_14partition_implILS8_3ELb0ES6_jNS0_17counting_iteratorIjlEEPS9_SE_NS0_5tupleIJPjSE_EEENSF_IJSE_SE_EEES9_SG_JZNS1_25segmented_radix_sort_implINS0_14default_configELb0EPK12hip_bfloat16PSL_PKlPlN2at6native12_GLOBAL__N_18offset_tEEE10hipError_tPvRmT1_PNSt15iterator_traitsISZ_E10value_typeET2_T3_PNS10_IS15_E10value_typeET4_jRbjT5_S1B_jjP12ihipStream_tbEUljE_EEESW_SX_SY_S15_S19_S1B_T6_T7_T9_mT8_S1D_bDpT10_ENKUlT_T0_E_clISt17integral_constantIbLb0EES1Q_EEDaS1L_S1M_EUlS1L_E_NS1_11comp_targetILNS1_3genE3ELNS1_11target_archE908ELNS1_3gpuE7ELNS1_3repE0EEENS1_30default_config_static_selectorELNS0_4arch9wavefront6targetE0EEEvSZ_,@function
_ZN7rocprim17ROCPRIM_400000_NS6detail17trampoline_kernelINS0_13select_configILj256ELj13ELNS0_17block_load_methodE3ELS4_3ELS4_3ELNS0_20block_scan_algorithmE0ELj4294967295EEENS1_25partition_config_selectorILNS1_17partition_subalgoE3EjNS0_10empty_typeEbEEZZNS1_14partition_implILS8_3ELb0ES6_jNS0_17counting_iteratorIjlEEPS9_SE_NS0_5tupleIJPjSE_EEENSF_IJSE_SE_EEES9_SG_JZNS1_25segmented_radix_sort_implINS0_14default_configELb0EPK12hip_bfloat16PSL_PKlPlN2at6native12_GLOBAL__N_18offset_tEEE10hipError_tPvRmT1_PNSt15iterator_traitsISZ_E10value_typeET2_T3_PNS10_IS15_E10value_typeET4_jRbjT5_S1B_jjP12ihipStream_tbEUljE_EEESW_SX_SY_S15_S19_S1B_T6_T7_T9_mT8_S1D_bDpT10_ENKUlT_T0_E_clISt17integral_constantIbLb0EES1Q_EEDaS1L_S1M_EUlS1L_E_NS1_11comp_targetILNS1_3genE3ELNS1_11target_archE908ELNS1_3gpuE7ELNS1_3repE0EEENS1_30default_config_static_selectorELNS0_4arch9wavefront6targetE0EEEvSZ_: ; @_ZN7rocprim17ROCPRIM_400000_NS6detail17trampoline_kernelINS0_13select_configILj256ELj13ELNS0_17block_load_methodE3ELS4_3ELS4_3ELNS0_20block_scan_algorithmE0ELj4294967295EEENS1_25partition_config_selectorILNS1_17partition_subalgoE3EjNS0_10empty_typeEbEEZZNS1_14partition_implILS8_3ELb0ES6_jNS0_17counting_iteratorIjlEEPS9_SE_NS0_5tupleIJPjSE_EEENSF_IJSE_SE_EEES9_SG_JZNS1_25segmented_radix_sort_implINS0_14default_configELb0EPK12hip_bfloat16PSL_PKlPlN2at6native12_GLOBAL__N_18offset_tEEE10hipError_tPvRmT1_PNSt15iterator_traitsISZ_E10value_typeET2_T3_PNS10_IS15_E10value_typeET4_jRbjT5_S1B_jjP12ihipStream_tbEUljE_EEESW_SX_SY_S15_S19_S1B_T6_T7_T9_mT8_S1D_bDpT10_ENKUlT_T0_E_clISt17integral_constantIbLb0EES1Q_EEDaS1L_S1M_EUlS1L_E_NS1_11comp_targetILNS1_3genE3ELNS1_11target_archE908ELNS1_3gpuE7ELNS1_3repE0EEENS1_30default_config_static_selectorELNS0_4arch9wavefront6targetE0EEEvSZ_
; %bb.0:
	.section	.rodata,"a",@progbits
	.p2align	6, 0x0
	.amdhsa_kernel _ZN7rocprim17ROCPRIM_400000_NS6detail17trampoline_kernelINS0_13select_configILj256ELj13ELNS0_17block_load_methodE3ELS4_3ELS4_3ELNS0_20block_scan_algorithmE0ELj4294967295EEENS1_25partition_config_selectorILNS1_17partition_subalgoE3EjNS0_10empty_typeEbEEZZNS1_14partition_implILS8_3ELb0ES6_jNS0_17counting_iteratorIjlEEPS9_SE_NS0_5tupleIJPjSE_EEENSF_IJSE_SE_EEES9_SG_JZNS1_25segmented_radix_sort_implINS0_14default_configELb0EPK12hip_bfloat16PSL_PKlPlN2at6native12_GLOBAL__N_18offset_tEEE10hipError_tPvRmT1_PNSt15iterator_traitsISZ_E10value_typeET2_T3_PNS10_IS15_E10value_typeET4_jRbjT5_S1B_jjP12ihipStream_tbEUljE_EEESW_SX_SY_S15_S19_S1B_T6_T7_T9_mT8_S1D_bDpT10_ENKUlT_T0_E_clISt17integral_constantIbLb0EES1Q_EEDaS1L_S1M_EUlS1L_E_NS1_11comp_targetILNS1_3genE3ELNS1_11target_archE908ELNS1_3gpuE7ELNS1_3repE0EEENS1_30default_config_static_selectorELNS0_4arch9wavefront6targetE0EEEvSZ_
		.amdhsa_group_segment_fixed_size 0
		.amdhsa_private_segment_fixed_size 0
		.amdhsa_kernarg_size 144
		.amdhsa_user_sgpr_count 6
		.amdhsa_user_sgpr_private_segment_buffer 1
		.amdhsa_user_sgpr_dispatch_ptr 0
		.amdhsa_user_sgpr_queue_ptr 0
		.amdhsa_user_sgpr_kernarg_segment_ptr 1
		.amdhsa_user_sgpr_dispatch_id 0
		.amdhsa_user_sgpr_flat_scratch_init 0
		.amdhsa_user_sgpr_private_segment_size 0
		.amdhsa_wavefront_size32 1
		.amdhsa_uses_dynamic_stack 0
		.amdhsa_system_sgpr_private_segment_wavefront_offset 0
		.amdhsa_system_sgpr_workgroup_id_x 1
		.amdhsa_system_sgpr_workgroup_id_y 0
		.amdhsa_system_sgpr_workgroup_id_z 0
		.amdhsa_system_sgpr_workgroup_info 0
		.amdhsa_system_vgpr_workitem_id 0
		.amdhsa_next_free_vgpr 1
		.amdhsa_next_free_sgpr 1
		.amdhsa_reserve_vcc 0
		.amdhsa_reserve_flat_scratch 0
		.amdhsa_float_round_mode_32 0
		.amdhsa_float_round_mode_16_64 0
		.amdhsa_float_denorm_mode_32 3
		.amdhsa_float_denorm_mode_16_64 3
		.amdhsa_dx10_clamp 1
		.amdhsa_ieee_mode 1
		.amdhsa_fp16_overflow 0
		.amdhsa_workgroup_processor_mode 1
		.amdhsa_memory_ordered 1
		.amdhsa_forward_progress 1
		.amdhsa_shared_vgpr_count 0
		.amdhsa_exception_fp_ieee_invalid_op 0
		.amdhsa_exception_fp_denorm_src 0
		.amdhsa_exception_fp_ieee_div_zero 0
		.amdhsa_exception_fp_ieee_overflow 0
		.amdhsa_exception_fp_ieee_underflow 0
		.amdhsa_exception_fp_ieee_inexact 0
		.amdhsa_exception_int_div_zero 0
	.end_amdhsa_kernel
	.section	.text._ZN7rocprim17ROCPRIM_400000_NS6detail17trampoline_kernelINS0_13select_configILj256ELj13ELNS0_17block_load_methodE3ELS4_3ELS4_3ELNS0_20block_scan_algorithmE0ELj4294967295EEENS1_25partition_config_selectorILNS1_17partition_subalgoE3EjNS0_10empty_typeEbEEZZNS1_14partition_implILS8_3ELb0ES6_jNS0_17counting_iteratorIjlEEPS9_SE_NS0_5tupleIJPjSE_EEENSF_IJSE_SE_EEES9_SG_JZNS1_25segmented_radix_sort_implINS0_14default_configELb0EPK12hip_bfloat16PSL_PKlPlN2at6native12_GLOBAL__N_18offset_tEEE10hipError_tPvRmT1_PNSt15iterator_traitsISZ_E10value_typeET2_T3_PNS10_IS15_E10value_typeET4_jRbjT5_S1B_jjP12ihipStream_tbEUljE_EEESW_SX_SY_S15_S19_S1B_T6_T7_T9_mT8_S1D_bDpT10_ENKUlT_T0_E_clISt17integral_constantIbLb0EES1Q_EEDaS1L_S1M_EUlS1L_E_NS1_11comp_targetILNS1_3genE3ELNS1_11target_archE908ELNS1_3gpuE7ELNS1_3repE0EEENS1_30default_config_static_selectorELNS0_4arch9wavefront6targetE0EEEvSZ_,"axG",@progbits,_ZN7rocprim17ROCPRIM_400000_NS6detail17trampoline_kernelINS0_13select_configILj256ELj13ELNS0_17block_load_methodE3ELS4_3ELS4_3ELNS0_20block_scan_algorithmE0ELj4294967295EEENS1_25partition_config_selectorILNS1_17partition_subalgoE3EjNS0_10empty_typeEbEEZZNS1_14partition_implILS8_3ELb0ES6_jNS0_17counting_iteratorIjlEEPS9_SE_NS0_5tupleIJPjSE_EEENSF_IJSE_SE_EEES9_SG_JZNS1_25segmented_radix_sort_implINS0_14default_configELb0EPK12hip_bfloat16PSL_PKlPlN2at6native12_GLOBAL__N_18offset_tEEE10hipError_tPvRmT1_PNSt15iterator_traitsISZ_E10value_typeET2_T3_PNS10_IS15_E10value_typeET4_jRbjT5_S1B_jjP12ihipStream_tbEUljE_EEESW_SX_SY_S15_S19_S1B_T6_T7_T9_mT8_S1D_bDpT10_ENKUlT_T0_E_clISt17integral_constantIbLb0EES1Q_EEDaS1L_S1M_EUlS1L_E_NS1_11comp_targetILNS1_3genE3ELNS1_11target_archE908ELNS1_3gpuE7ELNS1_3repE0EEENS1_30default_config_static_selectorELNS0_4arch9wavefront6targetE0EEEvSZ_,comdat
.Lfunc_end2010:
	.size	_ZN7rocprim17ROCPRIM_400000_NS6detail17trampoline_kernelINS0_13select_configILj256ELj13ELNS0_17block_load_methodE3ELS4_3ELS4_3ELNS0_20block_scan_algorithmE0ELj4294967295EEENS1_25partition_config_selectorILNS1_17partition_subalgoE3EjNS0_10empty_typeEbEEZZNS1_14partition_implILS8_3ELb0ES6_jNS0_17counting_iteratorIjlEEPS9_SE_NS0_5tupleIJPjSE_EEENSF_IJSE_SE_EEES9_SG_JZNS1_25segmented_radix_sort_implINS0_14default_configELb0EPK12hip_bfloat16PSL_PKlPlN2at6native12_GLOBAL__N_18offset_tEEE10hipError_tPvRmT1_PNSt15iterator_traitsISZ_E10value_typeET2_T3_PNS10_IS15_E10value_typeET4_jRbjT5_S1B_jjP12ihipStream_tbEUljE_EEESW_SX_SY_S15_S19_S1B_T6_T7_T9_mT8_S1D_bDpT10_ENKUlT_T0_E_clISt17integral_constantIbLb0EES1Q_EEDaS1L_S1M_EUlS1L_E_NS1_11comp_targetILNS1_3genE3ELNS1_11target_archE908ELNS1_3gpuE7ELNS1_3repE0EEENS1_30default_config_static_selectorELNS0_4arch9wavefront6targetE0EEEvSZ_, .Lfunc_end2010-_ZN7rocprim17ROCPRIM_400000_NS6detail17trampoline_kernelINS0_13select_configILj256ELj13ELNS0_17block_load_methodE3ELS4_3ELS4_3ELNS0_20block_scan_algorithmE0ELj4294967295EEENS1_25partition_config_selectorILNS1_17partition_subalgoE3EjNS0_10empty_typeEbEEZZNS1_14partition_implILS8_3ELb0ES6_jNS0_17counting_iteratorIjlEEPS9_SE_NS0_5tupleIJPjSE_EEENSF_IJSE_SE_EEES9_SG_JZNS1_25segmented_radix_sort_implINS0_14default_configELb0EPK12hip_bfloat16PSL_PKlPlN2at6native12_GLOBAL__N_18offset_tEEE10hipError_tPvRmT1_PNSt15iterator_traitsISZ_E10value_typeET2_T3_PNS10_IS15_E10value_typeET4_jRbjT5_S1B_jjP12ihipStream_tbEUljE_EEESW_SX_SY_S15_S19_S1B_T6_T7_T9_mT8_S1D_bDpT10_ENKUlT_T0_E_clISt17integral_constantIbLb0EES1Q_EEDaS1L_S1M_EUlS1L_E_NS1_11comp_targetILNS1_3genE3ELNS1_11target_archE908ELNS1_3gpuE7ELNS1_3repE0EEENS1_30default_config_static_selectorELNS0_4arch9wavefront6targetE0EEEvSZ_
                                        ; -- End function
	.set _ZN7rocprim17ROCPRIM_400000_NS6detail17trampoline_kernelINS0_13select_configILj256ELj13ELNS0_17block_load_methodE3ELS4_3ELS4_3ELNS0_20block_scan_algorithmE0ELj4294967295EEENS1_25partition_config_selectorILNS1_17partition_subalgoE3EjNS0_10empty_typeEbEEZZNS1_14partition_implILS8_3ELb0ES6_jNS0_17counting_iteratorIjlEEPS9_SE_NS0_5tupleIJPjSE_EEENSF_IJSE_SE_EEES9_SG_JZNS1_25segmented_radix_sort_implINS0_14default_configELb0EPK12hip_bfloat16PSL_PKlPlN2at6native12_GLOBAL__N_18offset_tEEE10hipError_tPvRmT1_PNSt15iterator_traitsISZ_E10value_typeET2_T3_PNS10_IS15_E10value_typeET4_jRbjT5_S1B_jjP12ihipStream_tbEUljE_EEESW_SX_SY_S15_S19_S1B_T6_T7_T9_mT8_S1D_bDpT10_ENKUlT_T0_E_clISt17integral_constantIbLb0EES1Q_EEDaS1L_S1M_EUlS1L_E_NS1_11comp_targetILNS1_3genE3ELNS1_11target_archE908ELNS1_3gpuE7ELNS1_3repE0EEENS1_30default_config_static_selectorELNS0_4arch9wavefront6targetE0EEEvSZ_.num_vgpr, 0
	.set _ZN7rocprim17ROCPRIM_400000_NS6detail17trampoline_kernelINS0_13select_configILj256ELj13ELNS0_17block_load_methodE3ELS4_3ELS4_3ELNS0_20block_scan_algorithmE0ELj4294967295EEENS1_25partition_config_selectorILNS1_17partition_subalgoE3EjNS0_10empty_typeEbEEZZNS1_14partition_implILS8_3ELb0ES6_jNS0_17counting_iteratorIjlEEPS9_SE_NS0_5tupleIJPjSE_EEENSF_IJSE_SE_EEES9_SG_JZNS1_25segmented_radix_sort_implINS0_14default_configELb0EPK12hip_bfloat16PSL_PKlPlN2at6native12_GLOBAL__N_18offset_tEEE10hipError_tPvRmT1_PNSt15iterator_traitsISZ_E10value_typeET2_T3_PNS10_IS15_E10value_typeET4_jRbjT5_S1B_jjP12ihipStream_tbEUljE_EEESW_SX_SY_S15_S19_S1B_T6_T7_T9_mT8_S1D_bDpT10_ENKUlT_T0_E_clISt17integral_constantIbLb0EES1Q_EEDaS1L_S1M_EUlS1L_E_NS1_11comp_targetILNS1_3genE3ELNS1_11target_archE908ELNS1_3gpuE7ELNS1_3repE0EEENS1_30default_config_static_selectorELNS0_4arch9wavefront6targetE0EEEvSZ_.num_agpr, 0
	.set _ZN7rocprim17ROCPRIM_400000_NS6detail17trampoline_kernelINS0_13select_configILj256ELj13ELNS0_17block_load_methodE3ELS4_3ELS4_3ELNS0_20block_scan_algorithmE0ELj4294967295EEENS1_25partition_config_selectorILNS1_17partition_subalgoE3EjNS0_10empty_typeEbEEZZNS1_14partition_implILS8_3ELb0ES6_jNS0_17counting_iteratorIjlEEPS9_SE_NS0_5tupleIJPjSE_EEENSF_IJSE_SE_EEES9_SG_JZNS1_25segmented_radix_sort_implINS0_14default_configELb0EPK12hip_bfloat16PSL_PKlPlN2at6native12_GLOBAL__N_18offset_tEEE10hipError_tPvRmT1_PNSt15iterator_traitsISZ_E10value_typeET2_T3_PNS10_IS15_E10value_typeET4_jRbjT5_S1B_jjP12ihipStream_tbEUljE_EEESW_SX_SY_S15_S19_S1B_T6_T7_T9_mT8_S1D_bDpT10_ENKUlT_T0_E_clISt17integral_constantIbLb0EES1Q_EEDaS1L_S1M_EUlS1L_E_NS1_11comp_targetILNS1_3genE3ELNS1_11target_archE908ELNS1_3gpuE7ELNS1_3repE0EEENS1_30default_config_static_selectorELNS0_4arch9wavefront6targetE0EEEvSZ_.numbered_sgpr, 0
	.set _ZN7rocprim17ROCPRIM_400000_NS6detail17trampoline_kernelINS0_13select_configILj256ELj13ELNS0_17block_load_methodE3ELS4_3ELS4_3ELNS0_20block_scan_algorithmE0ELj4294967295EEENS1_25partition_config_selectorILNS1_17partition_subalgoE3EjNS0_10empty_typeEbEEZZNS1_14partition_implILS8_3ELb0ES6_jNS0_17counting_iteratorIjlEEPS9_SE_NS0_5tupleIJPjSE_EEENSF_IJSE_SE_EEES9_SG_JZNS1_25segmented_radix_sort_implINS0_14default_configELb0EPK12hip_bfloat16PSL_PKlPlN2at6native12_GLOBAL__N_18offset_tEEE10hipError_tPvRmT1_PNSt15iterator_traitsISZ_E10value_typeET2_T3_PNS10_IS15_E10value_typeET4_jRbjT5_S1B_jjP12ihipStream_tbEUljE_EEESW_SX_SY_S15_S19_S1B_T6_T7_T9_mT8_S1D_bDpT10_ENKUlT_T0_E_clISt17integral_constantIbLb0EES1Q_EEDaS1L_S1M_EUlS1L_E_NS1_11comp_targetILNS1_3genE3ELNS1_11target_archE908ELNS1_3gpuE7ELNS1_3repE0EEENS1_30default_config_static_selectorELNS0_4arch9wavefront6targetE0EEEvSZ_.num_named_barrier, 0
	.set _ZN7rocprim17ROCPRIM_400000_NS6detail17trampoline_kernelINS0_13select_configILj256ELj13ELNS0_17block_load_methodE3ELS4_3ELS4_3ELNS0_20block_scan_algorithmE0ELj4294967295EEENS1_25partition_config_selectorILNS1_17partition_subalgoE3EjNS0_10empty_typeEbEEZZNS1_14partition_implILS8_3ELb0ES6_jNS0_17counting_iteratorIjlEEPS9_SE_NS0_5tupleIJPjSE_EEENSF_IJSE_SE_EEES9_SG_JZNS1_25segmented_radix_sort_implINS0_14default_configELb0EPK12hip_bfloat16PSL_PKlPlN2at6native12_GLOBAL__N_18offset_tEEE10hipError_tPvRmT1_PNSt15iterator_traitsISZ_E10value_typeET2_T3_PNS10_IS15_E10value_typeET4_jRbjT5_S1B_jjP12ihipStream_tbEUljE_EEESW_SX_SY_S15_S19_S1B_T6_T7_T9_mT8_S1D_bDpT10_ENKUlT_T0_E_clISt17integral_constantIbLb0EES1Q_EEDaS1L_S1M_EUlS1L_E_NS1_11comp_targetILNS1_3genE3ELNS1_11target_archE908ELNS1_3gpuE7ELNS1_3repE0EEENS1_30default_config_static_selectorELNS0_4arch9wavefront6targetE0EEEvSZ_.private_seg_size, 0
	.set _ZN7rocprim17ROCPRIM_400000_NS6detail17trampoline_kernelINS0_13select_configILj256ELj13ELNS0_17block_load_methodE3ELS4_3ELS4_3ELNS0_20block_scan_algorithmE0ELj4294967295EEENS1_25partition_config_selectorILNS1_17partition_subalgoE3EjNS0_10empty_typeEbEEZZNS1_14partition_implILS8_3ELb0ES6_jNS0_17counting_iteratorIjlEEPS9_SE_NS0_5tupleIJPjSE_EEENSF_IJSE_SE_EEES9_SG_JZNS1_25segmented_radix_sort_implINS0_14default_configELb0EPK12hip_bfloat16PSL_PKlPlN2at6native12_GLOBAL__N_18offset_tEEE10hipError_tPvRmT1_PNSt15iterator_traitsISZ_E10value_typeET2_T3_PNS10_IS15_E10value_typeET4_jRbjT5_S1B_jjP12ihipStream_tbEUljE_EEESW_SX_SY_S15_S19_S1B_T6_T7_T9_mT8_S1D_bDpT10_ENKUlT_T0_E_clISt17integral_constantIbLb0EES1Q_EEDaS1L_S1M_EUlS1L_E_NS1_11comp_targetILNS1_3genE3ELNS1_11target_archE908ELNS1_3gpuE7ELNS1_3repE0EEENS1_30default_config_static_selectorELNS0_4arch9wavefront6targetE0EEEvSZ_.uses_vcc, 0
	.set _ZN7rocprim17ROCPRIM_400000_NS6detail17trampoline_kernelINS0_13select_configILj256ELj13ELNS0_17block_load_methodE3ELS4_3ELS4_3ELNS0_20block_scan_algorithmE0ELj4294967295EEENS1_25partition_config_selectorILNS1_17partition_subalgoE3EjNS0_10empty_typeEbEEZZNS1_14partition_implILS8_3ELb0ES6_jNS0_17counting_iteratorIjlEEPS9_SE_NS0_5tupleIJPjSE_EEENSF_IJSE_SE_EEES9_SG_JZNS1_25segmented_radix_sort_implINS0_14default_configELb0EPK12hip_bfloat16PSL_PKlPlN2at6native12_GLOBAL__N_18offset_tEEE10hipError_tPvRmT1_PNSt15iterator_traitsISZ_E10value_typeET2_T3_PNS10_IS15_E10value_typeET4_jRbjT5_S1B_jjP12ihipStream_tbEUljE_EEESW_SX_SY_S15_S19_S1B_T6_T7_T9_mT8_S1D_bDpT10_ENKUlT_T0_E_clISt17integral_constantIbLb0EES1Q_EEDaS1L_S1M_EUlS1L_E_NS1_11comp_targetILNS1_3genE3ELNS1_11target_archE908ELNS1_3gpuE7ELNS1_3repE0EEENS1_30default_config_static_selectorELNS0_4arch9wavefront6targetE0EEEvSZ_.uses_flat_scratch, 0
	.set _ZN7rocprim17ROCPRIM_400000_NS6detail17trampoline_kernelINS0_13select_configILj256ELj13ELNS0_17block_load_methodE3ELS4_3ELS4_3ELNS0_20block_scan_algorithmE0ELj4294967295EEENS1_25partition_config_selectorILNS1_17partition_subalgoE3EjNS0_10empty_typeEbEEZZNS1_14partition_implILS8_3ELb0ES6_jNS0_17counting_iteratorIjlEEPS9_SE_NS0_5tupleIJPjSE_EEENSF_IJSE_SE_EEES9_SG_JZNS1_25segmented_radix_sort_implINS0_14default_configELb0EPK12hip_bfloat16PSL_PKlPlN2at6native12_GLOBAL__N_18offset_tEEE10hipError_tPvRmT1_PNSt15iterator_traitsISZ_E10value_typeET2_T3_PNS10_IS15_E10value_typeET4_jRbjT5_S1B_jjP12ihipStream_tbEUljE_EEESW_SX_SY_S15_S19_S1B_T6_T7_T9_mT8_S1D_bDpT10_ENKUlT_T0_E_clISt17integral_constantIbLb0EES1Q_EEDaS1L_S1M_EUlS1L_E_NS1_11comp_targetILNS1_3genE3ELNS1_11target_archE908ELNS1_3gpuE7ELNS1_3repE0EEENS1_30default_config_static_selectorELNS0_4arch9wavefront6targetE0EEEvSZ_.has_dyn_sized_stack, 0
	.set _ZN7rocprim17ROCPRIM_400000_NS6detail17trampoline_kernelINS0_13select_configILj256ELj13ELNS0_17block_load_methodE3ELS4_3ELS4_3ELNS0_20block_scan_algorithmE0ELj4294967295EEENS1_25partition_config_selectorILNS1_17partition_subalgoE3EjNS0_10empty_typeEbEEZZNS1_14partition_implILS8_3ELb0ES6_jNS0_17counting_iteratorIjlEEPS9_SE_NS0_5tupleIJPjSE_EEENSF_IJSE_SE_EEES9_SG_JZNS1_25segmented_radix_sort_implINS0_14default_configELb0EPK12hip_bfloat16PSL_PKlPlN2at6native12_GLOBAL__N_18offset_tEEE10hipError_tPvRmT1_PNSt15iterator_traitsISZ_E10value_typeET2_T3_PNS10_IS15_E10value_typeET4_jRbjT5_S1B_jjP12ihipStream_tbEUljE_EEESW_SX_SY_S15_S19_S1B_T6_T7_T9_mT8_S1D_bDpT10_ENKUlT_T0_E_clISt17integral_constantIbLb0EES1Q_EEDaS1L_S1M_EUlS1L_E_NS1_11comp_targetILNS1_3genE3ELNS1_11target_archE908ELNS1_3gpuE7ELNS1_3repE0EEENS1_30default_config_static_selectorELNS0_4arch9wavefront6targetE0EEEvSZ_.has_recursion, 0
	.set _ZN7rocprim17ROCPRIM_400000_NS6detail17trampoline_kernelINS0_13select_configILj256ELj13ELNS0_17block_load_methodE3ELS4_3ELS4_3ELNS0_20block_scan_algorithmE0ELj4294967295EEENS1_25partition_config_selectorILNS1_17partition_subalgoE3EjNS0_10empty_typeEbEEZZNS1_14partition_implILS8_3ELb0ES6_jNS0_17counting_iteratorIjlEEPS9_SE_NS0_5tupleIJPjSE_EEENSF_IJSE_SE_EEES9_SG_JZNS1_25segmented_radix_sort_implINS0_14default_configELb0EPK12hip_bfloat16PSL_PKlPlN2at6native12_GLOBAL__N_18offset_tEEE10hipError_tPvRmT1_PNSt15iterator_traitsISZ_E10value_typeET2_T3_PNS10_IS15_E10value_typeET4_jRbjT5_S1B_jjP12ihipStream_tbEUljE_EEESW_SX_SY_S15_S19_S1B_T6_T7_T9_mT8_S1D_bDpT10_ENKUlT_T0_E_clISt17integral_constantIbLb0EES1Q_EEDaS1L_S1M_EUlS1L_E_NS1_11comp_targetILNS1_3genE3ELNS1_11target_archE908ELNS1_3gpuE7ELNS1_3repE0EEENS1_30default_config_static_selectorELNS0_4arch9wavefront6targetE0EEEvSZ_.has_indirect_call, 0
	.section	.AMDGPU.csdata,"",@progbits
; Kernel info:
; codeLenInByte = 0
; TotalNumSgprs: 0
; NumVgprs: 0
; ScratchSize: 0
; MemoryBound: 0
; FloatMode: 240
; IeeeMode: 1
; LDSByteSize: 0 bytes/workgroup (compile time only)
; SGPRBlocks: 0
; VGPRBlocks: 0
; NumSGPRsForWavesPerEU: 1
; NumVGPRsForWavesPerEU: 1
; Occupancy: 16
; WaveLimiterHint : 0
; COMPUTE_PGM_RSRC2:SCRATCH_EN: 0
; COMPUTE_PGM_RSRC2:USER_SGPR: 6
; COMPUTE_PGM_RSRC2:TRAP_HANDLER: 0
; COMPUTE_PGM_RSRC2:TGID_X_EN: 1
; COMPUTE_PGM_RSRC2:TGID_Y_EN: 0
; COMPUTE_PGM_RSRC2:TGID_Z_EN: 0
; COMPUTE_PGM_RSRC2:TIDIG_COMP_CNT: 0
	.section	.text._ZN7rocprim17ROCPRIM_400000_NS6detail17trampoline_kernelINS0_13select_configILj256ELj13ELNS0_17block_load_methodE3ELS4_3ELS4_3ELNS0_20block_scan_algorithmE0ELj4294967295EEENS1_25partition_config_selectorILNS1_17partition_subalgoE3EjNS0_10empty_typeEbEEZZNS1_14partition_implILS8_3ELb0ES6_jNS0_17counting_iteratorIjlEEPS9_SE_NS0_5tupleIJPjSE_EEENSF_IJSE_SE_EEES9_SG_JZNS1_25segmented_radix_sort_implINS0_14default_configELb0EPK12hip_bfloat16PSL_PKlPlN2at6native12_GLOBAL__N_18offset_tEEE10hipError_tPvRmT1_PNSt15iterator_traitsISZ_E10value_typeET2_T3_PNS10_IS15_E10value_typeET4_jRbjT5_S1B_jjP12ihipStream_tbEUljE_EEESW_SX_SY_S15_S19_S1B_T6_T7_T9_mT8_S1D_bDpT10_ENKUlT_T0_E_clISt17integral_constantIbLb0EES1Q_EEDaS1L_S1M_EUlS1L_E_NS1_11comp_targetILNS1_3genE2ELNS1_11target_archE906ELNS1_3gpuE6ELNS1_3repE0EEENS1_30default_config_static_selectorELNS0_4arch9wavefront6targetE0EEEvSZ_,"axG",@progbits,_ZN7rocprim17ROCPRIM_400000_NS6detail17trampoline_kernelINS0_13select_configILj256ELj13ELNS0_17block_load_methodE3ELS4_3ELS4_3ELNS0_20block_scan_algorithmE0ELj4294967295EEENS1_25partition_config_selectorILNS1_17partition_subalgoE3EjNS0_10empty_typeEbEEZZNS1_14partition_implILS8_3ELb0ES6_jNS0_17counting_iteratorIjlEEPS9_SE_NS0_5tupleIJPjSE_EEENSF_IJSE_SE_EEES9_SG_JZNS1_25segmented_radix_sort_implINS0_14default_configELb0EPK12hip_bfloat16PSL_PKlPlN2at6native12_GLOBAL__N_18offset_tEEE10hipError_tPvRmT1_PNSt15iterator_traitsISZ_E10value_typeET2_T3_PNS10_IS15_E10value_typeET4_jRbjT5_S1B_jjP12ihipStream_tbEUljE_EEESW_SX_SY_S15_S19_S1B_T6_T7_T9_mT8_S1D_bDpT10_ENKUlT_T0_E_clISt17integral_constantIbLb0EES1Q_EEDaS1L_S1M_EUlS1L_E_NS1_11comp_targetILNS1_3genE2ELNS1_11target_archE906ELNS1_3gpuE6ELNS1_3repE0EEENS1_30default_config_static_selectorELNS0_4arch9wavefront6targetE0EEEvSZ_,comdat
	.globl	_ZN7rocprim17ROCPRIM_400000_NS6detail17trampoline_kernelINS0_13select_configILj256ELj13ELNS0_17block_load_methodE3ELS4_3ELS4_3ELNS0_20block_scan_algorithmE0ELj4294967295EEENS1_25partition_config_selectorILNS1_17partition_subalgoE3EjNS0_10empty_typeEbEEZZNS1_14partition_implILS8_3ELb0ES6_jNS0_17counting_iteratorIjlEEPS9_SE_NS0_5tupleIJPjSE_EEENSF_IJSE_SE_EEES9_SG_JZNS1_25segmented_radix_sort_implINS0_14default_configELb0EPK12hip_bfloat16PSL_PKlPlN2at6native12_GLOBAL__N_18offset_tEEE10hipError_tPvRmT1_PNSt15iterator_traitsISZ_E10value_typeET2_T3_PNS10_IS15_E10value_typeET4_jRbjT5_S1B_jjP12ihipStream_tbEUljE_EEESW_SX_SY_S15_S19_S1B_T6_T7_T9_mT8_S1D_bDpT10_ENKUlT_T0_E_clISt17integral_constantIbLb0EES1Q_EEDaS1L_S1M_EUlS1L_E_NS1_11comp_targetILNS1_3genE2ELNS1_11target_archE906ELNS1_3gpuE6ELNS1_3repE0EEENS1_30default_config_static_selectorELNS0_4arch9wavefront6targetE0EEEvSZ_ ; -- Begin function _ZN7rocprim17ROCPRIM_400000_NS6detail17trampoline_kernelINS0_13select_configILj256ELj13ELNS0_17block_load_methodE3ELS4_3ELS4_3ELNS0_20block_scan_algorithmE0ELj4294967295EEENS1_25partition_config_selectorILNS1_17partition_subalgoE3EjNS0_10empty_typeEbEEZZNS1_14partition_implILS8_3ELb0ES6_jNS0_17counting_iteratorIjlEEPS9_SE_NS0_5tupleIJPjSE_EEENSF_IJSE_SE_EEES9_SG_JZNS1_25segmented_radix_sort_implINS0_14default_configELb0EPK12hip_bfloat16PSL_PKlPlN2at6native12_GLOBAL__N_18offset_tEEE10hipError_tPvRmT1_PNSt15iterator_traitsISZ_E10value_typeET2_T3_PNS10_IS15_E10value_typeET4_jRbjT5_S1B_jjP12ihipStream_tbEUljE_EEESW_SX_SY_S15_S19_S1B_T6_T7_T9_mT8_S1D_bDpT10_ENKUlT_T0_E_clISt17integral_constantIbLb0EES1Q_EEDaS1L_S1M_EUlS1L_E_NS1_11comp_targetILNS1_3genE2ELNS1_11target_archE906ELNS1_3gpuE6ELNS1_3repE0EEENS1_30default_config_static_selectorELNS0_4arch9wavefront6targetE0EEEvSZ_
	.p2align	8
	.type	_ZN7rocprim17ROCPRIM_400000_NS6detail17trampoline_kernelINS0_13select_configILj256ELj13ELNS0_17block_load_methodE3ELS4_3ELS4_3ELNS0_20block_scan_algorithmE0ELj4294967295EEENS1_25partition_config_selectorILNS1_17partition_subalgoE3EjNS0_10empty_typeEbEEZZNS1_14partition_implILS8_3ELb0ES6_jNS0_17counting_iteratorIjlEEPS9_SE_NS0_5tupleIJPjSE_EEENSF_IJSE_SE_EEES9_SG_JZNS1_25segmented_radix_sort_implINS0_14default_configELb0EPK12hip_bfloat16PSL_PKlPlN2at6native12_GLOBAL__N_18offset_tEEE10hipError_tPvRmT1_PNSt15iterator_traitsISZ_E10value_typeET2_T3_PNS10_IS15_E10value_typeET4_jRbjT5_S1B_jjP12ihipStream_tbEUljE_EEESW_SX_SY_S15_S19_S1B_T6_T7_T9_mT8_S1D_bDpT10_ENKUlT_T0_E_clISt17integral_constantIbLb0EES1Q_EEDaS1L_S1M_EUlS1L_E_NS1_11comp_targetILNS1_3genE2ELNS1_11target_archE906ELNS1_3gpuE6ELNS1_3repE0EEENS1_30default_config_static_selectorELNS0_4arch9wavefront6targetE0EEEvSZ_,@function
_ZN7rocprim17ROCPRIM_400000_NS6detail17trampoline_kernelINS0_13select_configILj256ELj13ELNS0_17block_load_methodE3ELS4_3ELS4_3ELNS0_20block_scan_algorithmE0ELj4294967295EEENS1_25partition_config_selectorILNS1_17partition_subalgoE3EjNS0_10empty_typeEbEEZZNS1_14partition_implILS8_3ELb0ES6_jNS0_17counting_iteratorIjlEEPS9_SE_NS0_5tupleIJPjSE_EEENSF_IJSE_SE_EEES9_SG_JZNS1_25segmented_radix_sort_implINS0_14default_configELb0EPK12hip_bfloat16PSL_PKlPlN2at6native12_GLOBAL__N_18offset_tEEE10hipError_tPvRmT1_PNSt15iterator_traitsISZ_E10value_typeET2_T3_PNS10_IS15_E10value_typeET4_jRbjT5_S1B_jjP12ihipStream_tbEUljE_EEESW_SX_SY_S15_S19_S1B_T6_T7_T9_mT8_S1D_bDpT10_ENKUlT_T0_E_clISt17integral_constantIbLb0EES1Q_EEDaS1L_S1M_EUlS1L_E_NS1_11comp_targetILNS1_3genE2ELNS1_11target_archE906ELNS1_3gpuE6ELNS1_3repE0EEENS1_30default_config_static_selectorELNS0_4arch9wavefront6targetE0EEEvSZ_: ; @_ZN7rocprim17ROCPRIM_400000_NS6detail17trampoline_kernelINS0_13select_configILj256ELj13ELNS0_17block_load_methodE3ELS4_3ELS4_3ELNS0_20block_scan_algorithmE0ELj4294967295EEENS1_25partition_config_selectorILNS1_17partition_subalgoE3EjNS0_10empty_typeEbEEZZNS1_14partition_implILS8_3ELb0ES6_jNS0_17counting_iteratorIjlEEPS9_SE_NS0_5tupleIJPjSE_EEENSF_IJSE_SE_EEES9_SG_JZNS1_25segmented_radix_sort_implINS0_14default_configELb0EPK12hip_bfloat16PSL_PKlPlN2at6native12_GLOBAL__N_18offset_tEEE10hipError_tPvRmT1_PNSt15iterator_traitsISZ_E10value_typeET2_T3_PNS10_IS15_E10value_typeET4_jRbjT5_S1B_jjP12ihipStream_tbEUljE_EEESW_SX_SY_S15_S19_S1B_T6_T7_T9_mT8_S1D_bDpT10_ENKUlT_T0_E_clISt17integral_constantIbLb0EES1Q_EEDaS1L_S1M_EUlS1L_E_NS1_11comp_targetILNS1_3genE2ELNS1_11target_archE906ELNS1_3gpuE6ELNS1_3repE0EEENS1_30default_config_static_selectorELNS0_4arch9wavefront6targetE0EEEvSZ_
; %bb.0:
	.section	.rodata,"a",@progbits
	.p2align	6, 0x0
	.amdhsa_kernel _ZN7rocprim17ROCPRIM_400000_NS6detail17trampoline_kernelINS0_13select_configILj256ELj13ELNS0_17block_load_methodE3ELS4_3ELS4_3ELNS0_20block_scan_algorithmE0ELj4294967295EEENS1_25partition_config_selectorILNS1_17partition_subalgoE3EjNS0_10empty_typeEbEEZZNS1_14partition_implILS8_3ELb0ES6_jNS0_17counting_iteratorIjlEEPS9_SE_NS0_5tupleIJPjSE_EEENSF_IJSE_SE_EEES9_SG_JZNS1_25segmented_radix_sort_implINS0_14default_configELb0EPK12hip_bfloat16PSL_PKlPlN2at6native12_GLOBAL__N_18offset_tEEE10hipError_tPvRmT1_PNSt15iterator_traitsISZ_E10value_typeET2_T3_PNS10_IS15_E10value_typeET4_jRbjT5_S1B_jjP12ihipStream_tbEUljE_EEESW_SX_SY_S15_S19_S1B_T6_T7_T9_mT8_S1D_bDpT10_ENKUlT_T0_E_clISt17integral_constantIbLb0EES1Q_EEDaS1L_S1M_EUlS1L_E_NS1_11comp_targetILNS1_3genE2ELNS1_11target_archE906ELNS1_3gpuE6ELNS1_3repE0EEENS1_30default_config_static_selectorELNS0_4arch9wavefront6targetE0EEEvSZ_
		.amdhsa_group_segment_fixed_size 0
		.amdhsa_private_segment_fixed_size 0
		.amdhsa_kernarg_size 144
		.amdhsa_user_sgpr_count 6
		.amdhsa_user_sgpr_private_segment_buffer 1
		.amdhsa_user_sgpr_dispatch_ptr 0
		.amdhsa_user_sgpr_queue_ptr 0
		.amdhsa_user_sgpr_kernarg_segment_ptr 1
		.amdhsa_user_sgpr_dispatch_id 0
		.amdhsa_user_sgpr_flat_scratch_init 0
		.amdhsa_user_sgpr_private_segment_size 0
		.amdhsa_wavefront_size32 1
		.amdhsa_uses_dynamic_stack 0
		.amdhsa_system_sgpr_private_segment_wavefront_offset 0
		.amdhsa_system_sgpr_workgroup_id_x 1
		.amdhsa_system_sgpr_workgroup_id_y 0
		.amdhsa_system_sgpr_workgroup_id_z 0
		.amdhsa_system_sgpr_workgroup_info 0
		.amdhsa_system_vgpr_workitem_id 0
		.amdhsa_next_free_vgpr 1
		.amdhsa_next_free_sgpr 1
		.amdhsa_reserve_vcc 0
		.amdhsa_reserve_flat_scratch 0
		.amdhsa_float_round_mode_32 0
		.amdhsa_float_round_mode_16_64 0
		.amdhsa_float_denorm_mode_32 3
		.amdhsa_float_denorm_mode_16_64 3
		.amdhsa_dx10_clamp 1
		.amdhsa_ieee_mode 1
		.amdhsa_fp16_overflow 0
		.amdhsa_workgroup_processor_mode 1
		.amdhsa_memory_ordered 1
		.amdhsa_forward_progress 1
		.amdhsa_shared_vgpr_count 0
		.amdhsa_exception_fp_ieee_invalid_op 0
		.amdhsa_exception_fp_denorm_src 0
		.amdhsa_exception_fp_ieee_div_zero 0
		.amdhsa_exception_fp_ieee_overflow 0
		.amdhsa_exception_fp_ieee_underflow 0
		.amdhsa_exception_fp_ieee_inexact 0
		.amdhsa_exception_int_div_zero 0
	.end_amdhsa_kernel
	.section	.text._ZN7rocprim17ROCPRIM_400000_NS6detail17trampoline_kernelINS0_13select_configILj256ELj13ELNS0_17block_load_methodE3ELS4_3ELS4_3ELNS0_20block_scan_algorithmE0ELj4294967295EEENS1_25partition_config_selectorILNS1_17partition_subalgoE3EjNS0_10empty_typeEbEEZZNS1_14partition_implILS8_3ELb0ES6_jNS0_17counting_iteratorIjlEEPS9_SE_NS0_5tupleIJPjSE_EEENSF_IJSE_SE_EEES9_SG_JZNS1_25segmented_radix_sort_implINS0_14default_configELb0EPK12hip_bfloat16PSL_PKlPlN2at6native12_GLOBAL__N_18offset_tEEE10hipError_tPvRmT1_PNSt15iterator_traitsISZ_E10value_typeET2_T3_PNS10_IS15_E10value_typeET4_jRbjT5_S1B_jjP12ihipStream_tbEUljE_EEESW_SX_SY_S15_S19_S1B_T6_T7_T9_mT8_S1D_bDpT10_ENKUlT_T0_E_clISt17integral_constantIbLb0EES1Q_EEDaS1L_S1M_EUlS1L_E_NS1_11comp_targetILNS1_3genE2ELNS1_11target_archE906ELNS1_3gpuE6ELNS1_3repE0EEENS1_30default_config_static_selectorELNS0_4arch9wavefront6targetE0EEEvSZ_,"axG",@progbits,_ZN7rocprim17ROCPRIM_400000_NS6detail17trampoline_kernelINS0_13select_configILj256ELj13ELNS0_17block_load_methodE3ELS4_3ELS4_3ELNS0_20block_scan_algorithmE0ELj4294967295EEENS1_25partition_config_selectorILNS1_17partition_subalgoE3EjNS0_10empty_typeEbEEZZNS1_14partition_implILS8_3ELb0ES6_jNS0_17counting_iteratorIjlEEPS9_SE_NS0_5tupleIJPjSE_EEENSF_IJSE_SE_EEES9_SG_JZNS1_25segmented_radix_sort_implINS0_14default_configELb0EPK12hip_bfloat16PSL_PKlPlN2at6native12_GLOBAL__N_18offset_tEEE10hipError_tPvRmT1_PNSt15iterator_traitsISZ_E10value_typeET2_T3_PNS10_IS15_E10value_typeET4_jRbjT5_S1B_jjP12ihipStream_tbEUljE_EEESW_SX_SY_S15_S19_S1B_T6_T7_T9_mT8_S1D_bDpT10_ENKUlT_T0_E_clISt17integral_constantIbLb0EES1Q_EEDaS1L_S1M_EUlS1L_E_NS1_11comp_targetILNS1_3genE2ELNS1_11target_archE906ELNS1_3gpuE6ELNS1_3repE0EEENS1_30default_config_static_selectorELNS0_4arch9wavefront6targetE0EEEvSZ_,comdat
.Lfunc_end2011:
	.size	_ZN7rocprim17ROCPRIM_400000_NS6detail17trampoline_kernelINS0_13select_configILj256ELj13ELNS0_17block_load_methodE3ELS4_3ELS4_3ELNS0_20block_scan_algorithmE0ELj4294967295EEENS1_25partition_config_selectorILNS1_17partition_subalgoE3EjNS0_10empty_typeEbEEZZNS1_14partition_implILS8_3ELb0ES6_jNS0_17counting_iteratorIjlEEPS9_SE_NS0_5tupleIJPjSE_EEENSF_IJSE_SE_EEES9_SG_JZNS1_25segmented_radix_sort_implINS0_14default_configELb0EPK12hip_bfloat16PSL_PKlPlN2at6native12_GLOBAL__N_18offset_tEEE10hipError_tPvRmT1_PNSt15iterator_traitsISZ_E10value_typeET2_T3_PNS10_IS15_E10value_typeET4_jRbjT5_S1B_jjP12ihipStream_tbEUljE_EEESW_SX_SY_S15_S19_S1B_T6_T7_T9_mT8_S1D_bDpT10_ENKUlT_T0_E_clISt17integral_constantIbLb0EES1Q_EEDaS1L_S1M_EUlS1L_E_NS1_11comp_targetILNS1_3genE2ELNS1_11target_archE906ELNS1_3gpuE6ELNS1_3repE0EEENS1_30default_config_static_selectorELNS0_4arch9wavefront6targetE0EEEvSZ_, .Lfunc_end2011-_ZN7rocprim17ROCPRIM_400000_NS6detail17trampoline_kernelINS0_13select_configILj256ELj13ELNS0_17block_load_methodE3ELS4_3ELS4_3ELNS0_20block_scan_algorithmE0ELj4294967295EEENS1_25partition_config_selectorILNS1_17partition_subalgoE3EjNS0_10empty_typeEbEEZZNS1_14partition_implILS8_3ELb0ES6_jNS0_17counting_iteratorIjlEEPS9_SE_NS0_5tupleIJPjSE_EEENSF_IJSE_SE_EEES9_SG_JZNS1_25segmented_radix_sort_implINS0_14default_configELb0EPK12hip_bfloat16PSL_PKlPlN2at6native12_GLOBAL__N_18offset_tEEE10hipError_tPvRmT1_PNSt15iterator_traitsISZ_E10value_typeET2_T3_PNS10_IS15_E10value_typeET4_jRbjT5_S1B_jjP12ihipStream_tbEUljE_EEESW_SX_SY_S15_S19_S1B_T6_T7_T9_mT8_S1D_bDpT10_ENKUlT_T0_E_clISt17integral_constantIbLb0EES1Q_EEDaS1L_S1M_EUlS1L_E_NS1_11comp_targetILNS1_3genE2ELNS1_11target_archE906ELNS1_3gpuE6ELNS1_3repE0EEENS1_30default_config_static_selectorELNS0_4arch9wavefront6targetE0EEEvSZ_
                                        ; -- End function
	.set _ZN7rocprim17ROCPRIM_400000_NS6detail17trampoline_kernelINS0_13select_configILj256ELj13ELNS0_17block_load_methodE3ELS4_3ELS4_3ELNS0_20block_scan_algorithmE0ELj4294967295EEENS1_25partition_config_selectorILNS1_17partition_subalgoE3EjNS0_10empty_typeEbEEZZNS1_14partition_implILS8_3ELb0ES6_jNS0_17counting_iteratorIjlEEPS9_SE_NS0_5tupleIJPjSE_EEENSF_IJSE_SE_EEES9_SG_JZNS1_25segmented_radix_sort_implINS0_14default_configELb0EPK12hip_bfloat16PSL_PKlPlN2at6native12_GLOBAL__N_18offset_tEEE10hipError_tPvRmT1_PNSt15iterator_traitsISZ_E10value_typeET2_T3_PNS10_IS15_E10value_typeET4_jRbjT5_S1B_jjP12ihipStream_tbEUljE_EEESW_SX_SY_S15_S19_S1B_T6_T7_T9_mT8_S1D_bDpT10_ENKUlT_T0_E_clISt17integral_constantIbLb0EES1Q_EEDaS1L_S1M_EUlS1L_E_NS1_11comp_targetILNS1_3genE2ELNS1_11target_archE906ELNS1_3gpuE6ELNS1_3repE0EEENS1_30default_config_static_selectorELNS0_4arch9wavefront6targetE0EEEvSZ_.num_vgpr, 0
	.set _ZN7rocprim17ROCPRIM_400000_NS6detail17trampoline_kernelINS0_13select_configILj256ELj13ELNS0_17block_load_methodE3ELS4_3ELS4_3ELNS0_20block_scan_algorithmE0ELj4294967295EEENS1_25partition_config_selectorILNS1_17partition_subalgoE3EjNS0_10empty_typeEbEEZZNS1_14partition_implILS8_3ELb0ES6_jNS0_17counting_iteratorIjlEEPS9_SE_NS0_5tupleIJPjSE_EEENSF_IJSE_SE_EEES9_SG_JZNS1_25segmented_radix_sort_implINS0_14default_configELb0EPK12hip_bfloat16PSL_PKlPlN2at6native12_GLOBAL__N_18offset_tEEE10hipError_tPvRmT1_PNSt15iterator_traitsISZ_E10value_typeET2_T3_PNS10_IS15_E10value_typeET4_jRbjT5_S1B_jjP12ihipStream_tbEUljE_EEESW_SX_SY_S15_S19_S1B_T6_T7_T9_mT8_S1D_bDpT10_ENKUlT_T0_E_clISt17integral_constantIbLb0EES1Q_EEDaS1L_S1M_EUlS1L_E_NS1_11comp_targetILNS1_3genE2ELNS1_11target_archE906ELNS1_3gpuE6ELNS1_3repE0EEENS1_30default_config_static_selectorELNS0_4arch9wavefront6targetE0EEEvSZ_.num_agpr, 0
	.set _ZN7rocprim17ROCPRIM_400000_NS6detail17trampoline_kernelINS0_13select_configILj256ELj13ELNS0_17block_load_methodE3ELS4_3ELS4_3ELNS0_20block_scan_algorithmE0ELj4294967295EEENS1_25partition_config_selectorILNS1_17partition_subalgoE3EjNS0_10empty_typeEbEEZZNS1_14partition_implILS8_3ELb0ES6_jNS0_17counting_iteratorIjlEEPS9_SE_NS0_5tupleIJPjSE_EEENSF_IJSE_SE_EEES9_SG_JZNS1_25segmented_radix_sort_implINS0_14default_configELb0EPK12hip_bfloat16PSL_PKlPlN2at6native12_GLOBAL__N_18offset_tEEE10hipError_tPvRmT1_PNSt15iterator_traitsISZ_E10value_typeET2_T3_PNS10_IS15_E10value_typeET4_jRbjT5_S1B_jjP12ihipStream_tbEUljE_EEESW_SX_SY_S15_S19_S1B_T6_T7_T9_mT8_S1D_bDpT10_ENKUlT_T0_E_clISt17integral_constantIbLb0EES1Q_EEDaS1L_S1M_EUlS1L_E_NS1_11comp_targetILNS1_3genE2ELNS1_11target_archE906ELNS1_3gpuE6ELNS1_3repE0EEENS1_30default_config_static_selectorELNS0_4arch9wavefront6targetE0EEEvSZ_.numbered_sgpr, 0
	.set _ZN7rocprim17ROCPRIM_400000_NS6detail17trampoline_kernelINS0_13select_configILj256ELj13ELNS0_17block_load_methodE3ELS4_3ELS4_3ELNS0_20block_scan_algorithmE0ELj4294967295EEENS1_25partition_config_selectorILNS1_17partition_subalgoE3EjNS0_10empty_typeEbEEZZNS1_14partition_implILS8_3ELb0ES6_jNS0_17counting_iteratorIjlEEPS9_SE_NS0_5tupleIJPjSE_EEENSF_IJSE_SE_EEES9_SG_JZNS1_25segmented_radix_sort_implINS0_14default_configELb0EPK12hip_bfloat16PSL_PKlPlN2at6native12_GLOBAL__N_18offset_tEEE10hipError_tPvRmT1_PNSt15iterator_traitsISZ_E10value_typeET2_T3_PNS10_IS15_E10value_typeET4_jRbjT5_S1B_jjP12ihipStream_tbEUljE_EEESW_SX_SY_S15_S19_S1B_T6_T7_T9_mT8_S1D_bDpT10_ENKUlT_T0_E_clISt17integral_constantIbLb0EES1Q_EEDaS1L_S1M_EUlS1L_E_NS1_11comp_targetILNS1_3genE2ELNS1_11target_archE906ELNS1_3gpuE6ELNS1_3repE0EEENS1_30default_config_static_selectorELNS0_4arch9wavefront6targetE0EEEvSZ_.num_named_barrier, 0
	.set _ZN7rocprim17ROCPRIM_400000_NS6detail17trampoline_kernelINS0_13select_configILj256ELj13ELNS0_17block_load_methodE3ELS4_3ELS4_3ELNS0_20block_scan_algorithmE0ELj4294967295EEENS1_25partition_config_selectorILNS1_17partition_subalgoE3EjNS0_10empty_typeEbEEZZNS1_14partition_implILS8_3ELb0ES6_jNS0_17counting_iteratorIjlEEPS9_SE_NS0_5tupleIJPjSE_EEENSF_IJSE_SE_EEES9_SG_JZNS1_25segmented_radix_sort_implINS0_14default_configELb0EPK12hip_bfloat16PSL_PKlPlN2at6native12_GLOBAL__N_18offset_tEEE10hipError_tPvRmT1_PNSt15iterator_traitsISZ_E10value_typeET2_T3_PNS10_IS15_E10value_typeET4_jRbjT5_S1B_jjP12ihipStream_tbEUljE_EEESW_SX_SY_S15_S19_S1B_T6_T7_T9_mT8_S1D_bDpT10_ENKUlT_T0_E_clISt17integral_constantIbLb0EES1Q_EEDaS1L_S1M_EUlS1L_E_NS1_11comp_targetILNS1_3genE2ELNS1_11target_archE906ELNS1_3gpuE6ELNS1_3repE0EEENS1_30default_config_static_selectorELNS0_4arch9wavefront6targetE0EEEvSZ_.private_seg_size, 0
	.set _ZN7rocprim17ROCPRIM_400000_NS6detail17trampoline_kernelINS0_13select_configILj256ELj13ELNS0_17block_load_methodE3ELS4_3ELS4_3ELNS0_20block_scan_algorithmE0ELj4294967295EEENS1_25partition_config_selectorILNS1_17partition_subalgoE3EjNS0_10empty_typeEbEEZZNS1_14partition_implILS8_3ELb0ES6_jNS0_17counting_iteratorIjlEEPS9_SE_NS0_5tupleIJPjSE_EEENSF_IJSE_SE_EEES9_SG_JZNS1_25segmented_radix_sort_implINS0_14default_configELb0EPK12hip_bfloat16PSL_PKlPlN2at6native12_GLOBAL__N_18offset_tEEE10hipError_tPvRmT1_PNSt15iterator_traitsISZ_E10value_typeET2_T3_PNS10_IS15_E10value_typeET4_jRbjT5_S1B_jjP12ihipStream_tbEUljE_EEESW_SX_SY_S15_S19_S1B_T6_T7_T9_mT8_S1D_bDpT10_ENKUlT_T0_E_clISt17integral_constantIbLb0EES1Q_EEDaS1L_S1M_EUlS1L_E_NS1_11comp_targetILNS1_3genE2ELNS1_11target_archE906ELNS1_3gpuE6ELNS1_3repE0EEENS1_30default_config_static_selectorELNS0_4arch9wavefront6targetE0EEEvSZ_.uses_vcc, 0
	.set _ZN7rocprim17ROCPRIM_400000_NS6detail17trampoline_kernelINS0_13select_configILj256ELj13ELNS0_17block_load_methodE3ELS4_3ELS4_3ELNS0_20block_scan_algorithmE0ELj4294967295EEENS1_25partition_config_selectorILNS1_17partition_subalgoE3EjNS0_10empty_typeEbEEZZNS1_14partition_implILS8_3ELb0ES6_jNS0_17counting_iteratorIjlEEPS9_SE_NS0_5tupleIJPjSE_EEENSF_IJSE_SE_EEES9_SG_JZNS1_25segmented_radix_sort_implINS0_14default_configELb0EPK12hip_bfloat16PSL_PKlPlN2at6native12_GLOBAL__N_18offset_tEEE10hipError_tPvRmT1_PNSt15iterator_traitsISZ_E10value_typeET2_T3_PNS10_IS15_E10value_typeET4_jRbjT5_S1B_jjP12ihipStream_tbEUljE_EEESW_SX_SY_S15_S19_S1B_T6_T7_T9_mT8_S1D_bDpT10_ENKUlT_T0_E_clISt17integral_constantIbLb0EES1Q_EEDaS1L_S1M_EUlS1L_E_NS1_11comp_targetILNS1_3genE2ELNS1_11target_archE906ELNS1_3gpuE6ELNS1_3repE0EEENS1_30default_config_static_selectorELNS0_4arch9wavefront6targetE0EEEvSZ_.uses_flat_scratch, 0
	.set _ZN7rocprim17ROCPRIM_400000_NS6detail17trampoline_kernelINS0_13select_configILj256ELj13ELNS0_17block_load_methodE3ELS4_3ELS4_3ELNS0_20block_scan_algorithmE0ELj4294967295EEENS1_25partition_config_selectorILNS1_17partition_subalgoE3EjNS0_10empty_typeEbEEZZNS1_14partition_implILS8_3ELb0ES6_jNS0_17counting_iteratorIjlEEPS9_SE_NS0_5tupleIJPjSE_EEENSF_IJSE_SE_EEES9_SG_JZNS1_25segmented_radix_sort_implINS0_14default_configELb0EPK12hip_bfloat16PSL_PKlPlN2at6native12_GLOBAL__N_18offset_tEEE10hipError_tPvRmT1_PNSt15iterator_traitsISZ_E10value_typeET2_T3_PNS10_IS15_E10value_typeET4_jRbjT5_S1B_jjP12ihipStream_tbEUljE_EEESW_SX_SY_S15_S19_S1B_T6_T7_T9_mT8_S1D_bDpT10_ENKUlT_T0_E_clISt17integral_constantIbLb0EES1Q_EEDaS1L_S1M_EUlS1L_E_NS1_11comp_targetILNS1_3genE2ELNS1_11target_archE906ELNS1_3gpuE6ELNS1_3repE0EEENS1_30default_config_static_selectorELNS0_4arch9wavefront6targetE0EEEvSZ_.has_dyn_sized_stack, 0
	.set _ZN7rocprim17ROCPRIM_400000_NS6detail17trampoline_kernelINS0_13select_configILj256ELj13ELNS0_17block_load_methodE3ELS4_3ELS4_3ELNS0_20block_scan_algorithmE0ELj4294967295EEENS1_25partition_config_selectorILNS1_17partition_subalgoE3EjNS0_10empty_typeEbEEZZNS1_14partition_implILS8_3ELb0ES6_jNS0_17counting_iteratorIjlEEPS9_SE_NS0_5tupleIJPjSE_EEENSF_IJSE_SE_EEES9_SG_JZNS1_25segmented_radix_sort_implINS0_14default_configELb0EPK12hip_bfloat16PSL_PKlPlN2at6native12_GLOBAL__N_18offset_tEEE10hipError_tPvRmT1_PNSt15iterator_traitsISZ_E10value_typeET2_T3_PNS10_IS15_E10value_typeET4_jRbjT5_S1B_jjP12ihipStream_tbEUljE_EEESW_SX_SY_S15_S19_S1B_T6_T7_T9_mT8_S1D_bDpT10_ENKUlT_T0_E_clISt17integral_constantIbLb0EES1Q_EEDaS1L_S1M_EUlS1L_E_NS1_11comp_targetILNS1_3genE2ELNS1_11target_archE906ELNS1_3gpuE6ELNS1_3repE0EEENS1_30default_config_static_selectorELNS0_4arch9wavefront6targetE0EEEvSZ_.has_recursion, 0
	.set _ZN7rocprim17ROCPRIM_400000_NS6detail17trampoline_kernelINS0_13select_configILj256ELj13ELNS0_17block_load_methodE3ELS4_3ELS4_3ELNS0_20block_scan_algorithmE0ELj4294967295EEENS1_25partition_config_selectorILNS1_17partition_subalgoE3EjNS0_10empty_typeEbEEZZNS1_14partition_implILS8_3ELb0ES6_jNS0_17counting_iteratorIjlEEPS9_SE_NS0_5tupleIJPjSE_EEENSF_IJSE_SE_EEES9_SG_JZNS1_25segmented_radix_sort_implINS0_14default_configELb0EPK12hip_bfloat16PSL_PKlPlN2at6native12_GLOBAL__N_18offset_tEEE10hipError_tPvRmT1_PNSt15iterator_traitsISZ_E10value_typeET2_T3_PNS10_IS15_E10value_typeET4_jRbjT5_S1B_jjP12ihipStream_tbEUljE_EEESW_SX_SY_S15_S19_S1B_T6_T7_T9_mT8_S1D_bDpT10_ENKUlT_T0_E_clISt17integral_constantIbLb0EES1Q_EEDaS1L_S1M_EUlS1L_E_NS1_11comp_targetILNS1_3genE2ELNS1_11target_archE906ELNS1_3gpuE6ELNS1_3repE0EEENS1_30default_config_static_selectorELNS0_4arch9wavefront6targetE0EEEvSZ_.has_indirect_call, 0
	.section	.AMDGPU.csdata,"",@progbits
; Kernel info:
; codeLenInByte = 0
; TotalNumSgprs: 0
; NumVgprs: 0
; ScratchSize: 0
; MemoryBound: 0
; FloatMode: 240
; IeeeMode: 1
; LDSByteSize: 0 bytes/workgroup (compile time only)
; SGPRBlocks: 0
; VGPRBlocks: 0
; NumSGPRsForWavesPerEU: 1
; NumVGPRsForWavesPerEU: 1
; Occupancy: 16
; WaveLimiterHint : 0
; COMPUTE_PGM_RSRC2:SCRATCH_EN: 0
; COMPUTE_PGM_RSRC2:USER_SGPR: 6
; COMPUTE_PGM_RSRC2:TRAP_HANDLER: 0
; COMPUTE_PGM_RSRC2:TGID_X_EN: 1
; COMPUTE_PGM_RSRC2:TGID_Y_EN: 0
; COMPUTE_PGM_RSRC2:TGID_Z_EN: 0
; COMPUTE_PGM_RSRC2:TIDIG_COMP_CNT: 0
	.section	.text._ZN7rocprim17ROCPRIM_400000_NS6detail17trampoline_kernelINS0_13select_configILj256ELj13ELNS0_17block_load_methodE3ELS4_3ELS4_3ELNS0_20block_scan_algorithmE0ELj4294967295EEENS1_25partition_config_selectorILNS1_17partition_subalgoE3EjNS0_10empty_typeEbEEZZNS1_14partition_implILS8_3ELb0ES6_jNS0_17counting_iteratorIjlEEPS9_SE_NS0_5tupleIJPjSE_EEENSF_IJSE_SE_EEES9_SG_JZNS1_25segmented_radix_sort_implINS0_14default_configELb0EPK12hip_bfloat16PSL_PKlPlN2at6native12_GLOBAL__N_18offset_tEEE10hipError_tPvRmT1_PNSt15iterator_traitsISZ_E10value_typeET2_T3_PNS10_IS15_E10value_typeET4_jRbjT5_S1B_jjP12ihipStream_tbEUljE_EEESW_SX_SY_S15_S19_S1B_T6_T7_T9_mT8_S1D_bDpT10_ENKUlT_T0_E_clISt17integral_constantIbLb0EES1Q_EEDaS1L_S1M_EUlS1L_E_NS1_11comp_targetILNS1_3genE10ELNS1_11target_archE1200ELNS1_3gpuE4ELNS1_3repE0EEENS1_30default_config_static_selectorELNS0_4arch9wavefront6targetE0EEEvSZ_,"axG",@progbits,_ZN7rocprim17ROCPRIM_400000_NS6detail17trampoline_kernelINS0_13select_configILj256ELj13ELNS0_17block_load_methodE3ELS4_3ELS4_3ELNS0_20block_scan_algorithmE0ELj4294967295EEENS1_25partition_config_selectorILNS1_17partition_subalgoE3EjNS0_10empty_typeEbEEZZNS1_14partition_implILS8_3ELb0ES6_jNS0_17counting_iteratorIjlEEPS9_SE_NS0_5tupleIJPjSE_EEENSF_IJSE_SE_EEES9_SG_JZNS1_25segmented_radix_sort_implINS0_14default_configELb0EPK12hip_bfloat16PSL_PKlPlN2at6native12_GLOBAL__N_18offset_tEEE10hipError_tPvRmT1_PNSt15iterator_traitsISZ_E10value_typeET2_T3_PNS10_IS15_E10value_typeET4_jRbjT5_S1B_jjP12ihipStream_tbEUljE_EEESW_SX_SY_S15_S19_S1B_T6_T7_T9_mT8_S1D_bDpT10_ENKUlT_T0_E_clISt17integral_constantIbLb0EES1Q_EEDaS1L_S1M_EUlS1L_E_NS1_11comp_targetILNS1_3genE10ELNS1_11target_archE1200ELNS1_3gpuE4ELNS1_3repE0EEENS1_30default_config_static_selectorELNS0_4arch9wavefront6targetE0EEEvSZ_,comdat
	.globl	_ZN7rocprim17ROCPRIM_400000_NS6detail17trampoline_kernelINS0_13select_configILj256ELj13ELNS0_17block_load_methodE3ELS4_3ELS4_3ELNS0_20block_scan_algorithmE0ELj4294967295EEENS1_25partition_config_selectorILNS1_17partition_subalgoE3EjNS0_10empty_typeEbEEZZNS1_14partition_implILS8_3ELb0ES6_jNS0_17counting_iteratorIjlEEPS9_SE_NS0_5tupleIJPjSE_EEENSF_IJSE_SE_EEES9_SG_JZNS1_25segmented_radix_sort_implINS0_14default_configELb0EPK12hip_bfloat16PSL_PKlPlN2at6native12_GLOBAL__N_18offset_tEEE10hipError_tPvRmT1_PNSt15iterator_traitsISZ_E10value_typeET2_T3_PNS10_IS15_E10value_typeET4_jRbjT5_S1B_jjP12ihipStream_tbEUljE_EEESW_SX_SY_S15_S19_S1B_T6_T7_T9_mT8_S1D_bDpT10_ENKUlT_T0_E_clISt17integral_constantIbLb0EES1Q_EEDaS1L_S1M_EUlS1L_E_NS1_11comp_targetILNS1_3genE10ELNS1_11target_archE1200ELNS1_3gpuE4ELNS1_3repE0EEENS1_30default_config_static_selectorELNS0_4arch9wavefront6targetE0EEEvSZ_ ; -- Begin function _ZN7rocprim17ROCPRIM_400000_NS6detail17trampoline_kernelINS0_13select_configILj256ELj13ELNS0_17block_load_methodE3ELS4_3ELS4_3ELNS0_20block_scan_algorithmE0ELj4294967295EEENS1_25partition_config_selectorILNS1_17partition_subalgoE3EjNS0_10empty_typeEbEEZZNS1_14partition_implILS8_3ELb0ES6_jNS0_17counting_iteratorIjlEEPS9_SE_NS0_5tupleIJPjSE_EEENSF_IJSE_SE_EEES9_SG_JZNS1_25segmented_radix_sort_implINS0_14default_configELb0EPK12hip_bfloat16PSL_PKlPlN2at6native12_GLOBAL__N_18offset_tEEE10hipError_tPvRmT1_PNSt15iterator_traitsISZ_E10value_typeET2_T3_PNS10_IS15_E10value_typeET4_jRbjT5_S1B_jjP12ihipStream_tbEUljE_EEESW_SX_SY_S15_S19_S1B_T6_T7_T9_mT8_S1D_bDpT10_ENKUlT_T0_E_clISt17integral_constantIbLb0EES1Q_EEDaS1L_S1M_EUlS1L_E_NS1_11comp_targetILNS1_3genE10ELNS1_11target_archE1200ELNS1_3gpuE4ELNS1_3repE0EEENS1_30default_config_static_selectorELNS0_4arch9wavefront6targetE0EEEvSZ_
	.p2align	8
	.type	_ZN7rocprim17ROCPRIM_400000_NS6detail17trampoline_kernelINS0_13select_configILj256ELj13ELNS0_17block_load_methodE3ELS4_3ELS4_3ELNS0_20block_scan_algorithmE0ELj4294967295EEENS1_25partition_config_selectorILNS1_17partition_subalgoE3EjNS0_10empty_typeEbEEZZNS1_14partition_implILS8_3ELb0ES6_jNS0_17counting_iteratorIjlEEPS9_SE_NS0_5tupleIJPjSE_EEENSF_IJSE_SE_EEES9_SG_JZNS1_25segmented_radix_sort_implINS0_14default_configELb0EPK12hip_bfloat16PSL_PKlPlN2at6native12_GLOBAL__N_18offset_tEEE10hipError_tPvRmT1_PNSt15iterator_traitsISZ_E10value_typeET2_T3_PNS10_IS15_E10value_typeET4_jRbjT5_S1B_jjP12ihipStream_tbEUljE_EEESW_SX_SY_S15_S19_S1B_T6_T7_T9_mT8_S1D_bDpT10_ENKUlT_T0_E_clISt17integral_constantIbLb0EES1Q_EEDaS1L_S1M_EUlS1L_E_NS1_11comp_targetILNS1_3genE10ELNS1_11target_archE1200ELNS1_3gpuE4ELNS1_3repE0EEENS1_30default_config_static_selectorELNS0_4arch9wavefront6targetE0EEEvSZ_,@function
_ZN7rocprim17ROCPRIM_400000_NS6detail17trampoline_kernelINS0_13select_configILj256ELj13ELNS0_17block_load_methodE3ELS4_3ELS4_3ELNS0_20block_scan_algorithmE0ELj4294967295EEENS1_25partition_config_selectorILNS1_17partition_subalgoE3EjNS0_10empty_typeEbEEZZNS1_14partition_implILS8_3ELb0ES6_jNS0_17counting_iteratorIjlEEPS9_SE_NS0_5tupleIJPjSE_EEENSF_IJSE_SE_EEES9_SG_JZNS1_25segmented_radix_sort_implINS0_14default_configELb0EPK12hip_bfloat16PSL_PKlPlN2at6native12_GLOBAL__N_18offset_tEEE10hipError_tPvRmT1_PNSt15iterator_traitsISZ_E10value_typeET2_T3_PNS10_IS15_E10value_typeET4_jRbjT5_S1B_jjP12ihipStream_tbEUljE_EEESW_SX_SY_S15_S19_S1B_T6_T7_T9_mT8_S1D_bDpT10_ENKUlT_T0_E_clISt17integral_constantIbLb0EES1Q_EEDaS1L_S1M_EUlS1L_E_NS1_11comp_targetILNS1_3genE10ELNS1_11target_archE1200ELNS1_3gpuE4ELNS1_3repE0EEENS1_30default_config_static_selectorELNS0_4arch9wavefront6targetE0EEEvSZ_: ; @_ZN7rocprim17ROCPRIM_400000_NS6detail17trampoline_kernelINS0_13select_configILj256ELj13ELNS0_17block_load_methodE3ELS4_3ELS4_3ELNS0_20block_scan_algorithmE0ELj4294967295EEENS1_25partition_config_selectorILNS1_17partition_subalgoE3EjNS0_10empty_typeEbEEZZNS1_14partition_implILS8_3ELb0ES6_jNS0_17counting_iteratorIjlEEPS9_SE_NS0_5tupleIJPjSE_EEENSF_IJSE_SE_EEES9_SG_JZNS1_25segmented_radix_sort_implINS0_14default_configELb0EPK12hip_bfloat16PSL_PKlPlN2at6native12_GLOBAL__N_18offset_tEEE10hipError_tPvRmT1_PNSt15iterator_traitsISZ_E10value_typeET2_T3_PNS10_IS15_E10value_typeET4_jRbjT5_S1B_jjP12ihipStream_tbEUljE_EEESW_SX_SY_S15_S19_S1B_T6_T7_T9_mT8_S1D_bDpT10_ENKUlT_T0_E_clISt17integral_constantIbLb0EES1Q_EEDaS1L_S1M_EUlS1L_E_NS1_11comp_targetILNS1_3genE10ELNS1_11target_archE1200ELNS1_3gpuE4ELNS1_3repE0EEENS1_30default_config_static_selectorELNS0_4arch9wavefront6targetE0EEEvSZ_
; %bb.0:
	.section	.rodata,"a",@progbits
	.p2align	6, 0x0
	.amdhsa_kernel _ZN7rocprim17ROCPRIM_400000_NS6detail17trampoline_kernelINS0_13select_configILj256ELj13ELNS0_17block_load_methodE3ELS4_3ELS4_3ELNS0_20block_scan_algorithmE0ELj4294967295EEENS1_25partition_config_selectorILNS1_17partition_subalgoE3EjNS0_10empty_typeEbEEZZNS1_14partition_implILS8_3ELb0ES6_jNS0_17counting_iteratorIjlEEPS9_SE_NS0_5tupleIJPjSE_EEENSF_IJSE_SE_EEES9_SG_JZNS1_25segmented_radix_sort_implINS0_14default_configELb0EPK12hip_bfloat16PSL_PKlPlN2at6native12_GLOBAL__N_18offset_tEEE10hipError_tPvRmT1_PNSt15iterator_traitsISZ_E10value_typeET2_T3_PNS10_IS15_E10value_typeET4_jRbjT5_S1B_jjP12ihipStream_tbEUljE_EEESW_SX_SY_S15_S19_S1B_T6_T7_T9_mT8_S1D_bDpT10_ENKUlT_T0_E_clISt17integral_constantIbLb0EES1Q_EEDaS1L_S1M_EUlS1L_E_NS1_11comp_targetILNS1_3genE10ELNS1_11target_archE1200ELNS1_3gpuE4ELNS1_3repE0EEENS1_30default_config_static_selectorELNS0_4arch9wavefront6targetE0EEEvSZ_
		.amdhsa_group_segment_fixed_size 0
		.amdhsa_private_segment_fixed_size 0
		.amdhsa_kernarg_size 144
		.amdhsa_user_sgpr_count 6
		.amdhsa_user_sgpr_private_segment_buffer 1
		.amdhsa_user_sgpr_dispatch_ptr 0
		.amdhsa_user_sgpr_queue_ptr 0
		.amdhsa_user_sgpr_kernarg_segment_ptr 1
		.amdhsa_user_sgpr_dispatch_id 0
		.amdhsa_user_sgpr_flat_scratch_init 0
		.amdhsa_user_sgpr_private_segment_size 0
		.amdhsa_wavefront_size32 1
		.amdhsa_uses_dynamic_stack 0
		.amdhsa_system_sgpr_private_segment_wavefront_offset 0
		.amdhsa_system_sgpr_workgroup_id_x 1
		.amdhsa_system_sgpr_workgroup_id_y 0
		.amdhsa_system_sgpr_workgroup_id_z 0
		.amdhsa_system_sgpr_workgroup_info 0
		.amdhsa_system_vgpr_workitem_id 0
		.amdhsa_next_free_vgpr 1
		.amdhsa_next_free_sgpr 1
		.amdhsa_reserve_vcc 0
		.amdhsa_reserve_flat_scratch 0
		.amdhsa_float_round_mode_32 0
		.amdhsa_float_round_mode_16_64 0
		.amdhsa_float_denorm_mode_32 3
		.amdhsa_float_denorm_mode_16_64 3
		.amdhsa_dx10_clamp 1
		.amdhsa_ieee_mode 1
		.amdhsa_fp16_overflow 0
		.amdhsa_workgroup_processor_mode 1
		.amdhsa_memory_ordered 1
		.amdhsa_forward_progress 1
		.amdhsa_shared_vgpr_count 0
		.amdhsa_exception_fp_ieee_invalid_op 0
		.amdhsa_exception_fp_denorm_src 0
		.amdhsa_exception_fp_ieee_div_zero 0
		.amdhsa_exception_fp_ieee_overflow 0
		.amdhsa_exception_fp_ieee_underflow 0
		.amdhsa_exception_fp_ieee_inexact 0
		.amdhsa_exception_int_div_zero 0
	.end_amdhsa_kernel
	.section	.text._ZN7rocprim17ROCPRIM_400000_NS6detail17trampoline_kernelINS0_13select_configILj256ELj13ELNS0_17block_load_methodE3ELS4_3ELS4_3ELNS0_20block_scan_algorithmE0ELj4294967295EEENS1_25partition_config_selectorILNS1_17partition_subalgoE3EjNS0_10empty_typeEbEEZZNS1_14partition_implILS8_3ELb0ES6_jNS0_17counting_iteratorIjlEEPS9_SE_NS0_5tupleIJPjSE_EEENSF_IJSE_SE_EEES9_SG_JZNS1_25segmented_radix_sort_implINS0_14default_configELb0EPK12hip_bfloat16PSL_PKlPlN2at6native12_GLOBAL__N_18offset_tEEE10hipError_tPvRmT1_PNSt15iterator_traitsISZ_E10value_typeET2_T3_PNS10_IS15_E10value_typeET4_jRbjT5_S1B_jjP12ihipStream_tbEUljE_EEESW_SX_SY_S15_S19_S1B_T6_T7_T9_mT8_S1D_bDpT10_ENKUlT_T0_E_clISt17integral_constantIbLb0EES1Q_EEDaS1L_S1M_EUlS1L_E_NS1_11comp_targetILNS1_3genE10ELNS1_11target_archE1200ELNS1_3gpuE4ELNS1_3repE0EEENS1_30default_config_static_selectorELNS0_4arch9wavefront6targetE0EEEvSZ_,"axG",@progbits,_ZN7rocprim17ROCPRIM_400000_NS6detail17trampoline_kernelINS0_13select_configILj256ELj13ELNS0_17block_load_methodE3ELS4_3ELS4_3ELNS0_20block_scan_algorithmE0ELj4294967295EEENS1_25partition_config_selectorILNS1_17partition_subalgoE3EjNS0_10empty_typeEbEEZZNS1_14partition_implILS8_3ELb0ES6_jNS0_17counting_iteratorIjlEEPS9_SE_NS0_5tupleIJPjSE_EEENSF_IJSE_SE_EEES9_SG_JZNS1_25segmented_radix_sort_implINS0_14default_configELb0EPK12hip_bfloat16PSL_PKlPlN2at6native12_GLOBAL__N_18offset_tEEE10hipError_tPvRmT1_PNSt15iterator_traitsISZ_E10value_typeET2_T3_PNS10_IS15_E10value_typeET4_jRbjT5_S1B_jjP12ihipStream_tbEUljE_EEESW_SX_SY_S15_S19_S1B_T6_T7_T9_mT8_S1D_bDpT10_ENKUlT_T0_E_clISt17integral_constantIbLb0EES1Q_EEDaS1L_S1M_EUlS1L_E_NS1_11comp_targetILNS1_3genE10ELNS1_11target_archE1200ELNS1_3gpuE4ELNS1_3repE0EEENS1_30default_config_static_selectorELNS0_4arch9wavefront6targetE0EEEvSZ_,comdat
.Lfunc_end2012:
	.size	_ZN7rocprim17ROCPRIM_400000_NS6detail17trampoline_kernelINS0_13select_configILj256ELj13ELNS0_17block_load_methodE3ELS4_3ELS4_3ELNS0_20block_scan_algorithmE0ELj4294967295EEENS1_25partition_config_selectorILNS1_17partition_subalgoE3EjNS0_10empty_typeEbEEZZNS1_14partition_implILS8_3ELb0ES6_jNS0_17counting_iteratorIjlEEPS9_SE_NS0_5tupleIJPjSE_EEENSF_IJSE_SE_EEES9_SG_JZNS1_25segmented_radix_sort_implINS0_14default_configELb0EPK12hip_bfloat16PSL_PKlPlN2at6native12_GLOBAL__N_18offset_tEEE10hipError_tPvRmT1_PNSt15iterator_traitsISZ_E10value_typeET2_T3_PNS10_IS15_E10value_typeET4_jRbjT5_S1B_jjP12ihipStream_tbEUljE_EEESW_SX_SY_S15_S19_S1B_T6_T7_T9_mT8_S1D_bDpT10_ENKUlT_T0_E_clISt17integral_constantIbLb0EES1Q_EEDaS1L_S1M_EUlS1L_E_NS1_11comp_targetILNS1_3genE10ELNS1_11target_archE1200ELNS1_3gpuE4ELNS1_3repE0EEENS1_30default_config_static_selectorELNS0_4arch9wavefront6targetE0EEEvSZ_, .Lfunc_end2012-_ZN7rocprim17ROCPRIM_400000_NS6detail17trampoline_kernelINS0_13select_configILj256ELj13ELNS0_17block_load_methodE3ELS4_3ELS4_3ELNS0_20block_scan_algorithmE0ELj4294967295EEENS1_25partition_config_selectorILNS1_17partition_subalgoE3EjNS0_10empty_typeEbEEZZNS1_14partition_implILS8_3ELb0ES6_jNS0_17counting_iteratorIjlEEPS9_SE_NS0_5tupleIJPjSE_EEENSF_IJSE_SE_EEES9_SG_JZNS1_25segmented_radix_sort_implINS0_14default_configELb0EPK12hip_bfloat16PSL_PKlPlN2at6native12_GLOBAL__N_18offset_tEEE10hipError_tPvRmT1_PNSt15iterator_traitsISZ_E10value_typeET2_T3_PNS10_IS15_E10value_typeET4_jRbjT5_S1B_jjP12ihipStream_tbEUljE_EEESW_SX_SY_S15_S19_S1B_T6_T7_T9_mT8_S1D_bDpT10_ENKUlT_T0_E_clISt17integral_constantIbLb0EES1Q_EEDaS1L_S1M_EUlS1L_E_NS1_11comp_targetILNS1_3genE10ELNS1_11target_archE1200ELNS1_3gpuE4ELNS1_3repE0EEENS1_30default_config_static_selectorELNS0_4arch9wavefront6targetE0EEEvSZ_
                                        ; -- End function
	.set _ZN7rocprim17ROCPRIM_400000_NS6detail17trampoline_kernelINS0_13select_configILj256ELj13ELNS0_17block_load_methodE3ELS4_3ELS4_3ELNS0_20block_scan_algorithmE0ELj4294967295EEENS1_25partition_config_selectorILNS1_17partition_subalgoE3EjNS0_10empty_typeEbEEZZNS1_14partition_implILS8_3ELb0ES6_jNS0_17counting_iteratorIjlEEPS9_SE_NS0_5tupleIJPjSE_EEENSF_IJSE_SE_EEES9_SG_JZNS1_25segmented_radix_sort_implINS0_14default_configELb0EPK12hip_bfloat16PSL_PKlPlN2at6native12_GLOBAL__N_18offset_tEEE10hipError_tPvRmT1_PNSt15iterator_traitsISZ_E10value_typeET2_T3_PNS10_IS15_E10value_typeET4_jRbjT5_S1B_jjP12ihipStream_tbEUljE_EEESW_SX_SY_S15_S19_S1B_T6_T7_T9_mT8_S1D_bDpT10_ENKUlT_T0_E_clISt17integral_constantIbLb0EES1Q_EEDaS1L_S1M_EUlS1L_E_NS1_11comp_targetILNS1_3genE10ELNS1_11target_archE1200ELNS1_3gpuE4ELNS1_3repE0EEENS1_30default_config_static_selectorELNS0_4arch9wavefront6targetE0EEEvSZ_.num_vgpr, 0
	.set _ZN7rocprim17ROCPRIM_400000_NS6detail17trampoline_kernelINS0_13select_configILj256ELj13ELNS0_17block_load_methodE3ELS4_3ELS4_3ELNS0_20block_scan_algorithmE0ELj4294967295EEENS1_25partition_config_selectorILNS1_17partition_subalgoE3EjNS0_10empty_typeEbEEZZNS1_14partition_implILS8_3ELb0ES6_jNS0_17counting_iteratorIjlEEPS9_SE_NS0_5tupleIJPjSE_EEENSF_IJSE_SE_EEES9_SG_JZNS1_25segmented_radix_sort_implINS0_14default_configELb0EPK12hip_bfloat16PSL_PKlPlN2at6native12_GLOBAL__N_18offset_tEEE10hipError_tPvRmT1_PNSt15iterator_traitsISZ_E10value_typeET2_T3_PNS10_IS15_E10value_typeET4_jRbjT5_S1B_jjP12ihipStream_tbEUljE_EEESW_SX_SY_S15_S19_S1B_T6_T7_T9_mT8_S1D_bDpT10_ENKUlT_T0_E_clISt17integral_constantIbLb0EES1Q_EEDaS1L_S1M_EUlS1L_E_NS1_11comp_targetILNS1_3genE10ELNS1_11target_archE1200ELNS1_3gpuE4ELNS1_3repE0EEENS1_30default_config_static_selectorELNS0_4arch9wavefront6targetE0EEEvSZ_.num_agpr, 0
	.set _ZN7rocprim17ROCPRIM_400000_NS6detail17trampoline_kernelINS0_13select_configILj256ELj13ELNS0_17block_load_methodE3ELS4_3ELS4_3ELNS0_20block_scan_algorithmE0ELj4294967295EEENS1_25partition_config_selectorILNS1_17partition_subalgoE3EjNS0_10empty_typeEbEEZZNS1_14partition_implILS8_3ELb0ES6_jNS0_17counting_iteratorIjlEEPS9_SE_NS0_5tupleIJPjSE_EEENSF_IJSE_SE_EEES9_SG_JZNS1_25segmented_radix_sort_implINS0_14default_configELb0EPK12hip_bfloat16PSL_PKlPlN2at6native12_GLOBAL__N_18offset_tEEE10hipError_tPvRmT1_PNSt15iterator_traitsISZ_E10value_typeET2_T3_PNS10_IS15_E10value_typeET4_jRbjT5_S1B_jjP12ihipStream_tbEUljE_EEESW_SX_SY_S15_S19_S1B_T6_T7_T9_mT8_S1D_bDpT10_ENKUlT_T0_E_clISt17integral_constantIbLb0EES1Q_EEDaS1L_S1M_EUlS1L_E_NS1_11comp_targetILNS1_3genE10ELNS1_11target_archE1200ELNS1_3gpuE4ELNS1_3repE0EEENS1_30default_config_static_selectorELNS0_4arch9wavefront6targetE0EEEvSZ_.numbered_sgpr, 0
	.set _ZN7rocprim17ROCPRIM_400000_NS6detail17trampoline_kernelINS0_13select_configILj256ELj13ELNS0_17block_load_methodE3ELS4_3ELS4_3ELNS0_20block_scan_algorithmE0ELj4294967295EEENS1_25partition_config_selectorILNS1_17partition_subalgoE3EjNS0_10empty_typeEbEEZZNS1_14partition_implILS8_3ELb0ES6_jNS0_17counting_iteratorIjlEEPS9_SE_NS0_5tupleIJPjSE_EEENSF_IJSE_SE_EEES9_SG_JZNS1_25segmented_radix_sort_implINS0_14default_configELb0EPK12hip_bfloat16PSL_PKlPlN2at6native12_GLOBAL__N_18offset_tEEE10hipError_tPvRmT1_PNSt15iterator_traitsISZ_E10value_typeET2_T3_PNS10_IS15_E10value_typeET4_jRbjT5_S1B_jjP12ihipStream_tbEUljE_EEESW_SX_SY_S15_S19_S1B_T6_T7_T9_mT8_S1D_bDpT10_ENKUlT_T0_E_clISt17integral_constantIbLb0EES1Q_EEDaS1L_S1M_EUlS1L_E_NS1_11comp_targetILNS1_3genE10ELNS1_11target_archE1200ELNS1_3gpuE4ELNS1_3repE0EEENS1_30default_config_static_selectorELNS0_4arch9wavefront6targetE0EEEvSZ_.num_named_barrier, 0
	.set _ZN7rocprim17ROCPRIM_400000_NS6detail17trampoline_kernelINS0_13select_configILj256ELj13ELNS0_17block_load_methodE3ELS4_3ELS4_3ELNS0_20block_scan_algorithmE0ELj4294967295EEENS1_25partition_config_selectorILNS1_17partition_subalgoE3EjNS0_10empty_typeEbEEZZNS1_14partition_implILS8_3ELb0ES6_jNS0_17counting_iteratorIjlEEPS9_SE_NS0_5tupleIJPjSE_EEENSF_IJSE_SE_EEES9_SG_JZNS1_25segmented_radix_sort_implINS0_14default_configELb0EPK12hip_bfloat16PSL_PKlPlN2at6native12_GLOBAL__N_18offset_tEEE10hipError_tPvRmT1_PNSt15iterator_traitsISZ_E10value_typeET2_T3_PNS10_IS15_E10value_typeET4_jRbjT5_S1B_jjP12ihipStream_tbEUljE_EEESW_SX_SY_S15_S19_S1B_T6_T7_T9_mT8_S1D_bDpT10_ENKUlT_T0_E_clISt17integral_constantIbLb0EES1Q_EEDaS1L_S1M_EUlS1L_E_NS1_11comp_targetILNS1_3genE10ELNS1_11target_archE1200ELNS1_3gpuE4ELNS1_3repE0EEENS1_30default_config_static_selectorELNS0_4arch9wavefront6targetE0EEEvSZ_.private_seg_size, 0
	.set _ZN7rocprim17ROCPRIM_400000_NS6detail17trampoline_kernelINS0_13select_configILj256ELj13ELNS0_17block_load_methodE3ELS4_3ELS4_3ELNS0_20block_scan_algorithmE0ELj4294967295EEENS1_25partition_config_selectorILNS1_17partition_subalgoE3EjNS0_10empty_typeEbEEZZNS1_14partition_implILS8_3ELb0ES6_jNS0_17counting_iteratorIjlEEPS9_SE_NS0_5tupleIJPjSE_EEENSF_IJSE_SE_EEES9_SG_JZNS1_25segmented_radix_sort_implINS0_14default_configELb0EPK12hip_bfloat16PSL_PKlPlN2at6native12_GLOBAL__N_18offset_tEEE10hipError_tPvRmT1_PNSt15iterator_traitsISZ_E10value_typeET2_T3_PNS10_IS15_E10value_typeET4_jRbjT5_S1B_jjP12ihipStream_tbEUljE_EEESW_SX_SY_S15_S19_S1B_T6_T7_T9_mT8_S1D_bDpT10_ENKUlT_T0_E_clISt17integral_constantIbLb0EES1Q_EEDaS1L_S1M_EUlS1L_E_NS1_11comp_targetILNS1_3genE10ELNS1_11target_archE1200ELNS1_3gpuE4ELNS1_3repE0EEENS1_30default_config_static_selectorELNS0_4arch9wavefront6targetE0EEEvSZ_.uses_vcc, 0
	.set _ZN7rocprim17ROCPRIM_400000_NS6detail17trampoline_kernelINS0_13select_configILj256ELj13ELNS0_17block_load_methodE3ELS4_3ELS4_3ELNS0_20block_scan_algorithmE0ELj4294967295EEENS1_25partition_config_selectorILNS1_17partition_subalgoE3EjNS0_10empty_typeEbEEZZNS1_14partition_implILS8_3ELb0ES6_jNS0_17counting_iteratorIjlEEPS9_SE_NS0_5tupleIJPjSE_EEENSF_IJSE_SE_EEES9_SG_JZNS1_25segmented_radix_sort_implINS0_14default_configELb0EPK12hip_bfloat16PSL_PKlPlN2at6native12_GLOBAL__N_18offset_tEEE10hipError_tPvRmT1_PNSt15iterator_traitsISZ_E10value_typeET2_T3_PNS10_IS15_E10value_typeET4_jRbjT5_S1B_jjP12ihipStream_tbEUljE_EEESW_SX_SY_S15_S19_S1B_T6_T7_T9_mT8_S1D_bDpT10_ENKUlT_T0_E_clISt17integral_constantIbLb0EES1Q_EEDaS1L_S1M_EUlS1L_E_NS1_11comp_targetILNS1_3genE10ELNS1_11target_archE1200ELNS1_3gpuE4ELNS1_3repE0EEENS1_30default_config_static_selectorELNS0_4arch9wavefront6targetE0EEEvSZ_.uses_flat_scratch, 0
	.set _ZN7rocprim17ROCPRIM_400000_NS6detail17trampoline_kernelINS0_13select_configILj256ELj13ELNS0_17block_load_methodE3ELS4_3ELS4_3ELNS0_20block_scan_algorithmE0ELj4294967295EEENS1_25partition_config_selectorILNS1_17partition_subalgoE3EjNS0_10empty_typeEbEEZZNS1_14partition_implILS8_3ELb0ES6_jNS0_17counting_iteratorIjlEEPS9_SE_NS0_5tupleIJPjSE_EEENSF_IJSE_SE_EEES9_SG_JZNS1_25segmented_radix_sort_implINS0_14default_configELb0EPK12hip_bfloat16PSL_PKlPlN2at6native12_GLOBAL__N_18offset_tEEE10hipError_tPvRmT1_PNSt15iterator_traitsISZ_E10value_typeET2_T3_PNS10_IS15_E10value_typeET4_jRbjT5_S1B_jjP12ihipStream_tbEUljE_EEESW_SX_SY_S15_S19_S1B_T6_T7_T9_mT8_S1D_bDpT10_ENKUlT_T0_E_clISt17integral_constantIbLb0EES1Q_EEDaS1L_S1M_EUlS1L_E_NS1_11comp_targetILNS1_3genE10ELNS1_11target_archE1200ELNS1_3gpuE4ELNS1_3repE0EEENS1_30default_config_static_selectorELNS0_4arch9wavefront6targetE0EEEvSZ_.has_dyn_sized_stack, 0
	.set _ZN7rocprim17ROCPRIM_400000_NS6detail17trampoline_kernelINS0_13select_configILj256ELj13ELNS0_17block_load_methodE3ELS4_3ELS4_3ELNS0_20block_scan_algorithmE0ELj4294967295EEENS1_25partition_config_selectorILNS1_17partition_subalgoE3EjNS0_10empty_typeEbEEZZNS1_14partition_implILS8_3ELb0ES6_jNS0_17counting_iteratorIjlEEPS9_SE_NS0_5tupleIJPjSE_EEENSF_IJSE_SE_EEES9_SG_JZNS1_25segmented_radix_sort_implINS0_14default_configELb0EPK12hip_bfloat16PSL_PKlPlN2at6native12_GLOBAL__N_18offset_tEEE10hipError_tPvRmT1_PNSt15iterator_traitsISZ_E10value_typeET2_T3_PNS10_IS15_E10value_typeET4_jRbjT5_S1B_jjP12ihipStream_tbEUljE_EEESW_SX_SY_S15_S19_S1B_T6_T7_T9_mT8_S1D_bDpT10_ENKUlT_T0_E_clISt17integral_constantIbLb0EES1Q_EEDaS1L_S1M_EUlS1L_E_NS1_11comp_targetILNS1_3genE10ELNS1_11target_archE1200ELNS1_3gpuE4ELNS1_3repE0EEENS1_30default_config_static_selectorELNS0_4arch9wavefront6targetE0EEEvSZ_.has_recursion, 0
	.set _ZN7rocprim17ROCPRIM_400000_NS6detail17trampoline_kernelINS0_13select_configILj256ELj13ELNS0_17block_load_methodE3ELS4_3ELS4_3ELNS0_20block_scan_algorithmE0ELj4294967295EEENS1_25partition_config_selectorILNS1_17partition_subalgoE3EjNS0_10empty_typeEbEEZZNS1_14partition_implILS8_3ELb0ES6_jNS0_17counting_iteratorIjlEEPS9_SE_NS0_5tupleIJPjSE_EEENSF_IJSE_SE_EEES9_SG_JZNS1_25segmented_radix_sort_implINS0_14default_configELb0EPK12hip_bfloat16PSL_PKlPlN2at6native12_GLOBAL__N_18offset_tEEE10hipError_tPvRmT1_PNSt15iterator_traitsISZ_E10value_typeET2_T3_PNS10_IS15_E10value_typeET4_jRbjT5_S1B_jjP12ihipStream_tbEUljE_EEESW_SX_SY_S15_S19_S1B_T6_T7_T9_mT8_S1D_bDpT10_ENKUlT_T0_E_clISt17integral_constantIbLb0EES1Q_EEDaS1L_S1M_EUlS1L_E_NS1_11comp_targetILNS1_3genE10ELNS1_11target_archE1200ELNS1_3gpuE4ELNS1_3repE0EEENS1_30default_config_static_selectorELNS0_4arch9wavefront6targetE0EEEvSZ_.has_indirect_call, 0
	.section	.AMDGPU.csdata,"",@progbits
; Kernel info:
; codeLenInByte = 0
; TotalNumSgprs: 0
; NumVgprs: 0
; ScratchSize: 0
; MemoryBound: 0
; FloatMode: 240
; IeeeMode: 1
; LDSByteSize: 0 bytes/workgroup (compile time only)
; SGPRBlocks: 0
; VGPRBlocks: 0
; NumSGPRsForWavesPerEU: 1
; NumVGPRsForWavesPerEU: 1
; Occupancy: 16
; WaveLimiterHint : 0
; COMPUTE_PGM_RSRC2:SCRATCH_EN: 0
; COMPUTE_PGM_RSRC2:USER_SGPR: 6
; COMPUTE_PGM_RSRC2:TRAP_HANDLER: 0
; COMPUTE_PGM_RSRC2:TGID_X_EN: 1
; COMPUTE_PGM_RSRC2:TGID_Y_EN: 0
; COMPUTE_PGM_RSRC2:TGID_Z_EN: 0
; COMPUTE_PGM_RSRC2:TIDIG_COMP_CNT: 0
	.section	.text._ZN7rocprim17ROCPRIM_400000_NS6detail17trampoline_kernelINS0_13select_configILj256ELj13ELNS0_17block_load_methodE3ELS4_3ELS4_3ELNS0_20block_scan_algorithmE0ELj4294967295EEENS1_25partition_config_selectorILNS1_17partition_subalgoE3EjNS0_10empty_typeEbEEZZNS1_14partition_implILS8_3ELb0ES6_jNS0_17counting_iteratorIjlEEPS9_SE_NS0_5tupleIJPjSE_EEENSF_IJSE_SE_EEES9_SG_JZNS1_25segmented_radix_sort_implINS0_14default_configELb0EPK12hip_bfloat16PSL_PKlPlN2at6native12_GLOBAL__N_18offset_tEEE10hipError_tPvRmT1_PNSt15iterator_traitsISZ_E10value_typeET2_T3_PNS10_IS15_E10value_typeET4_jRbjT5_S1B_jjP12ihipStream_tbEUljE_EEESW_SX_SY_S15_S19_S1B_T6_T7_T9_mT8_S1D_bDpT10_ENKUlT_T0_E_clISt17integral_constantIbLb0EES1Q_EEDaS1L_S1M_EUlS1L_E_NS1_11comp_targetILNS1_3genE9ELNS1_11target_archE1100ELNS1_3gpuE3ELNS1_3repE0EEENS1_30default_config_static_selectorELNS0_4arch9wavefront6targetE0EEEvSZ_,"axG",@progbits,_ZN7rocprim17ROCPRIM_400000_NS6detail17trampoline_kernelINS0_13select_configILj256ELj13ELNS0_17block_load_methodE3ELS4_3ELS4_3ELNS0_20block_scan_algorithmE0ELj4294967295EEENS1_25partition_config_selectorILNS1_17partition_subalgoE3EjNS0_10empty_typeEbEEZZNS1_14partition_implILS8_3ELb0ES6_jNS0_17counting_iteratorIjlEEPS9_SE_NS0_5tupleIJPjSE_EEENSF_IJSE_SE_EEES9_SG_JZNS1_25segmented_radix_sort_implINS0_14default_configELb0EPK12hip_bfloat16PSL_PKlPlN2at6native12_GLOBAL__N_18offset_tEEE10hipError_tPvRmT1_PNSt15iterator_traitsISZ_E10value_typeET2_T3_PNS10_IS15_E10value_typeET4_jRbjT5_S1B_jjP12ihipStream_tbEUljE_EEESW_SX_SY_S15_S19_S1B_T6_T7_T9_mT8_S1D_bDpT10_ENKUlT_T0_E_clISt17integral_constantIbLb0EES1Q_EEDaS1L_S1M_EUlS1L_E_NS1_11comp_targetILNS1_3genE9ELNS1_11target_archE1100ELNS1_3gpuE3ELNS1_3repE0EEENS1_30default_config_static_selectorELNS0_4arch9wavefront6targetE0EEEvSZ_,comdat
	.globl	_ZN7rocprim17ROCPRIM_400000_NS6detail17trampoline_kernelINS0_13select_configILj256ELj13ELNS0_17block_load_methodE3ELS4_3ELS4_3ELNS0_20block_scan_algorithmE0ELj4294967295EEENS1_25partition_config_selectorILNS1_17partition_subalgoE3EjNS0_10empty_typeEbEEZZNS1_14partition_implILS8_3ELb0ES6_jNS0_17counting_iteratorIjlEEPS9_SE_NS0_5tupleIJPjSE_EEENSF_IJSE_SE_EEES9_SG_JZNS1_25segmented_radix_sort_implINS0_14default_configELb0EPK12hip_bfloat16PSL_PKlPlN2at6native12_GLOBAL__N_18offset_tEEE10hipError_tPvRmT1_PNSt15iterator_traitsISZ_E10value_typeET2_T3_PNS10_IS15_E10value_typeET4_jRbjT5_S1B_jjP12ihipStream_tbEUljE_EEESW_SX_SY_S15_S19_S1B_T6_T7_T9_mT8_S1D_bDpT10_ENKUlT_T0_E_clISt17integral_constantIbLb0EES1Q_EEDaS1L_S1M_EUlS1L_E_NS1_11comp_targetILNS1_3genE9ELNS1_11target_archE1100ELNS1_3gpuE3ELNS1_3repE0EEENS1_30default_config_static_selectorELNS0_4arch9wavefront6targetE0EEEvSZ_ ; -- Begin function _ZN7rocprim17ROCPRIM_400000_NS6detail17trampoline_kernelINS0_13select_configILj256ELj13ELNS0_17block_load_methodE3ELS4_3ELS4_3ELNS0_20block_scan_algorithmE0ELj4294967295EEENS1_25partition_config_selectorILNS1_17partition_subalgoE3EjNS0_10empty_typeEbEEZZNS1_14partition_implILS8_3ELb0ES6_jNS0_17counting_iteratorIjlEEPS9_SE_NS0_5tupleIJPjSE_EEENSF_IJSE_SE_EEES9_SG_JZNS1_25segmented_radix_sort_implINS0_14default_configELb0EPK12hip_bfloat16PSL_PKlPlN2at6native12_GLOBAL__N_18offset_tEEE10hipError_tPvRmT1_PNSt15iterator_traitsISZ_E10value_typeET2_T3_PNS10_IS15_E10value_typeET4_jRbjT5_S1B_jjP12ihipStream_tbEUljE_EEESW_SX_SY_S15_S19_S1B_T6_T7_T9_mT8_S1D_bDpT10_ENKUlT_T0_E_clISt17integral_constantIbLb0EES1Q_EEDaS1L_S1M_EUlS1L_E_NS1_11comp_targetILNS1_3genE9ELNS1_11target_archE1100ELNS1_3gpuE3ELNS1_3repE0EEENS1_30default_config_static_selectorELNS0_4arch9wavefront6targetE0EEEvSZ_
	.p2align	8
	.type	_ZN7rocprim17ROCPRIM_400000_NS6detail17trampoline_kernelINS0_13select_configILj256ELj13ELNS0_17block_load_methodE3ELS4_3ELS4_3ELNS0_20block_scan_algorithmE0ELj4294967295EEENS1_25partition_config_selectorILNS1_17partition_subalgoE3EjNS0_10empty_typeEbEEZZNS1_14partition_implILS8_3ELb0ES6_jNS0_17counting_iteratorIjlEEPS9_SE_NS0_5tupleIJPjSE_EEENSF_IJSE_SE_EEES9_SG_JZNS1_25segmented_radix_sort_implINS0_14default_configELb0EPK12hip_bfloat16PSL_PKlPlN2at6native12_GLOBAL__N_18offset_tEEE10hipError_tPvRmT1_PNSt15iterator_traitsISZ_E10value_typeET2_T3_PNS10_IS15_E10value_typeET4_jRbjT5_S1B_jjP12ihipStream_tbEUljE_EEESW_SX_SY_S15_S19_S1B_T6_T7_T9_mT8_S1D_bDpT10_ENKUlT_T0_E_clISt17integral_constantIbLb0EES1Q_EEDaS1L_S1M_EUlS1L_E_NS1_11comp_targetILNS1_3genE9ELNS1_11target_archE1100ELNS1_3gpuE3ELNS1_3repE0EEENS1_30default_config_static_selectorELNS0_4arch9wavefront6targetE0EEEvSZ_,@function
_ZN7rocprim17ROCPRIM_400000_NS6detail17trampoline_kernelINS0_13select_configILj256ELj13ELNS0_17block_load_methodE3ELS4_3ELS4_3ELNS0_20block_scan_algorithmE0ELj4294967295EEENS1_25partition_config_selectorILNS1_17partition_subalgoE3EjNS0_10empty_typeEbEEZZNS1_14partition_implILS8_3ELb0ES6_jNS0_17counting_iteratorIjlEEPS9_SE_NS0_5tupleIJPjSE_EEENSF_IJSE_SE_EEES9_SG_JZNS1_25segmented_radix_sort_implINS0_14default_configELb0EPK12hip_bfloat16PSL_PKlPlN2at6native12_GLOBAL__N_18offset_tEEE10hipError_tPvRmT1_PNSt15iterator_traitsISZ_E10value_typeET2_T3_PNS10_IS15_E10value_typeET4_jRbjT5_S1B_jjP12ihipStream_tbEUljE_EEESW_SX_SY_S15_S19_S1B_T6_T7_T9_mT8_S1D_bDpT10_ENKUlT_T0_E_clISt17integral_constantIbLb0EES1Q_EEDaS1L_S1M_EUlS1L_E_NS1_11comp_targetILNS1_3genE9ELNS1_11target_archE1100ELNS1_3gpuE3ELNS1_3repE0EEENS1_30default_config_static_selectorELNS0_4arch9wavefront6targetE0EEEvSZ_: ; @_ZN7rocprim17ROCPRIM_400000_NS6detail17trampoline_kernelINS0_13select_configILj256ELj13ELNS0_17block_load_methodE3ELS4_3ELS4_3ELNS0_20block_scan_algorithmE0ELj4294967295EEENS1_25partition_config_selectorILNS1_17partition_subalgoE3EjNS0_10empty_typeEbEEZZNS1_14partition_implILS8_3ELb0ES6_jNS0_17counting_iteratorIjlEEPS9_SE_NS0_5tupleIJPjSE_EEENSF_IJSE_SE_EEES9_SG_JZNS1_25segmented_radix_sort_implINS0_14default_configELb0EPK12hip_bfloat16PSL_PKlPlN2at6native12_GLOBAL__N_18offset_tEEE10hipError_tPvRmT1_PNSt15iterator_traitsISZ_E10value_typeET2_T3_PNS10_IS15_E10value_typeET4_jRbjT5_S1B_jjP12ihipStream_tbEUljE_EEESW_SX_SY_S15_S19_S1B_T6_T7_T9_mT8_S1D_bDpT10_ENKUlT_T0_E_clISt17integral_constantIbLb0EES1Q_EEDaS1L_S1M_EUlS1L_E_NS1_11comp_targetILNS1_3genE9ELNS1_11target_archE1100ELNS1_3gpuE3ELNS1_3repE0EEENS1_30default_config_static_selectorELNS0_4arch9wavefront6targetE0EEEvSZ_
; %bb.0:
	.section	.rodata,"a",@progbits
	.p2align	6, 0x0
	.amdhsa_kernel _ZN7rocprim17ROCPRIM_400000_NS6detail17trampoline_kernelINS0_13select_configILj256ELj13ELNS0_17block_load_methodE3ELS4_3ELS4_3ELNS0_20block_scan_algorithmE0ELj4294967295EEENS1_25partition_config_selectorILNS1_17partition_subalgoE3EjNS0_10empty_typeEbEEZZNS1_14partition_implILS8_3ELb0ES6_jNS0_17counting_iteratorIjlEEPS9_SE_NS0_5tupleIJPjSE_EEENSF_IJSE_SE_EEES9_SG_JZNS1_25segmented_radix_sort_implINS0_14default_configELb0EPK12hip_bfloat16PSL_PKlPlN2at6native12_GLOBAL__N_18offset_tEEE10hipError_tPvRmT1_PNSt15iterator_traitsISZ_E10value_typeET2_T3_PNS10_IS15_E10value_typeET4_jRbjT5_S1B_jjP12ihipStream_tbEUljE_EEESW_SX_SY_S15_S19_S1B_T6_T7_T9_mT8_S1D_bDpT10_ENKUlT_T0_E_clISt17integral_constantIbLb0EES1Q_EEDaS1L_S1M_EUlS1L_E_NS1_11comp_targetILNS1_3genE9ELNS1_11target_archE1100ELNS1_3gpuE3ELNS1_3repE0EEENS1_30default_config_static_selectorELNS0_4arch9wavefront6targetE0EEEvSZ_
		.amdhsa_group_segment_fixed_size 0
		.amdhsa_private_segment_fixed_size 0
		.amdhsa_kernarg_size 144
		.amdhsa_user_sgpr_count 6
		.amdhsa_user_sgpr_private_segment_buffer 1
		.amdhsa_user_sgpr_dispatch_ptr 0
		.amdhsa_user_sgpr_queue_ptr 0
		.amdhsa_user_sgpr_kernarg_segment_ptr 1
		.amdhsa_user_sgpr_dispatch_id 0
		.amdhsa_user_sgpr_flat_scratch_init 0
		.amdhsa_user_sgpr_private_segment_size 0
		.amdhsa_wavefront_size32 1
		.amdhsa_uses_dynamic_stack 0
		.amdhsa_system_sgpr_private_segment_wavefront_offset 0
		.amdhsa_system_sgpr_workgroup_id_x 1
		.amdhsa_system_sgpr_workgroup_id_y 0
		.amdhsa_system_sgpr_workgroup_id_z 0
		.amdhsa_system_sgpr_workgroup_info 0
		.amdhsa_system_vgpr_workitem_id 0
		.amdhsa_next_free_vgpr 1
		.amdhsa_next_free_sgpr 1
		.amdhsa_reserve_vcc 0
		.amdhsa_reserve_flat_scratch 0
		.amdhsa_float_round_mode_32 0
		.amdhsa_float_round_mode_16_64 0
		.amdhsa_float_denorm_mode_32 3
		.amdhsa_float_denorm_mode_16_64 3
		.amdhsa_dx10_clamp 1
		.amdhsa_ieee_mode 1
		.amdhsa_fp16_overflow 0
		.amdhsa_workgroup_processor_mode 1
		.amdhsa_memory_ordered 1
		.amdhsa_forward_progress 1
		.amdhsa_shared_vgpr_count 0
		.amdhsa_exception_fp_ieee_invalid_op 0
		.amdhsa_exception_fp_denorm_src 0
		.amdhsa_exception_fp_ieee_div_zero 0
		.amdhsa_exception_fp_ieee_overflow 0
		.amdhsa_exception_fp_ieee_underflow 0
		.amdhsa_exception_fp_ieee_inexact 0
		.amdhsa_exception_int_div_zero 0
	.end_amdhsa_kernel
	.section	.text._ZN7rocprim17ROCPRIM_400000_NS6detail17trampoline_kernelINS0_13select_configILj256ELj13ELNS0_17block_load_methodE3ELS4_3ELS4_3ELNS0_20block_scan_algorithmE0ELj4294967295EEENS1_25partition_config_selectorILNS1_17partition_subalgoE3EjNS0_10empty_typeEbEEZZNS1_14partition_implILS8_3ELb0ES6_jNS0_17counting_iteratorIjlEEPS9_SE_NS0_5tupleIJPjSE_EEENSF_IJSE_SE_EEES9_SG_JZNS1_25segmented_radix_sort_implINS0_14default_configELb0EPK12hip_bfloat16PSL_PKlPlN2at6native12_GLOBAL__N_18offset_tEEE10hipError_tPvRmT1_PNSt15iterator_traitsISZ_E10value_typeET2_T3_PNS10_IS15_E10value_typeET4_jRbjT5_S1B_jjP12ihipStream_tbEUljE_EEESW_SX_SY_S15_S19_S1B_T6_T7_T9_mT8_S1D_bDpT10_ENKUlT_T0_E_clISt17integral_constantIbLb0EES1Q_EEDaS1L_S1M_EUlS1L_E_NS1_11comp_targetILNS1_3genE9ELNS1_11target_archE1100ELNS1_3gpuE3ELNS1_3repE0EEENS1_30default_config_static_selectorELNS0_4arch9wavefront6targetE0EEEvSZ_,"axG",@progbits,_ZN7rocprim17ROCPRIM_400000_NS6detail17trampoline_kernelINS0_13select_configILj256ELj13ELNS0_17block_load_methodE3ELS4_3ELS4_3ELNS0_20block_scan_algorithmE0ELj4294967295EEENS1_25partition_config_selectorILNS1_17partition_subalgoE3EjNS0_10empty_typeEbEEZZNS1_14partition_implILS8_3ELb0ES6_jNS0_17counting_iteratorIjlEEPS9_SE_NS0_5tupleIJPjSE_EEENSF_IJSE_SE_EEES9_SG_JZNS1_25segmented_radix_sort_implINS0_14default_configELb0EPK12hip_bfloat16PSL_PKlPlN2at6native12_GLOBAL__N_18offset_tEEE10hipError_tPvRmT1_PNSt15iterator_traitsISZ_E10value_typeET2_T3_PNS10_IS15_E10value_typeET4_jRbjT5_S1B_jjP12ihipStream_tbEUljE_EEESW_SX_SY_S15_S19_S1B_T6_T7_T9_mT8_S1D_bDpT10_ENKUlT_T0_E_clISt17integral_constantIbLb0EES1Q_EEDaS1L_S1M_EUlS1L_E_NS1_11comp_targetILNS1_3genE9ELNS1_11target_archE1100ELNS1_3gpuE3ELNS1_3repE0EEENS1_30default_config_static_selectorELNS0_4arch9wavefront6targetE0EEEvSZ_,comdat
.Lfunc_end2013:
	.size	_ZN7rocprim17ROCPRIM_400000_NS6detail17trampoline_kernelINS0_13select_configILj256ELj13ELNS0_17block_load_methodE3ELS4_3ELS4_3ELNS0_20block_scan_algorithmE0ELj4294967295EEENS1_25partition_config_selectorILNS1_17partition_subalgoE3EjNS0_10empty_typeEbEEZZNS1_14partition_implILS8_3ELb0ES6_jNS0_17counting_iteratorIjlEEPS9_SE_NS0_5tupleIJPjSE_EEENSF_IJSE_SE_EEES9_SG_JZNS1_25segmented_radix_sort_implINS0_14default_configELb0EPK12hip_bfloat16PSL_PKlPlN2at6native12_GLOBAL__N_18offset_tEEE10hipError_tPvRmT1_PNSt15iterator_traitsISZ_E10value_typeET2_T3_PNS10_IS15_E10value_typeET4_jRbjT5_S1B_jjP12ihipStream_tbEUljE_EEESW_SX_SY_S15_S19_S1B_T6_T7_T9_mT8_S1D_bDpT10_ENKUlT_T0_E_clISt17integral_constantIbLb0EES1Q_EEDaS1L_S1M_EUlS1L_E_NS1_11comp_targetILNS1_3genE9ELNS1_11target_archE1100ELNS1_3gpuE3ELNS1_3repE0EEENS1_30default_config_static_selectorELNS0_4arch9wavefront6targetE0EEEvSZ_, .Lfunc_end2013-_ZN7rocprim17ROCPRIM_400000_NS6detail17trampoline_kernelINS0_13select_configILj256ELj13ELNS0_17block_load_methodE3ELS4_3ELS4_3ELNS0_20block_scan_algorithmE0ELj4294967295EEENS1_25partition_config_selectorILNS1_17partition_subalgoE3EjNS0_10empty_typeEbEEZZNS1_14partition_implILS8_3ELb0ES6_jNS0_17counting_iteratorIjlEEPS9_SE_NS0_5tupleIJPjSE_EEENSF_IJSE_SE_EEES9_SG_JZNS1_25segmented_radix_sort_implINS0_14default_configELb0EPK12hip_bfloat16PSL_PKlPlN2at6native12_GLOBAL__N_18offset_tEEE10hipError_tPvRmT1_PNSt15iterator_traitsISZ_E10value_typeET2_T3_PNS10_IS15_E10value_typeET4_jRbjT5_S1B_jjP12ihipStream_tbEUljE_EEESW_SX_SY_S15_S19_S1B_T6_T7_T9_mT8_S1D_bDpT10_ENKUlT_T0_E_clISt17integral_constantIbLb0EES1Q_EEDaS1L_S1M_EUlS1L_E_NS1_11comp_targetILNS1_3genE9ELNS1_11target_archE1100ELNS1_3gpuE3ELNS1_3repE0EEENS1_30default_config_static_selectorELNS0_4arch9wavefront6targetE0EEEvSZ_
                                        ; -- End function
	.set _ZN7rocprim17ROCPRIM_400000_NS6detail17trampoline_kernelINS0_13select_configILj256ELj13ELNS0_17block_load_methodE3ELS4_3ELS4_3ELNS0_20block_scan_algorithmE0ELj4294967295EEENS1_25partition_config_selectorILNS1_17partition_subalgoE3EjNS0_10empty_typeEbEEZZNS1_14partition_implILS8_3ELb0ES6_jNS0_17counting_iteratorIjlEEPS9_SE_NS0_5tupleIJPjSE_EEENSF_IJSE_SE_EEES9_SG_JZNS1_25segmented_radix_sort_implINS0_14default_configELb0EPK12hip_bfloat16PSL_PKlPlN2at6native12_GLOBAL__N_18offset_tEEE10hipError_tPvRmT1_PNSt15iterator_traitsISZ_E10value_typeET2_T3_PNS10_IS15_E10value_typeET4_jRbjT5_S1B_jjP12ihipStream_tbEUljE_EEESW_SX_SY_S15_S19_S1B_T6_T7_T9_mT8_S1D_bDpT10_ENKUlT_T0_E_clISt17integral_constantIbLb0EES1Q_EEDaS1L_S1M_EUlS1L_E_NS1_11comp_targetILNS1_3genE9ELNS1_11target_archE1100ELNS1_3gpuE3ELNS1_3repE0EEENS1_30default_config_static_selectorELNS0_4arch9wavefront6targetE0EEEvSZ_.num_vgpr, 0
	.set _ZN7rocprim17ROCPRIM_400000_NS6detail17trampoline_kernelINS0_13select_configILj256ELj13ELNS0_17block_load_methodE3ELS4_3ELS4_3ELNS0_20block_scan_algorithmE0ELj4294967295EEENS1_25partition_config_selectorILNS1_17partition_subalgoE3EjNS0_10empty_typeEbEEZZNS1_14partition_implILS8_3ELb0ES6_jNS0_17counting_iteratorIjlEEPS9_SE_NS0_5tupleIJPjSE_EEENSF_IJSE_SE_EEES9_SG_JZNS1_25segmented_radix_sort_implINS0_14default_configELb0EPK12hip_bfloat16PSL_PKlPlN2at6native12_GLOBAL__N_18offset_tEEE10hipError_tPvRmT1_PNSt15iterator_traitsISZ_E10value_typeET2_T3_PNS10_IS15_E10value_typeET4_jRbjT5_S1B_jjP12ihipStream_tbEUljE_EEESW_SX_SY_S15_S19_S1B_T6_T7_T9_mT8_S1D_bDpT10_ENKUlT_T0_E_clISt17integral_constantIbLb0EES1Q_EEDaS1L_S1M_EUlS1L_E_NS1_11comp_targetILNS1_3genE9ELNS1_11target_archE1100ELNS1_3gpuE3ELNS1_3repE0EEENS1_30default_config_static_selectorELNS0_4arch9wavefront6targetE0EEEvSZ_.num_agpr, 0
	.set _ZN7rocprim17ROCPRIM_400000_NS6detail17trampoline_kernelINS0_13select_configILj256ELj13ELNS0_17block_load_methodE3ELS4_3ELS4_3ELNS0_20block_scan_algorithmE0ELj4294967295EEENS1_25partition_config_selectorILNS1_17partition_subalgoE3EjNS0_10empty_typeEbEEZZNS1_14partition_implILS8_3ELb0ES6_jNS0_17counting_iteratorIjlEEPS9_SE_NS0_5tupleIJPjSE_EEENSF_IJSE_SE_EEES9_SG_JZNS1_25segmented_radix_sort_implINS0_14default_configELb0EPK12hip_bfloat16PSL_PKlPlN2at6native12_GLOBAL__N_18offset_tEEE10hipError_tPvRmT1_PNSt15iterator_traitsISZ_E10value_typeET2_T3_PNS10_IS15_E10value_typeET4_jRbjT5_S1B_jjP12ihipStream_tbEUljE_EEESW_SX_SY_S15_S19_S1B_T6_T7_T9_mT8_S1D_bDpT10_ENKUlT_T0_E_clISt17integral_constantIbLb0EES1Q_EEDaS1L_S1M_EUlS1L_E_NS1_11comp_targetILNS1_3genE9ELNS1_11target_archE1100ELNS1_3gpuE3ELNS1_3repE0EEENS1_30default_config_static_selectorELNS0_4arch9wavefront6targetE0EEEvSZ_.numbered_sgpr, 0
	.set _ZN7rocprim17ROCPRIM_400000_NS6detail17trampoline_kernelINS0_13select_configILj256ELj13ELNS0_17block_load_methodE3ELS4_3ELS4_3ELNS0_20block_scan_algorithmE0ELj4294967295EEENS1_25partition_config_selectorILNS1_17partition_subalgoE3EjNS0_10empty_typeEbEEZZNS1_14partition_implILS8_3ELb0ES6_jNS0_17counting_iteratorIjlEEPS9_SE_NS0_5tupleIJPjSE_EEENSF_IJSE_SE_EEES9_SG_JZNS1_25segmented_radix_sort_implINS0_14default_configELb0EPK12hip_bfloat16PSL_PKlPlN2at6native12_GLOBAL__N_18offset_tEEE10hipError_tPvRmT1_PNSt15iterator_traitsISZ_E10value_typeET2_T3_PNS10_IS15_E10value_typeET4_jRbjT5_S1B_jjP12ihipStream_tbEUljE_EEESW_SX_SY_S15_S19_S1B_T6_T7_T9_mT8_S1D_bDpT10_ENKUlT_T0_E_clISt17integral_constantIbLb0EES1Q_EEDaS1L_S1M_EUlS1L_E_NS1_11comp_targetILNS1_3genE9ELNS1_11target_archE1100ELNS1_3gpuE3ELNS1_3repE0EEENS1_30default_config_static_selectorELNS0_4arch9wavefront6targetE0EEEvSZ_.num_named_barrier, 0
	.set _ZN7rocprim17ROCPRIM_400000_NS6detail17trampoline_kernelINS0_13select_configILj256ELj13ELNS0_17block_load_methodE3ELS4_3ELS4_3ELNS0_20block_scan_algorithmE0ELj4294967295EEENS1_25partition_config_selectorILNS1_17partition_subalgoE3EjNS0_10empty_typeEbEEZZNS1_14partition_implILS8_3ELb0ES6_jNS0_17counting_iteratorIjlEEPS9_SE_NS0_5tupleIJPjSE_EEENSF_IJSE_SE_EEES9_SG_JZNS1_25segmented_radix_sort_implINS0_14default_configELb0EPK12hip_bfloat16PSL_PKlPlN2at6native12_GLOBAL__N_18offset_tEEE10hipError_tPvRmT1_PNSt15iterator_traitsISZ_E10value_typeET2_T3_PNS10_IS15_E10value_typeET4_jRbjT5_S1B_jjP12ihipStream_tbEUljE_EEESW_SX_SY_S15_S19_S1B_T6_T7_T9_mT8_S1D_bDpT10_ENKUlT_T0_E_clISt17integral_constantIbLb0EES1Q_EEDaS1L_S1M_EUlS1L_E_NS1_11comp_targetILNS1_3genE9ELNS1_11target_archE1100ELNS1_3gpuE3ELNS1_3repE0EEENS1_30default_config_static_selectorELNS0_4arch9wavefront6targetE0EEEvSZ_.private_seg_size, 0
	.set _ZN7rocprim17ROCPRIM_400000_NS6detail17trampoline_kernelINS0_13select_configILj256ELj13ELNS0_17block_load_methodE3ELS4_3ELS4_3ELNS0_20block_scan_algorithmE0ELj4294967295EEENS1_25partition_config_selectorILNS1_17partition_subalgoE3EjNS0_10empty_typeEbEEZZNS1_14partition_implILS8_3ELb0ES6_jNS0_17counting_iteratorIjlEEPS9_SE_NS0_5tupleIJPjSE_EEENSF_IJSE_SE_EEES9_SG_JZNS1_25segmented_radix_sort_implINS0_14default_configELb0EPK12hip_bfloat16PSL_PKlPlN2at6native12_GLOBAL__N_18offset_tEEE10hipError_tPvRmT1_PNSt15iterator_traitsISZ_E10value_typeET2_T3_PNS10_IS15_E10value_typeET4_jRbjT5_S1B_jjP12ihipStream_tbEUljE_EEESW_SX_SY_S15_S19_S1B_T6_T7_T9_mT8_S1D_bDpT10_ENKUlT_T0_E_clISt17integral_constantIbLb0EES1Q_EEDaS1L_S1M_EUlS1L_E_NS1_11comp_targetILNS1_3genE9ELNS1_11target_archE1100ELNS1_3gpuE3ELNS1_3repE0EEENS1_30default_config_static_selectorELNS0_4arch9wavefront6targetE0EEEvSZ_.uses_vcc, 0
	.set _ZN7rocprim17ROCPRIM_400000_NS6detail17trampoline_kernelINS0_13select_configILj256ELj13ELNS0_17block_load_methodE3ELS4_3ELS4_3ELNS0_20block_scan_algorithmE0ELj4294967295EEENS1_25partition_config_selectorILNS1_17partition_subalgoE3EjNS0_10empty_typeEbEEZZNS1_14partition_implILS8_3ELb0ES6_jNS0_17counting_iteratorIjlEEPS9_SE_NS0_5tupleIJPjSE_EEENSF_IJSE_SE_EEES9_SG_JZNS1_25segmented_radix_sort_implINS0_14default_configELb0EPK12hip_bfloat16PSL_PKlPlN2at6native12_GLOBAL__N_18offset_tEEE10hipError_tPvRmT1_PNSt15iterator_traitsISZ_E10value_typeET2_T3_PNS10_IS15_E10value_typeET4_jRbjT5_S1B_jjP12ihipStream_tbEUljE_EEESW_SX_SY_S15_S19_S1B_T6_T7_T9_mT8_S1D_bDpT10_ENKUlT_T0_E_clISt17integral_constantIbLb0EES1Q_EEDaS1L_S1M_EUlS1L_E_NS1_11comp_targetILNS1_3genE9ELNS1_11target_archE1100ELNS1_3gpuE3ELNS1_3repE0EEENS1_30default_config_static_selectorELNS0_4arch9wavefront6targetE0EEEvSZ_.uses_flat_scratch, 0
	.set _ZN7rocprim17ROCPRIM_400000_NS6detail17trampoline_kernelINS0_13select_configILj256ELj13ELNS0_17block_load_methodE3ELS4_3ELS4_3ELNS0_20block_scan_algorithmE0ELj4294967295EEENS1_25partition_config_selectorILNS1_17partition_subalgoE3EjNS0_10empty_typeEbEEZZNS1_14partition_implILS8_3ELb0ES6_jNS0_17counting_iteratorIjlEEPS9_SE_NS0_5tupleIJPjSE_EEENSF_IJSE_SE_EEES9_SG_JZNS1_25segmented_radix_sort_implINS0_14default_configELb0EPK12hip_bfloat16PSL_PKlPlN2at6native12_GLOBAL__N_18offset_tEEE10hipError_tPvRmT1_PNSt15iterator_traitsISZ_E10value_typeET2_T3_PNS10_IS15_E10value_typeET4_jRbjT5_S1B_jjP12ihipStream_tbEUljE_EEESW_SX_SY_S15_S19_S1B_T6_T7_T9_mT8_S1D_bDpT10_ENKUlT_T0_E_clISt17integral_constantIbLb0EES1Q_EEDaS1L_S1M_EUlS1L_E_NS1_11comp_targetILNS1_3genE9ELNS1_11target_archE1100ELNS1_3gpuE3ELNS1_3repE0EEENS1_30default_config_static_selectorELNS0_4arch9wavefront6targetE0EEEvSZ_.has_dyn_sized_stack, 0
	.set _ZN7rocprim17ROCPRIM_400000_NS6detail17trampoline_kernelINS0_13select_configILj256ELj13ELNS0_17block_load_methodE3ELS4_3ELS4_3ELNS0_20block_scan_algorithmE0ELj4294967295EEENS1_25partition_config_selectorILNS1_17partition_subalgoE3EjNS0_10empty_typeEbEEZZNS1_14partition_implILS8_3ELb0ES6_jNS0_17counting_iteratorIjlEEPS9_SE_NS0_5tupleIJPjSE_EEENSF_IJSE_SE_EEES9_SG_JZNS1_25segmented_radix_sort_implINS0_14default_configELb0EPK12hip_bfloat16PSL_PKlPlN2at6native12_GLOBAL__N_18offset_tEEE10hipError_tPvRmT1_PNSt15iterator_traitsISZ_E10value_typeET2_T3_PNS10_IS15_E10value_typeET4_jRbjT5_S1B_jjP12ihipStream_tbEUljE_EEESW_SX_SY_S15_S19_S1B_T6_T7_T9_mT8_S1D_bDpT10_ENKUlT_T0_E_clISt17integral_constantIbLb0EES1Q_EEDaS1L_S1M_EUlS1L_E_NS1_11comp_targetILNS1_3genE9ELNS1_11target_archE1100ELNS1_3gpuE3ELNS1_3repE0EEENS1_30default_config_static_selectorELNS0_4arch9wavefront6targetE0EEEvSZ_.has_recursion, 0
	.set _ZN7rocprim17ROCPRIM_400000_NS6detail17trampoline_kernelINS0_13select_configILj256ELj13ELNS0_17block_load_methodE3ELS4_3ELS4_3ELNS0_20block_scan_algorithmE0ELj4294967295EEENS1_25partition_config_selectorILNS1_17partition_subalgoE3EjNS0_10empty_typeEbEEZZNS1_14partition_implILS8_3ELb0ES6_jNS0_17counting_iteratorIjlEEPS9_SE_NS0_5tupleIJPjSE_EEENSF_IJSE_SE_EEES9_SG_JZNS1_25segmented_radix_sort_implINS0_14default_configELb0EPK12hip_bfloat16PSL_PKlPlN2at6native12_GLOBAL__N_18offset_tEEE10hipError_tPvRmT1_PNSt15iterator_traitsISZ_E10value_typeET2_T3_PNS10_IS15_E10value_typeET4_jRbjT5_S1B_jjP12ihipStream_tbEUljE_EEESW_SX_SY_S15_S19_S1B_T6_T7_T9_mT8_S1D_bDpT10_ENKUlT_T0_E_clISt17integral_constantIbLb0EES1Q_EEDaS1L_S1M_EUlS1L_E_NS1_11comp_targetILNS1_3genE9ELNS1_11target_archE1100ELNS1_3gpuE3ELNS1_3repE0EEENS1_30default_config_static_selectorELNS0_4arch9wavefront6targetE0EEEvSZ_.has_indirect_call, 0
	.section	.AMDGPU.csdata,"",@progbits
; Kernel info:
; codeLenInByte = 0
; TotalNumSgprs: 0
; NumVgprs: 0
; ScratchSize: 0
; MemoryBound: 0
; FloatMode: 240
; IeeeMode: 1
; LDSByteSize: 0 bytes/workgroup (compile time only)
; SGPRBlocks: 0
; VGPRBlocks: 0
; NumSGPRsForWavesPerEU: 1
; NumVGPRsForWavesPerEU: 1
; Occupancy: 16
; WaveLimiterHint : 0
; COMPUTE_PGM_RSRC2:SCRATCH_EN: 0
; COMPUTE_PGM_RSRC2:USER_SGPR: 6
; COMPUTE_PGM_RSRC2:TRAP_HANDLER: 0
; COMPUTE_PGM_RSRC2:TGID_X_EN: 1
; COMPUTE_PGM_RSRC2:TGID_Y_EN: 0
; COMPUTE_PGM_RSRC2:TGID_Z_EN: 0
; COMPUTE_PGM_RSRC2:TIDIG_COMP_CNT: 0
	.section	.text._ZN7rocprim17ROCPRIM_400000_NS6detail17trampoline_kernelINS0_13select_configILj256ELj13ELNS0_17block_load_methodE3ELS4_3ELS4_3ELNS0_20block_scan_algorithmE0ELj4294967295EEENS1_25partition_config_selectorILNS1_17partition_subalgoE3EjNS0_10empty_typeEbEEZZNS1_14partition_implILS8_3ELb0ES6_jNS0_17counting_iteratorIjlEEPS9_SE_NS0_5tupleIJPjSE_EEENSF_IJSE_SE_EEES9_SG_JZNS1_25segmented_radix_sort_implINS0_14default_configELb0EPK12hip_bfloat16PSL_PKlPlN2at6native12_GLOBAL__N_18offset_tEEE10hipError_tPvRmT1_PNSt15iterator_traitsISZ_E10value_typeET2_T3_PNS10_IS15_E10value_typeET4_jRbjT5_S1B_jjP12ihipStream_tbEUljE_EEESW_SX_SY_S15_S19_S1B_T6_T7_T9_mT8_S1D_bDpT10_ENKUlT_T0_E_clISt17integral_constantIbLb0EES1Q_EEDaS1L_S1M_EUlS1L_E_NS1_11comp_targetILNS1_3genE8ELNS1_11target_archE1030ELNS1_3gpuE2ELNS1_3repE0EEENS1_30default_config_static_selectorELNS0_4arch9wavefront6targetE0EEEvSZ_,"axG",@progbits,_ZN7rocprim17ROCPRIM_400000_NS6detail17trampoline_kernelINS0_13select_configILj256ELj13ELNS0_17block_load_methodE3ELS4_3ELS4_3ELNS0_20block_scan_algorithmE0ELj4294967295EEENS1_25partition_config_selectorILNS1_17partition_subalgoE3EjNS0_10empty_typeEbEEZZNS1_14partition_implILS8_3ELb0ES6_jNS0_17counting_iteratorIjlEEPS9_SE_NS0_5tupleIJPjSE_EEENSF_IJSE_SE_EEES9_SG_JZNS1_25segmented_radix_sort_implINS0_14default_configELb0EPK12hip_bfloat16PSL_PKlPlN2at6native12_GLOBAL__N_18offset_tEEE10hipError_tPvRmT1_PNSt15iterator_traitsISZ_E10value_typeET2_T3_PNS10_IS15_E10value_typeET4_jRbjT5_S1B_jjP12ihipStream_tbEUljE_EEESW_SX_SY_S15_S19_S1B_T6_T7_T9_mT8_S1D_bDpT10_ENKUlT_T0_E_clISt17integral_constantIbLb0EES1Q_EEDaS1L_S1M_EUlS1L_E_NS1_11comp_targetILNS1_3genE8ELNS1_11target_archE1030ELNS1_3gpuE2ELNS1_3repE0EEENS1_30default_config_static_selectorELNS0_4arch9wavefront6targetE0EEEvSZ_,comdat
	.globl	_ZN7rocprim17ROCPRIM_400000_NS6detail17trampoline_kernelINS0_13select_configILj256ELj13ELNS0_17block_load_methodE3ELS4_3ELS4_3ELNS0_20block_scan_algorithmE0ELj4294967295EEENS1_25partition_config_selectorILNS1_17partition_subalgoE3EjNS0_10empty_typeEbEEZZNS1_14partition_implILS8_3ELb0ES6_jNS0_17counting_iteratorIjlEEPS9_SE_NS0_5tupleIJPjSE_EEENSF_IJSE_SE_EEES9_SG_JZNS1_25segmented_radix_sort_implINS0_14default_configELb0EPK12hip_bfloat16PSL_PKlPlN2at6native12_GLOBAL__N_18offset_tEEE10hipError_tPvRmT1_PNSt15iterator_traitsISZ_E10value_typeET2_T3_PNS10_IS15_E10value_typeET4_jRbjT5_S1B_jjP12ihipStream_tbEUljE_EEESW_SX_SY_S15_S19_S1B_T6_T7_T9_mT8_S1D_bDpT10_ENKUlT_T0_E_clISt17integral_constantIbLb0EES1Q_EEDaS1L_S1M_EUlS1L_E_NS1_11comp_targetILNS1_3genE8ELNS1_11target_archE1030ELNS1_3gpuE2ELNS1_3repE0EEENS1_30default_config_static_selectorELNS0_4arch9wavefront6targetE0EEEvSZ_ ; -- Begin function _ZN7rocprim17ROCPRIM_400000_NS6detail17trampoline_kernelINS0_13select_configILj256ELj13ELNS0_17block_load_methodE3ELS4_3ELS4_3ELNS0_20block_scan_algorithmE0ELj4294967295EEENS1_25partition_config_selectorILNS1_17partition_subalgoE3EjNS0_10empty_typeEbEEZZNS1_14partition_implILS8_3ELb0ES6_jNS0_17counting_iteratorIjlEEPS9_SE_NS0_5tupleIJPjSE_EEENSF_IJSE_SE_EEES9_SG_JZNS1_25segmented_radix_sort_implINS0_14default_configELb0EPK12hip_bfloat16PSL_PKlPlN2at6native12_GLOBAL__N_18offset_tEEE10hipError_tPvRmT1_PNSt15iterator_traitsISZ_E10value_typeET2_T3_PNS10_IS15_E10value_typeET4_jRbjT5_S1B_jjP12ihipStream_tbEUljE_EEESW_SX_SY_S15_S19_S1B_T6_T7_T9_mT8_S1D_bDpT10_ENKUlT_T0_E_clISt17integral_constantIbLb0EES1Q_EEDaS1L_S1M_EUlS1L_E_NS1_11comp_targetILNS1_3genE8ELNS1_11target_archE1030ELNS1_3gpuE2ELNS1_3repE0EEENS1_30default_config_static_selectorELNS0_4arch9wavefront6targetE0EEEvSZ_
	.p2align	8
	.type	_ZN7rocprim17ROCPRIM_400000_NS6detail17trampoline_kernelINS0_13select_configILj256ELj13ELNS0_17block_load_methodE3ELS4_3ELS4_3ELNS0_20block_scan_algorithmE0ELj4294967295EEENS1_25partition_config_selectorILNS1_17partition_subalgoE3EjNS0_10empty_typeEbEEZZNS1_14partition_implILS8_3ELb0ES6_jNS0_17counting_iteratorIjlEEPS9_SE_NS0_5tupleIJPjSE_EEENSF_IJSE_SE_EEES9_SG_JZNS1_25segmented_radix_sort_implINS0_14default_configELb0EPK12hip_bfloat16PSL_PKlPlN2at6native12_GLOBAL__N_18offset_tEEE10hipError_tPvRmT1_PNSt15iterator_traitsISZ_E10value_typeET2_T3_PNS10_IS15_E10value_typeET4_jRbjT5_S1B_jjP12ihipStream_tbEUljE_EEESW_SX_SY_S15_S19_S1B_T6_T7_T9_mT8_S1D_bDpT10_ENKUlT_T0_E_clISt17integral_constantIbLb0EES1Q_EEDaS1L_S1M_EUlS1L_E_NS1_11comp_targetILNS1_3genE8ELNS1_11target_archE1030ELNS1_3gpuE2ELNS1_3repE0EEENS1_30default_config_static_selectorELNS0_4arch9wavefront6targetE0EEEvSZ_,@function
_ZN7rocprim17ROCPRIM_400000_NS6detail17trampoline_kernelINS0_13select_configILj256ELj13ELNS0_17block_load_methodE3ELS4_3ELS4_3ELNS0_20block_scan_algorithmE0ELj4294967295EEENS1_25partition_config_selectorILNS1_17partition_subalgoE3EjNS0_10empty_typeEbEEZZNS1_14partition_implILS8_3ELb0ES6_jNS0_17counting_iteratorIjlEEPS9_SE_NS0_5tupleIJPjSE_EEENSF_IJSE_SE_EEES9_SG_JZNS1_25segmented_radix_sort_implINS0_14default_configELb0EPK12hip_bfloat16PSL_PKlPlN2at6native12_GLOBAL__N_18offset_tEEE10hipError_tPvRmT1_PNSt15iterator_traitsISZ_E10value_typeET2_T3_PNS10_IS15_E10value_typeET4_jRbjT5_S1B_jjP12ihipStream_tbEUljE_EEESW_SX_SY_S15_S19_S1B_T6_T7_T9_mT8_S1D_bDpT10_ENKUlT_T0_E_clISt17integral_constantIbLb0EES1Q_EEDaS1L_S1M_EUlS1L_E_NS1_11comp_targetILNS1_3genE8ELNS1_11target_archE1030ELNS1_3gpuE2ELNS1_3repE0EEENS1_30default_config_static_selectorELNS0_4arch9wavefront6targetE0EEEvSZ_: ; @_ZN7rocprim17ROCPRIM_400000_NS6detail17trampoline_kernelINS0_13select_configILj256ELj13ELNS0_17block_load_methodE3ELS4_3ELS4_3ELNS0_20block_scan_algorithmE0ELj4294967295EEENS1_25partition_config_selectorILNS1_17partition_subalgoE3EjNS0_10empty_typeEbEEZZNS1_14partition_implILS8_3ELb0ES6_jNS0_17counting_iteratorIjlEEPS9_SE_NS0_5tupleIJPjSE_EEENSF_IJSE_SE_EEES9_SG_JZNS1_25segmented_radix_sort_implINS0_14default_configELb0EPK12hip_bfloat16PSL_PKlPlN2at6native12_GLOBAL__N_18offset_tEEE10hipError_tPvRmT1_PNSt15iterator_traitsISZ_E10value_typeET2_T3_PNS10_IS15_E10value_typeET4_jRbjT5_S1B_jjP12ihipStream_tbEUljE_EEESW_SX_SY_S15_S19_S1B_T6_T7_T9_mT8_S1D_bDpT10_ENKUlT_T0_E_clISt17integral_constantIbLb0EES1Q_EEDaS1L_S1M_EUlS1L_E_NS1_11comp_targetILNS1_3genE8ELNS1_11target_archE1030ELNS1_3gpuE2ELNS1_3repE0EEENS1_30default_config_static_selectorELNS0_4arch9wavefront6targetE0EEEvSZ_
; %bb.0:
	s_clause 0x6
	s_load_dword s0, s[4:5], 0x70
	s_load_dwordx2 s[16:17], s[4:5], 0x10
	s_load_dwordx4 s[12:15], s[4:5], 0x48
	s_load_dwordx2 s[18:19], s[4:5], 0x58
	s_load_dword s7, s[4:5], 0x8
	s_load_dwordx4 s[8:11], s[4:5], 0x78
	s_load_dword s1, s[4:5], 0x88
	s_mul_i32 s26, s6, 0xd00
	v_lshlrev_b32_e32 v42, 2, v0
	s_waitcnt lgkmcnt(0)
	s_mul_i32 s2, s0, 0xd00
	s_add_i32 s0, s0, -1
	s_add_i32 s3, s2, s16
	s_load_dwordx2 s[20:21], s[14:15], 0x0
	s_sub_i32 s25, s18, s3
	s_addk_i32 s25, 0xd00
	s_add_u32 s2, s16, s2
	s_addc_u32 s3, s17, 0
	s_cmp_eq_u32 s6, s0
	v_cmp_gt_u64_e64 s2, s[18:19], s[2:3]
	s_cselect_b32 s24, -1, 0
	s_cmp_lg_u32 s6, s0
	s_cselect_b32 s0, -1, 0
	s_add_i32 s3, s7, s26
	s_or_b32 s2, s0, s2
	s_add_i32 s3, s3, s16
	s_and_b32 vcc_lo, exec_lo, s2
	v_add_nc_u32_e32 v1, s3, v0
	s_mov_b32 s7, -1
	s_cbranch_vccz .LBB2014_2
; %bb.1:
	v_add_nc_u32_e32 v2, 0x100, v1
	v_add_nc_u32_e32 v3, 0x200, v1
	;; [unrolled: 1-line block ×12, first 2 shown]
	ds_write2st64_b32 v42, v1, v2 offset1:4
	ds_write2st64_b32 v42, v3, v4 offset0:8 offset1:12
	ds_write2st64_b32 v42, v5, v6 offset0:16 offset1:20
	;; [unrolled: 1-line block ×5, first 2 shown]
	ds_write_b32 v42, v13 offset:12288
	s_waitcnt lgkmcnt(0)
	s_mov_b32 s7, 0
	s_barrier
.LBB2014_2:
	v_cmp_gt_u32_e64 s0, s25, v0
	v_or_b32_e32 v41, 0x100, v0
	v_or_b32_e32 v40, 0x200, v0
	;; [unrolled: 1-line block ×12, first 2 shown]
	s_andn2_b32 vcc_lo, exec_lo, s7
	s_cbranch_vccnz .LBB2014_4
; %bb.3:
	v_add_nc_u32_e32 v2, s3, v41
	v_cmp_gt_u32_e32 vcc_lo, s25, v41
	v_add_nc_u32_e32 v3, s3, v40
	v_add_nc_u32_e32 v4, s3, v39
	;; [unrolled: 1-line block ×4, first 2 shown]
	v_cndmask_b32_e32 v2, 0, v2, vcc_lo
	v_cmp_gt_u32_e32 vcc_lo, s25, v40
	v_add_nc_u32_e32 v7, s3, v36
	v_add_nc_u32_e32 v8, s3, v35
	;; [unrolled: 1-line block ×4, first 2 shown]
	v_cndmask_b32_e32 v3, 0, v3, vcc_lo
	v_cmp_gt_u32_e32 vcc_lo, s25, v39
	v_add_nc_u32_e32 v11, s3, v32
	v_add_nc_u32_e32 v12, s3, v31
	v_cndmask_b32_e64 v1, 0, v1, s0
	v_add_nc_u32_e32 v13, s3, v30
	v_cndmask_b32_e32 v4, 0, v4, vcc_lo
	v_cmp_gt_u32_e32 vcc_lo, s25, v38
	v_cndmask_b32_e32 v5, 0, v5, vcc_lo
	v_cmp_gt_u32_e32 vcc_lo, s25, v37
	;; [unrolled: 2-line block ×9, first 2 shown]
	v_cndmask_b32_e32 v13, 0, v13, vcc_lo
	ds_write2st64_b32 v42, v1, v2 offset1:4
	ds_write2st64_b32 v42, v3, v4 offset0:8 offset1:12
	ds_write2st64_b32 v42, v5, v6 offset0:16 offset1:20
	;; [unrolled: 1-line block ×5, first 2 shown]
	ds_write_b32 v42, v13 offset:12288
	s_waitcnt lgkmcnt(0)
	s_barrier
.LBB2014_4:
	v_mul_u32_u24_e32 v45, 13, v0
	s_waitcnt lgkmcnt(0)
	buffer_gl0_inv
	v_cndmask_b32_e64 v43, 0, 1, s2
	s_andn2_b32 vcc_lo, exec_lo, s2
	v_lshlrev_b32_e32 v1, 2, v45
	ds_read2_b32 v[26:27], v1 offset0:2 offset1:3
	ds_read2_b32 v[22:23], v1 offset0:6 offset1:7
	ds_read2_b32 v[24:25], v1 offset0:4 offset1:5
	ds_read2_b32 v[28:29], v1 offset1:1
	ds_read2_b32 v[18:19], v1 offset0:10 offset1:11
	ds_read_b32 v44, v1 offset:48
	ds_read2_b32 v[20:21], v1 offset0:8 offset1:9
	s_waitcnt lgkmcnt(0)
	s_barrier
	buffer_gl0_inv
	s_cbranch_vccnz .LBB2014_6
; %bb.5:
	v_add_nc_u32_e32 v1, s9, v27
	v_add_nc_u32_e32 v4, s9, v26
	;; [unrolled: 1-line block ×6, first 2 shown]
	v_mul_lo_u32 v4, v4, s8
	v_mul_lo_u32 v1, v1, s8
	;; [unrolled: 1-line block ×4, first 2 shown]
	v_add_nc_u32_e32 v3, s9, v28
	v_add_nc_u32_e32 v7, s11, v28
	v_mul_lo_u32 v2, v2, s8
	v_mul_lo_u32 v6, v6, s10
	v_add_nc_u32_e32 v10, s11, v25
	v_mul_lo_u32 v3, v3, s8
	v_mul_lo_u32 v7, v7, s10
	v_sub_nc_u32_e32 v1, v1, v5
	v_sub_nc_u32_e32 v4, v4, v8
	v_add_nc_u32_e32 v5, s9, v23
	v_add_nc_u32_e32 v8, s11, v23
	v_sub_nc_u32_e32 v2, v2, v6
	v_add_nc_u32_e32 v6, s9, v25
	v_add_nc_u32_e32 v9, s9, v22
	v_mul_lo_u32 v5, v5, s8
	v_mul_lo_u32 v8, v8, s10
	v_sub_nc_u32_e32 v3, v3, v7
	v_add_nc_u32_e32 v7, s9, v24
	v_add_nc_u32_e32 v11, s11, v22
	v_mul_lo_u32 v6, v6, s8
	v_mul_lo_u32 v10, v10, s10
	v_add_nc_u32_e32 v12, s11, v24
	v_mul_lo_u32 v9, v9, s8
	v_mul_lo_u32 v7, v7, s8
	v_mul_lo_u32 v11, v11, s10
	v_sub_nc_u32_e32 v5, v5, v8
	v_mul_lo_u32 v8, v12, s10
	v_cmp_lt_u32_e32 vcc_lo, s1, v1
	v_sub_nc_u32_e32 v6, v6, v10
	v_add_nc_u32_e32 v10, s9, v19
	v_add_nc_u32_e32 v14, s11, v19
	;; [unrolled: 1-line block ×3, first 2 shown]
	v_cndmask_b32_e64 v1, 0, 1, vcc_lo
	v_cmp_lt_u32_e32 vcc_lo, s1, v2
	v_sub_nc_u32_e32 v7, v7, v8
	v_sub_nc_u32_e32 v8, v9, v11
	v_add_nc_u32_e32 v11, s9, v21
	v_mul_lo_u32 v10, v10, s8
	v_mul_lo_u32 v14, v14, s10
	v_cndmask_b32_e64 v2, 0, 1, vcc_lo
	v_cmp_lt_u32_e32 vcc_lo, s1, v5
	v_mul_lo_u32 v11, v11, s8
	v_mul_lo_u32 v15, v15, s10
	v_mov_b32_e32 v9, 8
	v_lshlrev_b16 v2, 8, v2
	v_cndmask_b32_e64 v5, 0, 1, vcc_lo
	v_cmp_lt_u32_e32 vcc_lo, s1, v6
	v_sub_nc_u32_e32 v10, v10, v14
	v_add_nc_u32_e32 v12, s9, v20
	v_add_nc_u32_e32 v16, s11, v20
	v_sub_nc_u32_e32 v11, v11, v15
	v_cndmask_b32_e64 v6, 0, 1, vcc_lo
	v_cmp_lt_u32_e32 vcc_lo, s1, v10
	v_lshrrev_b32_sdwa v2, v9, v2 dst_sel:BYTE_1 dst_unused:UNUSED_PAD src0_sel:DWORD src1_sel:DWORD
	v_add_nc_u32_e32 v13, s9, v18
	v_add_nc_u32_e32 v17, s11, v18
	v_mul_lo_u32 v12, v12, s8
	v_cndmask_b32_e64 v10, 0, 1, vcc_lo
	v_cmp_lt_u32_e32 vcc_lo, s1, v11
	v_mul_lo_u32 v16, v16, s10
	v_mul_lo_u32 v13, v13, s8
	;; [unrolled: 1-line block ×3, first 2 shown]
	v_add_nc_u32_e32 v14, s9, v44
	v_cndmask_b32_e64 v11, 0, 1, vcc_lo
	v_cmp_lt_u32_e32 vcc_lo, s1, v3
	v_add_nc_u32_e32 v15, s11, v44
	v_lshlrev_b16 v1, 8, v1
	v_sub_nc_u32_e32 v12, v12, v16
	v_lshlrev_b16 v11, 8, v11
	v_cndmask_b32_e64 v3, 0, 1, vcc_lo
	v_cmp_lt_u32_e32 vcc_lo, s1, v4
	v_sub_nc_u32_e32 v13, v13, v17
	v_mul_lo_u32 v14, v14, s8
	v_mul_lo_u32 v15, v15, s10
	v_or_b32_e32 v2, v3, v2
	v_cndmask_b32_e64 v3, 0, 1, vcc_lo
	v_cmp_lt_u32_e32 vcc_lo, s1, v7
	v_lshlrev_b16 v6, 8, v6
	v_lshlrev_b16 v10, 8, v10
	;; [unrolled: 1-line block ×3, first 2 shown]
	v_lshrrev_b32_sdwa v1, v9, v1 dst_sel:BYTE_1 dst_unused:UNUSED_PAD src0_sel:DWORD src1_sel:DWORD
	v_cndmask_b32_e64 v4, 0, 1, vcc_lo
	v_cmp_lt_u32_e32 vcc_lo, s1, v8
	v_lshrrev_b32_sdwa v8, v9, v11 dst_sel:BYTE_1 dst_unused:UNUSED_PAD src0_sel:DWORD src1_sel:DWORD
	v_lshrrev_b32_sdwa v6, v9, v6 dst_sel:BYTE_1 dst_unused:UNUSED_PAD src0_sel:DWORD src1_sel:DWORD
	v_sub_nc_u32_e32 v14, v14, v15
	v_lshrrev_b32_sdwa v9, v9, v10 dst_sel:BYTE_1 dst_unused:UNUSED_PAD src0_sel:DWORD src1_sel:DWORD
	v_cndmask_b32_e64 v7, 0, 1, vcc_lo
	v_cmp_lt_u32_e32 vcc_lo, s1, v12
	v_or_b32_sdwa v1, v3, v1 dst_sel:WORD_1 dst_unused:UNUSED_PAD src0_sel:DWORD src1_sel:DWORD
	v_or_b32_e32 v3, v4, v6
	v_or_b32_sdwa v4, v7, v5 dst_sel:WORD_1 dst_unused:UNUSED_PAD src0_sel:DWORD src1_sel:DWORD
	v_cndmask_b32_e64 v11, 0, 1, vcc_lo
	v_cmp_lt_u32_e32 vcc_lo, s1, v13
	v_or_b32_sdwa v50, v2, v1 dst_sel:DWORD dst_unused:UNUSED_PAD src0_sel:WORD_0 src1_sel:DWORD
	v_or_b32_sdwa v48, v3, v4 dst_sel:DWORD dst_unused:UNUSED_PAD src0_sel:WORD_0 src1_sel:DWORD
	v_or_b32_e32 v5, v11, v8
	v_cndmask_b32_e64 v10, 0, 1, vcc_lo
	v_cmp_lt_u32_e32 vcc_lo, s1, v14
	v_or_b32_sdwa v6, v10, v9 dst_sel:WORD_1 dst_unused:UNUSED_PAD src0_sel:DWORD src1_sel:DWORD
	v_cndmask_b32_e64 v46, 0, 1, vcc_lo
	v_or_b32_sdwa v47, v5, v6 dst_sel:DWORD dst_unused:UNUSED_PAD src0_sel:WORD_0 src1_sel:DWORD
	s_clause 0x1
	s_load_dwordx2 s[14:15], s[4:5], 0x28
	s_load_dwordx2 s[22:23], s[4:5], 0x68
	s_cbranch_execz .LBB2014_7
	s_branch .LBB2014_34
.LBB2014_6:
                                        ; implicit-def: $vgpr46
                                        ; implicit-def: $vgpr47
                                        ; implicit-def: $vgpr48
                                        ; implicit-def: $vgpr50
	s_clause 0x1
	s_load_dwordx2 s[14:15], s[4:5], 0x28
	s_load_dwordx2 s[22:23], s[4:5], 0x68
.LBB2014_7:
	v_mov_b32_e32 v2, 0
	v_mov_b32_e32 v1, 0
	s_mov_b32 s0, exec_lo
	v_cmpx_gt_u32_e64 s25, v45
	s_cbranch_execz .LBB2014_9
; %bb.8:
	v_add_nc_u32_e32 v1, s9, v28
	v_add_nc_u32_e32 v3, s11, v28
	v_mul_lo_u32 v1, v1, s8
	v_mul_lo_u32 v3, v3, s10
	v_sub_nc_u32_e32 v1, v1, v3
	v_cmp_lt_u32_e32 vcc_lo, s1, v1
	v_cndmask_b32_e64 v1, 0, 1, vcc_lo
.LBB2014_9:
	s_or_b32 exec_lo, exec_lo, s0
	v_add_nc_u32_e32 v3, 1, v45
	s_mov_b32 s0, exec_lo
	v_cmpx_gt_u32_e64 s25, v3
	s_cbranch_execz .LBB2014_11
; %bb.10:
	v_add_nc_u32_e32 v2, s9, v29
	v_add_nc_u32_e32 v3, s11, v29
	v_mul_lo_u32 v2, v2, s8
	v_mul_lo_u32 v3, v3, s10
	v_sub_nc_u32_e32 v2, v2, v3
	v_cmp_lt_u32_e32 vcc_lo, s1, v2
	v_cndmask_b32_e64 v2, 0, 1, vcc_lo
.LBB2014_11:
	s_or_b32 exec_lo, exec_lo, s0
	v_add_nc_u32_e32 v3, 2, v45
	v_mov_b32_e32 v4, 0
	v_cmp_gt_u32_e32 vcc_lo, s25, v3
	v_mov_b32_e32 v3, 0
	s_and_saveexec_b32 s0, vcc_lo
	s_cbranch_execz .LBB2014_13
; %bb.12:
	v_add_nc_u32_e32 v3, s9, v26
	v_add_nc_u32_e32 v5, s11, v26
	v_mul_lo_u32 v3, v3, s8
	v_mul_lo_u32 v5, v5, s10
	v_sub_nc_u32_e32 v3, v3, v5
	v_cmp_lt_u32_e32 vcc_lo, s1, v3
	v_cndmask_b32_e64 v3, 0, 1, vcc_lo
.LBB2014_13:
	s_or_b32 exec_lo, exec_lo, s0
	v_add_nc_u32_e32 v5, 3, v45
	s_mov_b32 s0, exec_lo
	v_cmpx_gt_u32_e64 s25, v5
	s_cbranch_execz .LBB2014_15
; %bb.14:
	v_add_nc_u32_e32 v4, s9, v27
	v_add_nc_u32_e32 v5, s11, v27
	v_mul_lo_u32 v4, v4, s8
	v_mul_lo_u32 v5, v5, s10
	v_sub_nc_u32_e32 v4, v4, v5
	v_cmp_lt_u32_e32 vcc_lo, s1, v4
	v_cndmask_b32_e64 v4, 0, 1, vcc_lo
.LBB2014_15:
	s_or_b32 exec_lo, exec_lo, s0
	v_add_nc_u32_e32 v5, 4, v45
	v_mov_b32_e32 v6, 0
	v_cmp_gt_u32_e32 vcc_lo, s25, v5
	v_mov_b32_e32 v5, 0
	s_and_saveexec_b32 s0, vcc_lo
	;; [unrolled: 30-line block ×5, first 2 shown]
	s_cbranch_execz .LBB2014_29
; %bb.28:
	v_add_nc_u32_e32 v11, s9, v18
	v_add_nc_u32_e32 v13, s11, v18
	v_mul_lo_u32 v11, v11, s8
	v_mul_lo_u32 v13, v13, s10
	v_sub_nc_u32_e32 v11, v11, v13
	v_cmp_lt_u32_e32 vcc_lo, s1, v11
	v_cndmask_b32_e64 v11, 0, 1, vcc_lo
.LBB2014_29:
	s_or_b32 exec_lo, exec_lo, s0
	v_add_nc_u32_e32 v13, 11, v45
	s_mov_b32 s0, exec_lo
	v_cmpx_gt_u32_e64 s25, v13
	s_cbranch_execz .LBB2014_31
; %bb.30:
	v_add_nc_u32_e32 v12, s9, v19
	v_add_nc_u32_e32 v13, s11, v19
	v_mul_lo_u32 v12, v12, s8
	v_mul_lo_u32 v13, v13, s10
	v_sub_nc_u32_e32 v12, v12, v13
	v_cmp_lt_u32_e32 vcc_lo, s1, v12
	v_cndmask_b32_e64 v12, 0, 1, vcc_lo
.LBB2014_31:
	s_or_b32 exec_lo, exec_lo, s0
	v_add_nc_u32_e32 v13, 12, v45
	v_mov_b32_e32 v46, 0
	s_mov_b32 s0, exec_lo
	v_cmpx_gt_u32_e64 s25, v13
	s_cbranch_execz .LBB2014_33
; %bb.32:
	v_add_nc_u32_e32 v13, s9, v44
	v_add_nc_u32_e32 v14, s11, v44
	v_mul_lo_u32 v13, v13, s8
	v_mul_lo_u32 v14, v14, s10
	v_sub_nc_u32_e32 v13, v13, v14
	v_cmp_lt_u32_e32 vcc_lo, s1, v13
	v_cndmask_b32_e64 v46, 0, 1, vcc_lo
.LBB2014_33:
	s_or_b32 exec_lo, exec_lo, s0
	v_lshlrev_b16 v2, 8, v2
	v_lshlrev_b16 v4, 8, v4
	;; [unrolled: 1-line block ×5, first 2 shown]
	v_or_b32_e32 v1, v1, v2
	v_lshlrev_b16 v2, 8, v12
	v_or_b32_sdwa v3, v3, v4 dst_sel:WORD_1 dst_unused:UNUSED_PAD src0_sel:DWORD src1_sel:DWORD
	v_or_b32_e32 v4, v5, v6
	v_or_b32_sdwa v5, v7, v8 dst_sel:WORD_1 dst_unused:UNUSED_PAD src0_sel:DWORD src1_sel:DWORD
	v_or_b32_e32 v6, v9, v10
	v_or_b32_sdwa v2, v11, v2 dst_sel:WORD_1 dst_unused:UNUSED_PAD src0_sel:DWORD src1_sel:DWORD
	v_or_b32_sdwa v50, v1, v3 dst_sel:DWORD dst_unused:UNUSED_PAD src0_sel:WORD_0 src1_sel:DWORD
	v_or_b32_sdwa v48, v4, v5 dst_sel:DWORD dst_unused:UNUSED_PAD src0_sel:WORD_0 src1_sel:DWORD
	;; [unrolled: 1-line block ×3, first 2 shown]
.LBB2014_34:
	v_and_b32_e32 v53, 0xff, v50
	v_bfe_u32 v54, v50, 8, 8
	v_bfe_u32 v55, v50, 16, 8
	v_lshrrev_b32_e32 v52, 24, v50
	v_and_b32_e32 v56, 0xff, v48
	v_bfe_u32 v57, v48, 8, 8
	v_bfe_u32 v58, v48, 16, 8
	v_add3_u32 v1, v54, v53, v55
	v_lshrrev_b32_e32 v51, 24, v48
	v_and_b32_e32 v59, 0xff, v47
	v_bfe_u32 v60, v47, 8, 8
	v_mbcnt_lo_u32_b32 v62, -1, 0
	v_add3_u32 v1, v1, v52, v56
	v_bfe_u32 v61, v47, 16, 8
	v_lshrrev_b32_e32 v49, 24, v47
	v_and_b32_e32 v2, 0xff, v46
	v_and_b32_e32 v3, 15, v62
	v_add3_u32 v1, v1, v57, v58
	v_or_b32_e32 v4, 31, v0
	v_and_b32_e32 v5, 16, v62
	v_lshrrev_b32_e32 v63, 5, v0
	v_cmp_eq_u32_e64 s5, 0, v3
	v_add3_u32 v1, v1, v51, v59
	v_cmp_lt_u32_e64 s4, 1, v3
	v_cmp_lt_u32_e64 s3, 3, v3
	;; [unrolled: 1-line block ×3, first 2 shown]
	v_cmp_eq_u32_e64 s1, 0, v5
	v_add3_u32 v1, v1, v60, v61
	v_cmp_eq_u32_e64 s0, v0, v4
	s_cmp_lg_u32 s6, 0
	s_mov_b32 s7, -1
	v_add3_u32 v64, v1, v49, v2
	s_cbranch_scc0 .LBB2014_56
; %bb.35:
	v_mov_b32_dpp v1, v64 row_shr:1 row_mask:0xf bank_mask:0xf
	v_cndmask_b32_e64 v1, v1, 0, s5
	v_add_nc_u32_e32 v1, v1, v64
	v_mov_b32_dpp v2, v1 row_shr:2 row_mask:0xf bank_mask:0xf
	v_cndmask_b32_e64 v2, 0, v2, s4
	v_add_nc_u32_e32 v1, v1, v2
	;; [unrolled: 3-line block ×4, first 2 shown]
	ds_swizzle_b32 v2, v1 offset:swizzle(BROADCAST,32,15)
	s_waitcnt lgkmcnt(0)
	v_cndmask_b32_e64 v2, v2, 0, s1
	v_add_nc_u32_e32 v1, v1, v2
	s_and_saveexec_b32 s7, s0
; %bb.36:
	v_lshlrev_b32_e32 v2, 2, v63
	ds_write_b32 v2, v1
; %bb.37:
	s_or_b32 exec_lo, exec_lo, s7
	s_mov_b32 s7, exec_lo
	s_waitcnt lgkmcnt(0)
	s_barrier
	buffer_gl0_inv
	v_cmpx_gt_u32_e32 8, v0
	s_cbranch_execz .LBB2014_39
; %bb.38:
	ds_read_b32 v2, v42
	v_and_b32_e32 v3, 7, v62
	v_cmp_ne_u32_e32 vcc_lo, 0, v3
	s_waitcnt lgkmcnt(0)
	v_mov_b32_dpp v4, v2 row_shr:1 row_mask:0xf bank_mask:0xf
	v_cndmask_b32_e32 v4, 0, v4, vcc_lo
	v_cmp_lt_u32_e32 vcc_lo, 1, v3
	v_add_nc_u32_e32 v2, v4, v2
	v_mov_b32_dpp v4, v2 row_shr:2 row_mask:0xf bank_mask:0xf
	v_cndmask_b32_e32 v4, 0, v4, vcc_lo
	v_cmp_lt_u32_e32 vcc_lo, 3, v3
	v_add_nc_u32_e32 v2, v2, v4
	v_mov_b32_dpp v4, v2 row_shr:4 row_mask:0xf bank_mask:0xf
	v_cndmask_b32_e32 v3, 0, v4, vcc_lo
	v_add_nc_u32_e32 v2, v2, v3
	ds_write_b32 v42, v2
.LBB2014_39:
	s_or_b32 exec_lo, exec_lo, s7
	s_mov_b32 s8, exec_lo
	v_cmp_gt_u32_e32 vcc_lo, 32, v0
	s_waitcnt lgkmcnt(0)
	s_barrier
	buffer_gl0_inv
                                        ; implicit-def: $vgpr10
	v_cmpx_lt_u32_e32 31, v0
	s_cbranch_execz .LBB2014_41
; %bb.40:
	v_lshl_add_u32 v2, v63, 2, -4
	ds_read_b32 v10, v2
	s_waitcnt lgkmcnt(0)
	v_add_nc_u32_e32 v1, v10, v1
.LBB2014_41:
	s_or_b32 exec_lo, exec_lo, s8
	v_sub_co_u32 v2, s7, v62, 1
	v_cmp_gt_i32_e64 s8, 0, v2
	v_cndmask_b32_e64 v2, v2, v62, s8
	v_lshlrev_b32_e32 v2, 2, v2
	ds_bpermute_b32 v11, v2, v1
	s_and_saveexec_b32 s8, vcc_lo
	s_cbranch_execz .LBB2014_61
; %bb.42:
	v_mov_b32_e32 v7, 0
	ds_read_b32 v1, v7 offset:28
	s_and_saveexec_b32 s9, s7
	s_cbranch_execz .LBB2014_44
; %bb.43:
	s_add_i32 s10, s6, 32
	s_mov_b32 s11, 0
	v_mov_b32_e32 v2, 1
	s_lshl_b64 s[10:11], s[10:11], 3
	s_add_u32 s10, s22, s10
	s_addc_u32 s11, s23, s11
	s_waitcnt lgkmcnt(0)
	global_store_dwordx2 v7, v[1:2], s[10:11]
.LBB2014_44:
	s_or_b32 exec_lo, exec_lo, s9
	v_xad_u32 v3, v62, -1, s6
	s_mov_b32 s10, 0
	v_add_nc_u32_e32 v6, 32, v3
	v_lshlrev_b64 v[4:5], 3, v[6:7]
	v_add_co_u32 v8, vcc_lo, s22, v4
	v_add_co_ci_u32_e64 v9, null, s23, v5, vcc_lo
	global_load_dwordx2 v[5:6], v[8:9], off glc dlc
	s_waitcnt vmcnt(0)
	v_cmp_eq_u16_sdwa s11, v6, v7 src0_sel:BYTE_0 src1_sel:DWORD
	s_and_saveexec_b32 s9, s11
	s_cbranch_execz .LBB2014_48
; %bb.45:
	v_mov_b32_e32 v2, 0
.LBB2014_46:                            ; =>This Inner Loop Header: Depth=1
	global_load_dwordx2 v[5:6], v[8:9], off glc dlc
	s_waitcnt vmcnt(0)
	v_cmp_ne_u16_sdwa s11, v6, v2 src0_sel:BYTE_0 src1_sel:DWORD
	s_or_b32 s10, s11, s10
	s_andn2_b32 exec_lo, exec_lo, s10
	s_cbranch_execnz .LBB2014_46
; %bb.47:
	s_or_b32 exec_lo, exec_lo, s10
.LBB2014_48:
	s_or_b32 exec_lo, exec_lo, s9
	v_cmp_ne_u32_e32 vcc_lo, 31, v62
	v_mov_b32_e32 v12, 2
	v_lshlrev_b32_e64 v13, v62, -1
	v_add_nc_u32_e32 v15, 2, v62
	v_add_nc_u32_e32 v17, 4, v62
	v_add_co_ci_u32_e64 v2, null, 0, v62, vcc_lo
	v_cmp_eq_u16_sdwa s9, v6, v12 src0_sel:BYTE_0 src1_sel:DWORD
	v_cmp_gt_u32_e32 vcc_lo, 30, v62
	v_add_nc_u32_e32 v66, 8, v62
	v_lshlrev_b32_e32 v9, 2, v2
	v_lshl_or_b32 v67, v62, 2, 64
	v_and_or_b32 v4, s9, v13, 0x80000000
	v_cndmask_b32_e64 v7, 0, 2, vcc_lo
	v_add_nc_u32_e32 v68, 16, v62
	ds_bpermute_b32 v2, v9, v5
	v_ffbl_b32_e32 v4, v4
	v_add_lshl_u32 v14, v7, v62, 2
	v_cmp_lt_u32_e32 vcc_lo, v62, v4
	s_waitcnt lgkmcnt(0)
	v_cndmask_b32_e32 v2, 0, v2, vcc_lo
	v_cmp_gt_u32_e32 vcc_lo, 28, v62
	v_add_nc_u32_e32 v2, v2, v5
	v_cndmask_b32_e64 v7, 0, 4, vcc_lo
	v_cmp_le_u32_e32 vcc_lo, v15, v4
	ds_bpermute_b32 v5, v14, v2
	v_add_lshl_u32 v16, v7, v62, 2
	s_waitcnt lgkmcnt(0)
	v_cndmask_b32_e32 v5, 0, v5, vcc_lo
	v_cmp_gt_u32_e32 vcc_lo, 24, v62
	v_add_nc_u32_e32 v2, v2, v5
	v_cndmask_b32_e64 v7, 0, 8, vcc_lo
	v_cmp_le_u32_e32 vcc_lo, v17, v4
	ds_bpermute_b32 v5, v16, v2
	v_add_lshl_u32 v65, v7, v62, 2
	s_waitcnt lgkmcnt(0)
	v_cndmask_b32_e32 v5, 0, v5, vcc_lo
	v_cmp_le_u32_e32 vcc_lo, v66, v4
	v_add_nc_u32_e32 v2, v2, v5
	ds_bpermute_b32 v5, v65, v2
	s_waitcnt lgkmcnt(0)
	v_cndmask_b32_e32 v5, 0, v5, vcc_lo
	v_cmp_le_u32_e32 vcc_lo, v68, v4
	v_add_nc_u32_e32 v2, v2, v5
	ds_bpermute_b32 v5, v67, v2
	s_waitcnt lgkmcnt(0)
	v_cndmask_b32_e32 v4, 0, v5, vcc_lo
	v_add_nc_u32_e32 v5, v2, v4
	v_mov_b32_e32 v4, 0
	s_branch .LBB2014_52
.LBB2014_49:                            ;   in Loop: Header=BB2014_52 Depth=1
	s_or_b32 exec_lo, exec_lo, s10
.LBB2014_50:                            ;   in Loop: Header=BB2014_52 Depth=1
	s_or_b32 exec_lo, exec_lo, s9
	ds_bpermute_b32 v7, v9, v5
	v_cmp_eq_u16_sdwa s9, v6, v12 src0_sel:BYTE_0 src1_sel:DWORD
	v_subrev_nc_u32_e32 v3, 32, v3
	v_and_or_b32 v8, s9, v13, 0x80000000
	s_mov_b32 s9, 0
	v_ffbl_b32_e32 v8, v8
	v_cmp_lt_u32_e32 vcc_lo, v62, v8
	s_waitcnt lgkmcnt(0)
	v_cndmask_b32_e32 v7, 0, v7, vcc_lo
	v_cmp_le_u32_e32 vcc_lo, v15, v8
	v_add_nc_u32_e32 v5, v7, v5
	ds_bpermute_b32 v7, v14, v5
	s_waitcnt lgkmcnt(0)
	v_cndmask_b32_e32 v7, 0, v7, vcc_lo
	v_cmp_le_u32_e32 vcc_lo, v17, v8
	v_add_nc_u32_e32 v5, v5, v7
	ds_bpermute_b32 v7, v16, v5
	s_waitcnt lgkmcnt(0)
	v_cndmask_b32_e32 v7, 0, v7, vcc_lo
	v_cmp_le_u32_e32 vcc_lo, v66, v8
	v_add_nc_u32_e32 v5, v5, v7
	ds_bpermute_b32 v7, v65, v5
	s_waitcnt lgkmcnt(0)
	v_cndmask_b32_e32 v7, 0, v7, vcc_lo
	v_cmp_le_u32_e32 vcc_lo, v68, v8
	v_add_nc_u32_e32 v5, v5, v7
	ds_bpermute_b32 v7, v67, v5
	s_waitcnt lgkmcnt(0)
	v_cndmask_b32_e32 v7, 0, v7, vcc_lo
	v_add3_u32 v5, v7, v2, v5
.LBB2014_51:                            ;   in Loop: Header=BB2014_52 Depth=1
	s_and_b32 vcc_lo, exec_lo, s9
	s_cbranch_vccnz .LBB2014_57
.LBB2014_52:                            ; =>This Loop Header: Depth=1
                                        ;     Child Loop BB2014_55 Depth 2
	v_cmp_ne_u16_sdwa s9, v6, v12 src0_sel:BYTE_0 src1_sel:DWORD
	v_mov_b32_e32 v2, v5
                                        ; implicit-def: $vgpr5
                                        ; implicit-def: $vgpr6
	s_cmp_lg_u32 s9, exec_lo
	s_mov_b32 s9, -1
	s_cbranch_scc1 .LBB2014_51
; %bb.53:                               ;   in Loop: Header=BB2014_52 Depth=1
	v_lshlrev_b64 v[5:6], 3, v[3:4]
	v_add_co_u32 v7, vcc_lo, s22, v5
	v_add_co_ci_u32_e64 v8, null, s23, v6, vcc_lo
	global_load_dwordx2 v[5:6], v[7:8], off glc dlc
	s_waitcnt vmcnt(0)
	v_cmp_eq_u16_sdwa s10, v6, v4 src0_sel:BYTE_0 src1_sel:DWORD
	s_and_saveexec_b32 s9, s10
	s_cbranch_execz .LBB2014_50
; %bb.54:                               ;   in Loop: Header=BB2014_52 Depth=1
	s_mov_b32 s10, 0
.LBB2014_55:                            ;   Parent Loop BB2014_52 Depth=1
                                        ; =>  This Inner Loop Header: Depth=2
	global_load_dwordx2 v[5:6], v[7:8], off glc dlc
	s_waitcnt vmcnt(0)
	v_cmp_ne_u16_sdwa s11, v6, v4 src0_sel:BYTE_0 src1_sel:DWORD
	s_or_b32 s10, s11, s10
	s_andn2_b32 exec_lo, exec_lo, s10
	s_cbranch_execnz .LBB2014_55
	s_branch .LBB2014_49
.LBB2014_56:
                                        ; implicit-def: $vgpr17
                                        ; implicit-def: $vgpr1_vgpr2_vgpr3_vgpr4_vgpr5_vgpr6_vgpr7_vgpr8_vgpr9_vgpr10_vgpr11_vgpr12_vgpr13_vgpr14_vgpr15_vgpr16
	s_and_b32 vcc_lo, exec_lo, s7
	s_cbranch_vccnz .LBB2014_62
	s_branch .LBB2014_71
.LBB2014_57:
	s_and_saveexec_b32 s9, s7
	s_cbranch_execz .LBB2014_59
; %bb.58:
	s_add_i32 s10, s6, 32
	s_mov_b32 s11, 0
	v_add_nc_u32_e32 v3, v2, v1
	v_mov_b32_e32 v4, 2
	s_lshl_b64 s[10:11], s[10:11], 3
	v_mov_b32_e32 v5, 0
	s_add_u32 s10, s22, s10
	s_addc_u32 s11, s23, s11
	global_store_dwordx2 v5, v[3:4], s[10:11]
	ds_write_b64 v5, v[1:2] offset:13312
.LBB2014_59:
	s_or_b32 exec_lo, exec_lo, s9
	v_cmp_eq_u32_e32 vcc_lo, 0, v0
	s_and_b32 exec_lo, exec_lo, vcc_lo
; %bb.60:
	v_mov_b32_e32 v1, 0
	ds_write_b32 v1, v2 offset:28
.LBB2014_61:
	s_or_b32 exec_lo, exec_lo, s8
	v_mov_b32_e32 v12, 0
	s_waitcnt lgkmcnt(0)
	s_waitcnt_vscnt null, 0x0
	s_barrier
	buffer_gl0_inv
	v_cndmask_b32_e64 v2, v11, v10, s7
	ds_read_b32 v1, v12 offset:28
	v_cmp_ne_u32_e32 vcc_lo, 0, v0
	s_waitcnt lgkmcnt(0)
	s_barrier
	buffer_gl0_inv
	ds_read_b64 v[16:17], v12 offset:13312
	v_cndmask_b32_e32 v2, 0, v2, vcc_lo
	v_add_nc_u32_e32 v1, v1, v2
	v_add_nc_u32_e32 v2, v1, v53
	;; [unrolled: 1-line block ×13, first 2 shown]
	s_branch .LBB2014_71
.LBB2014_62:
	v_mov_b32_dpp v1, v64 row_shr:1 row_mask:0xf bank_mask:0xf
	v_cndmask_b32_e64 v1, v1, 0, s5
	v_add_nc_u32_e32 v1, v1, v64
	v_mov_b32_dpp v2, v1 row_shr:2 row_mask:0xf bank_mask:0xf
	v_cndmask_b32_e64 v2, 0, v2, s4
	v_add_nc_u32_e32 v1, v1, v2
	v_mov_b32_dpp v2, v1 row_shr:4 row_mask:0xf bank_mask:0xf
	v_cndmask_b32_e64 v2, 0, v2, s3
	v_add_nc_u32_e32 v1, v1, v2
	v_mov_b32_dpp v2, v1 row_shr:8 row_mask:0xf bank_mask:0xf
	v_cndmask_b32_e64 v2, 0, v2, s2
	v_add_nc_u32_e32 v1, v1, v2
	ds_swizzle_b32 v2, v1 offset:swizzle(BROADCAST,32,15)
	s_waitcnt lgkmcnt(0)
	v_cndmask_b32_e64 v2, v2, 0, s1
	v_add_nc_u32_e32 v1, v1, v2
	s_and_saveexec_b32 s1, s0
; %bb.63:
	v_lshlrev_b32_e32 v2, 2, v63
	ds_write_b32 v2, v1
; %bb.64:
	s_or_b32 exec_lo, exec_lo, s1
	s_mov_b32 s0, exec_lo
	s_waitcnt lgkmcnt(0)
	s_barrier
	buffer_gl0_inv
	v_cmpx_gt_u32_e32 8, v0
	s_cbranch_execz .LBB2014_66
; %bb.65:
	ds_read_b32 v2, v42
	v_and_b32_e32 v3, 7, v62
	v_cmp_ne_u32_e32 vcc_lo, 0, v3
	s_waitcnt lgkmcnt(0)
	v_mov_b32_dpp v4, v2 row_shr:1 row_mask:0xf bank_mask:0xf
	v_cndmask_b32_e32 v4, 0, v4, vcc_lo
	v_cmp_lt_u32_e32 vcc_lo, 1, v3
	v_add_nc_u32_e32 v2, v4, v2
	v_mov_b32_dpp v4, v2 row_shr:2 row_mask:0xf bank_mask:0xf
	v_cndmask_b32_e32 v4, 0, v4, vcc_lo
	v_cmp_lt_u32_e32 vcc_lo, 3, v3
	v_add_nc_u32_e32 v2, v2, v4
	v_mov_b32_dpp v4, v2 row_shr:4 row_mask:0xf bank_mask:0xf
	v_cndmask_b32_e32 v3, 0, v4, vcc_lo
	v_add_nc_u32_e32 v2, v2, v3
	ds_write_b32 v42, v2
.LBB2014_66:
	s_or_b32 exec_lo, exec_lo, s0
	v_mov_b32_e32 v3, 0
	v_mov_b32_e32 v2, 0
	s_mov_b32 s0, exec_lo
	s_waitcnt lgkmcnt(0)
	s_barrier
	buffer_gl0_inv
	v_cmpx_lt_u32_e32 31, v0
; %bb.67:
	v_lshl_add_u32 v2, v63, 2, -4
	ds_read_b32 v2, v2
; %bb.68:
	s_or_b32 exec_lo, exec_lo, s0
	v_sub_co_u32 v4, vcc_lo, v62, 1
	s_waitcnt lgkmcnt(0)
	v_add_nc_u32_e32 v1, v2, v1
	ds_read_b32 v16, v3 offset:28
	v_cmp_gt_i32_e64 s0, 0, v4
	v_cndmask_b32_e64 v4, v4, v62, s0
	v_cmp_eq_u32_e64 s0, 0, v0
	v_lshlrev_b32_e32 v4, 2, v4
	ds_bpermute_b32 v1, v4, v1
	s_and_saveexec_b32 s1, s0
	s_cbranch_execz .LBB2014_70
; %bb.69:
	v_mov_b32_e32 v3, 0
	v_mov_b32_e32 v17, 2
	s_waitcnt lgkmcnt(1)
	global_store_dwordx2 v3, v[16:17], s[22:23] offset:256
.LBB2014_70:
	s_or_b32 exec_lo, exec_lo, s1
	s_waitcnt lgkmcnt(0)
	v_cndmask_b32_e32 v1, v1, v2, vcc_lo
	v_mov_b32_e32 v17, 0
	s_waitcnt_vscnt null, 0x0
	s_barrier
	buffer_gl0_inv
	v_cndmask_b32_e64 v1, v1, 0, s0
	v_add_nc_u32_e32 v2, v1, v53
	v_add_nc_u32_e32 v3, v2, v54
	v_add_nc_u32_e32 v4, v3, v55
	v_add_nc_u32_e32 v5, v4, v52
	v_add_nc_u32_e32 v6, v5, v56
	v_add_nc_u32_e32 v7, v6, v57
	v_add_nc_u32_e32 v8, v7, v58
	v_add_nc_u32_e32 v9, v8, v51
	v_add_nc_u32_e32 v10, v9, v59
	v_add_nc_u32_e32 v11, v10, v60
	v_add_nc_u32_e32 v12, v11, v61
	v_add_nc_u32_e32 v13, v12, v49
.LBB2014_71:
	s_waitcnt lgkmcnt(0)
	v_add_nc_u32_e32 v45, v16, v45
	v_sub_nc_u32_e32 v1, v1, v17
	v_and_b32_e32 v54, 1, v50
	v_lshrrev_b32_e32 v53, 8, v50
	v_sub_nc_u32_e32 v2, v2, v17
	v_sub_nc_u32_e32 v3, v3, v17
	;; [unrolled: 1-line block ×3, first 2 shown]
	v_cmp_eq_u32_e32 vcc_lo, 1, v54
	v_and_b32_e32 v53, 1, v53
	v_mov_b32_e32 v56, 1
	v_sub_nc_u32_e32 v54, v45, v2
	v_sub_nc_u32_e32 v4, v4, v17
	v_cndmask_b32_e32 v1, v55, v1, vcc_lo
	v_sub_nc_u32_e32 v55, v45, v3
	v_and_b32_sdwa v50, v56, v50 dst_sel:DWORD dst_unused:UNUSED_PAD src0_sel:DWORD src1_sel:WORD_1
	v_add_nc_u32_e32 v54, 1, v54
	v_cmp_eq_u32_e32 vcc_lo, 1, v53
	v_lshlrev_b32_e32 v1, 2, v1
	v_and_b32_e32 v52, 1, v52
	v_sub_nc_u32_e32 v57, v45, v4
	v_add_nc_u32_e32 v55, 2, v55
	v_lshrrev_b32_e32 v15, 8, v48
	ds_write_b32 v1, v28
	v_cndmask_b32_e32 v1, v54, v2, vcc_lo
	v_cmp_eq_u32_e32 vcc_lo, 1, v50
	v_add_nc_u32_e32 v57, 3, v57
	v_lshrrev_b32_e32 v14, 8, v47
	v_lshlrev_b32_e32 v1, 2, v1
	v_cndmask_b32_e32 v2, v55, v3, vcc_lo
	v_cmp_eq_u32_e32 vcc_lo, 1, v52
	ds_write_b32 v1, v29
	v_lshlrev_b32_e32 v2, 2, v2
	v_cndmask_b32_e32 v3, v57, v4, vcc_lo
	v_sub_nc_u32_e32 v4, v5, v17
	v_sub_nc_u32_e32 v5, v6, v17
	v_lshlrev_b32_e32 v3, 2, v3
	v_sub_nc_u32_e32 v1, v45, v4
	v_sub_nc_u32_e32 v6, v45, v5
	ds_write_b32 v2, v26
	ds_write_b32 v3, v27
	v_and_b32_e32 v2, 1, v48
	v_add_nc_u32_e32 v1, 4, v1
	v_add_nc_u32_e32 v3, 5, v6
	v_sub_nc_u32_e32 v6, v7, v17
	v_and_b32_e32 v7, 1, v15
	v_cmp_eq_u32_e32 vcc_lo, 1, v2
	v_sub_nc_u32_e32 v2, v8, v17
	v_and_b32_e32 v8, 1, v51
	v_add_co_u32 v15, s0, s20, v17
	v_cndmask_b32_e32 v1, v1, v4, vcc_lo
	v_sub_nc_u32_e32 v4, v45, v6
	v_cmp_eq_u32_e32 vcc_lo, 1, v7
	v_and_b32_sdwa v7, v56, v48 dst_sel:DWORD dst_unused:UNUSED_PAD src0_sel:DWORD src1_sel:WORD_1
	v_lshlrev_b32_e32 v1, 2, v1
	v_add_nc_u32_e32 v4, 6, v4
	v_cndmask_b32_e32 v3, v3, v5, vcc_lo
	v_sub_nc_u32_e32 v5, v45, v2
	v_cmp_eq_u32_e32 vcc_lo, 1, v7
	v_sub_nc_u32_e32 v7, v13, v17
	v_lshlrev_b32_e32 v3, 2, v3
	v_add_nc_u32_e32 v5, 7, v5
	v_cndmask_b32_e32 v4, v4, v6, vcc_lo
	v_cmp_eq_u32_e32 vcc_lo, 1, v8
	v_sub_nc_u32_e32 v6, v9, v17
	ds_write_b32 v1, v24
	ds_write_b32 v3, v25
	v_lshlrev_b32_e32 v3, 2, v4
	v_cndmask_b32_e32 v2, v5, v2, vcc_lo
	v_sub_nc_u32_e32 v1, v45, v6
	v_and_b32_e32 v5, 1, v47
	v_sub_nc_u32_e32 v4, v10, v17
	v_and_b32_e32 v10, 1, v49
	v_lshlrev_b32_e32 v2, 2, v2
	v_add_nc_u32_e32 v1, 8, v1
	ds_write_b32 v3, v22
	ds_write_b32 v2, v23
	v_cmp_eq_u32_e32 vcc_lo, 1, v5
	v_sub_nc_u32_e32 v3, v11, v17
	v_sub_nc_u32_e32 v2, v45, v4
	;; [unrolled: 1-line block ×3, first 2 shown]
	v_and_b32_e32 v11, 1, v46
	v_cndmask_b32_e32 v1, v1, v6, vcc_lo
	v_and_b32_e32 v6, 1, v14
	v_sub_nc_u32_e32 v8, v45, v3
	v_add_nc_u32_e32 v2, 9, v2
	v_sub_nc_u32_e32 v9, v45, v5
	v_lshlrev_b32_e32 v1, 2, v1
	v_cmp_eq_u32_e32 vcc_lo, 1, v6
	v_add_nc_u32_e32 v6, 10, v8
	v_and_b32_sdwa v8, v56, v47 dst_sel:DWORD dst_unused:UNUSED_PAD src0_sel:DWORD src1_sel:WORD_1
	v_add_nc_u32_e32 v9, 11, v9
	v_add_co_ci_u32_e64 v17, null, s21, 0, s0
	v_cndmask_b32_e32 v2, v2, v4, vcc_lo
	v_cmp_eq_u32_e32 vcc_lo, 1, v8
	v_sub_nc_u32_e32 v4, v45, v7
	v_lshlrev_b32_e32 v2, 2, v2
	v_cndmask_b32_e32 v3, v6, v3, vcc_lo
	v_cmp_eq_u32_e32 vcc_lo, 1, v10
	v_add_nc_u32_e32 v4, 12, v4
	v_lshlrev_b32_e32 v3, 2, v3
	v_cndmask_b32_e32 v5, v9, v5, vcc_lo
	v_cmp_eq_u32_e32 vcc_lo, 1, v11
	v_lshlrev_b32_e32 v5, 2, v5
	v_cndmask_b32_e32 v4, v4, v7, vcc_lo
	v_cmp_ne_u32_e32 vcc_lo, 1, v43
	v_lshlrev_b32_e32 v4, 2, v4
	ds_write_b32 v1, v20
	ds_write_b32 v2, v21
	;; [unrolled: 1-line block ×5, first 2 shown]
	s_waitcnt lgkmcnt(0)
	s_barrier
	buffer_gl0_inv
	ds_read2st64_b32 v[11:12], v42 offset1:4
	ds_read2st64_b32 v[9:10], v42 offset0:8 offset1:12
	ds_read2st64_b32 v[7:8], v42 offset0:16 offset1:20
	;; [unrolled: 1-line block ×5, first 2 shown]
	ds_read_b32 v18, v42 offset:12288
	s_cbranch_vccnz .LBB2014_125
; %bb.72:
	s_sub_u32 s0, s18, s26
	v_sub_co_u32 v13, vcc_lo, v15, s16
	s_subb_u32 s1, s19, 0
	v_add_co_u32 v19, s0, s0, v16
	v_subrev_co_ci_u32_e64 v14, null, s17, v17, vcc_lo
	v_add_co_ci_u32_e64 v20, null, s1, 0, s0
	v_add_co_u32 v19, vcc_lo, v19, v13
	s_mov_b32 s0, exec_lo
	v_add_co_ci_u32_e64 v20, null, v20, v14, vcc_lo
                                        ; implicit-def: $vgpr13_vgpr14
	v_cmpx_ge_u32_e64 v0, v16
	s_xor_b32 s0, exec_lo, s0
; %bb.73:
	v_not_b32_e32 v13, v0
	v_ashrrev_i32_e32 v14, 31, v13
	v_add_co_u32 v13, vcc_lo, v19, v13
	v_add_co_ci_u32_e64 v14, null, v20, v14, vcc_lo
; %bb.74:
	s_andn2_saveexec_b32 s0, s0
; %bb.75:
	v_add_co_u32 v13, vcc_lo, v15, v0
	v_add_co_ci_u32_e64 v14, null, 0, v17, vcc_lo
; %bb.76:
	s_or_b32 exec_lo, exec_lo, s0
	v_lshlrev_b64 v[13:14], 2, v[13:14]
	s_mov_b32 s0, exec_lo
	v_add_co_u32 v13, vcc_lo, s14, v13
	v_add_co_ci_u32_e64 v14, null, s15, v14, vcc_lo
	s_waitcnt lgkmcnt(6)
	global_store_dword v[13:14], v11, off
                                        ; implicit-def: $vgpr13_vgpr14
	v_cmpx_ge_u32_e64 v41, v16
	s_xor_b32 s0, exec_lo, s0
; %bb.77:
	v_xor_b32_e32 v13, 0xfffffeff, v0
	v_ashrrev_i32_e32 v14, 31, v13
	v_add_co_u32 v13, vcc_lo, v19, v13
	v_add_co_ci_u32_e64 v14, null, v20, v14, vcc_lo
; %bb.78:
	s_andn2_saveexec_b32 s0, s0
; %bb.79:
	v_add_co_u32 v13, vcc_lo, v15, v41
	v_add_co_ci_u32_e64 v14, null, 0, v17, vcc_lo
; %bb.80:
	s_or_b32 exec_lo, exec_lo, s0
	v_lshlrev_b64 v[13:14], 2, v[13:14]
	s_mov_b32 s0, exec_lo
	v_add_co_u32 v13, vcc_lo, s14, v13
	v_add_co_ci_u32_e64 v14, null, s15, v14, vcc_lo
	global_store_dword v[13:14], v12, off
                                        ; implicit-def: $vgpr13_vgpr14
	v_cmpx_ge_u32_e64 v40, v16
	s_xor_b32 s0, exec_lo, s0
; %bb.81:
	v_xor_b32_e32 v13, 0xfffffdff, v0
	v_ashrrev_i32_e32 v14, 31, v13
	v_add_co_u32 v13, vcc_lo, v19, v13
	v_add_co_ci_u32_e64 v14, null, v20, v14, vcc_lo
; %bb.82:
	s_andn2_saveexec_b32 s0, s0
; %bb.83:
	v_add_co_u32 v13, vcc_lo, v15, v40
	v_add_co_ci_u32_e64 v14, null, 0, v17, vcc_lo
; %bb.84:
	s_or_b32 exec_lo, exec_lo, s0
	v_lshlrev_b64 v[13:14], 2, v[13:14]
	s_mov_b32 s0, exec_lo
	v_add_co_u32 v13, vcc_lo, s14, v13
	v_add_co_ci_u32_e64 v14, null, s15, v14, vcc_lo
	s_waitcnt lgkmcnt(5)
	global_store_dword v[13:14], v9, off
                                        ; implicit-def: $vgpr13_vgpr14
	v_cmpx_ge_u32_e64 v39, v16
	s_xor_b32 s0, exec_lo, s0
; %bb.85:
	v_xor_b32_e32 v13, 0xfffffcff, v0
	v_ashrrev_i32_e32 v14, 31, v13
	v_add_co_u32 v13, vcc_lo, v19, v13
	v_add_co_ci_u32_e64 v14, null, v20, v14, vcc_lo
; %bb.86:
	s_andn2_saveexec_b32 s0, s0
; %bb.87:
	v_add_co_u32 v13, vcc_lo, v15, v39
	v_add_co_ci_u32_e64 v14, null, 0, v17, vcc_lo
; %bb.88:
	s_or_b32 exec_lo, exec_lo, s0
	v_lshlrev_b64 v[13:14], 2, v[13:14]
	s_mov_b32 s0, exec_lo
	v_add_co_u32 v13, vcc_lo, s14, v13
	v_add_co_ci_u32_e64 v14, null, s15, v14, vcc_lo
	global_store_dword v[13:14], v10, off
                                        ; implicit-def: $vgpr13_vgpr14
	v_cmpx_ge_u32_e64 v38, v16
	s_xor_b32 s0, exec_lo, s0
; %bb.89:
	v_xor_b32_e32 v13, 0xfffffbff, v0
	;; [unrolled: 41-line block ×6, first 2 shown]
	v_ashrrev_i32_e32 v14, 31, v13
	v_add_co_u32 v13, vcc_lo, v19, v13
	v_add_co_ci_u32_e64 v14, null, v20, v14, vcc_lo
; %bb.122:
	s_andn2_saveexec_b32 s0, s0
; %bb.123:
	v_add_co_u32 v13, vcc_lo, v15, v30
	v_add_co_ci_u32_e64 v14, null, 0, v17, vcc_lo
; %bb.124:
	s_or_b32 exec_lo, exec_lo, s0
	s_mov_b32 s0, -1
	s_branch .LBB2014_205
.LBB2014_125:
	s_mov_b32 s0, 0
                                        ; implicit-def: $vgpr13_vgpr14
	s_cbranch_execz .LBB2014_205
; %bb.126:
	s_add_u32 s1, s16, s26
	s_addc_u32 s2, s17, 0
	s_sub_u32 s1, s18, s1
	s_subb_u32 s2, s19, s2
	v_add_co_u32 v13, s1, s1, v16
	v_add_co_ci_u32_e64 v14, null, s2, 0, s1
	s_mov_b32 s1, exec_lo
	v_add_co_u32 v19, vcc_lo, v13, v15
	v_add_co_ci_u32_e64 v20, null, v14, v17, vcc_lo
	v_cmpx_gt_u32_e64 s25, v0
	s_cbranch_execz .LBB2014_162
; %bb.127:
	s_mov_b32 s2, exec_lo
                                        ; implicit-def: $vgpr13_vgpr14
	v_cmpx_ge_u32_e64 v0, v16
	s_xor_b32 s2, exec_lo, s2
; %bb.128:
	v_not_b32_e32 v13, v0
	v_ashrrev_i32_e32 v14, 31, v13
	v_add_co_u32 v13, vcc_lo, v19, v13
	v_add_co_ci_u32_e64 v14, null, v20, v14, vcc_lo
; %bb.129:
	s_andn2_saveexec_b32 s2, s2
; %bb.130:
	v_add_co_u32 v13, vcc_lo, v15, v0
	v_add_co_ci_u32_e64 v14, null, 0, v17, vcc_lo
; %bb.131:
	s_or_b32 exec_lo, exec_lo, s2
	v_lshlrev_b64 v[13:14], 2, v[13:14]
	v_add_co_u32 v13, vcc_lo, s14, v13
	v_add_co_ci_u32_e64 v14, null, s15, v14, vcc_lo
	s_waitcnt lgkmcnt(6)
	global_store_dword v[13:14], v11, off
	s_or_b32 exec_lo, exec_lo, s1
	s_mov_b32 s1, exec_lo
	v_cmpx_gt_u32_e64 s25, v41
	s_cbranch_execnz .LBB2014_163
.LBB2014_132:
	s_or_b32 exec_lo, exec_lo, s1
	s_mov_b32 s1, exec_lo
	v_cmpx_gt_u32_e64 s25, v40
	s_cbranch_execz .LBB2014_168
.LBB2014_133:
	s_mov_b32 s2, exec_lo
                                        ; implicit-def: $vgpr11_vgpr12
	v_cmpx_ge_u32_e64 v40, v16
	s_xor_b32 s2, exec_lo, s2
	s_cbranch_execz .LBB2014_135
; %bb.134:
	s_waitcnt lgkmcnt(6)
	v_xor_b32_e32 v11, 0xfffffdff, v0
                                        ; implicit-def: $vgpr40
	v_ashrrev_i32_e32 v12, 31, v11
	v_add_co_u32 v11, vcc_lo, v19, v11
	v_add_co_ci_u32_e64 v12, null, v20, v12, vcc_lo
.LBB2014_135:
	s_andn2_saveexec_b32 s2, s2
	s_cbranch_execz .LBB2014_137
; %bb.136:
	s_waitcnt lgkmcnt(6)
	v_add_co_u32 v11, vcc_lo, v15, v40
	v_add_co_ci_u32_e64 v12, null, 0, v17, vcc_lo
.LBB2014_137:
	s_or_b32 exec_lo, exec_lo, s2
	s_waitcnt lgkmcnt(6)
	v_lshlrev_b64 v[11:12], 2, v[11:12]
	v_add_co_u32 v11, vcc_lo, s14, v11
	v_add_co_ci_u32_e64 v12, null, s15, v12, vcc_lo
	s_waitcnt lgkmcnt(5)
	global_store_dword v[11:12], v9, off
	s_or_b32 exec_lo, exec_lo, s1
	s_mov_b32 s1, exec_lo
	v_cmpx_gt_u32_e64 s25, v39
	s_cbranch_execnz .LBB2014_169
.LBB2014_138:
	s_or_b32 exec_lo, exec_lo, s1
	s_mov_b32 s1, exec_lo
	v_cmpx_gt_u32_e64 s25, v38
	s_cbranch_execz .LBB2014_174
.LBB2014_139:
	s_mov_b32 s2, exec_lo
                                        ; implicit-def: $vgpr9_vgpr10
	v_cmpx_ge_u32_e64 v38, v16
	s_xor_b32 s2, exec_lo, s2
	s_cbranch_execz .LBB2014_141
; %bb.140:
	s_waitcnt lgkmcnt(5)
	v_xor_b32_e32 v9, 0xfffffbff, v0
                                        ; implicit-def: $vgpr38
	v_ashrrev_i32_e32 v10, 31, v9
	v_add_co_u32 v9, vcc_lo, v19, v9
	v_add_co_ci_u32_e64 v10, null, v20, v10, vcc_lo
.LBB2014_141:
	s_andn2_saveexec_b32 s2, s2
	s_cbranch_execz .LBB2014_143
; %bb.142:
	s_waitcnt lgkmcnt(5)
	v_add_co_u32 v9, vcc_lo, v15, v38
	v_add_co_ci_u32_e64 v10, null, 0, v17, vcc_lo
.LBB2014_143:
	s_or_b32 exec_lo, exec_lo, s2
	s_waitcnt lgkmcnt(5)
	v_lshlrev_b64 v[9:10], 2, v[9:10]
	v_add_co_u32 v9, vcc_lo, s14, v9
	v_add_co_ci_u32_e64 v10, null, s15, v10, vcc_lo
	s_waitcnt lgkmcnt(4)
	global_store_dword v[9:10], v7, off
	s_or_b32 exec_lo, exec_lo, s1
	s_mov_b32 s1, exec_lo
	v_cmpx_gt_u32_e64 s25, v37
	s_cbranch_execnz .LBB2014_175
.LBB2014_144:
	s_or_b32 exec_lo, exec_lo, s1
	s_mov_b32 s1, exec_lo
	v_cmpx_gt_u32_e64 s25, v36
	s_cbranch_execz .LBB2014_180
.LBB2014_145:
	s_mov_b32 s2, exec_lo
                                        ; implicit-def: $vgpr7_vgpr8
	v_cmpx_ge_u32_e64 v36, v16
	s_xor_b32 s2, exec_lo, s2
	s_cbranch_execz .LBB2014_147
; %bb.146:
	s_waitcnt lgkmcnt(4)
	v_xor_b32_e32 v7, 0xfffff9ff, v0
                                        ; implicit-def: $vgpr36
	v_ashrrev_i32_e32 v8, 31, v7
	v_add_co_u32 v7, vcc_lo, v19, v7
	v_add_co_ci_u32_e64 v8, null, v20, v8, vcc_lo
.LBB2014_147:
	s_andn2_saveexec_b32 s2, s2
	s_cbranch_execz .LBB2014_149
; %bb.148:
	s_waitcnt lgkmcnt(4)
	v_add_co_u32 v7, vcc_lo, v15, v36
	v_add_co_ci_u32_e64 v8, null, 0, v17, vcc_lo
.LBB2014_149:
	s_or_b32 exec_lo, exec_lo, s2
	s_waitcnt lgkmcnt(4)
	v_lshlrev_b64 v[7:8], 2, v[7:8]
	v_add_co_u32 v7, vcc_lo, s14, v7
	v_add_co_ci_u32_e64 v8, null, s15, v8, vcc_lo
	s_waitcnt lgkmcnt(3)
	global_store_dword v[7:8], v5, off
	s_or_b32 exec_lo, exec_lo, s1
	s_mov_b32 s1, exec_lo
	v_cmpx_gt_u32_e64 s25, v35
	s_cbranch_execnz .LBB2014_181
.LBB2014_150:
	s_or_b32 exec_lo, exec_lo, s1
	s_mov_b32 s1, exec_lo
	v_cmpx_gt_u32_e64 s25, v34
	s_cbranch_execz .LBB2014_186
.LBB2014_151:
	s_mov_b32 s2, exec_lo
                                        ; implicit-def: $vgpr5_vgpr6
	v_cmpx_ge_u32_e64 v34, v16
	s_xor_b32 s2, exec_lo, s2
	s_cbranch_execz .LBB2014_153
; %bb.152:
	s_waitcnt lgkmcnt(3)
	v_xor_b32_e32 v5, 0xfffff7ff, v0
                                        ; implicit-def: $vgpr34
	v_ashrrev_i32_e32 v6, 31, v5
	v_add_co_u32 v5, vcc_lo, v19, v5
	v_add_co_ci_u32_e64 v6, null, v20, v6, vcc_lo
.LBB2014_153:
	s_andn2_saveexec_b32 s2, s2
	s_cbranch_execz .LBB2014_155
; %bb.154:
	s_waitcnt lgkmcnt(3)
	v_add_co_u32 v5, vcc_lo, v15, v34
	v_add_co_ci_u32_e64 v6, null, 0, v17, vcc_lo
.LBB2014_155:
	s_or_b32 exec_lo, exec_lo, s2
	s_waitcnt lgkmcnt(3)
	v_lshlrev_b64 v[5:6], 2, v[5:6]
	v_add_co_u32 v5, vcc_lo, s14, v5
	v_add_co_ci_u32_e64 v6, null, s15, v6, vcc_lo
	s_waitcnt lgkmcnt(2)
	global_store_dword v[5:6], v3, off
	s_or_b32 exec_lo, exec_lo, s1
	s_mov_b32 s1, exec_lo
	v_cmpx_gt_u32_e64 s25, v33
	s_cbranch_execnz .LBB2014_187
.LBB2014_156:
	s_or_b32 exec_lo, exec_lo, s1
	s_mov_b32 s1, exec_lo
	v_cmpx_gt_u32_e64 s25, v32
	s_cbranch_execz .LBB2014_192
.LBB2014_157:
	s_mov_b32 s2, exec_lo
                                        ; implicit-def: $vgpr3_vgpr4
	v_cmpx_ge_u32_e64 v32, v16
	s_xor_b32 s2, exec_lo, s2
	s_cbranch_execz .LBB2014_159
; %bb.158:
	s_waitcnt lgkmcnt(2)
	v_xor_b32_e32 v3, 0xfffff5ff, v0
                                        ; implicit-def: $vgpr32
	v_ashrrev_i32_e32 v4, 31, v3
	v_add_co_u32 v3, vcc_lo, v19, v3
	v_add_co_ci_u32_e64 v4, null, v20, v4, vcc_lo
.LBB2014_159:
	s_andn2_saveexec_b32 s2, s2
	s_cbranch_execz .LBB2014_161
; %bb.160:
	s_waitcnt lgkmcnt(2)
	v_add_co_u32 v3, vcc_lo, v15, v32
	v_add_co_ci_u32_e64 v4, null, 0, v17, vcc_lo
.LBB2014_161:
	s_or_b32 exec_lo, exec_lo, s2
	s_waitcnt lgkmcnt(2)
	v_lshlrev_b64 v[3:4], 2, v[3:4]
	v_add_co_u32 v3, vcc_lo, s14, v3
	v_add_co_ci_u32_e64 v4, null, s15, v4, vcc_lo
	s_waitcnt lgkmcnt(1)
	global_store_dword v[3:4], v1, off
	s_or_b32 exec_lo, exec_lo, s1
	s_mov_b32 s1, exec_lo
	v_cmpx_gt_u32_e64 s25, v31
	s_cbranch_execz .LBB2014_198
	s_branch .LBB2014_193
.LBB2014_162:
	s_or_b32 exec_lo, exec_lo, s1
	s_mov_b32 s1, exec_lo
	v_cmpx_gt_u32_e64 s25, v41
	s_cbranch_execz .LBB2014_132
.LBB2014_163:
	s_mov_b32 s2, exec_lo
                                        ; implicit-def: $vgpr13_vgpr14
	v_cmpx_ge_u32_e64 v41, v16
	s_xor_b32 s2, exec_lo, s2
	s_cbranch_execz .LBB2014_165
; %bb.164:
	s_waitcnt lgkmcnt(6)
	v_xor_b32_e32 v11, 0xfffffeff, v0
                                        ; implicit-def: $vgpr41
	v_ashrrev_i32_e32 v14, 31, v11
	v_add_co_u32 v13, vcc_lo, v19, v11
	v_add_co_ci_u32_e64 v14, null, v20, v14, vcc_lo
.LBB2014_165:
	s_andn2_saveexec_b32 s2, s2
; %bb.166:
	v_add_co_u32 v13, vcc_lo, v15, v41
	v_add_co_ci_u32_e64 v14, null, 0, v17, vcc_lo
; %bb.167:
	s_or_b32 exec_lo, exec_lo, s2
	v_lshlrev_b64 v[13:14], 2, v[13:14]
	v_add_co_u32 v13, vcc_lo, s14, v13
	v_add_co_ci_u32_e64 v14, null, s15, v14, vcc_lo
	s_waitcnt lgkmcnt(6)
	global_store_dword v[13:14], v12, off
	s_or_b32 exec_lo, exec_lo, s1
	s_mov_b32 s1, exec_lo
	v_cmpx_gt_u32_e64 s25, v40
	s_cbranch_execnz .LBB2014_133
.LBB2014_168:
	s_or_b32 exec_lo, exec_lo, s1
	s_mov_b32 s1, exec_lo
	v_cmpx_gt_u32_e64 s25, v39
	s_cbranch_execz .LBB2014_138
.LBB2014_169:
	s_mov_b32 s2, exec_lo
                                        ; implicit-def: $vgpr11_vgpr12
	v_cmpx_ge_u32_e64 v39, v16
	s_xor_b32 s2, exec_lo, s2
	s_cbranch_execz .LBB2014_171
; %bb.170:
	s_waitcnt lgkmcnt(5)
	v_xor_b32_e32 v9, 0xfffffcff, v0
                                        ; implicit-def: $vgpr39
	v_ashrrev_i32_e32 v12, 31, v9
	v_add_co_u32 v11, vcc_lo, v19, v9
	v_add_co_ci_u32_e64 v12, null, v20, v12, vcc_lo
.LBB2014_171:
	s_andn2_saveexec_b32 s2, s2
	s_cbranch_execz .LBB2014_173
; %bb.172:
	s_waitcnt lgkmcnt(6)
	v_add_co_u32 v11, vcc_lo, v15, v39
	v_add_co_ci_u32_e64 v12, null, 0, v17, vcc_lo
.LBB2014_173:
	s_or_b32 exec_lo, exec_lo, s2
	s_waitcnt lgkmcnt(6)
	v_lshlrev_b64 v[11:12], 2, v[11:12]
	v_add_co_u32 v11, vcc_lo, s14, v11
	v_add_co_ci_u32_e64 v12, null, s15, v12, vcc_lo
	s_waitcnt lgkmcnt(5)
	global_store_dword v[11:12], v10, off
	s_or_b32 exec_lo, exec_lo, s1
	s_mov_b32 s1, exec_lo
	v_cmpx_gt_u32_e64 s25, v38
	s_cbranch_execnz .LBB2014_139
.LBB2014_174:
	s_or_b32 exec_lo, exec_lo, s1
	s_mov_b32 s1, exec_lo
	v_cmpx_gt_u32_e64 s25, v37
	s_cbranch_execz .LBB2014_144
.LBB2014_175:
	s_mov_b32 s2, exec_lo
                                        ; implicit-def: $vgpr9_vgpr10
	v_cmpx_ge_u32_e64 v37, v16
	s_xor_b32 s2, exec_lo, s2
	s_cbranch_execz .LBB2014_177
; %bb.176:
	s_waitcnt lgkmcnt(4)
	v_xor_b32_e32 v7, 0xfffffaff, v0
                                        ; implicit-def: $vgpr37
	v_ashrrev_i32_e32 v10, 31, v7
	v_add_co_u32 v9, vcc_lo, v19, v7
	v_add_co_ci_u32_e64 v10, null, v20, v10, vcc_lo
.LBB2014_177:
	s_andn2_saveexec_b32 s2, s2
	s_cbranch_execz .LBB2014_179
; %bb.178:
	s_waitcnt lgkmcnt(5)
	v_add_co_u32 v9, vcc_lo, v15, v37
	v_add_co_ci_u32_e64 v10, null, 0, v17, vcc_lo
.LBB2014_179:
	s_or_b32 exec_lo, exec_lo, s2
	s_waitcnt lgkmcnt(5)
	v_lshlrev_b64 v[9:10], 2, v[9:10]
	v_add_co_u32 v9, vcc_lo, s14, v9
	v_add_co_ci_u32_e64 v10, null, s15, v10, vcc_lo
	s_waitcnt lgkmcnt(4)
	global_store_dword v[9:10], v8, off
	s_or_b32 exec_lo, exec_lo, s1
	s_mov_b32 s1, exec_lo
	v_cmpx_gt_u32_e64 s25, v36
	s_cbranch_execnz .LBB2014_145
.LBB2014_180:
	s_or_b32 exec_lo, exec_lo, s1
	s_mov_b32 s1, exec_lo
	v_cmpx_gt_u32_e64 s25, v35
	s_cbranch_execz .LBB2014_150
.LBB2014_181:
	s_mov_b32 s2, exec_lo
                                        ; implicit-def: $vgpr7_vgpr8
	v_cmpx_ge_u32_e64 v35, v16
	s_xor_b32 s2, exec_lo, s2
	s_cbranch_execz .LBB2014_183
; %bb.182:
	s_waitcnt lgkmcnt(3)
	v_xor_b32_e32 v5, 0xfffff8ff, v0
                                        ; implicit-def: $vgpr35
	v_ashrrev_i32_e32 v8, 31, v5
	v_add_co_u32 v7, vcc_lo, v19, v5
	v_add_co_ci_u32_e64 v8, null, v20, v8, vcc_lo
.LBB2014_183:
	s_andn2_saveexec_b32 s2, s2
	s_cbranch_execz .LBB2014_185
; %bb.184:
	s_waitcnt lgkmcnt(4)
	v_add_co_u32 v7, vcc_lo, v15, v35
	v_add_co_ci_u32_e64 v8, null, 0, v17, vcc_lo
.LBB2014_185:
	s_or_b32 exec_lo, exec_lo, s2
	s_waitcnt lgkmcnt(4)
	v_lshlrev_b64 v[7:8], 2, v[7:8]
	v_add_co_u32 v7, vcc_lo, s14, v7
	v_add_co_ci_u32_e64 v8, null, s15, v8, vcc_lo
	s_waitcnt lgkmcnt(3)
	global_store_dword v[7:8], v6, off
	s_or_b32 exec_lo, exec_lo, s1
	s_mov_b32 s1, exec_lo
	v_cmpx_gt_u32_e64 s25, v34
	s_cbranch_execnz .LBB2014_151
.LBB2014_186:
	s_or_b32 exec_lo, exec_lo, s1
	s_mov_b32 s1, exec_lo
	v_cmpx_gt_u32_e64 s25, v33
	s_cbranch_execz .LBB2014_156
.LBB2014_187:
	s_mov_b32 s2, exec_lo
                                        ; implicit-def: $vgpr5_vgpr6
	v_cmpx_ge_u32_e64 v33, v16
	s_xor_b32 s2, exec_lo, s2
	s_cbranch_execz .LBB2014_189
; %bb.188:
	s_waitcnt lgkmcnt(2)
	v_xor_b32_e32 v3, 0xfffff6ff, v0
                                        ; implicit-def: $vgpr33
	v_ashrrev_i32_e32 v6, 31, v3
	v_add_co_u32 v5, vcc_lo, v19, v3
	v_add_co_ci_u32_e64 v6, null, v20, v6, vcc_lo
.LBB2014_189:
	s_andn2_saveexec_b32 s2, s2
	s_cbranch_execz .LBB2014_191
; %bb.190:
	s_waitcnt lgkmcnt(3)
	v_add_co_u32 v5, vcc_lo, v15, v33
	v_add_co_ci_u32_e64 v6, null, 0, v17, vcc_lo
.LBB2014_191:
	s_or_b32 exec_lo, exec_lo, s2
	s_waitcnt lgkmcnt(3)
	v_lshlrev_b64 v[5:6], 2, v[5:6]
	v_add_co_u32 v5, vcc_lo, s14, v5
	v_add_co_ci_u32_e64 v6, null, s15, v6, vcc_lo
	s_waitcnt lgkmcnt(2)
	global_store_dword v[5:6], v4, off
	s_or_b32 exec_lo, exec_lo, s1
	s_mov_b32 s1, exec_lo
	v_cmpx_gt_u32_e64 s25, v32
	s_cbranch_execnz .LBB2014_157
.LBB2014_192:
	s_or_b32 exec_lo, exec_lo, s1
	s_mov_b32 s1, exec_lo
	v_cmpx_gt_u32_e64 s25, v31
	s_cbranch_execz .LBB2014_198
.LBB2014_193:
	s_mov_b32 s2, exec_lo
                                        ; implicit-def: $vgpr3_vgpr4
	v_cmpx_ge_u32_e64 v31, v16
	s_xor_b32 s2, exec_lo, s2
	s_cbranch_execz .LBB2014_195
; %bb.194:
	s_waitcnt lgkmcnt(1)
	v_xor_b32_e32 v1, 0xfffff4ff, v0
                                        ; implicit-def: $vgpr31
	v_ashrrev_i32_e32 v4, 31, v1
	v_add_co_u32 v3, vcc_lo, v19, v1
	v_add_co_ci_u32_e64 v4, null, v20, v4, vcc_lo
.LBB2014_195:
	s_andn2_saveexec_b32 s2, s2
	s_cbranch_execz .LBB2014_197
; %bb.196:
	s_waitcnt lgkmcnt(2)
	v_add_co_u32 v3, vcc_lo, v15, v31
	v_add_co_ci_u32_e64 v4, null, 0, v17, vcc_lo
.LBB2014_197:
	s_or_b32 exec_lo, exec_lo, s2
	s_waitcnt lgkmcnt(2)
	v_lshlrev_b64 v[3:4], 2, v[3:4]
	v_add_co_u32 v3, vcc_lo, s14, v3
	v_add_co_ci_u32_e64 v4, null, s15, v4, vcc_lo
	s_waitcnt lgkmcnt(1)
	global_store_dword v[3:4], v2, off
.LBB2014_198:
	s_or_b32 exec_lo, exec_lo, s1
	s_mov_b32 s1, exec_lo
                                        ; implicit-def: $vgpr13_vgpr14
	v_cmpx_gt_u32_e64 s25, v30
	s_cbranch_execz .LBB2014_204
; %bb.199:
	s_mov_b32 s2, exec_lo
                                        ; implicit-def: $vgpr13_vgpr14
	v_cmpx_ge_u32_e64 v30, v16
	s_xor_b32 s2, exec_lo, s2
	s_cbranch_execz .LBB2014_201
; %bb.200:
	s_waitcnt lgkmcnt(1)
	v_xor_b32_e32 v1, 0xfffff3ff, v0
                                        ; implicit-def: $vgpr30
	v_ashrrev_i32_e32 v2, 31, v1
	v_add_co_u32 v13, vcc_lo, v19, v1
	v_add_co_ci_u32_e64 v14, null, v20, v2, vcc_lo
.LBB2014_201:
	s_andn2_saveexec_b32 s2, s2
; %bb.202:
	v_add_co_u32 v13, vcc_lo, v15, v30
	v_add_co_ci_u32_e64 v14, null, 0, v17, vcc_lo
; %bb.203:
	s_or_b32 exec_lo, exec_lo, s2
	s_or_b32 s0, s0, exec_lo
.LBB2014_204:
	s_or_b32 exec_lo, exec_lo, s1
.LBB2014_205:
	s_and_saveexec_b32 s1, s0
	s_cbranch_execz .LBB2014_207
; %bb.206:
	s_waitcnt lgkmcnt(1)
	v_lshlrev_b64 v[1:2], 2, v[13:14]
	v_add_co_u32 v1, vcc_lo, s14, v1
	v_add_co_ci_u32_e64 v2, null, s15, v2, vcc_lo
	s_waitcnt lgkmcnt(0)
	global_store_dword v[1:2], v18, off
.LBB2014_207:
	s_or_b32 exec_lo, exec_lo, s1
	v_cmp_eq_u32_e32 vcc_lo, 0, v0
	s_and_b32 s0, vcc_lo, s24
	s_and_saveexec_b32 s1, s0
	s_cbranch_execz .LBB2014_209
; %bb.208:
	v_add_co_u32 v0, vcc_lo, v15, v16
	s_waitcnt lgkmcnt(1)
	v_mov_b32_e32 v2, 0
	v_add_co_ci_u32_e64 v1, null, 0, v17, vcc_lo
	global_store_dwordx2 v2, v[0:1], s[12:13]
.LBB2014_209:
	s_endpgm
	.section	.rodata,"a",@progbits
	.p2align	6, 0x0
	.amdhsa_kernel _ZN7rocprim17ROCPRIM_400000_NS6detail17trampoline_kernelINS0_13select_configILj256ELj13ELNS0_17block_load_methodE3ELS4_3ELS4_3ELNS0_20block_scan_algorithmE0ELj4294967295EEENS1_25partition_config_selectorILNS1_17partition_subalgoE3EjNS0_10empty_typeEbEEZZNS1_14partition_implILS8_3ELb0ES6_jNS0_17counting_iteratorIjlEEPS9_SE_NS0_5tupleIJPjSE_EEENSF_IJSE_SE_EEES9_SG_JZNS1_25segmented_radix_sort_implINS0_14default_configELb0EPK12hip_bfloat16PSL_PKlPlN2at6native12_GLOBAL__N_18offset_tEEE10hipError_tPvRmT1_PNSt15iterator_traitsISZ_E10value_typeET2_T3_PNS10_IS15_E10value_typeET4_jRbjT5_S1B_jjP12ihipStream_tbEUljE_EEESW_SX_SY_S15_S19_S1B_T6_T7_T9_mT8_S1D_bDpT10_ENKUlT_T0_E_clISt17integral_constantIbLb0EES1Q_EEDaS1L_S1M_EUlS1L_E_NS1_11comp_targetILNS1_3genE8ELNS1_11target_archE1030ELNS1_3gpuE2ELNS1_3repE0EEENS1_30default_config_static_selectorELNS0_4arch9wavefront6targetE0EEEvSZ_
		.amdhsa_group_segment_fixed_size 13320
		.amdhsa_private_segment_fixed_size 0
		.amdhsa_kernarg_size 144
		.amdhsa_user_sgpr_count 6
		.amdhsa_user_sgpr_private_segment_buffer 1
		.amdhsa_user_sgpr_dispatch_ptr 0
		.amdhsa_user_sgpr_queue_ptr 0
		.amdhsa_user_sgpr_kernarg_segment_ptr 1
		.amdhsa_user_sgpr_dispatch_id 0
		.amdhsa_user_sgpr_flat_scratch_init 0
		.amdhsa_user_sgpr_private_segment_size 0
		.amdhsa_wavefront_size32 1
		.amdhsa_uses_dynamic_stack 0
		.amdhsa_system_sgpr_private_segment_wavefront_offset 0
		.amdhsa_system_sgpr_workgroup_id_x 1
		.amdhsa_system_sgpr_workgroup_id_y 0
		.amdhsa_system_sgpr_workgroup_id_z 0
		.amdhsa_system_sgpr_workgroup_info 0
		.amdhsa_system_vgpr_workitem_id 0
		.amdhsa_next_free_vgpr 69
		.amdhsa_next_free_sgpr 27
		.amdhsa_reserve_vcc 1
		.amdhsa_reserve_flat_scratch 0
		.amdhsa_float_round_mode_32 0
		.amdhsa_float_round_mode_16_64 0
		.amdhsa_float_denorm_mode_32 3
		.amdhsa_float_denorm_mode_16_64 3
		.amdhsa_dx10_clamp 1
		.amdhsa_ieee_mode 1
		.amdhsa_fp16_overflow 0
		.amdhsa_workgroup_processor_mode 1
		.amdhsa_memory_ordered 1
		.amdhsa_forward_progress 1
		.amdhsa_shared_vgpr_count 0
		.amdhsa_exception_fp_ieee_invalid_op 0
		.amdhsa_exception_fp_denorm_src 0
		.amdhsa_exception_fp_ieee_div_zero 0
		.amdhsa_exception_fp_ieee_overflow 0
		.amdhsa_exception_fp_ieee_underflow 0
		.amdhsa_exception_fp_ieee_inexact 0
		.amdhsa_exception_int_div_zero 0
	.end_amdhsa_kernel
	.section	.text._ZN7rocprim17ROCPRIM_400000_NS6detail17trampoline_kernelINS0_13select_configILj256ELj13ELNS0_17block_load_methodE3ELS4_3ELS4_3ELNS0_20block_scan_algorithmE0ELj4294967295EEENS1_25partition_config_selectorILNS1_17partition_subalgoE3EjNS0_10empty_typeEbEEZZNS1_14partition_implILS8_3ELb0ES6_jNS0_17counting_iteratorIjlEEPS9_SE_NS0_5tupleIJPjSE_EEENSF_IJSE_SE_EEES9_SG_JZNS1_25segmented_radix_sort_implINS0_14default_configELb0EPK12hip_bfloat16PSL_PKlPlN2at6native12_GLOBAL__N_18offset_tEEE10hipError_tPvRmT1_PNSt15iterator_traitsISZ_E10value_typeET2_T3_PNS10_IS15_E10value_typeET4_jRbjT5_S1B_jjP12ihipStream_tbEUljE_EEESW_SX_SY_S15_S19_S1B_T6_T7_T9_mT8_S1D_bDpT10_ENKUlT_T0_E_clISt17integral_constantIbLb0EES1Q_EEDaS1L_S1M_EUlS1L_E_NS1_11comp_targetILNS1_3genE8ELNS1_11target_archE1030ELNS1_3gpuE2ELNS1_3repE0EEENS1_30default_config_static_selectorELNS0_4arch9wavefront6targetE0EEEvSZ_,"axG",@progbits,_ZN7rocprim17ROCPRIM_400000_NS6detail17trampoline_kernelINS0_13select_configILj256ELj13ELNS0_17block_load_methodE3ELS4_3ELS4_3ELNS0_20block_scan_algorithmE0ELj4294967295EEENS1_25partition_config_selectorILNS1_17partition_subalgoE3EjNS0_10empty_typeEbEEZZNS1_14partition_implILS8_3ELb0ES6_jNS0_17counting_iteratorIjlEEPS9_SE_NS0_5tupleIJPjSE_EEENSF_IJSE_SE_EEES9_SG_JZNS1_25segmented_radix_sort_implINS0_14default_configELb0EPK12hip_bfloat16PSL_PKlPlN2at6native12_GLOBAL__N_18offset_tEEE10hipError_tPvRmT1_PNSt15iterator_traitsISZ_E10value_typeET2_T3_PNS10_IS15_E10value_typeET4_jRbjT5_S1B_jjP12ihipStream_tbEUljE_EEESW_SX_SY_S15_S19_S1B_T6_T7_T9_mT8_S1D_bDpT10_ENKUlT_T0_E_clISt17integral_constantIbLb0EES1Q_EEDaS1L_S1M_EUlS1L_E_NS1_11comp_targetILNS1_3genE8ELNS1_11target_archE1030ELNS1_3gpuE2ELNS1_3repE0EEENS1_30default_config_static_selectorELNS0_4arch9wavefront6targetE0EEEvSZ_,comdat
.Lfunc_end2014:
	.size	_ZN7rocprim17ROCPRIM_400000_NS6detail17trampoline_kernelINS0_13select_configILj256ELj13ELNS0_17block_load_methodE3ELS4_3ELS4_3ELNS0_20block_scan_algorithmE0ELj4294967295EEENS1_25partition_config_selectorILNS1_17partition_subalgoE3EjNS0_10empty_typeEbEEZZNS1_14partition_implILS8_3ELb0ES6_jNS0_17counting_iteratorIjlEEPS9_SE_NS0_5tupleIJPjSE_EEENSF_IJSE_SE_EEES9_SG_JZNS1_25segmented_radix_sort_implINS0_14default_configELb0EPK12hip_bfloat16PSL_PKlPlN2at6native12_GLOBAL__N_18offset_tEEE10hipError_tPvRmT1_PNSt15iterator_traitsISZ_E10value_typeET2_T3_PNS10_IS15_E10value_typeET4_jRbjT5_S1B_jjP12ihipStream_tbEUljE_EEESW_SX_SY_S15_S19_S1B_T6_T7_T9_mT8_S1D_bDpT10_ENKUlT_T0_E_clISt17integral_constantIbLb0EES1Q_EEDaS1L_S1M_EUlS1L_E_NS1_11comp_targetILNS1_3genE8ELNS1_11target_archE1030ELNS1_3gpuE2ELNS1_3repE0EEENS1_30default_config_static_selectorELNS0_4arch9wavefront6targetE0EEEvSZ_, .Lfunc_end2014-_ZN7rocprim17ROCPRIM_400000_NS6detail17trampoline_kernelINS0_13select_configILj256ELj13ELNS0_17block_load_methodE3ELS4_3ELS4_3ELNS0_20block_scan_algorithmE0ELj4294967295EEENS1_25partition_config_selectorILNS1_17partition_subalgoE3EjNS0_10empty_typeEbEEZZNS1_14partition_implILS8_3ELb0ES6_jNS0_17counting_iteratorIjlEEPS9_SE_NS0_5tupleIJPjSE_EEENSF_IJSE_SE_EEES9_SG_JZNS1_25segmented_radix_sort_implINS0_14default_configELb0EPK12hip_bfloat16PSL_PKlPlN2at6native12_GLOBAL__N_18offset_tEEE10hipError_tPvRmT1_PNSt15iterator_traitsISZ_E10value_typeET2_T3_PNS10_IS15_E10value_typeET4_jRbjT5_S1B_jjP12ihipStream_tbEUljE_EEESW_SX_SY_S15_S19_S1B_T6_T7_T9_mT8_S1D_bDpT10_ENKUlT_T0_E_clISt17integral_constantIbLb0EES1Q_EEDaS1L_S1M_EUlS1L_E_NS1_11comp_targetILNS1_3genE8ELNS1_11target_archE1030ELNS1_3gpuE2ELNS1_3repE0EEENS1_30default_config_static_selectorELNS0_4arch9wavefront6targetE0EEEvSZ_
                                        ; -- End function
	.set _ZN7rocprim17ROCPRIM_400000_NS6detail17trampoline_kernelINS0_13select_configILj256ELj13ELNS0_17block_load_methodE3ELS4_3ELS4_3ELNS0_20block_scan_algorithmE0ELj4294967295EEENS1_25partition_config_selectorILNS1_17partition_subalgoE3EjNS0_10empty_typeEbEEZZNS1_14partition_implILS8_3ELb0ES6_jNS0_17counting_iteratorIjlEEPS9_SE_NS0_5tupleIJPjSE_EEENSF_IJSE_SE_EEES9_SG_JZNS1_25segmented_radix_sort_implINS0_14default_configELb0EPK12hip_bfloat16PSL_PKlPlN2at6native12_GLOBAL__N_18offset_tEEE10hipError_tPvRmT1_PNSt15iterator_traitsISZ_E10value_typeET2_T3_PNS10_IS15_E10value_typeET4_jRbjT5_S1B_jjP12ihipStream_tbEUljE_EEESW_SX_SY_S15_S19_S1B_T6_T7_T9_mT8_S1D_bDpT10_ENKUlT_T0_E_clISt17integral_constantIbLb0EES1Q_EEDaS1L_S1M_EUlS1L_E_NS1_11comp_targetILNS1_3genE8ELNS1_11target_archE1030ELNS1_3gpuE2ELNS1_3repE0EEENS1_30default_config_static_selectorELNS0_4arch9wavefront6targetE0EEEvSZ_.num_vgpr, 69
	.set _ZN7rocprim17ROCPRIM_400000_NS6detail17trampoline_kernelINS0_13select_configILj256ELj13ELNS0_17block_load_methodE3ELS4_3ELS4_3ELNS0_20block_scan_algorithmE0ELj4294967295EEENS1_25partition_config_selectorILNS1_17partition_subalgoE3EjNS0_10empty_typeEbEEZZNS1_14partition_implILS8_3ELb0ES6_jNS0_17counting_iteratorIjlEEPS9_SE_NS0_5tupleIJPjSE_EEENSF_IJSE_SE_EEES9_SG_JZNS1_25segmented_radix_sort_implINS0_14default_configELb0EPK12hip_bfloat16PSL_PKlPlN2at6native12_GLOBAL__N_18offset_tEEE10hipError_tPvRmT1_PNSt15iterator_traitsISZ_E10value_typeET2_T3_PNS10_IS15_E10value_typeET4_jRbjT5_S1B_jjP12ihipStream_tbEUljE_EEESW_SX_SY_S15_S19_S1B_T6_T7_T9_mT8_S1D_bDpT10_ENKUlT_T0_E_clISt17integral_constantIbLb0EES1Q_EEDaS1L_S1M_EUlS1L_E_NS1_11comp_targetILNS1_3genE8ELNS1_11target_archE1030ELNS1_3gpuE2ELNS1_3repE0EEENS1_30default_config_static_selectorELNS0_4arch9wavefront6targetE0EEEvSZ_.num_agpr, 0
	.set _ZN7rocprim17ROCPRIM_400000_NS6detail17trampoline_kernelINS0_13select_configILj256ELj13ELNS0_17block_load_methodE3ELS4_3ELS4_3ELNS0_20block_scan_algorithmE0ELj4294967295EEENS1_25partition_config_selectorILNS1_17partition_subalgoE3EjNS0_10empty_typeEbEEZZNS1_14partition_implILS8_3ELb0ES6_jNS0_17counting_iteratorIjlEEPS9_SE_NS0_5tupleIJPjSE_EEENSF_IJSE_SE_EEES9_SG_JZNS1_25segmented_radix_sort_implINS0_14default_configELb0EPK12hip_bfloat16PSL_PKlPlN2at6native12_GLOBAL__N_18offset_tEEE10hipError_tPvRmT1_PNSt15iterator_traitsISZ_E10value_typeET2_T3_PNS10_IS15_E10value_typeET4_jRbjT5_S1B_jjP12ihipStream_tbEUljE_EEESW_SX_SY_S15_S19_S1B_T6_T7_T9_mT8_S1D_bDpT10_ENKUlT_T0_E_clISt17integral_constantIbLb0EES1Q_EEDaS1L_S1M_EUlS1L_E_NS1_11comp_targetILNS1_3genE8ELNS1_11target_archE1030ELNS1_3gpuE2ELNS1_3repE0EEENS1_30default_config_static_selectorELNS0_4arch9wavefront6targetE0EEEvSZ_.numbered_sgpr, 27
	.set _ZN7rocprim17ROCPRIM_400000_NS6detail17trampoline_kernelINS0_13select_configILj256ELj13ELNS0_17block_load_methodE3ELS4_3ELS4_3ELNS0_20block_scan_algorithmE0ELj4294967295EEENS1_25partition_config_selectorILNS1_17partition_subalgoE3EjNS0_10empty_typeEbEEZZNS1_14partition_implILS8_3ELb0ES6_jNS0_17counting_iteratorIjlEEPS9_SE_NS0_5tupleIJPjSE_EEENSF_IJSE_SE_EEES9_SG_JZNS1_25segmented_radix_sort_implINS0_14default_configELb0EPK12hip_bfloat16PSL_PKlPlN2at6native12_GLOBAL__N_18offset_tEEE10hipError_tPvRmT1_PNSt15iterator_traitsISZ_E10value_typeET2_T3_PNS10_IS15_E10value_typeET4_jRbjT5_S1B_jjP12ihipStream_tbEUljE_EEESW_SX_SY_S15_S19_S1B_T6_T7_T9_mT8_S1D_bDpT10_ENKUlT_T0_E_clISt17integral_constantIbLb0EES1Q_EEDaS1L_S1M_EUlS1L_E_NS1_11comp_targetILNS1_3genE8ELNS1_11target_archE1030ELNS1_3gpuE2ELNS1_3repE0EEENS1_30default_config_static_selectorELNS0_4arch9wavefront6targetE0EEEvSZ_.num_named_barrier, 0
	.set _ZN7rocprim17ROCPRIM_400000_NS6detail17trampoline_kernelINS0_13select_configILj256ELj13ELNS0_17block_load_methodE3ELS4_3ELS4_3ELNS0_20block_scan_algorithmE0ELj4294967295EEENS1_25partition_config_selectorILNS1_17partition_subalgoE3EjNS0_10empty_typeEbEEZZNS1_14partition_implILS8_3ELb0ES6_jNS0_17counting_iteratorIjlEEPS9_SE_NS0_5tupleIJPjSE_EEENSF_IJSE_SE_EEES9_SG_JZNS1_25segmented_radix_sort_implINS0_14default_configELb0EPK12hip_bfloat16PSL_PKlPlN2at6native12_GLOBAL__N_18offset_tEEE10hipError_tPvRmT1_PNSt15iterator_traitsISZ_E10value_typeET2_T3_PNS10_IS15_E10value_typeET4_jRbjT5_S1B_jjP12ihipStream_tbEUljE_EEESW_SX_SY_S15_S19_S1B_T6_T7_T9_mT8_S1D_bDpT10_ENKUlT_T0_E_clISt17integral_constantIbLb0EES1Q_EEDaS1L_S1M_EUlS1L_E_NS1_11comp_targetILNS1_3genE8ELNS1_11target_archE1030ELNS1_3gpuE2ELNS1_3repE0EEENS1_30default_config_static_selectorELNS0_4arch9wavefront6targetE0EEEvSZ_.private_seg_size, 0
	.set _ZN7rocprim17ROCPRIM_400000_NS6detail17trampoline_kernelINS0_13select_configILj256ELj13ELNS0_17block_load_methodE3ELS4_3ELS4_3ELNS0_20block_scan_algorithmE0ELj4294967295EEENS1_25partition_config_selectorILNS1_17partition_subalgoE3EjNS0_10empty_typeEbEEZZNS1_14partition_implILS8_3ELb0ES6_jNS0_17counting_iteratorIjlEEPS9_SE_NS0_5tupleIJPjSE_EEENSF_IJSE_SE_EEES9_SG_JZNS1_25segmented_radix_sort_implINS0_14default_configELb0EPK12hip_bfloat16PSL_PKlPlN2at6native12_GLOBAL__N_18offset_tEEE10hipError_tPvRmT1_PNSt15iterator_traitsISZ_E10value_typeET2_T3_PNS10_IS15_E10value_typeET4_jRbjT5_S1B_jjP12ihipStream_tbEUljE_EEESW_SX_SY_S15_S19_S1B_T6_T7_T9_mT8_S1D_bDpT10_ENKUlT_T0_E_clISt17integral_constantIbLb0EES1Q_EEDaS1L_S1M_EUlS1L_E_NS1_11comp_targetILNS1_3genE8ELNS1_11target_archE1030ELNS1_3gpuE2ELNS1_3repE0EEENS1_30default_config_static_selectorELNS0_4arch9wavefront6targetE0EEEvSZ_.uses_vcc, 1
	.set _ZN7rocprim17ROCPRIM_400000_NS6detail17trampoline_kernelINS0_13select_configILj256ELj13ELNS0_17block_load_methodE3ELS4_3ELS4_3ELNS0_20block_scan_algorithmE0ELj4294967295EEENS1_25partition_config_selectorILNS1_17partition_subalgoE3EjNS0_10empty_typeEbEEZZNS1_14partition_implILS8_3ELb0ES6_jNS0_17counting_iteratorIjlEEPS9_SE_NS0_5tupleIJPjSE_EEENSF_IJSE_SE_EEES9_SG_JZNS1_25segmented_radix_sort_implINS0_14default_configELb0EPK12hip_bfloat16PSL_PKlPlN2at6native12_GLOBAL__N_18offset_tEEE10hipError_tPvRmT1_PNSt15iterator_traitsISZ_E10value_typeET2_T3_PNS10_IS15_E10value_typeET4_jRbjT5_S1B_jjP12ihipStream_tbEUljE_EEESW_SX_SY_S15_S19_S1B_T6_T7_T9_mT8_S1D_bDpT10_ENKUlT_T0_E_clISt17integral_constantIbLb0EES1Q_EEDaS1L_S1M_EUlS1L_E_NS1_11comp_targetILNS1_3genE8ELNS1_11target_archE1030ELNS1_3gpuE2ELNS1_3repE0EEENS1_30default_config_static_selectorELNS0_4arch9wavefront6targetE0EEEvSZ_.uses_flat_scratch, 0
	.set _ZN7rocprim17ROCPRIM_400000_NS6detail17trampoline_kernelINS0_13select_configILj256ELj13ELNS0_17block_load_methodE3ELS4_3ELS4_3ELNS0_20block_scan_algorithmE0ELj4294967295EEENS1_25partition_config_selectorILNS1_17partition_subalgoE3EjNS0_10empty_typeEbEEZZNS1_14partition_implILS8_3ELb0ES6_jNS0_17counting_iteratorIjlEEPS9_SE_NS0_5tupleIJPjSE_EEENSF_IJSE_SE_EEES9_SG_JZNS1_25segmented_radix_sort_implINS0_14default_configELb0EPK12hip_bfloat16PSL_PKlPlN2at6native12_GLOBAL__N_18offset_tEEE10hipError_tPvRmT1_PNSt15iterator_traitsISZ_E10value_typeET2_T3_PNS10_IS15_E10value_typeET4_jRbjT5_S1B_jjP12ihipStream_tbEUljE_EEESW_SX_SY_S15_S19_S1B_T6_T7_T9_mT8_S1D_bDpT10_ENKUlT_T0_E_clISt17integral_constantIbLb0EES1Q_EEDaS1L_S1M_EUlS1L_E_NS1_11comp_targetILNS1_3genE8ELNS1_11target_archE1030ELNS1_3gpuE2ELNS1_3repE0EEENS1_30default_config_static_selectorELNS0_4arch9wavefront6targetE0EEEvSZ_.has_dyn_sized_stack, 0
	.set _ZN7rocprim17ROCPRIM_400000_NS6detail17trampoline_kernelINS0_13select_configILj256ELj13ELNS0_17block_load_methodE3ELS4_3ELS4_3ELNS0_20block_scan_algorithmE0ELj4294967295EEENS1_25partition_config_selectorILNS1_17partition_subalgoE3EjNS0_10empty_typeEbEEZZNS1_14partition_implILS8_3ELb0ES6_jNS0_17counting_iteratorIjlEEPS9_SE_NS0_5tupleIJPjSE_EEENSF_IJSE_SE_EEES9_SG_JZNS1_25segmented_radix_sort_implINS0_14default_configELb0EPK12hip_bfloat16PSL_PKlPlN2at6native12_GLOBAL__N_18offset_tEEE10hipError_tPvRmT1_PNSt15iterator_traitsISZ_E10value_typeET2_T3_PNS10_IS15_E10value_typeET4_jRbjT5_S1B_jjP12ihipStream_tbEUljE_EEESW_SX_SY_S15_S19_S1B_T6_T7_T9_mT8_S1D_bDpT10_ENKUlT_T0_E_clISt17integral_constantIbLb0EES1Q_EEDaS1L_S1M_EUlS1L_E_NS1_11comp_targetILNS1_3genE8ELNS1_11target_archE1030ELNS1_3gpuE2ELNS1_3repE0EEENS1_30default_config_static_selectorELNS0_4arch9wavefront6targetE0EEEvSZ_.has_recursion, 0
	.set _ZN7rocprim17ROCPRIM_400000_NS6detail17trampoline_kernelINS0_13select_configILj256ELj13ELNS0_17block_load_methodE3ELS4_3ELS4_3ELNS0_20block_scan_algorithmE0ELj4294967295EEENS1_25partition_config_selectorILNS1_17partition_subalgoE3EjNS0_10empty_typeEbEEZZNS1_14partition_implILS8_3ELb0ES6_jNS0_17counting_iteratorIjlEEPS9_SE_NS0_5tupleIJPjSE_EEENSF_IJSE_SE_EEES9_SG_JZNS1_25segmented_radix_sort_implINS0_14default_configELb0EPK12hip_bfloat16PSL_PKlPlN2at6native12_GLOBAL__N_18offset_tEEE10hipError_tPvRmT1_PNSt15iterator_traitsISZ_E10value_typeET2_T3_PNS10_IS15_E10value_typeET4_jRbjT5_S1B_jjP12ihipStream_tbEUljE_EEESW_SX_SY_S15_S19_S1B_T6_T7_T9_mT8_S1D_bDpT10_ENKUlT_T0_E_clISt17integral_constantIbLb0EES1Q_EEDaS1L_S1M_EUlS1L_E_NS1_11comp_targetILNS1_3genE8ELNS1_11target_archE1030ELNS1_3gpuE2ELNS1_3repE0EEENS1_30default_config_static_selectorELNS0_4arch9wavefront6targetE0EEEvSZ_.has_indirect_call, 0
	.section	.AMDGPU.csdata,"",@progbits
; Kernel info:
; codeLenInByte = 8564
; TotalNumSgprs: 29
; NumVgprs: 69
; ScratchSize: 0
; MemoryBound: 0
; FloatMode: 240
; IeeeMode: 1
; LDSByteSize: 13320 bytes/workgroup (compile time only)
; SGPRBlocks: 0
; VGPRBlocks: 8
; NumSGPRsForWavesPerEU: 29
; NumVGPRsForWavesPerEU: 69
; Occupancy: 12
; WaveLimiterHint : 0
; COMPUTE_PGM_RSRC2:SCRATCH_EN: 0
; COMPUTE_PGM_RSRC2:USER_SGPR: 6
; COMPUTE_PGM_RSRC2:TRAP_HANDLER: 0
; COMPUTE_PGM_RSRC2:TGID_X_EN: 1
; COMPUTE_PGM_RSRC2:TGID_Y_EN: 0
; COMPUTE_PGM_RSRC2:TGID_Z_EN: 0
; COMPUTE_PGM_RSRC2:TIDIG_COMP_CNT: 0
	.section	.text._ZN7rocprim17ROCPRIM_400000_NS6detail17trampoline_kernelINS0_13select_configILj256ELj13ELNS0_17block_load_methodE3ELS4_3ELS4_3ELNS0_20block_scan_algorithmE0ELj4294967295EEENS1_25partition_config_selectorILNS1_17partition_subalgoE3EjNS0_10empty_typeEbEEZZNS1_14partition_implILS8_3ELb0ES6_jNS0_17counting_iteratorIjlEEPS9_SE_NS0_5tupleIJPjSE_EEENSF_IJSE_SE_EEES9_SG_JZNS1_25segmented_radix_sort_implINS0_14default_configELb0EPK12hip_bfloat16PSL_PKlPlN2at6native12_GLOBAL__N_18offset_tEEE10hipError_tPvRmT1_PNSt15iterator_traitsISZ_E10value_typeET2_T3_PNS10_IS15_E10value_typeET4_jRbjT5_S1B_jjP12ihipStream_tbEUljE_EEESW_SX_SY_S15_S19_S1B_T6_T7_T9_mT8_S1D_bDpT10_ENKUlT_T0_E_clISt17integral_constantIbLb1EES1Q_EEDaS1L_S1M_EUlS1L_E_NS1_11comp_targetILNS1_3genE0ELNS1_11target_archE4294967295ELNS1_3gpuE0ELNS1_3repE0EEENS1_30default_config_static_selectorELNS0_4arch9wavefront6targetE0EEEvSZ_,"axG",@progbits,_ZN7rocprim17ROCPRIM_400000_NS6detail17trampoline_kernelINS0_13select_configILj256ELj13ELNS0_17block_load_methodE3ELS4_3ELS4_3ELNS0_20block_scan_algorithmE0ELj4294967295EEENS1_25partition_config_selectorILNS1_17partition_subalgoE3EjNS0_10empty_typeEbEEZZNS1_14partition_implILS8_3ELb0ES6_jNS0_17counting_iteratorIjlEEPS9_SE_NS0_5tupleIJPjSE_EEENSF_IJSE_SE_EEES9_SG_JZNS1_25segmented_radix_sort_implINS0_14default_configELb0EPK12hip_bfloat16PSL_PKlPlN2at6native12_GLOBAL__N_18offset_tEEE10hipError_tPvRmT1_PNSt15iterator_traitsISZ_E10value_typeET2_T3_PNS10_IS15_E10value_typeET4_jRbjT5_S1B_jjP12ihipStream_tbEUljE_EEESW_SX_SY_S15_S19_S1B_T6_T7_T9_mT8_S1D_bDpT10_ENKUlT_T0_E_clISt17integral_constantIbLb1EES1Q_EEDaS1L_S1M_EUlS1L_E_NS1_11comp_targetILNS1_3genE0ELNS1_11target_archE4294967295ELNS1_3gpuE0ELNS1_3repE0EEENS1_30default_config_static_selectorELNS0_4arch9wavefront6targetE0EEEvSZ_,comdat
	.globl	_ZN7rocprim17ROCPRIM_400000_NS6detail17trampoline_kernelINS0_13select_configILj256ELj13ELNS0_17block_load_methodE3ELS4_3ELS4_3ELNS0_20block_scan_algorithmE0ELj4294967295EEENS1_25partition_config_selectorILNS1_17partition_subalgoE3EjNS0_10empty_typeEbEEZZNS1_14partition_implILS8_3ELb0ES6_jNS0_17counting_iteratorIjlEEPS9_SE_NS0_5tupleIJPjSE_EEENSF_IJSE_SE_EEES9_SG_JZNS1_25segmented_radix_sort_implINS0_14default_configELb0EPK12hip_bfloat16PSL_PKlPlN2at6native12_GLOBAL__N_18offset_tEEE10hipError_tPvRmT1_PNSt15iterator_traitsISZ_E10value_typeET2_T3_PNS10_IS15_E10value_typeET4_jRbjT5_S1B_jjP12ihipStream_tbEUljE_EEESW_SX_SY_S15_S19_S1B_T6_T7_T9_mT8_S1D_bDpT10_ENKUlT_T0_E_clISt17integral_constantIbLb1EES1Q_EEDaS1L_S1M_EUlS1L_E_NS1_11comp_targetILNS1_3genE0ELNS1_11target_archE4294967295ELNS1_3gpuE0ELNS1_3repE0EEENS1_30default_config_static_selectorELNS0_4arch9wavefront6targetE0EEEvSZ_ ; -- Begin function _ZN7rocprim17ROCPRIM_400000_NS6detail17trampoline_kernelINS0_13select_configILj256ELj13ELNS0_17block_load_methodE3ELS4_3ELS4_3ELNS0_20block_scan_algorithmE0ELj4294967295EEENS1_25partition_config_selectorILNS1_17partition_subalgoE3EjNS0_10empty_typeEbEEZZNS1_14partition_implILS8_3ELb0ES6_jNS0_17counting_iteratorIjlEEPS9_SE_NS0_5tupleIJPjSE_EEENSF_IJSE_SE_EEES9_SG_JZNS1_25segmented_radix_sort_implINS0_14default_configELb0EPK12hip_bfloat16PSL_PKlPlN2at6native12_GLOBAL__N_18offset_tEEE10hipError_tPvRmT1_PNSt15iterator_traitsISZ_E10value_typeET2_T3_PNS10_IS15_E10value_typeET4_jRbjT5_S1B_jjP12ihipStream_tbEUljE_EEESW_SX_SY_S15_S19_S1B_T6_T7_T9_mT8_S1D_bDpT10_ENKUlT_T0_E_clISt17integral_constantIbLb1EES1Q_EEDaS1L_S1M_EUlS1L_E_NS1_11comp_targetILNS1_3genE0ELNS1_11target_archE4294967295ELNS1_3gpuE0ELNS1_3repE0EEENS1_30default_config_static_selectorELNS0_4arch9wavefront6targetE0EEEvSZ_
	.p2align	8
	.type	_ZN7rocprim17ROCPRIM_400000_NS6detail17trampoline_kernelINS0_13select_configILj256ELj13ELNS0_17block_load_methodE3ELS4_3ELS4_3ELNS0_20block_scan_algorithmE0ELj4294967295EEENS1_25partition_config_selectorILNS1_17partition_subalgoE3EjNS0_10empty_typeEbEEZZNS1_14partition_implILS8_3ELb0ES6_jNS0_17counting_iteratorIjlEEPS9_SE_NS0_5tupleIJPjSE_EEENSF_IJSE_SE_EEES9_SG_JZNS1_25segmented_radix_sort_implINS0_14default_configELb0EPK12hip_bfloat16PSL_PKlPlN2at6native12_GLOBAL__N_18offset_tEEE10hipError_tPvRmT1_PNSt15iterator_traitsISZ_E10value_typeET2_T3_PNS10_IS15_E10value_typeET4_jRbjT5_S1B_jjP12ihipStream_tbEUljE_EEESW_SX_SY_S15_S19_S1B_T6_T7_T9_mT8_S1D_bDpT10_ENKUlT_T0_E_clISt17integral_constantIbLb1EES1Q_EEDaS1L_S1M_EUlS1L_E_NS1_11comp_targetILNS1_3genE0ELNS1_11target_archE4294967295ELNS1_3gpuE0ELNS1_3repE0EEENS1_30default_config_static_selectorELNS0_4arch9wavefront6targetE0EEEvSZ_,@function
_ZN7rocprim17ROCPRIM_400000_NS6detail17trampoline_kernelINS0_13select_configILj256ELj13ELNS0_17block_load_methodE3ELS4_3ELS4_3ELNS0_20block_scan_algorithmE0ELj4294967295EEENS1_25partition_config_selectorILNS1_17partition_subalgoE3EjNS0_10empty_typeEbEEZZNS1_14partition_implILS8_3ELb0ES6_jNS0_17counting_iteratorIjlEEPS9_SE_NS0_5tupleIJPjSE_EEENSF_IJSE_SE_EEES9_SG_JZNS1_25segmented_radix_sort_implINS0_14default_configELb0EPK12hip_bfloat16PSL_PKlPlN2at6native12_GLOBAL__N_18offset_tEEE10hipError_tPvRmT1_PNSt15iterator_traitsISZ_E10value_typeET2_T3_PNS10_IS15_E10value_typeET4_jRbjT5_S1B_jjP12ihipStream_tbEUljE_EEESW_SX_SY_S15_S19_S1B_T6_T7_T9_mT8_S1D_bDpT10_ENKUlT_T0_E_clISt17integral_constantIbLb1EES1Q_EEDaS1L_S1M_EUlS1L_E_NS1_11comp_targetILNS1_3genE0ELNS1_11target_archE4294967295ELNS1_3gpuE0ELNS1_3repE0EEENS1_30default_config_static_selectorELNS0_4arch9wavefront6targetE0EEEvSZ_: ; @_ZN7rocprim17ROCPRIM_400000_NS6detail17trampoline_kernelINS0_13select_configILj256ELj13ELNS0_17block_load_methodE3ELS4_3ELS4_3ELNS0_20block_scan_algorithmE0ELj4294967295EEENS1_25partition_config_selectorILNS1_17partition_subalgoE3EjNS0_10empty_typeEbEEZZNS1_14partition_implILS8_3ELb0ES6_jNS0_17counting_iteratorIjlEEPS9_SE_NS0_5tupleIJPjSE_EEENSF_IJSE_SE_EEES9_SG_JZNS1_25segmented_radix_sort_implINS0_14default_configELb0EPK12hip_bfloat16PSL_PKlPlN2at6native12_GLOBAL__N_18offset_tEEE10hipError_tPvRmT1_PNSt15iterator_traitsISZ_E10value_typeET2_T3_PNS10_IS15_E10value_typeET4_jRbjT5_S1B_jjP12ihipStream_tbEUljE_EEESW_SX_SY_S15_S19_S1B_T6_T7_T9_mT8_S1D_bDpT10_ENKUlT_T0_E_clISt17integral_constantIbLb1EES1Q_EEDaS1L_S1M_EUlS1L_E_NS1_11comp_targetILNS1_3genE0ELNS1_11target_archE4294967295ELNS1_3gpuE0ELNS1_3repE0EEENS1_30default_config_static_selectorELNS0_4arch9wavefront6targetE0EEEvSZ_
; %bb.0:
	.section	.rodata,"a",@progbits
	.p2align	6, 0x0
	.amdhsa_kernel _ZN7rocprim17ROCPRIM_400000_NS6detail17trampoline_kernelINS0_13select_configILj256ELj13ELNS0_17block_load_methodE3ELS4_3ELS4_3ELNS0_20block_scan_algorithmE0ELj4294967295EEENS1_25partition_config_selectorILNS1_17partition_subalgoE3EjNS0_10empty_typeEbEEZZNS1_14partition_implILS8_3ELb0ES6_jNS0_17counting_iteratorIjlEEPS9_SE_NS0_5tupleIJPjSE_EEENSF_IJSE_SE_EEES9_SG_JZNS1_25segmented_radix_sort_implINS0_14default_configELb0EPK12hip_bfloat16PSL_PKlPlN2at6native12_GLOBAL__N_18offset_tEEE10hipError_tPvRmT1_PNSt15iterator_traitsISZ_E10value_typeET2_T3_PNS10_IS15_E10value_typeET4_jRbjT5_S1B_jjP12ihipStream_tbEUljE_EEESW_SX_SY_S15_S19_S1B_T6_T7_T9_mT8_S1D_bDpT10_ENKUlT_T0_E_clISt17integral_constantIbLb1EES1Q_EEDaS1L_S1M_EUlS1L_E_NS1_11comp_targetILNS1_3genE0ELNS1_11target_archE4294967295ELNS1_3gpuE0ELNS1_3repE0EEENS1_30default_config_static_selectorELNS0_4arch9wavefront6targetE0EEEvSZ_
		.amdhsa_group_segment_fixed_size 0
		.amdhsa_private_segment_fixed_size 0
		.amdhsa_kernarg_size 152
		.amdhsa_user_sgpr_count 6
		.amdhsa_user_sgpr_private_segment_buffer 1
		.amdhsa_user_sgpr_dispatch_ptr 0
		.amdhsa_user_sgpr_queue_ptr 0
		.amdhsa_user_sgpr_kernarg_segment_ptr 1
		.amdhsa_user_sgpr_dispatch_id 0
		.amdhsa_user_sgpr_flat_scratch_init 0
		.amdhsa_user_sgpr_private_segment_size 0
		.amdhsa_wavefront_size32 1
		.amdhsa_uses_dynamic_stack 0
		.amdhsa_system_sgpr_private_segment_wavefront_offset 0
		.amdhsa_system_sgpr_workgroup_id_x 1
		.amdhsa_system_sgpr_workgroup_id_y 0
		.amdhsa_system_sgpr_workgroup_id_z 0
		.amdhsa_system_sgpr_workgroup_info 0
		.amdhsa_system_vgpr_workitem_id 0
		.amdhsa_next_free_vgpr 1
		.amdhsa_next_free_sgpr 1
		.amdhsa_reserve_vcc 0
		.amdhsa_reserve_flat_scratch 0
		.amdhsa_float_round_mode_32 0
		.amdhsa_float_round_mode_16_64 0
		.amdhsa_float_denorm_mode_32 3
		.amdhsa_float_denorm_mode_16_64 3
		.amdhsa_dx10_clamp 1
		.amdhsa_ieee_mode 1
		.amdhsa_fp16_overflow 0
		.amdhsa_workgroup_processor_mode 1
		.amdhsa_memory_ordered 1
		.amdhsa_forward_progress 1
		.amdhsa_shared_vgpr_count 0
		.amdhsa_exception_fp_ieee_invalid_op 0
		.amdhsa_exception_fp_denorm_src 0
		.amdhsa_exception_fp_ieee_div_zero 0
		.amdhsa_exception_fp_ieee_overflow 0
		.amdhsa_exception_fp_ieee_underflow 0
		.amdhsa_exception_fp_ieee_inexact 0
		.amdhsa_exception_int_div_zero 0
	.end_amdhsa_kernel
	.section	.text._ZN7rocprim17ROCPRIM_400000_NS6detail17trampoline_kernelINS0_13select_configILj256ELj13ELNS0_17block_load_methodE3ELS4_3ELS4_3ELNS0_20block_scan_algorithmE0ELj4294967295EEENS1_25partition_config_selectorILNS1_17partition_subalgoE3EjNS0_10empty_typeEbEEZZNS1_14partition_implILS8_3ELb0ES6_jNS0_17counting_iteratorIjlEEPS9_SE_NS0_5tupleIJPjSE_EEENSF_IJSE_SE_EEES9_SG_JZNS1_25segmented_radix_sort_implINS0_14default_configELb0EPK12hip_bfloat16PSL_PKlPlN2at6native12_GLOBAL__N_18offset_tEEE10hipError_tPvRmT1_PNSt15iterator_traitsISZ_E10value_typeET2_T3_PNS10_IS15_E10value_typeET4_jRbjT5_S1B_jjP12ihipStream_tbEUljE_EEESW_SX_SY_S15_S19_S1B_T6_T7_T9_mT8_S1D_bDpT10_ENKUlT_T0_E_clISt17integral_constantIbLb1EES1Q_EEDaS1L_S1M_EUlS1L_E_NS1_11comp_targetILNS1_3genE0ELNS1_11target_archE4294967295ELNS1_3gpuE0ELNS1_3repE0EEENS1_30default_config_static_selectorELNS0_4arch9wavefront6targetE0EEEvSZ_,"axG",@progbits,_ZN7rocprim17ROCPRIM_400000_NS6detail17trampoline_kernelINS0_13select_configILj256ELj13ELNS0_17block_load_methodE3ELS4_3ELS4_3ELNS0_20block_scan_algorithmE0ELj4294967295EEENS1_25partition_config_selectorILNS1_17partition_subalgoE3EjNS0_10empty_typeEbEEZZNS1_14partition_implILS8_3ELb0ES6_jNS0_17counting_iteratorIjlEEPS9_SE_NS0_5tupleIJPjSE_EEENSF_IJSE_SE_EEES9_SG_JZNS1_25segmented_radix_sort_implINS0_14default_configELb0EPK12hip_bfloat16PSL_PKlPlN2at6native12_GLOBAL__N_18offset_tEEE10hipError_tPvRmT1_PNSt15iterator_traitsISZ_E10value_typeET2_T3_PNS10_IS15_E10value_typeET4_jRbjT5_S1B_jjP12ihipStream_tbEUljE_EEESW_SX_SY_S15_S19_S1B_T6_T7_T9_mT8_S1D_bDpT10_ENKUlT_T0_E_clISt17integral_constantIbLb1EES1Q_EEDaS1L_S1M_EUlS1L_E_NS1_11comp_targetILNS1_3genE0ELNS1_11target_archE4294967295ELNS1_3gpuE0ELNS1_3repE0EEENS1_30default_config_static_selectorELNS0_4arch9wavefront6targetE0EEEvSZ_,comdat
.Lfunc_end2015:
	.size	_ZN7rocprim17ROCPRIM_400000_NS6detail17trampoline_kernelINS0_13select_configILj256ELj13ELNS0_17block_load_methodE3ELS4_3ELS4_3ELNS0_20block_scan_algorithmE0ELj4294967295EEENS1_25partition_config_selectorILNS1_17partition_subalgoE3EjNS0_10empty_typeEbEEZZNS1_14partition_implILS8_3ELb0ES6_jNS0_17counting_iteratorIjlEEPS9_SE_NS0_5tupleIJPjSE_EEENSF_IJSE_SE_EEES9_SG_JZNS1_25segmented_radix_sort_implINS0_14default_configELb0EPK12hip_bfloat16PSL_PKlPlN2at6native12_GLOBAL__N_18offset_tEEE10hipError_tPvRmT1_PNSt15iterator_traitsISZ_E10value_typeET2_T3_PNS10_IS15_E10value_typeET4_jRbjT5_S1B_jjP12ihipStream_tbEUljE_EEESW_SX_SY_S15_S19_S1B_T6_T7_T9_mT8_S1D_bDpT10_ENKUlT_T0_E_clISt17integral_constantIbLb1EES1Q_EEDaS1L_S1M_EUlS1L_E_NS1_11comp_targetILNS1_3genE0ELNS1_11target_archE4294967295ELNS1_3gpuE0ELNS1_3repE0EEENS1_30default_config_static_selectorELNS0_4arch9wavefront6targetE0EEEvSZ_, .Lfunc_end2015-_ZN7rocprim17ROCPRIM_400000_NS6detail17trampoline_kernelINS0_13select_configILj256ELj13ELNS0_17block_load_methodE3ELS4_3ELS4_3ELNS0_20block_scan_algorithmE0ELj4294967295EEENS1_25partition_config_selectorILNS1_17partition_subalgoE3EjNS0_10empty_typeEbEEZZNS1_14partition_implILS8_3ELb0ES6_jNS0_17counting_iteratorIjlEEPS9_SE_NS0_5tupleIJPjSE_EEENSF_IJSE_SE_EEES9_SG_JZNS1_25segmented_radix_sort_implINS0_14default_configELb0EPK12hip_bfloat16PSL_PKlPlN2at6native12_GLOBAL__N_18offset_tEEE10hipError_tPvRmT1_PNSt15iterator_traitsISZ_E10value_typeET2_T3_PNS10_IS15_E10value_typeET4_jRbjT5_S1B_jjP12ihipStream_tbEUljE_EEESW_SX_SY_S15_S19_S1B_T6_T7_T9_mT8_S1D_bDpT10_ENKUlT_T0_E_clISt17integral_constantIbLb1EES1Q_EEDaS1L_S1M_EUlS1L_E_NS1_11comp_targetILNS1_3genE0ELNS1_11target_archE4294967295ELNS1_3gpuE0ELNS1_3repE0EEENS1_30default_config_static_selectorELNS0_4arch9wavefront6targetE0EEEvSZ_
                                        ; -- End function
	.set _ZN7rocprim17ROCPRIM_400000_NS6detail17trampoline_kernelINS0_13select_configILj256ELj13ELNS0_17block_load_methodE3ELS4_3ELS4_3ELNS0_20block_scan_algorithmE0ELj4294967295EEENS1_25partition_config_selectorILNS1_17partition_subalgoE3EjNS0_10empty_typeEbEEZZNS1_14partition_implILS8_3ELb0ES6_jNS0_17counting_iteratorIjlEEPS9_SE_NS0_5tupleIJPjSE_EEENSF_IJSE_SE_EEES9_SG_JZNS1_25segmented_radix_sort_implINS0_14default_configELb0EPK12hip_bfloat16PSL_PKlPlN2at6native12_GLOBAL__N_18offset_tEEE10hipError_tPvRmT1_PNSt15iterator_traitsISZ_E10value_typeET2_T3_PNS10_IS15_E10value_typeET4_jRbjT5_S1B_jjP12ihipStream_tbEUljE_EEESW_SX_SY_S15_S19_S1B_T6_T7_T9_mT8_S1D_bDpT10_ENKUlT_T0_E_clISt17integral_constantIbLb1EES1Q_EEDaS1L_S1M_EUlS1L_E_NS1_11comp_targetILNS1_3genE0ELNS1_11target_archE4294967295ELNS1_3gpuE0ELNS1_3repE0EEENS1_30default_config_static_selectorELNS0_4arch9wavefront6targetE0EEEvSZ_.num_vgpr, 0
	.set _ZN7rocprim17ROCPRIM_400000_NS6detail17trampoline_kernelINS0_13select_configILj256ELj13ELNS0_17block_load_methodE3ELS4_3ELS4_3ELNS0_20block_scan_algorithmE0ELj4294967295EEENS1_25partition_config_selectorILNS1_17partition_subalgoE3EjNS0_10empty_typeEbEEZZNS1_14partition_implILS8_3ELb0ES6_jNS0_17counting_iteratorIjlEEPS9_SE_NS0_5tupleIJPjSE_EEENSF_IJSE_SE_EEES9_SG_JZNS1_25segmented_radix_sort_implINS0_14default_configELb0EPK12hip_bfloat16PSL_PKlPlN2at6native12_GLOBAL__N_18offset_tEEE10hipError_tPvRmT1_PNSt15iterator_traitsISZ_E10value_typeET2_T3_PNS10_IS15_E10value_typeET4_jRbjT5_S1B_jjP12ihipStream_tbEUljE_EEESW_SX_SY_S15_S19_S1B_T6_T7_T9_mT8_S1D_bDpT10_ENKUlT_T0_E_clISt17integral_constantIbLb1EES1Q_EEDaS1L_S1M_EUlS1L_E_NS1_11comp_targetILNS1_3genE0ELNS1_11target_archE4294967295ELNS1_3gpuE0ELNS1_3repE0EEENS1_30default_config_static_selectorELNS0_4arch9wavefront6targetE0EEEvSZ_.num_agpr, 0
	.set _ZN7rocprim17ROCPRIM_400000_NS6detail17trampoline_kernelINS0_13select_configILj256ELj13ELNS0_17block_load_methodE3ELS4_3ELS4_3ELNS0_20block_scan_algorithmE0ELj4294967295EEENS1_25partition_config_selectorILNS1_17partition_subalgoE3EjNS0_10empty_typeEbEEZZNS1_14partition_implILS8_3ELb0ES6_jNS0_17counting_iteratorIjlEEPS9_SE_NS0_5tupleIJPjSE_EEENSF_IJSE_SE_EEES9_SG_JZNS1_25segmented_radix_sort_implINS0_14default_configELb0EPK12hip_bfloat16PSL_PKlPlN2at6native12_GLOBAL__N_18offset_tEEE10hipError_tPvRmT1_PNSt15iterator_traitsISZ_E10value_typeET2_T3_PNS10_IS15_E10value_typeET4_jRbjT5_S1B_jjP12ihipStream_tbEUljE_EEESW_SX_SY_S15_S19_S1B_T6_T7_T9_mT8_S1D_bDpT10_ENKUlT_T0_E_clISt17integral_constantIbLb1EES1Q_EEDaS1L_S1M_EUlS1L_E_NS1_11comp_targetILNS1_3genE0ELNS1_11target_archE4294967295ELNS1_3gpuE0ELNS1_3repE0EEENS1_30default_config_static_selectorELNS0_4arch9wavefront6targetE0EEEvSZ_.numbered_sgpr, 0
	.set _ZN7rocprim17ROCPRIM_400000_NS6detail17trampoline_kernelINS0_13select_configILj256ELj13ELNS0_17block_load_methodE3ELS4_3ELS4_3ELNS0_20block_scan_algorithmE0ELj4294967295EEENS1_25partition_config_selectorILNS1_17partition_subalgoE3EjNS0_10empty_typeEbEEZZNS1_14partition_implILS8_3ELb0ES6_jNS0_17counting_iteratorIjlEEPS9_SE_NS0_5tupleIJPjSE_EEENSF_IJSE_SE_EEES9_SG_JZNS1_25segmented_radix_sort_implINS0_14default_configELb0EPK12hip_bfloat16PSL_PKlPlN2at6native12_GLOBAL__N_18offset_tEEE10hipError_tPvRmT1_PNSt15iterator_traitsISZ_E10value_typeET2_T3_PNS10_IS15_E10value_typeET4_jRbjT5_S1B_jjP12ihipStream_tbEUljE_EEESW_SX_SY_S15_S19_S1B_T6_T7_T9_mT8_S1D_bDpT10_ENKUlT_T0_E_clISt17integral_constantIbLb1EES1Q_EEDaS1L_S1M_EUlS1L_E_NS1_11comp_targetILNS1_3genE0ELNS1_11target_archE4294967295ELNS1_3gpuE0ELNS1_3repE0EEENS1_30default_config_static_selectorELNS0_4arch9wavefront6targetE0EEEvSZ_.num_named_barrier, 0
	.set _ZN7rocprim17ROCPRIM_400000_NS6detail17trampoline_kernelINS0_13select_configILj256ELj13ELNS0_17block_load_methodE3ELS4_3ELS4_3ELNS0_20block_scan_algorithmE0ELj4294967295EEENS1_25partition_config_selectorILNS1_17partition_subalgoE3EjNS0_10empty_typeEbEEZZNS1_14partition_implILS8_3ELb0ES6_jNS0_17counting_iteratorIjlEEPS9_SE_NS0_5tupleIJPjSE_EEENSF_IJSE_SE_EEES9_SG_JZNS1_25segmented_radix_sort_implINS0_14default_configELb0EPK12hip_bfloat16PSL_PKlPlN2at6native12_GLOBAL__N_18offset_tEEE10hipError_tPvRmT1_PNSt15iterator_traitsISZ_E10value_typeET2_T3_PNS10_IS15_E10value_typeET4_jRbjT5_S1B_jjP12ihipStream_tbEUljE_EEESW_SX_SY_S15_S19_S1B_T6_T7_T9_mT8_S1D_bDpT10_ENKUlT_T0_E_clISt17integral_constantIbLb1EES1Q_EEDaS1L_S1M_EUlS1L_E_NS1_11comp_targetILNS1_3genE0ELNS1_11target_archE4294967295ELNS1_3gpuE0ELNS1_3repE0EEENS1_30default_config_static_selectorELNS0_4arch9wavefront6targetE0EEEvSZ_.private_seg_size, 0
	.set _ZN7rocprim17ROCPRIM_400000_NS6detail17trampoline_kernelINS0_13select_configILj256ELj13ELNS0_17block_load_methodE3ELS4_3ELS4_3ELNS0_20block_scan_algorithmE0ELj4294967295EEENS1_25partition_config_selectorILNS1_17partition_subalgoE3EjNS0_10empty_typeEbEEZZNS1_14partition_implILS8_3ELb0ES6_jNS0_17counting_iteratorIjlEEPS9_SE_NS0_5tupleIJPjSE_EEENSF_IJSE_SE_EEES9_SG_JZNS1_25segmented_radix_sort_implINS0_14default_configELb0EPK12hip_bfloat16PSL_PKlPlN2at6native12_GLOBAL__N_18offset_tEEE10hipError_tPvRmT1_PNSt15iterator_traitsISZ_E10value_typeET2_T3_PNS10_IS15_E10value_typeET4_jRbjT5_S1B_jjP12ihipStream_tbEUljE_EEESW_SX_SY_S15_S19_S1B_T6_T7_T9_mT8_S1D_bDpT10_ENKUlT_T0_E_clISt17integral_constantIbLb1EES1Q_EEDaS1L_S1M_EUlS1L_E_NS1_11comp_targetILNS1_3genE0ELNS1_11target_archE4294967295ELNS1_3gpuE0ELNS1_3repE0EEENS1_30default_config_static_selectorELNS0_4arch9wavefront6targetE0EEEvSZ_.uses_vcc, 0
	.set _ZN7rocprim17ROCPRIM_400000_NS6detail17trampoline_kernelINS0_13select_configILj256ELj13ELNS0_17block_load_methodE3ELS4_3ELS4_3ELNS0_20block_scan_algorithmE0ELj4294967295EEENS1_25partition_config_selectorILNS1_17partition_subalgoE3EjNS0_10empty_typeEbEEZZNS1_14partition_implILS8_3ELb0ES6_jNS0_17counting_iteratorIjlEEPS9_SE_NS0_5tupleIJPjSE_EEENSF_IJSE_SE_EEES9_SG_JZNS1_25segmented_radix_sort_implINS0_14default_configELb0EPK12hip_bfloat16PSL_PKlPlN2at6native12_GLOBAL__N_18offset_tEEE10hipError_tPvRmT1_PNSt15iterator_traitsISZ_E10value_typeET2_T3_PNS10_IS15_E10value_typeET4_jRbjT5_S1B_jjP12ihipStream_tbEUljE_EEESW_SX_SY_S15_S19_S1B_T6_T7_T9_mT8_S1D_bDpT10_ENKUlT_T0_E_clISt17integral_constantIbLb1EES1Q_EEDaS1L_S1M_EUlS1L_E_NS1_11comp_targetILNS1_3genE0ELNS1_11target_archE4294967295ELNS1_3gpuE0ELNS1_3repE0EEENS1_30default_config_static_selectorELNS0_4arch9wavefront6targetE0EEEvSZ_.uses_flat_scratch, 0
	.set _ZN7rocprim17ROCPRIM_400000_NS6detail17trampoline_kernelINS0_13select_configILj256ELj13ELNS0_17block_load_methodE3ELS4_3ELS4_3ELNS0_20block_scan_algorithmE0ELj4294967295EEENS1_25partition_config_selectorILNS1_17partition_subalgoE3EjNS0_10empty_typeEbEEZZNS1_14partition_implILS8_3ELb0ES6_jNS0_17counting_iteratorIjlEEPS9_SE_NS0_5tupleIJPjSE_EEENSF_IJSE_SE_EEES9_SG_JZNS1_25segmented_radix_sort_implINS0_14default_configELb0EPK12hip_bfloat16PSL_PKlPlN2at6native12_GLOBAL__N_18offset_tEEE10hipError_tPvRmT1_PNSt15iterator_traitsISZ_E10value_typeET2_T3_PNS10_IS15_E10value_typeET4_jRbjT5_S1B_jjP12ihipStream_tbEUljE_EEESW_SX_SY_S15_S19_S1B_T6_T7_T9_mT8_S1D_bDpT10_ENKUlT_T0_E_clISt17integral_constantIbLb1EES1Q_EEDaS1L_S1M_EUlS1L_E_NS1_11comp_targetILNS1_3genE0ELNS1_11target_archE4294967295ELNS1_3gpuE0ELNS1_3repE0EEENS1_30default_config_static_selectorELNS0_4arch9wavefront6targetE0EEEvSZ_.has_dyn_sized_stack, 0
	.set _ZN7rocprim17ROCPRIM_400000_NS6detail17trampoline_kernelINS0_13select_configILj256ELj13ELNS0_17block_load_methodE3ELS4_3ELS4_3ELNS0_20block_scan_algorithmE0ELj4294967295EEENS1_25partition_config_selectorILNS1_17partition_subalgoE3EjNS0_10empty_typeEbEEZZNS1_14partition_implILS8_3ELb0ES6_jNS0_17counting_iteratorIjlEEPS9_SE_NS0_5tupleIJPjSE_EEENSF_IJSE_SE_EEES9_SG_JZNS1_25segmented_radix_sort_implINS0_14default_configELb0EPK12hip_bfloat16PSL_PKlPlN2at6native12_GLOBAL__N_18offset_tEEE10hipError_tPvRmT1_PNSt15iterator_traitsISZ_E10value_typeET2_T3_PNS10_IS15_E10value_typeET4_jRbjT5_S1B_jjP12ihipStream_tbEUljE_EEESW_SX_SY_S15_S19_S1B_T6_T7_T9_mT8_S1D_bDpT10_ENKUlT_T0_E_clISt17integral_constantIbLb1EES1Q_EEDaS1L_S1M_EUlS1L_E_NS1_11comp_targetILNS1_3genE0ELNS1_11target_archE4294967295ELNS1_3gpuE0ELNS1_3repE0EEENS1_30default_config_static_selectorELNS0_4arch9wavefront6targetE0EEEvSZ_.has_recursion, 0
	.set _ZN7rocprim17ROCPRIM_400000_NS6detail17trampoline_kernelINS0_13select_configILj256ELj13ELNS0_17block_load_methodE3ELS4_3ELS4_3ELNS0_20block_scan_algorithmE0ELj4294967295EEENS1_25partition_config_selectorILNS1_17partition_subalgoE3EjNS0_10empty_typeEbEEZZNS1_14partition_implILS8_3ELb0ES6_jNS0_17counting_iteratorIjlEEPS9_SE_NS0_5tupleIJPjSE_EEENSF_IJSE_SE_EEES9_SG_JZNS1_25segmented_radix_sort_implINS0_14default_configELb0EPK12hip_bfloat16PSL_PKlPlN2at6native12_GLOBAL__N_18offset_tEEE10hipError_tPvRmT1_PNSt15iterator_traitsISZ_E10value_typeET2_T3_PNS10_IS15_E10value_typeET4_jRbjT5_S1B_jjP12ihipStream_tbEUljE_EEESW_SX_SY_S15_S19_S1B_T6_T7_T9_mT8_S1D_bDpT10_ENKUlT_T0_E_clISt17integral_constantIbLb1EES1Q_EEDaS1L_S1M_EUlS1L_E_NS1_11comp_targetILNS1_3genE0ELNS1_11target_archE4294967295ELNS1_3gpuE0ELNS1_3repE0EEENS1_30default_config_static_selectorELNS0_4arch9wavefront6targetE0EEEvSZ_.has_indirect_call, 0
	.section	.AMDGPU.csdata,"",@progbits
; Kernel info:
; codeLenInByte = 0
; TotalNumSgprs: 0
; NumVgprs: 0
; ScratchSize: 0
; MemoryBound: 0
; FloatMode: 240
; IeeeMode: 1
; LDSByteSize: 0 bytes/workgroup (compile time only)
; SGPRBlocks: 0
; VGPRBlocks: 0
; NumSGPRsForWavesPerEU: 1
; NumVGPRsForWavesPerEU: 1
; Occupancy: 16
; WaveLimiterHint : 0
; COMPUTE_PGM_RSRC2:SCRATCH_EN: 0
; COMPUTE_PGM_RSRC2:USER_SGPR: 6
; COMPUTE_PGM_RSRC2:TRAP_HANDLER: 0
; COMPUTE_PGM_RSRC2:TGID_X_EN: 1
; COMPUTE_PGM_RSRC2:TGID_Y_EN: 0
; COMPUTE_PGM_RSRC2:TGID_Z_EN: 0
; COMPUTE_PGM_RSRC2:TIDIG_COMP_CNT: 0
	.section	.text._ZN7rocprim17ROCPRIM_400000_NS6detail17trampoline_kernelINS0_13select_configILj256ELj13ELNS0_17block_load_methodE3ELS4_3ELS4_3ELNS0_20block_scan_algorithmE0ELj4294967295EEENS1_25partition_config_selectorILNS1_17partition_subalgoE3EjNS0_10empty_typeEbEEZZNS1_14partition_implILS8_3ELb0ES6_jNS0_17counting_iteratorIjlEEPS9_SE_NS0_5tupleIJPjSE_EEENSF_IJSE_SE_EEES9_SG_JZNS1_25segmented_radix_sort_implINS0_14default_configELb0EPK12hip_bfloat16PSL_PKlPlN2at6native12_GLOBAL__N_18offset_tEEE10hipError_tPvRmT1_PNSt15iterator_traitsISZ_E10value_typeET2_T3_PNS10_IS15_E10value_typeET4_jRbjT5_S1B_jjP12ihipStream_tbEUljE_EEESW_SX_SY_S15_S19_S1B_T6_T7_T9_mT8_S1D_bDpT10_ENKUlT_T0_E_clISt17integral_constantIbLb1EES1Q_EEDaS1L_S1M_EUlS1L_E_NS1_11comp_targetILNS1_3genE5ELNS1_11target_archE942ELNS1_3gpuE9ELNS1_3repE0EEENS1_30default_config_static_selectorELNS0_4arch9wavefront6targetE0EEEvSZ_,"axG",@progbits,_ZN7rocprim17ROCPRIM_400000_NS6detail17trampoline_kernelINS0_13select_configILj256ELj13ELNS0_17block_load_methodE3ELS4_3ELS4_3ELNS0_20block_scan_algorithmE0ELj4294967295EEENS1_25partition_config_selectorILNS1_17partition_subalgoE3EjNS0_10empty_typeEbEEZZNS1_14partition_implILS8_3ELb0ES6_jNS0_17counting_iteratorIjlEEPS9_SE_NS0_5tupleIJPjSE_EEENSF_IJSE_SE_EEES9_SG_JZNS1_25segmented_radix_sort_implINS0_14default_configELb0EPK12hip_bfloat16PSL_PKlPlN2at6native12_GLOBAL__N_18offset_tEEE10hipError_tPvRmT1_PNSt15iterator_traitsISZ_E10value_typeET2_T3_PNS10_IS15_E10value_typeET4_jRbjT5_S1B_jjP12ihipStream_tbEUljE_EEESW_SX_SY_S15_S19_S1B_T6_T7_T9_mT8_S1D_bDpT10_ENKUlT_T0_E_clISt17integral_constantIbLb1EES1Q_EEDaS1L_S1M_EUlS1L_E_NS1_11comp_targetILNS1_3genE5ELNS1_11target_archE942ELNS1_3gpuE9ELNS1_3repE0EEENS1_30default_config_static_selectorELNS0_4arch9wavefront6targetE0EEEvSZ_,comdat
	.globl	_ZN7rocprim17ROCPRIM_400000_NS6detail17trampoline_kernelINS0_13select_configILj256ELj13ELNS0_17block_load_methodE3ELS4_3ELS4_3ELNS0_20block_scan_algorithmE0ELj4294967295EEENS1_25partition_config_selectorILNS1_17partition_subalgoE3EjNS0_10empty_typeEbEEZZNS1_14partition_implILS8_3ELb0ES6_jNS0_17counting_iteratorIjlEEPS9_SE_NS0_5tupleIJPjSE_EEENSF_IJSE_SE_EEES9_SG_JZNS1_25segmented_radix_sort_implINS0_14default_configELb0EPK12hip_bfloat16PSL_PKlPlN2at6native12_GLOBAL__N_18offset_tEEE10hipError_tPvRmT1_PNSt15iterator_traitsISZ_E10value_typeET2_T3_PNS10_IS15_E10value_typeET4_jRbjT5_S1B_jjP12ihipStream_tbEUljE_EEESW_SX_SY_S15_S19_S1B_T6_T7_T9_mT8_S1D_bDpT10_ENKUlT_T0_E_clISt17integral_constantIbLb1EES1Q_EEDaS1L_S1M_EUlS1L_E_NS1_11comp_targetILNS1_3genE5ELNS1_11target_archE942ELNS1_3gpuE9ELNS1_3repE0EEENS1_30default_config_static_selectorELNS0_4arch9wavefront6targetE0EEEvSZ_ ; -- Begin function _ZN7rocprim17ROCPRIM_400000_NS6detail17trampoline_kernelINS0_13select_configILj256ELj13ELNS0_17block_load_methodE3ELS4_3ELS4_3ELNS0_20block_scan_algorithmE0ELj4294967295EEENS1_25partition_config_selectorILNS1_17partition_subalgoE3EjNS0_10empty_typeEbEEZZNS1_14partition_implILS8_3ELb0ES6_jNS0_17counting_iteratorIjlEEPS9_SE_NS0_5tupleIJPjSE_EEENSF_IJSE_SE_EEES9_SG_JZNS1_25segmented_radix_sort_implINS0_14default_configELb0EPK12hip_bfloat16PSL_PKlPlN2at6native12_GLOBAL__N_18offset_tEEE10hipError_tPvRmT1_PNSt15iterator_traitsISZ_E10value_typeET2_T3_PNS10_IS15_E10value_typeET4_jRbjT5_S1B_jjP12ihipStream_tbEUljE_EEESW_SX_SY_S15_S19_S1B_T6_T7_T9_mT8_S1D_bDpT10_ENKUlT_T0_E_clISt17integral_constantIbLb1EES1Q_EEDaS1L_S1M_EUlS1L_E_NS1_11comp_targetILNS1_3genE5ELNS1_11target_archE942ELNS1_3gpuE9ELNS1_3repE0EEENS1_30default_config_static_selectorELNS0_4arch9wavefront6targetE0EEEvSZ_
	.p2align	8
	.type	_ZN7rocprim17ROCPRIM_400000_NS6detail17trampoline_kernelINS0_13select_configILj256ELj13ELNS0_17block_load_methodE3ELS4_3ELS4_3ELNS0_20block_scan_algorithmE0ELj4294967295EEENS1_25partition_config_selectorILNS1_17partition_subalgoE3EjNS0_10empty_typeEbEEZZNS1_14partition_implILS8_3ELb0ES6_jNS0_17counting_iteratorIjlEEPS9_SE_NS0_5tupleIJPjSE_EEENSF_IJSE_SE_EEES9_SG_JZNS1_25segmented_radix_sort_implINS0_14default_configELb0EPK12hip_bfloat16PSL_PKlPlN2at6native12_GLOBAL__N_18offset_tEEE10hipError_tPvRmT1_PNSt15iterator_traitsISZ_E10value_typeET2_T3_PNS10_IS15_E10value_typeET4_jRbjT5_S1B_jjP12ihipStream_tbEUljE_EEESW_SX_SY_S15_S19_S1B_T6_T7_T9_mT8_S1D_bDpT10_ENKUlT_T0_E_clISt17integral_constantIbLb1EES1Q_EEDaS1L_S1M_EUlS1L_E_NS1_11comp_targetILNS1_3genE5ELNS1_11target_archE942ELNS1_3gpuE9ELNS1_3repE0EEENS1_30default_config_static_selectorELNS0_4arch9wavefront6targetE0EEEvSZ_,@function
_ZN7rocprim17ROCPRIM_400000_NS6detail17trampoline_kernelINS0_13select_configILj256ELj13ELNS0_17block_load_methodE3ELS4_3ELS4_3ELNS0_20block_scan_algorithmE0ELj4294967295EEENS1_25partition_config_selectorILNS1_17partition_subalgoE3EjNS0_10empty_typeEbEEZZNS1_14partition_implILS8_3ELb0ES6_jNS0_17counting_iteratorIjlEEPS9_SE_NS0_5tupleIJPjSE_EEENSF_IJSE_SE_EEES9_SG_JZNS1_25segmented_radix_sort_implINS0_14default_configELb0EPK12hip_bfloat16PSL_PKlPlN2at6native12_GLOBAL__N_18offset_tEEE10hipError_tPvRmT1_PNSt15iterator_traitsISZ_E10value_typeET2_T3_PNS10_IS15_E10value_typeET4_jRbjT5_S1B_jjP12ihipStream_tbEUljE_EEESW_SX_SY_S15_S19_S1B_T6_T7_T9_mT8_S1D_bDpT10_ENKUlT_T0_E_clISt17integral_constantIbLb1EES1Q_EEDaS1L_S1M_EUlS1L_E_NS1_11comp_targetILNS1_3genE5ELNS1_11target_archE942ELNS1_3gpuE9ELNS1_3repE0EEENS1_30default_config_static_selectorELNS0_4arch9wavefront6targetE0EEEvSZ_: ; @_ZN7rocprim17ROCPRIM_400000_NS6detail17trampoline_kernelINS0_13select_configILj256ELj13ELNS0_17block_load_methodE3ELS4_3ELS4_3ELNS0_20block_scan_algorithmE0ELj4294967295EEENS1_25partition_config_selectorILNS1_17partition_subalgoE3EjNS0_10empty_typeEbEEZZNS1_14partition_implILS8_3ELb0ES6_jNS0_17counting_iteratorIjlEEPS9_SE_NS0_5tupleIJPjSE_EEENSF_IJSE_SE_EEES9_SG_JZNS1_25segmented_radix_sort_implINS0_14default_configELb0EPK12hip_bfloat16PSL_PKlPlN2at6native12_GLOBAL__N_18offset_tEEE10hipError_tPvRmT1_PNSt15iterator_traitsISZ_E10value_typeET2_T3_PNS10_IS15_E10value_typeET4_jRbjT5_S1B_jjP12ihipStream_tbEUljE_EEESW_SX_SY_S15_S19_S1B_T6_T7_T9_mT8_S1D_bDpT10_ENKUlT_T0_E_clISt17integral_constantIbLb1EES1Q_EEDaS1L_S1M_EUlS1L_E_NS1_11comp_targetILNS1_3genE5ELNS1_11target_archE942ELNS1_3gpuE9ELNS1_3repE0EEENS1_30default_config_static_selectorELNS0_4arch9wavefront6targetE0EEEvSZ_
; %bb.0:
	.section	.rodata,"a",@progbits
	.p2align	6, 0x0
	.amdhsa_kernel _ZN7rocprim17ROCPRIM_400000_NS6detail17trampoline_kernelINS0_13select_configILj256ELj13ELNS0_17block_load_methodE3ELS4_3ELS4_3ELNS0_20block_scan_algorithmE0ELj4294967295EEENS1_25partition_config_selectorILNS1_17partition_subalgoE3EjNS0_10empty_typeEbEEZZNS1_14partition_implILS8_3ELb0ES6_jNS0_17counting_iteratorIjlEEPS9_SE_NS0_5tupleIJPjSE_EEENSF_IJSE_SE_EEES9_SG_JZNS1_25segmented_radix_sort_implINS0_14default_configELb0EPK12hip_bfloat16PSL_PKlPlN2at6native12_GLOBAL__N_18offset_tEEE10hipError_tPvRmT1_PNSt15iterator_traitsISZ_E10value_typeET2_T3_PNS10_IS15_E10value_typeET4_jRbjT5_S1B_jjP12ihipStream_tbEUljE_EEESW_SX_SY_S15_S19_S1B_T6_T7_T9_mT8_S1D_bDpT10_ENKUlT_T0_E_clISt17integral_constantIbLb1EES1Q_EEDaS1L_S1M_EUlS1L_E_NS1_11comp_targetILNS1_3genE5ELNS1_11target_archE942ELNS1_3gpuE9ELNS1_3repE0EEENS1_30default_config_static_selectorELNS0_4arch9wavefront6targetE0EEEvSZ_
		.amdhsa_group_segment_fixed_size 0
		.amdhsa_private_segment_fixed_size 0
		.amdhsa_kernarg_size 152
		.amdhsa_user_sgpr_count 6
		.amdhsa_user_sgpr_private_segment_buffer 1
		.amdhsa_user_sgpr_dispatch_ptr 0
		.amdhsa_user_sgpr_queue_ptr 0
		.amdhsa_user_sgpr_kernarg_segment_ptr 1
		.amdhsa_user_sgpr_dispatch_id 0
		.amdhsa_user_sgpr_flat_scratch_init 0
		.amdhsa_user_sgpr_private_segment_size 0
		.amdhsa_wavefront_size32 1
		.amdhsa_uses_dynamic_stack 0
		.amdhsa_system_sgpr_private_segment_wavefront_offset 0
		.amdhsa_system_sgpr_workgroup_id_x 1
		.amdhsa_system_sgpr_workgroup_id_y 0
		.amdhsa_system_sgpr_workgroup_id_z 0
		.amdhsa_system_sgpr_workgroup_info 0
		.amdhsa_system_vgpr_workitem_id 0
		.amdhsa_next_free_vgpr 1
		.amdhsa_next_free_sgpr 1
		.amdhsa_reserve_vcc 0
		.amdhsa_reserve_flat_scratch 0
		.amdhsa_float_round_mode_32 0
		.amdhsa_float_round_mode_16_64 0
		.amdhsa_float_denorm_mode_32 3
		.amdhsa_float_denorm_mode_16_64 3
		.amdhsa_dx10_clamp 1
		.amdhsa_ieee_mode 1
		.amdhsa_fp16_overflow 0
		.amdhsa_workgroup_processor_mode 1
		.amdhsa_memory_ordered 1
		.amdhsa_forward_progress 1
		.amdhsa_shared_vgpr_count 0
		.amdhsa_exception_fp_ieee_invalid_op 0
		.amdhsa_exception_fp_denorm_src 0
		.amdhsa_exception_fp_ieee_div_zero 0
		.amdhsa_exception_fp_ieee_overflow 0
		.amdhsa_exception_fp_ieee_underflow 0
		.amdhsa_exception_fp_ieee_inexact 0
		.amdhsa_exception_int_div_zero 0
	.end_amdhsa_kernel
	.section	.text._ZN7rocprim17ROCPRIM_400000_NS6detail17trampoline_kernelINS0_13select_configILj256ELj13ELNS0_17block_load_methodE3ELS4_3ELS4_3ELNS0_20block_scan_algorithmE0ELj4294967295EEENS1_25partition_config_selectorILNS1_17partition_subalgoE3EjNS0_10empty_typeEbEEZZNS1_14partition_implILS8_3ELb0ES6_jNS0_17counting_iteratorIjlEEPS9_SE_NS0_5tupleIJPjSE_EEENSF_IJSE_SE_EEES9_SG_JZNS1_25segmented_radix_sort_implINS0_14default_configELb0EPK12hip_bfloat16PSL_PKlPlN2at6native12_GLOBAL__N_18offset_tEEE10hipError_tPvRmT1_PNSt15iterator_traitsISZ_E10value_typeET2_T3_PNS10_IS15_E10value_typeET4_jRbjT5_S1B_jjP12ihipStream_tbEUljE_EEESW_SX_SY_S15_S19_S1B_T6_T7_T9_mT8_S1D_bDpT10_ENKUlT_T0_E_clISt17integral_constantIbLb1EES1Q_EEDaS1L_S1M_EUlS1L_E_NS1_11comp_targetILNS1_3genE5ELNS1_11target_archE942ELNS1_3gpuE9ELNS1_3repE0EEENS1_30default_config_static_selectorELNS0_4arch9wavefront6targetE0EEEvSZ_,"axG",@progbits,_ZN7rocprim17ROCPRIM_400000_NS6detail17trampoline_kernelINS0_13select_configILj256ELj13ELNS0_17block_load_methodE3ELS4_3ELS4_3ELNS0_20block_scan_algorithmE0ELj4294967295EEENS1_25partition_config_selectorILNS1_17partition_subalgoE3EjNS0_10empty_typeEbEEZZNS1_14partition_implILS8_3ELb0ES6_jNS0_17counting_iteratorIjlEEPS9_SE_NS0_5tupleIJPjSE_EEENSF_IJSE_SE_EEES9_SG_JZNS1_25segmented_radix_sort_implINS0_14default_configELb0EPK12hip_bfloat16PSL_PKlPlN2at6native12_GLOBAL__N_18offset_tEEE10hipError_tPvRmT1_PNSt15iterator_traitsISZ_E10value_typeET2_T3_PNS10_IS15_E10value_typeET4_jRbjT5_S1B_jjP12ihipStream_tbEUljE_EEESW_SX_SY_S15_S19_S1B_T6_T7_T9_mT8_S1D_bDpT10_ENKUlT_T0_E_clISt17integral_constantIbLb1EES1Q_EEDaS1L_S1M_EUlS1L_E_NS1_11comp_targetILNS1_3genE5ELNS1_11target_archE942ELNS1_3gpuE9ELNS1_3repE0EEENS1_30default_config_static_selectorELNS0_4arch9wavefront6targetE0EEEvSZ_,comdat
.Lfunc_end2016:
	.size	_ZN7rocprim17ROCPRIM_400000_NS6detail17trampoline_kernelINS0_13select_configILj256ELj13ELNS0_17block_load_methodE3ELS4_3ELS4_3ELNS0_20block_scan_algorithmE0ELj4294967295EEENS1_25partition_config_selectorILNS1_17partition_subalgoE3EjNS0_10empty_typeEbEEZZNS1_14partition_implILS8_3ELb0ES6_jNS0_17counting_iteratorIjlEEPS9_SE_NS0_5tupleIJPjSE_EEENSF_IJSE_SE_EEES9_SG_JZNS1_25segmented_radix_sort_implINS0_14default_configELb0EPK12hip_bfloat16PSL_PKlPlN2at6native12_GLOBAL__N_18offset_tEEE10hipError_tPvRmT1_PNSt15iterator_traitsISZ_E10value_typeET2_T3_PNS10_IS15_E10value_typeET4_jRbjT5_S1B_jjP12ihipStream_tbEUljE_EEESW_SX_SY_S15_S19_S1B_T6_T7_T9_mT8_S1D_bDpT10_ENKUlT_T0_E_clISt17integral_constantIbLb1EES1Q_EEDaS1L_S1M_EUlS1L_E_NS1_11comp_targetILNS1_3genE5ELNS1_11target_archE942ELNS1_3gpuE9ELNS1_3repE0EEENS1_30default_config_static_selectorELNS0_4arch9wavefront6targetE0EEEvSZ_, .Lfunc_end2016-_ZN7rocprim17ROCPRIM_400000_NS6detail17trampoline_kernelINS0_13select_configILj256ELj13ELNS0_17block_load_methodE3ELS4_3ELS4_3ELNS0_20block_scan_algorithmE0ELj4294967295EEENS1_25partition_config_selectorILNS1_17partition_subalgoE3EjNS0_10empty_typeEbEEZZNS1_14partition_implILS8_3ELb0ES6_jNS0_17counting_iteratorIjlEEPS9_SE_NS0_5tupleIJPjSE_EEENSF_IJSE_SE_EEES9_SG_JZNS1_25segmented_radix_sort_implINS0_14default_configELb0EPK12hip_bfloat16PSL_PKlPlN2at6native12_GLOBAL__N_18offset_tEEE10hipError_tPvRmT1_PNSt15iterator_traitsISZ_E10value_typeET2_T3_PNS10_IS15_E10value_typeET4_jRbjT5_S1B_jjP12ihipStream_tbEUljE_EEESW_SX_SY_S15_S19_S1B_T6_T7_T9_mT8_S1D_bDpT10_ENKUlT_T0_E_clISt17integral_constantIbLb1EES1Q_EEDaS1L_S1M_EUlS1L_E_NS1_11comp_targetILNS1_3genE5ELNS1_11target_archE942ELNS1_3gpuE9ELNS1_3repE0EEENS1_30default_config_static_selectorELNS0_4arch9wavefront6targetE0EEEvSZ_
                                        ; -- End function
	.set _ZN7rocprim17ROCPRIM_400000_NS6detail17trampoline_kernelINS0_13select_configILj256ELj13ELNS0_17block_load_methodE3ELS4_3ELS4_3ELNS0_20block_scan_algorithmE0ELj4294967295EEENS1_25partition_config_selectorILNS1_17partition_subalgoE3EjNS0_10empty_typeEbEEZZNS1_14partition_implILS8_3ELb0ES6_jNS0_17counting_iteratorIjlEEPS9_SE_NS0_5tupleIJPjSE_EEENSF_IJSE_SE_EEES9_SG_JZNS1_25segmented_radix_sort_implINS0_14default_configELb0EPK12hip_bfloat16PSL_PKlPlN2at6native12_GLOBAL__N_18offset_tEEE10hipError_tPvRmT1_PNSt15iterator_traitsISZ_E10value_typeET2_T3_PNS10_IS15_E10value_typeET4_jRbjT5_S1B_jjP12ihipStream_tbEUljE_EEESW_SX_SY_S15_S19_S1B_T6_T7_T9_mT8_S1D_bDpT10_ENKUlT_T0_E_clISt17integral_constantIbLb1EES1Q_EEDaS1L_S1M_EUlS1L_E_NS1_11comp_targetILNS1_3genE5ELNS1_11target_archE942ELNS1_3gpuE9ELNS1_3repE0EEENS1_30default_config_static_selectorELNS0_4arch9wavefront6targetE0EEEvSZ_.num_vgpr, 0
	.set _ZN7rocprim17ROCPRIM_400000_NS6detail17trampoline_kernelINS0_13select_configILj256ELj13ELNS0_17block_load_methodE3ELS4_3ELS4_3ELNS0_20block_scan_algorithmE0ELj4294967295EEENS1_25partition_config_selectorILNS1_17partition_subalgoE3EjNS0_10empty_typeEbEEZZNS1_14partition_implILS8_3ELb0ES6_jNS0_17counting_iteratorIjlEEPS9_SE_NS0_5tupleIJPjSE_EEENSF_IJSE_SE_EEES9_SG_JZNS1_25segmented_radix_sort_implINS0_14default_configELb0EPK12hip_bfloat16PSL_PKlPlN2at6native12_GLOBAL__N_18offset_tEEE10hipError_tPvRmT1_PNSt15iterator_traitsISZ_E10value_typeET2_T3_PNS10_IS15_E10value_typeET4_jRbjT5_S1B_jjP12ihipStream_tbEUljE_EEESW_SX_SY_S15_S19_S1B_T6_T7_T9_mT8_S1D_bDpT10_ENKUlT_T0_E_clISt17integral_constantIbLb1EES1Q_EEDaS1L_S1M_EUlS1L_E_NS1_11comp_targetILNS1_3genE5ELNS1_11target_archE942ELNS1_3gpuE9ELNS1_3repE0EEENS1_30default_config_static_selectorELNS0_4arch9wavefront6targetE0EEEvSZ_.num_agpr, 0
	.set _ZN7rocprim17ROCPRIM_400000_NS6detail17trampoline_kernelINS0_13select_configILj256ELj13ELNS0_17block_load_methodE3ELS4_3ELS4_3ELNS0_20block_scan_algorithmE0ELj4294967295EEENS1_25partition_config_selectorILNS1_17partition_subalgoE3EjNS0_10empty_typeEbEEZZNS1_14partition_implILS8_3ELb0ES6_jNS0_17counting_iteratorIjlEEPS9_SE_NS0_5tupleIJPjSE_EEENSF_IJSE_SE_EEES9_SG_JZNS1_25segmented_radix_sort_implINS0_14default_configELb0EPK12hip_bfloat16PSL_PKlPlN2at6native12_GLOBAL__N_18offset_tEEE10hipError_tPvRmT1_PNSt15iterator_traitsISZ_E10value_typeET2_T3_PNS10_IS15_E10value_typeET4_jRbjT5_S1B_jjP12ihipStream_tbEUljE_EEESW_SX_SY_S15_S19_S1B_T6_T7_T9_mT8_S1D_bDpT10_ENKUlT_T0_E_clISt17integral_constantIbLb1EES1Q_EEDaS1L_S1M_EUlS1L_E_NS1_11comp_targetILNS1_3genE5ELNS1_11target_archE942ELNS1_3gpuE9ELNS1_3repE0EEENS1_30default_config_static_selectorELNS0_4arch9wavefront6targetE0EEEvSZ_.numbered_sgpr, 0
	.set _ZN7rocprim17ROCPRIM_400000_NS6detail17trampoline_kernelINS0_13select_configILj256ELj13ELNS0_17block_load_methodE3ELS4_3ELS4_3ELNS0_20block_scan_algorithmE0ELj4294967295EEENS1_25partition_config_selectorILNS1_17partition_subalgoE3EjNS0_10empty_typeEbEEZZNS1_14partition_implILS8_3ELb0ES6_jNS0_17counting_iteratorIjlEEPS9_SE_NS0_5tupleIJPjSE_EEENSF_IJSE_SE_EEES9_SG_JZNS1_25segmented_radix_sort_implINS0_14default_configELb0EPK12hip_bfloat16PSL_PKlPlN2at6native12_GLOBAL__N_18offset_tEEE10hipError_tPvRmT1_PNSt15iterator_traitsISZ_E10value_typeET2_T3_PNS10_IS15_E10value_typeET4_jRbjT5_S1B_jjP12ihipStream_tbEUljE_EEESW_SX_SY_S15_S19_S1B_T6_T7_T9_mT8_S1D_bDpT10_ENKUlT_T0_E_clISt17integral_constantIbLb1EES1Q_EEDaS1L_S1M_EUlS1L_E_NS1_11comp_targetILNS1_3genE5ELNS1_11target_archE942ELNS1_3gpuE9ELNS1_3repE0EEENS1_30default_config_static_selectorELNS0_4arch9wavefront6targetE0EEEvSZ_.num_named_barrier, 0
	.set _ZN7rocprim17ROCPRIM_400000_NS6detail17trampoline_kernelINS0_13select_configILj256ELj13ELNS0_17block_load_methodE3ELS4_3ELS4_3ELNS0_20block_scan_algorithmE0ELj4294967295EEENS1_25partition_config_selectorILNS1_17partition_subalgoE3EjNS0_10empty_typeEbEEZZNS1_14partition_implILS8_3ELb0ES6_jNS0_17counting_iteratorIjlEEPS9_SE_NS0_5tupleIJPjSE_EEENSF_IJSE_SE_EEES9_SG_JZNS1_25segmented_radix_sort_implINS0_14default_configELb0EPK12hip_bfloat16PSL_PKlPlN2at6native12_GLOBAL__N_18offset_tEEE10hipError_tPvRmT1_PNSt15iterator_traitsISZ_E10value_typeET2_T3_PNS10_IS15_E10value_typeET4_jRbjT5_S1B_jjP12ihipStream_tbEUljE_EEESW_SX_SY_S15_S19_S1B_T6_T7_T9_mT8_S1D_bDpT10_ENKUlT_T0_E_clISt17integral_constantIbLb1EES1Q_EEDaS1L_S1M_EUlS1L_E_NS1_11comp_targetILNS1_3genE5ELNS1_11target_archE942ELNS1_3gpuE9ELNS1_3repE0EEENS1_30default_config_static_selectorELNS0_4arch9wavefront6targetE0EEEvSZ_.private_seg_size, 0
	.set _ZN7rocprim17ROCPRIM_400000_NS6detail17trampoline_kernelINS0_13select_configILj256ELj13ELNS0_17block_load_methodE3ELS4_3ELS4_3ELNS0_20block_scan_algorithmE0ELj4294967295EEENS1_25partition_config_selectorILNS1_17partition_subalgoE3EjNS0_10empty_typeEbEEZZNS1_14partition_implILS8_3ELb0ES6_jNS0_17counting_iteratorIjlEEPS9_SE_NS0_5tupleIJPjSE_EEENSF_IJSE_SE_EEES9_SG_JZNS1_25segmented_radix_sort_implINS0_14default_configELb0EPK12hip_bfloat16PSL_PKlPlN2at6native12_GLOBAL__N_18offset_tEEE10hipError_tPvRmT1_PNSt15iterator_traitsISZ_E10value_typeET2_T3_PNS10_IS15_E10value_typeET4_jRbjT5_S1B_jjP12ihipStream_tbEUljE_EEESW_SX_SY_S15_S19_S1B_T6_T7_T9_mT8_S1D_bDpT10_ENKUlT_T0_E_clISt17integral_constantIbLb1EES1Q_EEDaS1L_S1M_EUlS1L_E_NS1_11comp_targetILNS1_3genE5ELNS1_11target_archE942ELNS1_3gpuE9ELNS1_3repE0EEENS1_30default_config_static_selectorELNS0_4arch9wavefront6targetE0EEEvSZ_.uses_vcc, 0
	.set _ZN7rocprim17ROCPRIM_400000_NS6detail17trampoline_kernelINS0_13select_configILj256ELj13ELNS0_17block_load_methodE3ELS4_3ELS4_3ELNS0_20block_scan_algorithmE0ELj4294967295EEENS1_25partition_config_selectorILNS1_17partition_subalgoE3EjNS0_10empty_typeEbEEZZNS1_14partition_implILS8_3ELb0ES6_jNS0_17counting_iteratorIjlEEPS9_SE_NS0_5tupleIJPjSE_EEENSF_IJSE_SE_EEES9_SG_JZNS1_25segmented_radix_sort_implINS0_14default_configELb0EPK12hip_bfloat16PSL_PKlPlN2at6native12_GLOBAL__N_18offset_tEEE10hipError_tPvRmT1_PNSt15iterator_traitsISZ_E10value_typeET2_T3_PNS10_IS15_E10value_typeET4_jRbjT5_S1B_jjP12ihipStream_tbEUljE_EEESW_SX_SY_S15_S19_S1B_T6_T7_T9_mT8_S1D_bDpT10_ENKUlT_T0_E_clISt17integral_constantIbLb1EES1Q_EEDaS1L_S1M_EUlS1L_E_NS1_11comp_targetILNS1_3genE5ELNS1_11target_archE942ELNS1_3gpuE9ELNS1_3repE0EEENS1_30default_config_static_selectorELNS0_4arch9wavefront6targetE0EEEvSZ_.uses_flat_scratch, 0
	.set _ZN7rocprim17ROCPRIM_400000_NS6detail17trampoline_kernelINS0_13select_configILj256ELj13ELNS0_17block_load_methodE3ELS4_3ELS4_3ELNS0_20block_scan_algorithmE0ELj4294967295EEENS1_25partition_config_selectorILNS1_17partition_subalgoE3EjNS0_10empty_typeEbEEZZNS1_14partition_implILS8_3ELb0ES6_jNS0_17counting_iteratorIjlEEPS9_SE_NS0_5tupleIJPjSE_EEENSF_IJSE_SE_EEES9_SG_JZNS1_25segmented_radix_sort_implINS0_14default_configELb0EPK12hip_bfloat16PSL_PKlPlN2at6native12_GLOBAL__N_18offset_tEEE10hipError_tPvRmT1_PNSt15iterator_traitsISZ_E10value_typeET2_T3_PNS10_IS15_E10value_typeET4_jRbjT5_S1B_jjP12ihipStream_tbEUljE_EEESW_SX_SY_S15_S19_S1B_T6_T7_T9_mT8_S1D_bDpT10_ENKUlT_T0_E_clISt17integral_constantIbLb1EES1Q_EEDaS1L_S1M_EUlS1L_E_NS1_11comp_targetILNS1_3genE5ELNS1_11target_archE942ELNS1_3gpuE9ELNS1_3repE0EEENS1_30default_config_static_selectorELNS0_4arch9wavefront6targetE0EEEvSZ_.has_dyn_sized_stack, 0
	.set _ZN7rocprim17ROCPRIM_400000_NS6detail17trampoline_kernelINS0_13select_configILj256ELj13ELNS0_17block_load_methodE3ELS4_3ELS4_3ELNS0_20block_scan_algorithmE0ELj4294967295EEENS1_25partition_config_selectorILNS1_17partition_subalgoE3EjNS0_10empty_typeEbEEZZNS1_14partition_implILS8_3ELb0ES6_jNS0_17counting_iteratorIjlEEPS9_SE_NS0_5tupleIJPjSE_EEENSF_IJSE_SE_EEES9_SG_JZNS1_25segmented_radix_sort_implINS0_14default_configELb0EPK12hip_bfloat16PSL_PKlPlN2at6native12_GLOBAL__N_18offset_tEEE10hipError_tPvRmT1_PNSt15iterator_traitsISZ_E10value_typeET2_T3_PNS10_IS15_E10value_typeET4_jRbjT5_S1B_jjP12ihipStream_tbEUljE_EEESW_SX_SY_S15_S19_S1B_T6_T7_T9_mT8_S1D_bDpT10_ENKUlT_T0_E_clISt17integral_constantIbLb1EES1Q_EEDaS1L_S1M_EUlS1L_E_NS1_11comp_targetILNS1_3genE5ELNS1_11target_archE942ELNS1_3gpuE9ELNS1_3repE0EEENS1_30default_config_static_selectorELNS0_4arch9wavefront6targetE0EEEvSZ_.has_recursion, 0
	.set _ZN7rocprim17ROCPRIM_400000_NS6detail17trampoline_kernelINS0_13select_configILj256ELj13ELNS0_17block_load_methodE3ELS4_3ELS4_3ELNS0_20block_scan_algorithmE0ELj4294967295EEENS1_25partition_config_selectorILNS1_17partition_subalgoE3EjNS0_10empty_typeEbEEZZNS1_14partition_implILS8_3ELb0ES6_jNS0_17counting_iteratorIjlEEPS9_SE_NS0_5tupleIJPjSE_EEENSF_IJSE_SE_EEES9_SG_JZNS1_25segmented_radix_sort_implINS0_14default_configELb0EPK12hip_bfloat16PSL_PKlPlN2at6native12_GLOBAL__N_18offset_tEEE10hipError_tPvRmT1_PNSt15iterator_traitsISZ_E10value_typeET2_T3_PNS10_IS15_E10value_typeET4_jRbjT5_S1B_jjP12ihipStream_tbEUljE_EEESW_SX_SY_S15_S19_S1B_T6_T7_T9_mT8_S1D_bDpT10_ENKUlT_T0_E_clISt17integral_constantIbLb1EES1Q_EEDaS1L_S1M_EUlS1L_E_NS1_11comp_targetILNS1_3genE5ELNS1_11target_archE942ELNS1_3gpuE9ELNS1_3repE0EEENS1_30default_config_static_selectorELNS0_4arch9wavefront6targetE0EEEvSZ_.has_indirect_call, 0
	.section	.AMDGPU.csdata,"",@progbits
; Kernel info:
; codeLenInByte = 0
; TotalNumSgprs: 0
; NumVgprs: 0
; ScratchSize: 0
; MemoryBound: 0
; FloatMode: 240
; IeeeMode: 1
; LDSByteSize: 0 bytes/workgroup (compile time only)
; SGPRBlocks: 0
; VGPRBlocks: 0
; NumSGPRsForWavesPerEU: 1
; NumVGPRsForWavesPerEU: 1
; Occupancy: 16
; WaveLimiterHint : 0
; COMPUTE_PGM_RSRC2:SCRATCH_EN: 0
; COMPUTE_PGM_RSRC2:USER_SGPR: 6
; COMPUTE_PGM_RSRC2:TRAP_HANDLER: 0
; COMPUTE_PGM_RSRC2:TGID_X_EN: 1
; COMPUTE_PGM_RSRC2:TGID_Y_EN: 0
; COMPUTE_PGM_RSRC2:TGID_Z_EN: 0
; COMPUTE_PGM_RSRC2:TIDIG_COMP_CNT: 0
	.section	.text._ZN7rocprim17ROCPRIM_400000_NS6detail17trampoline_kernelINS0_13select_configILj256ELj13ELNS0_17block_load_methodE3ELS4_3ELS4_3ELNS0_20block_scan_algorithmE0ELj4294967295EEENS1_25partition_config_selectorILNS1_17partition_subalgoE3EjNS0_10empty_typeEbEEZZNS1_14partition_implILS8_3ELb0ES6_jNS0_17counting_iteratorIjlEEPS9_SE_NS0_5tupleIJPjSE_EEENSF_IJSE_SE_EEES9_SG_JZNS1_25segmented_radix_sort_implINS0_14default_configELb0EPK12hip_bfloat16PSL_PKlPlN2at6native12_GLOBAL__N_18offset_tEEE10hipError_tPvRmT1_PNSt15iterator_traitsISZ_E10value_typeET2_T3_PNS10_IS15_E10value_typeET4_jRbjT5_S1B_jjP12ihipStream_tbEUljE_EEESW_SX_SY_S15_S19_S1B_T6_T7_T9_mT8_S1D_bDpT10_ENKUlT_T0_E_clISt17integral_constantIbLb1EES1Q_EEDaS1L_S1M_EUlS1L_E_NS1_11comp_targetILNS1_3genE4ELNS1_11target_archE910ELNS1_3gpuE8ELNS1_3repE0EEENS1_30default_config_static_selectorELNS0_4arch9wavefront6targetE0EEEvSZ_,"axG",@progbits,_ZN7rocprim17ROCPRIM_400000_NS6detail17trampoline_kernelINS0_13select_configILj256ELj13ELNS0_17block_load_methodE3ELS4_3ELS4_3ELNS0_20block_scan_algorithmE0ELj4294967295EEENS1_25partition_config_selectorILNS1_17partition_subalgoE3EjNS0_10empty_typeEbEEZZNS1_14partition_implILS8_3ELb0ES6_jNS0_17counting_iteratorIjlEEPS9_SE_NS0_5tupleIJPjSE_EEENSF_IJSE_SE_EEES9_SG_JZNS1_25segmented_radix_sort_implINS0_14default_configELb0EPK12hip_bfloat16PSL_PKlPlN2at6native12_GLOBAL__N_18offset_tEEE10hipError_tPvRmT1_PNSt15iterator_traitsISZ_E10value_typeET2_T3_PNS10_IS15_E10value_typeET4_jRbjT5_S1B_jjP12ihipStream_tbEUljE_EEESW_SX_SY_S15_S19_S1B_T6_T7_T9_mT8_S1D_bDpT10_ENKUlT_T0_E_clISt17integral_constantIbLb1EES1Q_EEDaS1L_S1M_EUlS1L_E_NS1_11comp_targetILNS1_3genE4ELNS1_11target_archE910ELNS1_3gpuE8ELNS1_3repE0EEENS1_30default_config_static_selectorELNS0_4arch9wavefront6targetE0EEEvSZ_,comdat
	.globl	_ZN7rocprim17ROCPRIM_400000_NS6detail17trampoline_kernelINS0_13select_configILj256ELj13ELNS0_17block_load_methodE3ELS4_3ELS4_3ELNS0_20block_scan_algorithmE0ELj4294967295EEENS1_25partition_config_selectorILNS1_17partition_subalgoE3EjNS0_10empty_typeEbEEZZNS1_14partition_implILS8_3ELb0ES6_jNS0_17counting_iteratorIjlEEPS9_SE_NS0_5tupleIJPjSE_EEENSF_IJSE_SE_EEES9_SG_JZNS1_25segmented_radix_sort_implINS0_14default_configELb0EPK12hip_bfloat16PSL_PKlPlN2at6native12_GLOBAL__N_18offset_tEEE10hipError_tPvRmT1_PNSt15iterator_traitsISZ_E10value_typeET2_T3_PNS10_IS15_E10value_typeET4_jRbjT5_S1B_jjP12ihipStream_tbEUljE_EEESW_SX_SY_S15_S19_S1B_T6_T7_T9_mT8_S1D_bDpT10_ENKUlT_T0_E_clISt17integral_constantIbLb1EES1Q_EEDaS1L_S1M_EUlS1L_E_NS1_11comp_targetILNS1_3genE4ELNS1_11target_archE910ELNS1_3gpuE8ELNS1_3repE0EEENS1_30default_config_static_selectorELNS0_4arch9wavefront6targetE0EEEvSZ_ ; -- Begin function _ZN7rocprim17ROCPRIM_400000_NS6detail17trampoline_kernelINS0_13select_configILj256ELj13ELNS0_17block_load_methodE3ELS4_3ELS4_3ELNS0_20block_scan_algorithmE0ELj4294967295EEENS1_25partition_config_selectorILNS1_17partition_subalgoE3EjNS0_10empty_typeEbEEZZNS1_14partition_implILS8_3ELb0ES6_jNS0_17counting_iteratorIjlEEPS9_SE_NS0_5tupleIJPjSE_EEENSF_IJSE_SE_EEES9_SG_JZNS1_25segmented_radix_sort_implINS0_14default_configELb0EPK12hip_bfloat16PSL_PKlPlN2at6native12_GLOBAL__N_18offset_tEEE10hipError_tPvRmT1_PNSt15iterator_traitsISZ_E10value_typeET2_T3_PNS10_IS15_E10value_typeET4_jRbjT5_S1B_jjP12ihipStream_tbEUljE_EEESW_SX_SY_S15_S19_S1B_T6_T7_T9_mT8_S1D_bDpT10_ENKUlT_T0_E_clISt17integral_constantIbLb1EES1Q_EEDaS1L_S1M_EUlS1L_E_NS1_11comp_targetILNS1_3genE4ELNS1_11target_archE910ELNS1_3gpuE8ELNS1_3repE0EEENS1_30default_config_static_selectorELNS0_4arch9wavefront6targetE0EEEvSZ_
	.p2align	8
	.type	_ZN7rocprim17ROCPRIM_400000_NS6detail17trampoline_kernelINS0_13select_configILj256ELj13ELNS0_17block_load_methodE3ELS4_3ELS4_3ELNS0_20block_scan_algorithmE0ELj4294967295EEENS1_25partition_config_selectorILNS1_17partition_subalgoE3EjNS0_10empty_typeEbEEZZNS1_14partition_implILS8_3ELb0ES6_jNS0_17counting_iteratorIjlEEPS9_SE_NS0_5tupleIJPjSE_EEENSF_IJSE_SE_EEES9_SG_JZNS1_25segmented_radix_sort_implINS0_14default_configELb0EPK12hip_bfloat16PSL_PKlPlN2at6native12_GLOBAL__N_18offset_tEEE10hipError_tPvRmT1_PNSt15iterator_traitsISZ_E10value_typeET2_T3_PNS10_IS15_E10value_typeET4_jRbjT5_S1B_jjP12ihipStream_tbEUljE_EEESW_SX_SY_S15_S19_S1B_T6_T7_T9_mT8_S1D_bDpT10_ENKUlT_T0_E_clISt17integral_constantIbLb1EES1Q_EEDaS1L_S1M_EUlS1L_E_NS1_11comp_targetILNS1_3genE4ELNS1_11target_archE910ELNS1_3gpuE8ELNS1_3repE0EEENS1_30default_config_static_selectorELNS0_4arch9wavefront6targetE0EEEvSZ_,@function
_ZN7rocprim17ROCPRIM_400000_NS6detail17trampoline_kernelINS0_13select_configILj256ELj13ELNS0_17block_load_methodE3ELS4_3ELS4_3ELNS0_20block_scan_algorithmE0ELj4294967295EEENS1_25partition_config_selectorILNS1_17partition_subalgoE3EjNS0_10empty_typeEbEEZZNS1_14partition_implILS8_3ELb0ES6_jNS0_17counting_iteratorIjlEEPS9_SE_NS0_5tupleIJPjSE_EEENSF_IJSE_SE_EEES9_SG_JZNS1_25segmented_radix_sort_implINS0_14default_configELb0EPK12hip_bfloat16PSL_PKlPlN2at6native12_GLOBAL__N_18offset_tEEE10hipError_tPvRmT1_PNSt15iterator_traitsISZ_E10value_typeET2_T3_PNS10_IS15_E10value_typeET4_jRbjT5_S1B_jjP12ihipStream_tbEUljE_EEESW_SX_SY_S15_S19_S1B_T6_T7_T9_mT8_S1D_bDpT10_ENKUlT_T0_E_clISt17integral_constantIbLb1EES1Q_EEDaS1L_S1M_EUlS1L_E_NS1_11comp_targetILNS1_3genE4ELNS1_11target_archE910ELNS1_3gpuE8ELNS1_3repE0EEENS1_30default_config_static_selectorELNS0_4arch9wavefront6targetE0EEEvSZ_: ; @_ZN7rocprim17ROCPRIM_400000_NS6detail17trampoline_kernelINS0_13select_configILj256ELj13ELNS0_17block_load_methodE3ELS4_3ELS4_3ELNS0_20block_scan_algorithmE0ELj4294967295EEENS1_25partition_config_selectorILNS1_17partition_subalgoE3EjNS0_10empty_typeEbEEZZNS1_14partition_implILS8_3ELb0ES6_jNS0_17counting_iteratorIjlEEPS9_SE_NS0_5tupleIJPjSE_EEENSF_IJSE_SE_EEES9_SG_JZNS1_25segmented_radix_sort_implINS0_14default_configELb0EPK12hip_bfloat16PSL_PKlPlN2at6native12_GLOBAL__N_18offset_tEEE10hipError_tPvRmT1_PNSt15iterator_traitsISZ_E10value_typeET2_T3_PNS10_IS15_E10value_typeET4_jRbjT5_S1B_jjP12ihipStream_tbEUljE_EEESW_SX_SY_S15_S19_S1B_T6_T7_T9_mT8_S1D_bDpT10_ENKUlT_T0_E_clISt17integral_constantIbLb1EES1Q_EEDaS1L_S1M_EUlS1L_E_NS1_11comp_targetILNS1_3genE4ELNS1_11target_archE910ELNS1_3gpuE8ELNS1_3repE0EEENS1_30default_config_static_selectorELNS0_4arch9wavefront6targetE0EEEvSZ_
; %bb.0:
	.section	.rodata,"a",@progbits
	.p2align	6, 0x0
	.amdhsa_kernel _ZN7rocprim17ROCPRIM_400000_NS6detail17trampoline_kernelINS0_13select_configILj256ELj13ELNS0_17block_load_methodE3ELS4_3ELS4_3ELNS0_20block_scan_algorithmE0ELj4294967295EEENS1_25partition_config_selectorILNS1_17partition_subalgoE3EjNS0_10empty_typeEbEEZZNS1_14partition_implILS8_3ELb0ES6_jNS0_17counting_iteratorIjlEEPS9_SE_NS0_5tupleIJPjSE_EEENSF_IJSE_SE_EEES9_SG_JZNS1_25segmented_radix_sort_implINS0_14default_configELb0EPK12hip_bfloat16PSL_PKlPlN2at6native12_GLOBAL__N_18offset_tEEE10hipError_tPvRmT1_PNSt15iterator_traitsISZ_E10value_typeET2_T3_PNS10_IS15_E10value_typeET4_jRbjT5_S1B_jjP12ihipStream_tbEUljE_EEESW_SX_SY_S15_S19_S1B_T6_T7_T9_mT8_S1D_bDpT10_ENKUlT_T0_E_clISt17integral_constantIbLb1EES1Q_EEDaS1L_S1M_EUlS1L_E_NS1_11comp_targetILNS1_3genE4ELNS1_11target_archE910ELNS1_3gpuE8ELNS1_3repE0EEENS1_30default_config_static_selectorELNS0_4arch9wavefront6targetE0EEEvSZ_
		.amdhsa_group_segment_fixed_size 0
		.amdhsa_private_segment_fixed_size 0
		.amdhsa_kernarg_size 152
		.amdhsa_user_sgpr_count 6
		.amdhsa_user_sgpr_private_segment_buffer 1
		.amdhsa_user_sgpr_dispatch_ptr 0
		.amdhsa_user_sgpr_queue_ptr 0
		.amdhsa_user_sgpr_kernarg_segment_ptr 1
		.amdhsa_user_sgpr_dispatch_id 0
		.amdhsa_user_sgpr_flat_scratch_init 0
		.amdhsa_user_sgpr_private_segment_size 0
		.amdhsa_wavefront_size32 1
		.amdhsa_uses_dynamic_stack 0
		.amdhsa_system_sgpr_private_segment_wavefront_offset 0
		.amdhsa_system_sgpr_workgroup_id_x 1
		.amdhsa_system_sgpr_workgroup_id_y 0
		.amdhsa_system_sgpr_workgroup_id_z 0
		.amdhsa_system_sgpr_workgroup_info 0
		.amdhsa_system_vgpr_workitem_id 0
		.amdhsa_next_free_vgpr 1
		.amdhsa_next_free_sgpr 1
		.amdhsa_reserve_vcc 0
		.amdhsa_reserve_flat_scratch 0
		.amdhsa_float_round_mode_32 0
		.amdhsa_float_round_mode_16_64 0
		.amdhsa_float_denorm_mode_32 3
		.amdhsa_float_denorm_mode_16_64 3
		.amdhsa_dx10_clamp 1
		.amdhsa_ieee_mode 1
		.amdhsa_fp16_overflow 0
		.amdhsa_workgroup_processor_mode 1
		.amdhsa_memory_ordered 1
		.amdhsa_forward_progress 1
		.amdhsa_shared_vgpr_count 0
		.amdhsa_exception_fp_ieee_invalid_op 0
		.amdhsa_exception_fp_denorm_src 0
		.amdhsa_exception_fp_ieee_div_zero 0
		.amdhsa_exception_fp_ieee_overflow 0
		.amdhsa_exception_fp_ieee_underflow 0
		.amdhsa_exception_fp_ieee_inexact 0
		.amdhsa_exception_int_div_zero 0
	.end_amdhsa_kernel
	.section	.text._ZN7rocprim17ROCPRIM_400000_NS6detail17trampoline_kernelINS0_13select_configILj256ELj13ELNS0_17block_load_methodE3ELS4_3ELS4_3ELNS0_20block_scan_algorithmE0ELj4294967295EEENS1_25partition_config_selectorILNS1_17partition_subalgoE3EjNS0_10empty_typeEbEEZZNS1_14partition_implILS8_3ELb0ES6_jNS0_17counting_iteratorIjlEEPS9_SE_NS0_5tupleIJPjSE_EEENSF_IJSE_SE_EEES9_SG_JZNS1_25segmented_radix_sort_implINS0_14default_configELb0EPK12hip_bfloat16PSL_PKlPlN2at6native12_GLOBAL__N_18offset_tEEE10hipError_tPvRmT1_PNSt15iterator_traitsISZ_E10value_typeET2_T3_PNS10_IS15_E10value_typeET4_jRbjT5_S1B_jjP12ihipStream_tbEUljE_EEESW_SX_SY_S15_S19_S1B_T6_T7_T9_mT8_S1D_bDpT10_ENKUlT_T0_E_clISt17integral_constantIbLb1EES1Q_EEDaS1L_S1M_EUlS1L_E_NS1_11comp_targetILNS1_3genE4ELNS1_11target_archE910ELNS1_3gpuE8ELNS1_3repE0EEENS1_30default_config_static_selectorELNS0_4arch9wavefront6targetE0EEEvSZ_,"axG",@progbits,_ZN7rocprim17ROCPRIM_400000_NS6detail17trampoline_kernelINS0_13select_configILj256ELj13ELNS0_17block_load_methodE3ELS4_3ELS4_3ELNS0_20block_scan_algorithmE0ELj4294967295EEENS1_25partition_config_selectorILNS1_17partition_subalgoE3EjNS0_10empty_typeEbEEZZNS1_14partition_implILS8_3ELb0ES6_jNS0_17counting_iteratorIjlEEPS9_SE_NS0_5tupleIJPjSE_EEENSF_IJSE_SE_EEES9_SG_JZNS1_25segmented_radix_sort_implINS0_14default_configELb0EPK12hip_bfloat16PSL_PKlPlN2at6native12_GLOBAL__N_18offset_tEEE10hipError_tPvRmT1_PNSt15iterator_traitsISZ_E10value_typeET2_T3_PNS10_IS15_E10value_typeET4_jRbjT5_S1B_jjP12ihipStream_tbEUljE_EEESW_SX_SY_S15_S19_S1B_T6_T7_T9_mT8_S1D_bDpT10_ENKUlT_T0_E_clISt17integral_constantIbLb1EES1Q_EEDaS1L_S1M_EUlS1L_E_NS1_11comp_targetILNS1_3genE4ELNS1_11target_archE910ELNS1_3gpuE8ELNS1_3repE0EEENS1_30default_config_static_selectorELNS0_4arch9wavefront6targetE0EEEvSZ_,comdat
.Lfunc_end2017:
	.size	_ZN7rocprim17ROCPRIM_400000_NS6detail17trampoline_kernelINS0_13select_configILj256ELj13ELNS0_17block_load_methodE3ELS4_3ELS4_3ELNS0_20block_scan_algorithmE0ELj4294967295EEENS1_25partition_config_selectorILNS1_17partition_subalgoE3EjNS0_10empty_typeEbEEZZNS1_14partition_implILS8_3ELb0ES6_jNS0_17counting_iteratorIjlEEPS9_SE_NS0_5tupleIJPjSE_EEENSF_IJSE_SE_EEES9_SG_JZNS1_25segmented_radix_sort_implINS0_14default_configELb0EPK12hip_bfloat16PSL_PKlPlN2at6native12_GLOBAL__N_18offset_tEEE10hipError_tPvRmT1_PNSt15iterator_traitsISZ_E10value_typeET2_T3_PNS10_IS15_E10value_typeET4_jRbjT5_S1B_jjP12ihipStream_tbEUljE_EEESW_SX_SY_S15_S19_S1B_T6_T7_T9_mT8_S1D_bDpT10_ENKUlT_T0_E_clISt17integral_constantIbLb1EES1Q_EEDaS1L_S1M_EUlS1L_E_NS1_11comp_targetILNS1_3genE4ELNS1_11target_archE910ELNS1_3gpuE8ELNS1_3repE0EEENS1_30default_config_static_selectorELNS0_4arch9wavefront6targetE0EEEvSZ_, .Lfunc_end2017-_ZN7rocprim17ROCPRIM_400000_NS6detail17trampoline_kernelINS0_13select_configILj256ELj13ELNS0_17block_load_methodE3ELS4_3ELS4_3ELNS0_20block_scan_algorithmE0ELj4294967295EEENS1_25partition_config_selectorILNS1_17partition_subalgoE3EjNS0_10empty_typeEbEEZZNS1_14partition_implILS8_3ELb0ES6_jNS0_17counting_iteratorIjlEEPS9_SE_NS0_5tupleIJPjSE_EEENSF_IJSE_SE_EEES9_SG_JZNS1_25segmented_radix_sort_implINS0_14default_configELb0EPK12hip_bfloat16PSL_PKlPlN2at6native12_GLOBAL__N_18offset_tEEE10hipError_tPvRmT1_PNSt15iterator_traitsISZ_E10value_typeET2_T3_PNS10_IS15_E10value_typeET4_jRbjT5_S1B_jjP12ihipStream_tbEUljE_EEESW_SX_SY_S15_S19_S1B_T6_T7_T9_mT8_S1D_bDpT10_ENKUlT_T0_E_clISt17integral_constantIbLb1EES1Q_EEDaS1L_S1M_EUlS1L_E_NS1_11comp_targetILNS1_3genE4ELNS1_11target_archE910ELNS1_3gpuE8ELNS1_3repE0EEENS1_30default_config_static_selectorELNS0_4arch9wavefront6targetE0EEEvSZ_
                                        ; -- End function
	.set _ZN7rocprim17ROCPRIM_400000_NS6detail17trampoline_kernelINS0_13select_configILj256ELj13ELNS0_17block_load_methodE3ELS4_3ELS4_3ELNS0_20block_scan_algorithmE0ELj4294967295EEENS1_25partition_config_selectorILNS1_17partition_subalgoE3EjNS0_10empty_typeEbEEZZNS1_14partition_implILS8_3ELb0ES6_jNS0_17counting_iteratorIjlEEPS9_SE_NS0_5tupleIJPjSE_EEENSF_IJSE_SE_EEES9_SG_JZNS1_25segmented_radix_sort_implINS0_14default_configELb0EPK12hip_bfloat16PSL_PKlPlN2at6native12_GLOBAL__N_18offset_tEEE10hipError_tPvRmT1_PNSt15iterator_traitsISZ_E10value_typeET2_T3_PNS10_IS15_E10value_typeET4_jRbjT5_S1B_jjP12ihipStream_tbEUljE_EEESW_SX_SY_S15_S19_S1B_T6_T7_T9_mT8_S1D_bDpT10_ENKUlT_T0_E_clISt17integral_constantIbLb1EES1Q_EEDaS1L_S1M_EUlS1L_E_NS1_11comp_targetILNS1_3genE4ELNS1_11target_archE910ELNS1_3gpuE8ELNS1_3repE0EEENS1_30default_config_static_selectorELNS0_4arch9wavefront6targetE0EEEvSZ_.num_vgpr, 0
	.set _ZN7rocprim17ROCPRIM_400000_NS6detail17trampoline_kernelINS0_13select_configILj256ELj13ELNS0_17block_load_methodE3ELS4_3ELS4_3ELNS0_20block_scan_algorithmE0ELj4294967295EEENS1_25partition_config_selectorILNS1_17partition_subalgoE3EjNS0_10empty_typeEbEEZZNS1_14partition_implILS8_3ELb0ES6_jNS0_17counting_iteratorIjlEEPS9_SE_NS0_5tupleIJPjSE_EEENSF_IJSE_SE_EEES9_SG_JZNS1_25segmented_radix_sort_implINS0_14default_configELb0EPK12hip_bfloat16PSL_PKlPlN2at6native12_GLOBAL__N_18offset_tEEE10hipError_tPvRmT1_PNSt15iterator_traitsISZ_E10value_typeET2_T3_PNS10_IS15_E10value_typeET4_jRbjT5_S1B_jjP12ihipStream_tbEUljE_EEESW_SX_SY_S15_S19_S1B_T6_T7_T9_mT8_S1D_bDpT10_ENKUlT_T0_E_clISt17integral_constantIbLb1EES1Q_EEDaS1L_S1M_EUlS1L_E_NS1_11comp_targetILNS1_3genE4ELNS1_11target_archE910ELNS1_3gpuE8ELNS1_3repE0EEENS1_30default_config_static_selectorELNS0_4arch9wavefront6targetE0EEEvSZ_.num_agpr, 0
	.set _ZN7rocprim17ROCPRIM_400000_NS6detail17trampoline_kernelINS0_13select_configILj256ELj13ELNS0_17block_load_methodE3ELS4_3ELS4_3ELNS0_20block_scan_algorithmE0ELj4294967295EEENS1_25partition_config_selectorILNS1_17partition_subalgoE3EjNS0_10empty_typeEbEEZZNS1_14partition_implILS8_3ELb0ES6_jNS0_17counting_iteratorIjlEEPS9_SE_NS0_5tupleIJPjSE_EEENSF_IJSE_SE_EEES9_SG_JZNS1_25segmented_radix_sort_implINS0_14default_configELb0EPK12hip_bfloat16PSL_PKlPlN2at6native12_GLOBAL__N_18offset_tEEE10hipError_tPvRmT1_PNSt15iterator_traitsISZ_E10value_typeET2_T3_PNS10_IS15_E10value_typeET4_jRbjT5_S1B_jjP12ihipStream_tbEUljE_EEESW_SX_SY_S15_S19_S1B_T6_T7_T9_mT8_S1D_bDpT10_ENKUlT_T0_E_clISt17integral_constantIbLb1EES1Q_EEDaS1L_S1M_EUlS1L_E_NS1_11comp_targetILNS1_3genE4ELNS1_11target_archE910ELNS1_3gpuE8ELNS1_3repE0EEENS1_30default_config_static_selectorELNS0_4arch9wavefront6targetE0EEEvSZ_.numbered_sgpr, 0
	.set _ZN7rocprim17ROCPRIM_400000_NS6detail17trampoline_kernelINS0_13select_configILj256ELj13ELNS0_17block_load_methodE3ELS4_3ELS4_3ELNS0_20block_scan_algorithmE0ELj4294967295EEENS1_25partition_config_selectorILNS1_17partition_subalgoE3EjNS0_10empty_typeEbEEZZNS1_14partition_implILS8_3ELb0ES6_jNS0_17counting_iteratorIjlEEPS9_SE_NS0_5tupleIJPjSE_EEENSF_IJSE_SE_EEES9_SG_JZNS1_25segmented_radix_sort_implINS0_14default_configELb0EPK12hip_bfloat16PSL_PKlPlN2at6native12_GLOBAL__N_18offset_tEEE10hipError_tPvRmT1_PNSt15iterator_traitsISZ_E10value_typeET2_T3_PNS10_IS15_E10value_typeET4_jRbjT5_S1B_jjP12ihipStream_tbEUljE_EEESW_SX_SY_S15_S19_S1B_T6_T7_T9_mT8_S1D_bDpT10_ENKUlT_T0_E_clISt17integral_constantIbLb1EES1Q_EEDaS1L_S1M_EUlS1L_E_NS1_11comp_targetILNS1_3genE4ELNS1_11target_archE910ELNS1_3gpuE8ELNS1_3repE0EEENS1_30default_config_static_selectorELNS0_4arch9wavefront6targetE0EEEvSZ_.num_named_barrier, 0
	.set _ZN7rocprim17ROCPRIM_400000_NS6detail17trampoline_kernelINS0_13select_configILj256ELj13ELNS0_17block_load_methodE3ELS4_3ELS4_3ELNS0_20block_scan_algorithmE0ELj4294967295EEENS1_25partition_config_selectorILNS1_17partition_subalgoE3EjNS0_10empty_typeEbEEZZNS1_14partition_implILS8_3ELb0ES6_jNS0_17counting_iteratorIjlEEPS9_SE_NS0_5tupleIJPjSE_EEENSF_IJSE_SE_EEES9_SG_JZNS1_25segmented_radix_sort_implINS0_14default_configELb0EPK12hip_bfloat16PSL_PKlPlN2at6native12_GLOBAL__N_18offset_tEEE10hipError_tPvRmT1_PNSt15iterator_traitsISZ_E10value_typeET2_T3_PNS10_IS15_E10value_typeET4_jRbjT5_S1B_jjP12ihipStream_tbEUljE_EEESW_SX_SY_S15_S19_S1B_T6_T7_T9_mT8_S1D_bDpT10_ENKUlT_T0_E_clISt17integral_constantIbLb1EES1Q_EEDaS1L_S1M_EUlS1L_E_NS1_11comp_targetILNS1_3genE4ELNS1_11target_archE910ELNS1_3gpuE8ELNS1_3repE0EEENS1_30default_config_static_selectorELNS0_4arch9wavefront6targetE0EEEvSZ_.private_seg_size, 0
	.set _ZN7rocprim17ROCPRIM_400000_NS6detail17trampoline_kernelINS0_13select_configILj256ELj13ELNS0_17block_load_methodE3ELS4_3ELS4_3ELNS0_20block_scan_algorithmE0ELj4294967295EEENS1_25partition_config_selectorILNS1_17partition_subalgoE3EjNS0_10empty_typeEbEEZZNS1_14partition_implILS8_3ELb0ES6_jNS0_17counting_iteratorIjlEEPS9_SE_NS0_5tupleIJPjSE_EEENSF_IJSE_SE_EEES9_SG_JZNS1_25segmented_radix_sort_implINS0_14default_configELb0EPK12hip_bfloat16PSL_PKlPlN2at6native12_GLOBAL__N_18offset_tEEE10hipError_tPvRmT1_PNSt15iterator_traitsISZ_E10value_typeET2_T3_PNS10_IS15_E10value_typeET4_jRbjT5_S1B_jjP12ihipStream_tbEUljE_EEESW_SX_SY_S15_S19_S1B_T6_T7_T9_mT8_S1D_bDpT10_ENKUlT_T0_E_clISt17integral_constantIbLb1EES1Q_EEDaS1L_S1M_EUlS1L_E_NS1_11comp_targetILNS1_3genE4ELNS1_11target_archE910ELNS1_3gpuE8ELNS1_3repE0EEENS1_30default_config_static_selectorELNS0_4arch9wavefront6targetE0EEEvSZ_.uses_vcc, 0
	.set _ZN7rocprim17ROCPRIM_400000_NS6detail17trampoline_kernelINS0_13select_configILj256ELj13ELNS0_17block_load_methodE3ELS4_3ELS4_3ELNS0_20block_scan_algorithmE0ELj4294967295EEENS1_25partition_config_selectorILNS1_17partition_subalgoE3EjNS0_10empty_typeEbEEZZNS1_14partition_implILS8_3ELb0ES6_jNS0_17counting_iteratorIjlEEPS9_SE_NS0_5tupleIJPjSE_EEENSF_IJSE_SE_EEES9_SG_JZNS1_25segmented_radix_sort_implINS0_14default_configELb0EPK12hip_bfloat16PSL_PKlPlN2at6native12_GLOBAL__N_18offset_tEEE10hipError_tPvRmT1_PNSt15iterator_traitsISZ_E10value_typeET2_T3_PNS10_IS15_E10value_typeET4_jRbjT5_S1B_jjP12ihipStream_tbEUljE_EEESW_SX_SY_S15_S19_S1B_T6_T7_T9_mT8_S1D_bDpT10_ENKUlT_T0_E_clISt17integral_constantIbLb1EES1Q_EEDaS1L_S1M_EUlS1L_E_NS1_11comp_targetILNS1_3genE4ELNS1_11target_archE910ELNS1_3gpuE8ELNS1_3repE0EEENS1_30default_config_static_selectorELNS0_4arch9wavefront6targetE0EEEvSZ_.uses_flat_scratch, 0
	.set _ZN7rocprim17ROCPRIM_400000_NS6detail17trampoline_kernelINS0_13select_configILj256ELj13ELNS0_17block_load_methodE3ELS4_3ELS4_3ELNS0_20block_scan_algorithmE0ELj4294967295EEENS1_25partition_config_selectorILNS1_17partition_subalgoE3EjNS0_10empty_typeEbEEZZNS1_14partition_implILS8_3ELb0ES6_jNS0_17counting_iteratorIjlEEPS9_SE_NS0_5tupleIJPjSE_EEENSF_IJSE_SE_EEES9_SG_JZNS1_25segmented_radix_sort_implINS0_14default_configELb0EPK12hip_bfloat16PSL_PKlPlN2at6native12_GLOBAL__N_18offset_tEEE10hipError_tPvRmT1_PNSt15iterator_traitsISZ_E10value_typeET2_T3_PNS10_IS15_E10value_typeET4_jRbjT5_S1B_jjP12ihipStream_tbEUljE_EEESW_SX_SY_S15_S19_S1B_T6_T7_T9_mT8_S1D_bDpT10_ENKUlT_T0_E_clISt17integral_constantIbLb1EES1Q_EEDaS1L_S1M_EUlS1L_E_NS1_11comp_targetILNS1_3genE4ELNS1_11target_archE910ELNS1_3gpuE8ELNS1_3repE0EEENS1_30default_config_static_selectorELNS0_4arch9wavefront6targetE0EEEvSZ_.has_dyn_sized_stack, 0
	.set _ZN7rocprim17ROCPRIM_400000_NS6detail17trampoline_kernelINS0_13select_configILj256ELj13ELNS0_17block_load_methodE3ELS4_3ELS4_3ELNS0_20block_scan_algorithmE0ELj4294967295EEENS1_25partition_config_selectorILNS1_17partition_subalgoE3EjNS0_10empty_typeEbEEZZNS1_14partition_implILS8_3ELb0ES6_jNS0_17counting_iteratorIjlEEPS9_SE_NS0_5tupleIJPjSE_EEENSF_IJSE_SE_EEES9_SG_JZNS1_25segmented_radix_sort_implINS0_14default_configELb0EPK12hip_bfloat16PSL_PKlPlN2at6native12_GLOBAL__N_18offset_tEEE10hipError_tPvRmT1_PNSt15iterator_traitsISZ_E10value_typeET2_T3_PNS10_IS15_E10value_typeET4_jRbjT5_S1B_jjP12ihipStream_tbEUljE_EEESW_SX_SY_S15_S19_S1B_T6_T7_T9_mT8_S1D_bDpT10_ENKUlT_T0_E_clISt17integral_constantIbLb1EES1Q_EEDaS1L_S1M_EUlS1L_E_NS1_11comp_targetILNS1_3genE4ELNS1_11target_archE910ELNS1_3gpuE8ELNS1_3repE0EEENS1_30default_config_static_selectorELNS0_4arch9wavefront6targetE0EEEvSZ_.has_recursion, 0
	.set _ZN7rocprim17ROCPRIM_400000_NS6detail17trampoline_kernelINS0_13select_configILj256ELj13ELNS0_17block_load_methodE3ELS4_3ELS4_3ELNS0_20block_scan_algorithmE0ELj4294967295EEENS1_25partition_config_selectorILNS1_17partition_subalgoE3EjNS0_10empty_typeEbEEZZNS1_14partition_implILS8_3ELb0ES6_jNS0_17counting_iteratorIjlEEPS9_SE_NS0_5tupleIJPjSE_EEENSF_IJSE_SE_EEES9_SG_JZNS1_25segmented_radix_sort_implINS0_14default_configELb0EPK12hip_bfloat16PSL_PKlPlN2at6native12_GLOBAL__N_18offset_tEEE10hipError_tPvRmT1_PNSt15iterator_traitsISZ_E10value_typeET2_T3_PNS10_IS15_E10value_typeET4_jRbjT5_S1B_jjP12ihipStream_tbEUljE_EEESW_SX_SY_S15_S19_S1B_T6_T7_T9_mT8_S1D_bDpT10_ENKUlT_T0_E_clISt17integral_constantIbLb1EES1Q_EEDaS1L_S1M_EUlS1L_E_NS1_11comp_targetILNS1_3genE4ELNS1_11target_archE910ELNS1_3gpuE8ELNS1_3repE0EEENS1_30default_config_static_selectorELNS0_4arch9wavefront6targetE0EEEvSZ_.has_indirect_call, 0
	.section	.AMDGPU.csdata,"",@progbits
; Kernel info:
; codeLenInByte = 0
; TotalNumSgprs: 0
; NumVgprs: 0
; ScratchSize: 0
; MemoryBound: 0
; FloatMode: 240
; IeeeMode: 1
; LDSByteSize: 0 bytes/workgroup (compile time only)
; SGPRBlocks: 0
; VGPRBlocks: 0
; NumSGPRsForWavesPerEU: 1
; NumVGPRsForWavesPerEU: 1
; Occupancy: 16
; WaveLimiterHint : 0
; COMPUTE_PGM_RSRC2:SCRATCH_EN: 0
; COMPUTE_PGM_RSRC2:USER_SGPR: 6
; COMPUTE_PGM_RSRC2:TRAP_HANDLER: 0
; COMPUTE_PGM_RSRC2:TGID_X_EN: 1
; COMPUTE_PGM_RSRC2:TGID_Y_EN: 0
; COMPUTE_PGM_RSRC2:TGID_Z_EN: 0
; COMPUTE_PGM_RSRC2:TIDIG_COMP_CNT: 0
	.section	.text._ZN7rocprim17ROCPRIM_400000_NS6detail17trampoline_kernelINS0_13select_configILj256ELj13ELNS0_17block_load_methodE3ELS4_3ELS4_3ELNS0_20block_scan_algorithmE0ELj4294967295EEENS1_25partition_config_selectorILNS1_17partition_subalgoE3EjNS0_10empty_typeEbEEZZNS1_14partition_implILS8_3ELb0ES6_jNS0_17counting_iteratorIjlEEPS9_SE_NS0_5tupleIJPjSE_EEENSF_IJSE_SE_EEES9_SG_JZNS1_25segmented_radix_sort_implINS0_14default_configELb0EPK12hip_bfloat16PSL_PKlPlN2at6native12_GLOBAL__N_18offset_tEEE10hipError_tPvRmT1_PNSt15iterator_traitsISZ_E10value_typeET2_T3_PNS10_IS15_E10value_typeET4_jRbjT5_S1B_jjP12ihipStream_tbEUljE_EEESW_SX_SY_S15_S19_S1B_T6_T7_T9_mT8_S1D_bDpT10_ENKUlT_T0_E_clISt17integral_constantIbLb1EES1Q_EEDaS1L_S1M_EUlS1L_E_NS1_11comp_targetILNS1_3genE3ELNS1_11target_archE908ELNS1_3gpuE7ELNS1_3repE0EEENS1_30default_config_static_selectorELNS0_4arch9wavefront6targetE0EEEvSZ_,"axG",@progbits,_ZN7rocprim17ROCPRIM_400000_NS6detail17trampoline_kernelINS0_13select_configILj256ELj13ELNS0_17block_load_methodE3ELS4_3ELS4_3ELNS0_20block_scan_algorithmE0ELj4294967295EEENS1_25partition_config_selectorILNS1_17partition_subalgoE3EjNS0_10empty_typeEbEEZZNS1_14partition_implILS8_3ELb0ES6_jNS0_17counting_iteratorIjlEEPS9_SE_NS0_5tupleIJPjSE_EEENSF_IJSE_SE_EEES9_SG_JZNS1_25segmented_radix_sort_implINS0_14default_configELb0EPK12hip_bfloat16PSL_PKlPlN2at6native12_GLOBAL__N_18offset_tEEE10hipError_tPvRmT1_PNSt15iterator_traitsISZ_E10value_typeET2_T3_PNS10_IS15_E10value_typeET4_jRbjT5_S1B_jjP12ihipStream_tbEUljE_EEESW_SX_SY_S15_S19_S1B_T6_T7_T9_mT8_S1D_bDpT10_ENKUlT_T0_E_clISt17integral_constantIbLb1EES1Q_EEDaS1L_S1M_EUlS1L_E_NS1_11comp_targetILNS1_3genE3ELNS1_11target_archE908ELNS1_3gpuE7ELNS1_3repE0EEENS1_30default_config_static_selectorELNS0_4arch9wavefront6targetE0EEEvSZ_,comdat
	.globl	_ZN7rocprim17ROCPRIM_400000_NS6detail17trampoline_kernelINS0_13select_configILj256ELj13ELNS0_17block_load_methodE3ELS4_3ELS4_3ELNS0_20block_scan_algorithmE0ELj4294967295EEENS1_25partition_config_selectorILNS1_17partition_subalgoE3EjNS0_10empty_typeEbEEZZNS1_14partition_implILS8_3ELb0ES6_jNS0_17counting_iteratorIjlEEPS9_SE_NS0_5tupleIJPjSE_EEENSF_IJSE_SE_EEES9_SG_JZNS1_25segmented_radix_sort_implINS0_14default_configELb0EPK12hip_bfloat16PSL_PKlPlN2at6native12_GLOBAL__N_18offset_tEEE10hipError_tPvRmT1_PNSt15iterator_traitsISZ_E10value_typeET2_T3_PNS10_IS15_E10value_typeET4_jRbjT5_S1B_jjP12ihipStream_tbEUljE_EEESW_SX_SY_S15_S19_S1B_T6_T7_T9_mT8_S1D_bDpT10_ENKUlT_T0_E_clISt17integral_constantIbLb1EES1Q_EEDaS1L_S1M_EUlS1L_E_NS1_11comp_targetILNS1_3genE3ELNS1_11target_archE908ELNS1_3gpuE7ELNS1_3repE0EEENS1_30default_config_static_selectorELNS0_4arch9wavefront6targetE0EEEvSZ_ ; -- Begin function _ZN7rocprim17ROCPRIM_400000_NS6detail17trampoline_kernelINS0_13select_configILj256ELj13ELNS0_17block_load_methodE3ELS4_3ELS4_3ELNS0_20block_scan_algorithmE0ELj4294967295EEENS1_25partition_config_selectorILNS1_17partition_subalgoE3EjNS0_10empty_typeEbEEZZNS1_14partition_implILS8_3ELb0ES6_jNS0_17counting_iteratorIjlEEPS9_SE_NS0_5tupleIJPjSE_EEENSF_IJSE_SE_EEES9_SG_JZNS1_25segmented_radix_sort_implINS0_14default_configELb0EPK12hip_bfloat16PSL_PKlPlN2at6native12_GLOBAL__N_18offset_tEEE10hipError_tPvRmT1_PNSt15iterator_traitsISZ_E10value_typeET2_T3_PNS10_IS15_E10value_typeET4_jRbjT5_S1B_jjP12ihipStream_tbEUljE_EEESW_SX_SY_S15_S19_S1B_T6_T7_T9_mT8_S1D_bDpT10_ENKUlT_T0_E_clISt17integral_constantIbLb1EES1Q_EEDaS1L_S1M_EUlS1L_E_NS1_11comp_targetILNS1_3genE3ELNS1_11target_archE908ELNS1_3gpuE7ELNS1_3repE0EEENS1_30default_config_static_selectorELNS0_4arch9wavefront6targetE0EEEvSZ_
	.p2align	8
	.type	_ZN7rocprim17ROCPRIM_400000_NS6detail17trampoline_kernelINS0_13select_configILj256ELj13ELNS0_17block_load_methodE3ELS4_3ELS4_3ELNS0_20block_scan_algorithmE0ELj4294967295EEENS1_25partition_config_selectorILNS1_17partition_subalgoE3EjNS0_10empty_typeEbEEZZNS1_14partition_implILS8_3ELb0ES6_jNS0_17counting_iteratorIjlEEPS9_SE_NS0_5tupleIJPjSE_EEENSF_IJSE_SE_EEES9_SG_JZNS1_25segmented_radix_sort_implINS0_14default_configELb0EPK12hip_bfloat16PSL_PKlPlN2at6native12_GLOBAL__N_18offset_tEEE10hipError_tPvRmT1_PNSt15iterator_traitsISZ_E10value_typeET2_T3_PNS10_IS15_E10value_typeET4_jRbjT5_S1B_jjP12ihipStream_tbEUljE_EEESW_SX_SY_S15_S19_S1B_T6_T7_T9_mT8_S1D_bDpT10_ENKUlT_T0_E_clISt17integral_constantIbLb1EES1Q_EEDaS1L_S1M_EUlS1L_E_NS1_11comp_targetILNS1_3genE3ELNS1_11target_archE908ELNS1_3gpuE7ELNS1_3repE0EEENS1_30default_config_static_selectorELNS0_4arch9wavefront6targetE0EEEvSZ_,@function
_ZN7rocprim17ROCPRIM_400000_NS6detail17trampoline_kernelINS0_13select_configILj256ELj13ELNS0_17block_load_methodE3ELS4_3ELS4_3ELNS0_20block_scan_algorithmE0ELj4294967295EEENS1_25partition_config_selectorILNS1_17partition_subalgoE3EjNS0_10empty_typeEbEEZZNS1_14partition_implILS8_3ELb0ES6_jNS0_17counting_iteratorIjlEEPS9_SE_NS0_5tupleIJPjSE_EEENSF_IJSE_SE_EEES9_SG_JZNS1_25segmented_radix_sort_implINS0_14default_configELb0EPK12hip_bfloat16PSL_PKlPlN2at6native12_GLOBAL__N_18offset_tEEE10hipError_tPvRmT1_PNSt15iterator_traitsISZ_E10value_typeET2_T3_PNS10_IS15_E10value_typeET4_jRbjT5_S1B_jjP12ihipStream_tbEUljE_EEESW_SX_SY_S15_S19_S1B_T6_T7_T9_mT8_S1D_bDpT10_ENKUlT_T0_E_clISt17integral_constantIbLb1EES1Q_EEDaS1L_S1M_EUlS1L_E_NS1_11comp_targetILNS1_3genE3ELNS1_11target_archE908ELNS1_3gpuE7ELNS1_3repE0EEENS1_30default_config_static_selectorELNS0_4arch9wavefront6targetE0EEEvSZ_: ; @_ZN7rocprim17ROCPRIM_400000_NS6detail17trampoline_kernelINS0_13select_configILj256ELj13ELNS0_17block_load_methodE3ELS4_3ELS4_3ELNS0_20block_scan_algorithmE0ELj4294967295EEENS1_25partition_config_selectorILNS1_17partition_subalgoE3EjNS0_10empty_typeEbEEZZNS1_14partition_implILS8_3ELb0ES6_jNS0_17counting_iteratorIjlEEPS9_SE_NS0_5tupleIJPjSE_EEENSF_IJSE_SE_EEES9_SG_JZNS1_25segmented_radix_sort_implINS0_14default_configELb0EPK12hip_bfloat16PSL_PKlPlN2at6native12_GLOBAL__N_18offset_tEEE10hipError_tPvRmT1_PNSt15iterator_traitsISZ_E10value_typeET2_T3_PNS10_IS15_E10value_typeET4_jRbjT5_S1B_jjP12ihipStream_tbEUljE_EEESW_SX_SY_S15_S19_S1B_T6_T7_T9_mT8_S1D_bDpT10_ENKUlT_T0_E_clISt17integral_constantIbLb1EES1Q_EEDaS1L_S1M_EUlS1L_E_NS1_11comp_targetILNS1_3genE3ELNS1_11target_archE908ELNS1_3gpuE7ELNS1_3repE0EEENS1_30default_config_static_selectorELNS0_4arch9wavefront6targetE0EEEvSZ_
; %bb.0:
	.section	.rodata,"a",@progbits
	.p2align	6, 0x0
	.amdhsa_kernel _ZN7rocprim17ROCPRIM_400000_NS6detail17trampoline_kernelINS0_13select_configILj256ELj13ELNS0_17block_load_methodE3ELS4_3ELS4_3ELNS0_20block_scan_algorithmE0ELj4294967295EEENS1_25partition_config_selectorILNS1_17partition_subalgoE3EjNS0_10empty_typeEbEEZZNS1_14partition_implILS8_3ELb0ES6_jNS0_17counting_iteratorIjlEEPS9_SE_NS0_5tupleIJPjSE_EEENSF_IJSE_SE_EEES9_SG_JZNS1_25segmented_radix_sort_implINS0_14default_configELb0EPK12hip_bfloat16PSL_PKlPlN2at6native12_GLOBAL__N_18offset_tEEE10hipError_tPvRmT1_PNSt15iterator_traitsISZ_E10value_typeET2_T3_PNS10_IS15_E10value_typeET4_jRbjT5_S1B_jjP12ihipStream_tbEUljE_EEESW_SX_SY_S15_S19_S1B_T6_T7_T9_mT8_S1D_bDpT10_ENKUlT_T0_E_clISt17integral_constantIbLb1EES1Q_EEDaS1L_S1M_EUlS1L_E_NS1_11comp_targetILNS1_3genE3ELNS1_11target_archE908ELNS1_3gpuE7ELNS1_3repE0EEENS1_30default_config_static_selectorELNS0_4arch9wavefront6targetE0EEEvSZ_
		.amdhsa_group_segment_fixed_size 0
		.amdhsa_private_segment_fixed_size 0
		.amdhsa_kernarg_size 152
		.amdhsa_user_sgpr_count 6
		.amdhsa_user_sgpr_private_segment_buffer 1
		.amdhsa_user_sgpr_dispatch_ptr 0
		.amdhsa_user_sgpr_queue_ptr 0
		.amdhsa_user_sgpr_kernarg_segment_ptr 1
		.amdhsa_user_sgpr_dispatch_id 0
		.amdhsa_user_sgpr_flat_scratch_init 0
		.amdhsa_user_sgpr_private_segment_size 0
		.amdhsa_wavefront_size32 1
		.amdhsa_uses_dynamic_stack 0
		.amdhsa_system_sgpr_private_segment_wavefront_offset 0
		.amdhsa_system_sgpr_workgroup_id_x 1
		.amdhsa_system_sgpr_workgroup_id_y 0
		.amdhsa_system_sgpr_workgroup_id_z 0
		.amdhsa_system_sgpr_workgroup_info 0
		.amdhsa_system_vgpr_workitem_id 0
		.amdhsa_next_free_vgpr 1
		.amdhsa_next_free_sgpr 1
		.amdhsa_reserve_vcc 0
		.amdhsa_reserve_flat_scratch 0
		.amdhsa_float_round_mode_32 0
		.amdhsa_float_round_mode_16_64 0
		.amdhsa_float_denorm_mode_32 3
		.amdhsa_float_denorm_mode_16_64 3
		.amdhsa_dx10_clamp 1
		.amdhsa_ieee_mode 1
		.amdhsa_fp16_overflow 0
		.amdhsa_workgroup_processor_mode 1
		.amdhsa_memory_ordered 1
		.amdhsa_forward_progress 1
		.amdhsa_shared_vgpr_count 0
		.amdhsa_exception_fp_ieee_invalid_op 0
		.amdhsa_exception_fp_denorm_src 0
		.amdhsa_exception_fp_ieee_div_zero 0
		.amdhsa_exception_fp_ieee_overflow 0
		.amdhsa_exception_fp_ieee_underflow 0
		.amdhsa_exception_fp_ieee_inexact 0
		.amdhsa_exception_int_div_zero 0
	.end_amdhsa_kernel
	.section	.text._ZN7rocprim17ROCPRIM_400000_NS6detail17trampoline_kernelINS0_13select_configILj256ELj13ELNS0_17block_load_methodE3ELS4_3ELS4_3ELNS0_20block_scan_algorithmE0ELj4294967295EEENS1_25partition_config_selectorILNS1_17partition_subalgoE3EjNS0_10empty_typeEbEEZZNS1_14partition_implILS8_3ELb0ES6_jNS0_17counting_iteratorIjlEEPS9_SE_NS0_5tupleIJPjSE_EEENSF_IJSE_SE_EEES9_SG_JZNS1_25segmented_radix_sort_implINS0_14default_configELb0EPK12hip_bfloat16PSL_PKlPlN2at6native12_GLOBAL__N_18offset_tEEE10hipError_tPvRmT1_PNSt15iterator_traitsISZ_E10value_typeET2_T3_PNS10_IS15_E10value_typeET4_jRbjT5_S1B_jjP12ihipStream_tbEUljE_EEESW_SX_SY_S15_S19_S1B_T6_T7_T9_mT8_S1D_bDpT10_ENKUlT_T0_E_clISt17integral_constantIbLb1EES1Q_EEDaS1L_S1M_EUlS1L_E_NS1_11comp_targetILNS1_3genE3ELNS1_11target_archE908ELNS1_3gpuE7ELNS1_3repE0EEENS1_30default_config_static_selectorELNS0_4arch9wavefront6targetE0EEEvSZ_,"axG",@progbits,_ZN7rocprim17ROCPRIM_400000_NS6detail17trampoline_kernelINS0_13select_configILj256ELj13ELNS0_17block_load_methodE3ELS4_3ELS4_3ELNS0_20block_scan_algorithmE0ELj4294967295EEENS1_25partition_config_selectorILNS1_17partition_subalgoE3EjNS0_10empty_typeEbEEZZNS1_14partition_implILS8_3ELb0ES6_jNS0_17counting_iteratorIjlEEPS9_SE_NS0_5tupleIJPjSE_EEENSF_IJSE_SE_EEES9_SG_JZNS1_25segmented_radix_sort_implINS0_14default_configELb0EPK12hip_bfloat16PSL_PKlPlN2at6native12_GLOBAL__N_18offset_tEEE10hipError_tPvRmT1_PNSt15iterator_traitsISZ_E10value_typeET2_T3_PNS10_IS15_E10value_typeET4_jRbjT5_S1B_jjP12ihipStream_tbEUljE_EEESW_SX_SY_S15_S19_S1B_T6_T7_T9_mT8_S1D_bDpT10_ENKUlT_T0_E_clISt17integral_constantIbLb1EES1Q_EEDaS1L_S1M_EUlS1L_E_NS1_11comp_targetILNS1_3genE3ELNS1_11target_archE908ELNS1_3gpuE7ELNS1_3repE0EEENS1_30default_config_static_selectorELNS0_4arch9wavefront6targetE0EEEvSZ_,comdat
.Lfunc_end2018:
	.size	_ZN7rocprim17ROCPRIM_400000_NS6detail17trampoline_kernelINS0_13select_configILj256ELj13ELNS0_17block_load_methodE3ELS4_3ELS4_3ELNS0_20block_scan_algorithmE0ELj4294967295EEENS1_25partition_config_selectorILNS1_17partition_subalgoE3EjNS0_10empty_typeEbEEZZNS1_14partition_implILS8_3ELb0ES6_jNS0_17counting_iteratorIjlEEPS9_SE_NS0_5tupleIJPjSE_EEENSF_IJSE_SE_EEES9_SG_JZNS1_25segmented_radix_sort_implINS0_14default_configELb0EPK12hip_bfloat16PSL_PKlPlN2at6native12_GLOBAL__N_18offset_tEEE10hipError_tPvRmT1_PNSt15iterator_traitsISZ_E10value_typeET2_T3_PNS10_IS15_E10value_typeET4_jRbjT5_S1B_jjP12ihipStream_tbEUljE_EEESW_SX_SY_S15_S19_S1B_T6_T7_T9_mT8_S1D_bDpT10_ENKUlT_T0_E_clISt17integral_constantIbLb1EES1Q_EEDaS1L_S1M_EUlS1L_E_NS1_11comp_targetILNS1_3genE3ELNS1_11target_archE908ELNS1_3gpuE7ELNS1_3repE0EEENS1_30default_config_static_selectorELNS0_4arch9wavefront6targetE0EEEvSZ_, .Lfunc_end2018-_ZN7rocprim17ROCPRIM_400000_NS6detail17trampoline_kernelINS0_13select_configILj256ELj13ELNS0_17block_load_methodE3ELS4_3ELS4_3ELNS0_20block_scan_algorithmE0ELj4294967295EEENS1_25partition_config_selectorILNS1_17partition_subalgoE3EjNS0_10empty_typeEbEEZZNS1_14partition_implILS8_3ELb0ES6_jNS0_17counting_iteratorIjlEEPS9_SE_NS0_5tupleIJPjSE_EEENSF_IJSE_SE_EEES9_SG_JZNS1_25segmented_radix_sort_implINS0_14default_configELb0EPK12hip_bfloat16PSL_PKlPlN2at6native12_GLOBAL__N_18offset_tEEE10hipError_tPvRmT1_PNSt15iterator_traitsISZ_E10value_typeET2_T3_PNS10_IS15_E10value_typeET4_jRbjT5_S1B_jjP12ihipStream_tbEUljE_EEESW_SX_SY_S15_S19_S1B_T6_T7_T9_mT8_S1D_bDpT10_ENKUlT_T0_E_clISt17integral_constantIbLb1EES1Q_EEDaS1L_S1M_EUlS1L_E_NS1_11comp_targetILNS1_3genE3ELNS1_11target_archE908ELNS1_3gpuE7ELNS1_3repE0EEENS1_30default_config_static_selectorELNS0_4arch9wavefront6targetE0EEEvSZ_
                                        ; -- End function
	.set _ZN7rocprim17ROCPRIM_400000_NS6detail17trampoline_kernelINS0_13select_configILj256ELj13ELNS0_17block_load_methodE3ELS4_3ELS4_3ELNS0_20block_scan_algorithmE0ELj4294967295EEENS1_25partition_config_selectorILNS1_17partition_subalgoE3EjNS0_10empty_typeEbEEZZNS1_14partition_implILS8_3ELb0ES6_jNS0_17counting_iteratorIjlEEPS9_SE_NS0_5tupleIJPjSE_EEENSF_IJSE_SE_EEES9_SG_JZNS1_25segmented_radix_sort_implINS0_14default_configELb0EPK12hip_bfloat16PSL_PKlPlN2at6native12_GLOBAL__N_18offset_tEEE10hipError_tPvRmT1_PNSt15iterator_traitsISZ_E10value_typeET2_T3_PNS10_IS15_E10value_typeET4_jRbjT5_S1B_jjP12ihipStream_tbEUljE_EEESW_SX_SY_S15_S19_S1B_T6_T7_T9_mT8_S1D_bDpT10_ENKUlT_T0_E_clISt17integral_constantIbLb1EES1Q_EEDaS1L_S1M_EUlS1L_E_NS1_11comp_targetILNS1_3genE3ELNS1_11target_archE908ELNS1_3gpuE7ELNS1_3repE0EEENS1_30default_config_static_selectorELNS0_4arch9wavefront6targetE0EEEvSZ_.num_vgpr, 0
	.set _ZN7rocprim17ROCPRIM_400000_NS6detail17trampoline_kernelINS0_13select_configILj256ELj13ELNS0_17block_load_methodE3ELS4_3ELS4_3ELNS0_20block_scan_algorithmE0ELj4294967295EEENS1_25partition_config_selectorILNS1_17partition_subalgoE3EjNS0_10empty_typeEbEEZZNS1_14partition_implILS8_3ELb0ES6_jNS0_17counting_iteratorIjlEEPS9_SE_NS0_5tupleIJPjSE_EEENSF_IJSE_SE_EEES9_SG_JZNS1_25segmented_radix_sort_implINS0_14default_configELb0EPK12hip_bfloat16PSL_PKlPlN2at6native12_GLOBAL__N_18offset_tEEE10hipError_tPvRmT1_PNSt15iterator_traitsISZ_E10value_typeET2_T3_PNS10_IS15_E10value_typeET4_jRbjT5_S1B_jjP12ihipStream_tbEUljE_EEESW_SX_SY_S15_S19_S1B_T6_T7_T9_mT8_S1D_bDpT10_ENKUlT_T0_E_clISt17integral_constantIbLb1EES1Q_EEDaS1L_S1M_EUlS1L_E_NS1_11comp_targetILNS1_3genE3ELNS1_11target_archE908ELNS1_3gpuE7ELNS1_3repE0EEENS1_30default_config_static_selectorELNS0_4arch9wavefront6targetE0EEEvSZ_.num_agpr, 0
	.set _ZN7rocprim17ROCPRIM_400000_NS6detail17trampoline_kernelINS0_13select_configILj256ELj13ELNS0_17block_load_methodE3ELS4_3ELS4_3ELNS0_20block_scan_algorithmE0ELj4294967295EEENS1_25partition_config_selectorILNS1_17partition_subalgoE3EjNS0_10empty_typeEbEEZZNS1_14partition_implILS8_3ELb0ES6_jNS0_17counting_iteratorIjlEEPS9_SE_NS0_5tupleIJPjSE_EEENSF_IJSE_SE_EEES9_SG_JZNS1_25segmented_radix_sort_implINS0_14default_configELb0EPK12hip_bfloat16PSL_PKlPlN2at6native12_GLOBAL__N_18offset_tEEE10hipError_tPvRmT1_PNSt15iterator_traitsISZ_E10value_typeET2_T3_PNS10_IS15_E10value_typeET4_jRbjT5_S1B_jjP12ihipStream_tbEUljE_EEESW_SX_SY_S15_S19_S1B_T6_T7_T9_mT8_S1D_bDpT10_ENKUlT_T0_E_clISt17integral_constantIbLb1EES1Q_EEDaS1L_S1M_EUlS1L_E_NS1_11comp_targetILNS1_3genE3ELNS1_11target_archE908ELNS1_3gpuE7ELNS1_3repE0EEENS1_30default_config_static_selectorELNS0_4arch9wavefront6targetE0EEEvSZ_.numbered_sgpr, 0
	.set _ZN7rocprim17ROCPRIM_400000_NS6detail17trampoline_kernelINS0_13select_configILj256ELj13ELNS0_17block_load_methodE3ELS4_3ELS4_3ELNS0_20block_scan_algorithmE0ELj4294967295EEENS1_25partition_config_selectorILNS1_17partition_subalgoE3EjNS0_10empty_typeEbEEZZNS1_14partition_implILS8_3ELb0ES6_jNS0_17counting_iteratorIjlEEPS9_SE_NS0_5tupleIJPjSE_EEENSF_IJSE_SE_EEES9_SG_JZNS1_25segmented_radix_sort_implINS0_14default_configELb0EPK12hip_bfloat16PSL_PKlPlN2at6native12_GLOBAL__N_18offset_tEEE10hipError_tPvRmT1_PNSt15iterator_traitsISZ_E10value_typeET2_T3_PNS10_IS15_E10value_typeET4_jRbjT5_S1B_jjP12ihipStream_tbEUljE_EEESW_SX_SY_S15_S19_S1B_T6_T7_T9_mT8_S1D_bDpT10_ENKUlT_T0_E_clISt17integral_constantIbLb1EES1Q_EEDaS1L_S1M_EUlS1L_E_NS1_11comp_targetILNS1_3genE3ELNS1_11target_archE908ELNS1_3gpuE7ELNS1_3repE0EEENS1_30default_config_static_selectorELNS0_4arch9wavefront6targetE0EEEvSZ_.num_named_barrier, 0
	.set _ZN7rocprim17ROCPRIM_400000_NS6detail17trampoline_kernelINS0_13select_configILj256ELj13ELNS0_17block_load_methodE3ELS4_3ELS4_3ELNS0_20block_scan_algorithmE0ELj4294967295EEENS1_25partition_config_selectorILNS1_17partition_subalgoE3EjNS0_10empty_typeEbEEZZNS1_14partition_implILS8_3ELb0ES6_jNS0_17counting_iteratorIjlEEPS9_SE_NS0_5tupleIJPjSE_EEENSF_IJSE_SE_EEES9_SG_JZNS1_25segmented_radix_sort_implINS0_14default_configELb0EPK12hip_bfloat16PSL_PKlPlN2at6native12_GLOBAL__N_18offset_tEEE10hipError_tPvRmT1_PNSt15iterator_traitsISZ_E10value_typeET2_T3_PNS10_IS15_E10value_typeET4_jRbjT5_S1B_jjP12ihipStream_tbEUljE_EEESW_SX_SY_S15_S19_S1B_T6_T7_T9_mT8_S1D_bDpT10_ENKUlT_T0_E_clISt17integral_constantIbLb1EES1Q_EEDaS1L_S1M_EUlS1L_E_NS1_11comp_targetILNS1_3genE3ELNS1_11target_archE908ELNS1_3gpuE7ELNS1_3repE0EEENS1_30default_config_static_selectorELNS0_4arch9wavefront6targetE0EEEvSZ_.private_seg_size, 0
	.set _ZN7rocprim17ROCPRIM_400000_NS6detail17trampoline_kernelINS0_13select_configILj256ELj13ELNS0_17block_load_methodE3ELS4_3ELS4_3ELNS0_20block_scan_algorithmE0ELj4294967295EEENS1_25partition_config_selectorILNS1_17partition_subalgoE3EjNS0_10empty_typeEbEEZZNS1_14partition_implILS8_3ELb0ES6_jNS0_17counting_iteratorIjlEEPS9_SE_NS0_5tupleIJPjSE_EEENSF_IJSE_SE_EEES9_SG_JZNS1_25segmented_radix_sort_implINS0_14default_configELb0EPK12hip_bfloat16PSL_PKlPlN2at6native12_GLOBAL__N_18offset_tEEE10hipError_tPvRmT1_PNSt15iterator_traitsISZ_E10value_typeET2_T3_PNS10_IS15_E10value_typeET4_jRbjT5_S1B_jjP12ihipStream_tbEUljE_EEESW_SX_SY_S15_S19_S1B_T6_T7_T9_mT8_S1D_bDpT10_ENKUlT_T0_E_clISt17integral_constantIbLb1EES1Q_EEDaS1L_S1M_EUlS1L_E_NS1_11comp_targetILNS1_3genE3ELNS1_11target_archE908ELNS1_3gpuE7ELNS1_3repE0EEENS1_30default_config_static_selectorELNS0_4arch9wavefront6targetE0EEEvSZ_.uses_vcc, 0
	.set _ZN7rocprim17ROCPRIM_400000_NS6detail17trampoline_kernelINS0_13select_configILj256ELj13ELNS0_17block_load_methodE3ELS4_3ELS4_3ELNS0_20block_scan_algorithmE0ELj4294967295EEENS1_25partition_config_selectorILNS1_17partition_subalgoE3EjNS0_10empty_typeEbEEZZNS1_14partition_implILS8_3ELb0ES6_jNS0_17counting_iteratorIjlEEPS9_SE_NS0_5tupleIJPjSE_EEENSF_IJSE_SE_EEES9_SG_JZNS1_25segmented_radix_sort_implINS0_14default_configELb0EPK12hip_bfloat16PSL_PKlPlN2at6native12_GLOBAL__N_18offset_tEEE10hipError_tPvRmT1_PNSt15iterator_traitsISZ_E10value_typeET2_T3_PNS10_IS15_E10value_typeET4_jRbjT5_S1B_jjP12ihipStream_tbEUljE_EEESW_SX_SY_S15_S19_S1B_T6_T7_T9_mT8_S1D_bDpT10_ENKUlT_T0_E_clISt17integral_constantIbLb1EES1Q_EEDaS1L_S1M_EUlS1L_E_NS1_11comp_targetILNS1_3genE3ELNS1_11target_archE908ELNS1_3gpuE7ELNS1_3repE0EEENS1_30default_config_static_selectorELNS0_4arch9wavefront6targetE0EEEvSZ_.uses_flat_scratch, 0
	.set _ZN7rocprim17ROCPRIM_400000_NS6detail17trampoline_kernelINS0_13select_configILj256ELj13ELNS0_17block_load_methodE3ELS4_3ELS4_3ELNS0_20block_scan_algorithmE0ELj4294967295EEENS1_25partition_config_selectorILNS1_17partition_subalgoE3EjNS0_10empty_typeEbEEZZNS1_14partition_implILS8_3ELb0ES6_jNS0_17counting_iteratorIjlEEPS9_SE_NS0_5tupleIJPjSE_EEENSF_IJSE_SE_EEES9_SG_JZNS1_25segmented_radix_sort_implINS0_14default_configELb0EPK12hip_bfloat16PSL_PKlPlN2at6native12_GLOBAL__N_18offset_tEEE10hipError_tPvRmT1_PNSt15iterator_traitsISZ_E10value_typeET2_T3_PNS10_IS15_E10value_typeET4_jRbjT5_S1B_jjP12ihipStream_tbEUljE_EEESW_SX_SY_S15_S19_S1B_T6_T7_T9_mT8_S1D_bDpT10_ENKUlT_T0_E_clISt17integral_constantIbLb1EES1Q_EEDaS1L_S1M_EUlS1L_E_NS1_11comp_targetILNS1_3genE3ELNS1_11target_archE908ELNS1_3gpuE7ELNS1_3repE0EEENS1_30default_config_static_selectorELNS0_4arch9wavefront6targetE0EEEvSZ_.has_dyn_sized_stack, 0
	.set _ZN7rocprim17ROCPRIM_400000_NS6detail17trampoline_kernelINS0_13select_configILj256ELj13ELNS0_17block_load_methodE3ELS4_3ELS4_3ELNS0_20block_scan_algorithmE0ELj4294967295EEENS1_25partition_config_selectorILNS1_17partition_subalgoE3EjNS0_10empty_typeEbEEZZNS1_14partition_implILS8_3ELb0ES6_jNS0_17counting_iteratorIjlEEPS9_SE_NS0_5tupleIJPjSE_EEENSF_IJSE_SE_EEES9_SG_JZNS1_25segmented_radix_sort_implINS0_14default_configELb0EPK12hip_bfloat16PSL_PKlPlN2at6native12_GLOBAL__N_18offset_tEEE10hipError_tPvRmT1_PNSt15iterator_traitsISZ_E10value_typeET2_T3_PNS10_IS15_E10value_typeET4_jRbjT5_S1B_jjP12ihipStream_tbEUljE_EEESW_SX_SY_S15_S19_S1B_T6_T7_T9_mT8_S1D_bDpT10_ENKUlT_T0_E_clISt17integral_constantIbLb1EES1Q_EEDaS1L_S1M_EUlS1L_E_NS1_11comp_targetILNS1_3genE3ELNS1_11target_archE908ELNS1_3gpuE7ELNS1_3repE0EEENS1_30default_config_static_selectorELNS0_4arch9wavefront6targetE0EEEvSZ_.has_recursion, 0
	.set _ZN7rocprim17ROCPRIM_400000_NS6detail17trampoline_kernelINS0_13select_configILj256ELj13ELNS0_17block_load_methodE3ELS4_3ELS4_3ELNS0_20block_scan_algorithmE0ELj4294967295EEENS1_25partition_config_selectorILNS1_17partition_subalgoE3EjNS0_10empty_typeEbEEZZNS1_14partition_implILS8_3ELb0ES6_jNS0_17counting_iteratorIjlEEPS9_SE_NS0_5tupleIJPjSE_EEENSF_IJSE_SE_EEES9_SG_JZNS1_25segmented_radix_sort_implINS0_14default_configELb0EPK12hip_bfloat16PSL_PKlPlN2at6native12_GLOBAL__N_18offset_tEEE10hipError_tPvRmT1_PNSt15iterator_traitsISZ_E10value_typeET2_T3_PNS10_IS15_E10value_typeET4_jRbjT5_S1B_jjP12ihipStream_tbEUljE_EEESW_SX_SY_S15_S19_S1B_T6_T7_T9_mT8_S1D_bDpT10_ENKUlT_T0_E_clISt17integral_constantIbLb1EES1Q_EEDaS1L_S1M_EUlS1L_E_NS1_11comp_targetILNS1_3genE3ELNS1_11target_archE908ELNS1_3gpuE7ELNS1_3repE0EEENS1_30default_config_static_selectorELNS0_4arch9wavefront6targetE0EEEvSZ_.has_indirect_call, 0
	.section	.AMDGPU.csdata,"",@progbits
; Kernel info:
; codeLenInByte = 0
; TotalNumSgprs: 0
; NumVgprs: 0
; ScratchSize: 0
; MemoryBound: 0
; FloatMode: 240
; IeeeMode: 1
; LDSByteSize: 0 bytes/workgroup (compile time only)
; SGPRBlocks: 0
; VGPRBlocks: 0
; NumSGPRsForWavesPerEU: 1
; NumVGPRsForWavesPerEU: 1
; Occupancy: 16
; WaveLimiterHint : 0
; COMPUTE_PGM_RSRC2:SCRATCH_EN: 0
; COMPUTE_PGM_RSRC2:USER_SGPR: 6
; COMPUTE_PGM_RSRC2:TRAP_HANDLER: 0
; COMPUTE_PGM_RSRC2:TGID_X_EN: 1
; COMPUTE_PGM_RSRC2:TGID_Y_EN: 0
; COMPUTE_PGM_RSRC2:TGID_Z_EN: 0
; COMPUTE_PGM_RSRC2:TIDIG_COMP_CNT: 0
	.section	.text._ZN7rocprim17ROCPRIM_400000_NS6detail17trampoline_kernelINS0_13select_configILj256ELj13ELNS0_17block_load_methodE3ELS4_3ELS4_3ELNS0_20block_scan_algorithmE0ELj4294967295EEENS1_25partition_config_selectorILNS1_17partition_subalgoE3EjNS0_10empty_typeEbEEZZNS1_14partition_implILS8_3ELb0ES6_jNS0_17counting_iteratorIjlEEPS9_SE_NS0_5tupleIJPjSE_EEENSF_IJSE_SE_EEES9_SG_JZNS1_25segmented_radix_sort_implINS0_14default_configELb0EPK12hip_bfloat16PSL_PKlPlN2at6native12_GLOBAL__N_18offset_tEEE10hipError_tPvRmT1_PNSt15iterator_traitsISZ_E10value_typeET2_T3_PNS10_IS15_E10value_typeET4_jRbjT5_S1B_jjP12ihipStream_tbEUljE_EEESW_SX_SY_S15_S19_S1B_T6_T7_T9_mT8_S1D_bDpT10_ENKUlT_T0_E_clISt17integral_constantIbLb1EES1Q_EEDaS1L_S1M_EUlS1L_E_NS1_11comp_targetILNS1_3genE2ELNS1_11target_archE906ELNS1_3gpuE6ELNS1_3repE0EEENS1_30default_config_static_selectorELNS0_4arch9wavefront6targetE0EEEvSZ_,"axG",@progbits,_ZN7rocprim17ROCPRIM_400000_NS6detail17trampoline_kernelINS0_13select_configILj256ELj13ELNS0_17block_load_methodE3ELS4_3ELS4_3ELNS0_20block_scan_algorithmE0ELj4294967295EEENS1_25partition_config_selectorILNS1_17partition_subalgoE3EjNS0_10empty_typeEbEEZZNS1_14partition_implILS8_3ELb0ES6_jNS0_17counting_iteratorIjlEEPS9_SE_NS0_5tupleIJPjSE_EEENSF_IJSE_SE_EEES9_SG_JZNS1_25segmented_radix_sort_implINS0_14default_configELb0EPK12hip_bfloat16PSL_PKlPlN2at6native12_GLOBAL__N_18offset_tEEE10hipError_tPvRmT1_PNSt15iterator_traitsISZ_E10value_typeET2_T3_PNS10_IS15_E10value_typeET4_jRbjT5_S1B_jjP12ihipStream_tbEUljE_EEESW_SX_SY_S15_S19_S1B_T6_T7_T9_mT8_S1D_bDpT10_ENKUlT_T0_E_clISt17integral_constantIbLb1EES1Q_EEDaS1L_S1M_EUlS1L_E_NS1_11comp_targetILNS1_3genE2ELNS1_11target_archE906ELNS1_3gpuE6ELNS1_3repE0EEENS1_30default_config_static_selectorELNS0_4arch9wavefront6targetE0EEEvSZ_,comdat
	.globl	_ZN7rocprim17ROCPRIM_400000_NS6detail17trampoline_kernelINS0_13select_configILj256ELj13ELNS0_17block_load_methodE3ELS4_3ELS4_3ELNS0_20block_scan_algorithmE0ELj4294967295EEENS1_25partition_config_selectorILNS1_17partition_subalgoE3EjNS0_10empty_typeEbEEZZNS1_14partition_implILS8_3ELb0ES6_jNS0_17counting_iteratorIjlEEPS9_SE_NS0_5tupleIJPjSE_EEENSF_IJSE_SE_EEES9_SG_JZNS1_25segmented_radix_sort_implINS0_14default_configELb0EPK12hip_bfloat16PSL_PKlPlN2at6native12_GLOBAL__N_18offset_tEEE10hipError_tPvRmT1_PNSt15iterator_traitsISZ_E10value_typeET2_T3_PNS10_IS15_E10value_typeET4_jRbjT5_S1B_jjP12ihipStream_tbEUljE_EEESW_SX_SY_S15_S19_S1B_T6_T7_T9_mT8_S1D_bDpT10_ENKUlT_T0_E_clISt17integral_constantIbLb1EES1Q_EEDaS1L_S1M_EUlS1L_E_NS1_11comp_targetILNS1_3genE2ELNS1_11target_archE906ELNS1_3gpuE6ELNS1_3repE0EEENS1_30default_config_static_selectorELNS0_4arch9wavefront6targetE0EEEvSZ_ ; -- Begin function _ZN7rocprim17ROCPRIM_400000_NS6detail17trampoline_kernelINS0_13select_configILj256ELj13ELNS0_17block_load_methodE3ELS4_3ELS4_3ELNS0_20block_scan_algorithmE0ELj4294967295EEENS1_25partition_config_selectorILNS1_17partition_subalgoE3EjNS0_10empty_typeEbEEZZNS1_14partition_implILS8_3ELb0ES6_jNS0_17counting_iteratorIjlEEPS9_SE_NS0_5tupleIJPjSE_EEENSF_IJSE_SE_EEES9_SG_JZNS1_25segmented_radix_sort_implINS0_14default_configELb0EPK12hip_bfloat16PSL_PKlPlN2at6native12_GLOBAL__N_18offset_tEEE10hipError_tPvRmT1_PNSt15iterator_traitsISZ_E10value_typeET2_T3_PNS10_IS15_E10value_typeET4_jRbjT5_S1B_jjP12ihipStream_tbEUljE_EEESW_SX_SY_S15_S19_S1B_T6_T7_T9_mT8_S1D_bDpT10_ENKUlT_T0_E_clISt17integral_constantIbLb1EES1Q_EEDaS1L_S1M_EUlS1L_E_NS1_11comp_targetILNS1_3genE2ELNS1_11target_archE906ELNS1_3gpuE6ELNS1_3repE0EEENS1_30default_config_static_selectorELNS0_4arch9wavefront6targetE0EEEvSZ_
	.p2align	8
	.type	_ZN7rocprim17ROCPRIM_400000_NS6detail17trampoline_kernelINS0_13select_configILj256ELj13ELNS0_17block_load_methodE3ELS4_3ELS4_3ELNS0_20block_scan_algorithmE0ELj4294967295EEENS1_25partition_config_selectorILNS1_17partition_subalgoE3EjNS0_10empty_typeEbEEZZNS1_14partition_implILS8_3ELb0ES6_jNS0_17counting_iteratorIjlEEPS9_SE_NS0_5tupleIJPjSE_EEENSF_IJSE_SE_EEES9_SG_JZNS1_25segmented_radix_sort_implINS0_14default_configELb0EPK12hip_bfloat16PSL_PKlPlN2at6native12_GLOBAL__N_18offset_tEEE10hipError_tPvRmT1_PNSt15iterator_traitsISZ_E10value_typeET2_T3_PNS10_IS15_E10value_typeET4_jRbjT5_S1B_jjP12ihipStream_tbEUljE_EEESW_SX_SY_S15_S19_S1B_T6_T7_T9_mT8_S1D_bDpT10_ENKUlT_T0_E_clISt17integral_constantIbLb1EES1Q_EEDaS1L_S1M_EUlS1L_E_NS1_11comp_targetILNS1_3genE2ELNS1_11target_archE906ELNS1_3gpuE6ELNS1_3repE0EEENS1_30default_config_static_selectorELNS0_4arch9wavefront6targetE0EEEvSZ_,@function
_ZN7rocprim17ROCPRIM_400000_NS6detail17trampoline_kernelINS0_13select_configILj256ELj13ELNS0_17block_load_methodE3ELS4_3ELS4_3ELNS0_20block_scan_algorithmE0ELj4294967295EEENS1_25partition_config_selectorILNS1_17partition_subalgoE3EjNS0_10empty_typeEbEEZZNS1_14partition_implILS8_3ELb0ES6_jNS0_17counting_iteratorIjlEEPS9_SE_NS0_5tupleIJPjSE_EEENSF_IJSE_SE_EEES9_SG_JZNS1_25segmented_radix_sort_implINS0_14default_configELb0EPK12hip_bfloat16PSL_PKlPlN2at6native12_GLOBAL__N_18offset_tEEE10hipError_tPvRmT1_PNSt15iterator_traitsISZ_E10value_typeET2_T3_PNS10_IS15_E10value_typeET4_jRbjT5_S1B_jjP12ihipStream_tbEUljE_EEESW_SX_SY_S15_S19_S1B_T6_T7_T9_mT8_S1D_bDpT10_ENKUlT_T0_E_clISt17integral_constantIbLb1EES1Q_EEDaS1L_S1M_EUlS1L_E_NS1_11comp_targetILNS1_3genE2ELNS1_11target_archE906ELNS1_3gpuE6ELNS1_3repE0EEENS1_30default_config_static_selectorELNS0_4arch9wavefront6targetE0EEEvSZ_: ; @_ZN7rocprim17ROCPRIM_400000_NS6detail17trampoline_kernelINS0_13select_configILj256ELj13ELNS0_17block_load_methodE3ELS4_3ELS4_3ELNS0_20block_scan_algorithmE0ELj4294967295EEENS1_25partition_config_selectorILNS1_17partition_subalgoE3EjNS0_10empty_typeEbEEZZNS1_14partition_implILS8_3ELb0ES6_jNS0_17counting_iteratorIjlEEPS9_SE_NS0_5tupleIJPjSE_EEENSF_IJSE_SE_EEES9_SG_JZNS1_25segmented_radix_sort_implINS0_14default_configELb0EPK12hip_bfloat16PSL_PKlPlN2at6native12_GLOBAL__N_18offset_tEEE10hipError_tPvRmT1_PNSt15iterator_traitsISZ_E10value_typeET2_T3_PNS10_IS15_E10value_typeET4_jRbjT5_S1B_jjP12ihipStream_tbEUljE_EEESW_SX_SY_S15_S19_S1B_T6_T7_T9_mT8_S1D_bDpT10_ENKUlT_T0_E_clISt17integral_constantIbLb1EES1Q_EEDaS1L_S1M_EUlS1L_E_NS1_11comp_targetILNS1_3genE2ELNS1_11target_archE906ELNS1_3gpuE6ELNS1_3repE0EEENS1_30default_config_static_selectorELNS0_4arch9wavefront6targetE0EEEvSZ_
; %bb.0:
	.section	.rodata,"a",@progbits
	.p2align	6, 0x0
	.amdhsa_kernel _ZN7rocprim17ROCPRIM_400000_NS6detail17trampoline_kernelINS0_13select_configILj256ELj13ELNS0_17block_load_methodE3ELS4_3ELS4_3ELNS0_20block_scan_algorithmE0ELj4294967295EEENS1_25partition_config_selectorILNS1_17partition_subalgoE3EjNS0_10empty_typeEbEEZZNS1_14partition_implILS8_3ELb0ES6_jNS0_17counting_iteratorIjlEEPS9_SE_NS0_5tupleIJPjSE_EEENSF_IJSE_SE_EEES9_SG_JZNS1_25segmented_radix_sort_implINS0_14default_configELb0EPK12hip_bfloat16PSL_PKlPlN2at6native12_GLOBAL__N_18offset_tEEE10hipError_tPvRmT1_PNSt15iterator_traitsISZ_E10value_typeET2_T3_PNS10_IS15_E10value_typeET4_jRbjT5_S1B_jjP12ihipStream_tbEUljE_EEESW_SX_SY_S15_S19_S1B_T6_T7_T9_mT8_S1D_bDpT10_ENKUlT_T0_E_clISt17integral_constantIbLb1EES1Q_EEDaS1L_S1M_EUlS1L_E_NS1_11comp_targetILNS1_3genE2ELNS1_11target_archE906ELNS1_3gpuE6ELNS1_3repE0EEENS1_30default_config_static_selectorELNS0_4arch9wavefront6targetE0EEEvSZ_
		.amdhsa_group_segment_fixed_size 0
		.amdhsa_private_segment_fixed_size 0
		.amdhsa_kernarg_size 152
		.amdhsa_user_sgpr_count 6
		.amdhsa_user_sgpr_private_segment_buffer 1
		.amdhsa_user_sgpr_dispatch_ptr 0
		.amdhsa_user_sgpr_queue_ptr 0
		.amdhsa_user_sgpr_kernarg_segment_ptr 1
		.amdhsa_user_sgpr_dispatch_id 0
		.amdhsa_user_sgpr_flat_scratch_init 0
		.amdhsa_user_sgpr_private_segment_size 0
		.amdhsa_wavefront_size32 1
		.amdhsa_uses_dynamic_stack 0
		.amdhsa_system_sgpr_private_segment_wavefront_offset 0
		.amdhsa_system_sgpr_workgroup_id_x 1
		.amdhsa_system_sgpr_workgroup_id_y 0
		.amdhsa_system_sgpr_workgroup_id_z 0
		.amdhsa_system_sgpr_workgroup_info 0
		.amdhsa_system_vgpr_workitem_id 0
		.amdhsa_next_free_vgpr 1
		.amdhsa_next_free_sgpr 1
		.amdhsa_reserve_vcc 0
		.amdhsa_reserve_flat_scratch 0
		.amdhsa_float_round_mode_32 0
		.amdhsa_float_round_mode_16_64 0
		.amdhsa_float_denorm_mode_32 3
		.amdhsa_float_denorm_mode_16_64 3
		.amdhsa_dx10_clamp 1
		.amdhsa_ieee_mode 1
		.amdhsa_fp16_overflow 0
		.amdhsa_workgroup_processor_mode 1
		.amdhsa_memory_ordered 1
		.amdhsa_forward_progress 1
		.amdhsa_shared_vgpr_count 0
		.amdhsa_exception_fp_ieee_invalid_op 0
		.amdhsa_exception_fp_denorm_src 0
		.amdhsa_exception_fp_ieee_div_zero 0
		.amdhsa_exception_fp_ieee_overflow 0
		.amdhsa_exception_fp_ieee_underflow 0
		.amdhsa_exception_fp_ieee_inexact 0
		.amdhsa_exception_int_div_zero 0
	.end_amdhsa_kernel
	.section	.text._ZN7rocprim17ROCPRIM_400000_NS6detail17trampoline_kernelINS0_13select_configILj256ELj13ELNS0_17block_load_methodE3ELS4_3ELS4_3ELNS0_20block_scan_algorithmE0ELj4294967295EEENS1_25partition_config_selectorILNS1_17partition_subalgoE3EjNS0_10empty_typeEbEEZZNS1_14partition_implILS8_3ELb0ES6_jNS0_17counting_iteratorIjlEEPS9_SE_NS0_5tupleIJPjSE_EEENSF_IJSE_SE_EEES9_SG_JZNS1_25segmented_radix_sort_implINS0_14default_configELb0EPK12hip_bfloat16PSL_PKlPlN2at6native12_GLOBAL__N_18offset_tEEE10hipError_tPvRmT1_PNSt15iterator_traitsISZ_E10value_typeET2_T3_PNS10_IS15_E10value_typeET4_jRbjT5_S1B_jjP12ihipStream_tbEUljE_EEESW_SX_SY_S15_S19_S1B_T6_T7_T9_mT8_S1D_bDpT10_ENKUlT_T0_E_clISt17integral_constantIbLb1EES1Q_EEDaS1L_S1M_EUlS1L_E_NS1_11comp_targetILNS1_3genE2ELNS1_11target_archE906ELNS1_3gpuE6ELNS1_3repE0EEENS1_30default_config_static_selectorELNS0_4arch9wavefront6targetE0EEEvSZ_,"axG",@progbits,_ZN7rocprim17ROCPRIM_400000_NS6detail17trampoline_kernelINS0_13select_configILj256ELj13ELNS0_17block_load_methodE3ELS4_3ELS4_3ELNS0_20block_scan_algorithmE0ELj4294967295EEENS1_25partition_config_selectorILNS1_17partition_subalgoE3EjNS0_10empty_typeEbEEZZNS1_14partition_implILS8_3ELb0ES6_jNS0_17counting_iteratorIjlEEPS9_SE_NS0_5tupleIJPjSE_EEENSF_IJSE_SE_EEES9_SG_JZNS1_25segmented_radix_sort_implINS0_14default_configELb0EPK12hip_bfloat16PSL_PKlPlN2at6native12_GLOBAL__N_18offset_tEEE10hipError_tPvRmT1_PNSt15iterator_traitsISZ_E10value_typeET2_T3_PNS10_IS15_E10value_typeET4_jRbjT5_S1B_jjP12ihipStream_tbEUljE_EEESW_SX_SY_S15_S19_S1B_T6_T7_T9_mT8_S1D_bDpT10_ENKUlT_T0_E_clISt17integral_constantIbLb1EES1Q_EEDaS1L_S1M_EUlS1L_E_NS1_11comp_targetILNS1_3genE2ELNS1_11target_archE906ELNS1_3gpuE6ELNS1_3repE0EEENS1_30default_config_static_selectorELNS0_4arch9wavefront6targetE0EEEvSZ_,comdat
.Lfunc_end2019:
	.size	_ZN7rocprim17ROCPRIM_400000_NS6detail17trampoline_kernelINS0_13select_configILj256ELj13ELNS0_17block_load_methodE3ELS4_3ELS4_3ELNS0_20block_scan_algorithmE0ELj4294967295EEENS1_25partition_config_selectorILNS1_17partition_subalgoE3EjNS0_10empty_typeEbEEZZNS1_14partition_implILS8_3ELb0ES6_jNS0_17counting_iteratorIjlEEPS9_SE_NS0_5tupleIJPjSE_EEENSF_IJSE_SE_EEES9_SG_JZNS1_25segmented_radix_sort_implINS0_14default_configELb0EPK12hip_bfloat16PSL_PKlPlN2at6native12_GLOBAL__N_18offset_tEEE10hipError_tPvRmT1_PNSt15iterator_traitsISZ_E10value_typeET2_T3_PNS10_IS15_E10value_typeET4_jRbjT5_S1B_jjP12ihipStream_tbEUljE_EEESW_SX_SY_S15_S19_S1B_T6_T7_T9_mT8_S1D_bDpT10_ENKUlT_T0_E_clISt17integral_constantIbLb1EES1Q_EEDaS1L_S1M_EUlS1L_E_NS1_11comp_targetILNS1_3genE2ELNS1_11target_archE906ELNS1_3gpuE6ELNS1_3repE0EEENS1_30default_config_static_selectorELNS0_4arch9wavefront6targetE0EEEvSZ_, .Lfunc_end2019-_ZN7rocprim17ROCPRIM_400000_NS6detail17trampoline_kernelINS0_13select_configILj256ELj13ELNS0_17block_load_methodE3ELS4_3ELS4_3ELNS0_20block_scan_algorithmE0ELj4294967295EEENS1_25partition_config_selectorILNS1_17partition_subalgoE3EjNS0_10empty_typeEbEEZZNS1_14partition_implILS8_3ELb0ES6_jNS0_17counting_iteratorIjlEEPS9_SE_NS0_5tupleIJPjSE_EEENSF_IJSE_SE_EEES9_SG_JZNS1_25segmented_radix_sort_implINS0_14default_configELb0EPK12hip_bfloat16PSL_PKlPlN2at6native12_GLOBAL__N_18offset_tEEE10hipError_tPvRmT1_PNSt15iterator_traitsISZ_E10value_typeET2_T3_PNS10_IS15_E10value_typeET4_jRbjT5_S1B_jjP12ihipStream_tbEUljE_EEESW_SX_SY_S15_S19_S1B_T6_T7_T9_mT8_S1D_bDpT10_ENKUlT_T0_E_clISt17integral_constantIbLb1EES1Q_EEDaS1L_S1M_EUlS1L_E_NS1_11comp_targetILNS1_3genE2ELNS1_11target_archE906ELNS1_3gpuE6ELNS1_3repE0EEENS1_30default_config_static_selectorELNS0_4arch9wavefront6targetE0EEEvSZ_
                                        ; -- End function
	.set _ZN7rocprim17ROCPRIM_400000_NS6detail17trampoline_kernelINS0_13select_configILj256ELj13ELNS0_17block_load_methodE3ELS4_3ELS4_3ELNS0_20block_scan_algorithmE0ELj4294967295EEENS1_25partition_config_selectorILNS1_17partition_subalgoE3EjNS0_10empty_typeEbEEZZNS1_14partition_implILS8_3ELb0ES6_jNS0_17counting_iteratorIjlEEPS9_SE_NS0_5tupleIJPjSE_EEENSF_IJSE_SE_EEES9_SG_JZNS1_25segmented_radix_sort_implINS0_14default_configELb0EPK12hip_bfloat16PSL_PKlPlN2at6native12_GLOBAL__N_18offset_tEEE10hipError_tPvRmT1_PNSt15iterator_traitsISZ_E10value_typeET2_T3_PNS10_IS15_E10value_typeET4_jRbjT5_S1B_jjP12ihipStream_tbEUljE_EEESW_SX_SY_S15_S19_S1B_T6_T7_T9_mT8_S1D_bDpT10_ENKUlT_T0_E_clISt17integral_constantIbLb1EES1Q_EEDaS1L_S1M_EUlS1L_E_NS1_11comp_targetILNS1_3genE2ELNS1_11target_archE906ELNS1_3gpuE6ELNS1_3repE0EEENS1_30default_config_static_selectorELNS0_4arch9wavefront6targetE0EEEvSZ_.num_vgpr, 0
	.set _ZN7rocprim17ROCPRIM_400000_NS6detail17trampoline_kernelINS0_13select_configILj256ELj13ELNS0_17block_load_methodE3ELS4_3ELS4_3ELNS0_20block_scan_algorithmE0ELj4294967295EEENS1_25partition_config_selectorILNS1_17partition_subalgoE3EjNS0_10empty_typeEbEEZZNS1_14partition_implILS8_3ELb0ES6_jNS0_17counting_iteratorIjlEEPS9_SE_NS0_5tupleIJPjSE_EEENSF_IJSE_SE_EEES9_SG_JZNS1_25segmented_radix_sort_implINS0_14default_configELb0EPK12hip_bfloat16PSL_PKlPlN2at6native12_GLOBAL__N_18offset_tEEE10hipError_tPvRmT1_PNSt15iterator_traitsISZ_E10value_typeET2_T3_PNS10_IS15_E10value_typeET4_jRbjT5_S1B_jjP12ihipStream_tbEUljE_EEESW_SX_SY_S15_S19_S1B_T6_T7_T9_mT8_S1D_bDpT10_ENKUlT_T0_E_clISt17integral_constantIbLb1EES1Q_EEDaS1L_S1M_EUlS1L_E_NS1_11comp_targetILNS1_3genE2ELNS1_11target_archE906ELNS1_3gpuE6ELNS1_3repE0EEENS1_30default_config_static_selectorELNS0_4arch9wavefront6targetE0EEEvSZ_.num_agpr, 0
	.set _ZN7rocprim17ROCPRIM_400000_NS6detail17trampoline_kernelINS0_13select_configILj256ELj13ELNS0_17block_load_methodE3ELS4_3ELS4_3ELNS0_20block_scan_algorithmE0ELj4294967295EEENS1_25partition_config_selectorILNS1_17partition_subalgoE3EjNS0_10empty_typeEbEEZZNS1_14partition_implILS8_3ELb0ES6_jNS0_17counting_iteratorIjlEEPS9_SE_NS0_5tupleIJPjSE_EEENSF_IJSE_SE_EEES9_SG_JZNS1_25segmented_radix_sort_implINS0_14default_configELb0EPK12hip_bfloat16PSL_PKlPlN2at6native12_GLOBAL__N_18offset_tEEE10hipError_tPvRmT1_PNSt15iterator_traitsISZ_E10value_typeET2_T3_PNS10_IS15_E10value_typeET4_jRbjT5_S1B_jjP12ihipStream_tbEUljE_EEESW_SX_SY_S15_S19_S1B_T6_T7_T9_mT8_S1D_bDpT10_ENKUlT_T0_E_clISt17integral_constantIbLb1EES1Q_EEDaS1L_S1M_EUlS1L_E_NS1_11comp_targetILNS1_3genE2ELNS1_11target_archE906ELNS1_3gpuE6ELNS1_3repE0EEENS1_30default_config_static_selectorELNS0_4arch9wavefront6targetE0EEEvSZ_.numbered_sgpr, 0
	.set _ZN7rocprim17ROCPRIM_400000_NS6detail17trampoline_kernelINS0_13select_configILj256ELj13ELNS0_17block_load_methodE3ELS4_3ELS4_3ELNS0_20block_scan_algorithmE0ELj4294967295EEENS1_25partition_config_selectorILNS1_17partition_subalgoE3EjNS0_10empty_typeEbEEZZNS1_14partition_implILS8_3ELb0ES6_jNS0_17counting_iteratorIjlEEPS9_SE_NS0_5tupleIJPjSE_EEENSF_IJSE_SE_EEES9_SG_JZNS1_25segmented_radix_sort_implINS0_14default_configELb0EPK12hip_bfloat16PSL_PKlPlN2at6native12_GLOBAL__N_18offset_tEEE10hipError_tPvRmT1_PNSt15iterator_traitsISZ_E10value_typeET2_T3_PNS10_IS15_E10value_typeET4_jRbjT5_S1B_jjP12ihipStream_tbEUljE_EEESW_SX_SY_S15_S19_S1B_T6_T7_T9_mT8_S1D_bDpT10_ENKUlT_T0_E_clISt17integral_constantIbLb1EES1Q_EEDaS1L_S1M_EUlS1L_E_NS1_11comp_targetILNS1_3genE2ELNS1_11target_archE906ELNS1_3gpuE6ELNS1_3repE0EEENS1_30default_config_static_selectorELNS0_4arch9wavefront6targetE0EEEvSZ_.num_named_barrier, 0
	.set _ZN7rocprim17ROCPRIM_400000_NS6detail17trampoline_kernelINS0_13select_configILj256ELj13ELNS0_17block_load_methodE3ELS4_3ELS4_3ELNS0_20block_scan_algorithmE0ELj4294967295EEENS1_25partition_config_selectorILNS1_17partition_subalgoE3EjNS0_10empty_typeEbEEZZNS1_14partition_implILS8_3ELb0ES6_jNS0_17counting_iteratorIjlEEPS9_SE_NS0_5tupleIJPjSE_EEENSF_IJSE_SE_EEES9_SG_JZNS1_25segmented_radix_sort_implINS0_14default_configELb0EPK12hip_bfloat16PSL_PKlPlN2at6native12_GLOBAL__N_18offset_tEEE10hipError_tPvRmT1_PNSt15iterator_traitsISZ_E10value_typeET2_T3_PNS10_IS15_E10value_typeET4_jRbjT5_S1B_jjP12ihipStream_tbEUljE_EEESW_SX_SY_S15_S19_S1B_T6_T7_T9_mT8_S1D_bDpT10_ENKUlT_T0_E_clISt17integral_constantIbLb1EES1Q_EEDaS1L_S1M_EUlS1L_E_NS1_11comp_targetILNS1_3genE2ELNS1_11target_archE906ELNS1_3gpuE6ELNS1_3repE0EEENS1_30default_config_static_selectorELNS0_4arch9wavefront6targetE0EEEvSZ_.private_seg_size, 0
	.set _ZN7rocprim17ROCPRIM_400000_NS6detail17trampoline_kernelINS0_13select_configILj256ELj13ELNS0_17block_load_methodE3ELS4_3ELS4_3ELNS0_20block_scan_algorithmE0ELj4294967295EEENS1_25partition_config_selectorILNS1_17partition_subalgoE3EjNS0_10empty_typeEbEEZZNS1_14partition_implILS8_3ELb0ES6_jNS0_17counting_iteratorIjlEEPS9_SE_NS0_5tupleIJPjSE_EEENSF_IJSE_SE_EEES9_SG_JZNS1_25segmented_radix_sort_implINS0_14default_configELb0EPK12hip_bfloat16PSL_PKlPlN2at6native12_GLOBAL__N_18offset_tEEE10hipError_tPvRmT1_PNSt15iterator_traitsISZ_E10value_typeET2_T3_PNS10_IS15_E10value_typeET4_jRbjT5_S1B_jjP12ihipStream_tbEUljE_EEESW_SX_SY_S15_S19_S1B_T6_T7_T9_mT8_S1D_bDpT10_ENKUlT_T0_E_clISt17integral_constantIbLb1EES1Q_EEDaS1L_S1M_EUlS1L_E_NS1_11comp_targetILNS1_3genE2ELNS1_11target_archE906ELNS1_3gpuE6ELNS1_3repE0EEENS1_30default_config_static_selectorELNS0_4arch9wavefront6targetE0EEEvSZ_.uses_vcc, 0
	.set _ZN7rocprim17ROCPRIM_400000_NS6detail17trampoline_kernelINS0_13select_configILj256ELj13ELNS0_17block_load_methodE3ELS4_3ELS4_3ELNS0_20block_scan_algorithmE0ELj4294967295EEENS1_25partition_config_selectorILNS1_17partition_subalgoE3EjNS0_10empty_typeEbEEZZNS1_14partition_implILS8_3ELb0ES6_jNS0_17counting_iteratorIjlEEPS9_SE_NS0_5tupleIJPjSE_EEENSF_IJSE_SE_EEES9_SG_JZNS1_25segmented_radix_sort_implINS0_14default_configELb0EPK12hip_bfloat16PSL_PKlPlN2at6native12_GLOBAL__N_18offset_tEEE10hipError_tPvRmT1_PNSt15iterator_traitsISZ_E10value_typeET2_T3_PNS10_IS15_E10value_typeET4_jRbjT5_S1B_jjP12ihipStream_tbEUljE_EEESW_SX_SY_S15_S19_S1B_T6_T7_T9_mT8_S1D_bDpT10_ENKUlT_T0_E_clISt17integral_constantIbLb1EES1Q_EEDaS1L_S1M_EUlS1L_E_NS1_11comp_targetILNS1_3genE2ELNS1_11target_archE906ELNS1_3gpuE6ELNS1_3repE0EEENS1_30default_config_static_selectorELNS0_4arch9wavefront6targetE0EEEvSZ_.uses_flat_scratch, 0
	.set _ZN7rocprim17ROCPRIM_400000_NS6detail17trampoline_kernelINS0_13select_configILj256ELj13ELNS0_17block_load_methodE3ELS4_3ELS4_3ELNS0_20block_scan_algorithmE0ELj4294967295EEENS1_25partition_config_selectorILNS1_17partition_subalgoE3EjNS0_10empty_typeEbEEZZNS1_14partition_implILS8_3ELb0ES6_jNS0_17counting_iteratorIjlEEPS9_SE_NS0_5tupleIJPjSE_EEENSF_IJSE_SE_EEES9_SG_JZNS1_25segmented_radix_sort_implINS0_14default_configELb0EPK12hip_bfloat16PSL_PKlPlN2at6native12_GLOBAL__N_18offset_tEEE10hipError_tPvRmT1_PNSt15iterator_traitsISZ_E10value_typeET2_T3_PNS10_IS15_E10value_typeET4_jRbjT5_S1B_jjP12ihipStream_tbEUljE_EEESW_SX_SY_S15_S19_S1B_T6_T7_T9_mT8_S1D_bDpT10_ENKUlT_T0_E_clISt17integral_constantIbLb1EES1Q_EEDaS1L_S1M_EUlS1L_E_NS1_11comp_targetILNS1_3genE2ELNS1_11target_archE906ELNS1_3gpuE6ELNS1_3repE0EEENS1_30default_config_static_selectorELNS0_4arch9wavefront6targetE0EEEvSZ_.has_dyn_sized_stack, 0
	.set _ZN7rocprim17ROCPRIM_400000_NS6detail17trampoline_kernelINS0_13select_configILj256ELj13ELNS0_17block_load_methodE3ELS4_3ELS4_3ELNS0_20block_scan_algorithmE0ELj4294967295EEENS1_25partition_config_selectorILNS1_17partition_subalgoE3EjNS0_10empty_typeEbEEZZNS1_14partition_implILS8_3ELb0ES6_jNS0_17counting_iteratorIjlEEPS9_SE_NS0_5tupleIJPjSE_EEENSF_IJSE_SE_EEES9_SG_JZNS1_25segmented_radix_sort_implINS0_14default_configELb0EPK12hip_bfloat16PSL_PKlPlN2at6native12_GLOBAL__N_18offset_tEEE10hipError_tPvRmT1_PNSt15iterator_traitsISZ_E10value_typeET2_T3_PNS10_IS15_E10value_typeET4_jRbjT5_S1B_jjP12ihipStream_tbEUljE_EEESW_SX_SY_S15_S19_S1B_T6_T7_T9_mT8_S1D_bDpT10_ENKUlT_T0_E_clISt17integral_constantIbLb1EES1Q_EEDaS1L_S1M_EUlS1L_E_NS1_11comp_targetILNS1_3genE2ELNS1_11target_archE906ELNS1_3gpuE6ELNS1_3repE0EEENS1_30default_config_static_selectorELNS0_4arch9wavefront6targetE0EEEvSZ_.has_recursion, 0
	.set _ZN7rocprim17ROCPRIM_400000_NS6detail17trampoline_kernelINS0_13select_configILj256ELj13ELNS0_17block_load_methodE3ELS4_3ELS4_3ELNS0_20block_scan_algorithmE0ELj4294967295EEENS1_25partition_config_selectorILNS1_17partition_subalgoE3EjNS0_10empty_typeEbEEZZNS1_14partition_implILS8_3ELb0ES6_jNS0_17counting_iteratorIjlEEPS9_SE_NS0_5tupleIJPjSE_EEENSF_IJSE_SE_EEES9_SG_JZNS1_25segmented_radix_sort_implINS0_14default_configELb0EPK12hip_bfloat16PSL_PKlPlN2at6native12_GLOBAL__N_18offset_tEEE10hipError_tPvRmT1_PNSt15iterator_traitsISZ_E10value_typeET2_T3_PNS10_IS15_E10value_typeET4_jRbjT5_S1B_jjP12ihipStream_tbEUljE_EEESW_SX_SY_S15_S19_S1B_T6_T7_T9_mT8_S1D_bDpT10_ENKUlT_T0_E_clISt17integral_constantIbLb1EES1Q_EEDaS1L_S1M_EUlS1L_E_NS1_11comp_targetILNS1_3genE2ELNS1_11target_archE906ELNS1_3gpuE6ELNS1_3repE0EEENS1_30default_config_static_selectorELNS0_4arch9wavefront6targetE0EEEvSZ_.has_indirect_call, 0
	.section	.AMDGPU.csdata,"",@progbits
; Kernel info:
; codeLenInByte = 0
; TotalNumSgprs: 0
; NumVgprs: 0
; ScratchSize: 0
; MemoryBound: 0
; FloatMode: 240
; IeeeMode: 1
; LDSByteSize: 0 bytes/workgroup (compile time only)
; SGPRBlocks: 0
; VGPRBlocks: 0
; NumSGPRsForWavesPerEU: 1
; NumVGPRsForWavesPerEU: 1
; Occupancy: 16
; WaveLimiterHint : 0
; COMPUTE_PGM_RSRC2:SCRATCH_EN: 0
; COMPUTE_PGM_RSRC2:USER_SGPR: 6
; COMPUTE_PGM_RSRC2:TRAP_HANDLER: 0
; COMPUTE_PGM_RSRC2:TGID_X_EN: 1
; COMPUTE_PGM_RSRC2:TGID_Y_EN: 0
; COMPUTE_PGM_RSRC2:TGID_Z_EN: 0
; COMPUTE_PGM_RSRC2:TIDIG_COMP_CNT: 0
	.section	.text._ZN7rocprim17ROCPRIM_400000_NS6detail17trampoline_kernelINS0_13select_configILj256ELj13ELNS0_17block_load_methodE3ELS4_3ELS4_3ELNS0_20block_scan_algorithmE0ELj4294967295EEENS1_25partition_config_selectorILNS1_17partition_subalgoE3EjNS0_10empty_typeEbEEZZNS1_14partition_implILS8_3ELb0ES6_jNS0_17counting_iteratorIjlEEPS9_SE_NS0_5tupleIJPjSE_EEENSF_IJSE_SE_EEES9_SG_JZNS1_25segmented_radix_sort_implINS0_14default_configELb0EPK12hip_bfloat16PSL_PKlPlN2at6native12_GLOBAL__N_18offset_tEEE10hipError_tPvRmT1_PNSt15iterator_traitsISZ_E10value_typeET2_T3_PNS10_IS15_E10value_typeET4_jRbjT5_S1B_jjP12ihipStream_tbEUljE_EEESW_SX_SY_S15_S19_S1B_T6_T7_T9_mT8_S1D_bDpT10_ENKUlT_T0_E_clISt17integral_constantIbLb1EES1Q_EEDaS1L_S1M_EUlS1L_E_NS1_11comp_targetILNS1_3genE10ELNS1_11target_archE1200ELNS1_3gpuE4ELNS1_3repE0EEENS1_30default_config_static_selectorELNS0_4arch9wavefront6targetE0EEEvSZ_,"axG",@progbits,_ZN7rocprim17ROCPRIM_400000_NS6detail17trampoline_kernelINS0_13select_configILj256ELj13ELNS0_17block_load_methodE3ELS4_3ELS4_3ELNS0_20block_scan_algorithmE0ELj4294967295EEENS1_25partition_config_selectorILNS1_17partition_subalgoE3EjNS0_10empty_typeEbEEZZNS1_14partition_implILS8_3ELb0ES6_jNS0_17counting_iteratorIjlEEPS9_SE_NS0_5tupleIJPjSE_EEENSF_IJSE_SE_EEES9_SG_JZNS1_25segmented_radix_sort_implINS0_14default_configELb0EPK12hip_bfloat16PSL_PKlPlN2at6native12_GLOBAL__N_18offset_tEEE10hipError_tPvRmT1_PNSt15iterator_traitsISZ_E10value_typeET2_T3_PNS10_IS15_E10value_typeET4_jRbjT5_S1B_jjP12ihipStream_tbEUljE_EEESW_SX_SY_S15_S19_S1B_T6_T7_T9_mT8_S1D_bDpT10_ENKUlT_T0_E_clISt17integral_constantIbLb1EES1Q_EEDaS1L_S1M_EUlS1L_E_NS1_11comp_targetILNS1_3genE10ELNS1_11target_archE1200ELNS1_3gpuE4ELNS1_3repE0EEENS1_30default_config_static_selectorELNS0_4arch9wavefront6targetE0EEEvSZ_,comdat
	.globl	_ZN7rocprim17ROCPRIM_400000_NS6detail17trampoline_kernelINS0_13select_configILj256ELj13ELNS0_17block_load_methodE3ELS4_3ELS4_3ELNS0_20block_scan_algorithmE0ELj4294967295EEENS1_25partition_config_selectorILNS1_17partition_subalgoE3EjNS0_10empty_typeEbEEZZNS1_14partition_implILS8_3ELb0ES6_jNS0_17counting_iteratorIjlEEPS9_SE_NS0_5tupleIJPjSE_EEENSF_IJSE_SE_EEES9_SG_JZNS1_25segmented_radix_sort_implINS0_14default_configELb0EPK12hip_bfloat16PSL_PKlPlN2at6native12_GLOBAL__N_18offset_tEEE10hipError_tPvRmT1_PNSt15iterator_traitsISZ_E10value_typeET2_T3_PNS10_IS15_E10value_typeET4_jRbjT5_S1B_jjP12ihipStream_tbEUljE_EEESW_SX_SY_S15_S19_S1B_T6_T7_T9_mT8_S1D_bDpT10_ENKUlT_T0_E_clISt17integral_constantIbLb1EES1Q_EEDaS1L_S1M_EUlS1L_E_NS1_11comp_targetILNS1_3genE10ELNS1_11target_archE1200ELNS1_3gpuE4ELNS1_3repE0EEENS1_30default_config_static_selectorELNS0_4arch9wavefront6targetE0EEEvSZ_ ; -- Begin function _ZN7rocprim17ROCPRIM_400000_NS6detail17trampoline_kernelINS0_13select_configILj256ELj13ELNS0_17block_load_methodE3ELS4_3ELS4_3ELNS0_20block_scan_algorithmE0ELj4294967295EEENS1_25partition_config_selectorILNS1_17partition_subalgoE3EjNS0_10empty_typeEbEEZZNS1_14partition_implILS8_3ELb0ES6_jNS0_17counting_iteratorIjlEEPS9_SE_NS0_5tupleIJPjSE_EEENSF_IJSE_SE_EEES9_SG_JZNS1_25segmented_radix_sort_implINS0_14default_configELb0EPK12hip_bfloat16PSL_PKlPlN2at6native12_GLOBAL__N_18offset_tEEE10hipError_tPvRmT1_PNSt15iterator_traitsISZ_E10value_typeET2_T3_PNS10_IS15_E10value_typeET4_jRbjT5_S1B_jjP12ihipStream_tbEUljE_EEESW_SX_SY_S15_S19_S1B_T6_T7_T9_mT8_S1D_bDpT10_ENKUlT_T0_E_clISt17integral_constantIbLb1EES1Q_EEDaS1L_S1M_EUlS1L_E_NS1_11comp_targetILNS1_3genE10ELNS1_11target_archE1200ELNS1_3gpuE4ELNS1_3repE0EEENS1_30default_config_static_selectorELNS0_4arch9wavefront6targetE0EEEvSZ_
	.p2align	8
	.type	_ZN7rocprim17ROCPRIM_400000_NS6detail17trampoline_kernelINS0_13select_configILj256ELj13ELNS0_17block_load_methodE3ELS4_3ELS4_3ELNS0_20block_scan_algorithmE0ELj4294967295EEENS1_25partition_config_selectorILNS1_17partition_subalgoE3EjNS0_10empty_typeEbEEZZNS1_14partition_implILS8_3ELb0ES6_jNS0_17counting_iteratorIjlEEPS9_SE_NS0_5tupleIJPjSE_EEENSF_IJSE_SE_EEES9_SG_JZNS1_25segmented_radix_sort_implINS0_14default_configELb0EPK12hip_bfloat16PSL_PKlPlN2at6native12_GLOBAL__N_18offset_tEEE10hipError_tPvRmT1_PNSt15iterator_traitsISZ_E10value_typeET2_T3_PNS10_IS15_E10value_typeET4_jRbjT5_S1B_jjP12ihipStream_tbEUljE_EEESW_SX_SY_S15_S19_S1B_T6_T7_T9_mT8_S1D_bDpT10_ENKUlT_T0_E_clISt17integral_constantIbLb1EES1Q_EEDaS1L_S1M_EUlS1L_E_NS1_11comp_targetILNS1_3genE10ELNS1_11target_archE1200ELNS1_3gpuE4ELNS1_3repE0EEENS1_30default_config_static_selectorELNS0_4arch9wavefront6targetE0EEEvSZ_,@function
_ZN7rocprim17ROCPRIM_400000_NS6detail17trampoline_kernelINS0_13select_configILj256ELj13ELNS0_17block_load_methodE3ELS4_3ELS4_3ELNS0_20block_scan_algorithmE0ELj4294967295EEENS1_25partition_config_selectorILNS1_17partition_subalgoE3EjNS0_10empty_typeEbEEZZNS1_14partition_implILS8_3ELb0ES6_jNS0_17counting_iteratorIjlEEPS9_SE_NS0_5tupleIJPjSE_EEENSF_IJSE_SE_EEES9_SG_JZNS1_25segmented_radix_sort_implINS0_14default_configELb0EPK12hip_bfloat16PSL_PKlPlN2at6native12_GLOBAL__N_18offset_tEEE10hipError_tPvRmT1_PNSt15iterator_traitsISZ_E10value_typeET2_T3_PNS10_IS15_E10value_typeET4_jRbjT5_S1B_jjP12ihipStream_tbEUljE_EEESW_SX_SY_S15_S19_S1B_T6_T7_T9_mT8_S1D_bDpT10_ENKUlT_T0_E_clISt17integral_constantIbLb1EES1Q_EEDaS1L_S1M_EUlS1L_E_NS1_11comp_targetILNS1_3genE10ELNS1_11target_archE1200ELNS1_3gpuE4ELNS1_3repE0EEENS1_30default_config_static_selectorELNS0_4arch9wavefront6targetE0EEEvSZ_: ; @_ZN7rocprim17ROCPRIM_400000_NS6detail17trampoline_kernelINS0_13select_configILj256ELj13ELNS0_17block_load_methodE3ELS4_3ELS4_3ELNS0_20block_scan_algorithmE0ELj4294967295EEENS1_25partition_config_selectorILNS1_17partition_subalgoE3EjNS0_10empty_typeEbEEZZNS1_14partition_implILS8_3ELb0ES6_jNS0_17counting_iteratorIjlEEPS9_SE_NS0_5tupleIJPjSE_EEENSF_IJSE_SE_EEES9_SG_JZNS1_25segmented_radix_sort_implINS0_14default_configELb0EPK12hip_bfloat16PSL_PKlPlN2at6native12_GLOBAL__N_18offset_tEEE10hipError_tPvRmT1_PNSt15iterator_traitsISZ_E10value_typeET2_T3_PNS10_IS15_E10value_typeET4_jRbjT5_S1B_jjP12ihipStream_tbEUljE_EEESW_SX_SY_S15_S19_S1B_T6_T7_T9_mT8_S1D_bDpT10_ENKUlT_T0_E_clISt17integral_constantIbLb1EES1Q_EEDaS1L_S1M_EUlS1L_E_NS1_11comp_targetILNS1_3genE10ELNS1_11target_archE1200ELNS1_3gpuE4ELNS1_3repE0EEENS1_30default_config_static_selectorELNS0_4arch9wavefront6targetE0EEEvSZ_
; %bb.0:
	.section	.rodata,"a",@progbits
	.p2align	6, 0x0
	.amdhsa_kernel _ZN7rocprim17ROCPRIM_400000_NS6detail17trampoline_kernelINS0_13select_configILj256ELj13ELNS0_17block_load_methodE3ELS4_3ELS4_3ELNS0_20block_scan_algorithmE0ELj4294967295EEENS1_25partition_config_selectorILNS1_17partition_subalgoE3EjNS0_10empty_typeEbEEZZNS1_14partition_implILS8_3ELb0ES6_jNS0_17counting_iteratorIjlEEPS9_SE_NS0_5tupleIJPjSE_EEENSF_IJSE_SE_EEES9_SG_JZNS1_25segmented_radix_sort_implINS0_14default_configELb0EPK12hip_bfloat16PSL_PKlPlN2at6native12_GLOBAL__N_18offset_tEEE10hipError_tPvRmT1_PNSt15iterator_traitsISZ_E10value_typeET2_T3_PNS10_IS15_E10value_typeET4_jRbjT5_S1B_jjP12ihipStream_tbEUljE_EEESW_SX_SY_S15_S19_S1B_T6_T7_T9_mT8_S1D_bDpT10_ENKUlT_T0_E_clISt17integral_constantIbLb1EES1Q_EEDaS1L_S1M_EUlS1L_E_NS1_11comp_targetILNS1_3genE10ELNS1_11target_archE1200ELNS1_3gpuE4ELNS1_3repE0EEENS1_30default_config_static_selectorELNS0_4arch9wavefront6targetE0EEEvSZ_
		.amdhsa_group_segment_fixed_size 0
		.amdhsa_private_segment_fixed_size 0
		.amdhsa_kernarg_size 152
		.amdhsa_user_sgpr_count 6
		.amdhsa_user_sgpr_private_segment_buffer 1
		.amdhsa_user_sgpr_dispatch_ptr 0
		.amdhsa_user_sgpr_queue_ptr 0
		.amdhsa_user_sgpr_kernarg_segment_ptr 1
		.amdhsa_user_sgpr_dispatch_id 0
		.amdhsa_user_sgpr_flat_scratch_init 0
		.amdhsa_user_sgpr_private_segment_size 0
		.amdhsa_wavefront_size32 1
		.amdhsa_uses_dynamic_stack 0
		.amdhsa_system_sgpr_private_segment_wavefront_offset 0
		.amdhsa_system_sgpr_workgroup_id_x 1
		.amdhsa_system_sgpr_workgroup_id_y 0
		.amdhsa_system_sgpr_workgroup_id_z 0
		.amdhsa_system_sgpr_workgroup_info 0
		.amdhsa_system_vgpr_workitem_id 0
		.amdhsa_next_free_vgpr 1
		.amdhsa_next_free_sgpr 1
		.amdhsa_reserve_vcc 0
		.amdhsa_reserve_flat_scratch 0
		.amdhsa_float_round_mode_32 0
		.amdhsa_float_round_mode_16_64 0
		.amdhsa_float_denorm_mode_32 3
		.amdhsa_float_denorm_mode_16_64 3
		.amdhsa_dx10_clamp 1
		.amdhsa_ieee_mode 1
		.amdhsa_fp16_overflow 0
		.amdhsa_workgroup_processor_mode 1
		.amdhsa_memory_ordered 1
		.amdhsa_forward_progress 1
		.amdhsa_shared_vgpr_count 0
		.amdhsa_exception_fp_ieee_invalid_op 0
		.amdhsa_exception_fp_denorm_src 0
		.amdhsa_exception_fp_ieee_div_zero 0
		.amdhsa_exception_fp_ieee_overflow 0
		.amdhsa_exception_fp_ieee_underflow 0
		.amdhsa_exception_fp_ieee_inexact 0
		.amdhsa_exception_int_div_zero 0
	.end_amdhsa_kernel
	.section	.text._ZN7rocprim17ROCPRIM_400000_NS6detail17trampoline_kernelINS0_13select_configILj256ELj13ELNS0_17block_load_methodE3ELS4_3ELS4_3ELNS0_20block_scan_algorithmE0ELj4294967295EEENS1_25partition_config_selectorILNS1_17partition_subalgoE3EjNS0_10empty_typeEbEEZZNS1_14partition_implILS8_3ELb0ES6_jNS0_17counting_iteratorIjlEEPS9_SE_NS0_5tupleIJPjSE_EEENSF_IJSE_SE_EEES9_SG_JZNS1_25segmented_radix_sort_implINS0_14default_configELb0EPK12hip_bfloat16PSL_PKlPlN2at6native12_GLOBAL__N_18offset_tEEE10hipError_tPvRmT1_PNSt15iterator_traitsISZ_E10value_typeET2_T3_PNS10_IS15_E10value_typeET4_jRbjT5_S1B_jjP12ihipStream_tbEUljE_EEESW_SX_SY_S15_S19_S1B_T6_T7_T9_mT8_S1D_bDpT10_ENKUlT_T0_E_clISt17integral_constantIbLb1EES1Q_EEDaS1L_S1M_EUlS1L_E_NS1_11comp_targetILNS1_3genE10ELNS1_11target_archE1200ELNS1_3gpuE4ELNS1_3repE0EEENS1_30default_config_static_selectorELNS0_4arch9wavefront6targetE0EEEvSZ_,"axG",@progbits,_ZN7rocprim17ROCPRIM_400000_NS6detail17trampoline_kernelINS0_13select_configILj256ELj13ELNS0_17block_load_methodE3ELS4_3ELS4_3ELNS0_20block_scan_algorithmE0ELj4294967295EEENS1_25partition_config_selectorILNS1_17partition_subalgoE3EjNS0_10empty_typeEbEEZZNS1_14partition_implILS8_3ELb0ES6_jNS0_17counting_iteratorIjlEEPS9_SE_NS0_5tupleIJPjSE_EEENSF_IJSE_SE_EEES9_SG_JZNS1_25segmented_radix_sort_implINS0_14default_configELb0EPK12hip_bfloat16PSL_PKlPlN2at6native12_GLOBAL__N_18offset_tEEE10hipError_tPvRmT1_PNSt15iterator_traitsISZ_E10value_typeET2_T3_PNS10_IS15_E10value_typeET4_jRbjT5_S1B_jjP12ihipStream_tbEUljE_EEESW_SX_SY_S15_S19_S1B_T6_T7_T9_mT8_S1D_bDpT10_ENKUlT_T0_E_clISt17integral_constantIbLb1EES1Q_EEDaS1L_S1M_EUlS1L_E_NS1_11comp_targetILNS1_3genE10ELNS1_11target_archE1200ELNS1_3gpuE4ELNS1_3repE0EEENS1_30default_config_static_selectorELNS0_4arch9wavefront6targetE0EEEvSZ_,comdat
.Lfunc_end2020:
	.size	_ZN7rocprim17ROCPRIM_400000_NS6detail17trampoline_kernelINS0_13select_configILj256ELj13ELNS0_17block_load_methodE3ELS4_3ELS4_3ELNS0_20block_scan_algorithmE0ELj4294967295EEENS1_25partition_config_selectorILNS1_17partition_subalgoE3EjNS0_10empty_typeEbEEZZNS1_14partition_implILS8_3ELb0ES6_jNS0_17counting_iteratorIjlEEPS9_SE_NS0_5tupleIJPjSE_EEENSF_IJSE_SE_EEES9_SG_JZNS1_25segmented_radix_sort_implINS0_14default_configELb0EPK12hip_bfloat16PSL_PKlPlN2at6native12_GLOBAL__N_18offset_tEEE10hipError_tPvRmT1_PNSt15iterator_traitsISZ_E10value_typeET2_T3_PNS10_IS15_E10value_typeET4_jRbjT5_S1B_jjP12ihipStream_tbEUljE_EEESW_SX_SY_S15_S19_S1B_T6_T7_T9_mT8_S1D_bDpT10_ENKUlT_T0_E_clISt17integral_constantIbLb1EES1Q_EEDaS1L_S1M_EUlS1L_E_NS1_11comp_targetILNS1_3genE10ELNS1_11target_archE1200ELNS1_3gpuE4ELNS1_3repE0EEENS1_30default_config_static_selectorELNS0_4arch9wavefront6targetE0EEEvSZ_, .Lfunc_end2020-_ZN7rocprim17ROCPRIM_400000_NS6detail17trampoline_kernelINS0_13select_configILj256ELj13ELNS0_17block_load_methodE3ELS4_3ELS4_3ELNS0_20block_scan_algorithmE0ELj4294967295EEENS1_25partition_config_selectorILNS1_17partition_subalgoE3EjNS0_10empty_typeEbEEZZNS1_14partition_implILS8_3ELb0ES6_jNS0_17counting_iteratorIjlEEPS9_SE_NS0_5tupleIJPjSE_EEENSF_IJSE_SE_EEES9_SG_JZNS1_25segmented_radix_sort_implINS0_14default_configELb0EPK12hip_bfloat16PSL_PKlPlN2at6native12_GLOBAL__N_18offset_tEEE10hipError_tPvRmT1_PNSt15iterator_traitsISZ_E10value_typeET2_T3_PNS10_IS15_E10value_typeET4_jRbjT5_S1B_jjP12ihipStream_tbEUljE_EEESW_SX_SY_S15_S19_S1B_T6_T7_T9_mT8_S1D_bDpT10_ENKUlT_T0_E_clISt17integral_constantIbLb1EES1Q_EEDaS1L_S1M_EUlS1L_E_NS1_11comp_targetILNS1_3genE10ELNS1_11target_archE1200ELNS1_3gpuE4ELNS1_3repE0EEENS1_30default_config_static_selectorELNS0_4arch9wavefront6targetE0EEEvSZ_
                                        ; -- End function
	.set _ZN7rocprim17ROCPRIM_400000_NS6detail17trampoline_kernelINS0_13select_configILj256ELj13ELNS0_17block_load_methodE3ELS4_3ELS4_3ELNS0_20block_scan_algorithmE0ELj4294967295EEENS1_25partition_config_selectorILNS1_17partition_subalgoE3EjNS0_10empty_typeEbEEZZNS1_14partition_implILS8_3ELb0ES6_jNS0_17counting_iteratorIjlEEPS9_SE_NS0_5tupleIJPjSE_EEENSF_IJSE_SE_EEES9_SG_JZNS1_25segmented_radix_sort_implINS0_14default_configELb0EPK12hip_bfloat16PSL_PKlPlN2at6native12_GLOBAL__N_18offset_tEEE10hipError_tPvRmT1_PNSt15iterator_traitsISZ_E10value_typeET2_T3_PNS10_IS15_E10value_typeET4_jRbjT5_S1B_jjP12ihipStream_tbEUljE_EEESW_SX_SY_S15_S19_S1B_T6_T7_T9_mT8_S1D_bDpT10_ENKUlT_T0_E_clISt17integral_constantIbLb1EES1Q_EEDaS1L_S1M_EUlS1L_E_NS1_11comp_targetILNS1_3genE10ELNS1_11target_archE1200ELNS1_3gpuE4ELNS1_3repE0EEENS1_30default_config_static_selectorELNS0_4arch9wavefront6targetE0EEEvSZ_.num_vgpr, 0
	.set _ZN7rocprim17ROCPRIM_400000_NS6detail17trampoline_kernelINS0_13select_configILj256ELj13ELNS0_17block_load_methodE3ELS4_3ELS4_3ELNS0_20block_scan_algorithmE0ELj4294967295EEENS1_25partition_config_selectorILNS1_17partition_subalgoE3EjNS0_10empty_typeEbEEZZNS1_14partition_implILS8_3ELb0ES6_jNS0_17counting_iteratorIjlEEPS9_SE_NS0_5tupleIJPjSE_EEENSF_IJSE_SE_EEES9_SG_JZNS1_25segmented_radix_sort_implINS0_14default_configELb0EPK12hip_bfloat16PSL_PKlPlN2at6native12_GLOBAL__N_18offset_tEEE10hipError_tPvRmT1_PNSt15iterator_traitsISZ_E10value_typeET2_T3_PNS10_IS15_E10value_typeET4_jRbjT5_S1B_jjP12ihipStream_tbEUljE_EEESW_SX_SY_S15_S19_S1B_T6_T7_T9_mT8_S1D_bDpT10_ENKUlT_T0_E_clISt17integral_constantIbLb1EES1Q_EEDaS1L_S1M_EUlS1L_E_NS1_11comp_targetILNS1_3genE10ELNS1_11target_archE1200ELNS1_3gpuE4ELNS1_3repE0EEENS1_30default_config_static_selectorELNS0_4arch9wavefront6targetE0EEEvSZ_.num_agpr, 0
	.set _ZN7rocprim17ROCPRIM_400000_NS6detail17trampoline_kernelINS0_13select_configILj256ELj13ELNS0_17block_load_methodE3ELS4_3ELS4_3ELNS0_20block_scan_algorithmE0ELj4294967295EEENS1_25partition_config_selectorILNS1_17partition_subalgoE3EjNS0_10empty_typeEbEEZZNS1_14partition_implILS8_3ELb0ES6_jNS0_17counting_iteratorIjlEEPS9_SE_NS0_5tupleIJPjSE_EEENSF_IJSE_SE_EEES9_SG_JZNS1_25segmented_radix_sort_implINS0_14default_configELb0EPK12hip_bfloat16PSL_PKlPlN2at6native12_GLOBAL__N_18offset_tEEE10hipError_tPvRmT1_PNSt15iterator_traitsISZ_E10value_typeET2_T3_PNS10_IS15_E10value_typeET4_jRbjT5_S1B_jjP12ihipStream_tbEUljE_EEESW_SX_SY_S15_S19_S1B_T6_T7_T9_mT8_S1D_bDpT10_ENKUlT_T0_E_clISt17integral_constantIbLb1EES1Q_EEDaS1L_S1M_EUlS1L_E_NS1_11comp_targetILNS1_3genE10ELNS1_11target_archE1200ELNS1_3gpuE4ELNS1_3repE0EEENS1_30default_config_static_selectorELNS0_4arch9wavefront6targetE0EEEvSZ_.numbered_sgpr, 0
	.set _ZN7rocprim17ROCPRIM_400000_NS6detail17trampoline_kernelINS0_13select_configILj256ELj13ELNS0_17block_load_methodE3ELS4_3ELS4_3ELNS0_20block_scan_algorithmE0ELj4294967295EEENS1_25partition_config_selectorILNS1_17partition_subalgoE3EjNS0_10empty_typeEbEEZZNS1_14partition_implILS8_3ELb0ES6_jNS0_17counting_iteratorIjlEEPS9_SE_NS0_5tupleIJPjSE_EEENSF_IJSE_SE_EEES9_SG_JZNS1_25segmented_radix_sort_implINS0_14default_configELb0EPK12hip_bfloat16PSL_PKlPlN2at6native12_GLOBAL__N_18offset_tEEE10hipError_tPvRmT1_PNSt15iterator_traitsISZ_E10value_typeET2_T3_PNS10_IS15_E10value_typeET4_jRbjT5_S1B_jjP12ihipStream_tbEUljE_EEESW_SX_SY_S15_S19_S1B_T6_T7_T9_mT8_S1D_bDpT10_ENKUlT_T0_E_clISt17integral_constantIbLb1EES1Q_EEDaS1L_S1M_EUlS1L_E_NS1_11comp_targetILNS1_3genE10ELNS1_11target_archE1200ELNS1_3gpuE4ELNS1_3repE0EEENS1_30default_config_static_selectorELNS0_4arch9wavefront6targetE0EEEvSZ_.num_named_barrier, 0
	.set _ZN7rocprim17ROCPRIM_400000_NS6detail17trampoline_kernelINS0_13select_configILj256ELj13ELNS0_17block_load_methodE3ELS4_3ELS4_3ELNS0_20block_scan_algorithmE0ELj4294967295EEENS1_25partition_config_selectorILNS1_17partition_subalgoE3EjNS0_10empty_typeEbEEZZNS1_14partition_implILS8_3ELb0ES6_jNS0_17counting_iteratorIjlEEPS9_SE_NS0_5tupleIJPjSE_EEENSF_IJSE_SE_EEES9_SG_JZNS1_25segmented_radix_sort_implINS0_14default_configELb0EPK12hip_bfloat16PSL_PKlPlN2at6native12_GLOBAL__N_18offset_tEEE10hipError_tPvRmT1_PNSt15iterator_traitsISZ_E10value_typeET2_T3_PNS10_IS15_E10value_typeET4_jRbjT5_S1B_jjP12ihipStream_tbEUljE_EEESW_SX_SY_S15_S19_S1B_T6_T7_T9_mT8_S1D_bDpT10_ENKUlT_T0_E_clISt17integral_constantIbLb1EES1Q_EEDaS1L_S1M_EUlS1L_E_NS1_11comp_targetILNS1_3genE10ELNS1_11target_archE1200ELNS1_3gpuE4ELNS1_3repE0EEENS1_30default_config_static_selectorELNS0_4arch9wavefront6targetE0EEEvSZ_.private_seg_size, 0
	.set _ZN7rocprim17ROCPRIM_400000_NS6detail17trampoline_kernelINS0_13select_configILj256ELj13ELNS0_17block_load_methodE3ELS4_3ELS4_3ELNS0_20block_scan_algorithmE0ELj4294967295EEENS1_25partition_config_selectorILNS1_17partition_subalgoE3EjNS0_10empty_typeEbEEZZNS1_14partition_implILS8_3ELb0ES6_jNS0_17counting_iteratorIjlEEPS9_SE_NS0_5tupleIJPjSE_EEENSF_IJSE_SE_EEES9_SG_JZNS1_25segmented_radix_sort_implINS0_14default_configELb0EPK12hip_bfloat16PSL_PKlPlN2at6native12_GLOBAL__N_18offset_tEEE10hipError_tPvRmT1_PNSt15iterator_traitsISZ_E10value_typeET2_T3_PNS10_IS15_E10value_typeET4_jRbjT5_S1B_jjP12ihipStream_tbEUljE_EEESW_SX_SY_S15_S19_S1B_T6_T7_T9_mT8_S1D_bDpT10_ENKUlT_T0_E_clISt17integral_constantIbLb1EES1Q_EEDaS1L_S1M_EUlS1L_E_NS1_11comp_targetILNS1_3genE10ELNS1_11target_archE1200ELNS1_3gpuE4ELNS1_3repE0EEENS1_30default_config_static_selectorELNS0_4arch9wavefront6targetE0EEEvSZ_.uses_vcc, 0
	.set _ZN7rocprim17ROCPRIM_400000_NS6detail17trampoline_kernelINS0_13select_configILj256ELj13ELNS0_17block_load_methodE3ELS4_3ELS4_3ELNS0_20block_scan_algorithmE0ELj4294967295EEENS1_25partition_config_selectorILNS1_17partition_subalgoE3EjNS0_10empty_typeEbEEZZNS1_14partition_implILS8_3ELb0ES6_jNS0_17counting_iteratorIjlEEPS9_SE_NS0_5tupleIJPjSE_EEENSF_IJSE_SE_EEES9_SG_JZNS1_25segmented_radix_sort_implINS0_14default_configELb0EPK12hip_bfloat16PSL_PKlPlN2at6native12_GLOBAL__N_18offset_tEEE10hipError_tPvRmT1_PNSt15iterator_traitsISZ_E10value_typeET2_T3_PNS10_IS15_E10value_typeET4_jRbjT5_S1B_jjP12ihipStream_tbEUljE_EEESW_SX_SY_S15_S19_S1B_T6_T7_T9_mT8_S1D_bDpT10_ENKUlT_T0_E_clISt17integral_constantIbLb1EES1Q_EEDaS1L_S1M_EUlS1L_E_NS1_11comp_targetILNS1_3genE10ELNS1_11target_archE1200ELNS1_3gpuE4ELNS1_3repE0EEENS1_30default_config_static_selectorELNS0_4arch9wavefront6targetE0EEEvSZ_.uses_flat_scratch, 0
	.set _ZN7rocprim17ROCPRIM_400000_NS6detail17trampoline_kernelINS0_13select_configILj256ELj13ELNS0_17block_load_methodE3ELS4_3ELS4_3ELNS0_20block_scan_algorithmE0ELj4294967295EEENS1_25partition_config_selectorILNS1_17partition_subalgoE3EjNS0_10empty_typeEbEEZZNS1_14partition_implILS8_3ELb0ES6_jNS0_17counting_iteratorIjlEEPS9_SE_NS0_5tupleIJPjSE_EEENSF_IJSE_SE_EEES9_SG_JZNS1_25segmented_radix_sort_implINS0_14default_configELb0EPK12hip_bfloat16PSL_PKlPlN2at6native12_GLOBAL__N_18offset_tEEE10hipError_tPvRmT1_PNSt15iterator_traitsISZ_E10value_typeET2_T3_PNS10_IS15_E10value_typeET4_jRbjT5_S1B_jjP12ihipStream_tbEUljE_EEESW_SX_SY_S15_S19_S1B_T6_T7_T9_mT8_S1D_bDpT10_ENKUlT_T0_E_clISt17integral_constantIbLb1EES1Q_EEDaS1L_S1M_EUlS1L_E_NS1_11comp_targetILNS1_3genE10ELNS1_11target_archE1200ELNS1_3gpuE4ELNS1_3repE0EEENS1_30default_config_static_selectorELNS0_4arch9wavefront6targetE0EEEvSZ_.has_dyn_sized_stack, 0
	.set _ZN7rocprim17ROCPRIM_400000_NS6detail17trampoline_kernelINS0_13select_configILj256ELj13ELNS0_17block_load_methodE3ELS4_3ELS4_3ELNS0_20block_scan_algorithmE0ELj4294967295EEENS1_25partition_config_selectorILNS1_17partition_subalgoE3EjNS0_10empty_typeEbEEZZNS1_14partition_implILS8_3ELb0ES6_jNS0_17counting_iteratorIjlEEPS9_SE_NS0_5tupleIJPjSE_EEENSF_IJSE_SE_EEES9_SG_JZNS1_25segmented_radix_sort_implINS0_14default_configELb0EPK12hip_bfloat16PSL_PKlPlN2at6native12_GLOBAL__N_18offset_tEEE10hipError_tPvRmT1_PNSt15iterator_traitsISZ_E10value_typeET2_T3_PNS10_IS15_E10value_typeET4_jRbjT5_S1B_jjP12ihipStream_tbEUljE_EEESW_SX_SY_S15_S19_S1B_T6_T7_T9_mT8_S1D_bDpT10_ENKUlT_T0_E_clISt17integral_constantIbLb1EES1Q_EEDaS1L_S1M_EUlS1L_E_NS1_11comp_targetILNS1_3genE10ELNS1_11target_archE1200ELNS1_3gpuE4ELNS1_3repE0EEENS1_30default_config_static_selectorELNS0_4arch9wavefront6targetE0EEEvSZ_.has_recursion, 0
	.set _ZN7rocprim17ROCPRIM_400000_NS6detail17trampoline_kernelINS0_13select_configILj256ELj13ELNS0_17block_load_methodE3ELS4_3ELS4_3ELNS0_20block_scan_algorithmE0ELj4294967295EEENS1_25partition_config_selectorILNS1_17partition_subalgoE3EjNS0_10empty_typeEbEEZZNS1_14partition_implILS8_3ELb0ES6_jNS0_17counting_iteratorIjlEEPS9_SE_NS0_5tupleIJPjSE_EEENSF_IJSE_SE_EEES9_SG_JZNS1_25segmented_radix_sort_implINS0_14default_configELb0EPK12hip_bfloat16PSL_PKlPlN2at6native12_GLOBAL__N_18offset_tEEE10hipError_tPvRmT1_PNSt15iterator_traitsISZ_E10value_typeET2_T3_PNS10_IS15_E10value_typeET4_jRbjT5_S1B_jjP12ihipStream_tbEUljE_EEESW_SX_SY_S15_S19_S1B_T6_T7_T9_mT8_S1D_bDpT10_ENKUlT_T0_E_clISt17integral_constantIbLb1EES1Q_EEDaS1L_S1M_EUlS1L_E_NS1_11comp_targetILNS1_3genE10ELNS1_11target_archE1200ELNS1_3gpuE4ELNS1_3repE0EEENS1_30default_config_static_selectorELNS0_4arch9wavefront6targetE0EEEvSZ_.has_indirect_call, 0
	.section	.AMDGPU.csdata,"",@progbits
; Kernel info:
; codeLenInByte = 0
; TotalNumSgprs: 0
; NumVgprs: 0
; ScratchSize: 0
; MemoryBound: 0
; FloatMode: 240
; IeeeMode: 1
; LDSByteSize: 0 bytes/workgroup (compile time only)
; SGPRBlocks: 0
; VGPRBlocks: 0
; NumSGPRsForWavesPerEU: 1
; NumVGPRsForWavesPerEU: 1
; Occupancy: 16
; WaveLimiterHint : 0
; COMPUTE_PGM_RSRC2:SCRATCH_EN: 0
; COMPUTE_PGM_RSRC2:USER_SGPR: 6
; COMPUTE_PGM_RSRC2:TRAP_HANDLER: 0
; COMPUTE_PGM_RSRC2:TGID_X_EN: 1
; COMPUTE_PGM_RSRC2:TGID_Y_EN: 0
; COMPUTE_PGM_RSRC2:TGID_Z_EN: 0
; COMPUTE_PGM_RSRC2:TIDIG_COMP_CNT: 0
	.section	.text._ZN7rocprim17ROCPRIM_400000_NS6detail17trampoline_kernelINS0_13select_configILj256ELj13ELNS0_17block_load_methodE3ELS4_3ELS4_3ELNS0_20block_scan_algorithmE0ELj4294967295EEENS1_25partition_config_selectorILNS1_17partition_subalgoE3EjNS0_10empty_typeEbEEZZNS1_14partition_implILS8_3ELb0ES6_jNS0_17counting_iteratorIjlEEPS9_SE_NS0_5tupleIJPjSE_EEENSF_IJSE_SE_EEES9_SG_JZNS1_25segmented_radix_sort_implINS0_14default_configELb0EPK12hip_bfloat16PSL_PKlPlN2at6native12_GLOBAL__N_18offset_tEEE10hipError_tPvRmT1_PNSt15iterator_traitsISZ_E10value_typeET2_T3_PNS10_IS15_E10value_typeET4_jRbjT5_S1B_jjP12ihipStream_tbEUljE_EEESW_SX_SY_S15_S19_S1B_T6_T7_T9_mT8_S1D_bDpT10_ENKUlT_T0_E_clISt17integral_constantIbLb1EES1Q_EEDaS1L_S1M_EUlS1L_E_NS1_11comp_targetILNS1_3genE9ELNS1_11target_archE1100ELNS1_3gpuE3ELNS1_3repE0EEENS1_30default_config_static_selectorELNS0_4arch9wavefront6targetE0EEEvSZ_,"axG",@progbits,_ZN7rocprim17ROCPRIM_400000_NS6detail17trampoline_kernelINS0_13select_configILj256ELj13ELNS0_17block_load_methodE3ELS4_3ELS4_3ELNS0_20block_scan_algorithmE0ELj4294967295EEENS1_25partition_config_selectorILNS1_17partition_subalgoE3EjNS0_10empty_typeEbEEZZNS1_14partition_implILS8_3ELb0ES6_jNS0_17counting_iteratorIjlEEPS9_SE_NS0_5tupleIJPjSE_EEENSF_IJSE_SE_EEES9_SG_JZNS1_25segmented_radix_sort_implINS0_14default_configELb0EPK12hip_bfloat16PSL_PKlPlN2at6native12_GLOBAL__N_18offset_tEEE10hipError_tPvRmT1_PNSt15iterator_traitsISZ_E10value_typeET2_T3_PNS10_IS15_E10value_typeET4_jRbjT5_S1B_jjP12ihipStream_tbEUljE_EEESW_SX_SY_S15_S19_S1B_T6_T7_T9_mT8_S1D_bDpT10_ENKUlT_T0_E_clISt17integral_constantIbLb1EES1Q_EEDaS1L_S1M_EUlS1L_E_NS1_11comp_targetILNS1_3genE9ELNS1_11target_archE1100ELNS1_3gpuE3ELNS1_3repE0EEENS1_30default_config_static_selectorELNS0_4arch9wavefront6targetE0EEEvSZ_,comdat
	.globl	_ZN7rocprim17ROCPRIM_400000_NS6detail17trampoline_kernelINS0_13select_configILj256ELj13ELNS0_17block_load_methodE3ELS4_3ELS4_3ELNS0_20block_scan_algorithmE0ELj4294967295EEENS1_25partition_config_selectorILNS1_17partition_subalgoE3EjNS0_10empty_typeEbEEZZNS1_14partition_implILS8_3ELb0ES6_jNS0_17counting_iteratorIjlEEPS9_SE_NS0_5tupleIJPjSE_EEENSF_IJSE_SE_EEES9_SG_JZNS1_25segmented_radix_sort_implINS0_14default_configELb0EPK12hip_bfloat16PSL_PKlPlN2at6native12_GLOBAL__N_18offset_tEEE10hipError_tPvRmT1_PNSt15iterator_traitsISZ_E10value_typeET2_T3_PNS10_IS15_E10value_typeET4_jRbjT5_S1B_jjP12ihipStream_tbEUljE_EEESW_SX_SY_S15_S19_S1B_T6_T7_T9_mT8_S1D_bDpT10_ENKUlT_T0_E_clISt17integral_constantIbLb1EES1Q_EEDaS1L_S1M_EUlS1L_E_NS1_11comp_targetILNS1_3genE9ELNS1_11target_archE1100ELNS1_3gpuE3ELNS1_3repE0EEENS1_30default_config_static_selectorELNS0_4arch9wavefront6targetE0EEEvSZ_ ; -- Begin function _ZN7rocprim17ROCPRIM_400000_NS6detail17trampoline_kernelINS0_13select_configILj256ELj13ELNS0_17block_load_methodE3ELS4_3ELS4_3ELNS0_20block_scan_algorithmE0ELj4294967295EEENS1_25partition_config_selectorILNS1_17partition_subalgoE3EjNS0_10empty_typeEbEEZZNS1_14partition_implILS8_3ELb0ES6_jNS0_17counting_iteratorIjlEEPS9_SE_NS0_5tupleIJPjSE_EEENSF_IJSE_SE_EEES9_SG_JZNS1_25segmented_radix_sort_implINS0_14default_configELb0EPK12hip_bfloat16PSL_PKlPlN2at6native12_GLOBAL__N_18offset_tEEE10hipError_tPvRmT1_PNSt15iterator_traitsISZ_E10value_typeET2_T3_PNS10_IS15_E10value_typeET4_jRbjT5_S1B_jjP12ihipStream_tbEUljE_EEESW_SX_SY_S15_S19_S1B_T6_T7_T9_mT8_S1D_bDpT10_ENKUlT_T0_E_clISt17integral_constantIbLb1EES1Q_EEDaS1L_S1M_EUlS1L_E_NS1_11comp_targetILNS1_3genE9ELNS1_11target_archE1100ELNS1_3gpuE3ELNS1_3repE0EEENS1_30default_config_static_selectorELNS0_4arch9wavefront6targetE0EEEvSZ_
	.p2align	8
	.type	_ZN7rocprim17ROCPRIM_400000_NS6detail17trampoline_kernelINS0_13select_configILj256ELj13ELNS0_17block_load_methodE3ELS4_3ELS4_3ELNS0_20block_scan_algorithmE0ELj4294967295EEENS1_25partition_config_selectorILNS1_17partition_subalgoE3EjNS0_10empty_typeEbEEZZNS1_14partition_implILS8_3ELb0ES6_jNS0_17counting_iteratorIjlEEPS9_SE_NS0_5tupleIJPjSE_EEENSF_IJSE_SE_EEES9_SG_JZNS1_25segmented_radix_sort_implINS0_14default_configELb0EPK12hip_bfloat16PSL_PKlPlN2at6native12_GLOBAL__N_18offset_tEEE10hipError_tPvRmT1_PNSt15iterator_traitsISZ_E10value_typeET2_T3_PNS10_IS15_E10value_typeET4_jRbjT5_S1B_jjP12ihipStream_tbEUljE_EEESW_SX_SY_S15_S19_S1B_T6_T7_T9_mT8_S1D_bDpT10_ENKUlT_T0_E_clISt17integral_constantIbLb1EES1Q_EEDaS1L_S1M_EUlS1L_E_NS1_11comp_targetILNS1_3genE9ELNS1_11target_archE1100ELNS1_3gpuE3ELNS1_3repE0EEENS1_30default_config_static_selectorELNS0_4arch9wavefront6targetE0EEEvSZ_,@function
_ZN7rocprim17ROCPRIM_400000_NS6detail17trampoline_kernelINS0_13select_configILj256ELj13ELNS0_17block_load_methodE3ELS4_3ELS4_3ELNS0_20block_scan_algorithmE0ELj4294967295EEENS1_25partition_config_selectorILNS1_17partition_subalgoE3EjNS0_10empty_typeEbEEZZNS1_14partition_implILS8_3ELb0ES6_jNS0_17counting_iteratorIjlEEPS9_SE_NS0_5tupleIJPjSE_EEENSF_IJSE_SE_EEES9_SG_JZNS1_25segmented_radix_sort_implINS0_14default_configELb0EPK12hip_bfloat16PSL_PKlPlN2at6native12_GLOBAL__N_18offset_tEEE10hipError_tPvRmT1_PNSt15iterator_traitsISZ_E10value_typeET2_T3_PNS10_IS15_E10value_typeET4_jRbjT5_S1B_jjP12ihipStream_tbEUljE_EEESW_SX_SY_S15_S19_S1B_T6_T7_T9_mT8_S1D_bDpT10_ENKUlT_T0_E_clISt17integral_constantIbLb1EES1Q_EEDaS1L_S1M_EUlS1L_E_NS1_11comp_targetILNS1_3genE9ELNS1_11target_archE1100ELNS1_3gpuE3ELNS1_3repE0EEENS1_30default_config_static_selectorELNS0_4arch9wavefront6targetE0EEEvSZ_: ; @_ZN7rocprim17ROCPRIM_400000_NS6detail17trampoline_kernelINS0_13select_configILj256ELj13ELNS0_17block_load_methodE3ELS4_3ELS4_3ELNS0_20block_scan_algorithmE0ELj4294967295EEENS1_25partition_config_selectorILNS1_17partition_subalgoE3EjNS0_10empty_typeEbEEZZNS1_14partition_implILS8_3ELb0ES6_jNS0_17counting_iteratorIjlEEPS9_SE_NS0_5tupleIJPjSE_EEENSF_IJSE_SE_EEES9_SG_JZNS1_25segmented_radix_sort_implINS0_14default_configELb0EPK12hip_bfloat16PSL_PKlPlN2at6native12_GLOBAL__N_18offset_tEEE10hipError_tPvRmT1_PNSt15iterator_traitsISZ_E10value_typeET2_T3_PNS10_IS15_E10value_typeET4_jRbjT5_S1B_jjP12ihipStream_tbEUljE_EEESW_SX_SY_S15_S19_S1B_T6_T7_T9_mT8_S1D_bDpT10_ENKUlT_T0_E_clISt17integral_constantIbLb1EES1Q_EEDaS1L_S1M_EUlS1L_E_NS1_11comp_targetILNS1_3genE9ELNS1_11target_archE1100ELNS1_3gpuE3ELNS1_3repE0EEENS1_30default_config_static_selectorELNS0_4arch9wavefront6targetE0EEEvSZ_
; %bb.0:
	.section	.rodata,"a",@progbits
	.p2align	6, 0x0
	.amdhsa_kernel _ZN7rocprim17ROCPRIM_400000_NS6detail17trampoline_kernelINS0_13select_configILj256ELj13ELNS0_17block_load_methodE3ELS4_3ELS4_3ELNS0_20block_scan_algorithmE0ELj4294967295EEENS1_25partition_config_selectorILNS1_17partition_subalgoE3EjNS0_10empty_typeEbEEZZNS1_14partition_implILS8_3ELb0ES6_jNS0_17counting_iteratorIjlEEPS9_SE_NS0_5tupleIJPjSE_EEENSF_IJSE_SE_EEES9_SG_JZNS1_25segmented_radix_sort_implINS0_14default_configELb0EPK12hip_bfloat16PSL_PKlPlN2at6native12_GLOBAL__N_18offset_tEEE10hipError_tPvRmT1_PNSt15iterator_traitsISZ_E10value_typeET2_T3_PNS10_IS15_E10value_typeET4_jRbjT5_S1B_jjP12ihipStream_tbEUljE_EEESW_SX_SY_S15_S19_S1B_T6_T7_T9_mT8_S1D_bDpT10_ENKUlT_T0_E_clISt17integral_constantIbLb1EES1Q_EEDaS1L_S1M_EUlS1L_E_NS1_11comp_targetILNS1_3genE9ELNS1_11target_archE1100ELNS1_3gpuE3ELNS1_3repE0EEENS1_30default_config_static_selectorELNS0_4arch9wavefront6targetE0EEEvSZ_
		.amdhsa_group_segment_fixed_size 0
		.amdhsa_private_segment_fixed_size 0
		.amdhsa_kernarg_size 152
		.amdhsa_user_sgpr_count 6
		.amdhsa_user_sgpr_private_segment_buffer 1
		.amdhsa_user_sgpr_dispatch_ptr 0
		.amdhsa_user_sgpr_queue_ptr 0
		.amdhsa_user_sgpr_kernarg_segment_ptr 1
		.amdhsa_user_sgpr_dispatch_id 0
		.amdhsa_user_sgpr_flat_scratch_init 0
		.amdhsa_user_sgpr_private_segment_size 0
		.amdhsa_wavefront_size32 1
		.amdhsa_uses_dynamic_stack 0
		.amdhsa_system_sgpr_private_segment_wavefront_offset 0
		.amdhsa_system_sgpr_workgroup_id_x 1
		.amdhsa_system_sgpr_workgroup_id_y 0
		.amdhsa_system_sgpr_workgroup_id_z 0
		.amdhsa_system_sgpr_workgroup_info 0
		.amdhsa_system_vgpr_workitem_id 0
		.amdhsa_next_free_vgpr 1
		.amdhsa_next_free_sgpr 1
		.amdhsa_reserve_vcc 0
		.amdhsa_reserve_flat_scratch 0
		.amdhsa_float_round_mode_32 0
		.amdhsa_float_round_mode_16_64 0
		.amdhsa_float_denorm_mode_32 3
		.amdhsa_float_denorm_mode_16_64 3
		.amdhsa_dx10_clamp 1
		.amdhsa_ieee_mode 1
		.amdhsa_fp16_overflow 0
		.amdhsa_workgroup_processor_mode 1
		.amdhsa_memory_ordered 1
		.amdhsa_forward_progress 1
		.amdhsa_shared_vgpr_count 0
		.amdhsa_exception_fp_ieee_invalid_op 0
		.amdhsa_exception_fp_denorm_src 0
		.amdhsa_exception_fp_ieee_div_zero 0
		.amdhsa_exception_fp_ieee_overflow 0
		.amdhsa_exception_fp_ieee_underflow 0
		.amdhsa_exception_fp_ieee_inexact 0
		.amdhsa_exception_int_div_zero 0
	.end_amdhsa_kernel
	.section	.text._ZN7rocprim17ROCPRIM_400000_NS6detail17trampoline_kernelINS0_13select_configILj256ELj13ELNS0_17block_load_methodE3ELS4_3ELS4_3ELNS0_20block_scan_algorithmE0ELj4294967295EEENS1_25partition_config_selectorILNS1_17partition_subalgoE3EjNS0_10empty_typeEbEEZZNS1_14partition_implILS8_3ELb0ES6_jNS0_17counting_iteratorIjlEEPS9_SE_NS0_5tupleIJPjSE_EEENSF_IJSE_SE_EEES9_SG_JZNS1_25segmented_radix_sort_implINS0_14default_configELb0EPK12hip_bfloat16PSL_PKlPlN2at6native12_GLOBAL__N_18offset_tEEE10hipError_tPvRmT1_PNSt15iterator_traitsISZ_E10value_typeET2_T3_PNS10_IS15_E10value_typeET4_jRbjT5_S1B_jjP12ihipStream_tbEUljE_EEESW_SX_SY_S15_S19_S1B_T6_T7_T9_mT8_S1D_bDpT10_ENKUlT_T0_E_clISt17integral_constantIbLb1EES1Q_EEDaS1L_S1M_EUlS1L_E_NS1_11comp_targetILNS1_3genE9ELNS1_11target_archE1100ELNS1_3gpuE3ELNS1_3repE0EEENS1_30default_config_static_selectorELNS0_4arch9wavefront6targetE0EEEvSZ_,"axG",@progbits,_ZN7rocprim17ROCPRIM_400000_NS6detail17trampoline_kernelINS0_13select_configILj256ELj13ELNS0_17block_load_methodE3ELS4_3ELS4_3ELNS0_20block_scan_algorithmE0ELj4294967295EEENS1_25partition_config_selectorILNS1_17partition_subalgoE3EjNS0_10empty_typeEbEEZZNS1_14partition_implILS8_3ELb0ES6_jNS0_17counting_iteratorIjlEEPS9_SE_NS0_5tupleIJPjSE_EEENSF_IJSE_SE_EEES9_SG_JZNS1_25segmented_radix_sort_implINS0_14default_configELb0EPK12hip_bfloat16PSL_PKlPlN2at6native12_GLOBAL__N_18offset_tEEE10hipError_tPvRmT1_PNSt15iterator_traitsISZ_E10value_typeET2_T3_PNS10_IS15_E10value_typeET4_jRbjT5_S1B_jjP12ihipStream_tbEUljE_EEESW_SX_SY_S15_S19_S1B_T6_T7_T9_mT8_S1D_bDpT10_ENKUlT_T0_E_clISt17integral_constantIbLb1EES1Q_EEDaS1L_S1M_EUlS1L_E_NS1_11comp_targetILNS1_3genE9ELNS1_11target_archE1100ELNS1_3gpuE3ELNS1_3repE0EEENS1_30default_config_static_selectorELNS0_4arch9wavefront6targetE0EEEvSZ_,comdat
.Lfunc_end2021:
	.size	_ZN7rocprim17ROCPRIM_400000_NS6detail17trampoline_kernelINS0_13select_configILj256ELj13ELNS0_17block_load_methodE3ELS4_3ELS4_3ELNS0_20block_scan_algorithmE0ELj4294967295EEENS1_25partition_config_selectorILNS1_17partition_subalgoE3EjNS0_10empty_typeEbEEZZNS1_14partition_implILS8_3ELb0ES6_jNS0_17counting_iteratorIjlEEPS9_SE_NS0_5tupleIJPjSE_EEENSF_IJSE_SE_EEES9_SG_JZNS1_25segmented_radix_sort_implINS0_14default_configELb0EPK12hip_bfloat16PSL_PKlPlN2at6native12_GLOBAL__N_18offset_tEEE10hipError_tPvRmT1_PNSt15iterator_traitsISZ_E10value_typeET2_T3_PNS10_IS15_E10value_typeET4_jRbjT5_S1B_jjP12ihipStream_tbEUljE_EEESW_SX_SY_S15_S19_S1B_T6_T7_T9_mT8_S1D_bDpT10_ENKUlT_T0_E_clISt17integral_constantIbLb1EES1Q_EEDaS1L_S1M_EUlS1L_E_NS1_11comp_targetILNS1_3genE9ELNS1_11target_archE1100ELNS1_3gpuE3ELNS1_3repE0EEENS1_30default_config_static_selectorELNS0_4arch9wavefront6targetE0EEEvSZ_, .Lfunc_end2021-_ZN7rocprim17ROCPRIM_400000_NS6detail17trampoline_kernelINS0_13select_configILj256ELj13ELNS0_17block_load_methodE3ELS4_3ELS4_3ELNS0_20block_scan_algorithmE0ELj4294967295EEENS1_25partition_config_selectorILNS1_17partition_subalgoE3EjNS0_10empty_typeEbEEZZNS1_14partition_implILS8_3ELb0ES6_jNS0_17counting_iteratorIjlEEPS9_SE_NS0_5tupleIJPjSE_EEENSF_IJSE_SE_EEES9_SG_JZNS1_25segmented_radix_sort_implINS0_14default_configELb0EPK12hip_bfloat16PSL_PKlPlN2at6native12_GLOBAL__N_18offset_tEEE10hipError_tPvRmT1_PNSt15iterator_traitsISZ_E10value_typeET2_T3_PNS10_IS15_E10value_typeET4_jRbjT5_S1B_jjP12ihipStream_tbEUljE_EEESW_SX_SY_S15_S19_S1B_T6_T7_T9_mT8_S1D_bDpT10_ENKUlT_T0_E_clISt17integral_constantIbLb1EES1Q_EEDaS1L_S1M_EUlS1L_E_NS1_11comp_targetILNS1_3genE9ELNS1_11target_archE1100ELNS1_3gpuE3ELNS1_3repE0EEENS1_30default_config_static_selectorELNS0_4arch9wavefront6targetE0EEEvSZ_
                                        ; -- End function
	.set _ZN7rocprim17ROCPRIM_400000_NS6detail17trampoline_kernelINS0_13select_configILj256ELj13ELNS0_17block_load_methodE3ELS4_3ELS4_3ELNS0_20block_scan_algorithmE0ELj4294967295EEENS1_25partition_config_selectorILNS1_17partition_subalgoE3EjNS0_10empty_typeEbEEZZNS1_14partition_implILS8_3ELb0ES6_jNS0_17counting_iteratorIjlEEPS9_SE_NS0_5tupleIJPjSE_EEENSF_IJSE_SE_EEES9_SG_JZNS1_25segmented_radix_sort_implINS0_14default_configELb0EPK12hip_bfloat16PSL_PKlPlN2at6native12_GLOBAL__N_18offset_tEEE10hipError_tPvRmT1_PNSt15iterator_traitsISZ_E10value_typeET2_T3_PNS10_IS15_E10value_typeET4_jRbjT5_S1B_jjP12ihipStream_tbEUljE_EEESW_SX_SY_S15_S19_S1B_T6_T7_T9_mT8_S1D_bDpT10_ENKUlT_T0_E_clISt17integral_constantIbLb1EES1Q_EEDaS1L_S1M_EUlS1L_E_NS1_11comp_targetILNS1_3genE9ELNS1_11target_archE1100ELNS1_3gpuE3ELNS1_3repE0EEENS1_30default_config_static_selectorELNS0_4arch9wavefront6targetE0EEEvSZ_.num_vgpr, 0
	.set _ZN7rocprim17ROCPRIM_400000_NS6detail17trampoline_kernelINS0_13select_configILj256ELj13ELNS0_17block_load_methodE3ELS4_3ELS4_3ELNS0_20block_scan_algorithmE0ELj4294967295EEENS1_25partition_config_selectorILNS1_17partition_subalgoE3EjNS0_10empty_typeEbEEZZNS1_14partition_implILS8_3ELb0ES6_jNS0_17counting_iteratorIjlEEPS9_SE_NS0_5tupleIJPjSE_EEENSF_IJSE_SE_EEES9_SG_JZNS1_25segmented_radix_sort_implINS0_14default_configELb0EPK12hip_bfloat16PSL_PKlPlN2at6native12_GLOBAL__N_18offset_tEEE10hipError_tPvRmT1_PNSt15iterator_traitsISZ_E10value_typeET2_T3_PNS10_IS15_E10value_typeET4_jRbjT5_S1B_jjP12ihipStream_tbEUljE_EEESW_SX_SY_S15_S19_S1B_T6_T7_T9_mT8_S1D_bDpT10_ENKUlT_T0_E_clISt17integral_constantIbLb1EES1Q_EEDaS1L_S1M_EUlS1L_E_NS1_11comp_targetILNS1_3genE9ELNS1_11target_archE1100ELNS1_3gpuE3ELNS1_3repE0EEENS1_30default_config_static_selectorELNS0_4arch9wavefront6targetE0EEEvSZ_.num_agpr, 0
	.set _ZN7rocprim17ROCPRIM_400000_NS6detail17trampoline_kernelINS0_13select_configILj256ELj13ELNS0_17block_load_methodE3ELS4_3ELS4_3ELNS0_20block_scan_algorithmE0ELj4294967295EEENS1_25partition_config_selectorILNS1_17partition_subalgoE3EjNS0_10empty_typeEbEEZZNS1_14partition_implILS8_3ELb0ES6_jNS0_17counting_iteratorIjlEEPS9_SE_NS0_5tupleIJPjSE_EEENSF_IJSE_SE_EEES9_SG_JZNS1_25segmented_radix_sort_implINS0_14default_configELb0EPK12hip_bfloat16PSL_PKlPlN2at6native12_GLOBAL__N_18offset_tEEE10hipError_tPvRmT1_PNSt15iterator_traitsISZ_E10value_typeET2_T3_PNS10_IS15_E10value_typeET4_jRbjT5_S1B_jjP12ihipStream_tbEUljE_EEESW_SX_SY_S15_S19_S1B_T6_T7_T9_mT8_S1D_bDpT10_ENKUlT_T0_E_clISt17integral_constantIbLb1EES1Q_EEDaS1L_S1M_EUlS1L_E_NS1_11comp_targetILNS1_3genE9ELNS1_11target_archE1100ELNS1_3gpuE3ELNS1_3repE0EEENS1_30default_config_static_selectorELNS0_4arch9wavefront6targetE0EEEvSZ_.numbered_sgpr, 0
	.set _ZN7rocprim17ROCPRIM_400000_NS6detail17trampoline_kernelINS0_13select_configILj256ELj13ELNS0_17block_load_methodE3ELS4_3ELS4_3ELNS0_20block_scan_algorithmE0ELj4294967295EEENS1_25partition_config_selectorILNS1_17partition_subalgoE3EjNS0_10empty_typeEbEEZZNS1_14partition_implILS8_3ELb0ES6_jNS0_17counting_iteratorIjlEEPS9_SE_NS0_5tupleIJPjSE_EEENSF_IJSE_SE_EEES9_SG_JZNS1_25segmented_radix_sort_implINS0_14default_configELb0EPK12hip_bfloat16PSL_PKlPlN2at6native12_GLOBAL__N_18offset_tEEE10hipError_tPvRmT1_PNSt15iterator_traitsISZ_E10value_typeET2_T3_PNS10_IS15_E10value_typeET4_jRbjT5_S1B_jjP12ihipStream_tbEUljE_EEESW_SX_SY_S15_S19_S1B_T6_T7_T9_mT8_S1D_bDpT10_ENKUlT_T0_E_clISt17integral_constantIbLb1EES1Q_EEDaS1L_S1M_EUlS1L_E_NS1_11comp_targetILNS1_3genE9ELNS1_11target_archE1100ELNS1_3gpuE3ELNS1_3repE0EEENS1_30default_config_static_selectorELNS0_4arch9wavefront6targetE0EEEvSZ_.num_named_barrier, 0
	.set _ZN7rocprim17ROCPRIM_400000_NS6detail17trampoline_kernelINS0_13select_configILj256ELj13ELNS0_17block_load_methodE3ELS4_3ELS4_3ELNS0_20block_scan_algorithmE0ELj4294967295EEENS1_25partition_config_selectorILNS1_17partition_subalgoE3EjNS0_10empty_typeEbEEZZNS1_14partition_implILS8_3ELb0ES6_jNS0_17counting_iteratorIjlEEPS9_SE_NS0_5tupleIJPjSE_EEENSF_IJSE_SE_EEES9_SG_JZNS1_25segmented_radix_sort_implINS0_14default_configELb0EPK12hip_bfloat16PSL_PKlPlN2at6native12_GLOBAL__N_18offset_tEEE10hipError_tPvRmT1_PNSt15iterator_traitsISZ_E10value_typeET2_T3_PNS10_IS15_E10value_typeET4_jRbjT5_S1B_jjP12ihipStream_tbEUljE_EEESW_SX_SY_S15_S19_S1B_T6_T7_T9_mT8_S1D_bDpT10_ENKUlT_T0_E_clISt17integral_constantIbLb1EES1Q_EEDaS1L_S1M_EUlS1L_E_NS1_11comp_targetILNS1_3genE9ELNS1_11target_archE1100ELNS1_3gpuE3ELNS1_3repE0EEENS1_30default_config_static_selectorELNS0_4arch9wavefront6targetE0EEEvSZ_.private_seg_size, 0
	.set _ZN7rocprim17ROCPRIM_400000_NS6detail17trampoline_kernelINS0_13select_configILj256ELj13ELNS0_17block_load_methodE3ELS4_3ELS4_3ELNS0_20block_scan_algorithmE0ELj4294967295EEENS1_25partition_config_selectorILNS1_17partition_subalgoE3EjNS0_10empty_typeEbEEZZNS1_14partition_implILS8_3ELb0ES6_jNS0_17counting_iteratorIjlEEPS9_SE_NS0_5tupleIJPjSE_EEENSF_IJSE_SE_EEES9_SG_JZNS1_25segmented_radix_sort_implINS0_14default_configELb0EPK12hip_bfloat16PSL_PKlPlN2at6native12_GLOBAL__N_18offset_tEEE10hipError_tPvRmT1_PNSt15iterator_traitsISZ_E10value_typeET2_T3_PNS10_IS15_E10value_typeET4_jRbjT5_S1B_jjP12ihipStream_tbEUljE_EEESW_SX_SY_S15_S19_S1B_T6_T7_T9_mT8_S1D_bDpT10_ENKUlT_T0_E_clISt17integral_constantIbLb1EES1Q_EEDaS1L_S1M_EUlS1L_E_NS1_11comp_targetILNS1_3genE9ELNS1_11target_archE1100ELNS1_3gpuE3ELNS1_3repE0EEENS1_30default_config_static_selectorELNS0_4arch9wavefront6targetE0EEEvSZ_.uses_vcc, 0
	.set _ZN7rocprim17ROCPRIM_400000_NS6detail17trampoline_kernelINS0_13select_configILj256ELj13ELNS0_17block_load_methodE3ELS4_3ELS4_3ELNS0_20block_scan_algorithmE0ELj4294967295EEENS1_25partition_config_selectorILNS1_17partition_subalgoE3EjNS0_10empty_typeEbEEZZNS1_14partition_implILS8_3ELb0ES6_jNS0_17counting_iteratorIjlEEPS9_SE_NS0_5tupleIJPjSE_EEENSF_IJSE_SE_EEES9_SG_JZNS1_25segmented_radix_sort_implINS0_14default_configELb0EPK12hip_bfloat16PSL_PKlPlN2at6native12_GLOBAL__N_18offset_tEEE10hipError_tPvRmT1_PNSt15iterator_traitsISZ_E10value_typeET2_T3_PNS10_IS15_E10value_typeET4_jRbjT5_S1B_jjP12ihipStream_tbEUljE_EEESW_SX_SY_S15_S19_S1B_T6_T7_T9_mT8_S1D_bDpT10_ENKUlT_T0_E_clISt17integral_constantIbLb1EES1Q_EEDaS1L_S1M_EUlS1L_E_NS1_11comp_targetILNS1_3genE9ELNS1_11target_archE1100ELNS1_3gpuE3ELNS1_3repE0EEENS1_30default_config_static_selectorELNS0_4arch9wavefront6targetE0EEEvSZ_.uses_flat_scratch, 0
	.set _ZN7rocprim17ROCPRIM_400000_NS6detail17trampoline_kernelINS0_13select_configILj256ELj13ELNS0_17block_load_methodE3ELS4_3ELS4_3ELNS0_20block_scan_algorithmE0ELj4294967295EEENS1_25partition_config_selectorILNS1_17partition_subalgoE3EjNS0_10empty_typeEbEEZZNS1_14partition_implILS8_3ELb0ES6_jNS0_17counting_iteratorIjlEEPS9_SE_NS0_5tupleIJPjSE_EEENSF_IJSE_SE_EEES9_SG_JZNS1_25segmented_radix_sort_implINS0_14default_configELb0EPK12hip_bfloat16PSL_PKlPlN2at6native12_GLOBAL__N_18offset_tEEE10hipError_tPvRmT1_PNSt15iterator_traitsISZ_E10value_typeET2_T3_PNS10_IS15_E10value_typeET4_jRbjT5_S1B_jjP12ihipStream_tbEUljE_EEESW_SX_SY_S15_S19_S1B_T6_T7_T9_mT8_S1D_bDpT10_ENKUlT_T0_E_clISt17integral_constantIbLb1EES1Q_EEDaS1L_S1M_EUlS1L_E_NS1_11comp_targetILNS1_3genE9ELNS1_11target_archE1100ELNS1_3gpuE3ELNS1_3repE0EEENS1_30default_config_static_selectorELNS0_4arch9wavefront6targetE0EEEvSZ_.has_dyn_sized_stack, 0
	.set _ZN7rocprim17ROCPRIM_400000_NS6detail17trampoline_kernelINS0_13select_configILj256ELj13ELNS0_17block_load_methodE3ELS4_3ELS4_3ELNS0_20block_scan_algorithmE0ELj4294967295EEENS1_25partition_config_selectorILNS1_17partition_subalgoE3EjNS0_10empty_typeEbEEZZNS1_14partition_implILS8_3ELb0ES6_jNS0_17counting_iteratorIjlEEPS9_SE_NS0_5tupleIJPjSE_EEENSF_IJSE_SE_EEES9_SG_JZNS1_25segmented_radix_sort_implINS0_14default_configELb0EPK12hip_bfloat16PSL_PKlPlN2at6native12_GLOBAL__N_18offset_tEEE10hipError_tPvRmT1_PNSt15iterator_traitsISZ_E10value_typeET2_T3_PNS10_IS15_E10value_typeET4_jRbjT5_S1B_jjP12ihipStream_tbEUljE_EEESW_SX_SY_S15_S19_S1B_T6_T7_T9_mT8_S1D_bDpT10_ENKUlT_T0_E_clISt17integral_constantIbLb1EES1Q_EEDaS1L_S1M_EUlS1L_E_NS1_11comp_targetILNS1_3genE9ELNS1_11target_archE1100ELNS1_3gpuE3ELNS1_3repE0EEENS1_30default_config_static_selectorELNS0_4arch9wavefront6targetE0EEEvSZ_.has_recursion, 0
	.set _ZN7rocprim17ROCPRIM_400000_NS6detail17trampoline_kernelINS0_13select_configILj256ELj13ELNS0_17block_load_methodE3ELS4_3ELS4_3ELNS0_20block_scan_algorithmE0ELj4294967295EEENS1_25partition_config_selectorILNS1_17partition_subalgoE3EjNS0_10empty_typeEbEEZZNS1_14partition_implILS8_3ELb0ES6_jNS0_17counting_iteratorIjlEEPS9_SE_NS0_5tupleIJPjSE_EEENSF_IJSE_SE_EEES9_SG_JZNS1_25segmented_radix_sort_implINS0_14default_configELb0EPK12hip_bfloat16PSL_PKlPlN2at6native12_GLOBAL__N_18offset_tEEE10hipError_tPvRmT1_PNSt15iterator_traitsISZ_E10value_typeET2_T3_PNS10_IS15_E10value_typeET4_jRbjT5_S1B_jjP12ihipStream_tbEUljE_EEESW_SX_SY_S15_S19_S1B_T6_T7_T9_mT8_S1D_bDpT10_ENKUlT_T0_E_clISt17integral_constantIbLb1EES1Q_EEDaS1L_S1M_EUlS1L_E_NS1_11comp_targetILNS1_3genE9ELNS1_11target_archE1100ELNS1_3gpuE3ELNS1_3repE0EEENS1_30default_config_static_selectorELNS0_4arch9wavefront6targetE0EEEvSZ_.has_indirect_call, 0
	.section	.AMDGPU.csdata,"",@progbits
; Kernel info:
; codeLenInByte = 0
; TotalNumSgprs: 0
; NumVgprs: 0
; ScratchSize: 0
; MemoryBound: 0
; FloatMode: 240
; IeeeMode: 1
; LDSByteSize: 0 bytes/workgroup (compile time only)
; SGPRBlocks: 0
; VGPRBlocks: 0
; NumSGPRsForWavesPerEU: 1
; NumVGPRsForWavesPerEU: 1
; Occupancy: 16
; WaveLimiterHint : 0
; COMPUTE_PGM_RSRC2:SCRATCH_EN: 0
; COMPUTE_PGM_RSRC2:USER_SGPR: 6
; COMPUTE_PGM_RSRC2:TRAP_HANDLER: 0
; COMPUTE_PGM_RSRC2:TGID_X_EN: 1
; COMPUTE_PGM_RSRC2:TGID_Y_EN: 0
; COMPUTE_PGM_RSRC2:TGID_Z_EN: 0
; COMPUTE_PGM_RSRC2:TIDIG_COMP_CNT: 0
	.section	.text._ZN7rocprim17ROCPRIM_400000_NS6detail17trampoline_kernelINS0_13select_configILj256ELj13ELNS0_17block_load_methodE3ELS4_3ELS4_3ELNS0_20block_scan_algorithmE0ELj4294967295EEENS1_25partition_config_selectorILNS1_17partition_subalgoE3EjNS0_10empty_typeEbEEZZNS1_14partition_implILS8_3ELb0ES6_jNS0_17counting_iteratorIjlEEPS9_SE_NS0_5tupleIJPjSE_EEENSF_IJSE_SE_EEES9_SG_JZNS1_25segmented_radix_sort_implINS0_14default_configELb0EPK12hip_bfloat16PSL_PKlPlN2at6native12_GLOBAL__N_18offset_tEEE10hipError_tPvRmT1_PNSt15iterator_traitsISZ_E10value_typeET2_T3_PNS10_IS15_E10value_typeET4_jRbjT5_S1B_jjP12ihipStream_tbEUljE_EEESW_SX_SY_S15_S19_S1B_T6_T7_T9_mT8_S1D_bDpT10_ENKUlT_T0_E_clISt17integral_constantIbLb1EES1Q_EEDaS1L_S1M_EUlS1L_E_NS1_11comp_targetILNS1_3genE8ELNS1_11target_archE1030ELNS1_3gpuE2ELNS1_3repE0EEENS1_30default_config_static_selectorELNS0_4arch9wavefront6targetE0EEEvSZ_,"axG",@progbits,_ZN7rocprim17ROCPRIM_400000_NS6detail17trampoline_kernelINS0_13select_configILj256ELj13ELNS0_17block_load_methodE3ELS4_3ELS4_3ELNS0_20block_scan_algorithmE0ELj4294967295EEENS1_25partition_config_selectorILNS1_17partition_subalgoE3EjNS0_10empty_typeEbEEZZNS1_14partition_implILS8_3ELb0ES6_jNS0_17counting_iteratorIjlEEPS9_SE_NS0_5tupleIJPjSE_EEENSF_IJSE_SE_EEES9_SG_JZNS1_25segmented_radix_sort_implINS0_14default_configELb0EPK12hip_bfloat16PSL_PKlPlN2at6native12_GLOBAL__N_18offset_tEEE10hipError_tPvRmT1_PNSt15iterator_traitsISZ_E10value_typeET2_T3_PNS10_IS15_E10value_typeET4_jRbjT5_S1B_jjP12ihipStream_tbEUljE_EEESW_SX_SY_S15_S19_S1B_T6_T7_T9_mT8_S1D_bDpT10_ENKUlT_T0_E_clISt17integral_constantIbLb1EES1Q_EEDaS1L_S1M_EUlS1L_E_NS1_11comp_targetILNS1_3genE8ELNS1_11target_archE1030ELNS1_3gpuE2ELNS1_3repE0EEENS1_30default_config_static_selectorELNS0_4arch9wavefront6targetE0EEEvSZ_,comdat
	.globl	_ZN7rocprim17ROCPRIM_400000_NS6detail17trampoline_kernelINS0_13select_configILj256ELj13ELNS0_17block_load_methodE3ELS4_3ELS4_3ELNS0_20block_scan_algorithmE0ELj4294967295EEENS1_25partition_config_selectorILNS1_17partition_subalgoE3EjNS0_10empty_typeEbEEZZNS1_14partition_implILS8_3ELb0ES6_jNS0_17counting_iteratorIjlEEPS9_SE_NS0_5tupleIJPjSE_EEENSF_IJSE_SE_EEES9_SG_JZNS1_25segmented_radix_sort_implINS0_14default_configELb0EPK12hip_bfloat16PSL_PKlPlN2at6native12_GLOBAL__N_18offset_tEEE10hipError_tPvRmT1_PNSt15iterator_traitsISZ_E10value_typeET2_T3_PNS10_IS15_E10value_typeET4_jRbjT5_S1B_jjP12ihipStream_tbEUljE_EEESW_SX_SY_S15_S19_S1B_T6_T7_T9_mT8_S1D_bDpT10_ENKUlT_T0_E_clISt17integral_constantIbLb1EES1Q_EEDaS1L_S1M_EUlS1L_E_NS1_11comp_targetILNS1_3genE8ELNS1_11target_archE1030ELNS1_3gpuE2ELNS1_3repE0EEENS1_30default_config_static_selectorELNS0_4arch9wavefront6targetE0EEEvSZ_ ; -- Begin function _ZN7rocprim17ROCPRIM_400000_NS6detail17trampoline_kernelINS0_13select_configILj256ELj13ELNS0_17block_load_methodE3ELS4_3ELS4_3ELNS0_20block_scan_algorithmE0ELj4294967295EEENS1_25partition_config_selectorILNS1_17partition_subalgoE3EjNS0_10empty_typeEbEEZZNS1_14partition_implILS8_3ELb0ES6_jNS0_17counting_iteratorIjlEEPS9_SE_NS0_5tupleIJPjSE_EEENSF_IJSE_SE_EEES9_SG_JZNS1_25segmented_radix_sort_implINS0_14default_configELb0EPK12hip_bfloat16PSL_PKlPlN2at6native12_GLOBAL__N_18offset_tEEE10hipError_tPvRmT1_PNSt15iterator_traitsISZ_E10value_typeET2_T3_PNS10_IS15_E10value_typeET4_jRbjT5_S1B_jjP12ihipStream_tbEUljE_EEESW_SX_SY_S15_S19_S1B_T6_T7_T9_mT8_S1D_bDpT10_ENKUlT_T0_E_clISt17integral_constantIbLb1EES1Q_EEDaS1L_S1M_EUlS1L_E_NS1_11comp_targetILNS1_3genE8ELNS1_11target_archE1030ELNS1_3gpuE2ELNS1_3repE0EEENS1_30default_config_static_selectorELNS0_4arch9wavefront6targetE0EEEvSZ_
	.p2align	8
	.type	_ZN7rocprim17ROCPRIM_400000_NS6detail17trampoline_kernelINS0_13select_configILj256ELj13ELNS0_17block_load_methodE3ELS4_3ELS4_3ELNS0_20block_scan_algorithmE0ELj4294967295EEENS1_25partition_config_selectorILNS1_17partition_subalgoE3EjNS0_10empty_typeEbEEZZNS1_14partition_implILS8_3ELb0ES6_jNS0_17counting_iteratorIjlEEPS9_SE_NS0_5tupleIJPjSE_EEENSF_IJSE_SE_EEES9_SG_JZNS1_25segmented_radix_sort_implINS0_14default_configELb0EPK12hip_bfloat16PSL_PKlPlN2at6native12_GLOBAL__N_18offset_tEEE10hipError_tPvRmT1_PNSt15iterator_traitsISZ_E10value_typeET2_T3_PNS10_IS15_E10value_typeET4_jRbjT5_S1B_jjP12ihipStream_tbEUljE_EEESW_SX_SY_S15_S19_S1B_T6_T7_T9_mT8_S1D_bDpT10_ENKUlT_T0_E_clISt17integral_constantIbLb1EES1Q_EEDaS1L_S1M_EUlS1L_E_NS1_11comp_targetILNS1_3genE8ELNS1_11target_archE1030ELNS1_3gpuE2ELNS1_3repE0EEENS1_30default_config_static_selectorELNS0_4arch9wavefront6targetE0EEEvSZ_,@function
_ZN7rocprim17ROCPRIM_400000_NS6detail17trampoline_kernelINS0_13select_configILj256ELj13ELNS0_17block_load_methodE3ELS4_3ELS4_3ELNS0_20block_scan_algorithmE0ELj4294967295EEENS1_25partition_config_selectorILNS1_17partition_subalgoE3EjNS0_10empty_typeEbEEZZNS1_14partition_implILS8_3ELb0ES6_jNS0_17counting_iteratorIjlEEPS9_SE_NS0_5tupleIJPjSE_EEENSF_IJSE_SE_EEES9_SG_JZNS1_25segmented_radix_sort_implINS0_14default_configELb0EPK12hip_bfloat16PSL_PKlPlN2at6native12_GLOBAL__N_18offset_tEEE10hipError_tPvRmT1_PNSt15iterator_traitsISZ_E10value_typeET2_T3_PNS10_IS15_E10value_typeET4_jRbjT5_S1B_jjP12ihipStream_tbEUljE_EEESW_SX_SY_S15_S19_S1B_T6_T7_T9_mT8_S1D_bDpT10_ENKUlT_T0_E_clISt17integral_constantIbLb1EES1Q_EEDaS1L_S1M_EUlS1L_E_NS1_11comp_targetILNS1_3genE8ELNS1_11target_archE1030ELNS1_3gpuE2ELNS1_3repE0EEENS1_30default_config_static_selectorELNS0_4arch9wavefront6targetE0EEEvSZ_: ; @_ZN7rocprim17ROCPRIM_400000_NS6detail17trampoline_kernelINS0_13select_configILj256ELj13ELNS0_17block_load_methodE3ELS4_3ELS4_3ELNS0_20block_scan_algorithmE0ELj4294967295EEENS1_25partition_config_selectorILNS1_17partition_subalgoE3EjNS0_10empty_typeEbEEZZNS1_14partition_implILS8_3ELb0ES6_jNS0_17counting_iteratorIjlEEPS9_SE_NS0_5tupleIJPjSE_EEENSF_IJSE_SE_EEES9_SG_JZNS1_25segmented_radix_sort_implINS0_14default_configELb0EPK12hip_bfloat16PSL_PKlPlN2at6native12_GLOBAL__N_18offset_tEEE10hipError_tPvRmT1_PNSt15iterator_traitsISZ_E10value_typeET2_T3_PNS10_IS15_E10value_typeET4_jRbjT5_S1B_jjP12ihipStream_tbEUljE_EEESW_SX_SY_S15_S19_S1B_T6_T7_T9_mT8_S1D_bDpT10_ENKUlT_T0_E_clISt17integral_constantIbLb1EES1Q_EEDaS1L_S1M_EUlS1L_E_NS1_11comp_targetILNS1_3genE8ELNS1_11target_archE1030ELNS1_3gpuE2ELNS1_3repE0EEENS1_30default_config_static_selectorELNS0_4arch9wavefront6targetE0EEEvSZ_
; %bb.0:
	s_endpgm
	.section	.rodata,"a",@progbits
	.p2align	6, 0x0
	.amdhsa_kernel _ZN7rocprim17ROCPRIM_400000_NS6detail17trampoline_kernelINS0_13select_configILj256ELj13ELNS0_17block_load_methodE3ELS4_3ELS4_3ELNS0_20block_scan_algorithmE0ELj4294967295EEENS1_25partition_config_selectorILNS1_17partition_subalgoE3EjNS0_10empty_typeEbEEZZNS1_14partition_implILS8_3ELb0ES6_jNS0_17counting_iteratorIjlEEPS9_SE_NS0_5tupleIJPjSE_EEENSF_IJSE_SE_EEES9_SG_JZNS1_25segmented_radix_sort_implINS0_14default_configELb0EPK12hip_bfloat16PSL_PKlPlN2at6native12_GLOBAL__N_18offset_tEEE10hipError_tPvRmT1_PNSt15iterator_traitsISZ_E10value_typeET2_T3_PNS10_IS15_E10value_typeET4_jRbjT5_S1B_jjP12ihipStream_tbEUljE_EEESW_SX_SY_S15_S19_S1B_T6_T7_T9_mT8_S1D_bDpT10_ENKUlT_T0_E_clISt17integral_constantIbLb1EES1Q_EEDaS1L_S1M_EUlS1L_E_NS1_11comp_targetILNS1_3genE8ELNS1_11target_archE1030ELNS1_3gpuE2ELNS1_3repE0EEENS1_30default_config_static_selectorELNS0_4arch9wavefront6targetE0EEEvSZ_
		.amdhsa_group_segment_fixed_size 0
		.amdhsa_private_segment_fixed_size 0
		.amdhsa_kernarg_size 152
		.amdhsa_user_sgpr_count 6
		.amdhsa_user_sgpr_private_segment_buffer 1
		.amdhsa_user_sgpr_dispatch_ptr 0
		.amdhsa_user_sgpr_queue_ptr 0
		.amdhsa_user_sgpr_kernarg_segment_ptr 1
		.amdhsa_user_sgpr_dispatch_id 0
		.amdhsa_user_sgpr_flat_scratch_init 0
		.amdhsa_user_sgpr_private_segment_size 0
		.amdhsa_wavefront_size32 1
		.amdhsa_uses_dynamic_stack 0
		.amdhsa_system_sgpr_private_segment_wavefront_offset 0
		.amdhsa_system_sgpr_workgroup_id_x 1
		.amdhsa_system_sgpr_workgroup_id_y 0
		.amdhsa_system_sgpr_workgroup_id_z 0
		.amdhsa_system_sgpr_workgroup_info 0
		.amdhsa_system_vgpr_workitem_id 0
		.amdhsa_next_free_vgpr 1
		.amdhsa_next_free_sgpr 1
		.amdhsa_reserve_vcc 0
		.amdhsa_reserve_flat_scratch 0
		.amdhsa_float_round_mode_32 0
		.amdhsa_float_round_mode_16_64 0
		.amdhsa_float_denorm_mode_32 3
		.amdhsa_float_denorm_mode_16_64 3
		.amdhsa_dx10_clamp 1
		.amdhsa_ieee_mode 1
		.amdhsa_fp16_overflow 0
		.amdhsa_workgroup_processor_mode 1
		.amdhsa_memory_ordered 1
		.amdhsa_forward_progress 1
		.amdhsa_shared_vgpr_count 0
		.amdhsa_exception_fp_ieee_invalid_op 0
		.amdhsa_exception_fp_denorm_src 0
		.amdhsa_exception_fp_ieee_div_zero 0
		.amdhsa_exception_fp_ieee_overflow 0
		.amdhsa_exception_fp_ieee_underflow 0
		.amdhsa_exception_fp_ieee_inexact 0
		.amdhsa_exception_int_div_zero 0
	.end_amdhsa_kernel
	.section	.text._ZN7rocprim17ROCPRIM_400000_NS6detail17trampoline_kernelINS0_13select_configILj256ELj13ELNS0_17block_load_methodE3ELS4_3ELS4_3ELNS0_20block_scan_algorithmE0ELj4294967295EEENS1_25partition_config_selectorILNS1_17partition_subalgoE3EjNS0_10empty_typeEbEEZZNS1_14partition_implILS8_3ELb0ES6_jNS0_17counting_iteratorIjlEEPS9_SE_NS0_5tupleIJPjSE_EEENSF_IJSE_SE_EEES9_SG_JZNS1_25segmented_radix_sort_implINS0_14default_configELb0EPK12hip_bfloat16PSL_PKlPlN2at6native12_GLOBAL__N_18offset_tEEE10hipError_tPvRmT1_PNSt15iterator_traitsISZ_E10value_typeET2_T3_PNS10_IS15_E10value_typeET4_jRbjT5_S1B_jjP12ihipStream_tbEUljE_EEESW_SX_SY_S15_S19_S1B_T6_T7_T9_mT8_S1D_bDpT10_ENKUlT_T0_E_clISt17integral_constantIbLb1EES1Q_EEDaS1L_S1M_EUlS1L_E_NS1_11comp_targetILNS1_3genE8ELNS1_11target_archE1030ELNS1_3gpuE2ELNS1_3repE0EEENS1_30default_config_static_selectorELNS0_4arch9wavefront6targetE0EEEvSZ_,"axG",@progbits,_ZN7rocprim17ROCPRIM_400000_NS6detail17trampoline_kernelINS0_13select_configILj256ELj13ELNS0_17block_load_methodE3ELS4_3ELS4_3ELNS0_20block_scan_algorithmE0ELj4294967295EEENS1_25partition_config_selectorILNS1_17partition_subalgoE3EjNS0_10empty_typeEbEEZZNS1_14partition_implILS8_3ELb0ES6_jNS0_17counting_iteratorIjlEEPS9_SE_NS0_5tupleIJPjSE_EEENSF_IJSE_SE_EEES9_SG_JZNS1_25segmented_radix_sort_implINS0_14default_configELb0EPK12hip_bfloat16PSL_PKlPlN2at6native12_GLOBAL__N_18offset_tEEE10hipError_tPvRmT1_PNSt15iterator_traitsISZ_E10value_typeET2_T3_PNS10_IS15_E10value_typeET4_jRbjT5_S1B_jjP12ihipStream_tbEUljE_EEESW_SX_SY_S15_S19_S1B_T6_T7_T9_mT8_S1D_bDpT10_ENKUlT_T0_E_clISt17integral_constantIbLb1EES1Q_EEDaS1L_S1M_EUlS1L_E_NS1_11comp_targetILNS1_3genE8ELNS1_11target_archE1030ELNS1_3gpuE2ELNS1_3repE0EEENS1_30default_config_static_selectorELNS0_4arch9wavefront6targetE0EEEvSZ_,comdat
.Lfunc_end2022:
	.size	_ZN7rocprim17ROCPRIM_400000_NS6detail17trampoline_kernelINS0_13select_configILj256ELj13ELNS0_17block_load_methodE3ELS4_3ELS4_3ELNS0_20block_scan_algorithmE0ELj4294967295EEENS1_25partition_config_selectorILNS1_17partition_subalgoE3EjNS0_10empty_typeEbEEZZNS1_14partition_implILS8_3ELb0ES6_jNS0_17counting_iteratorIjlEEPS9_SE_NS0_5tupleIJPjSE_EEENSF_IJSE_SE_EEES9_SG_JZNS1_25segmented_radix_sort_implINS0_14default_configELb0EPK12hip_bfloat16PSL_PKlPlN2at6native12_GLOBAL__N_18offset_tEEE10hipError_tPvRmT1_PNSt15iterator_traitsISZ_E10value_typeET2_T3_PNS10_IS15_E10value_typeET4_jRbjT5_S1B_jjP12ihipStream_tbEUljE_EEESW_SX_SY_S15_S19_S1B_T6_T7_T9_mT8_S1D_bDpT10_ENKUlT_T0_E_clISt17integral_constantIbLb1EES1Q_EEDaS1L_S1M_EUlS1L_E_NS1_11comp_targetILNS1_3genE8ELNS1_11target_archE1030ELNS1_3gpuE2ELNS1_3repE0EEENS1_30default_config_static_selectorELNS0_4arch9wavefront6targetE0EEEvSZ_, .Lfunc_end2022-_ZN7rocprim17ROCPRIM_400000_NS6detail17trampoline_kernelINS0_13select_configILj256ELj13ELNS0_17block_load_methodE3ELS4_3ELS4_3ELNS0_20block_scan_algorithmE0ELj4294967295EEENS1_25partition_config_selectorILNS1_17partition_subalgoE3EjNS0_10empty_typeEbEEZZNS1_14partition_implILS8_3ELb0ES6_jNS0_17counting_iteratorIjlEEPS9_SE_NS0_5tupleIJPjSE_EEENSF_IJSE_SE_EEES9_SG_JZNS1_25segmented_radix_sort_implINS0_14default_configELb0EPK12hip_bfloat16PSL_PKlPlN2at6native12_GLOBAL__N_18offset_tEEE10hipError_tPvRmT1_PNSt15iterator_traitsISZ_E10value_typeET2_T3_PNS10_IS15_E10value_typeET4_jRbjT5_S1B_jjP12ihipStream_tbEUljE_EEESW_SX_SY_S15_S19_S1B_T6_T7_T9_mT8_S1D_bDpT10_ENKUlT_T0_E_clISt17integral_constantIbLb1EES1Q_EEDaS1L_S1M_EUlS1L_E_NS1_11comp_targetILNS1_3genE8ELNS1_11target_archE1030ELNS1_3gpuE2ELNS1_3repE0EEENS1_30default_config_static_selectorELNS0_4arch9wavefront6targetE0EEEvSZ_
                                        ; -- End function
	.set _ZN7rocprim17ROCPRIM_400000_NS6detail17trampoline_kernelINS0_13select_configILj256ELj13ELNS0_17block_load_methodE3ELS4_3ELS4_3ELNS0_20block_scan_algorithmE0ELj4294967295EEENS1_25partition_config_selectorILNS1_17partition_subalgoE3EjNS0_10empty_typeEbEEZZNS1_14partition_implILS8_3ELb0ES6_jNS0_17counting_iteratorIjlEEPS9_SE_NS0_5tupleIJPjSE_EEENSF_IJSE_SE_EEES9_SG_JZNS1_25segmented_radix_sort_implINS0_14default_configELb0EPK12hip_bfloat16PSL_PKlPlN2at6native12_GLOBAL__N_18offset_tEEE10hipError_tPvRmT1_PNSt15iterator_traitsISZ_E10value_typeET2_T3_PNS10_IS15_E10value_typeET4_jRbjT5_S1B_jjP12ihipStream_tbEUljE_EEESW_SX_SY_S15_S19_S1B_T6_T7_T9_mT8_S1D_bDpT10_ENKUlT_T0_E_clISt17integral_constantIbLb1EES1Q_EEDaS1L_S1M_EUlS1L_E_NS1_11comp_targetILNS1_3genE8ELNS1_11target_archE1030ELNS1_3gpuE2ELNS1_3repE0EEENS1_30default_config_static_selectorELNS0_4arch9wavefront6targetE0EEEvSZ_.num_vgpr, 0
	.set _ZN7rocprim17ROCPRIM_400000_NS6detail17trampoline_kernelINS0_13select_configILj256ELj13ELNS0_17block_load_methodE3ELS4_3ELS4_3ELNS0_20block_scan_algorithmE0ELj4294967295EEENS1_25partition_config_selectorILNS1_17partition_subalgoE3EjNS0_10empty_typeEbEEZZNS1_14partition_implILS8_3ELb0ES6_jNS0_17counting_iteratorIjlEEPS9_SE_NS0_5tupleIJPjSE_EEENSF_IJSE_SE_EEES9_SG_JZNS1_25segmented_radix_sort_implINS0_14default_configELb0EPK12hip_bfloat16PSL_PKlPlN2at6native12_GLOBAL__N_18offset_tEEE10hipError_tPvRmT1_PNSt15iterator_traitsISZ_E10value_typeET2_T3_PNS10_IS15_E10value_typeET4_jRbjT5_S1B_jjP12ihipStream_tbEUljE_EEESW_SX_SY_S15_S19_S1B_T6_T7_T9_mT8_S1D_bDpT10_ENKUlT_T0_E_clISt17integral_constantIbLb1EES1Q_EEDaS1L_S1M_EUlS1L_E_NS1_11comp_targetILNS1_3genE8ELNS1_11target_archE1030ELNS1_3gpuE2ELNS1_3repE0EEENS1_30default_config_static_selectorELNS0_4arch9wavefront6targetE0EEEvSZ_.num_agpr, 0
	.set _ZN7rocprim17ROCPRIM_400000_NS6detail17trampoline_kernelINS0_13select_configILj256ELj13ELNS0_17block_load_methodE3ELS4_3ELS4_3ELNS0_20block_scan_algorithmE0ELj4294967295EEENS1_25partition_config_selectorILNS1_17partition_subalgoE3EjNS0_10empty_typeEbEEZZNS1_14partition_implILS8_3ELb0ES6_jNS0_17counting_iteratorIjlEEPS9_SE_NS0_5tupleIJPjSE_EEENSF_IJSE_SE_EEES9_SG_JZNS1_25segmented_radix_sort_implINS0_14default_configELb0EPK12hip_bfloat16PSL_PKlPlN2at6native12_GLOBAL__N_18offset_tEEE10hipError_tPvRmT1_PNSt15iterator_traitsISZ_E10value_typeET2_T3_PNS10_IS15_E10value_typeET4_jRbjT5_S1B_jjP12ihipStream_tbEUljE_EEESW_SX_SY_S15_S19_S1B_T6_T7_T9_mT8_S1D_bDpT10_ENKUlT_T0_E_clISt17integral_constantIbLb1EES1Q_EEDaS1L_S1M_EUlS1L_E_NS1_11comp_targetILNS1_3genE8ELNS1_11target_archE1030ELNS1_3gpuE2ELNS1_3repE0EEENS1_30default_config_static_selectorELNS0_4arch9wavefront6targetE0EEEvSZ_.numbered_sgpr, 0
	.set _ZN7rocprim17ROCPRIM_400000_NS6detail17trampoline_kernelINS0_13select_configILj256ELj13ELNS0_17block_load_methodE3ELS4_3ELS4_3ELNS0_20block_scan_algorithmE0ELj4294967295EEENS1_25partition_config_selectorILNS1_17partition_subalgoE3EjNS0_10empty_typeEbEEZZNS1_14partition_implILS8_3ELb0ES6_jNS0_17counting_iteratorIjlEEPS9_SE_NS0_5tupleIJPjSE_EEENSF_IJSE_SE_EEES9_SG_JZNS1_25segmented_radix_sort_implINS0_14default_configELb0EPK12hip_bfloat16PSL_PKlPlN2at6native12_GLOBAL__N_18offset_tEEE10hipError_tPvRmT1_PNSt15iterator_traitsISZ_E10value_typeET2_T3_PNS10_IS15_E10value_typeET4_jRbjT5_S1B_jjP12ihipStream_tbEUljE_EEESW_SX_SY_S15_S19_S1B_T6_T7_T9_mT8_S1D_bDpT10_ENKUlT_T0_E_clISt17integral_constantIbLb1EES1Q_EEDaS1L_S1M_EUlS1L_E_NS1_11comp_targetILNS1_3genE8ELNS1_11target_archE1030ELNS1_3gpuE2ELNS1_3repE0EEENS1_30default_config_static_selectorELNS0_4arch9wavefront6targetE0EEEvSZ_.num_named_barrier, 0
	.set _ZN7rocprim17ROCPRIM_400000_NS6detail17trampoline_kernelINS0_13select_configILj256ELj13ELNS0_17block_load_methodE3ELS4_3ELS4_3ELNS0_20block_scan_algorithmE0ELj4294967295EEENS1_25partition_config_selectorILNS1_17partition_subalgoE3EjNS0_10empty_typeEbEEZZNS1_14partition_implILS8_3ELb0ES6_jNS0_17counting_iteratorIjlEEPS9_SE_NS0_5tupleIJPjSE_EEENSF_IJSE_SE_EEES9_SG_JZNS1_25segmented_radix_sort_implINS0_14default_configELb0EPK12hip_bfloat16PSL_PKlPlN2at6native12_GLOBAL__N_18offset_tEEE10hipError_tPvRmT1_PNSt15iterator_traitsISZ_E10value_typeET2_T3_PNS10_IS15_E10value_typeET4_jRbjT5_S1B_jjP12ihipStream_tbEUljE_EEESW_SX_SY_S15_S19_S1B_T6_T7_T9_mT8_S1D_bDpT10_ENKUlT_T0_E_clISt17integral_constantIbLb1EES1Q_EEDaS1L_S1M_EUlS1L_E_NS1_11comp_targetILNS1_3genE8ELNS1_11target_archE1030ELNS1_3gpuE2ELNS1_3repE0EEENS1_30default_config_static_selectorELNS0_4arch9wavefront6targetE0EEEvSZ_.private_seg_size, 0
	.set _ZN7rocprim17ROCPRIM_400000_NS6detail17trampoline_kernelINS0_13select_configILj256ELj13ELNS0_17block_load_methodE3ELS4_3ELS4_3ELNS0_20block_scan_algorithmE0ELj4294967295EEENS1_25partition_config_selectorILNS1_17partition_subalgoE3EjNS0_10empty_typeEbEEZZNS1_14partition_implILS8_3ELb0ES6_jNS0_17counting_iteratorIjlEEPS9_SE_NS0_5tupleIJPjSE_EEENSF_IJSE_SE_EEES9_SG_JZNS1_25segmented_radix_sort_implINS0_14default_configELb0EPK12hip_bfloat16PSL_PKlPlN2at6native12_GLOBAL__N_18offset_tEEE10hipError_tPvRmT1_PNSt15iterator_traitsISZ_E10value_typeET2_T3_PNS10_IS15_E10value_typeET4_jRbjT5_S1B_jjP12ihipStream_tbEUljE_EEESW_SX_SY_S15_S19_S1B_T6_T7_T9_mT8_S1D_bDpT10_ENKUlT_T0_E_clISt17integral_constantIbLb1EES1Q_EEDaS1L_S1M_EUlS1L_E_NS1_11comp_targetILNS1_3genE8ELNS1_11target_archE1030ELNS1_3gpuE2ELNS1_3repE0EEENS1_30default_config_static_selectorELNS0_4arch9wavefront6targetE0EEEvSZ_.uses_vcc, 0
	.set _ZN7rocprim17ROCPRIM_400000_NS6detail17trampoline_kernelINS0_13select_configILj256ELj13ELNS0_17block_load_methodE3ELS4_3ELS4_3ELNS0_20block_scan_algorithmE0ELj4294967295EEENS1_25partition_config_selectorILNS1_17partition_subalgoE3EjNS0_10empty_typeEbEEZZNS1_14partition_implILS8_3ELb0ES6_jNS0_17counting_iteratorIjlEEPS9_SE_NS0_5tupleIJPjSE_EEENSF_IJSE_SE_EEES9_SG_JZNS1_25segmented_radix_sort_implINS0_14default_configELb0EPK12hip_bfloat16PSL_PKlPlN2at6native12_GLOBAL__N_18offset_tEEE10hipError_tPvRmT1_PNSt15iterator_traitsISZ_E10value_typeET2_T3_PNS10_IS15_E10value_typeET4_jRbjT5_S1B_jjP12ihipStream_tbEUljE_EEESW_SX_SY_S15_S19_S1B_T6_T7_T9_mT8_S1D_bDpT10_ENKUlT_T0_E_clISt17integral_constantIbLb1EES1Q_EEDaS1L_S1M_EUlS1L_E_NS1_11comp_targetILNS1_3genE8ELNS1_11target_archE1030ELNS1_3gpuE2ELNS1_3repE0EEENS1_30default_config_static_selectorELNS0_4arch9wavefront6targetE0EEEvSZ_.uses_flat_scratch, 0
	.set _ZN7rocprim17ROCPRIM_400000_NS6detail17trampoline_kernelINS0_13select_configILj256ELj13ELNS0_17block_load_methodE3ELS4_3ELS4_3ELNS0_20block_scan_algorithmE0ELj4294967295EEENS1_25partition_config_selectorILNS1_17partition_subalgoE3EjNS0_10empty_typeEbEEZZNS1_14partition_implILS8_3ELb0ES6_jNS0_17counting_iteratorIjlEEPS9_SE_NS0_5tupleIJPjSE_EEENSF_IJSE_SE_EEES9_SG_JZNS1_25segmented_radix_sort_implINS0_14default_configELb0EPK12hip_bfloat16PSL_PKlPlN2at6native12_GLOBAL__N_18offset_tEEE10hipError_tPvRmT1_PNSt15iterator_traitsISZ_E10value_typeET2_T3_PNS10_IS15_E10value_typeET4_jRbjT5_S1B_jjP12ihipStream_tbEUljE_EEESW_SX_SY_S15_S19_S1B_T6_T7_T9_mT8_S1D_bDpT10_ENKUlT_T0_E_clISt17integral_constantIbLb1EES1Q_EEDaS1L_S1M_EUlS1L_E_NS1_11comp_targetILNS1_3genE8ELNS1_11target_archE1030ELNS1_3gpuE2ELNS1_3repE0EEENS1_30default_config_static_selectorELNS0_4arch9wavefront6targetE0EEEvSZ_.has_dyn_sized_stack, 0
	.set _ZN7rocprim17ROCPRIM_400000_NS6detail17trampoline_kernelINS0_13select_configILj256ELj13ELNS0_17block_load_methodE3ELS4_3ELS4_3ELNS0_20block_scan_algorithmE0ELj4294967295EEENS1_25partition_config_selectorILNS1_17partition_subalgoE3EjNS0_10empty_typeEbEEZZNS1_14partition_implILS8_3ELb0ES6_jNS0_17counting_iteratorIjlEEPS9_SE_NS0_5tupleIJPjSE_EEENSF_IJSE_SE_EEES9_SG_JZNS1_25segmented_radix_sort_implINS0_14default_configELb0EPK12hip_bfloat16PSL_PKlPlN2at6native12_GLOBAL__N_18offset_tEEE10hipError_tPvRmT1_PNSt15iterator_traitsISZ_E10value_typeET2_T3_PNS10_IS15_E10value_typeET4_jRbjT5_S1B_jjP12ihipStream_tbEUljE_EEESW_SX_SY_S15_S19_S1B_T6_T7_T9_mT8_S1D_bDpT10_ENKUlT_T0_E_clISt17integral_constantIbLb1EES1Q_EEDaS1L_S1M_EUlS1L_E_NS1_11comp_targetILNS1_3genE8ELNS1_11target_archE1030ELNS1_3gpuE2ELNS1_3repE0EEENS1_30default_config_static_selectorELNS0_4arch9wavefront6targetE0EEEvSZ_.has_recursion, 0
	.set _ZN7rocprim17ROCPRIM_400000_NS6detail17trampoline_kernelINS0_13select_configILj256ELj13ELNS0_17block_load_methodE3ELS4_3ELS4_3ELNS0_20block_scan_algorithmE0ELj4294967295EEENS1_25partition_config_selectorILNS1_17partition_subalgoE3EjNS0_10empty_typeEbEEZZNS1_14partition_implILS8_3ELb0ES6_jNS0_17counting_iteratorIjlEEPS9_SE_NS0_5tupleIJPjSE_EEENSF_IJSE_SE_EEES9_SG_JZNS1_25segmented_radix_sort_implINS0_14default_configELb0EPK12hip_bfloat16PSL_PKlPlN2at6native12_GLOBAL__N_18offset_tEEE10hipError_tPvRmT1_PNSt15iterator_traitsISZ_E10value_typeET2_T3_PNS10_IS15_E10value_typeET4_jRbjT5_S1B_jjP12ihipStream_tbEUljE_EEESW_SX_SY_S15_S19_S1B_T6_T7_T9_mT8_S1D_bDpT10_ENKUlT_T0_E_clISt17integral_constantIbLb1EES1Q_EEDaS1L_S1M_EUlS1L_E_NS1_11comp_targetILNS1_3genE8ELNS1_11target_archE1030ELNS1_3gpuE2ELNS1_3repE0EEENS1_30default_config_static_selectorELNS0_4arch9wavefront6targetE0EEEvSZ_.has_indirect_call, 0
	.section	.AMDGPU.csdata,"",@progbits
; Kernel info:
; codeLenInByte = 4
; TotalNumSgprs: 0
; NumVgprs: 0
; ScratchSize: 0
; MemoryBound: 0
; FloatMode: 240
; IeeeMode: 1
; LDSByteSize: 0 bytes/workgroup (compile time only)
; SGPRBlocks: 0
; VGPRBlocks: 0
; NumSGPRsForWavesPerEU: 1
; NumVGPRsForWavesPerEU: 1
; Occupancy: 16
; WaveLimiterHint : 0
; COMPUTE_PGM_RSRC2:SCRATCH_EN: 0
; COMPUTE_PGM_RSRC2:USER_SGPR: 6
; COMPUTE_PGM_RSRC2:TRAP_HANDLER: 0
; COMPUTE_PGM_RSRC2:TGID_X_EN: 1
; COMPUTE_PGM_RSRC2:TGID_Y_EN: 0
; COMPUTE_PGM_RSRC2:TGID_Z_EN: 0
; COMPUTE_PGM_RSRC2:TIDIG_COMP_CNT: 0
	.section	.text._ZN7rocprim17ROCPRIM_400000_NS6detail17trampoline_kernelINS0_13select_configILj256ELj13ELNS0_17block_load_methodE3ELS4_3ELS4_3ELNS0_20block_scan_algorithmE0ELj4294967295EEENS1_25partition_config_selectorILNS1_17partition_subalgoE3EjNS0_10empty_typeEbEEZZNS1_14partition_implILS8_3ELb0ES6_jNS0_17counting_iteratorIjlEEPS9_SE_NS0_5tupleIJPjSE_EEENSF_IJSE_SE_EEES9_SG_JZNS1_25segmented_radix_sort_implINS0_14default_configELb0EPK12hip_bfloat16PSL_PKlPlN2at6native12_GLOBAL__N_18offset_tEEE10hipError_tPvRmT1_PNSt15iterator_traitsISZ_E10value_typeET2_T3_PNS10_IS15_E10value_typeET4_jRbjT5_S1B_jjP12ihipStream_tbEUljE_EEESW_SX_SY_S15_S19_S1B_T6_T7_T9_mT8_S1D_bDpT10_ENKUlT_T0_E_clISt17integral_constantIbLb1EES1P_IbLb0EEEEDaS1L_S1M_EUlS1L_E_NS1_11comp_targetILNS1_3genE0ELNS1_11target_archE4294967295ELNS1_3gpuE0ELNS1_3repE0EEENS1_30default_config_static_selectorELNS0_4arch9wavefront6targetE0EEEvSZ_,"axG",@progbits,_ZN7rocprim17ROCPRIM_400000_NS6detail17trampoline_kernelINS0_13select_configILj256ELj13ELNS0_17block_load_methodE3ELS4_3ELS4_3ELNS0_20block_scan_algorithmE0ELj4294967295EEENS1_25partition_config_selectorILNS1_17partition_subalgoE3EjNS0_10empty_typeEbEEZZNS1_14partition_implILS8_3ELb0ES6_jNS0_17counting_iteratorIjlEEPS9_SE_NS0_5tupleIJPjSE_EEENSF_IJSE_SE_EEES9_SG_JZNS1_25segmented_radix_sort_implINS0_14default_configELb0EPK12hip_bfloat16PSL_PKlPlN2at6native12_GLOBAL__N_18offset_tEEE10hipError_tPvRmT1_PNSt15iterator_traitsISZ_E10value_typeET2_T3_PNS10_IS15_E10value_typeET4_jRbjT5_S1B_jjP12ihipStream_tbEUljE_EEESW_SX_SY_S15_S19_S1B_T6_T7_T9_mT8_S1D_bDpT10_ENKUlT_T0_E_clISt17integral_constantIbLb1EES1P_IbLb0EEEEDaS1L_S1M_EUlS1L_E_NS1_11comp_targetILNS1_3genE0ELNS1_11target_archE4294967295ELNS1_3gpuE0ELNS1_3repE0EEENS1_30default_config_static_selectorELNS0_4arch9wavefront6targetE0EEEvSZ_,comdat
	.globl	_ZN7rocprim17ROCPRIM_400000_NS6detail17trampoline_kernelINS0_13select_configILj256ELj13ELNS0_17block_load_methodE3ELS4_3ELS4_3ELNS0_20block_scan_algorithmE0ELj4294967295EEENS1_25partition_config_selectorILNS1_17partition_subalgoE3EjNS0_10empty_typeEbEEZZNS1_14partition_implILS8_3ELb0ES6_jNS0_17counting_iteratorIjlEEPS9_SE_NS0_5tupleIJPjSE_EEENSF_IJSE_SE_EEES9_SG_JZNS1_25segmented_radix_sort_implINS0_14default_configELb0EPK12hip_bfloat16PSL_PKlPlN2at6native12_GLOBAL__N_18offset_tEEE10hipError_tPvRmT1_PNSt15iterator_traitsISZ_E10value_typeET2_T3_PNS10_IS15_E10value_typeET4_jRbjT5_S1B_jjP12ihipStream_tbEUljE_EEESW_SX_SY_S15_S19_S1B_T6_T7_T9_mT8_S1D_bDpT10_ENKUlT_T0_E_clISt17integral_constantIbLb1EES1P_IbLb0EEEEDaS1L_S1M_EUlS1L_E_NS1_11comp_targetILNS1_3genE0ELNS1_11target_archE4294967295ELNS1_3gpuE0ELNS1_3repE0EEENS1_30default_config_static_selectorELNS0_4arch9wavefront6targetE0EEEvSZ_ ; -- Begin function _ZN7rocprim17ROCPRIM_400000_NS6detail17trampoline_kernelINS0_13select_configILj256ELj13ELNS0_17block_load_methodE3ELS4_3ELS4_3ELNS0_20block_scan_algorithmE0ELj4294967295EEENS1_25partition_config_selectorILNS1_17partition_subalgoE3EjNS0_10empty_typeEbEEZZNS1_14partition_implILS8_3ELb0ES6_jNS0_17counting_iteratorIjlEEPS9_SE_NS0_5tupleIJPjSE_EEENSF_IJSE_SE_EEES9_SG_JZNS1_25segmented_radix_sort_implINS0_14default_configELb0EPK12hip_bfloat16PSL_PKlPlN2at6native12_GLOBAL__N_18offset_tEEE10hipError_tPvRmT1_PNSt15iterator_traitsISZ_E10value_typeET2_T3_PNS10_IS15_E10value_typeET4_jRbjT5_S1B_jjP12ihipStream_tbEUljE_EEESW_SX_SY_S15_S19_S1B_T6_T7_T9_mT8_S1D_bDpT10_ENKUlT_T0_E_clISt17integral_constantIbLb1EES1P_IbLb0EEEEDaS1L_S1M_EUlS1L_E_NS1_11comp_targetILNS1_3genE0ELNS1_11target_archE4294967295ELNS1_3gpuE0ELNS1_3repE0EEENS1_30default_config_static_selectorELNS0_4arch9wavefront6targetE0EEEvSZ_
	.p2align	8
	.type	_ZN7rocprim17ROCPRIM_400000_NS6detail17trampoline_kernelINS0_13select_configILj256ELj13ELNS0_17block_load_methodE3ELS4_3ELS4_3ELNS0_20block_scan_algorithmE0ELj4294967295EEENS1_25partition_config_selectorILNS1_17partition_subalgoE3EjNS0_10empty_typeEbEEZZNS1_14partition_implILS8_3ELb0ES6_jNS0_17counting_iteratorIjlEEPS9_SE_NS0_5tupleIJPjSE_EEENSF_IJSE_SE_EEES9_SG_JZNS1_25segmented_radix_sort_implINS0_14default_configELb0EPK12hip_bfloat16PSL_PKlPlN2at6native12_GLOBAL__N_18offset_tEEE10hipError_tPvRmT1_PNSt15iterator_traitsISZ_E10value_typeET2_T3_PNS10_IS15_E10value_typeET4_jRbjT5_S1B_jjP12ihipStream_tbEUljE_EEESW_SX_SY_S15_S19_S1B_T6_T7_T9_mT8_S1D_bDpT10_ENKUlT_T0_E_clISt17integral_constantIbLb1EES1P_IbLb0EEEEDaS1L_S1M_EUlS1L_E_NS1_11comp_targetILNS1_3genE0ELNS1_11target_archE4294967295ELNS1_3gpuE0ELNS1_3repE0EEENS1_30default_config_static_selectorELNS0_4arch9wavefront6targetE0EEEvSZ_,@function
_ZN7rocprim17ROCPRIM_400000_NS6detail17trampoline_kernelINS0_13select_configILj256ELj13ELNS0_17block_load_methodE3ELS4_3ELS4_3ELNS0_20block_scan_algorithmE0ELj4294967295EEENS1_25partition_config_selectorILNS1_17partition_subalgoE3EjNS0_10empty_typeEbEEZZNS1_14partition_implILS8_3ELb0ES6_jNS0_17counting_iteratorIjlEEPS9_SE_NS0_5tupleIJPjSE_EEENSF_IJSE_SE_EEES9_SG_JZNS1_25segmented_radix_sort_implINS0_14default_configELb0EPK12hip_bfloat16PSL_PKlPlN2at6native12_GLOBAL__N_18offset_tEEE10hipError_tPvRmT1_PNSt15iterator_traitsISZ_E10value_typeET2_T3_PNS10_IS15_E10value_typeET4_jRbjT5_S1B_jjP12ihipStream_tbEUljE_EEESW_SX_SY_S15_S19_S1B_T6_T7_T9_mT8_S1D_bDpT10_ENKUlT_T0_E_clISt17integral_constantIbLb1EES1P_IbLb0EEEEDaS1L_S1M_EUlS1L_E_NS1_11comp_targetILNS1_3genE0ELNS1_11target_archE4294967295ELNS1_3gpuE0ELNS1_3repE0EEENS1_30default_config_static_selectorELNS0_4arch9wavefront6targetE0EEEvSZ_: ; @_ZN7rocprim17ROCPRIM_400000_NS6detail17trampoline_kernelINS0_13select_configILj256ELj13ELNS0_17block_load_methodE3ELS4_3ELS4_3ELNS0_20block_scan_algorithmE0ELj4294967295EEENS1_25partition_config_selectorILNS1_17partition_subalgoE3EjNS0_10empty_typeEbEEZZNS1_14partition_implILS8_3ELb0ES6_jNS0_17counting_iteratorIjlEEPS9_SE_NS0_5tupleIJPjSE_EEENSF_IJSE_SE_EEES9_SG_JZNS1_25segmented_radix_sort_implINS0_14default_configELb0EPK12hip_bfloat16PSL_PKlPlN2at6native12_GLOBAL__N_18offset_tEEE10hipError_tPvRmT1_PNSt15iterator_traitsISZ_E10value_typeET2_T3_PNS10_IS15_E10value_typeET4_jRbjT5_S1B_jjP12ihipStream_tbEUljE_EEESW_SX_SY_S15_S19_S1B_T6_T7_T9_mT8_S1D_bDpT10_ENKUlT_T0_E_clISt17integral_constantIbLb1EES1P_IbLb0EEEEDaS1L_S1M_EUlS1L_E_NS1_11comp_targetILNS1_3genE0ELNS1_11target_archE4294967295ELNS1_3gpuE0ELNS1_3repE0EEENS1_30default_config_static_selectorELNS0_4arch9wavefront6targetE0EEEvSZ_
; %bb.0:
	.section	.rodata,"a",@progbits
	.p2align	6, 0x0
	.amdhsa_kernel _ZN7rocprim17ROCPRIM_400000_NS6detail17trampoline_kernelINS0_13select_configILj256ELj13ELNS0_17block_load_methodE3ELS4_3ELS4_3ELNS0_20block_scan_algorithmE0ELj4294967295EEENS1_25partition_config_selectorILNS1_17partition_subalgoE3EjNS0_10empty_typeEbEEZZNS1_14partition_implILS8_3ELb0ES6_jNS0_17counting_iteratorIjlEEPS9_SE_NS0_5tupleIJPjSE_EEENSF_IJSE_SE_EEES9_SG_JZNS1_25segmented_radix_sort_implINS0_14default_configELb0EPK12hip_bfloat16PSL_PKlPlN2at6native12_GLOBAL__N_18offset_tEEE10hipError_tPvRmT1_PNSt15iterator_traitsISZ_E10value_typeET2_T3_PNS10_IS15_E10value_typeET4_jRbjT5_S1B_jjP12ihipStream_tbEUljE_EEESW_SX_SY_S15_S19_S1B_T6_T7_T9_mT8_S1D_bDpT10_ENKUlT_T0_E_clISt17integral_constantIbLb1EES1P_IbLb0EEEEDaS1L_S1M_EUlS1L_E_NS1_11comp_targetILNS1_3genE0ELNS1_11target_archE4294967295ELNS1_3gpuE0ELNS1_3repE0EEENS1_30default_config_static_selectorELNS0_4arch9wavefront6targetE0EEEvSZ_
		.amdhsa_group_segment_fixed_size 0
		.amdhsa_private_segment_fixed_size 0
		.amdhsa_kernarg_size 144
		.amdhsa_user_sgpr_count 6
		.amdhsa_user_sgpr_private_segment_buffer 1
		.amdhsa_user_sgpr_dispatch_ptr 0
		.amdhsa_user_sgpr_queue_ptr 0
		.amdhsa_user_sgpr_kernarg_segment_ptr 1
		.amdhsa_user_sgpr_dispatch_id 0
		.amdhsa_user_sgpr_flat_scratch_init 0
		.amdhsa_user_sgpr_private_segment_size 0
		.amdhsa_wavefront_size32 1
		.amdhsa_uses_dynamic_stack 0
		.amdhsa_system_sgpr_private_segment_wavefront_offset 0
		.amdhsa_system_sgpr_workgroup_id_x 1
		.amdhsa_system_sgpr_workgroup_id_y 0
		.amdhsa_system_sgpr_workgroup_id_z 0
		.amdhsa_system_sgpr_workgroup_info 0
		.amdhsa_system_vgpr_workitem_id 0
		.amdhsa_next_free_vgpr 1
		.amdhsa_next_free_sgpr 1
		.amdhsa_reserve_vcc 0
		.amdhsa_reserve_flat_scratch 0
		.amdhsa_float_round_mode_32 0
		.amdhsa_float_round_mode_16_64 0
		.amdhsa_float_denorm_mode_32 3
		.amdhsa_float_denorm_mode_16_64 3
		.amdhsa_dx10_clamp 1
		.amdhsa_ieee_mode 1
		.amdhsa_fp16_overflow 0
		.amdhsa_workgroup_processor_mode 1
		.amdhsa_memory_ordered 1
		.amdhsa_forward_progress 1
		.amdhsa_shared_vgpr_count 0
		.amdhsa_exception_fp_ieee_invalid_op 0
		.amdhsa_exception_fp_denorm_src 0
		.amdhsa_exception_fp_ieee_div_zero 0
		.amdhsa_exception_fp_ieee_overflow 0
		.amdhsa_exception_fp_ieee_underflow 0
		.amdhsa_exception_fp_ieee_inexact 0
		.amdhsa_exception_int_div_zero 0
	.end_amdhsa_kernel
	.section	.text._ZN7rocprim17ROCPRIM_400000_NS6detail17trampoline_kernelINS0_13select_configILj256ELj13ELNS0_17block_load_methodE3ELS4_3ELS4_3ELNS0_20block_scan_algorithmE0ELj4294967295EEENS1_25partition_config_selectorILNS1_17partition_subalgoE3EjNS0_10empty_typeEbEEZZNS1_14partition_implILS8_3ELb0ES6_jNS0_17counting_iteratorIjlEEPS9_SE_NS0_5tupleIJPjSE_EEENSF_IJSE_SE_EEES9_SG_JZNS1_25segmented_radix_sort_implINS0_14default_configELb0EPK12hip_bfloat16PSL_PKlPlN2at6native12_GLOBAL__N_18offset_tEEE10hipError_tPvRmT1_PNSt15iterator_traitsISZ_E10value_typeET2_T3_PNS10_IS15_E10value_typeET4_jRbjT5_S1B_jjP12ihipStream_tbEUljE_EEESW_SX_SY_S15_S19_S1B_T6_T7_T9_mT8_S1D_bDpT10_ENKUlT_T0_E_clISt17integral_constantIbLb1EES1P_IbLb0EEEEDaS1L_S1M_EUlS1L_E_NS1_11comp_targetILNS1_3genE0ELNS1_11target_archE4294967295ELNS1_3gpuE0ELNS1_3repE0EEENS1_30default_config_static_selectorELNS0_4arch9wavefront6targetE0EEEvSZ_,"axG",@progbits,_ZN7rocprim17ROCPRIM_400000_NS6detail17trampoline_kernelINS0_13select_configILj256ELj13ELNS0_17block_load_methodE3ELS4_3ELS4_3ELNS0_20block_scan_algorithmE0ELj4294967295EEENS1_25partition_config_selectorILNS1_17partition_subalgoE3EjNS0_10empty_typeEbEEZZNS1_14partition_implILS8_3ELb0ES6_jNS0_17counting_iteratorIjlEEPS9_SE_NS0_5tupleIJPjSE_EEENSF_IJSE_SE_EEES9_SG_JZNS1_25segmented_radix_sort_implINS0_14default_configELb0EPK12hip_bfloat16PSL_PKlPlN2at6native12_GLOBAL__N_18offset_tEEE10hipError_tPvRmT1_PNSt15iterator_traitsISZ_E10value_typeET2_T3_PNS10_IS15_E10value_typeET4_jRbjT5_S1B_jjP12ihipStream_tbEUljE_EEESW_SX_SY_S15_S19_S1B_T6_T7_T9_mT8_S1D_bDpT10_ENKUlT_T0_E_clISt17integral_constantIbLb1EES1P_IbLb0EEEEDaS1L_S1M_EUlS1L_E_NS1_11comp_targetILNS1_3genE0ELNS1_11target_archE4294967295ELNS1_3gpuE0ELNS1_3repE0EEENS1_30default_config_static_selectorELNS0_4arch9wavefront6targetE0EEEvSZ_,comdat
.Lfunc_end2023:
	.size	_ZN7rocprim17ROCPRIM_400000_NS6detail17trampoline_kernelINS0_13select_configILj256ELj13ELNS0_17block_load_methodE3ELS4_3ELS4_3ELNS0_20block_scan_algorithmE0ELj4294967295EEENS1_25partition_config_selectorILNS1_17partition_subalgoE3EjNS0_10empty_typeEbEEZZNS1_14partition_implILS8_3ELb0ES6_jNS0_17counting_iteratorIjlEEPS9_SE_NS0_5tupleIJPjSE_EEENSF_IJSE_SE_EEES9_SG_JZNS1_25segmented_radix_sort_implINS0_14default_configELb0EPK12hip_bfloat16PSL_PKlPlN2at6native12_GLOBAL__N_18offset_tEEE10hipError_tPvRmT1_PNSt15iterator_traitsISZ_E10value_typeET2_T3_PNS10_IS15_E10value_typeET4_jRbjT5_S1B_jjP12ihipStream_tbEUljE_EEESW_SX_SY_S15_S19_S1B_T6_T7_T9_mT8_S1D_bDpT10_ENKUlT_T0_E_clISt17integral_constantIbLb1EES1P_IbLb0EEEEDaS1L_S1M_EUlS1L_E_NS1_11comp_targetILNS1_3genE0ELNS1_11target_archE4294967295ELNS1_3gpuE0ELNS1_3repE0EEENS1_30default_config_static_selectorELNS0_4arch9wavefront6targetE0EEEvSZ_, .Lfunc_end2023-_ZN7rocprim17ROCPRIM_400000_NS6detail17trampoline_kernelINS0_13select_configILj256ELj13ELNS0_17block_load_methodE3ELS4_3ELS4_3ELNS0_20block_scan_algorithmE0ELj4294967295EEENS1_25partition_config_selectorILNS1_17partition_subalgoE3EjNS0_10empty_typeEbEEZZNS1_14partition_implILS8_3ELb0ES6_jNS0_17counting_iteratorIjlEEPS9_SE_NS0_5tupleIJPjSE_EEENSF_IJSE_SE_EEES9_SG_JZNS1_25segmented_radix_sort_implINS0_14default_configELb0EPK12hip_bfloat16PSL_PKlPlN2at6native12_GLOBAL__N_18offset_tEEE10hipError_tPvRmT1_PNSt15iterator_traitsISZ_E10value_typeET2_T3_PNS10_IS15_E10value_typeET4_jRbjT5_S1B_jjP12ihipStream_tbEUljE_EEESW_SX_SY_S15_S19_S1B_T6_T7_T9_mT8_S1D_bDpT10_ENKUlT_T0_E_clISt17integral_constantIbLb1EES1P_IbLb0EEEEDaS1L_S1M_EUlS1L_E_NS1_11comp_targetILNS1_3genE0ELNS1_11target_archE4294967295ELNS1_3gpuE0ELNS1_3repE0EEENS1_30default_config_static_selectorELNS0_4arch9wavefront6targetE0EEEvSZ_
                                        ; -- End function
	.set _ZN7rocprim17ROCPRIM_400000_NS6detail17trampoline_kernelINS0_13select_configILj256ELj13ELNS0_17block_load_methodE3ELS4_3ELS4_3ELNS0_20block_scan_algorithmE0ELj4294967295EEENS1_25partition_config_selectorILNS1_17partition_subalgoE3EjNS0_10empty_typeEbEEZZNS1_14partition_implILS8_3ELb0ES6_jNS0_17counting_iteratorIjlEEPS9_SE_NS0_5tupleIJPjSE_EEENSF_IJSE_SE_EEES9_SG_JZNS1_25segmented_radix_sort_implINS0_14default_configELb0EPK12hip_bfloat16PSL_PKlPlN2at6native12_GLOBAL__N_18offset_tEEE10hipError_tPvRmT1_PNSt15iterator_traitsISZ_E10value_typeET2_T3_PNS10_IS15_E10value_typeET4_jRbjT5_S1B_jjP12ihipStream_tbEUljE_EEESW_SX_SY_S15_S19_S1B_T6_T7_T9_mT8_S1D_bDpT10_ENKUlT_T0_E_clISt17integral_constantIbLb1EES1P_IbLb0EEEEDaS1L_S1M_EUlS1L_E_NS1_11comp_targetILNS1_3genE0ELNS1_11target_archE4294967295ELNS1_3gpuE0ELNS1_3repE0EEENS1_30default_config_static_selectorELNS0_4arch9wavefront6targetE0EEEvSZ_.num_vgpr, 0
	.set _ZN7rocprim17ROCPRIM_400000_NS6detail17trampoline_kernelINS0_13select_configILj256ELj13ELNS0_17block_load_methodE3ELS4_3ELS4_3ELNS0_20block_scan_algorithmE0ELj4294967295EEENS1_25partition_config_selectorILNS1_17partition_subalgoE3EjNS0_10empty_typeEbEEZZNS1_14partition_implILS8_3ELb0ES6_jNS0_17counting_iteratorIjlEEPS9_SE_NS0_5tupleIJPjSE_EEENSF_IJSE_SE_EEES9_SG_JZNS1_25segmented_radix_sort_implINS0_14default_configELb0EPK12hip_bfloat16PSL_PKlPlN2at6native12_GLOBAL__N_18offset_tEEE10hipError_tPvRmT1_PNSt15iterator_traitsISZ_E10value_typeET2_T3_PNS10_IS15_E10value_typeET4_jRbjT5_S1B_jjP12ihipStream_tbEUljE_EEESW_SX_SY_S15_S19_S1B_T6_T7_T9_mT8_S1D_bDpT10_ENKUlT_T0_E_clISt17integral_constantIbLb1EES1P_IbLb0EEEEDaS1L_S1M_EUlS1L_E_NS1_11comp_targetILNS1_3genE0ELNS1_11target_archE4294967295ELNS1_3gpuE0ELNS1_3repE0EEENS1_30default_config_static_selectorELNS0_4arch9wavefront6targetE0EEEvSZ_.num_agpr, 0
	.set _ZN7rocprim17ROCPRIM_400000_NS6detail17trampoline_kernelINS0_13select_configILj256ELj13ELNS0_17block_load_methodE3ELS4_3ELS4_3ELNS0_20block_scan_algorithmE0ELj4294967295EEENS1_25partition_config_selectorILNS1_17partition_subalgoE3EjNS0_10empty_typeEbEEZZNS1_14partition_implILS8_3ELb0ES6_jNS0_17counting_iteratorIjlEEPS9_SE_NS0_5tupleIJPjSE_EEENSF_IJSE_SE_EEES9_SG_JZNS1_25segmented_radix_sort_implINS0_14default_configELb0EPK12hip_bfloat16PSL_PKlPlN2at6native12_GLOBAL__N_18offset_tEEE10hipError_tPvRmT1_PNSt15iterator_traitsISZ_E10value_typeET2_T3_PNS10_IS15_E10value_typeET4_jRbjT5_S1B_jjP12ihipStream_tbEUljE_EEESW_SX_SY_S15_S19_S1B_T6_T7_T9_mT8_S1D_bDpT10_ENKUlT_T0_E_clISt17integral_constantIbLb1EES1P_IbLb0EEEEDaS1L_S1M_EUlS1L_E_NS1_11comp_targetILNS1_3genE0ELNS1_11target_archE4294967295ELNS1_3gpuE0ELNS1_3repE0EEENS1_30default_config_static_selectorELNS0_4arch9wavefront6targetE0EEEvSZ_.numbered_sgpr, 0
	.set _ZN7rocprim17ROCPRIM_400000_NS6detail17trampoline_kernelINS0_13select_configILj256ELj13ELNS0_17block_load_methodE3ELS4_3ELS4_3ELNS0_20block_scan_algorithmE0ELj4294967295EEENS1_25partition_config_selectorILNS1_17partition_subalgoE3EjNS0_10empty_typeEbEEZZNS1_14partition_implILS8_3ELb0ES6_jNS0_17counting_iteratorIjlEEPS9_SE_NS0_5tupleIJPjSE_EEENSF_IJSE_SE_EEES9_SG_JZNS1_25segmented_radix_sort_implINS0_14default_configELb0EPK12hip_bfloat16PSL_PKlPlN2at6native12_GLOBAL__N_18offset_tEEE10hipError_tPvRmT1_PNSt15iterator_traitsISZ_E10value_typeET2_T3_PNS10_IS15_E10value_typeET4_jRbjT5_S1B_jjP12ihipStream_tbEUljE_EEESW_SX_SY_S15_S19_S1B_T6_T7_T9_mT8_S1D_bDpT10_ENKUlT_T0_E_clISt17integral_constantIbLb1EES1P_IbLb0EEEEDaS1L_S1M_EUlS1L_E_NS1_11comp_targetILNS1_3genE0ELNS1_11target_archE4294967295ELNS1_3gpuE0ELNS1_3repE0EEENS1_30default_config_static_selectorELNS0_4arch9wavefront6targetE0EEEvSZ_.num_named_barrier, 0
	.set _ZN7rocprim17ROCPRIM_400000_NS6detail17trampoline_kernelINS0_13select_configILj256ELj13ELNS0_17block_load_methodE3ELS4_3ELS4_3ELNS0_20block_scan_algorithmE0ELj4294967295EEENS1_25partition_config_selectorILNS1_17partition_subalgoE3EjNS0_10empty_typeEbEEZZNS1_14partition_implILS8_3ELb0ES6_jNS0_17counting_iteratorIjlEEPS9_SE_NS0_5tupleIJPjSE_EEENSF_IJSE_SE_EEES9_SG_JZNS1_25segmented_radix_sort_implINS0_14default_configELb0EPK12hip_bfloat16PSL_PKlPlN2at6native12_GLOBAL__N_18offset_tEEE10hipError_tPvRmT1_PNSt15iterator_traitsISZ_E10value_typeET2_T3_PNS10_IS15_E10value_typeET4_jRbjT5_S1B_jjP12ihipStream_tbEUljE_EEESW_SX_SY_S15_S19_S1B_T6_T7_T9_mT8_S1D_bDpT10_ENKUlT_T0_E_clISt17integral_constantIbLb1EES1P_IbLb0EEEEDaS1L_S1M_EUlS1L_E_NS1_11comp_targetILNS1_3genE0ELNS1_11target_archE4294967295ELNS1_3gpuE0ELNS1_3repE0EEENS1_30default_config_static_selectorELNS0_4arch9wavefront6targetE0EEEvSZ_.private_seg_size, 0
	.set _ZN7rocprim17ROCPRIM_400000_NS6detail17trampoline_kernelINS0_13select_configILj256ELj13ELNS0_17block_load_methodE3ELS4_3ELS4_3ELNS0_20block_scan_algorithmE0ELj4294967295EEENS1_25partition_config_selectorILNS1_17partition_subalgoE3EjNS0_10empty_typeEbEEZZNS1_14partition_implILS8_3ELb0ES6_jNS0_17counting_iteratorIjlEEPS9_SE_NS0_5tupleIJPjSE_EEENSF_IJSE_SE_EEES9_SG_JZNS1_25segmented_radix_sort_implINS0_14default_configELb0EPK12hip_bfloat16PSL_PKlPlN2at6native12_GLOBAL__N_18offset_tEEE10hipError_tPvRmT1_PNSt15iterator_traitsISZ_E10value_typeET2_T3_PNS10_IS15_E10value_typeET4_jRbjT5_S1B_jjP12ihipStream_tbEUljE_EEESW_SX_SY_S15_S19_S1B_T6_T7_T9_mT8_S1D_bDpT10_ENKUlT_T0_E_clISt17integral_constantIbLb1EES1P_IbLb0EEEEDaS1L_S1M_EUlS1L_E_NS1_11comp_targetILNS1_3genE0ELNS1_11target_archE4294967295ELNS1_3gpuE0ELNS1_3repE0EEENS1_30default_config_static_selectorELNS0_4arch9wavefront6targetE0EEEvSZ_.uses_vcc, 0
	.set _ZN7rocprim17ROCPRIM_400000_NS6detail17trampoline_kernelINS0_13select_configILj256ELj13ELNS0_17block_load_methodE3ELS4_3ELS4_3ELNS0_20block_scan_algorithmE0ELj4294967295EEENS1_25partition_config_selectorILNS1_17partition_subalgoE3EjNS0_10empty_typeEbEEZZNS1_14partition_implILS8_3ELb0ES6_jNS0_17counting_iteratorIjlEEPS9_SE_NS0_5tupleIJPjSE_EEENSF_IJSE_SE_EEES9_SG_JZNS1_25segmented_radix_sort_implINS0_14default_configELb0EPK12hip_bfloat16PSL_PKlPlN2at6native12_GLOBAL__N_18offset_tEEE10hipError_tPvRmT1_PNSt15iterator_traitsISZ_E10value_typeET2_T3_PNS10_IS15_E10value_typeET4_jRbjT5_S1B_jjP12ihipStream_tbEUljE_EEESW_SX_SY_S15_S19_S1B_T6_T7_T9_mT8_S1D_bDpT10_ENKUlT_T0_E_clISt17integral_constantIbLb1EES1P_IbLb0EEEEDaS1L_S1M_EUlS1L_E_NS1_11comp_targetILNS1_3genE0ELNS1_11target_archE4294967295ELNS1_3gpuE0ELNS1_3repE0EEENS1_30default_config_static_selectorELNS0_4arch9wavefront6targetE0EEEvSZ_.uses_flat_scratch, 0
	.set _ZN7rocprim17ROCPRIM_400000_NS6detail17trampoline_kernelINS0_13select_configILj256ELj13ELNS0_17block_load_methodE3ELS4_3ELS4_3ELNS0_20block_scan_algorithmE0ELj4294967295EEENS1_25partition_config_selectorILNS1_17partition_subalgoE3EjNS0_10empty_typeEbEEZZNS1_14partition_implILS8_3ELb0ES6_jNS0_17counting_iteratorIjlEEPS9_SE_NS0_5tupleIJPjSE_EEENSF_IJSE_SE_EEES9_SG_JZNS1_25segmented_radix_sort_implINS0_14default_configELb0EPK12hip_bfloat16PSL_PKlPlN2at6native12_GLOBAL__N_18offset_tEEE10hipError_tPvRmT1_PNSt15iterator_traitsISZ_E10value_typeET2_T3_PNS10_IS15_E10value_typeET4_jRbjT5_S1B_jjP12ihipStream_tbEUljE_EEESW_SX_SY_S15_S19_S1B_T6_T7_T9_mT8_S1D_bDpT10_ENKUlT_T0_E_clISt17integral_constantIbLb1EES1P_IbLb0EEEEDaS1L_S1M_EUlS1L_E_NS1_11comp_targetILNS1_3genE0ELNS1_11target_archE4294967295ELNS1_3gpuE0ELNS1_3repE0EEENS1_30default_config_static_selectorELNS0_4arch9wavefront6targetE0EEEvSZ_.has_dyn_sized_stack, 0
	.set _ZN7rocprim17ROCPRIM_400000_NS6detail17trampoline_kernelINS0_13select_configILj256ELj13ELNS0_17block_load_methodE3ELS4_3ELS4_3ELNS0_20block_scan_algorithmE0ELj4294967295EEENS1_25partition_config_selectorILNS1_17partition_subalgoE3EjNS0_10empty_typeEbEEZZNS1_14partition_implILS8_3ELb0ES6_jNS0_17counting_iteratorIjlEEPS9_SE_NS0_5tupleIJPjSE_EEENSF_IJSE_SE_EEES9_SG_JZNS1_25segmented_radix_sort_implINS0_14default_configELb0EPK12hip_bfloat16PSL_PKlPlN2at6native12_GLOBAL__N_18offset_tEEE10hipError_tPvRmT1_PNSt15iterator_traitsISZ_E10value_typeET2_T3_PNS10_IS15_E10value_typeET4_jRbjT5_S1B_jjP12ihipStream_tbEUljE_EEESW_SX_SY_S15_S19_S1B_T6_T7_T9_mT8_S1D_bDpT10_ENKUlT_T0_E_clISt17integral_constantIbLb1EES1P_IbLb0EEEEDaS1L_S1M_EUlS1L_E_NS1_11comp_targetILNS1_3genE0ELNS1_11target_archE4294967295ELNS1_3gpuE0ELNS1_3repE0EEENS1_30default_config_static_selectorELNS0_4arch9wavefront6targetE0EEEvSZ_.has_recursion, 0
	.set _ZN7rocprim17ROCPRIM_400000_NS6detail17trampoline_kernelINS0_13select_configILj256ELj13ELNS0_17block_load_methodE3ELS4_3ELS4_3ELNS0_20block_scan_algorithmE0ELj4294967295EEENS1_25partition_config_selectorILNS1_17partition_subalgoE3EjNS0_10empty_typeEbEEZZNS1_14partition_implILS8_3ELb0ES6_jNS0_17counting_iteratorIjlEEPS9_SE_NS0_5tupleIJPjSE_EEENSF_IJSE_SE_EEES9_SG_JZNS1_25segmented_radix_sort_implINS0_14default_configELb0EPK12hip_bfloat16PSL_PKlPlN2at6native12_GLOBAL__N_18offset_tEEE10hipError_tPvRmT1_PNSt15iterator_traitsISZ_E10value_typeET2_T3_PNS10_IS15_E10value_typeET4_jRbjT5_S1B_jjP12ihipStream_tbEUljE_EEESW_SX_SY_S15_S19_S1B_T6_T7_T9_mT8_S1D_bDpT10_ENKUlT_T0_E_clISt17integral_constantIbLb1EES1P_IbLb0EEEEDaS1L_S1M_EUlS1L_E_NS1_11comp_targetILNS1_3genE0ELNS1_11target_archE4294967295ELNS1_3gpuE0ELNS1_3repE0EEENS1_30default_config_static_selectorELNS0_4arch9wavefront6targetE0EEEvSZ_.has_indirect_call, 0
	.section	.AMDGPU.csdata,"",@progbits
; Kernel info:
; codeLenInByte = 0
; TotalNumSgprs: 0
; NumVgprs: 0
; ScratchSize: 0
; MemoryBound: 0
; FloatMode: 240
; IeeeMode: 1
; LDSByteSize: 0 bytes/workgroup (compile time only)
; SGPRBlocks: 0
; VGPRBlocks: 0
; NumSGPRsForWavesPerEU: 1
; NumVGPRsForWavesPerEU: 1
; Occupancy: 16
; WaveLimiterHint : 0
; COMPUTE_PGM_RSRC2:SCRATCH_EN: 0
; COMPUTE_PGM_RSRC2:USER_SGPR: 6
; COMPUTE_PGM_RSRC2:TRAP_HANDLER: 0
; COMPUTE_PGM_RSRC2:TGID_X_EN: 1
; COMPUTE_PGM_RSRC2:TGID_Y_EN: 0
; COMPUTE_PGM_RSRC2:TGID_Z_EN: 0
; COMPUTE_PGM_RSRC2:TIDIG_COMP_CNT: 0
	.section	.text._ZN7rocprim17ROCPRIM_400000_NS6detail17trampoline_kernelINS0_13select_configILj256ELj13ELNS0_17block_load_methodE3ELS4_3ELS4_3ELNS0_20block_scan_algorithmE0ELj4294967295EEENS1_25partition_config_selectorILNS1_17partition_subalgoE3EjNS0_10empty_typeEbEEZZNS1_14partition_implILS8_3ELb0ES6_jNS0_17counting_iteratorIjlEEPS9_SE_NS0_5tupleIJPjSE_EEENSF_IJSE_SE_EEES9_SG_JZNS1_25segmented_radix_sort_implINS0_14default_configELb0EPK12hip_bfloat16PSL_PKlPlN2at6native12_GLOBAL__N_18offset_tEEE10hipError_tPvRmT1_PNSt15iterator_traitsISZ_E10value_typeET2_T3_PNS10_IS15_E10value_typeET4_jRbjT5_S1B_jjP12ihipStream_tbEUljE_EEESW_SX_SY_S15_S19_S1B_T6_T7_T9_mT8_S1D_bDpT10_ENKUlT_T0_E_clISt17integral_constantIbLb1EES1P_IbLb0EEEEDaS1L_S1M_EUlS1L_E_NS1_11comp_targetILNS1_3genE5ELNS1_11target_archE942ELNS1_3gpuE9ELNS1_3repE0EEENS1_30default_config_static_selectorELNS0_4arch9wavefront6targetE0EEEvSZ_,"axG",@progbits,_ZN7rocprim17ROCPRIM_400000_NS6detail17trampoline_kernelINS0_13select_configILj256ELj13ELNS0_17block_load_methodE3ELS4_3ELS4_3ELNS0_20block_scan_algorithmE0ELj4294967295EEENS1_25partition_config_selectorILNS1_17partition_subalgoE3EjNS0_10empty_typeEbEEZZNS1_14partition_implILS8_3ELb0ES6_jNS0_17counting_iteratorIjlEEPS9_SE_NS0_5tupleIJPjSE_EEENSF_IJSE_SE_EEES9_SG_JZNS1_25segmented_radix_sort_implINS0_14default_configELb0EPK12hip_bfloat16PSL_PKlPlN2at6native12_GLOBAL__N_18offset_tEEE10hipError_tPvRmT1_PNSt15iterator_traitsISZ_E10value_typeET2_T3_PNS10_IS15_E10value_typeET4_jRbjT5_S1B_jjP12ihipStream_tbEUljE_EEESW_SX_SY_S15_S19_S1B_T6_T7_T9_mT8_S1D_bDpT10_ENKUlT_T0_E_clISt17integral_constantIbLb1EES1P_IbLb0EEEEDaS1L_S1M_EUlS1L_E_NS1_11comp_targetILNS1_3genE5ELNS1_11target_archE942ELNS1_3gpuE9ELNS1_3repE0EEENS1_30default_config_static_selectorELNS0_4arch9wavefront6targetE0EEEvSZ_,comdat
	.globl	_ZN7rocprim17ROCPRIM_400000_NS6detail17trampoline_kernelINS0_13select_configILj256ELj13ELNS0_17block_load_methodE3ELS4_3ELS4_3ELNS0_20block_scan_algorithmE0ELj4294967295EEENS1_25partition_config_selectorILNS1_17partition_subalgoE3EjNS0_10empty_typeEbEEZZNS1_14partition_implILS8_3ELb0ES6_jNS0_17counting_iteratorIjlEEPS9_SE_NS0_5tupleIJPjSE_EEENSF_IJSE_SE_EEES9_SG_JZNS1_25segmented_radix_sort_implINS0_14default_configELb0EPK12hip_bfloat16PSL_PKlPlN2at6native12_GLOBAL__N_18offset_tEEE10hipError_tPvRmT1_PNSt15iterator_traitsISZ_E10value_typeET2_T3_PNS10_IS15_E10value_typeET4_jRbjT5_S1B_jjP12ihipStream_tbEUljE_EEESW_SX_SY_S15_S19_S1B_T6_T7_T9_mT8_S1D_bDpT10_ENKUlT_T0_E_clISt17integral_constantIbLb1EES1P_IbLb0EEEEDaS1L_S1M_EUlS1L_E_NS1_11comp_targetILNS1_3genE5ELNS1_11target_archE942ELNS1_3gpuE9ELNS1_3repE0EEENS1_30default_config_static_selectorELNS0_4arch9wavefront6targetE0EEEvSZ_ ; -- Begin function _ZN7rocprim17ROCPRIM_400000_NS6detail17trampoline_kernelINS0_13select_configILj256ELj13ELNS0_17block_load_methodE3ELS4_3ELS4_3ELNS0_20block_scan_algorithmE0ELj4294967295EEENS1_25partition_config_selectorILNS1_17partition_subalgoE3EjNS0_10empty_typeEbEEZZNS1_14partition_implILS8_3ELb0ES6_jNS0_17counting_iteratorIjlEEPS9_SE_NS0_5tupleIJPjSE_EEENSF_IJSE_SE_EEES9_SG_JZNS1_25segmented_radix_sort_implINS0_14default_configELb0EPK12hip_bfloat16PSL_PKlPlN2at6native12_GLOBAL__N_18offset_tEEE10hipError_tPvRmT1_PNSt15iterator_traitsISZ_E10value_typeET2_T3_PNS10_IS15_E10value_typeET4_jRbjT5_S1B_jjP12ihipStream_tbEUljE_EEESW_SX_SY_S15_S19_S1B_T6_T7_T9_mT8_S1D_bDpT10_ENKUlT_T0_E_clISt17integral_constantIbLb1EES1P_IbLb0EEEEDaS1L_S1M_EUlS1L_E_NS1_11comp_targetILNS1_3genE5ELNS1_11target_archE942ELNS1_3gpuE9ELNS1_3repE0EEENS1_30default_config_static_selectorELNS0_4arch9wavefront6targetE0EEEvSZ_
	.p2align	8
	.type	_ZN7rocprim17ROCPRIM_400000_NS6detail17trampoline_kernelINS0_13select_configILj256ELj13ELNS0_17block_load_methodE3ELS4_3ELS4_3ELNS0_20block_scan_algorithmE0ELj4294967295EEENS1_25partition_config_selectorILNS1_17partition_subalgoE3EjNS0_10empty_typeEbEEZZNS1_14partition_implILS8_3ELb0ES6_jNS0_17counting_iteratorIjlEEPS9_SE_NS0_5tupleIJPjSE_EEENSF_IJSE_SE_EEES9_SG_JZNS1_25segmented_radix_sort_implINS0_14default_configELb0EPK12hip_bfloat16PSL_PKlPlN2at6native12_GLOBAL__N_18offset_tEEE10hipError_tPvRmT1_PNSt15iterator_traitsISZ_E10value_typeET2_T3_PNS10_IS15_E10value_typeET4_jRbjT5_S1B_jjP12ihipStream_tbEUljE_EEESW_SX_SY_S15_S19_S1B_T6_T7_T9_mT8_S1D_bDpT10_ENKUlT_T0_E_clISt17integral_constantIbLb1EES1P_IbLb0EEEEDaS1L_S1M_EUlS1L_E_NS1_11comp_targetILNS1_3genE5ELNS1_11target_archE942ELNS1_3gpuE9ELNS1_3repE0EEENS1_30default_config_static_selectorELNS0_4arch9wavefront6targetE0EEEvSZ_,@function
_ZN7rocprim17ROCPRIM_400000_NS6detail17trampoline_kernelINS0_13select_configILj256ELj13ELNS0_17block_load_methodE3ELS4_3ELS4_3ELNS0_20block_scan_algorithmE0ELj4294967295EEENS1_25partition_config_selectorILNS1_17partition_subalgoE3EjNS0_10empty_typeEbEEZZNS1_14partition_implILS8_3ELb0ES6_jNS0_17counting_iteratorIjlEEPS9_SE_NS0_5tupleIJPjSE_EEENSF_IJSE_SE_EEES9_SG_JZNS1_25segmented_radix_sort_implINS0_14default_configELb0EPK12hip_bfloat16PSL_PKlPlN2at6native12_GLOBAL__N_18offset_tEEE10hipError_tPvRmT1_PNSt15iterator_traitsISZ_E10value_typeET2_T3_PNS10_IS15_E10value_typeET4_jRbjT5_S1B_jjP12ihipStream_tbEUljE_EEESW_SX_SY_S15_S19_S1B_T6_T7_T9_mT8_S1D_bDpT10_ENKUlT_T0_E_clISt17integral_constantIbLb1EES1P_IbLb0EEEEDaS1L_S1M_EUlS1L_E_NS1_11comp_targetILNS1_3genE5ELNS1_11target_archE942ELNS1_3gpuE9ELNS1_3repE0EEENS1_30default_config_static_selectorELNS0_4arch9wavefront6targetE0EEEvSZ_: ; @_ZN7rocprim17ROCPRIM_400000_NS6detail17trampoline_kernelINS0_13select_configILj256ELj13ELNS0_17block_load_methodE3ELS4_3ELS4_3ELNS0_20block_scan_algorithmE0ELj4294967295EEENS1_25partition_config_selectorILNS1_17partition_subalgoE3EjNS0_10empty_typeEbEEZZNS1_14partition_implILS8_3ELb0ES6_jNS0_17counting_iteratorIjlEEPS9_SE_NS0_5tupleIJPjSE_EEENSF_IJSE_SE_EEES9_SG_JZNS1_25segmented_radix_sort_implINS0_14default_configELb0EPK12hip_bfloat16PSL_PKlPlN2at6native12_GLOBAL__N_18offset_tEEE10hipError_tPvRmT1_PNSt15iterator_traitsISZ_E10value_typeET2_T3_PNS10_IS15_E10value_typeET4_jRbjT5_S1B_jjP12ihipStream_tbEUljE_EEESW_SX_SY_S15_S19_S1B_T6_T7_T9_mT8_S1D_bDpT10_ENKUlT_T0_E_clISt17integral_constantIbLb1EES1P_IbLb0EEEEDaS1L_S1M_EUlS1L_E_NS1_11comp_targetILNS1_3genE5ELNS1_11target_archE942ELNS1_3gpuE9ELNS1_3repE0EEENS1_30default_config_static_selectorELNS0_4arch9wavefront6targetE0EEEvSZ_
; %bb.0:
	.section	.rodata,"a",@progbits
	.p2align	6, 0x0
	.amdhsa_kernel _ZN7rocprim17ROCPRIM_400000_NS6detail17trampoline_kernelINS0_13select_configILj256ELj13ELNS0_17block_load_methodE3ELS4_3ELS4_3ELNS0_20block_scan_algorithmE0ELj4294967295EEENS1_25partition_config_selectorILNS1_17partition_subalgoE3EjNS0_10empty_typeEbEEZZNS1_14partition_implILS8_3ELb0ES6_jNS0_17counting_iteratorIjlEEPS9_SE_NS0_5tupleIJPjSE_EEENSF_IJSE_SE_EEES9_SG_JZNS1_25segmented_radix_sort_implINS0_14default_configELb0EPK12hip_bfloat16PSL_PKlPlN2at6native12_GLOBAL__N_18offset_tEEE10hipError_tPvRmT1_PNSt15iterator_traitsISZ_E10value_typeET2_T3_PNS10_IS15_E10value_typeET4_jRbjT5_S1B_jjP12ihipStream_tbEUljE_EEESW_SX_SY_S15_S19_S1B_T6_T7_T9_mT8_S1D_bDpT10_ENKUlT_T0_E_clISt17integral_constantIbLb1EES1P_IbLb0EEEEDaS1L_S1M_EUlS1L_E_NS1_11comp_targetILNS1_3genE5ELNS1_11target_archE942ELNS1_3gpuE9ELNS1_3repE0EEENS1_30default_config_static_selectorELNS0_4arch9wavefront6targetE0EEEvSZ_
		.amdhsa_group_segment_fixed_size 0
		.amdhsa_private_segment_fixed_size 0
		.amdhsa_kernarg_size 144
		.amdhsa_user_sgpr_count 6
		.amdhsa_user_sgpr_private_segment_buffer 1
		.amdhsa_user_sgpr_dispatch_ptr 0
		.amdhsa_user_sgpr_queue_ptr 0
		.amdhsa_user_sgpr_kernarg_segment_ptr 1
		.amdhsa_user_sgpr_dispatch_id 0
		.amdhsa_user_sgpr_flat_scratch_init 0
		.amdhsa_user_sgpr_private_segment_size 0
		.amdhsa_wavefront_size32 1
		.amdhsa_uses_dynamic_stack 0
		.amdhsa_system_sgpr_private_segment_wavefront_offset 0
		.amdhsa_system_sgpr_workgroup_id_x 1
		.amdhsa_system_sgpr_workgroup_id_y 0
		.amdhsa_system_sgpr_workgroup_id_z 0
		.amdhsa_system_sgpr_workgroup_info 0
		.amdhsa_system_vgpr_workitem_id 0
		.amdhsa_next_free_vgpr 1
		.amdhsa_next_free_sgpr 1
		.amdhsa_reserve_vcc 0
		.amdhsa_reserve_flat_scratch 0
		.amdhsa_float_round_mode_32 0
		.amdhsa_float_round_mode_16_64 0
		.amdhsa_float_denorm_mode_32 3
		.amdhsa_float_denorm_mode_16_64 3
		.amdhsa_dx10_clamp 1
		.amdhsa_ieee_mode 1
		.amdhsa_fp16_overflow 0
		.amdhsa_workgroup_processor_mode 1
		.amdhsa_memory_ordered 1
		.amdhsa_forward_progress 1
		.amdhsa_shared_vgpr_count 0
		.amdhsa_exception_fp_ieee_invalid_op 0
		.amdhsa_exception_fp_denorm_src 0
		.amdhsa_exception_fp_ieee_div_zero 0
		.amdhsa_exception_fp_ieee_overflow 0
		.amdhsa_exception_fp_ieee_underflow 0
		.amdhsa_exception_fp_ieee_inexact 0
		.amdhsa_exception_int_div_zero 0
	.end_amdhsa_kernel
	.section	.text._ZN7rocprim17ROCPRIM_400000_NS6detail17trampoline_kernelINS0_13select_configILj256ELj13ELNS0_17block_load_methodE3ELS4_3ELS4_3ELNS0_20block_scan_algorithmE0ELj4294967295EEENS1_25partition_config_selectorILNS1_17partition_subalgoE3EjNS0_10empty_typeEbEEZZNS1_14partition_implILS8_3ELb0ES6_jNS0_17counting_iteratorIjlEEPS9_SE_NS0_5tupleIJPjSE_EEENSF_IJSE_SE_EEES9_SG_JZNS1_25segmented_radix_sort_implINS0_14default_configELb0EPK12hip_bfloat16PSL_PKlPlN2at6native12_GLOBAL__N_18offset_tEEE10hipError_tPvRmT1_PNSt15iterator_traitsISZ_E10value_typeET2_T3_PNS10_IS15_E10value_typeET4_jRbjT5_S1B_jjP12ihipStream_tbEUljE_EEESW_SX_SY_S15_S19_S1B_T6_T7_T9_mT8_S1D_bDpT10_ENKUlT_T0_E_clISt17integral_constantIbLb1EES1P_IbLb0EEEEDaS1L_S1M_EUlS1L_E_NS1_11comp_targetILNS1_3genE5ELNS1_11target_archE942ELNS1_3gpuE9ELNS1_3repE0EEENS1_30default_config_static_selectorELNS0_4arch9wavefront6targetE0EEEvSZ_,"axG",@progbits,_ZN7rocprim17ROCPRIM_400000_NS6detail17trampoline_kernelINS0_13select_configILj256ELj13ELNS0_17block_load_methodE3ELS4_3ELS4_3ELNS0_20block_scan_algorithmE0ELj4294967295EEENS1_25partition_config_selectorILNS1_17partition_subalgoE3EjNS0_10empty_typeEbEEZZNS1_14partition_implILS8_3ELb0ES6_jNS0_17counting_iteratorIjlEEPS9_SE_NS0_5tupleIJPjSE_EEENSF_IJSE_SE_EEES9_SG_JZNS1_25segmented_radix_sort_implINS0_14default_configELb0EPK12hip_bfloat16PSL_PKlPlN2at6native12_GLOBAL__N_18offset_tEEE10hipError_tPvRmT1_PNSt15iterator_traitsISZ_E10value_typeET2_T3_PNS10_IS15_E10value_typeET4_jRbjT5_S1B_jjP12ihipStream_tbEUljE_EEESW_SX_SY_S15_S19_S1B_T6_T7_T9_mT8_S1D_bDpT10_ENKUlT_T0_E_clISt17integral_constantIbLb1EES1P_IbLb0EEEEDaS1L_S1M_EUlS1L_E_NS1_11comp_targetILNS1_3genE5ELNS1_11target_archE942ELNS1_3gpuE9ELNS1_3repE0EEENS1_30default_config_static_selectorELNS0_4arch9wavefront6targetE0EEEvSZ_,comdat
.Lfunc_end2024:
	.size	_ZN7rocprim17ROCPRIM_400000_NS6detail17trampoline_kernelINS0_13select_configILj256ELj13ELNS0_17block_load_methodE3ELS4_3ELS4_3ELNS0_20block_scan_algorithmE0ELj4294967295EEENS1_25partition_config_selectorILNS1_17partition_subalgoE3EjNS0_10empty_typeEbEEZZNS1_14partition_implILS8_3ELb0ES6_jNS0_17counting_iteratorIjlEEPS9_SE_NS0_5tupleIJPjSE_EEENSF_IJSE_SE_EEES9_SG_JZNS1_25segmented_radix_sort_implINS0_14default_configELb0EPK12hip_bfloat16PSL_PKlPlN2at6native12_GLOBAL__N_18offset_tEEE10hipError_tPvRmT1_PNSt15iterator_traitsISZ_E10value_typeET2_T3_PNS10_IS15_E10value_typeET4_jRbjT5_S1B_jjP12ihipStream_tbEUljE_EEESW_SX_SY_S15_S19_S1B_T6_T7_T9_mT8_S1D_bDpT10_ENKUlT_T0_E_clISt17integral_constantIbLb1EES1P_IbLb0EEEEDaS1L_S1M_EUlS1L_E_NS1_11comp_targetILNS1_3genE5ELNS1_11target_archE942ELNS1_3gpuE9ELNS1_3repE0EEENS1_30default_config_static_selectorELNS0_4arch9wavefront6targetE0EEEvSZ_, .Lfunc_end2024-_ZN7rocprim17ROCPRIM_400000_NS6detail17trampoline_kernelINS0_13select_configILj256ELj13ELNS0_17block_load_methodE3ELS4_3ELS4_3ELNS0_20block_scan_algorithmE0ELj4294967295EEENS1_25partition_config_selectorILNS1_17partition_subalgoE3EjNS0_10empty_typeEbEEZZNS1_14partition_implILS8_3ELb0ES6_jNS0_17counting_iteratorIjlEEPS9_SE_NS0_5tupleIJPjSE_EEENSF_IJSE_SE_EEES9_SG_JZNS1_25segmented_radix_sort_implINS0_14default_configELb0EPK12hip_bfloat16PSL_PKlPlN2at6native12_GLOBAL__N_18offset_tEEE10hipError_tPvRmT1_PNSt15iterator_traitsISZ_E10value_typeET2_T3_PNS10_IS15_E10value_typeET4_jRbjT5_S1B_jjP12ihipStream_tbEUljE_EEESW_SX_SY_S15_S19_S1B_T6_T7_T9_mT8_S1D_bDpT10_ENKUlT_T0_E_clISt17integral_constantIbLb1EES1P_IbLb0EEEEDaS1L_S1M_EUlS1L_E_NS1_11comp_targetILNS1_3genE5ELNS1_11target_archE942ELNS1_3gpuE9ELNS1_3repE0EEENS1_30default_config_static_selectorELNS0_4arch9wavefront6targetE0EEEvSZ_
                                        ; -- End function
	.set _ZN7rocprim17ROCPRIM_400000_NS6detail17trampoline_kernelINS0_13select_configILj256ELj13ELNS0_17block_load_methodE3ELS4_3ELS4_3ELNS0_20block_scan_algorithmE0ELj4294967295EEENS1_25partition_config_selectorILNS1_17partition_subalgoE3EjNS0_10empty_typeEbEEZZNS1_14partition_implILS8_3ELb0ES6_jNS0_17counting_iteratorIjlEEPS9_SE_NS0_5tupleIJPjSE_EEENSF_IJSE_SE_EEES9_SG_JZNS1_25segmented_radix_sort_implINS0_14default_configELb0EPK12hip_bfloat16PSL_PKlPlN2at6native12_GLOBAL__N_18offset_tEEE10hipError_tPvRmT1_PNSt15iterator_traitsISZ_E10value_typeET2_T3_PNS10_IS15_E10value_typeET4_jRbjT5_S1B_jjP12ihipStream_tbEUljE_EEESW_SX_SY_S15_S19_S1B_T6_T7_T9_mT8_S1D_bDpT10_ENKUlT_T0_E_clISt17integral_constantIbLb1EES1P_IbLb0EEEEDaS1L_S1M_EUlS1L_E_NS1_11comp_targetILNS1_3genE5ELNS1_11target_archE942ELNS1_3gpuE9ELNS1_3repE0EEENS1_30default_config_static_selectorELNS0_4arch9wavefront6targetE0EEEvSZ_.num_vgpr, 0
	.set _ZN7rocprim17ROCPRIM_400000_NS6detail17trampoline_kernelINS0_13select_configILj256ELj13ELNS0_17block_load_methodE3ELS4_3ELS4_3ELNS0_20block_scan_algorithmE0ELj4294967295EEENS1_25partition_config_selectorILNS1_17partition_subalgoE3EjNS0_10empty_typeEbEEZZNS1_14partition_implILS8_3ELb0ES6_jNS0_17counting_iteratorIjlEEPS9_SE_NS0_5tupleIJPjSE_EEENSF_IJSE_SE_EEES9_SG_JZNS1_25segmented_radix_sort_implINS0_14default_configELb0EPK12hip_bfloat16PSL_PKlPlN2at6native12_GLOBAL__N_18offset_tEEE10hipError_tPvRmT1_PNSt15iterator_traitsISZ_E10value_typeET2_T3_PNS10_IS15_E10value_typeET4_jRbjT5_S1B_jjP12ihipStream_tbEUljE_EEESW_SX_SY_S15_S19_S1B_T6_T7_T9_mT8_S1D_bDpT10_ENKUlT_T0_E_clISt17integral_constantIbLb1EES1P_IbLb0EEEEDaS1L_S1M_EUlS1L_E_NS1_11comp_targetILNS1_3genE5ELNS1_11target_archE942ELNS1_3gpuE9ELNS1_3repE0EEENS1_30default_config_static_selectorELNS0_4arch9wavefront6targetE0EEEvSZ_.num_agpr, 0
	.set _ZN7rocprim17ROCPRIM_400000_NS6detail17trampoline_kernelINS0_13select_configILj256ELj13ELNS0_17block_load_methodE3ELS4_3ELS4_3ELNS0_20block_scan_algorithmE0ELj4294967295EEENS1_25partition_config_selectorILNS1_17partition_subalgoE3EjNS0_10empty_typeEbEEZZNS1_14partition_implILS8_3ELb0ES6_jNS0_17counting_iteratorIjlEEPS9_SE_NS0_5tupleIJPjSE_EEENSF_IJSE_SE_EEES9_SG_JZNS1_25segmented_radix_sort_implINS0_14default_configELb0EPK12hip_bfloat16PSL_PKlPlN2at6native12_GLOBAL__N_18offset_tEEE10hipError_tPvRmT1_PNSt15iterator_traitsISZ_E10value_typeET2_T3_PNS10_IS15_E10value_typeET4_jRbjT5_S1B_jjP12ihipStream_tbEUljE_EEESW_SX_SY_S15_S19_S1B_T6_T7_T9_mT8_S1D_bDpT10_ENKUlT_T0_E_clISt17integral_constantIbLb1EES1P_IbLb0EEEEDaS1L_S1M_EUlS1L_E_NS1_11comp_targetILNS1_3genE5ELNS1_11target_archE942ELNS1_3gpuE9ELNS1_3repE0EEENS1_30default_config_static_selectorELNS0_4arch9wavefront6targetE0EEEvSZ_.numbered_sgpr, 0
	.set _ZN7rocprim17ROCPRIM_400000_NS6detail17trampoline_kernelINS0_13select_configILj256ELj13ELNS0_17block_load_methodE3ELS4_3ELS4_3ELNS0_20block_scan_algorithmE0ELj4294967295EEENS1_25partition_config_selectorILNS1_17partition_subalgoE3EjNS0_10empty_typeEbEEZZNS1_14partition_implILS8_3ELb0ES6_jNS0_17counting_iteratorIjlEEPS9_SE_NS0_5tupleIJPjSE_EEENSF_IJSE_SE_EEES9_SG_JZNS1_25segmented_radix_sort_implINS0_14default_configELb0EPK12hip_bfloat16PSL_PKlPlN2at6native12_GLOBAL__N_18offset_tEEE10hipError_tPvRmT1_PNSt15iterator_traitsISZ_E10value_typeET2_T3_PNS10_IS15_E10value_typeET4_jRbjT5_S1B_jjP12ihipStream_tbEUljE_EEESW_SX_SY_S15_S19_S1B_T6_T7_T9_mT8_S1D_bDpT10_ENKUlT_T0_E_clISt17integral_constantIbLb1EES1P_IbLb0EEEEDaS1L_S1M_EUlS1L_E_NS1_11comp_targetILNS1_3genE5ELNS1_11target_archE942ELNS1_3gpuE9ELNS1_3repE0EEENS1_30default_config_static_selectorELNS0_4arch9wavefront6targetE0EEEvSZ_.num_named_barrier, 0
	.set _ZN7rocprim17ROCPRIM_400000_NS6detail17trampoline_kernelINS0_13select_configILj256ELj13ELNS0_17block_load_methodE3ELS4_3ELS4_3ELNS0_20block_scan_algorithmE0ELj4294967295EEENS1_25partition_config_selectorILNS1_17partition_subalgoE3EjNS0_10empty_typeEbEEZZNS1_14partition_implILS8_3ELb0ES6_jNS0_17counting_iteratorIjlEEPS9_SE_NS0_5tupleIJPjSE_EEENSF_IJSE_SE_EEES9_SG_JZNS1_25segmented_radix_sort_implINS0_14default_configELb0EPK12hip_bfloat16PSL_PKlPlN2at6native12_GLOBAL__N_18offset_tEEE10hipError_tPvRmT1_PNSt15iterator_traitsISZ_E10value_typeET2_T3_PNS10_IS15_E10value_typeET4_jRbjT5_S1B_jjP12ihipStream_tbEUljE_EEESW_SX_SY_S15_S19_S1B_T6_T7_T9_mT8_S1D_bDpT10_ENKUlT_T0_E_clISt17integral_constantIbLb1EES1P_IbLb0EEEEDaS1L_S1M_EUlS1L_E_NS1_11comp_targetILNS1_3genE5ELNS1_11target_archE942ELNS1_3gpuE9ELNS1_3repE0EEENS1_30default_config_static_selectorELNS0_4arch9wavefront6targetE0EEEvSZ_.private_seg_size, 0
	.set _ZN7rocprim17ROCPRIM_400000_NS6detail17trampoline_kernelINS0_13select_configILj256ELj13ELNS0_17block_load_methodE3ELS4_3ELS4_3ELNS0_20block_scan_algorithmE0ELj4294967295EEENS1_25partition_config_selectorILNS1_17partition_subalgoE3EjNS0_10empty_typeEbEEZZNS1_14partition_implILS8_3ELb0ES6_jNS0_17counting_iteratorIjlEEPS9_SE_NS0_5tupleIJPjSE_EEENSF_IJSE_SE_EEES9_SG_JZNS1_25segmented_radix_sort_implINS0_14default_configELb0EPK12hip_bfloat16PSL_PKlPlN2at6native12_GLOBAL__N_18offset_tEEE10hipError_tPvRmT1_PNSt15iterator_traitsISZ_E10value_typeET2_T3_PNS10_IS15_E10value_typeET4_jRbjT5_S1B_jjP12ihipStream_tbEUljE_EEESW_SX_SY_S15_S19_S1B_T6_T7_T9_mT8_S1D_bDpT10_ENKUlT_T0_E_clISt17integral_constantIbLb1EES1P_IbLb0EEEEDaS1L_S1M_EUlS1L_E_NS1_11comp_targetILNS1_3genE5ELNS1_11target_archE942ELNS1_3gpuE9ELNS1_3repE0EEENS1_30default_config_static_selectorELNS0_4arch9wavefront6targetE0EEEvSZ_.uses_vcc, 0
	.set _ZN7rocprim17ROCPRIM_400000_NS6detail17trampoline_kernelINS0_13select_configILj256ELj13ELNS0_17block_load_methodE3ELS4_3ELS4_3ELNS0_20block_scan_algorithmE0ELj4294967295EEENS1_25partition_config_selectorILNS1_17partition_subalgoE3EjNS0_10empty_typeEbEEZZNS1_14partition_implILS8_3ELb0ES6_jNS0_17counting_iteratorIjlEEPS9_SE_NS0_5tupleIJPjSE_EEENSF_IJSE_SE_EEES9_SG_JZNS1_25segmented_radix_sort_implINS0_14default_configELb0EPK12hip_bfloat16PSL_PKlPlN2at6native12_GLOBAL__N_18offset_tEEE10hipError_tPvRmT1_PNSt15iterator_traitsISZ_E10value_typeET2_T3_PNS10_IS15_E10value_typeET4_jRbjT5_S1B_jjP12ihipStream_tbEUljE_EEESW_SX_SY_S15_S19_S1B_T6_T7_T9_mT8_S1D_bDpT10_ENKUlT_T0_E_clISt17integral_constantIbLb1EES1P_IbLb0EEEEDaS1L_S1M_EUlS1L_E_NS1_11comp_targetILNS1_3genE5ELNS1_11target_archE942ELNS1_3gpuE9ELNS1_3repE0EEENS1_30default_config_static_selectorELNS0_4arch9wavefront6targetE0EEEvSZ_.uses_flat_scratch, 0
	.set _ZN7rocprim17ROCPRIM_400000_NS6detail17trampoline_kernelINS0_13select_configILj256ELj13ELNS0_17block_load_methodE3ELS4_3ELS4_3ELNS0_20block_scan_algorithmE0ELj4294967295EEENS1_25partition_config_selectorILNS1_17partition_subalgoE3EjNS0_10empty_typeEbEEZZNS1_14partition_implILS8_3ELb0ES6_jNS0_17counting_iteratorIjlEEPS9_SE_NS0_5tupleIJPjSE_EEENSF_IJSE_SE_EEES9_SG_JZNS1_25segmented_radix_sort_implINS0_14default_configELb0EPK12hip_bfloat16PSL_PKlPlN2at6native12_GLOBAL__N_18offset_tEEE10hipError_tPvRmT1_PNSt15iterator_traitsISZ_E10value_typeET2_T3_PNS10_IS15_E10value_typeET4_jRbjT5_S1B_jjP12ihipStream_tbEUljE_EEESW_SX_SY_S15_S19_S1B_T6_T7_T9_mT8_S1D_bDpT10_ENKUlT_T0_E_clISt17integral_constantIbLb1EES1P_IbLb0EEEEDaS1L_S1M_EUlS1L_E_NS1_11comp_targetILNS1_3genE5ELNS1_11target_archE942ELNS1_3gpuE9ELNS1_3repE0EEENS1_30default_config_static_selectorELNS0_4arch9wavefront6targetE0EEEvSZ_.has_dyn_sized_stack, 0
	.set _ZN7rocprim17ROCPRIM_400000_NS6detail17trampoline_kernelINS0_13select_configILj256ELj13ELNS0_17block_load_methodE3ELS4_3ELS4_3ELNS0_20block_scan_algorithmE0ELj4294967295EEENS1_25partition_config_selectorILNS1_17partition_subalgoE3EjNS0_10empty_typeEbEEZZNS1_14partition_implILS8_3ELb0ES6_jNS0_17counting_iteratorIjlEEPS9_SE_NS0_5tupleIJPjSE_EEENSF_IJSE_SE_EEES9_SG_JZNS1_25segmented_radix_sort_implINS0_14default_configELb0EPK12hip_bfloat16PSL_PKlPlN2at6native12_GLOBAL__N_18offset_tEEE10hipError_tPvRmT1_PNSt15iterator_traitsISZ_E10value_typeET2_T3_PNS10_IS15_E10value_typeET4_jRbjT5_S1B_jjP12ihipStream_tbEUljE_EEESW_SX_SY_S15_S19_S1B_T6_T7_T9_mT8_S1D_bDpT10_ENKUlT_T0_E_clISt17integral_constantIbLb1EES1P_IbLb0EEEEDaS1L_S1M_EUlS1L_E_NS1_11comp_targetILNS1_3genE5ELNS1_11target_archE942ELNS1_3gpuE9ELNS1_3repE0EEENS1_30default_config_static_selectorELNS0_4arch9wavefront6targetE0EEEvSZ_.has_recursion, 0
	.set _ZN7rocprim17ROCPRIM_400000_NS6detail17trampoline_kernelINS0_13select_configILj256ELj13ELNS0_17block_load_methodE3ELS4_3ELS4_3ELNS0_20block_scan_algorithmE0ELj4294967295EEENS1_25partition_config_selectorILNS1_17partition_subalgoE3EjNS0_10empty_typeEbEEZZNS1_14partition_implILS8_3ELb0ES6_jNS0_17counting_iteratorIjlEEPS9_SE_NS0_5tupleIJPjSE_EEENSF_IJSE_SE_EEES9_SG_JZNS1_25segmented_radix_sort_implINS0_14default_configELb0EPK12hip_bfloat16PSL_PKlPlN2at6native12_GLOBAL__N_18offset_tEEE10hipError_tPvRmT1_PNSt15iterator_traitsISZ_E10value_typeET2_T3_PNS10_IS15_E10value_typeET4_jRbjT5_S1B_jjP12ihipStream_tbEUljE_EEESW_SX_SY_S15_S19_S1B_T6_T7_T9_mT8_S1D_bDpT10_ENKUlT_T0_E_clISt17integral_constantIbLb1EES1P_IbLb0EEEEDaS1L_S1M_EUlS1L_E_NS1_11comp_targetILNS1_3genE5ELNS1_11target_archE942ELNS1_3gpuE9ELNS1_3repE0EEENS1_30default_config_static_selectorELNS0_4arch9wavefront6targetE0EEEvSZ_.has_indirect_call, 0
	.section	.AMDGPU.csdata,"",@progbits
; Kernel info:
; codeLenInByte = 0
; TotalNumSgprs: 0
; NumVgprs: 0
; ScratchSize: 0
; MemoryBound: 0
; FloatMode: 240
; IeeeMode: 1
; LDSByteSize: 0 bytes/workgroup (compile time only)
; SGPRBlocks: 0
; VGPRBlocks: 0
; NumSGPRsForWavesPerEU: 1
; NumVGPRsForWavesPerEU: 1
; Occupancy: 16
; WaveLimiterHint : 0
; COMPUTE_PGM_RSRC2:SCRATCH_EN: 0
; COMPUTE_PGM_RSRC2:USER_SGPR: 6
; COMPUTE_PGM_RSRC2:TRAP_HANDLER: 0
; COMPUTE_PGM_RSRC2:TGID_X_EN: 1
; COMPUTE_PGM_RSRC2:TGID_Y_EN: 0
; COMPUTE_PGM_RSRC2:TGID_Z_EN: 0
; COMPUTE_PGM_RSRC2:TIDIG_COMP_CNT: 0
	.section	.text._ZN7rocprim17ROCPRIM_400000_NS6detail17trampoline_kernelINS0_13select_configILj256ELj13ELNS0_17block_load_methodE3ELS4_3ELS4_3ELNS0_20block_scan_algorithmE0ELj4294967295EEENS1_25partition_config_selectorILNS1_17partition_subalgoE3EjNS0_10empty_typeEbEEZZNS1_14partition_implILS8_3ELb0ES6_jNS0_17counting_iteratorIjlEEPS9_SE_NS0_5tupleIJPjSE_EEENSF_IJSE_SE_EEES9_SG_JZNS1_25segmented_radix_sort_implINS0_14default_configELb0EPK12hip_bfloat16PSL_PKlPlN2at6native12_GLOBAL__N_18offset_tEEE10hipError_tPvRmT1_PNSt15iterator_traitsISZ_E10value_typeET2_T3_PNS10_IS15_E10value_typeET4_jRbjT5_S1B_jjP12ihipStream_tbEUljE_EEESW_SX_SY_S15_S19_S1B_T6_T7_T9_mT8_S1D_bDpT10_ENKUlT_T0_E_clISt17integral_constantIbLb1EES1P_IbLb0EEEEDaS1L_S1M_EUlS1L_E_NS1_11comp_targetILNS1_3genE4ELNS1_11target_archE910ELNS1_3gpuE8ELNS1_3repE0EEENS1_30default_config_static_selectorELNS0_4arch9wavefront6targetE0EEEvSZ_,"axG",@progbits,_ZN7rocprim17ROCPRIM_400000_NS6detail17trampoline_kernelINS0_13select_configILj256ELj13ELNS0_17block_load_methodE3ELS4_3ELS4_3ELNS0_20block_scan_algorithmE0ELj4294967295EEENS1_25partition_config_selectorILNS1_17partition_subalgoE3EjNS0_10empty_typeEbEEZZNS1_14partition_implILS8_3ELb0ES6_jNS0_17counting_iteratorIjlEEPS9_SE_NS0_5tupleIJPjSE_EEENSF_IJSE_SE_EEES9_SG_JZNS1_25segmented_radix_sort_implINS0_14default_configELb0EPK12hip_bfloat16PSL_PKlPlN2at6native12_GLOBAL__N_18offset_tEEE10hipError_tPvRmT1_PNSt15iterator_traitsISZ_E10value_typeET2_T3_PNS10_IS15_E10value_typeET4_jRbjT5_S1B_jjP12ihipStream_tbEUljE_EEESW_SX_SY_S15_S19_S1B_T6_T7_T9_mT8_S1D_bDpT10_ENKUlT_T0_E_clISt17integral_constantIbLb1EES1P_IbLb0EEEEDaS1L_S1M_EUlS1L_E_NS1_11comp_targetILNS1_3genE4ELNS1_11target_archE910ELNS1_3gpuE8ELNS1_3repE0EEENS1_30default_config_static_selectorELNS0_4arch9wavefront6targetE0EEEvSZ_,comdat
	.globl	_ZN7rocprim17ROCPRIM_400000_NS6detail17trampoline_kernelINS0_13select_configILj256ELj13ELNS0_17block_load_methodE3ELS4_3ELS4_3ELNS0_20block_scan_algorithmE0ELj4294967295EEENS1_25partition_config_selectorILNS1_17partition_subalgoE3EjNS0_10empty_typeEbEEZZNS1_14partition_implILS8_3ELb0ES6_jNS0_17counting_iteratorIjlEEPS9_SE_NS0_5tupleIJPjSE_EEENSF_IJSE_SE_EEES9_SG_JZNS1_25segmented_radix_sort_implINS0_14default_configELb0EPK12hip_bfloat16PSL_PKlPlN2at6native12_GLOBAL__N_18offset_tEEE10hipError_tPvRmT1_PNSt15iterator_traitsISZ_E10value_typeET2_T3_PNS10_IS15_E10value_typeET4_jRbjT5_S1B_jjP12ihipStream_tbEUljE_EEESW_SX_SY_S15_S19_S1B_T6_T7_T9_mT8_S1D_bDpT10_ENKUlT_T0_E_clISt17integral_constantIbLb1EES1P_IbLb0EEEEDaS1L_S1M_EUlS1L_E_NS1_11comp_targetILNS1_3genE4ELNS1_11target_archE910ELNS1_3gpuE8ELNS1_3repE0EEENS1_30default_config_static_selectorELNS0_4arch9wavefront6targetE0EEEvSZ_ ; -- Begin function _ZN7rocprim17ROCPRIM_400000_NS6detail17trampoline_kernelINS0_13select_configILj256ELj13ELNS0_17block_load_methodE3ELS4_3ELS4_3ELNS0_20block_scan_algorithmE0ELj4294967295EEENS1_25partition_config_selectorILNS1_17partition_subalgoE3EjNS0_10empty_typeEbEEZZNS1_14partition_implILS8_3ELb0ES6_jNS0_17counting_iteratorIjlEEPS9_SE_NS0_5tupleIJPjSE_EEENSF_IJSE_SE_EEES9_SG_JZNS1_25segmented_radix_sort_implINS0_14default_configELb0EPK12hip_bfloat16PSL_PKlPlN2at6native12_GLOBAL__N_18offset_tEEE10hipError_tPvRmT1_PNSt15iterator_traitsISZ_E10value_typeET2_T3_PNS10_IS15_E10value_typeET4_jRbjT5_S1B_jjP12ihipStream_tbEUljE_EEESW_SX_SY_S15_S19_S1B_T6_T7_T9_mT8_S1D_bDpT10_ENKUlT_T0_E_clISt17integral_constantIbLb1EES1P_IbLb0EEEEDaS1L_S1M_EUlS1L_E_NS1_11comp_targetILNS1_3genE4ELNS1_11target_archE910ELNS1_3gpuE8ELNS1_3repE0EEENS1_30default_config_static_selectorELNS0_4arch9wavefront6targetE0EEEvSZ_
	.p2align	8
	.type	_ZN7rocprim17ROCPRIM_400000_NS6detail17trampoline_kernelINS0_13select_configILj256ELj13ELNS0_17block_load_methodE3ELS4_3ELS4_3ELNS0_20block_scan_algorithmE0ELj4294967295EEENS1_25partition_config_selectorILNS1_17partition_subalgoE3EjNS0_10empty_typeEbEEZZNS1_14partition_implILS8_3ELb0ES6_jNS0_17counting_iteratorIjlEEPS9_SE_NS0_5tupleIJPjSE_EEENSF_IJSE_SE_EEES9_SG_JZNS1_25segmented_radix_sort_implINS0_14default_configELb0EPK12hip_bfloat16PSL_PKlPlN2at6native12_GLOBAL__N_18offset_tEEE10hipError_tPvRmT1_PNSt15iterator_traitsISZ_E10value_typeET2_T3_PNS10_IS15_E10value_typeET4_jRbjT5_S1B_jjP12ihipStream_tbEUljE_EEESW_SX_SY_S15_S19_S1B_T6_T7_T9_mT8_S1D_bDpT10_ENKUlT_T0_E_clISt17integral_constantIbLb1EES1P_IbLb0EEEEDaS1L_S1M_EUlS1L_E_NS1_11comp_targetILNS1_3genE4ELNS1_11target_archE910ELNS1_3gpuE8ELNS1_3repE0EEENS1_30default_config_static_selectorELNS0_4arch9wavefront6targetE0EEEvSZ_,@function
_ZN7rocprim17ROCPRIM_400000_NS6detail17trampoline_kernelINS0_13select_configILj256ELj13ELNS0_17block_load_methodE3ELS4_3ELS4_3ELNS0_20block_scan_algorithmE0ELj4294967295EEENS1_25partition_config_selectorILNS1_17partition_subalgoE3EjNS0_10empty_typeEbEEZZNS1_14partition_implILS8_3ELb0ES6_jNS0_17counting_iteratorIjlEEPS9_SE_NS0_5tupleIJPjSE_EEENSF_IJSE_SE_EEES9_SG_JZNS1_25segmented_radix_sort_implINS0_14default_configELb0EPK12hip_bfloat16PSL_PKlPlN2at6native12_GLOBAL__N_18offset_tEEE10hipError_tPvRmT1_PNSt15iterator_traitsISZ_E10value_typeET2_T3_PNS10_IS15_E10value_typeET4_jRbjT5_S1B_jjP12ihipStream_tbEUljE_EEESW_SX_SY_S15_S19_S1B_T6_T7_T9_mT8_S1D_bDpT10_ENKUlT_T0_E_clISt17integral_constantIbLb1EES1P_IbLb0EEEEDaS1L_S1M_EUlS1L_E_NS1_11comp_targetILNS1_3genE4ELNS1_11target_archE910ELNS1_3gpuE8ELNS1_3repE0EEENS1_30default_config_static_selectorELNS0_4arch9wavefront6targetE0EEEvSZ_: ; @_ZN7rocprim17ROCPRIM_400000_NS6detail17trampoline_kernelINS0_13select_configILj256ELj13ELNS0_17block_load_methodE3ELS4_3ELS4_3ELNS0_20block_scan_algorithmE0ELj4294967295EEENS1_25partition_config_selectorILNS1_17partition_subalgoE3EjNS0_10empty_typeEbEEZZNS1_14partition_implILS8_3ELb0ES6_jNS0_17counting_iteratorIjlEEPS9_SE_NS0_5tupleIJPjSE_EEENSF_IJSE_SE_EEES9_SG_JZNS1_25segmented_radix_sort_implINS0_14default_configELb0EPK12hip_bfloat16PSL_PKlPlN2at6native12_GLOBAL__N_18offset_tEEE10hipError_tPvRmT1_PNSt15iterator_traitsISZ_E10value_typeET2_T3_PNS10_IS15_E10value_typeET4_jRbjT5_S1B_jjP12ihipStream_tbEUljE_EEESW_SX_SY_S15_S19_S1B_T6_T7_T9_mT8_S1D_bDpT10_ENKUlT_T0_E_clISt17integral_constantIbLb1EES1P_IbLb0EEEEDaS1L_S1M_EUlS1L_E_NS1_11comp_targetILNS1_3genE4ELNS1_11target_archE910ELNS1_3gpuE8ELNS1_3repE0EEENS1_30default_config_static_selectorELNS0_4arch9wavefront6targetE0EEEvSZ_
; %bb.0:
	.section	.rodata,"a",@progbits
	.p2align	6, 0x0
	.amdhsa_kernel _ZN7rocprim17ROCPRIM_400000_NS6detail17trampoline_kernelINS0_13select_configILj256ELj13ELNS0_17block_load_methodE3ELS4_3ELS4_3ELNS0_20block_scan_algorithmE0ELj4294967295EEENS1_25partition_config_selectorILNS1_17partition_subalgoE3EjNS0_10empty_typeEbEEZZNS1_14partition_implILS8_3ELb0ES6_jNS0_17counting_iteratorIjlEEPS9_SE_NS0_5tupleIJPjSE_EEENSF_IJSE_SE_EEES9_SG_JZNS1_25segmented_radix_sort_implINS0_14default_configELb0EPK12hip_bfloat16PSL_PKlPlN2at6native12_GLOBAL__N_18offset_tEEE10hipError_tPvRmT1_PNSt15iterator_traitsISZ_E10value_typeET2_T3_PNS10_IS15_E10value_typeET4_jRbjT5_S1B_jjP12ihipStream_tbEUljE_EEESW_SX_SY_S15_S19_S1B_T6_T7_T9_mT8_S1D_bDpT10_ENKUlT_T0_E_clISt17integral_constantIbLb1EES1P_IbLb0EEEEDaS1L_S1M_EUlS1L_E_NS1_11comp_targetILNS1_3genE4ELNS1_11target_archE910ELNS1_3gpuE8ELNS1_3repE0EEENS1_30default_config_static_selectorELNS0_4arch9wavefront6targetE0EEEvSZ_
		.amdhsa_group_segment_fixed_size 0
		.amdhsa_private_segment_fixed_size 0
		.amdhsa_kernarg_size 144
		.amdhsa_user_sgpr_count 6
		.amdhsa_user_sgpr_private_segment_buffer 1
		.amdhsa_user_sgpr_dispatch_ptr 0
		.amdhsa_user_sgpr_queue_ptr 0
		.amdhsa_user_sgpr_kernarg_segment_ptr 1
		.amdhsa_user_sgpr_dispatch_id 0
		.amdhsa_user_sgpr_flat_scratch_init 0
		.amdhsa_user_sgpr_private_segment_size 0
		.amdhsa_wavefront_size32 1
		.amdhsa_uses_dynamic_stack 0
		.amdhsa_system_sgpr_private_segment_wavefront_offset 0
		.amdhsa_system_sgpr_workgroup_id_x 1
		.amdhsa_system_sgpr_workgroup_id_y 0
		.amdhsa_system_sgpr_workgroup_id_z 0
		.amdhsa_system_sgpr_workgroup_info 0
		.amdhsa_system_vgpr_workitem_id 0
		.amdhsa_next_free_vgpr 1
		.amdhsa_next_free_sgpr 1
		.amdhsa_reserve_vcc 0
		.amdhsa_reserve_flat_scratch 0
		.amdhsa_float_round_mode_32 0
		.amdhsa_float_round_mode_16_64 0
		.amdhsa_float_denorm_mode_32 3
		.amdhsa_float_denorm_mode_16_64 3
		.amdhsa_dx10_clamp 1
		.amdhsa_ieee_mode 1
		.amdhsa_fp16_overflow 0
		.amdhsa_workgroup_processor_mode 1
		.amdhsa_memory_ordered 1
		.amdhsa_forward_progress 1
		.amdhsa_shared_vgpr_count 0
		.amdhsa_exception_fp_ieee_invalid_op 0
		.amdhsa_exception_fp_denorm_src 0
		.amdhsa_exception_fp_ieee_div_zero 0
		.amdhsa_exception_fp_ieee_overflow 0
		.amdhsa_exception_fp_ieee_underflow 0
		.amdhsa_exception_fp_ieee_inexact 0
		.amdhsa_exception_int_div_zero 0
	.end_amdhsa_kernel
	.section	.text._ZN7rocprim17ROCPRIM_400000_NS6detail17trampoline_kernelINS0_13select_configILj256ELj13ELNS0_17block_load_methodE3ELS4_3ELS4_3ELNS0_20block_scan_algorithmE0ELj4294967295EEENS1_25partition_config_selectorILNS1_17partition_subalgoE3EjNS0_10empty_typeEbEEZZNS1_14partition_implILS8_3ELb0ES6_jNS0_17counting_iteratorIjlEEPS9_SE_NS0_5tupleIJPjSE_EEENSF_IJSE_SE_EEES9_SG_JZNS1_25segmented_radix_sort_implINS0_14default_configELb0EPK12hip_bfloat16PSL_PKlPlN2at6native12_GLOBAL__N_18offset_tEEE10hipError_tPvRmT1_PNSt15iterator_traitsISZ_E10value_typeET2_T3_PNS10_IS15_E10value_typeET4_jRbjT5_S1B_jjP12ihipStream_tbEUljE_EEESW_SX_SY_S15_S19_S1B_T6_T7_T9_mT8_S1D_bDpT10_ENKUlT_T0_E_clISt17integral_constantIbLb1EES1P_IbLb0EEEEDaS1L_S1M_EUlS1L_E_NS1_11comp_targetILNS1_3genE4ELNS1_11target_archE910ELNS1_3gpuE8ELNS1_3repE0EEENS1_30default_config_static_selectorELNS0_4arch9wavefront6targetE0EEEvSZ_,"axG",@progbits,_ZN7rocprim17ROCPRIM_400000_NS6detail17trampoline_kernelINS0_13select_configILj256ELj13ELNS0_17block_load_methodE3ELS4_3ELS4_3ELNS0_20block_scan_algorithmE0ELj4294967295EEENS1_25partition_config_selectorILNS1_17partition_subalgoE3EjNS0_10empty_typeEbEEZZNS1_14partition_implILS8_3ELb0ES6_jNS0_17counting_iteratorIjlEEPS9_SE_NS0_5tupleIJPjSE_EEENSF_IJSE_SE_EEES9_SG_JZNS1_25segmented_radix_sort_implINS0_14default_configELb0EPK12hip_bfloat16PSL_PKlPlN2at6native12_GLOBAL__N_18offset_tEEE10hipError_tPvRmT1_PNSt15iterator_traitsISZ_E10value_typeET2_T3_PNS10_IS15_E10value_typeET4_jRbjT5_S1B_jjP12ihipStream_tbEUljE_EEESW_SX_SY_S15_S19_S1B_T6_T7_T9_mT8_S1D_bDpT10_ENKUlT_T0_E_clISt17integral_constantIbLb1EES1P_IbLb0EEEEDaS1L_S1M_EUlS1L_E_NS1_11comp_targetILNS1_3genE4ELNS1_11target_archE910ELNS1_3gpuE8ELNS1_3repE0EEENS1_30default_config_static_selectorELNS0_4arch9wavefront6targetE0EEEvSZ_,comdat
.Lfunc_end2025:
	.size	_ZN7rocprim17ROCPRIM_400000_NS6detail17trampoline_kernelINS0_13select_configILj256ELj13ELNS0_17block_load_methodE3ELS4_3ELS4_3ELNS0_20block_scan_algorithmE0ELj4294967295EEENS1_25partition_config_selectorILNS1_17partition_subalgoE3EjNS0_10empty_typeEbEEZZNS1_14partition_implILS8_3ELb0ES6_jNS0_17counting_iteratorIjlEEPS9_SE_NS0_5tupleIJPjSE_EEENSF_IJSE_SE_EEES9_SG_JZNS1_25segmented_radix_sort_implINS0_14default_configELb0EPK12hip_bfloat16PSL_PKlPlN2at6native12_GLOBAL__N_18offset_tEEE10hipError_tPvRmT1_PNSt15iterator_traitsISZ_E10value_typeET2_T3_PNS10_IS15_E10value_typeET4_jRbjT5_S1B_jjP12ihipStream_tbEUljE_EEESW_SX_SY_S15_S19_S1B_T6_T7_T9_mT8_S1D_bDpT10_ENKUlT_T0_E_clISt17integral_constantIbLb1EES1P_IbLb0EEEEDaS1L_S1M_EUlS1L_E_NS1_11comp_targetILNS1_3genE4ELNS1_11target_archE910ELNS1_3gpuE8ELNS1_3repE0EEENS1_30default_config_static_selectorELNS0_4arch9wavefront6targetE0EEEvSZ_, .Lfunc_end2025-_ZN7rocprim17ROCPRIM_400000_NS6detail17trampoline_kernelINS0_13select_configILj256ELj13ELNS0_17block_load_methodE3ELS4_3ELS4_3ELNS0_20block_scan_algorithmE0ELj4294967295EEENS1_25partition_config_selectorILNS1_17partition_subalgoE3EjNS0_10empty_typeEbEEZZNS1_14partition_implILS8_3ELb0ES6_jNS0_17counting_iteratorIjlEEPS9_SE_NS0_5tupleIJPjSE_EEENSF_IJSE_SE_EEES9_SG_JZNS1_25segmented_radix_sort_implINS0_14default_configELb0EPK12hip_bfloat16PSL_PKlPlN2at6native12_GLOBAL__N_18offset_tEEE10hipError_tPvRmT1_PNSt15iterator_traitsISZ_E10value_typeET2_T3_PNS10_IS15_E10value_typeET4_jRbjT5_S1B_jjP12ihipStream_tbEUljE_EEESW_SX_SY_S15_S19_S1B_T6_T7_T9_mT8_S1D_bDpT10_ENKUlT_T0_E_clISt17integral_constantIbLb1EES1P_IbLb0EEEEDaS1L_S1M_EUlS1L_E_NS1_11comp_targetILNS1_3genE4ELNS1_11target_archE910ELNS1_3gpuE8ELNS1_3repE0EEENS1_30default_config_static_selectorELNS0_4arch9wavefront6targetE0EEEvSZ_
                                        ; -- End function
	.set _ZN7rocprim17ROCPRIM_400000_NS6detail17trampoline_kernelINS0_13select_configILj256ELj13ELNS0_17block_load_methodE3ELS4_3ELS4_3ELNS0_20block_scan_algorithmE0ELj4294967295EEENS1_25partition_config_selectorILNS1_17partition_subalgoE3EjNS0_10empty_typeEbEEZZNS1_14partition_implILS8_3ELb0ES6_jNS0_17counting_iteratorIjlEEPS9_SE_NS0_5tupleIJPjSE_EEENSF_IJSE_SE_EEES9_SG_JZNS1_25segmented_radix_sort_implINS0_14default_configELb0EPK12hip_bfloat16PSL_PKlPlN2at6native12_GLOBAL__N_18offset_tEEE10hipError_tPvRmT1_PNSt15iterator_traitsISZ_E10value_typeET2_T3_PNS10_IS15_E10value_typeET4_jRbjT5_S1B_jjP12ihipStream_tbEUljE_EEESW_SX_SY_S15_S19_S1B_T6_T7_T9_mT8_S1D_bDpT10_ENKUlT_T0_E_clISt17integral_constantIbLb1EES1P_IbLb0EEEEDaS1L_S1M_EUlS1L_E_NS1_11comp_targetILNS1_3genE4ELNS1_11target_archE910ELNS1_3gpuE8ELNS1_3repE0EEENS1_30default_config_static_selectorELNS0_4arch9wavefront6targetE0EEEvSZ_.num_vgpr, 0
	.set _ZN7rocprim17ROCPRIM_400000_NS6detail17trampoline_kernelINS0_13select_configILj256ELj13ELNS0_17block_load_methodE3ELS4_3ELS4_3ELNS0_20block_scan_algorithmE0ELj4294967295EEENS1_25partition_config_selectorILNS1_17partition_subalgoE3EjNS0_10empty_typeEbEEZZNS1_14partition_implILS8_3ELb0ES6_jNS0_17counting_iteratorIjlEEPS9_SE_NS0_5tupleIJPjSE_EEENSF_IJSE_SE_EEES9_SG_JZNS1_25segmented_radix_sort_implINS0_14default_configELb0EPK12hip_bfloat16PSL_PKlPlN2at6native12_GLOBAL__N_18offset_tEEE10hipError_tPvRmT1_PNSt15iterator_traitsISZ_E10value_typeET2_T3_PNS10_IS15_E10value_typeET4_jRbjT5_S1B_jjP12ihipStream_tbEUljE_EEESW_SX_SY_S15_S19_S1B_T6_T7_T9_mT8_S1D_bDpT10_ENKUlT_T0_E_clISt17integral_constantIbLb1EES1P_IbLb0EEEEDaS1L_S1M_EUlS1L_E_NS1_11comp_targetILNS1_3genE4ELNS1_11target_archE910ELNS1_3gpuE8ELNS1_3repE0EEENS1_30default_config_static_selectorELNS0_4arch9wavefront6targetE0EEEvSZ_.num_agpr, 0
	.set _ZN7rocprim17ROCPRIM_400000_NS6detail17trampoline_kernelINS0_13select_configILj256ELj13ELNS0_17block_load_methodE3ELS4_3ELS4_3ELNS0_20block_scan_algorithmE0ELj4294967295EEENS1_25partition_config_selectorILNS1_17partition_subalgoE3EjNS0_10empty_typeEbEEZZNS1_14partition_implILS8_3ELb0ES6_jNS0_17counting_iteratorIjlEEPS9_SE_NS0_5tupleIJPjSE_EEENSF_IJSE_SE_EEES9_SG_JZNS1_25segmented_radix_sort_implINS0_14default_configELb0EPK12hip_bfloat16PSL_PKlPlN2at6native12_GLOBAL__N_18offset_tEEE10hipError_tPvRmT1_PNSt15iterator_traitsISZ_E10value_typeET2_T3_PNS10_IS15_E10value_typeET4_jRbjT5_S1B_jjP12ihipStream_tbEUljE_EEESW_SX_SY_S15_S19_S1B_T6_T7_T9_mT8_S1D_bDpT10_ENKUlT_T0_E_clISt17integral_constantIbLb1EES1P_IbLb0EEEEDaS1L_S1M_EUlS1L_E_NS1_11comp_targetILNS1_3genE4ELNS1_11target_archE910ELNS1_3gpuE8ELNS1_3repE0EEENS1_30default_config_static_selectorELNS0_4arch9wavefront6targetE0EEEvSZ_.numbered_sgpr, 0
	.set _ZN7rocprim17ROCPRIM_400000_NS6detail17trampoline_kernelINS0_13select_configILj256ELj13ELNS0_17block_load_methodE3ELS4_3ELS4_3ELNS0_20block_scan_algorithmE0ELj4294967295EEENS1_25partition_config_selectorILNS1_17partition_subalgoE3EjNS0_10empty_typeEbEEZZNS1_14partition_implILS8_3ELb0ES6_jNS0_17counting_iteratorIjlEEPS9_SE_NS0_5tupleIJPjSE_EEENSF_IJSE_SE_EEES9_SG_JZNS1_25segmented_radix_sort_implINS0_14default_configELb0EPK12hip_bfloat16PSL_PKlPlN2at6native12_GLOBAL__N_18offset_tEEE10hipError_tPvRmT1_PNSt15iterator_traitsISZ_E10value_typeET2_T3_PNS10_IS15_E10value_typeET4_jRbjT5_S1B_jjP12ihipStream_tbEUljE_EEESW_SX_SY_S15_S19_S1B_T6_T7_T9_mT8_S1D_bDpT10_ENKUlT_T0_E_clISt17integral_constantIbLb1EES1P_IbLb0EEEEDaS1L_S1M_EUlS1L_E_NS1_11comp_targetILNS1_3genE4ELNS1_11target_archE910ELNS1_3gpuE8ELNS1_3repE0EEENS1_30default_config_static_selectorELNS0_4arch9wavefront6targetE0EEEvSZ_.num_named_barrier, 0
	.set _ZN7rocprim17ROCPRIM_400000_NS6detail17trampoline_kernelINS0_13select_configILj256ELj13ELNS0_17block_load_methodE3ELS4_3ELS4_3ELNS0_20block_scan_algorithmE0ELj4294967295EEENS1_25partition_config_selectorILNS1_17partition_subalgoE3EjNS0_10empty_typeEbEEZZNS1_14partition_implILS8_3ELb0ES6_jNS0_17counting_iteratorIjlEEPS9_SE_NS0_5tupleIJPjSE_EEENSF_IJSE_SE_EEES9_SG_JZNS1_25segmented_radix_sort_implINS0_14default_configELb0EPK12hip_bfloat16PSL_PKlPlN2at6native12_GLOBAL__N_18offset_tEEE10hipError_tPvRmT1_PNSt15iterator_traitsISZ_E10value_typeET2_T3_PNS10_IS15_E10value_typeET4_jRbjT5_S1B_jjP12ihipStream_tbEUljE_EEESW_SX_SY_S15_S19_S1B_T6_T7_T9_mT8_S1D_bDpT10_ENKUlT_T0_E_clISt17integral_constantIbLb1EES1P_IbLb0EEEEDaS1L_S1M_EUlS1L_E_NS1_11comp_targetILNS1_3genE4ELNS1_11target_archE910ELNS1_3gpuE8ELNS1_3repE0EEENS1_30default_config_static_selectorELNS0_4arch9wavefront6targetE0EEEvSZ_.private_seg_size, 0
	.set _ZN7rocprim17ROCPRIM_400000_NS6detail17trampoline_kernelINS0_13select_configILj256ELj13ELNS0_17block_load_methodE3ELS4_3ELS4_3ELNS0_20block_scan_algorithmE0ELj4294967295EEENS1_25partition_config_selectorILNS1_17partition_subalgoE3EjNS0_10empty_typeEbEEZZNS1_14partition_implILS8_3ELb0ES6_jNS0_17counting_iteratorIjlEEPS9_SE_NS0_5tupleIJPjSE_EEENSF_IJSE_SE_EEES9_SG_JZNS1_25segmented_radix_sort_implINS0_14default_configELb0EPK12hip_bfloat16PSL_PKlPlN2at6native12_GLOBAL__N_18offset_tEEE10hipError_tPvRmT1_PNSt15iterator_traitsISZ_E10value_typeET2_T3_PNS10_IS15_E10value_typeET4_jRbjT5_S1B_jjP12ihipStream_tbEUljE_EEESW_SX_SY_S15_S19_S1B_T6_T7_T9_mT8_S1D_bDpT10_ENKUlT_T0_E_clISt17integral_constantIbLb1EES1P_IbLb0EEEEDaS1L_S1M_EUlS1L_E_NS1_11comp_targetILNS1_3genE4ELNS1_11target_archE910ELNS1_3gpuE8ELNS1_3repE0EEENS1_30default_config_static_selectorELNS0_4arch9wavefront6targetE0EEEvSZ_.uses_vcc, 0
	.set _ZN7rocprim17ROCPRIM_400000_NS6detail17trampoline_kernelINS0_13select_configILj256ELj13ELNS0_17block_load_methodE3ELS4_3ELS4_3ELNS0_20block_scan_algorithmE0ELj4294967295EEENS1_25partition_config_selectorILNS1_17partition_subalgoE3EjNS0_10empty_typeEbEEZZNS1_14partition_implILS8_3ELb0ES6_jNS0_17counting_iteratorIjlEEPS9_SE_NS0_5tupleIJPjSE_EEENSF_IJSE_SE_EEES9_SG_JZNS1_25segmented_radix_sort_implINS0_14default_configELb0EPK12hip_bfloat16PSL_PKlPlN2at6native12_GLOBAL__N_18offset_tEEE10hipError_tPvRmT1_PNSt15iterator_traitsISZ_E10value_typeET2_T3_PNS10_IS15_E10value_typeET4_jRbjT5_S1B_jjP12ihipStream_tbEUljE_EEESW_SX_SY_S15_S19_S1B_T6_T7_T9_mT8_S1D_bDpT10_ENKUlT_T0_E_clISt17integral_constantIbLb1EES1P_IbLb0EEEEDaS1L_S1M_EUlS1L_E_NS1_11comp_targetILNS1_3genE4ELNS1_11target_archE910ELNS1_3gpuE8ELNS1_3repE0EEENS1_30default_config_static_selectorELNS0_4arch9wavefront6targetE0EEEvSZ_.uses_flat_scratch, 0
	.set _ZN7rocprim17ROCPRIM_400000_NS6detail17trampoline_kernelINS0_13select_configILj256ELj13ELNS0_17block_load_methodE3ELS4_3ELS4_3ELNS0_20block_scan_algorithmE0ELj4294967295EEENS1_25partition_config_selectorILNS1_17partition_subalgoE3EjNS0_10empty_typeEbEEZZNS1_14partition_implILS8_3ELb0ES6_jNS0_17counting_iteratorIjlEEPS9_SE_NS0_5tupleIJPjSE_EEENSF_IJSE_SE_EEES9_SG_JZNS1_25segmented_radix_sort_implINS0_14default_configELb0EPK12hip_bfloat16PSL_PKlPlN2at6native12_GLOBAL__N_18offset_tEEE10hipError_tPvRmT1_PNSt15iterator_traitsISZ_E10value_typeET2_T3_PNS10_IS15_E10value_typeET4_jRbjT5_S1B_jjP12ihipStream_tbEUljE_EEESW_SX_SY_S15_S19_S1B_T6_T7_T9_mT8_S1D_bDpT10_ENKUlT_T0_E_clISt17integral_constantIbLb1EES1P_IbLb0EEEEDaS1L_S1M_EUlS1L_E_NS1_11comp_targetILNS1_3genE4ELNS1_11target_archE910ELNS1_3gpuE8ELNS1_3repE0EEENS1_30default_config_static_selectorELNS0_4arch9wavefront6targetE0EEEvSZ_.has_dyn_sized_stack, 0
	.set _ZN7rocprim17ROCPRIM_400000_NS6detail17trampoline_kernelINS0_13select_configILj256ELj13ELNS0_17block_load_methodE3ELS4_3ELS4_3ELNS0_20block_scan_algorithmE0ELj4294967295EEENS1_25partition_config_selectorILNS1_17partition_subalgoE3EjNS0_10empty_typeEbEEZZNS1_14partition_implILS8_3ELb0ES6_jNS0_17counting_iteratorIjlEEPS9_SE_NS0_5tupleIJPjSE_EEENSF_IJSE_SE_EEES9_SG_JZNS1_25segmented_radix_sort_implINS0_14default_configELb0EPK12hip_bfloat16PSL_PKlPlN2at6native12_GLOBAL__N_18offset_tEEE10hipError_tPvRmT1_PNSt15iterator_traitsISZ_E10value_typeET2_T3_PNS10_IS15_E10value_typeET4_jRbjT5_S1B_jjP12ihipStream_tbEUljE_EEESW_SX_SY_S15_S19_S1B_T6_T7_T9_mT8_S1D_bDpT10_ENKUlT_T0_E_clISt17integral_constantIbLb1EES1P_IbLb0EEEEDaS1L_S1M_EUlS1L_E_NS1_11comp_targetILNS1_3genE4ELNS1_11target_archE910ELNS1_3gpuE8ELNS1_3repE0EEENS1_30default_config_static_selectorELNS0_4arch9wavefront6targetE0EEEvSZ_.has_recursion, 0
	.set _ZN7rocprim17ROCPRIM_400000_NS6detail17trampoline_kernelINS0_13select_configILj256ELj13ELNS0_17block_load_methodE3ELS4_3ELS4_3ELNS0_20block_scan_algorithmE0ELj4294967295EEENS1_25partition_config_selectorILNS1_17partition_subalgoE3EjNS0_10empty_typeEbEEZZNS1_14partition_implILS8_3ELb0ES6_jNS0_17counting_iteratorIjlEEPS9_SE_NS0_5tupleIJPjSE_EEENSF_IJSE_SE_EEES9_SG_JZNS1_25segmented_radix_sort_implINS0_14default_configELb0EPK12hip_bfloat16PSL_PKlPlN2at6native12_GLOBAL__N_18offset_tEEE10hipError_tPvRmT1_PNSt15iterator_traitsISZ_E10value_typeET2_T3_PNS10_IS15_E10value_typeET4_jRbjT5_S1B_jjP12ihipStream_tbEUljE_EEESW_SX_SY_S15_S19_S1B_T6_T7_T9_mT8_S1D_bDpT10_ENKUlT_T0_E_clISt17integral_constantIbLb1EES1P_IbLb0EEEEDaS1L_S1M_EUlS1L_E_NS1_11comp_targetILNS1_3genE4ELNS1_11target_archE910ELNS1_3gpuE8ELNS1_3repE0EEENS1_30default_config_static_selectorELNS0_4arch9wavefront6targetE0EEEvSZ_.has_indirect_call, 0
	.section	.AMDGPU.csdata,"",@progbits
; Kernel info:
; codeLenInByte = 0
; TotalNumSgprs: 0
; NumVgprs: 0
; ScratchSize: 0
; MemoryBound: 0
; FloatMode: 240
; IeeeMode: 1
; LDSByteSize: 0 bytes/workgroup (compile time only)
; SGPRBlocks: 0
; VGPRBlocks: 0
; NumSGPRsForWavesPerEU: 1
; NumVGPRsForWavesPerEU: 1
; Occupancy: 16
; WaveLimiterHint : 0
; COMPUTE_PGM_RSRC2:SCRATCH_EN: 0
; COMPUTE_PGM_RSRC2:USER_SGPR: 6
; COMPUTE_PGM_RSRC2:TRAP_HANDLER: 0
; COMPUTE_PGM_RSRC2:TGID_X_EN: 1
; COMPUTE_PGM_RSRC2:TGID_Y_EN: 0
; COMPUTE_PGM_RSRC2:TGID_Z_EN: 0
; COMPUTE_PGM_RSRC2:TIDIG_COMP_CNT: 0
	.section	.text._ZN7rocprim17ROCPRIM_400000_NS6detail17trampoline_kernelINS0_13select_configILj256ELj13ELNS0_17block_load_methodE3ELS4_3ELS4_3ELNS0_20block_scan_algorithmE0ELj4294967295EEENS1_25partition_config_selectorILNS1_17partition_subalgoE3EjNS0_10empty_typeEbEEZZNS1_14partition_implILS8_3ELb0ES6_jNS0_17counting_iteratorIjlEEPS9_SE_NS0_5tupleIJPjSE_EEENSF_IJSE_SE_EEES9_SG_JZNS1_25segmented_radix_sort_implINS0_14default_configELb0EPK12hip_bfloat16PSL_PKlPlN2at6native12_GLOBAL__N_18offset_tEEE10hipError_tPvRmT1_PNSt15iterator_traitsISZ_E10value_typeET2_T3_PNS10_IS15_E10value_typeET4_jRbjT5_S1B_jjP12ihipStream_tbEUljE_EEESW_SX_SY_S15_S19_S1B_T6_T7_T9_mT8_S1D_bDpT10_ENKUlT_T0_E_clISt17integral_constantIbLb1EES1P_IbLb0EEEEDaS1L_S1M_EUlS1L_E_NS1_11comp_targetILNS1_3genE3ELNS1_11target_archE908ELNS1_3gpuE7ELNS1_3repE0EEENS1_30default_config_static_selectorELNS0_4arch9wavefront6targetE0EEEvSZ_,"axG",@progbits,_ZN7rocprim17ROCPRIM_400000_NS6detail17trampoline_kernelINS0_13select_configILj256ELj13ELNS0_17block_load_methodE3ELS4_3ELS4_3ELNS0_20block_scan_algorithmE0ELj4294967295EEENS1_25partition_config_selectorILNS1_17partition_subalgoE3EjNS0_10empty_typeEbEEZZNS1_14partition_implILS8_3ELb0ES6_jNS0_17counting_iteratorIjlEEPS9_SE_NS0_5tupleIJPjSE_EEENSF_IJSE_SE_EEES9_SG_JZNS1_25segmented_radix_sort_implINS0_14default_configELb0EPK12hip_bfloat16PSL_PKlPlN2at6native12_GLOBAL__N_18offset_tEEE10hipError_tPvRmT1_PNSt15iterator_traitsISZ_E10value_typeET2_T3_PNS10_IS15_E10value_typeET4_jRbjT5_S1B_jjP12ihipStream_tbEUljE_EEESW_SX_SY_S15_S19_S1B_T6_T7_T9_mT8_S1D_bDpT10_ENKUlT_T0_E_clISt17integral_constantIbLb1EES1P_IbLb0EEEEDaS1L_S1M_EUlS1L_E_NS1_11comp_targetILNS1_3genE3ELNS1_11target_archE908ELNS1_3gpuE7ELNS1_3repE0EEENS1_30default_config_static_selectorELNS0_4arch9wavefront6targetE0EEEvSZ_,comdat
	.globl	_ZN7rocprim17ROCPRIM_400000_NS6detail17trampoline_kernelINS0_13select_configILj256ELj13ELNS0_17block_load_methodE3ELS4_3ELS4_3ELNS0_20block_scan_algorithmE0ELj4294967295EEENS1_25partition_config_selectorILNS1_17partition_subalgoE3EjNS0_10empty_typeEbEEZZNS1_14partition_implILS8_3ELb0ES6_jNS0_17counting_iteratorIjlEEPS9_SE_NS0_5tupleIJPjSE_EEENSF_IJSE_SE_EEES9_SG_JZNS1_25segmented_radix_sort_implINS0_14default_configELb0EPK12hip_bfloat16PSL_PKlPlN2at6native12_GLOBAL__N_18offset_tEEE10hipError_tPvRmT1_PNSt15iterator_traitsISZ_E10value_typeET2_T3_PNS10_IS15_E10value_typeET4_jRbjT5_S1B_jjP12ihipStream_tbEUljE_EEESW_SX_SY_S15_S19_S1B_T6_T7_T9_mT8_S1D_bDpT10_ENKUlT_T0_E_clISt17integral_constantIbLb1EES1P_IbLb0EEEEDaS1L_S1M_EUlS1L_E_NS1_11comp_targetILNS1_3genE3ELNS1_11target_archE908ELNS1_3gpuE7ELNS1_3repE0EEENS1_30default_config_static_selectorELNS0_4arch9wavefront6targetE0EEEvSZ_ ; -- Begin function _ZN7rocprim17ROCPRIM_400000_NS6detail17trampoline_kernelINS0_13select_configILj256ELj13ELNS0_17block_load_methodE3ELS4_3ELS4_3ELNS0_20block_scan_algorithmE0ELj4294967295EEENS1_25partition_config_selectorILNS1_17partition_subalgoE3EjNS0_10empty_typeEbEEZZNS1_14partition_implILS8_3ELb0ES6_jNS0_17counting_iteratorIjlEEPS9_SE_NS0_5tupleIJPjSE_EEENSF_IJSE_SE_EEES9_SG_JZNS1_25segmented_radix_sort_implINS0_14default_configELb0EPK12hip_bfloat16PSL_PKlPlN2at6native12_GLOBAL__N_18offset_tEEE10hipError_tPvRmT1_PNSt15iterator_traitsISZ_E10value_typeET2_T3_PNS10_IS15_E10value_typeET4_jRbjT5_S1B_jjP12ihipStream_tbEUljE_EEESW_SX_SY_S15_S19_S1B_T6_T7_T9_mT8_S1D_bDpT10_ENKUlT_T0_E_clISt17integral_constantIbLb1EES1P_IbLb0EEEEDaS1L_S1M_EUlS1L_E_NS1_11comp_targetILNS1_3genE3ELNS1_11target_archE908ELNS1_3gpuE7ELNS1_3repE0EEENS1_30default_config_static_selectorELNS0_4arch9wavefront6targetE0EEEvSZ_
	.p2align	8
	.type	_ZN7rocprim17ROCPRIM_400000_NS6detail17trampoline_kernelINS0_13select_configILj256ELj13ELNS0_17block_load_methodE3ELS4_3ELS4_3ELNS0_20block_scan_algorithmE0ELj4294967295EEENS1_25partition_config_selectorILNS1_17partition_subalgoE3EjNS0_10empty_typeEbEEZZNS1_14partition_implILS8_3ELb0ES6_jNS0_17counting_iteratorIjlEEPS9_SE_NS0_5tupleIJPjSE_EEENSF_IJSE_SE_EEES9_SG_JZNS1_25segmented_radix_sort_implINS0_14default_configELb0EPK12hip_bfloat16PSL_PKlPlN2at6native12_GLOBAL__N_18offset_tEEE10hipError_tPvRmT1_PNSt15iterator_traitsISZ_E10value_typeET2_T3_PNS10_IS15_E10value_typeET4_jRbjT5_S1B_jjP12ihipStream_tbEUljE_EEESW_SX_SY_S15_S19_S1B_T6_T7_T9_mT8_S1D_bDpT10_ENKUlT_T0_E_clISt17integral_constantIbLb1EES1P_IbLb0EEEEDaS1L_S1M_EUlS1L_E_NS1_11comp_targetILNS1_3genE3ELNS1_11target_archE908ELNS1_3gpuE7ELNS1_3repE0EEENS1_30default_config_static_selectorELNS0_4arch9wavefront6targetE0EEEvSZ_,@function
_ZN7rocprim17ROCPRIM_400000_NS6detail17trampoline_kernelINS0_13select_configILj256ELj13ELNS0_17block_load_methodE3ELS4_3ELS4_3ELNS0_20block_scan_algorithmE0ELj4294967295EEENS1_25partition_config_selectorILNS1_17partition_subalgoE3EjNS0_10empty_typeEbEEZZNS1_14partition_implILS8_3ELb0ES6_jNS0_17counting_iteratorIjlEEPS9_SE_NS0_5tupleIJPjSE_EEENSF_IJSE_SE_EEES9_SG_JZNS1_25segmented_radix_sort_implINS0_14default_configELb0EPK12hip_bfloat16PSL_PKlPlN2at6native12_GLOBAL__N_18offset_tEEE10hipError_tPvRmT1_PNSt15iterator_traitsISZ_E10value_typeET2_T3_PNS10_IS15_E10value_typeET4_jRbjT5_S1B_jjP12ihipStream_tbEUljE_EEESW_SX_SY_S15_S19_S1B_T6_T7_T9_mT8_S1D_bDpT10_ENKUlT_T0_E_clISt17integral_constantIbLb1EES1P_IbLb0EEEEDaS1L_S1M_EUlS1L_E_NS1_11comp_targetILNS1_3genE3ELNS1_11target_archE908ELNS1_3gpuE7ELNS1_3repE0EEENS1_30default_config_static_selectorELNS0_4arch9wavefront6targetE0EEEvSZ_: ; @_ZN7rocprim17ROCPRIM_400000_NS6detail17trampoline_kernelINS0_13select_configILj256ELj13ELNS0_17block_load_methodE3ELS4_3ELS4_3ELNS0_20block_scan_algorithmE0ELj4294967295EEENS1_25partition_config_selectorILNS1_17partition_subalgoE3EjNS0_10empty_typeEbEEZZNS1_14partition_implILS8_3ELb0ES6_jNS0_17counting_iteratorIjlEEPS9_SE_NS0_5tupleIJPjSE_EEENSF_IJSE_SE_EEES9_SG_JZNS1_25segmented_radix_sort_implINS0_14default_configELb0EPK12hip_bfloat16PSL_PKlPlN2at6native12_GLOBAL__N_18offset_tEEE10hipError_tPvRmT1_PNSt15iterator_traitsISZ_E10value_typeET2_T3_PNS10_IS15_E10value_typeET4_jRbjT5_S1B_jjP12ihipStream_tbEUljE_EEESW_SX_SY_S15_S19_S1B_T6_T7_T9_mT8_S1D_bDpT10_ENKUlT_T0_E_clISt17integral_constantIbLb1EES1P_IbLb0EEEEDaS1L_S1M_EUlS1L_E_NS1_11comp_targetILNS1_3genE3ELNS1_11target_archE908ELNS1_3gpuE7ELNS1_3repE0EEENS1_30default_config_static_selectorELNS0_4arch9wavefront6targetE0EEEvSZ_
; %bb.0:
	.section	.rodata,"a",@progbits
	.p2align	6, 0x0
	.amdhsa_kernel _ZN7rocprim17ROCPRIM_400000_NS6detail17trampoline_kernelINS0_13select_configILj256ELj13ELNS0_17block_load_methodE3ELS4_3ELS4_3ELNS0_20block_scan_algorithmE0ELj4294967295EEENS1_25partition_config_selectorILNS1_17partition_subalgoE3EjNS0_10empty_typeEbEEZZNS1_14partition_implILS8_3ELb0ES6_jNS0_17counting_iteratorIjlEEPS9_SE_NS0_5tupleIJPjSE_EEENSF_IJSE_SE_EEES9_SG_JZNS1_25segmented_radix_sort_implINS0_14default_configELb0EPK12hip_bfloat16PSL_PKlPlN2at6native12_GLOBAL__N_18offset_tEEE10hipError_tPvRmT1_PNSt15iterator_traitsISZ_E10value_typeET2_T3_PNS10_IS15_E10value_typeET4_jRbjT5_S1B_jjP12ihipStream_tbEUljE_EEESW_SX_SY_S15_S19_S1B_T6_T7_T9_mT8_S1D_bDpT10_ENKUlT_T0_E_clISt17integral_constantIbLb1EES1P_IbLb0EEEEDaS1L_S1M_EUlS1L_E_NS1_11comp_targetILNS1_3genE3ELNS1_11target_archE908ELNS1_3gpuE7ELNS1_3repE0EEENS1_30default_config_static_selectorELNS0_4arch9wavefront6targetE0EEEvSZ_
		.amdhsa_group_segment_fixed_size 0
		.amdhsa_private_segment_fixed_size 0
		.amdhsa_kernarg_size 144
		.amdhsa_user_sgpr_count 6
		.amdhsa_user_sgpr_private_segment_buffer 1
		.amdhsa_user_sgpr_dispatch_ptr 0
		.amdhsa_user_sgpr_queue_ptr 0
		.amdhsa_user_sgpr_kernarg_segment_ptr 1
		.amdhsa_user_sgpr_dispatch_id 0
		.amdhsa_user_sgpr_flat_scratch_init 0
		.amdhsa_user_sgpr_private_segment_size 0
		.amdhsa_wavefront_size32 1
		.amdhsa_uses_dynamic_stack 0
		.amdhsa_system_sgpr_private_segment_wavefront_offset 0
		.amdhsa_system_sgpr_workgroup_id_x 1
		.amdhsa_system_sgpr_workgroup_id_y 0
		.amdhsa_system_sgpr_workgroup_id_z 0
		.amdhsa_system_sgpr_workgroup_info 0
		.amdhsa_system_vgpr_workitem_id 0
		.amdhsa_next_free_vgpr 1
		.amdhsa_next_free_sgpr 1
		.amdhsa_reserve_vcc 0
		.amdhsa_reserve_flat_scratch 0
		.amdhsa_float_round_mode_32 0
		.amdhsa_float_round_mode_16_64 0
		.amdhsa_float_denorm_mode_32 3
		.amdhsa_float_denorm_mode_16_64 3
		.amdhsa_dx10_clamp 1
		.amdhsa_ieee_mode 1
		.amdhsa_fp16_overflow 0
		.amdhsa_workgroup_processor_mode 1
		.amdhsa_memory_ordered 1
		.amdhsa_forward_progress 1
		.amdhsa_shared_vgpr_count 0
		.amdhsa_exception_fp_ieee_invalid_op 0
		.amdhsa_exception_fp_denorm_src 0
		.amdhsa_exception_fp_ieee_div_zero 0
		.amdhsa_exception_fp_ieee_overflow 0
		.amdhsa_exception_fp_ieee_underflow 0
		.amdhsa_exception_fp_ieee_inexact 0
		.amdhsa_exception_int_div_zero 0
	.end_amdhsa_kernel
	.section	.text._ZN7rocprim17ROCPRIM_400000_NS6detail17trampoline_kernelINS0_13select_configILj256ELj13ELNS0_17block_load_methodE3ELS4_3ELS4_3ELNS0_20block_scan_algorithmE0ELj4294967295EEENS1_25partition_config_selectorILNS1_17partition_subalgoE3EjNS0_10empty_typeEbEEZZNS1_14partition_implILS8_3ELb0ES6_jNS0_17counting_iteratorIjlEEPS9_SE_NS0_5tupleIJPjSE_EEENSF_IJSE_SE_EEES9_SG_JZNS1_25segmented_radix_sort_implINS0_14default_configELb0EPK12hip_bfloat16PSL_PKlPlN2at6native12_GLOBAL__N_18offset_tEEE10hipError_tPvRmT1_PNSt15iterator_traitsISZ_E10value_typeET2_T3_PNS10_IS15_E10value_typeET4_jRbjT5_S1B_jjP12ihipStream_tbEUljE_EEESW_SX_SY_S15_S19_S1B_T6_T7_T9_mT8_S1D_bDpT10_ENKUlT_T0_E_clISt17integral_constantIbLb1EES1P_IbLb0EEEEDaS1L_S1M_EUlS1L_E_NS1_11comp_targetILNS1_3genE3ELNS1_11target_archE908ELNS1_3gpuE7ELNS1_3repE0EEENS1_30default_config_static_selectorELNS0_4arch9wavefront6targetE0EEEvSZ_,"axG",@progbits,_ZN7rocprim17ROCPRIM_400000_NS6detail17trampoline_kernelINS0_13select_configILj256ELj13ELNS0_17block_load_methodE3ELS4_3ELS4_3ELNS0_20block_scan_algorithmE0ELj4294967295EEENS1_25partition_config_selectorILNS1_17partition_subalgoE3EjNS0_10empty_typeEbEEZZNS1_14partition_implILS8_3ELb0ES6_jNS0_17counting_iteratorIjlEEPS9_SE_NS0_5tupleIJPjSE_EEENSF_IJSE_SE_EEES9_SG_JZNS1_25segmented_radix_sort_implINS0_14default_configELb0EPK12hip_bfloat16PSL_PKlPlN2at6native12_GLOBAL__N_18offset_tEEE10hipError_tPvRmT1_PNSt15iterator_traitsISZ_E10value_typeET2_T3_PNS10_IS15_E10value_typeET4_jRbjT5_S1B_jjP12ihipStream_tbEUljE_EEESW_SX_SY_S15_S19_S1B_T6_T7_T9_mT8_S1D_bDpT10_ENKUlT_T0_E_clISt17integral_constantIbLb1EES1P_IbLb0EEEEDaS1L_S1M_EUlS1L_E_NS1_11comp_targetILNS1_3genE3ELNS1_11target_archE908ELNS1_3gpuE7ELNS1_3repE0EEENS1_30default_config_static_selectorELNS0_4arch9wavefront6targetE0EEEvSZ_,comdat
.Lfunc_end2026:
	.size	_ZN7rocprim17ROCPRIM_400000_NS6detail17trampoline_kernelINS0_13select_configILj256ELj13ELNS0_17block_load_methodE3ELS4_3ELS4_3ELNS0_20block_scan_algorithmE0ELj4294967295EEENS1_25partition_config_selectorILNS1_17partition_subalgoE3EjNS0_10empty_typeEbEEZZNS1_14partition_implILS8_3ELb0ES6_jNS0_17counting_iteratorIjlEEPS9_SE_NS0_5tupleIJPjSE_EEENSF_IJSE_SE_EEES9_SG_JZNS1_25segmented_radix_sort_implINS0_14default_configELb0EPK12hip_bfloat16PSL_PKlPlN2at6native12_GLOBAL__N_18offset_tEEE10hipError_tPvRmT1_PNSt15iterator_traitsISZ_E10value_typeET2_T3_PNS10_IS15_E10value_typeET4_jRbjT5_S1B_jjP12ihipStream_tbEUljE_EEESW_SX_SY_S15_S19_S1B_T6_T7_T9_mT8_S1D_bDpT10_ENKUlT_T0_E_clISt17integral_constantIbLb1EES1P_IbLb0EEEEDaS1L_S1M_EUlS1L_E_NS1_11comp_targetILNS1_3genE3ELNS1_11target_archE908ELNS1_3gpuE7ELNS1_3repE0EEENS1_30default_config_static_selectorELNS0_4arch9wavefront6targetE0EEEvSZ_, .Lfunc_end2026-_ZN7rocprim17ROCPRIM_400000_NS6detail17trampoline_kernelINS0_13select_configILj256ELj13ELNS0_17block_load_methodE3ELS4_3ELS4_3ELNS0_20block_scan_algorithmE0ELj4294967295EEENS1_25partition_config_selectorILNS1_17partition_subalgoE3EjNS0_10empty_typeEbEEZZNS1_14partition_implILS8_3ELb0ES6_jNS0_17counting_iteratorIjlEEPS9_SE_NS0_5tupleIJPjSE_EEENSF_IJSE_SE_EEES9_SG_JZNS1_25segmented_radix_sort_implINS0_14default_configELb0EPK12hip_bfloat16PSL_PKlPlN2at6native12_GLOBAL__N_18offset_tEEE10hipError_tPvRmT1_PNSt15iterator_traitsISZ_E10value_typeET2_T3_PNS10_IS15_E10value_typeET4_jRbjT5_S1B_jjP12ihipStream_tbEUljE_EEESW_SX_SY_S15_S19_S1B_T6_T7_T9_mT8_S1D_bDpT10_ENKUlT_T0_E_clISt17integral_constantIbLb1EES1P_IbLb0EEEEDaS1L_S1M_EUlS1L_E_NS1_11comp_targetILNS1_3genE3ELNS1_11target_archE908ELNS1_3gpuE7ELNS1_3repE0EEENS1_30default_config_static_selectorELNS0_4arch9wavefront6targetE0EEEvSZ_
                                        ; -- End function
	.set _ZN7rocprim17ROCPRIM_400000_NS6detail17trampoline_kernelINS0_13select_configILj256ELj13ELNS0_17block_load_methodE3ELS4_3ELS4_3ELNS0_20block_scan_algorithmE0ELj4294967295EEENS1_25partition_config_selectorILNS1_17partition_subalgoE3EjNS0_10empty_typeEbEEZZNS1_14partition_implILS8_3ELb0ES6_jNS0_17counting_iteratorIjlEEPS9_SE_NS0_5tupleIJPjSE_EEENSF_IJSE_SE_EEES9_SG_JZNS1_25segmented_radix_sort_implINS0_14default_configELb0EPK12hip_bfloat16PSL_PKlPlN2at6native12_GLOBAL__N_18offset_tEEE10hipError_tPvRmT1_PNSt15iterator_traitsISZ_E10value_typeET2_T3_PNS10_IS15_E10value_typeET4_jRbjT5_S1B_jjP12ihipStream_tbEUljE_EEESW_SX_SY_S15_S19_S1B_T6_T7_T9_mT8_S1D_bDpT10_ENKUlT_T0_E_clISt17integral_constantIbLb1EES1P_IbLb0EEEEDaS1L_S1M_EUlS1L_E_NS1_11comp_targetILNS1_3genE3ELNS1_11target_archE908ELNS1_3gpuE7ELNS1_3repE0EEENS1_30default_config_static_selectorELNS0_4arch9wavefront6targetE0EEEvSZ_.num_vgpr, 0
	.set _ZN7rocprim17ROCPRIM_400000_NS6detail17trampoline_kernelINS0_13select_configILj256ELj13ELNS0_17block_load_methodE3ELS4_3ELS4_3ELNS0_20block_scan_algorithmE0ELj4294967295EEENS1_25partition_config_selectorILNS1_17partition_subalgoE3EjNS0_10empty_typeEbEEZZNS1_14partition_implILS8_3ELb0ES6_jNS0_17counting_iteratorIjlEEPS9_SE_NS0_5tupleIJPjSE_EEENSF_IJSE_SE_EEES9_SG_JZNS1_25segmented_radix_sort_implINS0_14default_configELb0EPK12hip_bfloat16PSL_PKlPlN2at6native12_GLOBAL__N_18offset_tEEE10hipError_tPvRmT1_PNSt15iterator_traitsISZ_E10value_typeET2_T3_PNS10_IS15_E10value_typeET4_jRbjT5_S1B_jjP12ihipStream_tbEUljE_EEESW_SX_SY_S15_S19_S1B_T6_T7_T9_mT8_S1D_bDpT10_ENKUlT_T0_E_clISt17integral_constantIbLb1EES1P_IbLb0EEEEDaS1L_S1M_EUlS1L_E_NS1_11comp_targetILNS1_3genE3ELNS1_11target_archE908ELNS1_3gpuE7ELNS1_3repE0EEENS1_30default_config_static_selectorELNS0_4arch9wavefront6targetE0EEEvSZ_.num_agpr, 0
	.set _ZN7rocprim17ROCPRIM_400000_NS6detail17trampoline_kernelINS0_13select_configILj256ELj13ELNS0_17block_load_methodE3ELS4_3ELS4_3ELNS0_20block_scan_algorithmE0ELj4294967295EEENS1_25partition_config_selectorILNS1_17partition_subalgoE3EjNS0_10empty_typeEbEEZZNS1_14partition_implILS8_3ELb0ES6_jNS0_17counting_iteratorIjlEEPS9_SE_NS0_5tupleIJPjSE_EEENSF_IJSE_SE_EEES9_SG_JZNS1_25segmented_radix_sort_implINS0_14default_configELb0EPK12hip_bfloat16PSL_PKlPlN2at6native12_GLOBAL__N_18offset_tEEE10hipError_tPvRmT1_PNSt15iterator_traitsISZ_E10value_typeET2_T3_PNS10_IS15_E10value_typeET4_jRbjT5_S1B_jjP12ihipStream_tbEUljE_EEESW_SX_SY_S15_S19_S1B_T6_T7_T9_mT8_S1D_bDpT10_ENKUlT_T0_E_clISt17integral_constantIbLb1EES1P_IbLb0EEEEDaS1L_S1M_EUlS1L_E_NS1_11comp_targetILNS1_3genE3ELNS1_11target_archE908ELNS1_3gpuE7ELNS1_3repE0EEENS1_30default_config_static_selectorELNS0_4arch9wavefront6targetE0EEEvSZ_.numbered_sgpr, 0
	.set _ZN7rocprim17ROCPRIM_400000_NS6detail17trampoline_kernelINS0_13select_configILj256ELj13ELNS0_17block_load_methodE3ELS4_3ELS4_3ELNS0_20block_scan_algorithmE0ELj4294967295EEENS1_25partition_config_selectorILNS1_17partition_subalgoE3EjNS0_10empty_typeEbEEZZNS1_14partition_implILS8_3ELb0ES6_jNS0_17counting_iteratorIjlEEPS9_SE_NS0_5tupleIJPjSE_EEENSF_IJSE_SE_EEES9_SG_JZNS1_25segmented_radix_sort_implINS0_14default_configELb0EPK12hip_bfloat16PSL_PKlPlN2at6native12_GLOBAL__N_18offset_tEEE10hipError_tPvRmT1_PNSt15iterator_traitsISZ_E10value_typeET2_T3_PNS10_IS15_E10value_typeET4_jRbjT5_S1B_jjP12ihipStream_tbEUljE_EEESW_SX_SY_S15_S19_S1B_T6_T7_T9_mT8_S1D_bDpT10_ENKUlT_T0_E_clISt17integral_constantIbLb1EES1P_IbLb0EEEEDaS1L_S1M_EUlS1L_E_NS1_11comp_targetILNS1_3genE3ELNS1_11target_archE908ELNS1_3gpuE7ELNS1_3repE0EEENS1_30default_config_static_selectorELNS0_4arch9wavefront6targetE0EEEvSZ_.num_named_barrier, 0
	.set _ZN7rocprim17ROCPRIM_400000_NS6detail17trampoline_kernelINS0_13select_configILj256ELj13ELNS0_17block_load_methodE3ELS4_3ELS4_3ELNS0_20block_scan_algorithmE0ELj4294967295EEENS1_25partition_config_selectorILNS1_17partition_subalgoE3EjNS0_10empty_typeEbEEZZNS1_14partition_implILS8_3ELb0ES6_jNS0_17counting_iteratorIjlEEPS9_SE_NS0_5tupleIJPjSE_EEENSF_IJSE_SE_EEES9_SG_JZNS1_25segmented_radix_sort_implINS0_14default_configELb0EPK12hip_bfloat16PSL_PKlPlN2at6native12_GLOBAL__N_18offset_tEEE10hipError_tPvRmT1_PNSt15iterator_traitsISZ_E10value_typeET2_T3_PNS10_IS15_E10value_typeET4_jRbjT5_S1B_jjP12ihipStream_tbEUljE_EEESW_SX_SY_S15_S19_S1B_T6_T7_T9_mT8_S1D_bDpT10_ENKUlT_T0_E_clISt17integral_constantIbLb1EES1P_IbLb0EEEEDaS1L_S1M_EUlS1L_E_NS1_11comp_targetILNS1_3genE3ELNS1_11target_archE908ELNS1_3gpuE7ELNS1_3repE0EEENS1_30default_config_static_selectorELNS0_4arch9wavefront6targetE0EEEvSZ_.private_seg_size, 0
	.set _ZN7rocprim17ROCPRIM_400000_NS6detail17trampoline_kernelINS0_13select_configILj256ELj13ELNS0_17block_load_methodE3ELS4_3ELS4_3ELNS0_20block_scan_algorithmE0ELj4294967295EEENS1_25partition_config_selectorILNS1_17partition_subalgoE3EjNS0_10empty_typeEbEEZZNS1_14partition_implILS8_3ELb0ES6_jNS0_17counting_iteratorIjlEEPS9_SE_NS0_5tupleIJPjSE_EEENSF_IJSE_SE_EEES9_SG_JZNS1_25segmented_radix_sort_implINS0_14default_configELb0EPK12hip_bfloat16PSL_PKlPlN2at6native12_GLOBAL__N_18offset_tEEE10hipError_tPvRmT1_PNSt15iterator_traitsISZ_E10value_typeET2_T3_PNS10_IS15_E10value_typeET4_jRbjT5_S1B_jjP12ihipStream_tbEUljE_EEESW_SX_SY_S15_S19_S1B_T6_T7_T9_mT8_S1D_bDpT10_ENKUlT_T0_E_clISt17integral_constantIbLb1EES1P_IbLb0EEEEDaS1L_S1M_EUlS1L_E_NS1_11comp_targetILNS1_3genE3ELNS1_11target_archE908ELNS1_3gpuE7ELNS1_3repE0EEENS1_30default_config_static_selectorELNS0_4arch9wavefront6targetE0EEEvSZ_.uses_vcc, 0
	.set _ZN7rocprim17ROCPRIM_400000_NS6detail17trampoline_kernelINS0_13select_configILj256ELj13ELNS0_17block_load_methodE3ELS4_3ELS4_3ELNS0_20block_scan_algorithmE0ELj4294967295EEENS1_25partition_config_selectorILNS1_17partition_subalgoE3EjNS0_10empty_typeEbEEZZNS1_14partition_implILS8_3ELb0ES6_jNS0_17counting_iteratorIjlEEPS9_SE_NS0_5tupleIJPjSE_EEENSF_IJSE_SE_EEES9_SG_JZNS1_25segmented_radix_sort_implINS0_14default_configELb0EPK12hip_bfloat16PSL_PKlPlN2at6native12_GLOBAL__N_18offset_tEEE10hipError_tPvRmT1_PNSt15iterator_traitsISZ_E10value_typeET2_T3_PNS10_IS15_E10value_typeET4_jRbjT5_S1B_jjP12ihipStream_tbEUljE_EEESW_SX_SY_S15_S19_S1B_T6_T7_T9_mT8_S1D_bDpT10_ENKUlT_T0_E_clISt17integral_constantIbLb1EES1P_IbLb0EEEEDaS1L_S1M_EUlS1L_E_NS1_11comp_targetILNS1_3genE3ELNS1_11target_archE908ELNS1_3gpuE7ELNS1_3repE0EEENS1_30default_config_static_selectorELNS0_4arch9wavefront6targetE0EEEvSZ_.uses_flat_scratch, 0
	.set _ZN7rocprim17ROCPRIM_400000_NS6detail17trampoline_kernelINS0_13select_configILj256ELj13ELNS0_17block_load_methodE3ELS4_3ELS4_3ELNS0_20block_scan_algorithmE0ELj4294967295EEENS1_25partition_config_selectorILNS1_17partition_subalgoE3EjNS0_10empty_typeEbEEZZNS1_14partition_implILS8_3ELb0ES6_jNS0_17counting_iteratorIjlEEPS9_SE_NS0_5tupleIJPjSE_EEENSF_IJSE_SE_EEES9_SG_JZNS1_25segmented_radix_sort_implINS0_14default_configELb0EPK12hip_bfloat16PSL_PKlPlN2at6native12_GLOBAL__N_18offset_tEEE10hipError_tPvRmT1_PNSt15iterator_traitsISZ_E10value_typeET2_T3_PNS10_IS15_E10value_typeET4_jRbjT5_S1B_jjP12ihipStream_tbEUljE_EEESW_SX_SY_S15_S19_S1B_T6_T7_T9_mT8_S1D_bDpT10_ENKUlT_T0_E_clISt17integral_constantIbLb1EES1P_IbLb0EEEEDaS1L_S1M_EUlS1L_E_NS1_11comp_targetILNS1_3genE3ELNS1_11target_archE908ELNS1_3gpuE7ELNS1_3repE0EEENS1_30default_config_static_selectorELNS0_4arch9wavefront6targetE0EEEvSZ_.has_dyn_sized_stack, 0
	.set _ZN7rocprim17ROCPRIM_400000_NS6detail17trampoline_kernelINS0_13select_configILj256ELj13ELNS0_17block_load_methodE3ELS4_3ELS4_3ELNS0_20block_scan_algorithmE0ELj4294967295EEENS1_25partition_config_selectorILNS1_17partition_subalgoE3EjNS0_10empty_typeEbEEZZNS1_14partition_implILS8_3ELb0ES6_jNS0_17counting_iteratorIjlEEPS9_SE_NS0_5tupleIJPjSE_EEENSF_IJSE_SE_EEES9_SG_JZNS1_25segmented_radix_sort_implINS0_14default_configELb0EPK12hip_bfloat16PSL_PKlPlN2at6native12_GLOBAL__N_18offset_tEEE10hipError_tPvRmT1_PNSt15iterator_traitsISZ_E10value_typeET2_T3_PNS10_IS15_E10value_typeET4_jRbjT5_S1B_jjP12ihipStream_tbEUljE_EEESW_SX_SY_S15_S19_S1B_T6_T7_T9_mT8_S1D_bDpT10_ENKUlT_T0_E_clISt17integral_constantIbLb1EES1P_IbLb0EEEEDaS1L_S1M_EUlS1L_E_NS1_11comp_targetILNS1_3genE3ELNS1_11target_archE908ELNS1_3gpuE7ELNS1_3repE0EEENS1_30default_config_static_selectorELNS0_4arch9wavefront6targetE0EEEvSZ_.has_recursion, 0
	.set _ZN7rocprim17ROCPRIM_400000_NS6detail17trampoline_kernelINS0_13select_configILj256ELj13ELNS0_17block_load_methodE3ELS4_3ELS4_3ELNS0_20block_scan_algorithmE0ELj4294967295EEENS1_25partition_config_selectorILNS1_17partition_subalgoE3EjNS0_10empty_typeEbEEZZNS1_14partition_implILS8_3ELb0ES6_jNS0_17counting_iteratorIjlEEPS9_SE_NS0_5tupleIJPjSE_EEENSF_IJSE_SE_EEES9_SG_JZNS1_25segmented_radix_sort_implINS0_14default_configELb0EPK12hip_bfloat16PSL_PKlPlN2at6native12_GLOBAL__N_18offset_tEEE10hipError_tPvRmT1_PNSt15iterator_traitsISZ_E10value_typeET2_T3_PNS10_IS15_E10value_typeET4_jRbjT5_S1B_jjP12ihipStream_tbEUljE_EEESW_SX_SY_S15_S19_S1B_T6_T7_T9_mT8_S1D_bDpT10_ENKUlT_T0_E_clISt17integral_constantIbLb1EES1P_IbLb0EEEEDaS1L_S1M_EUlS1L_E_NS1_11comp_targetILNS1_3genE3ELNS1_11target_archE908ELNS1_3gpuE7ELNS1_3repE0EEENS1_30default_config_static_selectorELNS0_4arch9wavefront6targetE0EEEvSZ_.has_indirect_call, 0
	.section	.AMDGPU.csdata,"",@progbits
; Kernel info:
; codeLenInByte = 0
; TotalNumSgprs: 0
; NumVgprs: 0
; ScratchSize: 0
; MemoryBound: 0
; FloatMode: 240
; IeeeMode: 1
; LDSByteSize: 0 bytes/workgroup (compile time only)
; SGPRBlocks: 0
; VGPRBlocks: 0
; NumSGPRsForWavesPerEU: 1
; NumVGPRsForWavesPerEU: 1
; Occupancy: 16
; WaveLimiterHint : 0
; COMPUTE_PGM_RSRC2:SCRATCH_EN: 0
; COMPUTE_PGM_RSRC2:USER_SGPR: 6
; COMPUTE_PGM_RSRC2:TRAP_HANDLER: 0
; COMPUTE_PGM_RSRC2:TGID_X_EN: 1
; COMPUTE_PGM_RSRC2:TGID_Y_EN: 0
; COMPUTE_PGM_RSRC2:TGID_Z_EN: 0
; COMPUTE_PGM_RSRC2:TIDIG_COMP_CNT: 0
	.section	.text._ZN7rocprim17ROCPRIM_400000_NS6detail17trampoline_kernelINS0_13select_configILj256ELj13ELNS0_17block_load_methodE3ELS4_3ELS4_3ELNS0_20block_scan_algorithmE0ELj4294967295EEENS1_25partition_config_selectorILNS1_17partition_subalgoE3EjNS0_10empty_typeEbEEZZNS1_14partition_implILS8_3ELb0ES6_jNS0_17counting_iteratorIjlEEPS9_SE_NS0_5tupleIJPjSE_EEENSF_IJSE_SE_EEES9_SG_JZNS1_25segmented_radix_sort_implINS0_14default_configELb0EPK12hip_bfloat16PSL_PKlPlN2at6native12_GLOBAL__N_18offset_tEEE10hipError_tPvRmT1_PNSt15iterator_traitsISZ_E10value_typeET2_T3_PNS10_IS15_E10value_typeET4_jRbjT5_S1B_jjP12ihipStream_tbEUljE_EEESW_SX_SY_S15_S19_S1B_T6_T7_T9_mT8_S1D_bDpT10_ENKUlT_T0_E_clISt17integral_constantIbLb1EES1P_IbLb0EEEEDaS1L_S1M_EUlS1L_E_NS1_11comp_targetILNS1_3genE2ELNS1_11target_archE906ELNS1_3gpuE6ELNS1_3repE0EEENS1_30default_config_static_selectorELNS0_4arch9wavefront6targetE0EEEvSZ_,"axG",@progbits,_ZN7rocprim17ROCPRIM_400000_NS6detail17trampoline_kernelINS0_13select_configILj256ELj13ELNS0_17block_load_methodE3ELS4_3ELS4_3ELNS0_20block_scan_algorithmE0ELj4294967295EEENS1_25partition_config_selectorILNS1_17partition_subalgoE3EjNS0_10empty_typeEbEEZZNS1_14partition_implILS8_3ELb0ES6_jNS0_17counting_iteratorIjlEEPS9_SE_NS0_5tupleIJPjSE_EEENSF_IJSE_SE_EEES9_SG_JZNS1_25segmented_radix_sort_implINS0_14default_configELb0EPK12hip_bfloat16PSL_PKlPlN2at6native12_GLOBAL__N_18offset_tEEE10hipError_tPvRmT1_PNSt15iterator_traitsISZ_E10value_typeET2_T3_PNS10_IS15_E10value_typeET4_jRbjT5_S1B_jjP12ihipStream_tbEUljE_EEESW_SX_SY_S15_S19_S1B_T6_T7_T9_mT8_S1D_bDpT10_ENKUlT_T0_E_clISt17integral_constantIbLb1EES1P_IbLb0EEEEDaS1L_S1M_EUlS1L_E_NS1_11comp_targetILNS1_3genE2ELNS1_11target_archE906ELNS1_3gpuE6ELNS1_3repE0EEENS1_30default_config_static_selectorELNS0_4arch9wavefront6targetE0EEEvSZ_,comdat
	.globl	_ZN7rocprim17ROCPRIM_400000_NS6detail17trampoline_kernelINS0_13select_configILj256ELj13ELNS0_17block_load_methodE3ELS4_3ELS4_3ELNS0_20block_scan_algorithmE0ELj4294967295EEENS1_25partition_config_selectorILNS1_17partition_subalgoE3EjNS0_10empty_typeEbEEZZNS1_14partition_implILS8_3ELb0ES6_jNS0_17counting_iteratorIjlEEPS9_SE_NS0_5tupleIJPjSE_EEENSF_IJSE_SE_EEES9_SG_JZNS1_25segmented_radix_sort_implINS0_14default_configELb0EPK12hip_bfloat16PSL_PKlPlN2at6native12_GLOBAL__N_18offset_tEEE10hipError_tPvRmT1_PNSt15iterator_traitsISZ_E10value_typeET2_T3_PNS10_IS15_E10value_typeET4_jRbjT5_S1B_jjP12ihipStream_tbEUljE_EEESW_SX_SY_S15_S19_S1B_T6_T7_T9_mT8_S1D_bDpT10_ENKUlT_T0_E_clISt17integral_constantIbLb1EES1P_IbLb0EEEEDaS1L_S1M_EUlS1L_E_NS1_11comp_targetILNS1_3genE2ELNS1_11target_archE906ELNS1_3gpuE6ELNS1_3repE0EEENS1_30default_config_static_selectorELNS0_4arch9wavefront6targetE0EEEvSZ_ ; -- Begin function _ZN7rocprim17ROCPRIM_400000_NS6detail17trampoline_kernelINS0_13select_configILj256ELj13ELNS0_17block_load_methodE3ELS4_3ELS4_3ELNS0_20block_scan_algorithmE0ELj4294967295EEENS1_25partition_config_selectorILNS1_17partition_subalgoE3EjNS0_10empty_typeEbEEZZNS1_14partition_implILS8_3ELb0ES6_jNS0_17counting_iteratorIjlEEPS9_SE_NS0_5tupleIJPjSE_EEENSF_IJSE_SE_EEES9_SG_JZNS1_25segmented_radix_sort_implINS0_14default_configELb0EPK12hip_bfloat16PSL_PKlPlN2at6native12_GLOBAL__N_18offset_tEEE10hipError_tPvRmT1_PNSt15iterator_traitsISZ_E10value_typeET2_T3_PNS10_IS15_E10value_typeET4_jRbjT5_S1B_jjP12ihipStream_tbEUljE_EEESW_SX_SY_S15_S19_S1B_T6_T7_T9_mT8_S1D_bDpT10_ENKUlT_T0_E_clISt17integral_constantIbLb1EES1P_IbLb0EEEEDaS1L_S1M_EUlS1L_E_NS1_11comp_targetILNS1_3genE2ELNS1_11target_archE906ELNS1_3gpuE6ELNS1_3repE0EEENS1_30default_config_static_selectorELNS0_4arch9wavefront6targetE0EEEvSZ_
	.p2align	8
	.type	_ZN7rocprim17ROCPRIM_400000_NS6detail17trampoline_kernelINS0_13select_configILj256ELj13ELNS0_17block_load_methodE3ELS4_3ELS4_3ELNS0_20block_scan_algorithmE0ELj4294967295EEENS1_25partition_config_selectorILNS1_17partition_subalgoE3EjNS0_10empty_typeEbEEZZNS1_14partition_implILS8_3ELb0ES6_jNS0_17counting_iteratorIjlEEPS9_SE_NS0_5tupleIJPjSE_EEENSF_IJSE_SE_EEES9_SG_JZNS1_25segmented_radix_sort_implINS0_14default_configELb0EPK12hip_bfloat16PSL_PKlPlN2at6native12_GLOBAL__N_18offset_tEEE10hipError_tPvRmT1_PNSt15iterator_traitsISZ_E10value_typeET2_T3_PNS10_IS15_E10value_typeET4_jRbjT5_S1B_jjP12ihipStream_tbEUljE_EEESW_SX_SY_S15_S19_S1B_T6_T7_T9_mT8_S1D_bDpT10_ENKUlT_T0_E_clISt17integral_constantIbLb1EES1P_IbLb0EEEEDaS1L_S1M_EUlS1L_E_NS1_11comp_targetILNS1_3genE2ELNS1_11target_archE906ELNS1_3gpuE6ELNS1_3repE0EEENS1_30default_config_static_selectorELNS0_4arch9wavefront6targetE0EEEvSZ_,@function
_ZN7rocprim17ROCPRIM_400000_NS6detail17trampoline_kernelINS0_13select_configILj256ELj13ELNS0_17block_load_methodE3ELS4_3ELS4_3ELNS0_20block_scan_algorithmE0ELj4294967295EEENS1_25partition_config_selectorILNS1_17partition_subalgoE3EjNS0_10empty_typeEbEEZZNS1_14partition_implILS8_3ELb0ES6_jNS0_17counting_iteratorIjlEEPS9_SE_NS0_5tupleIJPjSE_EEENSF_IJSE_SE_EEES9_SG_JZNS1_25segmented_radix_sort_implINS0_14default_configELb0EPK12hip_bfloat16PSL_PKlPlN2at6native12_GLOBAL__N_18offset_tEEE10hipError_tPvRmT1_PNSt15iterator_traitsISZ_E10value_typeET2_T3_PNS10_IS15_E10value_typeET4_jRbjT5_S1B_jjP12ihipStream_tbEUljE_EEESW_SX_SY_S15_S19_S1B_T6_T7_T9_mT8_S1D_bDpT10_ENKUlT_T0_E_clISt17integral_constantIbLb1EES1P_IbLb0EEEEDaS1L_S1M_EUlS1L_E_NS1_11comp_targetILNS1_3genE2ELNS1_11target_archE906ELNS1_3gpuE6ELNS1_3repE0EEENS1_30default_config_static_selectorELNS0_4arch9wavefront6targetE0EEEvSZ_: ; @_ZN7rocprim17ROCPRIM_400000_NS6detail17trampoline_kernelINS0_13select_configILj256ELj13ELNS0_17block_load_methodE3ELS4_3ELS4_3ELNS0_20block_scan_algorithmE0ELj4294967295EEENS1_25partition_config_selectorILNS1_17partition_subalgoE3EjNS0_10empty_typeEbEEZZNS1_14partition_implILS8_3ELb0ES6_jNS0_17counting_iteratorIjlEEPS9_SE_NS0_5tupleIJPjSE_EEENSF_IJSE_SE_EEES9_SG_JZNS1_25segmented_radix_sort_implINS0_14default_configELb0EPK12hip_bfloat16PSL_PKlPlN2at6native12_GLOBAL__N_18offset_tEEE10hipError_tPvRmT1_PNSt15iterator_traitsISZ_E10value_typeET2_T3_PNS10_IS15_E10value_typeET4_jRbjT5_S1B_jjP12ihipStream_tbEUljE_EEESW_SX_SY_S15_S19_S1B_T6_T7_T9_mT8_S1D_bDpT10_ENKUlT_T0_E_clISt17integral_constantIbLb1EES1P_IbLb0EEEEDaS1L_S1M_EUlS1L_E_NS1_11comp_targetILNS1_3genE2ELNS1_11target_archE906ELNS1_3gpuE6ELNS1_3repE0EEENS1_30default_config_static_selectorELNS0_4arch9wavefront6targetE0EEEvSZ_
; %bb.0:
	.section	.rodata,"a",@progbits
	.p2align	6, 0x0
	.amdhsa_kernel _ZN7rocprim17ROCPRIM_400000_NS6detail17trampoline_kernelINS0_13select_configILj256ELj13ELNS0_17block_load_methodE3ELS4_3ELS4_3ELNS0_20block_scan_algorithmE0ELj4294967295EEENS1_25partition_config_selectorILNS1_17partition_subalgoE3EjNS0_10empty_typeEbEEZZNS1_14partition_implILS8_3ELb0ES6_jNS0_17counting_iteratorIjlEEPS9_SE_NS0_5tupleIJPjSE_EEENSF_IJSE_SE_EEES9_SG_JZNS1_25segmented_radix_sort_implINS0_14default_configELb0EPK12hip_bfloat16PSL_PKlPlN2at6native12_GLOBAL__N_18offset_tEEE10hipError_tPvRmT1_PNSt15iterator_traitsISZ_E10value_typeET2_T3_PNS10_IS15_E10value_typeET4_jRbjT5_S1B_jjP12ihipStream_tbEUljE_EEESW_SX_SY_S15_S19_S1B_T6_T7_T9_mT8_S1D_bDpT10_ENKUlT_T0_E_clISt17integral_constantIbLb1EES1P_IbLb0EEEEDaS1L_S1M_EUlS1L_E_NS1_11comp_targetILNS1_3genE2ELNS1_11target_archE906ELNS1_3gpuE6ELNS1_3repE0EEENS1_30default_config_static_selectorELNS0_4arch9wavefront6targetE0EEEvSZ_
		.amdhsa_group_segment_fixed_size 0
		.amdhsa_private_segment_fixed_size 0
		.amdhsa_kernarg_size 144
		.amdhsa_user_sgpr_count 6
		.amdhsa_user_sgpr_private_segment_buffer 1
		.amdhsa_user_sgpr_dispatch_ptr 0
		.amdhsa_user_sgpr_queue_ptr 0
		.amdhsa_user_sgpr_kernarg_segment_ptr 1
		.amdhsa_user_sgpr_dispatch_id 0
		.amdhsa_user_sgpr_flat_scratch_init 0
		.amdhsa_user_sgpr_private_segment_size 0
		.amdhsa_wavefront_size32 1
		.amdhsa_uses_dynamic_stack 0
		.amdhsa_system_sgpr_private_segment_wavefront_offset 0
		.amdhsa_system_sgpr_workgroup_id_x 1
		.amdhsa_system_sgpr_workgroup_id_y 0
		.amdhsa_system_sgpr_workgroup_id_z 0
		.amdhsa_system_sgpr_workgroup_info 0
		.amdhsa_system_vgpr_workitem_id 0
		.amdhsa_next_free_vgpr 1
		.amdhsa_next_free_sgpr 1
		.amdhsa_reserve_vcc 0
		.amdhsa_reserve_flat_scratch 0
		.amdhsa_float_round_mode_32 0
		.amdhsa_float_round_mode_16_64 0
		.amdhsa_float_denorm_mode_32 3
		.amdhsa_float_denorm_mode_16_64 3
		.amdhsa_dx10_clamp 1
		.amdhsa_ieee_mode 1
		.amdhsa_fp16_overflow 0
		.amdhsa_workgroup_processor_mode 1
		.amdhsa_memory_ordered 1
		.amdhsa_forward_progress 1
		.amdhsa_shared_vgpr_count 0
		.amdhsa_exception_fp_ieee_invalid_op 0
		.amdhsa_exception_fp_denorm_src 0
		.amdhsa_exception_fp_ieee_div_zero 0
		.amdhsa_exception_fp_ieee_overflow 0
		.amdhsa_exception_fp_ieee_underflow 0
		.amdhsa_exception_fp_ieee_inexact 0
		.amdhsa_exception_int_div_zero 0
	.end_amdhsa_kernel
	.section	.text._ZN7rocprim17ROCPRIM_400000_NS6detail17trampoline_kernelINS0_13select_configILj256ELj13ELNS0_17block_load_methodE3ELS4_3ELS4_3ELNS0_20block_scan_algorithmE0ELj4294967295EEENS1_25partition_config_selectorILNS1_17partition_subalgoE3EjNS0_10empty_typeEbEEZZNS1_14partition_implILS8_3ELb0ES6_jNS0_17counting_iteratorIjlEEPS9_SE_NS0_5tupleIJPjSE_EEENSF_IJSE_SE_EEES9_SG_JZNS1_25segmented_radix_sort_implINS0_14default_configELb0EPK12hip_bfloat16PSL_PKlPlN2at6native12_GLOBAL__N_18offset_tEEE10hipError_tPvRmT1_PNSt15iterator_traitsISZ_E10value_typeET2_T3_PNS10_IS15_E10value_typeET4_jRbjT5_S1B_jjP12ihipStream_tbEUljE_EEESW_SX_SY_S15_S19_S1B_T6_T7_T9_mT8_S1D_bDpT10_ENKUlT_T0_E_clISt17integral_constantIbLb1EES1P_IbLb0EEEEDaS1L_S1M_EUlS1L_E_NS1_11comp_targetILNS1_3genE2ELNS1_11target_archE906ELNS1_3gpuE6ELNS1_3repE0EEENS1_30default_config_static_selectorELNS0_4arch9wavefront6targetE0EEEvSZ_,"axG",@progbits,_ZN7rocprim17ROCPRIM_400000_NS6detail17trampoline_kernelINS0_13select_configILj256ELj13ELNS0_17block_load_methodE3ELS4_3ELS4_3ELNS0_20block_scan_algorithmE0ELj4294967295EEENS1_25partition_config_selectorILNS1_17partition_subalgoE3EjNS0_10empty_typeEbEEZZNS1_14partition_implILS8_3ELb0ES6_jNS0_17counting_iteratorIjlEEPS9_SE_NS0_5tupleIJPjSE_EEENSF_IJSE_SE_EEES9_SG_JZNS1_25segmented_radix_sort_implINS0_14default_configELb0EPK12hip_bfloat16PSL_PKlPlN2at6native12_GLOBAL__N_18offset_tEEE10hipError_tPvRmT1_PNSt15iterator_traitsISZ_E10value_typeET2_T3_PNS10_IS15_E10value_typeET4_jRbjT5_S1B_jjP12ihipStream_tbEUljE_EEESW_SX_SY_S15_S19_S1B_T6_T7_T9_mT8_S1D_bDpT10_ENKUlT_T0_E_clISt17integral_constantIbLb1EES1P_IbLb0EEEEDaS1L_S1M_EUlS1L_E_NS1_11comp_targetILNS1_3genE2ELNS1_11target_archE906ELNS1_3gpuE6ELNS1_3repE0EEENS1_30default_config_static_selectorELNS0_4arch9wavefront6targetE0EEEvSZ_,comdat
.Lfunc_end2027:
	.size	_ZN7rocprim17ROCPRIM_400000_NS6detail17trampoline_kernelINS0_13select_configILj256ELj13ELNS0_17block_load_methodE3ELS4_3ELS4_3ELNS0_20block_scan_algorithmE0ELj4294967295EEENS1_25partition_config_selectorILNS1_17partition_subalgoE3EjNS0_10empty_typeEbEEZZNS1_14partition_implILS8_3ELb0ES6_jNS0_17counting_iteratorIjlEEPS9_SE_NS0_5tupleIJPjSE_EEENSF_IJSE_SE_EEES9_SG_JZNS1_25segmented_radix_sort_implINS0_14default_configELb0EPK12hip_bfloat16PSL_PKlPlN2at6native12_GLOBAL__N_18offset_tEEE10hipError_tPvRmT1_PNSt15iterator_traitsISZ_E10value_typeET2_T3_PNS10_IS15_E10value_typeET4_jRbjT5_S1B_jjP12ihipStream_tbEUljE_EEESW_SX_SY_S15_S19_S1B_T6_T7_T9_mT8_S1D_bDpT10_ENKUlT_T0_E_clISt17integral_constantIbLb1EES1P_IbLb0EEEEDaS1L_S1M_EUlS1L_E_NS1_11comp_targetILNS1_3genE2ELNS1_11target_archE906ELNS1_3gpuE6ELNS1_3repE0EEENS1_30default_config_static_selectorELNS0_4arch9wavefront6targetE0EEEvSZ_, .Lfunc_end2027-_ZN7rocprim17ROCPRIM_400000_NS6detail17trampoline_kernelINS0_13select_configILj256ELj13ELNS0_17block_load_methodE3ELS4_3ELS4_3ELNS0_20block_scan_algorithmE0ELj4294967295EEENS1_25partition_config_selectorILNS1_17partition_subalgoE3EjNS0_10empty_typeEbEEZZNS1_14partition_implILS8_3ELb0ES6_jNS0_17counting_iteratorIjlEEPS9_SE_NS0_5tupleIJPjSE_EEENSF_IJSE_SE_EEES9_SG_JZNS1_25segmented_radix_sort_implINS0_14default_configELb0EPK12hip_bfloat16PSL_PKlPlN2at6native12_GLOBAL__N_18offset_tEEE10hipError_tPvRmT1_PNSt15iterator_traitsISZ_E10value_typeET2_T3_PNS10_IS15_E10value_typeET4_jRbjT5_S1B_jjP12ihipStream_tbEUljE_EEESW_SX_SY_S15_S19_S1B_T6_T7_T9_mT8_S1D_bDpT10_ENKUlT_T0_E_clISt17integral_constantIbLb1EES1P_IbLb0EEEEDaS1L_S1M_EUlS1L_E_NS1_11comp_targetILNS1_3genE2ELNS1_11target_archE906ELNS1_3gpuE6ELNS1_3repE0EEENS1_30default_config_static_selectorELNS0_4arch9wavefront6targetE0EEEvSZ_
                                        ; -- End function
	.set _ZN7rocprim17ROCPRIM_400000_NS6detail17trampoline_kernelINS0_13select_configILj256ELj13ELNS0_17block_load_methodE3ELS4_3ELS4_3ELNS0_20block_scan_algorithmE0ELj4294967295EEENS1_25partition_config_selectorILNS1_17partition_subalgoE3EjNS0_10empty_typeEbEEZZNS1_14partition_implILS8_3ELb0ES6_jNS0_17counting_iteratorIjlEEPS9_SE_NS0_5tupleIJPjSE_EEENSF_IJSE_SE_EEES9_SG_JZNS1_25segmented_radix_sort_implINS0_14default_configELb0EPK12hip_bfloat16PSL_PKlPlN2at6native12_GLOBAL__N_18offset_tEEE10hipError_tPvRmT1_PNSt15iterator_traitsISZ_E10value_typeET2_T3_PNS10_IS15_E10value_typeET4_jRbjT5_S1B_jjP12ihipStream_tbEUljE_EEESW_SX_SY_S15_S19_S1B_T6_T7_T9_mT8_S1D_bDpT10_ENKUlT_T0_E_clISt17integral_constantIbLb1EES1P_IbLb0EEEEDaS1L_S1M_EUlS1L_E_NS1_11comp_targetILNS1_3genE2ELNS1_11target_archE906ELNS1_3gpuE6ELNS1_3repE0EEENS1_30default_config_static_selectorELNS0_4arch9wavefront6targetE0EEEvSZ_.num_vgpr, 0
	.set _ZN7rocprim17ROCPRIM_400000_NS6detail17trampoline_kernelINS0_13select_configILj256ELj13ELNS0_17block_load_methodE3ELS4_3ELS4_3ELNS0_20block_scan_algorithmE0ELj4294967295EEENS1_25partition_config_selectorILNS1_17partition_subalgoE3EjNS0_10empty_typeEbEEZZNS1_14partition_implILS8_3ELb0ES6_jNS0_17counting_iteratorIjlEEPS9_SE_NS0_5tupleIJPjSE_EEENSF_IJSE_SE_EEES9_SG_JZNS1_25segmented_radix_sort_implINS0_14default_configELb0EPK12hip_bfloat16PSL_PKlPlN2at6native12_GLOBAL__N_18offset_tEEE10hipError_tPvRmT1_PNSt15iterator_traitsISZ_E10value_typeET2_T3_PNS10_IS15_E10value_typeET4_jRbjT5_S1B_jjP12ihipStream_tbEUljE_EEESW_SX_SY_S15_S19_S1B_T6_T7_T9_mT8_S1D_bDpT10_ENKUlT_T0_E_clISt17integral_constantIbLb1EES1P_IbLb0EEEEDaS1L_S1M_EUlS1L_E_NS1_11comp_targetILNS1_3genE2ELNS1_11target_archE906ELNS1_3gpuE6ELNS1_3repE0EEENS1_30default_config_static_selectorELNS0_4arch9wavefront6targetE0EEEvSZ_.num_agpr, 0
	.set _ZN7rocprim17ROCPRIM_400000_NS6detail17trampoline_kernelINS0_13select_configILj256ELj13ELNS0_17block_load_methodE3ELS4_3ELS4_3ELNS0_20block_scan_algorithmE0ELj4294967295EEENS1_25partition_config_selectorILNS1_17partition_subalgoE3EjNS0_10empty_typeEbEEZZNS1_14partition_implILS8_3ELb0ES6_jNS0_17counting_iteratorIjlEEPS9_SE_NS0_5tupleIJPjSE_EEENSF_IJSE_SE_EEES9_SG_JZNS1_25segmented_radix_sort_implINS0_14default_configELb0EPK12hip_bfloat16PSL_PKlPlN2at6native12_GLOBAL__N_18offset_tEEE10hipError_tPvRmT1_PNSt15iterator_traitsISZ_E10value_typeET2_T3_PNS10_IS15_E10value_typeET4_jRbjT5_S1B_jjP12ihipStream_tbEUljE_EEESW_SX_SY_S15_S19_S1B_T6_T7_T9_mT8_S1D_bDpT10_ENKUlT_T0_E_clISt17integral_constantIbLb1EES1P_IbLb0EEEEDaS1L_S1M_EUlS1L_E_NS1_11comp_targetILNS1_3genE2ELNS1_11target_archE906ELNS1_3gpuE6ELNS1_3repE0EEENS1_30default_config_static_selectorELNS0_4arch9wavefront6targetE0EEEvSZ_.numbered_sgpr, 0
	.set _ZN7rocprim17ROCPRIM_400000_NS6detail17trampoline_kernelINS0_13select_configILj256ELj13ELNS0_17block_load_methodE3ELS4_3ELS4_3ELNS0_20block_scan_algorithmE0ELj4294967295EEENS1_25partition_config_selectorILNS1_17partition_subalgoE3EjNS0_10empty_typeEbEEZZNS1_14partition_implILS8_3ELb0ES6_jNS0_17counting_iteratorIjlEEPS9_SE_NS0_5tupleIJPjSE_EEENSF_IJSE_SE_EEES9_SG_JZNS1_25segmented_radix_sort_implINS0_14default_configELb0EPK12hip_bfloat16PSL_PKlPlN2at6native12_GLOBAL__N_18offset_tEEE10hipError_tPvRmT1_PNSt15iterator_traitsISZ_E10value_typeET2_T3_PNS10_IS15_E10value_typeET4_jRbjT5_S1B_jjP12ihipStream_tbEUljE_EEESW_SX_SY_S15_S19_S1B_T6_T7_T9_mT8_S1D_bDpT10_ENKUlT_T0_E_clISt17integral_constantIbLb1EES1P_IbLb0EEEEDaS1L_S1M_EUlS1L_E_NS1_11comp_targetILNS1_3genE2ELNS1_11target_archE906ELNS1_3gpuE6ELNS1_3repE0EEENS1_30default_config_static_selectorELNS0_4arch9wavefront6targetE0EEEvSZ_.num_named_barrier, 0
	.set _ZN7rocprim17ROCPRIM_400000_NS6detail17trampoline_kernelINS0_13select_configILj256ELj13ELNS0_17block_load_methodE3ELS4_3ELS4_3ELNS0_20block_scan_algorithmE0ELj4294967295EEENS1_25partition_config_selectorILNS1_17partition_subalgoE3EjNS0_10empty_typeEbEEZZNS1_14partition_implILS8_3ELb0ES6_jNS0_17counting_iteratorIjlEEPS9_SE_NS0_5tupleIJPjSE_EEENSF_IJSE_SE_EEES9_SG_JZNS1_25segmented_radix_sort_implINS0_14default_configELb0EPK12hip_bfloat16PSL_PKlPlN2at6native12_GLOBAL__N_18offset_tEEE10hipError_tPvRmT1_PNSt15iterator_traitsISZ_E10value_typeET2_T3_PNS10_IS15_E10value_typeET4_jRbjT5_S1B_jjP12ihipStream_tbEUljE_EEESW_SX_SY_S15_S19_S1B_T6_T7_T9_mT8_S1D_bDpT10_ENKUlT_T0_E_clISt17integral_constantIbLb1EES1P_IbLb0EEEEDaS1L_S1M_EUlS1L_E_NS1_11comp_targetILNS1_3genE2ELNS1_11target_archE906ELNS1_3gpuE6ELNS1_3repE0EEENS1_30default_config_static_selectorELNS0_4arch9wavefront6targetE0EEEvSZ_.private_seg_size, 0
	.set _ZN7rocprim17ROCPRIM_400000_NS6detail17trampoline_kernelINS0_13select_configILj256ELj13ELNS0_17block_load_methodE3ELS4_3ELS4_3ELNS0_20block_scan_algorithmE0ELj4294967295EEENS1_25partition_config_selectorILNS1_17partition_subalgoE3EjNS0_10empty_typeEbEEZZNS1_14partition_implILS8_3ELb0ES6_jNS0_17counting_iteratorIjlEEPS9_SE_NS0_5tupleIJPjSE_EEENSF_IJSE_SE_EEES9_SG_JZNS1_25segmented_radix_sort_implINS0_14default_configELb0EPK12hip_bfloat16PSL_PKlPlN2at6native12_GLOBAL__N_18offset_tEEE10hipError_tPvRmT1_PNSt15iterator_traitsISZ_E10value_typeET2_T3_PNS10_IS15_E10value_typeET4_jRbjT5_S1B_jjP12ihipStream_tbEUljE_EEESW_SX_SY_S15_S19_S1B_T6_T7_T9_mT8_S1D_bDpT10_ENKUlT_T0_E_clISt17integral_constantIbLb1EES1P_IbLb0EEEEDaS1L_S1M_EUlS1L_E_NS1_11comp_targetILNS1_3genE2ELNS1_11target_archE906ELNS1_3gpuE6ELNS1_3repE0EEENS1_30default_config_static_selectorELNS0_4arch9wavefront6targetE0EEEvSZ_.uses_vcc, 0
	.set _ZN7rocprim17ROCPRIM_400000_NS6detail17trampoline_kernelINS0_13select_configILj256ELj13ELNS0_17block_load_methodE3ELS4_3ELS4_3ELNS0_20block_scan_algorithmE0ELj4294967295EEENS1_25partition_config_selectorILNS1_17partition_subalgoE3EjNS0_10empty_typeEbEEZZNS1_14partition_implILS8_3ELb0ES6_jNS0_17counting_iteratorIjlEEPS9_SE_NS0_5tupleIJPjSE_EEENSF_IJSE_SE_EEES9_SG_JZNS1_25segmented_radix_sort_implINS0_14default_configELb0EPK12hip_bfloat16PSL_PKlPlN2at6native12_GLOBAL__N_18offset_tEEE10hipError_tPvRmT1_PNSt15iterator_traitsISZ_E10value_typeET2_T3_PNS10_IS15_E10value_typeET4_jRbjT5_S1B_jjP12ihipStream_tbEUljE_EEESW_SX_SY_S15_S19_S1B_T6_T7_T9_mT8_S1D_bDpT10_ENKUlT_T0_E_clISt17integral_constantIbLb1EES1P_IbLb0EEEEDaS1L_S1M_EUlS1L_E_NS1_11comp_targetILNS1_3genE2ELNS1_11target_archE906ELNS1_3gpuE6ELNS1_3repE0EEENS1_30default_config_static_selectorELNS0_4arch9wavefront6targetE0EEEvSZ_.uses_flat_scratch, 0
	.set _ZN7rocprim17ROCPRIM_400000_NS6detail17trampoline_kernelINS0_13select_configILj256ELj13ELNS0_17block_load_methodE3ELS4_3ELS4_3ELNS0_20block_scan_algorithmE0ELj4294967295EEENS1_25partition_config_selectorILNS1_17partition_subalgoE3EjNS0_10empty_typeEbEEZZNS1_14partition_implILS8_3ELb0ES6_jNS0_17counting_iteratorIjlEEPS9_SE_NS0_5tupleIJPjSE_EEENSF_IJSE_SE_EEES9_SG_JZNS1_25segmented_radix_sort_implINS0_14default_configELb0EPK12hip_bfloat16PSL_PKlPlN2at6native12_GLOBAL__N_18offset_tEEE10hipError_tPvRmT1_PNSt15iterator_traitsISZ_E10value_typeET2_T3_PNS10_IS15_E10value_typeET4_jRbjT5_S1B_jjP12ihipStream_tbEUljE_EEESW_SX_SY_S15_S19_S1B_T6_T7_T9_mT8_S1D_bDpT10_ENKUlT_T0_E_clISt17integral_constantIbLb1EES1P_IbLb0EEEEDaS1L_S1M_EUlS1L_E_NS1_11comp_targetILNS1_3genE2ELNS1_11target_archE906ELNS1_3gpuE6ELNS1_3repE0EEENS1_30default_config_static_selectorELNS0_4arch9wavefront6targetE0EEEvSZ_.has_dyn_sized_stack, 0
	.set _ZN7rocprim17ROCPRIM_400000_NS6detail17trampoline_kernelINS0_13select_configILj256ELj13ELNS0_17block_load_methodE3ELS4_3ELS4_3ELNS0_20block_scan_algorithmE0ELj4294967295EEENS1_25partition_config_selectorILNS1_17partition_subalgoE3EjNS0_10empty_typeEbEEZZNS1_14partition_implILS8_3ELb0ES6_jNS0_17counting_iteratorIjlEEPS9_SE_NS0_5tupleIJPjSE_EEENSF_IJSE_SE_EEES9_SG_JZNS1_25segmented_radix_sort_implINS0_14default_configELb0EPK12hip_bfloat16PSL_PKlPlN2at6native12_GLOBAL__N_18offset_tEEE10hipError_tPvRmT1_PNSt15iterator_traitsISZ_E10value_typeET2_T3_PNS10_IS15_E10value_typeET4_jRbjT5_S1B_jjP12ihipStream_tbEUljE_EEESW_SX_SY_S15_S19_S1B_T6_T7_T9_mT8_S1D_bDpT10_ENKUlT_T0_E_clISt17integral_constantIbLb1EES1P_IbLb0EEEEDaS1L_S1M_EUlS1L_E_NS1_11comp_targetILNS1_3genE2ELNS1_11target_archE906ELNS1_3gpuE6ELNS1_3repE0EEENS1_30default_config_static_selectorELNS0_4arch9wavefront6targetE0EEEvSZ_.has_recursion, 0
	.set _ZN7rocprim17ROCPRIM_400000_NS6detail17trampoline_kernelINS0_13select_configILj256ELj13ELNS0_17block_load_methodE3ELS4_3ELS4_3ELNS0_20block_scan_algorithmE0ELj4294967295EEENS1_25partition_config_selectorILNS1_17partition_subalgoE3EjNS0_10empty_typeEbEEZZNS1_14partition_implILS8_3ELb0ES6_jNS0_17counting_iteratorIjlEEPS9_SE_NS0_5tupleIJPjSE_EEENSF_IJSE_SE_EEES9_SG_JZNS1_25segmented_radix_sort_implINS0_14default_configELb0EPK12hip_bfloat16PSL_PKlPlN2at6native12_GLOBAL__N_18offset_tEEE10hipError_tPvRmT1_PNSt15iterator_traitsISZ_E10value_typeET2_T3_PNS10_IS15_E10value_typeET4_jRbjT5_S1B_jjP12ihipStream_tbEUljE_EEESW_SX_SY_S15_S19_S1B_T6_T7_T9_mT8_S1D_bDpT10_ENKUlT_T0_E_clISt17integral_constantIbLb1EES1P_IbLb0EEEEDaS1L_S1M_EUlS1L_E_NS1_11comp_targetILNS1_3genE2ELNS1_11target_archE906ELNS1_3gpuE6ELNS1_3repE0EEENS1_30default_config_static_selectorELNS0_4arch9wavefront6targetE0EEEvSZ_.has_indirect_call, 0
	.section	.AMDGPU.csdata,"",@progbits
; Kernel info:
; codeLenInByte = 0
; TotalNumSgprs: 0
; NumVgprs: 0
; ScratchSize: 0
; MemoryBound: 0
; FloatMode: 240
; IeeeMode: 1
; LDSByteSize: 0 bytes/workgroup (compile time only)
; SGPRBlocks: 0
; VGPRBlocks: 0
; NumSGPRsForWavesPerEU: 1
; NumVGPRsForWavesPerEU: 1
; Occupancy: 16
; WaveLimiterHint : 0
; COMPUTE_PGM_RSRC2:SCRATCH_EN: 0
; COMPUTE_PGM_RSRC2:USER_SGPR: 6
; COMPUTE_PGM_RSRC2:TRAP_HANDLER: 0
; COMPUTE_PGM_RSRC2:TGID_X_EN: 1
; COMPUTE_PGM_RSRC2:TGID_Y_EN: 0
; COMPUTE_PGM_RSRC2:TGID_Z_EN: 0
; COMPUTE_PGM_RSRC2:TIDIG_COMP_CNT: 0
	.section	.text._ZN7rocprim17ROCPRIM_400000_NS6detail17trampoline_kernelINS0_13select_configILj256ELj13ELNS0_17block_load_methodE3ELS4_3ELS4_3ELNS0_20block_scan_algorithmE0ELj4294967295EEENS1_25partition_config_selectorILNS1_17partition_subalgoE3EjNS0_10empty_typeEbEEZZNS1_14partition_implILS8_3ELb0ES6_jNS0_17counting_iteratorIjlEEPS9_SE_NS0_5tupleIJPjSE_EEENSF_IJSE_SE_EEES9_SG_JZNS1_25segmented_radix_sort_implINS0_14default_configELb0EPK12hip_bfloat16PSL_PKlPlN2at6native12_GLOBAL__N_18offset_tEEE10hipError_tPvRmT1_PNSt15iterator_traitsISZ_E10value_typeET2_T3_PNS10_IS15_E10value_typeET4_jRbjT5_S1B_jjP12ihipStream_tbEUljE_EEESW_SX_SY_S15_S19_S1B_T6_T7_T9_mT8_S1D_bDpT10_ENKUlT_T0_E_clISt17integral_constantIbLb1EES1P_IbLb0EEEEDaS1L_S1M_EUlS1L_E_NS1_11comp_targetILNS1_3genE10ELNS1_11target_archE1200ELNS1_3gpuE4ELNS1_3repE0EEENS1_30default_config_static_selectorELNS0_4arch9wavefront6targetE0EEEvSZ_,"axG",@progbits,_ZN7rocprim17ROCPRIM_400000_NS6detail17trampoline_kernelINS0_13select_configILj256ELj13ELNS0_17block_load_methodE3ELS4_3ELS4_3ELNS0_20block_scan_algorithmE0ELj4294967295EEENS1_25partition_config_selectorILNS1_17partition_subalgoE3EjNS0_10empty_typeEbEEZZNS1_14partition_implILS8_3ELb0ES6_jNS0_17counting_iteratorIjlEEPS9_SE_NS0_5tupleIJPjSE_EEENSF_IJSE_SE_EEES9_SG_JZNS1_25segmented_radix_sort_implINS0_14default_configELb0EPK12hip_bfloat16PSL_PKlPlN2at6native12_GLOBAL__N_18offset_tEEE10hipError_tPvRmT1_PNSt15iterator_traitsISZ_E10value_typeET2_T3_PNS10_IS15_E10value_typeET4_jRbjT5_S1B_jjP12ihipStream_tbEUljE_EEESW_SX_SY_S15_S19_S1B_T6_T7_T9_mT8_S1D_bDpT10_ENKUlT_T0_E_clISt17integral_constantIbLb1EES1P_IbLb0EEEEDaS1L_S1M_EUlS1L_E_NS1_11comp_targetILNS1_3genE10ELNS1_11target_archE1200ELNS1_3gpuE4ELNS1_3repE0EEENS1_30default_config_static_selectorELNS0_4arch9wavefront6targetE0EEEvSZ_,comdat
	.globl	_ZN7rocprim17ROCPRIM_400000_NS6detail17trampoline_kernelINS0_13select_configILj256ELj13ELNS0_17block_load_methodE3ELS4_3ELS4_3ELNS0_20block_scan_algorithmE0ELj4294967295EEENS1_25partition_config_selectorILNS1_17partition_subalgoE3EjNS0_10empty_typeEbEEZZNS1_14partition_implILS8_3ELb0ES6_jNS0_17counting_iteratorIjlEEPS9_SE_NS0_5tupleIJPjSE_EEENSF_IJSE_SE_EEES9_SG_JZNS1_25segmented_radix_sort_implINS0_14default_configELb0EPK12hip_bfloat16PSL_PKlPlN2at6native12_GLOBAL__N_18offset_tEEE10hipError_tPvRmT1_PNSt15iterator_traitsISZ_E10value_typeET2_T3_PNS10_IS15_E10value_typeET4_jRbjT5_S1B_jjP12ihipStream_tbEUljE_EEESW_SX_SY_S15_S19_S1B_T6_T7_T9_mT8_S1D_bDpT10_ENKUlT_T0_E_clISt17integral_constantIbLb1EES1P_IbLb0EEEEDaS1L_S1M_EUlS1L_E_NS1_11comp_targetILNS1_3genE10ELNS1_11target_archE1200ELNS1_3gpuE4ELNS1_3repE0EEENS1_30default_config_static_selectorELNS0_4arch9wavefront6targetE0EEEvSZ_ ; -- Begin function _ZN7rocprim17ROCPRIM_400000_NS6detail17trampoline_kernelINS0_13select_configILj256ELj13ELNS0_17block_load_methodE3ELS4_3ELS4_3ELNS0_20block_scan_algorithmE0ELj4294967295EEENS1_25partition_config_selectorILNS1_17partition_subalgoE3EjNS0_10empty_typeEbEEZZNS1_14partition_implILS8_3ELb0ES6_jNS0_17counting_iteratorIjlEEPS9_SE_NS0_5tupleIJPjSE_EEENSF_IJSE_SE_EEES9_SG_JZNS1_25segmented_radix_sort_implINS0_14default_configELb0EPK12hip_bfloat16PSL_PKlPlN2at6native12_GLOBAL__N_18offset_tEEE10hipError_tPvRmT1_PNSt15iterator_traitsISZ_E10value_typeET2_T3_PNS10_IS15_E10value_typeET4_jRbjT5_S1B_jjP12ihipStream_tbEUljE_EEESW_SX_SY_S15_S19_S1B_T6_T7_T9_mT8_S1D_bDpT10_ENKUlT_T0_E_clISt17integral_constantIbLb1EES1P_IbLb0EEEEDaS1L_S1M_EUlS1L_E_NS1_11comp_targetILNS1_3genE10ELNS1_11target_archE1200ELNS1_3gpuE4ELNS1_3repE0EEENS1_30default_config_static_selectorELNS0_4arch9wavefront6targetE0EEEvSZ_
	.p2align	8
	.type	_ZN7rocprim17ROCPRIM_400000_NS6detail17trampoline_kernelINS0_13select_configILj256ELj13ELNS0_17block_load_methodE3ELS4_3ELS4_3ELNS0_20block_scan_algorithmE0ELj4294967295EEENS1_25partition_config_selectorILNS1_17partition_subalgoE3EjNS0_10empty_typeEbEEZZNS1_14partition_implILS8_3ELb0ES6_jNS0_17counting_iteratorIjlEEPS9_SE_NS0_5tupleIJPjSE_EEENSF_IJSE_SE_EEES9_SG_JZNS1_25segmented_radix_sort_implINS0_14default_configELb0EPK12hip_bfloat16PSL_PKlPlN2at6native12_GLOBAL__N_18offset_tEEE10hipError_tPvRmT1_PNSt15iterator_traitsISZ_E10value_typeET2_T3_PNS10_IS15_E10value_typeET4_jRbjT5_S1B_jjP12ihipStream_tbEUljE_EEESW_SX_SY_S15_S19_S1B_T6_T7_T9_mT8_S1D_bDpT10_ENKUlT_T0_E_clISt17integral_constantIbLb1EES1P_IbLb0EEEEDaS1L_S1M_EUlS1L_E_NS1_11comp_targetILNS1_3genE10ELNS1_11target_archE1200ELNS1_3gpuE4ELNS1_3repE0EEENS1_30default_config_static_selectorELNS0_4arch9wavefront6targetE0EEEvSZ_,@function
_ZN7rocprim17ROCPRIM_400000_NS6detail17trampoline_kernelINS0_13select_configILj256ELj13ELNS0_17block_load_methodE3ELS4_3ELS4_3ELNS0_20block_scan_algorithmE0ELj4294967295EEENS1_25partition_config_selectorILNS1_17partition_subalgoE3EjNS0_10empty_typeEbEEZZNS1_14partition_implILS8_3ELb0ES6_jNS0_17counting_iteratorIjlEEPS9_SE_NS0_5tupleIJPjSE_EEENSF_IJSE_SE_EEES9_SG_JZNS1_25segmented_radix_sort_implINS0_14default_configELb0EPK12hip_bfloat16PSL_PKlPlN2at6native12_GLOBAL__N_18offset_tEEE10hipError_tPvRmT1_PNSt15iterator_traitsISZ_E10value_typeET2_T3_PNS10_IS15_E10value_typeET4_jRbjT5_S1B_jjP12ihipStream_tbEUljE_EEESW_SX_SY_S15_S19_S1B_T6_T7_T9_mT8_S1D_bDpT10_ENKUlT_T0_E_clISt17integral_constantIbLb1EES1P_IbLb0EEEEDaS1L_S1M_EUlS1L_E_NS1_11comp_targetILNS1_3genE10ELNS1_11target_archE1200ELNS1_3gpuE4ELNS1_3repE0EEENS1_30default_config_static_selectorELNS0_4arch9wavefront6targetE0EEEvSZ_: ; @_ZN7rocprim17ROCPRIM_400000_NS6detail17trampoline_kernelINS0_13select_configILj256ELj13ELNS0_17block_load_methodE3ELS4_3ELS4_3ELNS0_20block_scan_algorithmE0ELj4294967295EEENS1_25partition_config_selectorILNS1_17partition_subalgoE3EjNS0_10empty_typeEbEEZZNS1_14partition_implILS8_3ELb0ES6_jNS0_17counting_iteratorIjlEEPS9_SE_NS0_5tupleIJPjSE_EEENSF_IJSE_SE_EEES9_SG_JZNS1_25segmented_radix_sort_implINS0_14default_configELb0EPK12hip_bfloat16PSL_PKlPlN2at6native12_GLOBAL__N_18offset_tEEE10hipError_tPvRmT1_PNSt15iterator_traitsISZ_E10value_typeET2_T3_PNS10_IS15_E10value_typeET4_jRbjT5_S1B_jjP12ihipStream_tbEUljE_EEESW_SX_SY_S15_S19_S1B_T6_T7_T9_mT8_S1D_bDpT10_ENKUlT_T0_E_clISt17integral_constantIbLb1EES1P_IbLb0EEEEDaS1L_S1M_EUlS1L_E_NS1_11comp_targetILNS1_3genE10ELNS1_11target_archE1200ELNS1_3gpuE4ELNS1_3repE0EEENS1_30default_config_static_selectorELNS0_4arch9wavefront6targetE0EEEvSZ_
; %bb.0:
	.section	.rodata,"a",@progbits
	.p2align	6, 0x0
	.amdhsa_kernel _ZN7rocprim17ROCPRIM_400000_NS6detail17trampoline_kernelINS0_13select_configILj256ELj13ELNS0_17block_load_methodE3ELS4_3ELS4_3ELNS0_20block_scan_algorithmE0ELj4294967295EEENS1_25partition_config_selectorILNS1_17partition_subalgoE3EjNS0_10empty_typeEbEEZZNS1_14partition_implILS8_3ELb0ES6_jNS0_17counting_iteratorIjlEEPS9_SE_NS0_5tupleIJPjSE_EEENSF_IJSE_SE_EEES9_SG_JZNS1_25segmented_radix_sort_implINS0_14default_configELb0EPK12hip_bfloat16PSL_PKlPlN2at6native12_GLOBAL__N_18offset_tEEE10hipError_tPvRmT1_PNSt15iterator_traitsISZ_E10value_typeET2_T3_PNS10_IS15_E10value_typeET4_jRbjT5_S1B_jjP12ihipStream_tbEUljE_EEESW_SX_SY_S15_S19_S1B_T6_T7_T9_mT8_S1D_bDpT10_ENKUlT_T0_E_clISt17integral_constantIbLb1EES1P_IbLb0EEEEDaS1L_S1M_EUlS1L_E_NS1_11comp_targetILNS1_3genE10ELNS1_11target_archE1200ELNS1_3gpuE4ELNS1_3repE0EEENS1_30default_config_static_selectorELNS0_4arch9wavefront6targetE0EEEvSZ_
		.amdhsa_group_segment_fixed_size 0
		.amdhsa_private_segment_fixed_size 0
		.amdhsa_kernarg_size 144
		.amdhsa_user_sgpr_count 6
		.amdhsa_user_sgpr_private_segment_buffer 1
		.amdhsa_user_sgpr_dispatch_ptr 0
		.amdhsa_user_sgpr_queue_ptr 0
		.amdhsa_user_sgpr_kernarg_segment_ptr 1
		.amdhsa_user_sgpr_dispatch_id 0
		.amdhsa_user_sgpr_flat_scratch_init 0
		.amdhsa_user_sgpr_private_segment_size 0
		.amdhsa_wavefront_size32 1
		.amdhsa_uses_dynamic_stack 0
		.amdhsa_system_sgpr_private_segment_wavefront_offset 0
		.amdhsa_system_sgpr_workgroup_id_x 1
		.amdhsa_system_sgpr_workgroup_id_y 0
		.amdhsa_system_sgpr_workgroup_id_z 0
		.amdhsa_system_sgpr_workgroup_info 0
		.amdhsa_system_vgpr_workitem_id 0
		.amdhsa_next_free_vgpr 1
		.amdhsa_next_free_sgpr 1
		.amdhsa_reserve_vcc 0
		.amdhsa_reserve_flat_scratch 0
		.amdhsa_float_round_mode_32 0
		.amdhsa_float_round_mode_16_64 0
		.amdhsa_float_denorm_mode_32 3
		.amdhsa_float_denorm_mode_16_64 3
		.amdhsa_dx10_clamp 1
		.amdhsa_ieee_mode 1
		.amdhsa_fp16_overflow 0
		.amdhsa_workgroup_processor_mode 1
		.amdhsa_memory_ordered 1
		.amdhsa_forward_progress 1
		.amdhsa_shared_vgpr_count 0
		.amdhsa_exception_fp_ieee_invalid_op 0
		.amdhsa_exception_fp_denorm_src 0
		.amdhsa_exception_fp_ieee_div_zero 0
		.amdhsa_exception_fp_ieee_overflow 0
		.amdhsa_exception_fp_ieee_underflow 0
		.amdhsa_exception_fp_ieee_inexact 0
		.amdhsa_exception_int_div_zero 0
	.end_amdhsa_kernel
	.section	.text._ZN7rocprim17ROCPRIM_400000_NS6detail17trampoline_kernelINS0_13select_configILj256ELj13ELNS0_17block_load_methodE3ELS4_3ELS4_3ELNS0_20block_scan_algorithmE0ELj4294967295EEENS1_25partition_config_selectorILNS1_17partition_subalgoE3EjNS0_10empty_typeEbEEZZNS1_14partition_implILS8_3ELb0ES6_jNS0_17counting_iteratorIjlEEPS9_SE_NS0_5tupleIJPjSE_EEENSF_IJSE_SE_EEES9_SG_JZNS1_25segmented_radix_sort_implINS0_14default_configELb0EPK12hip_bfloat16PSL_PKlPlN2at6native12_GLOBAL__N_18offset_tEEE10hipError_tPvRmT1_PNSt15iterator_traitsISZ_E10value_typeET2_T3_PNS10_IS15_E10value_typeET4_jRbjT5_S1B_jjP12ihipStream_tbEUljE_EEESW_SX_SY_S15_S19_S1B_T6_T7_T9_mT8_S1D_bDpT10_ENKUlT_T0_E_clISt17integral_constantIbLb1EES1P_IbLb0EEEEDaS1L_S1M_EUlS1L_E_NS1_11comp_targetILNS1_3genE10ELNS1_11target_archE1200ELNS1_3gpuE4ELNS1_3repE0EEENS1_30default_config_static_selectorELNS0_4arch9wavefront6targetE0EEEvSZ_,"axG",@progbits,_ZN7rocprim17ROCPRIM_400000_NS6detail17trampoline_kernelINS0_13select_configILj256ELj13ELNS0_17block_load_methodE3ELS4_3ELS4_3ELNS0_20block_scan_algorithmE0ELj4294967295EEENS1_25partition_config_selectorILNS1_17partition_subalgoE3EjNS0_10empty_typeEbEEZZNS1_14partition_implILS8_3ELb0ES6_jNS0_17counting_iteratorIjlEEPS9_SE_NS0_5tupleIJPjSE_EEENSF_IJSE_SE_EEES9_SG_JZNS1_25segmented_radix_sort_implINS0_14default_configELb0EPK12hip_bfloat16PSL_PKlPlN2at6native12_GLOBAL__N_18offset_tEEE10hipError_tPvRmT1_PNSt15iterator_traitsISZ_E10value_typeET2_T3_PNS10_IS15_E10value_typeET4_jRbjT5_S1B_jjP12ihipStream_tbEUljE_EEESW_SX_SY_S15_S19_S1B_T6_T7_T9_mT8_S1D_bDpT10_ENKUlT_T0_E_clISt17integral_constantIbLb1EES1P_IbLb0EEEEDaS1L_S1M_EUlS1L_E_NS1_11comp_targetILNS1_3genE10ELNS1_11target_archE1200ELNS1_3gpuE4ELNS1_3repE0EEENS1_30default_config_static_selectorELNS0_4arch9wavefront6targetE0EEEvSZ_,comdat
.Lfunc_end2028:
	.size	_ZN7rocprim17ROCPRIM_400000_NS6detail17trampoline_kernelINS0_13select_configILj256ELj13ELNS0_17block_load_methodE3ELS4_3ELS4_3ELNS0_20block_scan_algorithmE0ELj4294967295EEENS1_25partition_config_selectorILNS1_17partition_subalgoE3EjNS0_10empty_typeEbEEZZNS1_14partition_implILS8_3ELb0ES6_jNS0_17counting_iteratorIjlEEPS9_SE_NS0_5tupleIJPjSE_EEENSF_IJSE_SE_EEES9_SG_JZNS1_25segmented_radix_sort_implINS0_14default_configELb0EPK12hip_bfloat16PSL_PKlPlN2at6native12_GLOBAL__N_18offset_tEEE10hipError_tPvRmT1_PNSt15iterator_traitsISZ_E10value_typeET2_T3_PNS10_IS15_E10value_typeET4_jRbjT5_S1B_jjP12ihipStream_tbEUljE_EEESW_SX_SY_S15_S19_S1B_T6_T7_T9_mT8_S1D_bDpT10_ENKUlT_T0_E_clISt17integral_constantIbLb1EES1P_IbLb0EEEEDaS1L_S1M_EUlS1L_E_NS1_11comp_targetILNS1_3genE10ELNS1_11target_archE1200ELNS1_3gpuE4ELNS1_3repE0EEENS1_30default_config_static_selectorELNS0_4arch9wavefront6targetE0EEEvSZ_, .Lfunc_end2028-_ZN7rocprim17ROCPRIM_400000_NS6detail17trampoline_kernelINS0_13select_configILj256ELj13ELNS0_17block_load_methodE3ELS4_3ELS4_3ELNS0_20block_scan_algorithmE0ELj4294967295EEENS1_25partition_config_selectorILNS1_17partition_subalgoE3EjNS0_10empty_typeEbEEZZNS1_14partition_implILS8_3ELb0ES6_jNS0_17counting_iteratorIjlEEPS9_SE_NS0_5tupleIJPjSE_EEENSF_IJSE_SE_EEES9_SG_JZNS1_25segmented_radix_sort_implINS0_14default_configELb0EPK12hip_bfloat16PSL_PKlPlN2at6native12_GLOBAL__N_18offset_tEEE10hipError_tPvRmT1_PNSt15iterator_traitsISZ_E10value_typeET2_T3_PNS10_IS15_E10value_typeET4_jRbjT5_S1B_jjP12ihipStream_tbEUljE_EEESW_SX_SY_S15_S19_S1B_T6_T7_T9_mT8_S1D_bDpT10_ENKUlT_T0_E_clISt17integral_constantIbLb1EES1P_IbLb0EEEEDaS1L_S1M_EUlS1L_E_NS1_11comp_targetILNS1_3genE10ELNS1_11target_archE1200ELNS1_3gpuE4ELNS1_3repE0EEENS1_30default_config_static_selectorELNS0_4arch9wavefront6targetE0EEEvSZ_
                                        ; -- End function
	.set _ZN7rocprim17ROCPRIM_400000_NS6detail17trampoline_kernelINS0_13select_configILj256ELj13ELNS0_17block_load_methodE3ELS4_3ELS4_3ELNS0_20block_scan_algorithmE0ELj4294967295EEENS1_25partition_config_selectorILNS1_17partition_subalgoE3EjNS0_10empty_typeEbEEZZNS1_14partition_implILS8_3ELb0ES6_jNS0_17counting_iteratorIjlEEPS9_SE_NS0_5tupleIJPjSE_EEENSF_IJSE_SE_EEES9_SG_JZNS1_25segmented_radix_sort_implINS0_14default_configELb0EPK12hip_bfloat16PSL_PKlPlN2at6native12_GLOBAL__N_18offset_tEEE10hipError_tPvRmT1_PNSt15iterator_traitsISZ_E10value_typeET2_T3_PNS10_IS15_E10value_typeET4_jRbjT5_S1B_jjP12ihipStream_tbEUljE_EEESW_SX_SY_S15_S19_S1B_T6_T7_T9_mT8_S1D_bDpT10_ENKUlT_T0_E_clISt17integral_constantIbLb1EES1P_IbLb0EEEEDaS1L_S1M_EUlS1L_E_NS1_11comp_targetILNS1_3genE10ELNS1_11target_archE1200ELNS1_3gpuE4ELNS1_3repE0EEENS1_30default_config_static_selectorELNS0_4arch9wavefront6targetE0EEEvSZ_.num_vgpr, 0
	.set _ZN7rocprim17ROCPRIM_400000_NS6detail17trampoline_kernelINS0_13select_configILj256ELj13ELNS0_17block_load_methodE3ELS4_3ELS4_3ELNS0_20block_scan_algorithmE0ELj4294967295EEENS1_25partition_config_selectorILNS1_17partition_subalgoE3EjNS0_10empty_typeEbEEZZNS1_14partition_implILS8_3ELb0ES6_jNS0_17counting_iteratorIjlEEPS9_SE_NS0_5tupleIJPjSE_EEENSF_IJSE_SE_EEES9_SG_JZNS1_25segmented_radix_sort_implINS0_14default_configELb0EPK12hip_bfloat16PSL_PKlPlN2at6native12_GLOBAL__N_18offset_tEEE10hipError_tPvRmT1_PNSt15iterator_traitsISZ_E10value_typeET2_T3_PNS10_IS15_E10value_typeET4_jRbjT5_S1B_jjP12ihipStream_tbEUljE_EEESW_SX_SY_S15_S19_S1B_T6_T7_T9_mT8_S1D_bDpT10_ENKUlT_T0_E_clISt17integral_constantIbLb1EES1P_IbLb0EEEEDaS1L_S1M_EUlS1L_E_NS1_11comp_targetILNS1_3genE10ELNS1_11target_archE1200ELNS1_3gpuE4ELNS1_3repE0EEENS1_30default_config_static_selectorELNS0_4arch9wavefront6targetE0EEEvSZ_.num_agpr, 0
	.set _ZN7rocprim17ROCPRIM_400000_NS6detail17trampoline_kernelINS0_13select_configILj256ELj13ELNS0_17block_load_methodE3ELS4_3ELS4_3ELNS0_20block_scan_algorithmE0ELj4294967295EEENS1_25partition_config_selectorILNS1_17partition_subalgoE3EjNS0_10empty_typeEbEEZZNS1_14partition_implILS8_3ELb0ES6_jNS0_17counting_iteratorIjlEEPS9_SE_NS0_5tupleIJPjSE_EEENSF_IJSE_SE_EEES9_SG_JZNS1_25segmented_radix_sort_implINS0_14default_configELb0EPK12hip_bfloat16PSL_PKlPlN2at6native12_GLOBAL__N_18offset_tEEE10hipError_tPvRmT1_PNSt15iterator_traitsISZ_E10value_typeET2_T3_PNS10_IS15_E10value_typeET4_jRbjT5_S1B_jjP12ihipStream_tbEUljE_EEESW_SX_SY_S15_S19_S1B_T6_T7_T9_mT8_S1D_bDpT10_ENKUlT_T0_E_clISt17integral_constantIbLb1EES1P_IbLb0EEEEDaS1L_S1M_EUlS1L_E_NS1_11comp_targetILNS1_3genE10ELNS1_11target_archE1200ELNS1_3gpuE4ELNS1_3repE0EEENS1_30default_config_static_selectorELNS0_4arch9wavefront6targetE0EEEvSZ_.numbered_sgpr, 0
	.set _ZN7rocprim17ROCPRIM_400000_NS6detail17trampoline_kernelINS0_13select_configILj256ELj13ELNS0_17block_load_methodE3ELS4_3ELS4_3ELNS0_20block_scan_algorithmE0ELj4294967295EEENS1_25partition_config_selectorILNS1_17partition_subalgoE3EjNS0_10empty_typeEbEEZZNS1_14partition_implILS8_3ELb0ES6_jNS0_17counting_iteratorIjlEEPS9_SE_NS0_5tupleIJPjSE_EEENSF_IJSE_SE_EEES9_SG_JZNS1_25segmented_radix_sort_implINS0_14default_configELb0EPK12hip_bfloat16PSL_PKlPlN2at6native12_GLOBAL__N_18offset_tEEE10hipError_tPvRmT1_PNSt15iterator_traitsISZ_E10value_typeET2_T3_PNS10_IS15_E10value_typeET4_jRbjT5_S1B_jjP12ihipStream_tbEUljE_EEESW_SX_SY_S15_S19_S1B_T6_T7_T9_mT8_S1D_bDpT10_ENKUlT_T0_E_clISt17integral_constantIbLb1EES1P_IbLb0EEEEDaS1L_S1M_EUlS1L_E_NS1_11comp_targetILNS1_3genE10ELNS1_11target_archE1200ELNS1_3gpuE4ELNS1_3repE0EEENS1_30default_config_static_selectorELNS0_4arch9wavefront6targetE0EEEvSZ_.num_named_barrier, 0
	.set _ZN7rocprim17ROCPRIM_400000_NS6detail17trampoline_kernelINS0_13select_configILj256ELj13ELNS0_17block_load_methodE3ELS4_3ELS4_3ELNS0_20block_scan_algorithmE0ELj4294967295EEENS1_25partition_config_selectorILNS1_17partition_subalgoE3EjNS0_10empty_typeEbEEZZNS1_14partition_implILS8_3ELb0ES6_jNS0_17counting_iteratorIjlEEPS9_SE_NS0_5tupleIJPjSE_EEENSF_IJSE_SE_EEES9_SG_JZNS1_25segmented_radix_sort_implINS0_14default_configELb0EPK12hip_bfloat16PSL_PKlPlN2at6native12_GLOBAL__N_18offset_tEEE10hipError_tPvRmT1_PNSt15iterator_traitsISZ_E10value_typeET2_T3_PNS10_IS15_E10value_typeET4_jRbjT5_S1B_jjP12ihipStream_tbEUljE_EEESW_SX_SY_S15_S19_S1B_T6_T7_T9_mT8_S1D_bDpT10_ENKUlT_T0_E_clISt17integral_constantIbLb1EES1P_IbLb0EEEEDaS1L_S1M_EUlS1L_E_NS1_11comp_targetILNS1_3genE10ELNS1_11target_archE1200ELNS1_3gpuE4ELNS1_3repE0EEENS1_30default_config_static_selectorELNS0_4arch9wavefront6targetE0EEEvSZ_.private_seg_size, 0
	.set _ZN7rocprim17ROCPRIM_400000_NS6detail17trampoline_kernelINS0_13select_configILj256ELj13ELNS0_17block_load_methodE3ELS4_3ELS4_3ELNS0_20block_scan_algorithmE0ELj4294967295EEENS1_25partition_config_selectorILNS1_17partition_subalgoE3EjNS0_10empty_typeEbEEZZNS1_14partition_implILS8_3ELb0ES6_jNS0_17counting_iteratorIjlEEPS9_SE_NS0_5tupleIJPjSE_EEENSF_IJSE_SE_EEES9_SG_JZNS1_25segmented_radix_sort_implINS0_14default_configELb0EPK12hip_bfloat16PSL_PKlPlN2at6native12_GLOBAL__N_18offset_tEEE10hipError_tPvRmT1_PNSt15iterator_traitsISZ_E10value_typeET2_T3_PNS10_IS15_E10value_typeET4_jRbjT5_S1B_jjP12ihipStream_tbEUljE_EEESW_SX_SY_S15_S19_S1B_T6_T7_T9_mT8_S1D_bDpT10_ENKUlT_T0_E_clISt17integral_constantIbLb1EES1P_IbLb0EEEEDaS1L_S1M_EUlS1L_E_NS1_11comp_targetILNS1_3genE10ELNS1_11target_archE1200ELNS1_3gpuE4ELNS1_3repE0EEENS1_30default_config_static_selectorELNS0_4arch9wavefront6targetE0EEEvSZ_.uses_vcc, 0
	.set _ZN7rocprim17ROCPRIM_400000_NS6detail17trampoline_kernelINS0_13select_configILj256ELj13ELNS0_17block_load_methodE3ELS4_3ELS4_3ELNS0_20block_scan_algorithmE0ELj4294967295EEENS1_25partition_config_selectorILNS1_17partition_subalgoE3EjNS0_10empty_typeEbEEZZNS1_14partition_implILS8_3ELb0ES6_jNS0_17counting_iteratorIjlEEPS9_SE_NS0_5tupleIJPjSE_EEENSF_IJSE_SE_EEES9_SG_JZNS1_25segmented_radix_sort_implINS0_14default_configELb0EPK12hip_bfloat16PSL_PKlPlN2at6native12_GLOBAL__N_18offset_tEEE10hipError_tPvRmT1_PNSt15iterator_traitsISZ_E10value_typeET2_T3_PNS10_IS15_E10value_typeET4_jRbjT5_S1B_jjP12ihipStream_tbEUljE_EEESW_SX_SY_S15_S19_S1B_T6_T7_T9_mT8_S1D_bDpT10_ENKUlT_T0_E_clISt17integral_constantIbLb1EES1P_IbLb0EEEEDaS1L_S1M_EUlS1L_E_NS1_11comp_targetILNS1_3genE10ELNS1_11target_archE1200ELNS1_3gpuE4ELNS1_3repE0EEENS1_30default_config_static_selectorELNS0_4arch9wavefront6targetE0EEEvSZ_.uses_flat_scratch, 0
	.set _ZN7rocprim17ROCPRIM_400000_NS6detail17trampoline_kernelINS0_13select_configILj256ELj13ELNS0_17block_load_methodE3ELS4_3ELS4_3ELNS0_20block_scan_algorithmE0ELj4294967295EEENS1_25partition_config_selectorILNS1_17partition_subalgoE3EjNS0_10empty_typeEbEEZZNS1_14partition_implILS8_3ELb0ES6_jNS0_17counting_iteratorIjlEEPS9_SE_NS0_5tupleIJPjSE_EEENSF_IJSE_SE_EEES9_SG_JZNS1_25segmented_radix_sort_implINS0_14default_configELb0EPK12hip_bfloat16PSL_PKlPlN2at6native12_GLOBAL__N_18offset_tEEE10hipError_tPvRmT1_PNSt15iterator_traitsISZ_E10value_typeET2_T3_PNS10_IS15_E10value_typeET4_jRbjT5_S1B_jjP12ihipStream_tbEUljE_EEESW_SX_SY_S15_S19_S1B_T6_T7_T9_mT8_S1D_bDpT10_ENKUlT_T0_E_clISt17integral_constantIbLb1EES1P_IbLb0EEEEDaS1L_S1M_EUlS1L_E_NS1_11comp_targetILNS1_3genE10ELNS1_11target_archE1200ELNS1_3gpuE4ELNS1_3repE0EEENS1_30default_config_static_selectorELNS0_4arch9wavefront6targetE0EEEvSZ_.has_dyn_sized_stack, 0
	.set _ZN7rocprim17ROCPRIM_400000_NS6detail17trampoline_kernelINS0_13select_configILj256ELj13ELNS0_17block_load_methodE3ELS4_3ELS4_3ELNS0_20block_scan_algorithmE0ELj4294967295EEENS1_25partition_config_selectorILNS1_17partition_subalgoE3EjNS0_10empty_typeEbEEZZNS1_14partition_implILS8_3ELb0ES6_jNS0_17counting_iteratorIjlEEPS9_SE_NS0_5tupleIJPjSE_EEENSF_IJSE_SE_EEES9_SG_JZNS1_25segmented_radix_sort_implINS0_14default_configELb0EPK12hip_bfloat16PSL_PKlPlN2at6native12_GLOBAL__N_18offset_tEEE10hipError_tPvRmT1_PNSt15iterator_traitsISZ_E10value_typeET2_T3_PNS10_IS15_E10value_typeET4_jRbjT5_S1B_jjP12ihipStream_tbEUljE_EEESW_SX_SY_S15_S19_S1B_T6_T7_T9_mT8_S1D_bDpT10_ENKUlT_T0_E_clISt17integral_constantIbLb1EES1P_IbLb0EEEEDaS1L_S1M_EUlS1L_E_NS1_11comp_targetILNS1_3genE10ELNS1_11target_archE1200ELNS1_3gpuE4ELNS1_3repE0EEENS1_30default_config_static_selectorELNS0_4arch9wavefront6targetE0EEEvSZ_.has_recursion, 0
	.set _ZN7rocprim17ROCPRIM_400000_NS6detail17trampoline_kernelINS0_13select_configILj256ELj13ELNS0_17block_load_methodE3ELS4_3ELS4_3ELNS0_20block_scan_algorithmE0ELj4294967295EEENS1_25partition_config_selectorILNS1_17partition_subalgoE3EjNS0_10empty_typeEbEEZZNS1_14partition_implILS8_3ELb0ES6_jNS0_17counting_iteratorIjlEEPS9_SE_NS0_5tupleIJPjSE_EEENSF_IJSE_SE_EEES9_SG_JZNS1_25segmented_radix_sort_implINS0_14default_configELb0EPK12hip_bfloat16PSL_PKlPlN2at6native12_GLOBAL__N_18offset_tEEE10hipError_tPvRmT1_PNSt15iterator_traitsISZ_E10value_typeET2_T3_PNS10_IS15_E10value_typeET4_jRbjT5_S1B_jjP12ihipStream_tbEUljE_EEESW_SX_SY_S15_S19_S1B_T6_T7_T9_mT8_S1D_bDpT10_ENKUlT_T0_E_clISt17integral_constantIbLb1EES1P_IbLb0EEEEDaS1L_S1M_EUlS1L_E_NS1_11comp_targetILNS1_3genE10ELNS1_11target_archE1200ELNS1_3gpuE4ELNS1_3repE0EEENS1_30default_config_static_selectorELNS0_4arch9wavefront6targetE0EEEvSZ_.has_indirect_call, 0
	.section	.AMDGPU.csdata,"",@progbits
; Kernel info:
; codeLenInByte = 0
; TotalNumSgprs: 0
; NumVgprs: 0
; ScratchSize: 0
; MemoryBound: 0
; FloatMode: 240
; IeeeMode: 1
; LDSByteSize: 0 bytes/workgroup (compile time only)
; SGPRBlocks: 0
; VGPRBlocks: 0
; NumSGPRsForWavesPerEU: 1
; NumVGPRsForWavesPerEU: 1
; Occupancy: 16
; WaveLimiterHint : 0
; COMPUTE_PGM_RSRC2:SCRATCH_EN: 0
; COMPUTE_PGM_RSRC2:USER_SGPR: 6
; COMPUTE_PGM_RSRC2:TRAP_HANDLER: 0
; COMPUTE_PGM_RSRC2:TGID_X_EN: 1
; COMPUTE_PGM_RSRC2:TGID_Y_EN: 0
; COMPUTE_PGM_RSRC2:TGID_Z_EN: 0
; COMPUTE_PGM_RSRC2:TIDIG_COMP_CNT: 0
	.section	.text._ZN7rocprim17ROCPRIM_400000_NS6detail17trampoline_kernelINS0_13select_configILj256ELj13ELNS0_17block_load_methodE3ELS4_3ELS4_3ELNS0_20block_scan_algorithmE0ELj4294967295EEENS1_25partition_config_selectorILNS1_17partition_subalgoE3EjNS0_10empty_typeEbEEZZNS1_14partition_implILS8_3ELb0ES6_jNS0_17counting_iteratorIjlEEPS9_SE_NS0_5tupleIJPjSE_EEENSF_IJSE_SE_EEES9_SG_JZNS1_25segmented_radix_sort_implINS0_14default_configELb0EPK12hip_bfloat16PSL_PKlPlN2at6native12_GLOBAL__N_18offset_tEEE10hipError_tPvRmT1_PNSt15iterator_traitsISZ_E10value_typeET2_T3_PNS10_IS15_E10value_typeET4_jRbjT5_S1B_jjP12ihipStream_tbEUljE_EEESW_SX_SY_S15_S19_S1B_T6_T7_T9_mT8_S1D_bDpT10_ENKUlT_T0_E_clISt17integral_constantIbLb1EES1P_IbLb0EEEEDaS1L_S1M_EUlS1L_E_NS1_11comp_targetILNS1_3genE9ELNS1_11target_archE1100ELNS1_3gpuE3ELNS1_3repE0EEENS1_30default_config_static_selectorELNS0_4arch9wavefront6targetE0EEEvSZ_,"axG",@progbits,_ZN7rocprim17ROCPRIM_400000_NS6detail17trampoline_kernelINS0_13select_configILj256ELj13ELNS0_17block_load_methodE3ELS4_3ELS4_3ELNS0_20block_scan_algorithmE0ELj4294967295EEENS1_25partition_config_selectorILNS1_17partition_subalgoE3EjNS0_10empty_typeEbEEZZNS1_14partition_implILS8_3ELb0ES6_jNS0_17counting_iteratorIjlEEPS9_SE_NS0_5tupleIJPjSE_EEENSF_IJSE_SE_EEES9_SG_JZNS1_25segmented_radix_sort_implINS0_14default_configELb0EPK12hip_bfloat16PSL_PKlPlN2at6native12_GLOBAL__N_18offset_tEEE10hipError_tPvRmT1_PNSt15iterator_traitsISZ_E10value_typeET2_T3_PNS10_IS15_E10value_typeET4_jRbjT5_S1B_jjP12ihipStream_tbEUljE_EEESW_SX_SY_S15_S19_S1B_T6_T7_T9_mT8_S1D_bDpT10_ENKUlT_T0_E_clISt17integral_constantIbLb1EES1P_IbLb0EEEEDaS1L_S1M_EUlS1L_E_NS1_11comp_targetILNS1_3genE9ELNS1_11target_archE1100ELNS1_3gpuE3ELNS1_3repE0EEENS1_30default_config_static_selectorELNS0_4arch9wavefront6targetE0EEEvSZ_,comdat
	.globl	_ZN7rocprim17ROCPRIM_400000_NS6detail17trampoline_kernelINS0_13select_configILj256ELj13ELNS0_17block_load_methodE3ELS4_3ELS4_3ELNS0_20block_scan_algorithmE0ELj4294967295EEENS1_25partition_config_selectorILNS1_17partition_subalgoE3EjNS0_10empty_typeEbEEZZNS1_14partition_implILS8_3ELb0ES6_jNS0_17counting_iteratorIjlEEPS9_SE_NS0_5tupleIJPjSE_EEENSF_IJSE_SE_EEES9_SG_JZNS1_25segmented_radix_sort_implINS0_14default_configELb0EPK12hip_bfloat16PSL_PKlPlN2at6native12_GLOBAL__N_18offset_tEEE10hipError_tPvRmT1_PNSt15iterator_traitsISZ_E10value_typeET2_T3_PNS10_IS15_E10value_typeET4_jRbjT5_S1B_jjP12ihipStream_tbEUljE_EEESW_SX_SY_S15_S19_S1B_T6_T7_T9_mT8_S1D_bDpT10_ENKUlT_T0_E_clISt17integral_constantIbLb1EES1P_IbLb0EEEEDaS1L_S1M_EUlS1L_E_NS1_11comp_targetILNS1_3genE9ELNS1_11target_archE1100ELNS1_3gpuE3ELNS1_3repE0EEENS1_30default_config_static_selectorELNS0_4arch9wavefront6targetE0EEEvSZ_ ; -- Begin function _ZN7rocprim17ROCPRIM_400000_NS6detail17trampoline_kernelINS0_13select_configILj256ELj13ELNS0_17block_load_methodE3ELS4_3ELS4_3ELNS0_20block_scan_algorithmE0ELj4294967295EEENS1_25partition_config_selectorILNS1_17partition_subalgoE3EjNS0_10empty_typeEbEEZZNS1_14partition_implILS8_3ELb0ES6_jNS0_17counting_iteratorIjlEEPS9_SE_NS0_5tupleIJPjSE_EEENSF_IJSE_SE_EEES9_SG_JZNS1_25segmented_radix_sort_implINS0_14default_configELb0EPK12hip_bfloat16PSL_PKlPlN2at6native12_GLOBAL__N_18offset_tEEE10hipError_tPvRmT1_PNSt15iterator_traitsISZ_E10value_typeET2_T3_PNS10_IS15_E10value_typeET4_jRbjT5_S1B_jjP12ihipStream_tbEUljE_EEESW_SX_SY_S15_S19_S1B_T6_T7_T9_mT8_S1D_bDpT10_ENKUlT_T0_E_clISt17integral_constantIbLb1EES1P_IbLb0EEEEDaS1L_S1M_EUlS1L_E_NS1_11comp_targetILNS1_3genE9ELNS1_11target_archE1100ELNS1_3gpuE3ELNS1_3repE0EEENS1_30default_config_static_selectorELNS0_4arch9wavefront6targetE0EEEvSZ_
	.p2align	8
	.type	_ZN7rocprim17ROCPRIM_400000_NS6detail17trampoline_kernelINS0_13select_configILj256ELj13ELNS0_17block_load_methodE3ELS4_3ELS4_3ELNS0_20block_scan_algorithmE0ELj4294967295EEENS1_25partition_config_selectorILNS1_17partition_subalgoE3EjNS0_10empty_typeEbEEZZNS1_14partition_implILS8_3ELb0ES6_jNS0_17counting_iteratorIjlEEPS9_SE_NS0_5tupleIJPjSE_EEENSF_IJSE_SE_EEES9_SG_JZNS1_25segmented_radix_sort_implINS0_14default_configELb0EPK12hip_bfloat16PSL_PKlPlN2at6native12_GLOBAL__N_18offset_tEEE10hipError_tPvRmT1_PNSt15iterator_traitsISZ_E10value_typeET2_T3_PNS10_IS15_E10value_typeET4_jRbjT5_S1B_jjP12ihipStream_tbEUljE_EEESW_SX_SY_S15_S19_S1B_T6_T7_T9_mT8_S1D_bDpT10_ENKUlT_T0_E_clISt17integral_constantIbLb1EES1P_IbLb0EEEEDaS1L_S1M_EUlS1L_E_NS1_11comp_targetILNS1_3genE9ELNS1_11target_archE1100ELNS1_3gpuE3ELNS1_3repE0EEENS1_30default_config_static_selectorELNS0_4arch9wavefront6targetE0EEEvSZ_,@function
_ZN7rocprim17ROCPRIM_400000_NS6detail17trampoline_kernelINS0_13select_configILj256ELj13ELNS0_17block_load_methodE3ELS4_3ELS4_3ELNS0_20block_scan_algorithmE0ELj4294967295EEENS1_25partition_config_selectorILNS1_17partition_subalgoE3EjNS0_10empty_typeEbEEZZNS1_14partition_implILS8_3ELb0ES6_jNS0_17counting_iteratorIjlEEPS9_SE_NS0_5tupleIJPjSE_EEENSF_IJSE_SE_EEES9_SG_JZNS1_25segmented_radix_sort_implINS0_14default_configELb0EPK12hip_bfloat16PSL_PKlPlN2at6native12_GLOBAL__N_18offset_tEEE10hipError_tPvRmT1_PNSt15iterator_traitsISZ_E10value_typeET2_T3_PNS10_IS15_E10value_typeET4_jRbjT5_S1B_jjP12ihipStream_tbEUljE_EEESW_SX_SY_S15_S19_S1B_T6_T7_T9_mT8_S1D_bDpT10_ENKUlT_T0_E_clISt17integral_constantIbLb1EES1P_IbLb0EEEEDaS1L_S1M_EUlS1L_E_NS1_11comp_targetILNS1_3genE9ELNS1_11target_archE1100ELNS1_3gpuE3ELNS1_3repE0EEENS1_30default_config_static_selectorELNS0_4arch9wavefront6targetE0EEEvSZ_: ; @_ZN7rocprim17ROCPRIM_400000_NS6detail17trampoline_kernelINS0_13select_configILj256ELj13ELNS0_17block_load_methodE3ELS4_3ELS4_3ELNS0_20block_scan_algorithmE0ELj4294967295EEENS1_25partition_config_selectorILNS1_17partition_subalgoE3EjNS0_10empty_typeEbEEZZNS1_14partition_implILS8_3ELb0ES6_jNS0_17counting_iteratorIjlEEPS9_SE_NS0_5tupleIJPjSE_EEENSF_IJSE_SE_EEES9_SG_JZNS1_25segmented_radix_sort_implINS0_14default_configELb0EPK12hip_bfloat16PSL_PKlPlN2at6native12_GLOBAL__N_18offset_tEEE10hipError_tPvRmT1_PNSt15iterator_traitsISZ_E10value_typeET2_T3_PNS10_IS15_E10value_typeET4_jRbjT5_S1B_jjP12ihipStream_tbEUljE_EEESW_SX_SY_S15_S19_S1B_T6_T7_T9_mT8_S1D_bDpT10_ENKUlT_T0_E_clISt17integral_constantIbLb1EES1P_IbLb0EEEEDaS1L_S1M_EUlS1L_E_NS1_11comp_targetILNS1_3genE9ELNS1_11target_archE1100ELNS1_3gpuE3ELNS1_3repE0EEENS1_30default_config_static_selectorELNS0_4arch9wavefront6targetE0EEEvSZ_
; %bb.0:
	.section	.rodata,"a",@progbits
	.p2align	6, 0x0
	.amdhsa_kernel _ZN7rocprim17ROCPRIM_400000_NS6detail17trampoline_kernelINS0_13select_configILj256ELj13ELNS0_17block_load_methodE3ELS4_3ELS4_3ELNS0_20block_scan_algorithmE0ELj4294967295EEENS1_25partition_config_selectorILNS1_17partition_subalgoE3EjNS0_10empty_typeEbEEZZNS1_14partition_implILS8_3ELb0ES6_jNS0_17counting_iteratorIjlEEPS9_SE_NS0_5tupleIJPjSE_EEENSF_IJSE_SE_EEES9_SG_JZNS1_25segmented_radix_sort_implINS0_14default_configELb0EPK12hip_bfloat16PSL_PKlPlN2at6native12_GLOBAL__N_18offset_tEEE10hipError_tPvRmT1_PNSt15iterator_traitsISZ_E10value_typeET2_T3_PNS10_IS15_E10value_typeET4_jRbjT5_S1B_jjP12ihipStream_tbEUljE_EEESW_SX_SY_S15_S19_S1B_T6_T7_T9_mT8_S1D_bDpT10_ENKUlT_T0_E_clISt17integral_constantIbLb1EES1P_IbLb0EEEEDaS1L_S1M_EUlS1L_E_NS1_11comp_targetILNS1_3genE9ELNS1_11target_archE1100ELNS1_3gpuE3ELNS1_3repE0EEENS1_30default_config_static_selectorELNS0_4arch9wavefront6targetE0EEEvSZ_
		.amdhsa_group_segment_fixed_size 0
		.amdhsa_private_segment_fixed_size 0
		.amdhsa_kernarg_size 144
		.amdhsa_user_sgpr_count 6
		.amdhsa_user_sgpr_private_segment_buffer 1
		.amdhsa_user_sgpr_dispatch_ptr 0
		.amdhsa_user_sgpr_queue_ptr 0
		.amdhsa_user_sgpr_kernarg_segment_ptr 1
		.amdhsa_user_sgpr_dispatch_id 0
		.amdhsa_user_sgpr_flat_scratch_init 0
		.amdhsa_user_sgpr_private_segment_size 0
		.amdhsa_wavefront_size32 1
		.amdhsa_uses_dynamic_stack 0
		.amdhsa_system_sgpr_private_segment_wavefront_offset 0
		.amdhsa_system_sgpr_workgroup_id_x 1
		.amdhsa_system_sgpr_workgroup_id_y 0
		.amdhsa_system_sgpr_workgroup_id_z 0
		.amdhsa_system_sgpr_workgroup_info 0
		.amdhsa_system_vgpr_workitem_id 0
		.amdhsa_next_free_vgpr 1
		.amdhsa_next_free_sgpr 1
		.amdhsa_reserve_vcc 0
		.amdhsa_reserve_flat_scratch 0
		.amdhsa_float_round_mode_32 0
		.amdhsa_float_round_mode_16_64 0
		.amdhsa_float_denorm_mode_32 3
		.amdhsa_float_denorm_mode_16_64 3
		.amdhsa_dx10_clamp 1
		.amdhsa_ieee_mode 1
		.amdhsa_fp16_overflow 0
		.amdhsa_workgroup_processor_mode 1
		.amdhsa_memory_ordered 1
		.amdhsa_forward_progress 1
		.amdhsa_shared_vgpr_count 0
		.amdhsa_exception_fp_ieee_invalid_op 0
		.amdhsa_exception_fp_denorm_src 0
		.amdhsa_exception_fp_ieee_div_zero 0
		.amdhsa_exception_fp_ieee_overflow 0
		.amdhsa_exception_fp_ieee_underflow 0
		.amdhsa_exception_fp_ieee_inexact 0
		.amdhsa_exception_int_div_zero 0
	.end_amdhsa_kernel
	.section	.text._ZN7rocprim17ROCPRIM_400000_NS6detail17trampoline_kernelINS0_13select_configILj256ELj13ELNS0_17block_load_methodE3ELS4_3ELS4_3ELNS0_20block_scan_algorithmE0ELj4294967295EEENS1_25partition_config_selectorILNS1_17partition_subalgoE3EjNS0_10empty_typeEbEEZZNS1_14partition_implILS8_3ELb0ES6_jNS0_17counting_iteratorIjlEEPS9_SE_NS0_5tupleIJPjSE_EEENSF_IJSE_SE_EEES9_SG_JZNS1_25segmented_radix_sort_implINS0_14default_configELb0EPK12hip_bfloat16PSL_PKlPlN2at6native12_GLOBAL__N_18offset_tEEE10hipError_tPvRmT1_PNSt15iterator_traitsISZ_E10value_typeET2_T3_PNS10_IS15_E10value_typeET4_jRbjT5_S1B_jjP12ihipStream_tbEUljE_EEESW_SX_SY_S15_S19_S1B_T6_T7_T9_mT8_S1D_bDpT10_ENKUlT_T0_E_clISt17integral_constantIbLb1EES1P_IbLb0EEEEDaS1L_S1M_EUlS1L_E_NS1_11comp_targetILNS1_3genE9ELNS1_11target_archE1100ELNS1_3gpuE3ELNS1_3repE0EEENS1_30default_config_static_selectorELNS0_4arch9wavefront6targetE0EEEvSZ_,"axG",@progbits,_ZN7rocprim17ROCPRIM_400000_NS6detail17trampoline_kernelINS0_13select_configILj256ELj13ELNS0_17block_load_methodE3ELS4_3ELS4_3ELNS0_20block_scan_algorithmE0ELj4294967295EEENS1_25partition_config_selectorILNS1_17partition_subalgoE3EjNS0_10empty_typeEbEEZZNS1_14partition_implILS8_3ELb0ES6_jNS0_17counting_iteratorIjlEEPS9_SE_NS0_5tupleIJPjSE_EEENSF_IJSE_SE_EEES9_SG_JZNS1_25segmented_radix_sort_implINS0_14default_configELb0EPK12hip_bfloat16PSL_PKlPlN2at6native12_GLOBAL__N_18offset_tEEE10hipError_tPvRmT1_PNSt15iterator_traitsISZ_E10value_typeET2_T3_PNS10_IS15_E10value_typeET4_jRbjT5_S1B_jjP12ihipStream_tbEUljE_EEESW_SX_SY_S15_S19_S1B_T6_T7_T9_mT8_S1D_bDpT10_ENKUlT_T0_E_clISt17integral_constantIbLb1EES1P_IbLb0EEEEDaS1L_S1M_EUlS1L_E_NS1_11comp_targetILNS1_3genE9ELNS1_11target_archE1100ELNS1_3gpuE3ELNS1_3repE0EEENS1_30default_config_static_selectorELNS0_4arch9wavefront6targetE0EEEvSZ_,comdat
.Lfunc_end2029:
	.size	_ZN7rocprim17ROCPRIM_400000_NS6detail17trampoline_kernelINS0_13select_configILj256ELj13ELNS0_17block_load_methodE3ELS4_3ELS4_3ELNS0_20block_scan_algorithmE0ELj4294967295EEENS1_25partition_config_selectorILNS1_17partition_subalgoE3EjNS0_10empty_typeEbEEZZNS1_14partition_implILS8_3ELb0ES6_jNS0_17counting_iteratorIjlEEPS9_SE_NS0_5tupleIJPjSE_EEENSF_IJSE_SE_EEES9_SG_JZNS1_25segmented_radix_sort_implINS0_14default_configELb0EPK12hip_bfloat16PSL_PKlPlN2at6native12_GLOBAL__N_18offset_tEEE10hipError_tPvRmT1_PNSt15iterator_traitsISZ_E10value_typeET2_T3_PNS10_IS15_E10value_typeET4_jRbjT5_S1B_jjP12ihipStream_tbEUljE_EEESW_SX_SY_S15_S19_S1B_T6_T7_T9_mT8_S1D_bDpT10_ENKUlT_T0_E_clISt17integral_constantIbLb1EES1P_IbLb0EEEEDaS1L_S1M_EUlS1L_E_NS1_11comp_targetILNS1_3genE9ELNS1_11target_archE1100ELNS1_3gpuE3ELNS1_3repE0EEENS1_30default_config_static_selectorELNS0_4arch9wavefront6targetE0EEEvSZ_, .Lfunc_end2029-_ZN7rocprim17ROCPRIM_400000_NS6detail17trampoline_kernelINS0_13select_configILj256ELj13ELNS0_17block_load_methodE3ELS4_3ELS4_3ELNS0_20block_scan_algorithmE0ELj4294967295EEENS1_25partition_config_selectorILNS1_17partition_subalgoE3EjNS0_10empty_typeEbEEZZNS1_14partition_implILS8_3ELb0ES6_jNS0_17counting_iteratorIjlEEPS9_SE_NS0_5tupleIJPjSE_EEENSF_IJSE_SE_EEES9_SG_JZNS1_25segmented_radix_sort_implINS0_14default_configELb0EPK12hip_bfloat16PSL_PKlPlN2at6native12_GLOBAL__N_18offset_tEEE10hipError_tPvRmT1_PNSt15iterator_traitsISZ_E10value_typeET2_T3_PNS10_IS15_E10value_typeET4_jRbjT5_S1B_jjP12ihipStream_tbEUljE_EEESW_SX_SY_S15_S19_S1B_T6_T7_T9_mT8_S1D_bDpT10_ENKUlT_T0_E_clISt17integral_constantIbLb1EES1P_IbLb0EEEEDaS1L_S1M_EUlS1L_E_NS1_11comp_targetILNS1_3genE9ELNS1_11target_archE1100ELNS1_3gpuE3ELNS1_3repE0EEENS1_30default_config_static_selectorELNS0_4arch9wavefront6targetE0EEEvSZ_
                                        ; -- End function
	.set _ZN7rocprim17ROCPRIM_400000_NS6detail17trampoline_kernelINS0_13select_configILj256ELj13ELNS0_17block_load_methodE3ELS4_3ELS4_3ELNS0_20block_scan_algorithmE0ELj4294967295EEENS1_25partition_config_selectorILNS1_17partition_subalgoE3EjNS0_10empty_typeEbEEZZNS1_14partition_implILS8_3ELb0ES6_jNS0_17counting_iteratorIjlEEPS9_SE_NS0_5tupleIJPjSE_EEENSF_IJSE_SE_EEES9_SG_JZNS1_25segmented_radix_sort_implINS0_14default_configELb0EPK12hip_bfloat16PSL_PKlPlN2at6native12_GLOBAL__N_18offset_tEEE10hipError_tPvRmT1_PNSt15iterator_traitsISZ_E10value_typeET2_T3_PNS10_IS15_E10value_typeET4_jRbjT5_S1B_jjP12ihipStream_tbEUljE_EEESW_SX_SY_S15_S19_S1B_T6_T7_T9_mT8_S1D_bDpT10_ENKUlT_T0_E_clISt17integral_constantIbLb1EES1P_IbLb0EEEEDaS1L_S1M_EUlS1L_E_NS1_11comp_targetILNS1_3genE9ELNS1_11target_archE1100ELNS1_3gpuE3ELNS1_3repE0EEENS1_30default_config_static_selectorELNS0_4arch9wavefront6targetE0EEEvSZ_.num_vgpr, 0
	.set _ZN7rocprim17ROCPRIM_400000_NS6detail17trampoline_kernelINS0_13select_configILj256ELj13ELNS0_17block_load_methodE3ELS4_3ELS4_3ELNS0_20block_scan_algorithmE0ELj4294967295EEENS1_25partition_config_selectorILNS1_17partition_subalgoE3EjNS0_10empty_typeEbEEZZNS1_14partition_implILS8_3ELb0ES6_jNS0_17counting_iteratorIjlEEPS9_SE_NS0_5tupleIJPjSE_EEENSF_IJSE_SE_EEES9_SG_JZNS1_25segmented_radix_sort_implINS0_14default_configELb0EPK12hip_bfloat16PSL_PKlPlN2at6native12_GLOBAL__N_18offset_tEEE10hipError_tPvRmT1_PNSt15iterator_traitsISZ_E10value_typeET2_T3_PNS10_IS15_E10value_typeET4_jRbjT5_S1B_jjP12ihipStream_tbEUljE_EEESW_SX_SY_S15_S19_S1B_T6_T7_T9_mT8_S1D_bDpT10_ENKUlT_T0_E_clISt17integral_constantIbLb1EES1P_IbLb0EEEEDaS1L_S1M_EUlS1L_E_NS1_11comp_targetILNS1_3genE9ELNS1_11target_archE1100ELNS1_3gpuE3ELNS1_3repE0EEENS1_30default_config_static_selectorELNS0_4arch9wavefront6targetE0EEEvSZ_.num_agpr, 0
	.set _ZN7rocprim17ROCPRIM_400000_NS6detail17trampoline_kernelINS0_13select_configILj256ELj13ELNS0_17block_load_methodE3ELS4_3ELS4_3ELNS0_20block_scan_algorithmE0ELj4294967295EEENS1_25partition_config_selectorILNS1_17partition_subalgoE3EjNS0_10empty_typeEbEEZZNS1_14partition_implILS8_3ELb0ES6_jNS0_17counting_iteratorIjlEEPS9_SE_NS0_5tupleIJPjSE_EEENSF_IJSE_SE_EEES9_SG_JZNS1_25segmented_radix_sort_implINS0_14default_configELb0EPK12hip_bfloat16PSL_PKlPlN2at6native12_GLOBAL__N_18offset_tEEE10hipError_tPvRmT1_PNSt15iterator_traitsISZ_E10value_typeET2_T3_PNS10_IS15_E10value_typeET4_jRbjT5_S1B_jjP12ihipStream_tbEUljE_EEESW_SX_SY_S15_S19_S1B_T6_T7_T9_mT8_S1D_bDpT10_ENKUlT_T0_E_clISt17integral_constantIbLb1EES1P_IbLb0EEEEDaS1L_S1M_EUlS1L_E_NS1_11comp_targetILNS1_3genE9ELNS1_11target_archE1100ELNS1_3gpuE3ELNS1_3repE0EEENS1_30default_config_static_selectorELNS0_4arch9wavefront6targetE0EEEvSZ_.numbered_sgpr, 0
	.set _ZN7rocprim17ROCPRIM_400000_NS6detail17trampoline_kernelINS0_13select_configILj256ELj13ELNS0_17block_load_methodE3ELS4_3ELS4_3ELNS0_20block_scan_algorithmE0ELj4294967295EEENS1_25partition_config_selectorILNS1_17partition_subalgoE3EjNS0_10empty_typeEbEEZZNS1_14partition_implILS8_3ELb0ES6_jNS0_17counting_iteratorIjlEEPS9_SE_NS0_5tupleIJPjSE_EEENSF_IJSE_SE_EEES9_SG_JZNS1_25segmented_radix_sort_implINS0_14default_configELb0EPK12hip_bfloat16PSL_PKlPlN2at6native12_GLOBAL__N_18offset_tEEE10hipError_tPvRmT1_PNSt15iterator_traitsISZ_E10value_typeET2_T3_PNS10_IS15_E10value_typeET4_jRbjT5_S1B_jjP12ihipStream_tbEUljE_EEESW_SX_SY_S15_S19_S1B_T6_T7_T9_mT8_S1D_bDpT10_ENKUlT_T0_E_clISt17integral_constantIbLb1EES1P_IbLb0EEEEDaS1L_S1M_EUlS1L_E_NS1_11comp_targetILNS1_3genE9ELNS1_11target_archE1100ELNS1_3gpuE3ELNS1_3repE0EEENS1_30default_config_static_selectorELNS0_4arch9wavefront6targetE0EEEvSZ_.num_named_barrier, 0
	.set _ZN7rocprim17ROCPRIM_400000_NS6detail17trampoline_kernelINS0_13select_configILj256ELj13ELNS0_17block_load_methodE3ELS4_3ELS4_3ELNS0_20block_scan_algorithmE0ELj4294967295EEENS1_25partition_config_selectorILNS1_17partition_subalgoE3EjNS0_10empty_typeEbEEZZNS1_14partition_implILS8_3ELb0ES6_jNS0_17counting_iteratorIjlEEPS9_SE_NS0_5tupleIJPjSE_EEENSF_IJSE_SE_EEES9_SG_JZNS1_25segmented_radix_sort_implINS0_14default_configELb0EPK12hip_bfloat16PSL_PKlPlN2at6native12_GLOBAL__N_18offset_tEEE10hipError_tPvRmT1_PNSt15iterator_traitsISZ_E10value_typeET2_T3_PNS10_IS15_E10value_typeET4_jRbjT5_S1B_jjP12ihipStream_tbEUljE_EEESW_SX_SY_S15_S19_S1B_T6_T7_T9_mT8_S1D_bDpT10_ENKUlT_T0_E_clISt17integral_constantIbLb1EES1P_IbLb0EEEEDaS1L_S1M_EUlS1L_E_NS1_11comp_targetILNS1_3genE9ELNS1_11target_archE1100ELNS1_3gpuE3ELNS1_3repE0EEENS1_30default_config_static_selectorELNS0_4arch9wavefront6targetE0EEEvSZ_.private_seg_size, 0
	.set _ZN7rocprim17ROCPRIM_400000_NS6detail17trampoline_kernelINS0_13select_configILj256ELj13ELNS0_17block_load_methodE3ELS4_3ELS4_3ELNS0_20block_scan_algorithmE0ELj4294967295EEENS1_25partition_config_selectorILNS1_17partition_subalgoE3EjNS0_10empty_typeEbEEZZNS1_14partition_implILS8_3ELb0ES6_jNS0_17counting_iteratorIjlEEPS9_SE_NS0_5tupleIJPjSE_EEENSF_IJSE_SE_EEES9_SG_JZNS1_25segmented_radix_sort_implINS0_14default_configELb0EPK12hip_bfloat16PSL_PKlPlN2at6native12_GLOBAL__N_18offset_tEEE10hipError_tPvRmT1_PNSt15iterator_traitsISZ_E10value_typeET2_T3_PNS10_IS15_E10value_typeET4_jRbjT5_S1B_jjP12ihipStream_tbEUljE_EEESW_SX_SY_S15_S19_S1B_T6_T7_T9_mT8_S1D_bDpT10_ENKUlT_T0_E_clISt17integral_constantIbLb1EES1P_IbLb0EEEEDaS1L_S1M_EUlS1L_E_NS1_11comp_targetILNS1_3genE9ELNS1_11target_archE1100ELNS1_3gpuE3ELNS1_3repE0EEENS1_30default_config_static_selectorELNS0_4arch9wavefront6targetE0EEEvSZ_.uses_vcc, 0
	.set _ZN7rocprim17ROCPRIM_400000_NS6detail17trampoline_kernelINS0_13select_configILj256ELj13ELNS0_17block_load_methodE3ELS4_3ELS4_3ELNS0_20block_scan_algorithmE0ELj4294967295EEENS1_25partition_config_selectorILNS1_17partition_subalgoE3EjNS0_10empty_typeEbEEZZNS1_14partition_implILS8_3ELb0ES6_jNS0_17counting_iteratorIjlEEPS9_SE_NS0_5tupleIJPjSE_EEENSF_IJSE_SE_EEES9_SG_JZNS1_25segmented_radix_sort_implINS0_14default_configELb0EPK12hip_bfloat16PSL_PKlPlN2at6native12_GLOBAL__N_18offset_tEEE10hipError_tPvRmT1_PNSt15iterator_traitsISZ_E10value_typeET2_T3_PNS10_IS15_E10value_typeET4_jRbjT5_S1B_jjP12ihipStream_tbEUljE_EEESW_SX_SY_S15_S19_S1B_T6_T7_T9_mT8_S1D_bDpT10_ENKUlT_T0_E_clISt17integral_constantIbLb1EES1P_IbLb0EEEEDaS1L_S1M_EUlS1L_E_NS1_11comp_targetILNS1_3genE9ELNS1_11target_archE1100ELNS1_3gpuE3ELNS1_3repE0EEENS1_30default_config_static_selectorELNS0_4arch9wavefront6targetE0EEEvSZ_.uses_flat_scratch, 0
	.set _ZN7rocprim17ROCPRIM_400000_NS6detail17trampoline_kernelINS0_13select_configILj256ELj13ELNS0_17block_load_methodE3ELS4_3ELS4_3ELNS0_20block_scan_algorithmE0ELj4294967295EEENS1_25partition_config_selectorILNS1_17partition_subalgoE3EjNS0_10empty_typeEbEEZZNS1_14partition_implILS8_3ELb0ES6_jNS0_17counting_iteratorIjlEEPS9_SE_NS0_5tupleIJPjSE_EEENSF_IJSE_SE_EEES9_SG_JZNS1_25segmented_radix_sort_implINS0_14default_configELb0EPK12hip_bfloat16PSL_PKlPlN2at6native12_GLOBAL__N_18offset_tEEE10hipError_tPvRmT1_PNSt15iterator_traitsISZ_E10value_typeET2_T3_PNS10_IS15_E10value_typeET4_jRbjT5_S1B_jjP12ihipStream_tbEUljE_EEESW_SX_SY_S15_S19_S1B_T6_T7_T9_mT8_S1D_bDpT10_ENKUlT_T0_E_clISt17integral_constantIbLb1EES1P_IbLb0EEEEDaS1L_S1M_EUlS1L_E_NS1_11comp_targetILNS1_3genE9ELNS1_11target_archE1100ELNS1_3gpuE3ELNS1_3repE0EEENS1_30default_config_static_selectorELNS0_4arch9wavefront6targetE0EEEvSZ_.has_dyn_sized_stack, 0
	.set _ZN7rocprim17ROCPRIM_400000_NS6detail17trampoline_kernelINS0_13select_configILj256ELj13ELNS0_17block_load_methodE3ELS4_3ELS4_3ELNS0_20block_scan_algorithmE0ELj4294967295EEENS1_25partition_config_selectorILNS1_17partition_subalgoE3EjNS0_10empty_typeEbEEZZNS1_14partition_implILS8_3ELb0ES6_jNS0_17counting_iteratorIjlEEPS9_SE_NS0_5tupleIJPjSE_EEENSF_IJSE_SE_EEES9_SG_JZNS1_25segmented_radix_sort_implINS0_14default_configELb0EPK12hip_bfloat16PSL_PKlPlN2at6native12_GLOBAL__N_18offset_tEEE10hipError_tPvRmT1_PNSt15iterator_traitsISZ_E10value_typeET2_T3_PNS10_IS15_E10value_typeET4_jRbjT5_S1B_jjP12ihipStream_tbEUljE_EEESW_SX_SY_S15_S19_S1B_T6_T7_T9_mT8_S1D_bDpT10_ENKUlT_T0_E_clISt17integral_constantIbLb1EES1P_IbLb0EEEEDaS1L_S1M_EUlS1L_E_NS1_11comp_targetILNS1_3genE9ELNS1_11target_archE1100ELNS1_3gpuE3ELNS1_3repE0EEENS1_30default_config_static_selectorELNS0_4arch9wavefront6targetE0EEEvSZ_.has_recursion, 0
	.set _ZN7rocprim17ROCPRIM_400000_NS6detail17trampoline_kernelINS0_13select_configILj256ELj13ELNS0_17block_load_methodE3ELS4_3ELS4_3ELNS0_20block_scan_algorithmE0ELj4294967295EEENS1_25partition_config_selectorILNS1_17partition_subalgoE3EjNS0_10empty_typeEbEEZZNS1_14partition_implILS8_3ELb0ES6_jNS0_17counting_iteratorIjlEEPS9_SE_NS0_5tupleIJPjSE_EEENSF_IJSE_SE_EEES9_SG_JZNS1_25segmented_radix_sort_implINS0_14default_configELb0EPK12hip_bfloat16PSL_PKlPlN2at6native12_GLOBAL__N_18offset_tEEE10hipError_tPvRmT1_PNSt15iterator_traitsISZ_E10value_typeET2_T3_PNS10_IS15_E10value_typeET4_jRbjT5_S1B_jjP12ihipStream_tbEUljE_EEESW_SX_SY_S15_S19_S1B_T6_T7_T9_mT8_S1D_bDpT10_ENKUlT_T0_E_clISt17integral_constantIbLb1EES1P_IbLb0EEEEDaS1L_S1M_EUlS1L_E_NS1_11comp_targetILNS1_3genE9ELNS1_11target_archE1100ELNS1_3gpuE3ELNS1_3repE0EEENS1_30default_config_static_selectorELNS0_4arch9wavefront6targetE0EEEvSZ_.has_indirect_call, 0
	.section	.AMDGPU.csdata,"",@progbits
; Kernel info:
; codeLenInByte = 0
; TotalNumSgprs: 0
; NumVgprs: 0
; ScratchSize: 0
; MemoryBound: 0
; FloatMode: 240
; IeeeMode: 1
; LDSByteSize: 0 bytes/workgroup (compile time only)
; SGPRBlocks: 0
; VGPRBlocks: 0
; NumSGPRsForWavesPerEU: 1
; NumVGPRsForWavesPerEU: 1
; Occupancy: 16
; WaveLimiterHint : 0
; COMPUTE_PGM_RSRC2:SCRATCH_EN: 0
; COMPUTE_PGM_RSRC2:USER_SGPR: 6
; COMPUTE_PGM_RSRC2:TRAP_HANDLER: 0
; COMPUTE_PGM_RSRC2:TGID_X_EN: 1
; COMPUTE_PGM_RSRC2:TGID_Y_EN: 0
; COMPUTE_PGM_RSRC2:TGID_Z_EN: 0
; COMPUTE_PGM_RSRC2:TIDIG_COMP_CNT: 0
	.section	.text._ZN7rocprim17ROCPRIM_400000_NS6detail17trampoline_kernelINS0_13select_configILj256ELj13ELNS0_17block_load_methodE3ELS4_3ELS4_3ELNS0_20block_scan_algorithmE0ELj4294967295EEENS1_25partition_config_selectorILNS1_17partition_subalgoE3EjNS0_10empty_typeEbEEZZNS1_14partition_implILS8_3ELb0ES6_jNS0_17counting_iteratorIjlEEPS9_SE_NS0_5tupleIJPjSE_EEENSF_IJSE_SE_EEES9_SG_JZNS1_25segmented_radix_sort_implINS0_14default_configELb0EPK12hip_bfloat16PSL_PKlPlN2at6native12_GLOBAL__N_18offset_tEEE10hipError_tPvRmT1_PNSt15iterator_traitsISZ_E10value_typeET2_T3_PNS10_IS15_E10value_typeET4_jRbjT5_S1B_jjP12ihipStream_tbEUljE_EEESW_SX_SY_S15_S19_S1B_T6_T7_T9_mT8_S1D_bDpT10_ENKUlT_T0_E_clISt17integral_constantIbLb1EES1P_IbLb0EEEEDaS1L_S1M_EUlS1L_E_NS1_11comp_targetILNS1_3genE8ELNS1_11target_archE1030ELNS1_3gpuE2ELNS1_3repE0EEENS1_30default_config_static_selectorELNS0_4arch9wavefront6targetE0EEEvSZ_,"axG",@progbits,_ZN7rocprim17ROCPRIM_400000_NS6detail17trampoline_kernelINS0_13select_configILj256ELj13ELNS0_17block_load_methodE3ELS4_3ELS4_3ELNS0_20block_scan_algorithmE0ELj4294967295EEENS1_25partition_config_selectorILNS1_17partition_subalgoE3EjNS0_10empty_typeEbEEZZNS1_14partition_implILS8_3ELb0ES6_jNS0_17counting_iteratorIjlEEPS9_SE_NS0_5tupleIJPjSE_EEENSF_IJSE_SE_EEES9_SG_JZNS1_25segmented_radix_sort_implINS0_14default_configELb0EPK12hip_bfloat16PSL_PKlPlN2at6native12_GLOBAL__N_18offset_tEEE10hipError_tPvRmT1_PNSt15iterator_traitsISZ_E10value_typeET2_T3_PNS10_IS15_E10value_typeET4_jRbjT5_S1B_jjP12ihipStream_tbEUljE_EEESW_SX_SY_S15_S19_S1B_T6_T7_T9_mT8_S1D_bDpT10_ENKUlT_T0_E_clISt17integral_constantIbLb1EES1P_IbLb0EEEEDaS1L_S1M_EUlS1L_E_NS1_11comp_targetILNS1_3genE8ELNS1_11target_archE1030ELNS1_3gpuE2ELNS1_3repE0EEENS1_30default_config_static_selectorELNS0_4arch9wavefront6targetE0EEEvSZ_,comdat
	.globl	_ZN7rocprim17ROCPRIM_400000_NS6detail17trampoline_kernelINS0_13select_configILj256ELj13ELNS0_17block_load_methodE3ELS4_3ELS4_3ELNS0_20block_scan_algorithmE0ELj4294967295EEENS1_25partition_config_selectorILNS1_17partition_subalgoE3EjNS0_10empty_typeEbEEZZNS1_14partition_implILS8_3ELb0ES6_jNS0_17counting_iteratorIjlEEPS9_SE_NS0_5tupleIJPjSE_EEENSF_IJSE_SE_EEES9_SG_JZNS1_25segmented_radix_sort_implINS0_14default_configELb0EPK12hip_bfloat16PSL_PKlPlN2at6native12_GLOBAL__N_18offset_tEEE10hipError_tPvRmT1_PNSt15iterator_traitsISZ_E10value_typeET2_T3_PNS10_IS15_E10value_typeET4_jRbjT5_S1B_jjP12ihipStream_tbEUljE_EEESW_SX_SY_S15_S19_S1B_T6_T7_T9_mT8_S1D_bDpT10_ENKUlT_T0_E_clISt17integral_constantIbLb1EES1P_IbLb0EEEEDaS1L_S1M_EUlS1L_E_NS1_11comp_targetILNS1_3genE8ELNS1_11target_archE1030ELNS1_3gpuE2ELNS1_3repE0EEENS1_30default_config_static_selectorELNS0_4arch9wavefront6targetE0EEEvSZ_ ; -- Begin function _ZN7rocprim17ROCPRIM_400000_NS6detail17trampoline_kernelINS0_13select_configILj256ELj13ELNS0_17block_load_methodE3ELS4_3ELS4_3ELNS0_20block_scan_algorithmE0ELj4294967295EEENS1_25partition_config_selectorILNS1_17partition_subalgoE3EjNS0_10empty_typeEbEEZZNS1_14partition_implILS8_3ELb0ES6_jNS0_17counting_iteratorIjlEEPS9_SE_NS0_5tupleIJPjSE_EEENSF_IJSE_SE_EEES9_SG_JZNS1_25segmented_radix_sort_implINS0_14default_configELb0EPK12hip_bfloat16PSL_PKlPlN2at6native12_GLOBAL__N_18offset_tEEE10hipError_tPvRmT1_PNSt15iterator_traitsISZ_E10value_typeET2_T3_PNS10_IS15_E10value_typeET4_jRbjT5_S1B_jjP12ihipStream_tbEUljE_EEESW_SX_SY_S15_S19_S1B_T6_T7_T9_mT8_S1D_bDpT10_ENKUlT_T0_E_clISt17integral_constantIbLb1EES1P_IbLb0EEEEDaS1L_S1M_EUlS1L_E_NS1_11comp_targetILNS1_3genE8ELNS1_11target_archE1030ELNS1_3gpuE2ELNS1_3repE0EEENS1_30default_config_static_selectorELNS0_4arch9wavefront6targetE0EEEvSZ_
	.p2align	8
	.type	_ZN7rocprim17ROCPRIM_400000_NS6detail17trampoline_kernelINS0_13select_configILj256ELj13ELNS0_17block_load_methodE3ELS4_3ELS4_3ELNS0_20block_scan_algorithmE0ELj4294967295EEENS1_25partition_config_selectorILNS1_17partition_subalgoE3EjNS0_10empty_typeEbEEZZNS1_14partition_implILS8_3ELb0ES6_jNS0_17counting_iteratorIjlEEPS9_SE_NS0_5tupleIJPjSE_EEENSF_IJSE_SE_EEES9_SG_JZNS1_25segmented_radix_sort_implINS0_14default_configELb0EPK12hip_bfloat16PSL_PKlPlN2at6native12_GLOBAL__N_18offset_tEEE10hipError_tPvRmT1_PNSt15iterator_traitsISZ_E10value_typeET2_T3_PNS10_IS15_E10value_typeET4_jRbjT5_S1B_jjP12ihipStream_tbEUljE_EEESW_SX_SY_S15_S19_S1B_T6_T7_T9_mT8_S1D_bDpT10_ENKUlT_T0_E_clISt17integral_constantIbLb1EES1P_IbLb0EEEEDaS1L_S1M_EUlS1L_E_NS1_11comp_targetILNS1_3genE8ELNS1_11target_archE1030ELNS1_3gpuE2ELNS1_3repE0EEENS1_30default_config_static_selectorELNS0_4arch9wavefront6targetE0EEEvSZ_,@function
_ZN7rocprim17ROCPRIM_400000_NS6detail17trampoline_kernelINS0_13select_configILj256ELj13ELNS0_17block_load_methodE3ELS4_3ELS4_3ELNS0_20block_scan_algorithmE0ELj4294967295EEENS1_25partition_config_selectorILNS1_17partition_subalgoE3EjNS0_10empty_typeEbEEZZNS1_14partition_implILS8_3ELb0ES6_jNS0_17counting_iteratorIjlEEPS9_SE_NS0_5tupleIJPjSE_EEENSF_IJSE_SE_EEES9_SG_JZNS1_25segmented_radix_sort_implINS0_14default_configELb0EPK12hip_bfloat16PSL_PKlPlN2at6native12_GLOBAL__N_18offset_tEEE10hipError_tPvRmT1_PNSt15iterator_traitsISZ_E10value_typeET2_T3_PNS10_IS15_E10value_typeET4_jRbjT5_S1B_jjP12ihipStream_tbEUljE_EEESW_SX_SY_S15_S19_S1B_T6_T7_T9_mT8_S1D_bDpT10_ENKUlT_T0_E_clISt17integral_constantIbLb1EES1P_IbLb0EEEEDaS1L_S1M_EUlS1L_E_NS1_11comp_targetILNS1_3genE8ELNS1_11target_archE1030ELNS1_3gpuE2ELNS1_3repE0EEENS1_30default_config_static_selectorELNS0_4arch9wavefront6targetE0EEEvSZ_: ; @_ZN7rocprim17ROCPRIM_400000_NS6detail17trampoline_kernelINS0_13select_configILj256ELj13ELNS0_17block_load_methodE3ELS4_3ELS4_3ELNS0_20block_scan_algorithmE0ELj4294967295EEENS1_25partition_config_selectorILNS1_17partition_subalgoE3EjNS0_10empty_typeEbEEZZNS1_14partition_implILS8_3ELb0ES6_jNS0_17counting_iteratorIjlEEPS9_SE_NS0_5tupleIJPjSE_EEENSF_IJSE_SE_EEES9_SG_JZNS1_25segmented_radix_sort_implINS0_14default_configELb0EPK12hip_bfloat16PSL_PKlPlN2at6native12_GLOBAL__N_18offset_tEEE10hipError_tPvRmT1_PNSt15iterator_traitsISZ_E10value_typeET2_T3_PNS10_IS15_E10value_typeET4_jRbjT5_S1B_jjP12ihipStream_tbEUljE_EEESW_SX_SY_S15_S19_S1B_T6_T7_T9_mT8_S1D_bDpT10_ENKUlT_T0_E_clISt17integral_constantIbLb1EES1P_IbLb0EEEEDaS1L_S1M_EUlS1L_E_NS1_11comp_targetILNS1_3genE8ELNS1_11target_archE1030ELNS1_3gpuE2ELNS1_3repE0EEENS1_30default_config_static_selectorELNS0_4arch9wavefront6targetE0EEEvSZ_
; %bb.0:
	s_endpgm
	.section	.rodata,"a",@progbits
	.p2align	6, 0x0
	.amdhsa_kernel _ZN7rocprim17ROCPRIM_400000_NS6detail17trampoline_kernelINS0_13select_configILj256ELj13ELNS0_17block_load_methodE3ELS4_3ELS4_3ELNS0_20block_scan_algorithmE0ELj4294967295EEENS1_25partition_config_selectorILNS1_17partition_subalgoE3EjNS0_10empty_typeEbEEZZNS1_14partition_implILS8_3ELb0ES6_jNS0_17counting_iteratorIjlEEPS9_SE_NS0_5tupleIJPjSE_EEENSF_IJSE_SE_EEES9_SG_JZNS1_25segmented_radix_sort_implINS0_14default_configELb0EPK12hip_bfloat16PSL_PKlPlN2at6native12_GLOBAL__N_18offset_tEEE10hipError_tPvRmT1_PNSt15iterator_traitsISZ_E10value_typeET2_T3_PNS10_IS15_E10value_typeET4_jRbjT5_S1B_jjP12ihipStream_tbEUljE_EEESW_SX_SY_S15_S19_S1B_T6_T7_T9_mT8_S1D_bDpT10_ENKUlT_T0_E_clISt17integral_constantIbLb1EES1P_IbLb0EEEEDaS1L_S1M_EUlS1L_E_NS1_11comp_targetILNS1_3genE8ELNS1_11target_archE1030ELNS1_3gpuE2ELNS1_3repE0EEENS1_30default_config_static_selectorELNS0_4arch9wavefront6targetE0EEEvSZ_
		.amdhsa_group_segment_fixed_size 0
		.amdhsa_private_segment_fixed_size 0
		.amdhsa_kernarg_size 144
		.amdhsa_user_sgpr_count 6
		.amdhsa_user_sgpr_private_segment_buffer 1
		.amdhsa_user_sgpr_dispatch_ptr 0
		.amdhsa_user_sgpr_queue_ptr 0
		.amdhsa_user_sgpr_kernarg_segment_ptr 1
		.amdhsa_user_sgpr_dispatch_id 0
		.amdhsa_user_sgpr_flat_scratch_init 0
		.amdhsa_user_sgpr_private_segment_size 0
		.amdhsa_wavefront_size32 1
		.amdhsa_uses_dynamic_stack 0
		.amdhsa_system_sgpr_private_segment_wavefront_offset 0
		.amdhsa_system_sgpr_workgroup_id_x 1
		.amdhsa_system_sgpr_workgroup_id_y 0
		.amdhsa_system_sgpr_workgroup_id_z 0
		.amdhsa_system_sgpr_workgroup_info 0
		.amdhsa_system_vgpr_workitem_id 0
		.amdhsa_next_free_vgpr 1
		.amdhsa_next_free_sgpr 1
		.amdhsa_reserve_vcc 0
		.amdhsa_reserve_flat_scratch 0
		.amdhsa_float_round_mode_32 0
		.amdhsa_float_round_mode_16_64 0
		.amdhsa_float_denorm_mode_32 3
		.amdhsa_float_denorm_mode_16_64 3
		.amdhsa_dx10_clamp 1
		.amdhsa_ieee_mode 1
		.amdhsa_fp16_overflow 0
		.amdhsa_workgroup_processor_mode 1
		.amdhsa_memory_ordered 1
		.amdhsa_forward_progress 1
		.amdhsa_shared_vgpr_count 0
		.amdhsa_exception_fp_ieee_invalid_op 0
		.amdhsa_exception_fp_denorm_src 0
		.amdhsa_exception_fp_ieee_div_zero 0
		.amdhsa_exception_fp_ieee_overflow 0
		.amdhsa_exception_fp_ieee_underflow 0
		.amdhsa_exception_fp_ieee_inexact 0
		.amdhsa_exception_int_div_zero 0
	.end_amdhsa_kernel
	.section	.text._ZN7rocprim17ROCPRIM_400000_NS6detail17trampoline_kernelINS0_13select_configILj256ELj13ELNS0_17block_load_methodE3ELS4_3ELS4_3ELNS0_20block_scan_algorithmE0ELj4294967295EEENS1_25partition_config_selectorILNS1_17partition_subalgoE3EjNS0_10empty_typeEbEEZZNS1_14partition_implILS8_3ELb0ES6_jNS0_17counting_iteratorIjlEEPS9_SE_NS0_5tupleIJPjSE_EEENSF_IJSE_SE_EEES9_SG_JZNS1_25segmented_radix_sort_implINS0_14default_configELb0EPK12hip_bfloat16PSL_PKlPlN2at6native12_GLOBAL__N_18offset_tEEE10hipError_tPvRmT1_PNSt15iterator_traitsISZ_E10value_typeET2_T3_PNS10_IS15_E10value_typeET4_jRbjT5_S1B_jjP12ihipStream_tbEUljE_EEESW_SX_SY_S15_S19_S1B_T6_T7_T9_mT8_S1D_bDpT10_ENKUlT_T0_E_clISt17integral_constantIbLb1EES1P_IbLb0EEEEDaS1L_S1M_EUlS1L_E_NS1_11comp_targetILNS1_3genE8ELNS1_11target_archE1030ELNS1_3gpuE2ELNS1_3repE0EEENS1_30default_config_static_selectorELNS0_4arch9wavefront6targetE0EEEvSZ_,"axG",@progbits,_ZN7rocprim17ROCPRIM_400000_NS6detail17trampoline_kernelINS0_13select_configILj256ELj13ELNS0_17block_load_methodE3ELS4_3ELS4_3ELNS0_20block_scan_algorithmE0ELj4294967295EEENS1_25partition_config_selectorILNS1_17partition_subalgoE3EjNS0_10empty_typeEbEEZZNS1_14partition_implILS8_3ELb0ES6_jNS0_17counting_iteratorIjlEEPS9_SE_NS0_5tupleIJPjSE_EEENSF_IJSE_SE_EEES9_SG_JZNS1_25segmented_radix_sort_implINS0_14default_configELb0EPK12hip_bfloat16PSL_PKlPlN2at6native12_GLOBAL__N_18offset_tEEE10hipError_tPvRmT1_PNSt15iterator_traitsISZ_E10value_typeET2_T3_PNS10_IS15_E10value_typeET4_jRbjT5_S1B_jjP12ihipStream_tbEUljE_EEESW_SX_SY_S15_S19_S1B_T6_T7_T9_mT8_S1D_bDpT10_ENKUlT_T0_E_clISt17integral_constantIbLb1EES1P_IbLb0EEEEDaS1L_S1M_EUlS1L_E_NS1_11comp_targetILNS1_3genE8ELNS1_11target_archE1030ELNS1_3gpuE2ELNS1_3repE0EEENS1_30default_config_static_selectorELNS0_4arch9wavefront6targetE0EEEvSZ_,comdat
.Lfunc_end2030:
	.size	_ZN7rocprim17ROCPRIM_400000_NS6detail17trampoline_kernelINS0_13select_configILj256ELj13ELNS0_17block_load_methodE3ELS4_3ELS4_3ELNS0_20block_scan_algorithmE0ELj4294967295EEENS1_25partition_config_selectorILNS1_17partition_subalgoE3EjNS0_10empty_typeEbEEZZNS1_14partition_implILS8_3ELb0ES6_jNS0_17counting_iteratorIjlEEPS9_SE_NS0_5tupleIJPjSE_EEENSF_IJSE_SE_EEES9_SG_JZNS1_25segmented_radix_sort_implINS0_14default_configELb0EPK12hip_bfloat16PSL_PKlPlN2at6native12_GLOBAL__N_18offset_tEEE10hipError_tPvRmT1_PNSt15iterator_traitsISZ_E10value_typeET2_T3_PNS10_IS15_E10value_typeET4_jRbjT5_S1B_jjP12ihipStream_tbEUljE_EEESW_SX_SY_S15_S19_S1B_T6_T7_T9_mT8_S1D_bDpT10_ENKUlT_T0_E_clISt17integral_constantIbLb1EES1P_IbLb0EEEEDaS1L_S1M_EUlS1L_E_NS1_11comp_targetILNS1_3genE8ELNS1_11target_archE1030ELNS1_3gpuE2ELNS1_3repE0EEENS1_30default_config_static_selectorELNS0_4arch9wavefront6targetE0EEEvSZ_, .Lfunc_end2030-_ZN7rocprim17ROCPRIM_400000_NS6detail17trampoline_kernelINS0_13select_configILj256ELj13ELNS0_17block_load_methodE3ELS4_3ELS4_3ELNS0_20block_scan_algorithmE0ELj4294967295EEENS1_25partition_config_selectorILNS1_17partition_subalgoE3EjNS0_10empty_typeEbEEZZNS1_14partition_implILS8_3ELb0ES6_jNS0_17counting_iteratorIjlEEPS9_SE_NS0_5tupleIJPjSE_EEENSF_IJSE_SE_EEES9_SG_JZNS1_25segmented_radix_sort_implINS0_14default_configELb0EPK12hip_bfloat16PSL_PKlPlN2at6native12_GLOBAL__N_18offset_tEEE10hipError_tPvRmT1_PNSt15iterator_traitsISZ_E10value_typeET2_T3_PNS10_IS15_E10value_typeET4_jRbjT5_S1B_jjP12ihipStream_tbEUljE_EEESW_SX_SY_S15_S19_S1B_T6_T7_T9_mT8_S1D_bDpT10_ENKUlT_T0_E_clISt17integral_constantIbLb1EES1P_IbLb0EEEEDaS1L_S1M_EUlS1L_E_NS1_11comp_targetILNS1_3genE8ELNS1_11target_archE1030ELNS1_3gpuE2ELNS1_3repE0EEENS1_30default_config_static_selectorELNS0_4arch9wavefront6targetE0EEEvSZ_
                                        ; -- End function
	.set _ZN7rocprim17ROCPRIM_400000_NS6detail17trampoline_kernelINS0_13select_configILj256ELj13ELNS0_17block_load_methodE3ELS4_3ELS4_3ELNS0_20block_scan_algorithmE0ELj4294967295EEENS1_25partition_config_selectorILNS1_17partition_subalgoE3EjNS0_10empty_typeEbEEZZNS1_14partition_implILS8_3ELb0ES6_jNS0_17counting_iteratorIjlEEPS9_SE_NS0_5tupleIJPjSE_EEENSF_IJSE_SE_EEES9_SG_JZNS1_25segmented_radix_sort_implINS0_14default_configELb0EPK12hip_bfloat16PSL_PKlPlN2at6native12_GLOBAL__N_18offset_tEEE10hipError_tPvRmT1_PNSt15iterator_traitsISZ_E10value_typeET2_T3_PNS10_IS15_E10value_typeET4_jRbjT5_S1B_jjP12ihipStream_tbEUljE_EEESW_SX_SY_S15_S19_S1B_T6_T7_T9_mT8_S1D_bDpT10_ENKUlT_T0_E_clISt17integral_constantIbLb1EES1P_IbLb0EEEEDaS1L_S1M_EUlS1L_E_NS1_11comp_targetILNS1_3genE8ELNS1_11target_archE1030ELNS1_3gpuE2ELNS1_3repE0EEENS1_30default_config_static_selectorELNS0_4arch9wavefront6targetE0EEEvSZ_.num_vgpr, 0
	.set _ZN7rocprim17ROCPRIM_400000_NS6detail17trampoline_kernelINS0_13select_configILj256ELj13ELNS0_17block_load_methodE3ELS4_3ELS4_3ELNS0_20block_scan_algorithmE0ELj4294967295EEENS1_25partition_config_selectorILNS1_17partition_subalgoE3EjNS0_10empty_typeEbEEZZNS1_14partition_implILS8_3ELb0ES6_jNS0_17counting_iteratorIjlEEPS9_SE_NS0_5tupleIJPjSE_EEENSF_IJSE_SE_EEES9_SG_JZNS1_25segmented_radix_sort_implINS0_14default_configELb0EPK12hip_bfloat16PSL_PKlPlN2at6native12_GLOBAL__N_18offset_tEEE10hipError_tPvRmT1_PNSt15iterator_traitsISZ_E10value_typeET2_T3_PNS10_IS15_E10value_typeET4_jRbjT5_S1B_jjP12ihipStream_tbEUljE_EEESW_SX_SY_S15_S19_S1B_T6_T7_T9_mT8_S1D_bDpT10_ENKUlT_T0_E_clISt17integral_constantIbLb1EES1P_IbLb0EEEEDaS1L_S1M_EUlS1L_E_NS1_11comp_targetILNS1_3genE8ELNS1_11target_archE1030ELNS1_3gpuE2ELNS1_3repE0EEENS1_30default_config_static_selectorELNS0_4arch9wavefront6targetE0EEEvSZ_.num_agpr, 0
	.set _ZN7rocprim17ROCPRIM_400000_NS6detail17trampoline_kernelINS0_13select_configILj256ELj13ELNS0_17block_load_methodE3ELS4_3ELS4_3ELNS0_20block_scan_algorithmE0ELj4294967295EEENS1_25partition_config_selectorILNS1_17partition_subalgoE3EjNS0_10empty_typeEbEEZZNS1_14partition_implILS8_3ELb0ES6_jNS0_17counting_iteratorIjlEEPS9_SE_NS0_5tupleIJPjSE_EEENSF_IJSE_SE_EEES9_SG_JZNS1_25segmented_radix_sort_implINS0_14default_configELb0EPK12hip_bfloat16PSL_PKlPlN2at6native12_GLOBAL__N_18offset_tEEE10hipError_tPvRmT1_PNSt15iterator_traitsISZ_E10value_typeET2_T3_PNS10_IS15_E10value_typeET4_jRbjT5_S1B_jjP12ihipStream_tbEUljE_EEESW_SX_SY_S15_S19_S1B_T6_T7_T9_mT8_S1D_bDpT10_ENKUlT_T0_E_clISt17integral_constantIbLb1EES1P_IbLb0EEEEDaS1L_S1M_EUlS1L_E_NS1_11comp_targetILNS1_3genE8ELNS1_11target_archE1030ELNS1_3gpuE2ELNS1_3repE0EEENS1_30default_config_static_selectorELNS0_4arch9wavefront6targetE0EEEvSZ_.numbered_sgpr, 0
	.set _ZN7rocprim17ROCPRIM_400000_NS6detail17trampoline_kernelINS0_13select_configILj256ELj13ELNS0_17block_load_methodE3ELS4_3ELS4_3ELNS0_20block_scan_algorithmE0ELj4294967295EEENS1_25partition_config_selectorILNS1_17partition_subalgoE3EjNS0_10empty_typeEbEEZZNS1_14partition_implILS8_3ELb0ES6_jNS0_17counting_iteratorIjlEEPS9_SE_NS0_5tupleIJPjSE_EEENSF_IJSE_SE_EEES9_SG_JZNS1_25segmented_radix_sort_implINS0_14default_configELb0EPK12hip_bfloat16PSL_PKlPlN2at6native12_GLOBAL__N_18offset_tEEE10hipError_tPvRmT1_PNSt15iterator_traitsISZ_E10value_typeET2_T3_PNS10_IS15_E10value_typeET4_jRbjT5_S1B_jjP12ihipStream_tbEUljE_EEESW_SX_SY_S15_S19_S1B_T6_T7_T9_mT8_S1D_bDpT10_ENKUlT_T0_E_clISt17integral_constantIbLb1EES1P_IbLb0EEEEDaS1L_S1M_EUlS1L_E_NS1_11comp_targetILNS1_3genE8ELNS1_11target_archE1030ELNS1_3gpuE2ELNS1_3repE0EEENS1_30default_config_static_selectorELNS0_4arch9wavefront6targetE0EEEvSZ_.num_named_barrier, 0
	.set _ZN7rocprim17ROCPRIM_400000_NS6detail17trampoline_kernelINS0_13select_configILj256ELj13ELNS0_17block_load_methodE3ELS4_3ELS4_3ELNS0_20block_scan_algorithmE0ELj4294967295EEENS1_25partition_config_selectorILNS1_17partition_subalgoE3EjNS0_10empty_typeEbEEZZNS1_14partition_implILS8_3ELb0ES6_jNS0_17counting_iteratorIjlEEPS9_SE_NS0_5tupleIJPjSE_EEENSF_IJSE_SE_EEES9_SG_JZNS1_25segmented_radix_sort_implINS0_14default_configELb0EPK12hip_bfloat16PSL_PKlPlN2at6native12_GLOBAL__N_18offset_tEEE10hipError_tPvRmT1_PNSt15iterator_traitsISZ_E10value_typeET2_T3_PNS10_IS15_E10value_typeET4_jRbjT5_S1B_jjP12ihipStream_tbEUljE_EEESW_SX_SY_S15_S19_S1B_T6_T7_T9_mT8_S1D_bDpT10_ENKUlT_T0_E_clISt17integral_constantIbLb1EES1P_IbLb0EEEEDaS1L_S1M_EUlS1L_E_NS1_11comp_targetILNS1_3genE8ELNS1_11target_archE1030ELNS1_3gpuE2ELNS1_3repE0EEENS1_30default_config_static_selectorELNS0_4arch9wavefront6targetE0EEEvSZ_.private_seg_size, 0
	.set _ZN7rocprim17ROCPRIM_400000_NS6detail17trampoline_kernelINS0_13select_configILj256ELj13ELNS0_17block_load_methodE3ELS4_3ELS4_3ELNS0_20block_scan_algorithmE0ELj4294967295EEENS1_25partition_config_selectorILNS1_17partition_subalgoE3EjNS0_10empty_typeEbEEZZNS1_14partition_implILS8_3ELb0ES6_jNS0_17counting_iteratorIjlEEPS9_SE_NS0_5tupleIJPjSE_EEENSF_IJSE_SE_EEES9_SG_JZNS1_25segmented_radix_sort_implINS0_14default_configELb0EPK12hip_bfloat16PSL_PKlPlN2at6native12_GLOBAL__N_18offset_tEEE10hipError_tPvRmT1_PNSt15iterator_traitsISZ_E10value_typeET2_T3_PNS10_IS15_E10value_typeET4_jRbjT5_S1B_jjP12ihipStream_tbEUljE_EEESW_SX_SY_S15_S19_S1B_T6_T7_T9_mT8_S1D_bDpT10_ENKUlT_T0_E_clISt17integral_constantIbLb1EES1P_IbLb0EEEEDaS1L_S1M_EUlS1L_E_NS1_11comp_targetILNS1_3genE8ELNS1_11target_archE1030ELNS1_3gpuE2ELNS1_3repE0EEENS1_30default_config_static_selectorELNS0_4arch9wavefront6targetE0EEEvSZ_.uses_vcc, 0
	.set _ZN7rocprim17ROCPRIM_400000_NS6detail17trampoline_kernelINS0_13select_configILj256ELj13ELNS0_17block_load_methodE3ELS4_3ELS4_3ELNS0_20block_scan_algorithmE0ELj4294967295EEENS1_25partition_config_selectorILNS1_17partition_subalgoE3EjNS0_10empty_typeEbEEZZNS1_14partition_implILS8_3ELb0ES6_jNS0_17counting_iteratorIjlEEPS9_SE_NS0_5tupleIJPjSE_EEENSF_IJSE_SE_EEES9_SG_JZNS1_25segmented_radix_sort_implINS0_14default_configELb0EPK12hip_bfloat16PSL_PKlPlN2at6native12_GLOBAL__N_18offset_tEEE10hipError_tPvRmT1_PNSt15iterator_traitsISZ_E10value_typeET2_T3_PNS10_IS15_E10value_typeET4_jRbjT5_S1B_jjP12ihipStream_tbEUljE_EEESW_SX_SY_S15_S19_S1B_T6_T7_T9_mT8_S1D_bDpT10_ENKUlT_T0_E_clISt17integral_constantIbLb1EES1P_IbLb0EEEEDaS1L_S1M_EUlS1L_E_NS1_11comp_targetILNS1_3genE8ELNS1_11target_archE1030ELNS1_3gpuE2ELNS1_3repE0EEENS1_30default_config_static_selectorELNS0_4arch9wavefront6targetE0EEEvSZ_.uses_flat_scratch, 0
	.set _ZN7rocprim17ROCPRIM_400000_NS6detail17trampoline_kernelINS0_13select_configILj256ELj13ELNS0_17block_load_methodE3ELS4_3ELS4_3ELNS0_20block_scan_algorithmE0ELj4294967295EEENS1_25partition_config_selectorILNS1_17partition_subalgoE3EjNS0_10empty_typeEbEEZZNS1_14partition_implILS8_3ELb0ES6_jNS0_17counting_iteratorIjlEEPS9_SE_NS0_5tupleIJPjSE_EEENSF_IJSE_SE_EEES9_SG_JZNS1_25segmented_radix_sort_implINS0_14default_configELb0EPK12hip_bfloat16PSL_PKlPlN2at6native12_GLOBAL__N_18offset_tEEE10hipError_tPvRmT1_PNSt15iterator_traitsISZ_E10value_typeET2_T3_PNS10_IS15_E10value_typeET4_jRbjT5_S1B_jjP12ihipStream_tbEUljE_EEESW_SX_SY_S15_S19_S1B_T6_T7_T9_mT8_S1D_bDpT10_ENKUlT_T0_E_clISt17integral_constantIbLb1EES1P_IbLb0EEEEDaS1L_S1M_EUlS1L_E_NS1_11comp_targetILNS1_3genE8ELNS1_11target_archE1030ELNS1_3gpuE2ELNS1_3repE0EEENS1_30default_config_static_selectorELNS0_4arch9wavefront6targetE0EEEvSZ_.has_dyn_sized_stack, 0
	.set _ZN7rocprim17ROCPRIM_400000_NS6detail17trampoline_kernelINS0_13select_configILj256ELj13ELNS0_17block_load_methodE3ELS4_3ELS4_3ELNS0_20block_scan_algorithmE0ELj4294967295EEENS1_25partition_config_selectorILNS1_17partition_subalgoE3EjNS0_10empty_typeEbEEZZNS1_14partition_implILS8_3ELb0ES6_jNS0_17counting_iteratorIjlEEPS9_SE_NS0_5tupleIJPjSE_EEENSF_IJSE_SE_EEES9_SG_JZNS1_25segmented_radix_sort_implINS0_14default_configELb0EPK12hip_bfloat16PSL_PKlPlN2at6native12_GLOBAL__N_18offset_tEEE10hipError_tPvRmT1_PNSt15iterator_traitsISZ_E10value_typeET2_T3_PNS10_IS15_E10value_typeET4_jRbjT5_S1B_jjP12ihipStream_tbEUljE_EEESW_SX_SY_S15_S19_S1B_T6_T7_T9_mT8_S1D_bDpT10_ENKUlT_T0_E_clISt17integral_constantIbLb1EES1P_IbLb0EEEEDaS1L_S1M_EUlS1L_E_NS1_11comp_targetILNS1_3genE8ELNS1_11target_archE1030ELNS1_3gpuE2ELNS1_3repE0EEENS1_30default_config_static_selectorELNS0_4arch9wavefront6targetE0EEEvSZ_.has_recursion, 0
	.set _ZN7rocprim17ROCPRIM_400000_NS6detail17trampoline_kernelINS0_13select_configILj256ELj13ELNS0_17block_load_methodE3ELS4_3ELS4_3ELNS0_20block_scan_algorithmE0ELj4294967295EEENS1_25partition_config_selectorILNS1_17partition_subalgoE3EjNS0_10empty_typeEbEEZZNS1_14partition_implILS8_3ELb0ES6_jNS0_17counting_iteratorIjlEEPS9_SE_NS0_5tupleIJPjSE_EEENSF_IJSE_SE_EEES9_SG_JZNS1_25segmented_radix_sort_implINS0_14default_configELb0EPK12hip_bfloat16PSL_PKlPlN2at6native12_GLOBAL__N_18offset_tEEE10hipError_tPvRmT1_PNSt15iterator_traitsISZ_E10value_typeET2_T3_PNS10_IS15_E10value_typeET4_jRbjT5_S1B_jjP12ihipStream_tbEUljE_EEESW_SX_SY_S15_S19_S1B_T6_T7_T9_mT8_S1D_bDpT10_ENKUlT_T0_E_clISt17integral_constantIbLb1EES1P_IbLb0EEEEDaS1L_S1M_EUlS1L_E_NS1_11comp_targetILNS1_3genE8ELNS1_11target_archE1030ELNS1_3gpuE2ELNS1_3repE0EEENS1_30default_config_static_selectorELNS0_4arch9wavefront6targetE0EEEvSZ_.has_indirect_call, 0
	.section	.AMDGPU.csdata,"",@progbits
; Kernel info:
; codeLenInByte = 4
; TotalNumSgprs: 0
; NumVgprs: 0
; ScratchSize: 0
; MemoryBound: 0
; FloatMode: 240
; IeeeMode: 1
; LDSByteSize: 0 bytes/workgroup (compile time only)
; SGPRBlocks: 0
; VGPRBlocks: 0
; NumSGPRsForWavesPerEU: 1
; NumVGPRsForWavesPerEU: 1
; Occupancy: 16
; WaveLimiterHint : 0
; COMPUTE_PGM_RSRC2:SCRATCH_EN: 0
; COMPUTE_PGM_RSRC2:USER_SGPR: 6
; COMPUTE_PGM_RSRC2:TRAP_HANDLER: 0
; COMPUTE_PGM_RSRC2:TGID_X_EN: 1
; COMPUTE_PGM_RSRC2:TGID_Y_EN: 0
; COMPUTE_PGM_RSRC2:TGID_Z_EN: 0
; COMPUTE_PGM_RSRC2:TIDIG_COMP_CNT: 0
	.section	.text._ZN7rocprim17ROCPRIM_400000_NS6detail17trampoline_kernelINS0_13select_configILj256ELj13ELNS0_17block_load_methodE3ELS4_3ELS4_3ELNS0_20block_scan_algorithmE0ELj4294967295EEENS1_25partition_config_selectorILNS1_17partition_subalgoE3EjNS0_10empty_typeEbEEZZNS1_14partition_implILS8_3ELb0ES6_jNS0_17counting_iteratorIjlEEPS9_SE_NS0_5tupleIJPjSE_EEENSF_IJSE_SE_EEES9_SG_JZNS1_25segmented_radix_sort_implINS0_14default_configELb0EPK12hip_bfloat16PSL_PKlPlN2at6native12_GLOBAL__N_18offset_tEEE10hipError_tPvRmT1_PNSt15iterator_traitsISZ_E10value_typeET2_T3_PNS10_IS15_E10value_typeET4_jRbjT5_S1B_jjP12ihipStream_tbEUljE_EEESW_SX_SY_S15_S19_S1B_T6_T7_T9_mT8_S1D_bDpT10_ENKUlT_T0_E_clISt17integral_constantIbLb0EES1P_IbLb1EEEEDaS1L_S1M_EUlS1L_E_NS1_11comp_targetILNS1_3genE0ELNS1_11target_archE4294967295ELNS1_3gpuE0ELNS1_3repE0EEENS1_30default_config_static_selectorELNS0_4arch9wavefront6targetE0EEEvSZ_,"axG",@progbits,_ZN7rocprim17ROCPRIM_400000_NS6detail17trampoline_kernelINS0_13select_configILj256ELj13ELNS0_17block_load_methodE3ELS4_3ELS4_3ELNS0_20block_scan_algorithmE0ELj4294967295EEENS1_25partition_config_selectorILNS1_17partition_subalgoE3EjNS0_10empty_typeEbEEZZNS1_14partition_implILS8_3ELb0ES6_jNS0_17counting_iteratorIjlEEPS9_SE_NS0_5tupleIJPjSE_EEENSF_IJSE_SE_EEES9_SG_JZNS1_25segmented_radix_sort_implINS0_14default_configELb0EPK12hip_bfloat16PSL_PKlPlN2at6native12_GLOBAL__N_18offset_tEEE10hipError_tPvRmT1_PNSt15iterator_traitsISZ_E10value_typeET2_T3_PNS10_IS15_E10value_typeET4_jRbjT5_S1B_jjP12ihipStream_tbEUljE_EEESW_SX_SY_S15_S19_S1B_T6_T7_T9_mT8_S1D_bDpT10_ENKUlT_T0_E_clISt17integral_constantIbLb0EES1P_IbLb1EEEEDaS1L_S1M_EUlS1L_E_NS1_11comp_targetILNS1_3genE0ELNS1_11target_archE4294967295ELNS1_3gpuE0ELNS1_3repE0EEENS1_30default_config_static_selectorELNS0_4arch9wavefront6targetE0EEEvSZ_,comdat
	.globl	_ZN7rocprim17ROCPRIM_400000_NS6detail17trampoline_kernelINS0_13select_configILj256ELj13ELNS0_17block_load_methodE3ELS4_3ELS4_3ELNS0_20block_scan_algorithmE0ELj4294967295EEENS1_25partition_config_selectorILNS1_17partition_subalgoE3EjNS0_10empty_typeEbEEZZNS1_14partition_implILS8_3ELb0ES6_jNS0_17counting_iteratorIjlEEPS9_SE_NS0_5tupleIJPjSE_EEENSF_IJSE_SE_EEES9_SG_JZNS1_25segmented_radix_sort_implINS0_14default_configELb0EPK12hip_bfloat16PSL_PKlPlN2at6native12_GLOBAL__N_18offset_tEEE10hipError_tPvRmT1_PNSt15iterator_traitsISZ_E10value_typeET2_T3_PNS10_IS15_E10value_typeET4_jRbjT5_S1B_jjP12ihipStream_tbEUljE_EEESW_SX_SY_S15_S19_S1B_T6_T7_T9_mT8_S1D_bDpT10_ENKUlT_T0_E_clISt17integral_constantIbLb0EES1P_IbLb1EEEEDaS1L_S1M_EUlS1L_E_NS1_11comp_targetILNS1_3genE0ELNS1_11target_archE4294967295ELNS1_3gpuE0ELNS1_3repE0EEENS1_30default_config_static_selectorELNS0_4arch9wavefront6targetE0EEEvSZ_ ; -- Begin function _ZN7rocprim17ROCPRIM_400000_NS6detail17trampoline_kernelINS0_13select_configILj256ELj13ELNS0_17block_load_methodE3ELS4_3ELS4_3ELNS0_20block_scan_algorithmE0ELj4294967295EEENS1_25partition_config_selectorILNS1_17partition_subalgoE3EjNS0_10empty_typeEbEEZZNS1_14partition_implILS8_3ELb0ES6_jNS0_17counting_iteratorIjlEEPS9_SE_NS0_5tupleIJPjSE_EEENSF_IJSE_SE_EEES9_SG_JZNS1_25segmented_radix_sort_implINS0_14default_configELb0EPK12hip_bfloat16PSL_PKlPlN2at6native12_GLOBAL__N_18offset_tEEE10hipError_tPvRmT1_PNSt15iterator_traitsISZ_E10value_typeET2_T3_PNS10_IS15_E10value_typeET4_jRbjT5_S1B_jjP12ihipStream_tbEUljE_EEESW_SX_SY_S15_S19_S1B_T6_T7_T9_mT8_S1D_bDpT10_ENKUlT_T0_E_clISt17integral_constantIbLb0EES1P_IbLb1EEEEDaS1L_S1M_EUlS1L_E_NS1_11comp_targetILNS1_3genE0ELNS1_11target_archE4294967295ELNS1_3gpuE0ELNS1_3repE0EEENS1_30default_config_static_selectorELNS0_4arch9wavefront6targetE0EEEvSZ_
	.p2align	8
	.type	_ZN7rocprim17ROCPRIM_400000_NS6detail17trampoline_kernelINS0_13select_configILj256ELj13ELNS0_17block_load_methodE3ELS4_3ELS4_3ELNS0_20block_scan_algorithmE0ELj4294967295EEENS1_25partition_config_selectorILNS1_17partition_subalgoE3EjNS0_10empty_typeEbEEZZNS1_14partition_implILS8_3ELb0ES6_jNS0_17counting_iteratorIjlEEPS9_SE_NS0_5tupleIJPjSE_EEENSF_IJSE_SE_EEES9_SG_JZNS1_25segmented_radix_sort_implINS0_14default_configELb0EPK12hip_bfloat16PSL_PKlPlN2at6native12_GLOBAL__N_18offset_tEEE10hipError_tPvRmT1_PNSt15iterator_traitsISZ_E10value_typeET2_T3_PNS10_IS15_E10value_typeET4_jRbjT5_S1B_jjP12ihipStream_tbEUljE_EEESW_SX_SY_S15_S19_S1B_T6_T7_T9_mT8_S1D_bDpT10_ENKUlT_T0_E_clISt17integral_constantIbLb0EES1P_IbLb1EEEEDaS1L_S1M_EUlS1L_E_NS1_11comp_targetILNS1_3genE0ELNS1_11target_archE4294967295ELNS1_3gpuE0ELNS1_3repE0EEENS1_30default_config_static_selectorELNS0_4arch9wavefront6targetE0EEEvSZ_,@function
_ZN7rocprim17ROCPRIM_400000_NS6detail17trampoline_kernelINS0_13select_configILj256ELj13ELNS0_17block_load_methodE3ELS4_3ELS4_3ELNS0_20block_scan_algorithmE0ELj4294967295EEENS1_25partition_config_selectorILNS1_17partition_subalgoE3EjNS0_10empty_typeEbEEZZNS1_14partition_implILS8_3ELb0ES6_jNS0_17counting_iteratorIjlEEPS9_SE_NS0_5tupleIJPjSE_EEENSF_IJSE_SE_EEES9_SG_JZNS1_25segmented_radix_sort_implINS0_14default_configELb0EPK12hip_bfloat16PSL_PKlPlN2at6native12_GLOBAL__N_18offset_tEEE10hipError_tPvRmT1_PNSt15iterator_traitsISZ_E10value_typeET2_T3_PNS10_IS15_E10value_typeET4_jRbjT5_S1B_jjP12ihipStream_tbEUljE_EEESW_SX_SY_S15_S19_S1B_T6_T7_T9_mT8_S1D_bDpT10_ENKUlT_T0_E_clISt17integral_constantIbLb0EES1P_IbLb1EEEEDaS1L_S1M_EUlS1L_E_NS1_11comp_targetILNS1_3genE0ELNS1_11target_archE4294967295ELNS1_3gpuE0ELNS1_3repE0EEENS1_30default_config_static_selectorELNS0_4arch9wavefront6targetE0EEEvSZ_: ; @_ZN7rocprim17ROCPRIM_400000_NS6detail17trampoline_kernelINS0_13select_configILj256ELj13ELNS0_17block_load_methodE3ELS4_3ELS4_3ELNS0_20block_scan_algorithmE0ELj4294967295EEENS1_25partition_config_selectorILNS1_17partition_subalgoE3EjNS0_10empty_typeEbEEZZNS1_14partition_implILS8_3ELb0ES6_jNS0_17counting_iteratorIjlEEPS9_SE_NS0_5tupleIJPjSE_EEENSF_IJSE_SE_EEES9_SG_JZNS1_25segmented_radix_sort_implINS0_14default_configELb0EPK12hip_bfloat16PSL_PKlPlN2at6native12_GLOBAL__N_18offset_tEEE10hipError_tPvRmT1_PNSt15iterator_traitsISZ_E10value_typeET2_T3_PNS10_IS15_E10value_typeET4_jRbjT5_S1B_jjP12ihipStream_tbEUljE_EEESW_SX_SY_S15_S19_S1B_T6_T7_T9_mT8_S1D_bDpT10_ENKUlT_T0_E_clISt17integral_constantIbLb0EES1P_IbLb1EEEEDaS1L_S1M_EUlS1L_E_NS1_11comp_targetILNS1_3genE0ELNS1_11target_archE4294967295ELNS1_3gpuE0ELNS1_3repE0EEENS1_30default_config_static_selectorELNS0_4arch9wavefront6targetE0EEEvSZ_
; %bb.0:
	.section	.rodata,"a",@progbits
	.p2align	6, 0x0
	.amdhsa_kernel _ZN7rocprim17ROCPRIM_400000_NS6detail17trampoline_kernelINS0_13select_configILj256ELj13ELNS0_17block_load_methodE3ELS4_3ELS4_3ELNS0_20block_scan_algorithmE0ELj4294967295EEENS1_25partition_config_selectorILNS1_17partition_subalgoE3EjNS0_10empty_typeEbEEZZNS1_14partition_implILS8_3ELb0ES6_jNS0_17counting_iteratorIjlEEPS9_SE_NS0_5tupleIJPjSE_EEENSF_IJSE_SE_EEES9_SG_JZNS1_25segmented_radix_sort_implINS0_14default_configELb0EPK12hip_bfloat16PSL_PKlPlN2at6native12_GLOBAL__N_18offset_tEEE10hipError_tPvRmT1_PNSt15iterator_traitsISZ_E10value_typeET2_T3_PNS10_IS15_E10value_typeET4_jRbjT5_S1B_jjP12ihipStream_tbEUljE_EEESW_SX_SY_S15_S19_S1B_T6_T7_T9_mT8_S1D_bDpT10_ENKUlT_T0_E_clISt17integral_constantIbLb0EES1P_IbLb1EEEEDaS1L_S1M_EUlS1L_E_NS1_11comp_targetILNS1_3genE0ELNS1_11target_archE4294967295ELNS1_3gpuE0ELNS1_3repE0EEENS1_30default_config_static_selectorELNS0_4arch9wavefront6targetE0EEEvSZ_
		.amdhsa_group_segment_fixed_size 0
		.amdhsa_private_segment_fixed_size 0
		.amdhsa_kernarg_size 152
		.amdhsa_user_sgpr_count 6
		.amdhsa_user_sgpr_private_segment_buffer 1
		.amdhsa_user_sgpr_dispatch_ptr 0
		.amdhsa_user_sgpr_queue_ptr 0
		.amdhsa_user_sgpr_kernarg_segment_ptr 1
		.amdhsa_user_sgpr_dispatch_id 0
		.amdhsa_user_sgpr_flat_scratch_init 0
		.amdhsa_user_sgpr_private_segment_size 0
		.amdhsa_wavefront_size32 1
		.amdhsa_uses_dynamic_stack 0
		.amdhsa_system_sgpr_private_segment_wavefront_offset 0
		.amdhsa_system_sgpr_workgroup_id_x 1
		.amdhsa_system_sgpr_workgroup_id_y 0
		.amdhsa_system_sgpr_workgroup_id_z 0
		.amdhsa_system_sgpr_workgroup_info 0
		.amdhsa_system_vgpr_workitem_id 0
		.amdhsa_next_free_vgpr 1
		.amdhsa_next_free_sgpr 1
		.amdhsa_reserve_vcc 0
		.amdhsa_reserve_flat_scratch 0
		.amdhsa_float_round_mode_32 0
		.amdhsa_float_round_mode_16_64 0
		.amdhsa_float_denorm_mode_32 3
		.amdhsa_float_denorm_mode_16_64 3
		.amdhsa_dx10_clamp 1
		.amdhsa_ieee_mode 1
		.amdhsa_fp16_overflow 0
		.amdhsa_workgroup_processor_mode 1
		.amdhsa_memory_ordered 1
		.amdhsa_forward_progress 1
		.amdhsa_shared_vgpr_count 0
		.amdhsa_exception_fp_ieee_invalid_op 0
		.amdhsa_exception_fp_denorm_src 0
		.amdhsa_exception_fp_ieee_div_zero 0
		.amdhsa_exception_fp_ieee_overflow 0
		.amdhsa_exception_fp_ieee_underflow 0
		.amdhsa_exception_fp_ieee_inexact 0
		.amdhsa_exception_int_div_zero 0
	.end_amdhsa_kernel
	.section	.text._ZN7rocprim17ROCPRIM_400000_NS6detail17trampoline_kernelINS0_13select_configILj256ELj13ELNS0_17block_load_methodE3ELS4_3ELS4_3ELNS0_20block_scan_algorithmE0ELj4294967295EEENS1_25partition_config_selectorILNS1_17partition_subalgoE3EjNS0_10empty_typeEbEEZZNS1_14partition_implILS8_3ELb0ES6_jNS0_17counting_iteratorIjlEEPS9_SE_NS0_5tupleIJPjSE_EEENSF_IJSE_SE_EEES9_SG_JZNS1_25segmented_radix_sort_implINS0_14default_configELb0EPK12hip_bfloat16PSL_PKlPlN2at6native12_GLOBAL__N_18offset_tEEE10hipError_tPvRmT1_PNSt15iterator_traitsISZ_E10value_typeET2_T3_PNS10_IS15_E10value_typeET4_jRbjT5_S1B_jjP12ihipStream_tbEUljE_EEESW_SX_SY_S15_S19_S1B_T6_T7_T9_mT8_S1D_bDpT10_ENKUlT_T0_E_clISt17integral_constantIbLb0EES1P_IbLb1EEEEDaS1L_S1M_EUlS1L_E_NS1_11comp_targetILNS1_3genE0ELNS1_11target_archE4294967295ELNS1_3gpuE0ELNS1_3repE0EEENS1_30default_config_static_selectorELNS0_4arch9wavefront6targetE0EEEvSZ_,"axG",@progbits,_ZN7rocprim17ROCPRIM_400000_NS6detail17trampoline_kernelINS0_13select_configILj256ELj13ELNS0_17block_load_methodE3ELS4_3ELS4_3ELNS0_20block_scan_algorithmE0ELj4294967295EEENS1_25partition_config_selectorILNS1_17partition_subalgoE3EjNS0_10empty_typeEbEEZZNS1_14partition_implILS8_3ELb0ES6_jNS0_17counting_iteratorIjlEEPS9_SE_NS0_5tupleIJPjSE_EEENSF_IJSE_SE_EEES9_SG_JZNS1_25segmented_radix_sort_implINS0_14default_configELb0EPK12hip_bfloat16PSL_PKlPlN2at6native12_GLOBAL__N_18offset_tEEE10hipError_tPvRmT1_PNSt15iterator_traitsISZ_E10value_typeET2_T3_PNS10_IS15_E10value_typeET4_jRbjT5_S1B_jjP12ihipStream_tbEUljE_EEESW_SX_SY_S15_S19_S1B_T6_T7_T9_mT8_S1D_bDpT10_ENKUlT_T0_E_clISt17integral_constantIbLb0EES1P_IbLb1EEEEDaS1L_S1M_EUlS1L_E_NS1_11comp_targetILNS1_3genE0ELNS1_11target_archE4294967295ELNS1_3gpuE0ELNS1_3repE0EEENS1_30default_config_static_selectorELNS0_4arch9wavefront6targetE0EEEvSZ_,comdat
.Lfunc_end2031:
	.size	_ZN7rocprim17ROCPRIM_400000_NS6detail17trampoline_kernelINS0_13select_configILj256ELj13ELNS0_17block_load_methodE3ELS4_3ELS4_3ELNS0_20block_scan_algorithmE0ELj4294967295EEENS1_25partition_config_selectorILNS1_17partition_subalgoE3EjNS0_10empty_typeEbEEZZNS1_14partition_implILS8_3ELb0ES6_jNS0_17counting_iteratorIjlEEPS9_SE_NS0_5tupleIJPjSE_EEENSF_IJSE_SE_EEES9_SG_JZNS1_25segmented_radix_sort_implINS0_14default_configELb0EPK12hip_bfloat16PSL_PKlPlN2at6native12_GLOBAL__N_18offset_tEEE10hipError_tPvRmT1_PNSt15iterator_traitsISZ_E10value_typeET2_T3_PNS10_IS15_E10value_typeET4_jRbjT5_S1B_jjP12ihipStream_tbEUljE_EEESW_SX_SY_S15_S19_S1B_T6_T7_T9_mT8_S1D_bDpT10_ENKUlT_T0_E_clISt17integral_constantIbLb0EES1P_IbLb1EEEEDaS1L_S1M_EUlS1L_E_NS1_11comp_targetILNS1_3genE0ELNS1_11target_archE4294967295ELNS1_3gpuE0ELNS1_3repE0EEENS1_30default_config_static_selectorELNS0_4arch9wavefront6targetE0EEEvSZ_, .Lfunc_end2031-_ZN7rocprim17ROCPRIM_400000_NS6detail17trampoline_kernelINS0_13select_configILj256ELj13ELNS0_17block_load_methodE3ELS4_3ELS4_3ELNS0_20block_scan_algorithmE0ELj4294967295EEENS1_25partition_config_selectorILNS1_17partition_subalgoE3EjNS0_10empty_typeEbEEZZNS1_14partition_implILS8_3ELb0ES6_jNS0_17counting_iteratorIjlEEPS9_SE_NS0_5tupleIJPjSE_EEENSF_IJSE_SE_EEES9_SG_JZNS1_25segmented_radix_sort_implINS0_14default_configELb0EPK12hip_bfloat16PSL_PKlPlN2at6native12_GLOBAL__N_18offset_tEEE10hipError_tPvRmT1_PNSt15iterator_traitsISZ_E10value_typeET2_T3_PNS10_IS15_E10value_typeET4_jRbjT5_S1B_jjP12ihipStream_tbEUljE_EEESW_SX_SY_S15_S19_S1B_T6_T7_T9_mT8_S1D_bDpT10_ENKUlT_T0_E_clISt17integral_constantIbLb0EES1P_IbLb1EEEEDaS1L_S1M_EUlS1L_E_NS1_11comp_targetILNS1_3genE0ELNS1_11target_archE4294967295ELNS1_3gpuE0ELNS1_3repE0EEENS1_30default_config_static_selectorELNS0_4arch9wavefront6targetE0EEEvSZ_
                                        ; -- End function
	.set _ZN7rocprim17ROCPRIM_400000_NS6detail17trampoline_kernelINS0_13select_configILj256ELj13ELNS0_17block_load_methodE3ELS4_3ELS4_3ELNS0_20block_scan_algorithmE0ELj4294967295EEENS1_25partition_config_selectorILNS1_17partition_subalgoE3EjNS0_10empty_typeEbEEZZNS1_14partition_implILS8_3ELb0ES6_jNS0_17counting_iteratorIjlEEPS9_SE_NS0_5tupleIJPjSE_EEENSF_IJSE_SE_EEES9_SG_JZNS1_25segmented_radix_sort_implINS0_14default_configELb0EPK12hip_bfloat16PSL_PKlPlN2at6native12_GLOBAL__N_18offset_tEEE10hipError_tPvRmT1_PNSt15iterator_traitsISZ_E10value_typeET2_T3_PNS10_IS15_E10value_typeET4_jRbjT5_S1B_jjP12ihipStream_tbEUljE_EEESW_SX_SY_S15_S19_S1B_T6_T7_T9_mT8_S1D_bDpT10_ENKUlT_T0_E_clISt17integral_constantIbLb0EES1P_IbLb1EEEEDaS1L_S1M_EUlS1L_E_NS1_11comp_targetILNS1_3genE0ELNS1_11target_archE4294967295ELNS1_3gpuE0ELNS1_3repE0EEENS1_30default_config_static_selectorELNS0_4arch9wavefront6targetE0EEEvSZ_.num_vgpr, 0
	.set _ZN7rocprim17ROCPRIM_400000_NS6detail17trampoline_kernelINS0_13select_configILj256ELj13ELNS0_17block_load_methodE3ELS4_3ELS4_3ELNS0_20block_scan_algorithmE0ELj4294967295EEENS1_25partition_config_selectorILNS1_17partition_subalgoE3EjNS0_10empty_typeEbEEZZNS1_14partition_implILS8_3ELb0ES6_jNS0_17counting_iteratorIjlEEPS9_SE_NS0_5tupleIJPjSE_EEENSF_IJSE_SE_EEES9_SG_JZNS1_25segmented_radix_sort_implINS0_14default_configELb0EPK12hip_bfloat16PSL_PKlPlN2at6native12_GLOBAL__N_18offset_tEEE10hipError_tPvRmT1_PNSt15iterator_traitsISZ_E10value_typeET2_T3_PNS10_IS15_E10value_typeET4_jRbjT5_S1B_jjP12ihipStream_tbEUljE_EEESW_SX_SY_S15_S19_S1B_T6_T7_T9_mT8_S1D_bDpT10_ENKUlT_T0_E_clISt17integral_constantIbLb0EES1P_IbLb1EEEEDaS1L_S1M_EUlS1L_E_NS1_11comp_targetILNS1_3genE0ELNS1_11target_archE4294967295ELNS1_3gpuE0ELNS1_3repE0EEENS1_30default_config_static_selectorELNS0_4arch9wavefront6targetE0EEEvSZ_.num_agpr, 0
	.set _ZN7rocprim17ROCPRIM_400000_NS6detail17trampoline_kernelINS0_13select_configILj256ELj13ELNS0_17block_load_methodE3ELS4_3ELS4_3ELNS0_20block_scan_algorithmE0ELj4294967295EEENS1_25partition_config_selectorILNS1_17partition_subalgoE3EjNS0_10empty_typeEbEEZZNS1_14partition_implILS8_3ELb0ES6_jNS0_17counting_iteratorIjlEEPS9_SE_NS0_5tupleIJPjSE_EEENSF_IJSE_SE_EEES9_SG_JZNS1_25segmented_radix_sort_implINS0_14default_configELb0EPK12hip_bfloat16PSL_PKlPlN2at6native12_GLOBAL__N_18offset_tEEE10hipError_tPvRmT1_PNSt15iterator_traitsISZ_E10value_typeET2_T3_PNS10_IS15_E10value_typeET4_jRbjT5_S1B_jjP12ihipStream_tbEUljE_EEESW_SX_SY_S15_S19_S1B_T6_T7_T9_mT8_S1D_bDpT10_ENKUlT_T0_E_clISt17integral_constantIbLb0EES1P_IbLb1EEEEDaS1L_S1M_EUlS1L_E_NS1_11comp_targetILNS1_3genE0ELNS1_11target_archE4294967295ELNS1_3gpuE0ELNS1_3repE0EEENS1_30default_config_static_selectorELNS0_4arch9wavefront6targetE0EEEvSZ_.numbered_sgpr, 0
	.set _ZN7rocprim17ROCPRIM_400000_NS6detail17trampoline_kernelINS0_13select_configILj256ELj13ELNS0_17block_load_methodE3ELS4_3ELS4_3ELNS0_20block_scan_algorithmE0ELj4294967295EEENS1_25partition_config_selectorILNS1_17partition_subalgoE3EjNS0_10empty_typeEbEEZZNS1_14partition_implILS8_3ELb0ES6_jNS0_17counting_iteratorIjlEEPS9_SE_NS0_5tupleIJPjSE_EEENSF_IJSE_SE_EEES9_SG_JZNS1_25segmented_radix_sort_implINS0_14default_configELb0EPK12hip_bfloat16PSL_PKlPlN2at6native12_GLOBAL__N_18offset_tEEE10hipError_tPvRmT1_PNSt15iterator_traitsISZ_E10value_typeET2_T3_PNS10_IS15_E10value_typeET4_jRbjT5_S1B_jjP12ihipStream_tbEUljE_EEESW_SX_SY_S15_S19_S1B_T6_T7_T9_mT8_S1D_bDpT10_ENKUlT_T0_E_clISt17integral_constantIbLb0EES1P_IbLb1EEEEDaS1L_S1M_EUlS1L_E_NS1_11comp_targetILNS1_3genE0ELNS1_11target_archE4294967295ELNS1_3gpuE0ELNS1_3repE0EEENS1_30default_config_static_selectorELNS0_4arch9wavefront6targetE0EEEvSZ_.num_named_barrier, 0
	.set _ZN7rocprim17ROCPRIM_400000_NS6detail17trampoline_kernelINS0_13select_configILj256ELj13ELNS0_17block_load_methodE3ELS4_3ELS4_3ELNS0_20block_scan_algorithmE0ELj4294967295EEENS1_25partition_config_selectorILNS1_17partition_subalgoE3EjNS0_10empty_typeEbEEZZNS1_14partition_implILS8_3ELb0ES6_jNS0_17counting_iteratorIjlEEPS9_SE_NS0_5tupleIJPjSE_EEENSF_IJSE_SE_EEES9_SG_JZNS1_25segmented_radix_sort_implINS0_14default_configELb0EPK12hip_bfloat16PSL_PKlPlN2at6native12_GLOBAL__N_18offset_tEEE10hipError_tPvRmT1_PNSt15iterator_traitsISZ_E10value_typeET2_T3_PNS10_IS15_E10value_typeET4_jRbjT5_S1B_jjP12ihipStream_tbEUljE_EEESW_SX_SY_S15_S19_S1B_T6_T7_T9_mT8_S1D_bDpT10_ENKUlT_T0_E_clISt17integral_constantIbLb0EES1P_IbLb1EEEEDaS1L_S1M_EUlS1L_E_NS1_11comp_targetILNS1_3genE0ELNS1_11target_archE4294967295ELNS1_3gpuE0ELNS1_3repE0EEENS1_30default_config_static_selectorELNS0_4arch9wavefront6targetE0EEEvSZ_.private_seg_size, 0
	.set _ZN7rocprim17ROCPRIM_400000_NS6detail17trampoline_kernelINS0_13select_configILj256ELj13ELNS0_17block_load_methodE3ELS4_3ELS4_3ELNS0_20block_scan_algorithmE0ELj4294967295EEENS1_25partition_config_selectorILNS1_17partition_subalgoE3EjNS0_10empty_typeEbEEZZNS1_14partition_implILS8_3ELb0ES6_jNS0_17counting_iteratorIjlEEPS9_SE_NS0_5tupleIJPjSE_EEENSF_IJSE_SE_EEES9_SG_JZNS1_25segmented_radix_sort_implINS0_14default_configELb0EPK12hip_bfloat16PSL_PKlPlN2at6native12_GLOBAL__N_18offset_tEEE10hipError_tPvRmT1_PNSt15iterator_traitsISZ_E10value_typeET2_T3_PNS10_IS15_E10value_typeET4_jRbjT5_S1B_jjP12ihipStream_tbEUljE_EEESW_SX_SY_S15_S19_S1B_T6_T7_T9_mT8_S1D_bDpT10_ENKUlT_T0_E_clISt17integral_constantIbLb0EES1P_IbLb1EEEEDaS1L_S1M_EUlS1L_E_NS1_11comp_targetILNS1_3genE0ELNS1_11target_archE4294967295ELNS1_3gpuE0ELNS1_3repE0EEENS1_30default_config_static_selectorELNS0_4arch9wavefront6targetE0EEEvSZ_.uses_vcc, 0
	.set _ZN7rocprim17ROCPRIM_400000_NS6detail17trampoline_kernelINS0_13select_configILj256ELj13ELNS0_17block_load_methodE3ELS4_3ELS4_3ELNS0_20block_scan_algorithmE0ELj4294967295EEENS1_25partition_config_selectorILNS1_17partition_subalgoE3EjNS0_10empty_typeEbEEZZNS1_14partition_implILS8_3ELb0ES6_jNS0_17counting_iteratorIjlEEPS9_SE_NS0_5tupleIJPjSE_EEENSF_IJSE_SE_EEES9_SG_JZNS1_25segmented_radix_sort_implINS0_14default_configELb0EPK12hip_bfloat16PSL_PKlPlN2at6native12_GLOBAL__N_18offset_tEEE10hipError_tPvRmT1_PNSt15iterator_traitsISZ_E10value_typeET2_T3_PNS10_IS15_E10value_typeET4_jRbjT5_S1B_jjP12ihipStream_tbEUljE_EEESW_SX_SY_S15_S19_S1B_T6_T7_T9_mT8_S1D_bDpT10_ENKUlT_T0_E_clISt17integral_constantIbLb0EES1P_IbLb1EEEEDaS1L_S1M_EUlS1L_E_NS1_11comp_targetILNS1_3genE0ELNS1_11target_archE4294967295ELNS1_3gpuE0ELNS1_3repE0EEENS1_30default_config_static_selectorELNS0_4arch9wavefront6targetE0EEEvSZ_.uses_flat_scratch, 0
	.set _ZN7rocprim17ROCPRIM_400000_NS6detail17trampoline_kernelINS0_13select_configILj256ELj13ELNS0_17block_load_methodE3ELS4_3ELS4_3ELNS0_20block_scan_algorithmE0ELj4294967295EEENS1_25partition_config_selectorILNS1_17partition_subalgoE3EjNS0_10empty_typeEbEEZZNS1_14partition_implILS8_3ELb0ES6_jNS0_17counting_iteratorIjlEEPS9_SE_NS0_5tupleIJPjSE_EEENSF_IJSE_SE_EEES9_SG_JZNS1_25segmented_radix_sort_implINS0_14default_configELb0EPK12hip_bfloat16PSL_PKlPlN2at6native12_GLOBAL__N_18offset_tEEE10hipError_tPvRmT1_PNSt15iterator_traitsISZ_E10value_typeET2_T3_PNS10_IS15_E10value_typeET4_jRbjT5_S1B_jjP12ihipStream_tbEUljE_EEESW_SX_SY_S15_S19_S1B_T6_T7_T9_mT8_S1D_bDpT10_ENKUlT_T0_E_clISt17integral_constantIbLb0EES1P_IbLb1EEEEDaS1L_S1M_EUlS1L_E_NS1_11comp_targetILNS1_3genE0ELNS1_11target_archE4294967295ELNS1_3gpuE0ELNS1_3repE0EEENS1_30default_config_static_selectorELNS0_4arch9wavefront6targetE0EEEvSZ_.has_dyn_sized_stack, 0
	.set _ZN7rocprim17ROCPRIM_400000_NS6detail17trampoline_kernelINS0_13select_configILj256ELj13ELNS0_17block_load_methodE3ELS4_3ELS4_3ELNS0_20block_scan_algorithmE0ELj4294967295EEENS1_25partition_config_selectorILNS1_17partition_subalgoE3EjNS0_10empty_typeEbEEZZNS1_14partition_implILS8_3ELb0ES6_jNS0_17counting_iteratorIjlEEPS9_SE_NS0_5tupleIJPjSE_EEENSF_IJSE_SE_EEES9_SG_JZNS1_25segmented_radix_sort_implINS0_14default_configELb0EPK12hip_bfloat16PSL_PKlPlN2at6native12_GLOBAL__N_18offset_tEEE10hipError_tPvRmT1_PNSt15iterator_traitsISZ_E10value_typeET2_T3_PNS10_IS15_E10value_typeET4_jRbjT5_S1B_jjP12ihipStream_tbEUljE_EEESW_SX_SY_S15_S19_S1B_T6_T7_T9_mT8_S1D_bDpT10_ENKUlT_T0_E_clISt17integral_constantIbLb0EES1P_IbLb1EEEEDaS1L_S1M_EUlS1L_E_NS1_11comp_targetILNS1_3genE0ELNS1_11target_archE4294967295ELNS1_3gpuE0ELNS1_3repE0EEENS1_30default_config_static_selectorELNS0_4arch9wavefront6targetE0EEEvSZ_.has_recursion, 0
	.set _ZN7rocprim17ROCPRIM_400000_NS6detail17trampoline_kernelINS0_13select_configILj256ELj13ELNS0_17block_load_methodE3ELS4_3ELS4_3ELNS0_20block_scan_algorithmE0ELj4294967295EEENS1_25partition_config_selectorILNS1_17partition_subalgoE3EjNS0_10empty_typeEbEEZZNS1_14partition_implILS8_3ELb0ES6_jNS0_17counting_iteratorIjlEEPS9_SE_NS0_5tupleIJPjSE_EEENSF_IJSE_SE_EEES9_SG_JZNS1_25segmented_radix_sort_implINS0_14default_configELb0EPK12hip_bfloat16PSL_PKlPlN2at6native12_GLOBAL__N_18offset_tEEE10hipError_tPvRmT1_PNSt15iterator_traitsISZ_E10value_typeET2_T3_PNS10_IS15_E10value_typeET4_jRbjT5_S1B_jjP12ihipStream_tbEUljE_EEESW_SX_SY_S15_S19_S1B_T6_T7_T9_mT8_S1D_bDpT10_ENKUlT_T0_E_clISt17integral_constantIbLb0EES1P_IbLb1EEEEDaS1L_S1M_EUlS1L_E_NS1_11comp_targetILNS1_3genE0ELNS1_11target_archE4294967295ELNS1_3gpuE0ELNS1_3repE0EEENS1_30default_config_static_selectorELNS0_4arch9wavefront6targetE0EEEvSZ_.has_indirect_call, 0
	.section	.AMDGPU.csdata,"",@progbits
; Kernel info:
; codeLenInByte = 0
; TotalNumSgprs: 0
; NumVgprs: 0
; ScratchSize: 0
; MemoryBound: 0
; FloatMode: 240
; IeeeMode: 1
; LDSByteSize: 0 bytes/workgroup (compile time only)
; SGPRBlocks: 0
; VGPRBlocks: 0
; NumSGPRsForWavesPerEU: 1
; NumVGPRsForWavesPerEU: 1
; Occupancy: 16
; WaveLimiterHint : 0
; COMPUTE_PGM_RSRC2:SCRATCH_EN: 0
; COMPUTE_PGM_RSRC2:USER_SGPR: 6
; COMPUTE_PGM_RSRC2:TRAP_HANDLER: 0
; COMPUTE_PGM_RSRC2:TGID_X_EN: 1
; COMPUTE_PGM_RSRC2:TGID_Y_EN: 0
; COMPUTE_PGM_RSRC2:TGID_Z_EN: 0
; COMPUTE_PGM_RSRC2:TIDIG_COMP_CNT: 0
	.section	.text._ZN7rocprim17ROCPRIM_400000_NS6detail17trampoline_kernelINS0_13select_configILj256ELj13ELNS0_17block_load_methodE3ELS4_3ELS4_3ELNS0_20block_scan_algorithmE0ELj4294967295EEENS1_25partition_config_selectorILNS1_17partition_subalgoE3EjNS0_10empty_typeEbEEZZNS1_14partition_implILS8_3ELb0ES6_jNS0_17counting_iteratorIjlEEPS9_SE_NS0_5tupleIJPjSE_EEENSF_IJSE_SE_EEES9_SG_JZNS1_25segmented_radix_sort_implINS0_14default_configELb0EPK12hip_bfloat16PSL_PKlPlN2at6native12_GLOBAL__N_18offset_tEEE10hipError_tPvRmT1_PNSt15iterator_traitsISZ_E10value_typeET2_T3_PNS10_IS15_E10value_typeET4_jRbjT5_S1B_jjP12ihipStream_tbEUljE_EEESW_SX_SY_S15_S19_S1B_T6_T7_T9_mT8_S1D_bDpT10_ENKUlT_T0_E_clISt17integral_constantIbLb0EES1P_IbLb1EEEEDaS1L_S1M_EUlS1L_E_NS1_11comp_targetILNS1_3genE5ELNS1_11target_archE942ELNS1_3gpuE9ELNS1_3repE0EEENS1_30default_config_static_selectorELNS0_4arch9wavefront6targetE0EEEvSZ_,"axG",@progbits,_ZN7rocprim17ROCPRIM_400000_NS6detail17trampoline_kernelINS0_13select_configILj256ELj13ELNS0_17block_load_methodE3ELS4_3ELS4_3ELNS0_20block_scan_algorithmE0ELj4294967295EEENS1_25partition_config_selectorILNS1_17partition_subalgoE3EjNS0_10empty_typeEbEEZZNS1_14partition_implILS8_3ELb0ES6_jNS0_17counting_iteratorIjlEEPS9_SE_NS0_5tupleIJPjSE_EEENSF_IJSE_SE_EEES9_SG_JZNS1_25segmented_radix_sort_implINS0_14default_configELb0EPK12hip_bfloat16PSL_PKlPlN2at6native12_GLOBAL__N_18offset_tEEE10hipError_tPvRmT1_PNSt15iterator_traitsISZ_E10value_typeET2_T3_PNS10_IS15_E10value_typeET4_jRbjT5_S1B_jjP12ihipStream_tbEUljE_EEESW_SX_SY_S15_S19_S1B_T6_T7_T9_mT8_S1D_bDpT10_ENKUlT_T0_E_clISt17integral_constantIbLb0EES1P_IbLb1EEEEDaS1L_S1M_EUlS1L_E_NS1_11comp_targetILNS1_3genE5ELNS1_11target_archE942ELNS1_3gpuE9ELNS1_3repE0EEENS1_30default_config_static_selectorELNS0_4arch9wavefront6targetE0EEEvSZ_,comdat
	.globl	_ZN7rocprim17ROCPRIM_400000_NS6detail17trampoline_kernelINS0_13select_configILj256ELj13ELNS0_17block_load_methodE3ELS4_3ELS4_3ELNS0_20block_scan_algorithmE0ELj4294967295EEENS1_25partition_config_selectorILNS1_17partition_subalgoE3EjNS0_10empty_typeEbEEZZNS1_14partition_implILS8_3ELb0ES6_jNS0_17counting_iteratorIjlEEPS9_SE_NS0_5tupleIJPjSE_EEENSF_IJSE_SE_EEES9_SG_JZNS1_25segmented_radix_sort_implINS0_14default_configELb0EPK12hip_bfloat16PSL_PKlPlN2at6native12_GLOBAL__N_18offset_tEEE10hipError_tPvRmT1_PNSt15iterator_traitsISZ_E10value_typeET2_T3_PNS10_IS15_E10value_typeET4_jRbjT5_S1B_jjP12ihipStream_tbEUljE_EEESW_SX_SY_S15_S19_S1B_T6_T7_T9_mT8_S1D_bDpT10_ENKUlT_T0_E_clISt17integral_constantIbLb0EES1P_IbLb1EEEEDaS1L_S1M_EUlS1L_E_NS1_11comp_targetILNS1_3genE5ELNS1_11target_archE942ELNS1_3gpuE9ELNS1_3repE0EEENS1_30default_config_static_selectorELNS0_4arch9wavefront6targetE0EEEvSZ_ ; -- Begin function _ZN7rocprim17ROCPRIM_400000_NS6detail17trampoline_kernelINS0_13select_configILj256ELj13ELNS0_17block_load_methodE3ELS4_3ELS4_3ELNS0_20block_scan_algorithmE0ELj4294967295EEENS1_25partition_config_selectorILNS1_17partition_subalgoE3EjNS0_10empty_typeEbEEZZNS1_14partition_implILS8_3ELb0ES6_jNS0_17counting_iteratorIjlEEPS9_SE_NS0_5tupleIJPjSE_EEENSF_IJSE_SE_EEES9_SG_JZNS1_25segmented_radix_sort_implINS0_14default_configELb0EPK12hip_bfloat16PSL_PKlPlN2at6native12_GLOBAL__N_18offset_tEEE10hipError_tPvRmT1_PNSt15iterator_traitsISZ_E10value_typeET2_T3_PNS10_IS15_E10value_typeET4_jRbjT5_S1B_jjP12ihipStream_tbEUljE_EEESW_SX_SY_S15_S19_S1B_T6_T7_T9_mT8_S1D_bDpT10_ENKUlT_T0_E_clISt17integral_constantIbLb0EES1P_IbLb1EEEEDaS1L_S1M_EUlS1L_E_NS1_11comp_targetILNS1_3genE5ELNS1_11target_archE942ELNS1_3gpuE9ELNS1_3repE0EEENS1_30default_config_static_selectorELNS0_4arch9wavefront6targetE0EEEvSZ_
	.p2align	8
	.type	_ZN7rocprim17ROCPRIM_400000_NS6detail17trampoline_kernelINS0_13select_configILj256ELj13ELNS0_17block_load_methodE3ELS4_3ELS4_3ELNS0_20block_scan_algorithmE0ELj4294967295EEENS1_25partition_config_selectorILNS1_17partition_subalgoE3EjNS0_10empty_typeEbEEZZNS1_14partition_implILS8_3ELb0ES6_jNS0_17counting_iteratorIjlEEPS9_SE_NS0_5tupleIJPjSE_EEENSF_IJSE_SE_EEES9_SG_JZNS1_25segmented_radix_sort_implINS0_14default_configELb0EPK12hip_bfloat16PSL_PKlPlN2at6native12_GLOBAL__N_18offset_tEEE10hipError_tPvRmT1_PNSt15iterator_traitsISZ_E10value_typeET2_T3_PNS10_IS15_E10value_typeET4_jRbjT5_S1B_jjP12ihipStream_tbEUljE_EEESW_SX_SY_S15_S19_S1B_T6_T7_T9_mT8_S1D_bDpT10_ENKUlT_T0_E_clISt17integral_constantIbLb0EES1P_IbLb1EEEEDaS1L_S1M_EUlS1L_E_NS1_11comp_targetILNS1_3genE5ELNS1_11target_archE942ELNS1_3gpuE9ELNS1_3repE0EEENS1_30default_config_static_selectorELNS0_4arch9wavefront6targetE0EEEvSZ_,@function
_ZN7rocprim17ROCPRIM_400000_NS6detail17trampoline_kernelINS0_13select_configILj256ELj13ELNS0_17block_load_methodE3ELS4_3ELS4_3ELNS0_20block_scan_algorithmE0ELj4294967295EEENS1_25partition_config_selectorILNS1_17partition_subalgoE3EjNS0_10empty_typeEbEEZZNS1_14partition_implILS8_3ELb0ES6_jNS0_17counting_iteratorIjlEEPS9_SE_NS0_5tupleIJPjSE_EEENSF_IJSE_SE_EEES9_SG_JZNS1_25segmented_radix_sort_implINS0_14default_configELb0EPK12hip_bfloat16PSL_PKlPlN2at6native12_GLOBAL__N_18offset_tEEE10hipError_tPvRmT1_PNSt15iterator_traitsISZ_E10value_typeET2_T3_PNS10_IS15_E10value_typeET4_jRbjT5_S1B_jjP12ihipStream_tbEUljE_EEESW_SX_SY_S15_S19_S1B_T6_T7_T9_mT8_S1D_bDpT10_ENKUlT_T0_E_clISt17integral_constantIbLb0EES1P_IbLb1EEEEDaS1L_S1M_EUlS1L_E_NS1_11comp_targetILNS1_3genE5ELNS1_11target_archE942ELNS1_3gpuE9ELNS1_3repE0EEENS1_30default_config_static_selectorELNS0_4arch9wavefront6targetE0EEEvSZ_: ; @_ZN7rocprim17ROCPRIM_400000_NS6detail17trampoline_kernelINS0_13select_configILj256ELj13ELNS0_17block_load_methodE3ELS4_3ELS4_3ELNS0_20block_scan_algorithmE0ELj4294967295EEENS1_25partition_config_selectorILNS1_17partition_subalgoE3EjNS0_10empty_typeEbEEZZNS1_14partition_implILS8_3ELb0ES6_jNS0_17counting_iteratorIjlEEPS9_SE_NS0_5tupleIJPjSE_EEENSF_IJSE_SE_EEES9_SG_JZNS1_25segmented_radix_sort_implINS0_14default_configELb0EPK12hip_bfloat16PSL_PKlPlN2at6native12_GLOBAL__N_18offset_tEEE10hipError_tPvRmT1_PNSt15iterator_traitsISZ_E10value_typeET2_T3_PNS10_IS15_E10value_typeET4_jRbjT5_S1B_jjP12ihipStream_tbEUljE_EEESW_SX_SY_S15_S19_S1B_T6_T7_T9_mT8_S1D_bDpT10_ENKUlT_T0_E_clISt17integral_constantIbLb0EES1P_IbLb1EEEEDaS1L_S1M_EUlS1L_E_NS1_11comp_targetILNS1_3genE5ELNS1_11target_archE942ELNS1_3gpuE9ELNS1_3repE0EEENS1_30default_config_static_selectorELNS0_4arch9wavefront6targetE0EEEvSZ_
; %bb.0:
	.section	.rodata,"a",@progbits
	.p2align	6, 0x0
	.amdhsa_kernel _ZN7rocprim17ROCPRIM_400000_NS6detail17trampoline_kernelINS0_13select_configILj256ELj13ELNS0_17block_load_methodE3ELS4_3ELS4_3ELNS0_20block_scan_algorithmE0ELj4294967295EEENS1_25partition_config_selectorILNS1_17partition_subalgoE3EjNS0_10empty_typeEbEEZZNS1_14partition_implILS8_3ELb0ES6_jNS0_17counting_iteratorIjlEEPS9_SE_NS0_5tupleIJPjSE_EEENSF_IJSE_SE_EEES9_SG_JZNS1_25segmented_radix_sort_implINS0_14default_configELb0EPK12hip_bfloat16PSL_PKlPlN2at6native12_GLOBAL__N_18offset_tEEE10hipError_tPvRmT1_PNSt15iterator_traitsISZ_E10value_typeET2_T3_PNS10_IS15_E10value_typeET4_jRbjT5_S1B_jjP12ihipStream_tbEUljE_EEESW_SX_SY_S15_S19_S1B_T6_T7_T9_mT8_S1D_bDpT10_ENKUlT_T0_E_clISt17integral_constantIbLb0EES1P_IbLb1EEEEDaS1L_S1M_EUlS1L_E_NS1_11comp_targetILNS1_3genE5ELNS1_11target_archE942ELNS1_3gpuE9ELNS1_3repE0EEENS1_30default_config_static_selectorELNS0_4arch9wavefront6targetE0EEEvSZ_
		.amdhsa_group_segment_fixed_size 0
		.amdhsa_private_segment_fixed_size 0
		.amdhsa_kernarg_size 152
		.amdhsa_user_sgpr_count 6
		.amdhsa_user_sgpr_private_segment_buffer 1
		.amdhsa_user_sgpr_dispatch_ptr 0
		.amdhsa_user_sgpr_queue_ptr 0
		.amdhsa_user_sgpr_kernarg_segment_ptr 1
		.amdhsa_user_sgpr_dispatch_id 0
		.amdhsa_user_sgpr_flat_scratch_init 0
		.amdhsa_user_sgpr_private_segment_size 0
		.amdhsa_wavefront_size32 1
		.amdhsa_uses_dynamic_stack 0
		.amdhsa_system_sgpr_private_segment_wavefront_offset 0
		.amdhsa_system_sgpr_workgroup_id_x 1
		.amdhsa_system_sgpr_workgroup_id_y 0
		.amdhsa_system_sgpr_workgroup_id_z 0
		.amdhsa_system_sgpr_workgroup_info 0
		.amdhsa_system_vgpr_workitem_id 0
		.amdhsa_next_free_vgpr 1
		.amdhsa_next_free_sgpr 1
		.amdhsa_reserve_vcc 0
		.amdhsa_reserve_flat_scratch 0
		.amdhsa_float_round_mode_32 0
		.amdhsa_float_round_mode_16_64 0
		.amdhsa_float_denorm_mode_32 3
		.amdhsa_float_denorm_mode_16_64 3
		.amdhsa_dx10_clamp 1
		.amdhsa_ieee_mode 1
		.amdhsa_fp16_overflow 0
		.amdhsa_workgroup_processor_mode 1
		.amdhsa_memory_ordered 1
		.amdhsa_forward_progress 1
		.amdhsa_shared_vgpr_count 0
		.amdhsa_exception_fp_ieee_invalid_op 0
		.amdhsa_exception_fp_denorm_src 0
		.amdhsa_exception_fp_ieee_div_zero 0
		.amdhsa_exception_fp_ieee_overflow 0
		.amdhsa_exception_fp_ieee_underflow 0
		.amdhsa_exception_fp_ieee_inexact 0
		.amdhsa_exception_int_div_zero 0
	.end_amdhsa_kernel
	.section	.text._ZN7rocprim17ROCPRIM_400000_NS6detail17trampoline_kernelINS0_13select_configILj256ELj13ELNS0_17block_load_methodE3ELS4_3ELS4_3ELNS0_20block_scan_algorithmE0ELj4294967295EEENS1_25partition_config_selectorILNS1_17partition_subalgoE3EjNS0_10empty_typeEbEEZZNS1_14partition_implILS8_3ELb0ES6_jNS0_17counting_iteratorIjlEEPS9_SE_NS0_5tupleIJPjSE_EEENSF_IJSE_SE_EEES9_SG_JZNS1_25segmented_radix_sort_implINS0_14default_configELb0EPK12hip_bfloat16PSL_PKlPlN2at6native12_GLOBAL__N_18offset_tEEE10hipError_tPvRmT1_PNSt15iterator_traitsISZ_E10value_typeET2_T3_PNS10_IS15_E10value_typeET4_jRbjT5_S1B_jjP12ihipStream_tbEUljE_EEESW_SX_SY_S15_S19_S1B_T6_T7_T9_mT8_S1D_bDpT10_ENKUlT_T0_E_clISt17integral_constantIbLb0EES1P_IbLb1EEEEDaS1L_S1M_EUlS1L_E_NS1_11comp_targetILNS1_3genE5ELNS1_11target_archE942ELNS1_3gpuE9ELNS1_3repE0EEENS1_30default_config_static_selectorELNS0_4arch9wavefront6targetE0EEEvSZ_,"axG",@progbits,_ZN7rocprim17ROCPRIM_400000_NS6detail17trampoline_kernelINS0_13select_configILj256ELj13ELNS0_17block_load_methodE3ELS4_3ELS4_3ELNS0_20block_scan_algorithmE0ELj4294967295EEENS1_25partition_config_selectorILNS1_17partition_subalgoE3EjNS0_10empty_typeEbEEZZNS1_14partition_implILS8_3ELb0ES6_jNS0_17counting_iteratorIjlEEPS9_SE_NS0_5tupleIJPjSE_EEENSF_IJSE_SE_EEES9_SG_JZNS1_25segmented_radix_sort_implINS0_14default_configELb0EPK12hip_bfloat16PSL_PKlPlN2at6native12_GLOBAL__N_18offset_tEEE10hipError_tPvRmT1_PNSt15iterator_traitsISZ_E10value_typeET2_T3_PNS10_IS15_E10value_typeET4_jRbjT5_S1B_jjP12ihipStream_tbEUljE_EEESW_SX_SY_S15_S19_S1B_T6_T7_T9_mT8_S1D_bDpT10_ENKUlT_T0_E_clISt17integral_constantIbLb0EES1P_IbLb1EEEEDaS1L_S1M_EUlS1L_E_NS1_11comp_targetILNS1_3genE5ELNS1_11target_archE942ELNS1_3gpuE9ELNS1_3repE0EEENS1_30default_config_static_selectorELNS0_4arch9wavefront6targetE0EEEvSZ_,comdat
.Lfunc_end2032:
	.size	_ZN7rocprim17ROCPRIM_400000_NS6detail17trampoline_kernelINS0_13select_configILj256ELj13ELNS0_17block_load_methodE3ELS4_3ELS4_3ELNS0_20block_scan_algorithmE0ELj4294967295EEENS1_25partition_config_selectorILNS1_17partition_subalgoE3EjNS0_10empty_typeEbEEZZNS1_14partition_implILS8_3ELb0ES6_jNS0_17counting_iteratorIjlEEPS9_SE_NS0_5tupleIJPjSE_EEENSF_IJSE_SE_EEES9_SG_JZNS1_25segmented_radix_sort_implINS0_14default_configELb0EPK12hip_bfloat16PSL_PKlPlN2at6native12_GLOBAL__N_18offset_tEEE10hipError_tPvRmT1_PNSt15iterator_traitsISZ_E10value_typeET2_T3_PNS10_IS15_E10value_typeET4_jRbjT5_S1B_jjP12ihipStream_tbEUljE_EEESW_SX_SY_S15_S19_S1B_T6_T7_T9_mT8_S1D_bDpT10_ENKUlT_T0_E_clISt17integral_constantIbLb0EES1P_IbLb1EEEEDaS1L_S1M_EUlS1L_E_NS1_11comp_targetILNS1_3genE5ELNS1_11target_archE942ELNS1_3gpuE9ELNS1_3repE0EEENS1_30default_config_static_selectorELNS0_4arch9wavefront6targetE0EEEvSZ_, .Lfunc_end2032-_ZN7rocprim17ROCPRIM_400000_NS6detail17trampoline_kernelINS0_13select_configILj256ELj13ELNS0_17block_load_methodE3ELS4_3ELS4_3ELNS0_20block_scan_algorithmE0ELj4294967295EEENS1_25partition_config_selectorILNS1_17partition_subalgoE3EjNS0_10empty_typeEbEEZZNS1_14partition_implILS8_3ELb0ES6_jNS0_17counting_iteratorIjlEEPS9_SE_NS0_5tupleIJPjSE_EEENSF_IJSE_SE_EEES9_SG_JZNS1_25segmented_radix_sort_implINS0_14default_configELb0EPK12hip_bfloat16PSL_PKlPlN2at6native12_GLOBAL__N_18offset_tEEE10hipError_tPvRmT1_PNSt15iterator_traitsISZ_E10value_typeET2_T3_PNS10_IS15_E10value_typeET4_jRbjT5_S1B_jjP12ihipStream_tbEUljE_EEESW_SX_SY_S15_S19_S1B_T6_T7_T9_mT8_S1D_bDpT10_ENKUlT_T0_E_clISt17integral_constantIbLb0EES1P_IbLb1EEEEDaS1L_S1M_EUlS1L_E_NS1_11comp_targetILNS1_3genE5ELNS1_11target_archE942ELNS1_3gpuE9ELNS1_3repE0EEENS1_30default_config_static_selectorELNS0_4arch9wavefront6targetE0EEEvSZ_
                                        ; -- End function
	.set _ZN7rocprim17ROCPRIM_400000_NS6detail17trampoline_kernelINS0_13select_configILj256ELj13ELNS0_17block_load_methodE3ELS4_3ELS4_3ELNS0_20block_scan_algorithmE0ELj4294967295EEENS1_25partition_config_selectorILNS1_17partition_subalgoE3EjNS0_10empty_typeEbEEZZNS1_14partition_implILS8_3ELb0ES6_jNS0_17counting_iteratorIjlEEPS9_SE_NS0_5tupleIJPjSE_EEENSF_IJSE_SE_EEES9_SG_JZNS1_25segmented_radix_sort_implINS0_14default_configELb0EPK12hip_bfloat16PSL_PKlPlN2at6native12_GLOBAL__N_18offset_tEEE10hipError_tPvRmT1_PNSt15iterator_traitsISZ_E10value_typeET2_T3_PNS10_IS15_E10value_typeET4_jRbjT5_S1B_jjP12ihipStream_tbEUljE_EEESW_SX_SY_S15_S19_S1B_T6_T7_T9_mT8_S1D_bDpT10_ENKUlT_T0_E_clISt17integral_constantIbLb0EES1P_IbLb1EEEEDaS1L_S1M_EUlS1L_E_NS1_11comp_targetILNS1_3genE5ELNS1_11target_archE942ELNS1_3gpuE9ELNS1_3repE0EEENS1_30default_config_static_selectorELNS0_4arch9wavefront6targetE0EEEvSZ_.num_vgpr, 0
	.set _ZN7rocprim17ROCPRIM_400000_NS6detail17trampoline_kernelINS0_13select_configILj256ELj13ELNS0_17block_load_methodE3ELS4_3ELS4_3ELNS0_20block_scan_algorithmE0ELj4294967295EEENS1_25partition_config_selectorILNS1_17partition_subalgoE3EjNS0_10empty_typeEbEEZZNS1_14partition_implILS8_3ELb0ES6_jNS0_17counting_iteratorIjlEEPS9_SE_NS0_5tupleIJPjSE_EEENSF_IJSE_SE_EEES9_SG_JZNS1_25segmented_radix_sort_implINS0_14default_configELb0EPK12hip_bfloat16PSL_PKlPlN2at6native12_GLOBAL__N_18offset_tEEE10hipError_tPvRmT1_PNSt15iterator_traitsISZ_E10value_typeET2_T3_PNS10_IS15_E10value_typeET4_jRbjT5_S1B_jjP12ihipStream_tbEUljE_EEESW_SX_SY_S15_S19_S1B_T6_T7_T9_mT8_S1D_bDpT10_ENKUlT_T0_E_clISt17integral_constantIbLb0EES1P_IbLb1EEEEDaS1L_S1M_EUlS1L_E_NS1_11comp_targetILNS1_3genE5ELNS1_11target_archE942ELNS1_3gpuE9ELNS1_3repE0EEENS1_30default_config_static_selectorELNS0_4arch9wavefront6targetE0EEEvSZ_.num_agpr, 0
	.set _ZN7rocprim17ROCPRIM_400000_NS6detail17trampoline_kernelINS0_13select_configILj256ELj13ELNS0_17block_load_methodE3ELS4_3ELS4_3ELNS0_20block_scan_algorithmE0ELj4294967295EEENS1_25partition_config_selectorILNS1_17partition_subalgoE3EjNS0_10empty_typeEbEEZZNS1_14partition_implILS8_3ELb0ES6_jNS0_17counting_iteratorIjlEEPS9_SE_NS0_5tupleIJPjSE_EEENSF_IJSE_SE_EEES9_SG_JZNS1_25segmented_radix_sort_implINS0_14default_configELb0EPK12hip_bfloat16PSL_PKlPlN2at6native12_GLOBAL__N_18offset_tEEE10hipError_tPvRmT1_PNSt15iterator_traitsISZ_E10value_typeET2_T3_PNS10_IS15_E10value_typeET4_jRbjT5_S1B_jjP12ihipStream_tbEUljE_EEESW_SX_SY_S15_S19_S1B_T6_T7_T9_mT8_S1D_bDpT10_ENKUlT_T0_E_clISt17integral_constantIbLb0EES1P_IbLb1EEEEDaS1L_S1M_EUlS1L_E_NS1_11comp_targetILNS1_3genE5ELNS1_11target_archE942ELNS1_3gpuE9ELNS1_3repE0EEENS1_30default_config_static_selectorELNS0_4arch9wavefront6targetE0EEEvSZ_.numbered_sgpr, 0
	.set _ZN7rocprim17ROCPRIM_400000_NS6detail17trampoline_kernelINS0_13select_configILj256ELj13ELNS0_17block_load_methodE3ELS4_3ELS4_3ELNS0_20block_scan_algorithmE0ELj4294967295EEENS1_25partition_config_selectorILNS1_17partition_subalgoE3EjNS0_10empty_typeEbEEZZNS1_14partition_implILS8_3ELb0ES6_jNS0_17counting_iteratorIjlEEPS9_SE_NS0_5tupleIJPjSE_EEENSF_IJSE_SE_EEES9_SG_JZNS1_25segmented_radix_sort_implINS0_14default_configELb0EPK12hip_bfloat16PSL_PKlPlN2at6native12_GLOBAL__N_18offset_tEEE10hipError_tPvRmT1_PNSt15iterator_traitsISZ_E10value_typeET2_T3_PNS10_IS15_E10value_typeET4_jRbjT5_S1B_jjP12ihipStream_tbEUljE_EEESW_SX_SY_S15_S19_S1B_T6_T7_T9_mT8_S1D_bDpT10_ENKUlT_T0_E_clISt17integral_constantIbLb0EES1P_IbLb1EEEEDaS1L_S1M_EUlS1L_E_NS1_11comp_targetILNS1_3genE5ELNS1_11target_archE942ELNS1_3gpuE9ELNS1_3repE0EEENS1_30default_config_static_selectorELNS0_4arch9wavefront6targetE0EEEvSZ_.num_named_barrier, 0
	.set _ZN7rocprim17ROCPRIM_400000_NS6detail17trampoline_kernelINS0_13select_configILj256ELj13ELNS0_17block_load_methodE3ELS4_3ELS4_3ELNS0_20block_scan_algorithmE0ELj4294967295EEENS1_25partition_config_selectorILNS1_17partition_subalgoE3EjNS0_10empty_typeEbEEZZNS1_14partition_implILS8_3ELb0ES6_jNS0_17counting_iteratorIjlEEPS9_SE_NS0_5tupleIJPjSE_EEENSF_IJSE_SE_EEES9_SG_JZNS1_25segmented_radix_sort_implINS0_14default_configELb0EPK12hip_bfloat16PSL_PKlPlN2at6native12_GLOBAL__N_18offset_tEEE10hipError_tPvRmT1_PNSt15iterator_traitsISZ_E10value_typeET2_T3_PNS10_IS15_E10value_typeET4_jRbjT5_S1B_jjP12ihipStream_tbEUljE_EEESW_SX_SY_S15_S19_S1B_T6_T7_T9_mT8_S1D_bDpT10_ENKUlT_T0_E_clISt17integral_constantIbLb0EES1P_IbLb1EEEEDaS1L_S1M_EUlS1L_E_NS1_11comp_targetILNS1_3genE5ELNS1_11target_archE942ELNS1_3gpuE9ELNS1_3repE0EEENS1_30default_config_static_selectorELNS0_4arch9wavefront6targetE0EEEvSZ_.private_seg_size, 0
	.set _ZN7rocprim17ROCPRIM_400000_NS6detail17trampoline_kernelINS0_13select_configILj256ELj13ELNS0_17block_load_methodE3ELS4_3ELS4_3ELNS0_20block_scan_algorithmE0ELj4294967295EEENS1_25partition_config_selectorILNS1_17partition_subalgoE3EjNS0_10empty_typeEbEEZZNS1_14partition_implILS8_3ELb0ES6_jNS0_17counting_iteratorIjlEEPS9_SE_NS0_5tupleIJPjSE_EEENSF_IJSE_SE_EEES9_SG_JZNS1_25segmented_radix_sort_implINS0_14default_configELb0EPK12hip_bfloat16PSL_PKlPlN2at6native12_GLOBAL__N_18offset_tEEE10hipError_tPvRmT1_PNSt15iterator_traitsISZ_E10value_typeET2_T3_PNS10_IS15_E10value_typeET4_jRbjT5_S1B_jjP12ihipStream_tbEUljE_EEESW_SX_SY_S15_S19_S1B_T6_T7_T9_mT8_S1D_bDpT10_ENKUlT_T0_E_clISt17integral_constantIbLb0EES1P_IbLb1EEEEDaS1L_S1M_EUlS1L_E_NS1_11comp_targetILNS1_3genE5ELNS1_11target_archE942ELNS1_3gpuE9ELNS1_3repE0EEENS1_30default_config_static_selectorELNS0_4arch9wavefront6targetE0EEEvSZ_.uses_vcc, 0
	.set _ZN7rocprim17ROCPRIM_400000_NS6detail17trampoline_kernelINS0_13select_configILj256ELj13ELNS0_17block_load_methodE3ELS4_3ELS4_3ELNS0_20block_scan_algorithmE0ELj4294967295EEENS1_25partition_config_selectorILNS1_17partition_subalgoE3EjNS0_10empty_typeEbEEZZNS1_14partition_implILS8_3ELb0ES6_jNS0_17counting_iteratorIjlEEPS9_SE_NS0_5tupleIJPjSE_EEENSF_IJSE_SE_EEES9_SG_JZNS1_25segmented_radix_sort_implINS0_14default_configELb0EPK12hip_bfloat16PSL_PKlPlN2at6native12_GLOBAL__N_18offset_tEEE10hipError_tPvRmT1_PNSt15iterator_traitsISZ_E10value_typeET2_T3_PNS10_IS15_E10value_typeET4_jRbjT5_S1B_jjP12ihipStream_tbEUljE_EEESW_SX_SY_S15_S19_S1B_T6_T7_T9_mT8_S1D_bDpT10_ENKUlT_T0_E_clISt17integral_constantIbLb0EES1P_IbLb1EEEEDaS1L_S1M_EUlS1L_E_NS1_11comp_targetILNS1_3genE5ELNS1_11target_archE942ELNS1_3gpuE9ELNS1_3repE0EEENS1_30default_config_static_selectorELNS0_4arch9wavefront6targetE0EEEvSZ_.uses_flat_scratch, 0
	.set _ZN7rocprim17ROCPRIM_400000_NS6detail17trampoline_kernelINS0_13select_configILj256ELj13ELNS0_17block_load_methodE3ELS4_3ELS4_3ELNS0_20block_scan_algorithmE0ELj4294967295EEENS1_25partition_config_selectorILNS1_17partition_subalgoE3EjNS0_10empty_typeEbEEZZNS1_14partition_implILS8_3ELb0ES6_jNS0_17counting_iteratorIjlEEPS9_SE_NS0_5tupleIJPjSE_EEENSF_IJSE_SE_EEES9_SG_JZNS1_25segmented_radix_sort_implINS0_14default_configELb0EPK12hip_bfloat16PSL_PKlPlN2at6native12_GLOBAL__N_18offset_tEEE10hipError_tPvRmT1_PNSt15iterator_traitsISZ_E10value_typeET2_T3_PNS10_IS15_E10value_typeET4_jRbjT5_S1B_jjP12ihipStream_tbEUljE_EEESW_SX_SY_S15_S19_S1B_T6_T7_T9_mT8_S1D_bDpT10_ENKUlT_T0_E_clISt17integral_constantIbLb0EES1P_IbLb1EEEEDaS1L_S1M_EUlS1L_E_NS1_11comp_targetILNS1_3genE5ELNS1_11target_archE942ELNS1_3gpuE9ELNS1_3repE0EEENS1_30default_config_static_selectorELNS0_4arch9wavefront6targetE0EEEvSZ_.has_dyn_sized_stack, 0
	.set _ZN7rocprim17ROCPRIM_400000_NS6detail17trampoline_kernelINS0_13select_configILj256ELj13ELNS0_17block_load_methodE3ELS4_3ELS4_3ELNS0_20block_scan_algorithmE0ELj4294967295EEENS1_25partition_config_selectorILNS1_17partition_subalgoE3EjNS0_10empty_typeEbEEZZNS1_14partition_implILS8_3ELb0ES6_jNS0_17counting_iteratorIjlEEPS9_SE_NS0_5tupleIJPjSE_EEENSF_IJSE_SE_EEES9_SG_JZNS1_25segmented_radix_sort_implINS0_14default_configELb0EPK12hip_bfloat16PSL_PKlPlN2at6native12_GLOBAL__N_18offset_tEEE10hipError_tPvRmT1_PNSt15iterator_traitsISZ_E10value_typeET2_T3_PNS10_IS15_E10value_typeET4_jRbjT5_S1B_jjP12ihipStream_tbEUljE_EEESW_SX_SY_S15_S19_S1B_T6_T7_T9_mT8_S1D_bDpT10_ENKUlT_T0_E_clISt17integral_constantIbLb0EES1P_IbLb1EEEEDaS1L_S1M_EUlS1L_E_NS1_11comp_targetILNS1_3genE5ELNS1_11target_archE942ELNS1_3gpuE9ELNS1_3repE0EEENS1_30default_config_static_selectorELNS0_4arch9wavefront6targetE0EEEvSZ_.has_recursion, 0
	.set _ZN7rocprim17ROCPRIM_400000_NS6detail17trampoline_kernelINS0_13select_configILj256ELj13ELNS0_17block_load_methodE3ELS4_3ELS4_3ELNS0_20block_scan_algorithmE0ELj4294967295EEENS1_25partition_config_selectorILNS1_17partition_subalgoE3EjNS0_10empty_typeEbEEZZNS1_14partition_implILS8_3ELb0ES6_jNS0_17counting_iteratorIjlEEPS9_SE_NS0_5tupleIJPjSE_EEENSF_IJSE_SE_EEES9_SG_JZNS1_25segmented_radix_sort_implINS0_14default_configELb0EPK12hip_bfloat16PSL_PKlPlN2at6native12_GLOBAL__N_18offset_tEEE10hipError_tPvRmT1_PNSt15iterator_traitsISZ_E10value_typeET2_T3_PNS10_IS15_E10value_typeET4_jRbjT5_S1B_jjP12ihipStream_tbEUljE_EEESW_SX_SY_S15_S19_S1B_T6_T7_T9_mT8_S1D_bDpT10_ENKUlT_T0_E_clISt17integral_constantIbLb0EES1P_IbLb1EEEEDaS1L_S1M_EUlS1L_E_NS1_11comp_targetILNS1_3genE5ELNS1_11target_archE942ELNS1_3gpuE9ELNS1_3repE0EEENS1_30default_config_static_selectorELNS0_4arch9wavefront6targetE0EEEvSZ_.has_indirect_call, 0
	.section	.AMDGPU.csdata,"",@progbits
; Kernel info:
; codeLenInByte = 0
; TotalNumSgprs: 0
; NumVgprs: 0
; ScratchSize: 0
; MemoryBound: 0
; FloatMode: 240
; IeeeMode: 1
; LDSByteSize: 0 bytes/workgroup (compile time only)
; SGPRBlocks: 0
; VGPRBlocks: 0
; NumSGPRsForWavesPerEU: 1
; NumVGPRsForWavesPerEU: 1
; Occupancy: 16
; WaveLimiterHint : 0
; COMPUTE_PGM_RSRC2:SCRATCH_EN: 0
; COMPUTE_PGM_RSRC2:USER_SGPR: 6
; COMPUTE_PGM_RSRC2:TRAP_HANDLER: 0
; COMPUTE_PGM_RSRC2:TGID_X_EN: 1
; COMPUTE_PGM_RSRC2:TGID_Y_EN: 0
; COMPUTE_PGM_RSRC2:TGID_Z_EN: 0
; COMPUTE_PGM_RSRC2:TIDIG_COMP_CNT: 0
	.section	.text._ZN7rocprim17ROCPRIM_400000_NS6detail17trampoline_kernelINS0_13select_configILj256ELj13ELNS0_17block_load_methodE3ELS4_3ELS4_3ELNS0_20block_scan_algorithmE0ELj4294967295EEENS1_25partition_config_selectorILNS1_17partition_subalgoE3EjNS0_10empty_typeEbEEZZNS1_14partition_implILS8_3ELb0ES6_jNS0_17counting_iteratorIjlEEPS9_SE_NS0_5tupleIJPjSE_EEENSF_IJSE_SE_EEES9_SG_JZNS1_25segmented_radix_sort_implINS0_14default_configELb0EPK12hip_bfloat16PSL_PKlPlN2at6native12_GLOBAL__N_18offset_tEEE10hipError_tPvRmT1_PNSt15iterator_traitsISZ_E10value_typeET2_T3_PNS10_IS15_E10value_typeET4_jRbjT5_S1B_jjP12ihipStream_tbEUljE_EEESW_SX_SY_S15_S19_S1B_T6_T7_T9_mT8_S1D_bDpT10_ENKUlT_T0_E_clISt17integral_constantIbLb0EES1P_IbLb1EEEEDaS1L_S1M_EUlS1L_E_NS1_11comp_targetILNS1_3genE4ELNS1_11target_archE910ELNS1_3gpuE8ELNS1_3repE0EEENS1_30default_config_static_selectorELNS0_4arch9wavefront6targetE0EEEvSZ_,"axG",@progbits,_ZN7rocprim17ROCPRIM_400000_NS6detail17trampoline_kernelINS0_13select_configILj256ELj13ELNS0_17block_load_methodE3ELS4_3ELS4_3ELNS0_20block_scan_algorithmE0ELj4294967295EEENS1_25partition_config_selectorILNS1_17partition_subalgoE3EjNS0_10empty_typeEbEEZZNS1_14partition_implILS8_3ELb0ES6_jNS0_17counting_iteratorIjlEEPS9_SE_NS0_5tupleIJPjSE_EEENSF_IJSE_SE_EEES9_SG_JZNS1_25segmented_radix_sort_implINS0_14default_configELb0EPK12hip_bfloat16PSL_PKlPlN2at6native12_GLOBAL__N_18offset_tEEE10hipError_tPvRmT1_PNSt15iterator_traitsISZ_E10value_typeET2_T3_PNS10_IS15_E10value_typeET4_jRbjT5_S1B_jjP12ihipStream_tbEUljE_EEESW_SX_SY_S15_S19_S1B_T6_T7_T9_mT8_S1D_bDpT10_ENKUlT_T0_E_clISt17integral_constantIbLb0EES1P_IbLb1EEEEDaS1L_S1M_EUlS1L_E_NS1_11comp_targetILNS1_3genE4ELNS1_11target_archE910ELNS1_3gpuE8ELNS1_3repE0EEENS1_30default_config_static_selectorELNS0_4arch9wavefront6targetE0EEEvSZ_,comdat
	.globl	_ZN7rocprim17ROCPRIM_400000_NS6detail17trampoline_kernelINS0_13select_configILj256ELj13ELNS0_17block_load_methodE3ELS4_3ELS4_3ELNS0_20block_scan_algorithmE0ELj4294967295EEENS1_25partition_config_selectorILNS1_17partition_subalgoE3EjNS0_10empty_typeEbEEZZNS1_14partition_implILS8_3ELb0ES6_jNS0_17counting_iteratorIjlEEPS9_SE_NS0_5tupleIJPjSE_EEENSF_IJSE_SE_EEES9_SG_JZNS1_25segmented_radix_sort_implINS0_14default_configELb0EPK12hip_bfloat16PSL_PKlPlN2at6native12_GLOBAL__N_18offset_tEEE10hipError_tPvRmT1_PNSt15iterator_traitsISZ_E10value_typeET2_T3_PNS10_IS15_E10value_typeET4_jRbjT5_S1B_jjP12ihipStream_tbEUljE_EEESW_SX_SY_S15_S19_S1B_T6_T7_T9_mT8_S1D_bDpT10_ENKUlT_T0_E_clISt17integral_constantIbLb0EES1P_IbLb1EEEEDaS1L_S1M_EUlS1L_E_NS1_11comp_targetILNS1_3genE4ELNS1_11target_archE910ELNS1_3gpuE8ELNS1_3repE0EEENS1_30default_config_static_selectorELNS0_4arch9wavefront6targetE0EEEvSZ_ ; -- Begin function _ZN7rocprim17ROCPRIM_400000_NS6detail17trampoline_kernelINS0_13select_configILj256ELj13ELNS0_17block_load_methodE3ELS4_3ELS4_3ELNS0_20block_scan_algorithmE0ELj4294967295EEENS1_25partition_config_selectorILNS1_17partition_subalgoE3EjNS0_10empty_typeEbEEZZNS1_14partition_implILS8_3ELb0ES6_jNS0_17counting_iteratorIjlEEPS9_SE_NS0_5tupleIJPjSE_EEENSF_IJSE_SE_EEES9_SG_JZNS1_25segmented_radix_sort_implINS0_14default_configELb0EPK12hip_bfloat16PSL_PKlPlN2at6native12_GLOBAL__N_18offset_tEEE10hipError_tPvRmT1_PNSt15iterator_traitsISZ_E10value_typeET2_T3_PNS10_IS15_E10value_typeET4_jRbjT5_S1B_jjP12ihipStream_tbEUljE_EEESW_SX_SY_S15_S19_S1B_T6_T7_T9_mT8_S1D_bDpT10_ENKUlT_T0_E_clISt17integral_constantIbLb0EES1P_IbLb1EEEEDaS1L_S1M_EUlS1L_E_NS1_11comp_targetILNS1_3genE4ELNS1_11target_archE910ELNS1_3gpuE8ELNS1_3repE0EEENS1_30default_config_static_selectorELNS0_4arch9wavefront6targetE0EEEvSZ_
	.p2align	8
	.type	_ZN7rocprim17ROCPRIM_400000_NS6detail17trampoline_kernelINS0_13select_configILj256ELj13ELNS0_17block_load_methodE3ELS4_3ELS4_3ELNS0_20block_scan_algorithmE0ELj4294967295EEENS1_25partition_config_selectorILNS1_17partition_subalgoE3EjNS0_10empty_typeEbEEZZNS1_14partition_implILS8_3ELb0ES6_jNS0_17counting_iteratorIjlEEPS9_SE_NS0_5tupleIJPjSE_EEENSF_IJSE_SE_EEES9_SG_JZNS1_25segmented_radix_sort_implINS0_14default_configELb0EPK12hip_bfloat16PSL_PKlPlN2at6native12_GLOBAL__N_18offset_tEEE10hipError_tPvRmT1_PNSt15iterator_traitsISZ_E10value_typeET2_T3_PNS10_IS15_E10value_typeET4_jRbjT5_S1B_jjP12ihipStream_tbEUljE_EEESW_SX_SY_S15_S19_S1B_T6_T7_T9_mT8_S1D_bDpT10_ENKUlT_T0_E_clISt17integral_constantIbLb0EES1P_IbLb1EEEEDaS1L_S1M_EUlS1L_E_NS1_11comp_targetILNS1_3genE4ELNS1_11target_archE910ELNS1_3gpuE8ELNS1_3repE0EEENS1_30default_config_static_selectorELNS0_4arch9wavefront6targetE0EEEvSZ_,@function
_ZN7rocprim17ROCPRIM_400000_NS6detail17trampoline_kernelINS0_13select_configILj256ELj13ELNS0_17block_load_methodE3ELS4_3ELS4_3ELNS0_20block_scan_algorithmE0ELj4294967295EEENS1_25partition_config_selectorILNS1_17partition_subalgoE3EjNS0_10empty_typeEbEEZZNS1_14partition_implILS8_3ELb0ES6_jNS0_17counting_iteratorIjlEEPS9_SE_NS0_5tupleIJPjSE_EEENSF_IJSE_SE_EEES9_SG_JZNS1_25segmented_radix_sort_implINS0_14default_configELb0EPK12hip_bfloat16PSL_PKlPlN2at6native12_GLOBAL__N_18offset_tEEE10hipError_tPvRmT1_PNSt15iterator_traitsISZ_E10value_typeET2_T3_PNS10_IS15_E10value_typeET4_jRbjT5_S1B_jjP12ihipStream_tbEUljE_EEESW_SX_SY_S15_S19_S1B_T6_T7_T9_mT8_S1D_bDpT10_ENKUlT_T0_E_clISt17integral_constantIbLb0EES1P_IbLb1EEEEDaS1L_S1M_EUlS1L_E_NS1_11comp_targetILNS1_3genE4ELNS1_11target_archE910ELNS1_3gpuE8ELNS1_3repE0EEENS1_30default_config_static_selectorELNS0_4arch9wavefront6targetE0EEEvSZ_: ; @_ZN7rocprim17ROCPRIM_400000_NS6detail17trampoline_kernelINS0_13select_configILj256ELj13ELNS0_17block_load_methodE3ELS4_3ELS4_3ELNS0_20block_scan_algorithmE0ELj4294967295EEENS1_25partition_config_selectorILNS1_17partition_subalgoE3EjNS0_10empty_typeEbEEZZNS1_14partition_implILS8_3ELb0ES6_jNS0_17counting_iteratorIjlEEPS9_SE_NS0_5tupleIJPjSE_EEENSF_IJSE_SE_EEES9_SG_JZNS1_25segmented_radix_sort_implINS0_14default_configELb0EPK12hip_bfloat16PSL_PKlPlN2at6native12_GLOBAL__N_18offset_tEEE10hipError_tPvRmT1_PNSt15iterator_traitsISZ_E10value_typeET2_T3_PNS10_IS15_E10value_typeET4_jRbjT5_S1B_jjP12ihipStream_tbEUljE_EEESW_SX_SY_S15_S19_S1B_T6_T7_T9_mT8_S1D_bDpT10_ENKUlT_T0_E_clISt17integral_constantIbLb0EES1P_IbLb1EEEEDaS1L_S1M_EUlS1L_E_NS1_11comp_targetILNS1_3genE4ELNS1_11target_archE910ELNS1_3gpuE8ELNS1_3repE0EEENS1_30default_config_static_selectorELNS0_4arch9wavefront6targetE0EEEvSZ_
; %bb.0:
	.section	.rodata,"a",@progbits
	.p2align	6, 0x0
	.amdhsa_kernel _ZN7rocprim17ROCPRIM_400000_NS6detail17trampoline_kernelINS0_13select_configILj256ELj13ELNS0_17block_load_methodE3ELS4_3ELS4_3ELNS0_20block_scan_algorithmE0ELj4294967295EEENS1_25partition_config_selectorILNS1_17partition_subalgoE3EjNS0_10empty_typeEbEEZZNS1_14partition_implILS8_3ELb0ES6_jNS0_17counting_iteratorIjlEEPS9_SE_NS0_5tupleIJPjSE_EEENSF_IJSE_SE_EEES9_SG_JZNS1_25segmented_radix_sort_implINS0_14default_configELb0EPK12hip_bfloat16PSL_PKlPlN2at6native12_GLOBAL__N_18offset_tEEE10hipError_tPvRmT1_PNSt15iterator_traitsISZ_E10value_typeET2_T3_PNS10_IS15_E10value_typeET4_jRbjT5_S1B_jjP12ihipStream_tbEUljE_EEESW_SX_SY_S15_S19_S1B_T6_T7_T9_mT8_S1D_bDpT10_ENKUlT_T0_E_clISt17integral_constantIbLb0EES1P_IbLb1EEEEDaS1L_S1M_EUlS1L_E_NS1_11comp_targetILNS1_3genE4ELNS1_11target_archE910ELNS1_3gpuE8ELNS1_3repE0EEENS1_30default_config_static_selectorELNS0_4arch9wavefront6targetE0EEEvSZ_
		.amdhsa_group_segment_fixed_size 0
		.amdhsa_private_segment_fixed_size 0
		.amdhsa_kernarg_size 152
		.amdhsa_user_sgpr_count 6
		.amdhsa_user_sgpr_private_segment_buffer 1
		.amdhsa_user_sgpr_dispatch_ptr 0
		.amdhsa_user_sgpr_queue_ptr 0
		.amdhsa_user_sgpr_kernarg_segment_ptr 1
		.amdhsa_user_sgpr_dispatch_id 0
		.amdhsa_user_sgpr_flat_scratch_init 0
		.amdhsa_user_sgpr_private_segment_size 0
		.amdhsa_wavefront_size32 1
		.amdhsa_uses_dynamic_stack 0
		.amdhsa_system_sgpr_private_segment_wavefront_offset 0
		.amdhsa_system_sgpr_workgroup_id_x 1
		.amdhsa_system_sgpr_workgroup_id_y 0
		.amdhsa_system_sgpr_workgroup_id_z 0
		.amdhsa_system_sgpr_workgroup_info 0
		.amdhsa_system_vgpr_workitem_id 0
		.amdhsa_next_free_vgpr 1
		.amdhsa_next_free_sgpr 1
		.amdhsa_reserve_vcc 0
		.amdhsa_reserve_flat_scratch 0
		.amdhsa_float_round_mode_32 0
		.amdhsa_float_round_mode_16_64 0
		.amdhsa_float_denorm_mode_32 3
		.amdhsa_float_denorm_mode_16_64 3
		.amdhsa_dx10_clamp 1
		.amdhsa_ieee_mode 1
		.amdhsa_fp16_overflow 0
		.amdhsa_workgroup_processor_mode 1
		.amdhsa_memory_ordered 1
		.amdhsa_forward_progress 1
		.amdhsa_shared_vgpr_count 0
		.amdhsa_exception_fp_ieee_invalid_op 0
		.amdhsa_exception_fp_denorm_src 0
		.amdhsa_exception_fp_ieee_div_zero 0
		.amdhsa_exception_fp_ieee_overflow 0
		.amdhsa_exception_fp_ieee_underflow 0
		.amdhsa_exception_fp_ieee_inexact 0
		.amdhsa_exception_int_div_zero 0
	.end_amdhsa_kernel
	.section	.text._ZN7rocprim17ROCPRIM_400000_NS6detail17trampoline_kernelINS0_13select_configILj256ELj13ELNS0_17block_load_methodE3ELS4_3ELS4_3ELNS0_20block_scan_algorithmE0ELj4294967295EEENS1_25partition_config_selectorILNS1_17partition_subalgoE3EjNS0_10empty_typeEbEEZZNS1_14partition_implILS8_3ELb0ES6_jNS0_17counting_iteratorIjlEEPS9_SE_NS0_5tupleIJPjSE_EEENSF_IJSE_SE_EEES9_SG_JZNS1_25segmented_radix_sort_implINS0_14default_configELb0EPK12hip_bfloat16PSL_PKlPlN2at6native12_GLOBAL__N_18offset_tEEE10hipError_tPvRmT1_PNSt15iterator_traitsISZ_E10value_typeET2_T3_PNS10_IS15_E10value_typeET4_jRbjT5_S1B_jjP12ihipStream_tbEUljE_EEESW_SX_SY_S15_S19_S1B_T6_T7_T9_mT8_S1D_bDpT10_ENKUlT_T0_E_clISt17integral_constantIbLb0EES1P_IbLb1EEEEDaS1L_S1M_EUlS1L_E_NS1_11comp_targetILNS1_3genE4ELNS1_11target_archE910ELNS1_3gpuE8ELNS1_3repE0EEENS1_30default_config_static_selectorELNS0_4arch9wavefront6targetE0EEEvSZ_,"axG",@progbits,_ZN7rocprim17ROCPRIM_400000_NS6detail17trampoline_kernelINS0_13select_configILj256ELj13ELNS0_17block_load_methodE3ELS4_3ELS4_3ELNS0_20block_scan_algorithmE0ELj4294967295EEENS1_25partition_config_selectorILNS1_17partition_subalgoE3EjNS0_10empty_typeEbEEZZNS1_14partition_implILS8_3ELb0ES6_jNS0_17counting_iteratorIjlEEPS9_SE_NS0_5tupleIJPjSE_EEENSF_IJSE_SE_EEES9_SG_JZNS1_25segmented_radix_sort_implINS0_14default_configELb0EPK12hip_bfloat16PSL_PKlPlN2at6native12_GLOBAL__N_18offset_tEEE10hipError_tPvRmT1_PNSt15iterator_traitsISZ_E10value_typeET2_T3_PNS10_IS15_E10value_typeET4_jRbjT5_S1B_jjP12ihipStream_tbEUljE_EEESW_SX_SY_S15_S19_S1B_T6_T7_T9_mT8_S1D_bDpT10_ENKUlT_T0_E_clISt17integral_constantIbLb0EES1P_IbLb1EEEEDaS1L_S1M_EUlS1L_E_NS1_11comp_targetILNS1_3genE4ELNS1_11target_archE910ELNS1_3gpuE8ELNS1_3repE0EEENS1_30default_config_static_selectorELNS0_4arch9wavefront6targetE0EEEvSZ_,comdat
.Lfunc_end2033:
	.size	_ZN7rocprim17ROCPRIM_400000_NS6detail17trampoline_kernelINS0_13select_configILj256ELj13ELNS0_17block_load_methodE3ELS4_3ELS4_3ELNS0_20block_scan_algorithmE0ELj4294967295EEENS1_25partition_config_selectorILNS1_17partition_subalgoE3EjNS0_10empty_typeEbEEZZNS1_14partition_implILS8_3ELb0ES6_jNS0_17counting_iteratorIjlEEPS9_SE_NS0_5tupleIJPjSE_EEENSF_IJSE_SE_EEES9_SG_JZNS1_25segmented_radix_sort_implINS0_14default_configELb0EPK12hip_bfloat16PSL_PKlPlN2at6native12_GLOBAL__N_18offset_tEEE10hipError_tPvRmT1_PNSt15iterator_traitsISZ_E10value_typeET2_T3_PNS10_IS15_E10value_typeET4_jRbjT5_S1B_jjP12ihipStream_tbEUljE_EEESW_SX_SY_S15_S19_S1B_T6_T7_T9_mT8_S1D_bDpT10_ENKUlT_T0_E_clISt17integral_constantIbLb0EES1P_IbLb1EEEEDaS1L_S1M_EUlS1L_E_NS1_11comp_targetILNS1_3genE4ELNS1_11target_archE910ELNS1_3gpuE8ELNS1_3repE0EEENS1_30default_config_static_selectorELNS0_4arch9wavefront6targetE0EEEvSZ_, .Lfunc_end2033-_ZN7rocprim17ROCPRIM_400000_NS6detail17trampoline_kernelINS0_13select_configILj256ELj13ELNS0_17block_load_methodE3ELS4_3ELS4_3ELNS0_20block_scan_algorithmE0ELj4294967295EEENS1_25partition_config_selectorILNS1_17partition_subalgoE3EjNS0_10empty_typeEbEEZZNS1_14partition_implILS8_3ELb0ES6_jNS0_17counting_iteratorIjlEEPS9_SE_NS0_5tupleIJPjSE_EEENSF_IJSE_SE_EEES9_SG_JZNS1_25segmented_radix_sort_implINS0_14default_configELb0EPK12hip_bfloat16PSL_PKlPlN2at6native12_GLOBAL__N_18offset_tEEE10hipError_tPvRmT1_PNSt15iterator_traitsISZ_E10value_typeET2_T3_PNS10_IS15_E10value_typeET4_jRbjT5_S1B_jjP12ihipStream_tbEUljE_EEESW_SX_SY_S15_S19_S1B_T6_T7_T9_mT8_S1D_bDpT10_ENKUlT_T0_E_clISt17integral_constantIbLb0EES1P_IbLb1EEEEDaS1L_S1M_EUlS1L_E_NS1_11comp_targetILNS1_3genE4ELNS1_11target_archE910ELNS1_3gpuE8ELNS1_3repE0EEENS1_30default_config_static_selectorELNS0_4arch9wavefront6targetE0EEEvSZ_
                                        ; -- End function
	.set _ZN7rocprim17ROCPRIM_400000_NS6detail17trampoline_kernelINS0_13select_configILj256ELj13ELNS0_17block_load_methodE3ELS4_3ELS4_3ELNS0_20block_scan_algorithmE0ELj4294967295EEENS1_25partition_config_selectorILNS1_17partition_subalgoE3EjNS0_10empty_typeEbEEZZNS1_14partition_implILS8_3ELb0ES6_jNS0_17counting_iteratorIjlEEPS9_SE_NS0_5tupleIJPjSE_EEENSF_IJSE_SE_EEES9_SG_JZNS1_25segmented_radix_sort_implINS0_14default_configELb0EPK12hip_bfloat16PSL_PKlPlN2at6native12_GLOBAL__N_18offset_tEEE10hipError_tPvRmT1_PNSt15iterator_traitsISZ_E10value_typeET2_T3_PNS10_IS15_E10value_typeET4_jRbjT5_S1B_jjP12ihipStream_tbEUljE_EEESW_SX_SY_S15_S19_S1B_T6_T7_T9_mT8_S1D_bDpT10_ENKUlT_T0_E_clISt17integral_constantIbLb0EES1P_IbLb1EEEEDaS1L_S1M_EUlS1L_E_NS1_11comp_targetILNS1_3genE4ELNS1_11target_archE910ELNS1_3gpuE8ELNS1_3repE0EEENS1_30default_config_static_selectorELNS0_4arch9wavefront6targetE0EEEvSZ_.num_vgpr, 0
	.set _ZN7rocprim17ROCPRIM_400000_NS6detail17trampoline_kernelINS0_13select_configILj256ELj13ELNS0_17block_load_methodE3ELS4_3ELS4_3ELNS0_20block_scan_algorithmE0ELj4294967295EEENS1_25partition_config_selectorILNS1_17partition_subalgoE3EjNS0_10empty_typeEbEEZZNS1_14partition_implILS8_3ELb0ES6_jNS0_17counting_iteratorIjlEEPS9_SE_NS0_5tupleIJPjSE_EEENSF_IJSE_SE_EEES9_SG_JZNS1_25segmented_radix_sort_implINS0_14default_configELb0EPK12hip_bfloat16PSL_PKlPlN2at6native12_GLOBAL__N_18offset_tEEE10hipError_tPvRmT1_PNSt15iterator_traitsISZ_E10value_typeET2_T3_PNS10_IS15_E10value_typeET4_jRbjT5_S1B_jjP12ihipStream_tbEUljE_EEESW_SX_SY_S15_S19_S1B_T6_T7_T9_mT8_S1D_bDpT10_ENKUlT_T0_E_clISt17integral_constantIbLb0EES1P_IbLb1EEEEDaS1L_S1M_EUlS1L_E_NS1_11comp_targetILNS1_3genE4ELNS1_11target_archE910ELNS1_3gpuE8ELNS1_3repE0EEENS1_30default_config_static_selectorELNS0_4arch9wavefront6targetE0EEEvSZ_.num_agpr, 0
	.set _ZN7rocprim17ROCPRIM_400000_NS6detail17trampoline_kernelINS0_13select_configILj256ELj13ELNS0_17block_load_methodE3ELS4_3ELS4_3ELNS0_20block_scan_algorithmE0ELj4294967295EEENS1_25partition_config_selectorILNS1_17partition_subalgoE3EjNS0_10empty_typeEbEEZZNS1_14partition_implILS8_3ELb0ES6_jNS0_17counting_iteratorIjlEEPS9_SE_NS0_5tupleIJPjSE_EEENSF_IJSE_SE_EEES9_SG_JZNS1_25segmented_radix_sort_implINS0_14default_configELb0EPK12hip_bfloat16PSL_PKlPlN2at6native12_GLOBAL__N_18offset_tEEE10hipError_tPvRmT1_PNSt15iterator_traitsISZ_E10value_typeET2_T3_PNS10_IS15_E10value_typeET4_jRbjT5_S1B_jjP12ihipStream_tbEUljE_EEESW_SX_SY_S15_S19_S1B_T6_T7_T9_mT8_S1D_bDpT10_ENKUlT_T0_E_clISt17integral_constantIbLb0EES1P_IbLb1EEEEDaS1L_S1M_EUlS1L_E_NS1_11comp_targetILNS1_3genE4ELNS1_11target_archE910ELNS1_3gpuE8ELNS1_3repE0EEENS1_30default_config_static_selectorELNS0_4arch9wavefront6targetE0EEEvSZ_.numbered_sgpr, 0
	.set _ZN7rocprim17ROCPRIM_400000_NS6detail17trampoline_kernelINS0_13select_configILj256ELj13ELNS0_17block_load_methodE3ELS4_3ELS4_3ELNS0_20block_scan_algorithmE0ELj4294967295EEENS1_25partition_config_selectorILNS1_17partition_subalgoE3EjNS0_10empty_typeEbEEZZNS1_14partition_implILS8_3ELb0ES6_jNS0_17counting_iteratorIjlEEPS9_SE_NS0_5tupleIJPjSE_EEENSF_IJSE_SE_EEES9_SG_JZNS1_25segmented_radix_sort_implINS0_14default_configELb0EPK12hip_bfloat16PSL_PKlPlN2at6native12_GLOBAL__N_18offset_tEEE10hipError_tPvRmT1_PNSt15iterator_traitsISZ_E10value_typeET2_T3_PNS10_IS15_E10value_typeET4_jRbjT5_S1B_jjP12ihipStream_tbEUljE_EEESW_SX_SY_S15_S19_S1B_T6_T7_T9_mT8_S1D_bDpT10_ENKUlT_T0_E_clISt17integral_constantIbLb0EES1P_IbLb1EEEEDaS1L_S1M_EUlS1L_E_NS1_11comp_targetILNS1_3genE4ELNS1_11target_archE910ELNS1_3gpuE8ELNS1_3repE0EEENS1_30default_config_static_selectorELNS0_4arch9wavefront6targetE0EEEvSZ_.num_named_barrier, 0
	.set _ZN7rocprim17ROCPRIM_400000_NS6detail17trampoline_kernelINS0_13select_configILj256ELj13ELNS0_17block_load_methodE3ELS4_3ELS4_3ELNS0_20block_scan_algorithmE0ELj4294967295EEENS1_25partition_config_selectorILNS1_17partition_subalgoE3EjNS0_10empty_typeEbEEZZNS1_14partition_implILS8_3ELb0ES6_jNS0_17counting_iteratorIjlEEPS9_SE_NS0_5tupleIJPjSE_EEENSF_IJSE_SE_EEES9_SG_JZNS1_25segmented_radix_sort_implINS0_14default_configELb0EPK12hip_bfloat16PSL_PKlPlN2at6native12_GLOBAL__N_18offset_tEEE10hipError_tPvRmT1_PNSt15iterator_traitsISZ_E10value_typeET2_T3_PNS10_IS15_E10value_typeET4_jRbjT5_S1B_jjP12ihipStream_tbEUljE_EEESW_SX_SY_S15_S19_S1B_T6_T7_T9_mT8_S1D_bDpT10_ENKUlT_T0_E_clISt17integral_constantIbLb0EES1P_IbLb1EEEEDaS1L_S1M_EUlS1L_E_NS1_11comp_targetILNS1_3genE4ELNS1_11target_archE910ELNS1_3gpuE8ELNS1_3repE0EEENS1_30default_config_static_selectorELNS0_4arch9wavefront6targetE0EEEvSZ_.private_seg_size, 0
	.set _ZN7rocprim17ROCPRIM_400000_NS6detail17trampoline_kernelINS0_13select_configILj256ELj13ELNS0_17block_load_methodE3ELS4_3ELS4_3ELNS0_20block_scan_algorithmE0ELj4294967295EEENS1_25partition_config_selectorILNS1_17partition_subalgoE3EjNS0_10empty_typeEbEEZZNS1_14partition_implILS8_3ELb0ES6_jNS0_17counting_iteratorIjlEEPS9_SE_NS0_5tupleIJPjSE_EEENSF_IJSE_SE_EEES9_SG_JZNS1_25segmented_radix_sort_implINS0_14default_configELb0EPK12hip_bfloat16PSL_PKlPlN2at6native12_GLOBAL__N_18offset_tEEE10hipError_tPvRmT1_PNSt15iterator_traitsISZ_E10value_typeET2_T3_PNS10_IS15_E10value_typeET4_jRbjT5_S1B_jjP12ihipStream_tbEUljE_EEESW_SX_SY_S15_S19_S1B_T6_T7_T9_mT8_S1D_bDpT10_ENKUlT_T0_E_clISt17integral_constantIbLb0EES1P_IbLb1EEEEDaS1L_S1M_EUlS1L_E_NS1_11comp_targetILNS1_3genE4ELNS1_11target_archE910ELNS1_3gpuE8ELNS1_3repE0EEENS1_30default_config_static_selectorELNS0_4arch9wavefront6targetE0EEEvSZ_.uses_vcc, 0
	.set _ZN7rocprim17ROCPRIM_400000_NS6detail17trampoline_kernelINS0_13select_configILj256ELj13ELNS0_17block_load_methodE3ELS4_3ELS4_3ELNS0_20block_scan_algorithmE0ELj4294967295EEENS1_25partition_config_selectorILNS1_17partition_subalgoE3EjNS0_10empty_typeEbEEZZNS1_14partition_implILS8_3ELb0ES6_jNS0_17counting_iteratorIjlEEPS9_SE_NS0_5tupleIJPjSE_EEENSF_IJSE_SE_EEES9_SG_JZNS1_25segmented_radix_sort_implINS0_14default_configELb0EPK12hip_bfloat16PSL_PKlPlN2at6native12_GLOBAL__N_18offset_tEEE10hipError_tPvRmT1_PNSt15iterator_traitsISZ_E10value_typeET2_T3_PNS10_IS15_E10value_typeET4_jRbjT5_S1B_jjP12ihipStream_tbEUljE_EEESW_SX_SY_S15_S19_S1B_T6_T7_T9_mT8_S1D_bDpT10_ENKUlT_T0_E_clISt17integral_constantIbLb0EES1P_IbLb1EEEEDaS1L_S1M_EUlS1L_E_NS1_11comp_targetILNS1_3genE4ELNS1_11target_archE910ELNS1_3gpuE8ELNS1_3repE0EEENS1_30default_config_static_selectorELNS0_4arch9wavefront6targetE0EEEvSZ_.uses_flat_scratch, 0
	.set _ZN7rocprim17ROCPRIM_400000_NS6detail17trampoline_kernelINS0_13select_configILj256ELj13ELNS0_17block_load_methodE3ELS4_3ELS4_3ELNS0_20block_scan_algorithmE0ELj4294967295EEENS1_25partition_config_selectorILNS1_17partition_subalgoE3EjNS0_10empty_typeEbEEZZNS1_14partition_implILS8_3ELb0ES6_jNS0_17counting_iteratorIjlEEPS9_SE_NS0_5tupleIJPjSE_EEENSF_IJSE_SE_EEES9_SG_JZNS1_25segmented_radix_sort_implINS0_14default_configELb0EPK12hip_bfloat16PSL_PKlPlN2at6native12_GLOBAL__N_18offset_tEEE10hipError_tPvRmT1_PNSt15iterator_traitsISZ_E10value_typeET2_T3_PNS10_IS15_E10value_typeET4_jRbjT5_S1B_jjP12ihipStream_tbEUljE_EEESW_SX_SY_S15_S19_S1B_T6_T7_T9_mT8_S1D_bDpT10_ENKUlT_T0_E_clISt17integral_constantIbLb0EES1P_IbLb1EEEEDaS1L_S1M_EUlS1L_E_NS1_11comp_targetILNS1_3genE4ELNS1_11target_archE910ELNS1_3gpuE8ELNS1_3repE0EEENS1_30default_config_static_selectorELNS0_4arch9wavefront6targetE0EEEvSZ_.has_dyn_sized_stack, 0
	.set _ZN7rocprim17ROCPRIM_400000_NS6detail17trampoline_kernelINS0_13select_configILj256ELj13ELNS0_17block_load_methodE3ELS4_3ELS4_3ELNS0_20block_scan_algorithmE0ELj4294967295EEENS1_25partition_config_selectorILNS1_17partition_subalgoE3EjNS0_10empty_typeEbEEZZNS1_14partition_implILS8_3ELb0ES6_jNS0_17counting_iteratorIjlEEPS9_SE_NS0_5tupleIJPjSE_EEENSF_IJSE_SE_EEES9_SG_JZNS1_25segmented_radix_sort_implINS0_14default_configELb0EPK12hip_bfloat16PSL_PKlPlN2at6native12_GLOBAL__N_18offset_tEEE10hipError_tPvRmT1_PNSt15iterator_traitsISZ_E10value_typeET2_T3_PNS10_IS15_E10value_typeET4_jRbjT5_S1B_jjP12ihipStream_tbEUljE_EEESW_SX_SY_S15_S19_S1B_T6_T7_T9_mT8_S1D_bDpT10_ENKUlT_T0_E_clISt17integral_constantIbLb0EES1P_IbLb1EEEEDaS1L_S1M_EUlS1L_E_NS1_11comp_targetILNS1_3genE4ELNS1_11target_archE910ELNS1_3gpuE8ELNS1_3repE0EEENS1_30default_config_static_selectorELNS0_4arch9wavefront6targetE0EEEvSZ_.has_recursion, 0
	.set _ZN7rocprim17ROCPRIM_400000_NS6detail17trampoline_kernelINS0_13select_configILj256ELj13ELNS0_17block_load_methodE3ELS4_3ELS4_3ELNS0_20block_scan_algorithmE0ELj4294967295EEENS1_25partition_config_selectorILNS1_17partition_subalgoE3EjNS0_10empty_typeEbEEZZNS1_14partition_implILS8_3ELb0ES6_jNS0_17counting_iteratorIjlEEPS9_SE_NS0_5tupleIJPjSE_EEENSF_IJSE_SE_EEES9_SG_JZNS1_25segmented_radix_sort_implINS0_14default_configELb0EPK12hip_bfloat16PSL_PKlPlN2at6native12_GLOBAL__N_18offset_tEEE10hipError_tPvRmT1_PNSt15iterator_traitsISZ_E10value_typeET2_T3_PNS10_IS15_E10value_typeET4_jRbjT5_S1B_jjP12ihipStream_tbEUljE_EEESW_SX_SY_S15_S19_S1B_T6_T7_T9_mT8_S1D_bDpT10_ENKUlT_T0_E_clISt17integral_constantIbLb0EES1P_IbLb1EEEEDaS1L_S1M_EUlS1L_E_NS1_11comp_targetILNS1_3genE4ELNS1_11target_archE910ELNS1_3gpuE8ELNS1_3repE0EEENS1_30default_config_static_selectorELNS0_4arch9wavefront6targetE0EEEvSZ_.has_indirect_call, 0
	.section	.AMDGPU.csdata,"",@progbits
; Kernel info:
; codeLenInByte = 0
; TotalNumSgprs: 0
; NumVgprs: 0
; ScratchSize: 0
; MemoryBound: 0
; FloatMode: 240
; IeeeMode: 1
; LDSByteSize: 0 bytes/workgroup (compile time only)
; SGPRBlocks: 0
; VGPRBlocks: 0
; NumSGPRsForWavesPerEU: 1
; NumVGPRsForWavesPerEU: 1
; Occupancy: 16
; WaveLimiterHint : 0
; COMPUTE_PGM_RSRC2:SCRATCH_EN: 0
; COMPUTE_PGM_RSRC2:USER_SGPR: 6
; COMPUTE_PGM_RSRC2:TRAP_HANDLER: 0
; COMPUTE_PGM_RSRC2:TGID_X_EN: 1
; COMPUTE_PGM_RSRC2:TGID_Y_EN: 0
; COMPUTE_PGM_RSRC2:TGID_Z_EN: 0
; COMPUTE_PGM_RSRC2:TIDIG_COMP_CNT: 0
	.section	.text._ZN7rocprim17ROCPRIM_400000_NS6detail17trampoline_kernelINS0_13select_configILj256ELj13ELNS0_17block_load_methodE3ELS4_3ELS4_3ELNS0_20block_scan_algorithmE0ELj4294967295EEENS1_25partition_config_selectorILNS1_17partition_subalgoE3EjNS0_10empty_typeEbEEZZNS1_14partition_implILS8_3ELb0ES6_jNS0_17counting_iteratorIjlEEPS9_SE_NS0_5tupleIJPjSE_EEENSF_IJSE_SE_EEES9_SG_JZNS1_25segmented_radix_sort_implINS0_14default_configELb0EPK12hip_bfloat16PSL_PKlPlN2at6native12_GLOBAL__N_18offset_tEEE10hipError_tPvRmT1_PNSt15iterator_traitsISZ_E10value_typeET2_T3_PNS10_IS15_E10value_typeET4_jRbjT5_S1B_jjP12ihipStream_tbEUljE_EEESW_SX_SY_S15_S19_S1B_T6_T7_T9_mT8_S1D_bDpT10_ENKUlT_T0_E_clISt17integral_constantIbLb0EES1P_IbLb1EEEEDaS1L_S1M_EUlS1L_E_NS1_11comp_targetILNS1_3genE3ELNS1_11target_archE908ELNS1_3gpuE7ELNS1_3repE0EEENS1_30default_config_static_selectorELNS0_4arch9wavefront6targetE0EEEvSZ_,"axG",@progbits,_ZN7rocprim17ROCPRIM_400000_NS6detail17trampoline_kernelINS0_13select_configILj256ELj13ELNS0_17block_load_methodE3ELS4_3ELS4_3ELNS0_20block_scan_algorithmE0ELj4294967295EEENS1_25partition_config_selectorILNS1_17partition_subalgoE3EjNS0_10empty_typeEbEEZZNS1_14partition_implILS8_3ELb0ES6_jNS0_17counting_iteratorIjlEEPS9_SE_NS0_5tupleIJPjSE_EEENSF_IJSE_SE_EEES9_SG_JZNS1_25segmented_radix_sort_implINS0_14default_configELb0EPK12hip_bfloat16PSL_PKlPlN2at6native12_GLOBAL__N_18offset_tEEE10hipError_tPvRmT1_PNSt15iterator_traitsISZ_E10value_typeET2_T3_PNS10_IS15_E10value_typeET4_jRbjT5_S1B_jjP12ihipStream_tbEUljE_EEESW_SX_SY_S15_S19_S1B_T6_T7_T9_mT8_S1D_bDpT10_ENKUlT_T0_E_clISt17integral_constantIbLb0EES1P_IbLb1EEEEDaS1L_S1M_EUlS1L_E_NS1_11comp_targetILNS1_3genE3ELNS1_11target_archE908ELNS1_3gpuE7ELNS1_3repE0EEENS1_30default_config_static_selectorELNS0_4arch9wavefront6targetE0EEEvSZ_,comdat
	.globl	_ZN7rocprim17ROCPRIM_400000_NS6detail17trampoline_kernelINS0_13select_configILj256ELj13ELNS0_17block_load_methodE3ELS4_3ELS4_3ELNS0_20block_scan_algorithmE0ELj4294967295EEENS1_25partition_config_selectorILNS1_17partition_subalgoE3EjNS0_10empty_typeEbEEZZNS1_14partition_implILS8_3ELb0ES6_jNS0_17counting_iteratorIjlEEPS9_SE_NS0_5tupleIJPjSE_EEENSF_IJSE_SE_EEES9_SG_JZNS1_25segmented_radix_sort_implINS0_14default_configELb0EPK12hip_bfloat16PSL_PKlPlN2at6native12_GLOBAL__N_18offset_tEEE10hipError_tPvRmT1_PNSt15iterator_traitsISZ_E10value_typeET2_T3_PNS10_IS15_E10value_typeET4_jRbjT5_S1B_jjP12ihipStream_tbEUljE_EEESW_SX_SY_S15_S19_S1B_T6_T7_T9_mT8_S1D_bDpT10_ENKUlT_T0_E_clISt17integral_constantIbLb0EES1P_IbLb1EEEEDaS1L_S1M_EUlS1L_E_NS1_11comp_targetILNS1_3genE3ELNS1_11target_archE908ELNS1_3gpuE7ELNS1_3repE0EEENS1_30default_config_static_selectorELNS0_4arch9wavefront6targetE0EEEvSZ_ ; -- Begin function _ZN7rocprim17ROCPRIM_400000_NS6detail17trampoline_kernelINS0_13select_configILj256ELj13ELNS0_17block_load_methodE3ELS4_3ELS4_3ELNS0_20block_scan_algorithmE0ELj4294967295EEENS1_25partition_config_selectorILNS1_17partition_subalgoE3EjNS0_10empty_typeEbEEZZNS1_14partition_implILS8_3ELb0ES6_jNS0_17counting_iteratorIjlEEPS9_SE_NS0_5tupleIJPjSE_EEENSF_IJSE_SE_EEES9_SG_JZNS1_25segmented_radix_sort_implINS0_14default_configELb0EPK12hip_bfloat16PSL_PKlPlN2at6native12_GLOBAL__N_18offset_tEEE10hipError_tPvRmT1_PNSt15iterator_traitsISZ_E10value_typeET2_T3_PNS10_IS15_E10value_typeET4_jRbjT5_S1B_jjP12ihipStream_tbEUljE_EEESW_SX_SY_S15_S19_S1B_T6_T7_T9_mT8_S1D_bDpT10_ENKUlT_T0_E_clISt17integral_constantIbLb0EES1P_IbLb1EEEEDaS1L_S1M_EUlS1L_E_NS1_11comp_targetILNS1_3genE3ELNS1_11target_archE908ELNS1_3gpuE7ELNS1_3repE0EEENS1_30default_config_static_selectorELNS0_4arch9wavefront6targetE0EEEvSZ_
	.p2align	8
	.type	_ZN7rocprim17ROCPRIM_400000_NS6detail17trampoline_kernelINS0_13select_configILj256ELj13ELNS0_17block_load_methodE3ELS4_3ELS4_3ELNS0_20block_scan_algorithmE0ELj4294967295EEENS1_25partition_config_selectorILNS1_17partition_subalgoE3EjNS0_10empty_typeEbEEZZNS1_14partition_implILS8_3ELb0ES6_jNS0_17counting_iteratorIjlEEPS9_SE_NS0_5tupleIJPjSE_EEENSF_IJSE_SE_EEES9_SG_JZNS1_25segmented_radix_sort_implINS0_14default_configELb0EPK12hip_bfloat16PSL_PKlPlN2at6native12_GLOBAL__N_18offset_tEEE10hipError_tPvRmT1_PNSt15iterator_traitsISZ_E10value_typeET2_T3_PNS10_IS15_E10value_typeET4_jRbjT5_S1B_jjP12ihipStream_tbEUljE_EEESW_SX_SY_S15_S19_S1B_T6_T7_T9_mT8_S1D_bDpT10_ENKUlT_T0_E_clISt17integral_constantIbLb0EES1P_IbLb1EEEEDaS1L_S1M_EUlS1L_E_NS1_11comp_targetILNS1_3genE3ELNS1_11target_archE908ELNS1_3gpuE7ELNS1_3repE0EEENS1_30default_config_static_selectorELNS0_4arch9wavefront6targetE0EEEvSZ_,@function
_ZN7rocprim17ROCPRIM_400000_NS6detail17trampoline_kernelINS0_13select_configILj256ELj13ELNS0_17block_load_methodE3ELS4_3ELS4_3ELNS0_20block_scan_algorithmE0ELj4294967295EEENS1_25partition_config_selectorILNS1_17partition_subalgoE3EjNS0_10empty_typeEbEEZZNS1_14partition_implILS8_3ELb0ES6_jNS0_17counting_iteratorIjlEEPS9_SE_NS0_5tupleIJPjSE_EEENSF_IJSE_SE_EEES9_SG_JZNS1_25segmented_radix_sort_implINS0_14default_configELb0EPK12hip_bfloat16PSL_PKlPlN2at6native12_GLOBAL__N_18offset_tEEE10hipError_tPvRmT1_PNSt15iterator_traitsISZ_E10value_typeET2_T3_PNS10_IS15_E10value_typeET4_jRbjT5_S1B_jjP12ihipStream_tbEUljE_EEESW_SX_SY_S15_S19_S1B_T6_T7_T9_mT8_S1D_bDpT10_ENKUlT_T0_E_clISt17integral_constantIbLb0EES1P_IbLb1EEEEDaS1L_S1M_EUlS1L_E_NS1_11comp_targetILNS1_3genE3ELNS1_11target_archE908ELNS1_3gpuE7ELNS1_3repE0EEENS1_30default_config_static_selectorELNS0_4arch9wavefront6targetE0EEEvSZ_: ; @_ZN7rocprim17ROCPRIM_400000_NS6detail17trampoline_kernelINS0_13select_configILj256ELj13ELNS0_17block_load_methodE3ELS4_3ELS4_3ELNS0_20block_scan_algorithmE0ELj4294967295EEENS1_25partition_config_selectorILNS1_17partition_subalgoE3EjNS0_10empty_typeEbEEZZNS1_14partition_implILS8_3ELb0ES6_jNS0_17counting_iteratorIjlEEPS9_SE_NS0_5tupleIJPjSE_EEENSF_IJSE_SE_EEES9_SG_JZNS1_25segmented_radix_sort_implINS0_14default_configELb0EPK12hip_bfloat16PSL_PKlPlN2at6native12_GLOBAL__N_18offset_tEEE10hipError_tPvRmT1_PNSt15iterator_traitsISZ_E10value_typeET2_T3_PNS10_IS15_E10value_typeET4_jRbjT5_S1B_jjP12ihipStream_tbEUljE_EEESW_SX_SY_S15_S19_S1B_T6_T7_T9_mT8_S1D_bDpT10_ENKUlT_T0_E_clISt17integral_constantIbLb0EES1P_IbLb1EEEEDaS1L_S1M_EUlS1L_E_NS1_11comp_targetILNS1_3genE3ELNS1_11target_archE908ELNS1_3gpuE7ELNS1_3repE0EEENS1_30default_config_static_selectorELNS0_4arch9wavefront6targetE0EEEvSZ_
; %bb.0:
	.section	.rodata,"a",@progbits
	.p2align	6, 0x0
	.amdhsa_kernel _ZN7rocprim17ROCPRIM_400000_NS6detail17trampoline_kernelINS0_13select_configILj256ELj13ELNS0_17block_load_methodE3ELS4_3ELS4_3ELNS0_20block_scan_algorithmE0ELj4294967295EEENS1_25partition_config_selectorILNS1_17partition_subalgoE3EjNS0_10empty_typeEbEEZZNS1_14partition_implILS8_3ELb0ES6_jNS0_17counting_iteratorIjlEEPS9_SE_NS0_5tupleIJPjSE_EEENSF_IJSE_SE_EEES9_SG_JZNS1_25segmented_radix_sort_implINS0_14default_configELb0EPK12hip_bfloat16PSL_PKlPlN2at6native12_GLOBAL__N_18offset_tEEE10hipError_tPvRmT1_PNSt15iterator_traitsISZ_E10value_typeET2_T3_PNS10_IS15_E10value_typeET4_jRbjT5_S1B_jjP12ihipStream_tbEUljE_EEESW_SX_SY_S15_S19_S1B_T6_T7_T9_mT8_S1D_bDpT10_ENKUlT_T0_E_clISt17integral_constantIbLb0EES1P_IbLb1EEEEDaS1L_S1M_EUlS1L_E_NS1_11comp_targetILNS1_3genE3ELNS1_11target_archE908ELNS1_3gpuE7ELNS1_3repE0EEENS1_30default_config_static_selectorELNS0_4arch9wavefront6targetE0EEEvSZ_
		.amdhsa_group_segment_fixed_size 0
		.amdhsa_private_segment_fixed_size 0
		.amdhsa_kernarg_size 152
		.amdhsa_user_sgpr_count 6
		.amdhsa_user_sgpr_private_segment_buffer 1
		.amdhsa_user_sgpr_dispatch_ptr 0
		.amdhsa_user_sgpr_queue_ptr 0
		.amdhsa_user_sgpr_kernarg_segment_ptr 1
		.amdhsa_user_sgpr_dispatch_id 0
		.amdhsa_user_sgpr_flat_scratch_init 0
		.amdhsa_user_sgpr_private_segment_size 0
		.amdhsa_wavefront_size32 1
		.amdhsa_uses_dynamic_stack 0
		.amdhsa_system_sgpr_private_segment_wavefront_offset 0
		.amdhsa_system_sgpr_workgroup_id_x 1
		.amdhsa_system_sgpr_workgroup_id_y 0
		.amdhsa_system_sgpr_workgroup_id_z 0
		.amdhsa_system_sgpr_workgroup_info 0
		.amdhsa_system_vgpr_workitem_id 0
		.amdhsa_next_free_vgpr 1
		.amdhsa_next_free_sgpr 1
		.amdhsa_reserve_vcc 0
		.amdhsa_reserve_flat_scratch 0
		.amdhsa_float_round_mode_32 0
		.amdhsa_float_round_mode_16_64 0
		.amdhsa_float_denorm_mode_32 3
		.amdhsa_float_denorm_mode_16_64 3
		.amdhsa_dx10_clamp 1
		.amdhsa_ieee_mode 1
		.amdhsa_fp16_overflow 0
		.amdhsa_workgroup_processor_mode 1
		.amdhsa_memory_ordered 1
		.amdhsa_forward_progress 1
		.amdhsa_shared_vgpr_count 0
		.amdhsa_exception_fp_ieee_invalid_op 0
		.amdhsa_exception_fp_denorm_src 0
		.amdhsa_exception_fp_ieee_div_zero 0
		.amdhsa_exception_fp_ieee_overflow 0
		.amdhsa_exception_fp_ieee_underflow 0
		.amdhsa_exception_fp_ieee_inexact 0
		.amdhsa_exception_int_div_zero 0
	.end_amdhsa_kernel
	.section	.text._ZN7rocprim17ROCPRIM_400000_NS6detail17trampoline_kernelINS0_13select_configILj256ELj13ELNS0_17block_load_methodE3ELS4_3ELS4_3ELNS0_20block_scan_algorithmE0ELj4294967295EEENS1_25partition_config_selectorILNS1_17partition_subalgoE3EjNS0_10empty_typeEbEEZZNS1_14partition_implILS8_3ELb0ES6_jNS0_17counting_iteratorIjlEEPS9_SE_NS0_5tupleIJPjSE_EEENSF_IJSE_SE_EEES9_SG_JZNS1_25segmented_radix_sort_implINS0_14default_configELb0EPK12hip_bfloat16PSL_PKlPlN2at6native12_GLOBAL__N_18offset_tEEE10hipError_tPvRmT1_PNSt15iterator_traitsISZ_E10value_typeET2_T3_PNS10_IS15_E10value_typeET4_jRbjT5_S1B_jjP12ihipStream_tbEUljE_EEESW_SX_SY_S15_S19_S1B_T6_T7_T9_mT8_S1D_bDpT10_ENKUlT_T0_E_clISt17integral_constantIbLb0EES1P_IbLb1EEEEDaS1L_S1M_EUlS1L_E_NS1_11comp_targetILNS1_3genE3ELNS1_11target_archE908ELNS1_3gpuE7ELNS1_3repE0EEENS1_30default_config_static_selectorELNS0_4arch9wavefront6targetE0EEEvSZ_,"axG",@progbits,_ZN7rocprim17ROCPRIM_400000_NS6detail17trampoline_kernelINS0_13select_configILj256ELj13ELNS0_17block_load_methodE3ELS4_3ELS4_3ELNS0_20block_scan_algorithmE0ELj4294967295EEENS1_25partition_config_selectorILNS1_17partition_subalgoE3EjNS0_10empty_typeEbEEZZNS1_14partition_implILS8_3ELb0ES6_jNS0_17counting_iteratorIjlEEPS9_SE_NS0_5tupleIJPjSE_EEENSF_IJSE_SE_EEES9_SG_JZNS1_25segmented_radix_sort_implINS0_14default_configELb0EPK12hip_bfloat16PSL_PKlPlN2at6native12_GLOBAL__N_18offset_tEEE10hipError_tPvRmT1_PNSt15iterator_traitsISZ_E10value_typeET2_T3_PNS10_IS15_E10value_typeET4_jRbjT5_S1B_jjP12ihipStream_tbEUljE_EEESW_SX_SY_S15_S19_S1B_T6_T7_T9_mT8_S1D_bDpT10_ENKUlT_T0_E_clISt17integral_constantIbLb0EES1P_IbLb1EEEEDaS1L_S1M_EUlS1L_E_NS1_11comp_targetILNS1_3genE3ELNS1_11target_archE908ELNS1_3gpuE7ELNS1_3repE0EEENS1_30default_config_static_selectorELNS0_4arch9wavefront6targetE0EEEvSZ_,comdat
.Lfunc_end2034:
	.size	_ZN7rocprim17ROCPRIM_400000_NS6detail17trampoline_kernelINS0_13select_configILj256ELj13ELNS0_17block_load_methodE3ELS4_3ELS4_3ELNS0_20block_scan_algorithmE0ELj4294967295EEENS1_25partition_config_selectorILNS1_17partition_subalgoE3EjNS0_10empty_typeEbEEZZNS1_14partition_implILS8_3ELb0ES6_jNS0_17counting_iteratorIjlEEPS9_SE_NS0_5tupleIJPjSE_EEENSF_IJSE_SE_EEES9_SG_JZNS1_25segmented_radix_sort_implINS0_14default_configELb0EPK12hip_bfloat16PSL_PKlPlN2at6native12_GLOBAL__N_18offset_tEEE10hipError_tPvRmT1_PNSt15iterator_traitsISZ_E10value_typeET2_T3_PNS10_IS15_E10value_typeET4_jRbjT5_S1B_jjP12ihipStream_tbEUljE_EEESW_SX_SY_S15_S19_S1B_T6_T7_T9_mT8_S1D_bDpT10_ENKUlT_T0_E_clISt17integral_constantIbLb0EES1P_IbLb1EEEEDaS1L_S1M_EUlS1L_E_NS1_11comp_targetILNS1_3genE3ELNS1_11target_archE908ELNS1_3gpuE7ELNS1_3repE0EEENS1_30default_config_static_selectorELNS0_4arch9wavefront6targetE0EEEvSZ_, .Lfunc_end2034-_ZN7rocprim17ROCPRIM_400000_NS6detail17trampoline_kernelINS0_13select_configILj256ELj13ELNS0_17block_load_methodE3ELS4_3ELS4_3ELNS0_20block_scan_algorithmE0ELj4294967295EEENS1_25partition_config_selectorILNS1_17partition_subalgoE3EjNS0_10empty_typeEbEEZZNS1_14partition_implILS8_3ELb0ES6_jNS0_17counting_iteratorIjlEEPS9_SE_NS0_5tupleIJPjSE_EEENSF_IJSE_SE_EEES9_SG_JZNS1_25segmented_radix_sort_implINS0_14default_configELb0EPK12hip_bfloat16PSL_PKlPlN2at6native12_GLOBAL__N_18offset_tEEE10hipError_tPvRmT1_PNSt15iterator_traitsISZ_E10value_typeET2_T3_PNS10_IS15_E10value_typeET4_jRbjT5_S1B_jjP12ihipStream_tbEUljE_EEESW_SX_SY_S15_S19_S1B_T6_T7_T9_mT8_S1D_bDpT10_ENKUlT_T0_E_clISt17integral_constantIbLb0EES1P_IbLb1EEEEDaS1L_S1M_EUlS1L_E_NS1_11comp_targetILNS1_3genE3ELNS1_11target_archE908ELNS1_3gpuE7ELNS1_3repE0EEENS1_30default_config_static_selectorELNS0_4arch9wavefront6targetE0EEEvSZ_
                                        ; -- End function
	.set _ZN7rocprim17ROCPRIM_400000_NS6detail17trampoline_kernelINS0_13select_configILj256ELj13ELNS0_17block_load_methodE3ELS4_3ELS4_3ELNS0_20block_scan_algorithmE0ELj4294967295EEENS1_25partition_config_selectorILNS1_17partition_subalgoE3EjNS0_10empty_typeEbEEZZNS1_14partition_implILS8_3ELb0ES6_jNS0_17counting_iteratorIjlEEPS9_SE_NS0_5tupleIJPjSE_EEENSF_IJSE_SE_EEES9_SG_JZNS1_25segmented_radix_sort_implINS0_14default_configELb0EPK12hip_bfloat16PSL_PKlPlN2at6native12_GLOBAL__N_18offset_tEEE10hipError_tPvRmT1_PNSt15iterator_traitsISZ_E10value_typeET2_T3_PNS10_IS15_E10value_typeET4_jRbjT5_S1B_jjP12ihipStream_tbEUljE_EEESW_SX_SY_S15_S19_S1B_T6_T7_T9_mT8_S1D_bDpT10_ENKUlT_T0_E_clISt17integral_constantIbLb0EES1P_IbLb1EEEEDaS1L_S1M_EUlS1L_E_NS1_11comp_targetILNS1_3genE3ELNS1_11target_archE908ELNS1_3gpuE7ELNS1_3repE0EEENS1_30default_config_static_selectorELNS0_4arch9wavefront6targetE0EEEvSZ_.num_vgpr, 0
	.set _ZN7rocprim17ROCPRIM_400000_NS6detail17trampoline_kernelINS0_13select_configILj256ELj13ELNS0_17block_load_methodE3ELS4_3ELS4_3ELNS0_20block_scan_algorithmE0ELj4294967295EEENS1_25partition_config_selectorILNS1_17partition_subalgoE3EjNS0_10empty_typeEbEEZZNS1_14partition_implILS8_3ELb0ES6_jNS0_17counting_iteratorIjlEEPS9_SE_NS0_5tupleIJPjSE_EEENSF_IJSE_SE_EEES9_SG_JZNS1_25segmented_radix_sort_implINS0_14default_configELb0EPK12hip_bfloat16PSL_PKlPlN2at6native12_GLOBAL__N_18offset_tEEE10hipError_tPvRmT1_PNSt15iterator_traitsISZ_E10value_typeET2_T3_PNS10_IS15_E10value_typeET4_jRbjT5_S1B_jjP12ihipStream_tbEUljE_EEESW_SX_SY_S15_S19_S1B_T6_T7_T9_mT8_S1D_bDpT10_ENKUlT_T0_E_clISt17integral_constantIbLb0EES1P_IbLb1EEEEDaS1L_S1M_EUlS1L_E_NS1_11comp_targetILNS1_3genE3ELNS1_11target_archE908ELNS1_3gpuE7ELNS1_3repE0EEENS1_30default_config_static_selectorELNS0_4arch9wavefront6targetE0EEEvSZ_.num_agpr, 0
	.set _ZN7rocprim17ROCPRIM_400000_NS6detail17trampoline_kernelINS0_13select_configILj256ELj13ELNS0_17block_load_methodE3ELS4_3ELS4_3ELNS0_20block_scan_algorithmE0ELj4294967295EEENS1_25partition_config_selectorILNS1_17partition_subalgoE3EjNS0_10empty_typeEbEEZZNS1_14partition_implILS8_3ELb0ES6_jNS0_17counting_iteratorIjlEEPS9_SE_NS0_5tupleIJPjSE_EEENSF_IJSE_SE_EEES9_SG_JZNS1_25segmented_radix_sort_implINS0_14default_configELb0EPK12hip_bfloat16PSL_PKlPlN2at6native12_GLOBAL__N_18offset_tEEE10hipError_tPvRmT1_PNSt15iterator_traitsISZ_E10value_typeET2_T3_PNS10_IS15_E10value_typeET4_jRbjT5_S1B_jjP12ihipStream_tbEUljE_EEESW_SX_SY_S15_S19_S1B_T6_T7_T9_mT8_S1D_bDpT10_ENKUlT_T0_E_clISt17integral_constantIbLb0EES1P_IbLb1EEEEDaS1L_S1M_EUlS1L_E_NS1_11comp_targetILNS1_3genE3ELNS1_11target_archE908ELNS1_3gpuE7ELNS1_3repE0EEENS1_30default_config_static_selectorELNS0_4arch9wavefront6targetE0EEEvSZ_.numbered_sgpr, 0
	.set _ZN7rocprim17ROCPRIM_400000_NS6detail17trampoline_kernelINS0_13select_configILj256ELj13ELNS0_17block_load_methodE3ELS4_3ELS4_3ELNS0_20block_scan_algorithmE0ELj4294967295EEENS1_25partition_config_selectorILNS1_17partition_subalgoE3EjNS0_10empty_typeEbEEZZNS1_14partition_implILS8_3ELb0ES6_jNS0_17counting_iteratorIjlEEPS9_SE_NS0_5tupleIJPjSE_EEENSF_IJSE_SE_EEES9_SG_JZNS1_25segmented_radix_sort_implINS0_14default_configELb0EPK12hip_bfloat16PSL_PKlPlN2at6native12_GLOBAL__N_18offset_tEEE10hipError_tPvRmT1_PNSt15iterator_traitsISZ_E10value_typeET2_T3_PNS10_IS15_E10value_typeET4_jRbjT5_S1B_jjP12ihipStream_tbEUljE_EEESW_SX_SY_S15_S19_S1B_T6_T7_T9_mT8_S1D_bDpT10_ENKUlT_T0_E_clISt17integral_constantIbLb0EES1P_IbLb1EEEEDaS1L_S1M_EUlS1L_E_NS1_11comp_targetILNS1_3genE3ELNS1_11target_archE908ELNS1_3gpuE7ELNS1_3repE0EEENS1_30default_config_static_selectorELNS0_4arch9wavefront6targetE0EEEvSZ_.num_named_barrier, 0
	.set _ZN7rocprim17ROCPRIM_400000_NS6detail17trampoline_kernelINS0_13select_configILj256ELj13ELNS0_17block_load_methodE3ELS4_3ELS4_3ELNS0_20block_scan_algorithmE0ELj4294967295EEENS1_25partition_config_selectorILNS1_17partition_subalgoE3EjNS0_10empty_typeEbEEZZNS1_14partition_implILS8_3ELb0ES6_jNS0_17counting_iteratorIjlEEPS9_SE_NS0_5tupleIJPjSE_EEENSF_IJSE_SE_EEES9_SG_JZNS1_25segmented_radix_sort_implINS0_14default_configELb0EPK12hip_bfloat16PSL_PKlPlN2at6native12_GLOBAL__N_18offset_tEEE10hipError_tPvRmT1_PNSt15iterator_traitsISZ_E10value_typeET2_T3_PNS10_IS15_E10value_typeET4_jRbjT5_S1B_jjP12ihipStream_tbEUljE_EEESW_SX_SY_S15_S19_S1B_T6_T7_T9_mT8_S1D_bDpT10_ENKUlT_T0_E_clISt17integral_constantIbLb0EES1P_IbLb1EEEEDaS1L_S1M_EUlS1L_E_NS1_11comp_targetILNS1_3genE3ELNS1_11target_archE908ELNS1_3gpuE7ELNS1_3repE0EEENS1_30default_config_static_selectorELNS0_4arch9wavefront6targetE0EEEvSZ_.private_seg_size, 0
	.set _ZN7rocprim17ROCPRIM_400000_NS6detail17trampoline_kernelINS0_13select_configILj256ELj13ELNS0_17block_load_methodE3ELS4_3ELS4_3ELNS0_20block_scan_algorithmE0ELj4294967295EEENS1_25partition_config_selectorILNS1_17partition_subalgoE3EjNS0_10empty_typeEbEEZZNS1_14partition_implILS8_3ELb0ES6_jNS0_17counting_iteratorIjlEEPS9_SE_NS0_5tupleIJPjSE_EEENSF_IJSE_SE_EEES9_SG_JZNS1_25segmented_radix_sort_implINS0_14default_configELb0EPK12hip_bfloat16PSL_PKlPlN2at6native12_GLOBAL__N_18offset_tEEE10hipError_tPvRmT1_PNSt15iterator_traitsISZ_E10value_typeET2_T3_PNS10_IS15_E10value_typeET4_jRbjT5_S1B_jjP12ihipStream_tbEUljE_EEESW_SX_SY_S15_S19_S1B_T6_T7_T9_mT8_S1D_bDpT10_ENKUlT_T0_E_clISt17integral_constantIbLb0EES1P_IbLb1EEEEDaS1L_S1M_EUlS1L_E_NS1_11comp_targetILNS1_3genE3ELNS1_11target_archE908ELNS1_3gpuE7ELNS1_3repE0EEENS1_30default_config_static_selectorELNS0_4arch9wavefront6targetE0EEEvSZ_.uses_vcc, 0
	.set _ZN7rocprim17ROCPRIM_400000_NS6detail17trampoline_kernelINS0_13select_configILj256ELj13ELNS0_17block_load_methodE3ELS4_3ELS4_3ELNS0_20block_scan_algorithmE0ELj4294967295EEENS1_25partition_config_selectorILNS1_17partition_subalgoE3EjNS0_10empty_typeEbEEZZNS1_14partition_implILS8_3ELb0ES6_jNS0_17counting_iteratorIjlEEPS9_SE_NS0_5tupleIJPjSE_EEENSF_IJSE_SE_EEES9_SG_JZNS1_25segmented_radix_sort_implINS0_14default_configELb0EPK12hip_bfloat16PSL_PKlPlN2at6native12_GLOBAL__N_18offset_tEEE10hipError_tPvRmT1_PNSt15iterator_traitsISZ_E10value_typeET2_T3_PNS10_IS15_E10value_typeET4_jRbjT5_S1B_jjP12ihipStream_tbEUljE_EEESW_SX_SY_S15_S19_S1B_T6_T7_T9_mT8_S1D_bDpT10_ENKUlT_T0_E_clISt17integral_constantIbLb0EES1P_IbLb1EEEEDaS1L_S1M_EUlS1L_E_NS1_11comp_targetILNS1_3genE3ELNS1_11target_archE908ELNS1_3gpuE7ELNS1_3repE0EEENS1_30default_config_static_selectorELNS0_4arch9wavefront6targetE0EEEvSZ_.uses_flat_scratch, 0
	.set _ZN7rocprim17ROCPRIM_400000_NS6detail17trampoline_kernelINS0_13select_configILj256ELj13ELNS0_17block_load_methodE3ELS4_3ELS4_3ELNS0_20block_scan_algorithmE0ELj4294967295EEENS1_25partition_config_selectorILNS1_17partition_subalgoE3EjNS0_10empty_typeEbEEZZNS1_14partition_implILS8_3ELb0ES6_jNS0_17counting_iteratorIjlEEPS9_SE_NS0_5tupleIJPjSE_EEENSF_IJSE_SE_EEES9_SG_JZNS1_25segmented_radix_sort_implINS0_14default_configELb0EPK12hip_bfloat16PSL_PKlPlN2at6native12_GLOBAL__N_18offset_tEEE10hipError_tPvRmT1_PNSt15iterator_traitsISZ_E10value_typeET2_T3_PNS10_IS15_E10value_typeET4_jRbjT5_S1B_jjP12ihipStream_tbEUljE_EEESW_SX_SY_S15_S19_S1B_T6_T7_T9_mT8_S1D_bDpT10_ENKUlT_T0_E_clISt17integral_constantIbLb0EES1P_IbLb1EEEEDaS1L_S1M_EUlS1L_E_NS1_11comp_targetILNS1_3genE3ELNS1_11target_archE908ELNS1_3gpuE7ELNS1_3repE0EEENS1_30default_config_static_selectorELNS0_4arch9wavefront6targetE0EEEvSZ_.has_dyn_sized_stack, 0
	.set _ZN7rocprim17ROCPRIM_400000_NS6detail17trampoline_kernelINS0_13select_configILj256ELj13ELNS0_17block_load_methodE3ELS4_3ELS4_3ELNS0_20block_scan_algorithmE0ELj4294967295EEENS1_25partition_config_selectorILNS1_17partition_subalgoE3EjNS0_10empty_typeEbEEZZNS1_14partition_implILS8_3ELb0ES6_jNS0_17counting_iteratorIjlEEPS9_SE_NS0_5tupleIJPjSE_EEENSF_IJSE_SE_EEES9_SG_JZNS1_25segmented_radix_sort_implINS0_14default_configELb0EPK12hip_bfloat16PSL_PKlPlN2at6native12_GLOBAL__N_18offset_tEEE10hipError_tPvRmT1_PNSt15iterator_traitsISZ_E10value_typeET2_T3_PNS10_IS15_E10value_typeET4_jRbjT5_S1B_jjP12ihipStream_tbEUljE_EEESW_SX_SY_S15_S19_S1B_T6_T7_T9_mT8_S1D_bDpT10_ENKUlT_T0_E_clISt17integral_constantIbLb0EES1P_IbLb1EEEEDaS1L_S1M_EUlS1L_E_NS1_11comp_targetILNS1_3genE3ELNS1_11target_archE908ELNS1_3gpuE7ELNS1_3repE0EEENS1_30default_config_static_selectorELNS0_4arch9wavefront6targetE0EEEvSZ_.has_recursion, 0
	.set _ZN7rocprim17ROCPRIM_400000_NS6detail17trampoline_kernelINS0_13select_configILj256ELj13ELNS0_17block_load_methodE3ELS4_3ELS4_3ELNS0_20block_scan_algorithmE0ELj4294967295EEENS1_25partition_config_selectorILNS1_17partition_subalgoE3EjNS0_10empty_typeEbEEZZNS1_14partition_implILS8_3ELb0ES6_jNS0_17counting_iteratorIjlEEPS9_SE_NS0_5tupleIJPjSE_EEENSF_IJSE_SE_EEES9_SG_JZNS1_25segmented_radix_sort_implINS0_14default_configELb0EPK12hip_bfloat16PSL_PKlPlN2at6native12_GLOBAL__N_18offset_tEEE10hipError_tPvRmT1_PNSt15iterator_traitsISZ_E10value_typeET2_T3_PNS10_IS15_E10value_typeET4_jRbjT5_S1B_jjP12ihipStream_tbEUljE_EEESW_SX_SY_S15_S19_S1B_T6_T7_T9_mT8_S1D_bDpT10_ENKUlT_T0_E_clISt17integral_constantIbLb0EES1P_IbLb1EEEEDaS1L_S1M_EUlS1L_E_NS1_11comp_targetILNS1_3genE3ELNS1_11target_archE908ELNS1_3gpuE7ELNS1_3repE0EEENS1_30default_config_static_selectorELNS0_4arch9wavefront6targetE0EEEvSZ_.has_indirect_call, 0
	.section	.AMDGPU.csdata,"",@progbits
; Kernel info:
; codeLenInByte = 0
; TotalNumSgprs: 0
; NumVgprs: 0
; ScratchSize: 0
; MemoryBound: 0
; FloatMode: 240
; IeeeMode: 1
; LDSByteSize: 0 bytes/workgroup (compile time only)
; SGPRBlocks: 0
; VGPRBlocks: 0
; NumSGPRsForWavesPerEU: 1
; NumVGPRsForWavesPerEU: 1
; Occupancy: 16
; WaveLimiterHint : 0
; COMPUTE_PGM_RSRC2:SCRATCH_EN: 0
; COMPUTE_PGM_RSRC2:USER_SGPR: 6
; COMPUTE_PGM_RSRC2:TRAP_HANDLER: 0
; COMPUTE_PGM_RSRC2:TGID_X_EN: 1
; COMPUTE_PGM_RSRC2:TGID_Y_EN: 0
; COMPUTE_PGM_RSRC2:TGID_Z_EN: 0
; COMPUTE_PGM_RSRC2:TIDIG_COMP_CNT: 0
	.section	.text._ZN7rocprim17ROCPRIM_400000_NS6detail17trampoline_kernelINS0_13select_configILj256ELj13ELNS0_17block_load_methodE3ELS4_3ELS4_3ELNS0_20block_scan_algorithmE0ELj4294967295EEENS1_25partition_config_selectorILNS1_17partition_subalgoE3EjNS0_10empty_typeEbEEZZNS1_14partition_implILS8_3ELb0ES6_jNS0_17counting_iteratorIjlEEPS9_SE_NS0_5tupleIJPjSE_EEENSF_IJSE_SE_EEES9_SG_JZNS1_25segmented_radix_sort_implINS0_14default_configELb0EPK12hip_bfloat16PSL_PKlPlN2at6native12_GLOBAL__N_18offset_tEEE10hipError_tPvRmT1_PNSt15iterator_traitsISZ_E10value_typeET2_T3_PNS10_IS15_E10value_typeET4_jRbjT5_S1B_jjP12ihipStream_tbEUljE_EEESW_SX_SY_S15_S19_S1B_T6_T7_T9_mT8_S1D_bDpT10_ENKUlT_T0_E_clISt17integral_constantIbLb0EES1P_IbLb1EEEEDaS1L_S1M_EUlS1L_E_NS1_11comp_targetILNS1_3genE2ELNS1_11target_archE906ELNS1_3gpuE6ELNS1_3repE0EEENS1_30default_config_static_selectorELNS0_4arch9wavefront6targetE0EEEvSZ_,"axG",@progbits,_ZN7rocprim17ROCPRIM_400000_NS6detail17trampoline_kernelINS0_13select_configILj256ELj13ELNS0_17block_load_methodE3ELS4_3ELS4_3ELNS0_20block_scan_algorithmE0ELj4294967295EEENS1_25partition_config_selectorILNS1_17partition_subalgoE3EjNS0_10empty_typeEbEEZZNS1_14partition_implILS8_3ELb0ES6_jNS0_17counting_iteratorIjlEEPS9_SE_NS0_5tupleIJPjSE_EEENSF_IJSE_SE_EEES9_SG_JZNS1_25segmented_radix_sort_implINS0_14default_configELb0EPK12hip_bfloat16PSL_PKlPlN2at6native12_GLOBAL__N_18offset_tEEE10hipError_tPvRmT1_PNSt15iterator_traitsISZ_E10value_typeET2_T3_PNS10_IS15_E10value_typeET4_jRbjT5_S1B_jjP12ihipStream_tbEUljE_EEESW_SX_SY_S15_S19_S1B_T6_T7_T9_mT8_S1D_bDpT10_ENKUlT_T0_E_clISt17integral_constantIbLb0EES1P_IbLb1EEEEDaS1L_S1M_EUlS1L_E_NS1_11comp_targetILNS1_3genE2ELNS1_11target_archE906ELNS1_3gpuE6ELNS1_3repE0EEENS1_30default_config_static_selectorELNS0_4arch9wavefront6targetE0EEEvSZ_,comdat
	.globl	_ZN7rocprim17ROCPRIM_400000_NS6detail17trampoline_kernelINS0_13select_configILj256ELj13ELNS0_17block_load_methodE3ELS4_3ELS4_3ELNS0_20block_scan_algorithmE0ELj4294967295EEENS1_25partition_config_selectorILNS1_17partition_subalgoE3EjNS0_10empty_typeEbEEZZNS1_14partition_implILS8_3ELb0ES6_jNS0_17counting_iteratorIjlEEPS9_SE_NS0_5tupleIJPjSE_EEENSF_IJSE_SE_EEES9_SG_JZNS1_25segmented_radix_sort_implINS0_14default_configELb0EPK12hip_bfloat16PSL_PKlPlN2at6native12_GLOBAL__N_18offset_tEEE10hipError_tPvRmT1_PNSt15iterator_traitsISZ_E10value_typeET2_T3_PNS10_IS15_E10value_typeET4_jRbjT5_S1B_jjP12ihipStream_tbEUljE_EEESW_SX_SY_S15_S19_S1B_T6_T7_T9_mT8_S1D_bDpT10_ENKUlT_T0_E_clISt17integral_constantIbLb0EES1P_IbLb1EEEEDaS1L_S1M_EUlS1L_E_NS1_11comp_targetILNS1_3genE2ELNS1_11target_archE906ELNS1_3gpuE6ELNS1_3repE0EEENS1_30default_config_static_selectorELNS0_4arch9wavefront6targetE0EEEvSZ_ ; -- Begin function _ZN7rocprim17ROCPRIM_400000_NS6detail17trampoline_kernelINS0_13select_configILj256ELj13ELNS0_17block_load_methodE3ELS4_3ELS4_3ELNS0_20block_scan_algorithmE0ELj4294967295EEENS1_25partition_config_selectorILNS1_17partition_subalgoE3EjNS0_10empty_typeEbEEZZNS1_14partition_implILS8_3ELb0ES6_jNS0_17counting_iteratorIjlEEPS9_SE_NS0_5tupleIJPjSE_EEENSF_IJSE_SE_EEES9_SG_JZNS1_25segmented_radix_sort_implINS0_14default_configELb0EPK12hip_bfloat16PSL_PKlPlN2at6native12_GLOBAL__N_18offset_tEEE10hipError_tPvRmT1_PNSt15iterator_traitsISZ_E10value_typeET2_T3_PNS10_IS15_E10value_typeET4_jRbjT5_S1B_jjP12ihipStream_tbEUljE_EEESW_SX_SY_S15_S19_S1B_T6_T7_T9_mT8_S1D_bDpT10_ENKUlT_T0_E_clISt17integral_constantIbLb0EES1P_IbLb1EEEEDaS1L_S1M_EUlS1L_E_NS1_11comp_targetILNS1_3genE2ELNS1_11target_archE906ELNS1_3gpuE6ELNS1_3repE0EEENS1_30default_config_static_selectorELNS0_4arch9wavefront6targetE0EEEvSZ_
	.p2align	8
	.type	_ZN7rocprim17ROCPRIM_400000_NS6detail17trampoline_kernelINS0_13select_configILj256ELj13ELNS0_17block_load_methodE3ELS4_3ELS4_3ELNS0_20block_scan_algorithmE0ELj4294967295EEENS1_25partition_config_selectorILNS1_17partition_subalgoE3EjNS0_10empty_typeEbEEZZNS1_14partition_implILS8_3ELb0ES6_jNS0_17counting_iteratorIjlEEPS9_SE_NS0_5tupleIJPjSE_EEENSF_IJSE_SE_EEES9_SG_JZNS1_25segmented_radix_sort_implINS0_14default_configELb0EPK12hip_bfloat16PSL_PKlPlN2at6native12_GLOBAL__N_18offset_tEEE10hipError_tPvRmT1_PNSt15iterator_traitsISZ_E10value_typeET2_T3_PNS10_IS15_E10value_typeET4_jRbjT5_S1B_jjP12ihipStream_tbEUljE_EEESW_SX_SY_S15_S19_S1B_T6_T7_T9_mT8_S1D_bDpT10_ENKUlT_T0_E_clISt17integral_constantIbLb0EES1P_IbLb1EEEEDaS1L_S1M_EUlS1L_E_NS1_11comp_targetILNS1_3genE2ELNS1_11target_archE906ELNS1_3gpuE6ELNS1_3repE0EEENS1_30default_config_static_selectorELNS0_4arch9wavefront6targetE0EEEvSZ_,@function
_ZN7rocprim17ROCPRIM_400000_NS6detail17trampoline_kernelINS0_13select_configILj256ELj13ELNS0_17block_load_methodE3ELS4_3ELS4_3ELNS0_20block_scan_algorithmE0ELj4294967295EEENS1_25partition_config_selectorILNS1_17partition_subalgoE3EjNS0_10empty_typeEbEEZZNS1_14partition_implILS8_3ELb0ES6_jNS0_17counting_iteratorIjlEEPS9_SE_NS0_5tupleIJPjSE_EEENSF_IJSE_SE_EEES9_SG_JZNS1_25segmented_radix_sort_implINS0_14default_configELb0EPK12hip_bfloat16PSL_PKlPlN2at6native12_GLOBAL__N_18offset_tEEE10hipError_tPvRmT1_PNSt15iterator_traitsISZ_E10value_typeET2_T3_PNS10_IS15_E10value_typeET4_jRbjT5_S1B_jjP12ihipStream_tbEUljE_EEESW_SX_SY_S15_S19_S1B_T6_T7_T9_mT8_S1D_bDpT10_ENKUlT_T0_E_clISt17integral_constantIbLb0EES1P_IbLb1EEEEDaS1L_S1M_EUlS1L_E_NS1_11comp_targetILNS1_3genE2ELNS1_11target_archE906ELNS1_3gpuE6ELNS1_3repE0EEENS1_30default_config_static_selectorELNS0_4arch9wavefront6targetE0EEEvSZ_: ; @_ZN7rocprim17ROCPRIM_400000_NS6detail17trampoline_kernelINS0_13select_configILj256ELj13ELNS0_17block_load_methodE3ELS4_3ELS4_3ELNS0_20block_scan_algorithmE0ELj4294967295EEENS1_25partition_config_selectorILNS1_17partition_subalgoE3EjNS0_10empty_typeEbEEZZNS1_14partition_implILS8_3ELb0ES6_jNS0_17counting_iteratorIjlEEPS9_SE_NS0_5tupleIJPjSE_EEENSF_IJSE_SE_EEES9_SG_JZNS1_25segmented_radix_sort_implINS0_14default_configELb0EPK12hip_bfloat16PSL_PKlPlN2at6native12_GLOBAL__N_18offset_tEEE10hipError_tPvRmT1_PNSt15iterator_traitsISZ_E10value_typeET2_T3_PNS10_IS15_E10value_typeET4_jRbjT5_S1B_jjP12ihipStream_tbEUljE_EEESW_SX_SY_S15_S19_S1B_T6_T7_T9_mT8_S1D_bDpT10_ENKUlT_T0_E_clISt17integral_constantIbLb0EES1P_IbLb1EEEEDaS1L_S1M_EUlS1L_E_NS1_11comp_targetILNS1_3genE2ELNS1_11target_archE906ELNS1_3gpuE6ELNS1_3repE0EEENS1_30default_config_static_selectorELNS0_4arch9wavefront6targetE0EEEvSZ_
; %bb.0:
	.section	.rodata,"a",@progbits
	.p2align	6, 0x0
	.amdhsa_kernel _ZN7rocprim17ROCPRIM_400000_NS6detail17trampoline_kernelINS0_13select_configILj256ELj13ELNS0_17block_load_methodE3ELS4_3ELS4_3ELNS0_20block_scan_algorithmE0ELj4294967295EEENS1_25partition_config_selectorILNS1_17partition_subalgoE3EjNS0_10empty_typeEbEEZZNS1_14partition_implILS8_3ELb0ES6_jNS0_17counting_iteratorIjlEEPS9_SE_NS0_5tupleIJPjSE_EEENSF_IJSE_SE_EEES9_SG_JZNS1_25segmented_radix_sort_implINS0_14default_configELb0EPK12hip_bfloat16PSL_PKlPlN2at6native12_GLOBAL__N_18offset_tEEE10hipError_tPvRmT1_PNSt15iterator_traitsISZ_E10value_typeET2_T3_PNS10_IS15_E10value_typeET4_jRbjT5_S1B_jjP12ihipStream_tbEUljE_EEESW_SX_SY_S15_S19_S1B_T6_T7_T9_mT8_S1D_bDpT10_ENKUlT_T0_E_clISt17integral_constantIbLb0EES1P_IbLb1EEEEDaS1L_S1M_EUlS1L_E_NS1_11comp_targetILNS1_3genE2ELNS1_11target_archE906ELNS1_3gpuE6ELNS1_3repE0EEENS1_30default_config_static_selectorELNS0_4arch9wavefront6targetE0EEEvSZ_
		.amdhsa_group_segment_fixed_size 0
		.amdhsa_private_segment_fixed_size 0
		.amdhsa_kernarg_size 152
		.amdhsa_user_sgpr_count 6
		.amdhsa_user_sgpr_private_segment_buffer 1
		.amdhsa_user_sgpr_dispatch_ptr 0
		.amdhsa_user_sgpr_queue_ptr 0
		.amdhsa_user_sgpr_kernarg_segment_ptr 1
		.amdhsa_user_sgpr_dispatch_id 0
		.amdhsa_user_sgpr_flat_scratch_init 0
		.amdhsa_user_sgpr_private_segment_size 0
		.amdhsa_wavefront_size32 1
		.amdhsa_uses_dynamic_stack 0
		.amdhsa_system_sgpr_private_segment_wavefront_offset 0
		.amdhsa_system_sgpr_workgroup_id_x 1
		.amdhsa_system_sgpr_workgroup_id_y 0
		.amdhsa_system_sgpr_workgroup_id_z 0
		.amdhsa_system_sgpr_workgroup_info 0
		.amdhsa_system_vgpr_workitem_id 0
		.amdhsa_next_free_vgpr 1
		.amdhsa_next_free_sgpr 1
		.amdhsa_reserve_vcc 0
		.amdhsa_reserve_flat_scratch 0
		.amdhsa_float_round_mode_32 0
		.amdhsa_float_round_mode_16_64 0
		.amdhsa_float_denorm_mode_32 3
		.amdhsa_float_denorm_mode_16_64 3
		.amdhsa_dx10_clamp 1
		.amdhsa_ieee_mode 1
		.amdhsa_fp16_overflow 0
		.amdhsa_workgroup_processor_mode 1
		.amdhsa_memory_ordered 1
		.amdhsa_forward_progress 1
		.amdhsa_shared_vgpr_count 0
		.amdhsa_exception_fp_ieee_invalid_op 0
		.amdhsa_exception_fp_denorm_src 0
		.amdhsa_exception_fp_ieee_div_zero 0
		.amdhsa_exception_fp_ieee_overflow 0
		.amdhsa_exception_fp_ieee_underflow 0
		.amdhsa_exception_fp_ieee_inexact 0
		.amdhsa_exception_int_div_zero 0
	.end_amdhsa_kernel
	.section	.text._ZN7rocprim17ROCPRIM_400000_NS6detail17trampoline_kernelINS0_13select_configILj256ELj13ELNS0_17block_load_methodE3ELS4_3ELS4_3ELNS0_20block_scan_algorithmE0ELj4294967295EEENS1_25partition_config_selectorILNS1_17partition_subalgoE3EjNS0_10empty_typeEbEEZZNS1_14partition_implILS8_3ELb0ES6_jNS0_17counting_iteratorIjlEEPS9_SE_NS0_5tupleIJPjSE_EEENSF_IJSE_SE_EEES9_SG_JZNS1_25segmented_radix_sort_implINS0_14default_configELb0EPK12hip_bfloat16PSL_PKlPlN2at6native12_GLOBAL__N_18offset_tEEE10hipError_tPvRmT1_PNSt15iterator_traitsISZ_E10value_typeET2_T3_PNS10_IS15_E10value_typeET4_jRbjT5_S1B_jjP12ihipStream_tbEUljE_EEESW_SX_SY_S15_S19_S1B_T6_T7_T9_mT8_S1D_bDpT10_ENKUlT_T0_E_clISt17integral_constantIbLb0EES1P_IbLb1EEEEDaS1L_S1M_EUlS1L_E_NS1_11comp_targetILNS1_3genE2ELNS1_11target_archE906ELNS1_3gpuE6ELNS1_3repE0EEENS1_30default_config_static_selectorELNS0_4arch9wavefront6targetE0EEEvSZ_,"axG",@progbits,_ZN7rocprim17ROCPRIM_400000_NS6detail17trampoline_kernelINS0_13select_configILj256ELj13ELNS0_17block_load_methodE3ELS4_3ELS4_3ELNS0_20block_scan_algorithmE0ELj4294967295EEENS1_25partition_config_selectorILNS1_17partition_subalgoE3EjNS0_10empty_typeEbEEZZNS1_14partition_implILS8_3ELb0ES6_jNS0_17counting_iteratorIjlEEPS9_SE_NS0_5tupleIJPjSE_EEENSF_IJSE_SE_EEES9_SG_JZNS1_25segmented_radix_sort_implINS0_14default_configELb0EPK12hip_bfloat16PSL_PKlPlN2at6native12_GLOBAL__N_18offset_tEEE10hipError_tPvRmT1_PNSt15iterator_traitsISZ_E10value_typeET2_T3_PNS10_IS15_E10value_typeET4_jRbjT5_S1B_jjP12ihipStream_tbEUljE_EEESW_SX_SY_S15_S19_S1B_T6_T7_T9_mT8_S1D_bDpT10_ENKUlT_T0_E_clISt17integral_constantIbLb0EES1P_IbLb1EEEEDaS1L_S1M_EUlS1L_E_NS1_11comp_targetILNS1_3genE2ELNS1_11target_archE906ELNS1_3gpuE6ELNS1_3repE0EEENS1_30default_config_static_selectorELNS0_4arch9wavefront6targetE0EEEvSZ_,comdat
.Lfunc_end2035:
	.size	_ZN7rocprim17ROCPRIM_400000_NS6detail17trampoline_kernelINS0_13select_configILj256ELj13ELNS0_17block_load_methodE3ELS4_3ELS4_3ELNS0_20block_scan_algorithmE0ELj4294967295EEENS1_25partition_config_selectorILNS1_17partition_subalgoE3EjNS0_10empty_typeEbEEZZNS1_14partition_implILS8_3ELb0ES6_jNS0_17counting_iteratorIjlEEPS9_SE_NS0_5tupleIJPjSE_EEENSF_IJSE_SE_EEES9_SG_JZNS1_25segmented_radix_sort_implINS0_14default_configELb0EPK12hip_bfloat16PSL_PKlPlN2at6native12_GLOBAL__N_18offset_tEEE10hipError_tPvRmT1_PNSt15iterator_traitsISZ_E10value_typeET2_T3_PNS10_IS15_E10value_typeET4_jRbjT5_S1B_jjP12ihipStream_tbEUljE_EEESW_SX_SY_S15_S19_S1B_T6_T7_T9_mT8_S1D_bDpT10_ENKUlT_T0_E_clISt17integral_constantIbLb0EES1P_IbLb1EEEEDaS1L_S1M_EUlS1L_E_NS1_11comp_targetILNS1_3genE2ELNS1_11target_archE906ELNS1_3gpuE6ELNS1_3repE0EEENS1_30default_config_static_selectorELNS0_4arch9wavefront6targetE0EEEvSZ_, .Lfunc_end2035-_ZN7rocprim17ROCPRIM_400000_NS6detail17trampoline_kernelINS0_13select_configILj256ELj13ELNS0_17block_load_methodE3ELS4_3ELS4_3ELNS0_20block_scan_algorithmE0ELj4294967295EEENS1_25partition_config_selectorILNS1_17partition_subalgoE3EjNS0_10empty_typeEbEEZZNS1_14partition_implILS8_3ELb0ES6_jNS0_17counting_iteratorIjlEEPS9_SE_NS0_5tupleIJPjSE_EEENSF_IJSE_SE_EEES9_SG_JZNS1_25segmented_radix_sort_implINS0_14default_configELb0EPK12hip_bfloat16PSL_PKlPlN2at6native12_GLOBAL__N_18offset_tEEE10hipError_tPvRmT1_PNSt15iterator_traitsISZ_E10value_typeET2_T3_PNS10_IS15_E10value_typeET4_jRbjT5_S1B_jjP12ihipStream_tbEUljE_EEESW_SX_SY_S15_S19_S1B_T6_T7_T9_mT8_S1D_bDpT10_ENKUlT_T0_E_clISt17integral_constantIbLb0EES1P_IbLb1EEEEDaS1L_S1M_EUlS1L_E_NS1_11comp_targetILNS1_3genE2ELNS1_11target_archE906ELNS1_3gpuE6ELNS1_3repE0EEENS1_30default_config_static_selectorELNS0_4arch9wavefront6targetE0EEEvSZ_
                                        ; -- End function
	.set _ZN7rocprim17ROCPRIM_400000_NS6detail17trampoline_kernelINS0_13select_configILj256ELj13ELNS0_17block_load_methodE3ELS4_3ELS4_3ELNS0_20block_scan_algorithmE0ELj4294967295EEENS1_25partition_config_selectorILNS1_17partition_subalgoE3EjNS0_10empty_typeEbEEZZNS1_14partition_implILS8_3ELb0ES6_jNS0_17counting_iteratorIjlEEPS9_SE_NS0_5tupleIJPjSE_EEENSF_IJSE_SE_EEES9_SG_JZNS1_25segmented_radix_sort_implINS0_14default_configELb0EPK12hip_bfloat16PSL_PKlPlN2at6native12_GLOBAL__N_18offset_tEEE10hipError_tPvRmT1_PNSt15iterator_traitsISZ_E10value_typeET2_T3_PNS10_IS15_E10value_typeET4_jRbjT5_S1B_jjP12ihipStream_tbEUljE_EEESW_SX_SY_S15_S19_S1B_T6_T7_T9_mT8_S1D_bDpT10_ENKUlT_T0_E_clISt17integral_constantIbLb0EES1P_IbLb1EEEEDaS1L_S1M_EUlS1L_E_NS1_11comp_targetILNS1_3genE2ELNS1_11target_archE906ELNS1_3gpuE6ELNS1_3repE0EEENS1_30default_config_static_selectorELNS0_4arch9wavefront6targetE0EEEvSZ_.num_vgpr, 0
	.set _ZN7rocprim17ROCPRIM_400000_NS6detail17trampoline_kernelINS0_13select_configILj256ELj13ELNS0_17block_load_methodE3ELS4_3ELS4_3ELNS0_20block_scan_algorithmE0ELj4294967295EEENS1_25partition_config_selectorILNS1_17partition_subalgoE3EjNS0_10empty_typeEbEEZZNS1_14partition_implILS8_3ELb0ES6_jNS0_17counting_iteratorIjlEEPS9_SE_NS0_5tupleIJPjSE_EEENSF_IJSE_SE_EEES9_SG_JZNS1_25segmented_radix_sort_implINS0_14default_configELb0EPK12hip_bfloat16PSL_PKlPlN2at6native12_GLOBAL__N_18offset_tEEE10hipError_tPvRmT1_PNSt15iterator_traitsISZ_E10value_typeET2_T3_PNS10_IS15_E10value_typeET4_jRbjT5_S1B_jjP12ihipStream_tbEUljE_EEESW_SX_SY_S15_S19_S1B_T6_T7_T9_mT8_S1D_bDpT10_ENKUlT_T0_E_clISt17integral_constantIbLb0EES1P_IbLb1EEEEDaS1L_S1M_EUlS1L_E_NS1_11comp_targetILNS1_3genE2ELNS1_11target_archE906ELNS1_3gpuE6ELNS1_3repE0EEENS1_30default_config_static_selectorELNS0_4arch9wavefront6targetE0EEEvSZ_.num_agpr, 0
	.set _ZN7rocprim17ROCPRIM_400000_NS6detail17trampoline_kernelINS0_13select_configILj256ELj13ELNS0_17block_load_methodE3ELS4_3ELS4_3ELNS0_20block_scan_algorithmE0ELj4294967295EEENS1_25partition_config_selectorILNS1_17partition_subalgoE3EjNS0_10empty_typeEbEEZZNS1_14partition_implILS8_3ELb0ES6_jNS0_17counting_iteratorIjlEEPS9_SE_NS0_5tupleIJPjSE_EEENSF_IJSE_SE_EEES9_SG_JZNS1_25segmented_radix_sort_implINS0_14default_configELb0EPK12hip_bfloat16PSL_PKlPlN2at6native12_GLOBAL__N_18offset_tEEE10hipError_tPvRmT1_PNSt15iterator_traitsISZ_E10value_typeET2_T3_PNS10_IS15_E10value_typeET4_jRbjT5_S1B_jjP12ihipStream_tbEUljE_EEESW_SX_SY_S15_S19_S1B_T6_T7_T9_mT8_S1D_bDpT10_ENKUlT_T0_E_clISt17integral_constantIbLb0EES1P_IbLb1EEEEDaS1L_S1M_EUlS1L_E_NS1_11comp_targetILNS1_3genE2ELNS1_11target_archE906ELNS1_3gpuE6ELNS1_3repE0EEENS1_30default_config_static_selectorELNS0_4arch9wavefront6targetE0EEEvSZ_.numbered_sgpr, 0
	.set _ZN7rocprim17ROCPRIM_400000_NS6detail17trampoline_kernelINS0_13select_configILj256ELj13ELNS0_17block_load_methodE3ELS4_3ELS4_3ELNS0_20block_scan_algorithmE0ELj4294967295EEENS1_25partition_config_selectorILNS1_17partition_subalgoE3EjNS0_10empty_typeEbEEZZNS1_14partition_implILS8_3ELb0ES6_jNS0_17counting_iteratorIjlEEPS9_SE_NS0_5tupleIJPjSE_EEENSF_IJSE_SE_EEES9_SG_JZNS1_25segmented_radix_sort_implINS0_14default_configELb0EPK12hip_bfloat16PSL_PKlPlN2at6native12_GLOBAL__N_18offset_tEEE10hipError_tPvRmT1_PNSt15iterator_traitsISZ_E10value_typeET2_T3_PNS10_IS15_E10value_typeET4_jRbjT5_S1B_jjP12ihipStream_tbEUljE_EEESW_SX_SY_S15_S19_S1B_T6_T7_T9_mT8_S1D_bDpT10_ENKUlT_T0_E_clISt17integral_constantIbLb0EES1P_IbLb1EEEEDaS1L_S1M_EUlS1L_E_NS1_11comp_targetILNS1_3genE2ELNS1_11target_archE906ELNS1_3gpuE6ELNS1_3repE0EEENS1_30default_config_static_selectorELNS0_4arch9wavefront6targetE0EEEvSZ_.num_named_barrier, 0
	.set _ZN7rocprim17ROCPRIM_400000_NS6detail17trampoline_kernelINS0_13select_configILj256ELj13ELNS0_17block_load_methodE3ELS4_3ELS4_3ELNS0_20block_scan_algorithmE0ELj4294967295EEENS1_25partition_config_selectorILNS1_17partition_subalgoE3EjNS0_10empty_typeEbEEZZNS1_14partition_implILS8_3ELb0ES6_jNS0_17counting_iteratorIjlEEPS9_SE_NS0_5tupleIJPjSE_EEENSF_IJSE_SE_EEES9_SG_JZNS1_25segmented_radix_sort_implINS0_14default_configELb0EPK12hip_bfloat16PSL_PKlPlN2at6native12_GLOBAL__N_18offset_tEEE10hipError_tPvRmT1_PNSt15iterator_traitsISZ_E10value_typeET2_T3_PNS10_IS15_E10value_typeET4_jRbjT5_S1B_jjP12ihipStream_tbEUljE_EEESW_SX_SY_S15_S19_S1B_T6_T7_T9_mT8_S1D_bDpT10_ENKUlT_T0_E_clISt17integral_constantIbLb0EES1P_IbLb1EEEEDaS1L_S1M_EUlS1L_E_NS1_11comp_targetILNS1_3genE2ELNS1_11target_archE906ELNS1_3gpuE6ELNS1_3repE0EEENS1_30default_config_static_selectorELNS0_4arch9wavefront6targetE0EEEvSZ_.private_seg_size, 0
	.set _ZN7rocprim17ROCPRIM_400000_NS6detail17trampoline_kernelINS0_13select_configILj256ELj13ELNS0_17block_load_methodE3ELS4_3ELS4_3ELNS0_20block_scan_algorithmE0ELj4294967295EEENS1_25partition_config_selectorILNS1_17partition_subalgoE3EjNS0_10empty_typeEbEEZZNS1_14partition_implILS8_3ELb0ES6_jNS0_17counting_iteratorIjlEEPS9_SE_NS0_5tupleIJPjSE_EEENSF_IJSE_SE_EEES9_SG_JZNS1_25segmented_radix_sort_implINS0_14default_configELb0EPK12hip_bfloat16PSL_PKlPlN2at6native12_GLOBAL__N_18offset_tEEE10hipError_tPvRmT1_PNSt15iterator_traitsISZ_E10value_typeET2_T3_PNS10_IS15_E10value_typeET4_jRbjT5_S1B_jjP12ihipStream_tbEUljE_EEESW_SX_SY_S15_S19_S1B_T6_T7_T9_mT8_S1D_bDpT10_ENKUlT_T0_E_clISt17integral_constantIbLb0EES1P_IbLb1EEEEDaS1L_S1M_EUlS1L_E_NS1_11comp_targetILNS1_3genE2ELNS1_11target_archE906ELNS1_3gpuE6ELNS1_3repE0EEENS1_30default_config_static_selectorELNS0_4arch9wavefront6targetE0EEEvSZ_.uses_vcc, 0
	.set _ZN7rocprim17ROCPRIM_400000_NS6detail17trampoline_kernelINS0_13select_configILj256ELj13ELNS0_17block_load_methodE3ELS4_3ELS4_3ELNS0_20block_scan_algorithmE0ELj4294967295EEENS1_25partition_config_selectorILNS1_17partition_subalgoE3EjNS0_10empty_typeEbEEZZNS1_14partition_implILS8_3ELb0ES6_jNS0_17counting_iteratorIjlEEPS9_SE_NS0_5tupleIJPjSE_EEENSF_IJSE_SE_EEES9_SG_JZNS1_25segmented_radix_sort_implINS0_14default_configELb0EPK12hip_bfloat16PSL_PKlPlN2at6native12_GLOBAL__N_18offset_tEEE10hipError_tPvRmT1_PNSt15iterator_traitsISZ_E10value_typeET2_T3_PNS10_IS15_E10value_typeET4_jRbjT5_S1B_jjP12ihipStream_tbEUljE_EEESW_SX_SY_S15_S19_S1B_T6_T7_T9_mT8_S1D_bDpT10_ENKUlT_T0_E_clISt17integral_constantIbLb0EES1P_IbLb1EEEEDaS1L_S1M_EUlS1L_E_NS1_11comp_targetILNS1_3genE2ELNS1_11target_archE906ELNS1_3gpuE6ELNS1_3repE0EEENS1_30default_config_static_selectorELNS0_4arch9wavefront6targetE0EEEvSZ_.uses_flat_scratch, 0
	.set _ZN7rocprim17ROCPRIM_400000_NS6detail17trampoline_kernelINS0_13select_configILj256ELj13ELNS0_17block_load_methodE3ELS4_3ELS4_3ELNS0_20block_scan_algorithmE0ELj4294967295EEENS1_25partition_config_selectorILNS1_17partition_subalgoE3EjNS0_10empty_typeEbEEZZNS1_14partition_implILS8_3ELb0ES6_jNS0_17counting_iteratorIjlEEPS9_SE_NS0_5tupleIJPjSE_EEENSF_IJSE_SE_EEES9_SG_JZNS1_25segmented_radix_sort_implINS0_14default_configELb0EPK12hip_bfloat16PSL_PKlPlN2at6native12_GLOBAL__N_18offset_tEEE10hipError_tPvRmT1_PNSt15iterator_traitsISZ_E10value_typeET2_T3_PNS10_IS15_E10value_typeET4_jRbjT5_S1B_jjP12ihipStream_tbEUljE_EEESW_SX_SY_S15_S19_S1B_T6_T7_T9_mT8_S1D_bDpT10_ENKUlT_T0_E_clISt17integral_constantIbLb0EES1P_IbLb1EEEEDaS1L_S1M_EUlS1L_E_NS1_11comp_targetILNS1_3genE2ELNS1_11target_archE906ELNS1_3gpuE6ELNS1_3repE0EEENS1_30default_config_static_selectorELNS0_4arch9wavefront6targetE0EEEvSZ_.has_dyn_sized_stack, 0
	.set _ZN7rocprim17ROCPRIM_400000_NS6detail17trampoline_kernelINS0_13select_configILj256ELj13ELNS0_17block_load_methodE3ELS4_3ELS4_3ELNS0_20block_scan_algorithmE0ELj4294967295EEENS1_25partition_config_selectorILNS1_17partition_subalgoE3EjNS0_10empty_typeEbEEZZNS1_14partition_implILS8_3ELb0ES6_jNS0_17counting_iteratorIjlEEPS9_SE_NS0_5tupleIJPjSE_EEENSF_IJSE_SE_EEES9_SG_JZNS1_25segmented_radix_sort_implINS0_14default_configELb0EPK12hip_bfloat16PSL_PKlPlN2at6native12_GLOBAL__N_18offset_tEEE10hipError_tPvRmT1_PNSt15iterator_traitsISZ_E10value_typeET2_T3_PNS10_IS15_E10value_typeET4_jRbjT5_S1B_jjP12ihipStream_tbEUljE_EEESW_SX_SY_S15_S19_S1B_T6_T7_T9_mT8_S1D_bDpT10_ENKUlT_T0_E_clISt17integral_constantIbLb0EES1P_IbLb1EEEEDaS1L_S1M_EUlS1L_E_NS1_11comp_targetILNS1_3genE2ELNS1_11target_archE906ELNS1_3gpuE6ELNS1_3repE0EEENS1_30default_config_static_selectorELNS0_4arch9wavefront6targetE0EEEvSZ_.has_recursion, 0
	.set _ZN7rocprim17ROCPRIM_400000_NS6detail17trampoline_kernelINS0_13select_configILj256ELj13ELNS0_17block_load_methodE3ELS4_3ELS4_3ELNS0_20block_scan_algorithmE0ELj4294967295EEENS1_25partition_config_selectorILNS1_17partition_subalgoE3EjNS0_10empty_typeEbEEZZNS1_14partition_implILS8_3ELb0ES6_jNS0_17counting_iteratorIjlEEPS9_SE_NS0_5tupleIJPjSE_EEENSF_IJSE_SE_EEES9_SG_JZNS1_25segmented_radix_sort_implINS0_14default_configELb0EPK12hip_bfloat16PSL_PKlPlN2at6native12_GLOBAL__N_18offset_tEEE10hipError_tPvRmT1_PNSt15iterator_traitsISZ_E10value_typeET2_T3_PNS10_IS15_E10value_typeET4_jRbjT5_S1B_jjP12ihipStream_tbEUljE_EEESW_SX_SY_S15_S19_S1B_T6_T7_T9_mT8_S1D_bDpT10_ENKUlT_T0_E_clISt17integral_constantIbLb0EES1P_IbLb1EEEEDaS1L_S1M_EUlS1L_E_NS1_11comp_targetILNS1_3genE2ELNS1_11target_archE906ELNS1_3gpuE6ELNS1_3repE0EEENS1_30default_config_static_selectorELNS0_4arch9wavefront6targetE0EEEvSZ_.has_indirect_call, 0
	.section	.AMDGPU.csdata,"",@progbits
; Kernel info:
; codeLenInByte = 0
; TotalNumSgprs: 0
; NumVgprs: 0
; ScratchSize: 0
; MemoryBound: 0
; FloatMode: 240
; IeeeMode: 1
; LDSByteSize: 0 bytes/workgroup (compile time only)
; SGPRBlocks: 0
; VGPRBlocks: 0
; NumSGPRsForWavesPerEU: 1
; NumVGPRsForWavesPerEU: 1
; Occupancy: 16
; WaveLimiterHint : 0
; COMPUTE_PGM_RSRC2:SCRATCH_EN: 0
; COMPUTE_PGM_RSRC2:USER_SGPR: 6
; COMPUTE_PGM_RSRC2:TRAP_HANDLER: 0
; COMPUTE_PGM_RSRC2:TGID_X_EN: 1
; COMPUTE_PGM_RSRC2:TGID_Y_EN: 0
; COMPUTE_PGM_RSRC2:TGID_Z_EN: 0
; COMPUTE_PGM_RSRC2:TIDIG_COMP_CNT: 0
	.section	.text._ZN7rocprim17ROCPRIM_400000_NS6detail17trampoline_kernelINS0_13select_configILj256ELj13ELNS0_17block_load_methodE3ELS4_3ELS4_3ELNS0_20block_scan_algorithmE0ELj4294967295EEENS1_25partition_config_selectorILNS1_17partition_subalgoE3EjNS0_10empty_typeEbEEZZNS1_14partition_implILS8_3ELb0ES6_jNS0_17counting_iteratorIjlEEPS9_SE_NS0_5tupleIJPjSE_EEENSF_IJSE_SE_EEES9_SG_JZNS1_25segmented_radix_sort_implINS0_14default_configELb0EPK12hip_bfloat16PSL_PKlPlN2at6native12_GLOBAL__N_18offset_tEEE10hipError_tPvRmT1_PNSt15iterator_traitsISZ_E10value_typeET2_T3_PNS10_IS15_E10value_typeET4_jRbjT5_S1B_jjP12ihipStream_tbEUljE_EEESW_SX_SY_S15_S19_S1B_T6_T7_T9_mT8_S1D_bDpT10_ENKUlT_T0_E_clISt17integral_constantIbLb0EES1P_IbLb1EEEEDaS1L_S1M_EUlS1L_E_NS1_11comp_targetILNS1_3genE10ELNS1_11target_archE1200ELNS1_3gpuE4ELNS1_3repE0EEENS1_30default_config_static_selectorELNS0_4arch9wavefront6targetE0EEEvSZ_,"axG",@progbits,_ZN7rocprim17ROCPRIM_400000_NS6detail17trampoline_kernelINS0_13select_configILj256ELj13ELNS0_17block_load_methodE3ELS4_3ELS4_3ELNS0_20block_scan_algorithmE0ELj4294967295EEENS1_25partition_config_selectorILNS1_17partition_subalgoE3EjNS0_10empty_typeEbEEZZNS1_14partition_implILS8_3ELb0ES6_jNS0_17counting_iteratorIjlEEPS9_SE_NS0_5tupleIJPjSE_EEENSF_IJSE_SE_EEES9_SG_JZNS1_25segmented_radix_sort_implINS0_14default_configELb0EPK12hip_bfloat16PSL_PKlPlN2at6native12_GLOBAL__N_18offset_tEEE10hipError_tPvRmT1_PNSt15iterator_traitsISZ_E10value_typeET2_T3_PNS10_IS15_E10value_typeET4_jRbjT5_S1B_jjP12ihipStream_tbEUljE_EEESW_SX_SY_S15_S19_S1B_T6_T7_T9_mT8_S1D_bDpT10_ENKUlT_T0_E_clISt17integral_constantIbLb0EES1P_IbLb1EEEEDaS1L_S1M_EUlS1L_E_NS1_11comp_targetILNS1_3genE10ELNS1_11target_archE1200ELNS1_3gpuE4ELNS1_3repE0EEENS1_30default_config_static_selectorELNS0_4arch9wavefront6targetE0EEEvSZ_,comdat
	.globl	_ZN7rocprim17ROCPRIM_400000_NS6detail17trampoline_kernelINS0_13select_configILj256ELj13ELNS0_17block_load_methodE3ELS4_3ELS4_3ELNS0_20block_scan_algorithmE0ELj4294967295EEENS1_25partition_config_selectorILNS1_17partition_subalgoE3EjNS0_10empty_typeEbEEZZNS1_14partition_implILS8_3ELb0ES6_jNS0_17counting_iteratorIjlEEPS9_SE_NS0_5tupleIJPjSE_EEENSF_IJSE_SE_EEES9_SG_JZNS1_25segmented_radix_sort_implINS0_14default_configELb0EPK12hip_bfloat16PSL_PKlPlN2at6native12_GLOBAL__N_18offset_tEEE10hipError_tPvRmT1_PNSt15iterator_traitsISZ_E10value_typeET2_T3_PNS10_IS15_E10value_typeET4_jRbjT5_S1B_jjP12ihipStream_tbEUljE_EEESW_SX_SY_S15_S19_S1B_T6_T7_T9_mT8_S1D_bDpT10_ENKUlT_T0_E_clISt17integral_constantIbLb0EES1P_IbLb1EEEEDaS1L_S1M_EUlS1L_E_NS1_11comp_targetILNS1_3genE10ELNS1_11target_archE1200ELNS1_3gpuE4ELNS1_3repE0EEENS1_30default_config_static_selectorELNS0_4arch9wavefront6targetE0EEEvSZ_ ; -- Begin function _ZN7rocprim17ROCPRIM_400000_NS6detail17trampoline_kernelINS0_13select_configILj256ELj13ELNS0_17block_load_methodE3ELS4_3ELS4_3ELNS0_20block_scan_algorithmE0ELj4294967295EEENS1_25partition_config_selectorILNS1_17partition_subalgoE3EjNS0_10empty_typeEbEEZZNS1_14partition_implILS8_3ELb0ES6_jNS0_17counting_iteratorIjlEEPS9_SE_NS0_5tupleIJPjSE_EEENSF_IJSE_SE_EEES9_SG_JZNS1_25segmented_radix_sort_implINS0_14default_configELb0EPK12hip_bfloat16PSL_PKlPlN2at6native12_GLOBAL__N_18offset_tEEE10hipError_tPvRmT1_PNSt15iterator_traitsISZ_E10value_typeET2_T3_PNS10_IS15_E10value_typeET4_jRbjT5_S1B_jjP12ihipStream_tbEUljE_EEESW_SX_SY_S15_S19_S1B_T6_T7_T9_mT8_S1D_bDpT10_ENKUlT_T0_E_clISt17integral_constantIbLb0EES1P_IbLb1EEEEDaS1L_S1M_EUlS1L_E_NS1_11comp_targetILNS1_3genE10ELNS1_11target_archE1200ELNS1_3gpuE4ELNS1_3repE0EEENS1_30default_config_static_selectorELNS0_4arch9wavefront6targetE0EEEvSZ_
	.p2align	8
	.type	_ZN7rocprim17ROCPRIM_400000_NS6detail17trampoline_kernelINS0_13select_configILj256ELj13ELNS0_17block_load_methodE3ELS4_3ELS4_3ELNS0_20block_scan_algorithmE0ELj4294967295EEENS1_25partition_config_selectorILNS1_17partition_subalgoE3EjNS0_10empty_typeEbEEZZNS1_14partition_implILS8_3ELb0ES6_jNS0_17counting_iteratorIjlEEPS9_SE_NS0_5tupleIJPjSE_EEENSF_IJSE_SE_EEES9_SG_JZNS1_25segmented_radix_sort_implINS0_14default_configELb0EPK12hip_bfloat16PSL_PKlPlN2at6native12_GLOBAL__N_18offset_tEEE10hipError_tPvRmT1_PNSt15iterator_traitsISZ_E10value_typeET2_T3_PNS10_IS15_E10value_typeET4_jRbjT5_S1B_jjP12ihipStream_tbEUljE_EEESW_SX_SY_S15_S19_S1B_T6_T7_T9_mT8_S1D_bDpT10_ENKUlT_T0_E_clISt17integral_constantIbLb0EES1P_IbLb1EEEEDaS1L_S1M_EUlS1L_E_NS1_11comp_targetILNS1_3genE10ELNS1_11target_archE1200ELNS1_3gpuE4ELNS1_3repE0EEENS1_30default_config_static_selectorELNS0_4arch9wavefront6targetE0EEEvSZ_,@function
_ZN7rocprim17ROCPRIM_400000_NS6detail17trampoline_kernelINS0_13select_configILj256ELj13ELNS0_17block_load_methodE3ELS4_3ELS4_3ELNS0_20block_scan_algorithmE0ELj4294967295EEENS1_25partition_config_selectorILNS1_17partition_subalgoE3EjNS0_10empty_typeEbEEZZNS1_14partition_implILS8_3ELb0ES6_jNS0_17counting_iteratorIjlEEPS9_SE_NS0_5tupleIJPjSE_EEENSF_IJSE_SE_EEES9_SG_JZNS1_25segmented_radix_sort_implINS0_14default_configELb0EPK12hip_bfloat16PSL_PKlPlN2at6native12_GLOBAL__N_18offset_tEEE10hipError_tPvRmT1_PNSt15iterator_traitsISZ_E10value_typeET2_T3_PNS10_IS15_E10value_typeET4_jRbjT5_S1B_jjP12ihipStream_tbEUljE_EEESW_SX_SY_S15_S19_S1B_T6_T7_T9_mT8_S1D_bDpT10_ENKUlT_T0_E_clISt17integral_constantIbLb0EES1P_IbLb1EEEEDaS1L_S1M_EUlS1L_E_NS1_11comp_targetILNS1_3genE10ELNS1_11target_archE1200ELNS1_3gpuE4ELNS1_3repE0EEENS1_30default_config_static_selectorELNS0_4arch9wavefront6targetE0EEEvSZ_: ; @_ZN7rocprim17ROCPRIM_400000_NS6detail17trampoline_kernelINS0_13select_configILj256ELj13ELNS0_17block_load_methodE3ELS4_3ELS4_3ELNS0_20block_scan_algorithmE0ELj4294967295EEENS1_25partition_config_selectorILNS1_17partition_subalgoE3EjNS0_10empty_typeEbEEZZNS1_14partition_implILS8_3ELb0ES6_jNS0_17counting_iteratorIjlEEPS9_SE_NS0_5tupleIJPjSE_EEENSF_IJSE_SE_EEES9_SG_JZNS1_25segmented_radix_sort_implINS0_14default_configELb0EPK12hip_bfloat16PSL_PKlPlN2at6native12_GLOBAL__N_18offset_tEEE10hipError_tPvRmT1_PNSt15iterator_traitsISZ_E10value_typeET2_T3_PNS10_IS15_E10value_typeET4_jRbjT5_S1B_jjP12ihipStream_tbEUljE_EEESW_SX_SY_S15_S19_S1B_T6_T7_T9_mT8_S1D_bDpT10_ENKUlT_T0_E_clISt17integral_constantIbLb0EES1P_IbLb1EEEEDaS1L_S1M_EUlS1L_E_NS1_11comp_targetILNS1_3genE10ELNS1_11target_archE1200ELNS1_3gpuE4ELNS1_3repE0EEENS1_30default_config_static_selectorELNS0_4arch9wavefront6targetE0EEEvSZ_
; %bb.0:
	.section	.rodata,"a",@progbits
	.p2align	6, 0x0
	.amdhsa_kernel _ZN7rocprim17ROCPRIM_400000_NS6detail17trampoline_kernelINS0_13select_configILj256ELj13ELNS0_17block_load_methodE3ELS4_3ELS4_3ELNS0_20block_scan_algorithmE0ELj4294967295EEENS1_25partition_config_selectorILNS1_17partition_subalgoE3EjNS0_10empty_typeEbEEZZNS1_14partition_implILS8_3ELb0ES6_jNS0_17counting_iteratorIjlEEPS9_SE_NS0_5tupleIJPjSE_EEENSF_IJSE_SE_EEES9_SG_JZNS1_25segmented_radix_sort_implINS0_14default_configELb0EPK12hip_bfloat16PSL_PKlPlN2at6native12_GLOBAL__N_18offset_tEEE10hipError_tPvRmT1_PNSt15iterator_traitsISZ_E10value_typeET2_T3_PNS10_IS15_E10value_typeET4_jRbjT5_S1B_jjP12ihipStream_tbEUljE_EEESW_SX_SY_S15_S19_S1B_T6_T7_T9_mT8_S1D_bDpT10_ENKUlT_T0_E_clISt17integral_constantIbLb0EES1P_IbLb1EEEEDaS1L_S1M_EUlS1L_E_NS1_11comp_targetILNS1_3genE10ELNS1_11target_archE1200ELNS1_3gpuE4ELNS1_3repE0EEENS1_30default_config_static_selectorELNS0_4arch9wavefront6targetE0EEEvSZ_
		.amdhsa_group_segment_fixed_size 0
		.amdhsa_private_segment_fixed_size 0
		.amdhsa_kernarg_size 152
		.amdhsa_user_sgpr_count 6
		.amdhsa_user_sgpr_private_segment_buffer 1
		.amdhsa_user_sgpr_dispatch_ptr 0
		.amdhsa_user_sgpr_queue_ptr 0
		.amdhsa_user_sgpr_kernarg_segment_ptr 1
		.amdhsa_user_sgpr_dispatch_id 0
		.amdhsa_user_sgpr_flat_scratch_init 0
		.amdhsa_user_sgpr_private_segment_size 0
		.amdhsa_wavefront_size32 1
		.amdhsa_uses_dynamic_stack 0
		.amdhsa_system_sgpr_private_segment_wavefront_offset 0
		.amdhsa_system_sgpr_workgroup_id_x 1
		.amdhsa_system_sgpr_workgroup_id_y 0
		.amdhsa_system_sgpr_workgroup_id_z 0
		.amdhsa_system_sgpr_workgroup_info 0
		.amdhsa_system_vgpr_workitem_id 0
		.amdhsa_next_free_vgpr 1
		.amdhsa_next_free_sgpr 1
		.amdhsa_reserve_vcc 0
		.amdhsa_reserve_flat_scratch 0
		.amdhsa_float_round_mode_32 0
		.amdhsa_float_round_mode_16_64 0
		.amdhsa_float_denorm_mode_32 3
		.amdhsa_float_denorm_mode_16_64 3
		.amdhsa_dx10_clamp 1
		.amdhsa_ieee_mode 1
		.amdhsa_fp16_overflow 0
		.amdhsa_workgroup_processor_mode 1
		.amdhsa_memory_ordered 1
		.amdhsa_forward_progress 1
		.amdhsa_shared_vgpr_count 0
		.amdhsa_exception_fp_ieee_invalid_op 0
		.amdhsa_exception_fp_denorm_src 0
		.amdhsa_exception_fp_ieee_div_zero 0
		.amdhsa_exception_fp_ieee_overflow 0
		.amdhsa_exception_fp_ieee_underflow 0
		.amdhsa_exception_fp_ieee_inexact 0
		.amdhsa_exception_int_div_zero 0
	.end_amdhsa_kernel
	.section	.text._ZN7rocprim17ROCPRIM_400000_NS6detail17trampoline_kernelINS0_13select_configILj256ELj13ELNS0_17block_load_methodE3ELS4_3ELS4_3ELNS0_20block_scan_algorithmE0ELj4294967295EEENS1_25partition_config_selectorILNS1_17partition_subalgoE3EjNS0_10empty_typeEbEEZZNS1_14partition_implILS8_3ELb0ES6_jNS0_17counting_iteratorIjlEEPS9_SE_NS0_5tupleIJPjSE_EEENSF_IJSE_SE_EEES9_SG_JZNS1_25segmented_radix_sort_implINS0_14default_configELb0EPK12hip_bfloat16PSL_PKlPlN2at6native12_GLOBAL__N_18offset_tEEE10hipError_tPvRmT1_PNSt15iterator_traitsISZ_E10value_typeET2_T3_PNS10_IS15_E10value_typeET4_jRbjT5_S1B_jjP12ihipStream_tbEUljE_EEESW_SX_SY_S15_S19_S1B_T6_T7_T9_mT8_S1D_bDpT10_ENKUlT_T0_E_clISt17integral_constantIbLb0EES1P_IbLb1EEEEDaS1L_S1M_EUlS1L_E_NS1_11comp_targetILNS1_3genE10ELNS1_11target_archE1200ELNS1_3gpuE4ELNS1_3repE0EEENS1_30default_config_static_selectorELNS0_4arch9wavefront6targetE0EEEvSZ_,"axG",@progbits,_ZN7rocprim17ROCPRIM_400000_NS6detail17trampoline_kernelINS0_13select_configILj256ELj13ELNS0_17block_load_methodE3ELS4_3ELS4_3ELNS0_20block_scan_algorithmE0ELj4294967295EEENS1_25partition_config_selectorILNS1_17partition_subalgoE3EjNS0_10empty_typeEbEEZZNS1_14partition_implILS8_3ELb0ES6_jNS0_17counting_iteratorIjlEEPS9_SE_NS0_5tupleIJPjSE_EEENSF_IJSE_SE_EEES9_SG_JZNS1_25segmented_radix_sort_implINS0_14default_configELb0EPK12hip_bfloat16PSL_PKlPlN2at6native12_GLOBAL__N_18offset_tEEE10hipError_tPvRmT1_PNSt15iterator_traitsISZ_E10value_typeET2_T3_PNS10_IS15_E10value_typeET4_jRbjT5_S1B_jjP12ihipStream_tbEUljE_EEESW_SX_SY_S15_S19_S1B_T6_T7_T9_mT8_S1D_bDpT10_ENKUlT_T0_E_clISt17integral_constantIbLb0EES1P_IbLb1EEEEDaS1L_S1M_EUlS1L_E_NS1_11comp_targetILNS1_3genE10ELNS1_11target_archE1200ELNS1_3gpuE4ELNS1_3repE0EEENS1_30default_config_static_selectorELNS0_4arch9wavefront6targetE0EEEvSZ_,comdat
.Lfunc_end2036:
	.size	_ZN7rocprim17ROCPRIM_400000_NS6detail17trampoline_kernelINS0_13select_configILj256ELj13ELNS0_17block_load_methodE3ELS4_3ELS4_3ELNS0_20block_scan_algorithmE0ELj4294967295EEENS1_25partition_config_selectorILNS1_17partition_subalgoE3EjNS0_10empty_typeEbEEZZNS1_14partition_implILS8_3ELb0ES6_jNS0_17counting_iteratorIjlEEPS9_SE_NS0_5tupleIJPjSE_EEENSF_IJSE_SE_EEES9_SG_JZNS1_25segmented_radix_sort_implINS0_14default_configELb0EPK12hip_bfloat16PSL_PKlPlN2at6native12_GLOBAL__N_18offset_tEEE10hipError_tPvRmT1_PNSt15iterator_traitsISZ_E10value_typeET2_T3_PNS10_IS15_E10value_typeET4_jRbjT5_S1B_jjP12ihipStream_tbEUljE_EEESW_SX_SY_S15_S19_S1B_T6_T7_T9_mT8_S1D_bDpT10_ENKUlT_T0_E_clISt17integral_constantIbLb0EES1P_IbLb1EEEEDaS1L_S1M_EUlS1L_E_NS1_11comp_targetILNS1_3genE10ELNS1_11target_archE1200ELNS1_3gpuE4ELNS1_3repE0EEENS1_30default_config_static_selectorELNS0_4arch9wavefront6targetE0EEEvSZ_, .Lfunc_end2036-_ZN7rocprim17ROCPRIM_400000_NS6detail17trampoline_kernelINS0_13select_configILj256ELj13ELNS0_17block_load_methodE3ELS4_3ELS4_3ELNS0_20block_scan_algorithmE0ELj4294967295EEENS1_25partition_config_selectorILNS1_17partition_subalgoE3EjNS0_10empty_typeEbEEZZNS1_14partition_implILS8_3ELb0ES6_jNS0_17counting_iteratorIjlEEPS9_SE_NS0_5tupleIJPjSE_EEENSF_IJSE_SE_EEES9_SG_JZNS1_25segmented_radix_sort_implINS0_14default_configELb0EPK12hip_bfloat16PSL_PKlPlN2at6native12_GLOBAL__N_18offset_tEEE10hipError_tPvRmT1_PNSt15iterator_traitsISZ_E10value_typeET2_T3_PNS10_IS15_E10value_typeET4_jRbjT5_S1B_jjP12ihipStream_tbEUljE_EEESW_SX_SY_S15_S19_S1B_T6_T7_T9_mT8_S1D_bDpT10_ENKUlT_T0_E_clISt17integral_constantIbLb0EES1P_IbLb1EEEEDaS1L_S1M_EUlS1L_E_NS1_11comp_targetILNS1_3genE10ELNS1_11target_archE1200ELNS1_3gpuE4ELNS1_3repE0EEENS1_30default_config_static_selectorELNS0_4arch9wavefront6targetE0EEEvSZ_
                                        ; -- End function
	.set _ZN7rocprim17ROCPRIM_400000_NS6detail17trampoline_kernelINS0_13select_configILj256ELj13ELNS0_17block_load_methodE3ELS4_3ELS4_3ELNS0_20block_scan_algorithmE0ELj4294967295EEENS1_25partition_config_selectorILNS1_17partition_subalgoE3EjNS0_10empty_typeEbEEZZNS1_14partition_implILS8_3ELb0ES6_jNS0_17counting_iteratorIjlEEPS9_SE_NS0_5tupleIJPjSE_EEENSF_IJSE_SE_EEES9_SG_JZNS1_25segmented_radix_sort_implINS0_14default_configELb0EPK12hip_bfloat16PSL_PKlPlN2at6native12_GLOBAL__N_18offset_tEEE10hipError_tPvRmT1_PNSt15iterator_traitsISZ_E10value_typeET2_T3_PNS10_IS15_E10value_typeET4_jRbjT5_S1B_jjP12ihipStream_tbEUljE_EEESW_SX_SY_S15_S19_S1B_T6_T7_T9_mT8_S1D_bDpT10_ENKUlT_T0_E_clISt17integral_constantIbLb0EES1P_IbLb1EEEEDaS1L_S1M_EUlS1L_E_NS1_11comp_targetILNS1_3genE10ELNS1_11target_archE1200ELNS1_3gpuE4ELNS1_3repE0EEENS1_30default_config_static_selectorELNS0_4arch9wavefront6targetE0EEEvSZ_.num_vgpr, 0
	.set _ZN7rocprim17ROCPRIM_400000_NS6detail17trampoline_kernelINS0_13select_configILj256ELj13ELNS0_17block_load_methodE3ELS4_3ELS4_3ELNS0_20block_scan_algorithmE0ELj4294967295EEENS1_25partition_config_selectorILNS1_17partition_subalgoE3EjNS0_10empty_typeEbEEZZNS1_14partition_implILS8_3ELb0ES6_jNS0_17counting_iteratorIjlEEPS9_SE_NS0_5tupleIJPjSE_EEENSF_IJSE_SE_EEES9_SG_JZNS1_25segmented_radix_sort_implINS0_14default_configELb0EPK12hip_bfloat16PSL_PKlPlN2at6native12_GLOBAL__N_18offset_tEEE10hipError_tPvRmT1_PNSt15iterator_traitsISZ_E10value_typeET2_T3_PNS10_IS15_E10value_typeET4_jRbjT5_S1B_jjP12ihipStream_tbEUljE_EEESW_SX_SY_S15_S19_S1B_T6_T7_T9_mT8_S1D_bDpT10_ENKUlT_T0_E_clISt17integral_constantIbLb0EES1P_IbLb1EEEEDaS1L_S1M_EUlS1L_E_NS1_11comp_targetILNS1_3genE10ELNS1_11target_archE1200ELNS1_3gpuE4ELNS1_3repE0EEENS1_30default_config_static_selectorELNS0_4arch9wavefront6targetE0EEEvSZ_.num_agpr, 0
	.set _ZN7rocprim17ROCPRIM_400000_NS6detail17trampoline_kernelINS0_13select_configILj256ELj13ELNS0_17block_load_methodE3ELS4_3ELS4_3ELNS0_20block_scan_algorithmE0ELj4294967295EEENS1_25partition_config_selectorILNS1_17partition_subalgoE3EjNS0_10empty_typeEbEEZZNS1_14partition_implILS8_3ELb0ES6_jNS0_17counting_iteratorIjlEEPS9_SE_NS0_5tupleIJPjSE_EEENSF_IJSE_SE_EEES9_SG_JZNS1_25segmented_radix_sort_implINS0_14default_configELb0EPK12hip_bfloat16PSL_PKlPlN2at6native12_GLOBAL__N_18offset_tEEE10hipError_tPvRmT1_PNSt15iterator_traitsISZ_E10value_typeET2_T3_PNS10_IS15_E10value_typeET4_jRbjT5_S1B_jjP12ihipStream_tbEUljE_EEESW_SX_SY_S15_S19_S1B_T6_T7_T9_mT8_S1D_bDpT10_ENKUlT_T0_E_clISt17integral_constantIbLb0EES1P_IbLb1EEEEDaS1L_S1M_EUlS1L_E_NS1_11comp_targetILNS1_3genE10ELNS1_11target_archE1200ELNS1_3gpuE4ELNS1_3repE0EEENS1_30default_config_static_selectorELNS0_4arch9wavefront6targetE0EEEvSZ_.numbered_sgpr, 0
	.set _ZN7rocprim17ROCPRIM_400000_NS6detail17trampoline_kernelINS0_13select_configILj256ELj13ELNS0_17block_load_methodE3ELS4_3ELS4_3ELNS0_20block_scan_algorithmE0ELj4294967295EEENS1_25partition_config_selectorILNS1_17partition_subalgoE3EjNS0_10empty_typeEbEEZZNS1_14partition_implILS8_3ELb0ES6_jNS0_17counting_iteratorIjlEEPS9_SE_NS0_5tupleIJPjSE_EEENSF_IJSE_SE_EEES9_SG_JZNS1_25segmented_radix_sort_implINS0_14default_configELb0EPK12hip_bfloat16PSL_PKlPlN2at6native12_GLOBAL__N_18offset_tEEE10hipError_tPvRmT1_PNSt15iterator_traitsISZ_E10value_typeET2_T3_PNS10_IS15_E10value_typeET4_jRbjT5_S1B_jjP12ihipStream_tbEUljE_EEESW_SX_SY_S15_S19_S1B_T6_T7_T9_mT8_S1D_bDpT10_ENKUlT_T0_E_clISt17integral_constantIbLb0EES1P_IbLb1EEEEDaS1L_S1M_EUlS1L_E_NS1_11comp_targetILNS1_3genE10ELNS1_11target_archE1200ELNS1_3gpuE4ELNS1_3repE0EEENS1_30default_config_static_selectorELNS0_4arch9wavefront6targetE0EEEvSZ_.num_named_barrier, 0
	.set _ZN7rocprim17ROCPRIM_400000_NS6detail17trampoline_kernelINS0_13select_configILj256ELj13ELNS0_17block_load_methodE3ELS4_3ELS4_3ELNS0_20block_scan_algorithmE0ELj4294967295EEENS1_25partition_config_selectorILNS1_17partition_subalgoE3EjNS0_10empty_typeEbEEZZNS1_14partition_implILS8_3ELb0ES6_jNS0_17counting_iteratorIjlEEPS9_SE_NS0_5tupleIJPjSE_EEENSF_IJSE_SE_EEES9_SG_JZNS1_25segmented_radix_sort_implINS0_14default_configELb0EPK12hip_bfloat16PSL_PKlPlN2at6native12_GLOBAL__N_18offset_tEEE10hipError_tPvRmT1_PNSt15iterator_traitsISZ_E10value_typeET2_T3_PNS10_IS15_E10value_typeET4_jRbjT5_S1B_jjP12ihipStream_tbEUljE_EEESW_SX_SY_S15_S19_S1B_T6_T7_T9_mT8_S1D_bDpT10_ENKUlT_T0_E_clISt17integral_constantIbLb0EES1P_IbLb1EEEEDaS1L_S1M_EUlS1L_E_NS1_11comp_targetILNS1_3genE10ELNS1_11target_archE1200ELNS1_3gpuE4ELNS1_3repE0EEENS1_30default_config_static_selectorELNS0_4arch9wavefront6targetE0EEEvSZ_.private_seg_size, 0
	.set _ZN7rocprim17ROCPRIM_400000_NS6detail17trampoline_kernelINS0_13select_configILj256ELj13ELNS0_17block_load_methodE3ELS4_3ELS4_3ELNS0_20block_scan_algorithmE0ELj4294967295EEENS1_25partition_config_selectorILNS1_17partition_subalgoE3EjNS0_10empty_typeEbEEZZNS1_14partition_implILS8_3ELb0ES6_jNS0_17counting_iteratorIjlEEPS9_SE_NS0_5tupleIJPjSE_EEENSF_IJSE_SE_EEES9_SG_JZNS1_25segmented_radix_sort_implINS0_14default_configELb0EPK12hip_bfloat16PSL_PKlPlN2at6native12_GLOBAL__N_18offset_tEEE10hipError_tPvRmT1_PNSt15iterator_traitsISZ_E10value_typeET2_T3_PNS10_IS15_E10value_typeET4_jRbjT5_S1B_jjP12ihipStream_tbEUljE_EEESW_SX_SY_S15_S19_S1B_T6_T7_T9_mT8_S1D_bDpT10_ENKUlT_T0_E_clISt17integral_constantIbLb0EES1P_IbLb1EEEEDaS1L_S1M_EUlS1L_E_NS1_11comp_targetILNS1_3genE10ELNS1_11target_archE1200ELNS1_3gpuE4ELNS1_3repE0EEENS1_30default_config_static_selectorELNS0_4arch9wavefront6targetE0EEEvSZ_.uses_vcc, 0
	.set _ZN7rocprim17ROCPRIM_400000_NS6detail17trampoline_kernelINS0_13select_configILj256ELj13ELNS0_17block_load_methodE3ELS4_3ELS4_3ELNS0_20block_scan_algorithmE0ELj4294967295EEENS1_25partition_config_selectorILNS1_17partition_subalgoE3EjNS0_10empty_typeEbEEZZNS1_14partition_implILS8_3ELb0ES6_jNS0_17counting_iteratorIjlEEPS9_SE_NS0_5tupleIJPjSE_EEENSF_IJSE_SE_EEES9_SG_JZNS1_25segmented_radix_sort_implINS0_14default_configELb0EPK12hip_bfloat16PSL_PKlPlN2at6native12_GLOBAL__N_18offset_tEEE10hipError_tPvRmT1_PNSt15iterator_traitsISZ_E10value_typeET2_T3_PNS10_IS15_E10value_typeET4_jRbjT5_S1B_jjP12ihipStream_tbEUljE_EEESW_SX_SY_S15_S19_S1B_T6_T7_T9_mT8_S1D_bDpT10_ENKUlT_T0_E_clISt17integral_constantIbLb0EES1P_IbLb1EEEEDaS1L_S1M_EUlS1L_E_NS1_11comp_targetILNS1_3genE10ELNS1_11target_archE1200ELNS1_3gpuE4ELNS1_3repE0EEENS1_30default_config_static_selectorELNS0_4arch9wavefront6targetE0EEEvSZ_.uses_flat_scratch, 0
	.set _ZN7rocprim17ROCPRIM_400000_NS6detail17trampoline_kernelINS0_13select_configILj256ELj13ELNS0_17block_load_methodE3ELS4_3ELS4_3ELNS0_20block_scan_algorithmE0ELj4294967295EEENS1_25partition_config_selectorILNS1_17partition_subalgoE3EjNS0_10empty_typeEbEEZZNS1_14partition_implILS8_3ELb0ES6_jNS0_17counting_iteratorIjlEEPS9_SE_NS0_5tupleIJPjSE_EEENSF_IJSE_SE_EEES9_SG_JZNS1_25segmented_radix_sort_implINS0_14default_configELb0EPK12hip_bfloat16PSL_PKlPlN2at6native12_GLOBAL__N_18offset_tEEE10hipError_tPvRmT1_PNSt15iterator_traitsISZ_E10value_typeET2_T3_PNS10_IS15_E10value_typeET4_jRbjT5_S1B_jjP12ihipStream_tbEUljE_EEESW_SX_SY_S15_S19_S1B_T6_T7_T9_mT8_S1D_bDpT10_ENKUlT_T0_E_clISt17integral_constantIbLb0EES1P_IbLb1EEEEDaS1L_S1M_EUlS1L_E_NS1_11comp_targetILNS1_3genE10ELNS1_11target_archE1200ELNS1_3gpuE4ELNS1_3repE0EEENS1_30default_config_static_selectorELNS0_4arch9wavefront6targetE0EEEvSZ_.has_dyn_sized_stack, 0
	.set _ZN7rocprim17ROCPRIM_400000_NS6detail17trampoline_kernelINS0_13select_configILj256ELj13ELNS0_17block_load_methodE3ELS4_3ELS4_3ELNS0_20block_scan_algorithmE0ELj4294967295EEENS1_25partition_config_selectorILNS1_17partition_subalgoE3EjNS0_10empty_typeEbEEZZNS1_14partition_implILS8_3ELb0ES6_jNS0_17counting_iteratorIjlEEPS9_SE_NS0_5tupleIJPjSE_EEENSF_IJSE_SE_EEES9_SG_JZNS1_25segmented_radix_sort_implINS0_14default_configELb0EPK12hip_bfloat16PSL_PKlPlN2at6native12_GLOBAL__N_18offset_tEEE10hipError_tPvRmT1_PNSt15iterator_traitsISZ_E10value_typeET2_T3_PNS10_IS15_E10value_typeET4_jRbjT5_S1B_jjP12ihipStream_tbEUljE_EEESW_SX_SY_S15_S19_S1B_T6_T7_T9_mT8_S1D_bDpT10_ENKUlT_T0_E_clISt17integral_constantIbLb0EES1P_IbLb1EEEEDaS1L_S1M_EUlS1L_E_NS1_11comp_targetILNS1_3genE10ELNS1_11target_archE1200ELNS1_3gpuE4ELNS1_3repE0EEENS1_30default_config_static_selectorELNS0_4arch9wavefront6targetE0EEEvSZ_.has_recursion, 0
	.set _ZN7rocprim17ROCPRIM_400000_NS6detail17trampoline_kernelINS0_13select_configILj256ELj13ELNS0_17block_load_methodE3ELS4_3ELS4_3ELNS0_20block_scan_algorithmE0ELj4294967295EEENS1_25partition_config_selectorILNS1_17partition_subalgoE3EjNS0_10empty_typeEbEEZZNS1_14partition_implILS8_3ELb0ES6_jNS0_17counting_iteratorIjlEEPS9_SE_NS0_5tupleIJPjSE_EEENSF_IJSE_SE_EEES9_SG_JZNS1_25segmented_radix_sort_implINS0_14default_configELb0EPK12hip_bfloat16PSL_PKlPlN2at6native12_GLOBAL__N_18offset_tEEE10hipError_tPvRmT1_PNSt15iterator_traitsISZ_E10value_typeET2_T3_PNS10_IS15_E10value_typeET4_jRbjT5_S1B_jjP12ihipStream_tbEUljE_EEESW_SX_SY_S15_S19_S1B_T6_T7_T9_mT8_S1D_bDpT10_ENKUlT_T0_E_clISt17integral_constantIbLb0EES1P_IbLb1EEEEDaS1L_S1M_EUlS1L_E_NS1_11comp_targetILNS1_3genE10ELNS1_11target_archE1200ELNS1_3gpuE4ELNS1_3repE0EEENS1_30default_config_static_selectorELNS0_4arch9wavefront6targetE0EEEvSZ_.has_indirect_call, 0
	.section	.AMDGPU.csdata,"",@progbits
; Kernel info:
; codeLenInByte = 0
; TotalNumSgprs: 0
; NumVgprs: 0
; ScratchSize: 0
; MemoryBound: 0
; FloatMode: 240
; IeeeMode: 1
; LDSByteSize: 0 bytes/workgroup (compile time only)
; SGPRBlocks: 0
; VGPRBlocks: 0
; NumSGPRsForWavesPerEU: 1
; NumVGPRsForWavesPerEU: 1
; Occupancy: 16
; WaveLimiterHint : 0
; COMPUTE_PGM_RSRC2:SCRATCH_EN: 0
; COMPUTE_PGM_RSRC2:USER_SGPR: 6
; COMPUTE_PGM_RSRC2:TRAP_HANDLER: 0
; COMPUTE_PGM_RSRC2:TGID_X_EN: 1
; COMPUTE_PGM_RSRC2:TGID_Y_EN: 0
; COMPUTE_PGM_RSRC2:TGID_Z_EN: 0
; COMPUTE_PGM_RSRC2:TIDIG_COMP_CNT: 0
	.section	.text._ZN7rocprim17ROCPRIM_400000_NS6detail17trampoline_kernelINS0_13select_configILj256ELj13ELNS0_17block_load_methodE3ELS4_3ELS4_3ELNS0_20block_scan_algorithmE0ELj4294967295EEENS1_25partition_config_selectorILNS1_17partition_subalgoE3EjNS0_10empty_typeEbEEZZNS1_14partition_implILS8_3ELb0ES6_jNS0_17counting_iteratorIjlEEPS9_SE_NS0_5tupleIJPjSE_EEENSF_IJSE_SE_EEES9_SG_JZNS1_25segmented_radix_sort_implINS0_14default_configELb0EPK12hip_bfloat16PSL_PKlPlN2at6native12_GLOBAL__N_18offset_tEEE10hipError_tPvRmT1_PNSt15iterator_traitsISZ_E10value_typeET2_T3_PNS10_IS15_E10value_typeET4_jRbjT5_S1B_jjP12ihipStream_tbEUljE_EEESW_SX_SY_S15_S19_S1B_T6_T7_T9_mT8_S1D_bDpT10_ENKUlT_T0_E_clISt17integral_constantIbLb0EES1P_IbLb1EEEEDaS1L_S1M_EUlS1L_E_NS1_11comp_targetILNS1_3genE9ELNS1_11target_archE1100ELNS1_3gpuE3ELNS1_3repE0EEENS1_30default_config_static_selectorELNS0_4arch9wavefront6targetE0EEEvSZ_,"axG",@progbits,_ZN7rocprim17ROCPRIM_400000_NS6detail17trampoline_kernelINS0_13select_configILj256ELj13ELNS0_17block_load_methodE3ELS4_3ELS4_3ELNS0_20block_scan_algorithmE0ELj4294967295EEENS1_25partition_config_selectorILNS1_17partition_subalgoE3EjNS0_10empty_typeEbEEZZNS1_14partition_implILS8_3ELb0ES6_jNS0_17counting_iteratorIjlEEPS9_SE_NS0_5tupleIJPjSE_EEENSF_IJSE_SE_EEES9_SG_JZNS1_25segmented_radix_sort_implINS0_14default_configELb0EPK12hip_bfloat16PSL_PKlPlN2at6native12_GLOBAL__N_18offset_tEEE10hipError_tPvRmT1_PNSt15iterator_traitsISZ_E10value_typeET2_T3_PNS10_IS15_E10value_typeET4_jRbjT5_S1B_jjP12ihipStream_tbEUljE_EEESW_SX_SY_S15_S19_S1B_T6_T7_T9_mT8_S1D_bDpT10_ENKUlT_T0_E_clISt17integral_constantIbLb0EES1P_IbLb1EEEEDaS1L_S1M_EUlS1L_E_NS1_11comp_targetILNS1_3genE9ELNS1_11target_archE1100ELNS1_3gpuE3ELNS1_3repE0EEENS1_30default_config_static_selectorELNS0_4arch9wavefront6targetE0EEEvSZ_,comdat
	.globl	_ZN7rocprim17ROCPRIM_400000_NS6detail17trampoline_kernelINS0_13select_configILj256ELj13ELNS0_17block_load_methodE3ELS4_3ELS4_3ELNS0_20block_scan_algorithmE0ELj4294967295EEENS1_25partition_config_selectorILNS1_17partition_subalgoE3EjNS0_10empty_typeEbEEZZNS1_14partition_implILS8_3ELb0ES6_jNS0_17counting_iteratorIjlEEPS9_SE_NS0_5tupleIJPjSE_EEENSF_IJSE_SE_EEES9_SG_JZNS1_25segmented_radix_sort_implINS0_14default_configELb0EPK12hip_bfloat16PSL_PKlPlN2at6native12_GLOBAL__N_18offset_tEEE10hipError_tPvRmT1_PNSt15iterator_traitsISZ_E10value_typeET2_T3_PNS10_IS15_E10value_typeET4_jRbjT5_S1B_jjP12ihipStream_tbEUljE_EEESW_SX_SY_S15_S19_S1B_T6_T7_T9_mT8_S1D_bDpT10_ENKUlT_T0_E_clISt17integral_constantIbLb0EES1P_IbLb1EEEEDaS1L_S1M_EUlS1L_E_NS1_11comp_targetILNS1_3genE9ELNS1_11target_archE1100ELNS1_3gpuE3ELNS1_3repE0EEENS1_30default_config_static_selectorELNS0_4arch9wavefront6targetE0EEEvSZ_ ; -- Begin function _ZN7rocprim17ROCPRIM_400000_NS6detail17trampoline_kernelINS0_13select_configILj256ELj13ELNS0_17block_load_methodE3ELS4_3ELS4_3ELNS0_20block_scan_algorithmE0ELj4294967295EEENS1_25partition_config_selectorILNS1_17partition_subalgoE3EjNS0_10empty_typeEbEEZZNS1_14partition_implILS8_3ELb0ES6_jNS0_17counting_iteratorIjlEEPS9_SE_NS0_5tupleIJPjSE_EEENSF_IJSE_SE_EEES9_SG_JZNS1_25segmented_radix_sort_implINS0_14default_configELb0EPK12hip_bfloat16PSL_PKlPlN2at6native12_GLOBAL__N_18offset_tEEE10hipError_tPvRmT1_PNSt15iterator_traitsISZ_E10value_typeET2_T3_PNS10_IS15_E10value_typeET4_jRbjT5_S1B_jjP12ihipStream_tbEUljE_EEESW_SX_SY_S15_S19_S1B_T6_T7_T9_mT8_S1D_bDpT10_ENKUlT_T0_E_clISt17integral_constantIbLb0EES1P_IbLb1EEEEDaS1L_S1M_EUlS1L_E_NS1_11comp_targetILNS1_3genE9ELNS1_11target_archE1100ELNS1_3gpuE3ELNS1_3repE0EEENS1_30default_config_static_selectorELNS0_4arch9wavefront6targetE0EEEvSZ_
	.p2align	8
	.type	_ZN7rocprim17ROCPRIM_400000_NS6detail17trampoline_kernelINS0_13select_configILj256ELj13ELNS0_17block_load_methodE3ELS4_3ELS4_3ELNS0_20block_scan_algorithmE0ELj4294967295EEENS1_25partition_config_selectorILNS1_17partition_subalgoE3EjNS0_10empty_typeEbEEZZNS1_14partition_implILS8_3ELb0ES6_jNS0_17counting_iteratorIjlEEPS9_SE_NS0_5tupleIJPjSE_EEENSF_IJSE_SE_EEES9_SG_JZNS1_25segmented_radix_sort_implINS0_14default_configELb0EPK12hip_bfloat16PSL_PKlPlN2at6native12_GLOBAL__N_18offset_tEEE10hipError_tPvRmT1_PNSt15iterator_traitsISZ_E10value_typeET2_T3_PNS10_IS15_E10value_typeET4_jRbjT5_S1B_jjP12ihipStream_tbEUljE_EEESW_SX_SY_S15_S19_S1B_T6_T7_T9_mT8_S1D_bDpT10_ENKUlT_T0_E_clISt17integral_constantIbLb0EES1P_IbLb1EEEEDaS1L_S1M_EUlS1L_E_NS1_11comp_targetILNS1_3genE9ELNS1_11target_archE1100ELNS1_3gpuE3ELNS1_3repE0EEENS1_30default_config_static_selectorELNS0_4arch9wavefront6targetE0EEEvSZ_,@function
_ZN7rocprim17ROCPRIM_400000_NS6detail17trampoline_kernelINS0_13select_configILj256ELj13ELNS0_17block_load_methodE3ELS4_3ELS4_3ELNS0_20block_scan_algorithmE0ELj4294967295EEENS1_25partition_config_selectorILNS1_17partition_subalgoE3EjNS0_10empty_typeEbEEZZNS1_14partition_implILS8_3ELb0ES6_jNS0_17counting_iteratorIjlEEPS9_SE_NS0_5tupleIJPjSE_EEENSF_IJSE_SE_EEES9_SG_JZNS1_25segmented_radix_sort_implINS0_14default_configELb0EPK12hip_bfloat16PSL_PKlPlN2at6native12_GLOBAL__N_18offset_tEEE10hipError_tPvRmT1_PNSt15iterator_traitsISZ_E10value_typeET2_T3_PNS10_IS15_E10value_typeET4_jRbjT5_S1B_jjP12ihipStream_tbEUljE_EEESW_SX_SY_S15_S19_S1B_T6_T7_T9_mT8_S1D_bDpT10_ENKUlT_T0_E_clISt17integral_constantIbLb0EES1P_IbLb1EEEEDaS1L_S1M_EUlS1L_E_NS1_11comp_targetILNS1_3genE9ELNS1_11target_archE1100ELNS1_3gpuE3ELNS1_3repE0EEENS1_30default_config_static_selectorELNS0_4arch9wavefront6targetE0EEEvSZ_: ; @_ZN7rocprim17ROCPRIM_400000_NS6detail17trampoline_kernelINS0_13select_configILj256ELj13ELNS0_17block_load_methodE3ELS4_3ELS4_3ELNS0_20block_scan_algorithmE0ELj4294967295EEENS1_25partition_config_selectorILNS1_17partition_subalgoE3EjNS0_10empty_typeEbEEZZNS1_14partition_implILS8_3ELb0ES6_jNS0_17counting_iteratorIjlEEPS9_SE_NS0_5tupleIJPjSE_EEENSF_IJSE_SE_EEES9_SG_JZNS1_25segmented_radix_sort_implINS0_14default_configELb0EPK12hip_bfloat16PSL_PKlPlN2at6native12_GLOBAL__N_18offset_tEEE10hipError_tPvRmT1_PNSt15iterator_traitsISZ_E10value_typeET2_T3_PNS10_IS15_E10value_typeET4_jRbjT5_S1B_jjP12ihipStream_tbEUljE_EEESW_SX_SY_S15_S19_S1B_T6_T7_T9_mT8_S1D_bDpT10_ENKUlT_T0_E_clISt17integral_constantIbLb0EES1P_IbLb1EEEEDaS1L_S1M_EUlS1L_E_NS1_11comp_targetILNS1_3genE9ELNS1_11target_archE1100ELNS1_3gpuE3ELNS1_3repE0EEENS1_30default_config_static_selectorELNS0_4arch9wavefront6targetE0EEEvSZ_
; %bb.0:
	.section	.rodata,"a",@progbits
	.p2align	6, 0x0
	.amdhsa_kernel _ZN7rocprim17ROCPRIM_400000_NS6detail17trampoline_kernelINS0_13select_configILj256ELj13ELNS0_17block_load_methodE3ELS4_3ELS4_3ELNS0_20block_scan_algorithmE0ELj4294967295EEENS1_25partition_config_selectorILNS1_17partition_subalgoE3EjNS0_10empty_typeEbEEZZNS1_14partition_implILS8_3ELb0ES6_jNS0_17counting_iteratorIjlEEPS9_SE_NS0_5tupleIJPjSE_EEENSF_IJSE_SE_EEES9_SG_JZNS1_25segmented_radix_sort_implINS0_14default_configELb0EPK12hip_bfloat16PSL_PKlPlN2at6native12_GLOBAL__N_18offset_tEEE10hipError_tPvRmT1_PNSt15iterator_traitsISZ_E10value_typeET2_T3_PNS10_IS15_E10value_typeET4_jRbjT5_S1B_jjP12ihipStream_tbEUljE_EEESW_SX_SY_S15_S19_S1B_T6_T7_T9_mT8_S1D_bDpT10_ENKUlT_T0_E_clISt17integral_constantIbLb0EES1P_IbLb1EEEEDaS1L_S1M_EUlS1L_E_NS1_11comp_targetILNS1_3genE9ELNS1_11target_archE1100ELNS1_3gpuE3ELNS1_3repE0EEENS1_30default_config_static_selectorELNS0_4arch9wavefront6targetE0EEEvSZ_
		.amdhsa_group_segment_fixed_size 0
		.amdhsa_private_segment_fixed_size 0
		.amdhsa_kernarg_size 152
		.amdhsa_user_sgpr_count 6
		.amdhsa_user_sgpr_private_segment_buffer 1
		.amdhsa_user_sgpr_dispatch_ptr 0
		.amdhsa_user_sgpr_queue_ptr 0
		.amdhsa_user_sgpr_kernarg_segment_ptr 1
		.amdhsa_user_sgpr_dispatch_id 0
		.amdhsa_user_sgpr_flat_scratch_init 0
		.amdhsa_user_sgpr_private_segment_size 0
		.amdhsa_wavefront_size32 1
		.amdhsa_uses_dynamic_stack 0
		.amdhsa_system_sgpr_private_segment_wavefront_offset 0
		.amdhsa_system_sgpr_workgroup_id_x 1
		.amdhsa_system_sgpr_workgroup_id_y 0
		.amdhsa_system_sgpr_workgroup_id_z 0
		.amdhsa_system_sgpr_workgroup_info 0
		.amdhsa_system_vgpr_workitem_id 0
		.amdhsa_next_free_vgpr 1
		.amdhsa_next_free_sgpr 1
		.amdhsa_reserve_vcc 0
		.amdhsa_reserve_flat_scratch 0
		.amdhsa_float_round_mode_32 0
		.amdhsa_float_round_mode_16_64 0
		.amdhsa_float_denorm_mode_32 3
		.amdhsa_float_denorm_mode_16_64 3
		.amdhsa_dx10_clamp 1
		.amdhsa_ieee_mode 1
		.amdhsa_fp16_overflow 0
		.amdhsa_workgroup_processor_mode 1
		.amdhsa_memory_ordered 1
		.amdhsa_forward_progress 1
		.amdhsa_shared_vgpr_count 0
		.amdhsa_exception_fp_ieee_invalid_op 0
		.amdhsa_exception_fp_denorm_src 0
		.amdhsa_exception_fp_ieee_div_zero 0
		.amdhsa_exception_fp_ieee_overflow 0
		.amdhsa_exception_fp_ieee_underflow 0
		.amdhsa_exception_fp_ieee_inexact 0
		.amdhsa_exception_int_div_zero 0
	.end_amdhsa_kernel
	.section	.text._ZN7rocprim17ROCPRIM_400000_NS6detail17trampoline_kernelINS0_13select_configILj256ELj13ELNS0_17block_load_methodE3ELS4_3ELS4_3ELNS0_20block_scan_algorithmE0ELj4294967295EEENS1_25partition_config_selectorILNS1_17partition_subalgoE3EjNS0_10empty_typeEbEEZZNS1_14partition_implILS8_3ELb0ES6_jNS0_17counting_iteratorIjlEEPS9_SE_NS0_5tupleIJPjSE_EEENSF_IJSE_SE_EEES9_SG_JZNS1_25segmented_radix_sort_implINS0_14default_configELb0EPK12hip_bfloat16PSL_PKlPlN2at6native12_GLOBAL__N_18offset_tEEE10hipError_tPvRmT1_PNSt15iterator_traitsISZ_E10value_typeET2_T3_PNS10_IS15_E10value_typeET4_jRbjT5_S1B_jjP12ihipStream_tbEUljE_EEESW_SX_SY_S15_S19_S1B_T6_T7_T9_mT8_S1D_bDpT10_ENKUlT_T0_E_clISt17integral_constantIbLb0EES1P_IbLb1EEEEDaS1L_S1M_EUlS1L_E_NS1_11comp_targetILNS1_3genE9ELNS1_11target_archE1100ELNS1_3gpuE3ELNS1_3repE0EEENS1_30default_config_static_selectorELNS0_4arch9wavefront6targetE0EEEvSZ_,"axG",@progbits,_ZN7rocprim17ROCPRIM_400000_NS6detail17trampoline_kernelINS0_13select_configILj256ELj13ELNS0_17block_load_methodE3ELS4_3ELS4_3ELNS0_20block_scan_algorithmE0ELj4294967295EEENS1_25partition_config_selectorILNS1_17partition_subalgoE3EjNS0_10empty_typeEbEEZZNS1_14partition_implILS8_3ELb0ES6_jNS0_17counting_iteratorIjlEEPS9_SE_NS0_5tupleIJPjSE_EEENSF_IJSE_SE_EEES9_SG_JZNS1_25segmented_radix_sort_implINS0_14default_configELb0EPK12hip_bfloat16PSL_PKlPlN2at6native12_GLOBAL__N_18offset_tEEE10hipError_tPvRmT1_PNSt15iterator_traitsISZ_E10value_typeET2_T3_PNS10_IS15_E10value_typeET4_jRbjT5_S1B_jjP12ihipStream_tbEUljE_EEESW_SX_SY_S15_S19_S1B_T6_T7_T9_mT8_S1D_bDpT10_ENKUlT_T0_E_clISt17integral_constantIbLb0EES1P_IbLb1EEEEDaS1L_S1M_EUlS1L_E_NS1_11comp_targetILNS1_3genE9ELNS1_11target_archE1100ELNS1_3gpuE3ELNS1_3repE0EEENS1_30default_config_static_selectorELNS0_4arch9wavefront6targetE0EEEvSZ_,comdat
.Lfunc_end2037:
	.size	_ZN7rocprim17ROCPRIM_400000_NS6detail17trampoline_kernelINS0_13select_configILj256ELj13ELNS0_17block_load_methodE3ELS4_3ELS4_3ELNS0_20block_scan_algorithmE0ELj4294967295EEENS1_25partition_config_selectorILNS1_17partition_subalgoE3EjNS0_10empty_typeEbEEZZNS1_14partition_implILS8_3ELb0ES6_jNS0_17counting_iteratorIjlEEPS9_SE_NS0_5tupleIJPjSE_EEENSF_IJSE_SE_EEES9_SG_JZNS1_25segmented_radix_sort_implINS0_14default_configELb0EPK12hip_bfloat16PSL_PKlPlN2at6native12_GLOBAL__N_18offset_tEEE10hipError_tPvRmT1_PNSt15iterator_traitsISZ_E10value_typeET2_T3_PNS10_IS15_E10value_typeET4_jRbjT5_S1B_jjP12ihipStream_tbEUljE_EEESW_SX_SY_S15_S19_S1B_T6_T7_T9_mT8_S1D_bDpT10_ENKUlT_T0_E_clISt17integral_constantIbLb0EES1P_IbLb1EEEEDaS1L_S1M_EUlS1L_E_NS1_11comp_targetILNS1_3genE9ELNS1_11target_archE1100ELNS1_3gpuE3ELNS1_3repE0EEENS1_30default_config_static_selectorELNS0_4arch9wavefront6targetE0EEEvSZ_, .Lfunc_end2037-_ZN7rocprim17ROCPRIM_400000_NS6detail17trampoline_kernelINS0_13select_configILj256ELj13ELNS0_17block_load_methodE3ELS4_3ELS4_3ELNS0_20block_scan_algorithmE0ELj4294967295EEENS1_25partition_config_selectorILNS1_17partition_subalgoE3EjNS0_10empty_typeEbEEZZNS1_14partition_implILS8_3ELb0ES6_jNS0_17counting_iteratorIjlEEPS9_SE_NS0_5tupleIJPjSE_EEENSF_IJSE_SE_EEES9_SG_JZNS1_25segmented_radix_sort_implINS0_14default_configELb0EPK12hip_bfloat16PSL_PKlPlN2at6native12_GLOBAL__N_18offset_tEEE10hipError_tPvRmT1_PNSt15iterator_traitsISZ_E10value_typeET2_T3_PNS10_IS15_E10value_typeET4_jRbjT5_S1B_jjP12ihipStream_tbEUljE_EEESW_SX_SY_S15_S19_S1B_T6_T7_T9_mT8_S1D_bDpT10_ENKUlT_T0_E_clISt17integral_constantIbLb0EES1P_IbLb1EEEEDaS1L_S1M_EUlS1L_E_NS1_11comp_targetILNS1_3genE9ELNS1_11target_archE1100ELNS1_3gpuE3ELNS1_3repE0EEENS1_30default_config_static_selectorELNS0_4arch9wavefront6targetE0EEEvSZ_
                                        ; -- End function
	.set _ZN7rocprim17ROCPRIM_400000_NS6detail17trampoline_kernelINS0_13select_configILj256ELj13ELNS0_17block_load_methodE3ELS4_3ELS4_3ELNS0_20block_scan_algorithmE0ELj4294967295EEENS1_25partition_config_selectorILNS1_17partition_subalgoE3EjNS0_10empty_typeEbEEZZNS1_14partition_implILS8_3ELb0ES6_jNS0_17counting_iteratorIjlEEPS9_SE_NS0_5tupleIJPjSE_EEENSF_IJSE_SE_EEES9_SG_JZNS1_25segmented_radix_sort_implINS0_14default_configELb0EPK12hip_bfloat16PSL_PKlPlN2at6native12_GLOBAL__N_18offset_tEEE10hipError_tPvRmT1_PNSt15iterator_traitsISZ_E10value_typeET2_T3_PNS10_IS15_E10value_typeET4_jRbjT5_S1B_jjP12ihipStream_tbEUljE_EEESW_SX_SY_S15_S19_S1B_T6_T7_T9_mT8_S1D_bDpT10_ENKUlT_T0_E_clISt17integral_constantIbLb0EES1P_IbLb1EEEEDaS1L_S1M_EUlS1L_E_NS1_11comp_targetILNS1_3genE9ELNS1_11target_archE1100ELNS1_3gpuE3ELNS1_3repE0EEENS1_30default_config_static_selectorELNS0_4arch9wavefront6targetE0EEEvSZ_.num_vgpr, 0
	.set _ZN7rocprim17ROCPRIM_400000_NS6detail17trampoline_kernelINS0_13select_configILj256ELj13ELNS0_17block_load_methodE3ELS4_3ELS4_3ELNS0_20block_scan_algorithmE0ELj4294967295EEENS1_25partition_config_selectorILNS1_17partition_subalgoE3EjNS0_10empty_typeEbEEZZNS1_14partition_implILS8_3ELb0ES6_jNS0_17counting_iteratorIjlEEPS9_SE_NS0_5tupleIJPjSE_EEENSF_IJSE_SE_EEES9_SG_JZNS1_25segmented_radix_sort_implINS0_14default_configELb0EPK12hip_bfloat16PSL_PKlPlN2at6native12_GLOBAL__N_18offset_tEEE10hipError_tPvRmT1_PNSt15iterator_traitsISZ_E10value_typeET2_T3_PNS10_IS15_E10value_typeET4_jRbjT5_S1B_jjP12ihipStream_tbEUljE_EEESW_SX_SY_S15_S19_S1B_T6_T7_T9_mT8_S1D_bDpT10_ENKUlT_T0_E_clISt17integral_constantIbLb0EES1P_IbLb1EEEEDaS1L_S1M_EUlS1L_E_NS1_11comp_targetILNS1_3genE9ELNS1_11target_archE1100ELNS1_3gpuE3ELNS1_3repE0EEENS1_30default_config_static_selectorELNS0_4arch9wavefront6targetE0EEEvSZ_.num_agpr, 0
	.set _ZN7rocprim17ROCPRIM_400000_NS6detail17trampoline_kernelINS0_13select_configILj256ELj13ELNS0_17block_load_methodE3ELS4_3ELS4_3ELNS0_20block_scan_algorithmE0ELj4294967295EEENS1_25partition_config_selectorILNS1_17partition_subalgoE3EjNS0_10empty_typeEbEEZZNS1_14partition_implILS8_3ELb0ES6_jNS0_17counting_iteratorIjlEEPS9_SE_NS0_5tupleIJPjSE_EEENSF_IJSE_SE_EEES9_SG_JZNS1_25segmented_radix_sort_implINS0_14default_configELb0EPK12hip_bfloat16PSL_PKlPlN2at6native12_GLOBAL__N_18offset_tEEE10hipError_tPvRmT1_PNSt15iterator_traitsISZ_E10value_typeET2_T3_PNS10_IS15_E10value_typeET4_jRbjT5_S1B_jjP12ihipStream_tbEUljE_EEESW_SX_SY_S15_S19_S1B_T6_T7_T9_mT8_S1D_bDpT10_ENKUlT_T0_E_clISt17integral_constantIbLb0EES1P_IbLb1EEEEDaS1L_S1M_EUlS1L_E_NS1_11comp_targetILNS1_3genE9ELNS1_11target_archE1100ELNS1_3gpuE3ELNS1_3repE0EEENS1_30default_config_static_selectorELNS0_4arch9wavefront6targetE0EEEvSZ_.numbered_sgpr, 0
	.set _ZN7rocprim17ROCPRIM_400000_NS6detail17trampoline_kernelINS0_13select_configILj256ELj13ELNS0_17block_load_methodE3ELS4_3ELS4_3ELNS0_20block_scan_algorithmE0ELj4294967295EEENS1_25partition_config_selectorILNS1_17partition_subalgoE3EjNS0_10empty_typeEbEEZZNS1_14partition_implILS8_3ELb0ES6_jNS0_17counting_iteratorIjlEEPS9_SE_NS0_5tupleIJPjSE_EEENSF_IJSE_SE_EEES9_SG_JZNS1_25segmented_radix_sort_implINS0_14default_configELb0EPK12hip_bfloat16PSL_PKlPlN2at6native12_GLOBAL__N_18offset_tEEE10hipError_tPvRmT1_PNSt15iterator_traitsISZ_E10value_typeET2_T3_PNS10_IS15_E10value_typeET4_jRbjT5_S1B_jjP12ihipStream_tbEUljE_EEESW_SX_SY_S15_S19_S1B_T6_T7_T9_mT8_S1D_bDpT10_ENKUlT_T0_E_clISt17integral_constantIbLb0EES1P_IbLb1EEEEDaS1L_S1M_EUlS1L_E_NS1_11comp_targetILNS1_3genE9ELNS1_11target_archE1100ELNS1_3gpuE3ELNS1_3repE0EEENS1_30default_config_static_selectorELNS0_4arch9wavefront6targetE0EEEvSZ_.num_named_barrier, 0
	.set _ZN7rocprim17ROCPRIM_400000_NS6detail17trampoline_kernelINS0_13select_configILj256ELj13ELNS0_17block_load_methodE3ELS4_3ELS4_3ELNS0_20block_scan_algorithmE0ELj4294967295EEENS1_25partition_config_selectorILNS1_17partition_subalgoE3EjNS0_10empty_typeEbEEZZNS1_14partition_implILS8_3ELb0ES6_jNS0_17counting_iteratorIjlEEPS9_SE_NS0_5tupleIJPjSE_EEENSF_IJSE_SE_EEES9_SG_JZNS1_25segmented_radix_sort_implINS0_14default_configELb0EPK12hip_bfloat16PSL_PKlPlN2at6native12_GLOBAL__N_18offset_tEEE10hipError_tPvRmT1_PNSt15iterator_traitsISZ_E10value_typeET2_T3_PNS10_IS15_E10value_typeET4_jRbjT5_S1B_jjP12ihipStream_tbEUljE_EEESW_SX_SY_S15_S19_S1B_T6_T7_T9_mT8_S1D_bDpT10_ENKUlT_T0_E_clISt17integral_constantIbLb0EES1P_IbLb1EEEEDaS1L_S1M_EUlS1L_E_NS1_11comp_targetILNS1_3genE9ELNS1_11target_archE1100ELNS1_3gpuE3ELNS1_3repE0EEENS1_30default_config_static_selectorELNS0_4arch9wavefront6targetE0EEEvSZ_.private_seg_size, 0
	.set _ZN7rocprim17ROCPRIM_400000_NS6detail17trampoline_kernelINS0_13select_configILj256ELj13ELNS0_17block_load_methodE3ELS4_3ELS4_3ELNS0_20block_scan_algorithmE0ELj4294967295EEENS1_25partition_config_selectorILNS1_17partition_subalgoE3EjNS0_10empty_typeEbEEZZNS1_14partition_implILS8_3ELb0ES6_jNS0_17counting_iteratorIjlEEPS9_SE_NS0_5tupleIJPjSE_EEENSF_IJSE_SE_EEES9_SG_JZNS1_25segmented_radix_sort_implINS0_14default_configELb0EPK12hip_bfloat16PSL_PKlPlN2at6native12_GLOBAL__N_18offset_tEEE10hipError_tPvRmT1_PNSt15iterator_traitsISZ_E10value_typeET2_T3_PNS10_IS15_E10value_typeET4_jRbjT5_S1B_jjP12ihipStream_tbEUljE_EEESW_SX_SY_S15_S19_S1B_T6_T7_T9_mT8_S1D_bDpT10_ENKUlT_T0_E_clISt17integral_constantIbLb0EES1P_IbLb1EEEEDaS1L_S1M_EUlS1L_E_NS1_11comp_targetILNS1_3genE9ELNS1_11target_archE1100ELNS1_3gpuE3ELNS1_3repE0EEENS1_30default_config_static_selectorELNS0_4arch9wavefront6targetE0EEEvSZ_.uses_vcc, 0
	.set _ZN7rocprim17ROCPRIM_400000_NS6detail17trampoline_kernelINS0_13select_configILj256ELj13ELNS0_17block_load_methodE3ELS4_3ELS4_3ELNS0_20block_scan_algorithmE0ELj4294967295EEENS1_25partition_config_selectorILNS1_17partition_subalgoE3EjNS0_10empty_typeEbEEZZNS1_14partition_implILS8_3ELb0ES6_jNS0_17counting_iteratorIjlEEPS9_SE_NS0_5tupleIJPjSE_EEENSF_IJSE_SE_EEES9_SG_JZNS1_25segmented_radix_sort_implINS0_14default_configELb0EPK12hip_bfloat16PSL_PKlPlN2at6native12_GLOBAL__N_18offset_tEEE10hipError_tPvRmT1_PNSt15iterator_traitsISZ_E10value_typeET2_T3_PNS10_IS15_E10value_typeET4_jRbjT5_S1B_jjP12ihipStream_tbEUljE_EEESW_SX_SY_S15_S19_S1B_T6_T7_T9_mT8_S1D_bDpT10_ENKUlT_T0_E_clISt17integral_constantIbLb0EES1P_IbLb1EEEEDaS1L_S1M_EUlS1L_E_NS1_11comp_targetILNS1_3genE9ELNS1_11target_archE1100ELNS1_3gpuE3ELNS1_3repE0EEENS1_30default_config_static_selectorELNS0_4arch9wavefront6targetE0EEEvSZ_.uses_flat_scratch, 0
	.set _ZN7rocprim17ROCPRIM_400000_NS6detail17trampoline_kernelINS0_13select_configILj256ELj13ELNS0_17block_load_methodE3ELS4_3ELS4_3ELNS0_20block_scan_algorithmE0ELj4294967295EEENS1_25partition_config_selectorILNS1_17partition_subalgoE3EjNS0_10empty_typeEbEEZZNS1_14partition_implILS8_3ELb0ES6_jNS0_17counting_iteratorIjlEEPS9_SE_NS0_5tupleIJPjSE_EEENSF_IJSE_SE_EEES9_SG_JZNS1_25segmented_radix_sort_implINS0_14default_configELb0EPK12hip_bfloat16PSL_PKlPlN2at6native12_GLOBAL__N_18offset_tEEE10hipError_tPvRmT1_PNSt15iterator_traitsISZ_E10value_typeET2_T3_PNS10_IS15_E10value_typeET4_jRbjT5_S1B_jjP12ihipStream_tbEUljE_EEESW_SX_SY_S15_S19_S1B_T6_T7_T9_mT8_S1D_bDpT10_ENKUlT_T0_E_clISt17integral_constantIbLb0EES1P_IbLb1EEEEDaS1L_S1M_EUlS1L_E_NS1_11comp_targetILNS1_3genE9ELNS1_11target_archE1100ELNS1_3gpuE3ELNS1_3repE0EEENS1_30default_config_static_selectorELNS0_4arch9wavefront6targetE0EEEvSZ_.has_dyn_sized_stack, 0
	.set _ZN7rocprim17ROCPRIM_400000_NS6detail17trampoline_kernelINS0_13select_configILj256ELj13ELNS0_17block_load_methodE3ELS4_3ELS4_3ELNS0_20block_scan_algorithmE0ELj4294967295EEENS1_25partition_config_selectorILNS1_17partition_subalgoE3EjNS0_10empty_typeEbEEZZNS1_14partition_implILS8_3ELb0ES6_jNS0_17counting_iteratorIjlEEPS9_SE_NS0_5tupleIJPjSE_EEENSF_IJSE_SE_EEES9_SG_JZNS1_25segmented_radix_sort_implINS0_14default_configELb0EPK12hip_bfloat16PSL_PKlPlN2at6native12_GLOBAL__N_18offset_tEEE10hipError_tPvRmT1_PNSt15iterator_traitsISZ_E10value_typeET2_T3_PNS10_IS15_E10value_typeET4_jRbjT5_S1B_jjP12ihipStream_tbEUljE_EEESW_SX_SY_S15_S19_S1B_T6_T7_T9_mT8_S1D_bDpT10_ENKUlT_T0_E_clISt17integral_constantIbLb0EES1P_IbLb1EEEEDaS1L_S1M_EUlS1L_E_NS1_11comp_targetILNS1_3genE9ELNS1_11target_archE1100ELNS1_3gpuE3ELNS1_3repE0EEENS1_30default_config_static_selectorELNS0_4arch9wavefront6targetE0EEEvSZ_.has_recursion, 0
	.set _ZN7rocprim17ROCPRIM_400000_NS6detail17trampoline_kernelINS0_13select_configILj256ELj13ELNS0_17block_load_methodE3ELS4_3ELS4_3ELNS0_20block_scan_algorithmE0ELj4294967295EEENS1_25partition_config_selectorILNS1_17partition_subalgoE3EjNS0_10empty_typeEbEEZZNS1_14partition_implILS8_3ELb0ES6_jNS0_17counting_iteratorIjlEEPS9_SE_NS0_5tupleIJPjSE_EEENSF_IJSE_SE_EEES9_SG_JZNS1_25segmented_radix_sort_implINS0_14default_configELb0EPK12hip_bfloat16PSL_PKlPlN2at6native12_GLOBAL__N_18offset_tEEE10hipError_tPvRmT1_PNSt15iterator_traitsISZ_E10value_typeET2_T3_PNS10_IS15_E10value_typeET4_jRbjT5_S1B_jjP12ihipStream_tbEUljE_EEESW_SX_SY_S15_S19_S1B_T6_T7_T9_mT8_S1D_bDpT10_ENKUlT_T0_E_clISt17integral_constantIbLb0EES1P_IbLb1EEEEDaS1L_S1M_EUlS1L_E_NS1_11comp_targetILNS1_3genE9ELNS1_11target_archE1100ELNS1_3gpuE3ELNS1_3repE0EEENS1_30default_config_static_selectorELNS0_4arch9wavefront6targetE0EEEvSZ_.has_indirect_call, 0
	.section	.AMDGPU.csdata,"",@progbits
; Kernel info:
; codeLenInByte = 0
; TotalNumSgprs: 0
; NumVgprs: 0
; ScratchSize: 0
; MemoryBound: 0
; FloatMode: 240
; IeeeMode: 1
; LDSByteSize: 0 bytes/workgroup (compile time only)
; SGPRBlocks: 0
; VGPRBlocks: 0
; NumSGPRsForWavesPerEU: 1
; NumVGPRsForWavesPerEU: 1
; Occupancy: 16
; WaveLimiterHint : 0
; COMPUTE_PGM_RSRC2:SCRATCH_EN: 0
; COMPUTE_PGM_RSRC2:USER_SGPR: 6
; COMPUTE_PGM_RSRC2:TRAP_HANDLER: 0
; COMPUTE_PGM_RSRC2:TGID_X_EN: 1
; COMPUTE_PGM_RSRC2:TGID_Y_EN: 0
; COMPUTE_PGM_RSRC2:TGID_Z_EN: 0
; COMPUTE_PGM_RSRC2:TIDIG_COMP_CNT: 0
	.section	.text._ZN7rocprim17ROCPRIM_400000_NS6detail17trampoline_kernelINS0_13select_configILj256ELj13ELNS0_17block_load_methodE3ELS4_3ELS4_3ELNS0_20block_scan_algorithmE0ELj4294967295EEENS1_25partition_config_selectorILNS1_17partition_subalgoE3EjNS0_10empty_typeEbEEZZNS1_14partition_implILS8_3ELb0ES6_jNS0_17counting_iteratorIjlEEPS9_SE_NS0_5tupleIJPjSE_EEENSF_IJSE_SE_EEES9_SG_JZNS1_25segmented_radix_sort_implINS0_14default_configELb0EPK12hip_bfloat16PSL_PKlPlN2at6native12_GLOBAL__N_18offset_tEEE10hipError_tPvRmT1_PNSt15iterator_traitsISZ_E10value_typeET2_T3_PNS10_IS15_E10value_typeET4_jRbjT5_S1B_jjP12ihipStream_tbEUljE_EEESW_SX_SY_S15_S19_S1B_T6_T7_T9_mT8_S1D_bDpT10_ENKUlT_T0_E_clISt17integral_constantIbLb0EES1P_IbLb1EEEEDaS1L_S1M_EUlS1L_E_NS1_11comp_targetILNS1_3genE8ELNS1_11target_archE1030ELNS1_3gpuE2ELNS1_3repE0EEENS1_30default_config_static_selectorELNS0_4arch9wavefront6targetE0EEEvSZ_,"axG",@progbits,_ZN7rocprim17ROCPRIM_400000_NS6detail17trampoline_kernelINS0_13select_configILj256ELj13ELNS0_17block_load_methodE3ELS4_3ELS4_3ELNS0_20block_scan_algorithmE0ELj4294967295EEENS1_25partition_config_selectorILNS1_17partition_subalgoE3EjNS0_10empty_typeEbEEZZNS1_14partition_implILS8_3ELb0ES6_jNS0_17counting_iteratorIjlEEPS9_SE_NS0_5tupleIJPjSE_EEENSF_IJSE_SE_EEES9_SG_JZNS1_25segmented_radix_sort_implINS0_14default_configELb0EPK12hip_bfloat16PSL_PKlPlN2at6native12_GLOBAL__N_18offset_tEEE10hipError_tPvRmT1_PNSt15iterator_traitsISZ_E10value_typeET2_T3_PNS10_IS15_E10value_typeET4_jRbjT5_S1B_jjP12ihipStream_tbEUljE_EEESW_SX_SY_S15_S19_S1B_T6_T7_T9_mT8_S1D_bDpT10_ENKUlT_T0_E_clISt17integral_constantIbLb0EES1P_IbLb1EEEEDaS1L_S1M_EUlS1L_E_NS1_11comp_targetILNS1_3genE8ELNS1_11target_archE1030ELNS1_3gpuE2ELNS1_3repE0EEENS1_30default_config_static_selectorELNS0_4arch9wavefront6targetE0EEEvSZ_,comdat
	.globl	_ZN7rocprim17ROCPRIM_400000_NS6detail17trampoline_kernelINS0_13select_configILj256ELj13ELNS0_17block_load_methodE3ELS4_3ELS4_3ELNS0_20block_scan_algorithmE0ELj4294967295EEENS1_25partition_config_selectorILNS1_17partition_subalgoE3EjNS0_10empty_typeEbEEZZNS1_14partition_implILS8_3ELb0ES6_jNS0_17counting_iteratorIjlEEPS9_SE_NS0_5tupleIJPjSE_EEENSF_IJSE_SE_EEES9_SG_JZNS1_25segmented_radix_sort_implINS0_14default_configELb0EPK12hip_bfloat16PSL_PKlPlN2at6native12_GLOBAL__N_18offset_tEEE10hipError_tPvRmT1_PNSt15iterator_traitsISZ_E10value_typeET2_T3_PNS10_IS15_E10value_typeET4_jRbjT5_S1B_jjP12ihipStream_tbEUljE_EEESW_SX_SY_S15_S19_S1B_T6_T7_T9_mT8_S1D_bDpT10_ENKUlT_T0_E_clISt17integral_constantIbLb0EES1P_IbLb1EEEEDaS1L_S1M_EUlS1L_E_NS1_11comp_targetILNS1_3genE8ELNS1_11target_archE1030ELNS1_3gpuE2ELNS1_3repE0EEENS1_30default_config_static_selectorELNS0_4arch9wavefront6targetE0EEEvSZ_ ; -- Begin function _ZN7rocprim17ROCPRIM_400000_NS6detail17trampoline_kernelINS0_13select_configILj256ELj13ELNS0_17block_load_methodE3ELS4_3ELS4_3ELNS0_20block_scan_algorithmE0ELj4294967295EEENS1_25partition_config_selectorILNS1_17partition_subalgoE3EjNS0_10empty_typeEbEEZZNS1_14partition_implILS8_3ELb0ES6_jNS0_17counting_iteratorIjlEEPS9_SE_NS0_5tupleIJPjSE_EEENSF_IJSE_SE_EEES9_SG_JZNS1_25segmented_radix_sort_implINS0_14default_configELb0EPK12hip_bfloat16PSL_PKlPlN2at6native12_GLOBAL__N_18offset_tEEE10hipError_tPvRmT1_PNSt15iterator_traitsISZ_E10value_typeET2_T3_PNS10_IS15_E10value_typeET4_jRbjT5_S1B_jjP12ihipStream_tbEUljE_EEESW_SX_SY_S15_S19_S1B_T6_T7_T9_mT8_S1D_bDpT10_ENKUlT_T0_E_clISt17integral_constantIbLb0EES1P_IbLb1EEEEDaS1L_S1M_EUlS1L_E_NS1_11comp_targetILNS1_3genE8ELNS1_11target_archE1030ELNS1_3gpuE2ELNS1_3repE0EEENS1_30default_config_static_selectorELNS0_4arch9wavefront6targetE0EEEvSZ_
	.p2align	8
	.type	_ZN7rocprim17ROCPRIM_400000_NS6detail17trampoline_kernelINS0_13select_configILj256ELj13ELNS0_17block_load_methodE3ELS4_3ELS4_3ELNS0_20block_scan_algorithmE0ELj4294967295EEENS1_25partition_config_selectorILNS1_17partition_subalgoE3EjNS0_10empty_typeEbEEZZNS1_14partition_implILS8_3ELb0ES6_jNS0_17counting_iteratorIjlEEPS9_SE_NS0_5tupleIJPjSE_EEENSF_IJSE_SE_EEES9_SG_JZNS1_25segmented_radix_sort_implINS0_14default_configELb0EPK12hip_bfloat16PSL_PKlPlN2at6native12_GLOBAL__N_18offset_tEEE10hipError_tPvRmT1_PNSt15iterator_traitsISZ_E10value_typeET2_T3_PNS10_IS15_E10value_typeET4_jRbjT5_S1B_jjP12ihipStream_tbEUljE_EEESW_SX_SY_S15_S19_S1B_T6_T7_T9_mT8_S1D_bDpT10_ENKUlT_T0_E_clISt17integral_constantIbLb0EES1P_IbLb1EEEEDaS1L_S1M_EUlS1L_E_NS1_11comp_targetILNS1_3genE8ELNS1_11target_archE1030ELNS1_3gpuE2ELNS1_3repE0EEENS1_30default_config_static_selectorELNS0_4arch9wavefront6targetE0EEEvSZ_,@function
_ZN7rocprim17ROCPRIM_400000_NS6detail17trampoline_kernelINS0_13select_configILj256ELj13ELNS0_17block_load_methodE3ELS4_3ELS4_3ELNS0_20block_scan_algorithmE0ELj4294967295EEENS1_25partition_config_selectorILNS1_17partition_subalgoE3EjNS0_10empty_typeEbEEZZNS1_14partition_implILS8_3ELb0ES6_jNS0_17counting_iteratorIjlEEPS9_SE_NS0_5tupleIJPjSE_EEENSF_IJSE_SE_EEES9_SG_JZNS1_25segmented_radix_sort_implINS0_14default_configELb0EPK12hip_bfloat16PSL_PKlPlN2at6native12_GLOBAL__N_18offset_tEEE10hipError_tPvRmT1_PNSt15iterator_traitsISZ_E10value_typeET2_T3_PNS10_IS15_E10value_typeET4_jRbjT5_S1B_jjP12ihipStream_tbEUljE_EEESW_SX_SY_S15_S19_S1B_T6_T7_T9_mT8_S1D_bDpT10_ENKUlT_T0_E_clISt17integral_constantIbLb0EES1P_IbLb1EEEEDaS1L_S1M_EUlS1L_E_NS1_11comp_targetILNS1_3genE8ELNS1_11target_archE1030ELNS1_3gpuE2ELNS1_3repE0EEENS1_30default_config_static_selectorELNS0_4arch9wavefront6targetE0EEEvSZ_: ; @_ZN7rocprim17ROCPRIM_400000_NS6detail17trampoline_kernelINS0_13select_configILj256ELj13ELNS0_17block_load_methodE3ELS4_3ELS4_3ELNS0_20block_scan_algorithmE0ELj4294967295EEENS1_25partition_config_selectorILNS1_17partition_subalgoE3EjNS0_10empty_typeEbEEZZNS1_14partition_implILS8_3ELb0ES6_jNS0_17counting_iteratorIjlEEPS9_SE_NS0_5tupleIJPjSE_EEENSF_IJSE_SE_EEES9_SG_JZNS1_25segmented_radix_sort_implINS0_14default_configELb0EPK12hip_bfloat16PSL_PKlPlN2at6native12_GLOBAL__N_18offset_tEEE10hipError_tPvRmT1_PNSt15iterator_traitsISZ_E10value_typeET2_T3_PNS10_IS15_E10value_typeET4_jRbjT5_S1B_jjP12ihipStream_tbEUljE_EEESW_SX_SY_S15_S19_S1B_T6_T7_T9_mT8_S1D_bDpT10_ENKUlT_T0_E_clISt17integral_constantIbLb0EES1P_IbLb1EEEEDaS1L_S1M_EUlS1L_E_NS1_11comp_targetILNS1_3genE8ELNS1_11target_archE1030ELNS1_3gpuE2ELNS1_3repE0EEENS1_30default_config_static_selectorELNS0_4arch9wavefront6targetE0EEEvSZ_
; %bb.0:
	s_clause 0x6
	s_load_dwordx2 s[18:19], s[4:5], 0x10
	s_load_dwordx2 s[16:17], s[4:5], 0x28
	;; [unrolled: 1-line block ×3, first 2 shown]
	s_load_dwordx4 s[12:15], s[4:5], 0x48
	s_load_dword s2, s[4:5], 0x90
	s_load_dwordx2 s[22:23], s[4:5], 0x68
	s_load_dwordx4 s[8:11], s[4:5], 0x80
	v_cmp_eq_u32_e64 s0, 0, v0
	s_and_saveexec_b32 s1, s0
	s_cbranch_execz .LBB2038_4
; %bb.1:
	s_mov_b32 s6, exec_lo
	s_mov_b32 s3, exec_lo
	v_mbcnt_lo_u32_b32 v1, s6, 0
                                        ; implicit-def: $vgpr2
	v_cmpx_eq_u32_e32 0, v1
	s_cbranch_execz .LBB2038_3
; %bb.2:
	s_load_dwordx2 s[24:25], s[4:5], 0x78
	s_bcnt1_i32_b32 s6, s6
	v_mov_b32_e32 v2, 0
	v_mov_b32_e32 v3, s6
	s_waitcnt lgkmcnt(0)
	global_atomic_add v2, v2, v3, s[24:25] glc
.LBB2038_3:
	s_or_b32 exec_lo, exec_lo, s3
	s_waitcnt vmcnt(0)
	v_readfirstlane_b32 s3, v2
	v_mov_b32_e32 v2, 0
	v_add_nc_u32_e32 v1, s3, v1
	ds_write_b32 v2, v1
.LBB2038_4:
	s_or_b32 exec_lo, exec_lo, s1
	v_mov_b32_e32 v1, 0
	s_clause 0x1
	s_load_dword s3, s[4:5], 0x8
	s_load_dword s1, s[4:5], 0x70
	s_waitcnt lgkmcnt(0)
	s_barrier
	buffer_gl0_inv
	ds_read_b32 v2, v1
	s_waitcnt lgkmcnt(0)
	s_barrier
	buffer_gl0_inv
	global_load_dwordx2 v[18:19], v1, s[14:15]
	v_lshlrev_b32_e32 v44, 2, v0
	s_add_i32 s4, s3, s18
	s_mul_i32 s5, s1, 0xd00
	s_add_i32 s1, s1, -1
	s_add_i32 s3, s5, s18
	s_sub_i32 s15, s20, s3
	v_readfirstlane_b32 s25, v2
	s_addk_i32 s15, 0xd00
	s_add_u32 s6, s18, s5
	s_addc_u32 s7, s19, 0
	v_cmp_ne_u32_e32 vcc_lo, s1, v2
	v_cmp_gt_u64_e64 s3, s[20:21], s[6:7]
	s_cmp_eq_u32 s25, s1
	s_mul_i32 s24, s25, 0xd00
	s_cselect_b32 s14, -1, 0
	s_mov_b32 s5, -1
	s_or_b32 s3, s3, vcc_lo
	s_and_b32 vcc_lo, exec_lo, s3
	s_cbranch_vccz .LBB2038_6
; %bb.5:
	v_add3_u32 v1, s24, s4, v0
	s_mov_b32 s5, 0
	v_add_nc_u32_e32 v2, 0x100, v1
	v_add_nc_u32_e32 v3, 0x200, v1
	;; [unrolled: 1-line block ×12, first 2 shown]
	ds_write2st64_b32 v44, v1, v2 offset1:4
	ds_write2st64_b32 v44, v3, v4 offset0:8 offset1:12
	ds_write2st64_b32 v44, v5, v6 offset0:16 offset1:20
	;; [unrolled: 1-line block ×5, first 2 shown]
	ds_write_b32 v44, v13 offset:12288
	s_waitcnt vmcnt(0) lgkmcnt(0)
	s_barrier
.LBB2038_6:
	v_cmp_gt_u32_e64 s1, s15, v0
	v_or_b32_e32 v43, 0x100, v0
	v_or_b32_e32 v42, 0x200, v0
	v_or_b32_e32 v41, 0x300, v0
	v_or_b32_e32 v40, 0x400, v0
	v_or_b32_e32 v39, 0x500, v0
	v_or_b32_e32 v38, 0x600, v0
	v_or_b32_e32 v37, 0x700, v0
	v_or_b32_e32 v36, 0x800, v0
	v_or_b32_e32 v35, 0x900, v0
	v_or_b32_e32 v34, 0xa00, v0
	v_or_b32_e32 v33, 0xb00, v0
	v_or_b32_e32 v32, 0xc00, v0
	s_andn2_b32 vcc_lo, exec_lo, s5
	s_cbranch_vccnz .LBB2038_8
; %bb.7:
	s_add_i32 s4, s24, s4
	v_cmp_gt_u32_e32 vcc_lo, s15, v43
	v_add_nc_u32_e32 v2, s4, v43
	v_add_nc_u32_e32 v3, s4, v42
	;; [unrolled: 1-line block ×5, first 2 shown]
	v_cndmask_b32_e32 v2, 0, v2, vcc_lo
	v_cmp_gt_u32_e32 vcc_lo, s15, v42
	v_add_nc_u32_e32 v7, s4, v38
	v_add_nc_u32_e32 v8, s4, v37
	;; [unrolled: 1-line block ×4, first 2 shown]
	v_cndmask_b32_e32 v3, 0, v3, vcc_lo
	v_cmp_gt_u32_e32 vcc_lo, s15, v41
	v_add_nc_u32_e32 v11, s4, v34
	v_add_nc_u32_e32 v1, s4, v0
	;; [unrolled: 1-line block ×4, first 2 shown]
	v_cndmask_b32_e32 v4, 0, v4, vcc_lo
	v_cmp_gt_u32_e32 vcc_lo, s15, v40
	v_cndmask_b32_e64 v1, 0, v1, s1
	v_cndmask_b32_e32 v5, 0, v5, vcc_lo
	v_cmp_gt_u32_e32 vcc_lo, s15, v39
	v_cndmask_b32_e32 v6, 0, v6, vcc_lo
	v_cmp_gt_u32_e32 vcc_lo, s15, v38
	;; [unrolled: 2-line block ×8, first 2 shown]
	v_cndmask_b32_e32 v13, 0, v13, vcc_lo
	ds_write2st64_b32 v44, v1, v2 offset1:4
	ds_write2st64_b32 v44, v3, v4 offset0:8 offset1:12
	ds_write2st64_b32 v44, v5, v6 offset0:16 offset1:20
	;; [unrolled: 1-line block ×5, first 2 shown]
	ds_write_b32 v44, v13 offset:12288
	s_waitcnt vmcnt(0) lgkmcnt(0)
	s_barrier
.LBB2038_8:
	v_mul_u32_u24_e32 v47, 13, v0
	s_waitcnt vmcnt(0)
	buffer_gl0_inv
	v_cndmask_b32_e64 v45, 0, 1, s3
	s_andn2_b32 vcc_lo, exec_lo, s3
	v_lshlrev_b32_e32 v1, 2, v47
	ds_read2_b32 v[28:29], v1 offset0:2 offset1:3
	ds_read2_b32 v[24:25], v1 offset0:6 offset1:7
	;; [unrolled: 1-line block ×3, first 2 shown]
	ds_read2_b32 v[30:31], v1 offset1:1
	ds_read2_b32 v[20:21], v1 offset0:10 offset1:11
	ds_read_b32 v46, v1 offset:48
	ds_read2_b32 v[22:23], v1 offset0:8 offset1:9
	s_waitcnt lgkmcnt(0)
	s_barrier
	buffer_gl0_inv
	s_cbranch_vccnz .LBB2038_10
; %bb.9:
	v_add_nc_u32_e32 v1, s9, v29
	v_add_nc_u32_e32 v4, s9, v28
	v_add_nc_u32_e32 v5, s11, v29
	v_add_nc_u32_e32 v8, s11, v28
	v_add_nc_u32_e32 v2, s9, v31
	v_add_nc_u32_e32 v6, s11, v31
	v_mul_lo_u32 v4, v4, s8
	v_mul_lo_u32 v1, v1, s8
	;; [unrolled: 1-line block ×4, first 2 shown]
	v_add_nc_u32_e32 v3, s9, v30
	v_add_nc_u32_e32 v7, s11, v30
	v_mul_lo_u32 v2, v2, s8
	v_mul_lo_u32 v6, v6, s10
	v_add_nc_u32_e32 v10, s11, v27
	v_mul_lo_u32 v3, v3, s8
	v_mul_lo_u32 v7, v7, s10
	v_sub_nc_u32_e32 v1, v1, v5
	v_sub_nc_u32_e32 v4, v4, v8
	v_add_nc_u32_e32 v5, s9, v25
	v_add_nc_u32_e32 v8, s11, v25
	v_sub_nc_u32_e32 v2, v2, v6
	v_add_nc_u32_e32 v6, s9, v27
	v_add_nc_u32_e32 v9, s9, v24
	v_mul_lo_u32 v5, v5, s8
	v_mul_lo_u32 v8, v8, s10
	v_sub_nc_u32_e32 v3, v3, v7
	v_add_nc_u32_e32 v7, s9, v26
	v_add_nc_u32_e32 v11, s11, v24
	v_mul_lo_u32 v6, v6, s8
	v_mul_lo_u32 v10, v10, s10
	v_add_nc_u32_e32 v12, s11, v26
	v_mul_lo_u32 v9, v9, s8
	v_mul_lo_u32 v7, v7, s8
	;; [unrolled: 1-line block ×3, first 2 shown]
	v_sub_nc_u32_e32 v5, v5, v8
	v_mul_lo_u32 v8, v12, s10
	v_cmp_lt_u32_e32 vcc_lo, s2, v1
	v_sub_nc_u32_e32 v6, v6, v10
	v_add_nc_u32_e32 v10, s9, v21
	v_add_nc_u32_e32 v14, s11, v21
	;; [unrolled: 1-line block ×3, first 2 shown]
	v_cndmask_b32_e64 v1, 0, 1, vcc_lo
	v_cmp_lt_u32_e32 vcc_lo, s2, v2
	v_sub_nc_u32_e32 v7, v7, v8
	v_sub_nc_u32_e32 v8, v9, v11
	v_add_nc_u32_e32 v11, s9, v23
	v_mul_lo_u32 v10, v10, s8
	v_mul_lo_u32 v14, v14, s10
	v_cndmask_b32_e64 v2, 0, 1, vcc_lo
	v_cmp_lt_u32_e32 vcc_lo, s2, v5
	v_mul_lo_u32 v11, v11, s8
	v_mul_lo_u32 v15, v15, s10
	v_mov_b32_e32 v9, 8
	v_lshlrev_b16 v2, 8, v2
	v_cndmask_b32_e64 v5, 0, 1, vcc_lo
	v_cmp_lt_u32_e32 vcc_lo, s2, v6
	v_sub_nc_u32_e32 v10, v10, v14
	v_add_nc_u32_e32 v12, s9, v22
	v_add_nc_u32_e32 v16, s11, v22
	v_sub_nc_u32_e32 v11, v11, v15
	v_cndmask_b32_e64 v6, 0, 1, vcc_lo
	v_cmp_lt_u32_e32 vcc_lo, s2, v10
	v_lshrrev_b32_sdwa v2, v9, v2 dst_sel:BYTE_1 dst_unused:UNUSED_PAD src0_sel:DWORD src1_sel:DWORD
	v_add_nc_u32_e32 v13, s9, v20
	v_add_nc_u32_e32 v17, s11, v20
	v_mul_lo_u32 v12, v12, s8
	v_cndmask_b32_e64 v10, 0, 1, vcc_lo
	v_cmp_lt_u32_e32 vcc_lo, s2, v11
	v_mul_lo_u32 v16, v16, s10
	v_mul_lo_u32 v13, v13, s8
	;; [unrolled: 1-line block ×3, first 2 shown]
	v_add_nc_u32_e32 v14, s9, v46
	v_cndmask_b32_e64 v11, 0, 1, vcc_lo
	v_cmp_lt_u32_e32 vcc_lo, s2, v3
	v_add_nc_u32_e32 v15, s11, v46
	v_lshlrev_b16 v1, 8, v1
	v_sub_nc_u32_e32 v12, v12, v16
	v_lshlrev_b16 v11, 8, v11
	v_cndmask_b32_e64 v3, 0, 1, vcc_lo
	v_cmp_lt_u32_e32 vcc_lo, s2, v4
	v_sub_nc_u32_e32 v13, v13, v17
	v_mul_lo_u32 v14, v14, s8
	v_mul_lo_u32 v15, v15, s10
	v_or_b32_e32 v2, v3, v2
	v_cndmask_b32_e64 v3, 0, 1, vcc_lo
	v_cmp_lt_u32_e32 vcc_lo, s2, v7
	v_lshlrev_b16 v6, 8, v6
	v_lshlrev_b16 v10, 8, v10
	v_lshlrev_b16 v5, 8, v5
	v_lshrrev_b32_sdwa v1, v9, v1 dst_sel:BYTE_1 dst_unused:UNUSED_PAD src0_sel:DWORD src1_sel:DWORD
	v_cndmask_b32_e64 v4, 0, 1, vcc_lo
	v_cmp_lt_u32_e32 vcc_lo, s2, v8
	v_lshrrev_b32_sdwa v8, v9, v11 dst_sel:BYTE_1 dst_unused:UNUSED_PAD src0_sel:DWORD src1_sel:DWORD
	v_lshrrev_b32_sdwa v6, v9, v6 dst_sel:BYTE_1 dst_unused:UNUSED_PAD src0_sel:DWORD src1_sel:DWORD
	v_sub_nc_u32_e32 v14, v14, v15
	v_lshrrev_b32_sdwa v9, v9, v10 dst_sel:BYTE_1 dst_unused:UNUSED_PAD src0_sel:DWORD src1_sel:DWORD
	v_cndmask_b32_e64 v7, 0, 1, vcc_lo
	v_cmp_lt_u32_e32 vcc_lo, s2, v12
	v_or_b32_sdwa v1, v3, v1 dst_sel:WORD_1 dst_unused:UNUSED_PAD src0_sel:DWORD src1_sel:DWORD
	v_or_b32_e32 v3, v4, v6
	v_or_b32_sdwa v4, v7, v5 dst_sel:WORD_1 dst_unused:UNUSED_PAD src0_sel:DWORD src1_sel:DWORD
	v_cndmask_b32_e64 v11, 0, 1, vcc_lo
	v_cmp_lt_u32_e32 vcc_lo, s2, v13
	v_or_b32_sdwa v52, v2, v1 dst_sel:DWORD dst_unused:UNUSED_PAD src0_sel:WORD_0 src1_sel:DWORD
	v_or_b32_sdwa v50, v3, v4 dst_sel:DWORD dst_unused:UNUSED_PAD src0_sel:WORD_0 src1_sel:DWORD
	v_or_b32_e32 v5, v11, v8
	v_cndmask_b32_e64 v10, 0, 1, vcc_lo
	v_cmp_lt_u32_e32 vcc_lo, s2, v14
	v_or_b32_sdwa v6, v10, v9 dst_sel:WORD_1 dst_unused:UNUSED_PAD src0_sel:DWORD src1_sel:DWORD
	v_cndmask_b32_e64 v48, 0, 1, vcc_lo
	v_or_b32_sdwa v49, v5, v6 dst_sel:DWORD dst_unused:UNUSED_PAD src0_sel:WORD_0 src1_sel:DWORD
	s_cbranch_execz .LBB2038_11
	s_branch .LBB2038_38
.LBB2038_10:
                                        ; implicit-def: $vgpr48
                                        ; implicit-def: $vgpr49
                                        ; implicit-def: $vgpr50
                                        ; implicit-def: $vgpr52
.LBB2038_11:
	v_mov_b32_e32 v2, 0
	v_mov_b32_e32 v1, 0
	s_mov_b32 s1, exec_lo
	v_cmpx_gt_u32_e64 s15, v47
	s_cbranch_execz .LBB2038_13
; %bb.12:
	v_add_nc_u32_e32 v1, s9, v30
	v_add_nc_u32_e32 v3, s11, v30
	v_mul_lo_u32 v1, v1, s8
	v_mul_lo_u32 v3, v3, s10
	v_sub_nc_u32_e32 v1, v1, v3
	v_cmp_lt_u32_e32 vcc_lo, s2, v1
	v_cndmask_b32_e64 v1, 0, 1, vcc_lo
.LBB2038_13:
	s_or_b32 exec_lo, exec_lo, s1
	v_add_nc_u32_e32 v3, 1, v47
	s_mov_b32 s1, exec_lo
	v_cmpx_gt_u32_e64 s15, v3
	s_cbranch_execz .LBB2038_15
; %bb.14:
	v_add_nc_u32_e32 v2, s9, v31
	v_add_nc_u32_e32 v3, s11, v31
	v_mul_lo_u32 v2, v2, s8
	v_mul_lo_u32 v3, v3, s10
	v_sub_nc_u32_e32 v2, v2, v3
	v_cmp_lt_u32_e32 vcc_lo, s2, v2
	v_cndmask_b32_e64 v2, 0, 1, vcc_lo
.LBB2038_15:
	s_or_b32 exec_lo, exec_lo, s1
	v_add_nc_u32_e32 v3, 2, v47
	v_mov_b32_e32 v4, 0
	v_cmp_gt_u32_e32 vcc_lo, s15, v3
	v_mov_b32_e32 v3, 0
	s_and_saveexec_b32 s1, vcc_lo
	s_cbranch_execz .LBB2038_17
; %bb.16:
	v_add_nc_u32_e32 v3, s9, v28
	v_add_nc_u32_e32 v5, s11, v28
	v_mul_lo_u32 v3, v3, s8
	v_mul_lo_u32 v5, v5, s10
	v_sub_nc_u32_e32 v3, v3, v5
	v_cmp_lt_u32_e32 vcc_lo, s2, v3
	v_cndmask_b32_e64 v3, 0, 1, vcc_lo
.LBB2038_17:
	s_or_b32 exec_lo, exec_lo, s1
	v_add_nc_u32_e32 v5, 3, v47
	s_mov_b32 s1, exec_lo
	v_cmpx_gt_u32_e64 s15, v5
	s_cbranch_execz .LBB2038_19
; %bb.18:
	v_add_nc_u32_e32 v4, s9, v29
	v_add_nc_u32_e32 v5, s11, v29
	v_mul_lo_u32 v4, v4, s8
	v_mul_lo_u32 v5, v5, s10
	v_sub_nc_u32_e32 v4, v4, v5
	v_cmp_lt_u32_e32 vcc_lo, s2, v4
	v_cndmask_b32_e64 v4, 0, 1, vcc_lo
.LBB2038_19:
	s_or_b32 exec_lo, exec_lo, s1
	v_add_nc_u32_e32 v5, 4, v47
	v_mov_b32_e32 v6, 0
	v_cmp_gt_u32_e32 vcc_lo, s15, v5
	v_mov_b32_e32 v5, 0
	s_and_saveexec_b32 s1, vcc_lo
	;; [unrolled: 30-line block ×5, first 2 shown]
	s_cbranch_execz .LBB2038_33
; %bb.32:
	v_add_nc_u32_e32 v11, s9, v20
	v_add_nc_u32_e32 v13, s11, v20
	v_mul_lo_u32 v11, v11, s8
	v_mul_lo_u32 v13, v13, s10
	v_sub_nc_u32_e32 v11, v11, v13
	v_cmp_lt_u32_e32 vcc_lo, s2, v11
	v_cndmask_b32_e64 v11, 0, 1, vcc_lo
.LBB2038_33:
	s_or_b32 exec_lo, exec_lo, s1
	v_add_nc_u32_e32 v13, 11, v47
	s_mov_b32 s1, exec_lo
	v_cmpx_gt_u32_e64 s15, v13
	s_cbranch_execz .LBB2038_35
; %bb.34:
	v_add_nc_u32_e32 v12, s9, v21
	v_add_nc_u32_e32 v13, s11, v21
	v_mul_lo_u32 v12, v12, s8
	v_mul_lo_u32 v13, v13, s10
	v_sub_nc_u32_e32 v12, v12, v13
	v_cmp_lt_u32_e32 vcc_lo, s2, v12
	v_cndmask_b32_e64 v12, 0, 1, vcc_lo
.LBB2038_35:
	s_or_b32 exec_lo, exec_lo, s1
	v_add_nc_u32_e32 v13, 12, v47
	v_mov_b32_e32 v48, 0
	s_mov_b32 s1, exec_lo
	v_cmpx_gt_u32_e64 s15, v13
	s_cbranch_execz .LBB2038_37
; %bb.36:
	v_add_nc_u32_e32 v13, s9, v46
	v_add_nc_u32_e32 v14, s11, v46
	v_mul_lo_u32 v13, v13, s8
	v_mul_lo_u32 v14, v14, s10
	v_sub_nc_u32_e32 v13, v13, v14
	v_cmp_lt_u32_e32 vcc_lo, s2, v13
	v_cndmask_b32_e64 v48, 0, 1, vcc_lo
.LBB2038_37:
	s_or_b32 exec_lo, exec_lo, s1
	v_lshlrev_b16 v2, 8, v2
	v_lshlrev_b16 v4, 8, v4
	;; [unrolled: 1-line block ×5, first 2 shown]
	v_or_b32_e32 v1, v1, v2
	v_lshlrev_b16 v2, 8, v12
	v_or_b32_sdwa v3, v3, v4 dst_sel:WORD_1 dst_unused:UNUSED_PAD src0_sel:DWORD src1_sel:DWORD
	v_or_b32_e32 v4, v5, v6
	v_or_b32_sdwa v5, v7, v8 dst_sel:WORD_1 dst_unused:UNUSED_PAD src0_sel:DWORD src1_sel:DWORD
	v_or_b32_e32 v6, v9, v10
	v_or_b32_sdwa v2, v11, v2 dst_sel:WORD_1 dst_unused:UNUSED_PAD src0_sel:DWORD src1_sel:DWORD
	v_or_b32_sdwa v52, v1, v3 dst_sel:DWORD dst_unused:UNUSED_PAD src0_sel:WORD_0 src1_sel:DWORD
	v_or_b32_sdwa v50, v4, v5 dst_sel:DWORD dst_unused:UNUSED_PAD src0_sel:WORD_0 src1_sel:DWORD
	;; [unrolled: 1-line block ×3, first 2 shown]
.LBB2038_38:
	v_and_b32_e32 v55, 0xff, v52
	v_bfe_u32 v56, v52, 8, 8
	v_bfe_u32 v57, v52, 16, 8
	v_lshrrev_b32_e32 v54, 24, v52
	v_and_b32_e32 v58, 0xff, v50
	v_bfe_u32 v59, v50, 8, 8
	v_bfe_u32 v60, v50, 16, 8
	v_add3_u32 v1, v56, v55, v57
	v_lshrrev_b32_e32 v53, 24, v50
	v_and_b32_e32 v61, 0xff, v49
	v_bfe_u32 v62, v49, 8, 8
	v_mbcnt_lo_u32_b32 v64, -1, 0
	v_add3_u32 v1, v1, v54, v58
	v_bfe_u32 v63, v49, 16, 8
	v_lshrrev_b32_e32 v51, 24, v49
	v_and_b32_e32 v2, 0xff, v48
	v_and_b32_e32 v3, 15, v64
	v_add3_u32 v1, v1, v59, v60
	v_or_b32_e32 v4, 31, v0
	v_and_b32_e32 v5, 16, v64
	v_lshrrev_b32_e32 v65, 5, v0
	v_cmp_eq_u32_e64 s6, 0, v3
	v_add3_u32 v1, v1, v53, v61
	v_cmp_lt_u32_e64 s5, 1, v3
	v_cmp_lt_u32_e64 s4, 3, v3
	;; [unrolled: 1-line block ×3, first 2 shown]
	v_cmp_eq_u32_e64 s2, 0, v5
	v_add3_u32 v1, v1, v62, v63
	v_cmp_eq_u32_e64 s1, v0, v4
	s_cmp_lg_u32 s25, 0
	s_mov_b32 s7, -1
	v_add3_u32 v66, v1, v51, v2
	s_cbranch_scc0 .LBB2038_60
; %bb.39:
	v_mov_b32_dpp v1, v66 row_shr:1 row_mask:0xf bank_mask:0xf
	v_cndmask_b32_e64 v1, v1, 0, s6
	v_add_nc_u32_e32 v1, v1, v66
	v_mov_b32_dpp v2, v1 row_shr:2 row_mask:0xf bank_mask:0xf
	v_cndmask_b32_e64 v2, 0, v2, s5
	v_add_nc_u32_e32 v1, v1, v2
	;; [unrolled: 3-line block ×4, first 2 shown]
	ds_swizzle_b32 v2, v1 offset:swizzle(BROADCAST,32,15)
	s_waitcnt lgkmcnt(0)
	v_cndmask_b32_e64 v2, v2, 0, s2
	v_add_nc_u32_e32 v1, v1, v2
	s_and_saveexec_b32 s7, s1
; %bb.40:
	v_lshlrev_b32_e32 v2, 2, v65
	ds_write_b32 v2, v1
; %bb.41:
	s_or_b32 exec_lo, exec_lo, s7
	s_mov_b32 s7, exec_lo
	s_waitcnt lgkmcnt(0)
	s_barrier
	buffer_gl0_inv
	v_cmpx_gt_u32_e32 8, v0
	s_cbranch_execz .LBB2038_43
; %bb.42:
	ds_read_b32 v2, v44
	v_and_b32_e32 v3, 7, v64
	v_cmp_ne_u32_e32 vcc_lo, 0, v3
	s_waitcnt lgkmcnt(0)
	v_mov_b32_dpp v4, v2 row_shr:1 row_mask:0xf bank_mask:0xf
	v_cndmask_b32_e32 v4, 0, v4, vcc_lo
	v_cmp_lt_u32_e32 vcc_lo, 1, v3
	v_add_nc_u32_e32 v2, v4, v2
	v_mov_b32_dpp v4, v2 row_shr:2 row_mask:0xf bank_mask:0xf
	v_cndmask_b32_e32 v4, 0, v4, vcc_lo
	v_cmp_lt_u32_e32 vcc_lo, 3, v3
	v_add_nc_u32_e32 v2, v2, v4
	v_mov_b32_dpp v4, v2 row_shr:4 row_mask:0xf bank_mask:0xf
	v_cndmask_b32_e32 v3, 0, v4, vcc_lo
	v_add_nc_u32_e32 v2, v2, v3
	ds_write_b32 v44, v2
.LBB2038_43:
	s_or_b32 exec_lo, exec_lo, s7
	s_mov_b32 s8, exec_lo
	v_cmp_gt_u32_e32 vcc_lo, 32, v0
	s_waitcnt lgkmcnt(0)
	s_barrier
	buffer_gl0_inv
                                        ; implicit-def: $vgpr10
	v_cmpx_lt_u32_e32 31, v0
	s_cbranch_execz .LBB2038_45
; %bb.44:
	v_lshl_add_u32 v2, v65, 2, -4
	ds_read_b32 v10, v2
	s_waitcnt lgkmcnt(0)
	v_add_nc_u32_e32 v1, v10, v1
.LBB2038_45:
	s_or_b32 exec_lo, exec_lo, s8
	v_sub_co_u32 v2, s7, v64, 1
	v_cmp_gt_i32_e64 s8, 0, v2
	v_cndmask_b32_e64 v2, v2, v64, s8
	v_lshlrev_b32_e32 v2, 2, v2
	ds_bpermute_b32 v11, v2, v1
	s_and_saveexec_b32 s8, vcc_lo
	s_cbranch_execz .LBB2038_65
; %bb.46:
	v_mov_b32_e32 v7, 0
	ds_read_b32 v1, v7 offset:28
	s_and_saveexec_b32 s9, s7
	s_cbranch_execz .LBB2038_48
; %bb.47:
	s_add_i32 s10, s25, 32
	s_mov_b32 s11, 0
	v_mov_b32_e32 v2, 1
	s_lshl_b64 s[10:11], s[10:11], 3
	s_add_u32 s10, s22, s10
	s_addc_u32 s11, s23, s11
	s_waitcnt lgkmcnt(0)
	global_store_dwordx2 v7, v[1:2], s[10:11]
.LBB2038_48:
	s_or_b32 exec_lo, exec_lo, s9
	v_xad_u32 v3, v64, -1, s25
	s_mov_b32 s10, 0
	v_add_nc_u32_e32 v6, 32, v3
	v_lshlrev_b64 v[4:5], 3, v[6:7]
	v_add_co_u32 v8, vcc_lo, s22, v4
	v_add_co_ci_u32_e64 v9, null, s23, v5, vcc_lo
	global_load_dwordx2 v[5:6], v[8:9], off glc dlc
	s_waitcnt vmcnt(0)
	v_cmp_eq_u16_sdwa s11, v6, v7 src0_sel:BYTE_0 src1_sel:DWORD
	s_and_saveexec_b32 s9, s11
	s_cbranch_execz .LBB2038_52
; %bb.49:
	v_mov_b32_e32 v2, 0
.LBB2038_50:                            ; =>This Inner Loop Header: Depth=1
	global_load_dwordx2 v[5:6], v[8:9], off glc dlc
	s_waitcnt vmcnt(0)
	v_cmp_ne_u16_sdwa s11, v6, v2 src0_sel:BYTE_0 src1_sel:DWORD
	s_or_b32 s10, s11, s10
	s_andn2_b32 exec_lo, exec_lo, s10
	s_cbranch_execnz .LBB2038_50
; %bb.51:
	s_or_b32 exec_lo, exec_lo, s10
.LBB2038_52:
	s_or_b32 exec_lo, exec_lo, s9
	v_cmp_ne_u32_e32 vcc_lo, 31, v64
	v_mov_b32_e32 v12, 2
	v_lshlrev_b32_e64 v13, v64, -1
	v_add_nc_u32_e32 v15, 2, v64
	v_add_nc_u32_e32 v17, 4, v64
	v_add_co_ci_u32_e64 v2, null, 0, v64, vcc_lo
	v_cmp_eq_u16_sdwa s9, v6, v12 src0_sel:BYTE_0 src1_sel:DWORD
	v_cmp_gt_u32_e32 vcc_lo, 30, v64
	v_add_nc_u32_e32 v68, 8, v64
	v_lshlrev_b32_e32 v9, 2, v2
	v_lshl_or_b32 v69, v64, 2, 64
	v_and_or_b32 v4, s9, v13, 0x80000000
	v_cndmask_b32_e64 v7, 0, 2, vcc_lo
	v_add_nc_u32_e32 v70, 16, v64
	ds_bpermute_b32 v2, v9, v5
	v_ffbl_b32_e32 v4, v4
	v_add_lshl_u32 v14, v7, v64, 2
	v_cmp_lt_u32_e32 vcc_lo, v64, v4
	s_waitcnt lgkmcnt(0)
	v_cndmask_b32_e32 v2, 0, v2, vcc_lo
	v_cmp_gt_u32_e32 vcc_lo, 28, v64
	v_add_nc_u32_e32 v2, v2, v5
	v_cndmask_b32_e64 v7, 0, 4, vcc_lo
	v_cmp_le_u32_e32 vcc_lo, v15, v4
	ds_bpermute_b32 v5, v14, v2
	v_add_lshl_u32 v16, v7, v64, 2
	s_waitcnt lgkmcnt(0)
	v_cndmask_b32_e32 v5, 0, v5, vcc_lo
	v_cmp_gt_u32_e32 vcc_lo, 24, v64
	v_add_nc_u32_e32 v2, v2, v5
	v_cndmask_b32_e64 v7, 0, 8, vcc_lo
	v_cmp_le_u32_e32 vcc_lo, v17, v4
	ds_bpermute_b32 v5, v16, v2
	v_add_lshl_u32 v67, v7, v64, 2
	s_waitcnt lgkmcnt(0)
	v_cndmask_b32_e32 v5, 0, v5, vcc_lo
	v_cmp_le_u32_e32 vcc_lo, v68, v4
	v_add_nc_u32_e32 v2, v2, v5
	ds_bpermute_b32 v5, v67, v2
	s_waitcnt lgkmcnt(0)
	v_cndmask_b32_e32 v5, 0, v5, vcc_lo
	v_cmp_le_u32_e32 vcc_lo, v70, v4
	v_add_nc_u32_e32 v2, v2, v5
	ds_bpermute_b32 v5, v69, v2
	s_waitcnt lgkmcnt(0)
	v_cndmask_b32_e32 v4, 0, v5, vcc_lo
	v_add_nc_u32_e32 v5, v2, v4
	v_mov_b32_e32 v4, 0
	s_branch .LBB2038_56
.LBB2038_53:                            ;   in Loop: Header=BB2038_56 Depth=1
	s_or_b32 exec_lo, exec_lo, s10
.LBB2038_54:                            ;   in Loop: Header=BB2038_56 Depth=1
	s_or_b32 exec_lo, exec_lo, s9
	ds_bpermute_b32 v7, v9, v5
	v_cmp_eq_u16_sdwa s9, v6, v12 src0_sel:BYTE_0 src1_sel:DWORD
	v_subrev_nc_u32_e32 v3, 32, v3
	v_and_or_b32 v8, s9, v13, 0x80000000
	s_mov_b32 s9, 0
	v_ffbl_b32_e32 v8, v8
	v_cmp_lt_u32_e32 vcc_lo, v64, v8
	s_waitcnt lgkmcnt(0)
	v_cndmask_b32_e32 v7, 0, v7, vcc_lo
	v_cmp_le_u32_e32 vcc_lo, v15, v8
	v_add_nc_u32_e32 v5, v7, v5
	ds_bpermute_b32 v7, v14, v5
	s_waitcnt lgkmcnt(0)
	v_cndmask_b32_e32 v7, 0, v7, vcc_lo
	v_cmp_le_u32_e32 vcc_lo, v17, v8
	v_add_nc_u32_e32 v5, v5, v7
	ds_bpermute_b32 v7, v16, v5
	;; [unrolled: 5-line block ×4, first 2 shown]
	s_waitcnt lgkmcnt(0)
	v_cndmask_b32_e32 v7, 0, v7, vcc_lo
	v_add3_u32 v5, v7, v2, v5
.LBB2038_55:                            ;   in Loop: Header=BB2038_56 Depth=1
	s_and_b32 vcc_lo, exec_lo, s9
	s_cbranch_vccnz .LBB2038_61
.LBB2038_56:                            ; =>This Loop Header: Depth=1
                                        ;     Child Loop BB2038_59 Depth 2
	v_cmp_ne_u16_sdwa s9, v6, v12 src0_sel:BYTE_0 src1_sel:DWORD
	v_mov_b32_e32 v2, v5
                                        ; implicit-def: $vgpr5
                                        ; implicit-def: $vgpr6
	s_cmp_lg_u32 s9, exec_lo
	s_mov_b32 s9, -1
	s_cbranch_scc1 .LBB2038_55
; %bb.57:                               ;   in Loop: Header=BB2038_56 Depth=1
	v_lshlrev_b64 v[5:6], 3, v[3:4]
	v_add_co_u32 v7, vcc_lo, s22, v5
	v_add_co_ci_u32_e64 v8, null, s23, v6, vcc_lo
	global_load_dwordx2 v[5:6], v[7:8], off glc dlc
	s_waitcnt vmcnt(0)
	v_cmp_eq_u16_sdwa s10, v6, v4 src0_sel:BYTE_0 src1_sel:DWORD
	s_and_saveexec_b32 s9, s10
	s_cbranch_execz .LBB2038_54
; %bb.58:                               ;   in Loop: Header=BB2038_56 Depth=1
	s_mov_b32 s10, 0
.LBB2038_59:                            ;   Parent Loop BB2038_56 Depth=1
                                        ; =>  This Inner Loop Header: Depth=2
	global_load_dwordx2 v[5:6], v[7:8], off glc dlc
	s_waitcnt vmcnt(0)
	v_cmp_ne_u16_sdwa s11, v6, v4 src0_sel:BYTE_0 src1_sel:DWORD
	s_or_b32 s10, s11, s10
	s_andn2_b32 exec_lo, exec_lo, s10
	s_cbranch_execnz .LBB2038_59
	s_branch .LBB2038_53
.LBB2038_60:
                                        ; implicit-def: $vgpr17
                                        ; implicit-def: $vgpr1_vgpr2_vgpr3_vgpr4_vgpr5_vgpr6_vgpr7_vgpr8_vgpr9_vgpr10_vgpr11_vgpr12_vgpr13_vgpr14_vgpr15_vgpr16
	s_and_b32 vcc_lo, exec_lo, s7
	s_cbranch_vccnz .LBB2038_66
	s_branch .LBB2038_75
.LBB2038_61:
	s_and_saveexec_b32 s9, s7
	s_cbranch_execz .LBB2038_63
; %bb.62:
	s_add_i32 s10, s25, 32
	s_mov_b32 s11, 0
	v_add_nc_u32_e32 v3, v2, v1
	v_mov_b32_e32 v4, 2
	s_lshl_b64 s[10:11], s[10:11], 3
	v_mov_b32_e32 v5, 0
	s_add_u32 s10, s22, s10
	s_addc_u32 s11, s23, s11
	global_store_dwordx2 v5, v[3:4], s[10:11]
	ds_write_b64 v5, v[1:2] offset:13312
.LBB2038_63:
	s_or_b32 exec_lo, exec_lo, s9
	s_and_b32 exec_lo, exec_lo, s0
; %bb.64:
	v_mov_b32_e32 v1, 0
	ds_write_b32 v1, v2 offset:28
.LBB2038_65:
	s_or_b32 exec_lo, exec_lo, s8
	v_mov_b32_e32 v12, 0
	s_waitcnt lgkmcnt(0)
	s_waitcnt_vscnt null, 0x0
	s_barrier
	buffer_gl0_inv
	v_cndmask_b32_e64 v2, v11, v10, s7
	ds_read_b32 v1, v12 offset:28
	s_waitcnt lgkmcnt(0)
	s_barrier
	buffer_gl0_inv
	v_cndmask_b32_e64 v2, v2, 0, s0
	ds_read_b64 v[16:17], v12 offset:13312
	v_add_nc_u32_e32 v1, v1, v2
	v_add_nc_u32_e32 v2, v1, v55
	;; [unrolled: 1-line block ×13, first 2 shown]
	s_branch .LBB2038_75
.LBB2038_66:
	v_mov_b32_dpp v1, v66 row_shr:1 row_mask:0xf bank_mask:0xf
	v_cndmask_b32_e64 v1, v1, 0, s6
	v_add_nc_u32_e32 v1, v1, v66
	v_mov_b32_dpp v2, v1 row_shr:2 row_mask:0xf bank_mask:0xf
	v_cndmask_b32_e64 v2, 0, v2, s5
	v_add_nc_u32_e32 v1, v1, v2
	;; [unrolled: 3-line block ×4, first 2 shown]
	ds_swizzle_b32 v2, v1 offset:swizzle(BROADCAST,32,15)
	s_waitcnt lgkmcnt(0)
	v_cndmask_b32_e64 v2, v2, 0, s2
	v_add_nc_u32_e32 v1, v1, v2
	s_and_saveexec_b32 s2, s1
; %bb.67:
	v_lshlrev_b32_e32 v2, 2, v65
	ds_write_b32 v2, v1
; %bb.68:
	s_or_b32 exec_lo, exec_lo, s2
	s_mov_b32 s1, exec_lo
	s_waitcnt lgkmcnt(0)
	s_barrier
	buffer_gl0_inv
	v_cmpx_gt_u32_e32 8, v0
	s_cbranch_execz .LBB2038_70
; %bb.69:
	ds_read_b32 v2, v44
	v_and_b32_e32 v3, 7, v64
	v_cmp_ne_u32_e32 vcc_lo, 0, v3
	s_waitcnt lgkmcnt(0)
	v_mov_b32_dpp v4, v2 row_shr:1 row_mask:0xf bank_mask:0xf
	v_cndmask_b32_e32 v4, 0, v4, vcc_lo
	v_cmp_lt_u32_e32 vcc_lo, 1, v3
	v_add_nc_u32_e32 v2, v4, v2
	v_mov_b32_dpp v4, v2 row_shr:2 row_mask:0xf bank_mask:0xf
	v_cndmask_b32_e32 v4, 0, v4, vcc_lo
	v_cmp_lt_u32_e32 vcc_lo, 3, v3
	v_add_nc_u32_e32 v2, v2, v4
	v_mov_b32_dpp v4, v2 row_shr:4 row_mask:0xf bank_mask:0xf
	v_cndmask_b32_e32 v3, 0, v4, vcc_lo
	v_add_nc_u32_e32 v2, v2, v3
	ds_write_b32 v44, v2
.LBB2038_70:
	s_or_b32 exec_lo, exec_lo, s1
	v_mov_b32_e32 v3, 0
	v_mov_b32_e32 v2, 0
	s_mov_b32 s1, exec_lo
	s_waitcnt lgkmcnt(0)
	s_barrier
	buffer_gl0_inv
	v_cmpx_lt_u32_e32 31, v0
; %bb.71:
	v_lshl_add_u32 v2, v65, 2, -4
	ds_read_b32 v2, v2
; %bb.72:
	s_or_b32 exec_lo, exec_lo, s1
	v_sub_co_u32 v4, vcc_lo, v64, 1
	s_waitcnt lgkmcnt(0)
	v_add_nc_u32_e32 v1, v2, v1
	ds_read_b32 v16, v3 offset:28
	v_cmp_gt_i32_e64 s1, 0, v4
	v_cndmask_b32_e64 v4, v4, v64, s1
	v_lshlrev_b32_e32 v4, 2, v4
	ds_bpermute_b32 v1, v4, v1
	s_and_saveexec_b32 s1, s0
	s_cbranch_execz .LBB2038_74
; %bb.73:
	v_mov_b32_e32 v3, 0
	v_mov_b32_e32 v17, 2
	s_waitcnt lgkmcnt(1)
	global_store_dwordx2 v3, v[16:17], s[22:23] offset:256
.LBB2038_74:
	s_or_b32 exec_lo, exec_lo, s1
	s_waitcnt lgkmcnt(0)
	v_cndmask_b32_e32 v1, v1, v2, vcc_lo
	v_mov_b32_e32 v17, 0
	s_waitcnt_vscnt null, 0x0
	s_barrier
	buffer_gl0_inv
	v_cndmask_b32_e64 v1, v1, 0, s0
	v_add_nc_u32_e32 v2, v1, v55
	v_add_nc_u32_e32 v3, v2, v56
	;; [unrolled: 1-line block ×12, first 2 shown]
.LBB2038_75:
	s_waitcnt lgkmcnt(0)
	v_add_nc_u32_e32 v47, v16, v47
	v_sub_nc_u32_e32 v1, v1, v17
	v_and_b32_e32 v56, 1, v52
	v_lshrrev_b32_e32 v55, 8, v52
	v_sub_nc_u32_e32 v2, v2, v17
	v_sub_nc_u32_e32 v3, v3, v17
	;; [unrolled: 1-line block ×3, first 2 shown]
	v_cmp_eq_u32_e32 vcc_lo, 1, v56
	v_and_b32_e32 v55, 1, v55
	v_mov_b32_e32 v58, 1
	v_sub_nc_u32_e32 v56, v47, v2
	v_sub_nc_u32_e32 v4, v4, v17
	v_cndmask_b32_e32 v1, v57, v1, vcc_lo
	v_sub_nc_u32_e32 v57, v47, v3
	v_and_b32_sdwa v52, v58, v52 dst_sel:DWORD dst_unused:UNUSED_PAD src0_sel:DWORD src1_sel:WORD_1
	v_add_nc_u32_e32 v56, 1, v56
	v_cmp_eq_u32_e32 vcc_lo, 1, v55
	v_lshlrev_b32_e32 v1, 2, v1
	v_and_b32_e32 v54, 1, v54
	v_sub_nc_u32_e32 v59, v47, v4
	v_add_nc_u32_e32 v57, 2, v57
	v_lshrrev_b32_e32 v15, 8, v50
	ds_write_b32 v1, v30
	v_cndmask_b32_e32 v1, v56, v2, vcc_lo
	v_cmp_eq_u32_e32 vcc_lo, 1, v52
	v_add_nc_u32_e32 v59, 3, v59
	v_lshrrev_b32_e32 v14, 8, v49
	v_lshlrev_b32_e32 v1, 2, v1
	v_cndmask_b32_e32 v2, v57, v3, vcc_lo
	v_cmp_eq_u32_e32 vcc_lo, 1, v54
	ds_write_b32 v1, v31
	v_lshlrev_b32_e32 v2, 2, v2
	v_cndmask_b32_e32 v3, v59, v4, vcc_lo
	v_sub_nc_u32_e32 v4, v5, v17
	v_sub_nc_u32_e32 v5, v6, v17
	v_lshlrev_b32_e32 v3, 2, v3
	v_sub_nc_u32_e32 v1, v47, v4
	v_sub_nc_u32_e32 v6, v47, v5
	ds_write_b32 v2, v28
	ds_write_b32 v3, v29
	v_and_b32_e32 v2, 1, v50
	v_add_nc_u32_e32 v1, 4, v1
	v_add_nc_u32_e32 v3, 5, v6
	v_sub_nc_u32_e32 v6, v7, v17
	v_and_b32_e32 v7, 1, v15
	v_cmp_eq_u32_e32 vcc_lo, 1, v2
	v_sub_nc_u32_e32 v2, v8, v17
	v_and_b32_e32 v8, 1, v53
	v_add_co_u32 v15, s1, v18, v17
	v_cndmask_b32_e32 v1, v1, v4, vcc_lo
	v_sub_nc_u32_e32 v4, v47, v6
	v_cmp_eq_u32_e32 vcc_lo, 1, v7
	v_and_b32_sdwa v7, v58, v50 dst_sel:DWORD dst_unused:UNUSED_PAD src0_sel:DWORD src1_sel:WORD_1
	v_lshlrev_b32_e32 v1, 2, v1
	v_add_nc_u32_e32 v4, 6, v4
	v_cndmask_b32_e32 v3, v3, v5, vcc_lo
	v_sub_nc_u32_e32 v5, v47, v2
	v_cmp_eq_u32_e32 vcc_lo, 1, v7
	v_sub_nc_u32_e32 v7, v13, v17
	v_lshlrev_b32_e32 v3, 2, v3
	v_add_nc_u32_e32 v5, 7, v5
	v_cndmask_b32_e32 v4, v4, v6, vcc_lo
	v_cmp_eq_u32_e32 vcc_lo, 1, v8
	v_sub_nc_u32_e32 v6, v9, v17
	ds_write_b32 v1, v26
	ds_write_b32 v3, v27
	v_lshlrev_b32_e32 v3, 2, v4
	v_cndmask_b32_e32 v2, v5, v2, vcc_lo
	v_sub_nc_u32_e32 v1, v47, v6
	v_and_b32_e32 v5, 1, v49
	v_sub_nc_u32_e32 v4, v10, v17
	v_and_b32_e32 v10, 1, v51
	v_lshlrev_b32_e32 v2, 2, v2
	v_add_nc_u32_e32 v1, 8, v1
	ds_write_b32 v3, v24
	ds_write_b32 v2, v25
	v_cmp_eq_u32_e32 vcc_lo, 1, v5
	v_sub_nc_u32_e32 v3, v11, v17
	v_sub_nc_u32_e32 v2, v47, v4
	;; [unrolled: 1-line block ×3, first 2 shown]
	v_and_b32_e32 v11, 1, v48
	v_cndmask_b32_e32 v1, v1, v6, vcc_lo
	v_and_b32_e32 v6, 1, v14
	v_sub_nc_u32_e32 v8, v47, v3
	v_add_nc_u32_e32 v2, 9, v2
	v_sub_nc_u32_e32 v9, v47, v5
	v_lshlrev_b32_e32 v1, 2, v1
	v_cmp_eq_u32_e32 vcc_lo, 1, v6
	v_add_nc_u32_e32 v6, 10, v8
	v_and_b32_sdwa v8, v58, v49 dst_sel:DWORD dst_unused:UNUSED_PAD src0_sel:DWORD src1_sel:WORD_1
	v_add_nc_u32_e32 v9, 11, v9
	v_add_co_ci_u32_e64 v17, null, 0, v19, s1
	v_cndmask_b32_e32 v2, v2, v4, vcc_lo
	v_cmp_eq_u32_e32 vcc_lo, 1, v8
	v_sub_nc_u32_e32 v4, v47, v7
	v_lshlrev_b32_e32 v2, 2, v2
	v_cndmask_b32_e32 v3, v6, v3, vcc_lo
	v_cmp_eq_u32_e32 vcc_lo, 1, v10
	v_add_nc_u32_e32 v4, 12, v4
	v_lshlrev_b32_e32 v3, 2, v3
	v_cndmask_b32_e32 v5, v9, v5, vcc_lo
	v_cmp_eq_u32_e32 vcc_lo, 1, v11
	v_lshlrev_b32_e32 v5, 2, v5
	v_cndmask_b32_e32 v4, v4, v7, vcc_lo
	v_cmp_ne_u32_e32 vcc_lo, 1, v45
	v_lshlrev_b32_e32 v4, 2, v4
	ds_write_b32 v1, v22
	ds_write_b32 v2, v23
	;; [unrolled: 1-line block ×5, first 2 shown]
	s_waitcnt lgkmcnt(0)
	s_barrier
	buffer_gl0_inv
	ds_read2st64_b32 v[11:12], v44 offset1:4
	ds_read2st64_b32 v[9:10], v44 offset0:8 offset1:12
	ds_read2st64_b32 v[7:8], v44 offset0:16 offset1:20
	ds_read2st64_b32 v[5:6], v44 offset0:24 offset1:28
	ds_read2st64_b32 v[3:4], v44 offset0:32 offset1:36
	ds_read2st64_b32 v[1:2], v44 offset0:40 offset1:44
	ds_read_b32 v20, v44 offset:12288
	s_cbranch_vccnz .LBB2038_132
; %bb.76:
	s_sub_u32 s1, s20, s24
	v_sub_co_u32 v13, vcc_lo, v15, s18
	s_subb_u32 s2, s21, 0
	v_add_co_u32 v18, s1, s1, v16
	v_subrev_co_ci_u32_e64 v14, null, s19, v17, vcc_lo
	v_add_co_ci_u32_e64 v19, null, s2, 0, s1
	v_add_co_u32 v18, vcc_lo, v18, v13
	s_mov_b32 s1, exec_lo
	v_add_co_ci_u32_e64 v19, null, v19, v14, vcc_lo
                                        ; implicit-def: $vgpr13_vgpr14
	v_cmpx_ge_u32_e64 v0, v16
	s_xor_b32 s1, exec_lo, s1
; %bb.77:
	v_not_b32_e32 v13, v0
	v_ashrrev_i32_e32 v14, 31, v13
	v_add_co_u32 v13, vcc_lo, v18, v13
	v_add_co_ci_u32_e64 v14, null, v19, v14, vcc_lo
; %bb.78:
	s_andn2_saveexec_b32 s1, s1
; %bb.79:
	v_add_co_u32 v13, vcc_lo, v15, v0
	v_add_co_ci_u32_e64 v14, null, 0, v17, vcc_lo
; %bb.80:
	s_or_b32 exec_lo, exec_lo, s1
	v_lshlrev_b64 v[13:14], 2, v[13:14]
	s_mov_b32 s1, exec_lo
	v_add_co_u32 v13, vcc_lo, s16, v13
	v_add_co_ci_u32_e64 v14, null, s17, v14, vcc_lo
	s_waitcnt lgkmcnt(6)
	global_store_dword v[13:14], v11, off
                                        ; implicit-def: $vgpr13_vgpr14
	v_cmpx_ge_u32_e64 v43, v16
	s_xor_b32 s1, exec_lo, s1
; %bb.81:
	v_xor_b32_e32 v13, 0xfffffeff, v0
	v_ashrrev_i32_e32 v14, 31, v13
	v_add_co_u32 v13, vcc_lo, v18, v13
	v_add_co_ci_u32_e64 v14, null, v19, v14, vcc_lo
; %bb.82:
	s_andn2_saveexec_b32 s1, s1
; %bb.83:
	v_add_co_u32 v13, vcc_lo, v15, v43
	v_add_co_ci_u32_e64 v14, null, 0, v17, vcc_lo
; %bb.84:
	s_or_b32 exec_lo, exec_lo, s1
	v_lshlrev_b64 v[13:14], 2, v[13:14]
	s_mov_b32 s1, exec_lo
	v_add_co_u32 v13, vcc_lo, s16, v13
	v_add_co_ci_u32_e64 v14, null, s17, v14, vcc_lo
	global_store_dword v[13:14], v12, off
                                        ; implicit-def: $vgpr13_vgpr14
	v_cmpx_ge_u32_e64 v42, v16
	s_xor_b32 s1, exec_lo, s1
; %bb.85:
	v_xor_b32_e32 v13, 0xfffffdff, v0
	v_ashrrev_i32_e32 v14, 31, v13
	v_add_co_u32 v13, vcc_lo, v18, v13
	v_add_co_ci_u32_e64 v14, null, v19, v14, vcc_lo
; %bb.86:
	s_andn2_saveexec_b32 s1, s1
; %bb.87:
	v_add_co_u32 v13, vcc_lo, v15, v42
	v_add_co_ci_u32_e64 v14, null, 0, v17, vcc_lo
; %bb.88:
	s_or_b32 exec_lo, exec_lo, s1
	v_lshlrev_b64 v[13:14], 2, v[13:14]
	s_mov_b32 s1, exec_lo
	v_add_co_u32 v13, vcc_lo, s16, v13
	v_add_co_ci_u32_e64 v14, null, s17, v14, vcc_lo
	s_waitcnt lgkmcnt(5)
	global_store_dword v[13:14], v9, off
                                        ; implicit-def: $vgpr13_vgpr14
	v_cmpx_ge_u32_e64 v41, v16
	s_xor_b32 s1, exec_lo, s1
; %bb.89:
	v_xor_b32_e32 v13, 0xfffffcff, v0
	v_ashrrev_i32_e32 v14, 31, v13
	v_add_co_u32 v13, vcc_lo, v18, v13
	v_add_co_ci_u32_e64 v14, null, v19, v14, vcc_lo
; %bb.90:
	s_andn2_saveexec_b32 s1, s1
; %bb.91:
	v_add_co_u32 v13, vcc_lo, v15, v41
	v_add_co_ci_u32_e64 v14, null, 0, v17, vcc_lo
; %bb.92:
	s_or_b32 exec_lo, exec_lo, s1
	v_lshlrev_b64 v[13:14], 2, v[13:14]
	s_mov_b32 s1, exec_lo
	v_add_co_u32 v13, vcc_lo, s16, v13
	v_add_co_ci_u32_e64 v14, null, s17, v14, vcc_lo
	global_store_dword v[13:14], v10, off
                                        ; implicit-def: $vgpr13_vgpr14
	v_cmpx_ge_u32_e64 v40, v16
	s_xor_b32 s1, exec_lo, s1
; %bb.93:
	v_xor_b32_e32 v13, 0xfffffbff, v0
	;; [unrolled: 41-line block ×6, first 2 shown]
	v_ashrrev_i32_e32 v14, 31, v13
	v_add_co_u32 v13, vcc_lo, v18, v13
	v_add_co_ci_u32_e64 v14, null, v19, v14, vcc_lo
; %bb.126:
	s_andn2_saveexec_b32 s1, s1
; %bb.127:
	v_add_co_u32 v13, vcc_lo, v15, v32
	v_add_co_ci_u32_e64 v14, null, 0, v17, vcc_lo
; %bb.128:
	s_or_b32 exec_lo, exec_lo, s1
	s_mov_b32 s1, -1
.LBB2038_129:
	s_and_saveexec_b32 s2, s1
	s_cbranch_execz .LBB2038_212
.LBB2038_130:
	s_waitcnt lgkmcnt(1)
	v_lshlrev_b64 v[0:1], 2, v[13:14]
	v_add_co_u32 v0, vcc_lo, s16, v0
	v_add_co_ci_u32_e64 v1, null, s17, v1, vcc_lo
	s_waitcnt lgkmcnt(0)
	global_store_dword v[0:1], v20, off
	s_or_b32 exec_lo, exec_lo, s2
	s_and_b32 s0, s0, s14
	s_and_saveexec_b32 s1, s0
	s_cbranch_execnz .LBB2038_213
.LBB2038_131:
	s_endpgm
.LBB2038_132:
	s_mov_b32 s1, 0
                                        ; implicit-def: $vgpr13_vgpr14
	s_cbranch_execz .LBB2038_129
; %bb.133:
	s_add_u32 s2, s18, s24
	s_addc_u32 s3, s19, 0
	s_sub_u32 s2, s20, s2
	s_subb_u32 s3, s21, s3
	v_add_co_u32 v13, s2, s2, v16
	v_add_co_ci_u32_e64 v14, null, s3, 0, s2
	s_mov_b32 s2, exec_lo
	v_add_co_u32 v18, vcc_lo, v13, v15
	v_add_co_ci_u32_e64 v19, null, v14, v17, vcc_lo
	v_cmpx_gt_u32_e64 s15, v0
	s_cbranch_execz .LBB2038_169
; %bb.134:
	s_mov_b32 s3, exec_lo
                                        ; implicit-def: $vgpr13_vgpr14
	v_cmpx_ge_u32_e64 v0, v16
	s_xor_b32 s3, exec_lo, s3
; %bb.135:
	v_not_b32_e32 v13, v0
	v_ashrrev_i32_e32 v14, 31, v13
	v_add_co_u32 v13, vcc_lo, v18, v13
	v_add_co_ci_u32_e64 v14, null, v19, v14, vcc_lo
; %bb.136:
	s_andn2_saveexec_b32 s3, s3
; %bb.137:
	v_add_co_u32 v13, vcc_lo, v15, v0
	v_add_co_ci_u32_e64 v14, null, 0, v17, vcc_lo
; %bb.138:
	s_or_b32 exec_lo, exec_lo, s3
	v_lshlrev_b64 v[13:14], 2, v[13:14]
	v_add_co_u32 v13, vcc_lo, s16, v13
	v_add_co_ci_u32_e64 v14, null, s17, v14, vcc_lo
	s_waitcnt lgkmcnt(6)
	global_store_dword v[13:14], v11, off
	s_or_b32 exec_lo, exec_lo, s2
	s_mov_b32 s2, exec_lo
	v_cmpx_gt_u32_e64 s15, v43
	s_cbranch_execnz .LBB2038_170
.LBB2038_139:
	s_or_b32 exec_lo, exec_lo, s2
	s_mov_b32 s2, exec_lo
	v_cmpx_gt_u32_e64 s15, v42
	s_cbranch_execz .LBB2038_175
.LBB2038_140:
	s_mov_b32 s3, exec_lo
                                        ; implicit-def: $vgpr11_vgpr12
	v_cmpx_ge_u32_e64 v42, v16
	s_xor_b32 s3, exec_lo, s3
	s_cbranch_execz .LBB2038_142
; %bb.141:
	s_waitcnt lgkmcnt(6)
	v_xor_b32_e32 v11, 0xfffffdff, v0
                                        ; implicit-def: $vgpr42
	v_ashrrev_i32_e32 v12, 31, v11
	v_add_co_u32 v11, vcc_lo, v18, v11
	v_add_co_ci_u32_e64 v12, null, v19, v12, vcc_lo
.LBB2038_142:
	s_andn2_saveexec_b32 s3, s3
	s_cbranch_execz .LBB2038_144
; %bb.143:
	s_waitcnt lgkmcnt(6)
	v_add_co_u32 v11, vcc_lo, v15, v42
	v_add_co_ci_u32_e64 v12, null, 0, v17, vcc_lo
.LBB2038_144:
	s_or_b32 exec_lo, exec_lo, s3
	s_waitcnt lgkmcnt(6)
	v_lshlrev_b64 v[11:12], 2, v[11:12]
	v_add_co_u32 v11, vcc_lo, s16, v11
	v_add_co_ci_u32_e64 v12, null, s17, v12, vcc_lo
	s_waitcnt lgkmcnt(5)
	global_store_dword v[11:12], v9, off
	s_or_b32 exec_lo, exec_lo, s2
	s_mov_b32 s2, exec_lo
	v_cmpx_gt_u32_e64 s15, v41
	s_cbranch_execnz .LBB2038_176
.LBB2038_145:
	s_or_b32 exec_lo, exec_lo, s2
	s_mov_b32 s2, exec_lo
	v_cmpx_gt_u32_e64 s15, v40
	s_cbranch_execz .LBB2038_181
.LBB2038_146:
	s_mov_b32 s3, exec_lo
                                        ; implicit-def: $vgpr9_vgpr10
	v_cmpx_ge_u32_e64 v40, v16
	s_xor_b32 s3, exec_lo, s3
	s_cbranch_execz .LBB2038_148
; %bb.147:
	s_waitcnt lgkmcnt(5)
	v_xor_b32_e32 v9, 0xfffffbff, v0
                                        ; implicit-def: $vgpr40
	v_ashrrev_i32_e32 v10, 31, v9
	v_add_co_u32 v9, vcc_lo, v18, v9
	v_add_co_ci_u32_e64 v10, null, v19, v10, vcc_lo
.LBB2038_148:
	s_andn2_saveexec_b32 s3, s3
	s_cbranch_execz .LBB2038_150
; %bb.149:
	s_waitcnt lgkmcnt(5)
	v_add_co_u32 v9, vcc_lo, v15, v40
	v_add_co_ci_u32_e64 v10, null, 0, v17, vcc_lo
.LBB2038_150:
	s_or_b32 exec_lo, exec_lo, s3
	s_waitcnt lgkmcnt(5)
	v_lshlrev_b64 v[9:10], 2, v[9:10]
	v_add_co_u32 v9, vcc_lo, s16, v9
	v_add_co_ci_u32_e64 v10, null, s17, v10, vcc_lo
	s_waitcnt lgkmcnt(4)
	global_store_dword v[9:10], v7, off
	s_or_b32 exec_lo, exec_lo, s2
	s_mov_b32 s2, exec_lo
	v_cmpx_gt_u32_e64 s15, v39
	s_cbranch_execnz .LBB2038_182
.LBB2038_151:
	s_or_b32 exec_lo, exec_lo, s2
	s_mov_b32 s2, exec_lo
	v_cmpx_gt_u32_e64 s15, v38
	s_cbranch_execz .LBB2038_187
.LBB2038_152:
	s_mov_b32 s3, exec_lo
                                        ; implicit-def: $vgpr7_vgpr8
	v_cmpx_ge_u32_e64 v38, v16
	s_xor_b32 s3, exec_lo, s3
	s_cbranch_execz .LBB2038_154
; %bb.153:
	s_waitcnt lgkmcnt(4)
	v_xor_b32_e32 v7, 0xfffff9ff, v0
                                        ; implicit-def: $vgpr38
	v_ashrrev_i32_e32 v8, 31, v7
	v_add_co_u32 v7, vcc_lo, v18, v7
	v_add_co_ci_u32_e64 v8, null, v19, v8, vcc_lo
.LBB2038_154:
	s_andn2_saveexec_b32 s3, s3
	s_cbranch_execz .LBB2038_156
; %bb.155:
	s_waitcnt lgkmcnt(4)
	v_add_co_u32 v7, vcc_lo, v15, v38
	v_add_co_ci_u32_e64 v8, null, 0, v17, vcc_lo
.LBB2038_156:
	s_or_b32 exec_lo, exec_lo, s3
	s_waitcnt lgkmcnt(4)
	v_lshlrev_b64 v[7:8], 2, v[7:8]
	v_add_co_u32 v7, vcc_lo, s16, v7
	v_add_co_ci_u32_e64 v8, null, s17, v8, vcc_lo
	s_waitcnt lgkmcnt(3)
	global_store_dword v[7:8], v5, off
	s_or_b32 exec_lo, exec_lo, s2
	s_mov_b32 s2, exec_lo
	v_cmpx_gt_u32_e64 s15, v37
	s_cbranch_execnz .LBB2038_188
.LBB2038_157:
	s_or_b32 exec_lo, exec_lo, s2
	s_mov_b32 s2, exec_lo
	v_cmpx_gt_u32_e64 s15, v36
	s_cbranch_execz .LBB2038_193
.LBB2038_158:
	s_mov_b32 s3, exec_lo
                                        ; implicit-def: $vgpr5_vgpr6
	v_cmpx_ge_u32_e64 v36, v16
	s_xor_b32 s3, exec_lo, s3
	s_cbranch_execz .LBB2038_160
; %bb.159:
	s_waitcnt lgkmcnt(3)
	v_xor_b32_e32 v5, 0xfffff7ff, v0
                                        ; implicit-def: $vgpr36
	v_ashrrev_i32_e32 v6, 31, v5
	v_add_co_u32 v5, vcc_lo, v18, v5
	v_add_co_ci_u32_e64 v6, null, v19, v6, vcc_lo
.LBB2038_160:
	s_andn2_saveexec_b32 s3, s3
	s_cbranch_execz .LBB2038_162
; %bb.161:
	s_waitcnt lgkmcnt(3)
	v_add_co_u32 v5, vcc_lo, v15, v36
	v_add_co_ci_u32_e64 v6, null, 0, v17, vcc_lo
.LBB2038_162:
	s_or_b32 exec_lo, exec_lo, s3
	s_waitcnt lgkmcnt(3)
	v_lshlrev_b64 v[5:6], 2, v[5:6]
	v_add_co_u32 v5, vcc_lo, s16, v5
	v_add_co_ci_u32_e64 v6, null, s17, v6, vcc_lo
	s_waitcnt lgkmcnt(2)
	global_store_dword v[5:6], v3, off
	s_or_b32 exec_lo, exec_lo, s2
	s_mov_b32 s2, exec_lo
	v_cmpx_gt_u32_e64 s15, v35
	s_cbranch_execnz .LBB2038_194
.LBB2038_163:
	s_or_b32 exec_lo, exec_lo, s2
	s_mov_b32 s2, exec_lo
	v_cmpx_gt_u32_e64 s15, v34
	s_cbranch_execz .LBB2038_199
.LBB2038_164:
	s_mov_b32 s3, exec_lo
                                        ; implicit-def: $vgpr3_vgpr4
	v_cmpx_ge_u32_e64 v34, v16
	s_xor_b32 s3, exec_lo, s3
	s_cbranch_execz .LBB2038_166
; %bb.165:
	s_waitcnt lgkmcnt(2)
	v_xor_b32_e32 v3, 0xfffff5ff, v0
                                        ; implicit-def: $vgpr34
	v_ashrrev_i32_e32 v4, 31, v3
	v_add_co_u32 v3, vcc_lo, v18, v3
	v_add_co_ci_u32_e64 v4, null, v19, v4, vcc_lo
.LBB2038_166:
	s_andn2_saveexec_b32 s3, s3
	s_cbranch_execz .LBB2038_168
; %bb.167:
	s_waitcnt lgkmcnt(2)
	v_add_co_u32 v3, vcc_lo, v15, v34
	v_add_co_ci_u32_e64 v4, null, 0, v17, vcc_lo
.LBB2038_168:
	s_or_b32 exec_lo, exec_lo, s3
	s_waitcnt lgkmcnt(2)
	v_lshlrev_b64 v[3:4], 2, v[3:4]
	v_add_co_u32 v3, vcc_lo, s16, v3
	v_add_co_ci_u32_e64 v4, null, s17, v4, vcc_lo
	s_waitcnt lgkmcnt(1)
	global_store_dword v[3:4], v1, off
	s_or_b32 exec_lo, exec_lo, s2
	s_mov_b32 s2, exec_lo
	v_cmpx_gt_u32_e64 s15, v33
	s_cbranch_execz .LBB2038_205
	s_branch .LBB2038_200
.LBB2038_169:
	s_or_b32 exec_lo, exec_lo, s2
	s_mov_b32 s2, exec_lo
	v_cmpx_gt_u32_e64 s15, v43
	s_cbranch_execz .LBB2038_139
.LBB2038_170:
	s_mov_b32 s3, exec_lo
                                        ; implicit-def: $vgpr13_vgpr14
	v_cmpx_ge_u32_e64 v43, v16
	s_xor_b32 s3, exec_lo, s3
	s_cbranch_execz .LBB2038_172
; %bb.171:
	s_waitcnt lgkmcnt(6)
	v_xor_b32_e32 v11, 0xfffffeff, v0
                                        ; implicit-def: $vgpr43
	v_ashrrev_i32_e32 v14, 31, v11
	v_add_co_u32 v13, vcc_lo, v18, v11
	v_add_co_ci_u32_e64 v14, null, v19, v14, vcc_lo
.LBB2038_172:
	s_andn2_saveexec_b32 s3, s3
; %bb.173:
	v_add_co_u32 v13, vcc_lo, v15, v43
	v_add_co_ci_u32_e64 v14, null, 0, v17, vcc_lo
; %bb.174:
	s_or_b32 exec_lo, exec_lo, s3
	v_lshlrev_b64 v[13:14], 2, v[13:14]
	v_add_co_u32 v13, vcc_lo, s16, v13
	v_add_co_ci_u32_e64 v14, null, s17, v14, vcc_lo
	s_waitcnt lgkmcnt(6)
	global_store_dword v[13:14], v12, off
	s_or_b32 exec_lo, exec_lo, s2
	s_mov_b32 s2, exec_lo
	v_cmpx_gt_u32_e64 s15, v42
	s_cbranch_execnz .LBB2038_140
.LBB2038_175:
	s_or_b32 exec_lo, exec_lo, s2
	s_mov_b32 s2, exec_lo
	v_cmpx_gt_u32_e64 s15, v41
	s_cbranch_execz .LBB2038_145
.LBB2038_176:
	s_mov_b32 s3, exec_lo
                                        ; implicit-def: $vgpr11_vgpr12
	v_cmpx_ge_u32_e64 v41, v16
	s_xor_b32 s3, exec_lo, s3
	s_cbranch_execz .LBB2038_178
; %bb.177:
	s_waitcnt lgkmcnt(5)
	v_xor_b32_e32 v9, 0xfffffcff, v0
                                        ; implicit-def: $vgpr41
	v_ashrrev_i32_e32 v12, 31, v9
	v_add_co_u32 v11, vcc_lo, v18, v9
	v_add_co_ci_u32_e64 v12, null, v19, v12, vcc_lo
.LBB2038_178:
	s_andn2_saveexec_b32 s3, s3
	s_cbranch_execz .LBB2038_180
; %bb.179:
	s_waitcnt lgkmcnt(6)
	v_add_co_u32 v11, vcc_lo, v15, v41
	v_add_co_ci_u32_e64 v12, null, 0, v17, vcc_lo
.LBB2038_180:
	s_or_b32 exec_lo, exec_lo, s3
	s_waitcnt lgkmcnt(6)
	v_lshlrev_b64 v[11:12], 2, v[11:12]
	v_add_co_u32 v11, vcc_lo, s16, v11
	v_add_co_ci_u32_e64 v12, null, s17, v12, vcc_lo
	s_waitcnt lgkmcnt(5)
	global_store_dword v[11:12], v10, off
	s_or_b32 exec_lo, exec_lo, s2
	s_mov_b32 s2, exec_lo
	v_cmpx_gt_u32_e64 s15, v40
	s_cbranch_execnz .LBB2038_146
.LBB2038_181:
	s_or_b32 exec_lo, exec_lo, s2
	s_mov_b32 s2, exec_lo
	v_cmpx_gt_u32_e64 s15, v39
	s_cbranch_execz .LBB2038_151
.LBB2038_182:
	s_mov_b32 s3, exec_lo
                                        ; implicit-def: $vgpr9_vgpr10
	v_cmpx_ge_u32_e64 v39, v16
	s_xor_b32 s3, exec_lo, s3
	s_cbranch_execz .LBB2038_184
; %bb.183:
	s_waitcnt lgkmcnt(4)
	v_xor_b32_e32 v7, 0xfffffaff, v0
                                        ; implicit-def: $vgpr39
	v_ashrrev_i32_e32 v10, 31, v7
	v_add_co_u32 v9, vcc_lo, v18, v7
	v_add_co_ci_u32_e64 v10, null, v19, v10, vcc_lo
.LBB2038_184:
	s_andn2_saveexec_b32 s3, s3
	s_cbranch_execz .LBB2038_186
; %bb.185:
	s_waitcnt lgkmcnt(5)
	v_add_co_u32 v9, vcc_lo, v15, v39
	v_add_co_ci_u32_e64 v10, null, 0, v17, vcc_lo
.LBB2038_186:
	s_or_b32 exec_lo, exec_lo, s3
	s_waitcnt lgkmcnt(5)
	v_lshlrev_b64 v[9:10], 2, v[9:10]
	v_add_co_u32 v9, vcc_lo, s16, v9
	v_add_co_ci_u32_e64 v10, null, s17, v10, vcc_lo
	s_waitcnt lgkmcnt(4)
	global_store_dword v[9:10], v8, off
	s_or_b32 exec_lo, exec_lo, s2
	s_mov_b32 s2, exec_lo
	v_cmpx_gt_u32_e64 s15, v38
	s_cbranch_execnz .LBB2038_152
.LBB2038_187:
	s_or_b32 exec_lo, exec_lo, s2
	s_mov_b32 s2, exec_lo
	v_cmpx_gt_u32_e64 s15, v37
	s_cbranch_execz .LBB2038_157
.LBB2038_188:
	s_mov_b32 s3, exec_lo
                                        ; implicit-def: $vgpr7_vgpr8
	v_cmpx_ge_u32_e64 v37, v16
	s_xor_b32 s3, exec_lo, s3
	s_cbranch_execz .LBB2038_190
; %bb.189:
	s_waitcnt lgkmcnt(3)
	v_xor_b32_e32 v5, 0xfffff8ff, v0
                                        ; implicit-def: $vgpr37
	v_ashrrev_i32_e32 v8, 31, v5
	v_add_co_u32 v7, vcc_lo, v18, v5
	v_add_co_ci_u32_e64 v8, null, v19, v8, vcc_lo
.LBB2038_190:
	s_andn2_saveexec_b32 s3, s3
	s_cbranch_execz .LBB2038_192
; %bb.191:
	s_waitcnt lgkmcnt(4)
	v_add_co_u32 v7, vcc_lo, v15, v37
	v_add_co_ci_u32_e64 v8, null, 0, v17, vcc_lo
.LBB2038_192:
	s_or_b32 exec_lo, exec_lo, s3
	s_waitcnt lgkmcnt(4)
	v_lshlrev_b64 v[7:8], 2, v[7:8]
	v_add_co_u32 v7, vcc_lo, s16, v7
	v_add_co_ci_u32_e64 v8, null, s17, v8, vcc_lo
	s_waitcnt lgkmcnt(3)
	global_store_dword v[7:8], v6, off
	s_or_b32 exec_lo, exec_lo, s2
	s_mov_b32 s2, exec_lo
	v_cmpx_gt_u32_e64 s15, v36
	s_cbranch_execnz .LBB2038_158
.LBB2038_193:
	s_or_b32 exec_lo, exec_lo, s2
	s_mov_b32 s2, exec_lo
	v_cmpx_gt_u32_e64 s15, v35
	s_cbranch_execz .LBB2038_163
.LBB2038_194:
	s_mov_b32 s3, exec_lo
                                        ; implicit-def: $vgpr5_vgpr6
	v_cmpx_ge_u32_e64 v35, v16
	s_xor_b32 s3, exec_lo, s3
	s_cbranch_execz .LBB2038_196
; %bb.195:
	s_waitcnt lgkmcnt(2)
	v_xor_b32_e32 v3, 0xfffff6ff, v0
                                        ; implicit-def: $vgpr35
	v_ashrrev_i32_e32 v6, 31, v3
	v_add_co_u32 v5, vcc_lo, v18, v3
	v_add_co_ci_u32_e64 v6, null, v19, v6, vcc_lo
.LBB2038_196:
	s_andn2_saveexec_b32 s3, s3
	s_cbranch_execz .LBB2038_198
; %bb.197:
	s_waitcnt lgkmcnt(3)
	v_add_co_u32 v5, vcc_lo, v15, v35
	v_add_co_ci_u32_e64 v6, null, 0, v17, vcc_lo
.LBB2038_198:
	s_or_b32 exec_lo, exec_lo, s3
	s_waitcnt lgkmcnt(3)
	v_lshlrev_b64 v[5:6], 2, v[5:6]
	v_add_co_u32 v5, vcc_lo, s16, v5
	v_add_co_ci_u32_e64 v6, null, s17, v6, vcc_lo
	s_waitcnt lgkmcnt(2)
	global_store_dword v[5:6], v4, off
	s_or_b32 exec_lo, exec_lo, s2
	s_mov_b32 s2, exec_lo
	v_cmpx_gt_u32_e64 s15, v34
	s_cbranch_execnz .LBB2038_164
.LBB2038_199:
	s_or_b32 exec_lo, exec_lo, s2
	s_mov_b32 s2, exec_lo
	v_cmpx_gt_u32_e64 s15, v33
	s_cbranch_execz .LBB2038_205
.LBB2038_200:
	s_mov_b32 s3, exec_lo
                                        ; implicit-def: $vgpr3_vgpr4
	v_cmpx_ge_u32_e64 v33, v16
	s_xor_b32 s3, exec_lo, s3
	s_cbranch_execz .LBB2038_202
; %bb.201:
	s_waitcnt lgkmcnt(1)
	v_xor_b32_e32 v1, 0xfffff4ff, v0
                                        ; implicit-def: $vgpr33
	v_ashrrev_i32_e32 v4, 31, v1
	v_add_co_u32 v3, vcc_lo, v18, v1
	v_add_co_ci_u32_e64 v4, null, v19, v4, vcc_lo
.LBB2038_202:
	s_andn2_saveexec_b32 s3, s3
	s_cbranch_execz .LBB2038_204
; %bb.203:
	s_waitcnt lgkmcnt(2)
	v_add_co_u32 v3, vcc_lo, v15, v33
	v_add_co_ci_u32_e64 v4, null, 0, v17, vcc_lo
.LBB2038_204:
	s_or_b32 exec_lo, exec_lo, s3
	s_waitcnt lgkmcnt(2)
	v_lshlrev_b64 v[3:4], 2, v[3:4]
	v_add_co_u32 v3, vcc_lo, s16, v3
	v_add_co_ci_u32_e64 v4, null, s17, v4, vcc_lo
	s_waitcnt lgkmcnt(1)
	global_store_dword v[3:4], v2, off
.LBB2038_205:
	s_or_b32 exec_lo, exec_lo, s2
	s_mov_b32 s2, exec_lo
                                        ; implicit-def: $vgpr13_vgpr14
	v_cmpx_gt_u32_e64 s15, v32
	s_cbranch_execz .LBB2038_211
; %bb.206:
	s_mov_b32 s3, exec_lo
                                        ; implicit-def: $vgpr13_vgpr14
	v_cmpx_ge_u32_e64 v32, v16
	s_xor_b32 s3, exec_lo, s3
	s_cbranch_execz .LBB2038_208
; %bb.207:
	v_xor_b32_e32 v0, 0xfffff3ff, v0
                                        ; implicit-def: $vgpr32
	s_waitcnt lgkmcnt(1)
	v_ashrrev_i32_e32 v1, 31, v0
	v_add_co_u32 v13, vcc_lo, v18, v0
	v_add_co_ci_u32_e64 v14, null, v19, v1, vcc_lo
.LBB2038_208:
	s_andn2_saveexec_b32 s3, s3
; %bb.209:
	v_add_co_u32 v13, vcc_lo, v15, v32
	v_add_co_ci_u32_e64 v14, null, 0, v17, vcc_lo
; %bb.210:
	s_or_b32 exec_lo, exec_lo, s3
	s_or_b32 s1, s1, exec_lo
.LBB2038_211:
	s_or_b32 exec_lo, exec_lo, s2
	s_and_saveexec_b32 s2, s1
	s_cbranch_execnz .LBB2038_130
.LBB2038_212:
	s_or_b32 exec_lo, exec_lo, s2
	s_and_b32 s0, s0, s14
	s_and_saveexec_b32 s1, s0
	s_cbranch_execz .LBB2038_131
.LBB2038_213:
	v_add_co_u32 v0, vcc_lo, v15, v16
	s_waitcnt lgkmcnt(1)
	v_mov_b32_e32 v2, 0
	v_add_co_ci_u32_e64 v1, null, 0, v17, vcc_lo
	global_store_dwordx2 v2, v[0:1], s[12:13]
	s_endpgm
	.section	.rodata,"a",@progbits
	.p2align	6, 0x0
	.amdhsa_kernel _ZN7rocprim17ROCPRIM_400000_NS6detail17trampoline_kernelINS0_13select_configILj256ELj13ELNS0_17block_load_methodE3ELS4_3ELS4_3ELNS0_20block_scan_algorithmE0ELj4294967295EEENS1_25partition_config_selectorILNS1_17partition_subalgoE3EjNS0_10empty_typeEbEEZZNS1_14partition_implILS8_3ELb0ES6_jNS0_17counting_iteratorIjlEEPS9_SE_NS0_5tupleIJPjSE_EEENSF_IJSE_SE_EEES9_SG_JZNS1_25segmented_radix_sort_implINS0_14default_configELb0EPK12hip_bfloat16PSL_PKlPlN2at6native12_GLOBAL__N_18offset_tEEE10hipError_tPvRmT1_PNSt15iterator_traitsISZ_E10value_typeET2_T3_PNS10_IS15_E10value_typeET4_jRbjT5_S1B_jjP12ihipStream_tbEUljE_EEESW_SX_SY_S15_S19_S1B_T6_T7_T9_mT8_S1D_bDpT10_ENKUlT_T0_E_clISt17integral_constantIbLb0EES1P_IbLb1EEEEDaS1L_S1M_EUlS1L_E_NS1_11comp_targetILNS1_3genE8ELNS1_11target_archE1030ELNS1_3gpuE2ELNS1_3repE0EEENS1_30default_config_static_selectorELNS0_4arch9wavefront6targetE0EEEvSZ_
		.amdhsa_group_segment_fixed_size 13320
		.amdhsa_private_segment_fixed_size 0
		.amdhsa_kernarg_size 152
		.amdhsa_user_sgpr_count 6
		.amdhsa_user_sgpr_private_segment_buffer 1
		.amdhsa_user_sgpr_dispatch_ptr 0
		.amdhsa_user_sgpr_queue_ptr 0
		.amdhsa_user_sgpr_kernarg_segment_ptr 1
		.amdhsa_user_sgpr_dispatch_id 0
		.amdhsa_user_sgpr_flat_scratch_init 0
		.amdhsa_user_sgpr_private_segment_size 0
		.amdhsa_wavefront_size32 1
		.amdhsa_uses_dynamic_stack 0
		.amdhsa_system_sgpr_private_segment_wavefront_offset 0
		.amdhsa_system_sgpr_workgroup_id_x 1
		.amdhsa_system_sgpr_workgroup_id_y 0
		.amdhsa_system_sgpr_workgroup_id_z 0
		.amdhsa_system_sgpr_workgroup_info 0
		.amdhsa_system_vgpr_workitem_id 0
		.amdhsa_next_free_vgpr 71
		.amdhsa_next_free_sgpr 26
		.amdhsa_reserve_vcc 1
		.amdhsa_reserve_flat_scratch 0
		.amdhsa_float_round_mode_32 0
		.amdhsa_float_round_mode_16_64 0
		.amdhsa_float_denorm_mode_32 3
		.amdhsa_float_denorm_mode_16_64 3
		.amdhsa_dx10_clamp 1
		.amdhsa_ieee_mode 1
		.amdhsa_fp16_overflow 0
		.amdhsa_workgroup_processor_mode 1
		.amdhsa_memory_ordered 1
		.amdhsa_forward_progress 1
		.amdhsa_shared_vgpr_count 0
		.amdhsa_exception_fp_ieee_invalid_op 0
		.amdhsa_exception_fp_denorm_src 0
		.amdhsa_exception_fp_ieee_div_zero 0
		.amdhsa_exception_fp_ieee_overflow 0
		.amdhsa_exception_fp_ieee_underflow 0
		.amdhsa_exception_fp_ieee_inexact 0
		.amdhsa_exception_int_div_zero 0
	.end_amdhsa_kernel
	.section	.text._ZN7rocprim17ROCPRIM_400000_NS6detail17trampoline_kernelINS0_13select_configILj256ELj13ELNS0_17block_load_methodE3ELS4_3ELS4_3ELNS0_20block_scan_algorithmE0ELj4294967295EEENS1_25partition_config_selectorILNS1_17partition_subalgoE3EjNS0_10empty_typeEbEEZZNS1_14partition_implILS8_3ELb0ES6_jNS0_17counting_iteratorIjlEEPS9_SE_NS0_5tupleIJPjSE_EEENSF_IJSE_SE_EEES9_SG_JZNS1_25segmented_radix_sort_implINS0_14default_configELb0EPK12hip_bfloat16PSL_PKlPlN2at6native12_GLOBAL__N_18offset_tEEE10hipError_tPvRmT1_PNSt15iterator_traitsISZ_E10value_typeET2_T3_PNS10_IS15_E10value_typeET4_jRbjT5_S1B_jjP12ihipStream_tbEUljE_EEESW_SX_SY_S15_S19_S1B_T6_T7_T9_mT8_S1D_bDpT10_ENKUlT_T0_E_clISt17integral_constantIbLb0EES1P_IbLb1EEEEDaS1L_S1M_EUlS1L_E_NS1_11comp_targetILNS1_3genE8ELNS1_11target_archE1030ELNS1_3gpuE2ELNS1_3repE0EEENS1_30default_config_static_selectorELNS0_4arch9wavefront6targetE0EEEvSZ_,"axG",@progbits,_ZN7rocprim17ROCPRIM_400000_NS6detail17trampoline_kernelINS0_13select_configILj256ELj13ELNS0_17block_load_methodE3ELS4_3ELS4_3ELNS0_20block_scan_algorithmE0ELj4294967295EEENS1_25partition_config_selectorILNS1_17partition_subalgoE3EjNS0_10empty_typeEbEEZZNS1_14partition_implILS8_3ELb0ES6_jNS0_17counting_iteratorIjlEEPS9_SE_NS0_5tupleIJPjSE_EEENSF_IJSE_SE_EEES9_SG_JZNS1_25segmented_radix_sort_implINS0_14default_configELb0EPK12hip_bfloat16PSL_PKlPlN2at6native12_GLOBAL__N_18offset_tEEE10hipError_tPvRmT1_PNSt15iterator_traitsISZ_E10value_typeET2_T3_PNS10_IS15_E10value_typeET4_jRbjT5_S1B_jjP12ihipStream_tbEUljE_EEESW_SX_SY_S15_S19_S1B_T6_T7_T9_mT8_S1D_bDpT10_ENKUlT_T0_E_clISt17integral_constantIbLb0EES1P_IbLb1EEEEDaS1L_S1M_EUlS1L_E_NS1_11comp_targetILNS1_3genE8ELNS1_11target_archE1030ELNS1_3gpuE2ELNS1_3repE0EEENS1_30default_config_static_selectorELNS0_4arch9wavefront6targetE0EEEvSZ_,comdat
.Lfunc_end2038:
	.size	_ZN7rocprim17ROCPRIM_400000_NS6detail17trampoline_kernelINS0_13select_configILj256ELj13ELNS0_17block_load_methodE3ELS4_3ELS4_3ELNS0_20block_scan_algorithmE0ELj4294967295EEENS1_25partition_config_selectorILNS1_17partition_subalgoE3EjNS0_10empty_typeEbEEZZNS1_14partition_implILS8_3ELb0ES6_jNS0_17counting_iteratorIjlEEPS9_SE_NS0_5tupleIJPjSE_EEENSF_IJSE_SE_EEES9_SG_JZNS1_25segmented_radix_sort_implINS0_14default_configELb0EPK12hip_bfloat16PSL_PKlPlN2at6native12_GLOBAL__N_18offset_tEEE10hipError_tPvRmT1_PNSt15iterator_traitsISZ_E10value_typeET2_T3_PNS10_IS15_E10value_typeET4_jRbjT5_S1B_jjP12ihipStream_tbEUljE_EEESW_SX_SY_S15_S19_S1B_T6_T7_T9_mT8_S1D_bDpT10_ENKUlT_T0_E_clISt17integral_constantIbLb0EES1P_IbLb1EEEEDaS1L_S1M_EUlS1L_E_NS1_11comp_targetILNS1_3genE8ELNS1_11target_archE1030ELNS1_3gpuE2ELNS1_3repE0EEENS1_30default_config_static_selectorELNS0_4arch9wavefront6targetE0EEEvSZ_, .Lfunc_end2038-_ZN7rocprim17ROCPRIM_400000_NS6detail17trampoline_kernelINS0_13select_configILj256ELj13ELNS0_17block_load_methodE3ELS4_3ELS4_3ELNS0_20block_scan_algorithmE0ELj4294967295EEENS1_25partition_config_selectorILNS1_17partition_subalgoE3EjNS0_10empty_typeEbEEZZNS1_14partition_implILS8_3ELb0ES6_jNS0_17counting_iteratorIjlEEPS9_SE_NS0_5tupleIJPjSE_EEENSF_IJSE_SE_EEES9_SG_JZNS1_25segmented_radix_sort_implINS0_14default_configELb0EPK12hip_bfloat16PSL_PKlPlN2at6native12_GLOBAL__N_18offset_tEEE10hipError_tPvRmT1_PNSt15iterator_traitsISZ_E10value_typeET2_T3_PNS10_IS15_E10value_typeET4_jRbjT5_S1B_jjP12ihipStream_tbEUljE_EEESW_SX_SY_S15_S19_S1B_T6_T7_T9_mT8_S1D_bDpT10_ENKUlT_T0_E_clISt17integral_constantIbLb0EES1P_IbLb1EEEEDaS1L_S1M_EUlS1L_E_NS1_11comp_targetILNS1_3genE8ELNS1_11target_archE1030ELNS1_3gpuE2ELNS1_3repE0EEENS1_30default_config_static_selectorELNS0_4arch9wavefront6targetE0EEEvSZ_
                                        ; -- End function
	.set _ZN7rocprim17ROCPRIM_400000_NS6detail17trampoline_kernelINS0_13select_configILj256ELj13ELNS0_17block_load_methodE3ELS4_3ELS4_3ELNS0_20block_scan_algorithmE0ELj4294967295EEENS1_25partition_config_selectorILNS1_17partition_subalgoE3EjNS0_10empty_typeEbEEZZNS1_14partition_implILS8_3ELb0ES6_jNS0_17counting_iteratorIjlEEPS9_SE_NS0_5tupleIJPjSE_EEENSF_IJSE_SE_EEES9_SG_JZNS1_25segmented_radix_sort_implINS0_14default_configELb0EPK12hip_bfloat16PSL_PKlPlN2at6native12_GLOBAL__N_18offset_tEEE10hipError_tPvRmT1_PNSt15iterator_traitsISZ_E10value_typeET2_T3_PNS10_IS15_E10value_typeET4_jRbjT5_S1B_jjP12ihipStream_tbEUljE_EEESW_SX_SY_S15_S19_S1B_T6_T7_T9_mT8_S1D_bDpT10_ENKUlT_T0_E_clISt17integral_constantIbLb0EES1P_IbLb1EEEEDaS1L_S1M_EUlS1L_E_NS1_11comp_targetILNS1_3genE8ELNS1_11target_archE1030ELNS1_3gpuE2ELNS1_3repE0EEENS1_30default_config_static_selectorELNS0_4arch9wavefront6targetE0EEEvSZ_.num_vgpr, 71
	.set _ZN7rocprim17ROCPRIM_400000_NS6detail17trampoline_kernelINS0_13select_configILj256ELj13ELNS0_17block_load_methodE3ELS4_3ELS4_3ELNS0_20block_scan_algorithmE0ELj4294967295EEENS1_25partition_config_selectorILNS1_17partition_subalgoE3EjNS0_10empty_typeEbEEZZNS1_14partition_implILS8_3ELb0ES6_jNS0_17counting_iteratorIjlEEPS9_SE_NS0_5tupleIJPjSE_EEENSF_IJSE_SE_EEES9_SG_JZNS1_25segmented_radix_sort_implINS0_14default_configELb0EPK12hip_bfloat16PSL_PKlPlN2at6native12_GLOBAL__N_18offset_tEEE10hipError_tPvRmT1_PNSt15iterator_traitsISZ_E10value_typeET2_T3_PNS10_IS15_E10value_typeET4_jRbjT5_S1B_jjP12ihipStream_tbEUljE_EEESW_SX_SY_S15_S19_S1B_T6_T7_T9_mT8_S1D_bDpT10_ENKUlT_T0_E_clISt17integral_constantIbLb0EES1P_IbLb1EEEEDaS1L_S1M_EUlS1L_E_NS1_11comp_targetILNS1_3genE8ELNS1_11target_archE1030ELNS1_3gpuE2ELNS1_3repE0EEENS1_30default_config_static_selectorELNS0_4arch9wavefront6targetE0EEEvSZ_.num_agpr, 0
	.set _ZN7rocprim17ROCPRIM_400000_NS6detail17trampoline_kernelINS0_13select_configILj256ELj13ELNS0_17block_load_methodE3ELS4_3ELS4_3ELNS0_20block_scan_algorithmE0ELj4294967295EEENS1_25partition_config_selectorILNS1_17partition_subalgoE3EjNS0_10empty_typeEbEEZZNS1_14partition_implILS8_3ELb0ES6_jNS0_17counting_iteratorIjlEEPS9_SE_NS0_5tupleIJPjSE_EEENSF_IJSE_SE_EEES9_SG_JZNS1_25segmented_radix_sort_implINS0_14default_configELb0EPK12hip_bfloat16PSL_PKlPlN2at6native12_GLOBAL__N_18offset_tEEE10hipError_tPvRmT1_PNSt15iterator_traitsISZ_E10value_typeET2_T3_PNS10_IS15_E10value_typeET4_jRbjT5_S1B_jjP12ihipStream_tbEUljE_EEESW_SX_SY_S15_S19_S1B_T6_T7_T9_mT8_S1D_bDpT10_ENKUlT_T0_E_clISt17integral_constantIbLb0EES1P_IbLb1EEEEDaS1L_S1M_EUlS1L_E_NS1_11comp_targetILNS1_3genE8ELNS1_11target_archE1030ELNS1_3gpuE2ELNS1_3repE0EEENS1_30default_config_static_selectorELNS0_4arch9wavefront6targetE0EEEvSZ_.numbered_sgpr, 26
	.set _ZN7rocprim17ROCPRIM_400000_NS6detail17trampoline_kernelINS0_13select_configILj256ELj13ELNS0_17block_load_methodE3ELS4_3ELS4_3ELNS0_20block_scan_algorithmE0ELj4294967295EEENS1_25partition_config_selectorILNS1_17partition_subalgoE3EjNS0_10empty_typeEbEEZZNS1_14partition_implILS8_3ELb0ES6_jNS0_17counting_iteratorIjlEEPS9_SE_NS0_5tupleIJPjSE_EEENSF_IJSE_SE_EEES9_SG_JZNS1_25segmented_radix_sort_implINS0_14default_configELb0EPK12hip_bfloat16PSL_PKlPlN2at6native12_GLOBAL__N_18offset_tEEE10hipError_tPvRmT1_PNSt15iterator_traitsISZ_E10value_typeET2_T3_PNS10_IS15_E10value_typeET4_jRbjT5_S1B_jjP12ihipStream_tbEUljE_EEESW_SX_SY_S15_S19_S1B_T6_T7_T9_mT8_S1D_bDpT10_ENKUlT_T0_E_clISt17integral_constantIbLb0EES1P_IbLb1EEEEDaS1L_S1M_EUlS1L_E_NS1_11comp_targetILNS1_3genE8ELNS1_11target_archE1030ELNS1_3gpuE2ELNS1_3repE0EEENS1_30default_config_static_selectorELNS0_4arch9wavefront6targetE0EEEvSZ_.num_named_barrier, 0
	.set _ZN7rocprim17ROCPRIM_400000_NS6detail17trampoline_kernelINS0_13select_configILj256ELj13ELNS0_17block_load_methodE3ELS4_3ELS4_3ELNS0_20block_scan_algorithmE0ELj4294967295EEENS1_25partition_config_selectorILNS1_17partition_subalgoE3EjNS0_10empty_typeEbEEZZNS1_14partition_implILS8_3ELb0ES6_jNS0_17counting_iteratorIjlEEPS9_SE_NS0_5tupleIJPjSE_EEENSF_IJSE_SE_EEES9_SG_JZNS1_25segmented_radix_sort_implINS0_14default_configELb0EPK12hip_bfloat16PSL_PKlPlN2at6native12_GLOBAL__N_18offset_tEEE10hipError_tPvRmT1_PNSt15iterator_traitsISZ_E10value_typeET2_T3_PNS10_IS15_E10value_typeET4_jRbjT5_S1B_jjP12ihipStream_tbEUljE_EEESW_SX_SY_S15_S19_S1B_T6_T7_T9_mT8_S1D_bDpT10_ENKUlT_T0_E_clISt17integral_constantIbLb0EES1P_IbLb1EEEEDaS1L_S1M_EUlS1L_E_NS1_11comp_targetILNS1_3genE8ELNS1_11target_archE1030ELNS1_3gpuE2ELNS1_3repE0EEENS1_30default_config_static_selectorELNS0_4arch9wavefront6targetE0EEEvSZ_.private_seg_size, 0
	.set _ZN7rocprim17ROCPRIM_400000_NS6detail17trampoline_kernelINS0_13select_configILj256ELj13ELNS0_17block_load_methodE3ELS4_3ELS4_3ELNS0_20block_scan_algorithmE0ELj4294967295EEENS1_25partition_config_selectorILNS1_17partition_subalgoE3EjNS0_10empty_typeEbEEZZNS1_14partition_implILS8_3ELb0ES6_jNS0_17counting_iteratorIjlEEPS9_SE_NS0_5tupleIJPjSE_EEENSF_IJSE_SE_EEES9_SG_JZNS1_25segmented_radix_sort_implINS0_14default_configELb0EPK12hip_bfloat16PSL_PKlPlN2at6native12_GLOBAL__N_18offset_tEEE10hipError_tPvRmT1_PNSt15iterator_traitsISZ_E10value_typeET2_T3_PNS10_IS15_E10value_typeET4_jRbjT5_S1B_jjP12ihipStream_tbEUljE_EEESW_SX_SY_S15_S19_S1B_T6_T7_T9_mT8_S1D_bDpT10_ENKUlT_T0_E_clISt17integral_constantIbLb0EES1P_IbLb1EEEEDaS1L_S1M_EUlS1L_E_NS1_11comp_targetILNS1_3genE8ELNS1_11target_archE1030ELNS1_3gpuE2ELNS1_3repE0EEENS1_30default_config_static_selectorELNS0_4arch9wavefront6targetE0EEEvSZ_.uses_vcc, 1
	.set _ZN7rocprim17ROCPRIM_400000_NS6detail17trampoline_kernelINS0_13select_configILj256ELj13ELNS0_17block_load_methodE3ELS4_3ELS4_3ELNS0_20block_scan_algorithmE0ELj4294967295EEENS1_25partition_config_selectorILNS1_17partition_subalgoE3EjNS0_10empty_typeEbEEZZNS1_14partition_implILS8_3ELb0ES6_jNS0_17counting_iteratorIjlEEPS9_SE_NS0_5tupleIJPjSE_EEENSF_IJSE_SE_EEES9_SG_JZNS1_25segmented_radix_sort_implINS0_14default_configELb0EPK12hip_bfloat16PSL_PKlPlN2at6native12_GLOBAL__N_18offset_tEEE10hipError_tPvRmT1_PNSt15iterator_traitsISZ_E10value_typeET2_T3_PNS10_IS15_E10value_typeET4_jRbjT5_S1B_jjP12ihipStream_tbEUljE_EEESW_SX_SY_S15_S19_S1B_T6_T7_T9_mT8_S1D_bDpT10_ENKUlT_T0_E_clISt17integral_constantIbLb0EES1P_IbLb1EEEEDaS1L_S1M_EUlS1L_E_NS1_11comp_targetILNS1_3genE8ELNS1_11target_archE1030ELNS1_3gpuE2ELNS1_3repE0EEENS1_30default_config_static_selectorELNS0_4arch9wavefront6targetE0EEEvSZ_.uses_flat_scratch, 0
	.set _ZN7rocprim17ROCPRIM_400000_NS6detail17trampoline_kernelINS0_13select_configILj256ELj13ELNS0_17block_load_methodE3ELS4_3ELS4_3ELNS0_20block_scan_algorithmE0ELj4294967295EEENS1_25partition_config_selectorILNS1_17partition_subalgoE3EjNS0_10empty_typeEbEEZZNS1_14partition_implILS8_3ELb0ES6_jNS0_17counting_iteratorIjlEEPS9_SE_NS0_5tupleIJPjSE_EEENSF_IJSE_SE_EEES9_SG_JZNS1_25segmented_radix_sort_implINS0_14default_configELb0EPK12hip_bfloat16PSL_PKlPlN2at6native12_GLOBAL__N_18offset_tEEE10hipError_tPvRmT1_PNSt15iterator_traitsISZ_E10value_typeET2_T3_PNS10_IS15_E10value_typeET4_jRbjT5_S1B_jjP12ihipStream_tbEUljE_EEESW_SX_SY_S15_S19_S1B_T6_T7_T9_mT8_S1D_bDpT10_ENKUlT_T0_E_clISt17integral_constantIbLb0EES1P_IbLb1EEEEDaS1L_S1M_EUlS1L_E_NS1_11comp_targetILNS1_3genE8ELNS1_11target_archE1030ELNS1_3gpuE2ELNS1_3repE0EEENS1_30default_config_static_selectorELNS0_4arch9wavefront6targetE0EEEvSZ_.has_dyn_sized_stack, 0
	.set _ZN7rocprim17ROCPRIM_400000_NS6detail17trampoline_kernelINS0_13select_configILj256ELj13ELNS0_17block_load_methodE3ELS4_3ELS4_3ELNS0_20block_scan_algorithmE0ELj4294967295EEENS1_25partition_config_selectorILNS1_17partition_subalgoE3EjNS0_10empty_typeEbEEZZNS1_14partition_implILS8_3ELb0ES6_jNS0_17counting_iteratorIjlEEPS9_SE_NS0_5tupleIJPjSE_EEENSF_IJSE_SE_EEES9_SG_JZNS1_25segmented_radix_sort_implINS0_14default_configELb0EPK12hip_bfloat16PSL_PKlPlN2at6native12_GLOBAL__N_18offset_tEEE10hipError_tPvRmT1_PNSt15iterator_traitsISZ_E10value_typeET2_T3_PNS10_IS15_E10value_typeET4_jRbjT5_S1B_jjP12ihipStream_tbEUljE_EEESW_SX_SY_S15_S19_S1B_T6_T7_T9_mT8_S1D_bDpT10_ENKUlT_T0_E_clISt17integral_constantIbLb0EES1P_IbLb1EEEEDaS1L_S1M_EUlS1L_E_NS1_11comp_targetILNS1_3genE8ELNS1_11target_archE1030ELNS1_3gpuE2ELNS1_3repE0EEENS1_30default_config_static_selectorELNS0_4arch9wavefront6targetE0EEEvSZ_.has_recursion, 0
	.set _ZN7rocprim17ROCPRIM_400000_NS6detail17trampoline_kernelINS0_13select_configILj256ELj13ELNS0_17block_load_methodE3ELS4_3ELS4_3ELNS0_20block_scan_algorithmE0ELj4294967295EEENS1_25partition_config_selectorILNS1_17partition_subalgoE3EjNS0_10empty_typeEbEEZZNS1_14partition_implILS8_3ELb0ES6_jNS0_17counting_iteratorIjlEEPS9_SE_NS0_5tupleIJPjSE_EEENSF_IJSE_SE_EEES9_SG_JZNS1_25segmented_radix_sort_implINS0_14default_configELb0EPK12hip_bfloat16PSL_PKlPlN2at6native12_GLOBAL__N_18offset_tEEE10hipError_tPvRmT1_PNSt15iterator_traitsISZ_E10value_typeET2_T3_PNS10_IS15_E10value_typeET4_jRbjT5_S1B_jjP12ihipStream_tbEUljE_EEESW_SX_SY_S15_S19_S1B_T6_T7_T9_mT8_S1D_bDpT10_ENKUlT_T0_E_clISt17integral_constantIbLb0EES1P_IbLb1EEEEDaS1L_S1M_EUlS1L_E_NS1_11comp_targetILNS1_3genE8ELNS1_11target_archE1030ELNS1_3gpuE2ELNS1_3repE0EEENS1_30default_config_static_selectorELNS0_4arch9wavefront6targetE0EEEvSZ_.has_indirect_call, 0
	.section	.AMDGPU.csdata,"",@progbits
; Kernel info:
; codeLenInByte = 8704
; TotalNumSgprs: 28
; NumVgprs: 71
; ScratchSize: 0
; MemoryBound: 0
; FloatMode: 240
; IeeeMode: 1
; LDSByteSize: 13320 bytes/workgroup (compile time only)
; SGPRBlocks: 0
; VGPRBlocks: 8
; NumSGPRsForWavesPerEU: 28
; NumVGPRsForWavesPerEU: 71
; Occupancy: 12
; WaveLimiterHint : 0
; COMPUTE_PGM_RSRC2:SCRATCH_EN: 0
; COMPUTE_PGM_RSRC2:USER_SGPR: 6
; COMPUTE_PGM_RSRC2:TRAP_HANDLER: 0
; COMPUTE_PGM_RSRC2:TGID_X_EN: 1
; COMPUTE_PGM_RSRC2:TGID_Y_EN: 0
; COMPUTE_PGM_RSRC2:TGID_Z_EN: 0
; COMPUTE_PGM_RSRC2:TIDIG_COMP_CNT: 0
	.section	.text._ZN7rocprim17ROCPRIM_400000_NS6detail17trampoline_kernelINS0_14default_configENS1_36segmented_radix_sort_config_selectorI12hip_bfloat16lEEZNS1_25segmented_radix_sort_implIS3_Lb0EPKS5_PS5_PKlPlN2at6native12_GLOBAL__N_18offset_tEEE10hipError_tPvRmT1_PNSt15iterator_traitsISL_E10value_typeET2_T3_PNSM_ISR_E10value_typeET4_jRbjT5_SX_jjP12ihipStream_tbEUlT_E_NS1_11comp_targetILNS1_3genE0ELNS1_11target_archE4294967295ELNS1_3gpuE0ELNS1_3repE0EEENS1_30default_config_static_selectorELNS0_4arch9wavefront6targetE0EEEvSL_,"axG",@progbits,_ZN7rocprim17ROCPRIM_400000_NS6detail17trampoline_kernelINS0_14default_configENS1_36segmented_radix_sort_config_selectorI12hip_bfloat16lEEZNS1_25segmented_radix_sort_implIS3_Lb0EPKS5_PS5_PKlPlN2at6native12_GLOBAL__N_18offset_tEEE10hipError_tPvRmT1_PNSt15iterator_traitsISL_E10value_typeET2_T3_PNSM_ISR_E10value_typeET4_jRbjT5_SX_jjP12ihipStream_tbEUlT_E_NS1_11comp_targetILNS1_3genE0ELNS1_11target_archE4294967295ELNS1_3gpuE0ELNS1_3repE0EEENS1_30default_config_static_selectorELNS0_4arch9wavefront6targetE0EEEvSL_,comdat
	.globl	_ZN7rocprim17ROCPRIM_400000_NS6detail17trampoline_kernelINS0_14default_configENS1_36segmented_radix_sort_config_selectorI12hip_bfloat16lEEZNS1_25segmented_radix_sort_implIS3_Lb0EPKS5_PS5_PKlPlN2at6native12_GLOBAL__N_18offset_tEEE10hipError_tPvRmT1_PNSt15iterator_traitsISL_E10value_typeET2_T3_PNSM_ISR_E10value_typeET4_jRbjT5_SX_jjP12ihipStream_tbEUlT_E_NS1_11comp_targetILNS1_3genE0ELNS1_11target_archE4294967295ELNS1_3gpuE0ELNS1_3repE0EEENS1_30default_config_static_selectorELNS0_4arch9wavefront6targetE0EEEvSL_ ; -- Begin function _ZN7rocprim17ROCPRIM_400000_NS6detail17trampoline_kernelINS0_14default_configENS1_36segmented_radix_sort_config_selectorI12hip_bfloat16lEEZNS1_25segmented_radix_sort_implIS3_Lb0EPKS5_PS5_PKlPlN2at6native12_GLOBAL__N_18offset_tEEE10hipError_tPvRmT1_PNSt15iterator_traitsISL_E10value_typeET2_T3_PNSM_ISR_E10value_typeET4_jRbjT5_SX_jjP12ihipStream_tbEUlT_E_NS1_11comp_targetILNS1_3genE0ELNS1_11target_archE4294967295ELNS1_3gpuE0ELNS1_3repE0EEENS1_30default_config_static_selectorELNS0_4arch9wavefront6targetE0EEEvSL_
	.p2align	8
	.type	_ZN7rocprim17ROCPRIM_400000_NS6detail17trampoline_kernelINS0_14default_configENS1_36segmented_radix_sort_config_selectorI12hip_bfloat16lEEZNS1_25segmented_radix_sort_implIS3_Lb0EPKS5_PS5_PKlPlN2at6native12_GLOBAL__N_18offset_tEEE10hipError_tPvRmT1_PNSt15iterator_traitsISL_E10value_typeET2_T3_PNSM_ISR_E10value_typeET4_jRbjT5_SX_jjP12ihipStream_tbEUlT_E_NS1_11comp_targetILNS1_3genE0ELNS1_11target_archE4294967295ELNS1_3gpuE0ELNS1_3repE0EEENS1_30default_config_static_selectorELNS0_4arch9wavefront6targetE0EEEvSL_,@function
_ZN7rocprim17ROCPRIM_400000_NS6detail17trampoline_kernelINS0_14default_configENS1_36segmented_radix_sort_config_selectorI12hip_bfloat16lEEZNS1_25segmented_radix_sort_implIS3_Lb0EPKS5_PS5_PKlPlN2at6native12_GLOBAL__N_18offset_tEEE10hipError_tPvRmT1_PNSt15iterator_traitsISL_E10value_typeET2_T3_PNSM_ISR_E10value_typeET4_jRbjT5_SX_jjP12ihipStream_tbEUlT_E_NS1_11comp_targetILNS1_3genE0ELNS1_11target_archE4294967295ELNS1_3gpuE0ELNS1_3repE0EEENS1_30default_config_static_selectorELNS0_4arch9wavefront6targetE0EEEvSL_: ; @_ZN7rocprim17ROCPRIM_400000_NS6detail17trampoline_kernelINS0_14default_configENS1_36segmented_radix_sort_config_selectorI12hip_bfloat16lEEZNS1_25segmented_radix_sort_implIS3_Lb0EPKS5_PS5_PKlPlN2at6native12_GLOBAL__N_18offset_tEEE10hipError_tPvRmT1_PNSt15iterator_traitsISL_E10value_typeET2_T3_PNSM_ISR_E10value_typeET4_jRbjT5_SX_jjP12ihipStream_tbEUlT_E_NS1_11comp_targetILNS1_3genE0ELNS1_11target_archE4294967295ELNS1_3gpuE0ELNS1_3repE0EEENS1_30default_config_static_selectorELNS0_4arch9wavefront6targetE0EEEvSL_
; %bb.0:
	.section	.rodata,"a",@progbits
	.p2align	6, 0x0
	.amdhsa_kernel _ZN7rocprim17ROCPRIM_400000_NS6detail17trampoline_kernelINS0_14default_configENS1_36segmented_radix_sort_config_selectorI12hip_bfloat16lEEZNS1_25segmented_radix_sort_implIS3_Lb0EPKS5_PS5_PKlPlN2at6native12_GLOBAL__N_18offset_tEEE10hipError_tPvRmT1_PNSt15iterator_traitsISL_E10value_typeET2_T3_PNSM_ISR_E10value_typeET4_jRbjT5_SX_jjP12ihipStream_tbEUlT_E_NS1_11comp_targetILNS1_3genE0ELNS1_11target_archE4294967295ELNS1_3gpuE0ELNS1_3repE0EEENS1_30default_config_static_selectorELNS0_4arch9wavefront6targetE0EEEvSL_
		.amdhsa_group_segment_fixed_size 0
		.amdhsa_private_segment_fixed_size 0
		.amdhsa_kernarg_size 96
		.amdhsa_user_sgpr_count 6
		.amdhsa_user_sgpr_private_segment_buffer 1
		.amdhsa_user_sgpr_dispatch_ptr 0
		.amdhsa_user_sgpr_queue_ptr 0
		.amdhsa_user_sgpr_kernarg_segment_ptr 1
		.amdhsa_user_sgpr_dispatch_id 0
		.amdhsa_user_sgpr_flat_scratch_init 0
		.amdhsa_user_sgpr_private_segment_size 0
		.amdhsa_wavefront_size32 1
		.amdhsa_uses_dynamic_stack 0
		.amdhsa_system_sgpr_private_segment_wavefront_offset 0
		.amdhsa_system_sgpr_workgroup_id_x 1
		.amdhsa_system_sgpr_workgroup_id_y 0
		.amdhsa_system_sgpr_workgroup_id_z 0
		.amdhsa_system_sgpr_workgroup_info 0
		.amdhsa_system_vgpr_workitem_id 0
		.amdhsa_next_free_vgpr 1
		.amdhsa_next_free_sgpr 1
		.amdhsa_reserve_vcc 0
		.amdhsa_reserve_flat_scratch 0
		.amdhsa_float_round_mode_32 0
		.amdhsa_float_round_mode_16_64 0
		.amdhsa_float_denorm_mode_32 3
		.amdhsa_float_denorm_mode_16_64 3
		.amdhsa_dx10_clamp 1
		.amdhsa_ieee_mode 1
		.amdhsa_fp16_overflow 0
		.amdhsa_workgroup_processor_mode 1
		.amdhsa_memory_ordered 1
		.amdhsa_forward_progress 1
		.amdhsa_shared_vgpr_count 0
		.amdhsa_exception_fp_ieee_invalid_op 0
		.amdhsa_exception_fp_denorm_src 0
		.amdhsa_exception_fp_ieee_div_zero 0
		.amdhsa_exception_fp_ieee_overflow 0
		.amdhsa_exception_fp_ieee_underflow 0
		.amdhsa_exception_fp_ieee_inexact 0
		.amdhsa_exception_int_div_zero 0
	.end_amdhsa_kernel
	.section	.text._ZN7rocprim17ROCPRIM_400000_NS6detail17trampoline_kernelINS0_14default_configENS1_36segmented_radix_sort_config_selectorI12hip_bfloat16lEEZNS1_25segmented_radix_sort_implIS3_Lb0EPKS5_PS5_PKlPlN2at6native12_GLOBAL__N_18offset_tEEE10hipError_tPvRmT1_PNSt15iterator_traitsISL_E10value_typeET2_T3_PNSM_ISR_E10value_typeET4_jRbjT5_SX_jjP12ihipStream_tbEUlT_E_NS1_11comp_targetILNS1_3genE0ELNS1_11target_archE4294967295ELNS1_3gpuE0ELNS1_3repE0EEENS1_30default_config_static_selectorELNS0_4arch9wavefront6targetE0EEEvSL_,"axG",@progbits,_ZN7rocprim17ROCPRIM_400000_NS6detail17trampoline_kernelINS0_14default_configENS1_36segmented_radix_sort_config_selectorI12hip_bfloat16lEEZNS1_25segmented_radix_sort_implIS3_Lb0EPKS5_PS5_PKlPlN2at6native12_GLOBAL__N_18offset_tEEE10hipError_tPvRmT1_PNSt15iterator_traitsISL_E10value_typeET2_T3_PNSM_ISR_E10value_typeET4_jRbjT5_SX_jjP12ihipStream_tbEUlT_E_NS1_11comp_targetILNS1_3genE0ELNS1_11target_archE4294967295ELNS1_3gpuE0ELNS1_3repE0EEENS1_30default_config_static_selectorELNS0_4arch9wavefront6targetE0EEEvSL_,comdat
.Lfunc_end2039:
	.size	_ZN7rocprim17ROCPRIM_400000_NS6detail17trampoline_kernelINS0_14default_configENS1_36segmented_radix_sort_config_selectorI12hip_bfloat16lEEZNS1_25segmented_radix_sort_implIS3_Lb0EPKS5_PS5_PKlPlN2at6native12_GLOBAL__N_18offset_tEEE10hipError_tPvRmT1_PNSt15iterator_traitsISL_E10value_typeET2_T3_PNSM_ISR_E10value_typeET4_jRbjT5_SX_jjP12ihipStream_tbEUlT_E_NS1_11comp_targetILNS1_3genE0ELNS1_11target_archE4294967295ELNS1_3gpuE0ELNS1_3repE0EEENS1_30default_config_static_selectorELNS0_4arch9wavefront6targetE0EEEvSL_, .Lfunc_end2039-_ZN7rocprim17ROCPRIM_400000_NS6detail17trampoline_kernelINS0_14default_configENS1_36segmented_radix_sort_config_selectorI12hip_bfloat16lEEZNS1_25segmented_radix_sort_implIS3_Lb0EPKS5_PS5_PKlPlN2at6native12_GLOBAL__N_18offset_tEEE10hipError_tPvRmT1_PNSt15iterator_traitsISL_E10value_typeET2_T3_PNSM_ISR_E10value_typeET4_jRbjT5_SX_jjP12ihipStream_tbEUlT_E_NS1_11comp_targetILNS1_3genE0ELNS1_11target_archE4294967295ELNS1_3gpuE0ELNS1_3repE0EEENS1_30default_config_static_selectorELNS0_4arch9wavefront6targetE0EEEvSL_
                                        ; -- End function
	.set _ZN7rocprim17ROCPRIM_400000_NS6detail17trampoline_kernelINS0_14default_configENS1_36segmented_radix_sort_config_selectorI12hip_bfloat16lEEZNS1_25segmented_radix_sort_implIS3_Lb0EPKS5_PS5_PKlPlN2at6native12_GLOBAL__N_18offset_tEEE10hipError_tPvRmT1_PNSt15iterator_traitsISL_E10value_typeET2_T3_PNSM_ISR_E10value_typeET4_jRbjT5_SX_jjP12ihipStream_tbEUlT_E_NS1_11comp_targetILNS1_3genE0ELNS1_11target_archE4294967295ELNS1_3gpuE0ELNS1_3repE0EEENS1_30default_config_static_selectorELNS0_4arch9wavefront6targetE0EEEvSL_.num_vgpr, 0
	.set _ZN7rocprim17ROCPRIM_400000_NS6detail17trampoline_kernelINS0_14default_configENS1_36segmented_radix_sort_config_selectorI12hip_bfloat16lEEZNS1_25segmented_radix_sort_implIS3_Lb0EPKS5_PS5_PKlPlN2at6native12_GLOBAL__N_18offset_tEEE10hipError_tPvRmT1_PNSt15iterator_traitsISL_E10value_typeET2_T3_PNSM_ISR_E10value_typeET4_jRbjT5_SX_jjP12ihipStream_tbEUlT_E_NS1_11comp_targetILNS1_3genE0ELNS1_11target_archE4294967295ELNS1_3gpuE0ELNS1_3repE0EEENS1_30default_config_static_selectorELNS0_4arch9wavefront6targetE0EEEvSL_.num_agpr, 0
	.set _ZN7rocprim17ROCPRIM_400000_NS6detail17trampoline_kernelINS0_14default_configENS1_36segmented_radix_sort_config_selectorI12hip_bfloat16lEEZNS1_25segmented_radix_sort_implIS3_Lb0EPKS5_PS5_PKlPlN2at6native12_GLOBAL__N_18offset_tEEE10hipError_tPvRmT1_PNSt15iterator_traitsISL_E10value_typeET2_T3_PNSM_ISR_E10value_typeET4_jRbjT5_SX_jjP12ihipStream_tbEUlT_E_NS1_11comp_targetILNS1_3genE0ELNS1_11target_archE4294967295ELNS1_3gpuE0ELNS1_3repE0EEENS1_30default_config_static_selectorELNS0_4arch9wavefront6targetE0EEEvSL_.numbered_sgpr, 0
	.set _ZN7rocprim17ROCPRIM_400000_NS6detail17trampoline_kernelINS0_14default_configENS1_36segmented_radix_sort_config_selectorI12hip_bfloat16lEEZNS1_25segmented_radix_sort_implIS3_Lb0EPKS5_PS5_PKlPlN2at6native12_GLOBAL__N_18offset_tEEE10hipError_tPvRmT1_PNSt15iterator_traitsISL_E10value_typeET2_T3_PNSM_ISR_E10value_typeET4_jRbjT5_SX_jjP12ihipStream_tbEUlT_E_NS1_11comp_targetILNS1_3genE0ELNS1_11target_archE4294967295ELNS1_3gpuE0ELNS1_3repE0EEENS1_30default_config_static_selectorELNS0_4arch9wavefront6targetE0EEEvSL_.num_named_barrier, 0
	.set _ZN7rocprim17ROCPRIM_400000_NS6detail17trampoline_kernelINS0_14default_configENS1_36segmented_radix_sort_config_selectorI12hip_bfloat16lEEZNS1_25segmented_radix_sort_implIS3_Lb0EPKS5_PS5_PKlPlN2at6native12_GLOBAL__N_18offset_tEEE10hipError_tPvRmT1_PNSt15iterator_traitsISL_E10value_typeET2_T3_PNSM_ISR_E10value_typeET4_jRbjT5_SX_jjP12ihipStream_tbEUlT_E_NS1_11comp_targetILNS1_3genE0ELNS1_11target_archE4294967295ELNS1_3gpuE0ELNS1_3repE0EEENS1_30default_config_static_selectorELNS0_4arch9wavefront6targetE0EEEvSL_.private_seg_size, 0
	.set _ZN7rocprim17ROCPRIM_400000_NS6detail17trampoline_kernelINS0_14default_configENS1_36segmented_radix_sort_config_selectorI12hip_bfloat16lEEZNS1_25segmented_radix_sort_implIS3_Lb0EPKS5_PS5_PKlPlN2at6native12_GLOBAL__N_18offset_tEEE10hipError_tPvRmT1_PNSt15iterator_traitsISL_E10value_typeET2_T3_PNSM_ISR_E10value_typeET4_jRbjT5_SX_jjP12ihipStream_tbEUlT_E_NS1_11comp_targetILNS1_3genE0ELNS1_11target_archE4294967295ELNS1_3gpuE0ELNS1_3repE0EEENS1_30default_config_static_selectorELNS0_4arch9wavefront6targetE0EEEvSL_.uses_vcc, 0
	.set _ZN7rocprim17ROCPRIM_400000_NS6detail17trampoline_kernelINS0_14default_configENS1_36segmented_radix_sort_config_selectorI12hip_bfloat16lEEZNS1_25segmented_radix_sort_implIS3_Lb0EPKS5_PS5_PKlPlN2at6native12_GLOBAL__N_18offset_tEEE10hipError_tPvRmT1_PNSt15iterator_traitsISL_E10value_typeET2_T3_PNSM_ISR_E10value_typeET4_jRbjT5_SX_jjP12ihipStream_tbEUlT_E_NS1_11comp_targetILNS1_3genE0ELNS1_11target_archE4294967295ELNS1_3gpuE0ELNS1_3repE0EEENS1_30default_config_static_selectorELNS0_4arch9wavefront6targetE0EEEvSL_.uses_flat_scratch, 0
	.set _ZN7rocprim17ROCPRIM_400000_NS6detail17trampoline_kernelINS0_14default_configENS1_36segmented_radix_sort_config_selectorI12hip_bfloat16lEEZNS1_25segmented_radix_sort_implIS3_Lb0EPKS5_PS5_PKlPlN2at6native12_GLOBAL__N_18offset_tEEE10hipError_tPvRmT1_PNSt15iterator_traitsISL_E10value_typeET2_T3_PNSM_ISR_E10value_typeET4_jRbjT5_SX_jjP12ihipStream_tbEUlT_E_NS1_11comp_targetILNS1_3genE0ELNS1_11target_archE4294967295ELNS1_3gpuE0ELNS1_3repE0EEENS1_30default_config_static_selectorELNS0_4arch9wavefront6targetE0EEEvSL_.has_dyn_sized_stack, 0
	.set _ZN7rocprim17ROCPRIM_400000_NS6detail17trampoline_kernelINS0_14default_configENS1_36segmented_radix_sort_config_selectorI12hip_bfloat16lEEZNS1_25segmented_radix_sort_implIS3_Lb0EPKS5_PS5_PKlPlN2at6native12_GLOBAL__N_18offset_tEEE10hipError_tPvRmT1_PNSt15iterator_traitsISL_E10value_typeET2_T3_PNSM_ISR_E10value_typeET4_jRbjT5_SX_jjP12ihipStream_tbEUlT_E_NS1_11comp_targetILNS1_3genE0ELNS1_11target_archE4294967295ELNS1_3gpuE0ELNS1_3repE0EEENS1_30default_config_static_selectorELNS0_4arch9wavefront6targetE0EEEvSL_.has_recursion, 0
	.set _ZN7rocprim17ROCPRIM_400000_NS6detail17trampoline_kernelINS0_14default_configENS1_36segmented_radix_sort_config_selectorI12hip_bfloat16lEEZNS1_25segmented_radix_sort_implIS3_Lb0EPKS5_PS5_PKlPlN2at6native12_GLOBAL__N_18offset_tEEE10hipError_tPvRmT1_PNSt15iterator_traitsISL_E10value_typeET2_T3_PNSM_ISR_E10value_typeET4_jRbjT5_SX_jjP12ihipStream_tbEUlT_E_NS1_11comp_targetILNS1_3genE0ELNS1_11target_archE4294967295ELNS1_3gpuE0ELNS1_3repE0EEENS1_30default_config_static_selectorELNS0_4arch9wavefront6targetE0EEEvSL_.has_indirect_call, 0
	.section	.AMDGPU.csdata,"",@progbits
; Kernel info:
; codeLenInByte = 0
; TotalNumSgprs: 0
; NumVgprs: 0
; ScratchSize: 0
; MemoryBound: 0
; FloatMode: 240
; IeeeMode: 1
; LDSByteSize: 0 bytes/workgroup (compile time only)
; SGPRBlocks: 0
; VGPRBlocks: 0
; NumSGPRsForWavesPerEU: 1
; NumVGPRsForWavesPerEU: 1
; Occupancy: 16
; WaveLimiterHint : 0
; COMPUTE_PGM_RSRC2:SCRATCH_EN: 0
; COMPUTE_PGM_RSRC2:USER_SGPR: 6
; COMPUTE_PGM_RSRC2:TRAP_HANDLER: 0
; COMPUTE_PGM_RSRC2:TGID_X_EN: 1
; COMPUTE_PGM_RSRC2:TGID_Y_EN: 0
; COMPUTE_PGM_RSRC2:TGID_Z_EN: 0
; COMPUTE_PGM_RSRC2:TIDIG_COMP_CNT: 0
	.section	.text._ZN7rocprim17ROCPRIM_400000_NS6detail17trampoline_kernelINS0_14default_configENS1_36segmented_radix_sort_config_selectorI12hip_bfloat16lEEZNS1_25segmented_radix_sort_implIS3_Lb0EPKS5_PS5_PKlPlN2at6native12_GLOBAL__N_18offset_tEEE10hipError_tPvRmT1_PNSt15iterator_traitsISL_E10value_typeET2_T3_PNSM_ISR_E10value_typeET4_jRbjT5_SX_jjP12ihipStream_tbEUlT_E_NS1_11comp_targetILNS1_3genE5ELNS1_11target_archE942ELNS1_3gpuE9ELNS1_3repE0EEENS1_30default_config_static_selectorELNS0_4arch9wavefront6targetE0EEEvSL_,"axG",@progbits,_ZN7rocprim17ROCPRIM_400000_NS6detail17trampoline_kernelINS0_14default_configENS1_36segmented_radix_sort_config_selectorI12hip_bfloat16lEEZNS1_25segmented_radix_sort_implIS3_Lb0EPKS5_PS5_PKlPlN2at6native12_GLOBAL__N_18offset_tEEE10hipError_tPvRmT1_PNSt15iterator_traitsISL_E10value_typeET2_T3_PNSM_ISR_E10value_typeET4_jRbjT5_SX_jjP12ihipStream_tbEUlT_E_NS1_11comp_targetILNS1_3genE5ELNS1_11target_archE942ELNS1_3gpuE9ELNS1_3repE0EEENS1_30default_config_static_selectorELNS0_4arch9wavefront6targetE0EEEvSL_,comdat
	.globl	_ZN7rocprim17ROCPRIM_400000_NS6detail17trampoline_kernelINS0_14default_configENS1_36segmented_radix_sort_config_selectorI12hip_bfloat16lEEZNS1_25segmented_radix_sort_implIS3_Lb0EPKS5_PS5_PKlPlN2at6native12_GLOBAL__N_18offset_tEEE10hipError_tPvRmT1_PNSt15iterator_traitsISL_E10value_typeET2_T3_PNSM_ISR_E10value_typeET4_jRbjT5_SX_jjP12ihipStream_tbEUlT_E_NS1_11comp_targetILNS1_3genE5ELNS1_11target_archE942ELNS1_3gpuE9ELNS1_3repE0EEENS1_30default_config_static_selectorELNS0_4arch9wavefront6targetE0EEEvSL_ ; -- Begin function _ZN7rocprim17ROCPRIM_400000_NS6detail17trampoline_kernelINS0_14default_configENS1_36segmented_radix_sort_config_selectorI12hip_bfloat16lEEZNS1_25segmented_radix_sort_implIS3_Lb0EPKS5_PS5_PKlPlN2at6native12_GLOBAL__N_18offset_tEEE10hipError_tPvRmT1_PNSt15iterator_traitsISL_E10value_typeET2_T3_PNSM_ISR_E10value_typeET4_jRbjT5_SX_jjP12ihipStream_tbEUlT_E_NS1_11comp_targetILNS1_3genE5ELNS1_11target_archE942ELNS1_3gpuE9ELNS1_3repE0EEENS1_30default_config_static_selectorELNS0_4arch9wavefront6targetE0EEEvSL_
	.p2align	8
	.type	_ZN7rocprim17ROCPRIM_400000_NS6detail17trampoline_kernelINS0_14default_configENS1_36segmented_radix_sort_config_selectorI12hip_bfloat16lEEZNS1_25segmented_radix_sort_implIS3_Lb0EPKS5_PS5_PKlPlN2at6native12_GLOBAL__N_18offset_tEEE10hipError_tPvRmT1_PNSt15iterator_traitsISL_E10value_typeET2_T3_PNSM_ISR_E10value_typeET4_jRbjT5_SX_jjP12ihipStream_tbEUlT_E_NS1_11comp_targetILNS1_3genE5ELNS1_11target_archE942ELNS1_3gpuE9ELNS1_3repE0EEENS1_30default_config_static_selectorELNS0_4arch9wavefront6targetE0EEEvSL_,@function
_ZN7rocprim17ROCPRIM_400000_NS6detail17trampoline_kernelINS0_14default_configENS1_36segmented_radix_sort_config_selectorI12hip_bfloat16lEEZNS1_25segmented_radix_sort_implIS3_Lb0EPKS5_PS5_PKlPlN2at6native12_GLOBAL__N_18offset_tEEE10hipError_tPvRmT1_PNSt15iterator_traitsISL_E10value_typeET2_T3_PNSM_ISR_E10value_typeET4_jRbjT5_SX_jjP12ihipStream_tbEUlT_E_NS1_11comp_targetILNS1_3genE5ELNS1_11target_archE942ELNS1_3gpuE9ELNS1_3repE0EEENS1_30default_config_static_selectorELNS0_4arch9wavefront6targetE0EEEvSL_: ; @_ZN7rocprim17ROCPRIM_400000_NS6detail17trampoline_kernelINS0_14default_configENS1_36segmented_radix_sort_config_selectorI12hip_bfloat16lEEZNS1_25segmented_radix_sort_implIS3_Lb0EPKS5_PS5_PKlPlN2at6native12_GLOBAL__N_18offset_tEEE10hipError_tPvRmT1_PNSt15iterator_traitsISL_E10value_typeET2_T3_PNSM_ISR_E10value_typeET4_jRbjT5_SX_jjP12ihipStream_tbEUlT_E_NS1_11comp_targetILNS1_3genE5ELNS1_11target_archE942ELNS1_3gpuE9ELNS1_3repE0EEENS1_30default_config_static_selectorELNS0_4arch9wavefront6targetE0EEEvSL_
; %bb.0:
	.section	.rodata,"a",@progbits
	.p2align	6, 0x0
	.amdhsa_kernel _ZN7rocprim17ROCPRIM_400000_NS6detail17trampoline_kernelINS0_14default_configENS1_36segmented_radix_sort_config_selectorI12hip_bfloat16lEEZNS1_25segmented_radix_sort_implIS3_Lb0EPKS5_PS5_PKlPlN2at6native12_GLOBAL__N_18offset_tEEE10hipError_tPvRmT1_PNSt15iterator_traitsISL_E10value_typeET2_T3_PNSM_ISR_E10value_typeET4_jRbjT5_SX_jjP12ihipStream_tbEUlT_E_NS1_11comp_targetILNS1_3genE5ELNS1_11target_archE942ELNS1_3gpuE9ELNS1_3repE0EEENS1_30default_config_static_selectorELNS0_4arch9wavefront6targetE0EEEvSL_
		.amdhsa_group_segment_fixed_size 0
		.amdhsa_private_segment_fixed_size 0
		.amdhsa_kernarg_size 96
		.amdhsa_user_sgpr_count 6
		.amdhsa_user_sgpr_private_segment_buffer 1
		.amdhsa_user_sgpr_dispatch_ptr 0
		.amdhsa_user_sgpr_queue_ptr 0
		.amdhsa_user_sgpr_kernarg_segment_ptr 1
		.amdhsa_user_sgpr_dispatch_id 0
		.amdhsa_user_sgpr_flat_scratch_init 0
		.amdhsa_user_sgpr_private_segment_size 0
		.amdhsa_wavefront_size32 1
		.amdhsa_uses_dynamic_stack 0
		.amdhsa_system_sgpr_private_segment_wavefront_offset 0
		.amdhsa_system_sgpr_workgroup_id_x 1
		.amdhsa_system_sgpr_workgroup_id_y 0
		.amdhsa_system_sgpr_workgroup_id_z 0
		.amdhsa_system_sgpr_workgroup_info 0
		.amdhsa_system_vgpr_workitem_id 0
		.amdhsa_next_free_vgpr 1
		.amdhsa_next_free_sgpr 1
		.amdhsa_reserve_vcc 0
		.amdhsa_reserve_flat_scratch 0
		.amdhsa_float_round_mode_32 0
		.amdhsa_float_round_mode_16_64 0
		.amdhsa_float_denorm_mode_32 3
		.amdhsa_float_denorm_mode_16_64 3
		.amdhsa_dx10_clamp 1
		.amdhsa_ieee_mode 1
		.amdhsa_fp16_overflow 0
		.amdhsa_workgroup_processor_mode 1
		.amdhsa_memory_ordered 1
		.amdhsa_forward_progress 1
		.amdhsa_shared_vgpr_count 0
		.amdhsa_exception_fp_ieee_invalid_op 0
		.amdhsa_exception_fp_denorm_src 0
		.amdhsa_exception_fp_ieee_div_zero 0
		.amdhsa_exception_fp_ieee_overflow 0
		.amdhsa_exception_fp_ieee_underflow 0
		.amdhsa_exception_fp_ieee_inexact 0
		.amdhsa_exception_int_div_zero 0
	.end_amdhsa_kernel
	.section	.text._ZN7rocprim17ROCPRIM_400000_NS6detail17trampoline_kernelINS0_14default_configENS1_36segmented_radix_sort_config_selectorI12hip_bfloat16lEEZNS1_25segmented_radix_sort_implIS3_Lb0EPKS5_PS5_PKlPlN2at6native12_GLOBAL__N_18offset_tEEE10hipError_tPvRmT1_PNSt15iterator_traitsISL_E10value_typeET2_T3_PNSM_ISR_E10value_typeET4_jRbjT5_SX_jjP12ihipStream_tbEUlT_E_NS1_11comp_targetILNS1_3genE5ELNS1_11target_archE942ELNS1_3gpuE9ELNS1_3repE0EEENS1_30default_config_static_selectorELNS0_4arch9wavefront6targetE0EEEvSL_,"axG",@progbits,_ZN7rocprim17ROCPRIM_400000_NS6detail17trampoline_kernelINS0_14default_configENS1_36segmented_radix_sort_config_selectorI12hip_bfloat16lEEZNS1_25segmented_radix_sort_implIS3_Lb0EPKS5_PS5_PKlPlN2at6native12_GLOBAL__N_18offset_tEEE10hipError_tPvRmT1_PNSt15iterator_traitsISL_E10value_typeET2_T3_PNSM_ISR_E10value_typeET4_jRbjT5_SX_jjP12ihipStream_tbEUlT_E_NS1_11comp_targetILNS1_3genE5ELNS1_11target_archE942ELNS1_3gpuE9ELNS1_3repE0EEENS1_30default_config_static_selectorELNS0_4arch9wavefront6targetE0EEEvSL_,comdat
.Lfunc_end2040:
	.size	_ZN7rocprim17ROCPRIM_400000_NS6detail17trampoline_kernelINS0_14default_configENS1_36segmented_radix_sort_config_selectorI12hip_bfloat16lEEZNS1_25segmented_radix_sort_implIS3_Lb0EPKS5_PS5_PKlPlN2at6native12_GLOBAL__N_18offset_tEEE10hipError_tPvRmT1_PNSt15iterator_traitsISL_E10value_typeET2_T3_PNSM_ISR_E10value_typeET4_jRbjT5_SX_jjP12ihipStream_tbEUlT_E_NS1_11comp_targetILNS1_3genE5ELNS1_11target_archE942ELNS1_3gpuE9ELNS1_3repE0EEENS1_30default_config_static_selectorELNS0_4arch9wavefront6targetE0EEEvSL_, .Lfunc_end2040-_ZN7rocprim17ROCPRIM_400000_NS6detail17trampoline_kernelINS0_14default_configENS1_36segmented_radix_sort_config_selectorI12hip_bfloat16lEEZNS1_25segmented_radix_sort_implIS3_Lb0EPKS5_PS5_PKlPlN2at6native12_GLOBAL__N_18offset_tEEE10hipError_tPvRmT1_PNSt15iterator_traitsISL_E10value_typeET2_T3_PNSM_ISR_E10value_typeET4_jRbjT5_SX_jjP12ihipStream_tbEUlT_E_NS1_11comp_targetILNS1_3genE5ELNS1_11target_archE942ELNS1_3gpuE9ELNS1_3repE0EEENS1_30default_config_static_selectorELNS0_4arch9wavefront6targetE0EEEvSL_
                                        ; -- End function
	.set _ZN7rocprim17ROCPRIM_400000_NS6detail17trampoline_kernelINS0_14default_configENS1_36segmented_radix_sort_config_selectorI12hip_bfloat16lEEZNS1_25segmented_radix_sort_implIS3_Lb0EPKS5_PS5_PKlPlN2at6native12_GLOBAL__N_18offset_tEEE10hipError_tPvRmT1_PNSt15iterator_traitsISL_E10value_typeET2_T3_PNSM_ISR_E10value_typeET4_jRbjT5_SX_jjP12ihipStream_tbEUlT_E_NS1_11comp_targetILNS1_3genE5ELNS1_11target_archE942ELNS1_3gpuE9ELNS1_3repE0EEENS1_30default_config_static_selectorELNS0_4arch9wavefront6targetE0EEEvSL_.num_vgpr, 0
	.set _ZN7rocprim17ROCPRIM_400000_NS6detail17trampoline_kernelINS0_14default_configENS1_36segmented_radix_sort_config_selectorI12hip_bfloat16lEEZNS1_25segmented_radix_sort_implIS3_Lb0EPKS5_PS5_PKlPlN2at6native12_GLOBAL__N_18offset_tEEE10hipError_tPvRmT1_PNSt15iterator_traitsISL_E10value_typeET2_T3_PNSM_ISR_E10value_typeET4_jRbjT5_SX_jjP12ihipStream_tbEUlT_E_NS1_11comp_targetILNS1_3genE5ELNS1_11target_archE942ELNS1_3gpuE9ELNS1_3repE0EEENS1_30default_config_static_selectorELNS0_4arch9wavefront6targetE0EEEvSL_.num_agpr, 0
	.set _ZN7rocprim17ROCPRIM_400000_NS6detail17trampoline_kernelINS0_14default_configENS1_36segmented_radix_sort_config_selectorI12hip_bfloat16lEEZNS1_25segmented_radix_sort_implIS3_Lb0EPKS5_PS5_PKlPlN2at6native12_GLOBAL__N_18offset_tEEE10hipError_tPvRmT1_PNSt15iterator_traitsISL_E10value_typeET2_T3_PNSM_ISR_E10value_typeET4_jRbjT5_SX_jjP12ihipStream_tbEUlT_E_NS1_11comp_targetILNS1_3genE5ELNS1_11target_archE942ELNS1_3gpuE9ELNS1_3repE0EEENS1_30default_config_static_selectorELNS0_4arch9wavefront6targetE0EEEvSL_.numbered_sgpr, 0
	.set _ZN7rocprim17ROCPRIM_400000_NS6detail17trampoline_kernelINS0_14default_configENS1_36segmented_radix_sort_config_selectorI12hip_bfloat16lEEZNS1_25segmented_radix_sort_implIS3_Lb0EPKS5_PS5_PKlPlN2at6native12_GLOBAL__N_18offset_tEEE10hipError_tPvRmT1_PNSt15iterator_traitsISL_E10value_typeET2_T3_PNSM_ISR_E10value_typeET4_jRbjT5_SX_jjP12ihipStream_tbEUlT_E_NS1_11comp_targetILNS1_3genE5ELNS1_11target_archE942ELNS1_3gpuE9ELNS1_3repE0EEENS1_30default_config_static_selectorELNS0_4arch9wavefront6targetE0EEEvSL_.num_named_barrier, 0
	.set _ZN7rocprim17ROCPRIM_400000_NS6detail17trampoline_kernelINS0_14default_configENS1_36segmented_radix_sort_config_selectorI12hip_bfloat16lEEZNS1_25segmented_radix_sort_implIS3_Lb0EPKS5_PS5_PKlPlN2at6native12_GLOBAL__N_18offset_tEEE10hipError_tPvRmT1_PNSt15iterator_traitsISL_E10value_typeET2_T3_PNSM_ISR_E10value_typeET4_jRbjT5_SX_jjP12ihipStream_tbEUlT_E_NS1_11comp_targetILNS1_3genE5ELNS1_11target_archE942ELNS1_3gpuE9ELNS1_3repE0EEENS1_30default_config_static_selectorELNS0_4arch9wavefront6targetE0EEEvSL_.private_seg_size, 0
	.set _ZN7rocprim17ROCPRIM_400000_NS6detail17trampoline_kernelINS0_14default_configENS1_36segmented_radix_sort_config_selectorI12hip_bfloat16lEEZNS1_25segmented_radix_sort_implIS3_Lb0EPKS5_PS5_PKlPlN2at6native12_GLOBAL__N_18offset_tEEE10hipError_tPvRmT1_PNSt15iterator_traitsISL_E10value_typeET2_T3_PNSM_ISR_E10value_typeET4_jRbjT5_SX_jjP12ihipStream_tbEUlT_E_NS1_11comp_targetILNS1_3genE5ELNS1_11target_archE942ELNS1_3gpuE9ELNS1_3repE0EEENS1_30default_config_static_selectorELNS0_4arch9wavefront6targetE0EEEvSL_.uses_vcc, 0
	.set _ZN7rocprim17ROCPRIM_400000_NS6detail17trampoline_kernelINS0_14default_configENS1_36segmented_radix_sort_config_selectorI12hip_bfloat16lEEZNS1_25segmented_radix_sort_implIS3_Lb0EPKS5_PS5_PKlPlN2at6native12_GLOBAL__N_18offset_tEEE10hipError_tPvRmT1_PNSt15iterator_traitsISL_E10value_typeET2_T3_PNSM_ISR_E10value_typeET4_jRbjT5_SX_jjP12ihipStream_tbEUlT_E_NS1_11comp_targetILNS1_3genE5ELNS1_11target_archE942ELNS1_3gpuE9ELNS1_3repE0EEENS1_30default_config_static_selectorELNS0_4arch9wavefront6targetE0EEEvSL_.uses_flat_scratch, 0
	.set _ZN7rocprim17ROCPRIM_400000_NS6detail17trampoline_kernelINS0_14default_configENS1_36segmented_radix_sort_config_selectorI12hip_bfloat16lEEZNS1_25segmented_radix_sort_implIS3_Lb0EPKS5_PS5_PKlPlN2at6native12_GLOBAL__N_18offset_tEEE10hipError_tPvRmT1_PNSt15iterator_traitsISL_E10value_typeET2_T3_PNSM_ISR_E10value_typeET4_jRbjT5_SX_jjP12ihipStream_tbEUlT_E_NS1_11comp_targetILNS1_3genE5ELNS1_11target_archE942ELNS1_3gpuE9ELNS1_3repE0EEENS1_30default_config_static_selectorELNS0_4arch9wavefront6targetE0EEEvSL_.has_dyn_sized_stack, 0
	.set _ZN7rocprim17ROCPRIM_400000_NS6detail17trampoline_kernelINS0_14default_configENS1_36segmented_radix_sort_config_selectorI12hip_bfloat16lEEZNS1_25segmented_radix_sort_implIS3_Lb0EPKS5_PS5_PKlPlN2at6native12_GLOBAL__N_18offset_tEEE10hipError_tPvRmT1_PNSt15iterator_traitsISL_E10value_typeET2_T3_PNSM_ISR_E10value_typeET4_jRbjT5_SX_jjP12ihipStream_tbEUlT_E_NS1_11comp_targetILNS1_3genE5ELNS1_11target_archE942ELNS1_3gpuE9ELNS1_3repE0EEENS1_30default_config_static_selectorELNS0_4arch9wavefront6targetE0EEEvSL_.has_recursion, 0
	.set _ZN7rocprim17ROCPRIM_400000_NS6detail17trampoline_kernelINS0_14default_configENS1_36segmented_radix_sort_config_selectorI12hip_bfloat16lEEZNS1_25segmented_radix_sort_implIS3_Lb0EPKS5_PS5_PKlPlN2at6native12_GLOBAL__N_18offset_tEEE10hipError_tPvRmT1_PNSt15iterator_traitsISL_E10value_typeET2_T3_PNSM_ISR_E10value_typeET4_jRbjT5_SX_jjP12ihipStream_tbEUlT_E_NS1_11comp_targetILNS1_3genE5ELNS1_11target_archE942ELNS1_3gpuE9ELNS1_3repE0EEENS1_30default_config_static_selectorELNS0_4arch9wavefront6targetE0EEEvSL_.has_indirect_call, 0
	.section	.AMDGPU.csdata,"",@progbits
; Kernel info:
; codeLenInByte = 0
; TotalNumSgprs: 0
; NumVgprs: 0
; ScratchSize: 0
; MemoryBound: 0
; FloatMode: 240
; IeeeMode: 1
; LDSByteSize: 0 bytes/workgroup (compile time only)
; SGPRBlocks: 0
; VGPRBlocks: 0
; NumSGPRsForWavesPerEU: 1
; NumVGPRsForWavesPerEU: 1
; Occupancy: 16
; WaveLimiterHint : 0
; COMPUTE_PGM_RSRC2:SCRATCH_EN: 0
; COMPUTE_PGM_RSRC2:USER_SGPR: 6
; COMPUTE_PGM_RSRC2:TRAP_HANDLER: 0
; COMPUTE_PGM_RSRC2:TGID_X_EN: 1
; COMPUTE_PGM_RSRC2:TGID_Y_EN: 0
; COMPUTE_PGM_RSRC2:TGID_Z_EN: 0
; COMPUTE_PGM_RSRC2:TIDIG_COMP_CNT: 0
	.section	.text._ZN7rocprim17ROCPRIM_400000_NS6detail17trampoline_kernelINS0_14default_configENS1_36segmented_radix_sort_config_selectorI12hip_bfloat16lEEZNS1_25segmented_radix_sort_implIS3_Lb0EPKS5_PS5_PKlPlN2at6native12_GLOBAL__N_18offset_tEEE10hipError_tPvRmT1_PNSt15iterator_traitsISL_E10value_typeET2_T3_PNSM_ISR_E10value_typeET4_jRbjT5_SX_jjP12ihipStream_tbEUlT_E_NS1_11comp_targetILNS1_3genE4ELNS1_11target_archE910ELNS1_3gpuE8ELNS1_3repE0EEENS1_30default_config_static_selectorELNS0_4arch9wavefront6targetE0EEEvSL_,"axG",@progbits,_ZN7rocprim17ROCPRIM_400000_NS6detail17trampoline_kernelINS0_14default_configENS1_36segmented_radix_sort_config_selectorI12hip_bfloat16lEEZNS1_25segmented_radix_sort_implIS3_Lb0EPKS5_PS5_PKlPlN2at6native12_GLOBAL__N_18offset_tEEE10hipError_tPvRmT1_PNSt15iterator_traitsISL_E10value_typeET2_T3_PNSM_ISR_E10value_typeET4_jRbjT5_SX_jjP12ihipStream_tbEUlT_E_NS1_11comp_targetILNS1_3genE4ELNS1_11target_archE910ELNS1_3gpuE8ELNS1_3repE0EEENS1_30default_config_static_selectorELNS0_4arch9wavefront6targetE0EEEvSL_,comdat
	.globl	_ZN7rocprim17ROCPRIM_400000_NS6detail17trampoline_kernelINS0_14default_configENS1_36segmented_radix_sort_config_selectorI12hip_bfloat16lEEZNS1_25segmented_radix_sort_implIS3_Lb0EPKS5_PS5_PKlPlN2at6native12_GLOBAL__N_18offset_tEEE10hipError_tPvRmT1_PNSt15iterator_traitsISL_E10value_typeET2_T3_PNSM_ISR_E10value_typeET4_jRbjT5_SX_jjP12ihipStream_tbEUlT_E_NS1_11comp_targetILNS1_3genE4ELNS1_11target_archE910ELNS1_3gpuE8ELNS1_3repE0EEENS1_30default_config_static_selectorELNS0_4arch9wavefront6targetE0EEEvSL_ ; -- Begin function _ZN7rocprim17ROCPRIM_400000_NS6detail17trampoline_kernelINS0_14default_configENS1_36segmented_radix_sort_config_selectorI12hip_bfloat16lEEZNS1_25segmented_radix_sort_implIS3_Lb0EPKS5_PS5_PKlPlN2at6native12_GLOBAL__N_18offset_tEEE10hipError_tPvRmT1_PNSt15iterator_traitsISL_E10value_typeET2_T3_PNSM_ISR_E10value_typeET4_jRbjT5_SX_jjP12ihipStream_tbEUlT_E_NS1_11comp_targetILNS1_3genE4ELNS1_11target_archE910ELNS1_3gpuE8ELNS1_3repE0EEENS1_30default_config_static_selectorELNS0_4arch9wavefront6targetE0EEEvSL_
	.p2align	8
	.type	_ZN7rocprim17ROCPRIM_400000_NS6detail17trampoline_kernelINS0_14default_configENS1_36segmented_radix_sort_config_selectorI12hip_bfloat16lEEZNS1_25segmented_radix_sort_implIS3_Lb0EPKS5_PS5_PKlPlN2at6native12_GLOBAL__N_18offset_tEEE10hipError_tPvRmT1_PNSt15iterator_traitsISL_E10value_typeET2_T3_PNSM_ISR_E10value_typeET4_jRbjT5_SX_jjP12ihipStream_tbEUlT_E_NS1_11comp_targetILNS1_3genE4ELNS1_11target_archE910ELNS1_3gpuE8ELNS1_3repE0EEENS1_30default_config_static_selectorELNS0_4arch9wavefront6targetE0EEEvSL_,@function
_ZN7rocprim17ROCPRIM_400000_NS6detail17trampoline_kernelINS0_14default_configENS1_36segmented_radix_sort_config_selectorI12hip_bfloat16lEEZNS1_25segmented_radix_sort_implIS3_Lb0EPKS5_PS5_PKlPlN2at6native12_GLOBAL__N_18offset_tEEE10hipError_tPvRmT1_PNSt15iterator_traitsISL_E10value_typeET2_T3_PNSM_ISR_E10value_typeET4_jRbjT5_SX_jjP12ihipStream_tbEUlT_E_NS1_11comp_targetILNS1_3genE4ELNS1_11target_archE910ELNS1_3gpuE8ELNS1_3repE0EEENS1_30default_config_static_selectorELNS0_4arch9wavefront6targetE0EEEvSL_: ; @_ZN7rocprim17ROCPRIM_400000_NS6detail17trampoline_kernelINS0_14default_configENS1_36segmented_radix_sort_config_selectorI12hip_bfloat16lEEZNS1_25segmented_radix_sort_implIS3_Lb0EPKS5_PS5_PKlPlN2at6native12_GLOBAL__N_18offset_tEEE10hipError_tPvRmT1_PNSt15iterator_traitsISL_E10value_typeET2_T3_PNSM_ISR_E10value_typeET4_jRbjT5_SX_jjP12ihipStream_tbEUlT_E_NS1_11comp_targetILNS1_3genE4ELNS1_11target_archE910ELNS1_3gpuE8ELNS1_3repE0EEENS1_30default_config_static_selectorELNS0_4arch9wavefront6targetE0EEEvSL_
; %bb.0:
	.section	.rodata,"a",@progbits
	.p2align	6, 0x0
	.amdhsa_kernel _ZN7rocprim17ROCPRIM_400000_NS6detail17trampoline_kernelINS0_14default_configENS1_36segmented_radix_sort_config_selectorI12hip_bfloat16lEEZNS1_25segmented_radix_sort_implIS3_Lb0EPKS5_PS5_PKlPlN2at6native12_GLOBAL__N_18offset_tEEE10hipError_tPvRmT1_PNSt15iterator_traitsISL_E10value_typeET2_T3_PNSM_ISR_E10value_typeET4_jRbjT5_SX_jjP12ihipStream_tbEUlT_E_NS1_11comp_targetILNS1_3genE4ELNS1_11target_archE910ELNS1_3gpuE8ELNS1_3repE0EEENS1_30default_config_static_selectorELNS0_4arch9wavefront6targetE0EEEvSL_
		.amdhsa_group_segment_fixed_size 0
		.amdhsa_private_segment_fixed_size 0
		.amdhsa_kernarg_size 96
		.amdhsa_user_sgpr_count 6
		.amdhsa_user_sgpr_private_segment_buffer 1
		.amdhsa_user_sgpr_dispatch_ptr 0
		.amdhsa_user_sgpr_queue_ptr 0
		.amdhsa_user_sgpr_kernarg_segment_ptr 1
		.amdhsa_user_sgpr_dispatch_id 0
		.amdhsa_user_sgpr_flat_scratch_init 0
		.amdhsa_user_sgpr_private_segment_size 0
		.amdhsa_wavefront_size32 1
		.amdhsa_uses_dynamic_stack 0
		.amdhsa_system_sgpr_private_segment_wavefront_offset 0
		.amdhsa_system_sgpr_workgroup_id_x 1
		.amdhsa_system_sgpr_workgroup_id_y 0
		.amdhsa_system_sgpr_workgroup_id_z 0
		.amdhsa_system_sgpr_workgroup_info 0
		.amdhsa_system_vgpr_workitem_id 0
		.amdhsa_next_free_vgpr 1
		.amdhsa_next_free_sgpr 1
		.amdhsa_reserve_vcc 0
		.amdhsa_reserve_flat_scratch 0
		.amdhsa_float_round_mode_32 0
		.amdhsa_float_round_mode_16_64 0
		.amdhsa_float_denorm_mode_32 3
		.amdhsa_float_denorm_mode_16_64 3
		.amdhsa_dx10_clamp 1
		.amdhsa_ieee_mode 1
		.amdhsa_fp16_overflow 0
		.amdhsa_workgroup_processor_mode 1
		.amdhsa_memory_ordered 1
		.amdhsa_forward_progress 1
		.amdhsa_shared_vgpr_count 0
		.amdhsa_exception_fp_ieee_invalid_op 0
		.amdhsa_exception_fp_denorm_src 0
		.amdhsa_exception_fp_ieee_div_zero 0
		.amdhsa_exception_fp_ieee_overflow 0
		.amdhsa_exception_fp_ieee_underflow 0
		.amdhsa_exception_fp_ieee_inexact 0
		.amdhsa_exception_int_div_zero 0
	.end_amdhsa_kernel
	.section	.text._ZN7rocprim17ROCPRIM_400000_NS6detail17trampoline_kernelINS0_14default_configENS1_36segmented_radix_sort_config_selectorI12hip_bfloat16lEEZNS1_25segmented_radix_sort_implIS3_Lb0EPKS5_PS5_PKlPlN2at6native12_GLOBAL__N_18offset_tEEE10hipError_tPvRmT1_PNSt15iterator_traitsISL_E10value_typeET2_T3_PNSM_ISR_E10value_typeET4_jRbjT5_SX_jjP12ihipStream_tbEUlT_E_NS1_11comp_targetILNS1_3genE4ELNS1_11target_archE910ELNS1_3gpuE8ELNS1_3repE0EEENS1_30default_config_static_selectorELNS0_4arch9wavefront6targetE0EEEvSL_,"axG",@progbits,_ZN7rocprim17ROCPRIM_400000_NS6detail17trampoline_kernelINS0_14default_configENS1_36segmented_radix_sort_config_selectorI12hip_bfloat16lEEZNS1_25segmented_radix_sort_implIS3_Lb0EPKS5_PS5_PKlPlN2at6native12_GLOBAL__N_18offset_tEEE10hipError_tPvRmT1_PNSt15iterator_traitsISL_E10value_typeET2_T3_PNSM_ISR_E10value_typeET4_jRbjT5_SX_jjP12ihipStream_tbEUlT_E_NS1_11comp_targetILNS1_3genE4ELNS1_11target_archE910ELNS1_3gpuE8ELNS1_3repE0EEENS1_30default_config_static_selectorELNS0_4arch9wavefront6targetE0EEEvSL_,comdat
.Lfunc_end2041:
	.size	_ZN7rocprim17ROCPRIM_400000_NS6detail17trampoline_kernelINS0_14default_configENS1_36segmented_radix_sort_config_selectorI12hip_bfloat16lEEZNS1_25segmented_radix_sort_implIS3_Lb0EPKS5_PS5_PKlPlN2at6native12_GLOBAL__N_18offset_tEEE10hipError_tPvRmT1_PNSt15iterator_traitsISL_E10value_typeET2_T3_PNSM_ISR_E10value_typeET4_jRbjT5_SX_jjP12ihipStream_tbEUlT_E_NS1_11comp_targetILNS1_3genE4ELNS1_11target_archE910ELNS1_3gpuE8ELNS1_3repE0EEENS1_30default_config_static_selectorELNS0_4arch9wavefront6targetE0EEEvSL_, .Lfunc_end2041-_ZN7rocprim17ROCPRIM_400000_NS6detail17trampoline_kernelINS0_14default_configENS1_36segmented_radix_sort_config_selectorI12hip_bfloat16lEEZNS1_25segmented_radix_sort_implIS3_Lb0EPKS5_PS5_PKlPlN2at6native12_GLOBAL__N_18offset_tEEE10hipError_tPvRmT1_PNSt15iterator_traitsISL_E10value_typeET2_T3_PNSM_ISR_E10value_typeET4_jRbjT5_SX_jjP12ihipStream_tbEUlT_E_NS1_11comp_targetILNS1_3genE4ELNS1_11target_archE910ELNS1_3gpuE8ELNS1_3repE0EEENS1_30default_config_static_selectorELNS0_4arch9wavefront6targetE0EEEvSL_
                                        ; -- End function
	.set _ZN7rocprim17ROCPRIM_400000_NS6detail17trampoline_kernelINS0_14default_configENS1_36segmented_radix_sort_config_selectorI12hip_bfloat16lEEZNS1_25segmented_radix_sort_implIS3_Lb0EPKS5_PS5_PKlPlN2at6native12_GLOBAL__N_18offset_tEEE10hipError_tPvRmT1_PNSt15iterator_traitsISL_E10value_typeET2_T3_PNSM_ISR_E10value_typeET4_jRbjT5_SX_jjP12ihipStream_tbEUlT_E_NS1_11comp_targetILNS1_3genE4ELNS1_11target_archE910ELNS1_3gpuE8ELNS1_3repE0EEENS1_30default_config_static_selectorELNS0_4arch9wavefront6targetE0EEEvSL_.num_vgpr, 0
	.set _ZN7rocprim17ROCPRIM_400000_NS6detail17trampoline_kernelINS0_14default_configENS1_36segmented_radix_sort_config_selectorI12hip_bfloat16lEEZNS1_25segmented_radix_sort_implIS3_Lb0EPKS5_PS5_PKlPlN2at6native12_GLOBAL__N_18offset_tEEE10hipError_tPvRmT1_PNSt15iterator_traitsISL_E10value_typeET2_T3_PNSM_ISR_E10value_typeET4_jRbjT5_SX_jjP12ihipStream_tbEUlT_E_NS1_11comp_targetILNS1_3genE4ELNS1_11target_archE910ELNS1_3gpuE8ELNS1_3repE0EEENS1_30default_config_static_selectorELNS0_4arch9wavefront6targetE0EEEvSL_.num_agpr, 0
	.set _ZN7rocprim17ROCPRIM_400000_NS6detail17trampoline_kernelINS0_14default_configENS1_36segmented_radix_sort_config_selectorI12hip_bfloat16lEEZNS1_25segmented_radix_sort_implIS3_Lb0EPKS5_PS5_PKlPlN2at6native12_GLOBAL__N_18offset_tEEE10hipError_tPvRmT1_PNSt15iterator_traitsISL_E10value_typeET2_T3_PNSM_ISR_E10value_typeET4_jRbjT5_SX_jjP12ihipStream_tbEUlT_E_NS1_11comp_targetILNS1_3genE4ELNS1_11target_archE910ELNS1_3gpuE8ELNS1_3repE0EEENS1_30default_config_static_selectorELNS0_4arch9wavefront6targetE0EEEvSL_.numbered_sgpr, 0
	.set _ZN7rocprim17ROCPRIM_400000_NS6detail17trampoline_kernelINS0_14default_configENS1_36segmented_radix_sort_config_selectorI12hip_bfloat16lEEZNS1_25segmented_radix_sort_implIS3_Lb0EPKS5_PS5_PKlPlN2at6native12_GLOBAL__N_18offset_tEEE10hipError_tPvRmT1_PNSt15iterator_traitsISL_E10value_typeET2_T3_PNSM_ISR_E10value_typeET4_jRbjT5_SX_jjP12ihipStream_tbEUlT_E_NS1_11comp_targetILNS1_3genE4ELNS1_11target_archE910ELNS1_3gpuE8ELNS1_3repE0EEENS1_30default_config_static_selectorELNS0_4arch9wavefront6targetE0EEEvSL_.num_named_barrier, 0
	.set _ZN7rocprim17ROCPRIM_400000_NS6detail17trampoline_kernelINS0_14default_configENS1_36segmented_radix_sort_config_selectorI12hip_bfloat16lEEZNS1_25segmented_radix_sort_implIS3_Lb0EPKS5_PS5_PKlPlN2at6native12_GLOBAL__N_18offset_tEEE10hipError_tPvRmT1_PNSt15iterator_traitsISL_E10value_typeET2_T3_PNSM_ISR_E10value_typeET4_jRbjT5_SX_jjP12ihipStream_tbEUlT_E_NS1_11comp_targetILNS1_3genE4ELNS1_11target_archE910ELNS1_3gpuE8ELNS1_3repE0EEENS1_30default_config_static_selectorELNS0_4arch9wavefront6targetE0EEEvSL_.private_seg_size, 0
	.set _ZN7rocprim17ROCPRIM_400000_NS6detail17trampoline_kernelINS0_14default_configENS1_36segmented_radix_sort_config_selectorI12hip_bfloat16lEEZNS1_25segmented_radix_sort_implIS3_Lb0EPKS5_PS5_PKlPlN2at6native12_GLOBAL__N_18offset_tEEE10hipError_tPvRmT1_PNSt15iterator_traitsISL_E10value_typeET2_T3_PNSM_ISR_E10value_typeET4_jRbjT5_SX_jjP12ihipStream_tbEUlT_E_NS1_11comp_targetILNS1_3genE4ELNS1_11target_archE910ELNS1_3gpuE8ELNS1_3repE0EEENS1_30default_config_static_selectorELNS0_4arch9wavefront6targetE0EEEvSL_.uses_vcc, 0
	.set _ZN7rocprim17ROCPRIM_400000_NS6detail17trampoline_kernelINS0_14default_configENS1_36segmented_radix_sort_config_selectorI12hip_bfloat16lEEZNS1_25segmented_radix_sort_implIS3_Lb0EPKS5_PS5_PKlPlN2at6native12_GLOBAL__N_18offset_tEEE10hipError_tPvRmT1_PNSt15iterator_traitsISL_E10value_typeET2_T3_PNSM_ISR_E10value_typeET4_jRbjT5_SX_jjP12ihipStream_tbEUlT_E_NS1_11comp_targetILNS1_3genE4ELNS1_11target_archE910ELNS1_3gpuE8ELNS1_3repE0EEENS1_30default_config_static_selectorELNS0_4arch9wavefront6targetE0EEEvSL_.uses_flat_scratch, 0
	.set _ZN7rocprim17ROCPRIM_400000_NS6detail17trampoline_kernelINS0_14default_configENS1_36segmented_radix_sort_config_selectorI12hip_bfloat16lEEZNS1_25segmented_radix_sort_implIS3_Lb0EPKS5_PS5_PKlPlN2at6native12_GLOBAL__N_18offset_tEEE10hipError_tPvRmT1_PNSt15iterator_traitsISL_E10value_typeET2_T3_PNSM_ISR_E10value_typeET4_jRbjT5_SX_jjP12ihipStream_tbEUlT_E_NS1_11comp_targetILNS1_3genE4ELNS1_11target_archE910ELNS1_3gpuE8ELNS1_3repE0EEENS1_30default_config_static_selectorELNS0_4arch9wavefront6targetE0EEEvSL_.has_dyn_sized_stack, 0
	.set _ZN7rocprim17ROCPRIM_400000_NS6detail17trampoline_kernelINS0_14default_configENS1_36segmented_radix_sort_config_selectorI12hip_bfloat16lEEZNS1_25segmented_radix_sort_implIS3_Lb0EPKS5_PS5_PKlPlN2at6native12_GLOBAL__N_18offset_tEEE10hipError_tPvRmT1_PNSt15iterator_traitsISL_E10value_typeET2_T3_PNSM_ISR_E10value_typeET4_jRbjT5_SX_jjP12ihipStream_tbEUlT_E_NS1_11comp_targetILNS1_3genE4ELNS1_11target_archE910ELNS1_3gpuE8ELNS1_3repE0EEENS1_30default_config_static_selectorELNS0_4arch9wavefront6targetE0EEEvSL_.has_recursion, 0
	.set _ZN7rocprim17ROCPRIM_400000_NS6detail17trampoline_kernelINS0_14default_configENS1_36segmented_radix_sort_config_selectorI12hip_bfloat16lEEZNS1_25segmented_radix_sort_implIS3_Lb0EPKS5_PS5_PKlPlN2at6native12_GLOBAL__N_18offset_tEEE10hipError_tPvRmT1_PNSt15iterator_traitsISL_E10value_typeET2_T3_PNSM_ISR_E10value_typeET4_jRbjT5_SX_jjP12ihipStream_tbEUlT_E_NS1_11comp_targetILNS1_3genE4ELNS1_11target_archE910ELNS1_3gpuE8ELNS1_3repE0EEENS1_30default_config_static_selectorELNS0_4arch9wavefront6targetE0EEEvSL_.has_indirect_call, 0
	.section	.AMDGPU.csdata,"",@progbits
; Kernel info:
; codeLenInByte = 0
; TotalNumSgprs: 0
; NumVgprs: 0
; ScratchSize: 0
; MemoryBound: 0
; FloatMode: 240
; IeeeMode: 1
; LDSByteSize: 0 bytes/workgroup (compile time only)
; SGPRBlocks: 0
; VGPRBlocks: 0
; NumSGPRsForWavesPerEU: 1
; NumVGPRsForWavesPerEU: 1
; Occupancy: 16
; WaveLimiterHint : 0
; COMPUTE_PGM_RSRC2:SCRATCH_EN: 0
; COMPUTE_PGM_RSRC2:USER_SGPR: 6
; COMPUTE_PGM_RSRC2:TRAP_HANDLER: 0
; COMPUTE_PGM_RSRC2:TGID_X_EN: 1
; COMPUTE_PGM_RSRC2:TGID_Y_EN: 0
; COMPUTE_PGM_RSRC2:TGID_Z_EN: 0
; COMPUTE_PGM_RSRC2:TIDIG_COMP_CNT: 0
	.section	.text._ZN7rocprim17ROCPRIM_400000_NS6detail17trampoline_kernelINS0_14default_configENS1_36segmented_radix_sort_config_selectorI12hip_bfloat16lEEZNS1_25segmented_radix_sort_implIS3_Lb0EPKS5_PS5_PKlPlN2at6native12_GLOBAL__N_18offset_tEEE10hipError_tPvRmT1_PNSt15iterator_traitsISL_E10value_typeET2_T3_PNSM_ISR_E10value_typeET4_jRbjT5_SX_jjP12ihipStream_tbEUlT_E_NS1_11comp_targetILNS1_3genE3ELNS1_11target_archE908ELNS1_3gpuE7ELNS1_3repE0EEENS1_30default_config_static_selectorELNS0_4arch9wavefront6targetE0EEEvSL_,"axG",@progbits,_ZN7rocprim17ROCPRIM_400000_NS6detail17trampoline_kernelINS0_14default_configENS1_36segmented_radix_sort_config_selectorI12hip_bfloat16lEEZNS1_25segmented_radix_sort_implIS3_Lb0EPKS5_PS5_PKlPlN2at6native12_GLOBAL__N_18offset_tEEE10hipError_tPvRmT1_PNSt15iterator_traitsISL_E10value_typeET2_T3_PNSM_ISR_E10value_typeET4_jRbjT5_SX_jjP12ihipStream_tbEUlT_E_NS1_11comp_targetILNS1_3genE3ELNS1_11target_archE908ELNS1_3gpuE7ELNS1_3repE0EEENS1_30default_config_static_selectorELNS0_4arch9wavefront6targetE0EEEvSL_,comdat
	.globl	_ZN7rocprim17ROCPRIM_400000_NS6detail17trampoline_kernelINS0_14default_configENS1_36segmented_radix_sort_config_selectorI12hip_bfloat16lEEZNS1_25segmented_radix_sort_implIS3_Lb0EPKS5_PS5_PKlPlN2at6native12_GLOBAL__N_18offset_tEEE10hipError_tPvRmT1_PNSt15iterator_traitsISL_E10value_typeET2_T3_PNSM_ISR_E10value_typeET4_jRbjT5_SX_jjP12ihipStream_tbEUlT_E_NS1_11comp_targetILNS1_3genE3ELNS1_11target_archE908ELNS1_3gpuE7ELNS1_3repE0EEENS1_30default_config_static_selectorELNS0_4arch9wavefront6targetE0EEEvSL_ ; -- Begin function _ZN7rocprim17ROCPRIM_400000_NS6detail17trampoline_kernelINS0_14default_configENS1_36segmented_radix_sort_config_selectorI12hip_bfloat16lEEZNS1_25segmented_radix_sort_implIS3_Lb0EPKS5_PS5_PKlPlN2at6native12_GLOBAL__N_18offset_tEEE10hipError_tPvRmT1_PNSt15iterator_traitsISL_E10value_typeET2_T3_PNSM_ISR_E10value_typeET4_jRbjT5_SX_jjP12ihipStream_tbEUlT_E_NS1_11comp_targetILNS1_3genE3ELNS1_11target_archE908ELNS1_3gpuE7ELNS1_3repE0EEENS1_30default_config_static_selectorELNS0_4arch9wavefront6targetE0EEEvSL_
	.p2align	8
	.type	_ZN7rocprim17ROCPRIM_400000_NS6detail17trampoline_kernelINS0_14default_configENS1_36segmented_radix_sort_config_selectorI12hip_bfloat16lEEZNS1_25segmented_radix_sort_implIS3_Lb0EPKS5_PS5_PKlPlN2at6native12_GLOBAL__N_18offset_tEEE10hipError_tPvRmT1_PNSt15iterator_traitsISL_E10value_typeET2_T3_PNSM_ISR_E10value_typeET4_jRbjT5_SX_jjP12ihipStream_tbEUlT_E_NS1_11comp_targetILNS1_3genE3ELNS1_11target_archE908ELNS1_3gpuE7ELNS1_3repE0EEENS1_30default_config_static_selectorELNS0_4arch9wavefront6targetE0EEEvSL_,@function
_ZN7rocprim17ROCPRIM_400000_NS6detail17trampoline_kernelINS0_14default_configENS1_36segmented_radix_sort_config_selectorI12hip_bfloat16lEEZNS1_25segmented_radix_sort_implIS3_Lb0EPKS5_PS5_PKlPlN2at6native12_GLOBAL__N_18offset_tEEE10hipError_tPvRmT1_PNSt15iterator_traitsISL_E10value_typeET2_T3_PNSM_ISR_E10value_typeET4_jRbjT5_SX_jjP12ihipStream_tbEUlT_E_NS1_11comp_targetILNS1_3genE3ELNS1_11target_archE908ELNS1_3gpuE7ELNS1_3repE0EEENS1_30default_config_static_selectorELNS0_4arch9wavefront6targetE0EEEvSL_: ; @_ZN7rocprim17ROCPRIM_400000_NS6detail17trampoline_kernelINS0_14default_configENS1_36segmented_radix_sort_config_selectorI12hip_bfloat16lEEZNS1_25segmented_radix_sort_implIS3_Lb0EPKS5_PS5_PKlPlN2at6native12_GLOBAL__N_18offset_tEEE10hipError_tPvRmT1_PNSt15iterator_traitsISL_E10value_typeET2_T3_PNSM_ISR_E10value_typeET4_jRbjT5_SX_jjP12ihipStream_tbEUlT_E_NS1_11comp_targetILNS1_3genE3ELNS1_11target_archE908ELNS1_3gpuE7ELNS1_3repE0EEENS1_30default_config_static_selectorELNS0_4arch9wavefront6targetE0EEEvSL_
; %bb.0:
	.section	.rodata,"a",@progbits
	.p2align	6, 0x0
	.amdhsa_kernel _ZN7rocprim17ROCPRIM_400000_NS6detail17trampoline_kernelINS0_14default_configENS1_36segmented_radix_sort_config_selectorI12hip_bfloat16lEEZNS1_25segmented_radix_sort_implIS3_Lb0EPKS5_PS5_PKlPlN2at6native12_GLOBAL__N_18offset_tEEE10hipError_tPvRmT1_PNSt15iterator_traitsISL_E10value_typeET2_T3_PNSM_ISR_E10value_typeET4_jRbjT5_SX_jjP12ihipStream_tbEUlT_E_NS1_11comp_targetILNS1_3genE3ELNS1_11target_archE908ELNS1_3gpuE7ELNS1_3repE0EEENS1_30default_config_static_selectorELNS0_4arch9wavefront6targetE0EEEvSL_
		.amdhsa_group_segment_fixed_size 0
		.amdhsa_private_segment_fixed_size 0
		.amdhsa_kernarg_size 96
		.amdhsa_user_sgpr_count 6
		.amdhsa_user_sgpr_private_segment_buffer 1
		.amdhsa_user_sgpr_dispatch_ptr 0
		.amdhsa_user_sgpr_queue_ptr 0
		.amdhsa_user_sgpr_kernarg_segment_ptr 1
		.amdhsa_user_sgpr_dispatch_id 0
		.amdhsa_user_sgpr_flat_scratch_init 0
		.amdhsa_user_sgpr_private_segment_size 0
		.amdhsa_wavefront_size32 1
		.amdhsa_uses_dynamic_stack 0
		.amdhsa_system_sgpr_private_segment_wavefront_offset 0
		.amdhsa_system_sgpr_workgroup_id_x 1
		.amdhsa_system_sgpr_workgroup_id_y 0
		.amdhsa_system_sgpr_workgroup_id_z 0
		.amdhsa_system_sgpr_workgroup_info 0
		.amdhsa_system_vgpr_workitem_id 0
		.amdhsa_next_free_vgpr 1
		.amdhsa_next_free_sgpr 1
		.amdhsa_reserve_vcc 0
		.amdhsa_reserve_flat_scratch 0
		.amdhsa_float_round_mode_32 0
		.amdhsa_float_round_mode_16_64 0
		.amdhsa_float_denorm_mode_32 3
		.amdhsa_float_denorm_mode_16_64 3
		.amdhsa_dx10_clamp 1
		.amdhsa_ieee_mode 1
		.amdhsa_fp16_overflow 0
		.amdhsa_workgroup_processor_mode 1
		.amdhsa_memory_ordered 1
		.amdhsa_forward_progress 1
		.amdhsa_shared_vgpr_count 0
		.amdhsa_exception_fp_ieee_invalid_op 0
		.amdhsa_exception_fp_denorm_src 0
		.amdhsa_exception_fp_ieee_div_zero 0
		.amdhsa_exception_fp_ieee_overflow 0
		.amdhsa_exception_fp_ieee_underflow 0
		.amdhsa_exception_fp_ieee_inexact 0
		.amdhsa_exception_int_div_zero 0
	.end_amdhsa_kernel
	.section	.text._ZN7rocprim17ROCPRIM_400000_NS6detail17trampoline_kernelINS0_14default_configENS1_36segmented_radix_sort_config_selectorI12hip_bfloat16lEEZNS1_25segmented_radix_sort_implIS3_Lb0EPKS5_PS5_PKlPlN2at6native12_GLOBAL__N_18offset_tEEE10hipError_tPvRmT1_PNSt15iterator_traitsISL_E10value_typeET2_T3_PNSM_ISR_E10value_typeET4_jRbjT5_SX_jjP12ihipStream_tbEUlT_E_NS1_11comp_targetILNS1_3genE3ELNS1_11target_archE908ELNS1_3gpuE7ELNS1_3repE0EEENS1_30default_config_static_selectorELNS0_4arch9wavefront6targetE0EEEvSL_,"axG",@progbits,_ZN7rocprim17ROCPRIM_400000_NS6detail17trampoline_kernelINS0_14default_configENS1_36segmented_radix_sort_config_selectorI12hip_bfloat16lEEZNS1_25segmented_radix_sort_implIS3_Lb0EPKS5_PS5_PKlPlN2at6native12_GLOBAL__N_18offset_tEEE10hipError_tPvRmT1_PNSt15iterator_traitsISL_E10value_typeET2_T3_PNSM_ISR_E10value_typeET4_jRbjT5_SX_jjP12ihipStream_tbEUlT_E_NS1_11comp_targetILNS1_3genE3ELNS1_11target_archE908ELNS1_3gpuE7ELNS1_3repE0EEENS1_30default_config_static_selectorELNS0_4arch9wavefront6targetE0EEEvSL_,comdat
.Lfunc_end2042:
	.size	_ZN7rocprim17ROCPRIM_400000_NS6detail17trampoline_kernelINS0_14default_configENS1_36segmented_radix_sort_config_selectorI12hip_bfloat16lEEZNS1_25segmented_radix_sort_implIS3_Lb0EPKS5_PS5_PKlPlN2at6native12_GLOBAL__N_18offset_tEEE10hipError_tPvRmT1_PNSt15iterator_traitsISL_E10value_typeET2_T3_PNSM_ISR_E10value_typeET4_jRbjT5_SX_jjP12ihipStream_tbEUlT_E_NS1_11comp_targetILNS1_3genE3ELNS1_11target_archE908ELNS1_3gpuE7ELNS1_3repE0EEENS1_30default_config_static_selectorELNS0_4arch9wavefront6targetE0EEEvSL_, .Lfunc_end2042-_ZN7rocprim17ROCPRIM_400000_NS6detail17trampoline_kernelINS0_14default_configENS1_36segmented_radix_sort_config_selectorI12hip_bfloat16lEEZNS1_25segmented_radix_sort_implIS3_Lb0EPKS5_PS5_PKlPlN2at6native12_GLOBAL__N_18offset_tEEE10hipError_tPvRmT1_PNSt15iterator_traitsISL_E10value_typeET2_T3_PNSM_ISR_E10value_typeET4_jRbjT5_SX_jjP12ihipStream_tbEUlT_E_NS1_11comp_targetILNS1_3genE3ELNS1_11target_archE908ELNS1_3gpuE7ELNS1_3repE0EEENS1_30default_config_static_selectorELNS0_4arch9wavefront6targetE0EEEvSL_
                                        ; -- End function
	.set _ZN7rocprim17ROCPRIM_400000_NS6detail17trampoline_kernelINS0_14default_configENS1_36segmented_radix_sort_config_selectorI12hip_bfloat16lEEZNS1_25segmented_radix_sort_implIS3_Lb0EPKS5_PS5_PKlPlN2at6native12_GLOBAL__N_18offset_tEEE10hipError_tPvRmT1_PNSt15iterator_traitsISL_E10value_typeET2_T3_PNSM_ISR_E10value_typeET4_jRbjT5_SX_jjP12ihipStream_tbEUlT_E_NS1_11comp_targetILNS1_3genE3ELNS1_11target_archE908ELNS1_3gpuE7ELNS1_3repE0EEENS1_30default_config_static_selectorELNS0_4arch9wavefront6targetE0EEEvSL_.num_vgpr, 0
	.set _ZN7rocprim17ROCPRIM_400000_NS6detail17trampoline_kernelINS0_14default_configENS1_36segmented_radix_sort_config_selectorI12hip_bfloat16lEEZNS1_25segmented_radix_sort_implIS3_Lb0EPKS5_PS5_PKlPlN2at6native12_GLOBAL__N_18offset_tEEE10hipError_tPvRmT1_PNSt15iterator_traitsISL_E10value_typeET2_T3_PNSM_ISR_E10value_typeET4_jRbjT5_SX_jjP12ihipStream_tbEUlT_E_NS1_11comp_targetILNS1_3genE3ELNS1_11target_archE908ELNS1_3gpuE7ELNS1_3repE0EEENS1_30default_config_static_selectorELNS0_4arch9wavefront6targetE0EEEvSL_.num_agpr, 0
	.set _ZN7rocprim17ROCPRIM_400000_NS6detail17trampoline_kernelINS0_14default_configENS1_36segmented_radix_sort_config_selectorI12hip_bfloat16lEEZNS1_25segmented_radix_sort_implIS3_Lb0EPKS5_PS5_PKlPlN2at6native12_GLOBAL__N_18offset_tEEE10hipError_tPvRmT1_PNSt15iterator_traitsISL_E10value_typeET2_T3_PNSM_ISR_E10value_typeET4_jRbjT5_SX_jjP12ihipStream_tbEUlT_E_NS1_11comp_targetILNS1_3genE3ELNS1_11target_archE908ELNS1_3gpuE7ELNS1_3repE0EEENS1_30default_config_static_selectorELNS0_4arch9wavefront6targetE0EEEvSL_.numbered_sgpr, 0
	.set _ZN7rocprim17ROCPRIM_400000_NS6detail17trampoline_kernelINS0_14default_configENS1_36segmented_radix_sort_config_selectorI12hip_bfloat16lEEZNS1_25segmented_radix_sort_implIS3_Lb0EPKS5_PS5_PKlPlN2at6native12_GLOBAL__N_18offset_tEEE10hipError_tPvRmT1_PNSt15iterator_traitsISL_E10value_typeET2_T3_PNSM_ISR_E10value_typeET4_jRbjT5_SX_jjP12ihipStream_tbEUlT_E_NS1_11comp_targetILNS1_3genE3ELNS1_11target_archE908ELNS1_3gpuE7ELNS1_3repE0EEENS1_30default_config_static_selectorELNS0_4arch9wavefront6targetE0EEEvSL_.num_named_barrier, 0
	.set _ZN7rocprim17ROCPRIM_400000_NS6detail17trampoline_kernelINS0_14default_configENS1_36segmented_radix_sort_config_selectorI12hip_bfloat16lEEZNS1_25segmented_radix_sort_implIS3_Lb0EPKS5_PS5_PKlPlN2at6native12_GLOBAL__N_18offset_tEEE10hipError_tPvRmT1_PNSt15iterator_traitsISL_E10value_typeET2_T3_PNSM_ISR_E10value_typeET4_jRbjT5_SX_jjP12ihipStream_tbEUlT_E_NS1_11comp_targetILNS1_3genE3ELNS1_11target_archE908ELNS1_3gpuE7ELNS1_3repE0EEENS1_30default_config_static_selectorELNS0_4arch9wavefront6targetE0EEEvSL_.private_seg_size, 0
	.set _ZN7rocprim17ROCPRIM_400000_NS6detail17trampoline_kernelINS0_14default_configENS1_36segmented_radix_sort_config_selectorI12hip_bfloat16lEEZNS1_25segmented_radix_sort_implIS3_Lb0EPKS5_PS5_PKlPlN2at6native12_GLOBAL__N_18offset_tEEE10hipError_tPvRmT1_PNSt15iterator_traitsISL_E10value_typeET2_T3_PNSM_ISR_E10value_typeET4_jRbjT5_SX_jjP12ihipStream_tbEUlT_E_NS1_11comp_targetILNS1_3genE3ELNS1_11target_archE908ELNS1_3gpuE7ELNS1_3repE0EEENS1_30default_config_static_selectorELNS0_4arch9wavefront6targetE0EEEvSL_.uses_vcc, 0
	.set _ZN7rocprim17ROCPRIM_400000_NS6detail17trampoline_kernelINS0_14default_configENS1_36segmented_radix_sort_config_selectorI12hip_bfloat16lEEZNS1_25segmented_radix_sort_implIS3_Lb0EPKS5_PS5_PKlPlN2at6native12_GLOBAL__N_18offset_tEEE10hipError_tPvRmT1_PNSt15iterator_traitsISL_E10value_typeET2_T3_PNSM_ISR_E10value_typeET4_jRbjT5_SX_jjP12ihipStream_tbEUlT_E_NS1_11comp_targetILNS1_3genE3ELNS1_11target_archE908ELNS1_3gpuE7ELNS1_3repE0EEENS1_30default_config_static_selectorELNS0_4arch9wavefront6targetE0EEEvSL_.uses_flat_scratch, 0
	.set _ZN7rocprim17ROCPRIM_400000_NS6detail17trampoline_kernelINS0_14default_configENS1_36segmented_radix_sort_config_selectorI12hip_bfloat16lEEZNS1_25segmented_radix_sort_implIS3_Lb0EPKS5_PS5_PKlPlN2at6native12_GLOBAL__N_18offset_tEEE10hipError_tPvRmT1_PNSt15iterator_traitsISL_E10value_typeET2_T3_PNSM_ISR_E10value_typeET4_jRbjT5_SX_jjP12ihipStream_tbEUlT_E_NS1_11comp_targetILNS1_3genE3ELNS1_11target_archE908ELNS1_3gpuE7ELNS1_3repE0EEENS1_30default_config_static_selectorELNS0_4arch9wavefront6targetE0EEEvSL_.has_dyn_sized_stack, 0
	.set _ZN7rocprim17ROCPRIM_400000_NS6detail17trampoline_kernelINS0_14default_configENS1_36segmented_radix_sort_config_selectorI12hip_bfloat16lEEZNS1_25segmented_radix_sort_implIS3_Lb0EPKS5_PS5_PKlPlN2at6native12_GLOBAL__N_18offset_tEEE10hipError_tPvRmT1_PNSt15iterator_traitsISL_E10value_typeET2_T3_PNSM_ISR_E10value_typeET4_jRbjT5_SX_jjP12ihipStream_tbEUlT_E_NS1_11comp_targetILNS1_3genE3ELNS1_11target_archE908ELNS1_3gpuE7ELNS1_3repE0EEENS1_30default_config_static_selectorELNS0_4arch9wavefront6targetE0EEEvSL_.has_recursion, 0
	.set _ZN7rocprim17ROCPRIM_400000_NS6detail17trampoline_kernelINS0_14default_configENS1_36segmented_radix_sort_config_selectorI12hip_bfloat16lEEZNS1_25segmented_radix_sort_implIS3_Lb0EPKS5_PS5_PKlPlN2at6native12_GLOBAL__N_18offset_tEEE10hipError_tPvRmT1_PNSt15iterator_traitsISL_E10value_typeET2_T3_PNSM_ISR_E10value_typeET4_jRbjT5_SX_jjP12ihipStream_tbEUlT_E_NS1_11comp_targetILNS1_3genE3ELNS1_11target_archE908ELNS1_3gpuE7ELNS1_3repE0EEENS1_30default_config_static_selectorELNS0_4arch9wavefront6targetE0EEEvSL_.has_indirect_call, 0
	.section	.AMDGPU.csdata,"",@progbits
; Kernel info:
; codeLenInByte = 0
; TotalNumSgprs: 0
; NumVgprs: 0
; ScratchSize: 0
; MemoryBound: 0
; FloatMode: 240
; IeeeMode: 1
; LDSByteSize: 0 bytes/workgroup (compile time only)
; SGPRBlocks: 0
; VGPRBlocks: 0
; NumSGPRsForWavesPerEU: 1
; NumVGPRsForWavesPerEU: 1
; Occupancy: 16
; WaveLimiterHint : 0
; COMPUTE_PGM_RSRC2:SCRATCH_EN: 0
; COMPUTE_PGM_RSRC2:USER_SGPR: 6
; COMPUTE_PGM_RSRC2:TRAP_HANDLER: 0
; COMPUTE_PGM_RSRC2:TGID_X_EN: 1
; COMPUTE_PGM_RSRC2:TGID_Y_EN: 0
; COMPUTE_PGM_RSRC2:TGID_Z_EN: 0
; COMPUTE_PGM_RSRC2:TIDIG_COMP_CNT: 0
	.section	.text._ZN7rocprim17ROCPRIM_400000_NS6detail17trampoline_kernelINS0_14default_configENS1_36segmented_radix_sort_config_selectorI12hip_bfloat16lEEZNS1_25segmented_radix_sort_implIS3_Lb0EPKS5_PS5_PKlPlN2at6native12_GLOBAL__N_18offset_tEEE10hipError_tPvRmT1_PNSt15iterator_traitsISL_E10value_typeET2_T3_PNSM_ISR_E10value_typeET4_jRbjT5_SX_jjP12ihipStream_tbEUlT_E_NS1_11comp_targetILNS1_3genE2ELNS1_11target_archE906ELNS1_3gpuE6ELNS1_3repE0EEENS1_30default_config_static_selectorELNS0_4arch9wavefront6targetE0EEEvSL_,"axG",@progbits,_ZN7rocprim17ROCPRIM_400000_NS6detail17trampoline_kernelINS0_14default_configENS1_36segmented_radix_sort_config_selectorI12hip_bfloat16lEEZNS1_25segmented_radix_sort_implIS3_Lb0EPKS5_PS5_PKlPlN2at6native12_GLOBAL__N_18offset_tEEE10hipError_tPvRmT1_PNSt15iterator_traitsISL_E10value_typeET2_T3_PNSM_ISR_E10value_typeET4_jRbjT5_SX_jjP12ihipStream_tbEUlT_E_NS1_11comp_targetILNS1_3genE2ELNS1_11target_archE906ELNS1_3gpuE6ELNS1_3repE0EEENS1_30default_config_static_selectorELNS0_4arch9wavefront6targetE0EEEvSL_,comdat
	.globl	_ZN7rocprim17ROCPRIM_400000_NS6detail17trampoline_kernelINS0_14default_configENS1_36segmented_radix_sort_config_selectorI12hip_bfloat16lEEZNS1_25segmented_radix_sort_implIS3_Lb0EPKS5_PS5_PKlPlN2at6native12_GLOBAL__N_18offset_tEEE10hipError_tPvRmT1_PNSt15iterator_traitsISL_E10value_typeET2_T3_PNSM_ISR_E10value_typeET4_jRbjT5_SX_jjP12ihipStream_tbEUlT_E_NS1_11comp_targetILNS1_3genE2ELNS1_11target_archE906ELNS1_3gpuE6ELNS1_3repE0EEENS1_30default_config_static_selectorELNS0_4arch9wavefront6targetE0EEEvSL_ ; -- Begin function _ZN7rocprim17ROCPRIM_400000_NS6detail17trampoline_kernelINS0_14default_configENS1_36segmented_radix_sort_config_selectorI12hip_bfloat16lEEZNS1_25segmented_radix_sort_implIS3_Lb0EPKS5_PS5_PKlPlN2at6native12_GLOBAL__N_18offset_tEEE10hipError_tPvRmT1_PNSt15iterator_traitsISL_E10value_typeET2_T3_PNSM_ISR_E10value_typeET4_jRbjT5_SX_jjP12ihipStream_tbEUlT_E_NS1_11comp_targetILNS1_3genE2ELNS1_11target_archE906ELNS1_3gpuE6ELNS1_3repE0EEENS1_30default_config_static_selectorELNS0_4arch9wavefront6targetE0EEEvSL_
	.p2align	8
	.type	_ZN7rocprim17ROCPRIM_400000_NS6detail17trampoline_kernelINS0_14default_configENS1_36segmented_radix_sort_config_selectorI12hip_bfloat16lEEZNS1_25segmented_radix_sort_implIS3_Lb0EPKS5_PS5_PKlPlN2at6native12_GLOBAL__N_18offset_tEEE10hipError_tPvRmT1_PNSt15iterator_traitsISL_E10value_typeET2_T3_PNSM_ISR_E10value_typeET4_jRbjT5_SX_jjP12ihipStream_tbEUlT_E_NS1_11comp_targetILNS1_3genE2ELNS1_11target_archE906ELNS1_3gpuE6ELNS1_3repE0EEENS1_30default_config_static_selectorELNS0_4arch9wavefront6targetE0EEEvSL_,@function
_ZN7rocprim17ROCPRIM_400000_NS6detail17trampoline_kernelINS0_14default_configENS1_36segmented_radix_sort_config_selectorI12hip_bfloat16lEEZNS1_25segmented_radix_sort_implIS3_Lb0EPKS5_PS5_PKlPlN2at6native12_GLOBAL__N_18offset_tEEE10hipError_tPvRmT1_PNSt15iterator_traitsISL_E10value_typeET2_T3_PNSM_ISR_E10value_typeET4_jRbjT5_SX_jjP12ihipStream_tbEUlT_E_NS1_11comp_targetILNS1_3genE2ELNS1_11target_archE906ELNS1_3gpuE6ELNS1_3repE0EEENS1_30default_config_static_selectorELNS0_4arch9wavefront6targetE0EEEvSL_: ; @_ZN7rocprim17ROCPRIM_400000_NS6detail17trampoline_kernelINS0_14default_configENS1_36segmented_radix_sort_config_selectorI12hip_bfloat16lEEZNS1_25segmented_radix_sort_implIS3_Lb0EPKS5_PS5_PKlPlN2at6native12_GLOBAL__N_18offset_tEEE10hipError_tPvRmT1_PNSt15iterator_traitsISL_E10value_typeET2_T3_PNSM_ISR_E10value_typeET4_jRbjT5_SX_jjP12ihipStream_tbEUlT_E_NS1_11comp_targetILNS1_3genE2ELNS1_11target_archE906ELNS1_3gpuE6ELNS1_3repE0EEENS1_30default_config_static_selectorELNS0_4arch9wavefront6targetE0EEEvSL_
; %bb.0:
	.section	.rodata,"a",@progbits
	.p2align	6, 0x0
	.amdhsa_kernel _ZN7rocprim17ROCPRIM_400000_NS6detail17trampoline_kernelINS0_14default_configENS1_36segmented_radix_sort_config_selectorI12hip_bfloat16lEEZNS1_25segmented_radix_sort_implIS3_Lb0EPKS5_PS5_PKlPlN2at6native12_GLOBAL__N_18offset_tEEE10hipError_tPvRmT1_PNSt15iterator_traitsISL_E10value_typeET2_T3_PNSM_ISR_E10value_typeET4_jRbjT5_SX_jjP12ihipStream_tbEUlT_E_NS1_11comp_targetILNS1_3genE2ELNS1_11target_archE906ELNS1_3gpuE6ELNS1_3repE0EEENS1_30default_config_static_selectorELNS0_4arch9wavefront6targetE0EEEvSL_
		.amdhsa_group_segment_fixed_size 0
		.amdhsa_private_segment_fixed_size 0
		.amdhsa_kernarg_size 96
		.amdhsa_user_sgpr_count 6
		.amdhsa_user_sgpr_private_segment_buffer 1
		.amdhsa_user_sgpr_dispatch_ptr 0
		.amdhsa_user_sgpr_queue_ptr 0
		.amdhsa_user_sgpr_kernarg_segment_ptr 1
		.amdhsa_user_sgpr_dispatch_id 0
		.amdhsa_user_sgpr_flat_scratch_init 0
		.amdhsa_user_sgpr_private_segment_size 0
		.amdhsa_wavefront_size32 1
		.amdhsa_uses_dynamic_stack 0
		.amdhsa_system_sgpr_private_segment_wavefront_offset 0
		.amdhsa_system_sgpr_workgroup_id_x 1
		.amdhsa_system_sgpr_workgroup_id_y 0
		.amdhsa_system_sgpr_workgroup_id_z 0
		.amdhsa_system_sgpr_workgroup_info 0
		.amdhsa_system_vgpr_workitem_id 0
		.amdhsa_next_free_vgpr 1
		.amdhsa_next_free_sgpr 1
		.amdhsa_reserve_vcc 0
		.amdhsa_reserve_flat_scratch 0
		.amdhsa_float_round_mode_32 0
		.amdhsa_float_round_mode_16_64 0
		.amdhsa_float_denorm_mode_32 3
		.amdhsa_float_denorm_mode_16_64 3
		.amdhsa_dx10_clamp 1
		.amdhsa_ieee_mode 1
		.amdhsa_fp16_overflow 0
		.amdhsa_workgroup_processor_mode 1
		.amdhsa_memory_ordered 1
		.amdhsa_forward_progress 1
		.amdhsa_shared_vgpr_count 0
		.amdhsa_exception_fp_ieee_invalid_op 0
		.amdhsa_exception_fp_denorm_src 0
		.amdhsa_exception_fp_ieee_div_zero 0
		.amdhsa_exception_fp_ieee_overflow 0
		.amdhsa_exception_fp_ieee_underflow 0
		.amdhsa_exception_fp_ieee_inexact 0
		.amdhsa_exception_int_div_zero 0
	.end_amdhsa_kernel
	.section	.text._ZN7rocprim17ROCPRIM_400000_NS6detail17trampoline_kernelINS0_14default_configENS1_36segmented_radix_sort_config_selectorI12hip_bfloat16lEEZNS1_25segmented_radix_sort_implIS3_Lb0EPKS5_PS5_PKlPlN2at6native12_GLOBAL__N_18offset_tEEE10hipError_tPvRmT1_PNSt15iterator_traitsISL_E10value_typeET2_T3_PNSM_ISR_E10value_typeET4_jRbjT5_SX_jjP12ihipStream_tbEUlT_E_NS1_11comp_targetILNS1_3genE2ELNS1_11target_archE906ELNS1_3gpuE6ELNS1_3repE0EEENS1_30default_config_static_selectorELNS0_4arch9wavefront6targetE0EEEvSL_,"axG",@progbits,_ZN7rocprim17ROCPRIM_400000_NS6detail17trampoline_kernelINS0_14default_configENS1_36segmented_radix_sort_config_selectorI12hip_bfloat16lEEZNS1_25segmented_radix_sort_implIS3_Lb0EPKS5_PS5_PKlPlN2at6native12_GLOBAL__N_18offset_tEEE10hipError_tPvRmT1_PNSt15iterator_traitsISL_E10value_typeET2_T3_PNSM_ISR_E10value_typeET4_jRbjT5_SX_jjP12ihipStream_tbEUlT_E_NS1_11comp_targetILNS1_3genE2ELNS1_11target_archE906ELNS1_3gpuE6ELNS1_3repE0EEENS1_30default_config_static_selectorELNS0_4arch9wavefront6targetE0EEEvSL_,comdat
.Lfunc_end2043:
	.size	_ZN7rocprim17ROCPRIM_400000_NS6detail17trampoline_kernelINS0_14default_configENS1_36segmented_radix_sort_config_selectorI12hip_bfloat16lEEZNS1_25segmented_radix_sort_implIS3_Lb0EPKS5_PS5_PKlPlN2at6native12_GLOBAL__N_18offset_tEEE10hipError_tPvRmT1_PNSt15iterator_traitsISL_E10value_typeET2_T3_PNSM_ISR_E10value_typeET4_jRbjT5_SX_jjP12ihipStream_tbEUlT_E_NS1_11comp_targetILNS1_3genE2ELNS1_11target_archE906ELNS1_3gpuE6ELNS1_3repE0EEENS1_30default_config_static_selectorELNS0_4arch9wavefront6targetE0EEEvSL_, .Lfunc_end2043-_ZN7rocprim17ROCPRIM_400000_NS6detail17trampoline_kernelINS0_14default_configENS1_36segmented_radix_sort_config_selectorI12hip_bfloat16lEEZNS1_25segmented_radix_sort_implIS3_Lb0EPKS5_PS5_PKlPlN2at6native12_GLOBAL__N_18offset_tEEE10hipError_tPvRmT1_PNSt15iterator_traitsISL_E10value_typeET2_T3_PNSM_ISR_E10value_typeET4_jRbjT5_SX_jjP12ihipStream_tbEUlT_E_NS1_11comp_targetILNS1_3genE2ELNS1_11target_archE906ELNS1_3gpuE6ELNS1_3repE0EEENS1_30default_config_static_selectorELNS0_4arch9wavefront6targetE0EEEvSL_
                                        ; -- End function
	.set _ZN7rocprim17ROCPRIM_400000_NS6detail17trampoline_kernelINS0_14default_configENS1_36segmented_radix_sort_config_selectorI12hip_bfloat16lEEZNS1_25segmented_radix_sort_implIS3_Lb0EPKS5_PS5_PKlPlN2at6native12_GLOBAL__N_18offset_tEEE10hipError_tPvRmT1_PNSt15iterator_traitsISL_E10value_typeET2_T3_PNSM_ISR_E10value_typeET4_jRbjT5_SX_jjP12ihipStream_tbEUlT_E_NS1_11comp_targetILNS1_3genE2ELNS1_11target_archE906ELNS1_3gpuE6ELNS1_3repE0EEENS1_30default_config_static_selectorELNS0_4arch9wavefront6targetE0EEEvSL_.num_vgpr, 0
	.set _ZN7rocprim17ROCPRIM_400000_NS6detail17trampoline_kernelINS0_14default_configENS1_36segmented_radix_sort_config_selectorI12hip_bfloat16lEEZNS1_25segmented_radix_sort_implIS3_Lb0EPKS5_PS5_PKlPlN2at6native12_GLOBAL__N_18offset_tEEE10hipError_tPvRmT1_PNSt15iterator_traitsISL_E10value_typeET2_T3_PNSM_ISR_E10value_typeET4_jRbjT5_SX_jjP12ihipStream_tbEUlT_E_NS1_11comp_targetILNS1_3genE2ELNS1_11target_archE906ELNS1_3gpuE6ELNS1_3repE0EEENS1_30default_config_static_selectorELNS0_4arch9wavefront6targetE0EEEvSL_.num_agpr, 0
	.set _ZN7rocprim17ROCPRIM_400000_NS6detail17trampoline_kernelINS0_14default_configENS1_36segmented_radix_sort_config_selectorI12hip_bfloat16lEEZNS1_25segmented_radix_sort_implIS3_Lb0EPKS5_PS5_PKlPlN2at6native12_GLOBAL__N_18offset_tEEE10hipError_tPvRmT1_PNSt15iterator_traitsISL_E10value_typeET2_T3_PNSM_ISR_E10value_typeET4_jRbjT5_SX_jjP12ihipStream_tbEUlT_E_NS1_11comp_targetILNS1_3genE2ELNS1_11target_archE906ELNS1_3gpuE6ELNS1_3repE0EEENS1_30default_config_static_selectorELNS0_4arch9wavefront6targetE0EEEvSL_.numbered_sgpr, 0
	.set _ZN7rocprim17ROCPRIM_400000_NS6detail17trampoline_kernelINS0_14default_configENS1_36segmented_radix_sort_config_selectorI12hip_bfloat16lEEZNS1_25segmented_radix_sort_implIS3_Lb0EPKS5_PS5_PKlPlN2at6native12_GLOBAL__N_18offset_tEEE10hipError_tPvRmT1_PNSt15iterator_traitsISL_E10value_typeET2_T3_PNSM_ISR_E10value_typeET4_jRbjT5_SX_jjP12ihipStream_tbEUlT_E_NS1_11comp_targetILNS1_3genE2ELNS1_11target_archE906ELNS1_3gpuE6ELNS1_3repE0EEENS1_30default_config_static_selectorELNS0_4arch9wavefront6targetE0EEEvSL_.num_named_barrier, 0
	.set _ZN7rocprim17ROCPRIM_400000_NS6detail17trampoline_kernelINS0_14default_configENS1_36segmented_radix_sort_config_selectorI12hip_bfloat16lEEZNS1_25segmented_radix_sort_implIS3_Lb0EPKS5_PS5_PKlPlN2at6native12_GLOBAL__N_18offset_tEEE10hipError_tPvRmT1_PNSt15iterator_traitsISL_E10value_typeET2_T3_PNSM_ISR_E10value_typeET4_jRbjT5_SX_jjP12ihipStream_tbEUlT_E_NS1_11comp_targetILNS1_3genE2ELNS1_11target_archE906ELNS1_3gpuE6ELNS1_3repE0EEENS1_30default_config_static_selectorELNS0_4arch9wavefront6targetE0EEEvSL_.private_seg_size, 0
	.set _ZN7rocprim17ROCPRIM_400000_NS6detail17trampoline_kernelINS0_14default_configENS1_36segmented_radix_sort_config_selectorI12hip_bfloat16lEEZNS1_25segmented_radix_sort_implIS3_Lb0EPKS5_PS5_PKlPlN2at6native12_GLOBAL__N_18offset_tEEE10hipError_tPvRmT1_PNSt15iterator_traitsISL_E10value_typeET2_T3_PNSM_ISR_E10value_typeET4_jRbjT5_SX_jjP12ihipStream_tbEUlT_E_NS1_11comp_targetILNS1_3genE2ELNS1_11target_archE906ELNS1_3gpuE6ELNS1_3repE0EEENS1_30default_config_static_selectorELNS0_4arch9wavefront6targetE0EEEvSL_.uses_vcc, 0
	.set _ZN7rocprim17ROCPRIM_400000_NS6detail17trampoline_kernelINS0_14default_configENS1_36segmented_radix_sort_config_selectorI12hip_bfloat16lEEZNS1_25segmented_radix_sort_implIS3_Lb0EPKS5_PS5_PKlPlN2at6native12_GLOBAL__N_18offset_tEEE10hipError_tPvRmT1_PNSt15iterator_traitsISL_E10value_typeET2_T3_PNSM_ISR_E10value_typeET4_jRbjT5_SX_jjP12ihipStream_tbEUlT_E_NS1_11comp_targetILNS1_3genE2ELNS1_11target_archE906ELNS1_3gpuE6ELNS1_3repE0EEENS1_30default_config_static_selectorELNS0_4arch9wavefront6targetE0EEEvSL_.uses_flat_scratch, 0
	.set _ZN7rocprim17ROCPRIM_400000_NS6detail17trampoline_kernelINS0_14default_configENS1_36segmented_radix_sort_config_selectorI12hip_bfloat16lEEZNS1_25segmented_radix_sort_implIS3_Lb0EPKS5_PS5_PKlPlN2at6native12_GLOBAL__N_18offset_tEEE10hipError_tPvRmT1_PNSt15iterator_traitsISL_E10value_typeET2_T3_PNSM_ISR_E10value_typeET4_jRbjT5_SX_jjP12ihipStream_tbEUlT_E_NS1_11comp_targetILNS1_3genE2ELNS1_11target_archE906ELNS1_3gpuE6ELNS1_3repE0EEENS1_30default_config_static_selectorELNS0_4arch9wavefront6targetE0EEEvSL_.has_dyn_sized_stack, 0
	.set _ZN7rocprim17ROCPRIM_400000_NS6detail17trampoline_kernelINS0_14default_configENS1_36segmented_radix_sort_config_selectorI12hip_bfloat16lEEZNS1_25segmented_radix_sort_implIS3_Lb0EPKS5_PS5_PKlPlN2at6native12_GLOBAL__N_18offset_tEEE10hipError_tPvRmT1_PNSt15iterator_traitsISL_E10value_typeET2_T3_PNSM_ISR_E10value_typeET4_jRbjT5_SX_jjP12ihipStream_tbEUlT_E_NS1_11comp_targetILNS1_3genE2ELNS1_11target_archE906ELNS1_3gpuE6ELNS1_3repE0EEENS1_30default_config_static_selectorELNS0_4arch9wavefront6targetE0EEEvSL_.has_recursion, 0
	.set _ZN7rocprim17ROCPRIM_400000_NS6detail17trampoline_kernelINS0_14default_configENS1_36segmented_radix_sort_config_selectorI12hip_bfloat16lEEZNS1_25segmented_radix_sort_implIS3_Lb0EPKS5_PS5_PKlPlN2at6native12_GLOBAL__N_18offset_tEEE10hipError_tPvRmT1_PNSt15iterator_traitsISL_E10value_typeET2_T3_PNSM_ISR_E10value_typeET4_jRbjT5_SX_jjP12ihipStream_tbEUlT_E_NS1_11comp_targetILNS1_3genE2ELNS1_11target_archE906ELNS1_3gpuE6ELNS1_3repE0EEENS1_30default_config_static_selectorELNS0_4arch9wavefront6targetE0EEEvSL_.has_indirect_call, 0
	.section	.AMDGPU.csdata,"",@progbits
; Kernel info:
; codeLenInByte = 0
; TotalNumSgprs: 0
; NumVgprs: 0
; ScratchSize: 0
; MemoryBound: 0
; FloatMode: 240
; IeeeMode: 1
; LDSByteSize: 0 bytes/workgroup (compile time only)
; SGPRBlocks: 0
; VGPRBlocks: 0
; NumSGPRsForWavesPerEU: 1
; NumVGPRsForWavesPerEU: 1
; Occupancy: 16
; WaveLimiterHint : 0
; COMPUTE_PGM_RSRC2:SCRATCH_EN: 0
; COMPUTE_PGM_RSRC2:USER_SGPR: 6
; COMPUTE_PGM_RSRC2:TRAP_HANDLER: 0
; COMPUTE_PGM_RSRC2:TGID_X_EN: 1
; COMPUTE_PGM_RSRC2:TGID_Y_EN: 0
; COMPUTE_PGM_RSRC2:TGID_Z_EN: 0
; COMPUTE_PGM_RSRC2:TIDIG_COMP_CNT: 0
	.section	.text._ZN7rocprim17ROCPRIM_400000_NS6detail17trampoline_kernelINS0_14default_configENS1_36segmented_radix_sort_config_selectorI12hip_bfloat16lEEZNS1_25segmented_radix_sort_implIS3_Lb0EPKS5_PS5_PKlPlN2at6native12_GLOBAL__N_18offset_tEEE10hipError_tPvRmT1_PNSt15iterator_traitsISL_E10value_typeET2_T3_PNSM_ISR_E10value_typeET4_jRbjT5_SX_jjP12ihipStream_tbEUlT_E_NS1_11comp_targetILNS1_3genE10ELNS1_11target_archE1201ELNS1_3gpuE5ELNS1_3repE0EEENS1_30default_config_static_selectorELNS0_4arch9wavefront6targetE0EEEvSL_,"axG",@progbits,_ZN7rocprim17ROCPRIM_400000_NS6detail17trampoline_kernelINS0_14default_configENS1_36segmented_radix_sort_config_selectorI12hip_bfloat16lEEZNS1_25segmented_radix_sort_implIS3_Lb0EPKS5_PS5_PKlPlN2at6native12_GLOBAL__N_18offset_tEEE10hipError_tPvRmT1_PNSt15iterator_traitsISL_E10value_typeET2_T3_PNSM_ISR_E10value_typeET4_jRbjT5_SX_jjP12ihipStream_tbEUlT_E_NS1_11comp_targetILNS1_3genE10ELNS1_11target_archE1201ELNS1_3gpuE5ELNS1_3repE0EEENS1_30default_config_static_selectorELNS0_4arch9wavefront6targetE0EEEvSL_,comdat
	.globl	_ZN7rocprim17ROCPRIM_400000_NS6detail17trampoline_kernelINS0_14default_configENS1_36segmented_radix_sort_config_selectorI12hip_bfloat16lEEZNS1_25segmented_radix_sort_implIS3_Lb0EPKS5_PS5_PKlPlN2at6native12_GLOBAL__N_18offset_tEEE10hipError_tPvRmT1_PNSt15iterator_traitsISL_E10value_typeET2_T3_PNSM_ISR_E10value_typeET4_jRbjT5_SX_jjP12ihipStream_tbEUlT_E_NS1_11comp_targetILNS1_3genE10ELNS1_11target_archE1201ELNS1_3gpuE5ELNS1_3repE0EEENS1_30default_config_static_selectorELNS0_4arch9wavefront6targetE0EEEvSL_ ; -- Begin function _ZN7rocprim17ROCPRIM_400000_NS6detail17trampoline_kernelINS0_14default_configENS1_36segmented_radix_sort_config_selectorI12hip_bfloat16lEEZNS1_25segmented_radix_sort_implIS3_Lb0EPKS5_PS5_PKlPlN2at6native12_GLOBAL__N_18offset_tEEE10hipError_tPvRmT1_PNSt15iterator_traitsISL_E10value_typeET2_T3_PNSM_ISR_E10value_typeET4_jRbjT5_SX_jjP12ihipStream_tbEUlT_E_NS1_11comp_targetILNS1_3genE10ELNS1_11target_archE1201ELNS1_3gpuE5ELNS1_3repE0EEENS1_30default_config_static_selectorELNS0_4arch9wavefront6targetE0EEEvSL_
	.p2align	8
	.type	_ZN7rocprim17ROCPRIM_400000_NS6detail17trampoline_kernelINS0_14default_configENS1_36segmented_radix_sort_config_selectorI12hip_bfloat16lEEZNS1_25segmented_radix_sort_implIS3_Lb0EPKS5_PS5_PKlPlN2at6native12_GLOBAL__N_18offset_tEEE10hipError_tPvRmT1_PNSt15iterator_traitsISL_E10value_typeET2_T3_PNSM_ISR_E10value_typeET4_jRbjT5_SX_jjP12ihipStream_tbEUlT_E_NS1_11comp_targetILNS1_3genE10ELNS1_11target_archE1201ELNS1_3gpuE5ELNS1_3repE0EEENS1_30default_config_static_selectorELNS0_4arch9wavefront6targetE0EEEvSL_,@function
_ZN7rocprim17ROCPRIM_400000_NS6detail17trampoline_kernelINS0_14default_configENS1_36segmented_radix_sort_config_selectorI12hip_bfloat16lEEZNS1_25segmented_radix_sort_implIS3_Lb0EPKS5_PS5_PKlPlN2at6native12_GLOBAL__N_18offset_tEEE10hipError_tPvRmT1_PNSt15iterator_traitsISL_E10value_typeET2_T3_PNSM_ISR_E10value_typeET4_jRbjT5_SX_jjP12ihipStream_tbEUlT_E_NS1_11comp_targetILNS1_3genE10ELNS1_11target_archE1201ELNS1_3gpuE5ELNS1_3repE0EEENS1_30default_config_static_selectorELNS0_4arch9wavefront6targetE0EEEvSL_: ; @_ZN7rocprim17ROCPRIM_400000_NS6detail17trampoline_kernelINS0_14default_configENS1_36segmented_radix_sort_config_selectorI12hip_bfloat16lEEZNS1_25segmented_radix_sort_implIS3_Lb0EPKS5_PS5_PKlPlN2at6native12_GLOBAL__N_18offset_tEEE10hipError_tPvRmT1_PNSt15iterator_traitsISL_E10value_typeET2_T3_PNSM_ISR_E10value_typeET4_jRbjT5_SX_jjP12ihipStream_tbEUlT_E_NS1_11comp_targetILNS1_3genE10ELNS1_11target_archE1201ELNS1_3gpuE5ELNS1_3repE0EEENS1_30default_config_static_selectorELNS0_4arch9wavefront6targetE0EEEvSL_
; %bb.0:
	.section	.rodata,"a",@progbits
	.p2align	6, 0x0
	.amdhsa_kernel _ZN7rocprim17ROCPRIM_400000_NS6detail17trampoline_kernelINS0_14default_configENS1_36segmented_radix_sort_config_selectorI12hip_bfloat16lEEZNS1_25segmented_radix_sort_implIS3_Lb0EPKS5_PS5_PKlPlN2at6native12_GLOBAL__N_18offset_tEEE10hipError_tPvRmT1_PNSt15iterator_traitsISL_E10value_typeET2_T3_PNSM_ISR_E10value_typeET4_jRbjT5_SX_jjP12ihipStream_tbEUlT_E_NS1_11comp_targetILNS1_3genE10ELNS1_11target_archE1201ELNS1_3gpuE5ELNS1_3repE0EEENS1_30default_config_static_selectorELNS0_4arch9wavefront6targetE0EEEvSL_
		.amdhsa_group_segment_fixed_size 0
		.amdhsa_private_segment_fixed_size 0
		.amdhsa_kernarg_size 96
		.amdhsa_user_sgpr_count 6
		.amdhsa_user_sgpr_private_segment_buffer 1
		.amdhsa_user_sgpr_dispatch_ptr 0
		.amdhsa_user_sgpr_queue_ptr 0
		.amdhsa_user_sgpr_kernarg_segment_ptr 1
		.amdhsa_user_sgpr_dispatch_id 0
		.amdhsa_user_sgpr_flat_scratch_init 0
		.amdhsa_user_sgpr_private_segment_size 0
		.amdhsa_wavefront_size32 1
		.amdhsa_uses_dynamic_stack 0
		.amdhsa_system_sgpr_private_segment_wavefront_offset 0
		.amdhsa_system_sgpr_workgroup_id_x 1
		.amdhsa_system_sgpr_workgroup_id_y 0
		.amdhsa_system_sgpr_workgroup_id_z 0
		.amdhsa_system_sgpr_workgroup_info 0
		.amdhsa_system_vgpr_workitem_id 0
		.amdhsa_next_free_vgpr 1
		.amdhsa_next_free_sgpr 1
		.amdhsa_reserve_vcc 0
		.amdhsa_reserve_flat_scratch 0
		.amdhsa_float_round_mode_32 0
		.amdhsa_float_round_mode_16_64 0
		.amdhsa_float_denorm_mode_32 3
		.amdhsa_float_denorm_mode_16_64 3
		.amdhsa_dx10_clamp 1
		.amdhsa_ieee_mode 1
		.amdhsa_fp16_overflow 0
		.amdhsa_workgroup_processor_mode 1
		.amdhsa_memory_ordered 1
		.amdhsa_forward_progress 1
		.amdhsa_shared_vgpr_count 0
		.amdhsa_exception_fp_ieee_invalid_op 0
		.amdhsa_exception_fp_denorm_src 0
		.amdhsa_exception_fp_ieee_div_zero 0
		.amdhsa_exception_fp_ieee_overflow 0
		.amdhsa_exception_fp_ieee_underflow 0
		.amdhsa_exception_fp_ieee_inexact 0
		.amdhsa_exception_int_div_zero 0
	.end_amdhsa_kernel
	.section	.text._ZN7rocprim17ROCPRIM_400000_NS6detail17trampoline_kernelINS0_14default_configENS1_36segmented_radix_sort_config_selectorI12hip_bfloat16lEEZNS1_25segmented_radix_sort_implIS3_Lb0EPKS5_PS5_PKlPlN2at6native12_GLOBAL__N_18offset_tEEE10hipError_tPvRmT1_PNSt15iterator_traitsISL_E10value_typeET2_T3_PNSM_ISR_E10value_typeET4_jRbjT5_SX_jjP12ihipStream_tbEUlT_E_NS1_11comp_targetILNS1_3genE10ELNS1_11target_archE1201ELNS1_3gpuE5ELNS1_3repE0EEENS1_30default_config_static_selectorELNS0_4arch9wavefront6targetE0EEEvSL_,"axG",@progbits,_ZN7rocprim17ROCPRIM_400000_NS6detail17trampoline_kernelINS0_14default_configENS1_36segmented_radix_sort_config_selectorI12hip_bfloat16lEEZNS1_25segmented_radix_sort_implIS3_Lb0EPKS5_PS5_PKlPlN2at6native12_GLOBAL__N_18offset_tEEE10hipError_tPvRmT1_PNSt15iterator_traitsISL_E10value_typeET2_T3_PNSM_ISR_E10value_typeET4_jRbjT5_SX_jjP12ihipStream_tbEUlT_E_NS1_11comp_targetILNS1_3genE10ELNS1_11target_archE1201ELNS1_3gpuE5ELNS1_3repE0EEENS1_30default_config_static_selectorELNS0_4arch9wavefront6targetE0EEEvSL_,comdat
.Lfunc_end2044:
	.size	_ZN7rocprim17ROCPRIM_400000_NS6detail17trampoline_kernelINS0_14default_configENS1_36segmented_radix_sort_config_selectorI12hip_bfloat16lEEZNS1_25segmented_radix_sort_implIS3_Lb0EPKS5_PS5_PKlPlN2at6native12_GLOBAL__N_18offset_tEEE10hipError_tPvRmT1_PNSt15iterator_traitsISL_E10value_typeET2_T3_PNSM_ISR_E10value_typeET4_jRbjT5_SX_jjP12ihipStream_tbEUlT_E_NS1_11comp_targetILNS1_3genE10ELNS1_11target_archE1201ELNS1_3gpuE5ELNS1_3repE0EEENS1_30default_config_static_selectorELNS0_4arch9wavefront6targetE0EEEvSL_, .Lfunc_end2044-_ZN7rocprim17ROCPRIM_400000_NS6detail17trampoline_kernelINS0_14default_configENS1_36segmented_radix_sort_config_selectorI12hip_bfloat16lEEZNS1_25segmented_radix_sort_implIS3_Lb0EPKS5_PS5_PKlPlN2at6native12_GLOBAL__N_18offset_tEEE10hipError_tPvRmT1_PNSt15iterator_traitsISL_E10value_typeET2_T3_PNSM_ISR_E10value_typeET4_jRbjT5_SX_jjP12ihipStream_tbEUlT_E_NS1_11comp_targetILNS1_3genE10ELNS1_11target_archE1201ELNS1_3gpuE5ELNS1_3repE0EEENS1_30default_config_static_selectorELNS0_4arch9wavefront6targetE0EEEvSL_
                                        ; -- End function
	.set _ZN7rocprim17ROCPRIM_400000_NS6detail17trampoline_kernelINS0_14default_configENS1_36segmented_radix_sort_config_selectorI12hip_bfloat16lEEZNS1_25segmented_radix_sort_implIS3_Lb0EPKS5_PS5_PKlPlN2at6native12_GLOBAL__N_18offset_tEEE10hipError_tPvRmT1_PNSt15iterator_traitsISL_E10value_typeET2_T3_PNSM_ISR_E10value_typeET4_jRbjT5_SX_jjP12ihipStream_tbEUlT_E_NS1_11comp_targetILNS1_3genE10ELNS1_11target_archE1201ELNS1_3gpuE5ELNS1_3repE0EEENS1_30default_config_static_selectorELNS0_4arch9wavefront6targetE0EEEvSL_.num_vgpr, 0
	.set _ZN7rocprim17ROCPRIM_400000_NS6detail17trampoline_kernelINS0_14default_configENS1_36segmented_radix_sort_config_selectorI12hip_bfloat16lEEZNS1_25segmented_radix_sort_implIS3_Lb0EPKS5_PS5_PKlPlN2at6native12_GLOBAL__N_18offset_tEEE10hipError_tPvRmT1_PNSt15iterator_traitsISL_E10value_typeET2_T3_PNSM_ISR_E10value_typeET4_jRbjT5_SX_jjP12ihipStream_tbEUlT_E_NS1_11comp_targetILNS1_3genE10ELNS1_11target_archE1201ELNS1_3gpuE5ELNS1_3repE0EEENS1_30default_config_static_selectorELNS0_4arch9wavefront6targetE0EEEvSL_.num_agpr, 0
	.set _ZN7rocprim17ROCPRIM_400000_NS6detail17trampoline_kernelINS0_14default_configENS1_36segmented_radix_sort_config_selectorI12hip_bfloat16lEEZNS1_25segmented_radix_sort_implIS3_Lb0EPKS5_PS5_PKlPlN2at6native12_GLOBAL__N_18offset_tEEE10hipError_tPvRmT1_PNSt15iterator_traitsISL_E10value_typeET2_T3_PNSM_ISR_E10value_typeET4_jRbjT5_SX_jjP12ihipStream_tbEUlT_E_NS1_11comp_targetILNS1_3genE10ELNS1_11target_archE1201ELNS1_3gpuE5ELNS1_3repE0EEENS1_30default_config_static_selectorELNS0_4arch9wavefront6targetE0EEEvSL_.numbered_sgpr, 0
	.set _ZN7rocprim17ROCPRIM_400000_NS6detail17trampoline_kernelINS0_14default_configENS1_36segmented_radix_sort_config_selectorI12hip_bfloat16lEEZNS1_25segmented_radix_sort_implIS3_Lb0EPKS5_PS5_PKlPlN2at6native12_GLOBAL__N_18offset_tEEE10hipError_tPvRmT1_PNSt15iterator_traitsISL_E10value_typeET2_T3_PNSM_ISR_E10value_typeET4_jRbjT5_SX_jjP12ihipStream_tbEUlT_E_NS1_11comp_targetILNS1_3genE10ELNS1_11target_archE1201ELNS1_3gpuE5ELNS1_3repE0EEENS1_30default_config_static_selectorELNS0_4arch9wavefront6targetE0EEEvSL_.num_named_barrier, 0
	.set _ZN7rocprim17ROCPRIM_400000_NS6detail17trampoline_kernelINS0_14default_configENS1_36segmented_radix_sort_config_selectorI12hip_bfloat16lEEZNS1_25segmented_radix_sort_implIS3_Lb0EPKS5_PS5_PKlPlN2at6native12_GLOBAL__N_18offset_tEEE10hipError_tPvRmT1_PNSt15iterator_traitsISL_E10value_typeET2_T3_PNSM_ISR_E10value_typeET4_jRbjT5_SX_jjP12ihipStream_tbEUlT_E_NS1_11comp_targetILNS1_3genE10ELNS1_11target_archE1201ELNS1_3gpuE5ELNS1_3repE0EEENS1_30default_config_static_selectorELNS0_4arch9wavefront6targetE0EEEvSL_.private_seg_size, 0
	.set _ZN7rocprim17ROCPRIM_400000_NS6detail17trampoline_kernelINS0_14default_configENS1_36segmented_radix_sort_config_selectorI12hip_bfloat16lEEZNS1_25segmented_radix_sort_implIS3_Lb0EPKS5_PS5_PKlPlN2at6native12_GLOBAL__N_18offset_tEEE10hipError_tPvRmT1_PNSt15iterator_traitsISL_E10value_typeET2_T3_PNSM_ISR_E10value_typeET4_jRbjT5_SX_jjP12ihipStream_tbEUlT_E_NS1_11comp_targetILNS1_3genE10ELNS1_11target_archE1201ELNS1_3gpuE5ELNS1_3repE0EEENS1_30default_config_static_selectorELNS0_4arch9wavefront6targetE0EEEvSL_.uses_vcc, 0
	.set _ZN7rocprim17ROCPRIM_400000_NS6detail17trampoline_kernelINS0_14default_configENS1_36segmented_radix_sort_config_selectorI12hip_bfloat16lEEZNS1_25segmented_radix_sort_implIS3_Lb0EPKS5_PS5_PKlPlN2at6native12_GLOBAL__N_18offset_tEEE10hipError_tPvRmT1_PNSt15iterator_traitsISL_E10value_typeET2_T3_PNSM_ISR_E10value_typeET4_jRbjT5_SX_jjP12ihipStream_tbEUlT_E_NS1_11comp_targetILNS1_3genE10ELNS1_11target_archE1201ELNS1_3gpuE5ELNS1_3repE0EEENS1_30default_config_static_selectorELNS0_4arch9wavefront6targetE0EEEvSL_.uses_flat_scratch, 0
	.set _ZN7rocprim17ROCPRIM_400000_NS6detail17trampoline_kernelINS0_14default_configENS1_36segmented_radix_sort_config_selectorI12hip_bfloat16lEEZNS1_25segmented_radix_sort_implIS3_Lb0EPKS5_PS5_PKlPlN2at6native12_GLOBAL__N_18offset_tEEE10hipError_tPvRmT1_PNSt15iterator_traitsISL_E10value_typeET2_T3_PNSM_ISR_E10value_typeET4_jRbjT5_SX_jjP12ihipStream_tbEUlT_E_NS1_11comp_targetILNS1_3genE10ELNS1_11target_archE1201ELNS1_3gpuE5ELNS1_3repE0EEENS1_30default_config_static_selectorELNS0_4arch9wavefront6targetE0EEEvSL_.has_dyn_sized_stack, 0
	.set _ZN7rocprim17ROCPRIM_400000_NS6detail17trampoline_kernelINS0_14default_configENS1_36segmented_radix_sort_config_selectorI12hip_bfloat16lEEZNS1_25segmented_radix_sort_implIS3_Lb0EPKS5_PS5_PKlPlN2at6native12_GLOBAL__N_18offset_tEEE10hipError_tPvRmT1_PNSt15iterator_traitsISL_E10value_typeET2_T3_PNSM_ISR_E10value_typeET4_jRbjT5_SX_jjP12ihipStream_tbEUlT_E_NS1_11comp_targetILNS1_3genE10ELNS1_11target_archE1201ELNS1_3gpuE5ELNS1_3repE0EEENS1_30default_config_static_selectorELNS0_4arch9wavefront6targetE0EEEvSL_.has_recursion, 0
	.set _ZN7rocprim17ROCPRIM_400000_NS6detail17trampoline_kernelINS0_14default_configENS1_36segmented_radix_sort_config_selectorI12hip_bfloat16lEEZNS1_25segmented_radix_sort_implIS3_Lb0EPKS5_PS5_PKlPlN2at6native12_GLOBAL__N_18offset_tEEE10hipError_tPvRmT1_PNSt15iterator_traitsISL_E10value_typeET2_T3_PNSM_ISR_E10value_typeET4_jRbjT5_SX_jjP12ihipStream_tbEUlT_E_NS1_11comp_targetILNS1_3genE10ELNS1_11target_archE1201ELNS1_3gpuE5ELNS1_3repE0EEENS1_30default_config_static_selectorELNS0_4arch9wavefront6targetE0EEEvSL_.has_indirect_call, 0
	.section	.AMDGPU.csdata,"",@progbits
; Kernel info:
; codeLenInByte = 0
; TotalNumSgprs: 0
; NumVgprs: 0
; ScratchSize: 0
; MemoryBound: 0
; FloatMode: 240
; IeeeMode: 1
; LDSByteSize: 0 bytes/workgroup (compile time only)
; SGPRBlocks: 0
; VGPRBlocks: 0
; NumSGPRsForWavesPerEU: 1
; NumVGPRsForWavesPerEU: 1
; Occupancy: 16
; WaveLimiterHint : 0
; COMPUTE_PGM_RSRC2:SCRATCH_EN: 0
; COMPUTE_PGM_RSRC2:USER_SGPR: 6
; COMPUTE_PGM_RSRC2:TRAP_HANDLER: 0
; COMPUTE_PGM_RSRC2:TGID_X_EN: 1
; COMPUTE_PGM_RSRC2:TGID_Y_EN: 0
; COMPUTE_PGM_RSRC2:TGID_Z_EN: 0
; COMPUTE_PGM_RSRC2:TIDIG_COMP_CNT: 0
	.section	.text._ZN7rocprim17ROCPRIM_400000_NS6detail17trampoline_kernelINS0_14default_configENS1_36segmented_radix_sort_config_selectorI12hip_bfloat16lEEZNS1_25segmented_radix_sort_implIS3_Lb0EPKS5_PS5_PKlPlN2at6native12_GLOBAL__N_18offset_tEEE10hipError_tPvRmT1_PNSt15iterator_traitsISL_E10value_typeET2_T3_PNSM_ISR_E10value_typeET4_jRbjT5_SX_jjP12ihipStream_tbEUlT_E_NS1_11comp_targetILNS1_3genE10ELNS1_11target_archE1200ELNS1_3gpuE4ELNS1_3repE0EEENS1_30default_config_static_selectorELNS0_4arch9wavefront6targetE0EEEvSL_,"axG",@progbits,_ZN7rocprim17ROCPRIM_400000_NS6detail17trampoline_kernelINS0_14default_configENS1_36segmented_radix_sort_config_selectorI12hip_bfloat16lEEZNS1_25segmented_radix_sort_implIS3_Lb0EPKS5_PS5_PKlPlN2at6native12_GLOBAL__N_18offset_tEEE10hipError_tPvRmT1_PNSt15iterator_traitsISL_E10value_typeET2_T3_PNSM_ISR_E10value_typeET4_jRbjT5_SX_jjP12ihipStream_tbEUlT_E_NS1_11comp_targetILNS1_3genE10ELNS1_11target_archE1200ELNS1_3gpuE4ELNS1_3repE0EEENS1_30default_config_static_selectorELNS0_4arch9wavefront6targetE0EEEvSL_,comdat
	.globl	_ZN7rocprim17ROCPRIM_400000_NS6detail17trampoline_kernelINS0_14default_configENS1_36segmented_radix_sort_config_selectorI12hip_bfloat16lEEZNS1_25segmented_radix_sort_implIS3_Lb0EPKS5_PS5_PKlPlN2at6native12_GLOBAL__N_18offset_tEEE10hipError_tPvRmT1_PNSt15iterator_traitsISL_E10value_typeET2_T3_PNSM_ISR_E10value_typeET4_jRbjT5_SX_jjP12ihipStream_tbEUlT_E_NS1_11comp_targetILNS1_3genE10ELNS1_11target_archE1200ELNS1_3gpuE4ELNS1_3repE0EEENS1_30default_config_static_selectorELNS0_4arch9wavefront6targetE0EEEvSL_ ; -- Begin function _ZN7rocprim17ROCPRIM_400000_NS6detail17trampoline_kernelINS0_14default_configENS1_36segmented_radix_sort_config_selectorI12hip_bfloat16lEEZNS1_25segmented_radix_sort_implIS3_Lb0EPKS5_PS5_PKlPlN2at6native12_GLOBAL__N_18offset_tEEE10hipError_tPvRmT1_PNSt15iterator_traitsISL_E10value_typeET2_T3_PNSM_ISR_E10value_typeET4_jRbjT5_SX_jjP12ihipStream_tbEUlT_E_NS1_11comp_targetILNS1_3genE10ELNS1_11target_archE1200ELNS1_3gpuE4ELNS1_3repE0EEENS1_30default_config_static_selectorELNS0_4arch9wavefront6targetE0EEEvSL_
	.p2align	8
	.type	_ZN7rocprim17ROCPRIM_400000_NS6detail17trampoline_kernelINS0_14default_configENS1_36segmented_radix_sort_config_selectorI12hip_bfloat16lEEZNS1_25segmented_radix_sort_implIS3_Lb0EPKS5_PS5_PKlPlN2at6native12_GLOBAL__N_18offset_tEEE10hipError_tPvRmT1_PNSt15iterator_traitsISL_E10value_typeET2_T3_PNSM_ISR_E10value_typeET4_jRbjT5_SX_jjP12ihipStream_tbEUlT_E_NS1_11comp_targetILNS1_3genE10ELNS1_11target_archE1200ELNS1_3gpuE4ELNS1_3repE0EEENS1_30default_config_static_selectorELNS0_4arch9wavefront6targetE0EEEvSL_,@function
_ZN7rocprim17ROCPRIM_400000_NS6detail17trampoline_kernelINS0_14default_configENS1_36segmented_radix_sort_config_selectorI12hip_bfloat16lEEZNS1_25segmented_radix_sort_implIS3_Lb0EPKS5_PS5_PKlPlN2at6native12_GLOBAL__N_18offset_tEEE10hipError_tPvRmT1_PNSt15iterator_traitsISL_E10value_typeET2_T3_PNSM_ISR_E10value_typeET4_jRbjT5_SX_jjP12ihipStream_tbEUlT_E_NS1_11comp_targetILNS1_3genE10ELNS1_11target_archE1200ELNS1_3gpuE4ELNS1_3repE0EEENS1_30default_config_static_selectorELNS0_4arch9wavefront6targetE0EEEvSL_: ; @_ZN7rocprim17ROCPRIM_400000_NS6detail17trampoline_kernelINS0_14default_configENS1_36segmented_radix_sort_config_selectorI12hip_bfloat16lEEZNS1_25segmented_radix_sort_implIS3_Lb0EPKS5_PS5_PKlPlN2at6native12_GLOBAL__N_18offset_tEEE10hipError_tPvRmT1_PNSt15iterator_traitsISL_E10value_typeET2_T3_PNSM_ISR_E10value_typeET4_jRbjT5_SX_jjP12ihipStream_tbEUlT_E_NS1_11comp_targetILNS1_3genE10ELNS1_11target_archE1200ELNS1_3gpuE4ELNS1_3repE0EEENS1_30default_config_static_selectorELNS0_4arch9wavefront6targetE0EEEvSL_
; %bb.0:
	.section	.rodata,"a",@progbits
	.p2align	6, 0x0
	.amdhsa_kernel _ZN7rocprim17ROCPRIM_400000_NS6detail17trampoline_kernelINS0_14default_configENS1_36segmented_radix_sort_config_selectorI12hip_bfloat16lEEZNS1_25segmented_radix_sort_implIS3_Lb0EPKS5_PS5_PKlPlN2at6native12_GLOBAL__N_18offset_tEEE10hipError_tPvRmT1_PNSt15iterator_traitsISL_E10value_typeET2_T3_PNSM_ISR_E10value_typeET4_jRbjT5_SX_jjP12ihipStream_tbEUlT_E_NS1_11comp_targetILNS1_3genE10ELNS1_11target_archE1200ELNS1_3gpuE4ELNS1_3repE0EEENS1_30default_config_static_selectorELNS0_4arch9wavefront6targetE0EEEvSL_
		.amdhsa_group_segment_fixed_size 0
		.amdhsa_private_segment_fixed_size 0
		.amdhsa_kernarg_size 96
		.amdhsa_user_sgpr_count 6
		.amdhsa_user_sgpr_private_segment_buffer 1
		.amdhsa_user_sgpr_dispatch_ptr 0
		.amdhsa_user_sgpr_queue_ptr 0
		.amdhsa_user_sgpr_kernarg_segment_ptr 1
		.amdhsa_user_sgpr_dispatch_id 0
		.amdhsa_user_sgpr_flat_scratch_init 0
		.amdhsa_user_sgpr_private_segment_size 0
		.amdhsa_wavefront_size32 1
		.amdhsa_uses_dynamic_stack 0
		.amdhsa_system_sgpr_private_segment_wavefront_offset 0
		.amdhsa_system_sgpr_workgroup_id_x 1
		.amdhsa_system_sgpr_workgroup_id_y 0
		.amdhsa_system_sgpr_workgroup_id_z 0
		.amdhsa_system_sgpr_workgroup_info 0
		.amdhsa_system_vgpr_workitem_id 0
		.amdhsa_next_free_vgpr 1
		.amdhsa_next_free_sgpr 1
		.amdhsa_reserve_vcc 0
		.amdhsa_reserve_flat_scratch 0
		.amdhsa_float_round_mode_32 0
		.amdhsa_float_round_mode_16_64 0
		.amdhsa_float_denorm_mode_32 3
		.amdhsa_float_denorm_mode_16_64 3
		.amdhsa_dx10_clamp 1
		.amdhsa_ieee_mode 1
		.amdhsa_fp16_overflow 0
		.amdhsa_workgroup_processor_mode 1
		.amdhsa_memory_ordered 1
		.amdhsa_forward_progress 1
		.amdhsa_shared_vgpr_count 0
		.amdhsa_exception_fp_ieee_invalid_op 0
		.amdhsa_exception_fp_denorm_src 0
		.amdhsa_exception_fp_ieee_div_zero 0
		.amdhsa_exception_fp_ieee_overflow 0
		.amdhsa_exception_fp_ieee_underflow 0
		.amdhsa_exception_fp_ieee_inexact 0
		.amdhsa_exception_int_div_zero 0
	.end_amdhsa_kernel
	.section	.text._ZN7rocprim17ROCPRIM_400000_NS6detail17trampoline_kernelINS0_14default_configENS1_36segmented_radix_sort_config_selectorI12hip_bfloat16lEEZNS1_25segmented_radix_sort_implIS3_Lb0EPKS5_PS5_PKlPlN2at6native12_GLOBAL__N_18offset_tEEE10hipError_tPvRmT1_PNSt15iterator_traitsISL_E10value_typeET2_T3_PNSM_ISR_E10value_typeET4_jRbjT5_SX_jjP12ihipStream_tbEUlT_E_NS1_11comp_targetILNS1_3genE10ELNS1_11target_archE1200ELNS1_3gpuE4ELNS1_3repE0EEENS1_30default_config_static_selectorELNS0_4arch9wavefront6targetE0EEEvSL_,"axG",@progbits,_ZN7rocprim17ROCPRIM_400000_NS6detail17trampoline_kernelINS0_14default_configENS1_36segmented_radix_sort_config_selectorI12hip_bfloat16lEEZNS1_25segmented_radix_sort_implIS3_Lb0EPKS5_PS5_PKlPlN2at6native12_GLOBAL__N_18offset_tEEE10hipError_tPvRmT1_PNSt15iterator_traitsISL_E10value_typeET2_T3_PNSM_ISR_E10value_typeET4_jRbjT5_SX_jjP12ihipStream_tbEUlT_E_NS1_11comp_targetILNS1_3genE10ELNS1_11target_archE1200ELNS1_3gpuE4ELNS1_3repE0EEENS1_30default_config_static_selectorELNS0_4arch9wavefront6targetE0EEEvSL_,comdat
.Lfunc_end2045:
	.size	_ZN7rocprim17ROCPRIM_400000_NS6detail17trampoline_kernelINS0_14default_configENS1_36segmented_radix_sort_config_selectorI12hip_bfloat16lEEZNS1_25segmented_radix_sort_implIS3_Lb0EPKS5_PS5_PKlPlN2at6native12_GLOBAL__N_18offset_tEEE10hipError_tPvRmT1_PNSt15iterator_traitsISL_E10value_typeET2_T3_PNSM_ISR_E10value_typeET4_jRbjT5_SX_jjP12ihipStream_tbEUlT_E_NS1_11comp_targetILNS1_3genE10ELNS1_11target_archE1200ELNS1_3gpuE4ELNS1_3repE0EEENS1_30default_config_static_selectorELNS0_4arch9wavefront6targetE0EEEvSL_, .Lfunc_end2045-_ZN7rocprim17ROCPRIM_400000_NS6detail17trampoline_kernelINS0_14default_configENS1_36segmented_radix_sort_config_selectorI12hip_bfloat16lEEZNS1_25segmented_radix_sort_implIS3_Lb0EPKS5_PS5_PKlPlN2at6native12_GLOBAL__N_18offset_tEEE10hipError_tPvRmT1_PNSt15iterator_traitsISL_E10value_typeET2_T3_PNSM_ISR_E10value_typeET4_jRbjT5_SX_jjP12ihipStream_tbEUlT_E_NS1_11comp_targetILNS1_3genE10ELNS1_11target_archE1200ELNS1_3gpuE4ELNS1_3repE0EEENS1_30default_config_static_selectorELNS0_4arch9wavefront6targetE0EEEvSL_
                                        ; -- End function
	.set _ZN7rocprim17ROCPRIM_400000_NS6detail17trampoline_kernelINS0_14default_configENS1_36segmented_radix_sort_config_selectorI12hip_bfloat16lEEZNS1_25segmented_radix_sort_implIS3_Lb0EPKS5_PS5_PKlPlN2at6native12_GLOBAL__N_18offset_tEEE10hipError_tPvRmT1_PNSt15iterator_traitsISL_E10value_typeET2_T3_PNSM_ISR_E10value_typeET4_jRbjT5_SX_jjP12ihipStream_tbEUlT_E_NS1_11comp_targetILNS1_3genE10ELNS1_11target_archE1200ELNS1_3gpuE4ELNS1_3repE0EEENS1_30default_config_static_selectorELNS0_4arch9wavefront6targetE0EEEvSL_.num_vgpr, 0
	.set _ZN7rocprim17ROCPRIM_400000_NS6detail17trampoline_kernelINS0_14default_configENS1_36segmented_radix_sort_config_selectorI12hip_bfloat16lEEZNS1_25segmented_radix_sort_implIS3_Lb0EPKS5_PS5_PKlPlN2at6native12_GLOBAL__N_18offset_tEEE10hipError_tPvRmT1_PNSt15iterator_traitsISL_E10value_typeET2_T3_PNSM_ISR_E10value_typeET4_jRbjT5_SX_jjP12ihipStream_tbEUlT_E_NS1_11comp_targetILNS1_3genE10ELNS1_11target_archE1200ELNS1_3gpuE4ELNS1_3repE0EEENS1_30default_config_static_selectorELNS0_4arch9wavefront6targetE0EEEvSL_.num_agpr, 0
	.set _ZN7rocprim17ROCPRIM_400000_NS6detail17trampoline_kernelINS0_14default_configENS1_36segmented_radix_sort_config_selectorI12hip_bfloat16lEEZNS1_25segmented_radix_sort_implIS3_Lb0EPKS5_PS5_PKlPlN2at6native12_GLOBAL__N_18offset_tEEE10hipError_tPvRmT1_PNSt15iterator_traitsISL_E10value_typeET2_T3_PNSM_ISR_E10value_typeET4_jRbjT5_SX_jjP12ihipStream_tbEUlT_E_NS1_11comp_targetILNS1_3genE10ELNS1_11target_archE1200ELNS1_3gpuE4ELNS1_3repE0EEENS1_30default_config_static_selectorELNS0_4arch9wavefront6targetE0EEEvSL_.numbered_sgpr, 0
	.set _ZN7rocprim17ROCPRIM_400000_NS6detail17trampoline_kernelINS0_14default_configENS1_36segmented_radix_sort_config_selectorI12hip_bfloat16lEEZNS1_25segmented_radix_sort_implIS3_Lb0EPKS5_PS5_PKlPlN2at6native12_GLOBAL__N_18offset_tEEE10hipError_tPvRmT1_PNSt15iterator_traitsISL_E10value_typeET2_T3_PNSM_ISR_E10value_typeET4_jRbjT5_SX_jjP12ihipStream_tbEUlT_E_NS1_11comp_targetILNS1_3genE10ELNS1_11target_archE1200ELNS1_3gpuE4ELNS1_3repE0EEENS1_30default_config_static_selectorELNS0_4arch9wavefront6targetE0EEEvSL_.num_named_barrier, 0
	.set _ZN7rocprim17ROCPRIM_400000_NS6detail17trampoline_kernelINS0_14default_configENS1_36segmented_radix_sort_config_selectorI12hip_bfloat16lEEZNS1_25segmented_radix_sort_implIS3_Lb0EPKS5_PS5_PKlPlN2at6native12_GLOBAL__N_18offset_tEEE10hipError_tPvRmT1_PNSt15iterator_traitsISL_E10value_typeET2_T3_PNSM_ISR_E10value_typeET4_jRbjT5_SX_jjP12ihipStream_tbEUlT_E_NS1_11comp_targetILNS1_3genE10ELNS1_11target_archE1200ELNS1_3gpuE4ELNS1_3repE0EEENS1_30default_config_static_selectorELNS0_4arch9wavefront6targetE0EEEvSL_.private_seg_size, 0
	.set _ZN7rocprim17ROCPRIM_400000_NS6detail17trampoline_kernelINS0_14default_configENS1_36segmented_radix_sort_config_selectorI12hip_bfloat16lEEZNS1_25segmented_radix_sort_implIS3_Lb0EPKS5_PS5_PKlPlN2at6native12_GLOBAL__N_18offset_tEEE10hipError_tPvRmT1_PNSt15iterator_traitsISL_E10value_typeET2_T3_PNSM_ISR_E10value_typeET4_jRbjT5_SX_jjP12ihipStream_tbEUlT_E_NS1_11comp_targetILNS1_3genE10ELNS1_11target_archE1200ELNS1_3gpuE4ELNS1_3repE0EEENS1_30default_config_static_selectorELNS0_4arch9wavefront6targetE0EEEvSL_.uses_vcc, 0
	.set _ZN7rocprim17ROCPRIM_400000_NS6detail17trampoline_kernelINS0_14default_configENS1_36segmented_radix_sort_config_selectorI12hip_bfloat16lEEZNS1_25segmented_radix_sort_implIS3_Lb0EPKS5_PS5_PKlPlN2at6native12_GLOBAL__N_18offset_tEEE10hipError_tPvRmT1_PNSt15iterator_traitsISL_E10value_typeET2_T3_PNSM_ISR_E10value_typeET4_jRbjT5_SX_jjP12ihipStream_tbEUlT_E_NS1_11comp_targetILNS1_3genE10ELNS1_11target_archE1200ELNS1_3gpuE4ELNS1_3repE0EEENS1_30default_config_static_selectorELNS0_4arch9wavefront6targetE0EEEvSL_.uses_flat_scratch, 0
	.set _ZN7rocprim17ROCPRIM_400000_NS6detail17trampoline_kernelINS0_14default_configENS1_36segmented_radix_sort_config_selectorI12hip_bfloat16lEEZNS1_25segmented_radix_sort_implIS3_Lb0EPKS5_PS5_PKlPlN2at6native12_GLOBAL__N_18offset_tEEE10hipError_tPvRmT1_PNSt15iterator_traitsISL_E10value_typeET2_T3_PNSM_ISR_E10value_typeET4_jRbjT5_SX_jjP12ihipStream_tbEUlT_E_NS1_11comp_targetILNS1_3genE10ELNS1_11target_archE1200ELNS1_3gpuE4ELNS1_3repE0EEENS1_30default_config_static_selectorELNS0_4arch9wavefront6targetE0EEEvSL_.has_dyn_sized_stack, 0
	.set _ZN7rocprim17ROCPRIM_400000_NS6detail17trampoline_kernelINS0_14default_configENS1_36segmented_radix_sort_config_selectorI12hip_bfloat16lEEZNS1_25segmented_radix_sort_implIS3_Lb0EPKS5_PS5_PKlPlN2at6native12_GLOBAL__N_18offset_tEEE10hipError_tPvRmT1_PNSt15iterator_traitsISL_E10value_typeET2_T3_PNSM_ISR_E10value_typeET4_jRbjT5_SX_jjP12ihipStream_tbEUlT_E_NS1_11comp_targetILNS1_3genE10ELNS1_11target_archE1200ELNS1_3gpuE4ELNS1_3repE0EEENS1_30default_config_static_selectorELNS0_4arch9wavefront6targetE0EEEvSL_.has_recursion, 0
	.set _ZN7rocprim17ROCPRIM_400000_NS6detail17trampoline_kernelINS0_14default_configENS1_36segmented_radix_sort_config_selectorI12hip_bfloat16lEEZNS1_25segmented_radix_sort_implIS3_Lb0EPKS5_PS5_PKlPlN2at6native12_GLOBAL__N_18offset_tEEE10hipError_tPvRmT1_PNSt15iterator_traitsISL_E10value_typeET2_T3_PNSM_ISR_E10value_typeET4_jRbjT5_SX_jjP12ihipStream_tbEUlT_E_NS1_11comp_targetILNS1_3genE10ELNS1_11target_archE1200ELNS1_3gpuE4ELNS1_3repE0EEENS1_30default_config_static_selectorELNS0_4arch9wavefront6targetE0EEEvSL_.has_indirect_call, 0
	.section	.AMDGPU.csdata,"",@progbits
; Kernel info:
; codeLenInByte = 0
; TotalNumSgprs: 0
; NumVgprs: 0
; ScratchSize: 0
; MemoryBound: 0
; FloatMode: 240
; IeeeMode: 1
; LDSByteSize: 0 bytes/workgroup (compile time only)
; SGPRBlocks: 0
; VGPRBlocks: 0
; NumSGPRsForWavesPerEU: 1
; NumVGPRsForWavesPerEU: 1
; Occupancy: 16
; WaveLimiterHint : 0
; COMPUTE_PGM_RSRC2:SCRATCH_EN: 0
; COMPUTE_PGM_RSRC2:USER_SGPR: 6
; COMPUTE_PGM_RSRC2:TRAP_HANDLER: 0
; COMPUTE_PGM_RSRC2:TGID_X_EN: 1
; COMPUTE_PGM_RSRC2:TGID_Y_EN: 0
; COMPUTE_PGM_RSRC2:TGID_Z_EN: 0
; COMPUTE_PGM_RSRC2:TIDIG_COMP_CNT: 0
	.section	.text._ZN7rocprim17ROCPRIM_400000_NS6detail17trampoline_kernelINS0_14default_configENS1_36segmented_radix_sort_config_selectorI12hip_bfloat16lEEZNS1_25segmented_radix_sort_implIS3_Lb0EPKS5_PS5_PKlPlN2at6native12_GLOBAL__N_18offset_tEEE10hipError_tPvRmT1_PNSt15iterator_traitsISL_E10value_typeET2_T3_PNSM_ISR_E10value_typeET4_jRbjT5_SX_jjP12ihipStream_tbEUlT_E_NS1_11comp_targetILNS1_3genE9ELNS1_11target_archE1100ELNS1_3gpuE3ELNS1_3repE0EEENS1_30default_config_static_selectorELNS0_4arch9wavefront6targetE0EEEvSL_,"axG",@progbits,_ZN7rocprim17ROCPRIM_400000_NS6detail17trampoline_kernelINS0_14default_configENS1_36segmented_radix_sort_config_selectorI12hip_bfloat16lEEZNS1_25segmented_radix_sort_implIS3_Lb0EPKS5_PS5_PKlPlN2at6native12_GLOBAL__N_18offset_tEEE10hipError_tPvRmT1_PNSt15iterator_traitsISL_E10value_typeET2_T3_PNSM_ISR_E10value_typeET4_jRbjT5_SX_jjP12ihipStream_tbEUlT_E_NS1_11comp_targetILNS1_3genE9ELNS1_11target_archE1100ELNS1_3gpuE3ELNS1_3repE0EEENS1_30default_config_static_selectorELNS0_4arch9wavefront6targetE0EEEvSL_,comdat
	.globl	_ZN7rocprim17ROCPRIM_400000_NS6detail17trampoline_kernelINS0_14default_configENS1_36segmented_radix_sort_config_selectorI12hip_bfloat16lEEZNS1_25segmented_radix_sort_implIS3_Lb0EPKS5_PS5_PKlPlN2at6native12_GLOBAL__N_18offset_tEEE10hipError_tPvRmT1_PNSt15iterator_traitsISL_E10value_typeET2_T3_PNSM_ISR_E10value_typeET4_jRbjT5_SX_jjP12ihipStream_tbEUlT_E_NS1_11comp_targetILNS1_3genE9ELNS1_11target_archE1100ELNS1_3gpuE3ELNS1_3repE0EEENS1_30default_config_static_selectorELNS0_4arch9wavefront6targetE0EEEvSL_ ; -- Begin function _ZN7rocprim17ROCPRIM_400000_NS6detail17trampoline_kernelINS0_14default_configENS1_36segmented_radix_sort_config_selectorI12hip_bfloat16lEEZNS1_25segmented_radix_sort_implIS3_Lb0EPKS5_PS5_PKlPlN2at6native12_GLOBAL__N_18offset_tEEE10hipError_tPvRmT1_PNSt15iterator_traitsISL_E10value_typeET2_T3_PNSM_ISR_E10value_typeET4_jRbjT5_SX_jjP12ihipStream_tbEUlT_E_NS1_11comp_targetILNS1_3genE9ELNS1_11target_archE1100ELNS1_3gpuE3ELNS1_3repE0EEENS1_30default_config_static_selectorELNS0_4arch9wavefront6targetE0EEEvSL_
	.p2align	8
	.type	_ZN7rocprim17ROCPRIM_400000_NS6detail17trampoline_kernelINS0_14default_configENS1_36segmented_radix_sort_config_selectorI12hip_bfloat16lEEZNS1_25segmented_radix_sort_implIS3_Lb0EPKS5_PS5_PKlPlN2at6native12_GLOBAL__N_18offset_tEEE10hipError_tPvRmT1_PNSt15iterator_traitsISL_E10value_typeET2_T3_PNSM_ISR_E10value_typeET4_jRbjT5_SX_jjP12ihipStream_tbEUlT_E_NS1_11comp_targetILNS1_3genE9ELNS1_11target_archE1100ELNS1_3gpuE3ELNS1_3repE0EEENS1_30default_config_static_selectorELNS0_4arch9wavefront6targetE0EEEvSL_,@function
_ZN7rocprim17ROCPRIM_400000_NS6detail17trampoline_kernelINS0_14default_configENS1_36segmented_radix_sort_config_selectorI12hip_bfloat16lEEZNS1_25segmented_radix_sort_implIS3_Lb0EPKS5_PS5_PKlPlN2at6native12_GLOBAL__N_18offset_tEEE10hipError_tPvRmT1_PNSt15iterator_traitsISL_E10value_typeET2_T3_PNSM_ISR_E10value_typeET4_jRbjT5_SX_jjP12ihipStream_tbEUlT_E_NS1_11comp_targetILNS1_3genE9ELNS1_11target_archE1100ELNS1_3gpuE3ELNS1_3repE0EEENS1_30default_config_static_selectorELNS0_4arch9wavefront6targetE0EEEvSL_: ; @_ZN7rocprim17ROCPRIM_400000_NS6detail17trampoline_kernelINS0_14default_configENS1_36segmented_radix_sort_config_selectorI12hip_bfloat16lEEZNS1_25segmented_radix_sort_implIS3_Lb0EPKS5_PS5_PKlPlN2at6native12_GLOBAL__N_18offset_tEEE10hipError_tPvRmT1_PNSt15iterator_traitsISL_E10value_typeET2_T3_PNSM_ISR_E10value_typeET4_jRbjT5_SX_jjP12ihipStream_tbEUlT_E_NS1_11comp_targetILNS1_3genE9ELNS1_11target_archE1100ELNS1_3gpuE3ELNS1_3repE0EEENS1_30default_config_static_selectorELNS0_4arch9wavefront6targetE0EEEvSL_
; %bb.0:
	.section	.rodata,"a",@progbits
	.p2align	6, 0x0
	.amdhsa_kernel _ZN7rocprim17ROCPRIM_400000_NS6detail17trampoline_kernelINS0_14default_configENS1_36segmented_radix_sort_config_selectorI12hip_bfloat16lEEZNS1_25segmented_radix_sort_implIS3_Lb0EPKS5_PS5_PKlPlN2at6native12_GLOBAL__N_18offset_tEEE10hipError_tPvRmT1_PNSt15iterator_traitsISL_E10value_typeET2_T3_PNSM_ISR_E10value_typeET4_jRbjT5_SX_jjP12ihipStream_tbEUlT_E_NS1_11comp_targetILNS1_3genE9ELNS1_11target_archE1100ELNS1_3gpuE3ELNS1_3repE0EEENS1_30default_config_static_selectorELNS0_4arch9wavefront6targetE0EEEvSL_
		.amdhsa_group_segment_fixed_size 0
		.amdhsa_private_segment_fixed_size 0
		.amdhsa_kernarg_size 96
		.amdhsa_user_sgpr_count 6
		.amdhsa_user_sgpr_private_segment_buffer 1
		.amdhsa_user_sgpr_dispatch_ptr 0
		.amdhsa_user_sgpr_queue_ptr 0
		.amdhsa_user_sgpr_kernarg_segment_ptr 1
		.amdhsa_user_sgpr_dispatch_id 0
		.amdhsa_user_sgpr_flat_scratch_init 0
		.amdhsa_user_sgpr_private_segment_size 0
		.amdhsa_wavefront_size32 1
		.amdhsa_uses_dynamic_stack 0
		.amdhsa_system_sgpr_private_segment_wavefront_offset 0
		.amdhsa_system_sgpr_workgroup_id_x 1
		.amdhsa_system_sgpr_workgroup_id_y 0
		.amdhsa_system_sgpr_workgroup_id_z 0
		.amdhsa_system_sgpr_workgroup_info 0
		.amdhsa_system_vgpr_workitem_id 0
		.amdhsa_next_free_vgpr 1
		.amdhsa_next_free_sgpr 1
		.amdhsa_reserve_vcc 0
		.amdhsa_reserve_flat_scratch 0
		.amdhsa_float_round_mode_32 0
		.amdhsa_float_round_mode_16_64 0
		.amdhsa_float_denorm_mode_32 3
		.amdhsa_float_denorm_mode_16_64 3
		.amdhsa_dx10_clamp 1
		.amdhsa_ieee_mode 1
		.amdhsa_fp16_overflow 0
		.amdhsa_workgroup_processor_mode 1
		.amdhsa_memory_ordered 1
		.amdhsa_forward_progress 1
		.amdhsa_shared_vgpr_count 0
		.amdhsa_exception_fp_ieee_invalid_op 0
		.amdhsa_exception_fp_denorm_src 0
		.amdhsa_exception_fp_ieee_div_zero 0
		.amdhsa_exception_fp_ieee_overflow 0
		.amdhsa_exception_fp_ieee_underflow 0
		.amdhsa_exception_fp_ieee_inexact 0
		.amdhsa_exception_int_div_zero 0
	.end_amdhsa_kernel
	.section	.text._ZN7rocprim17ROCPRIM_400000_NS6detail17trampoline_kernelINS0_14default_configENS1_36segmented_radix_sort_config_selectorI12hip_bfloat16lEEZNS1_25segmented_radix_sort_implIS3_Lb0EPKS5_PS5_PKlPlN2at6native12_GLOBAL__N_18offset_tEEE10hipError_tPvRmT1_PNSt15iterator_traitsISL_E10value_typeET2_T3_PNSM_ISR_E10value_typeET4_jRbjT5_SX_jjP12ihipStream_tbEUlT_E_NS1_11comp_targetILNS1_3genE9ELNS1_11target_archE1100ELNS1_3gpuE3ELNS1_3repE0EEENS1_30default_config_static_selectorELNS0_4arch9wavefront6targetE0EEEvSL_,"axG",@progbits,_ZN7rocprim17ROCPRIM_400000_NS6detail17trampoline_kernelINS0_14default_configENS1_36segmented_radix_sort_config_selectorI12hip_bfloat16lEEZNS1_25segmented_radix_sort_implIS3_Lb0EPKS5_PS5_PKlPlN2at6native12_GLOBAL__N_18offset_tEEE10hipError_tPvRmT1_PNSt15iterator_traitsISL_E10value_typeET2_T3_PNSM_ISR_E10value_typeET4_jRbjT5_SX_jjP12ihipStream_tbEUlT_E_NS1_11comp_targetILNS1_3genE9ELNS1_11target_archE1100ELNS1_3gpuE3ELNS1_3repE0EEENS1_30default_config_static_selectorELNS0_4arch9wavefront6targetE0EEEvSL_,comdat
.Lfunc_end2046:
	.size	_ZN7rocprim17ROCPRIM_400000_NS6detail17trampoline_kernelINS0_14default_configENS1_36segmented_radix_sort_config_selectorI12hip_bfloat16lEEZNS1_25segmented_radix_sort_implIS3_Lb0EPKS5_PS5_PKlPlN2at6native12_GLOBAL__N_18offset_tEEE10hipError_tPvRmT1_PNSt15iterator_traitsISL_E10value_typeET2_T3_PNSM_ISR_E10value_typeET4_jRbjT5_SX_jjP12ihipStream_tbEUlT_E_NS1_11comp_targetILNS1_3genE9ELNS1_11target_archE1100ELNS1_3gpuE3ELNS1_3repE0EEENS1_30default_config_static_selectorELNS0_4arch9wavefront6targetE0EEEvSL_, .Lfunc_end2046-_ZN7rocprim17ROCPRIM_400000_NS6detail17trampoline_kernelINS0_14default_configENS1_36segmented_radix_sort_config_selectorI12hip_bfloat16lEEZNS1_25segmented_radix_sort_implIS3_Lb0EPKS5_PS5_PKlPlN2at6native12_GLOBAL__N_18offset_tEEE10hipError_tPvRmT1_PNSt15iterator_traitsISL_E10value_typeET2_T3_PNSM_ISR_E10value_typeET4_jRbjT5_SX_jjP12ihipStream_tbEUlT_E_NS1_11comp_targetILNS1_3genE9ELNS1_11target_archE1100ELNS1_3gpuE3ELNS1_3repE0EEENS1_30default_config_static_selectorELNS0_4arch9wavefront6targetE0EEEvSL_
                                        ; -- End function
	.set _ZN7rocprim17ROCPRIM_400000_NS6detail17trampoline_kernelINS0_14default_configENS1_36segmented_radix_sort_config_selectorI12hip_bfloat16lEEZNS1_25segmented_radix_sort_implIS3_Lb0EPKS5_PS5_PKlPlN2at6native12_GLOBAL__N_18offset_tEEE10hipError_tPvRmT1_PNSt15iterator_traitsISL_E10value_typeET2_T3_PNSM_ISR_E10value_typeET4_jRbjT5_SX_jjP12ihipStream_tbEUlT_E_NS1_11comp_targetILNS1_3genE9ELNS1_11target_archE1100ELNS1_3gpuE3ELNS1_3repE0EEENS1_30default_config_static_selectorELNS0_4arch9wavefront6targetE0EEEvSL_.num_vgpr, 0
	.set _ZN7rocprim17ROCPRIM_400000_NS6detail17trampoline_kernelINS0_14default_configENS1_36segmented_radix_sort_config_selectorI12hip_bfloat16lEEZNS1_25segmented_radix_sort_implIS3_Lb0EPKS5_PS5_PKlPlN2at6native12_GLOBAL__N_18offset_tEEE10hipError_tPvRmT1_PNSt15iterator_traitsISL_E10value_typeET2_T3_PNSM_ISR_E10value_typeET4_jRbjT5_SX_jjP12ihipStream_tbEUlT_E_NS1_11comp_targetILNS1_3genE9ELNS1_11target_archE1100ELNS1_3gpuE3ELNS1_3repE0EEENS1_30default_config_static_selectorELNS0_4arch9wavefront6targetE0EEEvSL_.num_agpr, 0
	.set _ZN7rocprim17ROCPRIM_400000_NS6detail17trampoline_kernelINS0_14default_configENS1_36segmented_radix_sort_config_selectorI12hip_bfloat16lEEZNS1_25segmented_radix_sort_implIS3_Lb0EPKS5_PS5_PKlPlN2at6native12_GLOBAL__N_18offset_tEEE10hipError_tPvRmT1_PNSt15iterator_traitsISL_E10value_typeET2_T3_PNSM_ISR_E10value_typeET4_jRbjT5_SX_jjP12ihipStream_tbEUlT_E_NS1_11comp_targetILNS1_3genE9ELNS1_11target_archE1100ELNS1_3gpuE3ELNS1_3repE0EEENS1_30default_config_static_selectorELNS0_4arch9wavefront6targetE0EEEvSL_.numbered_sgpr, 0
	.set _ZN7rocprim17ROCPRIM_400000_NS6detail17trampoline_kernelINS0_14default_configENS1_36segmented_radix_sort_config_selectorI12hip_bfloat16lEEZNS1_25segmented_radix_sort_implIS3_Lb0EPKS5_PS5_PKlPlN2at6native12_GLOBAL__N_18offset_tEEE10hipError_tPvRmT1_PNSt15iterator_traitsISL_E10value_typeET2_T3_PNSM_ISR_E10value_typeET4_jRbjT5_SX_jjP12ihipStream_tbEUlT_E_NS1_11comp_targetILNS1_3genE9ELNS1_11target_archE1100ELNS1_3gpuE3ELNS1_3repE0EEENS1_30default_config_static_selectorELNS0_4arch9wavefront6targetE0EEEvSL_.num_named_barrier, 0
	.set _ZN7rocprim17ROCPRIM_400000_NS6detail17trampoline_kernelINS0_14default_configENS1_36segmented_radix_sort_config_selectorI12hip_bfloat16lEEZNS1_25segmented_radix_sort_implIS3_Lb0EPKS5_PS5_PKlPlN2at6native12_GLOBAL__N_18offset_tEEE10hipError_tPvRmT1_PNSt15iterator_traitsISL_E10value_typeET2_T3_PNSM_ISR_E10value_typeET4_jRbjT5_SX_jjP12ihipStream_tbEUlT_E_NS1_11comp_targetILNS1_3genE9ELNS1_11target_archE1100ELNS1_3gpuE3ELNS1_3repE0EEENS1_30default_config_static_selectorELNS0_4arch9wavefront6targetE0EEEvSL_.private_seg_size, 0
	.set _ZN7rocprim17ROCPRIM_400000_NS6detail17trampoline_kernelINS0_14default_configENS1_36segmented_radix_sort_config_selectorI12hip_bfloat16lEEZNS1_25segmented_radix_sort_implIS3_Lb0EPKS5_PS5_PKlPlN2at6native12_GLOBAL__N_18offset_tEEE10hipError_tPvRmT1_PNSt15iterator_traitsISL_E10value_typeET2_T3_PNSM_ISR_E10value_typeET4_jRbjT5_SX_jjP12ihipStream_tbEUlT_E_NS1_11comp_targetILNS1_3genE9ELNS1_11target_archE1100ELNS1_3gpuE3ELNS1_3repE0EEENS1_30default_config_static_selectorELNS0_4arch9wavefront6targetE0EEEvSL_.uses_vcc, 0
	.set _ZN7rocprim17ROCPRIM_400000_NS6detail17trampoline_kernelINS0_14default_configENS1_36segmented_radix_sort_config_selectorI12hip_bfloat16lEEZNS1_25segmented_radix_sort_implIS3_Lb0EPKS5_PS5_PKlPlN2at6native12_GLOBAL__N_18offset_tEEE10hipError_tPvRmT1_PNSt15iterator_traitsISL_E10value_typeET2_T3_PNSM_ISR_E10value_typeET4_jRbjT5_SX_jjP12ihipStream_tbEUlT_E_NS1_11comp_targetILNS1_3genE9ELNS1_11target_archE1100ELNS1_3gpuE3ELNS1_3repE0EEENS1_30default_config_static_selectorELNS0_4arch9wavefront6targetE0EEEvSL_.uses_flat_scratch, 0
	.set _ZN7rocprim17ROCPRIM_400000_NS6detail17trampoline_kernelINS0_14default_configENS1_36segmented_radix_sort_config_selectorI12hip_bfloat16lEEZNS1_25segmented_radix_sort_implIS3_Lb0EPKS5_PS5_PKlPlN2at6native12_GLOBAL__N_18offset_tEEE10hipError_tPvRmT1_PNSt15iterator_traitsISL_E10value_typeET2_T3_PNSM_ISR_E10value_typeET4_jRbjT5_SX_jjP12ihipStream_tbEUlT_E_NS1_11comp_targetILNS1_3genE9ELNS1_11target_archE1100ELNS1_3gpuE3ELNS1_3repE0EEENS1_30default_config_static_selectorELNS0_4arch9wavefront6targetE0EEEvSL_.has_dyn_sized_stack, 0
	.set _ZN7rocprim17ROCPRIM_400000_NS6detail17trampoline_kernelINS0_14default_configENS1_36segmented_radix_sort_config_selectorI12hip_bfloat16lEEZNS1_25segmented_radix_sort_implIS3_Lb0EPKS5_PS5_PKlPlN2at6native12_GLOBAL__N_18offset_tEEE10hipError_tPvRmT1_PNSt15iterator_traitsISL_E10value_typeET2_T3_PNSM_ISR_E10value_typeET4_jRbjT5_SX_jjP12ihipStream_tbEUlT_E_NS1_11comp_targetILNS1_3genE9ELNS1_11target_archE1100ELNS1_3gpuE3ELNS1_3repE0EEENS1_30default_config_static_selectorELNS0_4arch9wavefront6targetE0EEEvSL_.has_recursion, 0
	.set _ZN7rocprim17ROCPRIM_400000_NS6detail17trampoline_kernelINS0_14default_configENS1_36segmented_radix_sort_config_selectorI12hip_bfloat16lEEZNS1_25segmented_radix_sort_implIS3_Lb0EPKS5_PS5_PKlPlN2at6native12_GLOBAL__N_18offset_tEEE10hipError_tPvRmT1_PNSt15iterator_traitsISL_E10value_typeET2_T3_PNSM_ISR_E10value_typeET4_jRbjT5_SX_jjP12ihipStream_tbEUlT_E_NS1_11comp_targetILNS1_3genE9ELNS1_11target_archE1100ELNS1_3gpuE3ELNS1_3repE0EEENS1_30default_config_static_selectorELNS0_4arch9wavefront6targetE0EEEvSL_.has_indirect_call, 0
	.section	.AMDGPU.csdata,"",@progbits
; Kernel info:
; codeLenInByte = 0
; TotalNumSgprs: 0
; NumVgprs: 0
; ScratchSize: 0
; MemoryBound: 0
; FloatMode: 240
; IeeeMode: 1
; LDSByteSize: 0 bytes/workgroup (compile time only)
; SGPRBlocks: 0
; VGPRBlocks: 0
; NumSGPRsForWavesPerEU: 1
; NumVGPRsForWavesPerEU: 1
; Occupancy: 16
; WaveLimiterHint : 0
; COMPUTE_PGM_RSRC2:SCRATCH_EN: 0
; COMPUTE_PGM_RSRC2:USER_SGPR: 6
; COMPUTE_PGM_RSRC2:TRAP_HANDLER: 0
; COMPUTE_PGM_RSRC2:TGID_X_EN: 1
; COMPUTE_PGM_RSRC2:TGID_Y_EN: 0
; COMPUTE_PGM_RSRC2:TGID_Z_EN: 0
; COMPUTE_PGM_RSRC2:TIDIG_COMP_CNT: 0
	.text
	.p2align	2                               ; -- Begin function _ZN7rocprim17ROCPRIM_400000_NS6detail40segmented_radix_sort_single_block_helperI12hip_bfloat16lLj256ELj8ELb0EE4sortIPKS3_PS3_PKlPlEEbT_T0_T1_T2_jjjjRNS4_12storage_typeE
	.type	_ZN7rocprim17ROCPRIM_400000_NS6detail40segmented_radix_sort_single_block_helperI12hip_bfloat16lLj256ELj8ELb0EE4sortIPKS3_PS3_PKlPlEEbT_T0_T1_T2_jjjjRNS4_12storage_typeE,@function
_ZN7rocprim17ROCPRIM_400000_NS6detail40segmented_radix_sort_single_block_helperI12hip_bfloat16lLj256ELj8ELb0EE4sortIPKS3_PS3_PKlPlEEbT_T0_T1_T2_jjjjRNS4_12storage_typeE: ; @_ZN7rocprim17ROCPRIM_400000_NS6detail40segmented_radix_sort_single_block_helperI12hip_bfloat16lLj256ELj8ELb0EE4sortIPKS3_PS3_PKlPlEEbT_T0_T1_T2_jjjjRNS4_12storage_typeE
; %bb.0:
	s_waitcnt vmcnt(0) expcnt(0) lgkmcnt(0)
	v_sub_nc_u32_e32 v128, v9, v8
	s_mov_b32 s22, exec_lo
	v_cmpx_gt_u32_e32 0x801, v128
	s_cbranch_execz .LBB2047_199
; %bb.1:
	v_bfe_u32 v14, v31, 10, 10
	v_bfe_u32 v15, v31, 20, 10
	v_and_b32_e32 v30, 0x3ff, v31
	v_mbcnt_lo_u32_b32 v66, -1, 0
	s_mov_b32 s4, exec_lo
	v_cmpx_lt_u32_e32 0x400, v128
	s_xor_b32 s23, exec_lo, s4
	s_cbranch_execz .LBB2047_79
; %bb.2:
	s_load_dwordx2 s[4:5], s[8:9], 0x0
	v_mov_b32_e32 v9, 0
	v_lshlrev_b64 v[26:27], 1, v[8:9]
	v_add_co_u32 v18, vcc_lo, v0, v26
	v_add_co_ci_u32_e64 v19, null, v1, v27, vcc_lo
	s_waitcnt lgkmcnt(0)
	s_cmp_lt_u32 s13, s5
	s_cselect_b32 s5, 14, 20
	s_add_u32 s6, s8, s5
	s_addc_u32 s7, s9, 0
	s_cmp_lt_u32 s12, s4
	global_load_ushort v16, v9, s[6:7]
	s_cselect_b32 s4, 12, 18
	s_add_u32 s4, s8, s4
	s_addc_u32 s5, s9, 0
	global_load_ushort v17, v9, s[4:5]
	s_waitcnt vmcnt(1)
	v_mad_u32_u24 v14, v15, v16, v14
	v_mov_b32_e32 v15, v9
	v_mov_b32_e32 v16, 0x7fff
	s_waitcnt vmcnt(0)
	v_mad_u64_u32 v[24:25], null, v14, v17, v[30:31]
	v_lshlrev_b32_e32 v17, 1, v66
	v_add_co_u32 v17, vcc_lo, v18, v17
	v_lshlrev_b32_e32 v14, 3, v24
	v_add_co_ci_u32_e64 v18, null, 0, v19, vcc_lo
	v_and_b32_e32 v14, 0xffffff00, v14
	v_lshlrev_b64 v[0:1], 1, v[14:15]
	v_or_b32_e32 v25, v14, v66
	v_cmp_lt_u32_e32 vcc_lo, v25, v128
	v_add_co_u32 v0, s4, v17, v0
	v_add_co_ci_u32_e64 v1, null, v18, v1, s4
	v_mov_b32_e32 v17, 0x7fff
	s_and_saveexec_b32 s4, vcc_lo
	s_cbranch_execz .LBB2047_4
; %bb.3:
	flat_load_ushort v17, v[0:1]
.LBB2047_4:
	s_or_b32 exec_lo, exec_lo, s4
	v_or_b32_e32 v18, 32, v25
	v_cmp_lt_u32_e64 s4, v18, v128
	s_and_saveexec_b32 s5, s4
	s_cbranch_execz .LBB2047_6
; %bb.5:
	flat_load_ushort v16, v[0:1] offset:64
.LBB2047_6:
	s_or_b32 exec_lo, exec_lo, s5
	v_or_b32_e32 v19, 64, v25
	v_mov_b32_e32 v18, 0x7fff
	v_cmp_lt_u32_e64 s5, v19, v128
	v_mov_b32_e32 v19, 0x7fff
	s_and_saveexec_b32 s6, s5
	s_cbranch_execz .LBB2047_8
; %bb.7:
	flat_load_ushort v19, v[0:1] offset:128
.LBB2047_8:
	s_or_b32 exec_lo, exec_lo, s6
	v_or_b32_e32 v20, 0x60, v25
	v_cmp_lt_u32_e64 s6, v20, v128
	s_and_saveexec_b32 s7, s6
	s_cbranch_execz .LBB2047_10
; %bb.9:
	flat_load_ushort v18, v[0:1] offset:192
.LBB2047_10:
	s_or_b32 exec_lo, exec_lo, s7
	v_or_b32_e32 v21, 0x80, v25
	v_mov_b32_e32 v20, 0x7fff
	v_cmp_lt_u32_e64 s7, v21, v128
	v_mov_b32_e32 v21, 0x7fff
	s_and_saveexec_b32 s10, s7
	s_cbranch_execz .LBB2047_12
; %bb.11:
	flat_load_ushort v21, v[0:1] offset:256
.LBB2047_12:
	;; [unrolled: 18-line block ×3, first 2 shown]
	s_or_b32 exec_lo, exec_lo, s14
	v_or_b32_e32 v25, 0xe0, v25
	v_cmp_lt_u32_e64 s14, v25, v128
	s_and_saveexec_b32 s15, s14
	s_cbranch_execz .LBB2047_18
; %bb.17:
	flat_load_ushort v22, v[0:1] offset:448
.LBB2047_18:
	s_or_b32 exec_lo, exec_lo, s15
	v_lshlrev_b64 v[0:1], 3, v[8:9]
	v_lshlrev_b32_e32 v8, 3, v66
                                        ; implicit-def: $vgpr33_vgpr34
	v_add_co_u32 v9, s15, v4, v0
	v_add_co_ci_u32_e64 v25, null, v5, v1, s15
	v_lshlrev_b64 v[4:5], 3, v[14:15]
	v_add_co_u32 v8, s15, v9, v8
	v_add_co_ci_u32_e64 v9, null, 0, v25, s15
	v_add_co_u32 v4, s15, v8, v4
	v_add_co_ci_u32_e64 v5, null, v9, v5, s15
	s_and_saveexec_b32 s15, vcc_lo
	s_cbranch_execnz .LBB2047_112
; %bb.19:
	s_or_b32 exec_lo, exec_lo, s15
                                        ; implicit-def: $vgpr35_vgpr36
	s_and_saveexec_b32 s15, s4
	s_cbranch_execnz .LBB2047_113
.LBB2047_20:
	s_or_b32 exec_lo, exec_lo, s15
                                        ; implicit-def: $vgpr37_vgpr38
	s_and_saveexec_b32 s4, s5
	s_cbranch_execnz .LBB2047_114
.LBB2047_21:
	s_or_b32 exec_lo, exec_lo, s4
                                        ; implicit-def: $vgpr48_vgpr49
	s_and_saveexec_b32 s4, s6
	s_cbranch_execnz .LBB2047_115
.LBB2047_22:
	s_or_b32 exec_lo, exec_lo, s4
                                        ; implicit-def: $vgpr50_vgpr51
	s_and_saveexec_b32 s4, s7
	s_cbranch_execnz .LBB2047_116
.LBB2047_23:
	s_or_b32 exec_lo, exec_lo, s4
                                        ; implicit-def: $vgpr52_vgpr53
	s_and_saveexec_b32 s4, s10
	s_cbranch_execnz .LBB2047_117
.LBB2047_24:
	s_or_b32 exec_lo, exec_lo, s4
                                        ; implicit-def: $vgpr54_vgpr55
	s_and_saveexec_b32 s4, s11
	s_cbranch_execnz .LBB2047_118
.LBB2047_25:
	s_or_b32 exec_lo, exec_lo, s4
                                        ; implicit-def: $vgpr64_vgpr65
	s_and_saveexec_b32 s4, s14
	s_cbranch_execz .LBB2047_27
.LBB2047_26:
	flat_load_dwordx2 v[64:65], v[4:5] offset:1792
.LBB2047_27:
	s_or_b32 exec_lo, exec_lo, s4
	s_waitcnt vmcnt(0) lgkmcnt(0)
	v_cmp_lt_i16_e32 vcc_lo, -1, v17
	s_getpc_b64 s[4:5]
	s_add_u32 s4, s4, _ZN7rocprim17ROCPRIM_400000_NS16block_radix_sortI12hip_bfloat16Lj256ELj8ElLj1ELj1ELj8ELNS0_26block_radix_rank_algorithmE2ELNS0_18block_padding_hintE2ELNS0_4arch9wavefront6targetE0EE19radix_bits_per_passE@rel32@lo+4
	s_addc_u32 s5, s5, _ZN7rocprim17ROCPRIM_400000_NS16block_radix_sortI12hip_bfloat16Lj256ELj8ElLj1ELj1ELj8ELNS0_26block_radix_rank_algorithmE2ELNS0_18block_padding_hintE2ELNS0_4arch9wavefront6targetE0EE19radix_bits_per_passE@rel32@hi+12
	v_lshrrev_b32_e32 v135, 5, v24
	s_load_dword s24, s[4:5], 0x0
	v_cmp_gt_u32_e64 s14, 8, v30
	v_cndmask_b32_e64 v4, -1, 0xffff8000, vcc_lo
	v_cmp_lt_i16_e32 vcc_lo, -1, v16
	v_cmp_lt_u32_e64 s15, 31, v30
	v_cmp_eq_u32_e64 s16, 0, v30
	v_lshl_add_u32 v147, v30, 2, v12
	v_xor_b32_e32 v183, v4, v17
	v_cndmask_b32_e64 v5, -1, 0xffff8000, vcc_lo
	v_cmp_lt_i16_e32 vcc_lo, -1, v19
	v_sub_nc_u32_e32 v166, v11, v10
	s_mov_b32 s25, 0
	s_waitcnt lgkmcnt(0)
	s_waitcnt_vscnt null, 0x0
	v_xor_b32_e32 v83, v5, v16
	v_cndmask_b32_e64 v8, -1, 0xffff8000, vcc_lo
	v_cmp_lt_i16_e32 vcc_lo, -1, v18
	s_barrier
	buffer_gl0_inv
	v_xor_b32_e32 v85, v8, v19
	v_cndmask_b32_e64 v9, -1, 0xffff8000, vcc_lo
	v_cmp_lt_i16_e32 vcc_lo, -1, v21
	v_xor_b32_e32 v87, v9, v18
	v_cndmask_b32_e64 v14, -1, 0xffff8000, vcc_lo
	v_cmp_lt_i16_e32 vcc_lo, -1, v20
	v_and_b32_e32 v9, 16, v66
	v_xor_b32_e32 v81, v14, v21
	v_cndmask_b32_e64 v4, -1, 0xffff8000, vcc_lo
	v_cmp_lt_i16_e32 vcc_lo, -1, v23
	v_sub_co_u32 v14, s6, v66, 1
	v_cmp_eq_u32_e64 s10, 0, v9
	v_xor_b32_e32 v67, v4, v20
	v_lshl_add_u32 v4, v30, 5, v12
	v_cndmask_b32_e64 v5, -1, 0xffff8000, vcc_lo
	v_cmp_lt_i16_e32 vcc_lo, -1, v22
	v_cmp_gt_i32_e64 s11, 0, v14
	v_add_nc_u32_e32 v25, 32, v4
	v_add_nc_u32_e32 v39, 36, v4
	;; [unrolled: 1-line block ×8, first 2 shown]
	v_and_b32_e32 v4, 0x3e0, v30
	v_cndmask_b32_e64 v8, -1, 0xffff8000, vcc_lo
	v_xor_b32_e32 v71, v5, v23
	v_lshlrev_b32_e32 v5, 3, v30
	v_cndmask_b32_e64 v9, v14, v66, s11
	v_min_u32_e32 v4, 0xe0, v4
	v_xor_b32_e32 v69, v8, v22
	v_and_b32_e32 v8, 15, v66
	v_lshlrev_b32_e32 v144, 2, v9
	v_or_b32_e32 v4, 31, v4
	v_cmp_eq_u32_e32 vcc_lo, 0, v8
	v_cmp_lt_u32_e64 s4, 1, v8
	v_cmp_lt_u32_e64 s5, 3, v8
	v_cmp_eq_u32_e64 s11, v30, v4
	v_and_or_b32 v4, 0x1f00, v5, v66
	v_cmp_lt_u32_e64 s7, 7, v8
	v_lshrrev_b32_e32 v8, 3, v30
	v_lshl_add_u32 v145, v4, 1, v12
	v_mul_u32_u24_e32 v4, 6, v4
	v_and_b32_e32 v5, 0x7c, v8
	v_and_b32_e32 v8, 7, v66
	v_add_nc_u32_e32 v149, 0x180, v145
	v_add_nc_u32_e32 v148, v145, v4
	;; [unrolled: 1-line block ×3, first 2 shown]
	v_mov_b32_e32 v5, 0
	v_cmp_eq_u32_e64 s17, 0, v8
	v_cmp_lt_u32_e64 s18, 1, v8
	v_cmp_lt_u32_e64 s19, 3, v8
	v_add_nc_u32_e32 v150, 0x1c0, v145
	v_add_nc_u32_e32 v151, 0x100, v148
	;; [unrolled: 1-line block ×8, first 2 shown]
	s_branch .LBB2047_29
.LBB2047_28:                            ;   in Loop: Header=BB2047_29 Depth=1
	s_or_b32 exec_lo, exec_lo, s21
	s_and_b32 s20, exec_lo, s26
	s_or_b32 s25, s20, s25
	s_andn2_b32 exec_lo, exec_lo, s25
	s_cbranch_execz .LBB2047_53
.LBB2047_29:                            ; =>This Inner Loop Header: Depth=1
	v_mov_b32_e32 v167, v183
	v_min_u32_e32 v4, s24, v166
	v_mov_b32_e32 v28, v35
	v_mov_b32_e32 v29, v36
	;; [unrolled: 1-line block ×3, first 2 shown]
	v_cmp_ne_u16_e64 s20, 0x7fff, v167
	v_lshlrev_b32_e64 v4, v4, -1
	v_mov_b32_e32 v32, v34
	v_mov_b32_e32 v22, v37
	;; [unrolled: 1-line block ×3, first 2 shown]
	v_cndmask_b32_e64 v8, 0xffff8000, v167, s20
	v_not_b32_e32 v36, v4
	v_mov_b32_e32 v18, v50
	v_mov_b32_e32 v19, v51
	;; [unrolled: 1-line block ×3, first 2 shown]
	v_lshrrev_b32_sdwa v4, v10, v8 dst_sel:DWORD dst_unused:UNUSED_PAD src0_sel:DWORD src1_sel:WORD_0
	v_mov_b32_e32 v21, v49
	v_mov_b32_e32 v16, v52
	v_mov_b32_e32 v14, v54
	v_mov_b32_e32 v8, v64
	v_and_b32_e32 v4, v4, v36
	v_mov_b32_e32 v17, v53
	v_mov_b32_e32 v15, v55
	;; [unrolled: 1-line block ×4, first 2 shown]
	v_and_b32_e32 v33, 1, v4
	v_lshlrev_b32_e32 v34, 30, v4
	v_lshlrev_b32_e32 v35, 29, v4
	;; [unrolled: 1-line block ×4, first 2 shown]
	v_add_co_u32 v33, s20, v33, -1
	v_cndmask_b32_e64 v37, 0, 1, s20
	v_not_b32_e32 v50, v34
	v_cmp_gt_i32_e64 s21, 0, v34
	v_not_b32_e32 v34, v35
	v_lshlrev_b32_e32 v49, 26, v4
	v_cmp_ne_u32_e64 s20, 0, v37
	v_ashrrev_i32_e32 v50, 31, v50
	v_lshlrev_b32_e32 v37, 25, v4
	v_ashrrev_i32_e32 v34, 31, v34
	v_mov_b32_e32 v177, v85
	v_xor_b32_e32 v33, s20, v33
	v_cmp_gt_i32_e64 s20, 0, v35
	v_not_b32_e32 v35, v38
	v_xor_b32_e32 v50, s21, v50
	v_cmp_gt_i32_e64 s21, 0, v38
	v_and_b32_e32 v33, exec_lo, v33
	v_not_b32_e32 v38, v48
	v_ashrrev_i32_e32 v35, 31, v35
	v_xor_b32_e32 v34, s20, v34
	v_cmp_gt_i32_e64 s20, 0, v48
	v_and_b32_e32 v33, v33, v50
	v_not_b32_e32 v48, v49
	v_ashrrev_i32_e32 v38, 31, v38
	v_xor_b32_e32 v35, s21, v35
	v_cmp_gt_i32_e64 s21, 0, v49
	v_and_b32_e32 v33, v33, v34
	;; [unrolled: 5-line block ×3, first 2 shown]
	v_lshlrev_b32_e32 v35, 24, v4
	v_ashrrev_i32_e32 v34, 31, v34
	v_xor_b32_e32 v37, s21, v48
	v_lshlrev_b32_e32 v4, 3, v4
	v_and_b32_e32 v33, v33, v38
	v_not_b32_e32 v38, v35
	v_xor_b32_e32 v34, s20, v34
	v_cmp_gt_i32_e64 s20, 0, v35
	v_mov_b32_e32 v176, v87
	v_and_b32_e32 v33, v33, v37
	v_ashrrev_i32_e32 v35, 31, v38
	v_mov_b32_e32 v179, v81
	v_mov_b32_e32 v180, v67
	;; [unrolled: 1-line block ×3, first 2 shown]
	v_and_b32_e32 v33, v33, v34
	v_xor_b32_e32 v34, s20, v35
	v_mov_b32_e32 v182, v69
	ds_write_b32 v25, v5
	ds_write_b32 v39, v5
	;; [unrolled: 1-line block ×5, first 2 shown]
	v_and_b32_e32 v34, v33, v34
	v_add_lshl_u32 v33, v4, v135, 2
	ds_write_b32 v132, v5
	ds_write_b32 v133, v5
	;; [unrolled: 1-line block ×3, first 2 shown]
	s_waitcnt lgkmcnt(0)
	v_mbcnt_lo_u32_b32 v4, v34, 0
	v_add_co_u32 v33, null, v12, v33
	v_cmp_ne_u32_e64 s21, 0, v34
	s_barrier
	v_cmp_eq_u32_e64 s20, 0, v4
	v_add_co_u32 v33, null, v33, 32
	buffer_gl0_inv
	s_and_b32 s21, s21, s20
	; wave barrier
	s_and_saveexec_b32 s20, s21
; %bb.30:                               ;   in Loop: Header=BB2047_29 Depth=1
	v_bcnt_u32_b32 v34, v34, 0
	ds_write_b32 v33, v34
; %bb.31:                               ;   in Loop: Header=BB2047_29 Depth=1
	s_or_b32 exec_lo, exec_lo, s20
	v_cmp_ne_u16_e64 s20, 0x7fff, v178
	; wave barrier
	v_cndmask_b32_e64 v34, 0xffff8000, v178, s20
	v_lshrrev_b32_sdwa v34, v10, v34 dst_sel:DWORD dst_unused:UNUSED_PAD src0_sel:DWORD src1_sel:WORD_0
	v_and_b32_e32 v34, v34, v36
	v_and_b32_e32 v35, 1, v34
	v_lshlrev_b32_e32 v37, 30, v34
	v_lshlrev_b32_e32 v38, 29, v34
	;; [unrolled: 1-line block ×4, first 2 shown]
	v_add_co_u32 v35, s20, v35, -1
	v_cndmask_b32_e64 v49, 0, 1, s20
	v_not_b32_e32 v53, v37
	v_cmp_gt_i32_e64 s21, 0, v37
	v_not_b32_e32 v37, v38
	v_lshlrev_b32_e32 v51, 26, v34
	v_cmp_ne_u32_e64 s20, 0, v49
	v_ashrrev_i32_e32 v53, 31, v53
	v_lshlrev_b32_e32 v52, 25, v34
	v_ashrrev_i32_e32 v37, 31, v37
	v_lshlrev_b32_e32 v49, 24, v34
	v_xor_b32_e32 v35, s20, v35
	v_cmp_gt_i32_e64 s20, 0, v38
	v_not_b32_e32 v38, v48
	v_xor_b32_e32 v53, s21, v53
	v_cmp_gt_i32_e64 s21, 0, v48
	v_and_b32_e32 v35, exec_lo, v35
	v_not_b32_e32 v48, v50
	v_ashrrev_i32_e32 v38, 31, v38
	v_xor_b32_e32 v37, s20, v37
	v_cmp_gt_i32_e64 s20, 0, v50
	v_and_b32_e32 v35, v35, v53
	v_not_b32_e32 v50, v51
	v_ashrrev_i32_e32 v48, 31, v48
	v_xor_b32_e32 v38, s21, v38
	v_cmp_gt_i32_e64 s21, 0, v51
	v_and_b32_e32 v35, v35, v37
	v_not_b32_e32 v37, v52
	v_ashrrev_i32_e32 v50, 31, v50
	v_xor_b32_e32 v48, s20, v48
	v_cmp_gt_i32_e64 s20, 0, v52
	v_and_b32_e32 v35, v35, v38
	v_not_b32_e32 v38, v49
	v_ashrrev_i32_e32 v37, 31, v37
	v_xor_b32_e32 v50, s21, v50
	v_lshl_add_u32 v34, v34, 3, v135
	v_and_b32_e32 v35, v35, v48
	v_cmp_gt_i32_e64 s21, 0, v49
	v_ashrrev_i32_e32 v38, 31, v38
	v_xor_b32_e32 v37, s20, v37
	v_lshl_add_u32 v48, v34, 2, v12
	v_and_b32_e32 v35, v35, v50
	v_xor_b32_e32 v38, s21, v38
	ds_read_b32 v34, v48 offset:32
	v_and_b32_e32 v35, v35, v37
	v_add_nc_u32_e32 v37, 32, v48
	; wave barrier
	v_and_b32_e32 v38, v35, v38
	v_mbcnt_lo_u32_b32 v35, v38, 0
	v_cmp_ne_u32_e64 s21, 0, v38
	v_cmp_eq_u32_e64 s20, 0, v35
	s_and_b32 s21, s21, s20
	s_and_saveexec_b32 s20, s21
	s_cbranch_execz .LBB2047_33
; %bb.32:                               ;   in Loop: Header=BB2047_29 Depth=1
	s_waitcnt lgkmcnt(0)
	v_bcnt_u32_b32 v38, v38, v34
	ds_write_b32 v37, v38
.LBB2047_33:                            ;   in Loop: Header=BB2047_29 Depth=1
	s_or_b32 exec_lo, exec_lo, s20
	v_cmp_ne_u16_e64 s20, 0x7fff, v177
	; wave barrier
	v_cndmask_b32_e64 v38, 0xffff8000, v177, s20
	v_lshrrev_b32_sdwa v38, v10, v38 dst_sel:DWORD dst_unused:UNUSED_PAD src0_sel:DWORD src1_sel:WORD_0
	v_and_b32_e32 v38, v38, v36
	v_and_b32_e32 v48, 1, v38
	v_lshlrev_b32_e32 v49, 30, v38
	v_lshlrev_b32_e32 v50, 29, v38
	;; [unrolled: 1-line block ×4, first 2 shown]
	v_add_co_u32 v48, s20, v48, -1
	v_cndmask_b32_e64 v52, 0, 1, s20
	v_not_b32_e32 v64, v49
	v_cmp_gt_i32_e64 s21, 0, v49
	v_not_b32_e32 v49, v50
	v_lshlrev_b32_e32 v54, 26, v38
	v_cmp_ne_u32_e64 s20, 0, v52
	v_ashrrev_i32_e32 v64, 31, v64
	v_lshlrev_b32_e32 v55, 25, v38
	v_ashrrev_i32_e32 v49, 31, v49
	v_lshlrev_b32_e32 v52, 24, v38
	v_xor_b32_e32 v48, s20, v48
	v_cmp_gt_i32_e64 s20, 0, v50
	v_not_b32_e32 v50, v51
	v_xor_b32_e32 v64, s21, v64
	v_cmp_gt_i32_e64 s21, 0, v51
	v_and_b32_e32 v48, exec_lo, v48
	v_not_b32_e32 v51, v53
	v_ashrrev_i32_e32 v50, 31, v50
	v_xor_b32_e32 v49, s20, v49
	v_cmp_gt_i32_e64 s20, 0, v53
	v_and_b32_e32 v48, v48, v64
	v_not_b32_e32 v53, v54
	v_ashrrev_i32_e32 v51, 31, v51
	v_xor_b32_e32 v50, s21, v50
	v_cmp_gt_i32_e64 s21, 0, v54
	v_and_b32_e32 v48, v48, v49
	;; [unrolled: 5-line block ×3, first 2 shown]
	v_not_b32_e32 v50, v52
	v_ashrrev_i32_e32 v49, 31, v49
	v_xor_b32_e32 v53, s21, v53
	v_lshl_add_u32 v38, v38, 3, v135
	v_and_b32_e32 v48, v48, v51
	v_cmp_gt_i32_e64 s21, 0, v52
	v_ashrrev_i32_e32 v50, 31, v50
	v_xor_b32_e32 v49, s20, v49
	v_lshl_add_u32 v51, v38, 2, v12
	v_and_b32_e32 v48, v48, v53
	v_xor_b32_e32 v50, s21, v50
	ds_read_b32 v38, v51 offset:32
	v_and_b32_e32 v48, v48, v49
	v_add_nc_u32_e32 v49, 32, v51
	; wave barrier
	v_and_b32_e32 v50, v48, v50
	v_mbcnt_lo_u32_b32 v48, v50, 0
	v_cmp_ne_u32_e64 s21, 0, v50
	v_cmp_eq_u32_e64 s20, 0, v48
	s_and_b32 s21, s21, s20
	s_and_saveexec_b32 s20, s21
	s_cbranch_execz .LBB2047_35
; %bb.34:                               ;   in Loop: Header=BB2047_29 Depth=1
	s_waitcnt lgkmcnt(0)
	v_bcnt_u32_b32 v50, v50, v38
	ds_write_b32 v49, v50
.LBB2047_35:                            ;   in Loop: Header=BB2047_29 Depth=1
	s_or_b32 exec_lo, exec_lo, s20
	v_cmp_ne_u16_e64 s20, 0x7fff, v176
	; wave barrier
	v_cndmask_b32_e64 v50, 0xffff8000, v176, s20
	v_lshrrev_b32_sdwa v50, v10, v50 dst_sel:DWORD dst_unused:UNUSED_PAD src0_sel:DWORD src1_sel:WORD_0
	v_and_b32_e32 v50, v50, v36
	v_and_b32_e32 v51, 1, v50
	v_lshlrev_b32_e32 v52, 30, v50
	v_lshlrev_b32_e32 v53, 29, v50
	v_lshlrev_b32_e32 v54, 28, v50
	v_lshlrev_b32_e32 v64, 27, v50
	v_add_co_u32 v51, s20, v51, -1
	v_cndmask_b32_e64 v55, 0, 1, s20
	v_not_b32_e32 v67, v52
	v_cmp_gt_i32_e64 s21, 0, v52
	v_not_b32_e32 v52, v53
	v_lshlrev_b32_e32 v65, 26, v50
	v_cmp_ne_u32_e64 s20, 0, v55
	v_ashrrev_i32_e32 v67, 31, v67
	v_lshlrev_b32_e32 v66, 25, v50
	v_ashrrev_i32_e32 v52, 31, v52
	v_lshlrev_b32_e32 v55, 24, v50
	v_xor_b32_e32 v51, s20, v51
	v_cmp_gt_i32_e64 s20, 0, v53
	v_not_b32_e32 v53, v54
	v_xor_b32_e32 v67, s21, v67
	v_cmp_gt_i32_e64 s21, 0, v54
	v_and_b32_e32 v51, exec_lo, v51
	v_not_b32_e32 v54, v64
	v_ashrrev_i32_e32 v53, 31, v53
	v_xor_b32_e32 v52, s20, v52
	v_cmp_gt_i32_e64 s20, 0, v64
	v_and_b32_e32 v51, v51, v67
	v_not_b32_e32 v64, v65
	v_ashrrev_i32_e32 v54, 31, v54
	v_xor_b32_e32 v53, s21, v53
	v_cmp_gt_i32_e64 s21, 0, v65
	v_and_b32_e32 v51, v51, v52
	;; [unrolled: 5-line block ×3, first 2 shown]
	v_not_b32_e32 v53, v55
	v_ashrrev_i32_e32 v52, 31, v52
	v_xor_b32_e32 v64, s21, v64
	v_lshl_add_u32 v50, v50, 3, v135
	v_and_b32_e32 v51, v51, v54
	v_cmp_gt_i32_e64 s21, 0, v55
	v_ashrrev_i32_e32 v53, 31, v53
	v_xor_b32_e32 v52, s20, v52
	v_lshl_add_u32 v54, v50, 2, v12
	v_and_b32_e32 v51, v51, v64
	v_xor_b32_e32 v53, s21, v53
	ds_read_b32 v50, v54 offset:32
	v_and_b32_e32 v51, v51, v52
	v_add_nc_u32_e32 v52, 32, v54
	; wave barrier
	v_and_b32_e32 v53, v51, v53
	v_mbcnt_lo_u32_b32 v51, v53, 0
	v_cmp_ne_u32_e64 s21, 0, v53
	v_cmp_eq_u32_e64 s20, 0, v51
	s_and_b32 s21, s21, s20
	s_and_saveexec_b32 s20, s21
	s_cbranch_execz .LBB2047_37
; %bb.36:                               ;   in Loop: Header=BB2047_29 Depth=1
	s_waitcnt lgkmcnt(0)
	v_bcnt_u32_b32 v53, v53, v50
	ds_write_b32 v52, v53
.LBB2047_37:                            ;   in Loop: Header=BB2047_29 Depth=1
	s_or_b32 exec_lo, exec_lo, s20
	v_cmp_ne_u16_e64 s20, 0x7fff, v179
	; wave barrier
	v_cndmask_b32_e64 v53, 0xffff8000, v179, s20
	v_lshrrev_b32_sdwa v53, v10, v53 dst_sel:DWORD dst_unused:UNUSED_PAD src0_sel:DWORD src1_sel:WORD_0
	v_and_b32_e32 v53, v53, v36
	v_and_b32_e32 v54, 1, v53
	v_lshlrev_b32_e32 v55, 30, v53
	v_lshlrev_b32_e32 v64, 29, v53
	;; [unrolled: 1-line block ×4, first 2 shown]
	v_add_co_u32 v54, s20, v54, -1
	v_cndmask_b32_e64 v66, 0, 1, s20
	v_not_b32_e32 v70, v55
	v_cmp_gt_i32_e64 s21, 0, v55
	v_not_b32_e32 v55, v64
	v_lshlrev_b32_e32 v68, 26, v53
	v_cmp_ne_u32_e64 s20, 0, v66
	v_ashrrev_i32_e32 v70, 31, v70
	v_lshlrev_b32_e32 v69, 25, v53
	v_ashrrev_i32_e32 v55, 31, v55
	v_lshlrev_b32_e32 v66, 24, v53
	v_xor_b32_e32 v54, s20, v54
	v_cmp_gt_i32_e64 s20, 0, v64
	v_not_b32_e32 v64, v65
	v_xor_b32_e32 v70, s21, v70
	v_cmp_gt_i32_e64 s21, 0, v65
	v_and_b32_e32 v54, exec_lo, v54
	v_not_b32_e32 v65, v67
	v_ashrrev_i32_e32 v64, 31, v64
	v_xor_b32_e32 v55, s20, v55
	v_cmp_gt_i32_e64 s20, 0, v67
	v_and_b32_e32 v54, v54, v70
	v_not_b32_e32 v67, v68
	v_ashrrev_i32_e32 v65, 31, v65
	v_xor_b32_e32 v64, s21, v64
	v_cmp_gt_i32_e64 s21, 0, v68
	v_and_b32_e32 v54, v54, v55
	;; [unrolled: 5-line block ×3, first 2 shown]
	v_not_b32_e32 v64, v66
	v_ashrrev_i32_e32 v55, 31, v55
	v_xor_b32_e32 v67, s21, v67
	v_lshl_add_u32 v53, v53, 3, v135
	v_and_b32_e32 v54, v54, v65
	v_cmp_gt_i32_e64 s21, 0, v66
	v_ashrrev_i32_e32 v64, 31, v64
	v_xor_b32_e32 v55, s20, v55
	v_lshl_add_u32 v65, v53, 2, v12
	v_and_b32_e32 v54, v54, v67
	v_xor_b32_e32 v64, s21, v64
	ds_read_b32 v53, v65 offset:32
	v_and_b32_e32 v54, v54, v55
	v_add_nc_u32_e32 v55, 32, v65
	; wave barrier
	v_and_b32_e32 v64, v54, v64
	v_mbcnt_lo_u32_b32 v54, v64, 0
	v_cmp_ne_u32_e64 s21, 0, v64
	v_cmp_eq_u32_e64 s20, 0, v54
	s_and_b32 s21, s21, s20
	s_and_saveexec_b32 s20, s21
	s_cbranch_execz .LBB2047_39
; %bb.38:                               ;   in Loop: Header=BB2047_29 Depth=1
	s_waitcnt lgkmcnt(0)
	v_bcnt_u32_b32 v64, v64, v53
	ds_write_b32 v55, v64
.LBB2047_39:                            ;   in Loop: Header=BB2047_29 Depth=1
	s_or_b32 exec_lo, exec_lo, s20
	v_cmp_ne_u16_e64 s20, 0x7fff, v180
	; wave barrier
	v_cndmask_b32_e64 v64, 0xffff8000, v180, s20
	v_lshrrev_b32_sdwa v64, v10, v64 dst_sel:DWORD dst_unused:UNUSED_PAD src0_sel:DWORD src1_sel:WORD_0
	v_and_b32_e32 v64, v64, v36
	v_and_b32_e32 v65, 1, v64
	v_lshlrev_b32_e32 v66, 30, v64
	v_lshlrev_b32_e32 v67, 29, v64
	v_lshlrev_b32_e32 v68, 28, v64
	v_lshlrev_b32_e32 v70, 27, v64
	v_add_co_u32 v65, s20, v65, -1
	v_cndmask_b32_e64 v69, 0, 1, s20
	v_not_b32_e32 v81, v66
	v_cmp_gt_i32_e64 s21, 0, v66
	v_not_b32_e32 v66, v67
	v_lshlrev_b32_e32 v71, 26, v64
	v_cmp_ne_u32_e64 s20, 0, v69
	v_ashrrev_i32_e32 v81, 31, v81
	v_lshlrev_b32_e32 v80, 25, v64
	v_ashrrev_i32_e32 v66, 31, v66
	v_lshlrev_b32_e32 v69, 24, v64
	v_xor_b32_e32 v65, s20, v65
	v_cmp_gt_i32_e64 s20, 0, v67
	v_not_b32_e32 v67, v68
	v_xor_b32_e32 v81, s21, v81
	v_cmp_gt_i32_e64 s21, 0, v68
	v_and_b32_e32 v65, exec_lo, v65
	v_not_b32_e32 v68, v70
	v_ashrrev_i32_e32 v67, 31, v67
	v_xor_b32_e32 v66, s20, v66
	v_cmp_gt_i32_e64 s20, 0, v70
	v_and_b32_e32 v65, v65, v81
	v_not_b32_e32 v70, v71
	v_ashrrev_i32_e32 v68, 31, v68
	v_xor_b32_e32 v67, s21, v67
	v_cmp_gt_i32_e64 s21, 0, v71
	v_and_b32_e32 v65, v65, v66
	;; [unrolled: 5-line block ×3, first 2 shown]
	v_not_b32_e32 v67, v69
	v_ashrrev_i32_e32 v66, 31, v66
	v_xor_b32_e32 v70, s21, v70
	v_lshl_add_u32 v64, v64, 3, v135
	v_and_b32_e32 v65, v65, v68
	v_cmp_gt_i32_e64 s21, 0, v69
	v_ashrrev_i32_e32 v67, 31, v67
	v_xor_b32_e32 v66, s20, v66
	v_lshl_add_u32 v68, v64, 2, v12
	v_and_b32_e32 v65, v65, v70
	v_xor_b32_e32 v67, s21, v67
	ds_read_b32 v64, v68 offset:32
	v_and_b32_e32 v65, v65, v66
	v_add_nc_u32_e32 v66, 32, v68
	; wave barrier
	v_and_b32_e32 v67, v65, v67
	v_mbcnt_lo_u32_b32 v65, v67, 0
	v_cmp_ne_u32_e64 s21, 0, v67
	v_cmp_eq_u32_e64 s20, 0, v65
	s_and_b32 s21, s21, s20
	s_and_saveexec_b32 s20, s21
	s_cbranch_execz .LBB2047_41
; %bb.40:                               ;   in Loop: Header=BB2047_29 Depth=1
	s_waitcnt lgkmcnt(0)
	v_bcnt_u32_b32 v67, v67, v64
	ds_write_b32 v66, v67
.LBB2047_41:                            ;   in Loop: Header=BB2047_29 Depth=1
	s_or_b32 exec_lo, exec_lo, s20
	v_cmp_ne_u16_e64 s20, 0x7fff, v181
	; wave barrier
	v_cndmask_b32_e64 v67, 0xffff8000, v181, s20
	v_lshrrev_b32_sdwa v67, v10, v67 dst_sel:DWORD dst_unused:UNUSED_PAD src0_sel:DWORD src1_sel:WORD_0
	v_and_b32_e32 v67, v67, v36
	v_and_b32_e32 v68, 1, v67
	v_lshlrev_b32_e32 v69, 30, v67
	v_lshlrev_b32_e32 v70, 29, v67
	v_lshlrev_b32_e32 v71, 28, v67
	v_lshlrev_b32_e32 v81, 27, v67
	v_add_co_u32 v68, s20, v68, -1
	v_cndmask_b32_e64 v80, 0, 1, s20
	v_not_b32_e32 v84, v69
	v_cmp_gt_i32_e64 s21, 0, v69
	v_not_b32_e32 v69, v70
	v_lshlrev_b32_e32 v82, 26, v67
	v_cmp_ne_u32_e64 s20, 0, v80
	v_ashrrev_i32_e32 v84, 31, v84
	v_lshlrev_b32_e32 v83, 25, v67
	v_ashrrev_i32_e32 v69, 31, v69
	v_lshlrev_b32_e32 v80, 24, v67
	v_xor_b32_e32 v68, s20, v68
	v_cmp_gt_i32_e64 s20, 0, v70
	v_not_b32_e32 v70, v71
	v_xor_b32_e32 v84, s21, v84
	v_cmp_gt_i32_e64 s21, 0, v71
	v_and_b32_e32 v68, exec_lo, v68
	v_not_b32_e32 v71, v81
	v_ashrrev_i32_e32 v70, 31, v70
	v_xor_b32_e32 v69, s20, v69
	v_cmp_gt_i32_e64 s20, 0, v81
	v_and_b32_e32 v68, v68, v84
	v_not_b32_e32 v81, v82
	v_ashrrev_i32_e32 v71, 31, v71
	v_xor_b32_e32 v70, s21, v70
	v_cmp_gt_i32_e64 s21, 0, v82
	v_and_b32_e32 v68, v68, v69
	;; [unrolled: 5-line block ×3, first 2 shown]
	v_not_b32_e32 v70, v80
	v_ashrrev_i32_e32 v69, 31, v69
	v_xor_b32_e32 v81, s21, v81
	v_lshl_add_u32 v67, v67, 3, v135
	v_and_b32_e32 v68, v68, v71
	v_cmp_gt_i32_e64 s21, 0, v80
	v_ashrrev_i32_e32 v70, 31, v70
	v_xor_b32_e32 v69, s20, v69
	v_lshl_add_u32 v67, v67, 2, v12
	v_and_b32_e32 v68, v68, v81
	v_xor_b32_e32 v70, s21, v70
	ds_read_b32 v84, v67 offset:32
	v_and_b32_e32 v68, v68, v69
	v_add_nc_u32_e32 v67, 32, v67
	; wave barrier
	v_and_b32_e32 v68, v68, v70
	v_mbcnt_lo_u32_b32 v86, v68, 0
	v_cmp_ne_u32_e64 s21, 0, v68
	v_cmp_eq_u32_e64 s20, 0, v86
	s_and_b32 s21, s21, s20
	s_and_saveexec_b32 s20, s21
	s_cbranch_execz .LBB2047_43
; %bb.42:                               ;   in Loop: Header=BB2047_29 Depth=1
	s_waitcnt lgkmcnt(0)
	v_bcnt_u32_b32 v68, v68, v84
	ds_write_b32 v67, v68
.LBB2047_43:                            ;   in Loop: Header=BB2047_29 Depth=1
	s_or_b32 exec_lo, exec_lo, s20
	v_cmp_ne_u16_e64 s20, 0x7fff, v182
	; wave barrier
	v_cndmask_b32_e64 v68, 0xffff8000, v182, s20
	v_lshrrev_b32_sdwa v68, v10, v68 dst_sel:DWORD dst_unused:UNUSED_PAD src0_sel:DWORD src1_sel:WORD_0
	v_and_b32_e32 v36, v68, v36
	v_and_b32_e32 v68, 1, v36
	v_lshlrev_b32_e32 v69, 30, v36
	v_lshlrev_b32_e32 v70, 29, v36
	;; [unrolled: 1-line block ×4, first 2 shown]
	v_add_co_u32 v68, s20, v68, -1
	v_cndmask_b32_e64 v80, 0, 1, s20
	v_not_b32_e32 v85, v69
	v_cmp_gt_i32_e64 s21, 0, v69
	v_not_b32_e32 v69, v70
	v_lshlrev_b32_e32 v82, 26, v36
	v_cmp_ne_u32_e64 s20, 0, v80
	v_ashrrev_i32_e32 v85, 31, v85
	v_lshlrev_b32_e32 v83, 25, v36
	v_ashrrev_i32_e32 v69, 31, v69
	v_lshlrev_b32_e32 v80, 24, v36
	v_xor_b32_e32 v68, s20, v68
	v_cmp_gt_i32_e64 s20, 0, v70
	v_not_b32_e32 v70, v71
	v_xor_b32_e32 v85, s21, v85
	v_cmp_gt_i32_e64 s21, 0, v71
	v_and_b32_e32 v68, exec_lo, v68
	v_not_b32_e32 v71, v81
	v_ashrrev_i32_e32 v70, 31, v70
	v_xor_b32_e32 v69, s20, v69
	v_cmp_gt_i32_e64 s20, 0, v81
	v_and_b32_e32 v68, v68, v85
	v_not_b32_e32 v81, v82
	v_ashrrev_i32_e32 v71, 31, v71
	v_xor_b32_e32 v70, s21, v70
	v_cmp_gt_i32_e64 s21, 0, v82
	v_and_b32_e32 v68, v68, v69
	;; [unrolled: 5-line block ×3, first 2 shown]
	v_not_b32_e32 v70, v80
	v_ashrrev_i32_e32 v69, 31, v69
	v_xor_b32_e32 v81, s21, v81
	v_lshl_add_u32 v36, v36, 3, v135
	v_and_b32_e32 v68, v68, v71
	v_cmp_gt_i32_e64 s21, 0, v80
	v_ashrrev_i32_e32 v70, 31, v70
	v_xor_b32_e32 v69, s20, v69
	v_lshl_add_u32 v71, v36, 2, v12
	v_and_b32_e32 v68, v68, v81
	v_xor_b32_e32 v70, s21, v70
	ds_read_b32 v36, v71 offset:32
	v_and_b32_e32 v68, v68, v69
	; wave barrier
	v_and_b32_e32 v69, v68, v70
	v_add_nc_u32_e32 v68, 32, v71
	v_mbcnt_lo_u32_b32 v96, v69, 0
	v_cmp_ne_u32_e64 s21, 0, v69
	v_cmp_eq_u32_e64 s20, 0, v96
	s_and_b32 s21, s21, s20
	s_and_saveexec_b32 s20, s21
	s_cbranch_execz .LBB2047_45
; %bb.44:                               ;   in Loop: Header=BB2047_29 Depth=1
	s_waitcnt lgkmcnt(0)
	v_bcnt_u32_b32 v69, v69, v36
	ds_write_b32 v68, v69
.LBB2047_45:                            ;   in Loop: Header=BB2047_29 Depth=1
	s_or_b32 exec_lo, exec_lo, s20
	; wave barrier
	s_waitcnt lgkmcnt(0)
	s_barrier
	buffer_gl0_inv
	ds_read_b32 v70, v25
	ds_read_b32 v71, v39
	;; [unrolled: 1-line block ×8, first 2 shown]
	s_waitcnt lgkmcnt(6)
	v_add_nc_u32_e32 v87, v71, v70
	s_waitcnt lgkmcnt(4)
	v_add3_u32 v87, v87, v80, v81
	s_waitcnt lgkmcnt(2)
	v_add3_u32 v87, v87, v82, v83
	;; [unrolled: 2-line block ×3, first 2 shown]
	v_mov_b32_dpp v87, v85 row_shr:1 row_mask:0xf bank_mask:0xf
	v_cndmask_b32_e64 v87, v87, 0, vcc_lo
	v_add_nc_u32_e32 v85, v87, v85
	v_mov_b32_dpp v87, v85 row_shr:2 row_mask:0xf bank_mask:0xf
	v_cndmask_b32_e64 v87, 0, v87, s4
	v_add_nc_u32_e32 v85, v85, v87
	v_mov_b32_dpp v87, v85 row_shr:4 row_mask:0xf bank_mask:0xf
	v_cndmask_b32_e64 v87, 0, v87, s5
	;; [unrolled: 3-line block ×3, first 2 shown]
	v_add_nc_u32_e32 v85, v85, v87
	ds_swizzle_b32 v87, v85 offset:swizzle(BROADCAST,32,15)
	s_waitcnt lgkmcnt(0)
	v_cndmask_b32_e64 v87, v87, 0, s10
	v_add_nc_u32_e32 v85, v85, v87
	s_and_saveexec_b32 s20, s11
; %bb.46:                               ;   in Loop: Header=BB2047_29 Depth=1
	ds_write_b32 v146, v85
; %bb.47:                               ;   in Loop: Header=BB2047_29 Depth=1
	s_or_b32 exec_lo, exec_lo, s20
	s_waitcnt lgkmcnt(0)
	s_barrier
	buffer_gl0_inv
	s_and_saveexec_b32 s20, s14
	s_cbranch_execz .LBB2047_49
; %bb.48:                               ;   in Loop: Header=BB2047_29 Depth=1
	ds_read_b32 v87, v147
	s_waitcnt lgkmcnt(0)
	v_mov_b32_dpp v97, v87 row_shr:1 row_mask:0xf bank_mask:0xf
	v_cndmask_b32_e64 v97, v97, 0, s17
	v_add_nc_u32_e32 v87, v97, v87
	v_mov_b32_dpp v97, v87 row_shr:2 row_mask:0xf bank_mask:0xf
	v_cndmask_b32_e64 v97, 0, v97, s18
	v_add_nc_u32_e32 v87, v87, v97
	;; [unrolled: 3-line block ×3, first 2 shown]
	ds_write_b32 v147, v87
.LBB2047_49:                            ;   in Loop: Header=BB2047_29 Depth=1
	s_or_b32 exec_lo, exec_lo, s20
	v_mov_b32_e32 v87, 0
	s_waitcnt lgkmcnt(0)
	s_barrier
	buffer_gl0_inv
	s_and_saveexec_b32 s20, s15
; %bb.50:                               ;   in Loop: Header=BB2047_29 Depth=1
	v_add_nc_u32_e32 v87, -4, v146
	ds_read_b32 v87, v87
; %bb.51:                               ;   in Loop: Header=BB2047_29 Depth=1
	s_or_b32 exec_lo, exec_lo, s20
	s_waitcnt lgkmcnt(0)
	v_add_nc_u32_e32 v85, v87, v85
	v_add_nc_u32_e32 v10, 8, v10
	s_mov_b32 s26, -1
                                        ; implicit-def: $vgpr183
	ds_bpermute_b32 v85, v144, v85
	v_cmp_lt_u32_e64 s20, v10, v11
	s_waitcnt lgkmcnt(0)
	v_cndmask_b32_e64 v85, v85, v87, s6
	v_mov_b32_e32 v87, v5
	v_cndmask_b32_e64 v85, v85, 0, s16
	v_add_nc_u32_e32 v70, v85, v70
	v_add_nc_u32_e32 v71, v70, v71
	ds_write_b32 v25, v85
	ds_write_b32 v39, v70
	;; [unrolled: 1-line block ×3, first 2 shown]
	v_mov_b32_e32 v85, v5
	v_add_nc_u32_e32 v80, v71, v80
	v_mov_b32_e32 v71, v5
	v_add_nc_u32_e32 v81, v80, v81
	v_add_nc_u32_e32 v82, v81, v82
	;; [unrolled: 1-line block ×4, first 2 shown]
	ds_write_b32 v130, v80
	ds_write_b32 v131, v81
	;; [unrolled: 1-line block ×5, first 2 shown]
	s_waitcnt lgkmcnt(0)
	s_barrier
	buffer_gl0_inv
	ds_read_b32 v33, v33
	ds_read_b32 v37, v37
	ds_read_b32 v49, v49
	ds_read_b32 v52, v52
	ds_read_b32 v55, v55
	ds_read_b32 v82, v66
	ds_read_b32 v97, v67
	ds_read_b32 v98, v68
	v_mov_b32_e32 v67, v5
	v_mov_b32_e32 v69, v5
	;; [unrolled: 1-line block ×4, first 2 shown]
	s_waitcnt lgkmcnt(0)
	v_add_nc_u32_e32 v4, v33, v4
	v_add3_u32 v70, v35, v34, v37
	v_add3_u32 v66, v48, v38, v49
	;; [unrolled: 1-line block ×4, first 2 shown]
	v_lshlrev_b64 v[33:34], 1, v[4:5]
	v_add3_u32 v84, v86, v84, v97
	v_add3_u32 v86, v96, v36, v98
	v_lshlrev_b64 v[35:36], 1, v[70:71]
	v_lshlrev_b64 v[37:38], 1, v[66:67]
	v_add3_u32 v82, v65, v64, v82
	v_lshlrev_b64 v[48:49], 1, v[68:69]
	v_add_co_u32 v116, s21, v12, v33
	v_lshlrev_b64 v[50:51], 1, v[80:81]
	v_add_co_ci_u32_e64 v117, null, v13, v34, s21
	v_add_co_u32 v118, s21, v12, v35
	v_lshlrev_b64 v[52:53], 1, v[82:83]
	v_add_co_ci_u32_e64 v119, null, v13, v36, s21
	;; [unrolled: 3-line block ×4, first 2 shown]
	v_add_co_u32 v100, s21, v12, v50
	v_add_co_ci_u32_e64 v101, null, v13, v51, s21
	v_add_co_u32 v102, s21, v12, v52
	v_add_co_ci_u32_e64 v103, null, v13, v53, s21
	;; [unrolled: 2-line block ×4, first 2 shown]
                                        ; implicit-def: $vgpr33_vgpr34
                                        ; implicit-def: $vgpr35_vgpr36
                                        ; implicit-def: $vgpr37_vgpr38
                                        ; implicit-def: $vgpr48_vgpr49
                                        ; implicit-def: $vgpr50_vgpr51
                                        ; implicit-def: $vgpr52_vgpr53
                                        ; implicit-def: $vgpr54_vgpr55
                                        ; implicit-def: $vgpr64_vgpr65
                                        ; implicit-def: $vgpr83
                                        ; implicit-def: $vgpr85
                                        ; implicit-def: $vgpr87
                                        ; implicit-def: $vgpr81
                                        ; implicit-def: $vgpr67
                                        ; implicit-def: $vgpr71
                                        ; implicit-def: $vgpr69
	s_and_saveexec_b32 s21, s20
	s_cbranch_execz .LBB2047_28
; %bb.52:                               ;   in Loop: Header=BB2047_29 Depth=1
	v_add_nc_u32_e32 v33, 64, v145
	v_add_nc_u32_e32 v34, 0x80, v145
	;; [unrolled: 1-line block ×5, first 2 shown]
	s_barrier
	buffer_gl0_inv
	ds_write_b16 v116, v167
	ds_write_b16 v118, v178
	;; [unrolled: 1-line block ×8, first 2 shown]
	s_waitcnt lgkmcnt(0)
	s_barrier
	buffer_gl0_inv
	ds_read_u16 v183, v145
	ds_read_u16 v83, v33
	;; [unrolled: 1-line block ×8, first 2 shown]
	v_mad_u64_u32 v[33:34], null, v4, 6, v[116:117]
	v_mad_u64_u32 v[34:35], null, v70, 6, v[118:119]
	;; [unrolled: 1-line block ×8, first 2 shown]
	s_waitcnt lgkmcnt(0)
	s_barrier
	buffer_gl0_inv
	ds_write_b64 v33, v[31:32]
	ds_write_b64 v34, v[28:29]
	;; [unrolled: 1-line block ×8, first 2 shown]
	s_waitcnt lgkmcnt(0)
	s_barrier
	buffer_gl0_inv
	ds_read_b64 v[33:34], v148
	ds_read_b64 v[35:36], v151
	;; [unrolled: 1-line block ×8, first 2 shown]
	v_add_nc_u32_e32 v166, -8, v166
	s_xor_b32 s26, exec_lo, -1
	s_waitcnt lgkmcnt(0)
	s_barrier
	buffer_gl0_inv
	s_branch .LBB2047_28
.LBB2047_53:
	s_or_b32 exec_lo, exec_lo, s25
	v_mad_u64_u32 v[10:11], null, v4, 6, v[116:117]
	v_lshl_add_u32 v25, v30, 1, v12
	v_mad_u64_u32 v[11:12], null, v70, 6, v[118:119]
	s_barrier
	buffer_gl0_inv
	ds_write_b16 v116, v167
	ds_write_b16 v118, v178
	;; [unrolled: 1-line block ×8, first 2 shown]
	s_waitcnt lgkmcnt(0)
	s_barrier
	buffer_gl0_inv
	ds_read_u16 v38, v25
	ds_read_u16 v37, v25 offset:512
	ds_read_u16 v36, v25 offset:1024
	;; [unrolled: 1-line block ×7, first 2 shown]
	s_waitcnt lgkmcnt(0)
	s_barrier
	buffer_gl0_inv
	ds_write_b64 v10, v[31:32]
	ds_write_b64 v11, v[28:29]
	v_mad_u64_u32 v[10:11], null, v66, 6, v[96:97]
	v_mad_u64_u32 v[11:12], null, v68, 6, v[98:99]
	;; [unrolled: 1-line block ×4, first 2 shown]
	ds_write_b64 v10, v[22:23]
	v_mul_u32_u24_e32 v10, 6, v30
	v_mad_u64_u32 v[28:29], null, v82, 6, v[102:103]
	v_mad_u64_u32 v[31:32], null, v84, 6, v[112:113]
	v_add_nc_u32_e32 v10, v25, v10
	ds_write_b64 v11, v[20:21]
	ds_write_b64 v12, v[18:19]
	;; [unrolled: 1-line block ×5, first 2 shown]
	s_waitcnt lgkmcnt(0)
	s_barrier
	buffer_gl0_inv
	ds_read2st64_b64 v[20:23], v10 offset1:4
	ds_read2st64_b64 v[16:19], v10 offset0:8 offset1:12
	ds_read2st64_b64 v[12:15], v10 offset0:16 offset1:20
	;; [unrolled: 1-line block ×3, first 2 shown]
	v_mov_b32_e32 v25, 0
	v_add_co_u32 v2, vcc_lo, v2, v26
	v_add_co_ci_u32_e64 v3, null, v3, v27, vcc_lo
	v_lshlrev_b64 v[28:29], 1, v[24:25]
	s_waitcnt lgkmcnt(0)
	s_barrier
	buffer_gl0_inv
	v_add_co_u32 v2, vcc_lo, v2, v28
	v_add_co_ci_u32_e64 v3, null, v3, v29, vcc_lo
	v_cmp_lt_u32_e32 vcc_lo, v24, v128
	s_and_saveexec_b32 s5, vcc_lo
	s_cbranch_execz .LBB2047_55
; %bb.54:
	v_cmp_lt_i16_e64 s4, -1, v38
	v_cndmask_b32_e64 v26, 0xffff8000, -1, s4
	v_xor_b32_e32 v26, v26, v38
	flat_store_short v[2:3], v26
.LBB2047_55:
	s_or_b32 exec_lo, exec_lo, s5
	v_add_nc_u32_e32 v26, 0x100, v24
	v_cmp_lt_u32_e64 s4, v26, v128
	s_and_saveexec_b32 s6, s4
	s_cbranch_execz .LBB2047_57
; %bb.56:
	v_cmp_lt_i16_e64 s5, -1, v37
	v_cndmask_b32_e64 v26, 0xffff8000, -1, s5
	v_xor_b32_e32 v26, v26, v37
	flat_store_short v[2:3], v26 offset:512
.LBB2047_57:
	s_or_b32 exec_lo, exec_lo, s6
	v_add_nc_u32_e32 v26, 0x200, v24
	v_cmp_lt_u32_e64 s5, v26, v128
	s_and_saveexec_b32 s7, s5
	s_cbranch_execz .LBB2047_59
; %bb.58:
	v_cmp_lt_i16_e64 s6, -1, v36
	v_cndmask_b32_e64 v26, 0xffff8000, -1, s6
	v_xor_b32_e32 v26, v26, v36
	flat_store_short v[2:3], v26 offset:1024
.LBB2047_59:
	;; [unrolled: 11-line block ×3, first 2 shown]
	s_or_b32 exec_lo, exec_lo, s10
	v_add_nc_u32_e32 v26, 0x400, v24
	v_cmp_lt_u32_e64 s7, v26, v128
	s_and_saveexec_b32 s11, s7
	s_cbranch_execz .LBB2047_63
; %bb.62:
	v_cmp_lt_i16_e64 s10, -1, v34
	v_cndmask_b32_e64 v26, 0xffff8000, -1, s10
	v_xor_b32_e32 v28, v26, v34
	v_add_co_u32 v26, s10, 0x800, v2
	v_add_co_ci_u32_e64 v27, null, 0, v3, s10
	flat_store_short v[26:27], v28
.LBB2047_63:
	s_or_b32 exec_lo, exec_lo, s11
	v_add_nc_u32_e32 v26, 0x500, v24
	v_cmp_lt_u32_e64 s10, v26, v128
	s_and_saveexec_b32 s14, s10
	s_cbranch_execz .LBB2047_65
; %bb.64:
	v_cmp_lt_i16_e64 s11, -1, v33
	v_cndmask_b32_e64 v26, 0xffff8000, -1, s11
	v_xor_b32_e32 v28, v26, v33
	v_add_co_u32 v26, s11, 0x800, v2
	v_add_co_ci_u32_e64 v27, null, 0, v3, s11
	flat_store_short v[26:27], v28 offset:512
.LBB2047_65:
	s_or_b32 exec_lo, exec_lo, s14
	v_add_nc_u32_e32 v26, 0x600, v24
	v_cmp_lt_u32_e64 s11, v26, v128
	s_and_saveexec_b32 s15, s11
	s_cbranch_execz .LBB2047_67
; %bb.66:
	v_cmp_lt_i16_e64 s14, -1, v5
	v_cndmask_b32_e64 v26, 0xffff8000, -1, s14
	v_xor_b32_e32 v5, v26, v5
	v_add_co_u32 v26, s14, 0x800, v2
	v_add_co_ci_u32_e64 v27, null, 0, v3, s14
	flat_store_short v[26:27], v5 offset:1024
.LBB2047_67:
	s_or_b32 exec_lo, exec_lo, s15
	v_add_nc_u32_e32 v5, 0x700, v24
	v_cmp_lt_u32_e64 s14, v5, v128
	s_and_saveexec_b32 s16, s14
	s_cbranch_execz .LBB2047_69
; %bb.68:
	v_cmp_lt_i16_e64 s15, -1, v4
	v_cndmask_b32_e64 v5, 0xffff8000, -1, s15
	v_add_co_u32 v2, s15, 0x800, v2
	v_add_co_ci_u32_e64 v3, null, 0, v3, s15
	v_xor_b32_e32 v4, v5, v4
	flat_store_short v[2:3], v4 offset:1536
.LBB2047_69:
	s_or_b32 exec_lo, exec_lo, s16
	v_lshlrev_b64 v[2:3], 3, v[24:25]
	v_add_co_u32 v0, s15, v6, v0
	v_add_co_ci_u32_e64 v1, null, v7, v1, s15
	v_add_co_u32 v0, s15, v0, v2
	v_add_co_ci_u32_e64 v1, null, v1, v3, s15
	s_and_saveexec_b32 s15, vcc_lo
	s_cbranch_execnz .LBB2047_119
; %bb.70:
	s_or_b32 exec_lo, exec_lo, s15
	s_and_saveexec_b32 s15, s4
	s_cbranch_execnz .LBB2047_120
.LBB2047_71:
	s_or_b32 exec_lo, exec_lo, s15
	s_and_saveexec_b32 s4, s5
	s_cbranch_execnz .LBB2047_121
.LBB2047_72:
	s_or_b32 exec_lo, exec_lo, s4
	s_and_saveexec_b32 s4, s6
	s_cbranch_execnz .LBB2047_122
.LBB2047_73:
	s_or_b32 exec_lo, exec_lo, s4
	s_and_saveexec_b32 s4, s7
	s_cbranch_execnz .LBB2047_123
.LBB2047_74:
	s_or_b32 exec_lo, exec_lo, s4
	s_and_saveexec_b32 s4, s10
	s_cbranch_execnz .LBB2047_124
.LBB2047_75:
	s_or_b32 exec_lo, exec_lo, s4
	s_and_saveexec_b32 s4, s11
	s_cbranch_execnz .LBB2047_125
.LBB2047_76:
	s_or_b32 exec_lo, exec_lo, s4
	s_and_saveexec_b32 s4, s14
	s_cbranch_execz .LBB2047_78
.LBB2047_77:
	v_add_co_u32 v0, vcc_lo, 0x3800, v0
	v_add_co_ci_u32_e64 v1, null, 0, v1, vcc_lo
	flat_store_dwordx2 v[0:1], v[10:11]
.LBB2047_78:
	s_or_b32 exec_lo, exec_lo, s4
                                        ; implicit-def: $vgpr128
                                        ; implicit-def: $vgpr0
                                        ; implicit-def: $vgpr1
                                        ; implicit-def: $vgpr2
                                        ; implicit-def: $vgpr3
                                        ; implicit-def: $vgpr4
                                        ; implicit-def: $vgpr5
                                        ; implicit-def: $vgpr6
                                        ; implicit-def: $vgpr7
                                        ; implicit-def: $vgpr8
                                        ; implicit-def: $vgpr10
                                        ; implicit-def: $vgpr11
                                        ; implicit-def: $vgpr12
                                        ; implicit-def: $vgpr13
                                        ; implicit-def: $vgpr14
                                        ; implicit-def: $vgpr15
                                        ; implicit-def: $vgpr30
                                        ; implicit-def: $vgpr66
.LBB2047_79:
	s_andn2_saveexec_b32 s4, s23
	s_cbranch_execz .LBB2047_199
; %bb.80:
	s_mov_b32 s4, exec_lo
	v_cmpx_lt_u32_e32 0x200, v128
	s_xor_b32 s23, exec_lo, s4
	s_cbranch_execz .LBB2047_140
; %bb.81:
	s_load_dwordx2 s[4:5], s[8:9], 0x0
	v_mov_b32_e32 v9, 0
	v_lshlrev_b64 v[33:34], 1, v[8:9]
	v_add_co_u32 v18, vcc_lo, v0, v33
	v_add_co_ci_u32_e64 v19, null, v1, v34, vcc_lo
	s_waitcnt lgkmcnt(0)
	s_cmp_lt_u32 s13, s5
	s_cselect_b32 s5, 14, 20
	s_add_u32 s6, s8, s5
	s_addc_u32 s7, s9, 0
	s_cmp_lt_u32 s12, s4
	global_load_ushort v16, v9, s[6:7]
	s_cselect_b32 s4, 12, 18
	s_add_u32 s4, s8, s4
	s_addc_u32 s5, s9, 0
	global_load_ushort v17, v9, s[4:5]
	s_waitcnt vmcnt(1)
	v_mad_u32_u24 v14, v15, v16, v14
	v_mov_b32_e32 v15, v9
	v_mov_b32_e32 v16, 0x7fff
	s_waitcnt vmcnt(0)
	v_mad_u64_u32 v[31:32], null, v14, v17, v[30:31]
	v_lshlrev_b32_e32 v17, 1, v66
	v_add_co_u32 v17, vcc_lo, v18, v17
	v_lshlrev_b32_e32 v14, 2, v31
	v_add_co_ci_u32_e64 v18, null, 0, v19, vcc_lo
	v_and_b32_e32 v14, 0xffffff80, v14
	v_lshlrev_b64 v[0:1], 1, v[14:15]
	v_or_b32_e32 v20, v14, v66
	v_cmp_lt_u32_e64 s6, v20, v128
	v_add_co_u32 v0, vcc_lo, v17, v0
	v_add_co_ci_u32_e64 v1, null, v18, v1, vcc_lo
	v_mov_b32_e32 v17, 0x7fff
	s_and_saveexec_b32 s4, s6
	s_cbranch_execz .LBB2047_83
; %bb.82:
	flat_load_ushort v17, v[0:1]
.LBB2047_83:
	s_or_b32 exec_lo, exec_lo, s4
	v_or_b32_e32 v18, 32, v20
	v_cmp_lt_u32_e64 s4, v18, v128
	s_and_saveexec_b32 s5, s4
	s_cbranch_execz .LBB2047_85
; %bb.84:
	flat_load_ushort v16, v[0:1] offset:64
.LBB2047_85:
	s_or_b32 exec_lo, exec_lo, s5
	v_or_b32_e32 v19, 64, v20
	v_mov_b32_e32 v18, 0x7fff
	v_cmp_lt_u32_e64 s5, v19, v128
	v_mov_b32_e32 v19, 0x7fff
	s_and_saveexec_b32 s7, s5
	s_cbranch_execz .LBB2047_87
; %bb.86:
	flat_load_ushort v19, v[0:1] offset:128
.LBB2047_87:
	s_or_b32 exec_lo, exec_lo, s7
	v_or_b32_e32 v20, 0x60, v20
	v_cmp_lt_u32_e32 vcc_lo, v20, v128
	s_and_saveexec_b32 s7, vcc_lo
	s_cbranch_execz .LBB2047_89
; %bb.88:
	flat_load_ushort v18, v[0:1] offset:192
.LBB2047_89:
	s_or_b32 exec_lo, exec_lo, s7
	v_lshlrev_b64 v[0:1], 3, v[8:9]
	v_lshlrev_b32_e32 v8, 3, v66
	v_mov_b32_e32 v22, 0
	v_add_co_u32 v9, s7, v4, v0
	v_add_co_ci_u32_e64 v20, null, v5, v1, s7
	v_lshlrev_b64 v[4:5], 3, v[14:15]
	v_add_co_u32 v8, s7, v9, v8
	v_add_co_ci_u32_e64 v9, null, 0, v20, s7
	v_mov_b32_e32 v23, v22
	v_add_co_u32 v4, s7, v8, v4
	v_add_co_ci_u32_e64 v5, null, v9, v5, s7
	v_mov_b32_e32 v24, v22
	v_mov_b32_e32 v25, v22
	;; [unrolled: 1-line block ×6, first 2 shown]
	s_and_saveexec_b32 s7, s6
	s_cbranch_execnz .LBB2047_164
; %bb.90:
	s_or_b32 exec_lo, exec_lo, s7
	s_and_saveexec_b32 s6, s4
	s_cbranch_execnz .LBB2047_165
.LBB2047_91:
	s_or_b32 exec_lo, exec_lo, s6
	s_and_saveexec_b32 s4, s5
	s_cbranch_execnz .LBB2047_166
.LBB2047_92:
	s_or_b32 exec_lo, exec_lo, s4
	s_and_saveexec_b32 s4, vcc_lo
	s_cbranch_execz .LBB2047_94
.LBB2047_93:
	flat_load_dwordx2 v[28:29], v[4:5] offset:768
.LBB2047_94:
	s_or_b32 exec_lo, exec_lo, s4
	s_waitcnt vmcnt(0) lgkmcnt(0)
	v_cmp_lt_i16_e32 vcc_lo, -1, v17
	v_lshl_add_u32 v14, v30, 5, v12
	s_getpc_b64 s[4:5]
	s_add_u32 s4, s4, _ZN7rocprim17ROCPRIM_400000_NS16block_radix_sortI12hip_bfloat16Lj256ELj4ElLj1ELj1ELj8ELNS0_26block_radix_rank_algorithmE2ELNS0_18block_padding_hintE2ELNS0_4arch9wavefront6targetE0EE19radix_bits_per_passE@rel32@lo+4
	s_addc_u32 s5, s5, _ZN7rocprim17ROCPRIM_400000_NS16block_radix_sortI12hip_bfloat16Lj256ELj4ElLj1ELj1ELj8ELNS0_26block_radix_rank_algorithmE2ELNS0_18block_padding_hintE2ELNS0_4arch9wavefront6targetE0EE19radix_bits_per_passE@rel32@hi+12
	v_lshrrev_b32_e32 v70, 5, v31
	s_load_dword s24, s[4:5], 0x0
	v_cndmask_b32_e64 v4, -1, 0xffff8000, vcc_lo
	v_cmp_lt_i16_e32 vcc_lo, -1, v16
	v_add_nc_u32_e32 v32, 32, v14
	v_add_nc_u32_e32 v54, 36, v14
	;; [unrolled: 1-line block ×3, first 2 shown]
	v_xor_b32_e32 v9, v4, v17
	v_cndmask_b32_e64 v5, -1, 0xffff8000, vcc_lo
	v_cmp_lt_i16_e32 vcc_lo, -1, v19
	v_add_nc_u32_e32 v64, 44, v14
	v_add_nc_u32_e32 v65, 48, v14
	;; [unrolled: 1-line block ×4, first 2 shown]
	v_cndmask_b32_e64 v4, -1, 0xffff8000, vcc_lo
	v_cmp_lt_i16_e32 vcc_lo, -1, v18
	v_add_nc_u32_e32 v69, 60, v14
	v_sub_co_u32 v14, s6, v66, 1
	v_xor_b32_e32 v36, v4, v19
	v_and_b32_e32 v4, 0x3e0, v30
	v_cndmask_b32_e64 v8, -1, 0xffff8000, vcc_lo
	v_xor_b32_e32 v112, v5, v16
	v_and_b32_e32 v5, 15, v66
	v_cmp_gt_i32_e64 s14, 0, v14
	v_min_u32_e32 v4, 0xe0, v4
	v_xor_b32_e32 v103, v8, v18
	v_and_b32_e32 v8, 16, v66
	v_cmp_eq_u32_e32 vcc_lo, 0, v5
	v_cmp_lt_u32_e64 s4, 1, v5
	v_or_b32_e32 v4, 31, v4
	v_cmp_lt_u32_e64 s5, 3, v5
	v_cmp_eq_u32_e64 s10, 0, v8
	v_lshlrev_b32_e32 v8, 2, v30
	v_cmp_lt_u32_e64 s7, 7, v5
	v_cmp_eq_u32_e64 s11, v30, v4
	v_lshrrev_b32_e32 v4, 3, v30
	v_cndmask_b32_e64 v5, v14, v66, s14
	v_and_or_b32 v14, 0xf80, v8, v66
	v_cmp_gt_u32_e64 s14, 8, v30
	v_cmp_lt_u32_e64 s15, 31, v30
	v_and_b32_e32 v4, 0x7c, v4
	v_lshlrev_b32_e32 v71, 2, v5
	v_cmp_eq_u32_e64 s16, 0, v30
	v_mov_b32_e32 v5, 0
	v_add_nc_u32_e32 v81, v12, v8
	v_add_nc_u32_e32 v80, v12, v4
	v_and_b32_e32 v4, 7, v66
	v_lshl_add_u32 v66, v14, 1, v12
	v_mul_u32_u24_e32 v14, 6, v14
	v_sub_nc_u32_e32 v98, v11, v10
	v_add_nc_u32_e32 v83, -4, v80
	v_cmp_eq_u32_e64 s17, 0, v4
	v_cmp_lt_u32_e64 s18, 1, v4
	v_add_nc_u32_e32 v82, v66, v14
	v_cmp_lt_u32_e64 s19, 3, v4
	v_add_nc_u32_e32 v84, 64, v66
	v_add_nc_u32_e32 v85, 0x80, v66
	;; [unrolled: 1-line block ×6, first 2 shown]
	s_mov_b32 s25, 0
	s_waitcnt lgkmcnt(0)
	s_waitcnt_vscnt null, 0x0
	s_barrier
	buffer_gl0_inv
	s_branch .LBB2047_96
.LBB2047_95:                            ;   in Loop: Header=BB2047_96 Depth=1
	s_or_b32 exec_lo, exec_lo, s21
	s_and_b32 s20, exec_lo, s26
	s_or_b32 s25, s20, s25
	s_andn2_b32 exec_lo, exec_lo, s25
	s_cbranch_execz .LBB2047_126
.LBB2047_96:                            ; =>This Inner Loop Header: Depth=1
	v_mov_b32_e32 v99, v9
	v_min_u32_e32 v4, s24, v98
	v_mov_b32_e32 v14, v22
	v_mov_b32_e32 v15, v23
	;; [unrolled: 1-line block ×3, first 2 shown]
	v_cmp_ne_u16_e64 s20, 0x7fff, v99
	v_lshlrev_b32_e64 v4, v4, -1
	v_mov_b32_e32 v17, v25
	v_mov_b32_e32 v18, v26
	;; [unrolled: 1-line block ×3, first 2 shown]
	v_cndmask_b32_e64 v8, 0xffff8000, v99, s20
	v_not_b32_e32 v9, v4
	v_mov_b32_e32 v20, v28
	v_mov_b32_e32 v21, v29
	;; [unrolled: 1-line block ×3, first 2 shown]
	v_lshrrev_b32_sdwa v4, v10, v8 dst_sel:DWORD dst_unused:UNUSED_PAD src0_sel:DWORD src1_sel:WORD_0
	v_mov_b32_e32 v102, v36
	v_mov_b32_e32 v101, v103
	ds_write_b32 v32, v5
	ds_write_b32 v54, v5
	;; [unrolled: 1-line block ×4, first 2 shown]
	v_and_b32_e32 v4, v4, v9
	ds_write_b32 v65, v5
	ds_write_b32 v67, v5
	ds_write_b32 v68, v5
	ds_write_b32 v69, v5
	s_waitcnt lgkmcnt(0)
	v_and_b32_e32 v8, 1, v4
	v_lshlrev_b32_e32 v22, 30, v4
	v_lshlrev_b32_e32 v23, 29, v4
	;; [unrolled: 1-line block ×4, first 2 shown]
	v_add_co_u32 v8, s20, v8, -1
	v_cndmask_b32_e64 v25, 0, 1, s20
	v_not_b32_e32 v29, v22
	v_cmp_gt_i32_e64 s21, 0, v22
	v_not_b32_e32 v22, v23
	v_lshlrev_b32_e32 v27, 26, v4
	v_cmp_ne_u32_e64 s20, 0, v25
	v_ashrrev_i32_e32 v29, 31, v29
	v_lshlrev_b32_e32 v28, 25, v4
	v_ashrrev_i32_e32 v22, 31, v22
	v_lshlrev_b32_e32 v25, 24, v4
	v_xor_b32_e32 v8, s20, v8
	v_cmp_gt_i32_e64 s20, 0, v23
	v_not_b32_e32 v23, v24
	v_xor_b32_e32 v29, s21, v29
	v_cmp_gt_i32_e64 s21, 0, v24
	v_and_b32_e32 v8, exec_lo, v8
	v_not_b32_e32 v24, v26
	v_ashrrev_i32_e32 v23, 31, v23
	v_xor_b32_e32 v22, s20, v22
	v_cmp_gt_i32_e64 s20, 0, v26
	v_and_b32_e32 v8, v8, v29
	v_not_b32_e32 v26, v27
	v_ashrrev_i32_e32 v24, 31, v24
	v_xor_b32_e32 v23, s21, v23
	v_cmp_gt_i32_e64 s21, 0, v27
	v_and_b32_e32 v8, v8, v22
	;; [unrolled: 5-line block ×4, first 2 shown]
	v_ashrrev_i32_e32 v23, 31, v23
	v_xor_b32_e32 v22, s20, v22
	v_lshlrev_b32_e32 v4, 3, v4
	s_barrier
	v_and_b32_e32 v8, v8, v26
	v_xor_b32_e32 v23, s21, v23
	buffer_gl0_inv
	; wave barrier
	v_and_b32_e32 v8, v8, v22
	v_and_b32_e32 v22, v8, v23
	v_add_lshl_u32 v8, v4, v70, 2
	v_mbcnt_lo_u32_b32 v4, v22, 0
	v_add_co_u32 v8, null, v12, v8
	v_cmp_ne_u32_e64 s21, 0, v22
	v_cmp_eq_u32_e64 s20, 0, v4
	v_add_co_u32 v8, null, v8, 32
	s_and_b32 s21, s21, s20
	s_and_saveexec_b32 s20, s21
; %bb.97:                               ;   in Loop: Header=BB2047_96 Depth=1
	v_bcnt_u32_b32 v22, v22, 0
	ds_write_b32 v8, v22
; %bb.98:                               ;   in Loop: Header=BB2047_96 Depth=1
	s_or_b32 exec_lo, exec_lo, s20
	v_cmp_ne_u16_e64 s20, 0x7fff, v100
	; wave barrier
	v_cndmask_b32_e64 v22, 0xffff8000, v100, s20
	v_lshrrev_b32_sdwa v22, v10, v22 dst_sel:DWORD dst_unused:UNUSED_PAD src0_sel:DWORD src1_sel:WORD_0
	v_and_b32_e32 v22, v22, v9
	v_and_b32_e32 v23, 1, v22
	v_lshlrev_b32_e32 v24, 30, v22
	v_lshlrev_b32_e32 v25, 29, v22
	;; [unrolled: 1-line block ×4, first 2 shown]
	v_add_co_u32 v23, s20, v23, -1
	v_cndmask_b32_e64 v27, 0, 1, s20
	v_not_b32_e32 v36, v24
	v_cmp_gt_i32_e64 s21, 0, v24
	v_not_b32_e32 v24, v25
	v_lshlrev_b32_e32 v29, 26, v22
	v_cmp_ne_u32_e64 s20, 0, v27
	v_ashrrev_i32_e32 v36, 31, v36
	v_lshlrev_b32_e32 v35, 25, v22
	v_ashrrev_i32_e32 v24, 31, v24
	v_lshlrev_b32_e32 v27, 24, v22
	v_xor_b32_e32 v23, s20, v23
	v_cmp_gt_i32_e64 s20, 0, v25
	v_not_b32_e32 v25, v26
	v_xor_b32_e32 v36, s21, v36
	v_cmp_gt_i32_e64 s21, 0, v26
	v_and_b32_e32 v23, exec_lo, v23
	v_not_b32_e32 v26, v28
	v_ashrrev_i32_e32 v25, 31, v25
	v_xor_b32_e32 v24, s20, v24
	v_cmp_gt_i32_e64 s20, 0, v28
	v_and_b32_e32 v23, v23, v36
	v_not_b32_e32 v28, v29
	v_ashrrev_i32_e32 v26, 31, v26
	v_xor_b32_e32 v25, s21, v25
	v_cmp_gt_i32_e64 s21, 0, v29
	v_and_b32_e32 v23, v23, v24
	;; [unrolled: 5-line block ×3, first 2 shown]
	v_not_b32_e32 v25, v27
	v_ashrrev_i32_e32 v24, 31, v24
	v_xor_b32_e32 v28, s21, v28
	v_lshl_add_u32 v22, v22, 3, v70
	v_and_b32_e32 v23, v23, v26
	v_cmp_gt_i32_e64 s21, 0, v27
	v_ashrrev_i32_e32 v25, 31, v25
	v_xor_b32_e32 v24, s20, v24
	v_lshl_add_u32 v26, v22, 2, v12
	v_and_b32_e32 v23, v23, v28
	v_xor_b32_e32 v25, s21, v25
	ds_read_b32 v22, v26 offset:32
	v_and_b32_e32 v23, v23, v24
	v_add_nc_u32_e32 v24, 32, v26
	; wave barrier
	v_and_b32_e32 v25, v23, v25
	v_mbcnt_lo_u32_b32 v23, v25, 0
	v_cmp_ne_u32_e64 s21, 0, v25
	v_cmp_eq_u32_e64 s20, 0, v23
	s_and_b32 s21, s21, s20
	s_and_saveexec_b32 s20, s21
	s_cbranch_execz .LBB2047_100
; %bb.99:                               ;   in Loop: Header=BB2047_96 Depth=1
	s_waitcnt lgkmcnt(0)
	v_bcnt_u32_b32 v25, v25, v22
	ds_write_b32 v24, v25
.LBB2047_100:                           ;   in Loop: Header=BB2047_96 Depth=1
	s_or_b32 exec_lo, exec_lo, s20
	v_cmp_ne_u16_e64 s20, 0x7fff, v102
	; wave barrier
	v_cndmask_b32_e64 v25, 0xffff8000, v102, s20
	v_lshrrev_b32_sdwa v25, v10, v25 dst_sel:DWORD dst_unused:UNUSED_PAD src0_sel:DWORD src1_sel:WORD_0
	v_and_b32_e32 v25, v25, v9
	v_and_b32_e32 v26, 1, v25
	v_lshlrev_b32_e32 v27, 30, v25
	v_lshlrev_b32_e32 v28, 29, v25
	;; [unrolled: 1-line block ×4, first 2 shown]
	v_add_co_u32 v26, s20, v26, -1
	v_cndmask_b32_e64 v35, 0, 1, s20
	v_not_b32_e32 v39, v27
	v_cmp_gt_i32_e64 s21, 0, v27
	v_not_b32_e32 v27, v28
	v_lshlrev_b32_e32 v37, 26, v25
	v_cmp_ne_u32_e64 s20, 0, v35
	v_ashrrev_i32_e32 v39, 31, v39
	v_lshlrev_b32_e32 v38, 25, v25
	v_ashrrev_i32_e32 v27, 31, v27
	v_lshlrev_b32_e32 v35, 24, v25
	v_xor_b32_e32 v26, s20, v26
	v_cmp_gt_i32_e64 s20, 0, v28
	v_not_b32_e32 v28, v29
	v_xor_b32_e32 v39, s21, v39
	v_cmp_gt_i32_e64 s21, 0, v29
	v_and_b32_e32 v26, exec_lo, v26
	v_not_b32_e32 v29, v36
	v_ashrrev_i32_e32 v28, 31, v28
	v_xor_b32_e32 v27, s20, v27
	v_cmp_gt_i32_e64 s20, 0, v36
	v_and_b32_e32 v26, v26, v39
	v_not_b32_e32 v36, v37
	v_ashrrev_i32_e32 v29, 31, v29
	v_xor_b32_e32 v28, s21, v28
	v_cmp_gt_i32_e64 s21, 0, v37
	v_and_b32_e32 v26, v26, v27
	;; [unrolled: 5-line block ×3, first 2 shown]
	v_not_b32_e32 v28, v35
	v_ashrrev_i32_e32 v27, 31, v27
	v_xor_b32_e32 v36, s21, v36
	v_lshl_add_u32 v25, v25, 3, v70
	v_and_b32_e32 v26, v26, v29
	v_cmp_gt_i32_e64 s21, 0, v35
	v_ashrrev_i32_e32 v28, 31, v28
	v_xor_b32_e32 v27, s20, v27
	v_lshl_add_u32 v29, v25, 2, v12
	v_and_b32_e32 v26, v26, v36
	v_xor_b32_e32 v28, s21, v28
	ds_read_b32 v25, v29 offset:32
	v_and_b32_e32 v26, v26, v27
	v_add_nc_u32_e32 v27, 32, v29
	; wave barrier
	v_and_b32_e32 v28, v26, v28
	v_mbcnt_lo_u32_b32 v26, v28, 0
	v_cmp_ne_u32_e64 s21, 0, v28
	v_cmp_eq_u32_e64 s20, 0, v26
	s_and_b32 s21, s21, s20
	s_and_saveexec_b32 s20, s21
	s_cbranch_execz .LBB2047_102
; %bb.101:                              ;   in Loop: Header=BB2047_96 Depth=1
	s_waitcnt lgkmcnt(0)
	v_bcnt_u32_b32 v28, v28, v25
	ds_write_b32 v27, v28
.LBB2047_102:                           ;   in Loop: Header=BB2047_96 Depth=1
	s_or_b32 exec_lo, exec_lo, s20
	v_cmp_ne_u16_e64 s20, 0x7fff, v101
	; wave barrier
	v_cndmask_b32_e64 v28, 0xffff8000, v101, s20
	v_lshrrev_b32_sdwa v28, v10, v28 dst_sel:DWORD dst_unused:UNUSED_PAD src0_sel:DWORD src1_sel:WORD_0
	v_and_b32_e32 v9, v28, v9
	v_and_b32_e32 v28, 1, v9
	v_lshlrev_b32_e32 v29, 30, v9
	v_lshlrev_b32_e32 v35, 29, v9
	v_lshlrev_b32_e32 v36, 28, v9
	v_lshlrev_b32_e32 v38, 27, v9
	v_add_co_u32 v28, s20, v28, -1
	v_cndmask_b32_e64 v37, 0, 1, s20
	v_not_b32_e32 v49, v29
	v_cmp_gt_i32_e64 s21, 0, v29
	v_not_b32_e32 v29, v35
	v_lshlrev_b32_e32 v39, 26, v9
	v_cmp_ne_u32_e64 s20, 0, v37
	v_ashrrev_i32_e32 v49, 31, v49
	v_lshlrev_b32_e32 v48, 25, v9
	v_ashrrev_i32_e32 v29, 31, v29
	v_lshlrev_b32_e32 v37, 24, v9
	v_xor_b32_e32 v28, s20, v28
	v_cmp_gt_i32_e64 s20, 0, v35
	v_not_b32_e32 v35, v36
	v_xor_b32_e32 v49, s21, v49
	v_cmp_gt_i32_e64 s21, 0, v36
	v_and_b32_e32 v28, exec_lo, v28
	v_not_b32_e32 v36, v38
	v_ashrrev_i32_e32 v35, 31, v35
	v_xor_b32_e32 v29, s20, v29
	v_cmp_gt_i32_e64 s20, 0, v38
	v_and_b32_e32 v28, v28, v49
	v_not_b32_e32 v38, v39
	v_ashrrev_i32_e32 v36, 31, v36
	v_xor_b32_e32 v35, s21, v35
	v_cmp_gt_i32_e64 s21, 0, v39
	v_and_b32_e32 v28, v28, v29
	;; [unrolled: 5-line block ×3, first 2 shown]
	v_not_b32_e32 v35, v37
	v_ashrrev_i32_e32 v29, 31, v29
	v_xor_b32_e32 v38, s21, v38
	v_lshl_add_u32 v9, v9, 3, v70
	v_and_b32_e32 v28, v28, v36
	v_cmp_gt_i32_e64 s21, 0, v37
	v_ashrrev_i32_e32 v35, 31, v35
	v_xor_b32_e32 v29, s20, v29
	v_lshl_add_u32 v9, v9, 2, v12
	v_and_b32_e32 v28, v28, v38
	v_xor_b32_e32 v35, s21, v35
	v_and_b32_e32 v29, v28, v29
	ds_read_b32 v28, v9 offset:32
	v_add_nc_u32_e32 v9, 32, v9
	; wave barrier
	v_and_b32_e32 v35, v29, v35
	v_mbcnt_lo_u32_b32 v29, v35, 0
	v_cmp_ne_u32_e64 s21, 0, v35
	v_cmp_eq_u32_e64 s20, 0, v29
	s_and_b32 s21, s21, s20
	s_and_saveexec_b32 s20, s21
	s_cbranch_execz .LBB2047_104
; %bb.103:                              ;   in Loop: Header=BB2047_96 Depth=1
	s_waitcnt lgkmcnt(0)
	v_bcnt_u32_b32 v35, v35, v28
	ds_write_b32 v9, v35
.LBB2047_104:                           ;   in Loop: Header=BB2047_96 Depth=1
	s_or_b32 exec_lo, exec_lo, s20
	; wave barrier
	s_waitcnt lgkmcnt(0)
	s_barrier
	buffer_gl0_inv
	ds_read_b32 v36, v32
	ds_read_b32 v37, v54
	;; [unrolled: 1-line block ×8, first 2 shown]
	s_waitcnt lgkmcnt(6)
	v_add_nc_u32_e32 v51, v37, v36
	s_waitcnt lgkmcnt(4)
	v_add3_u32 v51, v51, v38, v39
	s_waitcnt lgkmcnt(2)
	v_add3_u32 v51, v51, v48, v49
	;; [unrolled: 2-line block ×3, first 2 shown]
	v_mov_b32_dpp v51, v50 row_shr:1 row_mask:0xf bank_mask:0xf
	v_cndmask_b32_e64 v51, v51, 0, vcc_lo
	v_add_nc_u32_e32 v50, v51, v50
	v_mov_b32_dpp v51, v50 row_shr:2 row_mask:0xf bank_mask:0xf
	v_cndmask_b32_e64 v51, 0, v51, s4
	v_add_nc_u32_e32 v50, v50, v51
	v_mov_b32_dpp v51, v50 row_shr:4 row_mask:0xf bank_mask:0xf
	v_cndmask_b32_e64 v51, 0, v51, s5
	;; [unrolled: 3-line block ×3, first 2 shown]
	v_add_nc_u32_e32 v50, v50, v51
	ds_swizzle_b32 v51, v50 offset:swizzle(BROADCAST,32,15)
	s_waitcnt lgkmcnt(0)
	v_cndmask_b32_e64 v51, v51, 0, s10
	v_add_nc_u32_e32 v50, v50, v51
	s_and_saveexec_b32 s20, s11
; %bb.105:                              ;   in Loop: Header=BB2047_96 Depth=1
	ds_write_b32 v80, v50
; %bb.106:                              ;   in Loop: Header=BB2047_96 Depth=1
	s_or_b32 exec_lo, exec_lo, s20
	s_waitcnt lgkmcnt(0)
	s_barrier
	buffer_gl0_inv
	s_and_saveexec_b32 s20, s14
	s_cbranch_execz .LBB2047_108
; %bb.107:                              ;   in Loop: Header=BB2047_96 Depth=1
	ds_read_b32 v51, v81
	s_waitcnt lgkmcnt(0)
	v_mov_b32_dpp v52, v51 row_shr:1 row_mask:0xf bank_mask:0xf
	v_cndmask_b32_e64 v52, v52, 0, s17
	v_add_nc_u32_e32 v51, v52, v51
	v_mov_b32_dpp v52, v51 row_shr:2 row_mask:0xf bank_mask:0xf
	v_cndmask_b32_e64 v52, 0, v52, s18
	v_add_nc_u32_e32 v51, v51, v52
	;; [unrolled: 3-line block ×3, first 2 shown]
	ds_write_b32 v81, v51
.LBB2047_108:                           ;   in Loop: Header=BB2047_96 Depth=1
	s_or_b32 exec_lo, exec_lo, s20
	v_mov_b32_e32 v51, 0
	s_waitcnt lgkmcnt(0)
	s_barrier
	buffer_gl0_inv
	s_and_saveexec_b32 s20, s15
; %bb.109:                              ;   in Loop: Header=BB2047_96 Depth=1
	ds_read_b32 v51, v83
; %bb.110:                              ;   in Loop: Header=BB2047_96 Depth=1
	s_or_b32 exec_lo, exec_lo, s20
	s_waitcnt lgkmcnt(0)
	v_add_nc_u32_e32 v50, v51, v50
	v_add_nc_u32_e32 v10, 8, v10
	s_mov_b32 s26, -1
                                        ; implicit-def: $vgpr112
                                        ; implicit-def: $vgpr103
	ds_bpermute_b32 v50, v71, v50
	s_waitcnt lgkmcnt(0)
	v_cndmask_b32_e64 v50, v50, v51, s6
	v_cndmask_b32_e64 v50, v50, 0, s16
	v_add_nc_u32_e32 v36, v50, v36
	v_add_nc_u32_e32 v37, v36, v37
	ds_write_b32 v32, v50
	ds_write_b32 v54, v36
	;; [unrolled: 1-line block ×3, first 2 shown]
	v_mov_b32_e32 v36, v5
	v_add_nc_u32_e32 v38, v37, v38
	v_add_nc_u32_e32 v39, v38, v39
	;; [unrolled: 1-line block ×5, first 2 shown]
	ds_write_b32 v64, v38
	ds_write_b32 v65, v39
	;; [unrolled: 1-line block ×5, first 2 shown]
	s_waitcnt lgkmcnt(0)
	s_barrier
	buffer_gl0_inv
	ds_read_b32 v8, v8
	ds_read_b32 v24, v24
	;; [unrolled: 1-line block ×4, first 2 shown]
	v_mov_b32_e32 v9, v5
	v_mov_b32_e32 v38, v5
	s_waitcnt lgkmcnt(0)
	v_add_nc_u32_e32 v4, v8, v4
	v_add3_u32 v8, v23, v22, v24
	v_add3_u32 v35, v26, v25, v27
	;; [unrolled: 1-line block ×3, first 2 shown]
	v_lshlrev_b64 v[22:23], 1, v[4:5]
	v_lshlrev_b64 v[24:25], 1, v[8:9]
	;; [unrolled: 1-line block ×4, first 2 shown]
                                        ; implicit-def: $vgpr9
                                        ; implicit-def: $vgpr36
	v_add_co_u32 v52, s21, v12, v22
	v_add_co_ci_u32_e64 v53, null, v13, v23, s21
	v_add_co_u32 v50, s21, v12, v24
	v_add_co_ci_u32_e64 v51, null, v13, v25, s21
	;; [unrolled: 2-line block ×4, first 2 shown]
	s_mov_b32 s21, exec_lo
                                        ; implicit-def: $vgpr22_vgpr23_vgpr24_vgpr25_vgpr26_vgpr27_vgpr28_vgpr29
	v_cmpx_lt_u32_e64 v10, v11
	s_cbranch_execz .LBB2047_95
; %bb.111:                              ;   in Loop: Header=BB2047_96 Depth=1
	v_mad_u64_u32 v[22:23], null, v4, 6, v[52:53]
	v_mad_u64_u32 v[23:24], null, v8, 6, v[50:51]
	;; [unrolled: 1-line block ×4, first 2 shown]
	s_barrier
	buffer_gl0_inv
	ds_write_b16 v52, v99
	ds_write_b16 v50, v100
	;; [unrolled: 1-line block ×4, first 2 shown]
	s_waitcnt lgkmcnt(0)
	s_barrier
	buffer_gl0_inv
	ds_read_u16 v9, v66
	ds_read_u16 v112, v84
	;; [unrolled: 1-line block ×4, first 2 shown]
	s_waitcnt lgkmcnt(0)
	s_barrier
	buffer_gl0_inv
	ds_write_b64 v22, v[14:15]
	ds_write_b64 v23, v[16:17]
	ds_write_b64 v24, v[18:19]
	ds_write_b64 v25, v[20:21]
	s_waitcnt lgkmcnt(0)
	s_barrier
	buffer_gl0_inv
	ds_read_b64 v[22:23], v82
	ds_read_b64 v[24:25], v87
	;; [unrolled: 1-line block ×4, first 2 shown]
	v_add_nc_u32_e32 v98, -8, v98
	s_xor_b32 s26, exec_lo, -1
	s_waitcnt lgkmcnt(0)
	s_barrier
	buffer_gl0_inv
	s_branch .LBB2047_95
.LBB2047_112:
	flat_load_dwordx2 v[33:34], v[4:5]
	s_or_b32 exec_lo, exec_lo, s15
                                        ; implicit-def: $vgpr35_vgpr36
	s_and_saveexec_b32 s15, s4
	s_cbranch_execz .LBB2047_20
.LBB2047_113:
	flat_load_dwordx2 v[35:36], v[4:5] offset:256
	s_or_b32 exec_lo, exec_lo, s15
                                        ; implicit-def: $vgpr37_vgpr38
	s_and_saveexec_b32 s4, s5
	s_cbranch_execz .LBB2047_21
.LBB2047_114:
	flat_load_dwordx2 v[37:38], v[4:5] offset:512
	s_or_b32 exec_lo, exec_lo, s4
                                        ; implicit-def: $vgpr48_vgpr49
	s_and_saveexec_b32 s4, s6
	s_cbranch_execz .LBB2047_22
.LBB2047_115:
	flat_load_dwordx2 v[48:49], v[4:5] offset:768
	s_or_b32 exec_lo, exec_lo, s4
                                        ; implicit-def: $vgpr50_vgpr51
	s_and_saveexec_b32 s4, s7
	s_cbranch_execz .LBB2047_23
.LBB2047_116:
	flat_load_dwordx2 v[50:51], v[4:5] offset:1024
	s_or_b32 exec_lo, exec_lo, s4
                                        ; implicit-def: $vgpr52_vgpr53
	s_and_saveexec_b32 s4, s10
	s_cbranch_execz .LBB2047_24
.LBB2047_117:
	flat_load_dwordx2 v[52:53], v[4:5] offset:1280
	s_or_b32 exec_lo, exec_lo, s4
                                        ; implicit-def: $vgpr54_vgpr55
	s_and_saveexec_b32 s4, s11
	s_cbranch_execz .LBB2047_25
.LBB2047_118:
	flat_load_dwordx2 v[54:55], v[4:5] offset:1536
	s_or_b32 exec_lo, exec_lo, s4
                                        ; implicit-def: $vgpr64_vgpr65
	s_and_saveexec_b32 s4, s14
	s_cbranch_execnz .LBB2047_26
	s_branch .LBB2047_27
.LBB2047_119:
	flat_store_dwordx2 v[0:1], v[20:21]
	s_or_b32 exec_lo, exec_lo, s15
	s_and_saveexec_b32 s15, s4
	s_cbranch_execz .LBB2047_71
.LBB2047_120:
	v_add_co_u32 v2, vcc_lo, 0x800, v0
	v_add_co_ci_u32_e64 v3, null, 0, v1, vcc_lo
	flat_store_dwordx2 v[2:3], v[22:23]
	s_or_b32 exec_lo, exec_lo, s15
	s_and_saveexec_b32 s4, s5
	s_cbranch_execz .LBB2047_72
.LBB2047_121:
	v_add_co_u32 v2, vcc_lo, 0x1000, v0
	v_add_co_ci_u32_e64 v3, null, 0, v1, vcc_lo
	flat_store_dwordx2 v[2:3], v[16:17]
	s_or_b32 exec_lo, exec_lo, s4
	s_and_saveexec_b32 s4, s6
	s_cbranch_execz .LBB2047_73
.LBB2047_122:
	v_add_co_u32 v2, vcc_lo, 0x1800, v0
	v_add_co_ci_u32_e64 v3, null, 0, v1, vcc_lo
	flat_store_dwordx2 v[2:3], v[18:19]
	s_or_b32 exec_lo, exec_lo, s4
	s_and_saveexec_b32 s4, s7
	s_cbranch_execz .LBB2047_74
.LBB2047_123:
	v_add_co_u32 v2, vcc_lo, 0x2000, v0
	v_add_co_ci_u32_e64 v3, null, 0, v1, vcc_lo
	flat_store_dwordx2 v[2:3], v[12:13]
	s_or_b32 exec_lo, exec_lo, s4
	s_and_saveexec_b32 s4, s10
	s_cbranch_execz .LBB2047_75
.LBB2047_124:
	v_add_co_u32 v2, vcc_lo, 0x2800, v0
	v_add_co_ci_u32_e64 v3, null, 0, v1, vcc_lo
	flat_store_dwordx2 v[2:3], v[14:15]
	s_or_b32 exec_lo, exec_lo, s4
	s_and_saveexec_b32 s4, s11
	s_cbranch_execz .LBB2047_76
.LBB2047_125:
	v_add_co_u32 v2, vcc_lo, 0x3000, v0
	v_add_co_ci_u32_e64 v3, null, 0, v1, vcc_lo
	flat_store_dwordx2 v[2:3], v[8:9]
	s_or_b32 exec_lo, exec_lo, s4
	s_and_saveexec_b32 s4, s14
	s_cbranch_execnz .LBB2047_77
	s_branch .LBB2047_78
.LBB2047_126:
	s_or_b32 exec_lo, exec_lo, s25
	v_mad_u64_u32 v[9:10], null, v4, 6, v[52:53]
	v_lshl_add_u32 v25, v30, 1, v12
	v_mad_u64_u32 v[10:11], null, v8, 6, v[50:51]
	v_mul_u32_u24_e32 v4, 6, v30
	v_mad_u64_u32 v[11:12], null, v35, 6, v[48:49]
	v_mad_u64_u32 v[12:13], null, v37, 6, v[38:39]
	v_add_nc_u32_e32 v4, v25, v4
	s_barrier
	buffer_gl0_inv
	ds_write_b16 v52, v99
	ds_write_b16 v50, v100
	;; [unrolled: 1-line block ×4, first 2 shown]
	s_waitcnt lgkmcnt(0)
	s_barrier
	buffer_gl0_inv
	ds_read_u16 v24, v25
	ds_read_u16 v23, v25 offset:512
	ds_read_u16 v22, v25 offset:1024
	;; [unrolled: 1-line block ×3, first 2 shown]
	s_waitcnt lgkmcnt(0)
	s_barrier
	buffer_gl0_inv
	ds_write_b64 v9, v[14:15]
	ds_write_b64 v10, v[16:17]
	;; [unrolled: 1-line block ×4, first 2 shown]
	s_waitcnt lgkmcnt(0)
	s_barrier
	buffer_gl0_inv
	ds_read2st64_b64 v[12:15], v4 offset1:4
	ds_read2st64_b64 v[8:11], v4 offset0:8 offset1:12
	v_mov_b32_e32 v32, 0
	v_add_co_u32 v2, vcc_lo, v2, v33
	v_add_co_ci_u32_e64 v3, null, v3, v34, vcc_lo
	v_lshlrev_b64 v[16:17], 1, v[31:32]
	s_waitcnt lgkmcnt(0)
	s_barrier
	buffer_gl0_inv
	v_add_co_u32 v2, vcc_lo, v2, v16
	v_add_co_ci_u32_e64 v3, null, v3, v17, vcc_lo
	v_cmp_lt_u32_e32 vcc_lo, v31, v128
	s_and_saveexec_b32 s5, vcc_lo
	s_cbranch_execz .LBB2047_128
; %bb.127:
	v_cmp_lt_i16_e64 s4, -1, v24
	v_cndmask_b32_e64 v4, 0xffff8000, -1, s4
	v_xor_b32_e32 v4, v4, v24
	flat_store_short v[2:3], v4
.LBB2047_128:
	s_or_b32 exec_lo, exec_lo, s5
	v_add_nc_u32_e32 v4, 0x100, v31
	v_cmp_lt_u32_e64 s4, v4, v128
	s_and_saveexec_b32 s6, s4
	s_cbranch_execz .LBB2047_130
; %bb.129:
	v_cmp_lt_i16_e64 s5, -1, v23
	v_cndmask_b32_e64 v4, 0xffff8000, -1, s5
	v_xor_b32_e32 v4, v4, v23
	flat_store_short v[2:3], v4 offset:512
.LBB2047_130:
	s_or_b32 exec_lo, exec_lo, s6
	v_add_nc_u32_e32 v4, 0x200, v31
	v_cmp_lt_u32_e64 s5, v4, v128
	s_and_saveexec_b32 s7, s5
	s_cbranch_execz .LBB2047_132
; %bb.131:
	v_cmp_lt_i16_e64 s6, -1, v22
	v_cndmask_b32_e64 v4, 0xffff8000, -1, s6
	v_xor_b32_e32 v4, v4, v22
	flat_store_short v[2:3], v4 offset:1024
.LBB2047_132:
	;; [unrolled: 11-line block ×3, first 2 shown]
	s_or_b32 exec_lo, exec_lo, s10
	v_lshlrev_b64 v[2:3], 3, v[31:32]
	v_add_co_u32 v0, s7, v6, v0
	v_add_co_ci_u32_e64 v1, null, v7, v1, s7
	v_add_co_u32 v0, s7, v0, v2
	v_add_co_ci_u32_e64 v1, null, v1, v3, s7
	s_and_saveexec_b32 s7, vcc_lo
	s_cbranch_execnz .LBB2047_167
; %bb.135:
	s_or_b32 exec_lo, exec_lo, s7
	s_and_saveexec_b32 s7, s4
	s_cbranch_execnz .LBB2047_168
.LBB2047_136:
	s_or_b32 exec_lo, exec_lo, s7
	s_and_saveexec_b32 s4, s5
	s_cbranch_execnz .LBB2047_169
.LBB2047_137:
	s_or_b32 exec_lo, exec_lo, s4
	s_and_saveexec_b32 s4, s6
	s_cbranch_execz .LBB2047_139
.LBB2047_138:
	v_add_co_u32 v0, vcc_lo, 0x1800, v0
	v_add_co_ci_u32_e64 v1, null, 0, v1, vcc_lo
	flat_store_dwordx2 v[0:1], v[10:11]
.LBB2047_139:
	s_or_b32 exec_lo, exec_lo, s4
                                        ; implicit-def: $vgpr128
                                        ; implicit-def: $vgpr0
                                        ; implicit-def: $vgpr1
                                        ; implicit-def: $vgpr2
                                        ; implicit-def: $vgpr3
                                        ; implicit-def: $vgpr4
                                        ; implicit-def: $vgpr5
                                        ; implicit-def: $vgpr6
                                        ; implicit-def: $vgpr7
                                        ; implicit-def: $vgpr8
                                        ; implicit-def: $vgpr10
                                        ; implicit-def: $vgpr11
                                        ; implicit-def: $vgpr12
                                        ; implicit-def: $vgpr13
                                        ; implicit-def: $vgpr14
                                        ; implicit-def: $vgpr15
                                        ; implicit-def: $vgpr30
                                        ; implicit-def: $vgpr66
.LBB2047_140:
	s_andn2_saveexec_b32 s4, s23
	s_cbranch_execz .LBB2047_199
; %bb.141:
	s_load_dwordx2 s[4:5], s[8:9], 0x0
	v_mov_b32_e32 v9, 0
	s_waitcnt lgkmcnt(0)
	s_cmp_lt_u32 s13, s5
	s_cselect_b32 s5, 14, 20
	s_add_u32 s6, s8, s5
	s_addc_u32 s7, s9, 0
	s_cmp_lt_u32 s12, s4
	global_load_ushort v16, v9, s[6:7]
	s_cselect_b32 s4, 12, 18
	s_add_u32 s4, s8, s4
	s_addc_u32 s5, s9, 0
	global_load_ushort v17, v9, s[4:5]
	s_mov_b32 s4, exec_lo
	s_waitcnt vmcnt(1)
	v_mad_u32_u24 v14, v15, v16, v14
	s_waitcnt vmcnt(0)
	v_mad_u64_u32 v[14:15], null, v14, v17, v[30:31]
	v_lshlrev_b64 v[16:17], 1, v[8:9]
	v_cmpx_lt_u32_e32 0x100, v128
	s_xor_b32 s18, exec_lo, s4
	s_cbranch_execz .LBB2047_179
; %bb.142:
	v_lshlrev_b32_e32 v15, 1, v14
	v_mov_b32_e32 v19, v9
	v_lshlrev_b32_e32 v20, 1, v66
	v_mov_b32_e32 v24, 0x7fff
	v_and_b32_e32 v18, 0xffffffc0, v15
	v_add_co_u32 v15, vcc_lo, v0, v16
	v_add_co_ci_u32_e64 v21, null, v1, v17, vcc_lo
	v_lshlrev_b64 v[0:1], 1, v[18:19]
	v_add_co_u32 v15, vcc_lo, v15, v20
	v_add_co_ci_u32_e64 v21, null, 0, v21, vcc_lo
	v_or_b32_e32 v20, v66, v18
	v_add_co_u32 v0, vcc_lo, v15, v0
	v_add_co_ci_u32_e64 v1, null, v21, v1, vcc_lo
	v_cmp_lt_u32_e32 vcc_lo, v20, v128
	v_mov_b32_e32 v15, 0x7fff
	s_and_saveexec_b32 s4, vcc_lo
	s_cbranch_execz .LBB2047_144
; %bb.143:
	flat_load_ushort v24, v[0:1]
.LBB2047_144:
	s_or_b32 exec_lo, exec_lo, s4
	v_or_b32_e32 v20, 32, v20
	v_cmp_lt_u32_e64 s4, v20, v128
	s_and_saveexec_b32 s5, s4
	s_cbranch_execz .LBB2047_146
; %bb.145:
	flat_load_ushort v15, v[0:1] offset:64
.LBB2047_146:
	s_or_b32 exec_lo, exec_lo, s5
	v_lshlrev_b64 v[0:1], 3, v[8:9]
	v_lshlrev_b32_e32 v20, 3, v66
	v_lshlrev_b64 v[8:9], 3, v[18:19]
	v_mov_b32_e32 v22, 0
	v_mov_b32_e32 v23, 0
	v_add_co_u32 v4, s5, v4, v0
	v_add_co_ci_u32_e64 v5, null, v5, v1, s5
	v_add_co_u32 v4, s5, v4, v20
	v_add_co_ci_u32_e64 v5, null, 0, v5, s5
	v_mov_b32_e32 v20, 0
	v_add_co_u32 v4, s5, v4, v8
	v_mov_b32_e32 v21, 0
	v_add_co_ci_u32_e64 v5, null, v5, v9, s5
	s_and_saveexec_b32 s5, vcc_lo
	s_cbranch_execz .LBB2047_148
; %bb.147:
	flat_load_dwordx2 v[20:21], v[4:5]
.LBB2047_148:
	s_or_b32 exec_lo, exec_lo, s5
	s_and_saveexec_b32 s5, s4
	s_cbranch_execz .LBB2047_150
; %bb.149:
	flat_load_dwordx2 v[22:23], v[4:5] offset:256
.LBB2047_150:
	s_or_b32 exec_lo, exec_lo, s5
	s_waitcnt vmcnt(0) lgkmcnt(0)
	v_cmp_lt_i16_e32 vcc_lo, -1, v24
	v_lshl_add_u32 v8, v30, 5, v12
	v_sub_co_u32 v9, s6, v66, 1
	s_getpc_b64 s[4:5]
	s_add_u32 s4, s4, _ZN7rocprim17ROCPRIM_400000_NS16block_radix_sortI12hip_bfloat16Lj256ELj2ElLj1ELj1ELj8ELNS0_26block_radix_rank_algorithmE2ELNS0_18block_padding_hintE2ELNS0_4arch9wavefront6targetE0EE19radix_bits_per_passE@rel32@lo+4
	s_addc_u32 s5, s5, _ZN7rocprim17ROCPRIM_400000_NS16block_radix_sortI12hip_bfloat16Lj256ELj2ElLj1ELj1ELj8ELNS0_26block_radix_rank_algorithmE2ELNS0_18block_padding_hintE2ELNS0_4arch9wavefront6targetE0EE19radix_bits_per_passE@rel32@hi+12
	v_cndmask_b32_e64 v4, -1, 0xffff8000, vcc_lo
	v_cmp_lt_i16_e32 vcc_lo, -1, v15
	v_add_nc_u32_e32 v29, 36, v8
	v_add_nc_u32_e32 v31, 40, v8
	;; [unrolled: 1-line block ×3, first 2 shown]
	v_xor_b32_e32 v67, v4, v24
	v_and_b32_e32 v4, 0x3e0, v30
	v_cndmask_b32_e64 v5, -1, 0xffff8000, vcc_lo
	v_add_nc_u32_e32 v33, 48, v8
	v_add_nc_u32_e32 v34, 52, v8
	;; [unrolled: 1-line block ×3, first 2 shown]
	v_min_u32_e32 v4, 0xe0, v4
	v_xor_b32_e32 v65, v5, v15
	v_add_nc_u32_e32 v15, 32, v8
	v_and_b32_e32 v5, 15, v66
	v_add_nc_u32_e32 v36, 60, v8
	v_or_b32_e32 v4, 31, v4
	v_and_b32_e32 v8, 16, v66
	v_cmp_gt_i32_e64 s10, 0, v9
	s_load_dword s19, s[4:5], 0x0
	v_cmp_eq_u32_e32 vcc_lo, 0, v5
	v_cmp_eq_u32_e64 s9, v30, v4
	v_lshlrev_b32_e32 v4, 1, v30
	v_cmp_lt_u32_e64 s4, 1, v5
	v_cmp_lt_u32_e64 s5, 3, v5
	;; [unrolled: 1-line block ×3, first 2 shown]
	v_cmp_eq_u32_e64 s8, 0, v8
	v_cndmask_b32_e64 v5, v9, v66, s10
	v_lshrrev_b32_e32 v8, 3, v30
	v_and_or_b32 v4, 0x7c0, v4, v66
	v_lshrrev_b32_e32 v37, 5, v14
	v_cmp_gt_u32_e64 s10, 8, v30
	v_lshlrev_b32_e32 v38, 2, v5
	v_and_b32_e32 v5, 0x7c, v8
	v_lshl_add_u32 v39, v4, 1, v12
	v_mul_u32_u24_e32 v4, 6, v4
	v_and_b32_e32 v8, 7, v66
	v_cmp_lt_u32_e64 s11, 31, v30
	v_add_nc_u32_e32 v48, v12, v5
	v_cmp_eq_u32_e64 s12, 0, v30
	v_add_nc_u32_e32 v50, v39, v4
	v_mov_b32_e32 v5, 0
	v_lshl_add_u32 v49, v30, 2, v12
	v_cmp_eq_u32_e64 s13, 0, v8
	v_cmp_lt_u32_e64 s14, 1, v8
	v_cmp_lt_u32_e64 s15, 3, v8
	v_add_nc_u32_e32 v51, -4, v48
	v_add_nc_u32_e32 v52, 64, v39
	v_add_nc_u32_e32 v53, 0x100, v50
	v_sub_nc_u32_e32 v54, v11, v10
	s_mov_b32 s20, 0
	s_waitcnt lgkmcnt(0)
	s_waitcnt_vscnt null, 0x0
	s_barrier
	buffer_gl0_inv
	s_branch .LBB2047_152
.LBB2047_151:                           ;   in Loop: Header=BB2047_152 Depth=1
	s_or_b32 exec_lo, exec_lo, s17
	s_and_b32 s16, exec_lo, s21
	s_or_b32 s20, s16, s20
	s_andn2_b32 exec_lo, exec_lo, s20
	s_cbranch_execz .LBB2047_170
.LBB2047_152:                           ; =>This Inner Loop Header: Depth=1
	v_mov_b32_e32 v55, v67
	v_min_u32_e32 v4, s19, v54
	ds_write_b32 v15, v5
	ds_write_b32 v29, v5
	ds_write_b32 v31, v5
	ds_write_b32 v32, v5
	ds_write_b32 v33, v5
	v_cmp_ne_u16_e64 s16, 0x7fff, v55
	v_lshlrev_b32_e64 v4, v4, -1
	ds_write_b32 v34, v5
	ds_write_b32 v35, v5
	;; [unrolled: 1-line block ×3, first 2 shown]
	s_waitcnt lgkmcnt(0)
	v_cndmask_b32_e64 v8, 0xffff8000, v55, s16
	v_not_b32_e32 v24, v4
	s_barrier
	buffer_gl0_inv
	v_lshrrev_b32_sdwa v4, v10, v8 dst_sel:DWORD dst_unused:UNUSED_PAD src0_sel:DWORD src1_sel:WORD_0
	v_mov_b32_e32 v8, v22
	v_mov_b32_e32 v9, v23
	; wave barrier
	v_and_b32_e32 v4, v4, v24
	v_and_b32_e32 v18, 1, v4
	v_lshlrev_b32_e32 v19, 30, v4
	v_lshlrev_b32_e32 v22, 29, v4
	v_lshlrev_b32_e32 v23, 28, v4
	v_lshlrev_b32_e32 v26, 27, v4
	v_add_co_u32 v18, s16, v18, -1
	v_cndmask_b32_e64 v25, 0, 1, s16
	v_not_b32_e32 v64, v19
	v_cmp_gt_i32_e64 s17, 0, v19
	v_not_b32_e32 v19, v22
	v_lshlrev_b32_e32 v27, 26, v4
	v_cmp_ne_u32_e64 s16, 0, v25
	v_ashrrev_i32_e32 v64, 31, v64
	v_lshlrev_b32_e32 v28, 25, v4
	v_ashrrev_i32_e32 v19, 31, v19
	v_lshlrev_b32_e32 v25, 24, v4
	v_xor_b32_e32 v18, s16, v18
	v_cmp_gt_i32_e64 s16, 0, v22
	v_not_b32_e32 v22, v23
	v_xor_b32_e32 v64, s17, v64
	v_cmp_gt_i32_e64 s17, 0, v23
	v_and_b32_e32 v18, exec_lo, v18
	v_not_b32_e32 v23, v26
	v_ashrrev_i32_e32 v22, 31, v22
	v_xor_b32_e32 v19, s16, v19
	v_cmp_gt_i32_e64 s16, 0, v26
	v_and_b32_e32 v18, v18, v64
	v_not_b32_e32 v26, v27
	v_ashrrev_i32_e32 v23, 31, v23
	v_xor_b32_e32 v22, s17, v22
	v_cmp_gt_i32_e64 s17, 0, v27
	v_and_b32_e32 v18, v18, v19
	;; [unrolled: 5-line block ×4, first 2 shown]
	v_mov_b32_e32 v18, v20
	v_mov_b32_e32 v19, v21
	v_ashrrev_i32_e32 v20, 31, v22
	v_xor_b32_e32 v21, s16, v27
	v_and_b32_e32 v22, v23, v26
	v_lshlrev_b32_e32 v4, 3, v4
	v_mov_b32_e32 v64, v65
	v_xor_b32_e32 v20, s17, v20
	v_and_b32_e32 v21, v22, v21
	v_and_b32_e32 v21, v21, v20
	v_add_lshl_u32 v20, v4, v37, 2
	v_mbcnt_lo_u32_b32 v4, v21, 0
	v_add_co_u32 v20, null, v12, v20
	v_cmp_ne_u32_e64 s17, 0, v21
	v_cmp_eq_u32_e64 s16, 0, v4
	v_add_co_u32 v20, null, v20, 32
	s_and_b32 s17, s17, s16
	s_and_saveexec_b32 s16, s17
; %bb.153:                              ;   in Loop: Header=BB2047_152 Depth=1
	v_bcnt_u32_b32 v21, v21, 0
	ds_write_b32 v20, v21
; %bb.154:                              ;   in Loop: Header=BB2047_152 Depth=1
	s_or_b32 exec_lo, exec_lo, s16
	v_cmp_ne_u16_e64 s16, 0x7fff, v64
	; wave barrier
	v_cndmask_b32_e64 v21, 0xffff8000, v64, s16
	v_lshrrev_b32_sdwa v21, v10, v21 dst_sel:DWORD dst_unused:UNUSED_PAD src0_sel:DWORD src1_sel:WORD_0
	v_and_b32_e32 v21, v21, v24
	v_and_b32_e32 v22, 1, v21
	v_lshlrev_b32_e32 v23, 30, v21
	v_lshlrev_b32_e32 v24, 29, v21
	;; [unrolled: 1-line block ×4, first 2 shown]
	v_add_co_u32 v22, s16, v22, -1
	v_cndmask_b32_e64 v26, 0, 1, s16
	v_not_b32_e32 v66, v23
	v_cmp_gt_i32_e64 s17, 0, v23
	v_not_b32_e32 v23, v24
	v_lshlrev_b32_e32 v28, 26, v21
	v_cmp_ne_u32_e64 s16, 0, v26
	v_ashrrev_i32_e32 v66, 31, v66
	v_lshlrev_b32_e32 v65, 25, v21
	v_ashrrev_i32_e32 v23, 31, v23
	v_lshlrev_b32_e32 v26, 24, v21
	v_xor_b32_e32 v22, s16, v22
	v_cmp_gt_i32_e64 s16, 0, v24
	v_not_b32_e32 v24, v25
	v_xor_b32_e32 v66, s17, v66
	v_cmp_gt_i32_e64 s17, 0, v25
	v_and_b32_e32 v22, exec_lo, v22
	v_not_b32_e32 v25, v27
	v_ashrrev_i32_e32 v24, 31, v24
	v_xor_b32_e32 v23, s16, v23
	v_cmp_gt_i32_e64 s16, 0, v27
	v_and_b32_e32 v22, v22, v66
	v_not_b32_e32 v27, v28
	v_ashrrev_i32_e32 v25, 31, v25
	v_xor_b32_e32 v24, s17, v24
	v_cmp_gt_i32_e64 s17, 0, v28
	v_and_b32_e32 v22, v22, v23
	;; [unrolled: 5-line block ×3, first 2 shown]
	v_not_b32_e32 v24, v26
	v_ashrrev_i32_e32 v23, 31, v23
	v_xor_b32_e32 v27, s17, v27
	v_lshl_add_u32 v21, v21, 3, v37
	v_and_b32_e32 v22, v22, v25
	v_cmp_gt_i32_e64 s17, 0, v26
	v_ashrrev_i32_e32 v24, 31, v24
	v_xor_b32_e32 v23, s16, v23
	v_lshl_add_u32 v25, v21, 2, v12
	v_and_b32_e32 v22, v22, v27
	v_xor_b32_e32 v24, s17, v24
	ds_read_b32 v21, v25 offset:32
	v_and_b32_e32 v22, v22, v23
	v_add_nc_u32_e32 v23, 32, v25
	; wave barrier
	v_and_b32_e32 v24, v22, v24
	v_mbcnt_lo_u32_b32 v22, v24, 0
	v_cmp_ne_u32_e64 s17, 0, v24
	v_cmp_eq_u32_e64 s16, 0, v22
	s_and_b32 s17, s17, s16
	s_and_saveexec_b32 s16, s17
	s_cbranch_execz .LBB2047_156
; %bb.155:                              ;   in Loop: Header=BB2047_152 Depth=1
	s_waitcnt lgkmcnt(0)
	v_bcnt_u32_b32 v24, v24, v21
	ds_write_b32 v23, v24
.LBB2047_156:                           ;   in Loop: Header=BB2047_152 Depth=1
	s_or_b32 exec_lo, exec_lo, s16
	; wave barrier
	s_waitcnt lgkmcnt(0)
	s_barrier
	buffer_gl0_inv
	ds_read_b32 v25, v15
	ds_read_b32 v26, v29
	;; [unrolled: 1-line block ×8, first 2 shown]
	s_waitcnt lgkmcnt(6)
	v_add_nc_u32_e32 v68, v26, v25
	s_waitcnt lgkmcnt(4)
	v_add3_u32 v68, v68, v27, v28
	s_waitcnt lgkmcnt(2)
	v_add3_u32 v68, v68, v65, v66
	;; [unrolled: 2-line block ×3, first 2 shown]
	v_mov_b32_dpp v68, v67 row_shr:1 row_mask:0xf bank_mask:0xf
	v_cndmask_b32_e64 v68, v68, 0, vcc_lo
	v_add_nc_u32_e32 v67, v68, v67
	v_mov_b32_dpp v68, v67 row_shr:2 row_mask:0xf bank_mask:0xf
	v_cndmask_b32_e64 v68, 0, v68, s4
	v_add_nc_u32_e32 v67, v67, v68
	v_mov_b32_dpp v68, v67 row_shr:4 row_mask:0xf bank_mask:0xf
	v_cndmask_b32_e64 v68, 0, v68, s5
	;; [unrolled: 3-line block ×3, first 2 shown]
	v_add_nc_u32_e32 v67, v67, v68
	ds_swizzle_b32 v68, v67 offset:swizzle(BROADCAST,32,15)
	s_waitcnt lgkmcnt(0)
	v_cndmask_b32_e64 v68, v68, 0, s8
	v_add_nc_u32_e32 v67, v67, v68
	s_and_saveexec_b32 s16, s9
; %bb.157:                              ;   in Loop: Header=BB2047_152 Depth=1
	ds_write_b32 v48, v67
; %bb.158:                              ;   in Loop: Header=BB2047_152 Depth=1
	s_or_b32 exec_lo, exec_lo, s16
	s_waitcnt lgkmcnt(0)
	s_barrier
	buffer_gl0_inv
	s_and_saveexec_b32 s16, s10
	s_cbranch_execz .LBB2047_160
; %bb.159:                              ;   in Loop: Header=BB2047_152 Depth=1
	ds_read_b32 v68, v49
	s_waitcnt lgkmcnt(0)
	v_mov_b32_dpp v69, v68 row_shr:1 row_mask:0xf bank_mask:0xf
	v_cndmask_b32_e64 v69, v69, 0, s13
	v_add_nc_u32_e32 v68, v69, v68
	v_mov_b32_dpp v69, v68 row_shr:2 row_mask:0xf bank_mask:0xf
	v_cndmask_b32_e64 v69, 0, v69, s14
	v_add_nc_u32_e32 v68, v68, v69
	;; [unrolled: 3-line block ×3, first 2 shown]
	ds_write_b32 v49, v68
.LBB2047_160:                           ;   in Loop: Header=BB2047_152 Depth=1
	s_or_b32 exec_lo, exec_lo, s16
	v_mov_b32_e32 v68, 0
	s_waitcnt lgkmcnt(0)
	s_barrier
	buffer_gl0_inv
	s_and_saveexec_b32 s16, s11
; %bb.161:                              ;   in Loop: Header=BB2047_152 Depth=1
	ds_read_b32 v68, v51
; %bb.162:                              ;   in Loop: Header=BB2047_152 Depth=1
	s_or_b32 exec_lo, exec_lo, s16
	s_waitcnt lgkmcnt(0)
	v_add_nc_u32_e32 v67, v68, v67
	v_add_nc_u32_e32 v10, 8, v10
	s_mov_b32 s21, -1
	ds_bpermute_b32 v67, v38, v67
	s_waitcnt lgkmcnt(0)
	v_cndmask_b32_e64 v67, v67, v68, s6
	v_cndmask_b32_e64 v67, v67, 0, s12
	v_add_nc_u32_e32 v25, v67, v25
	v_add_nc_u32_e32 v26, v25, v26
	ds_write_b32 v15, v67
	ds_write_b32 v29, v25
	;; [unrolled: 1-line block ×3, first 2 shown]
	v_mov_b32_e32 v25, v5
	v_add_nc_u32_e32 v27, v26, v27
                                        ; implicit-def: $vgpr67
	v_add_nc_u32_e32 v28, v27, v28
	v_add_nc_u32_e32 v65, v28, v65
	;; [unrolled: 1-line block ×4, first 2 shown]
	ds_write_b32 v32, v27
	ds_write_b32 v33, v28
	;; [unrolled: 1-line block ×5, first 2 shown]
	s_waitcnt lgkmcnt(0)
	s_barrier
	buffer_gl0_inv
	ds_read_b32 v20, v20
	ds_read_b32 v23, v23
	s_waitcnt lgkmcnt(0)
                                        ; implicit-def: $vgpr65
	v_add_nc_u32_e32 v4, v20, v4
	v_add3_u32 v24, v22, v21, v23
	v_lshlrev_b64 v[20:21], 1, v[4:5]
	v_lshlrev_b64 v[22:23], 1, v[24:25]
	v_add_co_u32 v25, s17, v12, v20
	v_add_co_ci_u32_e64 v26, null, v13, v21, s17
	v_add_co_u32 v27, s17, v12, v22
	v_add_co_ci_u32_e64 v28, null, v13, v23, s17
	s_mov_b32 s17, exec_lo
                                        ; implicit-def: $vgpr22_vgpr23
                                        ; implicit-def: $vgpr20_vgpr21
	v_cmpx_lt_u32_e64 v10, v11
	s_cbranch_execz .LBB2047_151
; %bb.163:                              ;   in Loop: Header=BB2047_152 Depth=1
	v_mad_u64_u32 v[20:21], null, v4, 6, v[25:26]
	v_mad_u64_u32 v[21:22], null, v24, 6, v[27:28]
	s_barrier
	buffer_gl0_inv
	ds_write_b16 v25, v55
	ds_write_b16 v27, v64
	s_waitcnt lgkmcnt(0)
	s_barrier
	buffer_gl0_inv
	ds_read_u16 v67, v39
	ds_read_u16 v65, v52
	s_waitcnt lgkmcnt(0)
	s_barrier
	buffer_gl0_inv
	ds_write_b64 v20, v[18:19]
	ds_write_b64 v21, v[8:9]
	s_waitcnt lgkmcnt(0)
	s_barrier
	buffer_gl0_inv
	ds_read_b64 v[20:21], v50
	ds_read_b64 v[22:23], v53
	v_add_nc_u32_e32 v54, -8, v54
	s_xor_b32 s21, exec_lo, -1
	s_waitcnt lgkmcnt(0)
	s_barrier
	buffer_gl0_inv
	s_branch .LBB2047_151
.LBB2047_164:
	flat_load_dwordx2 v[48:49], v[4:5]
	v_mov_b32_e32 v50, v22
	v_mov_b32_e32 v51, v22
	;; [unrolled: 1-line block ×6, first 2 shown]
	s_waitcnt vmcnt(0) lgkmcnt(0)
	v_mov_b32_e32 v22, v48
	v_mov_b32_e32 v23, v49
	;; [unrolled: 1-line block ×8, first 2 shown]
	s_or_b32 exec_lo, exec_lo, s7
	s_and_saveexec_b32 s6, s4
	s_cbranch_execz .LBB2047_91
.LBB2047_165:
	flat_load_dwordx2 v[24:25], v[4:5] offset:256
	s_or_b32 exec_lo, exec_lo, s6
	s_and_saveexec_b32 s4, s5
	s_cbranch_execz .LBB2047_92
.LBB2047_166:
	flat_load_dwordx2 v[26:27], v[4:5] offset:512
	s_or_b32 exec_lo, exec_lo, s4
	s_and_saveexec_b32 s4, vcc_lo
	s_cbranch_execnz .LBB2047_93
	s_branch .LBB2047_94
.LBB2047_167:
	flat_store_dwordx2 v[0:1], v[12:13]
	s_or_b32 exec_lo, exec_lo, s7
	s_and_saveexec_b32 s7, s4
	s_cbranch_execz .LBB2047_136
.LBB2047_168:
	v_add_co_u32 v2, vcc_lo, 0x800, v0
	v_add_co_ci_u32_e64 v3, null, 0, v1, vcc_lo
	flat_store_dwordx2 v[2:3], v[14:15]
	s_or_b32 exec_lo, exec_lo, s7
	s_and_saveexec_b32 s4, s5
	s_cbranch_execz .LBB2047_137
.LBB2047_169:
	v_add_co_u32 v2, vcc_lo, 0x1000, v0
	v_add_co_ci_u32_e64 v3, null, 0, v1, vcc_lo
	flat_store_dwordx2 v[2:3], v[8:9]
	s_or_b32 exec_lo, exec_lo, s4
	s_and_saveexec_b32 s4, s6
	s_cbranch_execnz .LBB2047_138
	s_branch .LBB2047_139
.LBB2047_170:
	s_or_b32 exec_lo, exec_lo, s20
	v_mad_u64_u32 v[10:11], null, v4, 6, v[25:26]
	v_lshl_add_u32 v13, v30, 1, v12
	v_mad_u64_u32 v[11:12], null, v24, 6, v[27:28]
	v_mul_u32_u24_e32 v12, 6, v30
	s_barrier
	buffer_gl0_inv
	ds_write_b16 v25, v55
	ds_write_b16 v27, v64
	s_waitcnt lgkmcnt(0)
	s_barrier
	buffer_gl0_inv
	ds_read_u16 v5, v13
	ds_read_u16 v4, v13 offset:512
	s_waitcnt lgkmcnt(0)
	s_barrier
	buffer_gl0_inv
	ds_write_b64 v10, v[18:19]
	v_add_nc_u32_e32 v10, v13, v12
	ds_write_b64 v11, v[8:9]
	s_waitcnt lgkmcnt(0)
	s_barrier
	buffer_gl0_inv
	ds_read2st64_b64 v[8:11], v10 offset1:4
	v_mov_b32_e32 v15, 0
	v_add_co_u32 v2, vcc_lo, v2, v16
	v_add_co_ci_u32_e64 v3, null, v3, v17, vcc_lo
	v_lshlrev_b64 v[12:13], 1, v[14:15]
	s_waitcnt lgkmcnt(0)
	s_barrier
	buffer_gl0_inv
	v_add_co_u32 v2, vcc_lo, v2, v12
	v_add_co_ci_u32_e64 v3, null, v3, v13, vcc_lo
	v_cmp_lt_u32_e32 vcc_lo, v14, v128
	s_and_saveexec_b32 s5, vcc_lo
	s_cbranch_execz .LBB2047_172
; %bb.171:
	v_cmp_lt_i16_e64 s4, -1, v5
	v_cndmask_b32_e64 v12, 0xffff8000, -1, s4
	v_xor_b32_e32 v5, v12, v5
	flat_store_short v[2:3], v5
.LBB2047_172:
	s_or_b32 exec_lo, exec_lo, s5
	v_add_nc_u32_e32 v5, 0x100, v14
	v_cmp_lt_u32_e64 s4, v5, v128
	s_and_saveexec_b32 s6, s4
	s_cbranch_execz .LBB2047_174
; %bb.173:
	v_cmp_lt_i16_e64 s5, -1, v4
	v_cndmask_b32_e64 v5, 0xffff8000, -1, s5
	v_xor_b32_e32 v4, v5, v4
	flat_store_short v[2:3], v4 offset:512
.LBB2047_174:
	s_or_b32 exec_lo, exec_lo, s6
	v_lshlrev_b64 v[2:3], 3, v[14:15]
	v_add_co_u32 v0, s5, v6, v0
	v_add_co_ci_u32_e64 v1, null, v7, v1, s5
	v_add_co_u32 v0, s5, v0, v2
	v_add_co_ci_u32_e64 v1, null, v1, v3, s5
	s_and_saveexec_b32 s5, vcc_lo
	s_cbranch_execz .LBB2047_176
; %bb.175:
	flat_store_dwordx2 v[0:1], v[8:9]
.LBB2047_176:
	s_or_b32 exec_lo, exec_lo, s5
	s_and_saveexec_b32 s5, s4
	s_cbranch_execz .LBB2047_178
; %bb.177:
	v_add_co_u32 v0, vcc_lo, 0x800, v0
	v_add_co_ci_u32_e64 v1, null, 0, v1, vcc_lo
	flat_store_dwordx2 v[0:1], v[10:11]
.LBB2047_178:
	s_or_b32 exec_lo, exec_lo, s5
                                        ; implicit-def: $vgpr14_vgpr15
                                        ; implicit-def: $vgpr8_vgpr9
                                        ; implicit-def: $vgpr16_vgpr17
                                        ; implicit-def: $vgpr128
                                        ; implicit-def: $vgpr0
                                        ; implicit-def: $vgpr1
                                        ; implicit-def: $vgpr2
                                        ; implicit-def: $vgpr3
                                        ; implicit-def: $vgpr4
                                        ; implicit-def: $vgpr5
                                        ; implicit-def: $vgpr6
                                        ; implicit-def: $vgpr7
                                        ; implicit-def: $vgpr10
                                        ; implicit-def: $vgpr11
                                        ; implicit-def: $vgpr12
                                        ; implicit-def: $vgpr13
                                        ; implicit-def: $vgpr30
                                        ; implicit-def: $vgpr66
.LBB2047_179:
	s_andn2_saveexec_b32 s4, s18
	s_cbranch_execz .LBB2047_199
; %bb.180:
	v_and_b32_e32 v20, 0xffffffe0, v14
	v_or_b32_e32 v15, v66, v20
	v_cmp_lt_u32_e32 vcc_lo, v15, v128
	v_mov_b32_e32 v15, 0x7fff
	s_and_saveexec_b32 s5, vcc_lo
	s_cbranch_execz .LBB2047_182
; %bb.181:
	v_mov_b32_e32 v21, 0
	v_lshlrev_b32_e32 v15, 1, v66
	v_add_co_u32 v18, s4, v0, v16
	v_add_co_ci_u32_e64 v19, null, v1, v17, s4
	v_lshlrev_b64 v[0:1], 1, v[20:21]
	v_add_co_u32 v15, s4, v18, v15
	v_add_co_ci_u32_e64 v18, null, 0, v19, s4
	v_add_co_u32 v0, s4, v15, v0
	v_add_co_ci_u32_e64 v1, null, v18, v1, s4
	flat_load_ushort v15, v[0:1]
.LBB2047_182:
	s_or_b32 exec_lo, exec_lo, s5
	v_lshlrev_b64 v[0:1], 3, v[8:9]
                                        ; implicit-def: $vgpr18_vgpr19
	s_and_saveexec_b32 s4, vcc_lo
	s_cbranch_execz .LBB2047_184
; %bb.183:
	v_mov_b32_e32 v21, 0
	v_lshlrev_b32_e32 v8, 3, v66
	v_add_co_u32 v9, vcc_lo, v4, v0
	v_add_co_ci_u32_e64 v18, null, v5, v1, vcc_lo
	v_lshlrev_b64 v[4:5], 3, v[20:21]
	v_add_co_u32 v8, vcc_lo, v9, v8
	v_add_co_ci_u32_e64 v9, null, 0, v18, vcc_lo
	v_add_co_u32 v4, vcc_lo, v8, v4
	v_add_co_ci_u32_e64 v5, null, v9, v5, vcc_lo
	flat_load_dwordx2 v[18:19], v[4:5]
.LBB2047_184:
	s_or_b32 exec_lo, exec_lo, s4
	s_waitcnt vmcnt(0) lgkmcnt(0)
	v_cmp_lt_i16_e32 vcc_lo, -1, v15
	v_lshl_add_u32 v5, v30, 5, v12
	v_sub_co_u32 v20, s6, v66, 1
	s_getpc_b64 s[4:5]
	s_add_u32 s4, s4, _ZN7rocprim17ROCPRIM_400000_NS16block_radix_sortI12hip_bfloat16Lj256ELj1ElLj1ELj1ELj8ELNS0_26block_radix_rank_algorithmE2ELNS0_18block_padding_hintE2ELNS0_4arch9wavefront6targetE0EE19radix_bits_per_passE@rel32@lo+4
	s_addc_u32 s5, s5, _ZN7rocprim17ROCPRIM_400000_NS16block_radix_sortI12hip_bfloat16Lj256ELj1ElLj1ELj1ELj8ELNS0_26block_radix_rank_algorithmE2ELNS0_18block_padding_hintE2ELNS0_4arch9wavefront6targetE0EE19radix_bits_per_passE@rel32@hi+12
	v_cndmask_b32_e64 v4, -1, 0xffff8000, vcc_lo
	v_add_nc_u32_e32 v22, 36, v5
	v_add_nc_u32_e32 v23, 40, v5
	;; [unrolled: 1-line block ×4, first 2 shown]
	v_xor_b32_e32 v39, v4, v15
	v_add_nc_u32_e32 v15, 32, v5
	v_add_nc_u32_e32 v26, 52, v5
	;; [unrolled: 1-line block ×4, first 2 shown]
	v_and_b32_e32 v5, 0x3e0, v30
	v_and_b32_e32 v4, 15, v66
	s_load_dword s18, s[4:5], 0x0
	v_and_b32_e32 v9, 16, v66
	v_cmp_gt_i32_e64 s9, 0, v20
	v_min_u32_e32 v8, 0xe0, v5
	v_cmp_eq_u32_e32 vcc_lo, 0, v4
	v_cmp_lt_u32_e64 s4, 1, v4
	v_cmp_lt_u32_e64 s5, 3, v4
	;; [unrolled: 1-line block ×3, first 2 shown]
	v_or_b32_e32 v4, 31, v8
	v_lshrrev_b32_e32 v8, 3, v30
	v_cmp_eq_u32_e64 s8, 0, v9
	v_cndmask_b32_e64 v9, v20, v66, s9
	v_lshrrev_b32_e32 v29, 5, v14
	v_cmp_eq_u32_e64 s9, v30, v4
	v_and_b32_e32 v4, 0x7c, v8
	v_or_b32_e32 v8, v66, v5
	v_cmp_gt_u32_e64 s10, 8, v30
	v_cmp_lt_u32_e64 s11, 31, v30
	v_lshlrev_b32_e32 v31, 2, v9
	v_add_nc_u32_e32 v32, v12, v4
	v_and_b32_e32 v4, 7, v66
	v_lshl_add_u32 v34, v8, 1, v12
	v_mul_u32_u24_e32 v8, 6, v8
	v_cmp_eq_u32_e64 s12, 0, v30
	v_mov_b32_e32 v5, 0
	v_lshl_add_u32 v33, v30, 2, v12
	v_cmp_eq_u32_e64 s13, 0, v4
	v_cmp_lt_u32_e64 s14, 1, v4
	v_cmp_lt_u32_e64 s15, 3, v4
	v_add_nc_u32_e32 v35, -4, v32
	v_add_nc_u32_e32 v36, v34, v8
	v_sub_nc_u32_e32 v37, v11, v10
	s_mov_b32 s19, 0
	s_waitcnt lgkmcnt(0)
	s_waitcnt_vscnt null, 0x0
	s_barrier
	buffer_gl0_inv
	s_branch .LBB2047_186
.LBB2047_185:                           ;   in Loop: Header=BB2047_186 Depth=1
	s_or_b32 exec_lo, exec_lo, s17
	s_and_b32 s16, exec_lo, s20
	s_or_b32 s19, s16, s19
	s_andn2_b32 exec_lo, exec_lo, s19
	s_cbranch_execz .LBB2047_196
.LBB2047_186:                           ; =>This Inner Loop Header: Depth=1
	v_mov_b32_e32 v38, v39
	v_min_u32_e32 v8, s18, v37
	ds_write_b32 v15, v5
	ds_write_b32 v22, v5
	;; [unrolled: 1-line block ×5, first 2 shown]
	v_cmp_ne_u16_e64 s16, 0x7fff, v38
	ds_write_b32 v26, v5
	ds_write_b32 v27, v5
	;; [unrolled: 1-line block ×3, first 2 shown]
	s_waitcnt lgkmcnt(0)
	s_barrier
	v_cndmask_b32_e64 v4, 0xffff8000, v38, s16
	buffer_gl0_inv
	; wave barrier
	v_lshrrev_b32_sdwa v4, v10, v4 dst_sel:DWORD dst_unused:UNUSED_PAD src0_sel:DWORD src1_sel:WORD_0
	v_bfe_u32 v4, v4, 0, v8
	v_and_b32_e32 v8, 1, v4
	v_lshlrev_b32_e32 v9, 30, v4
	v_lshlrev_b32_e32 v20, 29, v4
	;; [unrolled: 1-line block ×4, first 2 shown]
	v_add_co_u32 v8, s16, v8, -1
	v_cndmask_b32_e64 v39, 0, 1, s16
	v_not_b32_e32 v51, v9
	v_cmp_gt_i32_e64 s17, 0, v9
	v_not_b32_e32 v9, v20
	v_lshlrev_b32_e32 v49, 26, v4
	v_cmp_ne_u32_e64 s16, 0, v39
	v_ashrrev_i32_e32 v51, 31, v51
	v_lshlrev_b32_e32 v50, 25, v4
	v_ashrrev_i32_e32 v9, 31, v9
	v_lshlrev_b32_e32 v39, 24, v4
	v_xor_b32_e32 v8, s16, v8
	v_cmp_gt_i32_e64 s16, 0, v20
	v_not_b32_e32 v20, v21
	v_xor_b32_e32 v51, s17, v51
	v_cmp_gt_i32_e64 s17, 0, v21
	v_and_b32_e32 v8, exec_lo, v8
	v_not_b32_e32 v21, v48
	v_ashrrev_i32_e32 v20, 31, v20
	v_xor_b32_e32 v9, s16, v9
	v_cmp_gt_i32_e64 s16, 0, v48
	v_and_b32_e32 v8, v8, v51
	v_not_b32_e32 v48, v49
	v_ashrrev_i32_e32 v21, 31, v21
	v_xor_b32_e32 v20, s17, v20
	v_cmp_gt_i32_e64 s17, 0, v49
	v_and_b32_e32 v8, v8, v9
	;; [unrolled: 5-line block ×4, first 2 shown]
	v_ashrrev_i32_e32 v20, 31, v20
	v_xor_b32_e32 v21, s16, v9
	v_lshlrev_b32_e32 v4, 3, v4
	v_and_b32_e32 v39, v8, v48
	v_mov_b32_e32 v8, v18
	v_mov_b32_e32 v9, v19
	v_xor_b32_e32 v18, s17, v20
	v_and_b32_e32 v19, v39, v21
	v_and_b32_e32 v19, v19, v18
	v_add_lshl_u32 v18, v4, v29, 2
	v_mbcnt_lo_u32_b32 v4, v19, 0
	v_add_co_u32 v18, null, v12, v18
	v_cmp_ne_u32_e64 s17, 0, v19
	v_cmp_eq_u32_e64 s16, 0, v4
	v_add_co_u32 v18, null, v18, 32
	s_and_b32 s17, s17, s16
	s_and_saveexec_b32 s16, s17
; %bb.187:                              ;   in Loop: Header=BB2047_186 Depth=1
	v_bcnt_u32_b32 v19, v19, 0
	ds_write_b32 v18, v19
; %bb.188:                              ;   in Loop: Header=BB2047_186 Depth=1
	s_or_b32 exec_lo, exec_lo, s16
	; wave barrier
	s_waitcnt lgkmcnt(0)
	s_barrier
	buffer_gl0_inv
	ds_read_b32 v20, v15
	ds_read_b32 v21, v22
	ds_read_b32 v39, v23
	ds_read_b32 v48, v24
	ds_read_b32 v49, v25
	ds_read_b32 v50, v26
	ds_read_b32 v19, v27
	ds_read_b32 v51, v28
	s_waitcnt lgkmcnt(6)
	v_add_nc_u32_e32 v52, v21, v20
	s_waitcnt lgkmcnt(4)
	v_add3_u32 v52, v52, v39, v48
	s_waitcnt lgkmcnt(2)
	v_add3_u32 v52, v52, v49, v50
	;; [unrolled: 2-line block ×3, first 2 shown]
	v_mov_b32_dpp v52, v51 row_shr:1 row_mask:0xf bank_mask:0xf
	v_cndmask_b32_e64 v52, v52, 0, vcc_lo
	v_add_nc_u32_e32 v51, v52, v51
	v_mov_b32_dpp v52, v51 row_shr:2 row_mask:0xf bank_mask:0xf
	v_cndmask_b32_e64 v52, 0, v52, s4
	v_add_nc_u32_e32 v51, v51, v52
	v_mov_b32_dpp v52, v51 row_shr:4 row_mask:0xf bank_mask:0xf
	v_cndmask_b32_e64 v52, 0, v52, s5
	;; [unrolled: 3-line block ×3, first 2 shown]
	v_add_nc_u32_e32 v51, v51, v52
	ds_swizzle_b32 v52, v51 offset:swizzle(BROADCAST,32,15)
	s_waitcnt lgkmcnt(0)
	v_cndmask_b32_e64 v52, v52, 0, s8
	v_add_nc_u32_e32 v51, v51, v52
	s_and_saveexec_b32 s16, s9
; %bb.189:                              ;   in Loop: Header=BB2047_186 Depth=1
	ds_write_b32 v32, v51
; %bb.190:                              ;   in Loop: Header=BB2047_186 Depth=1
	s_or_b32 exec_lo, exec_lo, s16
	s_waitcnt lgkmcnt(0)
	s_barrier
	buffer_gl0_inv
	s_and_saveexec_b32 s16, s10
	s_cbranch_execz .LBB2047_192
; %bb.191:                              ;   in Loop: Header=BB2047_186 Depth=1
	ds_read_b32 v52, v33
	s_waitcnt lgkmcnt(0)
	v_mov_b32_dpp v53, v52 row_shr:1 row_mask:0xf bank_mask:0xf
	v_cndmask_b32_e64 v53, v53, 0, s13
	v_add_nc_u32_e32 v52, v53, v52
	v_mov_b32_dpp v53, v52 row_shr:2 row_mask:0xf bank_mask:0xf
	v_cndmask_b32_e64 v53, 0, v53, s14
	v_add_nc_u32_e32 v52, v52, v53
	;; [unrolled: 3-line block ×3, first 2 shown]
	ds_write_b32 v33, v52
.LBB2047_192:                           ;   in Loop: Header=BB2047_186 Depth=1
	s_or_b32 exec_lo, exec_lo, s16
	v_mov_b32_e32 v52, 0
	s_waitcnt lgkmcnt(0)
	s_barrier
	buffer_gl0_inv
	s_and_saveexec_b32 s16, s11
; %bb.193:                              ;   in Loop: Header=BB2047_186 Depth=1
	ds_read_b32 v52, v35
; %bb.194:                              ;   in Loop: Header=BB2047_186 Depth=1
	s_or_b32 exec_lo, exec_lo, s16
	s_waitcnt lgkmcnt(0)
	v_add_nc_u32_e32 v51, v52, v51
	v_add_nc_u32_e32 v10, 8, v10
	s_mov_b32 s20, -1
	ds_bpermute_b32 v51, v31, v51
	s_waitcnt lgkmcnt(0)
	v_cndmask_b32_e64 v51, v51, v52, s6
	v_cndmask_b32_e64 v51, v51, 0, s12
	v_add_nc_u32_e32 v20, v51, v20
	v_add_nc_u32_e32 v21, v20, v21
	ds_write_b32 v15, v51
	ds_write_b32 v22, v20
	;; [unrolled: 1-line block ×3, first 2 shown]
	v_add_nc_u32_e32 v39, v21, v39
	v_add_nc_u32_e32 v48, v39, v48
	;; [unrolled: 1-line block ×5, first 2 shown]
	ds_write_b32 v24, v39
	ds_write_b32 v25, v48
	;; [unrolled: 1-line block ×5, first 2 shown]
	s_waitcnt lgkmcnt(0)
	s_barrier
	buffer_gl0_inv
	ds_read_b32 v18, v18
	s_waitcnt lgkmcnt(0)
                                        ; implicit-def: $vgpr39
	v_add_nc_u32_e32 v4, v18, v4
	v_lshlrev_b64 v[18:19], 1, v[4:5]
	v_add_co_u32 v20, s17, v12, v18
	v_add_co_ci_u32_e64 v21, null, v13, v19, s17
	s_mov_b32 s17, exec_lo
                                        ; implicit-def: $vgpr18_vgpr19
	v_cmpx_lt_u32_e64 v10, v11
	s_cbranch_execz .LBB2047_185
; %bb.195:                              ;   in Loop: Header=BB2047_186 Depth=1
	v_mad_u64_u32 v[18:19], null, v4, 6, v[20:21]
	s_barrier
	buffer_gl0_inv
	ds_write_b16 v20, v38
	s_waitcnt lgkmcnt(0)
	s_barrier
	buffer_gl0_inv
	ds_read_u16 v39, v34
	s_waitcnt lgkmcnt(0)
	s_barrier
	buffer_gl0_inv
	ds_write_b64 v18, v[8:9]
	s_waitcnt lgkmcnt(0)
	s_barrier
	buffer_gl0_inv
	ds_read_b64 v[18:19], v36
	v_add_nc_u32_e32 v37, -8, v37
	s_xor_b32 s20, exec_lo, -1
	s_waitcnt lgkmcnt(0)
	s_barrier
	buffer_gl0_inv
	s_branch .LBB2047_185
.LBB2047_196:
	s_or_b32 exec_lo, exec_lo, s19
	v_mad_u64_u32 v[4:5], null, v4, 6, v[20:21]
	v_lshl_add_u32 v11, v30, 1, v12
	v_mul_u32_u24_e32 v5, 6, v30
	s_barrier
	buffer_gl0_inv
	ds_write_b16 v20, v38
	s_waitcnt lgkmcnt(0)
	v_add_nc_u32_e32 v5, v11, v5
	s_barrier
	buffer_gl0_inv
	ds_read_u16 v10, v11
	s_waitcnt lgkmcnt(0)
	s_barrier
	buffer_gl0_inv
	ds_write_b64 v4, v[8:9]
	s_waitcnt lgkmcnt(0)
	s_barrier
	buffer_gl0_inv
	ds_read_b64 v[4:5], v5
	s_mov_b32 s4, exec_lo
	s_waitcnt lgkmcnt(0)
	s_barrier
	buffer_gl0_inv
	v_cmpx_lt_u32_e64 v14, v128
	s_cbranch_execz .LBB2047_198
; %bb.197:
	v_add_co_u32 v8, vcc_lo, v6, v0
	v_mov_b32_e32 v15, 0
	v_add_co_ci_u32_e64 v9, null, v7, v1, vcc_lo
	v_cmp_lt_i16_e32 vcc_lo, -1, v10
	v_lshlrev_b64 v[6:7], 1, v[14:15]
	v_lshlrev_b64 v[0:1], 3, v[14:15]
	v_cndmask_b32_e64 v11, 0xffff8000, -1, vcc_lo
	v_add_co_u32 v2, vcc_lo, v2, v16
	v_add_co_ci_u32_e64 v3, null, v3, v17, vcc_lo
	v_xor_b32_e32 v10, v11, v10
	v_add_co_u32 v2, vcc_lo, v2, v6
	v_add_co_ci_u32_e64 v3, null, v3, v7, vcc_lo
	v_add_co_u32 v0, vcc_lo, v8, v0
	v_add_co_ci_u32_e64 v1, null, v9, v1, vcc_lo
	flat_store_short v[2:3], v10
	flat_store_dwordx2 v[0:1], v[4:5]
.LBB2047_198:
	s_or_b32 exec_lo, exec_lo, s4
.LBB2047_199:
	s_or_b32 exec_lo, exec_lo, s22
	s_waitcnt lgkmcnt(0)
	s_setpc_b64 s[30:31]
.Lfunc_end2047:
	.size	_ZN7rocprim17ROCPRIM_400000_NS6detail40segmented_radix_sort_single_block_helperI12hip_bfloat16lLj256ELj8ELb0EE4sortIPKS3_PS3_PKlPlEEbT_T0_T1_T2_jjjjRNS4_12storage_typeE, .Lfunc_end2047-_ZN7rocprim17ROCPRIM_400000_NS6detail40segmented_radix_sort_single_block_helperI12hip_bfloat16lLj256ELj8ELb0EE4sortIPKS3_PS3_PKlPlEEbT_T0_T1_T2_jjjjRNS4_12storage_typeE
                                        ; -- End function
	.set .L_ZN7rocprim17ROCPRIM_400000_NS6detail40segmented_radix_sort_single_block_helperI12hip_bfloat16lLj256ELj8ELb0EE4sortIPKS3_PS3_PKlPlEEbT_T0_T1_T2_jjjjRNS4_12storage_typeE.num_vgpr, 184
	.set .L_ZN7rocprim17ROCPRIM_400000_NS6detail40segmented_radix_sort_single_block_helperI12hip_bfloat16lLj256ELj8ELb0EE4sortIPKS3_PS3_PKlPlEEbT_T0_T1_T2_jjjjRNS4_12storage_typeE.num_agpr, 0
	.set .L_ZN7rocprim17ROCPRIM_400000_NS6detail40segmented_radix_sort_single_block_helperI12hip_bfloat16lLj256ELj8ELb0EE4sortIPKS3_PS3_PKlPlEEbT_T0_T1_T2_jjjjRNS4_12storage_typeE.numbered_sgpr, 32
	.set .L_ZN7rocprim17ROCPRIM_400000_NS6detail40segmented_radix_sort_single_block_helperI12hip_bfloat16lLj256ELj8ELb0EE4sortIPKS3_PS3_PKlPlEEbT_T0_T1_T2_jjjjRNS4_12storage_typeE.num_named_barrier, 0
	.set .L_ZN7rocprim17ROCPRIM_400000_NS6detail40segmented_radix_sort_single_block_helperI12hip_bfloat16lLj256ELj8ELb0EE4sortIPKS3_PS3_PKlPlEEbT_T0_T1_T2_jjjjRNS4_12storage_typeE.private_seg_size, 0
	.set .L_ZN7rocprim17ROCPRIM_400000_NS6detail40segmented_radix_sort_single_block_helperI12hip_bfloat16lLj256ELj8ELb0EE4sortIPKS3_PS3_PKlPlEEbT_T0_T1_T2_jjjjRNS4_12storage_typeE.uses_vcc, 1
	.set .L_ZN7rocprim17ROCPRIM_400000_NS6detail40segmented_radix_sort_single_block_helperI12hip_bfloat16lLj256ELj8ELb0EE4sortIPKS3_PS3_PKlPlEEbT_T0_T1_T2_jjjjRNS4_12storage_typeE.uses_flat_scratch, 0
	.set .L_ZN7rocprim17ROCPRIM_400000_NS6detail40segmented_radix_sort_single_block_helperI12hip_bfloat16lLj256ELj8ELb0EE4sortIPKS3_PS3_PKlPlEEbT_T0_T1_T2_jjjjRNS4_12storage_typeE.has_dyn_sized_stack, 0
	.set .L_ZN7rocprim17ROCPRIM_400000_NS6detail40segmented_radix_sort_single_block_helperI12hip_bfloat16lLj256ELj8ELb0EE4sortIPKS3_PS3_PKlPlEEbT_T0_T1_T2_jjjjRNS4_12storage_typeE.has_recursion, 0
	.set .L_ZN7rocprim17ROCPRIM_400000_NS6detail40segmented_radix_sort_single_block_helperI12hip_bfloat16lLj256ELj8ELb0EE4sortIPKS3_PS3_PKlPlEEbT_T0_T1_T2_jjjjRNS4_12storage_typeE.has_indirect_call, 0
	.section	.AMDGPU.csdata,"",@progbits
; Function info:
; codeLenInByte = 16500
; TotalNumSgprs: 34
; NumVgprs: 184
; ScratchSize: 0
; MemoryBound: 1
	.section	.text._ZN7rocprim17ROCPRIM_400000_NS6detail17trampoline_kernelINS0_14default_configENS1_36segmented_radix_sort_config_selectorI12hip_bfloat16lEEZNS1_25segmented_radix_sort_implIS3_Lb0EPKS5_PS5_PKlPlN2at6native12_GLOBAL__N_18offset_tEEE10hipError_tPvRmT1_PNSt15iterator_traitsISL_E10value_typeET2_T3_PNSM_ISR_E10value_typeET4_jRbjT5_SX_jjP12ihipStream_tbEUlT_E_NS1_11comp_targetILNS1_3genE8ELNS1_11target_archE1030ELNS1_3gpuE2ELNS1_3repE0EEENS1_30default_config_static_selectorELNS0_4arch9wavefront6targetE0EEEvSL_,"axG",@progbits,_ZN7rocprim17ROCPRIM_400000_NS6detail17trampoline_kernelINS0_14default_configENS1_36segmented_radix_sort_config_selectorI12hip_bfloat16lEEZNS1_25segmented_radix_sort_implIS3_Lb0EPKS5_PS5_PKlPlN2at6native12_GLOBAL__N_18offset_tEEE10hipError_tPvRmT1_PNSt15iterator_traitsISL_E10value_typeET2_T3_PNSM_ISR_E10value_typeET4_jRbjT5_SX_jjP12ihipStream_tbEUlT_E_NS1_11comp_targetILNS1_3genE8ELNS1_11target_archE1030ELNS1_3gpuE2ELNS1_3repE0EEENS1_30default_config_static_selectorELNS0_4arch9wavefront6targetE0EEEvSL_,comdat
	.globl	_ZN7rocprim17ROCPRIM_400000_NS6detail17trampoline_kernelINS0_14default_configENS1_36segmented_radix_sort_config_selectorI12hip_bfloat16lEEZNS1_25segmented_radix_sort_implIS3_Lb0EPKS5_PS5_PKlPlN2at6native12_GLOBAL__N_18offset_tEEE10hipError_tPvRmT1_PNSt15iterator_traitsISL_E10value_typeET2_T3_PNSM_ISR_E10value_typeET4_jRbjT5_SX_jjP12ihipStream_tbEUlT_E_NS1_11comp_targetILNS1_3genE8ELNS1_11target_archE1030ELNS1_3gpuE2ELNS1_3repE0EEENS1_30default_config_static_selectorELNS0_4arch9wavefront6targetE0EEEvSL_ ; -- Begin function _ZN7rocprim17ROCPRIM_400000_NS6detail17trampoline_kernelINS0_14default_configENS1_36segmented_radix_sort_config_selectorI12hip_bfloat16lEEZNS1_25segmented_radix_sort_implIS3_Lb0EPKS5_PS5_PKlPlN2at6native12_GLOBAL__N_18offset_tEEE10hipError_tPvRmT1_PNSt15iterator_traitsISL_E10value_typeET2_T3_PNSM_ISR_E10value_typeET4_jRbjT5_SX_jjP12ihipStream_tbEUlT_E_NS1_11comp_targetILNS1_3genE8ELNS1_11target_archE1030ELNS1_3gpuE2ELNS1_3repE0EEENS1_30default_config_static_selectorELNS0_4arch9wavefront6targetE0EEEvSL_
	.p2align	8
	.type	_ZN7rocprim17ROCPRIM_400000_NS6detail17trampoline_kernelINS0_14default_configENS1_36segmented_radix_sort_config_selectorI12hip_bfloat16lEEZNS1_25segmented_radix_sort_implIS3_Lb0EPKS5_PS5_PKlPlN2at6native12_GLOBAL__N_18offset_tEEE10hipError_tPvRmT1_PNSt15iterator_traitsISL_E10value_typeET2_T3_PNSM_ISR_E10value_typeET4_jRbjT5_SX_jjP12ihipStream_tbEUlT_E_NS1_11comp_targetILNS1_3genE8ELNS1_11target_archE1030ELNS1_3gpuE2ELNS1_3repE0EEENS1_30default_config_static_selectorELNS0_4arch9wavefront6targetE0EEEvSL_,@function
_ZN7rocprim17ROCPRIM_400000_NS6detail17trampoline_kernelINS0_14default_configENS1_36segmented_radix_sort_config_selectorI12hip_bfloat16lEEZNS1_25segmented_radix_sort_implIS3_Lb0EPKS5_PS5_PKlPlN2at6native12_GLOBAL__N_18offset_tEEE10hipError_tPvRmT1_PNSt15iterator_traitsISL_E10value_typeET2_T3_PNSM_ISR_E10value_typeET4_jRbjT5_SX_jjP12ihipStream_tbEUlT_E_NS1_11comp_targetILNS1_3genE8ELNS1_11target_archE1030ELNS1_3gpuE2ELNS1_3repE0EEENS1_30default_config_static_selectorELNS0_4arch9wavefront6targetE0EEEvSL_: ; @_ZN7rocprim17ROCPRIM_400000_NS6detail17trampoline_kernelINS0_14default_configENS1_36segmented_radix_sort_config_selectorI12hip_bfloat16lEEZNS1_25segmented_radix_sort_implIS3_Lb0EPKS5_PS5_PKlPlN2at6native12_GLOBAL__N_18offset_tEEE10hipError_tPvRmT1_PNSt15iterator_traitsISL_E10value_typeET2_T3_PNSM_ISR_E10value_typeET4_jRbjT5_SX_jjP12ihipStream_tbEUlT_E_NS1_11comp_targetILNS1_3genE8ELNS1_11target_archE1030ELNS1_3gpuE2ELNS1_3repE0EEENS1_30default_config_static_selectorELNS0_4arch9wavefront6targetE0EEEvSL_
; %bb.0:
	s_load_dwordx2 s[12:13], s[4:5], 0x38
	s_mov_b32 s27, s7
	s_mov_b32 s7, 0
	s_add_u32 s0, s0, s8
	s_addc_u32 s1, s1, 0
	s_lshl_b64 s[14:15], s[6:7], 2
	s_load_dwordx4 s[8:11], s[4:5], 0x40
	s_mov_b32 s32, 0
	s_waitcnt lgkmcnt(0)
	s_add_u32 s12, s12, s14
	s_addc_u32 s13, s13, s15
	s_load_dword s7, s[12:13], 0x0
	s_waitcnt lgkmcnt(0)
	s_add_i32 s29, s7, s9
	s_add_i32 s33, s7, s11
	s_mul_i32 s29, s29, s8
	s_mul_i32 s33, s33, s10
	s_cmp_le_u32 s33, s29
	s_cbranch_scc1 .LBB2048_670
; %bb.1:
	s_clause 0x3
	s_load_dword s7, s[4:5], 0x30
	s_load_dwordx4 s[44:47], s[4:5], 0x20
	s_load_dwordx4 s[48:51], s[4:5], 0x50
	s_load_dwordx8 s[36:43], s[4:5], 0x0
	s_waitcnt lgkmcnt(0)
	s_bitcmp1_b32 s7, 0
	s_mov_b32 s7, -1
	s_cselect_b32 s51, -1, 0
	s_sub_i32 s52, s33, s29
	s_cmpk_lt_u32 s52, 0x801
	s_cbranch_scc0 .LBB2048_7
; %bb.2:
	v_cndmask_b32_e64 v3, 0, 1, s51
	s_and_b32 s7, s48, 1
	v_lshlrev_b32_e32 v41, 20, v2
	v_lshlrev_b32_e32 v42, 10, v1
	v_cmp_ne_u32_e32 vcc_lo, s7, v3
	s_mov_b32 s7, -1
	s_cbranch_vccnz .LBB2048_4
; %bb.3:
	s_mov_b64 s[10:11], src_shared_base
	v_or3_b32 v31, v0, v42, v41
	v_mov_b32_e32 v40, v0
	v_mov_b32_e32 v0, s36
	;; [unrolled: 1-line block ×17, first 2 shown]
	s_add_u32 s8, s4, 0x60
	s_addc_u32 s9, s5, 0
	s_getpc_b64 s[14:15]
	s_add_u32 s14, s14, _ZN7rocprim17ROCPRIM_400000_NS6detail40segmented_radix_sort_single_block_helperI12hip_bfloat16lLj256ELj8ELb0EE4sortIPKS3_PS3_PKlPlEEbT_T0_T1_T2_jjjjRNS4_12storage_typeE@rel32@lo+4
	s_addc_u32 s15, s15, _ZN7rocprim17ROCPRIM_400000_NS6detail40segmented_radix_sort_single_block_helperI12hip_bfloat16lLj256ELj8ELb0EE4sortIPKS3_PS3_PKlPlEEbT_T0_T1_T2_jjjjRNS4_12storage_typeE@rel32@hi+12
	s_mov_b32 s12, s6
	s_mov_b32 s13, s27
	;; [unrolled: 1-line block ×3, first 2 shown]
	s_mov_b64 s[34:35], s[4:5]
	s_swappc_b64 s[30:31], s[14:15]
	v_mov_b32_e32 v1, v43
	v_mov_b32_e32 v2, v44
	;; [unrolled: 1-line block ×3, first 2 shown]
	s_mov_b64 s[4:5], s[34:35]
	s_mov_b32 s6, s28
	s_mov_b32 s7, 0
.LBB2048_4:
	s_andn2_b32 vcc_lo, exec_lo, s7
	s_cbranch_vccnz .LBB2048_6
; %bb.5:
	s_mov_b64 s[10:11], src_shared_base
	v_or3_b32 v31, v0, v42, v41
	v_mov_b32_e32 v40, v0
	v_mov_b32_e32 v0, s36
	;; [unrolled: 1-line block ×17, first 2 shown]
	s_add_u32 s8, s4, 0x60
	s_addc_u32 s9, s5, 0
	s_getpc_b64 s[14:15]
	s_add_u32 s14, s14, _ZN7rocprim17ROCPRIM_400000_NS6detail40segmented_radix_sort_single_block_helperI12hip_bfloat16lLj256ELj8ELb0EE4sortIPKS3_PS3_PKlPlEEbT_T0_T1_T2_jjjjRNS4_12storage_typeE@rel32@lo+4
	s_addc_u32 s15, s15, _ZN7rocprim17ROCPRIM_400000_NS6detail40segmented_radix_sort_single_block_helperI12hip_bfloat16lLj256ELj8ELb0EE4sortIPKS3_PS3_PKlPlEEbT_T0_T1_T2_jjjjRNS4_12storage_typeE@rel32@hi+12
	s_mov_b32 s12, s6
	s_mov_b32 s13, s27
	;; [unrolled: 1-line block ×3, first 2 shown]
	s_mov_b64 s[34:35], s[4:5]
	s_swappc_b64 s[30:31], s[14:15]
	v_mov_b32_e32 v1, v41
	v_mov_b32_e32 v2, v42
	;; [unrolled: 1-line block ×3, first 2 shown]
	s_mov_b64 s[4:5], s[34:35]
	s_mov_b32 s6, s28
.LBB2048_6:
	s_mov_b32 s7, 0
.LBB2048_7:
	s_andn2_b32 vcc_lo, exec_lo, s7
	s_cbranch_vccnz .LBB2048_670
; %bb.8:
	s_cmp_ge_u32 s49, s50
	s_cbranch_scc1 .LBB2048_670
; %bb.9:
	v_lshlrev_b32_e32 v29, 2, v0
	v_and_b32_e32 v4, 3, v0
	v_lshrrev_b32_e32 v5, 3, v0
	v_or_b32_e32 v6, 31, v0
	v_lshlrev_b32_e32 v3, 1, v0
	v_mad_u32_u24 v41, v0, 12, v29
	v_lshlrev_b32_e32 v40, 2, v4
	v_lshlrev_b32_e32 v4, 3, v0
	v_and_b32_e32 v39, 28, v5
	v_lshlrev_b32_e32 v5, 5, v0
	v_mad_u32_u24 v44, v0, 20, v41
	v_cmp_eq_u32_e64 s8, v0, v6
	v_and_b32_e32 v4, 0x700, v4
	v_mbcnt_lo_u32_b32 v59, -1, 0
	v_or_b32_e32 v35, 0x400, v0
	v_sub_nc_u32_e32 v46, v44, v5
	v_or_b32_e32 v36, 0x500, v0
	v_lshlrev_b32_e32 v5, 3, v4
	v_lshlrev_b32_e32 v6, 1, v4
	;; [unrolled: 1-line block ×4, first 2 shown]
	v_or_b32_e32 v37, 0x600, v0
	v_add_co_u32 v7, s12, s46, v5
	v_add_co_ci_u32_e64 v8, null, s47, 0, s12
	v_add_co_u32 v9, s12, s40, v6
	v_add_co_ci_u32_e64 v10, null, s41, 0, s12
	;; [unrolled: 2-line block ×5, first 2 shown]
	v_add_co_u32 v55, s12, s36, v3
	v_or_b32_e32 v38, 0x700, v0
	v_or_b32_e32 v66, v59, v4
	v_add_co_ci_u32_e64 v56, null, s37, 0, s12
	v_add_co_u32 v57, s12, s42, v5
	v_add_co_u32 v83, vcc_lo, v7, v69
	v_add_co_u32 v33, s7, s40, v3
	v_add_co_ci_u32_e64 v58, null, s43, 0, s12
	v_add_co_u32 v60, s12, s36, v6
	v_add_co_ci_u32_e64 v84, null, 0, v8, vcc_lo
	v_add_co_u32 v85, vcc_lo, v9, v77
	v_or_b32_e32 v30, 0x100, v0
	v_or_b32_e32 v31, 0x200, v0
	;; [unrolled: 1-line block ×3, first 2 shown]
	v_add_co_ci_u32_e64 v34, null, s41, 0, s7
	v_cmp_gt_u32_e64 s7, 0x100, v0
	v_or_b32_e32 v42, 0x4400, v39
	v_cmp_gt_u32_e64 s9, 8, v0
	v_or_b32_e32 v43, 0x4400, v29
	v_cmp_lt_u32_e64 s10, 31, v0
	v_add_nc_u32_e32 v45, 0x43fc, v39
	s_add_u32 s30, s4, 0x60
	v_cmp_eq_u32_e64 s4, 0, v0
	v_cmp_ne_u32_e64 s11, 0xff, v0
	v_sub_nc_u32_e32 v47, v46, v3
	v_mul_u32_u24_e32 v48, 6, v0
	v_add_co_ci_u32_e64 v61, null, s37, 0, s12
	v_mov_b32_e32 v62, 1
	v_and_b32_e32 v63, 15, v59
	v_bfe_i32 v64, v59, 4, 1
	v_and_b32_e32 v65, 16, v59
	v_and_b32_e32 v67, 7, v59
	v_sub_co_u32 v68, s12, v59, 1
	v_or_b32_e32 v70, 32, v66
	v_or_b32_e32 v71, 64, v66
	;; [unrolled: 1-line block ×7, first 2 shown]
	v_add_nc_u32_e32 v78, 0x420, v44
	v_lshlrev_b32_e32 v79, 1, v0
	v_lshlrev_b32_e32 v80, 1, v35
	;; [unrolled: 1-line block ×4, first 2 shown]
	v_add_co_ci_u32_e64 v86, null, 0, v10, vcc_lo
	v_lshlrev_b32_e32 v87, 1, v38
	v_add_nc_u32_e32 v88, 0x428, v44
	v_add_nc_u32_e32 v89, 0x430, v44
	;; [unrolled: 1-line block ×3, first 2 shown]
	v_mov_b32_e32 v4, 0
	s_addc_u32 s31, s5, 0
	s_mov_b32 s35, 0
	s_mov_b32 s42, s49
	s_branch .LBB2048_12
.LBB2048_10:                            ;   in Loop: Header=BB2048_12 Depth=1
	s_waitcnt lgkmcnt(0)
	s_barrier
.LBB2048_11:                            ;   in Loop: Header=BB2048_12 Depth=1
	s_add_i32 s42, s42, 8
	buffer_gl0_inv
	s_cmp_ge_u32 s42, s50
	s_cbranch_scc1 .LBB2048_670
.LBB2048_12:                            ; =>This Loop Header: Depth=1
                                        ;     Child Loop BB2048_16 Depth 2
                                        ;     Child Loop BB2048_64 Depth 2
	;; [unrolled: 1-line block ×8, first 2 shown]
	s_sub_i32 s5, s50, s42
	s_xor_b32 s51, s51, -1
	s_min_u32 s5, s5, 8
	ds_write2st64_b32 v29, v4, v4 offset1:4
	s_lshl_b32 s5, -1, s5
	ds_write2st64_b32 v29, v4, v4 offset0:8 offset1:12
	s_not_b32 s43, s5
	s_cmp_lg_u32 s42, s49
	s_mov_b32 s5, -1
	s_waitcnt lgkmcnt(0)
	s_waitcnt_vscnt null, 0x0
	s_cbranch_scc0 .LBB2048_342
; %bb.13:                               ;   in Loop: Header=BB2048_12 Depth=1
	s_and_b32 vcc_lo, exec_lo, s51
	s_cbranch_vccz .LBB2048_177
; %bb.14:                               ;   in Loop: Header=BB2048_12 Depth=1
	s_mov_b32 s5, s52
	s_mov_b32 s34, s29
	s_barrier
	buffer_gl0_inv
                                        ; implicit-def: $vgpr3
                                        ; implicit-def: $vgpr5
                                        ; implicit-def: $vgpr6
                                        ; implicit-def: $vgpr7
                                        ; implicit-def: $vgpr8
                                        ; implicit-def: $vgpr9
                                        ; implicit-def: $vgpr10
                                        ; implicit-def: $vgpr11
	s_branch .LBB2048_16
.LBB2048_15:                            ;   in Loop: Header=BB2048_16 Depth=2
	s_or_b32 exec_lo, exec_lo, s14
	s_addk_i32 s5, 0xf800
	s_cmp_ge_u32 s13, s33
	s_mov_b32 s34, s13
	s_cbranch_scc1 .LBB2048_52
.LBB2048_16:                            ;   Parent Loop BB2048_12 Depth=1
                                        ; =>  This Inner Loop Header: Depth=2
	s_add_i32 s13, s34, 0x800
	s_mov_b32 s14, -1
	s_cmp_gt_u32 s13, s33
                                        ; implicit-def: $vgpr12
                                        ; implicit-def: $vgpr13
                                        ; implicit-def: $vgpr14
                                        ; implicit-def: $vgpr15
                                        ; implicit-def: $vgpr16
                                        ; implicit-def: $vgpr17
                                        ; implicit-def: $vgpr18
                                        ; implicit-def: $vgpr19
	s_cbranch_scc1 .LBB2048_18
; %bb.17:                               ;   in Loop: Header=BB2048_16 Depth=2
	s_lshl_b64 s[14:15], s[34:35], 1
	v_add_co_u32 v15, vcc_lo, v33, s14
	v_add_co_ci_u32_e64 v16, null, s15, v34, vcc_lo
	s_mov_b32 s14, 0
	v_add_co_u32 v19, vcc_lo, 0x800, v15
	v_add_co_ci_u32_e64 v20, null, 0, v16, vcc_lo
	s_clause 0x7
	global_load_ushort v12, v[15:16], off
	global_load_ushort v13, v[15:16], off offset:512
	global_load_ushort v14, v[15:16], off offset:1024
	;; [unrolled: 1-line block ×3, first 2 shown]
	global_load_ushort v16, v[19:20], off
	global_load_ushort v17, v[19:20], off offset:512
	global_load_ushort v18, v[19:20], off offset:1024
	;; [unrolled: 1-line block ×3, first 2 shown]
.LBB2048_18:                            ;   in Loop: Header=BB2048_16 Depth=2
	s_andn2_b32 vcc_lo, exec_lo, s14
	s_movk_i32 s14, 0x800
	s_cbranch_vccnz .LBB2048_29
; %bb.19:                               ;   in Loop: Header=BB2048_16 Depth=2
	s_lshl_b64 s[14:15], s[34:35], 1
	s_mov_b32 s16, exec_lo
	s_add_u32 s14, s40, s14
	s_addc_u32 s15, s41, s15
	v_cmpx_gt_u32_e64 s5, v0
	s_cbranch_execnz .LBB2048_45
; %bb.20:                               ;   in Loop: Header=BB2048_16 Depth=2
	s_or_b32 exec_lo, exec_lo, s16
	s_mov_b32 s16, exec_lo
	v_cmpx_gt_u32_e64 s5, v30
	s_cbranch_execnz .LBB2048_46
.LBB2048_21:                            ;   in Loop: Header=BB2048_16 Depth=2
	s_or_b32 exec_lo, exec_lo, s16
	s_mov_b32 s16, exec_lo
	v_cmpx_gt_u32_e64 s5, v31
	s_cbranch_execnz .LBB2048_47
.LBB2048_22:                            ;   in Loop: Header=BB2048_16 Depth=2
	s_or_b32 exec_lo, exec_lo, s16
	s_mov_b32 s16, exec_lo
	v_cmpx_gt_u32_e64 s5, v32
	s_cbranch_execnz .LBB2048_48
.LBB2048_23:                            ;   in Loop: Header=BB2048_16 Depth=2
	s_or_b32 exec_lo, exec_lo, s16
	s_mov_b32 s16, exec_lo
	v_cmpx_gt_u32_e64 s5, v35
	s_cbranch_execnz .LBB2048_49
.LBB2048_24:                            ;   in Loop: Header=BB2048_16 Depth=2
	s_or_b32 exec_lo, exec_lo, s16
	s_mov_b32 s16, exec_lo
	v_cmpx_gt_u32_e64 s5, v36
	s_cbranch_execnz .LBB2048_50
.LBB2048_25:                            ;   in Loop: Header=BB2048_16 Depth=2
	s_or_b32 exec_lo, exec_lo, s16
	s_mov_b32 s16, exec_lo
	v_cmpx_gt_u32_e64 s5, v37
	s_cbranch_execnz .LBB2048_51
.LBB2048_26:                            ;   in Loop: Header=BB2048_16 Depth=2
	s_or_b32 exec_lo, exec_lo, s16
	s_mov_b32 s16, exec_lo
	v_cmpx_gt_u32_e64 s5, v38
	s_cbranch_execz .LBB2048_28
.LBB2048_27:                            ;   in Loop: Header=BB2048_16 Depth=2
	global_load_ushort v3, v87, s[14:15]
.LBB2048_28:                            ;   in Loop: Header=BB2048_16 Depth=2
	s_or_b32 exec_lo, exec_lo, s16
	s_waitcnt vmcnt(0)
	v_mov_b32_e32 v12, v11
	v_mov_b32_e32 v13, v10
	;; [unrolled: 1-line block ×8, first 2 shown]
	s_mov_b32 s14, s5
.LBB2048_29:                            ;   in Loop: Header=BB2048_16 Depth=2
	s_waitcnt vmcnt(0)
	v_mov_b32_e32 v3, v19
	v_mov_b32_e32 v5, v18
	;; [unrolled: 1-line block ×8, first 2 shown]
	s_mov_b32 s15, exec_lo
	v_cmpx_gt_u32_e64 s14, v0
	s_cbranch_execnz .LBB2048_37
; %bb.30:                               ;   in Loop: Header=BB2048_16 Depth=2
	s_or_b32 exec_lo, exec_lo, s15
	s_mov_b32 s15, exec_lo
	v_cmpx_gt_u32_e64 s14, v30
	s_cbranch_execnz .LBB2048_38
.LBB2048_31:                            ;   in Loop: Header=BB2048_16 Depth=2
	s_or_b32 exec_lo, exec_lo, s15
	s_mov_b32 s15, exec_lo
	v_cmpx_gt_u32_e64 s14, v31
	s_cbranch_execnz .LBB2048_39
.LBB2048_32:                            ;   in Loop: Header=BB2048_16 Depth=2
	s_or_b32 exec_lo, exec_lo, s15
	s_mov_b32 s15, exec_lo
	v_cmpx_gt_u32_e64 s14, v32
	s_cbranch_execnz .LBB2048_40
.LBB2048_33:                            ;   in Loop: Header=BB2048_16 Depth=2
	s_or_b32 exec_lo, exec_lo, s15
	s_mov_b32 s15, exec_lo
	v_cmpx_gt_u32_e64 s14, v35
	s_cbranch_execnz .LBB2048_41
.LBB2048_34:                            ;   in Loop: Header=BB2048_16 Depth=2
	s_or_b32 exec_lo, exec_lo, s15
	s_mov_b32 s15, exec_lo
	v_cmpx_gt_u32_e64 s14, v36
	s_cbranch_execnz .LBB2048_42
.LBB2048_35:                            ;   in Loop: Header=BB2048_16 Depth=2
	s_or_b32 exec_lo, exec_lo, s15
	s_mov_b32 s15, exec_lo
	v_cmpx_gt_u32_e64 s14, v37
	s_cbranch_execnz .LBB2048_43
.LBB2048_36:                            ;   in Loop: Header=BB2048_16 Depth=2
	s_or_b32 exec_lo, exec_lo, s15
	v_cmp_gt_u32_e32 vcc_lo, s14, v38
	s_and_saveexec_b32 s14, vcc_lo
	s_cbranch_execz .LBB2048_15
	s_branch .LBB2048_44
.LBB2048_37:                            ;   in Loop: Header=BB2048_16 Depth=2
	v_cmp_lt_i16_e32 vcc_lo, -1, v11
	v_cndmask_b32_e64 v12, -1, 0xffff8000, vcc_lo
	v_xor_b32_e32 v12, v12, v11
	v_cmp_ne_u16_e32 vcc_lo, 0x7fff, v12
	v_cndmask_b32_e32 v12, 0xffff8000, v12, vcc_lo
	v_lshrrev_b32_sdwa v12, s42, v12 dst_sel:DWORD dst_unused:UNUSED_PAD src0_sel:DWORD src1_sel:WORD_0
	v_and_b32_e32 v12, s43, v12
	v_lshl_or_b32 v12, v12, 4, v40
	ds_add_u32 v12, v62
	s_or_b32 exec_lo, exec_lo, s15
	s_mov_b32 s15, exec_lo
	v_cmpx_gt_u32_e64 s14, v30
	s_cbranch_execz .LBB2048_31
.LBB2048_38:                            ;   in Loop: Header=BB2048_16 Depth=2
	v_cmp_lt_i16_e32 vcc_lo, -1, v10
	v_cndmask_b32_e64 v12, -1, 0xffff8000, vcc_lo
	v_xor_b32_e32 v12, v12, v10
	v_cmp_ne_u16_e32 vcc_lo, 0x7fff, v12
	v_cndmask_b32_e32 v12, 0xffff8000, v12, vcc_lo
	v_lshrrev_b32_sdwa v12, s42, v12 dst_sel:DWORD dst_unused:UNUSED_PAD src0_sel:DWORD src1_sel:WORD_0
	v_and_b32_e32 v12, s43, v12
	v_lshl_or_b32 v12, v12, 4, v40
	ds_add_u32 v12, v62
	s_or_b32 exec_lo, exec_lo, s15
	s_mov_b32 s15, exec_lo
	v_cmpx_gt_u32_e64 s14, v31
	s_cbranch_execz .LBB2048_32
.LBB2048_39:                            ;   in Loop: Header=BB2048_16 Depth=2
	v_cmp_lt_i16_e32 vcc_lo, -1, v9
	v_cndmask_b32_e64 v12, -1, 0xffff8000, vcc_lo
	v_xor_b32_e32 v12, v12, v9
	v_cmp_ne_u16_e32 vcc_lo, 0x7fff, v12
	v_cndmask_b32_e32 v12, 0xffff8000, v12, vcc_lo
	v_lshrrev_b32_sdwa v12, s42, v12 dst_sel:DWORD dst_unused:UNUSED_PAD src0_sel:DWORD src1_sel:WORD_0
	v_and_b32_e32 v12, s43, v12
	v_lshl_or_b32 v12, v12, 4, v40
	ds_add_u32 v12, v62
	s_or_b32 exec_lo, exec_lo, s15
	s_mov_b32 s15, exec_lo
	v_cmpx_gt_u32_e64 s14, v32
	s_cbranch_execz .LBB2048_33
.LBB2048_40:                            ;   in Loop: Header=BB2048_16 Depth=2
	v_cmp_lt_i16_e32 vcc_lo, -1, v8
	v_cndmask_b32_e64 v12, -1, 0xffff8000, vcc_lo
	v_xor_b32_e32 v12, v12, v8
	v_cmp_ne_u16_e32 vcc_lo, 0x7fff, v12
	v_cndmask_b32_e32 v12, 0xffff8000, v12, vcc_lo
	v_lshrrev_b32_sdwa v12, s42, v12 dst_sel:DWORD dst_unused:UNUSED_PAD src0_sel:DWORD src1_sel:WORD_0
	v_and_b32_e32 v12, s43, v12
	v_lshl_or_b32 v12, v12, 4, v40
	ds_add_u32 v12, v62
	s_or_b32 exec_lo, exec_lo, s15
	s_mov_b32 s15, exec_lo
	v_cmpx_gt_u32_e64 s14, v35
	s_cbranch_execz .LBB2048_34
.LBB2048_41:                            ;   in Loop: Header=BB2048_16 Depth=2
	v_cmp_lt_i16_e32 vcc_lo, -1, v7
	v_cndmask_b32_e64 v12, -1, 0xffff8000, vcc_lo
	v_xor_b32_e32 v12, v12, v7
	v_cmp_ne_u16_e32 vcc_lo, 0x7fff, v12
	v_cndmask_b32_e32 v12, 0xffff8000, v12, vcc_lo
	v_lshrrev_b32_sdwa v12, s42, v12 dst_sel:DWORD dst_unused:UNUSED_PAD src0_sel:DWORD src1_sel:WORD_0
	v_and_b32_e32 v12, s43, v12
	v_lshl_or_b32 v12, v12, 4, v40
	ds_add_u32 v12, v62
	s_or_b32 exec_lo, exec_lo, s15
	s_mov_b32 s15, exec_lo
	v_cmpx_gt_u32_e64 s14, v36
	s_cbranch_execz .LBB2048_35
.LBB2048_42:                            ;   in Loop: Header=BB2048_16 Depth=2
	v_cmp_lt_i16_e32 vcc_lo, -1, v6
	v_cndmask_b32_e64 v12, -1, 0xffff8000, vcc_lo
	v_xor_b32_e32 v12, v12, v6
	v_cmp_ne_u16_e32 vcc_lo, 0x7fff, v12
	v_cndmask_b32_e32 v12, 0xffff8000, v12, vcc_lo
	v_lshrrev_b32_sdwa v12, s42, v12 dst_sel:DWORD dst_unused:UNUSED_PAD src0_sel:DWORD src1_sel:WORD_0
	v_and_b32_e32 v12, s43, v12
	v_lshl_or_b32 v12, v12, 4, v40
	ds_add_u32 v12, v62
	s_or_b32 exec_lo, exec_lo, s15
	s_mov_b32 s15, exec_lo
	v_cmpx_gt_u32_e64 s14, v37
	s_cbranch_execz .LBB2048_36
.LBB2048_43:                            ;   in Loop: Header=BB2048_16 Depth=2
	v_cmp_lt_i16_e32 vcc_lo, -1, v5
	v_cndmask_b32_e64 v12, -1, 0xffff8000, vcc_lo
	v_xor_b32_e32 v12, v12, v5
	v_cmp_ne_u16_e32 vcc_lo, 0x7fff, v12
	v_cndmask_b32_e32 v12, 0xffff8000, v12, vcc_lo
	v_lshrrev_b32_sdwa v12, s42, v12 dst_sel:DWORD dst_unused:UNUSED_PAD src0_sel:DWORD src1_sel:WORD_0
	v_and_b32_e32 v12, s43, v12
	v_lshl_or_b32 v12, v12, 4, v40
	ds_add_u32 v12, v62
	s_or_b32 exec_lo, exec_lo, s15
	v_cmp_gt_u32_e32 vcc_lo, s14, v38
	s_and_saveexec_b32 s14, vcc_lo
	s_cbranch_execz .LBB2048_15
.LBB2048_44:                            ;   in Loop: Header=BB2048_16 Depth=2
	v_cmp_lt_i16_e32 vcc_lo, -1, v3
	v_cndmask_b32_e64 v12, -1, 0xffff8000, vcc_lo
	v_xor_b32_e32 v12, v12, v3
	v_cmp_ne_u16_e32 vcc_lo, 0x7fff, v12
	v_cndmask_b32_e32 v12, 0xffff8000, v12, vcc_lo
	v_lshrrev_b32_sdwa v12, s42, v12 dst_sel:DWORD dst_unused:UNUSED_PAD src0_sel:DWORD src1_sel:WORD_0
	v_and_b32_e32 v12, s43, v12
	v_lshl_or_b32 v12, v12, 4, v40
	ds_add_u32 v12, v62
	s_branch .LBB2048_15
.LBB2048_45:                            ;   in Loop: Header=BB2048_16 Depth=2
	global_load_ushort v11, v79, s[14:15]
	s_or_b32 exec_lo, exec_lo, s16
	s_mov_b32 s16, exec_lo
	v_cmpx_gt_u32_e64 s5, v30
	s_cbranch_execz .LBB2048_21
.LBB2048_46:                            ;   in Loop: Header=BB2048_16 Depth=2
	global_load_ushort v10, v79, s[14:15] offset:512
	s_or_b32 exec_lo, exec_lo, s16
	s_mov_b32 s16, exec_lo
	v_cmpx_gt_u32_e64 s5, v31
	s_cbranch_execz .LBB2048_22
.LBB2048_47:                            ;   in Loop: Header=BB2048_16 Depth=2
	global_load_ushort v9, v79, s[14:15] offset:1024
	s_or_b32 exec_lo, exec_lo, s16
	s_mov_b32 s16, exec_lo
	v_cmpx_gt_u32_e64 s5, v32
	s_cbranch_execz .LBB2048_23
.LBB2048_48:                            ;   in Loop: Header=BB2048_16 Depth=2
	global_load_ushort v8, v79, s[14:15] offset:1536
	s_or_b32 exec_lo, exec_lo, s16
	s_mov_b32 s16, exec_lo
	v_cmpx_gt_u32_e64 s5, v35
	s_cbranch_execz .LBB2048_24
.LBB2048_49:                            ;   in Loop: Header=BB2048_16 Depth=2
	global_load_ushort v7, v80, s[14:15]
	s_or_b32 exec_lo, exec_lo, s16
	s_mov_b32 s16, exec_lo
	v_cmpx_gt_u32_e64 s5, v36
	s_cbranch_execz .LBB2048_25
.LBB2048_50:                            ;   in Loop: Header=BB2048_16 Depth=2
	global_load_ushort v6, v81, s[14:15]
	s_or_b32 exec_lo, exec_lo, s16
	s_mov_b32 s16, exec_lo
	v_cmpx_gt_u32_e64 s5, v37
	s_cbranch_execz .LBB2048_26
.LBB2048_51:                            ;   in Loop: Header=BB2048_16 Depth=2
	global_load_ushort v5, v82, s[14:15]
	s_or_b32 exec_lo, exec_lo, s16
	s_mov_b32 s16, exec_lo
	v_cmpx_gt_u32_e64 s5, v38
	s_cbranch_execnz .LBB2048_27
	s_branch .LBB2048_28
.LBB2048_52:                            ;   in Loop: Header=BB2048_12 Depth=1
	v_mov_b32_e32 v3, 0
	s_waitcnt lgkmcnt(0)
	s_barrier
	buffer_gl0_inv
	s_and_saveexec_b32 s5, s7
	s_cbranch_execz .LBB2048_54
; %bb.53:                               ;   in Loop: Header=BB2048_12 Depth=1
	ds_read2_b64 v[5:8], v41 offset1:1
	s_waitcnt lgkmcnt(0)
	v_add_nc_u32_e32 v3, v6, v5
	v_add3_u32 v3, v3, v7, v8
.LBB2048_54:                            ;   in Loop: Header=BB2048_12 Depth=1
	s_or_b32 exec_lo, exec_lo, s5
	v_mov_b32_dpp v5, v3 row_shr:1 row_mask:0xf bank_mask:0xf
	v_cmp_eq_u32_e64 s5, 0, v63
	v_cmp_lt_u32_e64 s13, 1, v63
	v_cmp_lt_u32_e64 s14, 3, v63
	;; [unrolled: 1-line block ×3, first 2 shown]
	v_cmp_eq_u32_e64 s16, 0, v65
	v_cndmask_b32_e64 v5, v5, 0, s5
	v_add_nc_u32_e32 v3, v5, v3
	v_mov_b32_dpp v5, v3 row_shr:2 row_mask:0xf bank_mask:0xf
	v_cndmask_b32_e64 v5, 0, v5, s13
	v_add_nc_u32_e32 v3, v3, v5
	v_mov_b32_dpp v5, v3 row_shr:4 row_mask:0xf bank_mask:0xf
	;; [unrolled: 3-line block ×3, first 2 shown]
	v_cndmask_b32_e64 v5, 0, v5, s15
	v_add_nc_u32_e32 v3, v3, v5
	ds_swizzle_b32 v5, v3 offset:swizzle(BROADCAST,32,15)
	s_waitcnt lgkmcnt(0)
	v_and_b32_e32 v5, v64, v5
	v_add_nc_u32_e32 v3, v3, v5
	s_and_saveexec_b32 s17, s8
; %bb.55:                               ;   in Loop: Header=BB2048_12 Depth=1
	ds_write_b32 v42, v3
; %bb.56:                               ;   in Loop: Header=BB2048_12 Depth=1
	s_or_b32 exec_lo, exec_lo, s17
	s_waitcnt lgkmcnt(0)
	s_barrier
	buffer_gl0_inv
	s_and_saveexec_b32 s17, s9
	s_cbranch_execz .LBB2048_58
; %bb.57:                               ;   in Loop: Header=BB2048_12 Depth=1
	ds_read_b32 v5, v43
	v_cmp_ne_u32_e32 vcc_lo, 0, v67
	s_waitcnt lgkmcnt(0)
	v_mov_b32_dpp v6, v5 row_shr:1 row_mask:0xf bank_mask:0xf
	v_cndmask_b32_e32 v6, 0, v6, vcc_lo
	v_cmp_lt_u32_e32 vcc_lo, 1, v67
	v_add_nc_u32_e32 v5, v6, v5
	v_mov_b32_dpp v6, v5 row_shr:2 row_mask:0xf bank_mask:0xf
	v_cndmask_b32_e32 v6, 0, v6, vcc_lo
	v_cmp_lt_u32_e32 vcc_lo, 3, v67
	v_add_nc_u32_e32 v5, v5, v6
	v_mov_b32_dpp v6, v5 row_shr:4 row_mask:0xf bank_mask:0xf
	v_cndmask_b32_e32 v6, 0, v6, vcc_lo
	v_add_nc_u32_e32 v5, v5, v6
	ds_write_b32 v43, v5
.LBB2048_58:                            ;   in Loop: Header=BB2048_12 Depth=1
	s_or_b32 exec_lo, exec_lo, s17
	v_mov_b32_e32 v5, 0
	s_waitcnt lgkmcnt(0)
	s_barrier
	buffer_gl0_inv
	s_and_saveexec_b32 s17, s10
; %bb.59:                               ;   in Loop: Header=BB2048_12 Depth=1
	ds_read_b32 v5, v45
; %bb.60:                               ;   in Loop: Header=BB2048_12 Depth=1
	s_or_b32 exec_lo, exec_lo, s17
	v_cmp_gt_i32_e32 vcc_lo, 0, v68
	s_waitcnt lgkmcnt(0)
	v_add_nc_u32_e32 v3, v5, v3
	s_barrier
	buffer_gl0_inv
	v_cndmask_b32_e32 v6, v68, v59, vcc_lo
	v_lshlrev_b32_e32 v91, 2, v6
	ds_bpermute_b32 v3, v91, v3
	s_and_saveexec_b32 s17, s7
	s_cbranch_execz .LBB2048_62
; %bb.61:                               ;   in Loop: Header=BB2048_12 Depth=1
	s_waitcnt lgkmcnt(0)
	v_cndmask_b32_e64 v3, v3, v5, s12
	v_add_nc_u32_e32 v3, s29, v3
	ds_write_b32 v29, v3
.LBB2048_62:                            ;   in Loop: Header=BB2048_12 Depth=1
	s_or_b32 exec_lo, exec_lo, s17
	s_clause 0x1
	s_load_dword s17, s[30:31], 0x4
	s_load_dword s20, s[30:31], 0xc
	s_mov_b32 s48, s52
	s_mov_b32 s34, s29
                                        ; implicit-def: $vgpr7_vgpr8
                                        ; implicit-def: $vgpr9_vgpr10
                                        ; implicit-def: $vgpr11_vgpr12
                                        ; implicit-def: $vgpr13_vgpr14
                                        ; implicit-def: $vgpr15_vgpr16
                                        ; implicit-def: $vgpr17_vgpr18
                                        ; implicit-def: $vgpr19_vgpr20
                                        ; implicit-def: $vgpr93
                                        ; implicit-def: $vgpr94
                                        ; implicit-def: $vgpr95
                                        ; implicit-def: $vgpr96
                                        ; implicit-def: $vgpr97
                                        ; implicit-def: $vgpr98
                                        ; implicit-def: $vgpr99
                                        ; implicit-def: $vgpr100
	s_waitcnt lgkmcnt(0)
	s_cmp_lt_u32 s27, s17
	s_cselect_b32 s17, 14, 20
	s_add_u32 s18, s30, s17
	s_addc_u32 s19, s31, 0
	s_and_b32 s17, s20, 0xffff
	global_load_ushort v3, v4, s[18:19]
	v_cmp_lt_u32_e64 s18, 1, v67
	v_cmp_lt_u32_e64 s19, 3, v67
	s_waitcnt vmcnt(0)
	v_mad_u32_u24 v3, v2, v3, v1
	v_mad_u64_u32 v[5:6], null, v3, s17, v[0:1]
	v_cmp_eq_u32_e64 s17, 0, v67
	v_lshrrev_b32_e32 v3, 3, v5
                                        ; implicit-def: $vgpr5_vgpr6
	v_and_b32_e32 v92, 0x1ffffffc, v3
	s_branch .LBB2048_64
.LBB2048_63:                            ;   in Loop: Header=BB2048_64 Depth=2
	s_or_b32 exec_lo, exec_lo, s20
	s_addk_i32 s48, 0xf800
	s_cmp_lt_u32 s53, s33
	s_mov_b32 s34, s53
	s_cbranch_scc0 .LBB2048_176
.LBB2048_64:                            ;   Parent Loop BB2048_12 Depth=1
                                        ; =>  This Inner Loop Header: Depth=2
	s_add_i32 s53, s34, 0x800
	s_cmp_gt_u32 s53, s33
	s_cbranch_scc1 .LBB2048_66
; %bb.65:                               ;   in Loop: Header=BB2048_64 Depth=2
	s_lshl_b64 s[20:21], s[34:35], 1
	v_add_co_u32 v21, vcc_lo, v85, s20
	v_add_co_ci_u32_e64 v22, null, s21, v86, vcc_lo
	s_mov_b32 s20, -1
	s_clause 0x6
	global_load_ushort v3, v[21:22], off
	global_load_ushort v28, v[21:22], off offset:64
	global_load_ushort v27, v[21:22], off offset:128
	;; [unrolled: 1-line block ×6, first 2 shown]
	s_movk_i32 s21, 0x800
	s_cbranch_execz .LBB2048_67
	s_branch .LBB2048_82
.LBB2048_66:                            ;   in Loop: Header=BB2048_64 Depth=2
	s_mov_b32 s20, 0
                                        ; implicit-def: $vgpr3
                                        ; implicit-def: $vgpr28
                                        ; implicit-def: $vgpr27
                                        ; implicit-def: $vgpr26
                                        ; implicit-def: $vgpr25
                                        ; implicit-def: $vgpr24
                                        ; implicit-def: $vgpr23
	s_movk_i32 s21, 0x800
.LBB2048_67:                            ;   in Loop: Header=BB2048_64 Depth=2
	s_lshl_b64 s[20:21], s[34:35], 1
	s_waitcnt vmcnt(5)
	v_mov_b32_e32 v28, 0x7fff
	v_add_co_u32 v21, vcc_lo, v85, s20
	v_add_co_ci_u32_e64 v22, null, s21, v86, vcc_lo
	v_mov_b32_e32 v3, 0x7fff
	s_mov_b32 s20, exec_lo
	v_cmpx_gt_u32_e64 s48, v66
	s_cbranch_execz .LBB2048_69
; %bb.68:                               ;   in Loop: Header=BB2048_64 Depth=2
	global_load_ushort v3, v[21:22], off
.LBB2048_69:                            ;   in Loop: Header=BB2048_64 Depth=2
	s_or_b32 exec_lo, exec_lo, s20
	s_mov_b32 s20, exec_lo
	v_cmpx_gt_u32_e64 s48, v70
	s_cbranch_execz .LBB2048_71
; %bb.70:                               ;   in Loop: Header=BB2048_64 Depth=2
	global_load_ushort v28, v[21:22], off offset:64
.LBB2048_71:                            ;   in Loop: Header=BB2048_64 Depth=2
	s_or_b32 exec_lo, exec_lo, s20
	s_waitcnt vmcnt(3)
	v_mov_b32_e32 v26, 0x7fff
	v_mov_b32_e32 v27, 0x7fff
	s_mov_b32 s20, exec_lo
	v_cmpx_gt_u32_e64 s48, v71
	s_cbranch_execz .LBB2048_73
; %bb.72:                               ;   in Loop: Header=BB2048_64 Depth=2
	global_load_ushort v27, v[21:22], off offset:128
.LBB2048_73:                            ;   in Loop: Header=BB2048_64 Depth=2
	s_or_b32 exec_lo, exec_lo, s20
	s_mov_b32 s20, exec_lo
	v_cmpx_gt_u32_e64 s48, v72
	s_cbranch_execz .LBB2048_75
; %bb.74:                               ;   in Loop: Header=BB2048_64 Depth=2
	global_load_ushort v26, v[21:22], off offset:192
.LBB2048_75:                            ;   in Loop: Header=BB2048_64 Depth=2
	s_or_b32 exec_lo, exec_lo, s20
	s_waitcnt vmcnt(1)
	v_mov_b32_e32 v24, 0x7fff
	v_mov_b32_e32 v25, 0x7fff
	s_mov_b32 s20, exec_lo
	v_cmpx_gt_u32_e64 s48, v73
	s_cbranch_execz .LBB2048_77
; %bb.76:                               ;   in Loop: Header=BB2048_64 Depth=2
	global_load_ushort v25, v[21:22], off offset:256
.LBB2048_77:                            ;   in Loop: Header=BB2048_64 Depth=2
	s_or_b32 exec_lo, exec_lo, s20
	s_mov_b32 s20, exec_lo
	v_cmpx_gt_u32_e64 s48, v74
	s_cbranch_execz .LBB2048_79
; %bb.78:                               ;   in Loop: Header=BB2048_64 Depth=2
	global_load_ushort v24, v[21:22], off offset:320
.LBB2048_79:                            ;   in Loop: Header=BB2048_64 Depth=2
	s_or_b32 exec_lo, exec_lo, s20
	s_waitcnt vmcnt(0)
	v_mov_b32_e32 v23, 0x7fff
	s_mov_b32 s20, exec_lo
	v_cmpx_gt_u32_e64 s48, v75
	s_cbranch_execz .LBB2048_81
; %bb.80:                               ;   in Loop: Header=BB2048_64 Depth=2
	global_load_ushort v23, v[21:22], off offset:384
.LBB2048_81:                            ;   in Loop: Header=BB2048_64 Depth=2
	s_or_b32 exec_lo, exec_lo, s20
	v_cmp_gt_u32_e64 s20, s48, v76
	s_sub_i32 s21, s33, s34
.LBB2048_82:                            ;   in Loop: Header=BB2048_64 Depth=2
	v_mov_b32_e32 v21, 0x7fff
	v_mov_b32_e32 v101, s48
	s_and_saveexec_b32 s22, s20
	s_cbranch_execz .LBB2048_84
; %bb.83:                               ;   in Loop: Header=BB2048_64 Depth=2
	s_lshl_b64 s[24:25], s[34:35], 1
	v_mov_b32_e32 v101, s21
	v_add_co_u32 v21, vcc_lo, v85, s24
	v_add_co_ci_u32_e64 v22, null, s25, v86, vcc_lo
	global_load_ushort v21, v[21:22], off offset:448
.LBB2048_84:                            ;   in Loop: Header=BB2048_64 Depth=2
	s_or_b32 exec_lo, exec_lo, s22
	s_waitcnt vmcnt(6)
	v_cmp_lt_i16_e32 vcc_lo, -1, v3
	ds_write2_b32 v78, v4, v4 offset1:1
	ds_write2_b32 v88, v4, v4 offset1:1
	;; [unrolled: 1-line block ×4, first 2 shown]
	ds_write_b32 v44, v4 offset:1088
	s_waitcnt vmcnt(0) lgkmcnt(0)
	s_barrier
	v_cndmask_b32_e64 v22, -1, 0xffff8000, vcc_lo
	buffer_gl0_inv
	; wave barrier
	v_xor_b32_e32 v3, v22, v3
	v_cmp_ne_u16_e32 vcc_lo, 0x7fff, v3
	v_cndmask_b32_e32 v22, 0xffff8000, v3, vcc_lo
	v_lshrrev_b32_sdwa v22, s42, v22 dst_sel:DWORD dst_unused:UNUSED_PAD src0_sel:DWORD src1_sel:WORD_0
	v_and_b32_e32 v103, s43, v22
	v_and_b32_e32 v22, 1, v103
	v_lshlrev_b32_e32 v102, 30, v103
	v_lshlrev_b32_e32 v104, 29, v103
	;; [unrolled: 1-line block ×4, first 2 shown]
	v_add_co_u32 v22, s20, v22, -1
	v_cndmask_b32_e64 v106, 0, 1, s20
	v_not_b32_e32 v110, v102
	v_cmp_gt_i32_e64 s20, 0, v102
	v_not_b32_e32 v102, v104
	v_lshlrev_b32_e32 v108, 26, v103
	v_cmp_ne_u32_e32 vcc_lo, 0, v106
	v_ashrrev_i32_e32 v110, 31, v110
	v_lshlrev_b32_e32 v109, 25, v103
	v_ashrrev_i32_e32 v102, 31, v102
	v_lshlrev_b32_e32 v106, 24, v103
	v_xor_b32_e32 v22, vcc_lo, v22
	v_cmp_gt_i32_e32 vcc_lo, 0, v104
	v_not_b32_e32 v104, v105
	v_xor_b32_e32 v110, s20, v110
	v_cmp_gt_i32_e64 s20, 0, v105
	v_and_b32_e32 v22, exec_lo, v22
	v_not_b32_e32 v105, v107
	v_ashrrev_i32_e32 v104, 31, v104
	v_xor_b32_e32 v102, vcc_lo, v102
	v_cmp_gt_i32_e32 vcc_lo, 0, v107
	v_and_b32_e32 v22, v22, v110
	v_not_b32_e32 v107, v108
	v_ashrrev_i32_e32 v105, 31, v105
	v_xor_b32_e32 v104, s20, v104
	v_cmp_gt_i32_e64 s20, 0, v108
	v_and_b32_e32 v22, v22, v102
	v_not_b32_e32 v102, v109
	v_ashrrev_i32_e32 v107, 31, v107
	v_xor_b32_e32 v105, vcc_lo, v105
	v_cmp_gt_i32_e32 vcc_lo, 0, v109
	v_and_b32_e32 v22, v22, v104
	v_not_b32_e32 v104, v106
	v_ashrrev_i32_e32 v102, 31, v102
	v_xor_b32_e32 v107, s20, v107
	v_cmp_gt_i32_e64 s20, 0, v106
	v_and_b32_e32 v22, v22, v105
	v_ashrrev_i32_e32 v104, 31, v104
	v_xor_b32_e32 v102, vcc_lo, v102
	v_mul_u32_u24_e32 v103, 36, v103
	v_and_b32_e32 v22, v22, v107
	v_xor_b32_e32 v104, s20, v104
	v_and_b32_e32 v22, v22, v102
	v_and_b32_e32 v22, v22, v104
	v_add_nc_u32_e32 v104, v92, v103
	v_mbcnt_lo_u32_b32 v102, v22, 0
	v_cmp_ne_u32_e64 s20, 0, v22
	v_cmp_eq_u32_e32 vcc_lo, 0, v102
	s_and_b32 s21, s20, vcc_lo
	s_and_saveexec_b32 s20, s21
; %bb.85:                               ;   in Loop: Header=BB2048_64 Depth=2
	v_bcnt_u32_b32 v22, v22, 0
	ds_write_b32 v104, v22 offset:1056
; %bb.86:                               ;   in Loop: Header=BB2048_64 Depth=2
	s_or_b32 exec_lo, exec_lo, s20
	v_cmp_lt_i16_e32 vcc_lo, -1, v28
	; wave barrier
	v_cndmask_b32_e64 v22, -1, 0xffff8000, vcc_lo
	v_xor_b32_e32 v103, v22, v28
	v_cmp_ne_u16_e32 vcc_lo, 0x7fff, v103
	v_cndmask_b32_e32 v22, 0xffff8000, v103, vcc_lo
	v_lshrrev_b32_sdwa v22, s42, v22 dst_sel:DWORD dst_unused:UNUSED_PAD src0_sel:DWORD src1_sel:WORD_0
	v_and_b32_e32 v28, s43, v22
	v_and_b32_e32 v22, 1, v28
	v_lshlrev_b32_e32 v105, 30, v28
	v_lshlrev_b32_e32 v106, 29, v28
	;; [unrolled: 1-line block ×4, first 2 shown]
	v_add_co_u32 v22, s20, v22, -1
	v_cndmask_b32_e64 v108, 0, 1, s20
	v_not_b32_e32 v112, v105
	v_cmp_gt_i32_e64 s20, 0, v105
	v_not_b32_e32 v105, v106
	v_lshlrev_b32_e32 v110, 26, v28
	v_cmp_ne_u32_e32 vcc_lo, 0, v108
	v_ashrrev_i32_e32 v112, 31, v112
	v_lshlrev_b32_e32 v111, 25, v28
	v_ashrrev_i32_e32 v105, 31, v105
	v_lshlrev_b32_e32 v108, 24, v28
	v_xor_b32_e32 v22, vcc_lo, v22
	v_cmp_gt_i32_e32 vcc_lo, 0, v106
	v_not_b32_e32 v106, v107
	v_xor_b32_e32 v112, s20, v112
	v_cmp_gt_i32_e64 s20, 0, v107
	v_and_b32_e32 v22, exec_lo, v22
	v_not_b32_e32 v107, v109
	v_ashrrev_i32_e32 v106, 31, v106
	v_xor_b32_e32 v105, vcc_lo, v105
	v_cmp_gt_i32_e32 vcc_lo, 0, v109
	v_and_b32_e32 v22, v22, v112
	v_not_b32_e32 v109, v110
	v_ashrrev_i32_e32 v107, 31, v107
	v_xor_b32_e32 v106, s20, v106
	v_cmp_gt_i32_e64 s20, 0, v110
	v_and_b32_e32 v22, v22, v105
	v_not_b32_e32 v105, v111
	v_ashrrev_i32_e32 v109, 31, v109
	v_xor_b32_e32 v107, vcc_lo, v107
	v_cmp_gt_i32_e32 vcc_lo, 0, v111
	v_and_b32_e32 v22, v22, v106
	v_not_b32_e32 v106, v108
	v_ashrrev_i32_e32 v105, 31, v105
	v_xor_b32_e32 v109, s20, v109
	v_cmp_gt_i32_e64 s20, 0, v108
	v_and_b32_e32 v22, v22, v107
	v_ashrrev_i32_e32 v106, 31, v106
	v_xor_b32_e32 v105, vcc_lo, v105
	v_mad_u32_u24 v107, v28, 36, v92
	v_mul_u32_u24_e32 v28, 36, v28
	v_and_b32_e32 v22, v22, v109
	v_xor_b32_e32 v106, s20, v106
	v_add_nc_u32_e32 v108, v92, v28
	v_and_b32_e32 v22, v22, v105
	ds_read_b32 v105, v107 offset:1056
	; wave barrier
	v_and_b32_e32 v22, v22, v106
	v_mbcnt_lo_u32_b32 v106, v22, 0
	v_cmp_ne_u32_e64 s20, 0, v22
	v_cmp_eq_u32_e32 vcc_lo, 0, v106
	s_and_b32 s21, s20, vcc_lo
	s_and_saveexec_b32 s20, s21
	s_cbranch_execz .LBB2048_88
; %bb.87:                               ;   in Loop: Header=BB2048_64 Depth=2
	s_waitcnt lgkmcnt(0)
	v_bcnt_u32_b32 v22, v22, v105
	ds_write_b32 v108, v22 offset:1056
.LBB2048_88:                            ;   in Loop: Header=BB2048_64 Depth=2
	s_or_b32 exec_lo, exec_lo, s20
	v_cmp_lt_i16_e32 vcc_lo, -1, v27
	; wave barrier
	v_cndmask_b32_e64 v22, -1, 0xffff8000, vcc_lo
	v_xor_b32_e32 v107, v22, v27
	v_cmp_ne_u16_e32 vcc_lo, 0x7fff, v107
	v_cndmask_b32_e32 v22, 0xffff8000, v107, vcc_lo
	v_lshrrev_b32_sdwa v22, s42, v22 dst_sel:DWORD dst_unused:UNUSED_PAD src0_sel:DWORD src1_sel:WORD_0
	v_and_b32_e32 v27, s43, v22
	v_and_b32_e32 v22, 1, v27
	v_lshlrev_b32_e32 v28, 30, v27
	v_lshlrev_b32_e32 v109, 29, v27
	;; [unrolled: 1-line block ×4, first 2 shown]
	v_add_co_u32 v22, s20, v22, -1
	v_cndmask_b32_e64 v111, 0, 1, s20
	v_not_b32_e32 v115, v28
	v_cmp_gt_i32_e64 s20, 0, v28
	v_not_b32_e32 v28, v109
	v_lshlrev_b32_e32 v113, 26, v27
	v_cmp_ne_u32_e32 vcc_lo, 0, v111
	v_ashrrev_i32_e32 v115, 31, v115
	v_lshlrev_b32_e32 v114, 25, v27
	v_ashrrev_i32_e32 v28, 31, v28
	v_lshlrev_b32_e32 v111, 24, v27
	v_xor_b32_e32 v22, vcc_lo, v22
	v_cmp_gt_i32_e32 vcc_lo, 0, v109
	v_not_b32_e32 v109, v110
	v_xor_b32_e32 v115, s20, v115
	v_cmp_gt_i32_e64 s20, 0, v110
	v_and_b32_e32 v22, exec_lo, v22
	v_not_b32_e32 v110, v112
	v_ashrrev_i32_e32 v109, 31, v109
	v_xor_b32_e32 v28, vcc_lo, v28
	v_cmp_gt_i32_e32 vcc_lo, 0, v112
	v_and_b32_e32 v22, v22, v115
	v_not_b32_e32 v112, v113
	v_ashrrev_i32_e32 v110, 31, v110
	v_xor_b32_e32 v109, s20, v109
	v_cmp_gt_i32_e64 s20, 0, v113
	v_and_b32_e32 v22, v22, v28
	v_not_b32_e32 v28, v114
	v_ashrrev_i32_e32 v112, 31, v112
	v_xor_b32_e32 v110, vcc_lo, v110
	v_cmp_gt_i32_e32 vcc_lo, 0, v114
	v_and_b32_e32 v22, v22, v109
	v_not_b32_e32 v109, v111
	v_ashrrev_i32_e32 v28, 31, v28
	v_xor_b32_e32 v112, s20, v112
	v_cmp_gt_i32_e64 s20, 0, v111
	v_and_b32_e32 v22, v22, v110
	v_ashrrev_i32_e32 v109, 31, v109
	v_xor_b32_e32 v28, vcc_lo, v28
	v_mad_u32_u24 v110, v27, 36, v92
	v_mul_u32_u24_e32 v27, 36, v27
	v_and_b32_e32 v22, v22, v112
	v_xor_b32_e32 v111, s20, v109
	ds_read_b32 v109, v110 offset:1056
	v_add_nc_u32_e32 v112, v92, v27
	v_and_b32_e32 v22, v22, v28
	; wave barrier
	v_and_b32_e32 v22, v22, v111
	v_mbcnt_lo_u32_b32 v111, v22, 0
	v_cmp_ne_u32_e64 s20, 0, v22
	v_cmp_eq_u32_e32 vcc_lo, 0, v111
	s_and_b32 s21, s20, vcc_lo
	s_and_saveexec_b32 s20, s21
	s_cbranch_execz .LBB2048_90
; %bb.89:                               ;   in Loop: Header=BB2048_64 Depth=2
	s_waitcnt lgkmcnt(0)
	v_bcnt_u32_b32 v22, v22, v109
	ds_write_b32 v112, v22 offset:1056
.LBB2048_90:                            ;   in Loop: Header=BB2048_64 Depth=2
	s_or_b32 exec_lo, exec_lo, s20
	v_cmp_lt_i16_e32 vcc_lo, -1, v26
	; wave barrier
	v_cndmask_b32_e64 v22, -1, 0xffff8000, vcc_lo
	v_xor_b32_e32 v110, v22, v26
	v_cmp_ne_u16_e32 vcc_lo, 0x7fff, v110
	v_cndmask_b32_e32 v22, 0xffff8000, v110, vcc_lo
	v_lshrrev_b32_sdwa v22, s42, v22 dst_sel:DWORD dst_unused:UNUSED_PAD src0_sel:DWORD src1_sel:WORD_0
	v_and_b32_e32 v26, s43, v22
	v_and_b32_e32 v22, 1, v26
	v_lshlrev_b32_e32 v27, 30, v26
	v_lshlrev_b32_e32 v28, 29, v26
	;; [unrolled: 1-line block ×4, first 2 shown]
	v_add_co_u32 v22, s20, v22, -1
	v_cndmask_b32_e64 v114, 0, 1, s20
	v_not_b32_e32 v118, v27
	v_cmp_gt_i32_e64 s20, 0, v27
	v_not_b32_e32 v27, v28
	v_lshlrev_b32_e32 v116, 26, v26
	v_cmp_ne_u32_e32 vcc_lo, 0, v114
	v_ashrrev_i32_e32 v118, 31, v118
	v_lshlrev_b32_e32 v117, 25, v26
	v_ashrrev_i32_e32 v27, 31, v27
	v_lshlrev_b32_e32 v114, 24, v26
	v_xor_b32_e32 v22, vcc_lo, v22
	v_cmp_gt_i32_e32 vcc_lo, 0, v28
	v_not_b32_e32 v28, v113
	v_xor_b32_e32 v118, s20, v118
	v_cmp_gt_i32_e64 s20, 0, v113
	v_and_b32_e32 v22, exec_lo, v22
	v_not_b32_e32 v113, v115
	v_ashrrev_i32_e32 v28, 31, v28
	v_xor_b32_e32 v27, vcc_lo, v27
	v_cmp_gt_i32_e32 vcc_lo, 0, v115
	v_and_b32_e32 v22, v22, v118
	v_not_b32_e32 v115, v116
	v_ashrrev_i32_e32 v113, 31, v113
	v_xor_b32_e32 v28, s20, v28
	v_cmp_gt_i32_e64 s20, 0, v116
	v_and_b32_e32 v22, v22, v27
	v_not_b32_e32 v27, v117
	v_ashrrev_i32_e32 v115, 31, v115
	v_xor_b32_e32 v113, vcc_lo, v113
	v_cmp_gt_i32_e32 vcc_lo, 0, v117
	v_and_b32_e32 v22, v22, v28
	v_not_b32_e32 v28, v114
	v_ashrrev_i32_e32 v27, 31, v27
	v_xor_b32_e32 v115, s20, v115
	v_cmp_gt_i32_e64 s20, 0, v114
	v_and_b32_e32 v22, v22, v113
	v_ashrrev_i32_e32 v28, 31, v28
	v_xor_b32_e32 v27, vcc_lo, v27
	v_mad_u32_u24 v113, v26, 36, v92
	v_mul_u32_u24_e32 v26, 36, v26
	v_and_b32_e32 v22, v22, v115
	v_xor_b32_e32 v28, s20, v28
	ds_read_b32 v113, v113 offset:1056
	v_add_nc_u32_e32 v116, v92, v26
	v_and_b32_e32 v22, v22, v27
	; wave barrier
	v_and_b32_e32 v22, v22, v28
	v_mbcnt_lo_u32_b32 v115, v22, 0
	v_cmp_ne_u32_e64 s20, 0, v22
	v_cmp_eq_u32_e32 vcc_lo, 0, v115
	s_and_b32 s21, s20, vcc_lo
	s_and_saveexec_b32 s20, s21
	s_cbranch_execz .LBB2048_92
; %bb.91:                               ;   in Loop: Header=BB2048_64 Depth=2
	s_waitcnt lgkmcnt(0)
	v_bcnt_u32_b32 v22, v22, v113
	ds_write_b32 v116, v22 offset:1056
.LBB2048_92:                            ;   in Loop: Header=BB2048_64 Depth=2
	s_or_b32 exec_lo, exec_lo, s20
	v_cmp_lt_i16_e32 vcc_lo, -1, v25
	; wave barrier
	v_cndmask_b32_e64 v22, -1, 0xffff8000, vcc_lo
	v_xor_b32_e32 v114, v22, v25
	v_cmp_ne_u16_e32 vcc_lo, 0x7fff, v114
	v_cndmask_b32_e32 v22, 0xffff8000, v114, vcc_lo
	v_lshrrev_b32_sdwa v22, s42, v22 dst_sel:DWORD dst_unused:UNUSED_PAD src0_sel:DWORD src1_sel:WORD_0
	v_and_b32_e32 v25, s43, v22
	v_and_b32_e32 v22, 1, v25
	v_lshlrev_b32_e32 v26, 30, v25
	v_lshlrev_b32_e32 v27, 29, v25
	;; [unrolled: 1-line block ×4, first 2 shown]
	v_add_co_u32 v22, s20, v22, -1
	v_cndmask_b32_e64 v117, 0, 1, s20
	v_not_b32_e32 v121, v26
	v_cmp_gt_i32_e64 s20, 0, v26
	v_not_b32_e32 v26, v27
	v_lshlrev_b32_e32 v119, 26, v25
	v_cmp_ne_u32_e32 vcc_lo, 0, v117
	v_ashrrev_i32_e32 v121, 31, v121
	v_lshlrev_b32_e32 v120, 25, v25
	v_ashrrev_i32_e32 v26, 31, v26
	v_lshlrev_b32_e32 v117, 24, v25
	v_xor_b32_e32 v22, vcc_lo, v22
	v_cmp_gt_i32_e32 vcc_lo, 0, v27
	v_not_b32_e32 v27, v28
	v_xor_b32_e32 v121, s20, v121
	v_cmp_gt_i32_e64 s20, 0, v28
	v_and_b32_e32 v22, exec_lo, v22
	v_not_b32_e32 v28, v118
	v_ashrrev_i32_e32 v27, 31, v27
	v_xor_b32_e32 v26, vcc_lo, v26
	v_cmp_gt_i32_e32 vcc_lo, 0, v118
	v_and_b32_e32 v22, v22, v121
	v_not_b32_e32 v118, v119
	v_ashrrev_i32_e32 v28, 31, v28
	v_xor_b32_e32 v27, s20, v27
	v_cmp_gt_i32_e64 s20, 0, v119
	v_and_b32_e32 v22, v22, v26
	v_not_b32_e32 v26, v120
	v_ashrrev_i32_e32 v118, 31, v118
	v_xor_b32_e32 v28, vcc_lo, v28
	v_cmp_gt_i32_e32 vcc_lo, 0, v120
	v_and_b32_e32 v22, v22, v27
	v_not_b32_e32 v27, v117
	v_ashrrev_i32_e32 v26, 31, v26
	v_xor_b32_e32 v118, s20, v118
	v_cmp_gt_i32_e64 s20, 0, v117
	v_and_b32_e32 v22, v22, v28
	v_ashrrev_i32_e32 v27, 31, v27
	v_xor_b32_e32 v26, vcc_lo, v26
	v_mad_u32_u24 v28, v25, 36, v92
	v_mul_u32_u24_e32 v25, 36, v25
	v_and_b32_e32 v22, v22, v118
	v_xor_b32_e32 v27, s20, v27
	ds_read_b32 v117, v28 offset:1056
	v_add_nc_u32_e32 v120, v92, v25
	v_and_b32_e32 v22, v22, v26
	; wave barrier
	v_and_b32_e32 v22, v22, v27
	v_mbcnt_lo_u32_b32 v119, v22, 0
	v_cmp_ne_u32_e64 s20, 0, v22
	v_cmp_eq_u32_e32 vcc_lo, 0, v119
	s_and_b32 s21, s20, vcc_lo
	s_and_saveexec_b32 s20, s21
	s_cbranch_execz .LBB2048_94
; %bb.93:                               ;   in Loop: Header=BB2048_64 Depth=2
	s_waitcnt lgkmcnt(0)
	v_bcnt_u32_b32 v22, v22, v117
	ds_write_b32 v120, v22 offset:1056
.LBB2048_94:                            ;   in Loop: Header=BB2048_64 Depth=2
	s_or_b32 exec_lo, exec_lo, s20
	v_cmp_lt_i16_e32 vcc_lo, -1, v24
	; wave barrier
	v_cndmask_b32_e64 v22, -1, 0xffff8000, vcc_lo
	v_xor_b32_e32 v118, v22, v24
	v_cmp_ne_u16_e32 vcc_lo, 0x7fff, v118
	v_cndmask_b32_e32 v22, 0xffff8000, v118, vcc_lo
	v_lshrrev_b32_sdwa v22, s42, v22 dst_sel:DWORD dst_unused:UNUSED_PAD src0_sel:DWORD src1_sel:WORD_0
	v_and_b32_e32 v24, s43, v22
	v_and_b32_e32 v22, 1, v24
	v_lshlrev_b32_e32 v25, 30, v24
	v_lshlrev_b32_e32 v26, 29, v24
	v_lshlrev_b32_e32 v27, 28, v24
	v_lshlrev_b32_e32 v121, 27, v24
	v_add_co_u32 v22, s20, v22, -1
	v_cndmask_b32_e64 v28, 0, 1, s20
	v_not_b32_e32 v124, v25
	v_cmp_gt_i32_e64 s20, 0, v25
	v_not_b32_e32 v25, v26
	v_lshlrev_b32_e32 v122, 26, v24
	v_cmp_ne_u32_e32 vcc_lo, 0, v28
	v_ashrrev_i32_e32 v124, 31, v124
	v_lshlrev_b32_e32 v123, 25, v24
	v_ashrrev_i32_e32 v25, 31, v25
	v_lshlrev_b32_e32 v28, 24, v24
	v_xor_b32_e32 v22, vcc_lo, v22
	v_cmp_gt_i32_e32 vcc_lo, 0, v26
	v_not_b32_e32 v26, v27
	v_xor_b32_e32 v124, s20, v124
	v_cmp_gt_i32_e64 s20, 0, v27
	v_and_b32_e32 v22, exec_lo, v22
	v_not_b32_e32 v27, v121
	v_ashrrev_i32_e32 v26, 31, v26
	v_xor_b32_e32 v25, vcc_lo, v25
	v_cmp_gt_i32_e32 vcc_lo, 0, v121
	v_and_b32_e32 v22, v22, v124
	v_not_b32_e32 v121, v122
	v_ashrrev_i32_e32 v27, 31, v27
	v_xor_b32_e32 v26, s20, v26
	v_cmp_gt_i32_e64 s20, 0, v122
	v_and_b32_e32 v22, v22, v25
	v_not_b32_e32 v25, v123
	v_ashrrev_i32_e32 v121, 31, v121
	v_xor_b32_e32 v27, vcc_lo, v27
	v_cmp_gt_i32_e32 vcc_lo, 0, v123
	v_and_b32_e32 v22, v22, v26
	v_not_b32_e32 v26, v28
	v_ashrrev_i32_e32 v25, 31, v25
	v_xor_b32_e32 v121, s20, v121
	v_cmp_gt_i32_e64 s20, 0, v28
	v_and_b32_e32 v22, v22, v27
	v_ashrrev_i32_e32 v26, 31, v26
	v_xor_b32_e32 v25, vcc_lo, v25
	v_mad_u32_u24 v27, v24, 36, v92
	v_mul_u32_u24_e32 v24, 36, v24
	v_and_b32_e32 v22, v22, v121
	v_xor_b32_e32 v26, s20, v26
	ds_read_b32 v121, v27 offset:1056
	v_add_nc_u32_e32 v124, v92, v24
	v_and_b32_e32 v22, v22, v25
	; wave barrier
	v_and_b32_e32 v22, v22, v26
	v_mbcnt_lo_u32_b32 v123, v22, 0
	v_cmp_ne_u32_e64 s20, 0, v22
	v_cmp_eq_u32_e32 vcc_lo, 0, v123
	s_and_b32 s21, s20, vcc_lo
	s_and_saveexec_b32 s20, s21
	s_cbranch_execz .LBB2048_96
; %bb.95:                               ;   in Loop: Header=BB2048_64 Depth=2
	s_waitcnt lgkmcnt(0)
	v_bcnt_u32_b32 v22, v22, v121
	ds_write_b32 v124, v22 offset:1056
.LBB2048_96:                            ;   in Loop: Header=BB2048_64 Depth=2
	s_or_b32 exec_lo, exec_lo, s20
	v_cmp_lt_i16_e32 vcc_lo, -1, v23
	; wave barrier
	v_cndmask_b32_e64 v22, -1, 0xffff8000, vcc_lo
	v_xor_b32_e32 v122, v22, v23
	v_cmp_ne_u16_e32 vcc_lo, 0x7fff, v122
	v_cndmask_b32_e32 v22, 0xffff8000, v122, vcc_lo
	v_lshrrev_b32_sdwa v22, s42, v22 dst_sel:DWORD dst_unused:UNUSED_PAD src0_sel:DWORD src1_sel:WORD_0
	v_and_b32_e32 v23, s43, v22
	v_and_b32_e32 v22, 1, v23
	v_lshlrev_b32_e32 v24, 30, v23
	v_lshlrev_b32_e32 v25, 29, v23
	;; [unrolled: 1-line block ×4, first 2 shown]
	v_add_co_u32 v22, s20, v22, -1
	v_cndmask_b32_e64 v27, 0, 1, s20
	v_not_b32_e32 v127, v24
	v_cmp_gt_i32_e64 s20, 0, v24
	v_not_b32_e32 v24, v25
	v_lshlrev_b32_e32 v125, 26, v23
	v_cmp_ne_u32_e32 vcc_lo, 0, v27
	v_ashrrev_i32_e32 v127, 31, v127
	v_lshlrev_b32_e32 v126, 25, v23
	v_ashrrev_i32_e32 v24, 31, v24
	v_lshlrev_b32_e32 v27, 24, v23
	v_xor_b32_e32 v22, vcc_lo, v22
	v_cmp_gt_i32_e32 vcc_lo, 0, v25
	v_not_b32_e32 v25, v26
	v_xor_b32_e32 v127, s20, v127
	v_cmp_gt_i32_e64 s20, 0, v26
	v_and_b32_e32 v22, exec_lo, v22
	v_not_b32_e32 v26, v28
	v_ashrrev_i32_e32 v25, 31, v25
	v_xor_b32_e32 v24, vcc_lo, v24
	v_cmp_gt_i32_e32 vcc_lo, 0, v28
	v_and_b32_e32 v22, v22, v127
	v_not_b32_e32 v28, v125
	v_ashrrev_i32_e32 v26, 31, v26
	v_xor_b32_e32 v25, s20, v25
	v_cmp_gt_i32_e64 s20, 0, v125
	v_and_b32_e32 v22, v22, v24
	v_not_b32_e32 v24, v126
	v_ashrrev_i32_e32 v28, 31, v28
	v_xor_b32_e32 v26, vcc_lo, v26
	v_cmp_gt_i32_e32 vcc_lo, 0, v126
	v_and_b32_e32 v22, v22, v25
	v_not_b32_e32 v25, v27
	v_ashrrev_i32_e32 v24, 31, v24
	v_xor_b32_e32 v28, s20, v28
	v_cmp_gt_i32_e64 s20, 0, v27
	v_and_b32_e32 v22, v22, v26
	v_ashrrev_i32_e32 v25, 31, v25
	v_xor_b32_e32 v24, vcc_lo, v24
	v_mad_u32_u24 v26, v23, 36, v92
	v_mul_u32_u24_e32 v23, 36, v23
	v_and_b32_e32 v22, v22, v28
	v_xor_b32_e32 v25, s20, v25
	ds_read_b32 v125, v26 offset:1056
	v_add_nc_u32_e32 v128, v92, v23
	v_and_b32_e32 v22, v22, v24
	; wave barrier
	v_and_b32_e32 v22, v22, v25
	v_mbcnt_lo_u32_b32 v127, v22, 0
	v_cmp_ne_u32_e64 s20, 0, v22
	v_cmp_eq_u32_e32 vcc_lo, 0, v127
	s_and_b32 s21, s20, vcc_lo
	s_and_saveexec_b32 s20, s21
	s_cbranch_execz .LBB2048_98
; %bb.97:                               ;   in Loop: Header=BB2048_64 Depth=2
	s_waitcnt lgkmcnt(0)
	v_bcnt_u32_b32 v22, v22, v125
	ds_write_b32 v128, v22 offset:1056
.LBB2048_98:                            ;   in Loop: Header=BB2048_64 Depth=2
	s_or_b32 exec_lo, exec_lo, s20
	v_cmp_lt_i16_e32 vcc_lo, -1, v21
	; wave barrier
	v_cndmask_b32_e64 v22, -1, 0xffff8000, vcc_lo
	v_xor_b32_e32 v126, v22, v21
	v_cmp_ne_u16_e32 vcc_lo, 0x7fff, v126
	v_cndmask_b32_e32 v21, 0xffff8000, v126, vcc_lo
	v_lshrrev_b32_sdwa v21, s42, v21 dst_sel:DWORD dst_unused:UNUSED_PAD src0_sel:DWORD src1_sel:WORD_0
	v_and_b32_e32 v22, s43, v21
	v_and_b32_e32 v21, 1, v22
	v_lshlrev_b32_e32 v23, 30, v22
	v_lshlrev_b32_e32 v24, 29, v22
	;; [unrolled: 1-line block ×4, first 2 shown]
	v_add_co_u32 v21, s20, v21, -1
	v_cndmask_b32_e64 v26, 0, 1, s20
	v_not_b32_e32 v130, v23
	v_cmp_gt_i32_e64 s20, 0, v23
	v_not_b32_e32 v23, v24
	v_lshlrev_b32_e32 v28, 26, v22
	v_cmp_ne_u32_e32 vcc_lo, 0, v26
	v_ashrrev_i32_e32 v130, 31, v130
	v_lshlrev_b32_e32 v129, 25, v22
	v_ashrrev_i32_e32 v23, 31, v23
	v_lshlrev_b32_e32 v26, 24, v22
	v_xor_b32_e32 v21, vcc_lo, v21
	v_cmp_gt_i32_e32 vcc_lo, 0, v24
	v_not_b32_e32 v24, v25
	v_xor_b32_e32 v130, s20, v130
	v_cmp_gt_i32_e64 s20, 0, v25
	v_and_b32_e32 v21, exec_lo, v21
	v_not_b32_e32 v25, v27
	v_ashrrev_i32_e32 v24, 31, v24
	v_xor_b32_e32 v23, vcc_lo, v23
	v_cmp_gt_i32_e32 vcc_lo, 0, v27
	v_and_b32_e32 v21, v21, v130
	v_not_b32_e32 v27, v28
	v_ashrrev_i32_e32 v25, 31, v25
	v_xor_b32_e32 v24, s20, v24
	v_cmp_gt_i32_e64 s20, 0, v28
	v_and_b32_e32 v21, v21, v23
	v_not_b32_e32 v23, v129
	v_ashrrev_i32_e32 v27, 31, v27
	v_xor_b32_e32 v25, vcc_lo, v25
	v_cmp_gt_i32_e32 vcc_lo, 0, v129
	v_and_b32_e32 v21, v21, v24
	v_not_b32_e32 v24, v26
	v_ashrrev_i32_e32 v23, 31, v23
	v_xor_b32_e32 v27, s20, v27
	v_cmp_gt_i32_e64 s20, 0, v26
	v_and_b32_e32 v21, v21, v25
	v_ashrrev_i32_e32 v24, 31, v24
	v_xor_b32_e32 v23, vcc_lo, v23
	v_mad_u32_u24 v25, v22, 36, v92
	v_mul_u32_u24_e32 v22, 36, v22
	v_and_b32_e32 v21, v21, v27
	v_xor_b32_e32 v24, s20, v24
	ds_read_b32 v129, v25 offset:1056
	v_add_nc_u32_e32 v131, v92, v22
	v_and_b32_e32 v21, v21, v23
	; wave barrier
	v_and_b32_e32 v21, v21, v24
	v_mbcnt_lo_u32_b32 v130, v21, 0
	v_cmp_ne_u32_e64 s20, 0, v21
	v_cmp_eq_u32_e32 vcc_lo, 0, v130
	s_and_b32 s21, s20, vcc_lo
	s_and_saveexec_b32 s20, s21
	s_cbranch_execz .LBB2048_100
; %bb.99:                               ;   in Loop: Header=BB2048_64 Depth=2
	s_waitcnt lgkmcnt(0)
	v_bcnt_u32_b32 v21, v21, v129
	ds_write_b32 v131, v21 offset:1056
.LBB2048_100:                           ;   in Loop: Header=BB2048_64 Depth=2
	s_or_b32 exec_lo, exec_lo, s20
	; wave barrier
	s_waitcnt lgkmcnt(0)
	s_barrier
	buffer_gl0_inv
	ds_read2_b32 v[27:28], v78 offset1:1
	ds_read2_b32 v[25:26], v88 offset1:1
	;; [unrolled: 1-line block ×4, first 2 shown]
	ds_read_b32 v132, v44 offset:1088
	s_waitcnt lgkmcnt(3)
	v_add3_u32 v133, v28, v27, v25
	s_waitcnt lgkmcnt(2)
	v_add3_u32 v133, v133, v26, v23
	;; [unrolled: 2-line block ×4, first 2 shown]
	v_mov_b32_dpp v133, v132 row_shr:1 row_mask:0xf bank_mask:0xf
	v_cndmask_b32_e64 v133, v133, 0, s5
	v_add_nc_u32_e32 v132, v133, v132
	v_mov_b32_dpp v133, v132 row_shr:2 row_mask:0xf bank_mask:0xf
	v_cndmask_b32_e64 v133, 0, v133, s13
	v_add_nc_u32_e32 v132, v132, v133
	;; [unrolled: 3-line block ×4, first 2 shown]
	ds_swizzle_b32 v133, v132 offset:swizzle(BROADCAST,32,15)
	s_waitcnt lgkmcnt(0)
	v_cndmask_b32_e64 v133, v133, 0, s16
	v_add_nc_u32_e32 v132, v132, v133
	s_and_saveexec_b32 s20, s8
; %bb.101:                              ;   in Loop: Header=BB2048_64 Depth=2
	ds_write_b32 v39, v132 offset:1024
; %bb.102:                              ;   in Loop: Header=BB2048_64 Depth=2
	s_or_b32 exec_lo, exec_lo, s20
	s_waitcnt lgkmcnt(0)
	s_barrier
	buffer_gl0_inv
	s_and_saveexec_b32 s20, s9
	s_cbranch_execz .LBB2048_104
; %bb.103:                              ;   in Loop: Header=BB2048_64 Depth=2
	ds_read_b32 v133, v46 offset:1024
	s_waitcnt lgkmcnt(0)
	v_mov_b32_dpp v134, v133 row_shr:1 row_mask:0xf bank_mask:0xf
	v_cndmask_b32_e64 v134, v134, 0, s17
	v_add_nc_u32_e32 v133, v134, v133
	v_mov_b32_dpp v134, v133 row_shr:2 row_mask:0xf bank_mask:0xf
	v_cndmask_b32_e64 v134, 0, v134, s18
	v_add_nc_u32_e32 v133, v133, v134
	;; [unrolled: 3-line block ×3, first 2 shown]
	ds_write_b32 v46, v133 offset:1024
.LBB2048_104:                           ;   in Loop: Header=BB2048_64 Depth=2
	s_or_b32 exec_lo, exec_lo, s20
	v_mov_b32_e32 v133, 0
	s_waitcnt lgkmcnt(0)
	s_barrier
	buffer_gl0_inv
	s_and_saveexec_b32 s20, s10
; %bb.105:                              ;   in Loop: Header=BB2048_64 Depth=2
	ds_read_b32 v133, v39 offset:1020
; %bb.106:                              ;   in Loop: Header=BB2048_64 Depth=2
	s_or_b32 exec_lo, exec_lo, s20
	s_waitcnt lgkmcnt(0)
	v_add_nc_u32_e32 v132, v133, v132
	ds_bpermute_b32 v132, v91, v132
	s_waitcnt lgkmcnt(0)
	v_cndmask_b32_e64 v132, v132, v133, s12
	v_cndmask_b32_e64 v132, v132, 0, s4
	v_add_nc_u32_e32 v27, v132, v27
	v_add_nc_u32_e32 v28, v27, v28
	;; [unrolled: 1-line block ×8, first 2 shown]
	ds_write2_b32 v78, v132, v27 offset1:1
	ds_write2_b32 v88, v28, v25 offset1:1
	;; [unrolled: 1-line block ×4, first 2 shown]
	ds_write_b32 v44, v22 offset:1088
	s_waitcnt lgkmcnt(0)
	s_barrier
	buffer_gl0_inv
	ds_read_b32 v24, v104 offset:1056
	ds_read_b32 v25, v108 offset:1056
	;; [unrolled: 1-line block ×9, first 2 shown]
	v_mov_b32_e32 v23, 0x800
	s_and_saveexec_b32 s20, s11
; %bb.107:                              ;   in Loop: Header=BB2048_64 Depth=2
	ds_read_b32 v23, v44 offset:1092
; %bb.108:                              ;   in Loop: Header=BB2048_64 Depth=2
	s_or_b32 exec_lo, exec_lo, s20
	s_waitcnt lgkmcnt(0)
	s_barrier
	buffer_gl0_inv
	s_and_saveexec_b32 s20, s7
	s_cbranch_execz .LBB2048_110
; %bb.109:                              ;   in Loop: Header=BB2048_64 Depth=2
	ds_read_b32 v108, v29
	s_waitcnt lgkmcnt(0)
	v_sub_nc_u32_e32 v104, v108, v104
	ds_write_b32 v29, v104
.LBB2048_110:                           ;   in Loop: Header=BB2048_64 Depth=2
	s_or_b32 exec_lo, exec_lo, s20
	v_add_nc_u32_e32 v108, v24, v102
	v_add3_u32 v104, v106, v105, v25
	v_add3_u32 v102, v111, v109, v26
	;; [unrolled: 1-line block ×4, first 2 shown]
	v_lshlrev_b32_e32 v105, 1, v108
	v_lshlrev_b32_e32 v106, 1, v104
	v_add3_u32 v27, v127, v125, v22
	v_lshlrev_b32_e32 v22, 1, v102
	v_add3_u32 v28, v130, v129, v21
	ds_write_b16 v105, v3 offset:1024
	ds_write_b16 v106, v103 offset:1024
	v_lshlrev_b32_e32 v3, 1, v26
	v_add3_u32 v24, v123, v121, v112
	ds_write_b16 v22, v107 offset:1024
	v_lshlrev_b32_e32 v21, 1, v25
	v_cmp_lt_u32_e32 vcc_lo, v0, v101
	ds_write_b16 v3, v110 offset:1024
	v_lshlrev_b32_e32 v3, 1, v28
	v_lshlrev_b32_e32 v22, 1, v24
	;; [unrolled: 1-line block ×3, first 2 shown]
	ds_write_b16 v21, v114 offset:1024
	ds_write_b16 v22, v118 offset:1024
	;; [unrolled: 1-line block ×4, first 2 shown]
	s_waitcnt lgkmcnt(0)
	s_barrier
	buffer_gl0_inv
	s_and_saveexec_b32 s21, vcc_lo
	s_cbranch_execnz .LBB2048_147
; %bb.111:                              ;   in Loop: Header=BB2048_64 Depth=2
	s_or_b32 exec_lo, exec_lo, s21
	v_cmp_lt_u32_e64 s20, v30, v101
	s_and_saveexec_b32 s22, s20
	s_cbranch_execnz .LBB2048_148
.LBB2048_112:                           ;   in Loop: Header=BB2048_64 Depth=2
	s_or_b32 exec_lo, exec_lo, s22
	v_cmp_lt_u32_e64 s21, v31, v101
	s_and_saveexec_b32 s23, s21
	s_cbranch_execnz .LBB2048_149
.LBB2048_113:                           ;   in Loop: Header=BB2048_64 Depth=2
	s_or_b32 exec_lo, exec_lo, s23
	v_cmp_lt_u32_e64 s22, v32, v101
	s_and_saveexec_b32 s24, s22
	s_cbranch_execnz .LBB2048_150
.LBB2048_114:                           ;   in Loop: Header=BB2048_64 Depth=2
	s_or_b32 exec_lo, exec_lo, s24
	v_cmp_lt_u32_e64 s23, v35, v101
	s_and_saveexec_b32 s25, s23
	s_cbranch_execnz .LBB2048_151
.LBB2048_115:                           ;   in Loop: Header=BB2048_64 Depth=2
	s_or_b32 exec_lo, exec_lo, s25
	v_cmp_lt_u32_e64 s24, v36, v101
	s_and_saveexec_b32 s26, s24
	s_cbranch_execnz .LBB2048_152
.LBB2048_116:                           ;   in Loop: Header=BB2048_64 Depth=2
	s_or_b32 exec_lo, exec_lo, s26
	v_cmp_lt_u32_e64 s25, v37, v101
	s_and_saveexec_b32 s28, s25
	s_cbranch_execnz .LBB2048_153
.LBB2048_117:                           ;   in Loop: Header=BB2048_64 Depth=2
	s_or_b32 exec_lo, exec_lo, s28
	v_cmp_lt_u32_e64 s26, v38, v101
	s_and_saveexec_b32 s54, s26
	s_cbranch_execz .LBB2048_119
.LBB2048_118:                           ;   in Loop: Header=BB2048_64 Depth=2
	ds_read_u16 v103, v47 offset:4608
	s_waitcnt lgkmcnt(0)
	v_cmp_ne_u16_e64 s28, 0x7fff, v103
	v_cndmask_b32_e64 v3, 0xffff8000, v103, s28
	v_cmp_lt_i16_e64 s28, -1, v103
	v_lshrrev_b32_sdwa v3, s42, v3 dst_sel:DWORD dst_unused:UNUSED_PAD src0_sel:DWORD src1_sel:WORD_0
	v_cndmask_b32_e64 v105, 0xffff8000, -1, s28
	v_and_b32_e32 v3, s43, v3
	v_lshlrev_b32_e32 v3, 2, v3
	ds_read_b32 v3, v3
	s_waitcnt lgkmcnt(0)
	v_add_nc_u32_e32 v3, v3, v38
	v_lshlrev_b64 v[21:22], 1, v[3:4]
	v_xor_b32_e32 v3, v105, v103
	v_add_co_u32 v21, s28, s38, v21
	v_add_co_ci_u32_e64 v22, null, s39, v22, s28
	global_store_short v[21:22], v3, off
.LBB2048_119:                           ;   in Loop: Header=BB2048_64 Depth=2
	s_or_b32 exec_lo, exec_lo, s54
	s_lshl_b64 s[54:55], s[34:35], 3
	v_add_co_u32 v21, s28, v83, s54
	v_add_co_ci_u32_e64 v22, null, s55, v84, s28
	v_cmp_lt_u32_e64 s28, v66, v101
	s_and_saveexec_b32 s34, s28
	s_xor_b32 s28, exec_lo, s34
	s_cbranch_execnz .LBB2048_154
; %bb.120:                              ;   in Loop: Header=BB2048_64 Depth=2
	s_or_b32 exec_lo, exec_lo, s28
	s_mov_b32 s34, exec_lo
	v_cmpx_lt_u32_e64 v70, v101
	s_cbranch_execnz .LBB2048_155
.LBB2048_121:                           ;   in Loop: Header=BB2048_64 Depth=2
	s_or_b32 exec_lo, exec_lo, s34
	s_mov_b32 s34, exec_lo
	v_cmpx_lt_u32_e64 v71, v101
	s_cbranch_execnz .LBB2048_156
.LBB2048_122:                           ;   in Loop: Header=BB2048_64 Depth=2
	s_or_b32 exec_lo, exec_lo, s34
	s_mov_b32 s34, exec_lo
	v_cmpx_lt_u32_e64 v72, v101
	s_cbranch_execnz .LBB2048_157
.LBB2048_123:                           ;   in Loop: Header=BB2048_64 Depth=2
	s_or_b32 exec_lo, exec_lo, s34
	s_mov_b32 s34, exec_lo
	v_cmpx_lt_u32_e64 v73, v101
	s_cbranch_execnz .LBB2048_158
.LBB2048_124:                           ;   in Loop: Header=BB2048_64 Depth=2
	s_or_b32 exec_lo, exec_lo, s34
	s_mov_b32 s34, exec_lo
	v_cmpx_lt_u32_e64 v74, v101
	s_cbranch_execnz .LBB2048_159
.LBB2048_125:                           ;   in Loop: Header=BB2048_64 Depth=2
	s_or_b32 exec_lo, exec_lo, s34
	s_mov_b32 s34, exec_lo
	v_cmpx_lt_u32_e64 v75, v101
	s_cbranch_execnz .LBB2048_160
.LBB2048_126:                           ;   in Loop: Header=BB2048_64 Depth=2
	s_or_b32 exec_lo, exec_lo, s34
	s_mov_b32 s34, exec_lo
	v_cmpx_lt_u32_e64 v76, v101
	s_cbranch_execnz .LBB2048_161
.LBB2048_127:                           ;   in Loop: Header=BB2048_64 Depth=2
	s_or_b32 exec_lo, exec_lo, s34
	s_and_saveexec_b32 s34, vcc_lo
	s_cbranch_execnz .LBB2048_162
.LBB2048_128:                           ;   in Loop: Header=BB2048_64 Depth=2
	s_or_b32 exec_lo, exec_lo, s34
	s_and_saveexec_b32 s34, s20
	s_cbranch_execnz .LBB2048_163
.LBB2048_129:                           ;   in Loop: Header=BB2048_64 Depth=2
	s_or_b32 exec_lo, exec_lo, s34
	s_and_saveexec_b32 s34, s21
	s_cbranch_execnz .LBB2048_164
.LBB2048_130:                           ;   in Loop: Header=BB2048_64 Depth=2
	s_or_b32 exec_lo, exec_lo, s34
	s_and_saveexec_b32 s34, s22
	s_cbranch_execnz .LBB2048_165
.LBB2048_131:                           ;   in Loop: Header=BB2048_64 Depth=2
	s_or_b32 exec_lo, exec_lo, s34
	s_and_saveexec_b32 s34, s23
	s_cbranch_execnz .LBB2048_166
.LBB2048_132:                           ;   in Loop: Header=BB2048_64 Depth=2
	s_or_b32 exec_lo, exec_lo, s34
	s_and_saveexec_b32 s34, s24
	s_cbranch_execnz .LBB2048_167
.LBB2048_133:                           ;   in Loop: Header=BB2048_64 Depth=2
	s_or_b32 exec_lo, exec_lo, s34
	s_and_saveexec_b32 s34, s25
	s_cbranch_execnz .LBB2048_168
.LBB2048_134:                           ;   in Loop: Header=BB2048_64 Depth=2
	s_or_b32 exec_lo, exec_lo, s34
	s_and_saveexec_b32 s34, s26
	s_cbranch_execz .LBB2048_136
.LBB2048_135:                           ;   in Loop: Header=BB2048_64 Depth=2
	ds_read_u16 v3, v47 offset:4608
	s_waitcnt lgkmcnt(0)
	v_cmp_ne_u16_e64 s28, 0x7fff, v3
	v_cndmask_b32_e64 v3, 0xffff8000, v3, s28
	v_lshrrev_b32_sdwa v3, s42, v3 dst_sel:DWORD dst_unused:UNUSED_PAD src0_sel:DWORD src1_sel:WORD_0
	v_and_b32_e32 v93, s43, v3
.LBB2048_136:                           ;   in Loop: Header=BB2048_64 Depth=2
	s_or_b32 exec_lo, exec_lo, s34
	v_lshlrev_b32_e32 v3, 3, v108
	v_lshlrev_b32_e32 v21, 3, v104
	;; [unrolled: 1-line block ×3, first 2 shown]
	s_waitcnt vmcnt(0)
	s_waitcnt_vscnt null, 0x0
	s_barrier
	buffer_gl0_inv
	ds_write_b64 v3, v[19:20] offset:1024
	ds_write_b64 v21, v[17:18] offset:1024
	ds_write_b64 v22, v[15:16] offset:1024
	v_lshlrev_b32_e32 v3, 3, v26
	v_lshlrev_b32_e32 v21, 3, v25
	;; [unrolled: 1-line block ×5, first 2 shown]
	ds_write_b64 v3, v[13:14] offset:1024
	ds_write_b64 v21, v[11:12] offset:1024
	ds_write_b64 v22, v[9:10] offset:1024
	ds_write_b64 v24, v[7:8] offset:1024
	ds_write_b64 v25, v[5:6] offset:1024
	s_waitcnt lgkmcnt(0)
	s_barrier
	buffer_gl0_inv
	s_and_saveexec_b32 s28, vcc_lo
	s_cbranch_execnz .LBB2048_169
; %bb.137:                              ;   in Loop: Header=BB2048_64 Depth=2
	s_or_b32 exec_lo, exec_lo, s28
	s_and_saveexec_b32 s28, s20
	s_cbranch_execnz .LBB2048_170
.LBB2048_138:                           ;   in Loop: Header=BB2048_64 Depth=2
	s_or_b32 exec_lo, exec_lo, s28
	s_and_saveexec_b32 s20, s21
	s_cbranch_execnz .LBB2048_171
.LBB2048_139:                           ;   in Loop: Header=BB2048_64 Depth=2
	s_or_b32 exec_lo, exec_lo, s20
	s_and_saveexec_b32 s20, s22
	s_cbranch_execnz .LBB2048_172
.LBB2048_140:                           ;   in Loop: Header=BB2048_64 Depth=2
	s_or_b32 exec_lo, exec_lo, s20
	s_and_saveexec_b32 s20, s23
	s_cbranch_execnz .LBB2048_173
.LBB2048_141:                           ;   in Loop: Header=BB2048_64 Depth=2
	s_or_b32 exec_lo, exec_lo, s20
	s_and_saveexec_b32 s20, s24
	s_cbranch_execnz .LBB2048_174
.LBB2048_142:                           ;   in Loop: Header=BB2048_64 Depth=2
	s_or_b32 exec_lo, exec_lo, s20
	s_and_saveexec_b32 s20, s25
	s_cbranch_execnz .LBB2048_175
.LBB2048_143:                           ;   in Loop: Header=BB2048_64 Depth=2
	s_or_b32 exec_lo, exec_lo, s20
	s_and_saveexec_b32 s20, s26
	s_cbranch_execz .LBB2048_145
.LBB2048_144:                           ;   in Loop: Header=BB2048_64 Depth=2
	v_lshlrev_b32_e32 v3, 2, v93
	v_add_nc_u32_e32 v21, v47, v48
	ds_read_b32 v3, v3
	ds_read_b64 v[21:22], v21 offset:15360
	s_waitcnt lgkmcnt(1)
	v_add_nc_u32_e32 v3, v3, v38
	v_lshlrev_b64 v[24:25], 3, v[3:4]
	v_add_co_u32 v24, vcc_lo, s44, v24
	v_add_co_ci_u32_e64 v25, null, s45, v25, vcc_lo
	s_waitcnt lgkmcnt(0)
	global_store_dwordx2 v[24:25], v[21:22], off
.LBB2048_145:                           ;   in Loop: Header=BB2048_64 Depth=2
	s_or_b32 exec_lo, exec_lo, s20
	s_waitcnt_vscnt null, 0x0
	s_barrier
	buffer_gl0_inv
	s_and_saveexec_b32 s20, s7
	s_cbranch_execz .LBB2048_63
; %bb.146:                              ;   in Loop: Header=BB2048_64 Depth=2
	ds_read_b32 v3, v29
	s_waitcnt lgkmcnt(0)
	v_add_nc_u32_e32 v3, v3, v23
	ds_write_b32 v29, v3
	s_branch .LBB2048_63
.LBB2048_147:                           ;   in Loop: Header=BB2048_64 Depth=2
	ds_read_u16 v103, v47 offset:1024
	s_waitcnt lgkmcnt(0)
	v_cmp_ne_u16_e64 s20, 0x7fff, v103
	v_cndmask_b32_e64 v3, 0xffff8000, v103, s20
	v_cmp_lt_i16_e64 s20, -1, v103
	v_lshrrev_b32_sdwa v3, s42, v3 dst_sel:DWORD dst_unused:UNUSED_PAD src0_sel:DWORD src1_sel:WORD_0
	v_cndmask_b32_e64 v105, 0xffff8000, -1, s20
	v_and_b32_e32 v3, s43, v3
	v_lshlrev_b32_e32 v3, 2, v3
	ds_read_b32 v3, v3
	s_waitcnt lgkmcnt(0)
	v_add_nc_u32_e32 v3, v3, v0
	v_lshlrev_b64 v[21:22], 1, v[3:4]
	v_xor_b32_e32 v3, v105, v103
	v_add_co_u32 v21, s20, s38, v21
	v_add_co_ci_u32_e64 v22, null, s39, v22, s20
	global_store_short v[21:22], v3, off
	s_or_b32 exec_lo, exec_lo, s21
	v_cmp_lt_u32_e64 s20, v30, v101
	s_and_saveexec_b32 s22, s20
	s_cbranch_execz .LBB2048_112
.LBB2048_148:                           ;   in Loop: Header=BB2048_64 Depth=2
	ds_read_u16 v103, v47 offset:1536
	s_waitcnt lgkmcnt(0)
	v_cmp_ne_u16_e64 s21, 0x7fff, v103
	v_cndmask_b32_e64 v3, 0xffff8000, v103, s21
	v_cmp_lt_i16_e64 s21, -1, v103
	v_lshrrev_b32_sdwa v3, s42, v3 dst_sel:DWORD dst_unused:UNUSED_PAD src0_sel:DWORD src1_sel:WORD_0
	v_cndmask_b32_e64 v105, 0xffff8000, -1, s21
	v_and_b32_e32 v3, s43, v3
	v_lshlrev_b32_e32 v3, 2, v3
	ds_read_b32 v3, v3
	s_waitcnt lgkmcnt(0)
	v_add_nc_u32_e32 v3, v3, v30
	v_lshlrev_b64 v[21:22], 1, v[3:4]
	v_xor_b32_e32 v3, v105, v103
	v_add_co_u32 v21, s21, s38, v21
	v_add_co_ci_u32_e64 v22, null, s39, v22, s21
	global_store_short v[21:22], v3, off
	s_or_b32 exec_lo, exec_lo, s22
	v_cmp_lt_u32_e64 s21, v31, v101
	s_and_saveexec_b32 s23, s21
	s_cbranch_execz .LBB2048_113
.LBB2048_149:                           ;   in Loop: Header=BB2048_64 Depth=2
	ds_read_u16 v103, v47 offset:2048
	s_waitcnt lgkmcnt(0)
	v_cmp_ne_u16_e64 s22, 0x7fff, v103
	v_cndmask_b32_e64 v3, 0xffff8000, v103, s22
	v_cmp_lt_i16_e64 s22, -1, v103
	v_lshrrev_b32_sdwa v3, s42, v3 dst_sel:DWORD dst_unused:UNUSED_PAD src0_sel:DWORD src1_sel:WORD_0
	v_cndmask_b32_e64 v105, 0xffff8000, -1, s22
	v_and_b32_e32 v3, s43, v3
	v_lshlrev_b32_e32 v3, 2, v3
	ds_read_b32 v3, v3
	s_waitcnt lgkmcnt(0)
	v_add_nc_u32_e32 v3, v3, v31
	v_lshlrev_b64 v[21:22], 1, v[3:4]
	v_xor_b32_e32 v3, v105, v103
	v_add_co_u32 v21, s22, s38, v21
	v_add_co_ci_u32_e64 v22, null, s39, v22, s22
	global_store_short v[21:22], v3, off
	s_or_b32 exec_lo, exec_lo, s23
	v_cmp_lt_u32_e64 s22, v32, v101
	s_and_saveexec_b32 s24, s22
	s_cbranch_execz .LBB2048_114
.LBB2048_150:                           ;   in Loop: Header=BB2048_64 Depth=2
	ds_read_u16 v103, v47 offset:2560
	s_waitcnt lgkmcnt(0)
	v_cmp_ne_u16_e64 s23, 0x7fff, v103
	v_cndmask_b32_e64 v3, 0xffff8000, v103, s23
	v_cmp_lt_i16_e64 s23, -1, v103
	v_lshrrev_b32_sdwa v3, s42, v3 dst_sel:DWORD dst_unused:UNUSED_PAD src0_sel:DWORD src1_sel:WORD_0
	v_cndmask_b32_e64 v105, 0xffff8000, -1, s23
	v_and_b32_e32 v3, s43, v3
	v_lshlrev_b32_e32 v3, 2, v3
	ds_read_b32 v3, v3
	s_waitcnt lgkmcnt(0)
	v_add_nc_u32_e32 v3, v3, v32
	v_lshlrev_b64 v[21:22], 1, v[3:4]
	v_xor_b32_e32 v3, v105, v103
	v_add_co_u32 v21, s23, s38, v21
	v_add_co_ci_u32_e64 v22, null, s39, v22, s23
	global_store_short v[21:22], v3, off
	s_or_b32 exec_lo, exec_lo, s24
	v_cmp_lt_u32_e64 s23, v35, v101
	s_and_saveexec_b32 s25, s23
	s_cbranch_execz .LBB2048_115
.LBB2048_151:                           ;   in Loop: Header=BB2048_64 Depth=2
	ds_read_u16 v103, v47 offset:3072
	s_waitcnt lgkmcnt(0)
	v_cmp_ne_u16_e64 s24, 0x7fff, v103
	v_cndmask_b32_e64 v3, 0xffff8000, v103, s24
	v_cmp_lt_i16_e64 s24, -1, v103
	v_lshrrev_b32_sdwa v3, s42, v3 dst_sel:DWORD dst_unused:UNUSED_PAD src0_sel:DWORD src1_sel:WORD_0
	v_cndmask_b32_e64 v105, 0xffff8000, -1, s24
	v_and_b32_e32 v3, s43, v3
	v_lshlrev_b32_e32 v3, 2, v3
	ds_read_b32 v3, v3
	s_waitcnt lgkmcnt(0)
	v_add_nc_u32_e32 v3, v3, v35
	v_lshlrev_b64 v[21:22], 1, v[3:4]
	v_xor_b32_e32 v3, v105, v103
	v_add_co_u32 v21, s24, s38, v21
	v_add_co_ci_u32_e64 v22, null, s39, v22, s24
	global_store_short v[21:22], v3, off
	s_or_b32 exec_lo, exec_lo, s25
	v_cmp_lt_u32_e64 s24, v36, v101
	s_and_saveexec_b32 s26, s24
	s_cbranch_execz .LBB2048_116
.LBB2048_152:                           ;   in Loop: Header=BB2048_64 Depth=2
	ds_read_u16 v103, v47 offset:3584
	s_waitcnt lgkmcnt(0)
	v_cmp_ne_u16_e64 s25, 0x7fff, v103
	v_cndmask_b32_e64 v3, 0xffff8000, v103, s25
	v_cmp_lt_i16_e64 s25, -1, v103
	v_lshrrev_b32_sdwa v3, s42, v3 dst_sel:DWORD dst_unused:UNUSED_PAD src0_sel:DWORD src1_sel:WORD_0
	v_cndmask_b32_e64 v105, 0xffff8000, -1, s25
	v_and_b32_e32 v3, s43, v3
	v_lshlrev_b32_e32 v3, 2, v3
	ds_read_b32 v3, v3
	s_waitcnt lgkmcnt(0)
	v_add_nc_u32_e32 v3, v3, v36
	v_lshlrev_b64 v[21:22], 1, v[3:4]
	v_xor_b32_e32 v3, v105, v103
	v_add_co_u32 v21, s25, s38, v21
	v_add_co_ci_u32_e64 v22, null, s39, v22, s25
	global_store_short v[21:22], v3, off
	s_or_b32 exec_lo, exec_lo, s26
	v_cmp_lt_u32_e64 s25, v37, v101
	s_and_saveexec_b32 s28, s25
	s_cbranch_execz .LBB2048_117
.LBB2048_153:                           ;   in Loop: Header=BB2048_64 Depth=2
	ds_read_u16 v103, v47 offset:4096
	s_waitcnt lgkmcnt(0)
	v_cmp_ne_u16_e64 s26, 0x7fff, v103
	v_cndmask_b32_e64 v3, 0xffff8000, v103, s26
	v_cmp_lt_i16_e64 s26, -1, v103
	v_lshrrev_b32_sdwa v3, s42, v3 dst_sel:DWORD dst_unused:UNUSED_PAD src0_sel:DWORD src1_sel:WORD_0
	v_cndmask_b32_e64 v105, 0xffff8000, -1, s26
	v_and_b32_e32 v3, s43, v3
	v_lshlrev_b32_e32 v3, 2, v3
	ds_read_b32 v3, v3
	s_waitcnt lgkmcnt(0)
	v_add_nc_u32_e32 v3, v3, v37
	v_lshlrev_b64 v[21:22], 1, v[3:4]
	v_xor_b32_e32 v3, v105, v103
	v_add_co_u32 v21, s26, s38, v21
	v_add_co_ci_u32_e64 v22, null, s39, v22, s26
	global_store_short v[21:22], v3, off
	s_or_b32 exec_lo, exec_lo, s28
	v_cmp_lt_u32_e64 s26, v38, v101
	s_and_saveexec_b32 s54, s26
	s_cbranch_execnz .LBB2048_118
	s_branch .LBB2048_119
.LBB2048_154:                           ;   in Loop: Header=BB2048_64 Depth=2
	global_load_dwordx2 v[19:20], v[21:22], off
	s_or_b32 exec_lo, exec_lo, s28
	s_mov_b32 s34, exec_lo
	v_cmpx_lt_u32_e64 v70, v101
	s_cbranch_execz .LBB2048_121
.LBB2048_155:                           ;   in Loop: Header=BB2048_64 Depth=2
	global_load_dwordx2 v[17:18], v[21:22], off offset:256
	s_or_b32 exec_lo, exec_lo, s34
	s_mov_b32 s34, exec_lo
	v_cmpx_lt_u32_e64 v71, v101
	s_cbranch_execz .LBB2048_122
.LBB2048_156:                           ;   in Loop: Header=BB2048_64 Depth=2
	global_load_dwordx2 v[15:16], v[21:22], off offset:512
	s_or_b32 exec_lo, exec_lo, s34
	s_mov_b32 s34, exec_lo
	v_cmpx_lt_u32_e64 v72, v101
	s_cbranch_execz .LBB2048_123
.LBB2048_157:                           ;   in Loop: Header=BB2048_64 Depth=2
	global_load_dwordx2 v[13:14], v[21:22], off offset:768
	s_or_b32 exec_lo, exec_lo, s34
	s_mov_b32 s34, exec_lo
	v_cmpx_lt_u32_e64 v73, v101
	s_cbranch_execz .LBB2048_124
.LBB2048_158:                           ;   in Loop: Header=BB2048_64 Depth=2
	global_load_dwordx2 v[11:12], v[21:22], off offset:1024
	s_or_b32 exec_lo, exec_lo, s34
	s_mov_b32 s34, exec_lo
	v_cmpx_lt_u32_e64 v74, v101
	s_cbranch_execz .LBB2048_125
.LBB2048_159:                           ;   in Loop: Header=BB2048_64 Depth=2
	global_load_dwordx2 v[9:10], v[21:22], off offset:1280
	s_or_b32 exec_lo, exec_lo, s34
	s_mov_b32 s34, exec_lo
	v_cmpx_lt_u32_e64 v75, v101
	s_cbranch_execz .LBB2048_126
.LBB2048_160:                           ;   in Loop: Header=BB2048_64 Depth=2
	global_load_dwordx2 v[7:8], v[21:22], off offset:1536
	s_or_b32 exec_lo, exec_lo, s34
	s_mov_b32 s34, exec_lo
	v_cmpx_lt_u32_e64 v76, v101
	s_cbranch_execz .LBB2048_127
.LBB2048_161:                           ;   in Loop: Header=BB2048_64 Depth=2
	global_load_dwordx2 v[5:6], v[21:22], off offset:1792
	s_or_b32 exec_lo, exec_lo, s34
	s_and_saveexec_b32 s34, vcc_lo
	s_cbranch_execz .LBB2048_128
.LBB2048_162:                           ;   in Loop: Header=BB2048_64 Depth=2
	ds_read_u16 v3, v47 offset:1024
	s_waitcnt lgkmcnt(0)
	v_cmp_ne_u16_e64 s28, 0x7fff, v3
	v_cndmask_b32_e64 v3, 0xffff8000, v3, s28
	v_lshrrev_b32_sdwa v3, s42, v3 dst_sel:DWORD dst_unused:UNUSED_PAD src0_sel:DWORD src1_sel:WORD_0
	v_and_b32_e32 v100, s43, v3
	s_or_b32 exec_lo, exec_lo, s34
	s_and_saveexec_b32 s34, s20
	s_cbranch_execz .LBB2048_129
.LBB2048_163:                           ;   in Loop: Header=BB2048_64 Depth=2
	ds_read_u16 v3, v47 offset:1536
	s_waitcnt lgkmcnt(0)
	v_cmp_ne_u16_e64 s28, 0x7fff, v3
	v_cndmask_b32_e64 v3, 0xffff8000, v3, s28
	v_lshrrev_b32_sdwa v3, s42, v3 dst_sel:DWORD dst_unused:UNUSED_PAD src0_sel:DWORD src1_sel:WORD_0
	v_and_b32_e32 v99, s43, v3
	s_or_b32 exec_lo, exec_lo, s34
	s_and_saveexec_b32 s34, s21
	s_cbranch_execz .LBB2048_130
.LBB2048_164:                           ;   in Loop: Header=BB2048_64 Depth=2
	ds_read_u16 v3, v47 offset:2048
	s_waitcnt lgkmcnt(0)
	v_cmp_ne_u16_e64 s28, 0x7fff, v3
	v_cndmask_b32_e64 v3, 0xffff8000, v3, s28
	v_lshrrev_b32_sdwa v3, s42, v3 dst_sel:DWORD dst_unused:UNUSED_PAD src0_sel:DWORD src1_sel:WORD_0
	v_and_b32_e32 v98, s43, v3
	s_or_b32 exec_lo, exec_lo, s34
	s_and_saveexec_b32 s34, s22
	s_cbranch_execz .LBB2048_131
.LBB2048_165:                           ;   in Loop: Header=BB2048_64 Depth=2
	ds_read_u16 v3, v47 offset:2560
	s_waitcnt lgkmcnt(0)
	v_cmp_ne_u16_e64 s28, 0x7fff, v3
	v_cndmask_b32_e64 v3, 0xffff8000, v3, s28
	v_lshrrev_b32_sdwa v3, s42, v3 dst_sel:DWORD dst_unused:UNUSED_PAD src0_sel:DWORD src1_sel:WORD_0
	v_and_b32_e32 v97, s43, v3
	s_or_b32 exec_lo, exec_lo, s34
	s_and_saveexec_b32 s34, s23
	s_cbranch_execz .LBB2048_132
.LBB2048_166:                           ;   in Loop: Header=BB2048_64 Depth=2
	ds_read_u16 v3, v47 offset:3072
	s_waitcnt lgkmcnt(0)
	v_cmp_ne_u16_e64 s28, 0x7fff, v3
	v_cndmask_b32_e64 v3, 0xffff8000, v3, s28
	v_lshrrev_b32_sdwa v3, s42, v3 dst_sel:DWORD dst_unused:UNUSED_PAD src0_sel:DWORD src1_sel:WORD_0
	v_and_b32_e32 v96, s43, v3
	s_or_b32 exec_lo, exec_lo, s34
	s_and_saveexec_b32 s34, s24
	s_cbranch_execz .LBB2048_133
.LBB2048_167:                           ;   in Loop: Header=BB2048_64 Depth=2
	ds_read_u16 v3, v47 offset:3584
	s_waitcnt lgkmcnt(0)
	v_cmp_ne_u16_e64 s28, 0x7fff, v3
	v_cndmask_b32_e64 v3, 0xffff8000, v3, s28
	v_lshrrev_b32_sdwa v3, s42, v3 dst_sel:DWORD dst_unused:UNUSED_PAD src0_sel:DWORD src1_sel:WORD_0
	v_and_b32_e32 v95, s43, v3
	s_or_b32 exec_lo, exec_lo, s34
	s_and_saveexec_b32 s34, s25
	s_cbranch_execz .LBB2048_134
.LBB2048_168:                           ;   in Loop: Header=BB2048_64 Depth=2
	ds_read_u16 v3, v47 offset:4096
	s_waitcnt lgkmcnt(0)
	v_cmp_ne_u16_e64 s28, 0x7fff, v3
	v_cndmask_b32_e64 v3, 0xffff8000, v3, s28
	v_lshrrev_b32_sdwa v3, s42, v3 dst_sel:DWORD dst_unused:UNUSED_PAD src0_sel:DWORD src1_sel:WORD_0
	v_and_b32_e32 v94, s43, v3
	s_or_b32 exec_lo, exec_lo, s34
	s_and_saveexec_b32 s34, s26
	s_cbranch_execnz .LBB2048_135
	s_branch .LBB2048_136
.LBB2048_169:                           ;   in Loop: Header=BB2048_64 Depth=2
	v_lshlrev_b32_e32 v3, 2, v100
	v_add_nc_u32_e32 v21, v47, v48
	ds_read_b32 v3, v3
	ds_read_b64 v[21:22], v21 offset:1024
	s_waitcnt lgkmcnt(1)
	v_add_nc_u32_e32 v3, v3, v0
	v_lshlrev_b64 v[24:25], 3, v[3:4]
	v_add_co_u32 v24, vcc_lo, s44, v24
	v_add_co_ci_u32_e64 v25, null, s45, v25, vcc_lo
	s_waitcnt lgkmcnt(0)
	global_store_dwordx2 v[24:25], v[21:22], off
	s_or_b32 exec_lo, exec_lo, s28
	s_and_saveexec_b32 s28, s20
	s_cbranch_execz .LBB2048_138
.LBB2048_170:                           ;   in Loop: Header=BB2048_64 Depth=2
	v_lshlrev_b32_e32 v3, 2, v99
	v_add_nc_u32_e32 v21, v47, v48
	ds_read_b32 v3, v3
	ds_read_b64 v[21:22], v21 offset:3072
	s_waitcnt lgkmcnt(1)
	v_add_nc_u32_e32 v3, v3, v30
	v_lshlrev_b64 v[24:25], 3, v[3:4]
	v_add_co_u32 v24, vcc_lo, s44, v24
	v_add_co_ci_u32_e64 v25, null, s45, v25, vcc_lo
	s_waitcnt lgkmcnt(0)
	global_store_dwordx2 v[24:25], v[21:22], off
	s_or_b32 exec_lo, exec_lo, s28
	s_and_saveexec_b32 s20, s21
	s_cbranch_execz .LBB2048_139
.LBB2048_171:                           ;   in Loop: Header=BB2048_64 Depth=2
	v_lshlrev_b32_e32 v3, 2, v98
	v_add_nc_u32_e32 v21, v47, v48
	ds_read_b32 v3, v3
	ds_read_b64 v[21:22], v21 offset:5120
	s_waitcnt lgkmcnt(1)
	v_add_nc_u32_e32 v3, v3, v31
	v_lshlrev_b64 v[24:25], 3, v[3:4]
	v_add_co_u32 v24, vcc_lo, s44, v24
	v_add_co_ci_u32_e64 v25, null, s45, v25, vcc_lo
	s_waitcnt lgkmcnt(0)
	global_store_dwordx2 v[24:25], v[21:22], off
	s_or_b32 exec_lo, exec_lo, s20
	s_and_saveexec_b32 s20, s22
	s_cbranch_execz .LBB2048_140
.LBB2048_172:                           ;   in Loop: Header=BB2048_64 Depth=2
	v_lshlrev_b32_e32 v3, 2, v97
	v_add_nc_u32_e32 v21, v47, v48
	ds_read_b32 v3, v3
	ds_read_b64 v[21:22], v21 offset:7168
	s_waitcnt lgkmcnt(1)
	v_add_nc_u32_e32 v3, v3, v32
	v_lshlrev_b64 v[24:25], 3, v[3:4]
	v_add_co_u32 v24, vcc_lo, s44, v24
	v_add_co_ci_u32_e64 v25, null, s45, v25, vcc_lo
	s_waitcnt lgkmcnt(0)
	global_store_dwordx2 v[24:25], v[21:22], off
	s_or_b32 exec_lo, exec_lo, s20
	s_and_saveexec_b32 s20, s23
	s_cbranch_execz .LBB2048_141
.LBB2048_173:                           ;   in Loop: Header=BB2048_64 Depth=2
	v_lshlrev_b32_e32 v3, 2, v96
	v_add_nc_u32_e32 v21, v47, v48
	ds_read_b32 v3, v3
	ds_read_b64 v[21:22], v21 offset:9216
	s_waitcnt lgkmcnt(1)
	v_add_nc_u32_e32 v3, v3, v35
	v_lshlrev_b64 v[24:25], 3, v[3:4]
	v_add_co_u32 v24, vcc_lo, s44, v24
	v_add_co_ci_u32_e64 v25, null, s45, v25, vcc_lo
	s_waitcnt lgkmcnt(0)
	global_store_dwordx2 v[24:25], v[21:22], off
	s_or_b32 exec_lo, exec_lo, s20
	s_and_saveexec_b32 s20, s24
	s_cbranch_execz .LBB2048_142
.LBB2048_174:                           ;   in Loop: Header=BB2048_64 Depth=2
	v_lshlrev_b32_e32 v3, 2, v95
	v_add_nc_u32_e32 v21, v47, v48
	ds_read_b32 v3, v3
	ds_read_b64 v[21:22], v21 offset:11264
	s_waitcnt lgkmcnt(1)
	v_add_nc_u32_e32 v3, v3, v36
	v_lshlrev_b64 v[24:25], 3, v[3:4]
	v_add_co_u32 v24, vcc_lo, s44, v24
	v_add_co_ci_u32_e64 v25, null, s45, v25, vcc_lo
	s_waitcnt lgkmcnt(0)
	global_store_dwordx2 v[24:25], v[21:22], off
	s_or_b32 exec_lo, exec_lo, s20
	s_and_saveexec_b32 s20, s25
	s_cbranch_execz .LBB2048_143
.LBB2048_175:                           ;   in Loop: Header=BB2048_64 Depth=2
	v_lshlrev_b32_e32 v3, 2, v94
	v_add_nc_u32_e32 v21, v47, v48
	ds_read_b32 v3, v3
	ds_read_b64 v[21:22], v21 offset:13312
	s_waitcnt lgkmcnt(1)
	v_add_nc_u32_e32 v3, v3, v37
	v_lshlrev_b64 v[24:25], 3, v[3:4]
	v_add_co_u32 v24, vcc_lo, s44, v24
	v_add_co_ci_u32_e64 v25, null, s45, v25, vcc_lo
	s_waitcnt lgkmcnt(0)
	global_store_dwordx2 v[24:25], v[21:22], off
	s_or_b32 exec_lo, exec_lo, s20
	s_and_saveexec_b32 s20, s26
	s_cbranch_execnz .LBB2048_144
	s_branch .LBB2048_145
.LBB2048_176:                           ;   in Loop: Header=BB2048_12 Depth=1
	s_waitcnt lgkmcnt(0)
	s_mov_b32 s5, 0
	s_barrier
.LBB2048_177:                           ;   in Loop: Header=BB2048_12 Depth=1
	s_and_b32 vcc_lo, exec_lo, s5
	s_cbranch_vccz .LBB2048_341
; %bb.178:                              ;   in Loop: Header=BB2048_12 Depth=1
	s_mov_b32 s5, s52
	s_mov_b32 s34, s29
	s_barrier
	buffer_gl0_inv
                                        ; implicit-def: $vgpr3
                                        ; implicit-def: $vgpr5
                                        ; implicit-def: $vgpr6
                                        ; implicit-def: $vgpr7
                                        ; implicit-def: $vgpr8
                                        ; implicit-def: $vgpr9
                                        ; implicit-def: $vgpr10
                                        ; implicit-def: $vgpr11
	s_branch .LBB2048_180
.LBB2048_179:                           ;   in Loop: Header=BB2048_180 Depth=2
	s_or_b32 exec_lo, exec_lo, s14
	s_addk_i32 s5, 0xf800
	s_cmp_ge_u32 s13, s33
	s_mov_b32 s34, s13
	s_cbranch_scc1 .LBB2048_216
.LBB2048_180:                           ;   Parent Loop BB2048_12 Depth=1
                                        ; =>  This Inner Loop Header: Depth=2
	s_add_i32 s13, s34, 0x800
	s_mov_b32 s14, -1
	s_cmp_gt_u32 s13, s33
                                        ; implicit-def: $vgpr12
                                        ; implicit-def: $vgpr13
                                        ; implicit-def: $vgpr14
                                        ; implicit-def: $vgpr15
                                        ; implicit-def: $vgpr16
                                        ; implicit-def: $vgpr17
                                        ; implicit-def: $vgpr18
                                        ; implicit-def: $vgpr19
	s_cbranch_scc1 .LBB2048_182
; %bb.181:                              ;   in Loop: Header=BB2048_180 Depth=2
	s_lshl_b64 s[14:15], s[34:35], 1
	v_add_co_u32 v15, vcc_lo, v49, s14
	v_add_co_ci_u32_e64 v16, null, s15, v50, vcc_lo
	s_mov_b32 s14, 0
	v_add_co_u32 v19, vcc_lo, 0x800, v15
	v_add_co_ci_u32_e64 v20, null, 0, v16, vcc_lo
	s_clause 0x7
	global_load_ushort v12, v[15:16], off
	global_load_ushort v13, v[15:16], off offset:512
	global_load_ushort v14, v[15:16], off offset:1024
	;; [unrolled: 1-line block ×3, first 2 shown]
	global_load_ushort v16, v[19:20], off
	global_load_ushort v17, v[19:20], off offset:512
	global_load_ushort v18, v[19:20], off offset:1024
	;; [unrolled: 1-line block ×3, first 2 shown]
.LBB2048_182:                           ;   in Loop: Header=BB2048_180 Depth=2
	s_andn2_b32 vcc_lo, exec_lo, s14
	s_movk_i32 s14, 0x800
	s_cbranch_vccnz .LBB2048_193
; %bb.183:                              ;   in Loop: Header=BB2048_180 Depth=2
	s_lshl_b64 s[14:15], s[34:35], 1
	s_mov_b32 s16, exec_lo
	s_add_u32 s14, s38, s14
	s_addc_u32 s15, s39, s15
	v_cmpx_gt_u32_e64 s5, v0
	s_cbranch_execnz .LBB2048_209
; %bb.184:                              ;   in Loop: Header=BB2048_180 Depth=2
	s_or_b32 exec_lo, exec_lo, s16
	s_mov_b32 s16, exec_lo
	v_cmpx_gt_u32_e64 s5, v30
	s_cbranch_execnz .LBB2048_210
.LBB2048_185:                           ;   in Loop: Header=BB2048_180 Depth=2
	s_or_b32 exec_lo, exec_lo, s16
	s_mov_b32 s16, exec_lo
	v_cmpx_gt_u32_e64 s5, v31
	s_cbranch_execnz .LBB2048_211
.LBB2048_186:                           ;   in Loop: Header=BB2048_180 Depth=2
	s_or_b32 exec_lo, exec_lo, s16
	s_mov_b32 s16, exec_lo
	v_cmpx_gt_u32_e64 s5, v32
	s_cbranch_execnz .LBB2048_212
.LBB2048_187:                           ;   in Loop: Header=BB2048_180 Depth=2
	s_or_b32 exec_lo, exec_lo, s16
	s_mov_b32 s16, exec_lo
	v_cmpx_gt_u32_e64 s5, v35
	s_cbranch_execnz .LBB2048_213
.LBB2048_188:                           ;   in Loop: Header=BB2048_180 Depth=2
	s_or_b32 exec_lo, exec_lo, s16
	s_mov_b32 s16, exec_lo
	v_cmpx_gt_u32_e64 s5, v36
	s_cbranch_execnz .LBB2048_214
.LBB2048_189:                           ;   in Loop: Header=BB2048_180 Depth=2
	s_or_b32 exec_lo, exec_lo, s16
	s_mov_b32 s16, exec_lo
	v_cmpx_gt_u32_e64 s5, v37
	s_cbranch_execnz .LBB2048_215
.LBB2048_190:                           ;   in Loop: Header=BB2048_180 Depth=2
	s_or_b32 exec_lo, exec_lo, s16
	s_mov_b32 s16, exec_lo
	v_cmpx_gt_u32_e64 s5, v38
	s_cbranch_execz .LBB2048_192
.LBB2048_191:                           ;   in Loop: Header=BB2048_180 Depth=2
	global_load_ushort v3, v87, s[14:15]
.LBB2048_192:                           ;   in Loop: Header=BB2048_180 Depth=2
	s_or_b32 exec_lo, exec_lo, s16
	s_waitcnt vmcnt(0)
	v_mov_b32_e32 v12, v11
	v_mov_b32_e32 v13, v10
	;; [unrolled: 1-line block ×8, first 2 shown]
	s_mov_b32 s14, s5
.LBB2048_193:                           ;   in Loop: Header=BB2048_180 Depth=2
	s_waitcnt vmcnt(0)
	v_mov_b32_e32 v3, v19
	v_mov_b32_e32 v5, v18
	;; [unrolled: 1-line block ×8, first 2 shown]
	s_mov_b32 s15, exec_lo
	v_cmpx_gt_u32_e64 s14, v0
	s_cbranch_execnz .LBB2048_201
; %bb.194:                              ;   in Loop: Header=BB2048_180 Depth=2
	s_or_b32 exec_lo, exec_lo, s15
	s_mov_b32 s15, exec_lo
	v_cmpx_gt_u32_e64 s14, v30
	s_cbranch_execnz .LBB2048_202
.LBB2048_195:                           ;   in Loop: Header=BB2048_180 Depth=2
	s_or_b32 exec_lo, exec_lo, s15
	s_mov_b32 s15, exec_lo
	v_cmpx_gt_u32_e64 s14, v31
	s_cbranch_execnz .LBB2048_203
.LBB2048_196:                           ;   in Loop: Header=BB2048_180 Depth=2
	s_or_b32 exec_lo, exec_lo, s15
	s_mov_b32 s15, exec_lo
	v_cmpx_gt_u32_e64 s14, v32
	s_cbranch_execnz .LBB2048_204
.LBB2048_197:                           ;   in Loop: Header=BB2048_180 Depth=2
	s_or_b32 exec_lo, exec_lo, s15
	s_mov_b32 s15, exec_lo
	v_cmpx_gt_u32_e64 s14, v35
	s_cbranch_execnz .LBB2048_205
.LBB2048_198:                           ;   in Loop: Header=BB2048_180 Depth=2
	s_or_b32 exec_lo, exec_lo, s15
	s_mov_b32 s15, exec_lo
	v_cmpx_gt_u32_e64 s14, v36
	s_cbranch_execnz .LBB2048_206
.LBB2048_199:                           ;   in Loop: Header=BB2048_180 Depth=2
	s_or_b32 exec_lo, exec_lo, s15
	s_mov_b32 s15, exec_lo
	v_cmpx_gt_u32_e64 s14, v37
	s_cbranch_execnz .LBB2048_207
.LBB2048_200:                           ;   in Loop: Header=BB2048_180 Depth=2
	s_or_b32 exec_lo, exec_lo, s15
	v_cmp_gt_u32_e32 vcc_lo, s14, v38
	s_and_saveexec_b32 s14, vcc_lo
	s_cbranch_execz .LBB2048_179
	s_branch .LBB2048_208
.LBB2048_201:                           ;   in Loop: Header=BB2048_180 Depth=2
	v_cmp_lt_i16_e32 vcc_lo, -1, v11
	v_cndmask_b32_e64 v12, -1, 0xffff8000, vcc_lo
	v_xor_b32_e32 v12, v12, v11
	v_cmp_ne_u16_e32 vcc_lo, 0x7fff, v12
	v_cndmask_b32_e32 v12, 0xffff8000, v12, vcc_lo
	v_lshrrev_b32_sdwa v12, s42, v12 dst_sel:DWORD dst_unused:UNUSED_PAD src0_sel:DWORD src1_sel:WORD_0
	v_and_b32_e32 v12, s43, v12
	v_lshl_or_b32 v12, v12, 4, v40
	ds_add_u32 v12, v62
	s_or_b32 exec_lo, exec_lo, s15
	s_mov_b32 s15, exec_lo
	v_cmpx_gt_u32_e64 s14, v30
	s_cbranch_execz .LBB2048_195
.LBB2048_202:                           ;   in Loop: Header=BB2048_180 Depth=2
	v_cmp_lt_i16_e32 vcc_lo, -1, v10
	v_cndmask_b32_e64 v12, -1, 0xffff8000, vcc_lo
	v_xor_b32_e32 v12, v12, v10
	v_cmp_ne_u16_e32 vcc_lo, 0x7fff, v12
	v_cndmask_b32_e32 v12, 0xffff8000, v12, vcc_lo
	v_lshrrev_b32_sdwa v12, s42, v12 dst_sel:DWORD dst_unused:UNUSED_PAD src0_sel:DWORD src1_sel:WORD_0
	v_and_b32_e32 v12, s43, v12
	v_lshl_or_b32 v12, v12, 4, v40
	ds_add_u32 v12, v62
	s_or_b32 exec_lo, exec_lo, s15
	s_mov_b32 s15, exec_lo
	v_cmpx_gt_u32_e64 s14, v31
	s_cbranch_execz .LBB2048_196
.LBB2048_203:                           ;   in Loop: Header=BB2048_180 Depth=2
	v_cmp_lt_i16_e32 vcc_lo, -1, v9
	v_cndmask_b32_e64 v12, -1, 0xffff8000, vcc_lo
	v_xor_b32_e32 v12, v12, v9
	v_cmp_ne_u16_e32 vcc_lo, 0x7fff, v12
	v_cndmask_b32_e32 v12, 0xffff8000, v12, vcc_lo
	v_lshrrev_b32_sdwa v12, s42, v12 dst_sel:DWORD dst_unused:UNUSED_PAD src0_sel:DWORD src1_sel:WORD_0
	v_and_b32_e32 v12, s43, v12
	v_lshl_or_b32 v12, v12, 4, v40
	ds_add_u32 v12, v62
	s_or_b32 exec_lo, exec_lo, s15
	s_mov_b32 s15, exec_lo
	v_cmpx_gt_u32_e64 s14, v32
	s_cbranch_execz .LBB2048_197
.LBB2048_204:                           ;   in Loop: Header=BB2048_180 Depth=2
	v_cmp_lt_i16_e32 vcc_lo, -1, v8
	v_cndmask_b32_e64 v12, -1, 0xffff8000, vcc_lo
	v_xor_b32_e32 v12, v12, v8
	v_cmp_ne_u16_e32 vcc_lo, 0x7fff, v12
	v_cndmask_b32_e32 v12, 0xffff8000, v12, vcc_lo
	v_lshrrev_b32_sdwa v12, s42, v12 dst_sel:DWORD dst_unused:UNUSED_PAD src0_sel:DWORD src1_sel:WORD_0
	v_and_b32_e32 v12, s43, v12
	v_lshl_or_b32 v12, v12, 4, v40
	ds_add_u32 v12, v62
	s_or_b32 exec_lo, exec_lo, s15
	s_mov_b32 s15, exec_lo
	v_cmpx_gt_u32_e64 s14, v35
	s_cbranch_execz .LBB2048_198
.LBB2048_205:                           ;   in Loop: Header=BB2048_180 Depth=2
	v_cmp_lt_i16_e32 vcc_lo, -1, v7
	v_cndmask_b32_e64 v12, -1, 0xffff8000, vcc_lo
	v_xor_b32_e32 v12, v12, v7
	v_cmp_ne_u16_e32 vcc_lo, 0x7fff, v12
	v_cndmask_b32_e32 v12, 0xffff8000, v12, vcc_lo
	v_lshrrev_b32_sdwa v12, s42, v12 dst_sel:DWORD dst_unused:UNUSED_PAD src0_sel:DWORD src1_sel:WORD_0
	v_and_b32_e32 v12, s43, v12
	v_lshl_or_b32 v12, v12, 4, v40
	ds_add_u32 v12, v62
	s_or_b32 exec_lo, exec_lo, s15
	s_mov_b32 s15, exec_lo
	v_cmpx_gt_u32_e64 s14, v36
	s_cbranch_execz .LBB2048_199
.LBB2048_206:                           ;   in Loop: Header=BB2048_180 Depth=2
	v_cmp_lt_i16_e32 vcc_lo, -1, v6
	v_cndmask_b32_e64 v12, -1, 0xffff8000, vcc_lo
	v_xor_b32_e32 v12, v12, v6
	v_cmp_ne_u16_e32 vcc_lo, 0x7fff, v12
	v_cndmask_b32_e32 v12, 0xffff8000, v12, vcc_lo
	v_lshrrev_b32_sdwa v12, s42, v12 dst_sel:DWORD dst_unused:UNUSED_PAD src0_sel:DWORD src1_sel:WORD_0
	v_and_b32_e32 v12, s43, v12
	v_lshl_or_b32 v12, v12, 4, v40
	ds_add_u32 v12, v62
	s_or_b32 exec_lo, exec_lo, s15
	s_mov_b32 s15, exec_lo
	v_cmpx_gt_u32_e64 s14, v37
	s_cbranch_execz .LBB2048_200
.LBB2048_207:                           ;   in Loop: Header=BB2048_180 Depth=2
	v_cmp_lt_i16_e32 vcc_lo, -1, v5
	v_cndmask_b32_e64 v12, -1, 0xffff8000, vcc_lo
	v_xor_b32_e32 v12, v12, v5
	v_cmp_ne_u16_e32 vcc_lo, 0x7fff, v12
	v_cndmask_b32_e32 v12, 0xffff8000, v12, vcc_lo
	v_lshrrev_b32_sdwa v12, s42, v12 dst_sel:DWORD dst_unused:UNUSED_PAD src0_sel:DWORD src1_sel:WORD_0
	v_and_b32_e32 v12, s43, v12
	v_lshl_or_b32 v12, v12, 4, v40
	ds_add_u32 v12, v62
	s_or_b32 exec_lo, exec_lo, s15
	v_cmp_gt_u32_e32 vcc_lo, s14, v38
	s_and_saveexec_b32 s14, vcc_lo
	s_cbranch_execz .LBB2048_179
.LBB2048_208:                           ;   in Loop: Header=BB2048_180 Depth=2
	v_cmp_lt_i16_e32 vcc_lo, -1, v3
	v_cndmask_b32_e64 v12, -1, 0xffff8000, vcc_lo
	v_xor_b32_e32 v12, v12, v3
	v_cmp_ne_u16_e32 vcc_lo, 0x7fff, v12
	v_cndmask_b32_e32 v12, 0xffff8000, v12, vcc_lo
	v_lshrrev_b32_sdwa v12, s42, v12 dst_sel:DWORD dst_unused:UNUSED_PAD src0_sel:DWORD src1_sel:WORD_0
	v_and_b32_e32 v12, s43, v12
	v_lshl_or_b32 v12, v12, 4, v40
	ds_add_u32 v12, v62
	s_branch .LBB2048_179
.LBB2048_209:                           ;   in Loop: Header=BB2048_180 Depth=2
	global_load_ushort v11, v79, s[14:15]
	s_or_b32 exec_lo, exec_lo, s16
	s_mov_b32 s16, exec_lo
	v_cmpx_gt_u32_e64 s5, v30
	s_cbranch_execz .LBB2048_185
.LBB2048_210:                           ;   in Loop: Header=BB2048_180 Depth=2
	global_load_ushort v10, v79, s[14:15] offset:512
	s_or_b32 exec_lo, exec_lo, s16
	s_mov_b32 s16, exec_lo
	v_cmpx_gt_u32_e64 s5, v31
	s_cbranch_execz .LBB2048_186
.LBB2048_211:                           ;   in Loop: Header=BB2048_180 Depth=2
	global_load_ushort v9, v79, s[14:15] offset:1024
	s_or_b32 exec_lo, exec_lo, s16
	s_mov_b32 s16, exec_lo
	v_cmpx_gt_u32_e64 s5, v32
	s_cbranch_execz .LBB2048_187
.LBB2048_212:                           ;   in Loop: Header=BB2048_180 Depth=2
	global_load_ushort v8, v79, s[14:15] offset:1536
	s_or_b32 exec_lo, exec_lo, s16
	s_mov_b32 s16, exec_lo
	v_cmpx_gt_u32_e64 s5, v35
	s_cbranch_execz .LBB2048_188
.LBB2048_213:                           ;   in Loop: Header=BB2048_180 Depth=2
	global_load_ushort v7, v80, s[14:15]
	s_or_b32 exec_lo, exec_lo, s16
	s_mov_b32 s16, exec_lo
	v_cmpx_gt_u32_e64 s5, v36
	s_cbranch_execz .LBB2048_189
.LBB2048_214:                           ;   in Loop: Header=BB2048_180 Depth=2
	global_load_ushort v6, v81, s[14:15]
	s_or_b32 exec_lo, exec_lo, s16
	s_mov_b32 s16, exec_lo
	v_cmpx_gt_u32_e64 s5, v37
	s_cbranch_execz .LBB2048_190
.LBB2048_215:                           ;   in Loop: Header=BB2048_180 Depth=2
	global_load_ushort v5, v82, s[14:15]
	s_or_b32 exec_lo, exec_lo, s16
	s_mov_b32 s16, exec_lo
	v_cmpx_gt_u32_e64 s5, v38
	s_cbranch_execnz .LBB2048_191
	s_branch .LBB2048_192
.LBB2048_216:                           ;   in Loop: Header=BB2048_12 Depth=1
	v_mov_b32_e32 v3, 0
	s_waitcnt lgkmcnt(0)
	s_barrier
	buffer_gl0_inv
	s_and_saveexec_b32 s5, s7
	s_cbranch_execz .LBB2048_218
; %bb.217:                              ;   in Loop: Header=BB2048_12 Depth=1
	ds_read2_b64 v[5:8], v41 offset1:1
	s_waitcnt lgkmcnt(0)
	v_add_nc_u32_e32 v3, v6, v5
	v_add3_u32 v3, v3, v7, v8
.LBB2048_218:                           ;   in Loop: Header=BB2048_12 Depth=1
	s_or_b32 exec_lo, exec_lo, s5
	v_mov_b32_dpp v5, v3 row_shr:1 row_mask:0xf bank_mask:0xf
	v_cmp_eq_u32_e64 s5, 0, v63
	v_cmp_lt_u32_e64 s13, 1, v63
	v_cmp_lt_u32_e64 s14, 3, v63
	;; [unrolled: 1-line block ×3, first 2 shown]
	v_cmp_eq_u32_e64 s16, 0, v65
	v_cndmask_b32_e64 v5, v5, 0, s5
	v_add_nc_u32_e32 v3, v5, v3
	v_mov_b32_dpp v5, v3 row_shr:2 row_mask:0xf bank_mask:0xf
	v_cndmask_b32_e64 v5, 0, v5, s13
	v_add_nc_u32_e32 v3, v3, v5
	v_mov_b32_dpp v5, v3 row_shr:4 row_mask:0xf bank_mask:0xf
	;; [unrolled: 3-line block ×3, first 2 shown]
	v_cndmask_b32_e64 v5, 0, v5, s15
	v_add_nc_u32_e32 v3, v3, v5
	ds_swizzle_b32 v5, v3 offset:swizzle(BROADCAST,32,15)
	s_waitcnt lgkmcnt(0)
	v_and_b32_e32 v5, v64, v5
	v_add_nc_u32_e32 v3, v3, v5
	s_and_saveexec_b32 s17, s8
; %bb.219:                              ;   in Loop: Header=BB2048_12 Depth=1
	ds_write_b32 v42, v3
; %bb.220:                              ;   in Loop: Header=BB2048_12 Depth=1
	s_or_b32 exec_lo, exec_lo, s17
	s_waitcnt lgkmcnt(0)
	s_barrier
	buffer_gl0_inv
	s_and_saveexec_b32 s17, s9
	s_cbranch_execz .LBB2048_222
; %bb.221:                              ;   in Loop: Header=BB2048_12 Depth=1
	ds_read_b32 v5, v43
	v_cmp_ne_u32_e32 vcc_lo, 0, v67
	s_waitcnt lgkmcnt(0)
	v_mov_b32_dpp v6, v5 row_shr:1 row_mask:0xf bank_mask:0xf
	v_cndmask_b32_e32 v6, 0, v6, vcc_lo
	v_cmp_lt_u32_e32 vcc_lo, 1, v67
	v_add_nc_u32_e32 v5, v6, v5
	v_mov_b32_dpp v6, v5 row_shr:2 row_mask:0xf bank_mask:0xf
	v_cndmask_b32_e32 v6, 0, v6, vcc_lo
	v_cmp_lt_u32_e32 vcc_lo, 3, v67
	v_add_nc_u32_e32 v5, v5, v6
	v_mov_b32_dpp v6, v5 row_shr:4 row_mask:0xf bank_mask:0xf
	v_cndmask_b32_e32 v6, 0, v6, vcc_lo
	v_add_nc_u32_e32 v5, v5, v6
	ds_write_b32 v43, v5
.LBB2048_222:                           ;   in Loop: Header=BB2048_12 Depth=1
	s_or_b32 exec_lo, exec_lo, s17
	v_mov_b32_e32 v5, 0
	s_waitcnt lgkmcnt(0)
	s_barrier
	buffer_gl0_inv
	s_and_saveexec_b32 s17, s10
; %bb.223:                              ;   in Loop: Header=BB2048_12 Depth=1
	ds_read_b32 v5, v45
; %bb.224:                              ;   in Loop: Header=BB2048_12 Depth=1
	s_or_b32 exec_lo, exec_lo, s17
	v_cmp_gt_i32_e32 vcc_lo, 0, v68
	s_waitcnt lgkmcnt(0)
	v_add_nc_u32_e32 v3, v5, v3
	s_barrier
	buffer_gl0_inv
	v_cndmask_b32_e32 v6, v68, v59, vcc_lo
	v_lshlrev_b32_e32 v91, 2, v6
	ds_bpermute_b32 v3, v91, v3
	s_and_saveexec_b32 s17, s7
	s_cbranch_execz .LBB2048_226
; %bb.225:                              ;   in Loop: Header=BB2048_12 Depth=1
	s_waitcnt lgkmcnt(0)
	v_cndmask_b32_e64 v3, v3, v5, s12
	v_add_nc_u32_e32 v3, s29, v3
	ds_write_b32 v29, v3
.LBB2048_226:                           ;   in Loop: Header=BB2048_12 Depth=1
	s_or_b32 exec_lo, exec_lo, s17
	s_load_dwordx2 s[18:19], s[30:31], 0x0
	v_add_co_u32 v92, vcc_lo, v51, v69
	v_add_co_ci_u32_e64 v93, null, 0, v52, vcc_lo
	v_add_co_u32 v94, vcc_lo, v53, v77
	v_add_co_ci_u32_e64 v95, null, 0, v54, vcc_lo
	s_mov_b32 s48, s52
	s_mov_b32 s34, s29
                                        ; implicit-def: $vgpr7_vgpr8
                                        ; implicit-def: $vgpr9_vgpr10
                                        ; implicit-def: $vgpr11_vgpr12
                                        ; implicit-def: $vgpr13_vgpr14
                                        ; implicit-def: $vgpr15_vgpr16
                                        ; implicit-def: $vgpr17_vgpr18
                                        ; implicit-def: $vgpr19_vgpr20
                                        ; implicit-def: $vgpr97
                                        ; implicit-def: $vgpr98
                                        ; implicit-def: $vgpr99
                                        ; implicit-def: $vgpr100
                                        ; implicit-def: $vgpr101
                                        ; implicit-def: $vgpr102
                                        ; implicit-def: $vgpr103
                                        ; implicit-def: $vgpr104
	s_waitcnt lgkmcnt(0)
	s_cmp_lt_u32 s27, s19
	s_cselect_b32 s17, 14, 20
	s_add_u32 s20, s30, s17
	s_addc_u32 s21, s31, 0
	s_cmp_lt_u32 s6, s18
	global_load_ushort v3, v4, s[20:21]
	s_cselect_b32 s17, 12, 18
	s_add_u32 s18, s30, s17
	s_addc_u32 s19, s31, 0
	v_cmp_eq_u32_e64 s17, 0, v67
	global_load_ushort v5, v4, s[18:19]
	v_cmp_lt_u32_e64 s18, 1, v67
	v_cmp_lt_u32_e64 s19, 3, v67
	s_waitcnt vmcnt(1)
	v_mad_u32_u24 v3, v2, v3, v1
	s_waitcnt vmcnt(0)
	v_mad_u64_u32 v[5:6], null, v3, v5, v[0:1]
	v_lshrrev_b32_e32 v3, 3, v5
                                        ; implicit-def: $vgpr5_vgpr6
	v_and_b32_e32 v96, 0x1ffffffc, v3
	s_branch .LBB2048_228
.LBB2048_227:                           ;   in Loop: Header=BB2048_228 Depth=2
	s_or_b32 exec_lo, exec_lo, s20
	s_addk_i32 s48, 0xf800
	s_cmp_lt_u32 s53, s33
	s_mov_b32 s34, s53
	s_cbranch_scc0 .LBB2048_340
.LBB2048_228:                           ;   Parent Loop BB2048_12 Depth=1
                                        ; =>  This Inner Loop Header: Depth=2
	s_add_i32 s53, s34, 0x800
	s_cmp_gt_u32 s53, s33
	s_cbranch_scc1 .LBB2048_230
; %bb.229:                              ;   in Loop: Header=BB2048_228 Depth=2
	s_lshl_b64 s[20:21], s[34:35], 1
	v_add_co_u32 v21, vcc_lo, v94, s20
	v_add_co_ci_u32_e64 v22, null, s21, v95, vcc_lo
	s_mov_b32 s20, -1
	s_clause 0x6
	global_load_ushort v3, v[21:22], off
	global_load_ushort v28, v[21:22], off offset:64
	global_load_ushort v27, v[21:22], off offset:128
	;; [unrolled: 1-line block ×6, first 2 shown]
	s_movk_i32 s21, 0x800
	s_cbranch_execz .LBB2048_231
	s_branch .LBB2048_246
.LBB2048_230:                           ;   in Loop: Header=BB2048_228 Depth=2
	s_mov_b32 s20, 0
                                        ; implicit-def: $vgpr3
                                        ; implicit-def: $vgpr28
                                        ; implicit-def: $vgpr27
                                        ; implicit-def: $vgpr26
                                        ; implicit-def: $vgpr25
                                        ; implicit-def: $vgpr24
                                        ; implicit-def: $vgpr23
	s_movk_i32 s21, 0x800
.LBB2048_231:                           ;   in Loop: Header=BB2048_228 Depth=2
	s_lshl_b64 s[20:21], s[34:35], 1
	s_waitcnt vmcnt(5)
	v_mov_b32_e32 v28, 0x7fff
	v_add_co_u32 v21, vcc_lo, v94, s20
	v_add_co_ci_u32_e64 v22, null, s21, v95, vcc_lo
	v_mov_b32_e32 v3, 0x7fff
	s_mov_b32 s20, exec_lo
	v_cmpx_gt_u32_e64 s48, v66
	s_cbranch_execz .LBB2048_233
; %bb.232:                              ;   in Loop: Header=BB2048_228 Depth=2
	global_load_ushort v3, v[21:22], off
.LBB2048_233:                           ;   in Loop: Header=BB2048_228 Depth=2
	s_or_b32 exec_lo, exec_lo, s20
	s_mov_b32 s20, exec_lo
	v_cmpx_gt_u32_e64 s48, v70
	s_cbranch_execz .LBB2048_235
; %bb.234:                              ;   in Loop: Header=BB2048_228 Depth=2
	global_load_ushort v28, v[21:22], off offset:64
.LBB2048_235:                           ;   in Loop: Header=BB2048_228 Depth=2
	s_or_b32 exec_lo, exec_lo, s20
	s_waitcnt vmcnt(3)
	v_mov_b32_e32 v26, 0x7fff
	v_mov_b32_e32 v27, 0x7fff
	s_mov_b32 s20, exec_lo
	v_cmpx_gt_u32_e64 s48, v71
	s_cbranch_execz .LBB2048_237
; %bb.236:                              ;   in Loop: Header=BB2048_228 Depth=2
	global_load_ushort v27, v[21:22], off offset:128
.LBB2048_237:                           ;   in Loop: Header=BB2048_228 Depth=2
	s_or_b32 exec_lo, exec_lo, s20
	s_mov_b32 s20, exec_lo
	v_cmpx_gt_u32_e64 s48, v72
	s_cbranch_execz .LBB2048_239
; %bb.238:                              ;   in Loop: Header=BB2048_228 Depth=2
	global_load_ushort v26, v[21:22], off offset:192
.LBB2048_239:                           ;   in Loop: Header=BB2048_228 Depth=2
	s_or_b32 exec_lo, exec_lo, s20
	s_waitcnt vmcnt(1)
	v_mov_b32_e32 v24, 0x7fff
	v_mov_b32_e32 v25, 0x7fff
	s_mov_b32 s20, exec_lo
	v_cmpx_gt_u32_e64 s48, v73
	s_cbranch_execz .LBB2048_241
; %bb.240:                              ;   in Loop: Header=BB2048_228 Depth=2
	global_load_ushort v25, v[21:22], off offset:256
.LBB2048_241:                           ;   in Loop: Header=BB2048_228 Depth=2
	s_or_b32 exec_lo, exec_lo, s20
	s_mov_b32 s20, exec_lo
	v_cmpx_gt_u32_e64 s48, v74
	s_cbranch_execz .LBB2048_243
; %bb.242:                              ;   in Loop: Header=BB2048_228 Depth=2
	global_load_ushort v24, v[21:22], off offset:320
.LBB2048_243:                           ;   in Loop: Header=BB2048_228 Depth=2
	s_or_b32 exec_lo, exec_lo, s20
	s_waitcnt vmcnt(0)
	v_mov_b32_e32 v23, 0x7fff
	s_mov_b32 s20, exec_lo
	v_cmpx_gt_u32_e64 s48, v75
	s_cbranch_execz .LBB2048_245
; %bb.244:                              ;   in Loop: Header=BB2048_228 Depth=2
	global_load_ushort v23, v[21:22], off offset:384
.LBB2048_245:                           ;   in Loop: Header=BB2048_228 Depth=2
	s_or_b32 exec_lo, exec_lo, s20
	v_cmp_gt_u32_e64 s20, s48, v76
	s_sub_i32 s21, s33, s34
.LBB2048_246:                           ;   in Loop: Header=BB2048_228 Depth=2
	v_mov_b32_e32 v21, 0x7fff
	v_mov_b32_e32 v105, s48
	s_and_saveexec_b32 s22, s20
	s_cbranch_execz .LBB2048_248
; %bb.247:                              ;   in Loop: Header=BB2048_228 Depth=2
	s_lshl_b64 s[24:25], s[34:35], 1
	v_mov_b32_e32 v105, s21
	v_add_co_u32 v21, vcc_lo, v94, s24
	v_add_co_ci_u32_e64 v22, null, s25, v95, vcc_lo
	global_load_ushort v21, v[21:22], off offset:448
.LBB2048_248:                           ;   in Loop: Header=BB2048_228 Depth=2
	s_or_b32 exec_lo, exec_lo, s22
	s_waitcnt vmcnt(6)
	v_cmp_lt_i16_e32 vcc_lo, -1, v3
	ds_write2_b32 v78, v4, v4 offset1:1
	ds_write2_b32 v88, v4, v4 offset1:1
	;; [unrolled: 1-line block ×4, first 2 shown]
	ds_write_b32 v44, v4 offset:1088
	s_waitcnt vmcnt(0) lgkmcnt(0)
	s_barrier
	v_cndmask_b32_e64 v22, -1, 0xffff8000, vcc_lo
	buffer_gl0_inv
	; wave barrier
	v_xor_b32_e32 v3, v22, v3
	v_cmp_ne_u16_e32 vcc_lo, 0x7fff, v3
	v_cndmask_b32_e32 v22, 0xffff8000, v3, vcc_lo
	v_lshrrev_b32_sdwa v22, s42, v22 dst_sel:DWORD dst_unused:UNUSED_PAD src0_sel:DWORD src1_sel:WORD_0
	v_and_b32_e32 v107, s43, v22
	v_and_b32_e32 v22, 1, v107
	v_lshlrev_b32_e32 v106, 30, v107
	v_lshlrev_b32_e32 v108, 29, v107
	;; [unrolled: 1-line block ×4, first 2 shown]
	v_add_co_u32 v22, s20, v22, -1
	v_cndmask_b32_e64 v110, 0, 1, s20
	v_not_b32_e32 v114, v106
	v_cmp_gt_i32_e64 s20, 0, v106
	v_not_b32_e32 v106, v108
	v_lshlrev_b32_e32 v112, 26, v107
	v_cmp_ne_u32_e32 vcc_lo, 0, v110
	v_ashrrev_i32_e32 v114, 31, v114
	v_lshlrev_b32_e32 v113, 25, v107
	v_ashrrev_i32_e32 v106, 31, v106
	v_lshlrev_b32_e32 v110, 24, v107
	v_xor_b32_e32 v22, vcc_lo, v22
	v_cmp_gt_i32_e32 vcc_lo, 0, v108
	v_not_b32_e32 v108, v109
	v_xor_b32_e32 v114, s20, v114
	v_cmp_gt_i32_e64 s20, 0, v109
	v_and_b32_e32 v22, exec_lo, v22
	v_not_b32_e32 v109, v111
	v_ashrrev_i32_e32 v108, 31, v108
	v_xor_b32_e32 v106, vcc_lo, v106
	v_cmp_gt_i32_e32 vcc_lo, 0, v111
	v_and_b32_e32 v22, v22, v114
	v_not_b32_e32 v111, v112
	v_ashrrev_i32_e32 v109, 31, v109
	v_xor_b32_e32 v108, s20, v108
	v_cmp_gt_i32_e64 s20, 0, v112
	v_and_b32_e32 v22, v22, v106
	v_not_b32_e32 v106, v113
	v_ashrrev_i32_e32 v111, 31, v111
	v_xor_b32_e32 v109, vcc_lo, v109
	v_cmp_gt_i32_e32 vcc_lo, 0, v113
	v_and_b32_e32 v22, v22, v108
	v_not_b32_e32 v108, v110
	v_ashrrev_i32_e32 v106, 31, v106
	v_xor_b32_e32 v111, s20, v111
	v_cmp_gt_i32_e64 s20, 0, v110
	v_and_b32_e32 v22, v22, v109
	v_ashrrev_i32_e32 v108, 31, v108
	v_xor_b32_e32 v106, vcc_lo, v106
	v_mul_u32_u24_e32 v107, 36, v107
	v_and_b32_e32 v22, v22, v111
	v_xor_b32_e32 v108, s20, v108
	v_and_b32_e32 v22, v22, v106
	v_and_b32_e32 v22, v22, v108
	v_add_nc_u32_e32 v108, v96, v107
	v_mbcnt_lo_u32_b32 v106, v22, 0
	v_cmp_ne_u32_e64 s20, 0, v22
	v_cmp_eq_u32_e32 vcc_lo, 0, v106
	s_and_b32 s21, s20, vcc_lo
	s_and_saveexec_b32 s20, s21
; %bb.249:                              ;   in Loop: Header=BB2048_228 Depth=2
	v_bcnt_u32_b32 v22, v22, 0
	ds_write_b32 v108, v22 offset:1056
; %bb.250:                              ;   in Loop: Header=BB2048_228 Depth=2
	s_or_b32 exec_lo, exec_lo, s20
	v_cmp_lt_i16_e32 vcc_lo, -1, v28
	; wave barrier
	v_cndmask_b32_e64 v22, -1, 0xffff8000, vcc_lo
	v_xor_b32_e32 v107, v22, v28
	v_cmp_ne_u16_e32 vcc_lo, 0x7fff, v107
	v_cndmask_b32_e32 v22, 0xffff8000, v107, vcc_lo
	v_lshrrev_b32_sdwa v22, s42, v22 dst_sel:DWORD dst_unused:UNUSED_PAD src0_sel:DWORD src1_sel:WORD_0
	v_and_b32_e32 v28, s43, v22
	v_and_b32_e32 v22, 1, v28
	v_lshlrev_b32_e32 v109, 30, v28
	v_lshlrev_b32_e32 v110, 29, v28
	;; [unrolled: 1-line block ×4, first 2 shown]
	v_add_co_u32 v22, s20, v22, -1
	v_cndmask_b32_e64 v112, 0, 1, s20
	v_not_b32_e32 v116, v109
	v_cmp_gt_i32_e64 s20, 0, v109
	v_not_b32_e32 v109, v110
	v_lshlrev_b32_e32 v114, 26, v28
	v_cmp_ne_u32_e32 vcc_lo, 0, v112
	v_ashrrev_i32_e32 v116, 31, v116
	v_lshlrev_b32_e32 v115, 25, v28
	v_ashrrev_i32_e32 v109, 31, v109
	v_lshlrev_b32_e32 v112, 24, v28
	v_xor_b32_e32 v22, vcc_lo, v22
	v_cmp_gt_i32_e32 vcc_lo, 0, v110
	v_not_b32_e32 v110, v111
	v_xor_b32_e32 v116, s20, v116
	v_cmp_gt_i32_e64 s20, 0, v111
	v_and_b32_e32 v22, exec_lo, v22
	v_not_b32_e32 v111, v113
	v_ashrrev_i32_e32 v110, 31, v110
	v_xor_b32_e32 v109, vcc_lo, v109
	v_cmp_gt_i32_e32 vcc_lo, 0, v113
	v_and_b32_e32 v22, v22, v116
	v_not_b32_e32 v113, v114
	v_ashrrev_i32_e32 v111, 31, v111
	v_xor_b32_e32 v110, s20, v110
	v_cmp_gt_i32_e64 s20, 0, v114
	v_and_b32_e32 v22, v22, v109
	v_not_b32_e32 v109, v115
	v_ashrrev_i32_e32 v113, 31, v113
	v_xor_b32_e32 v111, vcc_lo, v111
	v_cmp_gt_i32_e32 vcc_lo, 0, v115
	v_and_b32_e32 v22, v22, v110
	v_not_b32_e32 v110, v112
	v_ashrrev_i32_e32 v109, 31, v109
	v_xor_b32_e32 v113, s20, v113
	v_cmp_gt_i32_e64 s20, 0, v112
	v_and_b32_e32 v22, v22, v111
	v_ashrrev_i32_e32 v110, 31, v110
	v_xor_b32_e32 v109, vcc_lo, v109
	v_mad_u32_u24 v111, v28, 36, v96
	v_mul_u32_u24_e32 v28, 36, v28
	v_and_b32_e32 v22, v22, v113
	v_xor_b32_e32 v110, s20, v110
	v_add_nc_u32_e32 v112, v96, v28
	v_and_b32_e32 v22, v22, v109
	ds_read_b32 v109, v111 offset:1056
	; wave barrier
	v_and_b32_e32 v22, v22, v110
	v_mbcnt_lo_u32_b32 v110, v22, 0
	v_cmp_ne_u32_e64 s20, 0, v22
	v_cmp_eq_u32_e32 vcc_lo, 0, v110
	s_and_b32 s21, s20, vcc_lo
	s_and_saveexec_b32 s20, s21
	s_cbranch_execz .LBB2048_252
; %bb.251:                              ;   in Loop: Header=BB2048_228 Depth=2
	s_waitcnt lgkmcnt(0)
	v_bcnt_u32_b32 v22, v22, v109
	ds_write_b32 v112, v22 offset:1056
.LBB2048_252:                           ;   in Loop: Header=BB2048_228 Depth=2
	s_or_b32 exec_lo, exec_lo, s20
	v_cmp_lt_i16_e32 vcc_lo, -1, v27
	; wave barrier
	v_cndmask_b32_e64 v22, -1, 0xffff8000, vcc_lo
	v_xor_b32_e32 v111, v22, v27
	v_cmp_ne_u16_e32 vcc_lo, 0x7fff, v111
	v_cndmask_b32_e32 v22, 0xffff8000, v111, vcc_lo
	v_lshrrev_b32_sdwa v22, s42, v22 dst_sel:DWORD dst_unused:UNUSED_PAD src0_sel:DWORD src1_sel:WORD_0
	v_and_b32_e32 v27, s43, v22
	v_and_b32_e32 v22, 1, v27
	v_lshlrev_b32_e32 v28, 30, v27
	v_lshlrev_b32_e32 v113, 29, v27
	;; [unrolled: 1-line block ×4, first 2 shown]
	v_add_co_u32 v22, s20, v22, -1
	v_cndmask_b32_e64 v115, 0, 1, s20
	v_not_b32_e32 v119, v28
	v_cmp_gt_i32_e64 s20, 0, v28
	v_not_b32_e32 v28, v113
	v_lshlrev_b32_e32 v117, 26, v27
	v_cmp_ne_u32_e32 vcc_lo, 0, v115
	v_ashrrev_i32_e32 v119, 31, v119
	v_lshlrev_b32_e32 v118, 25, v27
	v_ashrrev_i32_e32 v28, 31, v28
	v_lshlrev_b32_e32 v115, 24, v27
	v_xor_b32_e32 v22, vcc_lo, v22
	v_cmp_gt_i32_e32 vcc_lo, 0, v113
	v_not_b32_e32 v113, v114
	v_xor_b32_e32 v119, s20, v119
	v_cmp_gt_i32_e64 s20, 0, v114
	v_and_b32_e32 v22, exec_lo, v22
	v_not_b32_e32 v114, v116
	v_ashrrev_i32_e32 v113, 31, v113
	v_xor_b32_e32 v28, vcc_lo, v28
	v_cmp_gt_i32_e32 vcc_lo, 0, v116
	v_and_b32_e32 v22, v22, v119
	v_not_b32_e32 v116, v117
	v_ashrrev_i32_e32 v114, 31, v114
	v_xor_b32_e32 v113, s20, v113
	v_cmp_gt_i32_e64 s20, 0, v117
	v_and_b32_e32 v22, v22, v28
	v_not_b32_e32 v28, v118
	v_ashrrev_i32_e32 v116, 31, v116
	v_xor_b32_e32 v114, vcc_lo, v114
	v_cmp_gt_i32_e32 vcc_lo, 0, v118
	v_and_b32_e32 v22, v22, v113
	v_not_b32_e32 v113, v115
	v_ashrrev_i32_e32 v28, 31, v28
	v_xor_b32_e32 v116, s20, v116
	v_cmp_gt_i32_e64 s20, 0, v115
	v_and_b32_e32 v22, v22, v114
	v_ashrrev_i32_e32 v113, 31, v113
	v_xor_b32_e32 v28, vcc_lo, v28
	v_mad_u32_u24 v114, v27, 36, v96
	v_mul_u32_u24_e32 v27, 36, v27
	v_and_b32_e32 v22, v22, v116
	v_xor_b32_e32 v115, s20, v113
	ds_read_b32 v113, v114 offset:1056
	v_add_nc_u32_e32 v116, v96, v27
	v_and_b32_e32 v22, v22, v28
	; wave barrier
	v_and_b32_e32 v22, v22, v115
	v_mbcnt_lo_u32_b32 v115, v22, 0
	v_cmp_ne_u32_e64 s20, 0, v22
	v_cmp_eq_u32_e32 vcc_lo, 0, v115
	s_and_b32 s21, s20, vcc_lo
	s_and_saveexec_b32 s20, s21
	s_cbranch_execz .LBB2048_254
; %bb.253:                              ;   in Loop: Header=BB2048_228 Depth=2
	s_waitcnt lgkmcnt(0)
	v_bcnt_u32_b32 v22, v22, v113
	ds_write_b32 v116, v22 offset:1056
.LBB2048_254:                           ;   in Loop: Header=BB2048_228 Depth=2
	s_or_b32 exec_lo, exec_lo, s20
	v_cmp_lt_i16_e32 vcc_lo, -1, v26
	; wave barrier
	v_cndmask_b32_e64 v22, -1, 0xffff8000, vcc_lo
	v_xor_b32_e32 v114, v22, v26
	v_cmp_ne_u16_e32 vcc_lo, 0x7fff, v114
	v_cndmask_b32_e32 v22, 0xffff8000, v114, vcc_lo
	v_lshrrev_b32_sdwa v22, s42, v22 dst_sel:DWORD dst_unused:UNUSED_PAD src0_sel:DWORD src1_sel:WORD_0
	v_and_b32_e32 v26, s43, v22
	v_and_b32_e32 v22, 1, v26
	v_lshlrev_b32_e32 v27, 30, v26
	v_lshlrev_b32_e32 v28, 29, v26
	;; [unrolled: 1-line block ×4, first 2 shown]
	v_add_co_u32 v22, s20, v22, -1
	v_cndmask_b32_e64 v118, 0, 1, s20
	v_not_b32_e32 v122, v27
	v_cmp_gt_i32_e64 s20, 0, v27
	v_not_b32_e32 v27, v28
	v_lshlrev_b32_e32 v120, 26, v26
	v_cmp_ne_u32_e32 vcc_lo, 0, v118
	v_ashrrev_i32_e32 v122, 31, v122
	v_lshlrev_b32_e32 v121, 25, v26
	v_ashrrev_i32_e32 v27, 31, v27
	v_lshlrev_b32_e32 v118, 24, v26
	v_xor_b32_e32 v22, vcc_lo, v22
	v_cmp_gt_i32_e32 vcc_lo, 0, v28
	v_not_b32_e32 v28, v117
	v_xor_b32_e32 v122, s20, v122
	v_cmp_gt_i32_e64 s20, 0, v117
	v_and_b32_e32 v22, exec_lo, v22
	v_not_b32_e32 v117, v119
	v_ashrrev_i32_e32 v28, 31, v28
	v_xor_b32_e32 v27, vcc_lo, v27
	v_cmp_gt_i32_e32 vcc_lo, 0, v119
	v_and_b32_e32 v22, v22, v122
	v_not_b32_e32 v119, v120
	v_ashrrev_i32_e32 v117, 31, v117
	v_xor_b32_e32 v28, s20, v28
	v_cmp_gt_i32_e64 s20, 0, v120
	v_and_b32_e32 v22, v22, v27
	v_not_b32_e32 v27, v121
	v_ashrrev_i32_e32 v119, 31, v119
	v_xor_b32_e32 v117, vcc_lo, v117
	v_cmp_gt_i32_e32 vcc_lo, 0, v121
	v_and_b32_e32 v22, v22, v28
	v_not_b32_e32 v28, v118
	v_ashrrev_i32_e32 v27, 31, v27
	v_xor_b32_e32 v119, s20, v119
	v_cmp_gt_i32_e64 s20, 0, v118
	v_and_b32_e32 v22, v22, v117
	v_ashrrev_i32_e32 v28, 31, v28
	v_xor_b32_e32 v27, vcc_lo, v27
	v_mad_u32_u24 v117, v26, 36, v96
	v_mul_u32_u24_e32 v26, 36, v26
	v_and_b32_e32 v22, v22, v119
	v_xor_b32_e32 v28, s20, v28
	ds_read_b32 v117, v117 offset:1056
	v_add_nc_u32_e32 v120, v96, v26
	v_and_b32_e32 v22, v22, v27
	; wave barrier
	v_and_b32_e32 v22, v22, v28
	v_mbcnt_lo_u32_b32 v119, v22, 0
	v_cmp_ne_u32_e64 s20, 0, v22
	v_cmp_eq_u32_e32 vcc_lo, 0, v119
	s_and_b32 s21, s20, vcc_lo
	s_and_saveexec_b32 s20, s21
	s_cbranch_execz .LBB2048_256
; %bb.255:                              ;   in Loop: Header=BB2048_228 Depth=2
	s_waitcnt lgkmcnt(0)
	v_bcnt_u32_b32 v22, v22, v117
	ds_write_b32 v120, v22 offset:1056
.LBB2048_256:                           ;   in Loop: Header=BB2048_228 Depth=2
	s_or_b32 exec_lo, exec_lo, s20
	v_cmp_lt_i16_e32 vcc_lo, -1, v25
	; wave barrier
	v_cndmask_b32_e64 v22, -1, 0xffff8000, vcc_lo
	v_xor_b32_e32 v118, v22, v25
	v_cmp_ne_u16_e32 vcc_lo, 0x7fff, v118
	v_cndmask_b32_e32 v22, 0xffff8000, v118, vcc_lo
	v_lshrrev_b32_sdwa v22, s42, v22 dst_sel:DWORD dst_unused:UNUSED_PAD src0_sel:DWORD src1_sel:WORD_0
	v_and_b32_e32 v25, s43, v22
	v_and_b32_e32 v22, 1, v25
	v_lshlrev_b32_e32 v26, 30, v25
	v_lshlrev_b32_e32 v27, 29, v25
	;; [unrolled: 1-line block ×4, first 2 shown]
	v_add_co_u32 v22, s20, v22, -1
	v_cndmask_b32_e64 v121, 0, 1, s20
	v_not_b32_e32 v125, v26
	v_cmp_gt_i32_e64 s20, 0, v26
	v_not_b32_e32 v26, v27
	v_lshlrev_b32_e32 v123, 26, v25
	v_cmp_ne_u32_e32 vcc_lo, 0, v121
	v_ashrrev_i32_e32 v125, 31, v125
	v_lshlrev_b32_e32 v124, 25, v25
	v_ashrrev_i32_e32 v26, 31, v26
	v_lshlrev_b32_e32 v121, 24, v25
	v_xor_b32_e32 v22, vcc_lo, v22
	v_cmp_gt_i32_e32 vcc_lo, 0, v27
	v_not_b32_e32 v27, v28
	v_xor_b32_e32 v125, s20, v125
	v_cmp_gt_i32_e64 s20, 0, v28
	v_and_b32_e32 v22, exec_lo, v22
	v_not_b32_e32 v28, v122
	v_ashrrev_i32_e32 v27, 31, v27
	v_xor_b32_e32 v26, vcc_lo, v26
	v_cmp_gt_i32_e32 vcc_lo, 0, v122
	v_and_b32_e32 v22, v22, v125
	v_not_b32_e32 v122, v123
	v_ashrrev_i32_e32 v28, 31, v28
	v_xor_b32_e32 v27, s20, v27
	v_cmp_gt_i32_e64 s20, 0, v123
	v_and_b32_e32 v22, v22, v26
	v_not_b32_e32 v26, v124
	v_ashrrev_i32_e32 v122, 31, v122
	v_xor_b32_e32 v28, vcc_lo, v28
	v_cmp_gt_i32_e32 vcc_lo, 0, v124
	v_and_b32_e32 v22, v22, v27
	v_not_b32_e32 v27, v121
	v_ashrrev_i32_e32 v26, 31, v26
	v_xor_b32_e32 v122, s20, v122
	v_cmp_gt_i32_e64 s20, 0, v121
	v_and_b32_e32 v22, v22, v28
	v_ashrrev_i32_e32 v27, 31, v27
	v_xor_b32_e32 v26, vcc_lo, v26
	v_mad_u32_u24 v28, v25, 36, v96
	v_mul_u32_u24_e32 v25, 36, v25
	v_and_b32_e32 v22, v22, v122
	v_xor_b32_e32 v27, s20, v27
	ds_read_b32 v121, v28 offset:1056
	v_add_nc_u32_e32 v124, v96, v25
	v_and_b32_e32 v22, v22, v26
	; wave barrier
	v_and_b32_e32 v22, v22, v27
	v_mbcnt_lo_u32_b32 v123, v22, 0
	v_cmp_ne_u32_e64 s20, 0, v22
	v_cmp_eq_u32_e32 vcc_lo, 0, v123
	s_and_b32 s21, s20, vcc_lo
	s_and_saveexec_b32 s20, s21
	s_cbranch_execz .LBB2048_258
; %bb.257:                              ;   in Loop: Header=BB2048_228 Depth=2
	s_waitcnt lgkmcnt(0)
	v_bcnt_u32_b32 v22, v22, v121
	ds_write_b32 v124, v22 offset:1056
.LBB2048_258:                           ;   in Loop: Header=BB2048_228 Depth=2
	s_or_b32 exec_lo, exec_lo, s20
	v_cmp_lt_i16_e32 vcc_lo, -1, v24
	; wave barrier
	v_cndmask_b32_e64 v22, -1, 0xffff8000, vcc_lo
	v_xor_b32_e32 v122, v22, v24
	v_cmp_ne_u16_e32 vcc_lo, 0x7fff, v122
	v_cndmask_b32_e32 v22, 0xffff8000, v122, vcc_lo
	v_lshrrev_b32_sdwa v22, s42, v22 dst_sel:DWORD dst_unused:UNUSED_PAD src0_sel:DWORD src1_sel:WORD_0
	v_and_b32_e32 v24, s43, v22
	v_and_b32_e32 v22, 1, v24
	v_lshlrev_b32_e32 v25, 30, v24
	v_lshlrev_b32_e32 v26, 29, v24
	;; [unrolled: 1-line block ×4, first 2 shown]
	v_add_co_u32 v22, s20, v22, -1
	v_cndmask_b32_e64 v28, 0, 1, s20
	v_not_b32_e32 v128, v25
	v_cmp_gt_i32_e64 s20, 0, v25
	v_not_b32_e32 v25, v26
	v_lshlrev_b32_e32 v126, 26, v24
	v_cmp_ne_u32_e32 vcc_lo, 0, v28
	v_ashrrev_i32_e32 v128, 31, v128
	v_lshlrev_b32_e32 v127, 25, v24
	v_ashrrev_i32_e32 v25, 31, v25
	v_lshlrev_b32_e32 v28, 24, v24
	v_xor_b32_e32 v22, vcc_lo, v22
	v_cmp_gt_i32_e32 vcc_lo, 0, v26
	v_not_b32_e32 v26, v27
	v_xor_b32_e32 v128, s20, v128
	v_cmp_gt_i32_e64 s20, 0, v27
	v_and_b32_e32 v22, exec_lo, v22
	v_not_b32_e32 v27, v125
	v_ashrrev_i32_e32 v26, 31, v26
	v_xor_b32_e32 v25, vcc_lo, v25
	v_cmp_gt_i32_e32 vcc_lo, 0, v125
	v_and_b32_e32 v22, v22, v128
	v_not_b32_e32 v125, v126
	v_ashrrev_i32_e32 v27, 31, v27
	v_xor_b32_e32 v26, s20, v26
	v_cmp_gt_i32_e64 s20, 0, v126
	v_and_b32_e32 v22, v22, v25
	v_not_b32_e32 v25, v127
	v_ashrrev_i32_e32 v125, 31, v125
	v_xor_b32_e32 v27, vcc_lo, v27
	v_cmp_gt_i32_e32 vcc_lo, 0, v127
	v_and_b32_e32 v22, v22, v26
	v_not_b32_e32 v26, v28
	v_ashrrev_i32_e32 v25, 31, v25
	v_xor_b32_e32 v125, s20, v125
	v_cmp_gt_i32_e64 s20, 0, v28
	v_and_b32_e32 v22, v22, v27
	v_ashrrev_i32_e32 v26, 31, v26
	v_xor_b32_e32 v25, vcc_lo, v25
	v_mad_u32_u24 v27, v24, 36, v96
	v_mul_u32_u24_e32 v24, 36, v24
	v_and_b32_e32 v22, v22, v125
	v_xor_b32_e32 v26, s20, v26
	ds_read_b32 v125, v27 offset:1056
	v_add_nc_u32_e32 v128, v96, v24
	v_and_b32_e32 v22, v22, v25
	; wave barrier
	v_and_b32_e32 v22, v22, v26
	v_mbcnt_lo_u32_b32 v127, v22, 0
	v_cmp_ne_u32_e64 s20, 0, v22
	v_cmp_eq_u32_e32 vcc_lo, 0, v127
	s_and_b32 s21, s20, vcc_lo
	s_and_saveexec_b32 s20, s21
	s_cbranch_execz .LBB2048_260
; %bb.259:                              ;   in Loop: Header=BB2048_228 Depth=2
	s_waitcnt lgkmcnt(0)
	v_bcnt_u32_b32 v22, v22, v125
	ds_write_b32 v128, v22 offset:1056
.LBB2048_260:                           ;   in Loop: Header=BB2048_228 Depth=2
	s_or_b32 exec_lo, exec_lo, s20
	v_cmp_lt_i16_e32 vcc_lo, -1, v23
	; wave barrier
	v_cndmask_b32_e64 v22, -1, 0xffff8000, vcc_lo
	v_xor_b32_e32 v126, v22, v23
	v_cmp_ne_u16_e32 vcc_lo, 0x7fff, v126
	v_cndmask_b32_e32 v22, 0xffff8000, v126, vcc_lo
	v_lshrrev_b32_sdwa v22, s42, v22 dst_sel:DWORD dst_unused:UNUSED_PAD src0_sel:DWORD src1_sel:WORD_0
	v_and_b32_e32 v23, s43, v22
	v_and_b32_e32 v22, 1, v23
	v_lshlrev_b32_e32 v24, 30, v23
	v_lshlrev_b32_e32 v25, 29, v23
	;; [unrolled: 1-line block ×4, first 2 shown]
	v_add_co_u32 v22, s20, v22, -1
	v_cndmask_b32_e64 v27, 0, 1, s20
	v_not_b32_e32 v131, v24
	v_cmp_gt_i32_e64 s20, 0, v24
	v_not_b32_e32 v24, v25
	v_lshlrev_b32_e32 v129, 26, v23
	v_cmp_ne_u32_e32 vcc_lo, 0, v27
	v_ashrrev_i32_e32 v131, 31, v131
	v_lshlrev_b32_e32 v130, 25, v23
	v_ashrrev_i32_e32 v24, 31, v24
	v_lshlrev_b32_e32 v27, 24, v23
	v_xor_b32_e32 v22, vcc_lo, v22
	v_cmp_gt_i32_e32 vcc_lo, 0, v25
	v_not_b32_e32 v25, v26
	v_xor_b32_e32 v131, s20, v131
	v_cmp_gt_i32_e64 s20, 0, v26
	v_and_b32_e32 v22, exec_lo, v22
	v_not_b32_e32 v26, v28
	v_ashrrev_i32_e32 v25, 31, v25
	v_xor_b32_e32 v24, vcc_lo, v24
	v_cmp_gt_i32_e32 vcc_lo, 0, v28
	v_and_b32_e32 v22, v22, v131
	v_not_b32_e32 v28, v129
	v_ashrrev_i32_e32 v26, 31, v26
	v_xor_b32_e32 v25, s20, v25
	v_cmp_gt_i32_e64 s20, 0, v129
	v_and_b32_e32 v22, v22, v24
	v_not_b32_e32 v24, v130
	v_ashrrev_i32_e32 v28, 31, v28
	v_xor_b32_e32 v26, vcc_lo, v26
	v_cmp_gt_i32_e32 vcc_lo, 0, v130
	v_and_b32_e32 v22, v22, v25
	v_not_b32_e32 v25, v27
	v_ashrrev_i32_e32 v24, 31, v24
	v_xor_b32_e32 v28, s20, v28
	v_cmp_gt_i32_e64 s20, 0, v27
	v_and_b32_e32 v22, v22, v26
	v_ashrrev_i32_e32 v25, 31, v25
	v_xor_b32_e32 v24, vcc_lo, v24
	v_mad_u32_u24 v26, v23, 36, v96
	v_mul_u32_u24_e32 v23, 36, v23
	v_and_b32_e32 v22, v22, v28
	v_xor_b32_e32 v25, s20, v25
	ds_read_b32 v129, v26 offset:1056
	v_add_nc_u32_e32 v132, v96, v23
	v_and_b32_e32 v22, v22, v24
	; wave barrier
	v_and_b32_e32 v22, v22, v25
	v_mbcnt_lo_u32_b32 v131, v22, 0
	v_cmp_ne_u32_e64 s20, 0, v22
	v_cmp_eq_u32_e32 vcc_lo, 0, v131
	s_and_b32 s21, s20, vcc_lo
	s_and_saveexec_b32 s20, s21
	s_cbranch_execz .LBB2048_262
; %bb.261:                              ;   in Loop: Header=BB2048_228 Depth=2
	s_waitcnt lgkmcnt(0)
	v_bcnt_u32_b32 v22, v22, v129
	ds_write_b32 v132, v22 offset:1056
.LBB2048_262:                           ;   in Loop: Header=BB2048_228 Depth=2
	s_or_b32 exec_lo, exec_lo, s20
	v_cmp_lt_i16_e32 vcc_lo, -1, v21
	; wave barrier
	v_cndmask_b32_e64 v22, -1, 0xffff8000, vcc_lo
	v_xor_b32_e32 v130, v22, v21
	v_cmp_ne_u16_e32 vcc_lo, 0x7fff, v130
	v_cndmask_b32_e32 v21, 0xffff8000, v130, vcc_lo
	v_lshrrev_b32_sdwa v21, s42, v21 dst_sel:DWORD dst_unused:UNUSED_PAD src0_sel:DWORD src1_sel:WORD_0
	v_and_b32_e32 v22, s43, v21
	v_and_b32_e32 v21, 1, v22
	v_lshlrev_b32_e32 v23, 30, v22
	v_lshlrev_b32_e32 v24, 29, v22
	v_lshlrev_b32_e32 v25, 28, v22
	v_lshlrev_b32_e32 v27, 27, v22
	v_add_co_u32 v21, s20, v21, -1
	v_cndmask_b32_e64 v26, 0, 1, s20
	v_not_b32_e32 v134, v23
	v_cmp_gt_i32_e64 s20, 0, v23
	v_not_b32_e32 v23, v24
	v_lshlrev_b32_e32 v28, 26, v22
	v_cmp_ne_u32_e32 vcc_lo, 0, v26
	v_ashrrev_i32_e32 v134, 31, v134
	v_lshlrev_b32_e32 v133, 25, v22
	v_ashrrev_i32_e32 v23, 31, v23
	v_lshlrev_b32_e32 v26, 24, v22
	v_xor_b32_e32 v21, vcc_lo, v21
	v_cmp_gt_i32_e32 vcc_lo, 0, v24
	v_not_b32_e32 v24, v25
	v_xor_b32_e32 v134, s20, v134
	v_cmp_gt_i32_e64 s20, 0, v25
	v_and_b32_e32 v21, exec_lo, v21
	v_not_b32_e32 v25, v27
	v_ashrrev_i32_e32 v24, 31, v24
	v_xor_b32_e32 v23, vcc_lo, v23
	v_cmp_gt_i32_e32 vcc_lo, 0, v27
	v_and_b32_e32 v21, v21, v134
	v_not_b32_e32 v27, v28
	v_ashrrev_i32_e32 v25, 31, v25
	v_xor_b32_e32 v24, s20, v24
	v_cmp_gt_i32_e64 s20, 0, v28
	v_and_b32_e32 v21, v21, v23
	v_not_b32_e32 v23, v133
	v_ashrrev_i32_e32 v27, 31, v27
	v_xor_b32_e32 v25, vcc_lo, v25
	v_cmp_gt_i32_e32 vcc_lo, 0, v133
	v_and_b32_e32 v21, v21, v24
	v_not_b32_e32 v24, v26
	v_ashrrev_i32_e32 v23, 31, v23
	v_xor_b32_e32 v27, s20, v27
	v_cmp_gt_i32_e64 s20, 0, v26
	v_and_b32_e32 v21, v21, v25
	v_ashrrev_i32_e32 v24, 31, v24
	v_xor_b32_e32 v23, vcc_lo, v23
	v_mad_u32_u24 v25, v22, 36, v96
	v_mul_u32_u24_e32 v22, 36, v22
	v_and_b32_e32 v21, v21, v27
	v_xor_b32_e32 v24, s20, v24
	ds_read_b32 v133, v25 offset:1056
	v_add_nc_u32_e32 v135, v96, v22
	v_and_b32_e32 v21, v21, v23
	; wave barrier
	v_and_b32_e32 v21, v21, v24
	v_mbcnt_lo_u32_b32 v134, v21, 0
	v_cmp_ne_u32_e64 s20, 0, v21
	v_cmp_eq_u32_e32 vcc_lo, 0, v134
	s_and_b32 s21, s20, vcc_lo
	s_and_saveexec_b32 s20, s21
	s_cbranch_execz .LBB2048_264
; %bb.263:                              ;   in Loop: Header=BB2048_228 Depth=2
	s_waitcnt lgkmcnt(0)
	v_bcnt_u32_b32 v21, v21, v133
	ds_write_b32 v135, v21 offset:1056
.LBB2048_264:                           ;   in Loop: Header=BB2048_228 Depth=2
	s_or_b32 exec_lo, exec_lo, s20
	; wave barrier
	s_waitcnt lgkmcnt(0)
	s_barrier
	buffer_gl0_inv
	ds_read2_b32 v[27:28], v78 offset1:1
	ds_read2_b32 v[25:26], v88 offset1:1
	;; [unrolled: 1-line block ×4, first 2 shown]
	ds_read_b32 v136, v44 offset:1088
	s_waitcnt lgkmcnt(3)
	v_add3_u32 v137, v28, v27, v25
	s_waitcnt lgkmcnt(2)
	v_add3_u32 v137, v137, v26, v23
	;; [unrolled: 2-line block ×4, first 2 shown]
	v_mov_b32_dpp v137, v136 row_shr:1 row_mask:0xf bank_mask:0xf
	v_cndmask_b32_e64 v137, v137, 0, s5
	v_add_nc_u32_e32 v136, v137, v136
	v_mov_b32_dpp v137, v136 row_shr:2 row_mask:0xf bank_mask:0xf
	v_cndmask_b32_e64 v137, 0, v137, s13
	v_add_nc_u32_e32 v136, v136, v137
	;; [unrolled: 3-line block ×4, first 2 shown]
	ds_swizzle_b32 v137, v136 offset:swizzle(BROADCAST,32,15)
	s_waitcnt lgkmcnt(0)
	v_cndmask_b32_e64 v137, v137, 0, s16
	v_add_nc_u32_e32 v136, v136, v137
	s_and_saveexec_b32 s20, s8
; %bb.265:                              ;   in Loop: Header=BB2048_228 Depth=2
	ds_write_b32 v39, v136 offset:1024
; %bb.266:                              ;   in Loop: Header=BB2048_228 Depth=2
	s_or_b32 exec_lo, exec_lo, s20
	s_waitcnt lgkmcnt(0)
	s_barrier
	buffer_gl0_inv
	s_and_saveexec_b32 s20, s9
	s_cbranch_execz .LBB2048_268
; %bb.267:                              ;   in Loop: Header=BB2048_228 Depth=2
	ds_read_b32 v137, v46 offset:1024
	s_waitcnt lgkmcnt(0)
	v_mov_b32_dpp v138, v137 row_shr:1 row_mask:0xf bank_mask:0xf
	v_cndmask_b32_e64 v138, v138, 0, s17
	v_add_nc_u32_e32 v137, v138, v137
	v_mov_b32_dpp v138, v137 row_shr:2 row_mask:0xf bank_mask:0xf
	v_cndmask_b32_e64 v138, 0, v138, s18
	v_add_nc_u32_e32 v137, v137, v138
	;; [unrolled: 3-line block ×3, first 2 shown]
	ds_write_b32 v46, v137 offset:1024
.LBB2048_268:                           ;   in Loop: Header=BB2048_228 Depth=2
	s_or_b32 exec_lo, exec_lo, s20
	v_mov_b32_e32 v137, 0
	s_waitcnt lgkmcnt(0)
	s_barrier
	buffer_gl0_inv
	s_and_saveexec_b32 s20, s10
; %bb.269:                              ;   in Loop: Header=BB2048_228 Depth=2
	ds_read_b32 v137, v39 offset:1020
; %bb.270:                              ;   in Loop: Header=BB2048_228 Depth=2
	s_or_b32 exec_lo, exec_lo, s20
	s_waitcnt lgkmcnt(0)
	v_add_nc_u32_e32 v136, v137, v136
	ds_bpermute_b32 v136, v91, v136
	s_waitcnt lgkmcnt(0)
	v_cndmask_b32_e64 v136, v136, v137, s12
	v_cndmask_b32_e64 v136, v136, 0, s4
	v_add_nc_u32_e32 v27, v136, v27
	v_add_nc_u32_e32 v28, v27, v28
	v_add_nc_u32_e32 v25, v28, v25
	v_add_nc_u32_e32 v26, v25, v26
	v_add_nc_u32_e32 v23, v26, v23
	v_add_nc_u32_e32 v24, v23, v24
	v_add_nc_u32_e32 v21, v24, v21
	v_add_nc_u32_e32 v22, v21, v22
	ds_write2_b32 v78, v136, v27 offset1:1
	ds_write2_b32 v88, v28, v25 offset1:1
	;; [unrolled: 1-line block ×4, first 2 shown]
	ds_write_b32 v44, v22 offset:1088
	s_waitcnt lgkmcnt(0)
	s_barrier
	buffer_gl0_inv
	ds_read_b32 v24, v108 offset:1056
	ds_read_b32 v25, v112 offset:1056
	;; [unrolled: 1-line block ×9, first 2 shown]
	v_mov_b32_e32 v23, 0x800
	s_and_saveexec_b32 s20, s11
; %bb.271:                              ;   in Loop: Header=BB2048_228 Depth=2
	ds_read_b32 v23, v44 offset:1092
; %bb.272:                              ;   in Loop: Header=BB2048_228 Depth=2
	s_or_b32 exec_lo, exec_lo, s20
	s_waitcnt lgkmcnt(0)
	s_barrier
	buffer_gl0_inv
	s_and_saveexec_b32 s20, s7
	s_cbranch_execz .LBB2048_274
; %bb.273:                              ;   in Loop: Header=BB2048_228 Depth=2
	ds_read_b32 v112, v29
	s_waitcnt lgkmcnt(0)
	v_sub_nc_u32_e32 v108, v112, v108
	ds_write_b32 v29, v108
.LBB2048_274:                           ;   in Loop: Header=BB2048_228 Depth=2
	s_or_b32 exec_lo, exec_lo, s20
	v_add_nc_u32_e32 v112, v24, v106
	v_add3_u32 v108, v110, v109, v25
	v_add3_u32 v106, v115, v113, v26
	;; [unrolled: 1-line block ×4, first 2 shown]
	v_lshlrev_b32_e32 v109, 1, v112
	v_lshlrev_b32_e32 v110, 1, v108
	v_add3_u32 v27, v131, v129, v22
	v_lshlrev_b32_e32 v22, 1, v106
	v_add3_u32 v28, v134, v133, v21
	ds_write_b16 v109, v3 offset:1024
	ds_write_b16 v110, v107 offset:1024
	v_lshlrev_b32_e32 v3, 1, v26
	v_add3_u32 v24, v127, v125, v116
	ds_write_b16 v22, v111 offset:1024
	v_lshlrev_b32_e32 v21, 1, v25
	v_cmp_lt_u32_e32 vcc_lo, v0, v105
	ds_write_b16 v3, v114 offset:1024
	v_lshlrev_b32_e32 v3, 1, v28
	v_lshlrev_b32_e32 v22, 1, v24
	;; [unrolled: 1-line block ×3, first 2 shown]
	ds_write_b16 v21, v118 offset:1024
	ds_write_b16 v22, v122 offset:1024
	;; [unrolled: 1-line block ×4, first 2 shown]
	s_waitcnt lgkmcnt(0)
	s_barrier
	buffer_gl0_inv
	s_and_saveexec_b32 s21, vcc_lo
	s_cbranch_execnz .LBB2048_311
; %bb.275:                              ;   in Loop: Header=BB2048_228 Depth=2
	s_or_b32 exec_lo, exec_lo, s21
	v_cmp_lt_u32_e64 s20, v30, v105
	s_and_saveexec_b32 s22, s20
	s_cbranch_execnz .LBB2048_312
.LBB2048_276:                           ;   in Loop: Header=BB2048_228 Depth=2
	s_or_b32 exec_lo, exec_lo, s22
	v_cmp_lt_u32_e64 s21, v31, v105
	s_and_saveexec_b32 s23, s21
	s_cbranch_execnz .LBB2048_313
.LBB2048_277:                           ;   in Loop: Header=BB2048_228 Depth=2
	s_or_b32 exec_lo, exec_lo, s23
	v_cmp_lt_u32_e64 s22, v32, v105
	s_and_saveexec_b32 s24, s22
	s_cbranch_execnz .LBB2048_314
.LBB2048_278:                           ;   in Loop: Header=BB2048_228 Depth=2
	s_or_b32 exec_lo, exec_lo, s24
	v_cmp_lt_u32_e64 s23, v35, v105
	s_and_saveexec_b32 s25, s23
	s_cbranch_execnz .LBB2048_315
.LBB2048_279:                           ;   in Loop: Header=BB2048_228 Depth=2
	s_or_b32 exec_lo, exec_lo, s25
	v_cmp_lt_u32_e64 s24, v36, v105
	s_and_saveexec_b32 s26, s24
	s_cbranch_execnz .LBB2048_316
.LBB2048_280:                           ;   in Loop: Header=BB2048_228 Depth=2
	s_or_b32 exec_lo, exec_lo, s26
	v_cmp_lt_u32_e64 s25, v37, v105
	s_and_saveexec_b32 s28, s25
	s_cbranch_execnz .LBB2048_317
.LBB2048_281:                           ;   in Loop: Header=BB2048_228 Depth=2
	s_or_b32 exec_lo, exec_lo, s28
	v_cmp_lt_u32_e64 s26, v38, v105
	s_and_saveexec_b32 s54, s26
	s_cbranch_execz .LBB2048_283
.LBB2048_282:                           ;   in Loop: Header=BB2048_228 Depth=2
	ds_read_u16 v107, v47 offset:4608
	s_waitcnt lgkmcnt(0)
	v_cmp_ne_u16_e64 s28, 0x7fff, v107
	v_cndmask_b32_e64 v3, 0xffff8000, v107, s28
	v_cmp_lt_i16_e64 s28, -1, v107
	v_lshrrev_b32_sdwa v3, s42, v3 dst_sel:DWORD dst_unused:UNUSED_PAD src0_sel:DWORD src1_sel:WORD_0
	v_cndmask_b32_e64 v109, 0xffff8000, -1, s28
	v_and_b32_e32 v3, s43, v3
	v_lshlrev_b32_e32 v3, 2, v3
	ds_read_b32 v3, v3
	s_waitcnt lgkmcnt(0)
	v_add_nc_u32_e32 v3, v3, v38
	v_lshlrev_b64 v[21:22], 1, v[3:4]
	v_xor_b32_e32 v3, v109, v107
	v_add_co_u32 v21, s28, s40, v21
	v_add_co_ci_u32_e64 v22, null, s41, v22, s28
	global_store_short v[21:22], v3, off
.LBB2048_283:                           ;   in Loop: Header=BB2048_228 Depth=2
	s_or_b32 exec_lo, exec_lo, s54
	s_lshl_b64 s[54:55], s[34:35], 3
	v_add_co_u32 v21, s28, v92, s54
	v_add_co_ci_u32_e64 v22, null, s55, v93, s28
	v_cmp_lt_u32_e64 s28, v66, v105
	s_and_saveexec_b32 s34, s28
	s_xor_b32 s28, exec_lo, s34
	s_cbranch_execnz .LBB2048_318
; %bb.284:                              ;   in Loop: Header=BB2048_228 Depth=2
	s_or_b32 exec_lo, exec_lo, s28
	s_mov_b32 s34, exec_lo
	v_cmpx_lt_u32_e64 v70, v105
	s_cbranch_execnz .LBB2048_319
.LBB2048_285:                           ;   in Loop: Header=BB2048_228 Depth=2
	s_or_b32 exec_lo, exec_lo, s34
	s_mov_b32 s34, exec_lo
	v_cmpx_lt_u32_e64 v71, v105
	s_cbranch_execnz .LBB2048_320
.LBB2048_286:                           ;   in Loop: Header=BB2048_228 Depth=2
	s_or_b32 exec_lo, exec_lo, s34
	s_mov_b32 s34, exec_lo
	v_cmpx_lt_u32_e64 v72, v105
	s_cbranch_execnz .LBB2048_321
.LBB2048_287:                           ;   in Loop: Header=BB2048_228 Depth=2
	s_or_b32 exec_lo, exec_lo, s34
	s_mov_b32 s34, exec_lo
	v_cmpx_lt_u32_e64 v73, v105
	s_cbranch_execnz .LBB2048_322
.LBB2048_288:                           ;   in Loop: Header=BB2048_228 Depth=2
	s_or_b32 exec_lo, exec_lo, s34
	s_mov_b32 s34, exec_lo
	v_cmpx_lt_u32_e64 v74, v105
	s_cbranch_execnz .LBB2048_323
.LBB2048_289:                           ;   in Loop: Header=BB2048_228 Depth=2
	s_or_b32 exec_lo, exec_lo, s34
	s_mov_b32 s34, exec_lo
	v_cmpx_lt_u32_e64 v75, v105
	s_cbranch_execnz .LBB2048_324
.LBB2048_290:                           ;   in Loop: Header=BB2048_228 Depth=2
	s_or_b32 exec_lo, exec_lo, s34
	s_mov_b32 s34, exec_lo
	v_cmpx_lt_u32_e64 v76, v105
	s_cbranch_execnz .LBB2048_325
.LBB2048_291:                           ;   in Loop: Header=BB2048_228 Depth=2
	s_or_b32 exec_lo, exec_lo, s34
	s_and_saveexec_b32 s34, vcc_lo
	s_cbranch_execnz .LBB2048_326
.LBB2048_292:                           ;   in Loop: Header=BB2048_228 Depth=2
	s_or_b32 exec_lo, exec_lo, s34
	s_and_saveexec_b32 s34, s20
	s_cbranch_execnz .LBB2048_327
.LBB2048_293:                           ;   in Loop: Header=BB2048_228 Depth=2
	s_or_b32 exec_lo, exec_lo, s34
	s_and_saveexec_b32 s34, s21
	s_cbranch_execnz .LBB2048_328
.LBB2048_294:                           ;   in Loop: Header=BB2048_228 Depth=2
	s_or_b32 exec_lo, exec_lo, s34
	s_and_saveexec_b32 s34, s22
	s_cbranch_execnz .LBB2048_329
.LBB2048_295:                           ;   in Loop: Header=BB2048_228 Depth=2
	s_or_b32 exec_lo, exec_lo, s34
	s_and_saveexec_b32 s34, s23
	s_cbranch_execnz .LBB2048_330
.LBB2048_296:                           ;   in Loop: Header=BB2048_228 Depth=2
	s_or_b32 exec_lo, exec_lo, s34
	s_and_saveexec_b32 s34, s24
	s_cbranch_execnz .LBB2048_331
.LBB2048_297:                           ;   in Loop: Header=BB2048_228 Depth=2
	s_or_b32 exec_lo, exec_lo, s34
	s_and_saveexec_b32 s34, s25
	s_cbranch_execnz .LBB2048_332
.LBB2048_298:                           ;   in Loop: Header=BB2048_228 Depth=2
	s_or_b32 exec_lo, exec_lo, s34
	s_and_saveexec_b32 s34, s26
	s_cbranch_execz .LBB2048_300
.LBB2048_299:                           ;   in Loop: Header=BB2048_228 Depth=2
	ds_read_u16 v3, v47 offset:4608
	s_waitcnt lgkmcnt(0)
	v_cmp_ne_u16_e64 s28, 0x7fff, v3
	v_cndmask_b32_e64 v3, 0xffff8000, v3, s28
	v_lshrrev_b32_sdwa v3, s42, v3 dst_sel:DWORD dst_unused:UNUSED_PAD src0_sel:DWORD src1_sel:WORD_0
	v_and_b32_e32 v97, s43, v3
.LBB2048_300:                           ;   in Loop: Header=BB2048_228 Depth=2
	s_or_b32 exec_lo, exec_lo, s34
	v_lshlrev_b32_e32 v3, 3, v112
	v_lshlrev_b32_e32 v21, 3, v108
	;; [unrolled: 1-line block ×3, first 2 shown]
	s_waitcnt vmcnt(0)
	s_waitcnt_vscnt null, 0x0
	s_barrier
	buffer_gl0_inv
	ds_write_b64 v3, v[19:20] offset:1024
	ds_write_b64 v21, v[17:18] offset:1024
	ds_write_b64 v22, v[15:16] offset:1024
	v_lshlrev_b32_e32 v3, 3, v26
	v_lshlrev_b32_e32 v21, 3, v25
	;; [unrolled: 1-line block ×5, first 2 shown]
	ds_write_b64 v3, v[13:14] offset:1024
	ds_write_b64 v21, v[11:12] offset:1024
	;; [unrolled: 1-line block ×5, first 2 shown]
	s_waitcnt lgkmcnt(0)
	s_barrier
	buffer_gl0_inv
	s_and_saveexec_b32 s28, vcc_lo
	s_cbranch_execnz .LBB2048_333
; %bb.301:                              ;   in Loop: Header=BB2048_228 Depth=2
	s_or_b32 exec_lo, exec_lo, s28
	s_and_saveexec_b32 s28, s20
	s_cbranch_execnz .LBB2048_334
.LBB2048_302:                           ;   in Loop: Header=BB2048_228 Depth=2
	s_or_b32 exec_lo, exec_lo, s28
	s_and_saveexec_b32 s20, s21
	s_cbranch_execnz .LBB2048_335
.LBB2048_303:                           ;   in Loop: Header=BB2048_228 Depth=2
	s_or_b32 exec_lo, exec_lo, s20
	s_and_saveexec_b32 s20, s22
	s_cbranch_execnz .LBB2048_336
.LBB2048_304:                           ;   in Loop: Header=BB2048_228 Depth=2
	s_or_b32 exec_lo, exec_lo, s20
	s_and_saveexec_b32 s20, s23
	s_cbranch_execnz .LBB2048_337
.LBB2048_305:                           ;   in Loop: Header=BB2048_228 Depth=2
	s_or_b32 exec_lo, exec_lo, s20
	s_and_saveexec_b32 s20, s24
	s_cbranch_execnz .LBB2048_338
.LBB2048_306:                           ;   in Loop: Header=BB2048_228 Depth=2
	s_or_b32 exec_lo, exec_lo, s20
	s_and_saveexec_b32 s20, s25
	s_cbranch_execnz .LBB2048_339
.LBB2048_307:                           ;   in Loop: Header=BB2048_228 Depth=2
	s_or_b32 exec_lo, exec_lo, s20
	s_and_saveexec_b32 s20, s26
	s_cbranch_execz .LBB2048_309
.LBB2048_308:                           ;   in Loop: Header=BB2048_228 Depth=2
	v_lshlrev_b32_e32 v3, 2, v97
	v_add_nc_u32_e32 v21, v47, v48
	ds_read_b32 v3, v3
	ds_read_b64 v[21:22], v21 offset:15360
	s_waitcnt lgkmcnt(1)
	v_add_nc_u32_e32 v3, v3, v38
	v_lshlrev_b64 v[24:25], 3, v[3:4]
	v_add_co_u32 v24, vcc_lo, s46, v24
	v_add_co_ci_u32_e64 v25, null, s47, v25, vcc_lo
	s_waitcnt lgkmcnt(0)
	global_store_dwordx2 v[24:25], v[21:22], off
.LBB2048_309:                           ;   in Loop: Header=BB2048_228 Depth=2
	s_or_b32 exec_lo, exec_lo, s20
	s_waitcnt_vscnt null, 0x0
	s_barrier
	buffer_gl0_inv
	s_and_saveexec_b32 s20, s7
	s_cbranch_execz .LBB2048_227
; %bb.310:                              ;   in Loop: Header=BB2048_228 Depth=2
	ds_read_b32 v3, v29
	s_waitcnt lgkmcnt(0)
	v_add_nc_u32_e32 v3, v3, v23
	ds_write_b32 v29, v3
	s_branch .LBB2048_227
.LBB2048_311:                           ;   in Loop: Header=BB2048_228 Depth=2
	ds_read_u16 v107, v47 offset:1024
	s_waitcnt lgkmcnt(0)
	v_cmp_ne_u16_e64 s20, 0x7fff, v107
	v_cndmask_b32_e64 v3, 0xffff8000, v107, s20
	v_cmp_lt_i16_e64 s20, -1, v107
	v_lshrrev_b32_sdwa v3, s42, v3 dst_sel:DWORD dst_unused:UNUSED_PAD src0_sel:DWORD src1_sel:WORD_0
	v_cndmask_b32_e64 v109, 0xffff8000, -1, s20
	v_and_b32_e32 v3, s43, v3
	v_lshlrev_b32_e32 v3, 2, v3
	ds_read_b32 v3, v3
	s_waitcnt lgkmcnt(0)
	v_add_nc_u32_e32 v3, v3, v0
	v_lshlrev_b64 v[21:22], 1, v[3:4]
	v_xor_b32_e32 v3, v109, v107
	v_add_co_u32 v21, s20, s40, v21
	v_add_co_ci_u32_e64 v22, null, s41, v22, s20
	global_store_short v[21:22], v3, off
	s_or_b32 exec_lo, exec_lo, s21
	v_cmp_lt_u32_e64 s20, v30, v105
	s_and_saveexec_b32 s22, s20
	s_cbranch_execz .LBB2048_276
.LBB2048_312:                           ;   in Loop: Header=BB2048_228 Depth=2
	ds_read_u16 v107, v47 offset:1536
	s_waitcnt lgkmcnt(0)
	v_cmp_ne_u16_e64 s21, 0x7fff, v107
	v_cndmask_b32_e64 v3, 0xffff8000, v107, s21
	v_cmp_lt_i16_e64 s21, -1, v107
	v_lshrrev_b32_sdwa v3, s42, v3 dst_sel:DWORD dst_unused:UNUSED_PAD src0_sel:DWORD src1_sel:WORD_0
	v_cndmask_b32_e64 v109, 0xffff8000, -1, s21
	v_and_b32_e32 v3, s43, v3
	v_lshlrev_b32_e32 v3, 2, v3
	ds_read_b32 v3, v3
	s_waitcnt lgkmcnt(0)
	v_add_nc_u32_e32 v3, v3, v30
	v_lshlrev_b64 v[21:22], 1, v[3:4]
	v_xor_b32_e32 v3, v109, v107
	v_add_co_u32 v21, s21, s40, v21
	v_add_co_ci_u32_e64 v22, null, s41, v22, s21
	global_store_short v[21:22], v3, off
	s_or_b32 exec_lo, exec_lo, s22
	v_cmp_lt_u32_e64 s21, v31, v105
	s_and_saveexec_b32 s23, s21
	s_cbranch_execz .LBB2048_277
.LBB2048_313:                           ;   in Loop: Header=BB2048_228 Depth=2
	ds_read_u16 v107, v47 offset:2048
	s_waitcnt lgkmcnt(0)
	v_cmp_ne_u16_e64 s22, 0x7fff, v107
	v_cndmask_b32_e64 v3, 0xffff8000, v107, s22
	v_cmp_lt_i16_e64 s22, -1, v107
	v_lshrrev_b32_sdwa v3, s42, v3 dst_sel:DWORD dst_unused:UNUSED_PAD src0_sel:DWORD src1_sel:WORD_0
	v_cndmask_b32_e64 v109, 0xffff8000, -1, s22
	v_and_b32_e32 v3, s43, v3
	v_lshlrev_b32_e32 v3, 2, v3
	ds_read_b32 v3, v3
	s_waitcnt lgkmcnt(0)
	v_add_nc_u32_e32 v3, v3, v31
	v_lshlrev_b64 v[21:22], 1, v[3:4]
	v_xor_b32_e32 v3, v109, v107
	v_add_co_u32 v21, s22, s40, v21
	v_add_co_ci_u32_e64 v22, null, s41, v22, s22
	global_store_short v[21:22], v3, off
	s_or_b32 exec_lo, exec_lo, s23
	v_cmp_lt_u32_e64 s22, v32, v105
	s_and_saveexec_b32 s24, s22
	s_cbranch_execz .LBB2048_278
.LBB2048_314:                           ;   in Loop: Header=BB2048_228 Depth=2
	ds_read_u16 v107, v47 offset:2560
	s_waitcnt lgkmcnt(0)
	v_cmp_ne_u16_e64 s23, 0x7fff, v107
	v_cndmask_b32_e64 v3, 0xffff8000, v107, s23
	v_cmp_lt_i16_e64 s23, -1, v107
	v_lshrrev_b32_sdwa v3, s42, v3 dst_sel:DWORD dst_unused:UNUSED_PAD src0_sel:DWORD src1_sel:WORD_0
	v_cndmask_b32_e64 v109, 0xffff8000, -1, s23
	v_and_b32_e32 v3, s43, v3
	v_lshlrev_b32_e32 v3, 2, v3
	ds_read_b32 v3, v3
	s_waitcnt lgkmcnt(0)
	v_add_nc_u32_e32 v3, v3, v32
	v_lshlrev_b64 v[21:22], 1, v[3:4]
	v_xor_b32_e32 v3, v109, v107
	v_add_co_u32 v21, s23, s40, v21
	v_add_co_ci_u32_e64 v22, null, s41, v22, s23
	global_store_short v[21:22], v3, off
	s_or_b32 exec_lo, exec_lo, s24
	v_cmp_lt_u32_e64 s23, v35, v105
	s_and_saveexec_b32 s25, s23
	s_cbranch_execz .LBB2048_279
.LBB2048_315:                           ;   in Loop: Header=BB2048_228 Depth=2
	ds_read_u16 v107, v47 offset:3072
	s_waitcnt lgkmcnt(0)
	v_cmp_ne_u16_e64 s24, 0x7fff, v107
	v_cndmask_b32_e64 v3, 0xffff8000, v107, s24
	v_cmp_lt_i16_e64 s24, -1, v107
	v_lshrrev_b32_sdwa v3, s42, v3 dst_sel:DWORD dst_unused:UNUSED_PAD src0_sel:DWORD src1_sel:WORD_0
	v_cndmask_b32_e64 v109, 0xffff8000, -1, s24
	v_and_b32_e32 v3, s43, v3
	v_lshlrev_b32_e32 v3, 2, v3
	ds_read_b32 v3, v3
	s_waitcnt lgkmcnt(0)
	v_add_nc_u32_e32 v3, v3, v35
	v_lshlrev_b64 v[21:22], 1, v[3:4]
	v_xor_b32_e32 v3, v109, v107
	v_add_co_u32 v21, s24, s40, v21
	v_add_co_ci_u32_e64 v22, null, s41, v22, s24
	global_store_short v[21:22], v3, off
	s_or_b32 exec_lo, exec_lo, s25
	v_cmp_lt_u32_e64 s24, v36, v105
	s_and_saveexec_b32 s26, s24
	s_cbranch_execz .LBB2048_280
.LBB2048_316:                           ;   in Loop: Header=BB2048_228 Depth=2
	ds_read_u16 v107, v47 offset:3584
	s_waitcnt lgkmcnt(0)
	v_cmp_ne_u16_e64 s25, 0x7fff, v107
	v_cndmask_b32_e64 v3, 0xffff8000, v107, s25
	v_cmp_lt_i16_e64 s25, -1, v107
	v_lshrrev_b32_sdwa v3, s42, v3 dst_sel:DWORD dst_unused:UNUSED_PAD src0_sel:DWORD src1_sel:WORD_0
	v_cndmask_b32_e64 v109, 0xffff8000, -1, s25
	v_and_b32_e32 v3, s43, v3
	v_lshlrev_b32_e32 v3, 2, v3
	ds_read_b32 v3, v3
	s_waitcnt lgkmcnt(0)
	v_add_nc_u32_e32 v3, v3, v36
	v_lshlrev_b64 v[21:22], 1, v[3:4]
	v_xor_b32_e32 v3, v109, v107
	v_add_co_u32 v21, s25, s40, v21
	v_add_co_ci_u32_e64 v22, null, s41, v22, s25
	global_store_short v[21:22], v3, off
	s_or_b32 exec_lo, exec_lo, s26
	v_cmp_lt_u32_e64 s25, v37, v105
	s_and_saveexec_b32 s28, s25
	s_cbranch_execz .LBB2048_281
.LBB2048_317:                           ;   in Loop: Header=BB2048_228 Depth=2
	ds_read_u16 v107, v47 offset:4096
	s_waitcnt lgkmcnt(0)
	v_cmp_ne_u16_e64 s26, 0x7fff, v107
	v_cndmask_b32_e64 v3, 0xffff8000, v107, s26
	v_cmp_lt_i16_e64 s26, -1, v107
	v_lshrrev_b32_sdwa v3, s42, v3 dst_sel:DWORD dst_unused:UNUSED_PAD src0_sel:DWORD src1_sel:WORD_0
	v_cndmask_b32_e64 v109, 0xffff8000, -1, s26
	v_and_b32_e32 v3, s43, v3
	v_lshlrev_b32_e32 v3, 2, v3
	ds_read_b32 v3, v3
	s_waitcnt lgkmcnt(0)
	v_add_nc_u32_e32 v3, v3, v37
	v_lshlrev_b64 v[21:22], 1, v[3:4]
	v_xor_b32_e32 v3, v109, v107
	v_add_co_u32 v21, s26, s40, v21
	v_add_co_ci_u32_e64 v22, null, s41, v22, s26
	global_store_short v[21:22], v3, off
	s_or_b32 exec_lo, exec_lo, s28
	v_cmp_lt_u32_e64 s26, v38, v105
	s_and_saveexec_b32 s54, s26
	s_cbranch_execnz .LBB2048_282
	s_branch .LBB2048_283
.LBB2048_318:                           ;   in Loop: Header=BB2048_228 Depth=2
	global_load_dwordx2 v[19:20], v[21:22], off
	s_or_b32 exec_lo, exec_lo, s28
	s_mov_b32 s34, exec_lo
	v_cmpx_lt_u32_e64 v70, v105
	s_cbranch_execz .LBB2048_285
.LBB2048_319:                           ;   in Loop: Header=BB2048_228 Depth=2
	global_load_dwordx2 v[17:18], v[21:22], off offset:256
	s_or_b32 exec_lo, exec_lo, s34
	s_mov_b32 s34, exec_lo
	v_cmpx_lt_u32_e64 v71, v105
	s_cbranch_execz .LBB2048_286
.LBB2048_320:                           ;   in Loop: Header=BB2048_228 Depth=2
	global_load_dwordx2 v[15:16], v[21:22], off offset:512
	s_or_b32 exec_lo, exec_lo, s34
	s_mov_b32 s34, exec_lo
	v_cmpx_lt_u32_e64 v72, v105
	s_cbranch_execz .LBB2048_287
.LBB2048_321:                           ;   in Loop: Header=BB2048_228 Depth=2
	global_load_dwordx2 v[13:14], v[21:22], off offset:768
	s_or_b32 exec_lo, exec_lo, s34
	s_mov_b32 s34, exec_lo
	v_cmpx_lt_u32_e64 v73, v105
	s_cbranch_execz .LBB2048_288
.LBB2048_322:                           ;   in Loop: Header=BB2048_228 Depth=2
	global_load_dwordx2 v[11:12], v[21:22], off offset:1024
	s_or_b32 exec_lo, exec_lo, s34
	s_mov_b32 s34, exec_lo
	v_cmpx_lt_u32_e64 v74, v105
	s_cbranch_execz .LBB2048_289
.LBB2048_323:                           ;   in Loop: Header=BB2048_228 Depth=2
	global_load_dwordx2 v[9:10], v[21:22], off offset:1280
	s_or_b32 exec_lo, exec_lo, s34
	s_mov_b32 s34, exec_lo
	v_cmpx_lt_u32_e64 v75, v105
	s_cbranch_execz .LBB2048_290
.LBB2048_324:                           ;   in Loop: Header=BB2048_228 Depth=2
	global_load_dwordx2 v[7:8], v[21:22], off offset:1536
	s_or_b32 exec_lo, exec_lo, s34
	s_mov_b32 s34, exec_lo
	v_cmpx_lt_u32_e64 v76, v105
	s_cbranch_execz .LBB2048_291
.LBB2048_325:                           ;   in Loop: Header=BB2048_228 Depth=2
	global_load_dwordx2 v[5:6], v[21:22], off offset:1792
	s_or_b32 exec_lo, exec_lo, s34
	s_and_saveexec_b32 s34, vcc_lo
	s_cbranch_execz .LBB2048_292
.LBB2048_326:                           ;   in Loop: Header=BB2048_228 Depth=2
	ds_read_u16 v3, v47 offset:1024
	s_waitcnt lgkmcnt(0)
	v_cmp_ne_u16_e64 s28, 0x7fff, v3
	v_cndmask_b32_e64 v3, 0xffff8000, v3, s28
	v_lshrrev_b32_sdwa v3, s42, v3 dst_sel:DWORD dst_unused:UNUSED_PAD src0_sel:DWORD src1_sel:WORD_0
	v_and_b32_e32 v104, s43, v3
	s_or_b32 exec_lo, exec_lo, s34
	s_and_saveexec_b32 s34, s20
	s_cbranch_execz .LBB2048_293
.LBB2048_327:                           ;   in Loop: Header=BB2048_228 Depth=2
	ds_read_u16 v3, v47 offset:1536
	s_waitcnt lgkmcnt(0)
	v_cmp_ne_u16_e64 s28, 0x7fff, v3
	v_cndmask_b32_e64 v3, 0xffff8000, v3, s28
	v_lshrrev_b32_sdwa v3, s42, v3 dst_sel:DWORD dst_unused:UNUSED_PAD src0_sel:DWORD src1_sel:WORD_0
	v_and_b32_e32 v103, s43, v3
	s_or_b32 exec_lo, exec_lo, s34
	s_and_saveexec_b32 s34, s21
	s_cbranch_execz .LBB2048_294
.LBB2048_328:                           ;   in Loop: Header=BB2048_228 Depth=2
	ds_read_u16 v3, v47 offset:2048
	s_waitcnt lgkmcnt(0)
	v_cmp_ne_u16_e64 s28, 0x7fff, v3
	v_cndmask_b32_e64 v3, 0xffff8000, v3, s28
	v_lshrrev_b32_sdwa v3, s42, v3 dst_sel:DWORD dst_unused:UNUSED_PAD src0_sel:DWORD src1_sel:WORD_0
	v_and_b32_e32 v102, s43, v3
	s_or_b32 exec_lo, exec_lo, s34
	s_and_saveexec_b32 s34, s22
	s_cbranch_execz .LBB2048_295
.LBB2048_329:                           ;   in Loop: Header=BB2048_228 Depth=2
	ds_read_u16 v3, v47 offset:2560
	s_waitcnt lgkmcnt(0)
	v_cmp_ne_u16_e64 s28, 0x7fff, v3
	v_cndmask_b32_e64 v3, 0xffff8000, v3, s28
	v_lshrrev_b32_sdwa v3, s42, v3 dst_sel:DWORD dst_unused:UNUSED_PAD src0_sel:DWORD src1_sel:WORD_0
	v_and_b32_e32 v101, s43, v3
	s_or_b32 exec_lo, exec_lo, s34
	s_and_saveexec_b32 s34, s23
	s_cbranch_execz .LBB2048_296
.LBB2048_330:                           ;   in Loop: Header=BB2048_228 Depth=2
	ds_read_u16 v3, v47 offset:3072
	s_waitcnt lgkmcnt(0)
	v_cmp_ne_u16_e64 s28, 0x7fff, v3
	v_cndmask_b32_e64 v3, 0xffff8000, v3, s28
	v_lshrrev_b32_sdwa v3, s42, v3 dst_sel:DWORD dst_unused:UNUSED_PAD src0_sel:DWORD src1_sel:WORD_0
	v_and_b32_e32 v100, s43, v3
	s_or_b32 exec_lo, exec_lo, s34
	s_and_saveexec_b32 s34, s24
	s_cbranch_execz .LBB2048_297
.LBB2048_331:                           ;   in Loop: Header=BB2048_228 Depth=2
	ds_read_u16 v3, v47 offset:3584
	s_waitcnt lgkmcnt(0)
	v_cmp_ne_u16_e64 s28, 0x7fff, v3
	v_cndmask_b32_e64 v3, 0xffff8000, v3, s28
	v_lshrrev_b32_sdwa v3, s42, v3 dst_sel:DWORD dst_unused:UNUSED_PAD src0_sel:DWORD src1_sel:WORD_0
	v_and_b32_e32 v99, s43, v3
	s_or_b32 exec_lo, exec_lo, s34
	s_and_saveexec_b32 s34, s25
	s_cbranch_execz .LBB2048_298
.LBB2048_332:                           ;   in Loop: Header=BB2048_228 Depth=2
	ds_read_u16 v3, v47 offset:4096
	s_waitcnt lgkmcnt(0)
	v_cmp_ne_u16_e64 s28, 0x7fff, v3
	v_cndmask_b32_e64 v3, 0xffff8000, v3, s28
	v_lshrrev_b32_sdwa v3, s42, v3 dst_sel:DWORD dst_unused:UNUSED_PAD src0_sel:DWORD src1_sel:WORD_0
	v_and_b32_e32 v98, s43, v3
	s_or_b32 exec_lo, exec_lo, s34
	s_and_saveexec_b32 s34, s26
	s_cbranch_execnz .LBB2048_299
	s_branch .LBB2048_300
.LBB2048_333:                           ;   in Loop: Header=BB2048_228 Depth=2
	v_lshlrev_b32_e32 v3, 2, v104
	v_add_nc_u32_e32 v21, v47, v48
	ds_read_b32 v3, v3
	ds_read_b64 v[21:22], v21 offset:1024
	s_waitcnt lgkmcnt(1)
	v_add_nc_u32_e32 v3, v3, v0
	v_lshlrev_b64 v[24:25], 3, v[3:4]
	v_add_co_u32 v24, vcc_lo, s46, v24
	v_add_co_ci_u32_e64 v25, null, s47, v25, vcc_lo
	s_waitcnt lgkmcnt(0)
	global_store_dwordx2 v[24:25], v[21:22], off
	s_or_b32 exec_lo, exec_lo, s28
	s_and_saveexec_b32 s28, s20
	s_cbranch_execz .LBB2048_302
.LBB2048_334:                           ;   in Loop: Header=BB2048_228 Depth=2
	v_lshlrev_b32_e32 v3, 2, v103
	v_add_nc_u32_e32 v21, v47, v48
	ds_read_b32 v3, v3
	ds_read_b64 v[21:22], v21 offset:3072
	s_waitcnt lgkmcnt(1)
	v_add_nc_u32_e32 v3, v3, v30
	v_lshlrev_b64 v[24:25], 3, v[3:4]
	v_add_co_u32 v24, vcc_lo, s46, v24
	v_add_co_ci_u32_e64 v25, null, s47, v25, vcc_lo
	s_waitcnt lgkmcnt(0)
	global_store_dwordx2 v[24:25], v[21:22], off
	s_or_b32 exec_lo, exec_lo, s28
	s_and_saveexec_b32 s20, s21
	s_cbranch_execz .LBB2048_303
.LBB2048_335:                           ;   in Loop: Header=BB2048_228 Depth=2
	v_lshlrev_b32_e32 v3, 2, v102
	v_add_nc_u32_e32 v21, v47, v48
	ds_read_b32 v3, v3
	ds_read_b64 v[21:22], v21 offset:5120
	s_waitcnt lgkmcnt(1)
	v_add_nc_u32_e32 v3, v3, v31
	v_lshlrev_b64 v[24:25], 3, v[3:4]
	v_add_co_u32 v24, vcc_lo, s46, v24
	v_add_co_ci_u32_e64 v25, null, s47, v25, vcc_lo
	s_waitcnt lgkmcnt(0)
	global_store_dwordx2 v[24:25], v[21:22], off
	s_or_b32 exec_lo, exec_lo, s20
	s_and_saveexec_b32 s20, s22
	s_cbranch_execz .LBB2048_304
.LBB2048_336:                           ;   in Loop: Header=BB2048_228 Depth=2
	v_lshlrev_b32_e32 v3, 2, v101
	v_add_nc_u32_e32 v21, v47, v48
	ds_read_b32 v3, v3
	ds_read_b64 v[21:22], v21 offset:7168
	s_waitcnt lgkmcnt(1)
	v_add_nc_u32_e32 v3, v3, v32
	v_lshlrev_b64 v[24:25], 3, v[3:4]
	v_add_co_u32 v24, vcc_lo, s46, v24
	v_add_co_ci_u32_e64 v25, null, s47, v25, vcc_lo
	s_waitcnt lgkmcnt(0)
	global_store_dwordx2 v[24:25], v[21:22], off
	s_or_b32 exec_lo, exec_lo, s20
	s_and_saveexec_b32 s20, s23
	s_cbranch_execz .LBB2048_305
.LBB2048_337:                           ;   in Loop: Header=BB2048_228 Depth=2
	v_lshlrev_b32_e32 v3, 2, v100
	v_add_nc_u32_e32 v21, v47, v48
	ds_read_b32 v3, v3
	ds_read_b64 v[21:22], v21 offset:9216
	s_waitcnt lgkmcnt(1)
	v_add_nc_u32_e32 v3, v3, v35
	v_lshlrev_b64 v[24:25], 3, v[3:4]
	v_add_co_u32 v24, vcc_lo, s46, v24
	v_add_co_ci_u32_e64 v25, null, s47, v25, vcc_lo
	s_waitcnt lgkmcnt(0)
	global_store_dwordx2 v[24:25], v[21:22], off
	s_or_b32 exec_lo, exec_lo, s20
	s_and_saveexec_b32 s20, s24
	s_cbranch_execz .LBB2048_306
.LBB2048_338:                           ;   in Loop: Header=BB2048_228 Depth=2
	v_lshlrev_b32_e32 v3, 2, v99
	v_add_nc_u32_e32 v21, v47, v48
	ds_read_b32 v3, v3
	ds_read_b64 v[21:22], v21 offset:11264
	s_waitcnt lgkmcnt(1)
	v_add_nc_u32_e32 v3, v3, v36
	v_lshlrev_b64 v[24:25], 3, v[3:4]
	v_add_co_u32 v24, vcc_lo, s46, v24
	v_add_co_ci_u32_e64 v25, null, s47, v25, vcc_lo
	s_waitcnt lgkmcnt(0)
	global_store_dwordx2 v[24:25], v[21:22], off
	s_or_b32 exec_lo, exec_lo, s20
	s_and_saveexec_b32 s20, s25
	s_cbranch_execz .LBB2048_307
.LBB2048_339:                           ;   in Loop: Header=BB2048_228 Depth=2
	v_lshlrev_b32_e32 v3, 2, v98
	v_add_nc_u32_e32 v21, v47, v48
	ds_read_b32 v3, v3
	ds_read_b64 v[21:22], v21 offset:13312
	s_waitcnt lgkmcnt(1)
	v_add_nc_u32_e32 v3, v3, v37
	v_lshlrev_b64 v[24:25], 3, v[3:4]
	v_add_co_u32 v24, vcc_lo, s46, v24
	v_add_co_ci_u32_e64 v25, null, s47, v25, vcc_lo
	s_waitcnt lgkmcnt(0)
	global_store_dwordx2 v[24:25], v[21:22], off
	s_or_b32 exec_lo, exec_lo, s20
	s_and_saveexec_b32 s20, s26
	s_cbranch_execnz .LBB2048_308
	s_branch .LBB2048_309
.LBB2048_340:                           ;   in Loop: Header=BB2048_12 Depth=1
	s_waitcnt lgkmcnt(0)
	s_barrier
.LBB2048_341:                           ;   in Loop: Header=BB2048_12 Depth=1
	s_mov_b32 s5, 0
.LBB2048_342:                           ;   in Loop: Header=BB2048_12 Depth=1
	s_andn2_b32 vcc_lo, exec_lo, s5
	s_cbranch_vccnz .LBB2048_11
; %bb.343:                              ;   in Loop: Header=BB2048_12 Depth=1
	s_and_b32 vcc_lo, exec_lo, s51
	s_mov_b32 s5, -1
	s_cbranch_vccz .LBB2048_507
; %bb.344:                              ;   in Loop: Header=BB2048_12 Depth=1
	s_mov_b32 s5, s52
	s_mov_b32 s34, s29
	s_barrier
	buffer_gl0_inv
                                        ; implicit-def: $vgpr3
                                        ; implicit-def: $vgpr5
                                        ; implicit-def: $vgpr6
                                        ; implicit-def: $vgpr7
                                        ; implicit-def: $vgpr8
                                        ; implicit-def: $vgpr9
                                        ; implicit-def: $vgpr10
                                        ; implicit-def: $vgpr11
	s_branch .LBB2048_346
.LBB2048_345:                           ;   in Loop: Header=BB2048_346 Depth=2
	s_or_b32 exec_lo, exec_lo, s14
	s_addk_i32 s5, 0xf800
	s_cmp_ge_u32 s13, s33
	s_mov_b32 s34, s13
	s_cbranch_scc1 .LBB2048_382
.LBB2048_346:                           ;   Parent Loop BB2048_12 Depth=1
                                        ; =>  This Inner Loop Header: Depth=2
	s_add_i32 s13, s34, 0x800
	s_mov_b32 s14, -1
	s_cmp_gt_u32 s13, s33
                                        ; implicit-def: $vgpr12
                                        ; implicit-def: $vgpr13
                                        ; implicit-def: $vgpr14
                                        ; implicit-def: $vgpr15
                                        ; implicit-def: $vgpr16
                                        ; implicit-def: $vgpr17
                                        ; implicit-def: $vgpr18
                                        ; implicit-def: $vgpr19
	s_cbranch_scc1 .LBB2048_348
; %bb.347:                              ;   in Loop: Header=BB2048_346 Depth=2
	s_lshl_b64 s[14:15], s[34:35], 1
	v_add_co_u32 v15, vcc_lo, v55, s14
	v_add_co_ci_u32_e64 v16, null, s15, v56, vcc_lo
	s_mov_b32 s14, 0
	v_add_co_u32 v19, vcc_lo, 0x800, v15
	v_add_co_ci_u32_e64 v20, null, 0, v16, vcc_lo
	s_clause 0x7
	global_load_ushort v12, v[15:16], off
	global_load_ushort v13, v[15:16], off offset:512
	global_load_ushort v14, v[15:16], off offset:1024
	;; [unrolled: 1-line block ×3, first 2 shown]
	global_load_ushort v16, v[19:20], off
	global_load_ushort v17, v[19:20], off offset:512
	global_load_ushort v18, v[19:20], off offset:1024
	;; [unrolled: 1-line block ×3, first 2 shown]
.LBB2048_348:                           ;   in Loop: Header=BB2048_346 Depth=2
	s_andn2_b32 vcc_lo, exec_lo, s14
	s_movk_i32 s14, 0x800
	s_cbranch_vccnz .LBB2048_359
; %bb.349:                              ;   in Loop: Header=BB2048_346 Depth=2
	s_lshl_b64 s[14:15], s[34:35], 1
	s_mov_b32 s16, exec_lo
	s_add_u32 s14, s36, s14
	s_addc_u32 s15, s37, s15
	v_cmpx_gt_u32_e64 s5, v0
	s_cbranch_execnz .LBB2048_375
; %bb.350:                              ;   in Loop: Header=BB2048_346 Depth=2
	s_or_b32 exec_lo, exec_lo, s16
	s_mov_b32 s16, exec_lo
	v_cmpx_gt_u32_e64 s5, v30
	s_cbranch_execnz .LBB2048_376
.LBB2048_351:                           ;   in Loop: Header=BB2048_346 Depth=2
	s_or_b32 exec_lo, exec_lo, s16
	s_mov_b32 s16, exec_lo
	v_cmpx_gt_u32_e64 s5, v31
	s_cbranch_execnz .LBB2048_377
.LBB2048_352:                           ;   in Loop: Header=BB2048_346 Depth=2
	s_or_b32 exec_lo, exec_lo, s16
	s_mov_b32 s16, exec_lo
	v_cmpx_gt_u32_e64 s5, v32
	s_cbranch_execnz .LBB2048_378
.LBB2048_353:                           ;   in Loop: Header=BB2048_346 Depth=2
	s_or_b32 exec_lo, exec_lo, s16
	s_mov_b32 s16, exec_lo
	v_cmpx_gt_u32_e64 s5, v35
	s_cbranch_execnz .LBB2048_379
.LBB2048_354:                           ;   in Loop: Header=BB2048_346 Depth=2
	s_or_b32 exec_lo, exec_lo, s16
	s_mov_b32 s16, exec_lo
	v_cmpx_gt_u32_e64 s5, v36
	s_cbranch_execnz .LBB2048_380
.LBB2048_355:                           ;   in Loop: Header=BB2048_346 Depth=2
	s_or_b32 exec_lo, exec_lo, s16
	s_mov_b32 s16, exec_lo
	v_cmpx_gt_u32_e64 s5, v37
	s_cbranch_execnz .LBB2048_381
.LBB2048_356:                           ;   in Loop: Header=BB2048_346 Depth=2
	s_or_b32 exec_lo, exec_lo, s16
	s_mov_b32 s16, exec_lo
	v_cmpx_gt_u32_e64 s5, v38
	s_cbranch_execz .LBB2048_358
.LBB2048_357:                           ;   in Loop: Header=BB2048_346 Depth=2
	global_load_ushort v3, v87, s[14:15]
.LBB2048_358:                           ;   in Loop: Header=BB2048_346 Depth=2
	s_or_b32 exec_lo, exec_lo, s16
	s_waitcnt vmcnt(0)
	v_mov_b32_e32 v12, v11
	v_mov_b32_e32 v13, v10
	;; [unrolled: 1-line block ×8, first 2 shown]
	s_mov_b32 s14, s5
.LBB2048_359:                           ;   in Loop: Header=BB2048_346 Depth=2
	s_waitcnt vmcnt(0)
	v_mov_b32_e32 v3, v19
	v_mov_b32_e32 v5, v18
	;; [unrolled: 1-line block ×8, first 2 shown]
	s_mov_b32 s15, exec_lo
	v_cmpx_gt_u32_e64 s14, v0
	s_cbranch_execnz .LBB2048_367
; %bb.360:                              ;   in Loop: Header=BB2048_346 Depth=2
	s_or_b32 exec_lo, exec_lo, s15
	s_mov_b32 s15, exec_lo
	v_cmpx_gt_u32_e64 s14, v30
	s_cbranch_execnz .LBB2048_368
.LBB2048_361:                           ;   in Loop: Header=BB2048_346 Depth=2
	s_or_b32 exec_lo, exec_lo, s15
	s_mov_b32 s15, exec_lo
	v_cmpx_gt_u32_e64 s14, v31
	s_cbranch_execnz .LBB2048_369
.LBB2048_362:                           ;   in Loop: Header=BB2048_346 Depth=2
	s_or_b32 exec_lo, exec_lo, s15
	s_mov_b32 s15, exec_lo
	v_cmpx_gt_u32_e64 s14, v32
	s_cbranch_execnz .LBB2048_370
.LBB2048_363:                           ;   in Loop: Header=BB2048_346 Depth=2
	s_or_b32 exec_lo, exec_lo, s15
	s_mov_b32 s15, exec_lo
	v_cmpx_gt_u32_e64 s14, v35
	s_cbranch_execnz .LBB2048_371
.LBB2048_364:                           ;   in Loop: Header=BB2048_346 Depth=2
	s_or_b32 exec_lo, exec_lo, s15
	s_mov_b32 s15, exec_lo
	v_cmpx_gt_u32_e64 s14, v36
	s_cbranch_execnz .LBB2048_372
.LBB2048_365:                           ;   in Loop: Header=BB2048_346 Depth=2
	s_or_b32 exec_lo, exec_lo, s15
	s_mov_b32 s15, exec_lo
	v_cmpx_gt_u32_e64 s14, v37
	s_cbranch_execnz .LBB2048_373
.LBB2048_366:                           ;   in Loop: Header=BB2048_346 Depth=2
	s_or_b32 exec_lo, exec_lo, s15
	v_cmp_gt_u32_e32 vcc_lo, s14, v38
	s_and_saveexec_b32 s14, vcc_lo
	s_cbranch_execz .LBB2048_345
	s_branch .LBB2048_374
.LBB2048_367:                           ;   in Loop: Header=BB2048_346 Depth=2
	v_cmp_lt_i16_e32 vcc_lo, -1, v11
	v_cndmask_b32_e64 v12, -1, 0xffff8000, vcc_lo
	v_xor_b32_e32 v12, v12, v11
	v_cmp_ne_u16_e32 vcc_lo, 0x7fff, v12
	v_cndmask_b32_e32 v12, 0xffff8000, v12, vcc_lo
	v_lshrrev_b32_sdwa v12, s49, v12 dst_sel:DWORD dst_unused:UNUSED_PAD src0_sel:DWORD src1_sel:WORD_0
	v_and_b32_e32 v12, s43, v12
	v_lshl_or_b32 v12, v12, 4, v40
	ds_add_u32 v12, v62
	s_or_b32 exec_lo, exec_lo, s15
	s_mov_b32 s15, exec_lo
	v_cmpx_gt_u32_e64 s14, v30
	s_cbranch_execz .LBB2048_361
.LBB2048_368:                           ;   in Loop: Header=BB2048_346 Depth=2
	v_cmp_lt_i16_e32 vcc_lo, -1, v10
	v_cndmask_b32_e64 v12, -1, 0xffff8000, vcc_lo
	v_xor_b32_e32 v12, v12, v10
	v_cmp_ne_u16_e32 vcc_lo, 0x7fff, v12
	v_cndmask_b32_e32 v12, 0xffff8000, v12, vcc_lo
	v_lshrrev_b32_sdwa v12, s49, v12 dst_sel:DWORD dst_unused:UNUSED_PAD src0_sel:DWORD src1_sel:WORD_0
	v_and_b32_e32 v12, s43, v12
	v_lshl_or_b32 v12, v12, 4, v40
	ds_add_u32 v12, v62
	s_or_b32 exec_lo, exec_lo, s15
	s_mov_b32 s15, exec_lo
	v_cmpx_gt_u32_e64 s14, v31
	s_cbranch_execz .LBB2048_362
.LBB2048_369:                           ;   in Loop: Header=BB2048_346 Depth=2
	v_cmp_lt_i16_e32 vcc_lo, -1, v9
	v_cndmask_b32_e64 v12, -1, 0xffff8000, vcc_lo
	v_xor_b32_e32 v12, v12, v9
	v_cmp_ne_u16_e32 vcc_lo, 0x7fff, v12
	v_cndmask_b32_e32 v12, 0xffff8000, v12, vcc_lo
	v_lshrrev_b32_sdwa v12, s49, v12 dst_sel:DWORD dst_unused:UNUSED_PAD src0_sel:DWORD src1_sel:WORD_0
	v_and_b32_e32 v12, s43, v12
	v_lshl_or_b32 v12, v12, 4, v40
	ds_add_u32 v12, v62
	s_or_b32 exec_lo, exec_lo, s15
	s_mov_b32 s15, exec_lo
	v_cmpx_gt_u32_e64 s14, v32
	s_cbranch_execz .LBB2048_363
.LBB2048_370:                           ;   in Loop: Header=BB2048_346 Depth=2
	v_cmp_lt_i16_e32 vcc_lo, -1, v8
	v_cndmask_b32_e64 v12, -1, 0xffff8000, vcc_lo
	v_xor_b32_e32 v12, v12, v8
	v_cmp_ne_u16_e32 vcc_lo, 0x7fff, v12
	v_cndmask_b32_e32 v12, 0xffff8000, v12, vcc_lo
	v_lshrrev_b32_sdwa v12, s49, v12 dst_sel:DWORD dst_unused:UNUSED_PAD src0_sel:DWORD src1_sel:WORD_0
	v_and_b32_e32 v12, s43, v12
	v_lshl_or_b32 v12, v12, 4, v40
	ds_add_u32 v12, v62
	s_or_b32 exec_lo, exec_lo, s15
	s_mov_b32 s15, exec_lo
	v_cmpx_gt_u32_e64 s14, v35
	s_cbranch_execz .LBB2048_364
.LBB2048_371:                           ;   in Loop: Header=BB2048_346 Depth=2
	v_cmp_lt_i16_e32 vcc_lo, -1, v7
	v_cndmask_b32_e64 v12, -1, 0xffff8000, vcc_lo
	v_xor_b32_e32 v12, v12, v7
	v_cmp_ne_u16_e32 vcc_lo, 0x7fff, v12
	v_cndmask_b32_e32 v12, 0xffff8000, v12, vcc_lo
	v_lshrrev_b32_sdwa v12, s49, v12 dst_sel:DWORD dst_unused:UNUSED_PAD src0_sel:DWORD src1_sel:WORD_0
	v_and_b32_e32 v12, s43, v12
	v_lshl_or_b32 v12, v12, 4, v40
	ds_add_u32 v12, v62
	s_or_b32 exec_lo, exec_lo, s15
	s_mov_b32 s15, exec_lo
	v_cmpx_gt_u32_e64 s14, v36
	s_cbranch_execz .LBB2048_365
.LBB2048_372:                           ;   in Loop: Header=BB2048_346 Depth=2
	v_cmp_lt_i16_e32 vcc_lo, -1, v6
	v_cndmask_b32_e64 v12, -1, 0xffff8000, vcc_lo
	v_xor_b32_e32 v12, v12, v6
	v_cmp_ne_u16_e32 vcc_lo, 0x7fff, v12
	v_cndmask_b32_e32 v12, 0xffff8000, v12, vcc_lo
	v_lshrrev_b32_sdwa v12, s49, v12 dst_sel:DWORD dst_unused:UNUSED_PAD src0_sel:DWORD src1_sel:WORD_0
	v_and_b32_e32 v12, s43, v12
	v_lshl_or_b32 v12, v12, 4, v40
	ds_add_u32 v12, v62
	s_or_b32 exec_lo, exec_lo, s15
	s_mov_b32 s15, exec_lo
	v_cmpx_gt_u32_e64 s14, v37
	s_cbranch_execz .LBB2048_366
.LBB2048_373:                           ;   in Loop: Header=BB2048_346 Depth=2
	v_cmp_lt_i16_e32 vcc_lo, -1, v5
	v_cndmask_b32_e64 v12, -1, 0xffff8000, vcc_lo
	v_xor_b32_e32 v12, v12, v5
	v_cmp_ne_u16_e32 vcc_lo, 0x7fff, v12
	v_cndmask_b32_e32 v12, 0xffff8000, v12, vcc_lo
	v_lshrrev_b32_sdwa v12, s49, v12 dst_sel:DWORD dst_unused:UNUSED_PAD src0_sel:DWORD src1_sel:WORD_0
	v_and_b32_e32 v12, s43, v12
	v_lshl_or_b32 v12, v12, 4, v40
	ds_add_u32 v12, v62
	s_or_b32 exec_lo, exec_lo, s15
	v_cmp_gt_u32_e32 vcc_lo, s14, v38
	s_and_saveexec_b32 s14, vcc_lo
	s_cbranch_execz .LBB2048_345
.LBB2048_374:                           ;   in Loop: Header=BB2048_346 Depth=2
	v_cmp_lt_i16_e32 vcc_lo, -1, v3
	v_cndmask_b32_e64 v12, -1, 0xffff8000, vcc_lo
	v_xor_b32_e32 v12, v12, v3
	v_cmp_ne_u16_e32 vcc_lo, 0x7fff, v12
	v_cndmask_b32_e32 v12, 0xffff8000, v12, vcc_lo
	v_lshrrev_b32_sdwa v12, s49, v12 dst_sel:DWORD dst_unused:UNUSED_PAD src0_sel:DWORD src1_sel:WORD_0
	v_and_b32_e32 v12, s43, v12
	v_lshl_or_b32 v12, v12, 4, v40
	ds_add_u32 v12, v62
	s_branch .LBB2048_345
.LBB2048_375:                           ;   in Loop: Header=BB2048_346 Depth=2
	global_load_ushort v11, v79, s[14:15]
	s_or_b32 exec_lo, exec_lo, s16
	s_mov_b32 s16, exec_lo
	v_cmpx_gt_u32_e64 s5, v30
	s_cbranch_execz .LBB2048_351
.LBB2048_376:                           ;   in Loop: Header=BB2048_346 Depth=2
	global_load_ushort v10, v79, s[14:15] offset:512
	s_or_b32 exec_lo, exec_lo, s16
	s_mov_b32 s16, exec_lo
	v_cmpx_gt_u32_e64 s5, v31
	s_cbranch_execz .LBB2048_352
.LBB2048_377:                           ;   in Loop: Header=BB2048_346 Depth=2
	global_load_ushort v9, v79, s[14:15] offset:1024
	s_or_b32 exec_lo, exec_lo, s16
	s_mov_b32 s16, exec_lo
	v_cmpx_gt_u32_e64 s5, v32
	s_cbranch_execz .LBB2048_353
.LBB2048_378:                           ;   in Loop: Header=BB2048_346 Depth=2
	global_load_ushort v8, v79, s[14:15] offset:1536
	s_or_b32 exec_lo, exec_lo, s16
	s_mov_b32 s16, exec_lo
	v_cmpx_gt_u32_e64 s5, v35
	s_cbranch_execz .LBB2048_354
.LBB2048_379:                           ;   in Loop: Header=BB2048_346 Depth=2
	global_load_ushort v7, v80, s[14:15]
	s_or_b32 exec_lo, exec_lo, s16
	s_mov_b32 s16, exec_lo
	v_cmpx_gt_u32_e64 s5, v36
	s_cbranch_execz .LBB2048_355
.LBB2048_380:                           ;   in Loop: Header=BB2048_346 Depth=2
	global_load_ushort v6, v81, s[14:15]
	s_or_b32 exec_lo, exec_lo, s16
	s_mov_b32 s16, exec_lo
	v_cmpx_gt_u32_e64 s5, v37
	s_cbranch_execz .LBB2048_356
.LBB2048_381:                           ;   in Loop: Header=BB2048_346 Depth=2
	global_load_ushort v5, v82, s[14:15]
	s_or_b32 exec_lo, exec_lo, s16
	s_mov_b32 s16, exec_lo
	v_cmpx_gt_u32_e64 s5, v38
	s_cbranch_execnz .LBB2048_357
	s_branch .LBB2048_358
.LBB2048_382:                           ;   in Loop: Header=BB2048_12 Depth=1
	v_mov_b32_e32 v3, 0
	s_waitcnt lgkmcnt(0)
	s_barrier
	buffer_gl0_inv
	s_and_saveexec_b32 s5, s7
	s_cbranch_execz .LBB2048_384
; %bb.383:                              ;   in Loop: Header=BB2048_12 Depth=1
	ds_read2_b64 v[5:8], v41 offset1:1
	s_waitcnt lgkmcnt(0)
	v_add_nc_u32_e32 v3, v6, v5
	v_add3_u32 v3, v3, v7, v8
.LBB2048_384:                           ;   in Loop: Header=BB2048_12 Depth=1
	s_or_b32 exec_lo, exec_lo, s5
	v_mov_b32_dpp v5, v3 row_shr:1 row_mask:0xf bank_mask:0xf
	v_cmp_eq_u32_e64 s5, 0, v63
	v_cmp_lt_u32_e64 s13, 1, v63
	v_cmp_lt_u32_e64 s14, 3, v63
	;; [unrolled: 1-line block ×3, first 2 shown]
	v_cmp_eq_u32_e64 s16, 0, v65
	v_cndmask_b32_e64 v5, v5, 0, s5
	v_add_nc_u32_e32 v3, v5, v3
	v_mov_b32_dpp v5, v3 row_shr:2 row_mask:0xf bank_mask:0xf
	v_cndmask_b32_e64 v5, 0, v5, s13
	v_add_nc_u32_e32 v3, v3, v5
	v_mov_b32_dpp v5, v3 row_shr:4 row_mask:0xf bank_mask:0xf
	;; [unrolled: 3-line block ×3, first 2 shown]
	v_cndmask_b32_e64 v5, 0, v5, s15
	v_add_nc_u32_e32 v3, v3, v5
	ds_swizzle_b32 v5, v3 offset:swizzle(BROADCAST,32,15)
	s_waitcnt lgkmcnt(0)
	v_and_b32_e32 v5, v64, v5
	v_add_nc_u32_e32 v3, v3, v5
	s_and_saveexec_b32 s17, s8
; %bb.385:                              ;   in Loop: Header=BB2048_12 Depth=1
	ds_write_b32 v42, v3
; %bb.386:                              ;   in Loop: Header=BB2048_12 Depth=1
	s_or_b32 exec_lo, exec_lo, s17
	s_waitcnt lgkmcnt(0)
	s_barrier
	buffer_gl0_inv
	s_and_saveexec_b32 s17, s9
	s_cbranch_execz .LBB2048_388
; %bb.387:                              ;   in Loop: Header=BB2048_12 Depth=1
	ds_read_b32 v5, v43
	v_cmp_ne_u32_e32 vcc_lo, 0, v67
	s_waitcnt lgkmcnt(0)
	v_mov_b32_dpp v6, v5 row_shr:1 row_mask:0xf bank_mask:0xf
	v_cndmask_b32_e32 v6, 0, v6, vcc_lo
	v_cmp_lt_u32_e32 vcc_lo, 1, v67
	v_add_nc_u32_e32 v5, v6, v5
	v_mov_b32_dpp v6, v5 row_shr:2 row_mask:0xf bank_mask:0xf
	v_cndmask_b32_e32 v6, 0, v6, vcc_lo
	v_cmp_lt_u32_e32 vcc_lo, 3, v67
	v_add_nc_u32_e32 v5, v5, v6
	v_mov_b32_dpp v6, v5 row_shr:4 row_mask:0xf bank_mask:0xf
	v_cndmask_b32_e32 v6, 0, v6, vcc_lo
	v_add_nc_u32_e32 v5, v5, v6
	ds_write_b32 v43, v5
.LBB2048_388:                           ;   in Loop: Header=BB2048_12 Depth=1
	s_or_b32 exec_lo, exec_lo, s17
	v_mov_b32_e32 v5, 0
	s_waitcnt lgkmcnt(0)
	s_barrier
	buffer_gl0_inv
	s_and_saveexec_b32 s17, s10
; %bb.389:                              ;   in Loop: Header=BB2048_12 Depth=1
	ds_read_b32 v5, v45
; %bb.390:                              ;   in Loop: Header=BB2048_12 Depth=1
	s_or_b32 exec_lo, exec_lo, s17
	v_cmp_gt_i32_e32 vcc_lo, 0, v68
	s_waitcnt lgkmcnt(0)
	v_add_nc_u32_e32 v3, v5, v3
	s_barrier
	buffer_gl0_inv
	v_cndmask_b32_e32 v6, v68, v59, vcc_lo
	v_lshlrev_b32_e32 v91, 2, v6
	ds_bpermute_b32 v3, v91, v3
	s_and_saveexec_b32 s17, s7
	s_cbranch_execz .LBB2048_392
; %bb.391:                              ;   in Loop: Header=BB2048_12 Depth=1
	s_waitcnt lgkmcnt(0)
	v_cndmask_b32_e64 v3, v3, v5, s12
	v_add_nc_u32_e32 v3, s29, v3
	ds_write_b32 v29, v3
.LBB2048_392:                           ;   in Loop: Header=BB2048_12 Depth=1
	s_or_b32 exec_lo, exec_lo, s17
	s_load_dwordx2 s[18:19], s[30:31], 0x0
	v_add_co_u32 v92, vcc_lo, v57, v69
	v_add_co_ci_u32_e64 v93, null, 0, v58, vcc_lo
	v_add_co_u32 v94, vcc_lo, v60, v77
	v_add_co_ci_u32_e64 v95, null, 0, v61, vcc_lo
	s_mov_b32 s48, s52
	s_mov_b32 s34, s29
                                        ; implicit-def: $vgpr7_vgpr8
                                        ; implicit-def: $vgpr9_vgpr10
                                        ; implicit-def: $vgpr11_vgpr12
                                        ; implicit-def: $vgpr13_vgpr14
                                        ; implicit-def: $vgpr15_vgpr16
                                        ; implicit-def: $vgpr17_vgpr18
                                        ; implicit-def: $vgpr19_vgpr20
                                        ; implicit-def: $vgpr97
                                        ; implicit-def: $vgpr98
                                        ; implicit-def: $vgpr99
                                        ; implicit-def: $vgpr100
                                        ; implicit-def: $vgpr101
                                        ; implicit-def: $vgpr102
                                        ; implicit-def: $vgpr103
                                        ; implicit-def: $vgpr104
	s_waitcnt lgkmcnt(0)
	s_cmp_lt_u32 s27, s19
	s_cselect_b32 s17, 14, 20
	s_add_u32 s20, s30, s17
	s_addc_u32 s21, s31, 0
	s_cmp_lt_u32 s6, s18
	global_load_ushort v3, v4, s[20:21]
	s_cselect_b32 s17, 12, 18
	s_add_u32 s18, s30, s17
	s_addc_u32 s19, s31, 0
	v_cmp_eq_u32_e64 s17, 0, v67
	global_load_ushort v5, v4, s[18:19]
	v_cmp_lt_u32_e64 s18, 1, v67
	v_cmp_lt_u32_e64 s19, 3, v67
	s_waitcnt vmcnt(1)
	v_mad_u32_u24 v3, v2, v3, v1
	s_waitcnt vmcnt(0)
	v_mad_u64_u32 v[5:6], null, v3, v5, v[0:1]
	v_lshrrev_b32_e32 v3, 3, v5
                                        ; implicit-def: $vgpr5_vgpr6
	v_and_b32_e32 v96, 0x1ffffffc, v3
	s_branch .LBB2048_394
.LBB2048_393:                           ;   in Loop: Header=BB2048_394 Depth=2
	s_or_b32 exec_lo, exec_lo, s20
	s_addk_i32 s48, 0xf800
	s_cmp_lt_u32 s53, s33
	s_mov_b32 s34, s53
	s_cbranch_scc0 .LBB2048_506
.LBB2048_394:                           ;   Parent Loop BB2048_12 Depth=1
                                        ; =>  This Inner Loop Header: Depth=2
	s_add_i32 s53, s34, 0x800
	s_cmp_gt_u32 s53, s33
	s_cbranch_scc1 .LBB2048_396
; %bb.395:                              ;   in Loop: Header=BB2048_394 Depth=2
	s_lshl_b64 s[20:21], s[34:35], 1
	v_add_co_u32 v21, vcc_lo, v94, s20
	v_add_co_ci_u32_e64 v22, null, s21, v95, vcc_lo
	s_mov_b32 s20, -1
	s_clause 0x6
	global_load_ushort v3, v[21:22], off
	global_load_ushort v28, v[21:22], off offset:64
	global_load_ushort v27, v[21:22], off offset:128
	;; [unrolled: 1-line block ×6, first 2 shown]
	s_movk_i32 s21, 0x800
	s_cbranch_execz .LBB2048_397
	s_branch .LBB2048_412
.LBB2048_396:                           ;   in Loop: Header=BB2048_394 Depth=2
	s_mov_b32 s20, 0
                                        ; implicit-def: $vgpr3
                                        ; implicit-def: $vgpr28
                                        ; implicit-def: $vgpr27
                                        ; implicit-def: $vgpr26
                                        ; implicit-def: $vgpr25
                                        ; implicit-def: $vgpr24
                                        ; implicit-def: $vgpr23
	s_movk_i32 s21, 0x800
.LBB2048_397:                           ;   in Loop: Header=BB2048_394 Depth=2
	s_lshl_b64 s[20:21], s[34:35], 1
	s_waitcnt vmcnt(5)
	v_mov_b32_e32 v28, 0x7fff
	v_add_co_u32 v21, vcc_lo, v94, s20
	v_add_co_ci_u32_e64 v22, null, s21, v95, vcc_lo
	v_mov_b32_e32 v3, 0x7fff
	s_mov_b32 s20, exec_lo
	v_cmpx_gt_u32_e64 s48, v66
	s_cbranch_execz .LBB2048_399
; %bb.398:                              ;   in Loop: Header=BB2048_394 Depth=2
	global_load_ushort v3, v[21:22], off
.LBB2048_399:                           ;   in Loop: Header=BB2048_394 Depth=2
	s_or_b32 exec_lo, exec_lo, s20
	s_mov_b32 s20, exec_lo
	v_cmpx_gt_u32_e64 s48, v70
	s_cbranch_execz .LBB2048_401
; %bb.400:                              ;   in Loop: Header=BB2048_394 Depth=2
	global_load_ushort v28, v[21:22], off offset:64
.LBB2048_401:                           ;   in Loop: Header=BB2048_394 Depth=2
	s_or_b32 exec_lo, exec_lo, s20
	s_waitcnt vmcnt(3)
	v_mov_b32_e32 v26, 0x7fff
	v_mov_b32_e32 v27, 0x7fff
	s_mov_b32 s20, exec_lo
	v_cmpx_gt_u32_e64 s48, v71
	s_cbranch_execz .LBB2048_403
; %bb.402:                              ;   in Loop: Header=BB2048_394 Depth=2
	global_load_ushort v27, v[21:22], off offset:128
.LBB2048_403:                           ;   in Loop: Header=BB2048_394 Depth=2
	s_or_b32 exec_lo, exec_lo, s20
	s_mov_b32 s20, exec_lo
	v_cmpx_gt_u32_e64 s48, v72
	s_cbranch_execz .LBB2048_405
; %bb.404:                              ;   in Loop: Header=BB2048_394 Depth=2
	global_load_ushort v26, v[21:22], off offset:192
.LBB2048_405:                           ;   in Loop: Header=BB2048_394 Depth=2
	s_or_b32 exec_lo, exec_lo, s20
	s_waitcnt vmcnt(1)
	v_mov_b32_e32 v24, 0x7fff
	v_mov_b32_e32 v25, 0x7fff
	s_mov_b32 s20, exec_lo
	v_cmpx_gt_u32_e64 s48, v73
	s_cbranch_execz .LBB2048_407
; %bb.406:                              ;   in Loop: Header=BB2048_394 Depth=2
	global_load_ushort v25, v[21:22], off offset:256
.LBB2048_407:                           ;   in Loop: Header=BB2048_394 Depth=2
	s_or_b32 exec_lo, exec_lo, s20
	s_mov_b32 s20, exec_lo
	v_cmpx_gt_u32_e64 s48, v74
	s_cbranch_execz .LBB2048_409
; %bb.408:                              ;   in Loop: Header=BB2048_394 Depth=2
	global_load_ushort v24, v[21:22], off offset:320
.LBB2048_409:                           ;   in Loop: Header=BB2048_394 Depth=2
	s_or_b32 exec_lo, exec_lo, s20
	s_waitcnt vmcnt(0)
	v_mov_b32_e32 v23, 0x7fff
	s_mov_b32 s20, exec_lo
	v_cmpx_gt_u32_e64 s48, v75
	s_cbranch_execz .LBB2048_411
; %bb.410:                              ;   in Loop: Header=BB2048_394 Depth=2
	global_load_ushort v23, v[21:22], off offset:384
.LBB2048_411:                           ;   in Loop: Header=BB2048_394 Depth=2
	s_or_b32 exec_lo, exec_lo, s20
	v_cmp_gt_u32_e64 s20, s48, v76
	s_sub_i32 s21, s33, s34
.LBB2048_412:                           ;   in Loop: Header=BB2048_394 Depth=2
	v_mov_b32_e32 v21, 0x7fff
	v_mov_b32_e32 v105, s48
	s_and_saveexec_b32 s22, s20
	s_cbranch_execz .LBB2048_414
; %bb.413:                              ;   in Loop: Header=BB2048_394 Depth=2
	s_lshl_b64 s[24:25], s[34:35], 1
	v_mov_b32_e32 v105, s21
	v_add_co_u32 v21, vcc_lo, v94, s24
	v_add_co_ci_u32_e64 v22, null, s25, v95, vcc_lo
	global_load_ushort v21, v[21:22], off offset:448
.LBB2048_414:                           ;   in Loop: Header=BB2048_394 Depth=2
	s_or_b32 exec_lo, exec_lo, s22
	s_waitcnt vmcnt(6)
	v_cmp_lt_i16_e32 vcc_lo, -1, v3
	ds_write2_b32 v78, v4, v4 offset1:1
	ds_write2_b32 v88, v4, v4 offset1:1
	;; [unrolled: 1-line block ×4, first 2 shown]
	ds_write_b32 v44, v4 offset:1088
	s_waitcnt vmcnt(0) lgkmcnt(0)
	s_barrier
	v_cndmask_b32_e64 v22, -1, 0xffff8000, vcc_lo
	buffer_gl0_inv
	; wave barrier
	v_xor_b32_e32 v3, v22, v3
	v_cmp_ne_u16_e32 vcc_lo, 0x7fff, v3
	v_cndmask_b32_e32 v22, 0xffff8000, v3, vcc_lo
	v_lshrrev_b32_sdwa v22, s49, v22 dst_sel:DWORD dst_unused:UNUSED_PAD src0_sel:DWORD src1_sel:WORD_0
	v_and_b32_e32 v107, s43, v22
	v_and_b32_e32 v22, 1, v107
	v_lshlrev_b32_e32 v106, 30, v107
	v_lshlrev_b32_e32 v108, 29, v107
	v_lshlrev_b32_e32 v109, 28, v107
	v_lshlrev_b32_e32 v111, 27, v107
	v_add_co_u32 v22, s20, v22, -1
	v_cndmask_b32_e64 v110, 0, 1, s20
	v_not_b32_e32 v114, v106
	v_cmp_gt_i32_e64 s20, 0, v106
	v_not_b32_e32 v106, v108
	v_lshlrev_b32_e32 v112, 26, v107
	v_cmp_ne_u32_e32 vcc_lo, 0, v110
	v_ashrrev_i32_e32 v114, 31, v114
	v_lshlrev_b32_e32 v113, 25, v107
	v_ashrrev_i32_e32 v106, 31, v106
	v_lshlrev_b32_e32 v110, 24, v107
	v_xor_b32_e32 v22, vcc_lo, v22
	v_cmp_gt_i32_e32 vcc_lo, 0, v108
	v_not_b32_e32 v108, v109
	v_xor_b32_e32 v114, s20, v114
	v_cmp_gt_i32_e64 s20, 0, v109
	v_and_b32_e32 v22, exec_lo, v22
	v_not_b32_e32 v109, v111
	v_ashrrev_i32_e32 v108, 31, v108
	v_xor_b32_e32 v106, vcc_lo, v106
	v_cmp_gt_i32_e32 vcc_lo, 0, v111
	v_and_b32_e32 v22, v22, v114
	v_not_b32_e32 v111, v112
	v_ashrrev_i32_e32 v109, 31, v109
	v_xor_b32_e32 v108, s20, v108
	v_cmp_gt_i32_e64 s20, 0, v112
	v_and_b32_e32 v22, v22, v106
	v_not_b32_e32 v106, v113
	v_ashrrev_i32_e32 v111, 31, v111
	v_xor_b32_e32 v109, vcc_lo, v109
	v_cmp_gt_i32_e32 vcc_lo, 0, v113
	v_and_b32_e32 v22, v22, v108
	v_not_b32_e32 v108, v110
	v_ashrrev_i32_e32 v106, 31, v106
	v_xor_b32_e32 v111, s20, v111
	v_cmp_gt_i32_e64 s20, 0, v110
	v_and_b32_e32 v22, v22, v109
	v_ashrrev_i32_e32 v108, 31, v108
	v_xor_b32_e32 v106, vcc_lo, v106
	v_mul_u32_u24_e32 v107, 36, v107
	v_and_b32_e32 v22, v22, v111
	v_xor_b32_e32 v108, s20, v108
	v_and_b32_e32 v22, v22, v106
	v_and_b32_e32 v22, v22, v108
	v_add_nc_u32_e32 v108, v96, v107
	v_mbcnt_lo_u32_b32 v106, v22, 0
	v_cmp_ne_u32_e64 s20, 0, v22
	v_cmp_eq_u32_e32 vcc_lo, 0, v106
	s_and_b32 s21, s20, vcc_lo
	s_and_saveexec_b32 s20, s21
; %bb.415:                              ;   in Loop: Header=BB2048_394 Depth=2
	v_bcnt_u32_b32 v22, v22, 0
	ds_write_b32 v108, v22 offset:1056
; %bb.416:                              ;   in Loop: Header=BB2048_394 Depth=2
	s_or_b32 exec_lo, exec_lo, s20
	v_cmp_lt_i16_e32 vcc_lo, -1, v28
	; wave barrier
	v_cndmask_b32_e64 v22, -1, 0xffff8000, vcc_lo
	v_xor_b32_e32 v107, v22, v28
	v_cmp_ne_u16_e32 vcc_lo, 0x7fff, v107
	v_cndmask_b32_e32 v22, 0xffff8000, v107, vcc_lo
	v_lshrrev_b32_sdwa v22, s49, v22 dst_sel:DWORD dst_unused:UNUSED_PAD src0_sel:DWORD src1_sel:WORD_0
	v_and_b32_e32 v28, s43, v22
	v_and_b32_e32 v22, 1, v28
	v_lshlrev_b32_e32 v109, 30, v28
	v_lshlrev_b32_e32 v110, 29, v28
	;; [unrolled: 1-line block ×4, first 2 shown]
	v_add_co_u32 v22, s20, v22, -1
	v_cndmask_b32_e64 v112, 0, 1, s20
	v_not_b32_e32 v116, v109
	v_cmp_gt_i32_e64 s20, 0, v109
	v_not_b32_e32 v109, v110
	v_lshlrev_b32_e32 v114, 26, v28
	v_cmp_ne_u32_e32 vcc_lo, 0, v112
	v_ashrrev_i32_e32 v116, 31, v116
	v_lshlrev_b32_e32 v115, 25, v28
	v_ashrrev_i32_e32 v109, 31, v109
	v_lshlrev_b32_e32 v112, 24, v28
	v_xor_b32_e32 v22, vcc_lo, v22
	v_cmp_gt_i32_e32 vcc_lo, 0, v110
	v_not_b32_e32 v110, v111
	v_xor_b32_e32 v116, s20, v116
	v_cmp_gt_i32_e64 s20, 0, v111
	v_and_b32_e32 v22, exec_lo, v22
	v_not_b32_e32 v111, v113
	v_ashrrev_i32_e32 v110, 31, v110
	v_xor_b32_e32 v109, vcc_lo, v109
	v_cmp_gt_i32_e32 vcc_lo, 0, v113
	v_and_b32_e32 v22, v22, v116
	v_not_b32_e32 v113, v114
	v_ashrrev_i32_e32 v111, 31, v111
	v_xor_b32_e32 v110, s20, v110
	v_cmp_gt_i32_e64 s20, 0, v114
	v_and_b32_e32 v22, v22, v109
	v_not_b32_e32 v109, v115
	v_ashrrev_i32_e32 v113, 31, v113
	v_xor_b32_e32 v111, vcc_lo, v111
	v_cmp_gt_i32_e32 vcc_lo, 0, v115
	v_and_b32_e32 v22, v22, v110
	v_not_b32_e32 v110, v112
	v_ashrrev_i32_e32 v109, 31, v109
	v_xor_b32_e32 v113, s20, v113
	v_cmp_gt_i32_e64 s20, 0, v112
	v_and_b32_e32 v22, v22, v111
	v_ashrrev_i32_e32 v110, 31, v110
	v_xor_b32_e32 v109, vcc_lo, v109
	v_mad_u32_u24 v111, v28, 36, v96
	v_mul_u32_u24_e32 v28, 36, v28
	v_and_b32_e32 v22, v22, v113
	v_xor_b32_e32 v110, s20, v110
	v_add_nc_u32_e32 v112, v96, v28
	v_and_b32_e32 v22, v22, v109
	ds_read_b32 v109, v111 offset:1056
	; wave barrier
	v_and_b32_e32 v22, v22, v110
	v_mbcnt_lo_u32_b32 v110, v22, 0
	v_cmp_ne_u32_e64 s20, 0, v22
	v_cmp_eq_u32_e32 vcc_lo, 0, v110
	s_and_b32 s21, s20, vcc_lo
	s_and_saveexec_b32 s20, s21
	s_cbranch_execz .LBB2048_418
; %bb.417:                              ;   in Loop: Header=BB2048_394 Depth=2
	s_waitcnt lgkmcnt(0)
	v_bcnt_u32_b32 v22, v22, v109
	ds_write_b32 v112, v22 offset:1056
.LBB2048_418:                           ;   in Loop: Header=BB2048_394 Depth=2
	s_or_b32 exec_lo, exec_lo, s20
	v_cmp_lt_i16_e32 vcc_lo, -1, v27
	; wave barrier
	v_cndmask_b32_e64 v22, -1, 0xffff8000, vcc_lo
	v_xor_b32_e32 v111, v22, v27
	v_cmp_ne_u16_e32 vcc_lo, 0x7fff, v111
	v_cndmask_b32_e32 v22, 0xffff8000, v111, vcc_lo
	v_lshrrev_b32_sdwa v22, s49, v22 dst_sel:DWORD dst_unused:UNUSED_PAD src0_sel:DWORD src1_sel:WORD_0
	v_and_b32_e32 v27, s43, v22
	v_and_b32_e32 v22, 1, v27
	v_lshlrev_b32_e32 v28, 30, v27
	v_lshlrev_b32_e32 v113, 29, v27
	;; [unrolled: 1-line block ×4, first 2 shown]
	v_add_co_u32 v22, s20, v22, -1
	v_cndmask_b32_e64 v115, 0, 1, s20
	v_not_b32_e32 v119, v28
	v_cmp_gt_i32_e64 s20, 0, v28
	v_not_b32_e32 v28, v113
	v_lshlrev_b32_e32 v117, 26, v27
	v_cmp_ne_u32_e32 vcc_lo, 0, v115
	v_ashrrev_i32_e32 v119, 31, v119
	v_lshlrev_b32_e32 v118, 25, v27
	v_ashrrev_i32_e32 v28, 31, v28
	v_lshlrev_b32_e32 v115, 24, v27
	v_xor_b32_e32 v22, vcc_lo, v22
	v_cmp_gt_i32_e32 vcc_lo, 0, v113
	v_not_b32_e32 v113, v114
	v_xor_b32_e32 v119, s20, v119
	v_cmp_gt_i32_e64 s20, 0, v114
	v_and_b32_e32 v22, exec_lo, v22
	v_not_b32_e32 v114, v116
	v_ashrrev_i32_e32 v113, 31, v113
	v_xor_b32_e32 v28, vcc_lo, v28
	v_cmp_gt_i32_e32 vcc_lo, 0, v116
	v_and_b32_e32 v22, v22, v119
	v_not_b32_e32 v116, v117
	v_ashrrev_i32_e32 v114, 31, v114
	v_xor_b32_e32 v113, s20, v113
	v_cmp_gt_i32_e64 s20, 0, v117
	v_and_b32_e32 v22, v22, v28
	v_not_b32_e32 v28, v118
	v_ashrrev_i32_e32 v116, 31, v116
	v_xor_b32_e32 v114, vcc_lo, v114
	v_cmp_gt_i32_e32 vcc_lo, 0, v118
	v_and_b32_e32 v22, v22, v113
	v_not_b32_e32 v113, v115
	v_ashrrev_i32_e32 v28, 31, v28
	v_xor_b32_e32 v116, s20, v116
	v_cmp_gt_i32_e64 s20, 0, v115
	v_and_b32_e32 v22, v22, v114
	v_ashrrev_i32_e32 v113, 31, v113
	v_xor_b32_e32 v28, vcc_lo, v28
	v_mad_u32_u24 v114, v27, 36, v96
	v_mul_u32_u24_e32 v27, 36, v27
	v_and_b32_e32 v22, v22, v116
	v_xor_b32_e32 v115, s20, v113
	ds_read_b32 v113, v114 offset:1056
	v_add_nc_u32_e32 v116, v96, v27
	v_and_b32_e32 v22, v22, v28
	; wave barrier
	v_and_b32_e32 v22, v22, v115
	v_mbcnt_lo_u32_b32 v115, v22, 0
	v_cmp_ne_u32_e64 s20, 0, v22
	v_cmp_eq_u32_e32 vcc_lo, 0, v115
	s_and_b32 s21, s20, vcc_lo
	s_and_saveexec_b32 s20, s21
	s_cbranch_execz .LBB2048_420
; %bb.419:                              ;   in Loop: Header=BB2048_394 Depth=2
	s_waitcnt lgkmcnt(0)
	v_bcnt_u32_b32 v22, v22, v113
	ds_write_b32 v116, v22 offset:1056
.LBB2048_420:                           ;   in Loop: Header=BB2048_394 Depth=2
	s_or_b32 exec_lo, exec_lo, s20
	v_cmp_lt_i16_e32 vcc_lo, -1, v26
	; wave barrier
	v_cndmask_b32_e64 v22, -1, 0xffff8000, vcc_lo
	v_xor_b32_e32 v114, v22, v26
	v_cmp_ne_u16_e32 vcc_lo, 0x7fff, v114
	v_cndmask_b32_e32 v22, 0xffff8000, v114, vcc_lo
	v_lshrrev_b32_sdwa v22, s49, v22 dst_sel:DWORD dst_unused:UNUSED_PAD src0_sel:DWORD src1_sel:WORD_0
	v_and_b32_e32 v26, s43, v22
	v_and_b32_e32 v22, 1, v26
	v_lshlrev_b32_e32 v27, 30, v26
	v_lshlrev_b32_e32 v28, 29, v26
	;; [unrolled: 1-line block ×4, first 2 shown]
	v_add_co_u32 v22, s20, v22, -1
	v_cndmask_b32_e64 v118, 0, 1, s20
	v_not_b32_e32 v122, v27
	v_cmp_gt_i32_e64 s20, 0, v27
	v_not_b32_e32 v27, v28
	v_lshlrev_b32_e32 v120, 26, v26
	v_cmp_ne_u32_e32 vcc_lo, 0, v118
	v_ashrrev_i32_e32 v122, 31, v122
	v_lshlrev_b32_e32 v121, 25, v26
	v_ashrrev_i32_e32 v27, 31, v27
	v_lshlrev_b32_e32 v118, 24, v26
	v_xor_b32_e32 v22, vcc_lo, v22
	v_cmp_gt_i32_e32 vcc_lo, 0, v28
	v_not_b32_e32 v28, v117
	v_xor_b32_e32 v122, s20, v122
	v_cmp_gt_i32_e64 s20, 0, v117
	v_and_b32_e32 v22, exec_lo, v22
	v_not_b32_e32 v117, v119
	v_ashrrev_i32_e32 v28, 31, v28
	v_xor_b32_e32 v27, vcc_lo, v27
	v_cmp_gt_i32_e32 vcc_lo, 0, v119
	v_and_b32_e32 v22, v22, v122
	v_not_b32_e32 v119, v120
	v_ashrrev_i32_e32 v117, 31, v117
	v_xor_b32_e32 v28, s20, v28
	v_cmp_gt_i32_e64 s20, 0, v120
	v_and_b32_e32 v22, v22, v27
	v_not_b32_e32 v27, v121
	v_ashrrev_i32_e32 v119, 31, v119
	v_xor_b32_e32 v117, vcc_lo, v117
	v_cmp_gt_i32_e32 vcc_lo, 0, v121
	v_and_b32_e32 v22, v22, v28
	v_not_b32_e32 v28, v118
	v_ashrrev_i32_e32 v27, 31, v27
	v_xor_b32_e32 v119, s20, v119
	v_cmp_gt_i32_e64 s20, 0, v118
	v_and_b32_e32 v22, v22, v117
	v_ashrrev_i32_e32 v28, 31, v28
	v_xor_b32_e32 v27, vcc_lo, v27
	v_mad_u32_u24 v117, v26, 36, v96
	v_mul_u32_u24_e32 v26, 36, v26
	v_and_b32_e32 v22, v22, v119
	v_xor_b32_e32 v28, s20, v28
	ds_read_b32 v117, v117 offset:1056
	v_add_nc_u32_e32 v120, v96, v26
	v_and_b32_e32 v22, v22, v27
	; wave barrier
	v_and_b32_e32 v22, v22, v28
	v_mbcnt_lo_u32_b32 v119, v22, 0
	v_cmp_ne_u32_e64 s20, 0, v22
	v_cmp_eq_u32_e32 vcc_lo, 0, v119
	s_and_b32 s21, s20, vcc_lo
	s_and_saveexec_b32 s20, s21
	s_cbranch_execz .LBB2048_422
; %bb.421:                              ;   in Loop: Header=BB2048_394 Depth=2
	s_waitcnt lgkmcnt(0)
	v_bcnt_u32_b32 v22, v22, v117
	ds_write_b32 v120, v22 offset:1056
.LBB2048_422:                           ;   in Loop: Header=BB2048_394 Depth=2
	s_or_b32 exec_lo, exec_lo, s20
	v_cmp_lt_i16_e32 vcc_lo, -1, v25
	; wave barrier
	v_cndmask_b32_e64 v22, -1, 0xffff8000, vcc_lo
	v_xor_b32_e32 v118, v22, v25
	v_cmp_ne_u16_e32 vcc_lo, 0x7fff, v118
	v_cndmask_b32_e32 v22, 0xffff8000, v118, vcc_lo
	v_lshrrev_b32_sdwa v22, s49, v22 dst_sel:DWORD dst_unused:UNUSED_PAD src0_sel:DWORD src1_sel:WORD_0
	v_and_b32_e32 v25, s43, v22
	v_and_b32_e32 v22, 1, v25
	v_lshlrev_b32_e32 v26, 30, v25
	v_lshlrev_b32_e32 v27, 29, v25
	;; [unrolled: 1-line block ×4, first 2 shown]
	v_add_co_u32 v22, s20, v22, -1
	v_cndmask_b32_e64 v121, 0, 1, s20
	v_not_b32_e32 v125, v26
	v_cmp_gt_i32_e64 s20, 0, v26
	v_not_b32_e32 v26, v27
	v_lshlrev_b32_e32 v123, 26, v25
	v_cmp_ne_u32_e32 vcc_lo, 0, v121
	v_ashrrev_i32_e32 v125, 31, v125
	v_lshlrev_b32_e32 v124, 25, v25
	v_ashrrev_i32_e32 v26, 31, v26
	v_lshlrev_b32_e32 v121, 24, v25
	v_xor_b32_e32 v22, vcc_lo, v22
	v_cmp_gt_i32_e32 vcc_lo, 0, v27
	v_not_b32_e32 v27, v28
	v_xor_b32_e32 v125, s20, v125
	v_cmp_gt_i32_e64 s20, 0, v28
	v_and_b32_e32 v22, exec_lo, v22
	v_not_b32_e32 v28, v122
	v_ashrrev_i32_e32 v27, 31, v27
	v_xor_b32_e32 v26, vcc_lo, v26
	v_cmp_gt_i32_e32 vcc_lo, 0, v122
	v_and_b32_e32 v22, v22, v125
	v_not_b32_e32 v122, v123
	v_ashrrev_i32_e32 v28, 31, v28
	v_xor_b32_e32 v27, s20, v27
	v_cmp_gt_i32_e64 s20, 0, v123
	v_and_b32_e32 v22, v22, v26
	v_not_b32_e32 v26, v124
	v_ashrrev_i32_e32 v122, 31, v122
	v_xor_b32_e32 v28, vcc_lo, v28
	v_cmp_gt_i32_e32 vcc_lo, 0, v124
	v_and_b32_e32 v22, v22, v27
	v_not_b32_e32 v27, v121
	v_ashrrev_i32_e32 v26, 31, v26
	v_xor_b32_e32 v122, s20, v122
	v_cmp_gt_i32_e64 s20, 0, v121
	v_and_b32_e32 v22, v22, v28
	v_ashrrev_i32_e32 v27, 31, v27
	v_xor_b32_e32 v26, vcc_lo, v26
	v_mad_u32_u24 v28, v25, 36, v96
	v_mul_u32_u24_e32 v25, 36, v25
	v_and_b32_e32 v22, v22, v122
	v_xor_b32_e32 v27, s20, v27
	ds_read_b32 v121, v28 offset:1056
	v_add_nc_u32_e32 v124, v96, v25
	v_and_b32_e32 v22, v22, v26
	; wave barrier
	v_and_b32_e32 v22, v22, v27
	v_mbcnt_lo_u32_b32 v123, v22, 0
	v_cmp_ne_u32_e64 s20, 0, v22
	v_cmp_eq_u32_e32 vcc_lo, 0, v123
	s_and_b32 s21, s20, vcc_lo
	s_and_saveexec_b32 s20, s21
	s_cbranch_execz .LBB2048_424
; %bb.423:                              ;   in Loop: Header=BB2048_394 Depth=2
	s_waitcnt lgkmcnt(0)
	v_bcnt_u32_b32 v22, v22, v121
	ds_write_b32 v124, v22 offset:1056
.LBB2048_424:                           ;   in Loop: Header=BB2048_394 Depth=2
	s_or_b32 exec_lo, exec_lo, s20
	v_cmp_lt_i16_e32 vcc_lo, -1, v24
	; wave barrier
	v_cndmask_b32_e64 v22, -1, 0xffff8000, vcc_lo
	v_xor_b32_e32 v122, v22, v24
	v_cmp_ne_u16_e32 vcc_lo, 0x7fff, v122
	v_cndmask_b32_e32 v22, 0xffff8000, v122, vcc_lo
	v_lshrrev_b32_sdwa v22, s49, v22 dst_sel:DWORD dst_unused:UNUSED_PAD src0_sel:DWORD src1_sel:WORD_0
	v_and_b32_e32 v24, s43, v22
	v_and_b32_e32 v22, 1, v24
	v_lshlrev_b32_e32 v25, 30, v24
	v_lshlrev_b32_e32 v26, 29, v24
	;; [unrolled: 1-line block ×4, first 2 shown]
	v_add_co_u32 v22, s20, v22, -1
	v_cndmask_b32_e64 v28, 0, 1, s20
	v_not_b32_e32 v128, v25
	v_cmp_gt_i32_e64 s20, 0, v25
	v_not_b32_e32 v25, v26
	v_lshlrev_b32_e32 v126, 26, v24
	v_cmp_ne_u32_e32 vcc_lo, 0, v28
	v_ashrrev_i32_e32 v128, 31, v128
	v_lshlrev_b32_e32 v127, 25, v24
	v_ashrrev_i32_e32 v25, 31, v25
	v_lshlrev_b32_e32 v28, 24, v24
	v_xor_b32_e32 v22, vcc_lo, v22
	v_cmp_gt_i32_e32 vcc_lo, 0, v26
	v_not_b32_e32 v26, v27
	v_xor_b32_e32 v128, s20, v128
	v_cmp_gt_i32_e64 s20, 0, v27
	v_and_b32_e32 v22, exec_lo, v22
	v_not_b32_e32 v27, v125
	v_ashrrev_i32_e32 v26, 31, v26
	v_xor_b32_e32 v25, vcc_lo, v25
	v_cmp_gt_i32_e32 vcc_lo, 0, v125
	v_and_b32_e32 v22, v22, v128
	v_not_b32_e32 v125, v126
	v_ashrrev_i32_e32 v27, 31, v27
	v_xor_b32_e32 v26, s20, v26
	v_cmp_gt_i32_e64 s20, 0, v126
	v_and_b32_e32 v22, v22, v25
	v_not_b32_e32 v25, v127
	v_ashrrev_i32_e32 v125, 31, v125
	v_xor_b32_e32 v27, vcc_lo, v27
	v_cmp_gt_i32_e32 vcc_lo, 0, v127
	v_and_b32_e32 v22, v22, v26
	v_not_b32_e32 v26, v28
	v_ashrrev_i32_e32 v25, 31, v25
	v_xor_b32_e32 v125, s20, v125
	v_cmp_gt_i32_e64 s20, 0, v28
	v_and_b32_e32 v22, v22, v27
	v_ashrrev_i32_e32 v26, 31, v26
	v_xor_b32_e32 v25, vcc_lo, v25
	v_mad_u32_u24 v27, v24, 36, v96
	v_mul_u32_u24_e32 v24, 36, v24
	v_and_b32_e32 v22, v22, v125
	v_xor_b32_e32 v26, s20, v26
	ds_read_b32 v125, v27 offset:1056
	v_add_nc_u32_e32 v128, v96, v24
	v_and_b32_e32 v22, v22, v25
	; wave barrier
	v_and_b32_e32 v22, v22, v26
	v_mbcnt_lo_u32_b32 v127, v22, 0
	v_cmp_ne_u32_e64 s20, 0, v22
	v_cmp_eq_u32_e32 vcc_lo, 0, v127
	s_and_b32 s21, s20, vcc_lo
	s_and_saveexec_b32 s20, s21
	s_cbranch_execz .LBB2048_426
; %bb.425:                              ;   in Loop: Header=BB2048_394 Depth=2
	s_waitcnt lgkmcnt(0)
	v_bcnt_u32_b32 v22, v22, v125
	ds_write_b32 v128, v22 offset:1056
.LBB2048_426:                           ;   in Loop: Header=BB2048_394 Depth=2
	s_or_b32 exec_lo, exec_lo, s20
	v_cmp_lt_i16_e32 vcc_lo, -1, v23
	; wave barrier
	v_cndmask_b32_e64 v22, -1, 0xffff8000, vcc_lo
	v_xor_b32_e32 v126, v22, v23
	v_cmp_ne_u16_e32 vcc_lo, 0x7fff, v126
	v_cndmask_b32_e32 v22, 0xffff8000, v126, vcc_lo
	v_lshrrev_b32_sdwa v22, s49, v22 dst_sel:DWORD dst_unused:UNUSED_PAD src0_sel:DWORD src1_sel:WORD_0
	v_and_b32_e32 v23, s43, v22
	v_and_b32_e32 v22, 1, v23
	v_lshlrev_b32_e32 v24, 30, v23
	v_lshlrev_b32_e32 v25, 29, v23
	;; [unrolled: 1-line block ×4, first 2 shown]
	v_add_co_u32 v22, s20, v22, -1
	v_cndmask_b32_e64 v27, 0, 1, s20
	v_not_b32_e32 v131, v24
	v_cmp_gt_i32_e64 s20, 0, v24
	v_not_b32_e32 v24, v25
	v_lshlrev_b32_e32 v129, 26, v23
	v_cmp_ne_u32_e32 vcc_lo, 0, v27
	v_ashrrev_i32_e32 v131, 31, v131
	v_lshlrev_b32_e32 v130, 25, v23
	v_ashrrev_i32_e32 v24, 31, v24
	v_lshlrev_b32_e32 v27, 24, v23
	v_xor_b32_e32 v22, vcc_lo, v22
	v_cmp_gt_i32_e32 vcc_lo, 0, v25
	v_not_b32_e32 v25, v26
	v_xor_b32_e32 v131, s20, v131
	v_cmp_gt_i32_e64 s20, 0, v26
	v_and_b32_e32 v22, exec_lo, v22
	v_not_b32_e32 v26, v28
	v_ashrrev_i32_e32 v25, 31, v25
	v_xor_b32_e32 v24, vcc_lo, v24
	v_cmp_gt_i32_e32 vcc_lo, 0, v28
	v_and_b32_e32 v22, v22, v131
	v_not_b32_e32 v28, v129
	v_ashrrev_i32_e32 v26, 31, v26
	v_xor_b32_e32 v25, s20, v25
	v_cmp_gt_i32_e64 s20, 0, v129
	v_and_b32_e32 v22, v22, v24
	v_not_b32_e32 v24, v130
	v_ashrrev_i32_e32 v28, 31, v28
	v_xor_b32_e32 v26, vcc_lo, v26
	v_cmp_gt_i32_e32 vcc_lo, 0, v130
	v_and_b32_e32 v22, v22, v25
	v_not_b32_e32 v25, v27
	v_ashrrev_i32_e32 v24, 31, v24
	v_xor_b32_e32 v28, s20, v28
	v_cmp_gt_i32_e64 s20, 0, v27
	v_and_b32_e32 v22, v22, v26
	v_ashrrev_i32_e32 v25, 31, v25
	v_xor_b32_e32 v24, vcc_lo, v24
	v_mad_u32_u24 v26, v23, 36, v96
	v_mul_u32_u24_e32 v23, 36, v23
	v_and_b32_e32 v22, v22, v28
	v_xor_b32_e32 v25, s20, v25
	ds_read_b32 v129, v26 offset:1056
	v_add_nc_u32_e32 v132, v96, v23
	v_and_b32_e32 v22, v22, v24
	; wave barrier
	v_and_b32_e32 v22, v22, v25
	v_mbcnt_lo_u32_b32 v131, v22, 0
	v_cmp_ne_u32_e64 s20, 0, v22
	v_cmp_eq_u32_e32 vcc_lo, 0, v131
	s_and_b32 s21, s20, vcc_lo
	s_and_saveexec_b32 s20, s21
	s_cbranch_execz .LBB2048_428
; %bb.427:                              ;   in Loop: Header=BB2048_394 Depth=2
	s_waitcnt lgkmcnt(0)
	v_bcnt_u32_b32 v22, v22, v129
	ds_write_b32 v132, v22 offset:1056
.LBB2048_428:                           ;   in Loop: Header=BB2048_394 Depth=2
	s_or_b32 exec_lo, exec_lo, s20
	v_cmp_lt_i16_e32 vcc_lo, -1, v21
	; wave barrier
	v_cndmask_b32_e64 v22, -1, 0xffff8000, vcc_lo
	v_xor_b32_e32 v130, v22, v21
	v_cmp_ne_u16_e32 vcc_lo, 0x7fff, v130
	v_cndmask_b32_e32 v21, 0xffff8000, v130, vcc_lo
	v_lshrrev_b32_sdwa v21, s49, v21 dst_sel:DWORD dst_unused:UNUSED_PAD src0_sel:DWORD src1_sel:WORD_0
	v_and_b32_e32 v22, s43, v21
	v_and_b32_e32 v21, 1, v22
	v_lshlrev_b32_e32 v23, 30, v22
	v_lshlrev_b32_e32 v24, 29, v22
	;; [unrolled: 1-line block ×4, first 2 shown]
	v_add_co_u32 v21, s20, v21, -1
	v_cndmask_b32_e64 v26, 0, 1, s20
	v_not_b32_e32 v134, v23
	v_cmp_gt_i32_e64 s20, 0, v23
	v_not_b32_e32 v23, v24
	v_lshlrev_b32_e32 v28, 26, v22
	v_cmp_ne_u32_e32 vcc_lo, 0, v26
	v_ashrrev_i32_e32 v134, 31, v134
	v_lshlrev_b32_e32 v133, 25, v22
	v_ashrrev_i32_e32 v23, 31, v23
	v_lshlrev_b32_e32 v26, 24, v22
	v_xor_b32_e32 v21, vcc_lo, v21
	v_cmp_gt_i32_e32 vcc_lo, 0, v24
	v_not_b32_e32 v24, v25
	v_xor_b32_e32 v134, s20, v134
	v_cmp_gt_i32_e64 s20, 0, v25
	v_and_b32_e32 v21, exec_lo, v21
	v_not_b32_e32 v25, v27
	v_ashrrev_i32_e32 v24, 31, v24
	v_xor_b32_e32 v23, vcc_lo, v23
	v_cmp_gt_i32_e32 vcc_lo, 0, v27
	v_and_b32_e32 v21, v21, v134
	v_not_b32_e32 v27, v28
	v_ashrrev_i32_e32 v25, 31, v25
	v_xor_b32_e32 v24, s20, v24
	v_cmp_gt_i32_e64 s20, 0, v28
	v_and_b32_e32 v21, v21, v23
	v_not_b32_e32 v23, v133
	v_ashrrev_i32_e32 v27, 31, v27
	v_xor_b32_e32 v25, vcc_lo, v25
	v_cmp_gt_i32_e32 vcc_lo, 0, v133
	v_and_b32_e32 v21, v21, v24
	v_not_b32_e32 v24, v26
	v_ashrrev_i32_e32 v23, 31, v23
	v_xor_b32_e32 v27, s20, v27
	v_cmp_gt_i32_e64 s20, 0, v26
	v_and_b32_e32 v21, v21, v25
	v_ashrrev_i32_e32 v24, 31, v24
	v_xor_b32_e32 v23, vcc_lo, v23
	v_mad_u32_u24 v25, v22, 36, v96
	v_mul_u32_u24_e32 v22, 36, v22
	v_and_b32_e32 v21, v21, v27
	v_xor_b32_e32 v24, s20, v24
	ds_read_b32 v133, v25 offset:1056
	v_add_nc_u32_e32 v135, v96, v22
	v_and_b32_e32 v21, v21, v23
	; wave barrier
	v_and_b32_e32 v21, v21, v24
	v_mbcnt_lo_u32_b32 v134, v21, 0
	v_cmp_ne_u32_e64 s20, 0, v21
	v_cmp_eq_u32_e32 vcc_lo, 0, v134
	s_and_b32 s21, s20, vcc_lo
	s_and_saveexec_b32 s20, s21
	s_cbranch_execz .LBB2048_430
; %bb.429:                              ;   in Loop: Header=BB2048_394 Depth=2
	s_waitcnt lgkmcnt(0)
	v_bcnt_u32_b32 v21, v21, v133
	ds_write_b32 v135, v21 offset:1056
.LBB2048_430:                           ;   in Loop: Header=BB2048_394 Depth=2
	s_or_b32 exec_lo, exec_lo, s20
	; wave barrier
	s_waitcnt lgkmcnt(0)
	s_barrier
	buffer_gl0_inv
	ds_read2_b32 v[27:28], v78 offset1:1
	ds_read2_b32 v[25:26], v88 offset1:1
	;; [unrolled: 1-line block ×4, first 2 shown]
	ds_read_b32 v136, v44 offset:1088
	s_waitcnt lgkmcnt(3)
	v_add3_u32 v137, v28, v27, v25
	s_waitcnt lgkmcnt(2)
	v_add3_u32 v137, v137, v26, v23
	;; [unrolled: 2-line block ×4, first 2 shown]
	v_mov_b32_dpp v137, v136 row_shr:1 row_mask:0xf bank_mask:0xf
	v_cndmask_b32_e64 v137, v137, 0, s5
	v_add_nc_u32_e32 v136, v137, v136
	v_mov_b32_dpp v137, v136 row_shr:2 row_mask:0xf bank_mask:0xf
	v_cndmask_b32_e64 v137, 0, v137, s13
	v_add_nc_u32_e32 v136, v136, v137
	;; [unrolled: 3-line block ×4, first 2 shown]
	ds_swizzle_b32 v137, v136 offset:swizzle(BROADCAST,32,15)
	s_waitcnt lgkmcnt(0)
	v_cndmask_b32_e64 v137, v137, 0, s16
	v_add_nc_u32_e32 v136, v136, v137
	s_and_saveexec_b32 s20, s8
; %bb.431:                              ;   in Loop: Header=BB2048_394 Depth=2
	ds_write_b32 v39, v136 offset:1024
; %bb.432:                              ;   in Loop: Header=BB2048_394 Depth=2
	s_or_b32 exec_lo, exec_lo, s20
	s_waitcnt lgkmcnt(0)
	s_barrier
	buffer_gl0_inv
	s_and_saveexec_b32 s20, s9
	s_cbranch_execz .LBB2048_434
; %bb.433:                              ;   in Loop: Header=BB2048_394 Depth=2
	ds_read_b32 v137, v46 offset:1024
	s_waitcnt lgkmcnt(0)
	v_mov_b32_dpp v138, v137 row_shr:1 row_mask:0xf bank_mask:0xf
	v_cndmask_b32_e64 v138, v138, 0, s17
	v_add_nc_u32_e32 v137, v138, v137
	v_mov_b32_dpp v138, v137 row_shr:2 row_mask:0xf bank_mask:0xf
	v_cndmask_b32_e64 v138, 0, v138, s18
	v_add_nc_u32_e32 v137, v137, v138
	;; [unrolled: 3-line block ×3, first 2 shown]
	ds_write_b32 v46, v137 offset:1024
.LBB2048_434:                           ;   in Loop: Header=BB2048_394 Depth=2
	s_or_b32 exec_lo, exec_lo, s20
	v_mov_b32_e32 v137, 0
	s_waitcnt lgkmcnt(0)
	s_barrier
	buffer_gl0_inv
	s_and_saveexec_b32 s20, s10
; %bb.435:                              ;   in Loop: Header=BB2048_394 Depth=2
	ds_read_b32 v137, v39 offset:1020
; %bb.436:                              ;   in Loop: Header=BB2048_394 Depth=2
	s_or_b32 exec_lo, exec_lo, s20
	s_waitcnt lgkmcnt(0)
	v_add_nc_u32_e32 v136, v137, v136
	ds_bpermute_b32 v136, v91, v136
	s_waitcnt lgkmcnt(0)
	v_cndmask_b32_e64 v136, v136, v137, s12
	v_cndmask_b32_e64 v136, v136, 0, s4
	v_add_nc_u32_e32 v27, v136, v27
	v_add_nc_u32_e32 v28, v27, v28
	;; [unrolled: 1-line block ×8, first 2 shown]
	ds_write2_b32 v78, v136, v27 offset1:1
	ds_write2_b32 v88, v28, v25 offset1:1
	;; [unrolled: 1-line block ×4, first 2 shown]
	ds_write_b32 v44, v22 offset:1088
	s_waitcnt lgkmcnt(0)
	s_barrier
	buffer_gl0_inv
	ds_read_b32 v24, v108 offset:1056
	ds_read_b32 v25, v112 offset:1056
	;; [unrolled: 1-line block ×9, first 2 shown]
	v_mov_b32_e32 v23, 0x800
	s_and_saveexec_b32 s20, s11
; %bb.437:                              ;   in Loop: Header=BB2048_394 Depth=2
	ds_read_b32 v23, v44 offset:1092
; %bb.438:                              ;   in Loop: Header=BB2048_394 Depth=2
	s_or_b32 exec_lo, exec_lo, s20
	s_waitcnt lgkmcnt(0)
	s_barrier
	buffer_gl0_inv
	s_and_saveexec_b32 s20, s7
	s_cbranch_execz .LBB2048_440
; %bb.439:                              ;   in Loop: Header=BB2048_394 Depth=2
	ds_read_b32 v112, v29
	s_waitcnt lgkmcnt(0)
	v_sub_nc_u32_e32 v108, v112, v108
	ds_write_b32 v29, v108
.LBB2048_440:                           ;   in Loop: Header=BB2048_394 Depth=2
	s_or_b32 exec_lo, exec_lo, s20
	v_add_nc_u32_e32 v112, v24, v106
	v_add3_u32 v108, v110, v109, v25
	v_add3_u32 v106, v115, v113, v26
	;; [unrolled: 1-line block ×4, first 2 shown]
	v_lshlrev_b32_e32 v109, 1, v112
	v_lshlrev_b32_e32 v110, 1, v108
	v_add3_u32 v27, v131, v129, v22
	v_lshlrev_b32_e32 v22, 1, v106
	v_add3_u32 v28, v134, v133, v21
	ds_write_b16 v109, v3 offset:1024
	ds_write_b16 v110, v107 offset:1024
	v_lshlrev_b32_e32 v3, 1, v26
	v_add3_u32 v24, v127, v125, v116
	ds_write_b16 v22, v111 offset:1024
	v_lshlrev_b32_e32 v21, 1, v25
	v_cmp_lt_u32_e32 vcc_lo, v0, v105
	ds_write_b16 v3, v114 offset:1024
	v_lshlrev_b32_e32 v3, 1, v28
	v_lshlrev_b32_e32 v22, 1, v24
	;; [unrolled: 1-line block ×3, first 2 shown]
	ds_write_b16 v21, v118 offset:1024
	ds_write_b16 v22, v122 offset:1024
	;; [unrolled: 1-line block ×4, first 2 shown]
	s_waitcnt lgkmcnt(0)
	s_barrier
	buffer_gl0_inv
	s_and_saveexec_b32 s21, vcc_lo
	s_cbranch_execnz .LBB2048_477
; %bb.441:                              ;   in Loop: Header=BB2048_394 Depth=2
	s_or_b32 exec_lo, exec_lo, s21
	v_cmp_lt_u32_e64 s20, v30, v105
	s_and_saveexec_b32 s22, s20
	s_cbranch_execnz .LBB2048_478
.LBB2048_442:                           ;   in Loop: Header=BB2048_394 Depth=2
	s_or_b32 exec_lo, exec_lo, s22
	v_cmp_lt_u32_e64 s21, v31, v105
	s_and_saveexec_b32 s23, s21
	s_cbranch_execnz .LBB2048_479
.LBB2048_443:                           ;   in Loop: Header=BB2048_394 Depth=2
	s_or_b32 exec_lo, exec_lo, s23
	v_cmp_lt_u32_e64 s22, v32, v105
	s_and_saveexec_b32 s24, s22
	s_cbranch_execnz .LBB2048_480
.LBB2048_444:                           ;   in Loop: Header=BB2048_394 Depth=2
	s_or_b32 exec_lo, exec_lo, s24
	v_cmp_lt_u32_e64 s23, v35, v105
	s_and_saveexec_b32 s25, s23
	s_cbranch_execnz .LBB2048_481
.LBB2048_445:                           ;   in Loop: Header=BB2048_394 Depth=2
	s_or_b32 exec_lo, exec_lo, s25
	v_cmp_lt_u32_e64 s24, v36, v105
	s_and_saveexec_b32 s26, s24
	s_cbranch_execnz .LBB2048_482
.LBB2048_446:                           ;   in Loop: Header=BB2048_394 Depth=2
	s_or_b32 exec_lo, exec_lo, s26
	v_cmp_lt_u32_e64 s25, v37, v105
	s_and_saveexec_b32 s28, s25
	s_cbranch_execnz .LBB2048_483
.LBB2048_447:                           ;   in Loop: Header=BB2048_394 Depth=2
	s_or_b32 exec_lo, exec_lo, s28
	v_cmp_lt_u32_e64 s26, v38, v105
	s_and_saveexec_b32 s54, s26
	s_cbranch_execz .LBB2048_449
.LBB2048_448:                           ;   in Loop: Header=BB2048_394 Depth=2
	ds_read_u16 v107, v47 offset:4608
	s_waitcnt lgkmcnt(0)
	v_cmp_ne_u16_e64 s28, 0x7fff, v107
	v_cndmask_b32_e64 v3, 0xffff8000, v107, s28
	v_cmp_lt_i16_e64 s28, -1, v107
	v_lshrrev_b32_sdwa v3, s49, v3 dst_sel:DWORD dst_unused:UNUSED_PAD src0_sel:DWORD src1_sel:WORD_0
	v_cndmask_b32_e64 v109, 0xffff8000, -1, s28
	v_and_b32_e32 v3, s43, v3
	v_lshlrev_b32_e32 v3, 2, v3
	ds_read_b32 v3, v3
	s_waitcnt lgkmcnt(0)
	v_add_nc_u32_e32 v3, v3, v38
	v_lshlrev_b64 v[21:22], 1, v[3:4]
	v_xor_b32_e32 v3, v109, v107
	v_add_co_u32 v21, s28, s38, v21
	v_add_co_ci_u32_e64 v22, null, s39, v22, s28
	global_store_short v[21:22], v3, off
.LBB2048_449:                           ;   in Loop: Header=BB2048_394 Depth=2
	s_or_b32 exec_lo, exec_lo, s54
	s_lshl_b64 s[54:55], s[34:35], 3
	v_add_co_u32 v21, s28, v92, s54
	v_add_co_ci_u32_e64 v22, null, s55, v93, s28
	v_cmp_lt_u32_e64 s28, v66, v105
	s_and_saveexec_b32 s34, s28
	s_xor_b32 s28, exec_lo, s34
	s_cbranch_execnz .LBB2048_484
; %bb.450:                              ;   in Loop: Header=BB2048_394 Depth=2
	s_or_b32 exec_lo, exec_lo, s28
	s_mov_b32 s34, exec_lo
	v_cmpx_lt_u32_e64 v70, v105
	s_cbranch_execnz .LBB2048_485
.LBB2048_451:                           ;   in Loop: Header=BB2048_394 Depth=2
	s_or_b32 exec_lo, exec_lo, s34
	s_mov_b32 s34, exec_lo
	v_cmpx_lt_u32_e64 v71, v105
	s_cbranch_execnz .LBB2048_486
.LBB2048_452:                           ;   in Loop: Header=BB2048_394 Depth=2
	s_or_b32 exec_lo, exec_lo, s34
	s_mov_b32 s34, exec_lo
	v_cmpx_lt_u32_e64 v72, v105
	s_cbranch_execnz .LBB2048_487
.LBB2048_453:                           ;   in Loop: Header=BB2048_394 Depth=2
	s_or_b32 exec_lo, exec_lo, s34
	s_mov_b32 s34, exec_lo
	v_cmpx_lt_u32_e64 v73, v105
	s_cbranch_execnz .LBB2048_488
.LBB2048_454:                           ;   in Loop: Header=BB2048_394 Depth=2
	s_or_b32 exec_lo, exec_lo, s34
	s_mov_b32 s34, exec_lo
	v_cmpx_lt_u32_e64 v74, v105
	s_cbranch_execnz .LBB2048_489
.LBB2048_455:                           ;   in Loop: Header=BB2048_394 Depth=2
	s_or_b32 exec_lo, exec_lo, s34
	s_mov_b32 s34, exec_lo
	v_cmpx_lt_u32_e64 v75, v105
	s_cbranch_execnz .LBB2048_490
.LBB2048_456:                           ;   in Loop: Header=BB2048_394 Depth=2
	s_or_b32 exec_lo, exec_lo, s34
	s_mov_b32 s34, exec_lo
	v_cmpx_lt_u32_e64 v76, v105
	s_cbranch_execnz .LBB2048_491
.LBB2048_457:                           ;   in Loop: Header=BB2048_394 Depth=2
	s_or_b32 exec_lo, exec_lo, s34
	s_and_saveexec_b32 s34, vcc_lo
	s_cbranch_execnz .LBB2048_492
.LBB2048_458:                           ;   in Loop: Header=BB2048_394 Depth=2
	s_or_b32 exec_lo, exec_lo, s34
	s_and_saveexec_b32 s34, s20
	s_cbranch_execnz .LBB2048_493
.LBB2048_459:                           ;   in Loop: Header=BB2048_394 Depth=2
	s_or_b32 exec_lo, exec_lo, s34
	s_and_saveexec_b32 s34, s21
	s_cbranch_execnz .LBB2048_494
.LBB2048_460:                           ;   in Loop: Header=BB2048_394 Depth=2
	s_or_b32 exec_lo, exec_lo, s34
	s_and_saveexec_b32 s34, s22
	s_cbranch_execnz .LBB2048_495
.LBB2048_461:                           ;   in Loop: Header=BB2048_394 Depth=2
	s_or_b32 exec_lo, exec_lo, s34
	s_and_saveexec_b32 s34, s23
	s_cbranch_execnz .LBB2048_496
.LBB2048_462:                           ;   in Loop: Header=BB2048_394 Depth=2
	s_or_b32 exec_lo, exec_lo, s34
	s_and_saveexec_b32 s34, s24
	s_cbranch_execnz .LBB2048_497
.LBB2048_463:                           ;   in Loop: Header=BB2048_394 Depth=2
	s_or_b32 exec_lo, exec_lo, s34
	s_and_saveexec_b32 s34, s25
	s_cbranch_execnz .LBB2048_498
.LBB2048_464:                           ;   in Loop: Header=BB2048_394 Depth=2
	s_or_b32 exec_lo, exec_lo, s34
	s_and_saveexec_b32 s34, s26
	s_cbranch_execz .LBB2048_466
.LBB2048_465:                           ;   in Loop: Header=BB2048_394 Depth=2
	ds_read_u16 v3, v47 offset:4608
	s_waitcnt lgkmcnt(0)
	v_cmp_ne_u16_e64 s28, 0x7fff, v3
	v_cndmask_b32_e64 v3, 0xffff8000, v3, s28
	v_lshrrev_b32_sdwa v3, s49, v3 dst_sel:DWORD dst_unused:UNUSED_PAD src0_sel:DWORD src1_sel:WORD_0
	v_and_b32_e32 v97, s43, v3
.LBB2048_466:                           ;   in Loop: Header=BB2048_394 Depth=2
	s_or_b32 exec_lo, exec_lo, s34
	v_lshlrev_b32_e32 v3, 3, v112
	v_lshlrev_b32_e32 v21, 3, v108
	;; [unrolled: 1-line block ×3, first 2 shown]
	s_waitcnt vmcnt(0)
	s_waitcnt_vscnt null, 0x0
	s_barrier
	buffer_gl0_inv
	ds_write_b64 v3, v[19:20] offset:1024
	ds_write_b64 v21, v[17:18] offset:1024
	;; [unrolled: 1-line block ×3, first 2 shown]
	v_lshlrev_b32_e32 v3, 3, v26
	v_lshlrev_b32_e32 v21, 3, v25
	;; [unrolled: 1-line block ×5, first 2 shown]
	ds_write_b64 v3, v[13:14] offset:1024
	ds_write_b64 v21, v[11:12] offset:1024
	;; [unrolled: 1-line block ×5, first 2 shown]
	s_waitcnt lgkmcnt(0)
	s_barrier
	buffer_gl0_inv
	s_and_saveexec_b32 s28, vcc_lo
	s_cbranch_execnz .LBB2048_499
; %bb.467:                              ;   in Loop: Header=BB2048_394 Depth=2
	s_or_b32 exec_lo, exec_lo, s28
	s_and_saveexec_b32 s28, s20
	s_cbranch_execnz .LBB2048_500
.LBB2048_468:                           ;   in Loop: Header=BB2048_394 Depth=2
	s_or_b32 exec_lo, exec_lo, s28
	s_and_saveexec_b32 s20, s21
	s_cbranch_execnz .LBB2048_501
.LBB2048_469:                           ;   in Loop: Header=BB2048_394 Depth=2
	s_or_b32 exec_lo, exec_lo, s20
	s_and_saveexec_b32 s20, s22
	s_cbranch_execnz .LBB2048_502
.LBB2048_470:                           ;   in Loop: Header=BB2048_394 Depth=2
	s_or_b32 exec_lo, exec_lo, s20
	s_and_saveexec_b32 s20, s23
	s_cbranch_execnz .LBB2048_503
.LBB2048_471:                           ;   in Loop: Header=BB2048_394 Depth=2
	s_or_b32 exec_lo, exec_lo, s20
	s_and_saveexec_b32 s20, s24
	s_cbranch_execnz .LBB2048_504
.LBB2048_472:                           ;   in Loop: Header=BB2048_394 Depth=2
	s_or_b32 exec_lo, exec_lo, s20
	s_and_saveexec_b32 s20, s25
	s_cbranch_execnz .LBB2048_505
.LBB2048_473:                           ;   in Loop: Header=BB2048_394 Depth=2
	s_or_b32 exec_lo, exec_lo, s20
	s_and_saveexec_b32 s20, s26
	s_cbranch_execz .LBB2048_475
.LBB2048_474:                           ;   in Loop: Header=BB2048_394 Depth=2
	v_lshlrev_b32_e32 v3, 2, v97
	v_add_nc_u32_e32 v21, v47, v48
	ds_read_b32 v3, v3
	ds_read_b64 v[21:22], v21 offset:15360
	s_waitcnt lgkmcnt(1)
	v_add_nc_u32_e32 v3, v3, v38
	v_lshlrev_b64 v[24:25], 3, v[3:4]
	v_add_co_u32 v24, vcc_lo, s44, v24
	v_add_co_ci_u32_e64 v25, null, s45, v25, vcc_lo
	s_waitcnt lgkmcnt(0)
	global_store_dwordx2 v[24:25], v[21:22], off
.LBB2048_475:                           ;   in Loop: Header=BB2048_394 Depth=2
	s_or_b32 exec_lo, exec_lo, s20
	s_waitcnt_vscnt null, 0x0
	s_barrier
	buffer_gl0_inv
	s_and_saveexec_b32 s20, s7
	s_cbranch_execz .LBB2048_393
; %bb.476:                              ;   in Loop: Header=BB2048_394 Depth=2
	ds_read_b32 v3, v29
	s_waitcnt lgkmcnt(0)
	v_add_nc_u32_e32 v3, v3, v23
	ds_write_b32 v29, v3
	s_branch .LBB2048_393
.LBB2048_477:                           ;   in Loop: Header=BB2048_394 Depth=2
	ds_read_u16 v107, v47 offset:1024
	s_waitcnt lgkmcnt(0)
	v_cmp_ne_u16_e64 s20, 0x7fff, v107
	v_cndmask_b32_e64 v3, 0xffff8000, v107, s20
	v_cmp_lt_i16_e64 s20, -1, v107
	v_lshrrev_b32_sdwa v3, s49, v3 dst_sel:DWORD dst_unused:UNUSED_PAD src0_sel:DWORD src1_sel:WORD_0
	v_cndmask_b32_e64 v109, 0xffff8000, -1, s20
	v_and_b32_e32 v3, s43, v3
	v_lshlrev_b32_e32 v3, 2, v3
	ds_read_b32 v3, v3
	s_waitcnt lgkmcnt(0)
	v_add_nc_u32_e32 v3, v3, v0
	v_lshlrev_b64 v[21:22], 1, v[3:4]
	v_xor_b32_e32 v3, v109, v107
	v_add_co_u32 v21, s20, s38, v21
	v_add_co_ci_u32_e64 v22, null, s39, v22, s20
	global_store_short v[21:22], v3, off
	s_or_b32 exec_lo, exec_lo, s21
	v_cmp_lt_u32_e64 s20, v30, v105
	s_and_saveexec_b32 s22, s20
	s_cbranch_execz .LBB2048_442
.LBB2048_478:                           ;   in Loop: Header=BB2048_394 Depth=2
	ds_read_u16 v107, v47 offset:1536
	s_waitcnt lgkmcnt(0)
	v_cmp_ne_u16_e64 s21, 0x7fff, v107
	v_cndmask_b32_e64 v3, 0xffff8000, v107, s21
	v_cmp_lt_i16_e64 s21, -1, v107
	v_lshrrev_b32_sdwa v3, s49, v3 dst_sel:DWORD dst_unused:UNUSED_PAD src0_sel:DWORD src1_sel:WORD_0
	v_cndmask_b32_e64 v109, 0xffff8000, -1, s21
	v_and_b32_e32 v3, s43, v3
	v_lshlrev_b32_e32 v3, 2, v3
	ds_read_b32 v3, v3
	s_waitcnt lgkmcnt(0)
	v_add_nc_u32_e32 v3, v3, v30
	v_lshlrev_b64 v[21:22], 1, v[3:4]
	v_xor_b32_e32 v3, v109, v107
	v_add_co_u32 v21, s21, s38, v21
	v_add_co_ci_u32_e64 v22, null, s39, v22, s21
	global_store_short v[21:22], v3, off
	s_or_b32 exec_lo, exec_lo, s22
	v_cmp_lt_u32_e64 s21, v31, v105
	s_and_saveexec_b32 s23, s21
	s_cbranch_execz .LBB2048_443
.LBB2048_479:                           ;   in Loop: Header=BB2048_394 Depth=2
	ds_read_u16 v107, v47 offset:2048
	s_waitcnt lgkmcnt(0)
	v_cmp_ne_u16_e64 s22, 0x7fff, v107
	v_cndmask_b32_e64 v3, 0xffff8000, v107, s22
	v_cmp_lt_i16_e64 s22, -1, v107
	v_lshrrev_b32_sdwa v3, s49, v3 dst_sel:DWORD dst_unused:UNUSED_PAD src0_sel:DWORD src1_sel:WORD_0
	v_cndmask_b32_e64 v109, 0xffff8000, -1, s22
	v_and_b32_e32 v3, s43, v3
	v_lshlrev_b32_e32 v3, 2, v3
	ds_read_b32 v3, v3
	s_waitcnt lgkmcnt(0)
	v_add_nc_u32_e32 v3, v3, v31
	v_lshlrev_b64 v[21:22], 1, v[3:4]
	v_xor_b32_e32 v3, v109, v107
	v_add_co_u32 v21, s22, s38, v21
	v_add_co_ci_u32_e64 v22, null, s39, v22, s22
	global_store_short v[21:22], v3, off
	s_or_b32 exec_lo, exec_lo, s23
	v_cmp_lt_u32_e64 s22, v32, v105
	s_and_saveexec_b32 s24, s22
	s_cbranch_execz .LBB2048_444
.LBB2048_480:                           ;   in Loop: Header=BB2048_394 Depth=2
	ds_read_u16 v107, v47 offset:2560
	s_waitcnt lgkmcnt(0)
	v_cmp_ne_u16_e64 s23, 0x7fff, v107
	v_cndmask_b32_e64 v3, 0xffff8000, v107, s23
	v_cmp_lt_i16_e64 s23, -1, v107
	v_lshrrev_b32_sdwa v3, s49, v3 dst_sel:DWORD dst_unused:UNUSED_PAD src0_sel:DWORD src1_sel:WORD_0
	v_cndmask_b32_e64 v109, 0xffff8000, -1, s23
	v_and_b32_e32 v3, s43, v3
	v_lshlrev_b32_e32 v3, 2, v3
	ds_read_b32 v3, v3
	s_waitcnt lgkmcnt(0)
	v_add_nc_u32_e32 v3, v3, v32
	v_lshlrev_b64 v[21:22], 1, v[3:4]
	v_xor_b32_e32 v3, v109, v107
	v_add_co_u32 v21, s23, s38, v21
	v_add_co_ci_u32_e64 v22, null, s39, v22, s23
	global_store_short v[21:22], v3, off
	s_or_b32 exec_lo, exec_lo, s24
	v_cmp_lt_u32_e64 s23, v35, v105
	s_and_saveexec_b32 s25, s23
	s_cbranch_execz .LBB2048_445
.LBB2048_481:                           ;   in Loop: Header=BB2048_394 Depth=2
	ds_read_u16 v107, v47 offset:3072
	s_waitcnt lgkmcnt(0)
	v_cmp_ne_u16_e64 s24, 0x7fff, v107
	v_cndmask_b32_e64 v3, 0xffff8000, v107, s24
	v_cmp_lt_i16_e64 s24, -1, v107
	v_lshrrev_b32_sdwa v3, s49, v3 dst_sel:DWORD dst_unused:UNUSED_PAD src0_sel:DWORD src1_sel:WORD_0
	v_cndmask_b32_e64 v109, 0xffff8000, -1, s24
	v_and_b32_e32 v3, s43, v3
	v_lshlrev_b32_e32 v3, 2, v3
	ds_read_b32 v3, v3
	s_waitcnt lgkmcnt(0)
	v_add_nc_u32_e32 v3, v3, v35
	v_lshlrev_b64 v[21:22], 1, v[3:4]
	v_xor_b32_e32 v3, v109, v107
	v_add_co_u32 v21, s24, s38, v21
	v_add_co_ci_u32_e64 v22, null, s39, v22, s24
	global_store_short v[21:22], v3, off
	s_or_b32 exec_lo, exec_lo, s25
	v_cmp_lt_u32_e64 s24, v36, v105
	s_and_saveexec_b32 s26, s24
	s_cbranch_execz .LBB2048_446
.LBB2048_482:                           ;   in Loop: Header=BB2048_394 Depth=2
	ds_read_u16 v107, v47 offset:3584
	s_waitcnt lgkmcnt(0)
	v_cmp_ne_u16_e64 s25, 0x7fff, v107
	v_cndmask_b32_e64 v3, 0xffff8000, v107, s25
	v_cmp_lt_i16_e64 s25, -1, v107
	v_lshrrev_b32_sdwa v3, s49, v3 dst_sel:DWORD dst_unused:UNUSED_PAD src0_sel:DWORD src1_sel:WORD_0
	v_cndmask_b32_e64 v109, 0xffff8000, -1, s25
	v_and_b32_e32 v3, s43, v3
	v_lshlrev_b32_e32 v3, 2, v3
	ds_read_b32 v3, v3
	s_waitcnt lgkmcnt(0)
	v_add_nc_u32_e32 v3, v3, v36
	v_lshlrev_b64 v[21:22], 1, v[3:4]
	v_xor_b32_e32 v3, v109, v107
	v_add_co_u32 v21, s25, s38, v21
	v_add_co_ci_u32_e64 v22, null, s39, v22, s25
	global_store_short v[21:22], v3, off
	s_or_b32 exec_lo, exec_lo, s26
	v_cmp_lt_u32_e64 s25, v37, v105
	s_and_saveexec_b32 s28, s25
	s_cbranch_execz .LBB2048_447
.LBB2048_483:                           ;   in Loop: Header=BB2048_394 Depth=2
	ds_read_u16 v107, v47 offset:4096
	s_waitcnt lgkmcnt(0)
	v_cmp_ne_u16_e64 s26, 0x7fff, v107
	v_cndmask_b32_e64 v3, 0xffff8000, v107, s26
	v_cmp_lt_i16_e64 s26, -1, v107
	v_lshrrev_b32_sdwa v3, s49, v3 dst_sel:DWORD dst_unused:UNUSED_PAD src0_sel:DWORD src1_sel:WORD_0
	v_cndmask_b32_e64 v109, 0xffff8000, -1, s26
	v_and_b32_e32 v3, s43, v3
	v_lshlrev_b32_e32 v3, 2, v3
	ds_read_b32 v3, v3
	s_waitcnt lgkmcnt(0)
	v_add_nc_u32_e32 v3, v3, v37
	v_lshlrev_b64 v[21:22], 1, v[3:4]
	v_xor_b32_e32 v3, v109, v107
	v_add_co_u32 v21, s26, s38, v21
	v_add_co_ci_u32_e64 v22, null, s39, v22, s26
	global_store_short v[21:22], v3, off
	s_or_b32 exec_lo, exec_lo, s28
	v_cmp_lt_u32_e64 s26, v38, v105
	s_and_saveexec_b32 s54, s26
	s_cbranch_execnz .LBB2048_448
	s_branch .LBB2048_449
.LBB2048_484:                           ;   in Loop: Header=BB2048_394 Depth=2
	global_load_dwordx2 v[19:20], v[21:22], off
	s_or_b32 exec_lo, exec_lo, s28
	s_mov_b32 s34, exec_lo
	v_cmpx_lt_u32_e64 v70, v105
	s_cbranch_execz .LBB2048_451
.LBB2048_485:                           ;   in Loop: Header=BB2048_394 Depth=2
	global_load_dwordx2 v[17:18], v[21:22], off offset:256
	s_or_b32 exec_lo, exec_lo, s34
	s_mov_b32 s34, exec_lo
	v_cmpx_lt_u32_e64 v71, v105
	s_cbranch_execz .LBB2048_452
.LBB2048_486:                           ;   in Loop: Header=BB2048_394 Depth=2
	global_load_dwordx2 v[15:16], v[21:22], off offset:512
	s_or_b32 exec_lo, exec_lo, s34
	s_mov_b32 s34, exec_lo
	v_cmpx_lt_u32_e64 v72, v105
	s_cbranch_execz .LBB2048_453
.LBB2048_487:                           ;   in Loop: Header=BB2048_394 Depth=2
	global_load_dwordx2 v[13:14], v[21:22], off offset:768
	s_or_b32 exec_lo, exec_lo, s34
	s_mov_b32 s34, exec_lo
	v_cmpx_lt_u32_e64 v73, v105
	s_cbranch_execz .LBB2048_454
.LBB2048_488:                           ;   in Loop: Header=BB2048_394 Depth=2
	global_load_dwordx2 v[11:12], v[21:22], off offset:1024
	s_or_b32 exec_lo, exec_lo, s34
	s_mov_b32 s34, exec_lo
	v_cmpx_lt_u32_e64 v74, v105
	s_cbranch_execz .LBB2048_455
.LBB2048_489:                           ;   in Loop: Header=BB2048_394 Depth=2
	global_load_dwordx2 v[9:10], v[21:22], off offset:1280
	s_or_b32 exec_lo, exec_lo, s34
	s_mov_b32 s34, exec_lo
	v_cmpx_lt_u32_e64 v75, v105
	s_cbranch_execz .LBB2048_456
.LBB2048_490:                           ;   in Loop: Header=BB2048_394 Depth=2
	global_load_dwordx2 v[7:8], v[21:22], off offset:1536
	s_or_b32 exec_lo, exec_lo, s34
	s_mov_b32 s34, exec_lo
	v_cmpx_lt_u32_e64 v76, v105
	s_cbranch_execz .LBB2048_457
.LBB2048_491:                           ;   in Loop: Header=BB2048_394 Depth=2
	global_load_dwordx2 v[5:6], v[21:22], off offset:1792
	s_or_b32 exec_lo, exec_lo, s34
	s_and_saveexec_b32 s34, vcc_lo
	s_cbranch_execz .LBB2048_458
.LBB2048_492:                           ;   in Loop: Header=BB2048_394 Depth=2
	ds_read_u16 v3, v47 offset:1024
	s_waitcnt lgkmcnt(0)
	v_cmp_ne_u16_e64 s28, 0x7fff, v3
	v_cndmask_b32_e64 v3, 0xffff8000, v3, s28
	v_lshrrev_b32_sdwa v3, s49, v3 dst_sel:DWORD dst_unused:UNUSED_PAD src0_sel:DWORD src1_sel:WORD_0
	v_and_b32_e32 v104, s43, v3
	s_or_b32 exec_lo, exec_lo, s34
	s_and_saveexec_b32 s34, s20
	s_cbranch_execz .LBB2048_459
.LBB2048_493:                           ;   in Loop: Header=BB2048_394 Depth=2
	ds_read_u16 v3, v47 offset:1536
	s_waitcnt lgkmcnt(0)
	v_cmp_ne_u16_e64 s28, 0x7fff, v3
	v_cndmask_b32_e64 v3, 0xffff8000, v3, s28
	v_lshrrev_b32_sdwa v3, s49, v3 dst_sel:DWORD dst_unused:UNUSED_PAD src0_sel:DWORD src1_sel:WORD_0
	v_and_b32_e32 v103, s43, v3
	s_or_b32 exec_lo, exec_lo, s34
	s_and_saveexec_b32 s34, s21
	s_cbranch_execz .LBB2048_460
.LBB2048_494:                           ;   in Loop: Header=BB2048_394 Depth=2
	ds_read_u16 v3, v47 offset:2048
	s_waitcnt lgkmcnt(0)
	v_cmp_ne_u16_e64 s28, 0x7fff, v3
	v_cndmask_b32_e64 v3, 0xffff8000, v3, s28
	v_lshrrev_b32_sdwa v3, s49, v3 dst_sel:DWORD dst_unused:UNUSED_PAD src0_sel:DWORD src1_sel:WORD_0
	v_and_b32_e32 v102, s43, v3
	s_or_b32 exec_lo, exec_lo, s34
	s_and_saveexec_b32 s34, s22
	s_cbranch_execz .LBB2048_461
.LBB2048_495:                           ;   in Loop: Header=BB2048_394 Depth=2
	ds_read_u16 v3, v47 offset:2560
	s_waitcnt lgkmcnt(0)
	v_cmp_ne_u16_e64 s28, 0x7fff, v3
	v_cndmask_b32_e64 v3, 0xffff8000, v3, s28
	v_lshrrev_b32_sdwa v3, s49, v3 dst_sel:DWORD dst_unused:UNUSED_PAD src0_sel:DWORD src1_sel:WORD_0
	v_and_b32_e32 v101, s43, v3
	s_or_b32 exec_lo, exec_lo, s34
	s_and_saveexec_b32 s34, s23
	s_cbranch_execz .LBB2048_462
.LBB2048_496:                           ;   in Loop: Header=BB2048_394 Depth=2
	ds_read_u16 v3, v47 offset:3072
	s_waitcnt lgkmcnt(0)
	v_cmp_ne_u16_e64 s28, 0x7fff, v3
	v_cndmask_b32_e64 v3, 0xffff8000, v3, s28
	v_lshrrev_b32_sdwa v3, s49, v3 dst_sel:DWORD dst_unused:UNUSED_PAD src0_sel:DWORD src1_sel:WORD_0
	v_and_b32_e32 v100, s43, v3
	s_or_b32 exec_lo, exec_lo, s34
	s_and_saveexec_b32 s34, s24
	s_cbranch_execz .LBB2048_463
.LBB2048_497:                           ;   in Loop: Header=BB2048_394 Depth=2
	ds_read_u16 v3, v47 offset:3584
	s_waitcnt lgkmcnt(0)
	v_cmp_ne_u16_e64 s28, 0x7fff, v3
	v_cndmask_b32_e64 v3, 0xffff8000, v3, s28
	v_lshrrev_b32_sdwa v3, s49, v3 dst_sel:DWORD dst_unused:UNUSED_PAD src0_sel:DWORD src1_sel:WORD_0
	v_and_b32_e32 v99, s43, v3
	s_or_b32 exec_lo, exec_lo, s34
	s_and_saveexec_b32 s34, s25
	s_cbranch_execz .LBB2048_464
.LBB2048_498:                           ;   in Loop: Header=BB2048_394 Depth=2
	ds_read_u16 v3, v47 offset:4096
	s_waitcnt lgkmcnt(0)
	v_cmp_ne_u16_e64 s28, 0x7fff, v3
	v_cndmask_b32_e64 v3, 0xffff8000, v3, s28
	v_lshrrev_b32_sdwa v3, s49, v3 dst_sel:DWORD dst_unused:UNUSED_PAD src0_sel:DWORD src1_sel:WORD_0
	v_and_b32_e32 v98, s43, v3
	s_or_b32 exec_lo, exec_lo, s34
	s_and_saveexec_b32 s34, s26
	s_cbranch_execnz .LBB2048_465
	s_branch .LBB2048_466
.LBB2048_499:                           ;   in Loop: Header=BB2048_394 Depth=2
	v_lshlrev_b32_e32 v3, 2, v104
	v_add_nc_u32_e32 v21, v47, v48
	ds_read_b32 v3, v3
	ds_read_b64 v[21:22], v21 offset:1024
	s_waitcnt lgkmcnt(1)
	v_add_nc_u32_e32 v3, v3, v0
	v_lshlrev_b64 v[24:25], 3, v[3:4]
	v_add_co_u32 v24, vcc_lo, s44, v24
	v_add_co_ci_u32_e64 v25, null, s45, v25, vcc_lo
	s_waitcnt lgkmcnt(0)
	global_store_dwordx2 v[24:25], v[21:22], off
	s_or_b32 exec_lo, exec_lo, s28
	s_and_saveexec_b32 s28, s20
	s_cbranch_execz .LBB2048_468
.LBB2048_500:                           ;   in Loop: Header=BB2048_394 Depth=2
	v_lshlrev_b32_e32 v3, 2, v103
	v_add_nc_u32_e32 v21, v47, v48
	ds_read_b32 v3, v3
	ds_read_b64 v[21:22], v21 offset:3072
	s_waitcnt lgkmcnt(1)
	v_add_nc_u32_e32 v3, v3, v30
	v_lshlrev_b64 v[24:25], 3, v[3:4]
	v_add_co_u32 v24, vcc_lo, s44, v24
	v_add_co_ci_u32_e64 v25, null, s45, v25, vcc_lo
	s_waitcnt lgkmcnt(0)
	global_store_dwordx2 v[24:25], v[21:22], off
	s_or_b32 exec_lo, exec_lo, s28
	s_and_saveexec_b32 s20, s21
	s_cbranch_execz .LBB2048_469
.LBB2048_501:                           ;   in Loop: Header=BB2048_394 Depth=2
	v_lshlrev_b32_e32 v3, 2, v102
	v_add_nc_u32_e32 v21, v47, v48
	ds_read_b32 v3, v3
	ds_read_b64 v[21:22], v21 offset:5120
	s_waitcnt lgkmcnt(1)
	v_add_nc_u32_e32 v3, v3, v31
	v_lshlrev_b64 v[24:25], 3, v[3:4]
	v_add_co_u32 v24, vcc_lo, s44, v24
	v_add_co_ci_u32_e64 v25, null, s45, v25, vcc_lo
	s_waitcnt lgkmcnt(0)
	global_store_dwordx2 v[24:25], v[21:22], off
	s_or_b32 exec_lo, exec_lo, s20
	s_and_saveexec_b32 s20, s22
	s_cbranch_execz .LBB2048_470
.LBB2048_502:                           ;   in Loop: Header=BB2048_394 Depth=2
	v_lshlrev_b32_e32 v3, 2, v101
	v_add_nc_u32_e32 v21, v47, v48
	ds_read_b32 v3, v3
	ds_read_b64 v[21:22], v21 offset:7168
	s_waitcnt lgkmcnt(1)
	v_add_nc_u32_e32 v3, v3, v32
	v_lshlrev_b64 v[24:25], 3, v[3:4]
	v_add_co_u32 v24, vcc_lo, s44, v24
	v_add_co_ci_u32_e64 v25, null, s45, v25, vcc_lo
	s_waitcnt lgkmcnt(0)
	global_store_dwordx2 v[24:25], v[21:22], off
	s_or_b32 exec_lo, exec_lo, s20
	s_and_saveexec_b32 s20, s23
	s_cbranch_execz .LBB2048_471
.LBB2048_503:                           ;   in Loop: Header=BB2048_394 Depth=2
	v_lshlrev_b32_e32 v3, 2, v100
	v_add_nc_u32_e32 v21, v47, v48
	ds_read_b32 v3, v3
	ds_read_b64 v[21:22], v21 offset:9216
	s_waitcnt lgkmcnt(1)
	v_add_nc_u32_e32 v3, v3, v35
	v_lshlrev_b64 v[24:25], 3, v[3:4]
	v_add_co_u32 v24, vcc_lo, s44, v24
	v_add_co_ci_u32_e64 v25, null, s45, v25, vcc_lo
	s_waitcnt lgkmcnt(0)
	global_store_dwordx2 v[24:25], v[21:22], off
	s_or_b32 exec_lo, exec_lo, s20
	s_and_saveexec_b32 s20, s24
	s_cbranch_execz .LBB2048_472
.LBB2048_504:                           ;   in Loop: Header=BB2048_394 Depth=2
	v_lshlrev_b32_e32 v3, 2, v99
	v_add_nc_u32_e32 v21, v47, v48
	ds_read_b32 v3, v3
	ds_read_b64 v[21:22], v21 offset:11264
	s_waitcnt lgkmcnt(1)
	v_add_nc_u32_e32 v3, v3, v36
	v_lshlrev_b64 v[24:25], 3, v[3:4]
	v_add_co_u32 v24, vcc_lo, s44, v24
	v_add_co_ci_u32_e64 v25, null, s45, v25, vcc_lo
	s_waitcnt lgkmcnt(0)
	global_store_dwordx2 v[24:25], v[21:22], off
	s_or_b32 exec_lo, exec_lo, s20
	s_and_saveexec_b32 s20, s25
	s_cbranch_execz .LBB2048_473
.LBB2048_505:                           ;   in Loop: Header=BB2048_394 Depth=2
	v_lshlrev_b32_e32 v3, 2, v98
	v_add_nc_u32_e32 v21, v47, v48
	ds_read_b32 v3, v3
	ds_read_b64 v[21:22], v21 offset:13312
	s_waitcnt lgkmcnt(1)
	v_add_nc_u32_e32 v3, v3, v37
	v_lshlrev_b64 v[24:25], 3, v[3:4]
	v_add_co_u32 v24, vcc_lo, s44, v24
	v_add_co_ci_u32_e64 v25, null, s45, v25, vcc_lo
	s_waitcnt lgkmcnt(0)
	global_store_dwordx2 v[24:25], v[21:22], off
	s_or_b32 exec_lo, exec_lo, s20
	s_and_saveexec_b32 s20, s26
	s_cbranch_execnz .LBB2048_474
	s_branch .LBB2048_475
.LBB2048_506:                           ;   in Loop: Header=BB2048_12 Depth=1
	s_waitcnt lgkmcnt(0)
	s_mov_b32 s5, 0
	s_barrier
.LBB2048_507:                           ;   in Loop: Header=BB2048_12 Depth=1
	s_and_b32 vcc_lo, exec_lo, s5
	s_cbranch_vccz .LBB2048_11
; %bb.508:                              ;   in Loop: Header=BB2048_12 Depth=1
	s_mov_b32 s5, s52
	s_mov_b32 s34, s29
	s_barrier
	buffer_gl0_inv
                                        ; implicit-def: $vgpr3
                                        ; implicit-def: $vgpr5
                                        ; implicit-def: $vgpr6
                                        ; implicit-def: $vgpr7
                                        ; implicit-def: $vgpr8
                                        ; implicit-def: $vgpr9
                                        ; implicit-def: $vgpr10
                                        ; implicit-def: $vgpr11
	s_branch .LBB2048_510
.LBB2048_509:                           ;   in Loop: Header=BB2048_510 Depth=2
	s_or_b32 exec_lo, exec_lo, s14
	s_addk_i32 s5, 0xf800
	s_cmp_ge_u32 s13, s33
	s_mov_b32 s34, s13
	s_cbranch_scc1 .LBB2048_546
.LBB2048_510:                           ;   Parent Loop BB2048_12 Depth=1
                                        ; =>  This Inner Loop Header: Depth=2
	s_add_i32 s13, s34, 0x800
	s_mov_b32 s14, -1
	s_cmp_gt_u32 s13, s33
                                        ; implicit-def: $vgpr12
                                        ; implicit-def: $vgpr13
                                        ; implicit-def: $vgpr14
                                        ; implicit-def: $vgpr15
                                        ; implicit-def: $vgpr16
                                        ; implicit-def: $vgpr17
                                        ; implicit-def: $vgpr18
                                        ; implicit-def: $vgpr19
	s_cbranch_scc1 .LBB2048_512
; %bb.511:                              ;   in Loop: Header=BB2048_510 Depth=2
	s_lshl_b64 s[14:15], s[34:35], 1
	v_add_co_u32 v15, vcc_lo, v55, s14
	v_add_co_ci_u32_e64 v16, null, s15, v56, vcc_lo
	s_mov_b32 s14, 0
	v_add_co_u32 v19, vcc_lo, 0x800, v15
	v_add_co_ci_u32_e64 v20, null, 0, v16, vcc_lo
	s_clause 0x7
	global_load_ushort v12, v[15:16], off
	global_load_ushort v13, v[15:16], off offset:512
	global_load_ushort v14, v[15:16], off offset:1024
	;; [unrolled: 1-line block ×3, first 2 shown]
	global_load_ushort v16, v[19:20], off
	global_load_ushort v17, v[19:20], off offset:512
	global_load_ushort v18, v[19:20], off offset:1024
	global_load_ushort v19, v[19:20], off offset:1536
.LBB2048_512:                           ;   in Loop: Header=BB2048_510 Depth=2
	s_andn2_b32 vcc_lo, exec_lo, s14
	s_movk_i32 s14, 0x800
	s_cbranch_vccnz .LBB2048_523
; %bb.513:                              ;   in Loop: Header=BB2048_510 Depth=2
	s_lshl_b64 s[14:15], s[34:35], 1
	s_mov_b32 s16, exec_lo
	s_add_u32 s14, s36, s14
	s_addc_u32 s15, s37, s15
	v_cmpx_gt_u32_e64 s5, v0
	s_cbranch_execnz .LBB2048_539
; %bb.514:                              ;   in Loop: Header=BB2048_510 Depth=2
	s_or_b32 exec_lo, exec_lo, s16
	s_mov_b32 s16, exec_lo
	v_cmpx_gt_u32_e64 s5, v30
	s_cbranch_execnz .LBB2048_540
.LBB2048_515:                           ;   in Loop: Header=BB2048_510 Depth=2
	s_or_b32 exec_lo, exec_lo, s16
	s_mov_b32 s16, exec_lo
	v_cmpx_gt_u32_e64 s5, v31
	s_cbranch_execnz .LBB2048_541
.LBB2048_516:                           ;   in Loop: Header=BB2048_510 Depth=2
	s_or_b32 exec_lo, exec_lo, s16
	s_mov_b32 s16, exec_lo
	v_cmpx_gt_u32_e64 s5, v32
	s_cbranch_execnz .LBB2048_542
.LBB2048_517:                           ;   in Loop: Header=BB2048_510 Depth=2
	s_or_b32 exec_lo, exec_lo, s16
	s_mov_b32 s16, exec_lo
	v_cmpx_gt_u32_e64 s5, v35
	s_cbranch_execnz .LBB2048_543
.LBB2048_518:                           ;   in Loop: Header=BB2048_510 Depth=2
	s_or_b32 exec_lo, exec_lo, s16
	s_mov_b32 s16, exec_lo
	v_cmpx_gt_u32_e64 s5, v36
	s_cbranch_execnz .LBB2048_544
.LBB2048_519:                           ;   in Loop: Header=BB2048_510 Depth=2
	s_or_b32 exec_lo, exec_lo, s16
	s_mov_b32 s16, exec_lo
	v_cmpx_gt_u32_e64 s5, v37
	s_cbranch_execnz .LBB2048_545
.LBB2048_520:                           ;   in Loop: Header=BB2048_510 Depth=2
	s_or_b32 exec_lo, exec_lo, s16
	s_mov_b32 s16, exec_lo
	v_cmpx_gt_u32_e64 s5, v38
	s_cbranch_execz .LBB2048_522
.LBB2048_521:                           ;   in Loop: Header=BB2048_510 Depth=2
	global_load_ushort v3, v87, s[14:15]
.LBB2048_522:                           ;   in Loop: Header=BB2048_510 Depth=2
	s_or_b32 exec_lo, exec_lo, s16
	s_waitcnt vmcnt(0)
	v_mov_b32_e32 v12, v11
	v_mov_b32_e32 v13, v10
	;; [unrolled: 1-line block ×8, first 2 shown]
	s_mov_b32 s14, s5
.LBB2048_523:                           ;   in Loop: Header=BB2048_510 Depth=2
	s_waitcnt vmcnt(0)
	v_mov_b32_e32 v3, v19
	v_mov_b32_e32 v5, v18
	;; [unrolled: 1-line block ×8, first 2 shown]
	s_mov_b32 s15, exec_lo
	v_cmpx_gt_u32_e64 s14, v0
	s_cbranch_execnz .LBB2048_531
; %bb.524:                              ;   in Loop: Header=BB2048_510 Depth=2
	s_or_b32 exec_lo, exec_lo, s15
	s_mov_b32 s15, exec_lo
	v_cmpx_gt_u32_e64 s14, v30
	s_cbranch_execnz .LBB2048_532
.LBB2048_525:                           ;   in Loop: Header=BB2048_510 Depth=2
	s_or_b32 exec_lo, exec_lo, s15
	s_mov_b32 s15, exec_lo
	v_cmpx_gt_u32_e64 s14, v31
	s_cbranch_execnz .LBB2048_533
.LBB2048_526:                           ;   in Loop: Header=BB2048_510 Depth=2
	s_or_b32 exec_lo, exec_lo, s15
	s_mov_b32 s15, exec_lo
	v_cmpx_gt_u32_e64 s14, v32
	s_cbranch_execnz .LBB2048_534
.LBB2048_527:                           ;   in Loop: Header=BB2048_510 Depth=2
	s_or_b32 exec_lo, exec_lo, s15
	s_mov_b32 s15, exec_lo
	v_cmpx_gt_u32_e64 s14, v35
	s_cbranch_execnz .LBB2048_535
.LBB2048_528:                           ;   in Loop: Header=BB2048_510 Depth=2
	s_or_b32 exec_lo, exec_lo, s15
	s_mov_b32 s15, exec_lo
	v_cmpx_gt_u32_e64 s14, v36
	s_cbranch_execnz .LBB2048_536
.LBB2048_529:                           ;   in Loop: Header=BB2048_510 Depth=2
	s_or_b32 exec_lo, exec_lo, s15
	s_mov_b32 s15, exec_lo
	v_cmpx_gt_u32_e64 s14, v37
	s_cbranch_execnz .LBB2048_537
.LBB2048_530:                           ;   in Loop: Header=BB2048_510 Depth=2
	s_or_b32 exec_lo, exec_lo, s15
	v_cmp_gt_u32_e32 vcc_lo, s14, v38
	s_and_saveexec_b32 s14, vcc_lo
	s_cbranch_execz .LBB2048_509
	s_branch .LBB2048_538
.LBB2048_531:                           ;   in Loop: Header=BB2048_510 Depth=2
	v_cmp_lt_i16_e32 vcc_lo, -1, v11
	v_cndmask_b32_e64 v12, -1, 0xffff8000, vcc_lo
	v_xor_b32_e32 v12, v12, v11
	v_cmp_ne_u16_e32 vcc_lo, 0x7fff, v12
	v_cndmask_b32_e32 v12, 0xffff8000, v12, vcc_lo
	v_lshrrev_b32_sdwa v12, s49, v12 dst_sel:DWORD dst_unused:UNUSED_PAD src0_sel:DWORD src1_sel:WORD_0
	v_and_b32_e32 v12, s43, v12
	v_lshl_or_b32 v12, v12, 4, v40
	ds_add_u32 v12, v62
	s_or_b32 exec_lo, exec_lo, s15
	s_mov_b32 s15, exec_lo
	v_cmpx_gt_u32_e64 s14, v30
	s_cbranch_execz .LBB2048_525
.LBB2048_532:                           ;   in Loop: Header=BB2048_510 Depth=2
	v_cmp_lt_i16_e32 vcc_lo, -1, v10
	v_cndmask_b32_e64 v12, -1, 0xffff8000, vcc_lo
	v_xor_b32_e32 v12, v12, v10
	v_cmp_ne_u16_e32 vcc_lo, 0x7fff, v12
	v_cndmask_b32_e32 v12, 0xffff8000, v12, vcc_lo
	v_lshrrev_b32_sdwa v12, s49, v12 dst_sel:DWORD dst_unused:UNUSED_PAD src0_sel:DWORD src1_sel:WORD_0
	v_and_b32_e32 v12, s43, v12
	v_lshl_or_b32 v12, v12, 4, v40
	ds_add_u32 v12, v62
	s_or_b32 exec_lo, exec_lo, s15
	s_mov_b32 s15, exec_lo
	v_cmpx_gt_u32_e64 s14, v31
	s_cbranch_execz .LBB2048_526
.LBB2048_533:                           ;   in Loop: Header=BB2048_510 Depth=2
	v_cmp_lt_i16_e32 vcc_lo, -1, v9
	v_cndmask_b32_e64 v12, -1, 0xffff8000, vcc_lo
	v_xor_b32_e32 v12, v12, v9
	v_cmp_ne_u16_e32 vcc_lo, 0x7fff, v12
	v_cndmask_b32_e32 v12, 0xffff8000, v12, vcc_lo
	v_lshrrev_b32_sdwa v12, s49, v12 dst_sel:DWORD dst_unused:UNUSED_PAD src0_sel:DWORD src1_sel:WORD_0
	v_and_b32_e32 v12, s43, v12
	v_lshl_or_b32 v12, v12, 4, v40
	ds_add_u32 v12, v62
	s_or_b32 exec_lo, exec_lo, s15
	s_mov_b32 s15, exec_lo
	v_cmpx_gt_u32_e64 s14, v32
	s_cbranch_execz .LBB2048_527
.LBB2048_534:                           ;   in Loop: Header=BB2048_510 Depth=2
	v_cmp_lt_i16_e32 vcc_lo, -1, v8
	v_cndmask_b32_e64 v12, -1, 0xffff8000, vcc_lo
	v_xor_b32_e32 v12, v12, v8
	v_cmp_ne_u16_e32 vcc_lo, 0x7fff, v12
	v_cndmask_b32_e32 v12, 0xffff8000, v12, vcc_lo
	v_lshrrev_b32_sdwa v12, s49, v12 dst_sel:DWORD dst_unused:UNUSED_PAD src0_sel:DWORD src1_sel:WORD_0
	v_and_b32_e32 v12, s43, v12
	v_lshl_or_b32 v12, v12, 4, v40
	ds_add_u32 v12, v62
	s_or_b32 exec_lo, exec_lo, s15
	s_mov_b32 s15, exec_lo
	v_cmpx_gt_u32_e64 s14, v35
	s_cbranch_execz .LBB2048_528
.LBB2048_535:                           ;   in Loop: Header=BB2048_510 Depth=2
	v_cmp_lt_i16_e32 vcc_lo, -1, v7
	v_cndmask_b32_e64 v12, -1, 0xffff8000, vcc_lo
	v_xor_b32_e32 v12, v12, v7
	v_cmp_ne_u16_e32 vcc_lo, 0x7fff, v12
	v_cndmask_b32_e32 v12, 0xffff8000, v12, vcc_lo
	v_lshrrev_b32_sdwa v12, s49, v12 dst_sel:DWORD dst_unused:UNUSED_PAD src0_sel:DWORD src1_sel:WORD_0
	v_and_b32_e32 v12, s43, v12
	v_lshl_or_b32 v12, v12, 4, v40
	ds_add_u32 v12, v62
	s_or_b32 exec_lo, exec_lo, s15
	s_mov_b32 s15, exec_lo
	v_cmpx_gt_u32_e64 s14, v36
	s_cbranch_execz .LBB2048_529
.LBB2048_536:                           ;   in Loop: Header=BB2048_510 Depth=2
	v_cmp_lt_i16_e32 vcc_lo, -1, v6
	v_cndmask_b32_e64 v12, -1, 0xffff8000, vcc_lo
	v_xor_b32_e32 v12, v12, v6
	v_cmp_ne_u16_e32 vcc_lo, 0x7fff, v12
	v_cndmask_b32_e32 v12, 0xffff8000, v12, vcc_lo
	v_lshrrev_b32_sdwa v12, s49, v12 dst_sel:DWORD dst_unused:UNUSED_PAD src0_sel:DWORD src1_sel:WORD_0
	v_and_b32_e32 v12, s43, v12
	v_lshl_or_b32 v12, v12, 4, v40
	ds_add_u32 v12, v62
	s_or_b32 exec_lo, exec_lo, s15
	s_mov_b32 s15, exec_lo
	v_cmpx_gt_u32_e64 s14, v37
	s_cbranch_execz .LBB2048_530
.LBB2048_537:                           ;   in Loop: Header=BB2048_510 Depth=2
	v_cmp_lt_i16_e32 vcc_lo, -1, v5
	v_cndmask_b32_e64 v12, -1, 0xffff8000, vcc_lo
	v_xor_b32_e32 v12, v12, v5
	v_cmp_ne_u16_e32 vcc_lo, 0x7fff, v12
	v_cndmask_b32_e32 v12, 0xffff8000, v12, vcc_lo
	v_lshrrev_b32_sdwa v12, s49, v12 dst_sel:DWORD dst_unused:UNUSED_PAD src0_sel:DWORD src1_sel:WORD_0
	v_and_b32_e32 v12, s43, v12
	v_lshl_or_b32 v12, v12, 4, v40
	ds_add_u32 v12, v62
	s_or_b32 exec_lo, exec_lo, s15
	v_cmp_gt_u32_e32 vcc_lo, s14, v38
	s_and_saveexec_b32 s14, vcc_lo
	s_cbranch_execz .LBB2048_509
.LBB2048_538:                           ;   in Loop: Header=BB2048_510 Depth=2
	v_cmp_lt_i16_e32 vcc_lo, -1, v3
	v_cndmask_b32_e64 v12, -1, 0xffff8000, vcc_lo
	v_xor_b32_e32 v12, v12, v3
	v_cmp_ne_u16_e32 vcc_lo, 0x7fff, v12
	v_cndmask_b32_e32 v12, 0xffff8000, v12, vcc_lo
	v_lshrrev_b32_sdwa v12, s49, v12 dst_sel:DWORD dst_unused:UNUSED_PAD src0_sel:DWORD src1_sel:WORD_0
	v_and_b32_e32 v12, s43, v12
	v_lshl_or_b32 v12, v12, 4, v40
	ds_add_u32 v12, v62
	s_branch .LBB2048_509
.LBB2048_539:                           ;   in Loop: Header=BB2048_510 Depth=2
	global_load_ushort v11, v79, s[14:15]
	s_or_b32 exec_lo, exec_lo, s16
	s_mov_b32 s16, exec_lo
	v_cmpx_gt_u32_e64 s5, v30
	s_cbranch_execz .LBB2048_515
.LBB2048_540:                           ;   in Loop: Header=BB2048_510 Depth=2
	global_load_ushort v10, v79, s[14:15] offset:512
	s_or_b32 exec_lo, exec_lo, s16
	s_mov_b32 s16, exec_lo
	v_cmpx_gt_u32_e64 s5, v31
	s_cbranch_execz .LBB2048_516
.LBB2048_541:                           ;   in Loop: Header=BB2048_510 Depth=2
	global_load_ushort v9, v79, s[14:15] offset:1024
	s_or_b32 exec_lo, exec_lo, s16
	s_mov_b32 s16, exec_lo
	v_cmpx_gt_u32_e64 s5, v32
	s_cbranch_execz .LBB2048_517
.LBB2048_542:                           ;   in Loop: Header=BB2048_510 Depth=2
	global_load_ushort v8, v79, s[14:15] offset:1536
	s_or_b32 exec_lo, exec_lo, s16
	s_mov_b32 s16, exec_lo
	v_cmpx_gt_u32_e64 s5, v35
	s_cbranch_execz .LBB2048_518
.LBB2048_543:                           ;   in Loop: Header=BB2048_510 Depth=2
	global_load_ushort v7, v80, s[14:15]
	s_or_b32 exec_lo, exec_lo, s16
	s_mov_b32 s16, exec_lo
	v_cmpx_gt_u32_e64 s5, v36
	s_cbranch_execz .LBB2048_519
.LBB2048_544:                           ;   in Loop: Header=BB2048_510 Depth=2
	global_load_ushort v6, v81, s[14:15]
	s_or_b32 exec_lo, exec_lo, s16
	s_mov_b32 s16, exec_lo
	v_cmpx_gt_u32_e64 s5, v37
	s_cbranch_execz .LBB2048_520
.LBB2048_545:                           ;   in Loop: Header=BB2048_510 Depth=2
	global_load_ushort v5, v82, s[14:15]
	s_or_b32 exec_lo, exec_lo, s16
	s_mov_b32 s16, exec_lo
	v_cmpx_gt_u32_e64 s5, v38
	s_cbranch_execnz .LBB2048_521
	s_branch .LBB2048_522
.LBB2048_546:                           ;   in Loop: Header=BB2048_12 Depth=1
	v_mov_b32_e32 v3, 0
	s_waitcnt lgkmcnt(0)
	s_barrier
	buffer_gl0_inv
	s_and_saveexec_b32 s5, s7
	s_cbranch_execz .LBB2048_548
; %bb.547:                              ;   in Loop: Header=BB2048_12 Depth=1
	ds_read2_b64 v[5:8], v41 offset1:1
	s_waitcnt lgkmcnt(0)
	v_add_nc_u32_e32 v3, v6, v5
	v_add3_u32 v3, v3, v7, v8
.LBB2048_548:                           ;   in Loop: Header=BB2048_12 Depth=1
	s_or_b32 exec_lo, exec_lo, s5
	v_mov_b32_dpp v5, v3 row_shr:1 row_mask:0xf bank_mask:0xf
	v_cmp_eq_u32_e64 s5, 0, v63
	v_cmp_lt_u32_e64 s13, 1, v63
	v_cmp_lt_u32_e64 s14, 3, v63
	;; [unrolled: 1-line block ×3, first 2 shown]
	v_cmp_eq_u32_e64 s16, 0, v65
	v_cndmask_b32_e64 v5, v5, 0, s5
	v_add_nc_u32_e32 v3, v5, v3
	v_mov_b32_dpp v5, v3 row_shr:2 row_mask:0xf bank_mask:0xf
	v_cndmask_b32_e64 v5, 0, v5, s13
	v_add_nc_u32_e32 v3, v3, v5
	v_mov_b32_dpp v5, v3 row_shr:4 row_mask:0xf bank_mask:0xf
	v_cndmask_b32_e64 v5, 0, v5, s14
	v_add_nc_u32_e32 v3, v3, v5
	v_mov_b32_dpp v5, v3 row_shr:8 row_mask:0xf bank_mask:0xf
	v_cndmask_b32_e64 v5, 0, v5, s15
	v_add_nc_u32_e32 v3, v3, v5
	ds_swizzle_b32 v5, v3 offset:swizzle(BROADCAST,32,15)
	s_waitcnt lgkmcnt(0)
	v_and_b32_e32 v5, v64, v5
	v_add_nc_u32_e32 v3, v3, v5
	s_and_saveexec_b32 s17, s8
; %bb.549:                              ;   in Loop: Header=BB2048_12 Depth=1
	ds_write_b32 v42, v3
; %bb.550:                              ;   in Loop: Header=BB2048_12 Depth=1
	s_or_b32 exec_lo, exec_lo, s17
	s_waitcnt lgkmcnt(0)
	s_barrier
	buffer_gl0_inv
	s_and_saveexec_b32 s17, s9
	s_cbranch_execz .LBB2048_552
; %bb.551:                              ;   in Loop: Header=BB2048_12 Depth=1
	ds_read_b32 v5, v43
	v_cmp_ne_u32_e32 vcc_lo, 0, v67
	s_waitcnt lgkmcnt(0)
	v_mov_b32_dpp v6, v5 row_shr:1 row_mask:0xf bank_mask:0xf
	v_cndmask_b32_e32 v6, 0, v6, vcc_lo
	v_cmp_lt_u32_e32 vcc_lo, 1, v67
	v_add_nc_u32_e32 v5, v6, v5
	v_mov_b32_dpp v6, v5 row_shr:2 row_mask:0xf bank_mask:0xf
	v_cndmask_b32_e32 v6, 0, v6, vcc_lo
	v_cmp_lt_u32_e32 vcc_lo, 3, v67
	v_add_nc_u32_e32 v5, v5, v6
	v_mov_b32_dpp v6, v5 row_shr:4 row_mask:0xf bank_mask:0xf
	v_cndmask_b32_e32 v6, 0, v6, vcc_lo
	v_add_nc_u32_e32 v5, v5, v6
	ds_write_b32 v43, v5
.LBB2048_552:                           ;   in Loop: Header=BB2048_12 Depth=1
	s_or_b32 exec_lo, exec_lo, s17
	v_mov_b32_e32 v5, 0
	s_waitcnt lgkmcnt(0)
	s_barrier
	buffer_gl0_inv
	s_and_saveexec_b32 s17, s10
; %bb.553:                              ;   in Loop: Header=BB2048_12 Depth=1
	ds_read_b32 v5, v45
; %bb.554:                              ;   in Loop: Header=BB2048_12 Depth=1
	s_or_b32 exec_lo, exec_lo, s17
	v_cmp_gt_i32_e32 vcc_lo, 0, v68
	s_waitcnt lgkmcnt(0)
	v_add_nc_u32_e32 v3, v5, v3
	s_barrier
	buffer_gl0_inv
	v_cndmask_b32_e32 v6, v68, v59, vcc_lo
	v_lshlrev_b32_e32 v91, 2, v6
	ds_bpermute_b32 v3, v91, v3
	s_and_saveexec_b32 s17, s7
	s_cbranch_execz .LBB2048_556
; %bb.555:                              ;   in Loop: Header=BB2048_12 Depth=1
	s_waitcnt lgkmcnt(0)
	v_cndmask_b32_e64 v3, v3, v5, s12
	v_add_nc_u32_e32 v3, s29, v3
	ds_write_b32 v29, v3
.LBB2048_556:                           ;   in Loop: Header=BB2048_12 Depth=1
	s_or_b32 exec_lo, exec_lo, s17
	s_load_dwordx2 s[18:19], s[30:31], 0x0
	v_add_co_u32 v92, vcc_lo, v57, v69
	v_add_co_ci_u32_e64 v93, null, 0, v58, vcc_lo
	v_add_co_u32 v94, vcc_lo, v60, v77
	v_add_co_ci_u32_e64 v95, null, 0, v61, vcc_lo
	s_mov_b32 s48, s52
	s_mov_b32 s34, s29
                                        ; implicit-def: $vgpr7_vgpr8
                                        ; implicit-def: $vgpr9_vgpr10
                                        ; implicit-def: $vgpr11_vgpr12
                                        ; implicit-def: $vgpr13_vgpr14
                                        ; implicit-def: $vgpr15_vgpr16
                                        ; implicit-def: $vgpr17_vgpr18
                                        ; implicit-def: $vgpr19_vgpr20
                                        ; implicit-def: $vgpr97
                                        ; implicit-def: $vgpr98
                                        ; implicit-def: $vgpr99
                                        ; implicit-def: $vgpr100
                                        ; implicit-def: $vgpr101
                                        ; implicit-def: $vgpr102
                                        ; implicit-def: $vgpr103
                                        ; implicit-def: $vgpr104
	s_waitcnt lgkmcnt(0)
	s_cmp_lt_u32 s27, s19
	s_cselect_b32 s17, 14, 20
	s_add_u32 s20, s30, s17
	s_addc_u32 s21, s31, 0
	s_cmp_lt_u32 s6, s18
	global_load_ushort v3, v4, s[20:21]
	s_cselect_b32 s17, 12, 18
	s_add_u32 s18, s30, s17
	s_addc_u32 s19, s31, 0
	v_cmp_eq_u32_e64 s17, 0, v67
	global_load_ushort v5, v4, s[18:19]
	v_cmp_lt_u32_e64 s18, 1, v67
	v_cmp_lt_u32_e64 s19, 3, v67
	s_waitcnt vmcnt(1)
	v_mad_u32_u24 v3, v2, v3, v1
	s_waitcnt vmcnt(0)
	v_mad_u64_u32 v[5:6], null, v3, v5, v[0:1]
	v_lshrrev_b32_e32 v3, 3, v5
                                        ; implicit-def: $vgpr5_vgpr6
	v_and_b32_e32 v96, 0x1ffffffc, v3
	s_branch .LBB2048_558
.LBB2048_557:                           ;   in Loop: Header=BB2048_558 Depth=2
	s_or_b32 exec_lo, exec_lo, s20
	s_addk_i32 s48, 0xf800
	s_cmp_lt_u32 s53, s33
	s_mov_b32 s34, s53
	s_cbranch_scc0 .LBB2048_10
.LBB2048_558:                           ;   Parent Loop BB2048_12 Depth=1
                                        ; =>  This Inner Loop Header: Depth=2
	s_add_i32 s53, s34, 0x800
	s_cmp_gt_u32 s53, s33
	s_cbranch_scc1 .LBB2048_560
; %bb.559:                              ;   in Loop: Header=BB2048_558 Depth=2
	s_lshl_b64 s[20:21], s[34:35], 1
	v_add_co_u32 v21, vcc_lo, v94, s20
	v_add_co_ci_u32_e64 v22, null, s21, v95, vcc_lo
	s_mov_b32 s20, -1
	s_clause 0x6
	global_load_ushort v3, v[21:22], off
	global_load_ushort v28, v[21:22], off offset:64
	global_load_ushort v27, v[21:22], off offset:128
	;; [unrolled: 1-line block ×6, first 2 shown]
	s_movk_i32 s21, 0x800
	s_cbranch_execz .LBB2048_561
	s_branch .LBB2048_576
.LBB2048_560:                           ;   in Loop: Header=BB2048_558 Depth=2
	s_mov_b32 s20, 0
                                        ; implicit-def: $vgpr3
                                        ; implicit-def: $vgpr28
                                        ; implicit-def: $vgpr27
                                        ; implicit-def: $vgpr26
                                        ; implicit-def: $vgpr25
                                        ; implicit-def: $vgpr24
                                        ; implicit-def: $vgpr23
	s_movk_i32 s21, 0x800
.LBB2048_561:                           ;   in Loop: Header=BB2048_558 Depth=2
	s_lshl_b64 s[20:21], s[34:35], 1
	s_waitcnt vmcnt(5)
	v_mov_b32_e32 v28, 0x7fff
	v_add_co_u32 v21, vcc_lo, v94, s20
	v_add_co_ci_u32_e64 v22, null, s21, v95, vcc_lo
	v_mov_b32_e32 v3, 0x7fff
	s_mov_b32 s20, exec_lo
	v_cmpx_gt_u32_e64 s48, v66
	s_cbranch_execz .LBB2048_563
; %bb.562:                              ;   in Loop: Header=BB2048_558 Depth=2
	global_load_ushort v3, v[21:22], off
.LBB2048_563:                           ;   in Loop: Header=BB2048_558 Depth=2
	s_or_b32 exec_lo, exec_lo, s20
	s_mov_b32 s20, exec_lo
	v_cmpx_gt_u32_e64 s48, v70
	s_cbranch_execz .LBB2048_565
; %bb.564:                              ;   in Loop: Header=BB2048_558 Depth=2
	global_load_ushort v28, v[21:22], off offset:64
.LBB2048_565:                           ;   in Loop: Header=BB2048_558 Depth=2
	s_or_b32 exec_lo, exec_lo, s20
	s_waitcnt vmcnt(3)
	v_mov_b32_e32 v26, 0x7fff
	v_mov_b32_e32 v27, 0x7fff
	s_mov_b32 s20, exec_lo
	v_cmpx_gt_u32_e64 s48, v71
	s_cbranch_execz .LBB2048_567
; %bb.566:                              ;   in Loop: Header=BB2048_558 Depth=2
	global_load_ushort v27, v[21:22], off offset:128
.LBB2048_567:                           ;   in Loop: Header=BB2048_558 Depth=2
	s_or_b32 exec_lo, exec_lo, s20
	s_mov_b32 s20, exec_lo
	v_cmpx_gt_u32_e64 s48, v72
	s_cbranch_execz .LBB2048_569
; %bb.568:                              ;   in Loop: Header=BB2048_558 Depth=2
	global_load_ushort v26, v[21:22], off offset:192
.LBB2048_569:                           ;   in Loop: Header=BB2048_558 Depth=2
	s_or_b32 exec_lo, exec_lo, s20
	s_waitcnt vmcnt(1)
	v_mov_b32_e32 v24, 0x7fff
	v_mov_b32_e32 v25, 0x7fff
	s_mov_b32 s20, exec_lo
	v_cmpx_gt_u32_e64 s48, v73
	s_cbranch_execz .LBB2048_571
; %bb.570:                              ;   in Loop: Header=BB2048_558 Depth=2
	global_load_ushort v25, v[21:22], off offset:256
.LBB2048_571:                           ;   in Loop: Header=BB2048_558 Depth=2
	s_or_b32 exec_lo, exec_lo, s20
	s_mov_b32 s20, exec_lo
	v_cmpx_gt_u32_e64 s48, v74
	s_cbranch_execz .LBB2048_573
; %bb.572:                              ;   in Loop: Header=BB2048_558 Depth=2
	global_load_ushort v24, v[21:22], off offset:320
.LBB2048_573:                           ;   in Loop: Header=BB2048_558 Depth=2
	s_or_b32 exec_lo, exec_lo, s20
	s_waitcnt vmcnt(0)
	v_mov_b32_e32 v23, 0x7fff
	s_mov_b32 s20, exec_lo
	v_cmpx_gt_u32_e64 s48, v75
	s_cbranch_execz .LBB2048_575
; %bb.574:                              ;   in Loop: Header=BB2048_558 Depth=2
	global_load_ushort v23, v[21:22], off offset:384
.LBB2048_575:                           ;   in Loop: Header=BB2048_558 Depth=2
	s_or_b32 exec_lo, exec_lo, s20
	v_cmp_gt_u32_e64 s20, s48, v76
	s_sub_i32 s21, s33, s34
.LBB2048_576:                           ;   in Loop: Header=BB2048_558 Depth=2
	v_mov_b32_e32 v21, 0x7fff
	v_mov_b32_e32 v105, s48
	s_and_saveexec_b32 s22, s20
	s_cbranch_execz .LBB2048_578
; %bb.577:                              ;   in Loop: Header=BB2048_558 Depth=2
	s_lshl_b64 s[24:25], s[34:35], 1
	v_mov_b32_e32 v105, s21
	v_add_co_u32 v21, vcc_lo, v94, s24
	v_add_co_ci_u32_e64 v22, null, s25, v95, vcc_lo
	global_load_ushort v21, v[21:22], off offset:448
.LBB2048_578:                           ;   in Loop: Header=BB2048_558 Depth=2
	s_or_b32 exec_lo, exec_lo, s22
	s_waitcnt vmcnt(6)
	v_cmp_lt_i16_e32 vcc_lo, -1, v3
	ds_write2_b32 v78, v4, v4 offset1:1
	ds_write2_b32 v88, v4, v4 offset1:1
	;; [unrolled: 1-line block ×4, first 2 shown]
	ds_write_b32 v44, v4 offset:1088
	s_waitcnt vmcnt(0) lgkmcnt(0)
	s_barrier
	v_cndmask_b32_e64 v22, -1, 0xffff8000, vcc_lo
	buffer_gl0_inv
	; wave barrier
	v_xor_b32_e32 v3, v22, v3
	v_cmp_ne_u16_e32 vcc_lo, 0x7fff, v3
	v_cndmask_b32_e32 v22, 0xffff8000, v3, vcc_lo
	v_lshrrev_b32_sdwa v22, s49, v22 dst_sel:DWORD dst_unused:UNUSED_PAD src0_sel:DWORD src1_sel:WORD_0
	v_and_b32_e32 v107, s43, v22
	v_and_b32_e32 v22, 1, v107
	v_lshlrev_b32_e32 v106, 30, v107
	v_lshlrev_b32_e32 v108, 29, v107
	;; [unrolled: 1-line block ×4, first 2 shown]
	v_add_co_u32 v22, s20, v22, -1
	v_cndmask_b32_e64 v110, 0, 1, s20
	v_not_b32_e32 v114, v106
	v_cmp_gt_i32_e64 s20, 0, v106
	v_not_b32_e32 v106, v108
	v_lshlrev_b32_e32 v112, 26, v107
	v_cmp_ne_u32_e32 vcc_lo, 0, v110
	v_ashrrev_i32_e32 v114, 31, v114
	v_lshlrev_b32_e32 v113, 25, v107
	v_ashrrev_i32_e32 v106, 31, v106
	v_lshlrev_b32_e32 v110, 24, v107
	v_xor_b32_e32 v22, vcc_lo, v22
	v_cmp_gt_i32_e32 vcc_lo, 0, v108
	v_not_b32_e32 v108, v109
	v_xor_b32_e32 v114, s20, v114
	v_cmp_gt_i32_e64 s20, 0, v109
	v_and_b32_e32 v22, exec_lo, v22
	v_not_b32_e32 v109, v111
	v_ashrrev_i32_e32 v108, 31, v108
	v_xor_b32_e32 v106, vcc_lo, v106
	v_cmp_gt_i32_e32 vcc_lo, 0, v111
	v_and_b32_e32 v22, v22, v114
	v_not_b32_e32 v111, v112
	v_ashrrev_i32_e32 v109, 31, v109
	v_xor_b32_e32 v108, s20, v108
	v_cmp_gt_i32_e64 s20, 0, v112
	v_and_b32_e32 v22, v22, v106
	v_not_b32_e32 v106, v113
	v_ashrrev_i32_e32 v111, 31, v111
	v_xor_b32_e32 v109, vcc_lo, v109
	v_cmp_gt_i32_e32 vcc_lo, 0, v113
	v_and_b32_e32 v22, v22, v108
	v_not_b32_e32 v108, v110
	v_ashrrev_i32_e32 v106, 31, v106
	v_xor_b32_e32 v111, s20, v111
	v_cmp_gt_i32_e64 s20, 0, v110
	v_and_b32_e32 v22, v22, v109
	v_ashrrev_i32_e32 v108, 31, v108
	v_xor_b32_e32 v106, vcc_lo, v106
	v_mul_u32_u24_e32 v107, 36, v107
	v_and_b32_e32 v22, v22, v111
	v_xor_b32_e32 v108, s20, v108
	v_and_b32_e32 v22, v22, v106
	v_and_b32_e32 v22, v22, v108
	v_add_nc_u32_e32 v108, v96, v107
	v_mbcnt_lo_u32_b32 v106, v22, 0
	v_cmp_ne_u32_e64 s20, 0, v22
	v_cmp_eq_u32_e32 vcc_lo, 0, v106
	s_and_b32 s21, s20, vcc_lo
	s_and_saveexec_b32 s20, s21
; %bb.579:                              ;   in Loop: Header=BB2048_558 Depth=2
	v_bcnt_u32_b32 v22, v22, 0
	ds_write_b32 v108, v22 offset:1056
; %bb.580:                              ;   in Loop: Header=BB2048_558 Depth=2
	s_or_b32 exec_lo, exec_lo, s20
	v_cmp_lt_i16_e32 vcc_lo, -1, v28
	; wave barrier
	v_cndmask_b32_e64 v22, -1, 0xffff8000, vcc_lo
	v_xor_b32_e32 v107, v22, v28
	v_cmp_ne_u16_e32 vcc_lo, 0x7fff, v107
	v_cndmask_b32_e32 v22, 0xffff8000, v107, vcc_lo
	v_lshrrev_b32_sdwa v22, s49, v22 dst_sel:DWORD dst_unused:UNUSED_PAD src0_sel:DWORD src1_sel:WORD_0
	v_and_b32_e32 v28, s43, v22
	v_and_b32_e32 v22, 1, v28
	v_lshlrev_b32_e32 v109, 30, v28
	v_lshlrev_b32_e32 v110, 29, v28
	;; [unrolled: 1-line block ×4, first 2 shown]
	v_add_co_u32 v22, s20, v22, -1
	v_cndmask_b32_e64 v112, 0, 1, s20
	v_not_b32_e32 v116, v109
	v_cmp_gt_i32_e64 s20, 0, v109
	v_not_b32_e32 v109, v110
	v_lshlrev_b32_e32 v114, 26, v28
	v_cmp_ne_u32_e32 vcc_lo, 0, v112
	v_ashrrev_i32_e32 v116, 31, v116
	v_lshlrev_b32_e32 v115, 25, v28
	v_ashrrev_i32_e32 v109, 31, v109
	v_lshlrev_b32_e32 v112, 24, v28
	v_xor_b32_e32 v22, vcc_lo, v22
	v_cmp_gt_i32_e32 vcc_lo, 0, v110
	v_not_b32_e32 v110, v111
	v_xor_b32_e32 v116, s20, v116
	v_cmp_gt_i32_e64 s20, 0, v111
	v_and_b32_e32 v22, exec_lo, v22
	v_not_b32_e32 v111, v113
	v_ashrrev_i32_e32 v110, 31, v110
	v_xor_b32_e32 v109, vcc_lo, v109
	v_cmp_gt_i32_e32 vcc_lo, 0, v113
	v_and_b32_e32 v22, v22, v116
	v_not_b32_e32 v113, v114
	v_ashrrev_i32_e32 v111, 31, v111
	v_xor_b32_e32 v110, s20, v110
	v_cmp_gt_i32_e64 s20, 0, v114
	v_and_b32_e32 v22, v22, v109
	v_not_b32_e32 v109, v115
	v_ashrrev_i32_e32 v113, 31, v113
	v_xor_b32_e32 v111, vcc_lo, v111
	v_cmp_gt_i32_e32 vcc_lo, 0, v115
	v_and_b32_e32 v22, v22, v110
	v_not_b32_e32 v110, v112
	v_ashrrev_i32_e32 v109, 31, v109
	v_xor_b32_e32 v113, s20, v113
	v_cmp_gt_i32_e64 s20, 0, v112
	v_and_b32_e32 v22, v22, v111
	v_ashrrev_i32_e32 v110, 31, v110
	v_xor_b32_e32 v109, vcc_lo, v109
	v_mad_u32_u24 v111, v28, 36, v96
	v_mul_u32_u24_e32 v28, 36, v28
	v_and_b32_e32 v22, v22, v113
	v_xor_b32_e32 v110, s20, v110
	v_add_nc_u32_e32 v112, v96, v28
	v_and_b32_e32 v22, v22, v109
	ds_read_b32 v109, v111 offset:1056
	; wave barrier
	v_and_b32_e32 v22, v22, v110
	v_mbcnt_lo_u32_b32 v110, v22, 0
	v_cmp_ne_u32_e64 s20, 0, v22
	v_cmp_eq_u32_e32 vcc_lo, 0, v110
	s_and_b32 s21, s20, vcc_lo
	s_and_saveexec_b32 s20, s21
	s_cbranch_execz .LBB2048_582
; %bb.581:                              ;   in Loop: Header=BB2048_558 Depth=2
	s_waitcnt lgkmcnt(0)
	v_bcnt_u32_b32 v22, v22, v109
	ds_write_b32 v112, v22 offset:1056
.LBB2048_582:                           ;   in Loop: Header=BB2048_558 Depth=2
	s_or_b32 exec_lo, exec_lo, s20
	v_cmp_lt_i16_e32 vcc_lo, -1, v27
	; wave barrier
	v_cndmask_b32_e64 v22, -1, 0xffff8000, vcc_lo
	v_xor_b32_e32 v111, v22, v27
	v_cmp_ne_u16_e32 vcc_lo, 0x7fff, v111
	v_cndmask_b32_e32 v22, 0xffff8000, v111, vcc_lo
	v_lshrrev_b32_sdwa v22, s49, v22 dst_sel:DWORD dst_unused:UNUSED_PAD src0_sel:DWORD src1_sel:WORD_0
	v_and_b32_e32 v27, s43, v22
	v_and_b32_e32 v22, 1, v27
	v_lshlrev_b32_e32 v28, 30, v27
	v_lshlrev_b32_e32 v113, 29, v27
	v_lshlrev_b32_e32 v114, 28, v27
	v_lshlrev_b32_e32 v116, 27, v27
	v_add_co_u32 v22, s20, v22, -1
	v_cndmask_b32_e64 v115, 0, 1, s20
	v_not_b32_e32 v119, v28
	v_cmp_gt_i32_e64 s20, 0, v28
	v_not_b32_e32 v28, v113
	v_lshlrev_b32_e32 v117, 26, v27
	v_cmp_ne_u32_e32 vcc_lo, 0, v115
	v_ashrrev_i32_e32 v119, 31, v119
	v_lshlrev_b32_e32 v118, 25, v27
	v_ashrrev_i32_e32 v28, 31, v28
	v_lshlrev_b32_e32 v115, 24, v27
	v_xor_b32_e32 v22, vcc_lo, v22
	v_cmp_gt_i32_e32 vcc_lo, 0, v113
	v_not_b32_e32 v113, v114
	v_xor_b32_e32 v119, s20, v119
	v_cmp_gt_i32_e64 s20, 0, v114
	v_and_b32_e32 v22, exec_lo, v22
	v_not_b32_e32 v114, v116
	v_ashrrev_i32_e32 v113, 31, v113
	v_xor_b32_e32 v28, vcc_lo, v28
	v_cmp_gt_i32_e32 vcc_lo, 0, v116
	v_and_b32_e32 v22, v22, v119
	v_not_b32_e32 v116, v117
	v_ashrrev_i32_e32 v114, 31, v114
	v_xor_b32_e32 v113, s20, v113
	v_cmp_gt_i32_e64 s20, 0, v117
	v_and_b32_e32 v22, v22, v28
	v_not_b32_e32 v28, v118
	v_ashrrev_i32_e32 v116, 31, v116
	v_xor_b32_e32 v114, vcc_lo, v114
	v_cmp_gt_i32_e32 vcc_lo, 0, v118
	v_and_b32_e32 v22, v22, v113
	v_not_b32_e32 v113, v115
	v_ashrrev_i32_e32 v28, 31, v28
	v_xor_b32_e32 v116, s20, v116
	v_cmp_gt_i32_e64 s20, 0, v115
	v_and_b32_e32 v22, v22, v114
	v_ashrrev_i32_e32 v113, 31, v113
	v_xor_b32_e32 v28, vcc_lo, v28
	v_mad_u32_u24 v114, v27, 36, v96
	v_mul_u32_u24_e32 v27, 36, v27
	v_and_b32_e32 v22, v22, v116
	v_xor_b32_e32 v115, s20, v113
	ds_read_b32 v113, v114 offset:1056
	v_add_nc_u32_e32 v116, v96, v27
	v_and_b32_e32 v22, v22, v28
	; wave barrier
	v_and_b32_e32 v22, v22, v115
	v_mbcnt_lo_u32_b32 v115, v22, 0
	v_cmp_ne_u32_e64 s20, 0, v22
	v_cmp_eq_u32_e32 vcc_lo, 0, v115
	s_and_b32 s21, s20, vcc_lo
	s_and_saveexec_b32 s20, s21
	s_cbranch_execz .LBB2048_584
; %bb.583:                              ;   in Loop: Header=BB2048_558 Depth=2
	s_waitcnt lgkmcnt(0)
	v_bcnt_u32_b32 v22, v22, v113
	ds_write_b32 v116, v22 offset:1056
.LBB2048_584:                           ;   in Loop: Header=BB2048_558 Depth=2
	s_or_b32 exec_lo, exec_lo, s20
	v_cmp_lt_i16_e32 vcc_lo, -1, v26
	; wave barrier
	v_cndmask_b32_e64 v22, -1, 0xffff8000, vcc_lo
	v_xor_b32_e32 v114, v22, v26
	v_cmp_ne_u16_e32 vcc_lo, 0x7fff, v114
	v_cndmask_b32_e32 v22, 0xffff8000, v114, vcc_lo
	v_lshrrev_b32_sdwa v22, s49, v22 dst_sel:DWORD dst_unused:UNUSED_PAD src0_sel:DWORD src1_sel:WORD_0
	v_and_b32_e32 v26, s43, v22
	v_and_b32_e32 v22, 1, v26
	v_lshlrev_b32_e32 v27, 30, v26
	v_lshlrev_b32_e32 v28, 29, v26
	v_lshlrev_b32_e32 v117, 28, v26
	v_lshlrev_b32_e32 v119, 27, v26
	v_add_co_u32 v22, s20, v22, -1
	v_cndmask_b32_e64 v118, 0, 1, s20
	v_not_b32_e32 v122, v27
	v_cmp_gt_i32_e64 s20, 0, v27
	v_not_b32_e32 v27, v28
	v_lshlrev_b32_e32 v120, 26, v26
	v_cmp_ne_u32_e32 vcc_lo, 0, v118
	v_ashrrev_i32_e32 v122, 31, v122
	v_lshlrev_b32_e32 v121, 25, v26
	v_ashrrev_i32_e32 v27, 31, v27
	v_lshlrev_b32_e32 v118, 24, v26
	v_xor_b32_e32 v22, vcc_lo, v22
	v_cmp_gt_i32_e32 vcc_lo, 0, v28
	v_not_b32_e32 v28, v117
	v_xor_b32_e32 v122, s20, v122
	v_cmp_gt_i32_e64 s20, 0, v117
	v_and_b32_e32 v22, exec_lo, v22
	v_not_b32_e32 v117, v119
	v_ashrrev_i32_e32 v28, 31, v28
	v_xor_b32_e32 v27, vcc_lo, v27
	v_cmp_gt_i32_e32 vcc_lo, 0, v119
	v_and_b32_e32 v22, v22, v122
	v_not_b32_e32 v119, v120
	v_ashrrev_i32_e32 v117, 31, v117
	v_xor_b32_e32 v28, s20, v28
	v_cmp_gt_i32_e64 s20, 0, v120
	v_and_b32_e32 v22, v22, v27
	v_not_b32_e32 v27, v121
	v_ashrrev_i32_e32 v119, 31, v119
	v_xor_b32_e32 v117, vcc_lo, v117
	v_cmp_gt_i32_e32 vcc_lo, 0, v121
	v_and_b32_e32 v22, v22, v28
	v_not_b32_e32 v28, v118
	v_ashrrev_i32_e32 v27, 31, v27
	v_xor_b32_e32 v119, s20, v119
	v_cmp_gt_i32_e64 s20, 0, v118
	v_and_b32_e32 v22, v22, v117
	v_ashrrev_i32_e32 v28, 31, v28
	v_xor_b32_e32 v27, vcc_lo, v27
	v_mad_u32_u24 v117, v26, 36, v96
	v_mul_u32_u24_e32 v26, 36, v26
	v_and_b32_e32 v22, v22, v119
	v_xor_b32_e32 v28, s20, v28
	ds_read_b32 v117, v117 offset:1056
	v_add_nc_u32_e32 v120, v96, v26
	v_and_b32_e32 v22, v22, v27
	; wave barrier
	v_and_b32_e32 v22, v22, v28
	v_mbcnt_lo_u32_b32 v119, v22, 0
	v_cmp_ne_u32_e64 s20, 0, v22
	v_cmp_eq_u32_e32 vcc_lo, 0, v119
	s_and_b32 s21, s20, vcc_lo
	s_and_saveexec_b32 s20, s21
	s_cbranch_execz .LBB2048_586
; %bb.585:                              ;   in Loop: Header=BB2048_558 Depth=2
	s_waitcnt lgkmcnt(0)
	v_bcnt_u32_b32 v22, v22, v117
	ds_write_b32 v120, v22 offset:1056
.LBB2048_586:                           ;   in Loop: Header=BB2048_558 Depth=2
	s_or_b32 exec_lo, exec_lo, s20
	v_cmp_lt_i16_e32 vcc_lo, -1, v25
	; wave barrier
	v_cndmask_b32_e64 v22, -1, 0xffff8000, vcc_lo
	v_xor_b32_e32 v118, v22, v25
	v_cmp_ne_u16_e32 vcc_lo, 0x7fff, v118
	v_cndmask_b32_e32 v22, 0xffff8000, v118, vcc_lo
	v_lshrrev_b32_sdwa v22, s49, v22 dst_sel:DWORD dst_unused:UNUSED_PAD src0_sel:DWORD src1_sel:WORD_0
	v_and_b32_e32 v25, s43, v22
	v_and_b32_e32 v22, 1, v25
	v_lshlrev_b32_e32 v26, 30, v25
	v_lshlrev_b32_e32 v27, 29, v25
	v_lshlrev_b32_e32 v28, 28, v25
	v_lshlrev_b32_e32 v122, 27, v25
	v_add_co_u32 v22, s20, v22, -1
	v_cndmask_b32_e64 v121, 0, 1, s20
	v_not_b32_e32 v125, v26
	v_cmp_gt_i32_e64 s20, 0, v26
	v_not_b32_e32 v26, v27
	v_lshlrev_b32_e32 v123, 26, v25
	v_cmp_ne_u32_e32 vcc_lo, 0, v121
	v_ashrrev_i32_e32 v125, 31, v125
	v_lshlrev_b32_e32 v124, 25, v25
	v_ashrrev_i32_e32 v26, 31, v26
	v_lshlrev_b32_e32 v121, 24, v25
	v_xor_b32_e32 v22, vcc_lo, v22
	v_cmp_gt_i32_e32 vcc_lo, 0, v27
	v_not_b32_e32 v27, v28
	v_xor_b32_e32 v125, s20, v125
	v_cmp_gt_i32_e64 s20, 0, v28
	v_and_b32_e32 v22, exec_lo, v22
	v_not_b32_e32 v28, v122
	v_ashrrev_i32_e32 v27, 31, v27
	v_xor_b32_e32 v26, vcc_lo, v26
	v_cmp_gt_i32_e32 vcc_lo, 0, v122
	v_and_b32_e32 v22, v22, v125
	v_not_b32_e32 v122, v123
	v_ashrrev_i32_e32 v28, 31, v28
	v_xor_b32_e32 v27, s20, v27
	v_cmp_gt_i32_e64 s20, 0, v123
	v_and_b32_e32 v22, v22, v26
	v_not_b32_e32 v26, v124
	v_ashrrev_i32_e32 v122, 31, v122
	v_xor_b32_e32 v28, vcc_lo, v28
	v_cmp_gt_i32_e32 vcc_lo, 0, v124
	v_and_b32_e32 v22, v22, v27
	v_not_b32_e32 v27, v121
	v_ashrrev_i32_e32 v26, 31, v26
	v_xor_b32_e32 v122, s20, v122
	v_cmp_gt_i32_e64 s20, 0, v121
	v_and_b32_e32 v22, v22, v28
	v_ashrrev_i32_e32 v27, 31, v27
	v_xor_b32_e32 v26, vcc_lo, v26
	v_mad_u32_u24 v28, v25, 36, v96
	v_mul_u32_u24_e32 v25, 36, v25
	v_and_b32_e32 v22, v22, v122
	v_xor_b32_e32 v27, s20, v27
	ds_read_b32 v121, v28 offset:1056
	v_add_nc_u32_e32 v124, v96, v25
	v_and_b32_e32 v22, v22, v26
	; wave barrier
	v_and_b32_e32 v22, v22, v27
	v_mbcnt_lo_u32_b32 v123, v22, 0
	v_cmp_ne_u32_e64 s20, 0, v22
	v_cmp_eq_u32_e32 vcc_lo, 0, v123
	s_and_b32 s21, s20, vcc_lo
	s_and_saveexec_b32 s20, s21
	s_cbranch_execz .LBB2048_588
; %bb.587:                              ;   in Loop: Header=BB2048_558 Depth=2
	s_waitcnt lgkmcnt(0)
	v_bcnt_u32_b32 v22, v22, v121
	ds_write_b32 v124, v22 offset:1056
.LBB2048_588:                           ;   in Loop: Header=BB2048_558 Depth=2
	s_or_b32 exec_lo, exec_lo, s20
	v_cmp_lt_i16_e32 vcc_lo, -1, v24
	; wave barrier
	v_cndmask_b32_e64 v22, -1, 0xffff8000, vcc_lo
	v_xor_b32_e32 v122, v22, v24
	v_cmp_ne_u16_e32 vcc_lo, 0x7fff, v122
	v_cndmask_b32_e32 v22, 0xffff8000, v122, vcc_lo
	v_lshrrev_b32_sdwa v22, s49, v22 dst_sel:DWORD dst_unused:UNUSED_PAD src0_sel:DWORD src1_sel:WORD_0
	v_and_b32_e32 v24, s43, v22
	v_and_b32_e32 v22, 1, v24
	v_lshlrev_b32_e32 v25, 30, v24
	v_lshlrev_b32_e32 v26, 29, v24
	;; [unrolled: 1-line block ×4, first 2 shown]
	v_add_co_u32 v22, s20, v22, -1
	v_cndmask_b32_e64 v28, 0, 1, s20
	v_not_b32_e32 v128, v25
	v_cmp_gt_i32_e64 s20, 0, v25
	v_not_b32_e32 v25, v26
	v_lshlrev_b32_e32 v126, 26, v24
	v_cmp_ne_u32_e32 vcc_lo, 0, v28
	v_ashrrev_i32_e32 v128, 31, v128
	v_lshlrev_b32_e32 v127, 25, v24
	v_ashrrev_i32_e32 v25, 31, v25
	v_lshlrev_b32_e32 v28, 24, v24
	v_xor_b32_e32 v22, vcc_lo, v22
	v_cmp_gt_i32_e32 vcc_lo, 0, v26
	v_not_b32_e32 v26, v27
	v_xor_b32_e32 v128, s20, v128
	v_cmp_gt_i32_e64 s20, 0, v27
	v_and_b32_e32 v22, exec_lo, v22
	v_not_b32_e32 v27, v125
	v_ashrrev_i32_e32 v26, 31, v26
	v_xor_b32_e32 v25, vcc_lo, v25
	v_cmp_gt_i32_e32 vcc_lo, 0, v125
	v_and_b32_e32 v22, v22, v128
	v_not_b32_e32 v125, v126
	v_ashrrev_i32_e32 v27, 31, v27
	v_xor_b32_e32 v26, s20, v26
	v_cmp_gt_i32_e64 s20, 0, v126
	v_and_b32_e32 v22, v22, v25
	v_not_b32_e32 v25, v127
	v_ashrrev_i32_e32 v125, 31, v125
	v_xor_b32_e32 v27, vcc_lo, v27
	v_cmp_gt_i32_e32 vcc_lo, 0, v127
	v_and_b32_e32 v22, v22, v26
	v_not_b32_e32 v26, v28
	v_ashrrev_i32_e32 v25, 31, v25
	v_xor_b32_e32 v125, s20, v125
	v_cmp_gt_i32_e64 s20, 0, v28
	v_and_b32_e32 v22, v22, v27
	v_ashrrev_i32_e32 v26, 31, v26
	v_xor_b32_e32 v25, vcc_lo, v25
	v_mad_u32_u24 v27, v24, 36, v96
	v_mul_u32_u24_e32 v24, 36, v24
	v_and_b32_e32 v22, v22, v125
	v_xor_b32_e32 v26, s20, v26
	ds_read_b32 v125, v27 offset:1056
	v_add_nc_u32_e32 v128, v96, v24
	v_and_b32_e32 v22, v22, v25
	; wave barrier
	v_and_b32_e32 v22, v22, v26
	v_mbcnt_lo_u32_b32 v127, v22, 0
	v_cmp_ne_u32_e64 s20, 0, v22
	v_cmp_eq_u32_e32 vcc_lo, 0, v127
	s_and_b32 s21, s20, vcc_lo
	s_and_saveexec_b32 s20, s21
	s_cbranch_execz .LBB2048_590
; %bb.589:                              ;   in Loop: Header=BB2048_558 Depth=2
	s_waitcnt lgkmcnt(0)
	v_bcnt_u32_b32 v22, v22, v125
	ds_write_b32 v128, v22 offset:1056
.LBB2048_590:                           ;   in Loop: Header=BB2048_558 Depth=2
	s_or_b32 exec_lo, exec_lo, s20
	v_cmp_lt_i16_e32 vcc_lo, -1, v23
	; wave barrier
	v_cndmask_b32_e64 v22, -1, 0xffff8000, vcc_lo
	v_xor_b32_e32 v126, v22, v23
	v_cmp_ne_u16_e32 vcc_lo, 0x7fff, v126
	v_cndmask_b32_e32 v22, 0xffff8000, v126, vcc_lo
	v_lshrrev_b32_sdwa v22, s49, v22 dst_sel:DWORD dst_unused:UNUSED_PAD src0_sel:DWORD src1_sel:WORD_0
	v_and_b32_e32 v23, s43, v22
	v_and_b32_e32 v22, 1, v23
	v_lshlrev_b32_e32 v24, 30, v23
	v_lshlrev_b32_e32 v25, 29, v23
	;; [unrolled: 1-line block ×4, first 2 shown]
	v_add_co_u32 v22, s20, v22, -1
	v_cndmask_b32_e64 v27, 0, 1, s20
	v_not_b32_e32 v131, v24
	v_cmp_gt_i32_e64 s20, 0, v24
	v_not_b32_e32 v24, v25
	v_lshlrev_b32_e32 v129, 26, v23
	v_cmp_ne_u32_e32 vcc_lo, 0, v27
	v_ashrrev_i32_e32 v131, 31, v131
	v_lshlrev_b32_e32 v130, 25, v23
	v_ashrrev_i32_e32 v24, 31, v24
	v_lshlrev_b32_e32 v27, 24, v23
	v_xor_b32_e32 v22, vcc_lo, v22
	v_cmp_gt_i32_e32 vcc_lo, 0, v25
	v_not_b32_e32 v25, v26
	v_xor_b32_e32 v131, s20, v131
	v_cmp_gt_i32_e64 s20, 0, v26
	v_and_b32_e32 v22, exec_lo, v22
	v_not_b32_e32 v26, v28
	v_ashrrev_i32_e32 v25, 31, v25
	v_xor_b32_e32 v24, vcc_lo, v24
	v_cmp_gt_i32_e32 vcc_lo, 0, v28
	v_and_b32_e32 v22, v22, v131
	v_not_b32_e32 v28, v129
	v_ashrrev_i32_e32 v26, 31, v26
	v_xor_b32_e32 v25, s20, v25
	v_cmp_gt_i32_e64 s20, 0, v129
	v_and_b32_e32 v22, v22, v24
	v_not_b32_e32 v24, v130
	v_ashrrev_i32_e32 v28, 31, v28
	v_xor_b32_e32 v26, vcc_lo, v26
	v_cmp_gt_i32_e32 vcc_lo, 0, v130
	v_and_b32_e32 v22, v22, v25
	v_not_b32_e32 v25, v27
	v_ashrrev_i32_e32 v24, 31, v24
	v_xor_b32_e32 v28, s20, v28
	v_cmp_gt_i32_e64 s20, 0, v27
	v_and_b32_e32 v22, v22, v26
	v_ashrrev_i32_e32 v25, 31, v25
	v_xor_b32_e32 v24, vcc_lo, v24
	v_mad_u32_u24 v26, v23, 36, v96
	v_mul_u32_u24_e32 v23, 36, v23
	v_and_b32_e32 v22, v22, v28
	v_xor_b32_e32 v25, s20, v25
	ds_read_b32 v129, v26 offset:1056
	v_add_nc_u32_e32 v132, v96, v23
	v_and_b32_e32 v22, v22, v24
	; wave barrier
	v_and_b32_e32 v22, v22, v25
	v_mbcnt_lo_u32_b32 v131, v22, 0
	v_cmp_ne_u32_e64 s20, 0, v22
	v_cmp_eq_u32_e32 vcc_lo, 0, v131
	s_and_b32 s21, s20, vcc_lo
	s_and_saveexec_b32 s20, s21
	s_cbranch_execz .LBB2048_592
; %bb.591:                              ;   in Loop: Header=BB2048_558 Depth=2
	s_waitcnt lgkmcnt(0)
	v_bcnt_u32_b32 v22, v22, v129
	ds_write_b32 v132, v22 offset:1056
.LBB2048_592:                           ;   in Loop: Header=BB2048_558 Depth=2
	s_or_b32 exec_lo, exec_lo, s20
	v_cmp_lt_i16_e32 vcc_lo, -1, v21
	; wave barrier
	v_cndmask_b32_e64 v22, -1, 0xffff8000, vcc_lo
	v_xor_b32_e32 v130, v22, v21
	v_cmp_ne_u16_e32 vcc_lo, 0x7fff, v130
	v_cndmask_b32_e32 v21, 0xffff8000, v130, vcc_lo
	v_lshrrev_b32_sdwa v21, s49, v21 dst_sel:DWORD dst_unused:UNUSED_PAD src0_sel:DWORD src1_sel:WORD_0
	v_and_b32_e32 v22, s43, v21
	v_and_b32_e32 v21, 1, v22
	v_lshlrev_b32_e32 v23, 30, v22
	v_lshlrev_b32_e32 v24, 29, v22
	;; [unrolled: 1-line block ×4, first 2 shown]
	v_add_co_u32 v21, s20, v21, -1
	v_cndmask_b32_e64 v26, 0, 1, s20
	v_not_b32_e32 v134, v23
	v_cmp_gt_i32_e64 s20, 0, v23
	v_not_b32_e32 v23, v24
	v_lshlrev_b32_e32 v28, 26, v22
	v_cmp_ne_u32_e32 vcc_lo, 0, v26
	v_ashrrev_i32_e32 v134, 31, v134
	v_lshlrev_b32_e32 v133, 25, v22
	v_ashrrev_i32_e32 v23, 31, v23
	v_lshlrev_b32_e32 v26, 24, v22
	v_xor_b32_e32 v21, vcc_lo, v21
	v_cmp_gt_i32_e32 vcc_lo, 0, v24
	v_not_b32_e32 v24, v25
	v_xor_b32_e32 v134, s20, v134
	v_cmp_gt_i32_e64 s20, 0, v25
	v_and_b32_e32 v21, exec_lo, v21
	v_not_b32_e32 v25, v27
	v_ashrrev_i32_e32 v24, 31, v24
	v_xor_b32_e32 v23, vcc_lo, v23
	v_cmp_gt_i32_e32 vcc_lo, 0, v27
	v_and_b32_e32 v21, v21, v134
	v_not_b32_e32 v27, v28
	v_ashrrev_i32_e32 v25, 31, v25
	v_xor_b32_e32 v24, s20, v24
	v_cmp_gt_i32_e64 s20, 0, v28
	v_and_b32_e32 v21, v21, v23
	v_not_b32_e32 v23, v133
	v_ashrrev_i32_e32 v27, 31, v27
	v_xor_b32_e32 v25, vcc_lo, v25
	v_cmp_gt_i32_e32 vcc_lo, 0, v133
	v_and_b32_e32 v21, v21, v24
	v_not_b32_e32 v24, v26
	v_ashrrev_i32_e32 v23, 31, v23
	v_xor_b32_e32 v27, s20, v27
	v_cmp_gt_i32_e64 s20, 0, v26
	v_and_b32_e32 v21, v21, v25
	v_ashrrev_i32_e32 v24, 31, v24
	v_xor_b32_e32 v23, vcc_lo, v23
	v_mad_u32_u24 v25, v22, 36, v96
	v_mul_u32_u24_e32 v22, 36, v22
	v_and_b32_e32 v21, v21, v27
	v_xor_b32_e32 v24, s20, v24
	ds_read_b32 v133, v25 offset:1056
	v_add_nc_u32_e32 v135, v96, v22
	v_and_b32_e32 v21, v21, v23
	; wave barrier
	v_and_b32_e32 v21, v21, v24
	v_mbcnt_lo_u32_b32 v134, v21, 0
	v_cmp_ne_u32_e64 s20, 0, v21
	v_cmp_eq_u32_e32 vcc_lo, 0, v134
	s_and_b32 s21, s20, vcc_lo
	s_and_saveexec_b32 s20, s21
	s_cbranch_execz .LBB2048_594
; %bb.593:                              ;   in Loop: Header=BB2048_558 Depth=2
	s_waitcnt lgkmcnt(0)
	v_bcnt_u32_b32 v21, v21, v133
	ds_write_b32 v135, v21 offset:1056
.LBB2048_594:                           ;   in Loop: Header=BB2048_558 Depth=2
	s_or_b32 exec_lo, exec_lo, s20
	; wave barrier
	s_waitcnt lgkmcnt(0)
	s_barrier
	buffer_gl0_inv
	ds_read2_b32 v[27:28], v78 offset1:1
	ds_read2_b32 v[25:26], v88 offset1:1
	;; [unrolled: 1-line block ×4, first 2 shown]
	ds_read_b32 v136, v44 offset:1088
	s_waitcnt lgkmcnt(3)
	v_add3_u32 v137, v28, v27, v25
	s_waitcnt lgkmcnt(2)
	v_add3_u32 v137, v137, v26, v23
	;; [unrolled: 2-line block ×4, first 2 shown]
	v_mov_b32_dpp v137, v136 row_shr:1 row_mask:0xf bank_mask:0xf
	v_cndmask_b32_e64 v137, v137, 0, s5
	v_add_nc_u32_e32 v136, v137, v136
	v_mov_b32_dpp v137, v136 row_shr:2 row_mask:0xf bank_mask:0xf
	v_cndmask_b32_e64 v137, 0, v137, s13
	v_add_nc_u32_e32 v136, v136, v137
	;; [unrolled: 3-line block ×4, first 2 shown]
	ds_swizzle_b32 v137, v136 offset:swizzle(BROADCAST,32,15)
	s_waitcnt lgkmcnt(0)
	v_cndmask_b32_e64 v137, v137, 0, s16
	v_add_nc_u32_e32 v136, v136, v137
	s_and_saveexec_b32 s20, s8
; %bb.595:                              ;   in Loop: Header=BB2048_558 Depth=2
	ds_write_b32 v39, v136 offset:1024
; %bb.596:                              ;   in Loop: Header=BB2048_558 Depth=2
	s_or_b32 exec_lo, exec_lo, s20
	s_waitcnt lgkmcnt(0)
	s_barrier
	buffer_gl0_inv
	s_and_saveexec_b32 s20, s9
	s_cbranch_execz .LBB2048_598
; %bb.597:                              ;   in Loop: Header=BB2048_558 Depth=2
	ds_read_b32 v137, v46 offset:1024
	s_waitcnt lgkmcnt(0)
	v_mov_b32_dpp v138, v137 row_shr:1 row_mask:0xf bank_mask:0xf
	v_cndmask_b32_e64 v138, v138, 0, s17
	v_add_nc_u32_e32 v137, v138, v137
	v_mov_b32_dpp v138, v137 row_shr:2 row_mask:0xf bank_mask:0xf
	v_cndmask_b32_e64 v138, 0, v138, s18
	v_add_nc_u32_e32 v137, v137, v138
	;; [unrolled: 3-line block ×3, first 2 shown]
	ds_write_b32 v46, v137 offset:1024
.LBB2048_598:                           ;   in Loop: Header=BB2048_558 Depth=2
	s_or_b32 exec_lo, exec_lo, s20
	v_mov_b32_e32 v137, 0
	s_waitcnt lgkmcnt(0)
	s_barrier
	buffer_gl0_inv
	s_and_saveexec_b32 s20, s10
; %bb.599:                              ;   in Loop: Header=BB2048_558 Depth=2
	ds_read_b32 v137, v39 offset:1020
; %bb.600:                              ;   in Loop: Header=BB2048_558 Depth=2
	s_or_b32 exec_lo, exec_lo, s20
	s_waitcnt lgkmcnt(0)
	v_add_nc_u32_e32 v136, v137, v136
	ds_bpermute_b32 v136, v91, v136
	s_waitcnt lgkmcnt(0)
	v_cndmask_b32_e64 v136, v136, v137, s12
	v_cndmask_b32_e64 v136, v136, 0, s4
	v_add_nc_u32_e32 v27, v136, v27
	v_add_nc_u32_e32 v28, v27, v28
	;; [unrolled: 1-line block ×8, first 2 shown]
	ds_write2_b32 v78, v136, v27 offset1:1
	ds_write2_b32 v88, v28, v25 offset1:1
	;; [unrolled: 1-line block ×4, first 2 shown]
	ds_write_b32 v44, v22 offset:1088
	s_waitcnt lgkmcnt(0)
	s_barrier
	buffer_gl0_inv
	ds_read_b32 v24, v108 offset:1056
	ds_read_b32 v25, v112 offset:1056
	;; [unrolled: 1-line block ×9, first 2 shown]
	v_mov_b32_e32 v23, 0x800
	s_and_saveexec_b32 s20, s11
; %bb.601:                              ;   in Loop: Header=BB2048_558 Depth=2
	ds_read_b32 v23, v44 offset:1092
; %bb.602:                              ;   in Loop: Header=BB2048_558 Depth=2
	s_or_b32 exec_lo, exec_lo, s20
	s_waitcnt lgkmcnt(0)
	s_barrier
	buffer_gl0_inv
	s_and_saveexec_b32 s20, s7
	s_cbranch_execz .LBB2048_604
; %bb.603:                              ;   in Loop: Header=BB2048_558 Depth=2
	ds_read_b32 v112, v29
	s_waitcnt lgkmcnt(0)
	v_sub_nc_u32_e32 v108, v112, v108
	ds_write_b32 v29, v108
.LBB2048_604:                           ;   in Loop: Header=BB2048_558 Depth=2
	s_or_b32 exec_lo, exec_lo, s20
	v_add_nc_u32_e32 v112, v24, v106
	v_add3_u32 v108, v110, v109, v25
	v_add3_u32 v106, v115, v113, v26
	;; [unrolled: 1-line block ×4, first 2 shown]
	v_lshlrev_b32_e32 v109, 1, v112
	v_lshlrev_b32_e32 v110, 1, v108
	v_add3_u32 v27, v131, v129, v22
	v_lshlrev_b32_e32 v22, 1, v106
	v_add3_u32 v28, v134, v133, v21
	ds_write_b16 v109, v3 offset:1024
	ds_write_b16 v110, v107 offset:1024
	v_lshlrev_b32_e32 v3, 1, v26
	v_add3_u32 v24, v127, v125, v116
	ds_write_b16 v22, v111 offset:1024
	v_lshlrev_b32_e32 v21, 1, v25
	v_cmp_lt_u32_e32 vcc_lo, v0, v105
	ds_write_b16 v3, v114 offset:1024
	v_lshlrev_b32_e32 v3, 1, v28
	v_lshlrev_b32_e32 v22, 1, v24
	;; [unrolled: 1-line block ×3, first 2 shown]
	ds_write_b16 v21, v118 offset:1024
	ds_write_b16 v22, v122 offset:1024
	;; [unrolled: 1-line block ×4, first 2 shown]
	s_waitcnt lgkmcnt(0)
	s_barrier
	buffer_gl0_inv
	s_and_saveexec_b32 s21, vcc_lo
	s_cbranch_execnz .LBB2048_641
; %bb.605:                              ;   in Loop: Header=BB2048_558 Depth=2
	s_or_b32 exec_lo, exec_lo, s21
	v_cmp_lt_u32_e64 s20, v30, v105
	s_and_saveexec_b32 s22, s20
	s_cbranch_execnz .LBB2048_642
.LBB2048_606:                           ;   in Loop: Header=BB2048_558 Depth=2
	s_or_b32 exec_lo, exec_lo, s22
	v_cmp_lt_u32_e64 s21, v31, v105
	s_and_saveexec_b32 s23, s21
	s_cbranch_execnz .LBB2048_643
.LBB2048_607:                           ;   in Loop: Header=BB2048_558 Depth=2
	s_or_b32 exec_lo, exec_lo, s23
	v_cmp_lt_u32_e64 s22, v32, v105
	s_and_saveexec_b32 s24, s22
	s_cbranch_execnz .LBB2048_644
.LBB2048_608:                           ;   in Loop: Header=BB2048_558 Depth=2
	s_or_b32 exec_lo, exec_lo, s24
	v_cmp_lt_u32_e64 s23, v35, v105
	s_and_saveexec_b32 s25, s23
	s_cbranch_execnz .LBB2048_645
.LBB2048_609:                           ;   in Loop: Header=BB2048_558 Depth=2
	s_or_b32 exec_lo, exec_lo, s25
	v_cmp_lt_u32_e64 s24, v36, v105
	s_and_saveexec_b32 s26, s24
	s_cbranch_execnz .LBB2048_646
.LBB2048_610:                           ;   in Loop: Header=BB2048_558 Depth=2
	s_or_b32 exec_lo, exec_lo, s26
	v_cmp_lt_u32_e64 s25, v37, v105
	s_and_saveexec_b32 s28, s25
	s_cbranch_execnz .LBB2048_647
.LBB2048_611:                           ;   in Loop: Header=BB2048_558 Depth=2
	s_or_b32 exec_lo, exec_lo, s28
	v_cmp_lt_u32_e64 s26, v38, v105
	s_and_saveexec_b32 s54, s26
	s_cbranch_execz .LBB2048_613
.LBB2048_612:                           ;   in Loop: Header=BB2048_558 Depth=2
	ds_read_u16 v107, v47 offset:4608
	s_waitcnt lgkmcnt(0)
	v_cmp_ne_u16_e64 s28, 0x7fff, v107
	v_cndmask_b32_e64 v3, 0xffff8000, v107, s28
	v_cmp_lt_i16_e64 s28, -1, v107
	v_lshrrev_b32_sdwa v3, s49, v3 dst_sel:DWORD dst_unused:UNUSED_PAD src0_sel:DWORD src1_sel:WORD_0
	v_cndmask_b32_e64 v109, 0xffff8000, -1, s28
	v_and_b32_e32 v3, s43, v3
	v_lshlrev_b32_e32 v3, 2, v3
	ds_read_b32 v3, v3
	s_waitcnt lgkmcnt(0)
	v_add_nc_u32_e32 v3, v3, v38
	v_lshlrev_b64 v[21:22], 1, v[3:4]
	v_xor_b32_e32 v3, v109, v107
	v_add_co_u32 v21, s28, s40, v21
	v_add_co_ci_u32_e64 v22, null, s41, v22, s28
	global_store_short v[21:22], v3, off
.LBB2048_613:                           ;   in Loop: Header=BB2048_558 Depth=2
	s_or_b32 exec_lo, exec_lo, s54
	s_lshl_b64 s[54:55], s[34:35], 3
	v_add_co_u32 v21, s28, v92, s54
	v_add_co_ci_u32_e64 v22, null, s55, v93, s28
	v_cmp_lt_u32_e64 s28, v66, v105
	s_and_saveexec_b32 s34, s28
	s_xor_b32 s28, exec_lo, s34
	s_cbranch_execnz .LBB2048_648
; %bb.614:                              ;   in Loop: Header=BB2048_558 Depth=2
	s_or_b32 exec_lo, exec_lo, s28
	s_mov_b32 s34, exec_lo
	v_cmpx_lt_u32_e64 v70, v105
	s_cbranch_execnz .LBB2048_649
.LBB2048_615:                           ;   in Loop: Header=BB2048_558 Depth=2
	s_or_b32 exec_lo, exec_lo, s34
	s_mov_b32 s34, exec_lo
	v_cmpx_lt_u32_e64 v71, v105
	s_cbranch_execnz .LBB2048_650
.LBB2048_616:                           ;   in Loop: Header=BB2048_558 Depth=2
	s_or_b32 exec_lo, exec_lo, s34
	s_mov_b32 s34, exec_lo
	v_cmpx_lt_u32_e64 v72, v105
	s_cbranch_execnz .LBB2048_651
.LBB2048_617:                           ;   in Loop: Header=BB2048_558 Depth=2
	s_or_b32 exec_lo, exec_lo, s34
	s_mov_b32 s34, exec_lo
	v_cmpx_lt_u32_e64 v73, v105
	s_cbranch_execnz .LBB2048_652
.LBB2048_618:                           ;   in Loop: Header=BB2048_558 Depth=2
	s_or_b32 exec_lo, exec_lo, s34
	s_mov_b32 s34, exec_lo
	v_cmpx_lt_u32_e64 v74, v105
	s_cbranch_execnz .LBB2048_653
.LBB2048_619:                           ;   in Loop: Header=BB2048_558 Depth=2
	s_or_b32 exec_lo, exec_lo, s34
	s_mov_b32 s34, exec_lo
	v_cmpx_lt_u32_e64 v75, v105
	s_cbranch_execnz .LBB2048_654
.LBB2048_620:                           ;   in Loop: Header=BB2048_558 Depth=2
	s_or_b32 exec_lo, exec_lo, s34
	s_mov_b32 s34, exec_lo
	v_cmpx_lt_u32_e64 v76, v105
	s_cbranch_execnz .LBB2048_655
.LBB2048_621:                           ;   in Loop: Header=BB2048_558 Depth=2
	s_or_b32 exec_lo, exec_lo, s34
	s_and_saveexec_b32 s34, vcc_lo
	s_cbranch_execnz .LBB2048_656
.LBB2048_622:                           ;   in Loop: Header=BB2048_558 Depth=2
	s_or_b32 exec_lo, exec_lo, s34
	s_and_saveexec_b32 s34, s20
	s_cbranch_execnz .LBB2048_657
.LBB2048_623:                           ;   in Loop: Header=BB2048_558 Depth=2
	s_or_b32 exec_lo, exec_lo, s34
	s_and_saveexec_b32 s34, s21
	s_cbranch_execnz .LBB2048_658
.LBB2048_624:                           ;   in Loop: Header=BB2048_558 Depth=2
	s_or_b32 exec_lo, exec_lo, s34
	s_and_saveexec_b32 s34, s22
	s_cbranch_execnz .LBB2048_659
.LBB2048_625:                           ;   in Loop: Header=BB2048_558 Depth=2
	s_or_b32 exec_lo, exec_lo, s34
	s_and_saveexec_b32 s34, s23
	s_cbranch_execnz .LBB2048_660
.LBB2048_626:                           ;   in Loop: Header=BB2048_558 Depth=2
	s_or_b32 exec_lo, exec_lo, s34
	s_and_saveexec_b32 s34, s24
	s_cbranch_execnz .LBB2048_661
.LBB2048_627:                           ;   in Loop: Header=BB2048_558 Depth=2
	s_or_b32 exec_lo, exec_lo, s34
	s_and_saveexec_b32 s34, s25
	s_cbranch_execnz .LBB2048_662
.LBB2048_628:                           ;   in Loop: Header=BB2048_558 Depth=2
	s_or_b32 exec_lo, exec_lo, s34
	s_and_saveexec_b32 s34, s26
	s_cbranch_execz .LBB2048_630
.LBB2048_629:                           ;   in Loop: Header=BB2048_558 Depth=2
	ds_read_u16 v3, v47 offset:4608
	s_waitcnt lgkmcnt(0)
	v_cmp_ne_u16_e64 s28, 0x7fff, v3
	v_cndmask_b32_e64 v3, 0xffff8000, v3, s28
	v_lshrrev_b32_sdwa v3, s49, v3 dst_sel:DWORD dst_unused:UNUSED_PAD src0_sel:DWORD src1_sel:WORD_0
	v_and_b32_e32 v97, s43, v3
.LBB2048_630:                           ;   in Loop: Header=BB2048_558 Depth=2
	s_or_b32 exec_lo, exec_lo, s34
	v_lshlrev_b32_e32 v3, 3, v112
	v_lshlrev_b32_e32 v21, 3, v108
	;; [unrolled: 1-line block ×3, first 2 shown]
	s_waitcnt vmcnt(0)
	s_waitcnt_vscnt null, 0x0
	s_barrier
	buffer_gl0_inv
	ds_write_b64 v3, v[19:20] offset:1024
	ds_write_b64 v21, v[17:18] offset:1024
	v_lshlrev_b32_e32 v3, 3, v26
	v_lshlrev_b32_e32 v21, 3, v25
	ds_write_b64 v22, v[15:16] offset:1024
	v_lshlrev_b32_e32 v22, 3, v24
	v_lshlrev_b32_e32 v24, 3, v27
	ds_write_b64 v3, v[13:14] offset:1024
	v_lshlrev_b32_e32 v3, 3, v28
	ds_write_b64 v21, v[11:12] offset:1024
	ds_write_b64 v22, v[9:10] offset:1024
	;; [unrolled: 1-line block ×3, first 2 shown]
	v_add_nc_u32_e32 v21, v47, v48
	ds_write_b64 v3, v[5:6] offset:1024
	s_waitcnt lgkmcnt(0)
	s_barrier
	buffer_gl0_inv
	s_and_saveexec_b32 s28, vcc_lo
	s_cbranch_execnz .LBB2048_663
; %bb.631:                              ;   in Loop: Header=BB2048_558 Depth=2
	s_or_b32 exec_lo, exec_lo, s28
	s_and_saveexec_b32 s28, s20
	s_cbranch_execnz .LBB2048_664
.LBB2048_632:                           ;   in Loop: Header=BB2048_558 Depth=2
	s_or_b32 exec_lo, exec_lo, s28
	s_and_saveexec_b32 s20, s21
	s_cbranch_execnz .LBB2048_665
.LBB2048_633:                           ;   in Loop: Header=BB2048_558 Depth=2
	s_or_b32 exec_lo, exec_lo, s20
	s_and_saveexec_b32 s20, s22
	s_cbranch_execnz .LBB2048_666
.LBB2048_634:                           ;   in Loop: Header=BB2048_558 Depth=2
	s_or_b32 exec_lo, exec_lo, s20
	s_and_saveexec_b32 s20, s23
	s_cbranch_execnz .LBB2048_667
.LBB2048_635:                           ;   in Loop: Header=BB2048_558 Depth=2
	s_or_b32 exec_lo, exec_lo, s20
	s_and_saveexec_b32 s20, s24
	s_cbranch_execnz .LBB2048_668
.LBB2048_636:                           ;   in Loop: Header=BB2048_558 Depth=2
	s_or_b32 exec_lo, exec_lo, s20
	s_and_saveexec_b32 s20, s25
	s_cbranch_execnz .LBB2048_669
.LBB2048_637:                           ;   in Loop: Header=BB2048_558 Depth=2
	s_or_b32 exec_lo, exec_lo, s20
	s_and_saveexec_b32 s20, s26
	s_cbranch_execz .LBB2048_639
.LBB2048_638:                           ;   in Loop: Header=BB2048_558 Depth=2
	v_lshlrev_b32_e32 v3, 2, v97
	ds_read_b32 v3, v3
	ds_read_b64 v[21:22], v21 offset:15360
	s_waitcnt lgkmcnt(1)
	v_add_nc_u32_e32 v3, v3, v38
	v_lshlrev_b64 v[24:25], 3, v[3:4]
	v_add_co_u32 v24, vcc_lo, s46, v24
	v_add_co_ci_u32_e64 v25, null, s47, v25, vcc_lo
	s_waitcnt lgkmcnt(0)
	global_store_dwordx2 v[24:25], v[21:22], off
.LBB2048_639:                           ;   in Loop: Header=BB2048_558 Depth=2
	s_or_b32 exec_lo, exec_lo, s20
	s_waitcnt_vscnt null, 0x0
	s_barrier
	buffer_gl0_inv
	s_and_saveexec_b32 s20, s7
	s_cbranch_execz .LBB2048_557
; %bb.640:                              ;   in Loop: Header=BB2048_558 Depth=2
	ds_read_b32 v3, v29
	s_waitcnt lgkmcnt(0)
	v_add_nc_u32_e32 v3, v3, v23
	ds_write_b32 v29, v3
	s_branch .LBB2048_557
.LBB2048_641:                           ;   in Loop: Header=BB2048_558 Depth=2
	ds_read_u16 v107, v47 offset:1024
	s_waitcnt lgkmcnt(0)
	v_cmp_ne_u16_e64 s20, 0x7fff, v107
	v_cndmask_b32_e64 v3, 0xffff8000, v107, s20
	v_cmp_lt_i16_e64 s20, -1, v107
	v_lshrrev_b32_sdwa v3, s49, v3 dst_sel:DWORD dst_unused:UNUSED_PAD src0_sel:DWORD src1_sel:WORD_0
	v_cndmask_b32_e64 v109, 0xffff8000, -1, s20
	v_and_b32_e32 v3, s43, v3
	v_lshlrev_b32_e32 v3, 2, v3
	ds_read_b32 v3, v3
	s_waitcnt lgkmcnt(0)
	v_add_nc_u32_e32 v3, v3, v0
	v_lshlrev_b64 v[21:22], 1, v[3:4]
	v_xor_b32_e32 v3, v109, v107
	v_add_co_u32 v21, s20, s40, v21
	v_add_co_ci_u32_e64 v22, null, s41, v22, s20
	global_store_short v[21:22], v3, off
	s_or_b32 exec_lo, exec_lo, s21
	v_cmp_lt_u32_e64 s20, v30, v105
	s_and_saveexec_b32 s22, s20
	s_cbranch_execz .LBB2048_606
.LBB2048_642:                           ;   in Loop: Header=BB2048_558 Depth=2
	ds_read_u16 v107, v47 offset:1536
	s_waitcnt lgkmcnt(0)
	v_cmp_ne_u16_e64 s21, 0x7fff, v107
	v_cndmask_b32_e64 v3, 0xffff8000, v107, s21
	v_cmp_lt_i16_e64 s21, -1, v107
	v_lshrrev_b32_sdwa v3, s49, v3 dst_sel:DWORD dst_unused:UNUSED_PAD src0_sel:DWORD src1_sel:WORD_0
	v_cndmask_b32_e64 v109, 0xffff8000, -1, s21
	v_and_b32_e32 v3, s43, v3
	v_lshlrev_b32_e32 v3, 2, v3
	ds_read_b32 v3, v3
	s_waitcnt lgkmcnt(0)
	v_add_nc_u32_e32 v3, v3, v30
	v_lshlrev_b64 v[21:22], 1, v[3:4]
	v_xor_b32_e32 v3, v109, v107
	v_add_co_u32 v21, s21, s40, v21
	v_add_co_ci_u32_e64 v22, null, s41, v22, s21
	global_store_short v[21:22], v3, off
	s_or_b32 exec_lo, exec_lo, s22
	v_cmp_lt_u32_e64 s21, v31, v105
	s_and_saveexec_b32 s23, s21
	s_cbranch_execz .LBB2048_607
.LBB2048_643:                           ;   in Loop: Header=BB2048_558 Depth=2
	ds_read_u16 v107, v47 offset:2048
	s_waitcnt lgkmcnt(0)
	v_cmp_ne_u16_e64 s22, 0x7fff, v107
	v_cndmask_b32_e64 v3, 0xffff8000, v107, s22
	v_cmp_lt_i16_e64 s22, -1, v107
	v_lshrrev_b32_sdwa v3, s49, v3 dst_sel:DWORD dst_unused:UNUSED_PAD src0_sel:DWORD src1_sel:WORD_0
	v_cndmask_b32_e64 v109, 0xffff8000, -1, s22
	v_and_b32_e32 v3, s43, v3
	v_lshlrev_b32_e32 v3, 2, v3
	ds_read_b32 v3, v3
	s_waitcnt lgkmcnt(0)
	v_add_nc_u32_e32 v3, v3, v31
	v_lshlrev_b64 v[21:22], 1, v[3:4]
	v_xor_b32_e32 v3, v109, v107
	v_add_co_u32 v21, s22, s40, v21
	v_add_co_ci_u32_e64 v22, null, s41, v22, s22
	global_store_short v[21:22], v3, off
	s_or_b32 exec_lo, exec_lo, s23
	v_cmp_lt_u32_e64 s22, v32, v105
	s_and_saveexec_b32 s24, s22
	s_cbranch_execz .LBB2048_608
.LBB2048_644:                           ;   in Loop: Header=BB2048_558 Depth=2
	ds_read_u16 v107, v47 offset:2560
	s_waitcnt lgkmcnt(0)
	v_cmp_ne_u16_e64 s23, 0x7fff, v107
	v_cndmask_b32_e64 v3, 0xffff8000, v107, s23
	v_cmp_lt_i16_e64 s23, -1, v107
	v_lshrrev_b32_sdwa v3, s49, v3 dst_sel:DWORD dst_unused:UNUSED_PAD src0_sel:DWORD src1_sel:WORD_0
	v_cndmask_b32_e64 v109, 0xffff8000, -1, s23
	v_and_b32_e32 v3, s43, v3
	v_lshlrev_b32_e32 v3, 2, v3
	ds_read_b32 v3, v3
	s_waitcnt lgkmcnt(0)
	v_add_nc_u32_e32 v3, v3, v32
	v_lshlrev_b64 v[21:22], 1, v[3:4]
	v_xor_b32_e32 v3, v109, v107
	v_add_co_u32 v21, s23, s40, v21
	v_add_co_ci_u32_e64 v22, null, s41, v22, s23
	global_store_short v[21:22], v3, off
	s_or_b32 exec_lo, exec_lo, s24
	v_cmp_lt_u32_e64 s23, v35, v105
	s_and_saveexec_b32 s25, s23
	s_cbranch_execz .LBB2048_609
.LBB2048_645:                           ;   in Loop: Header=BB2048_558 Depth=2
	ds_read_u16 v107, v47 offset:3072
	s_waitcnt lgkmcnt(0)
	v_cmp_ne_u16_e64 s24, 0x7fff, v107
	v_cndmask_b32_e64 v3, 0xffff8000, v107, s24
	v_cmp_lt_i16_e64 s24, -1, v107
	v_lshrrev_b32_sdwa v3, s49, v3 dst_sel:DWORD dst_unused:UNUSED_PAD src0_sel:DWORD src1_sel:WORD_0
	v_cndmask_b32_e64 v109, 0xffff8000, -1, s24
	v_and_b32_e32 v3, s43, v3
	v_lshlrev_b32_e32 v3, 2, v3
	ds_read_b32 v3, v3
	s_waitcnt lgkmcnt(0)
	v_add_nc_u32_e32 v3, v3, v35
	v_lshlrev_b64 v[21:22], 1, v[3:4]
	v_xor_b32_e32 v3, v109, v107
	v_add_co_u32 v21, s24, s40, v21
	v_add_co_ci_u32_e64 v22, null, s41, v22, s24
	global_store_short v[21:22], v3, off
	s_or_b32 exec_lo, exec_lo, s25
	v_cmp_lt_u32_e64 s24, v36, v105
	s_and_saveexec_b32 s26, s24
	s_cbranch_execz .LBB2048_610
.LBB2048_646:                           ;   in Loop: Header=BB2048_558 Depth=2
	ds_read_u16 v107, v47 offset:3584
	s_waitcnt lgkmcnt(0)
	v_cmp_ne_u16_e64 s25, 0x7fff, v107
	v_cndmask_b32_e64 v3, 0xffff8000, v107, s25
	v_cmp_lt_i16_e64 s25, -1, v107
	v_lshrrev_b32_sdwa v3, s49, v3 dst_sel:DWORD dst_unused:UNUSED_PAD src0_sel:DWORD src1_sel:WORD_0
	v_cndmask_b32_e64 v109, 0xffff8000, -1, s25
	v_and_b32_e32 v3, s43, v3
	v_lshlrev_b32_e32 v3, 2, v3
	ds_read_b32 v3, v3
	s_waitcnt lgkmcnt(0)
	v_add_nc_u32_e32 v3, v3, v36
	v_lshlrev_b64 v[21:22], 1, v[3:4]
	v_xor_b32_e32 v3, v109, v107
	v_add_co_u32 v21, s25, s40, v21
	v_add_co_ci_u32_e64 v22, null, s41, v22, s25
	global_store_short v[21:22], v3, off
	s_or_b32 exec_lo, exec_lo, s26
	v_cmp_lt_u32_e64 s25, v37, v105
	s_and_saveexec_b32 s28, s25
	s_cbranch_execz .LBB2048_611
.LBB2048_647:                           ;   in Loop: Header=BB2048_558 Depth=2
	ds_read_u16 v107, v47 offset:4096
	s_waitcnt lgkmcnt(0)
	v_cmp_ne_u16_e64 s26, 0x7fff, v107
	v_cndmask_b32_e64 v3, 0xffff8000, v107, s26
	v_cmp_lt_i16_e64 s26, -1, v107
	v_lshrrev_b32_sdwa v3, s49, v3 dst_sel:DWORD dst_unused:UNUSED_PAD src0_sel:DWORD src1_sel:WORD_0
	v_cndmask_b32_e64 v109, 0xffff8000, -1, s26
	v_and_b32_e32 v3, s43, v3
	v_lshlrev_b32_e32 v3, 2, v3
	ds_read_b32 v3, v3
	s_waitcnt lgkmcnt(0)
	v_add_nc_u32_e32 v3, v3, v37
	v_lshlrev_b64 v[21:22], 1, v[3:4]
	v_xor_b32_e32 v3, v109, v107
	v_add_co_u32 v21, s26, s40, v21
	v_add_co_ci_u32_e64 v22, null, s41, v22, s26
	global_store_short v[21:22], v3, off
	s_or_b32 exec_lo, exec_lo, s28
	v_cmp_lt_u32_e64 s26, v38, v105
	s_and_saveexec_b32 s54, s26
	s_cbranch_execnz .LBB2048_612
	s_branch .LBB2048_613
.LBB2048_648:                           ;   in Loop: Header=BB2048_558 Depth=2
	global_load_dwordx2 v[19:20], v[21:22], off
	s_or_b32 exec_lo, exec_lo, s28
	s_mov_b32 s34, exec_lo
	v_cmpx_lt_u32_e64 v70, v105
	s_cbranch_execz .LBB2048_615
.LBB2048_649:                           ;   in Loop: Header=BB2048_558 Depth=2
	global_load_dwordx2 v[17:18], v[21:22], off offset:256
	s_or_b32 exec_lo, exec_lo, s34
	s_mov_b32 s34, exec_lo
	v_cmpx_lt_u32_e64 v71, v105
	s_cbranch_execz .LBB2048_616
.LBB2048_650:                           ;   in Loop: Header=BB2048_558 Depth=2
	global_load_dwordx2 v[15:16], v[21:22], off offset:512
	s_or_b32 exec_lo, exec_lo, s34
	s_mov_b32 s34, exec_lo
	v_cmpx_lt_u32_e64 v72, v105
	s_cbranch_execz .LBB2048_617
.LBB2048_651:                           ;   in Loop: Header=BB2048_558 Depth=2
	global_load_dwordx2 v[13:14], v[21:22], off offset:768
	s_or_b32 exec_lo, exec_lo, s34
	s_mov_b32 s34, exec_lo
	v_cmpx_lt_u32_e64 v73, v105
	s_cbranch_execz .LBB2048_618
.LBB2048_652:                           ;   in Loop: Header=BB2048_558 Depth=2
	global_load_dwordx2 v[11:12], v[21:22], off offset:1024
	s_or_b32 exec_lo, exec_lo, s34
	s_mov_b32 s34, exec_lo
	v_cmpx_lt_u32_e64 v74, v105
	s_cbranch_execz .LBB2048_619
.LBB2048_653:                           ;   in Loop: Header=BB2048_558 Depth=2
	global_load_dwordx2 v[9:10], v[21:22], off offset:1280
	s_or_b32 exec_lo, exec_lo, s34
	s_mov_b32 s34, exec_lo
	v_cmpx_lt_u32_e64 v75, v105
	s_cbranch_execz .LBB2048_620
.LBB2048_654:                           ;   in Loop: Header=BB2048_558 Depth=2
	global_load_dwordx2 v[7:8], v[21:22], off offset:1536
	s_or_b32 exec_lo, exec_lo, s34
	s_mov_b32 s34, exec_lo
	v_cmpx_lt_u32_e64 v76, v105
	s_cbranch_execz .LBB2048_621
.LBB2048_655:                           ;   in Loop: Header=BB2048_558 Depth=2
	global_load_dwordx2 v[5:6], v[21:22], off offset:1792
	s_or_b32 exec_lo, exec_lo, s34
	s_and_saveexec_b32 s34, vcc_lo
	s_cbranch_execz .LBB2048_622
.LBB2048_656:                           ;   in Loop: Header=BB2048_558 Depth=2
	ds_read_u16 v3, v47 offset:1024
	s_waitcnt lgkmcnt(0)
	v_cmp_ne_u16_e64 s28, 0x7fff, v3
	v_cndmask_b32_e64 v3, 0xffff8000, v3, s28
	v_lshrrev_b32_sdwa v3, s49, v3 dst_sel:DWORD dst_unused:UNUSED_PAD src0_sel:DWORD src1_sel:WORD_0
	v_and_b32_e32 v104, s43, v3
	s_or_b32 exec_lo, exec_lo, s34
	s_and_saveexec_b32 s34, s20
	s_cbranch_execz .LBB2048_623
.LBB2048_657:                           ;   in Loop: Header=BB2048_558 Depth=2
	ds_read_u16 v3, v47 offset:1536
	s_waitcnt lgkmcnt(0)
	v_cmp_ne_u16_e64 s28, 0x7fff, v3
	v_cndmask_b32_e64 v3, 0xffff8000, v3, s28
	v_lshrrev_b32_sdwa v3, s49, v3 dst_sel:DWORD dst_unused:UNUSED_PAD src0_sel:DWORD src1_sel:WORD_0
	v_and_b32_e32 v103, s43, v3
	s_or_b32 exec_lo, exec_lo, s34
	s_and_saveexec_b32 s34, s21
	s_cbranch_execz .LBB2048_624
.LBB2048_658:                           ;   in Loop: Header=BB2048_558 Depth=2
	ds_read_u16 v3, v47 offset:2048
	s_waitcnt lgkmcnt(0)
	v_cmp_ne_u16_e64 s28, 0x7fff, v3
	v_cndmask_b32_e64 v3, 0xffff8000, v3, s28
	v_lshrrev_b32_sdwa v3, s49, v3 dst_sel:DWORD dst_unused:UNUSED_PAD src0_sel:DWORD src1_sel:WORD_0
	v_and_b32_e32 v102, s43, v3
	s_or_b32 exec_lo, exec_lo, s34
	s_and_saveexec_b32 s34, s22
	s_cbranch_execz .LBB2048_625
.LBB2048_659:                           ;   in Loop: Header=BB2048_558 Depth=2
	ds_read_u16 v3, v47 offset:2560
	s_waitcnt lgkmcnt(0)
	v_cmp_ne_u16_e64 s28, 0x7fff, v3
	v_cndmask_b32_e64 v3, 0xffff8000, v3, s28
	v_lshrrev_b32_sdwa v3, s49, v3 dst_sel:DWORD dst_unused:UNUSED_PAD src0_sel:DWORD src1_sel:WORD_0
	v_and_b32_e32 v101, s43, v3
	s_or_b32 exec_lo, exec_lo, s34
	s_and_saveexec_b32 s34, s23
	s_cbranch_execz .LBB2048_626
.LBB2048_660:                           ;   in Loop: Header=BB2048_558 Depth=2
	ds_read_u16 v3, v47 offset:3072
	s_waitcnt lgkmcnt(0)
	v_cmp_ne_u16_e64 s28, 0x7fff, v3
	v_cndmask_b32_e64 v3, 0xffff8000, v3, s28
	v_lshrrev_b32_sdwa v3, s49, v3 dst_sel:DWORD dst_unused:UNUSED_PAD src0_sel:DWORD src1_sel:WORD_0
	v_and_b32_e32 v100, s43, v3
	s_or_b32 exec_lo, exec_lo, s34
	s_and_saveexec_b32 s34, s24
	s_cbranch_execz .LBB2048_627
.LBB2048_661:                           ;   in Loop: Header=BB2048_558 Depth=2
	ds_read_u16 v3, v47 offset:3584
	s_waitcnt lgkmcnt(0)
	v_cmp_ne_u16_e64 s28, 0x7fff, v3
	v_cndmask_b32_e64 v3, 0xffff8000, v3, s28
	v_lshrrev_b32_sdwa v3, s49, v3 dst_sel:DWORD dst_unused:UNUSED_PAD src0_sel:DWORD src1_sel:WORD_0
	v_and_b32_e32 v99, s43, v3
	s_or_b32 exec_lo, exec_lo, s34
	s_and_saveexec_b32 s34, s25
	s_cbranch_execz .LBB2048_628
.LBB2048_662:                           ;   in Loop: Header=BB2048_558 Depth=2
	ds_read_u16 v3, v47 offset:4096
	s_waitcnt lgkmcnt(0)
	v_cmp_ne_u16_e64 s28, 0x7fff, v3
	v_cndmask_b32_e64 v3, 0xffff8000, v3, s28
	v_lshrrev_b32_sdwa v3, s49, v3 dst_sel:DWORD dst_unused:UNUSED_PAD src0_sel:DWORD src1_sel:WORD_0
	v_and_b32_e32 v98, s43, v3
	s_or_b32 exec_lo, exec_lo, s34
	s_and_saveexec_b32 s34, s26
	s_cbranch_execnz .LBB2048_629
	s_branch .LBB2048_630
.LBB2048_663:                           ;   in Loop: Header=BB2048_558 Depth=2
	v_lshlrev_b32_e32 v3, 2, v104
	ds_read_b32 v3, v3
	ds_read_b64 v[24:25], v21 offset:1024
	s_waitcnt lgkmcnt(1)
	v_add_nc_u32_e32 v3, v3, v0
	v_lshlrev_b64 v[26:27], 3, v[3:4]
	v_add_co_u32 v26, vcc_lo, s46, v26
	v_add_co_ci_u32_e64 v27, null, s47, v27, vcc_lo
	s_waitcnt lgkmcnt(0)
	global_store_dwordx2 v[26:27], v[24:25], off
	s_or_b32 exec_lo, exec_lo, s28
	s_and_saveexec_b32 s28, s20
	s_cbranch_execz .LBB2048_632
.LBB2048_664:                           ;   in Loop: Header=BB2048_558 Depth=2
	v_lshlrev_b32_e32 v3, 2, v103
	ds_read_b32 v3, v3
	ds_read_b64 v[24:25], v21 offset:3072
	s_waitcnt lgkmcnt(1)
	v_add_nc_u32_e32 v3, v3, v30
	v_lshlrev_b64 v[26:27], 3, v[3:4]
	v_add_co_u32 v26, vcc_lo, s46, v26
	v_add_co_ci_u32_e64 v27, null, s47, v27, vcc_lo
	s_waitcnt lgkmcnt(0)
	global_store_dwordx2 v[26:27], v[24:25], off
	s_or_b32 exec_lo, exec_lo, s28
	s_and_saveexec_b32 s20, s21
	s_cbranch_execz .LBB2048_633
.LBB2048_665:                           ;   in Loop: Header=BB2048_558 Depth=2
	v_lshlrev_b32_e32 v3, 2, v102
	ds_read_b32 v3, v3
	ds_read_b64 v[24:25], v21 offset:5120
	s_waitcnt lgkmcnt(1)
	v_add_nc_u32_e32 v3, v3, v31
	v_lshlrev_b64 v[26:27], 3, v[3:4]
	v_add_co_u32 v26, vcc_lo, s46, v26
	v_add_co_ci_u32_e64 v27, null, s47, v27, vcc_lo
	s_waitcnt lgkmcnt(0)
	global_store_dwordx2 v[26:27], v[24:25], off
	s_or_b32 exec_lo, exec_lo, s20
	s_and_saveexec_b32 s20, s22
	s_cbranch_execz .LBB2048_634
.LBB2048_666:                           ;   in Loop: Header=BB2048_558 Depth=2
	v_lshlrev_b32_e32 v3, 2, v101
	ds_read_b32 v3, v3
	ds_read_b64 v[24:25], v21 offset:7168
	s_waitcnt lgkmcnt(1)
	v_add_nc_u32_e32 v3, v3, v32
	v_lshlrev_b64 v[26:27], 3, v[3:4]
	v_add_co_u32 v26, vcc_lo, s46, v26
	v_add_co_ci_u32_e64 v27, null, s47, v27, vcc_lo
	s_waitcnt lgkmcnt(0)
	global_store_dwordx2 v[26:27], v[24:25], off
	s_or_b32 exec_lo, exec_lo, s20
	s_and_saveexec_b32 s20, s23
	s_cbranch_execz .LBB2048_635
.LBB2048_667:                           ;   in Loop: Header=BB2048_558 Depth=2
	v_lshlrev_b32_e32 v3, 2, v100
	ds_read_b32 v3, v3
	ds_read_b64 v[24:25], v21 offset:9216
	s_waitcnt lgkmcnt(1)
	v_add_nc_u32_e32 v3, v3, v35
	v_lshlrev_b64 v[26:27], 3, v[3:4]
	v_add_co_u32 v26, vcc_lo, s46, v26
	v_add_co_ci_u32_e64 v27, null, s47, v27, vcc_lo
	s_waitcnt lgkmcnt(0)
	global_store_dwordx2 v[26:27], v[24:25], off
	s_or_b32 exec_lo, exec_lo, s20
	s_and_saveexec_b32 s20, s24
	s_cbranch_execz .LBB2048_636
.LBB2048_668:                           ;   in Loop: Header=BB2048_558 Depth=2
	v_lshlrev_b32_e32 v3, 2, v99
	ds_read_b32 v3, v3
	ds_read_b64 v[24:25], v21 offset:11264
	s_waitcnt lgkmcnt(1)
	v_add_nc_u32_e32 v3, v3, v36
	v_lshlrev_b64 v[26:27], 3, v[3:4]
	v_add_co_u32 v26, vcc_lo, s46, v26
	v_add_co_ci_u32_e64 v27, null, s47, v27, vcc_lo
	s_waitcnt lgkmcnt(0)
	global_store_dwordx2 v[26:27], v[24:25], off
	s_or_b32 exec_lo, exec_lo, s20
	s_and_saveexec_b32 s20, s25
	s_cbranch_execz .LBB2048_637
.LBB2048_669:                           ;   in Loop: Header=BB2048_558 Depth=2
	v_lshlrev_b32_e32 v3, 2, v98
	ds_read_b32 v3, v3
	ds_read_b64 v[24:25], v21 offset:13312
	s_waitcnt lgkmcnt(1)
	v_add_nc_u32_e32 v3, v3, v37
	v_lshlrev_b64 v[26:27], 3, v[3:4]
	v_add_co_u32 v26, vcc_lo, s46, v26
	v_add_co_ci_u32_e64 v27, null, s47, v27, vcc_lo
	s_waitcnt lgkmcnt(0)
	global_store_dwordx2 v[26:27], v[24:25], off
	s_or_b32 exec_lo, exec_lo, s20
	s_and_saveexec_b32 s20, s26
	s_cbranch_execnz .LBB2048_638
	s_branch .LBB2048_639
.LBB2048_670:
	s_endpgm
	.section	.rodata,"a",@progbits
	.p2align	6, 0x0
	.amdhsa_kernel _ZN7rocprim17ROCPRIM_400000_NS6detail17trampoline_kernelINS0_14default_configENS1_36segmented_radix_sort_config_selectorI12hip_bfloat16lEEZNS1_25segmented_radix_sort_implIS3_Lb0EPKS5_PS5_PKlPlN2at6native12_GLOBAL__N_18offset_tEEE10hipError_tPvRmT1_PNSt15iterator_traitsISL_E10value_typeET2_T3_PNSM_ISR_E10value_typeET4_jRbjT5_SX_jjP12ihipStream_tbEUlT_E_NS1_11comp_targetILNS1_3genE8ELNS1_11target_archE1030ELNS1_3gpuE2ELNS1_3repE0EEENS1_30default_config_static_selectorELNS0_4arch9wavefront6targetE0EEEvSL_
		.amdhsa_group_segment_fixed_size 17440
		.amdhsa_private_segment_fixed_size 0
		.amdhsa_kernarg_size 352
		.amdhsa_user_sgpr_count 6
		.amdhsa_user_sgpr_private_segment_buffer 1
		.amdhsa_user_sgpr_dispatch_ptr 0
		.amdhsa_user_sgpr_queue_ptr 0
		.amdhsa_user_sgpr_kernarg_segment_ptr 1
		.amdhsa_user_sgpr_dispatch_id 0
		.amdhsa_user_sgpr_flat_scratch_init 0
		.amdhsa_user_sgpr_private_segment_size 0
		.amdhsa_wavefront_size32 1
		.amdhsa_uses_dynamic_stack 0
		.amdhsa_system_sgpr_private_segment_wavefront_offset 0
		.amdhsa_system_sgpr_workgroup_id_x 1
		.amdhsa_system_sgpr_workgroup_id_y 1
		.amdhsa_system_sgpr_workgroup_id_z 0
		.amdhsa_system_sgpr_workgroup_info 0
		.amdhsa_system_vgpr_workitem_id 2
		.amdhsa_next_free_vgpr 184
		.amdhsa_next_free_sgpr 56
		.amdhsa_reserve_vcc 1
		.amdhsa_reserve_flat_scratch 0
		.amdhsa_float_round_mode_32 0
		.amdhsa_float_round_mode_16_64 0
		.amdhsa_float_denorm_mode_32 3
		.amdhsa_float_denorm_mode_16_64 3
		.amdhsa_dx10_clamp 1
		.amdhsa_ieee_mode 1
		.amdhsa_fp16_overflow 0
		.amdhsa_workgroup_processor_mode 1
		.amdhsa_memory_ordered 1
		.amdhsa_forward_progress 1
		.amdhsa_shared_vgpr_count 0
		.amdhsa_exception_fp_ieee_invalid_op 0
		.amdhsa_exception_fp_denorm_src 0
		.amdhsa_exception_fp_ieee_div_zero 0
		.amdhsa_exception_fp_ieee_overflow 0
		.amdhsa_exception_fp_ieee_underflow 0
		.amdhsa_exception_fp_ieee_inexact 0
		.amdhsa_exception_int_div_zero 0
	.end_amdhsa_kernel
	.section	.text._ZN7rocprim17ROCPRIM_400000_NS6detail17trampoline_kernelINS0_14default_configENS1_36segmented_radix_sort_config_selectorI12hip_bfloat16lEEZNS1_25segmented_radix_sort_implIS3_Lb0EPKS5_PS5_PKlPlN2at6native12_GLOBAL__N_18offset_tEEE10hipError_tPvRmT1_PNSt15iterator_traitsISL_E10value_typeET2_T3_PNSM_ISR_E10value_typeET4_jRbjT5_SX_jjP12ihipStream_tbEUlT_E_NS1_11comp_targetILNS1_3genE8ELNS1_11target_archE1030ELNS1_3gpuE2ELNS1_3repE0EEENS1_30default_config_static_selectorELNS0_4arch9wavefront6targetE0EEEvSL_,"axG",@progbits,_ZN7rocprim17ROCPRIM_400000_NS6detail17trampoline_kernelINS0_14default_configENS1_36segmented_radix_sort_config_selectorI12hip_bfloat16lEEZNS1_25segmented_radix_sort_implIS3_Lb0EPKS5_PS5_PKlPlN2at6native12_GLOBAL__N_18offset_tEEE10hipError_tPvRmT1_PNSt15iterator_traitsISL_E10value_typeET2_T3_PNSM_ISR_E10value_typeET4_jRbjT5_SX_jjP12ihipStream_tbEUlT_E_NS1_11comp_targetILNS1_3genE8ELNS1_11target_archE1030ELNS1_3gpuE2ELNS1_3repE0EEENS1_30default_config_static_selectorELNS0_4arch9wavefront6targetE0EEEvSL_,comdat
.Lfunc_end2048:
	.size	_ZN7rocprim17ROCPRIM_400000_NS6detail17trampoline_kernelINS0_14default_configENS1_36segmented_radix_sort_config_selectorI12hip_bfloat16lEEZNS1_25segmented_radix_sort_implIS3_Lb0EPKS5_PS5_PKlPlN2at6native12_GLOBAL__N_18offset_tEEE10hipError_tPvRmT1_PNSt15iterator_traitsISL_E10value_typeET2_T3_PNSM_ISR_E10value_typeET4_jRbjT5_SX_jjP12ihipStream_tbEUlT_E_NS1_11comp_targetILNS1_3genE8ELNS1_11target_archE1030ELNS1_3gpuE2ELNS1_3repE0EEENS1_30default_config_static_selectorELNS0_4arch9wavefront6targetE0EEEvSL_, .Lfunc_end2048-_ZN7rocprim17ROCPRIM_400000_NS6detail17trampoline_kernelINS0_14default_configENS1_36segmented_radix_sort_config_selectorI12hip_bfloat16lEEZNS1_25segmented_radix_sort_implIS3_Lb0EPKS5_PS5_PKlPlN2at6native12_GLOBAL__N_18offset_tEEE10hipError_tPvRmT1_PNSt15iterator_traitsISL_E10value_typeET2_T3_PNSM_ISR_E10value_typeET4_jRbjT5_SX_jjP12ihipStream_tbEUlT_E_NS1_11comp_targetILNS1_3genE8ELNS1_11target_archE1030ELNS1_3gpuE2ELNS1_3repE0EEENS1_30default_config_static_selectorELNS0_4arch9wavefront6targetE0EEEvSL_
                                        ; -- End function
	.set _ZN7rocprim17ROCPRIM_400000_NS6detail17trampoline_kernelINS0_14default_configENS1_36segmented_radix_sort_config_selectorI12hip_bfloat16lEEZNS1_25segmented_radix_sort_implIS3_Lb0EPKS5_PS5_PKlPlN2at6native12_GLOBAL__N_18offset_tEEE10hipError_tPvRmT1_PNSt15iterator_traitsISL_E10value_typeET2_T3_PNSM_ISR_E10value_typeET4_jRbjT5_SX_jjP12ihipStream_tbEUlT_E_NS1_11comp_targetILNS1_3genE8ELNS1_11target_archE1030ELNS1_3gpuE2ELNS1_3repE0EEENS1_30default_config_static_selectorELNS0_4arch9wavefront6targetE0EEEvSL_.num_vgpr, max(139, .L_ZN7rocprim17ROCPRIM_400000_NS6detail40segmented_radix_sort_single_block_helperI12hip_bfloat16lLj256ELj8ELb0EE4sortIPKS3_PS3_PKlPlEEbT_T0_T1_T2_jjjjRNS4_12storage_typeE.num_vgpr)
	.set _ZN7rocprim17ROCPRIM_400000_NS6detail17trampoline_kernelINS0_14default_configENS1_36segmented_radix_sort_config_selectorI12hip_bfloat16lEEZNS1_25segmented_radix_sort_implIS3_Lb0EPKS5_PS5_PKlPlN2at6native12_GLOBAL__N_18offset_tEEE10hipError_tPvRmT1_PNSt15iterator_traitsISL_E10value_typeET2_T3_PNSM_ISR_E10value_typeET4_jRbjT5_SX_jjP12ihipStream_tbEUlT_E_NS1_11comp_targetILNS1_3genE8ELNS1_11target_archE1030ELNS1_3gpuE2ELNS1_3repE0EEENS1_30default_config_static_selectorELNS0_4arch9wavefront6targetE0EEEvSL_.num_agpr, max(0, .L_ZN7rocprim17ROCPRIM_400000_NS6detail40segmented_radix_sort_single_block_helperI12hip_bfloat16lLj256ELj8ELb0EE4sortIPKS3_PS3_PKlPlEEbT_T0_T1_T2_jjjjRNS4_12storage_typeE.num_agpr)
	.set _ZN7rocprim17ROCPRIM_400000_NS6detail17trampoline_kernelINS0_14default_configENS1_36segmented_radix_sort_config_selectorI12hip_bfloat16lEEZNS1_25segmented_radix_sort_implIS3_Lb0EPKS5_PS5_PKlPlN2at6native12_GLOBAL__N_18offset_tEEE10hipError_tPvRmT1_PNSt15iterator_traitsISL_E10value_typeET2_T3_PNSM_ISR_E10value_typeET4_jRbjT5_SX_jjP12ihipStream_tbEUlT_E_NS1_11comp_targetILNS1_3genE8ELNS1_11target_archE1030ELNS1_3gpuE2ELNS1_3repE0EEENS1_30default_config_static_selectorELNS0_4arch9wavefront6targetE0EEEvSL_.numbered_sgpr, max(56, .L_ZN7rocprim17ROCPRIM_400000_NS6detail40segmented_radix_sort_single_block_helperI12hip_bfloat16lLj256ELj8ELb0EE4sortIPKS3_PS3_PKlPlEEbT_T0_T1_T2_jjjjRNS4_12storage_typeE.numbered_sgpr)
	.set _ZN7rocprim17ROCPRIM_400000_NS6detail17trampoline_kernelINS0_14default_configENS1_36segmented_radix_sort_config_selectorI12hip_bfloat16lEEZNS1_25segmented_radix_sort_implIS3_Lb0EPKS5_PS5_PKlPlN2at6native12_GLOBAL__N_18offset_tEEE10hipError_tPvRmT1_PNSt15iterator_traitsISL_E10value_typeET2_T3_PNSM_ISR_E10value_typeET4_jRbjT5_SX_jjP12ihipStream_tbEUlT_E_NS1_11comp_targetILNS1_3genE8ELNS1_11target_archE1030ELNS1_3gpuE2ELNS1_3repE0EEENS1_30default_config_static_selectorELNS0_4arch9wavefront6targetE0EEEvSL_.num_named_barrier, max(0, .L_ZN7rocprim17ROCPRIM_400000_NS6detail40segmented_radix_sort_single_block_helperI12hip_bfloat16lLj256ELj8ELb0EE4sortIPKS3_PS3_PKlPlEEbT_T0_T1_T2_jjjjRNS4_12storage_typeE.num_named_barrier)
	.set _ZN7rocprim17ROCPRIM_400000_NS6detail17trampoline_kernelINS0_14default_configENS1_36segmented_radix_sort_config_selectorI12hip_bfloat16lEEZNS1_25segmented_radix_sort_implIS3_Lb0EPKS5_PS5_PKlPlN2at6native12_GLOBAL__N_18offset_tEEE10hipError_tPvRmT1_PNSt15iterator_traitsISL_E10value_typeET2_T3_PNSM_ISR_E10value_typeET4_jRbjT5_SX_jjP12ihipStream_tbEUlT_E_NS1_11comp_targetILNS1_3genE8ELNS1_11target_archE1030ELNS1_3gpuE2ELNS1_3repE0EEENS1_30default_config_static_selectorELNS0_4arch9wavefront6targetE0EEEvSL_.private_seg_size, 0+max(.L_ZN7rocprim17ROCPRIM_400000_NS6detail40segmented_radix_sort_single_block_helperI12hip_bfloat16lLj256ELj8ELb0EE4sortIPKS3_PS3_PKlPlEEbT_T0_T1_T2_jjjjRNS4_12storage_typeE.private_seg_size)
	.set _ZN7rocprim17ROCPRIM_400000_NS6detail17trampoline_kernelINS0_14default_configENS1_36segmented_radix_sort_config_selectorI12hip_bfloat16lEEZNS1_25segmented_radix_sort_implIS3_Lb0EPKS5_PS5_PKlPlN2at6native12_GLOBAL__N_18offset_tEEE10hipError_tPvRmT1_PNSt15iterator_traitsISL_E10value_typeET2_T3_PNSM_ISR_E10value_typeET4_jRbjT5_SX_jjP12ihipStream_tbEUlT_E_NS1_11comp_targetILNS1_3genE8ELNS1_11target_archE1030ELNS1_3gpuE2ELNS1_3repE0EEENS1_30default_config_static_selectorELNS0_4arch9wavefront6targetE0EEEvSL_.uses_vcc, or(1, .L_ZN7rocprim17ROCPRIM_400000_NS6detail40segmented_radix_sort_single_block_helperI12hip_bfloat16lLj256ELj8ELb0EE4sortIPKS3_PS3_PKlPlEEbT_T0_T1_T2_jjjjRNS4_12storage_typeE.uses_vcc)
	.set _ZN7rocprim17ROCPRIM_400000_NS6detail17trampoline_kernelINS0_14default_configENS1_36segmented_radix_sort_config_selectorI12hip_bfloat16lEEZNS1_25segmented_radix_sort_implIS3_Lb0EPKS5_PS5_PKlPlN2at6native12_GLOBAL__N_18offset_tEEE10hipError_tPvRmT1_PNSt15iterator_traitsISL_E10value_typeET2_T3_PNSM_ISR_E10value_typeET4_jRbjT5_SX_jjP12ihipStream_tbEUlT_E_NS1_11comp_targetILNS1_3genE8ELNS1_11target_archE1030ELNS1_3gpuE2ELNS1_3repE0EEENS1_30default_config_static_selectorELNS0_4arch9wavefront6targetE0EEEvSL_.uses_flat_scratch, or(0, .L_ZN7rocprim17ROCPRIM_400000_NS6detail40segmented_radix_sort_single_block_helperI12hip_bfloat16lLj256ELj8ELb0EE4sortIPKS3_PS3_PKlPlEEbT_T0_T1_T2_jjjjRNS4_12storage_typeE.uses_flat_scratch)
	.set _ZN7rocprim17ROCPRIM_400000_NS6detail17trampoline_kernelINS0_14default_configENS1_36segmented_radix_sort_config_selectorI12hip_bfloat16lEEZNS1_25segmented_radix_sort_implIS3_Lb0EPKS5_PS5_PKlPlN2at6native12_GLOBAL__N_18offset_tEEE10hipError_tPvRmT1_PNSt15iterator_traitsISL_E10value_typeET2_T3_PNSM_ISR_E10value_typeET4_jRbjT5_SX_jjP12ihipStream_tbEUlT_E_NS1_11comp_targetILNS1_3genE8ELNS1_11target_archE1030ELNS1_3gpuE2ELNS1_3repE0EEENS1_30default_config_static_selectorELNS0_4arch9wavefront6targetE0EEEvSL_.has_dyn_sized_stack, or(0, .L_ZN7rocprim17ROCPRIM_400000_NS6detail40segmented_radix_sort_single_block_helperI12hip_bfloat16lLj256ELj8ELb0EE4sortIPKS3_PS3_PKlPlEEbT_T0_T1_T2_jjjjRNS4_12storage_typeE.has_dyn_sized_stack)
	.set _ZN7rocprim17ROCPRIM_400000_NS6detail17trampoline_kernelINS0_14default_configENS1_36segmented_radix_sort_config_selectorI12hip_bfloat16lEEZNS1_25segmented_radix_sort_implIS3_Lb0EPKS5_PS5_PKlPlN2at6native12_GLOBAL__N_18offset_tEEE10hipError_tPvRmT1_PNSt15iterator_traitsISL_E10value_typeET2_T3_PNSM_ISR_E10value_typeET4_jRbjT5_SX_jjP12ihipStream_tbEUlT_E_NS1_11comp_targetILNS1_3genE8ELNS1_11target_archE1030ELNS1_3gpuE2ELNS1_3repE0EEENS1_30default_config_static_selectorELNS0_4arch9wavefront6targetE0EEEvSL_.has_recursion, or(0, .L_ZN7rocprim17ROCPRIM_400000_NS6detail40segmented_radix_sort_single_block_helperI12hip_bfloat16lLj256ELj8ELb0EE4sortIPKS3_PS3_PKlPlEEbT_T0_T1_T2_jjjjRNS4_12storage_typeE.has_recursion)
	.set _ZN7rocprim17ROCPRIM_400000_NS6detail17trampoline_kernelINS0_14default_configENS1_36segmented_radix_sort_config_selectorI12hip_bfloat16lEEZNS1_25segmented_radix_sort_implIS3_Lb0EPKS5_PS5_PKlPlN2at6native12_GLOBAL__N_18offset_tEEE10hipError_tPvRmT1_PNSt15iterator_traitsISL_E10value_typeET2_T3_PNSM_ISR_E10value_typeET4_jRbjT5_SX_jjP12ihipStream_tbEUlT_E_NS1_11comp_targetILNS1_3genE8ELNS1_11target_archE1030ELNS1_3gpuE2ELNS1_3repE0EEENS1_30default_config_static_selectorELNS0_4arch9wavefront6targetE0EEEvSL_.has_indirect_call, or(0, .L_ZN7rocprim17ROCPRIM_400000_NS6detail40segmented_radix_sort_single_block_helperI12hip_bfloat16lLj256ELj8ELb0EE4sortIPKS3_PS3_PKlPlEEbT_T0_T1_T2_jjjjRNS4_12storage_typeE.has_indirect_call)
	.section	.AMDGPU.csdata,"",@progbits
; Kernel info:
; codeLenInByte = 38456
; TotalNumSgprs: 58
; NumVgprs: 184
; ScratchSize: 0
; MemoryBound: 0
; FloatMode: 240
; IeeeMode: 1
; LDSByteSize: 17440 bytes/workgroup (compile time only)
; SGPRBlocks: 0
; VGPRBlocks: 22
; NumSGPRsForWavesPerEU: 58
; NumVGPRsForWavesPerEU: 184
; Occupancy: 5
; WaveLimiterHint : 1
; COMPUTE_PGM_RSRC2:SCRATCH_EN: 0
; COMPUTE_PGM_RSRC2:USER_SGPR: 6
; COMPUTE_PGM_RSRC2:TRAP_HANDLER: 0
; COMPUTE_PGM_RSRC2:TGID_X_EN: 1
; COMPUTE_PGM_RSRC2:TGID_Y_EN: 1
; COMPUTE_PGM_RSRC2:TGID_Z_EN: 0
; COMPUTE_PGM_RSRC2:TIDIG_COMP_CNT: 2
	.section	.text._ZN7rocprim17ROCPRIM_400000_NS6detail17trampoline_kernelINS0_14default_configENS1_36segmented_radix_sort_config_selectorI12hip_bfloat16lEEZNS1_25segmented_radix_sort_implIS3_Lb0EPKS5_PS5_PKlPlN2at6native12_GLOBAL__N_18offset_tEEE10hipError_tPvRmT1_PNSt15iterator_traitsISL_E10value_typeET2_T3_PNSM_ISR_E10value_typeET4_jRbjT5_SX_jjP12ihipStream_tbEUlT_E0_NS1_11comp_targetILNS1_3genE0ELNS1_11target_archE4294967295ELNS1_3gpuE0ELNS1_3repE0EEENS1_60segmented_radix_sort_warp_sort_medium_config_static_selectorELNS0_4arch9wavefront6targetE0EEEvSL_,"axG",@progbits,_ZN7rocprim17ROCPRIM_400000_NS6detail17trampoline_kernelINS0_14default_configENS1_36segmented_radix_sort_config_selectorI12hip_bfloat16lEEZNS1_25segmented_radix_sort_implIS3_Lb0EPKS5_PS5_PKlPlN2at6native12_GLOBAL__N_18offset_tEEE10hipError_tPvRmT1_PNSt15iterator_traitsISL_E10value_typeET2_T3_PNSM_ISR_E10value_typeET4_jRbjT5_SX_jjP12ihipStream_tbEUlT_E0_NS1_11comp_targetILNS1_3genE0ELNS1_11target_archE4294967295ELNS1_3gpuE0ELNS1_3repE0EEENS1_60segmented_radix_sort_warp_sort_medium_config_static_selectorELNS0_4arch9wavefront6targetE0EEEvSL_,comdat
	.globl	_ZN7rocprim17ROCPRIM_400000_NS6detail17trampoline_kernelINS0_14default_configENS1_36segmented_radix_sort_config_selectorI12hip_bfloat16lEEZNS1_25segmented_radix_sort_implIS3_Lb0EPKS5_PS5_PKlPlN2at6native12_GLOBAL__N_18offset_tEEE10hipError_tPvRmT1_PNSt15iterator_traitsISL_E10value_typeET2_T3_PNSM_ISR_E10value_typeET4_jRbjT5_SX_jjP12ihipStream_tbEUlT_E0_NS1_11comp_targetILNS1_3genE0ELNS1_11target_archE4294967295ELNS1_3gpuE0ELNS1_3repE0EEENS1_60segmented_radix_sort_warp_sort_medium_config_static_selectorELNS0_4arch9wavefront6targetE0EEEvSL_ ; -- Begin function _ZN7rocprim17ROCPRIM_400000_NS6detail17trampoline_kernelINS0_14default_configENS1_36segmented_radix_sort_config_selectorI12hip_bfloat16lEEZNS1_25segmented_radix_sort_implIS3_Lb0EPKS5_PS5_PKlPlN2at6native12_GLOBAL__N_18offset_tEEE10hipError_tPvRmT1_PNSt15iterator_traitsISL_E10value_typeET2_T3_PNSM_ISR_E10value_typeET4_jRbjT5_SX_jjP12ihipStream_tbEUlT_E0_NS1_11comp_targetILNS1_3genE0ELNS1_11target_archE4294967295ELNS1_3gpuE0ELNS1_3repE0EEENS1_60segmented_radix_sort_warp_sort_medium_config_static_selectorELNS0_4arch9wavefront6targetE0EEEvSL_
	.p2align	8
	.type	_ZN7rocprim17ROCPRIM_400000_NS6detail17trampoline_kernelINS0_14default_configENS1_36segmented_radix_sort_config_selectorI12hip_bfloat16lEEZNS1_25segmented_radix_sort_implIS3_Lb0EPKS5_PS5_PKlPlN2at6native12_GLOBAL__N_18offset_tEEE10hipError_tPvRmT1_PNSt15iterator_traitsISL_E10value_typeET2_T3_PNSM_ISR_E10value_typeET4_jRbjT5_SX_jjP12ihipStream_tbEUlT_E0_NS1_11comp_targetILNS1_3genE0ELNS1_11target_archE4294967295ELNS1_3gpuE0ELNS1_3repE0EEENS1_60segmented_radix_sort_warp_sort_medium_config_static_selectorELNS0_4arch9wavefront6targetE0EEEvSL_,@function
_ZN7rocprim17ROCPRIM_400000_NS6detail17trampoline_kernelINS0_14default_configENS1_36segmented_radix_sort_config_selectorI12hip_bfloat16lEEZNS1_25segmented_radix_sort_implIS3_Lb0EPKS5_PS5_PKlPlN2at6native12_GLOBAL__N_18offset_tEEE10hipError_tPvRmT1_PNSt15iterator_traitsISL_E10value_typeET2_T3_PNSM_ISR_E10value_typeET4_jRbjT5_SX_jjP12ihipStream_tbEUlT_E0_NS1_11comp_targetILNS1_3genE0ELNS1_11target_archE4294967295ELNS1_3gpuE0ELNS1_3repE0EEENS1_60segmented_radix_sort_warp_sort_medium_config_static_selectorELNS0_4arch9wavefront6targetE0EEEvSL_: ; @_ZN7rocprim17ROCPRIM_400000_NS6detail17trampoline_kernelINS0_14default_configENS1_36segmented_radix_sort_config_selectorI12hip_bfloat16lEEZNS1_25segmented_radix_sort_implIS3_Lb0EPKS5_PS5_PKlPlN2at6native12_GLOBAL__N_18offset_tEEE10hipError_tPvRmT1_PNSt15iterator_traitsISL_E10value_typeET2_T3_PNSM_ISR_E10value_typeET4_jRbjT5_SX_jjP12ihipStream_tbEUlT_E0_NS1_11comp_targetILNS1_3genE0ELNS1_11target_archE4294967295ELNS1_3gpuE0ELNS1_3repE0EEENS1_60segmented_radix_sort_warp_sort_medium_config_static_selectorELNS0_4arch9wavefront6targetE0EEEvSL_
; %bb.0:
	.section	.rodata,"a",@progbits
	.p2align	6, 0x0
	.amdhsa_kernel _ZN7rocprim17ROCPRIM_400000_NS6detail17trampoline_kernelINS0_14default_configENS1_36segmented_radix_sort_config_selectorI12hip_bfloat16lEEZNS1_25segmented_radix_sort_implIS3_Lb0EPKS5_PS5_PKlPlN2at6native12_GLOBAL__N_18offset_tEEE10hipError_tPvRmT1_PNSt15iterator_traitsISL_E10value_typeET2_T3_PNSM_ISR_E10value_typeET4_jRbjT5_SX_jjP12ihipStream_tbEUlT_E0_NS1_11comp_targetILNS1_3genE0ELNS1_11target_archE4294967295ELNS1_3gpuE0ELNS1_3repE0EEENS1_60segmented_radix_sort_warp_sort_medium_config_static_selectorELNS0_4arch9wavefront6targetE0EEEvSL_
		.amdhsa_group_segment_fixed_size 0
		.amdhsa_private_segment_fixed_size 0
		.amdhsa_kernarg_size 88
		.amdhsa_user_sgpr_count 6
		.amdhsa_user_sgpr_private_segment_buffer 1
		.amdhsa_user_sgpr_dispatch_ptr 0
		.amdhsa_user_sgpr_queue_ptr 0
		.amdhsa_user_sgpr_kernarg_segment_ptr 1
		.amdhsa_user_sgpr_dispatch_id 0
		.amdhsa_user_sgpr_flat_scratch_init 0
		.amdhsa_user_sgpr_private_segment_size 0
		.amdhsa_wavefront_size32 1
		.amdhsa_uses_dynamic_stack 0
		.amdhsa_system_sgpr_private_segment_wavefront_offset 0
		.amdhsa_system_sgpr_workgroup_id_x 1
		.amdhsa_system_sgpr_workgroup_id_y 0
		.amdhsa_system_sgpr_workgroup_id_z 0
		.amdhsa_system_sgpr_workgroup_info 0
		.amdhsa_system_vgpr_workitem_id 0
		.amdhsa_next_free_vgpr 1
		.amdhsa_next_free_sgpr 1
		.amdhsa_reserve_vcc 0
		.amdhsa_reserve_flat_scratch 0
		.amdhsa_float_round_mode_32 0
		.amdhsa_float_round_mode_16_64 0
		.amdhsa_float_denorm_mode_32 3
		.amdhsa_float_denorm_mode_16_64 3
		.amdhsa_dx10_clamp 1
		.amdhsa_ieee_mode 1
		.amdhsa_fp16_overflow 0
		.amdhsa_workgroup_processor_mode 1
		.amdhsa_memory_ordered 1
		.amdhsa_forward_progress 1
		.amdhsa_shared_vgpr_count 0
		.amdhsa_exception_fp_ieee_invalid_op 0
		.amdhsa_exception_fp_denorm_src 0
		.amdhsa_exception_fp_ieee_div_zero 0
		.amdhsa_exception_fp_ieee_overflow 0
		.amdhsa_exception_fp_ieee_underflow 0
		.amdhsa_exception_fp_ieee_inexact 0
		.amdhsa_exception_int_div_zero 0
	.end_amdhsa_kernel
	.section	.text._ZN7rocprim17ROCPRIM_400000_NS6detail17trampoline_kernelINS0_14default_configENS1_36segmented_radix_sort_config_selectorI12hip_bfloat16lEEZNS1_25segmented_radix_sort_implIS3_Lb0EPKS5_PS5_PKlPlN2at6native12_GLOBAL__N_18offset_tEEE10hipError_tPvRmT1_PNSt15iterator_traitsISL_E10value_typeET2_T3_PNSM_ISR_E10value_typeET4_jRbjT5_SX_jjP12ihipStream_tbEUlT_E0_NS1_11comp_targetILNS1_3genE0ELNS1_11target_archE4294967295ELNS1_3gpuE0ELNS1_3repE0EEENS1_60segmented_radix_sort_warp_sort_medium_config_static_selectorELNS0_4arch9wavefront6targetE0EEEvSL_,"axG",@progbits,_ZN7rocprim17ROCPRIM_400000_NS6detail17trampoline_kernelINS0_14default_configENS1_36segmented_radix_sort_config_selectorI12hip_bfloat16lEEZNS1_25segmented_radix_sort_implIS3_Lb0EPKS5_PS5_PKlPlN2at6native12_GLOBAL__N_18offset_tEEE10hipError_tPvRmT1_PNSt15iterator_traitsISL_E10value_typeET2_T3_PNSM_ISR_E10value_typeET4_jRbjT5_SX_jjP12ihipStream_tbEUlT_E0_NS1_11comp_targetILNS1_3genE0ELNS1_11target_archE4294967295ELNS1_3gpuE0ELNS1_3repE0EEENS1_60segmented_radix_sort_warp_sort_medium_config_static_selectorELNS0_4arch9wavefront6targetE0EEEvSL_,comdat
.Lfunc_end2049:
	.size	_ZN7rocprim17ROCPRIM_400000_NS6detail17trampoline_kernelINS0_14default_configENS1_36segmented_radix_sort_config_selectorI12hip_bfloat16lEEZNS1_25segmented_radix_sort_implIS3_Lb0EPKS5_PS5_PKlPlN2at6native12_GLOBAL__N_18offset_tEEE10hipError_tPvRmT1_PNSt15iterator_traitsISL_E10value_typeET2_T3_PNSM_ISR_E10value_typeET4_jRbjT5_SX_jjP12ihipStream_tbEUlT_E0_NS1_11comp_targetILNS1_3genE0ELNS1_11target_archE4294967295ELNS1_3gpuE0ELNS1_3repE0EEENS1_60segmented_radix_sort_warp_sort_medium_config_static_selectorELNS0_4arch9wavefront6targetE0EEEvSL_, .Lfunc_end2049-_ZN7rocprim17ROCPRIM_400000_NS6detail17trampoline_kernelINS0_14default_configENS1_36segmented_radix_sort_config_selectorI12hip_bfloat16lEEZNS1_25segmented_radix_sort_implIS3_Lb0EPKS5_PS5_PKlPlN2at6native12_GLOBAL__N_18offset_tEEE10hipError_tPvRmT1_PNSt15iterator_traitsISL_E10value_typeET2_T3_PNSM_ISR_E10value_typeET4_jRbjT5_SX_jjP12ihipStream_tbEUlT_E0_NS1_11comp_targetILNS1_3genE0ELNS1_11target_archE4294967295ELNS1_3gpuE0ELNS1_3repE0EEENS1_60segmented_radix_sort_warp_sort_medium_config_static_selectorELNS0_4arch9wavefront6targetE0EEEvSL_
                                        ; -- End function
	.set _ZN7rocprim17ROCPRIM_400000_NS6detail17trampoline_kernelINS0_14default_configENS1_36segmented_radix_sort_config_selectorI12hip_bfloat16lEEZNS1_25segmented_radix_sort_implIS3_Lb0EPKS5_PS5_PKlPlN2at6native12_GLOBAL__N_18offset_tEEE10hipError_tPvRmT1_PNSt15iterator_traitsISL_E10value_typeET2_T3_PNSM_ISR_E10value_typeET4_jRbjT5_SX_jjP12ihipStream_tbEUlT_E0_NS1_11comp_targetILNS1_3genE0ELNS1_11target_archE4294967295ELNS1_3gpuE0ELNS1_3repE0EEENS1_60segmented_radix_sort_warp_sort_medium_config_static_selectorELNS0_4arch9wavefront6targetE0EEEvSL_.num_vgpr, 0
	.set _ZN7rocprim17ROCPRIM_400000_NS6detail17trampoline_kernelINS0_14default_configENS1_36segmented_radix_sort_config_selectorI12hip_bfloat16lEEZNS1_25segmented_radix_sort_implIS3_Lb0EPKS5_PS5_PKlPlN2at6native12_GLOBAL__N_18offset_tEEE10hipError_tPvRmT1_PNSt15iterator_traitsISL_E10value_typeET2_T3_PNSM_ISR_E10value_typeET4_jRbjT5_SX_jjP12ihipStream_tbEUlT_E0_NS1_11comp_targetILNS1_3genE0ELNS1_11target_archE4294967295ELNS1_3gpuE0ELNS1_3repE0EEENS1_60segmented_radix_sort_warp_sort_medium_config_static_selectorELNS0_4arch9wavefront6targetE0EEEvSL_.num_agpr, 0
	.set _ZN7rocprim17ROCPRIM_400000_NS6detail17trampoline_kernelINS0_14default_configENS1_36segmented_radix_sort_config_selectorI12hip_bfloat16lEEZNS1_25segmented_radix_sort_implIS3_Lb0EPKS5_PS5_PKlPlN2at6native12_GLOBAL__N_18offset_tEEE10hipError_tPvRmT1_PNSt15iterator_traitsISL_E10value_typeET2_T3_PNSM_ISR_E10value_typeET4_jRbjT5_SX_jjP12ihipStream_tbEUlT_E0_NS1_11comp_targetILNS1_3genE0ELNS1_11target_archE4294967295ELNS1_3gpuE0ELNS1_3repE0EEENS1_60segmented_radix_sort_warp_sort_medium_config_static_selectorELNS0_4arch9wavefront6targetE0EEEvSL_.numbered_sgpr, 0
	.set _ZN7rocprim17ROCPRIM_400000_NS6detail17trampoline_kernelINS0_14default_configENS1_36segmented_radix_sort_config_selectorI12hip_bfloat16lEEZNS1_25segmented_radix_sort_implIS3_Lb0EPKS5_PS5_PKlPlN2at6native12_GLOBAL__N_18offset_tEEE10hipError_tPvRmT1_PNSt15iterator_traitsISL_E10value_typeET2_T3_PNSM_ISR_E10value_typeET4_jRbjT5_SX_jjP12ihipStream_tbEUlT_E0_NS1_11comp_targetILNS1_3genE0ELNS1_11target_archE4294967295ELNS1_3gpuE0ELNS1_3repE0EEENS1_60segmented_radix_sort_warp_sort_medium_config_static_selectorELNS0_4arch9wavefront6targetE0EEEvSL_.num_named_barrier, 0
	.set _ZN7rocprim17ROCPRIM_400000_NS6detail17trampoline_kernelINS0_14default_configENS1_36segmented_radix_sort_config_selectorI12hip_bfloat16lEEZNS1_25segmented_radix_sort_implIS3_Lb0EPKS5_PS5_PKlPlN2at6native12_GLOBAL__N_18offset_tEEE10hipError_tPvRmT1_PNSt15iterator_traitsISL_E10value_typeET2_T3_PNSM_ISR_E10value_typeET4_jRbjT5_SX_jjP12ihipStream_tbEUlT_E0_NS1_11comp_targetILNS1_3genE0ELNS1_11target_archE4294967295ELNS1_3gpuE0ELNS1_3repE0EEENS1_60segmented_radix_sort_warp_sort_medium_config_static_selectorELNS0_4arch9wavefront6targetE0EEEvSL_.private_seg_size, 0
	.set _ZN7rocprim17ROCPRIM_400000_NS6detail17trampoline_kernelINS0_14default_configENS1_36segmented_radix_sort_config_selectorI12hip_bfloat16lEEZNS1_25segmented_radix_sort_implIS3_Lb0EPKS5_PS5_PKlPlN2at6native12_GLOBAL__N_18offset_tEEE10hipError_tPvRmT1_PNSt15iterator_traitsISL_E10value_typeET2_T3_PNSM_ISR_E10value_typeET4_jRbjT5_SX_jjP12ihipStream_tbEUlT_E0_NS1_11comp_targetILNS1_3genE0ELNS1_11target_archE4294967295ELNS1_3gpuE0ELNS1_3repE0EEENS1_60segmented_radix_sort_warp_sort_medium_config_static_selectorELNS0_4arch9wavefront6targetE0EEEvSL_.uses_vcc, 0
	.set _ZN7rocprim17ROCPRIM_400000_NS6detail17trampoline_kernelINS0_14default_configENS1_36segmented_radix_sort_config_selectorI12hip_bfloat16lEEZNS1_25segmented_radix_sort_implIS3_Lb0EPKS5_PS5_PKlPlN2at6native12_GLOBAL__N_18offset_tEEE10hipError_tPvRmT1_PNSt15iterator_traitsISL_E10value_typeET2_T3_PNSM_ISR_E10value_typeET4_jRbjT5_SX_jjP12ihipStream_tbEUlT_E0_NS1_11comp_targetILNS1_3genE0ELNS1_11target_archE4294967295ELNS1_3gpuE0ELNS1_3repE0EEENS1_60segmented_radix_sort_warp_sort_medium_config_static_selectorELNS0_4arch9wavefront6targetE0EEEvSL_.uses_flat_scratch, 0
	.set _ZN7rocprim17ROCPRIM_400000_NS6detail17trampoline_kernelINS0_14default_configENS1_36segmented_radix_sort_config_selectorI12hip_bfloat16lEEZNS1_25segmented_radix_sort_implIS3_Lb0EPKS5_PS5_PKlPlN2at6native12_GLOBAL__N_18offset_tEEE10hipError_tPvRmT1_PNSt15iterator_traitsISL_E10value_typeET2_T3_PNSM_ISR_E10value_typeET4_jRbjT5_SX_jjP12ihipStream_tbEUlT_E0_NS1_11comp_targetILNS1_3genE0ELNS1_11target_archE4294967295ELNS1_3gpuE0ELNS1_3repE0EEENS1_60segmented_radix_sort_warp_sort_medium_config_static_selectorELNS0_4arch9wavefront6targetE0EEEvSL_.has_dyn_sized_stack, 0
	.set _ZN7rocprim17ROCPRIM_400000_NS6detail17trampoline_kernelINS0_14default_configENS1_36segmented_radix_sort_config_selectorI12hip_bfloat16lEEZNS1_25segmented_radix_sort_implIS3_Lb0EPKS5_PS5_PKlPlN2at6native12_GLOBAL__N_18offset_tEEE10hipError_tPvRmT1_PNSt15iterator_traitsISL_E10value_typeET2_T3_PNSM_ISR_E10value_typeET4_jRbjT5_SX_jjP12ihipStream_tbEUlT_E0_NS1_11comp_targetILNS1_3genE0ELNS1_11target_archE4294967295ELNS1_3gpuE0ELNS1_3repE0EEENS1_60segmented_radix_sort_warp_sort_medium_config_static_selectorELNS0_4arch9wavefront6targetE0EEEvSL_.has_recursion, 0
	.set _ZN7rocprim17ROCPRIM_400000_NS6detail17trampoline_kernelINS0_14default_configENS1_36segmented_radix_sort_config_selectorI12hip_bfloat16lEEZNS1_25segmented_radix_sort_implIS3_Lb0EPKS5_PS5_PKlPlN2at6native12_GLOBAL__N_18offset_tEEE10hipError_tPvRmT1_PNSt15iterator_traitsISL_E10value_typeET2_T3_PNSM_ISR_E10value_typeET4_jRbjT5_SX_jjP12ihipStream_tbEUlT_E0_NS1_11comp_targetILNS1_3genE0ELNS1_11target_archE4294967295ELNS1_3gpuE0ELNS1_3repE0EEENS1_60segmented_radix_sort_warp_sort_medium_config_static_selectorELNS0_4arch9wavefront6targetE0EEEvSL_.has_indirect_call, 0
	.section	.AMDGPU.csdata,"",@progbits
; Kernel info:
; codeLenInByte = 0
; TotalNumSgprs: 0
; NumVgprs: 0
; ScratchSize: 0
; MemoryBound: 0
; FloatMode: 240
; IeeeMode: 1
; LDSByteSize: 0 bytes/workgroup (compile time only)
; SGPRBlocks: 0
; VGPRBlocks: 0
; NumSGPRsForWavesPerEU: 1
; NumVGPRsForWavesPerEU: 1
; Occupancy: 16
; WaveLimiterHint : 0
; COMPUTE_PGM_RSRC2:SCRATCH_EN: 0
; COMPUTE_PGM_RSRC2:USER_SGPR: 6
; COMPUTE_PGM_RSRC2:TRAP_HANDLER: 0
; COMPUTE_PGM_RSRC2:TGID_X_EN: 1
; COMPUTE_PGM_RSRC2:TGID_Y_EN: 0
; COMPUTE_PGM_RSRC2:TGID_Z_EN: 0
; COMPUTE_PGM_RSRC2:TIDIG_COMP_CNT: 0
	.section	.text._ZN7rocprim17ROCPRIM_400000_NS6detail17trampoline_kernelINS0_14default_configENS1_36segmented_radix_sort_config_selectorI12hip_bfloat16lEEZNS1_25segmented_radix_sort_implIS3_Lb0EPKS5_PS5_PKlPlN2at6native12_GLOBAL__N_18offset_tEEE10hipError_tPvRmT1_PNSt15iterator_traitsISL_E10value_typeET2_T3_PNSM_ISR_E10value_typeET4_jRbjT5_SX_jjP12ihipStream_tbEUlT_E0_NS1_11comp_targetILNS1_3genE5ELNS1_11target_archE942ELNS1_3gpuE9ELNS1_3repE0EEENS1_60segmented_radix_sort_warp_sort_medium_config_static_selectorELNS0_4arch9wavefront6targetE0EEEvSL_,"axG",@progbits,_ZN7rocprim17ROCPRIM_400000_NS6detail17trampoline_kernelINS0_14default_configENS1_36segmented_radix_sort_config_selectorI12hip_bfloat16lEEZNS1_25segmented_radix_sort_implIS3_Lb0EPKS5_PS5_PKlPlN2at6native12_GLOBAL__N_18offset_tEEE10hipError_tPvRmT1_PNSt15iterator_traitsISL_E10value_typeET2_T3_PNSM_ISR_E10value_typeET4_jRbjT5_SX_jjP12ihipStream_tbEUlT_E0_NS1_11comp_targetILNS1_3genE5ELNS1_11target_archE942ELNS1_3gpuE9ELNS1_3repE0EEENS1_60segmented_radix_sort_warp_sort_medium_config_static_selectorELNS0_4arch9wavefront6targetE0EEEvSL_,comdat
	.globl	_ZN7rocprim17ROCPRIM_400000_NS6detail17trampoline_kernelINS0_14default_configENS1_36segmented_radix_sort_config_selectorI12hip_bfloat16lEEZNS1_25segmented_radix_sort_implIS3_Lb0EPKS5_PS5_PKlPlN2at6native12_GLOBAL__N_18offset_tEEE10hipError_tPvRmT1_PNSt15iterator_traitsISL_E10value_typeET2_T3_PNSM_ISR_E10value_typeET4_jRbjT5_SX_jjP12ihipStream_tbEUlT_E0_NS1_11comp_targetILNS1_3genE5ELNS1_11target_archE942ELNS1_3gpuE9ELNS1_3repE0EEENS1_60segmented_radix_sort_warp_sort_medium_config_static_selectorELNS0_4arch9wavefront6targetE0EEEvSL_ ; -- Begin function _ZN7rocprim17ROCPRIM_400000_NS6detail17trampoline_kernelINS0_14default_configENS1_36segmented_radix_sort_config_selectorI12hip_bfloat16lEEZNS1_25segmented_radix_sort_implIS3_Lb0EPKS5_PS5_PKlPlN2at6native12_GLOBAL__N_18offset_tEEE10hipError_tPvRmT1_PNSt15iterator_traitsISL_E10value_typeET2_T3_PNSM_ISR_E10value_typeET4_jRbjT5_SX_jjP12ihipStream_tbEUlT_E0_NS1_11comp_targetILNS1_3genE5ELNS1_11target_archE942ELNS1_3gpuE9ELNS1_3repE0EEENS1_60segmented_radix_sort_warp_sort_medium_config_static_selectorELNS0_4arch9wavefront6targetE0EEEvSL_
	.p2align	8
	.type	_ZN7rocprim17ROCPRIM_400000_NS6detail17trampoline_kernelINS0_14default_configENS1_36segmented_radix_sort_config_selectorI12hip_bfloat16lEEZNS1_25segmented_radix_sort_implIS3_Lb0EPKS5_PS5_PKlPlN2at6native12_GLOBAL__N_18offset_tEEE10hipError_tPvRmT1_PNSt15iterator_traitsISL_E10value_typeET2_T3_PNSM_ISR_E10value_typeET4_jRbjT5_SX_jjP12ihipStream_tbEUlT_E0_NS1_11comp_targetILNS1_3genE5ELNS1_11target_archE942ELNS1_3gpuE9ELNS1_3repE0EEENS1_60segmented_radix_sort_warp_sort_medium_config_static_selectorELNS0_4arch9wavefront6targetE0EEEvSL_,@function
_ZN7rocprim17ROCPRIM_400000_NS6detail17trampoline_kernelINS0_14default_configENS1_36segmented_radix_sort_config_selectorI12hip_bfloat16lEEZNS1_25segmented_radix_sort_implIS3_Lb0EPKS5_PS5_PKlPlN2at6native12_GLOBAL__N_18offset_tEEE10hipError_tPvRmT1_PNSt15iterator_traitsISL_E10value_typeET2_T3_PNSM_ISR_E10value_typeET4_jRbjT5_SX_jjP12ihipStream_tbEUlT_E0_NS1_11comp_targetILNS1_3genE5ELNS1_11target_archE942ELNS1_3gpuE9ELNS1_3repE0EEENS1_60segmented_radix_sort_warp_sort_medium_config_static_selectorELNS0_4arch9wavefront6targetE0EEEvSL_: ; @_ZN7rocprim17ROCPRIM_400000_NS6detail17trampoline_kernelINS0_14default_configENS1_36segmented_radix_sort_config_selectorI12hip_bfloat16lEEZNS1_25segmented_radix_sort_implIS3_Lb0EPKS5_PS5_PKlPlN2at6native12_GLOBAL__N_18offset_tEEE10hipError_tPvRmT1_PNSt15iterator_traitsISL_E10value_typeET2_T3_PNSM_ISR_E10value_typeET4_jRbjT5_SX_jjP12ihipStream_tbEUlT_E0_NS1_11comp_targetILNS1_3genE5ELNS1_11target_archE942ELNS1_3gpuE9ELNS1_3repE0EEENS1_60segmented_radix_sort_warp_sort_medium_config_static_selectorELNS0_4arch9wavefront6targetE0EEEvSL_
; %bb.0:
	.section	.rodata,"a",@progbits
	.p2align	6, 0x0
	.amdhsa_kernel _ZN7rocprim17ROCPRIM_400000_NS6detail17trampoline_kernelINS0_14default_configENS1_36segmented_radix_sort_config_selectorI12hip_bfloat16lEEZNS1_25segmented_radix_sort_implIS3_Lb0EPKS5_PS5_PKlPlN2at6native12_GLOBAL__N_18offset_tEEE10hipError_tPvRmT1_PNSt15iterator_traitsISL_E10value_typeET2_T3_PNSM_ISR_E10value_typeET4_jRbjT5_SX_jjP12ihipStream_tbEUlT_E0_NS1_11comp_targetILNS1_3genE5ELNS1_11target_archE942ELNS1_3gpuE9ELNS1_3repE0EEENS1_60segmented_radix_sort_warp_sort_medium_config_static_selectorELNS0_4arch9wavefront6targetE0EEEvSL_
		.amdhsa_group_segment_fixed_size 0
		.amdhsa_private_segment_fixed_size 0
		.amdhsa_kernarg_size 88
		.amdhsa_user_sgpr_count 6
		.amdhsa_user_sgpr_private_segment_buffer 1
		.amdhsa_user_sgpr_dispatch_ptr 0
		.amdhsa_user_sgpr_queue_ptr 0
		.amdhsa_user_sgpr_kernarg_segment_ptr 1
		.amdhsa_user_sgpr_dispatch_id 0
		.amdhsa_user_sgpr_flat_scratch_init 0
		.amdhsa_user_sgpr_private_segment_size 0
		.amdhsa_wavefront_size32 1
		.amdhsa_uses_dynamic_stack 0
		.amdhsa_system_sgpr_private_segment_wavefront_offset 0
		.amdhsa_system_sgpr_workgroup_id_x 1
		.amdhsa_system_sgpr_workgroup_id_y 0
		.amdhsa_system_sgpr_workgroup_id_z 0
		.amdhsa_system_sgpr_workgroup_info 0
		.amdhsa_system_vgpr_workitem_id 0
		.amdhsa_next_free_vgpr 1
		.amdhsa_next_free_sgpr 1
		.amdhsa_reserve_vcc 0
		.amdhsa_reserve_flat_scratch 0
		.amdhsa_float_round_mode_32 0
		.amdhsa_float_round_mode_16_64 0
		.amdhsa_float_denorm_mode_32 3
		.amdhsa_float_denorm_mode_16_64 3
		.amdhsa_dx10_clamp 1
		.amdhsa_ieee_mode 1
		.amdhsa_fp16_overflow 0
		.amdhsa_workgroup_processor_mode 1
		.amdhsa_memory_ordered 1
		.amdhsa_forward_progress 1
		.amdhsa_shared_vgpr_count 0
		.amdhsa_exception_fp_ieee_invalid_op 0
		.amdhsa_exception_fp_denorm_src 0
		.amdhsa_exception_fp_ieee_div_zero 0
		.amdhsa_exception_fp_ieee_overflow 0
		.amdhsa_exception_fp_ieee_underflow 0
		.amdhsa_exception_fp_ieee_inexact 0
		.amdhsa_exception_int_div_zero 0
	.end_amdhsa_kernel
	.section	.text._ZN7rocprim17ROCPRIM_400000_NS6detail17trampoline_kernelINS0_14default_configENS1_36segmented_radix_sort_config_selectorI12hip_bfloat16lEEZNS1_25segmented_radix_sort_implIS3_Lb0EPKS5_PS5_PKlPlN2at6native12_GLOBAL__N_18offset_tEEE10hipError_tPvRmT1_PNSt15iterator_traitsISL_E10value_typeET2_T3_PNSM_ISR_E10value_typeET4_jRbjT5_SX_jjP12ihipStream_tbEUlT_E0_NS1_11comp_targetILNS1_3genE5ELNS1_11target_archE942ELNS1_3gpuE9ELNS1_3repE0EEENS1_60segmented_radix_sort_warp_sort_medium_config_static_selectorELNS0_4arch9wavefront6targetE0EEEvSL_,"axG",@progbits,_ZN7rocprim17ROCPRIM_400000_NS6detail17trampoline_kernelINS0_14default_configENS1_36segmented_radix_sort_config_selectorI12hip_bfloat16lEEZNS1_25segmented_radix_sort_implIS3_Lb0EPKS5_PS5_PKlPlN2at6native12_GLOBAL__N_18offset_tEEE10hipError_tPvRmT1_PNSt15iterator_traitsISL_E10value_typeET2_T3_PNSM_ISR_E10value_typeET4_jRbjT5_SX_jjP12ihipStream_tbEUlT_E0_NS1_11comp_targetILNS1_3genE5ELNS1_11target_archE942ELNS1_3gpuE9ELNS1_3repE0EEENS1_60segmented_radix_sort_warp_sort_medium_config_static_selectorELNS0_4arch9wavefront6targetE0EEEvSL_,comdat
.Lfunc_end2050:
	.size	_ZN7rocprim17ROCPRIM_400000_NS6detail17trampoline_kernelINS0_14default_configENS1_36segmented_radix_sort_config_selectorI12hip_bfloat16lEEZNS1_25segmented_radix_sort_implIS3_Lb0EPKS5_PS5_PKlPlN2at6native12_GLOBAL__N_18offset_tEEE10hipError_tPvRmT1_PNSt15iterator_traitsISL_E10value_typeET2_T3_PNSM_ISR_E10value_typeET4_jRbjT5_SX_jjP12ihipStream_tbEUlT_E0_NS1_11comp_targetILNS1_3genE5ELNS1_11target_archE942ELNS1_3gpuE9ELNS1_3repE0EEENS1_60segmented_radix_sort_warp_sort_medium_config_static_selectorELNS0_4arch9wavefront6targetE0EEEvSL_, .Lfunc_end2050-_ZN7rocprim17ROCPRIM_400000_NS6detail17trampoline_kernelINS0_14default_configENS1_36segmented_radix_sort_config_selectorI12hip_bfloat16lEEZNS1_25segmented_radix_sort_implIS3_Lb0EPKS5_PS5_PKlPlN2at6native12_GLOBAL__N_18offset_tEEE10hipError_tPvRmT1_PNSt15iterator_traitsISL_E10value_typeET2_T3_PNSM_ISR_E10value_typeET4_jRbjT5_SX_jjP12ihipStream_tbEUlT_E0_NS1_11comp_targetILNS1_3genE5ELNS1_11target_archE942ELNS1_3gpuE9ELNS1_3repE0EEENS1_60segmented_radix_sort_warp_sort_medium_config_static_selectorELNS0_4arch9wavefront6targetE0EEEvSL_
                                        ; -- End function
	.set _ZN7rocprim17ROCPRIM_400000_NS6detail17trampoline_kernelINS0_14default_configENS1_36segmented_radix_sort_config_selectorI12hip_bfloat16lEEZNS1_25segmented_radix_sort_implIS3_Lb0EPKS5_PS5_PKlPlN2at6native12_GLOBAL__N_18offset_tEEE10hipError_tPvRmT1_PNSt15iterator_traitsISL_E10value_typeET2_T3_PNSM_ISR_E10value_typeET4_jRbjT5_SX_jjP12ihipStream_tbEUlT_E0_NS1_11comp_targetILNS1_3genE5ELNS1_11target_archE942ELNS1_3gpuE9ELNS1_3repE0EEENS1_60segmented_radix_sort_warp_sort_medium_config_static_selectorELNS0_4arch9wavefront6targetE0EEEvSL_.num_vgpr, 0
	.set _ZN7rocprim17ROCPRIM_400000_NS6detail17trampoline_kernelINS0_14default_configENS1_36segmented_radix_sort_config_selectorI12hip_bfloat16lEEZNS1_25segmented_radix_sort_implIS3_Lb0EPKS5_PS5_PKlPlN2at6native12_GLOBAL__N_18offset_tEEE10hipError_tPvRmT1_PNSt15iterator_traitsISL_E10value_typeET2_T3_PNSM_ISR_E10value_typeET4_jRbjT5_SX_jjP12ihipStream_tbEUlT_E0_NS1_11comp_targetILNS1_3genE5ELNS1_11target_archE942ELNS1_3gpuE9ELNS1_3repE0EEENS1_60segmented_radix_sort_warp_sort_medium_config_static_selectorELNS0_4arch9wavefront6targetE0EEEvSL_.num_agpr, 0
	.set _ZN7rocprim17ROCPRIM_400000_NS6detail17trampoline_kernelINS0_14default_configENS1_36segmented_radix_sort_config_selectorI12hip_bfloat16lEEZNS1_25segmented_radix_sort_implIS3_Lb0EPKS5_PS5_PKlPlN2at6native12_GLOBAL__N_18offset_tEEE10hipError_tPvRmT1_PNSt15iterator_traitsISL_E10value_typeET2_T3_PNSM_ISR_E10value_typeET4_jRbjT5_SX_jjP12ihipStream_tbEUlT_E0_NS1_11comp_targetILNS1_3genE5ELNS1_11target_archE942ELNS1_3gpuE9ELNS1_3repE0EEENS1_60segmented_radix_sort_warp_sort_medium_config_static_selectorELNS0_4arch9wavefront6targetE0EEEvSL_.numbered_sgpr, 0
	.set _ZN7rocprim17ROCPRIM_400000_NS6detail17trampoline_kernelINS0_14default_configENS1_36segmented_radix_sort_config_selectorI12hip_bfloat16lEEZNS1_25segmented_radix_sort_implIS3_Lb0EPKS5_PS5_PKlPlN2at6native12_GLOBAL__N_18offset_tEEE10hipError_tPvRmT1_PNSt15iterator_traitsISL_E10value_typeET2_T3_PNSM_ISR_E10value_typeET4_jRbjT5_SX_jjP12ihipStream_tbEUlT_E0_NS1_11comp_targetILNS1_3genE5ELNS1_11target_archE942ELNS1_3gpuE9ELNS1_3repE0EEENS1_60segmented_radix_sort_warp_sort_medium_config_static_selectorELNS0_4arch9wavefront6targetE0EEEvSL_.num_named_barrier, 0
	.set _ZN7rocprim17ROCPRIM_400000_NS6detail17trampoline_kernelINS0_14default_configENS1_36segmented_radix_sort_config_selectorI12hip_bfloat16lEEZNS1_25segmented_radix_sort_implIS3_Lb0EPKS5_PS5_PKlPlN2at6native12_GLOBAL__N_18offset_tEEE10hipError_tPvRmT1_PNSt15iterator_traitsISL_E10value_typeET2_T3_PNSM_ISR_E10value_typeET4_jRbjT5_SX_jjP12ihipStream_tbEUlT_E0_NS1_11comp_targetILNS1_3genE5ELNS1_11target_archE942ELNS1_3gpuE9ELNS1_3repE0EEENS1_60segmented_radix_sort_warp_sort_medium_config_static_selectorELNS0_4arch9wavefront6targetE0EEEvSL_.private_seg_size, 0
	.set _ZN7rocprim17ROCPRIM_400000_NS6detail17trampoline_kernelINS0_14default_configENS1_36segmented_radix_sort_config_selectorI12hip_bfloat16lEEZNS1_25segmented_radix_sort_implIS3_Lb0EPKS5_PS5_PKlPlN2at6native12_GLOBAL__N_18offset_tEEE10hipError_tPvRmT1_PNSt15iterator_traitsISL_E10value_typeET2_T3_PNSM_ISR_E10value_typeET4_jRbjT5_SX_jjP12ihipStream_tbEUlT_E0_NS1_11comp_targetILNS1_3genE5ELNS1_11target_archE942ELNS1_3gpuE9ELNS1_3repE0EEENS1_60segmented_radix_sort_warp_sort_medium_config_static_selectorELNS0_4arch9wavefront6targetE0EEEvSL_.uses_vcc, 0
	.set _ZN7rocprim17ROCPRIM_400000_NS6detail17trampoline_kernelINS0_14default_configENS1_36segmented_radix_sort_config_selectorI12hip_bfloat16lEEZNS1_25segmented_radix_sort_implIS3_Lb0EPKS5_PS5_PKlPlN2at6native12_GLOBAL__N_18offset_tEEE10hipError_tPvRmT1_PNSt15iterator_traitsISL_E10value_typeET2_T3_PNSM_ISR_E10value_typeET4_jRbjT5_SX_jjP12ihipStream_tbEUlT_E0_NS1_11comp_targetILNS1_3genE5ELNS1_11target_archE942ELNS1_3gpuE9ELNS1_3repE0EEENS1_60segmented_radix_sort_warp_sort_medium_config_static_selectorELNS0_4arch9wavefront6targetE0EEEvSL_.uses_flat_scratch, 0
	.set _ZN7rocprim17ROCPRIM_400000_NS6detail17trampoline_kernelINS0_14default_configENS1_36segmented_radix_sort_config_selectorI12hip_bfloat16lEEZNS1_25segmented_radix_sort_implIS3_Lb0EPKS5_PS5_PKlPlN2at6native12_GLOBAL__N_18offset_tEEE10hipError_tPvRmT1_PNSt15iterator_traitsISL_E10value_typeET2_T3_PNSM_ISR_E10value_typeET4_jRbjT5_SX_jjP12ihipStream_tbEUlT_E0_NS1_11comp_targetILNS1_3genE5ELNS1_11target_archE942ELNS1_3gpuE9ELNS1_3repE0EEENS1_60segmented_radix_sort_warp_sort_medium_config_static_selectorELNS0_4arch9wavefront6targetE0EEEvSL_.has_dyn_sized_stack, 0
	.set _ZN7rocprim17ROCPRIM_400000_NS6detail17trampoline_kernelINS0_14default_configENS1_36segmented_radix_sort_config_selectorI12hip_bfloat16lEEZNS1_25segmented_radix_sort_implIS3_Lb0EPKS5_PS5_PKlPlN2at6native12_GLOBAL__N_18offset_tEEE10hipError_tPvRmT1_PNSt15iterator_traitsISL_E10value_typeET2_T3_PNSM_ISR_E10value_typeET4_jRbjT5_SX_jjP12ihipStream_tbEUlT_E0_NS1_11comp_targetILNS1_3genE5ELNS1_11target_archE942ELNS1_3gpuE9ELNS1_3repE0EEENS1_60segmented_radix_sort_warp_sort_medium_config_static_selectorELNS0_4arch9wavefront6targetE0EEEvSL_.has_recursion, 0
	.set _ZN7rocprim17ROCPRIM_400000_NS6detail17trampoline_kernelINS0_14default_configENS1_36segmented_radix_sort_config_selectorI12hip_bfloat16lEEZNS1_25segmented_radix_sort_implIS3_Lb0EPKS5_PS5_PKlPlN2at6native12_GLOBAL__N_18offset_tEEE10hipError_tPvRmT1_PNSt15iterator_traitsISL_E10value_typeET2_T3_PNSM_ISR_E10value_typeET4_jRbjT5_SX_jjP12ihipStream_tbEUlT_E0_NS1_11comp_targetILNS1_3genE5ELNS1_11target_archE942ELNS1_3gpuE9ELNS1_3repE0EEENS1_60segmented_radix_sort_warp_sort_medium_config_static_selectorELNS0_4arch9wavefront6targetE0EEEvSL_.has_indirect_call, 0
	.section	.AMDGPU.csdata,"",@progbits
; Kernel info:
; codeLenInByte = 0
; TotalNumSgprs: 0
; NumVgprs: 0
; ScratchSize: 0
; MemoryBound: 0
; FloatMode: 240
; IeeeMode: 1
; LDSByteSize: 0 bytes/workgroup (compile time only)
; SGPRBlocks: 0
; VGPRBlocks: 0
; NumSGPRsForWavesPerEU: 1
; NumVGPRsForWavesPerEU: 1
; Occupancy: 16
; WaveLimiterHint : 0
; COMPUTE_PGM_RSRC2:SCRATCH_EN: 0
; COMPUTE_PGM_RSRC2:USER_SGPR: 6
; COMPUTE_PGM_RSRC2:TRAP_HANDLER: 0
; COMPUTE_PGM_RSRC2:TGID_X_EN: 1
; COMPUTE_PGM_RSRC2:TGID_Y_EN: 0
; COMPUTE_PGM_RSRC2:TGID_Z_EN: 0
; COMPUTE_PGM_RSRC2:TIDIG_COMP_CNT: 0
	.section	.text._ZN7rocprim17ROCPRIM_400000_NS6detail17trampoline_kernelINS0_14default_configENS1_36segmented_radix_sort_config_selectorI12hip_bfloat16lEEZNS1_25segmented_radix_sort_implIS3_Lb0EPKS5_PS5_PKlPlN2at6native12_GLOBAL__N_18offset_tEEE10hipError_tPvRmT1_PNSt15iterator_traitsISL_E10value_typeET2_T3_PNSM_ISR_E10value_typeET4_jRbjT5_SX_jjP12ihipStream_tbEUlT_E0_NS1_11comp_targetILNS1_3genE4ELNS1_11target_archE910ELNS1_3gpuE8ELNS1_3repE0EEENS1_60segmented_radix_sort_warp_sort_medium_config_static_selectorELNS0_4arch9wavefront6targetE0EEEvSL_,"axG",@progbits,_ZN7rocprim17ROCPRIM_400000_NS6detail17trampoline_kernelINS0_14default_configENS1_36segmented_radix_sort_config_selectorI12hip_bfloat16lEEZNS1_25segmented_radix_sort_implIS3_Lb0EPKS5_PS5_PKlPlN2at6native12_GLOBAL__N_18offset_tEEE10hipError_tPvRmT1_PNSt15iterator_traitsISL_E10value_typeET2_T3_PNSM_ISR_E10value_typeET4_jRbjT5_SX_jjP12ihipStream_tbEUlT_E0_NS1_11comp_targetILNS1_3genE4ELNS1_11target_archE910ELNS1_3gpuE8ELNS1_3repE0EEENS1_60segmented_radix_sort_warp_sort_medium_config_static_selectorELNS0_4arch9wavefront6targetE0EEEvSL_,comdat
	.globl	_ZN7rocprim17ROCPRIM_400000_NS6detail17trampoline_kernelINS0_14default_configENS1_36segmented_radix_sort_config_selectorI12hip_bfloat16lEEZNS1_25segmented_radix_sort_implIS3_Lb0EPKS5_PS5_PKlPlN2at6native12_GLOBAL__N_18offset_tEEE10hipError_tPvRmT1_PNSt15iterator_traitsISL_E10value_typeET2_T3_PNSM_ISR_E10value_typeET4_jRbjT5_SX_jjP12ihipStream_tbEUlT_E0_NS1_11comp_targetILNS1_3genE4ELNS1_11target_archE910ELNS1_3gpuE8ELNS1_3repE0EEENS1_60segmented_radix_sort_warp_sort_medium_config_static_selectorELNS0_4arch9wavefront6targetE0EEEvSL_ ; -- Begin function _ZN7rocprim17ROCPRIM_400000_NS6detail17trampoline_kernelINS0_14default_configENS1_36segmented_radix_sort_config_selectorI12hip_bfloat16lEEZNS1_25segmented_radix_sort_implIS3_Lb0EPKS5_PS5_PKlPlN2at6native12_GLOBAL__N_18offset_tEEE10hipError_tPvRmT1_PNSt15iterator_traitsISL_E10value_typeET2_T3_PNSM_ISR_E10value_typeET4_jRbjT5_SX_jjP12ihipStream_tbEUlT_E0_NS1_11comp_targetILNS1_3genE4ELNS1_11target_archE910ELNS1_3gpuE8ELNS1_3repE0EEENS1_60segmented_radix_sort_warp_sort_medium_config_static_selectorELNS0_4arch9wavefront6targetE0EEEvSL_
	.p2align	8
	.type	_ZN7rocprim17ROCPRIM_400000_NS6detail17trampoline_kernelINS0_14default_configENS1_36segmented_radix_sort_config_selectorI12hip_bfloat16lEEZNS1_25segmented_radix_sort_implIS3_Lb0EPKS5_PS5_PKlPlN2at6native12_GLOBAL__N_18offset_tEEE10hipError_tPvRmT1_PNSt15iterator_traitsISL_E10value_typeET2_T3_PNSM_ISR_E10value_typeET4_jRbjT5_SX_jjP12ihipStream_tbEUlT_E0_NS1_11comp_targetILNS1_3genE4ELNS1_11target_archE910ELNS1_3gpuE8ELNS1_3repE0EEENS1_60segmented_radix_sort_warp_sort_medium_config_static_selectorELNS0_4arch9wavefront6targetE0EEEvSL_,@function
_ZN7rocprim17ROCPRIM_400000_NS6detail17trampoline_kernelINS0_14default_configENS1_36segmented_radix_sort_config_selectorI12hip_bfloat16lEEZNS1_25segmented_radix_sort_implIS3_Lb0EPKS5_PS5_PKlPlN2at6native12_GLOBAL__N_18offset_tEEE10hipError_tPvRmT1_PNSt15iterator_traitsISL_E10value_typeET2_T3_PNSM_ISR_E10value_typeET4_jRbjT5_SX_jjP12ihipStream_tbEUlT_E0_NS1_11comp_targetILNS1_3genE4ELNS1_11target_archE910ELNS1_3gpuE8ELNS1_3repE0EEENS1_60segmented_radix_sort_warp_sort_medium_config_static_selectorELNS0_4arch9wavefront6targetE0EEEvSL_: ; @_ZN7rocprim17ROCPRIM_400000_NS6detail17trampoline_kernelINS0_14default_configENS1_36segmented_radix_sort_config_selectorI12hip_bfloat16lEEZNS1_25segmented_radix_sort_implIS3_Lb0EPKS5_PS5_PKlPlN2at6native12_GLOBAL__N_18offset_tEEE10hipError_tPvRmT1_PNSt15iterator_traitsISL_E10value_typeET2_T3_PNSM_ISR_E10value_typeET4_jRbjT5_SX_jjP12ihipStream_tbEUlT_E0_NS1_11comp_targetILNS1_3genE4ELNS1_11target_archE910ELNS1_3gpuE8ELNS1_3repE0EEENS1_60segmented_radix_sort_warp_sort_medium_config_static_selectorELNS0_4arch9wavefront6targetE0EEEvSL_
; %bb.0:
	.section	.rodata,"a",@progbits
	.p2align	6, 0x0
	.amdhsa_kernel _ZN7rocprim17ROCPRIM_400000_NS6detail17trampoline_kernelINS0_14default_configENS1_36segmented_radix_sort_config_selectorI12hip_bfloat16lEEZNS1_25segmented_radix_sort_implIS3_Lb0EPKS5_PS5_PKlPlN2at6native12_GLOBAL__N_18offset_tEEE10hipError_tPvRmT1_PNSt15iterator_traitsISL_E10value_typeET2_T3_PNSM_ISR_E10value_typeET4_jRbjT5_SX_jjP12ihipStream_tbEUlT_E0_NS1_11comp_targetILNS1_3genE4ELNS1_11target_archE910ELNS1_3gpuE8ELNS1_3repE0EEENS1_60segmented_radix_sort_warp_sort_medium_config_static_selectorELNS0_4arch9wavefront6targetE0EEEvSL_
		.amdhsa_group_segment_fixed_size 0
		.amdhsa_private_segment_fixed_size 0
		.amdhsa_kernarg_size 88
		.amdhsa_user_sgpr_count 6
		.amdhsa_user_sgpr_private_segment_buffer 1
		.amdhsa_user_sgpr_dispatch_ptr 0
		.amdhsa_user_sgpr_queue_ptr 0
		.amdhsa_user_sgpr_kernarg_segment_ptr 1
		.amdhsa_user_sgpr_dispatch_id 0
		.amdhsa_user_sgpr_flat_scratch_init 0
		.amdhsa_user_sgpr_private_segment_size 0
		.amdhsa_wavefront_size32 1
		.amdhsa_uses_dynamic_stack 0
		.amdhsa_system_sgpr_private_segment_wavefront_offset 0
		.amdhsa_system_sgpr_workgroup_id_x 1
		.amdhsa_system_sgpr_workgroup_id_y 0
		.amdhsa_system_sgpr_workgroup_id_z 0
		.amdhsa_system_sgpr_workgroup_info 0
		.amdhsa_system_vgpr_workitem_id 0
		.amdhsa_next_free_vgpr 1
		.amdhsa_next_free_sgpr 1
		.amdhsa_reserve_vcc 0
		.amdhsa_reserve_flat_scratch 0
		.amdhsa_float_round_mode_32 0
		.amdhsa_float_round_mode_16_64 0
		.amdhsa_float_denorm_mode_32 3
		.amdhsa_float_denorm_mode_16_64 3
		.amdhsa_dx10_clamp 1
		.amdhsa_ieee_mode 1
		.amdhsa_fp16_overflow 0
		.amdhsa_workgroup_processor_mode 1
		.amdhsa_memory_ordered 1
		.amdhsa_forward_progress 1
		.amdhsa_shared_vgpr_count 0
		.amdhsa_exception_fp_ieee_invalid_op 0
		.amdhsa_exception_fp_denorm_src 0
		.amdhsa_exception_fp_ieee_div_zero 0
		.amdhsa_exception_fp_ieee_overflow 0
		.amdhsa_exception_fp_ieee_underflow 0
		.amdhsa_exception_fp_ieee_inexact 0
		.amdhsa_exception_int_div_zero 0
	.end_amdhsa_kernel
	.section	.text._ZN7rocprim17ROCPRIM_400000_NS6detail17trampoline_kernelINS0_14default_configENS1_36segmented_radix_sort_config_selectorI12hip_bfloat16lEEZNS1_25segmented_radix_sort_implIS3_Lb0EPKS5_PS5_PKlPlN2at6native12_GLOBAL__N_18offset_tEEE10hipError_tPvRmT1_PNSt15iterator_traitsISL_E10value_typeET2_T3_PNSM_ISR_E10value_typeET4_jRbjT5_SX_jjP12ihipStream_tbEUlT_E0_NS1_11comp_targetILNS1_3genE4ELNS1_11target_archE910ELNS1_3gpuE8ELNS1_3repE0EEENS1_60segmented_radix_sort_warp_sort_medium_config_static_selectorELNS0_4arch9wavefront6targetE0EEEvSL_,"axG",@progbits,_ZN7rocprim17ROCPRIM_400000_NS6detail17trampoline_kernelINS0_14default_configENS1_36segmented_radix_sort_config_selectorI12hip_bfloat16lEEZNS1_25segmented_radix_sort_implIS3_Lb0EPKS5_PS5_PKlPlN2at6native12_GLOBAL__N_18offset_tEEE10hipError_tPvRmT1_PNSt15iterator_traitsISL_E10value_typeET2_T3_PNSM_ISR_E10value_typeET4_jRbjT5_SX_jjP12ihipStream_tbEUlT_E0_NS1_11comp_targetILNS1_3genE4ELNS1_11target_archE910ELNS1_3gpuE8ELNS1_3repE0EEENS1_60segmented_radix_sort_warp_sort_medium_config_static_selectorELNS0_4arch9wavefront6targetE0EEEvSL_,comdat
.Lfunc_end2051:
	.size	_ZN7rocprim17ROCPRIM_400000_NS6detail17trampoline_kernelINS0_14default_configENS1_36segmented_radix_sort_config_selectorI12hip_bfloat16lEEZNS1_25segmented_radix_sort_implIS3_Lb0EPKS5_PS5_PKlPlN2at6native12_GLOBAL__N_18offset_tEEE10hipError_tPvRmT1_PNSt15iterator_traitsISL_E10value_typeET2_T3_PNSM_ISR_E10value_typeET4_jRbjT5_SX_jjP12ihipStream_tbEUlT_E0_NS1_11comp_targetILNS1_3genE4ELNS1_11target_archE910ELNS1_3gpuE8ELNS1_3repE0EEENS1_60segmented_radix_sort_warp_sort_medium_config_static_selectorELNS0_4arch9wavefront6targetE0EEEvSL_, .Lfunc_end2051-_ZN7rocprim17ROCPRIM_400000_NS6detail17trampoline_kernelINS0_14default_configENS1_36segmented_radix_sort_config_selectorI12hip_bfloat16lEEZNS1_25segmented_radix_sort_implIS3_Lb0EPKS5_PS5_PKlPlN2at6native12_GLOBAL__N_18offset_tEEE10hipError_tPvRmT1_PNSt15iterator_traitsISL_E10value_typeET2_T3_PNSM_ISR_E10value_typeET4_jRbjT5_SX_jjP12ihipStream_tbEUlT_E0_NS1_11comp_targetILNS1_3genE4ELNS1_11target_archE910ELNS1_3gpuE8ELNS1_3repE0EEENS1_60segmented_radix_sort_warp_sort_medium_config_static_selectorELNS0_4arch9wavefront6targetE0EEEvSL_
                                        ; -- End function
	.set _ZN7rocprim17ROCPRIM_400000_NS6detail17trampoline_kernelINS0_14default_configENS1_36segmented_radix_sort_config_selectorI12hip_bfloat16lEEZNS1_25segmented_radix_sort_implIS3_Lb0EPKS5_PS5_PKlPlN2at6native12_GLOBAL__N_18offset_tEEE10hipError_tPvRmT1_PNSt15iterator_traitsISL_E10value_typeET2_T3_PNSM_ISR_E10value_typeET4_jRbjT5_SX_jjP12ihipStream_tbEUlT_E0_NS1_11comp_targetILNS1_3genE4ELNS1_11target_archE910ELNS1_3gpuE8ELNS1_3repE0EEENS1_60segmented_radix_sort_warp_sort_medium_config_static_selectorELNS0_4arch9wavefront6targetE0EEEvSL_.num_vgpr, 0
	.set _ZN7rocprim17ROCPRIM_400000_NS6detail17trampoline_kernelINS0_14default_configENS1_36segmented_radix_sort_config_selectorI12hip_bfloat16lEEZNS1_25segmented_radix_sort_implIS3_Lb0EPKS5_PS5_PKlPlN2at6native12_GLOBAL__N_18offset_tEEE10hipError_tPvRmT1_PNSt15iterator_traitsISL_E10value_typeET2_T3_PNSM_ISR_E10value_typeET4_jRbjT5_SX_jjP12ihipStream_tbEUlT_E0_NS1_11comp_targetILNS1_3genE4ELNS1_11target_archE910ELNS1_3gpuE8ELNS1_3repE0EEENS1_60segmented_radix_sort_warp_sort_medium_config_static_selectorELNS0_4arch9wavefront6targetE0EEEvSL_.num_agpr, 0
	.set _ZN7rocprim17ROCPRIM_400000_NS6detail17trampoline_kernelINS0_14default_configENS1_36segmented_radix_sort_config_selectorI12hip_bfloat16lEEZNS1_25segmented_radix_sort_implIS3_Lb0EPKS5_PS5_PKlPlN2at6native12_GLOBAL__N_18offset_tEEE10hipError_tPvRmT1_PNSt15iterator_traitsISL_E10value_typeET2_T3_PNSM_ISR_E10value_typeET4_jRbjT5_SX_jjP12ihipStream_tbEUlT_E0_NS1_11comp_targetILNS1_3genE4ELNS1_11target_archE910ELNS1_3gpuE8ELNS1_3repE0EEENS1_60segmented_radix_sort_warp_sort_medium_config_static_selectorELNS0_4arch9wavefront6targetE0EEEvSL_.numbered_sgpr, 0
	.set _ZN7rocprim17ROCPRIM_400000_NS6detail17trampoline_kernelINS0_14default_configENS1_36segmented_radix_sort_config_selectorI12hip_bfloat16lEEZNS1_25segmented_radix_sort_implIS3_Lb0EPKS5_PS5_PKlPlN2at6native12_GLOBAL__N_18offset_tEEE10hipError_tPvRmT1_PNSt15iterator_traitsISL_E10value_typeET2_T3_PNSM_ISR_E10value_typeET4_jRbjT5_SX_jjP12ihipStream_tbEUlT_E0_NS1_11comp_targetILNS1_3genE4ELNS1_11target_archE910ELNS1_3gpuE8ELNS1_3repE0EEENS1_60segmented_radix_sort_warp_sort_medium_config_static_selectorELNS0_4arch9wavefront6targetE0EEEvSL_.num_named_barrier, 0
	.set _ZN7rocprim17ROCPRIM_400000_NS6detail17trampoline_kernelINS0_14default_configENS1_36segmented_radix_sort_config_selectorI12hip_bfloat16lEEZNS1_25segmented_radix_sort_implIS3_Lb0EPKS5_PS5_PKlPlN2at6native12_GLOBAL__N_18offset_tEEE10hipError_tPvRmT1_PNSt15iterator_traitsISL_E10value_typeET2_T3_PNSM_ISR_E10value_typeET4_jRbjT5_SX_jjP12ihipStream_tbEUlT_E0_NS1_11comp_targetILNS1_3genE4ELNS1_11target_archE910ELNS1_3gpuE8ELNS1_3repE0EEENS1_60segmented_radix_sort_warp_sort_medium_config_static_selectorELNS0_4arch9wavefront6targetE0EEEvSL_.private_seg_size, 0
	.set _ZN7rocprim17ROCPRIM_400000_NS6detail17trampoline_kernelINS0_14default_configENS1_36segmented_radix_sort_config_selectorI12hip_bfloat16lEEZNS1_25segmented_radix_sort_implIS3_Lb0EPKS5_PS5_PKlPlN2at6native12_GLOBAL__N_18offset_tEEE10hipError_tPvRmT1_PNSt15iterator_traitsISL_E10value_typeET2_T3_PNSM_ISR_E10value_typeET4_jRbjT5_SX_jjP12ihipStream_tbEUlT_E0_NS1_11comp_targetILNS1_3genE4ELNS1_11target_archE910ELNS1_3gpuE8ELNS1_3repE0EEENS1_60segmented_radix_sort_warp_sort_medium_config_static_selectorELNS0_4arch9wavefront6targetE0EEEvSL_.uses_vcc, 0
	.set _ZN7rocprim17ROCPRIM_400000_NS6detail17trampoline_kernelINS0_14default_configENS1_36segmented_radix_sort_config_selectorI12hip_bfloat16lEEZNS1_25segmented_radix_sort_implIS3_Lb0EPKS5_PS5_PKlPlN2at6native12_GLOBAL__N_18offset_tEEE10hipError_tPvRmT1_PNSt15iterator_traitsISL_E10value_typeET2_T3_PNSM_ISR_E10value_typeET4_jRbjT5_SX_jjP12ihipStream_tbEUlT_E0_NS1_11comp_targetILNS1_3genE4ELNS1_11target_archE910ELNS1_3gpuE8ELNS1_3repE0EEENS1_60segmented_radix_sort_warp_sort_medium_config_static_selectorELNS0_4arch9wavefront6targetE0EEEvSL_.uses_flat_scratch, 0
	.set _ZN7rocprim17ROCPRIM_400000_NS6detail17trampoline_kernelINS0_14default_configENS1_36segmented_radix_sort_config_selectorI12hip_bfloat16lEEZNS1_25segmented_radix_sort_implIS3_Lb0EPKS5_PS5_PKlPlN2at6native12_GLOBAL__N_18offset_tEEE10hipError_tPvRmT1_PNSt15iterator_traitsISL_E10value_typeET2_T3_PNSM_ISR_E10value_typeET4_jRbjT5_SX_jjP12ihipStream_tbEUlT_E0_NS1_11comp_targetILNS1_3genE4ELNS1_11target_archE910ELNS1_3gpuE8ELNS1_3repE0EEENS1_60segmented_radix_sort_warp_sort_medium_config_static_selectorELNS0_4arch9wavefront6targetE0EEEvSL_.has_dyn_sized_stack, 0
	.set _ZN7rocprim17ROCPRIM_400000_NS6detail17trampoline_kernelINS0_14default_configENS1_36segmented_radix_sort_config_selectorI12hip_bfloat16lEEZNS1_25segmented_radix_sort_implIS3_Lb0EPKS5_PS5_PKlPlN2at6native12_GLOBAL__N_18offset_tEEE10hipError_tPvRmT1_PNSt15iterator_traitsISL_E10value_typeET2_T3_PNSM_ISR_E10value_typeET4_jRbjT5_SX_jjP12ihipStream_tbEUlT_E0_NS1_11comp_targetILNS1_3genE4ELNS1_11target_archE910ELNS1_3gpuE8ELNS1_3repE0EEENS1_60segmented_radix_sort_warp_sort_medium_config_static_selectorELNS0_4arch9wavefront6targetE0EEEvSL_.has_recursion, 0
	.set _ZN7rocprim17ROCPRIM_400000_NS6detail17trampoline_kernelINS0_14default_configENS1_36segmented_radix_sort_config_selectorI12hip_bfloat16lEEZNS1_25segmented_radix_sort_implIS3_Lb0EPKS5_PS5_PKlPlN2at6native12_GLOBAL__N_18offset_tEEE10hipError_tPvRmT1_PNSt15iterator_traitsISL_E10value_typeET2_T3_PNSM_ISR_E10value_typeET4_jRbjT5_SX_jjP12ihipStream_tbEUlT_E0_NS1_11comp_targetILNS1_3genE4ELNS1_11target_archE910ELNS1_3gpuE8ELNS1_3repE0EEENS1_60segmented_radix_sort_warp_sort_medium_config_static_selectorELNS0_4arch9wavefront6targetE0EEEvSL_.has_indirect_call, 0
	.section	.AMDGPU.csdata,"",@progbits
; Kernel info:
; codeLenInByte = 0
; TotalNumSgprs: 0
; NumVgprs: 0
; ScratchSize: 0
; MemoryBound: 0
; FloatMode: 240
; IeeeMode: 1
; LDSByteSize: 0 bytes/workgroup (compile time only)
; SGPRBlocks: 0
; VGPRBlocks: 0
; NumSGPRsForWavesPerEU: 1
; NumVGPRsForWavesPerEU: 1
; Occupancy: 16
; WaveLimiterHint : 0
; COMPUTE_PGM_RSRC2:SCRATCH_EN: 0
; COMPUTE_PGM_RSRC2:USER_SGPR: 6
; COMPUTE_PGM_RSRC2:TRAP_HANDLER: 0
; COMPUTE_PGM_RSRC2:TGID_X_EN: 1
; COMPUTE_PGM_RSRC2:TGID_Y_EN: 0
; COMPUTE_PGM_RSRC2:TGID_Z_EN: 0
; COMPUTE_PGM_RSRC2:TIDIG_COMP_CNT: 0
	.section	.text._ZN7rocprim17ROCPRIM_400000_NS6detail17trampoline_kernelINS0_14default_configENS1_36segmented_radix_sort_config_selectorI12hip_bfloat16lEEZNS1_25segmented_radix_sort_implIS3_Lb0EPKS5_PS5_PKlPlN2at6native12_GLOBAL__N_18offset_tEEE10hipError_tPvRmT1_PNSt15iterator_traitsISL_E10value_typeET2_T3_PNSM_ISR_E10value_typeET4_jRbjT5_SX_jjP12ihipStream_tbEUlT_E0_NS1_11comp_targetILNS1_3genE3ELNS1_11target_archE908ELNS1_3gpuE7ELNS1_3repE0EEENS1_60segmented_radix_sort_warp_sort_medium_config_static_selectorELNS0_4arch9wavefront6targetE0EEEvSL_,"axG",@progbits,_ZN7rocprim17ROCPRIM_400000_NS6detail17trampoline_kernelINS0_14default_configENS1_36segmented_radix_sort_config_selectorI12hip_bfloat16lEEZNS1_25segmented_radix_sort_implIS3_Lb0EPKS5_PS5_PKlPlN2at6native12_GLOBAL__N_18offset_tEEE10hipError_tPvRmT1_PNSt15iterator_traitsISL_E10value_typeET2_T3_PNSM_ISR_E10value_typeET4_jRbjT5_SX_jjP12ihipStream_tbEUlT_E0_NS1_11comp_targetILNS1_3genE3ELNS1_11target_archE908ELNS1_3gpuE7ELNS1_3repE0EEENS1_60segmented_radix_sort_warp_sort_medium_config_static_selectorELNS0_4arch9wavefront6targetE0EEEvSL_,comdat
	.globl	_ZN7rocprim17ROCPRIM_400000_NS6detail17trampoline_kernelINS0_14default_configENS1_36segmented_radix_sort_config_selectorI12hip_bfloat16lEEZNS1_25segmented_radix_sort_implIS3_Lb0EPKS5_PS5_PKlPlN2at6native12_GLOBAL__N_18offset_tEEE10hipError_tPvRmT1_PNSt15iterator_traitsISL_E10value_typeET2_T3_PNSM_ISR_E10value_typeET4_jRbjT5_SX_jjP12ihipStream_tbEUlT_E0_NS1_11comp_targetILNS1_3genE3ELNS1_11target_archE908ELNS1_3gpuE7ELNS1_3repE0EEENS1_60segmented_radix_sort_warp_sort_medium_config_static_selectorELNS0_4arch9wavefront6targetE0EEEvSL_ ; -- Begin function _ZN7rocprim17ROCPRIM_400000_NS6detail17trampoline_kernelINS0_14default_configENS1_36segmented_radix_sort_config_selectorI12hip_bfloat16lEEZNS1_25segmented_radix_sort_implIS3_Lb0EPKS5_PS5_PKlPlN2at6native12_GLOBAL__N_18offset_tEEE10hipError_tPvRmT1_PNSt15iterator_traitsISL_E10value_typeET2_T3_PNSM_ISR_E10value_typeET4_jRbjT5_SX_jjP12ihipStream_tbEUlT_E0_NS1_11comp_targetILNS1_3genE3ELNS1_11target_archE908ELNS1_3gpuE7ELNS1_3repE0EEENS1_60segmented_radix_sort_warp_sort_medium_config_static_selectorELNS0_4arch9wavefront6targetE0EEEvSL_
	.p2align	8
	.type	_ZN7rocprim17ROCPRIM_400000_NS6detail17trampoline_kernelINS0_14default_configENS1_36segmented_radix_sort_config_selectorI12hip_bfloat16lEEZNS1_25segmented_radix_sort_implIS3_Lb0EPKS5_PS5_PKlPlN2at6native12_GLOBAL__N_18offset_tEEE10hipError_tPvRmT1_PNSt15iterator_traitsISL_E10value_typeET2_T3_PNSM_ISR_E10value_typeET4_jRbjT5_SX_jjP12ihipStream_tbEUlT_E0_NS1_11comp_targetILNS1_3genE3ELNS1_11target_archE908ELNS1_3gpuE7ELNS1_3repE0EEENS1_60segmented_radix_sort_warp_sort_medium_config_static_selectorELNS0_4arch9wavefront6targetE0EEEvSL_,@function
_ZN7rocprim17ROCPRIM_400000_NS6detail17trampoline_kernelINS0_14default_configENS1_36segmented_radix_sort_config_selectorI12hip_bfloat16lEEZNS1_25segmented_radix_sort_implIS3_Lb0EPKS5_PS5_PKlPlN2at6native12_GLOBAL__N_18offset_tEEE10hipError_tPvRmT1_PNSt15iterator_traitsISL_E10value_typeET2_T3_PNSM_ISR_E10value_typeET4_jRbjT5_SX_jjP12ihipStream_tbEUlT_E0_NS1_11comp_targetILNS1_3genE3ELNS1_11target_archE908ELNS1_3gpuE7ELNS1_3repE0EEENS1_60segmented_radix_sort_warp_sort_medium_config_static_selectorELNS0_4arch9wavefront6targetE0EEEvSL_: ; @_ZN7rocprim17ROCPRIM_400000_NS6detail17trampoline_kernelINS0_14default_configENS1_36segmented_radix_sort_config_selectorI12hip_bfloat16lEEZNS1_25segmented_radix_sort_implIS3_Lb0EPKS5_PS5_PKlPlN2at6native12_GLOBAL__N_18offset_tEEE10hipError_tPvRmT1_PNSt15iterator_traitsISL_E10value_typeET2_T3_PNSM_ISR_E10value_typeET4_jRbjT5_SX_jjP12ihipStream_tbEUlT_E0_NS1_11comp_targetILNS1_3genE3ELNS1_11target_archE908ELNS1_3gpuE7ELNS1_3repE0EEENS1_60segmented_radix_sort_warp_sort_medium_config_static_selectorELNS0_4arch9wavefront6targetE0EEEvSL_
; %bb.0:
	.section	.rodata,"a",@progbits
	.p2align	6, 0x0
	.amdhsa_kernel _ZN7rocprim17ROCPRIM_400000_NS6detail17trampoline_kernelINS0_14default_configENS1_36segmented_radix_sort_config_selectorI12hip_bfloat16lEEZNS1_25segmented_radix_sort_implIS3_Lb0EPKS5_PS5_PKlPlN2at6native12_GLOBAL__N_18offset_tEEE10hipError_tPvRmT1_PNSt15iterator_traitsISL_E10value_typeET2_T3_PNSM_ISR_E10value_typeET4_jRbjT5_SX_jjP12ihipStream_tbEUlT_E0_NS1_11comp_targetILNS1_3genE3ELNS1_11target_archE908ELNS1_3gpuE7ELNS1_3repE0EEENS1_60segmented_radix_sort_warp_sort_medium_config_static_selectorELNS0_4arch9wavefront6targetE0EEEvSL_
		.amdhsa_group_segment_fixed_size 0
		.amdhsa_private_segment_fixed_size 0
		.amdhsa_kernarg_size 88
		.amdhsa_user_sgpr_count 6
		.amdhsa_user_sgpr_private_segment_buffer 1
		.amdhsa_user_sgpr_dispatch_ptr 0
		.amdhsa_user_sgpr_queue_ptr 0
		.amdhsa_user_sgpr_kernarg_segment_ptr 1
		.amdhsa_user_sgpr_dispatch_id 0
		.amdhsa_user_sgpr_flat_scratch_init 0
		.amdhsa_user_sgpr_private_segment_size 0
		.amdhsa_wavefront_size32 1
		.amdhsa_uses_dynamic_stack 0
		.amdhsa_system_sgpr_private_segment_wavefront_offset 0
		.amdhsa_system_sgpr_workgroup_id_x 1
		.amdhsa_system_sgpr_workgroup_id_y 0
		.amdhsa_system_sgpr_workgroup_id_z 0
		.amdhsa_system_sgpr_workgroup_info 0
		.amdhsa_system_vgpr_workitem_id 0
		.amdhsa_next_free_vgpr 1
		.amdhsa_next_free_sgpr 1
		.amdhsa_reserve_vcc 0
		.amdhsa_reserve_flat_scratch 0
		.amdhsa_float_round_mode_32 0
		.amdhsa_float_round_mode_16_64 0
		.amdhsa_float_denorm_mode_32 3
		.amdhsa_float_denorm_mode_16_64 3
		.amdhsa_dx10_clamp 1
		.amdhsa_ieee_mode 1
		.amdhsa_fp16_overflow 0
		.amdhsa_workgroup_processor_mode 1
		.amdhsa_memory_ordered 1
		.amdhsa_forward_progress 1
		.amdhsa_shared_vgpr_count 0
		.amdhsa_exception_fp_ieee_invalid_op 0
		.amdhsa_exception_fp_denorm_src 0
		.amdhsa_exception_fp_ieee_div_zero 0
		.amdhsa_exception_fp_ieee_overflow 0
		.amdhsa_exception_fp_ieee_underflow 0
		.amdhsa_exception_fp_ieee_inexact 0
		.amdhsa_exception_int_div_zero 0
	.end_amdhsa_kernel
	.section	.text._ZN7rocprim17ROCPRIM_400000_NS6detail17trampoline_kernelINS0_14default_configENS1_36segmented_radix_sort_config_selectorI12hip_bfloat16lEEZNS1_25segmented_radix_sort_implIS3_Lb0EPKS5_PS5_PKlPlN2at6native12_GLOBAL__N_18offset_tEEE10hipError_tPvRmT1_PNSt15iterator_traitsISL_E10value_typeET2_T3_PNSM_ISR_E10value_typeET4_jRbjT5_SX_jjP12ihipStream_tbEUlT_E0_NS1_11comp_targetILNS1_3genE3ELNS1_11target_archE908ELNS1_3gpuE7ELNS1_3repE0EEENS1_60segmented_radix_sort_warp_sort_medium_config_static_selectorELNS0_4arch9wavefront6targetE0EEEvSL_,"axG",@progbits,_ZN7rocprim17ROCPRIM_400000_NS6detail17trampoline_kernelINS0_14default_configENS1_36segmented_radix_sort_config_selectorI12hip_bfloat16lEEZNS1_25segmented_radix_sort_implIS3_Lb0EPKS5_PS5_PKlPlN2at6native12_GLOBAL__N_18offset_tEEE10hipError_tPvRmT1_PNSt15iterator_traitsISL_E10value_typeET2_T3_PNSM_ISR_E10value_typeET4_jRbjT5_SX_jjP12ihipStream_tbEUlT_E0_NS1_11comp_targetILNS1_3genE3ELNS1_11target_archE908ELNS1_3gpuE7ELNS1_3repE0EEENS1_60segmented_radix_sort_warp_sort_medium_config_static_selectorELNS0_4arch9wavefront6targetE0EEEvSL_,comdat
.Lfunc_end2052:
	.size	_ZN7rocprim17ROCPRIM_400000_NS6detail17trampoline_kernelINS0_14default_configENS1_36segmented_radix_sort_config_selectorI12hip_bfloat16lEEZNS1_25segmented_radix_sort_implIS3_Lb0EPKS5_PS5_PKlPlN2at6native12_GLOBAL__N_18offset_tEEE10hipError_tPvRmT1_PNSt15iterator_traitsISL_E10value_typeET2_T3_PNSM_ISR_E10value_typeET4_jRbjT5_SX_jjP12ihipStream_tbEUlT_E0_NS1_11comp_targetILNS1_3genE3ELNS1_11target_archE908ELNS1_3gpuE7ELNS1_3repE0EEENS1_60segmented_radix_sort_warp_sort_medium_config_static_selectorELNS0_4arch9wavefront6targetE0EEEvSL_, .Lfunc_end2052-_ZN7rocprim17ROCPRIM_400000_NS6detail17trampoline_kernelINS0_14default_configENS1_36segmented_radix_sort_config_selectorI12hip_bfloat16lEEZNS1_25segmented_radix_sort_implIS3_Lb0EPKS5_PS5_PKlPlN2at6native12_GLOBAL__N_18offset_tEEE10hipError_tPvRmT1_PNSt15iterator_traitsISL_E10value_typeET2_T3_PNSM_ISR_E10value_typeET4_jRbjT5_SX_jjP12ihipStream_tbEUlT_E0_NS1_11comp_targetILNS1_3genE3ELNS1_11target_archE908ELNS1_3gpuE7ELNS1_3repE0EEENS1_60segmented_radix_sort_warp_sort_medium_config_static_selectorELNS0_4arch9wavefront6targetE0EEEvSL_
                                        ; -- End function
	.set _ZN7rocprim17ROCPRIM_400000_NS6detail17trampoline_kernelINS0_14default_configENS1_36segmented_radix_sort_config_selectorI12hip_bfloat16lEEZNS1_25segmented_radix_sort_implIS3_Lb0EPKS5_PS5_PKlPlN2at6native12_GLOBAL__N_18offset_tEEE10hipError_tPvRmT1_PNSt15iterator_traitsISL_E10value_typeET2_T3_PNSM_ISR_E10value_typeET4_jRbjT5_SX_jjP12ihipStream_tbEUlT_E0_NS1_11comp_targetILNS1_3genE3ELNS1_11target_archE908ELNS1_3gpuE7ELNS1_3repE0EEENS1_60segmented_radix_sort_warp_sort_medium_config_static_selectorELNS0_4arch9wavefront6targetE0EEEvSL_.num_vgpr, 0
	.set _ZN7rocprim17ROCPRIM_400000_NS6detail17trampoline_kernelINS0_14default_configENS1_36segmented_radix_sort_config_selectorI12hip_bfloat16lEEZNS1_25segmented_radix_sort_implIS3_Lb0EPKS5_PS5_PKlPlN2at6native12_GLOBAL__N_18offset_tEEE10hipError_tPvRmT1_PNSt15iterator_traitsISL_E10value_typeET2_T3_PNSM_ISR_E10value_typeET4_jRbjT5_SX_jjP12ihipStream_tbEUlT_E0_NS1_11comp_targetILNS1_3genE3ELNS1_11target_archE908ELNS1_3gpuE7ELNS1_3repE0EEENS1_60segmented_radix_sort_warp_sort_medium_config_static_selectorELNS0_4arch9wavefront6targetE0EEEvSL_.num_agpr, 0
	.set _ZN7rocprim17ROCPRIM_400000_NS6detail17trampoline_kernelINS0_14default_configENS1_36segmented_radix_sort_config_selectorI12hip_bfloat16lEEZNS1_25segmented_radix_sort_implIS3_Lb0EPKS5_PS5_PKlPlN2at6native12_GLOBAL__N_18offset_tEEE10hipError_tPvRmT1_PNSt15iterator_traitsISL_E10value_typeET2_T3_PNSM_ISR_E10value_typeET4_jRbjT5_SX_jjP12ihipStream_tbEUlT_E0_NS1_11comp_targetILNS1_3genE3ELNS1_11target_archE908ELNS1_3gpuE7ELNS1_3repE0EEENS1_60segmented_radix_sort_warp_sort_medium_config_static_selectorELNS0_4arch9wavefront6targetE0EEEvSL_.numbered_sgpr, 0
	.set _ZN7rocprim17ROCPRIM_400000_NS6detail17trampoline_kernelINS0_14default_configENS1_36segmented_radix_sort_config_selectorI12hip_bfloat16lEEZNS1_25segmented_radix_sort_implIS3_Lb0EPKS5_PS5_PKlPlN2at6native12_GLOBAL__N_18offset_tEEE10hipError_tPvRmT1_PNSt15iterator_traitsISL_E10value_typeET2_T3_PNSM_ISR_E10value_typeET4_jRbjT5_SX_jjP12ihipStream_tbEUlT_E0_NS1_11comp_targetILNS1_3genE3ELNS1_11target_archE908ELNS1_3gpuE7ELNS1_3repE0EEENS1_60segmented_radix_sort_warp_sort_medium_config_static_selectorELNS0_4arch9wavefront6targetE0EEEvSL_.num_named_barrier, 0
	.set _ZN7rocprim17ROCPRIM_400000_NS6detail17trampoline_kernelINS0_14default_configENS1_36segmented_radix_sort_config_selectorI12hip_bfloat16lEEZNS1_25segmented_radix_sort_implIS3_Lb0EPKS5_PS5_PKlPlN2at6native12_GLOBAL__N_18offset_tEEE10hipError_tPvRmT1_PNSt15iterator_traitsISL_E10value_typeET2_T3_PNSM_ISR_E10value_typeET4_jRbjT5_SX_jjP12ihipStream_tbEUlT_E0_NS1_11comp_targetILNS1_3genE3ELNS1_11target_archE908ELNS1_3gpuE7ELNS1_3repE0EEENS1_60segmented_radix_sort_warp_sort_medium_config_static_selectorELNS0_4arch9wavefront6targetE0EEEvSL_.private_seg_size, 0
	.set _ZN7rocprim17ROCPRIM_400000_NS6detail17trampoline_kernelINS0_14default_configENS1_36segmented_radix_sort_config_selectorI12hip_bfloat16lEEZNS1_25segmented_radix_sort_implIS3_Lb0EPKS5_PS5_PKlPlN2at6native12_GLOBAL__N_18offset_tEEE10hipError_tPvRmT1_PNSt15iterator_traitsISL_E10value_typeET2_T3_PNSM_ISR_E10value_typeET4_jRbjT5_SX_jjP12ihipStream_tbEUlT_E0_NS1_11comp_targetILNS1_3genE3ELNS1_11target_archE908ELNS1_3gpuE7ELNS1_3repE0EEENS1_60segmented_radix_sort_warp_sort_medium_config_static_selectorELNS0_4arch9wavefront6targetE0EEEvSL_.uses_vcc, 0
	.set _ZN7rocprim17ROCPRIM_400000_NS6detail17trampoline_kernelINS0_14default_configENS1_36segmented_radix_sort_config_selectorI12hip_bfloat16lEEZNS1_25segmented_radix_sort_implIS3_Lb0EPKS5_PS5_PKlPlN2at6native12_GLOBAL__N_18offset_tEEE10hipError_tPvRmT1_PNSt15iterator_traitsISL_E10value_typeET2_T3_PNSM_ISR_E10value_typeET4_jRbjT5_SX_jjP12ihipStream_tbEUlT_E0_NS1_11comp_targetILNS1_3genE3ELNS1_11target_archE908ELNS1_3gpuE7ELNS1_3repE0EEENS1_60segmented_radix_sort_warp_sort_medium_config_static_selectorELNS0_4arch9wavefront6targetE0EEEvSL_.uses_flat_scratch, 0
	.set _ZN7rocprim17ROCPRIM_400000_NS6detail17trampoline_kernelINS0_14default_configENS1_36segmented_radix_sort_config_selectorI12hip_bfloat16lEEZNS1_25segmented_radix_sort_implIS3_Lb0EPKS5_PS5_PKlPlN2at6native12_GLOBAL__N_18offset_tEEE10hipError_tPvRmT1_PNSt15iterator_traitsISL_E10value_typeET2_T3_PNSM_ISR_E10value_typeET4_jRbjT5_SX_jjP12ihipStream_tbEUlT_E0_NS1_11comp_targetILNS1_3genE3ELNS1_11target_archE908ELNS1_3gpuE7ELNS1_3repE0EEENS1_60segmented_radix_sort_warp_sort_medium_config_static_selectorELNS0_4arch9wavefront6targetE0EEEvSL_.has_dyn_sized_stack, 0
	.set _ZN7rocprim17ROCPRIM_400000_NS6detail17trampoline_kernelINS0_14default_configENS1_36segmented_radix_sort_config_selectorI12hip_bfloat16lEEZNS1_25segmented_radix_sort_implIS3_Lb0EPKS5_PS5_PKlPlN2at6native12_GLOBAL__N_18offset_tEEE10hipError_tPvRmT1_PNSt15iterator_traitsISL_E10value_typeET2_T3_PNSM_ISR_E10value_typeET4_jRbjT5_SX_jjP12ihipStream_tbEUlT_E0_NS1_11comp_targetILNS1_3genE3ELNS1_11target_archE908ELNS1_3gpuE7ELNS1_3repE0EEENS1_60segmented_radix_sort_warp_sort_medium_config_static_selectorELNS0_4arch9wavefront6targetE0EEEvSL_.has_recursion, 0
	.set _ZN7rocprim17ROCPRIM_400000_NS6detail17trampoline_kernelINS0_14default_configENS1_36segmented_radix_sort_config_selectorI12hip_bfloat16lEEZNS1_25segmented_radix_sort_implIS3_Lb0EPKS5_PS5_PKlPlN2at6native12_GLOBAL__N_18offset_tEEE10hipError_tPvRmT1_PNSt15iterator_traitsISL_E10value_typeET2_T3_PNSM_ISR_E10value_typeET4_jRbjT5_SX_jjP12ihipStream_tbEUlT_E0_NS1_11comp_targetILNS1_3genE3ELNS1_11target_archE908ELNS1_3gpuE7ELNS1_3repE0EEENS1_60segmented_radix_sort_warp_sort_medium_config_static_selectorELNS0_4arch9wavefront6targetE0EEEvSL_.has_indirect_call, 0
	.section	.AMDGPU.csdata,"",@progbits
; Kernel info:
; codeLenInByte = 0
; TotalNumSgprs: 0
; NumVgprs: 0
; ScratchSize: 0
; MemoryBound: 0
; FloatMode: 240
; IeeeMode: 1
; LDSByteSize: 0 bytes/workgroup (compile time only)
; SGPRBlocks: 0
; VGPRBlocks: 0
; NumSGPRsForWavesPerEU: 1
; NumVGPRsForWavesPerEU: 1
; Occupancy: 16
; WaveLimiterHint : 0
; COMPUTE_PGM_RSRC2:SCRATCH_EN: 0
; COMPUTE_PGM_RSRC2:USER_SGPR: 6
; COMPUTE_PGM_RSRC2:TRAP_HANDLER: 0
; COMPUTE_PGM_RSRC2:TGID_X_EN: 1
; COMPUTE_PGM_RSRC2:TGID_Y_EN: 0
; COMPUTE_PGM_RSRC2:TGID_Z_EN: 0
; COMPUTE_PGM_RSRC2:TIDIG_COMP_CNT: 0
	.section	.text._ZN7rocprim17ROCPRIM_400000_NS6detail17trampoline_kernelINS0_14default_configENS1_36segmented_radix_sort_config_selectorI12hip_bfloat16lEEZNS1_25segmented_radix_sort_implIS3_Lb0EPKS5_PS5_PKlPlN2at6native12_GLOBAL__N_18offset_tEEE10hipError_tPvRmT1_PNSt15iterator_traitsISL_E10value_typeET2_T3_PNSM_ISR_E10value_typeET4_jRbjT5_SX_jjP12ihipStream_tbEUlT_E0_NS1_11comp_targetILNS1_3genE2ELNS1_11target_archE906ELNS1_3gpuE6ELNS1_3repE0EEENS1_60segmented_radix_sort_warp_sort_medium_config_static_selectorELNS0_4arch9wavefront6targetE0EEEvSL_,"axG",@progbits,_ZN7rocprim17ROCPRIM_400000_NS6detail17trampoline_kernelINS0_14default_configENS1_36segmented_radix_sort_config_selectorI12hip_bfloat16lEEZNS1_25segmented_radix_sort_implIS3_Lb0EPKS5_PS5_PKlPlN2at6native12_GLOBAL__N_18offset_tEEE10hipError_tPvRmT1_PNSt15iterator_traitsISL_E10value_typeET2_T3_PNSM_ISR_E10value_typeET4_jRbjT5_SX_jjP12ihipStream_tbEUlT_E0_NS1_11comp_targetILNS1_3genE2ELNS1_11target_archE906ELNS1_3gpuE6ELNS1_3repE0EEENS1_60segmented_radix_sort_warp_sort_medium_config_static_selectorELNS0_4arch9wavefront6targetE0EEEvSL_,comdat
	.globl	_ZN7rocprim17ROCPRIM_400000_NS6detail17trampoline_kernelINS0_14default_configENS1_36segmented_radix_sort_config_selectorI12hip_bfloat16lEEZNS1_25segmented_radix_sort_implIS3_Lb0EPKS5_PS5_PKlPlN2at6native12_GLOBAL__N_18offset_tEEE10hipError_tPvRmT1_PNSt15iterator_traitsISL_E10value_typeET2_T3_PNSM_ISR_E10value_typeET4_jRbjT5_SX_jjP12ihipStream_tbEUlT_E0_NS1_11comp_targetILNS1_3genE2ELNS1_11target_archE906ELNS1_3gpuE6ELNS1_3repE0EEENS1_60segmented_radix_sort_warp_sort_medium_config_static_selectorELNS0_4arch9wavefront6targetE0EEEvSL_ ; -- Begin function _ZN7rocprim17ROCPRIM_400000_NS6detail17trampoline_kernelINS0_14default_configENS1_36segmented_radix_sort_config_selectorI12hip_bfloat16lEEZNS1_25segmented_radix_sort_implIS3_Lb0EPKS5_PS5_PKlPlN2at6native12_GLOBAL__N_18offset_tEEE10hipError_tPvRmT1_PNSt15iterator_traitsISL_E10value_typeET2_T3_PNSM_ISR_E10value_typeET4_jRbjT5_SX_jjP12ihipStream_tbEUlT_E0_NS1_11comp_targetILNS1_3genE2ELNS1_11target_archE906ELNS1_3gpuE6ELNS1_3repE0EEENS1_60segmented_radix_sort_warp_sort_medium_config_static_selectorELNS0_4arch9wavefront6targetE0EEEvSL_
	.p2align	8
	.type	_ZN7rocprim17ROCPRIM_400000_NS6detail17trampoline_kernelINS0_14default_configENS1_36segmented_radix_sort_config_selectorI12hip_bfloat16lEEZNS1_25segmented_radix_sort_implIS3_Lb0EPKS5_PS5_PKlPlN2at6native12_GLOBAL__N_18offset_tEEE10hipError_tPvRmT1_PNSt15iterator_traitsISL_E10value_typeET2_T3_PNSM_ISR_E10value_typeET4_jRbjT5_SX_jjP12ihipStream_tbEUlT_E0_NS1_11comp_targetILNS1_3genE2ELNS1_11target_archE906ELNS1_3gpuE6ELNS1_3repE0EEENS1_60segmented_radix_sort_warp_sort_medium_config_static_selectorELNS0_4arch9wavefront6targetE0EEEvSL_,@function
_ZN7rocprim17ROCPRIM_400000_NS6detail17trampoline_kernelINS0_14default_configENS1_36segmented_radix_sort_config_selectorI12hip_bfloat16lEEZNS1_25segmented_radix_sort_implIS3_Lb0EPKS5_PS5_PKlPlN2at6native12_GLOBAL__N_18offset_tEEE10hipError_tPvRmT1_PNSt15iterator_traitsISL_E10value_typeET2_T3_PNSM_ISR_E10value_typeET4_jRbjT5_SX_jjP12ihipStream_tbEUlT_E0_NS1_11comp_targetILNS1_3genE2ELNS1_11target_archE906ELNS1_3gpuE6ELNS1_3repE0EEENS1_60segmented_radix_sort_warp_sort_medium_config_static_selectorELNS0_4arch9wavefront6targetE0EEEvSL_: ; @_ZN7rocprim17ROCPRIM_400000_NS6detail17trampoline_kernelINS0_14default_configENS1_36segmented_radix_sort_config_selectorI12hip_bfloat16lEEZNS1_25segmented_radix_sort_implIS3_Lb0EPKS5_PS5_PKlPlN2at6native12_GLOBAL__N_18offset_tEEE10hipError_tPvRmT1_PNSt15iterator_traitsISL_E10value_typeET2_T3_PNSM_ISR_E10value_typeET4_jRbjT5_SX_jjP12ihipStream_tbEUlT_E0_NS1_11comp_targetILNS1_3genE2ELNS1_11target_archE906ELNS1_3gpuE6ELNS1_3repE0EEENS1_60segmented_radix_sort_warp_sort_medium_config_static_selectorELNS0_4arch9wavefront6targetE0EEEvSL_
; %bb.0:
	.section	.rodata,"a",@progbits
	.p2align	6, 0x0
	.amdhsa_kernel _ZN7rocprim17ROCPRIM_400000_NS6detail17trampoline_kernelINS0_14default_configENS1_36segmented_radix_sort_config_selectorI12hip_bfloat16lEEZNS1_25segmented_radix_sort_implIS3_Lb0EPKS5_PS5_PKlPlN2at6native12_GLOBAL__N_18offset_tEEE10hipError_tPvRmT1_PNSt15iterator_traitsISL_E10value_typeET2_T3_PNSM_ISR_E10value_typeET4_jRbjT5_SX_jjP12ihipStream_tbEUlT_E0_NS1_11comp_targetILNS1_3genE2ELNS1_11target_archE906ELNS1_3gpuE6ELNS1_3repE0EEENS1_60segmented_radix_sort_warp_sort_medium_config_static_selectorELNS0_4arch9wavefront6targetE0EEEvSL_
		.amdhsa_group_segment_fixed_size 0
		.amdhsa_private_segment_fixed_size 0
		.amdhsa_kernarg_size 88
		.amdhsa_user_sgpr_count 6
		.amdhsa_user_sgpr_private_segment_buffer 1
		.amdhsa_user_sgpr_dispatch_ptr 0
		.amdhsa_user_sgpr_queue_ptr 0
		.amdhsa_user_sgpr_kernarg_segment_ptr 1
		.amdhsa_user_sgpr_dispatch_id 0
		.amdhsa_user_sgpr_flat_scratch_init 0
		.amdhsa_user_sgpr_private_segment_size 0
		.amdhsa_wavefront_size32 1
		.amdhsa_uses_dynamic_stack 0
		.amdhsa_system_sgpr_private_segment_wavefront_offset 0
		.amdhsa_system_sgpr_workgroup_id_x 1
		.amdhsa_system_sgpr_workgroup_id_y 0
		.amdhsa_system_sgpr_workgroup_id_z 0
		.amdhsa_system_sgpr_workgroup_info 0
		.amdhsa_system_vgpr_workitem_id 0
		.amdhsa_next_free_vgpr 1
		.amdhsa_next_free_sgpr 1
		.amdhsa_reserve_vcc 0
		.amdhsa_reserve_flat_scratch 0
		.amdhsa_float_round_mode_32 0
		.amdhsa_float_round_mode_16_64 0
		.amdhsa_float_denorm_mode_32 3
		.amdhsa_float_denorm_mode_16_64 3
		.amdhsa_dx10_clamp 1
		.amdhsa_ieee_mode 1
		.amdhsa_fp16_overflow 0
		.amdhsa_workgroup_processor_mode 1
		.amdhsa_memory_ordered 1
		.amdhsa_forward_progress 1
		.amdhsa_shared_vgpr_count 0
		.amdhsa_exception_fp_ieee_invalid_op 0
		.amdhsa_exception_fp_denorm_src 0
		.amdhsa_exception_fp_ieee_div_zero 0
		.amdhsa_exception_fp_ieee_overflow 0
		.amdhsa_exception_fp_ieee_underflow 0
		.amdhsa_exception_fp_ieee_inexact 0
		.amdhsa_exception_int_div_zero 0
	.end_amdhsa_kernel
	.section	.text._ZN7rocprim17ROCPRIM_400000_NS6detail17trampoline_kernelINS0_14default_configENS1_36segmented_radix_sort_config_selectorI12hip_bfloat16lEEZNS1_25segmented_radix_sort_implIS3_Lb0EPKS5_PS5_PKlPlN2at6native12_GLOBAL__N_18offset_tEEE10hipError_tPvRmT1_PNSt15iterator_traitsISL_E10value_typeET2_T3_PNSM_ISR_E10value_typeET4_jRbjT5_SX_jjP12ihipStream_tbEUlT_E0_NS1_11comp_targetILNS1_3genE2ELNS1_11target_archE906ELNS1_3gpuE6ELNS1_3repE0EEENS1_60segmented_radix_sort_warp_sort_medium_config_static_selectorELNS0_4arch9wavefront6targetE0EEEvSL_,"axG",@progbits,_ZN7rocprim17ROCPRIM_400000_NS6detail17trampoline_kernelINS0_14default_configENS1_36segmented_radix_sort_config_selectorI12hip_bfloat16lEEZNS1_25segmented_radix_sort_implIS3_Lb0EPKS5_PS5_PKlPlN2at6native12_GLOBAL__N_18offset_tEEE10hipError_tPvRmT1_PNSt15iterator_traitsISL_E10value_typeET2_T3_PNSM_ISR_E10value_typeET4_jRbjT5_SX_jjP12ihipStream_tbEUlT_E0_NS1_11comp_targetILNS1_3genE2ELNS1_11target_archE906ELNS1_3gpuE6ELNS1_3repE0EEENS1_60segmented_radix_sort_warp_sort_medium_config_static_selectorELNS0_4arch9wavefront6targetE0EEEvSL_,comdat
.Lfunc_end2053:
	.size	_ZN7rocprim17ROCPRIM_400000_NS6detail17trampoline_kernelINS0_14default_configENS1_36segmented_radix_sort_config_selectorI12hip_bfloat16lEEZNS1_25segmented_radix_sort_implIS3_Lb0EPKS5_PS5_PKlPlN2at6native12_GLOBAL__N_18offset_tEEE10hipError_tPvRmT1_PNSt15iterator_traitsISL_E10value_typeET2_T3_PNSM_ISR_E10value_typeET4_jRbjT5_SX_jjP12ihipStream_tbEUlT_E0_NS1_11comp_targetILNS1_3genE2ELNS1_11target_archE906ELNS1_3gpuE6ELNS1_3repE0EEENS1_60segmented_radix_sort_warp_sort_medium_config_static_selectorELNS0_4arch9wavefront6targetE0EEEvSL_, .Lfunc_end2053-_ZN7rocprim17ROCPRIM_400000_NS6detail17trampoline_kernelINS0_14default_configENS1_36segmented_radix_sort_config_selectorI12hip_bfloat16lEEZNS1_25segmented_radix_sort_implIS3_Lb0EPKS5_PS5_PKlPlN2at6native12_GLOBAL__N_18offset_tEEE10hipError_tPvRmT1_PNSt15iterator_traitsISL_E10value_typeET2_T3_PNSM_ISR_E10value_typeET4_jRbjT5_SX_jjP12ihipStream_tbEUlT_E0_NS1_11comp_targetILNS1_3genE2ELNS1_11target_archE906ELNS1_3gpuE6ELNS1_3repE0EEENS1_60segmented_radix_sort_warp_sort_medium_config_static_selectorELNS0_4arch9wavefront6targetE0EEEvSL_
                                        ; -- End function
	.set _ZN7rocprim17ROCPRIM_400000_NS6detail17trampoline_kernelINS0_14default_configENS1_36segmented_radix_sort_config_selectorI12hip_bfloat16lEEZNS1_25segmented_radix_sort_implIS3_Lb0EPKS5_PS5_PKlPlN2at6native12_GLOBAL__N_18offset_tEEE10hipError_tPvRmT1_PNSt15iterator_traitsISL_E10value_typeET2_T3_PNSM_ISR_E10value_typeET4_jRbjT5_SX_jjP12ihipStream_tbEUlT_E0_NS1_11comp_targetILNS1_3genE2ELNS1_11target_archE906ELNS1_3gpuE6ELNS1_3repE0EEENS1_60segmented_radix_sort_warp_sort_medium_config_static_selectorELNS0_4arch9wavefront6targetE0EEEvSL_.num_vgpr, 0
	.set _ZN7rocprim17ROCPRIM_400000_NS6detail17trampoline_kernelINS0_14default_configENS1_36segmented_radix_sort_config_selectorI12hip_bfloat16lEEZNS1_25segmented_radix_sort_implIS3_Lb0EPKS5_PS5_PKlPlN2at6native12_GLOBAL__N_18offset_tEEE10hipError_tPvRmT1_PNSt15iterator_traitsISL_E10value_typeET2_T3_PNSM_ISR_E10value_typeET4_jRbjT5_SX_jjP12ihipStream_tbEUlT_E0_NS1_11comp_targetILNS1_3genE2ELNS1_11target_archE906ELNS1_3gpuE6ELNS1_3repE0EEENS1_60segmented_radix_sort_warp_sort_medium_config_static_selectorELNS0_4arch9wavefront6targetE0EEEvSL_.num_agpr, 0
	.set _ZN7rocprim17ROCPRIM_400000_NS6detail17trampoline_kernelINS0_14default_configENS1_36segmented_radix_sort_config_selectorI12hip_bfloat16lEEZNS1_25segmented_radix_sort_implIS3_Lb0EPKS5_PS5_PKlPlN2at6native12_GLOBAL__N_18offset_tEEE10hipError_tPvRmT1_PNSt15iterator_traitsISL_E10value_typeET2_T3_PNSM_ISR_E10value_typeET4_jRbjT5_SX_jjP12ihipStream_tbEUlT_E0_NS1_11comp_targetILNS1_3genE2ELNS1_11target_archE906ELNS1_3gpuE6ELNS1_3repE0EEENS1_60segmented_radix_sort_warp_sort_medium_config_static_selectorELNS0_4arch9wavefront6targetE0EEEvSL_.numbered_sgpr, 0
	.set _ZN7rocprim17ROCPRIM_400000_NS6detail17trampoline_kernelINS0_14default_configENS1_36segmented_radix_sort_config_selectorI12hip_bfloat16lEEZNS1_25segmented_radix_sort_implIS3_Lb0EPKS5_PS5_PKlPlN2at6native12_GLOBAL__N_18offset_tEEE10hipError_tPvRmT1_PNSt15iterator_traitsISL_E10value_typeET2_T3_PNSM_ISR_E10value_typeET4_jRbjT5_SX_jjP12ihipStream_tbEUlT_E0_NS1_11comp_targetILNS1_3genE2ELNS1_11target_archE906ELNS1_3gpuE6ELNS1_3repE0EEENS1_60segmented_radix_sort_warp_sort_medium_config_static_selectorELNS0_4arch9wavefront6targetE0EEEvSL_.num_named_barrier, 0
	.set _ZN7rocprim17ROCPRIM_400000_NS6detail17trampoline_kernelINS0_14default_configENS1_36segmented_radix_sort_config_selectorI12hip_bfloat16lEEZNS1_25segmented_radix_sort_implIS3_Lb0EPKS5_PS5_PKlPlN2at6native12_GLOBAL__N_18offset_tEEE10hipError_tPvRmT1_PNSt15iterator_traitsISL_E10value_typeET2_T3_PNSM_ISR_E10value_typeET4_jRbjT5_SX_jjP12ihipStream_tbEUlT_E0_NS1_11comp_targetILNS1_3genE2ELNS1_11target_archE906ELNS1_3gpuE6ELNS1_3repE0EEENS1_60segmented_radix_sort_warp_sort_medium_config_static_selectorELNS0_4arch9wavefront6targetE0EEEvSL_.private_seg_size, 0
	.set _ZN7rocprim17ROCPRIM_400000_NS6detail17trampoline_kernelINS0_14default_configENS1_36segmented_radix_sort_config_selectorI12hip_bfloat16lEEZNS1_25segmented_radix_sort_implIS3_Lb0EPKS5_PS5_PKlPlN2at6native12_GLOBAL__N_18offset_tEEE10hipError_tPvRmT1_PNSt15iterator_traitsISL_E10value_typeET2_T3_PNSM_ISR_E10value_typeET4_jRbjT5_SX_jjP12ihipStream_tbEUlT_E0_NS1_11comp_targetILNS1_3genE2ELNS1_11target_archE906ELNS1_3gpuE6ELNS1_3repE0EEENS1_60segmented_radix_sort_warp_sort_medium_config_static_selectorELNS0_4arch9wavefront6targetE0EEEvSL_.uses_vcc, 0
	.set _ZN7rocprim17ROCPRIM_400000_NS6detail17trampoline_kernelINS0_14default_configENS1_36segmented_radix_sort_config_selectorI12hip_bfloat16lEEZNS1_25segmented_radix_sort_implIS3_Lb0EPKS5_PS5_PKlPlN2at6native12_GLOBAL__N_18offset_tEEE10hipError_tPvRmT1_PNSt15iterator_traitsISL_E10value_typeET2_T3_PNSM_ISR_E10value_typeET4_jRbjT5_SX_jjP12ihipStream_tbEUlT_E0_NS1_11comp_targetILNS1_3genE2ELNS1_11target_archE906ELNS1_3gpuE6ELNS1_3repE0EEENS1_60segmented_radix_sort_warp_sort_medium_config_static_selectorELNS0_4arch9wavefront6targetE0EEEvSL_.uses_flat_scratch, 0
	.set _ZN7rocprim17ROCPRIM_400000_NS6detail17trampoline_kernelINS0_14default_configENS1_36segmented_radix_sort_config_selectorI12hip_bfloat16lEEZNS1_25segmented_radix_sort_implIS3_Lb0EPKS5_PS5_PKlPlN2at6native12_GLOBAL__N_18offset_tEEE10hipError_tPvRmT1_PNSt15iterator_traitsISL_E10value_typeET2_T3_PNSM_ISR_E10value_typeET4_jRbjT5_SX_jjP12ihipStream_tbEUlT_E0_NS1_11comp_targetILNS1_3genE2ELNS1_11target_archE906ELNS1_3gpuE6ELNS1_3repE0EEENS1_60segmented_radix_sort_warp_sort_medium_config_static_selectorELNS0_4arch9wavefront6targetE0EEEvSL_.has_dyn_sized_stack, 0
	.set _ZN7rocprim17ROCPRIM_400000_NS6detail17trampoline_kernelINS0_14default_configENS1_36segmented_radix_sort_config_selectorI12hip_bfloat16lEEZNS1_25segmented_radix_sort_implIS3_Lb0EPKS5_PS5_PKlPlN2at6native12_GLOBAL__N_18offset_tEEE10hipError_tPvRmT1_PNSt15iterator_traitsISL_E10value_typeET2_T3_PNSM_ISR_E10value_typeET4_jRbjT5_SX_jjP12ihipStream_tbEUlT_E0_NS1_11comp_targetILNS1_3genE2ELNS1_11target_archE906ELNS1_3gpuE6ELNS1_3repE0EEENS1_60segmented_radix_sort_warp_sort_medium_config_static_selectorELNS0_4arch9wavefront6targetE0EEEvSL_.has_recursion, 0
	.set _ZN7rocprim17ROCPRIM_400000_NS6detail17trampoline_kernelINS0_14default_configENS1_36segmented_radix_sort_config_selectorI12hip_bfloat16lEEZNS1_25segmented_radix_sort_implIS3_Lb0EPKS5_PS5_PKlPlN2at6native12_GLOBAL__N_18offset_tEEE10hipError_tPvRmT1_PNSt15iterator_traitsISL_E10value_typeET2_T3_PNSM_ISR_E10value_typeET4_jRbjT5_SX_jjP12ihipStream_tbEUlT_E0_NS1_11comp_targetILNS1_3genE2ELNS1_11target_archE906ELNS1_3gpuE6ELNS1_3repE0EEENS1_60segmented_radix_sort_warp_sort_medium_config_static_selectorELNS0_4arch9wavefront6targetE0EEEvSL_.has_indirect_call, 0
	.section	.AMDGPU.csdata,"",@progbits
; Kernel info:
; codeLenInByte = 0
; TotalNumSgprs: 0
; NumVgprs: 0
; ScratchSize: 0
; MemoryBound: 0
; FloatMode: 240
; IeeeMode: 1
; LDSByteSize: 0 bytes/workgroup (compile time only)
; SGPRBlocks: 0
; VGPRBlocks: 0
; NumSGPRsForWavesPerEU: 1
; NumVGPRsForWavesPerEU: 1
; Occupancy: 16
; WaveLimiterHint : 0
; COMPUTE_PGM_RSRC2:SCRATCH_EN: 0
; COMPUTE_PGM_RSRC2:USER_SGPR: 6
; COMPUTE_PGM_RSRC2:TRAP_HANDLER: 0
; COMPUTE_PGM_RSRC2:TGID_X_EN: 1
; COMPUTE_PGM_RSRC2:TGID_Y_EN: 0
; COMPUTE_PGM_RSRC2:TGID_Z_EN: 0
; COMPUTE_PGM_RSRC2:TIDIG_COMP_CNT: 0
	.section	.text._ZN7rocprim17ROCPRIM_400000_NS6detail17trampoline_kernelINS0_14default_configENS1_36segmented_radix_sort_config_selectorI12hip_bfloat16lEEZNS1_25segmented_radix_sort_implIS3_Lb0EPKS5_PS5_PKlPlN2at6native12_GLOBAL__N_18offset_tEEE10hipError_tPvRmT1_PNSt15iterator_traitsISL_E10value_typeET2_T3_PNSM_ISR_E10value_typeET4_jRbjT5_SX_jjP12ihipStream_tbEUlT_E0_NS1_11comp_targetILNS1_3genE10ELNS1_11target_archE1201ELNS1_3gpuE5ELNS1_3repE0EEENS1_60segmented_radix_sort_warp_sort_medium_config_static_selectorELNS0_4arch9wavefront6targetE0EEEvSL_,"axG",@progbits,_ZN7rocprim17ROCPRIM_400000_NS6detail17trampoline_kernelINS0_14default_configENS1_36segmented_radix_sort_config_selectorI12hip_bfloat16lEEZNS1_25segmented_radix_sort_implIS3_Lb0EPKS5_PS5_PKlPlN2at6native12_GLOBAL__N_18offset_tEEE10hipError_tPvRmT1_PNSt15iterator_traitsISL_E10value_typeET2_T3_PNSM_ISR_E10value_typeET4_jRbjT5_SX_jjP12ihipStream_tbEUlT_E0_NS1_11comp_targetILNS1_3genE10ELNS1_11target_archE1201ELNS1_3gpuE5ELNS1_3repE0EEENS1_60segmented_radix_sort_warp_sort_medium_config_static_selectorELNS0_4arch9wavefront6targetE0EEEvSL_,comdat
	.globl	_ZN7rocprim17ROCPRIM_400000_NS6detail17trampoline_kernelINS0_14default_configENS1_36segmented_radix_sort_config_selectorI12hip_bfloat16lEEZNS1_25segmented_radix_sort_implIS3_Lb0EPKS5_PS5_PKlPlN2at6native12_GLOBAL__N_18offset_tEEE10hipError_tPvRmT1_PNSt15iterator_traitsISL_E10value_typeET2_T3_PNSM_ISR_E10value_typeET4_jRbjT5_SX_jjP12ihipStream_tbEUlT_E0_NS1_11comp_targetILNS1_3genE10ELNS1_11target_archE1201ELNS1_3gpuE5ELNS1_3repE0EEENS1_60segmented_radix_sort_warp_sort_medium_config_static_selectorELNS0_4arch9wavefront6targetE0EEEvSL_ ; -- Begin function _ZN7rocprim17ROCPRIM_400000_NS6detail17trampoline_kernelINS0_14default_configENS1_36segmented_radix_sort_config_selectorI12hip_bfloat16lEEZNS1_25segmented_radix_sort_implIS3_Lb0EPKS5_PS5_PKlPlN2at6native12_GLOBAL__N_18offset_tEEE10hipError_tPvRmT1_PNSt15iterator_traitsISL_E10value_typeET2_T3_PNSM_ISR_E10value_typeET4_jRbjT5_SX_jjP12ihipStream_tbEUlT_E0_NS1_11comp_targetILNS1_3genE10ELNS1_11target_archE1201ELNS1_3gpuE5ELNS1_3repE0EEENS1_60segmented_radix_sort_warp_sort_medium_config_static_selectorELNS0_4arch9wavefront6targetE0EEEvSL_
	.p2align	8
	.type	_ZN7rocprim17ROCPRIM_400000_NS6detail17trampoline_kernelINS0_14default_configENS1_36segmented_radix_sort_config_selectorI12hip_bfloat16lEEZNS1_25segmented_radix_sort_implIS3_Lb0EPKS5_PS5_PKlPlN2at6native12_GLOBAL__N_18offset_tEEE10hipError_tPvRmT1_PNSt15iterator_traitsISL_E10value_typeET2_T3_PNSM_ISR_E10value_typeET4_jRbjT5_SX_jjP12ihipStream_tbEUlT_E0_NS1_11comp_targetILNS1_3genE10ELNS1_11target_archE1201ELNS1_3gpuE5ELNS1_3repE0EEENS1_60segmented_radix_sort_warp_sort_medium_config_static_selectorELNS0_4arch9wavefront6targetE0EEEvSL_,@function
_ZN7rocprim17ROCPRIM_400000_NS6detail17trampoline_kernelINS0_14default_configENS1_36segmented_radix_sort_config_selectorI12hip_bfloat16lEEZNS1_25segmented_radix_sort_implIS3_Lb0EPKS5_PS5_PKlPlN2at6native12_GLOBAL__N_18offset_tEEE10hipError_tPvRmT1_PNSt15iterator_traitsISL_E10value_typeET2_T3_PNSM_ISR_E10value_typeET4_jRbjT5_SX_jjP12ihipStream_tbEUlT_E0_NS1_11comp_targetILNS1_3genE10ELNS1_11target_archE1201ELNS1_3gpuE5ELNS1_3repE0EEENS1_60segmented_radix_sort_warp_sort_medium_config_static_selectorELNS0_4arch9wavefront6targetE0EEEvSL_: ; @_ZN7rocprim17ROCPRIM_400000_NS6detail17trampoline_kernelINS0_14default_configENS1_36segmented_radix_sort_config_selectorI12hip_bfloat16lEEZNS1_25segmented_radix_sort_implIS3_Lb0EPKS5_PS5_PKlPlN2at6native12_GLOBAL__N_18offset_tEEE10hipError_tPvRmT1_PNSt15iterator_traitsISL_E10value_typeET2_T3_PNSM_ISR_E10value_typeET4_jRbjT5_SX_jjP12ihipStream_tbEUlT_E0_NS1_11comp_targetILNS1_3genE10ELNS1_11target_archE1201ELNS1_3gpuE5ELNS1_3repE0EEENS1_60segmented_radix_sort_warp_sort_medium_config_static_selectorELNS0_4arch9wavefront6targetE0EEEvSL_
; %bb.0:
	.section	.rodata,"a",@progbits
	.p2align	6, 0x0
	.amdhsa_kernel _ZN7rocprim17ROCPRIM_400000_NS6detail17trampoline_kernelINS0_14default_configENS1_36segmented_radix_sort_config_selectorI12hip_bfloat16lEEZNS1_25segmented_radix_sort_implIS3_Lb0EPKS5_PS5_PKlPlN2at6native12_GLOBAL__N_18offset_tEEE10hipError_tPvRmT1_PNSt15iterator_traitsISL_E10value_typeET2_T3_PNSM_ISR_E10value_typeET4_jRbjT5_SX_jjP12ihipStream_tbEUlT_E0_NS1_11comp_targetILNS1_3genE10ELNS1_11target_archE1201ELNS1_3gpuE5ELNS1_3repE0EEENS1_60segmented_radix_sort_warp_sort_medium_config_static_selectorELNS0_4arch9wavefront6targetE0EEEvSL_
		.amdhsa_group_segment_fixed_size 0
		.amdhsa_private_segment_fixed_size 0
		.amdhsa_kernarg_size 88
		.amdhsa_user_sgpr_count 6
		.amdhsa_user_sgpr_private_segment_buffer 1
		.amdhsa_user_sgpr_dispatch_ptr 0
		.amdhsa_user_sgpr_queue_ptr 0
		.amdhsa_user_sgpr_kernarg_segment_ptr 1
		.amdhsa_user_sgpr_dispatch_id 0
		.amdhsa_user_sgpr_flat_scratch_init 0
		.amdhsa_user_sgpr_private_segment_size 0
		.amdhsa_wavefront_size32 1
		.amdhsa_uses_dynamic_stack 0
		.amdhsa_system_sgpr_private_segment_wavefront_offset 0
		.amdhsa_system_sgpr_workgroup_id_x 1
		.amdhsa_system_sgpr_workgroup_id_y 0
		.amdhsa_system_sgpr_workgroup_id_z 0
		.amdhsa_system_sgpr_workgroup_info 0
		.amdhsa_system_vgpr_workitem_id 0
		.amdhsa_next_free_vgpr 1
		.amdhsa_next_free_sgpr 1
		.amdhsa_reserve_vcc 0
		.amdhsa_reserve_flat_scratch 0
		.amdhsa_float_round_mode_32 0
		.amdhsa_float_round_mode_16_64 0
		.amdhsa_float_denorm_mode_32 3
		.amdhsa_float_denorm_mode_16_64 3
		.amdhsa_dx10_clamp 1
		.amdhsa_ieee_mode 1
		.amdhsa_fp16_overflow 0
		.amdhsa_workgroup_processor_mode 1
		.amdhsa_memory_ordered 1
		.amdhsa_forward_progress 1
		.amdhsa_shared_vgpr_count 0
		.amdhsa_exception_fp_ieee_invalid_op 0
		.amdhsa_exception_fp_denorm_src 0
		.amdhsa_exception_fp_ieee_div_zero 0
		.amdhsa_exception_fp_ieee_overflow 0
		.amdhsa_exception_fp_ieee_underflow 0
		.amdhsa_exception_fp_ieee_inexact 0
		.amdhsa_exception_int_div_zero 0
	.end_amdhsa_kernel
	.section	.text._ZN7rocprim17ROCPRIM_400000_NS6detail17trampoline_kernelINS0_14default_configENS1_36segmented_radix_sort_config_selectorI12hip_bfloat16lEEZNS1_25segmented_radix_sort_implIS3_Lb0EPKS5_PS5_PKlPlN2at6native12_GLOBAL__N_18offset_tEEE10hipError_tPvRmT1_PNSt15iterator_traitsISL_E10value_typeET2_T3_PNSM_ISR_E10value_typeET4_jRbjT5_SX_jjP12ihipStream_tbEUlT_E0_NS1_11comp_targetILNS1_3genE10ELNS1_11target_archE1201ELNS1_3gpuE5ELNS1_3repE0EEENS1_60segmented_radix_sort_warp_sort_medium_config_static_selectorELNS0_4arch9wavefront6targetE0EEEvSL_,"axG",@progbits,_ZN7rocprim17ROCPRIM_400000_NS6detail17trampoline_kernelINS0_14default_configENS1_36segmented_radix_sort_config_selectorI12hip_bfloat16lEEZNS1_25segmented_radix_sort_implIS3_Lb0EPKS5_PS5_PKlPlN2at6native12_GLOBAL__N_18offset_tEEE10hipError_tPvRmT1_PNSt15iterator_traitsISL_E10value_typeET2_T3_PNSM_ISR_E10value_typeET4_jRbjT5_SX_jjP12ihipStream_tbEUlT_E0_NS1_11comp_targetILNS1_3genE10ELNS1_11target_archE1201ELNS1_3gpuE5ELNS1_3repE0EEENS1_60segmented_radix_sort_warp_sort_medium_config_static_selectorELNS0_4arch9wavefront6targetE0EEEvSL_,comdat
.Lfunc_end2054:
	.size	_ZN7rocprim17ROCPRIM_400000_NS6detail17trampoline_kernelINS0_14default_configENS1_36segmented_radix_sort_config_selectorI12hip_bfloat16lEEZNS1_25segmented_radix_sort_implIS3_Lb0EPKS5_PS5_PKlPlN2at6native12_GLOBAL__N_18offset_tEEE10hipError_tPvRmT1_PNSt15iterator_traitsISL_E10value_typeET2_T3_PNSM_ISR_E10value_typeET4_jRbjT5_SX_jjP12ihipStream_tbEUlT_E0_NS1_11comp_targetILNS1_3genE10ELNS1_11target_archE1201ELNS1_3gpuE5ELNS1_3repE0EEENS1_60segmented_radix_sort_warp_sort_medium_config_static_selectorELNS0_4arch9wavefront6targetE0EEEvSL_, .Lfunc_end2054-_ZN7rocprim17ROCPRIM_400000_NS6detail17trampoline_kernelINS0_14default_configENS1_36segmented_radix_sort_config_selectorI12hip_bfloat16lEEZNS1_25segmented_radix_sort_implIS3_Lb0EPKS5_PS5_PKlPlN2at6native12_GLOBAL__N_18offset_tEEE10hipError_tPvRmT1_PNSt15iterator_traitsISL_E10value_typeET2_T3_PNSM_ISR_E10value_typeET4_jRbjT5_SX_jjP12ihipStream_tbEUlT_E0_NS1_11comp_targetILNS1_3genE10ELNS1_11target_archE1201ELNS1_3gpuE5ELNS1_3repE0EEENS1_60segmented_radix_sort_warp_sort_medium_config_static_selectorELNS0_4arch9wavefront6targetE0EEEvSL_
                                        ; -- End function
	.set _ZN7rocprim17ROCPRIM_400000_NS6detail17trampoline_kernelINS0_14default_configENS1_36segmented_radix_sort_config_selectorI12hip_bfloat16lEEZNS1_25segmented_radix_sort_implIS3_Lb0EPKS5_PS5_PKlPlN2at6native12_GLOBAL__N_18offset_tEEE10hipError_tPvRmT1_PNSt15iterator_traitsISL_E10value_typeET2_T3_PNSM_ISR_E10value_typeET4_jRbjT5_SX_jjP12ihipStream_tbEUlT_E0_NS1_11comp_targetILNS1_3genE10ELNS1_11target_archE1201ELNS1_3gpuE5ELNS1_3repE0EEENS1_60segmented_radix_sort_warp_sort_medium_config_static_selectorELNS0_4arch9wavefront6targetE0EEEvSL_.num_vgpr, 0
	.set _ZN7rocprim17ROCPRIM_400000_NS6detail17trampoline_kernelINS0_14default_configENS1_36segmented_radix_sort_config_selectorI12hip_bfloat16lEEZNS1_25segmented_radix_sort_implIS3_Lb0EPKS5_PS5_PKlPlN2at6native12_GLOBAL__N_18offset_tEEE10hipError_tPvRmT1_PNSt15iterator_traitsISL_E10value_typeET2_T3_PNSM_ISR_E10value_typeET4_jRbjT5_SX_jjP12ihipStream_tbEUlT_E0_NS1_11comp_targetILNS1_3genE10ELNS1_11target_archE1201ELNS1_3gpuE5ELNS1_3repE0EEENS1_60segmented_radix_sort_warp_sort_medium_config_static_selectorELNS0_4arch9wavefront6targetE0EEEvSL_.num_agpr, 0
	.set _ZN7rocprim17ROCPRIM_400000_NS6detail17trampoline_kernelINS0_14default_configENS1_36segmented_radix_sort_config_selectorI12hip_bfloat16lEEZNS1_25segmented_radix_sort_implIS3_Lb0EPKS5_PS5_PKlPlN2at6native12_GLOBAL__N_18offset_tEEE10hipError_tPvRmT1_PNSt15iterator_traitsISL_E10value_typeET2_T3_PNSM_ISR_E10value_typeET4_jRbjT5_SX_jjP12ihipStream_tbEUlT_E0_NS1_11comp_targetILNS1_3genE10ELNS1_11target_archE1201ELNS1_3gpuE5ELNS1_3repE0EEENS1_60segmented_radix_sort_warp_sort_medium_config_static_selectorELNS0_4arch9wavefront6targetE0EEEvSL_.numbered_sgpr, 0
	.set _ZN7rocprim17ROCPRIM_400000_NS6detail17trampoline_kernelINS0_14default_configENS1_36segmented_radix_sort_config_selectorI12hip_bfloat16lEEZNS1_25segmented_radix_sort_implIS3_Lb0EPKS5_PS5_PKlPlN2at6native12_GLOBAL__N_18offset_tEEE10hipError_tPvRmT1_PNSt15iterator_traitsISL_E10value_typeET2_T3_PNSM_ISR_E10value_typeET4_jRbjT5_SX_jjP12ihipStream_tbEUlT_E0_NS1_11comp_targetILNS1_3genE10ELNS1_11target_archE1201ELNS1_3gpuE5ELNS1_3repE0EEENS1_60segmented_radix_sort_warp_sort_medium_config_static_selectorELNS0_4arch9wavefront6targetE0EEEvSL_.num_named_barrier, 0
	.set _ZN7rocprim17ROCPRIM_400000_NS6detail17trampoline_kernelINS0_14default_configENS1_36segmented_radix_sort_config_selectorI12hip_bfloat16lEEZNS1_25segmented_radix_sort_implIS3_Lb0EPKS5_PS5_PKlPlN2at6native12_GLOBAL__N_18offset_tEEE10hipError_tPvRmT1_PNSt15iterator_traitsISL_E10value_typeET2_T3_PNSM_ISR_E10value_typeET4_jRbjT5_SX_jjP12ihipStream_tbEUlT_E0_NS1_11comp_targetILNS1_3genE10ELNS1_11target_archE1201ELNS1_3gpuE5ELNS1_3repE0EEENS1_60segmented_radix_sort_warp_sort_medium_config_static_selectorELNS0_4arch9wavefront6targetE0EEEvSL_.private_seg_size, 0
	.set _ZN7rocprim17ROCPRIM_400000_NS6detail17trampoline_kernelINS0_14default_configENS1_36segmented_radix_sort_config_selectorI12hip_bfloat16lEEZNS1_25segmented_radix_sort_implIS3_Lb0EPKS5_PS5_PKlPlN2at6native12_GLOBAL__N_18offset_tEEE10hipError_tPvRmT1_PNSt15iterator_traitsISL_E10value_typeET2_T3_PNSM_ISR_E10value_typeET4_jRbjT5_SX_jjP12ihipStream_tbEUlT_E0_NS1_11comp_targetILNS1_3genE10ELNS1_11target_archE1201ELNS1_3gpuE5ELNS1_3repE0EEENS1_60segmented_radix_sort_warp_sort_medium_config_static_selectorELNS0_4arch9wavefront6targetE0EEEvSL_.uses_vcc, 0
	.set _ZN7rocprim17ROCPRIM_400000_NS6detail17trampoline_kernelINS0_14default_configENS1_36segmented_radix_sort_config_selectorI12hip_bfloat16lEEZNS1_25segmented_radix_sort_implIS3_Lb0EPKS5_PS5_PKlPlN2at6native12_GLOBAL__N_18offset_tEEE10hipError_tPvRmT1_PNSt15iterator_traitsISL_E10value_typeET2_T3_PNSM_ISR_E10value_typeET4_jRbjT5_SX_jjP12ihipStream_tbEUlT_E0_NS1_11comp_targetILNS1_3genE10ELNS1_11target_archE1201ELNS1_3gpuE5ELNS1_3repE0EEENS1_60segmented_radix_sort_warp_sort_medium_config_static_selectorELNS0_4arch9wavefront6targetE0EEEvSL_.uses_flat_scratch, 0
	.set _ZN7rocprim17ROCPRIM_400000_NS6detail17trampoline_kernelINS0_14default_configENS1_36segmented_radix_sort_config_selectorI12hip_bfloat16lEEZNS1_25segmented_radix_sort_implIS3_Lb0EPKS5_PS5_PKlPlN2at6native12_GLOBAL__N_18offset_tEEE10hipError_tPvRmT1_PNSt15iterator_traitsISL_E10value_typeET2_T3_PNSM_ISR_E10value_typeET4_jRbjT5_SX_jjP12ihipStream_tbEUlT_E0_NS1_11comp_targetILNS1_3genE10ELNS1_11target_archE1201ELNS1_3gpuE5ELNS1_3repE0EEENS1_60segmented_radix_sort_warp_sort_medium_config_static_selectorELNS0_4arch9wavefront6targetE0EEEvSL_.has_dyn_sized_stack, 0
	.set _ZN7rocprim17ROCPRIM_400000_NS6detail17trampoline_kernelINS0_14default_configENS1_36segmented_radix_sort_config_selectorI12hip_bfloat16lEEZNS1_25segmented_radix_sort_implIS3_Lb0EPKS5_PS5_PKlPlN2at6native12_GLOBAL__N_18offset_tEEE10hipError_tPvRmT1_PNSt15iterator_traitsISL_E10value_typeET2_T3_PNSM_ISR_E10value_typeET4_jRbjT5_SX_jjP12ihipStream_tbEUlT_E0_NS1_11comp_targetILNS1_3genE10ELNS1_11target_archE1201ELNS1_3gpuE5ELNS1_3repE0EEENS1_60segmented_radix_sort_warp_sort_medium_config_static_selectorELNS0_4arch9wavefront6targetE0EEEvSL_.has_recursion, 0
	.set _ZN7rocprim17ROCPRIM_400000_NS6detail17trampoline_kernelINS0_14default_configENS1_36segmented_radix_sort_config_selectorI12hip_bfloat16lEEZNS1_25segmented_radix_sort_implIS3_Lb0EPKS5_PS5_PKlPlN2at6native12_GLOBAL__N_18offset_tEEE10hipError_tPvRmT1_PNSt15iterator_traitsISL_E10value_typeET2_T3_PNSM_ISR_E10value_typeET4_jRbjT5_SX_jjP12ihipStream_tbEUlT_E0_NS1_11comp_targetILNS1_3genE10ELNS1_11target_archE1201ELNS1_3gpuE5ELNS1_3repE0EEENS1_60segmented_radix_sort_warp_sort_medium_config_static_selectorELNS0_4arch9wavefront6targetE0EEEvSL_.has_indirect_call, 0
	.section	.AMDGPU.csdata,"",@progbits
; Kernel info:
; codeLenInByte = 0
; TotalNumSgprs: 0
; NumVgprs: 0
; ScratchSize: 0
; MemoryBound: 0
; FloatMode: 240
; IeeeMode: 1
; LDSByteSize: 0 bytes/workgroup (compile time only)
; SGPRBlocks: 0
; VGPRBlocks: 0
; NumSGPRsForWavesPerEU: 1
; NumVGPRsForWavesPerEU: 1
; Occupancy: 16
; WaveLimiterHint : 0
; COMPUTE_PGM_RSRC2:SCRATCH_EN: 0
; COMPUTE_PGM_RSRC2:USER_SGPR: 6
; COMPUTE_PGM_RSRC2:TRAP_HANDLER: 0
; COMPUTE_PGM_RSRC2:TGID_X_EN: 1
; COMPUTE_PGM_RSRC2:TGID_Y_EN: 0
; COMPUTE_PGM_RSRC2:TGID_Z_EN: 0
; COMPUTE_PGM_RSRC2:TIDIG_COMP_CNT: 0
	.section	.text._ZN7rocprim17ROCPRIM_400000_NS6detail17trampoline_kernelINS0_14default_configENS1_36segmented_radix_sort_config_selectorI12hip_bfloat16lEEZNS1_25segmented_radix_sort_implIS3_Lb0EPKS5_PS5_PKlPlN2at6native12_GLOBAL__N_18offset_tEEE10hipError_tPvRmT1_PNSt15iterator_traitsISL_E10value_typeET2_T3_PNSM_ISR_E10value_typeET4_jRbjT5_SX_jjP12ihipStream_tbEUlT_E0_NS1_11comp_targetILNS1_3genE10ELNS1_11target_archE1200ELNS1_3gpuE4ELNS1_3repE0EEENS1_60segmented_radix_sort_warp_sort_medium_config_static_selectorELNS0_4arch9wavefront6targetE0EEEvSL_,"axG",@progbits,_ZN7rocprim17ROCPRIM_400000_NS6detail17trampoline_kernelINS0_14default_configENS1_36segmented_radix_sort_config_selectorI12hip_bfloat16lEEZNS1_25segmented_radix_sort_implIS3_Lb0EPKS5_PS5_PKlPlN2at6native12_GLOBAL__N_18offset_tEEE10hipError_tPvRmT1_PNSt15iterator_traitsISL_E10value_typeET2_T3_PNSM_ISR_E10value_typeET4_jRbjT5_SX_jjP12ihipStream_tbEUlT_E0_NS1_11comp_targetILNS1_3genE10ELNS1_11target_archE1200ELNS1_3gpuE4ELNS1_3repE0EEENS1_60segmented_radix_sort_warp_sort_medium_config_static_selectorELNS0_4arch9wavefront6targetE0EEEvSL_,comdat
	.globl	_ZN7rocprim17ROCPRIM_400000_NS6detail17trampoline_kernelINS0_14default_configENS1_36segmented_radix_sort_config_selectorI12hip_bfloat16lEEZNS1_25segmented_radix_sort_implIS3_Lb0EPKS5_PS5_PKlPlN2at6native12_GLOBAL__N_18offset_tEEE10hipError_tPvRmT1_PNSt15iterator_traitsISL_E10value_typeET2_T3_PNSM_ISR_E10value_typeET4_jRbjT5_SX_jjP12ihipStream_tbEUlT_E0_NS1_11comp_targetILNS1_3genE10ELNS1_11target_archE1200ELNS1_3gpuE4ELNS1_3repE0EEENS1_60segmented_radix_sort_warp_sort_medium_config_static_selectorELNS0_4arch9wavefront6targetE0EEEvSL_ ; -- Begin function _ZN7rocprim17ROCPRIM_400000_NS6detail17trampoline_kernelINS0_14default_configENS1_36segmented_radix_sort_config_selectorI12hip_bfloat16lEEZNS1_25segmented_radix_sort_implIS3_Lb0EPKS5_PS5_PKlPlN2at6native12_GLOBAL__N_18offset_tEEE10hipError_tPvRmT1_PNSt15iterator_traitsISL_E10value_typeET2_T3_PNSM_ISR_E10value_typeET4_jRbjT5_SX_jjP12ihipStream_tbEUlT_E0_NS1_11comp_targetILNS1_3genE10ELNS1_11target_archE1200ELNS1_3gpuE4ELNS1_3repE0EEENS1_60segmented_radix_sort_warp_sort_medium_config_static_selectorELNS0_4arch9wavefront6targetE0EEEvSL_
	.p2align	8
	.type	_ZN7rocprim17ROCPRIM_400000_NS6detail17trampoline_kernelINS0_14default_configENS1_36segmented_radix_sort_config_selectorI12hip_bfloat16lEEZNS1_25segmented_radix_sort_implIS3_Lb0EPKS5_PS5_PKlPlN2at6native12_GLOBAL__N_18offset_tEEE10hipError_tPvRmT1_PNSt15iterator_traitsISL_E10value_typeET2_T3_PNSM_ISR_E10value_typeET4_jRbjT5_SX_jjP12ihipStream_tbEUlT_E0_NS1_11comp_targetILNS1_3genE10ELNS1_11target_archE1200ELNS1_3gpuE4ELNS1_3repE0EEENS1_60segmented_radix_sort_warp_sort_medium_config_static_selectorELNS0_4arch9wavefront6targetE0EEEvSL_,@function
_ZN7rocprim17ROCPRIM_400000_NS6detail17trampoline_kernelINS0_14default_configENS1_36segmented_radix_sort_config_selectorI12hip_bfloat16lEEZNS1_25segmented_radix_sort_implIS3_Lb0EPKS5_PS5_PKlPlN2at6native12_GLOBAL__N_18offset_tEEE10hipError_tPvRmT1_PNSt15iterator_traitsISL_E10value_typeET2_T3_PNSM_ISR_E10value_typeET4_jRbjT5_SX_jjP12ihipStream_tbEUlT_E0_NS1_11comp_targetILNS1_3genE10ELNS1_11target_archE1200ELNS1_3gpuE4ELNS1_3repE0EEENS1_60segmented_radix_sort_warp_sort_medium_config_static_selectorELNS0_4arch9wavefront6targetE0EEEvSL_: ; @_ZN7rocprim17ROCPRIM_400000_NS6detail17trampoline_kernelINS0_14default_configENS1_36segmented_radix_sort_config_selectorI12hip_bfloat16lEEZNS1_25segmented_radix_sort_implIS3_Lb0EPKS5_PS5_PKlPlN2at6native12_GLOBAL__N_18offset_tEEE10hipError_tPvRmT1_PNSt15iterator_traitsISL_E10value_typeET2_T3_PNSM_ISR_E10value_typeET4_jRbjT5_SX_jjP12ihipStream_tbEUlT_E0_NS1_11comp_targetILNS1_3genE10ELNS1_11target_archE1200ELNS1_3gpuE4ELNS1_3repE0EEENS1_60segmented_radix_sort_warp_sort_medium_config_static_selectorELNS0_4arch9wavefront6targetE0EEEvSL_
; %bb.0:
	.section	.rodata,"a",@progbits
	.p2align	6, 0x0
	.amdhsa_kernel _ZN7rocprim17ROCPRIM_400000_NS6detail17trampoline_kernelINS0_14default_configENS1_36segmented_radix_sort_config_selectorI12hip_bfloat16lEEZNS1_25segmented_radix_sort_implIS3_Lb0EPKS5_PS5_PKlPlN2at6native12_GLOBAL__N_18offset_tEEE10hipError_tPvRmT1_PNSt15iterator_traitsISL_E10value_typeET2_T3_PNSM_ISR_E10value_typeET4_jRbjT5_SX_jjP12ihipStream_tbEUlT_E0_NS1_11comp_targetILNS1_3genE10ELNS1_11target_archE1200ELNS1_3gpuE4ELNS1_3repE0EEENS1_60segmented_radix_sort_warp_sort_medium_config_static_selectorELNS0_4arch9wavefront6targetE0EEEvSL_
		.amdhsa_group_segment_fixed_size 0
		.amdhsa_private_segment_fixed_size 0
		.amdhsa_kernarg_size 88
		.amdhsa_user_sgpr_count 6
		.amdhsa_user_sgpr_private_segment_buffer 1
		.amdhsa_user_sgpr_dispatch_ptr 0
		.amdhsa_user_sgpr_queue_ptr 0
		.amdhsa_user_sgpr_kernarg_segment_ptr 1
		.amdhsa_user_sgpr_dispatch_id 0
		.amdhsa_user_sgpr_flat_scratch_init 0
		.amdhsa_user_sgpr_private_segment_size 0
		.amdhsa_wavefront_size32 1
		.amdhsa_uses_dynamic_stack 0
		.amdhsa_system_sgpr_private_segment_wavefront_offset 0
		.amdhsa_system_sgpr_workgroup_id_x 1
		.amdhsa_system_sgpr_workgroup_id_y 0
		.amdhsa_system_sgpr_workgroup_id_z 0
		.amdhsa_system_sgpr_workgroup_info 0
		.amdhsa_system_vgpr_workitem_id 0
		.amdhsa_next_free_vgpr 1
		.amdhsa_next_free_sgpr 1
		.amdhsa_reserve_vcc 0
		.amdhsa_reserve_flat_scratch 0
		.amdhsa_float_round_mode_32 0
		.amdhsa_float_round_mode_16_64 0
		.amdhsa_float_denorm_mode_32 3
		.amdhsa_float_denorm_mode_16_64 3
		.amdhsa_dx10_clamp 1
		.amdhsa_ieee_mode 1
		.amdhsa_fp16_overflow 0
		.amdhsa_workgroup_processor_mode 1
		.amdhsa_memory_ordered 1
		.amdhsa_forward_progress 1
		.amdhsa_shared_vgpr_count 0
		.amdhsa_exception_fp_ieee_invalid_op 0
		.amdhsa_exception_fp_denorm_src 0
		.amdhsa_exception_fp_ieee_div_zero 0
		.amdhsa_exception_fp_ieee_overflow 0
		.amdhsa_exception_fp_ieee_underflow 0
		.amdhsa_exception_fp_ieee_inexact 0
		.amdhsa_exception_int_div_zero 0
	.end_amdhsa_kernel
	.section	.text._ZN7rocprim17ROCPRIM_400000_NS6detail17trampoline_kernelINS0_14default_configENS1_36segmented_radix_sort_config_selectorI12hip_bfloat16lEEZNS1_25segmented_radix_sort_implIS3_Lb0EPKS5_PS5_PKlPlN2at6native12_GLOBAL__N_18offset_tEEE10hipError_tPvRmT1_PNSt15iterator_traitsISL_E10value_typeET2_T3_PNSM_ISR_E10value_typeET4_jRbjT5_SX_jjP12ihipStream_tbEUlT_E0_NS1_11comp_targetILNS1_3genE10ELNS1_11target_archE1200ELNS1_3gpuE4ELNS1_3repE0EEENS1_60segmented_radix_sort_warp_sort_medium_config_static_selectorELNS0_4arch9wavefront6targetE0EEEvSL_,"axG",@progbits,_ZN7rocprim17ROCPRIM_400000_NS6detail17trampoline_kernelINS0_14default_configENS1_36segmented_radix_sort_config_selectorI12hip_bfloat16lEEZNS1_25segmented_radix_sort_implIS3_Lb0EPKS5_PS5_PKlPlN2at6native12_GLOBAL__N_18offset_tEEE10hipError_tPvRmT1_PNSt15iterator_traitsISL_E10value_typeET2_T3_PNSM_ISR_E10value_typeET4_jRbjT5_SX_jjP12ihipStream_tbEUlT_E0_NS1_11comp_targetILNS1_3genE10ELNS1_11target_archE1200ELNS1_3gpuE4ELNS1_3repE0EEENS1_60segmented_radix_sort_warp_sort_medium_config_static_selectorELNS0_4arch9wavefront6targetE0EEEvSL_,comdat
.Lfunc_end2055:
	.size	_ZN7rocprim17ROCPRIM_400000_NS6detail17trampoline_kernelINS0_14default_configENS1_36segmented_radix_sort_config_selectorI12hip_bfloat16lEEZNS1_25segmented_radix_sort_implIS3_Lb0EPKS5_PS5_PKlPlN2at6native12_GLOBAL__N_18offset_tEEE10hipError_tPvRmT1_PNSt15iterator_traitsISL_E10value_typeET2_T3_PNSM_ISR_E10value_typeET4_jRbjT5_SX_jjP12ihipStream_tbEUlT_E0_NS1_11comp_targetILNS1_3genE10ELNS1_11target_archE1200ELNS1_3gpuE4ELNS1_3repE0EEENS1_60segmented_radix_sort_warp_sort_medium_config_static_selectorELNS0_4arch9wavefront6targetE0EEEvSL_, .Lfunc_end2055-_ZN7rocprim17ROCPRIM_400000_NS6detail17trampoline_kernelINS0_14default_configENS1_36segmented_radix_sort_config_selectorI12hip_bfloat16lEEZNS1_25segmented_radix_sort_implIS3_Lb0EPKS5_PS5_PKlPlN2at6native12_GLOBAL__N_18offset_tEEE10hipError_tPvRmT1_PNSt15iterator_traitsISL_E10value_typeET2_T3_PNSM_ISR_E10value_typeET4_jRbjT5_SX_jjP12ihipStream_tbEUlT_E0_NS1_11comp_targetILNS1_3genE10ELNS1_11target_archE1200ELNS1_3gpuE4ELNS1_3repE0EEENS1_60segmented_radix_sort_warp_sort_medium_config_static_selectorELNS0_4arch9wavefront6targetE0EEEvSL_
                                        ; -- End function
	.set _ZN7rocprim17ROCPRIM_400000_NS6detail17trampoline_kernelINS0_14default_configENS1_36segmented_radix_sort_config_selectorI12hip_bfloat16lEEZNS1_25segmented_radix_sort_implIS3_Lb0EPKS5_PS5_PKlPlN2at6native12_GLOBAL__N_18offset_tEEE10hipError_tPvRmT1_PNSt15iterator_traitsISL_E10value_typeET2_T3_PNSM_ISR_E10value_typeET4_jRbjT5_SX_jjP12ihipStream_tbEUlT_E0_NS1_11comp_targetILNS1_3genE10ELNS1_11target_archE1200ELNS1_3gpuE4ELNS1_3repE0EEENS1_60segmented_radix_sort_warp_sort_medium_config_static_selectorELNS0_4arch9wavefront6targetE0EEEvSL_.num_vgpr, 0
	.set _ZN7rocprim17ROCPRIM_400000_NS6detail17trampoline_kernelINS0_14default_configENS1_36segmented_radix_sort_config_selectorI12hip_bfloat16lEEZNS1_25segmented_radix_sort_implIS3_Lb0EPKS5_PS5_PKlPlN2at6native12_GLOBAL__N_18offset_tEEE10hipError_tPvRmT1_PNSt15iterator_traitsISL_E10value_typeET2_T3_PNSM_ISR_E10value_typeET4_jRbjT5_SX_jjP12ihipStream_tbEUlT_E0_NS1_11comp_targetILNS1_3genE10ELNS1_11target_archE1200ELNS1_3gpuE4ELNS1_3repE0EEENS1_60segmented_radix_sort_warp_sort_medium_config_static_selectorELNS0_4arch9wavefront6targetE0EEEvSL_.num_agpr, 0
	.set _ZN7rocprim17ROCPRIM_400000_NS6detail17trampoline_kernelINS0_14default_configENS1_36segmented_radix_sort_config_selectorI12hip_bfloat16lEEZNS1_25segmented_radix_sort_implIS3_Lb0EPKS5_PS5_PKlPlN2at6native12_GLOBAL__N_18offset_tEEE10hipError_tPvRmT1_PNSt15iterator_traitsISL_E10value_typeET2_T3_PNSM_ISR_E10value_typeET4_jRbjT5_SX_jjP12ihipStream_tbEUlT_E0_NS1_11comp_targetILNS1_3genE10ELNS1_11target_archE1200ELNS1_3gpuE4ELNS1_3repE0EEENS1_60segmented_radix_sort_warp_sort_medium_config_static_selectorELNS0_4arch9wavefront6targetE0EEEvSL_.numbered_sgpr, 0
	.set _ZN7rocprim17ROCPRIM_400000_NS6detail17trampoline_kernelINS0_14default_configENS1_36segmented_radix_sort_config_selectorI12hip_bfloat16lEEZNS1_25segmented_radix_sort_implIS3_Lb0EPKS5_PS5_PKlPlN2at6native12_GLOBAL__N_18offset_tEEE10hipError_tPvRmT1_PNSt15iterator_traitsISL_E10value_typeET2_T3_PNSM_ISR_E10value_typeET4_jRbjT5_SX_jjP12ihipStream_tbEUlT_E0_NS1_11comp_targetILNS1_3genE10ELNS1_11target_archE1200ELNS1_3gpuE4ELNS1_3repE0EEENS1_60segmented_radix_sort_warp_sort_medium_config_static_selectorELNS0_4arch9wavefront6targetE0EEEvSL_.num_named_barrier, 0
	.set _ZN7rocprim17ROCPRIM_400000_NS6detail17trampoline_kernelINS0_14default_configENS1_36segmented_radix_sort_config_selectorI12hip_bfloat16lEEZNS1_25segmented_radix_sort_implIS3_Lb0EPKS5_PS5_PKlPlN2at6native12_GLOBAL__N_18offset_tEEE10hipError_tPvRmT1_PNSt15iterator_traitsISL_E10value_typeET2_T3_PNSM_ISR_E10value_typeET4_jRbjT5_SX_jjP12ihipStream_tbEUlT_E0_NS1_11comp_targetILNS1_3genE10ELNS1_11target_archE1200ELNS1_3gpuE4ELNS1_3repE0EEENS1_60segmented_radix_sort_warp_sort_medium_config_static_selectorELNS0_4arch9wavefront6targetE0EEEvSL_.private_seg_size, 0
	.set _ZN7rocprim17ROCPRIM_400000_NS6detail17trampoline_kernelINS0_14default_configENS1_36segmented_radix_sort_config_selectorI12hip_bfloat16lEEZNS1_25segmented_radix_sort_implIS3_Lb0EPKS5_PS5_PKlPlN2at6native12_GLOBAL__N_18offset_tEEE10hipError_tPvRmT1_PNSt15iterator_traitsISL_E10value_typeET2_T3_PNSM_ISR_E10value_typeET4_jRbjT5_SX_jjP12ihipStream_tbEUlT_E0_NS1_11comp_targetILNS1_3genE10ELNS1_11target_archE1200ELNS1_3gpuE4ELNS1_3repE0EEENS1_60segmented_radix_sort_warp_sort_medium_config_static_selectorELNS0_4arch9wavefront6targetE0EEEvSL_.uses_vcc, 0
	.set _ZN7rocprim17ROCPRIM_400000_NS6detail17trampoline_kernelINS0_14default_configENS1_36segmented_radix_sort_config_selectorI12hip_bfloat16lEEZNS1_25segmented_radix_sort_implIS3_Lb0EPKS5_PS5_PKlPlN2at6native12_GLOBAL__N_18offset_tEEE10hipError_tPvRmT1_PNSt15iterator_traitsISL_E10value_typeET2_T3_PNSM_ISR_E10value_typeET4_jRbjT5_SX_jjP12ihipStream_tbEUlT_E0_NS1_11comp_targetILNS1_3genE10ELNS1_11target_archE1200ELNS1_3gpuE4ELNS1_3repE0EEENS1_60segmented_radix_sort_warp_sort_medium_config_static_selectorELNS0_4arch9wavefront6targetE0EEEvSL_.uses_flat_scratch, 0
	.set _ZN7rocprim17ROCPRIM_400000_NS6detail17trampoline_kernelINS0_14default_configENS1_36segmented_radix_sort_config_selectorI12hip_bfloat16lEEZNS1_25segmented_radix_sort_implIS3_Lb0EPKS5_PS5_PKlPlN2at6native12_GLOBAL__N_18offset_tEEE10hipError_tPvRmT1_PNSt15iterator_traitsISL_E10value_typeET2_T3_PNSM_ISR_E10value_typeET4_jRbjT5_SX_jjP12ihipStream_tbEUlT_E0_NS1_11comp_targetILNS1_3genE10ELNS1_11target_archE1200ELNS1_3gpuE4ELNS1_3repE0EEENS1_60segmented_radix_sort_warp_sort_medium_config_static_selectorELNS0_4arch9wavefront6targetE0EEEvSL_.has_dyn_sized_stack, 0
	.set _ZN7rocprim17ROCPRIM_400000_NS6detail17trampoline_kernelINS0_14default_configENS1_36segmented_radix_sort_config_selectorI12hip_bfloat16lEEZNS1_25segmented_radix_sort_implIS3_Lb0EPKS5_PS5_PKlPlN2at6native12_GLOBAL__N_18offset_tEEE10hipError_tPvRmT1_PNSt15iterator_traitsISL_E10value_typeET2_T3_PNSM_ISR_E10value_typeET4_jRbjT5_SX_jjP12ihipStream_tbEUlT_E0_NS1_11comp_targetILNS1_3genE10ELNS1_11target_archE1200ELNS1_3gpuE4ELNS1_3repE0EEENS1_60segmented_radix_sort_warp_sort_medium_config_static_selectorELNS0_4arch9wavefront6targetE0EEEvSL_.has_recursion, 0
	.set _ZN7rocprim17ROCPRIM_400000_NS6detail17trampoline_kernelINS0_14default_configENS1_36segmented_radix_sort_config_selectorI12hip_bfloat16lEEZNS1_25segmented_radix_sort_implIS3_Lb0EPKS5_PS5_PKlPlN2at6native12_GLOBAL__N_18offset_tEEE10hipError_tPvRmT1_PNSt15iterator_traitsISL_E10value_typeET2_T3_PNSM_ISR_E10value_typeET4_jRbjT5_SX_jjP12ihipStream_tbEUlT_E0_NS1_11comp_targetILNS1_3genE10ELNS1_11target_archE1200ELNS1_3gpuE4ELNS1_3repE0EEENS1_60segmented_radix_sort_warp_sort_medium_config_static_selectorELNS0_4arch9wavefront6targetE0EEEvSL_.has_indirect_call, 0
	.section	.AMDGPU.csdata,"",@progbits
; Kernel info:
; codeLenInByte = 0
; TotalNumSgprs: 0
; NumVgprs: 0
; ScratchSize: 0
; MemoryBound: 0
; FloatMode: 240
; IeeeMode: 1
; LDSByteSize: 0 bytes/workgroup (compile time only)
; SGPRBlocks: 0
; VGPRBlocks: 0
; NumSGPRsForWavesPerEU: 1
; NumVGPRsForWavesPerEU: 1
; Occupancy: 16
; WaveLimiterHint : 0
; COMPUTE_PGM_RSRC2:SCRATCH_EN: 0
; COMPUTE_PGM_RSRC2:USER_SGPR: 6
; COMPUTE_PGM_RSRC2:TRAP_HANDLER: 0
; COMPUTE_PGM_RSRC2:TGID_X_EN: 1
; COMPUTE_PGM_RSRC2:TGID_Y_EN: 0
; COMPUTE_PGM_RSRC2:TGID_Z_EN: 0
; COMPUTE_PGM_RSRC2:TIDIG_COMP_CNT: 0
	.section	.text._ZN7rocprim17ROCPRIM_400000_NS6detail17trampoline_kernelINS0_14default_configENS1_36segmented_radix_sort_config_selectorI12hip_bfloat16lEEZNS1_25segmented_radix_sort_implIS3_Lb0EPKS5_PS5_PKlPlN2at6native12_GLOBAL__N_18offset_tEEE10hipError_tPvRmT1_PNSt15iterator_traitsISL_E10value_typeET2_T3_PNSM_ISR_E10value_typeET4_jRbjT5_SX_jjP12ihipStream_tbEUlT_E0_NS1_11comp_targetILNS1_3genE9ELNS1_11target_archE1100ELNS1_3gpuE3ELNS1_3repE0EEENS1_60segmented_radix_sort_warp_sort_medium_config_static_selectorELNS0_4arch9wavefront6targetE0EEEvSL_,"axG",@progbits,_ZN7rocprim17ROCPRIM_400000_NS6detail17trampoline_kernelINS0_14default_configENS1_36segmented_radix_sort_config_selectorI12hip_bfloat16lEEZNS1_25segmented_radix_sort_implIS3_Lb0EPKS5_PS5_PKlPlN2at6native12_GLOBAL__N_18offset_tEEE10hipError_tPvRmT1_PNSt15iterator_traitsISL_E10value_typeET2_T3_PNSM_ISR_E10value_typeET4_jRbjT5_SX_jjP12ihipStream_tbEUlT_E0_NS1_11comp_targetILNS1_3genE9ELNS1_11target_archE1100ELNS1_3gpuE3ELNS1_3repE0EEENS1_60segmented_radix_sort_warp_sort_medium_config_static_selectorELNS0_4arch9wavefront6targetE0EEEvSL_,comdat
	.globl	_ZN7rocprim17ROCPRIM_400000_NS6detail17trampoline_kernelINS0_14default_configENS1_36segmented_radix_sort_config_selectorI12hip_bfloat16lEEZNS1_25segmented_radix_sort_implIS3_Lb0EPKS5_PS5_PKlPlN2at6native12_GLOBAL__N_18offset_tEEE10hipError_tPvRmT1_PNSt15iterator_traitsISL_E10value_typeET2_T3_PNSM_ISR_E10value_typeET4_jRbjT5_SX_jjP12ihipStream_tbEUlT_E0_NS1_11comp_targetILNS1_3genE9ELNS1_11target_archE1100ELNS1_3gpuE3ELNS1_3repE0EEENS1_60segmented_radix_sort_warp_sort_medium_config_static_selectorELNS0_4arch9wavefront6targetE0EEEvSL_ ; -- Begin function _ZN7rocprim17ROCPRIM_400000_NS6detail17trampoline_kernelINS0_14default_configENS1_36segmented_radix_sort_config_selectorI12hip_bfloat16lEEZNS1_25segmented_radix_sort_implIS3_Lb0EPKS5_PS5_PKlPlN2at6native12_GLOBAL__N_18offset_tEEE10hipError_tPvRmT1_PNSt15iterator_traitsISL_E10value_typeET2_T3_PNSM_ISR_E10value_typeET4_jRbjT5_SX_jjP12ihipStream_tbEUlT_E0_NS1_11comp_targetILNS1_3genE9ELNS1_11target_archE1100ELNS1_3gpuE3ELNS1_3repE0EEENS1_60segmented_radix_sort_warp_sort_medium_config_static_selectorELNS0_4arch9wavefront6targetE0EEEvSL_
	.p2align	8
	.type	_ZN7rocprim17ROCPRIM_400000_NS6detail17trampoline_kernelINS0_14default_configENS1_36segmented_radix_sort_config_selectorI12hip_bfloat16lEEZNS1_25segmented_radix_sort_implIS3_Lb0EPKS5_PS5_PKlPlN2at6native12_GLOBAL__N_18offset_tEEE10hipError_tPvRmT1_PNSt15iterator_traitsISL_E10value_typeET2_T3_PNSM_ISR_E10value_typeET4_jRbjT5_SX_jjP12ihipStream_tbEUlT_E0_NS1_11comp_targetILNS1_3genE9ELNS1_11target_archE1100ELNS1_3gpuE3ELNS1_3repE0EEENS1_60segmented_radix_sort_warp_sort_medium_config_static_selectorELNS0_4arch9wavefront6targetE0EEEvSL_,@function
_ZN7rocprim17ROCPRIM_400000_NS6detail17trampoline_kernelINS0_14default_configENS1_36segmented_radix_sort_config_selectorI12hip_bfloat16lEEZNS1_25segmented_radix_sort_implIS3_Lb0EPKS5_PS5_PKlPlN2at6native12_GLOBAL__N_18offset_tEEE10hipError_tPvRmT1_PNSt15iterator_traitsISL_E10value_typeET2_T3_PNSM_ISR_E10value_typeET4_jRbjT5_SX_jjP12ihipStream_tbEUlT_E0_NS1_11comp_targetILNS1_3genE9ELNS1_11target_archE1100ELNS1_3gpuE3ELNS1_3repE0EEENS1_60segmented_radix_sort_warp_sort_medium_config_static_selectorELNS0_4arch9wavefront6targetE0EEEvSL_: ; @_ZN7rocprim17ROCPRIM_400000_NS6detail17trampoline_kernelINS0_14default_configENS1_36segmented_radix_sort_config_selectorI12hip_bfloat16lEEZNS1_25segmented_radix_sort_implIS3_Lb0EPKS5_PS5_PKlPlN2at6native12_GLOBAL__N_18offset_tEEE10hipError_tPvRmT1_PNSt15iterator_traitsISL_E10value_typeET2_T3_PNSM_ISR_E10value_typeET4_jRbjT5_SX_jjP12ihipStream_tbEUlT_E0_NS1_11comp_targetILNS1_3genE9ELNS1_11target_archE1100ELNS1_3gpuE3ELNS1_3repE0EEENS1_60segmented_radix_sort_warp_sort_medium_config_static_selectorELNS0_4arch9wavefront6targetE0EEEvSL_
; %bb.0:
	.section	.rodata,"a",@progbits
	.p2align	6, 0x0
	.amdhsa_kernel _ZN7rocprim17ROCPRIM_400000_NS6detail17trampoline_kernelINS0_14default_configENS1_36segmented_radix_sort_config_selectorI12hip_bfloat16lEEZNS1_25segmented_radix_sort_implIS3_Lb0EPKS5_PS5_PKlPlN2at6native12_GLOBAL__N_18offset_tEEE10hipError_tPvRmT1_PNSt15iterator_traitsISL_E10value_typeET2_T3_PNSM_ISR_E10value_typeET4_jRbjT5_SX_jjP12ihipStream_tbEUlT_E0_NS1_11comp_targetILNS1_3genE9ELNS1_11target_archE1100ELNS1_3gpuE3ELNS1_3repE0EEENS1_60segmented_radix_sort_warp_sort_medium_config_static_selectorELNS0_4arch9wavefront6targetE0EEEvSL_
		.amdhsa_group_segment_fixed_size 0
		.amdhsa_private_segment_fixed_size 0
		.amdhsa_kernarg_size 88
		.amdhsa_user_sgpr_count 6
		.amdhsa_user_sgpr_private_segment_buffer 1
		.amdhsa_user_sgpr_dispatch_ptr 0
		.amdhsa_user_sgpr_queue_ptr 0
		.amdhsa_user_sgpr_kernarg_segment_ptr 1
		.amdhsa_user_sgpr_dispatch_id 0
		.amdhsa_user_sgpr_flat_scratch_init 0
		.amdhsa_user_sgpr_private_segment_size 0
		.amdhsa_wavefront_size32 1
		.amdhsa_uses_dynamic_stack 0
		.amdhsa_system_sgpr_private_segment_wavefront_offset 0
		.amdhsa_system_sgpr_workgroup_id_x 1
		.amdhsa_system_sgpr_workgroup_id_y 0
		.amdhsa_system_sgpr_workgroup_id_z 0
		.amdhsa_system_sgpr_workgroup_info 0
		.amdhsa_system_vgpr_workitem_id 0
		.amdhsa_next_free_vgpr 1
		.amdhsa_next_free_sgpr 1
		.amdhsa_reserve_vcc 0
		.amdhsa_reserve_flat_scratch 0
		.amdhsa_float_round_mode_32 0
		.amdhsa_float_round_mode_16_64 0
		.amdhsa_float_denorm_mode_32 3
		.amdhsa_float_denorm_mode_16_64 3
		.amdhsa_dx10_clamp 1
		.amdhsa_ieee_mode 1
		.amdhsa_fp16_overflow 0
		.amdhsa_workgroup_processor_mode 1
		.amdhsa_memory_ordered 1
		.amdhsa_forward_progress 1
		.amdhsa_shared_vgpr_count 0
		.amdhsa_exception_fp_ieee_invalid_op 0
		.amdhsa_exception_fp_denorm_src 0
		.amdhsa_exception_fp_ieee_div_zero 0
		.amdhsa_exception_fp_ieee_overflow 0
		.amdhsa_exception_fp_ieee_underflow 0
		.amdhsa_exception_fp_ieee_inexact 0
		.amdhsa_exception_int_div_zero 0
	.end_amdhsa_kernel
	.section	.text._ZN7rocprim17ROCPRIM_400000_NS6detail17trampoline_kernelINS0_14default_configENS1_36segmented_radix_sort_config_selectorI12hip_bfloat16lEEZNS1_25segmented_radix_sort_implIS3_Lb0EPKS5_PS5_PKlPlN2at6native12_GLOBAL__N_18offset_tEEE10hipError_tPvRmT1_PNSt15iterator_traitsISL_E10value_typeET2_T3_PNSM_ISR_E10value_typeET4_jRbjT5_SX_jjP12ihipStream_tbEUlT_E0_NS1_11comp_targetILNS1_3genE9ELNS1_11target_archE1100ELNS1_3gpuE3ELNS1_3repE0EEENS1_60segmented_radix_sort_warp_sort_medium_config_static_selectorELNS0_4arch9wavefront6targetE0EEEvSL_,"axG",@progbits,_ZN7rocprim17ROCPRIM_400000_NS6detail17trampoline_kernelINS0_14default_configENS1_36segmented_radix_sort_config_selectorI12hip_bfloat16lEEZNS1_25segmented_radix_sort_implIS3_Lb0EPKS5_PS5_PKlPlN2at6native12_GLOBAL__N_18offset_tEEE10hipError_tPvRmT1_PNSt15iterator_traitsISL_E10value_typeET2_T3_PNSM_ISR_E10value_typeET4_jRbjT5_SX_jjP12ihipStream_tbEUlT_E0_NS1_11comp_targetILNS1_3genE9ELNS1_11target_archE1100ELNS1_3gpuE3ELNS1_3repE0EEENS1_60segmented_radix_sort_warp_sort_medium_config_static_selectorELNS0_4arch9wavefront6targetE0EEEvSL_,comdat
.Lfunc_end2056:
	.size	_ZN7rocprim17ROCPRIM_400000_NS6detail17trampoline_kernelINS0_14default_configENS1_36segmented_radix_sort_config_selectorI12hip_bfloat16lEEZNS1_25segmented_radix_sort_implIS3_Lb0EPKS5_PS5_PKlPlN2at6native12_GLOBAL__N_18offset_tEEE10hipError_tPvRmT1_PNSt15iterator_traitsISL_E10value_typeET2_T3_PNSM_ISR_E10value_typeET4_jRbjT5_SX_jjP12ihipStream_tbEUlT_E0_NS1_11comp_targetILNS1_3genE9ELNS1_11target_archE1100ELNS1_3gpuE3ELNS1_3repE0EEENS1_60segmented_radix_sort_warp_sort_medium_config_static_selectorELNS0_4arch9wavefront6targetE0EEEvSL_, .Lfunc_end2056-_ZN7rocprim17ROCPRIM_400000_NS6detail17trampoline_kernelINS0_14default_configENS1_36segmented_radix_sort_config_selectorI12hip_bfloat16lEEZNS1_25segmented_radix_sort_implIS3_Lb0EPKS5_PS5_PKlPlN2at6native12_GLOBAL__N_18offset_tEEE10hipError_tPvRmT1_PNSt15iterator_traitsISL_E10value_typeET2_T3_PNSM_ISR_E10value_typeET4_jRbjT5_SX_jjP12ihipStream_tbEUlT_E0_NS1_11comp_targetILNS1_3genE9ELNS1_11target_archE1100ELNS1_3gpuE3ELNS1_3repE0EEENS1_60segmented_radix_sort_warp_sort_medium_config_static_selectorELNS0_4arch9wavefront6targetE0EEEvSL_
                                        ; -- End function
	.set _ZN7rocprim17ROCPRIM_400000_NS6detail17trampoline_kernelINS0_14default_configENS1_36segmented_radix_sort_config_selectorI12hip_bfloat16lEEZNS1_25segmented_radix_sort_implIS3_Lb0EPKS5_PS5_PKlPlN2at6native12_GLOBAL__N_18offset_tEEE10hipError_tPvRmT1_PNSt15iterator_traitsISL_E10value_typeET2_T3_PNSM_ISR_E10value_typeET4_jRbjT5_SX_jjP12ihipStream_tbEUlT_E0_NS1_11comp_targetILNS1_3genE9ELNS1_11target_archE1100ELNS1_3gpuE3ELNS1_3repE0EEENS1_60segmented_radix_sort_warp_sort_medium_config_static_selectorELNS0_4arch9wavefront6targetE0EEEvSL_.num_vgpr, 0
	.set _ZN7rocprim17ROCPRIM_400000_NS6detail17trampoline_kernelINS0_14default_configENS1_36segmented_radix_sort_config_selectorI12hip_bfloat16lEEZNS1_25segmented_radix_sort_implIS3_Lb0EPKS5_PS5_PKlPlN2at6native12_GLOBAL__N_18offset_tEEE10hipError_tPvRmT1_PNSt15iterator_traitsISL_E10value_typeET2_T3_PNSM_ISR_E10value_typeET4_jRbjT5_SX_jjP12ihipStream_tbEUlT_E0_NS1_11comp_targetILNS1_3genE9ELNS1_11target_archE1100ELNS1_3gpuE3ELNS1_3repE0EEENS1_60segmented_radix_sort_warp_sort_medium_config_static_selectorELNS0_4arch9wavefront6targetE0EEEvSL_.num_agpr, 0
	.set _ZN7rocprim17ROCPRIM_400000_NS6detail17trampoline_kernelINS0_14default_configENS1_36segmented_radix_sort_config_selectorI12hip_bfloat16lEEZNS1_25segmented_radix_sort_implIS3_Lb0EPKS5_PS5_PKlPlN2at6native12_GLOBAL__N_18offset_tEEE10hipError_tPvRmT1_PNSt15iterator_traitsISL_E10value_typeET2_T3_PNSM_ISR_E10value_typeET4_jRbjT5_SX_jjP12ihipStream_tbEUlT_E0_NS1_11comp_targetILNS1_3genE9ELNS1_11target_archE1100ELNS1_3gpuE3ELNS1_3repE0EEENS1_60segmented_radix_sort_warp_sort_medium_config_static_selectorELNS0_4arch9wavefront6targetE0EEEvSL_.numbered_sgpr, 0
	.set _ZN7rocprim17ROCPRIM_400000_NS6detail17trampoline_kernelINS0_14default_configENS1_36segmented_radix_sort_config_selectorI12hip_bfloat16lEEZNS1_25segmented_radix_sort_implIS3_Lb0EPKS5_PS5_PKlPlN2at6native12_GLOBAL__N_18offset_tEEE10hipError_tPvRmT1_PNSt15iterator_traitsISL_E10value_typeET2_T3_PNSM_ISR_E10value_typeET4_jRbjT5_SX_jjP12ihipStream_tbEUlT_E0_NS1_11comp_targetILNS1_3genE9ELNS1_11target_archE1100ELNS1_3gpuE3ELNS1_3repE0EEENS1_60segmented_radix_sort_warp_sort_medium_config_static_selectorELNS0_4arch9wavefront6targetE0EEEvSL_.num_named_barrier, 0
	.set _ZN7rocprim17ROCPRIM_400000_NS6detail17trampoline_kernelINS0_14default_configENS1_36segmented_radix_sort_config_selectorI12hip_bfloat16lEEZNS1_25segmented_radix_sort_implIS3_Lb0EPKS5_PS5_PKlPlN2at6native12_GLOBAL__N_18offset_tEEE10hipError_tPvRmT1_PNSt15iterator_traitsISL_E10value_typeET2_T3_PNSM_ISR_E10value_typeET4_jRbjT5_SX_jjP12ihipStream_tbEUlT_E0_NS1_11comp_targetILNS1_3genE9ELNS1_11target_archE1100ELNS1_3gpuE3ELNS1_3repE0EEENS1_60segmented_radix_sort_warp_sort_medium_config_static_selectorELNS0_4arch9wavefront6targetE0EEEvSL_.private_seg_size, 0
	.set _ZN7rocprim17ROCPRIM_400000_NS6detail17trampoline_kernelINS0_14default_configENS1_36segmented_radix_sort_config_selectorI12hip_bfloat16lEEZNS1_25segmented_radix_sort_implIS3_Lb0EPKS5_PS5_PKlPlN2at6native12_GLOBAL__N_18offset_tEEE10hipError_tPvRmT1_PNSt15iterator_traitsISL_E10value_typeET2_T3_PNSM_ISR_E10value_typeET4_jRbjT5_SX_jjP12ihipStream_tbEUlT_E0_NS1_11comp_targetILNS1_3genE9ELNS1_11target_archE1100ELNS1_3gpuE3ELNS1_3repE0EEENS1_60segmented_radix_sort_warp_sort_medium_config_static_selectorELNS0_4arch9wavefront6targetE0EEEvSL_.uses_vcc, 0
	.set _ZN7rocprim17ROCPRIM_400000_NS6detail17trampoline_kernelINS0_14default_configENS1_36segmented_radix_sort_config_selectorI12hip_bfloat16lEEZNS1_25segmented_radix_sort_implIS3_Lb0EPKS5_PS5_PKlPlN2at6native12_GLOBAL__N_18offset_tEEE10hipError_tPvRmT1_PNSt15iterator_traitsISL_E10value_typeET2_T3_PNSM_ISR_E10value_typeET4_jRbjT5_SX_jjP12ihipStream_tbEUlT_E0_NS1_11comp_targetILNS1_3genE9ELNS1_11target_archE1100ELNS1_3gpuE3ELNS1_3repE0EEENS1_60segmented_radix_sort_warp_sort_medium_config_static_selectorELNS0_4arch9wavefront6targetE0EEEvSL_.uses_flat_scratch, 0
	.set _ZN7rocprim17ROCPRIM_400000_NS6detail17trampoline_kernelINS0_14default_configENS1_36segmented_radix_sort_config_selectorI12hip_bfloat16lEEZNS1_25segmented_radix_sort_implIS3_Lb0EPKS5_PS5_PKlPlN2at6native12_GLOBAL__N_18offset_tEEE10hipError_tPvRmT1_PNSt15iterator_traitsISL_E10value_typeET2_T3_PNSM_ISR_E10value_typeET4_jRbjT5_SX_jjP12ihipStream_tbEUlT_E0_NS1_11comp_targetILNS1_3genE9ELNS1_11target_archE1100ELNS1_3gpuE3ELNS1_3repE0EEENS1_60segmented_radix_sort_warp_sort_medium_config_static_selectorELNS0_4arch9wavefront6targetE0EEEvSL_.has_dyn_sized_stack, 0
	.set _ZN7rocprim17ROCPRIM_400000_NS6detail17trampoline_kernelINS0_14default_configENS1_36segmented_radix_sort_config_selectorI12hip_bfloat16lEEZNS1_25segmented_radix_sort_implIS3_Lb0EPKS5_PS5_PKlPlN2at6native12_GLOBAL__N_18offset_tEEE10hipError_tPvRmT1_PNSt15iterator_traitsISL_E10value_typeET2_T3_PNSM_ISR_E10value_typeET4_jRbjT5_SX_jjP12ihipStream_tbEUlT_E0_NS1_11comp_targetILNS1_3genE9ELNS1_11target_archE1100ELNS1_3gpuE3ELNS1_3repE0EEENS1_60segmented_radix_sort_warp_sort_medium_config_static_selectorELNS0_4arch9wavefront6targetE0EEEvSL_.has_recursion, 0
	.set _ZN7rocprim17ROCPRIM_400000_NS6detail17trampoline_kernelINS0_14default_configENS1_36segmented_radix_sort_config_selectorI12hip_bfloat16lEEZNS1_25segmented_radix_sort_implIS3_Lb0EPKS5_PS5_PKlPlN2at6native12_GLOBAL__N_18offset_tEEE10hipError_tPvRmT1_PNSt15iterator_traitsISL_E10value_typeET2_T3_PNSM_ISR_E10value_typeET4_jRbjT5_SX_jjP12ihipStream_tbEUlT_E0_NS1_11comp_targetILNS1_3genE9ELNS1_11target_archE1100ELNS1_3gpuE3ELNS1_3repE0EEENS1_60segmented_radix_sort_warp_sort_medium_config_static_selectorELNS0_4arch9wavefront6targetE0EEEvSL_.has_indirect_call, 0
	.section	.AMDGPU.csdata,"",@progbits
; Kernel info:
; codeLenInByte = 0
; TotalNumSgprs: 0
; NumVgprs: 0
; ScratchSize: 0
; MemoryBound: 0
; FloatMode: 240
; IeeeMode: 1
; LDSByteSize: 0 bytes/workgroup (compile time only)
; SGPRBlocks: 0
; VGPRBlocks: 0
; NumSGPRsForWavesPerEU: 1
; NumVGPRsForWavesPerEU: 1
; Occupancy: 16
; WaveLimiterHint : 0
; COMPUTE_PGM_RSRC2:SCRATCH_EN: 0
; COMPUTE_PGM_RSRC2:USER_SGPR: 6
; COMPUTE_PGM_RSRC2:TRAP_HANDLER: 0
; COMPUTE_PGM_RSRC2:TGID_X_EN: 1
; COMPUTE_PGM_RSRC2:TGID_Y_EN: 0
; COMPUTE_PGM_RSRC2:TGID_Z_EN: 0
; COMPUTE_PGM_RSRC2:TIDIG_COMP_CNT: 0
	.text
	.p2align	2                               ; -- Begin function _ZN7rocprim17ROCPRIM_400000_NS6detail26segmented_warp_sort_helperINS1_20WarpSortHelperConfigILj16ELj8ELj256EEE12hip_bfloat16lLi256ELb0EvE4sortIPKS5_PS5_PKlPlEEvT_T0_T1_T2_jjjjRNS6_12storage_typeE
	.type	_ZN7rocprim17ROCPRIM_400000_NS6detail26segmented_warp_sort_helperINS1_20WarpSortHelperConfigILj16ELj8ELj256EEE12hip_bfloat16lLi256ELb0EvE4sortIPKS5_PS5_PKlPlEEvT_T0_T1_T2_jjjjRNS6_12storage_typeE,@function
_ZN7rocprim17ROCPRIM_400000_NS6detail26segmented_warp_sort_helperINS1_20WarpSortHelperConfigILj16ELj8ELj256EEE12hip_bfloat16lLi256ELb0EvE4sortIPKS5_PS5_PKlPlEEvT_T0_T1_T2_jjjjRNS6_12storage_typeE: ; @_ZN7rocprim17ROCPRIM_400000_NS6detail26segmented_warp_sort_helperINS1_20WarpSortHelperConfigILj16ELj8ELj256EEE12hip_bfloat16lLi256ELb0EvE4sortIPKS5_PS5_PKlPlEEvT_T0_T1_T2_jjjjRNS6_12storage_typeE
; %bb.0:
	s_waitcnt vmcnt(0) expcnt(0) lgkmcnt(0)
	v_mov_b32_e32 v10, v9
	v_mbcnt_lo_u32_b32 v9, -1, 0
	v_mov_b32_e32 v48, 0x7fff
	v_mov_b32_e32 v37, 0x7fff
	v_sub_nc_u32_e32 v10, v10, v8
	v_lshlrev_b32_e32 v36, 3, v9
	v_mov_b32_e32 v9, 0
	v_and_b32_e32 v35, 0x78, v36
	v_lshlrev_b64 v[11:12], 1, v[8:9]
	v_lshlrev_b32_e32 v33, 1, v35
	v_add_co_u32 v0, vcc_lo, v0, v11
	v_add_co_ci_u32_e64 v1, null, v1, v12, vcc_lo
	v_add_co_u32 v0, vcc_lo, v0, v33
	v_add_co_ci_u32_e64 v1, null, 0, v1, vcc_lo
	v_cmp_lt_u32_e32 vcc_lo, v35, v10
	s_and_saveexec_b32 s4, vcc_lo
	s_cbranch_execz .LBB2057_2
; %bb.1:
	flat_load_ushort v37, v[0:1]
.LBB2057_2:
	s_or_b32 exec_lo, exec_lo, s4
	v_or_b32_e32 v13, 1, v35
	v_cmp_lt_u32_e64 s4, v13, v10
	s_and_saveexec_b32 s5, s4
	s_cbranch_execz .LBB2057_4
; %bb.3:
	flat_load_ushort v48, v[0:1] offset:2
.LBB2057_4:
	s_or_b32 exec_lo, exec_lo, s5
	v_or_b32_e32 v13, 2, v35
	v_mov_b32_e32 v51, 0x7fff
	v_mov_b32_e32 v32, 0x7fff
	v_cmp_lt_u32_e64 s5, v13, v10
	s_and_saveexec_b32 s6, s5
	s_cbranch_execz .LBB2057_6
; %bb.5:
	flat_load_ushort v32, v[0:1] offset:4
.LBB2057_6:
	s_or_b32 exec_lo, exec_lo, s6
	v_or_b32_e32 v13, 3, v35
	v_cmp_lt_u32_e64 s6, v13, v10
	s_and_saveexec_b32 s7, s6
	s_cbranch_execz .LBB2057_8
; %bb.7:
	flat_load_ushort v51, v[0:1] offset:6
.LBB2057_8:
	s_or_b32 exec_lo, exec_lo, s7
	v_or_b32_e32 v13, 4, v35
	v_mov_b32_e32 v39, 0x7fff
	v_mov_b32_e32 v49, 0x7fff
	v_cmp_lt_u32_e64 s7, v13, v10
	s_and_saveexec_b32 s10, s7
	s_cbranch_execz .LBB2057_10
; %bb.9:
	flat_load_ushort v49, v[0:1] offset:8
.LBB2057_10:
	;; [unrolled: 18-line block ×3, first 2 shown]
	s_or_b32 exec_lo, exec_lo, s14
	v_or_b32_e32 v13, 7, v35
	v_cmp_lt_u32_e64 s14, v13, v10
	s_and_saveexec_b32 s15, s14
	s_cbranch_execz .LBB2057_16
; %bb.15:
	flat_load_ushort v38, v[0:1] offset:14
.LBB2057_16:
	s_or_b32 exec_lo, exec_lo, s15
	v_lshlrev_b64 v[0:1], 3, v[8:9]
	v_lshlrev_b32_e32 v34, 3, v35
	; wave barrier
	v_add_co_u32 v4, s15, v4, v0
	v_add_co_ci_u32_e64 v5, null, v5, v1, s15
	v_add_co_u32 v13, s15, v4, v34
	v_add_co_ci_u32_e64 v14, null, 0, v5, s15
                                        ; implicit-def: $vgpr4_vgpr5
	s_and_saveexec_b32 s15, vcc_lo
	s_cbranch_execnz .LBB2057_318
; %bb.17:
	s_or_b32 exec_lo, exec_lo, s15
	s_and_saveexec_b32 s15, s4
                                        ; implicit-def: $vgpr8_vgpr9
	s_cbranch_execnz .LBB2057_319
.LBB2057_18:
	s_or_b32 exec_lo, exec_lo, s15
                                        ; implicit-def: $vgpr15_vgpr16
	s_and_saveexec_b32 s15, s5
	s_cbranch_execnz .LBB2057_320
.LBB2057_19:
	s_or_b32 exec_lo, exec_lo, s15
	s_and_saveexec_b32 s15, s6
                                        ; implicit-def: $vgpr17_vgpr18
	s_cbranch_execnz .LBB2057_321
.LBB2057_20:
	s_or_b32 exec_lo, exec_lo, s15
                                        ; implicit-def: $vgpr19_vgpr20
	s_and_saveexec_b32 s15, s7
	s_cbranch_execnz .LBB2057_322
.LBB2057_21:
	s_or_b32 exec_lo, exec_lo, s15
	s_and_saveexec_b32 s15, s10
                                        ; implicit-def: $vgpr23_vgpr24
	s_cbranch_execnz .LBB2057_323
.LBB2057_22:
	s_or_b32 exec_lo, exec_lo, s15
                                        ; implicit-def: $vgpr21_vgpr22
	s_and_saveexec_b32 s15, s11
	s_cbranch_execnz .LBB2057_324
.LBB2057_23:
	s_or_b32 exec_lo, exec_lo, s15
	s_and_saveexec_b32 s15, s14
                                        ; implicit-def: $vgpr25_vgpr26
	s_cbranch_execz .LBB2057_25
.LBB2057_24:
	flat_load_dwordx2 v[25:26], v[13:14] offset:56
.LBB2057_25:
	s_or_b32 exec_lo, exec_lo, s15
	; wave barrier
	s_load_dwordx2 s[16:17], s[8:9], 0x0
	v_mov_b32_e32 v10, 0
	v_bfe_u32 v14, v31, 10, 10
	v_bfe_u32 v27, v31, 20, 10
	s_waitcnt lgkmcnt(0)
	s_cmp_lt_u32 s13, s17
	s_cselect_b32 s13, 14, 20
	s_add_u32 s18, s8, s13
	s_addc_u32 s19, s9, 0
	s_cmp_lt_u32 s12, s16
	global_load_ushort v13, v10, s[18:19]
	s_cselect_b32 s12, 12, 18
	s_add_u32 s8, s8, s12
	s_addc_u32 s9, s9, 0
	global_load_ushort v10, v10, s[8:9]
	s_mov_b32 s9, exec_lo
	s_waitcnt vmcnt(1)
	v_mad_u32_u24 v13, v27, v13, v14
	s_waitcnt vmcnt(0)
	v_mul_lo_u32 v10, v13, v10
	v_and_b32_e32 v13, 0x3ff, v31
	v_add_lshl_u32 v10, v10, v13, 3
	v_cmpx_gt_u32_e32 0x800, v10
	s_cbranch_execz .LBB2057_307
; %bb.26:
	v_lshlrev_b32_e32 v13, 16, v37
	v_add_f32_e32 v14, 0, v13
	v_and_b32_e32 v13, 0x7f800000, v14
	v_cmp_ne_u32_e64 s8, 0x7f800000, v13
                                        ; implicit-def: $vgpr13
	s_and_saveexec_b32 s12, s8
	s_xor_b32 s8, exec_lo, s12
; %bb.27:
	v_bfe_u32 v13, v14, 16, 1
	v_add3_u32 v13, v14, v13, 0x7fff
                                        ; implicit-def: $vgpr14
; %bb.28:
	s_andn2_saveexec_b32 s12, s8
; %bb.29:
	v_mov_b32_e32 v13, 0
	v_or_b32_e32 v27, 0x10000, v14
	v_cmp_eq_u32_sdwa s8, v14, v13 src0_sel:WORD_0 src1_sel:DWORD
	v_cndmask_b32_e64 v13, v27, v14, s8
; %bb.30:
	s_or_b32 exec_lo, exec_lo, s12
	v_lshlrev_b32_e32 v14, 16, v48
	v_add_f32_e32 v27, 0, v14
	v_and_b32_e32 v14, 0x7f800000, v27
	v_cmp_ne_u32_e64 s8, 0x7f800000, v14
                                        ; implicit-def: $vgpr14
	s_and_saveexec_b32 s12, s8
	s_xor_b32 s8, exec_lo, s12
; %bb.31:
	v_bfe_u32 v14, v27, 16, 1
	v_add3_u32 v14, v27, v14, 0x7fff
                                        ; implicit-def: $vgpr27
; %bb.32:
	s_andn2_saveexec_b32 s12, s8
; %bb.33:
	v_mov_b32_e32 v14, 0
	v_or_b32_e32 v28, 0x10000, v27
	v_cmp_eq_u32_sdwa s8, v27, v14 src0_sel:WORD_0 src1_sel:DWORD
	v_cndmask_b32_e64 v14, v28, v27, s8
; %bb.34:
	s_or_b32 exec_lo, exec_lo, s12
	v_cmp_lt_i32_e64 s8, -1, v13
	v_perm_b32 v13, v14, v13, 0x7060302
	v_mov_b32_e32 v52, v48
	v_cndmask_b32_e64 v27, -1, 0xffff8000, s8
	v_cmp_lt_i32_e64 s8, -1, v14
	v_cndmask_b32_e64 v28, -1, 0xffff8000, s8
	v_perm_b32 v14, v28, v27, 0x5040100
	v_mov_b32_e32 v28, v9
	v_mov_b32_e32 v27, v8
	v_xor_b32_e32 v13, v14, v13
	v_cmp_gt_u16_sdwa s12, v13, v13 src0_sel:DWORD src1_sel:WORD_1
	s_and_saveexec_b32 s8, s12
; %bb.35:
	v_mov_b32_e32 v28, v5
	v_mov_b32_e32 v27, v4
	;; [unrolled: 1-line block ×6, first 2 shown]
; %bb.36:
	s_or_b32 exec_lo, exec_lo, s8
	v_lshlrev_b32_e32 v8, 16, v32
	v_add_f32_e32 v9, 0, v8
	v_and_b32_e32 v8, 0x7f800000, v9
	v_cmp_ne_u32_e64 s8, 0x7f800000, v8
                                        ; implicit-def: $vgpr8
	s_and_saveexec_b32 s12, s8
	s_xor_b32 s8, exec_lo, s12
; %bb.37:
	v_bfe_u32 v8, v9, 16, 1
	v_add3_u32 v8, v9, v8, 0x7fff
                                        ; implicit-def: $vgpr9
; %bb.38:
	s_andn2_saveexec_b32 s12, s8
; %bb.39:
	v_mov_b32_e32 v8, 0
	v_or_b32_e32 v13, 0x10000, v9
	v_cmp_eq_u32_sdwa s8, v9, v8 src0_sel:WORD_0 src1_sel:DWORD
	v_cndmask_b32_e64 v8, v13, v9, s8
; %bb.40:
	s_or_b32 exec_lo, exec_lo, s12
	v_lshlrev_b32_e32 v9, 16, v51
	v_add_f32_e32 v13, 0, v9
	v_and_b32_e32 v9, 0x7f800000, v13
	v_cmp_ne_u32_e64 s8, 0x7f800000, v9
                                        ; implicit-def: $vgpr9
	s_and_saveexec_b32 s12, s8
	s_xor_b32 s8, exec_lo, s12
; %bb.41:
	v_bfe_u32 v9, v13, 16, 1
	v_add3_u32 v9, v13, v9, 0x7fff
                                        ; implicit-def: $vgpr13
; %bb.42:
	s_andn2_saveexec_b32 s12, s8
; %bb.43:
	v_mov_b32_e32 v9, 0
	v_or_b32_e32 v14, 0x10000, v13
	v_cmp_eq_u32_sdwa s8, v13, v9 src0_sel:WORD_0 src1_sel:DWORD
	v_cndmask_b32_e64 v9, v14, v13, s8
; %bb.44:
	s_or_b32 exec_lo, exec_lo, s12
	v_cmp_lt_i32_e64 s8, -1, v8
	v_perm_b32 v8, v9, v8, 0x7060302
	v_mov_b32_e32 v30, v18
	v_mov_b32_e32 v31, v51
	;; [unrolled: 1-line block ×3, first 2 shown]
	v_cndmask_b32_e64 v13, -1, 0xffff8000, s8
	v_cmp_lt_i32_e64 s8, -1, v9
	v_cndmask_b32_e64 v14, -1, 0xffff8000, s8
	v_perm_b32 v9, v14, v13, 0x5040100
	v_xor_b32_e32 v8, v9, v8
	v_cmp_gt_u16_sdwa s12, v8, v8 src0_sel:DWORD src1_sel:WORD_1
	s_and_saveexec_b32 s8, s12
; %bb.45:
	v_mov_b32_e32 v30, v16
	v_mov_b32_e32 v29, v15
	;; [unrolled: 1-line block ×6, first 2 shown]
; %bb.46:
	s_or_b32 exec_lo, exec_lo, s8
	v_lshlrev_b32_e32 v8, 16, v49
	v_add_f32_e32 v9, 0, v8
	v_and_b32_e32 v8, 0x7f800000, v9
	v_cmp_ne_u32_e64 s8, 0x7f800000, v8
                                        ; implicit-def: $vgpr8
	s_and_saveexec_b32 s12, s8
	s_xor_b32 s8, exec_lo, s12
; %bb.47:
	v_bfe_u32 v8, v9, 16, 1
	v_add3_u32 v8, v9, v8, 0x7fff
                                        ; implicit-def: $vgpr9
; %bb.48:
	s_andn2_saveexec_b32 s12, s8
; %bb.49:
	v_mov_b32_e32 v8, 0
	v_or_b32_e32 v13, 0x10000, v9
	v_cmp_eq_u32_sdwa s8, v9, v8 src0_sel:WORD_0 src1_sel:DWORD
	v_cndmask_b32_e64 v8, v13, v9, s8
; %bb.50:
	s_or_b32 exec_lo, exec_lo, s12
	v_lshlrev_b32_e32 v9, 16, v39
	v_add_f32_e32 v13, 0, v9
	v_and_b32_e32 v9, 0x7f800000, v13
	v_cmp_ne_u32_e64 s8, 0x7f800000, v9
                                        ; implicit-def: $vgpr9
	s_and_saveexec_b32 s12, s8
	s_xor_b32 s8, exec_lo, s12
; %bb.51:
	v_bfe_u32 v9, v13, 16, 1
	v_add3_u32 v9, v13, v9, 0x7fff
                                        ; implicit-def: $vgpr13
; %bb.52:
	s_andn2_saveexec_b32 s12, s8
; %bb.53:
	v_mov_b32_e32 v9, 0
	v_or_b32_e32 v14, 0x10000, v13
	v_cmp_eq_u32_sdwa s8, v13, v9 src0_sel:WORD_0 src1_sel:DWORD
	v_cndmask_b32_e64 v9, v14, v13, s8
; %bb.54:
	s_or_b32 exec_lo, exec_lo, s12
	v_cmp_lt_i32_e64 s8, -1, v8
	v_perm_b32 v8, v9, v8, 0x7060302
	v_mov_b32_e32 v51, v49
	v_cndmask_b32_e64 v13, -1, 0xffff8000, s8
	v_cmp_lt_i32_e64 s8, -1, v9
	v_cndmask_b32_e64 v14, -1, 0xffff8000, s8
	v_perm_b32 v9, v14, v13, 0x5040100
	v_xor_b32_e32 v13, v9, v8
	v_mov_b32_e32 v8, v23
	v_mov_b32_e32 v9, v24
	v_cmp_gt_u16_sdwa s12, v13, v13 src0_sel:DWORD src1_sel:WORD_1
	s_and_saveexec_b32 s8, s12
; %bb.55:
	v_mov_b32_e32 v8, v19
	v_mov_b32_e32 v9, v20
	v_mov_b32_e32 v19, v23
	v_mov_b32_e32 v20, v24
	v_mov_b32_e32 v51, v39
	v_mov_b32_e32 v39, v49
; %bb.56:
	s_or_b32 exec_lo, exec_lo, s8
	v_lshlrev_b32_e32 v13, 16, v50
	v_add_f32_e32 v14, 0, v13
	v_and_b32_e32 v13, 0x7f800000, v14
	v_cmp_ne_u32_e64 s8, 0x7f800000, v13
                                        ; implicit-def: $vgpr13
	s_and_saveexec_b32 s12, s8
	s_xor_b32 s8, exec_lo, s12
; %bb.57:
	v_bfe_u32 v13, v14, 16, 1
	v_add3_u32 v13, v14, v13, 0x7fff
                                        ; implicit-def: $vgpr14
; %bb.58:
	s_andn2_saveexec_b32 s12, s8
; %bb.59:
	v_mov_b32_e32 v13, 0
	v_or_b32_e32 v17, 0x10000, v14
	v_cmp_eq_u32_sdwa s8, v14, v13 src0_sel:WORD_0 src1_sel:DWORD
	v_cndmask_b32_e64 v13, v17, v14, s8
; %bb.60:
	s_or_b32 exec_lo, exec_lo, s12
	v_lshlrev_b32_e32 v14, 16, v38
	v_add_f32_e32 v17, 0, v14
	v_and_b32_e32 v14, 0x7f800000, v17
	v_cmp_ne_u32_e64 s8, 0x7f800000, v14
                                        ; implicit-def: $vgpr14
	s_and_saveexec_b32 s12, s8
	s_xor_b32 s8, exec_lo, s12
; %bb.61:
	v_bfe_u32 v14, v17, 16, 1
	v_add3_u32 v14, v17, v14, 0x7fff
                                        ; implicit-def: $vgpr17
; %bb.62:
	s_andn2_saveexec_b32 s12, s8
; %bb.63:
	v_mov_b32_e32 v14, 0
	v_or_b32_e32 v18, 0x10000, v17
	v_cmp_eq_u32_sdwa s8, v17, v14 src0_sel:WORD_0 src1_sel:DWORD
	v_cndmask_b32_e64 v14, v18, v17, s8
; %bb.64:
	s_or_b32 exec_lo, exec_lo, s12
	v_cmp_lt_i32_e64 s8, -1, v13
	v_perm_b32 v13, v14, v13, 0x7060302
	v_mov_b32_e32 v49, v50
	v_cndmask_b32_e64 v17, -1, 0xffff8000, s8
	v_cmp_lt_i32_e64 s8, -1, v14
	v_cndmask_b32_e64 v18, -1, 0xffff8000, s8
	v_perm_b32 v14, v18, v17, 0x5040100
	v_xor_b32_e32 v17, v14, v13
	v_mov_b32_e32 v13, v25
	v_mov_b32_e32 v14, v26
	v_cmp_gt_u16_sdwa s12, v17, v17 src0_sel:DWORD src1_sel:WORD_1
	s_and_saveexec_b32 s8, s12
; %bb.65:
	v_mov_b32_e32 v13, v21
	v_mov_b32_e32 v14, v22
	;; [unrolled: 1-line block ×6, first 2 shown]
; %bb.66:
	s_or_b32 exec_lo, exec_lo, s8
	v_lshlrev_b32_e32 v17, 16, v52
	v_add_f32_e32 v18, 0, v17
	v_and_b32_e32 v17, 0x7f800000, v18
	v_cmp_ne_u32_e64 s8, 0x7f800000, v17
                                        ; implicit-def: $vgpr17
	s_and_saveexec_b32 s12, s8
	s_xor_b32 s8, exec_lo, s12
; %bb.67:
	v_bfe_u32 v17, v18, 16, 1
	v_add3_u32 v17, v18, v17, 0x7fff
                                        ; implicit-def: $vgpr18
; %bb.68:
	s_andn2_saveexec_b32 s12, s8
; %bb.69:
	v_mov_b32_e32 v17, 0
	v_or_b32_e32 v23, 0x10000, v18
	v_cmp_eq_u32_sdwa s8, v18, v17 src0_sel:WORD_0 src1_sel:DWORD
	v_cndmask_b32_e64 v17, v23, v18, s8
; %bb.70:
	s_or_b32 exec_lo, exec_lo, s12
	v_lshlrev_b32_e32 v18, 16, v32
	v_add_f32_e32 v23, 0, v18
	v_and_b32_e32 v18, 0x7f800000, v23
	v_cmp_ne_u32_e64 s8, 0x7f800000, v18
                                        ; implicit-def: $vgpr18
	s_and_saveexec_b32 s12, s8
	s_xor_b32 s8, exec_lo, s12
; %bb.71:
	v_bfe_u32 v18, v23, 16, 1
	v_add3_u32 v18, v23, v18, 0x7fff
                                        ; implicit-def: $vgpr23
; %bb.72:
	s_andn2_saveexec_b32 s12, s8
; %bb.73:
	v_mov_b32_e32 v18, 0
	v_or_b32_e32 v24, 0x10000, v23
	v_cmp_eq_u32_sdwa s8, v23, v18 src0_sel:WORD_0 src1_sel:DWORD
	v_cndmask_b32_e64 v18, v24, v23, s8
; %bb.74:
	s_or_b32 exec_lo, exec_lo, s12
	v_cmp_lt_i32_e64 s8, -1, v17
	v_perm_b32 v17, v18, v17, 0x7060302
	v_mov_b32_e32 v26, v16
	v_mov_b32_e32 v48, v32
	;; [unrolled: 1-line block ×3, first 2 shown]
	v_cndmask_b32_e64 v23, -1, 0xffff8000, s8
	v_cmp_lt_i32_e64 s8, -1, v18
	v_cndmask_b32_e64 v24, -1, 0xffff8000, s8
	v_perm_b32 v18, v24, v23, 0x5040100
	v_xor_b32_e32 v17, v18, v17
	v_cmp_gt_u16_sdwa s12, v17, v17 src0_sel:DWORD src1_sel:WORD_1
	s_and_saveexec_b32 s8, s12
; %bb.75:
	v_mov_b32_e32 v25, v27
	v_mov_b32_e32 v26, v28
	;; [unrolled: 1-line block ×6, first 2 shown]
; %bb.76:
	s_or_b32 exec_lo, exec_lo, s8
	v_lshlrev_b32_e32 v15, 16, v31
	v_add_f32_e32 v16, 0, v15
	v_and_b32_e32 v15, 0x7f800000, v16
	v_cmp_ne_u32_e64 s8, 0x7f800000, v15
                                        ; implicit-def: $vgpr15
	s_and_saveexec_b32 s12, s8
	s_xor_b32 s8, exec_lo, s12
; %bb.77:
	v_bfe_u32 v15, v16, 16, 1
	v_add3_u32 v15, v16, v15, 0x7fff
                                        ; implicit-def: $vgpr16
; %bb.78:
	s_andn2_saveexec_b32 s12, s8
; %bb.79:
	v_mov_b32_e32 v15, 0
	v_or_b32_e32 v17, 0x10000, v16
	v_cmp_eq_u32_sdwa s8, v16, v15 src0_sel:WORD_0 src1_sel:DWORD
	v_cndmask_b32_e64 v15, v17, v16, s8
; %bb.80:
	s_or_b32 exec_lo, exec_lo, s12
	v_lshlrev_b32_e32 v16, 16, v51
	v_add_f32_e32 v17, 0, v16
	v_and_b32_e32 v16, 0x7f800000, v17
	v_cmp_ne_u32_e64 s8, 0x7f800000, v16
                                        ; implicit-def: $vgpr16
	s_and_saveexec_b32 s12, s8
	s_xor_b32 s8, exec_lo, s12
; %bb.81:
	v_bfe_u32 v16, v17, 16, 1
	v_add3_u32 v16, v17, v16, 0x7fff
                                        ; implicit-def: $vgpr17
; %bb.82:
	s_andn2_saveexec_b32 s12, s8
; %bb.83:
	v_mov_b32_e32 v16, 0
	v_or_b32_e32 v18, 0x10000, v17
	v_cmp_eq_u32_sdwa s8, v17, v16 src0_sel:WORD_0 src1_sel:DWORD
	v_cndmask_b32_e64 v16, v18, v17, s8
; %bb.84:
	s_or_b32 exec_lo, exec_lo, s12
	v_cmp_lt_i32_e64 s8, -1, v15
	v_perm_b32 v15, v16, v15, 0x7060302
	v_mov_b32_e32 v24, v20
	v_mov_b32_e32 v23, v19
	v_cndmask_b32_e64 v17, -1, 0xffff8000, s8
	v_cmp_lt_i32_e64 s8, -1, v16
	v_cndmask_b32_e64 v18, -1, 0xffff8000, s8
	v_perm_b32 v16, v18, v17, 0x5040100
	v_mov_b32_e32 v17, v31
	v_xor_b32_e32 v15, v16, v15
	v_cmp_gt_u16_sdwa s12, v15, v15 src0_sel:DWORD src1_sel:WORD_1
	s_and_saveexec_b32 s8, s12
; %bb.85:
	v_mov_b32_e32 v23, v29
	v_mov_b32_e32 v24, v30
	;; [unrolled: 1-line block ×6, first 2 shown]
; %bb.86:
	s_or_b32 exec_lo, exec_lo, s8
	v_lshlrev_b32_e32 v15, 16, v39
	v_add_f32_e32 v16, 0, v15
	v_and_b32_e32 v15, 0x7f800000, v16
	v_cmp_ne_u32_e64 s8, 0x7f800000, v15
                                        ; implicit-def: $vgpr15
	s_and_saveexec_b32 s12, s8
	s_xor_b32 s8, exec_lo, s12
; %bb.87:
	v_bfe_u32 v15, v16, 16, 1
	v_add3_u32 v15, v16, v15, 0x7fff
                                        ; implicit-def: $vgpr16
; %bb.88:
	s_andn2_saveexec_b32 s12, s8
; %bb.89:
	v_mov_b32_e32 v15, 0
	v_or_b32_e32 v18, 0x10000, v16
	v_cmp_eq_u32_sdwa s8, v16, v15 src0_sel:WORD_0 src1_sel:DWORD
	v_cndmask_b32_e64 v15, v18, v16, s8
; %bb.90:
	s_or_b32 exec_lo, exec_lo, s12
	v_lshlrev_b32_e32 v16, 16, v49
	v_add_f32_e32 v18, 0, v16
	v_and_b32_e32 v16, 0x7f800000, v18
	v_cmp_ne_u32_e64 s8, 0x7f800000, v16
                                        ; implicit-def: $vgpr16
	s_and_saveexec_b32 s12, s8
	s_xor_b32 s8, exec_lo, s12
; %bb.91:
	v_bfe_u32 v16, v18, 16, 1
	v_add3_u32 v16, v18, v16, 0x7fff
                                        ; implicit-def: $vgpr18
; %bb.92:
	s_andn2_saveexec_b32 s12, s8
; %bb.93:
	v_mov_b32_e32 v16, 0
	v_or_b32_e32 v19, 0x10000, v18
	v_cmp_eq_u32_sdwa s8, v18, v16 src0_sel:WORD_0 src1_sel:DWORD
	v_cndmask_b32_e64 v16, v19, v18, s8
; %bb.94:
	s_or_b32 exec_lo, exec_lo, s12
	v_cmp_lt_i32_e64 s8, -1, v15
	v_perm_b32 v15, v16, v15, 0x7060302
	v_mov_b32_e32 v50, v39
	v_cndmask_b32_e64 v18, -1, 0xffff8000, s8
	v_cmp_lt_i32_e64 s8, -1, v16
	v_cndmask_b32_e64 v19, -1, 0xffff8000, s8
	v_perm_b32 v16, v19, v18, 0x5040100
	v_xor_b32_e32 v18, v16, v15
	v_mov_b32_e32 v15, v21
	v_mov_b32_e32 v16, v22
	v_cmp_gt_u16_sdwa s12, v18, v18 src0_sel:DWORD src1_sel:WORD_1
	s_and_saveexec_b32 s8, s12
; %bb.95:
	v_mov_b32_e32 v16, v9
	v_mov_b32_e32 v15, v8
	;; [unrolled: 1-line block ×6, first 2 shown]
; %bb.96:
	s_or_b32 exec_lo, exec_lo, s8
	v_lshlrev_b32_e32 v18, 16, v37
	v_add_f32_e32 v19, 0, v18
	v_and_b32_e32 v18, 0x7f800000, v19
	v_cmp_ne_u32_e64 s8, 0x7f800000, v18
                                        ; implicit-def: $vgpr18
	s_and_saveexec_b32 s12, s8
	s_xor_b32 s8, exec_lo, s12
; %bb.97:
	v_bfe_u32 v18, v19, 16, 1
	v_add3_u32 v18, v19, v18, 0x7fff
                                        ; implicit-def: $vgpr19
; %bb.98:
	s_andn2_saveexec_b32 s12, s8
; %bb.99:
	v_mov_b32_e32 v18, 0
	v_or_b32_e32 v20, 0x10000, v19
	v_cmp_eq_u32_sdwa s8, v19, v18 src0_sel:WORD_0 src1_sel:DWORD
	v_cndmask_b32_e64 v18, v20, v19, s8
; %bb.100:
	s_or_b32 exec_lo, exec_lo, s12
	v_lshlrev_b32_e32 v19, 16, v52
	v_add_f32_e32 v20, 0, v19
	v_and_b32_e32 v19, 0x7f800000, v20
	v_cmp_ne_u32_e64 s8, 0x7f800000, v19
                                        ; implicit-def: $vgpr19
	s_and_saveexec_b32 s12, s8
	s_xor_b32 s8, exec_lo, s12
; %bb.101:
	v_bfe_u32 v19, v20, 16, 1
	v_add3_u32 v19, v20, v19, 0x7fff
                                        ; implicit-def: $vgpr20
; %bb.102:
	s_andn2_saveexec_b32 s12, s8
; %bb.103:
	v_mov_b32_e32 v19, 0
	v_or_b32_e32 v21, 0x10000, v20
	v_cmp_eq_u32_sdwa s8, v20, v19 src0_sel:WORD_0 src1_sel:DWORD
	v_cndmask_b32_e64 v19, v21, v20, s8
; %bb.104:
	s_or_b32 exec_lo, exec_lo, s12
	v_cmp_lt_i32_e64 s8, -1, v18
	v_perm_b32 v18, v19, v18, 0x7060302
	v_mov_b32_e32 v32, v28
	v_mov_b32_e32 v39, v52
	;; [unrolled: 1-line block ×3, first 2 shown]
	v_cndmask_b32_e64 v20, -1, 0xffff8000, s8
	v_cmp_lt_i32_e64 s8, -1, v19
	v_cndmask_b32_e64 v21, -1, 0xffff8000, s8
	v_perm_b32 v19, v21, v20, 0x5040100
	v_xor_b32_e32 v18, v19, v18
	v_cmp_gt_u16_sdwa s12, v18, v18 src0_sel:DWORD src1_sel:WORD_1
	s_and_saveexec_b32 s8, s12
; %bb.105:
	v_mov_b32_e32 v32, v5
	v_mov_b32_e32 v31, v4
	;; [unrolled: 1-line block ×6, first 2 shown]
; %bb.106:
	s_or_b32 exec_lo, exec_lo, s8
	v_lshlrev_b32_e32 v18, 16, v48
	v_add_f32_e32 v19, 0, v18
	v_and_b32_e32 v18, 0x7f800000, v19
	v_cmp_ne_u32_e64 s8, 0x7f800000, v18
                                        ; implicit-def: $vgpr18
	s_and_saveexec_b32 s12, s8
	s_xor_b32 s8, exec_lo, s12
; %bb.107:
	v_bfe_u32 v18, v19, 16, 1
	v_add3_u32 v18, v19, v18, 0x7fff
                                        ; implicit-def: $vgpr19
; %bb.108:
	s_andn2_saveexec_b32 s12, s8
; %bb.109:
	v_mov_b32_e32 v18, 0
	v_or_b32_e32 v20, 0x10000, v19
	v_cmp_eq_u32_sdwa s8, v19, v18 src0_sel:WORD_0 src1_sel:DWORD
	v_cndmask_b32_e64 v18, v20, v19, s8
; %bb.110:
	s_or_b32 exec_lo, exec_lo, s12
	v_lshlrev_b32_e32 v19, 16, v17
	v_add_f32_e32 v20, 0, v19
	v_and_b32_e32 v19, 0x7f800000, v20
	v_cmp_ne_u32_e64 s8, 0x7f800000, v19
                                        ; implicit-def: $vgpr19
	s_and_saveexec_b32 s12, s8
	s_xor_b32 s8, exec_lo, s12
; %bb.111:
	v_bfe_u32 v19, v20, 16, 1
	v_add3_u32 v19, v20, v19, 0x7fff
                                        ; implicit-def: $vgpr20
; %bb.112:
	s_andn2_saveexec_b32 s12, s8
; %bb.113:
	v_mov_b32_e32 v19, 0
	v_or_b32_e32 v21, 0x10000, v20
	v_cmp_eq_u32_sdwa s8, v20, v19 src0_sel:WORD_0 src1_sel:DWORD
	v_cndmask_b32_e64 v19, v21, v20, s8
; %bb.114:
	s_or_b32 exec_lo, exec_lo, s12
	v_cmp_lt_i32_e64 s8, -1, v18
	v_perm_b32 v18, v19, v18, 0x7060302
	v_mov_b32_e32 v27, v29
	v_mov_b32_e32 v28, v30
	v_cndmask_b32_e64 v20, -1, 0xffff8000, s8
	v_cmp_lt_i32_e64 s8, -1, v19
	v_cndmask_b32_e64 v21, -1, 0xffff8000, s8
	v_perm_b32 v19, v21, v20, 0x5040100
	v_xor_b32_e32 v18, v19, v18
	v_mov_b32_e32 v19, v17
	v_cmp_gt_u16_sdwa s12, v18, v18 src0_sel:DWORD src1_sel:WORD_1
	s_and_saveexec_b32 s8, s12
; %bb.115:
	v_mov_b32_e32 v28, v26
	v_mov_b32_e32 v27, v25
	v_mov_b32_e32 v25, v29
	v_mov_b32_e32 v19, v48
	v_mov_b32_e32 v48, v17
	v_mov_b32_e32 v26, v30
; %bb.116:
	s_or_b32 exec_lo, exec_lo, s8
	v_lshlrev_b32_e32 v17, 16, v51
	v_add_f32_e32 v18, 0, v17
	v_and_b32_e32 v17, 0x7f800000, v18
	v_cmp_ne_u32_e64 s8, 0x7f800000, v17
                                        ; implicit-def: $vgpr17
	s_and_saveexec_b32 s12, s8
	s_xor_b32 s8, exec_lo, s12
; %bb.117:
	v_bfe_u32 v17, v18, 16, 1
	v_add3_u32 v17, v18, v17, 0x7fff
                                        ; implicit-def: $vgpr18
; %bb.118:
	s_andn2_saveexec_b32 s12, s8
; %bb.119:
	v_mov_b32_e32 v17, 0
	v_or_b32_e32 v20, 0x10000, v18
	v_cmp_eq_u32_sdwa s8, v18, v17 src0_sel:WORD_0 src1_sel:DWORD
	v_cndmask_b32_e64 v17, v20, v18, s8
; %bb.120:
	s_or_b32 exec_lo, exec_lo, s12
	v_lshlrev_b32_e32 v18, 16, v50
	v_add_f32_e32 v20, 0, v18
	v_and_b32_e32 v18, 0x7f800000, v20
	v_cmp_ne_u32_e64 s8, 0x7f800000, v18
                                        ; implicit-def: $vgpr18
	s_and_saveexec_b32 s12, s8
	s_xor_b32 s8, exec_lo, s12
; %bb.121:
	v_bfe_u32 v18, v20, 16, 1
	v_add3_u32 v18, v20, v18, 0x7fff
                                        ; implicit-def: $vgpr20
; %bb.122:
	s_andn2_saveexec_b32 s12, s8
; %bb.123:
	v_mov_b32_e32 v18, 0
	v_or_b32_e32 v21, 0x10000, v20
	v_cmp_eq_u32_sdwa s8, v20, v18 src0_sel:WORD_0 src1_sel:DWORD
	v_cndmask_b32_e64 v18, v21, v20, s8
; %bb.124:
	s_or_b32 exec_lo, exec_lo, s12
	v_cmp_lt_i32_e64 s8, -1, v17
	v_perm_b32 v17, v18, v17, 0x7060302
	v_mov_b32_e32 v52, v51
	v_cndmask_b32_e64 v20, -1, 0xffff8000, s8
	v_cmp_lt_i32_e64 s8, -1, v18
	v_cndmask_b32_e64 v21, -1, 0xffff8000, s8
	v_perm_b32 v18, v21, v20, 0x5040100
	v_xor_b32_e32 v20, v18, v17
	v_mov_b32_e32 v18, v9
	v_mov_b32_e32 v17, v8
	v_cmp_gt_u16_sdwa s12, v20, v20 src0_sel:DWORD src1_sel:WORD_1
	s_and_saveexec_b32 s8, s12
; %bb.125:
	v_mov_b32_e32 v17, v23
	v_mov_b32_e32 v18, v24
	;; [unrolled: 1-line block ×6, first 2 shown]
; %bb.126:
	s_or_b32 exec_lo, exec_lo, s8
	v_lshlrev_b32_e32 v8, 16, v49
	v_add_f32_e32 v9, 0, v8
	v_and_b32_e32 v8, 0x7f800000, v9
	v_cmp_ne_u32_e64 s8, 0x7f800000, v8
                                        ; implicit-def: $vgpr8
	s_and_saveexec_b32 s12, s8
	s_xor_b32 s8, exec_lo, s12
; %bb.127:
	v_bfe_u32 v8, v9, 16, 1
	v_add3_u32 v8, v9, v8, 0x7fff
                                        ; implicit-def: $vgpr9
; %bb.128:
	s_andn2_saveexec_b32 s12, s8
; %bb.129:
	v_mov_b32_e32 v8, 0
	v_or_b32_e32 v20, 0x10000, v9
	v_cmp_eq_u32_sdwa s8, v9, v8 src0_sel:WORD_0 src1_sel:DWORD
	v_cndmask_b32_e64 v8, v20, v9, s8
; %bb.130:
	s_or_b32 exec_lo, exec_lo, s12
	v_lshlrev_b32_e32 v9, 16, v38
	v_add_f32_e32 v20, 0, v9
	v_and_b32_e32 v9, 0x7f800000, v20
	v_cmp_ne_u32_e64 s8, 0x7f800000, v9
                                        ; implicit-def: $vgpr9
	s_and_saveexec_b32 s12, s8
	s_xor_b32 s8, exec_lo, s12
; %bb.131:
	v_bfe_u32 v9, v20, 16, 1
	v_add3_u32 v9, v20, v9, 0x7fff
                                        ; implicit-def: $vgpr20
; %bb.132:
	s_andn2_saveexec_b32 s12, s8
; %bb.133:
	v_mov_b32_e32 v9, 0
	v_or_b32_e32 v21, 0x10000, v20
	v_cmp_eq_u32_sdwa s8, v20, v9 src0_sel:WORD_0 src1_sel:DWORD
	v_cndmask_b32_e64 v9, v21, v20, s8
; %bb.134:
	s_or_b32 exec_lo, exec_lo, s12
	v_cmp_lt_i32_e64 s8, -1, v8
	v_perm_b32 v8, v9, v8, 0x7060302
	v_mov_b32_e32 v51, v49
	v_cndmask_b32_e64 v20, -1, 0xffff8000, s8
	v_cmp_lt_i32_e64 s8, -1, v9
	v_cndmask_b32_e64 v21, -1, 0xffff8000, s8
	v_perm_b32 v9, v21, v20, 0x5040100
	v_xor_b32_e32 v20, v9, v8
	v_mov_b32_e32 v8, v13
	v_mov_b32_e32 v9, v14
	v_cmp_gt_u16_sdwa s12, v20, v20 src0_sel:DWORD src1_sel:WORD_1
	s_and_saveexec_b32 s8, s12
; %bb.135:
	v_mov_b32_e32 v8, v15
	v_mov_b32_e32 v9, v16
	;; [unrolled: 1-line block ×6, first 2 shown]
; %bb.136:
	s_or_b32 exec_lo, exec_lo, s8
	v_lshlrev_b32_e32 v13, 16, v39
	v_add_f32_e32 v14, 0, v13
	v_and_b32_e32 v13, 0x7f800000, v14
	v_cmp_ne_u32_e64 s8, 0x7f800000, v13
                                        ; implicit-def: $vgpr13
	s_and_saveexec_b32 s12, s8
	s_xor_b32 s8, exec_lo, s12
; %bb.137:
	v_bfe_u32 v13, v14, 16, 1
	v_add3_u32 v13, v14, v13, 0x7fff
                                        ; implicit-def: $vgpr14
; %bb.138:
	s_andn2_saveexec_b32 s12, s8
; %bb.139:
	v_mov_b32_e32 v13, 0
	v_or_b32_e32 v20, 0x10000, v14
	v_cmp_eq_u32_sdwa s8, v14, v13 src0_sel:WORD_0 src1_sel:DWORD
	v_cndmask_b32_e64 v13, v20, v14, s8
; %bb.140:
	s_or_b32 exec_lo, exec_lo, s12
	v_lshlrev_b32_e32 v14, 16, v48
	v_add_f32_e32 v20, 0, v14
	v_and_b32_e32 v14, 0x7f800000, v20
	v_cmp_ne_u32_e64 s8, 0x7f800000, v14
                                        ; implicit-def: $vgpr14
	s_and_saveexec_b32 s12, s8
	s_xor_b32 s8, exec_lo, s12
; %bb.141:
	v_bfe_u32 v14, v20, 16, 1
	v_add3_u32 v14, v20, v14, 0x7fff
                                        ; implicit-def: $vgpr20
; %bb.142:
	s_andn2_saveexec_b32 s12, s8
; %bb.143:
	v_mov_b32_e32 v14, 0
	v_or_b32_e32 v21, 0x10000, v20
	v_cmp_eq_u32_sdwa s8, v20, v14 src0_sel:WORD_0 src1_sel:DWORD
	v_cndmask_b32_e64 v14, v21, v20, s8
; %bb.144:
	s_or_b32 exec_lo, exec_lo, s12
	v_cmp_lt_i32_e64 s8, -1, v13
	v_perm_b32 v13, v14, v13, 0x7060302
	v_mov_b32_e32 v30, v26
	v_mov_b32_e32 v49, v48
	;; [unrolled: 1-line block ×3, first 2 shown]
	v_cndmask_b32_e64 v20, -1, 0xffff8000, s8
	v_cmp_lt_i32_e64 s8, -1, v14
	v_cndmask_b32_e64 v21, -1, 0xffff8000, s8
	v_perm_b32 v14, v21, v20, 0x5040100
	v_xor_b32_e32 v13, v14, v13
	v_cmp_gt_u16_sdwa s12, v13, v13 src0_sel:DWORD src1_sel:WORD_1
	s_and_saveexec_b32 s8, s12
; %bb.145:
	v_mov_b32_e32 v29, v31
	v_mov_b32_e32 v30, v32
	;; [unrolled: 1-line block ×6, first 2 shown]
; %bb.146:
	s_or_b32 exec_lo, exec_lo, s8
	v_lshlrev_b32_e32 v13, 16, v19
	v_add_f32_e32 v14, 0, v13
	v_and_b32_e32 v13, 0x7f800000, v14
	v_cmp_ne_u32_e64 s8, 0x7f800000, v13
                                        ; implicit-def: $vgpr13
	s_and_saveexec_b32 s12, s8
	s_xor_b32 s8, exec_lo, s12
; %bb.147:
	v_bfe_u32 v13, v14, 16, 1
	v_add3_u32 v13, v14, v13, 0x7fff
                                        ; implicit-def: $vgpr14
; %bb.148:
	s_andn2_saveexec_b32 s12, s8
; %bb.149:
	v_mov_b32_e32 v13, 0
	v_or_b32_e32 v20, 0x10000, v14
	v_cmp_eq_u32_sdwa s8, v14, v13 src0_sel:WORD_0 src1_sel:DWORD
	v_cndmask_b32_e64 v13, v20, v14, s8
; %bb.150:
	s_or_b32 exec_lo, exec_lo, s12
	v_lshlrev_b32_e32 v14, 16, v52
	v_add_f32_e32 v20, 0, v14
	v_and_b32_e32 v14, 0x7f800000, v20
	v_cmp_ne_u32_e64 s8, 0x7f800000, v14
                                        ; implicit-def: $vgpr14
	s_and_saveexec_b32 s12, s8
	s_xor_b32 s8, exec_lo, s12
; %bb.151:
	v_bfe_u32 v14, v20, 16, 1
	v_add3_u32 v14, v20, v14, 0x7fff
                                        ; implicit-def: $vgpr20
; %bb.152:
	s_andn2_saveexec_b32 s12, s8
; %bb.153:
	v_mov_b32_e32 v14, 0
	v_or_b32_e32 v21, 0x10000, v20
	v_cmp_eq_u32_sdwa s8, v20, v14 src0_sel:WORD_0 src1_sel:DWORD
	v_cndmask_b32_e64 v14, v21, v20, s8
; %bb.154:
	s_or_b32 exec_lo, exec_lo, s12
	v_cmp_lt_i32_e64 s8, -1, v13
	v_perm_b32 v13, v14, v13, 0x7060302
	v_cndmask_b32_e64 v20, -1, 0xffff8000, s8
	v_cmp_lt_i32_e64 s8, -1, v14
	v_cndmask_b32_e64 v21, -1, 0xffff8000, s8
	v_perm_b32 v14, v21, v20, 0x5040100
	v_mov_b32_e32 v21, v23
	v_mov_b32_e32 v22, v24
	v_xor_b32_e32 v14, v14, v13
	v_mov_b32_e32 v13, v19
	v_cmp_gt_u16_sdwa s12, v14, v14 src0_sel:DWORD src1_sel:WORD_1
	s_and_saveexec_b32 s8, s12
; %bb.155:
	v_mov_b32_e32 v21, v27
	v_mov_b32_e32 v22, v28
	;; [unrolled: 1-line block ×6, first 2 shown]
; %bb.156:
	s_or_b32 exec_lo, exec_lo, s8
	v_lshlrev_b32_e32 v14, 16, v50
	v_add_f32_e32 v19, 0, v14
	v_and_b32_e32 v14, 0x7f800000, v19
	v_cmp_ne_u32_e64 s8, 0x7f800000, v14
                                        ; implicit-def: $vgpr14
	s_and_saveexec_b32 s12, s8
	s_xor_b32 s8, exec_lo, s12
; %bb.157:
	v_bfe_u32 v14, v19, 16, 1
	v_add3_u32 v14, v19, v14, 0x7fff
                                        ; implicit-def: $vgpr19
; %bb.158:
	s_andn2_saveexec_b32 s12, s8
; %bb.159:
	v_mov_b32_e32 v14, 0
	v_or_b32_e32 v20, 0x10000, v19
	v_cmp_eq_u32_sdwa s8, v19, v14 src0_sel:WORD_0 src1_sel:DWORD
	v_cndmask_b32_e64 v14, v20, v19, s8
; %bb.160:
	s_or_b32 exec_lo, exec_lo, s12
	v_lshlrev_b32_e32 v19, 16, v51
	v_add_f32_e32 v20, 0, v19
	v_and_b32_e32 v19, 0x7f800000, v20
	v_cmp_ne_u32_e64 s8, 0x7f800000, v19
                                        ; implicit-def: $vgpr19
	s_and_saveexec_b32 s12, s8
	s_xor_b32 s8, exec_lo, s12
; %bb.161:
	v_bfe_u32 v19, v20, 16, 1
	v_add3_u32 v19, v20, v19, 0x7fff
                                        ; implicit-def: $vgpr20
; %bb.162:
	s_andn2_saveexec_b32 s12, s8
; %bb.163:
	v_mov_b32_e32 v19, 0
	v_or_b32_e32 v23, 0x10000, v20
	v_cmp_eq_u32_sdwa s8, v20, v19 src0_sel:WORD_0 src1_sel:DWORD
	v_cndmask_b32_e64 v19, v23, v20, s8
; %bb.164:
	s_or_b32 exec_lo, exec_lo, s12
	v_cmp_lt_i32_e64 s8, -1, v14
	v_perm_b32 v14, v19, v14, 0x7060302
	v_mov_b32_e32 v48, v50
	v_cndmask_b32_e64 v20, -1, 0xffff8000, s8
	v_cmp_lt_i32_e64 s8, -1, v19
	v_cndmask_b32_e64 v23, -1, 0xffff8000, s8
	v_perm_b32 v19, v23, v20, 0x5040100
	v_xor_b32_e32 v14, v19, v14
	v_mov_b32_e32 v20, v16
	v_mov_b32_e32 v19, v15
	v_cmp_gt_u16_sdwa s12, v14, v14 src0_sel:DWORD src1_sel:WORD_1
	s_and_saveexec_b32 s8, s12
; %bb.165:
	v_mov_b32_e32 v20, v18
	v_mov_b32_e32 v19, v17
	;; [unrolled: 1-line block ×6, first 2 shown]
; %bb.166:
	s_or_b32 exec_lo, exec_lo, s8
	v_lshlrev_b32_e32 v14, 16, v37
	v_add_f32_e32 v15, 0, v14
	v_and_b32_e32 v14, 0x7f800000, v15
	v_cmp_ne_u32_e64 s8, 0x7f800000, v14
                                        ; implicit-def: $vgpr14
	s_and_saveexec_b32 s12, s8
	s_xor_b32 s8, exec_lo, s12
; %bb.167:
	v_bfe_u32 v14, v15, 16, 1
	v_add3_u32 v14, v15, v14, 0x7fff
                                        ; implicit-def: $vgpr15
; %bb.168:
	s_andn2_saveexec_b32 s12, s8
; %bb.169:
	v_mov_b32_e32 v14, 0
	v_or_b32_e32 v16, 0x10000, v15
	v_cmp_eq_u32_sdwa s8, v15, v14 src0_sel:WORD_0 src1_sel:DWORD
	v_cndmask_b32_e64 v14, v16, v15, s8
; %bb.170:
	s_or_b32 exec_lo, exec_lo, s12
	v_lshlrev_b32_e32 v15, 16, v39
	v_add_f32_e32 v16, 0, v15
	v_and_b32_e32 v15, 0x7f800000, v16
	v_cmp_ne_u32_e64 s8, 0x7f800000, v15
                                        ; implicit-def: $vgpr15
	s_and_saveexec_b32 s12, s8
	s_xor_b32 s8, exec_lo, s12
; %bb.171:
	v_bfe_u32 v15, v16, 16, 1
	v_add3_u32 v15, v16, v15, 0x7fff
                                        ; implicit-def: $vgpr16
; %bb.172:
	s_andn2_saveexec_b32 s12, s8
; %bb.173:
	v_mov_b32_e32 v15, 0
	v_or_b32_e32 v23, 0x10000, v16
	v_cmp_eq_u32_sdwa s8, v16, v15 src0_sel:WORD_0 src1_sel:DWORD
	v_cndmask_b32_e64 v15, v23, v16, s8
; %bb.174:
	s_or_b32 exec_lo, exec_lo, s12
	v_cmp_lt_i32_e64 s8, -1, v14
	v_perm_b32 v14, v15, v14, 0x7060302
	v_mov_b32_e32 v25, v31
	v_mov_b32_e32 v50, v39
	;; [unrolled: 1-line block ×3, first 2 shown]
	v_cndmask_b32_e64 v16, -1, 0xffff8000, s8
	v_cmp_lt_i32_e64 s8, -1, v15
	v_cndmask_b32_e64 v23, -1, 0xffff8000, s8
	v_perm_b32 v15, v23, v16, 0x5040100
	v_xor_b32_e32 v14, v15, v14
	v_cmp_gt_u16_sdwa s12, v14, v14 src0_sel:DWORD src1_sel:WORD_1
	s_and_saveexec_b32 s8, s12
; %bb.175:
	v_mov_b32_e32 v26, v5
	v_mov_b32_e32 v25, v4
	;; [unrolled: 1-line block ×6, first 2 shown]
; %bb.176:
	s_or_b32 exec_lo, exec_lo, s8
	v_lshlrev_b32_e32 v14, 16, v49
	v_add_f32_e32 v15, 0, v14
	v_and_b32_e32 v14, 0x7f800000, v15
	v_cmp_ne_u32_e64 s8, 0x7f800000, v14
                                        ; implicit-def: $vgpr14
	s_and_saveexec_b32 s12, s8
	s_xor_b32 s8, exec_lo, s12
; %bb.177:
	v_bfe_u32 v14, v15, 16, 1
	v_add3_u32 v14, v15, v14, 0x7fff
                                        ; implicit-def: $vgpr15
; %bb.178:
	s_andn2_saveexec_b32 s12, s8
; %bb.179:
	v_mov_b32_e32 v14, 0
	v_or_b32_e32 v16, 0x10000, v15
	v_cmp_eq_u32_sdwa s8, v15, v14 src0_sel:WORD_0 src1_sel:DWORD
	v_cndmask_b32_e64 v14, v16, v15, s8
; %bb.180:
	s_or_b32 exec_lo, exec_lo, s12
	v_lshlrev_b32_e32 v15, 16, v13
	v_add_f32_e32 v16, 0, v15
	v_and_b32_e32 v15, 0x7f800000, v16
	v_cmp_ne_u32_e64 s8, 0x7f800000, v15
                                        ; implicit-def: $vgpr15
	s_and_saveexec_b32 s12, s8
	s_xor_b32 s8, exec_lo, s12
; %bb.181:
	v_bfe_u32 v15, v16, 16, 1
	v_add3_u32 v15, v16, v15, 0x7fff
                                        ; implicit-def: $vgpr16
; %bb.182:
	s_andn2_saveexec_b32 s12, s8
; %bb.183:
	v_mov_b32_e32 v15, 0
	v_or_b32_e32 v23, 0x10000, v16
	v_cmp_eq_u32_sdwa s8, v16, v15 src0_sel:WORD_0 src1_sel:DWORD
	v_cndmask_b32_e64 v15, v23, v16, s8
; %bb.184:
	s_or_b32 exec_lo, exec_lo, s12
	v_cmp_lt_i32_e64 s8, -1, v14
	v_perm_b32 v14, v15, v14, 0x7060302
	v_mov_b32_e32 v32, v28
	v_mov_b32_e32 v39, v13
	;; [unrolled: 1-line block ×3, first 2 shown]
	v_cndmask_b32_e64 v16, -1, 0xffff8000, s8
	v_cmp_lt_i32_e64 s8, -1, v15
	v_cndmask_b32_e64 v23, -1, 0xffff8000, s8
	v_perm_b32 v15, v23, v16, 0x5040100
	v_xor_b32_e32 v14, v15, v14
	v_cmp_gt_u16_sdwa s12, v14, v14 src0_sel:DWORD src1_sel:WORD_1
	s_and_saveexec_b32 s8, s12
; %bb.185:
	v_mov_b32_e32 v32, v30
	v_mov_b32_e32 v31, v29
	;; [unrolled: 1-line block ×6, first 2 shown]
; %bb.186:
	s_or_b32 exec_lo, exec_lo, s8
	v_lshlrev_b32_e32 v13, 16, v52
	v_add_f32_e32 v14, 0, v13
	v_and_b32_e32 v13, 0x7f800000, v14
	v_cmp_ne_u32_e64 s8, 0x7f800000, v13
                                        ; implicit-def: $vgpr13
	s_and_saveexec_b32 s12, s8
	s_xor_b32 s8, exec_lo, s12
; %bb.187:
	v_bfe_u32 v13, v14, 16, 1
	v_add3_u32 v13, v14, v13, 0x7fff
                                        ; implicit-def: $vgpr14
; %bb.188:
	s_andn2_saveexec_b32 s12, s8
; %bb.189:
	v_mov_b32_e32 v13, 0
	v_or_b32_e32 v15, 0x10000, v14
	v_cmp_eq_u32_sdwa s8, v14, v13 src0_sel:WORD_0 src1_sel:DWORD
	v_cndmask_b32_e64 v13, v15, v14, s8
; %bb.190:
	s_or_b32 exec_lo, exec_lo, s12
	v_lshlrev_b32_e32 v14, 16, v48
	v_add_f32_e32 v15, 0, v14
	v_and_b32_e32 v14, 0x7f800000, v15
	v_cmp_ne_u32_e64 s8, 0x7f800000, v14
                                        ; implicit-def: $vgpr14
	s_and_saveexec_b32 s12, s8
	s_xor_b32 s8, exec_lo, s12
; %bb.191:
	v_bfe_u32 v14, v15, 16, 1
	v_add3_u32 v14, v15, v14, 0x7fff
                                        ; implicit-def: $vgpr15
; %bb.192:
	s_andn2_saveexec_b32 s12, s8
; %bb.193:
	v_mov_b32_e32 v14, 0
	v_or_b32_e32 v16, 0x10000, v15
	v_cmp_eq_u32_sdwa s8, v15, v14 src0_sel:WORD_0 src1_sel:DWORD
	v_cndmask_b32_e64 v14, v16, v15, s8
; %bb.194:
	s_or_b32 exec_lo, exec_lo, s12
	v_cmp_lt_i32_e64 s8, -1, v13
	v_perm_b32 v13, v14, v13, 0x7060302
	v_mov_b32_e32 v53, v52
	v_cndmask_b32_e64 v15, -1, 0xffff8000, s8
	v_cmp_lt_i32_e64 s8, -1, v14
	v_cndmask_b32_e64 v16, -1, 0xffff8000, s8
	v_perm_b32 v14, v16, v15, 0x5040100
	v_mov_b32_e32 v15, v17
	v_mov_b32_e32 v16, v18
	v_xor_b32_e32 v13, v14, v13
	v_cmp_gt_u16_sdwa s12, v13, v13 src0_sel:DWORD src1_sel:WORD_1
	s_and_saveexec_b32 s8, s12
; %bb.195:
	v_mov_b32_e32 v15, v21
	v_mov_b32_e32 v16, v22
	v_mov_b32_e32 v22, v18
	v_mov_b32_e32 v21, v17
	v_mov_b32_e32 v53, v48
	v_mov_b32_e32 v48, v52
; %bb.196:
	s_or_b32 exec_lo, exec_lo, s8
	v_lshlrev_b32_e32 v13, 16, v51
	v_add_f32_e32 v14, 0, v13
	v_and_b32_e32 v13, 0x7f800000, v14
	v_cmp_ne_u32_e64 s8, 0x7f800000, v13
                                        ; implicit-def: $vgpr13
	s_and_saveexec_b32 s12, s8
	s_xor_b32 s8, exec_lo, s12
; %bb.197:
	v_bfe_u32 v13, v14, 16, 1
	v_add3_u32 v13, v14, v13, 0x7fff
                                        ; implicit-def: $vgpr14
; %bb.198:
	s_andn2_saveexec_b32 s12, s8
; %bb.199:
	v_mov_b32_e32 v13, 0
	v_or_b32_e32 v17, 0x10000, v14
	v_cmp_eq_u32_sdwa s8, v14, v13 src0_sel:WORD_0 src1_sel:DWORD
	v_cndmask_b32_e64 v13, v17, v14, s8
; %bb.200:
	s_or_b32 exec_lo, exec_lo, s12
	v_lshlrev_b32_e32 v14, 16, v38
	v_add_f32_e32 v17, 0, v14
	v_and_b32_e32 v14, 0x7f800000, v17
	v_cmp_ne_u32_e64 s8, 0x7f800000, v14
                                        ; implicit-def: $vgpr14
	s_and_saveexec_b32 s12, s8
	s_xor_b32 s8, exec_lo, s12
; %bb.201:
	v_bfe_u32 v14, v17, 16, 1
	v_add3_u32 v14, v17, v14, 0x7fff
                                        ; implicit-def: $vgpr17
; %bb.202:
	s_andn2_saveexec_b32 s12, s8
; %bb.203:
	v_mov_b32_e32 v14, 0
	v_or_b32_e32 v18, 0x10000, v17
	v_cmp_eq_u32_sdwa s8, v17, v14 src0_sel:WORD_0 src1_sel:DWORD
	v_cndmask_b32_e64 v14, v18, v17, s8
; %bb.204:
	s_or_b32 exec_lo, exec_lo, s12
	v_cmp_lt_i32_e64 s8, -1, v13
	v_perm_b32 v13, v14, v13, 0x7060302
	v_mov_b32_e32 v52, v51
	v_cndmask_b32_e64 v17, -1, 0xffff8000, s8
	v_cmp_lt_i32_e64 s8, -1, v14
	v_cndmask_b32_e64 v18, -1, 0xffff8000, s8
	v_perm_b32 v14, v18, v17, 0x5040100
	v_xor_b32_e32 v17, v14, v13
	v_mov_b32_e32 v14, v9
	v_mov_b32_e32 v13, v8
	v_cmp_gt_u16_sdwa s12, v17, v17 src0_sel:DWORD src1_sel:WORD_1
	s_and_saveexec_b32 s8, s12
; %bb.205:
	v_mov_b32_e32 v13, v19
	v_mov_b32_e32 v14, v20
	v_mov_b32_e32 v20, v9
	v_mov_b32_e32 v19, v8
	v_mov_b32_e32 v52, v38
	v_mov_b32_e32 v38, v51
; %bb.206:
	s_or_b32 exec_lo, exec_lo, s8
	v_lshlrev_b32_e32 v8, 16, v50
	v_add_f32_e32 v9, 0, v8
	v_and_b32_e32 v8, 0x7f800000, v9
	v_cmp_ne_u32_e64 s8, 0x7f800000, v8
                                        ; implicit-def: $vgpr8
	s_and_saveexec_b32 s12, s8
	s_xor_b32 s8, exec_lo, s12
; %bb.207:
	v_bfe_u32 v8, v9, 16, 1
	v_add3_u32 v8, v9, v8, 0x7fff
                                        ; implicit-def: $vgpr9
; %bb.208:
	s_andn2_saveexec_b32 s12, s8
; %bb.209:
	v_mov_b32_e32 v8, 0
	v_or_b32_e32 v17, 0x10000, v9
	v_cmp_eq_u32_sdwa s8, v9, v8 src0_sel:WORD_0 src1_sel:DWORD
	v_cndmask_b32_e64 v8, v17, v9, s8
; %bb.210:
	s_or_b32 exec_lo, exec_lo, s12
	v_lshlrev_b32_e32 v9, 16, v49
	v_add_f32_e32 v17, 0, v9
	v_and_b32_e32 v9, 0x7f800000, v17
	v_cmp_ne_u32_e64 s8, 0x7f800000, v9
                                        ; implicit-def: $vgpr9
	s_and_saveexec_b32 s12, s8
	s_xor_b32 s8, exec_lo, s12
; %bb.211:
	v_bfe_u32 v9, v17, 16, 1
	v_add3_u32 v9, v17, v9, 0x7fff
                                        ; implicit-def: $vgpr17
; %bb.212:
	s_andn2_saveexec_b32 s12, s8
; %bb.213:
	v_mov_b32_e32 v9, 0
	v_or_b32_e32 v18, 0x10000, v17
	v_cmp_eq_u32_sdwa s8, v17, v9 src0_sel:WORD_0 src1_sel:DWORD
	v_cndmask_b32_e64 v9, v18, v17, s8
; %bb.214:
	s_or_b32 exec_lo, exec_lo, s12
	v_cmp_lt_i32_e64 s8, -1, v8
	v_perm_b32 v8, v9, v8, 0x7060302
	v_mov_b32_e32 v27, v29
	v_mov_b32_e32 v51, v49
	v_mov_b32_e32 v28, v30
	v_cndmask_b32_e64 v17, -1, 0xffff8000, s8
	v_cmp_lt_i32_e64 s8, -1, v9
	v_cndmask_b32_e64 v18, -1, 0xffff8000, s8
	v_perm_b32 v9, v18, v17, 0x5040100
	v_xor_b32_e32 v8, v9, v8
	v_cmp_gt_u16_sdwa s12, v8, v8 src0_sel:DWORD src1_sel:WORD_1
	s_and_saveexec_b32 s8, s12
; %bb.215:
	v_mov_b32_e32 v28, v26
	v_mov_b32_e32 v27, v25
	v_mov_b32_e32 v25, v29
	v_mov_b32_e32 v51, v50
	v_mov_b32_e32 v50, v49
	v_mov_b32_e32 v26, v30
; %bb.216:
	s_or_b32 exec_lo, exec_lo, s8
	v_lshlrev_b32_e32 v8, 16, v39
	v_add_f32_e32 v9, 0, v8
	v_and_b32_e32 v8, 0x7f800000, v9
	v_cmp_ne_u32_e64 s8, 0x7f800000, v8
                                        ; implicit-def: $vgpr8
	s_and_saveexec_b32 s12, s8
	s_xor_b32 s8, exec_lo, s12
; %bb.217:
	v_bfe_u32 v8, v9, 16, 1
	v_add3_u32 v8, v9, v8, 0x7fff
                                        ; implicit-def: $vgpr9
; %bb.218:
	s_andn2_saveexec_b32 s12, s8
; %bb.219:
	v_mov_b32_e32 v8, 0
	v_or_b32_e32 v17, 0x10000, v9
	v_cmp_eq_u32_sdwa s8, v9, v8 src0_sel:WORD_0 src1_sel:DWORD
	v_cndmask_b32_e64 v8, v17, v9, s8
; %bb.220:
	s_or_b32 exec_lo, exec_lo, s12
	v_lshlrev_b32_e32 v9, 16, v53
	v_add_f32_e32 v17, 0, v9
	v_and_b32_e32 v9, 0x7f800000, v17
	v_cmp_ne_u32_e64 s8, 0x7f800000, v9
                                        ; implicit-def: $vgpr9
	s_and_saveexec_b32 s12, s8
	s_xor_b32 s8, exec_lo, s12
; %bb.221:
	v_bfe_u32 v9, v17, 16, 1
	v_add3_u32 v9, v17, v9, 0x7fff
                                        ; implicit-def: $vgpr17
; %bb.222:
	s_andn2_saveexec_b32 s12, s8
; %bb.223:
	v_mov_b32_e32 v9, 0
	v_or_b32_e32 v18, 0x10000, v17
	v_cmp_eq_u32_sdwa s8, v17, v9 src0_sel:WORD_0 src1_sel:DWORD
	v_cndmask_b32_e64 v9, v18, v17, s8
; %bb.224:
	s_or_b32 exec_lo, exec_lo, s12
	v_cmp_lt_i32_e64 s8, -1, v8
	v_perm_b32 v8, v9, v8, 0x7060302
	v_mov_b32_e32 v24, v22
	v_mov_b32_e32 v29, v39
	v_mov_b32_e32 v23, v21
	v_cndmask_b32_e64 v17, -1, 0xffff8000, s8
	v_cmp_lt_i32_e64 s8, -1, v9
	v_cndmask_b32_e64 v18, -1, 0xffff8000, s8
	v_perm_b32 v9, v18, v17, 0x5040100
	v_xor_b32_e32 v8, v9, v8
	;; [unrolled: 61-line block ×3, first 2 shown]
	v_cmp_gt_u16_sdwa s12, v8, v8 src0_sel:DWORD src1_sel:WORD_1
	s_and_saveexec_b32 s8, s12
; %bb.235:
	v_mov_b32_e32 v22, v16
	v_mov_b32_e32 v21, v15
	;; [unrolled: 1-line block ×6, first 2 shown]
; %bb.236:
	s_or_b32 exec_lo, exec_lo, s8
	v_lshlrev_b32_e32 v8, 16, v37
	v_add_f32_e32 v9, 0, v8
	v_and_b32_e32 v8, 0x7f800000, v9
	v_cmp_ne_u32_e64 s8, 0x7f800000, v8
                                        ; implicit-def: $vgpr8
	s_and_saveexec_b32 s12, s8
	s_xor_b32 s8, exec_lo, s12
; %bb.237:
	v_bfe_u32 v8, v9, 16, 1
	v_add3_u32 v8, v9, v8, 0x7fff
                                        ; implicit-def: $vgpr9
; %bb.238:
	s_andn2_saveexec_b32 s12, s8
; %bb.239:
	v_mov_b32_e32 v8, 0
	v_or_b32_e32 v17, 0x10000, v9
	v_cmp_eq_u32_sdwa s8, v9, v8 src0_sel:WORD_0 src1_sel:DWORD
	v_cndmask_b32_e64 v8, v17, v9, s8
; %bb.240:
	s_or_b32 exec_lo, exec_lo, s12
	v_lshlrev_b32_e32 v9, 16, v50
	v_add_f32_e32 v17, 0, v9
	v_and_b32_e32 v9, 0x7f800000, v17
	v_cmp_ne_u32_e64 s8, 0x7f800000, v9
                                        ; implicit-def: $vgpr9
	s_and_saveexec_b32 s12, s8
	s_xor_b32 s8, exec_lo, s12
; %bb.241:
	v_bfe_u32 v9, v17, 16, 1
	v_add3_u32 v9, v17, v9, 0x7fff
                                        ; implicit-def: $vgpr17
; %bb.242:
	s_andn2_saveexec_b32 s12, s8
; %bb.243:
	v_mov_b32_e32 v9, 0
	v_or_b32_e32 v18, 0x10000, v17
	v_cmp_eq_u32_sdwa s8, v17, v9 src0_sel:WORD_0 src1_sel:DWORD
	v_cndmask_b32_e64 v9, v18, v17, s8
; %bb.244:
	s_or_b32 exec_lo, exec_lo, s12
	v_cmp_lt_i32_e64 s8, -1, v8
	v_perm_b32 v8, v9, v8, 0x7060302
	v_mov_b32_e32 v48, v50
	v_cndmask_b32_e64 v17, -1, 0xffff8000, s8
	v_cmp_lt_i32_e64 s8, -1, v9
	v_cndmask_b32_e64 v18, -1, 0xffff8000, s8
	v_perm_b32 v9, v18, v17, 0x5040100
	v_xor_b32_e32 v8, v9, v8
	v_cmp_gt_u16_sdwa s12, v8, v8 src0_sel:DWORD src1_sel:WORD_1
	v_mov_b32_e32 v8, v25
	v_mov_b32_e32 v9, v26
	s_and_saveexec_b32 s8, s12
; %bb.245:
	v_mov_b32_e32 v9, v5
	v_mov_b32_e32 v8, v4
	;; [unrolled: 1-line block ×6, first 2 shown]
; %bb.246:
	s_or_b32 exec_lo, exec_lo, s8
	v_lshlrev_b32_e32 v17, 16, v51
	v_add_f32_e32 v18, 0, v17
	v_and_b32_e32 v17, 0x7f800000, v18
	v_cmp_ne_u32_e64 s8, 0x7f800000, v17
                                        ; implicit-def: $vgpr17
	s_and_saveexec_b32 s12, s8
	s_xor_b32 s8, exec_lo, s12
; %bb.247:
	v_bfe_u32 v17, v18, 16, 1
	v_add3_u32 v17, v18, v17, 0x7fff
                                        ; implicit-def: $vgpr18
; %bb.248:
	s_andn2_saveexec_b32 s12, s8
; %bb.249:
	v_mov_b32_e32 v17, 0
	v_or_b32_e32 v19, 0x10000, v18
	v_cmp_eq_u32_sdwa s8, v18, v17 src0_sel:WORD_0 src1_sel:DWORD
	v_cndmask_b32_e64 v17, v19, v18, s8
; %bb.250:
	s_or_b32 exec_lo, exec_lo, s12
	v_lshlrev_b32_e32 v18, 16, v29
	v_add_f32_e32 v19, 0, v18
	v_and_b32_e32 v18, 0x7f800000, v19
	v_cmp_ne_u32_e64 s8, 0x7f800000, v18
                                        ; implicit-def: $vgpr18
	s_and_saveexec_b32 s12, s8
	s_xor_b32 s8, exec_lo, s12
; %bb.251:
	v_bfe_u32 v18, v19, 16, 1
	v_add3_u32 v18, v19, v18, 0x7fff
                                        ; implicit-def: $vgpr19
; %bb.252:
	s_andn2_saveexec_b32 s12, s8
; %bb.253:
	v_mov_b32_e32 v18, 0
	v_or_b32_e32 v20, 0x10000, v19
	v_cmp_eq_u32_sdwa s8, v19, v18 src0_sel:WORD_0 src1_sel:DWORD
	v_cndmask_b32_e64 v18, v20, v19, s8
; %bb.254:
	s_or_b32 exec_lo, exec_lo, s12
	v_cmp_lt_i32_e64 s8, -1, v17
	v_perm_b32 v17, v18, v17, 0x7060302
	v_mov_b32_e32 v50, v29
	v_cndmask_b32_e64 v19, -1, 0xffff8000, s8
	v_cmp_lt_i32_e64 s8, -1, v18
	v_cndmask_b32_e64 v20, -1, 0xffff8000, s8
	v_perm_b32 v18, v20, v19, 0x5040100
	v_xor_b32_e32 v17, v18, v17
	v_cmp_gt_u16_sdwa s12, v17, v17 src0_sel:DWORD src1_sel:WORD_1
	v_mov_b32_e32 v17, v31
	v_mov_b32_e32 v18, v32
	s_and_saveexec_b32 s8, s12
; %bb.255:
	v_mov_b32_e32 v17, v27
	v_mov_b32_e32 v18, v28
	;; [unrolled: 1-line block ×6, first 2 shown]
; %bb.256:
	s_or_b32 exec_lo, exec_lo, s8
	v_lshlrev_b32_e32 v19, 16, v53
	v_add_f32_e32 v20, 0, v19
	v_and_b32_e32 v19, 0x7f800000, v20
	v_cmp_ne_u32_e64 s8, 0x7f800000, v19
                                        ; implicit-def: $vgpr19
	s_and_saveexec_b32 s12, s8
	s_xor_b32 s8, exec_lo, s12
; %bb.257:
	v_bfe_u32 v19, v20, 16, 1
	v_add3_u32 v19, v20, v19, 0x7fff
                                        ; implicit-def: $vgpr20
; %bb.258:
	s_andn2_saveexec_b32 s12, s8
; %bb.259:
	v_mov_b32_e32 v19, 0
	v_or_b32_e32 v25, 0x10000, v20
	v_cmp_eq_u32_sdwa s8, v20, v19 src0_sel:WORD_0 src1_sel:DWORD
	v_cndmask_b32_e64 v19, v25, v20, s8
; %bb.260:
	s_or_b32 exec_lo, exec_lo, s12
	v_lshlrev_b32_e32 v20, 16, v39
	v_add_f32_e32 v25, 0, v20
	v_and_b32_e32 v20, 0x7f800000, v25
	v_cmp_ne_u32_e64 s8, 0x7f800000, v20
                                        ; implicit-def: $vgpr20
	s_and_saveexec_b32 s12, s8
	s_xor_b32 s8, exec_lo, s12
; %bb.261:
	v_bfe_u32 v20, v25, 16, 1
	v_add3_u32 v20, v25, v20, 0x7fff
                                        ; implicit-def: $vgpr25
; %bb.262:
	s_andn2_saveexec_b32 s12, s8
; %bb.263:
	v_mov_b32_e32 v20, 0
	v_or_b32_e32 v26, 0x10000, v25
	v_cmp_eq_u32_sdwa s8, v25, v20 src0_sel:WORD_0 src1_sel:DWORD
	v_cndmask_b32_e64 v20, v26, v25, s8
; %bb.264:
	s_or_b32 exec_lo, exec_lo, s12
	v_cmp_lt_i32_e64 s8, -1, v19
	v_perm_b32 v19, v20, v19, 0x7060302
	v_mov_b32_e32 v30, v16
	v_mov_b32_e32 v29, v15
	;; [unrolled: 1-line block ×3, first 2 shown]
	v_cndmask_b32_e64 v25, -1, 0xffff8000, s8
	v_cmp_lt_i32_e64 s8, -1, v20
	v_cndmask_b32_e64 v26, -1, 0xffff8000, s8
	v_perm_b32 v20, v26, v25, 0x5040100
	v_xor_b32_e32 v19, v20, v19
	v_cmp_gt_u16_sdwa s12, v19, v19 src0_sel:DWORD src1_sel:WORD_1
	s_and_saveexec_b32 s8, s12
; %bb.265:
	v_mov_b32_e32 v30, v24
	v_mov_b32_e32 v29, v23
	;; [unrolled: 1-line block ×6, first 2 shown]
; %bb.266:
	s_or_b32 exec_lo, exec_lo, s8
	v_lshlrev_b32_e32 v15, 16, v52
	v_add_f32_e32 v16, 0, v15
	v_and_b32_e32 v15, 0x7f800000, v16
	v_cmp_ne_u32_e64 s8, 0x7f800000, v15
                                        ; implicit-def: $vgpr15
	s_and_saveexec_b32 s12, s8
	s_xor_b32 s8, exec_lo, s12
; %bb.267:
	v_bfe_u32 v15, v16, 16, 1
	v_add3_u32 v15, v16, v15, 0x7fff
                                        ; implicit-def: $vgpr16
; %bb.268:
	s_andn2_saveexec_b32 s12, s8
; %bb.269:
	v_mov_b32_e32 v15, 0
	v_or_b32_e32 v19, 0x10000, v16
	v_cmp_eq_u32_sdwa s8, v16, v15 src0_sel:WORD_0 src1_sel:DWORD
	v_cndmask_b32_e64 v15, v19, v16, s8
; %bb.270:
	s_or_b32 exec_lo, exec_lo, s12
	v_lshlrev_b32_e32 v16, 16, v38
	v_add_f32_e32 v19, 0, v16
	v_and_b32_e32 v16, 0x7f800000, v19
	v_cmp_ne_u32_e64 s8, 0x7f800000, v16
                                        ; implicit-def: $vgpr16
	s_and_saveexec_b32 s12, s8
	s_xor_b32 s8, exec_lo, s12
; %bb.271:
	v_bfe_u32 v16, v19, 16, 1
	v_add3_u32 v16, v19, v16, 0x7fff
                                        ; implicit-def: $vgpr19
; %bb.272:
	s_andn2_saveexec_b32 s12, s8
; %bb.273:
	v_mov_b32_e32 v16, 0
	v_or_b32_e32 v20, 0x10000, v19
	v_cmp_eq_u32_sdwa s8, v19, v16 src0_sel:WORD_0 src1_sel:DWORD
	v_cndmask_b32_e64 v16, v20, v19, s8
; %bb.274:
	s_or_b32 exec_lo, exec_lo, s12
	v_cmp_lt_i32_e64 s8, -1, v15
	v_perm_b32 v15, v16, v15, 0x7060302
	v_mov_b32_e32 v26, v14
	v_mov_b32_e32 v25, v13
	;; [unrolled: 1-line block ×3, first 2 shown]
	v_cndmask_b32_e64 v19, -1, 0xffff8000, s8
	v_cmp_lt_i32_e64 s8, -1, v16
	v_cndmask_b32_e64 v20, -1, 0xffff8000, s8
	v_perm_b32 v16, v20, v19, 0x5040100
	v_xor_b32_e32 v15, v16, v15
	v_cmp_gt_u16_sdwa s12, v15, v15 src0_sel:DWORD src1_sel:WORD_1
	s_and_saveexec_b32 s8, s12
; %bb.275:
	v_mov_b32_e32 v26, v22
	v_mov_b32_e32 v25, v21
	;; [unrolled: 1-line block ×6, first 2 shown]
; %bb.276:
	s_or_b32 exec_lo, exec_lo, s8
	v_lshlrev_b32_e32 v13, 16, v48
	v_add_f32_e32 v14, 0, v13
	v_and_b32_e32 v13, 0x7f800000, v14
	v_cmp_ne_u32_e64 s8, 0x7f800000, v13
                                        ; implicit-def: $vgpr13
	s_and_saveexec_b32 s12, s8
	s_xor_b32 s8, exec_lo, s12
; %bb.277:
	v_bfe_u32 v13, v14, 16, 1
	v_add3_u32 v13, v14, v13, 0x7fff
                                        ; implicit-def: $vgpr14
; %bb.278:
	s_andn2_saveexec_b32 s12, s8
; %bb.279:
	v_mov_b32_e32 v13, 0
	v_or_b32_e32 v15, 0x10000, v14
	v_cmp_eq_u32_sdwa s8, v14, v13 src0_sel:WORD_0 src1_sel:DWORD
	v_cndmask_b32_e64 v13, v15, v14, s8
; %bb.280:
	s_or_b32 exec_lo, exec_lo, s12
	v_lshlrev_b32_e32 v14, 16, v51
	v_add_f32_e32 v15, 0, v14
	v_and_b32_e32 v14, 0x7f800000, v15
	v_cmp_ne_u32_e64 s8, 0x7f800000, v14
                                        ; implicit-def: $vgpr14
	s_and_saveexec_b32 s12, s8
	s_xor_b32 s8, exec_lo, s12
; %bb.281:
	v_bfe_u32 v14, v15, 16, 1
	v_add3_u32 v14, v15, v14, 0x7fff
                                        ; implicit-def: $vgpr15
; %bb.282:
	s_andn2_saveexec_b32 s12, s8
; %bb.283:
	v_mov_b32_e32 v14, 0
	v_or_b32_e32 v16, 0x10000, v15
	v_cmp_eq_u32_sdwa s8, v15, v14 src0_sel:WORD_0 src1_sel:DWORD
	v_cndmask_b32_e64 v14, v16, v15, s8
; %bb.284:
	s_or_b32 exec_lo, exec_lo, s12
	v_cmp_lt_i32_e64 s8, -1, v13
	v_perm_b32 v13, v14, v13, 0x7060302
	v_mov_b32_e32 v32, v51
	v_cndmask_b32_e64 v15, -1, 0xffff8000, s8
	v_cmp_lt_i32_e64 s8, -1, v14
	v_cndmask_b32_e64 v16, -1, 0xffff8000, s8
	v_perm_b32 v14, v16, v15, 0x5040100
	v_mov_b32_e32 v15, v27
	v_mov_b32_e32 v16, v28
	v_xor_b32_e32 v13, v14, v13
	v_cmp_gt_u16_sdwa s12, v13, v13 src0_sel:DWORD src1_sel:WORD_1
	s_and_saveexec_b32 s8, s12
; %bb.285:
	v_mov_b32_e32 v16, v9
	v_mov_b32_e32 v15, v8
	;; [unrolled: 1-line block ×6, first 2 shown]
; %bb.286:
	s_or_b32 exec_lo, exec_lo, s8
	v_lshlrev_b32_e32 v13, 16, v50
	v_add_f32_e32 v14, 0, v13
	v_and_b32_e32 v13, 0x7f800000, v14
	v_cmp_ne_u32_e64 s8, 0x7f800000, v13
                                        ; implicit-def: $vgpr13
	s_and_saveexec_b32 s12, s8
	s_xor_b32 s8, exec_lo, s12
; %bb.287:
	v_bfe_u32 v13, v14, 16, 1
	v_add3_u32 v13, v14, v13, 0x7fff
                                        ; implicit-def: $vgpr14
; %bb.288:
	s_andn2_saveexec_b32 s12, s8
; %bb.289:
	v_mov_b32_e32 v13, 0
	v_or_b32_e32 v19, 0x10000, v14
	v_cmp_eq_u32_sdwa s8, v14, v13 src0_sel:WORD_0 src1_sel:DWORD
	v_cndmask_b32_e64 v13, v19, v14, s8
; %bb.290:
	s_or_b32 exec_lo, exec_lo, s12
	v_lshlrev_b32_e32 v14, 16, v49
	v_add_f32_e32 v19, 0, v14
	v_and_b32_e32 v14, 0x7f800000, v19
	v_cmp_ne_u32_e64 s8, 0x7f800000, v14
                                        ; implicit-def: $vgpr14
	s_and_saveexec_b32 s12, s8
	s_xor_b32 s8, exec_lo, s12
; %bb.291:
	v_bfe_u32 v14, v19, 16, 1
	v_add3_u32 v14, v19, v14, 0x7fff
                                        ; implicit-def: $vgpr19
; %bb.292:
	s_andn2_saveexec_b32 s12, s8
; %bb.293:
	v_mov_b32_e32 v14, 0
	v_or_b32_e32 v20, 0x10000, v19
	v_cmp_eq_u32_sdwa s8, v19, v14 src0_sel:WORD_0 src1_sel:DWORD
	v_cndmask_b32_e64 v14, v20, v19, s8
; %bb.294:
	s_or_b32 exec_lo, exec_lo, s12
	v_cmp_lt_i32_e64 s8, -1, v13
	v_perm_b32 v13, v14, v13, 0x7060302
	v_mov_b32_e32 v51, v50
	v_cndmask_b32_e64 v19, -1, 0xffff8000, s8
	v_cmp_lt_i32_e64 s8, -1, v14
	v_cndmask_b32_e64 v20, -1, 0xffff8000, s8
	v_perm_b32 v14, v20, v19, 0x5040100
	v_mov_b32_e32 v19, v23
	v_mov_b32_e32 v20, v24
	v_xor_b32_e32 v13, v14, v13
	v_cmp_gt_u16_sdwa s12, v13, v13 src0_sel:DWORD src1_sel:WORD_1
	s_and_saveexec_b32 s8, s12
; %bb.295:
	v_mov_b32_e32 v20, v18
	v_mov_b32_e32 v19, v17
	;; [unrolled: 1-line block ×6, first 2 shown]
; %bb.296:
	s_or_b32 exec_lo, exec_lo, s8
	v_lshlrev_b32_e32 v13, 16, v39
	v_add_f32_e32 v14, 0, v13
	v_and_b32_e32 v13, 0x7f800000, v14
	v_cmp_ne_u32_e64 s8, 0x7f800000, v13
                                        ; implicit-def: $vgpr13
	s_and_saveexec_b32 s12, s8
	s_xor_b32 s8, exec_lo, s12
; %bb.297:
	v_bfe_u32 v13, v14, 16, 1
	v_add3_u32 v13, v14, v13, 0x7fff
                                        ; implicit-def: $vgpr14
; %bb.298:
	s_andn2_saveexec_b32 s12, s8
; %bb.299:
	v_mov_b32_e32 v13, 0
	v_or_b32_e32 v23, 0x10000, v14
	v_cmp_eq_u32_sdwa s8, v14, v13 src0_sel:WORD_0 src1_sel:DWORD
	v_cndmask_b32_e64 v13, v23, v14, s8
; %bb.300:
	s_or_b32 exec_lo, exec_lo, s12
	v_lshlrev_b32_e32 v14, 16, v31
	v_add_f32_e32 v23, 0, v14
	v_and_b32_e32 v14, 0x7f800000, v23
	v_cmp_ne_u32_e64 s8, 0x7f800000, v14
                                        ; implicit-def: $vgpr14
	s_and_saveexec_b32 s12, s8
	s_xor_b32 s8, exec_lo, s12
; %bb.301:
	v_bfe_u32 v14, v23, 16, 1
	v_add3_u32 v14, v23, v14, 0x7fff
                                        ; implicit-def: $vgpr23
; %bb.302:
	s_andn2_saveexec_b32 s12, s8
; %bb.303:
	v_mov_b32_e32 v14, 0
	v_or_b32_e32 v24, 0x10000, v23
	v_cmp_eq_u32_sdwa s8, v23, v14 src0_sel:WORD_0 src1_sel:DWORD
	v_cndmask_b32_e64 v14, v24, v23, s8
; %bb.304:
	s_or_b32 exec_lo, exec_lo, s12
	v_cmp_lt_i32_e64 s8, -1, v13
	v_perm_b32 v13, v14, v13, 0x7060302
	v_mov_b32_e32 v50, v31
	v_cndmask_b32_e64 v23, -1, 0xffff8000, s8
	v_cmp_lt_i32_e64 s8, -1, v14
	v_cndmask_b32_e64 v24, -1, 0xffff8000, s8
	v_perm_b32 v14, v24, v23, 0x5040100
	v_mov_b32_e32 v23, v29
	v_mov_b32_e32 v24, v30
	v_xor_b32_e32 v13, v14, v13
	v_cmp_gt_u16_sdwa s12, v13, v13 src0_sel:DWORD src1_sel:WORD_1
	s_and_saveexec_b32 s8, s12
; %bb.305:
	v_mov_b32_e32 v24, v22
	v_mov_b32_e32 v23, v21
	;; [unrolled: 1-line block ×6, first 2 shown]
; %bb.306:
	s_or_b32 exec_lo, exec_lo, s8
.LBB2057_307:
	s_or_b32 exec_lo, exec_lo, s9
	v_and_b32_e32 v13, 0xffffff00, v10
	v_or_b32_e32 v14, 8, v36
	v_and_b32_e32 v28, 8, v36
	v_and_b32_e32 v64, 0xf0, v36
	v_perm_b32 v68, v38, v50, 0x5040100
	v_sub_nc_u32_e64 v27, 0x800, v13 clamp
	v_lshlrev_b32_e32 v10, 1, v13
	v_perm_b32 v67, v39, v49, 0x5040100
	v_perm_b32 v70, v51, v32, 0x5040100
	;; [unrolled: 1-line block ×3, first 2 shown]
	v_min_u32_e32 v52, v27, v14
	v_mad_u64_u32 v[13:14], null, v13, 6, v[10:11]
	v_min_u32_e32 v65, v27, v28
	s_mov_b32 s9, exec_lo
	v_add_nc_u32_e32 v14, 8, v52
	v_sub_nc_u32_e32 v55, v52, v64
	v_lshl_add_u32 v30, v36, 3, v13
	v_min_u32_e32 v53, v27, v14
	v_lshl_or_b32 v14, v36, 1, v10
	v_min_u32_e32 v66, v65, v55
	v_lshl_or_b32 v55, v64, 1, v10
	v_add_nc_u32_e32 v31, 0x1000, v30
	v_sub_nc_u32_e32 v54, v53, v52
	v_add_nc_u32_e32 v28, 0x1010, v30
	v_add_nc_u32_e32 v29, 0x1020, v30
	;; [unrolled: 1-line block ×3, first 2 shown]
	ds_write2_b64 v31, v[4:5], v[8:9] offset1:1
	ds_write2_b64 v28, v[15:16], v[17:18] offset1:1
	v_sub_nc_u32_e64 v54, v65, v54 clamp
	ds_write2_b64 v29, v[19:20], v[23:24] offset1:1
	ds_write2_b64 v14, v[69:70], v[67:68] offset1:1
	;; [unrolled: 1-line block ×3, first 2 shown]
	; wave barrier
	v_cmpx_lt_u32_e64 v54, v66
	s_cbranch_execz .LBB2057_326
; %bb.308:
	v_lshlrev_b32_e32 v67, 1, v52
	v_lshlrev_b32_e32 v68, 1, v65
	s_mov_b32 s12, 0
	v_add3_u32 v67, v10, v67, v68
	v_mov_b32_e32 v68, 0
	s_branch .LBB2057_310
.LBB2057_309:                           ;   in Loop: Header=BB2057_310 Depth=1
	s_or_b32 exec_lo, exec_lo, s13
	v_cmp_lt_i32_e64 s8, -1, v70
	v_cndmask_b32_e64 v80, -1, 0xffff8000, s8
	v_cmp_lt_i32_e64 s8, -1, v71
	v_xor_b32_sdwa v70, v80, v70 dst_sel:DWORD dst_unused:UNUSED_PAD src0_sel:DWORD src1_sel:WORD_1
	v_cndmask_b32_e64 v81, -1, 0xffff8000, s8
	v_add_nc_u32_e32 v80, 1, v69
	v_xor_b32_sdwa v71, v81, v71 dst_sel:DWORD dst_unused:UNUSED_PAD src0_sel:DWORD src1_sel:WORD_1
	v_cmp_gt_u16_e64 s8, v70, v71
	v_cndmask_b32_e64 v66, v66, v69, s8
	v_cndmask_b32_e64 v54, v80, v54, s8
	v_cmp_ge_u32_e64 s8, v54, v66
	s_or_b32 s12, s8, s12
	s_andn2_b32 exec_lo, exec_lo, s12
	s_cbranch_execz .LBB2057_325
.LBB2057_310:                           ; =>This Inner Loop Header: Depth=1
	v_add_nc_u32_e32 v69, v66, v54
	v_and_b32_e32 v70, -2, v69
	v_lshrrev_b32_e32 v69, 1, v69
	v_add_nc_u32_e32 v70, v55, v70
	v_not_b32_e32 v71, v69
	ds_read_u16 v70, v70
	v_lshl_add_u32 v71, v71, 1, v67
	ds_read_u16 v71, v71
	s_waitcnt lgkmcnt(1)
	v_lshlrev_b32_e32 v70, 16, v70
	v_add_f32_e32 v80, 0, v70
	v_and_b32_e32 v70, 0x7f800000, v80
	v_cmp_ne_u32_e64 s8, 0x7f800000, v70
                                        ; implicit-def: $vgpr70
	s_and_saveexec_b32 s13, s8
	s_xor_b32 s8, exec_lo, s13
; %bb.311:                              ;   in Loop: Header=BB2057_310 Depth=1
	v_bfe_u32 v70, v80, 16, 1
	v_add3_u32 v70, v80, v70, 0x7fff
                                        ; implicit-def: $vgpr80
; %bb.312:                              ;   in Loop: Header=BB2057_310 Depth=1
	s_andn2_saveexec_b32 s13, s8
; %bb.313:                              ;   in Loop: Header=BB2057_310 Depth=1
	v_or_b32_e32 v70, 0x10000, v80
	v_cmp_eq_u32_sdwa s8, v80, v68 src0_sel:WORD_0 src1_sel:DWORD
	v_cndmask_b32_e64 v70, v70, v80, s8
; %bb.314:                              ;   in Loop: Header=BB2057_310 Depth=1
	s_or_b32 exec_lo, exec_lo, s13
	s_waitcnt lgkmcnt(0)
	v_lshlrev_b32_e32 v71, 16, v71
	v_add_f32_e32 v80, 0, v71
	v_and_b32_e32 v71, 0x7f800000, v80
	v_cmp_ne_u32_e64 s8, 0x7f800000, v71
                                        ; implicit-def: $vgpr71
	s_and_saveexec_b32 s13, s8
	s_xor_b32 s8, exec_lo, s13
; %bb.315:                              ;   in Loop: Header=BB2057_310 Depth=1
	v_bfe_u32 v71, v80, 16, 1
	v_add3_u32 v71, v80, v71, 0x7fff
                                        ; implicit-def: $vgpr80
; %bb.316:                              ;   in Loop: Header=BB2057_310 Depth=1
	s_andn2_saveexec_b32 s13, s8
	s_cbranch_execz .LBB2057_309
; %bb.317:                              ;   in Loop: Header=BB2057_310 Depth=1
	v_or_b32_e32 v71, 0x10000, v80
	v_cmp_eq_u32_sdwa s8, v80, v68 src0_sel:WORD_0 src1_sel:DWORD
	v_cndmask_b32_e64 v71, v71, v80, s8
	s_branch .LBB2057_309
.LBB2057_318:
	flat_load_dwordx2 v[4:5], v[13:14]
	s_or_b32 exec_lo, exec_lo, s15
	s_and_saveexec_b32 s15, s4
                                        ; implicit-def: $vgpr8_vgpr9
	s_cbranch_execz .LBB2057_18
.LBB2057_319:
	flat_load_dwordx2 v[8:9], v[13:14] offset:8
	s_or_b32 exec_lo, exec_lo, s15
                                        ; implicit-def: $vgpr15_vgpr16
	s_and_saveexec_b32 s15, s5
	s_cbranch_execz .LBB2057_19
.LBB2057_320:
	flat_load_dwordx2 v[15:16], v[13:14] offset:16
	s_or_b32 exec_lo, exec_lo, s15
	s_and_saveexec_b32 s15, s6
                                        ; implicit-def: $vgpr17_vgpr18
	s_cbranch_execz .LBB2057_20
.LBB2057_321:
	flat_load_dwordx2 v[17:18], v[13:14] offset:24
	s_or_b32 exec_lo, exec_lo, s15
                                        ; implicit-def: $vgpr19_vgpr20
	s_and_saveexec_b32 s15, s7
	s_cbranch_execz .LBB2057_21
.LBB2057_322:
	flat_load_dwordx2 v[19:20], v[13:14] offset:32
	s_or_b32 exec_lo, exec_lo, s15
	s_and_saveexec_b32 s15, s10
                                        ; implicit-def: $vgpr23_vgpr24
	s_cbranch_execz .LBB2057_22
.LBB2057_323:
	flat_load_dwordx2 v[23:24], v[13:14] offset:40
	s_or_b32 exec_lo, exec_lo, s15
                                        ; implicit-def: $vgpr21_vgpr22
	s_and_saveexec_b32 s15, s11
	s_cbranch_execz .LBB2057_23
.LBB2057_324:
	flat_load_dwordx2 v[21:22], v[13:14] offset:48
	s_or_b32 exec_lo, exec_lo, s15
	s_and_saveexec_b32 s15, s14
                                        ; implicit-def: $vgpr25_vgpr26
	s_cbranch_execnz .LBB2057_24
	s_branch .LBB2057_25
.LBB2057_325:
	s_or_b32 exec_lo, exec_lo, s12
.LBB2057_326:
	s_or_b32 exec_lo, exec_lo, s9
	v_add_nc_u32_e32 v65, v52, v65
	v_add_nc_u32_e32 v64, v54, v64
	v_sub_nc_u32_e32 v65, v65, v54
	v_cmp_le_u32_e64 s8, v64, v52
	v_cmp_le_u32_e64 s9, v65, v53
	s_or_b32 s8, s8, s9
	s_and_saveexec_b32 s12, s8
	s_cbranch_execz .LBB2057_426
; %bb.327:
	v_cmp_ge_u32_e64 s8, v64, v52
	s_mov_b32 s13, exec_lo
                                        ; implicit-def: $vgpr37
	v_cmpx_lt_u32_e64 v64, v52
; %bb.328:
	v_lshl_add_u32 v4, v54, 1, v55
	ds_read_u16 v37, v4
; %bb.329:
	s_or_b32 exec_lo, exec_lo, s13
	v_cmp_ge_u32_e64 s13, v65, v53
	s_mov_b32 s15, exec_lo
                                        ; implicit-def: $vgpr38
	v_cmpx_lt_u32_e64 v65, v53
; %bb.330:
	v_lshl_add_u32 v4, v65, 1, v10
	ds_read_u16 v38, v4
; %bb.331:
	s_or_b32 exec_lo, exec_lo, s15
	s_nor_b32 s8, s8, s13
	s_and_saveexec_b32 s9, s8
	s_cbranch_execz .LBB2057_341
; %bb.332:
	s_waitcnt lgkmcnt(0)
	v_lshlrev_b32_e32 v4, 16, v37
	v_add_f32_e32 v5, 0, v4
	v_and_b32_e32 v4, 0x7f800000, v5
	v_cmp_ne_u32_e64 s8, 0x7f800000, v4
                                        ; implicit-def: $vgpr4
	s_and_saveexec_b32 s15, s8
	s_xor_b32 s8, exec_lo, s15
; %bb.333:
	v_bfe_u32 v4, v5, 16, 1
	v_add3_u32 v4, v5, v4, 0x7fff
                                        ; implicit-def: $vgpr5
; %bb.334:
	s_andn2_saveexec_b32 s15, s8
; %bb.335:
	v_mov_b32_e32 v4, 0
	v_or_b32_e32 v8, 0x10000, v5
	v_cmp_eq_u32_sdwa s8, v5, v4 src0_sel:WORD_0 src1_sel:DWORD
	v_cndmask_b32_e64 v4, v8, v5, s8
; %bb.336:
	s_or_b32 exec_lo, exec_lo, s15
	v_lshlrev_b32_e32 v5, 16, v38
	v_add_f32_e32 v8, 0, v5
	v_and_b32_e32 v5, 0x7f800000, v8
	v_cmp_ne_u32_e64 s8, 0x7f800000, v5
                                        ; implicit-def: $vgpr5
	s_and_saveexec_b32 s15, s8
	s_xor_b32 s8, exec_lo, s15
; %bb.337:
	v_bfe_u32 v5, v8, 16, 1
	v_add3_u32 v5, v8, v5, 0x7fff
                                        ; implicit-def: $vgpr8
; %bb.338:
	s_andn2_saveexec_b32 s15, s8
; %bb.339:
	v_mov_b32_e32 v5, 0
	v_or_b32_e32 v9, 0x10000, v8
	v_cmp_eq_u32_sdwa s8, v8, v5 src0_sel:WORD_0 src1_sel:DWORD
	v_cndmask_b32_e64 v5, v9, v8, s8
; %bb.340:
	s_or_b32 exec_lo, exec_lo, s15
	v_cmp_lt_i32_e64 s8, -1, v4
	v_perm_b32 v4, v5, v4, 0x7060302
	s_andn2_b32 s13, s13, exec_lo
	v_cndmask_b32_e64 v8, -1, 0xffff8000, s8
	v_cmp_lt_i32_e64 s8, -1, v5
	v_cndmask_b32_e64 v9, -1, 0xffff8000, s8
	v_perm_b32 v5, v9, v8, 0x5040100
	v_xor_b32_e32 v4, v5, v4
	v_cmp_le_u16_sdwa s8, v4, v4 src0_sel:DWORD src1_sel:WORD_1
	s_and_b32 s8, s8, exec_lo
	s_or_b32 s13, s13, s8
.LBB2057_341:
	s_or_b32 exec_lo, exec_lo, s9
	v_cndmask_b32_e64 v4, v65, v64, s13
	v_cndmask_b32_e64 v5, v53, v52, s13
	s_mov_b32 s15, -1
	s_mov_b32 s9, -1
	s_mov_b32 s16, exec_lo
	v_add_nc_u32_e32 v8, 1, v4
	v_add_nc_u32_e32 v5, -1, v5
	v_lshl_add_u32 v4, v4, 3, v13
	v_cndmask_b32_e64 v15, v8, v65, s13
	v_min_u32_e32 v5, v8, v5
	v_cndmask_b32_e64 v16, v64, v8, s13
	v_lshl_add_u32 v5, v5, 1, v10
	ds_read_u16 v9, v5
	ds_read_b64 v[4:5], v4 offset:4096
	s_waitcnt lgkmcnt(1)
	v_cndmask_b32_e64 v48, v9, v38, s13
	v_cndmask_b32_e64 v54, v37, v9, s13
	v_cmpx_lt_u32_e64 v15, v53
	s_cbranch_execz .LBB2057_353
; %bb.342:
	s_mov_b32 s17, 0
	s_mov_b32 s9, exec_lo
	v_cmpx_lt_u32_e64 v16, v52
	s_cbranch_execz .LBB2057_352
; %bb.343:
	v_lshlrev_b32_e32 v8, 16, v54
	v_add_f32_e32 v9, 0, v8
	v_and_b32_e32 v8, 0x7f800000, v9
	v_cmp_ne_u32_e64 s8, 0x7f800000, v8
                                        ; implicit-def: $vgpr8
	s_and_saveexec_b32 s17, s8
	s_xor_b32 s8, exec_lo, s17
; %bb.344:
	v_bfe_u32 v8, v9, 16, 1
	v_add3_u32 v8, v9, v8, 0x7fff
                                        ; implicit-def: $vgpr9
; %bb.345:
	s_andn2_saveexec_b32 s17, s8
; %bb.346:
	v_mov_b32_e32 v8, 0
	v_or_b32_e32 v17, 0x10000, v9
	v_cmp_eq_u32_sdwa s8, v9, v8 src0_sel:WORD_0 src1_sel:DWORD
	v_cndmask_b32_e64 v8, v17, v9, s8
; %bb.347:
	s_or_b32 exec_lo, exec_lo, s17
	v_lshlrev_b32_e32 v9, 16, v48
	v_add_f32_e32 v17, 0, v9
	v_and_b32_e32 v9, 0x7f800000, v17
	v_cmp_ne_u32_e64 s8, 0x7f800000, v9
                                        ; implicit-def: $vgpr9
	s_and_saveexec_b32 s17, s8
	s_xor_b32 s8, exec_lo, s17
; %bb.348:
	v_bfe_u32 v9, v17, 16, 1
	v_add3_u32 v9, v17, v9, 0x7fff
                                        ; implicit-def: $vgpr17
; %bb.349:
	s_andn2_saveexec_b32 s17, s8
; %bb.350:
	v_mov_b32_e32 v9, 0
	v_or_b32_e32 v18, 0x10000, v17
	v_cmp_eq_u32_sdwa s8, v17, v9 src0_sel:WORD_0 src1_sel:DWORD
	v_cndmask_b32_e64 v9, v18, v17, s8
; %bb.351:
	s_or_b32 exec_lo, exec_lo, s17
	v_cmp_lt_i32_e64 s8, -1, v8
	v_perm_b32 v8, v9, v8, 0x7060302
	v_cndmask_b32_e64 v17, -1, 0xffff8000, s8
	v_cmp_lt_i32_e64 s8, -1, v9
	v_cndmask_b32_e64 v18, -1, 0xffff8000, s8
	v_perm_b32 v9, v18, v17, 0x5040100
	v_xor_b32_e32 v8, v9, v8
	v_cmp_le_u16_sdwa s8, v8, v8 src0_sel:DWORD src1_sel:WORD_1
	s_and_b32 s17, s8, exec_lo
.LBB2057_352:
	s_or_b32 exec_lo, exec_lo, s9
	s_orn2_b32 s9, s17, exec_lo
.LBB2057_353:
	s_or_b32 exec_lo, exec_lo, s16
	v_cndmask_b32_e64 v8, v15, v16, s9
	v_cndmask_b32_e64 v9, v53, v52, s9
	s_mov_b32 s16, exec_lo
	v_add_nc_u32_e32 v18, 1, v8
	v_add_nc_u32_e32 v9, -1, v9
	v_lshl_add_u32 v8, v8, 3, v13
	v_cndmask_b32_e64 v17, v18, v15, s9
	v_min_u32_e32 v9, v18, v9
	v_cndmask_b32_e64 v18, v16, v18, s9
	v_lshl_add_u32 v9, v9, 1, v10
	ds_read_u16 v19, v9
	ds_read_b64 v[8:9], v8 offset:4096
	s_waitcnt lgkmcnt(1)
	v_cndmask_b32_e64 v32, v19, v48, s9
	v_cndmask_b32_e64 v55, v54, v19, s9
	v_cmpx_lt_u32_e64 v17, v53
	s_cbranch_execz .LBB2057_365
; %bb.354:
	s_mov_b32 s17, 0
	s_mov_b32 s15, exec_lo
	v_cmpx_lt_u32_e64 v18, v52
	s_cbranch_execz .LBB2057_364
; %bb.355:
	v_lshlrev_b32_e32 v15, 16, v55
	v_add_f32_e32 v16, 0, v15
	v_and_b32_e32 v15, 0x7f800000, v16
	v_cmp_ne_u32_e64 s8, 0x7f800000, v15
                                        ; implicit-def: $vgpr15
	s_and_saveexec_b32 s17, s8
	s_xor_b32 s8, exec_lo, s17
; %bb.356:
	v_bfe_u32 v15, v16, 16, 1
	v_add3_u32 v15, v16, v15, 0x7fff
                                        ; implicit-def: $vgpr16
; %bb.357:
	s_andn2_saveexec_b32 s17, s8
; %bb.358:
	v_mov_b32_e32 v15, 0
	v_or_b32_e32 v19, 0x10000, v16
	v_cmp_eq_u32_sdwa s8, v16, v15 src0_sel:WORD_0 src1_sel:DWORD
	v_cndmask_b32_e64 v15, v19, v16, s8
; %bb.359:
	s_or_b32 exec_lo, exec_lo, s17
	v_lshlrev_b32_e32 v16, 16, v32
	v_add_f32_e32 v19, 0, v16
	v_and_b32_e32 v16, 0x7f800000, v19
	v_cmp_ne_u32_e64 s8, 0x7f800000, v16
                                        ; implicit-def: $vgpr16
	s_and_saveexec_b32 s17, s8
	s_xor_b32 s8, exec_lo, s17
; %bb.360:
	v_bfe_u32 v16, v19, 16, 1
	v_add3_u32 v16, v19, v16, 0x7fff
                                        ; implicit-def: $vgpr19
; %bb.361:
	s_andn2_saveexec_b32 s17, s8
; %bb.362:
	v_mov_b32_e32 v16, 0
	v_or_b32_e32 v20, 0x10000, v19
	v_cmp_eq_u32_sdwa s8, v19, v16 src0_sel:WORD_0 src1_sel:DWORD
	v_cndmask_b32_e64 v16, v20, v19, s8
; %bb.363:
	s_or_b32 exec_lo, exec_lo, s17
	v_cmp_lt_i32_e64 s8, -1, v15
	v_perm_b32 v15, v16, v15, 0x7060302
	v_cndmask_b32_e64 v19, -1, 0xffff8000, s8
	v_cmp_lt_i32_e64 s8, -1, v16
	v_cndmask_b32_e64 v20, -1, 0xffff8000, s8
	v_perm_b32 v16, v20, v19, 0x5040100
	v_xor_b32_e32 v15, v16, v15
	v_cmp_le_u16_sdwa s8, v15, v15 src0_sel:DWORD src1_sel:WORD_1
	s_and_b32 s17, s8, exec_lo
.LBB2057_364:
	s_or_b32 exec_lo, exec_lo, s15
	s_orn2_b32 s15, s17, exec_lo
.LBB2057_365:
	s_or_b32 exec_lo, exec_lo, s16
	v_cndmask_b32_e64 v15, v17, v18, s15
	v_cndmask_b32_e64 v16, v53, v52, s15
	s_mov_b32 s17, -1
	s_mov_b32 s16, -1
	s_mov_b32 s18, exec_lo
	v_add_nc_u32_e32 v20, 1, v15
	v_add_nc_u32_e32 v16, -1, v16
	v_lshl_add_u32 v15, v15, 3, v13
	v_cndmask_b32_e64 v19, v20, v17, s15
	v_min_u32_e32 v16, v20, v16
	v_cndmask_b32_e64 v20, v18, v20, s15
	v_lshl_add_u32 v16, v16, 1, v10
	ds_read_u16 v21, v16
	ds_read_b64 v[15:16], v15 offset:4096
	s_waitcnt lgkmcnt(1)
	v_cndmask_b32_e64 v51, v21, v32, s15
	v_cndmask_b32_e64 v64, v55, v21, s15
	v_cmpx_lt_u32_e64 v19, v53
	s_cbranch_execz .LBB2057_377
; %bb.366:
	s_mov_b32 s19, 0
	s_mov_b32 s16, exec_lo
	v_cmpx_lt_u32_e64 v20, v52
	s_cbranch_execz .LBB2057_376
; %bb.367:
	v_lshlrev_b32_e32 v17, 16, v64
	v_add_f32_e32 v18, 0, v17
	v_and_b32_e32 v17, 0x7f800000, v18
	v_cmp_ne_u32_e64 s8, 0x7f800000, v17
                                        ; implicit-def: $vgpr17
	s_and_saveexec_b32 s19, s8
	s_xor_b32 s8, exec_lo, s19
; %bb.368:
	v_bfe_u32 v17, v18, 16, 1
	v_add3_u32 v17, v18, v17, 0x7fff
                                        ; implicit-def: $vgpr18
; %bb.369:
	s_andn2_saveexec_b32 s19, s8
; %bb.370:
	v_mov_b32_e32 v17, 0
	v_or_b32_e32 v21, 0x10000, v18
	v_cmp_eq_u32_sdwa s8, v18, v17 src0_sel:WORD_0 src1_sel:DWORD
	v_cndmask_b32_e64 v17, v21, v18, s8
; %bb.371:
	s_or_b32 exec_lo, exec_lo, s19
	v_lshlrev_b32_e32 v18, 16, v51
	v_add_f32_e32 v21, 0, v18
	v_and_b32_e32 v18, 0x7f800000, v21
	v_cmp_ne_u32_e64 s8, 0x7f800000, v18
                                        ; implicit-def: $vgpr18
	s_and_saveexec_b32 s19, s8
	s_xor_b32 s8, exec_lo, s19
; %bb.372:
	v_bfe_u32 v18, v21, 16, 1
	v_add3_u32 v18, v21, v18, 0x7fff
                                        ; implicit-def: $vgpr21
; %bb.373:
	s_andn2_saveexec_b32 s19, s8
; %bb.374:
	v_mov_b32_e32 v18, 0
	v_or_b32_e32 v22, 0x10000, v21
	v_cmp_eq_u32_sdwa s8, v21, v18 src0_sel:WORD_0 src1_sel:DWORD
	v_cndmask_b32_e64 v18, v22, v21, s8
; %bb.375:
	s_or_b32 exec_lo, exec_lo, s19
	v_cmp_lt_i32_e64 s8, -1, v17
	v_perm_b32 v17, v18, v17, 0x7060302
	v_cndmask_b32_e64 v21, -1, 0xffff8000, s8
	v_cmp_lt_i32_e64 s8, -1, v18
	v_cndmask_b32_e64 v22, -1, 0xffff8000, s8
	v_perm_b32 v18, v22, v21, 0x5040100
	v_xor_b32_e32 v17, v18, v17
	v_cmp_le_u16_sdwa s8, v17, v17 src0_sel:DWORD src1_sel:WORD_1
	s_and_b32 s19, s8, exec_lo
.LBB2057_376:
	s_or_b32 exec_lo, exec_lo, s16
	s_orn2_b32 s16, s19, exec_lo
.LBB2057_377:
	s_or_b32 exec_lo, exec_lo, s18
	v_cndmask_b32_e64 v17, v19, v20, s16
	v_cndmask_b32_e64 v18, v53, v52, s16
	s_mov_b32 s18, exec_lo
	v_add_nc_u32_e32 v22, 1, v17
	v_add_nc_u32_e32 v18, -1, v18
	v_lshl_add_u32 v17, v17, 3, v13
	v_cndmask_b32_e64 v21, v22, v19, s16
	v_min_u32_e32 v18, v22, v18
	v_cndmask_b32_e64 v22, v20, v22, s16
	v_lshl_add_u32 v18, v18, 1, v10
	ds_read_u16 v23, v18
	ds_read_b64 v[17:18], v17 offset:4096
	s_waitcnt lgkmcnt(1)
	v_cndmask_b32_e64 v49, v23, v51, s16
	v_cndmask_b32_e64 v65, v64, v23, s16
	v_cmpx_lt_u32_e64 v21, v53
	s_cbranch_execz .LBB2057_389
; %bb.378:
	s_mov_b32 s19, 0
	s_mov_b32 s17, exec_lo
	v_cmpx_lt_u32_e64 v22, v52
	s_cbranch_execz .LBB2057_388
; %bb.379:
	v_lshlrev_b32_e32 v19, 16, v65
	v_add_f32_e32 v20, 0, v19
	v_and_b32_e32 v19, 0x7f800000, v20
	v_cmp_ne_u32_e64 s8, 0x7f800000, v19
                                        ; implicit-def: $vgpr19
	s_and_saveexec_b32 s19, s8
	s_xor_b32 s8, exec_lo, s19
; %bb.380:
	v_bfe_u32 v19, v20, 16, 1
	v_add3_u32 v19, v20, v19, 0x7fff
                                        ; implicit-def: $vgpr20
; %bb.381:
	s_andn2_saveexec_b32 s19, s8
; %bb.382:
	v_mov_b32_e32 v19, 0
	v_or_b32_e32 v23, 0x10000, v20
	v_cmp_eq_u32_sdwa s8, v20, v19 src0_sel:WORD_0 src1_sel:DWORD
	v_cndmask_b32_e64 v19, v23, v20, s8
; %bb.383:
	s_or_b32 exec_lo, exec_lo, s19
	v_lshlrev_b32_e32 v20, 16, v49
	v_add_f32_e32 v23, 0, v20
	v_and_b32_e32 v20, 0x7f800000, v23
	v_cmp_ne_u32_e64 s8, 0x7f800000, v20
                                        ; implicit-def: $vgpr20
	s_and_saveexec_b32 s19, s8
	s_xor_b32 s8, exec_lo, s19
; %bb.384:
	v_bfe_u32 v20, v23, 16, 1
	v_add3_u32 v20, v23, v20, 0x7fff
                                        ; implicit-def: $vgpr23
; %bb.385:
	s_andn2_saveexec_b32 s19, s8
; %bb.386:
	v_mov_b32_e32 v20, 0
	v_or_b32_e32 v24, 0x10000, v23
	v_cmp_eq_u32_sdwa s8, v23, v20 src0_sel:WORD_0 src1_sel:DWORD
	v_cndmask_b32_e64 v20, v24, v23, s8
; %bb.387:
	s_or_b32 exec_lo, exec_lo, s19
	v_cmp_lt_i32_e64 s8, -1, v19
	v_perm_b32 v19, v20, v19, 0x7060302
	v_cndmask_b32_e64 v23, -1, 0xffff8000, s8
	v_cmp_lt_i32_e64 s8, -1, v20
	v_cndmask_b32_e64 v24, -1, 0xffff8000, s8
	v_perm_b32 v20, v24, v23, 0x5040100
	v_xor_b32_e32 v19, v20, v19
	v_cmp_le_u16_sdwa s8, v19, v19 src0_sel:DWORD src1_sel:WORD_1
	s_and_b32 s19, s8, exec_lo
.LBB2057_388:
	s_or_b32 exec_lo, exec_lo, s17
	s_orn2_b32 s17, s19, exec_lo
.LBB2057_389:
	s_or_b32 exec_lo, exec_lo, s18
	v_cndmask_b32_e64 v19, v21, v22, s17
	v_cndmask_b32_e64 v20, v53, v52, s17
	s_mov_b32 s19, -1
	s_mov_b32 s18, -1
	s_mov_b32 s20, exec_lo
	v_add_nc_u32_e32 v23, 1, v19
	v_add_nc_u32_e32 v20, -1, v20
	v_lshl_add_u32 v19, v19, 3, v13
	v_cndmask_b32_e64 v21, v23, v21, s17
	v_min_u32_e32 v20, v23, v20
	v_cndmask_b32_e64 v22, v22, v23, s17
	v_lshl_add_u32 v20, v20, 1, v10
	ds_read_u16 v24, v20
	ds_read_b64 v[19:20], v19 offset:4096
	s_waitcnt lgkmcnt(1)
	v_cndmask_b32_e64 v39, v24, v49, s17
	v_cndmask_b32_e64 v66, v65, v24, s17
	v_cmpx_lt_u32_e64 v21, v53
	s_cbranch_execz .LBB2057_401
; %bb.390:
	s_mov_b32 s21, 0
	s_mov_b32 s18, exec_lo
	v_cmpx_lt_u32_e64 v22, v52
	s_cbranch_execz .LBB2057_400
; %bb.391:
	v_lshlrev_b32_e32 v23, 16, v66
	v_add_f32_e32 v24, 0, v23
	v_and_b32_e32 v23, 0x7f800000, v24
	v_cmp_ne_u32_e64 s8, 0x7f800000, v23
                                        ; implicit-def: $vgpr23
	s_and_saveexec_b32 s21, s8
	s_xor_b32 s8, exec_lo, s21
; %bb.392:
	v_bfe_u32 v23, v24, 16, 1
	v_add3_u32 v23, v24, v23, 0x7fff
                                        ; implicit-def: $vgpr24
; %bb.393:
	s_andn2_saveexec_b32 s21, s8
; %bb.394:
	v_mov_b32_e32 v23, 0
	v_or_b32_e32 v25, 0x10000, v24
	v_cmp_eq_u32_sdwa s8, v24, v23 src0_sel:WORD_0 src1_sel:DWORD
	v_cndmask_b32_e64 v23, v25, v24, s8
; %bb.395:
	s_or_b32 exec_lo, exec_lo, s21
	v_lshlrev_b32_e32 v24, 16, v39
	v_add_f32_e32 v25, 0, v24
	v_and_b32_e32 v24, 0x7f800000, v25
	v_cmp_ne_u32_e64 s8, 0x7f800000, v24
                                        ; implicit-def: $vgpr24
	s_and_saveexec_b32 s21, s8
	s_xor_b32 s8, exec_lo, s21
; %bb.396:
	v_bfe_u32 v24, v25, 16, 1
	v_add3_u32 v24, v25, v24, 0x7fff
                                        ; implicit-def: $vgpr25
; %bb.397:
	s_andn2_saveexec_b32 s21, s8
; %bb.398:
	v_mov_b32_e32 v24, 0
	v_or_b32_e32 v26, 0x10000, v25
	v_cmp_eq_u32_sdwa s8, v25, v24 src0_sel:WORD_0 src1_sel:DWORD
	v_cndmask_b32_e64 v24, v26, v25, s8
; %bb.399:
	s_or_b32 exec_lo, exec_lo, s21
	v_cmp_lt_i32_e64 s8, -1, v23
	v_perm_b32 v23, v24, v23, 0x7060302
	v_cndmask_b32_e64 v25, -1, 0xffff8000, s8
	v_cmp_lt_i32_e64 s8, -1, v24
	v_cndmask_b32_e64 v26, -1, 0xffff8000, s8
	v_perm_b32 v24, v26, v25, 0x5040100
	v_xor_b32_e32 v23, v24, v23
	v_cmp_le_u16_sdwa s8, v23, v23 src0_sel:DWORD src1_sel:WORD_1
	s_and_b32 s21, s8, exec_lo
.LBB2057_400:
	s_or_b32 exec_lo, exec_lo, s18
	s_orn2_b32 s18, s21, exec_lo
.LBB2057_401:
	s_or_b32 exec_lo, exec_lo, s20
	v_cndmask_b32_e64 v23, v21, v22, s18
	v_cndmask_b32_e64 v24, v53, v52, s18
	s_mov_b32 s20, exec_lo
	v_add_nc_u32_e32 v26, 1, v23
	v_add_nc_u32_e32 v24, -1, v24
	v_lshl_add_u32 v23, v23, 3, v13
	v_cndmask_b32_e64 v25, v26, v21, s18
	v_min_u32_e32 v24, v26, v24
	v_cndmask_b32_e64 v26, v22, v26, s18
	v_lshl_add_u32 v24, v24, 1, v10
	ds_read_u16 v67, v24
	ds_read_b64 v[23:24], v23 offset:4096
	s_waitcnt lgkmcnt(1)
	v_cndmask_b32_e64 v50, v67, v39, s18
	v_cndmask_b32_e64 v67, v66, v67, s18
	v_cmpx_lt_u32_e64 v25, v53
	s_cbranch_execz .LBB2057_413
; %bb.402:
	s_mov_b32 s21, 0
	s_mov_b32 s19, exec_lo
	v_cmpx_lt_u32_e64 v26, v52
	s_cbranch_execz .LBB2057_412
; %bb.403:
	v_lshlrev_b32_e32 v21, 16, v67
	v_add_f32_e32 v22, 0, v21
	v_and_b32_e32 v21, 0x7f800000, v22
	v_cmp_ne_u32_e64 s8, 0x7f800000, v21
                                        ; implicit-def: $vgpr21
	s_and_saveexec_b32 s21, s8
	s_xor_b32 s8, exec_lo, s21
; %bb.404:
	v_bfe_u32 v21, v22, 16, 1
	v_add3_u32 v21, v22, v21, 0x7fff
                                        ; implicit-def: $vgpr22
; %bb.405:
	s_andn2_saveexec_b32 s21, s8
; %bb.406:
	v_mov_b32_e32 v21, 0
	v_or_b32_e32 v68, 0x10000, v22
	v_cmp_eq_u32_sdwa s8, v22, v21 src0_sel:WORD_0 src1_sel:DWORD
	v_cndmask_b32_e64 v21, v68, v22, s8
; %bb.407:
	s_or_b32 exec_lo, exec_lo, s21
	v_lshlrev_b32_e32 v22, 16, v50
	v_add_f32_e32 v68, 0, v22
	v_and_b32_e32 v22, 0x7f800000, v68
	v_cmp_ne_u32_e64 s8, 0x7f800000, v22
                                        ; implicit-def: $vgpr22
	s_and_saveexec_b32 s21, s8
	s_xor_b32 s8, exec_lo, s21
; %bb.408:
	v_bfe_u32 v22, v68, 16, 1
	v_add3_u32 v22, v68, v22, 0x7fff
                                        ; implicit-def: $vgpr68
; %bb.409:
	s_andn2_saveexec_b32 s21, s8
; %bb.410:
	v_mov_b32_e32 v22, 0
	v_or_b32_e32 v69, 0x10000, v68
	v_cmp_eq_u32_sdwa s8, v68, v22 src0_sel:WORD_0 src1_sel:DWORD
	v_cndmask_b32_e64 v22, v69, v68, s8
; %bb.411:
	s_or_b32 exec_lo, exec_lo, s21
	v_cmp_lt_i32_e64 s8, -1, v21
	v_perm_b32 v21, v22, v21, 0x7060302
	v_cndmask_b32_e64 v68, -1, 0xffff8000, s8
	v_cmp_lt_i32_e64 s8, -1, v22
	v_cndmask_b32_e64 v69, -1, 0xffff8000, s8
	v_perm_b32 v22, v69, v68, 0x5040100
	v_xor_b32_e32 v21, v22, v21
	v_cmp_le_u16_sdwa s8, v21, v21 src0_sel:DWORD src1_sel:WORD_1
	s_and_b32 s21, s8, exec_lo
.LBB2057_412:
	s_or_b32 exec_lo, exec_lo, s19
	s_orn2_b32 s19, s21, exec_lo
.LBB2057_413:
	s_or_b32 exec_lo, exec_lo, s20
	v_cndmask_b32_e64 v21, v25, v26, s19
	v_cndmask_b32_e64 v22, v53, v52, s19
	s_mov_b32 s21, -1
	s_mov_b32 s20, exec_lo
	v_add_nc_u32_e32 v68, 1, v21
	v_add_nc_u32_e32 v22, -1, v22
	v_lshl_add_u32 v21, v21, 3, v13
	v_cndmask_b32_e64 v25, v68, v25, s19
	v_min_u32_e32 v22, v68, v22
	v_cndmask_b32_e64 v26, v26, v68, s19
	v_lshl_add_u32 v22, v22, 1, v10
	ds_read_u16 v69, v22
	ds_read_b64 v[21:22], v21 offset:4096
	s_waitcnt lgkmcnt(1)
	v_cndmask_b32_e64 v68, v69, v50, s19
	v_cndmask_b32_e64 v69, v67, v69, s19
	v_cmpx_lt_u32_e64 v25, v53
	s_cbranch_execz .LBB2057_425
; %bb.414:
	s_mov_b32 s22, 0
	s_mov_b32 s21, exec_lo
	v_cmpx_lt_u32_e64 v26, v52
	s_cbranch_execz .LBB2057_424
; %bb.415:
	v_lshlrev_b32_e32 v52, 16, v69
	v_add_f32_e32 v53, 0, v52
	v_and_b32_e32 v52, 0x7f800000, v53
	v_cmp_ne_u32_e64 s8, 0x7f800000, v52
                                        ; implicit-def: $vgpr52
	s_and_saveexec_b32 s22, s8
	s_xor_b32 s8, exec_lo, s22
; %bb.416:
	v_bfe_u32 v52, v53, 16, 1
	v_add3_u32 v52, v53, v52, 0x7fff
                                        ; implicit-def: $vgpr53
; %bb.417:
	s_andn2_saveexec_b32 s22, s8
; %bb.418:
	v_mov_b32_e32 v52, 0
	v_or_b32_e32 v70, 0x10000, v53
	v_cmp_eq_u32_sdwa s8, v53, v52 src0_sel:WORD_0 src1_sel:DWORD
	v_cndmask_b32_e64 v52, v70, v53, s8
; %bb.419:
	s_or_b32 exec_lo, exec_lo, s22
	v_lshlrev_b32_e32 v53, 16, v68
	v_add_f32_e32 v70, 0, v53
	v_and_b32_e32 v53, 0x7f800000, v70
	v_cmp_ne_u32_e64 s8, 0x7f800000, v53
                                        ; implicit-def: $vgpr53
	s_and_saveexec_b32 s22, s8
	s_xor_b32 s8, exec_lo, s22
; %bb.420:
	v_bfe_u32 v53, v70, 16, 1
	v_add3_u32 v53, v70, v53, 0x7fff
                                        ; implicit-def: $vgpr70
; %bb.421:
	s_andn2_saveexec_b32 s22, s8
; %bb.422:
	v_mov_b32_e32 v53, 0
	v_or_b32_e32 v71, 0x10000, v70
	v_cmp_eq_u32_sdwa s8, v70, v53 src0_sel:WORD_0 src1_sel:DWORD
	v_cndmask_b32_e64 v53, v71, v70, s8
; %bb.423:
	s_or_b32 exec_lo, exec_lo, s22
	v_cmp_lt_i32_e64 s8, -1, v52
	v_perm_b32 v52, v53, v52, 0x7060302
	v_cndmask_b32_e64 v70, -1, 0xffff8000, s8
	v_cmp_lt_i32_e64 s8, -1, v53
	v_cndmask_b32_e64 v71, -1, 0xffff8000, s8
	v_perm_b32 v53, v71, v70, 0x5040100
	v_xor_b32_e32 v52, v53, v52
	v_cmp_le_u16_sdwa s8, v52, v52 src0_sel:DWORD src1_sel:WORD_1
	s_and_b32 s22, s8, exec_lo
.LBB2057_424:
	s_or_b32 exec_lo, exec_lo, s21
	s_orn2_b32 s21, s22, exec_lo
.LBB2057_425:
	s_or_b32 exec_lo, exec_lo, s20
	v_cndmask_b32_e64 v25, v25, v26, s21
	v_cndmask_b32_e64 v50, v50, v67, s19
	v_cndmask_b32_e64 v39, v39, v66, s18
	v_cndmask_b32_e64 v49, v49, v65, s17
	v_cndmask_b32_e64 v51, v51, v64, s16
	v_lshl_add_u32 v25, v25, 3, v13
	v_cndmask_b32_e64 v32, v32, v55, s15
	v_cndmask_b32_e64 v48, v48, v54, s9
	;; [unrolled: 1-line block ×4, first 2 shown]
	ds_read_b64 v[25:26], v25 offset:4096
.LBB2057_426:
	s_or_b32 exec_lo, exec_lo, s12
	v_and_b32_e32 v64, 0xe0, v36
	v_and_b32_e32 v54, 24, v36
	v_perm_b32 v68, v38, v50, 0x5040100
	v_perm_b32 v67, v39, v49, 0x5040100
	;; [unrolled: 1-line block ×3, first 2 shown]
	v_or_b32_e32 v52, 16, v64
	v_min_u32_e32 v65, v27, v54
	v_perm_b32 v69, v48, v37, 0x5040100
	s_mov_b32 s9, exec_lo
	v_min_u32_e32 v52, v27, v52
	; wave barrier
	ds_write2_b64 v31, v[4:5], v[8:9] offset1:1
	ds_write2_b64 v28, v[15:16], v[17:18] offset1:1
	;; [unrolled: 1-line block ×4, first 2 shown]
	s_waitcnt lgkmcnt(4)
	ds_write2_b64 v30, v[21:22], v[25:26] offset1:1
	v_add_nc_u32_e32 v53, 16, v52
	v_sub_nc_u32_e32 v55, v52, v64
	; wave barrier
	v_min_u32_e32 v53, v27, v53
	v_min_u32_e32 v66, v65, v55
	v_lshl_add_u32 v55, v64, 1, v10
	v_sub_nc_u32_e32 v54, v53, v52
	v_sub_nc_u32_e64 v54, v65, v54 clamp
	v_cmpx_lt_u32_e64 v54, v66
	s_cbranch_execz .LBB2057_438
; %bb.427:
	v_lshlrev_b32_e32 v67, 1, v52
	v_lshlrev_b32_e32 v68, 1, v65
	s_mov_b32 s12, 0
	v_add3_u32 v67, v10, v67, v68
	v_mov_b32_e32 v68, 0
	s_branch .LBB2057_429
.LBB2057_428:                           ;   in Loop: Header=BB2057_429 Depth=1
	s_or_b32 exec_lo, exec_lo, s13
	v_cmp_lt_i32_e64 s8, -1, v70
	v_cndmask_b32_e64 v80, -1, 0xffff8000, s8
	v_cmp_lt_i32_e64 s8, -1, v71
	v_xor_b32_sdwa v70, v80, v70 dst_sel:DWORD dst_unused:UNUSED_PAD src0_sel:DWORD src1_sel:WORD_1
	v_cndmask_b32_e64 v81, -1, 0xffff8000, s8
	v_add_nc_u32_e32 v80, 1, v69
	v_xor_b32_sdwa v71, v81, v71 dst_sel:DWORD dst_unused:UNUSED_PAD src0_sel:DWORD src1_sel:WORD_1
	v_cmp_gt_u16_e64 s8, v70, v71
	v_cndmask_b32_e64 v66, v66, v69, s8
	v_cndmask_b32_e64 v54, v80, v54, s8
	v_cmp_ge_u32_e64 s8, v54, v66
	s_or_b32 s12, s8, s12
	s_andn2_b32 exec_lo, exec_lo, s12
	s_cbranch_execz .LBB2057_437
.LBB2057_429:                           ; =>This Inner Loop Header: Depth=1
	v_add_nc_u32_e32 v69, v66, v54
	v_and_b32_e32 v70, -2, v69
	v_lshrrev_b32_e32 v69, 1, v69
	v_add_nc_u32_e32 v70, v55, v70
	v_not_b32_e32 v71, v69
	ds_read_u16 v70, v70
	v_lshl_add_u32 v71, v71, 1, v67
	ds_read_u16 v71, v71
	s_waitcnt lgkmcnt(1)
	v_lshlrev_b32_e32 v70, 16, v70
	v_add_f32_e32 v80, 0, v70
	v_and_b32_e32 v70, 0x7f800000, v80
	v_cmp_ne_u32_e64 s8, 0x7f800000, v70
                                        ; implicit-def: $vgpr70
	s_and_saveexec_b32 s13, s8
	s_xor_b32 s8, exec_lo, s13
; %bb.430:                              ;   in Loop: Header=BB2057_429 Depth=1
	v_bfe_u32 v70, v80, 16, 1
	v_add3_u32 v70, v80, v70, 0x7fff
                                        ; implicit-def: $vgpr80
; %bb.431:                              ;   in Loop: Header=BB2057_429 Depth=1
	s_andn2_saveexec_b32 s13, s8
; %bb.432:                              ;   in Loop: Header=BB2057_429 Depth=1
	v_or_b32_e32 v70, 0x10000, v80
	v_cmp_eq_u32_sdwa s8, v80, v68 src0_sel:WORD_0 src1_sel:DWORD
	v_cndmask_b32_e64 v70, v70, v80, s8
; %bb.433:                              ;   in Loop: Header=BB2057_429 Depth=1
	s_or_b32 exec_lo, exec_lo, s13
	s_waitcnt lgkmcnt(0)
	v_lshlrev_b32_e32 v71, 16, v71
	v_add_f32_e32 v80, 0, v71
	v_and_b32_e32 v71, 0x7f800000, v80
	v_cmp_ne_u32_e64 s8, 0x7f800000, v71
                                        ; implicit-def: $vgpr71
	s_and_saveexec_b32 s13, s8
	s_xor_b32 s8, exec_lo, s13
; %bb.434:                              ;   in Loop: Header=BB2057_429 Depth=1
	v_bfe_u32 v71, v80, 16, 1
	v_add3_u32 v71, v80, v71, 0x7fff
                                        ; implicit-def: $vgpr80
; %bb.435:                              ;   in Loop: Header=BB2057_429 Depth=1
	s_andn2_saveexec_b32 s13, s8
	s_cbranch_execz .LBB2057_428
; %bb.436:                              ;   in Loop: Header=BB2057_429 Depth=1
	v_or_b32_e32 v71, 0x10000, v80
	v_cmp_eq_u32_sdwa s8, v80, v68 src0_sel:WORD_0 src1_sel:DWORD
	v_cndmask_b32_e64 v71, v71, v80, s8
	s_branch .LBB2057_428
.LBB2057_437:
	s_or_b32 exec_lo, exec_lo, s12
.LBB2057_438:
	s_or_b32 exec_lo, exec_lo, s9
	v_add_nc_u32_e32 v65, v52, v65
	v_add_nc_u32_e32 v64, v54, v64
	v_sub_nc_u32_e32 v65, v65, v54
	v_cmp_le_u32_e64 s8, v64, v52
	v_cmp_le_u32_e64 s9, v65, v53
	s_or_b32 s8, s8, s9
	s_and_saveexec_b32 s12, s8
	s_cbranch_execz .LBB2057_538
; %bb.439:
	v_cmp_ge_u32_e64 s8, v64, v52
	s_mov_b32 s13, exec_lo
                                        ; implicit-def: $vgpr37
	v_cmpx_lt_u32_e64 v64, v52
; %bb.440:
	v_lshl_add_u32 v4, v54, 1, v55
	ds_read_u16 v37, v4
; %bb.441:
	s_or_b32 exec_lo, exec_lo, s13
	v_cmp_ge_u32_e64 s13, v65, v53
	s_mov_b32 s15, exec_lo
                                        ; implicit-def: $vgpr38
	v_cmpx_lt_u32_e64 v65, v53
; %bb.442:
	v_lshl_add_u32 v4, v65, 1, v10
	ds_read_u16 v38, v4
; %bb.443:
	s_or_b32 exec_lo, exec_lo, s15
	s_nor_b32 s8, s8, s13
	s_and_saveexec_b32 s9, s8
	s_cbranch_execz .LBB2057_453
; %bb.444:
	s_waitcnt lgkmcnt(0)
	v_lshlrev_b32_e32 v4, 16, v37
	v_add_f32_e32 v5, 0, v4
	v_and_b32_e32 v4, 0x7f800000, v5
	v_cmp_ne_u32_e64 s8, 0x7f800000, v4
                                        ; implicit-def: $vgpr4
	s_and_saveexec_b32 s15, s8
	s_xor_b32 s8, exec_lo, s15
; %bb.445:
	v_bfe_u32 v4, v5, 16, 1
	v_add3_u32 v4, v5, v4, 0x7fff
                                        ; implicit-def: $vgpr5
; %bb.446:
	s_andn2_saveexec_b32 s15, s8
; %bb.447:
	v_mov_b32_e32 v4, 0
	v_or_b32_e32 v8, 0x10000, v5
	v_cmp_eq_u32_sdwa s8, v5, v4 src0_sel:WORD_0 src1_sel:DWORD
	v_cndmask_b32_e64 v4, v8, v5, s8
; %bb.448:
	s_or_b32 exec_lo, exec_lo, s15
	v_lshlrev_b32_e32 v5, 16, v38
	v_add_f32_e32 v8, 0, v5
	v_and_b32_e32 v5, 0x7f800000, v8
	v_cmp_ne_u32_e64 s8, 0x7f800000, v5
                                        ; implicit-def: $vgpr5
	s_and_saveexec_b32 s15, s8
	s_xor_b32 s8, exec_lo, s15
; %bb.449:
	v_bfe_u32 v5, v8, 16, 1
	v_add3_u32 v5, v8, v5, 0x7fff
                                        ; implicit-def: $vgpr8
; %bb.450:
	s_andn2_saveexec_b32 s15, s8
; %bb.451:
	v_mov_b32_e32 v5, 0
	v_or_b32_e32 v9, 0x10000, v8
	v_cmp_eq_u32_sdwa s8, v8, v5 src0_sel:WORD_0 src1_sel:DWORD
	v_cndmask_b32_e64 v5, v9, v8, s8
; %bb.452:
	s_or_b32 exec_lo, exec_lo, s15
	v_cmp_lt_i32_e64 s8, -1, v4
	v_perm_b32 v4, v5, v4, 0x7060302
	s_andn2_b32 s13, s13, exec_lo
	v_cndmask_b32_e64 v8, -1, 0xffff8000, s8
	v_cmp_lt_i32_e64 s8, -1, v5
	v_cndmask_b32_e64 v9, -1, 0xffff8000, s8
	v_perm_b32 v5, v9, v8, 0x5040100
	v_xor_b32_e32 v4, v5, v4
	v_cmp_le_u16_sdwa s8, v4, v4 src0_sel:DWORD src1_sel:WORD_1
	s_and_b32 s8, s8, exec_lo
	s_or_b32 s13, s13, s8
.LBB2057_453:
	s_or_b32 exec_lo, exec_lo, s9
	v_cndmask_b32_e64 v4, v65, v64, s13
	v_cndmask_b32_e64 v5, v53, v52, s13
	s_mov_b32 s15, -1
	s_mov_b32 s9, -1
	s_mov_b32 s16, exec_lo
	v_add_nc_u32_e32 v8, 1, v4
	v_add_nc_u32_e32 v5, -1, v5
	v_lshl_add_u32 v4, v4, 3, v13
	v_cndmask_b32_e64 v15, v8, v65, s13
	v_min_u32_e32 v5, v8, v5
	v_cndmask_b32_e64 v16, v64, v8, s13
	v_lshl_add_u32 v5, v5, 1, v10
	ds_read_u16 v9, v5
	ds_read_b64 v[4:5], v4 offset:4096
	s_waitcnt lgkmcnt(1)
	v_cndmask_b32_e64 v48, v9, v38, s13
	v_cndmask_b32_e64 v54, v37, v9, s13
	v_cmpx_lt_u32_e64 v15, v53
	s_cbranch_execz .LBB2057_465
; %bb.454:
	s_mov_b32 s17, 0
	s_mov_b32 s9, exec_lo
	v_cmpx_lt_u32_e64 v16, v52
	s_cbranch_execz .LBB2057_464
; %bb.455:
	v_lshlrev_b32_e32 v8, 16, v54
	v_add_f32_e32 v9, 0, v8
	v_and_b32_e32 v8, 0x7f800000, v9
	v_cmp_ne_u32_e64 s8, 0x7f800000, v8
                                        ; implicit-def: $vgpr8
	s_and_saveexec_b32 s17, s8
	s_xor_b32 s8, exec_lo, s17
; %bb.456:
	v_bfe_u32 v8, v9, 16, 1
	v_add3_u32 v8, v9, v8, 0x7fff
                                        ; implicit-def: $vgpr9
; %bb.457:
	s_andn2_saveexec_b32 s17, s8
; %bb.458:
	v_mov_b32_e32 v8, 0
	v_or_b32_e32 v17, 0x10000, v9
	v_cmp_eq_u32_sdwa s8, v9, v8 src0_sel:WORD_0 src1_sel:DWORD
	v_cndmask_b32_e64 v8, v17, v9, s8
; %bb.459:
	s_or_b32 exec_lo, exec_lo, s17
	v_lshlrev_b32_e32 v9, 16, v48
	v_add_f32_e32 v17, 0, v9
	v_and_b32_e32 v9, 0x7f800000, v17
	v_cmp_ne_u32_e64 s8, 0x7f800000, v9
                                        ; implicit-def: $vgpr9
	s_and_saveexec_b32 s17, s8
	s_xor_b32 s8, exec_lo, s17
; %bb.460:
	v_bfe_u32 v9, v17, 16, 1
	v_add3_u32 v9, v17, v9, 0x7fff
                                        ; implicit-def: $vgpr17
; %bb.461:
	s_andn2_saveexec_b32 s17, s8
; %bb.462:
	v_mov_b32_e32 v9, 0
	v_or_b32_e32 v18, 0x10000, v17
	v_cmp_eq_u32_sdwa s8, v17, v9 src0_sel:WORD_0 src1_sel:DWORD
	v_cndmask_b32_e64 v9, v18, v17, s8
; %bb.463:
	s_or_b32 exec_lo, exec_lo, s17
	v_cmp_lt_i32_e64 s8, -1, v8
	v_perm_b32 v8, v9, v8, 0x7060302
	v_cndmask_b32_e64 v17, -1, 0xffff8000, s8
	v_cmp_lt_i32_e64 s8, -1, v9
	v_cndmask_b32_e64 v18, -1, 0xffff8000, s8
	v_perm_b32 v9, v18, v17, 0x5040100
	v_xor_b32_e32 v8, v9, v8
	v_cmp_le_u16_sdwa s8, v8, v8 src0_sel:DWORD src1_sel:WORD_1
	s_and_b32 s17, s8, exec_lo
.LBB2057_464:
	s_or_b32 exec_lo, exec_lo, s9
	s_orn2_b32 s9, s17, exec_lo
.LBB2057_465:
	s_or_b32 exec_lo, exec_lo, s16
	v_cndmask_b32_e64 v8, v15, v16, s9
	v_cndmask_b32_e64 v9, v53, v52, s9
	s_mov_b32 s16, exec_lo
	v_add_nc_u32_e32 v18, 1, v8
	v_add_nc_u32_e32 v9, -1, v9
	v_lshl_add_u32 v8, v8, 3, v13
	v_cndmask_b32_e64 v17, v18, v15, s9
	v_min_u32_e32 v9, v18, v9
	v_cndmask_b32_e64 v18, v16, v18, s9
	v_lshl_add_u32 v9, v9, 1, v10
	ds_read_u16 v19, v9
	ds_read_b64 v[8:9], v8 offset:4096
	s_waitcnt lgkmcnt(1)
	v_cndmask_b32_e64 v32, v19, v48, s9
	v_cndmask_b32_e64 v55, v54, v19, s9
	v_cmpx_lt_u32_e64 v17, v53
	s_cbranch_execz .LBB2057_477
; %bb.466:
	s_mov_b32 s17, 0
	s_mov_b32 s15, exec_lo
	v_cmpx_lt_u32_e64 v18, v52
	s_cbranch_execz .LBB2057_476
; %bb.467:
	v_lshlrev_b32_e32 v15, 16, v55
	v_add_f32_e32 v16, 0, v15
	v_and_b32_e32 v15, 0x7f800000, v16
	v_cmp_ne_u32_e64 s8, 0x7f800000, v15
                                        ; implicit-def: $vgpr15
	s_and_saveexec_b32 s17, s8
	s_xor_b32 s8, exec_lo, s17
; %bb.468:
	v_bfe_u32 v15, v16, 16, 1
	v_add3_u32 v15, v16, v15, 0x7fff
                                        ; implicit-def: $vgpr16
; %bb.469:
	s_andn2_saveexec_b32 s17, s8
; %bb.470:
	v_mov_b32_e32 v15, 0
	v_or_b32_e32 v19, 0x10000, v16
	v_cmp_eq_u32_sdwa s8, v16, v15 src0_sel:WORD_0 src1_sel:DWORD
	v_cndmask_b32_e64 v15, v19, v16, s8
; %bb.471:
	s_or_b32 exec_lo, exec_lo, s17
	v_lshlrev_b32_e32 v16, 16, v32
	v_add_f32_e32 v19, 0, v16
	v_and_b32_e32 v16, 0x7f800000, v19
	v_cmp_ne_u32_e64 s8, 0x7f800000, v16
                                        ; implicit-def: $vgpr16
	s_and_saveexec_b32 s17, s8
	s_xor_b32 s8, exec_lo, s17
; %bb.472:
	v_bfe_u32 v16, v19, 16, 1
	v_add3_u32 v16, v19, v16, 0x7fff
                                        ; implicit-def: $vgpr19
; %bb.473:
	s_andn2_saveexec_b32 s17, s8
; %bb.474:
	v_mov_b32_e32 v16, 0
	v_or_b32_e32 v20, 0x10000, v19
	v_cmp_eq_u32_sdwa s8, v19, v16 src0_sel:WORD_0 src1_sel:DWORD
	v_cndmask_b32_e64 v16, v20, v19, s8
; %bb.475:
	s_or_b32 exec_lo, exec_lo, s17
	v_cmp_lt_i32_e64 s8, -1, v15
	v_perm_b32 v15, v16, v15, 0x7060302
	v_cndmask_b32_e64 v19, -1, 0xffff8000, s8
	v_cmp_lt_i32_e64 s8, -1, v16
	v_cndmask_b32_e64 v20, -1, 0xffff8000, s8
	v_perm_b32 v16, v20, v19, 0x5040100
	v_xor_b32_e32 v15, v16, v15
	v_cmp_le_u16_sdwa s8, v15, v15 src0_sel:DWORD src1_sel:WORD_1
	s_and_b32 s17, s8, exec_lo
.LBB2057_476:
	s_or_b32 exec_lo, exec_lo, s15
	s_orn2_b32 s15, s17, exec_lo
.LBB2057_477:
	s_or_b32 exec_lo, exec_lo, s16
	v_cndmask_b32_e64 v15, v17, v18, s15
	v_cndmask_b32_e64 v16, v53, v52, s15
	s_mov_b32 s17, -1
	s_mov_b32 s16, -1
	s_mov_b32 s18, exec_lo
	v_add_nc_u32_e32 v20, 1, v15
	v_add_nc_u32_e32 v16, -1, v16
	v_lshl_add_u32 v15, v15, 3, v13
	v_cndmask_b32_e64 v19, v20, v17, s15
	v_min_u32_e32 v16, v20, v16
	v_cndmask_b32_e64 v20, v18, v20, s15
	v_lshl_add_u32 v16, v16, 1, v10
	ds_read_u16 v21, v16
	ds_read_b64 v[15:16], v15 offset:4096
	s_waitcnt lgkmcnt(1)
	v_cndmask_b32_e64 v51, v21, v32, s15
	v_cndmask_b32_e64 v64, v55, v21, s15
	v_cmpx_lt_u32_e64 v19, v53
	s_cbranch_execz .LBB2057_489
; %bb.478:
	s_mov_b32 s19, 0
	s_mov_b32 s16, exec_lo
	v_cmpx_lt_u32_e64 v20, v52
	s_cbranch_execz .LBB2057_488
; %bb.479:
	v_lshlrev_b32_e32 v17, 16, v64
	v_add_f32_e32 v18, 0, v17
	v_and_b32_e32 v17, 0x7f800000, v18
	v_cmp_ne_u32_e64 s8, 0x7f800000, v17
                                        ; implicit-def: $vgpr17
	s_and_saveexec_b32 s19, s8
	s_xor_b32 s8, exec_lo, s19
; %bb.480:
	v_bfe_u32 v17, v18, 16, 1
	v_add3_u32 v17, v18, v17, 0x7fff
                                        ; implicit-def: $vgpr18
; %bb.481:
	s_andn2_saveexec_b32 s19, s8
; %bb.482:
	v_mov_b32_e32 v17, 0
	v_or_b32_e32 v21, 0x10000, v18
	v_cmp_eq_u32_sdwa s8, v18, v17 src0_sel:WORD_0 src1_sel:DWORD
	v_cndmask_b32_e64 v17, v21, v18, s8
; %bb.483:
	s_or_b32 exec_lo, exec_lo, s19
	v_lshlrev_b32_e32 v18, 16, v51
	v_add_f32_e32 v21, 0, v18
	v_and_b32_e32 v18, 0x7f800000, v21
	v_cmp_ne_u32_e64 s8, 0x7f800000, v18
                                        ; implicit-def: $vgpr18
	s_and_saveexec_b32 s19, s8
	s_xor_b32 s8, exec_lo, s19
; %bb.484:
	v_bfe_u32 v18, v21, 16, 1
	v_add3_u32 v18, v21, v18, 0x7fff
                                        ; implicit-def: $vgpr21
; %bb.485:
	s_andn2_saveexec_b32 s19, s8
; %bb.486:
	v_mov_b32_e32 v18, 0
	v_or_b32_e32 v22, 0x10000, v21
	v_cmp_eq_u32_sdwa s8, v21, v18 src0_sel:WORD_0 src1_sel:DWORD
	v_cndmask_b32_e64 v18, v22, v21, s8
; %bb.487:
	s_or_b32 exec_lo, exec_lo, s19
	v_cmp_lt_i32_e64 s8, -1, v17
	v_perm_b32 v17, v18, v17, 0x7060302
	v_cndmask_b32_e64 v21, -1, 0xffff8000, s8
	v_cmp_lt_i32_e64 s8, -1, v18
	v_cndmask_b32_e64 v22, -1, 0xffff8000, s8
	v_perm_b32 v18, v22, v21, 0x5040100
	v_xor_b32_e32 v17, v18, v17
	v_cmp_le_u16_sdwa s8, v17, v17 src0_sel:DWORD src1_sel:WORD_1
	s_and_b32 s19, s8, exec_lo
.LBB2057_488:
	s_or_b32 exec_lo, exec_lo, s16
	s_orn2_b32 s16, s19, exec_lo
.LBB2057_489:
	s_or_b32 exec_lo, exec_lo, s18
	v_cndmask_b32_e64 v17, v19, v20, s16
	v_cndmask_b32_e64 v18, v53, v52, s16
	s_mov_b32 s18, exec_lo
	v_add_nc_u32_e32 v22, 1, v17
	v_add_nc_u32_e32 v18, -1, v18
	v_lshl_add_u32 v17, v17, 3, v13
	v_cndmask_b32_e64 v21, v22, v19, s16
	v_min_u32_e32 v18, v22, v18
	v_cndmask_b32_e64 v22, v20, v22, s16
	v_lshl_add_u32 v18, v18, 1, v10
	ds_read_u16 v23, v18
	ds_read_b64 v[17:18], v17 offset:4096
	s_waitcnt lgkmcnt(1)
	v_cndmask_b32_e64 v49, v23, v51, s16
	v_cndmask_b32_e64 v65, v64, v23, s16
	v_cmpx_lt_u32_e64 v21, v53
	s_cbranch_execz .LBB2057_501
; %bb.490:
	s_mov_b32 s19, 0
	s_mov_b32 s17, exec_lo
	v_cmpx_lt_u32_e64 v22, v52
	s_cbranch_execz .LBB2057_500
; %bb.491:
	v_lshlrev_b32_e32 v19, 16, v65
	v_add_f32_e32 v20, 0, v19
	v_and_b32_e32 v19, 0x7f800000, v20
	v_cmp_ne_u32_e64 s8, 0x7f800000, v19
                                        ; implicit-def: $vgpr19
	s_and_saveexec_b32 s19, s8
	s_xor_b32 s8, exec_lo, s19
; %bb.492:
	v_bfe_u32 v19, v20, 16, 1
	v_add3_u32 v19, v20, v19, 0x7fff
                                        ; implicit-def: $vgpr20
; %bb.493:
	s_andn2_saveexec_b32 s19, s8
; %bb.494:
	v_mov_b32_e32 v19, 0
	v_or_b32_e32 v23, 0x10000, v20
	v_cmp_eq_u32_sdwa s8, v20, v19 src0_sel:WORD_0 src1_sel:DWORD
	v_cndmask_b32_e64 v19, v23, v20, s8
; %bb.495:
	s_or_b32 exec_lo, exec_lo, s19
	v_lshlrev_b32_e32 v20, 16, v49
	v_add_f32_e32 v23, 0, v20
	v_and_b32_e32 v20, 0x7f800000, v23
	v_cmp_ne_u32_e64 s8, 0x7f800000, v20
                                        ; implicit-def: $vgpr20
	s_and_saveexec_b32 s19, s8
	s_xor_b32 s8, exec_lo, s19
; %bb.496:
	v_bfe_u32 v20, v23, 16, 1
	v_add3_u32 v20, v23, v20, 0x7fff
                                        ; implicit-def: $vgpr23
; %bb.497:
	s_andn2_saveexec_b32 s19, s8
; %bb.498:
	v_mov_b32_e32 v20, 0
	v_or_b32_e32 v24, 0x10000, v23
	v_cmp_eq_u32_sdwa s8, v23, v20 src0_sel:WORD_0 src1_sel:DWORD
	v_cndmask_b32_e64 v20, v24, v23, s8
; %bb.499:
	s_or_b32 exec_lo, exec_lo, s19
	v_cmp_lt_i32_e64 s8, -1, v19
	v_perm_b32 v19, v20, v19, 0x7060302
	v_cndmask_b32_e64 v23, -1, 0xffff8000, s8
	v_cmp_lt_i32_e64 s8, -1, v20
	v_cndmask_b32_e64 v24, -1, 0xffff8000, s8
	v_perm_b32 v20, v24, v23, 0x5040100
	v_xor_b32_e32 v19, v20, v19
	v_cmp_le_u16_sdwa s8, v19, v19 src0_sel:DWORD src1_sel:WORD_1
	s_and_b32 s19, s8, exec_lo
.LBB2057_500:
	s_or_b32 exec_lo, exec_lo, s17
	s_orn2_b32 s17, s19, exec_lo
.LBB2057_501:
	s_or_b32 exec_lo, exec_lo, s18
	v_cndmask_b32_e64 v19, v21, v22, s17
	v_cndmask_b32_e64 v20, v53, v52, s17
	s_mov_b32 s19, -1
	s_mov_b32 s18, -1
	s_mov_b32 s20, exec_lo
	v_add_nc_u32_e32 v23, 1, v19
	v_add_nc_u32_e32 v20, -1, v20
	v_lshl_add_u32 v19, v19, 3, v13
	v_cndmask_b32_e64 v21, v23, v21, s17
	v_min_u32_e32 v20, v23, v20
	v_cndmask_b32_e64 v22, v22, v23, s17
	v_lshl_add_u32 v20, v20, 1, v10
	ds_read_u16 v24, v20
	ds_read_b64 v[19:20], v19 offset:4096
	s_waitcnt lgkmcnt(1)
	v_cndmask_b32_e64 v39, v24, v49, s17
	v_cndmask_b32_e64 v66, v65, v24, s17
	v_cmpx_lt_u32_e64 v21, v53
	s_cbranch_execz .LBB2057_513
; %bb.502:
	s_mov_b32 s21, 0
	s_mov_b32 s18, exec_lo
	v_cmpx_lt_u32_e64 v22, v52
	s_cbranch_execz .LBB2057_512
; %bb.503:
	v_lshlrev_b32_e32 v23, 16, v66
	v_add_f32_e32 v24, 0, v23
	v_and_b32_e32 v23, 0x7f800000, v24
	v_cmp_ne_u32_e64 s8, 0x7f800000, v23
                                        ; implicit-def: $vgpr23
	s_and_saveexec_b32 s21, s8
	s_xor_b32 s8, exec_lo, s21
; %bb.504:
	v_bfe_u32 v23, v24, 16, 1
	v_add3_u32 v23, v24, v23, 0x7fff
                                        ; implicit-def: $vgpr24
; %bb.505:
	s_andn2_saveexec_b32 s21, s8
; %bb.506:
	v_mov_b32_e32 v23, 0
	v_or_b32_e32 v25, 0x10000, v24
	v_cmp_eq_u32_sdwa s8, v24, v23 src0_sel:WORD_0 src1_sel:DWORD
	v_cndmask_b32_e64 v23, v25, v24, s8
; %bb.507:
	s_or_b32 exec_lo, exec_lo, s21
	v_lshlrev_b32_e32 v24, 16, v39
	v_add_f32_e32 v25, 0, v24
	v_and_b32_e32 v24, 0x7f800000, v25
	v_cmp_ne_u32_e64 s8, 0x7f800000, v24
                                        ; implicit-def: $vgpr24
	s_and_saveexec_b32 s21, s8
	s_xor_b32 s8, exec_lo, s21
; %bb.508:
	v_bfe_u32 v24, v25, 16, 1
	v_add3_u32 v24, v25, v24, 0x7fff
                                        ; implicit-def: $vgpr25
; %bb.509:
	s_andn2_saveexec_b32 s21, s8
; %bb.510:
	v_mov_b32_e32 v24, 0
	v_or_b32_e32 v26, 0x10000, v25
	v_cmp_eq_u32_sdwa s8, v25, v24 src0_sel:WORD_0 src1_sel:DWORD
	v_cndmask_b32_e64 v24, v26, v25, s8
; %bb.511:
	s_or_b32 exec_lo, exec_lo, s21
	v_cmp_lt_i32_e64 s8, -1, v23
	v_perm_b32 v23, v24, v23, 0x7060302
	v_cndmask_b32_e64 v25, -1, 0xffff8000, s8
	v_cmp_lt_i32_e64 s8, -1, v24
	v_cndmask_b32_e64 v26, -1, 0xffff8000, s8
	v_perm_b32 v24, v26, v25, 0x5040100
	v_xor_b32_e32 v23, v24, v23
	v_cmp_le_u16_sdwa s8, v23, v23 src0_sel:DWORD src1_sel:WORD_1
	s_and_b32 s21, s8, exec_lo
.LBB2057_512:
	s_or_b32 exec_lo, exec_lo, s18
	s_orn2_b32 s18, s21, exec_lo
.LBB2057_513:
	s_or_b32 exec_lo, exec_lo, s20
	v_cndmask_b32_e64 v23, v21, v22, s18
	v_cndmask_b32_e64 v24, v53, v52, s18
	s_mov_b32 s20, exec_lo
	v_add_nc_u32_e32 v26, 1, v23
	v_add_nc_u32_e32 v24, -1, v24
	v_lshl_add_u32 v23, v23, 3, v13
	v_cndmask_b32_e64 v25, v26, v21, s18
	v_min_u32_e32 v24, v26, v24
	v_cndmask_b32_e64 v26, v22, v26, s18
	v_lshl_add_u32 v24, v24, 1, v10
	ds_read_u16 v67, v24
	ds_read_b64 v[23:24], v23 offset:4096
	s_waitcnt lgkmcnt(1)
	v_cndmask_b32_e64 v50, v67, v39, s18
	v_cndmask_b32_e64 v67, v66, v67, s18
	v_cmpx_lt_u32_e64 v25, v53
	s_cbranch_execz .LBB2057_525
; %bb.514:
	s_mov_b32 s21, 0
	s_mov_b32 s19, exec_lo
	v_cmpx_lt_u32_e64 v26, v52
	s_cbranch_execz .LBB2057_524
; %bb.515:
	v_lshlrev_b32_e32 v21, 16, v67
	v_add_f32_e32 v22, 0, v21
	v_and_b32_e32 v21, 0x7f800000, v22
	v_cmp_ne_u32_e64 s8, 0x7f800000, v21
                                        ; implicit-def: $vgpr21
	s_and_saveexec_b32 s21, s8
	s_xor_b32 s8, exec_lo, s21
; %bb.516:
	v_bfe_u32 v21, v22, 16, 1
	v_add3_u32 v21, v22, v21, 0x7fff
                                        ; implicit-def: $vgpr22
; %bb.517:
	s_andn2_saveexec_b32 s21, s8
; %bb.518:
	v_mov_b32_e32 v21, 0
	v_or_b32_e32 v68, 0x10000, v22
	v_cmp_eq_u32_sdwa s8, v22, v21 src0_sel:WORD_0 src1_sel:DWORD
	v_cndmask_b32_e64 v21, v68, v22, s8
; %bb.519:
	s_or_b32 exec_lo, exec_lo, s21
	v_lshlrev_b32_e32 v22, 16, v50
	v_add_f32_e32 v68, 0, v22
	v_and_b32_e32 v22, 0x7f800000, v68
	v_cmp_ne_u32_e64 s8, 0x7f800000, v22
                                        ; implicit-def: $vgpr22
	s_and_saveexec_b32 s21, s8
	s_xor_b32 s8, exec_lo, s21
; %bb.520:
	v_bfe_u32 v22, v68, 16, 1
	v_add3_u32 v22, v68, v22, 0x7fff
                                        ; implicit-def: $vgpr68
; %bb.521:
	s_andn2_saveexec_b32 s21, s8
; %bb.522:
	v_mov_b32_e32 v22, 0
	v_or_b32_e32 v69, 0x10000, v68
	v_cmp_eq_u32_sdwa s8, v68, v22 src0_sel:WORD_0 src1_sel:DWORD
	v_cndmask_b32_e64 v22, v69, v68, s8
; %bb.523:
	s_or_b32 exec_lo, exec_lo, s21
	v_cmp_lt_i32_e64 s8, -1, v21
	v_perm_b32 v21, v22, v21, 0x7060302
	v_cndmask_b32_e64 v68, -1, 0xffff8000, s8
	v_cmp_lt_i32_e64 s8, -1, v22
	v_cndmask_b32_e64 v69, -1, 0xffff8000, s8
	v_perm_b32 v22, v69, v68, 0x5040100
	v_xor_b32_e32 v21, v22, v21
	v_cmp_le_u16_sdwa s8, v21, v21 src0_sel:DWORD src1_sel:WORD_1
	s_and_b32 s21, s8, exec_lo
.LBB2057_524:
	s_or_b32 exec_lo, exec_lo, s19
	s_orn2_b32 s19, s21, exec_lo
.LBB2057_525:
	s_or_b32 exec_lo, exec_lo, s20
	v_cndmask_b32_e64 v21, v25, v26, s19
	v_cndmask_b32_e64 v22, v53, v52, s19
	s_mov_b32 s21, -1
	s_mov_b32 s20, exec_lo
	v_add_nc_u32_e32 v68, 1, v21
	v_add_nc_u32_e32 v22, -1, v22
	v_lshl_add_u32 v21, v21, 3, v13
	v_cndmask_b32_e64 v25, v68, v25, s19
	v_min_u32_e32 v22, v68, v22
	v_cndmask_b32_e64 v26, v26, v68, s19
	v_lshl_add_u32 v22, v22, 1, v10
	ds_read_u16 v69, v22
	ds_read_b64 v[21:22], v21 offset:4096
	s_waitcnt lgkmcnt(1)
	v_cndmask_b32_e64 v68, v69, v50, s19
	v_cndmask_b32_e64 v69, v67, v69, s19
	v_cmpx_lt_u32_e64 v25, v53
	s_cbranch_execz .LBB2057_537
; %bb.526:
	s_mov_b32 s22, 0
	s_mov_b32 s21, exec_lo
	v_cmpx_lt_u32_e64 v26, v52
	s_cbranch_execz .LBB2057_536
; %bb.527:
	v_lshlrev_b32_e32 v52, 16, v69
	v_add_f32_e32 v53, 0, v52
	v_and_b32_e32 v52, 0x7f800000, v53
	v_cmp_ne_u32_e64 s8, 0x7f800000, v52
                                        ; implicit-def: $vgpr52
	s_and_saveexec_b32 s22, s8
	s_xor_b32 s8, exec_lo, s22
; %bb.528:
	v_bfe_u32 v52, v53, 16, 1
	v_add3_u32 v52, v53, v52, 0x7fff
                                        ; implicit-def: $vgpr53
; %bb.529:
	s_andn2_saveexec_b32 s22, s8
; %bb.530:
	v_mov_b32_e32 v52, 0
	v_or_b32_e32 v70, 0x10000, v53
	v_cmp_eq_u32_sdwa s8, v53, v52 src0_sel:WORD_0 src1_sel:DWORD
	v_cndmask_b32_e64 v52, v70, v53, s8
; %bb.531:
	s_or_b32 exec_lo, exec_lo, s22
	v_lshlrev_b32_e32 v53, 16, v68
	v_add_f32_e32 v70, 0, v53
	v_and_b32_e32 v53, 0x7f800000, v70
	v_cmp_ne_u32_e64 s8, 0x7f800000, v53
                                        ; implicit-def: $vgpr53
	s_and_saveexec_b32 s22, s8
	s_xor_b32 s8, exec_lo, s22
; %bb.532:
	v_bfe_u32 v53, v70, 16, 1
	v_add3_u32 v53, v70, v53, 0x7fff
                                        ; implicit-def: $vgpr70
; %bb.533:
	s_andn2_saveexec_b32 s22, s8
; %bb.534:
	v_mov_b32_e32 v53, 0
	v_or_b32_e32 v71, 0x10000, v70
	v_cmp_eq_u32_sdwa s8, v70, v53 src0_sel:WORD_0 src1_sel:DWORD
	v_cndmask_b32_e64 v53, v71, v70, s8
; %bb.535:
	s_or_b32 exec_lo, exec_lo, s22
	v_cmp_lt_i32_e64 s8, -1, v52
	v_perm_b32 v52, v53, v52, 0x7060302
	v_cndmask_b32_e64 v70, -1, 0xffff8000, s8
	v_cmp_lt_i32_e64 s8, -1, v53
	v_cndmask_b32_e64 v71, -1, 0xffff8000, s8
	v_perm_b32 v53, v71, v70, 0x5040100
	v_xor_b32_e32 v52, v53, v52
	v_cmp_le_u16_sdwa s8, v52, v52 src0_sel:DWORD src1_sel:WORD_1
	s_and_b32 s22, s8, exec_lo
.LBB2057_536:
	s_or_b32 exec_lo, exec_lo, s21
	s_orn2_b32 s21, s22, exec_lo
.LBB2057_537:
	s_or_b32 exec_lo, exec_lo, s20
	v_cndmask_b32_e64 v25, v25, v26, s21
	v_cndmask_b32_e64 v50, v50, v67, s19
	;; [unrolled: 1-line block ×5, first 2 shown]
	v_lshl_add_u32 v25, v25, 3, v13
	v_cndmask_b32_e64 v32, v32, v55, s15
	v_cndmask_b32_e64 v48, v48, v54, s9
	;; [unrolled: 1-line block ×4, first 2 shown]
	ds_read_b64 v[25:26], v25 offset:4096
.LBB2057_538:
	s_or_b32 exec_lo, exec_lo, s12
	v_and_b32_e32 v64, 0xc0, v36
	v_and_b32_e32 v54, 56, v36
	v_perm_b32 v68, v38, v50, 0x5040100
	v_perm_b32 v67, v39, v49, 0x5040100
	;; [unrolled: 1-line block ×3, first 2 shown]
	v_or_b32_e32 v52, 32, v64
	v_min_u32_e32 v65, v27, v54
	v_perm_b32 v69, v48, v37, 0x5040100
	s_mov_b32 s9, exec_lo
	v_min_u32_e32 v52, v27, v52
	; wave barrier
	ds_write2_b64 v31, v[4:5], v[8:9] offset1:1
	ds_write2_b64 v28, v[15:16], v[17:18] offset1:1
	;; [unrolled: 1-line block ×4, first 2 shown]
	s_waitcnt lgkmcnt(4)
	ds_write2_b64 v30, v[21:22], v[25:26] offset1:1
	v_add_nc_u32_e32 v53, 32, v52
	v_sub_nc_u32_e32 v55, v52, v64
	; wave barrier
	v_min_u32_e32 v53, v27, v53
	v_min_u32_e32 v66, v65, v55
	v_lshl_add_u32 v55, v64, 1, v10
	v_sub_nc_u32_e32 v54, v53, v52
	v_sub_nc_u32_e64 v54, v65, v54 clamp
	v_cmpx_lt_u32_e64 v54, v66
	s_cbranch_execz .LBB2057_550
; %bb.539:
	v_lshlrev_b32_e32 v67, 1, v52
	v_lshlrev_b32_e32 v68, 1, v65
	s_mov_b32 s12, 0
	v_add3_u32 v67, v10, v67, v68
	v_mov_b32_e32 v68, 0
	s_branch .LBB2057_541
.LBB2057_540:                           ;   in Loop: Header=BB2057_541 Depth=1
	s_or_b32 exec_lo, exec_lo, s13
	v_cmp_lt_i32_e64 s8, -1, v70
	v_cndmask_b32_e64 v80, -1, 0xffff8000, s8
	v_cmp_lt_i32_e64 s8, -1, v71
	v_xor_b32_sdwa v70, v80, v70 dst_sel:DWORD dst_unused:UNUSED_PAD src0_sel:DWORD src1_sel:WORD_1
	v_cndmask_b32_e64 v81, -1, 0xffff8000, s8
	v_add_nc_u32_e32 v80, 1, v69
	v_xor_b32_sdwa v71, v81, v71 dst_sel:DWORD dst_unused:UNUSED_PAD src0_sel:DWORD src1_sel:WORD_1
	v_cmp_gt_u16_e64 s8, v70, v71
	v_cndmask_b32_e64 v66, v66, v69, s8
	v_cndmask_b32_e64 v54, v80, v54, s8
	v_cmp_ge_u32_e64 s8, v54, v66
	s_or_b32 s12, s8, s12
	s_andn2_b32 exec_lo, exec_lo, s12
	s_cbranch_execz .LBB2057_549
.LBB2057_541:                           ; =>This Inner Loop Header: Depth=1
	v_add_nc_u32_e32 v69, v66, v54
	v_and_b32_e32 v70, -2, v69
	v_lshrrev_b32_e32 v69, 1, v69
	v_add_nc_u32_e32 v70, v55, v70
	v_not_b32_e32 v71, v69
	ds_read_u16 v70, v70
	v_lshl_add_u32 v71, v71, 1, v67
	ds_read_u16 v71, v71
	s_waitcnt lgkmcnt(1)
	v_lshlrev_b32_e32 v70, 16, v70
	v_add_f32_e32 v80, 0, v70
	v_and_b32_e32 v70, 0x7f800000, v80
	v_cmp_ne_u32_e64 s8, 0x7f800000, v70
                                        ; implicit-def: $vgpr70
	s_and_saveexec_b32 s13, s8
	s_xor_b32 s8, exec_lo, s13
; %bb.542:                              ;   in Loop: Header=BB2057_541 Depth=1
	v_bfe_u32 v70, v80, 16, 1
	v_add3_u32 v70, v80, v70, 0x7fff
                                        ; implicit-def: $vgpr80
; %bb.543:                              ;   in Loop: Header=BB2057_541 Depth=1
	s_andn2_saveexec_b32 s13, s8
; %bb.544:                              ;   in Loop: Header=BB2057_541 Depth=1
	v_or_b32_e32 v70, 0x10000, v80
	v_cmp_eq_u32_sdwa s8, v80, v68 src0_sel:WORD_0 src1_sel:DWORD
	v_cndmask_b32_e64 v70, v70, v80, s8
; %bb.545:                              ;   in Loop: Header=BB2057_541 Depth=1
	s_or_b32 exec_lo, exec_lo, s13
	s_waitcnt lgkmcnt(0)
	v_lshlrev_b32_e32 v71, 16, v71
	v_add_f32_e32 v80, 0, v71
	v_and_b32_e32 v71, 0x7f800000, v80
	v_cmp_ne_u32_e64 s8, 0x7f800000, v71
                                        ; implicit-def: $vgpr71
	s_and_saveexec_b32 s13, s8
	s_xor_b32 s8, exec_lo, s13
; %bb.546:                              ;   in Loop: Header=BB2057_541 Depth=1
	v_bfe_u32 v71, v80, 16, 1
	v_add3_u32 v71, v80, v71, 0x7fff
                                        ; implicit-def: $vgpr80
; %bb.547:                              ;   in Loop: Header=BB2057_541 Depth=1
	s_andn2_saveexec_b32 s13, s8
	s_cbranch_execz .LBB2057_540
; %bb.548:                              ;   in Loop: Header=BB2057_541 Depth=1
	v_or_b32_e32 v71, 0x10000, v80
	v_cmp_eq_u32_sdwa s8, v80, v68 src0_sel:WORD_0 src1_sel:DWORD
	v_cndmask_b32_e64 v71, v71, v80, s8
	s_branch .LBB2057_540
.LBB2057_549:
	s_or_b32 exec_lo, exec_lo, s12
.LBB2057_550:
	s_or_b32 exec_lo, exec_lo, s9
	v_add_nc_u32_e32 v65, v52, v65
	v_add_nc_u32_e32 v64, v54, v64
	v_sub_nc_u32_e32 v65, v65, v54
	v_cmp_le_u32_e64 s8, v64, v52
	v_cmp_le_u32_e64 s9, v65, v53
	s_or_b32 s8, s8, s9
	s_and_saveexec_b32 s12, s8
	s_cbranch_execz .LBB2057_650
; %bb.551:
	v_cmp_ge_u32_e64 s8, v64, v52
	s_mov_b32 s13, exec_lo
                                        ; implicit-def: $vgpr37
	v_cmpx_lt_u32_e64 v64, v52
; %bb.552:
	v_lshl_add_u32 v4, v54, 1, v55
	ds_read_u16 v37, v4
; %bb.553:
	s_or_b32 exec_lo, exec_lo, s13
	v_cmp_ge_u32_e64 s13, v65, v53
	s_mov_b32 s15, exec_lo
                                        ; implicit-def: $vgpr38
	v_cmpx_lt_u32_e64 v65, v53
; %bb.554:
	v_lshl_add_u32 v4, v65, 1, v10
	ds_read_u16 v38, v4
; %bb.555:
	s_or_b32 exec_lo, exec_lo, s15
	s_nor_b32 s8, s8, s13
	s_and_saveexec_b32 s9, s8
	s_cbranch_execz .LBB2057_565
; %bb.556:
	s_waitcnt lgkmcnt(0)
	v_lshlrev_b32_e32 v4, 16, v37
	v_add_f32_e32 v5, 0, v4
	v_and_b32_e32 v4, 0x7f800000, v5
	v_cmp_ne_u32_e64 s8, 0x7f800000, v4
                                        ; implicit-def: $vgpr4
	s_and_saveexec_b32 s15, s8
	s_xor_b32 s8, exec_lo, s15
; %bb.557:
	v_bfe_u32 v4, v5, 16, 1
	v_add3_u32 v4, v5, v4, 0x7fff
                                        ; implicit-def: $vgpr5
; %bb.558:
	s_andn2_saveexec_b32 s15, s8
; %bb.559:
	v_mov_b32_e32 v4, 0
	v_or_b32_e32 v8, 0x10000, v5
	v_cmp_eq_u32_sdwa s8, v5, v4 src0_sel:WORD_0 src1_sel:DWORD
	v_cndmask_b32_e64 v4, v8, v5, s8
; %bb.560:
	s_or_b32 exec_lo, exec_lo, s15
	v_lshlrev_b32_e32 v5, 16, v38
	v_add_f32_e32 v8, 0, v5
	v_and_b32_e32 v5, 0x7f800000, v8
	v_cmp_ne_u32_e64 s8, 0x7f800000, v5
                                        ; implicit-def: $vgpr5
	s_and_saveexec_b32 s15, s8
	s_xor_b32 s8, exec_lo, s15
; %bb.561:
	v_bfe_u32 v5, v8, 16, 1
	v_add3_u32 v5, v8, v5, 0x7fff
                                        ; implicit-def: $vgpr8
; %bb.562:
	s_andn2_saveexec_b32 s15, s8
; %bb.563:
	v_mov_b32_e32 v5, 0
	v_or_b32_e32 v9, 0x10000, v8
	v_cmp_eq_u32_sdwa s8, v8, v5 src0_sel:WORD_0 src1_sel:DWORD
	v_cndmask_b32_e64 v5, v9, v8, s8
; %bb.564:
	s_or_b32 exec_lo, exec_lo, s15
	v_cmp_lt_i32_e64 s8, -1, v4
	v_perm_b32 v4, v5, v4, 0x7060302
	s_andn2_b32 s13, s13, exec_lo
	v_cndmask_b32_e64 v8, -1, 0xffff8000, s8
	v_cmp_lt_i32_e64 s8, -1, v5
	v_cndmask_b32_e64 v9, -1, 0xffff8000, s8
	v_perm_b32 v5, v9, v8, 0x5040100
	v_xor_b32_e32 v4, v5, v4
	v_cmp_le_u16_sdwa s8, v4, v4 src0_sel:DWORD src1_sel:WORD_1
	s_and_b32 s8, s8, exec_lo
	s_or_b32 s13, s13, s8
.LBB2057_565:
	s_or_b32 exec_lo, exec_lo, s9
	v_cndmask_b32_e64 v4, v65, v64, s13
	v_cndmask_b32_e64 v5, v53, v52, s13
	s_mov_b32 s15, -1
	s_mov_b32 s9, -1
	s_mov_b32 s16, exec_lo
	v_add_nc_u32_e32 v8, 1, v4
	v_add_nc_u32_e32 v5, -1, v5
	v_lshl_add_u32 v4, v4, 3, v13
	v_cndmask_b32_e64 v15, v8, v65, s13
	v_min_u32_e32 v5, v8, v5
	v_cndmask_b32_e64 v16, v64, v8, s13
	v_lshl_add_u32 v5, v5, 1, v10
	ds_read_u16 v9, v5
	ds_read_b64 v[4:5], v4 offset:4096
	s_waitcnt lgkmcnt(1)
	v_cndmask_b32_e64 v48, v9, v38, s13
	v_cndmask_b32_e64 v54, v37, v9, s13
	v_cmpx_lt_u32_e64 v15, v53
	s_cbranch_execz .LBB2057_577
; %bb.566:
	s_mov_b32 s17, 0
	s_mov_b32 s9, exec_lo
	v_cmpx_lt_u32_e64 v16, v52
	s_cbranch_execz .LBB2057_576
; %bb.567:
	v_lshlrev_b32_e32 v8, 16, v54
	v_add_f32_e32 v9, 0, v8
	v_and_b32_e32 v8, 0x7f800000, v9
	v_cmp_ne_u32_e64 s8, 0x7f800000, v8
                                        ; implicit-def: $vgpr8
	s_and_saveexec_b32 s17, s8
	s_xor_b32 s8, exec_lo, s17
; %bb.568:
	v_bfe_u32 v8, v9, 16, 1
	v_add3_u32 v8, v9, v8, 0x7fff
                                        ; implicit-def: $vgpr9
; %bb.569:
	s_andn2_saveexec_b32 s17, s8
; %bb.570:
	v_mov_b32_e32 v8, 0
	v_or_b32_e32 v17, 0x10000, v9
	v_cmp_eq_u32_sdwa s8, v9, v8 src0_sel:WORD_0 src1_sel:DWORD
	v_cndmask_b32_e64 v8, v17, v9, s8
; %bb.571:
	s_or_b32 exec_lo, exec_lo, s17
	v_lshlrev_b32_e32 v9, 16, v48
	v_add_f32_e32 v17, 0, v9
	v_and_b32_e32 v9, 0x7f800000, v17
	v_cmp_ne_u32_e64 s8, 0x7f800000, v9
                                        ; implicit-def: $vgpr9
	s_and_saveexec_b32 s17, s8
	s_xor_b32 s8, exec_lo, s17
; %bb.572:
	v_bfe_u32 v9, v17, 16, 1
	v_add3_u32 v9, v17, v9, 0x7fff
                                        ; implicit-def: $vgpr17
; %bb.573:
	s_andn2_saveexec_b32 s17, s8
; %bb.574:
	v_mov_b32_e32 v9, 0
	v_or_b32_e32 v18, 0x10000, v17
	v_cmp_eq_u32_sdwa s8, v17, v9 src0_sel:WORD_0 src1_sel:DWORD
	v_cndmask_b32_e64 v9, v18, v17, s8
; %bb.575:
	s_or_b32 exec_lo, exec_lo, s17
	v_cmp_lt_i32_e64 s8, -1, v8
	v_perm_b32 v8, v9, v8, 0x7060302
	v_cndmask_b32_e64 v17, -1, 0xffff8000, s8
	v_cmp_lt_i32_e64 s8, -1, v9
	v_cndmask_b32_e64 v18, -1, 0xffff8000, s8
	v_perm_b32 v9, v18, v17, 0x5040100
	v_xor_b32_e32 v8, v9, v8
	v_cmp_le_u16_sdwa s8, v8, v8 src0_sel:DWORD src1_sel:WORD_1
	s_and_b32 s17, s8, exec_lo
.LBB2057_576:
	s_or_b32 exec_lo, exec_lo, s9
	s_orn2_b32 s9, s17, exec_lo
.LBB2057_577:
	s_or_b32 exec_lo, exec_lo, s16
	v_cndmask_b32_e64 v8, v15, v16, s9
	v_cndmask_b32_e64 v9, v53, v52, s9
	s_mov_b32 s16, exec_lo
	v_add_nc_u32_e32 v18, 1, v8
	v_add_nc_u32_e32 v9, -1, v9
	v_lshl_add_u32 v8, v8, 3, v13
	v_cndmask_b32_e64 v17, v18, v15, s9
	v_min_u32_e32 v9, v18, v9
	v_cndmask_b32_e64 v18, v16, v18, s9
	v_lshl_add_u32 v9, v9, 1, v10
	ds_read_u16 v19, v9
	ds_read_b64 v[8:9], v8 offset:4096
	s_waitcnt lgkmcnt(1)
	v_cndmask_b32_e64 v32, v19, v48, s9
	v_cndmask_b32_e64 v55, v54, v19, s9
	v_cmpx_lt_u32_e64 v17, v53
	s_cbranch_execz .LBB2057_589
; %bb.578:
	s_mov_b32 s17, 0
	s_mov_b32 s15, exec_lo
	v_cmpx_lt_u32_e64 v18, v52
	s_cbranch_execz .LBB2057_588
; %bb.579:
	v_lshlrev_b32_e32 v15, 16, v55
	v_add_f32_e32 v16, 0, v15
	v_and_b32_e32 v15, 0x7f800000, v16
	v_cmp_ne_u32_e64 s8, 0x7f800000, v15
                                        ; implicit-def: $vgpr15
	s_and_saveexec_b32 s17, s8
	s_xor_b32 s8, exec_lo, s17
; %bb.580:
	v_bfe_u32 v15, v16, 16, 1
	v_add3_u32 v15, v16, v15, 0x7fff
                                        ; implicit-def: $vgpr16
; %bb.581:
	s_andn2_saveexec_b32 s17, s8
; %bb.582:
	v_mov_b32_e32 v15, 0
	v_or_b32_e32 v19, 0x10000, v16
	v_cmp_eq_u32_sdwa s8, v16, v15 src0_sel:WORD_0 src1_sel:DWORD
	v_cndmask_b32_e64 v15, v19, v16, s8
; %bb.583:
	s_or_b32 exec_lo, exec_lo, s17
	v_lshlrev_b32_e32 v16, 16, v32
	v_add_f32_e32 v19, 0, v16
	v_and_b32_e32 v16, 0x7f800000, v19
	v_cmp_ne_u32_e64 s8, 0x7f800000, v16
                                        ; implicit-def: $vgpr16
	s_and_saveexec_b32 s17, s8
	s_xor_b32 s8, exec_lo, s17
; %bb.584:
	v_bfe_u32 v16, v19, 16, 1
	v_add3_u32 v16, v19, v16, 0x7fff
                                        ; implicit-def: $vgpr19
; %bb.585:
	s_andn2_saveexec_b32 s17, s8
; %bb.586:
	v_mov_b32_e32 v16, 0
	v_or_b32_e32 v20, 0x10000, v19
	v_cmp_eq_u32_sdwa s8, v19, v16 src0_sel:WORD_0 src1_sel:DWORD
	v_cndmask_b32_e64 v16, v20, v19, s8
; %bb.587:
	s_or_b32 exec_lo, exec_lo, s17
	v_cmp_lt_i32_e64 s8, -1, v15
	v_perm_b32 v15, v16, v15, 0x7060302
	v_cndmask_b32_e64 v19, -1, 0xffff8000, s8
	v_cmp_lt_i32_e64 s8, -1, v16
	v_cndmask_b32_e64 v20, -1, 0xffff8000, s8
	v_perm_b32 v16, v20, v19, 0x5040100
	v_xor_b32_e32 v15, v16, v15
	v_cmp_le_u16_sdwa s8, v15, v15 src0_sel:DWORD src1_sel:WORD_1
	s_and_b32 s17, s8, exec_lo
.LBB2057_588:
	s_or_b32 exec_lo, exec_lo, s15
	s_orn2_b32 s15, s17, exec_lo
.LBB2057_589:
	s_or_b32 exec_lo, exec_lo, s16
	v_cndmask_b32_e64 v15, v17, v18, s15
	v_cndmask_b32_e64 v16, v53, v52, s15
	s_mov_b32 s17, -1
	s_mov_b32 s16, -1
	s_mov_b32 s18, exec_lo
	v_add_nc_u32_e32 v20, 1, v15
	v_add_nc_u32_e32 v16, -1, v16
	v_lshl_add_u32 v15, v15, 3, v13
	v_cndmask_b32_e64 v19, v20, v17, s15
	v_min_u32_e32 v16, v20, v16
	v_cndmask_b32_e64 v20, v18, v20, s15
	v_lshl_add_u32 v16, v16, 1, v10
	ds_read_u16 v21, v16
	ds_read_b64 v[15:16], v15 offset:4096
	s_waitcnt lgkmcnt(1)
	v_cndmask_b32_e64 v51, v21, v32, s15
	v_cndmask_b32_e64 v64, v55, v21, s15
	v_cmpx_lt_u32_e64 v19, v53
	s_cbranch_execz .LBB2057_601
; %bb.590:
	s_mov_b32 s19, 0
	s_mov_b32 s16, exec_lo
	v_cmpx_lt_u32_e64 v20, v52
	s_cbranch_execz .LBB2057_600
; %bb.591:
	v_lshlrev_b32_e32 v17, 16, v64
	v_add_f32_e32 v18, 0, v17
	v_and_b32_e32 v17, 0x7f800000, v18
	v_cmp_ne_u32_e64 s8, 0x7f800000, v17
                                        ; implicit-def: $vgpr17
	s_and_saveexec_b32 s19, s8
	s_xor_b32 s8, exec_lo, s19
; %bb.592:
	v_bfe_u32 v17, v18, 16, 1
	v_add3_u32 v17, v18, v17, 0x7fff
                                        ; implicit-def: $vgpr18
; %bb.593:
	s_andn2_saveexec_b32 s19, s8
; %bb.594:
	v_mov_b32_e32 v17, 0
	v_or_b32_e32 v21, 0x10000, v18
	v_cmp_eq_u32_sdwa s8, v18, v17 src0_sel:WORD_0 src1_sel:DWORD
	v_cndmask_b32_e64 v17, v21, v18, s8
; %bb.595:
	s_or_b32 exec_lo, exec_lo, s19
	v_lshlrev_b32_e32 v18, 16, v51
	v_add_f32_e32 v21, 0, v18
	v_and_b32_e32 v18, 0x7f800000, v21
	v_cmp_ne_u32_e64 s8, 0x7f800000, v18
                                        ; implicit-def: $vgpr18
	s_and_saveexec_b32 s19, s8
	s_xor_b32 s8, exec_lo, s19
; %bb.596:
	v_bfe_u32 v18, v21, 16, 1
	v_add3_u32 v18, v21, v18, 0x7fff
                                        ; implicit-def: $vgpr21
; %bb.597:
	s_andn2_saveexec_b32 s19, s8
; %bb.598:
	v_mov_b32_e32 v18, 0
	v_or_b32_e32 v22, 0x10000, v21
	v_cmp_eq_u32_sdwa s8, v21, v18 src0_sel:WORD_0 src1_sel:DWORD
	v_cndmask_b32_e64 v18, v22, v21, s8
; %bb.599:
	s_or_b32 exec_lo, exec_lo, s19
	v_cmp_lt_i32_e64 s8, -1, v17
	v_perm_b32 v17, v18, v17, 0x7060302
	v_cndmask_b32_e64 v21, -1, 0xffff8000, s8
	v_cmp_lt_i32_e64 s8, -1, v18
	v_cndmask_b32_e64 v22, -1, 0xffff8000, s8
	v_perm_b32 v18, v22, v21, 0x5040100
	v_xor_b32_e32 v17, v18, v17
	v_cmp_le_u16_sdwa s8, v17, v17 src0_sel:DWORD src1_sel:WORD_1
	s_and_b32 s19, s8, exec_lo
.LBB2057_600:
	s_or_b32 exec_lo, exec_lo, s16
	s_orn2_b32 s16, s19, exec_lo
.LBB2057_601:
	s_or_b32 exec_lo, exec_lo, s18
	v_cndmask_b32_e64 v17, v19, v20, s16
	v_cndmask_b32_e64 v18, v53, v52, s16
	s_mov_b32 s18, exec_lo
	v_add_nc_u32_e32 v22, 1, v17
	v_add_nc_u32_e32 v18, -1, v18
	v_lshl_add_u32 v17, v17, 3, v13
	v_cndmask_b32_e64 v21, v22, v19, s16
	v_min_u32_e32 v18, v22, v18
	v_cndmask_b32_e64 v22, v20, v22, s16
	v_lshl_add_u32 v18, v18, 1, v10
	ds_read_u16 v23, v18
	ds_read_b64 v[17:18], v17 offset:4096
	s_waitcnt lgkmcnt(1)
	v_cndmask_b32_e64 v49, v23, v51, s16
	v_cndmask_b32_e64 v65, v64, v23, s16
	v_cmpx_lt_u32_e64 v21, v53
	s_cbranch_execz .LBB2057_613
; %bb.602:
	s_mov_b32 s19, 0
	s_mov_b32 s17, exec_lo
	v_cmpx_lt_u32_e64 v22, v52
	s_cbranch_execz .LBB2057_612
; %bb.603:
	v_lshlrev_b32_e32 v19, 16, v65
	v_add_f32_e32 v20, 0, v19
	v_and_b32_e32 v19, 0x7f800000, v20
	v_cmp_ne_u32_e64 s8, 0x7f800000, v19
                                        ; implicit-def: $vgpr19
	s_and_saveexec_b32 s19, s8
	s_xor_b32 s8, exec_lo, s19
; %bb.604:
	v_bfe_u32 v19, v20, 16, 1
	v_add3_u32 v19, v20, v19, 0x7fff
                                        ; implicit-def: $vgpr20
; %bb.605:
	s_andn2_saveexec_b32 s19, s8
; %bb.606:
	v_mov_b32_e32 v19, 0
	v_or_b32_e32 v23, 0x10000, v20
	v_cmp_eq_u32_sdwa s8, v20, v19 src0_sel:WORD_0 src1_sel:DWORD
	v_cndmask_b32_e64 v19, v23, v20, s8
; %bb.607:
	s_or_b32 exec_lo, exec_lo, s19
	v_lshlrev_b32_e32 v20, 16, v49
	v_add_f32_e32 v23, 0, v20
	v_and_b32_e32 v20, 0x7f800000, v23
	v_cmp_ne_u32_e64 s8, 0x7f800000, v20
                                        ; implicit-def: $vgpr20
	s_and_saveexec_b32 s19, s8
	s_xor_b32 s8, exec_lo, s19
; %bb.608:
	v_bfe_u32 v20, v23, 16, 1
	v_add3_u32 v20, v23, v20, 0x7fff
                                        ; implicit-def: $vgpr23
; %bb.609:
	s_andn2_saveexec_b32 s19, s8
; %bb.610:
	v_mov_b32_e32 v20, 0
	v_or_b32_e32 v24, 0x10000, v23
	v_cmp_eq_u32_sdwa s8, v23, v20 src0_sel:WORD_0 src1_sel:DWORD
	v_cndmask_b32_e64 v20, v24, v23, s8
; %bb.611:
	s_or_b32 exec_lo, exec_lo, s19
	v_cmp_lt_i32_e64 s8, -1, v19
	v_perm_b32 v19, v20, v19, 0x7060302
	v_cndmask_b32_e64 v23, -1, 0xffff8000, s8
	v_cmp_lt_i32_e64 s8, -1, v20
	v_cndmask_b32_e64 v24, -1, 0xffff8000, s8
	v_perm_b32 v20, v24, v23, 0x5040100
	v_xor_b32_e32 v19, v20, v19
	v_cmp_le_u16_sdwa s8, v19, v19 src0_sel:DWORD src1_sel:WORD_1
	s_and_b32 s19, s8, exec_lo
.LBB2057_612:
	s_or_b32 exec_lo, exec_lo, s17
	s_orn2_b32 s17, s19, exec_lo
.LBB2057_613:
	s_or_b32 exec_lo, exec_lo, s18
	v_cndmask_b32_e64 v19, v21, v22, s17
	v_cndmask_b32_e64 v20, v53, v52, s17
	s_mov_b32 s19, -1
	s_mov_b32 s18, -1
	s_mov_b32 s20, exec_lo
	v_add_nc_u32_e32 v23, 1, v19
	v_add_nc_u32_e32 v20, -1, v20
	v_lshl_add_u32 v19, v19, 3, v13
	v_cndmask_b32_e64 v21, v23, v21, s17
	v_min_u32_e32 v20, v23, v20
	v_cndmask_b32_e64 v22, v22, v23, s17
	v_lshl_add_u32 v20, v20, 1, v10
	ds_read_u16 v24, v20
	ds_read_b64 v[19:20], v19 offset:4096
	s_waitcnt lgkmcnt(1)
	v_cndmask_b32_e64 v39, v24, v49, s17
	v_cndmask_b32_e64 v66, v65, v24, s17
	v_cmpx_lt_u32_e64 v21, v53
	s_cbranch_execz .LBB2057_625
; %bb.614:
	s_mov_b32 s21, 0
	s_mov_b32 s18, exec_lo
	v_cmpx_lt_u32_e64 v22, v52
	s_cbranch_execz .LBB2057_624
; %bb.615:
	v_lshlrev_b32_e32 v23, 16, v66
	v_add_f32_e32 v24, 0, v23
	v_and_b32_e32 v23, 0x7f800000, v24
	v_cmp_ne_u32_e64 s8, 0x7f800000, v23
                                        ; implicit-def: $vgpr23
	s_and_saveexec_b32 s21, s8
	s_xor_b32 s8, exec_lo, s21
; %bb.616:
	v_bfe_u32 v23, v24, 16, 1
	v_add3_u32 v23, v24, v23, 0x7fff
                                        ; implicit-def: $vgpr24
; %bb.617:
	s_andn2_saveexec_b32 s21, s8
; %bb.618:
	v_mov_b32_e32 v23, 0
	v_or_b32_e32 v25, 0x10000, v24
	v_cmp_eq_u32_sdwa s8, v24, v23 src0_sel:WORD_0 src1_sel:DWORD
	v_cndmask_b32_e64 v23, v25, v24, s8
; %bb.619:
	s_or_b32 exec_lo, exec_lo, s21
	v_lshlrev_b32_e32 v24, 16, v39
	v_add_f32_e32 v25, 0, v24
	v_and_b32_e32 v24, 0x7f800000, v25
	v_cmp_ne_u32_e64 s8, 0x7f800000, v24
                                        ; implicit-def: $vgpr24
	s_and_saveexec_b32 s21, s8
	s_xor_b32 s8, exec_lo, s21
; %bb.620:
	v_bfe_u32 v24, v25, 16, 1
	v_add3_u32 v24, v25, v24, 0x7fff
                                        ; implicit-def: $vgpr25
; %bb.621:
	s_andn2_saveexec_b32 s21, s8
; %bb.622:
	v_mov_b32_e32 v24, 0
	v_or_b32_e32 v26, 0x10000, v25
	v_cmp_eq_u32_sdwa s8, v25, v24 src0_sel:WORD_0 src1_sel:DWORD
	v_cndmask_b32_e64 v24, v26, v25, s8
; %bb.623:
	s_or_b32 exec_lo, exec_lo, s21
	v_cmp_lt_i32_e64 s8, -1, v23
	v_perm_b32 v23, v24, v23, 0x7060302
	v_cndmask_b32_e64 v25, -1, 0xffff8000, s8
	v_cmp_lt_i32_e64 s8, -1, v24
	v_cndmask_b32_e64 v26, -1, 0xffff8000, s8
	v_perm_b32 v24, v26, v25, 0x5040100
	v_xor_b32_e32 v23, v24, v23
	v_cmp_le_u16_sdwa s8, v23, v23 src0_sel:DWORD src1_sel:WORD_1
	s_and_b32 s21, s8, exec_lo
.LBB2057_624:
	s_or_b32 exec_lo, exec_lo, s18
	s_orn2_b32 s18, s21, exec_lo
.LBB2057_625:
	s_or_b32 exec_lo, exec_lo, s20
	v_cndmask_b32_e64 v23, v21, v22, s18
	v_cndmask_b32_e64 v24, v53, v52, s18
	s_mov_b32 s20, exec_lo
	v_add_nc_u32_e32 v26, 1, v23
	v_add_nc_u32_e32 v24, -1, v24
	v_lshl_add_u32 v23, v23, 3, v13
	v_cndmask_b32_e64 v25, v26, v21, s18
	v_min_u32_e32 v24, v26, v24
	v_cndmask_b32_e64 v26, v22, v26, s18
	v_lshl_add_u32 v24, v24, 1, v10
	ds_read_u16 v67, v24
	ds_read_b64 v[23:24], v23 offset:4096
	s_waitcnt lgkmcnt(1)
	v_cndmask_b32_e64 v50, v67, v39, s18
	v_cndmask_b32_e64 v67, v66, v67, s18
	v_cmpx_lt_u32_e64 v25, v53
	s_cbranch_execz .LBB2057_637
; %bb.626:
	s_mov_b32 s21, 0
	s_mov_b32 s19, exec_lo
	v_cmpx_lt_u32_e64 v26, v52
	s_cbranch_execz .LBB2057_636
; %bb.627:
	v_lshlrev_b32_e32 v21, 16, v67
	v_add_f32_e32 v22, 0, v21
	v_and_b32_e32 v21, 0x7f800000, v22
	v_cmp_ne_u32_e64 s8, 0x7f800000, v21
                                        ; implicit-def: $vgpr21
	s_and_saveexec_b32 s21, s8
	s_xor_b32 s8, exec_lo, s21
; %bb.628:
	v_bfe_u32 v21, v22, 16, 1
	v_add3_u32 v21, v22, v21, 0x7fff
                                        ; implicit-def: $vgpr22
; %bb.629:
	s_andn2_saveexec_b32 s21, s8
; %bb.630:
	v_mov_b32_e32 v21, 0
	v_or_b32_e32 v68, 0x10000, v22
	v_cmp_eq_u32_sdwa s8, v22, v21 src0_sel:WORD_0 src1_sel:DWORD
	v_cndmask_b32_e64 v21, v68, v22, s8
; %bb.631:
	s_or_b32 exec_lo, exec_lo, s21
	v_lshlrev_b32_e32 v22, 16, v50
	v_add_f32_e32 v68, 0, v22
	v_and_b32_e32 v22, 0x7f800000, v68
	v_cmp_ne_u32_e64 s8, 0x7f800000, v22
                                        ; implicit-def: $vgpr22
	s_and_saveexec_b32 s21, s8
	s_xor_b32 s8, exec_lo, s21
; %bb.632:
	v_bfe_u32 v22, v68, 16, 1
	v_add3_u32 v22, v68, v22, 0x7fff
                                        ; implicit-def: $vgpr68
; %bb.633:
	s_andn2_saveexec_b32 s21, s8
; %bb.634:
	v_mov_b32_e32 v22, 0
	v_or_b32_e32 v69, 0x10000, v68
	v_cmp_eq_u32_sdwa s8, v68, v22 src0_sel:WORD_0 src1_sel:DWORD
	v_cndmask_b32_e64 v22, v69, v68, s8
; %bb.635:
	s_or_b32 exec_lo, exec_lo, s21
	v_cmp_lt_i32_e64 s8, -1, v21
	v_perm_b32 v21, v22, v21, 0x7060302
	v_cndmask_b32_e64 v68, -1, 0xffff8000, s8
	v_cmp_lt_i32_e64 s8, -1, v22
	v_cndmask_b32_e64 v69, -1, 0xffff8000, s8
	v_perm_b32 v22, v69, v68, 0x5040100
	v_xor_b32_e32 v21, v22, v21
	v_cmp_le_u16_sdwa s8, v21, v21 src0_sel:DWORD src1_sel:WORD_1
	s_and_b32 s21, s8, exec_lo
.LBB2057_636:
	s_or_b32 exec_lo, exec_lo, s19
	s_orn2_b32 s19, s21, exec_lo
.LBB2057_637:
	s_or_b32 exec_lo, exec_lo, s20
	v_cndmask_b32_e64 v21, v25, v26, s19
	v_cndmask_b32_e64 v22, v53, v52, s19
	s_mov_b32 s21, -1
	s_mov_b32 s20, exec_lo
	v_add_nc_u32_e32 v68, 1, v21
	v_add_nc_u32_e32 v22, -1, v22
	v_lshl_add_u32 v21, v21, 3, v13
	v_cndmask_b32_e64 v25, v68, v25, s19
	v_min_u32_e32 v22, v68, v22
	v_cndmask_b32_e64 v26, v26, v68, s19
	v_lshl_add_u32 v22, v22, 1, v10
	ds_read_u16 v69, v22
	ds_read_b64 v[21:22], v21 offset:4096
	s_waitcnt lgkmcnt(1)
	v_cndmask_b32_e64 v68, v69, v50, s19
	v_cndmask_b32_e64 v69, v67, v69, s19
	v_cmpx_lt_u32_e64 v25, v53
	s_cbranch_execz .LBB2057_649
; %bb.638:
	s_mov_b32 s22, 0
	s_mov_b32 s21, exec_lo
	v_cmpx_lt_u32_e64 v26, v52
	s_cbranch_execz .LBB2057_648
; %bb.639:
	v_lshlrev_b32_e32 v52, 16, v69
	v_add_f32_e32 v53, 0, v52
	v_and_b32_e32 v52, 0x7f800000, v53
	v_cmp_ne_u32_e64 s8, 0x7f800000, v52
                                        ; implicit-def: $vgpr52
	s_and_saveexec_b32 s22, s8
	s_xor_b32 s8, exec_lo, s22
; %bb.640:
	v_bfe_u32 v52, v53, 16, 1
	v_add3_u32 v52, v53, v52, 0x7fff
                                        ; implicit-def: $vgpr53
; %bb.641:
	s_andn2_saveexec_b32 s22, s8
; %bb.642:
	v_mov_b32_e32 v52, 0
	v_or_b32_e32 v70, 0x10000, v53
	v_cmp_eq_u32_sdwa s8, v53, v52 src0_sel:WORD_0 src1_sel:DWORD
	v_cndmask_b32_e64 v52, v70, v53, s8
; %bb.643:
	s_or_b32 exec_lo, exec_lo, s22
	v_lshlrev_b32_e32 v53, 16, v68
	v_add_f32_e32 v70, 0, v53
	v_and_b32_e32 v53, 0x7f800000, v70
	v_cmp_ne_u32_e64 s8, 0x7f800000, v53
                                        ; implicit-def: $vgpr53
	s_and_saveexec_b32 s22, s8
	s_xor_b32 s8, exec_lo, s22
; %bb.644:
	v_bfe_u32 v53, v70, 16, 1
	v_add3_u32 v53, v70, v53, 0x7fff
                                        ; implicit-def: $vgpr70
; %bb.645:
	s_andn2_saveexec_b32 s22, s8
; %bb.646:
	v_mov_b32_e32 v53, 0
	v_or_b32_e32 v71, 0x10000, v70
	v_cmp_eq_u32_sdwa s8, v70, v53 src0_sel:WORD_0 src1_sel:DWORD
	v_cndmask_b32_e64 v53, v71, v70, s8
; %bb.647:
	s_or_b32 exec_lo, exec_lo, s22
	v_cmp_lt_i32_e64 s8, -1, v52
	v_perm_b32 v52, v53, v52, 0x7060302
	v_cndmask_b32_e64 v70, -1, 0xffff8000, s8
	v_cmp_lt_i32_e64 s8, -1, v53
	v_cndmask_b32_e64 v71, -1, 0xffff8000, s8
	v_perm_b32 v53, v71, v70, 0x5040100
	v_xor_b32_e32 v52, v53, v52
	v_cmp_le_u16_sdwa s8, v52, v52 src0_sel:DWORD src1_sel:WORD_1
	s_and_b32 s22, s8, exec_lo
.LBB2057_648:
	s_or_b32 exec_lo, exec_lo, s21
	s_orn2_b32 s21, s22, exec_lo
.LBB2057_649:
	s_or_b32 exec_lo, exec_lo, s20
	v_cndmask_b32_e64 v25, v25, v26, s21
	v_cndmask_b32_e64 v50, v50, v67, s19
	;; [unrolled: 1-line block ×5, first 2 shown]
	v_lshl_add_u32 v25, v25, 3, v13
	v_cndmask_b32_e64 v32, v32, v55, s15
	v_cndmask_b32_e64 v48, v48, v54, s9
	;; [unrolled: 1-line block ×4, first 2 shown]
	ds_read_b64 v[25:26], v25 offset:4096
.LBB2057_650:
	s_or_b32 exec_lo, exec_lo, s12
	v_and_b32_e32 v53, 0x80, v36
	; wave barrier
	ds_write2_b64 v31, v[4:5], v[8:9] offset1:1
	v_min_u32_e32 v31, v27, v35
	v_or_b32_e32 v36, 64, v53
	v_perm_b32 v55, v38, v50, 0x5040100
	v_perm_b32 v54, v39, v49, 0x5040100
	;; [unrolled: 1-line block ×4, first 2 shown]
	v_min_u32_e32 v36, v27, v36
	ds_write2_b64 v28, v[15:16], v[17:18] offset1:1
	ds_write2_b64 v29, v[19:20], v[23:24] offset1:1
	v_lshl_add_u32 v28, v53, 1, v10
	s_mov_b32 s9, exec_lo
	ds_write2_b64 v14, v[64:65], v[54:55] offset1:1
	s_waitcnt lgkmcnt(4)
	ds_write2_b64 v30, v[21:22], v[25:26] offset1:1
	v_add_nc_u32_e32 v52, 64, v36
	v_sub_nc_u32_e32 v35, v36, v53
	; wave barrier
	v_min_u32_e32 v52, v27, v52
	v_min_u32_e32 v35, v31, v35
	v_sub_nc_u32_e32 v27, v52, v36
	v_sub_nc_u32_e64 v27, v31, v27 clamp
	v_cmpx_lt_u32_e64 v27, v35
	s_cbranch_execz .LBB2057_662
; %bb.651:
	v_lshlrev_b32_e32 v14, 1, v36
	v_lshlrev_b32_e32 v29, 1, v31
	s_mov_b32 s12, 0
	v_add3_u32 v14, v10, v14, v29
	v_mov_b32_e32 v29, 0
	s_branch .LBB2057_653
.LBB2057_652:                           ;   in Loop: Header=BB2057_653 Depth=1
	s_or_b32 exec_lo, exec_lo, s13
	v_cmp_lt_i32_e64 s8, -1, v54
	v_cndmask_b32_e64 v64, -1, 0xffff8000, s8
	v_cmp_lt_i32_e64 s8, -1, v55
	v_xor_b32_sdwa v54, v64, v54 dst_sel:DWORD dst_unused:UNUSED_PAD src0_sel:DWORD src1_sel:WORD_1
	v_cndmask_b32_e64 v65, -1, 0xffff8000, s8
	v_add_nc_u32_e32 v64, 1, v30
	v_xor_b32_sdwa v55, v65, v55 dst_sel:DWORD dst_unused:UNUSED_PAD src0_sel:DWORD src1_sel:WORD_1
	v_cmp_gt_u16_e64 s8, v54, v55
	v_cndmask_b32_e64 v35, v35, v30, s8
	v_cndmask_b32_e64 v27, v64, v27, s8
	v_cmp_ge_u32_e64 s8, v27, v35
	s_or_b32 s12, s8, s12
	s_andn2_b32 exec_lo, exec_lo, s12
	s_cbranch_execz .LBB2057_661
.LBB2057_653:                           ; =>This Inner Loop Header: Depth=1
	v_add_nc_u32_e32 v30, v35, v27
	v_and_b32_e32 v54, -2, v30
	v_lshrrev_b32_e32 v30, 1, v30
	v_add_nc_u32_e32 v54, v28, v54
	v_not_b32_e32 v55, v30
	ds_read_u16 v54, v54
	v_lshl_add_u32 v55, v55, 1, v14
	ds_read_u16 v55, v55
	s_waitcnt lgkmcnt(1)
	v_lshlrev_b32_e32 v54, 16, v54
	v_add_f32_e32 v64, 0, v54
	v_and_b32_e32 v54, 0x7f800000, v64
	v_cmp_ne_u32_e64 s8, 0x7f800000, v54
                                        ; implicit-def: $vgpr54
	s_and_saveexec_b32 s13, s8
	s_xor_b32 s8, exec_lo, s13
; %bb.654:                              ;   in Loop: Header=BB2057_653 Depth=1
	v_bfe_u32 v54, v64, 16, 1
	v_add3_u32 v54, v64, v54, 0x7fff
                                        ; implicit-def: $vgpr64
; %bb.655:                              ;   in Loop: Header=BB2057_653 Depth=1
	s_andn2_saveexec_b32 s13, s8
; %bb.656:                              ;   in Loop: Header=BB2057_653 Depth=1
	v_or_b32_e32 v54, 0x10000, v64
	v_cmp_eq_u32_sdwa s8, v64, v29 src0_sel:WORD_0 src1_sel:DWORD
	v_cndmask_b32_e64 v54, v54, v64, s8
; %bb.657:                              ;   in Loop: Header=BB2057_653 Depth=1
	s_or_b32 exec_lo, exec_lo, s13
	s_waitcnt lgkmcnt(0)
	v_lshlrev_b32_e32 v55, 16, v55
	v_add_f32_e32 v64, 0, v55
	v_and_b32_e32 v55, 0x7f800000, v64
	v_cmp_ne_u32_e64 s8, 0x7f800000, v55
                                        ; implicit-def: $vgpr55
	s_and_saveexec_b32 s13, s8
	s_xor_b32 s8, exec_lo, s13
; %bb.658:                              ;   in Loop: Header=BB2057_653 Depth=1
	v_bfe_u32 v55, v64, 16, 1
	v_add3_u32 v55, v64, v55, 0x7fff
                                        ; implicit-def: $vgpr64
; %bb.659:                              ;   in Loop: Header=BB2057_653 Depth=1
	s_andn2_saveexec_b32 s13, s8
	s_cbranch_execz .LBB2057_652
; %bb.660:                              ;   in Loop: Header=BB2057_653 Depth=1
	v_or_b32_e32 v55, 0x10000, v64
	v_cmp_eq_u32_sdwa s8, v64, v29 src0_sel:WORD_0 src1_sel:DWORD
	v_cndmask_b32_e64 v55, v55, v64, s8
	s_branch .LBB2057_652
.LBB2057_661:
	s_or_b32 exec_lo, exec_lo, s12
.LBB2057_662:
	s_or_b32 exec_lo, exec_lo, s9
	v_add_nc_u32_e32 v14, v36, v31
	v_add_nc_u32_e32 v29, v27, v53
	v_sub_nc_u32_e32 v30, v14, v27
	v_cmp_le_u32_e64 s8, v29, v36
	v_cmp_le_u32_e64 s9, v30, v52
	s_or_b32 s8, s8, s9
	s_and_saveexec_b32 s12, s8
	s_cbranch_execz .LBB2057_762
; %bb.663:
	v_cmp_ge_u32_e64 s8, v29, v36
	s_mov_b32 s13, exec_lo
                                        ; implicit-def: $vgpr14
	v_cmpx_lt_u32_e64 v29, v36
; %bb.664:
	v_lshl_add_u32 v4, v27, 1, v28
	ds_read_u16 v14, v4
; %bb.665:
	s_or_b32 exec_lo, exec_lo, s13
	v_cmp_ge_u32_e64 s13, v30, v52
	s_mov_b32 s15, exec_lo
                                        ; implicit-def: $vgpr27
	v_cmpx_lt_u32_e64 v30, v52
; %bb.666:
	v_lshl_add_u32 v4, v30, 1, v10
	ds_read_u16 v27, v4
; %bb.667:
	s_or_b32 exec_lo, exec_lo, s15
	s_nor_b32 s8, s8, s13
	s_and_saveexec_b32 s9, s8
	s_cbranch_execz .LBB2057_677
; %bb.668:
	s_waitcnt lgkmcnt(0)
	v_lshlrev_b32_e32 v4, 16, v14
	v_add_f32_e32 v5, 0, v4
	v_and_b32_e32 v4, 0x7f800000, v5
	v_cmp_ne_u32_e64 s8, 0x7f800000, v4
                                        ; implicit-def: $vgpr4
	s_and_saveexec_b32 s15, s8
	s_xor_b32 s8, exec_lo, s15
; %bb.669:
	v_bfe_u32 v4, v5, 16, 1
	v_add3_u32 v4, v5, v4, 0x7fff
                                        ; implicit-def: $vgpr5
; %bb.670:
	s_andn2_saveexec_b32 s15, s8
; %bb.671:
	v_mov_b32_e32 v4, 0
	v_or_b32_e32 v8, 0x10000, v5
	v_cmp_eq_u32_sdwa s8, v5, v4 src0_sel:WORD_0 src1_sel:DWORD
	v_cndmask_b32_e64 v4, v8, v5, s8
; %bb.672:
	s_or_b32 exec_lo, exec_lo, s15
	v_lshlrev_b32_e32 v5, 16, v27
	v_add_f32_e32 v8, 0, v5
	v_and_b32_e32 v5, 0x7f800000, v8
	v_cmp_ne_u32_e64 s8, 0x7f800000, v5
                                        ; implicit-def: $vgpr5
	s_and_saveexec_b32 s15, s8
	s_xor_b32 s8, exec_lo, s15
; %bb.673:
	v_bfe_u32 v5, v8, 16, 1
	v_add3_u32 v5, v8, v5, 0x7fff
                                        ; implicit-def: $vgpr8
; %bb.674:
	s_andn2_saveexec_b32 s15, s8
; %bb.675:
	v_mov_b32_e32 v5, 0
	v_or_b32_e32 v9, 0x10000, v8
	v_cmp_eq_u32_sdwa s8, v8, v5 src0_sel:WORD_0 src1_sel:DWORD
	v_cndmask_b32_e64 v5, v9, v8, s8
; %bb.676:
	s_or_b32 exec_lo, exec_lo, s15
	v_cmp_lt_i32_e64 s8, -1, v4
	v_perm_b32 v4, v5, v4, 0x7060302
	s_andn2_b32 s13, s13, exec_lo
	v_cndmask_b32_e64 v8, -1, 0xffff8000, s8
	v_cmp_lt_i32_e64 s8, -1, v5
	v_cndmask_b32_e64 v9, -1, 0xffff8000, s8
	v_perm_b32 v5, v9, v8, 0x5040100
	v_xor_b32_e32 v4, v5, v4
	v_cmp_le_u16_sdwa s8, v4, v4 src0_sel:DWORD src1_sel:WORD_1
	s_and_b32 s8, s8, exec_lo
	s_or_b32 s13, s13, s8
.LBB2057_677:
	s_or_b32 exec_lo, exec_lo, s9
	v_cndmask_b32_e64 v4, v30, v29, s13
	v_cndmask_b32_e64 v5, v52, v36, s13
	s_mov_b32 s15, -1
	s_mov_b32 s9, -1
	s_mov_b32 s16, exec_lo
	v_add_nc_u32_e32 v8, 1, v4
	v_add_nc_u32_e32 v5, -1, v5
	v_lshl_add_u32 v4, v4, 3, v13
	v_cndmask_b32_e64 v15, v8, v30, s13
	v_min_u32_e32 v5, v8, v5
	v_cndmask_b32_e64 v16, v29, v8, s13
	v_lshl_add_u32 v5, v5, 1, v10
	ds_read_u16 v9, v5
	ds_read_b64 v[4:5], v4 offset:4096
	s_waitcnt lgkmcnt(1)
	v_cndmask_b32_e64 v28, v9, v27, s13
	v_cndmask_b32_e64 v29, v14, v9, s13
	v_cmpx_lt_u32_e64 v15, v52
	s_cbranch_execz .LBB2057_689
; %bb.678:
	s_mov_b32 s17, 0
	s_mov_b32 s9, exec_lo
	v_cmpx_lt_u32_e64 v16, v36
	s_cbranch_execz .LBB2057_688
; %bb.679:
	v_lshlrev_b32_e32 v8, 16, v29
	v_add_f32_e32 v9, 0, v8
	v_and_b32_e32 v8, 0x7f800000, v9
	v_cmp_ne_u32_e64 s8, 0x7f800000, v8
                                        ; implicit-def: $vgpr8
	s_and_saveexec_b32 s17, s8
	s_xor_b32 s8, exec_lo, s17
; %bb.680:
	v_bfe_u32 v8, v9, 16, 1
	v_add3_u32 v8, v9, v8, 0x7fff
                                        ; implicit-def: $vgpr9
; %bb.681:
	s_andn2_saveexec_b32 s17, s8
; %bb.682:
	v_mov_b32_e32 v8, 0
	v_or_b32_e32 v17, 0x10000, v9
	v_cmp_eq_u32_sdwa s8, v9, v8 src0_sel:WORD_0 src1_sel:DWORD
	v_cndmask_b32_e64 v8, v17, v9, s8
; %bb.683:
	s_or_b32 exec_lo, exec_lo, s17
	v_lshlrev_b32_e32 v9, 16, v28
	v_add_f32_e32 v17, 0, v9
	v_and_b32_e32 v9, 0x7f800000, v17
	v_cmp_ne_u32_e64 s8, 0x7f800000, v9
                                        ; implicit-def: $vgpr9
	s_and_saveexec_b32 s17, s8
	s_xor_b32 s8, exec_lo, s17
; %bb.684:
	v_bfe_u32 v9, v17, 16, 1
	v_add3_u32 v9, v17, v9, 0x7fff
                                        ; implicit-def: $vgpr17
; %bb.685:
	s_andn2_saveexec_b32 s17, s8
; %bb.686:
	v_mov_b32_e32 v9, 0
	v_or_b32_e32 v18, 0x10000, v17
	v_cmp_eq_u32_sdwa s8, v17, v9 src0_sel:WORD_0 src1_sel:DWORD
	v_cndmask_b32_e64 v9, v18, v17, s8
; %bb.687:
	s_or_b32 exec_lo, exec_lo, s17
	v_cmp_lt_i32_e64 s8, -1, v8
	v_perm_b32 v8, v9, v8, 0x7060302
	v_cndmask_b32_e64 v17, -1, 0xffff8000, s8
	v_cmp_lt_i32_e64 s8, -1, v9
	v_cndmask_b32_e64 v18, -1, 0xffff8000, s8
	v_perm_b32 v9, v18, v17, 0x5040100
	v_xor_b32_e32 v8, v9, v8
	v_cmp_le_u16_sdwa s8, v8, v8 src0_sel:DWORD src1_sel:WORD_1
	s_and_b32 s17, s8, exec_lo
.LBB2057_688:
	s_or_b32 exec_lo, exec_lo, s9
	s_orn2_b32 s9, s17, exec_lo
.LBB2057_689:
	s_or_b32 exec_lo, exec_lo, s16
	v_cndmask_b32_e64 v8, v15, v16, s9
	v_cndmask_b32_e64 v9, v52, v36, s9
	s_mov_b32 s16, exec_lo
	v_add_nc_u32_e32 v18, 1, v8
	v_add_nc_u32_e32 v9, -1, v9
	v_lshl_add_u32 v8, v8, 3, v13
	v_cndmask_b32_e64 v17, v18, v15, s9
	v_min_u32_e32 v9, v18, v9
	v_cndmask_b32_e64 v18, v16, v18, s9
	v_lshl_add_u32 v9, v9, 1, v10
	ds_read_u16 v19, v9
	ds_read_b64 v[8:9], v8 offset:4096
	s_waitcnt lgkmcnt(1)
	v_cndmask_b32_e64 v30, v19, v28, s9
	v_cndmask_b32_e64 v31, v29, v19, s9
	v_cmpx_lt_u32_e64 v17, v52
	s_cbranch_execz .LBB2057_701
; %bb.690:
	s_mov_b32 s17, 0
	s_mov_b32 s15, exec_lo
	v_cmpx_lt_u32_e64 v18, v36
	s_cbranch_execz .LBB2057_700
; %bb.691:
	v_lshlrev_b32_e32 v15, 16, v31
	v_add_f32_e32 v16, 0, v15
	v_and_b32_e32 v15, 0x7f800000, v16
	v_cmp_ne_u32_e64 s8, 0x7f800000, v15
                                        ; implicit-def: $vgpr15
	s_and_saveexec_b32 s17, s8
	s_xor_b32 s8, exec_lo, s17
; %bb.692:
	v_bfe_u32 v15, v16, 16, 1
	v_add3_u32 v15, v16, v15, 0x7fff
                                        ; implicit-def: $vgpr16
; %bb.693:
	s_andn2_saveexec_b32 s17, s8
; %bb.694:
	v_mov_b32_e32 v15, 0
	v_or_b32_e32 v19, 0x10000, v16
	v_cmp_eq_u32_sdwa s8, v16, v15 src0_sel:WORD_0 src1_sel:DWORD
	v_cndmask_b32_e64 v15, v19, v16, s8
; %bb.695:
	s_or_b32 exec_lo, exec_lo, s17
	v_lshlrev_b32_e32 v16, 16, v30
	v_add_f32_e32 v19, 0, v16
	v_and_b32_e32 v16, 0x7f800000, v19
	v_cmp_ne_u32_e64 s8, 0x7f800000, v16
                                        ; implicit-def: $vgpr16
	s_and_saveexec_b32 s17, s8
	s_xor_b32 s8, exec_lo, s17
; %bb.696:
	v_bfe_u32 v16, v19, 16, 1
	v_add3_u32 v16, v19, v16, 0x7fff
                                        ; implicit-def: $vgpr19
; %bb.697:
	s_andn2_saveexec_b32 s17, s8
; %bb.698:
	v_mov_b32_e32 v16, 0
	v_or_b32_e32 v20, 0x10000, v19
	v_cmp_eq_u32_sdwa s8, v19, v16 src0_sel:WORD_0 src1_sel:DWORD
	v_cndmask_b32_e64 v16, v20, v19, s8
; %bb.699:
	s_or_b32 exec_lo, exec_lo, s17
	v_cmp_lt_i32_e64 s8, -1, v15
	v_perm_b32 v15, v16, v15, 0x7060302
	v_cndmask_b32_e64 v19, -1, 0xffff8000, s8
	v_cmp_lt_i32_e64 s8, -1, v16
	v_cndmask_b32_e64 v20, -1, 0xffff8000, s8
	v_perm_b32 v16, v20, v19, 0x5040100
	v_xor_b32_e32 v15, v16, v15
	v_cmp_le_u16_sdwa s8, v15, v15 src0_sel:DWORD src1_sel:WORD_1
	s_and_b32 s17, s8, exec_lo
.LBB2057_700:
	s_or_b32 exec_lo, exec_lo, s15
	s_orn2_b32 s15, s17, exec_lo
.LBB2057_701:
	s_or_b32 exec_lo, exec_lo, s16
	v_cndmask_b32_e64 v15, v17, v18, s15
	v_cndmask_b32_e64 v16, v52, v36, s15
	s_mov_b32 s17, -1
	s_mov_b32 s16, -1
	s_mov_b32 s18, exec_lo
	v_add_nc_u32_e32 v20, 1, v15
	v_add_nc_u32_e32 v16, -1, v16
	v_lshl_add_u32 v15, v15, 3, v13
	v_cndmask_b32_e64 v19, v20, v17, s15
	v_min_u32_e32 v16, v20, v16
	v_cndmask_b32_e64 v20, v18, v20, s15
	v_lshl_add_u32 v16, v16, 1, v10
	ds_read_u16 v21, v16
	ds_read_b64 v[15:16], v15 offset:4096
	s_waitcnt lgkmcnt(1)
	v_cndmask_b32_e64 v32, v21, v30, s15
	v_cndmask_b32_e64 v35, v31, v21, s15
	v_cmpx_lt_u32_e64 v19, v52
	s_cbranch_execz .LBB2057_713
; %bb.702:
	s_mov_b32 s19, 0
	s_mov_b32 s16, exec_lo
	v_cmpx_lt_u32_e64 v20, v36
	s_cbranch_execz .LBB2057_712
; %bb.703:
	v_lshlrev_b32_e32 v17, 16, v35
	v_add_f32_e32 v18, 0, v17
	v_and_b32_e32 v17, 0x7f800000, v18
	v_cmp_ne_u32_e64 s8, 0x7f800000, v17
                                        ; implicit-def: $vgpr17
	s_and_saveexec_b32 s19, s8
	s_xor_b32 s8, exec_lo, s19
; %bb.704:
	v_bfe_u32 v17, v18, 16, 1
	v_add3_u32 v17, v18, v17, 0x7fff
                                        ; implicit-def: $vgpr18
; %bb.705:
	s_andn2_saveexec_b32 s19, s8
; %bb.706:
	v_mov_b32_e32 v17, 0
	v_or_b32_e32 v21, 0x10000, v18
	v_cmp_eq_u32_sdwa s8, v18, v17 src0_sel:WORD_0 src1_sel:DWORD
	v_cndmask_b32_e64 v17, v21, v18, s8
; %bb.707:
	s_or_b32 exec_lo, exec_lo, s19
	v_lshlrev_b32_e32 v18, 16, v32
	v_add_f32_e32 v21, 0, v18
	v_and_b32_e32 v18, 0x7f800000, v21
	v_cmp_ne_u32_e64 s8, 0x7f800000, v18
                                        ; implicit-def: $vgpr18
	s_and_saveexec_b32 s19, s8
	s_xor_b32 s8, exec_lo, s19
; %bb.708:
	v_bfe_u32 v18, v21, 16, 1
	v_add3_u32 v18, v21, v18, 0x7fff
                                        ; implicit-def: $vgpr21
; %bb.709:
	s_andn2_saveexec_b32 s19, s8
; %bb.710:
	v_mov_b32_e32 v18, 0
	v_or_b32_e32 v22, 0x10000, v21
	v_cmp_eq_u32_sdwa s8, v21, v18 src0_sel:WORD_0 src1_sel:DWORD
	v_cndmask_b32_e64 v18, v22, v21, s8
; %bb.711:
	s_or_b32 exec_lo, exec_lo, s19
	v_cmp_lt_i32_e64 s8, -1, v17
	v_perm_b32 v17, v18, v17, 0x7060302
	v_cndmask_b32_e64 v21, -1, 0xffff8000, s8
	v_cmp_lt_i32_e64 s8, -1, v18
	v_cndmask_b32_e64 v22, -1, 0xffff8000, s8
	v_perm_b32 v18, v22, v21, 0x5040100
	v_xor_b32_e32 v17, v18, v17
	v_cmp_le_u16_sdwa s8, v17, v17 src0_sel:DWORD src1_sel:WORD_1
	s_and_b32 s19, s8, exec_lo
.LBB2057_712:
	s_or_b32 exec_lo, exec_lo, s16
	s_orn2_b32 s16, s19, exec_lo
.LBB2057_713:
	s_or_b32 exec_lo, exec_lo, s18
	v_cndmask_b32_e64 v17, v19, v20, s16
	v_cndmask_b32_e64 v18, v52, v36, s16
	s_mov_b32 s18, exec_lo
	v_add_nc_u32_e32 v22, 1, v17
	v_add_nc_u32_e32 v18, -1, v18
	v_lshl_add_u32 v17, v17, 3, v13
	v_cndmask_b32_e64 v21, v22, v19, s16
	v_min_u32_e32 v18, v22, v18
	v_cndmask_b32_e64 v22, v20, v22, s16
	v_lshl_add_u32 v18, v18, 1, v10
	ds_read_u16 v23, v18
	ds_read_b64 v[17:18], v17 offset:4096
	s_waitcnt lgkmcnt(1)
	v_cndmask_b32_e64 v37, v23, v32, s16
	v_cndmask_b32_e64 v38, v35, v23, s16
	v_cmpx_lt_u32_e64 v21, v52
	s_cbranch_execz .LBB2057_725
; %bb.714:
	s_mov_b32 s19, 0
	s_mov_b32 s17, exec_lo
	v_cmpx_lt_u32_e64 v22, v36
	s_cbranch_execz .LBB2057_724
; %bb.715:
	v_lshlrev_b32_e32 v19, 16, v38
	v_add_f32_e32 v20, 0, v19
	v_and_b32_e32 v19, 0x7f800000, v20
	v_cmp_ne_u32_e64 s8, 0x7f800000, v19
                                        ; implicit-def: $vgpr19
	s_and_saveexec_b32 s19, s8
	s_xor_b32 s8, exec_lo, s19
; %bb.716:
	v_bfe_u32 v19, v20, 16, 1
	v_add3_u32 v19, v20, v19, 0x7fff
                                        ; implicit-def: $vgpr20
; %bb.717:
	s_andn2_saveexec_b32 s19, s8
; %bb.718:
	v_mov_b32_e32 v19, 0
	v_or_b32_e32 v23, 0x10000, v20
	v_cmp_eq_u32_sdwa s8, v20, v19 src0_sel:WORD_0 src1_sel:DWORD
	v_cndmask_b32_e64 v19, v23, v20, s8
; %bb.719:
	s_or_b32 exec_lo, exec_lo, s19
	v_lshlrev_b32_e32 v20, 16, v37
	v_add_f32_e32 v23, 0, v20
	v_and_b32_e32 v20, 0x7f800000, v23
	v_cmp_ne_u32_e64 s8, 0x7f800000, v20
                                        ; implicit-def: $vgpr20
	s_and_saveexec_b32 s19, s8
	s_xor_b32 s8, exec_lo, s19
; %bb.720:
	v_bfe_u32 v20, v23, 16, 1
	v_add3_u32 v20, v23, v20, 0x7fff
                                        ; implicit-def: $vgpr23
; %bb.721:
	s_andn2_saveexec_b32 s19, s8
; %bb.722:
	v_mov_b32_e32 v20, 0
	v_or_b32_e32 v24, 0x10000, v23
	v_cmp_eq_u32_sdwa s8, v23, v20 src0_sel:WORD_0 src1_sel:DWORD
	v_cndmask_b32_e64 v20, v24, v23, s8
; %bb.723:
	s_or_b32 exec_lo, exec_lo, s19
	v_cmp_lt_i32_e64 s8, -1, v19
	v_perm_b32 v19, v20, v19, 0x7060302
	v_cndmask_b32_e64 v23, -1, 0xffff8000, s8
	v_cmp_lt_i32_e64 s8, -1, v20
	v_cndmask_b32_e64 v24, -1, 0xffff8000, s8
	v_perm_b32 v20, v24, v23, 0x5040100
	v_xor_b32_e32 v19, v20, v19
	v_cmp_le_u16_sdwa s8, v19, v19 src0_sel:DWORD src1_sel:WORD_1
	s_and_b32 s19, s8, exec_lo
.LBB2057_724:
	s_or_b32 exec_lo, exec_lo, s17
	s_orn2_b32 s17, s19, exec_lo
.LBB2057_725:
	s_or_b32 exec_lo, exec_lo, s18
	v_cndmask_b32_e64 v19, v21, v22, s17
	v_cndmask_b32_e64 v20, v52, v36, s17
	s_mov_b32 s19, -1
	s_mov_b32 s18, -1
	s_mov_b32 s20, exec_lo
	v_add_nc_u32_e32 v23, 1, v19
	v_add_nc_u32_e32 v20, -1, v20
	v_lshl_add_u32 v19, v19, 3, v13
	v_cndmask_b32_e64 v21, v23, v21, s17
	v_min_u32_e32 v20, v23, v20
	v_cndmask_b32_e64 v22, v22, v23, s17
	v_lshl_add_u32 v20, v20, 1, v10
	ds_read_u16 v24, v20
	ds_read_b64 v[19:20], v19 offset:4096
	s_waitcnt lgkmcnt(1)
	v_cndmask_b32_e64 v39, v24, v37, s17
	v_cndmask_b32_e64 v48, v38, v24, s17
	v_cmpx_lt_u32_e64 v21, v52
	s_cbranch_execz .LBB2057_737
; %bb.726:
	s_mov_b32 s21, 0
	s_mov_b32 s18, exec_lo
	v_cmpx_lt_u32_e64 v22, v36
	s_cbranch_execz .LBB2057_736
; %bb.727:
	v_lshlrev_b32_e32 v23, 16, v48
	v_add_f32_e32 v24, 0, v23
	v_and_b32_e32 v23, 0x7f800000, v24
	v_cmp_ne_u32_e64 s8, 0x7f800000, v23
                                        ; implicit-def: $vgpr23
	s_and_saveexec_b32 s21, s8
	s_xor_b32 s8, exec_lo, s21
; %bb.728:
	v_bfe_u32 v23, v24, 16, 1
	v_add3_u32 v23, v24, v23, 0x7fff
                                        ; implicit-def: $vgpr24
; %bb.729:
	s_andn2_saveexec_b32 s21, s8
; %bb.730:
	v_mov_b32_e32 v23, 0
	v_or_b32_e32 v25, 0x10000, v24
	v_cmp_eq_u32_sdwa s8, v24, v23 src0_sel:WORD_0 src1_sel:DWORD
	v_cndmask_b32_e64 v23, v25, v24, s8
; %bb.731:
	s_or_b32 exec_lo, exec_lo, s21
	v_lshlrev_b32_e32 v24, 16, v39
	v_add_f32_e32 v25, 0, v24
	v_and_b32_e32 v24, 0x7f800000, v25
	v_cmp_ne_u32_e64 s8, 0x7f800000, v24
                                        ; implicit-def: $vgpr24
	s_and_saveexec_b32 s21, s8
	s_xor_b32 s8, exec_lo, s21
; %bb.732:
	v_bfe_u32 v24, v25, 16, 1
	v_add3_u32 v24, v25, v24, 0x7fff
                                        ; implicit-def: $vgpr25
; %bb.733:
	s_andn2_saveexec_b32 s21, s8
; %bb.734:
	v_mov_b32_e32 v24, 0
	v_or_b32_e32 v26, 0x10000, v25
	v_cmp_eq_u32_sdwa s8, v25, v24 src0_sel:WORD_0 src1_sel:DWORD
	v_cndmask_b32_e64 v24, v26, v25, s8
; %bb.735:
	s_or_b32 exec_lo, exec_lo, s21
	v_cmp_lt_i32_e64 s8, -1, v23
	v_perm_b32 v23, v24, v23, 0x7060302
	v_cndmask_b32_e64 v25, -1, 0xffff8000, s8
	v_cmp_lt_i32_e64 s8, -1, v24
	v_cndmask_b32_e64 v26, -1, 0xffff8000, s8
	v_perm_b32 v24, v26, v25, 0x5040100
	v_xor_b32_e32 v23, v24, v23
	v_cmp_le_u16_sdwa s8, v23, v23 src0_sel:DWORD src1_sel:WORD_1
	s_and_b32 s21, s8, exec_lo
.LBB2057_736:
	s_or_b32 exec_lo, exec_lo, s18
	s_orn2_b32 s18, s21, exec_lo
.LBB2057_737:
	s_or_b32 exec_lo, exec_lo, s20
	v_cndmask_b32_e64 v23, v21, v22, s18
	v_cndmask_b32_e64 v24, v52, v36, s18
	s_mov_b32 s20, exec_lo
	v_add_nc_u32_e32 v26, 1, v23
	v_add_nc_u32_e32 v24, -1, v24
	v_lshl_add_u32 v23, v23, 3, v13
	v_cndmask_b32_e64 v25, v26, v21, s18
	v_min_u32_e32 v24, v26, v24
	v_cndmask_b32_e64 v26, v22, v26, s18
	v_lshl_add_u32 v24, v24, 1, v10
	ds_read_u16 v50, v24
	ds_read_b64 v[23:24], v23 offset:4096
	s_waitcnt lgkmcnt(1)
	v_cndmask_b32_e64 v49, v50, v39, s18
	v_cndmask_b32_e64 v50, v48, v50, s18
	v_cmpx_lt_u32_e64 v25, v52
	s_cbranch_execz .LBB2057_749
; %bb.738:
	s_mov_b32 s21, 0
	s_mov_b32 s19, exec_lo
	v_cmpx_lt_u32_e64 v26, v36
	s_cbranch_execz .LBB2057_748
; %bb.739:
	v_lshlrev_b32_e32 v21, 16, v50
	v_add_f32_e32 v22, 0, v21
	v_and_b32_e32 v21, 0x7f800000, v22
	v_cmp_ne_u32_e64 s8, 0x7f800000, v21
                                        ; implicit-def: $vgpr21
	s_and_saveexec_b32 s21, s8
	s_xor_b32 s8, exec_lo, s21
; %bb.740:
	v_bfe_u32 v21, v22, 16, 1
	v_add3_u32 v21, v22, v21, 0x7fff
                                        ; implicit-def: $vgpr22
; %bb.741:
	s_andn2_saveexec_b32 s21, s8
; %bb.742:
	v_mov_b32_e32 v21, 0
	v_or_b32_e32 v51, 0x10000, v22
	v_cmp_eq_u32_sdwa s8, v22, v21 src0_sel:WORD_0 src1_sel:DWORD
	v_cndmask_b32_e64 v21, v51, v22, s8
; %bb.743:
	s_or_b32 exec_lo, exec_lo, s21
	v_lshlrev_b32_e32 v22, 16, v49
	v_add_f32_e32 v51, 0, v22
	v_and_b32_e32 v22, 0x7f800000, v51
	v_cmp_ne_u32_e64 s8, 0x7f800000, v22
                                        ; implicit-def: $vgpr22
	s_and_saveexec_b32 s21, s8
	s_xor_b32 s8, exec_lo, s21
; %bb.744:
	v_bfe_u32 v22, v51, 16, 1
	v_add3_u32 v22, v51, v22, 0x7fff
                                        ; implicit-def: $vgpr51
; %bb.745:
	s_andn2_saveexec_b32 s21, s8
; %bb.746:
	v_mov_b32_e32 v22, 0
	v_or_b32_e32 v53, 0x10000, v51
	v_cmp_eq_u32_sdwa s8, v51, v22 src0_sel:WORD_0 src1_sel:DWORD
	v_cndmask_b32_e64 v22, v53, v51, s8
; %bb.747:
	s_or_b32 exec_lo, exec_lo, s21
	v_cmp_lt_i32_e64 s8, -1, v21
	v_perm_b32 v21, v22, v21, 0x7060302
	v_cndmask_b32_e64 v51, -1, 0xffff8000, s8
	v_cmp_lt_i32_e64 s8, -1, v22
	v_cndmask_b32_e64 v53, -1, 0xffff8000, s8
	v_perm_b32 v22, v53, v51, 0x5040100
	v_xor_b32_e32 v21, v22, v21
	v_cmp_le_u16_sdwa s8, v21, v21 src0_sel:DWORD src1_sel:WORD_1
	s_and_b32 s21, s8, exec_lo
.LBB2057_748:
	s_or_b32 exec_lo, exec_lo, s19
	s_orn2_b32 s19, s21, exec_lo
.LBB2057_749:
	s_or_b32 exec_lo, exec_lo, s20
	v_cndmask_b32_e64 v21, v25, v26, s19
	v_cndmask_b32_e64 v22, v52, v36, s19
	s_mov_b32 s21, -1
	s_mov_b32 s20, exec_lo
	v_add_nc_u32_e32 v51, 1, v21
	v_add_nc_u32_e32 v22, -1, v22
	v_cndmask_b32_e64 v25, v51, v25, s19
	v_min_u32_e32 v22, v51, v22
	v_cndmask_b32_e64 v26, v26, v51, s19
	v_lshl_add_u32 v10, v22, 1, v10
	ds_read_u16 v53, v10
	v_lshl_add_u32 v10, v21, 3, v13
	ds_read_b64 v[21:22], v10 offset:4096
	s_waitcnt lgkmcnt(1)
	v_cndmask_b32_e64 v10, v53, v49, s19
	v_cndmask_b32_e64 v53, v50, v53, s19
	v_cmpx_lt_u32_e64 v25, v52
	s_cbranch_execz .LBB2057_761
; %bb.750:
	s_mov_b32 s22, 0
	s_mov_b32 s21, exec_lo
	v_cmpx_lt_u32_e64 v26, v36
	s_cbranch_execz .LBB2057_760
; %bb.751:
	v_lshlrev_b32_e32 v36, 16, v53
	v_add_f32_e32 v51, 0, v36
	v_and_b32_e32 v36, 0x7f800000, v51
	v_cmp_ne_u32_e64 s8, 0x7f800000, v36
                                        ; implicit-def: $vgpr36
	s_and_saveexec_b32 s22, s8
	s_xor_b32 s8, exec_lo, s22
; %bb.752:
	v_bfe_u32 v36, v51, 16, 1
	v_add3_u32 v36, v51, v36, 0x7fff
                                        ; implicit-def: $vgpr51
; %bb.753:
	s_andn2_saveexec_b32 s22, s8
; %bb.754:
	v_mov_b32_e32 v36, 0
	v_or_b32_e32 v52, 0x10000, v51
	v_cmp_eq_u32_sdwa s8, v51, v36 src0_sel:WORD_0 src1_sel:DWORD
	v_cndmask_b32_e64 v36, v52, v51, s8
; %bb.755:
	s_or_b32 exec_lo, exec_lo, s22
	v_lshlrev_b32_e32 v51, 16, v10
	v_add_f32_e32 v52, 0, v51
	v_and_b32_e32 v51, 0x7f800000, v52
	v_cmp_ne_u32_e64 s8, 0x7f800000, v51
                                        ; implicit-def: $vgpr51
	s_and_saveexec_b32 s22, s8
	s_xor_b32 s8, exec_lo, s22
; %bb.756:
	v_bfe_u32 v51, v52, 16, 1
	v_add3_u32 v51, v52, v51, 0x7fff
                                        ; implicit-def: $vgpr52
; %bb.757:
	s_andn2_saveexec_b32 s22, s8
; %bb.758:
	v_mov_b32_e32 v51, 0
	v_or_b32_e32 v54, 0x10000, v52
	v_cmp_eq_u32_sdwa s8, v52, v51 src0_sel:WORD_0 src1_sel:DWORD
	v_cndmask_b32_e64 v51, v54, v52, s8
; %bb.759:
	s_or_b32 exec_lo, exec_lo, s22
	v_cmp_lt_i32_e64 s8, -1, v36
	v_perm_b32 v36, v51, v36, 0x7060302
	v_cndmask_b32_e64 v52, -1, 0xffff8000, s8
	v_cmp_lt_i32_e64 s8, -1, v51
	v_cndmask_b32_e64 v54, -1, 0xffff8000, s8
	v_perm_b32 v51, v54, v52, 0x5040100
	v_xor_b32_e32 v36, v51, v36
	v_cmp_le_u16_sdwa s8, v36, v36 src0_sel:DWORD src1_sel:WORD_1
	s_and_b32 s22, s8, exec_lo
.LBB2057_760:
	s_or_b32 exec_lo, exec_lo, s21
	s_orn2_b32 s21, s22, exec_lo
.LBB2057_761:
	s_or_b32 exec_lo, exec_lo, s20
	v_cndmask_b32_e64 v25, v25, v26, s21
	v_cndmask_b32_e64 v50, v49, v50, s19
	;; [unrolled: 1-line block ×5, first 2 shown]
	v_lshl_add_u32 v13, v25, 3, v13
	v_cndmask_b32_e64 v32, v30, v31, s15
	v_cndmask_b32_e64 v48, v28, v29, s9
	;; [unrolled: 1-line block ×4, first 2 shown]
	ds_read_b64 v[25:26], v13 offset:4096
.LBB2057_762:
	s_or_b32 exec_lo, exec_lo, s12
	v_add_co_u32 v2, s8, v2, v11
	v_add_co_ci_u32_e64 v3, null, v3, v12, s8
	v_add_co_u32 v2, s8, v2, v33
	v_add_co_ci_u32_e64 v3, null, 0, v3, s8
	; wave barrier
	s_waitcnt lgkmcnt(0)
	s_waitcnt_vscnt null, 0x0
	s_barrier
	buffer_gl0_inv
	; wave barrier
	s_and_saveexec_b32 s8, vcc_lo
	s_cbranch_execnz .LBB2057_780
; %bb.763:
	s_or_b32 exec_lo, exec_lo, s8
	s_and_saveexec_b32 s8, s4
	s_cbranch_execnz .LBB2057_781
.LBB2057_764:
	s_or_b32 exec_lo, exec_lo, s8
	s_and_saveexec_b32 s8, s5
	s_cbranch_execnz .LBB2057_782
.LBB2057_765:
	s_or_b32 exec_lo, exec_lo, s8
	s_and_saveexec_b32 s8, s6
	s_cbranch_execnz .LBB2057_783
.LBB2057_766:
	s_or_b32 exec_lo, exec_lo, s8
	s_and_saveexec_b32 s8, s7
	s_cbranch_execnz .LBB2057_784
.LBB2057_767:
	s_or_b32 exec_lo, exec_lo, s8
	s_and_saveexec_b32 s8, s10
	s_cbranch_execnz .LBB2057_785
.LBB2057_768:
	s_or_b32 exec_lo, exec_lo, s8
	s_and_saveexec_b32 s8, s11
	s_cbranch_execnz .LBB2057_786
.LBB2057_769:
	s_or_b32 exec_lo, exec_lo, s8
	s_and_saveexec_b32 s8, s14
	s_cbranch_execz .LBB2057_771
.LBB2057_770:
	flat_store_short v[2:3], v38 offset:14
.LBB2057_771:
	s_or_b32 exec_lo, exec_lo, s8
	v_add_co_u32 v0, s8, v6, v0
	v_add_co_ci_u32_e64 v1, null, v7, v1, s8
	v_add_co_u32 v0, s8, v0, v34
	v_add_co_ci_u32_e64 v1, null, 0, v1, s8
	; wave barrier
	s_and_saveexec_b32 s8, vcc_lo
	s_cbranch_execnz .LBB2057_787
; %bb.772:
	s_or_b32 exec_lo, exec_lo, s8
	s_and_saveexec_b32 s8, s4
	s_cbranch_execnz .LBB2057_788
.LBB2057_773:
	s_or_b32 exec_lo, exec_lo, s8
	s_and_saveexec_b32 s4, s5
	s_cbranch_execnz .LBB2057_789
.LBB2057_774:
	s_or_b32 exec_lo, exec_lo, s4
	s_and_saveexec_b32 s4, s6
	s_cbranch_execnz .LBB2057_790
.LBB2057_775:
	s_or_b32 exec_lo, exec_lo, s4
	s_and_saveexec_b32 s4, s7
	s_cbranch_execnz .LBB2057_791
.LBB2057_776:
	s_or_b32 exec_lo, exec_lo, s4
	s_and_saveexec_b32 s4, s10
	s_cbranch_execnz .LBB2057_792
.LBB2057_777:
	s_or_b32 exec_lo, exec_lo, s4
	s_and_saveexec_b32 s4, s11
	s_cbranch_execnz .LBB2057_793
.LBB2057_778:
	s_or_b32 exec_lo, exec_lo, s4
	s_and_saveexec_b32 s4, s14
	s_cbranch_execnz .LBB2057_794
.LBB2057_779:
	s_or_b32 exec_lo, exec_lo, s4
	s_waitcnt lgkmcnt(0)
	s_setpc_b64 s[30:31]
.LBB2057_780:
	flat_store_short v[2:3], v37
	s_or_b32 exec_lo, exec_lo, s8
	s_and_saveexec_b32 s8, s4
	s_cbranch_execz .LBB2057_764
.LBB2057_781:
	flat_store_short v[2:3], v48 offset:2
	s_or_b32 exec_lo, exec_lo, s8
	s_and_saveexec_b32 s8, s5
	s_cbranch_execz .LBB2057_765
.LBB2057_782:
	flat_store_short v[2:3], v32 offset:4
	s_or_b32 exec_lo, exec_lo, s8
	s_and_saveexec_b32 s8, s6
	s_cbranch_execz .LBB2057_766
.LBB2057_783:
	flat_store_short v[2:3], v51 offset:6
	s_or_b32 exec_lo, exec_lo, s8
	s_and_saveexec_b32 s8, s7
	s_cbranch_execz .LBB2057_767
.LBB2057_784:
	flat_store_short v[2:3], v49 offset:8
	s_or_b32 exec_lo, exec_lo, s8
	s_and_saveexec_b32 s8, s10
	s_cbranch_execz .LBB2057_768
.LBB2057_785:
	flat_store_short v[2:3], v39 offset:10
	s_or_b32 exec_lo, exec_lo, s8
	s_and_saveexec_b32 s8, s11
	s_cbranch_execz .LBB2057_769
.LBB2057_786:
	flat_store_short v[2:3], v50 offset:12
	s_or_b32 exec_lo, exec_lo, s8
	s_and_saveexec_b32 s8, s14
	s_cbranch_execnz .LBB2057_770
	s_branch .LBB2057_771
.LBB2057_787:
	flat_store_dwordx2 v[0:1], v[4:5]
	s_or_b32 exec_lo, exec_lo, s8
	s_and_saveexec_b32 s8, s4
	s_cbranch_execz .LBB2057_773
.LBB2057_788:
	flat_store_dwordx2 v[0:1], v[8:9] offset:8
	s_or_b32 exec_lo, exec_lo, s8
	s_and_saveexec_b32 s4, s5
	s_cbranch_execz .LBB2057_774
.LBB2057_789:
	flat_store_dwordx2 v[0:1], v[15:16] offset:16
	s_or_b32 exec_lo, exec_lo, s4
	s_and_saveexec_b32 s4, s6
	s_cbranch_execz .LBB2057_775
.LBB2057_790:
	flat_store_dwordx2 v[0:1], v[17:18] offset:24
	s_or_b32 exec_lo, exec_lo, s4
	s_and_saveexec_b32 s4, s7
	s_cbranch_execz .LBB2057_776
.LBB2057_791:
	flat_store_dwordx2 v[0:1], v[19:20] offset:32
	s_or_b32 exec_lo, exec_lo, s4
	s_and_saveexec_b32 s4, s10
	s_cbranch_execz .LBB2057_777
.LBB2057_792:
	flat_store_dwordx2 v[0:1], v[23:24] offset:40
	s_or_b32 exec_lo, exec_lo, s4
	s_and_saveexec_b32 s4, s11
	s_cbranch_execz .LBB2057_778
.LBB2057_793:
	flat_store_dwordx2 v[0:1], v[21:22] offset:48
	s_or_b32 exec_lo, exec_lo, s4
	s_and_saveexec_b32 s4, s14
	s_cbranch_execz .LBB2057_779
.LBB2057_794:
	flat_store_dwordx2 v[0:1], v[25:26] offset:56
	s_or_b32 exec_lo, exec_lo, s4
	s_waitcnt lgkmcnt(0)
	s_setpc_b64 s[30:31]
.Lfunc_end2057:
	.size	_ZN7rocprim17ROCPRIM_400000_NS6detail26segmented_warp_sort_helperINS1_20WarpSortHelperConfigILj16ELj8ELj256EEE12hip_bfloat16lLi256ELb0EvE4sortIPKS5_PS5_PKlPlEEvT_T0_T1_T2_jjjjRNS6_12storage_typeE, .Lfunc_end2057-_ZN7rocprim17ROCPRIM_400000_NS6detail26segmented_warp_sort_helperINS1_20WarpSortHelperConfigILj16ELj8ELj256EEE12hip_bfloat16lLi256ELb0EvE4sortIPKS5_PS5_PKlPlEEvT_T0_T1_T2_jjjjRNS6_12storage_typeE
                                        ; -- End function
	.set .L_ZN7rocprim17ROCPRIM_400000_NS6detail26segmented_warp_sort_helperINS1_20WarpSortHelperConfigILj16ELj8ELj256EEE12hip_bfloat16lLi256ELb0EvE4sortIPKS5_PS5_PKlPlEEvT_T0_T1_T2_jjjjRNS6_12storage_typeE.num_vgpr, 82
	.set .L_ZN7rocprim17ROCPRIM_400000_NS6detail26segmented_warp_sort_helperINS1_20WarpSortHelperConfigILj16ELj8ELj256EEE12hip_bfloat16lLi256ELb0EvE4sortIPKS5_PS5_PKlPlEEvT_T0_T1_T2_jjjjRNS6_12storage_typeE.num_agpr, 0
	.set .L_ZN7rocprim17ROCPRIM_400000_NS6detail26segmented_warp_sort_helperINS1_20WarpSortHelperConfigILj16ELj8ELj256EEE12hip_bfloat16lLi256ELb0EvE4sortIPKS5_PS5_PKlPlEEvT_T0_T1_T2_jjjjRNS6_12storage_typeE.numbered_sgpr, 32
	.set .L_ZN7rocprim17ROCPRIM_400000_NS6detail26segmented_warp_sort_helperINS1_20WarpSortHelperConfigILj16ELj8ELj256EEE12hip_bfloat16lLi256ELb0EvE4sortIPKS5_PS5_PKlPlEEvT_T0_T1_T2_jjjjRNS6_12storage_typeE.num_named_barrier, 0
	.set .L_ZN7rocprim17ROCPRIM_400000_NS6detail26segmented_warp_sort_helperINS1_20WarpSortHelperConfigILj16ELj8ELj256EEE12hip_bfloat16lLi256ELb0EvE4sortIPKS5_PS5_PKlPlEEvT_T0_T1_T2_jjjjRNS6_12storage_typeE.private_seg_size, 0
	.set .L_ZN7rocprim17ROCPRIM_400000_NS6detail26segmented_warp_sort_helperINS1_20WarpSortHelperConfigILj16ELj8ELj256EEE12hip_bfloat16lLi256ELb0EvE4sortIPKS5_PS5_PKlPlEEvT_T0_T1_T2_jjjjRNS6_12storage_typeE.uses_vcc, 1
	.set .L_ZN7rocprim17ROCPRIM_400000_NS6detail26segmented_warp_sort_helperINS1_20WarpSortHelperConfigILj16ELj8ELj256EEE12hip_bfloat16lLi256ELb0EvE4sortIPKS5_PS5_PKlPlEEvT_T0_T1_T2_jjjjRNS6_12storage_typeE.uses_flat_scratch, 0
	.set .L_ZN7rocprim17ROCPRIM_400000_NS6detail26segmented_warp_sort_helperINS1_20WarpSortHelperConfigILj16ELj8ELj256EEE12hip_bfloat16lLi256ELb0EvE4sortIPKS5_PS5_PKlPlEEvT_T0_T1_T2_jjjjRNS6_12storage_typeE.has_dyn_sized_stack, 0
	.set .L_ZN7rocprim17ROCPRIM_400000_NS6detail26segmented_warp_sort_helperINS1_20WarpSortHelperConfigILj16ELj8ELj256EEE12hip_bfloat16lLi256ELb0EvE4sortIPKS5_PS5_PKlPlEEvT_T0_T1_T2_jjjjRNS6_12storage_typeE.has_recursion, 0
	.set .L_ZN7rocprim17ROCPRIM_400000_NS6detail26segmented_warp_sort_helperINS1_20WarpSortHelperConfigILj16ELj8ELj256EEE12hip_bfloat16lLi256ELb0EvE4sortIPKS5_PS5_PKlPlEEvT_T0_T1_T2_jjjjRNS6_12storage_typeE.has_indirect_call, 0
	.section	.AMDGPU.csdata,"",@progbits
; Function info:
; codeLenInByte = 25732
; TotalNumSgprs: 34
; NumVgprs: 82
; ScratchSize: 0
; MemoryBound: 0
	.section	.text._ZN7rocprim17ROCPRIM_400000_NS6detail17trampoline_kernelINS0_14default_configENS1_36segmented_radix_sort_config_selectorI12hip_bfloat16lEEZNS1_25segmented_radix_sort_implIS3_Lb0EPKS5_PS5_PKlPlN2at6native12_GLOBAL__N_18offset_tEEE10hipError_tPvRmT1_PNSt15iterator_traitsISL_E10value_typeET2_T3_PNSM_ISR_E10value_typeET4_jRbjT5_SX_jjP12ihipStream_tbEUlT_E0_NS1_11comp_targetILNS1_3genE8ELNS1_11target_archE1030ELNS1_3gpuE2ELNS1_3repE0EEENS1_60segmented_radix_sort_warp_sort_medium_config_static_selectorELNS0_4arch9wavefront6targetE0EEEvSL_,"axG",@progbits,_ZN7rocprim17ROCPRIM_400000_NS6detail17trampoline_kernelINS0_14default_configENS1_36segmented_radix_sort_config_selectorI12hip_bfloat16lEEZNS1_25segmented_radix_sort_implIS3_Lb0EPKS5_PS5_PKlPlN2at6native12_GLOBAL__N_18offset_tEEE10hipError_tPvRmT1_PNSt15iterator_traitsISL_E10value_typeET2_T3_PNSM_ISR_E10value_typeET4_jRbjT5_SX_jjP12ihipStream_tbEUlT_E0_NS1_11comp_targetILNS1_3genE8ELNS1_11target_archE1030ELNS1_3gpuE2ELNS1_3repE0EEENS1_60segmented_radix_sort_warp_sort_medium_config_static_selectorELNS0_4arch9wavefront6targetE0EEEvSL_,comdat
	.globl	_ZN7rocprim17ROCPRIM_400000_NS6detail17trampoline_kernelINS0_14default_configENS1_36segmented_radix_sort_config_selectorI12hip_bfloat16lEEZNS1_25segmented_radix_sort_implIS3_Lb0EPKS5_PS5_PKlPlN2at6native12_GLOBAL__N_18offset_tEEE10hipError_tPvRmT1_PNSt15iterator_traitsISL_E10value_typeET2_T3_PNSM_ISR_E10value_typeET4_jRbjT5_SX_jjP12ihipStream_tbEUlT_E0_NS1_11comp_targetILNS1_3genE8ELNS1_11target_archE1030ELNS1_3gpuE2ELNS1_3repE0EEENS1_60segmented_radix_sort_warp_sort_medium_config_static_selectorELNS0_4arch9wavefront6targetE0EEEvSL_ ; -- Begin function _ZN7rocprim17ROCPRIM_400000_NS6detail17trampoline_kernelINS0_14default_configENS1_36segmented_radix_sort_config_selectorI12hip_bfloat16lEEZNS1_25segmented_radix_sort_implIS3_Lb0EPKS5_PS5_PKlPlN2at6native12_GLOBAL__N_18offset_tEEE10hipError_tPvRmT1_PNSt15iterator_traitsISL_E10value_typeET2_T3_PNSM_ISR_E10value_typeET4_jRbjT5_SX_jjP12ihipStream_tbEUlT_E0_NS1_11comp_targetILNS1_3genE8ELNS1_11target_archE1030ELNS1_3gpuE2ELNS1_3repE0EEENS1_60segmented_radix_sort_warp_sort_medium_config_static_selectorELNS0_4arch9wavefront6targetE0EEEvSL_
	.p2align	8
	.type	_ZN7rocprim17ROCPRIM_400000_NS6detail17trampoline_kernelINS0_14default_configENS1_36segmented_radix_sort_config_selectorI12hip_bfloat16lEEZNS1_25segmented_radix_sort_implIS3_Lb0EPKS5_PS5_PKlPlN2at6native12_GLOBAL__N_18offset_tEEE10hipError_tPvRmT1_PNSt15iterator_traitsISL_E10value_typeET2_T3_PNSM_ISR_E10value_typeET4_jRbjT5_SX_jjP12ihipStream_tbEUlT_E0_NS1_11comp_targetILNS1_3genE8ELNS1_11target_archE1030ELNS1_3gpuE2ELNS1_3repE0EEENS1_60segmented_radix_sort_warp_sort_medium_config_static_selectorELNS0_4arch9wavefront6targetE0EEEvSL_,@function
_ZN7rocprim17ROCPRIM_400000_NS6detail17trampoline_kernelINS0_14default_configENS1_36segmented_radix_sort_config_selectorI12hip_bfloat16lEEZNS1_25segmented_radix_sort_implIS3_Lb0EPKS5_PS5_PKlPlN2at6native12_GLOBAL__N_18offset_tEEE10hipError_tPvRmT1_PNSt15iterator_traitsISL_E10value_typeET2_T3_PNSM_ISR_E10value_typeET4_jRbjT5_SX_jjP12ihipStream_tbEUlT_E0_NS1_11comp_targetILNS1_3genE8ELNS1_11target_archE1030ELNS1_3gpuE2ELNS1_3repE0EEENS1_60segmented_radix_sort_warp_sort_medium_config_static_selectorELNS0_4arch9wavefront6targetE0EEEvSL_: ; @_ZN7rocprim17ROCPRIM_400000_NS6detail17trampoline_kernelINS0_14default_configENS1_36segmented_radix_sort_config_selectorI12hip_bfloat16lEEZNS1_25segmented_radix_sort_implIS3_Lb0EPKS5_PS5_PKlPlN2at6native12_GLOBAL__N_18offset_tEEE10hipError_tPvRmT1_PNSt15iterator_traitsISL_E10value_typeET2_T3_PNSM_ISR_E10value_typeET4_jRbjT5_SX_jjP12ihipStream_tbEUlT_E0_NS1_11comp_targetILNS1_3genE8ELNS1_11target_archE1030ELNS1_3gpuE2ELNS1_3repE0EEENS1_60segmented_radix_sort_warp_sort_medium_config_static_selectorELNS0_4arch9wavefront6targetE0EEEvSL_
; %bb.0:
	s_add_u32 s0, s0, s8
	s_load_dword s8, s[4:5], 0x64
	s_addc_u32 s1, s1, 0
	s_mov_b32 s32, 0
	s_waitcnt lgkmcnt(0)
	s_lshr_b32 s9, s8, 16
	s_and_b32 s8, s8, 0xffff
	v_mad_u32_u24 v3, v2, s9, v1
	s_load_dword s9, s[4:5], 0x34
	v_mad_u64_u32 v[3:4], null, v3, s8, v[0:1]
	s_mov_b32 s8, exec_lo
	v_lshrrev_b32_e32 v3, 4, v3
	v_lshl_add_u32 v3, s6, 4, v3
	s_waitcnt lgkmcnt(0)
	v_cmpx_gt_u32_e64 s9, v3
	s_cbranch_execz .LBB2058_6
; %bb.1:
	s_clause 0x1
	s_load_dwordx2 s[12:13], s[4:5], 0x38
	s_load_dwordx4 s[8:11], s[4:5], 0x40
	v_mov_b32_e32 v4, 0
	v_lshlrev_b64 v[3:4], 2, v[3:4]
	s_waitcnt lgkmcnt(0)
	v_add_co_u32 v3, vcc_lo, s12, v3
	v_add_co_ci_u32_e64 v4, null, s13, v4, vcc_lo
	global_load_dword v3, v[3:4], off
	s_waitcnt vmcnt(0)
	v_add_nc_u32_e32 v4, s9, v3
	v_add_nc_u32_e32 v3, s11, v3
	v_mul_lo_u32 v40, v4, s8
	v_mul_lo_u32 v41, v3, s10
	v_cmp_gt_u32_e32 vcc_lo, v41, v40
	s_and_b32 exec_lo, exec_lo, vcc_lo
	s_cbranch_execz .LBB2058_6
; %bb.2:
	s_clause 0x2
	s_load_dword s8, s[4:5], 0x30
	s_load_dwordx4 s[24:27], s[4:5], 0x20
	s_load_dwordx8 s[36:43], s[4:5], 0x0
	v_lshlrev_b32_e32 v43, 20, v2
	v_lshlrev_b32_e32 v44, 10, v1
	s_waitcnt lgkmcnt(0)
	s_bitcmp0_b32 s8, 0
	s_mov_b32 s8, -1
	s_cbranch_scc0 .LBB2058_4
; %bb.3:
	v_or3_b32 v31, v0, v44, v43
	v_mov_b32_e32 v42, v0
	v_mov_b32_e32 v0, s36
	;; [unrolled: 1-line block ×11, first 2 shown]
	s_add_u32 s8, s4, 0x58
	s_addc_u32 s9, s5, 0
	s_getpc_b64 s[10:11]
	s_add_u32 s10, s10, _ZN7rocprim17ROCPRIM_400000_NS6detail26segmented_warp_sort_helperINS1_20WarpSortHelperConfigILj16ELj8ELj256EEE12hip_bfloat16lLi256ELb0EvE4sortIPKS5_PS5_PKlPlEEvT_T0_T1_T2_jjjjRNS6_12storage_typeE@rel32@lo+4
	s_addc_u32 s11, s11, _ZN7rocprim17ROCPRIM_400000_NS6detail26segmented_warp_sort_helperINS1_20WarpSortHelperConfigILj16ELj8ELj256EEE12hip_bfloat16lLi256ELb0EvE4sortIPKS5_PS5_PKlPlEEvT_T0_T1_T2_jjjjRNS6_12storage_typeE@rel32@hi+12
	s_mov_b32 s12, s6
	s_mov_b32 s13, s7
	s_mov_b64 s[24:25], s[4:5]
	s_mov_b32 s23, s7
	s_mov_b32 s28, s6
	s_swappc_b64 s[30:31], s[10:11]
	v_mov_b32_e32 v0, v42
	s_mov_b32 s6, s28
	s_mov_b32 s7, s23
	s_mov_b64 s[4:5], s[24:25]
	s_mov_b32 s8, 0
.LBB2058_4:
	s_andn2_b32 vcc_lo, exec_lo, s8
	s_cbranch_vccnz .LBB2058_6
; %bb.5:
	v_or3_b32 v31, v0, v44, v43
	v_mov_b32_e32 v0, s36
	v_mov_b32_e32 v1, s37
	;; [unrolled: 1-line block ×10, first 2 shown]
	s_add_u32 s8, s4, 0x58
	s_addc_u32 s9, s5, 0
	s_getpc_b64 s[4:5]
	s_add_u32 s4, s4, _ZN7rocprim17ROCPRIM_400000_NS6detail26segmented_warp_sort_helperINS1_20WarpSortHelperConfigILj16ELj8ELj256EEE12hip_bfloat16lLi256ELb0EvE4sortIPKS5_PS5_PKlPlEEvT_T0_T1_T2_jjjjRNS6_12storage_typeE@rel32@lo+4
	s_addc_u32 s5, s5, _ZN7rocprim17ROCPRIM_400000_NS6detail26segmented_warp_sort_helperINS1_20WarpSortHelperConfigILj16ELj8ELj256EEE12hip_bfloat16lLi256ELb0EvE4sortIPKS5_PS5_PKlPlEEvT_T0_T1_T2_jjjjRNS6_12storage_typeE@rel32@hi+12
	s_mov_b32 s12, s6
	s_mov_b32 s13, s7
	s_swappc_b64 s[30:31], s[4:5]
.LBB2058_6:
	s_endpgm
	.section	.rodata,"a",@progbits
	.p2align	6, 0x0
	.amdhsa_kernel _ZN7rocprim17ROCPRIM_400000_NS6detail17trampoline_kernelINS0_14default_configENS1_36segmented_radix_sort_config_selectorI12hip_bfloat16lEEZNS1_25segmented_radix_sort_implIS3_Lb0EPKS5_PS5_PKlPlN2at6native12_GLOBAL__N_18offset_tEEE10hipError_tPvRmT1_PNSt15iterator_traitsISL_E10value_typeET2_T3_PNSM_ISR_E10value_typeET4_jRbjT5_SX_jjP12ihipStream_tbEUlT_E0_NS1_11comp_targetILNS1_3genE8ELNS1_11target_archE1030ELNS1_3gpuE2ELNS1_3repE0EEENS1_60segmented_radix_sort_warp_sort_medium_config_static_selectorELNS0_4arch9wavefront6targetE0EEEvSL_
		.amdhsa_group_segment_fixed_size 20480
		.amdhsa_private_segment_fixed_size 0
		.amdhsa_kernarg_size 344
		.amdhsa_user_sgpr_count 6
		.amdhsa_user_sgpr_private_segment_buffer 1
		.amdhsa_user_sgpr_dispatch_ptr 0
		.amdhsa_user_sgpr_queue_ptr 0
		.amdhsa_user_sgpr_kernarg_segment_ptr 1
		.amdhsa_user_sgpr_dispatch_id 0
		.amdhsa_user_sgpr_flat_scratch_init 0
		.amdhsa_user_sgpr_private_segment_size 0
		.amdhsa_wavefront_size32 1
		.amdhsa_uses_dynamic_stack 0
		.amdhsa_system_sgpr_private_segment_wavefront_offset 0
		.amdhsa_system_sgpr_workgroup_id_x 1
		.amdhsa_system_sgpr_workgroup_id_y 1
		.amdhsa_system_sgpr_workgroup_id_z 0
		.amdhsa_system_sgpr_workgroup_info 0
		.amdhsa_system_vgpr_workitem_id 2
		.amdhsa_next_free_vgpr 82
		.amdhsa_next_free_sgpr 44
		.amdhsa_reserve_vcc 1
		.amdhsa_reserve_flat_scratch 0
		.amdhsa_float_round_mode_32 0
		.amdhsa_float_round_mode_16_64 0
		.amdhsa_float_denorm_mode_32 3
		.amdhsa_float_denorm_mode_16_64 3
		.amdhsa_dx10_clamp 1
		.amdhsa_ieee_mode 1
		.amdhsa_fp16_overflow 0
		.amdhsa_workgroup_processor_mode 1
		.amdhsa_memory_ordered 1
		.amdhsa_forward_progress 1
		.amdhsa_shared_vgpr_count 0
		.amdhsa_exception_fp_ieee_invalid_op 0
		.amdhsa_exception_fp_denorm_src 0
		.amdhsa_exception_fp_ieee_div_zero 0
		.amdhsa_exception_fp_ieee_overflow 0
		.amdhsa_exception_fp_ieee_underflow 0
		.amdhsa_exception_fp_ieee_inexact 0
		.amdhsa_exception_int_div_zero 0
	.end_amdhsa_kernel
	.section	.text._ZN7rocprim17ROCPRIM_400000_NS6detail17trampoline_kernelINS0_14default_configENS1_36segmented_radix_sort_config_selectorI12hip_bfloat16lEEZNS1_25segmented_radix_sort_implIS3_Lb0EPKS5_PS5_PKlPlN2at6native12_GLOBAL__N_18offset_tEEE10hipError_tPvRmT1_PNSt15iterator_traitsISL_E10value_typeET2_T3_PNSM_ISR_E10value_typeET4_jRbjT5_SX_jjP12ihipStream_tbEUlT_E0_NS1_11comp_targetILNS1_3genE8ELNS1_11target_archE1030ELNS1_3gpuE2ELNS1_3repE0EEENS1_60segmented_radix_sort_warp_sort_medium_config_static_selectorELNS0_4arch9wavefront6targetE0EEEvSL_,"axG",@progbits,_ZN7rocprim17ROCPRIM_400000_NS6detail17trampoline_kernelINS0_14default_configENS1_36segmented_radix_sort_config_selectorI12hip_bfloat16lEEZNS1_25segmented_radix_sort_implIS3_Lb0EPKS5_PS5_PKlPlN2at6native12_GLOBAL__N_18offset_tEEE10hipError_tPvRmT1_PNSt15iterator_traitsISL_E10value_typeET2_T3_PNSM_ISR_E10value_typeET4_jRbjT5_SX_jjP12ihipStream_tbEUlT_E0_NS1_11comp_targetILNS1_3genE8ELNS1_11target_archE1030ELNS1_3gpuE2ELNS1_3repE0EEENS1_60segmented_radix_sort_warp_sort_medium_config_static_selectorELNS0_4arch9wavefront6targetE0EEEvSL_,comdat
.Lfunc_end2058:
	.size	_ZN7rocprim17ROCPRIM_400000_NS6detail17trampoline_kernelINS0_14default_configENS1_36segmented_radix_sort_config_selectorI12hip_bfloat16lEEZNS1_25segmented_radix_sort_implIS3_Lb0EPKS5_PS5_PKlPlN2at6native12_GLOBAL__N_18offset_tEEE10hipError_tPvRmT1_PNSt15iterator_traitsISL_E10value_typeET2_T3_PNSM_ISR_E10value_typeET4_jRbjT5_SX_jjP12ihipStream_tbEUlT_E0_NS1_11comp_targetILNS1_3genE8ELNS1_11target_archE1030ELNS1_3gpuE2ELNS1_3repE0EEENS1_60segmented_radix_sort_warp_sort_medium_config_static_selectorELNS0_4arch9wavefront6targetE0EEEvSL_, .Lfunc_end2058-_ZN7rocprim17ROCPRIM_400000_NS6detail17trampoline_kernelINS0_14default_configENS1_36segmented_radix_sort_config_selectorI12hip_bfloat16lEEZNS1_25segmented_radix_sort_implIS3_Lb0EPKS5_PS5_PKlPlN2at6native12_GLOBAL__N_18offset_tEEE10hipError_tPvRmT1_PNSt15iterator_traitsISL_E10value_typeET2_T3_PNSM_ISR_E10value_typeET4_jRbjT5_SX_jjP12ihipStream_tbEUlT_E0_NS1_11comp_targetILNS1_3genE8ELNS1_11target_archE1030ELNS1_3gpuE2ELNS1_3repE0EEENS1_60segmented_radix_sort_warp_sort_medium_config_static_selectorELNS0_4arch9wavefront6targetE0EEEvSL_
                                        ; -- End function
	.set _ZN7rocprim17ROCPRIM_400000_NS6detail17trampoline_kernelINS0_14default_configENS1_36segmented_radix_sort_config_selectorI12hip_bfloat16lEEZNS1_25segmented_radix_sort_implIS3_Lb0EPKS5_PS5_PKlPlN2at6native12_GLOBAL__N_18offset_tEEE10hipError_tPvRmT1_PNSt15iterator_traitsISL_E10value_typeET2_T3_PNSM_ISR_E10value_typeET4_jRbjT5_SX_jjP12ihipStream_tbEUlT_E0_NS1_11comp_targetILNS1_3genE8ELNS1_11target_archE1030ELNS1_3gpuE2ELNS1_3repE0EEENS1_60segmented_radix_sort_warp_sort_medium_config_static_selectorELNS0_4arch9wavefront6targetE0EEEvSL_.num_vgpr, max(45, .L_ZN7rocprim17ROCPRIM_400000_NS6detail26segmented_warp_sort_helperINS1_20WarpSortHelperConfigILj16ELj8ELj256EEE12hip_bfloat16lLi256ELb0EvE4sortIPKS5_PS5_PKlPlEEvT_T0_T1_T2_jjjjRNS6_12storage_typeE.num_vgpr)
	.set _ZN7rocprim17ROCPRIM_400000_NS6detail17trampoline_kernelINS0_14default_configENS1_36segmented_radix_sort_config_selectorI12hip_bfloat16lEEZNS1_25segmented_radix_sort_implIS3_Lb0EPKS5_PS5_PKlPlN2at6native12_GLOBAL__N_18offset_tEEE10hipError_tPvRmT1_PNSt15iterator_traitsISL_E10value_typeET2_T3_PNSM_ISR_E10value_typeET4_jRbjT5_SX_jjP12ihipStream_tbEUlT_E0_NS1_11comp_targetILNS1_3genE8ELNS1_11target_archE1030ELNS1_3gpuE2ELNS1_3repE0EEENS1_60segmented_radix_sort_warp_sort_medium_config_static_selectorELNS0_4arch9wavefront6targetE0EEEvSL_.num_agpr, max(0, .L_ZN7rocprim17ROCPRIM_400000_NS6detail26segmented_warp_sort_helperINS1_20WarpSortHelperConfigILj16ELj8ELj256EEE12hip_bfloat16lLi256ELb0EvE4sortIPKS5_PS5_PKlPlEEvT_T0_T1_T2_jjjjRNS6_12storage_typeE.num_agpr)
	.set _ZN7rocprim17ROCPRIM_400000_NS6detail17trampoline_kernelINS0_14default_configENS1_36segmented_radix_sort_config_selectorI12hip_bfloat16lEEZNS1_25segmented_radix_sort_implIS3_Lb0EPKS5_PS5_PKlPlN2at6native12_GLOBAL__N_18offset_tEEE10hipError_tPvRmT1_PNSt15iterator_traitsISL_E10value_typeET2_T3_PNSM_ISR_E10value_typeET4_jRbjT5_SX_jjP12ihipStream_tbEUlT_E0_NS1_11comp_targetILNS1_3genE8ELNS1_11target_archE1030ELNS1_3gpuE2ELNS1_3repE0EEENS1_60segmented_radix_sort_warp_sort_medium_config_static_selectorELNS0_4arch9wavefront6targetE0EEEvSL_.numbered_sgpr, max(44, .L_ZN7rocprim17ROCPRIM_400000_NS6detail26segmented_warp_sort_helperINS1_20WarpSortHelperConfigILj16ELj8ELj256EEE12hip_bfloat16lLi256ELb0EvE4sortIPKS5_PS5_PKlPlEEvT_T0_T1_T2_jjjjRNS6_12storage_typeE.numbered_sgpr)
	.set _ZN7rocprim17ROCPRIM_400000_NS6detail17trampoline_kernelINS0_14default_configENS1_36segmented_radix_sort_config_selectorI12hip_bfloat16lEEZNS1_25segmented_radix_sort_implIS3_Lb0EPKS5_PS5_PKlPlN2at6native12_GLOBAL__N_18offset_tEEE10hipError_tPvRmT1_PNSt15iterator_traitsISL_E10value_typeET2_T3_PNSM_ISR_E10value_typeET4_jRbjT5_SX_jjP12ihipStream_tbEUlT_E0_NS1_11comp_targetILNS1_3genE8ELNS1_11target_archE1030ELNS1_3gpuE2ELNS1_3repE0EEENS1_60segmented_radix_sort_warp_sort_medium_config_static_selectorELNS0_4arch9wavefront6targetE0EEEvSL_.num_named_barrier, max(0, .L_ZN7rocprim17ROCPRIM_400000_NS6detail26segmented_warp_sort_helperINS1_20WarpSortHelperConfigILj16ELj8ELj256EEE12hip_bfloat16lLi256ELb0EvE4sortIPKS5_PS5_PKlPlEEvT_T0_T1_T2_jjjjRNS6_12storage_typeE.num_named_barrier)
	.set _ZN7rocprim17ROCPRIM_400000_NS6detail17trampoline_kernelINS0_14default_configENS1_36segmented_radix_sort_config_selectorI12hip_bfloat16lEEZNS1_25segmented_radix_sort_implIS3_Lb0EPKS5_PS5_PKlPlN2at6native12_GLOBAL__N_18offset_tEEE10hipError_tPvRmT1_PNSt15iterator_traitsISL_E10value_typeET2_T3_PNSM_ISR_E10value_typeET4_jRbjT5_SX_jjP12ihipStream_tbEUlT_E0_NS1_11comp_targetILNS1_3genE8ELNS1_11target_archE1030ELNS1_3gpuE2ELNS1_3repE0EEENS1_60segmented_radix_sort_warp_sort_medium_config_static_selectorELNS0_4arch9wavefront6targetE0EEEvSL_.private_seg_size, 0+max(.L_ZN7rocprim17ROCPRIM_400000_NS6detail26segmented_warp_sort_helperINS1_20WarpSortHelperConfigILj16ELj8ELj256EEE12hip_bfloat16lLi256ELb0EvE4sortIPKS5_PS5_PKlPlEEvT_T0_T1_T2_jjjjRNS6_12storage_typeE.private_seg_size)
	.set _ZN7rocprim17ROCPRIM_400000_NS6detail17trampoline_kernelINS0_14default_configENS1_36segmented_radix_sort_config_selectorI12hip_bfloat16lEEZNS1_25segmented_radix_sort_implIS3_Lb0EPKS5_PS5_PKlPlN2at6native12_GLOBAL__N_18offset_tEEE10hipError_tPvRmT1_PNSt15iterator_traitsISL_E10value_typeET2_T3_PNSM_ISR_E10value_typeET4_jRbjT5_SX_jjP12ihipStream_tbEUlT_E0_NS1_11comp_targetILNS1_3genE8ELNS1_11target_archE1030ELNS1_3gpuE2ELNS1_3repE0EEENS1_60segmented_radix_sort_warp_sort_medium_config_static_selectorELNS0_4arch9wavefront6targetE0EEEvSL_.uses_vcc, or(1, .L_ZN7rocprim17ROCPRIM_400000_NS6detail26segmented_warp_sort_helperINS1_20WarpSortHelperConfigILj16ELj8ELj256EEE12hip_bfloat16lLi256ELb0EvE4sortIPKS5_PS5_PKlPlEEvT_T0_T1_T2_jjjjRNS6_12storage_typeE.uses_vcc)
	.set _ZN7rocprim17ROCPRIM_400000_NS6detail17trampoline_kernelINS0_14default_configENS1_36segmented_radix_sort_config_selectorI12hip_bfloat16lEEZNS1_25segmented_radix_sort_implIS3_Lb0EPKS5_PS5_PKlPlN2at6native12_GLOBAL__N_18offset_tEEE10hipError_tPvRmT1_PNSt15iterator_traitsISL_E10value_typeET2_T3_PNSM_ISR_E10value_typeET4_jRbjT5_SX_jjP12ihipStream_tbEUlT_E0_NS1_11comp_targetILNS1_3genE8ELNS1_11target_archE1030ELNS1_3gpuE2ELNS1_3repE0EEENS1_60segmented_radix_sort_warp_sort_medium_config_static_selectorELNS0_4arch9wavefront6targetE0EEEvSL_.uses_flat_scratch, or(0, .L_ZN7rocprim17ROCPRIM_400000_NS6detail26segmented_warp_sort_helperINS1_20WarpSortHelperConfigILj16ELj8ELj256EEE12hip_bfloat16lLi256ELb0EvE4sortIPKS5_PS5_PKlPlEEvT_T0_T1_T2_jjjjRNS6_12storage_typeE.uses_flat_scratch)
	.set _ZN7rocprim17ROCPRIM_400000_NS6detail17trampoline_kernelINS0_14default_configENS1_36segmented_radix_sort_config_selectorI12hip_bfloat16lEEZNS1_25segmented_radix_sort_implIS3_Lb0EPKS5_PS5_PKlPlN2at6native12_GLOBAL__N_18offset_tEEE10hipError_tPvRmT1_PNSt15iterator_traitsISL_E10value_typeET2_T3_PNSM_ISR_E10value_typeET4_jRbjT5_SX_jjP12ihipStream_tbEUlT_E0_NS1_11comp_targetILNS1_3genE8ELNS1_11target_archE1030ELNS1_3gpuE2ELNS1_3repE0EEENS1_60segmented_radix_sort_warp_sort_medium_config_static_selectorELNS0_4arch9wavefront6targetE0EEEvSL_.has_dyn_sized_stack, or(0, .L_ZN7rocprim17ROCPRIM_400000_NS6detail26segmented_warp_sort_helperINS1_20WarpSortHelperConfigILj16ELj8ELj256EEE12hip_bfloat16lLi256ELb0EvE4sortIPKS5_PS5_PKlPlEEvT_T0_T1_T2_jjjjRNS6_12storage_typeE.has_dyn_sized_stack)
	.set _ZN7rocprim17ROCPRIM_400000_NS6detail17trampoline_kernelINS0_14default_configENS1_36segmented_radix_sort_config_selectorI12hip_bfloat16lEEZNS1_25segmented_radix_sort_implIS3_Lb0EPKS5_PS5_PKlPlN2at6native12_GLOBAL__N_18offset_tEEE10hipError_tPvRmT1_PNSt15iterator_traitsISL_E10value_typeET2_T3_PNSM_ISR_E10value_typeET4_jRbjT5_SX_jjP12ihipStream_tbEUlT_E0_NS1_11comp_targetILNS1_3genE8ELNS1_11target_archE1030ELNS1_3gpuE2ELNS1_3repE0EEENS1_60segmented_radix_sort_warp_sort_medium_config_static_selectorELNS0_4arch9wavefront6targetE0EEEvSL_.has_recursion, or(0, .L_ZN7rocprim17ROCPRIM_400000_NS6detail26segmented_warp_sort_helperINS1_20WarpSortHelperConfigILj16ELj8ELj256EEE12hip_bfloat16lLi256ELb0EvE4sortIPKS5_PS5_PKlPlEEvT_T0_T1_T2_jjjjRNS6_12storage_typeE.has_recursion)
	.set _ZN7rocprim17ROCPRIM_400000_NS6detail17trampoline_kernelINS0_14default_configENS1_36segmented_radix_sort_config_selectorI12hip_bfloat16lEEZNS1_25segmented_radix_sort_implIS3_Lb0EPKS5_PS5_PKlPlN2at6native12_GLOBAL__N_18offset_tEEE10hipError_tPvRmT1_PNSt15iterator_traitsISL_E10value_typeET2_T3_PNSM_ISR_E10value_typeET4_jRbjT5_SX_jjP12ihipStream_tbEUlT_E0_NS1_11comp_targetILNS1_3genE8ELNS1_11target_archE1030ELNS1_3gpuE2ELNS1_3repE0EEENS1_60segmented_radix_sort_warp_sort_medium_config_static_selectorELNS0_4arch9wavefront6targetE0EEEvSL_.has_indirect_call, or(0, .L_ZN7rocprim17ROCPRIM_400000_NS6detail26segmented_warp_sort_helperINS1_20WarpSortHelperConfigILj16ELj8ELj256EEE12hip_bfloat16lLi256ELb0EvE4sortIPKS5_PS5_PKlPlEEvT_T0_T1_T2_jjjjRNS6_12storage_typeE.has_indirect_call)
	.section	.AMDGPU.csdata,"",@progbits
; Kernel info:
; codeLenInByte = 476
; TotalNumSgprs: 46
; NumVgprs: 82
; ScratchSize: 0
; MemoryBound: 0
; FloatMode: 240
; IeeeMode: 1
; LDSByteSize: 20480 bytes/workgroup (compile time only)
; SGPRBlocks: 0
; VGPRBlocks: 10
; NumSGPRsForWavesPerEU: 46
; NumVGPRsForWavesPerEU: 82
; Occupancy: 10
; WaveLimiterHint : 0
; COMPUTE_PGM_RSRC2:SCRATCH_EN: 0
; COMPUTE_PGM_RSRC2:USER_SGPR: 6
; COMPUTE_PGM_RSRC2:TRAP_HANDLER: 0
; COMPUTE_PGM_RSRC2:TGID_X_EN: 1
; COMPUTE_PGM_RSRC2:TGID_Y_EN: 1
; COMPUTE_PGM_RSRC2:TGID_Z_EN: 0
; COMPUTE_PGM_RSRC2:TIDIG_COMP_CNT: 2
	.section	.text._ZN7rocprim17ROCPRIM_400000_NS6detail17trampoline_kernelINS0_14default_configENS1_36segmented_radix_sort_config_selectorI12hip_bfloat16lEEZNS1_25segmented_radix_sort_implIS3_Lb0EPKS5_PS5_PKlPlN2at6native12_GLOBAL__N_18offset_tEEE10hipError_tPvRmT1_PNSt15iterator_traitsISL_E10value_typeET2_T3_PNSM_ISR_E10value_typeET4_jRbjT5_SX_jjP12ihipStream_tbEUlT_E1_NS1_11comp_targetILNS1_3genE0ELNS1_11target_archE4294967295ELNS1_3gpuE0ELNS1_3repE0EEENS1_59segmented_radix_sort_warp_sort_small_config_static_selectorELNS0_4arch9wavefront6targetE0EEEvSL_,"axG",@progbits,_ZN7rocprim17ROCPRIM_400000_NS6detail17trampoline_kernelINS0_14default_configENS1_36segmented_radix_sort_config_selectorI12hip_bfloat16lEEZNS1_25segmented_radix_sort_implIS3_Lb0EPKS5_PS5_PKlPlN2at6native12_GLOBAL__N_18offset_tEEE10hipError_tPvRmT1_PNSt15iterator_traitsISL_E10value_typeET2_T3_PNSM_ISR_E10value_typeET4_jRbjT5_SX_jjP12ihipStream_tbEUlT_E1_NS1_11comp_targetILNS1_3genE0ELNS1_11target_archE4294967295ELNS1_3gpuE0ELNS1_3repE0EEENS1_59segmented_radix_sort_warp_sort_small_config_static_selectorELNS0_4arch9wavefront6targetE0EEEvSL_,comdat
	.globl	_ZN7rocprim17ROCPRIM_400000_NS6detail17trampoline_kernelINS0_14default_configENS1_36segmented_radix_sort_config_selectorI12hip_bfloat16lEEZNS1_25segmented_radix_sort_implIS3_Lb0EPKS5_PS5_PKlPlN2at6native12_GLOBAL__N_18offset_tEEE10hipError_tPvRmT1_PNSt15iterator_traitsISL_E10value_typeET2_T3_PNSM_ISR_E10value_typeET4_jRbjT5_SX_jjP12ihipStream_tbEUlT_E1_NS1_11comp_targetILNS1_3genE0ELNS1_11target_archE4294967295ELNS1_3gpuE0ELNS1_3repE0EEENS1_59segmented_radix_sort_warp_sort_small_config_static_selectorELNS0_4arch9wavefront6targetE0EEEvSL_ ; -- Begin function _ZN7rocprim17ROCPRIM_400000_NS6detail17trampoline_kernelINS0_14default_configENS1_36segmented_radix_sort_config_selectorI12hip_bfloat16lEEZNS1_25segmented_radix_sort_implIS3_Lb0EPKS5_PS5_PKlPlN2at6native12_GLOBAL__N_18offset_tEEE10hipError_tPvRmT1_PNSt15iterator_traitsISL_E10value_typeET2_T3_PNSM_ISR_E10value_typeET4_jRbjT5_SX_jjP12ihipStream_tbEUlT_E1_NS1_11comp_targetILNS1_3genE0ELNS1_11target_archE4294967295ELNS1_3gpuE0ELNS1_3repE0EEENS1_59segmented_radix_sort_warp_sort_small_config_static_selectorELNS0_4arch9wavefront6targetE0EEEvSL_
	.p2align	8
	.type	_ZN7rocprim17ROCPRIM_400000_NS6detail17trampoline_kernelINS0_14default_configENS1_36segmented_radix_sort_config_selectorI12hip_bfloat16lEEZNS1_25segmented_radix_sort_implIS3_Lb0EPKS5_PS5_PKlPlN2at6native12_GLOBAL__N_18offset_tEEE10hipError_tPvRmT1_PNSt15iterator_traitsISL_E10value_typeET2_T3_PNSM_ISR_E10value_typeET4_jRbjT5_SX_jjP12ihipStream_tbEUlT_E1_NS1_11comp_targetILNS1_3genE0ELNS1_11target_archE4294967295ELNS1_3gpuE0ELNS1_3repE0EEENS1_59segmented_radix_sort_warp_sort_small_config_static_selectorELNS0_4arch9wavefront6targetE0EEEvSL_,@function
_ZN7rocprim17ROCPRIM_400000_NS6detail17trampoline_kernelINS0_14default_configENS1_36segmented_radix_sort_config_selectorI12hip_bfloat16lEEZNS1_25segmented_radix_sort_implIS3_Lb0EPKS5_PS5_PKlPlN2at6native12_GLOBAL__N_18offset_tEEE10hipError_tPvRmT1_PNSt15iterator_traitsISL_E10value_typeET2_T3_PNSM_ISR_E10value_typeET4_jRbjT5_SX_jjP12ihipStream_tbEUlT_E1_NS1_11comp_targetILNS1_3genE0ELNS1_11target_archE4294967295ELNS1_3gpuE0ELNS1_3repE0EEENS1_59segmented_radix_sort_warp_sort_small_config_static_selectorELNS0_4arch9wavefront6targetE0EEEvSL_: ; @_ZN7rocprim17ROCPRIM_400000_NS6detail17trampoline_kernelINS0_14default_configENS1_36segmented_radix_sort_config_selectorI12hip_bfloat16lEEZNS1_25segmented_radix_sort_implIS3_Lb0EPKS5_PS5_PKlPlN2at6native12_GLOBAL__N_18offset_tEEE10hipError_tPvRmT1_PNSt15iterator_traitsISL_E10value_typeET2_T3_PNSM_ISR_E10value_typeET4_jRbjT5_SX_jjP12ihipStream_tbEUlT_E1_NS1_11comp_targetILNS1_3genE0ELNS1_11target_archE4294967295ELNS1_3gpuE0ELNS1_3repE0EEENS1_59segmented_radix_sort_warp_sort_small_config_static_selectorELNS0_4arch9wavefront6targetE0EEEvSL_
; %bb.0:
	.section	.rodata,"a",@progbits
	.p2align	6, 0x0
	.amdhsa_kernel _ZN7rocprim17ROCPRIM_400000_NS6detail17trampoline_kernelINS0_14default_configENS1_36segmented_radix_sort_config_selectorI12hip_bfloat16lEEZNS1_25segmented_radix_sort_implIS3_Lb0EPKS5_PS5_PKlPlN2at6native12_GLOBAL__N_18offset_tEEE10hipError_tPvRmT1_PNSt15iterator_traitsISL_E10value_typeET2_T3_PNSM_ISR_E10value_typeET4_jRbjT5_SX_jjP12ihipStream_tbEUlT_E1_NS1_11comp_targetILNS1_3genE0ELNS1_11target_archE4294967295ELNS1_3gpuE0ELNS1_3repE0EEENS1_59segmented_radix_sort_warp_sort_small_config_static_selectorELNS0_4arch9wavefront6targetE0EEEvSL_
		.amdhsa_group_segment_fixed_size 0
		.amdhsa_private_segment_fixed_size 0
		.amdhsa_kernarg_size 88
		.amdhsa_user_sgpr_count 6
		.amdhsa_user_sgpr_private_segment_buffer 1
		.amdhsa_user_sgpr_dispatch_ptr 0
		.amdhsa_user_sgpr_queue_ptr 0
		.amdhsa_user_sgpr_kernarg_segment_ptr 1
		.amdhsa_user_sgpr_dispatch_id 0
		.amdhsa_user_sgpr_flat_scratch_init 0
		.amdhsa_user_sgpr_private_segment_size 0
		.amdhsa_wavefront_size32 1
		.amdhsa_uses_dynamic_stack 0
		.amdhsa_system_sgpr_private_segment_wavefront_offset 0
		.amdhsa_system_sgpr_workgroup_id_x 1
		.amdhsa_system_sgpr_workgroup_id_y 0
		.amdhsa_system_sgpr_workgroup_id_z 0
		.amdhsa_system_sgpr_workgroup_info 0
		.amdhsa_system_vgpr_workitem_id 0
		.amdhsa_next_free_vgpr 1
		.amdhsa_next_free_sgpr 1
		.amdhsa_reserve_vcc 0
		.amdhsa_reserve_flat_scratch 0
		.amdhsa_float_round_mode_32 0
		.amdhsa_float_round_mode_16_64 0
		.amdhsa_float_denorm_mode_32 3
		.amdhsa_float_denorm_mode_16_64 3
		.amdhsa_dx10_clamp 1
		.amdhsa_ieee_mode 1
		.amdhsa_fp16_overflow 0
		.amdhsa_workgroup_processor_mode 1
		.amdhsa_memory_ordered 1
		.amdhsa_forward_progress 1
		.amdhsa_shared_vgpr_count 0
		.amdhsa_exception_fp_ieee_invalid_op 0
		.amdhsa_exception_fp_denorm_src 0
		.amdhsa_exception_fp_ieee_div_zero 0
		.amdhsa_exception_fp_ieee_overflow 0
		.amdhsa_exception_fp_ieee_underflow 0
		.amdhsa_exception_fp_ieee_inexact 0
		.amdhsa_exception_int_div_zero 0
	.end_amdhsa_kernel
	.section	.text._ZN7rocprim17ROCPRIM_400000_NS6detail17trampoline_kernelINS0_14default_configENS1_36segmented_radix_sort_config_selectorI12hip_bfloat16lEEZNS1_25segmented_radix_sort_implIS3_Lb0EPKS5_PS5_PKlPlN2at6native12_GLOBAL__N_18offset_tEEE10hipError_tPvRmT1_PNSt15iterator_traitsISL_E10value_typeET2_T3_PNSM_ISR_E10value_typeET4_jRbjT5_SX_jjP12ihipStream_tbEUlT_E1_NS1_11comp_targetILNS1_3genE0ELNS1_11target_archE4294967295ELNS1_3gpuE0ELNS1_3repE0EEENS1_59segmented_radix_sort_warp_sort_small_config_static_selectorELNS0_4arch9wavefront6targetE0EEEvSL_,"axG",@progbits,_ZN7rocprim17ROCPRIM_400000_NS6detail17trampoline_kernelINS0_14default_configENS1_36segmented_radix_sort_config_selectorI12hip_bfloat16lEEZNS1_25segmented_radix_sort_implIS3_Lb0EPKS5_PS5_PKlPlN2at6native12_GLOBAL__N_18offset_tEEE10hipError_tPvRmT1_PNSt15iterator_traitsISL_E10value_typeET2_T3_PNSM_ISR_E10value_typeET4_jRbjT5_SX_jjP12ihipStream_tbEUlT_E1_NS1_11comp_targetILNS1_3genE0ELNS1_11target_archE4294967295ELNS1_3gpuE0ELNS1_3repE0EEENS1_59segmented_radix_sort_warp_sort_small_config_static_selectorELNS0_4arch9wavefront6targetE0EEEvSL_,comdat
.Lfunc_end2059:
	.size	_ZN7rocprim17ROCPRIM_400000_NS6detail17trampoline_kernelINS0_14default_configENS1_36segmented_radix_sort_config_selectorI12hip_bfloat16lEEZNS1_25segmented_radix_sort_implIS3_Lb0EPKS5_PS5_PKlPlN2at6native12_GLOBAL__N_18offset_tEEE10hipError_tPvRmT1_PNSt15iterator_traitsISL_E10value_typeET2_T3_PNSM_ISR_E10value_typeET4_jRbjT5_SX_jjP12ihipStream_tbEUlT_E1_NS1_11comp_targetILNS1_3genE0ELNS1_11target_archE4294967295ELNS1_3gpuE0ELNS1_3repE0EEENS1_59segmented_radix_sort_warp_sort_small_config_static_selectorELNS0_4arch9wavefront6targetE0EEEvSL_, .Lfunc_end2059-_ZN7rocprim17ROCPRIM_400000_NS6detail17trampoline_kernelINS0_14default_configENS1_36segmented_radix_sort_config_selectorI12hip_bfloat16lEEZNS1_25segmented_radix_sort_implIS3_Lb0EPKS5_PS5_PKlPlN2at6native12_GLOBAL__N_18offset_tEEE10hipError_tPvRmT1_PNSt15iterator_traitsISL_E10value_typeET2_T3_PNSM_ISR_E10value_typeET4_jRbjT5_SX_jjP12ihipStream_tbEUlT_E1_NS1_11comp_targetILNS1_3genE0ELNS1_11target_archE4294967295ELNS1_3gpuE0ELNS1_3repE0EEENS1_59segmented_radix_sort_warp_sort_small_config_static_selectorELNS0_4arch9wavefront6targetE0EEEvSL_
                                        ; -- End function
	.set _ZN7rocprim17ROCPRIM_400000_NS6detail17trampoline_kernelINS0_14default_configENS1_36segmented_radix_sort_config_selectorI12hip_bfloat16lEEZNS1_25segmented_radix_sort_implIS3_Lb0EPKS5_PS5_PKlPlN2at6native12_GLOBAL__N_18offset_tEEE10hipError_tPvRmT1_PNSt15iterator_traitsISL_E10value_typeET2_T3_PNSM_ISR_E10value_typeET4_jRbjT5_SX_jjP12ihipStream_tbEUlT_E1_NS1_11comp_targetILNS1_3genE0ELNS1_11target_archE4294967295ELNS1_3gpuE0ELNS1_3repE0EEENS1_59segmented_radix_sort_warp_sort_small_config_static_selectorELNS0_4arch9wavefront6targetE0EEEvSL_.num_vgpr, 0
	.set _ZN7rocprim17ROCPRIM_400000_NS6detail17trampoline_kernelINS0_14default_configENS1_36segmented_radix_sort_config_selectorI12hip_bfloat16lEEZNS1_25segmented_radix_sort_implIS3_Lb0EPKS5_PS5_PKlPlN2at6native12_GLOBAL__N_18offset_tEEE10hipError_tPvRmT1_PNSt15iterator_traitsISL_E10value_typeET2_T3_PNSM_ISR_E10value_typeET4_jRbjT5_SX_jjP12ihipStream_tbEUlT_E1_NS1_11comp_targetILNS1_3genE0ELNS1_11target_archE4294967295ELNS1_3gpuE0ELNS1_3repE0EEENS1_59segmented_radix_sort_warp_sort_small_config_static_selectorELNS0_4arch9wavefront6targetE0EEEvSL_.num_agpr, 0
	.set _ZN7rocprim17ROCPRIM_400000_NS6detail17trampoline_kernelINS0_14default_configENS1_36segmented_radix_sort_config_selectorI12hip_bfloat16lEEZNS1_25segmented_radix_sort_implIS3_Lb0EPKS5_PS5_PKlPlN2at6native12_GLOBAL__N_18offset_tEEE10hipError_tPvRmT1_PNSt15iterator_traitsISL_E10value_typeET2_T3_PNSM_ISR_E10value_typeET4_jRbjT5_SX_jjP12ihipStream_tbEUlT_E1_NS1_11comp_targetILNS1_3genE0ELNS1_11target_archE4294967295ELNS1_3gpuE0ELNS1_3repE0EEENS1_59segmented_radix_sort_warp_sort_small_config_static_selectorELNS0_4arch9wavefront6targetE0EEEvSL_.numbered_sgpr, 0
	.set _ZN7rocprim17ROCPRIM_400000_NS6detail17trampoline_kernelINS0_14default_configENS1_36segmented_radix_sort_config_selectorI12hip_bfloat16lEEZNS1_25segmented_radix_sort_implIS3_Lb0EPKS5_PS5_PKlPlN2at6native12_GLOBAL__N_18offset_tEEE10hipError_tPvRmT1_PNSt15iterator_traitsISL_E10value_typeET2_T3_PNSM_ISR_E10value_typeET4_jRbjT5_SX_jjP12ihipStream_tbEUlT_E1_NS1_11comp_targetILNS1_3genE0ELNS1_11target_archE4294967295ELNS1_3gpuE0ELNS1_3repE0EEENS1_59segmented_radix_sort_warp_sort_small_config_static_selectorELNS0_4arch9wavefront6targetE0EEEvSL_.num_named_barrier, 0
	.set _ZN7rocprim17ROCPRIM_400000_NS6detail17trampoline_kernelINS0_14default_configENS1_36segmented_radix_sort_config_selectorI12hip_bfloat16lEEZNS1_25segmented_radix_sort_implIS3_Lb0EPKS5_PS5_PKlPlN2at6native12_GLOBAL__N_18offset_tEEE10hipError_tPvRmT1_PNSt15iterator_traitsISL_E10value_typeET2_T3_PNSM_ISR_E10value_typeET4_jRbjT5_SX_jjP12ihipStream_tbEUlT_E1_NS1_11comp_targetILNS1_3genE0ELNS1_11target_archE4294967295ELNS1_3gpuE0ELNS1_3repE0EEENS1_59segmented_radix_sort_warp_sort_small_config_static_selectorELNS0_4arch9wavefront6targetE0EEEvSL_.private_seg_size, 0
	.set _ZN7rocprim17ROCPRIM_400000_NS6detail17trampoline_kernelINS0_14default_configENS1_36segmented_radix_sort_config_selectorI12hip_bfloat16lEEZNS1_25segmented_radix_sort_implIS3_Lb0EPKS5_PS5_PKlPlN2at6native12_GLOBAL__N_18offset_tEEE10hipError_tPvRmT1_PNSt15iterator_traitsISL_E10value_typeET2_T3_PNSM_ISR_E10value_typeET4_jRbjT5_SX_jjP12ihipStream_tbEUlT_E1_NS1_11comp_targetILNS1_3genE0ELNS1_11target_archE4294967295ELNS1_3gpuE0ELNS1_3repE0EEENS1_59segmented_radix_sort_warp_sort_small_config_static_selectorELNS0_4arch9wavefront6targetE0EEEvSL_.uses_vcc, 0
	.set _ZN7rocprim17ROCPRIM_400000_NS6detail17trampoline_kernelINS0_14default_configENS1_36segmented_radix_sort_config_selectorI12hip_bfloat16lEEZNS1_25segmented_radix_sort_implIS3_Lb0EPKS5_PS5_PKlPlN2at6native12_GLOBAL__N_18offset_tEEE10hipError_tPvRmT1_PNSt15iterator_traitsISL_E10value_typeET2_T3_PNSM_ISR_E10value_typeET4_jRbjT5_SX_jjP12ihipStream_tbEUlT_E1_NS1_11comp_targetILNS1_3genE0ELNS1_11target_archE4294967295ELNS1_3gpuE0ELNS1_3repE0EEENS1_59segmented_radix_sort_warp_sort_small_config_static_selectorELNS0_4arch9wavefront6targetE0EEEvSL_.uses_flat_scratch, 0
	.set _ZN7rocprim17ROCPRIM_400000_NS6detail17trampoline_kernelINS0_14default_configENS1_36segmented_radix_sort_config_selectorI12hip_bfloat16lEEZNS1_25segmented_radix_sort_implIS3_Lb0EPKS5_PS5_PKlPlN2at6native12_GLOBAL__N_18offset_tEEE10hipError_tPvRmT1_PNSt15iterator_traitsISL_E10value_typeET2_T3_PNSM_ISR_E10value_typeET4_jRbjT5_SX_jjP12ihipStream_tbEUlT_E1_NS1_11comp_targetILNS1_3genE0ELNS1_11target_archE4294967295ELNS1_3gpuE0ELNS1_3repE0EEENS1_59segmented_radix_sort_warp_sort_small_config_static_selectorELNS0_4arch9wavefront6targetE0EEEvSL_.has_dyn_sized_stack, 0
	.set _ZN7rocprim17ROCPRIM_400000_NS6detail17trampoline_kernelINS0_14default_configENS1_36segmented_radix_sort_config_selectorI12hip_bfloat16lEEZNS1_25segmented_radix_sort_implIS3_Lb0EPKS5_PS5_PKlPlN2at6native12_GLOBAL__N_18offset_tEEE10hipError_tPvRmT1_PNSt15iterator_traitsISL_E10value_typeET2_T3_PNSM_ISR_E10value_typeET4_jRbjT5_SX_jjP12ihipStream_tbEUlT_E1_NS1_11comp_targetILNS1_3genE0ELNS1_11target_archE4294967295ELNS1_3gpuE0ELNS1_3repE0EEENS1_59segmented_radix_sort_warp_sort_small_config_static_selectorELNS0_4arch9wavefront6targetE0EEEvSL_.has_recursion, 0
	.set _ZN7rocprim17ROCPRIM_400000_NS6detail17trampoline_kernelINS0_14default_configENS1_36segmented_radix_sort_config_selectorI12hip_bfloat16lEEZNS1_25segmented_radix_sort_implIS3_Lb0EPKS5_PS5_PKlPlN2at6native12_GLOBAL__N_18offset_tEEE10hipError_tPvRmT1_PNSt15iterator_traitsISL_E10value_typeET2_T3_PNSM_ISR_E10value_typeET4_jRbjT5_SX_jjP12ihipStream_tbEUlT_E1_NS1_11comp_targetILNS1_3genE0ELNS1_11target_archE4294967295ELNS1_3gpuE0ELNS1_3repE0EEENS1_59segmented_radix_sort_warp_sort_small_config_static_selectorELNS0_4arch9wavefront6targetE0EEEvSL_.has_indirect_call, 0
	.section	.AMDGPU.csdata,"",@progbits
; Kernel info:
; codeLenInByte = 0
; TotalNumSgprs: 0
; NumVgprs: 0
; ScratchSize: 0
; MemoryBound: 0
; FloatMode: 240
; IeeeMode: 1
; LDSByteSize: 0 bytes/workgroup (compile time only)
; SGPRBlocks: 0
; VGPRBlocks: 0
; NumSGPRsForWavesPerEU: 1
; NumVGPRsForWavesPerEU: 1
; Occupancy: 16
; WaveLimiterHint : 0
; COMPUTE_PGM_RSRC2:SCRATCH_EN: 0
; COMPUTE_PGM_RSRC2:USER_SGPR: 6
; COMPUTE_PGM_RSRC2:TRAP_HANDLER: 0
; COMPUTE_PGM_RSRC2:TGID_X_EN: 1
; COMPUTE_PGM_RSRC2:TGID_Y_EN: 0
; COMPUTE_PGM_RSRC2:TGID_Z_EN: 0
; COMPUTE_PGM_RSRC2:TIDIG_COMP_CNT: 0
	.section	.text._ZN7rocprim17ROCPRIM_400000_NS6detail17trampoline_kernelINS0_14default_configENS1_36segmented_radix_sort_config_selectorI12hip_bfloat16lEEZNS1_25segmented_radix_sort_implIS3_Lb0EPKS5_PS5_PKlPlN2at6native12_GLOBAL__N_18offset_tEEE10hipError_tPvRmT1_PNSt15iterator_traitsISL_E10value_typeET2_T3_PNSM_ISR_E10value_typeET4_jRbjT5_SX_jjP12ihipStream_tbEUlT_E1_NS1_11comp_targetILNS1_3genE5ELNS1_11target_archE942ELNS1_3gpuE9ELNS1_3repE0EEENS1_59segmented_radix_sort_warp_sort_small_config_static_selectorELNS0_4arch9wavefront6targetE0EEEvSL_,"axG",@progbits,_ZN7rocprim17ROCPRIM_400000_NS6detail17trampoline_kernelINS0_14default_configENS1_36segmented_radix_sort_config_selectorI12hip_bfloat16lEEZNS1_25segmented_radix_sort_implIS3_Lb0EPKS5_PS5_PKlPlN2at6native12_GLOBAL__N_18offset_tEEE10hipError_tPvRmT1_PNSt15iterator_traitsISL_E10value_typeET2_T3_PNSM_ISR_E10value_typeET4_jRbjT5_SX_jjP12ihipStream_tbEUlT_E1_NS1_11comp_targetILNS1_3genE5ELNS1_11target_archE942ELNS1_3gpuE9ELNS1_3repE0EEENS1_59segmented_radix_sort_warp_sort_small_config_static_selectorELNS0_4arch9wavefront6targetE0EEEvSL_,comdat
	.globl	_ZN7rocprim17ROCPRIM_400000_NS6detail17trampoline_kernelINS0_14default_configENS1_36segmented_radix_sort_config_selectorI12hip_bfloat16lEEZNS1_25segmented_radix_sort_implIS3_Lb0EPKS5_PS5_PKlPlN2at6native12_GLOBAL__N_18offset_tEEE10hipError_tPvRmT1_PNSt15iterator_traitsISL_E10value_typeET2_T3_PNSM_ISR_E10value_typeET4_jRbjT5_SX_jjP12ihipStream_tbEUlT_E1_NS1_11comp_targetILNS1_3genE5ELNS1_11target_archE942ELNS1_3gpuE9ELNS1_3repE0EEENS1_59segmented_radix_sort_warp_sort_small_config_static_selectorELNS0_4arch9wavefront6targetE0EEEvSL_ ; -- Begin function _ZN7rocprim17ROCPRIM_400000_NS6detail17trampoline_kernelINS0_14default_configENS1_36segmented_radix_sort_config_selectorI12hip_bfloat16lEEZNS1_25segmented_radix_sort_implIS3_Lb0EPKS5_PS5_PKlPlN2at6native12_GLOBAL__N_18offset_tEEE10hipError_tPvRmT1_PNSt15iterator_traitsISL_E10value_typeET2_T3_PNSM_ISR_E10value_typeET4_jRbjT5_SX_jjP12ihipStream_tbEUlT_E1_NS1_11comp_targetILNS1_3genE5ELNS1_11target_archE942ELNS1_3gpuE9ELNS1_3repE0EEENS1_59segmented_radix_sort_warp_sort_small_config_static_selectorELNS0_4arch9wavefront6targetE0EEEvSL_
	.p2align	8
	.type	_ZN7rocprim17ROCPRIM_400000_NS6detail17trampoline_kernelINS0_14default_configENS1_36segmented_radix_sort_config_selectorI12hip_bfloat16lEEZNS1_25segmented_radix_sort_implIS3_Lb0EPKS5_PS5_PKlPlN2at6native12_GLOBAL__N_18offset_tEEE10hipError_tPvRmT1_PNSt15iterator_traitsISL_E10value_typeET2_T3_PNSM_ISR_E10value_typeET4_jRbjT5_SX_jjP12ihipStream_tbEUlT_E1_NS1_11comp_targetILNS1_3genE5ELNS1_11target_archE942ELNS1_3gpuE9ELNS1_3repE0EEENS1_59segmented_radix_sort_warp_sort_small_config_static_selectorELNS0_4arch9wavefront6targetE0EEEvSL_,@function
_ZN7rocprim17ROCPRIM_400000_NS6detail17trampoline_kernelINS0_14default_configENS1_36segmented_radix_sort_config_selectorI12hip_bfloat16lEEZNS1_25segmented_radix_sort_implIS3_Lb0EPKS5_PS5_PKlPlN2at6native12_GLOBAL__N_18offset_tEEE10hipError_tPvRmT1_PNSt15iterator_traitsISL_E10value_typeET2_T3_PNSM_ISR_E10value_typeET4_jRbjT5_SX_jjP12ihipStream_tbEUlT_E1_NS1_11comp_targetILNS1_3genE5ELNS1_11target_archE942ELNS1_3gpuE9ELNS1_3repE0EEENS1_59segmented_radix_sort_warp_sort_small_config_static_selectorELNS0_4arch9wavefront6targetE0EEEvSL_: ; @_ZN7rocprim17ROCPRIM_400000_NS6detail17trampoline_kernelINS0_14default_configENS1_36segmented_radix_sort_config_selectorI12hip_bfloat16lEEZNS1_25segmented_radix_sort_implIS3_Lb0EPKS5_PS5_PKlPlN2at6native12_GLOBAL__N_18offset_tEEE10hipError_tPvRmT1_PNSt15iterator_traitsISL_E10value_typeET2_T3_PNSM_ISR_E10value_typeET4_jRbjT5_SX_jjP12ihipStream_tbEUlT_E1_NS1_11comp_targetILNS1_3genE5ELNS1_11target_archE942ELNS1_3gpuE9ELNS1_3repE0EEENS1_59segmented_radix_sort_warp_sort_small_config_static_selectorELNS0_4arch9wavefront6targetE0EEEvSL_
; %bb.0:
	.section	.rodata,"a",@progbits
	.p2align	6, 0x0
	.amdhsa_kernel _ZN7rocprim17ROCPRIM_400000_NS6detail17trampoline_kernelINS0_14default_configENS1_36segmented_radix_sort_config_selectorI12hip_bfloat16lEEZNS1_25segmented_radix_sort_implIS3_Lb0EPKS5_PS5_PKlPlN2at6native12_GLOBAL__N_18offset_tEEE10hipError_tPvRmT1_PNSt15iterator_traitsISL_E10value_typeET2_T3_PNSM_ISR_E10value_typeET4_jRbjT5_SX_jjP12ihipStream_tbEUlT_E1_NS1_11comp_targetILNS1_3genE5ELNS1_11target_archE942ELNS1_3gpuE9ELNS1_3repE0EEENS1_59segmented_radix_sort_warp_sort_small_config_static_selectorELNS0_4arch9wavefront6targetE0EEEvSL_
		.amdhsa_group_segment_fixed_size 0
		.amdhsa_private_segment_fixed_size 0
		.amdhsa_kernarg_size 88
		.amdhsa_user_sgpr_count 6
		.amdhsa_user_sgpr_private_segment_buffer 1
		.amdhsa_user_sgpr_dispatch_ptr 0
		.amdhsa_user_sgpr_queue_ptr 0
		.amdhsa_user_sgpr_kernarg_segment_ptr 1
		.amdhsa_user_sgpr_dispatch_id 0
		.amdhsa_user_sgpr_flat_scratch_init 0
		.amdhsa_user_sgpr_private_segment_size 0
		.amdhsa_wavefront_size32 1
		.amdhsa_uses_dynamic_stack 0
		.amdhsa_system_sgpr_private_segment_wavefront_offset 0
		.amdhsa_system_sgpr_workgroup_id_x 1
		.amdhsa_system_sgpr_workgroup_id_y 0
		.amdhsa_system_sgpr_workgroup_id_z 0
		.amdhsa_system_sgpr_workgroup_info 0
		.amdhsa_system_vgpr_workitem_id 0
		.amdhsa_next_free_vgpr 1
		.amdhsa_next_free_sgpr 1
		.amdhsa_reserve_vcc 0
		.amdhsa_reserve_flat_scratch 0
		.amdhsa_float_round_mode_32 0
		.amdhsa_float_round_mode_16_64 0
		.amdhsa_float_denorm_mode_32 3
		.amdhsa_float_denorm_mode_16_64 3
		.amdhsa_dx10_clamp 1
		.amdhsa_ieee_mode 1
		.amdhsa_fp16_overflow 0
		.amdhsa_workgroup_processor_mode 1
		.amdhsa_memory_ordered 1
		.amdhsa_forward_progress 1
		.amdhsa_shared_vgpr_count 0
		.amdhsa_exception_fp_ieee_invalid_op 0
		.amdhsa_exception_fp_denorm_src 0
		.amdhsa_exception_fp_ieee_div_zero 0
		.amdhsa_exception_fp_ieee_overflow 0
		.amdhsa_exception_fp_ieee_underflow 0
		.amdhsa_exception_fp_ieee_inexact 0
		.amdhsa_exception_int_div_zero 0
	.end_amdhsa_kernel
	.section	.text._ZN7rocprim17ROCPRIM_400000_NS6detail17trampoline_kernelINS0_14default_configENS1_36segmented_radix_sort_config_selectorI12hip_bfloat16lEEZNS1_25segmented_radix_sort_implIS3_Lb0EPKS5_PS5_PKlPlN2at6native12_GLOBAL__N_18offset_tEEE10hipError_tPvRmT1_PNSt15iterator_traitsISL_E10value_typeET2_T3_PNSM_ISR_E10value_typeET4_jRbjT5_SX_jjP12ihipStream_tbEUlT_E1_NS1_11comp_targetILNS1_3genE5ELNS1_11target_archE942ELNS1_3gpuE9ELNS1_3repE0EEENS1_59segmented_radix_sort_warp_sort_small_config_static_selectorELNS0_4arch9wavefront6targetE0EEEvSL_,"axG",@progbits,_ZN7rocprim17ROCPRIM_400000_NS6detail17trampoline_kernelINS0_14default_configENS1_36segmented_radix_sort_config_selectorI12hip_bfloat16lEEZNS1_25segmented_radix_sort_implIS3_Lb0EPKS5_PS5_PKlPlN2at6native12_GLOBAL__N_18offset_tEEE10hipError_tPvRmT1_PNSt15iterator_traitsISL_E10value_typeET2_T3_PNSM_ISR_E10value_typeET4_jRbjT5_SX_jjP12ihipStream_tbEUlT_E1_NS1_11comp_targetILNS1_3genE5ELNS1_11target_archE942ELNS1_3gpuE9ELNS1_3repE0EEENS1_59segmented_radix_sort_warp_sort_small_config_static_selectorELNS0_4arch9wavefront6targetE0EEEvSL_,comdat
.Lfunc_end2060:
	.size	_ZN7rocprim17ROCPRIM_400000_NS6detail17trampoline_kernelINS0_14default_configENS1_36segmented_radix_sort_config_selectorI12hip_bfloat16lEEZNS1_25segmented_radix_sort_implIS3_Lb0EPKS5_PS5_PKlPlN2at6native12_GLOBAL__N_18offset_tEEE10hipError_tPvRmT1_PNSt15iterator_traitsISL_E10value_typeET2_T3_PNSM_ISR_E10value_typeET4_jRbjT5_SX_jjP12ihipStream_tbEUlT_E1_NS1_11comp_targetILNS1_3genE5ELNS1_11target_archE942ELNS1_3gpuE9ELNS1_3repE0EEENS1_59segmented_radix_sort_warp_sort_small_config_static_selectorELNS0_4arch9wavefront6targetE0EEEvSL_, .Lfunc_end2060-_ZN7rocprim17ROCPRIM_400000_NS6detail17trampoline_kernelINS0_14default_configENS1_36segmented_radix_sort_config_selectorI12hip_bfloat16lEEZNS1_25segmented_radix_sort_implIS3_Lb0EPKS5_PS5_PKlPlN2at6native12_GLOBAL__N_18offset_tEEE10hipError_tPvRmT1_PNSt15iterator_traitsISL_E10value_typeET2_T3_PNSM_ISR_E10value_typeET4_jRbjT5_SX_jjP12ihipStream_tbEUlT_E1_NS1_11comp_targetILNS1_3genE5ELNS1_11target_archE942ELNS1_3gpuE9ELNS1_3repE0EEENS1_59segmented_radix_sort_warp_sort_small_config_static_selectorELNS0_4arch9wavefront6targetE0EEEvSL_
                                        ; -- End function
	.set _ZN7rocprim17ROCPRIM_400000_NS6detail17trampoline_kernelINS0_14default_configENS1_36segmented_radix_sort_config_selectorI12hip_bfloat16lEEZNS1_25segmented_radix_sort_implIS3_Lb0EPKS5_PS5_PKlPlN2at6native12_GLOBAL__N_18offset_tEEE10hipError_tPvRmT1_PNSt15iterator_traitsISL_E10value_typeET2_T3_PNSM_ISR_E10value_typeET4_jRbjT5_SX_jjP12ihipStream_tbEUlT_E1_NS1_11comp_targetILNS1_3genE5ELNS1_11target_archE942ELNS1_3gpuE9ELNS1_3repE0EEENS1_59segmented_radix_sort_warp_sort_small_config_static_selectorELNS0_4arch9wavefront6targetE0EEEvSL_.num_vgpr, 0
	.set _ZN7rocprim17ROCPRIM_400000_NS6detail17trampoline_kernelINS0_14default_configENS1_36segmented_radix_sort_config_selectorI12hip_bfloat16lEEZNS1_25segmented_radix_sort_implIS3_Lb0EPKS5_PS5_PKlPlN2at6native12_GLOBAL__N_18offset_tEEE10hipError_tPvRmT1_PNSt15iterator_traitsISL_E10value_typeET2_T3_PNSM_ISR_E10value_typeET4_jRbjT5_SX_jjP12ihipStream_tbEUlT_E1_NS1_11comp_targetILNS1_3genE5ELNS1_11target_archE942ELNS1_3gpuE9ELNS1_3repE0EEENS1_59segmented_radix_sort_warp_sort_small_config_static_selectorELNS0_4arch9wavefront6targetE0EEEvSL_.num_agpr, 0
	.set _ZN7rocprim17ROCPRIM_400000_NS6detail17trampoline_kernelINS0_14default_configENS1_36segmented_radix_sort_config_selectorI12hip_bfloat16lEEZNS1_25segmented_radix_sort_implIS3_Lb0EPKS5_PS5_PKlPlN2at6native12_GLOBAL__N_18offset_tEEE10hipError_tPvRmT1_PNSt15iterator_traitsISL_E10value_typeET2_T3_PNSM_ISR_E10value_typeET4_jRbjT5_SX_jjP12ihipStream_tbEUlT_E1_NS1_11comp_targetILNS1_3genE5ELNS1_11target_archE942ELNS1_3gpuE9ELNS1_3repE0EEENS1_59segmented_radix_sort_warp_sort_small_config_static_selectorELNS0_4arch9wavefront6targetE0EEEvSL_.numbered_sgpr, 0
	.set _ZN7rocprim17ROCPRIM_400000_NS6detail17trampoline_kernelINS0_14default_configENS1_36segmented_radix_sort_config_selectorI12hip_bfloat16lEEZNS1_25segmented_radix_sort_implIS3_Lb0EPKS5_PS5_PKlPlN2at6native12_GLOBAL__N_18offset_tEEE10hipError_tPvRmT1_PNSt15iterator_traitsISL_E10value_typeET2_T3_PNSM_ISR_E10value_typeET4_jRbjT5_SX_jjP12ihipStream_tbEUlT_E1_NS1_11comp_targetILNS1_3genE5ELNS1_11target_archE942ELNS1_3gpuE9ELNS1_3repE0EEENS1_59segmented_radix_sort_warp_sort_small_config_static_selectorELNS0_4arch9wavefront6targetE0EEEvSL_.num_named_barrier, 0
	.set _ZN7rocprim17ROCPRIM_400000_NS6detail17trampoline_kernelINS0_14default_configENS1_36segmented_radix_sort_config_selectorI12hip_bfloat16lEEZNS1_25segmented_radix_sort_implIS3_Lb0EPKS5_PS5_PKlPlN2at6native12_GLOBAL__N_18offset_tEEE10hipError_tPvRmT1_PNSt15iterator_traitsISL_E10value_typeET2_T3_PNSM_ISR_E10value_typeET4_jRbjT5_SX_jjP12ihipStream_tbEUlT_E1_NS1_11comp_targetILNS1_3genE5ELNS1_11target_archE942ELNS1_3gpuE9ELNS1_3repE0EEENS1_59segmented_radix_sort_warp_sort_small_config_static_selectorELNS0_4arch9wavefront6targetE0EEEvSL_.private_seg_size, 0
	.set _ZN7rocprim17ROCPRIM_400000_NS6detail17trampoline_kernelINS0_14default_configENS1_36segmented_radix_sort_config_selectorI12hip_bfloat16lEEZNS1_25segmented_radix_sort_implIS3_Lb0EPKS5_PS5_PKlPlN2at6native12_GLOBAL__N_18offset_tEEE10hipError_tPvRmT1_PNSt15iterator_traitsISL_E10value_typeET2_T3_PNSM_ISR_E10value_typeET4_jRbjT5_SX_jjP12ihipStream_tbEUlT_E1_NS1_11comp_targetILNS1_3genE5ELNS1_11target_archE942ELNS1_3gpuE9ELNS1_3repE0EEENS1_59segmented_radix_sort_warp_sort_small_config_static_selectorELNS0_4arch9wavefront6targetE0EEEvSL_.uses_vcc, 0
	.set _ZN7rocprim17ROCPRIM_400000_NS6detail17trampoline_kernelINS0_14default_configENS1_36segmented_radix_sort_config_selectorI12hip_bfloat16lEEZNS1_25segmented_radix_sort_implIS3_Lb0EPKS5_PS5_PKlPlN2at6native12_GLOBAL__N_18offset_tEEE10hipError_tPvRmT1_PNSt15iterator_traitsISL_E10value_typeET2_T3_PNSM_ISR_E10value_typeET4_jRbjT5_SX_jjP12ihipStream_tbEUlT_E1_NS1_11comp_targetILNS1_3genE5ELNS1_11target_archE942ELNS1_3gpuE9ELNS1_3repE0EEENS1_59segmented_radix_sort_warp_sort_small_config_static_selectorELNS0_4arch9wavefront6targetE0EEEvSL_.uses_flat_scratch, 0
	.set _ZN7rocprim17ROCPRIM_400000_NS6detail17trampoline_kernelINS0_14default_configENS1_36segmented_radix_sort_config_selectorI12hip_bfloat16lEEZNS1_25segmented_radix_sort_implIS3_Lb0EPKS5_PS5_PKlPlN2at6native12_GLOBAL__N_18offset_tEEE10hipError_tPvRmT1_PNSt15iterator_traitsISL_E10value_typeET2_T3_PNSM_ISR_E10value_typeET4_jRbjT5_SX_jjP12ihipStream_tbEUlT_E1_NS1_11comp_targetILNS1_3genE5ELNS1_11target_archE942ELNS1_3gpuE9ELNS1_3repE0EEENS1_59segmented_radix_sort_warp_sort_small_config_static_selectorELNS0_4arch9wavefront6targetE0EEEvSL_.has_dyn_sized_stack, 0
	.set _ZN7rocprim17ROCPRIM_400000_NS6detail17trampoline_kernelINS0_14default_configENS1_36segmented_radix_sort_config_selectorI12hip_bfloat16lEEZNS1_25segmented_radix_sort_implIS3_Lb0EPKS5_PS5_PKlPlN2at6native12_GLOBAL__N_18offset_tEEE10hipError_tPvRmT1_PNSt15iterator_traitsISL_E10value_typeET2_T3_PNSM_ISR_E10value_typeET4_jRbjT5_SX_jjP12ihipStream_tbEUlT_E1_NS1_11comp_targetILNS1_3genE5ELNS1_11target_archE942ELNS1_3gpuE9ELNS1_3repE0EEENS1_59segmented_radix_sort_warp_sort_small_config_static_selectorELNS0_4arch9wavefront6targetE0EEEvSL_.has_recursion, 0
	.set _ZN7rocprim17ROCPRIM_400000_NS6detail17trampoline_kernelINS0_14default_configENS1_36segmented_radix_sort_config_selectorI12hip_bfloat16lEEZNS1_25segmented_radix_sort_implIS3_Lb0EPKS5_PS5_PKlPlN2at6native12_GLOBAL__N_18offset_tEEE10hipError_tPvRmT1_PNSt15iterator_traitsISL_E10value_typeET2_T3_PNSM_ISR_E10value_typeET4_jRbjT5_SX_jjP12ihipStream_tbEUlT_E1_NS1_11comp_targetILNS1_3genE5ELNS1_11target_archE942ELNS1_3gpuE9ELNS1_3repE0EEENS1_59segmented_radix_sort_warp_sort_small_config_static_selectorELNS0_4arch9wavefront6targetE0EEEvSL_.has_indirect_call, 0
	.section	.AMDGPU.csdata,"",@progbits
; Kernel info:
; codeLenInByte = 0
; TotalNumSgprs: 0
; NumVgprs: 0
; ScratchSize: 0
; MemoryBound: 0
; FloatMode: 240
; IeeeMode: 1
; LDSByteSize: 0 bytes/workgroup (compile time only)
; SGPRBlocks: 0
; VGPRBlocks: 0
; NumSGPRsForWavesPerEU: 1
; NumVGPRsForWavesPerEU: 1
; Occupancy: 16
; WaveLimiterHint : 0
; COMPUTE_PGM_RSRC2:SCRATCH_EN: 0
; COMPUTE_PGM_RSRC2:USER_SGPR: 6
; COMPUTE_PGM_RSRC2:TRAP_HANDLER: 0
; COMPUTE_PGM_RSRC2:TGID_X_EN: 1
; COMPUTE_PGM_RSRC2:TGID_Y_EN: 0
; COMPUTE_PGM_RSRC2:TGID_Z_EN: 0
; COMPUTE_PGM_RSRC2:TIDIG_COMP_CNT: 0
	.section	.text._ZN7rocprim17ROCPRIM_400000_NS6detail17trampoline_kernelINS0_14default_configENS1_36segmented_radix_sort_config_selectorI12hip_bfloat16lEEZNS1_25segmented_radix_sort_implIS3_Lb0EPKS5_PS5_PKlPlN2at6native12_GLOBAL__N_18offset_tEEE10hipError_tPvRmT1_PNSt15iterator_traitsISL_E10value_typeET2_T3_PNSM_ISR_E10value_typeET4_jRbjT5_SX_jjP12ihipStream_tbEUlT_E1_NS1_11comp_targetILNS1_3genE4ELNS1_11target_archE910ELNS1_3gpuE8ELNS1_3repE0EEENS1_59segmented_radix_sort_warp_sort_small_config_static_selectorELNS0_4arch9wavefront6targetE0EEEvSL_,"axG",@progbits,_ZN7rocprim17ROCPRIM_400000_NS6detail17trampoline_kernelINS0_14default_configENS1_36segmented_radix_sort_config_selectorI12hip_bfloat16lEEZNS1_25segmented_radix_sort_implIS3_Lb0EPKS5_PS5_PKlPlN2at6native12_GLOBAL__N_18offset_tEEE10hipError_tPvRmT1_PNSt15iterator_traitsISL_E10value_typeET2_T3_PNSM_ISR_E10value_typeET4_jRbjT5_SX_jjP12ihipStream_tbEUlT_E1_NS1_11comp_targetILNS1_3genE4ELNS1_11target_archE910ELNS1_3gpuE8ELNS1_3repE0EEENS1_59segmented_radix_sort_warp_sort_small_config_static_selectorELNS0_4arch9wavefront6targetE0EEEvSL_,comdat
	.globl	_ZN7rocprim17ROCPRIM_400000_NS6detail17trampoline_kernelINS0_14default_configENS1_36segmented_radix_sort_config_selectorI12hip_bfloat16lEEZNS1_25segmented_radix_sort_implIS3_Lb0EPKS5_PS5_PKlPlN2at6native12_GLOBAL__N_18offset_tEEE10hipError_tPvRmT1_PNSt15iterator_traitsISL_E10value_typeET2_T3_PNSM_ISR_E10value_typeET4_jRbjT5_SX_jjP12ihipStream_tbEUlT_E1_NS1_11comp_targetILNS1_3genE4ELNS1_11target_archE910ELNS1_3gpuE8ELNS1_3repE0EEENS1_59segmented_radix_sort_warp_sort_small_config_static_selectorELNS0_4arch9wavefront6targetE0EEEvSL_ ; -- Begin function _ZN7rocprim17ROCPRIM_400000_NS6detail17trampoline_kernelINS0_14default_configENS1_36segmented_radix_sort_config_selectorI12hip_bfloat16lEEZNS1_25segmented_radix_sort_implIS3_Lb0EPKS5_PS5_PKlPlN2at6native12_GLOBAL__N_18offset_tEEE10hipError_tPvRmT1_PNSt15iterator_traitsISL_E10value_typeET2_T3_PNSM_ISR_E10value_typeET4_jRbjT5_SX_jjP12ihipStream_tbEUlT_E1_NS1_11comp_targetILNS1_3genE4ELNS1_11target_archE910ELNS1_3gpuE8ELNS1_3repE0EEENS1_59segmented_radix_sort_warp_sort_small_config_static_selectorELNS0_4arch9wavefront6targetE0EEEvSL_
	.p2align	8
	.type	_ZN7rocprim17ROCPRIM_400000_NS6detail17trampoline_kernelINS0_14default_configENS1_36segmented_radix_sort_config_selectorI12hip_bfloat16lEEZNS1_25segmented_radix_sort_implIS3_Lb0EPKS5_PS5_PKlPlN2at6native12_GLOBAL__N_18offset_tEEE10hipError_tPvRmT1_PNSt15iterator_traitsISL_E10value_typeET2_T3_PNSM_ISR_E10value_typeET4_jRbjT5_SX_jjP12ihipStream_tbEUlT_E1_NS1_11comp_targetILNS1_3genE4ELNS1_11target_archE910ELNS1_3gpuE8ELNS1_3repE0EEENS1_59segmented_radix_sort_warp_sort_small_config_static_selectorELNS0_4arch9wavefront6targetE0EEEvSL_,@function
_ZN7rocprim17ROCPRIM_400000_NS6detail17trampoline_kernelINS0_14default_configENS1_36segmented_radix_sort_config_selectorI12hip_bfloat16lEEZNS1_25segmented_radix_sort_implIS3_Lb0EPKS5_PS5_PKlPlN2at6native12_GLOBAL__N_18offset_tEEE10hipError_tPvRmT1_PNSt15iterator_traitsISL_E10value_typeET2_T3_PNSM_ISR_E10value_typeET4_jRbjT5_SX_jjP12ihipStream_tbEUlT_E1_NS1_11comp_targetILNS1_3genE4ELNS1_11target_archE910ELNS1_3gpuE8ELNS1_3repE0EEENS1_59segmented_radix_sort_warp_sort_small_config_static_selectorELNS0_4arch9wavefront6targetE0EEEvSL_: ; @_ZN7rocprim17ROCPRIM_400000_NS6detail17trampoline_kernelINS0_14default_configENS1_36segmented_radix_sort_config_selectorI12hip_bfloat16lEEZNS1_25segmented_radix_sort_implIS3_Lb0EPKS5_PS5_PKlPlN2at6native12_GLOBAL__N_18offset_tEEE10hipError_tPvRmT1_PNSt15iterator_traitsISL_E10value_typeET2_T3_PNSM_ISR_E10value_typeET4_jRbjT5_SX_jjP12ihipStream_tbEUlT_E1_NS1_11comp_targetILNS1_3genE4ELNS1_11target_archE910ELNS1_3gpuE8ELNS1_3repE0EEENS1_59segmented_radix_sort_warp_sort_small_config_static_selectorELNS0_4arch9wavefront6targetE0EEEvSL_
; %bb.0:
	.section	.rodata,"a",@progbits
	.p2align	6, 0x0
	.amdhsa_kernel _ZN7rocprim17ROCPRIM_400000_NS6detail17trampoline_kernelINS0_14default_configENS1_36segmented_radix_sort_config_selectorI12hip_bfloat16lEEZNS1_25segmented_radix_sort_implIS3_Lb0EPKS5_PS5_PKlPlN2at6native12_GLOBAL__N_18offset_tEEE10hipError_tPvRmT1_PNSt15iterator_traitsISL_E10value_typeET2_T3_PNSM_ISR_E10value_typeET4_jRbjT5_SX_jjP12ihipStream_tbEUlT_E1_NS1_11comp_targetILNS1_3genE4ELNS1_11target_archE910ELNS1_3gpuE8ELNS1_3repE0EEENS1_59segmented_radix_sort_warp_sort_small_config_static_selectorELNS0_4arch9wavefront6targetE0EEEvSL_
		.amdhsa_group_segment_fixed_size 0
		.amdhsa_private_segment_fixed_size 0
		.amdhsa_kernarg_size 88
		.amdhsa_user_sgpr_count 6
		.amdhsa_user_sgpr_private_segment_buffer 1
		.amdhsa_user_sgpr_dispatch_ptr 0
		.amdhsa_user_sgpr_queue_ptr 0
		.amdhsa_user_sgpr_kernarg_segment_ptr 1
		.amdhsa_user_sgpr_dispatch_id 0
		.amdhsa_user_sgpr_flat_scratch_init 0
		.amdhsa_user_sgpr_private_segment_size 0
		.amdhsa_wavefront_size32 1
		.amdhsa_uses_dynamic_stack 0
		.amdhsa_system_sgpr_private_segment_wavefront_offset 0
		.amdhsa_system_sgpr_workgroup_id_x 1
		.amdhsa_system_sgpr_workgroup_id_y 0
		.amdhsa_system_sgpr_workgroup_id_z 0
		.amdhsa_system_sgpr_workgroup_info 0
		.amdhsa_system_vgpr_workitem_id 0
		.amdhsa_next_free_vgpr 1
		.amdhsa_next_free_sgpr 1
		.amdhsa_reserve_vcc 0
		.amdhsa_reserve_flat_scratch 0
		.amdhsa_float_round_mode_32 0
		.amdhsa_float_round_mode_16_64 0
		.amdhsa_float_denorm_mode_32 3
		.amdhsa_float_denorm_mode_16_64 3
		.amdhsa_dx10_clamp 1
		.amdhsa_ieee_mode 1
		.amdhsa_fp16_overflow 0
		.amdhsa_workgroup_processor_mode 1
		.amdhsa_memory_ordered 1
		.amdhsa_forward_progress 1
		.amdhsa_shared_vgpr_count 0
		.amdhsa_exception_fp_ieee_invalid_op 0
		.amdhsa_exception_fp_denorm_src 0
		.amdhsa_exception_fp_ieee_div_zero 0
		.amdhsa_exception_fp_ieee_overflow 0
		.amdhsa_exception_fp_ieee_underflow 0
		.amdhsa_exception_fp_ieee_inexact 0
		.amdhsa_exception_int_div_zero 0
	.end_amdhsa_kernel
	.section	.text._ZN7rocprim17ROCPRIM_400000_NS6detail17trampoline_kernelINS0_14default_configENS1_36segmented_radix_sort_config_selectorI12hip_bfloat16lEEZNS1_25segmented_radix_sort_implIS3_Lb0EPKS5_PS5_PKlPlN2at6native12_GLOBAL__N_18offset_tEEE10hipError_tPvRmT1_PNSt15iterator_traitsISL_E10value_typeET2_T3_PNSM_ISR_E10value_typeET4_jRbjT5_SX_jjP12ihipStream_tbEUlT_E1_NS1_11comp_targetILNS1_3genE4ELNS1_11target_archE910ELNS1_3gpuE8ELNS1_3repE0EEENS1_59segmented_radix_sort_warp_sort_small_config_static_selectorELNS0_4arch9wavefront6targetE0EEEvSL_,"axG",@progbits,_ZN7rocprim17ROCPRIM_400000_NS6detail17trampoline_kernelINS0_14default_configENS1_36segmented_radix_sort_config_selectorI12hip_bfloat16lEEZNS1_25segmented_radix_sort_implIS3_Lb0EPKS5_PS5_PKlPlN2at6native12_GLOBAL__N_18offset_tEEE10hipError_tPvRmT1_PNSt15iterator_traitsISL_E10value_typeET2_T3_PNSM_ISR_E10value_typeET4_jRbjT5_SX_jjP12ihipStream_tbEUlT_E1_NS1_11comp_targetILNS1_3genE4ELNS1_11target_archE910ELNS1_3gpuE8ELNS1_3repE0EEENS1_59segmented_radix_sort_warp_sort_small_config_static_selectorELNS0_4arch9wavefront6targetE0EEEvSL_,comdat
.Lfunc_end2061:
	.size	_ZN7rocprim17ROCPRIM_400000_NS6detail17trampoline_kernelINS0_14default_configENS1_36segmented_radix_sort_config_selectorI12hip_bfloat16lEEZNS1_25segmented_radix_sort_implIS3_Lb0EPKS5_PS5_PKlPlN2at6native12_GLOBAL__N_18offset_tEEE10hipError_tPvRmT1_PNSt15iterator_traitsISL_E10value_typeET2_T3_PNSM_ISR_E10value_typeET4_jRbjT5_SX_jjP12ihipStream_tbEUlT_E1_NS1_11comp_targetILNS1_3genE4ELNS1_11target_archE910ELNS1_3gpuE8ELNS1_3repE0EEENS1_59segmented_radix_sort_warp_sort_small_config_static_selectorELNS0_4arch9wavefront6targetE0EEEvSL_, .Lfunc_end2061-_ZN7rocprim17ROCPRIM_400000_NS6detail17trampoline_kernelINS0_14default_configENS1_36segmented_radix_sort_config_selectorI12hip_bfloat16lEEZNS1_25segmented_radix_sort_implIS3_Lb0EPKS5_PS5_PKlPlN2at6native12_GLOBAL__N_18offset_tEEE10hipError_tPvRmT1_PNSt15iterator_traitsISL_E10value_typeET2_T3_PNSM_ISR_E10value_typeET4_jRbjT5_SX_jjP12ihipStream_tbEUlT_E1_NS1_11comp_targetILNS1_3genE4ELNS1_11target_archE910ELNS1_3gpuE8ELNS1_3repE0EEENS1_59segmented_radix_sort_warp_sort_small_config_static_selectorELNS0_4arch9wavefront6targetE0EEEvSL_
                                        ; -- End function
	.set _ZN7rocprim17ROCPRIM_400000_NS6detail17trampoline_kernelINS0_14default_configENS1_36segmented_radix_sort_config_selectorI12hip_bfloat16lEEZNS1_25segmented_radix_sort_implIS3_Lb0EPKS5_PS5_PKlPlN2at6native12_GLOBAL__N_18offset_tEEE10hipError_tPvRmT1_PNSt15iterator_traitsISL_E10value_typeET2_T3_PNSM_ISR_E10value_typeET4_jRbjT5_SX_jjP12ihipStream_tbEUlT_E1_NS1_11comp_targetILNS1_3genE4ELNS1_11target_archE910ELNS1_3gpuE8ELNS1_3repE0EEENS1_59segmented_radix_sort_warp_sort_small_config_static_selectorELNS0_4arch9wavefront6targetE0EEEvSL_.num_vgpr, 0
	.set _ZN7rocprim17ROCPRIM_400000_NS6detail17trampoline_kernelINS0_14default_configENS1_36segmented_radix_sort_config_selectorI12hip_bfloat16lEEZNS1_25segmented_radix_sort_implIS3_Lb0EPKS5_PS5_PKlPlN2at6native12_GLOBAL__N_18offset_tEEE10hipError_tPvRmT1_PNSt15iterator_traitsISL_E10value_typeET2_T3_PNSM_ISR_E10value_typeET4_jRbjT5_SX_jjP12ihipStream_tbEUlT_E1_NS1_11comp_targetILNS1_3genE4ELNS1_11target_archE910ELNS1_3gpuE8ELNS1_3repE0EEENS1_59segmented_radix_sort_warp_sort_small_config_static_selectorELNS0_4arch9wavefront6targetE0EEEvSL_.num_agpr, 0
	.set _ZN7rocprim17ROCPRIM_400000_NS6detail17trampoline_kernelINS0_14default_configENS1_36segmented_radix_sort_config_selectorI12hip_bfloat16lEEZNS1_25segmented_radix_sort_implIS3_Lb0EPKS5_PS5_PKlPlN2at6native12_GLOBAL__N_18offset_tEEE10hipError_tPvRmT1_PNSt15iterator_traitsISL_E10value_typeET2_T3_PNSM_ISR_E10value_typeET4_jRbjT5_SX_jjP12ihipStream_tbEUlT_E1_NS1_11comp_targetILNS1_3genE4ELNS1_11target_archE910ELNS1_3gpuE8ELNS1_3repE0EEENS1_59segmented_radix_sort_warp_sort_small_config_static_selectorELNS0_4arch9wavefront6targetE0EEEvSL_.numbered_sgpr, 0
	.set _ZN7rocprim17ROCPRIM_400000_NS6detail17trampoline_kernelINS0_14default_configENS1_36segmented_radix_sort_config_selectorI12hip_bfloat16lEEZNS1_25segmented_radix_sort_implIS3_Lb0EPKS5_PS5_PKlPlN2at6native12_GLOBAL__N_18offset_tEEE10hipError_tPvRmT1_PNSt15iterator_traitsISL_E10value_typeET2_T3_PNSM_ISR_E10value_typeET4_jRbjT5_SX_jjP12ihipStream_tbEUlT_E1_NS1_11comp_targetILNS1_3genE4ELNS1_11target_archE910ELNS1_3gpuE8ELNS1_3repE0EEENS1_59segmented_radix_sort_warp_sort_small_config_static_selectorELNS0_4arch9wavefront6targetE0EEEvSL_.num_named_barrier, 0
	.set _ZN7rocprim17ROCPRIM_400000_NS6detail17trampoline_kernelINS0_14default_configENS1_36segmented_radix_sort_config_selectorI12hip_bfloat16lEEZNS1_25segmented_radix_sort_implIS3_Lb0EPKS5_PS5_PKlPlN2at6native12_GLOBAL__N_18offset_tEEE10hipError_tPvRmT1_PNSt15iterator_traitsISL_E10value_typeET2_T3_PNSM_ISR_E10value_typeET4_jRbjT5_SX_jjP12ihipStream_tbEUlT_E1_NS1_11comp_targetILNS1_3genE4ELNS1_11target_archE910ELNS1_3gpuE8ELNS1_3repE0EEENS1_59segmented_radix_sort_warp_sort_small_config_static_selectorELNS0_4arch9wavefront6targetE0EEEvSL_.private_seg_size, 0
	.set _ZN7rocprim17ROCPRIM_400000_NS6detail17trampoline_kernelINS0_14default_configENS1_36segmented_radix_sort_config_selectorI12hip_bfloat16lEEZNS1_25segmented_radix_sort_implIS3_Lb0EPKS5_PS5_PKlPlN2at6native12_GLOBAL__N_18offset_tEEE10hipError_tPvRmT1_PNSt15iterator_traitsISL_E10value_typeET2_T3_PNSM_ISR_E10value_typeET4_jRbjT5_SX_jjP12ihipStream_tbEUlT_E1_NS1_11comp_targetILNS1_3genE4ELNS1_11target_archE910ELNS1_3gpuE8ELNS1_3repE0EEENS1_59segmented_radix_sort_warp_sort_small_config_static_selectorELNS0_4arch9wavefront6targetE0EEEvSL_.uses_vcc, 0
	.set _ZN7rocprim17ROCPRIM_400000_NS6detail17trampoline_kernelINS0_14default_configENS1_36segmented_radix_sort_config_selectorI12hip_bfloat16lEEZNS1_25segmented_radix_sort_implIS3_Lb0EPKS5_PS5_PKlPlN2at6native12_GLOBAL__N_18offset_tEEE10hipError_tPvRmT1_PNSt15iterator_traitsISL_E10value_typeET2_T3_PNSM_ISR_E10value_typeET4_jRbjT5_SX_jjP12ihipStream_tbEUlT_E1_NS1_11comp_targetILNS1_3genE4ELNS1_11target_archE910ELNS1_3gpuE8ELNS1_3repE0EEENS1_59segmented_radix_sort_warp_sort_small_config_static_selectorELNS0_4arch9wavefront6targetE0EEEvSL_.uses_flat_scratch, 0
	.set _ZN7rocprim17ROCPRIM_400000_NS6detail17trampoline_kernelINS0_14default_configENS1_36segmented_radix_sort_config_selectorI12hip_bfloat16lEEZNS1_25segmented_radix_sort_implIS3_Lb0EPKS5_PS5_PKlPlN2at6native12_GLOBAL__N_18offset_tEEE10hipError_tPvRmT1_PNSt15iterator_traitsISL_E10value_typeET2_T3_PNSM_ISR_E10value_typeET4_jRbjT5_SX_jjP12ihipStream_tbEUlT_E1_NS1_11comp_targetILNS1_3genE4ELNS1_11target_archE910ELNS1_3gpuE8ELNS1_3repE0EEENS1_59segmented_radix_sort_warp_sort_small_config_static_selectorELNS0_4arch9wavefront6targetE0EEEvSL_.has_dyn_sized_stack, 0
	.set _ZN7rocprim17ROCPRIM_400000_NS6detail17trampoline_kernelINS0_14default_configENS1_36segmented_radix_sort_config_selectorI12hip_bfloat16lEEZNS1_25segmented_radix_sort_implIS3_Lb0EPKS5_PS5_PKlPlN2at6native12_GLOBAL__N_18offset_tEEE10hipError_tPvRmT1_PNSt15iterator_traitsISL_E10value_typeET2_T3_PNSM_ISR_E10value_typeET4_jRbjT5_SX_jjP12ihipStream_tbEUlT_E1_NS1_11comp_targetILNS1_3genE4ELNS1_11target_archE910ELNS1_3gpuE8ELNS1_3repE0EEENS1_59segmented_radix_sort_warp_sort_small_config_static_selectorELNS0_4arch9wavefront6targetE0EEEvSL_.has_recursion, 0
	.set _ZN7rocprim17ROCPRIM_400000_NS6detail17trampoline_kernelINS0_14default_configENS1_36segmented_radix_sort_config_selectorI12hip_bfloat16lEEZNS1_25segmented_radix_sort_implIS3_Lb0EPKS5_PS5_PKlPlN2at6native12_GLOBAL__N_18offset_tEEE10hipError_tPvRmT1_PNSt15iterator_traitsISL_E10value_typeET2_T3_PNSM_ISR_E10value_typeET4_jRbjT5_SX_jjP12ihipStream_tbEUlT_E1_NS1_11comp_targetILNS1_3genE4ELNS1_11target_archE910ELNS1_3gpuE8ELNS1_3repE0EEENS1_59segmented_radix_sort_warp_sort_small_config_static_selectorELNS0_4arch9wavefront6targetE0EEEvSL_.has_indirect_call, 0
	.section	.AMDGPU.csdata,"",@progbits
; Kernel info:
; codeLenInByte = 0
; TotalNumSgprs: 0
; NumVgprs: 0
; ScratchSize: 0
; MemoryBound: 0
; FloatMode: 240
; IeeeMode: 1
; LDSByteSize: 0 bytes/workgroup (compile time only)
; SGPRBlocks: 0
; VGPRBlocks: 0
; NumSGPRsForWavesPerEU: 1
; NumVGPRsForWavesPerEU: 1
; Occupancy: 16
; WaveLimiterHint : 0
; COMPUTE_PGM_RSRC2:SCRATCH_EN: 0
; COMPUTE_PGM_RSRC2:USER_SGPR: 6
; COMPUTE_PGM_RSRC2:TRAP_HANDLER: 0
; COMPUTE_PGM_RSRC2:TGID_X_EN: 1
; COMPUTE_PGM_RSRC2:TGID_Y_EN: 0
; COMPUTE_PGM_RSRC2:TGID_Z_EN: 0
; COMPUTE_PGM_RSRC2:TIDIG_COMP_CNT: 0
	.section	.text._ZN7rocprim17ROCPRIM_400000_NS6detail17trampoline_kernelINS0_14default_configENS1_36segmented_radix_sort_config_selectorI12hip_bfloat16lEEZNS1_25segmented_radix_sort_implIS3_Lb0EPKS5_PS5_PKlPlN2at6native12_GLOBAL__N_18offset_tEEE10hipError_tPvRmT1_PNSt15iterator_traitsISL_E10value_typeET2_T3_PNSM_ISR_E10value_typeET4_jRbjT5_SX_jjP12ihipStream_tbEUlT_E1_NS1_11comp_targetILNS1_3genE3ELNS1_11target_archE908ELNS1_3gpuE7ELNS1_3repE0EEENS1_59segmented_radix_sort_warp_sort_small_config_static_selectorELNS0_4arch9wavefront6targetE0EEEvSL_,"axG",@progbits,_ZN7rocprim17ROCPRIM_400000_NS6detail17trampoline_kernelINS0_14default_configENS1_36segmented_radix_sort_config_selectorI12hip_bfloat16lEEZNS1_25segmented_radix_sort_implIS3_Lb0EPKS5_PS5_PKlPlN2at6native12_GLOBAL__N_18offset_tEEE10hipError_tPvRmT1_PNSt15iterator_traitsISL_E10value_typeET2_T3_PNSM_ISR_E10value_typeET4_jRbjT5_SX_jjP12ihipStream_tbEUlT_E1_NS1_11comp_targetILNS1_3genE3ELNS1_11target_archE908ELNS1_3gpuE7ELNS1_3repE0EEENS1_59segmented_radix_sort_warp_sort_small_config_static_selectorELNS0_4arch9wavefront6targetE0EEEvSL_,comdat
	.globl	_ZN7rocprim17ROCPRIM_400000_NS6detail17trampoline_kernelINS0_14default_configENS1_36segmented_radix_sort_config_selectorI12hip_bfloat16lEEZNS1_25segmented_radix_sort_implIS3_Lb0EPKS5_PS5_PKlPlN2at6native12_GLOBAL__N_18offset_tEEE10hipError_tPvRmT1_PNSt15iterator_traitsISL_E10value_typeET2_T3_PNSM_ISR_E10value_typeET4_jRbjT5_SX_jjP12ihipStream_tbEUlT_E1_NS1_11comp_targetILNS1_3genE3ELNS1_11target_archE908ELNS1_3gpuE7ELNS1_3repE0EEENS1_59segmented_radix_sort_warp_sort_small_config_static_selectorELNS0_4arch9wavefront6targetE0EEEvSL_ ; -- Begin function _ZN7rocprim17ROCPRIM_400000_NS6detail17trampoline_kernelINS0_14default_configENS1_36segmented_radix_sort_config_selectorI12hip_bfloat16lEEZNS1_25segmented_radix_sort_implIS3_Lb0EPKS5_PS5_PKlPlN2at6native12_GLOBAL__N_18offset_tEEE10hipError_tPvRmT1_PNSt15iterator_traitsISL_E10value_typeET2_T3_PNSM_ISR_E10value_typeET4_jRbjT5_SX_jjP12ihipStream_tbEUlT_E1_NS1_11comp_targetILNS1_3genE3ELNS1_11target_archE908ELNS1_3gpuE7ELNS1_3repE0EEENS1_59segmented_radix_sort_warp_sort_small_config_static_selectorELNS0_4arch9wavefront6targetE0EEEvSL_
	.p2align	8
	.type	_ZN7rocprim17ROCPRIM_400000_NS6detail17trampoline_kernelINS0_14default_configENS1_36segmented_radix_sort_config_selectorI12hip_bfloat16lEEZNS1_25segmented_radix_sort_implIS3_Lb0EPKS5_PS5_PKlPlN2at6native12_GLOBAL__N_18offset_tEEE10hipError_tPvRmT1_PNSt15iterator_traitsISL_E10value_typeET2_T3_PNSM_ISR_E10value_typeET4_jRbjT5_SX_jjP12ihipStream_tbEUlT_E1_NS1_11comp_targetILNS1_3genE3ELNS1_11target_archE908ELNS1_3gpuE7ELNS1_3repE0EEENS1_59segmented_radix_sort_warp_sort_small_config_static_selectorELNS0_4arch9wavefront6targetE0EEEvSL_,@function
_ZN7rocprim17ROCPRIM_400000_NS6detail17trampoline_kernelINS0_14default_configENS1_36segmented_radix_sort_config_selectorI12hip_bfloat16lEEZNS1_25segmented_radix_sort_implIS3_Lb0EPKS5_PS5_PKlPlN2at6native12_GLOBAL__N_18offset_tEEE10hipError_tPvRmT1_PNSt15iterator_traitsISL_E10value_typeET2_T3_PNSM_ISR_E10value_typeET4_jRbjT5_SX_jjP12ihipStream_tbEUlT_E1_NS1_11comp_targetILNS1_3genE3ELNS1_11target_archE908ELNS1_3gpuE7ELNS1_3repE0EEENS1_59segmented_radix_sort_warp_sort_small_config_static_selectorELNS0_4arch9wavefront6targetE0EEEvSL_: ; @_ZN7rocprim17ROCPRIM_400000_NS6detail17trampoline_kernelINS0_14default_configENS1_36segmented_radix_sort_config_selectorI12hip_bfloat16lEEZNS1_25segmented_radix_sort_implIS3_Lb0EPKS5_PS5_PKlPlN2at6native12_GLOBAL__N_18offset_tEEE10hipError_tPvRmT1_PNSt15iterator_traitsISL_E10value_typeET2_T3_PNSM_ISR_E10value_typeET4_jRbjT5_SX_jjP12ihipStream_tbEUlT_E1_NS1_11comp_targetILNS1_3genE3ELNS1_11target_archE908ELNS1_3gpuE7ELNS1_3repE0EEENS1_59segmented_radix_sort_warp_sort_small_config_static_selectorELNS0_4arch9wavefront6targetE0EEEvSL_
; %bb.0:
	.section	.rodata,"a",@progbits
	.p2align	6, 0x0
	.amdhsa_kernel _ZN7rocprim17ROCPRIM_400000_NS6detail17trampoline_kernelINS0_14default_configENS1_36segmented_radix_sort_config_selectorI12hip_bfloat16lEEZNS1_25segmented_radix_sort_implIS3_Lb0EPKS5_PS5_PKlPlN2at6native12_GLOBAL__N_18offset_tEEE10hipError_tPvRmT1_PNSt15iterator_traitsISL_E10value_typeET2_T3_PNSM_ISR_E10value_typeET4_jRbjT5_SX_jjP12ihipStream_tbEUlT_E1_NS1_11comp_targetILNS1_3genE3ELNS1_11target_archE908ELNS1_3gpuE7ELNS1_3repE0EEENS1_59segmented_radix_sort_warp_sort_small_config_static_selectorELNS0_4arch9wavefront6targetE0EEEvSL_
		.amdhsa_group_segment_fixed_size 0
		.amdhsa_private_segment_fixed_size 0
		.amdhsa_kernarg_size 88
		.amdhsa_user_sgpr_count 6
		.amdhsa_user_sgpr_private_segment_buffer 1
		.amdhsa_user_sgpr_dispatch_ptr 0
		.amdhsa_user_sgpr_queue_ptr 0
		.amdhsa_user_sgpr_kernarg_segment_ptr 1
		.amdhsa_user_sgpr_dispatch_id 0
		.amdhsa_user_sgpr_flat_scratch_init 0
		.amdhsa_user_sgpr_private_segment_size 0
		.amdhsa_wavefront_size32 1
		.amdhsa_uses_dynamic_stack 0
		.amdhsa_system_sgpr_private_segment_wavefront_offset 0
		.amdhsa_system_sgpr_workgroup_id_x 1
		.amdhsa_system_sgpr_workgroup_id_y 0
		.amdhsa_system_sgpr_workgroup_id_z 0
		.amdhsa_system_sgpr_workgroup_info 0
		.amdhsa_system_vgpr_workitem_id 0
		.amdhsa_next_free_vgpr 1
		.amdhsa_next_free_sgpr 1
		.amdhsa_reserve_vcc 0
		.amdhsa_reserve_flat_scratch 0
		.amdhsa_float_round_mode_32 0
		.amdhsa_float_round_mode_16_64 0
		.amdhsa_float_denorm_mode_32 3
		.amdhsa_float_denorm_mode_16_64 3
		.amdhsa_dx10_clamp 1
		.amdhsa_ieee_mode 1
		.amdhsa_fp16_overflow 0
		.amdhsa_workgroup_processor_mode 1
		.amdhsa_memory_ordered 1
		.amdhsa_forward_progress 1
		.amdhsa_shared_vgpr_count 0
		.amdhsa_exception_fp_ieee_invalid_op 0
		.amdhsa_exception_fp_denorm_src 0
		.amdhsa_exception_fp_ieee_div_zero 0
		.amdhsa_exception_fp_ieee_overflow 0
		.amdhsa_exception_fp_ieee_underflow 0
		.amdhsa_exception_fp_ieee_inexact 0
		.amdhsa_exception_int_div_zero 0
	.end_amdhsa_kernel
	.section	.text._ZN7rocprim17ROCPRIM_400000_NS6detail17trampoline_kernelINS0_14default_configENS1_36segmented_radix_sort_config_selectorI12hip_bfloat16lEEZNS1_25segmented_radix_sort_implIS3_Lb0EPKS5_PS5_PKlPlN2at6native12_GLOBAL__N_18offset_tEEE10hipError_tPvRmT1_PNSt15iterator_traitsISL_E10value_typeET2_T3_PNSM_ISR_E10value_typeET4_jRbjT5_SX_jjP12ihipStream_tbEUlT_E1_NS1_11comp_targetILNS1_3genE3ELNS1_11target_archE908ELNS1_3gpuE7ELNS1_3repE0EEENS1_59segmented_radix_sort_warp_sort_small_config_static_selectorELNS0_4arch9wavefront6targetE0EEEvSL_,"axG",@progbits,_ZN7rocprim17ROCPRIM_400000_NS6detail17trampoline_kernelINS0_14default_configENS1_36segmented_radix_sort_config_selectorI12hip_bfloat16lEEZNS1_25segmented_radix_sort_implIS3_Lb0EPKS5_PS5_PKlPlN2at6native12_GLOBAL__N_18offset_tEEE10hipError_tPvRmT1_PNSt15iterator_traitsISL_E10value_typeET2_T3_PNSM_ISR_E10value_typeET4_jRbjT5_SX_jjP12ihipStream_tbEUlT_E1_NS1_11comp_targetILNS1_3genE3ELNS1_11target_archE908ELNS1_3gpuE7ELNS1_3repE0EEENS1_59segmented_radix_sort_warp_sort_small_config_static_selectorELNS0_4arch9wavefront6targetE0EEEvSL_,comdat
.Lfunc_end2062:
	.size	_ZN7rocprim17ROCPRIM_400000_NS6detail17trampoline_kernelINS0_14default_configENS1_36segmented_radix_sort_config_selectorI12hip_bfloat16lEEZNS1_25segmented_radix_sort_implIS3_Lb0EPKS5_PS5_PKlPlN2at6native12_GLOBAL__N_18offset_tEEE10hipError_tPvRmT1_PNSt15iterator_traitsISL_E10value_typeET2_T3_PNSM_ISR_E10value_typeET4_jRbjT5_SX_jjP12ihipStream_tbEUlT_E1_NS1_11comp_targetILNS1_3genE3ELNS1_11target_archE908ELNS1_3gpuE7ELNS1_3repE0EEENS1_59segmented_radix_sort_warp_sort_small_config_static_selectorELNS0_4arch9wavefront6targetE0EEEvSL_, .Lfunc_end2062-_ZN7rocprim17ROCPRIM_400000_NS6detail17trampoline_kernelINS0_14default_configENS1_36segmented_radix_sort_config_selectorI12hip_bfloat16lEEZNS1_25segmented_radix_sort_implIS3_Lb0EPKS5_PS5_PKlPlN2at6native12_GLOBAL__N_18offset_tEEE10hipError_tPvRmT1_PNSt15iterator_traitsISL_E10value_typeET2_T3_PNSM_ISR_E10value_typeET4_jRbjT5_SX_jjP12ihipStream_tbEUlT_E1_NS1_11comp_targetILNS1_3genE3ELNS1_11target_archE908ELNS1_3gpuE7ELNS1_3repE0EEENS1_59segmented_radix_sort_warp_sort_small_config_static_selectorELNS0_4arch9wavefront6targetE0EEEvSL_
                                        ; -- End function
	.set _ZN7rocprim17ROCPRIM_400000_NS6detail17trampoline_kernelINS0_14default_configENS1_36segmented_radix_sort_config_selectorI12hip_bfloat16lEEZNS1_25segmented_radix_sort_implIS3_Lb0EPKS5_PS5_PKlPlN2at6native12_GLOBAL__N_18offset_tEEE10hipError_tPvRmT1_PNSt15iterator_traitsISL_E10value_typeET2_T3_PNSM_ISR_E10value_typeET4_jRbjT5_SX_jjP12ihipStream_tbEUlT_E1_NS1_11comp_targetILNS1_3genE3ELNS1_11target_archE908ELNS1_3gpuE7ELNS1_3repE0EEENS1_59segmented_radix_sort_warp_sort_small_config_static_selectorELNS0_4arch9wavefront6targetE0EEEvSL_.num_vgpr, 0
	.set _ZN7rocprim17ROCPRIM_400000_NS6detail17trampoline_kernelINS0_14default_configENS1_36segmented_radix_sort_config_selectorI12hip_bfloat16lEEZNS1_25segmented_radix_sort_implIS3_Lb0EPKS5_PS5_PKlPlN2at6native12_GLOBAL__N_18offset_tEEE10hipError_tPvRmT1_PNSt15iterator_traitsISL_E10value_typeET2_T3_PNSM_ISR_E10value_typeET4_jRbjT5_SX_jjP12ihipStream_tbEUlT_E1_NS1_11comp_targetILNS1_3genE3ELNS1_11target_archE908ELNS1_3gpuE7ELNS1_3repE0EEENS1_59segmented_radix_sort_warp_sort_small_config_static_selectorELNS0_4arch9wavefront6targetE0EEEvSL_.num_agpr, 0
	.set _ZN7rocprim17ROCPRIM_400000_NS6detail17trampoline_kernelINS0_14default_configENS1_36segmented_radix_sort_config_selectorI12hip_bfloat16lEEZNS1_25segmented_radix_sort_implIS3_Lb0EPKS5_PS5_PKlPlN2at6native12_GLOBAL__N_18offset_tEEE10hipError_tPvRmT1_PNSt15iterator_traitsISL_E10value_typeET2_T3_PNSM_ISR_E10value_typeET4_jRbjT5_SX_jjP12ihipStream_tbEUlT_E1_NS1_11comp_targetILNS1_3genE3ELNS1_11target_archE908ELNS1_3gpuE7ELNS1_3repE0EEENS1_59segmented_radix_sort_warp_sort_small_config_static_selectorELNS0_4arch9wavefront6targetE0EEEvSL_.numbered_sgpr, 0
	.set _ZN7rocprim17ROCPRIM_400000_NS6detail17trampoline_kernelINS0_14default_configENS1_36segmented_radix_sort_config_selectorI12hip_bfloat16lEEZNS1_25segmented_radix_sort_implIS3_Lb0EPKS5_PS5_PKlPlN2at6native12_GLOBAL__N_18offset_tEEE10hipError_tPvRmT1_PNSt15iterator_traitsISL_E10value_typeET2_T3_PNSM_ISR_E10value_typeET4_jRbjT5_SX_jjP12ihipStream_tbEUlT_E1_NS1_11comp_targetILNS1_3genE3ELNS1_11target_archE908ELNS1_3gpuE7ELNS1_3repE0EEENS1_59segmented_radix_sort_warp_sort_small_config_static_selectorELNS0_4arch9wavefront6targetE0EEEvSL_.num_named_barrier, 0
	.set _ZN7rocprim17ROCPRIM_400000_NS6detail17trampoline_kernelINS0_14default_configENS1_36segmented_radix_sort_config_selectorI12hip_bfloat16lEEZNS1_25segmented_radix_sort_implIS3_Lb0EPKS5_PS5_PKlPlN2at6native12_GLOBAL__N_18offset_tEEE10hipError_tPvRmT1_PNSt15iterator_traitsISL_E10value_typeET2_T3_PNSM_ISR_E10value_typeET4_jRbjT5_SX_jjP12ihipStream_tbEUlT_E1_NS1_11comp_targetILNS1_3genE3ELNS1_11target_archE908ELNS1_3gpuE7ELNS1_3repE0EEENS1_59segmented_radix_sort_warp_sort_small_config_static_selectorELNS0_4arch9wavefront6targetE0EEEvSL_.private_seg_size, 0
	.set _ZN7rocprim17ROCPRIM_400000_NS6detail17trampoline_kernelINS0_14default_configENS1_36segmented_radix_sort_config_selectorI12hip_bfloat16lEEZNS1_25segmented_radix_sort_implIS3_Lb0EPKS5_PS5_PKlPlN2at6native12_GLOBAL__N_18offset_tEEE10hipError_tPvRmT1_PNSt15iterator_traitsISL_E10value_typeET2_T3_PNSM_ISR_E10value_typeET4_jRbjT5_SX_jjP12ihipStream_tbEUlT_E1_NS1_11comp_targetILNS1_3genE3ELNS1_11target_archE908ELNS1_3gpuE7ELNS1_3repE0EEENS1_59segmented_radix_sort_warp_sort_small_config_static_selectorELNS0_4arch9wavefront6targetE0EEEvSL_.uses_vcc, 0
	.set _ZN7rocprim17ROCPRIM_400000_NS6detail17trampoline_kernelINS0_14default_configENS1_36segmented_radix_sort_config_selectorI12hip_bfloat16lEEZNS1_25segmented_radix_sort_implIS3_Lb0EPKS5_PS5_PKlPlN2at6native12_GLOBAL__N_18offset_tEEE10hipError_tPvRmT1_PNSt15iterator_traitsISL_E10value_typeET2_T3_PNSM_ISR_E10value_typeET4_jRbjT5_SX_jjP12ihipStream_tbEUlT_E1_NS1_11comp_targetILNS1_3genE3ELNS1_11target_archE908ELNS1_3gpuE7ELNS1_3repE0EEENS1_59segmented_radix_sort_warp_sort_small_config_static_selectorELNS0_4arch9wavefront6targetE0EEEvSL_.uses_flat_scratch, 0
	.set _ZN7rocprim17ROCPRIM_400000_NS6detail17trampoline_kernelINS0_14default_configENS1_36segmented_radix_sort_config_selectorI12hip_bfloat16lEEZNS1_25segmented_radix_sort_implIS3_Lb0EPKS5_PS5_PKlPlN2at6native12_GLOBAL__N_18offset_tEEE10hipError_tPvRmT1_PNSt15iterator_traitsISL_E10value_typeET2_T3_PNSM_ISR_E10value_typeET4_jRbjT5_SX_jjP12ihipStream_tbEUlT_E1_NS1_11comp_targetILNS1_3genE3ELNS1_11target_archE908ELNS1_3gpuE7ELNS1_3repE0EEENS1_59segmented_radix_sort_warp_sort_small_config_static_selectorELNS0_4arch9wavefront6targetE0EEEvSL_.has_dyn_sized_stack, 0
	.set _ZN7rocprim17ROCPRIM_400000_NS6detail17trampoline_kernelINS0_14default_configENS1_36segmented_radix_sort_config_selectorI12hip_bfloat16lEEZNS1_25segmented_radix_sort_implIS3_Lb0EPKS5_PS5_PKlPlN2at6native12_GLOBAL__N_18offset_tEEE10hipError_tPvRmT1_PNSt15iterator_traitsISL_E10value_typeET2_T3_PNSM_ISR_E10value_typeET4_jRbjT5_SX_jjP12ihipStream_tbEUlT_E1_NS1_11comp_targetILNS1_3genE3ELNS1_11target_archE908ELNS1_3gpuE7ELNS1_3repE0EEENS1_59segmented_radix_sort_warp_sort_small_config_static_selectorELNS0_4arch9wavefront6targetE0EEEvSL_.has_recursion, 0
	.set _ZN7rocprim17ROCPRIM_400000_NS6detail17trampoline_kernelINS0_14default_configENS1_36segmented_radix_sort_config_selectorI12hip_bfloat16lEEZNS1_25segmented_radix_sort_implIS3_Lb0EPKS5_PS5_PKlPlN2at6native12_GLOBAL__N_18offset_tEEE10hipError_tPvRmT1_PNSt15iterator_traitsISL_E10value_typeET2_T3_PNSM_ISR_E10value_typeET4_jRbjT5_SX_jjP12ihipStream_tbEUlT_E1_NS1_11comp_targetILNS1_3genE3ELNS1_11target_archE908ELNS1_3gpuE7ELNS1_3repE0EEENS1_59segmented_radix_sort_warp_sort_small_config_static_selectorELNS0_4arch9wavefront6targetE0EEEvSL_.has_indirect_call, 0
	.section	.AMDGPU.csdata,"",@progbits
; Kernel info:
; codeLenInByte = 0
; TotalNumSgprs: 0
; NumVgprs: 0
; ScratchSize: 0
; MemoryBound: 0
; FloatMode: 240
; IeeeMode: 1
; LDSByteSize: 0 bytes/workgroup (compile time only)
; SGPRBlocks: 0
; VGPRBlocks: 0
; NumSGPRsForWavesPerEU: 1
; NumVGPRsForWavesPerEU: 1
; Occupancy: 16
; WaveLimiterHint : 0
; COMPUTE_PGM_RSRC2:SCRATCH_EN: 0
; COMPUTE_PGM_RSRC2:USER_SGPR: 6
; COMPUTE_PGM_RSRC2:TRAP_HANDLER: 0
; COMPUTE_PGM_RSRC2:TGID_X_EN: 1
; COMPUTE_PGM_RSRC2:TGID_Y_EN: 0
; COMPUTE_PGM_RSRC2:TGID_Z_EN: 0
; COMPUTE_PGM_RSRC2:TIDIG_COMP_CNT: 0
	.section	.text._ZN7rocprim17ROCPRIM_400000_NS6detail17trampoline_kernelINS0_14default_configENS1_36segmented_radix_sort_config_selectorI12hip_bfloat16lEEZNS1_25segmented_radix_sort_implIS3_Lb0EPKS5_PS5_PKlPlN2at6native12_GLOBAL__N_18offset_tEEE10hipError_tPvRmT1_PNSt15iterator_traitsISL_E10value_typeET2_T3_PNSM_ISR_E10value_typeET4_jRbjT5_SX_jjP12ihipStream_tbEUlT_E1_NS1_11comp_targetILNS1_3genE2ELNS1_11target_archE906ELNS1_3gpuE6ELNS1_3repE0EEENS1_59segmented_radix_sort_warp_sort_small_config_static_selectorELNS0_4arch9wavefront6targetE0EEEvSL_,"axG",@progbits,_ZN7rocprim17ROCPRIM_400000_NS6detail17trampoline_kernelINS0_14default_configENS1_36segmented_radix_sort_config_selectorI12hip_bfloat16lEEZNS1_25segmented_radix_sort_implIS3_Lb0EPKS5_PS5_PKlPlN2at6native12_GLOBAL__N_18offset_tEEE10hipError_tPvRmT1_PNSt15iterator_traitsISL_E10value_typeET2_T3_PNSM_ISR_E10value_typeET4_jRbjT5_SX_jjP12ihipStream_tbEUlT_E1_NS1_11comp_targetILNS1_3genE2ELNS1_11target_archE906ELNS1_3gpuE6ELNS1_3repE0EEENS1_59segmented_radix_sort_warp_sort_small_config_static_selectorELNS0_4arch9wavefront6targetE0EEEvSL_,comdat
	.globl	_ZN7rocprim17ROCPRIM_400000_NS6detail17trampoline_kernelINS0_14default_configENS1_36segmented_radix_sort_config_selectorI12hip_bfloat16lEEZNS1_25segmented_radix_sort_implIS3_Lb0EPKS5_PS5_PKlPlN2at6native12_GLOBAL__N_18offset_tEEE10hipError_tPvRmT1_PNSt15iterator_traitsISL_E10value_typeET2_T3_PNSM_ISR_E10value_typeET4_jRbjT5_SX_jjP12ihipStream_tbEUlT_E1_NS1_11comp_targetILNS1_3genE2ELNS1_11target_archE906ELNS1_3gpuE6ELNS1_3repE0EEENS1_59segmented_radix_sort_warp_sort_small_config_static_selectorELNS0_4arch9wavefront6targetE0EEEvSL_ ; -- Begin function _ZN7rocprim17ROCPRIM_400000_NS6detail17trampoline_kernelINS0_14default_configENS1_36segmented_radix_sort_config_selectorI12hip_bfloat16lEEZNS1_25segmented_radix_sort_implIS3_Lb0EPKS5_PS5_PKlPlN2at6native12_GLOBAL__N_18offset_tEEE10hipError_tPvRmT1_PNSt15iterator_traitsISL_E10value_typeET2_T3_PNSM_ISR_E10value_typeET4_jRbjT5_SX_jjP12ihipStream_tbEUlT_E1_NS1_11comp_targetILNS1_3genE2ELNS1_11target_archE906ELNS1_3gpuE6ELNS1_3repE0EEENS1_59segmented_radix_sort_warp_sort_small_config_static_selectorELNS0_4arch9wavefront6targetE0EEEvSL_
	.p2align	8
	.type	_ZN7rocprim17ROCPRIM_400000_NS6detail17trampoline_kernelINS0_14default_configENS1_36segmented_radix_sort_config_selectorI12hip_bfloat16lEEZNS1_25segmented_radix_sort_implIS3_Lb0EPKS5_PS5_PKlPlN2at6native12_GLOBAL__N_18offset_tEEE10hipError_tPvRmT1_PNSt15iterator_traitsISL_E10value_typeET2_T3_PNSM_ISR_E10value_typeET4_jRbjT5_SX_jjP12ihipStream_tbEUlT_E1_NS1_11comp_targetILNS1_3genE2ELNS1_11target_archE906ELNS1_3gpuE6ELNS1_3repE0EEENS1_59segmented_radix_sort_warp_sort_small_config_static_selectorELNS0_4arch9wavefront6targetE0EEEvSL_,@function
_ZN7rocprim17ROCPRIM_400000_NS6detail17trampoline_kernelINS0_14default_configENS1_36segmented_radix_sort_config_selectorI12hip_bfloat16lEEZNS1_25segmented_radix_sort_implIS3_Lb0EPKS5_PS5_PKlPlN2at6native12_GLOBAL__N_18offset_tEEE10hipError_tPvRmT1_PNSt15iterator_traitsISL_E10value_typeET2_T3_PNSM_ISR_E10value_typeET4_jRbjT5_SX_jjP12ihipStream_tbEUlT_E1_NS1_11comp_targetILNS1_3genE2ELNS1_11target_archE906ELNS1_3gpuE6ELNS1_3repE0EEENS1_59segmented_radix_sort_warp_sort_small_config_static_selectorELNS0_4arch9wavefront6targetE0EEEvSL_: ; @_ZN7rocprim17ROCPRIM_400000_NS6detail17trampoline_kernelINS0_14default_configENS1_36segmented_radix_sort_config_selectorI12hip_bfloat16lEEZNS1_25segmented_radix_sort_implIS3_Lb0EPKS5_PS5_PKlPlN2at6native12_GLOBAL__N_18offset_tEEE10hipError_tPvRmT1_PNSt15iterator_traitsISL_E10value_typeET2_T3_PNSM_ISR_E10value_typeET4_jRbjT5_SX_jjP12ihipStream_tbEUlT_E1_NS1_11comp_targetILNS1_3genE2ELNS1_11target_archE906ELNS1_3gpuE6ELNS1_3repE0EEENS1_59segmented_radix_sort_warp_sort_small_config_static_selectorELNS0_4arch9wavefront6targetE0EEEvSL_
; %bb.0:
	.section	.rodata,"a",@progbits
	.p2align	6, 0x0
	.amdhsa_kernel _ZN7rocprim17ROCPRIM_400000_NS6detail17trampoline_kernelINS0_14default_configENS1_36segmented_radix_sort_config_selectorI12hip_bfloat16lEEZNS1_25segmented_radix_sort_implIS3_Lb0EPKS5_PS5_PKlPlN2at6native12_GLOBAL__N_18offset_tEEE10hipError_tPvRmT1_PNSt15iterator_traitsISL_E10value_typeET2_T3_PNSM_ISR_E10value_typeET4_jRbjT5_SX_jjP12ihipStream_tbEUlT_E1_NS1_11comp_targetILNS1_3genE2ELNS1_11target_archE906ELNS1_3gpuE6ELNS1_3repE0EEENS1_59segmented_radix_sort_warp_sort_small_config_static_selectorELNS0_4arch9wavefront6targetE0EEEvSL_
		.amdhsa_group_segment_fixed_size 0
		.amdhsa_private_segment_fixed_size 0
		.amdhsa_kernarg_size 88
		.amdhsa_user_sgpr_count 6
		.amdhsa_user_sgpr_private_segment_buffer 1
		.amdhsa_user_sgpr_dispatch_ptr 0
		.amdhsa_user_sgpr_queue_ptr 0
		.amdhsa_user_sgpr_kernarg_segment_ptr 1
		.amdhsa_user_sgpr_dispatch_id 0
		.amdhsa_user_sgpr_flat_scratch_init 0
		.amdhsa_user_sgpr_private_segment_size 0
		.amdhsa_wavefront_size32 1
		.amdhsa_uses_dynamic_stack 0
		.amdhsa_system_sgpr_private_segment_wavefront_offset 0
		.amdhsa_system_sgpr_workgroup_id_x 1
		.amdhsa_system_sgpr_workgroup_id_y 0
		.amdhsa_system_sgpr_workgroup_id_z 0
		.amdhsa_system_sgpr_workgroup_info 0
		.amdhsa_system_vgpr_workitem_id 0
		.amdhsa_next_free_vgpr 1
		.amdhsa_next_free_sgpr 1
		.amdhsa_reserve_vcc 0
		.amdhsa_reserve_flat_scratch 0
		.amdhsa_float_round_mode_32 0
		.amdhsa_float_round_mode_16_64 0
		.amdhsa_float_denorm_mode_32 3
		.amdhsa_float_denorm_mode_16_64 3
		.amdhsa_dx10_clamp 1
		.amdhsa_ieee_mode 1
		.amdhsa_fp16_overflow 0
		.amdhsa_workgroup_processor_mode 1
		.amdhsa_memory_ordered 1
		.amdhsa_forward_progress 1
		.amdhsa_shared_vgpr_count 0
		.amdhsa_exception_fp_ieee_invalid_op 0
		.amdhsa_exception_fp_denorm_src 0
		.amdhsa_exception_fp_ieee_div_zero 0
		.amdhsa_exception_fp_ieee_overflow 0
		.amdhsa_exception_fp_ieee_underflow 0
		.amdhsa_exception_fp_ieee_inexact 0
		.amdhsa_exception_int_div_zero 0
	.end_amdhsa_kernel
	.section	.text._ZN7rocprim17ROCPRIM_400000_NS6detail17trampoline_kernelINS0_14default_configENS1_36segmented_radix_sort_config_selectorI12hip_bfloat16lEEZNS1_25segmented_radix_sort_implIS3_Lb0EPKS5_PS5_PKlPlN2at6native12_GLOBAL__N_18offset_tEEE10hipError_tPvRmT1_PNSt15iterator_traitsISL_E10value_typeET2_T3_PNSM_ISR_E10value_typeET4_jRbjT5_SX_jjP12ihipStream_tbEUlT_E1_NS1_11comp_targetILNS1_3genE2ELNS1_11target_archE906ELNS1_3gpuE6ELNS1_3repE0EEENS1_59segmented_radix_sort_warp_sort_small_config_static_selectorELNS0_4arch9wavefront6targetE0EEEvSL_,"axG",@progbits,_ZN7rocprim17ROCPRIM_400000_NS6detail17trampoline_kernelINS0_14default_configENS1_36segmented_radix_sort_config_selectorI12hip_bfloat16lEEZNS1_25segmented_radix_sort_implIS3_Lb0EPKS5_PS5_PKlPlN2at6native12_GLOBAL__N_18offset_tEEE10hipError_tPvRmT1_PNSt15iterator_traitsISL_E10value_typeET2_T3_PNSM_ISR_E10value_typeET4_jRbjT5_SX_jjP12ihipStream_tbEUlT_E1_NS1_11comp_targetILNS1_3genE2ELNS1_11target_archE906ELNS1_3gpuE6ELNS1_3repE0EEENS1_59segmented_radix_sort_warp_sort_small_config_static_selectorELNS0_4arch9wavefront6targetE0EEEvSL_,comdat
.Lfunc_end2063:
	.size	_ZN7rocprim17ROCPRIM_400000_NS6detail17trampoline_kernelINS0_14default_configENS1_36segmented_radix_sort_config_selectorI12hip_bfloat16lEEZNS1_25segmented_radix_sort_implIS3_Lb0EPKS5_PS5_PKlPlN2at6native12_GLOBAL__N_18offset_tEEE10hipError_tPvRmT1_PNSt15iterator_traitsISL_E10value_typeET2_T3_PNSM_ISR_E10value_typeET4_jRbjT5_SX_jjP12ihipStream_tbEUlT_E1_NS1_11comp_targetILNS1_3genE2ELNS1_11target_archE906ELNS1_3gpuE6ELNS1_3repE0EEENS1_59segmented_radix_sort_warp_sort_small_config_static_selectorELNS0_4arch9wavefront6targetE0EEEvSL_, .Lfunc_end2063-_ZN7rocprim17ROCPRIM_400000_NS6detail17trampoline_kernelINS0_14default_configENS1_36segmented_radix_sort_config_selectorI12hip_bfloat16lEEZNS1_25segmented_radix_sort_implIS3_Lb0EPKS5_PS5_PKlPlN2at6native12_GLOBAL__N_18offset_tEEE10hipError_tPvRmT1_PNSt15iterator_traitsISL_E10value_typeET2_T3_PNSM_ISR_E10value_typeET4_jRbjT5_SX_jjP12ihipStream_tbEUlT_E1_NS1_11comp_targetILNS1_3genE2ELNS1_11target_archE906ELNS1_3gpuE6ELNS1_3repE0EEENS1_59segmented_radix_sort_warp_sort_small_config_static_selectorELNS0_4arch9wavefront6targetE0EEEvSL_
                                        ; -- End function
	.set _ZN7rocprim17ROCPRIM_400000_NS6detail17trampoline_kernelINS0_14default_configENS1_36segmented_radix_sort_config_selectorI12hip_bfloat16lEEZNS1_25segmented_radix_sort_implIS3_Lb0EPKS5_PS5_PKlPlN2at6native12_GLOBAL__N_18offset_tEEE10hipError_tPvRmT1_PNSt15iterator_traitsISL_E10value_typeET2_T3_PNSM_ISR_E10value_typeET4_jRbjT5_SX_jjP12ihipStream_tbEUlT_E1_NS1_11comp_targetILNS1_3genE2ELNS1_11target_archE906ELNS1_3gpuE6ELNS1_3repE0EEENS1_59segmented_radix_sort_warp_sort_small_config_static_selectorELNS0_4arch9wavefront6targetE0EEEvSL_.num_vgpr, 0
	.set _ZN7rocprim17ROCPRIM_400000_NS6detail17trampoline_kernelINS0_14default_configENS1_36segmented_radix_sort_config_selectorI12hip_bfloat16lEEZNS1_25segmented_radix_sort_implIS3_Lb0EPKS5_PS5_PKlPlN2at6native12_GLOBAL__N_18offset_tEEE10hipError_tPvRmT1_PNSt15iterator_traitsISL_E10value_typeET2_T3_PNSM_ISR_E10value_typeET4_jRbjT5_SX_jjP12ihipStream_tbEUlT_E1_NS1_11comp_targetILNS1_3genE2ELNS1_11target_archE906ELNS1_3gpuE6ELNS1_3repE0EEENS1_59segmented_radix_sort_warp_sort_small_config_static_selectorELNS0_4arch9wavefront6targetE0EEEvSL_.num_agpr, 0
	.set _ZN7rocprim17ROCPRIM_400000_NS6detail17trampoline_kernelINS0_14default_configENS1_36segmented_radix_sort_config_selectorI12hip_bfloat16lEEZNS1_25segmented_radix_sort_implIS3_Lb0EPKS5_PS5_PKlPlN2at6native12_GLOBAL__N_18offset_tEEE10hipError_tPvRmT1_PNSt15iterator_traitsISL_E10value_typeET2_T3_PNSM_ISR_E10value_typeET4_jRbjT5_SX_jjP12ihipStream_tbEUlT_E1_NS1_11comp_targetILNS1_3genE2ELNS1_11target_archE906ELNS1_3gpuE6ELNS1_3repE0EEENS1_59segmented_radix_sort_warp_sort_small_config_static_selectorELNS0_4arch9wavefront6targetE0EEEvSL_.numbered_sgpr, 0
	.set _ZN7rocprim17ROCPRIM_400000_NS6detail17trampoline_kernelINS0_14default_configENS1_36segmented_radix_sort_config_selectorI12hip_bfloat16lEEZNS1_25segmented_radix_sort_implIS3_Lb0EPKS5_PS5_PKlPlN2at6native12_GLOBAL__N_18offset_tEEE10hipError_tPvRmT1_PNSt15iterator_traitsISL_E10value_typeET2_T3_PNSM_ISR_E10value_typeET4_jRbjT5_SX_jjP12ihipStream_tbEUlT_E1_NS1_11comp_targetILNS1_3genE2ELNS1_11target_archE906ELNS1_3gpuE6ELNS1_3repE0EEENS1_59segmented_radix_sort_warp_sort_small_config_static_selectorELNS0_4arch9wavefront6targetE0EEEvSL_.num_named_barrier, 0
	.set _ZN7rocprim17ROCPRIM_400000_NS6detail17trampoline_kernelINS0_14default_configENS1_36segmented_radix_sort_config_selectorI12hip_bfloat16lEEZNS1_25segmented_radix_sort_implIS3_Lb0EPKS5_PS5_PKlPlN2at6native12_GLOBAL__N_18offset_tEEE10hipError_tPvRmT1_PNSt15iterator_traitsISL_E10value_typeET2_T3_PNSM_ISR_E10value_typeET4_jRbjT5_SX_jjP12ihipStream_tbEUlT_E1_NS1_11comp_targetILNS1_3genE2ELNS1_11target_archE906ELNS1_3gpuE6ELNS1_3repE0EEENS1_59segmented_radix_sort_warp_sort_small_config_static_selectorELNS0_4arch9wavefront6targetE0EEEvSL_.private_seg_size, 0
	.set _ZN7rocprim17ROCPRIM_400000_NS6detail17trampoline_kernelINS0_14default_configENS1_36segmented_radix_sort_config_selectorI12hip_bfloat16lEEZNS1_25segmented_radix_sort_implIS3_Lb0EPKS5_PS5_PKlPlN2at6native12_GLOBAL__N_18offset_tEEE10hipError_tPvRmT1_PNSt15iterator_traitsISL_E10value_typeET2_T3_PNSM_ISR_E10value_typeET4_jRbjT5_SX_jjP12ihipStream_tbEUlT_E1_NS1_11comp_targetILNS1_3genE2ELNS1_11target_archE906ELNS1_3gpuE6ELNS1_3repE0EEENS1_59segmented_radix_sort_warp_sort_small_config_static_selectorELNS0_4arch9wavefront6targetE0EEEvSL_.uses_vcc, 0
	.set _ZN7rocprim17ROCPRIM_400000_NS6detail17trampoline_kernelINS0_14default_configENS1_36segmented_radix_sort_config_selectorI12hip_bfloat16lEEZNS1_25segmented_radix_sort_implIS3_Lb0EPKS5_PS5_PKlPlN2at6native12_GLOBAL__N_18offset_tEEE10hipError_tPvRmT1_PNSt15iterator_traitsISL_E10value_typeET2_T3_PNSM_ISR_E10value_typeET4_jRbjT5_SX_jjP12ihipStream_tbEUlT_E1_NS1_11comp_targetILNS1_3genE2ELNS1_11target_archE906ELNS1_3gpuE6ELNS1_3repE0EEENS1_59segmented_radix_sort_warp_sort_small_config_static_selectorELNS0_4arch9wavefront6targetE0EEEvSL_.uses_flat_scratch, 0
	.set _ZN7rocprim17ROCPRIM_400000_NS6detail17trampoline_kernelINS0_14default_configENS1_36segmented_radix_sort_config_selectorI12hip_bfloat16lEEZNS1_25segmented_radix_sort_implIS3_Lb0EPKS5_PS5_PKlPlN2at6native12_GLOBAL__N_18offset_tEEE10hipError_tPvRmT1_PNSt15iterator_traitsISL_E10value_typeET2_T3_PNSM_ISR_E10value_typeET4_jRbjT5_SX_jjP12ihipStream_tbEUlT_E1_NS1_11comp_targetILNS1_3genE2ELNS1_11target_archE906ELNS1_3gpuE6ELNS1_3repE0EEENS1_59segmented_radix_sort_warp_sort_small_config_static_selectorELNS0_4arch9wavefront6targetE0EEEvSL_.has_dyn_sized_stack, 0
	.set _ZN7rocprim17ROCPRIM_400000_NS6detail17trampoline_kernelINS0_14default_configENS1_36segmented_radix_sort_config_selectorI12hip_bfloat16lEEZNS1_25segmented_radix_sort_implIS3_Lb0EPKS5_PS5_PKlPlN2at6native12_GLOBAL__N_18offset_tEEE10hipError_tPvRmT1_PNSt15iterator_traitsISL_E10value_typeET2_T3_PNSM_ISR_E10value_typeET4_jRbjT5_SX_jjP12ihipStream_tbEUlT_E1_NS1_11comp_targetILNS1_3genE2ELNS1_11target_archE906ELNS1_3gpuE6ELNS1_3repE0EEENS1_59segmented_radix_sort_warp_sort_small_config_static_selectorELNS0_4arch9wavefront6targetE0EEEvSL_.has_recursion, 0
	.set _ZN7rocprim17ROCPRIM_400000_NS6detail17trampoline_kernelINS0_14default_configENS1_36segmented_radix_sort_config_selectorI12hip_bfloat16lEEZNS1_25segmented_radix_sort_implIS3_Lb0EPKS5_PS5_PKlPlN2at6native12_GLOBAL__N_18offset_tEEE10hipError_tPvRmT1_PNSt15iterator_traitsISL_E10value_typeET2_T3_PNSM_ISR_E10value_typeET4_jRbjT5_SX_jjP12ihipStream_tbEUlT_E1_NS1_11comp_targetILNS1_3genE2ELNS1_11target_archE906ELNS1_3gpuE6ELNS1_3repE0EEENS1_59segmented_radix_sort_warp_sort_small_config_static_selectorELNS0_4arch9wavefront6targetE0EEEvSL_.has_indirect_call, 0
	.section	.AMDGPU.csdata,"",@progbits
; Kernel info:
; codeLenInByte = 0
; TotalNumSgprs: 0
; NumVgprs: 0
; ScratchSize: 0
; MemoryBound: 0
; FloatMode: 240
; IeeeMode: 1
; LDSByteSize: 0 bytes/workgroup (compile time only)
; SGPRBlocks: 0
; VGPRBlocks: 0
; NumSGPRsForWavesPerEU: 1
; NumVGPRsForWavesPerEU: 1
; Occupancy: 16
; WaveLimiterHint : 0
; COMPUTE_PGM_RSRC2:SCRATCH_EN: 0
; COMPUTE_PGM_RSRC2:USER_SGPR: 6
; COMPUTE_PGM_RSRC2:TRAP_HANDLER: 0
; COMPUTE_PGM_RSRC2:TGID_X_EN: 1
; COMPUTE_PGM_RSRC2:TGID_Y_EN: 0
; COMPUTE_PGM_RSRC2:TGID_Z_EN: 0
; COMPUTE_PGM_RSRC2:TIDIG_COMP_CNT: 0
	.section	.text._ZN7rocprim17ROCPRIM_400000_NS6detail17trampoline_kernelINS0_14default_configENS1_36segmented_radix_sort_config_selectorI12hip_bfloat16lEEZNS1_25segmented_radix_sort_implIS3_Lb0EPKS5_PS5_PKlPlN2at6native12_GLOBAL__N_18offset_tEEE10hipError_tPvRmT1_PNSt15iterator_traitsISL_E10value_typeET2_T3_PNSM_ISR_E10value_typeET4_jRbjT5_SX_jjP12ihipStream_tbEUlT_E1_NS1_11comp_targetILNS1_3genE10ELNS1_11target_archE1201ELNS1_3gpuE5ELNS1_3repE0EEENS1_59segmented_radix_sort_warp_sort_small_config_static_selectorELNS0_4arch9wavefront6targetE0EEEvSL_,"axG",@progbits,_ZN7rocprim17ROCPRIM_400000_NS6detail17trampoline_kernelINS0_14default_configENS1_36segmented_radix_sort_config_selectorI12hip_bfloat16lEEZNS1_25segmented_radix_sort_implIS3_Lb0EPKS5_PS5_PKlPlN2at6native12_GLOBAL__N_18offset_tEEE10hipError_tPvRmT1_PNSt15iterator_traitsISL_E10value_typeET2_T3_PNSM_ISR_E10value_typeET4_jRbjT5_SX_jjP12ihipStream_tbEUlT_E1_NS1_11comp_targetILNS1_3genE10ELNS1_11target_archE1201ELNS1_3gpuE5ELNS1_3repE0EEENS1_59segmented_radix_sort_warp_sort_small_config_static_selectorELNS0_4arch9wavefront6targetE0EEEvSL_,comdat
	.globl	_ZN7rocprim17ROCPRIM_400000_NS6detail17trampoline_kernelINS0_14default_configENS1_36segmented_radix_sort_config_selectorI12hip_bfloat16lEEZNS1_25segmented_radix_sort_implIS3_Lb0EPKS5_PS5_PKlPlN2at6native12_GLOBAL__N_18offset_tEEE10hipError_tPvRmT1_PNSt15iterator_traitsISL_E10value_typeET2_T3_PNSM_ISR_E10value_typeET4_jRbjT5_SX_jjP12ihipStream_tbEUlT_E1_NS1_11comp_targetILNS1_3genE10ELNS1_11target_archE1201ELNS1_3gpuE5ELNS1_3repE0EEENS1_59segmented_radix_sort_warp_sort_small_config_static_selectorELNS0_4arch9wavefront6targetE0EEEvSL_ ; -- Begin function _ZN7rocprim17ROCPRIM_400000_NS6detail17trampoline_kernelINS0_14default_configENS1_36segmented_radix_sort_config_selectorI12hip_bfloat16lEEZNS1_25segmented_radix_sort_implIS3_Lb0EPKS5_PS5_PKlPlN2at6native12_GLOBAL__N_18offset_tEEE10hipError_tPvRmT1_PNSt15iterator_traitsISL_E10value_typeET2_T3_PNSM_ISR_E10value_typeET4_jRbjT5_SX_jjP12ihipStream_tbEUlT_E1_NS1_11comp_targetILNS1_3genE10ELNS1_11target_archE1201ELNS1_3gpuE5ELNS1_3repE0EEENS1_59segmented_radix_sort_warp_sort_small_config_static_selectorELNS0_4arch9wavefront6targetE0EEEvSL_
	.p2align	8
	.type	_ZN7rocprim17ROCPRIM_400000_NS6detail17trampoline_kernelINS0_14default_configENS1_36segmented_radix_sort_config_selectorI12hip_bfloat16lEEZNS1_25segmented_radix_sort_implIS3_Lb0EPKS5_PS5_PKlPlN2at6native12_GLOBAL__N_18offset_tEEE10hipError_tPvRmT1_PNSt15iterator_traitsISL_E10value_typeET2_T3_PNSM_ISR_E10value_typeET4_jRbjT5_SX_jjP12ihipStream_tbEUlT_E1_NS1_11comp_targetILNS1_3genE10ELNS1_11target_archE1201ELNS1_3gpuE5ELNS1_3repE0EEENS1_59segmented_radix_sort_warp_sort_small_config_static_selectorELNS0_4arch9wavefront6targetE0EEEvSL_,@function
_ZN7rocprim17ROCPRIM_400000_NS6detail17trampoline_kernelINS0_14default_configENS1_36segmented_radix_sort_config_selectorI12hip_bfloat16lEEZNS1_25segmented_radix_sort_implIS3_Lb0EPKS5_PS5_PKlPlN2at6native12_GLOBAL__N_18offset_tEEE10hipError_tPvRmT1_PNSt15iterator_traitsISL_E10value_typeET2_T3_PNSM_ISR_E10value_typeET4_jRbjT5_SX_jjP12ihipStream_tbEUlT_E1_NS1_11comp_targetILNS1_3genE10ELNS1_11target_archE1201ELNS1_3gpuE5ELNS1_3repE0EEENS1_59segmented_radix_sort_warp_sort_small_config_static_selectorELNS0_4arch9wavefront6targetE0EEEvSL_: ; @_ZN7rocprim17ROCPRIM_400000_NS6detail17trampoline_kernelINS0_14default_configENS1_36segmented_radix_sort_config_selectorI12hip_bfloat16lEEZNS1_25segmented_radix_sort_implIS3_Lb0EPKS5_PS5_PKlPlN2at6native12_GLOBAL__N_18offset_tEEE10hipError_tPvRmT1_PNSt15iterator_traitsISL_E10value_typeET2_T3_PNSM_ISR_E10value_typeET4_jRbjT5_SX_jjP12ihipStream_tbEUlT_E1_NS1_11comp_targetILNS1_3genE10ELNS1_11target_archE1201ELNS1_3gpuE5ELNS1_3repE0EEENS1_59segmented_radix_sort_warp_sort_small_config_static_selectorELNS0_4arch9wavefront6targetE0EEEvSL_
; %bb.0:
	.section	.rodata,"a",@progbits
	.p2align	6, 0x0
	.amdhsa_kernel _ZN7rocprim17ROCPRIM_400000_NS6detail17trampoline_kernelINS0_14default_configENS1_36segmented_radix_sort_config_selectorI12hip_bfloat16lEEZNS1_25segmented_radix_sort_implIS3_Lb0EPKS5_PS5_PKlPlN2at6native12_GLOBAL__N_18offset_tEEE10hipError_tPvRmT1_PNSt15iterator_traitsISL_E10value_typeET2_T3_PNSM_ISR_E10value_typeET4_jRbjT5_SX_jjP12ihipStream_tbEUlT_E1_NS1_11comp_targetILNS1_3genE10ELNS1_11target_archE1201ELNS1_3gpuE5ELNS1_3repE0EEENS1_59segmented_radix_sort_warp_sort_small_config_static_selectorELNS0_4arch9wavefront6targetE0EEEvSL_
		.amdhsa_group_segment_fixed_size 0
		.amdhsa_private_segment_fixed_size 0
		.amdhsa_kernarg_size 88
		.amdhsa_user_sgpr_count 6
		.amdhsa_user_sgpr_private_segment_buffer 1
		.amdhsa_user_sgpr_dispatch_ptr 0
		.amdhsa_user_sgpr_queue_ptr 0
		.amdhsa_user_sgpr_kernarg_segment_ptr 1
		.amdhsa_user_sgpr_dispatch_id 0
		.amdhsa_user_sgpr_flat_scratch_init 0
		.amdhsa_user_sgpr_private_segment_size 0
		.amdhsa_wavefront_size32 1
		.amdhsa_uses_dynamic_stack 0
		.amdhsa_system_sgpr_private_segment_wavefront_offset 0
		.amdhsa_system_sgpr_workgroup_id_x 1
		.amdhsa_system_sgpr_workgroup_id_y 0
		.amdhsa_system_sgpr_workgroup_id_z 0
		.amdhsa_system_sgpr_workgroup_info 0
		.amdhsa_system_vgpr_workitem_id 0
		.amdhsa_next_free_vgpr 1
		.amdhsa_next_free_sgpr 1
		.amdhsa_reserve_vcc 0
		.amdhsa_reserve_flat_scratch 0
		.amdhsa_float_round_mode_32 0
		.amdhsa_float_round_mode_16_64 0
		.amdhsa_float_denorm_mode_32 3
		.amdhsa_float_denorm_mode_16_64 3
		.amdhsa_dx10_clamp 1
		.amdhsa_ieee_mode 1
		.amdhsa_fp16_overflow 0
		.amdhsa_workgroup_processor_mode 1
		.amdhsa_memory_ordered 1
		.amdhsa_forward_progress 1
		.amdhsa_shared_vgpr_count 0
		.amdhsa_exception_fp_ieee_invalid_op 0
		.amdhsa_exception_fp_denorm_src 0
		.amdhsa_exception_fp_ieee_div_zero 0
		.amdhsa_exception_fp_ieee_overflow 0
		.amdhsa_exception_fp_ieee_underflow 0
		.amdhsa_exception_fp_ieee_inexact 0
		.amdhsa_exception_int_div_zero 0
	.end_amdhsa_kernel
	.section	.text._ZN7rocprim17ROCPRIM_400000_NS6detail17trampoline_kernelINS0_14default_configENS1_36segmented_radix_sort_config_selectorI12hip_bfloat16lEEZNS1_25segmented_radix_sort_implIS3_Lb0EPKS5_PS5_PKlPlN2at6native12_GLOBAL__N_18offset_tEEE10hipError_tPvRmT1_PNSt15iterator_traitsISL_E10value_typeET2_T3_PNSM_ISR_E10value_typeET4_jRbjT5_SX_jjP12ihipStream_tbEUlT_E1_NS1_11comp_targetILNS1_3genE10ELNS1_11target_archE1201ELNS1_3gpuE5ELNS1_3repE0EEENS1_59segmented_radix_sort_warp_sort_small_config_static_selectorELNS0_4arch9wavefront6targetE0EEEvSL_,"axG",@progbits,_ZN7rocprim17ROCPRIM_400000_NS6detail17trampoline_kernelINS0_14default_configENS1_36segmented_radix_sort_config_selectorI12hip_bfloat16lEEZNS1_25segmented_radix_sort_implIS3_Lb0EPKS5_PS5_PKlPlN2at6native12_GLOBAL__N_18offset_tEEE10hipError_tPvRmT1_PNSt15iterator_traitsISL_E10value_typeET2_T3_PNSM_ISR_E10value_typeET4_jRbjT5_SX_jjP12ihipStream_tbEUlT_E1_NS1_11comp_targetILNS1_3genE10ELNS1_11target_archE1201ELNS1_3gpuE5ELNS1_3repE0EEENS1_59segmented_radix_sort_warp_sort_small_config_static_selectorELNS0_4arch9wavefront6targetE0EEEvSL_,comdat
.Lfunc_end2064:
	.size	_ZN7rocprim17ROCPRIM_400000_NS6detail17trampoline_kernelINS0_14default_configENS1_36segmented_radix_sort_config_selectorI12hip_bfloat16lEEZNS1_25segmented_radix_sort_implIS3_Lb0EPKS5_PS5_PKlPlN2at6native12_GLOBAL__N_18offset_tEEE10hipError_tPvRmT1_PNSt15iterator_traitsISL_E10value_typeET2_T3_PNSM_ISR_E10value_typeET4_jRbjT5_SX_jjP12ihipStream_tbEUlT_E1_NS1_11comp_targetILNS1_3genE10ELNS1_11target_archE1201ELNS1_3gpuE5ELNS1_3repE0EEENS1_59segmented_radix_sort_warp_sort_small_config_static_selectorELNS0_4arch9wavefront6targetE0EEEvSL_, .Lfunc_end2064-_ZN7rocprim17ROCPRIM_400000_NS6detail17trampoline_kernelINS0_14default_configENS1_36segmented_radix_sort_config_selectorI12hip_bfloat16lEEZNS1_25segmented_radix_sort_implIS3_Lb0EPKS5_PS5_PKlPlN2at6native12_GLOBAL__N_18offset_tEEE10hipError_tPvRmT1_PNSt15iterator_traitsISL_E10value_typeET2_T3_PNSM_ISR_E10value_typeET4_jRbjT5_SX_jjP12ihipStream_tbEUlT_E1_NS1_11comp_targetILNS1_3genE10ELNS1_11target_archE1201ELNS1_3gpuE5ELNS1_3repE0EEENS1_59segmented_radix_sort_warp_sort_small_config_static_selectorELNS0_4arch9wavefront6targetE0EEEvSL_
                                        ; -- End function
	.set _ZN7rocprim17ROCPRIM_400000_NS6detail17trampoline_kernelINS0_14default_configENS1_36segmented_radix_sort_config_selectorI12hip_bfloat16lEEZNS1_25segmented_radix_sort_implIS3_Lb0EPKS5_PS5_PKlPlN2at6native12_GLOBAL__N_18offset_tEEE10hipError_tPvRmT1_PNSt15iterator_traitsISL_E10value_typeET2_T3_PNSM_ISR_E10value_typeET4_jRbjT5_SX_jjP12ihipStream_tbEUlT_E1_NS1_11comp_targetILNS1_3genE10ELNS1_11target_archE1201ELNS1_3gpuE5ELNS1_3repE0EEENS1_59segmented_radix_sort_warp_sort_small_config_static_selectorELNS0_4arch9wavefront6targetE0EEEvSL_.num_vgpr, 0
	.set _ZN7rocprim17ROCPRIM_400000_NS6detail17trampoline_kernelINS0_14default_configENS1_36segmented_radix_sort_config_selectorI12hip_bfloat16lEEZNS1_25segmented_radix_sort_implIS3_Lb0EPKS5_PS5_PKlPlN2at6native12_GLOBAL__N_18offset_tEEE10hipError_tPvRmT1_PNSt15iterator_traitsISL_E10value_typeET2_T3_PNSM_ISR_E10value_typeET4_jRbjT5_SX_jjP12ihipStream_tbEUlT_E1_NS1_11comp_targetILNS1_3genE10ELNS1_11target_archE1201ELNS1_3gpuE5ELNS1_3repE0EEENS1_59segmented_radix_sort_warp_sort_small_config_static_selectorELNS0_4arch9wavefront6targetE0EEEvSL_.num_agpr, 0
	.set _ZN7rocprim17ROCPRIM_400000_NS6detail17trampoline_kernelINS0_14default_configENS1_36segmented_radix_sort_config_selectorI12hip_bfloat16lEEZNS1_25segmented_radix_sort_implIS3_Lb0EPKS5_PS5_PKlPlN2at6native12_GLOBAL__N_18offset_tEEE10hipError_tPvRmT1_PNSt15iterator_traitsISL_E10value_typeET2_T3_PNSM_ISR_E10value_typeET4_jRbjT5_SX_jjP12ihipStream_tbEUlT_E1_NS1_11comp_targetILNS1_3genE10ELNS1_11target_archE1201ELNS1_3gpuE5ELNS1_3repE0EEENS1_59segmented_radix_sort_warp_sort_small_config_static_selectorELNS0_4arch9wavefront6targetE0EEEvSL_.numbered_sgpr, 0
	.set _ZN7rocprim17ROCPRIM_400000_NS6detail17trampoline_kernelINS0_14default_configENS1_36segmented_radix_sort_config_selectorI12hip_bfloat16lEEZNS1_25segmented_radix_sort_implIS3_Lb0EPKS5_PS5_PKlPlN2at6native12_GLOBAL__N_18offset_tEEE10hipError_tPvRmT1_PNSt15iterator_traitsISL_E10value_typeET2_T3_PNSM_ISR_E10value_typeET4_jRbjT5_SX_jjP12ihipStream_tbEUlT_E1_NS1_11comp_targetILNS1_3genE10ELNS1_11target_archE1201ELNS1_3gpuE5ELNS1_3repE0EEENS1_59segmented_radix_sort_warp_sort_small_config_static_selectorELNS0_4arch9wavefront6targetE0EEEvSL_.num_named_barrier, 0
	.set _ZN7rocprim17ROCPRIM_400000_NS6detail17trampoline_kernelINS0_14default_configENS1_36segmented_radix_sort_config_selectorI12hip_bfloat16lEEZNS1_25segmented_radix_sort_implIS3_Lb0EPKS5_PS5_PKlPlN2at6native12_GLOBAL__N_18offset_tEEE10hipError_tPvRmT1_PNSt15iterator_traitsISL_E10value_typeET2_T3_PNSM_ISR_E10value_typeET4_jRbjT5_SX_jjP12ihipStream_tbEUlT_E1_NS1_11comp_targetILNS1_3genE10ELNS1_11target_archE1201ELNS1_3gpuE5ELNS1_3repE0EEENS1_59segmented_radix_sort_warp_sort_small_config_static_selectorELNS0_4arch9wavefront6targetE0EEEvSL_.private_seg_size, 0
	.set _ZN7rocprim17ROCPRIM_400000_NS6detail17trampoline_kernelINS0_14default_configENS1_36segmented_radix_sort_config_selectorI12hip_bfloat16lEEZNS1_25segmented_radix_sort_implIS3_Lb0EPKS5_PS5_PKlPlN2at6native12_GLOBAL__N_18offset_tEEE10hipError_tPvRmT1_PNSt15iterator_traitsISL_E10value_typeET2_T3_PNSM_ISR_E10value_typeET4_jRbjT5_SX_jjP12ihipStream_tbEUlT_E1_NS1_11comp_targetILNS1_3genE10ELNS1_11target_archE1201ELNS1_3gpuE5ELNS1_3repE0EEENS1_59segmented_radix_sort_warp_sort_small_config_static_selectorELNS0_4arch9wavefront6targetE0EEEvSL_.uses_vcc, 0
	.set _ZN7rocprim17ROCPRIM_400000_NS6detail17trampoline_kernelINS0_14default_configENS1_36segmented_radix_sort_config_selectorI12hip_bfloat16lEEZNS1_25segmented_radix_sort_implIS3_Lb0EPKS5_PS5_PKlPlN2at6native12_GLOBAL__N_18offset_tEEE10hipError_tPvRmT1_PNSt15iterator_traitsISL_E10value_typeET2_T3_PNSM_ISR_E10value_typeET4_jRbjT5_SX_jjP12ihipStream_tbEUlT_E1_NS1_11comp_targetILNS1_3genE10ELNS1_11target_archE1201ELNS1_3gpuE5ELNS1_3repE0EEENS1_59segmented_radix_sort_warp_sort_small_config_static_selectorELNS0_4arch9wavefront6targetE0EEEvSL_.uses_flat_scratch, 0
	.set _ZN7rocprim17ROCPRIM_400000_NS6detail17trampoline_kernelINS0_14default_configENS1_36segmented_radix_sort_config_selectorI12hip_bfloat16lEEZNS1_25segmented_radix_sort_implIS3_Lb0EPKS5_PS5_PKlPlN2at6native12_GLOBAL__N_18offset_tEEE10hipError_tPvRmT1_PNSt15iterator_traitsISL_E10value_typeET2_T3_PNSM_ISR_E10value_typeET4_jRbjT5_SX_jjP12ihipStream_tbEUlT_E1_NS1_11comp_targetILNS1_3genE10ELNS1_11target_archE1201ELNS1_3gpuE5ELNS1_3repE0EEENS1_59segmented_radix_sort_warp_sort_small_config_static_selectorELNS0_4arch9wavefront6targetE0EEEvSL_.has_dyn_sized_stack, 0
	.set _ZN7rocprim17ROCPRIM_400000_NS6detail17trampoline_kernelINS0_14default_configENS1_36segmented_radix_sort_config_selectorI12hip_bfloat16lEEZNS1_25segmented_radix_sort_implIS3_Lb0EPKS5_PS5_PKlPlN2at6native12_GLOBAL__N_18offset_tEEE10hipError_tPvRmT1_PNSt15iterator_traitsISL_E10value_typeET2_T3_PNSM_ISR_E10value_typeET4_jRbjT5_SX_jjP12ihipStream_tbEUlT_E1_NS1_11comp_targetILNS1_3genE10ELNS1_11target_archE1201ELNS1_3gpuE5ELNS1_3repE0EEENS1_59segmented_radix_sort_warp_sort_small_config_static_selectorELNS0_4arch9wavefront6targetE0EEEvSL_.has_recursion, 0
	.set _ZN7rocprim17ROCPRIM_400000_NS6detail17trampoline_kernelINS0_14default_configENS1_36segmented_radix_sort_config_selectorI12hip_bfloat16lEEZNS1_25segmented_radix_sort_implIS3_Lb0EPKS5_PS5_PKlPlN2at6native12_GLOBAL__N_18offset_tEEE10hipError_tPvRmT1_PNSt15iterator_traitsISL_E10value_typeET2_T3_PNSM_ISR_E10value_typeET4_jRbjT5_SX_jjP12ihipStream_tbEUlT_E1_NS1_11comp_targetILNS1_3genE10ELNS1_11target_archE1201ELNS1_3gpuE5ELNS1_3repE0EEENS1_59segmented_radix_sort_warp_sort_small_config_static_selectorELNS0_4arch9wavefront6targetE0EEEvSL_.has_indirect_call, 0
	.section	.AMDGPU.csdata,"",@progbits
; Kernel info:
; codeLenInByte = 0
; TotalNumSgprs: 0
; NumVgprs: 0
; ScratchSize: 0
; MemoryBound: 0
; FloatMode: 240
; IeeeMode: 1
; LDSByteSize: 0 bytes/workgroup (compile time only)
; SGPRBlocks: 0
; VGPRBlocks: 0
; NumSGPRsForWavesPerEU: 1
; NumVGPRsForWavesPerEU: 1
; Occupancy: 16
; WaveLimiterHint : 0
; COMPUTE_PGM_RSRC2:SCRATCH_EN: 0
; COMPUTE_PGM_RSRC2:USER_SGPR: 6
; COMPUTE_PGM_RSRC2:TRAP_HANDLER: 0
; COMPUTE_PGM_RSRC2:TGID_X_EN: 1
; COMPUTE_PGM_RSRC2:TGID_Y_EN: 0
; COMPUTE_PGM_RSRC2:TGID_Z_EN: 0
; COMPUTE_PGM_RSRC2:TIDIG_COMP_CNT: 0
	.section	.text._ZN7rocprim17ROCPRIM_400000_NS6detail17trampoline_kernelINS0_14default_configENS1_36segmented_radix_sort_config_selectorI12hip_bfloat16lEEZNS1_25segmented_radix_sort_implIS3_Lb0EPKS5_PS5_PKlPlN2at6native12_GLOBAL__N_18offset_tEEE10hipError_tPvRmT1_PNSt15iterator_traitsISL_E10value_typeET2_T3_PNSM_ISR_E10value_typeET4_jRbjT5_SX_jjP12ihipStream_tbEUlT_E1_NS1_11comp_targetILNS1_3genE10ELNS1_11target_archE1200ELNS1_3gpuE4ELNS1_3repE0EEENS1_59segmented_radix_sort_warp_sort_small_config_static_selectorELNS0_4arch9wavefront6targetE0EEEvSL_,"axG",@progbits,_ZN7rocprim17ROCPRIM_400000_NS6detail17trampoline_kernelINS0_14default_configENS1_36segmented_radix_sort_config_selectorI12hip_bfloat16lEEZNS1_25segmented_radix_sort_implIS3_Lb0EPKS5_PS5_PKlPlN2at6native12_GLOBAL__N_18offset_tEEE10hipError_tPvRmT1_PNSt15iterator_traitsISL_E10value_typeET2_T3_PNSM_ISR_E10value_typeET4_jRbjT5_SX_jjP12ihipStream_tbEUlT_E1_NS1_11comp_targetILNS1_3genE10ELNS1_11target_archE1200ELNS1_3gpuE4ELNS1_3repE0EEENS1_59segmented_radix_sort_warp_sort_small_config_static_selectorELNS0_4arch9wavefront6targetE0EEEvSL_,comdat
	.globl	_ZN7rocprim17ROCPRIM_400000_NS6detail17trampoline_kernelINS0_14default_configENS1_36segmented_radix_sort_config_selectorI12hip_bfloat16lEEZNS1_25segmented_radix_sort_implIS3_Lb0EPKS5_PS5_PKlPlN2at6native12_GLOBAL__N_18offset_tEEE10hipError_tPvRmT1_PNSt15iterator_traitsISL_E10value_typeET2_T3_PNSM_ISR_E10value_typeET4_jRbjT5_SX_jjP12ihipStream_tbEUlT_E1_NS1_11comp_targetILNS1_3genE10ELNS1_11target_archE1200ELNS1_3gpuE4ELNS1_3repE0EEENS1_59segmented_radix_sort_warp_sort_small_config_static_selectorELNS0_4arch9wavefront6targetE0EEEvSL_ ; -- Begin function _ZN7rocprim17ROCPRIM_400000_NS6detail17trampoline_kernelINS0_14default_configENS1_36segmented_radix_sort_config_selectorI12hip_bfloat16lEEZNS1_25segmented_radix_sort_implIS3_Lb0EPKS5_PS5_PKlPlN2at6native12_GLOBAL__N_18offset_tEEE10hipError_tPvRmT1_PNSt15iterator_traitsISL_E10value_typeET2_T3_PNSM_ISR_E10value_typeET4_jRbjT5_SX_jjP12ihipStream_tbEUlT_E1_NS1_11comp_targetILNS1_3genE10ELNS1_11target_archE1200ELNS1_3gpuE4ELNS1_3repE0EEENS1_59segmented_radix_sort_warp_sort_small_config_static_selectorELNS0_4arch9wavefront6targetE0EEEvSL_
	.p2align	8
	.type	_ZN7rocprim17ROCPRIM_400000_NS6detail17trampoline_kernelINS0_14default_configENS1_36segmented_radix_sort_config_selectorI12hip_bfloat16lEEZNS1_25segmented_radix_sort_implIS3_Lb0EPKS5_PS5_PKlPlN2at6native12_GLOBAL__N_18offset_tEEE10hipError_tPvRmT1_PNSt15iterator_traitsISL_E10value_typeET2_T3_PNSM_ISR_E10value_typeET4_jRbjT5_SX_jjP12ihipStream_tbEUlT_E1_NS1_11comp_targetILNS1_3genE10ELNS1_11target_archE1200ELNS1_3gpuE4ELNS1_3repE0EEENS1_59segmented_radix_sort_warp_sort_small_config_static_selectorELNS0_4arch9wavefront6targetE0EEEvSL_,@function
_ZN7rocprim17ROCPRIM_400000_NS6detail17trampoline_kernelINS0_14default_configENS1_36segmented_radix_sort_config_selectorI12hip_bfloat16lEEZNS1_25segmented_radix_sort_implIS3_Lb0EPKS5_PS5_PKlPlN2at6native12_GLOBAL__N_18offset_tEEE10hipError_tPvRmT1_PNSt15iterator_traitsISL_E10value_typeET2_T3_PNSM_ISR_E10value_typeET4_jRbjT5_SX_jjP12ihipStream_tbEUlT_E1_NS1_11comp_targetILNS1_3genE10ELNS1_11target_archE1200ELNS1_3gpuE4ELNS1_3repE0EEENS1_59segmented_radix_sort_warp_sort_small_config_static_selectorELNS0_4arch9wavefront6targetE0EEEvSL_: ; @_ZN7rocprim17ROCPRIM_400000_NS6detail17trampoline_kernelINS0_14default_configENS1_36segmented_radix_sort_config_selectorI12hip_bfloat16lEEZNS1_25segmented_radix_sort_implIS3_Lb0EPKS5_PS5_PKlPlN2at6native12_GLOBAL__N_18offset_tEEE10hipError_tPvRmT1_PNSt15iterator_traitsISL_E10value_typeET2_T3_PNSM_ISR_E10value_typeET4_jRbjT5_SX_jjP12ihipStream_tbEUlT_E1_NS1_11comp_targetILNS1_3genE10ELNS1_11target_archE1200ELNS1_3gpuE4ELNS1_3repE0EEENS1_59segmented_radix_sort_warp_sort_small_config_static_selectorELNS0_4arch9wavefront6targetE0EEEvSL_
; %bb.0:
	.section	.rodata,"a",@progbits
	.p2align	6, 0x0
	.amdhsa_kernel _ZN7rocprim17ROCPRIM_400000_NS6detail17trampoline_kernelINS0_14default_configENS1_36segmented_radix_sort_config_selectorI12hip_bfloat16lEEZNS1_25segmented_radix_sort_implIS3_Lb0EPKS5_PS5_PKlPlN2at6native12_GLOBAL__N_18offset_tEEE10hipError_tPvRmT1_PNSt15iterator_traitsISL_E10value_typeET2_T3_PNSM_ISR_E10value_typeET4_jRbjT5_SX_jjP12ihipStream_tbEUlT_E1_NS1_11comp_targetILNS1_3genE10ELNS1_11target_archE1200ELNS1_3gpuE4ELNS1_3repE0EEENS1_59segmented_radix_sort_warp_sort_small_config_static_selectorELNS0_4arch9wavefront6targetE0EEEvSL_
		.amdhsa_group_segment_fixed_size 0
		.amdhsa_private_segment_fixed_size 0
		.amdhsa_kernarg_size 88
		.amdhsa_user_sgpr_count 6
		.amdhsa_user_sgpr_private_segment_buffer 1
		.amdhsa_user_sgpr_dispatch_ptr 0
		.amdhsa_user_sgpr_queue_ptr 0
		.amdhsa_user_sgpr_kernarg_segment_ptr 1
		.amdhsa_user_sgpr_dispatch_id 0
		.amdhsa_user_sgpr_flat_scratch_init 0
		.amdhsa_user_sgpr_private_segment_size 0
		.amdhsa_wavefront_size32 1
		.amdhsa_uses_dynamic_stack 0
		.amdhsa_system_sgpr_private_segment_wavefront_offset 0
		.amdhsa_system_sgpr_workgroup_id_x 1
		.amdhsa_system_sgpr_workgroup_id_y 0
		.amdhsa_system_sgpr_workgroup_id_z 0
		.amdhsa_system_sgpr_workgroup_info 0
		.amdhsa_system_vgpr_workitem_id 0
		.amdhsa_next_free_vgpr 1
		.amdhsa_next_free_sgpr 1
		.amdhsa_reserve_vcc 0
		.amdhsa_reserve_flat_scratch 0
		.amdhsa_float_round_mode_32 0
		.amdhsa_float_round_mode_16_64 0
		.amdhsa_float_denorm_mode_32 3
		.amdhsa_float_denorm_mode_16_64 3
		.amdhsa_dx10_clamp 1
		.amdhsa_ieee_mode 1
		.amdhsa_fp16_overflow 0
		.amdhsa_workgroup_processor_mode 1
		.amdhsa_memory_ordered 1
		.amdhsa_forward_progress 1
		.amdhsa_shared_vgpr_count 0
		.amdhsa_exception_fp_ieee_invalid_op 0
		.amdhsa_exception_fp_denorm_src 0
		.amdhsa_exception_fp_ieee_div_zero 0
		.amdhsa_exception_fp_ieee_overflow 0
		.amdhsa_exception_fp_ieee_underflow 0
		.amdhsa_exception_fp_ieee_inexact 0
		.amdhsa_exception_int_div_zero 0
	.end_amdhsa_kernel
	.section	.text._ZN7rocprim17ROCPRIM_400000_NS6detail17trampoline_kernelINS0_14default_configENS1_36segmented_radix_sort_config_selectorI12hip_bfloat16lEEZNS1_25segmented_radix_sort_implIS3_Lb0EPKS5_PS5_PKlPlN2at6native12_GLOBAL__N_18offset_tEEE10hipError_tPvRmT1_PNSt15iterator_traitsISL_E10value_typeET2_T3_PNSM_ISR_E10value_typeET4_jRbjT5_SX_jjP12ihipStream_tbEUlT_E1_NS1_11comp_targetILNS1_3genE10ELNS1_11target_archE1200ELNS1_3gpuE4ELNS1_3repE0EEENS1_59segmented_radix_sort_warp_sort_small_config_static_selectorELNS0_4arch9wavefront6targetE0EEEvSL_,"axG",@progbits,_ZN7rocprim17ROCPRIM_400000_NS6detail17trampoline_kernelINS0_14default_configENS1_36segmented_radix_sort_config_selectorI12hip_bfloat16lEEZNS1_25segmented_radix_sort_implIS3_Lb0EPKS5_PS5_PKlPlN2at6native12_GLOBAL__N_18offset_tEEE10hipError_tPvRmT1_PNSt15iterator_traitsISL_E10value_typeET2_T3_PNSM_ISR_E10value_typeET4_jRbjT5_SX_jjP12ihipStream_tbEUlT_E1_NS1_11comp_targetILNS1_3genE10ELNS1_11target_archE1200ELNS1_3gpuE4ELNS1_3repE0EEENS1_59segmented_radix_sort_warp_sort_small_config_static_selectorELNS0_4arch9wavefront6targetE0EEEvSL_,comdat
.Lfunc_end2065:
	.size	_ZN7rocprim17ROCPRIM_400000_NS6detail17trampoline_kernelINS0_14default_configENS1_36segmented_radix_sort_config_selectorI12hip_bfloat16lEEZNS1_25segmented_radix_sort_implIS3_Lb0EPKS5_PS5_PKlPlN2at6native12_GLOBAL__N_18offset_tEEE10hipError_tPvRmT1_PNSt15iterator_traitsISL_E10value_typeET2_T3_PNSM_ISR_E10value_typeET4_jRbjT5_SX_jjP12ihipStream_tbEUlT_E1_NS1_11comp_targetILNS1_3genE10ELNS1_11target_archE1200ELNS1_3gpuE4ELNS1_3repE0EEENS1_59segmented_radix_sort_warp_sort_small_config_static_selectorELNS0_4arch9wavefront6targetE0EEEvSL_, .Lfunc_end2065-_ZN7rocprim17ROCPRIM_400000_NS6detail17trampoline_kernelINS0_14default_configENS1_36segmented_radix_sort_config_selectorI12hip_bfloat16lEEZNS1_25segmented_radix_sort_implIS3_Lb0EPKS5_PS5_PKlPlN2at6native12_GLOBAL__N_18offset_tEEE10hipError_tPvRmT1_PNSt15iterator_traitsISL_E10value_typeET2_T3_PNSM_ISR_E10value_typeET4_jRbjT5_SX_jjP12ihipStream_tbEUlT_E1_NS1_11comp_targetILNS1_3genE10ELNS1_11target_archE1200ELNS1_3gpuE4ELNS1_3repE0EEENS1_59segmented_radix_sort_warp_sort_small_config_static_selectorELNS0_4arch9wavefront6targetE0EEEvSL_
                                        ; -- End function
	.set _ZN7rocprim17ROCPRIM_400000_NS6detail17trampoline_kernelINS0_14default_configENS1_36segmented_radix_sort_config_selectorI12hip_bfloat16lEEZNS1_25segmented_radix_sort_implIS3_Lb0EPKS5_PS5_PKlPlN2at6native12_GLOBAL__N_18offset_tEEE10hipError_tPvRmT1_PNSt15iterator_traitsISL_E10value_typeET2_T3_PNSM_ISR_E10value_typeET4_jRbjT5_SX_jjP12ihipStream_tbEUlT_E1_NS1_11comp_targetILNS1_3genE10ELNS1_11target_archE1200ELNS1_3gpuE4ELNS1_3repE0EEENS1_59segmented_radix_sort_warp_sort_small_config_static_selectorELNS0_4arch9wavefront6targetE0EEEvSL_.num_vgpr, 0
	.set _ZN7rocprim17ROCPRIM_400000_NS6detail17trampoline_kernelINS0_14default_configENS1_36segmented_radix_sort_config_selectorI12hip_bfloat16lEEZNS1_25segmented_radix_sort_implIS3_Lb0EPKS5_PS5_PKlPlN2at6native12_GLOBAL__N_18offset_tEEE10hipError_tPvRmT1_PNSt15iterator_traitsISL_E10value_typeET2_T3_PNSM_ISR_E10value_typeET4_jRbjT5_SX_jjP12ihipStream_tbEUlT_E1_NS1_11comp_targetILNS1_3genE10ELNS1_11target_archE1200ELNS1_3gpuE4ELNS1_3repE0EEENS1_59segmented_radix_sort_warp_sort_small_config_static_selectorELNS0_4arch9wavefront6targetE0EEEvSL_.num_agpr, 0
	.set _ZN7rocprim17ROCPRIM_400000_NS6detail17trampoline_kernelINS0_14default_configENS1_36segmented_radix_sort_config_selectorI12hip_bfloat16lEEZNS1_25segmented_radix_sort_implIS3_Lb0EPKS5_PS5_PKlPlN2at6native12_GLOBAL__N_18offset_tEEE10hipError_tPvRmT1_PNSt15iterator_traitsISL_E10value_typeET2_T3_PNSM_ISR_E10value_typeET4_jRbjT5_SX_jjP12ihipStream_tbEUlT_E1_NS1_11comp_targetILNS1_3genE10ELNS1_11target_archE1200ELNS1_3gpuE4ELNS1_3repE0EEENS1_59segmented_radix_sort_warp_sort_small_config_static_selectorELNS0_4arch9wavefront6targetE0EEEvSL_.numbered_sgpr, 0
	.set _ZN7rocprim17ROCPRIM_400000_NS6detail17trampoline_kernelINS0_14default_configENS1_36segmented_radix_sort_config_selectorI12hip_bfloat16lEEZNS1_25segmented_radix_sort_implIS3_Lb0EPKS5_PS5_PKlPlN2at6native12_GLOBAL__N_18offset_tEEE10hipError_tPvRmT1_PNSt15iterator_traitsISL_E10value_typeET2_T3_PNSM_ISR_E10value_typeET4_jRbjT5_SX_jjP12ihipStream_tbEUlT_E1_NS1_11comp_targetILNS1_3genE10ELNS1_11target_archE1200ELNS1_3gpuE4ELNS1_3repE0EEENS1_59segmented_radix_sort_warp_sort_small_config_static_selectorELNS0_4arch9wavefront6targetE0EEEvSL_.num_named_barrier, 0
	.set _ZN7rocprim17ROCPRIM_400000_NS6detail17trampoline_kernelINS0_14default_configENS1_36segmented_radix_sort_config_selectorI12hip_bfloat16lEEZNS1_25segmented_radix_sort_implIS3_Lb0EPKS5_PS5_PKlPlN2at6native12_GLOBAL__N_18offset_tEEE10hipError_tPvRmT1_PNSt15iterator_traitsISL_E10value_typeET2_T3_PNSM_ISR_E10value_typeET4_jRbjT5_SX_jjP12ihipStream_tbEUlT_E1_NS1_11comp_targetILNS1_3genE10ELNS1_11target_archE1200ELNS1_3gpuE4ELNS1_3repE0EEENS1_59segmented_radix_sort_warp_sort_small_config_static_selectorELNS0_4arch9wavefront6targetE0EEEvSL_.private_seg_size, 0
	.set _ZN7rocprim17ROCPRIM_400000_NS6detail17trampoline_kernelINS0_14default_configENS1_36segmented_radix_sort_config_selectorI12hip_bfloat16lEEZNS1_25segmented_radix_sort_implIS3_Lb0EPKS5_PS5_PKlPlN2at6native12_GLOBAL__N_18offset_tEEE10hipError_tPvRmT1_PNSt15iterator_traitsISL_E10value_typeET2_T3_PNSM_ISR_E10value_typeET4_jRbjT5_SX_jjP12ihipStream_tbEUlT_E1_NS1_11comp_targetILNS1_3genE10ELNS1_11target_archE1200ELNS1_3gpuE4ELNS1_3repE0EEENS1_59segmented_radix_sort_warp_sort_small_config_static_selectorELNS0_4arch9wavefront6targetE0EEEvSL_.uses_vcc, 0
	.set _ZN7rocprim17ROCPRIM_400000_NS6detail17trampoline_kernelINS0_14default_configENS1_36segmented_radix_sort_config_selectorI12hip_bfloat16lEEZNS1_25segmented_radix_sort_implIS3_Lb0EPKS5_PS5_PKlPlN2at6native12_GLOBAL__N_18offset_tEEE10hipError_tPvRmT1_PNSt15iterator_traitsISL_E10value_typeET2_T3_PNSM_ISR_E10value_typeET4_jRbjT5_SX_jjP12ihipStream_tbEUlT_E1_NS1_11comp_targetILNS1_3genE10ELNS1_11target_archE1200ELNS1_3gpuE4ELNS1_3repE0EEENS1_59segmented_radix_sort_warp_sort_small_config_static_selectorELNS0_4arch9wavefront6targetE0EEEvSL_.uses_flat_scratch, 0
	.set _ZN7rocprim17ROCPRIM_400000_NS6detail17trampoline_kernelINS0_14default_configENS1_36segmented_radix_sort_config_selectorI12hip_bfloat16lEEZNS1_25segmented_radix_sort_implIS3_Lb0EPKS5_PS5_PKlPlN2at6native12_GLOBAL__N_18offset_tEEE10hipError_tPvRmT1_PNSt15iterator_traitsISL_E10value_typeET2_T3_PNSM_ISR_E10value_typeET4_jRbjT5_SX_jjP12ihipStream_tbEUlT_E1_NS1_11comp_targetILNS1_3genE10ELNS1_11target_archE1200ELNS1_3gpuE4ELNS1_3repE0EEENS1_59segmented_radix_sort_warp_sort_small_config_static_selectorELNS0_4arch9wavefront6targetE0EEEvSL_.has_dyn_sized_stack, 0
	.set _ZN7rocprim17ROCPRIM_400000_NS6detail17trampoline_kernelINS0_14default_configENS1_36segmented_radix_sort_config_selectorI12hip_bfloat16lEEZNS1_25segmented_radix_sort_implIS3_Lb0EPKS5_PS5_PKlPlN2at6native12_GLOBAL__N_18offset_tEEE10hipError_tPvRmT1_PNSt15iterator_traitsISL_E10value_typeET2_T3_PNSM_ISR_E10value_typeET4_jRbjT5_SX_jjP12ihipStream_tbEUlT_E1_NS1_11comp_targetILNS1_3genE10ELNS1_11target_archE1200ELNS1_3gpuE4ELNS1_3repE0EEENS1_59segmented_radix_sort_warp_sort_small_config_static_selectorELNS0_4arch9wavefront6targetE0EEEvSL_.has_recursion, 0
	.set _ZN7rocprim17ROCPRIM_400000_NS6detail17trampoline_kernelINS0_14default_configENS1_36segmented_radix_sort_config_selectorI12hip_bfloat16lEEZNS1_25segmented_radix_sort_implIS3_Lb0EPKS5_PS5_PKlPlN2at6native12_GLOBAL__N_18offset_tEEE10hipError_tPvRmT1_PNSt15iterator_traitsISL_E10value_typeET2_T3_PNSM_ISR_E10value_typeET4_jRbjT5_SX_jjP12ihipStream_tbEUlT_E1_NS1_11comp_targetILNS1_3genE10ELNS1_11target_archE1200ELNS1_3gpuE4ELNS1_3repE0EEENS1_59segmented_radix_sort_warp_sort_small_config_static_selectorELNS0_4arch9wavefront6targetE0EEEvSL_.has_indirect_call, 0
	.section	.AMDGPU.csdata,"",@progbits
; Kernel info:
; codeLenInByte = 0
; TotalNumSgprs: 0
; NumVgprs: 0
; ScratchSize: 0
; MemoryBound: 0
; FloatMode: 240
; IeeeMode: 1
; LDSByteSize: 0 bytes/workgroup (compile time only)
; SGPRBlocks: 0
; VGPRBlocks: 0
; NumSGPRsForWavesPerEU: 1
; NumVGPRsForWavesPerEU: 1
; Occupancy: 16
; WaveLimiterHint : 0
; COMPUTE_PGM_RSRC2:SCRATCH_EN: 0
; COMPUTE_PGM_RSRC2:USER_SGPR: 6
; COMPUTE_PGM_RSRC2:TRAP_HANDLER: 0
; COMPUTE_PGM_RSRC2:TGID_X_EN: 1
; COMPUTE_PGM_RSRC2:TGID_Y_EN: 0
; COMPUTE_PGM_RSRC2:TGID_Z_EN: 0
; COMPUTE_PGM_RSRC2:TIDIG_COMP_CNT: 0
	.section	.text._ZN7rocprim17ROCPRIM_400000_NS6detail17trampoline_kernelINS0_14default_configENS1_36segmented_radix_sort_config_selectorI12hip_bfloat16lEEZNS1_25segmented_radix_sort_implIS3_Lb0EPKS5_PS5_PKlPlN2at6native12_GLOBAL__N_18offset_tEEE10hipError_tPvRmT1_PNSt15iterator_traitsISL_E10value_typeET2_T3_PNSM_ISR_E10value_typeET4_jRbjT5_SX_jjP12ihipStream_tbEUlT_E1_NS1_11comp_targetILNS1_3genE9ELNS1_11target_archE1100ELNS1_3gpuE3ELNS1_3repE0EEENS1_59segmented_radix_sort_warp_sort_small_config_static_selectorELNS0_4arch9wavefront6targetE0EEEvSL_,"axG",@progbits,_ZN7rocprim17ROCPRIM_400000_NS6detail17trampoline_kernelINS0_14default_configENS1_36segmented_radix_sort_config_selectorI12hip_bfloat16lEEZNS1_25segmented_radix_sort_implIS3_Lb0EPKS5_PS5_PKlPlN2at6native12_GLOBAL__N_18offset_tEEE10hipError_tPvRmT1_PNSt15iterator_traitsISL_E10value_typeET2_T3_PNSM_ISR_E10value_typeET4_jRbjT5_SX_jjP12ihipStream_tbEUlT_E1_NS1_11comp_targetILNS1_3genE9ELNS1_11target_archE1100ELNS1_3gpuE3ELNS1_3repE0EEENS1_59segmented_radix_sort_warp_sort_small_config_static_selectorELNS0_4arch9wavefront6targetE0EEEvSL_,comdat
	.globl	_ZN7rocprim17ROCPRIM_400000_NS6detail17trampoline_kernelINS0_14default_configENS1_36segmented_radix_sort_config_selectorI12hip_bfloat16lEEZNS1_25segmented_radix_sort_implIS3_Lb0EPKS5_PS5_PKlPlN2at6native12_GLOBAL__N_18offset_tEEE10hipError_tPvRmT1_PNSt15iterator_traitsISL_E10value_typeET2_T3_PNSM_ISR_E10value_typeET4_jRbjT5_SX_jjP12ihipStream_tbEUlT_E1_NS1_11comp_targetILNS1_3genE9ELNS1_11target_archE1100ELNS1_3gpuE3ELNS1_3repE0EEENS1_59segmented_radix_sort_warp_sort_small_config_static_selectorELNS0_4arch9wavefront6targetE0EEEvSL_ ; -- Begin function _ZN7rocprim17ROCPRIM_400000_NS6detail17trampoline_kernelINS0_14default_configENS1_36segmented_radix_sort_config_selectorI12hip_bfloat16lEEZNS1_25segmented_radix_sort_implIS3_Lb0EPKS5_PS5_PKlPlN2at6native12_GLOBAL__N_18offset_tEEE10hipError_tPvRmT1_PNSt15iterator_traitsISL_E10value_typeET2_T3_PNSM_ISR_E10value_typeET4_jRbjT5_SX_jjP12ihipStream_tbEUlT_E1_NS1_11comp_targetILNS1_3genE9ELNS1_11target_archE1100ELNS1_3gpuE3ELNS1_3repE0EEENS1_59segmented_radix_sort_warp_sort_small_config_static_selectorELNS0_4arch9wavefront6targetE0EEEvSL_
	.p2align	8
	.type	_ZN7rocprim17ROCPRIM_400000_NS6detail17trampoline_kernelINS0_14default_configENS1_36segmented_radix_sort_config_selectorI12hip_bfloat16lEEZNS1_25segmented_radix_sort_implIS3_Lb0EPKS5_PS5_PKlPlN2at6native12_GLOBAL__N_18offset_tEEE10hipError_tPvRmT1_PNSt15iterator_traitsISL_E10value_typeET2_T3_PNSM_ISR_E10value_typeET4_jRbjT5_SX_jjP12ihipStream_tbEUlT_E1_NS1_11comp_targetILNS1_3genE9ELNS1_11target_archE1100ELNS1_3gpuE3ELNS1_3repE0EEENS1_59segmented_radix_sort_warp_sort_small_config_static_selectorELNS0_4arch9wavefront6targetE0EEEvSL_,@function
_ZN7rocprim17ROCPRIM_400000_NS6detail17trampoline_kernelINS0_14default_configENS1_36segmented_radix_sort_config_selectorI12hip_bfloat16lEEZNS1_25segmented_radix_sort_implIS3_Lb0EPKS5_PS5_PKlPlN2at6native12_GLOBAL__N_18offset_tEEE10hipError_tPvRmT1_PNSt15iterator_traitsISL_E10value_typeET2_T3_PNSM_ISR_E10value_typeET4_jRbjT5_SX_jjP12ihipStream_tbEUlT_E1_NS1_11comp_targetILNS1_3genE9ELNS1_11target_archE1100ELNS1_3gpuE3ELNS1_3repE0EEENS1_59segmented_radix_sort_warp_sort_small_config_static_selectorELNS0_4arch9wavefront6targetE0EEEvSL_: ; @_ZN7rocprim17ROCPRIM_400000_NS6detail17trampoline_kernelINS0_14default_configENS1_36segmented_radix_sort_config_selectorI12hip_bfloat16lEEZNS1_25segmented_radix_sort_implIS3_Lb0EPKS5_PS5_PKlPlN2at6native12_GLOBAL__N_18offset_tEEE10hipError_tPvRmT1_PNSt15iterator_traitsISL_E10value_typeET2_T3_PNSM_ISR_E10value_typeET4_jRbjT5_SX_jjP12ihipStream_tbEUlT_E1_NS1_11comp_targetILNS1_3genE9ELNS1_11target_archE1100ELNS1_3gpuE3ELNS1_3repE0EEENS1_59segmented_radix_sort_warp_sort_small_config_static_selectorELNS0_4arch9wavefront6targetE0EEEvSL_
; %bb.0:
	.section	.rodata,"a",@progbits
	.p2align	6, 0x0
	.amdhsa_kernel _ZN7rocprim17ROCPRIM_400000_NS6detail17trampoline_kernelINS0_14default_configENS1_36segmented_radix_sort_config_selectorI12hip_bfloat16lEEZNS1_25segmented_radix_sort_implIS3_Lb0EPKS5_PS5_PKlPlN2at6native12_GLOBAL__N_18offset_tEEE10hipError_tPvRmT1_PNSt15iterator_traitsISL_E10value_typeET2_T3_PNSM_ISR_E10value_typeET4_jRbjT5_SX_jjP12ihipStream_tbEUlT_E1_NS1_11comp_targetILNS1_3genE9ELNS1_11target_archE1100ELNS1_3gpuE3ELNS1_3repE0EEENS1_59segmented_radix_sort_warp_sort_small_config_static_selectorELNS0_4arch9wavefront6targetE0EEEvSL_
		.amdhsa_group_segment_fixed_size 0
		.amdhsa_private_segment_fixed_size 0
		.amdhsa_kernarg_size 88
		.amdhsa_user_sgpr_count 6
		.amdhsa_user_sgpr_private_segment_buffer 1
		.amdhsa_user_sgpr_dispatch_ptr 0
		.amdhsa_user_sgpr_queue_ptr 0
		.amdhsa_user_sgpr_kernarg_segment_ptr 1
		.amdhsa_user_sgpr_dispatch_id 0
		.amdhsa_user_sgpr_flat_scratch_init 0
		.amdhsa_user_sgpr_private_segment_size 0
		.amdhsa_wavefront_size32 1
		.amdhsa_uses_dynamic_stack 0
		.amdhsa_system_sgpr_private_segment_wavefront_offset 0
		.amdhsa_system_sgpr_workgroup_id_x 1
		.amdhsa_system_sgpr_workgroup_id_y 0
		.amdhsa_system_sgpr_workgroup_id_z 0
		.amdhsa_system_sgpr_workgroup_info 0
		.amdhsa_system_vgpr_workitem_id 0
		.amdhsa_next_free_vgpr 1
		.amdhsa_next_free_sgpr 1
		.amdhsa_reserve_vcc 0
		.amdhsa_reserve_flat_scratch 0
		.amdhsa_float_round_mode_32 0
		.amdhsa_float_round_mode_16_64 0
		.amdhsa_float_denorm_mode_32 3
		.amdhsa_float_denorm_mode_16_64 3
		.amdhsa_dx10_clamp 1
		.amdhsa_ieee_mode 1
		.amdhsa_fp16_overflow 0
		.amdhsa_workgroup_processor_mode 1
		.amdhsa_memory_ordered 1
		.amdhsa_forward_progress 1
		.amdhsa_shared_vgpr_count 0
		.amdhsa_exception_fp_ieee_invalid_op 0
		.amdhsa_exception_fp_denorm_src 0
		.amdhsa_exception_fp_ieee_div_zero 0
		.amdhsa_exception_fp_ieee_overflow 0
		.amdhsa_exception_fp_ieee_underflow 0
		.amdhsa_exception_fp_ieee_inexact 0
		.amdhsa_exception_int_div_zero 0
	.end_amdhsa_kernel
	.section	.text._ZN7rocprim17ROCPRIM_400000_NS6detail17trampoline_kernelINS0_14default_configENS1_36segmented_radix_sort_config_selectorI12hip_bfloat16lEEZNS1_25segmented_radix_sort_implIS3_Lb0EPKS5_PS5_PKlPlN2at6native12_GLOBAL__N_18offset_tEEE10hipError_tPvRmT1_PNSt15iterator_traitsISL_E10value_typeET2_T3_PNSM_ISR_E10value_typeET4_jRbjT5_SX_jjP12ihipStream_tbEUlT_E1_NS1_11comp_targetILNS1_3genE9ELNS1_11target_archE1100ELNS1_3gpuE3ELNS1_3repE0EEENS1_59segmented_radix_sort_warp_sort_small_config_static_selectorELNS0_4arch9wavefront6targetE0EEEvSL_,"axG",@progbits,_ZN7rocprim17ROCPRIM_400000_NS6detail17trampoline_kernelINS0_14default_configENS1_36segmented_radix_sort_config_selectorI12hip_bfloat16lEEZNS1_25segmented_radix_sort_implIS3_Lb0EPKS5_PS5_PKlPlN2at6native12_GLOBAL__N_18offset_tEEE10hipError_tPvRmT1_PNSt15iterator_traitsISL_E10value_typeET2_T3_PNSM_ISR_E10value_typeET4_jRbjT5_SX_jjP12ihipStream_tbEUlT_E1_NS1_11comp_targetILNS1_3genE9ELNS1_11target_archE1100ELNS1_3gpuE3ELNS1_3repE0EEENS1_59segmented_radix_sort_warp_sort_small_config_static_selectorELNS0_4arch9wavefront6targetE0EEEvSL_,comdat
.Lfunc_end2066:
	.size	_ZN7rocprim17ROCPRIM_400000_NS6detail17trampoline_kernelINS0_14default_configENS1_36segmented_radix_sort_config_selectorI12hip_bfloat16lEEZNS1_25segmented_radix_sort_implIS3_Lb0EPKS5_PS5_PKlPlN2at6native12_GLOBAL__N_18offset_tEEE10hipError_tPvRmT1_PNSt15iterator_traitsISL_E10value_typeET2_T3_PNSM_ISR_E10value_typeET4_jRbjT5_SX_jjP12ihipStream_tbEUlT_E1_NS1_11comp_targetILNS1_3genE9ELNS1_11target_archE1100ELNS1_3gpuE3ELNS1_3repE0EEENS1_59segmented_radix_sort_warp_sort_small_config_static_selectorELNS0_4arch9wavefront6targetE0EEEvSL_, .Lfunc_end2066-_ZN7rocprim17ROCPRIM_400000_NS6detail17trampoline_kernelINS0_14default_configENS1_36segmented_radix_sort_config_selectorI12hip_bfloat16lEEZNS1_25segmented_radix_sort_implIS3_Lb0EPKS5_PS5_PKlPlN2at6native12_GLOBAL__N_18offset_tEEE10hipError_tPvRmT1_PNSt15iterator_traitsISL_E10value_typeET2_T3_PNSM_ISR_E10value_typeET4_jRbjT5_SX_jjP12ihipStream_tbEUlT_E1_NS1_11comp_targetILNS1_3genE9ELNS1_11target_archE1100ELNS1_3gpuE3ELNS1_3repE0EEENS1_59segmented_radix_sort_warp_sort_small_config_static_selectorELNS0_4arch9wavefront6targetE0EEEvSL_
                                        ; -- End function
	.set _ZN7rocprim17ROCPRIM_400000_NS6detail17trampoline_kernelINS0_14default_configENS1_36segmented_radix_sort_config_selectorI12hip_bfloat16lEEZNS1_25segmented_radix_sort_implIS3_Lb0EPKS5_PS5_PKlPlN2at6native12_GLOBAL__N_18offset_tEEE10hipError_tPvRmT1_PNSt15iterator_traitsISL_E10value_typeET2_T3_PNSM_ISR_E10value_typeET4_jRbjT5_SX_jjP12ihipStream_tbEUlT_E1_NS1_11comp_targetILNS1_3genE9ELNS1_11target_archE1100ELNS1_3gpuE3ELNS1_3repE0EEENS1_59segmented_radix_sort_warp_sort_small_config_static_selectorELNS0_4arch9wavefront6targetE0EEEvSL_.num_vgpr, 0
	.set _ZN7rocprim17ROCPRIM_400000_NS6detail17trampoline_kernelINS0_14default_configENS1_36segmented_radix_sort_config_selectorI12hip_bfloat16lEEZNS1_25segmented_radix_sort_implIS3_Lb0EPKS5_PS5_PKlPlN2at6native12_GLOBAL__N_18offset_tEEE10hipError_tPvRmT1_PNSt15iterator_traitsISL_E10value_typeET2_T3_PNSM_ISR_E10value_typeET4_jRbjT5_SX_jjP12ihipStream_tbEUlT_E1_NS1_11comp_targetILNS1_3genE9ELNS1_11target_archE1100ELNS1_3gpuE3ELNS1_3repE0EEENS1_59segmented_radix_sort_warp_sort_small_config_static_selectorELNS0_4arch9wavefront6targetE0EEEvSL_.num_agpr, 0
	.set _ZN7rocprim17ROCPRIM_400000_NS6detail17trampoline_kernelINS0_14default_configENS1_36segmented_radix_sort_config_selectorI12hip_bfloat16lEEZNS1_25segmented_radix_sort_implIS3_Lb0EPKS5_PS5_PKlPlN2at6native12_GLOBAL__N_18offset_tEEE10hipError_tPvRmT1_PNSt15iterator_traitsISL_E10value_typeET2_T3_PNSM_ISR_E10value_typeET4_jRbjT5_SX_jjP12ihipStream_tbEUlT_E1_NS1_11comp_targetILNS1_3genE9ELNS1_11target_archE1100ELNS1_3gpuE3ELNS1_3repE0EEENS1_59segmented_radix_sort_warp_sort_small_config_static_selectorELNS0_4arch9wavefront6targetE0EEEvSL_.numbered_sgpr, 0
	.set _ZN7rocprim17ROCPRIM_400000_NS6detail17trampoline_kernelINS0_14default_configENS1_36segmented_radix_sort_config_selectorI12hip_bfloat16lEEZNS1_25segmented_radix_sort_implIS3_Lb0EPKS5_PS5_PKlPlN2at6native12_GLOBAL__N_18offset_tEEE10hipError_tPvRmT1_PNSt15iterator_traitsISL_E10value_typeET2_T3_PNSM_ISR_E10value_typeET4_jRbjT5_SX_jjP12ihipStream_tbEUlT_E1_NS1_11comp_targetILNS1_3genE9ELNS1_11target_archE1100ELNS1_3gpuE3ELNS1_3repE0EEENS1_59segmented_radix_sort_warp_sort_small_config_static_selectorELNS0_4arch9wavefront6targetE0EEEvSL_.num_named_barrier, 0
	.set _ZN7rocprim17ROCPRIM_400000_NS6detail17trampoline_kernelINS0_14default_configENS1_36segmented_radix_sort_config_selectorI12hip_bfloat16lEEZNS1_25segmented_radix_sort_implIS3_Lb0EPKS5_PS5_PKlPlN2at6native12_GLOBAL__N_18offset_tEEE10hipError_tPvRmT1_PNSt15iterator_traitsISL_E10value_typeET2_T3_PNSM_ISR_E10value_typeET4_jRbjT5_SX_jjP12ihipStream_tbEUlT_E1_NS1_11comp_targetILNS1_3genE9ELNS1_11target_archE1100ELNS1_3gpuE3ELNS1_3repE0EEENS1_59segmented_radix_sort_warp_sort_small_config_static_selectorELNS0_4arch9wavefront6targetE0EEEvSL_.private_seg_size, 0
	.set _ZN7rocprim17ROCPRIM_400000_NS6detail17trampoline_kernelINS0_14default_configENS1_36segmented_radix_sort_config_selectorI12hip_bfloat16lEEZNS1_25segmented_radix_sort_implIS3_Lb0EPKS5_PS5_PKlPlN2at6native12_GLOBAL__N_18offset_tEEE10hipError_tPvRmT1_PNSt15iterator_traitsISL_E10value_typeET2_T3_PNSM_ISR_E10value_typeET4_jRbjT5_SX_jjP12ihipStream_tbEUlT_E1_NS1_11comp_targetILNS1_3genE9ELNS1_11target_archE1100ELNS1_3gpuE3ELNS1_3repE0EEENS1_59segmented_radix_sort_warp_sort_small_config_static_selectorELNS0_4arch9wavefront6targetE0EEEvSL_.uses_vcc, 0
	.set _ZN7rocprim17ROCPRIM_400000_NS6detail17trampoline_kernelINS0_14default_configENS1_36segmented_radix_sort_config_selectorI12hip_bfloat16lEEZNS1_25segmented_radix_sort_implIS3_Lb0EPKS5_PS5_PKlPlN2at6native12_GLOBAL__N_18offset_tEEE10hipError_tPvRmT1_PNSt15iterator_traitsISL_E10value_typeET2_T3_PNSM_ISR_E10value_typeET4_jRbjT5_SX_jjP12ihipStream_tbEUlT_E1_NS1_11comp_targetILNS1_3genE9ELNS1_11target_archE1100ELNS1_3gpuE3ELNS1_3repE0EEENS1_59segmented_radix_sort_warp_sort_small_config_static_selectorELNS0_4arch9wavefront6targetE0EEEvSL_.uses_flat_scratch, 0
	.set _ZN7rocprim17ROCPRIM_400000_NS6detail17trampoline_kernelINS0_14default_configENS1_36segmented_radix_sort_config_selectorI12hip_bfloat16lEEZNS1_25segmented_radix_sort_implIS3_Lb0EPKS5_PS5_PKlPlN2at6native12_GLOBAL__N_18offset_tEEE10hipError_tPvRmT1_PNSt15iterator_traitsISL_E10value_typeET2_T3_PNSM_ISR_E10value_typeET4_jRbjT5_SX_jjP12ihipStream_tbEUlT_E1_NS1_11comp_targetILNS1_3genE9ELNS1_11target_archE1100ELNS1_3gpuE3ELNS1_3repE0EEENS1_59segmented_radix_sort_warp_sort_small_config_static_selectorELNS0_4arch9wavefront6targetE0EEEvSL_.has_dyn_sized_stack, 0
	.set _ZN7rocprim17ROCPRIM_400000_NS6detail17trampoline_kernelINS0_14default_configENS1_36segmented_radix_sort_config_selectorI12hip_bfloat16lEEZNS1_25segmented_radix_sort_implIS3_Lb0EPKS5_PS5_PKlPlN2at6native12_GLOBAL__N_18offset_tEEE10hipError_tPvRmT1_PNSt15iterator_traitsISL_E10value_typeET2_T3_PNSM_ISR_E10value_typeET4_jRbjT5_SX_jjP12ihipStream_tbEUlT_E1_NS1_11comp_targetILNS1_3genE9ELNS1_11target_archE1100ELNS1_3gpuE3ELNS1_3repE0EEENS1_59segmented_radix_sort_warp_sort_small_config_static_selectorELNS0_4arch9wavefront6targetE0EEEvSL_.has_recursion, 0
	.set _ZN7rocprim17ROCPRIM_400000_NS6detail17trampoline_kernelINS0_14default_configENS1_36segmented_radix_sort_config_selectorI12hip_bfloat16lEEZNS1_25segmented_radix_sort_implIS3_Lb0EPKS5_PS5_PKlPlN2at6native12_GLOBAL__N_18offset_tEEE10hipError_tPvRmT1_PNSt15iterator_traitsISL_E10value_typeET2_T3_PNSM_ISR_E10value_typeET4_jRbjT5_SX_jjP12ihipStream_tbEUlT_E1_NS1_11comp_targetILNS1_3genE9ELNS1_11target_archE1100ELNS1_3gpuE3ELNS1_3repE0EEENS1_59segmented_radix_sort_warp_sort_small_config_static_selectorELNS0_4arch9wavefront6targetE0EEEvSL_.has_indirect_call, 0
	.section	.AMDGPU.csdata,"",@progbits
; Kernel info:
; codeLenInByte = 0
; TotalNumSgprs: 0
; NumVgprs: 0
; ScratchSize: 0
; MemoryBound: 0
; FloatMode: 240
; IeeeMode: 1
; LDSByteSize: 0 bytes/workgroup (compile time only)
; SGPRBlocks: 0
; VGPRBlocks: 0
; NumSGPRsForWavesPerEU: 1
; NumVGPRsForWavesPerEU: 1
; Occupancy: 16
; WaveLimiterHint : 0
; COMPUTE_PGM_RSRC2:SCRATCH_EN: 0
; COMPUTE_PGM_RSRC2:USER_SGPR: 6
; COMPUTE_PGM_RSRC2:TRAP_HANDLER: 0
; COMPUTE_PGM_RSRC2:TGID_X_EN: 1
; COMPUTE_PGM_RSRC2:TGID_Y_EN: 0
; COMPUTE_PGM_RSRC2:TGID_Z_EN: 0
; COMPUTE_PGM_RSRC2:TIDIG_COMP_CNT: 0
	.text
	.p2align	2                               ; -- Begin function _ZN7rocprim17ROCPRIM_400000_NS6detail26segmented_warp_sort_helperINS1_20WarpSortHelperConfigILj8ELj4ELj256EEE12hip_bfloat16lLi256ELb0EvE4sortIPKS5_PS5_PKlPlEEvT_T0_T1_T2_jjjjRNS6_12storage_typeE
	.type	_ZN7rocprim17ROCPRIM_400000_NS6detail26segmented_warp_sort_helperINS1_20WarpSortHelperConfigILj8ELj4ELj256EEE12hip_bfloat16lLi256ELb0EvE4sortIPKS5_PS5_PKlPlEEvT_T0_T1_T2_jjjjRNS6_12storage_typeE,@function
_ZN7rocprim17ROCPRIM_400000_NS6detail26segmented_warp_sort_helperINS1_20WarpSortHelperConfigILj8ELj4ELj256EEE12hip_bfloat16lLi256ELb0EvE4sortIPKS5_PS5_PKlPlEEvT_T0_T1_T2_jjjjRNS6_12storage_typeE: ; @_ZN7rocprim17ROCPRIM_400000_NS6detail26segmented_warp_sort_helperINS1_20WarpSortHelperConfigILj8ELj4ELj256EEE12hip_bfloat16lLi256ELb0EvE4sortIPKS5_PS5_PKlPlEEvT_T0_T1_T2_jjjjRNS6_12storage_typeE
; %bb.0:
	s_waitcnt vmcnt(0) expcnt(0) lgkmcnt(0)
	v_mov_b32_e32 v11, v9
	v_mbcnt_lo_u32_b32 v9, -1, 0
	v_mov_b32_e32 v32, 0x7fff
	v_mov_b32_e32 v35, 0x7fff
	v_sub_nc_u32_e32 v11, v11, v8
	v_lshlrev_b32_e32 v23, 2, v9
	v_mov_b32_e32 v9, 0
	v_and_b32_e32 v22, 28, v23
	v_lshlrev_b64 v[19:20], 1, v[8:9]
	v_lshlrev_b32_e32 v21, 1, v22
	v_add_co_u32 v0, vcc_lo, v0, v19
	v_add_co_ci_u32_e64 v1, null, v1, v20, vcc_lo
	v_add_co_u32 v0, vcc_lo, v0, v21
	v_add_co_ci_u32_e64 v1, null, 0, v1, vcc_lo
	v_cmp_lt_u32_e32 vcc_lo, v22, v11
	s_and_saveexec_b32 s4, vcc_lo
	s_cbranch_execz .LBB2067_2
; %bb.1:
	flat_load_ushort v35, v[0:1]
.LBB2067_2:
	s_or_b32 exec_lo, exec_lo, s4
	v_or_b32_e32 v12, 1, v22
	v_cmp_lt_u32_e64 s4, v12, v11
	s_and_saveexec_b32 s5, s4
	s_cbranch_execz .LBB2067_4
; %bb.3:
	flat_load_ushort v32, v[0:1] offset:2
.LBB2067_4:
	s_or_b32 exec_lo, exec_lo, s5
	v_or_b32_e32 v12, 2, v22
	v_mov_b32_e32 v34, 0x7fff
	v_mov_b32_e32 v33, 0x7fff
	v_cmp_lt_u32_e64 s5, v12, v11
	s_and_saveexec_b32 s6, s5
	s_cbranch_execz .LBB2067_6
; %bb.5:
	flat_load_ushort v33, v[0:1] offset:4
.LBB2067_6:
	s_or_b32 exec_lo, exec_lo, s6
	v_or_b32_e32 v12, 3, v22
	v_cmp_lt_u32_e64 s6, v12, v11
	s_and_saveexec_b32 s7, s6
	s_cbranch_execz .LBB2067_8
; %bb.7:
	flat_load_ushort v34, v[0:1] offset:6
.LBB2067_8:
	s_or_b32 exec_lo, exec_lo, s7
	v_lshlrev_b64 v[0:1], 3, v[8:9]
	v_lshlrev_b32_e32 v8, 3, v22
	v_mov_b32_e32 v11, 0
	; wave barrier
	v_add_co_u32 v4, s7, v4, v0
	v_add_co_ci_u32_e64 v5, null, v5, v1, s7
	v_mov_b32_e32 v12, v11
	v_add_co_u32 v4, s7, v4, v8
	v_add_co_ci_u32_e64 v5, null, 0, v5, s7
	v_mov_b32_e32 v13, v11
	v_mov_b32_e32 v14, v11
	;; [unrolled: 1-line block ×6, first 2 shown]
	s_and_saveexec_b32 s7, vcc_lo
	s_cbranch_execnz .LBB2067_76
; %bb.9:
	s_or_b32 exec_lo, exec_lo, s7
	s_and_saveexec_b32 s7, s4
	s_cbranch_execnz .LBB2067_77
.LBB2067_10:
	s_or_b32 exec_lo, exec_lo, s7
	s_and_saveexec_b32 s7, s5
	s_cbranch_execnz .LBB2067_78
.LBB2067_11:
	s_or_b32 exec_lo, exec_lo, s7
	s_and_saveexec_b32 s7, s6
	s_cbranch_execz .LBB2067_13
.LBB2067_12:
	flat_load_dwordx2 v[17:18], v[4:5] offset:24
.LBB2067_13:
	s_or_b32 exec_lo, exec_lo, s7
	; wave barrier
	s_load_dwordx2 s[10:11], s[8:9], 0x0
	v_mov_b32_e32 v4, 0
	v_bfe_u32 v9, v31, 10, 10
	v_bfe_u32 v24, v31, 20, 10
	s_waitcnt lgkmcnt(0)
	s_cmp_lt_u32 s13, s11
	s_mov_b32 s13, exec_lo
	s_cselect_b32 s7, 14, 20
	s_add_u32 s14, s8, s7
	s_addc_u32 s15, s9, 0
	s_cmp_lt_u32 s12, s10
	global_load_ushort v5, v4, s[14:15]
	s_cselect_b32 s7, 12, 18
	s_add_u32 s8, s8, s7
	s_addc_u32 s9, s9, 0
	global_load_ushort v4, v4, s[8:9]
	s_waitcnt vmcnt(1)
	v_mad_u32_u24 v5, v24, v5, v9
	s_waitcnt vmcnt(0)
	v_mul_lo_u32 v4, v5, v4
	v_and_b32_e32 v5, 0x3ff, v31
	v_add_lshl_u32 v4, v4, v5, 2
	v_cmpx_gt_u32_e32 0x400, v4
	s_cbranch_execz .LBB2067_65
; %bb.14:
	v_lshlrev_b32_e32 v5, 16, v35
	v_add_f32_e32 v9, 0, v5
	v_and_b32_e32 v5, 0x7f800000, v9
	v_cmp_ne_u32_e64 s7, 0x7f800000, v5
                                        ; implicit-def: $vgpr5
	s_and_saveexec_b32 s8, s7
	s_xor_b32 s7, exec_lo, s8
; %bb.15:
	v_bfe_u32 v5, v9, 16, 1
	v_add3_u32 v5, v9, v5, 0x7fff
                                        ; implicit-def: $vgpr9
; %bb.16:
	s_andn2_saveexec_b32 s8, s7
; %bb.17:
	v_mov_b32_e32 v5, 0
	v_or_b32_e32 v24, 0x10000, v9
	v_cmp_eq_u32_sdwa s7, v9, v5 src0_sel:WORD_0 src1_sel:DWORD
	v_cndmask_b32_e64 v5, v24, v9, s7
; %bb.18:
	s_or_b32 exec_lo, exec_lo, s8
	v_lshlrev_b32_e32 v9, 16, v32
	v_add_f32_e32 v24, 0, v9
	v_and_b32_e32 v9, 0x7f800000, v24
	v_cmp_ne_u32_e64 s7, 0x7f800000, v9
                                        ; implicit-def: $vgpr9
	s_and_saveexec_b32 s8, s7
	s_xor_b32 s7, exec_lo, s8
; %bb.19:
	v_bfe_u32 v9, v24, 16, 1
	v_add3_u32 v9, v24, v9, 0x7fff
                                        ; implicit-def: $vgpr24
; %bb.20:
	s_andn2_saveexec_b32 s8, s7
; %bb.21:
	v_mov_b32_e32 v9, 0
	v_or_b32_e32 v25, 0x10000, v24
	v_cmp_eq_u32_sdwa s7, v24, v9 src0_sel:WORD_0 src1_sel:DWORD
	v_cndmask_b32_e64 v9, v25, v24, s7
; %bb.22:
	s_or_b32 exec_lo, exec_lo, s8
	v_lshlrev_b32_e32 v24, 16, v33
	v_add_f32_e32 v24, 0, v24
	v_and_b32_e32 v25, 0x7f800000, v24
	v_cmp_ne_u32_e64 s7, 0x7f800000, v25
                                        ; implicit-def: $vgpr25
	s_and_saveexec_b32 s8, s7
	s_xor_b32 s7, exec_lo, s8
; %bb.23:
	v_bfe_u32 v25, v24, 16, 1
	v_add3_u32 v25, v24, v25, 0x7fff
                                        ; implicit-def: $vgpr24
; %bb.24:
	s_andn2_saveexec_b32 s8, s7
; %bb.25:
	v_mov_b32_e32 v25, 0
	v_or_b32_e32 v26, 0x10000, v24
	v_cmp_eq_u32_sdwa s7, v24, v25 src0_sel:WORD_0 src1_sel:DWORD
	v_cndmask_b32_e64 v25, v26, v24, s7
; %bb.26:
	s_or_b32 exec_lo, exec_lo, s8
	v_lshlrev_b32_e32 v24, 16, v34
	v_add_f32_e32 v24, 0, v24
	v_and_b32_e32 v26, 0x7f800000, v24
	v_cmp_ne_u32_e64 s7, 0x7f800000, v26
                                        ; implicit-def: $vgpr26
	s_and_saveexec_b32 s8, s7
	s_xor_b32 s7, exec_lo, s8
; %bb.27:
	v_bfe_u32 v26, v24, 16, 1
	v_add3_u32 v26, v24, v26, 0x7fff
                                        ; implicit-def: $vgpr24
; %bb.28:
	s_andn2_saveexec_b32 s8, s7
; %bb.29:
	v_mov_b32_e32 v26, 0
	v_or_b32_e32 v27, 0x10000, v24
	v_cmp_eq_u32_sdwa s7, v24, v26 src0_sel:WORD_0 src1_sel:DWORD
	v_cndmask_b32_e64 v26, v27, v24, s7
; %bb.30:
	s_or_b32 exec_lo, exec_lo, s8
	v_cmp_lt_i32_e64 s7, -1, v5
	v_perm_b32 v5, v9, v5, 0x7060302
	v_cndmask_b32_e64 v24, -1, 0xffff8000, s7
	v_cmp_lt_i32_e64 s7, -1, v9
	v_cndmask_b32_e64 v27, -1, 0xffff8000, s7
	v_perm_b32 v9, v27, v24, 0x5040100
	v_xor_b32_e32 v5, v9, v5
	v_cmp_gt_u16_sdwa s7, v5, v5 src0_sel:DWORD src1_sel:WORD_1
	v_cndmask_b32_e64 v24, v32, v35, s7
	v_lshlrev_b32_e32 v5, 16, v24
	v_add_f32_e32 v5, 0, v5
	v_and_b32_e32 v9, 0x7f800000, v5
	v_cmp_ne_u32_e64 s8, 0x7f800000, v9
                                        ; implicit-def: $vgpr9
	s_and_saveexec_b32 s9, s8
	s_xor_b32 s8, exec_lo, s9
; %bb.31:
	v_bfe_u32 v9, v5, 16, 1
	v_add3_u32 v9, v5, v9, 0x7fff
                                        ; implicit-def: $vgpr5
; %bb.32:
	s_andn2_saveexec_b32 s9, s8
; %bb.33:
	v_mov_b32_e32 v9, 0
	v_or_b32_e32 v27, 0x10000, v5
	v_cmp_eq_u32_sdwa s8, v5, v9 src0_sel:WORD_0 src1_sel:DWORD
	v_cndmask_b32_e64 v9, v27, v5, s8
; %bb.34:
	s_or_b32 exec_lo, exec_lo, s9
	v_cmp_lt_i32_e64 s8, -1, v25
	v_perm_b32 v25, v26, v25, 0x7060302
	v_cndmask_b32_e64 v5, -1, 0xffff8000, s8
	v_cmp_lt_i32_e64 s8, -1, v26
	v_cndmask_b32_e64 v27, -1, 0xffff8000, s8
	v_perm_b32 v5, v27, v5, 0x5040100
                                        ; implicit-def: $vgpr27
	v_xor_b32_e32 v5, v5, v25
	v_cmp_gt_u16_sdwa s8, v5, v5 src0_sel:DWORD src1_sel:WORD_1
	v_cndmask_b32_e64 v25, v33, v34, s8
	v_lshlrev_b32_e32 v5, 16, v25
	v_add_f32_e32 v5, 0, v5
	v_and_b32_e32 v26, 0x7f800000, v5
	v_cmp_ne_u32_e64 s9, 0x7f800000, v26
	s_and_saveexec_b32 s10, s9
	s_xor_b32 s9, exec_lo, s10
; %bb.35:
	v_bfe_u32 v26, v5, 16, 1
	v_add3_u32 v27, v5, v26, 0x7fff
                                        ; implicit-def: $vgpr5
; %bb.36:
	s_andn2_saveexec_b32 s10, s9
; %bb.37:
	v_mov_b32_e32 v26, 0
	v_or_b32_e32 v27, 0x10000, v5
	v_cmp_eq_u32_sdwa s9, v5, v26 src0_sel:WORD_0 src1_sel:DWORD
	v_cndmask_b32_e64 v27, v27, v5, s9
; %bb.38:
	s_or_b32 exec_lo, exec_lo, s10
	v_cndmask_b32_e64 v5, v35, v32, s7
	v_lshlrev_b32_e32 v26, 16, v5
	v_add_f32_e32 v28, 0, v26
	v_and_b32_e32 v26, 0x7f800000, v28
	v_cmp_ne_u32_e64 s9, 0x7f800000, v26
                                        ; implicit-def: $vgpr26
	s_and_saveexec_b32 s10, s9
	s_xor_b32 s9, exec_lo, s10
; %bb.39:
	v_bfe_u32 v26, v28, 16, 1
	v_add3_u32 v26, v28, v26, 0x7fff
                                        ; implicit-def: $vgpr28
; %bb.40:
	s_andn2_saveexec_b32 s10, s9
; %bb.41:
	v_mov_b32_e32 v26, 0
	v_or_b32_e32 v29, 0x10000, v28
	v_cmp_eq_u32_sdwa s9, v28, v26 src0_sel:WORD_0 src1_sel:DWORD
	v_cndmask_b32_e64 v26, v29, v28, s9
; %bb.42:
	s_or_b32 exec_lo, exec_lo, s10
	v_cmp_lt_i32_e64 s9, -1, v9
	v_perm_b32 v9, v27, v9, 0x7060302
	v_cndmask_b32_e64 v28, -1, 0xffff8000, s9
	v_cmp_lt_i32_e64 s9, -1, v27
	v_cndmask_b32_e64 v29, -1, 0xffff8000, s9
	v_perm_b32 v27, v29, v28, 0x5040100
	v_xor_b32_e32 v9, v27, v9
	v_cmp_gt_u16_sdwa s9, v9, v9 src0_sel:DWORD src1_sel:WORD_1
	v_cndmask_b32_e64 v9, v24, v25, s9
	v_lshlrev_b32_e32 v27, 16, v9
	v_add_f32_e32 v27, 0, v27
	v_and_b32_e32 v28, 0x7f800000, v27
	v_cmp_ne_u32_e64 s10, 0x7f800000, v28
                                        ; implicit-def: $vgpr28
	s_and_saveexec_b32 s11, s10
	s_xor_b32 s10, exec_lo, s11
; %bb.43:
	v_bfe_u32 v28, v27, 16, 1
	v_add3_u32 v28, v27, v28, 0x7fff
                                        ; implicit-def: $vgpr27
; %bb.44:
	s_andn2_saveexec_b32 s11, s10
; %bb.45:
	v_mov_b32_e32 v28, 0
	v_or_b32_e32 v29, 0x10000, v27
	v_cmp_eq_u32_sdwa s10, v27, v28 src0_sel:WORD_0 src1_sel:DWORD
	v_cndmask_b32_e64 v28, v29, v27, s10
; %bb.46:
	s_or_b32 exec_lo, exec_lo, s11
	v_cndmask_b32_e64 v24, v25, v24, s9
	v_lshlrev_b32_e32 v25, 16, v24
	v_add_f32_e32 v25, 0, v25
	v_and_b32_e32 v27, 0x7f800000, v25
	v_cmp_ne_u32_e64 s10, 0x7f800000, v27
                                        ; implicit-def: $vgpr27
	s_and_saveexec_b32 s11, s10
	s_xor_b32 s10, exec_lo, s11
; %bb.47:
	v_bfe_u32 v27, v25, 16, 1
	v_add3_u32 v27, v25, v27, 0x7fff
                                        ; implicit-def: $vgpr25
; %bb.48:
	s_andn2_saveexec_b32 s11, s10
; %bb.49:
	v_mov_b32_e32 v27, 0
	v_or_b32_e32 v29, 0x10000, v25
	v_cmp_eq_u32_sdwa s10, v25, v27 src0_sel:WORD_0 src1_sel:DWORD
	v_cndmask_b32_e64 v27, v29, v25, s10
; %bb.50:
	s_or_b32 exec_lo, exec_lo, s11
	v_cndmask_b32_e64 v25, v34, v33, s8
	v_lshlrev_b32_e32 v29, 16, v25
	v_add_f32_e32 v30, 0, v29
	v_and_b32_e32 v29, 0x7f800000, v30
	v_cmp_ne_u32_e64 s10, 0x7f800000, v29
                                        ; implicit-def: $vgpr29
	s_and_saveexec_b32 s11, s10
	s_xor_b32 s10, exec_lo, s11
; %bb.51:
	v_bfe_u32 v29, v30, 16, 1
	v_add3_u32 v29, v30, v29, 0x7fff
                                        ; implicit-def: $vgpr30
; %bb.52:
	s_andn2_saveexec_b32 s11, s10
; %bb.53:
	v_mov_b32_e32 v29, 0
	v_or_b32_e32 v31, 0x10000, v30
	v_cmp_eq_u32_sdwa s10, v30, v29 src0_sel:WORD_0 src1_sel:DWORD
	v_cndmask_b32_e64 v29, v31, v30, s10
; %bb.54:
	s_or_b32 exec_lo, exec_lo, s11
	v_cmp_lt_i32_e64 s10, -1, v26
	v_perm_b32 v26, v28, v26, 0x7060302
	v_cndmask_b32_e64 v30, -1, 0xffff8000, s10
	v_cmp_lt_i32_e64 s10, -1, v28
	v_cndmask_b32_e64 v31, -1, 0xffff8000, s10
	v_perm_b32 v28, v31, v30, 0x5040100
	v_xor_b32_e32 v26, v28, v26
	v_cmp_gt_u16_sdwa s10, v26, v26 src0_sel:DWORD src1_sel:WORD_1
	v_cndmask_b32_e64 v32, v9, v5, s10
	v_lshlrev_b32_e32 v26, 16, v32
	v_add_f32_e32 v28, 0, v26
	v_and_b32_e32 v26, 0x7f800000, v28
	v_cmp_ne_u32_e64 s11, 0x7f800000, v26
                                        ; implicit-def: $vgpr26
	s_and_saveexec_b32 s12, s11
	s_xor_b32 s11, exec_lo, s12
; %bb.55:
	v_bfe_u32 v26, v28, 16, 1
	v_add3_u32 v26, v28, v26, 0x7fff
                                        ; implicit-def: $vgpr28
; %bb.56:
	s_andn2_saveexec_b32 s12, s11
; %bb.57:
	v_mov_b32_e32 v26, 0
	v_or_b32_e32 v30, 0x10000, v28
	v_cmp_eq_u32_sdwa s11, v28, v26 src0_sel:WORD_0 src1_sel:DWORD
	v_cndmask_b32_e64 v26, v30, v28, s11
; %bb.58:
	s_or_b32 exec_lo, exec_lo, s12
	v_cmp_lt_i32_e64 s11, -1, v27
	v_perm_b32 v27, v29, v27, 0x7060302
	v_cndmask_b32_e64 v28, -1, 0xffff8000, s11
	v_cmp_lt_i32_e64 s11, -1, v29
	v_cndmask_b32_e64 v30, -1, 0xffff8000, s11
	v_perm_b32 v28, v30, v28, 0x5040100
	v_xor_b32_e32 v27, v28, v27
	v_cmp_gt_u16_sdwa s11, v27, v27 src0_sel:DWORD src1_sel:WORD_1
	v_cndmask_b32_e64 v27, v24, v25, s11
	v_lshlrev_b32_e32 v28, 16, v27
	v_add_f32_e32 v29, 0, v28
	v_and_b32_e32 v28, 0x7f800000, v29
	v_cmp_ne_u32_e64 s12, 0x7f800000, v28
                                        ; implicit-def: $vgpr28
	s_and_saveexec_b32 s14, s12
	s_xor_b32 s12, exec_lo, s14
; %bb.59:
	v_bfe_u32 v28, v29, 16, 1
	v_add3_u32 v28, v29, v28, 0x7fff
                                        ; implicit-def: $vgpr29
; %bb.60:
	s_andn2_saveexec_b32 s14, s12
; %bb.61:
	v_mov_b32_e32 v28, 0
	v_or_b32_e32 v30, 0x10000, v29
	v_cmp_eq_u32_sdwa s12, v29, v28 src0_sel:WORD_0 src1_sel:DWORD
	v_cndmask_b32_e64 v28, v30, v29, s12
; %bb.62:
	s_or_b32 exec_lo, exec_lo, s14
	v_cndmask_b32_e64 v29, v11, v13, s7
	v_cndmask_b32_e64 v30, v12, v14, s7
	;; [unrolled: 1-line block ×4, first 2 shown]
	v_cmp_lt_i32_e64 s7, -1, v26
	v_cndmask_b32_e64 v31, v18, v16, s8
	v_cndmask_b32_e64 v14, v16, v18, s8
	;; [unrolled: 1-line block ×4, first 2 shown]
	v_cndmask_b32_e64 v16, -1, 0xffff8000, s7
	v_cmp_lt_i32_e64 s7, -1, v28
	v_perm_b32 v26, v28, v26, 0x7060302
	v_cndmask_b32_e64 v33, v13, v11, s9
	v_cndmask_b32_e64 v18, v12, v14, s9
	;; [unrolled: 1-line block ×3, first 2 shown]
	v_cndmask_b32_e64 v17, -1, 0xffff8000, s7
	v_cndmask_b32_e64 v34, v14, v12, s9
	v_cndmask_b32_e64 v14, v18, v30, s10
	;; [unrolled: 1-line block ×3, first 2 shown]
	v_perm_b32 v16, v17, v16, 0x5040100
	v_cndmask_b32_e64 v12, v30, v18, s10
	v_cndmask_b32_e64 v11, v29, v11, s10
	;; [unrolled: 1-line block ×4, first 2 shown]
	v_xor_b32_e32 v26, v16, v26
	v_cndmask_b32_e64 v16, v34, v31, s11
	v_cndmask_b32_e64 v15, v33, v15, s11
	v_mov_b32_e32 v33, v27
	v_cmp_gt_u16_sdwa s8, v26, v26 src0_sel:DWORD src1_sel:WORD_1
	s_and_saveexec_b32 s7, s8
	s_cbranch_execz .LBB2067_64
; %bb.63:
	v_mov_b32_e32 v48, v11
	v_mov_b32_e32 v49, v12
	;; [unrolled: 1-line block ×18, first 2 shown]
.LBB2067_64:
	s_or_b32 exec_lo, exec_lo, s7
	v_cndmask_b32_e64 v34, v25, v24, s11
	v_cndmask_b32_e64 v35, v5, v9, s10
.LBB2067_65:
	s_or_b32 exec_lo, exec_lo, s13
	v_and_b32_e32 v4, 0xffffff80, v4
	v_or_b32_e32 v9, 4, v23
	v_mov_b32_e32 v5, 0
	v_and_b32_e32 v37, 0x78, v23
	s_mov_b32 s8, exec_lo
	v_sub_nc_u32_e64 v24, 0x400, v4 clamp
	v_lshlrev_b64 v[25:26], 3, v[4:5]
	v_lshlrev_b64 v[26:27], 1, v[4:5]
	v_min_u32_e32 v31, v24, v9
	v_and_b32_e32 v9, 4, v23
	v_add_co_u32 v4, null, v10, v25
	v_add_nc_u32_e32 v28, 4, v31
	v_min_u32_e32 v38, v24, v9
	v_add_co_u32 v9, null, v10, v26
	v_add_co_u32 v4, null, 0x800, v4
	v_min_u32_e32 v36, v24, v28
	v_sub_nc_u32_e32 v27, v31, v37
	v_lshl_add_u32 v10, v23, 1, v9
	v_lshl_add_u32 v25, v23, 3, v4
	ds_write_b16 v10, v35
	ds_write_b16 v10, v32 offset:2
	ds_write2_b64 v25, v[11:12], v[13:14] offset1:1
	ds_write_b16 v10, v33 offset:4
	ds_write_b16 v10, v34 offset:6
	ds_write2_b64 v25, v[15:16], v[17:18] offset0:2 offset1:3
	v_sub_nc_u32_e32 v26, v36, v31
	; wave barrier
	v_sub_nc_u32_e64 v39, v38, v26 clamp
	v_min_u32_e32 v26, v38, v27
	v_cmpx_lt_u32_e64 v39, v26
	s_cbranch_execz .LBB2067_80
; %bb.66:
	v_lshlrev_b32_e32 v27, 1, v37
	v_lshlrev_b32_e32 v28, 1, v31
	s_mov_b32 s9, 0
	v_add_co_u32 v27, null, v9, v27
	v_add_co_u32 v28, null, v9, v28
	s_branch .LBB2067_68
.LBB2067_67:                            ;   in Loop: Header=BB2067_68 Depth=1
	s_or_b32 exec_lo, exec_lo, s10
	v_cmp_lt_i32_e64 s7, -1, v30
	v_cndmask_b32_e64 v49, -1, 0xffff8000, s7
	v_cmp_lt_i32_e64 s7, -1, v48
	v_xor_b32_sdwa v30, v49, v30 dst_sel:DWORD dst_unused:UNUSED_PAD src0_sel:DWORD src1_sel:WORD_1
	v_cndmask_b32_e64 v50, -1, 0xffff8000, s7
	v_add_nc_u32_e32 v49, 1, v29
	v_xor_b32_sdwa v48, v50, v48 dst_sel:DWORD dst_unused:UNUSED_PAD src0_sel:DWORD src1_sel:WORD_1
	v_cmp_gt_u16_e64 s7, v30, v48
	v_cndmask_b32_e64 v26, v26, v29, s7
	v_cndmask_b32_e64 v39, v49, v39, s7
	v_cmp_ge_u32_e64 s7, v39, v26
	s_or_b32 s9, s7, s9
	s_andn2_b32 exec_lo, exec_lo, s9
	s_cbranch_execz .LBB2067_79
.LBB2067_68:                            ; =>This Inner Loop Header: Depth=1
	v_add_nc_u32_e32 v29, v26, v39
	v_and_b32_e32 v30, -2, v29
	v_lshrrev_b32_e32 v29, 1, v29
	v_add_nc_u32_e32 v30, v27, v30
	v_xad_u32 v48, v29, -1, v38
	ds_read_u16 v30, v30
	v_lshl_add_u32 v48, v48, 1, v28
	ds_read_u16 v48, v48
	s_waitcnt lgkmcnt(1)
	v_lshlrev_b32_e32 v30, 16, v30
	v_add_f32_e32 v49, 0, v30
	v_and_b32_e32 v30, 0x7f800000, v49
	v_cmp_ne_u32_e64 s7, 0x7f800000, v30
                                        ; implicit-def: $vgpr30
	s_and_saveexec_b32 s10, s7
	s_xor_b32 s7, exec_lo, s10
; %bb.69:                               ;   in Loop: Header=BB2067_68 Depth=1
	v_bfe_u32 v30, v49, 16, 1
	v_add3_u32 v30, v49, v30, 0x7fff
                                        ; implicit-def: $vgpr49
; %bb.70:                               ;   in Loop: Header=BB2067_68 Depth=1
	s_andn2_saveexec_b32 s10, s7
; %bb.71:                               ;   in Loop: Header=BB2067_68 Depth=1
	v_or_b32_e32 v30, 0x10000, v49
	v_cmp_eq_u32_sdwa s7, v49, v5 src0_sel:WORD_0 src1_sel:DWORD
	v_cndmask_b32_e64 v30, v30, v49, s7
; %bb.72:                               ;   in Loop: Header=BB2067_68 Depth=1
	s_or_b32 exec_lo, exec_lo, s10
	s_waitcnt lgkmcnt(0)
	v_lshlrev_b32_e32 v48, 16, v48
	v_add_f32_e32 v49, 0, v48
	v_and_b32_e32 v48, 0x7f800000, v49
	v_cmp_ne_u32_e64 s7, 0x7f800000, v48
                                        ; implicit-def: $vgpr48
	s_and_saveexec_b32 s10, s7
	s_xor_b32 s7, exec_lo, s10
; %bb.73:                               ;   in Loop: Header=BB2067_68 Depth=1
	v_bfe_u32 v48, v49, 16, 1
	v_add3_u32 v48, v49, v48, 0x7fff
                                        ; implicit-def: $vgpr49
; %bb.74:                               ;   in Loop: Header=BB2067_68 Depth=1
	s_andn2_saveexec_b32 s10, s7
	s_cbranch_execz .LBB2067_67
; %bb.75:                               ;   in Loop: Header=BB2067_68 Depth=1
	v_or_b32_e32 v48, 0x10000, v49
	v_cmp_eq_u32_sdwa s7, v49, v5 src0_sel:WORD_0 src1_sel:DWORD
	v_cndmask_b32_e64 v48, v48, v49, s7
	s_branch .LBB2067_67
.LBB2067_76:
	flat_load_dwordx2 v[48:49], v[4:5]
	v_mov_b32_e32 v50, v11
	v_mov_b32_e32 v51, v11
	;; [unrolled: 1-line block ×6, first 2 shown]
	s_waitcnt vmcnt(0) lgkmcnt(0)
	v_mov_b32_e32 v11, v48
	v_mov_b32_e32 v12, v49
	v_mov_b32_e32 v13, v50
	v_mov_b32_e32 v14, v51
	v_mov_b32_e32 v15, v52
	v_mov_b32_e32 v16, v53
	v_mov_b32_e32 v17, v54
	v_mov_b32_e32 v18, v55
	s_or_b32 exec_lo, exec_lo, s7
	s_and_saveexec_b32 s7, s4
	s_cbranch_execz .LBB2067_10
.LBB2067_77:
	flat_load_dwordx2 v[13:14], v[4:5] offset:8
	s_or_b32 exec_lo, exec_lo, s7
	s_and_saveexec_b32 s7, s5
	s_cbranch_execz .LBB2067_11
.LBB2067_78:
	flat_load_dwordx2 v[15:16], v[4:5] offset:16
	s_or_b32 exec_lo, exec_lo, s7
	s_and_saveexec_b32 s7, s6
	s_cbranch_execnz .LBB2067_12
	s_branch .LBB2067_13
.LBB2067_79:
	s_or_b32 exec_lo, exec_lo, s9
.LBB2067_80:
	s_or_b32 exec_lo, exec_lo, s8
	v_add_nc_u32_e32 v38, v31, v38
	v_add_nc_u32_e32 v37, v39, v37
	;; [unrolled: 1-line block ×5, first 2 shown]
	v_sub_nc_u32_e32 v38, v38, v39
	v_cmp_le_u32_e64 s7, v37, v31
	v_add_nc_u32_e32 v29, 16, v25
	v_add_nc_u32_e32 v28, 6, v10
	;; [unrolled: 1-line block ×3, first 2 shown]
	v_cmp_le_u32_e64 s8, v38, v36
	s_or_b32 s7, s7, s8
	s_and_saveexec_b32 s9, s7
	s_cbranch_execz .LBB2067_132
; %bb.81:
	v_cmp_ge_u32_e64 s7, v37, v31
	s_mov_b32 s10, exec_lo
                                        ; implicit-def: $vgpr34
	v_cmpx_lt_u32_e64 v37, v31
; %bb.82:
	v_lshl_add_u32 v11, v37, 1, v9
	ds_read_u16 v34, v11
; %bb.83:
	s_or_b32 exec_lo, exec_lo, s10
	v_cmp_ge_u32_e64 s10, v38, v36
	s_mov_b32 s11, exec_lo
                                        ; implicit-def: $vgpr35
	v_cmpx_lt_u32_e64 v38, v36
; %bb.84:
	v_lshl_add_u32 v11, v38, 1, v9
	ds_read_u16 v35, v11
; %bb.85:
	s_or_b32 exec_lo, exec_lo, s11
	s_nor_b32 s7, s7, s10
	s_and_saveexec_b32 s8, s7
	s_cbranch_execz .LBB2067_95
; %bb.86:
	s_waitcnt lgkmcnt(0)
	v_lshlrev_b32_e32 v11, 16, v34
	v_add_f32_e32 v12, 0, v11
	v_and_b32_e32 v11, 0x7f800000, v12
	v_cmp_ne_u32_e64 s7, 0x7f800000, v11
                                        ; implicit-def: $vgpr11
	s_and_saveexec_b32 s11, s7
	s_xor_b32 s7, exec_lo, s11
; %bb.87:
	v_bfe_u32 v11, v12, 16, 1
	v_add3_u32 v11, v12, v11, 0x7fff
                                        ; implicit-def: $vgpr12
; %bb.88:
	s_andn2_saveexec_b32 s11, s7
; %bb.89:
	v_mov_b32_e32 v11, 0
	v_or_b32_e32 v13, 0x10000, v12
	v_cmp_eq_u32_sdwa s7, v12, v11 src0_sel:WORD_0 src1_sel:DWORD
	v_cndmask_b32_e64 v11, v13, v12, s7
; %bb.90:
	s_or_b32 exec_lo, exec_lo, s11
	v_lshlrev_b32_e32 v12, 16, v35
	v_add_f32_e32 v13, 0, v12
	v_and_b32_e32 v12, 0x7f800000, v13
	v_cmp_ne_u32_e64 s7, 0x7f800000, v12
                                        ; implicit-def: $vgpr12
	s_and_saveexec_b32 s11, s7
	s_xor_b32 s7, exec_lo, s11
; %bb.91:
	v_bfe_u32 v12, v13, 16, 1
	v_add3_u32 v12, v13, v12, 0x7fff
                                        ; implicit-def: $vgpr13
; %bb.92:
	s_andn2_saveexec_b32 s11, s7
; %bb.93:
	v_mov_b32_e32 v12, 0
	v_or_b32_e32 v14, 0x10000, v13
	v_cmp_eq_u32_sdwa s7, v13, v12 src0_sel:WORD_0 src1_sel:DWORD
	v_cndmask_b32_e64 v12, v14, v13, s7
; %bb.94:
	s_or_b32 exec_lo, exec_lo, s11
	v_cmp_lt_i32_e64 s7, -1, v11
	v_perm_b32 v11, v12, v11, 0x7060302
	s_andn2_b32 s10, s10, exec_lo
	v_cndmask_b32_e64 v13, -1, 0xffff8000, s7
	v_cmp_lt_i32_e64 s7, -1, v12
	v_cndmask_b32_e64 v14, -1, 0xffff8000, s7
	v_perm_b32 v12, v14, v13, 0x5040100
	v_xor_b32_e32 v11, v12, v11
	v_cmp_le_u16_sdwa s7, v11, v11 src0_sel:DWORD src1_sel:WORD_1
	s_and_b32 s7, s7, exec_lo
	s_or_b32 s10, s10, s7
.LBB2067_95:
	s_or_b32 exec_lo, exec_lo, s8
	v_cndmask_b32_e64 v11, v38, v37, s10
	v_cndmask_b32_e64 v12, v36, v31, s10
	s_mov_b32 s11, -1
	s_mov_b32 s8, -1
	s_mov_b32 s12, exec_lo
	v_add_nc_u32_e32 v13, 1, v11
	v_add_nc_u32_e32 v12, -1, v12
	v_lshl_add_u32 v11, v11, 3, v4
	v_cndmask_b32_e64 v15, v13, v38, s10
	v_min_u32_e32 v12, v13, v12
	v_cndmask_b32_e64 v16, v37, v13, s10
	v_lshl_add_u32 v12, v12, 1, v9
	ds_read_u16 v14, v12
	ds_read_b64 v[11:12], v11
	s_waitcnt lgkmcnt(1)
	v_cndmask_b32_e64 v32, v14, v35, s10
	v_cndmask_b32_e64 v37, v34, v14, s10
	v_cmpx_lt_u32_e64 v15, v36
	s_cbranch_execz .LBB2067_107
; %bb.96:
	s_mov_b32 s13, 0
	s_mov_b32 s8, exec_lo
	v_cmpx_lt_u32_e64 v16, v31
	s_cbranch_execz .LBB2067_106
; %bb.97:
	v_lshlrev_b32_e32 v13, 16, v37
	v_add_f32_e32 v14, 0, v13
	v_and_b32_e32 v13, 0x7f800000, v14
	v_cmp_ne_u32_e64 s7, 0x7f800000, v13
                                        ; implicit-def: $vgpr13
	s_and_saveexec_b32 s13, s7
	s_xor_b32 s7, exec_lo, s13
; %bb.98:
	v_bfe_u32 v13, v14, 16, 1
	v_add3_u32 v13, v14, v13, 0x7fff
                                        ; implicit-def: $vgpr14
; %bb.99:
	s_andn2_saveexec_b32 s13, s7
; %bb.100:
	v_mov_b32_e32 v13, 0
	v_or_b32_e32 v17, 0x10000, v14
	v_cmp_eq_u32_sdwa s7, v14, v13 src0_sel:WORD_0 src1_sel:DWORD
	v_cndmask_b32_e64 v13, v17, v14, s7
; %bb.101:
	s_or_b32 exec_lo, exec_lo, s13
	v_lshlrev_b32_e32 v14, 16, v32
	v_add_f32_e32 v17, 0, v14
	v_and_b32_e32 v14, 0x7f800000, v17
	v_cmp_ne_u32_e64 s7, 0x7f800000, v14
                                        ; implicit-def: $vgpr14
	s_and_saveexec_b32 s13, s7
	s_xor_b32 s7, exec_lo, s13
; %bb.102:
	v_bfe_u32 v14, v17, 16, 1
	v_add3_u32 v14, v17, v14, 0x7fff
                                        ; implicit-def: $vgpr17
; %bb.103:
	s_andn2_saveexec_b32 s13, s7
; %bb.104:
	v_mov_b32_e32 v14, 0
	v_or_b32_e32 v18, 0x10000, v17
	v_cmp_eq_u32_sdwa s7, v17, v14 src0_sel:WORD_0 src1_sel:DWORD
	v_cndmask_b32_e64 v14, v18, v17, s7
; %bb.105:
	s_or_b32 exec_lo, exec_lo, s13
	v_cmp_lt_i32_e64 s7, -1, v13
	v_perm_b32 v13, v14, v13, 0x7060302
	v_cndmask_b32_e64 v17, -1, 0xffff8000, s7
	v_cmp_lt_i32_e64 s7, -1, v14
	v_cndmask_b32_e64 v18, -1, 0xffff8000, s7
	v_perm_b32 v14, v18, v17, 0x5040100
	v_xor_b32_e32 v13, v14, v13
	v_cmp_le_u16_sdwa s7, v13, v13 src0_sel:DWORD src1_sel:WORD_1
	s_and_b32 s13, s7, exec_lo
.LBB2067_106:
	s_or_b32 exec_lo, exec_lo, s8
	s_orn2_b32 s8, s13, exec_lo
.LBB2067_107:
	s_or_b32 exec_lo, exec_lo, s12
	v_cndmask_b32_e64 v13, v15, v16, s8
	v_cndmask_b32_e64 v14, v36, v31, s8
	s_mov_b32 s12, exec_lo
	v_add_nc_u32_e32 v18, 1, v13
	v_add_nc_u32_e32 v14, -1, v14
	v_lshl_add_u32 v13, v13, 3, v4
	v_cndmask_b32_e64 v17, v18, v15, s8
	v_min_u32_e32 v14, v18, v14
	v_cndmask_b32_e64 v18, v16, v18, s8
	v_lshl_add_u32 v14, v14, 1, v9
	ds_read_u16 v38, v14
	ds_read_b64 v[13:14], v13
	s_waitcnt lgkmcnt(1)
	v_cndmask_b32_e64 v33, v38, v32, s8
	v_cndmask_b32_e64 v38, v37, v38, s8
	v_cmpx_lt_u32_e64 v17, v36
	s_cbranch_execz .LBB2067_119
; %bb.108:
	s_mov_b32 s13, 0
	s_mov_b32 s11, exec_lo
	v_cmpx_lt_u32_e64 v18, v31
	s_cbranch_execz .LBB2067_118
; %bb.109:
	v_lshlrev_b32_e32 v15, 16, v38
	v_add_f32_e32 v16, 0, v15
	v_and_b32_e32 v15, 0x7f800000, v16
	v_cmp_ne_u32_e64 s7, 0x7f800000, v15
                                        ; implicit-def: $vgpr15
	s_and_saveexec_b32 s13, s7
	s_xor_b32 s7, exec_lo, s13
; %bb.110:
	v_bfe_u32 v15, v16, 16, 1
	v_add3_u32 v15, v16, v15, 0x7fff
                                        ; implicit-def: $vgpr16
; %bb.111:
	s_andn2_saveexec_b32 s13, s7
; %bb.112:
	v_mov_b32_e32 v15, 0
	v_or_b32_e32 v39, 0x10000, v16
	v_cmp_eq_u32_sdwa s7, v16, v15 src0_sel:WORD_0 src1_sel:DWORD
	v_cndmask_b32_e64 v15, v39, v16, s7
; %bb.113:
	s_or_b32 exec_lo, exec_lo, s13
	v_lshlrev_b32_e32 v16, 16, v33
	v_add_f32_e32 v39, 0, v16
	v_and_b32_e32 v16, 0x7f800000, v39
	v_cmp_ne_u32_e64 s7, 0x7f800000, v16
                                        ; implicit-def: $vgpr16
	s_and_saveexec_b32 s13, s7
	s_xor_b32 s7, exec_lo, s13
; %bb.114:
	v_bfe_u32 v16, v39, 16, 1
	v_add3_u32 v16, v39, v16, 0x7fff
                                        ; implicit-def: $vgpr39
; %bb.115:
	s_andn2_saveexec_b32 s13, s7
; %bb.116:
	v_mov_b32_e32 v16, 0
	v_or_b32_e32 v48, 0x10000, v39
	v_cmp_eq_u32_sdwa s7, v39, v16 src0_sel:WORD_0 src1_sel:DWORD
	v_cndmask_b32_e64 v16, v48, v39, s7
; %bb.117:
	s_or_b32 exec_lo, exec_lo, s13
	v_cmp_lt_i32_e64 s7, -1, v15
	v_perm_b32 v15, v16, v15, 0x7060302
	v_cndmask_b32_e64 v39, -1, 0xffff8000, s7
	v_cmp_lt_i32_e64 s7, -1, v16
	v_cndmask_b32_e64 v48, -1, 0xffff8000, s7
	v_perm_b32 v16, v48, v39, 0x5040100
	v_xor_b32_e32 v15, v16, v15
	v_cmp_le_u16_sdwa s7, v15, v15 src0_sel:DWORD src1_sel:WORD_1
	s_and_b32 s13, s7, exec_lo
.LBB2067_118:
	s_or_b32 exec_lo, exec_lo, s11
	s_orn2_b32 s11, s13, exec_lo
.LBB2067_119:
	s_or_b32 exec_lo, exec_lo, s12
	v_cndmask_b32_e64 v15, v17, v18, s11
	v_cndmask_b32_e64 v16, v36, v31, s11
	s_mov_b32 s13, -1
	s_mov_b32 s12, exec_lo
	v_add_nc_u32_e32 v39, 1, v15
	v_add_nc_u32_e32 v16, -1, v16
	v_lshl_add_u32 v15, v15, 3, v4
	v_cndmask_b32_e64 v17, v39, v17, s11
	v_min_u32_e32 v16, v39, v16
	v_cndmask_b32_e64 v18, v18, v39, s11
	v_lshl_add_u32 v16, v16, 1, v9
	ds_read_u16 v48, v16
	ds_read_b64 v[15:16], v15
	s_waitcnt lgkmcnt(1)
	v_cndmask_b32_e64 v39, v48, v33, s11
	v_cndmask_b32_e64 v48, v38, v48, s11
	v_cmpx_lt_u32_e64 v17, v36
	s_cbranch_execz .LBB2067_131
; %bb.120:
	s_mov_b32 s14, 0
	s_mov_b32 s13, exec_lo
	v_cmpx_lt_u32_e64 v18, v31
	s_cbranch_execz .LBB2067_130
; %bb.121:
	v_lshlrev_b32_e32 v31, 16, v48
	v_add_f32_e32 v36, 0, v31
	v_and_b32_e32 v31, 0x7f800000, v36
	v_cmp_ne_u32_e64 s7, 0x7f800000, v31
                                        ; implicit-def: $vgpr31
	s_and_saveexec_b32 s14, s7
	s_xor_b32 s7, exec_lo, s14
; %bb.122:
	v_bfe_u32 v31, v36, 16, 1
	v_add3_u32 v31, v36, v31, 0x7fff
                                        ; implicit-def: $vgpr36
; %bb.123:
	s_andn2_saveexec_b32 s14, s7
; %bb.124:
	v_mov_b32_e32 v31, 0
	v_or_b32_e32 v49, 0x10000, v36
	v_cmp_eq_u32_sdwa s7, v36, v31 src0_sel:WORD_0 src1_sel:DWORD
	v_cndmask_b32_e64 v31, v49, v36, s7
; %bb.125:
	s_or_b32 exec_lo, exec_lo, s14
	v_lshlrev_b32_e32 v36, 16, v39
	v_add_f32_e32 v49, 0, v36
	v_and_b32_e32 v36, 0x7f800000, v49
	v_cmp_ne_u32_e64 s7, 0x7f800000, v36
                                        ; implicit-def: $vgpr36
	s_and_saveexec_b32 s14, s7
	s_xor_b32 s7, exec_lo, s14
; %bb.126:
	v_bfe_u32 v36, v49, 16, 1
	v_add3_u32 v36, v49, v36, 0x7fff
                                        ; implicit-def: $vgpr49
; %bb.127:
	s_andn2_saveexec_b32 s14, s7
; %bb.128:
	v_mov_b32_e32 v36, 0
	v_or_b32_e32 v50, 0x10000, v49
	v_cmp_eq_u32_sdwa s7, v49, v36 src0_sel:WORD_0 src1_sel:DWORD
	v_cndmask_b32_e64 v36, v50, v49, s7
; %bb.129:
	s_or_b32 exec_lo, exec_lo, s14
	v_cmp_lt_i32_e64 s7, -1, v31
	v_perm_b32 v31, v36, v31, 0x7060302
	v_cndmask_b32_e64 v49, -1, 0xffff8000, s7
	v_cmp_lt_i32_e64 s7, -1, v36
	v_cndmask_b32_e64 v50, -1, 0xffff8000, s7
	v_perm_b32 v36, v50, v49, 0x5040100
	v_xor_b32_e32 v31, v36, v31
	v_cmp_le_u16_sdwa s7, v31, v31 src0_sel:DWORD src1_sel:WORD_1
	s_and_b32 s14, s7, exec_lo
.LBB2067_130:
	s_or_b32 exec_lo, exec_lo, s13
	s_orn2_b32 s13, s14, exec_lo
.LBB2067_131:
	s_or_b32 exec_lo, exec_lo, s12
	v_cndmask_b32_e64 v17, v17, v18, s13
	v_cndmask_b32_e64 v33, v33, v38, s11
	;; [unrolled: 1-line block ×5, first 2 shown]
	v_lshl_add_u32 v17, v17, 3, v4
	ds_read_b64 v[17:18], v17
.LBB2067_132:
	s_or_b32 exec_lo, exec_lo, s9
	v_and_b32_e32 v37, 0x70, v23
	v_and_b32_e32 v38, 12, v23
	s_mov_b32 s8, exec_lo
	; wave barrier
	v_or_b32_e32 v31, 8, v37
	v_min_u32_e32 v38, v24, v38
	ds_write_b16 v10, v35
	ds_write_b64 v25, v[11:12]
	ds_write_b16 v5, v32
	ds_write_b64 v26, v[13:14]
	ds_write_b16 v27, v33
	s_waitcnt lgkmcnt(6)
	ds_write_b64 v29, v[15:16]
	ds_write_b16 v28, v34
	s_waitcnt lgkmcnt(7)
	ds_write_b64 v30, v[17:18]
	v_min_u32_e32 v31, v24, v31
	; wave barrier
	v_add_nc_u32_e32 v36, 8, v31
	v_sub_nc_u32_e32 v48, v31, v37
	v_min_u32_e32 v36, v24, v36
	v_min_u32_e32 v48, v38, v48
	v_sub_nc_u32_e32 v39, v36, v31
	v_sub_nc_u32_e64 v39, v38, v39 clamp
	v_cmpx_lt_u32_e64 v39, v48
	s_cbranch_execz .LBB2067_144
; %bb.133:
	v_lshlrev_b32_e32 v49, 1, v37
	v_lshlrev_b32_e32 v50, 1, v31
	v_mov_b32_e32 v51, 0
	s_mov_b32 s9, 0
	v_add_co_u32 v49, null, v9, v49
	v_add_co_u32 v50, null, v9, v50
	s_branch .LBB2067_135
.LBB2067_134:                           ;   in Loop: Header=BB2067_135 Depth=1
	s_or_b32 exec_lo, exec_lo, s10
	v_cmp_lt_i32_e64 s7, -1, v53
	v_cndmask_b32_e64 v55, -1, 0xffff8000, s7
	v_cmp_lt_i32_e64 s7, -1, v54
	v_xor_b32_sdwa v53, v55, v53 dst_sel:DWORD dst_unused:UNUSED_PAD src0_sel:DWORD src1_sel:WORD_1
	v_cndmask_b32_e64 v64, -1, 0xffff8000, s7
	v_add_nc_u32_e32 v55, 1, v52
	v_xor_b32_sdwa v54, v64, v54 dst_sel:DWORD dst_unused:UNUSED_PAD src0_sel:DWORD src1_sel:WORD_1
	v_cmp_gt_u16_e64 s7, v53, v54
	v_cndmask_b32_e64 v48, v48, v52, s7
	v_cndmask_b32_e64 v39, v55, v39, s7
	v_cmp_ge_u32_e64 s7, v39, v48
	s_or_b32 s9, s7, s9
	s_andn2_b32 exec_lo, exec_lo, s9
	s_cbranch_execz .LBB2067_143
.LBB2067_135:                           ; =>This Inner Loop Header: Depth=1
	v_add_nc_u32_e32 v52, v48, v39
	v_and_b32_e32 v53, -2, v52
	v_lshrrev_b32_e32 v52, 1, v52
	v_add_nc_u32_e32 v53, v49, v53
	v_xad_u32 v54, v52, -1, v38
	ds_read_u16 v53, v53
	v_lshl_add_u32 v54, v54, 1, v50
	ds_read_u16 v54, v54
	s_waitcnt lgkmcnt(1)
	v_lshlrev_b32_e32 v53, 16, v53
	v_add_f32_e32 v55, 0, v53
	v_and_b32_e32 v53, 0x7f800000, v55
	v_cmp_ne_u32_e64 s7, 0x7f800000, v53
                                        ; implicit-def: $vgpr53
	s_and_saveexec_b32 s10, s7
	s_xor_b32 s7, exec_lo, s10
; %bb.136:                              ;   in Loop: Header=BB2067_135 Depth=1
	v_bfe_u32 v53, v55, 16, 1
	v_add3_u32 v53, v55, v53, 0x7fff
                                        ; implicit-def: $vgpr55
; %bb.137:                              ;   in Loop: Header=BB2067_135 Depth=1
	s_andn2_saveexec_b32 s10, s7
; %bb.138:                              ;   in Loop: Header=BB2067_135 Depth=1
	v_or_b32_e32 v53, 0x10000, v55
	v_cmp_eq_u32_sdwa s7, v55, v51 src0_sel:WORD_0 src1_sel:DWORD
	v_cndmask_b32_e64 v53, v53, v55, s7
; %bb.139:                              ;   in Loop: Header=BB2067_135 Depth=1
	s_or_b32 exec_lo, exec_lo, s10
	s_waitcnt lgkmcnt(0)
	v_lshlrev_b32_e32 v54, 16, v54
	v_add_f32_e32 v55, 0, v54
	v_and_b32_e32 v54, 0x7f800000, v55
	v_cmp_ne_u32_e64 s7, 0x7f800000, v54
                                        ; implicit-def: $vgpr54
	s_and_saveexec_b32 s10, s7
	s_xor_b32 s7, exec_lo, s10
; %bb.140:                              ;   in Loop: Header=BB2067_135 Depth=1
	v_bfe_u32 v54, v55, 16, 1
	v_add3_u32 v54, v55, v54, 0x7fff
                                        ; implicit-def: $vgpr55
; %bb.141:                              ;   in Loop: Header=BB2067_135 Depth=1
	s_andn2_saveexec_b32 s10, s7
	s_cbranch_execz .LBB2067_134
; %bb.142:                              ;   in Loop: Header=BB2067_135 Depth=1
	v_or_b32_e32 v54, 0x10000, v55
	v_cmp_eq_u32_sdwa s7, v55, v51 src0_sel:WORD_0 src1_sel:DWORD
	v_cndmask_b32_e64 v54, v54, v55, s7
	s_branch .LBB2067_134
.LBB2067_143:
	s_or_b32 exec_lo, exec_lo, s9
.LBB2067_144:
	s_or_b32 exec_lo, exec_lo, s8
	v_add_nc_u32_e32 v38, v31, v38
	v_add_nc_u32_e32 v37, v39, v37
	v_sub_nc_u32_e32 v38, v38, v39
	v_cmp_le_u32_e64 s7, v37, v31
	v_cmp_le_u32_e64 s8, v38, v36
	s_or_b32 s7, s7, s8
	s_and_saveexec_b32 s9, s7
	s_cbranch_execz .LBB2067_196
; %bb.145:
	v_cmp_ge_u32_e64 s7, v37, v31
	s_mov_b32 s10, exec_lo
                                        ; implicit-def: $vgpr34
	v_cmpx_lt_u32_e64 v37, v31
; %bb.146:
	v_lshl_add_u32 v11, v37, 1, v9
	ds_read_u16 v34, v11
; %bb.147:
	s_or_b32 exec_lo, exec_lo, s10
	v_cmp_ge_u32_e64 s10, v38, v36
	s_mov_b32 s11, exec_lo
                                        ; implicit-def: $vgpr35
	v_cmpx_lt_u32_e64 v38, v36
; %bb.148:
	v_lshl_add_u32 v11, v38, 1, v9
	ds_read_u16 v35, v11
; %bb.149:
	s_or_b32 exec_lo, exec_lo, s11
	s_nor_b32 s7, s7, s10
	s_and_saveexec_b32 s8, s7
	s_cbranch_execz .LBB2067_159
; %bb.150:
	s_waitcnt lgkmcnt(0)
	v_lshlrev_b32_e32 v11, 16, v34
	v_add_f32_e32 v12, 0, v11
	v_and_b32_e32 v11, 0x7f800000, v12
	v_cmp_ne_u32_e64 s7, 0x7f800000, v11
                                        ; implicit-def: $vgpr11
	s_and_saveexec_b32 s11, s7
	s_xor_b32 s7, exec_lo, s11
; %bb.151:
	v_bfe_u32 v11, v12, 16, 1
	v_add3_u32 v11, v12, v11, 0x7fff
                                        ; implicit-def: $vgpr12
; %bb.152:
	s_andn2_saveexec_b32 s11, s7
; %bb.153:
	v_mov_b32_e32 v11, 0
	v_or_b32_e32 v13, 0x10000, v12
	v_cmp_eq_u32_sdwa s7, v12, v11 src0_sel:WORD_0 src1_sel:DWORD
	v_cndmask_b32_e64 v11, v13, v12, s7
; %bb.154:
	s_or_b32 exec_lo, exec_lo, s11
	v_lshlrev_b32_e32 v12, 16, v35
	v_add_f32_e32 v13, 0, v12
	v_and_b32_e32 v12, 0x7f800000, v13
	v_cmp_ne_u32_e64 s7, 0x7f800000, v12
                                        ; implicit-def: $vgpr12
	s_and_saveexec_b32 s11, s7
	s_xor_b32 s7, exec_lo, s11
; %bb.155:
	v_bfe_u32 v12, v13, 16, 1
	v_add3_u32 v12, v13, v12, 0x7fff
                                        ; implicit-def: $vgpr13
; %bb.156:
	s_andn2_saveexec_b32 s11, s7
; %bb.157:
	v_mov_b32_e32 v12, 0
	v_or_b32_e32 v14, 0x10000, v13
	v_cmp_eq_u32_sdwa s7, v13, v12 src0_sel:WORD_0 src1_sel:DWORD
	v_cndmask_b32_e64 v12, v14, v13, s7
; %bb.158:
	s_or_b32 exec_lo, exec_lo, s11
	v_cmp_lt_i32_e64 s7, -1, v11
	v_perm_b32 v11, v12, v11, 0x7060302
	s_andn2_b32 s10, s10, exec_lo
	v_cndmask_b32_e64 v13, -1, 0xffff8000, s7
	v_cmp_lt_i32_e64 s7, -1, v12
	v_cndmask_b32_e64 v14, -1, 0xffff8000, s7
	v_perm_b32 v12, v14, v13, 0x5040100
	v_xor_b32_e32 v11, v12, v11
	v_cmp_le_u16_sdwa s7, v11, v11 src0_sel:DWORD src1_sel:WORD_1
	s_and_b32 s7, s7, exec_lo
	s_or_b32 s10, s10, s7
.LBB2067_159:
	s_or_b32 exec_lo, exec_lo, s8
	v_cndmask_b32_e64 v11, v38, v37, s10
	v_cndmask_b32_e64 v12, v36, v31, s10
	s_mov_b32 s11, -1
	s_mov_b32 s8, -1
	s_mov_b32 s12, exec_lo
	v_add_nc_u32_e32 v13, 1, v11
	v_add_nc_u32_e32 v12, -1, v12
	v_lshl_add_u32 v11, v11, 3, v4
	v_cndmask_b32_e64 v15, v13, v38, s10
	v_min_u32_e32 v12, v13, v12
	v_cndmask_b32_e64 v16, v37, v13, s10
	v_lshl_add_u32 v12, v12, 1, v9
	ds_read_u16 v14, v12
	ds_read_b64 v[11:12], v11
	s_waitcnt lgkmcnt(1)
	v_cndmask_b32_e64 v32, v14, v35, s10
	v_cndmask_b32_e64 v37, v34, v14, s10
	v_cmpx_lt_u32_e64 v15, v36
	s_cbranch_execz .LBB2067_171
; %bb.160:
	s_mov_b32 s13, 0
	s_mov_b32 s8, exec_lo
	v_cmpx_lt_u32_e64 v16, v31
	s_cbranch_execz .LBB2067_170
; %bb.161:
	v_lshlrev_b32_e32 v13, 16, v37
	v_add_f32_e32 v14, 0, v13
	v_and_b32_e32 v13, 0x7f800000, v14
	v_cmp_ne_u32_e64 s7, 0x7f800000, v13
                                        ; implicit-def: $vgpr13
	s_and_saveexec_b32 s13, s7
	s_xor_b32 s7, exec_lo, s13
; %bb.162:
	v_bfe_u32 v13, v14, 16, 1
	v_add3_u32 v13, v14, v13, 0x7fff
                                        ; implicit-def: $vgpr14
; %bb.163:
	s_andn2_saveexec_b32 s13, s7
; %bb.164:
	v_mov_b32_e32 v13, 0
	v_or_b32_e32 v17, 0x10000, v14
	v_cmp_eq_u32_sdwa s7, v14, v13 src0_sel:WORD_0 src1_sel:DWORD
	v_cndmask_b32_e64 v13, v17, v14, s7
; %bb.165:
	s_or_b32 exec_lo, exec_lo, s13
	v_lshlrev_b32_e32 v14, 16, v32
	v_add_f32_e32 v17, 0, v14
	v_and_b32_e32 v14, 0x7f800000, v17
	v_cmp_ne_u32_e64 s7, 0x7f800000, v14
                                        ; implicit-def: $vgpr14
	s_and_saveexec_b32 s13, s7
	s_xor_b32 s7, exec_lo, s13
; %bb.166:
	v_bfe_u32 v14, v17, 16, 1
	v_add3_u32 v14, v17, v14, 0x7fff
                                        ; implicit-def: $vgpr17
; %bb.167:
	s_andn2_saveexec_b32 s13, s7
; %bb.168:
	v_mov_b32_e32 v14, 0
	v_or_b32_e32 v18, 0x10000, v17
	v_cmp_eq_u32_sdwa s7, v17, v14 src0_sel:WORD_0 src1_sel:DWORD
	v_cndmask_b32_e64 v14, v18, v17, s7
; %bb.169:
	s_or_b32 exec_lo, exec_lo, s13
	v_cmp_lt_i32_e64 s7, -1, v13
	v_perm_b32 v13, v14, v13, 0x7060302
	v_cndmask_b32_e64 v17, -1, 0xffff8000, s7
	v_cmp_lt_i32_e64 s7, -1, v14
	v_cndmask_b32_e64 v18, -1, 0xffff8000, s7
	v_perm_b32 v14, v18, v17, 0x5040100
	v_xor_b32_e32 v13, v14, v13
	v_cmp_le_u16_sdwa s7, v13, v13 src0_sel:DWORD src1_sel:WORD_1
	s_and_b32 s13, s7, exec_lo
.LBB2067_170:
	s_or_b32 exec_lo, exec_lo, s8
	s_orn2_b32 s8, s13, exec_lo
.LBB2067_171:
	s_or_b32 exec_lo, exec_lo, s12
	v_cndmask_b32_e64 v13, v15, v16, s8
	v_cndmask_b32_e64 v14, v36, v31, s8
	s_mov_b32 s12, exec_lo
	v_add_nc_u32_e32 v18, 1, v13
	v_add_nc_u32_e32 v14, -1, v14
	v_lshl_add_u32 v13, v13, 3, v4
	v_cndmask_b32_e64 v17, v18, v15, s8
	v_min_u32_e32 v14, v18, v14
	v_cndmask_b32_e64 v18, v16, v18, s8
	v_lshl_add_u32 v14, v14, 1, v9
	ds_read_u16 v38, v14
	ds_read_b64 v[13:14], v13
	s_waitcnt lgkmcnt(1)
	v_cndmask_b32_e64 v33, v38, v32, s8
	v_cndmask_b32_e64 v38, v37, v38, s8
	v_cmpx_lt_u32_e64 v17, v36
	s_cbranch_execz .LBB2067_183
; %bb.172:
	s_mov_b32 s13, 0
	s_mov_b32 s11, exec_lo
	v_cmpx_lt_u32_e64 v18, v31
	s_cbranch_execz .LBB2067_182
; %bb.173:
	v_lshlrev_b32_e32 v15, 16, v38
	v_add_f32_e32 v16, 0, v15
	v_and_b32_e32 v15, 0x7f800000, v16
	v_cmp_ne_u32_e64 s7, 0x7f800000, v15
                                        ; implicit-def: $vgpr15
	s_and_saveexec_b32 s13, s7
	s_xor_b32 s7, exec_lo, s13
; %bb.174:
	v_bfe_u32 v15, v16, 16, 1
	v_add3_u32 v15, v16, v15, 0x7fff
                                        ; implicit-def: $vgpr16
; %bb.175:
	s_andn2_saveexec_b32 s13, s7
; %bb.176:
	v_mov_b32_e32 v15, 0
	v_or_b32_e32 v39, 0x10000, v16
	v_cmp_eq_u32_sdwa s7, v16, v15 src0_sel:WORD_0 src1_sel:DWORD
	v_cndmask_b32_e64 v15, v39, v16, s7
; %bb.177:
	s_or_b32 exec_lo, exec_lo, s13
	v_lshlrev_b32_e32 v16, 16, v33
	v_add_f32_e32 v39, 0, v16
	v_and_b32_e32 v16, 0x7f800000, v39
	v_cmp_ne_u32_e64 s7, 0x7f800000, v16
                                        ; implicit-def: $vgpr16
	s_and_saveexec_b32 s13, s7
	s_xor_b32 s7, exec_lo, s13
; %bb.178:
	v_bfe_u32 v16, v39, 16, 1
	v_add3_u32 v16, v39, v16, 0x7fff
                                        ; implicit-def: $vgpr39
; %bb.179:
	s_andn2_saveexec_b32 s13, s7
; %bb.180:
	v_mov_b32_e32 v16, 0
	v_or_b32_e32 v48, 0x10000, v39
	v_cmp_eq_u32_sdwa s7, v39, v16 src0_sel:WORD_0 src1_sel:DWORD
	v_cndmask_b32_e64 v16, v48, v39, s7
; %bb.181:
	s_or_b32 exec_lo, exec_lo, s13
	v_cmp_lt_i32_e64 s7, -1, v15
	v_perm_b32 v15, v16, v15, 0x7060302
	v_cndmask_b32_e64 v39, -1, 0xffff8000, s7
	v_cmp_lt_i32_e64 s7, -1, v16
	v_cndmask_b32_e64 v48, -1, 0xffff8000, s7
	v_perm_b32 v16, v48, v39, 0x5040100
	v_xor_b32_e32 v15, v16, v15
	v_cmp_le_u16_sdwa s7, v15, v15 src0_sel:DWORD src1_sel:WORD_1
	s_and_b32 s13, s7, exec_lo
.LBB2067_182:
	s_or_b32 exec_lo, exec_lo, s11
	s_orn2_b32 s11, s13, exec_lo
.LBB2067_183:
	s_or_b32 exec_lo, exec_lo, s12
	v_cndmask_b32_e64 v15, v17, v18, s11
	v_cndmask_b32_e64 v16, v36, v31, s11
	s_mov_b32 s13, -1
	s_mov_b32 s12, exec_lo
	v_add_nc_u32_e32 v39, 1, v15
	v_add_nc_u32_e32 v16, -1, v16
	v_lshl_add_u32 v15, v15, 3, v4
	v_cndmask_b32_e64 v17, v39, v17, s11
	v_min_u32_e32 v16, v39, v16
	v_cndmask_b32_e64 v18, v18, v39, s11
	v_lshl_add_u32 v16, v16, 1, v9
	ds_read_u16 v48, v16
	ds_read_b64 v[15:16], v15
	s_waitcnt lgkmcnt(1)
	v_cndmask_b32_e64 v39, v48, v33, s11
	v_cndmask_b32_e64 v48, v38, v48, s11
	v_cmpx_lt_u32_e64 v17, v36
	s_cbranch_execz .LBB2067_195
; %bb.184:
	s_mov_b32 s14, 0
	s_mov_b32 s13, exec_lo
	v_cmpx_lt_u32_e64 v18, v31
	s_cbranch_execz .LBB2067_194
; %bb.185:
	v_lshlrev_b32_e32 v31, 16, v48
	v_add_f32_e32 v36, 0, v31
	v_and_b32_e32 v31, 0x7f800000, v36
	v_cmp_ne_u32_e64 s7, 0x7f800000, v31
                                        ; implicit-def: $vgpr31
	s_and_saveexec_b32 s14, s7
	s_xor_b32 s7, exec_lo, s14
; %bb.186:
	v_bfe_u32 v31, v36, 16, 1
	v_add3_u32 v31, v36, v31, 0x7fff
                                        ; implicit-def: $vgpr36
; %bb.187:
	s_andn2_saveexec_b32 s14, s7
; %bb.188:
	v_mov_b32_e32 v31, 0
	v_or_b32_e32 v49, 0x10000, v36
	v_cmp_eq_u32_sdwa s7, v36, v31 src0_sel:WORD_0 src1_sel:DWORD
	v_cndmask_b32_e64 v31, v49, v36, s7
; %bb.189:
	s_or_b32 exec_lo, exec_lo, s14
	v_lshlrev_b32_e32 v36, 16, v39
	v_add_f32_e32 v49, 0, v36
	v_and_b32_e32 v36, 0x7f800000, v49
	v_cmp_ne_u32_e64 s7, 0x7f800000, v36
                                        ; implicit-def: $vgpr36
	s_and_saveexec_b32 s14, s7
	s_xor_b32 s7, exec_lo, s14
; %bb.190:
	v_bfe_u32 v36, v49, 16, 1
	v_add3_u32 v36, v49, v36, 0x7fff
                                        ; implicit-def: $vgpr49
; %bb.191:
	s_andn2_saveexec_b32 s14, s7
; %bb.192:
	v_mov_b32_e32 v36, 0
	v_or_b32_e32 v50, 0x10000, v49
	v_cmp_eq_u32_sdwa s7, v49, v36 src0_sel:WORD_0 src1_sel:DWORD
	v_cndmask_b32_e64 v36, v50, v49, s7
; %bb.193:
	s_or_b32 exec_lo, exec_lo, s14
	v_cmp_lt_i32_e64 s7, -1, v31
	v_perm_b32 v31, v36, v31, 0x7060302
	v_cndmask_b32_e64 v49, -1, 0xffff8000, s7
	v_cmp_lt_i32_e64 s7, -1, v36
	v_cndmask_b32_e64 v50, -1, 0xffff8000, s7
	v_perm_b32 v36, v50, v49, 0x5040100
	v_xor_b32_e32 v31, v36, v31
	v_cmp_le_u16_sdwa s7, v31, v31 src0_sel:DWORD src1_sel:WORD_1
	s_and_b32 s14, s7, exec_lo
.LBB2067_194:
	s_or_b32 exec_lo, exec_lo, s13
	s_orn2_b32 s13, s14, exec_lo
.LBB2067_195:
	s_or_b32 exec_lo, exec_lo, s12
	v_cndmask_b32_e64 v17, v17, v18, s13
	v_cndmask_b32_e64 v33, v33, v38, s11
	;; [unrolled: 1-line block ×5, first 2 shown]
	v_lshl_add_u32 v17, v17, 3, v4
	ds_read_b64 v[17:18], v17
.LBB2067_196:
	s_or_b32 exec_lo, exec_lo, s9
	v_and_b32_e32 v36, 0x60, v23
	v_min_u32_e32 v22, v24, v22
	; wave barrier
	ds_write_b16 v10, v35
	ds_write_b64 v25, v[11:12]
	v_or_b32_e32 v23, 16, v36
	s_mov_b32 s8, exec_lo
	ds_write_b16 v5, v32
	ds_write_b64 v26, v[13:14]
	ds_write_b16 v27, v33
	s_waitcnt lgkmcnt(6)
	ds_write_b64 v29, v[15:16]
	ds_write_b16 v28, v34
	s_waitcnt lgkmcnt(7)
	ds_write_b64 v30, v[17:18]
	; wave barrier
	v_min_u32_e32 v23, v24, v23
	v_add_nc_u32_e32 v31, 16, v23
	v_sub_nc_u32_e32 v37, v23, v36
	v_min_u32_e32 v31, v24, v31
	v_sub_nc_u32_e32 v24, v31, v23
	v_sub_nc_u32_e64 v10, v22, v24 clamp
	v_min_u32_e32 v24, v22, v37
	v_cmpx_lt_u32_e64 v10, v24
	s_cbranch_execz .LBB2067_208
; %bb.197:
	v_lshlrev_b32_e32 v5, 1, v36
	v_lshlrev_b32_e32 v25, 1, v23
	v_mov_b32_e32 v26, 0
	s_mov_b32 s9, 0
	v_add_co_u32 v5, null, v9, v5
	v_add_co_u32 v25, null, v9, v25
	s_branch .LBB2067_199
.LBB2067_198:                           ;   in Loop: Header=BB2067_199 Depth=1
	s_or_b32 exec_lo, exec_lo, s10
	v_cmp_lt_i32_e64 s7, -1, v28
	v_cndmask_b32_e64 v30, -1, 0xffff8000, s7
	v_cmp_lt_i32_e64 s7, -1, v29
	v_xor_b32_sdwa v28, v30, v28 dst_sel:DWORD dst_unused:UNUSED_PAD src0_sel:DWORD src1_sel:WORD_1
	v_cndmask_b32_e64 v37, -1, 0xffff8000, s7
	v_add_nc_u32_e32 v30, 1, v27
	v_xor_b32_sdwa v29, v37, v29 dst_sel:DWORD dst_unused:UNUSED_PAD src0_sel:DWORD src1_sel:WORD_1
	v_cmp_gt_u16_e64 s7, v28, v29
	v_cndmask_b32_e64 v24, v24, v27, s7
	v_cndmask_b32_e64 v10, v30, v10, s7
	v_cmp_ge_u32_e64 s7, v10, v24
	s_or_b32 s9, s7, s9
	s_andn2_b32 exec_lo, exec_lo, s9
	s_cbranch_execz .LBB2067_207
.LBB2067_199:                           ; =>This Inner Loop Header: Depth=1
	v_add_nc_u32_e32 v27, v24, v10
	v_and_b32_e32 v28, -2, v27
	v_lshrrev_b32_e32 v27, 1, v27
	v_add_nc_u32_e32 v28, v5, v28
	v_xad_u32 v29, v27, -1, v22
	ds_read_u16 v28, v28
	v_lshl_add_u32 v29, v29, 1, v25
	ds_read_u16 v29, v29
	s_waitcnt lgkmcnt(1)
	v_lshlrev_b32_e32 v28, 16, v28
	v_add_f32_e32 v30, 0, v28
	v_and_b32_e32 v28, 0x7f800000, v30
	v_cmp_ne_u32_e64 s7, 0x7f800000, v28
                                        ; implicit-def: $vgpr28
	s_and_saveexec_b32 s10, s7
	s_xor_b32 s7, exec_lo, s10
; %bb.200:                              ;   in Loop: Header=BB2067_199 Depth=1
	v_bfe_u32 v28, v30, 16, 1
	v_add3_u32 v28, v30, v28, 0x7fff
                                        ; implicit-def: $vgpr30
; %bb.201:                              ;   in Loop: Header=BB2067_199 Depth=1
	s_andn2_saveexec_b32 s10, s7
; %bb.202:                              ;   in Loop: Header=BB2067_199 Depth=1
	v_or_b32_e32 v28, 0x10000, v30
	v_cmp_eq_u32_sdwa s7, v30, v26 src0_sel:WORD_0 src1_sel:DWORD
	v_cndmask_b32_e64 v28, v28, v30, s7
; %bb.203:                              ;   in Loop: Header=BB2067_199 Depth=1
	s_or_b32 exec_lo, exec_lo, s10
	s_waitcnt lgkmcnt(0)
	v_lshlrev_b32_e32 v29, 16, v29
	v_add_f32_e32 v30, 0, v29
	v_and_b32_e32 v29, 0x7f800000, v30
	v_cmp_ne_u32_e64 s7, 0x7f800000, v29
                                        ; implicit-def: $vgpr29
	s_and_saveexec_b32 s10, s7
	s_xor_b32 s7, exec_lo, s10
; %bb.204:                              ;   in Loop: Header=BB2067_199 Depth=1
	v_bfe_u32 v29, v30, 16, 1
	v_add3_u32 v29, v30, v29, 0x7fff
                                        ; implicit-def: $vgpr30
; %bb.205:                              ;   in Loop: Header=BB2067_199 Depth=1
	s_andn2_saveexec_b32 s10, s7
	s_cbranch_execz .LBB2067_198
; %bb.206:                              ;   in Loop: Header=BB2067_199 Depth=1
	v_or_b32_e32 v29, 0x10000, v30
	v_cmp_eq_u32_sdwa s7, v30, v26 src0_sel:WORD_0 src1_sel:DWORD
	v_cndmask_b32_e64 v29, v29, v30, s7
	s_branch .LBB2067_198
.LBB2067_207:
	s_or_b32 exec_lo, exec_lo, s9
.LBB2067_208:
	s_or_b32 exec_lo, exec_lo, s8
	v_add_nc_u32_e32 v5, v23, v22
	v_add_nc_u32_e32 v22, v10, v36
	v_sub_nc_u32_e32 v24, v5, v10
	v_cmp_le_u32_e64 s7, v22, v23
	v_cmp_le_u32_e64 s8, v24, v31
	s_or_b32 s7, s7, s8
	s_and_saveexec_b32 s9, s7
	s_cbranch_execz .LBB2067_260
; %bb.209:
	v_cmp_ge_u32_e64 s7, v22, v23
	s_mov_b32 s10, exec_lo
                                        ; implicit-def: $vgpr5
	v_cmpx_lt_u32_e64 v22, v23
; %bb.210:
	v_lshl_add_u32 v5, v22, 1, v9
	ds_read_u16 v5, v5
; %bb.211:
	s_or_b32 exec_lo, exec_lo, s10
	v_cmp_ge_u32_e64 s10, v24, v31
	s_mov_b32 s11, exec_lo
                                        ; implicit-def: $vgpr10
	v_cmpx_lt_u32_e64 v24, v31
; %bb.212:
	v_lshl_add_u32 v10, v24, 1, v9
	ds_read_u16 v10, v10
; %bb.213:
	s_or_b32 exec_lo, exec_lo, s11
	s_nor_b32 s7, s7, s10
	s_and_saveexec_b32 s8, s7
	s_cbranch_execz .LBB2067_223
; %bb.214:
	s_waitcnt lgkmcnt(0)
	v_lshlrev_b32_e32 v11, 16, v5
	v_add_f32_e32 v12, 0, v11
	v_and_b32_e32 v11, 0x7f800000, v12
	v_cmp_ne_u32_e64 s7, 0x7f800000, v11
                                        ; implicit-def: $vgpr11
	s_and_saveexec_b32 s11, s7
	s_xor_b32 s7, exec_lo, s11
; %bb.215:
	v_bfe_u32 v11, v12, 16, 1
	v_add3_u32 v11, v12, v11, 0x7fff
                                        ; implicit-def: $vgpr12
; %bb.216:
	s_andn2_saveexec_b32 s11, s7
; %bb.217:
	v_mov_b32_e32 v11, 0
	v_or_b32_e32 v13, 0x10000, v12
	v_cmp_eq_u32_sdwa s7, v12, v11 src0_sel:WORD_0 src1_sel:DWORD
	v_cndmask_b32_e64 v11, v13, v12, s7
; %bb.218:
	s_or_b32 exec_lo, exec_lo, s11
	v_lshlrev_b32_e32 v12, 16, v10
	v_add_f32_e32 v13, 0, v12
	v_and_b32_e32 v12, 0x7f800000, v13
	v_cmp_ne_u32_e64 s7, 0x7f800000, v12
                                        ; implicit-def: $vgpr12
	s_and_saveexec_b32 s11, s7
	s_xor_b32 s7, exec_lo, s11
; %bb.219:
	v_bfe_u32 v12, v13, 16, 1
	v_add3_u32 v12, v13, v12, 0x7fff
                                        ; implicit-def: $vgpr13
; %bb.220:
	s_andn2_saveexec_b32 s11, s7
; %bb.221:
	v_mov_b32_e32 v12, 0
	v_or_b32_e32 v14, 0x10000, v13
	v_cmp_eq_u32_sdwa s7, v13, v12 src0_sel:WORD_0 src1_sel:DWORD
	v_cndmask_b32_e64 v12, v14, v13, s7
; %bb.222:
	s_or_b32 exec_lo, exec_lo, s11
	v_cmp_lt_i32_e64 s7, -1, v11
	v_perm_b32 v11, v12, v11, 0x7060302
	s_andn2_b32 s10, s10, exec_lo
	v_cndmask_b32_e64 v13, -1, 0xffff8000, s7
	v_cmp_lt_i32_e64 s7, -1, v12
	v_cndmask_b32_e64 v14, -1, 0xffff8000, s7
	v_perm_b32 v12, v14, v13, 0x5040100
	v_xor_b32_e32 v11, v12, v11
	v_cmp_le_u16_sdwa s7, v11, v11 src0_sel:DWORD src1_sel:WORD_1
	s_and_b32 s7, s7, exec_lo
	s_or_b32 s10, s10, s7
.LBB2067_223:
	s_or_b32 exec_lo, exec_lo, s8
	v_cndmask_b32_e64 v11, v24, v22, s10
	v_cndmask_b32_e64 v12, v31, v23, s10
	s_mov_b32 s11, -1
	s_mov_b32 s8, -1
	s_mov_b32 s12, exec_lo
	v_add_nc_u32_e32 v13, 1, v11
	v_add_nc_u32_e32 v12, -1, v12
	v_lshl_add_u32 v11, v11, 3, v4
	v_cndmask_b32_e64 v15, v13, v24, s10
	v_min_u32_e32 v12, v13, v12
	v_cndmask_b32_e64 v16, v22, v13, s10
	v_lshl_add_u32 v12, v12, 1, v9
	ds_read_u16 v14, v12
	ds_read_b64 v[11:12], v11
	s_waitcnt lgkmcnt(1)
	v_cndmask_b32_e64 v22, v14, v10, s10
	v_cndmask_b32_e64 v24, v5, v14, s10
	v_cmpx_lt_u32_e64 v15, v31
	s_cbranch_execz .LBB2067_235
; %bb.224:
	s_mov_b32 s13, 0
	s_mov_b32 s8, exec_lo
	v_cmpx_lt_u32_e64 v16, v23
	s_cbranch_execz .LBB2067_234
; %bb.225:
	v_lshlrev_b32_e32 v13, 16, v24
	v_add_f32_e32 v14, 0, v13
	v_and_b32_e32 v13, 0x7f800000, v14
	v_cmp_ne_u32_e64 s7, 0x7f800000, v13
                                        ; implicit-def: $vgpr13
	s_and_saveexec_b32 s13, s7
	s_xor_b32 s7, exec_lo, s13
; %bb.226:
	v_bfe_u32 v13, v14, 16, 1
	v_add3_u32 v13, v14, v13, 0x7fff
                                        ; implicit-def: $vgpr14
; %bb.227:
	s_andn2_saveexec_b32 s13, s7
; %bb.228:
	v_mov_b32_e32 v13, 0
	v_or_b32_e32 v17, 0x10000, v14
	v_cmp_eq_u32_sdwa s7, v14, v13 src0_sel:WORD_0 src1_sel:DWORD
	v_cndmask_b32_e64 v13, v17, v14, s7
; %bb.229:
	s_or_b32 exec_lo, exec_lo, s13
	v_lshlrev_b32_e32 v14, 16, v22
	v_add_f32_e32 v17, 0, v14
	v_and_b32_e32 v14, 0x7f800000, v17
	v_cmp_ne_u32_e64 s7, 0x7f800000, v14
                                        ; implicit-def: $vgpr14
	s_and_saveexec_b32 s13, s7
	s_xor_b32 s7, exec_lo, s13
; %bb.230:
	v_bfe_u32 v14, v17, 16, 1
	v_add3_u32 v14, v17, v14, 0x7fff
                                        ; implicit-def: $vgpr17
; %bb.231:
	s_andn2_saveexec_b32 s13, s7
; %bb.232:
	v_mov_b32_e32 v14, 0
	v_or_b32_e32 v18, 0x10000, v17
	v_cmp_eq_u32_sdwa s7, v17, v14 src0_sel:WORD_0 src1_sel:DWORD
	v_cndmask_b32_e64 v14, v18, v17, s7
; %bb.233:
	s_or_b32 exec_lo, exec_lo, s13
	v_cmp_lt_i32_e64 s7, -1, v13
	v_perm_b32 v13, v14, v13, 0x7060302
	v_cndmask_b32_e64 v17, -1, 0xffff8000, s7
	v_cmp_lt_i32_e64 s7, -1, v14
	v_cndmask_b32_e64 v18, -1, 0xffff8000, s7
	v_perm_b32 v14, v18, v17, 0x5040100
	v_xor_b32_e32 v13, v14, v13
	v_cmp_le_u16_sdwa s7, v13, v13 src0_sel:DWORD src1_sel:WORD_1
	s_and_b32 s13, s7, exec_lo
.LBB2067_234:
	s_or_b32 exec_lo, exec_lo, s8
	s_orn2_b32 s8, s13, exec_lo
.LBB2067_235:
	s_or_b32 exec_lo, exec_lo, s12
	v_cndmask_b32_e64 v13, v15, v16, s8
	v_cndmask_b32_e64 v14, v31, v23, s8
	s_mov_b32 s12, exec_lo
	v_add_nc_u32_e32 v18, 1, v13
	v_add_nc_u32_e32 v14, -1, v14
	v_lshl_add_u32 v13, v13, 3, v4
	v_cndmask_b32_e64 v17, v18, v15, s8
	v_min_u32_e32 v14, v18, v14
	v_cndmask_b32_e64 v18, v16, v18, s8
	v_lshl_add_u32 v14, v14, 1, v9
	ds_read_u16 v26, v14
	ds_read_b64 v[13:14], v13
	s_waitcnt lgkmcnt(1)
	v_cndmask_b32_e64 v25, v26, v22, s8
	v_cndmask_b32_e64 v26, v24, v26, s8
	v_cmpx_lt_u32_e64 v17, v31
	s_cbranch_execz .LBB2067_247
; %bb.236:
	s_mov_b32 s13, 0
	s_mov_b32 s11, exec_lo
	v_cmpx_lt_u32_e64 v18, v23
	s_cbranch_execz .LBB2067_246
; %bb.237:
	v_lshlrev_b32_e32 v15, 16, v26
	v_add_f32_e32 v16, 0, v15
	v_and_b32_e32 v15, 0x7f800000, v16
	v_cmp_ne_u32_e64 s7, 0x7f800000, v15
                                        ; implicit-def: $vgpr15
	s_and_saveexec_b32 s13, s7
	s_xor_b32 s7, exec_lo, s13
; %bb.238:
	v_bfe_u32 v15, v16, 16, 1
	v_add3_u32 v15, v16, v15, 0x7fff
                                        ; implicit-def: $vgpr16
; %bb.239:
	s_andn2_saveexec_b32 s13, s7
; %bb.240:
	v_mov_b32_e32 v15, 0
	v_or_b32_e32 v27, 0x10000, v16
	v_cmp_eq_u32_sdwa s7, v16, v15 src0_sel:WORD_0 src1_sel:DWORD
	v_cndmask_b32_e64 v15, v27, v16, s7
; %bb.241:
	s_or_b32 exec_lo, exec_lo, s13
	v_lshlrev_b32_e32 v16, 16, v25
	v_add_f32_e32 v27, 0, v16
	v_and_b32_e32 v16, 0x7f800000, v27
	v_cmp_ne_u32_e64 s7, 0x7f800000, v16
                                        ; implicit-def: $vgpr16
	s_and_saveexec_b32 s13, s7
	s_xor_b32 s7, exec_lo, s13
; %bb.242:
	v_bfe_u32 v16, v27, 16, 1
	v_add3_u32 v16, v27, v16, 0x7fff
                                        ; implicit-def: $vgpr27
; %bb.243:
	s_andn2_saveexec_b32 s13, s7
; %bb.244:
	v_mov_b32_e32 v16, 0
	v_or_b32_e32 v28, 0x10000, v27
	v_cmp_eq_u32_sdwa s7, v27, v16 src0_sel:WORD_0 src1_sel:DWORD
	v_cndmask_b32_e64 v16, v28, v27, s7
; %bb.245:
	s_or_b32 exec_lo, exec_lo, s13
	v_cmp_lt_i32_e64 s7, -1, v15
	v_perm_b32 v15, v16, v15, 0x7060302
	v_cndmask_b32_e64 v27, -1, 0xffff8000, s7
	v_cmp_lt_i32_e64 s7, -1, v16
	v_cndmask_b32_e64 v28, -1, 0xffff8000, s7
	v_perm_b32 v16, v28, v27, 0x5040100
	v_xor_b32_e32 v15, v16, v15
	v_cmp_le_u16_sdwa s7, v15, v15 src0_sel:DWORD src1_sel:WORD_1
	s_and_b32 s13, s7, exec_lo
.LBB2067_246:
	s_or_b32 exec_lo, exec_lo, s11
	s_orn2_b32 s11, s13, exec_lo
.LBB2067_247:
	s_or_b32 exec_lo, exec_lo, s12
	v_cndmask_b32_e64 v15, v17, v18, s11
	v_cndmask_b32_e64 v16, v31, v23, s11
	s_mov_b32 s13, -1
	s_mov_b32 s12, exec_lo
	v_add_nc_u32_e32 v27, 1, v15
	v_add_nc_u32_e32 v16, -1, v16
	v_cndmask_b32_e64 v17, v27, v17, s11
	v_min_u32_e32 v16, v27, v16
	v_cndmask_b32_e64 v18, v18, v27, s11
	v_lshl_add_u32 v9, v16, 1, v9
	ds_read_u16 v28, v9
	v_lshl_add_u32 v9, v15, 3, v4
	ds_read_b64 v[15:16], v9
	s_waitcnt lgkmcnt(1)
	v_cndmask_b32_e64 v9, v28, v25, s11
	v_cndmask_b32_e64 v27, v26, v28, s11
	v_cmpx_lt_u32_e64 v17, v31
	s_cbranch_execz .LBB2067_259
; %bb.248:
	s_mov_b32 s14, 0
	s_mov_b32 s13, exec_lo
	v_cmpx_lt_u32_e64 v18, v23
	s_cbranch_execz .LBB2067_258
; %bb.249:
	v_lshlrev_b32_e32 v23, 16, v27
	v_add_f32_e32 v28, 0, v23
	v_and_b32_e32 v23, 0x7f800000, v28
	v_cmp_ne_u32_e64 s7, 0x7f800000, v23
                                        ; implicit-def: $vgpr23
	s_and_saveexec_b32 s14, s7
	s_xor_b32 s7, exec_lo, s14
; %bb.250:
	v_bfe_u32 v23, v28, 16, 1
	v_add3_u32 v23, v28, v23, 0x7fff
                                        ; implicit-def: $vgpr28
; %bb.251:
	s_andn2_saveexec_b32 s14, s7
; %bb.252:
	v_mov_b32_e32 v23, 0
	v_or_b32_e32 v29, 0x10000, v28
	v_cmp_eq_u32_sdwa s7, v28, v23 src0_sel:WORD_0 src1_sel:DWORD
	v_cndmask_b32_e64 v23, v29, v28, s7
; %bb.253:
	s_or_b32 exec_lo, exec_lo, s14
	v_lshlrev_b32_e32 v28, 16, v9
	v_add_f32_e32 v29, 0, v28
	v_and_b32_e32 v28, 0x7f800000, v29
	v_cmp_ne_u32_e64 s7, 0x7f800000, v28
                                        ; implicit-def: $vgpr28
	s_and_saveexec_b32 s14, s7
	s_xor_b32 s7, exec_lo, s14
; %bb.254:
	v_bfe_u32 v28, v29, 16, 1
	v_add3_u32 v28, v29, v28, 0x7fff
                                        ; implicit-def: $vgpr29
; %bb.255:
	s_andn2_saveexec_b32 s14, s7
; %bb.256:
	v_mov_b32_e32 v28, 0
	v_or_b32_e32 v30, 0x10000, v29
	v_cmp_eq_u32_sdwa s7, v29, v28 src0_sel:WORD_0 src1_sel:DWORD
	v_cndmask_b32_e64 v28, v30, v29, s7
; %bb.257:
	s_or_b32 exec_lo, exec_lo, s14
	v_cmp_lt_i32_e64 s7, -1, v23
	v_perm_b32 v23, v28, v23, 0x7060302
	v_cndmask_b32_e64 v29, -1, 0xffff8000, s7
	v_cmp_lt_i32_e64 s7, -1, v28
	v_cndmask_b32_e64 v30, -1, 0xffff8000, s7
	v_perm_b32 v28, v30, v29, 0x5040100
	v_xor_b32_e32 v23, v28, v23
	v_cmp_le_u16_sdwa s7, v23, v23 src0_sel:DWORD src1_sel:WORD_1
	s_and_b32 s14, s7, exec_lo
.LBB2067_258:
	s_or_b32 exec_lo, exec_lo, s13
	s_orn2_b32 s13, s14, exec_lo
.LBB2067_259:
	s_or_b32 exec_lo, exec_lo, s12
	v_cndmask_b32_e64 v17, v17, v18, s13
	v_cndmask_b32_e64 v33, v25, v26, s11
	;; [unrolled: 1-line block ×5, first 2 shown]
	v_lshl_add_u32 v4, v17, 3, v4
	ds_read_b64 v[17:18], v4
.LBB2067_260:
	s_or_b32 exec_lo, exec_lo, s9
	v_add_co_u32 v2, s7, v2, v19
	v_add_co_ci_u32_e64 v3, null, v3, v20, s7
	v_add_co_u32 v2, s7, v2, v21
	v_add_co_ci_u32_e64 v3, null, 0, v3, s7
	; wave barrier
	s_waitcnt lgkmcnt(0)
	s_waitcnt_vscnt null, 0x0
	s_barrier
	buffer_gl0_inv
	; wave barrier
	s_and_saveexec_b32 s7, vcc_lo
	s_cbranch_execnz .LBB2067_270
; %bb.261:
	s_or_b32 exec_lo, exec_lo, s7
	s_and_saveexec_b32 s7, s4
	s_cbranch_execnz .LBB2067_271
.LBB2067_262:
	s_or_b32 exec_lo, exec_lo, s7
	s_and_saveexec_b32 s7, s5
	s_cbranch_execnz .LBB2067_272
.LBB2067_263:
	s_or_b32 exec_lo, exec_lo, s7
	s_and_saveexec_b32 s7, s6
	s_cbranch_execz .LBB2067_265
.LBB2067_264:
	flat_store_short v[2:3], v34 offset:6
.LBB2067_265:
	s_or_b32 exec_lo, exec_lo, s7
	v_add_co_u32 v0, s7, v6, v0
	v_add_co_ci_u32_e64 v1, null, v7, v1, s7
	v_add_co_u32 v0, s7, v0, v8
	v_add_co_ci_u32_e64 v1, null, 0, v1, s7
	; wave barrier
	s_and_saveexec_b32 s7, vcc_lo
	s_cbranch_execnz .LBB2067_273
; %bb.266:
	s_or_b32 exec_lo, exec_lo, s7
	s_and_saveexec_b32 s7, s4
	s_cbranch_execnz .LBB2067_274
.LBB2067_267:
	s_or_b32 exec_lo, exec_lo, s7
	s_and_saveexec_b32 s4, s5
	s_cbranch_execnz .LBB2067_275
.LBB2067_268:
	s_or_b32 exec_lo, exec_lo, s4
	s_and_saveexec_b32 s4, s6
	s_cbranch_execnz .LBB2067_276
.LBB2067_269:
	s_or_b32 exec_lo, exec_lo, s4
	s_waitcnt lgkmcnt(0)
	s_setpc_b64 s[30:31]
.LBB2067_270:
	flat_store_short v[2:3], v35
	s_or_b32 exec_lo, exec_lo, s7
	s_and_saveexec_b32 s7, s4
	s_cbranch_execz .LBB2067_262
.LBB2067_271:
	flat_store_short v[2:3], v32 offset:2
	s_or_b32 exec_lo, exec_lo, s7
	s_and_saveexec_b32 s7, s5
	s_cbranch_execz .LBB2067_263
.LBB2067_272:
	flat_store_short v[2:3], v33 offset:4
	s_or_b32 exec_lo, exec_lo, s7
	s_and_saveexec_b32 s7, s6
	s_cbranch_execnz .LBB2067_264
	s_branch .LBB2067_265
.LBB2067_273:
	flat_store_dwordx2 v[0:1], v[11:12]
	s_or_b32 exec_lo, exec_lo, s7
	s_and_saveexec_b32 s7, s4
	s_cbranch_execz .LBB2067_267
.LBB2067_274:
	flat_store_dwordx2 v[0:1], v[13:14] offset:8
	s_or_b32 exec_lo, exec_lo, s7
	s_and_saveexec_b32 s4, s5
	s_cbranch_execz .LBB2067_268
.LBB2067_275:
	flat_store_dwordx2 v[0:1], v[15:16] offset:16
	s_or_b32 exec_lo, exec_lo, s4
	s_and_saveexec_b32 s4, s6
	s_cbranch_execz .LBB2067_269
.LBB2067_276:
	flat_store_dwordx2 v[0:1], v[17:18] offset:24
	s_or_b32 exec_lo, exec_lo, s4
	s_waitcnt lgkmcnt(0)
	s_setpc_b64 s[30:31]
.Lfunc_end2067:
	.size	_ZN7rocprim17ROCPRIM_400000_NS6detail26segmented_warp_sort_helperINS1_20WarpSortHelperConfigILj8ELj4ELj256EEE12hip_bfloat16lLi256ELb0EvE4sortIPKS5_PS5_PKlPlEEvT_T0_T1_T2_jjjjRNS6_12storage_typeE, .Lfunc_end2067-_ZN7rocprim17ROCPRIM_400000_NS6detail26segmented_warp_sort_helperINS1_20WarpSortHelperConfigILj8ELj4ELj256EEE12hip_bfloat16lLi256ELb0EvE4sortIPKS5_PS5_PKlPlEEvT_T0_T1_T2_jjjjRNS6_12storage_typeE
                                        ; -- End function
	.set .L_ZN7rocprim17ROCPRIM_400000_NS6detail26segmented_warp_sort_helperINS1_20WarpSortHelperConfigILj8ELj4ELj256EEE12hip_bfloat16lLi256ELb0EvE4sortIPKS5_PS5_PKlPlEEvT_T0_T1_T2_jjjjRNS6_12storage_typeE.num_vgpr, 65
	.set .L_ZN7rocprim17ROCPRIM_400000_NS6detail26segmented_warp_sort_helperINS1_20WarpSortHelperConfigILj8ELj4ELj256EEE12hip_bfloat16lLi256ELb0EvE4sortIPKS5_PS5_PKlPlEEvT_T0_T1_T2_jjjjRNS6_12storage_typeE.num_agpr, 0
	.set .L_ZN7rocprim17ROCPRIM_400000_NS6detail26segmented_warp_sort_helperINS1_20WarpSortHelperConfigILj8ELj4ELj256EEE12hip_bfloat16lLi256ELb0EvE4sortIPKS5_PS5_PKlPlEEvT_T0_T1_T2_jjjjRNS6_12storage_typeE.numbered_sgpr, 32
	.set .L_ZN7rocprim17ROCPRIM_400000_NS6detail26segmented_warp_sort_helperINS1_20WarpSortHelperConfigILj8ELj4ELj256EEE12hip_bfloat16lLi256ELb0EvE4sortIPKS5_PS5_PKlPlEEvT_T0_T1_T2_jjjjRNS6_12storage_typeE.num_named_barrier, 0
	.set .L_ZN7rocprim17ROCPRIM_400000_NS6detail26segmented_warp_sort_helperINS1_20WarpSortHelperConfigILj8ELj4ELj256EEE12hip_bfloat16lLi256ELb0EvE4sortIPKS5_PS5_PKlPlEEvT_T0_T1_T2_jjjjRNS6_12storage_typeE.private_seg_size, 0
	.set .L_ZN7rocprim17ROCPRIM_400000_NS6detail26segmented_warp_sort_helperINS1_20WarpSortHelperConfigILj8ELj4ELj256EEE12hip_bfloat16lLi256ELb0EvE4sortIPKS5_PS5_PKlPlEEvT_T0_T1_T2_jjjjRNS6_12storage_typeE.uses_vcc, 1
	.set .L_ZN7rocprim17ROCPRIM_400000_NS6detail26segmented_warp_sort_helperINS1_20WarpSortHelperConfigILj8ELj4ELj256EEE12hip_bfloat16lLi256ELb0EvE4sortIPKS5_PS5_PKlPlEEvT_T0_T1_T2_jjjjRNS6_12storage_typeE.uses_flat_scratch, 0
	.set .L_ZN7rocprim17ROCPRIM_400000_NS6detail26segmented_warp_sort_helperINS1_20WarpSortHelperConfigILj8ELj4ELj256EEE12hip_bfloat16lLi256ELb0EvE4sortIPKS5_PS5_PKlPlEEvT_T0_T1_T2_jjjjRNS6_12storage_typeE.has_dyn_sized_stack, 0
	.set .L_ZN7rocprim17ROCPRIM_400000_NS6detail26segmented_warp_sort_helperINS1_20WarpSortHelperConfigILj8ELj4ELj256EEE12hip_bfloat16lLi256ELb0EvE4sortIPKS5_PS5_PKlPlEEvT_T0_T1_T2_jjjjRNS6_12storage_typeE.has_recursion, 0
	.set .L_ZN7rocprim17ROCPRIM_400000_NS6detail26segmented_warp_sort_helperINS1_20WarpSortHelperConfigILj8ELj4ELj256EEE12hip_bfloat16lLi256ELb0EvE4sortIPKS5_PS5_PKlPlEEvT_T0_T1_T2_jjjjRNS6_12storage_typeE.has_indirect_call, 0
	.section	.AMDGPU.csdata,"",@progbits
; Function info:
; codeLenInByte = 9636
; TotalNumSgprs: 34
; NumVgprs: 65
; ScratchSize: 0
; MemoryBound: 1
	.section	.text._ZN7rocprim17ROCPRIM_400000_NS6detail17trampoline_kernelINS0_14default_configENS1_36segmented_radix_sort_config_selectorI12hip_bfloat16lEEZNS1_25segmented_radix_sort_implIS3_Lb0EPKS5_PS5_PKlPlN2at6native12_GLOBAL__N_18offset_tEEE10hipError_tPvRmT1_PNSt15iterator_traitsISL_E10value_typeET2_T3_PNSM_ISR_E10value_typeET4_jRbjT5_SX_jjP12ihipStream_tbEUlT_E1_NS1_11comp_targetILNS1_3genE8ELNS1_11target_archE1030ELNS1_3gpuE2ELNS1_3repE0EEENS1_59segmented_radix_sort_warp_sort_small_config_static_selectorELNS0_4arch9wavefront6targetE0EEEvSL_,"axG",@progbits,_ZN7rocprim17ROCPRIM_400000_NS6detail17trampoline_kernelINS0_14default_configENS1_36segmented_radix_sort_config_selectorI12hip_bfloat16lEEZNS1_25segmented_radix_sort_implIS3_Lb0EPKS5_PS5_PKlPlN2at6native12_GLOBAL__N_18offset_tEEE10hipError_tPvRmT1_PNSt15iterator_traitsISL_E10value_typeET2_T3_PNSM_ISR_E10value_typeET4_jRbjT5_SX_jjP12ihipStream_tbEUlT_E1_NS1_11comp_targetILNS1_3genE8ELNS1_11target_archE1030ELNS1_3gpuE2ELNS1_3repE0EEENS1_59segmented_radix_sort_warp_sort_small_config_static_selectorELNS0_4arch9wavefront6targetE0EEEvSL_,comdat
	.globl	_ZN7rocprim17ROCPRIM_400000_NS6detail17trampoline_kernelINS0_14default_configENS1_36segmented_radix_sort_config_selectorI12hip_bfloat16lEEZNS1_25segmented_radix_sort_implIS3_Lb0EPKS5_PS5_PKlPlN2at6native12_GLOBAL__N_18offset_tEEE10hipError_tPvRmT1_PNSt15iterator_traitsISL_E10value_typeET2_T3_PNSM_ISR_E10value_typeET4_jRbjT5_SX_jjP12ihipStream_tbEUlT_E1_NS1_11comp_targetILNS1_3genE8ELNS1_11target_archE1030ELNS1_3gpuE2ELNS1_3repE0EEENS1_59segmented_radix_sort_warp_sort_small_config_static_selectorELNS0_4arch9wavefront6targetE0EEEvSL_ ; -- Begin function _ZN7rocprim17ROCPRIM_400000_NS6detail17trampoline_kernelINS0_14default_configENS1_36segmented_radix_sort_config_selectorI12hip_bfloat16lEEZNS1_25segmented_radix_sort_implIS3_Lb0EPKS5_PS5_PKlPlN2at6native12_GLOBAL__N_18offset_tEEE10hipError_tPvRmT1_PNSt15iterator_traitsISL_E10value_typeET2_T3_PNSM_ISR_E10value_typeET4_jRbjT5_SX_jjP12ihipStream_tbEUlT_E1_NS1_11comp_targetILNS1_3genE8ELNS1_11target_archE1030ELNS1_3gpuE2ELNS1_3repE0EEENS1_59segmented_radix_sort_warp_sort_small_config_static_selectorELNS0_4arch9wavefront6targetE0EEEvSL_
	.p2align	8
	.type	_ZN7rocprim17ROCPRIM_400000_NS6detail17trampoline_kernelINS0_14default_configENS1_36segmented_radix_sort_config_selectorI12hip_bfloat16lEEZNS1_25segmented_radix_sort_implIS3_Lb0EPKS5_PS5_PKlPlN2at6native12_GLOBAL__N_18offset_tEEE10hipError_tPvRmT1_PNSt15iterator_traitsISL_E10value_typeET2_T3_PNSM_ISR_E10value_typeET4_jRbjT5_SX_jjP12ihipStream_tbEUlT_E1_NS1_11comp_targetILNS1_3genE8ELNS1_11target_archE1030ELNS1_3gpuE2ELNS1_3repE0EEENS1_59segmented_radix_sort_warp_sort_small_config_static_selectorELNS0_4arch9wavefront6targetE0EEEvSL_,@function
_ZN7rocprim17ROCPRIM_400000_NS6detail17trampoline_kernelINS0_14default_configENS1_36segmented_radix_sort_config_selectorI12hip_bfloat16lEEZNS1_25segmented_radix_sort_implIS3_Lb0EPKS5_PS5_PKlPlN2at6native12_GLOBAL__N_18offset_tEEE10hipError_tPvRmT1_PNSt15iterator_traitsISL_E10value_typeET2_T3_PNSM_ISR_E10value_typeET4_jRbjT5_SX_jjP12ihipStream_tbEUlT_E1_NS1_11comp_targetILNS1_3genE8ELNS1_11target_archE1030ELNS1_3gpuE2ELNS1_3repE0EEENS1_59segmented_radix_sort_warp_sort_small_config_static_selectorELNS0_4arch9wavefront6targetE0EEEvSL_: ; @_ZN7rocprim17ROCPRIM_400000_NS6detail17trampoline_kernelINS0_14default_configENS1_36segmented_radix_sort_config_selectorI12hip_bfloat16lEEZNS1_25segmented_radix_sort_implIS3_Lb0EPKS5_PS5_PKlPlN2at6native12_GLOBAL__N_18offset_tEEE10hipError_tPvRmT1_PNSt15iterator_traitsISL_E10value_typeET2_T3_PNSM_ISR_E10value_typeET4_jRbjT5_SX_jjP12ihipStream_tbEUlT_E1_NS1_11comp_targetILNS1_3genE8ELNS1_11target_archE1030ELNS1_3gpuE2ELNS1_3repE0EEENS1_59segmented_radix_sort_warp_sort_small_config_static_selectorELNS0_4arch9wavefront6targetE0EEEvSL_
; %bb.0:
	s_add_u32 s0, s0, s8
	s_load_dword s8, s[4:5], 0x64
	s_addc_u32 s1, s1, 0
	s_mov_b32 s32, 0
	s_waitcnt lgkmcnt(0)
	s_lshr_b32 s9, s8, 16
	s_and_b32 s8, s8, 0xffff
	v_mad_u32_u24 v3, v2, s9, v1
	s_load_dword s9, s[4:5], 0x34
	v_mad_u64_u32 v[3:4], null, v3, s8, v[0:1]
	s_mov_b32 s8, exec_lo
	v_lshrrev_b32_e32 v3, 3, v3
	v_lshl_add_u32 v3, s6, 5, v3
	s_waitcnt lgkmcnt(0)
	v_cmpx_gt_u32_e64 s9, v3
	s_cbranch_execz .LBB2068_6
; %bb.1:
	s_clause 0x1
	s_load_dwordx2 s[12:13], s[4:5], 0x38
	s_load_dwordx4 s[8:11], s[4:5], 0x40
	v_mov_b32_e32 v4, 0
	v_lshlrev_b64 v[3:4], 2, v[3:4]
	s_waitcnt lgkmcnt(0)
	v_sub_co_u32 v3, vcc_lo, s12, v3
	v_sub_co_ci_u32_e64 v4, null, s13, v4, vcc_lo
	global_load_dword v3, v[3:4], off offset:-4
	s_waitcnt vmcnt(0)
	v_add_nc_u32_e32 v4, s9, v3
	v_add_nc_u32_e32 v3, s11, v3
	v_mul_lo_u32 v40, v4, s8
	v_mul_lo_u32 v41, v3, s10
	v_cmp_gt_u32_e32 vcc_lo, v41, v40
	s_and_b32 exec_lo, exec_lo, vcc_lo
	s_cbranch_execz .LBB2068_6
; %bb.2:
	s_clause 0x2
	s_load_dword s8, s[4:5], 0x30
	s_load_dwordx4 s[24:27], s[4:5], 0x20
	s_load_dwordx8 s[16:23], s[4:5], 0x0
	v_lshlrev_b32_e32 v43, 20, v2
	v_lshlrev_b32_e32 v44, 10, v1
	s_waitcnt lgkmcnt(0)
	s_bitcmp0_b32 s8, 0
	s_mov_b32 s8, -1
	s_cbranch_scc0 .LBB2068_4
; %bb.3:
	s_mov_b64 s[10:11], src_shared_base
	v_or3_b32 v31, v0, v44, v43
	v_mov_b32_e32 v42, v0
	v_mov_b32_e32 v0, s16
	;; [unrolled: 1-line block ×13, first 2 shown]
	s_add_u32 s8, s4, 0x58
	s_addc_u32 s9, s5, 0
	s_getpc_b64 s[14:15]
	s_add_u32 s14, s14, _ZN7rocprim17ROCPRIM_400000_NS6detail26segmented_warp_sort_helperINS1_20WarpSortHelperConfigILj8ELj4ELj256EEE12hip_bfloat16lLi256ELb0EvE4sortIPKS5_PS5_PKlPlEEvT_T0_T1_T2_jjjjRNS6_12storage_typeE@rel32@lo+4
	s_addc_u32 s15, s15, _ZN7rocprim17ROCPRIM_400000_NS6detail26segmented_warp_sort_helperINS1_20WarpSortHelperConfigILj8ELj4ELj256EEE12hip_bfloat16lLi256ELb0EvE4sortIPKS5_PS5_PKlPlEEvT_T0_T1_T2_jjjjRNS6_12storage_typeE@rel32@hi+12
	s_mov_b32 s12, s6
	s_mov_b32 s13, s7
	s_mov_b64 s[18:19], s[4:5]
	s_mov_b32 s24, s7
	s_mov_b32 s25, s6
	s_swappc_b64 s[30:31], s[14:15]
	v_mov_b32_e32 v0, v42
	s_mov_b32 s6, s25
	s_mov_b32 s7, s24
	s_mov_b64 s[4:5], s[18:19]
	s_mov_b32 s8, 0
.LBB2068_4:
	s_andn2_b32 vcc_lo, exec_lo, s8
	s_cbranch_vccnz .LBB2068_6
; %bb.5:
	s_mov_b64 s[10:11], src_shared_base
	v_or3_b32 v31, v0, v44, v43
	v_mov_b32_e32 v0, s16
	v_mov_b32_e32 v1, s17
	v_mov_b32_e32 v2, s20
	v_mov_b32_e32 v3, s21
	v_mov_b32_e32 v4, s22
	v_mov_b32_e32 v5, s23
	v_mov_b32_e32 v6, s26
	v_mov_b32_e32 v7, s27
	v_mov_b32_e32 v8, v40
	v_mov_b32_e32 v9, v41
	v_mov_b32_e32 v10, 0
	v_mov_b32_e32 v11, s11
	s_add_u32 s8, s4, 0x58
	s_addc_u32 s9, s5, 0
	s_getpc_b64 s[4:5]
	s_add_u32 s4, s4, _ZN7rocprim17ROCPRIM_400000_NS6detail26segmented_warp_sort_helperINS1_20WarpSortHelperConfigILj8ELj4ELj256EEE12hip_bfloat16lLi256ELb0EvE4sortIPKS5_PS5_PKlPlEEvT_T0_T1_T2_jjjjRNS6_12storage_typeE@rel32@lo+4
	s_addc_u32 s5, s5, _ZN7rocprim17ROCPRIM_400000_NS6detail26segmented_warp_sort_helperINS1_20WarpSortHelperConfigILj8ELj4ELj256EEE12hip_bfloat16lLi256ELb0EvE4sortIPKS5_PS5_PKlPlEEvT_T0_T1_T2_jjjjRNS6_12storage_typeE@rel32@hi+12
	s_mov_b32 s12, s6
	s_mov_b32 s13, s7
	s_swappc_b64 s[30:31], s[4:5]
.LBB2068_6:
	s_endpgm
	.section	.rodata,"a",@progbits
	.p2align	6, 0x0
	.amdhsa_kernel _ZN7rocprim17ROCPRIM_400000_NS6detail17trampoline_kernelINS0_14default_configENS1_36segmented_radix_sort_config_selectorI12hip_bfloat16lEEZNS1_25segmented_radix_sort_implIS3_Lb0EPKS5_PS5_PKlPlN2at6native12_GLOBAL__N_18offset_tEEE10hipError_tPvRmT1_PNSt15iterator_traitsISL_E10value_typeET2_T3_PNSM_ISR_E10value_typeET4_jRbjT5_SX_jjP12ihipStream_tbEUlT_E1_NS1_11comp_targetILNS1_3genE8ELNS1_11target_archE1030ELNS1_3gpuE2ELNS1_3repE0EEENS1_59segmented_radix_sort_warp_sort_small_config_static_selectorELNS0_4arch9wavefront6targetE0EEEvSL_
		.amdhsa_group_segment_fixed_size 10240
		.amdhsa_private_segment_fixed_size 0
		.amdhsa_kernarg_size 344
		.amdhsa_user_sgpr_count 6
		.amdhsa_user_sgpr_private_segment_buffer 1
		.amdhsa_user_sgpr_dispatch_ptr 0
		.amdhsa_user_sgpr_queue_ptr 0
		.amdhsa_user_sgpr_kernarg_segment_ptr 1
		.amdhsa_user_sgpr_dispatch_id 0
		.amdhsa_user_sgpr_flat_scratch_init 0
		.amdhsa_user_sgpr_private_segment_size 0
		.amdhsa_wavefront_size32 1
		.amdhsa_uses_dynamic_stack 0
		.amdhsa_system_sgpr_private_segment_wavefront_offset 0
		.amdhsa_system_sgpr_workgroup_id_x 1
		.amdhsa_system_sgpr_workgroup_id_y 1
		.amdhsa_system_sgpr_workgroup_id_z 0
		.amdhsa_system_sgpr_workgroup_info 0
		.amdhsa_system_vgpr_workitem_id 2
		.amdhsa_next_free_vgpr 65
		.amdhsa_next_free_sgpr 33
		.amdhsa_reserve_vcc 1
		.amdhsa_reserve_flat_scratch 0
		.amdhsa_float_round_mode_32 0
		.amdhsa_float_round_mode_16_64 0
		.amdhsa_float_denorm_mode_32 3
		.amdhsa_float_denorm_mode_16_64 3
		.amdhsa_dx10_clamp 1
		.amdhsa_ieee_mode 1
		.amdhsa_fp16_overflow 0
		.amdhsa_workgroup_processor_mode 1
		.amdhsa_memory_ordered 1
		.amdhsa_forward_progress 1
		.amdhsa_shared_vgpr_count 0
		.amdhsa_exception_fp_ieee_invalid_op 0
		.amdhsa_exception_fp_denorm_src 0
		.amdhsa_exception_fp_ieee_div_zero 0
		.amdhsa_exception_fp_ieee_overflow 0
		.amdhsa_exception_fp_ieee_underflow 0
		.amdhsa_exception_fp_ieee_inexact 0
		.amdhsa_exception_int_div_zero 0
	.end_amdhsa_kernel
	.section	.text._ZN7rocprim17ROCPRIM_400000_NS6detail17trampoline_kernelINS0_14default_configENS1_36segmented_radix_sort_config_selectorI12hip_bfloat16lEEZNS1_25segmented_radix_sort_implIS3_Lb0EPKS5_PS5_PKlPlN2at6native12_GLOBAL__N_18offset_tEEE10hipError_tPvRmT1_PNSt15iterator_traitsISL_E10value_typeET2_T3_PNSM_ISR_E10value_typeET4_jRbjT5_SX_jjP12ihipStream_tbEUlT_E1_NS1_11comp_targetILNS1_3genE8ELNS1_11target_archE1030ELNS1_3gpuE2ELNS1_3repE0EEENS1_59segmented_radix_sort_warp_sort_small_config_static_selectorELNS0_4arch9wavefront6targetE0EEEvSL_,"axG",@progbits,_ZN7rocprim17ROCPRIM_400000_NS6detail17trampoline_kernelINS0_14default_configENS1_36segmented_radix_sort_config_selectorI12hip_bfloat16lEEZNS1_25segmented_radix_sort_implIS3_Lb0EPKS5_PS5_PKlPlN2at6native12_GLOBAL__N_18offset_tEEE10hipError_tPvRmT1_PNSt15iterator_traitsISL_E10value_typeET2_T3_PNSM_ISR_E10value_typeET4_jRbjT5_SX_jjP12ihipStream_tbEUlT_E1_NS1_11comp_targetILNS1_3genE8ELNS1_11target_archE1030ELNS1_3gpuE2ELNS1_3repE0EEENS1_59segmented_radix_sort_warp_sort_small_config_static_selectorELNS0_4arch9wavefront6targetE0EEEvSL_,comdat
.Lfunc_end2068:
	.size	_ZN7rocprim17ROCPRIM_400000_NS6detail17trampoline_kernelINS0_14default_configENS1_36segmented_radix_sort_config_selectorI12hip_bfloat16lEEZNS1_25segmented_radix_sort_implIS3_Lb0EPKS5_PS5_PKlPlN2at6native12_GLOBAL__N_18offset_tEEE10hipError_tPvRmT1_PNSt15iterator_traitsISL_E10value_typeET2_T3_PNSM_ISR_E10value_typeET4_jRbjT5_SX_jjP12ihipStream_tbEUlT_E1_NS1_11comp_targetILNS1_3genE8ELNS1_11target_archE1030ELNS1_3gpuE2ELNS1_3repE0EEENS1_59segmented_radix_sort_warp_sort_small_config_static_selectorELNS0_4arch9wavefront6targetE0EEEvSL_, .Lfunc_end2068-_ZN7rocprim17ROCPRIM_400000_NS6detail17trampoline_kernelINS0_14default_configENS1_36segmented_radix_sort_config_selectorI12hip_bfloat16lEEZNS1_25segmented_radix_sort_implIS3_Lb0EPKS5_PS5_PKlPlN2at6native12_GLOBAL__N_18offset_tEEE10hipError_tPvRmT1_PNSt15iterator_traitsISL_E10value_typeET2_T3_PNSM_ISR_E10value_typeET4_jRbjT5_SX_jjP12ihipStream_tbEUlT_E1_NS1_11comp_targetILNS1_3genE8ELNS1_11target_archE1030ELNS1_3gpuE2ELNS1_3repE0EEENS1_59segmented_radix_sort_warp_sort_small_config_static_selectorELNS0_4arch9wavefront6targetE0EEEvSL_
                                        ; -- End function
	.set _ZN7rocprim17ROCPRIM_400000_NS6detail17trampoline_kernelINS0_14default_configENS1_36segmented_radix_sort_config_selectorI12hip_bfloat16lEEZNS1_25segmented_radix_sort_implIS3_Lb0EPKS5_PS5_PKlPlN2at6native12_GLOBAL__N_18offset_tEEE10hipError_tPvRmT1_PNSt15iterator_traitsISL_E10value_typeET2_T3_PNSM_ISR_E10value_typeET4_jRbjT5_SX_jjP12ihipStream_tbEUlT_E1_NS1_11comp_targetILNS1_3genE8ELNS1_11target_archE1030ELNS1_3gpuE2ELNS1_3repE0EEENS1_59segmented_radix_sort_warp_sort_small_config_static_selectorELNS0_4arch9wavefront6targetE0EEEvSL_.num_vgpr, max(45, .L_ZN7rocprim17ROCPRIM_400000_NS6detail26segmented_warp_sort_helperINS1_20WarpSortHelperConfigILj8ELj4ELj256EEE12hip_bfloat16lLi256ELb0EvE4sortIPKS5_PS5_PKlPlEEvT_T0_T1_T2_jjjjRNS6_12storage_typeE.num_vgpr)
	.set _ZN7rocprim17ROCPRIM_400000_NS6detail17trampoline_kernelINS0_14default_configENS1_36segmented_radix_sort_config_selectorI12hip_bfloat16lEEZNS1_25segmented_radix_sort_implIS3_Lb0EPKS5_PS5_PKlPlN2at6native12_GLOBAL__N_18offset_tEEE10hipError_tPvRmT1_PNSt15iterator_traitsISL_E10value_typeET2_T3_PNSM_ISR_E10value_typeET4_jRbjT5_SX_jjP12ihipStream_tbEUlT_E1_NS1_11comp_targetILNS1_3genE8ELNS1_11target_archE1030ELNS1_3gpuE2ELNS1_3repE0EEENS1_59segmented_radix_sort_warp_sort_small_config_static_selectorELNS0_4arch9wavefront6targetE0EEEvSL_.num_agpr, max(0, .L_ZN7rocprim17ROCPRIM_400000_NS6detail26segmented_warp_sort_helperINS1_20WarpSortHelperConfigILj8ELj4ELj256EEE12hip_bfloat16lLi256ELb0EvE4sortIPKS5_PS5_PKlPlEEvT_T0_T1_T2_jjjjRNS6_12storage_typeE.num_agpr)
	.set _ZN7rocprim17ROCPRIM_400000_NS6detail17trampoline_kernelINS0_14default_configENS1_36segmented_radix_sort_config_selectorI12hip_bfloat16lEEZNS1_25segmented_radix_sort_implIS3_Lb0EPKS5_PS5_PKlPlN2at6native12_GLOBAL__N_18offset_tEEE10hipError_tPvRmT1_PNSt15iterator_traitsISL_E10value_typeET2_T3_PNSM_ISR_E10value_typeET4_jRbjT5_SX_jjP12ihipStream_tbEUlT_E1_NS1_11comp_targetILNS1_3genE8ELNS1_11target_archE1030ELNS1_3gpuE2ELNS1_3repE0EEENS1_59segmented_radix_sort_warp_sort_small_config_static_selectorELNS0_4arch9wavefront6targetE0EEEvSL_.numbered_sgpr, max(33, .L_ZN7rocprim17ROCPRIM_400000_NS6detail26segmented_warp_sort_helperINS1_20WarpSortHelperConfigILj8ELj4ELj256EEE12hip_bfloat16lLi256ELb0EvE4sortIPKS5_PS5_PKlPlEEvT_T0_T1_T2_jjjjRNS6_12storage_typeE.numbered_sgpr)
	.set _ZN7rocprim17ROCPRIM_400000_NS6detail17trampoline_kernelINS0_14default_configENS1_36segmented_radix_sort_config_selectorI12hip_bfloat16lEEZNS1_25segmented_radix_sort_implIS3_Lb0EPKS5_PS5_PKlPlN2at6native12_GLOBAL__N_18offset_tEEE10hipError_tPvRmT1_PNSt15iterator_traitsISL_E10value_typeET2_T3_PNSM_ISR_E10value_typeET4_jRbjT5_SX_jjP12ihipStream_tbEUlT_E1_NS1_11comp_targetILNS1_3genE8ELNS1_11target_archE1030ELNS1_3gpuE2ELNS1_3repE0EEENS1_59segmented_radix_sort_warp_sort_small_config_static_selectorELNS0_4arch9wavefront6targetE0EEEvSL_.num_named_barrier, max(0, .L_ZN7rocprim17ROCPRIM_400000_NS6detail26segmented_warp_sort_helperINS1_20WarpSortHelperConfigILj8ELj4ELj256EEE12hip_bfloat16lLi256ELb0EvE4sortIPKS5_PS5_PKlPlEEvT_T0_T1_T2_jjjjRNS6_12storage_typeE.num_named_barrier)
	.set _ZN7rocprim17ROCPRIM_400000_NS6detail17trampoline_kernelINS0_14default_configENS1_36segmented_radix_sort_config_selectorI12hip_bfloat16lEEZNS1_25segmented_radix_sort_implIS3_Lb0EPKS5_PS5_PKlPlN2at6native12_GLOBAL__N_18offset_tEEE10hipError_tPvRmT1_PNSt15iterator_traitsISL_E10value_typeET2_T3_PNSM_ISR_E10value_typeET4_jRbjT5_SX_jjP12ihipStream_tbEUlT_E1_NS1_11comp_targetILNS1_3genE8ELNS1_11target_archE1030ELNS1_3gpuE2ELNS1_3repE0EEENS1_59segmented_radix_sort_warp_sort_small_config_static_selectorELNS0_4arch9wavefront6targetE0EEEvSL_.private_seg_size, 0+max(.L_ZN7rocprim17ROCPRIM_400000_NS6detail26segmented_warp_sort_helperINS1_20WarpSortHelperConfigILj8ELj4ELj256EEE12hip_bfloat16lLi256ELb0EvE4sortIPKS5_PS5_PKlPlEEvT_T0_T1_T2_jjjjRNS6_12storage_typeE.private_seg_size)
	.set _ZN7rocprim17ROCPRIM_400000_NS6detail17trampoline_kernelINS0_14default_configENS1_36segmented_radix_sort_config_selectorI12hip_bfloat16lEEZNS1_25segmented_radix_sort_implIS3_Lb0EPKS5_PS5_PKlPlN2at6native12_GLOBAL__N_18offset_tEEE10hipError_tPvRmT1_PNSt15iterator_traitsISL_E10value_typeET2_T3_PNSM_ISR_E10value_typeET4_jRbjT5_SX_jjP12ihipStream_tbEUlT_E1_NS1_11comp_targetILNS1_3genE8ELNS1_11target_archE1030ELNS1_3gpuE2ELNS1_3repE0EEENS1_59segmented_radix_sort_warp_sort_small_config_static_selectorELNS0_4arch9wavefront6targetE0EEEvSL_.uses_vcc, or(1, .L_ZN7rocprim17ROCPRIM_400000_NS6detail26segmented_warp_sort_helperINS1_20WarpSortHelperConfigILj8ELj4ELj256EEE12hip_bfloat16lLi256ELb0EvE4sortIPKS5_PS5_PKlPlEEvT_T0_T1_T2_jjjjRNS6_12storage_typeE.uses_vcc)
	.set _ZN7rocprim17ROCPRIM_400000_NS6detail17trampoline_kernelINS0_14default_configENS1_36segmented_radix_sort_config_selectorI12hip_bfloat16lEEZNS1_25segmented_radix_sort_implIS3_Lb0EPKS5_PS5_PKlPlN2at6native12_GLOBAL__N_18offset_tEEE10hipError_tPvRmT1_PNSt15iterator_traitsISL_E10value_typeET2_T3_PNSM_ISR_E10value_typeET4_jRbjT5_SX_jjP12ihipStream_tbEUlT_E1_NS1_11comp_targetILNS1_3genE8ELNS1_11target_archE1030ELNS1_3gpuE2ELNS1_3repE0EEENS1_59segmented_radix_sort_warp_sort_small_config_static_selectorELNS0_4arch9wavefront6targetE0EEEvSL_.uses_flat_scratch, or(0, .L_ZN7rocprim17ROCPRIM_400000_NS6detail26segmented_warp_sort_helperINS1_20WarpSortHelperConfigILj8ELj4ELj256EEE12hip_bfloat16lLi256ELb0EvE4sortIPKS5_PS5_PKlPlEEvT_T0_T1_T2_jjjjRNS6_12storage_typeE.uses_flat_scratch)
	.set _ZN7rocprim17ROCPRIM_400000_NS6detail17trampoline_kernelINS0_14default_configENS1_36segmented_radix_sort_config_selectorI12hip_bfloat16lEEZNS1_25segmented_radix_sort_implIS3_Lb0EPKS5_PS5_PKlPlN2at6native12_GLOBAL__N_18offset_tEEE10hipError_tPvRmT1_PNSt15iterator_traitsISL_E10value_typeET2_T3_PNSM_ISR_E10value_typeET4_jRbjT5_SX_jjP12ihipStream_tbEUlT_E1_NS1_11comp_targetILNS1_3genE8ELNS1_11target_archE1030ELNS1_3gpuE2ELNS1_3repE0EEENS1_59segmented_radix_sort_warp_sort_small_config_static_selectorELNS0_4arch9wavefront6targetE0EEEvSL_.has_dyn_sized_stack, or(0, .L_ZN7rocprim17ROCPRIM_400000_NS6detail26segmented_warp_sort_helperINS1_20WarpSortHelperConfigILj8ELj4ELj256EEE12hip_bfloat16lLi256ELb0EvE4sortIPKS5_PS5_PKlPlEEvT_T0_T1_T2_jjjjRNS6_12storage_typeE.has_dyn_sized_stack)
	.set _ZN7rocprim17ROCPRIM_400000_NS6detail17trampoline_kernelINS0_14default_configENS1_36segmented_radix_sort_config_selectorI12hip_bfloat16lEEZNS1_25segmented_radix_sort_implIS3_Lb0EPKS5_PS5_PKlPlN2at6native12_GLOBAL__N_18offset_tEEE10hipError_tPvRmT1_PNSt15iterator_traitsISL_E10value_typeET2_T3_PNSM_ISR_E10value_typeET4_jRbjT5_SX_jjP12ihipStream_tbEUlT_E1_NS1_11comp_targetILNS1_3genE8ELNS1_11target_archE1030ELNS1_3gpuE2ELNS1_3repE0EEENS1_59segmented_radix_sort_warp_sort_small_config_static_selectorELNS0_4arch9wavefront6targetE0EEEvSL_.has_recursion, or(0, .L_ZN7rocprim17ROCPRIM_400000_NS6detail26segmented_warp_sort_helperINS1_20WarpSortHelperConfigILj8ELj4ELj256EEE12hip_bfloat16lLi256ELb0EvE4sortIPKS5_PS5_PKlPlEEvT_T0_T1_T2_jjjjRNS6_12storage_typeE.has_recursion)
	.set _ZN7rocprim17ROCPRIM_400000_NS6detail17trampoline_kernelINS0_14default_configENS1_36segmented_radix_sort_config_selectorI12hip_bfloat16lEEZNS1_25segmented_radix_sort_implIS3_Lb0EPKS5_PS5_PKlPlN2at6native12_GLOBAL__N_18offset_tEEE10hipError_tPvRmT1_PNSt15iterator_traitsISL_E10value_typeET2_T3_PNSM_ISR_E10value_typeET4_jRbjT5_SX_jjP12ihipStream_tbEUlT_E1_NS1_11comp_targetILNS1_3genE8ELNS1_11target_archE1030ELNS1_3gpuE2ELNS1_3repE0EEENS1_59segmented_radix_sort_warp_sort_small_config_static_selectorELNS0_4arch9wavefront6targetE0EEEvSL_.has_indirect_call, or(0, .L_ZN7rocprim17ROCPRIM_400000_NS6detail26segmented_warp_sort_helperINS1_20WarpSortHelperConfigILj8ELj4ELj256EEE12hip_bfloat16lLi256ELb0EvE4sortIPKS5_PS5_PKlPlEEvT_T0_T1_T2_jjjjRNS6_12storage_typeE.has_indirect_call)
	.section	.AMDGPU.csdata,"",@progbits
; Kernel info:
; codeLenInByte = 500
; TotalNumSgprs: 35
; NumVgprs: 65
; ScratchSize: 0
; MemoryBound: 0
; FloatMode: 240
; IeeeMode: 1
; LDSByteSize: 10240 bytes/workgroup (compile time only)
; SGPRBlocks: 0
; VGPRBlocks: 8
; NumSGPRsForWavesPerEU: 35
; NumVGPRsForWavesPerEU: 65
; Occupancy: 12
; WaveLimiterHint : 0
; COMPUTE_PGM_RSRC2:SCRATCH_EN: 0
; COMPUTE_PGM_RSRC2:USER_SGPR: 6
; COMPUTE_PGM_RSRC2:TRAP_HANDLER: 0
; COMPUTE_PGM_RSRC2:TGID_X_EN: 1
; COMPUTE_PGM_RSRC2:TGID_Y_EN: 1
; COMPUTE_PGM_RSRC2:TGID_Z_EN: 0
; COMPUTE_PGM_RSRC2:TIDIG_COMP_CNT: 2
	.section	.text._ZN7rocprim17ROCPRIM_400000_NS6detail17trampoline_kernelINS0_14default_configENS1_36segmented_radix_sort_config_selectorI12hip_bfloat16lEEZNS1_25segmented_radix_sort_implIS3_Lb0EPKS5_PS5_PKlPlN2at6native12_GLOBAL__N_18offset_tEEE10hipError_tPvRmT1_PNSt15iterator_traitsISL_E10value_typeET2_T3_PNSM_ISR_E10value_typeET4_jRbjT5_SX_jjP12ihipStream_tbEUlT_E2_NS1_11comp_targetILNS1_3genE0ELNS1_11target_archE4294967295ELNS1_3gpuE0ELNS1_3repE0EEENS1_30default_config_static_selectorELNS0_4arch9wavefront6targetE0EEEvSL_,"axG",@progbits,_ZN7rocprim17ROCPRIM_400000_NS6detail17trampoline_kernelINS0_14default_configENS1_36segmented_radix_sort_config_selectorI12hip_bfloat16lEEZNS1_25segmented_radix_sort_implIS3_Lb0EPKS5_PS5_PKlPlN2at6native12_GLOBAL__N_18offset_tEEE10hipError_tPvRmT1_PNSt15iterator_traitsISL_E10value_typeET2_T3_PNSM_ISR_E10value_typeET4_jRbjT5_SX_jjP12ihipStream_tbEUlT_E2_NS1_11comp_targetILNS1_3genE0ELNS1_11target_archE4294967295ELNS1_3gpuE0ELNS1_3repE0EEENS1_30default_config_static_selectorELNS0_4arch9wavefront6targetE0EEEvSL_,comdat
	.globl	_ZN7rocprim17ROCPRIM_400000_NS6detail17trampoline_kernelINS0_14default_configENS1_36segmented_radix_sort_config_selectorI12hip_bfloat16lEEZNS1_25segmented_radix_sort_implIS3_Lb0EPKS5_PS5_PKlPlN2at6native12_GLOBAL__N_18offset_tEEE10hipError_tPvRmT1_PNSt15iterator_traitsISL_E10value_typeET2_T3_PNSM_ISR_E10value_typeET4_jRbjT5_SX_jjP12ihipStream_tbEUlT_E2_NS1_11comp_targetILNS1_3genE0ELNS1_11target_archE4294967295ELNS1_3gpuE0ELNS1_3repE0EEENS1_30default_config_static_selectorELNS0_4arch9wavefront6targetE0EEEvSL_ ; -- Begin function _ZN7rocprim17ROCPRIM_400000_NS6detail17trampoline_kernelINS0_14default_configENS1_36segmented_radix_sort_config_selectorI12hip_bfloat16lEEZNS1_25segmented_radix_sort_implIS3_Lb0EPKS5_PS5_PKlPlN2at6native12_GLOBAL__N_18offset_tEEE10hipError_tPvRmT1_PNSt15iterator_traitsISL_E10value_typeET2_T3_PNSM_ISR_E10value_typeET4_jRbjT5_SX_jjP12ihipStream_tbEUlT_E2_NS1_11comp_targetILNS1_3genE0ELNS1_11target_archE4294967295ELNS1_3gpuE0ELNS1_3repE0EEENS1_30default_config_static_selectorELNS0_4arch9wavefront6targetE0EEEvSL_
	.p2align	8
	.type	_ZN7rocprim17ROCPRIM_400000_NS6detail17trampoline_kernelINS0_14default_configENS1_36segmented_radix_sort_config_selectorI12hip_bfloat16lEEZNS1_25segmented_radix_sort_implIS3_Lb0EPKS5_PS5_PKlPlN2at6native12_GLOBAL__N_18offset_tEEE10hipError_tPvRmT1_PNSt15iterator_traitsISL_E10value_typeET2_T3_PNSM_ISR_E10value_typeET4_jRbjT5_SX_jjP12ihipStream_tbEUlT_E2_NS1_11comp_targetILNS1_3genE0ELNS1_11target_archE4294967295ELNS1_3gpuE0ELNS1_3repE0EEENS1_30default_config_static_selectorELNS0_4arch9wavefront6targetE0EEEvSL_,@function
_ZN7rocprim17ROCPRIM_400000_NS6detail17trampoline_kernelINS0_14default_configENS1_36segmented_radix_sort_config_selectorI12hip_bfloat16lEEZNS1_25segmented_radix_sort_implIS3_Lb0EPKS5_PS5_PKlPlN2at6native12_GLOBAL__N_18offset_tEEE10hipError_tPvRmT1_PNSt15iterator_traitsISL_E10value_typeET2_T3_PNSM_ISR_E10value_typeET4_jRbjT5_SX_jjP12ihipStream_tbEUlT_E2_NS1_11comp_targetILNS1_3genE0ELNS1_11target_archE4294967295ELNS1_3gpuE0ELNS1_3repE0EEENS1_30default_config_static_selectorELNS0_4arch9wavefront6targetE0EEEvSL_: ; @_ZN7rocprim17ROCPRIM_400000_NS6detail17trampoline_kernelINS0_14default_configENS1_36segmented_radix_sort_config_selectorI12hip_bfloat16lEEZNS1_25segmented_radix_sort_implIS3_Lb0EPKS5_PS5_PKlPlN2at6native12_GLOBAL__N_18offset_tEEE10hipError_tPvRmT1_PNSt15iterator_traitsISL_E10value_typeET2_T3_PNSM_ISR_E10value_typeET4_jRbjT5_SX_jjP12ihipStream_tbEUlT_E2_NS1_11comp_targetILNS1_3genE0ELNS1_11target_archE4294967295ELNS1_3gpuE0ELNS1_3repE0EEENS1_30default_config_static_selectorELNS0_4arch9wavefront6targetE0EEEvSL_
; %bb.0:
	.section	.rodata,"a",@progbits
	.p2align	6, 0x0
	.amdhsa_kernel _ZN7rocprim17ROCPRIM_400000_NS6detail17trampoline_kernelINS0_14default_configENS1_36segmented_radix_sort_config_selectorI12hip_bfloat16lEEZNS1_25segmented_radix_sort_implIS3_Lb0EPKS5_PS5_PKlPlN2at6native12_GLOBAL__N_18offset_tEEE10hipError_tPvRmT1_PNSt15iterator_traitsISL_E10value_typeET2_T3_PNSM_ISR_E10value_typeET4_jRbjT5_SX_jjP12ihipStream_tbEUlT_E2_NS1_11comp_targetILNS1_3genE0ELNS1_11target_archE4294967295ELNS1_3gpuE0ELNS1_3repE0EEENS1_30default_config_static_selectorELNS0_4arch9wavefront6targetE0EEEvSL_
		.amdhsa_group_segment_fixed_size 0
		.amdhsa_private_segment_fixed_size 0
		.amdhsa_kernarg_size 80
		.amdhsa_user_sgpr_count 6
		.amdhsa_user_sgpr_private_segment_buffer 1
		.amdhsa_user_sgpr_dispatch_ptr 0
		.amdhsa_user_sgpr_queue_ptr 0
		.amdhsa_user_sgpr_kernarg_segment_ptr 1
		.amdhsa_user_sgpr_dispatch_id 0
		.amdhsa_user_sgpr_flat_scratch_init 0
		.amdhsa_user_sgpr_private_segment_size 0
		.amdhsa_wavefront_size32 1
		.amdhsa_uses_dynamic_stack 0
		.amdhsa_system_sgpr_private_segment_wavefront_offset 0
		.amdhsa_system_sgpr_workgroup_id_x 1
		.amdhsa_system_sgpr_workgroup_id_y 0
		.amdhsa_system_sgpr_workgroup_id_z 0
		.amdhsa_system_sgpr_workgroup_info 0
		.amdhsa_system_vgpr_workitem_id 0
		.amdhsa_next_free_vgpr 1
		.amdhsa_next_free_sgpr 1
		.amdhsa_reserve_vcc 0
		.amdhsa_reserve_flat_scratch 0
		.amdhsa_float_round_mode_32 0
		.amdhsa_float_round_mode_16_64 0
		.amdhsa_float_denorm_mode_32 3
		.amdhsa_float_denorm_mode_16_64 3
		.amdhsa_dx10_clamp 1
		.amdhsa_ieee_mode 1
		.amdhsa_fp16_overflow 0
		.amdhsa_workgroup_processor_mode 1
		.amdhsa_memory_ordered 1
		.amdhsa_forward_progress 1
		.amdhsa_shared_vgpr_count 0
		.amdhsa_exception_fp_ieee_invalid_op 0
		.amdhsa_exception_fp_denorm_src 0
		.amdhsa_exception_fp_ieee_div_zero 0
		.amdhsa_exception_fp_ieee_overflow 0
		.amdhsa_exception_fp_ieee_underflow 0
		.amdhsa_exception_fp_ieee_inexact 0
		.amdhsa_exception_int_div_zero 0
	.end_amdhsa_kernel
	.section	.text._ZN7rocprim17ROCPRIM_400000_NS6detail17trampoline_kernelINS0_14default_configENS1_36segmented_radix_sort_config_selectorI12hip_bfloat16lEEZNS1_25segmented_radix_sort_implIS3_Lb0EPKS5_PS5_PKlPlN2at6native12_GLOBAL__N_18offset_tEEE10hipError_tPvRmT1_PNSt15iterator_traitsISL_E10value_typeET2_T3_PNSM_ISR_E10value_typeET4_jRbjT5_SX_jjP12ihipStream_tbEUlT_E2_NS1_11comp_targetILNS1_3genE0ELNS1_11target_archE4294967295ELNS1_3gpuE0ELNS1_3repE0EEENS1_30default_config_static_selectorELNS0_4arch9wavefront6targetE0EEEvSL_,"axG",@progbits,_ZN7rocprim17ROCPRIM_400000_NS6detail17trampoline_kernelINS0_14default_configENS1_36segmented_radix_sort_config_selectorI12hip_bfloat16lEEZNS1_25segmented_radix_sort_implIS3_Lb0EPKS5_PS5_PKlPlN2at6native12_GLOBAL__N_18offset_tEEE10hipError_tPvRmT1_PNSt15iterator_traitsISL_E10value_typeET2_T3_PNSM_ISR_E10value_typeET4_jRbjT5_SX_jjP12ihipStream_tbEUlT_E2_NS1_11comp_targetILNS1_3genE0ELNS1_11target_archE4294967295ELNS1_3gpuE0ELNS1_3repE0EEENS1_30default_config_static_selectorELNS0_4arch9wavefront6targetE0EEEvSL_,comdat
.Lfunc_end2069:
	.size	_ZN7rocprim17ROCPRIM_400000_NS6detail17trampoline_kernelINS0_14default_configENS1_36segmented_radix_sort_config_selectorI12hip_bfloat16lEEZNS1_25segmented_radix_sort_implIS3_Lb0EPKS5_PS5_PKlPlN2at6native12_GLOBAL__N_18offset_tEEE10hipError_tPvRmT1_PNSt15iterator_traitsISL_E10value_typeET2_T3_PNSM_ISR_E10value_typeET4_jRbjT5_SX_jjP12ihipStream_tbEUlT_E2_NS1_11comp_targetILNS1_3genE0ELNS1_11target_archE4294967295ELNS1_3gpuE0ELNS1_3repE0EEENS1_30default_config_static_selectorELNS0_4arch9wavefront6targetE0EEEvSL_, .Lfunc_end2069-_ZN7rocprim17ROCPRIM_400000_NS6detail17trampoline_kernelINS0_14default_configENS1_36segmented_radix_sort_config_selectorI12hip_bfloat16lEEZNS1_25segmented_radix_sort_implIS3_Lb0EPKS5_PS5_PKlPlN2at6native12_GLOBAL__N_18offset_tEEE10hipError_tPvRmT1_PNSt15iterator_traitsISL_E10value_typeET2_T3_PNSM_ISR_E10value_typeET4_jRbjT5_SX_jjP12ihipStream_tbEUlT_E2_NS1_11comp_targetILNS1_3genE0ELNS1_11target_archE4294967295ELNS1_3gpuE0ELNS1_3repE0EEENS1_30default_config_static_selectorELNS0_4arch9wavefront6targetE0EEEvSL_
                                        ; -- End function
	.set _ZN7rocprim17ROCPRIM_400000_NS6detail17trampoline_kernelINS0_14default_configENS1_36segmented_radix_sort_config_selectorI12hip_bfloat16lEEZNS1_25segmented_radix_sort_implIS3_Lb0EPKS5_PS5_PKlPlN2at6native12_GLOBAL__N_18offset_tEEE10hipError_tPvRmT1_PNSt15iterator_traitsISL_E10value_typeET2_T3_PNSM_ISR_E10value_typeET4_jRbjT5_SX_jjP12ihipStream_tbEUlT_E2_NS1_11comp_targetILNS1_3genE0ELNS1_11target_archE4294967295ELNS1_3gpuE0ELNS1_3repE0EEENS1_30default_config_static_selectorELNS0_4arch9wavefront6targetE0EEEvSL_.num_vgpr, 0
	.set _ZN7rocprim17ROCPRIM_400000_NS6detail17trampoline_kernelINS0_14default_configENS1_36segmented_radix_sort_config_selectorI12hip_bfloat16lEEZNS1_25segmented_radix_sort_implIS3_Lb0EPKS5_PS5_PKlPlN2at6native12_GLOBAL__N_18offset_tEEE10hipError_tPvRmT1_PNSt15iterator_traitsISL_E10value_typeET2_T3_PNSM_ISR_E10value_typeET4_jRbjT5_SX_jjP12ihipStream_tbEUlT_E2_NS1_11comp_targetILNS1_3genE0ELNS1_11target_archE4294967295ELNS1_3gpuE0ELNS1_3repE0EEENS1_30default_config_static_selectorELNS0_4arch9wavefront6targetE0EEEvSL_.num_agpr, 0
	.set _ZN7rocprim17ROCPRIM_400000_NS6detail17trampoline_kernelINS0_14default_configENS1_36segmented_radix_sort_config_selectorI12hip_bfloat16lEEZNS1_25segmented_radix_sort_implIS3_Lb0EPKS5_PS5_PKlPlN2at6native12_GLOBAL__N_18offset_tEEE10hipError_tPvRmT1_PNSt15iterator_traitsISL_E10value_typeET2_T3_PNSM_ISR_E10value_typeET4_jRbjT5_SX_jjP12ihipStream_tbEUlT_E2_NS1_11comp_targetILNS1_3genE0ELNS1_11target_archE4294967295ELNS1_3gpuE0ELNS1_3repE0EEENS1_30default_config_static_selectorELNS0_4arch9wavefront6targetE0EEEvSL_.numbered_sgpr, 0
	.set _ZN7rocprim17ROCPRIM_400000_NS6detail17trampoline_kernelINS0_14default_configENS1_36segmented_radix_sort_config_selectorI12hip_bfloat16lEEZNS1_25segmented_radix_sort_implIS3_Lb0EPKS5_PS5_PKlPlN2at6native12_GLOBAL__N_18offset_tEEE10hipError_tPvRmT1_PNSt15iterator_traitsISL_E10value_typeET2_T3_PNSM_ISR_E10value_typeET4_jRbjT5_SX_jjP12ihipStream_tbEUlT_E2_NS1_11comp_targetILNS1_3genE0ELNS1_11target_archE4294967295ELNS1_3gpuE0ELNS1_3repE0EEENS1_30default_config_static_selectorELNS0_4arch9wavefront6targetE0EEEvSL_.num_named_barrier, 0
	.set _ZN7rocprim17ROCPRIM_400000_NS6detail17trampoline_kernelINS0_14default_configENS1_36segmented_radix_sort_config_selectorI12hip_bfloat16lEEZNS1_25segmented_radix_sort_implIS3_Lb0EPKS5_PS5_PKlPlN2at6native12_GLOBAL__N_18offset_tEEE10hipError_tPvRmT1_PNSt15iterator_traitsISL_E10value_typeET2_T3_PNSM_ISR_E10value_typeET4_jRbjT5_SX_jjP12ihipStream_tbEUlT_E2_NS1_11comp_targetILNS1_3genE0ELNS1_11target_archE4294967295ELNS1_3gpuE0ELNS1_3repE0EEENS1_30default_config_static_selectorELNS0_4arch9wavefront6targetE0EEEvSL_.private_seg_size, 0
	.set _ZN7rocprim17ROCPRIM_400000_NS6detail17trampoline_kernelINS0_14default_configENS1_36segmented_radix_sort_config_selectorI12hip_bfloat16lEEZNS1_25segmented_radix_sort_implIS3_Lb0EPKS5_PS5_PKlPlN2at6native12_GLOBAL__N_18offset_tEEE10hipError_tPvRmT1_PNSt15iterator_traitsISL_E10value_typeET2_T3_PNSM_ISR_E10value_typeET4_jRbjT5_SX_jjP12ihipStream_tbEUlT_E2_NS1_11comp_targetILNS1_3genE0ELNS1_11target_archE4294967295ELNS1_3gpuE0ELNS1_3repE0EEENS1_30default_config_static_selectorELNS0_4arch9wavefront6targetE0EEEvSL_.uses_vcc, 0
	.set _ZN7rocprim17ROCPRIM_400000_NS6detail17trampoline_kernelINS0_14default_configENS1_36segmented_radix_sort_config_selectorI12hip_bfloat16lEEZNS1_25segmented_radix_sort_implIS3_Lb0EPKS5_PS5_PKlPlN2at6native12_GLOBAL__N_18offset_tEEE10hipError_tPvRmT1_PNSt15iterator_traitsISL_E10value_typeET2_T3_PNSM_ISR_E10value_typeET4_jRbjT5_SX_jjP12ihipStream_tbEUlT_E2_NS1_11comp_targetILNS1_3genE0ELNS1_11target_archE4294967295ELNS1_3gpuE0ELNS1_3repE0EEENS1_30default_config_static_selectorELNS0_4arch9wavefront6targetE0EEEvSL_.uses_flat_scratch, 0
	.set _ZN7rocprim17ROCPRIM_400000_NS6detail17trampoline_kernelINS0_14default_configENS1_36segmented_radix_sort_config_selectorI12hip_bfloat16lEEZNS1_25segmented_radix_sort_implIS3_Lb0EPKS5_PS5_PKlPlN2at6native12_GLOBAL__N_18offset_tEEE10hipError_tPvRmT1_PNSt15iterator_traitsISL_E10value_typeET2_T3_PNSM_ISR_E10value_typeET4_jRbjT5_SX_jjP12ihipStream_tbEUlT_E2_NS1_11comp_targetILNS1_3genE0ELNS1_11target_archE4294967295ELNS1_3gpuE0ELNS1_3repE0EEENS1_30default_config_static_selectorELNS0_4arch9wavefront6targetE0EEEvSL_.has_dyn_sized_stack, 0
	.set _ZN7rocprim17ROCPRIM_400000_NS6detail17trampoline_kernelINS0_14default_configENS1_36segmented_radix_sort_config_selectorI12hip_bfloat16lEEZNS1_25segmented_radix_sort_implIS3_Lb0EPKS5_PS5_PKlPlN2at6native12_GLOBAL__N_18offset_tEEE10hipError_tPvRmT1_PNSt15iterator_traitsISL_E10value_typeET2_T3_PNSM_ISR_E10value_typeET4_jRbjT5_SX_jjP12ihipStream_tbEUlT_E2_NS1_11comp_targetILNS1_3genE0ELNS1_11target_archE4294967295ELNS1_3gpuE0ELNS1_3repE0EEENS1_30default_config_static_selectorELNS0_4arch9wavefront6targetE0EEEvSL_.has_recursion, 0
	.set _ZN7rocprim17ROCPRIM_400000_NS6detail17trampoline_kernelINS0_14default_configENS1_36segmented_radix_sort_config_selectorI12hip_bfloat16lEEZNS1_25segmented_radix_sort_implIS3_Lb0EPKS5_PS5_PKlPlN2at6native12_GLOBAL__N_18offset_tEEE10hipError_tPvRmT1_PNSt15iterator_traitsISL_E10value_typeET2_T3_PNSM_ISR_E10value_typeET4_jRbjT5_SX_jjP12ihipStream_tbEUlT_E2_NS1_11comp_targetILNS1_3genE0ELNS1_11target_archE4294967295ELNS1_3gpuE0ELNS1_3repE0EEENS1_30default_config_static_selectorELNS0_4arch9wavefront6targetE0EEEvSL_.has_indirect_call, 0
	.section	.AMDGPU.csdata,"",@progbits
; Kernel info:
; codeLenInByte = 0
; TotalNumSgprs: 0
; NumVgprs: 0
; ScratchSize: 0
; MemoryBound: 0
; FloatMode: 240
; IeeeMode: 1
; LDSByteSize: 0 bytes/workgroup (compile time only)
; SGPRBlocks: 0
; VGPRBlocks: 0
; NumSGPRsForWavesPerEU: 1
; NumVGPRsForWavesPerEU: 1
; Occupancy: 16
; WaveLimiterHint : 0
; COMPUTE_PGM_RSRC2:SCRATCH_EN: 0
; COMPUTE_PGM_RSRC2:USER_SGPR: 6
; COMPUTE_PGM_RSRC2:TRAP_HANDLER: 0
; COMPUTE_PGM_RSRC2:TGID_X_EN: 1
; COMPUTE_PGM_RSRC2:TGID_Y_EN: 0
; COMPUTE_PGM_RSRC2:TGID_Z_EN: 0
; COMPUTE_PGM_RSRC2:TIDIG_COMP_CNT: 0
	.section	.text._ZN7rocprim17ROCPRIM_400000_NS6detail17trampoline_kernelINS0_14default_configENS1_36segmented_radix_sort_config_selectorI12hip_bfloat16lEEZNS1_25segmented_radix_sort_implIS3_Lb0EPKS5_PS5_PKlPlN2at6native12_GLOBAL__N_18offset_tEEE10hipError_tPvRmT1_PNSt15iterator_traitsISL_E10value_typeET2_T3_PNSM_ISR_E10value_typeET4_jRbjT5_SX_jjP12ihipStream_tbEUlT_E2_NS1_11comp_targetILNS1_3genE5ELNS1_11target_archE942ELNS1_3gpuE9ELNS1_3repE0EEENS1_30default_config_static_selectorELNS0_4arch9wavefront6targetE0EEEvSL_,"axG",@progbits,_ZN7rocprim17ROCPRIM_400000_NS6detail17trampoline_kernelINS0_14default_configENS1_36segmented_radix_sort_config_selectorI12hip_bfloat16lEEZNS1_25segmented_radix_sort_implIS3_Lb0EPKS5_PS5_PKlPlN2at6native12_GLOBAL__N_18offset_tEEE10hipError_tPvRmT1_PNSt15iterator_traitsISL_E10value_typeET2_T3_PNSM_ISR_E10value_typeET4_jRbjT5_SX_jjP12ihipStream_tbEUlT_E2_NS1_11comp_targetILNS1_3genE5ELNS1_11target_archE942ELNS1_3gpuE9ELNS1_3repE0EEENS1_30default_config_static_selectorELNS0_4arch9wavefront6targetE0EEEvSL_,comdat
	.globl	_ZN7rocprim17ROCPRIM_400000_NS6detail17trampoline_kernelINS0_14default_configENS1_36segmented_radix_sort_config_selectorI12hip_bfloat16lEEZNS1_25segmented_radix_sort_implIS3_Lb0EPKS5_PS5_PKlPlN2at6native12_GLOBAL__N_18offset_tEEE10hipError_tPvRmT1_PNSt15iterator_traitsISL_E10value_typeET2_T3_PNSM_ISR_E10value_typeET4_jRbjT5_SX_jjP12ihipStream_tbEUlT_E2_NS1_11comp_targetILNS1_3genE5ELNS1_11target_archE942ELNS1_3gpuE9ELNS1_3repE0EEENS1_30default_config_static_selectorELNS0_4arch9wavefront6targetE0EEEvSL_ ; -- Begin function _ZN7rocprim17ROCPRIM_400000_NS6detail17trampoline_kernelINS0_14default_configENS1_36segmented_radix_sort_config_selectorI12hip_bfloat16lEEZNS1_25segmented_radix_sort_implIS3_Lb0EPKS5_PS5_PKlPlN2at6native12_GLOBAL__N_18offset_tEEE10hipError_tPvRmT1_PNSt15iterator_traitsISL_E10value_typeET2_T3_PNSM_ISR_E10value_typeET4_jRbjT5_SX_jjP12ihipStream_tbEUlT_E2_NS1_11comp_targetILNS1_3genE5ELNS1_11target_archE942ELNS1_3gpuE9ELNS1_3repE0EEENS1_30default_config_static_selectorELNS0_4arch9wavefront6targetE0EEEvSL_
	.p2align	8
	.type	_ZN7rocprim17ROCPRIM_400000_NS6detail17trampoline_kernelINS0_14default_configENS1_36segmented_radix_sort_config_selectorI12hip_bfloat16lEEZNS1_25segmented_radix_sort_implIS3_Lb0EPKS5_PS5_PKlPlN2at6native12_GLOBAL__N_18offset_tEEE10hipError_tPvRmT1_PNSt15iterator_traitsISL_E10value_typeET2_T3_PNSM_ISR_E10value_typeET4_jRbjT5_SX_jjP12ihipStream_tbEUlT_E2_NS1_11comp_targetILNS1_3genE5ELNS1_11target_archE942ELNS1_3gpuE9ELNS1_3repE0EEENS1_30default_config_static_selectorELNS0_4arch9wavefront6targetE0EEEvSL_,@function
_ZN7rocprim17ROCPRIM_400000_NS6detail17trampoline_kernelINS0_14default_configENS1_36segmented_radix_sort_config_selectorI12hip_bfloat16lEEZNS1_25segmented_radix_sort_implIS3_Lb0EPKS5_PS5_PKlPlN2at6native12_GLOBAL__N_18offset_tEEE10hipError_tPvRmT1_PNSt15iterator_traitsISL_E10value_typeET2_T3_PNSM_ISR_E10value_typeET4_jRbjT5_SX_jjP12ihipStream_tbEUlT_E2_NS1_11comp_targetILNS1_3genE5ELNS1_11target_archE942ELNS1_3gpuE9ELNS1_3repE0EEENS1_30default_config_static_selectorELNS0_4arch9wavefront6targetE0EEEvSL_: ; @_ZN7rocprim17ROCPRIM_400000_NS6detail17trampoline_kernelINS0_14default_configENS1_36segmented_radix_sort_config_selectorI12hip_bfloat16lEEZNS1_25segmented_radix_sort_implIS3_Lb0EPKS5_PS5_PKlPlN2at6native12_GLOBAL__N_18offset_tEEE10hipError_tPvRmT1_PNSt15iterator_traitsISL_E10value_typeET2_T3_PNSM_ISR_E10value_typeET4_jRbjT5_SX_jjP12ihipStream_tbEUlT_E2_NS1_11comp_targetILNS1_3genE5ELNS1_11target_archE942ELNS1_3gpuE9ELNS1_3repE0EEENS1_30default_config_static_selectorELNS0_4arch9wavefront6targetE0EEEvSL_
; %bb.0:
	.section	.rodata,"a",@progbits
	.p2align	6, 0x0
	.amdhsa_kernel _ZN7rocprim17ROCPRIM_400000_NS6detail17trampoline_kernelINS0_14default_configENS1_36segmented_radix_sort_config_selectorI12hip_bfloat16lEEZNS1_25segmented_radix_sort_implIS3_Lb0EPKS5_PS5_PKlPlN2at6native12_GLOBAL__N_18offset_tEEE10hipError_tPvRmT1_PNSt15iterator_traitsISL_E10value_typeET2_T3_PNSM_ISR_E10value_typeET4_jRbjT5_SX_jjP12ihipStream_tbEUlT_E2_NS1_11comp_targetILNS1_3genE5ELNS1_11target_archE942ELNS1_3gpuE9ELNS1_3repE0EEENS1_30default_config_static_selectorELNS0_4arch9wavefront6targetE0EEEvSL_
		.amdhsa_group_segment_fixed_size 0
		.amdhsa_private_segment_fixed_size 0
		.amdhsa_kernarg_size 80
		.amdhsa_user_sgpr_count 6
		.amdhsa_user_sgpr_private_segment_buffer 1
		.amdhsa_user_sgpr_dispatch_ptr 0
		.amdhsa_user_sgpr_queue_ptr 0
		.amdhsa_user_sgpr_kernarg_segment_ptr 1
		.amdhsa_user_sgpr_dispatch_id 0
		.amdhsa_user_sgpr_flat_scratch_init 0
		.amdhsa_user_sgpr_private_segment_size 0
		.amdhsa_wavefront_size32 1
		.amdhsa_uses_dynamic_stack 0
		.amdhsa_system_sgpr_private_segment_wavefront_offset 0
		.amdhsa_system_sgpr_workgroup_id_x 1
		.amdhsa_system_sgpr_workgroup_id_y 0
		.amdhsa_system_sgpr_workgroup_id_z 0
		.amdhsa_system_sgpr_workgroup_info 0
		.amdhsa_system_vgpr_workitem_id 0
		.amdhsa_next_free_vgpr 1
		.amdhsa_next_free_sgpr 1
		.amdhsa_reserve_vcc 0
		.amdhsa_reserve_flat_scratch 0
		.amdhsa_float_round_mode_32 0
		.amdhsa_float_round_mode_16_64 0
		.amdhsa_float_denorm_mode_32 3
		.amdhsa_float_denorm_mode_16_64 3
		.amdhsa_dx10_clamp 1
		.amdhsa_ieee_mode 1
		.amdhsa_fp16_overflow 0
		.amdhsa_workgroup_processor_mode 1
		.amdhsa_memory_ordered 1
		.amdhsa_forward_progress 1
		.amdhsa_shared_vgpr_count 0
		.amdhsa_exception_fp_ieee_invalid_op 0
		.amdhsa_exception_fp_denorm_src 0
		.amdhsa_exception_fp_ieee_div_zero 0
		.amdhsa_exception_fp_ieee_overflow 0
		.amdhsa_exception_fp_ieee_underflow 0
		.amdhsa_exception_fp_ieee_inexact 0
		.amdhsa_exception_int_div_zero 0
	.end_amdhsa_kernel
	.section	.text._ZN7rocprim17ROCPRIM_400000_NS6detail17trampoline_kernelINS0_14default_configENS1_36segmented_radix_sort_config_selectorI12hip_bfloat16lEEZNS1_25segmented_radix_sort_implIS3_Lb0EPKS5_PS5_PKlPlN2at6native12_GLOBAL__N_18offset_tEEE10hipError_tPvRmT1_PNSt15iterator_traitsISL_E10value_typeET2_T3_PNSM_ISR_E10value_typeET4_jRbjT5_SX_jjP12ihipStream_tbEUlT_E2_NS1_11comp_targetILNS1_3genE5ELNS1_11target_archE942ELNS1_3gpuE9ELNS1_3repE0EEENS1_30default_config_static_selectorELNS0_4arch9wavefront6targetE0EEEvSL_,"axG",@progbits,_ZN7rocprim17ROCPRIM_400000_NS6detail17trampoline_kernelINS0_14default_configENS1_36segmented_radix_sort_config_selectorI12hip_bfloat16lEEZNS1_25segmented_radix_sort_implIS3_Lb0EPKS5_PS5_PKlPlN2at6native12_GLOBAL__N_18offset_tEEE10hipError_tPvRmT1_PNSt15iterator_traitsISL_E10value_typeET2_T3_PNSM_ISR_E10value_typeET4_jRbjT5_SX_jjP12ihipStream_tbEUlT_E2_NS1_11comp_targetILNS1_3genE5ELNS1_11target_archE942ELNS1_3gpuE9ELNS1_3repE0EEENS1_30default_config_static_selectorELNS0_4arch9wavefront6targetE0EEEvSL_,comdat
.Lfunc_end2070:
	.size	_ZN7rocprim17ROCPRIM_400000_NS6detail17trampoline_kernelINS0_14default_configENS1_36segmented_radix_sort_config_selectorI12hip_bfloat16lEEZNS1_25segmented_radix_sort_implIS3_Lb0EPKS5_PS5_PKlPlN2at6native12_GLOBAL__N_18offset_tEEE10hipError_tPvRmT1_PNSt15iterator_traitsISL_E10value_typeET2_T3_PNSM_ISR_E10value_typeET4_jRbjT5_SX_jjP12ihipStream_tbEUlT_E2_NS1_11comp_targetILNS1_3genE5ELNS1_11target_archE942ELNS1_3gpuE9ELNS1_3repE0EEENS1_30default_config_static_selectorELNS0_4arch9wavefront6targetE0EEEvSL_, .Lfunc_end2070-_ZN7rocprim17ROCPRIM_400000_NS6detail17trampoline_kernelINS0_14default_configENS1_36segmented_radix_sort_config_selectorI12hip_bfloat16lEEZNS1_25segmented_radix_sort_implIS3_Lb0EPKS5_PS5_PKlPlN2at6native12_GLOBAL__N_18offset_tEEE10hipError_tPvRmT1_PNSt15iterator_traitsISL_E10value_typeET2_T3_PNSM_ISR_E10value_typeET4_jRbjT5_SX_jjP12ihipStream_tbEUlT_E2_NS1_11comp_targetILNS1_3genE5ELNS1_11target_archE942ELNS1_3gpuE9ELNS1_3repE0EEENS1_30default_config_static_selectorELNS0_4arch9wavefront6targetE0EEEvSL_
                                        ; -- End function
	.set _ZN7rocprim17ROCPRIM_400000_NS6detail17trampoline_kernelINS0_14default_configENS1_36segmented_radix_sort_config_selectorI12hip_bfloat16lEEZNS1_25segmented_radix_sort_implIS3_Lb0EPKS5_PS5_PKlPlN2at6native12_GLOBAL__N_18offset_tEEE10hipError_tPvRmT1_PNSt15iterator_traitsISL_E10value_typeET2_T3_PNSM_ISR_E10value_typeET4_jRbjT5_SX_jjP12ihipStream_tbEUlT_E2_NS1_11comp_targetILNS1_3genE5ELNS1_11target_archE942ELNS1_3gpuE9ELNS1_3repE0EEENS1_30default_config_static_selectorELNS0_4arch9wavefront6targetE0EEEvSL_.num_vgpr, 0
	.set _ZN7rocprim17ROCPRIM_400000_NS6detail17trampoline_kernelINS0_14default_configENS1_36segmented_radix_sort_config_selectorI12hip_bfloat16lEEZNS1_25segmented_radix_sort_implIS3_Lb0EPKS5_PS5_PKlPlN2at6native12_GLOBAL__N_18offset_tEEE10hipError_tPvRmT1_PNSt15iterator_traitsISL_E10value_typeET2_T3_PNSM_ISR_E10value_typeET4_jRbjT5_SX_jjP12ihipStream_tbEUlT_E2_NS1_11comp_targetILNS1_3genE5ELNS1_11target_archE942ELNS1_3gpuE9ELNS1_3repE0EEENS1_30default_config_static_selectorELNS0_4arch9wavefront6targetE0EEEvSL_.num_agpr, 0
	.set _ZN7rocprim17ROCPRIM_400000_NS6detail17trampoline_kernelINS0_14default_configENS1_36segmented_radix_sort_config_selectorI12hip_bfloat16lEEZNS1_25segmented_radix_sort_implIS3_Lb0EPKS5_PS5_PKlPlN2at6native12_GLOBAL__N_18offset_tEEE10hipError_tPvRmT1_PNSt15iterator_traitsISL_E10value_typeET2_T3_PNSM_ISR_E10value_typeET4_jRbjT5_SX_jjP12ihipStream_tbEUlT_E2_NS1_11comp_targetILNS1_3genE5ELNS1_11target_archE942ELNS1_3gpuE9ELNS1_3repE0EEENS1_30default_config_static_selectorELNS0_4arch9wavefront6targetE0EEEvSL_.numbered_sgpr, 0
	.set _ZN7rocprim17ROCPRIM_400000_NS6detail17trampoline_kernelINS0_14default_configENS1_36segmented_radix_sort_config_selectorI12hip_bfloat16lEEZNS1_25segmented_radix_sort_implIS3_Lb0EPKS5_PS5_PKlPlN2at6native12_GLOBAL__N_18offset_tEEE10hipError_tPvRmT1_PNSt15iterator_traitsISL_E10value_typeET2_T3_PNSM_ISR_E10value_typeET4_jRbjT5_SX_jjP12ihipStream_tbEUlT_E2_NS1_11comp_targetILNS1_3genE5ELNS1_11target_archE942ELNS1_3gpuE9ELNS1_3repE0EEENS1_30default_config_static_selectorELNS0_4arch9wavefront6targetE0EEEvSL_.num_named_barrier, 0
	.set _ZN7rocprim17ROCPRIM_400000_NS6detail17trampoline_kernelINS0_14default_configENS1_36segmented_radix_sort_config_selectorI12hip_bfloat16lEEZNS1_25segmented_radix_sort_implIS3_Lb0EPKS5_PS5_PKlPlN2at6native12_GLOBAL__N_18offset_tEEE10hipError_tPvRmT1_PNSt15iterator_traitsISL_E10value_typeET2_T3_PNSM_ISR_E10value_typeET4_jRbjT5_SX_jjP12ihipStream_tbEUlT_E2_NS1_11comp_targetILNS1_3genE5ELNS1_11target_archE942ELNS1_3gpuE9ELNS1_3repE0EEENS1_30default_config_static_selectorELNS0_4arch9wavefront6targetE0EEEvSL_.private_seg_size, 0
	.set _ZN7rocprim17ROCPRIM_400000_NS6detail17trampoline_kernelINS0_14default_configENS1_36segmented_radix_sort_config_selectorI12hip_bfloat16lEEZNS1_25segmented_radix_sort_implIS3_Lb0EPKS5_PS5_PKlPlN2at6native12_GLOBAL__N_18offset_tEEE10hipError_tPvRmT1_PNSt15iterator_traitsISL_E10value_typeET2_T3_PNSM_ISR_E10value_typeET4_jRbjT5_SX_jjP12ihipStream_tbEUlT_E2_NS1_11comp_targetILNS1_3genE5ELNS1_11target_archE942ELNS1_3gpuE9ELNS1_3repE0EEENS1_30default_config_static_selectorELNS0_4arch9wavefront6targetE0EEEvSL_.uses_vcc, 0
	.set _ZN7rocprim17ROCPRIM_400000_NS6detail17trampoline_kernelINS0_14default_configENS1_36segmented_radix_sort_config_selectorI12hip_bfloat16lEEZNS1_25segmented_radix_sort_implIS3_Lb0EPKS5_PS5_PKlPlN2at6native12_GLOBAL__N_18offset_tEEE10hipError_tPvRmT1_PNSt15iterator_traitsISL_E10value_typeET2_T3_PNSM_ISR_E10value_typeET4_jRbjT5_SX_jjP12ihipStream_tbEUlT_E2_NS1_11comp_targetILNS1_3genE5ELNS1_11target_archE942ELNS1_3gpuE9ELNS1_3repE0EEENS1_30default_config_static_selectorELNS0_4arch9wavefront6targetE0EEEvSL_.uses_flat_scratch, 0
	.set _ZN7rocprim17ROCPRIM_400000_NS6detail17trampoline_kernelINS0_14default_configENS1_36segmented_radix_sort_config_selectorI12hip_bfloat16lEEZNS1_25segmented_radix_sort_implIS3_Lb0EPKS5_PS5_PKlPlN2at6native12_GLOBAL__N_18offset_tEEE10hipError_tPvRmT1_PNSt15iterator_traitsISL_E10value_typeET2_T3_PNSM_ISR_E10value_typeET4_jRbjT5_SX_jjP12ihipStream_tbEUlT_E2_NS1_11comp_targetILNS1_3genE5ELNS1_11target_archE942ELNS1_3gpuE9ELNS1_3repE0EEENS1_30default_config_static_selectorELNS0_4arch9wavefront6targetE0EEEvSL_.has_dyn_sized_stack, 0
	.set _ZN7rocprim17ROCPRIM_400000_NS6detail17trampoline_kernelINS0_14default_configENS1_36segmented_radix_sort_config_selectorI12hip_bfloat16lEEZNS1_25segmented_radix_sort_implIS3_Lb0EPKS5_PS5_PKlPlN2at6native12_GLOBAL__N_18offset_tEEE10hipError_tPvRmT1_PNSt15iterator_traitsISL_E10value_typeET2_T3_PNSM_ISR_E10value_typeET4_jRbjT5_SX_jjP12ihipStream_tbEUlT_E2_NS1_11comp_targetILNS1_3genE5ELNS1_11target_archE942ELNS1_3gpuE9ELNS1_3repE0EEENS1_30default_config_static_selectorELNS0_4arch9wavefront6targetE0EEEvSL_.has_recursion, 0
	.set _ZN7rocprim17ROCPRIM_400000_NS6detail17trampoline_kernelINS0_14default_configENS1_36segmented_radix_sort_config_selectorI12hip_bfloat16lEEZNS1_25segmented_radix_sort_implIS3_Lb0EPKS5_PS5_PKlPlN2at6native12_GLOBAL__N_18offset_tEEE10hipError_tPvRmT1_PNSt15iterator_traitsISL_E10value_typeET2_T3_PNSM_ISR_E10value_typeET4_jRbjT5_SX_jjP12ihipStream_tbEUlT_E2_NS1_11comp_targetILNS1_3genE5ELNS1_11target_archE942ELNS1_3gpuE9ELNS1_3repE0EEENS1_30default_config_static_selectorELNS0_4arch9wavefront6targetE0EEEvSL_.has_indirect_call, 0
	.section	.AMDGPU.csdata,"",@progbits
; Kernel info:
; codeLenInByte = 0
; TotalNumSgprs: 0
; NumVgprs: 0
; ScratchSize: 0
; MemoryBound: 0
; FloatMode: 240
; IeeeMode: 1
; LDSByteSize: 0 bytes/workgroup (compile time only)
; SGPRBlocks: 0
; VGPRBlocks: 0
; NumSGPRsForWavesPerEU: 1
; NumVGPRsForWavesPerEU: 1
; Occupancy: 16
; WaveLimiterHint : 0
; COMPUTE_PGM_RSRC2:SCRATCH_EN: 0
; COMPUTE_PGM_RSRC2:USER_SGPR: 6
; COMPUTE_PGM_RSRC2:TRAP_HANDLER: 0
; COMPUTE_PGM_RSRC2:TGID_X_EN: 1
; COMPUTE_PGM_RSRC2:TGID_Y_EN: 0
; COMPUTE_PGM_RSRC2:TGID_Z_EN: 0
; COMPUTE_PGM_RSRC2:TIDIG_COMP_CNT: 0
	.section	.text._ZN7rocprim17ROCPRIM_400000_NS6detail17trampoline_kernelINS0_14default_configENS1_36segmented_radix_sort_config_selectorI12hip_bfloat16lEEZNS1_25segmented_radix_sort_implIS3_Lb0EPKS5_PS5_PKlPlN2at6native12_GLOBAL__N_18offset_tEEE10hipError_tPvRmT1_PNSt15iterator_traitsISL_E10value_typeET2_T3_PNSM_ISR_E10value_typeET4_jRbjT5_SX_jjP12ihipStream_tbEUlT_E2_NS1_11comp_targetILNS1_3genE4ELNS1_11target_archE910ELNS1_3gpuE8ELNS1_3repE0EEENS1_30default_config_static_selectorELNS0_4arch9wavefront6targetE0EEEvSL_,"axG",@progbits,_ZN7rocprim17ROCPRIM_400000_NS6detail17trampoline_kernelINS0_14default_configENS1_36segmented_radix_sort_config_selectorI12hip_bfloat16lEEZNS1_25segmented_radix_sort_implIS3_Lb0EPKS5_PS5_PKlPlN2at6native12_GLOBAL__N_18offset_tEEE10hipError_tPvRmT1_PNSt15iterator_traitsISL_E10value_typeET2_T3_PNSM_ISR_E10value_typeET4_jRbjT5_SX_jjP12ihipStream_tbEUlT_E2_NS1_11comp_targetILNS1_3genE4ELNS1_11target_archE910ELNS1_3gpuE8ELNS1_3repE0EEENS1_30default_config_static_selectorELNS0_4arch9wavefront6targetE0EEEvSL_,comdat
	.globl	_ZN7rocprim17ROCPRIM_400000_NS6detail17trampoline_kernelINS0_14default_configENS1_36segmented_radix_sort_config_selectorI12hip_bfloat16lEEZNS1_25segmented_radix_sort_implIS3_Lb0EPKS5_PS5_PKlPlN2at6native12_GLOBAL__N_18offset_tEEE10hipError_tPvRmT1_PNSt15iterator_traitsISL_E10value_typeET2_T3_PNSM_ISR_E10value_typeET4_jRbjT5_SX_jjP12ihipStream_tbEUlT_E2_NS1_11comp_targetILNS1_3genE4ELNS1_11target_archE910ELNS1_3gpuE8ELNS1_3repE0EEENS1_30default_config_static_selectorELNS0_4arch9wavefront6targetE0EEEvSL_ ; -- Begin function _ZN7rocprim17ROCPRIM_400000_NS6detail17trampoline_kernelINS0_14default_configENS1_36segmented_radix_sort_config_selectorI12hip_bfloat16lEEZNS1_25segmented_radix_sort_implIS3_Lb0EPKS5_PS5_PKlPlN2at6native12_GLOBAL__N_18offset_tEEE10hipError_tPvRmT1_PNSt15iterator_traitsISL_E10value_typeET2_T3_PNSM_ISR_E10value_typeET4_jRbjT5_SX_jjP12ihipStream_tbEUlT_E2_NS1_11comp_targetILNS1_3genE4ELNS1_11target_archE910ELNS1_3gpuE8ELNS1_3repE0EEENS1_30default_config_static_selectorELNS0_4arch9wavefront6targetE0EEEvSL_
	.p2align	8
	.type	_ZN7rocprim17ROCPRIM_400000_NS6detail17trampoline_kernelINS0_14default_configENS1_36segmented_radix_sort_config_selectorI12hip_bfloat16lEEZNS1_25segmented_radix_sort_implIS3_Lb0EPKS5_PS5_PKlPlN2at6native12_GLOBAL__N_18offset_tEEE10hipError_tPvRmT1_PNSt15iterator_traitsISL_E10value_typeET2_T3_PNSM_ISR_E10value_typeET4_jRbjT5_SX_jjP12ihipStream_tbEUlT_E2_NS1_11comp_targetILNS1_3genE4ELNS1_11target_archE910ELNS1_3gpuE8ELNS1_3repE0EEENS1_30default_config_static_selectorELNS0_4arch9wavefront6targetE0EEEvSL_,@function
_ZN7rocprim17ROCPRIM_400000_NS6detail17trampoline_kernelINS0_14default_configENS1_36segmented_radix_sort_config_selectorI12hip_bfloat16lEEZNS1_25segmented_radix_sort_implIS3_Lb0EPKS5_PS5_PKlPlN2at6native12_GLOBAL__N_18offset_tEEE10hipError_tPvRmT1_PNSt15iterator_traitsISL_E10value_typeET2_T3_PNSM_ISR_E10value_typeET4_jRbjT5_SX_jjP12ihipStream_tbEUlT_E2_NS1_11comp_targetILNS1_3genE4ELNS1_11target_archE910ELNS1_3gpuE8ELNS1_3repE0EEENS1_30default_config_static_selectorELNS0_4arch9wavefront6targetE0EEEvSL_: ; @_ZN7rocprim17ROCPRIM_400000_NS6detail17trampoline_kernelINS0_14default_configENS1_36segmented_radix_sort_config_selectorI12hip_bfloat16lEEZNS1_25segmented_radix_sort_implIS3_Lb0EPKS5_PS5_PKlPlN2at6native12_GLOBAL__N_18offset_tEEE10hipError_tPvRmT1_PNSt15iterator_traitsISL_E10value_typeET2_T3_PNSM_ISR_E10value_typeET4_jRbjT5_SX_jjP12ihipStream_tbEUlT_E2_NS1_11comp_targetILNS1_3genE4ELNS1_11target_archE910ELNS1_3gpuE8ELNS1_3repE0EEENS1_30default_config_static_selectorELNS0_4arch9wavefront6targetE0EEEvSL_
; %bb.0:
	.section	.rodata,"a",@progbits
	.p2align	6, 0x0
	.amdhsa_kernel _ZN7rocprim17ROCPRIM_400000_NS6detail17trampoline_kernelINS0_14default_configENS1_36segmented_radix_sort_config_selectorI12hip_bfloat16lEEZNS1_25segmented_radix_sort_implIS3_Lb0EPKS5_PS5_PKlPlN2at6native12_GLOBAL__N_18offset_tEEE10hipError_tPvRmT1_PNSt15iterator_traitsISL_E10value_typeET2_T3_PNSM_ISR_E10value_typeET4_jRbjT5_SX_jjP12ihipStream_tbEUlT_E2_NS1_11comp_targetILNS1_3genE4ELNS1_11target_archE910ELNS1_3gpuE8ELNS1_3repE0EEENS1_30default_config_static_selectorELNS0_4arch9wavefront6targetE0EEEvSL_
		.amdhsa_group_segment_fixed_size 0
		.amdhsa_private_segment_fixed_size 0
		.amdhsa_kernarg_size 80
		.amdhsa_user_sgpr_count 6
		.amdhsa_user_sgpr_private_segment_buffer 1
		.amdhsa_user_sgpr_dispatch_ptr 0
		.amdhsa_user_sgpr_queue_ptr 0
		.amdhsa_user_sgpr_kernarg_segment_ptr 1
		.amdhsa_user_sgpr_dispatch_id 0
		.amdhsa_user_sgpr_flat_scratch_init 0
		.amdhsa_user_sgpr_private_segment_size 0
		.amdhsa_wavefront_size32 1
		.amdhsa_uses_dynamic_stack 0
		.amdhsa_system_sgpr_private_segment_wavefront_offset 0
		.amdhsa_system_sgpr_workgroup_id_x 1
		.amdhsa_system_sgpr_workgroup_id_y 0
		.amdhsa_system_sgpr_workgroup_id_z 0
		.amdhsa_system_sgpr_workgroup_info 0
		.amdhsa_system_vgpr_workitem_id 0
		.amdhsa_next_free_vgpr 1
		.amdhsa_next_free_sgpr 1
		.amdhsa_reserve_vcc 0
		.amdhsa_reserve_flat_scratch 0
		.amdhsa_float_round_mode_32 0
		.amdhsa_float_round_mode_16_64 0
		.amdhsa_float_denorm_mode_32 3
		.amdhsa_float_denorm_mode_16_64 3
		.amdhsa_dx10_clamp 1
		.amdhsa_ieee_mode 1
		.amdhsa_fp16_overflow 0
		.amdhsa_workgroup_processor_mode 1
		.amdhsa_memory_ordered 1
		.amdhsa_forward_progress 1
		.amdhsa_shared_vgpr_count 0
		.amdhsa_exception_fp_ieee_invalid_op 0
		.amdhsa_exception_fp_denorm_src 0
		.amdhsa_exception_fp_ieee_div_zero 0
		.amdhsa_exception_fp_ieee_overflow 0
		.amdhsa_exception_fp_ieee_underflow 0
		.amdhsa_exception_fp_ieee_inexact 0
		.amdhsa_exception_int_div_zero 0
	.end_amdhsa_kernel
	.section	.text._ZN7rocprim17ROCPRIM_400000_NS6detail17trampoline_kernelINS0_14default_configENS1_36segmented_radix_sort_config_selectorI12hip_bfloat16lEEZNS1_25segmented_radix_sort_implIS3_Lb0EPKS5_PS5_PKlPlN2at6native12_GLOBAL__N_18offset_tEEE10hipError_tPvRmT1_PNSt15iterator_traitsISL_E10value_typeET2_T3_PNSM_ISR_E10value_typeET4_jRbjT5_SX_jjP12ihipStream_tbEUlT_E2_NS1_11comp_targetILNS1_3genE4ELNS1_11target_archE910ELNS1_3gpuE8ELNS1_3repE0EEENS1_30default_config_static_selectorELNS0_4arch9wavefront6targetE0EEEvSL_,"axG",@progbits,_ZN7rocprim17ROCPRIM_400000_NS6detail17trampoline_kernelINS0_14default_configENS1_36segmented_radix_sort_config_selectorI12hip_bfloat16lEEZNS1_25segmented_radix_sort_implIS3_Lb0EPKS5_PS5_PKlPlN2at6native12_GLOBAL__N_18offset_tEEE10hipError_tPvRmT1_PNSt15iterator_traitsISL_E10value_typeET2_T3_PNSM_ISR_E10value_typeET4_jRbjT5_SX_jjP12ihipStream_tbEUlT_E2_NS1_11comp_targetILNS1_3genE4ELNS1_11target_archE910ELNS1_3gpuE8ELNS1_3repE0EEENS1_30default_config_static_selectorELNS0_4arch9wavefront6targetE0EEEvSL_,comdat
.Lfunc_end2071:
	.size	_ZN7rocprim17ROCPRIM_400000_NS6detail17trampoline_kernelINS0_14default_configENS1_36segmented_radix_sort_config_selectorI12hip_bfloat16lEEZNS1_25segmented_radix_sort_implIS3_Lb0EPKS5_PS5_PKlPlN2at6native12_GLOBAL__N_18offset_tEEE10hipError_tPvRmT1_PNSt15iterator_traitsISL_E10value_typeET2_T3_PNSM_ISR_E10value_typeET4_jRbjT5_SX_jjP12ihipStream_tbEUlT_E2_NS1_11comp_targetILNS1_3genE4ELNS1_11target_archE910ELNS1_3gpuE8ELNS1_3repE0EEENS1_30default_config_static_selectorELNS0_4arch9wavefront6targetE0EEEvSL_, .Lfunc_end2071-_ZN7rocprim17ROCPRIM_400000_NS6detail17trampoline_kernelINS0_14default_configENS1_36segmented_radix_sort_config_selectorI12hip_bfloat16lEEZNS1_25segmented_radix_sort_implIS3_Lb0EPKS5_PS5_PKlPlN2at6native12_GLOBAL__N_18offset_tEEE10hipError_tPvRmT1_PNSt15iterator_traitsISL_E10value_typeET2_T3_PNSM_ISR_E10value_typeET4_jRbjT5_SX_jjP12ihipStream_tbEUlT_E2_NS1_11comp_targetILNS1_3genE4ELNS1_11target_archE910ELNS1_3gpuE8ELNS1_3repE0EEENS1_30default_config_static_selectorELNS0_4arch9wavefront6targetE0EEEvSL_
                                        ; -- End function
	.set _ZN7rocprim17ROCPRIM_400000_NS6detail17trampoline_kernelINS0_14default_configENS1_36segmented_radix_sort_config_selectorI12hip_bfloat16lEEZNS1_25segmented_radix_sort_implIS3_Lb0EPKS5_PS5_PKlPlN2at6native12_GLOBAL__N_18offset_tEEE10hipError_tPvRmT1_PNSt15iterator_traitsISL_E10value_typeET2_T3_PNSM_ISR_E10value_typeET4_jRbjT5_SX_jjP12ihipStream_tbEUlT_E2_NS1_11comp_targetILNS1_3genE4ELNS1_11target_archE910ELNS1_3gpuE8ELNS1_3repE0EEENS1_30default_config_static_selectorELNS0_4arch9wavefront6targetE0EEEvSL_.num_vgpr, 0
	.set _ZN7rocprim17ROCPRIM_400000_NS6detail17trampoline_kernelINS0_14default_configENS1_36segmented_radix_sort_config_selectorI12hip_bfloat16lEEZNS1_25segmented_radix_sort_implIS3_Lb0EPKS5_PS5_PKlPlN2at6native12_GLOBAL__N_18offset_tEEE10hipError_tPvRmT1_PNSt15iterator_traitsISL_E10value_typeET2_T3_PNSM_ISR_E10value_typeET4_jRbjT5_SX_jjP12ihipStream_tbEUlT_E2_NS1_11comp_targetILNS1_3genE4ELNS1_11target_archE910ELNS1_3gpuE8ELNS1_3repE0EEENS1_30default_config_static_selectorELNS0_4arch9wavefront6targetE0EEEvSL_.num_agpr, 0
	.set _ZN7rocprim17ROCPRIM_400000_NS6detail17trampoline_kernelINS0_14default_configENS1_36segmented_radix_sort_config_selectorI12hip_bfloat16lEEZNS1_25segmented_radix_sort_implIS3_Lb0EPKS5_PS5_PKlPlN2at6native12_GLOBAL__N_18offset_tEEE10hipError_tPvRmT1_PNSt15iterator_traitsISL_E10value_typeET2_T3_PNSM_ISR_E10value_typeET4_jRbjT5_SX_jjP12ihipStream_tbEUlT_E2_NS1_11comp_targetILNS1_3genE4ELNS1_11target_archE910ELNS1_3gpuE8ELNS1_3repE0EEENS1_30default_config_static_selectorELNS0_4arch9wavefront6targetE0EEEvSL_.numbered_sgpr, 0
	.set _ZN7rocprim17ROCPRIM_400000_NS6detail17trampoline_kernelINS0_14default_configENS1_36segmented_radix_sort_config_selectorI12hip_bfloat16lEEZNS1_25segmented_radix_sort_implIS3_Lb0EPKS5_PS5_PKlPlN2at6native12_GLOBAL__N_18offset_tEEE10hipError_tPvRmT1_PNSt15iterator_traitsISL_E10value_typeET2_T3_PNSM_ISR_E10value_typeET4_jRbjT5_SX_jjP12ihipStream_tbEUlT_E2_NS1_11comp_targetILNS1_3genE4ELNS1_11target_archE910ELNS1_3gpuE8ELNS1_3repE0EEENS1_30default_config_static_selectorELNS0_4arch9wavefront6targetE0EEEvSL_.num_named_barrier, 0
	.set _ZN7rocprim17ROCPRIM_400000_NS6detail17trampoline_kernelINS0_14default_configENS1_36segmented_radix_sort_config_selectorI12hip_bfloat16lEEZNS1_25segmented_radix_sort_implIS3_Lb0EPKS5_PS5_PKlPlN2at6native12_GLOBAL__N_18offset_tEEE10hipError_tPvRmT1_PNSt15iterator_traitsISL_E10value_typeET2_T3_PNSM_ISR_E10value_typeET4_jRbjT5_SX_jjP12ihipStream_tbEUlT_E2_NS1_11comp_targetILNS1_3genE4ELNS1_11target_archE910ELNS1_3gpuE8ELNS1_3repE0EEENS1_30default_config_static_selectorELNS0_4arch9wavefront6targetE0EEEvSL_.private_seg_size, 0
	.set _ZN7rocprim17ROCPRIM_400000_NS6detail17trampoline_kernelINS0_14default_configENS1_36segmented_radix_sort_config_selectorI12hip_bfloat16lEEZNS1_25segmented_radix_sort_implIS3_Lb0EPKS5_PS5_PKlPlN2at6native12_GLOBAL__N_18offset_tEEE10hipError_tPvRmT1_PNSt15iterator_traitsISL_E10value_typeET2_T3_PNSM_ISR_E10value_typeET4_jRbjT5_SX_jjP12ihipStream_tbEUlT_E2_NS1_11comp_targetILNS1_3genE4ELNS1_11target_archE910ELNS1_3gpuE8ELNS1_3repE0EEENS1_30default_config_static_selectorELNS0_4arch9wavefront6targetE0EEEvSL_.uses_vcc, 0
	.set _ZN7rocprim17ROCPRIM_400000_NS6detail17trampoline_kernelINS0_14default_configENS1_36segmented_radix_sort_config_selectorI12hip_bfloat16lEEZNS1_25segmented_radix_sort_implIS3_Lb0EPKS5_PS5_PKlPlN2at6native12_GLOBAL__N_18offset_tEEE10hipError_tPvRmT1_PNSt15iterator_traitsISL_E10value_typeET2_T3_PNSM_ISR_E10value_typeET4_jRbjT5_SX_jjP12ihipStream_tbEUlT_E2_NS1_11comp_targetILNS1_3genE4ELNS1_11target_archE910ELNS1_3gpuE8ELNS1_3repE0EEENS1_30default_config_static_selectorELNS0_4arch9wavefront6targetE0EEEvSL_.uses_flat_scratch, 0
	.set _ZN7rocprim17ROCPRIM_400000_NS6detail17trampoline_kernelINS0_14default_configENS1_36segmented_radix_sort_config_selectorI12hip_bfloat16lEEZNS1_25segmented_radix_sort_implIS3_Lb0EPKS5_PS5_PKlPlN2at6native12_GLOBAL__N_18offset_tEEE10hipError_tPvRmT1_PNSt15iterator_traitsISL_E10value_typeET2_T3_PNSM_ISR_E10value_typeET4_jRbjT5_SX_jjP12ihipStream_tbEUlT_E2_NS1_11comp_targetILNS1_3genE4ELNS1_11target_archE910ELNS1_3gpuE8ELNS1_3repE0EEENS1_30default_config_static_selectorELNS0_4arch9wavefront6targetE0EEEvSL_.has_dyn_sized_stack, 0
	.set _ZN7rocprim17ROCPRIM_400000_NS6detail17trampoline_kernelINS0_14default_configENS1_36segmented_radix_sort_config_selectorI12hip_bfloat16lEEZNS1_25segmented_radix_sort_implIS3_Lb0EPKS5_PS5_PKlPlN2at6native12_GLOBAL__N_18offset_tEEE10hipError_tPvRmT1_PNSt15iterator_traitsISL_E10value_typeET2_T3_PNSM_ISR_E10value_typeET4_jRbjT5_SX_jjP12ihipStream_tbEUlT_E2_NS1_11comp_targetILNS1_3genE4ELNS1_11target_archE910ELNS1_3gpuE8ELNS1_3repE0EEENS1_30default_config_static_selectorELNS0_4arch9wavefront6targetE0EEEvSL_.has_recursion, 0
	.set _ZN7rocprim17ROCPRIM_400000_NS6detail17trampoline_kernelINS0_14default_configENS1_36segmented_radix_sort_config_selectorI12hip_bfloat16lEEZNS1_25segmented_radix_sort_implIS3_Lb0EPKS5_PS5_PKlPlN2at6native12_GLOBAL__N_18offset_tEEE10hipError_tPvRmT1_PNSt15iterator_traitsISL_E10value_typeET2_T3_PNSM_ISR_E10value_typeET4_jRbjT5_SX_jjP12ihipStream_tbEUlT_E2_NS1_11comp_targetILNS1_3genE4ELNS1_11target_archE910ELNS1_3gpuE8ELNS1_3repE0EEENS1_30default_config_static_selectorELNS0_4arch9wavefront6targetE0EEEvSL_.has_indirect_call, 0
	.section	.AMDGPU.csdata,"",@progbits
; Kernel info:
; codeLenInByte = 0
; TotalNumSgprs: 0
; NumVgprs: 0
; ScratchSize: 0
; MemoryBound: 0
; FloatMode: 240
; IeeeMode: 1
; LDSByteSize: 0 bytes/workgroup (compile time only)
; SGPRBlocks: 0
; VGPRBlocks: 0
; NumSGPRsForWavesPerEU: 1
; NumVGPRsForWavesPerEU: 1
; Occupancy: 16
; WaveLimiterHint : 0
; COMPUTE_PGM_RSRC2:SCRATCH_EN: 0
; COMPUTE_PGM_RSRC2:USER_SGPR: 6
; COMPUTE_PGM_RSRC2:TRAP_HANDLER: 0
; COMPUTE_PGM_RSRC2:TGID_X_EN: 1
; COMPUTE_PGM_RSRC2:TGID_Y_EN: 0
; COMPUTE_PGM_RSRC2:TGID_Z_EN: 0
; COMPUTE_PGM_RSRC2:TIDIG_COMP_CNT: 0
	.section	.text._ZN7rocprim17ROCPRIM_400000_NS6detail17trampoline_kernelINS0_14default_configENS1_36segmented_radix_sort_config_selectorI12hip_bfloat16lEEZNS1_25segmented_radix_sort_implIS3_Lb0EPKS5_PS5_PKlPlN2at6native12_GLOBAL__N_18offset_tEEE10hipError_tPvRmT1_PNSt15iterator_traitsISL_E10value_typeET2_T3_PNSM_ISR_E10value_typeET4_jRbjT5_SX_jjP12ihipStream_tbEUlT_E2_NS1_11comp_targetILNS1_3genE3ELNS1_11target_archE908ELNS1_3gpuE7ELNS1_3repE0EEENS1_30default_config_static_selectorELNS0_4arch9wavefront6targetE0EEEvSL_,"axG",@progbits,_ZN7rocprim17ROCPRIM_400000_NS6detail17trampoline_kernelINS0_14default_configENS1_36segmented_radix_sort_config_selectorI12hip_bfloat16lEEZNS1_25segmented_radix_sort_implIS3_Lb0EPKS5_PS5_PKlPlN2at6native12_GLOBAL__N_18offset_tEEE10hipError_tPvRmT1_PNSt15iterator_traitsISL_E10value_typeET2_T3_PNSM_ISR_E10value_typeET4_jRbjT5_SX_jjP12ihipStream_tbEUlT_E2_NS1_11comp_targetILNS1_3genE3ELNS1_11target_archE908ELNS1_3gpuE7ELNS1_3repE0EEENS1_30default_config_static_selectorELNS0_4arch9wavefront6targetE0EEEvSL_,comdat
	.globl	_ZN7rocprim17ROCPRIM_400000_NS6detail17trampoline_kernelINS0_14default_configENS1_36segmented_radix_sort_config_selectorI12hip_bfloat16lEEZNS1_25segmented_radix_sort_implIS3_Lb0EPKS5_PS5_PKlPlN2at6native12_GLOBAL__N_18offset_tEEE10hipError_tPvRmT1_PNSt15iterator_traitsISL_E10value_typeET2_T3_PNSM_ISR_E10value_typeET4_jRbjT5_SX_jjP12ihipStream_tbEUlT_E2_NS1_11comp_targetILNS1_3genE3ELNS1_11target_archE908ELNS1_3gpuE7ELNS1_3repE0EEENS1_30default_config_static_selectorELNS0_4arch9wavefront6targetE0EEEvSL_ ; -- Begin function _ZN7rocprim17ROCPRIM_400000_NS6detail17trampoline_kernelINS0_14default_configENS1_36segmented_radix_sort_config_selectorI12hip_bfloat16lEEZNS1_25segmented_radix_sort_implIS3_Lb0EPKS5_PS5_PKlPlN2at6native12_GLOBAL__N_18offset_tEEE10hipError_tPvRmT1_PNSt15iterator_traitsISL_E10value_typeET2_T3_PNSM_ISR_E10value_typeET4_jRbjT5_SX_jjP12ihipStream_tbEUlT_E2_NS1_11comp_targetILNS1_3genE3ELNS1_11target_archE908ELNS1_3gpuE7ELNS1_3repE0EEENS1_30default_config_static_selectorELNS0_4arch9wavefront6targetE0EEEvSL_
	.p2align	8
	.type	_ZN7rocprim17ROCPRIM_400000_NS6detail17trampoline_kernelINS0_14default_configENS1_36segmented_radix_sort_config_selectorI12hip_bfloat16lEEZNS1_25segmented_radix_sort_implIS3_Lb0EPKS5_PS5_PKlPlN2at6native12_GLOBAL__N_18offset_tEEE10hipError_tPvRmT1_PNSt15iterator_traitsISL_E10value_typeET2_T3_PNSM_ISR_E10value_typeET4_jRbjT5_SX_jjP12ihipStream_tbEUlT_E2_NS1_11comp_targetILNS1_3genE3ELNS1_11target_archE908ELNS1_3gpuE7ELNS1_3repE0EEENS1_30default_config_static_selectorELNS0_4arch9wavefront6targetE0EEEvSL_,@function
_ZN7rocprim17ROCPRIM_400000_NS6detail17trampoline_kernelINS0_14default_configENS1_36segmented_radix_sort_config_selectorI12hip_bfloat16lEEZNS1_25segmented_radix_sort_implIS3_Lb0EPKS5_PS5_PKlPlN2at6native12_GLOBAL__N_18offset_tEEE10hipError_tPvRmT1_PNSt15iterator_traitsISL_E10value_typeET2_T3_PNSM_ISR_E10value_typeET4_jRbjT5_SX_jjP12ihipStream_tbEUlT_E2_NS1_11comp_targetILNS1_3genE3ELNS1_11target_archE908ELNS1_3gpuE7ELNS1_3repE0EEENS1_30default_config_static_selectorELNS0_4arch9wavefront6targetE0EEEvSL_: ; @_ZN7rocprim17ROCPRIM_400000_NS6detail17trampoline_kernelINS0_14default_configENS1_36segmented_radix_sort_config_selectorI12hip_bfloat16lEEZNS1_25segmented_radix_sort_implIS3_Lb0EPKS5_PS5_PKlPlN2at6native12_GLOBAL__N_18offset_tEEE10hipError_tPvRmT1_PNSt15iterator_traitsISL_E10value_typeET2_T3_PNSM_ISR_E10value_typeET4_jRbjT5_SX_jjP12ihipStream_tbEUlT_E2_NS1_11comp_targetILNS1_3genE3ELNS1_11target_archE908ELNS1_3gpuE7ELNS1_3repE0EEENS1_30default_config_static_selectorELNS0_4arch9wavefront6targetE0EEEvSL_
; %bb.0:
	.section	.rodata,"a",@progbits
	.p2align	6, 0x0
	.amdhsa_kernel _ZN7rocprim17ROCPRIM_400000_NS6detail17trampoline_kernelINS0_14default_configENS1_36segmented_radix_sort_config_selectorI12hip_bfloat16lEEZNS1_25segmented_radix_sort_implIS3_Lb0EPKS5_PS5_PKlPlN2at6native12_GLOBAL__N_18offset_tEEE10hipError_tPvRmT1_PNSt15iterator_traitsISL_E10value_typeET2_T3_PNSM_ISR_E10value_typeET4_jRbjT5_SX_jjP12ihipStream_tbEUlT_E2_NS1_11comp_targetILNS1_3genE3ELNS1_11target_archE908ELNS1_3gpuE7ELNS1_3repE0EEENS1_30default_config_static_selectorELNS0_4arch9wavefront6targetE0EEEvSL_
		.amdhsa_group_segment_fixed_size 0
		.amdhsa_private_segment_fixed_size 0
		.amdhsa_kernarg_size 80
		.amdhsa_user_sgpr_count 6
		.amdhsa_user_sgpr_private_segment_buffer 1
		.amdhsa_user_sgpr_dispatch_ptr 0
		.amdhsa_user_sgpr_queue_ptr 0
		.amdhsa_user_sgpr_kernarg_segment_ptr 1
		.amdhsa_user_sgpr_dispatch_id 0
		.amdhsa_user_sgpr_flat_scratch_init 0
		.amdhsa_user_sgpr_private_segment_size 0
		.amdhsa_wavefront_size32 1
		.amdhsa_uses_dynamic_stack 0
		.amdhsa_system_sgpr_private_segment_wavefront_offset 0
		.amdhsa_system_sgpr_workgroup_id_x 1
		.amdhsa_system_sgpr_workgroup_id_y 0
		.amdhsa_system_sgpr_workgroup_id_z 0
		.amdhsa_system_sgpr_workgroup_info 0
		.amdhsa_system_vgpr_workitem_id 0
		.amdhsa_next_free_vgpr 1
		.amdhsa_next_free_sgpr 1
		.amdhsa_reserve_vcc 0
		.amdhsa_reserve_flat_scratch 0
		.amdhsa_float_round_mode_32 0
		.amdhsa_float_round_mode_16_64 0
		.amdhsa_float_denorm_mode_32 3
		.amdhsa_float_denorm_mode_16_64 3
		.amdhsa_dx10_clamp 1
		.amdhsa_ieee_mode 1
		.amdhsa_fp16_overflow 0
		.amdhsa_workgroup_processor_mode 1
		.amdhsa_memory_ordered 1
		.amdhsa_forward_progress 1
		.amdhsa_shared_vgpr_count 0
		.amdhsa_exception_fp_ieee_invalid_op 0
		.amdhsa_exception_fp_denorm_src 0
		.amdhsa_exception_fp_ieee_div_zero 0
		.amdhsa_exception_fp_ieee_overflow 0
		.amdhsa_exception_fp_ieee_underflow 0
		.amdhsa_exception_fp_ieee_inexact 0
		.amdhsa_exception_int_div_zero 0
	.end_amdhsa_kernel
	.section	.text._ZN7rocprim17ROCPRIM_400000_NS6detail17trampoline_kernelINS0_14default_configENS1_36segmented_radix_sort_config_selectorI12hip_bfloat16lEEZNS1_25segmented_radix_sort_implIS3_Lb0EPKS5_PS5_PKlPlN2at6native12_GLOBAL__N_18offset_tEEE10hipError_tPvRmT1_PNSt15iterator_traitsISL_E10value_typeET2_T3_PNSM_ISR_E10value_typeET4_jRbjT5_SX_jjP12ihipStream_tbEUlT_E2_NS1_11comp_targetILNS1_3genE3ELNS1_11target_archE908ELNS1_3gpuE7ELNS1_3repE0EEENS1_30default_config_static_selectorELNS0_4arch9wavefront6targetE0EEEvSL_,"axG",@progbits,_ZN7rocprim17ROCPRIM_400000_NS6detail17trampoline_kernelINS0_14default_configENS1_36segmented_radix_sort_config_selectorI12hip_bfloat16lEEZNS1_25segmented_radix_sort_implIS3_Lb0EPKS5_PS5_PKlPlN2at6native12_GLOBAL__N_18offset_tEEE10hipError_tPvRmT1_PNSt15iterator_traitsISL_E10value_typeET2_T3_PNSM_ISR_E10value_typeET4_jRbjT5_SX_jjP12ihipStream_tbEUlT_E2_NS1_11comp_targetILNS1_3genE3ELNS1_11target_archE908ELNS1_3gpuE7ELNS1_3repE0EEENS1_30default_config_static_selectorELNS0_4arch9wavefront6targetE0EEEvSL_,comdat
.Lfunc_end2072:
	.size	_ZN7rocprim17ROCPRIM_400000_NS6detail17trampoline_kernelINS0_14default_configENS1_36segmented_radix_sort_config_selectorI12hip_bfloat16lEEZNS1_25segmented_radix_sort_implIS3_Lb0EPKS5_PS5_PKlPlN2at6native12_GLOBAL__N_18offset_tEEE10hipError_tPvRmT1_PNSt15iterator_traitsISL_E10value_typeET2_T3_PNSM_ISR_E10value_typeET4_jRbjT5_SX_jjP12ihipStream_tbEUlT_E2_NS1_11comp_targetILNS1_3genE3ELNS1_11target_archE908ELNS1_3gpuE7ELNS1_3repE0EEENS1_30default_config_static_selectorELNS0_4arch9wavefront6targetE0EEEvSL_, .Lfunc_end2072-_ZN7rocprim17ROCPRIM_400000_NS6detail17trampoline_kernelINS0_14default_configENS1_36segmented_radix_sort_config_selectorI12hip_bfloat16lEEZNS1_25segmented_radix_sort_implIS3_Lb0EPKS5_PS5_PKlPlN2at6native12_GLOBAL__N_18offset_tEEE10hipError_tPvRmT1_PNSt15iterator_traitsISL_E10value_typeET2_T3_PNSM_ISR_E10value_typeET4_jRbjT5_SX_jjP12ihipStream_tbEUlT_E2_NS1_11comp_targetILNS1_3genE3ELNS1_11target_archE908ELNS1_3gpuE7ELNS1_3repE0EEENS1_30default_config_static_selectorELNS0_4arch9wavefront6targetE0EEEvSL_
                                        ; -- End function
	.set _ZN7rocprim17ROCPRIM_400000_NS6detail17trampoline_kernelINS0_14default_configENS1_36segmented_radix_sort_config_selectorI12hip_bfloat16lEEZNS1_25segmented_radix_sort_implIS3_Lb0EPKS5_PS5_PKlPlN2at6native12_GLOBAL__N_18offset_tEEE10hipError_tPvRmT1_PNSt15iterator_traitsISL_E10value_typeET2_T3_PNSM_ISR_E10value_typeET4_jRbjT5_SX_jjP12ihipStream_tbEUlT_E2_NS1_11comp_targetILNS1_3genE3ELNS1_11target_archE908ELNS1_3gpuE7ELNS1_3repE0EEENS1_30default_config_static_selectorELNS0_4arch9wavefront6targetE0EEEvSL_.num_vgpr, 0
	.set _ZN7rocprim17ROCPRIM_400000_NS6detail17trampoline_kernelINS0_14default_configENS1_36segmented_radix_sort_config_selectorI12hip_bfloat16lEEZNS1_25segmented_radix_sort_implIS3_Lb0EPKS5_PS5_PKlPlN2at6native12_GLOBAL__N_18offset_tEEE10hipError_tPvRmT1_PNSt15iterator_traitsISL_E10value_typeET2_T3_PNSM_ISR_E10value_typeET4_jRbjT5_SX_jjP12ihipStream_tbEUlT_E2_NS1_11comp_targetILNS1_3genE3ELNS1_11target_archE908ELNS1_3gpuE7ELNS1_3repE0EEENS1_30default_config_static_selectorELNS0_4arch9wavefront6targetE0EEEvSL_.num_agpr, 0
	.set _ZN7rocprim17ROCPRIM_400000_NS6detail17trampoline_kernelINS0_14default_configENS1_36segmented_radix_sort_config_selectorI12hip_bfloat16lEEZNS1_25segmented_radix_sort_implIS3_Lb0EPKS5_PS5_PKlPlN2at6native12_GLOBAL__N_18offset_tEEE10hipError_tPvRmT1_PNSt15iterator_traitsISL_E10value_typeET2_T3_PNSM_ISR_E10value_typeET4_jRbjT5_SX_jjP12ihipStream_tbEUlT_E2_NS1_11comp_targetILNS1_3genE3ELNS1_11target_archE908ELNS1_3gpuE7ELNS1_3repE0EEENS1_30default_config_static_selectorELNS0_4arch9wavefront6targetE0EEEvSL_.numbered_sgpr, 0
	.set _ZN7rocprim17ROCPRIM_400000_NS6detail17trampoline_kernelINS0_14default_configENS1_36segmented_radix_sort_config_selectorI12hip_bfloat16lEEZNS1_25segmented_radix_sort_implIS3_Lb0EPKS5_PS5_PKlPlN2at6native12_GLOBAL__N_18offset_tEEE10hipError_tPvRmT1_PNSt15iterator_traitsISL_E10value_typeET2_T3_PNSM_ISR_E10value_typeET4_jRbjT5_SX_jjP12ihipStream_tbEUlT_E2_NS1_11comp_targetILNS1_3genE3ELNS1_11target_archE908ELNS1_3gpuE7ELNS1_3repE0EEENS1_30default_config_static_selectorELNS0_4arch9wavefront6targetE0EEEvSL_.num_named_barrier, 0
	.set _ZN7rocprim17ROCPRIM_400000_NS6detail17trampoline_kernelINS0_14default_configENS1_36segmented_radix_sort_config_selectorI12hip_bfloat16lEEZNS1_25segmented_radix_sort_implIS3_Lb0EPKS5_PS5_PKlPlN2at6native12_GLOBAL__N_18offset_tEEE10hipError_tPvRmT1_PNSt15iterator_traitsISL_E10value_typeET2_T3_PNSM_ISR_E10value_typeET4_jRbjT5_SX_jjP12ihipStream_tbEUlT_E2_NS1_11comp_targetILNS1_3genE3ELNS1_11target_archE908ELNS1_3gpuE7ELNS1_3repE0EEENS1_30default_config_static_selectorELNS0_4arch9wavefront6targetE0EEEvSL_.private_seg_size, 0
	.set _ZN7rocprim17ROCPRIM_400000_NS6detail17trampoline_kernelINS0_14default_configENS1_36segmented_radix_sort_config_selectorI12hip_bfloat16lEEZNS1_25segmented_radix_sort_implIS3_Lb0EPKS5_PS5_PKlPlN2at6native12_GLOBAL__N_18offset_tEEE10hipError_tPvRmT1_PNSt15iterator_traitsISL_E10value_typeET2_T3_PNSM_ISR_E10value_typeET4_jRbjT5_SX_jjP12ihipStream_tbEUlT_E2_NS1_11comp_targetILNS1_3genE3ELNS1_11target_archE908ELNS1_3gpuE7ELNS1_3repE0EEENS1_30default_config_static_selectorELNS0_4arch9wavefront6targetE0EEEvSL_.uses_vcc, 0
	.set _ZN7rocprim17ROCPRIM_400000_NS6detail17trampoline_kernelINS0_14default_configENS1_36segmented_radix_sort_config_selectorI12hip_bfloat16lEEZNS1_25segmented_radix_sort_implIS3_Lb0EPKS5_PS5_PKlPlN2at6native12_GLOBAL__N_18offset_tEEE10hipError_tPvRmT1_PNSt15iterator_traitsISL_E10value_typeET2_T3_PNSM_ISR_E10value_typeET4_jRbjT5_SX_jjP12ihipStream_tbEUlT_E2_NS1_11comp_targetILNS1_3genE3ELNS1_11target_archE908ELNS1_3gpuE7ELNS1_3repE0EEENS1_30default_config_static_selectorELNS0_4arch9wavefront6targetE0EEEvSL_.uses_flat_scratch, 0
	.set _ZN7rocprim17ROCPRIM_400000_NS6detail17trampoline_kernelINS0_14default_configENS1_36segmented_radix_sort_config_selectorI12hip_bfloat16lEEZNS1_25segmented_radix_sort_implIS3_Lb0EPKS5_PS5_PKlPlN2at6native12_GLOBAL__N_18offset_tEEE10hipError_tPvRmT1_PNSt15iterator_traitsISL_E10value_typeET2_T3_PNSM_ISR_E10value_typeET4_jRbjT5_SX_jjP12ihipStream_tbEUlT_E2_NS1_11comp_targetILNS1_3genE3ELNS1_11target_archE908ELNS1_3gpuE7ELNS1_3repE0EEENS1_30default_config_static_selectorELNS0_4arch9wavefront6targetE0EEEvSL_.has_dyn_sized_stack, 0
	.set _ZN7rocprim17ROCPRIM_400000_NS6detail17trampoline_kernelINS0_14default_configENS1_36segmented_radix_sort_config_selectorI12hip_bfloat16lEEZNS1_25segmented_radix_sort_implIS3_Lb0EPKS5_PS5_PKlPlN2at6native12_GLOBAL__N_18offset_tEEE10hipError_tPvRmT1_PNSt15iterator_traitsISL_E10value_typeET2_T3_PNSM_ISR_E10value_typeET4_jRbjT5_SX_jjP12ihipStream_tbEUlT_E2_NS1_11comp_targetILNS1_3genE3ELNS1_11target_archE908ELNS1_3gpuE7ELNS1_3repE0EEENS1_30default_config_static_selectorELNS0_4arch9wavefront6targetE0EEEvSL_.has_recursion, 0
	.set _ZN7rocprim17ROCPRIM_400000_NS6detail17trampoline_kernelINS0_14default_configENS1_36segmented_radix_sort_config_selectorI12hip_bfloat16lEEZNS1_25segmented_radix_sort_implIS3_Lb0EPKS5_PS5_PKlPlN2at6native12_GLOBAL__N_18offset_tEEE10hipError_tPvRmT1_PNSt15iterator_traitsISL_E10value_typeET2_T3_PNSM_ISR_E10value_typeET4_jRbjT5_SX_jjP12ihipStream_tbEUlT_E2_NS1_11comp_targetILNS1_3genE3ELNS1_11target_archE908ELNS1_3gpuE7ELNS1_3repE0EEENS1_30default_config_static_selectorELNS0_4arch9wavefront6targetE0EEEvSL_.has_indirect_call, 0
	.section	.AMDGPU.csdata,"",@progbits
; Kernel info:
; codeLenInByte = 0
; TotalNumSgprs: 0
; NumVgprs: 0
; ScratchSize: 0
; MemoryBound: 0
; FloatMode: 240
; IeeeMode: 1
; LDSByteSize: 0 bytes/workgroup (compile time only)
; SGPRBlocks: 0
; VGPRBlocks: 0
; NumSGPRsForWavesPerEU: 1
; NumVGPRsForWavesPerEU: 1
; Occupancy: 16
; WaveLimiterHint : 0
; COMPUTE_PGM_RSRC2:SCRATCH_EN: 0
; COMPUTE_PGM_RSRC2:USER_SGPR: 6
; COMPUTE_PGM_RSRC2:TRAP_HANDLER: 0
; COMPUTE_PGM_RSRC2:TGID_X_EN: 1
; COMPUTE_PGM_RSRC2:TGID_Y_EN: 0
; COMPUTE_PGM_RSRC2:TGID_Z_EN: 0
; COMPUTE_PGM_RSRC2:TIDIG_COMP_CNT: 0
	.section	.text._ZN7rocprim17ROCPRIM_400000_NS6detail17trampoline_kernelINS0_14default_configENS1_36segmented_radix_sort_config_selectorI12hip_bfloat16lEEZNS1_25segmented_radix_sort_implIS3_Lb0EPKS5_PS5_PKlPlN2at6native12_GLOBAL__N_18offset_tEEE10hipError_tPvRmT1_PNSt15iterator_traitsISL_E10value_typeET2_T3_PNSM_ISR_E10value_typeET4_jRbjT5_SX_jjP12ihipStream_tbEUlT_E2_NS1_11comp_targetILNS1_3genE2ELNS1_11target_archE906ELNS1_3gpuE6ELNS1_3repE0EEENS1_30default_config_static_selectorELNS0_4arch9wavefront6targetE0EEEvSL_,"axG",@progbits,_ZN7rocprim17ROCPRIM_400000_NS6detail17trampoline_kernelINS0_14default_configENS1_36segmented_radix_sort_config_selectorI12hip_bfloat16lEEZNS1_25segmented_radix_sort_implIS3_Lb0EPKS5_PS5_PKlPlN2at6native12_GLOBAL__N_18offset_tEEE10hipError_tPvRmT1_PNSt15iterator_traitsISL_E10value_typeET2_T3_PNSM_ISR_E10value_typeET4_jRbjT5_SX_jjP12ihipStream_tbEUlT_E2_NS1_11comp_targetILNS1_3genE2ELNS1_11target_archE906ELNS1_3gpuE6ELNS1_3repE0EEENS1_30default_config_static_selectorELNS0_4arch9wavefront6targetE0EEEvSL_,comdat
	.globl	_ZN7rocprim17ROCPRIM_400000_NS6detail17trampoline_kernelINS0_14default_configENS1_36segmented_radix_sort_config_selectorI12hip_bfloat16lEEZNS1_25segmented_radix_sort_implIS3_Lb0EPKS5_PS5_PKlPlN2at6native12_GLOBAL__N_18offset_tEEE10hipError_tPvRmT1_PNSt15iterator_traitsISL_E10value_typeET2_T3_PNSM_ISR_E10value_typeET4_jRbjT5_SX_jjP12ihipStream_tbEUlT_E2_NS1_11comp_targetILNS1_3genE2ELNS1_11target_archE906ELNS1_3gpuE6ELNS1_3repE0EEENS1_30default_config_static_selectorELNS0_4arch9wavefront6targetE0EEEvSL_ ; -- Begin function _ZN7rocprim17ROCPRIM_400000_NS6detail17trampoline_kernelINS0_14default_configENS1_36segmented_radix_sort_config_selectorI12hip_bfloat16lEEZNS1_25segmented_radix_sort_implIS3_Lb0EPKS5_PS5_PKlPlN2at6native12_GLOBAL__N_18offset_tEEE10hipError_tPvRmT1_PNSt15iterator_traitsISL_E10value_typeET2_T3_PNSM_ISR_E10value_typeET4_jRbjT5_SX_jjP12ihipStream_tbEUlT_E2_NS1_11comp_targetILNS1_3genE2ELNS1_11target_archE906ELNS1_3gpuE6ELNS1_3repE0EEENS1_30default_config_static_selectorELNS0_4arch9wavefront6targetE0EEEvSL_
	.p2align	8
	.type	_ZN7rocprim17ROCPRIM_400000_NS6detail17trampoline_kernelINS0_14default_configENS1_36segmented_radix_sort_config_selectorI12hip_bfloat16lEEZNS1_25segmented_radix_sort_implIS3_Lb0EPKS5_PS5_PKlPlN2at6native12_GLOBAL__N_18offset_tEEE10hipError_tPvRmT1_PNSt15iterator_traitsISL_E10value_typeET2_T3_PNSM_ISR_E10value_typeET4_jRbjT5_SX_jjP12ihipStream_tbEUlT_E2_NS1_11comp_targetILNS1_3genE2ELNS1_11target_archE906ELNS1_3gpuE6ELNS1_3repE0EEENS1_30default_config_static_selectorELNS0_4arch9wavefront6targetE0EEEvSL_,@function
_ZN7rocprim17ROCPRIM_400000_NS6detail17trampoline_kernelINS0_14default_configENS1_36segmented_radix_sort_config_selectorI12hip_bfloat16lEEZNS1_25segmented_radix_sort_implIS3_Lb0EPKS5_PS5_PKlPlN2at6native12_GLOBAL__N_18offset_tEEE10hipError_tPvRmT1_PNSt15iterator_traitsISL_E10value_typeET2_T3_PNSM_ISR_E10value_typeET4_jRbjT5_SX_jjP12ihipStream_tbEUlT_E2_NS1_11comp_targetILNS1_3genE2ELNS1_11target_archE906ELNS1_3gpuE6ELNS1_3repE0EEENS1_30default_config_static_selectorELNS0_4arch9wavefront6targetE0EEEvSL_: ; @_ZN7rocprim17ROCPRIM_400000_NS6detail17trampoline_kernelINS0_14default_configENS1_36segmented_radix_sort_config_selectorI12hip_bfloat16lEEZNS1_25segmented_radix_sort_implIS3_Lb0EPKS5_PS5_PKlPlN2at6native12_GLOBAL__N_18offset_tEEE10hipError_tPvRmT1_PNSt15iterator_traitsISL_E10value_typeET2_T3_PNSM_ISR_E10value_typeET4_jRbjT5_SX_jjP12ihipStream_tbEUlT_E2_NS1_11comp_targetILNS1_3genE2ELNS1_11target_archE906ELNS1_3gpuE6ELNS1_3repE0EEENS1_30default_config_static_selectorELNS0_4arch9wavefront6targetE0EEEvSL_
; %bb.0:
	.section	.rodata,"a",@progbits
	.p2align	6, 0x0
	.amdhsa_kernel _ZN7rocprim17ROCPRIM_400000_NS6detail17trampoline_kernelINS0_14default_configENS1_36segmented_radix_sort_config_selectorI12hip_bfloat16lEEZNS1_25segmented_radix_sort_implIS3_Lb0EPKS5_PS5_PKlPlN2at6native12_GLOBAL__N_18offset_tEEE10hipError_tPvRmT1_PNSt15iterator_traitsISL_E10value_typeET2_T3_PNSM_ISR_E10value_typeET4_jRbjT5_SX_jjP12ihipStream_tbEUlT_E2_NS1_11comp_targetILNS1_3genE2ELNS1_11target_archE906ELNS1_3gpuE6ELNS1_3repE0EEENS1_30default_config_static_selectorELNS0_4arch9wavefront6targetE0EEEvSL_
		.amdhsa_group_segment_fixed_size 0
		.amdhsa_private_segment_fixed_size 0
		.amdhsa_kernarg_size 80
		.amdhsa_user_sgpr_count 6
		.amdhsa_user_sgpr_private_segment_buffer 1
		.amdhsa_user_sgpr_dispatch_ptr 0
		.amdhsa_user_sgpr_queue_ptr 0
		.amdhsa_user_sgpr_kernarg_segment_ptr 1
		.amdhsa_user_sgpr_dispatch_id 0
		.amdhsa_user_sgpr_flat_scratch_init 0
		.amdhsa_user_sgpr_private_segment_size 0
		.amdhsa_wavefront_size32 1
		.amdhsa_uses_dynamic_stack 0
		.amdhsa_system_sgpr_private_segment_wavefront_offset 0
		.amdhsa_system_sgpr_workgroup_id_x 1
		.amdhsa_system_sgpr_workgroup_id_y 0
		.amdhsa_system_sgpr_workgroup_id_z 0
		.amdhsa_system_sgpr_workgroup_info 0
		.amdhsa_system_vgpr_workitem_id 0
		.amdhsa_next_free_vgpr 1
		.amdhsa_next_free_sgpr 1
		.amdhsa_reserve_vcc 0
		.amdhsa_reserve_flat_scratch 0
		.amdhsa_float_round_mode_32 0
		.amdhsa_float_round_mode_16_64 0
		.amdhsa_float_denorm_mode_32 3
		.amdhsa_float_denorm_mode_16_64 3
		.amdhsa_dx10_clamp 1
		.amdhsa_ieee_mode 1
		.amdhsa_fp16_overflow 0
		.amdhsa_workgroup_processor_mode 1
		.amdhsa_memory_ordered 1
		.amdhsa_forward_progress 1
		.amdhsa_shared_vgpr_count 0
		.amdhsa_exception_fp_ieee_invalid_op 0
		.amdhsa_exception_fp_denorm_src 0
		.amdhsa_exception_fp_ieee_div_zero 0
		.amdhsa_exception_fp_ieee_overflow 0
		.amdhsa_exception_fp_ieee_underflow 0
		.amdhsa_exception_fp_ieee_inexact 0
		.amdhsa_exception_int_div_zero 0
	.end_amdhsa_kernel
	.section	.text._ZN7rocprim17ROCPRIM_400000_NS6detail17trampoline_kernelINS0_14default_configENS1_36segmented_radix_sort_config_selectorI12hip_bfloat16lEEZNS1_25segmented_radix_sort_implIS3_Lb0EPKS5_PS5_PKlPlN2at6native12_GLOBAL__N_18offset_tEEE10hipError_tPvRmT1_PNSt15iterator_traitsISL_E10value_typeET2_T3_PNSM_ISR_E10value_typeET4_jRbjT5_SX_jjP12ihipStream_tbEUlT_E2_NS1_11comp_targetILNS1_3genE2ELNS1_11target_archE906ELNS1_3gpuE6ELNS1_3repE0EEENS1_30default_config_static_selectorELNS0_4arch9wavefront6targetE0EEEvSL_,"axG",@progbits,_ZN7rocprim17ROCPRIM_400000_NS6detail17trampoline_kernelINS0_14default_configENS1_36segmented_radix_sort_config_selectorI12hip_bfloat16lEEZNS1_25segmented_radix_sort_implIS3_Lb0EPKS5_PS5_PKlPlN2at6native12_GLOBAL__N_18offset_tEEE10hipError_tPvRmT1_PNSt15iterator_traitsISL_E10value_typeET2_T3_PNSM_ISR_E10value_typeET4_jRbjT5_SX_jjP12ihipStream_tbEUlT_E2_NS1_11comp_targetILNS1_3genE2ELNS1_11target_archE906ELNS1_3gpuE6ELNS1_3repE0EEENS1_30default_config_static_selectorELNS0_4arch9wavefront6targetE0EEEvSL_,comdat
.Lfunc_end2073:
	.size	_ZN7rocprim17ROCPRIM_400000_NS6detail17trampoline_kernelINS0_14default_configENS1_36segmented_radix_sort_config_selectorI12hip_bfloat16lEEZNS1_25segmented_radix_sort_implIS3_Lb0EPKS5_PS5_PKlPlN2at6native12_GLOBAL__N_18offset_tEEE10hipError_tPvRmT1_PNSt15iterator_traitsISL_E10value_typeET2_T3_PNSM_ISR_E10value_typeET4_jRbjT5_SX_jjP12ihipStream_tbEUlT_E2_NS1_11comp_targetILNS1_3genE2ELNS1_11target_archE906ELNS1_3gpuE6ELNS1_3repE0EEENS1_30default_config_static_selectorELNS0_4arch9wavefront6targetE0EEEvSL_, .Lfunc_end2073-_ZN7rocprim17ROCPRIM_400000_NS6detail17trampoline_kernelINS0_14default_configENS1_36segmented_radix_sort_config_selectorI12hip_bfloat16lEEZNS1_25segmented_radix_sort_implIS3_Lb0EPKS5_PS5_PKlPlN2at6native12_GLOBAL__N_18offset_tEEE10hipError_tPvRmT1_PNSt15iterator_traitsISL_E10value_typeET2_T3_PNSM_ISR_E10value_typeET4_jRbjT5_SX_jjP12ihipStream_tbEUlT_E2_NS1_11comp_targetILNS1_3genE2ELNS1_11target_archE906ELNS1_3gpuE6ELNS1_3repE0EEENS1_30default_config_static_selectorELNS0_4arch9wavefront6targetE0EEEvSL_
                                        ; -- End function
	.set _ZN7rocprim17ROCPRIM_400000_NS6detail17trampoline_kernelINS0_14default_configENS1_36segmented_radix_sort_config_selectorI12hip_bfloat16lEEZNS1_25segmented_radix_sort_implIS3_Lb0EPKS5_PS5_PKlPlN2at6native12_GLOBAL__N_18offset_tEEE10hipError_tPvRmT1_PNSt15iterator_traitsISL_E10value_typeET2_T3_PNSM_ISR_E10value_typeET4_jRbjT5_SX_jjP12ihipStream_tbEUlT_E2_NS1_11comp_targetILNS1_3genE2ELNS1_11target_archE906ELNS1_3gpuE6ELNS1_3repE0EEENS1_30default_config_static_selectorELNS0_4arch9wavefront6targetE0EEEvSL_.num_vgpr, 0
	.set _ZN7rocprim17ROCPRIM_400000_NS6detail17trampoline_kernelINS0_14default_configENS1_36segmented_radix_sort_config_selectorI12hip_bfloat16lEEZNS1_25segmented_radix_sort_implIS3_Lb0EPKS5_PS5_PKlPlN2at6native12_GLOBAL__N_18offset_tEEE10hipError_tPvRmT1_PNSt15iterator_traitsISL_E10value_typeET2_T3_PNSM_ISR_E10value_typeET4_jRbjT5_SX_jjP12ihipStream_tbEUlT_E2_NS1_11comp_targetILNS1_3genE2ELNS1_11target_archE906ELNS1_3gpuE6ELNS1_3repE0EEENS1_30default_config_static_selectorELNS0_4arch9wavefront6targetE0EEEvSL_.num_agpr, 0
	.set _ZN7rocprim17ROCPRIM_400000_NS6detail17trampoline_kernelINS0_14default_configENS1_36segmented_radix_sort_config_selectorI12hip_bfloat16lEEZNS1_25segmented_radix_sort_implIS3_Lb0EPKS5_PS5_PKlPlN2at6native12_GLOBAL__N_18offset_tEEE10hipError_tPvRmT1_PNSt15iterator_traitsISL_E10value_typeET2_T3_PNSM_ISR_E10value_typeET4_jRbjT5_SX_jjP12ihipStream_tbEUlT_E2_NS1_11comp_targetILNS1_3genE2ELNS1_11target_archE906ELNS1_3gpuE6ELNS1_3repE0EEENS1_30default_config_static_selectorELNS0_4arch9wavefront6targetE0EEEvSL_.numbered_sgpr, 0
	.set _ZN7rocprim17ROCPRIM_400000_NS6detail17trampoline_kernelINS0_14default_configENS1_36segmented_radix_sort_config_selectorI12hip_bfloat16lEEZNS1_25segmented_radix_sort_implIS3_Lb0EPKS5_PS5_PKlPlN2at6native12_GLOBAL__N_18offset_tEEE10hipError_tPvRmT1_PNSt15iterator_traitsISL_E10value_typeET2_T3_PNSM_ISR_E10value_typeET4_jRbjT5_SX_jjP12ihipStream_tbEUlT_E2_NS1_11comp_targetILNS1_3genE2ELNS1_11target_archE906ELNS1_3gpuE6ELNS1_3repE0EEENS1_30default_config_static_selectorELNS0_4arch9wavefront6targetE0EEEvSL_.num_named_barrier, 0
	.set _ZN7rocprim17ROCPRIM_400000_NS6detail17trampoline_kernelINS0_14default_configENS1_36segmented_radix_sort_config_selectorI12hip_bfloat16lEEZNS1_25segmented_radix_sort_implIS3_Lb0EPKS5_PS5_PKlPlN2at6native12_GLOBAL__N_18offset_tEEE10hipError_tPvRmT1_PNSt15iterator_traitsISL_E10value_typeET2_T3_PNSM_ISR_E10value_typeET4_jRbjT5_SX_jjP12ihipStream_tbEUlT_E2_NS1_11comp_targetILNS1_3genE2ELNS1_11target_archE906ELNS1_3gpuE6ELNS1_3repE0EEENS1_30default_config_static_selectorELNS0_4arch9wavefront6targetE0EEEvSL_.private_seg_size, 0
	.set _ZN7rocprim17ROCPRIM_400000_NS6detail17trampoline_kernelINS0_14default_configENS1_36segmented_radix_sort_config_selectorI12hip_bfloat16lEEZNS1_25segmented_radix_sort_implIS3_Lb0EPKS5_PS5_PKlPlN2at6native12_GLOBAL__N_18offset_tEEE10hipError_tPvRmT1_PNSt15iterator_traitsISL_E10value_typeET2_T3_PNSM_ISR_E10value_typeET4_jRbjT5_SX_jjP12ihipStream_tbEUlT_E2_NS1_11comp_targetILNS1_3genE2ELNS1_11target_archE906ELNS1_3gpuE6ELNS1_3repE0EEENS1_30default_config_static_selectorELNS0_4arch9wavefront6targetE0EEEvSL_.uses_vcc, 0
	.set _ZN7rocprim17ROCPRIM_400000_NS6detail17trampoline_kernelINS0_14default_configENS1_36segmented_radix_sort_config_selectorI12hip_bfloat16lEEZNS1_25segmented_radix_sort_implIS3_Lb0EPKS5_PS5_PKlPlN2at6native12_GLOBAL__N_18offset_tEEE10hipError_tPvRmT1_PNSt15iterator_traitsISL_E10value_typeET2_T3_PNSM_ISR_E10value_typeET4_jRbjT5_SX_jjP12ihipStream_tbEUlT_E2_NS1_11comp_targetILNS1_3genE2ELNS1_11target_archE906ELNS1_3gpuE6ELNS1_3repE0EEENS1_30default_config_static_selectorELNS0_4arch9wavefront6targetE0EEEvSL_.uses_flat_scratch, 0
	.set _ZN7rocprim17ROCPRIM_400000_NS6detail17trampoline_kernelINS0_14default_configENS1_36segmented_radix_sort_config_selectorI12hip_bfloat16lEEZNS1_25segmented_radix_sort_implIS3_Lb0EPKS5_PS5_PKlPlN2at6native12_GLOBAL__N_18offset_tEEE10hipError_tPvRmT1_PNSt15iterator_traitsISL_E10value_typeET2_T3_PNSM_ISR_E10value_typeET4_jRbjT5_SX_jjP12ihipStream_tbEUlT_E2_NS1_11comp_targetILNS1_3genE2ELNS1_11target_archE906ELNS1_3gpuE6ELNS1_3repE0EEENS1_30default_config_static_selectorELNS0_4arch9wavefront6targetE0EEEvSL_.has_dyn_sized_stack, 0
	.set _ZN7rocprim17ROCPRIM_400000_NS6detail17trampoline_kernelINS0_14default_configENS1_36segmented_radix_sort_config_selectorI12hip_bfloat16lEEZNS1_25segmented_radix_sort_implIS3_Lb0EPKS5_PS5_PKlPlN2at6native12_GLOBAL__N_18offset_tEEE10hipError_tPvRmT1_PNSt15iterator_traitsISL_E10value_typeET2_T3_PNSM_ISR_E10value_typeET4_jRbjT5_SX_jjP12ihipStream_tbEUlT_E2_NS1_11comp_targetILNS1_3genE2ELNS1_11target_archE906ELNS1_3gpuE6ELNS1_3repE0EEENS1_30default_config_static_selectorELNS0_4arch9wavefront6targetE0EEEvSL_.has_recursion, 0
	.set _ZN7rocprim17ROCPRIM_400000_NS6detail17trampoline_kernelINS0_14default_configENS1_36segmented_radix_sort_config_selectorI12hip_bfloat16lEEZNS1_25segmented_radix_sort_implIS3_Lb0EPKS5_PS5_PKlPlN2at6native12_GLOBAL__N_18offset_tEEE10hipError_tPvRmT1_PNSt15iterator_traitsISL_E10value_typeET2_T3_PNSM_ISR_E10value_typeET4_jRbjT5_SX_jjP12ihipStream_tbEUlT_E2_NS1_11comp_targetILNS1_3genE2ELNS1_11target_archE906ELNS1_3gpuE6ELNS1_3repE0EEENS1_30default_config_static_selectorELNS0_4arch9wavefront6targetE0EEEvSL_.has_indirect_call, 0
	.section	.AMDGPU.csdata,"",@progbits
; Kernel info:
; codeLenInByte = 0
; TotalNumSgprs: 0
; NumVgprs: 0
; ScratchSize: 0
; MemoryBound: 0
; FloatMode: 240
; IeeeMode: 1
; LDSByteSize: 0 bytes/workgroup (compile time only)
; SGPRBlocks: 0
; VGPRBlocks: 0
; NumSGPRsForWavesPerEU: 1
; NumVGPRsForWavesPerEU: 1
; Occupancy: 16
; WaveLimiterHint : 0
; COMPUTE_PGM_RSRC2:SCRATCH_EN: 0
; COMPUTE_PGM_RSRC2:USER_SGPR: 6
; COMPUTE_PGM_RSRC2:TRAP_HANDLER: 0
; COMPUTE_PGM_RSRC2:TGID_X_EN: 1
; COMPUTE_PGM_RSRC2:TGID_Y_EN: 0
; COMPUTE_PGM_RSRC2:TGID_Z_EN: 0
; COMPUTE_PGM_RSRC2:TIDIG_COMP_CNT: 0
	.section	.text._ZN7rocprim17ROCPRIM_400000_NS6detail17trampoline_kernelINS0_14default_configENS1_36segmented_radix_sort_config_selectorI12hip_bfloat16lEEZNS1_25segmented_radix_sort_implIS3_Lb0EPKS5_PS5_PKlPlN2at6native12_GLOBAL__N_18offset_tEEE10hipError_tPvRmT1_PNSt15iterator_traitsISL_E10value_typeET2_T3_PNSM_ISR_E10value_typeET4_jRbjT5_SX_jjP12ihipStream_tbEUlT_E2_NS1_11comp_targetILNS1_3genE10ELNS1_11target_archE1201ELNS1_3gpuE5ELNS1_3repE0EEENS1_30default_config_static_selectorELNS0_4arch9wavefront6targetE0EEEvSL_,"axG",@progbits,_ZN7rocprim17ROCPRIM_400000_NS6detail17trampoline_kernelINS0_14default_configENS1_36segmented_radix_sort_config_selectorI12hip_bfloat16lEEZNS1_25segmented_radix_sort_implIS3_Lb0EPKS5_PS5_PKlPlN2at6native12_GLOBAL__N_18offset_tEEE10hipError_tPvRmT1_PNSt15iterator_traitsISL_E10value_typeET2_T3_PNSM_ISR_E10value_typeET4_jRbjT5_SX_jjP12ihipStream_tbEUlT_E2_NS1_11comp_targetILNS1_3genE10ELNS1_11target_archE1201ELNS1_3gpuE5ELNS1_3repE0EEENS1_30default_config_static_selectorELNS0_4arch9wavefront6targetE0EEEvSL_,comdat
	.globl	_ZN7rocprim17ROCPRIM_400000_NS6detail17trampoline_kernelINS0_14default_configENS1_36segmented_radix_sort_config_selectorI12hip_bfloat16lEEZNS1_25segmented_radix_sort_implIS3_Lb0EPKS5_PS5_PKlPlN2at6native12_GLOBAL__N_18offset_tEEE10hipError_tPvRmT1_PNSt15iterator_traitsISL_E10value_typeET2_T3_PNSM_ISR_E10value_typeET4_jRbjT5_SX_jjP12ihipStream_tbEUlT_E2_NS1_11comp_targetILNS1_3genE10ELNS1_11target_archE1201ELNS1_3gpuE5ELNS1_3repE0EEENS1_30default_config_static_selectorELNS0_4arch9wavefront6targetE0EEEvSL_ ; -- Begin function _ZN7rocprim17ROCPRIM_400000_NS6detail17trampoline_kernelINS0_14default_configENS1_36segmented_radix_sort_config_selectorI12hip_bfloat16lEEZNS1_25segmented_radix_sort_implIS3_Lb0EPKS5_PS5_PKlPlN2at6native12_GLOBAL__N_18offset_tEEE10hipError_tPvRmT1_PNSt15iterator_traitsISL_E10value_typeET2_T3_PNSM_ISR_E10value_typeET4_jRbjT5_SX_jjP12ihipStream_tbEUlT_E2_NS1_11comp_targetILNS1_3genE10ELNS1_11target_archE1201ELNS1_3gpuE5ELNS1_3repE0EEENS1_30default_config_static_selectorELNS0_4arch9wavefront6targetE0EEEvSL_
	.p2align	8
	.type	_ZN7rocprim17ROCPRIM_400000_NS6detail17trampoline_kernelINS0_14default_configENS1_36segmented_radix_sort_config_selectorI12hip_bfloat16lEEZNS1_25segmented_radix_sort_implIS3_Lb0EPKS5_PS5_PKlPlN2at6native12_GLOBAL__N_18offset_tEEE10hipError_tPvRmT1_PNSt15iterator_traitsISL_E10value_typeET2_T3_PNSM_ISR_E10value_typeET4_jRbjT5_SX_jjP12ihipStream_tbEUlT_E2_NS1_11comp_targetILNS1_3genE10ELNS1_11target_archE1201ELNS1_3gpuE5ELNS1_3repE0EEENS1_30default_config_static_selectorELNS0_4arch9wavefront6targetE0EEEvSL_,@function
_ZN7rocprim17ROCPRIM_400000_NS6detail17trampoline_kernelINS0_14default_configENS1_36segmented_radix_sort_config_selectorI12hip_bfloat16lEEZNS1_25segmented_radix_sort_implIS3_Lb0EPKS5_PS5_PKlPlN2at6native12_GLOBAL__N_18offset_tEEE10hipError_tPvRmT1_PNSt15iterator_traitsISL_E10value_typeET2_T3_PNSM_ISR_E10value_typeET4_jRbjT5_SX_jjP12ihipStream_tbEUlT_E2_NS1_11comp_targetILNS1_3genE10ELNS1_11target_archE1201ELNS1_3gpuE5ELNS1_3repE0EEENS1_30default_config_static_selectorELNS0_4arch9wavefront6targetE0EEEvSL_: ; @_ZN7rocprim17ROCPRIM_400000_NS6detail17trampoline_kernelINS0_14default_configENS1_36segmented_radix_sort_config_selectorI12hip_bfloat16lEEZNS1_25segmented_radix_sort_implIS3_Lb0EPKS5_PS5_PKlPlN2at6native12_GLOBAL__N_18offset_tEEE10hipError_tPvRmT1_PNSt15iterator_traitsISL_E10value_typeET2_T3_PNSM_ISR_E10value_typeET4_jRbjT5_SX_jjP12ihipStream_tbEUlT_E2_NS1_11comp_targetILNS1_3genE10ELNS1_11target_archE1201ELNS1_3gpuE5ELNS1_3repE0EEENS1_30default_config_static_selectorELNS0_4arch9wavefront6targetE0EEEvSL_
; %bb.0:
	.section	.rodata,"a",@progbits
	.p2align	6, 0x0
	.amdhsa_kernel _ZN7rocprim17ROCPRIM_400000_NS6detail17trampoline_kernelINS0_14default_configENS1_36segmented_radix_sort_config_selectorI12hip_bfloat16lEEZNS1_25segmented_radix_sort_implIS3_Lb0EPKS5_PS5_PKlPlN2at6native12_GLOBAL__N_18offset_tEEE10hipError_tPvRmT1_PNSt15iterator_traitsISL_E10value_typeET2_T3_PNSM_ISR_E10value_typeET4_jRbjT5_SX_jjP12ihipStream_tbEUlT_E2_NS1_11comp_targetILNS1_3genE10ELNS1_11target_archE1201ELNS1_3gpuE5ELNS1_3repE0EEENS1_30default_config_static_selectorELNS0_4arch9wavefront6targetE0EEEvSL_
		.amdhsa_group_segment_fixed_size 0
		.amdhsa_private_segment_fixed_size 0
		.amdhsa_kernarg_size 80
		.amdhsa_user_sgpr_count 6
		.amdhsa_user_sgpr_private_segment_buffer 1
		.amdhsa_user_sgpr_dispatch_ptr 0
		.amdhsa_user_sgpr_queue_ptr 0
		.amdhsa_user_sgpr_kernarg_segment_ptr 1
		.amdhsa_user_sgpr_dispatch_id 0
		.amdhsa_user_sgpr_flat_scratch_init 0
		.amdhsa_user_sgpr_private_segment_size 0
		.amdhsa_wavefront_size32 1
		.amdhsa_uses_dynamic_stack 0
		.amdhsa_system_sgpr_private_segment_wavefront_offset 0
		.amdhsa_system_sgpr_workgroup_id_x 1
		.amdhsa_system_sgpr_workgroup_id_y 0
		.amdhsa_system_sgpr_workgroup_id_z 0
		.amdhsa_system_sgpr_workgroup_info 0
		.amdhsa_system_vgpr_workitem_id 0
		.amdhsa_next_free_vgpr 1
		.amdhsa_next_free_sgpr 1
		.amdhsa_reserve_vcc 0
		.amdhsa_reserve_flat_scratch 0
		.amdhsa_float_round_mode_32 0
		.amdhsa_float_round_mode_16_64 0
		.amdhsa_float_denorm_mode_32 3
		.amdhsa_float_denorm_mode_16_64 3
		.amdhsa_dx10_clamp 1
		.amdhsa_ieee_mode 1
		.amdhsa_fp16_overflow 0
		.amdhsa_workgroup_processor_mode 1
		.amdhsa_memory_ordered 1
		.amdhsa_forward_progress 1
		.amdhsa_shared_vgpr_count 0
		.amdhsa_exception_fp_ieee_invalid_op 0
		.amdhsa_exception_fp_denorm_src 0
		.amdhsa_exception_fp_ieee_div_zero 0
		.amdhsa_exception_fp_ieee_overflow 0
		.amdhsa_exception_fp_ieee_underflow 0
		.amdhsa_exception_fp_ieee_inexact 0
		.amdhsa_exception_int_div_zero 0
	.end_amdhsa_kernel
	.section	.text._ZN7rocprim17ROCPRIM_400000_NS6detail17trampoline_kernelINS0_14default_configENS1_36segmented_radix_sort_config_selectorI12hip_bfloat16lEEZNS1_25segmented_radix_sort_implIS3_Lb0EPKS5_PS5_PKlPlN2at6native12_GLOBAL__N_18offset_tEEE10hipError_tPvRmT1_PNSt15iterator_traitsISL_E10value_typeET2_T3_PNSM_ISR_E10value_typeET4_jRbjT5_SX_jjP12ihipStream_tbEUlT_E2_NS1_11comp_targetILNS1_3genE10ELNS1_11target_archE1201ELNS1_3gpuE5ELNS1_3repE0EEENS1_30default_config_static_selectorELNS0_4arch9wavefront6targetE0EEEvSL_,"axG",@progbits,_ZN7rocprim17ROCPRIM_400000_NS6detail17trampoline_kernelINS0_14default_configENS1_36segmented_radix_sort_config_selectorI12hip_bfloat16lEEZNS1_25segmented_radix_sort_implIS3_Lb0EPKS5_PS5_PKlPlN2at6native12_GLOBAL__N_18offset_tEEE10hipError_tPvRmT1_PNSt15iterator_traitsISL_E10value_typeET2_T3_PNSM_ISR_E10value_typeET4_jRbjT5_SX_jjP12ihipStream_tbEUlT_E2_NS1_11comp_targetILNS1_3genE10ELNS1_11target_archE1201ELNS1_3gpuE5ELNS1_3repE0EEENS1_30default_config_static_selectorELNS0_4arch9wavefront6targetE0EEEvSL_,comdat
.Lfunc_end2074:
	.size	_ZN7rocprim17ROCPRIM_400000_NS6detail17trampoline_kernelINS0_14default_configENS1_36segmented_radix_sort_config_selectorI12hip_bfloat16lEEZNS1_25segmented_radix_sort_implIS3_Lb0EPKS5_PS5_PKlPlN2at6native12_GLOBAL__N_18offset_tEEE10hipError_tPvRmT1_PNSt15iterator_traitsISL_E10value_typeET2_T3_PNSM_ISR_E10value_typeET4_jRbjT5_SX_jjP12ihipStream_tbEUlT_E2_NS1_11comp_targetILNS1_3genE10ELNS1_11target_archE1201ELNS1_3gpuE5ELNS1_3repE0EEENS1_30default_config_static_selectorELNS0_4arch9wavefront6targetE0EEEvSL_, .Lfunc_end2074-_ZN7rocprim17ROCPRIM_400000_NS6detail17trampoline_kernelINS0_14default_configENS1_36segmented_radix_sort_config_selectorI12hip_bfloat16lEEZNS1_25segmented_radix_sort_implIS3_Lb0EPKS5_PS5_PKlPlN2at6native12_GLOBAL__N_18offset_tEEE10hipError_tPvRmT1_PNSt15iterator_traitsISL_E10value_typeET2_T3_PNSM_ISR_E10value_typeET4_jRbjT5_SX_jjP12ihipStream_tbEUlT_E2_NS1_11comp_targetILNS1_3genE10ELNS1_11target_archE1201ELNS1_3gpuE5ELNS1_3repE0EEENS1_30default_config_static_selectorELNS0_4arch9wavefront6targetE0EEEvSL_
                                        ; -- End function
	.set _ZN7rocprim17ROCPRIM_400000_NS6detail17trampoline_kernelINS0_14default_configENS1_36segmented_radix_sort_config_selectorI12hip_bfloat16lEEZNS1_25segmented_radix_sort_implIS3_Lb0EPKS5_PS5_PKlPlN2at6native12_GLOBAL__N_18offset_tEEE10hipError_tPvRmT1_PNSt15iterator_traitsISL_E10value_typeET2_T3_PNSM_ISR_E10value_typeET4_jRbjT5_SX_jjP12ihipStream_tbEUlT_E2_NS1_11comp_targetILNS1_3genE10ELNS1_11target_archE1201ELNS1_3gpuE5ELNS1_3repE0EEENS1_30default_config_static_selectorELNS0_4arch9wavefront6targetE0EEEvSL_.num_vgpr, 0
	.set _ZN7rocprim17ROCPRIM_400000_NS6detail17trampoline_kernelINS0_14default_configENS1_36segmented_radix_sort_config_selectorI12hip_bfloat16lEEZNS1_25segmented_radix_sort_implIS3_Lb0EPKS5_PS5_PKlPlN2at6native12_GLOBAL__N_18offset_tEEE10hipError_tPvRmT1_PNSt15iterator_traitsISL_E10value_typeET2_T3_PNSM_ISR_E10value_typeET4_jRbjT5_SX_jjP12ihipStream_tbEUlT_E2_NS1_11comp_targetILNS1_3genE10ELNS1_11target_archE1201ELNS1_3gpuE5ELNS1_3repE0EEENS1_30default_config_static_selectorELNS0_4arch9wavefront6targetE0EEEvSL_.num_agpr, 0
	.set _ZN7rocprim17ROCPRIM_400000_NS6detail17trampoline_kernelINS0_14default_configENS1_36segmented_radix_sort_config_selectorI12hip_bfloat16lEEZNS1_25segmented_radix_sort_implIS3_Lb0EPKS5_PS5_PKlPlN2at6native12_GLOBAL__N_18offset_tEEE10hipError_tPvRmT1_PNSt15iterator_traitsISL_E10value_typeET2_T3_PNSM_ISR_E10value_typeET4_jRbjT5_SX_jjP12ihipStream_tbEUlT_E2_NS1_11comp_targetILNS1_3genE10ELNS1_11target_archE1201ELNS1_3gpuE5ELNS1_3repE0EEENS1_30default_config_static_selectorELNS0_4arch9wavefront6targetE0EEEvSL_.numbered_sgpr, 0
	.set _ZN7rocprim17ROCPRIM_400000_NS6detail17trampoline_kernelINS0_14default_configENS1_36segmented_radix_sort_config_selectorI12hip_bfloat16lEEZNS1_25segmented_radix_sort_implIS3_Lb0EPKS5_PS5_PKlPlN2at6native12_GLOBAL__N_18offset_tEEE10hipError_tPvRmT1_PNSt15iterator_traitsISL_E10value_typeET2_T3_PNSM_ISR_E10value_typeET4_jRbjT5_SX_jjP12ihipStream_tbEUlT_E2_NS1_11comp_targetILNS1_3genE10ELNS1_11target_archE1201ELNS1_3gpuE5ELNS1_3repE0EEENS1_30default_config_static_selectorELNS0_4arch9wavefront6targetE0EEEvSL_.num_named_barrier, 0
	.set _ZN7rocprim17ROCPRIM_400000_NS6detail17trampoline_kernelINS0_14default_configENS1_36segmented_radix_sort_config_selectorI12hip_bfloat16lEEZNS1_25segmented_radix_sort_implIS3_Lb0EPKS5_PS5_PKlPlN2at6native12_GLOBAL__N_18offset_tEEE10hipError_tPvRmT1_PNSt15iterator_traitsISL_E10value_typeET2_T3_PNSM_ISR_E10value_typeET4_jRbjT5_SX_jjP12ihipStream_tbEUlT_E2_NS1_11comp_targetILNS1_3genE10ELNS1_11target_archE1201ELNS1_3gpuE5ELNS1_3repE0EEENS1_30default_config_static_selectorELNS0_4arch9wavefront6targetE0EEEvSL_.private_seg_size, 0
	.set _ZN7rocprim17ROCPRIM_400000_NS6detail17trampoline_kernelINS0_14default_configENS1_36segmented_radix_sort_config_selectorI12hip_bfloat16lEEZNS1_25segmented_radix_sort_implIS3_Lb0EPKS5_PS5_PKlPlN2at6native12_GLOBAL__N_18offset_tEEE10hipError_tPvRmT1_PNSt15iterator_traitsISL_E10value_typeET2_T3_PNSM_ISR_E10value_typeET4_jRbjT5_SX_jjP12ihipStream_tbEUlT_E2_NS1_11comp_targetILNS1_3genE10ELNS1_11target_archE1201ELNS1_3gpuE5ELNS1_3repE0EEENS1_30default_config_static_selectorELNS0_4arch9wavefront6targetE0EEEvSL_.uses_vcc, 0
	.set _ZN7rocprim17ROCPRIM_400000_NS6detail17trampoline_kernelINS0_14default_configENS1_36segmented_radix_sort_config_selectorI12hip_bfloat16lEEZNS1_25segmented_radix_sort_implIS3_Lb0EPKS5_PS5_PKlPlN2at6native12_GLOBAL__N_18offset_tEEE10hipError_tPvRmT1_PNSt15iterator_traitsISL_E10value_typeET2_T3_PNSM_ISR_E10value_typeET4_jRbjT5_SX_jjP12ihipStream_tbEUlT_E2_NS1_11comp_targetILNS1_3genE10ELNS1_11target_archE1201ELNS1_3gpuE5ELNS1_3repE0EEENS1_30default_config_static_selectorELNS0_4arch9wavefront6targetE0EEEvSL_.uses_flat_scratch, 0
	.set _ZN7rocprim17ROCPRIM_400000_NS6detail17trampoline_kernelINS0_14default_configENS1_36segmented_radix_sort_config_selectorI12hip_bfloat16lEEZNS1_25segmented_radix_sort_implIS3_Lb0EPKS5_PS5_PKlPlN2at6native12_GLOBAL__N_18offset_tEEE10hipError_tPvRmT1_PNSt15iterator_traitsISL_E10value_typeET2_T3_PNSM_ISR_E10value_typeET4_jRbjT5_SX_jjP12ihipStream_tbEUlT_E2_NS1_11comp_targetILNS1_3genE10ELNS1_11target_archE1201ELNS1_3gpuE5ELNS1_3repE0EEENS1_30default_config_static_selectorELNS0_4arch9wavefront6targetE0EEEvSL_.has_dyn_sized_stack, 0
	.set _ZN7rocprim17ROCPRIM_400000_NS6detail17trampoline_kernelINS0_14default_configENS1_36segmented_radix_sort_config_selectorI12hip_bfloat16lEEZNS1_25segmented_radix_sort_implIS3_Lb0EPKS5_PS5_PKlPlN2at6native12_GLOBAL__N_18offset_tEEE10hipError_tPvRmT1_PNSt15iterator_traitsISL_E10value_typeET2_T3_PNSM_ISR_E10value_typeET4_jRbjT5_SX_jjP12ihipStream_tbEUlT_E2_NS1_11comp_targetILNS1_3genE10ELNS1_11target_archE1201ELNS1_3gpuE5ELNS1_3repE0EEENS1_30default_config_static_selectorELNS0_4arch9wavefront6targetE0EEEvSL_.has_recursion, 0
	.set _ZN7rocprim17ROCPRIM_400000_NS6detail17trampoline_kernelINS0_14default_configENS1_36segmented_radix_sort_config_selectorI12hip_bfloat16lEEZNS1_25segmented_radix_sort_implIS3_Lb0EPKS5_PS5_PKlPlN2at6native12_GLOBAL__N_18offset_tEEE10hipError_tPvRmT1_PNSt15iterator_traitsISL_E10value_typeET2_T3_PNSM_ISR_E10value_typeET4_jRbjT5_SX_jjP12ihipStream_tbEUlT_E2_NS1_11comp_targetILNS1_3genE10ELNS1_11target_archE1201ELNS1_3gpuE5ELNS1_3repE0EEENS1_30default_config_static_selectorELNS0_4arch9wavefront6targetE0EEEvSL_.has_indirect_call, 0
	.section	.AMDGPU.csdata,"",@progbits
; Kernel info:
; codeLenInByte = 0
; TotalNumSgprs: 0
; NumVgprs: 0
; ScratchSize: 0
; MemoryBound: 0
; FloatMode: 240
; IeeeMode: 1
; LDSByteSize: 0 bytes/workgroup (compile time only)
; SGPRBlocks: 0
; VGPRBlocks: 0
; NumSGPRsForWavesPerEU: 1
; NumVGPRsForWavesPerEU: 1
; Occupancy: 16
; WaveLimiterHint : 0
; COMPUTE_PGM_RSRC2:SCRATCH_EN: 0
; COMPUTE_PGM_RSRC2:USER_SGPR: 6
; COMPUTE_PGM_RSRC2:TRAP_HANDLER: 0
; COMPUTE_PGM_RSRC2:TGID_X_EN: 1
; COMPUTE_PGM_RSRC2:TGID_Y_EN: 0
; COMPUTE_PGM_RSRC2:TGID_Z_EN: 0
; COMPUTE_PGM_RSRC2:TIDIG_COMP_CNT: 0
	.section	.text._ZN7rocprim17ROCPRIM_400000_NS6detail17trampoline_kernelINS0_14default_configENS1_36segmented_radix_sort_config_selectorI12hip_bfloat16lEEZNS1_25segmented_radix_sort_implIS3_Lb0EPKS5_PS5_PKlPlN2at6native12_GLOBAL__N_18offset_tEEE10hipError_tPvRmT1_PNSt15iterator_traitsISL_E10value_typeET2_T3_PNSM_ISR_E10value_typeET4_jRbjT5_SX_jjP12ihipStream_tbEUlT_E2_NS1_11comp_targetILNS1_3genE10ELNS1_11target_archE1200ELNS1_3gpuE4ELNS1_3repE0EEENS1_30default_config_static_selectorELNS0_4arch9wavefront6targetE0EEEvSL_,"axG",@progbits,_ZN7rocprim17ROCPRIM_400000_NS6detail17trampoline_kernelINS0_14default_configENS1_36segmented_radix_sort_config_selectorI12hip_bfloat16lEEZNS1_25segmented_radix_sort_implIS3_Lb0EPKS5_PS5_PKlPlN2at6native12_GLOBAL__N_18offset_tEEE10hipError_tPvRmT1_PNSt15iterator_traitsISL_E10value_typeET2_T3_PNSM_ISR_E10value_typeET4_jRbjT5_SX_jjP12ihipStream_tbEUlT_E2_NS1_11comp_targetILNS1_3genE10ELNS1_11target_archE1200ELNS1_3gpuE4ELNS1_3repE0EEENS1_30default_config_static_selectorELNS0_4arch9wavefront6targetE0EEEvSL_,comdat
	.globl	_ZN7rocprim17ROCPRIM_400000_NS6detail17trampoline_kernelINS0_14default_configENS1_36segmented_radix_sort_config_selectorI12hip_bfloat16lEEZNS1_25segmented_radix_sort_implIS3_Lb0EPKS5_PS5_PKlPlN2at6native12_GLOBAL__N_18offset_tEEE10hipError_tPvRmT1_PNSt15iterator_traitsISL_E10value_typeET2_T3_PNSM_ISR_E10value_typeET4_jRbjT5_SX_jjP12ihipStream_tbEUlT_E2_NS1_11comp_targetILNS1_3genE10ELNS1_11target_archE1200ELNS1_3gpuE4ELNS1_3repE0EEENS1_30default_config_static_selectorELNS0_4arch9wavefront6targetE0EEEvSL_ ; -- Begin function _ZN7rocprim17ROCPRIM_400000_NS6detail17trampoline_kernelINS0_14default_configENS1_36segmented_radix_sort_config_selectorI12hip_bfloat16lEEZNS1_25segmented_radix_sort_implIS3_Lb0EPKS5_PS5_PKlPlN2at6native12_GLOBAL__N_18offset_tEEE10hipError_tPvRmT1_PNSt15iterator_traitsISL_E10value_typeET2_T3_PNSM_ISR_E10value_typeET4_jRbjT5_SX_jjP12ihipStream_tbEUlT_E2_NS1_11comp_targetILNS1_3genE10ELNS1_11target_archE1200ELNS1_3gpuE4ELNS1_3repE0EEENS1_30default_config_static_selectorELNS0_4arch9wavefront6targetE0EEEvSL_
	.p2align	8
	.type	_ZN7rocprim17ROCPRIM_400000_NS6detail17trampoline_kernelINS0_14default_configENS1_36segmented_radix_sort_config_selectorI12hip_bfloat16lEEZNS1_25segmented_radix_sort_implIS3_Lb0EPKS5_PS5_PKlPlN2at6native12_GLOBAL__N_18offset_tEEE10hipError_tPvRmT1_PNSt15iterator_traitsISL_E10value_typeET2_T3_PNSM_ISR_E10value_typeET4_jRbjT5_SX_jjP12ihipStream_tbEUlT_E2_NS1_11comp_targetILNS1_3genE10ELNS1_11target_archE1200ELNS1_3gpuE4ELNS1_3repE0EEENS1_30default_config_static_selectorELNS0_4arch9wavefront6targetE0EEEvSL_,@function
_ZN7rocprim17ROCPRIM_400000_NS6detail17trampoline_kernelINS0_14default_configENS1_36segmented_radix_sort_config_selectorI12hip_bfloat16lEEZNS1_25segmented_radix_sort_implIS3_Lb0EPKS5_PS5_PKlPlN2at6native12_GLOBAL__N_18offset_tEEE10hipError_tPvRmT1_PNSt15iterator_traitsISL_E10value_typeET2_T3_PNSM_ISR_E10value_typeET4_jRbjT5_SX_jjP12ihipStream_tbEUlT_E2_NS1_11comp_targetILNS1_3genE10ELNS1_11target_archE1200ELNS1_3gpuE4ELNS1_3repE0EEENS1_30default_config_static_selectorELNS0_4arch9wavefront6targetE0EEEvSL_: ; @_ZN7rocprim17ROCPRIM_400000_NS6detail17trampoline_kernelINS0_14default_configENS1_36segmented_radix_sort_config_selectorI12hip_bfloat16lEEZNS1_25segmented_radix_sort_implIS3_Lb0EPKS5_PS5_PKlPlN2at6native12_GLOBAL__N_18offset_tEEE10hipError_tPvRmT1_PNSt15iterator_traitsISL_E10value_typeET2_T3_PNSM_ISR_E10value_typeET4_jRbjT5_SX_jjP12ihipStream_tbEUlT_E2_NS1_11comp_targetILNS1_3genE10ELNS1_11target_archE1200ELNS1_3gpuE4ELNS1_3repE0EEENS1_30default_config_static_selectorELNS0_4arch9wavefront6targetE0EEEvSL_
; %bb.0:
	.section	.rodata,"a",@progbits
	.p2align	6, 0x0
	.amdhsa_kernel _ZN7rocprim17ROCPRIM_400000_NS6detail17trampoline_kernelINS0_14default_configENS1_36segmented_radix_sort_config_selectorI12hip_bfloat16lEEZNS1_25segmented_radix_sort_implIS3_Lb0EPKS5_PS5_PKlPlN2at6native12_GLOBAL__N_18offset_tEEE10hipError_tPvRmT1_PNSt15iterator_traitsISL_E10value_typeET2_T3_PNSM_ISR_E10value_typeET4_jRbjT5_SX_jjP12ihipStream_tbEUlT_E2_NS1_11comp_targetILNS1_3genE10ELNS1_11target_archE1200ELNS1_3gpuE4ELNS1_3repE0EEENS1_30default_config_static_selectorELNS0_4arch9wavefront6targetE0EEEvSL_
		.amdhsa_group_segment_fixed_size 0
		.amdhsa_private_segment_fixed_size 0
		.amdhsa_kernarg_size 80
		.amdhsa_user_sgpr_count 6
		.amdhsa_user_sgpr_private_segment_buffer 1
		.amdhsa_user_sgpr_dispatch_ptr 0
		.amdhsa_user_sgpr_queue_ptr 0
		.amdhsa_user_sgpr_kernarg_segment_ptr 1
		.amdhsa_user_sgpr_dispatch_id 0
		.amdhsa_user_sgpr_flat_scratch_init 0
		.amdhsa_user_sgpr_private_segment_size 0
		.amdhsa_wavefront_size32 1
		.amdhsa_uses_dynamic_stack 0
		.amdhsa_system_sgpr_private_segment_wavefront_offset 0
		.amdhsa_system_sgpr_workgroup_id_x 1
		.amdhsa_system_sgpr_workgroup_id_y 0
		.amdhsa_system_sgpr_workgroup_id_z 0
		.amdhsa_system_sgpr_workgroup_info 0
		.amdhsa_system_vgpr_workitem_id 0
		.amdhsa_next_free_vgpr 1
		.amdhsa_next_free_sgpr 1
		.amdhsa_reserve_vcc 0
		.amdhsa_reserve_flat_scratch 0
		.amdhsa_float_round_mode_32 0
		.amdhsa_float_round_mode_16_64 0
		.amdhsa_float_denorm_mode_32 3
		.amdhsa_float_denorm_mode_16_64 3
		.amdhsa_dx10_clamp 1
		.amdhsa_ieee_mode 1
		.amdhsa_fp16_overflow 0
		.amdhsa_workgroup_processor_mode 1
		.amdhsa_memory_ordered 1
		.amdhsa_forward_progress 1
		.amdhsa_shared_vgpr_count 0
		.amdhsa_exception_fp_ieee_invalid_op 0
		.amdhsa_exception_fp_denorm_src 0
		.amdhsa_exception_fp_ieee_div_zero 0
		.amdhsa_exception_fp_ieee_overflow 0
		.amdhsa_exception_fp_ieee_underflow 0
		.amdhsa_exception_fp_ieee_inexact 0
		.amdhsa_exception_int_div_zero 0
	.end_amdhsa_kernel
	.section	.text._ZN7rocprim17ROCPRIM_400000_NS6detail17trampoline_kernelINS0_14default_configENS1_36segmented_radix_sort_config_selectorI12hip_bfloat16lEEZNS1_25segmented_radix_sort_implIS3_Lb0EPKS5_PS5_PKlPlN2at6native12_GLOBAL__N_18offset_tEEE10hipError_tPvRmT1_PNSt15iterator_traitsISL_E10value_typeET2_T3_PNSM_ISR_E10value_typeET4_jRbjT5_SX_jjP12ihipStream_tbEUlT_E2_NS1_11comp_targetILNS1_3genE10ELNS1_11target_archE1200ELNS1_3gpuE4ELNS1_3repE0EEENS1_30default_config_static_selectorELNS0_4arch9wavefront6targetE0EEEvSL_,"axG",@progbits,_ZN7rocprim17ROCPRIM_400000_NS6detail17trampoline_kernelINS0_14default_configENS1_36segmented_radix_sort_config_selectorI12hip_bfloat16lEEZNS1_25segmented_radix_sort_implIS3_Lb0EPKS5_PS5_PKlPlN2at6native12_GLOBAL__N_18offset_tEEE10hipError_tPvRmT1_PNSt15iterator_traitsISL_E10value_typeET2_T3_PNSM_ISR_E10value_typeET4_jRbjT5_SX_jjP12ihipStream_tbEUlT_E2_NS1_11comp_targetILNS1_3genE10ELNS1_11target_archE1200ELNS1_3gpuE4ELNS1_3repE0EEENS1_30default_config_static_selectorELNS0_4arch9wavefront6targetE0EEEvSL_,comdat
.Lfunc_end2075:
	.size	_ZN7rocprim17ROCPRIM_400000_NS6detail17trampoline_kernelINS0_14default_configENS1_36segmented_radix_sort_config_selectorI12hip_bfloat16lEEZNS1_25segmented_radix_sort_implIS3_Lb0EPKS5_PS5_PKlPlN2at6native12_GLOBAL__N_18offset_tEEE10hipError_tPvRmT1_PNSt15iterator_traitsISL_E10value_typeET2_T3_PNSM_ISR_E10value_typeET4_jRbjT5_SX_jjP12ihipStream_tbEUlT_E2_NS1_11comp_targetILNS1_3genE10ELNS1_11target_archE1200ELNS1_3gpuE4ELNS1_3repE0EEENS1_30default_config_static_selectorELNS0_4arch9wavefront6targetE0EEEvSL_, .Lfunc_end2075-_ZN7rocprim17ROCPRIM_400000_NS6detail17trampoline_kernelINS0_14default_configENS1_36segmented_radix_sort_config_selectorI12hip_bfloat16lEEZNS1_25segmented_radix_sort_implIS3_Lb0EPKS5_PS5_PKlPlN2at6native12_GLOBAL__N_18offset_tEEE10hipError_tPvRmT1_PNSt15iterator_traitsISL_E10value_typeET2_T3_PNSM_ISR_E10value_typeET4_jRbjT5_SX_jjP12ihipStream_tbEUlT_E2_NS1_11comp_targetILNS1_3genE10ELNS1_11target_archE1200ELNS1_3gpuE4ELNS1_3repE0EEENS1_30default_config_static_selectorELNS0_4arch9wavefront6targetE0EEEvSL_
                                        ; -- End function
	.set _ZN7rocprim17ROCPRIM_400000_NS6detail17trampoline_kernelINS0_14default_configENS1_36segmented_radix_sort_config_selectorI12hip_bfloat16lEEZNS1_25segmented_radix_sort_implIS3_Lb0EPKS5_PS5_PKlPlN2at6native12_GLOBAL__N_18offset_tEEE10hipError_tPvRmT1_PNSt15iterator_traitsISL_E10value_typeET2_T3_PNSM_ISR_E10value_typeET4_jRbjT5_SX_jjP12ihipStream_tbEUlT_E2_NS1_11comp_targetILNS1_3genE10ELNS1_11target_archE1200ELNS1_3gpuE4ELNS1_3repE0EEENS1_30default_config_static_selectorELNS0_4arch9wavefront6targetE0EEEvSL_.num_vgpr, 0
	.set _ZN7rocprim17ROCPRIM_400000_NS6detail17trampoline_kernelINS0_14default_configENS1_36segmented_radix_sort_config_selectorI12hip_bfloat16lEEZNS1_25segmented_radix_sort_implIS3_Lb0EPKS5_PS5_PKlPlN2at6native12_GLOBAL__N_18offset_tEEE10hipError_tPvRmT1_PNSt15iterator_traitsISL_E10value_typeET2_T3_PNSM_ISR_E10value_typeET4_jRbjT5_SX_jjP12ihipStream_tbEUlT_E2_NS1_11comp_targetILNS1_3genE10ELNS1_11target_archE1200ELNS1_3gpuE4ELNS1_3repE0EEENS1_30default_config_static_selectorELNS0_4arch9wavefront6targetE0EEEvSL_.num_agpr, 0
	.set _ZN7rocprim17ROCPRIM_400000_NS6detail17trampoline_kernelINS0_14default_configENS1_36segmented_radix_sort_config_selectorI12hip_bfloat16lEEZNS1_25segmented_radix_sort_implIS3_Lb0EPKS5_PS5_PKlPlN2at6native12_GLOBAL__N_18offset_tEEE10hipError_tPvRmT1_PNSt15iterator_traitsISL_E10value_typeET2_T3_PNSM_ISR_E10value_typeET4_jRbjT5_SX_jjP12ihipStream_tbEUlT_E2_NS1_11comp_targetILNS1_3genE10ELNS1_11target_archE1200ELNS1_3gpuE4ELNS1_3repE0EEENS1_30default_config_static_selectorELNS0_4arch9wavefront6targetE0EEEvSL_.numbered_sgpr, 0
	.set _ZN7rocprim17ROCPRIM_400000_NS6detail17trampoline_kernelINS0_14default_configENS1_36segmented_radix_sort_config_selectorI12hip_bfloat16lEEZNS1_25segmented_radix_sort_implIS3_Lb0EPKS5_PS5_PKlPlN2at6native12_GLOBAL__N_18offset_tEEE10hipError_tPvRmT1_PNSt15iterator_traitsISL_E10value_typeET2_T3_PNSM_ISR_E10value_typeET4_jRbjT5_SX_jjP12ihipStream_tbEUlT_E2_NS1_11comp_targetILNS1_3genE10ELNS1_11target_archE1200ELNS1_3gpuE4ELNS1_3repE0EEENS1_30default_config_static_selectorELNS0_4arch9wavefront6targetE0EEEvSL_.num_named_barrier, 0
	.set _ZN7rocprim17ROCPRIM_400000_NS6detail17trampoline_kernelINS0_14default_configENS1_36segmented_radix_sort_config_selectorI12hip_bfloat16lEEZNS1_25segmented_radix_sort_implIS3_Lb0EPKS5_PS5_PKlPlN2at6native12_GLOBAL__N_18offset_tEEE10hipError_tPvRmT1_PNSt15iterator_traitsISL_E10value_typeET2_T3_PNSM_ISR_E10value_typeET4_jRbjT5_SX_jjP12ihipStream_tbEUlT_E2_NS1_11comp_targetILNS1_3genE10ELNS1_11target_archE1200ELNS1_3gpuE4ELNS1_3repE0EEENS1_30default_config_static_selectorELNS0_4arch9wavefront6targetE0EEEvSL_.private_seg_size, 0
	.set _ZN7rocprim17ROCPRIM_400000_NS6detail17trampoline_kernelINS0_14default_configENS1_36segmented_radix_sort_config_selectorI12hip_bfloat16lEEZNS1_25segmented_radix_sort_implIS3_Lb0EPKS5_PS5_PKlPlN2at6native12_GLOBAL__N_18offset_tEEE10hipError_tPvRmT1_PNSt15iterator_traitsISL_E10value_typeET2_T3_PNSM_ISR_E10value_typeET4_jRbjT5_SX_jjP12ihipStream_tbEUlT_E2_NS1_11comp_targetILNS1_3genE10ELNS1_11target_archE1200ELNS1_3gpuE4ELNS1_3repE0EEENS1_30default_config_static_selectorELNS0_4arch9wavefront6targetE0EEEvSL_.uses_vcc, 0
	.set _ZN7rocprim17ROCPRIM_400000_NS6detail17trampoline_kernelINS0_14default_configENS1_36segmented_radix_sort_config_selectorI12hip_bfloat16lEEZNS1_25segmented_radix_sort_implIS3_Lb0EPKS5_PS5_PKlPlN2at6native12_GLOBAL__N_18offset_tEEE10hipError_tPvRmT1_PNSt15iterator_traitsISL_E10value_typeET2_T3_PNSM_ISR_E10value_typeET4_jRbjT5_SX_jjP12ihipStream_tbEUlT_E2_NS1_11comp_targetILNS1_3genE10ELNS1_11target_archE1200ELNS1_3gpuE4ELNS1_3repE0EEENS1_30default_config_static_selectorELNS0_4arch9wavefront6targetE0EEEvSL_.uses_flat_scratch, 0
	.set _ZN7rocprim17ROCPRIM_400000_NS6detail17trampoline_kernelINS0_14default_configENS1_36segmented_radix_sort_config_selectorI12hip_bfloat16lEEZNS1_25segmented_radix_sort_implIS3_Lb0EPKS5_PS5_PKlPlN2at6native12_GLOBAL__N_18offset_tEEE10hipError_tPvRmT1_PNSt15iterator_traitsISL_E10value_typeET2_T3_PNSM_ISR_E10value_typeET4_jRbjT5_SX_jjP12ihipStream_tbEUlT_E2_NS1_11comp_targetILNS1_3genE10ELNS1_11target_archE1200ELNS1_3gpuE4ELNS1_3repE0EEENS1_30default_config_static_selectorELNS0_4arch9wavefront6targetE0EEEvSL_.has_dyn_sized_stack, 0
	.set _ZN7rocprim17ROCPRIM_400000_NS6detail17trampoline_kernelINS0_14default_configENS1_36segmented_radix_sort_config_selectorI12hip_bfloat16lEEZNS1_25segmented_radix_sort_implIS3_Lb0EPKS5_PS5_PKlPlN2at6native12_GLOBAL__N_18offset_tEEE10hipError_tPvRmT1_PNSt15iterator_traitsISL_E10value_typeET2_T3_PNSM_ISR_E10value_typeET4_jRbjT5_SX_jjP12ihipStream_tbEUlT_E2_NS1_11comp_targetILNS1_3genE10ELNS1_11target_archE1200ELNS1_3gpuE4ELNS1_3repE0EEENS1_30default_config_static_selectorELNS0_4arch9wavefront6targetE0EEEvSL_.has_recursion, 0
	.set _ZN7rocprim17ROCPRIM_400000_NS6detail17trampoline_kernelINS0_14default_configENS1_36segmented_radix_sort_config_selectorI12hip_bfloat16lEEZNS1_25segmented_radix_sort_implIS3_Lb0EPKS5_PS5_PKlPlN2at6native12_GLOBAL__N_18offset_tEEE10hipError_tPvRmT1_PNSt15iterator_traitsISL_E10value_typeET2_T3_PNSM_ISR_E10value_typeET4_jRbjT5_SX_jjP12ihipStream_tbEUlT_E2_NS1_11comp_targetILNS1_3genE10ELNS1_11target_archE1200ELNS1_3gpuE4ELNS1_3repE0EEENS1_30default_config_static_selectorELNS0_4arch9wavefront6targetE0EEEvSL_.has_indirect_call, 0
	.section	.AMDGPU.csdata,"",@progbits
; Kernel info:
; codeLenInByte = 0
; TotalNumSgprs: 0
; NumVgprs: 0
; ScratchSize: 0
; MemoryBound: 0
; FloatMode: 240
; IeeeMode: 1
; LDSByteSize: 0 bytes/workgroup (compile time only)
; SGPRBlocks: 0
; VGPRBlocks: 0
; NumSGPRsForWavesPerEU: 1
; NumVGPRsForWavesPerEU: 1
; Occupancy: 16
; WaveLimiterHint : 0
; COMPUTE_PGM_RSRC2:SCRATCH_EN: 0
; COMPUTE_PGM_RSRC2:USER_SGPR: 6
; COMPUTE_PGM_RSRC2:TRAP_HANDLER: 0
; COMPUTE_PGM_RSRC2:TGID_X_EN: 1
; COMPUTE_PGM_RSRC2:TGID_Y_EN: 0
; COMPUTE_PGM_RSRC2:TGID_Z_EN: 0
; COMPUTE_PGM_RSRC2:TIDIG_COMP_CNT: 0
	.section	.text._ZN7rocprim17ROCPRIM_400000_NS6detail17trampoline_kernelINS0_14default_configENS1_36segmented_radix_sort_config_selectorI12hip_bfloat16lEEZNS1_25segmented_radix_sort_implIS3_Lb0EPKS5_PS5_PKlPlN2at6native12_GLOBAL__N_18offset_tEEE10hipError_tPvRmT1_PNSt15iterator_traitsISL_E10value_typeET2_T3_PNSM_ISR_E10value_typeET4_jRbjT5_SX_jjP12ihipStream_tbEUlT_E2_NS1_11comp_targetILNS1_3genE9ELNS1_11target_archE1100ELNS1_3gpuE3ELNS1_3repE0EEENS1_30default_config_static_selectorELNS0_4arch9wavefront6targetE0EEEvSL_,"axG",@progbits,_ZN7rocprim17ROCPRIM_400000_NS6detail17trampoline_kernelINS0_14default_configENS1_36segmented_radix_sort_config_selectorI12hip_bfloat16lEEZNS1_25segmented_radix_sort_implIS3_Lb0EPKS5_PS5_PKlPlN2at6native12_GLOBAL__N_18offset_tEEE10hipError_tPvRmT1_PNSt15iterator_traitsISL_E10value_typeET2_T3_PNSM_ISR_E10value_typeET4_jRbjT5_SX_jjP12ihipStream_tbEUlT_E2_NS1_11comp_targetILNS1_3genE9ELNS1_11target_archE1100ELNS1_3gpuE3ELNS1_3repE0EEENS1_30default_config_static_selectorELNS0_4arch9wavefront6targetE0EEEvSL_,comdat
	.globl	_ZN7rocprim17ROCPRIM_400000_NS6detail17trampoline_kernelINS0_14default_configENS1_36segmented_radix_sort_config_selectorI12hip_bfloat16lEEZNS1_25segmented_radix_sort_implIS3_Lb0EPKS5_PS5_PKlPlN2at6native12_GLOBAL__N_18offset_tEEE10hipError_tPvRmT1_PNSt15iterator_traitsISL_E10value_typeET2_T3_PNSM_ISR_E10value_typeET4_jRbjT5_SX_jjP12ihipStream_tbEUlT_E2_NS1_11comp_targetILNS1_3genE9ELNS1_11target_archE1100ELNS1_3gpuE3ELNS1_3repE0EEENS1_30default_config_static_selectorELNS0_4arch9wavefront6targetE0EEEvSL_ ; -- Begin function _ZN7rocprim17ROCPRIM_400000_NS6detail17trampoline_kernelINS0_14default_configENS1_36segmented_radix_sort_config_selectorI12hip_bfloat16lEEZNS1_25segmented_radix_sort_implIS3_Lb0EPKS5_PS5_PKlPlN2at6native12_GLOBAL__N_18offset_tEEE10hipError_tPvRmT1_PNSt15iterator_traitsISL_E10value_typeET2_T3_PNSM_ISR_E10value_typeET4_jRbjT5_SX_jjP12ihipStream_tbEUlT_E2_NS1_11comp_targetILNS1_3genE9ELNS1_11target_archE1100ELNS1_3gpuE3ELNS1_3repE0EEENS1_30default_config_static_selectorELNS0_4arch9wavefront6targetE0EEEvSL_
	.p2align	8
	.type	_ZN7rocprim17ROCPRIM_400000_NS6detail17trampoline_kernelINS0_14default_configENS1_36segmented_radix_sort_config_selectorI12hip_bfloat16lEEZNS1_25segmented_radix_sort_implIS3_Lb0EPKS5_PS5_PKlPlN2at6native12_GLOBAL__N_18offset_tEEE10hipError_tPvRmT1_PNSt15iterator_traitsISL_E10value_typeET2_T3_PNSM_ISR_E10value_typeET4_jRbjT5_SX_jjP12ihipStream_tbEUlT_E2_NS1_11comp_targetILNS1_3genE9ELNS1_11target_archE1100ELNS1_3gpuE3ELNS1_3repE0EEENS1_30default_config_static_selectorELNS0_4arch9wavefront6targetE0EEEvSL_,@function
_ZN7rocprim17ROCPRIM_400000_NS6detail17trampoline_kernelINS0_14default_configENS1_36segmented_radix_sort_config_selectorI12hip_bfloat16lEEZNS1_25segmented_radix_sort_implIS3_Lb0EPKS5_PS5_PKlPlN2at6native12_GLOBAL__N_18offset_tEEE10hipError_tPvRmT1_PNSt15iterator_traitsISL_E10value_typeET2_T3_PNSM_ISR_E10value_typeET4_jRbjT5_SX_jjP12ihipStream_tbEUlT_E2_NS1_11comp_targetILNS1_3genE9ELNS1_11target_archE1100ELNS1_3gpuE3ELNS1_3repE0EEENS1_30default_config_static_selectorELNS0_4arch9wavefront6targetE0EEEvSL_: ; @_ZN7rocprim17ROCPRIM_400000_NS6detail17trampoline_kernelINS0_14default_configENS1_36segmented_radix_sort_config_selectorI12hip_bfloat16lEEZNS1_25segmented_radix_sort_implIS3_Lb0EPKS5_PS5_PKlPlN2at6native12_GLOBAL__N_18offset_tEEE10hipError_tPvRmT1_PNSt15iterator_traitsISL_E10value_typeET2_T3_PNSM_ISR_E10value_typeET4_jRbjT5_SX_jjP12ihipStream_tbEUlT_E2_NS1_11comp_targetILNS1_3genE9ELNS1_11target_archE1100ELNS1_3gpuE3ELNS1_3repE0EEENS1_30default_config_static_selectorELNS0_4arch9wavefront6targetE0EEEvSL_
; %bb.0:
	.section	.rodata,"a",@progbits
	.p2align	6, 0x0
	.amdhsa_kernel _ZN7rocprim17ROCPRIM_400000_NS6detail17trampoline_kernelINS0_14default_configENS1_36segmented_radix_sort_config_selectorI12hip_bfloat16lEEZNS1_25segmented_radix_sort_implIS3_Lb0EPKS5_PS5_PKlPlN2at6native12_GLOBAL__N_18offset_tEEE10hipError_tPvRmT1_PNSt15iterator_traitsISL_E10value_typeET2_T3_PNSM_ISR_E10value_typeET4_jRbjT5_SX_jjP12ihipStream_tbEUlT_E2_NS1_11comp_targetILNS1_3genE9ELNS1_11target_archE1100ELNS1_3gpuE3ELNS1_3repE0EEENS1_30default_config_static_selectorELNS0_4arch9wavefront6targetE0EEEvSL_
		.amdhsa_group_segment_fixed_size 0
		.amdhsa_private_segment_fixed_size 0
		.amdhsa_kernarg_size 80
		.amdhsa_user_sgpr_count 6
		.amdhsa_user_sgpr_private_segment_buffer 1
		.amdhsa_user_sgpr_dispatch_ptr 0
		.amdhsa_user_sgpr_queue_ptr 0
		.amdhsa_user_sgpr_kernarg_segment_ptr 1
		.amdhsa_user_sgpr_dispatch_id 0
		.amdhsa_user_sgpr_flat_scratch_init 0
		.amdhsa_user_sgpr_private_segment_size 0
		.amdhsa_wavefront_size32 1
		.amdhsa_uses_dynamic_stack 0
		.amdhsa_system_sgpr_private_segment_wavefront_offset 0
		.amdhsa_system_sgpr_workgroup_id_x 1
		.amdhsa_system_sgpr_workgroup_id_y 0
		.amdhsa_system_sgpr_workgroup_id_z 0
		.amdhsa_system_sgpr_workgroup_info 0
		.amdhsa_system_vgpr_workitem_id 0
		.amdhsa_next_free_vgpr 1
		.amdhsa_next_free_sgpr 1
		.amdhsa_reserve_vcc 0
		.amdhsa_reserve_flat_scratch 0
		.amdhsa_float_round_mode_32 0
		.amdhsa_float_round_mode_16_64 0
		.amdhsa_float_denorm_mode_32 3
		.amdhsa_float_denorm_mode_16_64 3
		.amdhsa_dx10_clamp 1
		.amdhsa_ieee_mode 1
		.amdhsa_fp16_overflow 0
		.amdhsa_workgroup_processor_mode 1
		.amdhsa_memory_ordered 1
		.amdhsa_forward_progress 1
		.amdhsa_shared_vgpr_count 0
		.amdhsa_exception_fp_ieee_invalid_op 0
		.amdhsa_exception_fp_denorm_src 0
		.amdhsa_exception_fp_ieee_div_zero 0
		.amdhsa_exception_fp_ieee_overflow 0
		.amdhsa_exception_fp_ieee_underflow 0
		.amdhsa_exception_fp_ieee_inexact 0
		.amdhsa_exception_int_div_zero 0
	.end_amdhsa_kernel
	.section	.text._ZN7rocprim17ROCPRIM_400000_NS6detail17trampoline_kernelINS0_14default_configENS1_36segmented_radix_sort_config_selectorI12hip_bfloat16lEEZNS1_25segmented_radix_sort_implIS3_Lb0EPKS5_PS5_PKlPlN2at6native12_GLOBAL__N_18offset_tEEE10hipError_tPvRmT1_PNSt15iterator_traitsISL_E10value_typeET2_T3_PNSM_ISR_E10value_typeET4_jRbjT5_SX_jjP12ihipStream_tbEUlT_E2_NS1_11comp_targetILNS1_3genE9ELNS1_11target_archE1100ELNS1_3gpuE3ELNS1_3repE0EEENS1_30default_config_static_selectorELNS0_4arch9wavefront6targetE0EEEvSL_,"axG",@progbits,_ZN7rocprim17ROCPRIM_400000_NS6detail17trampoline_kernelINS0_14default_configENS1_36segmented_radix_sort_config_selectorI12hip_bfloat16lEEZNS1_25segmented_radix_sort_implIS3_Lb0EPKS5_PS5_PKlPlN2at6native12_GLOBAL__N_18offset_tEEE10hipError_tPvRmT1_PNSt15iterator_traitsISL_E10value_typeET2_T3_PNSM_ISR_E10value_typeET4_jRbjT5_SX_jjP12ihipStream_tbEUlT_E2_NS1_11comp_targetILNS1_3genE9ELNS1_11target_archE1100ELNS1_3gpuE3ELNS1_3repE0EEENS1_30default_config_static_selectorELNS0_4arch9wavefront6targetE0EEEvSL_,comdat
.Lfunc_end2076:
	.size	_ZN7rocprim17ROCPRIM_400000_NS6detail17trampoline_kernelINS0_14default_configENS1_36segmented_radix_sort_config_selectorI12hip_bfloat16lEEZNS1_25segmented_radix_sort_implIS3_Lb0EPKS5_PS5_PKlPlN2at6native12_GLOBAL__N_18offset_tEEE10hipError_tPvRmT1_PNSt15iterator_traitsISL_E10value_typeET2_T3_PNSM_ISR_E10value_typeET4_jRbjT5_SX_jjP12ihipStream_tbEUlT_E2_NS1_11comp_targetILNS1_3genE9ELNS1_11target_archE1100ELNS1_3gpuE3ELNS1_3repE0EEENS1_30default_config_static_selectorELNS0_4arch9wavefront6targetE0EEEvSL_, .Lfunc_end2076-_ZN7rocprim17ROCPRIM_400000_NS6detail17trampoline_kernelINS0_14default_configENS1_36segmented_radix_sort_config_selectorI12hip_bfloat16lEEZNS1_25segmented_radix_sort_implIS3_Lb0EPKS5_PS5_PKlPlN2at6native12_GLOBAL__N_18offset_tEEE10hipError_tPvRmT1_PNSt15iterator_traitsISL_E10value_typeET2_T3_PNSM_ISR_E10value_typeET4_jRbjT5_SX_jjP12ihipStream_tbEUlT_E2_NS1_11comp_targetILNS1_3genE9ELNS1_11target_archE1100ELNS1_3gpuE3ELNS1_3repE0EEENS1_30default_config_static_selectorELNS0_4arch9wavefront6targetE0EEEvSL_
                                        ; -- End function
	.set _ZN7rocprim17ROCPRIM_400000_NS6detail17trampoline_kernelINS0_14default_configENS1_36segmented_radix_sort_config_selectorI12hip_bfloat16lEEZNS1_25segmented_radix_sort_implIS3_Lb0EPKS5_PS5_PKlPlN2at6native12_GLOBAL__N_18offset_tEEE10hipError_tPvRmT1_PNSt15iterator_traitsISL_E10value_typeET2_T3_PNSM_ISR_E10value_typeET4_jRbjT5_SX_jjP12ihipStream_tbEUlT_E2_NS1_11comp_targetILNS1_3genE9ELNS1_11target_archE1100ELNS1_3gpuE3ELNS1_3repE0EEENS1_30default_config_static_selectorELNS0_4arch9wavefront6targetE0EEEvSL_.num_vgpr, 0
	.set _ZN7rocprim17ROCPRIM_400000_NS6detail17trampoline_kernelINS0_14default_configENS1_36segmented_radix_sort_config_selectorI12hip_bfloat16lEEZNS1_25segmented_radix_sort_implIS3_Lb0EPKS5_PS5_PKlPlN2at6native12_GLOBAL__N_18offset_tEEE10hipError_tPvRmT1_PNSt15iterator_traitsISL_E10value_typeET2_T3_PNSM_ISR_E10value_typeET4_jRbjT5_SX_jjP12ihipStream_tbEUlT_E2_NS1_11comp_targetILNS1_3genE9ELNS1_11target_archE1100ELNS1_3gpuE3ELNS1_3repE0EEENS1_30default_config_static_selectorELNS0_4arch9wavefront6targetE0EEEvSL_.num_agpr, 0
	.set _ZN7rocprim17ROCPRIM_400000_NS6detail17trampoline_kernelINS0_14default_configENS1_36segmented_radix_sort_config_selectorI12hip_bfloat16lEEZNS1_25segmented_radix_sort_implIS3_Lb0EPKS5_PS5_PKlPlN2at6native12_GLOBAL__N_18offset_tEEE10hipError_tPvRmT1_PNSt15iterator_traitsISL_E10value_typeET2_T3_PNSM_ISR_E10value_typeET4_jRbjT5_SX_jjP12ihipStream_tbEUlT_E2_NS1_11comp_targetILNS1_3genE9ELNS1_11target_archE1100ELNS1_3gpuE3ELNS1_3repE0EEENS1_30default_config_static_selectorELNS0_4arch9wavefront6targetE0EEEvSL_.numbered_sgpr, 0
	.set _ZN7rocprim17ROCPRIM_400000_NS6detail17trampoline_kernelINS0_14default_configENS1_36segmented_radix_sort_config_selectorI12hip_bfloat16lEEZNS1_25segmented_radix_sort_implIS3_Lb0EPKS5_PS5_PKlPlN2at6native12_GLOBAL__N_18offset_tEEE10hipError_tPvRmT1_PNSt15iterator_traitsISL_E10value_typeET2_T3_PNSM_ISR_E10value_typeET4_jRbjT5_SX_jjP12ihipStream_tbEUlT_E2_NS1_11comp_targetILNS1_3genE9ELNS1_11target_archE1100ELNS1_3gpuE3ELNS1_3repE0EEENS1_30default_config_static_selectorELNS0_4arch9wavefront6targetE0EEEvSL_.num_named_barrier, 0
	.set _ZN7rocprim17ROCPRIM_400000_NS6detail17trampoline_kernelINS0_14default_configENS1_36segmented_radix_sort_config_selectorI12hip_bfloat16lEEZNS1_25segmented_radix_sort_implIS3_Lb0EPKS5_PS5_PKlPlN2at6native12_GLOBAL__N_18offset_tEEE10hipError_tPvRmT1_PNSt15iterator_traitsISL_E10value_typeET2_T3_PNSM_ISR_E10value_typeET4_jRbjT5_SX_jjP12ihipStream_tbEUlT_E2_NS1_11comp_targetILNS1_3genE9ELNS1_11target_archE1100ELNS1_3gpuE3ELNS1_3repE0EEENS1_30default_config_static_selectorELNS0_4arch9wavefront6targetE0EEEvSL_.private_seg_size, 0
	.set _ZN7rocprim17ROCPRIM_400000_NS6detail17trampoline_kernelINS0_14default_configENS1_36segmented_radix_sort_config_selectorI12hip_bfloat16lEEZNS1_25segmented_radix_sort_implIS3_Lb0EPKS5_PS5_PKlPlN2at6native12_GLOBAL__N_18offset_tEEE10hipError_tPvRmT1_PNSt15iterator_traitsISL_E10value_typeET2_T3_PNSM_ISR_E10value_typeET4_jRbjT5_SX_jjP12ihipStream_tbEUlT_E2_NS1_11comp_targetILNS1_3genE9ELNS1_11target_archE1100ELNS1_3gpuE3ELNS1_3repE0EEENS1_30default_config_static_selectorELNS0_4arch9wavefront6targetE0EEEvSL_.uses_vcc, 0
	.set _ZN7rocprim17ROCPRIM_400000_NS6detail17trampoline_kernelINS0_14default_configENS1_36segmented_radix_sort_config_selectorI12hip_bfloat16lEEZNS1_25segmented_radix_sort_implIS3_Lb0EPKS5_PS5_PKlPlN2at6native12_GLOBAL__N_18offset_tEEE10hipError_tPvRmT1_PNSt15iterator_traitsISL_E10value_typeET2_T3_PNSM_ISR_E10value_typeET4_jRbjT5_SX_jjP12ihipStream_tbEUlT_E2_NS1_11comp_targetILNS1_3genE9ELNS1_11target_archE1100ELNS1_3gpuE3ELNS1_3repE0EEENS1_30default_config_static_selectorELNS0_4arch9wavefront6targetE0EEEvSL_.uses_flat_scratch, 0
	.set _ZN7rocprim17ROCPRIM_400000_NS6detail17trampoline_kernelINS0_14default_configENS1_36segmented_radix_sort_config_selectorI12hip_bfloat16lEEZNS1_25segmented_radix_sort_implIS3_Lb0EPKS5_PS5_PKlPlN2at6native12_GLOBAL__N_18offset_tEEE10hipError_tPvRmT1_PNSt15iterator_traitsISL_E10value_typeET2_T3_PNSM_ISR_E10value_typeET4_jRbjT5_SX_jjP12ihipStream_tbEUlT_E2_NS1_11comp_targetILNS1_3genE9ELNS1_11target_archE1100ELNS1_3gpuE3ELNS1_3repE0EEENS1_30default_config_static_selectorELNS0_4arch9wavefront6targetE0EEEvSL_.has_dyn_sized_stack, 0
	.set _ZN7rocprim17ROCPRIM_400000_NS6detail17trampoline_kernelINS0_14default_configENS1_36segmented_radix_sort_config_selectorI12hip_bfloat16lEEZNS1_25segmented_radix_sort_implIS3_Lb0EPKS5_PS5_PKlPlN2at6native12_GLOBAL__N_18offset_tEEE10hipError_tPvRmT1_PNSt15iterator_traitsISL_E10value_typeET2_T3_PNSM_ISR_E10value_typeET4_jRbjT5_SX_jjP12ihipStream_tbEUlT_E2_NS1_11comp_targetILNS1_3genE9ELNS1_11target_archE1100ELNS1_3gpuE3ELNS1_3repE0EEENS1_30default_config_static_selectorELNS0_4arch9wavefront6targetE0EEEvSL_.has_recursion, 0
	.set _ZN7rocprim17ROCPRIM_400000_NS6detail17trampoline_kernelINS0_14default_configENS1_36segmented_radix_sort_config_selectorI12hip_bfloat16lEEZNS1_25segmented_radix_sort_implIS3_Lb0EPKS5_PS5_PKlPlN2at6native12_GLOBAL__N_18offset_tEEE10hipError_tPvRmT1_PNSt15iterator_traitsISL_E10value_typeET2_T3_PNSM_ISR_E10value_typeET4_jRbjT5_SX_jjP12ihipStream_tbEUlT_E2_NS1_11comp_targetILNS1_3genE9ELNS1_11target_archE1100ELNS1_3gpuE3ELNS1_3repE0EEENS1_30default_config_static_selectorELNS0_4arch9wavefront6targetE0EEEvSL_.has_indirect_call, 0
	.section	.AMDGPU.csdata,"",@progbits
; Kernel info:
; codeLenInByte = 0
; TotalNumSgprs: 0
; NumVgprs: 0
; ScratchSize: 0
; MemoryBound: 0
; FloatMode: 240
; IeeeMode: 1
; LDSByteSize: 0 bytes/workgroup (compile time only)
; SGPRBlocks: 0
; VGPRBlocks: 0
; NumSGPRsForWavesPerEU: 1
; NumVGPRsForWavesPerEU: 1
; Occupancy: 16
; WaveLimiterHint : 0
; COMPUTE_PGM_RSRC2:SCRATCH_EN: 0
; COMPUTE_PGM_RSRC2:USER_SGPR: 6
; COMPUTE_PGM_RSRC2:TRAP_HANDLER: 0
; COMPUTE_PGM_RSRC2:TGID_X_EN: 1
; COMPUTE_PGM_RSRC2:TGID_Y_EN: 0
; COMPUTE_PGM_RSRC2:TGID_Z_EN: 0
; COMPUTE_PGM_RSRC2:TIDIG_COMP_CNT: 0
	.section	.text._ZN7rocprim17ROCPRIM_400000_NS6detail17trampoline_kernelINS0_14default_configENS1_36segmented_radix_sort_config_selectorI12hip_bfloat16lEEZNS1_25segmented_radix_sort_implIS3_Lb0EPKS5_PS5_PKlPlN2at6native12_GLOBAL__N_18offset_tEEE10hipError_tPvRmT1_PNSt15iterator_traitsISL_E10value_typeET2_T3_PNSM_ISR_E10value_typeET4_jRbjT5_SX_jjP12ihipStream_tbEUlT_E2_NS1_11comp_targetILNS1_3genE8ELNS1_11target_archE1030ELNS1_3gpuE2ELNS1_3repE0EEENS1_30default_config_static_selectorELNS0_4arch9wavefront6targetE0EEEvSL_,"axG",@progbits,_ZN7rocprim17ROCPRIM_400000_NS6detail17trampoline_kernelINS0_14default_configENS1_36segmented_radix_sort_config_selectorI12hip_bfloat16lEEZNS1_25segmented_radix_sort_implIS3_Lb0EPKS5_PS5_PKlPlN2at6native12_GLOBAL__N_18offset_tEEE10hipError_tPvRmT1_PNSt15iterator_traitsISL_E10value_typeET2_T3_PNSM_ISR_E10value_typeET4_jRbjT5_SX_jjP12ihipStream_tbEUlT_E2_NS1_11comp_targetILNS1_3genE8ELNS1_11target_archE1030ELNS1_3gpuE2ELNS1_3repE0EEENS1_30default_config_static_selectorELNS0_4arch9wavefront6targetE0EEEvSL_,comdat
	.globl	_ZN7rocprim17ROCPRIM_400000_NS6detail17trampoline_kernelINS0_14default_configENS1_36segmented_radix_sort_config_selectorI12hip_bfloat16lEEZNS1_25segmented_radix_sort_implIS3_Lb0EPKS5_PS5_PKlPlN2at6native12_GLOBAL__N_18offset_tEEE10hipError_tPvRmT1_PNSt15iterator_traitsISL_E10value_typeET2_T3_PNSM_ISR_E10value_typeET4_jRbjT5_SX_jjP12ihipStream_tbEUlT_E2_NS1_11comp_targetILNS1_3genE8ELNS1_11target_archE1030ELNS1_3gpuE2ELNS1_3repE0EEENS1_30default_config_static_selectorELNS0_4arch9wavefront6targetE0EEEvSL_ ; -- Begin function _ZN7rocprim17ROCPRIM_400000_NS6detail17trampoline_kernelINS0_14default_configENS1_36segmented_radix_sort_config_selectorI12hip_bfloat16lEEZNS1_25segmented_radix_sort_implIS3_Lb0EPKS5_PS5_PKlPlN2at6native12_GLOBAL__N_18offset_tEEE10hipError_tPvRmT1_PNSt15iterator_traitsISL_E10value_typeET2_T3_PNSM_ISR_E10value_typeET4_jRbjT5_SX_jjP12ihipStream_tbEUlT_E2_NS1_11comp_targetILNS1_3genE8ELNS1_11target_archE1030ELNS1_3gpuE2ELNS1_3repE0EEENS1_30default_config_static_selectorELNS0_4arch9wavefront6targetE0EEEvSL_
	.p2align	8
	.type	_ZN7rocprim17ROCPRIM_400000_NS6detail17trampoline_kernelINS0_14default_configENS1_36segmented_radix_sort_config_selectorI12hip_bfloat16lEEZNS1_25segmented_radix_sort_implIS3_Lb0EPKS5_PS5_PKlPlN2at6native12_GLOBAL__N_18offset_tEEE10hipError_tPvRmT1_PNSt15iterator_traitsISL_E10value_typeET2_T3_PNSM_ISR_E10value_typeET4_jRbjT5_SX_jjP12ihipStream_tbEUlT_E2_NS1_11comp_targetILNS1_3genE8ELNS1_11target_archE1030ELNS1_3gpuE2ELNS1_3repE0EEENS1_30default_config_static_selectorELNS0_4arch9wavefront6targetE0EEEvSL_,@function
_ZN7rocprim17ROCPRIM_400000_NS6detail17trampoline_kernelINS0_14default_configENS1_36segmented_radix_sort_config_selectorI12hip_bfloat16lEEZNS1_25segmented_radix_sort_implIS3_Lb0EPKS5_PS5_PKlPlN2at6native12_GLOBAL__N_18offset_tEEE10hipError_tPvRmT1_PNSt15iterator_traitsISL_E10value_typeET2_T3_PNSM_ISR_E10value_typeET4_jRbjT5_SX_jjP12ihipStream_tbEUlT_E2_NS1_11comp_targetILNS1_3genE8ELNS1_11target_archE1030ELNS1_3gpuE2ELNS1_3repE0EEENS1_30default_config_static_selectorELNS0_4arch9wavefront6targetE0EEEvSL_: ; @_ZN7rocprim17ROCPRIM_400000_NS6detail17trampoline_kernelINS0_14default_configENS1_36segmented_radix_sort_config_selectorI12hip_bfloat16lEEZNS1_25segmented_radix_sort_implIS3_Lb0EPKS5_PS5_PKlPlN2at6native12_GLOBAL__N_18offset_tEEE10hipError_tPvRmT1_PNSt15iterator_traitsISL_E10value_typeET2_T3_PNSM_ISR_E10value_typeET4_jRbjT5_SX_jjP12ihipStream_tbEUlT_E2_NS1_11comp_targetILNS1_3genE8ELNS1_11target_archE1030ELNS1_3gpuE2ELNS1_3repE0EEENS1_30default_config_static_selectorELNS0_4arch9wavefront6targetE0EEEvSL_
; %bb.0:
	s_add_u32 s0, s0, s8
	s_load_dwordx4 s[8:11], s[4:5], 0x34
	s_addc_u32 s1, s1, 0
	s_mov_b32 s32, 0
	s_waitcnt lgkmcnt(0)
	s_add_i32 s33, s9, s6
	s_add_i32 s52, s11, s6
	s_mul_i32 s33, s33, s8
	s_mul_i32 s52, s52, s10
	s_cmp_le_u32 s52, s33
	s_cbranch_scc1 .LBB2077_678
; %bb.1:
	s_clause 0x3
	s_load_dword s8, s[4:5], 0x30
	s_load_dwordx4 s[44:47], s[4:5], 0x20
	s_load_dwordx4 s[48:51], s[4:5], 0x44
	s_load_dwordx8 s[36:43], s[4:5], 0x0
	s_waitcnt lgkmcnt(0)
	s_bitcmp1_b32 s8, 0
	s_mov_b32 s8, -1
	s_cselect_b32 s51, -1, 0
	s_sub_i32 s53, s52, s33
	s_cmpk_lt_u32 s53, 0x801
	s_cbranch_scc0 .LBB2077_15
; %bb.2:
	s_cmp_lt_u32 s53, 33
	s_cbranch_scc0 .LBB2077_9
; %bb.3:
	s_load_dword s8, s[4:5], 0x5c
	s_mov_b32 s18, exec_lo
	s_waitcnt lgkmcnt(0)
	s_lshr_b32 s9, s8, 16
	s_and_b32 s8, s8, 0xffff
	v_mad_u32_u24 v3, v2, s9, v1
	v_mad_u64_u32 v[3:4], null, v3, s8, v[0:1]
	v_cmpx_gt_u32_e32 8, v3
	s_cbranch_execz .LBB2077_8
; %bb.4:
	v_cndmask_b32_e64 v3, 0, 1, s51
	s_and_b32 s8, s48, 1
	v_cmp_ne_u32_e32 vcc_lo, s8, v3
	s_mov_b32 s8, -1
	s_cbranch_vccnz .LBB2077_6
; %bb.5:
	v_lshlrev_b32_e32 v3, 20, v2
	v_lshlrev_b32_e32 v4, 10, v1
	s_mov_b64 s[10:11], src_shared_base
	v_mov_b32_e32 v40, v0
	v_mov_b32_e32 v41, v1
	;; [unrolled: 1-line block ×3, first 2 shown]
	v_or3_b32 v31, v0, v4, v3
	v_mov_b32_e32 v0, s36
	v_mov_b32_e32 v42, v2
	;; [unrolled: 1-line block ×12, first 2 shown]
	s_add_u32 s8, s4, 0x50
	s_addc_u32 s9, s5, 0
	s_getpc_b64 s[14:15]
	s_add_u32 s14, s14, _ZN7rocprim17ROCPRIM_400000_NS6detail26segmented_warp_sort_helperINS1_20WarpSortHelperConfigILj8ELj4ELj256EEE12hip_bfloat16lLi256ELb0EvE4sortIPKS5_PS5_PKlPlEEvT_T0_T1_T2_jjjjRNS6_12storage_typeE@rel32@lo+4
	s_addc_u32 s15, s15, _ZN7rocprim17ROCPRIM_400000_NS6detail26segmented_warp_sort_helperINS1_20WarpSortHelperConfigILj8ELj4ELj256EEE12hip_bfloat16lLi256ELb0EvE4sortIPKS5_PS5_PKlPlEEvT_T0_T1_T2_jjjjRNS6_12storage_typeE@rel32@hi+12
	s_mov_b32 s12, s6
	s_mov_b32 s13, s7
	s_mov_b64 s[16:17], s[4:5]
	s_mov_b32 s19, s7
	s_mov_b32 s20, s6
	s_swappc_b64 s[30:31], s[14:15]
	v_mov_b32_e32 v1, v41
	v_mov_b32_e32 v2, v42
	;; [unrolled: 1-line block ×3, first 2 shown]
	s_mov_b32 s6, s20
	s_mov_b32 s7, s19
	s_mov_b64 s[4:5], s[16:17]
	s_mov_b32 s8, 0
.LBB2077_6:
	s_andn2_b32 vcc_lo, exec_lo, s8
	s_cbranch_vccnz .LBB2077_8
; %bb.7:
	v_lshlrev_b32_e32 v3, 20, v2
	v_lshlrev_b32_e32 v4, 10, v1
	s_mov_b64 s[10:11], src_shared_base
	v_mov_b32_e32 v40, v0
	v_mov_b32_e32 v41, v1
	;; [unrolled: 1-line block ×3, first 2 shown]
	v_or3_b32 v31, v0, v4, v3
	v_mov_b32_e32 v0, s36
	v_mov_b32_e32 v42, v2
	;; [unrolled: 1-line block ×12, first 2 shown]
	s_add_u32 s8, s4, 0x50
	s_addc_u32 s9, s5, 0
	s_getpc_b64 s[14:15]
	s_add_u32 s14, s14, _ZN7rocprim17ROCPRIM_400000_NS6detail26segmented_warp_sort_helperINS1_20WarpSortHelperConfigILj8ELj4ELj256EEE12hip_bfloat16lLi256ELb0EvE4sortIPKS5_PS5_PKlPlEEvT_T0_T1_T2_jjjjRNS6_12storage_typeE@rel32@lo+4
	s_addc_u32 s15, s15, _ZN7rocprim17ROCPRIM_400000_NS6detail26segmented_warp_sort_helperINS1_20WarpSortHelperConfigILj8ELj4ELj256EEE12hip_bfloat16lLi256ELb0EvE4sortIPKS5_PS5_PKlPlEEvT_T0_T1_T2_jjjjRNS6_12storage_typeE@rel32@hi+12
	s_mov_b32 s12, s6
	s_mov_b32 s13, s7
	s_mov_b64 s[16:17], s[4:5]
	s_mov_b32 s20, s7
	s_mov_b32 s19, s6
	s_swappc_b64 s[30:31], s[14:15]
	v_mov_b32_e32 v1, v41
	v_mov_b32_e32 v2, v42
	;; [unrolled: 1-line block ×3, first 2 shown]
	s_mov_b32 s6, s19
	s_mov_b32 s7, s20
	s_mov_b64 s[4:5], s[16:17]
.LBB2077_8:
	s_or_b32 exec_lo, exec_lo, s18
	s_mov_b32 s8, 0
.LBB2077_9:
	s_andn2_b32 vcc_lo, exec_lo, s8
	s_cbranch_vccnz .LBB2077_14
; %bb.10:
	v_cndmask_b32_e64 v3, 0, 1, s51
	s_and_b32 s8, s48, 1
	v_lshlrev_b32_e32 v41, 20, v2
	v_lshlrev_b32_e32 v42, 10, v1
	v_cmp_ne_u32_e32 vcc_lo, s8, v3
	s_mov_b32 s8, -1
	s_cbranch_vccnz .LBB2077_12
; %bb.11:
	s_mov_b64 s[10:11], src_shared_base
	v_or3_b32 v31, v0, v42, v41
	v_mov_b32_e32 v40, v0
	v_mov_b32_e32 v0, s36
	v_mov_b32_e32 v43, v1
	v_mov_b32_e32 v1, s37
	v_mov_b32_e32 v44, v2
	v_mov_b32_e32 v2, s40
	v_mov_b32_e32 v3, s41
	v_mov_b32_e32 v4, s42
	v_mov_b32_e32 v5, s43
	v_mov_b32_e32 v6, s46
	v_mov_b32_e32 v7, s47
	v_mov_b32_e32 v8, s33
	v_mov_b32_e32 v9, s52
	v_mov_b32_e32 v10, s49
	v_mov_b32_e32 v11, s50
	v_mov_b32_e32 v12, 0
	v_mov_b32_e32 v13, s11
	s_add_u32 s8, s4, 0x50
	s_addc_u32 s9, s5, 0
	s_getpc_b64 s[14:15]
	s_add_u32 s14, s14, _ZN7rocprim17ROCPRIM_400000_NS6detail40segmented_radix_sort_single_block_helperI12hip_bfloat16lLj256ELj8ELb0EE4sortIPKS3_PS3_PKlPlEEbT_T0_T1_T2_jjjjRNS4_12storage_typeE@rel32@lo+4
	s_addc_u32 s15, s15, _ZN7rocprim17ROCPRIM_400000_NS6detail40segmented_radix_sort_single_block_helperI12hip_bfloat16lLj256ELj8ELb0EE4sortIPKS3_PS3_PKlPlEEbT_T0_T1_T2_jjjjRNS4_12storage_typeE@rel32@hi+12
	s_mov_b32 s12, s6
	s_mov_b32 s13, s7
	s_mov_b64 s[28:29], s[4:5]
	s_mov_b32 s27, s7
	s_mov_b32 s34, s6
	s_swappc_b64 s[30:31], s[14:15]
	v_mov_b32_e32 v1, v43
	v_mov_b32_e32 v2, v44
	;; [unrolled: 1-line block ×3, first 2 shown]
	s_mov_b32 s6, s34
	s_mov_b32 s7, s27
	s_mov_b64 s[4:5], s[28:29]
	s_mov_b32 s8, 0
.LBB2077_12:
	s_andn2_b32 vcc_lo, exec_lo, s8
	s_cbranch_vccnz .LBB2077_14
; %bb.13:
	s_mov_b64 s[10:11], src_shared_base
	v_or3_b32 v31, v0, v42, v41
	v_mov_b32_e32 v40, v0
	v_mov_b32_e32 v0, s36
	;; [unrolled: 1-line block ×17, first 2 shown]
	s_add_u32 s8, s4, 0x50
	s_addc_u32 s9, s5, 0
	s_getpc_b64 s[14:15]
	s_add_u32 s14, s14, _ZN7rocprim17ROCPRIM_400000_NS6detail40segmented_radix_sort_single_block_helperI12hip_bfloat16lLj256ELj8ELb0EE4sortIPKS3_PS3_PKlPlEEbT_T0_T1_T2_jjjjRNS4_12storage_typeE@rel32@lo+4
	s_addc_u32 s15, s15, _ZN7rocprim17ROCPRIM_400000_NS6detail40segmented_radix_sort_single_block_helperI12hip_bfloat16lLj256ELj8ELb0EE4sortIPKS3_PS3_PKlPlEEbT_T0_T1_T2_jjjjRNS4_12storage_typeE@rel32@hi+12
	s_mov_b32 s12, s6
	s_mov_b32 s13, s7
	s_mov_b64 s[28:29], s[4:5]
	s_mov_b32 s34, s7
	s_mov_b32 s27, s6
	s_swappc_b64 s[30:31], s[14:15]
	v_mov_b32_e32 v1, v41
	v_mov_b32_e32 v2, v42
	;; [unrolled: 1-line block ×3, first 2 shown]
	s_mov_b32 s6, s27
	s_mov_b32 s7, s34
	s_mov_b64 s[4:5], s[28:29]
.LBB2077_14:
	s_mov_b32 s8, 0
.LBB2077_15:
	s_andn2_b32 vcc_lo, exec_lo, s8
	s_cbranch_vccnz .LBB2077_678
; %bb.16:
	s_cmp_ge_u32 s49, s50
	s_cbranch_scc1 .LBB2077_678
; %bb.17:
	v_lshlrev_b32_e32 v29, 2, v0
	v_and_b32_e32 v4, 3, v0
	v_lshrrev_b32_e32 v5, 3, v0
	v_or_b32_e32 v6, 31, v0
	v_lshlrev_b32_e32 v3, 1, v0
	v_mad_u32_u24 v41, v0, 12, v29
	v_lshlrev_b32_e32 v40, 2, v4
	v_lshlrev_b32_e32 v4, 3, v0
	v_and_b32_e32 v39, 28, v5
	v_lshlrev_b32_e32 v5, 5, v0
	v_mad_u32_u24 v44, v0, 20, v41
	v_cmp_eq_u32_e64 s9, v0, v6
	v_and_b32_e32 v4, 0x700, v4
	v_mbcnt_lo_u32_b32 v59, -1, 0
	v_or_b32_e32 v35, 0x400, v0
	v_sub_nc_u32_e32 v46, v44, v5
	v_or_b32_e32 v36, 0x500, v0
	v_lshlrev_b32_e32 v5, 3, v4
	v_lshlrev_b32_e32 v6, 1, v4
	;; [unrolled: 1-line block ×4, first 2 shown]
	v_or_b32_e32 v37, 0x600, v0
	v_add_co_u32 v7, s13, s46, v5
	v_add_co_ci_u32_e64 v8, null, s47, 0, s13
	v_add_co_u32 v9, s13, s40, v6
	v_add_co_ci_u32_e64 v10, null, s41, 0, s13
	;; [unrolled: 2-line block ×5, first 2 shown]
	v_add_co_u32 v55, s13, s36, v3
	v_or_b32_e32 v38, 0x700, v0
	v_or_b32_e32 v66, v59, v4
	v_add_co_ci_u32_e64 v56, null, s37, 0, s13
	v_add_co_u32 v57, s13, s42, v5
	v_add_co_u32 v83, vcc_lo, v7, v69
	v_add_co_u32 v33, s8, s40, v3
	v_add_co_ci_u32_e64 v58, null, s43, 0, s13
	v_add_co_u32 v60, s13, s36, v6
	v_add_co_ci_u32_e64 v84, null, 0, v8, vcc_lo
	v_add_co_u32 v85, vcc_lo, v9, v77
	v_or_b32_e32 v30, 0x100, v0
	v_or_b32_e32 v31, 0x200, v0
	;; [unrolled: 1-line block ×3, first 2 shown]
	v_add_co_ci_u32_e64 v34, null, s41, 0, s8
	v_cmp_gt_u32_e64 s8, 0x100, v0
	v_or_b32_e32 v42, 0x4400, v39
	v_cmp_gt_u32_e64 s10, 8, v0
	v_or_b32_e32 v43, 0x4400, v29
	v_cmp_lt_u32_e64 s11, 31, v0
	v_add_nc_u32_e32 v45, 0x43fc, v39
	s_add_u32 s30, s4, 0x50
	v_cmp_eq_u32_e64 s4, 0, v0
	v_cmp_ne_u32_e64 s12, 0xff, v0
	v_sub_nc_u32_e32 v47, v46, v3
	v_mul_u32_u24_e32 v48, 6, v0
	v_add_co_ci_u32_e64 v61, null, s37, 0, s13
	v_mov_b32_e32 v62, 1
	v_and_b32_e32 v63, 15, v59
	v_bfe_i32 v64, v59, 4, 1
	v_and_b32_e32 v65, 16, v59
	v_and_b32_e32 v67, 7, v59
	v_sub_co_u32 v68, s13, v59, 1
	v_or_b32_e32 v70, 32, v66
	v_or_b32_e32 v71, 64, v66
	;; [unrolled: 1-line block ×7, first 2 shown]
	v_add_nc_u32_e32 v78, 0x420, v44
	v_lshlrev_b32_e32 v79, 1, v0
	v_lshlrev_b32_e32 v80, 1, v35
	;; [unrolled: 1-line block ×4, first 2 shown]
	v_add_co_ci_u32_e64 v86, null, 0, v10, vcc_lo
	v_lshlrev_b32_e32 v87, 1, v38
	v_add_nc_u32_e32 v88, 0x428, v44
	v_add_nc_u32_e32 v89, 0x430, v44
	;; [unrolled: 1-line block ×3, first 2 shown]
	v_mov_b32_e32 v4, 0
	s_addc_u32 s31, s5, 0
	s_mov_b32 s35, 0
	s_mov_b32 s29, s49
	s_branch .LBB2077_20
.LBB2077_18:                            ;   in Loop: Header=BB2077_20 Depth=1
	s_waitcnt lgkmcnt(0)
	s_barrier
.LBB2077_19:                            ;   in Loop: Header=BB2077_20 Depth=1
	s_add_i32 s29, s29, 8
	buffer_gl0_inv
	s_cmp_ge_u32 s29, s50
	s_cbranch_scc1 .LBB2077_678
.LBB2077_20:                            ; =>This Loop Header: Depth=1
                                        ;     Child Loop BB2077_24 Depth 2
                                        ;     Child Loop BB2077_72 Depth 2
                                        ;     Child Loop BB2077_188 Depth 2
                                        ;     Child Loop BB2077_236 Depth 2
                                        ;     Child Loop BB2077_354 Depth 2
                                        ;     Child Loop BB2077_402 Depth 2
                                        ;     Child Loop BB2077_518 Depth 2
                                        ;     Child Loop BB2077_566 Depth 2
	s_sub_i32 s5, s50, s29
	s_xor_b32 s51, s51, -1
	s_min_u32 s5, s5, 8
	ds_write2st64_b32 v29, v4, v4 offset1:4
	s_lshl_b32 s5, -1, s5
	ds_write2st64_b32 v29, v4, v4 offset0:8 offset1:12
	s_not_b32 s42, s5
	s_cmp_lg_u32 s29, s49
	s_mov_b32 s5, -1
	s_waitcnt lgkmcnt(0)
	s_waitcnt_vscnt null, 0x0
	s_cbranch_scc0 .LBB2077_350
; %bb.21:                               ;   in Loop: Header=BB2077_20 Depth=1
	s_and_b32 vcc_lo, exec_lo, s51
	s_cbranch_vccz .LBB2077_185
; %bb.22:                               ;   in Loop: Header=BB2077_20 Depth=1
	s_mov_b32 s5, s53
	s_mov_b32 s34, s33
	s_barrier
	buffer_gl0_inv
                                        ; implicit-def: $vgpr3
                                        ; implicit-def: $vgpr5
                                        ; implicit-def: $vgpr6
                                        ; implicit-def: $vgpr7
                                        ; implicit-def: $vgpr8
                                        ; implicit-def: $vgpr9
                                        ; implicit-def: $vgpr10
                                        ; implicit-def: $vgpr11
	s_branch .LBB2077_24
.LBB2077_23:                            ;   in Loop: Header=BB2077_24 Depth=2
	s_or_b32 exec_lo, exec_lo, s14
	s_addk_i32 s5, 0xf800
	s_cmp_ge_u32 s16, s52
	s_mov_b32 s34, s16
	s_cbranch_scc1 .LBB2077_60
.LBB2077_24:                            ;   Parent Loop BB2077_20 Depth=1
                                        ; =>  This Inner Loop Header: Depth=2
	s_add_i32 s16, s34, 0x800
	s_mov_b32 s14, -1
	s_cmp_gt_u32 s16, s52
                                        ; implicit-def: $vgpr12
                                        ; implicit-def: $vgpr13
                                        ; implicit-def: $vgpr14
                                        ; implicit-def: $vgpr15
                                        ; implicit-def: $vgpr16
                                        ; implicit-def: $vgpr17
                                        ; implicit-def: $vgpr18
                                        ; implicit-def: $vgpr19
	s_cbranch_scc1 .LBB2077_26
; %bb.25:                               ;   in Loop: Header=BB2077_24 Depth=2
	s_lshl_b64 s[14:15], s[34:35], 1
	v_add_co_u32 v15, vcc_lo, v33, s14
	v_add_co_ci_u32_e64 v16, null, s15, v34, vcc_lo
	s_mov_b32 s14, 0
	v_add_co_u32 v19, vcc_lo, 0x800, v15
	v_add_co_ci_u32_e64 v20, null, 0, v16, vcc_lo
	s_clause 0x7
	global_load_ushort v12, v[15:16], off
	global_load_ushort v13, v[15:16], off offset:512
	global_load_ushort v14, v[15:16], off offset:1024
	;; [unrolled: 1-line block ×3, first 2 shown]
	global_load_ushort v16, v[19:20], off
	global_load_ushort v17, v[19:20], off offset:512
	global_load_ushort v18, v[19:20], off offset:1024
	;; [unrolled: 1-line block ×3, first 2 shown]
.LBB2077_26:                            ;   in Loop: Header=BB2077_24 Depth=2
	s_andn2_b32 vcc_lo, exec_lo, s14
	s_movk_i32 s14, 0x800
	s_cbranch_vccnz .LBB2077_37
; %bb.27:                               ;   in Loop: Header=BB2077_24 Depth=2
	s_lshl_b64 s[14:15], s[34:35], 1
	s_mov_b32 s17, exec_lo
	s_add_u32 s14, s40, s14
	s_addc_u32 s15, s41, s15
	v_cmpx_gt_u32_e64 s5, v0
	s_cbranch_execnz .LBB2077_53
; %bb.28:                               ;   in Loop: Header=BB2077_24 Depth=2
	s_or_b32 exec_lo, exec_lo, s17
	s_mov_b32 s17, exec_lo
	v_cmpx_gt_u32_e64 s5, v30
	s_cbranch_execnz .LBB2077_54
.LBB2077_29:                            ;   in Loop: Header=BB2077_24 Depth=2
	s_or_b32 exec_lo, exec_lo, s17
	s_mov_b32 s17, exec_lo
	v_cmpx_gt_u32_e64 s5, v31
	s_cbranch_execnz .LBB2077_55
.LBB2077_30:                            ;   in Loop: Header=BB2077_24 Depth=2
	s_or_b32 exec_lo, exec_lo, s17
	s_mov_b32 s17, exec_lo
	v_cmpx_gt_u32_e64 s5, v32
	s_cbranch_execnz .LBB2077_56
.LBB2077_31:                            ;   in Loop: Header=BB2077_24 Depth=2
	s_or_b32 exec_lo, exec_lo, s17
	s_mov_b32 s17, exec_lo
	v_cmpx_gt_u32_e64 s5, v35
	s_cbranch_execnz .LBB2077_57
.LBB2077_32:                            ;   in Loop: Header=BB2077_24 Depth=2
	s_or_b32 exec_lo, exec_lo, s17
	s_mov_b32 s17, exec_lo
	v_cmpx_gt_u32_e64 s5, v36
	s_cbranch_execnz .LBB2077_58
.LBB2077_33:                            ;   in Loop: Header=BB2077_24 Depth=2
	s_or_b32 exec_lo, exec_lo, s17
	s_mov_b32 s17, exec_lo
	v_cmpx_gt_u32_e64 s5, v37
	s_cbranch_execnz .LBB2077_59
.LBB2077_34:                            ;   in Loop: Header=BB2077_24 Depth=2
	s_or_b32 exec_lo, exec_lo, s17
	s_mov_b32 s17, exec_lo
	v_cmpx_gt_u32_e64 s5, v38
	s_cbranch_execz .LBB2077_36
.LBB2077_35:                            ;   in Loop: Header=BB2077_24 Depth=2
	global_load_ushort v3, v87, s[14:15]
.LBB2077_36:                            ;   in Loop: Header=BB2077_24 Depth=2
	s_or_b32 exec_lo, exec_lo, s17
	s_waitcnt vmcnt(0)
	v_mov_b32_e32 v12, v11
	v_mov_b32_e32 v13, v10
	v_mov_b32_e32 v14, v9
	v_mov_b32_e32 v15, v8
	v_mov_b32_e32 v16, v7
	v_mov_b32_e32 v17, v6
	v_mov_b32_e32 v18, v5
	v_mov_b32_e32 v19, v3
	s_mov_b32 s14, s5
.LBB2077_37:                            ;   in Loop: Header=BB2077_24 Depth=2
	s_waitcnt vmcnt(0)
	v_mov_b32_e32 v3, v19
	v_mov_b32_e32 v5, v18
	;; [unrolled: 1-line block ×8, first 2 shown]
	s_mov_b32 s15, exec_lo
	v_cmpx_gt_u32_e64 s14, v0
	s_cbranch_execnz .LBB2077_45
; %bb.38:                               ;   in Loop: Header=BB2077_24 Depth=2
	s_or_b32 exec_lo, exec_lo, s15
	s_mov_b32 s15, exec_lo
	v_cmpx_gt_u32_e64 s14, v30
	s_cbranch_execnz .LBB2077_46
.LBB2077_39:                            ;   in Loop: Header=BB2077_24 Depth=2
	s_or_b32 exec_lo, exec_lo, s15
	s_mov_b32 s15, exec_lo
	v_cmpx_gt_u32_e64 s14, v31
	s_cbranch_execnz .LBB2077_47
.LBB2077_40:                            ;   in Loop: Header=BB2077_24 Depth=2
	s_or_b32 exec_lo, exec_lo, s15
	s_mov_b32 s15, exec_lo
	v_cmpx_gt_u32_e64 s14, v32
	s_cbranch_execnz .LBB2077_48
.LBB2077_41:                            ;   in Loop: Header=BB2077_24 Depth=2
	s_or_b32 exec_lo, exec_lo, s15
	s_mov_b32 s15, exec_lo
	v_cmpx_gt_u32_e64 s14, v35
	s_cbranch_execnz .LBB2077_49
.LBB2077_42:                            ;   in Loop: Header=BB2077_24 Depth=2
	s_or_b32 exec_lo, exec_lo, s15
	s_mov_b32 s15, exec_lo
	v_cmpx_gt_u32_e64 s14, v36
	s_cbranch_execnz .LBB2077_50
.LBB2077_43:                            ;   in Loop: Header=BB2077_24 Depth=2
	s_or_b32 exec_lo, exec_lo, s15
	s_mov_b32 s15, exec_lo
	v_cmpx_gt_u32_e64 s14, v37
	s_cbranch_execnz .LBB2077_51
.LBB2077_44:                            ;   in Loop: Header=BB2077_24 Depth=2
	s_or_b32 exec_lo, exec_lo, s15
	v_cmp_gt_u32_e32 vcc_lo, s14, v38
	s_and_saveexec_b32 s14, vcc_lo
	s_cbranch_execz .LBB2077_23
	s_branch .LBB2077_52
.LBB2077_45:                            ;   in Loop: Header=BB2077_24 Depth=2
	v_cmp_lt_i16_e32 vcc_lo, -1, v11
	v_cndmask_b32_e64 v12, -1, 0xffff8000, vcc_lo
	v_xor_b32_e32 v12, v12, v11
	v_cmp_ne_u16_e32 vcc_lo, 0x7fff, v12
	v_cndmask_b32_e32 v12, 0xffff8000, v12, vcc_lo
	v_lshrrev_b32_sdwa v12, s29, v12 dst_sel:DWORD dst_unused:UNUSED_PAD src0_sel:DWORD src1_sel:WORD_0
	v_and_b32_e32 v12, s42, v12
	v_lshl_or_b32 v12, v12, 4, v40
	ds_add_u32 v12, v62
	s_or_b32 exec_lo, exec_lo, s15
	s_mov_b32 s15, exec_lo
	v_cmpx_gt_u32_e64 s14, v30
	s_cbranch_execz .LBB2077_39
.LBB2077_46:                            ;   in Loop: Header=BB2077_24 Depth=2
	v_cmp_lt_i16_e32 vcc_lo, -1, v10
	v_cndmask_b32_e64 v12, -1, 0xffff8000, vcc_lo
	v_xor_b32_e32 v12, v12, v10
	v_cmp_ne_u16_e32 vcc_lo, 0x7fff, v12
	v_cndmask_b32_e32 v12, 0xffff8000, v12, vcc_lo
	v_lshrrev_b32_sdwa v12, s29, v12 dst_sel:DWORD dst_unused:UNUSED_PAD src0_sel:DWORD src1_sel:WORD_0
	v_and_b32_e32 v12, s42, v12
	v_lshl_or_b32 v12, v12, 4, v40
	ds_add_u32 v12, v62
	s_or_b32 exec_lo, exec_lo, s15
	s_mov_b32 s15, exec_lo
	v_cmpx_gt_u32_e64 s14, v31
	s_cbranch_execz .LBB2077_40
.LBB2077_47:                            ;   in Loop: Header=BB2077_24 Depth=2
	v_cmp_lt_i16_e32 vcc_lo, -1, v9
	v_cndmask_b32_e64 v12, -1, 0xffff8000, vcc_lo
	v_xor_b32_e32 v12, v12, v9
	v_cmp_ne_u16_e32 vcc_lo, 0x7fff, v12
	v_cndmask_b32_e32 v12, 0xffff8000, v12, vcc_lo
	v_lshrrev_b32_sdwa v12, s29, v12 dst_sel:DWORD dst_unused:UNUSED_PAD src0_sel:DWORD src1_sel:WORD_0
	v_and_b32_e32 v12, s42, v12
	v_lshl_or_b32 v12, v12, 4, v40
	ds_add_u32 v12, v62
	s_or_b32 exec_lo, exec_lo, s15
	s_mov_b32 s15, exec_lo
	v_cmpx_gt_u32_e64 s14, v32
	s_cbranch_execz .LBB2077_41
.LBB2077_48:                            ;   in Loop: Header=BB2077_24 Depth=2
	v_cmp_lt_i16_e32 vcc_lo, -1, v8
	v_cndmask_b32_e64 v12, -1, 0xffff8000, vcc_lo
	v_xor_b32_e32 v12, v12, v8
	v_cmp_ne_u16_e32 vcc_lo, 0x7fff, v12
	v_cndmask_b32_e32 v12, 0xffff8000, v12, vcc_lo
	v_lshrrev_b32_sdwa v12, s29, v12 dst_sel:DWORD dst_unused:UNUSED_PAD src0_sel:DWORD src1_sel:WORD_0
	v_and_b32_e32 v12, s42, v12
	v_lshl_or_b32 v12, v12, 4, v40
	ds_add_u32 v12, v62
	s_or_b32 exec_lo, exec_lo, s15
	s_mov_b32 s15, exec_lo
	v_cmpx_gt_u32_e64 s14, v35
	s_cbranch_execz .LBB2077_42
.LBB2077_49:                            ;   in Loop: Header=BB2077_24 Depth=2
	v_cmp_lt_i16_e32 vcc_lo, -1, v7
	v_cndmask_b32_e64 v12, -1, 0xffff8000, vcc_lo
	v_xor_b32_e32 v12, v12, v7
	v_cmp_ne_u16_e32 vcc_lo, 0x7fff, v12
	v_cndmask_b32_e32 v12, 0xffff8000, v12, vcc_lo
	v_lshrrev_b32_sdwa v12, s29, v12 dst_sel:DWORD dst_unused:UNUSED_PAD src0_sel:DWORD src1_sel:WORD_0
	v_and_b32_e32 v12, s42, v12
	v_lshl_or_b32 v12, v12, 4, v40
	ds_add_u32 v12, v62
	s_or_b32 exec_lo, exec_lo, s15
	s_mov_b32 s15, exec_lo
	v_cmpx_gt_u32_e64 s14, v36
	s_cbranch_execz .LBB2077_43
.LBB2077_50:                            ;   in Loop: Header=BB2077_24 Depth=2
	v_cmp_lt_i16_e32 vcc_lo, -1, v6
	v_cndmask_b32_e64 v12, -1, 0xffff8000, vcc_lo
	v_xor_b32_e32 v12, v12, v6
	v_cmp_ne_u16_e32 vcc_lo, 0x7fff, v12
	v_cndmask_b32_e32 v12, 0xffff8000, v12, vcc_lo
	v_lshrrev_b32_sdwa v12, s29, v12 dst_sel:DWORD dst_unused:UNUSED_PAD src0_sel:DWORD src1_sel:WORD_0
	v_and_b32_e32 v12, s42, v12
	v_lshl_or_b32 v12, v12, 4, v40
	ds_add_u32 v12, v62
	s_or_b32 exec_lo, exec_lo, s15
	s_mov_b32 s15, exec_lo
	v_cmpx_gt_u32_e64 s14, v37
	s_cbranch_execz .LBB2077_44
.LBB2077_51:                            ;   in Loop: Header=BB2077_24 Depth=2
	v_cmp_lt_i16_e32 vcc_lo, -1, v5
	v_cndmask_b32_e64 v12, -1, 0xffff8000, vcc_lo
	v_xor_b32_e32 v12, v12, v5
	v_cmp_ne_u16_e32 vcc_lo, 0x7fff, v12
	v_cndmask_b32_e32 v12, 0xffff8000, v12, vcc_lo
	v_lshrrev_b32_sdwa v12, s29, v12 dst_sel:DWORD dst_unused:UNUSED_PAD src0_sel:DWORD src1_sel:WORD_0
	v_and_b32_e32 v12, s42, v12
	v_lshl_or_b32 v12, v12, 4, v40
	ds_add_u32 v12, v62
	s_or_b32 exec_lo, exec_lo, s15
	v_cmp_gt_u32_e32 vcc_lo, s14, v38
	s_and_saveexec_b32 s14, vcc_lo
	s_cbranch_execz .LBB2077_23
.LBB2077_52:                            ;   in Loop: Header=BB2077_24 Depth=2
	v_cmp_lt_i16_e32 vcc_lo, -1, v3
	v_cndmask_b32_e64 v12, -1, 0xffff8000, vcc_lo
	v_xor_b32_e32 v12, v12, v3
	v_cmp_ne_u16_e32 vcc_lo, 0x7fff, v12
	v_cndmask_b32_e32 v12, 0xffff8000, v12, vcc_lo
	v_lshrrev_b32_sdwa v12, s29, v12 dst_sel:DWORD dst_unused:UNUSED_PAD src0_sel:DWORD src1_sel:WORD_0
	v_and_b32_e32 v12, s42, v12
	v_lshl_or_b32 v12, v12, 4, v40
	ds_add_u32 v12, v62
	s_branch .LBB2077_23
.LBB2077_53:                            ;   in Loop: Header=BB2077_24 Depth=2
	global_load_ushort v11, v79, s[14:15]
	s_or_b32 exec_lo, exec_lo, s17
	s_mov_b32 s17, exec_lo
	v_cmpx_gt_u32_e64 s5, v30
	s_cbranch_execz .LBB2077_29
.LBB2077_54:                            ;   in Loop: Header=BB2077_24 Depth=2
	global_load_ushort v10, v79, s[14:15] offset:512
	s_or_b32 exec_lo, exec_lo, s17
	s_mov_b32 s17, exec_lo
	v_cmpx_gt_u32_e64 s5, v31
	s_cbranch_execz .LBB2077_30
.LBB2077_55:                            ;   in Loop: Header=BB2077_24 Depth=2
	global_load_ushort v9, v79, s[14:15] offset:1024
	s_or_b32 exec_lo, exec_lo, s17
	s_mov_b32 s17, exec_lo
	v_cmpx_gt_u32_e64 s5, v32
	s_cbranch_execz .LBB2077_31
.LBB2077_56:                            ;   in Loop: Header=BB2077_24 Depth=2
	global_load_ushort v8, v79, s[14:15] offset:1536
	s_or_b32 exec_lo, exec_lo, s17
	s_mov_b32 s17, exec_lo
	v_cmpx_gt_u32_e64 s5, v35
	s_cbranch_execz .LBB2077_32
.LBB2077_57:                            ;   in Loop: Header=BB2077_24 Depth=2
	global_load_ushort v7, v80, s[14:15]
	s_or_b32 exec_lo, exec_lo, s17
	s_mov_b32 s17, exec_lo
	v_cmpx_gt_u32_e64 s5, v36
	s_cbranch_execz .LBB2077_33
.LBB2077_58:                            ;   in Loop: Header=BB2077_24 Depth=2
	global_load_ushort v6, v81, s[14:15]
	s_or_b32 exec_lo, exec_lo, s17
	s_mov_b32 s17, exec_lo
	v_cmpx_gt_u32_e64 s5, v37
	s_cbranch_execz .LBB2077_34
.LBB2077_59:                            ;   in Loop: Header=BB2077_24 Depth=2
	global_load_ushort v5, v82, s[14:15]
	s_or_b32 exec_lo, exec_lo, s17
	s_mov_b32 s17, exec_lo
	v_cmpx_gt_u32_e64 s5, v38
	s_cbranch_execnz .LBB2077_35
	s_branch .LBB2077_36
.LBB2077_60:                            ;   in Loop: Header=BB2077_20 Depth=1
	v_mov_b32_e32 v3, 0
	s_waitcnt lgkmcnt(0)
	s_barrier
	buffer_gl0_inv
	s_and_saveexec_b32 s5, s8
	s_cbranch_execz .LBB2077_62
; %bb.61:                               ;   in Loop: Header=BB2077_20 Depth=1
	ds_read2_b64 v[5:8], v41 offset1:1
	s_waitcnt lgkmcnt(0)
	v_add_nc_u32_e32 v3, v6, v5
	v_add3_u32 v3, v3, v7, v8
.LBB2077_62:                            ;   in Loop: Header=BB2077_20 Depth=1
	s_or_b32 exec_lo, exec_lo, s5
	v_mov_b32_dpp v5, v3 row_shr:1 row_mask:0xf bank_mask:0xf
	v_cmp_eq_u32_e64 s5, 0, v63
	v_cmp_lt_u32_e64 s14, 1, v63
	v_cmp_lt_u32_e64 s15, 3, v63
	;; [unrolled: 1-line block ×3, first 2 shown]
	v_cmp_eq_u32_e64 s17, 0, v65
	v_cndmask_b32_e64 v5, v5, 0, s5
	v_add_nc_u32_e32 v3, v5, v3
	v_mov_b32_dpp v5, v3 row_shr:2 row_mask:0xf bank_mask:0xf
	v_cndmask_b32_e64 v5, 0, v5, s14
	v_add_nc_u32_e32 v3, v3, v5
	v_mov_b32_dpp v5, v3 row_shr:4 row_mask:0xf bank_mask:0xf
	v_cndmask_b32_e64 v5, 0, v5, s15
	v_add_nc_u32_e32 v3, v3, v5
	v_mov_b32_dpp v5, v3 row_shr:8 row_mask:0xf bank_mask:0xf
	v_cndmask_b32_e64 v5, 0, v5, s16
	v_add_nc_u32_e32 v3, v3, v5
	ds_swizzle_b32 v5, v3 offset:swizzle(BROADCAST,32,15)
	s_waitcnt lgkmcnt(0)
	v_and_b32_e32 v5, v64, v5
	v_add_nc_u32_e32 v3, v3, v5
	s_and_saveexec_b32 s18, s9
; %bb.63:                               ;   in Loop: Header=BB2077_20 Depth=1
	ds_write_b32 v42, v3
; %bb.64:                               ;   in Loop: Header=BB2077_20 Depth=1
	s_or_b32 exec_lo, exec_lo, s18
	s_waitcnt lgkmcnt(0)
	s_barrier
	buffer_gl0_inv
	s_and_saveexec_b32 s18, s10
	s_cbranch_execz .LBB2077_66
; %bb.65:                               ;   in Loop: Header=BB2077_20 Depth=1
	ds_read_b32 v5, v43
	v_cmp_ne_u32_e32 vcc_lo, 0, v67
	s_waitcnt lgkmcnt(0)
	v_mov_b32_dpp v6, v5 row_shr:1 row_mask:0xf bank_mask:0xf
	v_cndmask_b32_e32 v6, 0, v6, vcc_lo
	v_cmp_lt_u32_e32 vcc_lo, 1, v67
	v_add_nc_u32_e32 v5, v6, v5
	v_mov_b32_dpp v6, v5 row_shr:2 row_mask:0xf bank_mask:0xf
	v_cndmask_b32_e32 v6, 0, v6, vcc_lo
	v_cmp_lt_u32_e32 vcc_lo, 3, v67
	v_add_nc_u32_e32 v5, v5, v6
	v_mov_b32_dpp v6, v5 row_shr:4 row_mask:0xf bank_mask:0xf
	v_cndmask_b32_e32 v6, 0, v6, vcc_lo
	v_add_nc_u32_e32 v5, v5, v6
	ds_write_b32 v43, v5
.LBB2077_66:                            ;   in Loop: Header=BB2077_20 Depth=1
	s_or_b32 exec_lo, exec_lo, s18
	v_mov_b32_e32 v5, 0
	s_waitcnt lgkmcnt(0)
	s_barrier
	buffer_gl0_inv
	s_and_saveexec_b32 s18, s11
; %bb.67:                               ;   in Loop: Header=BB2077_20 Depth=1
	ds_read_b32 v5, v45
; %bb.68:                               ;   in Loop: Header=BB2077_20 Depth=1
	s_or_b32 exec_lo, exec_lo, s18
	v_cmp_gt_i32_e32 vcc_lo, 0, v68
	s_waitcnt lgkmcnt(0)
	v_add_nc_u32_e32 v3, v5, v3
	s_barrier
	buffer_gl0_inv
	v_cndmask_b32_e32 v6, v68, v59, vcc_lo
	v_lshlrev_b32_e32 v91, 2, v6
	ds_bpermute_b32 v3, v91, v3
	s_and_saveexec_b32 s18, s8
	s_cbranch_execz .LBB2077_70
; %bb.69:                               ;   in Loop: Header=BB2077_20 Depth=1
	s_waitcnt lgkmcnt(0)
	v_cndmask_b32_e64 v3, v3, v5, s13
	v_add_nc_u32_e32 v3, s33, v3
	ds_write_b32 v29, v3
.LBB2077_70:                            ;   in Loop: Header=BB2077_20 Depth=1
	s_or_b32 exec_lo, exec_lo, s18
	s_clause 0x1
	s_load_dword s18, s[30:31], 0x4
	s_load_dword s20, s[30:31], 0xc
	s_mov_b32 s43, s53
	s_mov_b32 s34, s33
                                        ; implicit-def: $vgpr7_vgpr8
                                        ; implicit-def: $vgpr9_vgpr10
                                        ; implicit-def: $vgpr11_vgpr12
                                        ; implicit-def: $vgpr13_vgpr14
                                        ; implicit-def: $vgpr15_vgpr16
                                        ; implicit-def: $vgpr17_vgpr18
                                        ; implicit-def: $vgpr19_vgpr20
                                        ; implicit-def: $vgpr93
                                        ; implicit-def: $vgpr94
                                        ; implicit-def: $vgpr95
                                        ; implicit-def: $vgpr96
                                        ; implicit-def: $vgpr97
                                        ; implicit-def: $vgpr98
                                        ; implicit-def: $vgpr99
                                        ; implicit-def: $vgpr100
	s_waitcnt lgkmcnt(0)
	s_cmp_lt_u32 s7, s18
	s_cselect_b32 s18, 14, 20
	s_add_u32 s18, s30, s18
	s_addc_u32 s19, s31, 0
	global_load_ushort v3, v4, s[18:19]
	s_and_b32 s18, s20, 0xffff
	v_cmp_lt_u32_e64 s19, 1, v67
	v_cmp_lt_u32_e64 s20, 3, v67
	s_waitcnt vmcnt(0)
	v_mad_u32_u24 v3, v2, v3, v1
	v_mad_u64_u32 v[5:6], null, v3, s18, v[0:1]
	v_cmp_eq_u32_e64 s18, 0, v67
	v_lshrrev_b32_e32 v3, 3, v5
                                        ; implicit-def: $vgpr5_vgpr6
	v_and_b32_e32 v92, 0x1ffffffc, v3
	s_branch .LBB2077_72
.LBB2077_71:                            ;   in Loop: Header=BB2077_72 Depth=2
	s_or_b32 exec_lo, exec_lo, s21
	s_addk_i32 s43, 0xf800
	s_cmp_lt_u32 s48, s52
	s_mov_b32 s34, s48
	s_cbranch_scc0 .LBB2077_184
.LBB2077_72:                            ;   Parent Loop BB2077_20 Depth=1
                                        ; =>  This Inner Loop Header: Depth=2
	s_add_i32 s48, s34, 0x800
	s_cmp_gt_u32 s48, s52
	s_cbranch_scc1 .LBB2077_74
; %bb.73:                               ;   in Loop: Header=BB2077_72 Depth=2
	s_lshl_b64 s[22:23], s[34:35], 1
	s_mov_b32 s21, -1
	v_add_co_u32 v21, vcc_lo, v85, s22
	v_add_co_ci_u32_e64 v22, null, s23, v86, vcc_lo
	s_clause 0x6
	global_load_ushort v3, v[21:22], off
	global_load_ushort v28, v[21:22], off offset:64
	global_load_ushort v27, v[21:22], off offset:128
	;; [unrolled: 1-line block ×6, first 2 shown]
	s_movk_i32 s22, 0x800
	s_cbranch_execz .LBB2077_75
	s_branch .LBB2077_90
.LBB2077_74:                            ;   in Loop: Header=BB2077_72 Depth=2
	s_mov_b32 s21, 0
                                        ; implicit-def: $vgpr3
                                        ; implicit-def: $vgpr28
                                        ; implicit-def: $vgpr27
                                        ; implicit-def: $vgpr26
                                        ; implicit-def: $vgpr25
                                        ; implicit-def: $vgpr24
                                        ; implicit-def: $vgpr23
	s_movk_i32 s22, 0x800
.LBB2077_75:                            ;   in Loop: Header=BB2077_72 Depth=2
	s_lshl_b64 s[22:23], s[34:35], 1
	s_waitcnt vmcnt(5)
	v_mov_b32_e32 v28, 0x7fff
	v_add_co_u32 v21, vcc_lo, v85, s22
	v_add_co_ci_u32_e64 v22, null, s23, v86, vcc_lo
	v_mov_b32_e32 v3, 0x7fff
	s_mov_b32 s21, exec_lo
	v_cmpx_gt_u32_e64 s43, v66
	s_cbranch_execz .LBB2077_77
; %bb.76:                               ;   in Loop: Header=BB2077_72 Depth=2
	global_load_ushort v3, v[21:22], off
.LBB2077_77:                            ;   in Loop: Header=BB2077_72 Depth=2
	s_or_b32 exec_lo, exec_lo, s21
	s_mov_b32 s21, exec_lo
	v_cmpx_gt_u32_e64 s43, v70
	s_cbranch_execz .LBB2077_79
; %bb.78:                               ;   in Loop: Header=BB2077_72 Depth=2
	global_load_ushort v28, v[21:22], off offset:64
.LBB2077_79:                            ;   in Loop: Header=BB2077_72 Depth=2
	s_or_b32 exec_lo, exec_lo, s21
	s_waitcnt vmcnt(3)
	v_mov_b32_e32 v26, 0x7fff
	v_mov_b32_e32 v27, 0x7fff
	s_mov_b32 s21, exec_lo
	v_cmpx_gt_u32_e64 s43, v71
	s_cbranch_execz .LBB2077_81
; %bb.80:                               ;   in Loop: Header=BB2077_72 Depth=2
	global_load_ushort v27, v[21:22], off offset:128
.LBB2077_81:                            ;   in Loop: Header=BB2077_72 Depth=2
	s_or_b32 exec_lo, exec_lo, s21
	s_mov_b32 s21, exec_lo
	v_cmpx_gt_u32_e64 s43, v72
	s_cbranch_execz .LBB2077_83
; %bb.82:                               ;   in Loop: Header=BB2077_72 Depth=2
	global_load_ushort v26, v[21:22], off offset:192
.LBB2077_83:                            ;   in Loop: Header=BB2077_72 Depth=2
	s_or_b32 exec_lo, exec_lo, s21
	s_waitcnt vmcnt(1)
	v_mov_b32_e32 v24, 0x7fff
	v_mov_b32_e32 v25, 0x7fff
	s_mov_b32 s21, exec_lo
	v_cmpx_gt_u32_e64 s43, v73
	s_cbranch_execz .LBB2077_85
; %bb.84:                               ;   in Loop: Header=BB2077_72 Depth=2
	global_load_ushort v25, v[21:22], off offset:256
.LBB2077_85:                            ;   in Loop: Header=BB2077_72 Depth=2
	s_or_b32 exec_lo, exec_lo, s21
	s_mov_b32 s21, exec_lo
	v_cmpx_gt_u32_e64 s43, v74
	s_cbranch_execz .LBB2077_87
; %bb.86:                               ;   in Loop: Header=BB2077_72 Depth=2
	global_load_ushort v24, v[21:22], off offset:320
.LBB2077_87:                            ;   in Loop: Header=BB2077_72 Depth=2
	s_or_b32 exec_lo, exec_lo, s21
	s_waitcnt vmcnt(0)
	v_mov_b32_e32 v23, 0x7fff
	s_mov_b32 s21, exec_lo
	v_cmpx_gt_u32_e64 s43, v75
	s_cbranch_execz .LBB2077_89
; %bb.88:                               ;   in Loop: Header=BB2077_72 Depth=2
	global_load_ushort v23, v[21:22], off offset:384
.LBB2077_89:                            ;   in Loop: Header=BB2077_72 Depth=2
	s_or_b32 exec_lo, exec_lo, s21
	v_cmp_gt_u32_e64 s21, s43, v76
	s_sub_i32 s22, s52, s34
.LBB2077_90:                            ;   in Loop: Header=BB2077_72 Depth=2
	v_mov_b32_e32 v21, 0x7fff
	v_mov_b32_e32 v101, s43
	s_and_saveexec_b32 s23, s21
	s_cbranch_execz .LBB2077_92
; %bb.91:                               ;   in Loop: Header=BB2077_72 Depth=2
	s_lshl_b64 s[24:25], s[34:35], 1
	v_mov_b32_e32 v101, s22
	v_add_co_u32 v21, vcc_lo, v85, s24
	v_add_co_ci_u32_e64 v22, null, s25, v86, vcc_lo
	global_load_ushort v21, v[21:22], off offset:448
.LBB2077_92:                            ;   in Loop: Header=BB2077_72 Depth=2
	s_or_b32 exec_lo, exec_lo, s23
	s_waitcnt vmcnt(6)
	v_cmp_lt_i16_e32 vcc_lo, -1, v3
	ds_write2_b32 v78, v4, v4 offset1:1
	ds_write2_b32 v88, v4, v4 offset1:1
	;; [unrolled: 1-line block ×4, first 2 shown]
	ds_write_b32 v44, v4 offset:1088
	s_waitcnt vmcnt(0) lgkmcnt(0)
	s_barrier
	v_cndmask_b32_e64 v22, -1, 0xffff8000, vcc_lo
	buffer_gl0_inv
	; wave barrier
	v_xor_b32_e32 v3, v22, v3
	v_cmp_ne_u16_e32 vcc_lo, 0x7fff, v3
	v_cndmask_b32_e32 v22, 0xffff8000, v3, vcc_lo
	v_lshrrev_b32_sdwa v22, s29, v22 dst_sel:DWORD dst_unused:UNUSED_PAD src0_sel:DWORD src1_sel:WORD_0
	v_and_b32_e32 v103, s42, v22
	v_and_b32_e32 v22, 1, v103
	v_lshlrev_b32_e32 v102, 30, v103
	v_lshlrev_b32_e32 v104, 29, v103
	;; [unrolled: 1-line block ×4, first 2 shown]
	v_add_co_u32 v22, s21, v22, -1
	v_cndmask_b32_e64 v106, 0, 1, s21
	v_not_b32_e32 v110, v102
	v_cmp_gt_i32_e64 s21, 0, v102
	v_not_b32_e32 v102, v104
	v_lshlrev_b32_e32 v108, 26, v103
	v_cmp_ne_u32_e32 vcc_lo, 0, v106
	v_ashrrev_i32_e32 v110, 31, v110
	v_lshlrev_b32_e32 v109, 25, v103
	v_ashrrev_i32_e32 v102, 31, v102
	v_lshlrev_b32_e32 v106, 24, v103
	v_xor_b32_e32 v22, vcc_lo, v22
	v_cmp_gt_i32_e32 vcc_lo, 0, v104
	v_not_b32_e32 v104, v105
	v_xor_b32_e32 v110, s21, v110
	v_cmp_gt_i32_e64 s21, 0, v105
	v_and_b32_e32 v22, exec_lo, v22
	v_not_b32_e32 v105, v107
	v_ashrrev_i32_e32 v104, 31, v104
	v_xor_b32_e32 v102, vcc_lo, v102
	v_cmp_gt_i32_e32 vcc_lo, 0, v107
	v_and_b32_e32 v22, v22, v110
	v_not_b32_e32 v107, v108
	v_ashrrev_i32_e32 v105, 31, v105
	v_xor_b32_e32 v104, s21, v104
	v_cmp_gt_i32_e64 s21, 0, v108
	v_and_b32_e32 v22, v22, v102
	v_not_b32_e32 v102, v109
	v_ashrrev_i32_e32 v107, 31, v107
	v_xor_b32_e32 v105, vcc_lo, v105
	v_cmp_gt_i32_e32 vcc_lo, 0, v109
	v_and_b32_e32 v22, v22, v104
	v_not_b32_e32 v104, v106
	v_ashrrev_i32_e32 v102, 31, v102
	v_xor_b32_e32 v107, s21, v107
	v_cmp_gt_i32_e64 s21, 0, v106
	v_and_b32_e32 v22, v22, v105
	v_ashrrev_i32_e32 v104, 31, v104
	v_xor_b32_e32 v102, vcc_lo, v102
	v_mul_u32_u24_e32 v103, 36, v103
	v_and_b32_e32 v22, v22, v107
	v_xor_b32_e32 v104, s21, v104
	v_and_b32_e32 v22, v22, v102
	v_and_b32_e32 v22, v22, v104
	v_add_nc_u32_e32 v104, v92, v103
	v_mbcnt_lo_u32_b32 v102, v22, 0
	v_cmp_ne_u32_e64 s21, 0, v22
	v_cmp_eq_u32_e32 vcc_lo, 0, v102
	s_and_b32 s22, s21, vcc_lo
	s_and_saveexec_b32 s21, s22
; %bb.93:                               ;   in Loop: Header=BB2077_72 Depth=2
	v_bcnt_u32_b32 v22, v22, 0
	ds_write_b32 v104, v22 offset:1056
; %bb.94:                               ;   in Loop: Header=BB2077_72 Depth=2
	s_or_b32 exec_lo, exec_lo, s21
	v_cmp_lt_i16_e32 vcc_lo, -1, v28
	; wave barrier
	v_cndmask_b32_e64 v22, -1, 0xffff8000, vcc_lo
	v_xor_b32_e32 v103, v22, v28
	v_cmp_ne_u16_e32 vcc_lo, 0x7fff, v103
	v_cndmask_b32_e32 v22, 0xffff8000, v103, vcc_lo
	v_lshrrev_b32_sdwa v22, s29, v22 dst_sel:DWORD dst_unused:UNUSED_PAD src0_sel:DWORD src1_sel:WORD_0
	v_and_b32_e32 v28, s42, v22
	v_and_b32_e32 v22, 1, v28
	v_lshlrev_b32_e32 v105, 30, v28
	v_lshlrev_b32_e32 v106, 29, v28
	;; [unrolled: 1-line block ×4, first 2 shown]
	v_add_co_u32 v22, s21, v22, -1
	v_cndmask_b32_e64 v108, 0, 1, s21
	v_not_b32_e32 v112, v105
	v_cmp_gt_i32_e64 s21, 0, v105
	v_not_b32_e32 v105, v106
	v_lshlrev_b32_e32 v110, 26, v28
	v_cmp_ne_u32_e32 vcc_lo, 0, v108
	v_ashrrev_i32_e32 v112, 31, v112
	v_lshlrev_b32_e32 v111, 25, v28
	v_ashrrev_i32_e32 v105, 31, v105
	v_lshlrev_b32_e32 v108, 24, v28
	v_xor_b32_e32 v22, vcc_lo, v22
	v_cmp_gt_i32_e32 vcc_lo, 0, v106
	v_not_b32_e32 v106, v107
	v_xor_b32_e32 v112, s21, v112
	v_cmp_gt_i32_e64 s21, 0, v107
	v_and_b32_e32 v22, exec_lo, v22
	v_not_b32_e32 v107, v109
	v_ashrrev_i32_e32 v106, 31, v106
	v_xor_b32_e32 v105, vcc_lo, v105
	v_cmp_gt_i32_e32 vcc_lo, 0, v109
	v_and_b32_e32 v22, v22, v112
	v_not_b32_e32 v109, v110
	v_ashrrev_i32_e32 v107, 31, v107
	v_xor_b32_e32 v106, s21, v106
	v_cmp_gt_i32_e64 s21, 0, v110
	v_and_b32_e32 v22, v22, v105
	v_not_b32_e32 v105, v111
	v_ashrrev_i32_e32 v109, 31, v109
	v_xor_b32_e32 v107, vcc_lo, v107
	v_cmp_gt_i32_e32 vcc_lo, 0, v111
	v_and_b32_e32 v22, v22, v106
	v_not_b32_e32 v106, v108
	v_ashrrev_i32_e32 v105, 31, v105
	v_xor_b32_e32 v109, s21, v109
	v_cmp_gt_i32_e64 s21, 0, v108
	v_and_b32_e32 v22, v22, v107
	v_ashrrev_i32_e32 v106, 31, v106
	v_xor_b32_e32 v105, vcc_lo, v105
	v_mad_u32_u24 v107, v28, 36, v92
	v_mul_u32_u24_e32 v28, 36, v28
	v_and_b32_e32 v22, v22, v109
	v_xor_b32_e32 v106, s21, v106
	v_add_nc_u32_e32 v108, v92, v28
	v_and_b32_e32 v22, v22, v105
	ds_read_b32 v105, v107 offset:1056
	; wave barrier
	v_and_b32_e32 v22, v22, v106
	v_mbcnt_lo_u32_b32 v106, v22, 0
	v_cmp_ne_u32_e64 s21, 0, v22
	v_cmp_eq_u32_e32 vcc_lo, 0, v106
	s_and_b32 s22, s21, vcc_lo
	s_and_saveexec_b32 s21, s22
	s_cbranch_execz .LBB2077_96
; %bb.95:                               ;   in Loop: Header=BB2077_72 Depth=2
	s_waitcnt lgkmcnt(0)
	v_bcnt_u32_b32 v22, v22, v105
	ds_write_b32 v108, v22 offset:1056
.LBB2077_96:                            ;   in Loop: Header=BB2077_72 Depth=2
	s_or_b32 exec_lo, exec_lo, s21
	v_cmp_lt_i16_e32 vcc_lo, -1, v27
	; wave barrier
	v_cndmask_b32_e64 v22, -1, 0xffff8000, vcc_lo
	v_xor_b32_e32 v107, v22, v27
	v_cmp_ne_u16_e32 vcc_lo, 0x7fff, v107
	v_cndmask_b32_e32 v22, 0xffff8000, v107, vcc_lo
	v_lshrrev_b32_sdwa v22, s29, v22 dst_sel:DWORD dst_unused:UNUSED_PAD src0_sel:DWORD src1_sel:WORD_0
	v_and_b32_e32 v27, s42, v22
	v_and_b32_e32 v22, 1, v27
	v_lshlrev_b32_e32 v28, 30, v27
	v_lshlrev_b32_e32 v109, 29, v27
	;; [unrolled: 1-line block ×4, first 2 shown]
	v_add_co_u32 v22, s21, v22, -1
	v_cndmask_b32_e64 v111, 0, 1, s21
	v_not_b32_e32 v115, v28
	v_cmp_gt_i32_e64 s21, 0, v28
	v_not_b32_e32 v28, v109
	v_lshlrev_b32_e32 v113, 26, v27
	v_cmp_ne_u32_e32 vcc_lo, 0, v111
	v_ashrrev_i32_e32 v115, 31, v115
	v_lshlrev_b32_e32 v114, 25, v27
	v_ashrrev_i32_e32 v28, 31, v28
	v_lshlrev_b32_e32 v111, 24, v27
	v_xor_b32_e32 v22, vcc_lo, v22
	v_cmp_gt_i32_e32 vcc_lo, 0, v109
	v_not_b32_e32 v109, v110
	v_xor_b32_e32 v115, s21, v115
	v_cmp_gt_i32_e64 s21, 0, v110
	v_and_b32_e32 v22, exec_lo, v22
	v_not_b32_e32 v110, v112
	v_ashrrev_i32_e32 v109, 31, v109
	v_xor_b32_e32 v28, vcc_lo, v28
	v_cmp_gt_i32_e32 vcc_lo, 0, v112
	v_and_b32_e32 v22, v22, v115
	v_not_b32_e32 v112, v113
	v_ashrrev_i32_e32 v110, 31, v110
	v_xor_b32_e32 v109, s21, v109
	v_cmp_gt_i32_e64 s21, 0, v113
	v_and_b32_e32 v22, v22, v28
	v_not_b32_e32 v28, v114
	v_ashrrev_i32_e32 v112, 31, v112
	v_xor_b32_e32 v110, vcc_lo, v110
	v_cmp_gt_i32_e32 vcc_lo, 0, v114
	v_and_b32_e32 v22, v22, v109
	v_not_b32_e32 v109, v111
	v_ashrrev_i32_e32 v28, 31, v28
	v_xor_b32_e32 v112, s21, v112
	v_cmp_gt_i32_e64 s21, 0, v111
	v_and_b32_e32 v22, v22, v110
	v_ashrrev_i32_e32 v109, 31, v109
	v_xor_b32_e32 v28, vcc_lo, v28
	v_mad_u32_u24 v110, v27, 36, v92
	v_mul_u32_u24_e32 v27, 36, v27
	v_and_b32_e32 v22, v22, v112
	v_xor_b32_e32 v111, s21, v109
	ds_read_b32 v109, v110 offset:1056
	v_add_nc_u32_e32 v112, v92, v27
	v_and_b32_e32 v22, v22, v28
	; wave barrier
	v_and_b32_e32 v22, v22, v111
	v_mbcnt_lo_u32_b32 v111, v22, 0
	v_cmp_ne_u32_e64 s21, 0, v22
	v_cmp_eq_u32_e32 vcc_lo, 0, v111
	s_and_b32 s22, s21, vcc_lo
	s_and_saveexec_b32 s21, s22
	s_cbranch_execz .LBB2077_98
; %bb.97:                               ;   in Loop: Header=BB2077_72 Depth=2
	s_waitcnt lgkmcnt(0)
	v_bcnt_u32_b32 v22, v22, v109
	ds_write_b32 v112, v22 offset:1056
.LBB2077_98:                            ;   in Loop: Header=BB2077_72 Depth=2
	s_or_b32 exec_lo, exec_lo, s21
	v_cmp_lt_i16_e32 vcc_lo, -1, v26
	; wave barrier
	v_cndmask_b32_e64 v22, -1, 0xffff8000, vcc_lo
	v_xor_b32_e32 v110, v22, v26
	v_cmp_ne_u16_e32 vcc_lo, 0x7fff, v110
	v_cndmask_b32_e32 v22, 0xffff8000, v110, vcc_lo
	v_lshrrev_b32_sdwa v22, s29, v22 dst_sel:DWORD dst_unused:UNUSED_PAD src0_sel:DWORD src1_sel:WORD_0
	v_and_b32_e32 v26, s42, v22
	v_and_b32_e32 v22, 1, v26
	v_lshlrev_b32_e32 v27, 30, v26
	v_lshlrev_b32_e32 v28, 29, v26
	;; [unrolled: 1-line block ×4, first 2 shown]
	v_add_co_u32 v22, s21, v22, -1
	v_cndmask_b32_e64 v114, 0, 1, s21
	v_not_b32_e32 v118, v27
	v_cmp_gt_i32_e64 s21, 0, v27
	v_not_b32_e32 v27, v28
	v_lshlrev_b32_e32 v116, 26, v26
	v_cmp_ne_u32_e32 vcc_lo, 0, v114
	v_ashrrev_i32_e32 v118, 31, v118
	v_lshlrev_b32_e32 v117, 25, v26
	v_ashrrev_i32_e32 v27, 31, v27
	v_lshlrev_b32_e32 v114, 24, v26
	v_xor_b32_e32 v22, vcc_lo, v22
	v_cmp_gt_i32_e32 vcc_lo, 0, v28
	v_not_b32_e32 v28, v113
	v_xor_b32_e32 v118, s21, v118
	v_cmp_gt_i32_e64 s21, 0, v113
	v_and_b32_e32 v22, exec_lo, v22
	v_not_b32_e32 v113, v115
	v_ashrrev_i32_e32 v28, 31, v28
	v_xor_b32_e32 v27, vcc_lo, v27
	v_cmp_gt_i32_e32 vcc_lo, 0, v115
	v_and_b32_e32 v22, v22, v118
	v_not_b32_e32 v115, v116
	v_ashrrev_i32_e32 v113, 31, v113
	v_xor_b32_e32 v28, s21, v28
	v_cmp_gt_i32_e64 s21, 0, v116
	v_and_b32_e32 v22, v22, v27
	v_not_b32_e32 v27, v117
	v_ashrrev_i32_e32 v115, 31, v115
	v_xor_b32_e32 v113, vcc_lo, v113
	v_cmp_gt_i32_e32 vcc_lo, 0, v117
	v_and_b32_e32 v22, v22, v28
	v_not_b32_e32 v28, v114
	v_ashrrev_i32_e32 v27, 31, v27
	v_xor_b32_e32 v115, s21, v115
	v_cmp_gt_i32_e64 s21, 0, v114
	v_and_b32_e32 v22, v22, v113
	v_ashrrev_i32_e32 v28, 31, v28
	v_xor_b32_e32 v27, vcc_lo, v27
	v_mad_u32_u24 v113, v26, 36, v92
	v_mul_u32_u24_e32 v26, 36, v26
	v_and_b32_e32 v22, v22, v115
	v_xor_b32_e32 v28, s21, v28
	ds_read_b32 v113, v113 offset:1056
	v_add_nc_u32_e32 v116, v92, v26
	v_and_b32_e32 v22, v22, v27
	; wave barrier
	v_and_b32_e32 v22, v22, v28
	v_mbcnt_lo_u32_b32 v115, v22, 0
	v_cmp_ne_u32_e64 s21, 0, v22
	v_cmp_eq_u32_e32 vcc_lo, 0, v115
	s_and_b32 s22, s21, vcc_lo
	s_and_saveexec_b32 s21, s22
	s_cbranch_execz .LBB2077_100
; %bb.99:                               ;   in Loop: Header=BB2077_72 Depth=2
	s_waitcnt lgkmcnt(0)
	v_bcnt_u32_b32 v22, v22, v113
	ds_write_b32 v116, v22 offset:1056
.LBB2077_100:                           ;   in Loop: Header=BB2077_72 Depth=2
	s_or_b32 exec_lo, exec_lo, s21
	v_cmp_lt_i16_e32 vcc_lo, -1, v25
	; wave barrier
	v_cndmask_b32_e64 v22, -1, 0xffff8000, vcc_lo
	v_xor_b32_e32 v114, v22, v25
	v_cmp_ne_u16_e32 vcc_lo, 0x7fff, v114
	v_cndmask_b32_e32 v22, 0xffff8000, v114, vcc_lo
	v_lshrrev_b32_sdwa v22, s29, v22 dst_sel:DWORD dst_unused:UNUSED_PAD src0_sel:DWORD src1_sel:WORD_0
	v_and_b32_e32 v25, s42, v22
	v_and_b32_e32 v22, 1, v25
	v_lshlrev_b32_e32 v26, 30, v25
	v_lshlrev_b32_e32 v27, 29, v25
	;; [unrolled: 1-line block ×4, first 2 shown]
	v_add_co_u32 v22, s21, v22, -1
	v_cndmask_b32_e64 v117, 0, 1, s21
	v_not_b32_e32 v121, v26
	v_cmp_gt_i32_e64 s21, 0, v26
	v_not_b32_e32 v26, v27
	v_lshlrev_b32_e32 v119, 26, v25
	v_cmp_ne_u32_e32 vcc_lo, 0, v117
	v_ashrrev_i32_e32 v121, 31, v121
	v_lshlrev_b32_e32 v120, 25, v25
	v_ashrrev_i32_e32 v26, 31, v26
	v_lshlrev_b32_e32 v117, 24, v25
	v_xor_b32_e32 v22, vcc_lo, v22
	v_cmp_gt_i32_e32 vcc_lo, 0, v27
	v_not_b32_e32 v27, v28
	v_xor_b32_e32 v121, s21, v121
	v_cmp_gt_i32_e64 s21, 0, v28
	v_and_b32_e32 v22, exec_lo, v22
	v_not_b32_e32 v28, v118
	v_ashrrev_i32_e32 v27, 31, v27
	v_xor_b32_e32 v26, vcc_lo, v26
	v_cmp_gt_i32_e32 vcc_lo, 0, v118
	v_and_b32_e32 v22, v22, v121
	v_not_b32_e32 v118, v119
	v_ashrrev_i32_e32 v28, 31, v28
	v_xor_b32_e32 v27, s21, v27
	v_cmp_gt_i32_e64 s21, 0, v119
	v_and_b32_e32 v22, v22, v26
	v_not_b32_e32 v26, v120
	v_ashrrev_i32_e32 v118, 31, v118
	v_xor_b32_e32 v28, vcc_lo, v28
	v_cmp_gt_i32_e32 vcc_lo, 0, v120
	v_and_b32_e32 v22, v22, v27
	v_not_b32_e32 v27, v117
	v_ashrrev_i32_e32 v26, 31, v26
	v_xor_b32_e32 v118, s21, v118
	v_cmp_gt_i32_e64 s21, 0, v117
	v_and_b32_e32 v22, v22, v28
	v_ashrrev_i32_e32 v27, 31, v27
	v_xor_b32_e32 v26, vcc_lo, v26
	v_mad_u32_u24 v28, v25, 36, v92
	v_mul_u32_u24_e32 v25, 36, v25
	v_and_b32_e32 v22, v22, v118
	v_xor_b32_e32 v27, s21, v27
	ds_read_b32 v117, v28 offset:1056
	v_add_nc_u32_e32 v120, v92, v25
	v_and_b32_e32 v22, v22, v26
	; wave barrier
	v_and_b32_e32 v22, v22, v27
	v_mbcnt_lo_u32_b32 v119, v22, 0
	v_cmp_ne_u32_e64 s21, 0, v22
	v_cmp_eq_u32_e32 vcc_lo, 0, v119
	s_and_b32 s22, s21, vcc_lo
	s_and_saveexec_b32 s21, s22
	s_cbranch_execz .LBB2077_102
; %bb.101:                              ;   in Loop: Header=BB2077_72 Depth=2
	s_waitcnt lgkmcnt(0)
	v_bcnt_u32_b32 v22, v22, v117
	ds_write_b32 v120, v22 offset:1056
.LBB2077_102:                           ;   in Loop: Header=BB2077_72 Depth=2
	s_or_b32 exec_lo, exec_lo, s21
	v_cmp_lt_i16_e32 vcc_lo, -1, v24
	; wave barrier
	v_cndmask_b32_e64 v22, -1, 0xffff8000, vcc_lo
	v_xor_b32_e32 v118, v22, v24
	v_cmp_ne_u16_e32 vcc_lo, 0x7fff, v118
	v_cndmask_b32_e32 v22, 0xffff8000, v118, vcc_lo
	v_lshrrev_b32_sdwa v22, s29, v22 dst_sel:DWORD dst_unused:UNUSED_PAD src0_sel:DWORD src1_sel:WORD_0
	v_and_b32_e32 v24, s42, v22
	v_and_b32_e32 v22, 1, v24
	v_lshlrev_b32_e32 v25, 30, v24
	v_lshlrev_b32_e32 v26, 29, v24
	;; [unrolled: 1-line block ×4, first 2 shown]
	v_add_co_u32 v22, s21, v22, -1
	v_cndmask_b32_e64 v28, 0, 1, s21
	v_not_b32_e32 v124, v25
	v_cmp_gt_i32_e64 s21, 0, v25
	v_not_b32_e32 v25, v26
	v_lshlrev_b32_e32 v122, 26, v24
	v_cmp_ne_u32_e32 vcc_lo, 0, v28
	v_ashrrev_i32_e32 v124, 31, v124
	v_lshlrev_b32_e32 v123, 25, v24
	v_ashrrev_i32_e32 v25, 31, v25
	v_lshlrev_b32_e32 v28, 24, v24
	v_xor_b32_e32 v22, vcc_lo, v22
	v_cmp_gt_i32_e32 vcc_lo, 0, v26
	v_not_b32_e32 v26, v27
	v_xor_b32_e32 v124, s21, v124
	v_cmp_gt_i32_e64 s21, 0, v27
	v_and_b32_e32 v22, exec_lo, v22
	v_not_b32_e32 v27, v121
	v_ashrrev_i32_e32 v26, 31, v26
	v_xor_b32_e32 v25, vcc_lo, v25
	v_cmp_gt_i32_e32 vcc_lo, 0, v121
	v_and_b32_e32 v22, v22, v124
	v_not_b32_e32 v121, v122
	v_ashrrev_i32_e32 v27, 31, v27
	v_xor_b32_e32 v26, s21, v26
	v_cmp_gt_i32_e64 s21, 0, v122
	v_and_b32_e32 v22, v22, v25
	v_not_b32_e32 v25, v123
	v_ashrrev_i32_e32 v121, 31, v121
	v_xor_b32_e32 v27, vcc_lo, v27
	v_cmp_gt_i32_e32 vcc_lo, 0, v123
	v_and_b32_e32 v22, v22, v26
	v_not_b32_e32 v26, v28
	v_ashrrev_i32_e32 v25, 31, v25
	v_xor_b32_e32 v121, s21, v121
	v_cmp_gt_i32_e64 s21, 0, v28
	v_and_b32_e32 v22, v22, v27
	v_ashrrev_i32_e32 v26, 31, v26
	v_xor_b32_e32 v25, vcc_lo, v25
	v_mad_u32_u24 v27, v24, 36, v92
	v_mul_u32_u24_e32 v24, 36, v24
	v_and_b32_e32 v22, v22, v121
	v_xor_b32_e32 v26, s21, v26
	ds_read_b32 v121, v27 offset:1056
	v_add_nc_u32_e32 v124, v92, v24
	v_and_b32_e32 v22, v22, v25
	; wave barrier
	v_and_b32_e32 v22, v22, v26
	v_mbcnt_lo_u32_b32 v123, v22, 0
	v_cmp_ne_u32_e64 s21, 0, v22
	v_cmp_eq_u32_e32 vcc_lo, 0, v123
	s_and_b32 s22, s21, vcc_lo
	s_and_saveexec_b32 s21, s22
	s_cbranch_execz .LBB2077_104
; %bb.103:                              ;   in Loop: Header=BB2077_72 Depth=2
	s_waitcnt lgkmcnt(0)
	v_bcnt_u32_b32 v22, v22, v121
	ds_write_b32 v124, v22 offset:1056
.LBB2077_104:                           ;   in Loop: Header=BB2077_72 Depth=2
	s_or_b32 exec_lo, exec_lo, s21
	v_cmp_lt_i16_e32 vcc_lo, -1, v23
	; wave barrier
	v_cndmask_b32_e64 v22, -1, 0xffff8000, vcc_lo
	v_xor_b32_e32 v122, v22, v23
	v_cmp_ne_u16_e32 vcc_lo, 0x7fff, v122
	v_cndmask_b32_e32 v22, 0xffff8000, v122, vcc_lo
	v_lshrrev_b32_sdwa v22, s29, v22 dst_sel:DWORD dst_unused:UNUSED_PAD src0_sel:DWORD src1_sel:WORD_0
	v_and_b32_e32 v23, s42, v22
	v_and_b32_e32 v22, 1, v23
	v_lshlrev_b32_e32 v24, 30, v23
	v_lshlrev_b32_e32 v25, 29, v23
	v_lshlrev_b32_e32 v26, 28, v23
	v_lshlrev_b32_e32 v28, 27, v23
	v_add_co_u32 v22, s21, v22, -1
	v_cndmask_b32_e64 v27, 0, 1, s21
	v_not_b32_e32 v127, v24
	v_cmp_gt_i32_e64 s21, 0, v24
	v_not_b32_e32 v24, v25
	v_lshlrev_b32_e32 v125, 26, v23
	v_cmp_ne_u32_e32 vcc_lo, 0, v27
	v_ashrrev_i32_e32 v127, 31, v127
	v_lshlrev_b32_e32 v126, 25, v23
	v_ashrrev_i32_e32 v24, 31, v24
	v_lshlrev_b32_e32 v27, 24, v23
	v_xor_b32_e32 v22, vcc_lo, v22
	v_cmp_gt_i32_e32 vcc_lo, 0, v25
	v_not_b32_e32 v25, v26
	v_xor_b32_e32 v127, s21, v127
	v_cmp_gt_i32_e64 s21, 0, v26
	v_and_b32_e32 v22, exec_lo, v22
	v_not_b32_e32 v26, v28
	v_ashrrev_i32_e32 v25, 31, v25
	v_xor_b32_e32 v24, vcc_lo, v24
	v_cmp_gt_i32_e32 vcc_lo, 0, v28
	v_and_b32_e32 v22, v22, v127
	v_not_b32_e32 v28, v125
	v_ashrrev_i32_e32 v26, 31, v26
	v_xor_b32_e32 v25, s21, v25
	v_cmp_gt_i32_e64 s21, 0, v125
	v_and_b32_e32 v22, v22, v24
	v_not_b32_e32 v24, v126
	v_ashrrev_i32_e32 v28, 31, v28
	v_xor_b32_e32 v26, vcc_lo, v26
	v_cmp_gt_i32_e32 vcc_lo, 0, v126
	v_and_b32_e32 v22, v22, v25
	v_not_b32_e32 v25, v27
	v_ashrrev_i32_e32 v24, 31, v24
	v_xor_b32_e32 v28, s21, v28
	v_cmp_gt_i32_e64 s21, 0, v27
	v_and_b32_e32 v22, v22, v26
	v_ashrrev_i32_e32 v25, 31, v25
	v_xor_b32_e32 v24, vcc_lo, v24
	v_mad_u32_u24 v26, v23, 36, v92
	v_mul_u32_u24_e32 v23, 36, v23
	v_and_b32_e32 v22, v22, v28
	v_xor_b32_e32 v25, s21, v25
	ds_read_b32 v125, v26 offset:1056
	v_add_nc_u32_e32 v128, v92, v23
	v_and_b32_e32 v22, v22, v24
	; wave barrier
	v_and_b32_e32 v22, v22, v25
	v_mbcnt_lo_u32_b32 v127, v22, 0
	v_cmp_ne_u32_e64 s21, 0, v22
	v_cmp_eq_u32_e32 vcc_lo, 0, v127
	s_and_b32 s22, s21, vcc_lo
	s_and_saveexec_b32 s21, s22
	s_cbranch_execz .LBB2077_106
; %bb.105:                              ;   in Loop: Header=BB2077_72 Depth=2
	s_waitcnt lgkmcnt(0)
	v_bcnt_u32_b32 v22, v22, v125
	ds_write_b32 v128, v22 offset:1056
.LBB2077_106:                           ;   in Loop: Header=BB2077_72 Depth=2
	s_or_b32 exec_lo, exec_lo, s21
	v_cmp_lt_i16_e32 vcc_lo, -1, v21
	; wave barrier
	v_cndmask_b32_e64 v22, -1, 0xffff8000, vcc_lo
	v_xor_b32_e32 v126, v22, v21
	v_cmp_ne_u16_e32 vcc_lo, 0x7fff, v126
	v_cndmask_b32_e32 v21, 0xffff8000, v126, vcc_lo
	v_lshrrev_b32_sdwa v21, s29, v21 dst_sel:DWORD dst_unused:UNUSED_PAD src0_sel:DWORD src1_sel:WORD_0
	v_and_b32_e32 v22, s42, v21
	v_and_b32_e32 v21, 1, v22
	v_lshlrev_b32_e32 v23, 30, v22
	v_lshlrev_b32_e32 v24, 29, v22
	;; [unrolled: 1-line block ×4, first 2 shown]
	v_add_co_u32 v21, s21, v21, -1
	v_cndmask_b32_e64 v26, 0, 1, s21
	v_not_b32_e32 v130, v23
	v_cmp_gt_i32_e64 s21, 0, v23
	v_not_b32_e32 v23, v24
	v_lshlrev_b32_e32 v28, 26, v22
	v_cmp_ne_u32_e32 vcc_lo, 0, v26
	v_ashrrev_i32_e32 v130, 31, v130
	v_lshlrev_b32_e32 v129, 25, v22
	v_ashrrev_i32_e32 v23, 31, v23
	v_lshlrev_b32_e32 v26, 24, v22
	v_xor_b32_e32 v21, vcc_lo, v21
	v_cmp_gt_i32_e32 vcc_lo, 0, v24
	v_not_b32_e32 v24, v25
	v_xor_b32_e32 v130, s21, v130
	v_cmp_gt_i32_e64 s21, 0, v25
	v_and_b32_e32 v21, exec_lo, v21
	v_not_b32_e32 v25, v27
	v_ashrrev_i32_e32 v24, 31, v24
	v_xor_b32_e32 v23, vcc_lo, v23
	v_cmp_gt_i32_e32 vcc_lo, 0, v27
	v_and_b32_e32 v21, v21, v130
	v_not_b32_e32 v27, v28
	v_ashrrev_i32_e32 v25, 31, v25
	v_xor_b32_e32 v24, s21, v24
	v_cmp_gt_i32_e64 s21, 0, v28
	v_and_b32_e32 v21, v21, v23
	v_not_b32_e32 v23, v129
	v_ashrrev_i32_e32 v27, 31, v27
	v_xor_b32_e32 v25, vcc_lo, v25
	v_cmp_gt_i32_e32 vcc_lo, 0, v129
	v_and_b32_e32 v21, v21, v24
	v_not_b32_e32 v24, v26
	v_ashrrev_i32_e32 v23, 31, v23
	v_xor_b32_e32 v27, s21, v27
	v_cmp_gt_i32_e64 s21, 0, v26
	v_and_b32_e32 v21, v21, v25
	v_ashrrev_i32_e32 v24, 31, v24
	v_xor_b32_e32 v23, vcc_lo, v23
	v_mad_u32_u24 v25, v22, 36, v92
	v_mul_u32_u24_e32 v22, 36, v22
	v_and_b32_e32 v21, v21, v27
	v_xor_b32_e32 v24, s21, v24
	ds_read_b32 v129, v25 offset:1056
	v_add_nc_u32_e32 v131, v92, v22
	v_and_b32_e32 v21, v21, v23
	; wave barrier
	v_and_b32_e32 v21, v21, v24
	v_mbcnt_lo_u32_b32 v130, v21, 0
	v_cmp_ne_u32_e64 s21, 0, v21
	v_cmp_eq_u32_e32 vcc_lo, 0, v130
	s_and_b32 s22, s21, vcc_lo
	s_and_saveexec_b32 s21, s22
	s_cbranch_execz .LBB2077_108
; %bb.107:                              ;   in Loop: Header=BB2077_72 Depth=2
	s_waitcnt lgkmcnt(0)
	v_bcnt_u32_b32 v21, v21, v129
	ds_write_b32 v131, v21 offset:1056
.LBB2077_108:                           ;   in Loop: Header=BB2077_72 Depth=2
	s_or_b32 exec_lo, exec_lo, s21
	; wave barrier
	s_waitcnt lgkmcnt(0)
	s_barrier
	buffer_gl0_inv
	ds_read2_b32 v[27:28], v78 offset1:1
	ds_read2_b32 v[25:26], v88 offset1:1
	;; [unrolled: 1-line block ×4, first 2 shown]
	ds_read_b32 v132, v44 offset:1088
	s_waitcnt lgkmcnt(3)
	v_add3_u32 v133, v28, v27, v25
	s_waitcnt lgkmcnt(2)
	v_add3_u32 v133, v133, v26, v23
	;; [unrolled: 2-line block ×4, first 2 shown]
	v_mov_b32_dpp v133, v132 row_shr:1 row_mask:0xf bank_mask:0xf
	v_cndmask_b32_e64 v133, v133, 0, s5
	v_add_nc_u32_e32 v132, v133, v132
	v_mov_b32_dpp v133, v132 row_shr:2 row_mask:0xf bank_mask:0xf
	v_cndmask_b32_e64 v133, 0, v133, s14
	v_add_nc_u32_e32 v132, v132, v133
	;; [unrolled: 3-line block ×4, first 2 shown]
	ds_swizzle_b32 v133, v132 offset:swizzle(BROADCAST,32,15)
	s_waitcnt lgkmcnt(0)
	v_cndmask_b32_e64 v133, v133, 0, s17
	v_add_nc_u32_e32 v132, v132, v133
	s_and_saveexec_b32 s21, s9
; %bb.109:                              ;   in Loop: Header=BB2077_72 Depth=2
	ds_write_b32 v39, v132 offset:1024
; %bb.110:                              ;   in Loop: Header=BB2077_72 Depth=2
	s_or_b32 exec_lo, exec_lo, s21
	s_waitcnt lgkmcnt(0)
	s_barrier
	buffer_gl0_inv
	s_and_saveexec_b32 s21, s10
	s_cbranch_execz .LBB2077_112
; %bb.111:                              ;   in Loop: Header=BB2077_72 Depth=2
	ds_read_b32 v133, v46 offset:1024
	s_waitcnt lgkmcnt(0)
	v_mov_b32_dpp v134, v133 row_shr:1 row_mask:0xf bank_mask:0xf
	v_cndmask_b32_e64 v134, v134, 0, s18
	v_add_nc_u32_e32 v133, v134, v133
	v_mov_b32_dpp v134, v133 row_shr:2 row_mask:0xf bank_mask:0xf
	v_cndmask_b32_e64 v134, 0, v134, s19
	v_add_nc_u32_e32 v133, v133, v134
	;; [unrolled: 3-line block ×3, first 2 shown]
	ds_write_b32 v46, v133 offset:1024
.LBB2077_112:                           ;   in Loop: Header=BB2077_72 Depth=2
	s_or_b32 exec_lo, exec_lo, s21
	v_mov_b32_e32 v133, 0
	s_waitcnt lgkmcnt(0)
	s_barrier
	buffer_gl0_inv
	s_and_saveexec_b32 s21, s11
; %bb.113:                              ;   in Loop: Header=BB2077_72 Depth=2
	ds_read_b32 v133, v39 offset:1020
; %bb.114:                              ;   in Loop: Header=BB2077_72 Depth=2
	s_or_b32 exec_lo, exec_lo, s21
	s_waitcnt lgkmcnt(0)
	v_add_nc_u32_e32 v132, v133, v132
	ds_bpermute_b32 v132, v91, v132
	s_waitcnt lgkmcnt(0)
	v_cndmask_b32_e64 v132, v132, v133, s13
	v_cndmask_b32_e64 v132, v132, 0, s4
	v_add_nc_u32_e32 v27, v132, v27
	v_add_nc_u32_e32 v28, v27, v28
	;; [unrolled: 1-line block ×8, first 2 shown]
	ds_write2_b32 v78, v132, v27 offset1:1
	ds_write2_b32 v88, v28, v25 offset1:1
	;; [unrolled: 1-line block ×4, first 2 shown]
	ds_write_b32 v44, v22 offset:1088
	s_waitcnt lgkmcnt(0)
	s_barrier
	buffer_gl0_inv
	ds_read_b32 v24, v104 offset:1056
	ds_read_b32 v25, v108 offset:1056
	ds_read_b32 v26, v112 offset:1056
	ds_read_b32 v27, v116 offset:1056
	ds_read_b32 v28, v120 offset:1056
	ds_read_b32 v112, v124 offset:1056
	ds_read_b32 v22, v128 offset:1056
	ds_read_b32 v21, v131 offset:1056
	ds_read_b32 v104, v44 offset:1056
	v_mov_b32_e32 v23, 0x800
	s_and_saveexec_b32 s21, s12
; %bb.115:                              ;   in Loop: Header=BB2077_72 Depth=2
	ds_read_b32 v23, v44 offset:1092
; %bb.116:                              ;   in Loop: Header=BB2077_72 Depth=2
	s_or_b32 exec_lo, exec_lo, s21
	s_waitcnt lgkmcnt(0)
	s_barrier
	buffer_gl0_inv
	s_and_saveexec_b32 s21, s8
	s_cbranch_execz .LBB2077_118
; %bb.117:                              ;   in Loop: Header=BB2077_72 Depth=2
	ds_read_b32 v108, v29
	s_waitcnt lgkmcnt(0)
	v_sub_nc_u32_e32 v104, v108, v104
	ds_write_b32 v29, v104
.LBB2077_118:                           ;   in Loop: Header=BB2077_72 Depth=2
	s_or_b32 exec_lo, exec_lo, s21
	v_add_nc_u32_e32 v108, v24, v102
	v_add3_u32 v104, v106, v105, v25
	v_add3_u32 v102, v111, v109, v26
	;; [unrolled: 1-line block ×4, first 2 shown]
	v_lshlrev_b32_e32 v105, 1, v108
	v_lshlrev_b32_e32 v106, 1, v104
	v_add3_u32 v27, v127, v125, v22
	v_lshlrev_b32_e32 v22, 1, v102
	v_add3_u32 v28, v130, v129, v21
	ds_write_b16 v105, v3 offset:1024
	ds_write_b16 v106, v103 offset:1024
	v_lshlrev_b32_e32 v3, 1, v26
	v_add3_u32 v24, v123, v121, v112
	ds_write_b16 v22, v107 offset:1024
	v_lshlrev_b32_e32 v21, 1, v25
	v_cmp_lt_u32_e32 vcc_lo, v0, v101
	ds_write_b16 v3, v110 offset:1024
	v_lshlrev_b32_e32 v3, 1, v28
	v_lshlrev_b32_e32 v22, 1, v24
	;; [unrolled: 1-line block ×3, first 2 shown]
	ds_write_b16 v21, v114 offset:1024
	ds_write_b16 v22, v118 offset:1024
	;; [unrolled: 1-line block ×4, first 2 shown]
	s_waitcnt lgkmcnt(0)
	s_barrier
	buffer_gl0_inv
	s_and_saveexec_b32 s22, vcc_lo
	s_cbranch_execnz .LBB2077_155
; %bb.119:                              ;   in Loop: Header=BB2077_72 Depth=2
	s_or_b32 exec_lo, exec_lo, s22
	v_cmp_lt_u32_e64 s21, v30, v101
	s_and_saveexec_b32 s23, s21
	s_cbranch_execnz .LBB2077_156
.LBB2077_120:                           ;   in Loop: Header=BB2077_72 Depth=2
	s_or_b32 exec_lo, exec_lo, s23
	v_cmp_lt_u32_e64 s22, v31, v101
	s_and_saveexec_b32 s24, s22
	s_cbranch_execnz .LBB2077_157
.LBB2077_121:                           ;   in Loop: Header=BB2077_72 Depth=2
	s_or_b32 exec_lo, exec_lo, s24
	v_cmp_lt_u32_e64 s23, v32, v101
	s_and_saveexec_b32 s25, s23
	s_cbranch_execnz .LBB2077_158
.LBB2077_122:                           ;   in Loop: Header=BB2077_72 Depth=2
	s_or_b32 exec_lo, exec_lo, s25
	v_cmp_lt_u32_e64 s24, v35, v101
	s_and_saveexec_b32 s26, s24
	s_cbranch_execnz .LBB2077_159
.LBB2077_123:                           ;   in Loop: Header=BB2077_72 Depth=2
	s_or_b32 exec_lo, exec_lo, s26
	v_cmp_lt_u32_e64 s25, v36, v101
	s_and_saveexec_b32 s27, s25
	s_cbranch_execnz .LBB2077_160
.LBB2077_124:                           ;   in Loop: Header=BB2077_72 Depth=2
	s_or_b32 exec_lo, exec_lo, s27
	v_cmp_lt_u32_e64 s26, v37, v101
	s_and_saveexec_b32 s28, s26
	s_cbranch_execnz .LBB2077_161
.LBB2077_125:                           ;   in Loop: Header=BB2077_72 Depth=2
	s_or_b32 exec_lo, exec_lo, s28
	v_cmp_lt_u32_e64 s27, v38, v101
	s_and_saveexec_b32 s54, s27
	s_cbranch_execz .LBB2077_127
.LBB2077_126:                           ;   in Loop: Header=BB2077_72 Depth=2
	ds_read_u16 v103, v47 offset:4608
	s_waitcnt lgkmcnt(0)
	v_cmp_ne_u16_e64 s28, 0x7fff, v103
	v_cndmask_b32_e64 v3, 0xffff8000, v103, s28
	v_cmp_lt_i16_e64 s28, -1, v103
	v_lshrrev_b32_sdwa v3, s29, v3 dst_sel:DWORD dst_unused:UNUSED_PAD src0_sel:DWORD src1_sel:WORD_0
	v_cndmask_b32_e64 v105, 0xffff8000, -1, s28
	v_and_b32_e32 v3, s42, v3
	v_lshlrev_b32_e32 v3, 2, v3
	ds_read_b32 v3, v3
	s_waitcnt lgkmcnt(0)
	v_add_nc_u32_e32 v3, v3, v38
	v_lshlrev_b64 v[21:22], 1, v[3:4]
	v_xor_b32_e32 v3, v105, v103
	v_add_co_u32 v21, s28, s38, v21
	v_add_co_ci_u32_e64 v22, null, s39, v22, s28
	global_store_short v[21:22], v3, off
.LBB2077_127:                           ;   in Loop: Header=BB2077_72 Depth=2
	s_or_b32 exec_lo, exec_lo, s54
	s_lshl_b64 s[54:55], s[34:35], 3
	v_add_co_u32 v21, s28, v83, s54
	v_add_co_ci_u32_e64 v22, null, s55, v84, s28
	v_cmp_lt_u32_e64 s28, v66, v101
	s_and_saveexec_b32 s34, s28
	s_xor_b32 s28, exec_lo, s34
	s_cbranch_execnz .LBB2077_162
; %bb.128:                              ;   in Loop: Header=BB2077_72 Depth=2
	s_or_b32 exec_lo, exec_lo, s28
	s_mov_b32 s34, exec_lo
	v_cmpx_lt_u32_e64 v70, v101
	s_cbranch_execnz .LBB2077_163
.LBB2077_129:                           ;   in Loop: Header=BB2077_72 Depth=2
	s_or_b32 exec_lo, exec_lo, s34
	s_mov_b32 s34, exec_lo
	v_cmpx_lt_u32_e64 v71, v101
	s_cbranch_execnz .LBB2077_164
.LBB2077_130:                           ;   in Loop: Header=BB2077_72 Depth=2
	s_or_b32 exec_lo, exec_lo, s34
	s_mov_b32 s34, exec_lo
	v_cmpx_lt_u32_e64 v72, v101
	s_cbranch_execnz .LBB2077_165
.LBB2077_131:                           ;   in Loop: Header=BB2077_72 Depth=2
	s_or_b32 exec_lo, exec_lo, s34
	s_mov_b32 s34, exec_lo
	v_cmpx_lt_u32_e64 v73, v101
	s_cbranch_execnz .LBB2077_166
.LBB2077_132:                           ;   in Loop: Header=BB2077_72 Depth=2
	s_or_b32 exec_lo, exec_lo, s34
	s_mov_b32 s34, exec_lo
	v_cmpx_lt_u32_e64 v74, v101
	s_cbranch_execnz .LBB2077_167
.LBB2077_133:                           ;   in Loop: Header=BB2077_72 Depth=2
	s_or_b32 exec_lo, exec_lo, s34
	s_mov_b32 s34, exec_lo
	v_cmpx_lt_u32_e64 v75, v101
	s_cbranch_execnz .LBB2077_168
.LBB2077_134:                           ;   in Loop: Header=BB2077_72 Depth=2
	s_or_b32 exec_lo, exec_lo, s34
	s_mov_b32 s34, exec_lo
	v_cmpx_lt_u32_e64 v76, v101
	s_cbranch_execnz .LBB2077_169
.LBB2077_135:                           ;   in Loop: Header=BB2077_72 Depth=2
	s_or_b32 exec_lo, exec_lo, s34
	s_and_saveexec_b32 s34, vcc_lo
	s_cbranch_execnz .LBB2077_170
.LBB2077_136:                           ;   in Loop: Header=BB2077_72 Depth=2
	s_or_b32 exec_lo, exec_lo, s34
	s_and_saveexec_b32 s34, s21
	s_cbranch_execnz .LBB2077_171
.LBB2077_137:                           ;   in Loop: Header=BB2077_72 Depth=2
	s_or_b32 exec_lo, exec_lo, s34
	s_and_saveexec_b32 s34, s22
	s_cbranch_execnz .LBB2077_172
.LBB2077_138:                           ;   in Loop: Header=BB2077_72 Depth=2
	s_or_b32 exec_lo, exec_lo, s34
	s_and_saveexec_b32 s34, s23
	s_cbranch_execnz .LBB2077_173
.LBB2077_139:                           ;   in Loop: Header=BB2077_72 Depth=2
	s_or_b32 exec_lo, exec_lo, s34
	s_and_saveexec_b32 s34, s24
	s_cbranch_execnz .LBB2077_174
.LBB2077_140:                           ;   in Loop: Header=BB2077_72 Depth=2
	s_or_b32 exec_lo, exec_lo, s34
	s_and_saveexec_b32 s34, s25
	s_cbranch_execnz .LBB2077_175
.LBB2077_141:                           ;   in Loop: Header=BB2077_72 Depth=2
	s_or_b32 exec_lo, exec_lo, s34
	s_and_saveexec_b32 s34, s26
	s_cbranch_execnz .LBB2077_176
.LBB2077_142:                           ;   in Loop: Header=BB2077_72 Depth=2
	s_or_b32 exec_lo, exec_lo, s34
	s_and_saveexec_b32 s34, s27
	s_cbranch_execz .LBB2077_144
.LBB2077_143:                           ;   in Loop: Header=BB2077_72 Depth=2
	ds_read_u16 v3, v47 offset:4608
	s_waitcnt lgkmcnt(0)
	v_cmp_ne_u16_e64 s28, 0x7fff, v3
	v_cndmask_b32_e64 v3, 0xffff8000, v3, s28
	v_lshrrev_b32_sdwa v3, s29, v3 dst_sel:DWORD dst_unused:UNUSED_PAD src0_sel:DWORD src1_sel:WORD_0
	v_and_b32_e32 v93, s42, v3
.LBB2077_144:                           ;   in Loop: Header=BB2077_72 Depth=2
	s_or_b32 exec_lo, exec_lo, s34
	v_lshlrev_b32_e32 v3, 3, v108
	v_lshlrev_b32_e32 v21, 3, v104
	;; [unrolled: 1-line block ×3, first 2 shown]
	s_waitcnt vmcnt(0)
	s_waitcnt_vscnt null, 0x0
	s_barrier
	buffer_gl0_inv
	ds_write_b64 v3, v[19:20] offset:1024
	ds_write_b64 v21, v[17:18] offset:1024
	;; [unrolled: 1-line block ×3, first 2 shown]
	v_lshlrev_b32_e32 v3, 3, v26
	v_lshlrev_b32_e32 v21, 3, v25
	;; [unrolled: 1-line block ×5, first 2 shown]
	ds_write_b64 v3, v[13:14] offset:1024
	ds_write_b64 v21, v[11:12] offset:1024
	;; [unrolled: 1-line block ×5, first 2 shown]
	s_waitcnt lgkmcnt(0)
	s_barrier
	buffer_gl0_inv
	s_and_saveexec_b32 s28, vcc_lo
	s_cbranch_execnz .LBB2077_177
; %bb.145:                              ;   in Loop: Header=BB2077_72 Depth=2
	s_or_b32 exec_lo, exec_lo, s28
	s_and_saveexec_b32 s28, s21
	s_cbranch_execnz .LBB2077_178
.LBB2077_146:                           ;   in Loop: Header=BB2077_72 Depth=2
	s_or_b32 exec_lo, exec_lo, s28
	s_and_saveexec_b32 s21, s22
	s_cbranch_execnz .LBB2077_179
.LBB2077_147:                           ;   in Loop: Header=BB2077_72 Depth=2
	s_or_b32 exec_lo, exec_lo, s21
	s_and_saveexec_b32 s21, s23
	s_cbranch_execnz .LBB2077_180
.LBB2077_148:                           ;   in Loop: Header=BB2077_72 Depth=2
	s_or_b32 exec_lo, exec_lo, s21
	s_and_saveexec_b32 s21, s24
	s_cbranch_execnz .LBB2077_181
.LBB2077_149:                           ;   in Loop: Header=BB2077_72 Depth=2
	s_or_b32 exec_lo, exec_lo, s21
	s_and_saveexec_b32 s21, s25
	s_cbranch_execnz .LBB2077_182
.LBB2077_150:                           ;   in Loop: Header=BB2077_72 Depth=2
	s_or_b32 exec_lo, exec_lo, s21
	s_and_saveexec_b32 s21, s26
	s_cbranch_execnz .LBB2077_183
.LBB2077_151:                           ;   in Loop: Header=BB2077_72 Depth=2
	s_or_b32 exec_lo, exec_lo, s21
	s_and_saveexec_b32 s21, s27
	s_cbranch_execz .LBB2077_153
.LBB2077_152:                           ;   in Loop: Header=BB2077_72 Depth=2
	v_lshlrev_b32_e32 v3, 2, v93
	v_add_nc_u32_e32 v21, v47, v48
	ds_read_b32 v3, v3
	ds_read_b64 v[21:22], v21 offset:15360
	s_waitcnt lgkmcnt(1)
	v_add_nc_u32_e32 v3, v3, v38
	v_lshlrev_b64 v[24:25], 3, v[3:4]
	v_add_co_u32 v24, vcc_lo, s44, v24
	v_add_co_ci_u32_e64 v25, null, s45, v25, vcc_lo
	s_waitcnt lgkmcnt(0)
	global_store_dwordx2 v[24:25], v[21:22], off
.LBB2077_153:                           ;   in Loop: Header=BB2077_72 Depth=2
	s_or_b32 exec_lo, exec_lo, s21
	s_waitcnt_vscnt null, 0x0
	s_barrier
	buffer_gl0_inv
	s_and_saveexec_b32 s21, s8
	s_cbranch_execz .LBB2077_71
; %bb.154:                              ;   in Loop: Header=BB2077_72 Depth=2
	ds_read_b32 v3, v29
	s_waitcnt lgkmcnt(0)
	v_add_nc_u32_e32 v3, v3, v23
	ds_write_b32 v29, v3
	s_branch .LBB2077_71
.LBB2077_155:                           ;   in Loop: Header=BB2077_72 Depth=2
	ds_read_u16 v103, v47 offset:1024
	s_waitcnt lgkmcnt(0)
	v_cmp_ne_u16_e64 s21, 0x7fff, v103
	v_cndmask_b32_e64 v3, 0xffff8000, v103, s21
	v_cmp_lt_i16_e64 s21, -1, v103
	v_lshrrev_b32_sdwa v3, s29, v3 dst_sel:DWORD dst_unused:UNUSED_PAD src0_sel:DWORD src1_sel:WORD_0
	v_cndmask_b32_e64 v105, 0xffff8000, -1, s21
	v_and_b32_e32 v3, s42, v3
	v_lshlrev_b32_e32 v3, 2, v3
	ds_read_b32 v3, v3
	s_waitcnt lgkmcnt(0)
	v_add_nc_u32_e32 v3, v3, v0
	v_lshlrev_b64 v[21:22], 1, v[3:4]
	v_xor_b32_e32 v3, v105, v103
	v_add_co_u32 v21, s21, s38, v21
	v_add_co_ci_u32_e64 v22, null, s39, v22, s21
	global_store_short v[21:22], v3, off
	s_or_b32 exec_lo, exec_lo, s22
	v_cmp_lt_u32_e64 s21, v30, v101
	s_and_saveexec_b32 s23, s21
	s_cbranch_execz .LBB2077_120
.LBB2077_156:                           ;   in Loop: Header=BB2077_72 Depth=2
	ds_read_u16 v103, v47 offset:1536
	s_waitcnt lgkmcnt(0)
	v_cmp_ne_u16_e64 s22, 0x7fff, v103
	v_cndmask_b32_e64 v3, 0xffff8000, v103, s22
	v_cmp_lt_i16_e64 s22, -1, v103
	v_lshrrev_b32_sdwa v3, s29, v3 dst_sel:DWORD dst_unused:UNUSED_PAD src0_sel:DWORD src1_sel:WORD_0
	v_cndmask_b32_e64 v105, 0xffff8000, -1, s22
	v_and_b32_e32 v3, s42, v3
	v_lshlrev_b32_e32 v3, 2, v3
	ds_read_b32 v3, v3
	s_waitcnt lgkmcnt(0)
	v_add_nc_u32_e32 v3, v3, v30
	v_lshlrev_b64 v[21:22], 1, v[3:4]
	v_xor_b32_e32 v3, v105, v103
	v_add_co_u32 v21, s22, s38, v21
	v_add_co_ci_u32_e64 v22, null, s39, v22, s22
	global_store_short v[21:22], v3, off
	s_or_b32 exec_lo, exec_lo, s23
	v_cmp_lt_u32_e64 s22, v31, v101
	s_and_saveexec_b32 s24, s22
	s_cbranch_execz .LBB2077_121
.LBB2077_157:                           ;   in Loop: Header=BB2077_72 Depth=2
	ds_read_u16 v103, v47 offset:2048
	s_waitcnt lgkmcnt(0)
	v_cmp_ne_u16_e64 s23, 0x7fff, v103
	v_cndmask_b32_e64 v3, 0xffff8000, v103, s23
	v_cmp_lt_i16_e64 s23, -1, v103
	v_lshrrev_b32_sdwa v3, s29, v3 dst_sel:DWORD dst_unused:UNUSED_PAD src0_sel:DWORD src1_sel:WORD_0
	v_cndmask_b32_e64 v105, 0xffff8000, -1, s23
	v_and_b32_e32 v3, s42, v3
	v_lshlrev_b32_e32 v3, 2, v3
	ds_read_b32 v3, v3
	s_waitcnt lgkmcnt(0)
	v_add_nc_u32_e32 v3, v3, v31
	v_lshlrev_b64 v[21:22], 1, v[3:4]
	v_xor_b32_e32 v3, v105, v103
	v_add_co_u32 v21, s23, s38, v21
	v_add_co_ci_u32_e64 v22, null, s39, v22, s23
	global_store_short v[21:22], v3, off
	s_or_b32 exec_lo, exec_lo, s24
	v_cmp_lt_u32_e64 s23, v32, v101
	s_and_saveexec_b32 s25, s23
	s_cbranch_execz .LBB2077_122
.LBB2077_158:                           ;   in Loop: Header=BB2077_72 Depth=2
	ds_read_u16 v103, v47 offset:2560
	s_waitcnt lgkmcnt(0)
	v_cmp_ne_u16_e64 s24, 0x7fff, v103
	v_cndmask_b32_e64 v3, 0xffff8000, v103, s24
	v_cmp_lt_i16_e64 s24, -1, v103
	v_lshrrev_b32_sdwa v3, s29, v3 dst_sel:DWORD dst_unused:UNUSED_PAD src0_sel:DWORD src1_sel:WORD_0
	v_cndmask_b32_e64 v105, 0xffff8000, -1, s24
	v_and_b32_e32 v3, s42, v3
	v_lshlrev_b32_e32 v3, 2, v3
	ds_read_b32 v3, v3
	s_waitcnt lgkmcnt(0)
	v_add_nc_u32_e32 v3, v3, v32
	v_lshlrev_b64 v[21:22], 1, v[3:4]
	v_xor_b32_e32 v3, v105, v103
	v_add_co_u32 v21, s24, s38, v21
	v_add_co_ci_u32_e64 v22, null, s39, v22, s24
	global_store_short v[21:22], v3, off
	s_or_b32 exec_lo, exec_lo, s25
	v_cmp_lt_u32_e64 s24, v35, v101
	s_and_saveexec_b32 s26, s24
	s_cbranch_execz .LBB2077_123
.LBB2077_159:                           ;   in Loop: Header=BB2077_72 Depth=2
	ds_read_u16 v103, v47 offset:3072
	s_waitcnt lgkmcnt(0)
	v_cmp_ne_u16_e64 s25, 0x7fff, v103
	v_cndmask_b32_e64 v3, 0xffff8000, v103, s25
	v_cmp_lt_i16_e64 s25, -1, v103
	v_lshrrev_b32_sdwa v3, s29, v3 dst_sel:DWORD dst_unused:UNUSED_PAD src0_sel:DWORD src1_sel:WORD_0
	v_cndmask_b32_e64 v105, 0xffff8000, -1, s25
	v_and_b32_e32 v3, s42, v3
	v_lshlrev_b32_e32 v3, 2, v3
	ds_read_b32 v3, v3
	s_waitcnt lgkmcnt(0)
	v_add_nc_u32_e32 v3, v3, v35
	v_lshlrev_b64 v[21:22], 1, v[3:4]
	v_xor_b32_e32 v3, v105, v103
	v_add_co_u32 v21, s25, s38, v21
	v_add_co_ci_u32_e64 v22, null, s39, v22, s25
	global_store_short v[21:22], v3, off
	s_or_b32 exec_lo, exec_lo, s26
	v_cmp_lt_u32_e64 s25, v36, v101
	s_and_saveexec_b32 s27, s25
	s_cbranch_execz .LBB2077_124
.LBB2077_160:                           ;   in Loop: Header=BB2077_72 Depth=2
	ds_read_u16 v103, v47 offset:3584
	s_waitcnt lgkmcnt(0)
	v_cmp_ne_u16_e64 s26, 0x7fff, v103
	v_cndmask_b32_e64 v3, 0xffff8000, v103, s26
	v_cmp_lt_i16_e64 s26, -1, v103
	v_lshrrev_b32_sdwa v3, s29, v3 dst_sel:DWORD dst_unused:UNUSED_PAD src0_sel:DWORD src1_sel:WORD_0
	v_cndmask_b32_e64 v105, 0xffff8000, -1, s26
	v_and_b32_e32 v3, s42, v3
	v_lshlrev_b32_e32 v3, 2, v3
	ds_read_b32 v3, v3
	s_waitcnt lgkmcnt(0)
	v_add_nc_u32_e32 v3, v3, v36
	v_lshlrev_b64 v[21:22], 1, v[3:4]
	v_xor_b32_e32 v3, v105, v103
	v_add_co_u32 v21, s26, s38, v21
	v_add_co_ci_u32_e64 v22, null, s39, v22, s26
	global_store_short v[21:22], v3, off
	s_or_b32 exec_lo, exec_lo, s27
	v_cmp_lt_u32_e64 s26, v37, v101
	s_and_saveexec_b32 s28, s26
	s_cbranch_execz .LBB2077_125
.LBB2077_161:                           ;   in Loop: Header=BB2077_72 Depth=2
	ds_read_u16 v103, v47 offset:4096
	s_waitcnt lgkmcnt(0)
	v_cmp_ne_u16_e64 s27, 0x7fff, v103
	v_cndmask_b32_e64 v3, 0xffff8000, v103, s27
	v_cmp_lt_i16_e64 s27, -1, v103
	v_lshrrev_b32_sdwa v3, s29, v3 dst_sel:DWORD dst_unused:UNUSED_PAD src0_sel:DWORD src1_sel:WORD_0
	v_cndmask_b32_e64 v105, 0xffff8000, -1, s27
	v_and_b32_e32 v3, s42, v3
	v_lshlrev_b32_e32 v3, 2, v3
	ds_read_b32 v3, v3
	s_waitcnt lgkmcnt(0)
	v_add_nc_u32_e32 v3, v3, v37
	v_lshlrev_b64 v[21:22], 1, v[3:4]
	v_xor_b32_e32 v3, v105, v103
	v_add_co_u32 v21, s27, s38, v21
	v_add_co_ci_u32_e64 v22, null, s39, v22, s27
	global_store_short v[21:22], v3, off
	s_or_b32 exec_lo, exec_lo, s28
	v_cmp_lt_u32_e64 s27, v38, v101
	s_and_saveexec_b32 s54, s27
	s_cbranch_execnz .LBB2077_126
	s_branch .LBB2077_127
.LBB2077_162:                           ;   in Loop: Header=BB2077_72 Depth=2
	global_load_dwordx2 v[19:20], v[21:22], off
	s_or_b32 exec_lo, exec_lo, s28
	s_mov_b32 s34, exec_lo
	v_cmpx_lt_u32_e64 v70, v101
	s_cbranch_execz .LBB2077_129
.LBB2077_163:                           ;   in Loop: Header=BB2077_72 Depth=2
	global_load_dwordx2 v[17:18], v[21:22], off offset:256
	s_or_b32 exec_lo, exec_lo, s34
	s_mov_b32 s34, exec_lo
	v_cmpx_lt_u32_e64 v71, v101
	s_cbranch_execz .LBB2077_130
.LBB2077_164:                           ;   in Loop: Header=BB2077_72 Depth=2
	global_load_dwordx2 v[15:16], v[21:22], off offset:512
	s_or_b32 exec_lo, exec_lo, s34
	s_mov_b32 s34, exec_lo
	v_cmpx_lt_u32_e64 v72, v101
	s_cbranch_execz .LBB2077_131
.LBB2077_165:                           ;   in Loop: Header=BB2077_72 Depth=2
	global_load_dwordx2 v[13:14], v[21:22], off offset:768
	s_or_b32 exec_lo, exec_lo, s34
	s_mov_b32 s34, exec_lo
	v_cmpx_lt_u32_e64 v73, v101
	s_cbranch_execz .LBB2077_132
.LBB2077_166:                           ;   in Loop: Header=BB2077_72 Depth=2
	global_load_dwordx2 v[11:12], v[21:22], off offset:1024
	s_or_b32 exec_lo, exec_lo, s34
	s_mov_b32 s34, exec_lo
	v_cmpx_lt_u32_e64 v74, v101
	s_cbranch_execz .LBB2077_133
.LBB2077_167:                           ;   in Loop: Header=BB2077_72 Depth=2
	global_load_dwordx2 v[9:10], v[21:22], off offset:1280
	s_or_b32 exec_lo, exec_lo, s34
	s_mov_b32 s34, exec_lo
	v_cmpx_lt_u32_e64 v75, v101
	s_cbranch_execz .LBB2077_134
.LBB2077_168:                           ;   in Loop: Header=BB2077_72 Depth=2
	global_load_dwordx2 v[7:8], v[21:22], off offset:1536
	s_or_b32 exec_lo, exec_lo, s34
	s_mov_b32 s34, exec_lo
	v_cmpx_lt_u32_e64 v76, v101
	s_cbranch_execz .LBB2077_135
.LBB2077_169:                           ;   in Loop: Header=BB2077_72 Depth=2
	global_load_dwordx2 v[5:6], v[21:22], off offset:1792
	s_or_b32 exec_lo, exec_lo, s34
	s_and_saveexec_b32 s34, vcc_lo
	s_cbranch_execz .LBB2077_136
.LBB2077_170:                           ;   in Loop: Header=BB2077_72 Depth=2
	ds_read_u16 v3, v47 offset:1024
	s_waitcnt lgkmcnt(0)
	v_cmp_ne_u16_e64 s28, 0x7fff, v3
	v_cndmask_b32_e64 v3, 0xffff8000, v3, s28
	v_lshrrev_b32_sdwa v3, s29, v3 dst_sel:DWORD dst_unused:UNUSED_PAD src0_sel:DWORD src1_sel:WORD_0
	v_and_b32_e32 v100, s42, v3
	s_or_b32 exec_lo, exec_lo, s34
	s_and_saveexec_b32 s34, s21
	s_cbranch_execz .LBB2077_137
.LBB2077_171:                           ;   in Loop: Header=BB2077_72 Depth=2
	ds_read_u16 v3, v47 offset:1536
	s_waitcnt lgkmcnt(0)
	v_cmp_ne_u16_e64 s28, 0x7fff, v3
	v_cndmask_b32_e64 v3, 0xffff8000, v3, s28
	v_lshrrev_b32_sdwa v3, s29, v3 dst_sel:DWORD dst_unused:UNUSED_PAD src0_sel:DWORD src1_sel:WORD_0
	v_and_b32_e32 v99, s42, v3
	s_or_b32 exec_lo, exec_lo, s34
	s_and_saveexec_b32 s34, s22
	s_cbranch_execz .LBB2077_138
.LBB2077_172:                           ;   in Loop: Header=BB2077_72 Depth=2
	ds_read_u16 v3, v47 offset:2048
	s_waitcnt lgkmcnt(0)
	v_cmp_ne_u16_e64 s28, 0x7fff, v3
	v_cndmask_b32_e64 v3, 0xffff8000, v3, s28
	v_lshrrev_b32_sdwa v3, s29, v3 dst_sel:DWORD dst_unused:UNUSED_PAD src0_sel:DWORD src1_sel:WORD_0
	v_and_b32_e32 v98, s42, v3
	s_or_b32 exec_lo, exec_lo, s34
	s_and_saveexec_b32 s34, s23
	s_cbranch_execz .LBB2077_139
.LBB2077_173:                           ;   in Loop: Header=BB2077_72 Depth=2
	ds_read_u16 v3, v47 offset:2560
	s_waitcnt lgkmcnt(0)
	v_cmp_ne_u16_e64 s28, 0x7fff, v3
	v_cndmask_b32_e64 v3, 0xffff8000, v3, s28
	v_lshrrev_b32_sdwa v3, s29, v3 dst_sel:DWORD dst_unused:UNUSED_PAD src0_sel:DWORD src1_sel:WORD_0
	v_and_b32_e32 v97, s42, v3
	s_or_b32 exec_lo, exec_lo, s34
	s_and_saveexec_b32 s34, s24
	s_cbranch_execz .LBB2077_140
.LBB2077_174:                           ;   in Loop: Header=BB2077_72 Depth=2
	ds_read_u16 v3, v47 offset:3072
	s_waitcnt lgkmcnt(0)
	v_cmp_ne_u16_e64 s28, 0x7fff, v3
	v_cndmask_b32_e64 v3, 0xffff8000, v3, s28
	v_lshrrev_b32_sdwa v3, s29, v3 dst_sel:DWORD dst_unused:UNUSED_PAD src0_sel:DWORD src1_sel:WORD_0
	v_and_b32_e32 v96, s42, v3
	s_or_b32 exec_lo, exec_lo, s34
	s_and_saveexec_b32 s34, s25
	s_cbranch_execz .LBB2077_141
.LBB2077_175:                           ;   in Loop: Header=BB2077_72 Depth=2
	ds_read_u16 v3, v47 offset:3584
	s_waitcnt lgkmcnt(0)
	v_cmp_ne_u16_e64 s28, 0x7fff, v3
	v_cndmask_b32_e64 v3, 0xffff8000, v3, s28
	v_lshrrev_b32_sdwa v3, s29, v3 dst_sel:DWORD dst_unused:UNUSED_PAD src0_sel:DWORD src1_sel:WORD_0
	v_and_b32_e32 v95, s42, v3
	s_or_b32 exec_lo, exec_lo, s34
	s_and_saveexec_b32 s34, s26
	s_cbranch_execz .LBB2077_142
.LBB2077_176:                           ;   in Loop: Header=BB2077_72 Depth=2
	ds_read_u16 v3, v47 offset:4096
	s_waitcnt lgkmcnt(0)
	v_cmp_ne_u16_e64 s28, 0x7fff, v3
	v_cndmask_b32_e64 v3, 0xffff8000, v3, s28
	v_lshrrev_b32_sdwa v3, s29, v3 dst_sel:DWORD dst_unused:UNUSED_PAD src0_sel:DWORD src1_sel:WORD_0
	v_and_b32_e32 v94, s42, v3
	s_or_b32 exec_lo, exec_lo, s34
	s_and_saveexec_b32 s34, s27
	s_cbranch_execnz .LBB2077_143
	s_branch .LBB2077_144
.LBB2077_177:                           ;   in Loop: Header=BB2077_72 Depth=2
	v_lshlrev_b32_e32 v3, 2, v100
	v_add_nc_u32_e32 v21, v47, v48
	ds_read_b32 v3, v3
	ds_read_b64 v[21:22], v21 offset:1024
	s_waitcnt lgkmcnt(1)
	v_add_nc_u32_e32 v3, v3, v0
	v_lshlrev_b64 v[24:25], 3, v[3:4]
	v_add_co_u32 v24, vcc_lo, s44, v24
	v_add_co_ci_u32_e64 v25, null, s45, v25, vcc_lo
	s_waitcnt lgkmcnt(0)
	global_store_dwordx2 v[24:25], v[21:22], off
	s_or_b32 exec_lo, exec_lo, s28
	s_and_saveexec_b32 s28, s21
	s_cbranch_execz .LBB2077_146
.LBB2077_178:                           ;   in Loop: Header=BB2077_72 Depth=2
	v_lshlrev_b32_e32 v3, 2, v99
	v_add_nc_u32_e32 v21, v47, v48
	ds_read_b32 v3, v3
	ds_read_b64 v[21:22], v21 offset:3072
	s_waitcnt lgkmcnt(1)
	v_add_nc_u32_e32 v3, v3, v30
	v_lshlrev_b64 v[24:25], 3, v[3:4]
	v_add_co_u32 v24, vcc_lo, s44, v24
	v_add_co_ci_u32_e64 v25, null, s45, v25, vcc_lo
	s_waitcnt lgkmcnt(0)
	global_store_dwordx2 v[24:25], v[21:22], off
	s_or_b32 exec_lo, exec_lo, s28
	s_and_saveexec_b32 s21, s22
	s_cbranch_execz .LBB2077_147
.LBB2077_179:                           ;   in Loop: Header=BB2077_72 Depth=2
	v_lshlrev_b32_e32 v3, 2, v98
	v_add_nc_u32_e32 v21, v47, v48
	ds_read_b32 v3, v3
	ds_read_b64 v[21:22], v21 offset:5120
	s_waitcnt lgkmcnt(1)
	v_add_nc_u32_e32 v3, v3, v31
	v_lshlrev_b64 v[24:25], 3, v[3:4]
	v_add_co_u32 v24, vcc_lo, s44, v24
	v_add_co_ci_u32_e64 v25, null, s45, v25, vcc_lo
	s_waitcnt lgkmcnt(0)
	global_store_dwordx2 v[24:25], v[21:22], off
	s_or_b32 exec_lo, exec_lo, s21
	s_and_saveexec_b32 s21, s23
	s_cbranch_execz .LBB2077_148
.LBB2077_180:                           ;   in Loop: Header=BB2077_72 Depth=2
	v_lshlrev_b32_e32 v3, 2, v97
	v_add_nc_u32_e32 v21, v47, v48
	ds_read_b32 v3, v3
	ds_read_b64 v[21:22], v21 offset:7168
	s_waitcnt lgkmcnt(1)
	v_add_nc_u32_e32 v3, v3, v32
	v_lshlrev_b64 v[24:25], 3, v[3:4]
	v_add_co_u32 v24, vcc_lo, s44, v24
	v_add_co_ci_u32_e64 v25, null, s45, v25, vcc_lo
	s_waitcnt lgkmcnt(0)
	global_store_dwordx2 v[24:25], v[21:22], off
	s_or_b32 exec_lo, exec_lo, s21
	s_and_saveexec_b32 s21, s24
	s_cbranch_execz .LBB2077_149
.LBB2077_181:                           ;   in Loop: Header=BB2077_72 Depth=2
	v_lshlrev_b32_e32 v3, 2, v96
	v_add_nc_u32_e32 v21, v47, v48
	ds_read_b32 v3, v3
	ds_read_b64 v[21:22], v21 offset:9216
	s_waitcnt lgkmcnt(1)
	v_add_nc_u32_e32 v3, v3, v35
	v_lshlrev_b64 v[24:25], 3, v[3:4]
	v_add_co_u32 v24, vcc_lo, s44, v24
	v_add_co_ci_u32_e64 v25, null, s45, v25, vcc_lo
	s_waitcnt lgkmcnt(0)
	global_store_dwordx2 v[24:25], v[21:22], off
	s_or_b32 exec_lo, exec_lo, s21
	s_and_saveexec_b32 s21, s25
	s_cbranch_execz .LBB2077_150
.LBB2077_182:                           ;   in Loop: Header=BB2077_72 Depth=2
	v_lshlrev_b32_e32 v3, 2, v95
	v_add_nc_u32_e32 v21, v47, v48
	ds_read_b32 v3, v3
	ds_read_b64 v[21:22], v21 offset:11264
	s_waitcnt lgkmcnt(1)
	v_add_nc_u32_e32 v3, v3, v36
	v_lshlrev_b64 v[24:25], 3, v[3:4]
	v_add_co_u32 v24, vcc_lo, s44, v24
	v_add_co_ci_u32_e64 v25, null, s45, v25, vcc_lo
	s_waitcnt lgkmcnt(0)
	global_store_dwordx2 v[24:25], v[21:22], off
	s_or_b32 exec_lo, exec_lo, s21
	s_and_saveexec_b32 s21, s26
	s_cbranch_execz .LBB2077_151
.LBB2077_183:                           ;   in Loop: Header=BB2077_72 Depth=2
	v_lshlrev_b32_e32 v3, 2, v94
	v_add_nc_u32_e32 v21, v47, v48
	ds_read_b32 v3, v3
	ds_read_b64 v[21:22], v21 offset:13312
	s_waitcnt lgkmcnt(1)
	v_add_nc_u32_e32 v3, v3, v37
	v_lshlrev_b64 v[24:25], 3, v[3:4]
	v_add_co_u32 v24, vcc_lo, s44, v24
	v_add_co_ci_u32_e64 v25, null, s45, v25, vcc_lo
	s_waitcnt lgkmcnt(0)
	global_store_dwordx2 v[24:25], v[21:22], off
	s_or_b32 exec_lo, exec_lo, s21
	s_and_saveexec_b32 s21, s27
	s_cbranch_execnz .LBB2077_152
	s_branch .LBB2077_153
.LBB2077_184:                           ;   in Loop: Header=BB2077_20 Depth=1
	s_waitcnt lgkmcnt(0)
	s_mov_b32 s5, 0
	s_barrier
.LBB2077_185:                           ;   in Loop: Header=BB2077_20 Depth=1
	s_and_b32 vcc_lo, exec_lo, s5
	s_cbranch_vccz .LBB2077_349
; %bb.186:                              ;   in Loop: Header=BB2077_20 Depth=1
	s_mov_b32 s5, s53
	s_mov_b32 s34, s33
	s_barrier
	buffer_gl0_inv
                                        ; implicit-def: $vgpr3
                                        ; implicit-def: $vgpr5
                                        ; implicit-def: $vgpr6
                                        ; implicit-def: $vgpr7
                                        ; implicit-def: $vgpr8
                                        ; implicit-def: $vgpr9
                                        ; implicit-def: $vgpr10
                                        ; implicit-def: $vgpr11
	s_branch .LBB2077_188
.LBB2077_187:                           ;   in Loop: Header=BB2077_188 Depth=2
	s_or_b32 exec_lo, exec_lo, s14
	s_addk_i32 s5, 0xf800
	s_cmp_ge_u32 s16, s52
	s_mov_b32 s34, s16
	s_cbranch_scc1 .LBB2077_224
.LBB2077_188:                           ;   Parent Loop BB2077_20 Depth=1
                                        ; =>  This Inner Loop Header: Depth=2
	s_add_i32 s16, s34, 0x800
	s_mov_b32 s14, -1
	s_cmp_gt_u32 s16, s52
                                        ; implicit-def: $vgpr12
                                        ; implicit-def: $vgpr13
                                        ; implicit-def: $vgpr14
                                        ; implicit-def: $vgpr15
                                        ; implicit-def: $vgpr16
                                        ; implicit-def: $vgpr17
                                        ; implicit-def: $vgpr18
                                        ; implicit-def: $vgpr19
	s_cbranch_scc1 .LBB2077_190
; %bb.189:                              ;   in Loop: Header=BB2077_188 Depth=2
	s_lshl_b64 s[14:15], s[34:35], 1
	v_add_co_u32 v15, vcc_lo, v49, s14
	v_add_co_ci_u32_e64 v16, null, s15, v50, vcc_lo
	s_mov_b32 s14, 0
	v_add_co_u32 v19, vcc_lo, 0x800, v15
	v_add_co_ci_u32_e64 v20, null, 0, v16, vcc_lo
	s_clause 0x7
	global_load_ushort v12, v[15:16], off
	global_load_ushort v13, v[15:16], off offset:512
	global_load_ushort v14, v[15:16], off offset:1024
	global_load_ushort v15, v[15:16], off offset:1536
	global_load_ushort v16, v[19:20], off
	global_load_ushort v17, v[19:20], off offset:512
	global_load_ushort v18, v[19:20], off offset:1024
	;; [unrolled: 1-line block ×3, first 2 shown]
.LBB2077_190:                           ;   in Loop: Header=BB2077_188 Depth=2
	s_andn2_b32 vcc_lo, exec_lo, s14
	s_movk_i32 s14, 0x800
	s_cbranch_vccnz .LBB2077_201
; %bb.191:                              ;   in Loop: Header=BB2077_188 Depth=2
	s_lshl_b64 s[14:15], s[34:35], 1
	s_mov_b32 s17, exec_lo
	s_add_u32 s14, s38, s14
	s_addc_u32 s15, s39, s15
	v_cmpx_gt_u32_e64 s5, v0
	s_cbranch_execnz .LBB2077_217
; %bb.192:                              ;   in Loop: Header=BB2077_188 Depth=2
	s_or_b32 exec_lo, exec_lo, s17
	s_mov_b32 s17, exec_lo
	v_cmpx_gt_u32_e64 s5, v30
	s_cbranch_execnz .LBB2077_218
.LBB2077_193:                           ;   in Loop: Header=BB2077_188 Depth=2
	s_or_b32 exec_lo, exec_lo, s17
	s_mov_b32 s17, exec_lo
	v_cmpx_gt_u32_e64 s5, v31
	s_cbranch_execnz .LBB2077_219
.LBB2077_194:                           ;   in Loop: Header=BB2077_188 Depth=2
	s_or_b32 exec_lo, exec_lo, s17
	s_mov_b32 s17, exec_lo
	v_cmpx_gt_u32_e64 s5, v32
	s_cbranch_execnz .LBB2077_220
.LBB2077_195:                           ;   in Loop: Header=BB2077_188 Depth=2
	s_or_b32 exec_lo, exec_lo, s17
	s_mov_b32 s17, exec_lo
	v_cmpx_gt_u32_e64 s5, v35
	s_cbranch_execnz .LBB2077_221
.LBB2077_196:                           ;   in Loop: Header=BB2077_188 Depth=2
	s_or_b32 exec_lo, exec_lo, s17
	s_mov_b32 s17, exec_lo
	v_cmpx_gt_u32_e64 s5, v36
	s_cbranch_execnz .LBB2077_222
.LBB2077_197:                           ;   in Loop: Header=BB2077_188 Depth=2
	s_or_b32 exec_lo, exec_lo, s17
	s_mov_b32 s17, exec_lo
	v_cmpx_gt_u32_e64 s5, v37
	s_cbranch_execnz .LBB2077_223
.LBB2077_198:                           ;   in Loop: Header=BB2077_188 Depth=2
	s_or_b32 exec_lo, exec_lo, s17
	s_mov_b32 s17, exec_lo
	v_cmpx_gt_u32_e64 s5, v38
	s_cbranch_execz .LBB2077_200
.LBB2077_199:                           ;   in Loop: Header=BB2077_188 Depth=2
	global_load_ushort v3, v87, s[14:15]
.LBB2077_200:                           ;   in Loop: Header=BB2077_188 Depth=2
	s_or_b32 exec_lo, exec_lo, s17
	s_waitcnt vmcnt(0)
	v_mov_b32_e32 v12, v11
	v_mov_b32_e32 v13, v10
	;; [unrolled: 1-line block ×8, first 2 shown]
	s_mov_b32 s14, s5
.LBB2077_201:                           ;   in Loop: Header=BB2077_188 Depth=2
	s_waitcnt vmcnt(0)
	v_mov_b32_e32 v3, v19
	v_mov_b32_e32 v5, v18
	;; [unrolled: 1-line block ×8, first 2 shown]
	s_mov_b32 s15, exec_lo
	v_cmpx_gt_u32_e64 s14, v0
	s_cbranch_execnz .LBB2077_209
; %bb.202:                              ;   in Loop: Header=BB2077_188 Depth=2
	s_or_b32 exec_lo, exec_lo, s15
	s_mov_b32 s15, exec_lo
	v_cmpx_gt_u32_e64 s14, v30
	s_cbranch_execnz .LBB2077_210
.LBB2077_203:                           ;   in Loop: Header=BB2077_188 Depth=2
	s_or_b32 exec_lo, exec_lo, s15
	s_mov_b32 s15, exec_lo
	v_cmpx_gt_u32_e64 s14, v31
	s_cbranch_execnz .LBB2077_211
.LBB2077_204:                           ;   in Loop: Header=BB2077_188 Depth=2
	s_or_b32 exec_lo, exec_lo, s15
	s_mov_b32 s15, exec_lo
	v_cmpx_gt_u32_e64 s14, v32
	s_cbranch_execnz .LBB2077_212
.LBB2077_205:                           ;   in Loop: Header=BB2077_188 Depth=2
	s_or_b32 exec_lo, exec_lo, s15
	s_mov_b32 s15, exec_lo
	v_cmpx_gt_u32_e64 s14, v35
	s_cbranch_execnz .LBB2077_213
.LBB2077_206:                           ;   in Loop: Header=BB2077_188 Depth=2
	s_or_b32 exec_lo, exec_lo, s15
	s_mov_b32 s15, exec_lo
	v_cmpx_gt_u32_e64 s14, v36
	s_cbranch_execnz .LBB2077_214
.LBB2077_207:                           ;   in Loop: Header=BB2077_188 Depth=2
	s_or_b32 exec_lo, exec_lo, s15
	s_mov_b32 s15, exec_lo
	v_cmpx_gt_u32_e64 s14, v37
	s_cbranch_execnz .LBB2077_215
.LBB2077_208:                           ;   in Loop: Header=BB2077_188 Depth=2
	s_or_b32 exec_lo, exec_lo, s15
	v_cmp_gt_u32_e32 vcc_lo, s14, v38
	s_and_saveexec_b32 s14, vcc_lo
	s_cbranch_execz .LBB2077_187
	s_branch .LBB2077_216
.LBB2077_209:                           ;   in Loop: Header=BB2077_188 Depth=2
	v_cmp_lt_i16_e32 vcc_lo, -1, v11
	v_cndmask_b32_e64 v12, -1, 0xffff8000, vcc_lo
	v_xor_b32_e32 v12, v12, v11
	v_cmp_ne_u16_e32 vcc_lo, 0x7fff, v12
	v_cndmask_b32_e32 v12, 0xffff8000, v12, vcc_lo
	v_lshrrev_b32_sdwa v12, s29, v12 dst_sel:DWORD dst_unused:UNUSED_PAD src0_sel:DWORD src1_sel:WORD_0
	v_and_b32_e32 v12, s42, v12
	v_lshl_or_b32 v12, v12, 4, v40
	ds_add_u32 v12, v62
	s_or_b32 exec_lo, exec_lo, s15
	s_mov_b32 s15, exec_lo
	v_cmpx_gt_u32_e64 s14, v30
	s_cbranch_execz .LBB2077_203
.LBB2077_210:                           ;   in Loop: Header=BB2077_188 Depth=2
	v_cmp_lt_i16_e32 vcc_lo, -1, v10
	v_cndmask_b32_e64 v12, -1, 0xffff8000, vcc_lo
	v_xor_b32_e32 v12, v12, v10
	v_cmp_ne_u16_e32 vcc_lo, 0x7fff, v12
	v_cndmask_b32_e32 v12, 0xffff8000, v12, vcc_lo
	v_lshrrev_b32_sdwa v12, s29, v12 dst_sel:DWORD dst_unused:UNUSED_PAD src0_sel:DWORD src1_sel:WORD_0
	v_and_b32_e32 v12, s42, v12
	v_lshl_or_b32 v12, v12, 4, v40
	ds_add_u32 v12, v62
	s_or_b32 exec_lo, exec_lo, s15
	s_mov_b32 s15, exec_lo
	v_cmpx_gt_u32_e64 s14, v31
	s_cbranch_execz .LBB2077_204
.LBB2077_211:                           ;   in Loop: Header=BB2077_188 Depth=2
	v_cmp_lt_i16_e32 vcc_lo, -1, v9
	v_cndmask_b32_e64 v12, -1, 0xffff8000, vcc_lo
	v_xor_b32_e32 v12, v12, v9
	v_cmp_ne_u16_e32 vcc_lo, 0x7fff, v12
	v_cndmask_b32_e32 v12, 0xffff8000, v12, vcc_lo
	v_lshrrev_b32_sdwa v12, s29, v12 dst_sel:DWORD dst_unused:UNUSED_PAD src0_sel:DWORD src1_sel:WORD_0
	v_and_b32_e32 v12, s42, v12
	v_lshl_or_b32 v12, v12, 4, v40
	ds_add_u32 v12, v62
	s_or_b32 exec_lo, exec_lo, s15
	s_mov_b32 s15, exec_lo
	v_cmpx_gt_u32_e64 s14, v32
	s_cbranch_execz .LBB2077_205
.LBB2077_212:                           ;   in Loop: Header=BB2077_188 Depth=2
	v_cmp_lt_i16_e32 vcc_lo, -1, v8
	v_cndmask_b32_e64 v12, -1, 0xffff8000, vcc_lo
	v_xor_b32_e32 v12, v12, v8
	v_cmp_ne_u16_e32 vcc_lo, 0x7fff, v12
	v_cndmask_b32_e32 v12, 0xffff8000, v12, vcc_lo
	v_lshrrev_b32_sdwa v12, s29, v12 dst_sel:DWORD dst_unused:UNUSED_PAD src0_sel:DWORD src1_sel:WORD_0
	v_and_b32_e32 v12, s42, v12
	v_lshl_or_b32 v12, v12, 4, v40
	ds_add_u32 v12, v62
	s_or_b32 exec_lo, exec_lo, s15
	s_mov_b32 s15, exec_lo
	v_cmpx_gt_u32_e64 s14, v35
	s_cbranch_execz .LBB2077_206
.LBB2077_213:                           ;   in Loop: Header=BB2077_188 Depth=2
	v_cmp_lt_i16_e32 vcc_lo, -1, v7
	v_cndmask_b32_e64 v12, -1, 0xffff8000, vcc_lo
	v_xor_b32_e32 v12, v12, v7
	v_cmp_ne_u16_e32 vcc_lo, 0x7fff, v12
	v_cndmask_b32_e32 v12, 0xffff8000, v12, vcc_lo
	v_lshrrev_b32_sdwa v12, s29, v12 dst_sel:DWORD dst_unused:UNUSED_PAD src0_sel:DWORD src1_sel:WORD_0
	v_and_b32_e32 v12, s42, v12
	v_lshl_or_b32 v12, v12, 4, v40
	ds_add_u32 v12, v62
	s_or_b32 exec_lo, exec_lo, s15
	s_mov_b32 s15, exec_lo
	v_cmpx_gt_u32_e64 s14, v36
	s_cbranch_execz .LBB2077_207
.LBB2077_214:                           ;   in Loop: Header=BB2077_188 Depth=2
	v_cmp_lt_i16_e32 vcc_lo, -1, v6
	v_cndmask_b32_e64 v12, -1, 0xffff8000, vcc_lo
	v_xor_b32_e32 v12, v12, v6
	v_cmp_ne_u16_e32 vcc_lo, 0x7fff, v12
	v_cndmask_b32_e32 v12, 0xffff8000, v12, vcc_lo
	v_lshrrev_b32_sdwa v12, s29, v12 dst_sel:DWORD dst_unused:UNUSED_PAD src0_sel:DWORD src1_sel:WORD_0
	v_and_b32_e32 v12, s42, v12
	v_lshl_or_b32 v12, v12, 4, v40
	ds_add_u32 v12, v62
	s_or_b32 exec_lo, exec_lo, s15
	s_mov_b32 s15, exec_lo
	v_cmpx_gt_u32_e64 s14, v37
	s_cbranch_execz .LBB2077_208
.LBB2077_215:                           ;   in Loop: Header=BB2077_188 Depth=2
	v_cmp_lt_i16_e32 vcc_lo, -1, v5
	v_cndmask_b32_e64 v12, -1, 0xffff8000, vcc_lo
	v_xor_b32_e32 v12, v12, v5
	v_cmp_ne_u16_e32 vcc_lo, 0x7fff, v12
	v_cndmask_b32_e32 v12, 0xffff8000, v12, vcc_lo
	v_lshrrev_b32_sdwa v12, s29, v12 dst_sel:DWORD dst_unused:UNUSED_PAD src0_sel:DWORD src1_sel:WORD_0
	v_and_b32_e32 v12, s42, v12
	v_lshl_or_b32 v12, v12, 4, v40
	ds_add_u32 v12, v62
	s_or_b32 exec_lo, exec_lo, s15
	v_cmp_gt_u32_e32 vcc_lo, s14, v38
	s_and_saveexec_b32 s14, vcc_lo
	s_cbranch_execz .LBB2077_187
.LBB2077_216:                           ;   in Loop: Header=BB2077_188 Depth=2
	v_cmp_lt_i16_e32 vcc_lo, -1, v3
	v_cndmask_b32_e64 v12, -1, 0xffff8000, vcc_lo
	v_xor_b32_e32 v12, v12, v3
	v_cmp_ne_u16_e32 vcc_lo, 0x7fff, v12
	v_cndmask_b32_e32 v12, 0xffff8000, v12, vcc_lo
	v_lshrrev_b32_sdwa v12, s29, v12 dst_sel:DWORD dst_unused:UNUSED_PAD src0_sel:DWORD src1_sel:WORD_0
	v_and_b32_e32 v12, s42, v12
	v_lshl_or_b32 v12, v12, 4, v40
	ds_add_u32 v12, v62
	s_branch .LBB2077_187
.LBB2077_217:                           ;   in Loop: Header=BB2077_188 Depth=2
	global_load_ushort v11, v79, s[14:15]
	s_or_b32 exec_lo, exec_lo, s17
	s_mov_b32 s17, exec_lo
	v_cmpx_gt_u32_e64 s5, v30
	s_cbranch_execz .LBB2077_193
.LBB2077_218:                           ;   in Loop: Header=BB2077_188 Depth=2
	global_load_ushort v10, v79, s[14:15] offset:512
	s_or_b32 exec_lo, exec_lo, s17
	s_mov_b32 s17, exec_lo
	v_cmpx_gt_u32_e64 s5, v31
	s_cbranch_execz .LBB2077_194
.LBB2077_219:                           ;   in Loop: Header=BB2077_188 Depth=2
	global_load_ushort v9, v79, s[14:15] offset:1024
	s_or_b32 exec_lo, exec_lo, s17
	s_mov_b32 s17, exec_lo
	v_cmpx_gt_u32_e64 s5, v32
	s_cbranch_execz .LBB2077_195
.LBB2077_220:                           ;   in Loop: Header=BB2077_188 Depth=2
	global_load_ushort v8, v79, s[14:15] offset:1536
	s_or_b32 exec_lo, exec_lo, s17
	s_mov_b32 s17, exec_lo
	v_cmpx_gt_u32_e64 s5, v35
	s_cbranch_execz .LBB2077_196
.LBB2077_221:                           ;   in Loop: Header=BB2077_188 Depth=2
	global_load_ushort v7, v80, s[14:15]
	s_or_b32 exec_lo, exec_lo, s17
	s_mov_b32 s17, exec_lo
	v_cmpx_gt_u32_e64 s5, v36
	s_cbranch_execz .LBB2077_197
.LBB2077_222:                           ;   in Loop: Header=BB2077_188 Depth=2
	global_load_ushort v6, v81, s[14:15]
	s_or_b32 exec_lo, exec_lo, s17
	s_mov_b32 s17, exec_lo
	v_cmpx_gt_u32_e64 s5, v37
	s_cbranch_execz .LBB2077_198
.LBB2077_223:                           ;   in Loop: Header=BB2077_188 Depth=2
	global_load_ushort v5, v82, s[14:15]
	s_or_b32 exec_lo, exec_lo, s17
	s_mov_b32 s17, exec_lo
	v_cmpx_gt_u32_e64 s5, v38
	s_cbranch_execnz .LBB2077_199
	s_branch .LBB2077_200
.LBB2077_224:                           ;   in Loop: Header=BB2077_20 Depth=1
	v_mov_b32_e32 v3, 0
	s_waitcnt lgkmcnt(0)
	s_barrier
	buffer_gl0_inv
	s_and_saveexec_b32 s5, s8
	s_cbranch_execz .LBB2077_226
; %bb.225:                              ;   in Loop: Header=BB2077_20 Depth=1
	ds_read2_b64 v[5:8], v41 offset1:1
	s_waitcnt lgkmcnt(0)
	v_add_nc_u32_e32 v3, v6, v5
	v_add3_u32 v3, v3, v7, v8
.LBB2077_226:                           ;   in Loop: Header=BB2077_20 Depth=1
	s_or_b32 exec_lo, exec_lo, s5
	v_mov_b32_dpp v5, v3 row_shr:1 row_mask:0xf bank_mask:0xf
	v_cmp_eq_u32_e64 s5, 0, v63
	v_cmp_lt_u32_e64 s14, 1, v63
	v_cmp_lt_u32_e64 s15, 3, v63
	;; [unrolled: 1-line block ×3, first 2 shown]
	v_cmp_eq_u32_e64 s17, 0, v65
	v_cndmask_b32_e64 v5, v5, 0, s5
	v_add_nc_u32_e32 v3, v5, v3
	v_mov_b32_dpp v5, v3 row_shr:2 row_mask:0xf bank_mask:0xf
	v_cndmask_b32_e64 v5, 0, v5, s14
	v_add_nc_u32_e32 v3, v3, v5
	v_mov_b32_dpp v5, v3 row_shr:4 row_mask:0xf bank_mask:0xf
	;; [unrolled: 3-line block ×3, first 2 shown]
	v_cndmask_b32_e64 v5, 0, v5, s16
	v_add_nc_u32_e32 v3, v3, v5
	ds_swizzle_b32 v5, v3 offset:swizzle(BROADCAST,32,15)
	s_waitcnt lgkmcnt(0)
	v_and_b32_e32 v5, v64, v5
	v_add_nc_u32_e32 v3, v3, v5
	s_and_saveexec_b32 s18, s9
; %bb.227:                              ;   in Loop: Header=BB2077_20 Depth=1
	ds_write_b32 v42, v3
; %bb.228:                              ;   in Loop: Header=BB2077_20 Depth=1
	s_or_b32 exec_lo, exec_lo, s18
	s_waitcnt lgkmcnt(0)
	s_barrier
	buffer_gl0_inv
	s_and_saveexec_b32 s18, s10
	s_cbranch_execz .LBB2077_230
; %bb.229:                              ;   in Loop: Header=BB2077_20 Depth=1
	ds_read_b32 v5, v43
	v_cmp_ne_u32_e32 vcc_lo, 0, v67
	s_waitcnt lgkmcnt(0)
	v_mov_b32_dpp v6, v5 row_shr:1 row_mask:0xf bank_mask:0xf
	v_cndmask_b32_e32 v6, 0, v6, vcc_lo
	v_cmp_lt_u32_e32 vcc_lo, 1, v67
	v_add_nc_u32_e32 v5, v6, v5
	v_mov_b32_dpp v6, v5 row_shr:2 row_mask:0xf bank_mask:0xf
	v_cndmask_b32_e32 v6, 0, v6, vcc_lo
	v_cmp_lt_u32_e32 vcc_lo, 3, v67
	v_add_nc_u32_e32 v5, v5, v6
	v_mov_b32_dpp v6, v5 row_shr:4 row_mask:0xf bank_mask:0xf
	v_cndmask_b32_e32 v6, 0, v6, vcc_lo
	v_add_nc_u32_e32 v5, v5, v6
	ds_write_b32 v43, v5
.LBB2077_230:                           ;   in Loop: Header=BB2077_20 Depth=1
	s_or_b32 exec_lo, exec_lo, s18
	v_mov_b32_e32 v5, 0
	s_waitcnt lgkmcnt(0)
	s_barrier
	buffer_gl0_inv
	s_and_saveexec_b32 s18, s11
; %bb.231:                              ;   in Loop: Header=BB2077_20 Depth=1
	ds_read_b32 v5, v45
; %bb.232:                              ;   in Loop: Header=BB2077_20 Depth=1
	s_or_b32 exec_lo, exec_lo, s18
	v_cmp_gt_i32_e32 vcc_lo, 0, v68
	s_waitcnt lgkmcnt(0)
	v_add_nc_u32_e32 v3, v5, v3
	s_barrier
	buffer_gl0_inv
	v_cndmask_b32_e32 v6, v68, v59, vcc_lo
	v_lshlrev_b32_e32 v91, 2, v6
	ds_bpermute_b32 v3, v91, v3
	s_and_saveexec_b32 s18, s8
	s_cbranch_execz .LBB2077_234
; %bb.233:                              ;   in Loop: Header=BB2077_20 Depth=1
	s_waitcnt lgkmcnt(0)
	v_cndmask_b32_e64 v3, v3, v5, s13
	v_add_nc_u32_e32 v3, s33, v3
	ds_write_b32 v29, v3
.LBB2077_234:                           ;   in Loop: Header=BB2077_20 Depth=1
	s_or_b32 exec_lo, exec_lo, s18
	s_load_dwordx2 s[18:19], s[30:31], 0x0
	v_add_co_u32 v92, vcc_lo, v51, v69
	v_add_co_ci_u32_e64 v93, null, 0, v52, vcc_lo
	v_add_co_u32 v94, vcc_lo, v53, v77
	v_add_co_ci_u32_e64 v95, null, 0, v54, vcc_lo
	s_mov_b32 s43, s53
	s_mov_b32 s34, s33
                                        ; implicit-def: $vgpr7_vgpr8
                                        ; implicit-def: $vgpr9_vgpr10
                                        ; implicit-def: $vgpr11_vgpr12
                                        ; implicit-def: $vgpr13_vgpr14
                                        ; implicit-def: $vgpr15_vgpr16
                                        ; implicit-def: $vgpr17_vgpr18
                                        ; implicit-def: $vgpr19_vgpr20
                                        ; implicit-def: $vgpr97
                                        ; implicit-def: $vgpr98
                                        ; implicit-def: $vgpr99
                                        ; implicit-def: $vgpr100
                                        ; implicit-def: $vgpr101
                                        ; implicit-def: $vgpr102
                                        ; implicit-def: $vgpr103
                                        ; implicit-def: $vgpr104
	s_waitcnt lgkmcnt(0)
	s_cmp_lt_u32 s7, s19
	s_cselect_b32 s19, 14, 20
	s_add_u32 s20, s30, s19
	s_addc_u32 s21, s31, 0
	s_cmp_lt_u32 s6, s18
	global_load_ushort v3, v4, s[20:21]
	s_cselect_b32 s18, 12, 18
	s_add_u32 s18, s30, s18
	s_addc_u32 s19, s31, 0
	global_load_ushort v5, v4, s[18:19]
	v_cmp_eq_u32_e64 s18, 0, v67
	v_cmp_lt_u32_e64 s19, 1, v67
	v_cmp_lt_u32_e64 s20, 3, v67
	s_waitcnt vmcnt(1)
	v_mad_u32_u24 v3, v2, v3, v1
	s_waitcnt vmcnt(0)
	v_mad_u64_u32 v[5:6], null, v3, v5, v[0:1]
	v_lshrrev_b32_e32 v3, 3, v5
                                        ; implicit-def: $vgpr5_vgpr6
	v_and_b32_e32 v96, 0x1ffffffc, v3
	s_branch .LBB2077_236
.LBB2077_235:                           ;   in Loop: Header=BB2077_236 Depth=2
	s_or_b32 exec_lo, exec_lo, s21
	s_addk_i32 s43, 0xf800
	s_cmp_lt_u32 s48, s52
	s_mov_b32 s34, s48
	s_cbranch_scc0 .LBB2077_348
.LBB2077_236:                           ;   Parent Loop BB2077_20 Depth=1
                                        ; =>  This Inner Loop Header: Depth=2
	s_add_i32 s48, s34, 0x800
	s_cmp_gt_u32 s48, s52
	s_cbranch_scc1 .LBB2077_238
; %bb.237:                              ;   in Loop: Header=BB2077_236 Depth=2
	s_lshl_b64 s[22:23], s[34:35], 1
	s_mov_b32 s21, -1
	v_add_co_u32 v21, vcc_lo, v94, s22
	v_add_co_ci_u32_e64 v22, null, s23, v95, vcc_lo
	s_clause 0x6
	global_load_ushort v3, v[21:22], off
	global_load_ushort v28, v[21:22], off offset:64
	global_load_ushort v27, v[21:22], off offset:128
	;; [unrolled: 1-line block ×6, first 2 shown]
	s_movk_i32 s22, 0x800
	s_cbranch_execz .LBB2077_239
	s_branch .LBB2077_254
.LBB2077_238:                           ;   in Loop: Header=BB2077_236 Depth=2
	s_mov_b32 s21, 0
                                        ; implicit-def: $vgpr3
                                        ; implicit-def: $vgpr28
                                        ; implicit-def: $vgpr27
                                        ; implicit-def: $vgpr26
                                        ; implicit-def: $vgpr25
                                        ; implicit-def: $vgpr24
                                        ; implicit-def: $vgpr23
	s_movk_i32 s22, 0x800
.LBB2077_239:                           ;   in Loop: Header=BB2077_236 Depth=2
	s_lshl_b64 s[22:23], s[34:35], 1
	s_waitcnt vmcnt(5)
	v_mov_b32_e32 v28, 0x7fff
	v_add_co_u32 v21, vcc_lo, v94, s22
	v_add_co_ci_u32_e64 v22, null, s23, v95, vcc_lo
	v_mov_b32_e32 v3, 0x7fff
	s_mov_b32 s21, exec_lo
	v_cmpx_gt_u32_e64 s43, v66
	s_cbranch_execz .LBB2077_241
; %bb.240:                              ;   in Loop: Header=BB2077_236 Depth=2
	global_load_ushort v3, v[21:22], off
.LBB2077_241:                           ;   in Loop: Header=BB2077_236 Depth=2
	s_or_b32 exec_lo, exec_lo, s21
	s_mov_b32 s21, exec_lo
	v_cmpx_gt_u32_e64 s43, v70
	s_cbranch_execz .LBB2077_243
; %bb.242:                              ;   in Loop: Header=BB2077_236 Depth=2
	global_load_ushort v28, v[21:22], off offset:64
.LBB2077_243:                           ;   in Loop: Header=BB2077_236 Depth=2
	s_or_b32 exec_lo, exec_lo, s21
	s_waitcnt vmcnt(3)
	v_mov_b32_e32 v26, 0x7fff
	v_mov_b32_e32 v27, 0x7fff
	s_mov_b32 s21, exec_lo
	v_cmpx_gt_u32_e64 s43, v71
	s_cbranch_execz .LBB2077_245
; %bb.244:                              ;   in Loop: Header=BB2077_236 Depth=2
	global_load_ushort v27, v[21:22], off offset:128
.LBB2077_245:                           ;   in Loop: Header=BB2077_236 Depth=2
	s_or_b32 exec_lo, exec_lo, s21
	s_mov_b32 s21, exec_lo
	v_cmpx_gt_u32_e64 s43, v72
	s_cbranch_execz .LBB2077_247
; %bb.246:                              ;   in Loop: Header=BB2077_236 Depth=2
	global_load_ushort v26, v[21:22], off offset:192
.LBB2077_247:                           ;   in Loop: Header=BB2077_236 Depth=2
	s_or_b32 exec_lo, exec_lo, s21
	s_waitcnt vmcnt(1)
	v_mov_b32_e32 v24, 0x7fff
	v_mov_b32_e32 v25, 0x7fff
	s_mov_b32 s21, exec_lo
	v_cmpx_gt_u32_e64 s43, v73
	s_cbranch_execz .LBB2077_249
; %bb.248:                              ;   in Loop: Header=BB2077_236 Depth=2
	global_load_ushort v25, v[21:22], off offset:256
.LBB2077_249:                           ;   in Loop: Header=BB2077_236 Depth=2
	s_or_b32 exec_lo, exec_lo, s21
	s_mov_b32 s21, exec_lo
	v_cmpx_gt_u32_e64 s43, v74
	s_cbranch_execz .LBB2077_251
; %bb.250:                              ;   in Loop: Header=BB2077_236 Depth=2
	global_load_ushort v24, v[21:22], off offset:320
.LBB2077_251:                           ;   in Loop: Header=BB2077_236 Depth=2
	s_or_b32 exec_lo, exec_lo, s21
	s_waitcnt vmcnt(0)
	v_mov_b32_e32 v23, 0x7fff
	s_mov_b32 s21, exec_lo
	v_cmpx_gt_u32_e64 s43, v75
	s_cbranch_execz .LBB2077_253
; %bb.252:                              ;   in Loop: Header=BB2077_236 Depth=2
	global_load_ushort v23, v[21:22], off offset:384
.LBB2077_253:                           ;   in Loop: Header=BB2077_236 Depth=2
	s_or_b32 exec_lo, exec_lo, s21
	v_cmp_gt_u32_e64 s21, s43, v76
	s_sub_i32 s22, s52, s34
.LBB2077_254:                           ;   in Loop: Header=BB2077_236 Depth=2
	v_mov_b32_e32 v21, 0x7fff
	v_mov_b32_e32 v105, s43
	s_and_saveexec_b32 s23, s21
	s_cbranch_execz .LBB2077_256
; %bb.255:                              ;   in Loop: Header=BB2077_236 Depth=2
	s_lshl_b64 s[24:25], s[34:35], 1
	v_mov_b32_e32 v105, s22
	v_add_co_u32 v21, vcc_lo, v94, s24
	v_add_co_ci_u32_e64 v22, null, s25, v95, vcc_lo
	global_load_ushort v21, v[21:22], off offset:448
.LBB2077_256:                           ;   in Loop: Header=BB2077_236 Depth=2
	s_or_b32 exec_lo, exec_lo, s23
	s_waitcnt vmcnt(6)
	v_cmp_lt_i16_e32 vcc_lo, -1, v3
	ds_write2_b32 v78, v4, v4 offset1:1
	ds_write2_b32 v88, v4, v4 offset1:1
	;; [unrolled: 1-line block ×4, first 2 shown]
	ds_write_b32 v44, v4 offset:1088
	s_waitcnt vmcnt(0) lgkmcnt(0)
	s_barrier
	v_cndmask_b32_e64 v22, -1, 0xffff8000, vcc_lo
	buffer_gl0_inv
	; wave barrier
	v_xor_b32_e32 v3, v22, v3
	v_cmp_ne_u16_e32 vcc_lo, 0x7fff, v3
	v_cndmask_b32_e32 v22, 0xffff8000, v3, vcc_lo
	v_lshrrev_b32_sdwa v22, s29, v22 dst_sel:DWORD dst_unused:UNUSED_PAD src0_sel:DWORD src1_sel:WORD_0
	v_and_b32_e32 v107, s42, v22
	v_and_b32_e32 v22, 1, v107
	v_lshlrev_b32_e32 v106, 30, v107
	v_lshlrev_b32_e32 v108, 29, v107
	;; [unrolled: 1-line block ×4, first 2 shown]
	v_add_co_u32 v22, s21, v22, -1
	v_cndmask_b32_e64 v110, 0, 1, s21
	v_not_b32_e32 v114, v106
	v_cmp_gt_i32_e64 s21, 0, v106
	v_not_b32_e32 v106, v108
	v_lshlrev_b32_e32 v112, 26, v107
	v_cmp_ne_u32_e32 vcc_lo, 0, v110
	v_ashrrev_i32_e32 v114, 31, v114
	v_lshlrev_b32_e32 v113, 25, v107
	v_ashrrev_i32_e32 v106, 31, v106
	v_lshlrev_b32_e32 v110, 24, v107
	v_xor_b32_e32 v22, vcc_lo, v22
	v_cmp_gt_i32_e32 vcc_lo, 0, v108
	v_not_b32_e32 v108, v109
	v_xor_b32_e32 v114, s21, v114
	v_cmp_gt_i32_e64 s21, 0, v109
	v_and_b32_e32 v22, exec_lo, v22
	v_not_b32_e32 v109, v111
	v_ashrrev_i32_e32 v108, 31, v108
	v_xor_b32_e32 v106, vcc_lo, v106
	v_cmp_gt_i32_e32 vcc_lo, 0, v111
	v_and_b32_e32 v22, v22, v114
	v_not_b32_e32 v111, v112
	v_ashrrev_i32_e32 v109, 31, v109
	v_xor_b32_e32 v108, s21, v108
	v_cmp_gt_i32_e64 s21, 0, v112
	v_and_b32_e32 v22, v22, v106
	v_not_b32_e32 v106, v113
	v_ashrrev_i32_e32 v111, 31, v111
	v_xor_b32_e32 v109, vcc_lo, v109
	v_cmp_gt_i32_e32 vcc_lo, 0, v113
	v_and_b32_e32 v22, v22, v108
	v_not_b32_e32 v108, v110
	v_ashrrev_i32_e32 v106, 31, v106
	v_xor_b32_e32 v111, s21, v111
	v_cmp_gt_i32_e64 s21, 0, v110
	v_and_b32_e32 v22, v22, v109
	v_ashrrev_i32_e32 v108, 31, v108
	v_xor_b32_e32 v106, vcc_lo, v106
	v_mul_u32_u24_e32 v107, 36, v107
	v_and_b32_e32 v22, v22, v111
	v_xor_b32_e32 v108, s21, v108
	v_and_b32_e32 v22, v22, v106
	v_and_b32_e32 v22, v22, v108
	v_add_nc_u32_e32 v108, v96, v107
	v_mbcnt_lo_u32_b32 v106, v22, 0
	v_cmp_ne_u32_e64 s21, 0, v22
	v_cmp_eq_u32_e32 vcc_lo, 0, v106
	s_and_b32 s22, s21, vcc_lo
	s_and_saveexec_b32 s21, s22
; %bb.257:                              ;   in Loop: Header=BB2077_236 Depth=2
	v_bcnt_u32_b32 v22, v22, 0
	ds_write_b32 v108, v22 offset:1056
; %bb.258:                              ;   in Loop: Header=BB2077_236 Depth=2
	s_or_b32 exec_lo, exec_lo, s21
	v_cmp_lt_i16_e32 vcc_lo, -1, v28
	; wave barrier
	v_cndmask_b32_e64 v22, -1, 0xffff8000, vcc_lo
	v_xor_b32_e32 v107, v22, v28
	v_cmp_ne_u16_e32 vcc_lo, 0x7fff, v107
	v_cndmask_b32_e32 v22, 0xffff8000, v107, vcc_lo
	v_lshrrev_b32_sdwa v22, s29, v22 dst_sel:DWORD dst_unused:UNUSED_PAD src0_sel:DWORD src1_sel:WORD_0
	v_and_b32_e32 v28, s42, v22
	v_and_b32_e32 v22, 1, v28
	v_lshlrev_b32_e32 v109, 30, v28
	v_lshlrev_b32_e32 v110, 29, v28
	;; [unrolled: 1-line block ×4, first 2 shown]
	v_add_co_u32 v22, s21, v22, -1
	v_cndmask_b32_e64 v112, 0, 1, s21
	v_not_b32_e32 v116, v109
	v_cmp_gt_i32_e64 s21, 0, v109
	v_not_b32_e32 v109, v110
	v_lshlrev_b32_e32 v114, 26, v28
	v_cmp_ne_u32_e32 vcc_lo, 0, v112
	v_ashrrev_i32_e32 v116, 31, v116
	v_lshlrev_b32_e32 v115, 25, v28
	v_ashrrev_i32_e32 v109, 31, v109
	v_lshlrev_b32_e32 v112, 24, v28
	v_xor_b32_e32 v22, vcc_lo, v22
	v_cmp_gt_i32_e32 vcc_lo, 0, v110
	v_not_b32_e32 v110, v111
	v_xor_b32_e32 v116, s21, v116
	v_cmp_gt_i32_e64 s21, 0, v111
	v_and_b32_e32 v22, exec_lo, v22
	v_not_b32_e32 v111, v113
	v_ashrrev_i32_e32 v110, 31, v110
	v_xor_b32_e32 v109, vcc_lo, v109
	v_cmp_gt_i32_e32 vcc_lo, 0, v113
	v_and_b32_e32 v22, v22, v116
	v_not_b32_e32 v113, v114
	v_ashrrev_i32_e32 v111, 31, v111
	v_xor_b32_e32 v110, s21, v110
	v_cmp_gt_i32_e64 s21, 0, v114
	v_and_b32_e32 v22, v22, v109
	v_not_b32_e32 v109, v115
	v_ashrrev_i32_e32 v113, 31, v113
	v_xor_b32_e32 v111, vcc_lo, v111
	v_cmp_gt_i32_e32 vcc_lo, 0, v115
	v_and_b32_e32 v22, v22, v110
	v_not_b32_e32 v110, v112
	v_ashrrev_i32_e32 v109, 31, v109
	v_xor_b32_e32 v113, s21, v113
	v_cmp_gt_i32_e64 s21, 0, v112
	v_and_b32_e32 v22, v22, v111
	v_ashrrev_i32_e32 v110, 31, v110
	v_xor_b32_e32 v109, vcc_lo, v109
	v_mad_u32_u24 v111, v28, 36, v96
	v_mul_u32_u24_e32 v28, 36, v28
	v_and_b32_e32 v22, v22, v113
	v_xor_b32_e32 v110, s21, v110
	v_add_nc_u32_e32 v112, v96, v28
	v_and_b32_e32 v22, v22, v109
	ds_read_b32 v109, v111 offset:1056
	; wave barrier
	v_and_b32_e32 v22, v22, v110
	v_mbcnt_lo_u32_b32 v110, v22, 0
	v_cmp_ne_u32_e64 s21, 0, v22
	v_cmp_eq_u32_e32 vcc_lo, 0, v110
	s_and_b32 s22, s21, vcc_lo
	s_and_saveexec_b32 s21, s22
	s_cbranch_execz .LBB2077_260
; %bb.259:                              ;   in Loop: Header=BB2077_236 Depth=2
	s_waitcnt lgkmcnt(0)
	v_bcnt_u32_b32 v22, v22, v109
	ds_write_b32 v112, v22 offset:1056
.LBB2077_260:                           ;   in Loop: Header=BB2077_236 Depth=2
	s_or_b32 exec_lo, exec_lo, s21
	v_cmp_lt_i16_e32 vcc_lo, -1, v27
	; wave barrier
	v_cndmask_b32_e64 v22, -1, 0xffff8000, vcc_lo
	v_xor_b32_e32 v111, v22, v27
	v_cmp_ne_u16_e32 vcc_lo, 0x7fff, v111
	v_cndmask_b32_e32 v22, 0xffff8000, v111, vcc_lo
	v_lshrrev_b32_sdwa v22, s29, v22 dst_sel:DWORD dst_unused:UNUSED_PAD src0_sel:DWORD src1_sel:WORD_0
	v_and_b32_e32 v27, s42, v22
	v_and_b32_e32 v22, 1, v27
	v_lshlrev_b32_e32 v28, 30, v27
	v_lshlrev_b32_e32 v113, 29, v27
	;; [unrolled: 1-line block ×4, first 2 shown]
	v_add_co_u32 v22, s21, v22, -1
	v_cndmask_b32_e64 v115, 0, 1, s21
	v_not_b32_e32 v119, v28
	v_cmp_gt_i32_e64 s21, 0, v28
	v_not_b32_e32 v28, v113
	v_lshlrev_b32_e32 v117, 26, v27
	v_cmp_ne_u32_e32 vcc_lo, 0, v115
	v_ashrrev_i32_e32 v119, 31, v119
	v_lshlrev_b32_e32 v118, 25, v27
	v_ashrrev_i32_e32 v28, 31, v28
	v_lshlrev_b32_e32 v115, 24, v27
	v_xor_b32_e32 v22, vcc_lo, v22
	v_cmp_gt_i32_e32 vcc_lo, 0, v113
	v_not_b32_e32 v113, v114
	v_xor_b32_e32 v119, s21, v119
	v_cmp_gt_i32_e64 s21, 0, v114
	v_and_b32_e32 v22, exec_lo, v22
	v_not_b32_e32 v114, v116
	v_ashrrev_i32_e32 v113, 31, v113
	v_xor_b32_e32 v28, vcc_lo, v28
	v_cmp_gt_i32_e32 vcc_lo, 0, v116
	v_and_b32_e32 v22, v22, v119
	v_not_b32_e32 v116, v117
	v_ashrrev_i32_e32 v114, 31, v114
	v_xor_b32_e32 v113, s21, v113
	v_cmp_gt_i32_e64 s21, 0, v117
	v_and_b32_e32 v22, v22, v28
	v_not_b32_e32 v28, v118
	v_ashrrev_i32_e32 v116, 31, v116
	v_xor_b32_e32 v114, vcc_lo, v114
	v_cmp_gt_i32_e32 vcc_lo, 0, v118
	v_and_b32_e32 v22, v22, v113
	v_not_b32_e32 v113, v115
	v_ashrrev_i32_e32 v28, 31, v28
	v_xor_b32_e32 v116, s21, v116
	v_cmp_gt_i32_e64 s21, 0, v115
	v_and_b32_e32 v22, v22, v114
	v_ashrrev_i32_e32 v113, 31, v113
	v_xor_b32_e32 v28, vcc_lo, v28
	v_mad_u32_u24 v114, v27, 36, v96
	v_mul_u32_u24_e32 v27, 36, v27
	v_and_b32_e32 v22, v22, v116
	v_xor_b32_e32 v115, s21, v113
	ds_read_b32 v113, v114 offset:1056
	v_add_nc_u32_e32 v116, v96, v27
	v_and_b32_e32 v22, v22, v28
	; wave barrier
	v_and_b32_e32 v22, v22, v115
	v_mbcnt_lo_u32_b32 v115, v22, 0
	v_cmp_ne_u32_e64 s21, 0, v22
	v_cmp_eq_u32_e32 vcc_lo, 0, v115
	s_and_b32 s22, s21, vcc_lo
	s_and_saveexec_b32 s21, s22
	s_cbranch_execz .LBB2077_262
; %bb.261:                              ;   in Loop: Header=BB2077_236 Depth=2
	s_waitcnt lgkmcnt(0)
	v_bcnt_u32_b32 v22, v22, v113
	ds_write_b32 v116, v22 offset:1056
.LBB2077_262:                           ;   in Loop: Header=BB2077_236 Depth=2
	s_or_b32 exec_lo, exec_lo, s21
	v_cmp_lt_i16_e32 vcc_lo, -1, v26
	; wave barrier
	v_cndmask_b32_e64 v22, -1, 0xffff8000, vcc_lo
	v_xor_b32_e32 v114, v22, v26
	v_cmp_ne_u16_e32 vcc_lo, 0x7fff, v114
	v_cndmask_b32_e32 v22, 0xffff8000, v114, vcc_lo
	v_lshrrev_b32_sdwa v22, s29, v22 dst_sel:DWORD dst_unused:UNUSED_PAD src0_sel:DWORD src1_sel:WORD_0
	v_and_b32_e32 v26, s42, v22
	v_and_b32_e32 v22, 1, v26
	v_lshlrev_b32_e32 v27, 30, v26
	v_lshlrev_b32_e32 v28, 29, v26
	;; [unrolled: 1-line block ×4, first 2 shown]
	v_add_co_u32 v22, s21, v22, -1
	v_cndmask_b32_e64 v118, 0, 1, s21
	v_not_b32_e32 v122, v27
	v_cmp_gt_i32_e64 s21, 0, v27
	v_not_b32_e32 v27, v28
	v_lshlrev_b32_e32 v120, 26, v26
	v_cmp_ne_u32_e32 vcc_lo, 0, v118
	v_ashrrev_i32_e32 v122, 31, v122
	v_lshlrev_b32_e32 v121, 25, v26
	v_ashrrev_i32_e32 v27, 31, v27
	v_lshlrev_b32_e32 v118, 24, v26
	v_xor_b32_e32 v22, vcc_lo, v22
	v_cmp_gt_i32_e32 vcc_lo, 0, v28
	v_not_b32_e32 v28, v117
	v_xor_b32_e32 v122, s21, v122
	v_cmp_gt_i32_e64 s21, 0, v117
	v_and_b32_e32 v22, exec_lo, v22
	v_not_b32_e32 v117, v119
	v_ashrrev_i32_e32 v28, 31, v28
	v_xor_b32_e32 v27, vcc_lo, v27
	v_cmp_gt_i32_e32 vcc_lo, 0, v119
	v_and_b32_e32 v22, v22, v122
	v_not_b32_e32 v119, v120
	v_ashrrev_i32_e32 v117, 31, v117
	v_xor_b32_e32 v28, s21, v28
	v_cmp_gt_i32_e64 s21, 0, v120
	v_and_b32_e32 v22, v22, v27
	v_not_b32_e32 v27, v121
	v_ashrrev_i32_e32 v119, 31, v119
	v_xor_b32_e32 v117, vcc_lo, v117
	v_cmp_gt_i32_e32 vcc_lo, 0, v121
	v_and_b32_e32 v22, v22, v28
	v_not_b32_e32 v28, v118
	v_ashrrev_i32_e32 v27, 31, v27
	v_xor_b32_e32 v119, s21, v119
	v_cmp_gt_i32_e64 s21, 0, v118
	v_and_b32_e32 v22, v22, v117
	v_ashrrev_i32_e32 v28, 31, v28
	v_xor_b32_e32 v27, vcc_lo, v27
	v_mad_u32_u24 v117, v26, 36, v96
	v_mul_u32_u24_e32 v26, 36, v26
	v_and_b32_e32 v22, v22, v119
	v_xor_b32_e32 v28, s21, v28
	ds_read_b32 v117, v117 offset:1056
	v_add_nc_u32_e32 v120, v96, v26
	v_and_b32_e32 v22, v22, v27
	; wave barrier
	v_and_b32_e32 v22, v22, v28
	v_mbcnt_lo_u32_b32 v119, v22, 0
	v_cmp_ne_u32_e64 s21, 0, v22
	v_cmp_eq_u32_e32 vcc_lo, 0, v119
	s_and_b32 s22, s21, vcc_lo
	s_and_saveexec_b32 s21, s22
	s_cbranch_execz .LBB2077_264
; %bb.263:                              ;   in Loop: Header=BB2077_236 Depth=2
	s_waitcnt lgkmcnt(0)
	v_bcnt_u32_b32 v22, v22, v117
	ds_write_b32 v120, v22 offset:1056
.LBB2077_264:                           ;   in Loop: Header=BB2077_236 Depth=2
	s_or_b32 exec_lo, exec_lo, s21
	v_cmp_lt_i16_e32 vcc_lo, -1, v25
	; wave barrier
	v_cndmask_b32_e64 v22, -1, 0xffff8000, vcc_lo
	v_xor_b32_e32 v118, v22, v25
	v_cmp_ne_u16_e32 vcc_lo, 0x7fff, v118
	v_cndmask_b32_e32 v22, 0xffff8000, v118, vcc_lo
	v_lshrrev_b32_sdwa v22, s29, v22 dst_sel:DWORD dst_unused:UNUSED_PAD src0_sel:DWORD src1_sel:WORD_0
	v_and_b32_e32 v25, s42, v22
	v_and_b32_e32 v22, 1, v25
	v_lshlrev_b32_e32 v26, 30, v25
	v_lshlrev_b32_e32 v27, 29, v25
	;; [unrolled: 1-line block ×4, first 2 shown]
	v_add_co_u32 v22, s21, v22, -1
	v_cndmask_b32_e64 v121, 0, 1, s21
	v_not_b32_e32 v125, v26
	v_cmp_gt_i32_e64 s21, 0, v26
	v_not_b32_e32 v26, v27
	v_lshlrev_b32_e32 v123, 26, v25
	v_cmp_ne_u32_e32 vcc_lo, 0, v121
	v_ashrrev_i32_e32 v125, 31, v125
	v_lshlrev_b32_e32 v124, 25, v25
	v_ashrrev_i32_e32 v26, 31, v26
	v_lshlrev_b32_e32 v121, 24, v25
	v_xor_b32_e32 v22, vcc_lo, v22
	v_cmp_gt_i32_e32 vcc_lo, 0, v27
	v_not_b32_e32 v27, v28
	v_xor_b32_e32 v125, s21, v125
	v_cmp_gt_i32_e64 s21, 0, v28
	v_and_b32_e32 v22, exec_lo, v22
	v_not_b32_e32 v28, v122
	v_ashrrev_i32_e32 v27, 31, v27
	v_xor_b32_e32 v26, vcc_lo, v26
	v_cmp_gt_i32_e32 vcc_lo, 0, v122
	v_and_b32_e32 v22, v22, v125
	v_not_b32_e32 v122, v123
	v_ashrrev_i32_e32 v28, 31, v28
	v_xor_b32_e32 v27, s21, v27
	v_cmp_gt_i32_e64 s21, 0, v123
	v_and_b32_e32 v22, v22, v26
	v_not_b32_e32 v26, v124
	v_ashrrev_i32_e32 v122, 31, v122
	v_xor_b32_e32 v28, vcc_lo, v28
	v_cmp_gt_i32_e32 vcc_lo, 0, v124
	v_and_b32_e32 v22, v22, v27
	v_not_b32_e32 v27, v121
	v_ashrrev_i32_e32 v26, 31, v26
	v_xor_b32_e32 v122, s21, v122
	v_cmp_gt_i32_e64 s21, 0, v121
	v_and_b32_e32 v22, v22, v28
	v_ashrrev_i32_e32 v27, 31, v27
	v_xor_b32_e32 v26, vcc_lo, v26
	v_mad_u32_u24 v28, v25, 36, v96
	v_mul_u32_u24_e32 v25, 36, v25
	v_and_b32_e32 v22, v22, v122
	v_xor_b32_e32 v27, s21, v27
	ds_read_b32 v121, v28 offset:1056
	v_add_nc_u32_e32 v124, v96, v25
	v_and_b32_e32 v22, v22, v26
	; wave barrier
	v_and_b32_e32 v22, v22, v27
	v_mbcnt_lo_u32_b32 v123, v22, 0
	v_cmp_ne_u32_e64 s21, 0, v22
	v_cmp_eq_u32_e32 vcc_lo, 0, v123
	s_and_b32 s22, s21, vcc_lo
	s_and_saveexec_b32 s21, s22
	s_cbranch_execz .LBB2077_266
; %bb.265:                              ;   in Loop: Header=BB2077_236 Depth=2
	s_waitcnt lgkmcnt(0)
	v_bcnt_u32_b32 v22, v22, v121
	ds_write_b32 v124, v22 offset:1056
.LBB2077_266:                           ;   in Loop: Header=BB2077_236 Depth=2
	s_or_b32 exec_lo, exec_lo, s21
	v_cmp_lt_i16_e32 vcc_lo, -1, v24
	; wave barrier
	v_cndmask_b32_e64 v22, -1, 0xffff8000, vcc_lo
	v_xor_b32_e32 v122, v22, v24
	v_cmp_ne_u16_e32 vcc_lo, 0x7fff, v122
	v_cndmask_b32_e32 v22, 0xffff8000, v122, vcc_lo
	v_lshrrev_b32_sdwa v22, s29, v22 dst_sel:DWORD dst_unused:UNUSED_PAD src0_sel:DWORD src1_sel:WORD_0
	v_and_b32_e32 v24, s42, v22
	v_and_b32_e32 v22, 1, v24
	v_lshlrev_b32_e32 v25, 30, v24
	v_lshlrev_b32_e32 v26, 29, v24
	v_lshlrev_b32_e32 v27, 28, v24
	v_lshlrev_b32_e32 v125, 27, v24
	v_add_co_u32 v22, s21, v22, -1
	v_cndmask_b32_e64 v28, 0, 1, s21
	v_not_b32_e32 v128, v25
	v_cmp_gt_i32_e64 s21, 0, v25
	v_not_b32_e32 v25, v26
	v_lshlrev_b32_e32 v126, 26, v24
	v_cmp_ne_u32_e32 vcc_lo, 0, v28
	v_ashrrev_i32_e32 v128, 31, v128
	v_lshlrev_b32_e32 v127, 25, v24
	v_ashrrev_i32_e32 v25, 31, v25
	v_lshlrev_b32_e32 v28, 24, v24
	v_xor_b32_e32 v22, vcc_lo, v22
	v_cmp_gt_i32_e32 vcc_lo, 0, v26
	v_not_b32_e32 v26, v27
	v_xor_b32_e32 v128, s21, v128
	v_cmp_gt_i32_e64 s21, 0, v27
	v_and_b32_e32 v22, exec_lo, v22
	v_not_b32_e32 v27, v125
	v_ashrrev_i32_e32 v26, 31, v26
	v_xor_b32_e32 v25, vcc_lo, v25
	v_cmp_gt_i32_e32 vcc_lo, 0, v125
	v_and_b32_e32 v22, v22, v128
	v_not_b32_e32 v125, v126
	v_ashrrev_i32_e32 v27, 31, v27
	v_xor_b32_e32 v26, s21, v26
	v_cmp_gt_i32_e64 s21, 0, v126
	v_and_b32_e32 v22, v22, v25
	v_not_b32_e32 v25, v127
	v_ashrrev_i32_e32 v125, 31, v125
	v_xor_b32_e32 v27, vcc_lo, v27
	v_cmp_gt_i32_e32 vcc_lo, 0, v127
	v_and_b32_e32 v22, v22, v26
	v_not_b32_e32 v26, v28
	v_ashrrev_i32_e32 v25, 31, v25
	v_xor_b32_e32 v125, s21, v125
	v_cmp_gt_i32_e64 s21, 0, v28
	v_and_b32_e32 v22, v22, v27
	v_ashrrev_i32_e32 v26, 31, v26
	v_xor_b32_e32 v25, vcc_lo, v25
	v_mad_u32_u24 v27, v24, 36, v96
	v_mul_u32_u24_e32 v24, 36, v24
	v_and_b32_e32 v22, v22, v125
	v_xor_b32_e32 v26, s21, v26
	ds_read_b32 v125, v27 offset:1056
	v_add_nc_u32_e32 v128, v96, v24
	v_and_b32_e32 v22, v22, v25
	; wave barrier
	v_and_b32_e32 v22, v22, v26
	v_mbcnt_lo_u32_b32 v127, v22, 0
	v_cmp_ne_u32_e64 s21, 0, v22
	v_cmp_eq_u32_e32 vcc_lo, 0, v127
	s_and_b32 s22, s21, vcc_lo
	s_and_saveexec_b32 s21, s22
	s_cbranch_execz .LBB2077_268
; %bb.267:                              ;   in Loop: Header=BB2077_236 Depth=2
	s_waitcnt lgkmcnt(0)
	v_bcnt_u32_b32 v22, v22, v125
	ds_write_b32 v128, v22 offset:1056
.LBB2077_268:                           ;   in Loop: Header=BB2077_236 Depth=2
	s_or_b32 exec_lo, exec_lo, s21
	v_cmp_lt_i16_e32 vcc_lo, -1, v23
	; wave barrier
	v_cndmask_b32_e64 v22, -1, 0xffff8000, vcc_lo
	v_xor_b32_e32 v126, v22, v23
	v_cmp_ne_u16_e32 vcc_lo, 0x7fff, v126
	v_cndmask_b32_e32 v22, 0xffff8000, v126, vcc_lo
	v_lshrrev_b32_sdwa v22, s29, v22 dst_sel:DWORD dst_unused:UNUSED_PAD src0_sel:DWORD src1_sel:WORD_0
	v_and_b32_e32 v23, s42, v22
	v_and_b32_e32 v22, 1, v23
	v_lshlrev_b32_e32 v24, 30, v23
	v_lshlrev_b32_e32 v25, 29, v23
	;; [unrolled: 1-line block ×4, first 2 shown]
	v_add_co_u32 v22, s21, v22, -1
	v_cndmask_b32_e64 v27, 0, 1, s21
	v_not_b32_e32 v131, v24
	v_cmp_gt_i32_e64 s21, 0, v24
	v_not_b32_e32 v24, v25
	v_lshlrev_b32_e32 v129, 26, v23
	v_cmp_ne_u32_e32 vcc_lo, 0, v27
	v_ashrrev_i32_e32 v131, 31, v131
	v_lshlrev_b32_e32 v130, 25, v23
	v_ashrrev_i32_e32 v24, 31, v24
	v_lshlrev_b32_e32 v27, 24, v23
	v_xor_b32_e32 v22, vcc_lo, v22
	v_cmp_gt_i32_e32 vcc_lo, 0, v25
	v_not_b32_e32 v25, v26
	v_xor_b32_e32 v131, s21, v131
	v_cmp_gt_i32_e64 s21, 0, v26
	v_and_b32_e32 v22, exec_lo, v22
	v_not_b32_e32 v26, v28
	v_ashrrev_i32_e32 v25, 31, v25
	v_xor_b32_e32 v24, vcc_lo, v24
	v_cmp_gt_i32_e32 vcc_lo, 0, v28
	v_and_b32_e32 v22, v22, v131
	v_not_b32_e32 v28, v129
	v_ashrrev_i32_e32 v26, 31, v26
	v_xor_b32_e32 v25, s21, v25
	v_cmp_gt_i32_e64 s21, 0, v129
	v_and_b32_e32 v22, v22, v24
	v_not_b32_e32 v24, v130
	v_ashrrev_i32_e32 v28, 31, v28
	v_xor_b32_e32 v26, vcc_lo, v26
	v_cmp_gt_i32_e32 vcc_lo, 0, v130
	v_and_b32_e32 v22, v22, v25
	v_not_b32_e32 v25, v27
	v_ashrrev_i32_e32 v24, 31, v24
	v_xor_b32_e32 v28, s21, v28
	v_cmp_gt_i32_e64 s21, 0, v27
	v_and_b32_e32 v22, v22, v26
	v_ashrrev_i32_e32 v25, 31, v25
	v_xor_b32_e32 v24, vcc_lo, v24
	v_mad_u32_u24 v26, v23, 36, v96
	v_mul_u32_u24_e32 v23, 36, v23
	v_and_b32_e32 v22, v22, v28
	v_xor_b32_e32 v25, s21, v25
	ds_read_b32 v129, v26 offset:1056
	v_add_nc_u32_e32 v132, v96, v23
	v_and_b32_e32 v22, v22, v24
	; wave barrier
	v_and_b32_e32 v22, v22, v25
	v_mbcnt_lo_u32_b32 v131, v22, 0
	v_cmp_ne_u32_e64 s21, 0, v22
	v_cmp_eq_u32_e32 vcc_lo, 0, v131
	s_and_b32 s22, s21, vcc_lo
	s_and_saveexec_b32 s21, s22
	s_cbranch_execz .LBB2077_270
; %bb.269:                              ;   in Loop: Header=BB2077_236 Depth=2
	s_waitcnt lgkmcnt(0)
	v_bcnt_u32_b32 v22, v22, v129
	ds_write_b32 v132, v22 offset:1056
.LBB2077_270:                           ;   in Loop: Header=BB2077_236 Depth=2
	s_or_b32 exec_lo, exec_lo, s21
	v_cmp_lt_i16_e32 vcc_lo, -1, v21
	; wave barrier
	v_cndmask_b32_e64 v22, -1, 0xffff8000, vcc_lo
	v_xor_b32_e32 v130, v22, v21
	v_cmp_ne_u16_e32 vcc_lo, 0x7fff, v130
	v_cndmask_b32_e32 v21, 0xffff8000, v130, vcc_lo
	v_lshrrev_b32_sdwa v21, s29, v21 dst_sel:DWORD dst_unused:UNUSED_PAD src0_sel:DWORD src1_sel:WORD_0
	v_and_b32_e32 v22, s42, v21
	v_and_b32_e32 v21, 1, v22
	v_lshlrev_b32_e32 v23, 30, v22
	v_lshlrev_b32_e32 v24, 29, v22
	v_lshlrev_b32_e32 v25, 28, v22
	v_lshlrev_b32_e32 v27, 27, v22
	v_add_co_u32 v21, s21, v21, -1
	v_cndmask_b32_e64 v26, 0, 1, s21
	v_not_b32_e32 v134, v23
	v_cmp_gt_i32_e64 s21, 0, v23
	v_not_b32_e32 v23, v24
	v_lshlrev_b32_e32 v28, 26, v22
	v_cmp_ne_u32_e32 vcc_lo, 0, v26
	v_ashrrev_i32_e32 v134, 31, v134
	v_lshlrev_b32_e32 v133, 25, v22
	v_ashrrev_i32_e32 v23, 31, v23
	v_lshlrev_b32_e32 v26, 24, v22
	v_xor_b32_e32 v21, vcc_lo, v21
	v_cmp_gt_i32_e32 vcc_lo, 0, v24
	v_not_b32_e32 v24, v25
	v_xor_b32_e32 v134, s21, v134
	v_cmp_gt_i32_e64 s21, 0, v25
	v_and_b32_e32 v21, exec_lo, v21
	v_not_b32_e32 v25, v27
	v_ashrrev_i32_e32 v24, 31, v24
	v_xor_b32_e32 v23, vcc_lo, v23
	v_cmp_gt_i32_e32 vcc_lo, 0, v27
	v_and_b32_e32 v21, v21, v134
	v_not_b32_e32 v27, v28
	v_ashrrev_i32_e32 v25, 31, v25
	v_xor_b32_e32 v24, s21, v24
	v_cmp_gt_i32_e64 s21, 0, v28
	v_and_b32_e32 v21, v21, v23
	v_not_b32_e32 v23, v133
	v_ashrrev_i32_e32 v27, 31, v27
	v_xor_b32_e32 v25, vcc_lo, v25
	v_cmp_gt_i32_e32 vcc_lo, 0, v133
	v_and_b32_e32 v21, v21, v24
	v_not_b32_e32 v24, v26
	v_ashrrev_i32_e32 v23, 31, v23
	v_xor_b32_e32 v27, s21, v27
	v_cmp_gt_i32_e64 s21, 0, v26
	v_and_b32_e32 v21, v21, v25
	v_ashrrev_i32_e32 v24, 31, v24
	v_xor_b32_e32 v23, vcc_lo, v23
	v_mad_u32_u24 v25, v22, 36, v96
	v_mul_u32_u24_e32 v22, 36, v22
	v_and_b32_e32 v21, v21, v27
	v_xor_b32_e32 v24, s21, v24
	ds_read_b32 v133, v25 offset:1056
	v_add_nc_u32_e32 v135, v96, v22
	v_and_b32_e32 v21, v21, v23
	; wave barrier
	v_and_b32_e32 v21, v21, v24
	v_mbcnt_lo_u32_b32 v134, v21, 0
	v_cmp_ne_u32_e64 s21, 0, v21
	v_cmp_eq_u32_e32 vcc_lo, 0, v134
	s_and_b32 s22, s21, vcc_lo
	s_and_saveexec_b32 s21, s22
	s_cbranch_execz .LBB2077_272
; %bb.271:                              ;   in Loop: Header=BB2077_236 Depth=2
	s_waitcnt lgkmcnt(0)
	v_bcnt_u32_b32 v21, v21, v133
	ds_write_b32 v135, v21 offset:1056
.LBB2077_272:                           ;   in Loop: Header=BB2077_236 Depth=2
	s_or_b32 exec_lo, exec_lo, s21
	; wave barrier
	s_waitcnt lgkmcnt(0)
	s_barrier
	buffer_gl0_inv
	ds_read2_b32 v[27:28], v78 offset1:1
	ds_read2_b32 v[25:26], v88 offset1:1
	;; [unrolled: 1-line block ×4, first 2 shown]
	ds_read_b32 v136, v44 offset:1088
	s_waitcnt lgkmcnt(3)
	v_add3_u32 v137, v28, v27, v25
	s_waitcnt lgkmcnt(2)
	v_add3_u32 v137, v137, v26, v23
	;; [unrolled: 2-line block ×4, first 2 shown]
	v_mov_b32_dpp v137, v136 row_shr:1 row_mask:0xf bank_mask:0xf
	v_cndmask_b32_e64 v137, v137, 0, s5
	v_add_nc_u32_e32 v136, v137, v136
	v_mov_b32_dpp v137, v136 row_shr:2 row_mask:0xf bank_mask:0xf
	v_cndmask_b32_e64 v137, 0, v137, s14
	v_add_nc_u32_e32 v136, v136, v137
	;; [unrolled: 3-line block ×4, first 2 shown]
	ds_swizzle_b32 v137, v136 offset:swizzle(BROADCAST,32,15)
	s_waitcnt lgkmcnt(0)
	v_cndmask_b32_e64 v137, v137, 0, s17
	v_add_nc_u32_e32 v136, v136, v137
	s_and_saveexec_b32 s21, s9
; %bb.273:                              ;   in Loop: Header=BB2077_236 Depth=2
	ds_write_b32 v39, v136 offset:1024
; %bb.274:                              ;   in Loop: Header=BB2077_236 Depth=2
	s_or_b32 exec_lo, exec_lo, s21
	s_waitcnt lgkmcnt(0)
	s_barrier
	buffer_gl0_inv
	s_and_saveexec_b32 s21, s10
	s_cbranch_execz .LBB2077_276
; %bb.275:                              ;   in Loop: Header=BB2077_236 Depth=2
	ds_read_b32 v137, v46 offset:1024
	s_waitcnt lgkmcnt(0)
	v_mov_b32_dpp v138, v137 row_shr:1 row_mask:0xf bank_mask:0xf
	v_cndmask_b32_e64 v138, v138, 0, s18
	v_add_nc_u32_e32 v137, v138, v137
	v_mov_b32_dpp v138, v137 row_shr:2 row_mask:0xf bank_mask:0xf
	v_cndmask_b32_e64 v138, 0, v138, s19
	v_add_nc_u32_e32 v137, v137, v138
	;; [unrolled: 3-line block ×3, first 2 shown]
	ds_write_b32 v46, v137 offset:1024
.LBB2077_276:                           ;   in Loop: Header=BB2077_236 Depth=2
	s_or_b32 exec_lo, exec_lo, s21
	v_mov_b32_e32 v137, 0
	s_waitcnt lgkmcnt(0)
	s_barrier
	buffer_gl0_inv
	s_and_saveexec_b32 s21, s11
; %bb.277:                              ;   in Loop: Header=BB2077_236 Depth=2
	ds_read_b32 v137, v39 offset:1020
; %bb.278:                              ;   in Loop: Header=BB2077_236 Depth=2
	s_or_b32 exec_lo, exec_lo, s21
	s_waitcnt lgkmcnt(0)
	v_add_nc_u32_e32 v136, v137, v136
	ds_bpermute_b32 v136, v91, v136
	s_waitcnt lgkmcnt(0)
	v_cndmask_b32_e64 v136, v136, v137, s13
	v_cndmask_b32_e64 v136, v136, 0, s4
	v_add_nc_u32_e32 v27, v136, v27
	v_add_nc_u32_e32 v28, v27, v28
	;; [unrolled: 1-line block ×8, first 2 shown]
	ds_write2_b32 v78, v136, v27 offset1:1
	ds_write2_b32 v88, v28, v25 offset1:1
	;; [unrolled: 1-line block ×4, first 2 shown]
	ds_write_b32 v44, v22 offset:1088
	s_waitcnt lgkmcnt(0)
	s_barrier
	buffer_gl0_inv
	ds_read_b32 v24, v108 offset:1056
	ds_read_b32 v25, v112 offset:1056
	;; [unrolled: 1-line block ×9, first 2 shown]
	v_mov_b32_e32 v23, 0x800
	s_and_saveexec_b32 s21, s12
; %bb.279:                              ;   in Loop: Header=BB2077_236 Depth=2
	ds_read_b32 v23, v44 offset:1092
; %bb.280:                              ;   in Loop: Header=BB2077_236 Depth=2
	s_or_b32 exec_lo, exec_lo, s21
	s_waitcnt lgkmcnt(0)
	s_barrier
	buffer_gl0_inv
	s_and_saveexec_b32 s21, s8
	s_cbranch_execz .LBB2077_282
; %bb.281:                              ;   in Loop: Header=BB2077_236 Depth=2
	ds_read_b32 v112, v29
	s_waitcnt lgkmcnt(0)
	v_sub_nc_u32_e32 v108, v112, v108
	ds_write_b32 v29, v108
.LBB2077_282:                           ;   in Loop: Header=BB2077_236 Depth=2
	s_or_b32 exec_lo, exec_lo, s21
	v_add_nc_u32_e32 v112, v24, v106
	v_add3_u32 v108, v110, v109, v25
	v_add3_u32 v106, v115, v113, v26
	;; [unrolled: 1-line block ×4, first 2 shown]
	v_lshlrev_b32_e32 v109, 1, v112
	v_lshlrev_b32_e32 v110, 1, v108
	v_add3_u32 v27, v131, v129, v22
	v_lshlrev_b32_e32 v22, 1, v106
	v_add3_u32 v28, v134, v133, v21
	ds_write_b16 v109, v3 offset:1024
	ds_write_b16 v110, v107 offset:1024
	v_lshlrev_b32_e32 v3, 1, v26
	v_add3_u32 v24, v127, v125, v116
	ds_write_b16 v22, v111 offset:1024
	v_lshlrev_b32_e32 v21, 1, v25
	v_cmp_lt_u32_e32 vcc_lo, v0, v105
	ds_write_b16 v3, v114 offset:1024
	v_lshlrev_b32_e32 v3, 1, v28
	v_lshlrev_b32_e32 v22, 1, v24
	;; [unrolled: 1-line block ×3, first 2 shown]
	ds_write_b16 v21, v118 offset:1024
	ds_write_b16 v22, v122 offset:1024
	;; [unrolled: 1-line block ×4, first 2 shown]
	s_waitcnt lgkmcnt(0)
	s_barrier
	buffer_gl0_inv
	s_and_saveexec_b32 s22, vcc_lo
	s_cbranch_execnz .LBB2077_319
; %bb.283:                              ;   in Loop: Header=BB2077_236 Depth=2
	s_or_b32 exec_lo, exec_lo, s22
	v_cmp_lt_u32_e64 s21, v30, v105
	s_and_saveexec_b32 s23, s21
	s_cbranch_execnz .LBB2077_320
.LBB2077_284:                           ;   in Loop: Header=BB2077_236 Depth=2
	s_or_b32 exec_lo, exec_lo, s23
	v_cmp_lt_u32_e64 s22, v31, v105
	s_and_saveexec_b32 s24, s22
	s_cbranch_execnz .LBB2077_321
.LBB2077_285:                           ;   in Loop: Header=BB2077_236 Depth=2
	s_or_b32 exec_lo, exec_lo, s24
	v_cmp_lt_u32_e64 s23, v32, v105
	s_and_saveexec_b32 s25, s23
	s_cbranch_execnz .LBB2077_322
.LBB2077_286:                           ;   in Loop: Header=BB2077_236 Depth=2
	s_or_b32 exec_lo, exec_lo, s25
	v_cmp_lt_u32_e64 s24, v35, v105
	s_and_saveexec_b32 s26, s24
	s_cbranch_execnz .LBB2077_323
.LBB2077_287:                           ;   in Loop: Header=BB2077_236 Depth=2
	s_or_b32 exec_lo, exec_lo, s26
	v_cmp_lt_u32_e64 s25, v36, v105
	s_and_saveexec_b32 s27, s25
	s_cbranch_execnz .LBB2077_324
.LBB2077_288:                           ;   in Loop: Header=BB2077_236 Depth=2
	s_or_b32 exec_lo, exec_lo, s27
	v_cmp_lt_u32_e64 s26, v37, v105
	s_and_saveexec_b32 s28, s26
	s_cbranch_execnz .LBB2077_325
.LBB2077_289:                           ;   in Loop: Header=BB2077_236 Depth=2
	s_or_b32 exec_lo, exec_lo, s28
	v_cmp_lt_u32_e64 s27, v38, v105
	s_and_saveexec_b32 s54, s27
	s_cbranch_execz .LBB2077_291
.LBB2077_290:                           ;   in Loop: Header=BB2077_236 Depth=2
	ds_read_u16 v107, v47 offset:4608
	s_waitcnt lgkmcnt(0)
	v_cmp_ne_u16_e64 s28, 0x7fff, v107
	v_cndmask_b32_e64 v3, 0xffff8000, v107, s28
	v_cmp_lt_i16_e64 s28, -1, v107
	v_lshrrev_b32_sdwa v3, s29, v3 dst_sel:DWORD dst_unused:UNUSED_PAD src0_sel:DWORD src1_sel:WORD_0
	v_cndmask_b32_e64 v109, 0xffff8000, -1, s28
	v_and_b32_e32 v3, s42, v3
	v_lshlrev_b32_e32 v3, 2, v3
	ds_read_b32 v3, v3
	s_waitcnt lgkmcnt(0)
	v_add_nc_u32_e32 v3, v3, v38
	v_lshlrev_b64 v[21:22], 1, v[3:4]
	v_xor_b32_e32 v3, v109, v107
	v_add_co_u32 v21, s28, s40, v21
	v_add_co_ci_u32_e64 v22, null, s41, v22, s28
	global_store_short v[21:22], v3, off
.LBB2077_291:                           ;   in Loop: Header=BB2077_236 Depth=2
	s_or_b32 exec_lo, exec_lo, s54
	s_lshl_b64 s[54:55], s[34:35], 3
	v_add_co_u32 v21, s28, v92, s54
	v_add_co_ci_u32_e64 v22, null, s55, v93, s28
	v_cmp_lt_u32_e64 s28, v66, v105
	s_and_saveexec_b32 s34, s28
	s_xor_b32 s28, exec_lo, s34
	s_cbranch_execnz .LBB2077_326
; %bb.292:                              ;   in Loop: Header=BB2077_236 Depth=2
	s_or_b32 exec_lo, exec_lo, s28
	s_mov_b32 s34, exec_lo
	v_cmpx_lt_u32_e64 v70, v105
	s_cbranch_execnz .LBB2077_327
.LBB2077_293:                           ;   in Loop: Header=BB2077_236 Depth=2
	s_or_b32 exec_lo, exec_lo, s34
	s_mov_b32 s34, exec_lo
	v_cmpx_lt_u32_e64 v71, v105
	s_cbranch_execnz .LBB2077_328
.LBB2077_294:                           ;   in Loop: Header=BB2077_236 Depth=2
	s_or_b32 exec_lo, exec_lo, s34
	s_mov_b32 s34, exec_lo
	v_cmpx_lt_u32_e64 v72, v105
	s_cbranch_execnz .LBB2077_329
.LBB2077_295:                           ;   in Loop: Header=BB2077_236 Depth=2
	s_or_b32 exec_lo, exec_lo, s34
	s_mov_b32 s34, exec_lo
	v_cmpx_lt_u32_e64 v73, v105
	s_cbranch_execnz .LBB2077_330
.LBB2077_296:                           ;   in Loop: Header=BB2077_236 Depth=2
	s_or_b32 exec_lo, exec_lo, s34
	s_mov_b32 s34, exec_lo
	v_cmpx_lt_u32_e64 v74, v105
	s_cbranch_execnz .LBB2077_331
.LBB2077_297:                           ;   in Loop: Header=BB2077_236 Depth=2
	s_or_b32 exec_lo, exec_lo, s34
	s_mov_b32 s34, exec_lo
	v_cmpx_lt_u32_e64 v75, v105
	s_cbranch_execnz .LBB2077_332
.LBB2077_298:                           ;   in Loop: Header=BB2077_236 Depth=2
	s_or_b32 exec_lo, exec_lo, s34
	s_mov_b32 s34, exec_lo
	v_cmpx_lt_u32_e64 v76, v105
	s_cbranch_execnz .LBB2077_333
.LBB2077_299:                           ;   in Loop: Header=BB2077_236 Depth=2
	s_or_b32 exec_lo, exec_lo, s34
	s_and_saveexec_b32 s34, vcc_lo
	s_cbranch_execnz .LBB2077_334
.LBB2077_300:                           ;   in Loop: Header=BB2077_236 Depth=2
	s_or_b32 exec_lo, exec_lo, s34
	s_and_saveexec_b32 s34, s21
	s_cbranch_execnz .LBB2077_335
.LBB2077_301:                           ;   in Loop: Header=BB2077_236 Depth=2
	s_or_b32 exec_lo, exec_lo, s34
	s_and_saveexec_b32 s34, s22
	s_cbranch_execnz .LBB2077_336
.LBB2077_302:                           ;   in Loop: Header=BB2077_236 Depth=2
	s_or_b32 exec_lo, exec_lo, s34
	s_and_saveexec_b32 s34, s23
	s_cbranch_execnz .LBB2077_337
.LBB2077_303:                           ;   in Loop: Header=BB2077_236 Depth=2
	s_or_b32 exec_lo, exec_lo, s34
	s_and_saveexec_b32 s34, s24
	s_cbranch_execnz .LBB2077_338
.LBB2077_304:                           ;   in Loop: Header=BB2077_236 Depth=2
	s_or_b32 exec_lo, exec_lo, s34
	s_and_saveexec_b32 s34, s25
	s_cbranch_execnz .LBB2077_339
.LBB2077_305:                           ;   in Loop: Header=BB2077_236 Depth=2
	s_or_b32 exec_lo, exec_lo, s34
	s_and_saveexec_b32 s34, s26
	s_cbranch_execnz .LBB2077_340
.LBB2077_306:                           ;   in Loop: Header=BB2077_236 Depth=2
	s_or_b32 exec_lo, exec_lo, s34
	s_and_saveexec_b32 s34, s27
	s_cbranch_execz .LBB2077_308
.LBB2077_307:                           ;   in Loop: Header=BB2077_236 Depth=2
	ds_read_u16 v3, v47 offset:4608
	s_waitcnt lgkmcnt(0)
	v_cmp_ne_u16_e64 s28, 0x7fff, v3
	v_cndmask_b32_e64 v3, 0xffff8000, v3, s28
	v_lshrrev_b32_sdwa v3, s29, v3 dst_sel:DWORD dst_unused:UNUSED_PAD src0_sel:DWORD src1_sel:WORD_0
	v_and_b32_e32 v97, s42, v3
.LBB2077_308:                           ;   in Loop: Header=BB2077_236 Depth=2
	s_or_b32 exec_lo, exec_lo, s34
	v_lshlrev_b32_e32 v3, 3, v112
	v_lshlrev_b32_e32 v21, 3, v108
	;; [unrolled: 1-line block ×3, first 2 shown]
	s_waitcnt vmcnt(0)
	s_waitcnt_vscnt null, 0x0
	s_barrier
	buffer_gl0_inv
	ds_write_b64 v3, v[19:20] offset:1024
	ds_write_b64 v21, v[17:18] offset:1024
	ds_write_b64 v22, v[15:16] offset:1024
	v_lshlrev_b32_e32 v3, 3, v26
	v_lshlrev_b32_e32 v21, 3, v25
	;; [unrolled: 1-line block ×5, first 2 shown]
	ds_write_b64 v3, v[13:14] offset:1024
	ds_write_b64 v21, v[11:12] offset:1024
	;; [unrolled: 1-line block ×5, first 2 shown]
	s_waitcnt lgkmcnt(0)
	s_barrier
	buffer_gl0_inv
	s_and_saveexec_b32 s28, vcc_lo
	s_cbranch_execnz .LBB2077_341
; %bb.309:                              ;   in Loop: Header=BB2077_236 Depth=2
	s_or_b32 exec_lo, exec_lo, s28
	s_and_saveexec_b32 s28, s21
	s_cbranch_execnz .LBB2077_342
.LBB2077_310:                           ;   in Loop: Header=BB2077_236 Depth=2
	s_or_b32 exec_lo, exec_lo, s28
	s_and_saveexec_b32 s21, s22
	s_cbranch_execnz .LBB2077_343
.LBB2077_311:                           ;   in Loop: Header=BB2077_236 Depth=2
	s_or_b32 exec_lo, exec_lo, s21
	s_and_saveexec_b32 s21, s23
	s_cbranch_execnz .LBB2077_344
.LBB2077_312:                           ;   in Loop: Header=BB2077_236 Depth=2
	s_or_b32 exec_lo, exec_lo, s21
	s_and_saveexec_b32 s21, s24
	s_cbranch_execnz .LBB2077_345
.LBB2077_313:                           ;   in Loop: Header=BB2077_236 Depth=2
	s_or_b32 exec_lo, exec_lo, s21
	s_and_saveexec_b32 s21, s25
	s_cbranch_execnz .LBB2077_346
.LBB2077_314:                           ;   in Loop: Header=BB2077_236 Depth=2
	s_or_b32 exec_lo, exec_lo, s21
	s_and_saveexec_b32 s21, s26
	s_cbranch_execnz .LBB2077_347
.LBB2077_315:                           ;   in Loop: Header=BB2077_236 Depth=2
	s_or_b32 exec_lo, exec_lo, s21
	s_and_saveexec_b32 s21, s27
	s_cbranch_execz .LBB2077_317
.LBB2077_316:                           ;   in Loop: Header=BB2077_236 Depth=2
	v_lshlrev_b32_e32 v3, 2, v97
	v_add_nc_u32_e32 v21, v47, v48
	ds_read_b32 v3, v3
	ds_read_b64 v[21:22], v21 offset:15360
	s_waitcnt lgkmcnt(1)
	v_add_nc_u32_e32 v3, v3, v38
	v_lshlrev_b64 v[24:25], 3, v[3:4]
	v_add_co_u32 v24, vcc_lo, s46, v24
	v_add_co_ci_u32_e64 v25, null, s47, v25, vcc_lo
	s_waitcnt lgkmcnt(0)
	global_store_dwordx2 v[24:25], v[21:22], off
.LBB2077_317:                           ;   in Loop: Header=BB2077_236 Depth=2
	s_or_b32 exec_lo, exec_lo, s21
	s_waitcnt_vscnt null, 0x0
	s_barrier
	buffer_gl0_inv
	s_and_saveexec_b32 s21, s8
	s_cbranch_execz .LBB2077_235
; %bb.318:                              ;   in Loop: Header=BB2077_236 Depth=2
	ds_read_b32 v3, v29
	s_waitcnt lgkmcnt(0)
	v_add_nc_u32_e32 v3, v3, v23
	ds_write_b32 v29, v3
	s_branch .LBB2077_235
.LBB2077_319:                           ;   in Loop: Header=BB2077_236 Depth=2
	ds_read_u16 v107, v47 offset:1024
	s_waitcnt lgkmcnt(0)
	v_cmp_ne_u16_e64 s21, 0x7fff, v107
	v_cndmask_b32_e64 v3, 0xffff8000, v107, s21
	v_cmp_lt_i16_e64 s21, -1, v107
	v_lshrrev_b32_sdwa v3, s29, v3 dst_sel:DWORD dst_unused:UNUSED_PAD src0_sel:DWORD src1_sel:WORD_0
	v_cndmask_b32_e64 v109, 0xffff8000, -1, s21
	v_and_b32_e32 v3, s42, v3
	v_lshlrev_b32_e32 v3, 2, v3
	ds_read_b32 v3, v3
	s_waitcnt lgkmcnt(0)
	v_add_nc_u32_e32 v3, v3, v0
	v_lshlrev_b64 v[21:22], 1, v[3:4]
	v_xor_b32_e32 v3, v109, v107
	v_add_co_u32 v21, s21, s40, v21
	v_add_co_ci_u32_e64 v22, null, s41, v22, s21
	global_store_short v[21:22], v3, off
	s_or_b32 exec_lo, exec_lo, s22
	v_cmp_lt_u32_e64 s21, v30, v105
	s_and_saveexec_b32 s23, s21
	s_cbranch_execz .LBB2077_284
.LBB2077_320:                           ;   in Loop: Header=BB2077_236 Depth=2
	ds_read_u16 v107, v47 offset:1536
	s_waitcnt lgkmcnt(0)
	v_cmp_ne_u16_e64 s22, 0x7fff, v107
	v_cndmask_b32_e64 v3, 0xffff8000, v107, s22
	v_cmp_lt_i16_e64 s22, -1, v107
	v_lshrrev_b32_sdwa v3, s29, v3 dst_sel:DWORD dst_unused:UNUSED_PAD src0_sel:DWORD src1_sel:WORD_0
	v_cndmask_b32_e64 v109, 0xffff8000, -1, s22
	v_and_b32_e32 v3, s42, v3
	v_lshlrev_b32_e32 v3, 2, v3
	ds_read_b32 v3, v3
	s_waitcnt lgkmcnt(0)
	v_add_nc_u32_e32 v3, v3, v30
	v_lshlrev_b64 v[21:22], 1, v[3:4]
	v_xor_b32_e32 v3, v109, v107
	v_add_co_u32 v21, s22, s40, v21
	v_add_co_ci_u32_e64 v22, null, s41, v22, s22
	global_store_short v[21:22], v3, off
	s_or_b32 exec_lo, exec_lo, s23
	v_cmp_lt_u32_e64 s22, v31, v105
	s_and_saveexec_b32 s24, s22
	s_cbranch_execz .LBB2077_285
.LBB2077_321:                           ;   in Loop: Header=BB2077_236 Depth=2
	ds_read_u16 v107, v47 offset:2048
	s_waitcnt lgkmcnt(0)
	v_cmp_ne_u16_e64 s23, 0x7fff, v107
	v_cndmask_b32_e64 v3, 0xffff8000, v107, s23
	v_cmp_lt_i16_e64 s23, -1, v107
	v_lshrrev_b32_sdwa v3, s29, v3 dst_sel:DWORD dst_unused:UNUSED_PAD src0_sel:DWORD src1_sel:WORD_0
	v_cndmask_b32_e64 v109, 0xffff8000, -1, s23
	v_and_b32_e32 v3, s42, v3
	v_lshlrev_b32_e32 v3, 2, v3
	ds_read_b32 v3, v3
	s_waitcnt lgkmcnt(0)
	v_add_nc_u32_e32 v3, v3, v31
	v_lshlrev_b64 v[21:22], 1, v[3:4]
	v_xor_b32_e32 v3, v109, v107
	v_add_co_u32 v21, s23, s40, v21
	v_add_co_ci_u32_e64 v22, null, s41, v22, s23
	global_store_short v[21:22], v3, off
	s_or_b32 exec_lo, exec_lo, s24
	v_cmp_lt_u32_e64 s23, v32, v105
	s_and_saveexec_b32 s25, s23
	s_cbranch_execz .LBB2077_286
.LBB2077_322:                           ;   in Loop: Header=BB2077_236 Depth=2
	ds_read_u16 v107, v47 offset:2560
	s_waitcnt lgkmcnt(0)
	v_cmp_ne_u16_e64 s24, 0x7fff, v107
	v_cndmask_b32_e64 v3, 0xffff8000, v107, s24
	v_cmp_lt_i16_e64 s24, -1, v107
	v_lshrrev_b32_sdwa v3, s29, v3 dst_sel:DWORD dst_unused:UNUSED_PAD src0_sel:DWORD src1_sel:WORD_0
	v_cndmask_b32_e64 v109, 0xffff8000, -1, s24
	v_and_b32_e32 v3, s42, v3
	v_lshlrev_b32_e32 v3, 2, v3
	ds_read_b32 v3, v3
	s_waitcnt lgkmcnt(0)
	v_add_nc_u32_e32 v3, v3, v32
	v_lshlrev_b64 v[21:22], 1, v[3:4]
	v_xor_b32_e32 v3, v109, v107
	v_add_co_u32 v21, s24, s40, v21
	v_add_co_ci_u32_e64 v22, null, s41, v22, s24
	global_store_short v[21:22], v3, off
	s_or_b32 exec_lo, exec_lo, s25
	v_cmp_lt_u32_e64 s24, v35, v105
	s_and_saveexec_b32 s26, s24
	s_cbranch_execz .LBB2077_287
.LBB2077_323:                           ;   in Loop: Header=BB2077_236 Depth=2
	ds_read_u16 v107, v47 offset:3072
	s_waitcnt lgkmcnt(0)
	v_cmp_ne_u16_e64 s25, 0x7fff, v107
	v_cndmask_b32_e64 v3, 0xffff8000, v107, s25
	v_cmp_lt_i16_e64 s25, -1, v107
	v_lshrrev_b32_sdwa v3, s29, v3 dst_sel:DWORD dst_unused:UNUSED_PAD src0_sel:DWORD src1_sel:WORD_0
	v_cndmask_b32_e64 v109, 0xffff8000, -1, s25
	v_and_b32_e32 v3, s42, v3
	v_lshlrev_b32_e32 v3, 2, v3
	ds_read_b32 v3, v3
	s_waitcnt lgkmcnt(0)
	v_add_nc_u32_e32 v3, v3, v35
	v_lshlrev_b64 v[21:22], 1, v[3:4]
	v_xor_b32_e32 v3, v109, v107
	v_add_co_u32 v21, s25, s40, v21
	v_add_co_ci_u32_e64 v22, null, s41, v22, s25
	global_store_short v[21:22], v3, off
	s_or_b32 exec_lo, exec_lo, s26
	v_cmp_lt_u32_e64 s25, v36, v105
	s_and_saveexec_b32 s27, s25
	s_cbranch_execz .LBB2077_288
.LBB2077_324:                           ;   in Loop: Header=BB2077_236 Depth=2
	ds_read_u16 v107, v47 offset:3584
	s_waitcnt lgkmcnt(0)
	v_cmp_ne_u16_e64 s26, 0x7fff, v107
	v_cndmask_b32_e64 v3, 0xffff8000, v107, s26
	v_cmp_lt_i16_e64 s26, -1, v107
	v_lshrrev_b32_sdwa v3, s29, v3 dst_sel:DWORD dst_unused:UNUSED_PAD src0_sel:DWORD src1_sel:WORD_0
	v_cndmask_b32_e64 v109, 0xffff8000, -1, s26
	v_and_b32_e32 v3, s42, v3
	v_lshlrev_b32_e32 v3, 2, v3
	ds_read_b32 v3, v3
	s_waitcnt lgkmcnt(0)
	v_add_nc_u32_e32 v3, v3, v36
	v_lshlrev_b64 v[21:22], 1, v[3:4]
	v_xor_b32_e32 v3, v109, v107
	v_add_co_u32 v21, s26, s40, v21
	v_add_co_ci_u32_e64 v22, null, s41, v22, s26
	global_store_short v[21:22], v3, off
	s_or_b32 exec_lo, exec_lo, s27
	v_cmp_lt_u32_e64 s26, v37, v105
	s_and_saveexec_b32 s28, s26
	s_cbranch_execz .LBB2077_289
.LBB2077_325:                           ;   in Loop: Header=BB2077_236 Depth=2
	ds_read_u16 v107, v47 offset:4096
	s_waitcnt lgkmcnt(0)
	v_cmp_ne_u16_e64 s27, 0x7fff, v107
	v_cndmask_b32_e64 v3, 0xffff8000, v107, s27
	v_cmp_lt_i16_e64 s27, -1, v107
	v_lshrrev_b32_sdwa v3, s29, v3 dst_sel:DWORD dst_unused:UNUSED_PAD src0_sel:DWORD src1_sel:WORD_0
	v_cndmask_b32_e64 v109, 0xffff8000, -1, s27
	v_and_b32_e32 v3, s42, v3
	v_lshlrev_b32_e32 v3, 2, v3
	ds_read_b32 v3, v3
	s_waitcnt lgkmcnt(0)
	v_add_nc_u32_e32 v3, v3, v37
	v_lshlrev_b64 v[21:22], 1, v[3:4]
	v_xor_b32_e32 v3, v109, v107
	v_add_co_u32 v21, s27, s40, v21
	v_add_co_ci_u32_e64 v22, null, s41, v22, s27
	global_store_short v[21:22], v3, off
	s_or_b32 exec_lo, exec_lo, s28
	v_cmp_lt_u32_e64 s27, v38, v105
	s_and_saveexec_b32 s54, s27
	s_cbranch_execnz .LBB2077_290
	s_branch .LBB2077_291
.LBB2077_326:                           ;   in Loop: Header=BB2077_236 Depth=2
	global_load_dwordx2 v[19:20], v[21:22], off
	s_or_b32 exec_lo, exec_lo, s28
	s_mov_b32 s34, exec_lo
	v_cmpx_lt_u32_e64 v70, v105
	s_cbranch_execz .LBB2077_293
.LBB2077_327:                           ;   in Loop: Header=BB2077_236 Depth=2
	global_load_dwordx2 v[17:18], v[21:22], off offset:256
	s_or_b32 exec_lo, exec_lo, s34
	s_mov_b32 s34, exec_lo
	v_cmpx_lt_u32_e64 v71, v105
	s_cbranch_execz .LBB2077_294
.LBB2077_328:                           ;   in Loop: Header=BB2077_236 Depth=2
	global_load_dwordx2 v[15:16], v[21:22], off offset:512
	s_or_b32 exec_lo, exec_lo, s34
	s_mov_b32 s34, exec_lo
	v_cmpx_lt_u32_e64 v72, v105
	s_cbranch_execz .LBB2077_295
.LBB2077_329:                           ;   in Loop: Header=BB2077_236 Depth=2
	global_load_dwordx2 v[13:14], v[21:22], off offset:768
	s_or_b32 exec_lo, exec_lo, s34
	s_mov_b32 s34, exec_lo
	v_cmpx_lt_u32_e64 v73, v105
	s_cbranch_execz .LBB2077_296
.LBB2077_330:                           ;   in Loop: Header=BB2077_236 Depth=2
	global_load_dwordx2 v[11:12], v[21:22], off offset:1024
	s_or_b32 exec_lo, exec_lo, s34
	s_mov_b32 s34, exec_lo
	v_cmpx_lt_u32_e64 v74, v105
	s_cbranch_execz .LBB2077_297
.LBB2077_331:                           ;   in Loop: Header=BB2077_236 Depth=2
	global_load_dwordx2 v[9:10], v[21:22], off offset:1280
	s_or_b32 exec_lo, exec_lo, s34
	s_mov_b32 s34, exec_lo
	v_cmpx_lt_u32_e64 v75, v105
	s_cbranch_execz .LBB2077_298
.LBB2077_332:                           ;   in Loop: Header=BB2077_236 Depth=2
	global_load_dwordx2 v[7:8], v[21:22], off offset:1536
	s_or_b32 exec_lo, exec_lo, s34
	s_mov_b32 s34, exec_lo
	v_cmpx_lt_u32_e64 v76, v105
	s_cbranch_execz .LBB2077_299
.LBB2077_333:                           ;   in Loop: Header=BB2077_236 Depth=2
	global_load_dwordx2 v[5:6], v[21:22], off offset:1792
	s_or_b32 exec_lo, exec_lo, s34
	s_and_saveexec_b32 s34, vcc_lo
	s_cbranch_execz .LBB2077_300
.LBB2077_334:                           ;   in Loop: Header=BB2077_236 Depth=2
	ds_read_u16 v3, v47 offset:1024
	s_waitcnt lgkmcnt(0)
	v_cmp_ne_u16_e64 s28, 0x7fff, v3
	v_cndmask_b32_e64 v3, 0xffff8000, v3, s28
	v_lshrrev_b32_sdwa v3, s29, v3 dst_sel:DWORD dst_unused:UNUSED_PAD src0_sel:DWORD src1_sel:WORD_0
	v_and_b32_e32 v104, s42, v3
	s_or_b32 exec_lo, exec_lo, s34
	s_and_saveexec_b32 s34, s21
	s_cbranch_execz .LBB2077_301
.LBB2077_335:                           ;   in Loop: Header=BB2077_236 Depth=2
	ds_read_u16 v3, v47 offset:1536
	s_waitcnt lgkmcnt(0)
	v_cmp_ne_u16_e64 s28, 0x7fff, v3
	v_cndmask_b32_e64 v3, 0xffff8000, v3, s28
	v_lshrrev_b32_sdwa v3, s29, v3 dst_sel:DWORD dst_unused:UNUSED_PAD src0_sel:DWORD src1_sel:WORD_0
	v_and_b32_e32 v103, s42, v3
	s_or_b32 exec_lo, exec_lo, s34
	s_and_saveexec_b32 s34, s22
	s_cbranch_execz .LBB2077_302
.LBB2077_336:                           ;   in Loop: Header=BB2077_236 Depth=2
	ds_read_u16 v3, v47 offset:2048
	s_waitcnt lgkmcnt(0)
	v_cmp_ne_u16_e64 s28, 0x7fff, v3
	v_cndmask_b32_e64 v3, 0xffff8000, v3, s28
	v_lshrrev_b32_sdwa v3, s29, v3 dst_sel:DWORD dst_unused:UNUSED_PAD src0_sel:DWORD src1_sel:WORD_0
	v_and_b32_e32 v102, s42, v3
	s_or_b32 exec_lo, exec_lo, s34
	s_and_saveexec_b32 s34, s23
	s_cbranch_execz .LBB2077_303
.LBB2077_337:                           ;   in Loop: Header=BB2077_236 Depth=2
	ds_read_u16 v3, v47 offset:2560
	s_waitcnt lgkmcnt(0)
	v_cmp_ne_u16_e64 s28, 0x7fff, v3
	v_cndmask_b32_e64 v3, 0xffff8000, v3, s28
	v_lshrrev_b32_sdwa v3, s29, v3 dst_sel:DWORD dst_unused:UNUSED_PAD src0_sel:DWORD src1_sel:WORD_0
	v_and_b32_e32 v101, s42, v3
	s_or_b32 exec_lo, exec_lo, s34
	s_and_saveexec_b32 s34, s24
	s_cbranch_execz .LBB2077_304
.LBB2077_338:                           ;   in Loop: Header=BB2077_236 Depth=2
	ds_read_u16 v3, v47 offset:3072
	s_waitcnt lgkmcnt(0)
	v_cmp_ne_u16_e64 s28, 0x7fff, v3
	v_cndmask_b32_e64 v3, 0xffff8000, v3, s28
	v_lshrrev_b32_sdwa v3, s29, v3 dst_sel:DWORD dst_unused:UNUSED_PAD src0_sel:DWORD src1_sel:WORD_0
	v_and_b32_e32 v100, s42, v3
	s_or_b32 exec_lo, exec_lo, s34
	s_and_saveexec_b32 s34, s25
	s_cbranch_execz .LBB2077_305
.LBB2077_339:                           ;   in Loop: Header=BB2077_236 Depth=2
	ds_read_u16 v3, v47 offset:3584
	s_waitcnt lgkmcnt(0)
	v_cmp_ne_u16_e64 s28, 0x7fff, v3
	v_cndmask_b32_e64 v3, 0xffff8000, v3, s28
	v_lshrrev_b32_sdwa v3, s29, v3 dst_sel:DWORD dst_unused:UNUSED_PAD src0_sel:DWORD src1_sel:WORD_0
	v_and_b32_e32 v99, s42, v3
	s_or_b32 exec_lo, exec_lo, s34
	s_and_saveexec_b32 s34, s26
	s_cbranch_execz .LBB2077_306
.LBB2077_340:                           ;   in Loop: Header=BB2077_236 Depth=2
	ds_read_u16 v3, v47 offset:4096
	s_waitcnt lgkmcnt(0)
	v_cmp_ne_u16_e64 s28, 0x7fff, v3
	v_cndmask_b32_e64 v3, 0xffff8000, v3, s28
	v_lshrrev_b32_sdwa v3, s29, v3 dst_sel:DWORD dst_unused:UNUSED_PAD src0_sel:DWORD src1_sel:WORD_0
	v_and_b32_e32 v98, s42, v3
	s_or_b32 exec_lo, exec_lo, s34
	s_and_saveexec_b32 s34, s27
	s_cbranch_execnz .LBB2077_307
	s_branch .LBB2077_308
.LBB2077_341:                           ;   in Loop: Header=BB2077_236 Depth=2
	v_lshlrev_b32_e32 v3, 2, v104
	v_add_nc_u32_e32 v21, v47, v48
	ds_read_b32 v3, v3
	ds_read_b64 v[21:22], v21 offset:1024
	s_waitcnt lgkmcnt(1)
	v_add_nc_u32_e32 v3, v3, v0
	v_lshlrev_b64 v[24:25], 3, v[3:4]
	v_add_co_u32 v24, vcc_lo, s46, v24
	v_add_co_ci_u32_e64 v25, null, s47, v25, vcc_lo
	s_waitcnt lgkmcnt(0)
	global_store_dwordx2 v[24:25], v[21:22], off
	s_or_b32 exec_lo, exec_lo, s28
	s_and_saveexec_b32 s28, s21
	s_cbranch_execz .LBB2077_310
.LBB2077_342:                           ;   in Loop: Header=BB2077_236 Depth=2
	v_lshlrev_b32_e32 v3, 2, v103
	v_add_nc_u32_e32 v21, v47, v48
	ds_read_b32 v3, v3
	ds_read_b64 v[21:22], v21 offset:3072
	s_waitcnt lgkmcnt(1)
	v_add_nc_u32_e32 v3, v3, v30
	v_lshlrev_b64 v[24:25], 3, v[3:4]
	v_add_co_u32 v24, vcc_lo, s46, v24
	v_add_co_ci_u32_e64 v25, null, s47, v25, vcc_lo
	s_waitcnt lgkmcnt(0)
	global_store_dwordx2 v[24:25], v[21:22], off
	s_or_b32 exec_lo, exec_lo, s28
	s_and_saveexec_b32 s21, s22
	s_cbranch_execz .LBB2077_311
.LBB2077_343:                           ;   in Loop: Header=BB2077_236 Depth=2
	v_lshlrev_b32_e32 v3, 2, v102
	v_add_nc_u32_e32 v21, v47, v48
	ds_read_b32 v3, v3
	ds_read_b64 v[21:22], v21 offset:5120
	s_waitcnt lgkmcnt(1)
	v_add_nc_u32_e32 v3, v3, v31
	v_lshlrev_b64 v[24:25], 3, v[3:4]
	v_add_co_u32 v24, vcc_lo, s46, v24
	v_add_co_ci_u32_e64 v25, null, s47, v25, vcc_lo
	s_waitcnt lgkmcnt(0)
	global_store_dwordx2 v[24:25], v[21:22], off
	s_or_b32 exec_lo, exec_lo, s21
	s_and_saveexec_b32 s21, s23
	s_cbranch_execz .LBB2077_312
.LBB2077_344:                           ;   in Loop: Header=BB2077_236 Depth=2
	v_lshlrev_b32_e32 v3, 2, v101
	v_add_nc_u32_e32 v21, v47, v48
	ds_read_b32 v3, v3
	ds_read_b64 v[21:22], v21 offset:7168
	s_waitcnt lgkmcnt(1)
	v_add_nc_u32_e32 v3, v3, v32
	v_lshlrev_b64 v[24:25], 3, v[3:4]
	v_add_co_u32 v24, vcc_lo, s46, v24
	v_add_co_ci_u32_e64 v25, null, s47, v25, vcc_lo
	s_waitcnt lgkmcnt(0)
	global_store_dwordx2 v[24:25], v[21:22], off
	s_or_b32 exec_lo, exec_lo, s21
	s_and_saveexec_b32 s21, s24
	s_cbranch_execz .LBB2077_313
.LBB2077_345:                           ;   in Loop: Header=BB2077_236 Depth=2
	v_lshlrev_b32_e32 v3, 2, v100
	v_add_nc_u32_e32 v21, v47, v48
	ds_read_b32 v3, v3
	ds_read_b64 v[21:22], v21 offset:9216
	s_waitcnt lgkmcnt(1)
	v_add_nc_u32_e32 v3, v3, v35
	v_lshlrev_b64 v[24:25], 3, v[3:4]
	v_add_co_u32 v24, vcc_lo, s46, v24
	v_add_co_ci_u32_e64 v25, null, s47, v25, vcc_lo
	s_waitcnt lgkmcnt(0)
	global_store_dwordx2 v[24:25], v[21:22], off
	s_or_b32 exec_lo, exec_lo, s21
	s_and_saveexec_b32 s21, s25
	s_cbranch_execz .LBB2077_314
.LBB2077_346:                           ;   in Loop: Header=BB2077_236 Depth=2
	v_lshlrev_b32_e32 v3, 2, v99
	v_add_nc_u32_e32 v21, v47, v48
	ds_read_b32 v3, v3
	ds_read_b64 v[21:22], v21 offset:11264
	s_waitcnt lgkmcnt(1)
	v_add_nc_u32_e32 v3, v3, v36
	v_lshlrev_b64 v[24:25], 3, v[3:4]
	v_add_co_u32 v24, vcc_lo, s46, v24
	v_add_co_ci_u32_e64 v25, null, s47, v25, vcc_lo
	s_waitcnt lgkmcnt(0)
	global_store_dwordx2 v[24:25], v[21:22], off
	s_or_b32 exec_lo, exec_lo, s21
	s_and_saveexec_b32 s21, s26
	s_cbranch_execz .LBB2077_315
.LBB2077_347:                           ;   in Loop: Header=BB2077_236 Depth=2
	v_lshlrev_b32_e32 v3, 2, v98
	v_add_nc_u32_e32 v21, v47, v48
	ds_read_b32 v3, v3
	ds_read_b64 v[21:22], v21 offset:13312
	s_waitcnt lgkmcnt(1)
	v_add_nc_u32_e32 v3, v3, v37
	v_lshlrev_b64 v[24:25], 3, v[3:4]
	v_add_co_u32 v24, vcc_lo, s46, v24
	v_add_co_ci_u32_e64 v25, null, s47, v25, vcc_lo
	s_waitcnt lgkmcnt(0)
	global_store_dwordx2 v[24:25], v[21:22], off
	s_or_b32 exec_lo, exec_lo, s21
	s_and_saveexec_b32 s21, s27
	s_cbranch_execnz .LBB2077_316
	s_branch .LBB2077_317
.LBB2077_348:                           ;   in Loop: Header=BB2077_20 Depth=1
	s_waitcnt lgkmcnt(0)
	s_barrier
.LBB2077_349:                           ;   in Loop: Header=BB2077_20 Depth=1
	s_mov_b32 s5, 0
.LBB2077_350:                           ;   in Loop: Header=BB2077_20 Depth=1
	s_andn2_b32 vcc_lo, exec_lo, s5
	s_cbranch_vccnz .LBB2077_19
; %bb.351:                              ;   in Loop: Header=BB2077_20 Depth=1
	s_and_b32 vcc_lo, exec_lo, s51
	s_mov_b32 s5, -1
	s_cbranch_vccz .LBB2077_515
; %bb.352:                              ;   in Loop: Header=BB2077_20 Depth=1
	s_mov_b32 s5, s53
	s_mov_b32 s34, s33
	s_barrier
	buffer_gl0_inv
                                        ; implicit-def: $vgpr3
                                        ; implicit-def: $vgpr5
                                        ; implicit-def: $vgpr6
                                        ; implicit-def: $vgpr7
                                        ; implicit-def: $vgpr8
                                        ; implicit-def: $vgpr9
                                        ; implicit-def: $vgpr10
                                        ; implicit-def: $vgpr11
	s_branch .LBB2077_354
.LBB2077_353:                           ;   in Loop: Header=BB2077_354 Depth=2
	s_or_b32 exec_lo, exec_lo, s14
	s_addk_i32 s5, 0xf800
	s_cmp_ge_u32 s16, s52
	s_mov_b32 s34, s16
	s_cbranch_scc1 .LBB2077_390
.LBB2077_354:                           ;   Parent Loop BB2077_20 Depth=1
                                        ; =>  This Inner Loop Header: Depth=2
	s_add_i32 s16, s34, 0x800
	s_mov_b32 s14, -1
	s_cmp_gt_u32 s16, s52
                                        ; implicit-def: $vgpr12
                                        ; implicit-def: $vgpr13
                                        ; implicit-def: $vgpr14
                                        ; implicit-def: $vgpr15
                                        ; implicit-def: $vgpr16
                                        ; implicit-def: $vgpr17
                                        ; implicit-def: $vgpr18
                                        ; implicit-def: $vgpr19
	s_cbranch_scc1 .LBB2077_356
; %bb.355:                              ;   in Loop: Header=BB2077_354 Depth=2
	s_lshl_b64 s[14:15], s[34:35], 1
	v_add_co_u32 v15, vcc_lo, v55, s14
	v_add_co_ci_u32_e64 v16, null, s15, v56, vcc_lo
	s_mov_b32 s14, 0
	v_add_co_u32 v19, vcc_lo, 0x800, v15
	v_add_co_ci_u32_e64 v20, null, 0, v16, vcc_lo
	s_clause 0x7
	global_load_ushort v12, v[15:16], off
	global_load_ushort v13, v[15:16], off offset:512
	global_load_ushort v14, v[15:16], off offset:1024
	;; [unrolled: 1-line block ×3, first 2 shown]
	global_load_ushort v16, v[19:20], off
	global_load_ushort v17, v[19:20], off offset:512
	global_load_ushort v18, v[19:20], off offset:1024
	;; [unrolled: 1-line block ×3, first 2 shown]
.LBB2077_356:                           ;   in Loop: Header=BB2077_354 Depth=2
	s_andn2_b32 vcc_lo, exec_lo, s14
	s_movk_i32 s14, 0x800
	s_cbranch_vccnz .LBB2077_367
; %bb.357:                              ;   in Loop: Header=BB2077_354 Depth=2
	s_lshl_b64 s[14:15], s[34:35], 1
	s_mov_b32 s17, exec_lo
	s_add_u32 s14, s36, s14
	s_addc_u32 s15, s37, s15
	v_cmpx_gt_u32_e64 s5, v0
	s_cbranch_execnz .LBB2077_383
; %bb.358:                              ;   in Loop: Header=BB2077_354 Depth=2
	s_or_b32 exec_lo, exec_lo, s17
	s_mov_b32 s17, exec_lo
	v_cmpx_gt_u32_e64 s5, v30
	s_cbranch_execnz .LBB2077_384
.LBB2077_359:                           ;   in Loop: Header=BB2077_354 Depth=2
	s_or_b32 exec_lo, exec_lo, s17
	s_mov_b32 s17, exec_lo
	v_cmpx_gt_u32_e64 s5, v31
	s_cbranch_execnz .LBB2077_385
.LBB2077_360:                           ;   in Loop: Header=BB2077_354 Depth=2
	s_or_b32 exec_lo, exec_lo, s17
	s_mov_b32 s17, exec_lo
	v_cmpx_gt_u32_e64 s5, v32
	s_cbranch_execnz .LBB2077_386
.LBB2077_361:                           ;   in Loop: Header=BB2077_354 Depth=2
	s_or_b32 exec_lo, exec_lo, s17
	s_mov_b32 s17, exec_lo
	v_cmpx_gt_u32_e64 s5, v35
	s_cbranch_execnz .LBB2077_387
.LBB2077_362:                           ;   in Loop: Header=BB2077_354 Depth=2
	s_or_b32 exec_lo, exec_lo, s17
	s_mov_b32 s17, exec_lo
	v_cmpx_gt_u32_e64 s5, v36
	s_cbranch_execnz .LBB2077_388
.LBB2077_363:                           ;   in Loop: Header=BB2077_354 Depth=2
	s_or_b32 exec_lo, exec_lo, s17
	s_mov_b32 s17, exec_lo
	v_cmpx_gt_u32_e64 s5, v37
	s_cbranch_execnz .LBB2077_389
.LBB2077_364:                           ;   in Loop: Header=BB2077_354 Depth=2
	s_or_b32 exec_lo, exec_lo, s17
	s_mov_b32 s17, exec_lo
	v_cmpx_gt_u32_e64 s5, v38
	s_cbranch_execz .LBB2077_366
.LBB2077_365:                           ;   in Loop: Header=BB2077_354 Depth=2
	global_load_ushort v3, v87, s[14:15]
.LBB2077_366:                           ;   in Loop: Header=BB2077_354 Depth=2
	s_or_b32 exec_lo, exec_lo, s17
	s_waitcnt vmcnt(0)
	v_mov_b32_e32 v12, v11
	v_mov_b32_e32 v13, v10
	;; [unrolled: 1-line block ×8, first 2 shown]
	s_mov_b32 s14, s5
.LBB2077_367:                           ;   in Loop: Header=BB2077_354 Depth=2
	s_waitcnt vmcnt(0)
	v_mov_b32_e32 v3, v19
	v_mov_b32_e32 v5, v18
	;; [unrolled: 1-line block ×8, first 2 shown]
	s_mov_b32 s15, exec_lo
	v_cmpx_gt_u32_e64 s14, v0
	s_cbranch_execnz .LBB2077_375
; %bb.368:                              ;   in Loop: Header=BB2077_354 Depth=2
	s_or_b32 exec_lo, exec_lo, s15
	s_mov_b32 s15, exec_lo
	v_cmpx_gt_u32_e64 s14, v30
	s_cbranch_execnz .LBB2077_376
.LBB2077_369:                           ;   in Loop: Header=BB2077_354 Depth=2
	s_or_b32 exec_lo, exec_lo, s15
	s_mov_b32 s15, exec_lo
	v_cmpx_gt_u32_e64 s14, v31
	s_cbranch_execnz .LBB2077_377
.LBB2077_370:                           ;   in Loop: Header=BB2077_354 Depth=2
	s_or_b32 exec_lo, exec_lo, s15
	s_mov_b32 s15, exec_lo
	v_cmpx_gt_u32_e64 s14, v32
	s_cbranch_execnz .LBB2077_378
.LBB2077_371:                           ;   in Loop: Header=BB2077_354 Depth=2
	s_or_b32 exec_lo, exec_lo, s15
	s_mov_b32 s15, exec_lo
	v_cmpx_gt_u32_e64 s14, v35
	s_cbranch_execnz .LBB2077_379
.LBB2077_372:                           ;   in Loop: Header=BB2077_354 Depth=2
	s_or_b32 exec_lo, exec_lo, s15
	s_mov_b32 s15, exec_lo
	v_cmpx_gt_u32_e64 s14, v36
	s_cbranch_execnz .LBB2077_380
.LBB2077_373:                           ;   in Loop: Header=BB2077_354 Depth=2
	s_or_b32 exec_lo, exec_lo, s15
	s_mov_b32 s15, exec_lo
	v_cmpx_gt_u32_e64 s14, v37
	s_cbranch_execnz .LBB2077_381
.LBB2077_374:                           ;   in Loop: Header=BB2077_354 Depth=2
	s_or_b32 exec_lo, exec_lo, s15
	v_cmp_gt_u32_e32 vcc_lo, s14, v38
	s_and_saveexec_b32 s14, vcc_lo
	s_cbranch_execz .LBB2077_353
	s_branch .LBB2077_382
.LBB2077_375:                           ;   in Loop: Header=BB2077_354 Depth=2
	v_cmp_lt_i16_e32 vcc_lo, -1, v11
	v_cndmask_b32_e64 v12, -1, 0xffff8000, vcc_lo
	v_xor_b32_e32 v12, v12, v11
	v_cmp_ne_u16_e32 vcc_lo, 0x7fff, v12
	v_cndmask_b32_e32 v12, 0xffff8000, v12, vcc_lo
	v_lshrrev_b32_sdwa v12, s49, v12 dst_sel:DWORD dst_unused:UNUSED_PAD src0_sel:DWORD src1_sel:WORD_0
	v_and_b32_e32 v12, s42, v12
	v_lshl_or_b32 v12, v12, 4, v40
	ds_add_u32 v12, v62
	s_or_b32 exec_lo, exec_lo, s15
	s_mov_b32 s15, exec_lo
	v_cmpx_gt_u32_e64 s14, v30
	s_cbranch_execz .LBB2077_369
.LBB2077_376:                           ;   in Loop: Header=BB2077_354 Depth=2
	v_cmp_lt_i16_e32 vcc_lo, -1, v10
	v_cndmask_b32_e64 v12, -1, 0xffff8000, vcc_lo
	v_xor_b32_e32 v12, v12, v10
	v_cmp_ne_u16_e32 vcc_lo, 0x7fff, v12
	v_cndmask_b32_e32 v12, 0xffff8000, v12, vcc_lo
	v_lshrrev_b32_sdwa v12, s49, v12 dst_sel:DWORD dst_unused:UNUSED_PAD src0_sel:DWORD src1_sel:WORD_0
	v_and_b32_e32 v12, s42, v12
	v_lshl_or_b32 v12, v12, 4, v40
	ds_add_u32 v12, v62
	s_or_b32 exec_lo, exec_lo, s15
	s_mov_b32 s15, exec_lo
	v_cmpx_gt_u32_e64 s14, v31
	s_cbranch_execz .LBB2077_370
.LBB2077_377:                           ;   in Loop: Header=BB2077_354 Depth=2
	v_cmp_lt_i16_e32 vcc_lo, -1, v9
	v_cndmask_b32_e64 v12, -1, 0xffff8000, vcc_lo
	v_xor_b32_e32 v12, v12, v9
	v_cmp_ne_u16_e32 vcc_lo, 0x7fff, v12
	v_cndmask_b32_e32 v12, 0xffff8000, v12, vcc_lo
	v_lshrrev_b32_sdwa v12, s49, v12 dst_sel:DWORD dst_unused:UNUSED_PAD src0_sel:DWORD src1_sel:WORD_0
	v_and_b32_e32 v12, s42, v12
	v_lshl_or_b32 v12, v12, 4, v40
	ds_add_u32 v12, v62
	s_or_b32 exec_lo, exec_lo, s15
	s_mov_b32 s15, exec_lo
	v_cmpx_gt_u32_e64 s14, v32
	s_cbranch_execz .LBB2077_371
.LBB2077_378:                           ;   in Loop: Header=BB2077_354 Depth=2
	v_cmp_lt_i16_e32 vcc_lo, -1, v8
	v_cndmask_b32_e64 v12, -1, 0xffff8000, vcc_lo
	v_xor_b32_e32 v12, v12, v8
	v_cmp_ne_u16_e32 vcc_lo, 0x7fff, v12
	v_cndmask_b32_e32 v12, 0xffff8000, v12, vcc_lo
	v_lshrrev_b32_sdwa v12, s49, v12 dst_sel:DWORD dst_unused:UNUSED_PAD src0_sel:DWORD src1_sel:WORD_0
	v_and_b32_e32 v12, s42, v12
	v_lshl_or_b32 v12, v12, 4, v40
	ds_add_u32 v12, v62
	s_or_b32 exec_lo, exec_lo, s15
	s_mov_b32 s15, exec_lo
	v_cmpx_gt_u32_e64 s14, v35
	s_cbranch_execz .LBB2077_372
.LBB2077_379:                           ;   in Loop: Header=BB2077_354 Depth=2
	v_cmp_lt_i16_e32 vcc_lo, -1, v7
	v_cndmask_b32_e64 v12, -1, 0xffff8000, vcc_lo
	v_xor_b32_e32 v12, v12, v7
	v_cmp_ne_u16_e32 vcc_lo, 0x7fff, v12
	v_cndmask_b32_e32 v12, 0xffff8000, v12, vcc_lo
	v_lshrrev_b32_sdwa v12, s49, v12 dst_sel:DWORD dst_unused:UNUSED_PAD src0_sel:DWORD src1_sel:WORD_0
	v_and_b32_e32 v12, s42, v12
	v_lshl_or_b32 v12, v12, 4, v40
	ds_add_u32 v12, v62
	s_or_b32 exec_lo, exec_lo, s15
	s_mov_b32 s15, exec_lo
	v_cmpx_gt_u32_e64 s14, v36
	s_cbranch_execz .LBB2077_373
.LBB2077_380:                           ;   in Loop: Header=BB2077_354 Depth=2
	v_cmp_lt_i16_e32 vcc_lo, -1, v6
	v_cndmask_b32_e64 v12, -1, 0xffff8000, vcc_lo
	v_xor_b32_e32 v12, v12, v6
	v_cmp_ne_u16_e32 vcc_lo, 0x7fff, v12
	v_cndmask_b32_e32 v12, 0xffff8000, v12, vcc_lo
	v_lshrrev_b32_sdwa v12, s49, v12 dst_sel:DWORD dst_unused:UNUSED_PAD src0_sel:DWORD src1_sel:WORD_0
	v_and_b32_e32 v12, s42, v12
	v_lshl_or_b32 v12, v12, 4, v40
	ds_add_u32 v12, v62
	s_or_b32 exec_lo, exec_lo, s15
	s_mov_b32 s15, exec_lo
	v_cmpx_gt_u32_e64 s14, v37
	s_cbranch_execz .LBB2077_374
.LBB2077_381:                           ;   in Loop: Header=BB2077_354 Depth=2
	v_cmp_lt_i16_e32 vcc_lo, -1, v5
	v_cndmask_b32_e64 v12, -1, 0xffff8000, vcc_lo
	v_xor_b32_e32 v12, v12, v5
	v_cmp_ne_u16_e32 vcc_lo, 0x7fff, v12
	v_cndmask_b32_e32 v12, 0xffff8000, v12, vcc_lo
	v_lshrrev_b32_sdwa v12, s49, v12 dst_sel:DWORD dst_unused:UNUSED_PAD src0_sel:DWORD src1_sel:WORD_0
	v_and_b32_e32 v12, s42, v12
	v_lshl_or_b32 v12, v12, 4, v40
	ds_add_u32 v12, v62
	s_or_b32 exec_lo, exec_lo, s15
	v_cmp_gt_u32_e32 vcc_lo, s14, v38
	s_and_saveexec_b32 s14, vcc_lo
	s_cbranch_execz .LBB2077_353
.LBB2077_382:                           ;   in Loop: Header=BB2077_354 Depth=2
	v_cmp_lt_i16_e32 vcc_lo, -1, v3
	v_cndmask_b32_e64 v12, -1, 0xffff8000, vcc_lo
	v_xor_b32_e32 v12, v12, v3
	v_cmp_ne_u16_e32 vcc_lo, 0x7fff, v12
	v_cndmask_b32_e32 v12, 0xffff8000, v12, vcc_lo
	v_lshrrev_b32_sdwa v12, s49, v12 dst_sel:DWORD dst_unused:UNUSED_PAD src0_sel:DWORD src1_sel:WORD_0
	v_and_b32_e32 v12, s42, v12
	v_lshl_or_b32 v12, v12, 4, v40
	ds_add_u32 v12, v62
	s_branch .LBB2077_353
.LBB2077_383:                           ;   in Loop: Header=BB2077_354 Depth=2
	global_load_ushort v11, v79, s[14:15]
	s_or_b32 exec_lo, exec_lo, s17
	s_mov_b32 s17, exec_lo
	v_cmpx_gt_u32_e64 s5, v30
	s_cbranch_execz .LBB2077_359
.LBB2077_384:                           ;   in Loop: Header=BB2077_354 Depth=2
	global_load_ushort v10, v79, s[14:15] offset:512
	s_or_b32 exec_lo, exec_lo, s17
	s_mov_b32 s17, exec_lo
	v_cmpx_gt_u32_e64 s5, v31
	s_cbranch_execz .LBB2077_360
.LBB2077_385:                           ;   in Loop: Header=BB2077_354 Depth=2
	global_load_ushort v9, v79, s[14:15] offset:1024
	s_or_b32 exec_lo, exec_lo, s17
	s_mov_b32 s17, exec_lo
	v_cmpx_gt_u32_e64 s5, v32
	s_cbranch_execz .LBB2077_361
.LBB2077_386:                           ;   in Loop: Header=BB2077_354 Depth=2
	global_load_ushort v8, v79, s[14:15] offset:1536
	s_or_b32 exec_lo, exec_lo, s17
	s_mov_b32 s17, exec_lo
	v_cmpx_gt_u32_e64 s5, v35
	s_cbranch_execz .LBB2077_362
.LBB2077_387:                           ;   in Loop: Header=BB2077_354 Depth=2
	global_load_ushort v7, v80, s[14:15]
	s_or_b32 exec_lo, exec_lo, s17
	s_mov_b32 s17, exec_lo
	v_cmpx_gt_u32_e64 s5, v36
	s_cbranch_execz .LBB2077_363
.LBB2077_388:                           ;   in Loop: Header=BB2077_354 Depth=2
	global_load_ushort v6, v81, s[14:15]
	s_or_b32 exec_lo, exec_lo, s17
	s_mov_b32 s17, exec_lo
	v_cmpx_gt_u32_e64 s5, v37
	s_cbranch_execz .LBB2077_364
.LBB2077_389:                           ;   in Loop: Header=BB2077_354 Depth=2
	global_load_ushort v5, v82, s[14:15]
	s_or_b32 exec_lo, exec_lo, s17
	s_mov_b32 s17, exec_lo
	v_cmpx_gt_u32_e64 s5, v38
	s_cbranch_execnz .LBB2077_365
	s_branch .LBB2077_366
.LBB2077_390:                           ;   in Loop: Header=BB2077_20 Depth=1
	v_mov_b32_e32 v3, 0
	s_waitcnt lgkmcnt(0)
	s_barrier
	buffer_gl0_inv
	s_and_saveexec_b32 s5, s8
	s_cbranch_execz .LBB2077_392
; %bb.391:                              ;   in Loop: Header=BB2077_20 Depth=1
	ds_read2_b64 v[5:8], v41 offset1:1
	s_waitcnt lgkmcnt(0)
	v_add_nc_u32_e32 v3, v6, v5
	v_add3_u32 v3, v3, v7, v8
.LBB2077_392:                           ;   in Loop: Header=BB2077_20 Depth=1
	s_or_b32 exec_lo, exec_lo, s5
	v_mov_b32_dpp v5, v3 row_shr:1 row_mask:0xf bank_mask:0xf
	v_cmp_eq_u32_e64 s5, 0, v63
	v_cmp_lt_u32_e64 s14, 1, v63
	v_cmp_lt_u32_e64 s15, 3, v63
	;; [unrolled: 1-line block ×3, first 2 shown]
	v_cmp_eq_u32_e64 s17, 0, v65
	v_cndmask_b32_e64 v5, v5, 0, s5
	v_add_nc_u32_e32 v3, v5, v3
	v_mov_b32_dpp v5, v3 row_shr:2 row_mask:0xf bank_mask:0xf
	v_cndmask_b32_e64 v5, 0, v5, s14
	v_add_nc_u32_e32 v3, v3, v5
	v_mov_b32_dpp v5, v3 row_shr:4 row_mask:0xf bank_mask:0xf
	;; [unrolled: 3-line block ×3, first 2 shown]
	v_cndmask_b32_e64 v5, 0, v5, s16
	v_add_nc_u32_e32 v3, v3, v5
	ds_swizzle_b32 v5, v3 offset:swizzle(BROADCAST,32,15)
	s_waitcnt lgkmcnt(0)
	v_and_b32_e32 v5, v64, v5
	v_add_nc_u32_e32 v3, v3, v5
	s_and_saveexec_b32 s18, s9
; %bb.393:                              ;   in Loop: Header=BB2077_20 Depth=1
	ds_write_b32 v42, v3
; %bb.394:                              ;   in Loop: Header=BB2077_20 Depth=1
	s_or_b32 exec_lo, exec_lo, s18
	s_waitcnt lgkmcnt(0)
	s_barrier
	buffer_gl0_inv
	s_and_saveexec_b32 s18, s10
	s_cbranch_execz .LBB2077_396
; %bb.395:                              ;   in Loop: Header=BB2077_20 Depth=1
	ds_read_b32 v5, v43
	v_cmp_ne_u32_e32 vcc_lo, 0, v67
	s_waitcnt lgkmcnt(0)
	v_mov_b32_dpp v6, v5 row_shr:1 row_mask:0xf bank_mask:0xf
	v_cndmask_b32_e32 v6, 0, v6, vcc_lo
	v_cmp_lt_u32_e32 vcc_lo, 1, v67
	v_add_nc_u32_e32 v5, v6, v5
	v_mov_b32_dpp v6, v5 row_shr:2 row_mask:0xf bank_mask:0xf
	v_cndmask_b32_e32 v6, 0, v6, vcc_lo
	v_cmp_lt_u32_e32 vcc_lo, 3, v67
	v_add_nc_u32_e32 v5, v5, v6
	v_mov_b32_dpp v6, v5 row_shr:4 row_mask:0xf bank_mask:0xf
	v_cndmask_b32_e32 v6, 0, v6, vcc_lo
	v_add_nc_u32_e32 v5, v5, v6
	ds_write_b32 v43, v5
.LBB2077_396:                           ;   in Loop: Header=BB2077_20 Depth=1
	s_or_b32 exec_lo, exec_lo, s18
	v_mov_b32_e32 v5, 0
	s_waitcnt lgkmcnt(0)
	s_barrier
	buffer_gl0_inv
	s_and_saveexec_b32 s18, s11
; %bb.397:                              ;   in Loop: Header=BB2077_20 Depth=1
	ds_read_b32 v5, v45
; %bb.398:                              ;   in Loop: Header=BB2077_20 Depth=1
	s_or_b32 exec_lo, exec_lo, s18
	v_cmp_gt_i32_e32 vcc_lo, 0, v68
	s_waitcnt lgkmcnt(0)
	v_add_nc_u32_e32 v3, v5, v3
	s_barrier
	buffer_gl0_inv
	v_cndmask_b32_e32 v6, v68, v59, vcc_lo
	v_lshlrev_b32_e32 v91, 2, v6
	ds_bpermute_b32 v3, v91, v3
	s_and_saveexec_b32 s18, s8
	s_cbranch_execz .LBB2077_400
; %bb.399:                              ;   in Loop: Header=BB2077_20 Depth=1
	s_waitcnt lgkmcnt(0)
	v_cndmask_b32_e64 v3, v3, v5, s13
	v_add_nc_u32_e32 v3, s33, v3
	ds_write_b32 v29, v3
.LBB2077_400:                           ;   in Loop: Header=BB2077_20 Depth=1
	s_or_b32 exec_lo, exec_lo, s18
	s_load_dwordx2 s[18:19], s[30:31], 0x0
	v_add_co_u32 v92, vcc_lo, v57, v69
	v_add_co_ci_u32_e64 v93, null, 0, v58, vcc_lo
	v_add_co_u32 v94, vcc_lo, v60, v77
	v_add_co_ci_u32_e64 v95, null, 0, v61, vcc_lo
	s_mov_b32 s43, s53
	s_mov_b32 s34, s33
                                        ; implicit-def: $vgpr7_vgpr8
                                        ; implicit-def: $vgpr9_vgpr10
                                        ; implicit-def: $vgpr11_vgpr12
                                        ; implicit-def: $vgpr13_vgpr14
                                        ; implicit-def: $vgpr15_vgpr16
                                        ; implicit-def: $vgpr17_vgpr18
                                        ; implicit-def: $vgpr19_vgpr20
                                        ; implicit-def: $vgpr97
                                        ; implicit-def: $vgpr98
                                        ; implicit-def: $vgpr99
                                        ; implicit-def: $vgpr100
                                        ; implicit-def: $vgpr101
                                        ; implicit-def: $vgpr102
                                        ; implicit-def: $vgpr103
                                        ; implicit-def: $vgpr104
	s_waitcnt lgkmcnt(0)
	s_cmp_lt_u32 s7, s19
	s_cselect_b32 s19, 14, 20
	s_add_u32 s20, s30, s19
	s_addc_u32 s21, s31, 0
	s_cmp_lt_u32 s6, s18
	global_load_ushort v3, v4, s[20:21]
	s_cselect_b32 s18, 12, 18
	s_add_u32 s18, s30, s18
	s_addc_u32 s19, s31, 0
	global_load_ushort v5, v4, s[18:19]
	v_cmp_eq_u32_e64 s18, 0, v67
	v_cmp_lt_u32_e64 s19, 1, v67
	v_cmp_lt_u32_e64 s20, 3, v67
	s_waitcnt vmcnt(1)
	v_mad_u32_u24 v3, v2, v3, v1
	s_waitcnt vmcnt(0)
	v_mad_u64_u32 v[5:6], null, v3, v5, v[0:1]
	v_lshrrev_b32_e32 v3, 3, v5
                                        ; implicit-def: $vgpr5_vgpr6
	v_and_b32_e32 v96, 0x1ffffffc, v3
	s_branch .LBB2077_402
.LBB2077_401:                           ;   in Loop: Header=BB2077_402 Depth=2
	s_or_b32 exec_lo, exec_lo, s21
	s_addk_i32 s43, 0xf800
	s_cmp_lt_u32 s48, s52
	s_mov_b32 s34, s48
	s_cbranch_scc0 .LBB2077_514
.LBB2077_402:                           ;   Parent Loop BB2077_20 Depth=1
                                        ; =>  This Inner Loop Header: Depth=2
	s_add_i32 s48, s34, 0x800
	s_cmp_gt_u32 s48, s52
	s_cbranch_scc1 .LBB2077_404
; %bb.403:                              ;   in Loop: Header=BB2077_402 Depth=2
	s_lshl_b64 s[22:23], s[34:35], 1
	s_mov_b32 s21, -1
	v_add_co_u32 v21, vcc_lo, v94, s22
	v_add_co_ci_u32_e64 v22, null, s23, v95, vcc_lo
	s_clause 0x6
	global_load_ushort v3, v[21:22], off
	global_load_ushort v28, v[21:22], off offset:64
	global_load_ushort v27, v[21:22], off offset:128
	;; [unrolled: 1-line block ×6, first 2 shown]
	s_movk_i32 s22, 0x800
	s_cbranch_execz .LBB2077_405
	s_branch .LBB2077_420
.LBB2077_404:                           ;   in Loop: Header=BB2077_402 Depth=2
	s_mov_b32 s21, 0
                                        ; implicit-def: $vgpr3
                                        ; implicit-def: $vgpr28
                                        ; implicit-def: $vgpr27
                                        ; implicit-def: $vgpr26
                                        ; implicit-def: $vgpr25
                                        ; implicit-def: $vgpr24
                                        ; implicit-def: $vgpr23
	s_movk_i32 s22, 0x800
.LBB2077_405:                           ;   in Loop: Header=BB2077_402 Depth=2
	s_lshl_b64 s[22:23], s[34:35], 1
	s_waitcnt vmcnt(5)
	v_mov_b32_e32 v28, 0x7fff
	v_add_co_u32 v21, vcc_lo, v94, s22
	v_add_co_ci_u32_e64 v22, null, s23, v95, vcc_lo
	v_mov_b32_e32 v3, 0x7fff
	s_mov_b32 s21, exec_lo
	v_cmpx_gt_u32_e64 s43, v66
	s_cbranch_execz .LBB2077_407
; %bb.406:                              ;   in Loop: Header=BB2077_402 Depth=2
	global_load_ushort v3, v[21:22], off
.LBB2077_407:                           ;   in Loop: Header=BB2077_402 Depth=2
	s_or_b32 exec_lo, exec_lo, s21
	s_mov_b32 s21, exec_lo
	v_cmpx_gt_u32_e64 s43, v70
	s_cbranch_execz .LBB2077_409
; %bb.408:                              ;   in Loop: Header=BB2077_402 Depth=2
	global_load_ushort v28, v[21:22], off offset:64
.LBB2077_409:                           ;   in Loop: Header=BB2077_402 Depth=2
	s_or_b32 exec_lo, exec_lo, s21
	s_waitcnt vmcnt(3)
	v_mov_b32_e32 v26, 0x7fff
	v_mov_b32_e32 v27, 0x7fff
	s_mov_b32 s21, exec_lo
	v_cmpx_gt_u32_e64 s43, v71
	s_cbranch_execz .LBB2077_411
; %bb.410:                              ;   in Loop: Header=BB2077_402 Depth=2
	global_load_ushort v27, v[21:22], off offset:128
.LBB2077_411:                           ;   in Loop: Header=BB2077_402 Depth=2
	s_or_b32 exec_lo, exec_lo, s21
	s_mov_b32 s21, exec_lo
	v_cmpx_gt_u32_e64 s43, v72
	s_cbranch_execz .LBB2077_413
; %bb.412:                              ;   in Loop: Header=BB2077_402 Depth=2
	global_load_ushort v26, v[21:22], off offset:192
.LBB2077_413:                           ;   in Loop: Header=BB2077_402 Depth=2
	s_or_b32 exec_lo, exec_lo, s21
	s_waitcnt vmcnt(1)
	v_mov_b32_e32 v24, 0x7fff
	v_mov_b32_e32 v25, 0x7fff
	s_mov_b32 s21, exec_lo
	v_cmpx_gt_u32_e64 s43, v73
	s_cbranch_execz .LBB2077_415
; %bb.414:                              ;   in Loop: Header=BB2077_402 Depth=2
	global_load_ushort v25, v[21:22], off offset:256
.LBB2077_415:                           ;   in Loop: Header=BB2077_402 Depth=2
	s_or_b32 exec_lo, exec_lo, s21
	s_mov_b32 s21, exec_lo
	v_cmpx_gt_u32_e64 s43, v74
	s_cbranch_execz .LBB2077_417
; %bb.416:                              ;   in Loop: Header=BB2077_402 Depth=2
	global_load_ushort v24, v[21:22], off offset:320
.LBB2077_417:                           ;   in Loop: Header=BB2077_402 Depth=2
	s_or_b32 exec_lo, exec_lo, s21
	s_waitcnt vmcnt(0)
	v_mov_b32_e32 v23, 0x7fff
	s_mov_b32 s21, exec_lo
	v_cmpx_gt_u32_e64 s43, v75
	s_cbranch_execz .LBB2077_419
; %bb.418:                              ;   in Loop: Header=BB2077_402 Depth=2
	global_load_ushort v23, v[21:22], off offset:384
.LBB2077_419:                           ;   in Loop: Header=BB2077_402 Depth=2
	s_or_b32 exec_lo, exec_lo, s21
	v_cmp_gt_u32_e64 s21, s43, v76
	s_sub_i32 s22, s52, s34
.LBB2077_420:                           ;   in Loop: Header=BB2077_402 Depth=2
	v_mov_b32_e32 v21, 0x7fff
	v_mov_b32_e32 v105, s43
	s_and_saveexec_b32 s23, s21
	s_cbranch_execz .LBB2077_422
; %bb.421:                              ;   in Loop: Header=BB2077_402 Depth=2
	s_lshl_b64 s[24:25], s[34:35], 1
	v_mov_b32_e32 v105, s22
	v_add_co_u32 v21, vcc_lo, v94, s24
	v_add_co_ci_u32_e64 v22, null, s25, v95, vcc_lo
	global_load_ushort v21, v[21:22], off offset:448
.LBB2077_422:                           ;   in Loop: Header=BB2077_402 Depth=2
	s_or_b32 exec_lo, exec_lo, s23
	s_waitcnt vmcnt(6)
	v_cmp_lt_i16_e32 vcc_lo, -1, v3
	ds_write2_b32 v78, v4, v4 offset1:1
	ds_write2_b32 v88, v4, v4 offset1:1
	;; [unrolled: 1-line block ×4, first 2 shown]
	ds_write_b32 v44, v4 offset:1088
	s_waitcnt vmcnt(0) lgkmcnt(0)
	s_barrier
	v_cndmask_b32_e64 v22, -1, 0xffff8000, vcc_lo
	buffer_gl0_inv
	; wave barrier
	v_xor_b32_e32 v3, v22, v3
	v_cmp_ne_u16_e32 vcc_lo, 0x7fff, v3
	v_cndmask_b32_e32 v22, 0xffff8000, v3, vcc_lo
	v_lshrrev_b32_sdwa v22, s49, v22 dst_sel:DWORD dst_unused:UNUSED_PAD src0_sel:DWORD src1_sel:WORD_0
	v_and_b32_e32 v107, s42, v22
	v_and_b32_e32 v22, 1, v107
	v_lshlrev_b32_e32 v106, 30, v107
	v_lshlrev_b32_e32 v108, 29, v107
	;; [unrolled: 1-line block ×4, first 2 shown]
	v_add_co_u32 v22, s21, v22, -1
	v_cndmask_b32_e64 v110, 0, 1, s21
	v_not_b32_e32 v114, v106
	v_cmp_gt_i32_e64 s21, 0, v106
	v_not_b32_e32 v106, v108
	v_lshlrev_b32_e32 v112, 26, v107
	v_cmp_ne_u32_e32 vcc_lo, 0, v110
	v_ashrrev_i32_e32 v114, 31, v114
	v_lshlrev_b32_e32 v113, 25, v107
	v_ashrrev_i32_e32 v106, 31, v106
	v_lshlrev_b32_e32 v110, 24, v107
	v_xor_b32_e32 v22, vcc_lo, v22
	v_cmp_gt_i32_e32 vcc_lo, 0, v108
	v_not_b32_e32 v108, v109
	v_xor_b32_e32 v114, s21, v114
	v_cmp_gt_i32_e64 s21, 0, v109
	v_and_b32_e32 v22, exec_lo, v22
	v_not_b32_e32 v109, v111
	v_ashrrev_i32_e32 v108, 31, v108
	v_xor_b32_e32 v106, vcc_lo, v106
	v_cmp_gt_i32_e32 vcc_lo, 0, v111
	v_and_b32_e32 v22, v22, v114
	v_not_b32_e32 v111, v112
	v_ashrrev_i32_e32 v109, 31, v109
	v_xor_b32_e32 v108, s21, v108
	v_cmp_gt_i32_e64 s21, 0, v112
	v_and_b32_e32 v22, v22, v106
	v_not_b32_e32 v106, v113
	v_ashrrev_i32_e32 v111, 31, v111
	v_xor_b32_e32 v109, vcc_lo, v109
	v_cmp_gt_i32_e32 vcc_lo, 0, v113
	v_and_b32_e32 v22, v22, v108
	v_not_b32_e32 v108, v110
	v_ashrrev_i32_e32 v106, 31, v106
	v_xor_b32_e32 v111, s21, v111
	v_cmp_gt_i32_e64 s21, 0, v110
	v_and_b32_e32 v22, v22, v109
	v_ashrrev_i32_e32 v108, 31, v108
	v_xor_b32_e32 v106, vcc_lo, v106
	v_mul_u32_u24_e32 v107, 36, v107
	v_and_b32_e32 v22, v22, v111
	v_xor_b32_e32 v108, s21, v108
	v_and_b32_e32 v22, v22, v106
	v_and_b32_e32 v22, v22, v108
	v_add_nc_u32_e32 v108, v96, v107
	v_mbcnt_lo_u32_b32 v106, v22, 0
	v_cmp_ne_u32_e64 s21, 0, v22
	v_cmp_eq_u32_e32 vcc_lo, 0, v106
	s_and_b32 s22, s21, vcc_lo
	s_and_saveexec_b32 s21, s22
; %bb.423:                              ;   in Loop: Header=BB2077_402 Depth=2
	v_bcnt_u32_b32 v22, v22, 0
	ds_write_b32 v108, v22 offset:1056
; %bb.424:                              ;   in Loop: Header=BB2077_402 Depth=2
	s_or_b32 exec_lo, exec_lo, s21
	v_cmp_lt_i16_e32 vcc_lo, -1, v28
	; wave barrier
	v_cndmask_b32_e64 v22, -1, 0xffff8000, vcc_lo
	v_xor_b32_e32 v107, v22, v28
	v_cmp_ne_u16_e32 vcc_lo, 0x7fff, v107
	v_cndmask_b32_e32 v22, 0xffff8000, v107, vcc_lo
	v_lshrrev_b32_sdwa v22, s49, v22 dst_sel:DWORD dst_unused:UNUSED_PAD src0_sel:DWORD src1_sel:WORD_0
	v_and_b32_e32 v28, s42, v22
	v_and_b32_e32 v22, 1, v28
	v_lshlrev_b32_e32 v109, 30, v28
	v_lshlrev_b32_e32 v110, 29, v28
	;; [unrolled: 1-line block ×4, first 2 shown]
	v_add_co_u32 v22, s21, v22, -1
	v_cndmask_b32_e64 v112, 0, 1, s21
	v_not_b32_e32 v116, v109
	v_cmp_gt_i32_e64 s21, 0, v109
	v_not_b32_e32 v109, v110
	v_lshlrev_b32_e32 v114, 26, v28
	v_cmp_ne_u32_e32 vcc_lo, 0, v112
	v_ashrrev_i32_e32 v116, 31, v116
	v_lshlrev_b32_e32 v115, 25, v28
	v_ashrrev_i32_e32 v109, 31, v109
	v_lshlrev_b32_e32 v112, 24, v28
	v_xor_b32_e32 v22, vcc_lo, v22
	v_cmp_gt_i32_e32 vcc_lo, 0, v110
	v_not_b32_e32 v110, v111
	v_xor_b32_e32 v116, s21, v116
	v_cmp_gt_i32_e64 s21, 0, v111
	v_and_b32_e32 v22, exec_lo, v22
	v_not_b32_e32 v111, v113
	v_ashrrev_i32_e32 v110, 31, v110
	v_xor_b32_e32 v109, vcc_lo, v109
	v_cmp_gt_i32_e32 vcc_lo, 0, v113
	v_and_b32_e32 v22, v22, v116
	v_not_b32_e32 v113, v114
	v_ashrrev_i32_e32 v111, 31, v111
	v_xor_b32_e32 v110, s21, v110
	v_cmp_gt_i32_e64 s21, 0, v114
	v_and_b32_e32 v22, v22, v109
	v_not_b32_e32 v109, v115
	v_ashrrev_i32_e32 v113, 31, v113
	v_xor_b32_e32 v111, vcc_lo, v111
	v_cmp_gt_i32_e32 vcc_lo, 0, v115
	v_and_b32_e32 v22, v22, v110
	v_not_b32_e32 v110, v112
	v_ashrrev_i32_e32 v109, 31, v109
	v_xor_b32_e32 v113, s21, v113
	v_cmp_gt_i32_e64 s21, 0, v112
	v_and_b32_e32 v22, v22, v111
	v_ashrrev_i32_e32 v110, 31, v110
	v_xor_b32_e32 v109, vcc_lo, v109
	v_mad_u32_u24 v111, v28, 36, v96
	v_mul_u32_u24_e32 v28, 36, v28
	v_and_b32_e32 v22, v22, v113
	v_xor_b32_e32 v110, s21, v110
	v_add_nc_u32_e32 v112, v96, v28
	v_and_b32_e32 v22, v22, v109
	ds_read_b32 v109, v111 offset:1056
	; wave barrier
	v_and_b32_e32 v22, v22, v110
	v_mbcnt_lo_u32_b32 v110, v22, 0
	v_cmp_ne_u32_e64 s21, 0, v22
	v_cmp_eq_u32_e32 vcc_lo, 0, v110
	s_and_b32 s22, s21, vcc_lo
	s_and_saveexec_b32 s21, s22
	s_cbranch_execz .LBB2077_426
; %bb.425:                              ;   in Loop: Header=BB2077_402 Depth=2
	s_waitcnt lgkmcnt(0)
	v_bcnt_u32_b32 v22, v22, v109
	ds_write_b32 v112, v22 offset:1056
.LBB2077_426:                           ;   in Loop: Header=BB2077_402 Depth=2
	s_or_b32 exec_lo, exec_lo, s21
	v_cmp_lt_i16_e32 vcc_lo, -1, v27
	; wave barrier
	v_cndmask_b32_e64 v22, -1, 0xffff8000, vcc_lo
	v_xor_b32_e32 v111, v22, v27
	v_cmp_ne_u16_e32 vcc_lo, 0x7fff, v111
	v_cndmask_b32_e32 v22, 0xffff8000, v111, vcc_lo
	v_lshrrev_b32_sdwa v22, s49, v22 dst_sel:DWORD dst_unused:UNUSED_PAD src0_sel:DWORD src1_sel:WORD_0
	v_and_b32_e32 v27, s42, v22
	v_and_b32_e32 v22, 1, v27
	v_lshlrev_b32_e32 v28, 30, v27
	v_lshlrev_b32_e32 v113, 29, v27
	;; [unrolled: 1-line block ×4, first 2 shown]
	v_add_co_u32 v22, s21, v22, -1
	v_cndmask_b32_e64 v115, 0, 1, s21
	v_not_b32_e32 v119, v28
	v_cmp_gt_i32_e64 s21, 0, v28
	v_not_b32_e32 v28, v113
	v_lshlrev_b32_e32 v117, 26, v27
	v_cmp_ne_u32_e32 vcc_lo, 0, v115
	v_ashrrev_i32_e32 v119, 31, v119
	v_lshlrev_b32_e32 v118, 25, v27
	v_ashrrev_i32_e32 v28, 31, v28
	v_lshlrev_b32_e32 v115, 24, v27
	v_xor_b32_e32 v22, vcc_lo, v22
	v_cmp_gt_i32_e32 vcc_lo, 0, v113
	v_not_b32_e32 v113, v114
	v_xor_b32_e32 v119, s21, v119
	v_cmp_gt_i32_e64 s21, 0, v114
	v_and_b32_e32 v22, exec_lo, v22
	v_not_b32_e32 v114, v116
	v_ashrrev_i32_e32 v113, 31, v113
	v_xor_b32_e32 v28, vcc_lo, v28
	v_cmp_gt_i32_e32 vcc_lo, 0, v116
	v_and_b32_e32 v22, v22, v119
	v_not_b32_e32 v116, v117
	v_ashrrev_i32_e32 v114, 31, v114
	v_xor_b32_e32 v113, s21, v113
	v_cmp_gt_i32_e64 s21, 0, v117
	v_and_b32_e32 v22, v22, v28
	v_not_b32_e32 v28, v118
	v_ashrrev_i32_e32 v116, 31, v116
	v_xor_b32_e32 v114, vcc_lo, v114
	v_cmp_gt_i32_e32 vcc_lo, 0, v118
	v_and_b32_e32 v22, v22, v113
	v_not_b32_e32 v113, v115
	v_ashrrev_i32_e32 v28, 31, v28
	v_xor_b32_e32 v116, s21, v116
	v_cmp_gt_i32_e64 s21, 0, v115
	v_and_b32_e32 v22, v22, v114
	v_ashrrev_i32_e32 v113, 31, v113
	v_xor_b32_e32 v28, vcc_lo, v28
	v_mad_u32_u24 v114, v27, 36, v96
	v_mul_u32_u24_e32 v27, 36, v27
	v_and_b32_e32 v22, v22, v116
	v_xor_b32_e32 v115, s21, v113
	ds_read_b32 v113, v114 offset:1056
	v_add_nc_u32_e32 v116, v96, v27
	v_and_b32_e32 v22, v22, v28
	; wave barrier
	v_and_b32_e32 v22, v22, v115
	v_mbcnt_lo_u32_b32 v115, v22, 0
	v_cmp_ne_u32_e64 s21, 0, v22
	v_cmp_eq_u32_e32 vcc_lo, 0, v115
	s_and_b32 s22, s21, vcc_lo
	s_and_saveexec_b32 s21, s22
	s_cbranch_execz .LBB2077_428
; %bb.427:                              ;   in Loop: Header=BB2077_402 Depth=2
	s_waitcnt lgkmcnt(0)
	v_bcnt_u32_b32 v22, v22, v113
	ds_write_b32 v116, v22 offset:1056
.LBB2077_428:                           ;   in Loop: Header=BB2077_402 Depth=2
	s_or_b32 exec_lo, exec_lo, s21
	v_cmp_lt_i16_e32 vcc_lo, -1, v26
	; wave barrier
	v_cndmask_b32_e64 v22, -1, 0xffff8000, vcc_lo
	v_xor_b32_e32 v114, v22, v26
	v_cmp_ne_u16_e32 vcc_lo, 0x7fff, v114
	v_cndmask_b32_e32 v22, 0xffff8000, v114, vcc_lo
	v_lshrrev_b32_sdwa v22, s49, v22 dst_sel:DWORD dst_unused:UNUSED_PAD src0_sel:DWORD src1_sel:WORD_0
	v_and_b32_e32 v26, s42, v22
	v_and_b32_e32 v22, 1, v26
	v_lshlrev_b32_e32 v27, 30, v26
	v_lshlrev_b32_e32 v28, 29, v26
	;; [unrolled: 1-line block ×4, first 2 shown]
	v_add_co_u32 v22, s21, v22, -1
	v_cndmask_b32_e64 v118, 0, 1, s21
	v_not_b32_e32 v122, v27
	v_cmp_gt_i32_e64 s21, 0, v27
	v_not_b32_e32 v27, v28
	v_lshlrev_b32_e32 v120, 26, v26
	v_cmp_ne_u32_e32 vcc_lo, 0, v118
	v_ashrrev_i32_e32 v122, 31, v122
	v_lshlrev_b32_e32 v121, 25, v26
	v_ashrrev_i32_e32 v27, 31, v27
	v_lshlrev_b32_e32 v118, 24, v26
	v_xor_b32_e32 v22, vcc_lo, v22
	v_cmp_gt_i32_e32 vcc_lo, 0, v28
	v_not_b32_e32 v28, v117
	v_xor_b32_e32 v122, s21, v122
	v_cmp_gt_i32_e64 s21, 0, v117
	v_and_b32_e32 v22, exec_lo, v22
	v_not_b32_e32 v117, v119
	v_ashrrev_i32_e32 v28, 31, v28
	v_xor_b32_e32 v27, vcc_lo, v27
	v_cmp_gt_i32_e32 vcc_lo, 0, v119
	v_and_b32_e32 v22, v22, v122
	v_not_b32_e32 v119, v120
	v_ashrrev_i32_e32 v117, 31, v117
	v_xor_b32_e32 v28, s21, v28
	v_cmp_gt_i32_e64 s21, 0, v120
	v_and_b32_e32 v22, v22, v27
	v_not_b32_e32 v27, v121
	v_ashrrev_i32_e32 v119, 31, v119
	v_xor_b32_e32 v117, vcc_lo, v117
	v_cmp_gt_i32_e32 vcc_lo, 0, v121
	v_and_b32_e32 v22, v22, v28
	v_not_b32_e32 v28, v118
	v_ashrrev_i32_e32 v27, 31, v27
	v_xor_b32_e32 v119, s21, v119
	v_cmp_gt_i32_e64 s21, 0, v118
	v_and_b32_e32 v22, v22, v117
	v_ashrrev_i32_e32 v28, 31, v28
	v_xor_b32_e32 v27, vcc_lo, v27
	v_mad_u32_u24 v117, v26, 36, v96
	v_mul_u32_u24_e32 v26, 36, v26
	v_and_b32_e32 v22, v22, v119
	v_xor_b32_e32 v28, s21, v28
	ds_read_b32 v117, v117 offset:1056
	v_add_nc_u32_e32 v120, v96, v26
	v_and_b32_e32 v22, v22, v27
	; wave barrier
	v_and_b32_e32 v22, v22, v28
	v_mbcnt_lo_u32_b32 v119, v22, 0
	v_cmp_ne_u32_e64 s21, 0, v22
	v_cmp_eq_u32_e32 vcc_lo, 0, v119
	s_and_b32 s22, s21, vcc_lo
	s_and_saveexec_b32 s21, s22
	s_cbranch_execz .LBB2077_430
; %bb.429:                              ;   in Loop: Header=BB2077_402 Depth=2
	s_waitcnt lgkmcnt(0)
	v_bcnt_u32_b32 v22, v22, v117
	ds_write_b32 v120, v22 offset:1056
.LBB2077_430:                           ;   in Loop: Header=BB2077_402 Depth=2
	s_or_b32 exec_lo, exec_lo, s21
	v_cmp_lt_i16_e32 vcc_lo, -1, v25
	; wave barrier
	v_cndmask_b32_e64 v22, -1, 0xffff8000, vcc_lo
	v_xor_b32_e32 v118, v22, v25
	v_cmp_ne_u16_e32 vcc_lo, 0x7fff, v118
	v_cndmask_b32_e32 v22, 0xffff8000, v118, vcc_lo
	v_lshrrev_b32_sdwa v22, s49, v22 dst_sel:DWORD dst_unused:UNUSED_PAD src0_sel:DWORD src1_sel:WORD_0
	v_and_b32_e32 v25, s42, v22
	v_and_b32_e32 v22, 1, v25
	v_lshlrev_b32_e32 v26, 30, v25
	v_lshlrev_b32_e32 v27, 29, v25
	;; [unrolled: 1-line block ×4, first 2 shown]
	v_add_co_u32 v22, s21, v22, -1
	v_cndmask_b32_e64 v121, 0, 1, s21
	v_not_b32_e32 v125, v26
	v_cmp_gt_i32_e64 s21, 0, v26
	v_not_b32_e32 v26, v27
	v_lshlrev_b32_e32 v123, 26, v25
	v_cmp_ne_u32_e32 vcc_lo, 0, v121
	v_ashrrev_i32_e32 v125, 31, v125
	v_lshlrev_b32_e32 v124, 25, v25
	v_ashrrev_i32_e32 v26, 31, v26
	v_lshlrev_b32_e32 v121, 24, v25
	v_xor_b32_e32 v22, vcc_lo, v22
	v_cmp_gt_i32_e32 vcc_lo, 0, v27
	v_not_b32_e32 v27, v28
	v_xor_b32_e32 v125, s21, v125
	v_cmp_gt_i32_e64 s21, 0, v28
	v_and_b32_e32 v22, exec_lo, v22
	v_not_b32_e32 v28, v122
	v_ashrrev_i32_e32 v27, 31, v27
	v_xor_b32_e32 v26, vcc_lo, v26
	v_cmp_gt_i32_e32 vcc_lo, 0, v122
	v_and_b32_e32 v22, v22, v125
	v_not_b32_e32 v122, v123
	v_ashrrev_i32_e32 v28, 31, v28
	v_xor_b32_e32 v27, s21, v27
	v_cmp_gt_i32_e64 s21, 0, v123
	v_and_b32_e32 v22, v22, v26
	v_not_b32_e32 v26, v124
	v_ashrrev_i32_e32 v122, 31, v122
	v_xor_b32_e32 v28, vcc_lo, v28
	v_cmp_gt_i32_e32 vcc_lo, 0, v124
	v_and_b32_e32 v22, v22, v27
	v_not_b32_e32 v27, v121
	v_ashrrev_i32_e32 v26, 31, v26
	v_xor_b32_e32 v122, s21, v122
	v_cmp_gt_i32_e64 s21, 0, v121
	v_and_b32_e32 v22, v22, v28
	v_ashrrev_i32_e32 v27, 31, v27
	v_xor_b32_e32 v26, vcc_lo, v26
	v_mad_u32_u24 v28, v25, 36, v96
	v_mul_u32_u24_e32 v25, 36, v25
	v_and_b32_e32 v22, v22, v122
	v_xor_b32_e32 v27, s21, v27
	ds_read_b32 v121, v28 offset:1056
	v_add_nc_u32_e32 v124, v96, v25
	v_and_b32_e32 v22, v22, v26
	; wave barrier
	v_and_b32_e32 v22, v22, v27
	v_mbcnt_lo_u32_b32 v123, v22, 0
	v_cmp_ne_u32_e64 s21, 0, v22
	v_cmp_eq_u32_e32 vcc_lo, 0, v123
	s_and_b32 s22, s21, vcc_lo
	s_and_saveexec_b32 s21, s22
	s_cbranch_execz .LBB2077_432
; %bb.431:                              ;   in Loop: Header=BB2077_402 Depth=2
	s_waitcnt lgkmcnt(0)
	v_bcnt_u32_b32 v22, v22, v121
	ds_write_b32 v124, v22 offset:1056
.LBB2077_432:                           ;   in Loop: Header=BB2077_402 Depth=2
	s_or_b32 exec_lo, exec_lo, s21
	v_cmp_lt_i16_e32 vcc_lo, -1, v24
	; wave barrier
	v_cndmask_b32_e64 v22, -1, 0xffff8000, vcc_lo
	v_xor_b32_e32 v122, v22, v24
	v_cmp_ne_u16_e32 vcc_lo, 0x7fff, v122
	v_cndmask_b32_e32 v22, 0xffff8000, v122, vcc_lo
	v_lshrrev_b32_sdwa v22, s49, v22 dst_sel:DWORD dst_unused:UNUSED_PAD src0_sel:DWORD src1_sel:WORD_0
	v_and_b32_e32 v24, s42, v22
	v_and_b32_e32 v22, 1, v24
	v_lshlrev_b32_e32 v25, 30, v24
	v_lshlrev_b32_e32 v26, 29, v24
	;; [unrolled: 1-line block ×4, first 2 shown]
	v_add_co_u32 v22, s21, v22, -1
	v_cndmask_b32_e64 v28, 0, 1, s21
	v_not_b32_e32 v128, v25
	v_cmp_gt_i32_e64 s21, 0, v25
	v_not_b32_e32 v25, v26
	v_lshlrev_b32_e32 v126, 26, v24
	v_cmp_ne_u32_e32 vcc_lo, 0, v28
	v_ashrrev_i32_e32 v128, 31, v128
	v_lshlrev_b32_e32 v127, 25, v24
	v_ashrrev_i32_e32 v25, 31, v25
	v_lshlrev_b32_e32 v28, 24, v24
	v_xor_b32_e32 v22, vcc_lo, v22
	v_cmp_gt_i32_e32 vcc_lo, 0, v26
	v_not_b32_e32 v26, v27
	v_xor_b32_e32 v128, s21, v128
	v_cmp_gt_i32_e64 s21, 0, v27
	v_and_b32_e32 v22, exec_lo, v22
	v_not_b32_e32 v27, v125
	v_ashrrev_i32_e32 v26, 31, v26
	v_xor_b32_e32 v25, vcc_lo, v25
	v_cmp_gt_i32_e32 vcc_lo, 0, v125
	v_and_b32_e32 v22, v22, v128
	v_not_b32_e32 v125, v126
	v_ashrrev_i32_e32 v27, 31, v27
	v_xor_b32_e32 v26, s21, v26
	v_cmp_gt_i32_e64 s21, 0, v126
	v_and_b32_e32 v22, v22, v25
	v_not_b32_e32 v25, v127
	v_ashrrev_i32_e32 v125, 31, v125
	v_xor_b32_e32 v27, vcc_lo, v27
	v_cmp_gt_i32_e32 vcc_lo, 0, v127
	v_and_b32_e32 v22, v22, v26
	v_not_b32_e32 v26, v28
	v_ashrrev_i32_e32 v25, 31, v25
	v_xor_b32_e32 v125, s21, v125
	v_cmp_gt_i32_e64 s21, 0, v28
	v_and_b32_e32 v22, v22, v27
	v_ashrrev_i32_e32 v26, 31, v26
	v_xor_b32_e32 v25, vcc_lo, v25
	v_mad_u32_u24 v27, v24, 36, v96
	v_mul_u32_u24_e32 v24, 36, v24
	v_and_b32_e32 v22, v22, v125
	v_xor_b32_e32 v26, s21, v26
	ds_read_b32 v125, v27 offset:1056
	v_add_nc_u32_e32 v128, v96, v24
	v_and_b32_e32 v22, v22, v25
	; wave barrier
	v_and_b32_e32 v22, v22, v26
	v_mbcnt_lo_u32_b32 v127, v22, 0
	v_cmp_ne_u32_e64 s21, 0, v22
	v_cmp_eq_u32_e32 vcc_lo, 0, v127
	s_and_b32 s22, s21, vcc_lo
	s_and_saveexec_b32 s21, s22
	s_cbranch_execz .LBB2077_434
; %bb.433:                              ;   in Loop: Header=BB2077_402 Depth=2
	s_waitcnt lgkmcnt(0)
	v_bcnt_u32_b32 v22, v22, v125
	ds_write_b32 v128, v22 offset:1056
.LBB2077_434:                           ;   in Loop: Header=BB2077_402 Depth=2
	s_or_b32 exec_lo, exec_lo, s21
	v_cmp_lt_i16_e32 vcc_lo, -1, v23
	; wave barrier
	v_cndmask_b32_e64 v22, -1, 0xffff8000, vcc_lo
	v_xor_b32_e32 v126, v22, v23
	v_cmp_ne_u16_e32 vcc_lo, 0x7fff, v126
	v_cndmask_b32_e32 v22, 0xffff8000, v126, vcc_lo
	v_lshrrev_b32_sdwa v22, s49, v22 dst_sel:DWORD dst_unused:UNUSED_PAD src0_sel:DWORD src1_sel:WORD_0
	v_and_b32_e32 v23, s42, v22
	v_and_b32_e32 v22, 1, v23
	v_lshlrev_b32_e32 v24, 30, v23
	v_lshlrev_b32_e32 v25, 29, v23
	;; [unrolled: 1-line block ×4, first 2 shown]
	v_add_co_u32 v22, s21, v22, -1
	v_cndmask_b32_e64 v27, 0, 1, s21
	v_not_b32_e32 v131, v24
	v_cmp_gt_i32_e64 s21, 0, v24
	v_not_b32_e32 v24, v25
	v_lshlrev_b32_e32 v129, 26, v23
	v_cmp_ne_u32_e32 vcc_lo, 0, v27
	v_ashrrev_i32_e32 v131, 31, v131
	v_lshlrev_b32_e32 v130, 25, v23
	v_ashrrev_i32_e32 v24, 31, v24
	v_lshlrev_b32_e32 v27, 24, v23
	v_xor_b32_e32 v22, vcc_lo, v22
	v_cmp_gt_i32_e32 vcc_lo, 0, v25
	v_not_b32_e32 v25, v26
	v_xor_b32_e32 v131, s21, v131
	v_cmp_gt_i32_e64 s21, 0, v26
	v_and_b32_e32 v22, exec_lo, v22
	v_not_b32_e32 v26, v28
	v_ashrrev_i32_e32 v25, 31, v25
	v_xor_b32_e32 v24, vcc_lo, v24
	v_cmp_gt_i32_e32 vcc_lo, 0, v28
	v_and_b32_e32 v22, v22, v131
	v_not_b32_e32 v28, v129
	v_ashrrev_i32_e32 v26, 31, v26
	v_xor_b32_e32 v25, s21, v25
	v_cmp_gt_i32_e64 s21, 0, v129
	v_and_b32_e32 v22, v22, v24
	v_not_b32_e32 v24, v130
	v_ashrrev_i32_e32 v28, 31, v28
	v_xor_b32_e32 v26, vcc_lo, v26
	v_cmp_gt_i32_e32 vcc_lo, 0, v130
	v_and_b32_e32 v22, v22, v25
	v_not_b32_e32 v25, v27
	v_ashrrev_i32_e32 v24, 31, v24
	v_xor_b32_e32 v28, s21, v28
	v_cmp_gt_i32_e64 s21, 0, v27
	v_and_b32_e32 v22, v22, v26
	v_ashrrev_i32_e32 v25, 31, v25
	v_xor_b32_e32 v24, vcc_lo, v24
	v_mad_u32_u24 v26, v23, 36, v96
	v_mul_u32_u24_e32 v23, 36, v23
	v_and_b32_e32 v22, v22, v28
	v_xor_b32_e32 v25, s21, v25
	ds_read_b32 v129, v26 offset:1056
	v_add_nc_u32_e32 v132, v96, v23
	v_and_b32_e32 v22, v22, v24
	; wave barrier
	v_and_b32_e32 v22, v22, v25
	v_mbcnt_lo_u32_b32 v131, v22, 0
	v_cmp_ne_u32_e64 s21, 0, v22
	v_cmp_eq_u32_e32 vcc_lo, 0, v131
	s_and_b32 s22, s21, vcc_lo
	s_and_saveexec_b32 s21, s22
	s_cbranch_execz .LBB2077_436
; %bb.435:                              ;   in Loop: Header=BB2077_402 Depth=2
	s_waitcnt lgkmcnt(0)
	v_bcnt_u32_b32 v22, v22, v129
	ds_write_b32 v132, v22 offset:1056
.LBB2077_436:                           ;   in Loop: Header=BB2077_402 Depth=2
	s_or_b32 exec_lo, exec_lo, s21
	v_cmp_lt_i16_e32 vcc_lo, -1, v21
	; wave barrier
	v_cndmask_b32_e64 v22, -1, 0xffff8000, vcc_lo
	v_xor_b32_e32 v130, v22, v21
	v_cmp_ne_u16_e32 vcc_lo, 0x7fff, v130
	v_cndmask_b32_e32 v21, 0xffff8000, v130, vcc_lo
	v_lshrrev_b32_sdwa v21, s49, v21 dst_sel:DWORD dst_unused:UNUSED_PAD src0_sel:DWORD src1_sel:WORD_0
	v_and_b32_e32 v22, s42, v21
	v_and_b32_e32 v21, 1, v22
	v_lshlrev_b32_e32 v23, 30, v22
	v_lshlrev_b32_e32 v24, 29, v22
	;; [unrolled: 1-line block ×4, first 2 shown]
	v_add_co_u32 v21, s21, v21, -1
	v_cndmask_b32_e64 v26, 0, 1, s21
	v_not_b32_e32 v134, v23
	v_cmp_gt_i32_e64 s21, 0, v23
	v_not_b32_e32 v23, v24
	v_lshlrev_b32_e32 v28, 26, v22
	v_cmp_ne_u32_e32 vcc_lo, 0, v26
	v_ashrrev_i32_e32 v134, 31, v134
	v_lshlrev_b32_e32 v133, 25, v22
	v_ashrrev_i32_e32 v23, 31, v23
	v_lshlrev_b32_e32 v26, 24, v22
	v_xor_b32_e32 v21, vcc_lo, v21
	v_cmp_gt_i32_e32 vcc_lo, 0, v24
	v_not_b32_e32 v24, v25
	v_xor_b32_e32 v134, s21, v134
	v_cmp_gt_i32_e64 s21, 0, v25
	v_and_b32_e32 v21, exec_lo, v21
	v_not_b32_e32 v25, v27
	v_ashrrev_i32_e32 v24, 31, v24
	v_xor_b32_e32 v23, vcc_lo, v23
	v_cmp_gt_i32_e32 vcc_lo, 0, v27
	v_and_b32_e32 v21, v21, v134
	v_not_b32_e32 v27, v28
	v_ashrrev_i32_e32 v25, 31, v25
	v_xor_b32_e32 v24, s21, v24
	v_cmp_gt_i32_e64 s21, 0, v28
	v_and_b32_e32 v21, v21, v23
	v_not_b32_e32 v23, v133
	v_ashrrev_i32_e32 v27, 31, v27
	v_xor_b32_e32 v25, vcc_lo, v25
	v_cmp_gt_i32_e32 vcc_lo, 0, v133
	v_and_b32_e32 v21, v21, v24
	v_not_b32_e32 v24, v26
	v_ashrrev_i32_e32 v23, 31, v23
	v_xor_b32_e32 v27, s21, v27
	v_cmp_gt_i32_e64 s21, 0, v26
	v_and_b32_e32 v21, v21, v25
	v_ashrrev_i32_e32 v24, 31, v24
	v_xor_b32_e32 v23, vcc_lo, v23
	v_mad_u32_u24 v25, v22, 36, v96
	v_mul_u32_u24_e32 v22, 36, v22
	v_and_b32_e32 v21, v21, v27
	v_xor_b32_e32 v24, s21, v24
	ds_read_b32 v133, v25 offset:1056
	v_add_nc_u32_e32 v135, v96, v22
	v_and_b32_e32 v21, v21, v23
	; wave barrier
	v_and_b32_e32 v21, v21, v24
	v_mbcnt_lo_u32_b32 v134, v21, 0
	v_cmp_ne_u32_e64 s21, 0, v21
	v_cmp_eq_u32_e32 vcc_lo, 0, v134
	s_and_b32 s22, s21, vcc_lo
	s_and_saveexec_b32 s21, s22
	s_cbranch_execz .LBB2077_438
; %bb.437:                              ;   in Loop: Header=BB2077_402 Depth=2
	s_waitcnt lgkmcnt(0)
	v_bcnt_u32_b32 v21, v21, v133
	ds_write_b32 v135, v21 offset:1056
.LBB2077_438:                           ;   in Loop: Header=BB2077_402 Depth=2
	s_or_b32 exec_lo, exec_lo, s21
	; wave barrier
	s_waitcnt lgkmcnt(0)
	s_barrier
	buffer_gl0_inv
	ds_read2_b32 v[27:28], v78 offset1:1
	ds_read2_b32 v[25:26], v88 offset1:1
	ds_read2_b32 v[23:24], v89 offset1:1
	ds_read2_b32 v[21:22], v90 offset1:1
	ds_read_b32 v136, v44 offset:1088
	s_waitcnt lgkmcnt(3)
	v_add3_u32 v137, v28, v27, v25
	s_waitcnt lgkmcnt(2)
	v_add3_u32 v137, v137, v26, v23
	;; [unrolled: 2-line block ×4, first 2 shown]
	v_mov_b32_dpp v137, v136 row_shr:1 row_mask:0xf bank_mask:0xf
	v_cndmask_b32_e64 v137, v137, 0, s5
	v_add_nc_u32_e32 v136, v137, v136
	v_mov_b32_dpp v137, v136 row_shr:2 row_mask:0xf bank_mask:0xf
	v_cndmask_b32_e64 v137, 0, v137, s14
	v_add_nc_u32_e32 v136, v136, v137
	;; [unrolled: 3-line block ×4, first 2 shown]
	ds_swizzle_b32 v137, v136 offset:swizzle(BROADCAST,32,15)
	s_waitcnt lgkmcnt(0)
	v_cndmask_b32_e64 v137, v137, 0, s17
	v_add_nc_u32_e32 v136, v136, v137
	s_and_saveexec_b32 s21, s9
; %bb.439:                              ;   in Loop: Header=BB2077_402 Depth=2
	ds_write_b32 v39, v136 offset:1024
; %bb.440:                              ;   in Loop: Header=BB2077_402 Depth=2
	s_or_b32 exec_lo, exec_lo, s21
	s_waitcnt lgkmcnt(0)
	s_barrier
	buffer_gl0_inv
	s_and_saveexec_b32 s21, s10
	s_cbranch_execz .LBB2077_442
; %bb.441:                              ;   in Loop: Header=BB2077_402 Depth=2
	ds_read_b32 v137, v46 offset:1024
	s_waitcnt lgkmcnt(0)
	v_mov_b32_dpp v138, v137 row_shr:1 row_mask:0xf bank_mask:0xf
	v_cndmask_b32_e64 v138, v138, 0, s18
	v_add_nc_u32_e32 v137, v138, v137
	v_mov_b32_dpp v138, v137 row_shr:2 row_mask:0xf bank_mask:0xf
	v_cndmask_b32_e64 v138, 0, v138, s19
	v_add_nc_u32_e32 v137, v137, v138
	;; [unrolled: 3-line block ×3, first 2 shown]
	ds_write_b32 v46, v137 offset:1024
.LBB2077_442:                           ;   in Loop: Header=BB2077_402 Depth=2
	s_or_b32 exec_lo, exec_lo, s21
	v_mov_b32_e32 v137, 0
	s_waitcnt lgkmcnt(0)
	s_barrier
	buffer_gl0_inv
	s_and_saveexec_b32 s21, s11
; %bb.443:                              ;   in Loop: Header=BB2077_402 Depth=2
	ds_read_b32 v137, v39 offset:1020
; %bb.444:                              ;   in Loop: Header=BB2077_402 Depth=2
	s_or_b32 exec_lo, exec_lo, s21
	s_waitcnt lgkmcnt(0)
	v_add_nc_u32_e32 v136, v137, v136
	ds_bpermute_b32 v136, v91, v136
	s_waitcnt lgkmcnt(0)
	v_cndmask_b32_e64 v136, v136, v137, s13
	v_cndmask_b32_e64 v136, v136, 0, s4
	v_add_nc_u32_e32 v27, v136, v27
	v_add_nc_u32_e32 v28, v27, v28
	;; [unrolled: 1-line block ×8, first 2 shown]
	ds_write2_b32 v78, v136, v27 offset1:1
	ds_write2_b32 v88, v28, v25 offset1:1
	;; [unrolled: 1-line block ×4, first 2 shown]
	ds_write_b32 v44, v22 offset:1088
	s_waitcnt lgkmcnt(0)
	s_barrier
	buffer_gl0_inv
	ds_read_b32 v24, v108 offset:1056
	ds_read_b32 v25, v112 offset:1056
	;; [unrolled: 1-line block ×9, first 2 shown]
	v_mov_b32_e32 v23, 0x800
	s_and_saveexec_b32 s21, s12
; %bb.445:                              ;   in Loop: Header=BB2077_402 Depth=2
	ds_read_b32 v23, v44 offset:1092
; %bb.446:                              ;   in Loop: Header=BB2077_402 Depth=2
	s_or_b32 exec_lo, exec_lo, s21
	s_waitcnt lgkmcnt(0)
	s_barrier
	buffer_gl0_inv
	s_and_saveexec_b32 s21, s8
	s_cbranch_execz .LBB2077_448
; %bb.447:                              ;   in Loop: Header=BB2077_402 Depth=2
	ds_read_b32 v112, v29
	s_waitcnt lgkmcnt(0)
	v_sub_nc_u32_e32 v108, v112, v108
	ds_write_b32 v29, v108
.LBB2077_448:                           ;   in Loop: Header=BB2077_402 Depth=2
	s_or_b32 exec_lo, exec_lo, s21
	v_add_nc_u32_e32 v112, v24, v106
	v_add3_u32 v108, v110, v109, v25
	v_add3_u32 v106, v115, v113, v26
	;; [unrolled: 1-line block ×4, first 2 shown]
	v_lshlrev_b32_e32 v109, 1, v112
	v_lshlrev_b32_e32 v110, 1, v108
	v_add3_u32 v27, v131, v129, v22
	v_lshlrev_b32_e32 v22, 1, v106
	v_add3_u32 v28, v134, v133, v21
	ds_write_b16 v109, v3 offset:1024
	ds_write_b16 v110, v107 offset:1024
	v_lshlrev_b32_e32 v3, 1, v26
	v_add3_u32 v24, v127, v125, v116
	ds_write_b16 v22, v111 offset:1024
	v_lshlrev_b32_e32 v21, 1, v25
	v_cmp_lt_u32_e32 vcc_lo, v0, v105
	ds_write_b16 v3, v114 offset:1024
	v_lshlrev_b32_e32 v3, 1, v28
	v_lshlrev_b32_e32 v22, 1, v24
	;; [unrolled: 1-line block ×3, first 2 shown]
	ds_write_b16 v21, v118 offset:1024
	ds_write_b16 v22, v122 offset:1024
	;; [unrolled: 1-line block ×4, first 2 shown]
	s_waitcnt lgkmcnt(0)
	s_barrier
	buffer_gl0_inv
	s_and_saveexec_b32 s22, vcc_lo
	s_cbranch_execnz .LBB2077_485
; %bb.449:                              ;   in Loop: Header=BB2077_402 Depth=2
	s_or_b32 exec_lo, exec_lo, s22
	v_cmp_lt_u32_e64 s21, v30, v105
	s_and_saveexec_b32 s23, s21
	s_cbranch_execnz .LBB2077_486
.LBB2077_450:                           ;   in Loop: Header=BB2077_402 Depth=2
	s_or_b32 exec_lo, exec_lo, s23
	v_cmp_lt_u32_e64 s22, v31, v105
	s_and_saveexec_b32 s24, s22
	s_cbranch_execnz .LBB2077_487
.LBB2077_451:                           ;   in Loop: Header=BB2077_402 Depth=2
	s_or_b32 exec_lo, exec_lo, s24
	v_cmp_lt_u32_e64 s23, v32, v105
	s_and_saveexec_b32 s25, s23
	s_cbranch_execnz .LBB2077_488
.LBB2077_452:                           ;   in Loop: Header=BB2077_402 Depth=2
	s_or_b32 exec_lo, exec_lo, s25
	v_cmp_lt_u32_e64 s24, v35, v105
	s_and_saveexec_b32 s26, s24
	s_cbranch_execnz .LBB2077_489
.LBB2077_453:                           ;   in Loop: Header=BB2077_402 Depth=2
	s_or_b32 exec_lo, exec_lo, s26
	v_cmp_lt_u32_e64 s25, v36, v105
	s_and_saveexec_b32 s27, s25
	s_cbranch_execnz .LBB2077_490
.LBB2077_454:                           ;   in Loop: Header=BB2077_402 Depth=2
	s_or_b32 exec_lo, exec_lo, s27
	v_cmp_lt_u32_e64 s26, v37, v105
	s_and_saveexec_b32 s28, s26
	s_cbranch_execnz .LBB2077_491
.LBB2077_455:                           ;   in Loop: Header=BB2077_402 Depth=2
	s_or_b32 exec_lo, exec_lo, s28
	v_cmp_lt_u32_e64 s27, v38, v105
	s_and_saveexec_b32 s54, s27
	s_cbranch_execz .LBB2077_457
.LBB2077_456:                           ;   in Loop: Header=BB2077_402 Depth=2
	ds_read_u16 v107, v47 offset:4608
	s_waitcnt lgkmcnt(0)
	v_cmp_ne_u16_e64 s28, 0x7fff, v107
	v_cndmask_b32_e64 v3, 0xffff8000, v107, s28
	v_cmp_lt_i16_e64 s28, -1, v107
	v_lshrrev_b32_sdwa v3, s49, v3 dst_sel:DWORD dst_unused:UNUSED_PAD src0_sel:DWORD src1_sel:WORD_0
	v_cndmask_b32_e64 v109, 0xffff8000, -1, s28
	v_and_b32_e32 v3, s42, v3
	v_lshlrev_b32_e32 v3, 2, v3
	ds_read_b32 v3, v3
	s_waitcnt lgkmcnt(0)
	v_add_nc_u32_e32 v3, v3, v38
	v_lshlrev_b64 v[21:22], 1, v[3:4]
	v_xor_b32_e32 v3, v109, v107
	v_add_co_u32 v21, s28, s38, v21
	v_add_co_ci_u32_e64 v22, null, s39, v22, s28
	global_store_short v[21:22], v3, off
.LBB2077_457:                           ;   in Loop: Header=BB2077_402 Depth=2
	s_or_b32 exec_lo, exec_lo, s54
	s_lshl_b64 s[54:55], s[34:35], 3
	v_add_co_u32 v21, s28, v92, s54
	v_add_co_ci_u32_e64 v22, null, s55, v93, s28
	v_cmp_lt_u32_e64 s28, v66, v105
	s_and_saveexec_b32 s34, s28
	s_xor_b32 s28, exec_lo, s34
	s_cbranch_execnz .LBB2077_492
; %bb.458:                              ;   in Loop: Header=BB2077_402 Depth=2
	s_or_b32 exec_lo, exec_lo, s28
	s_mov_b32 s34, exec_lo
	v_cmpx_lt_u32_e64 v70, v105
	s_cbranch_execnz .LBB2077_493
.LBB2077_459:                           ;   in Loop: Header=BB2077_402 Depth=2
	s_or_b32 exec_lo, exec_lo, s34
	s_mov_b32 s34, exec_lo
	v_cmpx_lt_u32_e64 v71, v105
	s_cbranch_execnz .LBB2077_494
.LBB2077_460:                           ;   in Loop: Header=BB2077_402 Depth=2
	s_or_b32 exec_lo, exec_lo, s34
	s_mov_b32 s34, exec_lo
	v_cmpx_lt_u32_e64 v72, v105
	s_cbranch_execnz .LBB2077_495
.LBB2077_461:                           ;   in Loop: Header=BB2077_402 Depth=2
	s_or_b32 exec_lo, exec_lo, s34
	s_mov_b32 s34, exec_lo
	v_cmpx_lt_u32_e64 v73, v105
	s_cbranch_execnz .LBB2077_496
.LBB2077_462:                           ;   in Loop: Header=BB2077_402 Depth=2
	s_or_b32 exec_lo, exec_lo, s34
	s_mov_b32 s34, exec_lo
	v_cmpx_lt_u32_e64 v74, v105
	s_cbranch_execnz .LBB2077_497
.LBB2077_463:                           ;   in Loop: Header=BB2077_402 Depth=2
	s_or_b32 exec_lo, exec_lo, s34
	s_mov_b32 s34, exec_lo
	v_cmpx_lt_u32_e64 v75, v105
	s_cbranch_execnz .LBB2077_498
.LBB2077_464:                           ;   in Loop: Header=BB2077_402 Depth=2
	s_or_b32 exec_lo, exec_lo, s34
	s_mov_b32 s34, exec_lo
	v_cmpx_lt_u32_e64 v76, v105
	s_cbranch_execnz .LBB2077_499
.LBB2077_465:                           ;   in Loop: Header=BB2077_402 Depth=2
	s_or_b32 exec_lo, exec_lo, s34
	s_and_saveexec_b32 s34, vcc_lo
	s_cbranch_execnz .LBB2077_500
.LBB2077_466:                           ;   in Loop: Header=BB2077_402 Depth=2
	s_or_b32 exec_lo, exec_lo, s34
	s_and_saveexec_b32 s34, s21
	s_cbranch_execnz .LBB2077_501
.LBB2077_467:                           ;   in Loop: Header=BB2077_402 Depth=2
	s_or_b32 exec_lo, exec_lo, s34
	s_and_saveexec_b32 s34, s22
	s_cbranch_execnz .LBB2077_502
.LBB2077_468:                           ;   in Loop: Header=BB2077_402 Depth=2
	s_or_b32 exec_lo, exec_lo, s34
	s_and_saveexec_b32 s34, s23
	s_cbranch_execnz .LBB2077_503
.LBB2077_469:                           ;   in Loop: Header=BB2077_402 Depth=2
	s_or_b32 exec_lo, exec_lo, s34
	s_and_saveexec_b32 s34, s24
	s_cbranch_execnz .LBB2077_504
.LBB2077_470:                           ;   in Loop: Header=BB2077_402 Depth=2
	s_or_b32 exec_lo, exec_lo, s34
	s_and_saveexec_b32 s34, s25
	s_cbranch_execnz .LBB2077_505
.LBB2077_471:                           ;   in Loop: Header=BB2077_402 Depth=2
	s_or_b32 exec_lo, exec_lo, s34
	s_and_saveexec_b32 s34, s26
	s_cbranch_execnz .LBB2077_506
.LBB2077_472:                           ;   in Loop: Header=BB2077_402 Depth=2
	s_or_b32 exec_lo, exec_lo, s34
	s_and_saveexec_b32 s34, s27
	s_cbranch_execz .LBB2077_474
.LBB2077_473:                           ;   in Loop: Header=BB2077_402 Depth=2
	ds_read_u16 v3, v47 offset:4608
	s_waitcnt lgkmcnt(0)
	v_cmp_ne_u16_e64 s28, 0x7fff, v3
	v_cndmask_b32_e64 v3, 0xffff8000, v3, s28
	v_lshrrev_b32_sdwa v3, s49, v3 dst_sel:DWORD dst_unused:UNUSED_PAD src0_sel:DWORD src1_sel:WORD_0
	v_and_b32_e32 v97, s42, v3
.LBB2077_474:                           ;   in Loop: Header=BB2077_402 Depth=2
	s_or_b32 exec_lo, exec_lo, s34
	v_lshlrev_b32_e32 v3, 3, v112
	v_lshlrev_b32_e32 v21, 3, v108
	;; [unrolled: 1-line block ×3, first 2 shown]
	s_waitcnt vmcnt(0)
	s_waitcnt_vscnt null, 0x0
	s_barrier
	buffer_gl0_inv
	ds_write_b64 v3, v[19:20] offset:1024
	ds_write_b64 v21, v[17:18] offset:1024
	;; [unrolled: 1-line block ×3, first 2 shown]
	v_lshlrev_b32_e32 v3, 3, v26
	v_lshlrev_b32_e32 v21, 3, v25
	;; [unrolled: 1-line block ×5, first 2 shown]
	ds_write_b64 v3, v[13:14] offset:1024
	ds_write_b64 v21, v[11:12] offset:1024
	;; [unrolled: 1-line block ×5, first 2 shown]
	s_waitcnt lgkmcnt(0)
	s_barrier
	buffer_gl0_inv
	s_and_saveexec_b32 s28, vcc_lo
	s_cbranch_execnz .LBB2077_507
; %bb.475:                              ;   in Loop: Header=BB2077_402 Depth=2
	s_or_b32 exec_lo, exec_lo, s28
	s_and_saveexec_b32 s28, s21
	s_cbranch_execnz .LBB2077_508
.LBB2077_476:                           ;   in Loop: Header=BB2077_402 Depth=2
	s_or_b32 exec_lo, exec_lo, s28
	s_and_saveexec_b32 s21, s22
	s_cbranch_execnz .LBB2077_509
.LBB2077_477:                           ;   in Loop: Header=BB2077_402 Depth=2
	s_or_b32 exec_lo, exec_lo, s21
	s_and_saveexec_b32 s21, s23
	s_cbranch_execnz .LBB2077_510
.LBB2077_478:                           ;   in Loop: Header=BB2077_402 Depth=2
	s_or_b32 exec_lo, exec_lo, s21
	s_and_saveexec_b32 s21, s24
	s_cbranch_execnz .LBB2077_511
.LBB2077_479:                           ;   in Loop: Header=BB2077_402 Depth=2
	s_or_b32 exec_lo, exec_lo, s21
	s_and_saveexec_b32 s21, s25
	s_cbranch_execnz .LBB2077_512
.LBB2077_480:                           ;   in Loop: Header=BB2077_402 Depth=2
	s_or_b32 exec_lo, exec_lo, s21
	s_and_saveexec_b32 s21, s26
	s_cbranch_execnz .LBB2077_513
.LBB2077_481:                           ;   in Loop: Header=BB2077_402 Depth=2
	s_or_b32 exec_lo, exec_lo, s21
	s_and_saveexec_b32 s21, s27
	s_cbranch_execz .LBB2077_483
.LBB2077_482:                           ;   in Loop: Header=BB2077_402 Depth=2
	v_lshlrev_b32_e32 v3, 2, v97
	v_add_nc_u32_e32 v21, v47, v48
	ds_read_b32 v3, v3
	ds_read_b64 v[21:22], v21 offset:15360
	s_waitcnt lgkmcnt(1)
	v_add_nc_u32_e32 v3, v3, v38
	v_lshlrev_b64 v[24:25], 3, v[3:4]
	v_add_co_u32 v24, vcc_lo, s44, v24
	v_add_co_ci_u32_e64 v25, null, s45, v25, vcc_lo
	s_waitcnt lgkmcnt(0)
	global_store_dwordx2 v[24:25], v[21:22], off
.LBB2077_483:                           ;   in Loop: Header=BB2077_402 Depth=2
	s_or_b32 exec_lo, exec_lo, s21
	s_waitcnt_vscnt null, 0x0
	s_barrier
	buffer_gl0_inv
	s_and_saveexec_b32 s21, s8
	s_cbranch_execz .LBB2077_401
; %bb.484:                              ;   in Loop: Header=BB2077_402 Depth=2
	ds_read_b32 v3, v29
	s_waitcnt lgkmcnt(0)
	v_add_nc_u32_e32 v3, v3, v23
	ds_write_b32 v29, v3
	s_branch .LBB2077_401
.LBB2077_485:                           ;   in Loop: Header=BB2077_402 Depth=2
	ds_read_u16 v107, v47 offset:1024
	s_waitcnt lgkmcnt(0)
	v_cmp_ne_u16_e64 s21, 0x7fff, v107
	v_cndmask_b32_e64 v3, 0xffff8000, v107, s21
	v_cmp_lt_i16_e64 s21, -1, v107
	v_lshrrev_b32_sdwa v3, s49, v3 dst_sel:DWORD dst_unused:UNUSED_PAD src0_sel:DWORD src1_sel:WORD_0
	v_cndmask_b32_e64 v109, 0xffff8000, -1, s21
	v_and_b32_e32 v3, s42, v3
	v_lshlrev_b32_e32 v3, 2, v3
	ds_read_b32 v3, v3
	s_waitcnt lgkmcnt(0)
	v_add_nc_u32_e32 v3, v3, v0
	v_lshlrev_b64 v[21:22], 1, v[3:4]
	v_xor_b32_e32 v3, v109, v107
	v_add_co_u32 v21, s21, s38, v21
	v_add_co_ci_u32_e64 v22, null, s39, v22, s21
	global_store_short v[21:22], v3, off
	s_or_b32 exec_lo, exec_lo, s22
	v_cmp_lt_u32_e64 s21, v30, v105
	s_and_saveexec_b32 s23, s21
	s_cbranch_execz .LBB2077_450
.LBB2077_486:                           ;   in Loop: Header=BB2077_402 Depth=2
	ds_read_u16 v107, v47 offset:1536
	s_waitcnt lgkmcnt(0)
	v_cmp_ne_u16_e64 s22, 0x7fff, v107
	v_cndmask_b32_e64 v3, 0xffff8000, v107, s22
	v_cmp_lt_i16_e64 s22, -1, v107
	v_lshrrev_b32_sdwa v3, s49, v3 dst_sel:DWORD dst_unused:UNUSED_PAD src0_sel:DWORD src1_sel:WORD_0
	v_cndmask_b32_e64 v109, 0xffff8000, -1, s22
	v_and_b32_e32 v3, s42, v3
	v_lshlrev_b32_e32 v3, 2, v3
	ds_read_b32 v3, v3
	s_waitcnt lgkmcnt(0)
	v_add_nc_u32_e32 v3, v3, v30
	v_lshlrev_b64 v[21:22], 1, v[3:4]
	v_xor_b32_e32 v3, v109, v107
	v_add_co_u32 v21, s22, s38, v21
	v_add_co_ci_u32_e64 v22, null, s39, v22, s22
	global_store_short v[21:22], v3, off
	s_or_b32 exec_lo, exec_lo, s23
	v_cmp_lt_u32_e64 s22, v31, v105
	s_and_saveexec_b32 s24, s22
	s_cbranch_execz .LBB2077_451
.LBB2077_487:                           ;   in Loop: Header=BB2077_402 Depth=2
	ds_read_u16 v107, v47 offset:2048
	s_waitcnt lgkmcnt(0)
	v_cmp_ne_u16_e64 s23, 0x7fff, v107
	v_cndmask_b32_e64 v3, 0xffff8000, v107, s23
	v_cmp_lt_i16_e64 s23, -1, v107
	v_lshrrev_b32_sdwa v3, s49, v3 dst_sel:DWORD dst_unused:UNUSED_PAD src0_sel:DWORD src1_sel:WORD_0
	v_cndmask_b32_e64 v109, 0xffff8000, -1, s23
	v_and_b32_e32 v3, s42, v3
	v_lshlrev_b32_e32 v3, 2, v3
	ds_read_b32 v3, v3
	s_waitcnt lgkmcnt(0)
	v_add_nc_u32_e32 v3, v3, v31
	v_lshlrev_b64 v[21:22], 1, v[3:4]
	v_xor_b32_e32 v3, v109, v107
	v_add_co_u32 v21, s23, s38, v21
	v_add_co_ci_u32_e64 v22, null, s39, v22, s23
	global_store_short v[21:22], v3, off
	s_or_b32 exec_lo, exec_lo, s24
	v_cmp_lt_u32_e64 s23, v32, v105
	s_and_saveexec_b32 s25, s23
	s_cbranch_execz .LBB2077_452
.LBB2077_488:                           ;   in Loop: Header=BB2077_402 Depth=2
	ds_read_u16 v107, v47 offset:2560
	s_waitcnt lgkmcnt(0)
	v_cmp_ne_u16_e64 s24, 0x7fff, v107
	v_cndmask_b32_e64 v3, 0xffff8000, v107, s24
	v_cmp_lt_i16_e64 s24, -1, v107
	v_lshrrev_b32_sdwa v3, s49, v3 dst_sel:DWORD dst_unused:UNUSED_PAD src0_sel:DWORD src1_sel:WORD_0
	v_cndmask_b32_e64 v109, 0xffff8000, -1, s24
	v_and_b32_e32 v3, s42, v3
	v_lshlrev_b32_e32 v3, 2, v3
	ds_read_b32 v3, v3
	s_waitcnt lgkmcnt(0)
	v_add_nc_u32_e32 v3, v3, v32
	v_lshlrev_b64 v[21:22], 1, v[3:4]
	v_xor_b32_e32 v3, v109, v107
	v_add_co_u32 v21, s24, s38, v21
	v_add_co_ci_u32_e64 v22, null, s39, v22, s24
	global_store_short v[21:22], v3, off
	s_or_b32 exec_lo, exec_lo, s25
	v_cmp_lt_u32_e64 s24, v35, v105
	s_and_saveexec_b32 s26, s24
	s_cbranch_execz .LBB2077_453
.LBB2077_489:                           ;   in Loop: Header=BB2077_402 Depth=2
	ds_read_u16 v107, v47 offset:3072
	s_waitcnt lgkmcnt(0)
	v_cmp_ne_u16_e64 s25, 0x7fff, v107
	v_cndmask_b32_e64 v3, 0xffff8000, v107, s25
	v_cmp_lt_i16_e64 s25, -1, v107
	v_lshrrev_b32_sdwa v3, s49, v3 dst_sel:DWORD dst_unused:UNUSED_PAD src0_sel:DWORD src1_sel:WORD_0
	v_cndmask_b32_e64 v109, 0xffff8000, -1, s25
	v_and_b32_e32 v3, s42, v3
	v_lshlrev_b32_e32 v3, 2, v3
	ds_read_b32 v3, v3
	s_waitcnt lgkmcnt(0)
	v_add_nc_u32_e32 v3, v3, v35
	v_lshlrev_b64 v[21:22], 1, v[3:4]
	v_xor_b32_e32 v3, v109, v107
	v_add_co_u32 v21, s25, s38, v21
	v_add_co_ci_u32_e64 v22, null, s39, v22, s25
	global_store_short v[21:22], v3, off
	s_or_b32 exec_lo, exec_lo, s26
	v_cmp_lt_u32_e64 s25, v36, v105
	s_and_saveexec_b32 s27, s25
	s_cbranch_execz .LBB2077_454
.LBB2077_490:                           ;   in Loop: Header=BB2077_402 Depth=2
	ds_read_u16 v107, v47 offset:3584
	s_waitcnt lgkmcnt(0)
	v_cmp_ne_u16_e64 s26, 0x7fff, v107
	v_cndmask_b32_e64 v3, 0xffff8000, v107, s26
	v_cmp_lt_i16_e64 s26, -1, v107
	v_lshrrev_b32_sdwa v3, s49, v3 dst_sel:DWORD dst_unused:UNUSED_PAD src0_sel:DWORD src1_sel:WORD_0
	v_cndmask_b32_e64 v109, 0xffff8000, -1, s26
	v_and_b32_e32 v3, s42, v3
	v_lshlrev_b32_e32 v3, 2, v3
	ds_read_b32 v3, v3
	s_waitcnt lgkmcnt(0)
	v_add_nc_u32_e32 v3, v3, v36
	v_lshlrev_b64 v[21:22], 1, v[3:4]
	v_xor_b32_e32 v3, v109, v107
	v_add_co_u32 v21, s26, s38, v21
	v_add_co_ci_u32_e64 v22, null, s39, v22, s26
	global_store_short v[21:22], v3, off
	s_or_b32 exec_lo, exec_lo, s27
	v_cmp_lt_u32_e64 s26, v37, v105
	s_and_saveexec_b32 s28, s26
	s_cbranch_execz .LBB2077_455
.LBB2077_491:                           ;   in Loop: Header=BB2077_402 Depth=2
	ds_read_u16 v107, v47 offset:4096
	s_waitcnt lgkmcnt(0)
	v_cmp_ne_u16_e64 s27, 0x7fff, v107
	v_cndmask_b32_e64 v3, 0xffff8000, v107, s27
	v_cmp_lt_i16_e64 s27, -1, v107
	v_lshrrev_b32_sdwa v3, s49, v3 dst_sel:DWORD dst_unused:UNUSED_PAD src0_sel:DWORD src1_sel:WORD_0
	v_cndmask_b32_e64 v109, 0xffff8000, -1, s27
	v_and_b32_e32 v3, s42, v3
	v_lshlrev_b32_e32 v3, 2, v3
	ds_read_b32 v3, v3
	s_waitcnt lgkmcnt(0)
	v_add_nc_u32_e32 v3, v3, v37
	v_lshlrev_b64 v[21:22], 1, v[3:4]
	v_xor_b32_e32 v3, v109, v107
	v_add_co_u32 v21, s27, s38, v21
	v_add_co_ci_u32_e64 v22, null, s39, v22, s27
	global_store_short v[21:22], v3, off
	s_or_b32 exec_lo, exec_lo, s28
	v_cmp_lt_u32_e64 s27, v38, v105
	s_and_saveexec_b32 s54, s27
	s_cbranch_execnz .LBB2077_456
	s_branch .LBB2077_457
.LBB2077_492:                           ;   in Loop: Header=BB2077_402 Depth=2
	global_load_dwordx2 v[19:20], v[21:22], off
	s_or_b32 exec_lo, exec_lo, s28
	s_mov_b32 s34, exec_lo
	v_cmpx_lt_u32_e64 v70, v105
	s_cbranch_execz .LBB2077_459
.LBB2077_493:                           ;   in Loop: Header=BB2077_402 Depth=2
	global_load_dwordx2 v[17:18], v[21:22], off offset:256
	s_or_b32 exec_lo, exec_lo, s34
	s_mov_b32 s34, exec_lo
	v_cmpx_lt_u32_e64 v71, v105
	s_cbranch_execz .LBB2077_460
.LBB2077_494:                           ;   in Loop: Header=BB2077_402 Depth=2
	global_load_dwordx2 v[15:16], v[21:22], off offset:512
	s_or_b32 exec_lo, exec_lo, s34
	s_mov_b32 s34, exec_lo
	v_cmpx_lt_u32_e64 v72, v105
	s_cbranch_execz .LBB2077_461
.LBB2077_495:                           ;   in Loop: Header=BB2077_402 Depth=2
	global_load_dwordx2 v[13:14], v[21:22], off offset:768
	s_or_b32 exec_lo, exec_lo, s34
	s_mov_b32 s34, exec_lo
	v_cmpx_lt_u32_e64 v73, v105
	s_cbranch_execz .LBB2077_462
.LBB2077_496:                           ;   in Loop: Header=BB2077_402 Depth=2
	global_load_dwordx2 v[11:12], v[21:22], off offset:1024
	s_or_b32 exec_lo, exec_lo, s34
	s_mov_b32 s34, exec_lo
	v_cmpx_lt_u32_e64 v74, v105
	s_cbranch_execz .LBB2077_463
.LBB2077_497:                           ;   in Loop: Header=BB2077_402 Depth=2
	global_load_dwordx2 v[9:10], v[21:22], off offset:1280
	s_or_b32 exec_lo, exec_lo, s34
	s_mov_b32 s34, exec_lo
	v_cmpx_lt_u32_e64 v75, v105
	s_cbranch_execz .LBB2077_464
.LBB2077_498:                           ;   in Loop: Header=BB2077_402 Depth=2
	global_load_dwordx2 v[7:8], v[21:22], off offset:1536
	s_or_b32 exec_lo, exec_lo, s34
	s_mov_b32 s34, exec_lo
	v_cmpx_lt_u32_e64 v76, v105
	s_cbranch_execz .LBB2077_465
.LBB2077_499:                           ;   in Loop: Header=BB2077_402 Depth=2
	global_load_dwordx2 v[5:6], v[21:22], off offset:1792
	s_or_b32 exec_lo, exec_lo, s34
	s_and_saveexec_b32 s34, vcc_lo
	s_cbranch_execz .LBB2077_466
.LBB2077_500:                           ;   in Loop: Header=BB2077_402 Depth=2
	ds_read_u16 v3, v47 offset:1024
	s_waitcnt lgkmcnt(0)
	v_cmp_ne_u16_e64 s28, 0x7fff, v3
	v_cndmask_b32_e64 v3, 0xffff8000, v3, s28
	v_lshrrev_b32_sdwa v3, s49, v3 dst_sel:DWORD dst_unused:UNUSED_PAD src0_sel:DWORD src1_sel:WORD_0
	v_and_b32_e32 v104, s42, v3
	s_or_b32 exec_lo, exec_lo, s34
	s_and_saveexec_b32 s34, s21
	s_cbranch_execz .LBB2077_467
.LBB2077_501:                           ;   in Loop: Header=BB2077_402 Depth=2
	ds_read_u16 v3, v47 offset:1536
	s_waitcnt lgkmcnt(0)
	v_cmp_ne_u16_e64 s28, 0x7fff, v3
	v_cndmask_b32_e64 v3, 0xffff8000, v3, s28
	v_lshrrev_b32_sdwa v3, s49, v3 dst_sel:DWORD dst_unused:UNUSED_PAD src0_sel:DWORD src1_sel:WORD_0
	v_and_b32_e32 v103, s42, v3
	s_or_b32 exec_lo, exec_lo, s34
	s_and_saveexec_b32 s34, s22
	s_cbranch_execz .LBB2077_468
.LBB2077_502:                           ;   in Loop: Header=BB2077_402 Depth=2
	ds_read_u16 v3, v47 offset:2048
	s_waitcnt lgkmcnt(0)
	v_cmp_ne_u16_e64 s28, 0x7fff, v3
	v_cndmask_b32_e64 v3, 0xffff8000, v3, s28
	v_lshrrev_b32_sdwa v3, s49, v3 dst_sel:DWORD dst_unused:UNUSED_PAD src0_sel:DWORD src1_sel:WORD_0
	v_and_b32_e32 v102, s42, v3
	s_or_b32 exec_lo, exec_lo, s34
	s_and_saveexec_b32 s34, s23
	s_cbranch_execz .LBB2077_469
.LBB2077_503:                           ;   in Loop: Header=BB2077_402 Depth=2
	ds_read_u16 v3, v47 offset:2560
	s_waitcnt lgkmcnt(0)
	v_cmp_ne_u16_e64 s28, 0x7fff, v3
	v_cndmask_b32_e64 v3, 0xffff8000, v3, s28
	v_lshrrev_b32_sdwa v3, s49, v3 dst_sel:DWORD dst_unused:UNUSED_PAD src0_sel:DWORD src1_sel:WORD_0
	v_and_b32_e32 v101, s42, v3
	s_or_b32 exec_lo, exec_lo, s34
	s_and_saveexec_b32 s34, s24
	s_cbranch_execz .LBB2077_470
.LBB2077_504:                           ;   in Loop: Header=BB2077_402 Depth=2
	ds_read_u16 v3, v47 offset:3072
	s_waitcnt lgkmcnt(0)
	v_cmp_ne_u16_e64 s28, 0x7fff, v3
	v_cndmask_b32_e64 v3, 0xffff8000, v3, s28
	v_lshrrev_b32_sdwa v3, s49, v3 dst_sel:DWORD dst_unused:UNUSED_PAD src0_sel:DWORD src1_sel:WORD_0
	v_and_b32_e32 v100, s42, v3
	s_or_b32 exec_lo, exec_lo, s34
	s_and_saveexec_b32 s34, s25
	s_cbranch_execz .LBB2077_471
.LBB2077_505:                           ;   in Loop: Header=BB2077_402 Depth=2
	ds_read_u16 v3, v47 offset:3584
	s_waitcnt lgkmcnt(0)
	v_cmp_ne_u16_e64 s28, 0x7fff, v3
	v_cndmask_b32_e64 v3, 0xffff8000, v3, s28
	v_lshrrev_b32_sdwa v3, s49, v3 dst_sel:DWORD dst_unused:UNUSED_PAD src0_sel:DWORD src1_sel:WORD_0
	v_and_b32_e32 v99, s42, v3
	s_or_b32 exec_lo, exec_lo, s34
	s_and_saveexec_b32 s34, s26
	s_cbranch_execz .LBB2077_472
.LBB2077_506:                           ;   in Loop: Header=BB2077_402 Depth=2
	ds_read_u16 v3, v47 offset:4096
	s_waitcnt lgkmcnt(0)
	v_cmp_ne_u16_e64 s28, 0x7fff, v3
	v_cndmask_b32_e64 v3, 0xffff8000, v3, s28
	v_lshrrev_b32_sdwa v3, s49, v3 dst_sel:DWORD dst_unused:UNUSED_PAD src0_sel:DWORD src1_sel:WORD_0
	v_and_b32_e32 v98, s42, v3
	s_or_b32 exec_lo, exec_lo, s34
	s_and_saveexec_b32 s34, s27
	s_cbranch_execnz .LBB2077_473
	s_branch .LBB2077_474
.LBB2077_507:                           ;   in Loop: Header=BB2077_402 Depth=2
	v_lshlrev_b32_e32 v3, 2, v104
	v_add_nc_u32_e32 v21, v47, v48
	ds_read_b32 v3, v3
	ds_read_b64 v[21:22], v21 offset:1024
	s_waitcnt lgkmcnt(1)
	v_add_nc_u32_e32 v3, v3, v0
	v_lshlrev_b64 v[24:25], 3, v[3:4]
	v_add_co_u32 v24, vcc_lo, s44, v24
	v_add_co_ci_u32_e64 v25, null, s45, v25, vcc_lo
	s_waitcnt lgkmcnt(0)
	global_store_dwordx2 v[24:25], v[21:22], off
	s_or_b32 exec_lo, exec_lo, s28
	s_and_saveexec_b32 s28, s21
	s_cbranch_execz .LBB2077_476
.LBB2077_508:                           ;   in Loop: Header=BB2077_402 Depth=2
	v_lshlrev_b32_e32 v3, 2, v103
	v_add_nc_u32_e32 v21, v47, v48
	ds_read_b32 v3, v3
	ds_read_b64 v[21:22], v21 offset:3072
	s_waitcnt lgkmcnt(1)
	v_add_nc_u32_e32 v3, v3, v30
	v_lshlrev_b64 v[24:25], 3, v[3:4]
	v_add_co_u32 v24, vcc_lo, s44, v24
	v_add_co_ci_u32_e64 v25, null, s45, v25, vcc_lo
	s_waitcnt lgkmcnt(0)
	global_store_dwordx2 v[24:25], v[21:22], off
	s_or_b32 exec_lo, exec_lo, s28
	s_and_saveexec_b32 s21, s22
	s_cbranch_execz .LBB2077_477
.LBB2077_509:                           ;   in Loop: Header=BB2077_402 Depth=2
	v_lshlrev_b32_e32 v3, 2, v102
	v_add_nc_u32_e32 v21, v47, v48
	ds_read_b32 v3, v3
	ds_read_b64 v[21:22], v21 offset:5120
	s_waitcnt lgkmcnt(1)
	v_add_nc_u32_e32 v3, v3, v31
	v_lshlrev_b64 v[24:25], 3, v[3:4]
	v_add_co_u32 v24, vcc_lo, s44, v24
	v_add_co_ci_u32_e64 v25, null, s45, v25, vcc_lo
	s_waitcnt lgkmcnt(0)
	global_store_dwordx2 v[24:25], v[21:22], off
	s_or_b32 exec_lo, exec_lo, s21
	s_and_saveexec_b32 s21, s23
	s_cbranch_execz .LBB2077_478
.LBB2077_510:                           ;   in Loop: Header=BB2077_402 Depth=2
	v_lshlrev_b32_e32 v3, 2, v101
	v_add_nc_u32_e32 v21, v47, v48
	ds_read_b32 v3, v3
	ds_read_b64 v[21:22], v21 offset:7168
	s_waitcnt lgkmcnt(1)
	v_add_nc_u32_e32 v3, v3, v32
	v_lshlrev_b64 v[24:25], 3, v[3:4]
	v_add_co_u32 v24, vcc_lo, s44, v24
	v_add_co_ci_u32_e64 v25, null, s45, v25, vcc_lo
	s_waitcnt lgkmcnt(0)
	global_store_dwordx2 v[24:25], v[21:22], off
	s_or_b32 exec_lo, exec_lo, s21
	s_and_saveexec_b32 s21, s24
	s_cbranch_execz .LBB2077_479
.LBB2077_511:                           ;   in Loop: Header=BB2077_402 Depth=2
	v_lshlrev_b32_e32 v3, 2, v100
	v_add_nc_u32_e32 v21, v47, v48
	ds_read_b32 v3, v3
	ds_read_b64 v[21:22], v21 offset:9216
	s_waitcnt lgkmcnt(1)
	v_add_nc_u32_e32 v3, v3, v35
	v_lshlrev_b64 v[24:25], 3, v[3:4]
	v_add_co_u32 v24, vcc_lo, s44, v24
	v_add_co_ci_u32_e64 v25, null, s45, v25, vcc_lo
	s_waitcnt lgkmcnt(0)
	global_store_dwordx2 v[24:25], v[21:22], off
	s_or_b32 exec_lo, exec_lo, s21
	s_and_saveexec_b32 s21, s25
	s_cbranch_execz .LBB2077_480
.LBB2077_512:                           ;   in Loop: Header=BB2077_402 Depth=2
	v_lshlrev_b32_e32 v3, 2, v99
	v_add_nc_u32_e32 v21, v47, v48
	ds_read_b32 v3, v3
	ds_read_b64 v[21:22], v21 offset:11264
	s_waitcnt lgkmcnt(1)
	v_add_nc_u32_e32 v3, v3, v36
	v_lshlrev_b64 v[24:25], 3, v[3:4]
	v_add_co_u32 v24, vcc_lo, s44, v24
	v_add_co_ci_u32_e64 v25, null, s45, v25, vcc_lo
	s_waitcnt lgkmcnt(0)
	global_store_dwordx2 v[24:25], v[21:22], off
	s_or_b32 exec_lo, exec_lo, s21
	s_and_saveexec_b32 s21, s26
	s_cbranch_execz .LBB2077_481
.LBB2077_513:                           ;   in Loop: Header=BB2077_402 Depth=2
	v_lshlrev_b32_e32 v3, 2, v98
	v_add_nc_u32_e32 v21, v47, v48
	ds_read_b32 v3, v3
	ds_read_b64 v[21:22], v21 offset:13312
	s_waitcnt lgkmcnt(1)
	v_add_nc_u32_e32 v3, v3, v37
	v_lshlrev_b64 v[24:25], 3, v[3:4]
	v_add_co_u32 v24, vcc_lo, s44, v24
	v_add_co_ci_u32_e64 v25, null, s45, v25, vcc_lo
	s_waitcnt lgkmcnt(0)
	global_store_dwordx2 v[24:25], v[21:22], off
	s_or_b32 exec_lo, exec_lo, s21
	s_and_saveexec_b32 s21, s27
	s_cbranch_execnz .LBB2077_482
	s_branch .LBB2077_483
.LBB2077_514:                           ;   in Loop: Header=BB2077_20 Depth=1
	s_waitcnt lgkmcnt(0)
	s_mov_b32 s5, 0
	s_barrier
.LBB2077_515:                           ;   in Loop: Header=BB2077_20 Depth=1
	s_and_b32 vcc_lo, exec_lo, s5
	s_cbranch_vccz .LBB2077_19
; %bb.516:                              ;   in Loop: Header=BB2077_20 Depth=1
	s_mov_b32 s5, s53
	s_mov_b32 s34, s33
	s_barrier
	buffer_gl0_inv
                                        ; implicit-def: $vgpr3
                                        ; implicit-def: $vgpr5
                                        ; implicit-def: $vgpr6
                                        ; implicit-def: $vgpr7
                                        ; implicit-def: $vgpr8
                                        ; implicit-def: $vgpr9
                                        ; implicit-def: $vgpr10
                                        ; implicit-def: $vgpr11
	s_branch .LBB2077_518
.LBB2077_517:                           ;   in Loop: Header=BB2077_518 Depth=2
	s_or_b32 exec_lo, exec_lo, s14
	s_addk_i32 s5, 0xf800
	s_cmp_ge_u32 s16, s52
	s_mov_b32 s34, s16
	s_cbranch_scc1 .LBB2077_554
.LBB2077_518:                           ;   Parent Loop BB2077_20 Depth=1
                                        ; =>  This Inner Loop Header: Depth=2
	s_add_i32 s16, s34, 0x800
	s_mov_b32 s14, -1
	s_cmp_gt_u32 s16, s52
                                        ; implicit-def: $vgpr12
                                        ; implicit-def: $vgpr13
                                        ; implicit-def: $vgpr14
                                        ; implicit-def: $vgpr15
                                        ; implicit-def: $vgpr16
                                        ; implicit-def: $vgpr17
                                        ; implicit-def: $vgpr18
                                        ; implicit-def: $vgpr19
	s_cbranch_scc1 .LBB2077_520
; %bb.519:                              ;   in Loop: Header=BB2077_518 Depth=2
	s_lshl_b64 s[14:15], s[34:35], 1
	v_add_co_u32 v15, vcc_lo, v55, s14
	v_add_co_ci_u32_e64 v16, null, s15, v56, vcc_lo
	s_mov_b32 s14, 0
	v_add_co_u32 v19, vcc_lo, 0x800, v15
	v_add_co_ci_u32_e64 v20, null, 0, v16, vcc_lo
	s_clause 0x7
	global_load_ushort v12, v[15:16], off
	global_load_ushort v13, v[15:16], off offset:512
	global_load_ushort v14, v[15:16], off offset:1024
	;; [unrolled: 1-line block ×3, first 2 shown]
	global_load_ushort v16, v[19:20], off
	global_load_ushort v17, v[19:20], off offset:512
	global_load_ushort v18, v[19:20], off offset:1024
	;; [unrolled: 1-line block ×3, first 2 shown]
.LBB2077_520:                           ;   in Loop: Header=BB2077_518 Depth=2
	s_andn2_b32 vcc_lo, exec_lo, s14
	s_movk_i32 s14, 0x800
	s_cbranch_vccnz .LBB2077_531
; %bb.521:                              ;   in Loop: Header=BB2077_518 Depth=2
	s_lshl_b64 s[14:15], s[34:35], 1
	s_mov_b32 s17, exec_lo
	s_add_u32 s14, s36, s14
	s_addc_u32 s15, s37, s15
	v_cmpx_gt_u32_e64 s5, v0
	s_cbranch_execnz .LBB2077_547
; %bb.522:                              ;   in Loop: Header=BB2077_518 Depth=2
	s_or_b32 exec_lo, exec_lo, s17
	s_mov_b32 s17, exec_lo
	v_cmpx_gt_u32_e64 s5, v30
	s_cbranch_execnz .LBB2077_548
.LBB2077_523:                           ;   in Loop: Header=BB2077_518 Depth=2
	s_or_b32 exec_lo, exec_lo, s17
	s_mov_b32 s17, exec_lo
	v_cmpx_gt_u32_e64 s5, v31
	s_cbranch_execnz .LBB2077_549
.LBB2077_524:                           ;   in Loop: Header=BB2077_518 Depth=2
	s_or_b32 exec_lo, exec_lo, s17
	s_mov_b32 s17, exec_lo
	v_cmpx_gt_u32_e64 s5, v32
	s_cbranch_execnz .LBB2077_550
.LBB2077_525:                           ;   in Loop: Header=BB2077_518 Depth=2
	s_or_b32 exec_lo, exec_lo, s17
	s_mov_b32 s17, exec_lo
	v_cmpx_gt_u32_e64 s5, v35
	s_cbranch_execnz .LBB2077_551
.LBB2077_526:                           ;   in Loop: Header=BB2077_518 Depth=2
	s_or_b32 exec_lo, exec_lo, s17
	s_mov_b32 s17, exec_lo
	v_cmpx_gt_u32_e64 s5, v36
	s_cbranch_execnz .LBB2077_552
.LBB2077_527:                           ;   in Loop: Header=BB2077_518 Depth=2
	s_or_b32 exec_lo, exec_lo, s17
	s_mov_b32 s17, exec_lo
	v_cmpx_gt_u32_e64 s5, v37
	s_cbranch_execnz .LBB2077_553
.LBB2077_528:                           ;   in Loop: Header=BB2077_518 Depth=2
	s_or_b32 exec_lo, exec_lo, s17
	s_mov_b32 s17, exec_lo
	v_cmpx_gt_u32_e64 s5, v38
	s_cbranch_execz .LBB2077_530
.LBB2077_529:                           ;   in Loop: Header=BB2077_518 Depth=2
	global_load_ushort v3, v87, s[14:15]
.LBB2077_530:                           ;   in Loop: Header=BB2077_518 Depth=2
	s_or_b32 exec_lo, exec_lo, s17
	s_waitcnt vmcnt(0)
	v_mov_b32_e32 v12, v11
	v_mov_b32_e32 v13, v10
	v_mov_b32_e32 v14, v9
	v_mov_b32_e32 v15, v8
	v_mov_b32_e32 v16, v7
	v_mov_b32_e32 v17, v6
	v_mov_b32_e32 v18, v5
	v_mov_b32_e32 v19, v3
	s_mov_b32 s14, s5
.LBB2077_531:                           ;   in Loop: Header=BB2077_518 Depth=2
	s_waitcnt vmcnt(0)
	v_mov_b32_e32 v3, v19
	v_mov_b32_e32 v5, v18
	;; [unrolled: 1-line block ×8, first 2 shown]
	s_mov_b32 s15, exec_lo
	v_cmpx_gt_u32_e64 s14, v0
	s_cbranch_execnz .LBB2077_539
; %bb.532:                              ;   in Loop: Header=BB2077_518 Depth=2
	s_or_b32 exec_lo, exec_lo, s15
	s_mov_b32 s15, exec_lo
	v_cmpx_gt_u32_e64 s14, v30
	s_cbranch_execnz .LBB2077_540
.LBB2077_533:                           ;   in Loop: Header=BB2077_518 Depth=2
	s_or_b32 exec_lo, exec_lo, s15
	s_mov_b32 s15, exec_lo
	v_cmpx_gt_u32_e64 s14, v31
	s_cbranch_execnz .LBB2077_541
.LBB2077_534:                           ;   in Loop: Header=BB2077_518 Depth=2
	s_or_b32 exec_lo, exec_lo, s15
	s_mov_b32 s15, exec_lo
	v_cmpx_gt_u32_e64 s14, v32
	s_cbranch_execnz .LBB2077_542
.LBB2077_535:                           ;   in Loop: Header=BB2077_518 Depth=2
	s_or_b32 exec_lo, exec_lo, s15
	s_mov_b32 s15, exec_lo
	v_cmpx_gt_u32_e64 s14, v35
	s_cbranch_execnz .LBB2077_543
.LBB2077_536:                           ;   in Loop: Header=BB2077_518 Depth=2
	s_or_b32 exec_lo, exec_lo, s15
	s_mov_b32 s15, exec_lo
	v_cmpx_gt_u32_e64 s14, v36
	s_cbranch_execnz .LBB2077_544
.LBB2077_537:                           ;   in Loop: Header=BB2077_518 Depth=2
	s_or_b32 exec_lo, exec_lo, s15
	s_mov_b32 s15, exec_lo
	v_cmpx_gt_u32_e64 s14, v37
	s_cbranch_execnz .LBB2077_545
.LBB2077_538:                           ;   in Loop: Header=BB2077_518 Depth=2
	s_or_b32 exec_lo, exec_lo, s15
	v_cmp_gt_u32_e32 vcc_lo, s14, v38
	s_and_saveexec_b32 s14, vcc_lo
	s_cbranch_execz .LBB2077_517
	s_branch .LBB2077_546
.LBB2077_539:                           ;   in Loop: Header=BB2077_518 Depth=2
	v_cmp_lt_i16_e32 vcc_lo, -1, v11
	v_cndmask_b32_e64 v12, -1, 0xffff8000, vcc_lo
	v_xor_b32_e32 v12, v12, v11
	v_cmp_ne_u16_e32 vcc_lo, 0x7fff, v12
	v_cndmask_b32_e32 v12, 0xffff8000, v12, vcc_lo
	v_lshrrev_b32_sdwa v12, s49, v12 dst_sel:DWORD dst_unused:UNUSED_PAD src0_sel:DWORD src1_sel:WORD_0
	v_and_b32_e32 v12, s42, v12
	v_lshl_or_b32 v12, v12, 4, v40
	ds_add_u32 v12, v62
	s_or_b32 exec_lo, exec_lo, s15
	s_mov_b32 s15, exec_lo
	v_cmpx_gt_u32_e64 s14, v30
	s_cbranch_execz .LBB2077_533
.LBB2077_540:                           ;   in Loop: Header=BB2077_518 Depth=2
	v_cmp_lt_i16_e32 vcc_lo, -1, v10
	v_cndmask_b32_e64 v12, -1, 0xffff8000, vcc_lo
	v_xor_b32_e32 v12, v12, v10
	v_cmp_ne_u16_e32 vcc_lo, 0x7fff, v12
	v_cndmask_b32_e32 v12, 0xffff8000, v12, vcc_lo
	v_lshrrev_b32_sdwa v12, s49, v12 dst_sel:DWORD dst_unused:UNUSED_PAD src0_sel:DWORD src1_sel:WORD_0
	v_and_b32_e32 v12, s42, v12
	v_lshl_or_b32 v12, v12, 4, v40
	ds_add_u32 v12, v62
	s_or_b32 exec_lo, exec_lo, s15
	s_mov_b32 s15, exec_lo
	v_cmpx_gt_u32_e64 s14, v31
	s_cbranch_execz .LBB2077_534
.LBB2077_541:                           ;   in Loop: Header=BB2077_518 Depth=2
	v_cmp_lt_i16_e32 vcc_lo, -1, v9
	v_cndmask_b32_e64 v12, -1, 0xffff8000, vcc_lo
	v_xor_b32_e32 v12, v12, v9
	v_cmp_ne_u16_e32 vcc_lo, 0x7fff, v12
	v_cndmask_b32_e32 v12, 0xffff8000, v12, vcc_lo
	v_lshrrev_b32_sdwa v12, s49, v12 dst_sel:DWORD dst_unused:UNUSED_PAD src0_sel:DWORD src1_sel:WORD_0
	v_and_b32_e32 v12, s42, v12
	v_lshl_or_b32 v12, v12, 4, v40
	ds_add_u32 v12, v62
	s_or_b32 exec_lo, exec_lo, s15
	s_mov_b32 s15, exec_lo
	v_cmpx_gt_u32_e64 s14, v32
	s_cbranch_execz .LBB2077_535
.LBB2077_542:                           ;   in Loop: Header=BB2077_518 Depth=2
	v_cmp_lt_i16_e32 vcc_lo, -1, v8
	v_cndmask_b32_e64 v12, -1, 0xffff8000, vcc_lo
	v_xor_b32_e32 v12, v12, v8
	v_cmp_ne_u16_e32 vcc_lo, 0x7fff, v12
	v_cndmask_b32_e32 v12, 0xffff8000, v12, vcc_lo
	v_lshrrev_b32_sdwa v12, s49, v12 dst_sel:DWORD dst_unused:UNUSED_PAD src0_sel:DWORD src1_sel:WORD_0
	v_and_b32_e32 v12, s42, v12
	v_lshl_or_b32 v12, v12, 4, v40
	ds_add_u32 v12, v62
	s_or_b32 exec_lo, exec_lo, s15
	s_mov_b32 s15, exec_lo
	v_cmpx_gt_u32_e64 s14, v35
	s_cbranch_execz .LBB2077_536
.LBB2077_543:                           ;   in Loop: Header=BB2077_518 Depth=2
	v_cmp_lt_i16_e32 vcc_lo, -1, v7
	v_cndmask_b32_e64 v12, -1, 0xffff8000, vcc_lo
	v_xor_b32_e32 v12, v12, v7
	v_cmp_ne_u16_e32 vcc_lo, 0x7fff, v12
	v_cndmask_b32_e32 v12, 0xffff8000, v12, vcc_lo
	v_lshrrev_b32_sdwa v12, s49, v12 dst_sel:DWORD dst_unused:UNUSED_PAD src0_sel:DWORD src1_sel:WORD_0
	v_and_b32_e32 v12, s42, v12
	v_lshl_or_b32 v12, v12, 4, v40
	ds_add_u32 v12, v62
	s_or_b32 exec_lo, exec_lo, s15
	s_mov_b32 s15, exec_lo
	v_cmpx_gt_u32_e64 s14, v36
	s_cbranch_execz .LBB2077_537
.LBB2077_544:                           ;   in Loop: Header=BB2077_518 Depth=2
	v_cmp_lt_i16_e32 vcc_lo, -1, v6
	v_cndmask_b32_e64 v12, -1, 0xffff8000, vcc_lo
	v_xor_b32_e32 v12, v12, v6
	v_cmp_ne_u16_e32 vcc_lo, 0x7fff, v12
	v_cndmask_b32_e32 v12, 0xffff8000, v12, vcc_lo
	v_lshrrev_b32_sdwa v12, s49, v12 dst_sel:DWORD dst_unused:UNUSED_PAD src0_sel:DWORD src1_sel:WORD_0
	v_and_b32_e32 v12, s42, v12
	v_lshl_or_b32 v12, v12, 4, v40
	ds_add_u32 v12, v62
	s_or_b32 exec_lo, exec_lo, s15
	s_mov_b32 s15, exec_lo
	v_cmpx_gt_u32_e64 s14, v37
	s_cbranch_execz .LBB2077_538
.LBB2077_545:                           ;   in Loop: Header=BB2077_518 Depth=2
	v_cmp_lt_i16_e32 vcc_lo, -1, v5
	v_cndmask_b32_e64 v12, -1, 0xffff8000, vcc_lo
	v_xor_b32_e32 v12, v12, v5
	v_cmp_ne_u16_e32 vcc_lo, 0x7fff, v12
	v_cndmask_b32_e32 v12, 0xffff8000, v12, vcc_lo
	v_lshrrev_b32_sdwa v12, s49, v12 dst_sel:DWORD dst_unused:UNUSED_PAD src0_sel:DWORD src1_sel:WORD_0
	v_and_b32_e32 v12, s42, v12
	v_lshl_or_b32 v12, v12, 4, v40
	ds_add_u32 v12, v62
	s_or_b32 exec_lo, exec_lo, s15
	v_cmp_gt_u32_e32 vcc_lo, s14, v38
	s_and_saveexec_b32 s14, vcc_lo
	s_cbranch_execz .LBB2077_517
.LBB2077_546:                           ;   in Loop: Header=BB2077_518 Depth=2
	v_cmp_lt_i16_e32 vcc_lo, -1, v3
	v_cndmask_b32_e64 v12, -1, 0xffff8000, vcc_lo
	v_xor_b32_e32 v12, v12, v3
	v_cmp_ne_u16_e32 vcc_lo, 0x7fff, v12
	v_cndmask_b32_e32 v12, 0xffff8000, v12, vcc_lo
	v_lshrrev_b32_sdwa v12, s49, v12 dst_sel:DWORD dst_unused:UNUSED_PAD src0_sel:DWORD src1_sel:WORD_0
	v_and_b32_e32 v12, s42, v12
	v_lshl_or_b32 v12, v12, 4, v40
	ds_add_u32 v12, v62
	s_branch .LBB2077_517
.LBB2077_547:                           ;   in Loop: Header=BB2077_518 Depth=2
	global_load_ushort v11, v79, s[14:15]
	s_or_b32 exec_lo, exec_lo, s17
	s_mov_b32 s17, exec_lo
	v_cmpx_gt_u32_e64 s5, v30
	s_cbranch_execz .LBB2077_523
.LBB2077_548:                           ;   in Loop: Header=BB2077_518 Depth=2
	global_load_ushort v10, v79, s[14:15] offset:512
	s_or_b32 exec_lo, exec_lo, s17
	s_mov_b32 s17, exec_lo
	v_cmpx_gt_u32_e64 s5, v31
	s_cbranch_execz .LBB2077_524
.LBB2077_549:                           ;   in Loop: Header=BB2077_518 Depth=2
	global_load_ushort v9, v79, s[14:15] offset:1024
	s_or_b32 exec_lo, exec_lo, s17
	s_mov_b32 s17, exec_lo
	v_cmpx_gt_u32_e64 s5, v32
	s_cbranch_execz .LBB2077_525
.LBB2077_550:                           ;   in Loop: Header=BB2077_518 Depth=2
	global_load_ushort v8, v79, s[14:15] offset:1536
	s_or_b32 exec_lo, exec_lo, s17
	s_mov_b32 s17, exec_lo
	v_cmpx_gt_u32_e64 s5, v35
	s_cbranch_execz .LBB2077_526
.LBB2077_551:                           ;   in Loop: Header=BB2077_518 Depth=2
	global_load_ushort v7, v80, s[14:15]
	s_or_b32 exec_lo, exec_lo, s17
	s_mov_b32 s17, exec_lo
	v_cmpx_gt_u32_e64 s5, v36
	s_cbranch_execz .LBB2077_527
.LBB2077_552:                           ;   in Loop: Header=BB2077_518 Depth=2
	global_load_ushort v6, v81, s[14:15]
	s_or_b32 exec_lo, exec_lo, s17
	s_mov_b32 s17, exec_lo
	v_cmpx_gt_u32_e64 s5, v37
	s_cbranch_execz .LBB2077_528
.LBB2077_553:                           ;   in Loop: Header=BB2077_518 Depth=2
	global_load_ushort v5, v82, s[14:15]
	s_or_b32 exec_lo, exec_lo, s17
	s_mov_b32 s17, exec_lo
	v_cmpx_gt_u32_e64 s5, v38
	s_cbranch_execnz .LBB2077_529
	s_branch .LBB2077_530
.LBB2077_554:                           ;   in Loop: Header=BB2077_20 Depth=1
	v_mov_b32_e32 v3, 0
	s_waitcnt lgkmcnt(0)
	s_barrier
	buffer_gl0_inv
	s_and_saveexec_b32 s5, s8
	s_cbranch_execz .LBB2077_556
; %bb.555:                              ;   in Loop: Header=BB2077_20 Depth=1
	ds_read2_b64 v[5:8], v41 offset1:1
	s_waitcnt lgkmcnt(0)
	v_add_nc_u32_e32 v3, v6, v5
	v_add3_u32 v3, v3, v7, v8
.LBB2077_556:                           ;   in Loop: Header=BB2077_20 Depth=1
	s_or_b32 exec_lo, exec_lo, s5
	v_mov_b32_dpp v5, v3 row_shr:1 row_mask:0xf bank_mask:0xf
	v_cmp_eq_u32_e64 s5, 0, v63
	v_cmp_lt_u32_e64 s14, 1, v63
	v_cmp_lt_u32_e64 s15, 3, v63
	;; [unrolled: 1-line block ×3, first 2 shown]
	v_cmp_eq_u32_e64 s17, 0, v65
	v_cndmask_b32_e64 v5, v5, 0, s5
	v_add_nc_u32_e32 v3, v5, v3
	v_mov_b32_dpp v5, v3 row_shr:2 row_mask:0xf bank_mask:0xf
	v_cndmask_b32_e64 v5, 0, v5, s14
	v_add_nc_u32_e32 v3, v3, v5
	v_mov_b32_dpp v5, v3 row_shr:4 row_mask:0xf bank_mask:0xf
	;; [unrolled: 3-line block ×3, first 2 shown]
	v_cndmask_b32_e64 v5, 0, v5, s16
	v_add_nc_u32_e32 v3, v3, v5
	ds_swizzle_b32 v5, v3 offset:swizzle(BROADCAST,32,15)
	s_waitcnt lgkmcnt(0)
	v_and_b32_e32 v5, v64, v5
	v_add_nc_u32_e32 v3, v3, v5
	s_and_saveexec_b32 s18, s9
; %bb.557:                              ;   in Loop: Header=BB2077_20 Depth=1
	ds_write_b32 v42, v3
; %bb.558:                              ;   in Loop: Header=BB2077_20 Depth=1
	s_or_b32 exec_lo, exec_lo, s18
	s_waitcnt lgkmcnt(0)
	s_barrier
	buffer_gl0_inv
	s_and_saveexec_b32 s18, s10
	s_cbranch_execz .LBB2077_560
; %bb.559:                              ;   in Loop: Header=BB2077_20 Depth=1
	ds_read_b32 v5, v43
	v_cmp_ne_u32_e32 vcc_lo, 0, v67
	s_waitcnt lgkmcnt(0)
	v_mov_b32_dpp v6, v5 row_shr:1 row_mask:0xf bank_mask:0xf
	v_cndmask_b32_e32 v6, 0, v6, vcc_lo
	v_cmp_lt_u32_e32 vcc_lo, 1, v67
	v_add_nc_u32_e32 v5, v6, v5
	v_mov_b32_dpp v6, v5 row_shr:2 row_mask:0xf bank_mask:0xf
	v_cndmask_b32_e32 v6, 0, v6, vcc_lo
	v_cmp_lt_u32_e32 vcc_lo, 3, v67
	v_add_nc_u32_e32 v5, v5, v6
	v_mov_b32_dpp v6, v5 row_shr:4 row_mask:0xf bank_mask:0xf
	v_cndmask_b32_e32 v6, 0, v6, vcc_lo
	v_add_nc_u32_e32 v5, v5, v6
	ds_write_b32 v43, v5
.LBB2077_560:                           ;   in Loop: Header=BB2077_20 Depth=1
	s_or_b32 exec_lo, exec_lo, s18
	v_mov_b32_e32 v5, 0
	s_waitcnt lgkmcnt(0)
	s_barrier
	buffer_gl0_inv
	s_and_saveexec_b32 s18, s11
; %bb.561:                              ;   in Loop: Header=BB2077_20 Depth=1
	ds_read_b32 v5, v45
; %bb.562:                              ;   in Loop: Header=BB2077_20 Depth=1
	s_or_b32 exec_lo, exec_lo, s18
	v_cmp_gt_i32_e32 vcc_lo, 0, v68
	s_waitcnt lgkmcnt(0)
	v_add_nc_u32_e32 v3, v5, v3
	s_barrier
	buffer_gl0_inv
	v_cndmask_b32_e32 v6, v68, v59, vcc_lo
	v_lshlrev_b32_e32 v91, 2, v6
	ds_bpermute_b32 v3, v91, v3
	s_and_saveexec_b32 s18, s8
	s_cbranch_execz .LBB2077_564
; %bb.563:                              ;   in Loop: Header=BB2077_20 Depth=1
	s_waitcnt lgkmcnt(0)
	v_cndmask_b32_e64 v3, v3, v5, s13
	v_add_nc_u32_e32 v3, s33, v3
	ds_write_b32 v29, v3
.LBB2077_564:                           ;   in Loop: Header=BB2077_20 Depth=1
	s_or_b32 exec_lo, exec_lo, s18
	s_load_dwordx2 s[18:19], s[30:31], 0x0
	v_add_co_u32 v92, vcc_lo, v57, v69
	v_add_co_ci_u32_e64 v93, null, 0, v58, vcc_lo
	v_add_co_u32 v94, vcc_lo, v60, v77
	v_add_co_ci_u32_e64 v95, null, 0, v61, vcc_lo
	s_mov_b32 s43, s53
	s_mov_b32 s34, s33
                                        ; implicit-def: $vgpr7_vgpr8
                                        ; implicit-def: $vgpr9_vgpr10
                                        ; implicit-def: $vgpr11_vgpr12
                                        ; implicit-def: $vgpr13_vgpr14
                                        ; implicit-def: $vgpr15_vgpr16
                                        ; implicit-def: $vgpr17_vgpr18
                                        ; implicit-def: $vgpr19_vgpr20
                                        ; implicit-def: $vgpr97
                                        ; implicit-def: $vgpr98
                                        ; implicit-def: $vgpr99
                                        ; implicit-def: $vgpr100
                                        ; implicit-def: $vgpr101
                                        ; implicit-def: $vgpr102
                                        ; implicit-def: $vgpr103
                                        ; implicit-def: $vgpr104
	s_waitcnt lgkmcnt(0)
	s_cmp_lt_u32 s7, s19
	s_cselect_b32 s19, 14, 20
	s_add_u32 s20, s30, s19
	s_addc_u32 s21, s31, 0
	s_cmp_lt_u32 s6, s18
	global_load_ushort v3, v4, s[20:21]
	s_cselect_b32 s18, 12, 18
	s_add_u32 s18, s30, s18
	s_addc_u32 s19, s31, 0
	global_load_ushort v5, v4, s[18:19]
	v_cmp_eq_u32_e64 s18, 0, v67
	v_cmp_lt_u32_e64 s19, 1, v67
	v_cmp_lt_u32_e64 s20, 3, v67
	s_waitcnt vmcnt(1)
	v_mad_u32_u24 v3, v2, v3, v1
	s_waitcnt vmcnt(0)
	v_mad_u64_u32 v[5:6], null, v3, v5, v[0:1]
	v_lshrrev_b32_e32 v3, 3, v5
                                        ; implicit-def: $vgpr5_vgpr6
	v_and_b32_e32 v96, 0x1ffffffc, v3
	s_branch .LBB2077_566
.LBB2077_565:                           ;   in Loop: Header=BB2077_566 Depth=2
	s_or_b32 exec_lo, exec_lo, s21
	s_addk_i32 s43, 0xf800
	s_cmp_lt_u32 s48, s52
	s_mov_b32 s34, s48
	s_cbranch_scc0 .LBB2077_18
.LBB2077_566:                           ;   Parent Loop BB2077_20 Depth=1
                                        ; =>  This Inner Loop Header: Depth=2
	s_add_i32 s48, s34, 0x800
	s_cmp_gt_u32 s48, s52
	s_cbranch_scc1 .LBB2077_568
; %bb.567:                              ;   in Loop: Header=BB2077_566 Depth=2
	s_lshl_b64 s[22:23], s[34:35], 1
	s_mov_b32 s21, -1
	v_add_co_u32 v21, vcc_lo, v94, s22
	v_add_co_ci_u32_e64 v22, null, s23, v95, vcc_lo
	s_clause 0x6
	global_load_ushort v3, v[21:22], off
	global_load_ushort v28, v[21:22], off offset:64
	global_load_ushort v27, v[21:22], off offset:128
	;; [unrolled: 1-line block ×6, first 2 shown]
	s_movk_i32 s22, 0x800
	s_cbranch_execz .LBB2077_569
	s_branch .LBB2077_584
.LBB2077_568:                           ;   in Loop: Header=BB2077_566 Depth=2
	s_mov_b32 s21, 0
                                        ; implicit-def: $vgpr3
                                        ; implicit-def: $vgpr28
                                        ; implicit-def: $vgpr27
                                        ; implicit-def: $vgpr26
                                        ; implicit-def: $vgpr25
                                        ; implicit-def: $vgpr24
                                        ; implicit-def: $vgpr23
	s_movk_i32 s22, 0x800
.LBB2077_569:                           ;   in Loop: Header=BB2077_566 Depth=2
	s_lshl_b64 s[22:23], s[34:35], 1
	s_waitcnt vmcnt(5)
	v_mov_b32_e32 v28, 0x7fff
	v_add_co_u32 v21, vcc_lo, v94, s22
	v_add_co_ci_u32_e64 v22, null, s23, v95, vcc_lo
	v_mov_b32_e32 v3, 0x7fff
	s_mov_b32 s21, exec_lo
	v_cmpx_gt_u32_e64 s43, v66
	s_cbranch_execz .LBB2077_571
; %bb.570:                              ;   in Loop: Header=BB2077_566 Depth=2
	global_load_ushort v3, v[21:22], off
.LBB2077_571:                           ;   in Loop: Header=BB2077_566 Depth=2
	s_or_b32 exec_lo, exec_lo, s21
	s_mov_b32 s21, exec_lo
	v_cmpx_gt_u32_e64 s43, v70
	s_cbranch_execz .LBB2077_573
; %bb.572:                              ;   in Loop: Header=BB2077_566 Depth=2
	global_load_ushort v28, v[21:22], off offset:64
.LBB2077_573:                           ;   in Loop: Header=BB2077_566 Depth=2
	s_or_b32 exec_lo, exec_lo, s21
	s_waitcnt vmcnt(3)
	v_mov_b32_e32 v26, 0x7fff
	v_mov_b32_e32 v27, 0x7fff
	s_mov_b32 s21, exec_lo
	v_cmpx_gt_u32_e64 s43, v71
	s_cbranch_execz .LBB2077_575
; %bb.574:                              ;   in Loop: Header=BB2077_566 Depth=2
	global_load_ushort v27, v[21:22], off offset:128
.LBB2077_575:                           ;   in Loop: Header=BB2077_566 Depth=2
	s_or_b32 exec_lo, exec_lo, s21
	s_mov_b32 s21, exec_lo
	v_cmpx_gt_u32_e64 s43, v72
	s_cbranch_execz .LBB2077_577
; %bb.576:                              ;   in Loop: Header=BB2077_566 Depth=2
	global_load_ushort v26, v[21:22], off offset:192
.LBB2077_577:                           ;   in Loop: Header=BB2077_566 Depth=2
	s_or_b32 exec_lo, exec_lo, s21
	s_waitcnt vmcnt(1)
	v_mov_b32_e32 v24, 0x7fff
	v_mov_b32_e32 v25, 0x7fff
	s_mov_b32 s21, exec_lo
	v_cmpx_gt_u32_e64 s43, v73
	s_cbranch_execz .LBB2077_579
; %bb.578:                              ;   in Loop: Header=BB2077_566 Depth=2
	global_load_ushort v25, v[21:22], off offset:256
.LBB2077_579:                           ;   in Loop: Header=BB2077_566 Depth=2
	s_or_b32 exec_lo, exec_lo, s21
	s_mov_b32 s21, exec_lo
	v_cmpx_gt_u32_e64 s43, v74
	s_cbranch_execz .LBB2077_581
; %bb.580:                              ;   in Loop: Header=BB2077_566 Depth=2
	global_load_ushort v24, v[21:22], off offset:320
.LBB2077_581:                           ;   in Loop: Header=BB2077_566 Depth=2
	s_or_b32 exec_lo, exec_lo, s21
	s_waitcnt vmcnt(0)
	v_mov_b32_e32 v23, 0x7fff
	s_mov_b32 s21, exec_lo
	v_cmpx_gt_u32_e64 s43, v75
	s_cbranch_execz .LBB2077_583
; %bb.582:                              ;   in Loop: Header=BB2077_566 Depth=2
	global_load_ushort v23, v[21:22], off offset:384
.LBB2077_583:                           ;   in Loop: Header=BB2077_566 Depth=2
	s_or_b32 exec_lo, exec_lo, s21
	v_cmp_gt_u32_e64 s21, s43, v76
	s_sub_i32 s22, s52, s34
.LBB2077_584:                           ;   in Loop: Header=BB2077_566 Depth=2
	v_mov_b32_e32 v21, 0x7fff
	v_mov_b32_e32 v105, s43
	s_and_saveexec_b32 s23, s21
	s_cbranch_execz .LBB2077_586
; %bb.585:                              ;   in Loop: Header=BB2077_566 Depth=2
	s_lshl_b64 s[24:25], s[34:35], 1
	v_mov_b32_e32 v105, s22
	v_add_co_u32 v21, vcc_lo, v94, s24
	v_add_co_ci_u32_e64 v22, null, s25, v95, vcc_lo
	global_load_ushort v21, v[21:22], off offset:448
.LBB2077_586:                           ;   in Loop: Header=BB2077_566 Depth=2
	s_or_b32 exec_lo, exec_lo, s23
	s_waitcnt vmcnt(6)
	v_cmp_lt_i16_e32 vcc_lo, -1, v3
	ds_write2_b32 v78, v4, v4 offset1:1
	ds_write2_b32 v88, v4, v4 offset1:1
	ds_write2_b32 v89, v4, v4 offset1:1
	ds_write2_b32 v90, v4, v4 offset1:1
	ds_write_b32 v44, v4 offset:1088
	s_waitcnt vmcnt(0) lgkmcnt(0)
	s_barrier
	v_cndmask_b32_e64 v22, -1, 0xffff8000, vcc_lo
	buffer_gl0_inv
	; wave barrier
	v_xor_b32_e32 v3, v22, v3
	v_cmp_ne_u16_e32 vcc_lo, 0x7fff, v3
	v_cndmask_b32_e32 v22, 0xffff8000, v3, vcc_lo
	v_lshrrev_b32_sdwa v22, s49, v22 dst_sel:DWORD dst_unused:UNUSED_PAD src0_sel:DWORD src1_sel:WORD_0
	v_and_b32_e32 v107, s42, v22
	v_and_b32_e32 v22, 1, v107
	v_lshlrev_b32_e32 v106, 30, v107
	v_lshlrev_b32_e32 v108, 29, v107
	;; [unrolled: 1-line block ×4, first 2 shown]
	v_add_co_u32 v22, s21, v22, -1
	v_cndmask_b32_e64 v110, 0, 1, s21
	v_not_b32_e32 v114, v106
	v_cmp_gt_i32_e64 s21, 0, v106
	v_not_b32_e32 v106, v108
	v_lshlrev_b32_e32 v112, 26, v107
	v_cmp_ne_u32_e32 vcc_lo, 0, v110
	v_ashrrev_i32_e32 v114, 31, v114
	v_lshlrev_b32_e32 v113, 25, v107
	v_ashrrev_i32_e32 v106, 31, v106
	v_lshlrev_b32_e32 v110, 24, v107
	v_xor_b32_e32 v22, vcc_lo, v22
	v_cmp_gt_i32_e32 vcc_lo, 0, v108
	v_not_b32_e32 v108, v109
	v_xor_b32_e32 v114, s21, v114
	v_cmp_gt_i32_e64 s21, 0, v109
	v_and_b32_e32 v22, exec_lo, v22
	v_not_b32_e32 v109, v111
	v_ashrrev_i32_e32 v108, 31, v108
	v_xor_b32_e32 v106, vcc_lo, v106
	v_cmp_gt_i32_e32 vcc_lo, 0, v111
	v_and_b32_e32 v22, v22, v114
	v_not_b32_e32 v111, v112
	v_ashrrev_i32_e32 v109, 31, v109
	v_xor_b32_e32 v108, s21, v108
	v_cmp_gt_i32_e64 s21, 0, v112
	v_and_b32_e32 v22, v22, v106
	v_not_b32_e32 v106, v113
	v_ashrrev_i32_e32 v111, 31, v111
	v_xor_b32_e32 v109, vcc_lo, v109
	v_cmp_gt_i32_e32 vcc_lo, 0, v113
	v_and_b32_e32 v22, v22, v108
	v_not_b32_e32 v108, v110
	v_ashrrev_i32_e32 v106, 31, v106
	v_xor_b32_e32 v111, s21, v111
	v_cmp_gt_i32_e64 s21, 0, v110
	v_and_b32_e32 v22, v22, v109
	v_ashrrev_i32_e32 v108, 31, v108
	v_xor_b32_e32 v106, vcc_lo, v106
	v_mul_u32_u24_e32 v107, 36, v107
	v_and_b32_e32 v22, v22, v111
	v_xor_b32_e32 v108, s21, v108
	v_and_b32_e32 v22, v22, v106
	v_and_b32_e32 v22, v22, v108
	v_add_nc_u32_e32 v108, v96, v107
	v_mbcnt_lo_u32_b32 v106, v22, 0
	v_cmp_ne_u32_e64 s21, 0, v22
	v_cmp_eq_u32_e32 vcc_lo, 0, v106
	s_and_b32 s22, s21, vcc_lo
	s_and_saveexec_b32 s21, s22
; %bb.587:                              ;   in Loop: Header=BB2077_566 Depth=2
	v_bcnt_u32_b32 v22, v22, 0
	ds_write_b32 v108, v22 offset:1056
; %bb.588:                              ;   in Loop: Header=BB2077_566 Depth=2
	s_or_b32 exec_lo, exec_lo, s21
	v_cmp_lt_i16_e32 vcc_lo, -1, v28
	; wave barrier
	v_cndmask_b32_e64 v22, -1, 0xffff8000, vcc_lo
	v_xor_b32_e32 v107, v22, v28
	v_cmp_ne_u16_e32 vcc_lo, 0x7fff, v107
	v_cndmask_b32_e32 v22, 0xffff8000, v107, vcc_lo
	v_lshrrev_b32_sdwa v22, s49, v22 dst_sel:DWORD dst_unused:UNUSED_PAD src0_sel:DWORD src1_sel:WORD_0
	v_and_b32_e32 v28, s42, v22
	v_and_b32_e32 v22, 1, v28
	v_lshlrev_b32_e32 v109, 30, v28
	v_lshlrev_b32_e32 v110, 29, v28
	v_lshlrev_b32_e32 v111, 28, v28
	v_lshlrev_b32_e32 v113, 27, v28
	v_add_co_u32 v22, s21, v22, -1
	v_cndmask_b32_e64 v112, 0, 1, s21
	v_not_b32_e32 v116, v109
	v_cmp_gt_i32_e64 s21, 0, v109
	v_not_b32_e32 v109, v110
	v_lshlrev_b32_e32 v114, 26, v28
	v_cmp_ne_u32_e32 vcc_lo, 0, v112
	v_ashrrev_i32_e32 v116, 31, v116
	v_lshlrev_b32_e32 v115, 25, v28
	v_ashrrev_i32_e32 v109, 31, v109
	v_lshlrev_b32_e32 v112, 24, v28
	v_xor_b32_e32 v22, vcc_lo, v22
	v_cmp_gt_i32_e32 vcc_lo, 0, v110
	v_not_b32_e32 v110, v111
	v_xor_b32_e32 v116, s21, v116
	v_cmp_gt_i32_e64 s21, 0, v111
	v_and_b32_e32 v22, exec_lo, v22
	v_not_b32_e32 v111, v113
	v_ashrrev_i32_e32 v110, 31, v110
	v_xor_b32_e32 v109, vcc_lo, v109
	v_cmp_gt_i32_e32 vcc_lo, 0, v113
	v_and_b32_e32 v22, v22, v116
	v_not_b32_e32 v113, v114
	v_ashrrev_i32_e32 v111, 31, v111
	v_xor_b32_e32 v110, s21, v110
	v_cmp_gt_i32_e64 s21, 0, v114
	v_and_b32_e32 v22, v22, v109
	v_not_b32_e32 v109, v115
	v_ashrrev_i32_e32 v113, 31, v113
	v_xor_b32_e32 v111, vcc_lo, v111
	v_cmp_gt_i32_e32 vcc_lo, 0, v115
	v_and_b32_e32 v22, v22, v110
	v_not_b32_e32 v110, v112
	v_ashrrev_i32_e32 v109, 31, v109
	v_xor_b32_e32 v113, s21, v113
	v_cmp_gt_i32_e64 s21, 0, v112
	v_and_b32_e32 v22, v22, v111
	v_ashrrev_i32_e32 v110, 31, v110
	v_xor_b32_e32 v109, vcc_lo, v109
	v_mad_u32_u24 v111, v28, 36, v96
	v_mul_u32_u24_e32 v28, 36, v28
	v_and_b32_e32 v22, v22, v113
	v_xor_b32_e32 v110, s21, v110
	v_add_nc_u32_e32 v112, v96, v28
	v_and_b32_e32 v22, v22, v109
	ds_read_b32 v109, v111 offset:1056
	; wave barrier
	v_and_b32_e32 v22, v22, v110
	v_mbcnt_lo_u32_b32 v110, v22, 0
	v_cmp_ne_u32_e64 s21, 0, v22
	v_cmp_eq_u32_e32 vcc_lo, 0, v110
	s_and_b32 s22, s21, vcc_lo
	s_and_saveexec_b32 s21, s22
	s_cbranch_execz .LBB2077_590
; %bb.589:                              ;   in Loop: Header=BB2077_566 Depth=2
	s_waitcnt lgkmcnt(0)
	v_bcnt_u32_b32 v22, v22, v109
	ds_write_b32 v112, v22 offset:1056
.LBB2077_590:                           ;   in Loop: Header=BB2077_566 Depth=2
	s_or_b32 exec_lo, exec_lo, s21
	v_cmp_lt_i16_e32 vcc_lo, -1, v27
	; wave barrier
	v_cndmask_b32_e64 v22, -1, 0xffff8000, vcc_lo
	v_xor_b32_e32 v111, v22, v27
	v_cmp_ne_u16_e32 vcc_lo, 0x7fff, v111
	v_cndmask_b32_e32 v22, 0xffff8000, v111, vcc_lo
	v_lshrrev_b32_sdwa v22, s49, v22 dst_sel:DWORD dst_unused:UNUSED_PAD src0_sel:DWORD src1_sel:WORD_0
	v_and_b32_e32 v27, s42, v22
	v_and_b32_e32 v22, 1, v27
	v_lshlrev_b32_e32 v28, 30, v27
	v_lshlrev_b32_e32 v113, 29, v27
	;; [unrolled: 1-line block ×4, first 2 shown]
	v_add_co_u32 v22, s21, v22, -1
	v_cndmask_b32_e64 v115, 0, 1, s21
	v_not_b32_e32 v119, v28
	v_cmp_gt_i32_e64 s21, 0, v28
	v_not_b32_e32 v28, v113
	v_lshlrev_b32_e32 v117, 26, v27
	v_cmp_ne_u32_e32 vcc_lo, 0, v115
	v_ashrrev_i32_e32 v119, 31, v119
	v_lshlrev_b32_e32 v118, 25, v27
	v_ashrrev_i32_e32 v28, 31, v28
	v_lshlrev_b32_e32 v115, 24, v27
	v_xor_b32_e32 v22, vcc_lo, v22
	v_cmp_gt_i32_e32 vcc_lo, 0, v113
	v_not_b32_e32 v113, v114
	v_xor_b32_e32 v119, s21, v119
	v_cmp_gt_i32_e64 s21, 0, v114
	v_and_b32_e32 v22, exec_lo, v22
	v_not_b32_e32 v114, v116
	v_ashrrev_i32_e32 v113, 31, v113
	v_xor_b32_e32 v28, vcc_lo, v28
	v_cmp_gt_i32_e32 vcc_lo, 0, v116
	v_and_b32_e32 v22, v22, v119
	v_not_b32_e32 v116, v117
	v_ashrrev_i32_e32 v114, 31, v114
	v_xor_b32_e32 v113, s21, v113
	v_cmp_gt_i32_e64 s21, 0, v117
	v_and_b32_e32 v22, v22, v28
	v_not_b32_e32 v28, v118
	v_ashrrev_i32_e32 v116, 31, v116
	v_xor_b32_e32 v114, vcc_lo, v114
	v_cmp_gt_i32_e32 vcc_lo, 0, v118
	v_and_b32_e32 v22, v22, v113
	v_not_b32_e32 v113, v115
	v_ashrrev_i32_e32 v28, 31, v28
	v_xor_b32_e32 v116, s21, v116
	v_cmp_gt_i32_e64 s21, 0, v115
	v_and_b32_e32 v22, v22, v114
	v_ashrrev_i32_e32 v113, 31, v113
	v_xor_b32_e32 v28, vcc_lo, v28
	v_mad_u32_u24 v114, v27, 36, v96
	v_mul_u32_u24_e32 v27, 36, v27
	v_and_b32_e32 v22, v22, v116
	v_xor_b32_e32 v115, s21, v113
	ds_read_b32 v113, v114 offset:1056
	v_add_nc_u32_e32 v116, v96, v27
	v_and_b32_e32 v22, v22, v28
	; wave barrier
	v_and_b32_e32 v22, v22, v115
	v_mbcnt_lo_u32_b32 v115, v22, 0
	v_cmp_ne_u32_e64 s21, 0, v22
	v_cmp_eq_u32_e32 vcc_lo, 0, v115
	s_and_b32 s22, s21, vcc_lo
	s_and_saveexec_b32 s21, s22
	s_cbranch_execz .LBB2077_592
; %bb.591:                              ;   in Loop: Header=BB2077_566 Depth=2
	s_waitcnt lgkmcnt(0)
	v_bcnt_u32_b32 v22, v22, v113
	ds_write_b32 v116, v22 offset:1056
.LBB2077_592:                           ;   in Loop: Header=BB2077_566 Depth=2
	s_or_b32 exec_lo, exec_lo, s21
	v_cmp_lt_i16_e32 vcc_lo, -1, v26
	; wave barrier
	v_cndmask_b32_e64 v22, -1, 0xffff8000, vcc_lo
	v_xor_b32_e32 v114, v22, v26
	v_cmp_ne_u16_e32 vcc_lo, 0x7fff, v114
	v_cndmask_b32_e32 v22, 0xffff8000, v114, vcc_lo
	v_lshrrev_b32_sdwa v22, s49, v22 dst_sel:DWORD dst_unused:UNUSED_PAD src0_sel:DWORD src1_sel:WORD_0
	v_and_b32_e32 v26, s42, v22
	v_and_b32_e32 v22, 1, v26
	v_lshlrev_b32_e32 v27, 30, v26
	v_lshlrev_b32_e32 v28, 29, v26
	;; [unrolled: 1-line block ×4, first 2 shown]
	v_add_co_u32 v22, s21, v22, -1
	v_cndmask_b32_e64 v118, 0, 1, s21
	v_not_b32_e32 v122, v27
	v_cmp_gt_i32_e64 s21, 0, v27
	v_not_b32_e32 v27, v28
	v_lshlrev_b32_e32 v120, 26, v26
	v_cmp_ne_u32_e32 vcc_lo, 0, v118
	v_ashrrev_i32_e32 v122, 31, v122
	v_lshlrev_b32_e32 v121, 25, v26
	v_ashrrev_i32_e32 v27, 31, v27
	v_lshlrev_b32_e32 v118, 24, v26
	v_xor_b32_e32 v22, vcc_lo, v22
	v_cmp_gt_i32_e32 vcc_lo, 0, v28
	v_not_b32_e32 v28, v117
	v_xor_b32_e32 v122, s21, v122
	v_cmp_gt_i32_e64 s21, 0, v117
	v_and_b32_e32 v22, exec_lo, v22
	v_not_b32_e32 v117, v119
	v_ashrrev_i32_e32 v28, 31, v28
	v_xor_b32_e32 v27, vcc_lo, v27
	v_cmp_gt_i32_e32 vcc_lo, 0, v119
	v_and_b32_e32 v22, v22, v122
	v_not_b32_e32 v119, v120
	v_ashrrev_i32_e32 v117, 31, v117
	v_xor_b32_e32 v28, s21, v28
	v_cmp_gt_i32_e64 s21, 0, v120
	v_and_b32_e32 v22, v22, v27
	v_not_b32_e32 v27, v121
	v_ashrrev_i32_e32 v119, 31, v119
	v_xor_b32_e32 v117, vcc_lo, v117
	v_cmp_gt_i32_e32 vcc_lo, 0, v121
	v_and_b32_e32 v22, v22, v28
	v_not_b32_e32 v28, v118
	v_ashrrev_i32_e32 v27, 31, v27
	v_xor_b32_e32 v119, s21, v119
	v_cmp_gt_i32_e64 s21, 0, v118
	v_and_b32_e32 v22, v22, v117
	v_ashrrev_i32_e32 v28, 31, v28
	v_xor_b32_e32 v27, vcc_lo, v27
	v_mad_u32_u24 v117, v26, 36, v96
	v_mul_u32_u24_e32 v26, 36, v26
	v_and_b32_e32 v22, v22, v119
	v_xor_b32_e32 v28, s21, v28
	ds_read_b32 v117, v117 offset:1056
	v_add_nc_u32_e32 v120, v96, v26
	v_and_b32_e32 v22, v22, v27
	; wave barrier
	v_and_b32_e32 v22, v22, v28
	v_mbcnt_lo_u32_b32 v119, v22, 0
	v_cmp_ne_u32_e64 s21, 0, v22
	v_cmp_eq_u32_e32 vcc_lo, 0, v119
	s_and_b32 s22, s21, vcc_lo
	s_and_saveexec_b32 s21, s22
	s_cbranch_execz .LBB2077_594
; %bb.593:                              ;   in Loop: Header=BB2077_566 Depth=2
	s_waitcnt lgkmcnt(0)
	v_bcnt_u32_b32 v22, v22, v117
	ds_write_b32 v120, v22 offset:1056
.LBB2077_594:                           ;   in Loop: Header=BB2077_566 Depth=2
	s_or_b32 exec_lo, exec_lo, s21
	v_cmp_lt_i16_e32 vcc_lo, -1, v25
	; wave barrier
	v_cndmask_b32_e64 v22, -1, 0xffff8000, vcc_lo
	v_xor_b32_e32 v118, v22, v25
	v_cmp_ne_u16_e32 vcc_lo, 0x7fff, v118
	v_cndmask_b32_e32 v22, 0xffff8000, v118, vcc_lo
	v_lshrrev_b32_sdwa v22, s49, v22 dst_sel:DWORD dst_unused:UNUSED_PAD src0_sel:DWORD src1_sel:WORD_0
	v_and_b32_e32 v25, s42, v22
	v_and_b32_e32 v22, 1, v25
	v_lshlrev_b32_e32 v26, 30, v25
	v_lshlrev_b32_e32 v27, 29, v25
	;; [unrolled: 1-line block ×4, first 2 shown]
	v_add_co_u32 v22, s21, v22, -1
	v_cndmask_b32_e64 v121, 0, 1, s21
	v_not_b32_e32 v125, v26
	v_cmp_gt_i32_e64 s21, 0, v26
	v_not_b32_e32 v26, v27
	v_lshlrev_b32_e32 v123, 26, v25
	v_cmp_ne_u32_e32 vcc_lo, 0, v121
	v_ashrrev_i32_e32 v125, 31, v125
	v_lshlrev_b32_e32 v124, 25, v25
	v_ashrrev_i32_e32 v26, 31, v26
	v_lshlrev_b32_e32 v121, 24, v25
	v_xor_b32_e32 v22, vcc_lo, v22
	v_cmp_gt_i32_e32 vcc_lo, 0, v27
	v_not_b32_e32 v27, v28
	v_xor_b32_e32 v125, s21, v125
	v_cmp_gt_i32_e64 s21, 0, v28
	v_and_b32_e32 v22, exec_lo, v22
	v_not_b32_e32 v28, v122
	v_ashrrev_i32_e32 v27, 31, v27
	v_xor_b32_e32 v26, vcc_lo, v26
	v_cmp_gt_i32_e32 vcc_lo, 0, v122
	v_and_b32_e32 v22, v22, v125
	v_not_b32_e32 v122, v123
	v_ashrrev_i32_e32 v28, 31, v28
	v_xor_b32_e32 v27, s21, v27
	v_cmp_gt_i32_e64 s21, 0, v123
	v_and_b32_e32 v22, v22, v26
	v_not_b32_e32 v26, v124
	v_ashrrev_i32_e32 v122, 31, v122
	v_xor_b32_e32 v28, vcc_lo, v28
	v_cmp_gt_i32_e32 vcc_lo, 0, v124
	v_and_b32_e32 v22, v22, v27
	v_not_b32_e32 v27, v121
	v_ashrrev_i32_e32 v26, 31, v26
	v_xor_b32_e32 v122, s21, v122
	v_cmp_gt_i32_e64 s21, 0, v121
	v_and_b32_e32 v22, v22, v28
	v_ashrrev_i32_e32 v27, 31, v27
	v_xor_b32_e32 v26, vcc_lo, v26
	v_mad_u32_u24 v28, v25, 36, v96
	v_mul_u32_u24_e32 v25, 36, v25
	v_and_b32_e32 v22, v22, v122
	v_xor_b32_e32 v27, s21, v27
	ds_read_b32 v121, v28 offset:1056
	v_add_nc_u32_e32 v124, v96, v25
	v_and_b32_e32 v22, v22, v26
	; wave barrier
	v_and_b32_e32 v22, v22, v27
	v_mbcnt_lo_u32_b32 v123, v22, 0
	v_cmp_ne_u32_e64 s21, 0, v22
	v_cmp_eq_u32_e32 vcc_lo, 0, v123
	s_and_b32 s22, s21, vcc_lo
	s_and_saveexec_b32 s21, s22
	s_cbranch_execz .LBB2077_596
; %bb.595:                              ;   in Loop: Header=BB2077_566 Depth=2
	s_waitcnt lgkmcnt(0)
	v_bcnt_u32_b32 v22, v22, v121
	ds_write_b32 v124, v22 offset:1056
.LBB2077_596:                           ;   in Loop: Header=BB2077_566 Depth=2
	s_or_b32 exec_lo, exec_lo, s21
	v_cmp_lt_i16_e32 vcc_lo, -1, v24
	; wave barrier
	v_cndmask_b32_e64 v22, -1, 0xffff8000, vcc_lo
	v_xor_b32_e32 v122, v22, v24
	v_cmp_ne_u16_e32 vcc_lo, 0x7fff, v122
	v_cndmask_b32_e32 v22, 0xffff8000, v122, vcc_lo
	v_lshrrev_b32_sdwa v22, s49, v22 dst_sel:DWORD dst_unused:UNUSED_PAD src0_sel:DWORD src1_sel:WORD_0
	v_and_b32_e32 v24, s42, v22
	v_and_b32_e32 v22, 1, v24
	v_lshlrev_b32_e32 v25, 30, v24
	v_lshlrev_b32_e32 v26, 29, v24
	;; [unrolled: 1-line block ×4, first 2 shown]
	v_add_co_u32 v22, s21, v22, -1
	v_cndmask_b32_e64 v28, 0, 1, s21
	v_not_b32_e32 v128, v25
	v_cmp_gt_i32_e64 s21, 0, v25
	v_not_b32_e32 v25, v26
	v_lshlrev_b32_e32 v126, 26, v24
	v_cmp_ne_u32_e32 vcc_lo, 0, v28
	v_ashrrev_i32_e32 v128, 31, v128
	v_lshlrev_b32_e32 v127, 25, v24
	v_ashrrev_i32_e32 v25, 31, v25
	v_lshlrev_b32_e32 v28, 24, v24
	v_xor_b32_e32 v22, vcc_lo, v22
	v_cmp_gt_i32_e32 vcc_lo, 0, v26
	v_not_b32_e32 v26, v27
	v_xor_b32_e32 v128, s21, v128
	v_cmp_gt_i32_e64 s21, 0, v27
	v_and_b32_e32 v22, exec_lo, v22
	v_not_b32_e32 v27, v125
	v_ashrrev_i32_e32 v26, 31, v26
	v_xor_b32_e32 v25, vcc_lo, v25
	v_cmp_gt_i32_e32 vcc_lo, 0, v125
	v_and_b32_e32 v22, v22, v128
	v_not_b32_e32 v125, v126
	v_ashrrev_i32_e32 v27, 31, v27
	v_xor_b32_e32 v26, s21, v26
	v_cmp_gt_i32_e64 s21, 0, v126
	v_and_b32_e32 v22, v22, v25
	v_not_b32_e32 v25, v127
	v_ashrrev_i32_e32 v125, 31, v125
	v_xor_b32_e32 v27, vcc_lo, v27
	v_cmp_gt_i32_e32 vcc_lo, 0, v127
	v_and_b32_e32 v22, v22, v26
	v_not_b32_e32 v26, v28
	v_ashrrev_i32_e32 v25, 31, v25
	v_xor_b32_e32 v125, s21, v125
	v_cmp_gt_i32_e64 s21, 0, v28
	v_and_b32_e32 v22, v22, v27
	v_ashrrev_i32_e32 v26, 31, v26
	v_xor_b32_e32 v25, vcc_lo, v25
	v_mad_u32_u24 v27, v24, 36, v96
	v_mul_u32_u24_e32 v24, 36, v24
	v_and_b32_e32 v22, v22, v125
	v_xor_b32_e32 v26, s21, v26
	ds_read_b32 v125, v27 offset:1056
	v_add_nc_u32_e32 v128, v96, v24
	v_and_b32_e32 v22, v22, v25
	; wave barrier
	v_and_b32_e32 v22, v22, v26
	v_mbcnt_lo_u32_b32 v127, v22, 0
	v_cmp_ne_u32_e64 s21, 0, v22
	v_cmp_eq_u32_e32 vcc_lo, 0, v127
	s_and_b32 s22, s21, vcc_lo
	s_and_saveexec_b32 s21, s22
	s_cbranch_execz .LBB2077_598
; %bb.597:                              ;   in Loop: Header=BB2077_566 Depth=2
	s_waitcnt lgkmcnt(0)
	v_bcnt_u32_b32 v22, v22, v125
	ds_write_b32 v128, v22 offset:1056
.LBB2077_598:                           ;   in Loop: Header=BB2077_566 Depth=2
	s_or_b32 exec_lo, exec_lo, s21
	v_cmp_lt_i16_e32 vcc_lo, -1, v23
	; wave barrier
	v_cndmask_b32_e64 v22, -1, 0xffff8000, vcc_lo
	v_xor_b32_e32 v126, v22, v23
	v_cmp_ne_u16_e32 vcc_lo, 0x7fff, v126
	v_cndmask_b32_e32 v22, 0xffff8000, v126, vcc_lo
	v_lshrrev_b32_sdwa v22, s49, v22 dst_sel:DWORD dst_unused:UNUSED_PAD src0_sel:DWORD src1_sel:WORD_0
	v_and_b32_e32 v23, s42, v22
	v_and_b32_e32 v22, 1, v23
	v_lshlrev_b32_e32 v24, 30, v23
	v_lshlrev_b32_e32 v25, 29, v23
	;; [unrolled: 1-line block ×4, first 2 shown]
	v_add_co_u32 v22, s21, v22, -1
	v_cndmask_b32_e64 v27, 0, 1, s21
	v_not_b32_e32 v131, v24
	v_cmp_gt_i32_e64 s21, 0, v24
	v_not_b32_e32 v24, v25
	v_lshlrev_b32_e32 v129, 26, v23
	v_cmp_ne_u32_e32 vcc_lo, 0, v27
	v_ashrrev_i32_e32 v131, 31, v131
	v_lshlrev_b32_e32 v130, 25, v23
	v_ashrrev_i32_e32 v24, 31, v24
	v_lshlrev_b32_e32 v27, 24, v23
	v_xor_b32_e32 v22, vcc_lo, v22
	v_cmp_gt_i32_e32 vcc_lo, 0, v25
	v_not_b32_e32 v25, v26
	v_xor_b32_e32 v131, s21, v131
	v_cmp_gt_i32_e64 s21, 0, v26
	v_and_b32_e32 v22, exec_lo, v22
	v_not_b32_e32 v26, v28
	v_ashrrev_i32_e32 v25, 31, v25
	v_xor_b32_e32 v24, vcc_lo, v24
	v_cmp_gt_i32_e32 vcc_lo, 0, v28
	v_and_b32_e32 v22, v22, v131
	v_not_b32_e32 v28, v129
	v_ashrrev_i32_e32 v26, 31, v26
	v_xor_b32_e32 v25, s21, v25
	v_cmp_gt_i32_e64 s21, 0, v129
	v_and_b32_e32 v22, v22, v24
	v_not_b32_e32 v24, v130
	v_ashrrev_i32_e32 v28, 31, v28
	v_xor_b32_e32 v26, vcc_lo, v26
	v_cmp_gt_i32_e32 vcc_lo, 0, v130
	v_and_b32_e32 v22, v22, v25
	v_not_b32_e32 v25, v27
	v_ashrrev_i32_e32 v24, 31, v24
	v_xor_b32_e32 v28, s21, v28
	v_cmp_gt_i32_e64 s21, 0, v27
	v_and_b32_e32 v22, v22, v26
	v_ashrrev_i32_e32 v25, 31, v25
	v_xor_b32_e32 v24, vcc_lo, v24
	v_mad_u32_u24 v26, v23, 36, v96
	v_mul_u32_u24_e32 v23, 36, v23
	v_and_b32_e32 v22, v22, v28
	v_xor_b32_e32 v25, s21, v25
	ds_read_b32 v129, v26 offset:1056
	v_add_nc_u32_e32 v132, v96, v23
	v_and_b32_e32 v22, v22, v24
	; wave barrier
	v_and_b32_e32 v22, v22, v25
	v_mbcnt_lo_u32_b32 v131, v22, 0
	v_cmp_ne_u32_e64 s21, 0, v22
	v_cmp_eq_u32_e32 vcc_lo, 0, v131
	s_and_b32 s22, s21, vcc_lo
	s_and_saveexec_b32 s21, s22
	s_cbranch_execz .LBB2077_600
; %bb.599:                              ;   in Loop: Header=BB2077_566 Depth=2
	s_waitcnt lgkmcnt(0)
	v_bcnt_u32_b32 v22, v22, v129
	ds_write_b32 v132, v22 offset:1056
.LBB2077_600:                           ;   in Loop: Header=BB2077_566 Depth=2
	s_or_b32 exec_lo, exec_lo, s21
	v_cmp_lt_i16_e32 vcc_lo, -1, v21
	; wave barrier
	v_cndmask_b32_e64 v22, -1, 0xffff8000, vcc_lo
	v_xor_b32_e32 v130, v22, v21
	v_cmp_ne_u16_e32 vcc_lo, 0x7fff, v130
	v_cndmask_b32_e32 v21, 0xffff8000, v130, vcc_lo
	v_lshrrev_b32_sdwa v21, s49, v21 dst_sel:DWORD dst_unused:UNUSED_PAD src0_sel:DWORD src1_sel:WORD_0
	v_and_b32_e32 v22, s42, v21
	v_and_b32_e32 v21, 1, v22
	v_lshlrev_b32_e32 v23, 30, v22
	v_lshlrev_b32_e32 v24, 29, v22
	;; [unrolled: 1-line block ×4, first 2 shown]
	v_add_co_u32 v21, s21, v21, -1
	v_cndmask_b32_e64 v26, 0, 1, s21
	v_not_b32_e32 v134, v23
	v_cmp_gt_i32_e64 s21, 0, v23
	v_not_b32_e32 v23, v24
	v_lshlrev_b32_e32 v28, 26, v22
	v_cmp_ne_u32_e32 vcc_lo, 0, v26
	v_ashrrev_i32_e32 v134, 31, v134
	v_lshlrev_b32_e32 v133, 25, v22
	v_ashrrev_i32_e32 v23, 31, v23
	v_lshlrev_b32_e32 v26, 24, v22
	v_xor_b32_e32 v21, vcc_lo, v21
	v_cmp_gt_i32_e32 vcc_lo, 0, v24
	v_not_b32_e32 v24, v25
	v_xor_b32_e32 v134, s21, v134
	v_cmp_gt_i32_e64 s21, 0, v25
	v_and_b32_e32 v21, exec_lo, v21
	v_not_b32_e32 v25, v27
	v_ashrrev_i32_e32 v24, 31, v24
	v_xor_b32_e32 v23, vcc_lo, v23
	v_cmp_gt_i32_e32 vcc_lo, 0, v27
	v_and_b32_e32 v21, v21, v134
	v_not_b32_e32 v27, v28
	v_ashrrev_i32_e32 v25, 31, v25
	v_xor_b32_e32 v24, s21, v24
	v_cmp_gt_i32_e64 s21, 0, v28
	v_and_b32_e32 v21, v21, v23
	v_not_b32_e32 v23, v133
	v_ashrrev_i32_e32 v27, 31, v27
	v_xor_b32_e32 v25, vcc_lo, v25
	v_cmp_gt_i32_e32 vcc_lo, 0, v133
	v_and_b32_e32 v21, v21, v24
	v_not_b32_e32 v24, v26
	v_ashrrev_i32_e32 v23, 31, v23
	v_xor_b32_e32 v27, s21, v27
	v_cmp_gt_i32_e64 s21, 0, v26
	v_and_b32_e32 v21, v21, v25
	v_ashrrev_i32_e32 v24, 31, v24
	v_xor_b32_e32 v23, vcc_lo, v23
	v_mad_u32_u24 v25, v22, 36, v96
	v_mul_u32_u24_e32 v22, 36, v22
	v_and_b32_e32 v21, v21, v27
	v_xor_b32_e32 v24, s21, v24
	ds_read_b32 v133, v25 offset:1056
	v_add_nc_u32_e32 v135, v96, v22
	v_and_b32_e32 v21, v21, v23
	; wave barrier
	v_and_b32_e32 v21, v21, v24
	v_mbcnt_lo_u32_b32 v134, v21, 0
	v_cmp_ne_u32_e64 s21, 0, v21
	v_cmp_eq_u32_e32 vcc_lo, 0, v134
	s_and_b32 s22, s21, vcc_lo
	s_and_saveexec_b32 s21, s22
	s_cbranch_execz .LBB2077_602
; %bb.601:                              ;   in Loop: Header=BB2077_566 Depth=2
	s_waitcnt lgkmcnt(0)
	v_bcnt_u32_b32 v21, v21, v133
	ds_write_b32 v135, v21 offset:1056
.LBB2077_602:                           ;   in Loop: Header=BB2077_566 Depth=2
	s_or_b32 exec_lo, exec_lo, s21
	; wave barrier
	s_waitcnt lgkmcnt(0)
	s_barrier
	buffer_gl0_inv
	ds_read2_b32 v[27:28], v78 offset1:1
	ds_read2_b32 v[25:26], v88 offset1:1
	;; [unrolled: 1-line block ×4, first 2 shown]
	ds_read_b32 v136, v44 offset:1088
	s_waitcnt lgkmcnt(3)
	v_add3_u32 v137, v28, v27, v25
	s_waitcnt lgkmcnt(2)
	v_add3_u32 v137, v137, v26, v23
	;; [unrolled: 2-line block ×4, first 2 shown]
	v_mov_b32_dpp v137, v136 row_shr:1 row_mask:0xf bank_mask:0xf
	v_cndmask_b32_e64 v137, v137, 0, s5
	v_add_nc_u32_e32 v136, v137, v136
	v_mov_b32_dpp v137, v136 row_shr:2 row_mask:0xf bank_mask:0xf
	v_cndmask_b32_e64 v137, 0, v137, s14
	v_add_nc_u32_e32 v136, v136, v137
	;; [unrolled: 3-line block ×4, first 2 shown]
	ds_swizzle_b32 v137, v136 offset:swizzle(BROADCAST,32,15)
	s_waitcnt lgkmcnt(0)
	v_cndmask_b32_e64 v137, v137, 0, s17
	v_add_nc_u32_e32 v136, v136, v137
	s_and_saveexec_b32 s21, s9
; %bb.603:                              ;   in Loop: Header=BB2077_566 Depth=2
	ds_write_b32 v39, v136 offset:1024
; %bb.604:                              ;   in Loop: Header=BB2077_566 Depth=2
	s_or_b32 exec_lo, exec_lo, s21
	s_waitcnt lgkmcnt(0)
	s_barrier
	buffer_gl0_inv
	s_and_saveexec_b32 s21, s10
	s_cbranch_execz .LBB2077_606
; %bb.605:                              ;   in Loop: Header=BB2077_566 Depth=2
	ds_read_b32 v137, v46 offset:1024
	s_waitcnt lgkmcnt(0)
	v_mov_b32_dpp v138, v137 row_shr:1 row_mask:0xf bank_mask:0xf
	v_cndmask_b32_e64 v138, v138, 0, s18
	v_add_nc_u32_e32 v137, v138, v137
	v_mov_b32_dpp v138, v137 row_shr:2 row_mask:0xf bank_mask:0xf
	v_cndmask_b32_e64 v138, 0, v138, s19
	v_add_nc_u32_e32 v137, v137, v138
	;; [unrolled: 3-line block ×3, first 2 shown]
	ds_write_b32 v46, v137 offset:1024
.LBB2077_606:                           ;   in Loop: Header=BB2077_566 Depth=2
	s_or_b32 exec_lo, exec_lo, s21
	v_mov_b32_e32 v137, 0
	s_waitcnt lgkmcnt(0)
	s_barrier
	buffer_gl0_inv
	s_and_saveexec_b32 s21, s11
; %bb.607:                              ;   in Loop: Header=BB2077_566 Depth=2
	ds_read_b32 v137, v39 offset:1020
; %bb.608:                              ;   in Loop: Header=BB2077_566 Depth=2
	s_or_b32 exec_lo, exec_lo, s21
	s_waitcnt lgkmcnt(0)
	v_add_nc_u32_e32 v136, v137, v136
	ds_bpermute_b32 v136, v91, v136
	s_waitcnt lgkmcnt(0)
	v_cndmask_b32_e64 v136, v136, v137, s13
	v_cndmask_b32_e64 v136, v136, 0, s4
	v_add_nc_u32_e32 v27, v136, v27
	v_add_nc_u32_e32 v28, v27, v28
	;; [unrolled: 1-line block ×8, first 2 shown]
	ds_write2_b32 v78, v136, v27 offset1:1
	ds_write2_b32 v88, v28, v25 offset1:1
	ds_write2_b32 v89, v26, v23 offset1:1
	ds_write2_b32 v90, v24, v21 offset1:1
	ds_write_b32 v44, v22 offset:1088
	s_waitcnt lgkmcnt(0)
	s_barrier
	buffer_gl0_inv
	ds_read_b32 v24, v108 offset:1056
	ds_read_b32 v25, v112 offset:1056
	;; [unrolled: 1-line block ×9, first 2 shown]
	v_mov_b32_e32 v23, 0x800
	s_and_saveexec_b32 s21, s12
; %bb.609:                              ;   in Loop: Header=BB2077_566 Depth=2
	ds_read_b32 v23, v44 offset:1092
; %bb.610:                              ;   in Loop: Header=BB2077_566 Depth=2
	s_or_b32 exec_lo, exec_lo, s21
	s_waitcnt lgkmcnt(0)
	s_barrier
	buffer_gl0_inv
	s_and_saveexec_b32 s21, s8
	s_cbranch_execz .LBB2077_612
; %bb.611:                              ;   in Loop: Header=BB2077_566 Depth=2
	ds_read_b32 v112, v29
	s_waitcnt lgkmcnt(0)
	v_sub_nc_u32_e32 v108, v112, v108
	ds_write_b32 v29, v108
.LBB2077_612:                           ;   in Loop: Header=BB2077_566 Depth=2
	s_or_b32 exec_lo, exec_lo, s21
	v_add_nc_u32_e32 v112, v24, v106
	v_add3_u32 v108, v110, v109, v25
	v_add3_u32 v106, v115, v113, v26
	;; [unrolled: 1-line block ×4, first 2 shown]
	v_lshlrev_b32_e32 v109, 1, v112
	v_lshlrev_b32_e32 v110, 1, v108
	v_add3_u32 v27, v131, v129, v22
	v_lshlrev_b32_e32 v22, 1, v106
	v_add3_u32 v28, v134, v133, v21
	ds_write_b16 v109, v3 offset:1024
	ds_write_b16 v110, v107 offset:1024
	v_lshlrev_b32_e32 v3, 1, v26
	v_add3_u32 v24, v127, v125, v116
	ds_write_b16 v22, v111 offset:1024
	v_lshlrev_b32_e32 v21, 1, v25
	v_cmp_lt_u32_e32 vcc_lo, v0, v105
	ds_write_b16 v3, v114 offset:1024
	v_lshlrev_b32_e32 v3, 1, v28
	v_lshlrev_b32_e32 v22, 1, v24
	;; [unrolled: 1-line block ×3, first 2 shown]
	ds_write_b16 v21, v118 offset:1024
	ds_write_b16 v22, v122 offset:1024
	;; [unrolled: 1-line block ×4, first 2 shown]
	s_waitcnt lgkmcnt(0)
	s_barrier
	buffer_gl0_inv
	s_and_saveexec_b32 s22, vcc_lo
	s_cbranch_execnz .LBB2077_649
; %bb.613:                              ;   in Loop: Header=BB2077_566 Depth=2
	s_or_b32 exec_lo, exec_lo, s22
	v_cmp_lt_u32_e64 s21, v30, v105
	s_and_saveexec_b32 s23, s21
	s_cbranch_execnz .LBB2077_650
.LBB2077_614:                           ;   in Loop: Header=BB2077_566 Depth=2
	s_or_b32 exec_lo, exec_lo, s23
	v_cmp_lt_u32_e64 s22, v31, v105
	s_and_saveexec_b32 s24, s22
	s_cbranch_execnz .LBB2077_651
.LBB2077_615:                           ;   in Loop: Header=BB2077_566 Depth=2
	s_or_b32 exec_lo, exec_lo, s24
	v_cmp_lt_u32_e64 s23, v32, v105
	s_and_saveexec_b32 s25, s23
	s_cbranch_execnz .LBB2077_652
.LBB2077_616:                           ;   in Loop: Header=BB2077_566 Depth=2
	s_or_b32 exec_lo, exec_lo, s25
	v_cmp_lt_u32_e64 s24, v35, v105
	s_and_saveexec_b32 s26, s24
	s_cbranch_execnz .LBB2077_653
.LBB2077_617:                           ;   in Loop: Header=BB2077_566 Depth=2
	s_or_b32 exec_lo, exec_lo, s26
	v_cmp_lt_u32_e64 s25, v36, v105
	s_and_saveexec_b32 s27, s25
	s_cbranch_execnz .LBB2077_654
.LBB2077_618:                           ;   in Loop: Header=BB2077_566 Depth=2
	s_or_b32 exec_lo, exec_lo, s27
	v_cmp_lt_u32_e64 s26, v37, v105
	s_and_saveexec_b32 s28, s26
	s_cbranch_execnz .LBB2077_655
.LBB2077_619:                           ;   in Loop: Header=BB2077_566 Depth=2
	s_or_b32 exec_lo, exec_lo, s28
	v_cmp_lt_u32_e64 s27, v38, v105
	s_and_saveexec_b32 s54, s27
	s_cbranch_execz .LBB2077_621
.LBB2077_620:                           ;   in Loop: Header=BB2077_566 Depth=2
	ds_read_u16 v107, v47 offset:4608
	s_waitcnt lgkmcnt(0)
	v_cmp_ne_u16_e64 s28, 0x7fff, v107
	v_cndmask_b32_e64 v3, 0xffff8000, v107, s28
	v_cmp_lt_i16_e64 s28, -1, v107
	v_lshrrev_b32_sdwa v3, s49, v3 dst_sel:DWORD dst_unused:UNUSED_PAD src0_sel:DWORD src1_sel:WORD_0
	v_cndmask_b32_e64 v109, 0xffff8000, -1, s28
	v_and_b32_e32 v3, s42, v3
	v_lshlrev_b32_e32 v3, 2, v3
	ds_read_b32 v3, v3
	s_waitcnt lgkmcnt(0)
	v_add_nc_u32_e32 v3, v3, v38
	v_lshlrev_b64 v[21:22], 1, v[3:4]
	v_xor_b32_e32 v3, v109, v107
	v_add_co_u32 v21, s28, s40, v21
	v_add_co_ci_u32_e64 v22, null, s41, v22, s28
	global_store_short v[21:22], v3, off
.LBB2077_621:                           ;   in Loop: Header=BB2077_566 Depth=2
	s_or_b32 exec_lo, exec_lo, s54
	s_lshl_b64 s[54:55], s[34:35], 3
	v_add_co_u32 v21, s28, v92, s54
	v_add_co_ci_u32_e64 v22, null, s55, v93, s28
	v_cmp_lt_u32_e64 s28, v66, v105
	s_and_saveexec_b32 s34, s28
	s_xor_b32 s28, exec_lo, s34
	s_cbranch_execnz .LBB2077_656
; %bb.622:                              ;   in Loop: Header=BB2077_566 Depth=2
	s_or_b32 exec_lo, exec_lo, s28
	s_mov_b32 s34, exec_lo
	v_cmpx_lt_u32_e64 v70, v105
	s_cbranch_execnz .LBB2077_657
.LBB2077_623:                           ;   in Loop: Header=BB2077_566 Depth=2
	s_or_b32 exec_lo, exec_lo, s34
	s_mov_b32 s34, exec_lo
	v_cmpx_lt_u32_e64 v71, v105
	s_cbranch_execnz .LBB2077_658
.LBB2077_624:                           ;   in Loop: Header=BB2077_566 Depth=2
	s_or_b32 exec_lo, exec_lo, s34
	s_mov_b32 s34, exec_lo
	v_cmpx_lt_u32_e64 v72, v105
	s_cbranch_execnz .LBB2077_659
.LBB2077_625:                           ;   in Loop: Header=BB2077_566 Depth=2
	s_or_b32 exec_lo, exec_lo, s34
	s_mov_b32 s34, exec_lo
	v_cmpx_lt_u32_e64 v73, v105
	s_cbranch_execnz .LBB2077_660
.LBB2077_626:                           ;   in Loop: Header=BB2077_566 Depth=2
	s_or_b32 exec_lo, exec_lo, s34
	s_mov_b32 s34, exec_lo
	v_cmpx_lt_u32_e64 v74, v105
	s_cbranch_execnz .LBB2077_661
.LBB2077_627:                           ;   in Loop: Header=BB2077_566 Depth=2
	s_or_b32 exec_lo, exec_lo, s34
	s_mov_b32 s34, exec_lo
	v_cmpx_lt_u32_e64 v75, v105
	s_cbranch_execnz .LBB2077_662
.LBB2077_628:                           ;   in Loop: Header=BB2077_566 Depth=2
	s_or_b32 exec_lo, exec_lo, s34
	s_mov_b32 s34, exec_lo
	v_cmpx_lt_u32_e64 v76, v105
	s_cbranch_execnz .LBB2077_663
.LBB2077_629:                           ;   in Loop: Header=BB2077_566 Depth=2
	s_or_b32 exec_lo, exec_lo, s34
	s_and_saveexec_b32 s34, vcc_lo
	s_cbranch_execnz .LBB2077_664
.LBB2077_630:                           ;   in Loop: Header=BB2077_566 Depth=2
	s_or_b32 exec_lo, exec_lo, s34
	s_and_saveexec_b32 s34, s21
	s_cbranch_execnz .LBB2077_665
.LBB2077_631:                           ;   in Loop: Header=BB2077_566 Depth=2
	s_or_b32 exec_lo, exec_lo, s34
	s_and_saveexec_b32 s34, s22
	s_cbranch_execnz .LBB2077_666
.LBB2077_632:                           ;   in Loop: Header=BB2077_566 Depth=2
	s_or_b32 exec_lo, exec_lo, s34
	s_and_saveexec_b32 s34, s23
	s_cbranch_execnz .LBB2077_667
.LBB2077_633:                           ;   in Loop: Header=BB2077_566 Depth=2
	s_or_b32 exec_lo, exec_lo, s34
	s_and_saveexec_b32 s34, s24
	s_cbranch_execnz .LBB2077_668
.LBB2077_634:                           ;   in Loop: Header=BB2077_566 Depth=2
	s_or_b32 exec_lo, exec_lo, s34
	s_and_saveexec_b32 s34, s25
	s_cbranch_execnz .LBB2077_669
.LBB2077_635:                           ;   in Loop: Header=BB2077_566 Depth=2
	s_or_b32 exec_lo, exec_lo, s34
	s_and_saveexec_b32 s34, s26
	s_cbranch_execnz .LBB2077_670
.LBB2077_636:                           ;   in Loop: Header=BB2077_566 Depth=2
	s_or_b32 exec_lo, exec_lo, s34
	s_and_saveexec_b32 s34, s27
	s_cbranch_execz .LBB2077_638
.LBB2077_637:                           ;   in Loop: Header=BB2077_566 Depth=2
	ds_read_u16 v3, v47 offset:4608
	s_waitcnt lgkmcnt(0)
	v_cmp_ne_u16_e64 s28, 0x7fff, v3
	v_cndmask_b32_e64 v3, 0xffff8000, v3, s28
	v_lshrrev_b32_sdwa v3, s49, v3 dst_sel:DWORD dst_unused:UNUSED_PAD src0_sel:DWORD src1_sel:WORD_0
	v_and_b32_e32 v97, s42, v3
.LBB2077_638:                           ;   in Loop: Header=BB2077_566 Depth=2
	s_or_b32 exec_lo, exec_lo, s34
	v_lshlrev_b32_e32 v3, 3, v112
	v_lshlrev_b32_e32 v21, 3, v108
	;; [unrolled: 1-line block ×3, first 2 shown]
	s_waitcnt vmcnt(0)
	s_waitcnt_vscnt null, 0x0
	s_barrier
	buffer_gl0_inv
	ds_write_b64 v3, v[19:20] offset:1024
	ds_write_b64 v21, v[17:18] offset:1024
	v_lshlrev_b32_e32 v3, 3, v26
	v_lshlrev_b32_e32 v21, 3, v25
	ds_write_b64 v22, v[15:16] offset:1024
	v_lshlrev_b32_e32 v22, 3, v24
	v_lshlrev_b32_e32 v24, 3, v27
	ds_write_b64 v3, v[13:14] offset:1024
	v_lshlrev_b32_e32 v3, 3, v28
	ds_write_b64 v21, v[11:12] offset:1024
	ds_write_b64 v22, v[9:10] offset:1024
	ds_write_b64 v24, v[7:8] offset:1024
	v_add_nc_u32_e32 v21, v47, v48
	ds_write_b64 v3, v[5:6] offset:1024
	s_waitcnt lgkmcnt(0)
	s_barrier
	buffer_gl0_inv
	s_and_saveexec_b32 s28, vcc_lo
	s_cbranch_execnz .LBB2077_671
; %bb.639:                              ;   in Loop: Header=BB2077_566 Depth=2
	s_or_b32 exec_lo, exec_lo, s28
	s_and_saveexec_b32 s28, s21
	s_cbranch_execnz .LBB2077_672
.LBB2077_640:                           ;   in Loop: Header=BB2077_566 Depth=2
	s_or_b32 exec_lo, exec_lo, s28
	s_and_saveexec_b32 s21, s22
	s_cbranch_execnz .LBB2077_673
.LBB2077_641:                           ;   in Loop: Header=BB2077_566 Depth=2
	s_or_b32 exec_lo, exec_lo, s21
	s_and_saveexec_b32 s21, s23
	s_cbranch_execnz .LBB2077_674
.LBB2077_642:                           ;   in Loop: Header=BB2077_566 Depth=2
	s_or_b32 exec_lo, exec_lo, s21
	s_and_saveexec_b32 s21, s24
	s_cbranch_execnz .LBB2077_675
.LBB2077_643:                           ;   in Loop: Header=BB2077_566 Depth=2
	s_or_b32 exec_lo, exec_lo, s21
	s_and_saveexec_b32 s21, s25
	s_cbranch_execnz .LBB2077_676
.LBB2077_644:                           ;   in Loop: Header=BB2077_566 Depth=2
	s_or_b32 exec_lo, exec_lo, s21
	s_and_saveexec_b32 s21, s26
	s_cbranch_execnz .LBB2077_677
.LBB2077_645:                           ;   in Loop: Header=BB2077_566 Depth=2
	s_or_b32 exec_lo, exec_lo, s21
	s_and_saveexec_b32 s21, s27
	s_cbranch_execz .LBB2077_647
.LBB2077_646:                           ;   in Loop: Header=BB2077_566 Depth=2
	v_lshlrev_b32_e32 v3, 2, v97
	ds_read_b32 v3, v3
	ds_read_b64 v[21:22], v21 offset:15360
	s_waitcnt lgkmcnt(1)
	v_add_nc_u32_e32 v3, v3, v38
	v_lshlrev_b64 v[24:25], 3, v[3:4]
	v_add_co_u32 v24, vcc_lo, s46, v24
	v_add_co_ci_u32_e64 v25, null, s47, v25, vcc_lo
	s_waitcnt lgkmcnt(0)
	global_store_dwordx2 v[24:25], v[21:22], off
.LBB2077_647:                           ;   in Loop: Header=BB2077_566 Depth=2
	s_or_b32 exec_lo, exec_lo, s21
	s_waitcnt_vscnt null, 0x0
	s_barrier
	buffer_gl0_inv
	s_and_saveexec_b32 s21, s8
	s_cbranch_execz .LBB2077_565
; %bb.648:                              ;   in Loop: Header=BB2077_566 Depth=2
	ds_read_b32 v3, v29
	s_waitcnt lgkmcnt(0)
	v_add_nc_u32_e32 v3, v3, v23
	ds_write_b32 v29, v3
	s_branch .LBB2077_565
.LBB2077_649:                           ;   in Loop: Header=BB2077_566 Depth=2
	ds_read_u16 v107, v47 offset:1024
	s_waitcnt lgkmcnt(0)
	v_cmp_ne_u16_e64 s21, 0x7fff, v107
	v_cndmask_b32_e64 v3, 0xffff8000, v107, s21
	v_cmp_lt_i16_e64 s21, -1, v107
	v_lshrrev_b32_sdwa v3, s49, v3 dst_sel:DWORD dst_unused:UNUSED_PAD src0_sel:DWORD src1_sel:WORD_0
	v_cndmask_b32_e64 v109, 0xffff8000, -1, s21
	v_and_b32_e32 v3, s42, v3
	v_lshlrev_b32_e32 v3, 2, v3
	ds_read_b32 v3, v3
	s_waitcnt lgkmcnt(0)
	v_add_nc_u32_e32 v3, v3, v0
	v_lshlrev_b64 v[21:22], 1, v[3:4]
	v_xor_b32_e32 v3, v109, v107
	v_add_co_u32 v21, s21, s40, v21
	v_add_co_ci_u32_e64 v22, null, s41, v22, s21
	global_store_short v[21:22], v3, off
	s_or_b32 exec_lo, exec_lo, s22
	v_cmp_lt_u32_e64 s21, v30, v105
	s_and_saveexec_b32 s23, s21
	s_cbranch_execz .LBB2077_614
.LBB2077_650:                           ;   in Loop: Header=BB2077_566 Depth=2
	ds_read_u16 v107, v47 offset:1536
	s_waitcnt lgkmcnt(0)
	v_cmp_ne_u16_e64 s22, 0x7fff, v107
	v_cndmask_b32_e64 v3, 0xffff8000, v107, s22
	v_cmp_lt_i16_e64 s22, -1, v107
	v_lshrrev_b32_sdwa v3, s49, v3 dst_sel:DWORD dst_unused:UNUSED_PAD src0_sel:DWORD src1_sel:WORD_0
	v_cndmask_b32_e64 v109, 0xffff8000, -1, s22
	v_and_b32_e32 v3, s42, v3
	v_lshlrev_b32_e32 v3, 2, v3
	ds_read_b32 v3, v3
	s_waitcnt lgkmcnt(0)
	v_add_nc_u32_e32 v3, v3, v30
	v_lshlrev_b64 v[21:22], 1, v[3:4]
	v_xor_b32_e32 v3, v109, v107
	v_add_co_u32 v21, s22, s40, v21
	v_add_co_ci_u32_e64 v22, null, s41, v22, s22
	global_store_short v[21:22], v3, off
	s_or_b32 exec_lo, exec_lo, s23
	v_cmp_lt_u32_e64 s22, v31, v105
	s_and_saveexec_b32 s24, s22
	s_cbranch_execz .LBB2077_615
.LBB2077_651:                           ;   in Loop: Header=BB2077_566 Depth=2
	ds_read_u16 v107, v47 offset:2048
	s_waitcnt lgkmcnt(0)
	v_cmp_ne_u16_e64 s23, 0x7fff, v107
	v_cndmask_b32_e64 v3, 0xffff8000, v107, s23
	v_cmp_lt_i16_e64 s23, -1, v107
	v_lshrrev_b32_sdwa v3, s49, v3 dst_sel:DWORD dst_unused:UNUSED_PAD src0_sel:DWORD src1_sel:WORD_0
	v_cndmask_b32_e64 v109, 0xffff8000, -1, s23
	v_and_b32_e32 v3, s42, v3
	v_lshlrev_b32_e32 v3, 2, v3
	ds_read_b32 v3, v3
	s_waitcnt lgkmcnt(0)
	v_add_nc_u32_e32 v3, v3, v31
	v_lshlrev_b64 v[21:22], 1, v[3:4]
	v_xor_b32_e32 v3, v109, v107
	v_add_co_u32 v21, s23, s40, v21
	v_add_co_ci_u32_e64 v22, null, s41, v22, s23
	global_store_short v[21:22], v3, off
	s_or_b32 exec_lo, exec_lo, s24
	v_cmp_lt_u32_e64 s23, v32, v105
	s_and_saveexec_b32 s25, s23
	s_cbranch_execz .LBB2077_616
.LBB2077_652:                           ;   in Loop: Header=BB2077_566 Depth=2
	ds_read_u16 v107, v47 offset:2560
	s_waitcnt lgkmcnt(0)
	v_cmp_ne_u16_e64 s24, 0x7fff, v107
	v_cndmask_b32_e64 v3, 0xffff8000, v107, s24
	v_cmp_lt_i16_e64 s24, -1, v107
	v_lshrrev_b32_sdwa v3, s49, v3 dst_sel:DWORD dst_unused:UNUSED_PAD src0_sel:DWORD src1_sel:WORD_0
	v_cndmask_b32_e64 v109, 0xffff8000, -1, s24
	v_and_b32_e32 v3, s42, v3
	v_lshlrev_b32_e32 v3, 2, v3
	ds_read_b32 v3, v3
	s_waitcnt lgkmcnt(0)
	v_add_nc_u32_e32 v3, v3, v32
	v_lshlrev_b64 v[21:22], 1, v[3:4]
	v_xor_b32_e32 v3, v109, v107
	v_add_co_u32 v21, s24, s40, v21
	v_add_co_ci_u32_e64 v22, null, s41, v22, s24
	global_store_short v[21:22], v3, off
	s_or_b32 exec_lo, exec_lo, s25
	v_cmp_lt_u32_e64 s24, v35, v105
	s_and_saveexec_b32 s26, s24
	s_cbranch_execz .LBB2077_617
.LBB2077_653:                           ;   in Loop: Header=BB2077_566 Depth=2
	ds_read_u16 v107, v47 offset:3072
	s_waitcnt lgkmcnt(0)
	v_cmp_ne_u16_e64 s25, 0x7fff, v107
	v_cndmask_b32_e64 v3, 0xffff8000, v107, s25
	v_cmp_lt_i16_e64 s25, -1, v107
	v_lshrrev_b32_sdwa v3, s49, v3 dst_sel:DWORD dst_unused:UNUSED_PAD src0_sel:DWORD src1_sel:WORD_0
	v_cndmask_b32_e64 v109, 0xffff8000, -1, s25
	v_and_b32_e32 v3, s42, v3
	v_lshlrev_b32_e32 v3, 2, v3
	ds_read_b32 v3, v3
	s_waitcnt lgkmcnt(0)
	v_add_nc_u32_e32 v3, v3, v35
	v_lshlrev_b64 v[21:22], 1, v[3:4]
	v_xor_b32_e32 v3, v109, v107
	v_add_co_u32 v21, s25, s40, v21
	v_add_co_ci_u32_e64 v22, null, s41, v22, s25
	global_store_short v[21:22], v3, off
	s_or_b32 exec_lo, exec_lo, s26
	v_cmp_lt_u32_e64 s25, v36, v105
	s_and_saveexec_b32 s27, s25
	s_cbranch_execz .LBB2077_618
.LBB2077_654:                           ;   in Loop: Header=BB2077_566 Depth=2
	ds_read_u16 v107, v47 offset:3584
	s_waitcnt lgkmcnt(0)
	v_cmp_ne_u16_e64 s26, 0x7fff, v107
	v_cndmask_b32_e64 v3, 0xffff8000, v107, s26
	v_cmp_lt_i16_e64 s26, -1, v107
	v_lshrrev_b32_sdwa v3, s49, v3 dst_sel:DWORD dst_unused:UNUSED_PAD src0_sel:DWORD src1_sel:WORD_0
	v_cndmask_b32_e64 v109, 0xffff8000, -1, s26
	v_and_b32_e32 v3, s42, v3
	v_lshlrev_b32_e32 v3, 2, v3
	ds_read_b32 v3, v3
	s_waitcnt lgkmcnt(0)
	v_add_nc_u32_e32 v3, v3, v36
	v_lshlrev_b64 v[21:22], 1, v[3:4]
	v_xor_b32_e32 v3, v109, v107
	v_add_co_u32 v21, s26, s40, v21
	v_add_co_ci_u32_e64 v22, null, s41, v22, s26
	global_store_short v[21:22], v3, off
	s_or_b32 exec_lo, exec_lo, s27
	v_cmp_lt_u32_e64 s26, v37, v105
	s_and_saveexec_b32 s28, s26
	s_cbranch_execz .LBB2077_619
.LBB2077_655:                           ;   in Loop: Header=BB2077_566 Depth=2
	ds_read_u16 v107, v47 offset:4096
	s_waitcnt lgkmcnt(0)
	v_cmp_ne_u16_e64 s27, 0x7fff, v107
	v_cndmask_b32_e64 v3, 0xffff8000, v107, s27
	v_cmp_lt_i16_e64 s27, -1, v107
	v_lshrrev_b32_sdwa v3, s49, v3 dst_sel:DWORD dst_unused:UNUSED_PAD src0_sel:DWORD src1_sel:WORD_0
	v_cndmask_b32_e64 v109, 0xffff8000, -1, s27
	v_and_b32_e32 v3, s42, v3
	v_lshlrev_b32_e32 v3, 2, v3
	ds_read_b32 v3, v3
	s_waitcnt lgkmcnt(0)
	v_add_nc_u32_e32 v3, v3, v37
	v_lshlrev_b64 v[21:22], 1, v[3:4]
	v_xor_b32_e32 v3, v109, v107
	v_add_co_u32 v21, s27, s40, v21
	v_add_co_ci_u32_e64 v22, null, s41, v22, s27
	global_store_short v[21:22], v3, off
	s_or_b32 exec_lo, exec_lo, s28
	v_cmp_lt_u32_e64 s27, v38, v105
	s_and_saveexec_b32 s54, s27
	s_cbranch_execnz .LBB2077_620
	s_branch .LBB2077_621
.LBB2077_656:                           ;   in Loop: Header=BB2077_566 Depth=2
	global_load_dwordx2 v[19:20], v[21:22], off
	s_or_b32 exec_lo, exec_lo, s28
	s_mov_b32 s34, exec_lo
	v_cmpx_lt_u32_e64 v70, v105
	s_cbranch_execz .LBB2077_623
.LBB2077_657:                           ;   in Loop: Header=BB2077_566 Depth=2
	global_load_dwordx2 v[17:18], v[21:22], off offset:256
	s_or_b32 exec_lo, exec_lo, s34
	s_mov_b32 s34, exec_lo
	v_cmpx_lt_u32_e64 v71, v105
	s_cbranch_execz .LBB2077_624
.LBB2077_658:                           ;   in Loop: Header=BB2077_566 Depth=2
	global_load_dwordx2 v[15:16], v[21:22], off offset:512
	s_or_b32 exec_lo, exec_lo, s34
	s_mov_b32 s34, exec_lo
	v_cmpx_lt_u32_e64 v72, v105
	s_cbranch_execz .LBB2077_625
.LBB2077_659:                           ;   in Loop: Header=BB2077_566 Depth=2
	global_load_dwordx2 v[13:14], v[21:22], off offset:768
	s_or_b32 exec_lo, exec_lo, s34
	s_mov_b32 s34, exec_lo
	v_cmpx_lt_u32_e64 v73, v105
	s_cbranch_execz .LBB2077_626
.LBB2077_660:                           ;   in Loop: Header=BB2077_566 Depth=2
	global_load_dwordx2 v[11:12], v[21:22], off offset:1024
	s_or_b32 exec_lo, exec_lo, s34
	s_mov_b32 s34, exec_lo
	v_cmpx_lt_u32_e64 v74, v105
	s_cbranch_execz .LBB2077_627
.LBB2077_661:                           ;   in Loop: Header=BB2077_566 Depth=2
	global_load_dwordx2 v[9:10], v[21:22], off offset:1280
	s_or_b32 exec_lo, exec_lo, s34
	s_mov_b32 s34, exec_lo
	v_cmpx_lt_u32_e64 v75, v105
	s_cbranch_execz .LBB2077_628
.LBB2077_662:                           ;   in Loop: Header=BB2077_566 Depth=2
	global_load_dwordx2 v[7:8], v[21:22], off offset:1536
	s_or_b32 exec_lo, exec_lo, s34
	s_mov_b32 s34, exec_lo
	v_cmpx_lt_u32_e64 v76, v105
	s_cbranch_execz .LBB2077_629
.LBB2077_663:                           ;   in Loop: Header=BB2077_566 Depth=2
	global_load_dwordx2 v[5:6], v[21:22], off offset:1792
	s_or_b32 exec_lo, exec_lo, s34
	s_and_saveexec_b32 s34, vcc_lo
	s_cbranch_execz .LBB2077_630
.LBB2077_664:                           ;   in Loop: Header=BB2077_566 Depth=2
	ds_read_u16 v3, v47 offset:1024
	s_waitcnt lgkmcnt(0)
	v_cmp_ne_u16_e64 s28, 0x7fff, v3
	v_cndmask_b32_e64 v3, 0xffff8000, v3, s28
	v_lshrrev_b32_sdwa v3, s49, v3 dst_sel:DWORD dst_unused:UNUSED_PAD src0_sel:DWORD src1_sel:WORD_0
	v_and_b32_e32 v104, s42, v3
	s_or_b32 exec_lo, exec_lo, s34
	s_and_saveexec_b32 s34, s21
	s_cbranch_execz .LBB2077_631
.LBB2077_665:                           ;   in Loop: Header=BB2077_566 Depth=2
	ds_read_u16 v3, v47 offset:1536
	s_waitcnt lgkmcnt(0)
	v_cmp_ne_u16_e64 s28, 0x7fff, v3
	v_cndmask_b32_e64 v3, 0xffff8000, v3, s28
	v_lshrrev_b32_sdwa v3, s49, v3 dst_sel:DWORD dst_unused:UNUSED_PAD src0_sel:DWORD src1_sel:WORD_0
	v_and_b32_e32 v103, s42, v3
	s_or_b32 exec_lo, exec_lo, s34
	s_and_saveexec_b32 s34, s22
	s_cbranch_execz .LBB2077_632
.LBB2077_666:                           ;   in Loop: Header=BB2077_566 Depth=2
	ds_read_u16 v3, v47 offset:2048
	s_waitcnt lgkmcnt(0)
	v_cmp_ne_u16_e64 s28, 0x7fff, v3
	v_cndmask_b32_e64 v3, 0xffff8000, v3, s28
	v_lshrrev_b32_sdwa v3, s49, v3 dst_sel:DWORD dst_unused:UNUSED_PAD src0_sel:DWORD src1_sel:WORD_0
	v_and_b32_e32 v102, s42, v3
	s_or_b32 exec_lo, exec_lo, s34
	s_and_saveexec_b32 s34, s23
	s_cbranch_execz .LBB2077_633
.LBB2077_667:                           ;   in Loop: Header=BB2077_566 Depth=2
	ds_read_u16 v3, v47 offset:2560
	s_waitcnt lgkmcnt(0)
	v_cmp_ne_u16_e64 s28, 0x7fff, v3
	v_cndmask_b32_e64 v3, 0xffff8000, v3, s28
	v_lshrrev_b32_sdwa v3, s49, v3 dst_sel:DWORD dst_unused:UNUSED_PAD src0_sel:DWORD src1_sel:WORD_0
	v_and_b32_e32 v101, s42, v3
	s_or_b32 exec_lo, exec_lo, s34
	s_and_saveexec_b32 s34, s24
	s_cbranch_execz .LBB2077_634
.LBB2077_668:                           ;   in Loop: Header=BB2077_566 Depth=2
	ds_read_u16 v3, v47 offset:3072
	s_waitcnt lgkmcnt(0)
	v_cmp_ne_u16_e64 s28, 0x7fff, v3
	v_cndmask_b32_e64 v3, 0xffff8000, v3, s28
	v_lshrrev_b32_sdwa v3, s49, v3 dst_sel:DWORD dst_unused:UNUSED_PAD src0_sel:DWORD src1_sel:WORD_0
	v_and_b32_e32 v100, s42, v3
	s_or_b32 exec_lo, exec_lo, s34
	s_and_saveexec_b32 s34, s25
	s_cbranch_execz .LBB2077_635
.LBB2077_669:                           ;   in Loop: Header=BB2077_566 Depth=2
	ds_read_u16 v3, v47 offset:3584
	s_waitcnt lgkmcnt(0)
	v_cmp_ne_u16_e64 s28, 0x7fff, v3
	v_cndmask_b32_e64 v3, 0xffff8000, v3, s28
	v_lshrrev_b32_sdwa v3, s49, v3 dst_sel:DWORD dst_unused:UNUSED_PAD src0_sel:DWORD src1_sel:WORD_0
	v_and_b32_e32 v99, s42, v3
	s_or_b32 exec_lo, exec_lo, s34
	s_and_saveexec_b32 s34, s26
	s_cbranch_execz .LBB2077_636
.LBB2077_670:                           ;   in Loop: Header=BB2077_566 Depth=2
	ds_read_u16 v3, v47 offset:4096
	s_waitcnt lgkmcnt(0)
	v_cmp_ne_u16_e64 s28, 0x7fff, v3
	v_cndmask_b32_e64 v3, 0xffff8000, v3, s28
	v_lshrrev_b32_sdwa v3, s49, v3 dst_sel:DWORD dst_unused:UNUSED_PAD src0_sel:DWORD src1_sel:WORD_0
	v_and_b32_e32 v98, s42, v3
	s_or_b32 exec_lo, exec_lo, s34
	s_and_saveexec_b32 s34, s27
	s_cbranch_execnz .LBB2077_637
	s_branch .LBB2077_638
.LBB2077_671:                           ;   in Loop: Header=BB2077_566 Depth=2
	v_lshlrev_b32_e32 v3, 2, v104
	ds_read_b32 v3, v3
	ds_read_b64 v[24:25], v21 offset:1024
	s_waitcnt lgkmcnt(1)
	v_add_nc_u32_e32 v3, v3, v0
	v_lshlrev_b64 v[26:27], 3, v[3:4]
	v_add_co_u32 v26, vcc_lo, s46, v26
	v_add_co_ci_u32_e64 v27, null, s47, v27, vcc_lo
	s_waitcnt lgkmcnt(0)
	global_store_dwordx2 v[26:27], v[24:25], off
	s_or_b32 exec_lo, exec_lo, s28
	s_and_saveexec_b32 s28, s21
	s_cbranch_execz .LBB2077_640
.LBB2077_672:                           ;   in Loop: Header=BB2077_566 Depth=2
	v_lshlrev_b32_e32 v3, 2, v103
	ds_read_b32 v3, v3
	ds_read_b64 v[24:25], v21 offset:3072
	s_waitcnt lgkmcnt(1)
	v_add_nc_u32_e32 v3, v3, v30
	v_lshlrev_b64 v[26:27], 3, v[3:4]
	v_add_co_u32 v26, vcc_lo, s46, v26
	v_add_co_ci_u32_e64 v27, null, s47, v27, vcc_lo
	s_waitcnt lgkmcnt(0)
	global_store_dwordx2 v[26:27], v[24:25], off
	s_or_b32 exec_lo, exec_lo, s28
	s_and_saveexec_b32 s21, s22
	s_cbranch_execz .LBB2077_641
.LBB2077_673:                           ;   in Loop: Header=BB2077_566 Depth=2
	v_lshlrev_b32_e32 v3, 2, v102
	ds_read_b32 v3, v3
	ds_read_b64 v[24:25], v21 offset:5120
	s_waitcnt lgkmcnt(1)
	v_add_nc_u32_e32 v3, v3, v31
	v_lshlrev_b64 v[26:27], 3, v[3:4]
	v_add_co_u32 v26, vcc_lo, s46, v26
	v_add_co_ci_u32_e64 v27, null, s47, v27, vcc_lo
	s_waitcnt lgkmcnt(0)
	global_store_dwordx2 v[26:27], v[24:25], off
	s_or_b32 exec_lo, exec_lo, s21
	s_and_saveexec_b32 s21, s23
	s_cbranch_execz .LBB2077_642
.LBB2077_674:                           ;   in Loop: Header=BB2077_566 Depth=2
	v_lshlrev_b32_e32 v3, 2, v101
	ds_read_b32 v3, v3
	ds_read_b64 v[24:25], v21 offset:7168
	s_waitcnt lgkmcnt(1)
	v_add_nc_u32_e32 v3, v3, v32
	v_lshlrev_b64 v[26:27], 3, v[3:4]
	v_add_co_u32 v26, vcc_lo, s46, v26
	v_add_co_ci_u32_e64 v27, null, s47, v27, vcc_lo
	s_waitcnt lgkmcnt(0)
	global_store_dwordx2 v[26:27], v[24:25], off
	s_or_b32 exec_lo, exec_lo, s21
	s_and_saveexec_b32 s21, s24
	s_cbranch_execz .LBB2077_643
.LBB2077_675:                           ;   in Loop: Header=BB2077_566 Depth=2
	v_lshlrev_b32_e32 v3, 2, v100
	ds_read_b32 v3, v3
	ds_read_b64 v[24:25], v21 offset:9216
	s_waitcnt lgkmcnt(1)
	v_add_nc_u32_e32 v3, v3, v35
	v_lshlrev_b64 v[26:27], 3, v[3:4]
	v_add_co_u32 v26, vcc_lo, s46, v26
	v_add_co_ci_u32_e64 v27, null, s47, v27, vcc_lo
	s_waitcnt lgkmcnt(0)
	global_store_dwordx2 v[26:27], v[24:25], off
	s_or_b32 exec_lo, exec_lo, s21
	s_and_saveexec_b32 s21, s25
	s_cbranch_execz .LBB2077_644
.LBB2077_676:                           ;   in Loop: Header=BB2077_566 Depth=2
	v_lshlrev_b32_e32 v3, 2, v99
	ds_read_b32 v3, v3
	ds_read_b64 v[24:25], v21 offset:11264
	s_waitcnt lgkmcnt(1)
	v_add_nc_u32_e32 v3, v3, v36
	v_lshlrev_b64 v[26:27], 3, v[3:4]
	v_add_co_u32 v26, vcc_lo, s46, v26
	v_add_co_ci_u32_e64 v27, null, s47, v27, vcc_lo
	s_waitcnt lgkmcnt(0)
	global_store_dwordx2 v[26:27], v[24:25], off
	s_or_b32 exec_lo, exec_lo, s21
	s_and_saveexec_b32 s21, s26
	s_cbranch_execz .LBB2077_645
.LBB2077_677:                           ;   in Loop: Header=BB2077_566 Depth=2
	v_lshlrev_b32_e32 v3, 2, v98
	ds_read_b32 v3, v3
	ds_read_b64 v[24:25], v21 offset:13312
	s_waitcnt lgkmcnt(1)
	v_add_nc_u32_e32 v3, v3, v37
	v_lshlrev_b64 v[26:27], 3, v[3:4]
	v_add_co_u32 v26, vcc_lo, s46, v26
	v_add_co_ci_u32_e64 v27, null, s47, v27, vcc_lo
	s_waitcnt lgkmcnt(0)
	global_store_dwordx2 v[26:27], v[24:25], off
	s_or_b32 exec_lo, exec_lo, s21
	s_and_saveexec_b32 s21, s27
	s_cbranch_execnz .LBB2077_646
	s_branch .LBB2077_647
.LBB2077_678:
	s_endpgm
	.section	.rodata,"a",@progbits
	.p2align	6, 0x0
	.amdhsa_kernel _ZN7rocprim17ROCPRIM_400000_NS6detail17trampoline_kernelINS0_14default_configENS1_36segmented_radix_sort_config_selectorI12hip_bfloat16lEEZNS1_25segmented_radix_sort_implIS3_Lb0EPKS5_PS5_PKlPlN2at6native12_GLOBAL__N_18offset_tEEE10hipError_tPvRmT1_PNSt15iterator_traitsISL_E10value_typeET2_T3_PNSM_ISR_E10value_typeET4_jRbjT5_SX_jjP12ihipStream_tbEUlT_E2_NS1_11comp_targetILNS1_3genE8ELNS1_11target_archE1030ELNS1_3gpuE2ELNS1_3repE0EEENS1_30default_config_static_selectorELNS0_4arch9wavefront6targetE0EEEvSL_
		.amdhsa_group_segment_fixed_size 17440
		.amdhsa_private_segment_fixed_size 0
		.amdhsa_kernarg_size 336
		.amdhsa_user_sgpr_count 6
		.amdhsa_user_sgpr_private_segment_buffer 1
		.amdhsa_user_sgpr_dispatch_ptr 0
		.amdhsa_user_sgpr_queue_ptr 0
		.amdhsa_user_sgpr_kernarg_segment_ptr 1
		.amdhsa_user_sgpr_dispatch_id 0
		.amdhsa_user_sgpr_flat_scratch_init 0
		.amdhsa_user_sgpr_private_segment_size 0
		.amdhsa_wavefront_size32 1
		.amdhsa_uses_dynamic_stack 0
		.amdhsa_system_sgpr_private_segment_wavefront_offset 0
		.amdhsa_system_sgpr_workgroup_id_x 1
		.amdhsa_system_sgpr_workgroup_id_y 1
		.amdhsa_system_sgpr_workgroup_id_z 0
		.amdhsa_system_sgpr_workgroup_info 0
		.amdhsa_system_vgpr_workitem_id 2
		.amdhsa_next_free_vgpr 184
		.amdhsa_next_free_sgpr 56
		.amdhsa_reserve_vcc 1
		.amdhsa_reserve_flat_scratch 0
		.amdhsa_float_round_mode_32 0
		.amdhsa_float_round_mode_16_64 0
		.amdhsa_float_denorm_mode_32 3
		.amdhsa_float_denorm_mode_16_64 3
		.amdhsa_dx10_clamp 1
		.amdhsa_ieee_mode 1
		.amdhsa_fp16_overflow 0
		.amdhsa_workgroup_processor_mode 1
		.amdhsa_memory_ordered 1
		.amdhsa_forward_progress 1
		.amdhsa_shared_vgpr_count 0
		.amdhsa_exception_fp_ieee_invalid_op 0
		.amdhsa_exception_fp_denorm_src 0
		.amdhsa_exception_fp_ieee_div_zero 0
		.amdhsa_exception_fp_ieee_overflow 0
		.amdhsa_exception_fp_ieee_underflow 0
		.amdhsa_exception_fp_ieee_inexact 0
		.amdhsa_exception_int_div_zero 0
	.end_amdhsa_kernel
	.section	.text._ZN7rocprim17ROCPRIM_400000_NS6detail17trampoline_kernelINS0_14default_configENS1_36segmented_radix_sort_config_selectorI12hip_bfloat16lEEZNS1_25segmented_radix_sort_implIS3_Lb0EPKS5_PS5_PKlPlN2at6native12_GLOBAL__N_18offset_tEEE10hipError_tPvRmT1_PNSt15iterator_traitsISL_E10value_typeET2_T3_PNSM_ISR_E10value_typeET4_jRbjT5_SX_jjP12ihipStream_tbEUlT_E2_NS1_11comp_targetILNS1_3genE8ELNS1_11target_archE1030ELNS1_3gpuE2ELNS1_3repE0EEENS1_30default_config_static_selectorELNS0_4arch9wavefront6targetE0EEEvSL_,"axG",@progbits,_ZN7rocprim17ROCPRIM_400000_NS6detail17trampoline_kernelINS0_14default_configENS1_36segmented_radix_sort_config_selectorI12hip_bfloat16lEEZNS1_25segmented_radix_sort_implIS3_Lb0EPKS5_PS5_PKlPlN2at6native12_GLOBAL__N_18offset_tEEE10hipError_tPvRmT1_PNSt15iterator_traitsISL_E10value_typeET2_T3_PNSM_ISR_E10value_typeET4_jRbjT5_SX_jjP12ihipStream_tbEUlT_E2_NS1_11comp_targetILNS1_3genE8ELNS1_11target_archE1030ELNS1_3gpuE2ELNS1_3repE0EEENS1_30default_config_static_selectorELNS0_4arch9wavefront6targetE0EEEvSL_,comdat
.Lfunc_end2077:
	.size	_ZN7rocprim17ROCPRIM_400000_NS6detail17trampoline_kernelINS0_14default_configENS1_36segmented_radix_sort_config_selectorI12hip_bfloat16lEEZNS1_25segmented_radix_sort_implIS3_Lb0EPKS5_PS5_PKlPlN2at6native12_GLOBAL__N_18offset_tEEE10hipError_tPvRmT1_PNSt15iterator_traitsISL_E10value_typeET2_T3_PNSM_ISR_E10value_typeET4_jRbjT5_SX_jjP12ihipStream_tbEUlT_E2_NS1_11comp_targetILNS1_3genE8ELNS1_11target_archE1030ELNS1_3gpuE2ELNS1_3repE0EEENS1_30default_config_static_selectorELNS0_4arch9wavefront6targetE0EEEvSL_, .Lfunc_end2077-_ZN7rocprim17ROCPRIM_400000_NS6detail17trampoline_kernelINS0_14default_configENS1_36segmented_radix_sort_config_selectorI12hip_bfloat16lEEZNS1_25segmented_radix_sort_implIS3_Lb0EPKS5_PS5_PKlPlN2at6native12_GLOBAL__N_18offset_tEEE10hipError_tPvRmT1_PNSt15iterator_traitsISL_E10value_typeET2_T3_PNSM_ISR_E10value_typeET4_jRbjT5_SX_jjP12ihipStream_tbEUlT_E2_NS1_11comp_targetILNS1_3genE8ELNS1_11target_archE1030ELNS1_3gpuE2ELNS1_3repE0EEENS1_30default_config_static_selectorELNS0_4arch9wavefront6targetE0EEEvSL_
                                        ; -- End function
	.set _ZN7rocprim17ROCPRIM_400000_NS6detail17trampoline_kernelINS0_14default_configENS1_36segmented_radix_sort_config_selectorI12hip_bfloat16lEEZNS1_25segmented_radix_sort_implIS3_Lb0EPKS5_PS5_PKlPlN2at6native12_GLOBAL__N_18offset_tEEE10hipError_tPvRmT1_PNSt15iterator_traitsISL_E10value_typeET2_T3_PNSM_ISR_E10value_typeET4_jRbjT5_SX_jjP12ihipStream_tbEUlT_E2_NS1_11comp_targetILNS1_3genE8ELNS1_11target_archE1030ELNS1_3gpuE2ELNS1_3repE0EEENS1_30default_config_static_selectorELNS0_4arch9wavefront6targetE0EEEvSL_.num_vgpr, max(139, .L_ZN7rocprim17ROCPRIM_400000_NS6detail26segmented_warp_sort_helperINS1_20WarpSortHelperConfigILj8ELj4ELj256EEE12hip_bfloat16lLi256ELb0EvE4sortIPKS5_PS5_PKlPlEEvT_T0_T1_T2_jjjjRNS6_12storage_typeE.num_vgpr, .L_ZN7rocprim17ROCPRIM_400000_NS6detail40segmented_radix_sort_single_block_helperI12hip_bfloat16lLj256ELj8ELb0EE4sortIPKS3_PS3_PKlPlEEbT_T0_T1_T2_jjjjRNS4_12storage_typeE.num_vgpr)
	.set _ZN7rocprim17ROCPRIM_400000_NS6detail17trampoline_kernelINS0_14default_configENS1_36segmented_radix_sort_config_selectorI12hip_bfloat16lEEZNS1_25segmented_radix_sort_implIS3_Lb0EPKS5_PS5_PKlPlN2at6native12_GLOBAL__N_18offset_tEEE10hipError_tPvRmT1_PNSt15iterator_traitsISL_E10value_typeET2_T3_PNSM_ISR_E10value_typeET4_jRbjT5_SX_jjP12ihipStream_tbEUlT_E2_NS1_11comp_targetILNS1_3genE8ELNS1_11target_archE1030ELNS1_3gpuE2ELNS1_3repE0EEENS1_30default_config_static_selectorELNS0_4arch9wavefront6targetE0EEEvSL_.num_agpr, max(0, .L_ZN7rocprim17ROCPRIM_400000_NS6detail26segmented_warp_sort_helperINS1_20WarpSortHelperConfigILj8ELj4ELj256EEE12hip_bfloat16lLi256ELb0EvE4sortIPKS5_PS5_PKlPlEEvT_T0_T1_T2_jjjjRNS6_12storage_typeE.num_agpr, .L_ZN7rocprim17ROCPRIM_400000_NS6detail40segmented_radix_sort_single_block_helperI12hip_bfloat16lLj256ELj8ELb0EE4sortIPKS3_PS3_PKlPlEEbT_T0_T1_T2_jjjjRNS4_12storage_typeE.num_agpr)
	.set _ZN7rocprim17ROCPRIM_400000_NS6detail17trampoline_kernelINS0_14default_configENS1_36segmented_radix_sort_config_selectorI12hip_bfloat16lEEZNS1_25segmented_radix_sort_implIS3_Lb0EPKS5_PS5_PKlPlN2at6native12_GLOBAL__N_18offset_tEEE10hipError_tPvRmT1_PNSt15iterator_traitsISL_E10value_typeET2_T3_PNSM_ISR_E10value_typeET4_jRbjT5_SX_jjP12ihipStream_tbEUlT_E2_NS1_11comp_targetILNS1_3genE8ELNS1_11target_archE1030ELNS1_3gpuE2ELNS1_3repE0EEENS1_30default_config_static_selectorELNS0_4arch9wavefront6targetE0EEEvSL_.numbered_sgpr, max(56, .L_ZN7rocprim17ROCPRIM_400000_NS6detail26segmented_warp_sort_helperINS1_20WarpSortHelperConfigILj8ELj4ELj256EEE12hip_bfloat16lLi256ELb0EvE4sortIPKS5_PS5_PKlPlEEvT_T0_T1_T2_jjjjRNS6_12storage_typeE.numbered_sgpr, .L_ZN7rocprim17ROCPRIM_400000_NS6detail40segmented_radix_sort_single_block_helperI12hip_bfloat16lLj256ELj8ELb0EE4sortIPKS3_PS3_PKlPlEEbT_T0_T1_T2_jjjjRNS4_12storage_typeE.numbered_sgpr)
	.set _ZN7rocprim17ROCPRIM_400000_NS6detail17trampoline_kernelINS0_14default_configENS1_36segmented_radix_sort_config_selectorI12hip_bfloat16lEEZNS1_25segmented_radix_sort_implIS3_Lb0EPKS5_PS5_PKlPlN2at6native12_GLOBAL__N_18offset_tEEE10hipError_tPvRmT1_PNSt15iterator_traitsISL_E10value_typeET2_T3_PNSM_ISR_E10value_typeET4_jRbjT5_SX_jjP12ihipStream_tbEUlT_E2_NS1_11comp_targetILNS1_3genE8ELNS1_11target_archE1030ELNS1_3gpuE2ELNS1_3repE0EEENS1_30default_config_static_selectorELNS0_4arch9wavefront6targetE0EEEvSL_.num_named_barrier, max(0, .L_ZN7rocprim17ROCPRIM_400000_NS6detail26segmented_warp_sort_helperINS1_20WarpSortHelperConfigILj8ELj4ELj256EEE12hip_bfloat16lLi256ELb0EvE4sortIPKS5_PS5_PKlPlEEvT_T0_T1_T2_jjjjRNS6_12storage_typeE.num_named_barrier, .L_ZN7rocprim17ROCPRIM_400000_NS6detail40segmented_radix_sort_single_block_helperI12hip_bfloat16lLj256ELj8ELb0EE4sortIPKS3_PS3_PKlPlEEbT_T0_T1_T2_jjjjRNS4_12storage_typeE.num_named_barrier)
	.set _ZN7rocprim17ROCPRIM_400000_NS6detail17trampoline_kernelINS0_14default_configENS1_36segmented_radix_sort_config_selectorI12hip_bfloat16lEEZNS1_25segmented_radix_sort_implIS3_Lb0EPKS5_PS5_PKlPlN2at6native12_GLOBAL__N_18offset_tEEE10hipError_tPvRmT1_PNSt15iterator_traitsISL_E10value_typeET2_T3_PNSM_ISR_E10value_typeET4_jRbjT5_SX_jjP12ihipStream_tbEUlT_E2_NS1_11comp_targetILNS1_3genE8ELNS1_11target_archE1030ELNS1_3gpuE2ELNS1_3repE0EEENS1_30default_config_static_selectorELNS0_4arch9wavefront6targetE0EEEvSL_.private_seg_size, 0+max(.L_ZN7rocprim17ROCPRIM_400000_NS6detail26segmented_warp_sort_helperINS1_20WarpSortHelperConfigILj8ELj4ELj256EEE12hip_bfloat16lLi256ELb0EvE4sortIPKS5_PS5_PKlPlEEvT_T0_T1_T2_jjjjRNS6_12storage_typeE.private_seg_size, .L_ZN7rocprim17ROCPRIM_400000_NS6detail40segmented_radix_sort_single_block_helperI12hip_bfloat16lLj256ELj8ELb0EE4sortIPKS3_PS3_PKlPlEEbT_T0_T1_T2_jjjjRNS4_12storage_typeE.private_seg_size)
	.set _ZN7rocprim17ROCPRIM_400000_NS6detail17trampoline_kernelINS0_14default_configENS1_36segmented_radix_sort_config_selectorI12hip_bfloat16lEEZNS1_25segmented_radix_sort_implIS3_Lb0EPKS5_PS5_PKlPlN2at6native12_GLOBAL__N_18offset_tEEE10hipError_tPvRmT1_PNSt15iterator_traitsISL_E10value_typeET2_T3_PNSM_ISR_E10value_typeET4_jRbjT5_SX_jjP12ihipStream_tbEUlT_E2_NS1_11comp_targetILNS1_3genE8ELNS1_11target_archE1030ELNS1_3gpuE2ELNS1_3repE0EEENS1_30default_config_static_selectorELNS0_4arch9wavefront6targetE0EEEvSL_.uses_vcc, or(1, .L_ZN7rocprim17ROCPRIM_400000_NS6detail26segmented_warp_sort_helperINS1_20WarpSortHelperConfigILj8ELj4ELj256EEE12hip_bfloat16lLi256ELb0EvE4sortIPKS5_PS5_PKlPlEEvT_T0_T1_T2_jjjjRNS6_12storage_typeE.uses_vcc, .L_ZN7rocprim17ROCPRIM_400000_NS6detail40segmented_radix_sort_single_block_helperI12hip_bfloat16lLj256ELj8ELb0EE4sortIPKS3_PS3_PKlPlEEbT_T0_T1_T2_jjjjRNS4_12storage_typeE.uses_vcc)
	.set _ZN7rocprim17ROCPRIM_400000_NS6detail17trampoline_kernelINS0_14default_configENS1_36segmented_radix_sort_config_selectorI12hip_bfloat16lEEZNS1_25segmented_radix_sort_implIS3_Lb0EPKS5_PS5_PKlPlN2at6native12_GLOBAL__N_18offset_tEEE10hipError_tPvRmT1_PNSt15iterator_traitsISL_E10value_typeET2_T3_PNSM_ISR_E10value_typeET4_jRbjT5_SX_jjP12ihipStream_tbEUlT_E2_NS1_11comp_targetILNS1_3genE8ELNS1_11target_archE1030ELNS1_3gpuE2ELNS1_3repE0EEENS1_30default_config_static_selectorELNS0_4arch9wavefront6targetE0EEEvSL_.uses_flat_scratch, or(0, .L_ZN7rocprim17ROCPRIM_400000_NS6detail26segmented_warp_sort_helperINS1_20WarpSortHelperConfigILj8ELj4ELj256EEE12hip_bfloat16lLi256ELb0EvE4sortIPKS5_PS5_PKlPlEEvT_T0_T1_T2_jjjjRNS6_12storage_typeE.uses_flat_scratch, .L_ZN7rocprim17ROCPRIM_400000_NS6detail40segmented_radix_sort_single_block_helperI12hip_bfloat16lLj256ELj8ELb0EE4sortIPKS3_PS3_PKlPlEEbT_T0_T1_T2_jjjjRNS4_12storage_typeE.uses_flat_scratch)
	.set _ZN7rocprim17ROCPRIM_400000_NS6detail17trampoline_kernelINS0_14default_configENS1_36segmented_radix_sort_config_selectorI12hip_bfloat16lEEZNS1_25segmented_radix_sort_implIS3_Lb0EPKS5_PS5_PKlPlN2at6native12_GLOBAL__N_18offset_tEEE10hipError_tPvRmT1_PNSt15iterator_traitsISL_E10value_typeET2_T3_PNSM_ISR_E10value_typeET4_jRbjT5_SX_jjP12ihipStream_tbEUlT_E2_NS1_11comp_targetILNS1_3genE8ELNS1_11target_archE1030ELNS1_3gpuE2ELNS1_3repE0EEENS1_30default_config_static_selectorELNS0_4arch9wavefront6targetE0EEEvSL_.has_dyn_sized_stack, or(0, .L_ZN7rocprim17ROCPRIM_400000_NS6detail26segmented_warp_sort_helperINS1_20WarpSortHelperConfigILj8ELj4ELj256EEE12hip_bfloat16lLi256ELb0EvE4sortIPKS5_PS5_PKlPlEEvT_T0_T1_T2_jjjjRNS6_12storage_typeE.has_dyn_sized_stack, .L_ZN7rocprim17ROCPRIM_400000_NS6detail40segmented_radix_sort_single_block_helperI12hip_bfloat16lLj256ELj8ELb0EE4sortIPKS3_PS3_PKlPlEEbT_T0_T1_T2_jjjjRNS4_12storage_typeE.has_dyn_sized_stack)
	.set _ZN7rocprim17ROCPRIM_400000_NS6detail17trampoline_kernelINS0_14default_configENS1_36segmented_radix_sort_config_selectorI12hip_bfloat16lEEZNS1_25segmented_radix_sort_implIS3_Lb0EPKS5_PS5_PKlPlN2at6native12_GLOBAL__N_18offset_tEEE10hipError_tPvRmT1_PNSt15iterator_traitsISL_E10value_typeET2_T3_PNSM_ISR_E10value_typeET4_jRbjT5_SX_jjP12ihipStream_tbEUlT_E2_NS1_11comp_targetILNS1_3genE8ELNS1_11target_archE1030ELNS1_3gpuE2ELNS1_3repE0EEENS1_30default_config_static_selectorELNS0_4arch9wavefront6targetE0EEEvSL_.has_recursion, or(0, .L_ZN7rocprim17ROCPRIM_400000_NS6detail26segmented_warp_sort_helperINS1_20WarpSortHelperConfigILj8ELj4ELj256EEE12hip_bfloat16lLi256ELb0EvE4sortIPKS5_PS5_PKlPlEEvT_T0_T1_T2_jjjjRNS6_12storage_typeE.has_recursion, .L_ZN7rocprim17ROCPRIM_400000_NS6detail40segmented_radix_sort_single_block_helperI12hip_bfloat16lLj256ELj8ELb0EE4sortIPKS3_PS3_PKlPlEEbT_T0_T1_T2_jjjjRNS4_12storage_typeE.has_recursion)
	.set _ZN7rocprim17ROCPRIM_400000_NS6detail17trampoline_kernelINS0_14default_configENS1_36segmented_radix_sort_config_selectorI12hip_bfloat16lEEZNS1_25segmented_radix_sort_implIS3_Lb0EPKS5_PS5_PKlPlN2at6native12_GLOBAL__N_18offset_tEEE10hipError_tPvRmT1_PNSt15iterator_traitsISL_E10value_typeET2_T3_PNSM_ISR_E10value_typeET4_jRbjT5_SX_jjP12ihipStream_tbEUlT_E2_NS1_11comp_targetILNS1_3genE8ELNS1_11target_archE1030ELNS1_3gpuE2ELNS1_3repE0EEENS1_30default_config_static_selectorELNS0_4arch9wavefront6targetE0EEEvSL_.has_indirect_call, or(0, .L_ZN7rocprim17ROCPRIM_400000_NS6detail26segmented_warp_sort_helperINS1_20WarpSortHelperConfigILj8ELj4ELj256EEE12hip_bfloat16lLi256ELb0EvE4sortIPKS5_PS5_PKlPlEEvT_T0_T1_T2_jjjjRNS6_12storage_typeE.has_indirect_call, .L_ZN7rocprim17ROCPRIM_400000_NS6detail40segmented_radix_sort_single_block_helperI12hip_bfloat16lLj256ELj8ELb0EE4sortIPKS3_PS3_PKlPlEEbT_T0_T1_T2_jjjjRNS4_12storage_typeE.has_indirect_call)
	.section	.AMDGPU.csdata,"",@progbits
; Kernel info:
; codeLenInByte = 38864
; TotalNumSgprs: 58
; NumVgprs: 184
; ScratchSize: 0
; MemoryBound: 0
; FloatMode: 240
; IeeeMode: 1
; LDSByteSize: 17440 bytes/workgroup (compile time only)
; SGPRBlocks: 0
; VGPRBlocks: 22
; NumSGPRsForWavesPerEU: 58
; NumVGPRsForWavesPerEU: 184
; Occupancy: 5
; WaveLimiterHint : 1
; COMPUTE_PGM_RSRC2:SCRATCH_EN: 0
; COMPUTE_PGM_RSRC2:USER_SGPR: 6
; COMPUTE_PGM_RSRC2:TRAP_HANDLER: 0
; COMPUTE_PGM_RSRC2:TGID_X_EN: 1
; COMPUTE_PGM_RSRC2:TGID_Y_EN: 1
; COMPUTE_PGM_RSRC2:TGID_Z_EN: 0
; COMPUTE_PGM_RSRC2:TIDIG_COMP_CNT: 2
	.text
	.p2alignl 6, 3214868480
	.fill 48, 4, 3214868480
	.section	.AMDGPU.gpr_maximums,"",@progbits
	.set amdgpu.max_num_vgpr, 248
	.set amdgpu.max_num_agpr, 0
	.set amdgpu.max_num_sgpr, 60
	.text
	.protected	_ZN7rocprim17ROCPRIM_400000_NS16block_radix_sortIhLj256ELj1ElLj1ELj1ELj8ELNS0_26block_radix_rank_algorithmE2ELNS0_18block_padding_hintE2ELNS0_4arch9wavefront6targetE0EE19radix_bits_per_passE ; @_ZN7rocprim17ROCPRIM_400000_NS16block_radix_sortIhLj256ELj1ElLj1ELj1ELj8ELNS0_26block_radix_rank_algorithmE2ELNS0_18block_padding_hintE2ELNS0_4arch9wavefront6targetE0EE19radix_bits_per_passE
	.type	_ZN7rocprim17ROCPRIM_400000_NS16block_radix_sortIhLj256ELj1ElLj1ELj1ELj8ELNS0_26block_radix_rank_algorithmE2ELNS0_18block_padding_hintE2ELNS0_4arch9wavefront6targetE0EE19radix_bits_per_passE,@object
	.section	.rodata._ZN7rocprim17ROCPRIM_400000_NS16block_radix_sortIhLj256ELj1ElLj1ELj1ELj8ELNS0_26block_radix_rank_algorithmE2ELNS0_18block_padding_hintE2ELNS0_4arch9wavefront6targetE0EE19radix_bits_per_passE,"aG",@progbits,_ZN7rocprim17ROCPRIM_400000_NS16block_radix_sortIhLj256ELj1ElLj1ELj1ELj8ELNS0_26block_radix_rank_algorithmE2ELNS0_18block_padding_hintE2ELNS0_4arch9wavefront6targetE0EE19radix_bits_per_passE,comdat
	.weak	_ZN7rocprim17ROCPRIM_400000_NS16block_radix_sortIhLj256ELj1ElLj1ELj1ELj8ELNS0_26block_radix_rank_algorithmE2ELNS0_18block_padding_hintE2ELNS0_4arch9wavefront6targetE0EE19radix_bits_per_passE
	.p2align	2, 0x0
_ZN7rocprim17ROCPRIM_400000_NS16block_radix_sortIhLj256ELj1ElLj1ELj1ELj8ELNS0_26block_radix_rank_algorithmE2ELNS0_18block_padding_hintE2ELNS0_4arch9wavefront6targetE0EE19radix_bits_per_passE:
	.long	8                               ; 0x8
	.size	_ZN7rocprim17ROCPRIM_400000_NS16block_radix_sortIhLj256ELj1ElLj1ELj1ELj8ELNS0_26block_radix_rank_algorithmE2ELNS0_18block_padding_hintE2ELNS0_4arch9wavefront6targetE0EE19radix_bits_per_passE, 4

	.protected	_ZN7rocprim17ROCPRIM_400000_NS16block_radix_sortIhLj256ELj2ElLj1ELj1ELj8ELNS0_26block_radix_rank_algorithmE2ELNS0_18block_padding_hintE2ELNS0_4arch9wavefront6targetE0EE19radix_bits_per_passE ; @_ZN7rocprim17ROCPRIM_400000_NS16block_radix_sortIhLj256ELj2ElLj1ELj1ELj8ELNS0_26block_radix_rank_algorithmE2ELNS0_18block_padding_hintE2ELNS0_4arch9wavefront6targetE0EE19radix_bits_per_passE
	.type	_ZN7rocprim17ROCPRIM_400000_NS16block_radix_sortIhLj256ELj2ElLj1ELj1ELj8ELNS0_26block_radix_rank_algorithmE2ELNS0_18block_padding_hintE2ELNS0_4arch9wavefront6targetE0EE19radix_bits_per_passE,@object
	.section	.rodata._ZN7rocprim17ROCPRIM_400000_NS16block_radix_sortIhLj256ELj2ElLj1ELj1ELj8ELNS0_26block_radix_rank_algorithmE2ELNS0_18block_padding_hintE2ELNS0_4arch9wavefront6targetE0EE19radix_bits_per_passE,"aG",@progbits,_ZN7rocprim17ROCPRIM_400000_NS16block_radix_sortIhLj256ELj2ElLj1ELj1ELj8ELNS0_26block_radix_rank_algorithmE2ELNS0_18block_padding_hintE2ELNS0_4arch9wavefront6targetE0EE19radix_bits_per_passE,comdat
	.weak	_ZN7rocprim17ROCPRIM_400000_NS16block_radix_sortIhLj256ELj2ElLj1ELj1ELj8ELNS0_26block_radix_rank_algorithmE2ELNS0_18block_padding_hintE2ELNS0_4arch9wavefront6targetE0EE19radix_bits_per_passE
	.p2align	2, 0x0
_ZN7rocprim17ROCPRIM_400000_NS16block_radix_sortIhLj256ELj2ElLj1ELj1ELj8ELNS0_26block_radix_rank_algorithmE2ELNS0_18block_padding_hintE2ELNS0_4arch9wavefront6targetE0EE19radix_bits_per_passE:
	.long	8                               ; 0x8
	.size	_ZN7rocprim17ROCPRIM_400000_NS16block_radix_sortIhLj256ELj2ElLj1ELj1ELj8ELNS0_26block_radix_rank_algorithmE2ELNS0_18block_padding_hintE2ELNS0_4arch9wavefront6targetE0EE19radix_bits_per_passE, 4

	.protected	_ZN7rocprim17ROCPRIM_400000_NS16block_radix_sortIhLj256ELj4ElLj1ELj1ELj8ELNS0_26block_radix_rank_algorithmE2ELNS0_18block_padding_hintE2ELNS0_4arch9wavefront6targetE0EE19radix_bits_per_passE ; @_ZN7rocprim17ROCPRIM_400000_NS16block_radix_sortIhLj256ELj4ElLj1ELj1ELj8ELNS0_26block_radix_rank_algorithmE2ELNS0_18block_padding_hintE2ELNS0_4arch9wavefront6targetE0EE19radix_bits_per_passE
	.type	_ZN7rocprim17ROCPRIM_400000_NS16block_radix_sortIhLj256ELj4ElLj1ELj1ELj8ELNS0_26block_radix_rank_algorithmE2ELNS0_18block_padding_hintE2ELNS0_4arch9wavefront6targetE0EE19radix_bits_per_passE,@object
	.section	.rodata._ZN7rocprim17ROCPRIM_400000_NS16block_radix_sortIhLj256ELj4ElLj1ELj1ELj8ELNS0_26block_radix_rank_algorithmE2ELNS0_18block_padding_hintE2ELNS0_4arch9wavefront6targetE0EE19radix_bits_per_passE,"aG",@progbits,_ZN7rocprim17ROCPRIM_400000_NS16block_radix_sortIhLj256ELj4ElLj1ELj1ELj8ELNS0_26block_radix_rank_algorithmE2ELNS0_18block_padding_hintE2ELNS0_4arch9wavefront6targetE0EE19radix_bits_per_passE,comdat
	.weak	_ZN7rocprim17ROCPRIM_400000_NS16block_radix_sortIhLj256ELj4ElLj1ELj1ELj8ELNS0_26block_radix_rank_algorithmE2ELNS0_18block_padding_hintE2ELNS0_4arch9wavefront6targetE0EE19radix_bits_per_passE
	.p2align	2, 0x0
_ZN7rocprim17ROCPRIM_400000_NS16block_radix_sortIhLj256ELj4ElLj1ELj1ELj8ELNS0_26block_radix_rank_algorithmE2ELNS0_18block_padding_hintE2ELNS0_4arch9wavefront6targetE0EE19radix_bits_per_passE:
	.long	8                               ; 0x8
	.size	_ZN7rocprim17ROCPRIM_400000_NS16block_radix_sortIhLj256ELj4ElLj1ELj1ELj8ELNS0_26block_radix_rank_algorithmE2ELNS0_18block_padding_hintE2ELNS0_4arch9wavefront6targetE0EE19radix_bits_per_passE, 4

	.protected	_ZN7rocprim17ROCPRIM_400000_NS16block_radix_sortIhLj256ELj8ElLj1ELj1ELj8ELNS0_26block_radix_rank_algorithmE2ELNS0_18block_padding_hintE2ELNS0_4arch9wavefront6targetE0EE19radix_bits_per_passE ; @_ZN7rocprim17ROCPRIM_400000_NS16block_radix_sortIhLj256ELj8ElLj1ELj1ELj8ELNS0_26block_radix_rank_algorithmE2ELNS0_18block_padding_hintE2ELNS0_4arch9wavefront6targetE0EE19radix_bits_per_passE
	.type	_ZN7rocprim17ROCPRIM_400000_NS16block_radix_sortIhLj256ELj8ElLj1ELj1ELj8ELNS0_26block_radix_rank_algorithmE2ELNS0_18block_padding_hintE2ELNS0_4arch9wavefront6targetE0EE19radix_bits_per_passE,@object
	.section	.rodata._ZN7rocprim17ROCPRIM_400000_NS16block_radix_sortIhLj256ELj8ElLj1ELj1ELj8ELNS0_26block_radix_rank_algorithmE2ELNS0_18block_padding_hintE2ELNS0_4arch9wavefront6targetE0EE19radix_bits_per_passE,"aG",@progbits,_ZN7rocprim17ROCPRIM_400000_NS16block_radix_sortIhLj256ELj8ElLj1ELj1ELj8ELNS0_26block_radix_rank_algorithmE2ELNS0_18block_padding_hintE2ELNS0_4arch9wavefront6targetE0EE19radix_bits_per_passE,comdat
	.weak	_ZN7rocprim17ROCPRIM_400000_NS16block_radix_sortIhLj256ELj8ElLj1ELj1ELj8ELNS0_26block_radix_rank_algorithmE2ELNS0_18block_padding_hintE2ELNS0_4arch9wavefront6targetE0EE19radix_bits_per_passE
	.p2align	2, 0x0
_ZN7rocprim17ROCPRIM_400000_NS16block_radix_sortIhLj256ELj8ElLj1ELj1ELj8ELNS0_26block_radix_rank_algorithmE2ELNS0_18block_padding_hintE2ELNS0_4arch9wavefront6targetE0EE19radix_bits_per_passE:
	.long	8                               ; 0x8
	.size	_ZN7rocprim17ROCPRIM_400000_NS16block_radix_sortIhLj256ELj8ElLj1ELj1ELj8ELNS0_26block_radix_rank_algorithmE2ELNS0_18block_padding_hintE2ELNS0_4arch9wavefront6targetE0EE19radix_bits_per_passE, 4

	.protected	_ZN7rocprim17ROCPRIM_400000_NS16block_radix_sortIhLj256ELj17ElLj1ELj1ELj8ELNS0_26block_radix_rank_algorithmE2ELNS0_18block_padding_hintE2ELNS0_4arch9wavefront6targetE0EE19radix_bits_per_passE ; @_ZN7rocprim17ROCPRIM_400000_NS16block_radix_sortIhLj256ELj17ElLj1ELj1ELj8ELNS0_26block_radix_rank_algorithmE2ELNS0_18block_padding_hintE2ELNS0_4arch9wavefront6targetE0EE19radix_bits_per_passE
	.type	_ZN7rocprim17ROCPRIM_400000_NS16block_radix_sortIhLj256ELj17ElLj1ELj1ELj8ELNS0_26block_radix_rank_algorithmE2ELNS0_18block_padding_hintE2ELNS0_4arch9wavefront6targetE0EE19radix_bits_per_passE,@object
	.section	.rodata._ZN7rocprim17ROCPRIM_400000_NS16block_radix_sortIhLj256ELj17ElLj1ELj1ELj8ELNS0_26block_radix_rank_algorithmE2ELNS0_18block_padding_hintE2ELNS0_4arch9wavefront6targetE0EE19radix_bits_per_passE,"aG",@progbits,_ZN7rocprim17ROCPRIM_400000_NS16block_radix_sortIhLj256ELj17ElLj1ELj1ELj8ELNS0_26block_radix_rank_algorithmE2ELNS0_18block_padding_hintE2ELNS0_4arch9wavefront6targetE0EE19radix_bits_per_passE,comdat
	.weak	_ZN7rocprim17ROCPRIM_400000_NS16block_radix_sortIhLj256ELj17ElLj1ELj1ELj8ELNS0_26block_radix_rank_algorithmE2ELNS0_18block_padding_hintE2ELNS0_4arch9wavefront6targetE0EE19radix_bits_per_passE
	.p2align	2, 0x0
_ZN7rocprim17ROCPRIM_400000_NS16block_radix_sortIhLj256ELj17ElLj1ELj1ELj8ELNS0_26block_radix_rank_algorithmE2ELNS0_18block_padding_hintE2ELNS0_4arch9wavefront6targetE0EE19radix_bits_per_passE:
	.long	8                               ; 0x8
	.size	_ZN7rocprim17ROCPRIM_400000_NS16block_radix_sortIhLj256ELj17ElLj1ELj1ELj8ELNS0_26block_radix_rank_algorithmE2ELNS0_18block_padding_hintE2ELNS0_4arch9wavefront6targetE0EE19radix_bits_per_passE, 4

	.protected	_ZN7rocprim17ROCPRIM_400000_NS16block_radix_sortIaLj256ELj1ElLj1ELj1ELj8ELNS0_26block_radix_rank_algorithmE2ELNS0_18block_padding_hintE2ELNS0_4arch9wavefront6targetE0EE19radix_bits_per_passE ; @_ZN7rocprim17ROCPRIM_400000_NS16block_radix_sortIaLj256ELj1ElLj1ELj1ELj8ELNS0_26block_radix_rank_algorithmE2ELNS0_18block_padding_hintE2ELNS0_4arch9wavefront6targetE0EE19radix_bits_per_passE
	.type	_ZN7rocprim17ROCPRIM_400000_NS16block_radix_sortIaLj256ELj1ElLj1ELj1ELj8ELNS0_26block_radix_rank_algorithmE2ELNS0_18block_padding_hintE2ELNS0_4arch9wavefront6targetE0EE19radix_bits_per_passE,@object
	.section	.rodata._ZN7rocprim17ROCPRIM_400000_NS16block_radix_sortIaLj256ELj1ElLj1ELj1ELj8ELNS0_26block_radix_rank_algorithmE2ELNS0_18block_padding_hintE2ELNS0_4arch9wavefront6targetE0EE19radix_bits_per_passE,"aG",@progbits,_ZN7rocprim17ROCPRIM_400000_NS16block_radix_sortIaLj256ELj1ElLj1ELj1ELj8ELNS0_26block_radix_rank_algorithmE2ELNS0_18block_padding_hintE2ELNS0_4arch9wavefront6targetE0EE19radix_bits_per_passE,comdat
	.weak	_ZN7rocprim17ROCPRIM_400000_NS16block_radix_sortIaLj256ELj1ElLj1ELj1ELj8ELNS0_26block_radix_rank_algorithmE2ELNS0_18block_padding_hintE2ELNS0_4arch9wavefront6targetE0EE19radix_bits_per_passE
	.p2align	2, 0x0
_ZN7rocprim17ROCPRIM_400000_NS16block_radix_sortIaLj256ELj1ElLj1ELj1ELj8ELNS0_26block_radix_rank_algorithmE2ELNS0_18block_padding_hintE2ELNS0_4arch9wavefront6targetE0EE19radix_bits_per_passE:
	.long	8                               ; 0x8
	.size	_ZN7rocprim17ROCPRIM_400000_NS16block_radix_sortIaLj256ELj1ElLj1ELj1ELj8ELNS0_26block_radix_rank_algorithmE2ELNS0_18block_padding_hintE2ELNS0_4arch9wavefront6targetE0EE19radix_bits_per_passE, 4

	.protected	_ZN7rocprim17ROCPRIM_400000_NS16block_radix_sortIaLj256ELj2ElLj1ELj1ELj8ELNS0_26block_radix_rank_algorithmE2ELNS0_18block_padding_hintE2ELNS0_4arch9wavefront6targetE0EE19radix_bits_per_passE ; @_ZN7rocprim17ROCPRIM_400000_NS16block_radix_sortIaLj256ELj2ElLj1ELj1ELj8ELNS0_26block_radix_rank_algorithmE2ELNS0_18block_padding_hintE2ELNS0_4arch9wavefront6targetE0EE19radix_bits_per_passE
	.type	_ZN7rocprim17ROCPRIM_400000_NS16block_radix_sortIaLj256ELj2ElLj1ELj1ELj8ELNS0_26block_radix_rank_algorithmE2ELNS0_18block_padding_hintE2ELNS0_4arch9wavefront6targetE0EE19radix_bits_per_passE,@object
	.section	.rodata._ZN7rocprim17ROCPRIM_400000_NS16block_radix_sortIaLj256ELj2ElLj1ELj1ELj8ELNS0_26block_radix_rank_algorithmE2ELNS0_18block_padding_hintE2ELNS0_4arch9wavefront6targetE0EE19radix_bits_per_passE,"aG",@progbits,_ZN7rocprim17ROCPRIM_400000_NS16block_radix_sortIaLj256ELj2ElLj1ELj1ELj8ELNS0_26block_radix_rank_algorithmE2ELNS0_18block_padding_hintE2ELNS0_4arch9wavefront6targetE0EE19radix_bits_per_passE,comdat
	.weak	_ZN7rocprim17ROCPRIM_400000_NS16block_radix_sortIaLj256ELj2ElLj1ELj1ELj8ELNS0_26block_radix_rank_algorithmE2ELNS0_18block_padding_hintE2ELNS0_4arch9wavefront6targetE0EE19radix_bits_per_passE
	.p2align	2, 0x0
_ZN7rocprim17ROCPRIM_400000_NS16block_radix_sortIaLj256ELj2ElLj1ELj1ELj8ELNS0_26block_radix_rank_algorithmE2ELNS0_18block_padding_hintE2ELNS0_4arch9wavefront6targetE0EE19radix_bits_per_passE:
	.long	8                               ; 0x8
	.size	_ZN7rocprim17ROCPRIM_400000_NS16block_radix_sortIaLj256ELj2ElLj1ELj1ELj8ELNS0_26block_radix_rank_algorithmE2ELNS0_18block_padding_hintE2ELNS0_4arch9wavefront6targetE0EE19radix_bits_per_passE, 4

	.protected	_ZN7rocprim17ROCPRIM_400000_NS16block_radix_sortIaLj256ELj4ElLj1ELj1ELj8ELNS0_26block_radix_rank_algorithmE2ELNS0_18block_padding_hintE2ELNS0_4arch9wavefront6targetE0EE19radix_bits_per_passE ; @_ZN7rocprim17ROCPRIM_400000_NS16block_radix_sortIaLj256ELj4ElLj1ELj1ELj8ELNS0_26block_radix_rank_algorithmE2ELNS0_18block_padding_hintE2ELNS0_4arch9wavefront6targetE0EE19radix_bits_per_passE
	.type	_ZN7rocprim17ROCPRIM_400000_NS16block_radix_sortIaLj256ELj4ElLj1ELj1ELj8ELNS0_26block_radix_rank_algorithmE2ELNS0_18block_padding_hintE2ELNS0_4arch9wavefront6targetE0EE19radix_bits_per_passE,@object
	.section	.rodata._ZN7rocprim17ROCPRIM_400000_NS16block_radix_sortIaLj256ELj4ElLj1ELj1ELj8ELNS0_26block_radix_rank_algorithmE2ELNS0_18block_padding_hintE2ELNS0_4arch9wavefront6targetE0EE19radix_bits_per_passE,"aG",@progbits,_ZN7rocprim17ROCPRIM_400000_NS16block_radix_sortIaLj256ELj4ElLj1ELj1ELj8ELNS0_26block_radix_rank_algorithmE2ELNS0_18block_padding_hintE2ELNS0_4arch9wavefront6targetE0EE19radix_bits_per_passE,comdat
	.weak	_ZN7rocprim17ROCPRIM_400000_NS16block_radix_sortIaLj256ELj4ElLj1ELj1ELj8ELNS0_26block_radix_rank_algorithmE2ELNS0_18block_padding_hintE2ELNS0_4arch9wavefront6targetE0EE19radix_bits_per_passE
	.p2align	2, 0x0
_ZN7rocprim17ROCPRIM_400000_NS16block_radix_sortIaLj256ELj4ElLj1ELj1ELj8ELNS0_26block_radix_rank_algorithmE2ELNS0_18block_padding_hintE2ELNS0_4arch9wavefront6targetE0EE19radix_bits_per_passE:
	.long	8                               ; 0x8
	.size	_ZN7rocprim17ROCPRIM_400000_NS16block_radix_sortIaLj256ELj4ElLj1ELj1ELj8ELNS0_26block_radix_rank_algorithmE2ELNS0_18block_padding_hintE2ELNS0_4arch9wavefront6targetE0EE19radix_bits_per_passE, 4

	.protected	_ZN7rocprim17ROCPRIM_400000_NS16block_radix_sortIaLj256ELj8ElLj1ELj1ELj8ELNS0_26block_radix_rank_algorithmE2ELNS0_18block_padding_hintE2ELNS0_4arch9wavefront6targetE0EE19radix_bits_per_passE ; @_ZN7rocprim17ROCPRIM_400000_NS16block_radix_sortIaLj256ELj8ElLj1ELj1ELj8ELNS0_26block_radix_rank_algorithmE2ELNS0_18block_padding_hintE2ELNS0_4arch9wavefront6targetE0EE19radix_bits_per_passE
	.type	_ZN7rocprim17ROCPRIM_400000_NS16block_radix_sortIaLj256ELj8ElLj1ELj1ELj8ELNS0_26block_radix_rank_algorithmE2ELNS0_18block_padding_hintE2ELNS0_4arch9wavefront6targetE0EE19radix_bits_per_passE,@object
	.section	.rodata._ZN7rocprim17ROCPRIM_400000_NS16block_radix_sortIaLj256ELj8ElLj1ELj1ELj8ELNS0_26block_radix_rank_algorithmE2ELNS0_18block_padding_hintE2ELNS0_4arch9wavefront6targetE0EE19radix_bits_per_passE,"aG",@progbits,_ZN7rocprim17ROCPRIM_400000_NS16block_radix_sortIaLj256ELj8ElLj1ELj1ELj8ELNS0_26block_radix_rank_algorithmE2ELNS0_18block_padding_hintE2ELNS0_4arch9wavefront6targetE0EE19radix_bits_per_passE,comdat
	.weak	_ZN7rocprim17ROCPRIM_400000_NS16block_radix_sortIaLj256ELj8ElLj1ELj1ELj8ELNS0_26block_radix_rank_algorithmE2ELNS0_18block_padding_hintE2ELNS0_4arch9wavefront6targetE0EE19radix_bits_per_passE
	.p2align	2, 0x0
_ZN7rocprim17ROCPRIM_400000_NS16block_radix_sortIaLj256ELj8ElLj1ELj1ELj8ELNS0_26block_radix_rank_algorithmE2ELNS0_18block_padding_hintE2ELNS0_4arch9wavefront6targetE0EE19radix_bits_per_passE:
	.long	8                               ; 0x8
	.size	_ZN7rocprim17ROCPRIM_400000_NS16block_radix_sortIaLj256ELj8ElLj1ELj1ELj8ELNS0_26block_radix_rank_algorithmE2ELNS0_18block_padding_hintE2ELNS0_4arch9wavefront6targetE0EE19radix_bits_per_passE, 4

	.protected	_ZN7rocprim17ROCPRIM_400000_NS16block_radix_sortIaLj256ELj17ElLj1ELj1ELj8ELNS0_26block_radix_rank_algorithmE2ELNS0_18block_padding_hintE2ELNS0_4arch9wavefront6targetE0EE19radix_bits_per_passE ; @_ZN7rocprim17ROCPRIM_400000_NS16block_radix_sortIaLj256ELj17ElLj1ELj1ELj8ELNS0_26block_radix_rank_algorithmE2ELNS0_18block_padding_hintE2ELNS0_4arch9wavefront6targetE0EE19radix_bits_per_passE
	.type	_ZN7rocprim17ROCPRIM_400000_NS16block_radix_sortIaLj256ELj17ElLj1ELj1ELj8ELNS0_26block_radix_rank_algorithmE2ELNS0_18block_padding_hintE2ELNS0_4arch9wavefront6targetE0EE19radix_bits_per_passE,@object
	.section	.rodata._ZN7rocprim17ROCPRIM_400000_NS16block_radix_sortIaLj256ELj17ElLj1ELj1ELj8ELNS0_26block_radix_rank_algorithmE2ELNS0_18block_padding_hintE2ELNS0_4arch9wavefront6targetE0EE19radix_bits_per_passE,"aG",@progbits,_ZN7rocprim17ROCPRIM_400000_NS16block_radix_sortIaLj256ELj17ElLj1ELj1ELj8ELNS0_26block_radix_rank_algorithmE2ELNS0_18block_padding_hintE2ELNS0_4arch9wavefront6targetE0EE19radix_bits_per_passE,comdat
	.weak	_ZN7rocprim17ROCPRIM_400000_NS16block_radix_sortIaLj256ELj17ElLj1ELj1ELj8ELNS0_26block_radix_rank_algorithmE2ELNS0_18block_padding_hintE2ELNS0_4arch9wavefront6targetE0EE19radix_bits_per_passE
	.p2align	2, 0x0
_ZN7rocprim17ROCPRIM_400000_NS16block_radix_sortIaLj256ELj17ElLj1ELj1ELj8ELNS0_26block_radix_rank_algorithmE2ELNS0_18block_padding_hintE2ELNS0_4arch9wavefront6targetE0EE19radix_bits_per_passE:
	.long	8                               ; 0x8
	.size	_ZN7rocprim17ROCPRIM_400000_NS16block_radix_sortIaLj256ELj17ElLj1ELj1ELj8ELNS0_26block_radix_rank_algorithmE2ELNS0_18block_padding_hintE2ELNS0_4arch9wavefront6targetE0EE19radix_bits_per_passE, 4

	.protected	_ZN7rocprim17ROCPRIM_400000_NS16block_radix_sortIiLj256ELj1ElLj1ELj1ELj8ELNS0_26block_radix_rank_algorithmE2ELNS0_18block_padding_hintE2ELNS0_4arch9wavefront6targetE0EE19radix_bits_per_passE ; @_ZN7rocprim17ROCPRIM_400000_NS16block_radix_sortIiLj256ELj1ElLj1ELj1ELj8ELNS0_26block_radix_rank_algorithmE2ELNS0_18block_padding_hintE2ELNS0_4arch9wavefront6targetE0EE19radix_bits_per_passE
	.type	_ZN7rocprim17ROCPRIM_400000_NS16block_radix_sortIiLj256ELj1ElLj1ELj1ELj8ELNS0_26block_radix_rank_algorithmE2ELNS0_18block_padding_hintE2ELNS0_4arch9wavefront6targetE0EE19radix_bits_per_passE,@object
	.section	.rodata._ZN7rocprim17ROCPRIM_400000_NS16block_radix_sortIiLj256ELj1ElLj1ELj1ELj8ELNS0_26block_radix_rank_algorithmE2ELNS0_18block_padding_hintE2ELNS0_4arch9wavefront6targetE0EE19radix_bits_per_passE,"aG",@progbits,_ZN7rocprim17ROCPRIM_400000_NS16block_radix_sortIiLj256ELj1ElLj1ELj1ELj8ELNS0_26block_radix_rank_algorithmE2ELNS0_18block_padding_hintE2ELNS0_4arch9wavefront6targetE0EE19radix_bits_per_passE,comdat
	.weak	_ZN7rocprim17ROCPRIM_400000_NS16block_radix_sortIiLj256ELj1ElLj1ELj1ELj8ELNS0_26block_radix_rank_algorithmE2ELNS0_18block_padding_hintE2ELNS0_4arch9wavefront6targetE0EE19radix_bits_per_passE
	.p2align	2, 0x0
_ZN7rocprim17ROCPRIM_400000_NS16block_radix_sortIiLj256ELj1ElLj1ELj1ELj8ELNS0_26block_radix_rank_algorithmE2ELNS0_18block_padding_hintE2ELNS0_4arch9wavefront6targetE0EE19radix_bits_per_passE:
	.long	8                               ; 0x8
	.size	_ZN7rocprim17ROCPRIM_400000_NS16block_radix_sortIiLj256ELj1ElLj1ELj1ELj8ELNS0_26block_radix_rank_algorithmE2ELNS0_18block_padding_hintE2ELNS0_4arch9wavefront6targetE0EE19radix_bits_per_passE, 4

	.protected	_ZN7rocprim17ROCPRIM_400000_NS16block_radix_sortIiLj256ELj2ElLj1ELj1ELj8ELNS0_26block_radix_rank_algorithmE2ELNS0_18block_padding_hintE2ELNS0_4arch9wavefront6targetE0EE19radix_bits_per_passE ; @_ZN7rocprim17ROCPRIM_400000_NS16block_radix_sortIiLj256ELj2ElLj1ELj1ELj8ELNS0_26block_radix_rank_algorithmE2ELNS0_18block_padding_hintE2ELNS0_4arch9wavefront6targetE0EE19radix_bits_per_passE
	.type	_ZN7rocprim17ROCPRIM_400000_NS16block_radix_sortIiLj256ELj2ElLj1ELj1ELj8ELNS0_26block_radix_rank_algorithmE2ELNS0_18block_padding_hintE2ELNS0_4arch9wavefront6targetE0EE19radix_bits_per_passE,@object
	.section	.rodata._ZN7rocprim17ROCPRIM_400000_NS16block_radix_sortIiLj256ELj2ElLj1ELj1ELj8ELNS0_26block_radix_rank_algorithmE2ELNS0_18block_padding_hintE2ELNS0_4arch9wavefront6targetE0EE19radix_bits_per_passE,"aG",@progbits,_ZN7rocprim17ROCPRIM_400000_NS16block_radix_sortIiLj256ELj2ElLj1ELj1ELj8ELNS0_26block_radix_rank_algorithmE2ELNS0_18block_padding_hintE2ELNS0_4arch9wavefront6targetE0EE19radix_bits_per_passE,comdat
	.weak	_ZN7rocprim17ROCPRIM_400000_NS16block_radix_sortIiLj256ELj2ElLj1ELj1ELj8ELNS0_26block_radix_rank_algorithmE2ELNS0_18block_padding_hintE2ELNS0_4arch9wavefront6targetE0EE19radix_bits_per_passE
	.p2align	2, 0x0
_ZN7rocprim17ROCPRIM_400000_NS16block_radix_sortIiLj256ELj2ElLj1ELj1ELj8ELNS0_26block_radix_rank_algorithmE2ELNS0_18block_padding_hintE2ELNS0_4arch9wavefront6targetE0EE19radix_bits_per_passE:
	.long	8                               ; 0x8
	.size	_ZN7rocprim17ROCPRIM_400000_NS16block_radix_sortIiLj256ELj2ElLj1ELj1ELj8ELNS0_26block_radix_rank_algorithmE2ELNS0_18block_padding_hintE2ELNS0_4arch9wavefront6targetE0EE19radix_bits_per_passE, 4

	.protected	_ZN7rocprim17ROCPRIM_400000_NS16block_radix_sortIiLj256ELj4ElLj1ELj1ELj8ELNS0_26block_radix_rank_algorithmE2ELNS0_18block_padding_hintE2ELNS0_4arch9wavefront6targetE0EE19radix_bits_per_passE ; @_ZN7rocprim17ROCPRIM_400000_NS16block_radix_sortIiLj256ELj4ElLj1ELj1ELj8ELNS0_26block_radix_rank_algorithmE2ELNS0_18block_padding_hintE2ELNS0_4arch9wavefront6targetE0EE19radix_bits_per_passE
	.type	_ZN7rocprim17ROCPRIM_400000_NS16block_radix_sortIiLj256ELj4ElLj1ELj1ELj8ELNS0_26block_radix_rank_algorithmE2ELNS0_18block_padding_hintE2ELNS0_4arch9wavefront6targetE0EE19radix_bits_per_passE,@object
	.section	.rodata._ZN7rocprim17ROCPRIM_400000_NS16block_radix_sortIiLj256ELj4ElLj1ELj1ELj8ELNS0_26block_radix_rank_algorithmE2ELNS0_18block_padding_hintE2ELNS0_4arch9wavefront6targetE0EE19radix_bits_per_passE,"aG",@progbits,_ZN7rocprim17ROCPRIM_400000_NS16block_radix_sortIiLj256ELj4ElLj1ELj1ELj8ELNS0_26block_radix_rank_algorithmE2ELNS0_18block_padding_hintE2ELNS0_4arch9wavefront6targetE0EE19radix_bits_per_passE,comdat
	.weak	_ZN7rocprim17ROCPRIM_400000_NS16block_radix_sortIiLj256ELj4ElLj1ELj1ELj8ELNS0_26block_radix_rank_algorithmE2ELNS0_18block_padding_hintE2ELNS0_4arch9wavefront6targetE0EE19radix_bits_per_passE
	.p2align	2, 0x0
_ZN7rocprim17ROCPRIM_400000_NS16block_radix_sortIiLj256ELj4ElLj1ELj1ELj8ELNS0_26block_radix_rank_algorithmE2ELNS0_18block_padding_hintE2ELNS0_4arch9wavefront6targetE0EE19radix_bits_per_passE:
	.long	8                               ; 0x8
	.size	_ZN7rocprim17ROCPRIM_400000_NS16block_radix_sortIiLj256ELj4ElLj1ELj1ELj8ELNS0_26block_radix_rank_algorithmE2ELNS0_18block_padding_hintE2ELNS0_4arch9wavefront6targetE0EE19radix_bits_per_passE, 4

	.protected	_ZN7rocprim17ROCPRIM_400000_NS16block_radix_sortIiLj256ELj8ElLj1ELj1ELj8ELNS0_26block_radix_rank_algorithmE2ELNS0_18block_padding_hintE2ELNS0_4arch9wavefront6targetE0EE19radix_bits_per_passE ; @_ZN7rocprim17ROCPRIM_400000_NS16block_radix_sortIiLj256ELj8ElLj1ELj1ELj8ELNS0_26block_radix_rank_algorithmE2ELNS0_18block_padding_hintE2ELNS0_4arch9wavefront6targetE0EE19radix_bits_per_passE
	.type	_ZN7rocprim17ROCPRIM_400000_NS16block_radix_sortIiLj256ELj8ElLj1ELj1ELj8ELNS0_26block_radix_rank_algorithmE2ELNS0_18block_padding_hintE2ELNS0_4arch9wavefront6targetE0EE19radix_bits_per_passE,@object
	.section	.rodata._ZN7rocprim17ROCPRIM_400000_NS16block_radix_sortIiLj256ELj8ElLj1ELj1ELj8ELNS0_26block_radix_rank_algorithmE2ELNS0_18block_padding_hintE2ELNS0_4arch9wavefront6targetE0EE19radix_bits_per_passE,"aG",@progbits,_ZN7rocprim17ROCPRIM_400000_NS16block_radix_sortIiLj256ELj8ElLj1ELj1ELj8ELNS0_26block_radix_rank_algorithmE2ELNS0_18block_padding_hintE2ELNS0_4arch9wavefront6targetE0EE19radix_bits_per_passE,comdat
	.weak	_ZN7rocprim17ROCPRIM_400000_NS16block_radix_sortIiLj256ELj8ElLj1ELj1ELj8ELNS0_26block_radix_rank_algorithmE2ELNS0_18block_padding_hintE2ELNS0_4arch9wavefront6targetE0EE19radix_bits_per_passE
	.p2align	2, 0x0
_ZN7rocprim17ROCPRIM_400000_NS16block_radix_sortIiLj256ELj8ElLj1ELj1ELj8ELNS0_26block_radix_rank_algorithmE2ELNS0_18block_padding_hintE2ELNS0_4arch9wavefront6targetE0EE19radix_bits_per_passE:
	.long	8                               ; 0x8
	.size	_ZN7rocprim17ROCPRIM_400000_NS16block_radix_sortIiLj256ELj8ElLj1ELj1ELj8ELNS0_26block_radix_rank_algorithmE2ELNS0_18block_padding_hintE2ELNS0_4arch9wavefront6targetE0EE19radix_bits_per_passE, 4

	.protected	_ZN7rocprim17ROCPRIM_400000_NS16block_radix_sortIiLj256ELj17ElLj1ELj1ELj8ELNS0_26block_radix_rank_algorithmE2ELNS0_18block_padding_hintE2ELNS0_4arch9wavefront6targetE0EE19radix_bits_per_passE ; @_ZN7rocprim17ROCPRIM_400000_NS16block_radix_sortIiLj256ELj17ElLj1ELj1ELj8ELNS0_26block_radix_rank_algorithmE2ELNS0_18block_padding_hintE2ELNS0_4arch9wavefront6targetE0EE19radix_bits_per_passE
	.type	_ZN7rocprim17ROCPRIM_400000_NS16block_radix_sortIiLj256ELj17ElLj1ELj1ELj8ELNS0_26block_radix_rank_algorithmE2ELNS0_18block_padding_hintE2ELNS0_4arch9wavefront6targetE0EE19radix_bits_per_passE,@object
	.section	.rodata._ZN7rocprim17ROCPRIM_400000_NS16block_radix_sortIiLj256ELj17ElLj1ELj1ELj8ELNS0_26block_radix_rank_algorithmE2ELNS0_18block_padding_hintE2ELNS0_4arch9wavefront6targetE0EE19radix_bits_per_passE,"aG",@progbits,_ZN7rocprim17ROCPRIM_400000_NS16block_radix_sortIiLj256ELj17ElLj1ELj1ELj8ELNS0_26block_radix_rank_algorithmE2ELNS0_18block_padding_hintE2ELNS0_4arch9wavefront6targetE0EE19radix_bits_per_passE,comdat
	.weak	_ZN7rocprim17ROCPRIM_400000_NS16block_radix_sortIiLj256ELj17ElLj1ELj1ELj8ELNS0_26block_radix_rank_algorithmE2ELNS0_18block_padding_hintE2ELNS0_4arch9wavefront6targetE0EE19radix_bits_per_passE
	.p2align	2, 0x0
_ZN7rocprim17ROCPRIM_400000_NS16block_radix_sortIiLj256ELj17ElLj1ELj1ELj8ELNS0_26block_radix_rank_algorithmE2ELNS0_18block_padding_hintE2ELNS0_4arch9wavefront6targetE0EE19radix_bits_per_passE:
	.long	8                               ; 0x8
	.size	_ZN7rocprim17ROCPRIM_400000_NS16block_radix_sortIiLj256ELj17ElLj1ELj1ELj8ELNS0_26block_radix_rank_algorithmE2ELNS0_18block_padding_hintE2ELNS0_4arch9wavefront6targetE0EE19radix_bits_per_passE, 4

	.protected	_ZN7rocprim17ROCPRIM_400000_NS16block_radix_sortIlLj256ELj1ElLj1ELj1ELj8ELNS0_26block_radix_rank_algorithmE2ELNS0_18block_padding_hintE2ELNS0_4arch9wavefront6targetE0EE19radix_bits_per_passE ; @_ZN7rocprim17ROCPRIM_400000_NS16block_radix_sortIlLj256ELj1ElLj1ELj1ELj8ELNS0_26block_radix_rank_algorithmE2ELNS0_18block_padding_hintE2ELNS0_4arch9wavefront6targetE0EE19radix_bits_per_passE
	.type	_ZN7rocprim17ROCPRIM_400000_NS16block_radix_sortIlLj256ELj1ElLj1ELj1ELj8ELNS0_26block_radix_rank_algorithmE2ELNS0_18block_padding_hintE2ELNS0_4arch9wavefront6targetE0EE19radix_bits_per_passE,@object
	.section	.rodata._ZN7rocprim17ROCPRIM_400000_NS16block_radix_sortIlLj256ELj1ElLj1ELj1ELj8ELNS0_26block_radix_rank_algorithmE2ELNS0_18block_padding_hintE2ELNS0_4arch9wavefront6targetE0EE19radix_bits_per_passE,"aG",@progbits,_ZN7rocprim17ROCPRIM_400000_NS16block_radix_sortIlLj256ELj1ElLj1ELj1ELj8ELNS0_26block_radix_rank_algorithmE2ELNS0_18block_padding_hintE2ELNS0_4arch9wavefront6targetE0EE19radix_bits_per_passE,comdat
	.weak	_ZN7rocprim17ROCPRIM_400000_NS16block_radix_sortIlLj256ELj1ElLj1ELj1ELj8ELNS0_26block_radix_rank_algorithmE2ELNS0_18block_padding_hintE2ELNS0_4arch9wavefront6targetE0EE19radix_bits_per_passE
	.p2align	2, 0x0
_ZN7rocprim17ROCPRIM_400000_NS16block_radix_sortIlLj256ELj1ElLj1ELj1ELj8ELNS0_26block_radix_rank_algorithmE2ELNS0_18block_padding_hintE2ELNS0_4arch9wavefront6targetE0EE19radix_bits_per_passE:
	.long	8                               ; 0x8
	.size	_ZN7rocprim17ROCPRIM_400000_NS16block_radix_sortIlLj256ELj1ElLj1ELj1ELj8ELNS0_26block_radix_rank_algorithmE2ELNS0_18block_padding_hintE2ELNS0_4arch9wavefront6targetE0EE19radix_bits_per_passE, 4

	.protected	_ZN7rocprim17ROCPRIM_400000_NS16block_radix_sortIlLj256ELj2ElLj1ELj1ELj8ELNS0_26block_radix_rank_algorithmE2ELNS0_18block_padding_hintE2ELNS0_4arch9wavefront6targetE0EE19radix_bits_per_passE ; @_ZN7rocprim17ROCPRIM_400000_NS16block_radix_sortIlLj256ELj2ElLj1ELj1ELj8ELNS0_26block_radix_rank_algorithmE2ELNS0_18block_padding_hintE2ELNS0_4arch9wavefront6targetE0EE19radix_bits_per_passE
	.type	_ZN7rocprim17ROCPRIM_400000_NS16block_radix_sortIlLj256ELj2ElLj1ELj1ELj8ELNS0_26block_radix_rank_algorithmE2ELNS0_18block_padding_hintE2ELNS0_4arch9wavefront6targetE0EE19radix_bits_per_passE,@object
	.section	.rodata._ZN7rocprim17ROCPRIM_400000_NS16block_radix_sortIlLj256ELj2ElLj1ELj1ELj8ELNS0_26block_radix_rank_algorithmE2ELNS0_18block_padding_hintE2ELNS0_4arch9wavefront6targetE0EE19radix_bits_per_passE,"aG",@progbits,_ZN7rocprim17ROCPRIM_400000_NS16block_radix_sortIlLj256ELj2ElLj1ELj1ELj8ELNS0_26block_radix_rank_algorithmE2ELNS0_18block_padding_hintE2ELNS0_4arch9wavefront6targetE0EE19radix_bits_per_passE,comdat
	.weak	_ZN7rocprim17ROCPRIM_400000_NS16block_radix_sortIlLj256ELj2ElLj1ELj1ELj8ELNS0_26block_radix_rank_algorithmE2ELNS0_18block_padding_hintE2ELNS0_4arch9wavefront6targetE0EE19radix_bits_per_passE
	.p2align	2, 0x0
_ZN7rocprim17ROCPRIM_400000_NS16block_radix_sortIlLj256ELj2ElLj1ELj1ELj8ELNS0_26block_radix_rank_algorithmE2ELNS0_18block_padding_hintE2ELNS0_4arch9wavefront6targetE0EE19radix_bits_per_passE:
	.long	8                               ; 0x8
	.size	_ZN7rocprim17ROCPRIM_400000_NS16block_radix_sortIlLj256ELj2ElLj1ELj1ELj8ELNS0_26block_radix_rank_algorithmE2ELNS0_18block_padding_hintE2ELNS0_4arch9wavefront6targetE0EE19radix_bits_per_passE, 4

	.protected	_ZN7rocprim17ROCPRIM_400000_NS16block_radix_sortIlLj256ELj4ElLj1ELj1ELj8ELNS0_26block_radix_rank_algorithmE2ELNS0_18block_padding_hintE2ELNS0_4arch9wavefront6targetE0EE19radix_bits_per_passE ; @_ZN7rocprim17ROCPRIM_400000_NS16block_radix_sortIlLj256ELj4ElLj1ELj1ELj8ELNS0_26block_radix_rank_algorithmE2ELNS0_18block_padding_hintE2ELNS0_4arch9wavefront6targetE0EE19radix_bits_per_passE
	.type	_ZN7rocprim17ROCPRIM_400000_NS16block_radix_sortIlLj256ELj4ElLj1ELj1ELj8ELNS0_26block_radix_rank_algorithmE2ELNS0_18block_padding_hintE2ELNS0_4arch9wavefront6targetE0EE19radix_bits_per_passE,@object
	.section	.rodata._ZN7rocprim17ROCPRIM_400000_NS16block_radix_sortIlLj256ELj4ElLj1ELj1ELj8ELNS0_26block_radix_rank_algorithmE2ELNS0_18block_padding_hintE2ELNS0_4arch9wavefront6targetE0EE19radix_bits_per_passE,"aG",@progbits,_ZN7rocprim17ROCPRIM_400000_NS16block_radix_sortIlLj256ELj4ElLj1ELj1ELj8ELNS0_26block_radix_rank_algorithmE2ELNS0_18block_padding_hintE2ELNS0_4arch9wavefront6targetE0EE19radix_bits_per_passE,comdat
	.weak	_ZN7rocprim17ROCPRIM_400000_NS16block_radix_sortIlLj256ELj4ElLj1ELj1ELj8ELNS0_26block_radix_rank_algorithmE2ELNS0_18block_padding_hintE2ELNS0_4arch9wavefront6targetE0EE19radix_bits_per_passE
	.p2align	2, 0x0
_ZN7rocprim17ROCPRIM_400000_NS16block_radix_sortIlLj256ELj4ElLj1ELj1ELj8ELNS0_26block_radix_rank_algorithmE2ELNS0_18block_padding_hintE2ELNS0_4arch9wavefront6targetE0EE19radix_bits_per_passE:
	.long	8                               ; 0x8
	.size	_ZN7rocprim17ROCPRIM_400000_NS16block_radix_sortIlLj256ELj4ElLj1ELj1ELj8ELNS0_26block_radix_rank_algorithmE2ELNS0_18block_padding_hintE2ELNS0_4arch9wavefront6targetE0EE19radix_bits_per_passE, 4

	.protected	_ZN7rocprim17ROCPRIM_400000_NS16block_radix_sortIlLj256ELj8ElLj1ELj1ELj8ELNS0_26block_radix_rank_algorithmE2ELNS0_18block_padding_hintE2ELNS0_4arch9wavefront6targetE0EE19radix_bits_per_passE ; @_ZN7rocprim17ROCPRIM_400000_NS16block_radix_sortIlLj256ELj8ElLj1ELj1ELj8ELNS0_26block_radix_rank_algorithmE2ELNS0_18block_padding_hintE2ELNS0_4arch9wavefront6targetE0EE19radix_bits_per_passE
	.type	_ZN7rocprim17ROCPRIM_400000_NS16block_radix_sortIlLj256ELj8ElLj1ELj1ELj8ELNS0_26block_radix_rank_algorithmE2ELNS0_18block_padding_hintE2ELNS0_4arch9wavefront6targetE0EE19radix_bits_per_passE,@object
	.section	.rodata._ZN7rocprim17ROCPRIM_400000_NS16block_radix_sortIlLj256ELj8ElLj1ELj1ELj8ELNS0_26block_radix_rank_algorithmE2ELNS0_18block_padding_hintE2ELNS0_4arch9wavefront6targetE0EE19radix_bits_per_passE,"aG",@progbits,_ZN7rocprim17ROCPRIM_400000_NS16block_radix_sortIlLj256ELj8ElLj1ELj1ELj8ELNS0_26block_radix_rank_algorithmE2ELNS0_18block_padding_hintE2ELNS0_4arch9wavefront6targetE0EE19radix_bits_per_passE,comdat
	.weak	_ZN7rocprim17ROCPRIM_400000_NS16block_radix_sortIlLj256ELj8ElLj1ELj1ELj8ELNS0_26block_radix_rank_algorithmE2ELNS0_18block_padding_hintE2ELNS0_4arch9wavefront6targetE0EE19radix_bits_per_passE
	.p2align	2, 0x0
_ZN7rocprim17ROCPRIM_400000_NS16block_radix_sortIlLj256ELj8ElLj1ELj1ELj8ELNS0_26block_radix_rank_algorithmE2ELNS0_18block_padding_hintE2ELNS0_4arch9wavefront6targetE0EE19radix_bits_per_passE:
	.long	8                               ; 0x8
	.size	_ZN7rocprim17ROCPRIM_400000_NS16block_radix_sortIlLj256ELj8ElLj1ELj1ELj8ELNS0_26block_radix_rank_algorithmE2ELNS0_18block_padding_hintE2ELNS0_4arch9wavefront6targetE0EE19radix_bits_per_passE, 4

	.protected	_ZN7rocprim17ROCPRIM_400000_NS16block_radix_sortIlLj256ELj16ElLj1ELj1ELj8ELNS0_26block_radix_rank_algorithmE2ELNS0_18block_padding_hintE2ELNS0_4arch9wavefront6targetE0EE19radix_bits_per_passE ; @_ZN7rocprim17ROCPRIM_400000_NS16block_radix_sortIlLj256ELj16ElLj1ELj1ELj8ELNS0_26block_radix_rank_algorithmE2ELNS0_18block_padding_hintE2ELNS0_4arch9wavefront6targetE0EE19radix_bits_per_passE
	.type	_ZN7rocprim17ROCPRIM_400000_NS16block_radix_sortIlLj256ELj16ElLj1ELj1ELj8ELNS0_26block_radix_rank_algorithmE2ELNS0_18block_padding_hintE2ELNS0_4arch9wavefront6targetE0EE19radix_bits_per_passE,@object
	.section	.rodata._ZN7rocprim17ROCPRIM_400000_NS16block_radix_sortIlLj256ELj16ElLj1ELj1ELj8ELNS0_26block_radix_rank_algorithmE2ELNS0_18block_padding_hintE2ELNS0_4arch9wavefront6targetE0EE19radix_bits_per_passE,"aG",@progbits,_ZN7rocprim17ROCPRIM_400000_NS16block_radix_sortIlLj256ELj16ElLj1ELj1ELj8ELNS0_26block_radix_rank_algorithmE2ELNS0_18block_padding_hintE2ELNS0_4arch9wavefront6targetE0EE19radix_bits_per_passE,comdat
	.weak	_ZN7rocprim17ROCPRIM_400000_NS16block_radix_sortIlLj256ELj16ElLj1ELj1ELj8ELNS0_26block_radix_rank_algorithmE2ELNS0_18block_padding_hintE2ELNS0_4arch9wavefront6targetE0EE19radix_bits_per_passE
	.p2align	2, 0x0
_ZN7rocprim17ROCPRIM_400000_NS16block_radix_sortIlLj256ELj16ElLj1ELj1ELj8ELNS0_26block_radix_rank_algorithmE2ELNS0_18block_padding_hintE2ELNS0_4arch9wavefront6targetE0EE19radix_bits_per_passE:
	.long	8                               ; 0x8
	.size	_ZN7rocprim17ROCPRIM_400000_NS16block_radix_sortIlLj256ELj16ElLj1ELj1ELj8ELNS0_26block_radix_rank_algorithmE2ELNS0_18block_padding_hintE2ELNS0_4arch9wavefront6targetE0EE19radix_bits_per_passE, 4

	.protected	_ZN7rocprim17ROCPRIM_400000_NS16block_radix_sortIsLj256ELj1ElLj1ELj1ELj8ELNS0_26block_radix_rank_algorithmE2ELNS0_18block_padding_hintE2ELNS0_4arch9wavefront6targetE0EE19radix_bits_per_passE ; @_ZN7rocprim17ROCPRIM_400000_NS16block_radix_sortIsLj256ELj1ElLj1ELj1ELj8ELNS0_26block_radix_rank_algorithmE2ELNS0_18block_padding_hintE2ELNS0_4arch9wavefront6targetE0EE19radix_bits_per_passE
	.type	_ZN7rocprim17ROCPRIM_400000_NS16block_radix_sortIsLj256ELj1ElLj1ELj1ELj8ELNS0_26block_radix_rank_algorithmE2ELNS0_18block_padding_hintE2ELNS0_4arch9wavefront6targetE0EE19radix_bits_per_passE,@object
	.section	.rodata._ZN7rocprim17ROCPRIM_400000_NS16block_radix_sortIsLj256ELj1ElLj1ELj1ELj8ELNS0_26block_radix_rank_algorithmE2ELNS0_18block_padding_hintE2ELNS0_4arch9wavefront6targetE0EE19radix_bits_per_passE,"aG",@progbits,_ZN7rocprim17ROCPRIM_400000_NS16block_radix_sortIsLj256ELj1ElLj1ELj1ELj8ELNS0_26block_radix_rank_algorithmE2ELNS0_18block_padding_hintE2ELNS0_4arch9wavefront6targetE0EE19radix_bits_per_passE,comdat
	.weak	_ZN7rocprim17ROCPRIM_400000_NS16block_radix_sortIsLj256ELj1ElLj1ELj1ELj8ELNS0_26block_radix_rank_algorithmE2ELNS0_18block_padding_hintE2ELNS0_4arch9wavefront6targetE0EE19radix_bits_per_passE
	.p2align	2, 0x0
_ZN7rocprim17ROCPRIM_400000_NS16block_radix_sortIsLj256ELj1ElLj1ELj1ELj8ELNS0_26block_radix_rank_algorithmE2ELNS0_18block_padding_hintE2ELNS0_4arch9wavefront6targetE0EE19radix_bits_per_passE:
	.long	8                               ; 0x8
	.size	_ZN7rocprim17ROCPRIM_400000_NS16block_radix_sortIsLj256ELj1ElLj1ELj1ELj8ELNS0_26block_radix_rank_algorithmE2ELNS0_18block_padding_hintE2ELNS0_4arch9wavefront6targetE0EE19radix_bits_per_passE, 4

	.protected	_ZN7rocprim17ROCPRIM_400000_NS16block_radix_sortIsLj256ELj2ElLj1ELj1ELj8ELNS0_26block_radix_rank_algorithmE2ELNS0_18block_padding_hintE2ELNS0_4arch9wavefront6targetE0EE19radix_bits_per_passE ; @_ZN7rocprim17ROCPRIM_400000_NS16block_radix_sortIsLj256ELj2ElLj1ELj1ELj8ELNS0_26block_radix_rank_algorithmE2ELNS0_18block_padding_hintE2ELNS0_4arch9wavefront6targetE0EE19radix_bits_per_passE
	.type	_ZN7rocprim17ROCPRIM_400000_NS16block_radix_sortIsLj256ELj2ElLj1ELj1ELj8ELNS0_26block_radix_rank_algorithmE2ELNS0_18block_padding_hintE2ELNS0_4arch9wavefront6targetE0EE19radix_bits_per_passE,@object
	.section	.rodata._ZN7rocprim17ROCPRIM_400000_NS16block_radix_sortIsLj256ELj2ElLj1ELj1ELj8ELNS0_26block_radix_rank_algorithmE2ELNS0_18block_padding_hintE2ELNS0_4arch9wavefront6targetE0EE19radix_bits_per_passE,"aG",@progbits,_ZN7rocprim17ROCPRIM_400000_NS16block_radix_sortIsLj256ELj2ElLj1ELj1ELj8ELNS0_26block_radix_rank_algorithmE2ELNS0_18block_padding_hintE2ELNS0_4arch9wavefront6targetE0EE19radix_bits_per_passE,comdat
	.weak	_ZN7rocprim17ROCPRIM_400000_NS16block_radix_sortIsLj256ELj2ElLj1ELj1ELj8ELNS0_26block_radix_rank_algorithmE2ELNS0_18block_padding_hintE2ELNS0_4arch9wavefront6targetE0EE19radix_bits_per_passE
	.p2align	2, 0x0
_ZN7rocprim17ROCPRIM_400000_NS16block_radix_sortIsLj256ELj2ElLj1ELj1ELj8ELNS0_26block_radix_rank_algorithmE2ELNS0_18block_padding_hintE2ELNS0_4arch9wavefront6targetE0EE19radix_bits_per_passE:
	.long	8                               ; 0x8
	.size	_ZN7rocprim17ROCPRIM_400000_NS16block_radix_sortIsLj256ELj2ElLj1ELj1ELj8ELNS0_26block_radix_rank_algorithmE2ELNS0_18block_padding_hintE2ELNS0_4arch9wavefront6targetE0EE19radix_bits_per_passE, 4

	.protected	_ZN7rocprim17ROCPRIM_400000_NS16block_radix_sortIsLj256ELj4ElLj1ELj1ELj8ELNS0_26block_radix_rank_algorithmE2ELNS0_18block_padding_hintE2ELNS0_4arch9wavefront6targetE0EE19radix_bits_per_passE ; @_ZN7rocprim17ROCPRIM_400000_NS16block_radix_sortIsLj256ELj4ElLj1ELj1ELj8ELNS0_26block_radix_rank_algorithmE2ELNS0_18block_padding_hintE2ELNS0_4arch9wavefront6targetE0EE19radix_bits_per_passE
	.type	_ZN7rocprim17ROCPRIM_400000_NS16block_radix_sortIsLj256ELj4ElLj1ELj1ELj8ELNS0_26block_radix_rank_algorithmE2ELNS0_18block_padding_hintE2ELNS0_4arch9wavefront6targetE0EE19radix_bits_per_passE,@object
	.section	.rodata._ZN7rocprim17ROCPRIM_400000_NS16block_radix_sortIsLj256ELj4ElLj1ELj1ELj8ELNS0_26block_radix_rank_algorithmE2ELNS0_18block_padding_hintE2ELNS0_4arch9wavefront6targetE0EE19radix_bits_per_passE,"aG",@progbits,_ZN7rocprim17ROCPRIM_400000_NS16block_radix_sortIsLj256ELj4ElLj1ELj1ELj8ELNS0_26block_radix_rank_algorithmE2ELNS0_18block_padding_hintE2ELNS0_4arch9wavefront6targetE0EE19radix_bits_per_passE,comdat
	.weak	_ZN7rocprim17ROCPRIM_400000_NS16block_radix_sortIsLj256ELj4ElLj1ELj1ELj8ELNS0_26block_radix_rank_algorithmE2ELNS0_18block_padding_hintE2ELNS0_4arch9wavefront6targetE0EE19radix_bits_per_passE
	.p2align	2, 0x0
_ZN7rocprim17ROCPRIM_400000_NS16block_radix_sortIsLj256ELj4ElLj1ELj1ELj8ELNS0_26block_radix_rank_algorithmE2ELNS0_18block_padding_hintE2ELNS0_4arch9wavefront6targetE0EE19radix_bits_per_passE:
	.long	8                               ; 0x8
	.size	_ZN7rocprim17ROCPRIM_400000_NS16block_radix_sortIsLj256ELj4ElLj1ELj1ELj8ELNS0_26block_radix_rank_algorithmE2ELNS0_18block_padding_hintE2ELNS0_4arch9wavefront6targetE0EE19radix_bits_per_passE, 4

	.protected	_ZN7rocprim17ROCPRIM_400000_NS16block_radix_sortIsLj256ELj8ElLj1ELj1ELj8ELNS0_26block_radix_rank_algorithmE2ELNS0_18block_padding_hintE2ELNS0_4arch9wavefront6targetE0EE19radix_bits_per_passE ; @_ZN7rocprim17ROCPRIM_400000_NS16block_radix_sortIsLj256ELj8ElLj1ELj1ELj8ELNS0_26block_radix_rank_algorithmE2ELNS0_18block_padding_hintE2ELNS0_4arch9wavefront6targetE0EE19radix_bits_per_passE
	.type	_ZN7rocprim17ROCPRIM_400000_NS16block_radix_sortIsLj256ELj8ElLj1ELj1ELj8ELNS0_26block_radix_rank_algorithmE2ELNS0_18block_padding_hintE2ELNS0_4arch9wavefront6targetE0EE19radix_bits_per_passE,@object
	.section	.rodata._ZN7rocprim17ROCPRIM_400000_NS16block_radix_sortIsLj256ELj8ElLj1ELj1ELj8ELNS0_26block_radix_rank_algorithmE2ELNS0_18block_padding_hintE2ELNS0_4arch9wavefront6targetE0EE19radix_bits_per_passE,"aG",@progbits,_ZN7rocprim17ROCPRIM_400000_NS16block_radix_sortIsLj256ELj8ElLj1ELj1ELj8ELNS0_26block_radix_rank_algorithmE2ELNS0_18block_padding_hintE2ELNS0_4arch9wavefront6targetE0EE19radix_bits_per_passE,comdat
	.weak	_ZN7rocprim17ROCPRIM_400000_NS16block_radix_sortIsLj256ELj8ElLj1ELj1ELj8ELNS0_26block_radix_rank_algorithmE2ELNS0_18block_padding_hintE2ELNS0_4arch9wavefront6targetE0EE19radix_bits_per_passE
	.p2align	2, 0x0
_ZN7rocprim17ROCPRIM_400000_NS16block_radix_sortIsLj256ELj8ElLj1ELj1ELj8ELNS0_26block_radix_rank_algorithmE2ELNS0_18block_padding_hintE2ELNS0_4arch9wavefront6targetE0EE19radix_bits_per_passE:
	.long	8                               ; 0x8
	.size	_ZN7rocprim17ROCPRIM_400000_NS16block_radix_sortIsLj256ELj8ElLj1ELj1ELj8ELNS0_26block_radix_rank_algorithmE2ELNS0_18block_padding_hintE2ELNS0_4arch9wavefront6targetE0EE19radix_bits_per_passE, 4

	.protected	_ZN7rocprim17ROCPRIM_400000_NS16block_radix_sortIsLj256ELj17ElLj1ELj1ELj8ELNS0_26block_radix_rank_algorithmE2ELNS0_18block_padding_hintE2ELNS0_4arch9wavefront6targetE0EE19radix_bits_per_passE ; @_ZN7rocprim17ROCPRIM_400000_NS16block_radix_sortIsLj256ELj17ElLj1ELj1ELj8ELNS0_26block_radix_rank_algorithmE2ELNS0_18block_padding_hintE2ELNS0_4arch9wavefront6targetE0EE19radix_bits_per_passE
	.type	_ZN7rocprim17ROCPRIM_400000_NS16block_radix_sortIsLj256ELj17ElLj1ELj1ELj8ELNS0_26block_radix_rank_algorithmE2ELNS0_18block_padding_hintE2ELNS0_4arch9wavefront6targetE0EE19radix_bits_per_passE,@object
	.section	.rodata._ZN7rocprim17ROCPRIM_400000_NS16block_radix_sortIsLj256ELj17ElLj1ELj1ELj8ELNS0_26block_radix_rank_algorithmE2ELNS0_18block_padding_hintE2ELNS0_4arch9wavefront6targetE0EE19radix_bits_per_passE,"aG",@progbits,_ZN7rocprim17ROCPRIM_400000_NS16block_radix_sortIsLj256ELj17ElLj1ELj1ELj8ELNS0_26block_radix_rank_algorithmE2ELNS0_18block_padding_hintE2ELNS0_4arch9wavefront6targetE0EE19radix_bits_per_passE,comdat
	.weak	_ZN7rocprim17ROCPRIM_400000_NS16block_radix_sortIsLj256ELj17ElLj1ELj1ELj8ELNS0_26block_radix_rank_algorithmE2ELNS0_18block_padding_hintE2ELNS0_4arch9wavefront6targetE0EE19radix_bits_per_passE
	.p2align	2, 0x0
_ZN7rocprim17ROCPRIM_400000_NS16block_radix_sortIsLj256ELj17ElLj1ELj1ELj8ELNS0_26block_radix_rank_algorithmE2ELNS0_18block_padding_hintE2ELNS0_4arch9wavefront6targetE0EE19radix_bits_per_passE:
	.long	8                               ; 0x8
	.size	_ZN7rocprim17ROCPRIM_400000_NS16block_radix_sortIsLj256ELj17ElLj1ELj1ELj8ELNS0_26block_radix_rank_algorithmE2ELNS0_18block_padding_hintE2ELNS0_4arch9wavefront6targetE0EE19radix_bits_per_passE, 4

	.protected	_ZN7rocprim17ROCPRIM_400000_NS16block_radix_sortIdLj256ELj1ElLj1ELj1ELj8ELNS0_26block_radix_rank_algorithmE2ELNS0_18block_padding_hintE2ELNS0_4arch9wavefront6targetE0EE19radix_bits_per_passE ; @_ZN7rocprim17ROCPRIM_400000_NS16block_radix_sortIdLj256ELj1ElLj1ELj1ELj8ELNS0_26block_radix_rank_algorithmE2ELNS0_18block_padding_hintE2ELNS0_4arch9wavefront6targetE0EE19radix_bits_per_passE
	.type	_ZN7rocprim17ROCPRIM_400000_NS16block_radix_sortIdLj256ELj1ElLj1ELj1ELj8ELNS0_26block_radix_rank_algorithmE2ELNS0_18block_padding_hintE2ELNS0_4arch9wavefront6targetE0EE19radix_bits_per_passE,@object
	.section	.rodata._ZN7rocprim17ROCPRIM_400000_NS16block_radix_sortIdLj256ELj1ElLj1ELj1ELj8ELNS0_26block_radix_rank_algorithmE2ELNS0_18block_padding_hintE2ELNS0_4arch9wavefront6targetE0EE19radix_bits_per_passE,"aG",@progbits,_ZN7rocprim17ROCPRIM_400000_NS16block_radix_sortIdLj256ELj1ElLj1ELj1ELj8ELNS0_26block_radix_rank_algorithmE2ELNS0_18block_padding_hintE2ELNS0_4arch9wavefront6targetE0EE19radix_bits_per_passE,comdat
	.weak	_ZN7rocprim17ROCPRIM_400000_NS16block_radix_sortIdLj256ELj1ElLj1ELj1ELj8ELNS0_26block_radix_rank_algorithmE2ELNS0_18block_padding_hintE2ELNS0_4arch9wavefront6targetE0EE19radix_bits_per_passE
	.p2align	2, 0x0
_ZN7rocprim17ROCPRIM_400000_NS16block_radix_sortIdLj256ELj1ElLj1ELj1ELj8ELNS0_26block_radix_rank_algorithmE2ELNS0_18block_padding_hintE2ELNS0_4arch9wavefront6targetE0EE19radix_bits_per_passE:
	.long	8                               ; 0x8
	.size	_ZN7rocprim17ROCPRIM_400000_NS16block_radix_sortIdLj256ELj1ElLj1ELj1ELj8ELNS0_26block_radix_rank_algorithmE2ELNS0_18block_padding_hintE2ELNS0_4arch9wavefront6targetE0EE19radix_bits_per_passE, 4

	.protected	_ZN7rocprim17ROCPRIM_400000_NS16block_radix_sortIdLj256ELj2ElLj1ELj1ELj8ELNS0_26block_radix_rank_algorithmE2ELNS0_18block_padding_hintE2ELNS0_4arch9wavefront6targetE0EE19radix_bits_per_passE ; @_ZN7rocprim17ROCPRIM_400000_NS16block_radix_sortIdLj256ELj2ElLj1ELj1ELj8ELNS0_26block_radix_rank_algorithmE2ELNS0_18block_padding_hintE2ELNS0_4arch9wavefront6targetE0EE19radix_bits_per_passE
	.type	_ZN7rocprim17ROCPRIM_400000_NS16block_radix_sortIdLj256ELj2ElLj1ELj1ELj8ELNS0_26block_radix_rank_algorithmE2ELNS0_18block_padding_hintE2ELNS0_4arch9wavefront6targetE0EE19radix_bits_per_passE,@object
	.section	.rodata._ZN7rocprim17ROCPRIM_400000_NS16block_radix_sortIdLj256ELj2ElLj1ELj1ELj8ELNS0_26block_radix_rank_algorithmE2ELNS0_18block_padding_hintE2ELNS0_4arch9wavefront6targetE0EE19radix_bits_per_passE,"aG",@progbits,_ZN7rocprim17ROCPRIM_400000_NS16block_radix_sortIdLj256ELj2ElLj1ELj1ELj8ELNS0_26block_radix_rank_algorithmE2ELNS0_18block_padding_hintE2ELNS0_4arch9wavefront6targetE0EE19radix_bits_per_passE,comdat
	.weak	_ZN7rocprim17ROCPRIM_400000_NS16block_radix_sortIdLj256ELj2ElLj1ELj1ELj8ELNS0_26block_radix_rank_algorithmE2ELNS0_18block_padding_hintE2ELNS0_4arch9wavefront6targetE0EE19radix_bits_per_passE
	.p2align	2, 0x0
_ZN7rocprim17ROCPRIM_400000_NS16block_radix_sortIdLj256ELj2ElLj1ELj1ELj8ELNS0_26block_radix_rank_algorithmE2ELNS0_18block_padding_hintE2ELNS0_4arch9wavefront6targetE0EE19radix_bits_per_passE:
	.long	8                               ; 0x8
	.size	_ZN7rocprim17ROCPRIM_400000_NS16block_radix_sortIdLj256ELj2ElLj1ELj1ELj8ELNS0_26block_radix_rank_algorithmE2ELNS0_18block_padding_hintE2ELNS0_4arch9wavefront6targetE0EE19radix_bits_per_passE, 4

	.protected	_ZN7rocprim17ROCPRIM_400000_NS16block_radix_sortIdLj256ELj4ElLj1ELj1ELj8ELNS0_26block_radix_rank_algorithmE2ELNS0_18block_padding_hintE2ELNS0_4arch9wavefront6targetE0EE19radix_bits_per_passE ; @_ZN7rocprim17ROCPRIM_400000_NS16block_radix_sortIdLj256ELj4ElLj1ELj1ELj8ELNS0_26block_radix_rank_algorithmE2ELNS0_18block_padding_hintE2ELNS0_4arch9wavefront6targetE0EE19radix_bits_per_passE
	.type	_ZN7rocprim17ROCPRIM_400000_NS16block_radix_sortIdLj256ELj4ElLj1ELj1ELj8ELNS0_26block_radix_rank_algorithmE2ELNS0_18block_padding_hintE2ELNS0_4arch9wavefront6targetE0EE19radix_bits_per_passE,@object
	.section	.rodata._ZN7rocprim17ROCPRIM_400000_NS16block_radix_sortIdLj256ELj4ElLj1ELj1ELj8ELNS0_26block_radix_rank_algorithmE2ELNS0_18block_padding_hintE2ELNS0_4arch9wavefront6targetE0EE19radix_bits_per_passE,"aG",@progbits,_ZN7rocprim17ROCPRIM_400000_NS16block_radix_sortIdLj256ELj4ElLj1ELj1ELj8ELNS0_26block_radix_rank_algorithmE2ELNS0_18block_padding_hintE2ELNS0_4arch9wavefront6targetE0EE19radix_bits_per_passE,comdat
	.weak	_ZN7rocprim17ROCPRIM_400000_NS16block_radix_sortIdLj256ELj4ElLj1ELj1ELj8ELNS0_26block_radix_rank_algorithmE2ELNS0_18block_padding_hintE2ELNS0_4arch9wavefront6targetE0EE19radix_bits_per_passE
	.p2align	2, 0x0
_ZN7rocprim17ROCPRIM_400000_NS16block_radix_sortIdLj256ELj4ElLj1ELj1ELj8ELNS0_26block_radix_rank_algorithmE2ELNS0_18block_padding_hintE2ELNS0_4arch9wavefront6targetE0EE19radix_bits_per_passE:
	.long	8                               ; 0x8
	.size	_ZN7rocprim17ROCPRIM_400000_NS16block_radix_sortIdLj256ELj4ElLj1ELj1ELj8ELNS0_26block_radix_rank_algorithmE2ELNS0_18block_padding_hintE2ELNS0_4arch9wavefront6targetE0EE19radix_bits_per_passE, 4

	.protected	_ZN7rocprim17ROCPRIM_400000_NS16block_radix_sortIdLj256ELj8ElLj1ELj1ELj8ELNS0_26block_radix_rank_algorithmE2ELNS0_18block_padding_hintE2ELNS0_4arch9wavefront6targetE0EE19radix_bits_per_passE ; @_ZN7rocprim17ROCPRIM_400000_NS16block_radix_sortIdLj256ELj8ElLj1ELj1ELj8ELNS0_26block_radix_rank_algorithmE2ELNS0_18block_padding_hintE2ELNS0_4arch9wavefront6targetE0EE19radix_bits_per_passE
	.type	_ZN7rocprim17ROCPRIM_400000_NS16block_radix_sortIdLj256ELj8ElLj1ELj1ELj8ELNS0_26block_radix_rank_algorithmE2ELNS0_18block_padding_hintE2ELNS0_4arch9wavefront6targetE0EE19radix_bits_per_passE,@object
	.section	.rodata._ZN7rocprim17ROCPRIM_400000_NS16block_radix_sortIdLj256ELj8ElLj1ELj1ELj8ELNS0_26block_radix_rank_algorithmE2ELNS0_18block_padding_hintE2ELNS0_4arch9wavefront6targetE0EE19radix_bits_per_passE,"aG",@progbits,_ZN7rocprim17ROCPRIM_400000_NS16block_radix_sortIdLj256ELj8ElLj1ELj1ELj8ELNS0_26block_radix_rank_algorithmE2ELNS0_18block_padding_hintE2ELNS0_4arch9wavefront6targetE0EE19radix_bits_per_passE,comdat
	.weak	_ZN7rocprim17ROCPRIM_400000_NS16block_radix_sortIdLj256ELj8ElLj1ELj1ELj8ELNS0_26block_radix_rank_algorithmE2ELNS0_18block_padding_hintE2ELNS0_4arch9wavefront6targetE0EE19radix_bits_per_passE
	.p2align	2, 0x0
_ZN7rocprim17ROCPRIM_400000_NS16block_radix_sortIdLj256ELj8ElLj1ELj1ELj8ELNS0_26block_radix_rank_algorithmE2ELNS0_18block_padding_hintE2ELNS0_4arch9wavefront6targetE0EE19radix_bits_per_passE:
	.long	8                               ; 0x8
	.size	_ZN7rocprim17ROCPRIM_400000_NS16block_radix_sortIdLj256ELj8ElLj1ELj1ELj8ELNS0_26block_radix_rank_algorithmE2ELNS0_18block_padding_hintE2ELNS0_4arch9wavefront6targetE0EE19radix_bits_per_passE, 4

	.protected	_ZN7rocprim17ROCPRIM_400000_NS16block_radix_sortIdLj256ELj16ElLj1ELj1ELj8ELNS0_26block_radix_rank_algorithmE2ELNS0_18block_padding_hintE2ELNS0_4arch9wavefront6targetE0EE19radix_bits_per_passE ; @_ZN7rocprim17ROCPRIM_400000_NS16block_radix_sortIdLj256ELj16ElLj1ELj1ELj8ELNS0_26block_radix_rank_algorithmE2ELNS0_18block_padding_hintE2ELNS0_4arch9wavefront6targetE0EE19radix_bits_per_passE
	.type	_ZN7rocprim17ROCPRIM_400000_NS16block_radix_sortIdLj256ELj16ElLj1ELj1ELj8ELNS0_26block_radix_rank_algorithmE2ELNS0_18block_padding_hintE2ELNS0_4arch9wavefront6targetE0EE19radix_bits_per_passE,@object
	.section	.rodata._ZN7rocprim17ROCPRIM_400000_NS16block_radix_sortIdLj256ELj16ElLj1ELj1ELj8ELNS0_26block_radix_rank_algorithmE2ELNS0_18block_padding_hintE2ELNS0_4arch9wavefront6targetE0EE19radix_bits_per_passE,"aG",@progbits,_ZN7rocprim17ROCPRIM_400000_NS16block_radix_sortIdLj256ELj16ElLj1ELj1ELj8ELNS0_26block_radix_rank_algorithmE2ELNS0_18block_padding_hintE2ELNS0_4arch9wavefront6targetE0EE19radix_bits_per_passE,comdat
	.weak	_ZN7rocprim17ROCPRIM_400000_NS16block_radix_sortIdLj256ELj16ElLj1ELj1ELj8ELNS0_26block_radix_rank_algorithmE2ELNS0_18block_padding_hintE2ELNS0_4arch9wavefront6targetE0EE19radix_bits_per_passE
	.p2align	2, 0x0
_ZN7rocprim17ROCPRIM_400000_NS16block_radix_sortIdLj256ELj16ElLj1ELj1ELj8ELNS0_26block_radix_rank_algorithmE2ELNS0_18block_padding_hintE2ELNS0_4arch9wavefront6targetE0EE19radix_bits_per_passE:
	.long	8                               ; 0x8
	.size	_ZN7rocprim17ROCPRIM_400000_NS16block_radix_sortIdLj256ELj16ElLj1ELj1ELj8ELNS0_26block_radix_rank_algorithmE2ELNS0_18block_padding_hintE2ELNS0_4arch9wavefront6targetE0EE19radix_bits_per_passE, 4

	.protected	_ZN7rocprim17ROCPRIM_400000_NS16block_radix_sortIfLj256ELj1ElLj1ELj1ELj8ELNS0_26block_radix_rank_algorithmE2ELNS0_18block_padding_hintE2ELNS0_4arch9wavefront6targetE0EE19radix_bits_per_passE ; @_ZN7rocprim17ROCPRIM_400000_NS16block_radix_sortIfLj256ELj1ElLj1ELj1ELj8ELNS0_26block_radix_rank_algorithmE2ELNS0_18block_padding_hintE2ELNS0_4arch9wavefront6targetE0EE19radix_bits_per_passE
	.type	_ZN7rocprim17ROCPRIM_400000_NS16block_radix_sortIfLj256ELj1ElLj1ELj1ELj8ELNS0_26block_radix_rank_algorithmE2ELNS0_18block_padding_hintE2ELNS0_4arch9wavefront6targetE0EE19radix_bits_per_passE,@object
	.section	.rodata._ZN7rocprim17ROCPRIM_400000_NS16block_radix_sortIfLj256ELj1ElLj1ELj1ELj8ELNS0_26block_radix_rank_algorithmE2ELNS0_18block_padding_hintE2ELNS0_4arch9wavefront6targetE0EE19radix_bits_per_passE,"aG",@progbits,_ZN7rocprim17ROCPRIM_400000_NS16block_radix_sortIfLj256ELj1ElLj1ELj1ELj8ELNS0_26block_radix_rank_algorithmE2ELNS0_18block_padding_hintE2ELNS0_4arch9wavefront6targetE0EE19radix_bits_per_passE,comdat
	.weak	_ZN7rocprim17ROCPRIM_400000_NS16block_radix_sortIfLj256ELj1ElLj1ELj1ELj8ELNS0_26block_radix_rank_algorithmE2ELNS0_18block_padding_hintE2ELNS0_4arch9wavefront6targetE0EE19radix_bits_per_passE
	.p2align	2, 0x0
_ZN7rocprim17ROCPRIM_400000_NS16block_radix_sortIfLj256ELj1ElLj1ELj1ELj8ELNS0_26block_radix_rank_algorithmE2ELNS0_18block_padding_hintE2ELNS0_4arch9wavefront6targetE0EE19radix_bits_per_passE:
	.long	8                               ; 0x8
	.size	_ZN7rocprim17ROCPRIM_400000_NS16block_radix_sortIfLj256ELj1ElLj1ELj1ELj8ELNS0_26block_radix_rank_algorithmE2ELNS0_18block_padding_hintE2ELNS0_4arch9wavefront6targetE0EE19radix_bits_per_passE, 4

	.protected	_ZN7rocprim17ROCPRIM_400000_NS16block_radix_sortIfLj256ELj2ElLj1ELj1ELj8ELNS0_26block_radix_rank_algorithmE2ELNS0_18block_padding_hintE2ELNS0_4arch9wavefront6targetE0EE19radix_bits_per_passE ; @_ZN7rocprim17ROCPRIM_400000_NS16block_radix_sortIfLj256ELj2ElLj1ELj1ELj8ELNS0_26block_radix_rank_algorithmE2ELNS0_18block_padding_hintE2ELNS0_4arch9wavefront6targetE0EE19radix_bits_per_passE
	.type	_ZN7rocprim17ROCPRIM_400000_NS16block_radix_sortIfLj256ELj2ElLj1ELj1ELj8ELNS0_26block_radix_rank_algorithmE2ELNS0_18block_padding_hintE2ELNS0_4arch9wavefront6targetE0EE19radix_bits_per_passE,@object
	.section	.rodata._ZN7rocprim17ROCPRIM_400000_NS16block_radix_sortIfLj256ELj2ElLj1ELj1ELj8ELNS0_26block_radix_rank_algorithmE2ELNS0_18block_padding_hintE2ELNS0_4arch9wavefront6targetE0EE19radix_bits_per_passE,"aG",@progbits,_ZN7rocprim17ROCPRIM_400000_NS16block_radix_sortIfLj256ELj2ElLj1ELj1ELj8ELNS0_26block_radix_rank_algorithmE2ELNS0_18block_padding_hintE2ELNS0_4arch9wavefront6targetE0EE19radix_bits_per_passE,comdat
	.weak	_ZN7rocprim17ROCPRIM_400000_NS16block_radix_sortIfLj256ELj2ElLj1ELj1ELj8ELNS0_26block_radix_rank_algorithmE2ELNS0_18block_padding_hintE2ELNS0_4arch9wavefront6targetE0EE19radix_bits_per_passE
	.p2align	2, 0x0
_ZN7rocprim17ROCPRIM_400000_NS16block_radix_sortIfLj256ELj2ElLj1ELj1ELj8ELNS0_26block_radix_rank_algorithmE2ELNS0_18block_padding_hintE2ELNS0_4arch9wavefront6targetE0EE19radix_bits_per_passE:
	.long	8                               ; 0x8
	.size	_ZN7rocprim17ROCPRIM_400000_NS16block_radix_sortIfLj256ELj2ElLj1ELj1ELj8ELNS0_26block_radix_rank_algorithmE2ELNS0_18block_padding_hintE2ELNS0_4arch9wavefront6targetE0EE19radix_bits_per_passE, 4

	.protected	_ZN7rocprim17ROCPRIM_400000_NS16block_radix_sortIfLj256ELj4ElLj1ELj1ELj8ELNS0_26block_radix_rank_algorithmE2ELNS0_18block_padding_hintE2ELNS0_4arch9wavefront6targetE0EE19radix_bits_per_passE ; @_ZN7rocprim17ROCPRIM_400000_NS16block_radix_sortIfLj256ELj4ElLj1ELj1ELj8ELNS0_26block_radix_rank_algorithmE2ELNS0_18block_padding_hintE2ELNS0_4arch9wavefront6targetE0EE19radix_bits_per_passE
	.type	_ZN7rocprim17ROCPRIM_400000_NS16block_radix_sortIfLj256ELj4ElLj1ELj1ELj8ELNS0_26block_radix_rank_algorithmE2ELNS0_18block_padding_hintE2ELNS0_4arch9wavefront6targetE0EE19radix_bits_per_passE,@object
	.section	.rodata._ZN7rocprim17ROCPRIM_400000_NS16block_radix_sortIfLj256ELj4ElLj1ELj1ELj8ELNS0_26block_radix_rank_algorithmE2ELNS0_18block_padding_hintE2ELNS0_4arch9wavefront6targetE0EE19radix_bits_per_passE,"aG",@progbits,_ZN7rocprim17ROCPRIM_400000_NS16block_radix_sortIfLj256ELj4ElLj1ELj1ELj8ELNS0_26block_radix_rank_algorithmE2ELNS0_18block_padding_hintE2ELNS0_4arch9wavefront6targetE0EE19radix_bits_per_passE,comdat
	.weak	_ZN7rocprim17ROCPRIM_400000_NS16block_radix_sortIfLj256ELj4ElLj1ELj1ELj8ELNS0_26block_radix_rank_algorithmE2ELNS0_18block_padding_hintE2ELNS0_4arch9wavefront6targetE0EE19radix_bits_per_passE
	.p2align	2, 0x0
_ZN7rocprim17ROCPRIM_400000_NS16block_radix_sortIfLj256ELj4ElLj1ELj1ELj8ELNS0_26block_radix_rank_algorithmE2ELNS0_18block_padding_hintE2ELNS0_4arch9wavefront6targetE0EE19radix_bits_per_passE:
	.long	8                               ; 0x8
	.size	_ZN7rocprim17ROCPRIM_400000_NS16block_radix_sortIfLj256ELj4ElLj1ELj1ELj8ELNS0_26block_radix_rank_algorithmE2ELNS0_18block_padding_hintE2ELNS0_4arch9wavefront6targetE0EE19radix_bits_per_passE, 4

	.protected	_ZN7rocprim17ROCPRIM_400000_NS16block_radix_sortIfLj256ELj8ElLj1ELj1ELj8ELNS0_26block_radix_rank_algorithmE2ELNS0_18block_padding_hintE2ELNS0_4arch9wavefront6targetE0EE19radix_bits_per_passE ; @_ZN7rocprim17ROCPRIM_400000_NS16block_radix_sortIfLj256ELj8ElLj1ELj1ELj8ELNS0_26block_radix_rank_algorithmE2ELNS0_18block_padding_hintE2ELNS0_4arch9wavefront6targetE0EE19radix_bits_per_passE
	.type	_ZN7rocprim17ROCPRIM_400000_NS16block_radix_sortIfLj256ELj8ElLj1ELj1ELj8ELNS0_26block_radix_rank_algorithmE2ELNS0_18block_padding_hintE2ELNS0_4arch9wavefront6targetE0EE19radix_bits_per_passE,@object
	.section	.rodata._ZN7rocprim17ROCPRIM_400000_NS16block_radix_sortIfLj256ELj8ElLj1ELj1ELj8ELNS0_26block_radix_rank_algorithmE2ELNS0_18block_padding_hintE2ELNS0_4arch9wavefront6targetE0EE19radix_bits_per_passE,"aG",@progbits,_ZN7rocprim17ROCPRIM_400000_NS16block_radix_sortIfLj256ELj8ElLj1ELj1ELj8ELNS0_26block_radix_rank_algorithmE2ELNS0_18block_padding_hintE2ELNS0_4arch9wavefront6targetE0EE19radix_bits_per_passE,comdat
	.weak	_ZN7rocprim17ROCPRIM_400000_NS16block_radix_sortIfLj256ELj8ElLj1ELj1ELj8ELNS0_26block_radix_rank_algorithmE2ELNS0_18block_padding_hintE2ELNS0_4arch9wavefront6targetE0EE19radix_bits_per_passE
	.p2align	2, 0x0
_ZN7rocprim17ROCPRIM_400000_NS16block_radix_sortIfLj256ELj8ElLj1ELj1ELj8ELNS0_26block_radix_rank_algorithmE2ELNS0_18block_padding_hintE2ELNS0_4arch9wavefront6targetE0EE19radix_bits_per_passE:
	.long	8                               ; 0x8
	.size	_ZN7rocprim17ROCPRIM_400000_NS16block_radix_sortIfLj256ELj8ElLj1ELj1ELj8ELNS0_26block_radix_rank_algorithmE2ELNS0_18block_padding_hintE2ELNS0_4arch9wavefront6targetE0EE19radix_bits_per_passE, 4

	.protected	_ZN7rocprim17ROCPRIM_400000_NS16block_radix_sortIfLj256ELj16ElLj1ELj1ELj8ELNS0_26block_radix_rank_algorithmE2ELNS0_18block_padding_hintE2ELNS0_4arch9wavefront6targetE0EE19radix_bits_per_passE ; @_ZN7rocprim17ROCPRIM_400000_NS16block_radix_sortIfLj256ELj16ElLj1ELj1ELj8ELNS0_26block_radix_rank_algorithmE2ELNS0_18block_padding_hintE2ELNS0_4arch9wavefront6targetE0EE19radix_bits_per_passE
	.type	_ZN7rocprim17ROCPRIM_400000_NS16block_radix_sortIfLj256ELj16ElLj1ELj1ELj8ELNS0_26block_radix_rank_algorithmE2ELNS0_18block_padding_hintE2ELNS0_4arch9wavefront6targetE0EE19radix_bits_per_passE,@object
	.section	.rodata._ZN7rocprim17ROCPRIM_400000_NS16block_radix_sortIfLj256ELj16ElLj1ELj1ELj8ELNS0_26block_radix_rank_algorithmE2ELNS0_18block_padding_hintE2ELNS0_4arch9wavefront6targetE0EE19radix_bits_per_passE,"aG",@progbits,_ZN7rocprim17ROCPRIM_400000_NS16block_radix_sortIfLj256ELj16ElLj1ELj1ELj8ELNS0_26block_radix_rank_algorithmE2ELNS0_18block_padding_hintE2ELNS0_4arch9wavefront6targetE0EE19radix_bits_per_passE,comdat
	.weak	_ZN7rocprim17ROCPRIM_400000_NS16block_radix_sortIfLj256ELj16ElLj1ELj1ELj8ELNS0_26block_radix_rank_algorithmE2ELNS0_18block_padding_hintE2ELNS0_4arch9wavefront6targetE0EE19radix_bits_per_passE
	.p2align	2, 0x0
_ZN7rocprim17ROCPRIM_400000_NS16block_radix_sortIfLj256ELj16ElLj1ELj1ELj8ELNS0_26block_radix_rank_algorithmE2ELNS0_18block_padding_hintE2ELNS0_4arch9wavefront6targetE0EE19radix_bits_per_passE:
	.long	8                               ; 0x8
	.size	_ZN7rocprim17ROCPRIM_400000_NS16block_radix_sortIfLj256ELj16ElLj1ELj1ELj8ELNS0_26block_radix_rank_algorithmE2ELNS0_18block_padding_hintE2ELNS0_4arch9wavefront6targetE0EE19radix_bits_per_passE, 4

	.protected	_ZN7rocprim17ROCPRIM_400000_NS16block_radix_sortIbLj256ELj1ElLj1ELj1ELj8ELNS0_26block_radix_rank_algorithmE2ELNS0_18block_padding_hintE2ELNS0_4arch9wavefront6targetE0EE19radix_bits_per_passE ; @_ZN7rocprim17ROCPRIM_400000_NS16block_radix_sortIbLj256ELj1ElLj1ELj1ELj8ELNS0_26block_radix_rank_algorithmE2ELNS0_18block_padding_hintE2ELNS0_4arch9wavefront6targetE0EE19radix_bits_per_passE
	.type	_ZN7rocprim17ROCPRIM_400000_NS16block_radix_sortIbLj256ELj1ElLj1ELj1ELj8ELNS0_26block_radix_rank_algorithmE2ELNS0_18block_padding_hintE2ELNS0_4arch9wavefront6targetE0EE19radix_bits_per_passE,@object
	.section	.rodata._ZN7rocprim17ROCPRIM_400000_NS16block_radix_sortIbLj256ELj1ElLj1ELj1ELj8ELNS0_26block_radix_rank_algorithmE2ELNS0_18block_padding_hintE2ELNS0_4arch9wavefront6targetE0EE19radix_bits_per_passE,"aG",@progbits,_ZN7rocprim17ROCPRIM_400000_NS16block_radix_sortIbLj256ELj1ElLj1ELj1ELj8ELNS0_26block_radix_rank_algorithmE2ELNS0_18block_padding_hintE2ELNS0_4arch9wavefront6targetE0EE19radix_bits_per_passE,comdat
	.weak	_ZN7rocprim17ROCPRIM_400000_NS16block_radix_sortIbLj256ELj1ElLj1ELj1ELj8ELNS0_26block_radix_rank_algorithmE2ELNS0_18block_padding_hintE2ELNS0_4arch9wavefront6targetE0EE19radix_bits_per_passE
	.p2align	2, 0x0
_ZN7rocprim17ROCPRIM_400000_NS16block_radix_sortIbLj256ELj1ElLj1ELj1ELj8ELNS0_26block_radix_rank_algorithmE2ELNS0_18block_padding_hintE2ELNS0_4arch9wavefront6targetE0EE19radix_bits_per_passE:
	.long	8                               ; 0x8
	.size	_ZN7rocprim17ROCPRIM_400000_NS16block_radix_sortIbLj256ELj1ElLj1ELj1ELj8ELNS0_26block_radix_rank_algorithmE2ELNS0_18block_padding_hintE2ELNS0_4arch9wavefront6targetE0EE19radix_bits_per_passE, 4

	.protected	_ZN7rocprim17ROCPRIM_400000_NS16block_radix_sortIbLj256ELj2ElLj1ELj1ELj8ELNS0_26block_radix_rank_algorithmE2ELNS0_18block_padding_hintE2ELNS0_4arch9wavefront6targetE0EE19radix_bits_per_passE ; @_ZN7rocprim17ROCPRIM_400000_NS16block_radix_sortIbLj256ELj2ElLj1ELj1ELj8ELNS0_26block_radix_rank_algorithmE2ELNS0_18block_padding_hintE2ELNS0_4arch9wavefront6targetE0EE19radix_bits_per_passE
	.type	_ZN7rocprim17ROCPRIM_400000_NS16block_radix_sortIbLj256ELj2ElLj1ELj1ELj8ELNS0_26block_radix_rank_algorithmE2ELNS0_18block_padding_hintE2ELNS0_4arch9wavefront6targetE0EE19radix_bits_per_passE,@object
	.section	.rodata._ZN7rocprim17ROCPRIM_400000_NS16block_radix_sortIbLj256ELj2ElLj1ELj1ELj8ELNS0_26block_radix_rank_algorithmE2ELNS0_18block_padding_hintE2ELNS0_4arch9wavefront6targetE0EE19radix_bits_per_passE,"aG",@progbits,_ZN7rocprim17ROCPRIM_400000_NS16block_radix_sortIbLj256ELj2ElLj1ELj1ELj8ELNS0_26block_radix_rank_algorithmE2ELNS0_18block_padding_hintE2ELNS0_4arch9wavefront6targetE0EE19radix_bits_per_passE,comdat
	.weak	_ZN7rocprim17ROCPRIM_400000_NS16block_radix_sortIbLj256ELj2ElLj1ELj1ELj8ELNS0_26block_radix_rank_algorithmE2ELNS0_18block_padding_hintE2ELNS0_4arch9wavefront6targetE0EE19radix_bits_per_passE
	.p2align	2, 0x0
_ZN7rocprim17ROCPRIM_400000_NS16block_radix_sortIbLj256ELj2ElLj1ELj1ELj8ELNS0_26block_radix_rank_algorithmE2ELNS0_18block_padding_hintE2ELNS0_4arch9wavefront6targetE0EE19radix_bits_per_passE:
	.long	8                               ; 0x8
	.size	_ZN7rocprim17ROCPRIM_400000_NS16block_radix_sortIbLj256ELj2ElLj1ELj1ELj8ELNS0_26block_radix_rank_algorithmE2ELNS0_18block_padding_hintE2ELNS0_4arch9wavefront6targetE0EE19radix_bits_per_passE, 4

	.protected	_ZN7rocprim17ROCPRIM_400000_NS16block_radix_sortIbLj256ELj4ElLj1ELj1ELj8ELNS0_26block_radix_rank_algorithmE2ELNS0_18block_padding_hintE2ELNS0_4arch9wavefront6targetE0EE19radix_bits_per_passE ; @_ZN7rocprim17ROCPRIM_400000_NS16block_radix_sortIbLj256ELj4ElLj1ELj1ELj8ELNS0_26block_radix_rank_algorithmE2ELNS0_18block_padding_hintE2ELNS0_4arch9wavefront6targetE0EE19radix_bits_per_passE
	.type	_ZN7rocprim17ROCPRIM_400000_NS16block_radix_sortIbLj256ELj4ElLj1ELj1ELj8ELNS0_26block_radix_rank_algorithmE2ELNS0_18block_padding_hintE2ELNS0_4arch9wavefront6targetE0EE19radix_bits_per_passE,@object
	.section	.rodata._ZN7rocprim17ROCPRIM_400000_NS16block_radix_sortIbLj256ELj4ElLj1ELj1ELj8ELNS0_26block_radix_rank_algorithmE2ELNS0_18block_padding_hintE2ELNS0_4arch9wavefront6targetE0EE19radix_bits_per_passE,"aG",@progbits,_ZN7rocprim17ROCPRIM_400000_NS16block_radix_sortIbLj256ELj4ElLj1ELj1ELj8ELNS0_26block_radix_rank_algorithmE2ELNS0_18block_padding_hintE2ELNS0_4arch9wavefront6targetE0EE19radix_bits_per_passE,comdat
	.weak	_ZN7rocprim17ROCPRIM_400000_NS16block_radix_sortIbLj256ELj4ElLj1ELj1ELj8ELNS0_26block_radix_rank_algorithmE2ELNS0_18block_padding_hintE2ELNS0_4arch9wavefront6targetE0EE19radix_bits_per_passE
	.p2align	2, 0x0
_ZN7rocprim17ROCPRIM_400000_NS16block_radix_sortIbLj256ELj4ElLj1ELj1ELj8ELNS0_26block_radix_rank_algorithmE2ELNS0_18block_padding_hintE2ELNS0_4arch9wavefront6targetE0EE19radix_bits_per_passE:
	.long	8                               ; 0x8
	.size	_ZN7rocprim17ROCPRIM_400000_NS16block_radix_sortIbLj256ELj4ElLj1ELj1ELj8ELNS0_26block_radix_rank_algorithmE2ELNS0_18block_padding_hintE2ELNS0_4arch9wavefront6targetE0EE19radix_bits_per_passE, 4

	.protected	_ZN7rocprim17ROCPRIM_400000_NS16block_radix_sortIbLj256ELj8ElLj1ELj1ELj8ELNS0_26block_radix_rank_algorithmE2ELNS0_18block_padding_hintE2ELNS0_4arch9wavefront6targetE0EE19radix_bits_per_passE ; @_ZN7rocprim17ROCPRIM_400000_NS16block_radix_sortIbLj256ELj8ElLj1ELj1ELj8ELNS0_26block_radix_rank_algorithmE2ELNS0_18block_padding_hintE2ELNS0_4arch9wavefront6targetE0EE19radix_bits_per_passE
	.type	_ZN7rocprim17ROCPRIM_400000_NS16block_radix_sortIbLj256ELj8ElLj1ELj1ELj8ELNS0_26block_radix_rank_algorithmE2ELNS0_18block_padding_hintE2ELNS0_4arch9wavefront6targetE0EE19radix_bits_per_passE,@object
	.section	.rodata._ZN7rocprim17ROCPRIM_400000_NS16block_radix_sortIbLj256ELj8ElLj1ELj1ELj8ELNS0_26block_radix_rank_algorithmE2ELNS0_18block_padding_hintE2ELNS0_4arch9wavefront6targetE0EE19radix_bits_per_passE,"aG",@progbits,_ZN7rocprim17ROCPRIM_400000_NS16block_radix_sortIbLj256ELj8ElLj1ELj1ELj8ELNS0_26block_radix_rank_algorithmE2ELNS0_18block_padding_hintE2ELNS0_4arch9wavefront6targetE0EE19radix_bits_per_passE,comdat
	.weak	_ZN7rocprim17ROCPRIM_400000_NS16block_radix_sortIbLj256ELj8ElLj1ELj1ELj8ELNS0_26block_radix_rank_algorithmE2ELNS0_18block_padding_hintE2ELNS0_4arch9wavefront6targetE0EE19radix_bits_per_passE
	.p2align	2, 0x0
_ZN7rocprim17ROCPRIM_400000_NS16block_radix_sortIbLj256ELj8ElLj1ELj1ELj8ELNS0_26block_radix_rank_algorithmE2ELNS0_18block_padding_hintE2ELNS0_4arch9wavefront6targetE0EE19radix_bits_per_passE:
	.long	8                               ; 0x8
	.size	_ZN7rocprim17ROCPRIM_400000_NS16block_radix_sortIbLj256ELj8ElLj1ELj1ELj8ELNS0_26block_radix_rank_algorithmE2ELNS0_18block_padding_hintE2ELNS0_4arch9wavefront6targetE0EE19radix_bits_per_passE, 4

	.protected	_ZN7rocprim17ROCPRIM_400000_NS16block_radix_sortIbLj256ELj17ElLj1ELj1ELj8ELNS0_26block_radix_rank_algorithmE2ELNS0_18block_padding_hintE2ELNS0_4arch9wavefront6targetE0EE19radix_bits_per_passE ; @_ZN7rocprim17ROCPRIM_400000_NS16block_radix_sortIbLj256ELj17ElLj1ELj1ELj8ELNS0_26block_radix_rank_algorithmE2ELNS0_18block_padding_hintE2ELNS0_4arch9wavefront6targetE0EE19radix_bits_per_passE
	.type	_ZN7rocprim17ROCPRIM_400000_NS16block_radix_sortIbLj256ELj17ElLj1ELj1ELj8ELNS0_26block_radix_rank_algorithmE2ELNS0_18block_padding_hintE2ELNS0_4arch9wavefront6targetE0EE19radix_bits_per_passE,@object
	.section	.rodata._ZN7rocprim17ROCPRIM_400000_NS16block_radix_sortIbLj256ELj17ElLj1ELj1ELj8ELNS0_26block_radix_rank_algorithmE2ELNS0_18block_padding_hintE2ELNS0_4arch9wavefront6targetE0EE19radix_bits_per_passE,"aG",@progbits,_ZN7rocprim17ROCPRIM_400000_NS16block_radix_sortIbLj256ELj17ElLj1ELj1ELj8ELNS0_26block_radix_rank_algorithmE2ELNS0_18block_padding_hintE2ELNS0_4arch9wavefront6targetE0EE19radix_bits_per_passE,comdat
	.weak	_ZN7rocprim17ROCPRIM_400000_NS16block_radix_sortIbLj256ELj17ElLj1ELj1ELj8ELNS0_26block_radix_rank_algorithmE2ELNS0_18block_padding_hintE2ELNS0_4arch9wavefront6targetE0EE19radix_bits_per_passE
	.p2align	2, 0x0
_ZN7rocprim17ROCPRIM_400000_NS16block_radix_sortIbLj256ELj17ElLj1ELj1ELj8ELNS0_26block_radix_rank_algorithmE2ELNS0_18block_padding_hintE2ELNS0_4arch9wavefront6targetE0EE19radix_bits_per_passE:
	.long	8                               ; 0x8
	.size	_ZN7rocprim17ROCPRIM_400000_NS16block_radix_sortIbLj256ELj17ElLj1ELj1ELj8ELNS0_26block_radix_rank_algorithmE2ELNS0_18block_padding_hintE2ELNS0_4arch9wavefront6targetE0EE19radix_bits_per_passE, 4

	.protected	_ZN7rocprim17ROCPRIM_400000_NS16block_radix_sortI6__halfLj256ELj1ElLj1ELj1ELj8ELNS0_26block_radix_rank_algorithmE2ELNS0_18block_padding_hintE2ELNS0_4arch9wavefront6targetE0EE19radix_bits_per_passE ; @_ZN7rocprim17ROCPRIM_400000_NS16block_radix_sortI6__halfLj256ELj1ElLj1ELj1ELj8ELNS0_26block_radix_rank_algorithmE2ELNS0_18block_padding_hintE2ELNS0_4arch9wavefront6targetE0EE19radix_bits_per_passE
	.type	_ZN7rocprim17ROCPRIM_400000_NS16block_radix_sortI6__halfLj256ELj1ElLj1ELj1ELj8ELNS0_26block_radix_rank_algorithmE2ELNS0_18block_padding_hintE2ELNS0_4arch9wavefront6targetE0EE19radix_bits_per_passE,@object
	.section	.rodata._ZN7rocprim17ROCPRIM_400000_NS16block_radix_sortI6__halfLj256ELj1ElLj1ELj1ELj8ELNS0_26block_radix_rank_algorithmE2ELNS0_18block_padding_hintE2ELNS0_4arch9wavefront6targetE0EE19radix_bits_per_passE,"aG",@progbits,_ZN7rocprim17ROCPRIM_400000_NS16block_radix_sortI6__halfLj256ELj1ElLj1ELj1ELj8ELNS0_26block_radix_rank_algorithmE2ELNS0_18block_padding_hintE2ELNS0_4arch9wavefront6targetE0EE19radix_bits_per_passE,comdat
	.weak	_ZN7rocprim17ROCPRIM_400000_NS16block_radix_sortI6__halfLj256ELj1ElLj1ELj1ELj8ELNS0_26block_radix_rank_algorithmE2ELNS0_18block_padding_hintE2ELNS0_4arch9wavefront6targetE0EE19radix_bits_per_passE
	.p2align	2, 0x0
_ZN7rocprim17ROCPRIM_400000_NS16block_radix_sortI6__halfLj256ELj1ElLj1ELj1ELj8ELNS0_26block_radix_rank_algorithmE2ELNS0_18block_padding_hintE2ELNS0_4arch9wavefront6targetE0EE19radix_bits_per_passE:
	.long	8                               ; 0x8
	.size	_ZN7rocprim17ROCPRIM_400000_NS16block_radix_sortI6__halfLj256ELj1ElLj1ELj1ELj8ELNS0_26block_radix_rank_algorithmE2ELNS0_18block_padding_hintE2ELNS0_4arch9wavefront6targetE0EE19radix_bits_per_passE, 4

	.protected	_ZN7rocprim17ROCPRIM_400000_NS16block_radix_sortI6__halfLj256ELj2ElLj1ELj1ELj8ELNS0_26block_radix_rank_algorithmE2ELNS0_18block_padding_hintE2ELNS0_4arch9wavefront6targetE0EE19radix_bits_per_passE ; @_ZN7rocprim17ROCPRIM_400000_NS16block_radix_sortI6__halfLj256ELj2ElLj1ELj1ELj8ELNS0_26block_radix_rank_algorithmE2ELNS0_18block_padding_hintE2ELNS0_4arch9wavefront6targetE0EE19radix_bits_per_passE
	.type	_ZN7rocprim17ROCPRIM_400000_NS16block_radix_sortI6__halfLj256ELj2ElLj1ELj1ELj8ELNS0_26block_radix_rank_algorithmE2ELNS0_18block_padding_hintE2ELNS0_4arch9wavefront6targetE0EE19radix_bits_per_passE,@object
	.section	.rodata._ZN7rocprim17ROCPRIM_400000_NS16block_radix_sortI6__halfLj256ELj2ElLj1ELj1ELj8ELNS0_26block_radix_rank_algorithmE2ELNS0_18block_padding_hintE2ELNS0_4arch9wavefront6targetE0EE19radix_bits_per_passE,"aG",@progbits,_ZN7rocprim17ROCPRIM_400000_NS16block_radix_sortI6__halfLj256ELj2ElLj1ELj1ELj8ELNS0_26block_radix_rank_algorithmE2ELNS0_18block_padding_hintE2ELNS0_4arch9wavefront6targetE0EE19radix_bits_per_passE,comdat
	.weak	_ZN7rocprim17ROCPRIM_400000_NS16block_radix_sortI6__halfLj256ELj2ElLj1ELj1ELj8ELNS0_26block_radix_rank_algorithmE2ELNS0_18block_padding_hintE2ELNS0_4arch9wavefront6targetE0EE19radix_bits_per_passE
	.p2align	2, 0x0
_ZN7rocprim17ROCPRIM_400000_NS16block_radix_sortI6__halfLj256ELj2ElLj1ELj1ELj8ELNS0_26block_radix_rank_algorithmE2ELNS0_18block_padding_hintE2ELNS0_4arch9wavefront6targetE0EE19radix_bits_per_passE:
	.long	8                               ; 0x8
	.size	_ZN7rocprim17ROCPRIM_400000_NS16block_radix_sortI6__halfLj256ELj2ElLj1ELj1ELj8ELNS0_26block_radix_rank_algorithmE2ELNS0_18block_padding_hintE2ELNS0_4arch9wavefront6targetE0EE19radix_bits_per_passE, 4

	.protected	_ZN7rocprim17ROCPRIM_400000_NS16block_radix_sortI6__halfLj256ELj4ElLj1ELj1ELj8ELNS0_26block_radix_rank_algorithmE2ELNS0_18block_padding_hintE2ELNS0_4arch9wavefront6targetE0EE19radix_bits_per_passE ; @_ZN7rocprim17ROCPRIM_400000_NS16block_radix_sortI6__halfLj256ELj4ElLj1ELj1ELj8ELNS0_26block_radix_rank_algorithmE2ELNS0_18block_padding_hintE2ELNS0_4arch9wavefront6targetE0EE19radix_bits_per_passE
	.type	_ZN7rocprim17ROCPRIM_400000_NS16block_radix_sortI6__halfLj256ELj4ElLj1ELj1ELj8ELNS0_26block_radix_rank_algorithmE2ELNS0_18block_padding_hintE2ELNS0_4arch9wavefront6targetE0EE19radix_bits_per_passE,@object
	.section	.rodata._ZN7rocprim17ROCPRIM_400000_NS16block_radix_sortI6__halfLj256ELj4ElLj1ELj1ELj8ELNS0_26block_radix_rank_algorithmE2ELNS0_18block_padding_hintE2ELNS0_4arch9wavefront6targetE0EE19radix_bits_per_passE,"aG",@progbits,_ZN7rocprim17ROCPRIM_400000_NS16block_radix_sortI6__halfLj256ELj4ElLj1ELj1ELj8ELNS0_26block_radix_rank_algorithmE2ELNS0_18block_padding_hintE2ELNS0_4arch9wavefront6targetE0EE19radix_bits_per_passE,comdat
	.weak	_ZN7rocprim17ROCPRIM_400000_NS16block_radix_sortI6__halfLj256ELj4ElLj1ELj1ELj8ELNS0_26block_radix_rank_algorithmE2ELNS0_18block_padding_hintE2ELNS0_4arch9wavefront6targetE0EE19radix_bits_per_passE
	.p2align	2, 0x0
_ZN7rocprim17ROCPRIM_400000_NS16block_radix_sortI6__halfLj256ELj4ElLj1ELj1ELj8ELNS0_26block_radix_rank_algorithmE2ELNS0_18block_padding_hintE2ELNS0_4arch9wavefront6targetE0EE19radix_bits_per_passE:
	.long	8                               ; 0x8
	.size	_ZN7rocprim17ROCPRIM_400000_NS16block_radix_sortI6__halfLj256ELj4ElLj1ELj1ELj8ELNS0_26block_radix_rank_algorithmE2ELNS0_18block_padding_hintE2ELNS0_4arch9wavefront6targetE0EE19radix_bits_per_passE, 4

	.protected	_ZN7rocprim17ROCPRIM_400000_NS16block_radix_sortI6__halfLj256ELj8ElLj1ELj1ELj8ELNS0_26block_radix_rank_algorithmE2ELNS0_18block_padding_hintE2ELNS0_4arch9wavefront6targetE0EE19radix_bits_per_passE ; @_ZN7rocprim17ROCPRIM_400000_NS16block_radix_sortI6__halfLj256ELj8ElLj1ELj1ELj8ELNS0_26block_radix_rank_algorithmE2ELNS0_18block_padding_hintE2ELNS0_4arch9wavefront6targetE0EE19radix_bits_per_passE
	.type	_ZN7rocprim17ROCPRIM_400000_NS16block_radix_sortI6__halfLj256ELj8ElLj1ELj1ELj8ELNS0_26block_radix_rank_algorithmE2ELNS0_18block_padding_hintE2ELNS0_4arch9wavefront6targetE0EE19radix_bits_per_passE,@object
	.section	.rodata._ZN7rocprim17ROCPRIM_400000_NS16block_radix_sortI6__halfLj256ELj8ElLj1ELj1ELj8ELNS0_26block_radix_rank_algorithmE2ELNS0_18block_padding_hintE2ELNS0_4arch9wavefront6targetE0EE19radix_bits_per_passE,"aG",@progbits,_ZN7rocprim17ROCPRIM_400000_NS16block_radix_sortI6__halfLj256ELj8ElLj1ELj1ELj8ELNS0_26block_radix_rank_algorithmE2ELNS0_18block_padding_hintE2ELNS0_4arch9wavefront6targetE0EE19radix_bits_per_passE,comdat
	.weak	_ZN7rocprim17ROCPRIM_400000_NS16block_radix_sortI6__halfLj256ELj8ElLj1ELj1ELj8ELNS0_26block_radix_rank_algorithmE2ELNS0_18block_padding_hintE2ELNS0_4arch9wavefront6targetE0EE19radix_bits_per_passE
	.p2align	2, 0x0
_ZN7rocprim17ROCPRIM_400000_NS16block_radix_sortI6__halfLj256ELj8ElLj1ELj1ELj8ELNS0_26block_radix_rank_algorithmE2ELNS0_18block_padding_hintE2ELNS0_4arch9wavefront6targetE0EE19radix_bits_per_passE:
	.long	8                               ; 0x8
	.size	_ZN7rocprim17ROCPRIM_400000_NS16block_radix_sortI6__halfLj256ELj8ElLj1ELj1ELj8ELNS0_26block_radix_rank_algorithmE2ELNS0_18block_padding_hintE2ELNS0_4arch9wavefront6targetE0EE19radix_bits_per_passE, 4

	.protected	_ZN7rocprim17ROCPRIM_400000_NS16block_radix_sortI12hip_bfloat16Lj256ELj1ElLj1ELj1ELj8ELNS0_26block_radix_rank_algorithmE2ELNS0_18block_padding_hintE2ELNS0_4arch9wavefront6targetE0EE19radix_bits_per_passE ; @_ZN7rocprim17ROCPRIM_400000_NS16block_radix_sortI12hip_bfloat16Lj256ELj1ElLj1ELj1ELj8ELNS0_26block_radix_rank_algorithmE2ELNS0_18block_padding_hintE2ELNS0_4arch9wavefront6targetE0EE19radix_bits_per_passE
	.type	_ZN7rocprim17ROCPRIM_400000_NS16block_radix_sortI12hip_bfloat16Lj256ELj1ElLj1ELj1ELj8ELNS0_26block_radix_rank_algorithmE2ELNS0_18block_padding_hintE2ELNS0_4arch9wavefront6targetE0EE19radix_bits_per_passE,@object
	.section	.rodata._ZN7rocprim17ROCPRIM_400000_NS16block_radix_sortI12hip_bfloat16Lj256ELj1ElLj1ELj1ELj8ELNS0_26block_radix_rank_algorithmE2ELNS0_18block_padding_hintE2ELNS0_4arch9wavefront6targetE0EE19radix_bits_per_passE,"aG",@progbits,_ZN7rocprim17ROCPRIM_400000_NS16block_radix_sortI12hip_bfloat16Lj256ELj1ElLj1ELj1ELj8ELNS0_26block_radix_rank_algorithmE2ELNS0_18block_padding_hintE2ELNS0_4arch9wavefront6targetE0EE19radix_bits_per_passE,comdat
	.weak	_ZN7rocprim17ROCPRIM_400000_NS16block_radix_sortI12hip_bfloat16Lj256ELj1ElLj1ELj1ELj8ELNS0_26block_radix_rank_algorithmE2ELNS0_18block_padding_hintE2ELNS0_4arch9wavefront6targetE0EE19radix_bits_per_passE
	.p2align	2, 0x0
_ZN7rocprim17ROCPRIM_400000_NS16block_radix_sortI12hip_bfloat16Lj256ELj1ElLj1ELj1ELj8ELNS0_26block_radix_rank_algorithmE2ELNS0_18block_padding_hintE2ELNS0_4arch9wavefront6targetE0EE19radix_bits_per_passE:
	.long	8                               ; 0x8
	.size	_ZN7rocprim17ROCPRIM_400000_NS16block_radix_sortI12hip_bfloat16Lj256ELj1ElLj1ELj1ELj8ELNS0_26block_radix_rank_algorithmE2ELNS0_18block_padding_hintE2ELNS0_4arch9wavefront6targetE0EE19radix_bits_per_passE, 4

	.protected	_ZN7rocprim17ROCPRIM_400000_NS16block_radix_sortI12hip_bfloat16Lj256ELj2ElLj1ELj1ELj8ELNS0_26block_radix_rank_algorithmE2ELNS0_18block_padding_hintE2ELNS0_4arch9wavefront6targetE0EE19radix_bits_per_passE ; @_ZN7rocprim17ROCPRIM_400000_NS16block_radix_sortI12hip_bfloat16Lj256ELj2ElLj1ELj1ELj8ELNS0_26block_radix_rank_algorithmE2ELNS0_18block_padding_hintE2ELNS0_4arch9wavefront6targetE0EE19radix_bits_per_passE
	.type	_ZN7rocprim17ROCPRIM_400000_NS16block_radix_sortI12hip_bfloat16Lj256ELj2ElLj1ELj1ELj8ELNS0_26block_radix_rank_algorithmE2ELNS0_18block_padding_hintE2ELNS0_4arch9wavefront6targetE0EE19radix_bits_per_passE,@object
	.section	.rodata._ZN7rocprim17ROCPRIM_400000_NS16block_radix_sortI12hip_bfloat16Lj256ELj2ElLj1ELj1ELj8ELNS0_26block_radix_rank_algorithmE2ELNS0_18block_padding_hintE2ELNS0_4arch9wavefront6targetE0EE19radix_bits_per_passE,"aG",@progbits,_ZN7rocprim17ROCPRIM_400000_NS16block_radix_sortI12hip_bfloat16Lj256ELj2ElLj1ELj1ELj8ELNS0_26block_radix_rank_algorithmE2ELNS0_18block_padding_hintE2ELNS0_4arch9wavefront6targetE0EE19radix_bits_per_passE,comdat
	.weak	_ZN7rocprim17ROCPRIM_400000_NS16block_radix_sortI12hip_bfloat16Lj256ELj2ElLj1ELj1ELj8ELNS0_26block_radix_rank_algorithmE2ELNS0_18block_padding_hintE2ELNS0_4arch9wavefront6targetE0EE19radix_bits_per_passE
	.p2align	2, 0x0
_ZN7rocprim17ROCPRIM_400000_NS16block_radix_sortI12hip_bfloat16Lj256ELj2ElLj1ELj1ELj8ELNS0_26block_radix_rank_algorithmE2ELNS0_18block_padding_hintE2ELNS0_4arch9wavefront6targetE0EE19radix_bits_per_passE:
	.long	8                               ; 0x8
	.size	_ZN7rocprim17ROCPRIM_400000_NS16block_radix_sortI12hip_bfloat16Lj256ELj2ElLj1ELj1ELj8ELNS0_26block_radix_rank_algorithmE2ELNS0_18block_padding_hintE2ELNS0_4arch9wavefront6targetE0EE19radix_bits_per_passE, 4

	.protected	_ZN7rocprim17ROCPRIM_400000_NS16block_radix_sortI12hip_bfloat16Lj256ELj4ElLj1ELj1ELj8ELNS0_26block_radix_rank_algorithmE2ELNS0_18block_padding_hintE2ELNS0_4arch9wavefront6targetE0EE19radix_bits_per_passE ; @_ZN7rocprim17ROCPRIM_400000_NS16block_radix_sortI12hip_bfloat16Lj256ELj4ElLj1ELj1ELj8ELNS0_26block_radix_rank_algorithmE2ELNS0_18block_padding_hintE2ELNS0_4arch9wavefront6targetE0EE19radix_bits_per_passE
	.type	_ZN7rocprim17ROCPRIM_400000_NS16block_radix_sortI12hip_bfloat16Lj256ELj4ElLj1ELj1ELj8ELNS0_26block_radix_rank_algorithmE2ELNS0_18block_padding_hintE2ELNS0_4arch9wavefront6targetE0EE19radix_bits_per_passE,@object
	.section	.rodata._ZN7rocprim17ROCPRIM_400000_NS16block_radix_sortI12hip_bfloat16Lj256ELj4ElLj1ELj1ELj8ELNS0_26block_radix_rank_algorithmE2ELNS0_18block_padding_hintE2ELNS0_4arch9wavefront6targetE0EE19radix_bits_per_passE,"aG",@progbits,_ZN7rocprim17ROCPRIM_400000_NS16block_radix_sortI12hip_bfloat16Lj256ELj4ElLj1ELj1ELj8ELNS0_26block_radix_rank_algorithmE2ELNS0_18block_padding_hintE2ELNS0_4arch9wavefront6targetE0EE19radix_bits_per_passE,comdat
	.weak	_ZN7rocprim17ROCPRIM_400000_NS16block_radix_sortI12hip_bfloat16Lj256ELj4ElLj1ELj1ELj8ELNS0_26block_radix_rank_algorithmE2ELNS0_18block_padding_hintE2ELNS0_4arch9wavefront6targetE0EE19radix_bits_per_passE
	.p2align	2, 0x0
_ZN7rocprim17ROCPRIM_400000_NS16block_radix_sortI12hip_bfloat16Lj256ELj4ElLj1ELj1ELj8ELNS0_26block_radix_rank_algorithmE2ELNS0_18block_padding_hintE2ELNS0_4arch9wavefront6targetE0EE19radix_bits_per_passE:
	.long	8                               ; 0x8
	.size	_ZN7rocprim17ROCPRIM_400000_NS16block_radix_sortI12hip_bfloat16Lj256ELj4ElLj1ELj1ELj8ELNS0_26block_radix_rank_algorithmE2ELNS0_18block_padding_hintE2ELNS0_4arch9wavefront6targetE0EE19radix_bits_per_passE, 4

	.protected	_ZN7rocprim17ROCPRIM_400000_NS16block_radix_sortI12hip_bfloat16Lj256ELj8ElLj1ELj1ELj8ELNS0_26block_radix_rank_algorithmE2ELNS0_18block_padding_hintE2ELNS0_4arch9wavefront6targetE0EE19radix_bits_per_passE ; @_ZN7rocprim17ROCPRIM_400000_NS16block_radix_sortI12hip_bfloat16Lj256ELj8ElLj1ELj1ELj8ELNS0_26block_radix_rank_algorithmE2ELNS0_18block_padding_hintE2ELNS0_4arch9wavefront6targetE0EE19radix_bits_per_passE
	.type	_ZN7rocprim17ROCPRIM_400000_NS16block_radix_sortI12hip_bfloat16Lj256ELj8ElLj1ELj1ELj8ELNS0_26block_radix_rank_algorithmE2ELNS0_18block_padding_hintE2ELNS0_4arch9wavefront6targetE0EE19radix_bits_per_passE,@object
	.section	.rodata._ZN7rocprim17ROCPRIM_400000_NS16block_radix_sortI12hip_bfloat16Lj256ELj8ElLj1ELj1ELj8ELNS0_26block_radix_rank_algorithmE2ELNS0_18block_padding_hintE2ELNS0_4arch9wavefront6targetE0EE19radix_bits_per_passE,"aG",@progbits,_ZN7rocprim17ROCPRIM_400000_NS16block_radix_sortI12hip_bfloat16Lj256ELj8ElLj1ELj1ELj8ELNS0_26block_radix_rank_algorithmE2ELNS0_18block_padding_hintE2ELNS0_4arch9wavefront6targetE0EE19radix_bits_per_passE,comdat
	.weak	_ZN7rocprim17ROCPRIM_400000_NS16block_radix_sortI12hip_bfloat16Lj256ELj8ElLj1ELj1ELj8ELNS0_26block_radix_rank_algorithmE2ELNS0_18block_padding_hintE2ELNS0_4arch9wavefront6targetE0EE19radix_bits_per_passE
	.p2align	2, 0x0
_ZN7rocprim17ROCPRIM_400000_NS16block_radix_sortI12hip_bfloat16Lj256ELj8ElLj1ELj1ELj8ELNS0_26block_radix_rank_algorithmE2ELNS0_18block_padding_hintE2ELNS0_4arch9wavefront6targetE0EE19radix_bits_per_passE:
	.long	8                               ; 0x8
	.size	_ZN7rocprim17ROCPRIM_400000_NS16block_radix_sortI12hip_bfloat16Lj256ELj8ElLj1ELj1ELj8ELNS0_26block_radix_rank_algorithmE2ELNS0_18block_padding_hintE2ELNS0_4arch9wavefront6targetE0EE19radix_bits_per_passE, 4

	.type	__hip_cuid_9e7dda08b1ce09dd,@object ; @__hip_cuid_9e7dda08b1ce09dd
	.section	.bss,"aw",@nobits
	.globl	__hip_cuid_9e7dda08b1ce09dd
__hip_cuid_9e7dda08b1ce09dd:
	.byte	0                               ; 0x0
	.size	__hip_cuid_9e7dda08b1ce09dd, 1

	.ident	"AMD clang version 22.0.0git (https://github.com/RadeonOpenCompute/llvm-project roc-7.2.4 26084 f58b06dce1f9c15707c5f808fd002e18c2accf7e)"
	.section	".note.GNU-stack","",@progbits
	.addrsig
	.addrsig_sym __hip_cuid_9e7dda08b1ce09dd
	.amdgpu_metadata
---
amdhsa.kernels:
  - .args:
      - .address_space:  global
        .offset:         0
        .size:           8
        .value_kind:     global_buffer
      - .offset:         8
        .size:           4
        .value_kind:     by_value
      - .offset:         12
        .size:           12
        .value_kind:     by_value
      - .offset:         24
        .size:           4
        .value_kind:     hidden_block_count_x
      - .offset:         28
        .size:           4
        .value_kind:     hidden_block_count_y
      - .offset:         32
        .size:           4
        .value_kind:     hidden_block_count_z
      - .offset:         36
        .size:           2
        .value_kind:     hidden_group_size_x
      - .offset:         38
        .size:           2
        .value_kind:     hidden_group_size_y
      - .offset:         40
        .size:           2
        .value_kind:     hidden_group_size_z
      - .offset:         42
        .size:           2
        .value_kind:     hidden_remainder_x
      - .offset:         44
        .size:           2
        .value_kind:     hidden_remainder_y
      - .offset:         46
        .size:           2
        .value_kind:     hidden_remainder_z
      - .offset:         64
        .size:           8
        .value_kind:     hidden_global_offset_x
      - .offset:         72
        .size:           8
        .value_kind:     hidden_global_offset_y
      - .offset:         80
        .size:           8
        .value_kind:     hidden_global_offset_z
      - .offset:         88
        .size:           2
        .value_kind:     hidden_grid_dims
    .group_segment_fixed_size: 0
    .kernarg_segment_align: 8
    .kernarg_segment_size: 280
    .language:       OpenCL C
    .language_version:
      - 2
      - 0
    .max_flat_workgroup_size: 1024
    .name:           _ZN2at6native12_GLOBAL__N_129fill_index_and_segment_kernelEP15HIP_vector_typeIiLj2EEiNS_4cuda6detail10IntDividerIjEE
    .private_segment_fixed_size: 0
    .sgpr_count:     16
    .sgpr_spill_count: 0
    .symbol:         _ZN2at6native12_GLOBAL__N_129fill_index_and_segment_kernelEP15HIP_vector_typeIiLj2EEiNS_4cuda6detail10IntDividerIjEE.kd
    .uniform_work_group_size: 1
    .uses_dynamic_stack: false
    .vgpr_count:     13
    .vgpr_spill_count: 0
    .wavefront_size: 32
    .workgroup_processor_mode: 1
  - .args:
      - .address_space:  global
        .offset:         0
        .size:           8
        .value_kind:     global_buffer
      - .offset:         8
        .size:           4
        .value_kind:     by_value
      - .offset:         12
        .size:           12
        .value_kind:     by_value
      - .offset:         24
        .size:           4
        .value_kind:     hidden_block_count_x
      - .offset:         28
        .size:           4
        .value_kind:     hidden_block_count_y
      - .offset:         32
        .size:           4
        .value_kind:     hidden_block_count_z
      - .offset:         36
        .size:           2
        .value_kind:     hidden_group_size_x
      - .offset:         38
        .size:           2
        .value_kind:     hidden_group_size_y
      - .offset:         40
        .size:           2
        .value_kind:     hidden_group_size_z
      - .offset:         42
        .size:           2
        .value_kind:     hidden_remainder_x
      - .offset:         44
        .size:           2
        .value_kind:     hidden_remainder_y
      - .offset:         46
        .size:           2
        .value_kind:     hidden_remainder_z
      - .offset:         64
        .size:           8
        .value_kind:     hidden_global_offset_x
      - .offset:         72
        .size:           8
        .value_kind:     hidden_global_offset_y
      - .offset:         80
        .size:           8
        .value_kind:     hidden_global_offset_z
      - .offset:         88
        .size:           2
        .value_kind:     hidden_grid_dims
    .group_segment_fixed_size: 0
    .kernarg_segment_align: 8
    .kernarg_segment_size: 280
    .language:       OpenCL C
    .language_version:
      - 2
      - 0
    .max_flat_workgroup_size: 1024
    .name:           _ZN2at6native12_GLOBAL__N_127fill_reverse_indices_kernelEPliNS_4cuda6detail10IntDividerIjEE
    .private_segment_fixed_size: 0
    .sgpr_count:     16
    .sgpr_spill_count: 0
    .symbol:         _ZN2at6native12_GLOBAL__N_127fill_reverse_indices_kernelEPliNS_4cuda6detail10IntDividerIjEE.kd
    .uniform_work_group_size: 1
    .uses_dynamic_stack: false
    .vgpr_count:     12
    .vgpr_spill_count: 0
    .wavefront_size: 32
    .workgroup_processor_mode: 1
  - .args:
      - .address_space:  global
        .offset:         0
        .size:           8
        .value_kind:     global_buffer
      - .address_space:  global
        .offset:         8
        .size:           8
        .value_kind:     global_buffer
      - .address_space:  global
        .offset:         16
        .size:           8
        .value_kind:     global_buffer
      - .address_space:  global
        .offset:         24
        .size:           8
        .value_kind:     global_buffer
      - .offset:         32
        .size:           4
        .value_kind:     by_value
      - .offset:         36
        .size:           4
        .value_kind:     by_value
      - .offset:         40
        .size:           4
        .value_kind:     hidden_block_count_x
      - .offset:         44
        .size:           4
        .value_kind:     hidden_block_count_y
      - .offset:         48
        .size:           4
        .value_kind:     hidden_block_count_z
      - .offset:         52
        .size:           2
        .value_kind:     hidden_group_size_x
      - .offset:         54
        .size:           2
        .value_kind:     hidden_group_size_y
      - .offset:         56
        .size:           2
        .value_kind:     hidden_group_size_z
      - .offset:         58
        .size:           2
        .value_kind:     hidden_remainder_x
      - .offset:         60
        .size:           2
        .value_kind:     hidden_remainder_y
      - .offset:         62
        .size:           2
        .value_kind:     hidden_remainder_z
      - .offset:         80
        .size:           8
        .value_kind:     hidden_global_offset_x
      - .offset:         88
        .size:           8
        .value_kind:     hidden_global_offset_y
      - .offset:         96
        .size:           8
        .value_kind:     hidden_global_offset_z
      - .offset:         104
        .size:           2
        .value_kind:     hidden_grid_dims
    .group_segment_fixed_size: 0
    .kernarg_segment_align: 8
    .kernarg_segment_size: 296
    .language:       OpenCL C
    .language_version:
      - 2
      - 0
    .max_flat_workgroup_size: 1024
    .name:           _ZN2at6native12_GLOBAL__N_123sort_postprocess_kernelIhEEvPKT_PS3_PlPK15HIP_vector_typeIiLj2EEii
    .private_segment_fixed_size: 0
    .sgpr_count:     18
    .sgpr_spill_count: 0
    .symbol:         _ZN2at6native12_GLOBAL__N_123sort_postprocess_kernelIhEEvPKT_PS3_PlPK15HIP_vector_typeIiLj2EEii.kd
    .uniform_work_group_size: 1
    .uses_dynamic_stack: false
    .vgpr_count:     15
    .vgpr_spill_count: 0
    .wavefront_size: 32
    .workgroup_processor_mode: 1
  - .args:
      - .address_space:  global
        .offset:         0
        .size:           8
        .value_kind:     global_buffer
      - .offset:         8
        .size:           4
        .value_kind:     by_value
      - .offset:         12
        .size:           1
        .value_kind:     by_value
      - .offset:         16
        .size:           4
        .value_kind:     by_value
      - .address_space:  global
        .offset:         24
        .size:           8
        .value_kind:     global_buffer
      - .offset:         32
        .size:           4
        .value_kind:     hidden_block_count_x
      - .offset:         36
        .size:           4
        .value_kind:     hidden_block_count_y
      - .offset:         40
        .size:           4
        .value_kind:     hidden_block_count_z
      - .offset:         44
        .size:           2
        .value_kind:     hidden_group_size_x
      - .offset:         46
        .size:           2
        .value_kind:     hidden_group_size_y
      - .offset:         48
        .size:           2
        .value_kind:     hidden_group_size_z
      - .offset:         50
        .size:           2
        .value_kind:     hidden_remainder_x
      - .offset:         52
        .size:           2
        .value_kind:     hidden_remainder_y
      - .offset:         54
        .size:           2
        .value_kind:     hidden_remainder_z
      - .offset:         72
        .size:           8
        .value_kind:     hidden_global_offset_x
      - .offset:         80
        .size:           8
        .value_kind:     hidden_global_offset_y
      - .offset:         88
        .size:           8
        .value_kind:     hidden_global_offset_z
      - .offset:         96
        .size:           2
        .value_kind:     hidden_grid_dims
    .group_segment_fixed_size: 0
    .kernarg_segment_align: 8
    .kernarg_segment_size: 288
    .language:       OpenCL C
    .language_version:
      - 2
      - 0
    .max_flat_workgroup_size: 256
    .name:           _ZN7rocprim17ROCPRIM_400000_NS6detail31init_lookback_scan_state_kernelINS1_19lookback_scan_stateI15HIP_vector_typeIjLj2EELb0ELb1EEENS1_16block_id_wrapperIjLb0EEEEEvT_jT0_jPNS9_10value_typeE
    .private_segment_fixed_size: 0
    .sgpr_count:     11
    .sgpr_spill_count: 0
    .symbol:         _ZN7rocprim17ROCPRIM_400000_NS6detail31init_lookback_scan_state_kernelINS1_19lookback_scan_stateI15HIP_vector_typeIjLj2EELb0ELb1EEENS1_16block_id_wrapperIjLb0EEEEEvT_jT0_jPNS9_10value_typeE.kd
    .uniform_work_group_size: 1
    .uses_dynamic_stack: false
    .vgpr_count:     8
    .vgpr_spill_count: 0
    .wavefront_size: 32
    .workgroup_processor_mode: 1
  - .args:
      - .offset:         0
        .size:           176
        .value_kind:     by_value
    .group_segment_fixed_size: 0
    .kernarg_segment_align: 8
    .kernarg_segment_size: 176
    .language:       OpenCL C
    .language_version:
      - 2
      - 0
    .max_flat_workgroup_size: 256
    .name:           _ZN7rocprim17ROCPRIM_400000_NS6detail17trampoline_kernelINS0_13select_configILj256ELj13ELNS0_17block_load_methodE3ELS4_3ELS4_3ELNS0_20block_scan_algorithmE0ELj4294967295EEENS1_25partition_config_selectorILNS1_17partition_subalgoE4EjNS0_10empty_typeEbEEZZNS1_14partition_implILS8_4ELb0ES6_15HIP_vector_typeIjLj2EENS0_17counting_iteratorIjlEEPS9_SG_NS0_5tupleIJPjSI_NS0_16reverse_iteratorISI_EEEEENSH_IJSG_SG_SG_EEES9_SI_JZNS1_25segmented_radix_sort_implINS0_14default_configELb1EPKhPhPKlPlN2at6native12_GLOBAL__N_18offset_tEEE10hipError_tPvRmT1_PNSt15iterator_traitsIS12_E10value_typeET2_T3_PNS13_IS18_E10value_typeET4_jRbjT5_S1E_jjP12ihipStream_tbEUljE_ZNSN_ISO_Lb1ESQ_SR_ST_SU_SY_EESZ_S10_S11_S12_S16_S17_S18_S1B_S1C_jS1D_jS1E_S1E_jjS1G_bEUljE0_EEESZ_S10_S11_S18_S1C_S1E_T6_T7_T9_mT8_S1G_bDpT10_ENKUlT_T0_E_clISt17integral_constantIbLb0EES1U_EEDaS1P_S1Q_EUlS1P_E_NS1_11comp_targetILNS1_3genE0ELNS1_11target_archE4294967295ELNS1_3gpuE0ELNS1_3repE0EEENS1_30default_config_static_selectorELNS0_4arch9wavefront6targetE0EEEvS12_
    .private_segment_fixed_size: 0
    .sgpr_count:     0
    .sgpr_spill_count: 0
    .symbol:         _ZN7rocprim17ROCPRIM_400000_NS6detail17trampoline_kernelINS0_13select_configILj256ELj13ELNS0_17block_load_methodE3ELS4_3ELS4_3ELNS0_20block_scan_algorithmE0ELj4294967295EEENS1_25partition_config_selectorILNS1_17partition_subalgoE4EjNS0_10empty_typeEbEEZZNS1_14partition_implILS8_4ELb0ES6_15HIP_vector_typeIjLj2EENS0_17counting_iteratorIjlEEPS9_SG_NS0_5tupleIJPjSI_NS0_16reverse_iteratorISI_EEEEENSH_IJSG_SG_SG_EEES9_SI_JZNS1_25segmented_radix_sort_implINS0_14default_configELb1EPKhPhPKlPlN2at6native12_GLOBAL__N_18offset_tEEE10hipError_tPvRmT1_PNSt15iterator_traitsIS12_E10value_typeET2_T3_PNS13_IS18_E10value_typeET4_jRbjT5_S1E_jjP12ihipStream_tbEUljE_ZNSN_ISO_Lb1ESQ_SR_ST_SU_SY_EESZ_S10_S11_S12_S16_S17_S18_S1B_S1C_jS1D_jS1E_S1E_jjS1G_bEUljE0_EEESZ_S10_S11_S18_S1C_S1E_T6_T7_T9_mT8_S1G_bDpT10_ENKUlT_T0_E_clISt17integral_constantIbLb0EES1U_EEDaS1P_S1Q_EUlS1P_E_NS1_11comp_targetILNS1_3genE0ELNS1_11target_archE4294967295ELNS1_3gpuE0ELNS1_3repE0EEENS1_30default_config_static_selectorELNS0_4arch9wavefront6targetE0EEEvS12_.kd
    .uniform_work_group_size: 1
    .uses_dynamic_stack: false
    .vgpr_count:     0
    .vgpr_spill_count: 0
    .wavefront_size: 32
    .workgroup_processor_mode: 1
  - .args:
      - .offset:         0
        .size:           176
        .value_kind:     by_value
    .group_segment_fixed_size: 0
    .kernarg_segment_align: 8
    .kernarg_segment_size: 176
    .language:       OpenCL C
    .language_version:
      - 2
      - 0
    .max_flat_workgroup_size: 256
    .name:           _ZN7rocprim17ROCPRIM_400000_NS6detail17trampoline_kernelINS0_13select_configILj256ELj13ELNS0_17block_load_methodE3ELS4_3ELS4_3ELNS0_20block_scan_algorithmE0ELj4294967295EEENS1_25partition_config_selectorILNS1_17partition_subalgoE4EjNS0_10empty_typeEbEEZZNS1_14partition_implILS8_4ELb0ES6_15HIP_vector_typeIjLj2EENS0_17counting_iteratorIjlEEPS9_SG_NS0_5tupleIJPjSI_NS0_16reverse_iteratorISI_EEEEENSH_IJSG_SG_SG_EEES9_SI_JZNS1_25segmented_radix_sort_implINS0_14default_configELb1EPKhPhPKlPlN2at6native12_GLOBAL__N_18offset_tEEE10hipError_tPvRmT1_PNSt15iterator_traitsIS12_E10value_typeET2_T3_PNS13_IS18_E10value_typeET4_jRbjT5_S1E_jjP12ihipStream_tbEUljE_ZNSN_ISO_Lb1ESQ_SR_ST_SU_SY_EESZ_S10_S11_S12_S16_S17_S18_S1B_S1C_jS1D_jS1E_S1E_jjS1G_bEUljE0_EEESZ_S10_S11_S18_S1C_S1E_T6_T7_T9_mT8_S1G_bDpT10_ENKUlT_T0_E_clISt17integral_constantIbLb0EES1U_EEDaS1P_S1Q_EUlS1P_E_NS1_11comp_targetILNS1_3genE5ELNS1_11target_archE942ELNS1_3gpuE9ELNS1_3repE0EEENS1_30default_config_static_selectorELNS0_4arch9wavefront6targetE0EEEvS12_
    .private_segment_fixed_size: 0
    .sgpr_count:     0
    .sgpr_spill_count: 0
    .symbol:         _ZN7rocprim17ROCPRIM_400000_NS6detail17trampoline_kernelINS0_13select_configILj256ELj13ELNS0_17block_load_methodE3ELS4_3ELS4_3ELNS0_20block_scan_algorithmE0ELj4294967295EEENS1_25partition_config_selectorILNS1_17partition_subalgoE4EjNS0_10empty_typeEbEEZZNS1_14partition_implILS8_4ELb0ES6_15HIP_vector_typeIjLj2EENS0_17counting_iteratorIjlEEPS9_SG_NS0_5tupleIJPjSI_NS0_16reverse_iteratorISI_EEEEENSH_IJSG_SG_SG_EEES9_SI_JZNS1_25segmented_radix_sort_implINS0_14default_configELb1EPKhPhPKlPlN2at6native12_GLOBAL__N_18offset_tEEE10hipError_tPvRmT1_PNSt15iterator_traitsIS12_E10value_typeET2_T3_PNS13_IS18_E10value_typeET4_jRbjT5_S1E_jjP12ihipStream_tbEUljE_ZNSN_ISO_Lb1ESQ_SR_ST_SU_SY_EESZ_S10_S11_S12_S16_S17_S18_S1B_S1C_jS1D_jS1E_S1E_jjS1G_bEUljE0_EEESZ_S10_S11_S18_S1C_S1E_T6_T7_T9_mT8_S1G_bDpT10_ENKUlT_T0_E_clISt17integral_constantIbLb0EES1U_EEDaS1P_S1Q_EUlS1P_E_NS1_11comp_targetILNS1_3genE5ELNS1_11target_archE942ELNS1_3gpuE9ELNS1_3repE0EEENS1_30default_config_static_selectorELNS0_4arch9wavefront6targetE0EEEvS12_.kd
    .uniform_work_group_size: 1
    .uses_dynamic_stack: false
    .vgpr_count:     0
    .vgpr_spill_count: 0
    .wavefront_size: 32
    .workgroup_processor_mode: 1
  - .args:
      - .offset:         0
        .size:           176
        .value_kind:     by_value
    .group_segment_fixed_size: 0
    .kernarg_segment_align: 8
    .kernarg_segment_size: 176
    .language:       OpenCL C
    .language_version:
      - 2
      - 0
    .max_flat_workgroup_size: 256
    .name:           _ZN7rocprim17ROCPRIM_400000_NS6detail17trampoline_kernelINS0_13select_configILj256ELj13ELNS0_17block_load_methodE3ELS4_3ELS4_3ELNS0_20block_scan_algorithmE0ELj4294967295EEENS1_25partition_config_selectorILNS1_17partition_subalgoE4EjNS0_10empty_typeEbEEZZNS1_14partition_implILS8_4ELb0ES6_15HIP_vector_typeIjLj2EENS0_17counting_iteratorIjlEEPS9_SG_NS0_5tupleIJPjSI_NS0_16reverse_iteratorISI_EEEEENSH_IJSG_SG_SG_EEES9_SI_JZNS1_25segmented_radix_sort_implINS0_14default_configELb1EPKhPhPKlPlN2at6native12_GLOBAL__N_18offset_tEEE10hipError_tPvRmT1_PNSt15iterator_traitsIS12_E10value_typeET2_T3_PNS13_IS18_E10value_typeET4_jRbjT5_S1E_jjP12ihipStream_tbEUljE_ZNSN_ISO_Lb1ESQ_SR_ST_SU_SY_EESZ_S10_S11_S12_S16_S17_S18_S1B_S1C_jS1D_jS1E_S1E_jjS1G_bEUljE0_EEESZ_S10_S11_S18_S1C_S1E_T6_T7_T9_mT8_S1G_bDpT10_ENKUlT_T0_E_clISt17integral_constantIbLb0EES1U_EEDaS1P_S1Q_EUlS1P_E_NS1_11comp_targetILNS1_3genE4ELNS1_11target_archE910ELNS1_3gpuE8ELNS1_3repE0EEENS1_30default_config_static_selectorELNS0_4arch9wavefront6targetE0EEEvS12_
    .private_segment_fixed_size: 0
    .sgpr_count:     0
    .sgpr_spill_count: 0
    .symbol:         _ZN7rocprim17ROCPRIM_400000_NS6detail17trampoline_kernelINS0_13select_configILj256ELj13ELNS0_17block_load_methodE3ELS4_3ELS4_3ELNS0_20block_scan_algorithmE0ELj4294967295EEENS1_25partition_config_selectorILNS1_17partition_subalgoE4EjNS0_10empty_typeEbEEZZNS1_14partition_implILS8_4ELb0ES6_15HIP_vector_typeIjLj2EENS0_17counting_iteratorIjlEEPS9_SG_NS0_5tupleIJPjSI_NS0_16reverse_iteratorISI_EEEEENSH_IJSG_SG_SG_EEES9_SI_JZNS1_25segmented_radix_sort_implINS0_14default_configELb1EPKhPhPKlPlN2at6native12_GLOBAL__N_18offset_tEEE10hipError_tPvRmT1_PNSt15iterator_traitsIS12_E10value_typeET2_T3_PNS13_IS18_E10value_typeET4_jRbjT5_S1E_jjP12ihipStream_tbEUljE_ZNSN_ISO_Lb1ESQ_SR_ST_SU_SY_EESZ_S10_S11_S12_S16_S17_S18_S1B_S1C_jS1D_jS1E_S1E_jjS1G_bEUljE0_EEESZ_S10_S11_S18_S1C_S1E_T6_T7_T9_mT8_S1G_bDpT10_ENKUlT_T0_E_clISt17integral_constantIbLb0EES1U_EEDaS1P_S1Q_EUlS1P_E_NS1_11comp_targetILNS1_3genE4ELNS1_11target_archE910ELNS1_3gpuE8ELNS1_3repE0EEENS1_30default_config_static_selectorELNS0_4arch9wavefront6targetE0EEEvS12_.kd
    .uniform_work_group_size: 1
    .uses_dynamic_stack: false
    .vgpr_count:     0
    .vgpr_spill_count: 0
    .wavefront_size: 32
    .workgroup_processor_mode: 1
  - .args:
      - .offset:         0
        .size:           176
        .value_kind:     by_value
    .group_segment_fixed_size: 0
    .kernarg_segment_align: 8
    .kernarg_segment_size: 176
    .language:       OpenCL C
    .language_version:
      - 2
      - 0
    .max_flat_workgroup_size: 256
    .name:           _ZN7rocprim17ROCPRIM_400000_NS6detail17trampoline_kernelINS0_13select_configILj256ELj13ELNS0_17block_load_methodE3ELS4_3ELS4_3ELNS0_20block_scan_algorithmE0ELj4294967295EEENS1_25partition_config_selectorILNS1_17partition_subalgoE4EjNS0_10empty_typeEbEEZZNS1_14partition_implILS8_4ELb0ES6_15HIP_vector_typeIjLj2EENS0_17counting_iteratorIjlEEPS9_SG_NS0_5tupleIJPjSI_NS0_16reverse_iteratorISI_EEEEENSH_IJSG_SG_SG_EEES9_SI_JZNS1_25segmented_radix_sort_implINS0_14default_configELb1EPKhPhPKlPlN2at6native12_GLOBAL__N_18offset_tEEE10hipError_tPvRmT1_PNSt15iterator_traitsIS12_E10value_typeET2_T3_PNS13_IS18_E10value_typeET4_jRbjT5_S1E_jjP12ihipStream_tbEUljE_ZNSN_ISO_Lb1ESQ_SR_ST_SU_SY_EESZ_S10_S11_S12_S16_S17_S18_S1B_S1C_jS1D_jS1E_S1E_jjS1G_bEUljE0_EEESZ_S10_S11_S18_S1C_S1E_T6_T7_T9_mT8_S1G_bDpT10_ENKUlT_T0_E_clISt17integral_constantIbLb0EES1U_EEDaS1P_S1Q_EUlS1P_E_NS1_11comp_targetILNS1_3genE3ELNS1_11target_archE908ELNS1_3gpuE7ELNS1_3repE0EEENS1_30default_config_static_selectorELNS0_4arch9wavefront6targetE0EEEvS12_
    .private_segment_fixed_size: 0
    .sgpr_count:     0
    .sgpr_spill_count: 0
    .symbol:         _ZN7rocprim17ROCPRIM_400000_NS6detail17trampoline_kernelINS0_13select_configILj256ELj13ELNS0_17block_load_methodE3ELS4_3ELS4_3ELNS0_20block_scan_algorithmE0ELj4294967295EEENS1_25partition_config_selectorILNS1_17partition_subalgoE4EjNS0_10empty_typeEbEEZZNS1_14partition_implILS8_4ELb0ES6_15HIP_vector_typeIjLj2EENS0_17counting_iteratorIjlEEPS9_SG_NS0_5tupleIJPjSI_NS0_16reverse_iteratorISI_EEEEENSH_IJSG_SG_SG_EEES9_SI_JZNS1_25segmented_radix_sort_implINS0_14default_configELb1EPKhPhPKlPlN2at6native12_GLOBAL__N_18offset_tEEE10hipError_tPvRmT1_PNSt15iterator_traitsIS12_E10value_typeET2_T3_PNS13_IS18_E10value_typeET4_jRbjT5_S1E_jjP12ihipStream_tbEUljE_ZNSN_ISO_Lb1ESQ_SR_ST_SU_SY_EESZ_S10_S11_S12_S16_S17_S18_S1B_S1C_jS1D_jS1E_S1E_jjS1G_bEUljE0_EEESZ_S10_S11_S18_S1C_S1E_T6_T7_T9_mT8_S1G_bDpT10_ENKUlT_T0_E_clISt17integral_constantIbLb0EES1U_EEDaS1P_S1Q_EUlS1P_E_NS1_11comp_targetILNS1_3genE3ELNS1_11target_archE908ELNS1_3gpuE7ELNS1_3repE0EEENS1_30default_config_static_selectorELNS0_4arch9wavefront6targetE0EEEvS12_.kd
    .uniform_work_group_size: 1
    .uses_dynamic_stack: false
    .vgpr_count:     0
    .vgpr_spill_count: 0
    .wavefront_size: 32
    .workgroup_processor_mode: 1
  - .args:
      - .offset:         0
        .size:           176
        .value_kind:     by_value
    .group_segment_fixed_size: 0
    .kernarg_segment_align: 8
    .kernarg_segment_size: 176
    .language:       OpenCL C
    .language_version:
      - 2
      - 0
    .max_flat_workgroup_size: 256
    .name:           _ZN7rocprim17ROCPRIM_400000_NS6detail17trampoline_kernelINS0_13select_configILj256ELj13ELNS0_17block_load_methodE3ELS4_3ELS4_3ELNS0_20block_scan_algorithmE0ELj4294967295EEENS1_25partition_config_selectorILNS1_17partition_subalgoE4EjNS0_10empty_typeEbEEZZNS1_14partition_implILS8_4ELb0ES6_15HIP_vector_typeIjLj2EENS0_17counting_iteratorIjlEEPS9_SG_NS0_5tupleIJPjSI_NS0_16reverse_iteratorISI_EEEEENSH_IJSG_SG_SG_EEES9_SI_JZNS1_25segmented_radix_sort_implINS0_14default_configELb1EPKhPhPKlPlN2at6native12_GLOBAL__N_18offset_tEEE10hipError_tPvRmT1_PNSt15iterator_traitsIS12_E10value_typeET2_T3_PNS13_IS18_E10value_typeET4_jRbjT5_S1E_jjP12ihipStream_tbEUljE_ZNSN_ISO_Lb1ESQ_SR_ST_SU_SY_EESZ_S10_S11_S12_S16_S17_S18_S1B_S1C_jS1D_jS1E_S1E_jjS1G_bEUljE0_EEESZ_S10_S11_S18_S1C_S1E_T6_T7_T9_mT8_S1G_bDpT10_ENKUlT_T0_E_clISt17integral_constantIbLb0EES1U_EEDaS1P_S1Q_EUlS1P_E_NS1_11comp_targetILNS1_3genE2ELNS1_11target_archE906ELNS1_3gpuE6ELNS1_3repE0EEENS1_30default_config_static_selectorELNS0_4arch9wavefront6targetE0EEEvS12_
    .private_segment_fixed_size: 0
    .sgpr_count:     0
    .sgpr_spill_count: 0
    .symbol:         _ZN7rocprim17ROCPRIM_400000_NS6detail17trampoline_kernelINS0_13select_configILj256ELj13ELNS0_17block_load_methodE3ELS4_3ELS4_3ELNS0_20block_scan_algorithmE0ELj4294967295EEENS1_25partition_config_selectorILNS1_17partition_subalgoE4EjNS0_10empty_typeEbEEZZNS1_14partition_implILS8_4ELb0ES6_15HIP_vector_typeIjLj2EENS0_17counting_iteratorIjlEEPS9_SG_NS0_5tupleIJPjSI_NS0_16reverse_iteratorISI_EEEEENSH_IJSG_SG_SG_EEES9_SI_JZNS1_25segmented_radix_sort_implINS0_14default_configELb1EPKhPhPKlPlN2at6native12_GLOBAL__N_18offset_tEEE10hipError_tPvRmT1_PNSt15iterator_traitsIS12_E10value_typeET2_T3_PNS13_IS18_E10value_typeET4_jRbjT5_S1E_jjP12ihipStream_tbEUljE_ZNSN_ISO_Lb1ESQ_SR_ST_SU_SY_EESZ_S10_S11_S12_S16_S17_S18_S1B_S1C_jS1D_jS1E_S1E_jjS1G_bEUljE0_EEESZ_S10_S11_S18_S1C_S1E_T6_T7_T9_mT8_S1G_bDpT10_ENKUlT_T0_E_clISt17integral_constantIbLb0EES1U_EEDaS1P_S1Q_EUlS1P_E_NS1_11comp_targetILNS1_3genE2ELNS1_11target_archE906ELNS1_3gpuE6ELNS1_3repE0EEENS1_30default_config_static_selectorELNS0_4arch9wavefront6targetE0EEEvS12_.kd
    .uniform_work_group_size: 1
    .uses_dynamic_stack: false
    .vgpr_count:     0
    .vgpr_spill_count: 0
    .wavefront_size: 32
    .workgroup_processor_mode: 1
  - .args:
      - .offset:         0
        .size:           176
        .value_kind:     by_value
    .group_segment_fixed_size: 0
    .kernarg_segment_align: 8
    .kernarg_segment_size: 176
    .language:       OpenCL C
    .language_version:
      - 2
      - 0
    .max_flat_workgroup_size: 256
    .name:           _ZN7rocprim17ROCPRIM_400000_NS6detail17trampoline_kernelINS0_13select_configILj256ELj13ELNS0_17block_load_methodE3ELS4_3ELS4_3ELNS0_20block_scan_algorithmE0ELj4294967295EEENS1_25partition_config_selectorILNS1_17partition_subalgoE4EjNS0_10empty_typeEbEEZZNS1_14partition_implILS8_4ELb0ES6_15HIP_vector_typeIjLj2EENS0_17counting_iteratorIjlEEPS9_SG_NS0_5tupleIJPjSI_NS0_16reverse_iteratorISI_EEEEENSH_IJSG_SG_SG_EEES9_SI_JZNS1_25segmented_radix_sort_implINS0_14default_configELb1EPKhPhPKlPlN2at6native12_GLOBAL__N_18offset_tEEE10hipError_tPvRmT1_PNSt15iterator_traitsIS12_E10value_typeET2_T3_PNS13_IS18_E10value_typeET4_jRbjT5_S1E_jjP12ihipStream_tbEUljE_ZNSN_ISO_Lb1ESQ_SR_ST_SU_SY_EESZ_S10_S11_S12_S16_S17_S18_S1B_S1C_jS1D_jS1E_S1E_jjS1G_bEUljE0_EEESZ_S10_S11_S18_S1C_S1E_T6_T7_T9_mT8_S1G_bDpT10_ENKUlT_T0_E_clISt17integral_constantIbLb0EES1U_EEDaS1P_S1Q_EUlS1P_E_NS1_11comp_targetILNS1_3genE10ELNS1_11target_archE1200ELNS1_3gpuE4ELNS1_3repE0EEENS1_30default_config_static_selectorELNS0_4arch9wavefront6targetE0EEEvS12_
    .private_segment_fixed_size: 0
    .sgpr_count:     0
    .sgpr_spill_count: 0
    .symbol:         _ZN7rocprim17ROCPRIM_400000_NS6detail17trampoline_kernelINS0_13select_configILj256ELj13ELNS0_17block_load_methodE3ELS4_3ELS4_3ELNS0_20block_scan_algorithmE0ELj4294967295EEENS1_25partition_config_selectorILNS1_17partition_subalgoE4EjNS0_10empty_typeEbEEZZNS1_14partition_implILS8_4ELb0ES6_15HIP_vector_typeIjLj2EENS0_17counting_iteratorIjlEEPS9_SG_NS0_5tupleIJPjSI_NS0_16reverse_iteratorISI_EEEEENSH_IJSG_SG_SG_EEES9_SI_JZNS1_25segmented_radix_sort_implINS0_14default_configELb1EPKhPhPKlPlN2at6native12_GLOBAL__N_18offset_tEEE10hipError_tPvRmT1_PNSt15iterator_traitsIS12_E10value_typeET2_T3_PNS13_IS18_E10value_typeET4_jRbjT5_S1E_jjP12ihipStream_tbEUljE_ZNSN_ISO_Lb1ESQ_SR_ST_SU_SY_EESZ_S10_S11_S12_S16_S17_S18_S1B_S1C_jS1D_jS1E_S1E_jjS1G_bEUljE0_EEESZ_S10_S11_S18_S1C_S1E_T6_T7_T9_mT8_S1G_bDpT10_ENKUlT_T0_E_clISt17integral_constantIbLb0EES1U_EEDaS1P_S1Q_EUlS1P_E_NS1_11comp_targetILNS1_3genE10ELNS1_11target_archE1200ELNS1_3gpuE4ELNS1_3repE0EEENS1_30default_config_static_selectorELNS0_4arch9wavefront6targetE0EEEvS12_.kd
    .uniform_work_group_size: 1
    .uses_dynamic_stack: false
    .vgpr_count:     0
    .vgpr_spill_count: 0
    .wavefront_size: 32
    .workgroup_processor_mode: 1
  - .args:
      - .offset:         0
        .size:           176
        .value_kind:     by_value
    .group_segment_fixed_size: 0
    .kernarg_segment_align: 8
    .kernarg_segment_size: 176
    .language:       OpenCL C
    .language_version:
      - 2
      - 0
    .max_flat_workgroup_size: 256
    .name:           _ZN7rocprim17ROCPRIM_400000_NS6detail17trampoline_kernelINS0_13select_configILj256ELj13ELNS0_17block_load_methodE3ELS4_3ELS4_3ELNS0_20block_scan_algorithmE0ELj4294967295EEENS1_25partition_config_selectorILNS1_17partition_subalgoE4EjNS0_10empty_typeEbEEZZNS1_14partition_implILS8_4ELb0ES6_15HIP_vector_typeIjLj2EENS0_17counting_iteratorIjlEEPS9_SG_NS0_5tupleIJPjSI_NS0_16reverse_iteratorISI_EEEEENSH_IJSG_SG_SG_EEES9_SI_JZNS1_25segmented_radix_sort_implINS0_14default_configELb1EPKhPhPKlPlN2at6native12_GLOBAL__N_18offset_tEEE10hipError_tPvRmT1_PNSt15iterator_traitsIS12_E10value_typeET2_T3_PNS13_IS18_E10value_typeET4_jRbjT5_S1E_jjP12ihipStream_tbEUljE_ZNSN_ISO_Lb1ESQ_SR_ST_SU_SY_EESZ_S10_S11_S12_S16_S17_S18_S1B_S1C_jS1D_jS1E_S1E_jjS1G_bEUljE0_EEESZ_S10_S11_S18_S1C_S1E_T6_T7_T9_mT8_S1G_bDpT10_ENKUlT_T0_E_clISt17integral_constantIbLb0EES1U_EEDaS1P_S1Q_EUlS1P_E_NS1_11comp_targetILNS1_3genE9ELNS1_11target_archE1100ELNS1_3gpuE3ELNS1_3repE0EEENS1_30default_config_static_selectorELNS0_4arch9wavefront6targetE0EEEvS12_
    .private_segment_fixed_size: 0
    .sgpr_count:     0
    .sgpr_spill_count: 0
    .symbol:         _ZN7rocprim17ROCPRIM_400000_NS6detail17trampoline_kernelINS0_13select_configILj256ELj13ELNS0_17block_load_methodE3ELS4_3ELS4_3ELNS0_20block_scan_algorithmE0ELj4294967295EEENS1_25partition_config_selectorILNS1_17partition_subalgoE4EjNS0_10empty_typeEbEEZZNS1_14partition_implILS8_4ELb0ES6_15HIP_vector_typeIjLj2EENS0_17counting_iteratorIjlEEPS9_SG_NS0_5tupleIJPjSI_NS0_16reverse_iteratorISI_EEEEENSH_IJSG_SG_SG_EEES9_SI_JZNS1_25segmented_radix_sort_implINS0_14default_configELb1EPKhPhPKlPlN2at6native12_GLOBAL__N_18offset_tEEE10hipError_tPvRmT1_PNSt15iterator_traitsIS12_E10value_typeET2_T3_PNS13_IS18_E10value_typeET4_jRbjT5_S1E_jjP12ihipStream_tbEUljE_ZNSN_ISO_Lb1ESQ_SR_ST_SU_SY_EESZ_S10_S11_S12_S16_S17_S18_S1B_S1C_jS1D_jS1E_S1E_jjS1G_bEUljE0_EEESZ_S10_S11_S18_S1C_S1E_T6_T7_T9_mT8_S1G_bDpT10_ENKUlT_T0_E_clISt17integral_constantIbLb0EES1U_EEDaS1P_S1Q_EUlS1P_E_NS1_11comp_targetILNS1_3genE9ELNS1_11target_archE1100ELNS1_3gpuE3ELNS1_3repE0EEENS1_30default_config_static_selectorELNS0_4arch9wavefront6targetE0EEEvS12_.kd
    .uniform_work_group_size: 1
    .uses_dynamic_stack: false
    .vgpr_count:     0
    .vgpr_spill_count: 0
    .wavefront_size: 32
    .workgroup_processor_mode: 1
  - .args:
      - .offset:         0
        .size:           176
        .value_kind:     by_value
    .group_segment_fixed_size: 13328
    .kernarg_segment_align: 8
    .kernarg_segment_size: 176
    .language:       OpenCL C
    .language_version:
      - 2
      - 0
    .max_flat_workgroup_size: 256
    .name:           _ZN7rocprim17ROCPRIM_400000_NS6detail17trampoline_kernelINS0_13select_configILj256ELj13ELNS0_17block_load_methodE3ELS4_3ELS4_3ELNS0_20block_scan_algorithmE0ELj4294967295EEENS1_25partition_config_selectorILNS1_17partition_subalgoE4EjNS0_10empty_typeEbEEZZNS1_14partition_implILS8_4ELb0ES6_15HIP_vector_typeIjLj2EENS0_17counting_iteratorIjlEEPS9_SG_NS0_5tupleIJPjSI_NS0_16reverse_iteratorISI_EEEEENSH_IJSG_SG_SG_EEES9_SI_JZNS1_25segmented_radix_sort_implINS0_14default_configELb1EPKhPhPKlPlN2at6native12_GLOBAL__N_18offset_tEEE10hipError_tPvRmT1_PNSt15iterator_traitsIS12_E10value_typeET2_T3_PNS13_IS18_E10value_typeET4_jRbjT5_S1E_jjP12ihipStream_tbEUljE_ZNSN_ISO_Lb1ESQ_SR_ST_SU_SY_EESZ_S10_S11_S12_S16_S17_S18_S1B_S1C_jS1D_jS1E_S1E_jjS1G_bEUljE0_EEESZ_S10_S11_S18_S1C_S1E_T6_T7_T9_mT8_S1G_bDpT10_ENKUlT_T0_E_clISt17integral_constantIbLb0EES1U_EEDaS1P_S1Q_EUlS1P_E_NS1_11comp_targetILNS1_3genE8ELNS1_11target_archE1030ELNS1_3gpuE2ELNS1_3repE0EEENS1_30default_config_static_selectorELNS0_4arch9wavefront6targetE0EEEvS12_
    .private_segment_fixed_size: 0
    .sgpr_count:     61
    .sgpr_spill_count: 0
    .symbol:         _ZN7rocprim17ROCPRIM_400000_NS6detail17trampoline_kernelINS0_13select_configILj256ELj13ELNS0_17block_load_methodE3ELS4_3ELS4_3ELNS0_20block_scan_algorithmE0ELj4294967295EEENS1_25partition_config_selectorILNS1_17partition_subalgoE4EjNS0_10empty_typeEbEEZZNS1_14partition_implILS8_4ELb0ES6_15HIP_vector_typeIjLj2EENS0_17counting_iteratorIjlEEPS9_SG_NS0_5tupleIJPjSI_NS0_16reverse_iteratorISI_EEEEENSH_IJSG_SG_SG_EEES9_SI_JZNS1_25segmented_radix_sort_implINS0_14default_configELb1EPKhPhPKlPlN2at6native12_GLOBAL__N_18offset_tEEE10hipError_tPvRmT1_PNSt15iterator_traitsIS12_E10value_typeET2_T3_PNS13_IS18_E10value_typeET4_jRbjT5_S1E_jjP12ihipStream_tbEUljE_ZNSN_ISO_Lb1ESQ_SR_ST_SU_SY_EESZ_S10_S11_S12_S16_S17_S18_S1B_S1C_jS1D_jS1E_S1E_jjS1G_bEUljE0_EEESZ_S10_S11_S18_S1C_S1E_T6_T7_T9_mT8_S1G_bDpT10_ENKUlT_T0_E_clISt17integral_constantIbLb0EES1U_EEDaS1P_S1Q_EUlS1P_E_NS1_11comp_targetILNS1_3genE8ELNS1_11target_archE1030ELNS1_3gpuE2ELNS1_3repE0EEENS1_30default_config_static_selectorELNS0_4arch9wavefront6targetE0EEEvS12_.kd
    .uniform_work_group_size: 1
    .uses_dynamic_stack: false
    .vgpr_count:     82
    .vgpr_spill_count: 0
    .wavefront_size: 32
    .workgroup_processor_mode: 1
  - .args:
      - .offset:         0
        .size:           40
        .value_kind:     by_value
    .group_segment_fixed_size: 0
    .kernarg_segment_align: 8
    .kernarg_segment_size: 40
    .language:       OpenCL C
    .language_version:
      - 2
      - 0
    .max_flat_workgroup_size: 128
    .name:           _ZN7rocprim17ROCPRIM_400000_NS6detail17trampoline_kernelINS0_14default_configENS1_25transform_config_selectorImLb1EEEZNS1_14transform_implILb1ES3_S5_PmPjNS0_8identityIvEEEE10hipError_tT2_T3_mT4_P12ihipStream_tbEUlT_E_NS1_11comp_targetILNS1_3genE0ELNS1_11target_archE4294967295ELNS1_3gpuE0ELNS1_3repE0EEENS1_30default_config_static_selectorELNS0_4arch9wavefront6targetE0EEEvT1_
    .private_segment_fixed_size: 0
    .sgpr_count:     0
    .sgpr_spill_count: 0
    .symbol:         _ZN7rocprim17ROCPRIM_400000_NS6detail17trampoline_kernelINS0_14default_configENS1_25transform_config_selectorImLb1EEEZNS1_14transform_implILb1ES3_S5_PmPjNS0_8identityIvEEEE10hipError_tT2_T3_mT4_P12ihipStream_tbEUlT_E_NS1_11comp_targetILNS1_3genE0ELNS1_11target_archE4294967295ELNS1_3gpuE0ELNS1_3repE0EEENS1_30default_config_static_selectorELNS0_4arch9wavefront6targetE0EEEvT1_.kd
    .uniform_work_group_size: 1
    .uses_dynamic_stack: false
    .vgpr_count:     0
    .vgpr_spill_count: 0
    .wavefront_size: 32
    .workgroup_processor_mode: 1
  - .args:
      - .offset:         0
        .size:           40
        .value_kind:     by_value
    .group_segment_fixed_size: 0
    .kernarg_segment_align: 8
    .kernarg_segment_size: 40
    .language:       OpenCL C
    .language_version:
      - 2
      - 0
    .max_flat_workgroup_size: 1024
    .name:           _ZN7rocprim17ROCPRIM_400000_NS6detail17trampoline_kernelINS0_14default_configENS1_25transform_config_selectorImLb1EEEZNS1_14transform_implILb1ES3_S5_PmPjNS0_8identityIvEEEE10hipError_tT2_T3_mT4_P12ihipStream_tbEUlT_E_NS1_11comp_targetILNS1_3genE10ELNS1_11target_archE1201ELNS1_3gpuE5ELNS1_3repE0EEENS1_30default_config_static_selectorELNS0_4arch9wavefront6targetE0EEEvT1_
    .private_segment_fixed_size: 0
    .sgpr_count:     0
    .sgpr_spill_count: 0
    .symbol:         _ZN7rocprim17ROCPRIM_400000_NS6detail17trampoline_kernelINS0_14default_configENS1_25transform_config_selectorImLb1EEEZNS1_14transform_implILb1ES3_S5_PmPjNS0_8identityIvEEEE10hipError_tT2_T3_mT4_P12ihipStream_tbEUlT_E_NS1_11comp_targetILNS1_3genE10ELNS1_11target_archE1201ELNS1_3gpuE5ELNS1_3repE0EEENS1_30default_config_static_selectorELNS0_4arch9wavefront6targetE0EEEvT1_.kd
    .uniform_work_group_size: 1
    .uses_dynamic_stack: false
    .vgpr_count:     0
    .vgpr_spill_count: 0
    .wavefront_size: 32
    .workgroup_processor_mode: 1
  - .args:
      - .offset:         0
        .size:           40
        .value_kind:     by_value
    .group_segment_fixed_size: 0
    .kernarg_segment_align: 8
    .kernarg_segment_size: 40
    .language:       OpenCL C
    .language_version:
      - 2
      - 0
    .max_flat_workgroup_size: 512
    .name:           _ZN7rocprim17ROCPRIM_400000_NS6detail17trampoline_kernelINS0_14default_configENS1_25transform_config_selectorImLb1EEEZNS1_14transform_implILb1ES3_S5_PmPjNS0_8identityIvEEEE10hipError_tT2_T3_mT4_P12ihipStream_tbEUlT_E_NS1_11comp_targetILNS1_3genE5ELNS1_11target_archE942ELNS1_3gpuE9ELNS1_3repE0EEENS1_30default_config_static_selectorELNS0_4arch9wavefront6targetE0EEEvT1_
    .private_segment_fixed_size: 0
    .sgpr_count:     0
    .sgpr_spill_count: 0
    .symbol:         _ZN7rocprim17ROCPRIM_400000_NS6detail17trampoline_kernelINS0_14default_configENS1_25transform_config_selectorImLb1EEEZNS1_14transform_implILb1ES3_S5_PmPjNS0_8identityIvEEEE10hipError_tT2_T3_mT4_P12ihipStream_tbEUlT_E_NS1_11comp_targetILNS1_3genE5ELNS1_11target_archE942ELNS1_3gpuE9ELNS1_3repE0EEENS1_30default_config_static_selectorELNS0_4arch9wavefront6targetE0EEEvT1_.kd
    .uniform_work_group_size: 1
    .uses_dynamic_stack: false
    .vgpr_count:     0
    .vgpr_spill_count: 0
    .wavefront_size: 32
    .workgroup_processor_mode: 1
  - .args:
      - .offset:         0
        .size:           40
        .value_kind:     by_value
    .group_segment_fixed_size: 0
    .kernarg_segment_align: 8
    .kernarg_segment_size: 40
    .language:       OpenCL C
    .language_version:
      - 2
      - 0
    .max_flat_workgroup_size: 1024
    .name:           _ZN7rocprim17ROCPRIM_400000_NS6detail17trampoline_kernelINS0_14default_configENS1_25transform_config_selectorImLb1EEEZNS1_14transform_implILb1ES3_S5_PmPjNS0_8identityIvEEEE10hipError_tT2_T3_mT4_P12ihipStream_tbEUlT_E_NS1_11comp_targetILNS1_3genE4ELNS1_11target_archE910ELNS1_3gpuE8ELNS1_3repE0EEENS1_30default_config_static_selectorELNS0_4arch9wavefront6targetE0EEEvT1_
    .private_segment_fixed_size: 0
    .sgpr_count:     0
    .sgpr_spill_count: 0
    .symbol:         _ZN7rocprim17ROCPRIM_400000_NS6detail17trampoline_kernelINS0_14default_configENS1_25transform_config_selectorImLb1EEEZNS1_14transform_implILb1ES3_S5_PmPjNS0_8identityIvEEEE10hipError_tT2_T3_mT4_P12ihipStream_tbEUlT_E_NS1_11comp_targetILNS1_3genE4ELNS1_11target_archE910ELNS1_3gpuE8ELNS1_3repE0EEENS1_30default_config_static_selectorELNS0_4arch9wavefront6targetE0EEEvT1_.kd
    .uniform_work_group_size: 1
    .uses_dynamic_stack: false
    .vgpr_count:     0
    .vgpr_spill_count: 0
    .wavefront_size: 32
    .workgroup_processor_mode: 1
  - .args:
      - .offset:         0
        .size:           40
        .value_kind:     by_value
    .group_segment_fixed_size: 0
    .kernarg_segment_align: 8
    .kernarg_segment_size: 40
    .language:       OpenCL C
    .language_version:
      - 2
      - 0
    .max_flat_workgroup_size: 128
    .name:           _ZN7rocprim17ROCPRIM_400000_NS6detail17trampoline_kernelINS0_14default_configENS1_25transform_config_selectorImLb1EEEZNS1_14transform_implILb1ES3_S5_PmPjNS0_8identityIvEEEE10hipError_tT2_T3_mT4_P12ihipStream_tbEUlT_E_NS1_11comp_targetILNS1_3genE3ELNS1_11target_archE908ELNS1_3gpuE7ELNS1_3repE0EEENS1_30default_config_static_selectorELNS0_4arch9wavefront6targetE0EEEvT1_
    .private_segment_fixed_size: 0
    .sgpr_count:     0
    .sgpr_spill_count: 0
    .symbol:         _ZN7rocprim17ROCPRIM_400000_NS6detail17trampoline_kernelINS0_14default_configENS1_25transform_config_selectorImLb1EEEZNS1_14transform_implILb1ES3_S5_PmPjNS0_8identityIvEEEE10hipError_tT2_T3_mT4_P12ihipStream_tbEUlT_E_NS1_11comp_targetILNS1_3genE3ELNS1_11target_archE908ELNS1_3gpuE7ELNS1_3repE0EEENS1_30default_config_static_selectorELNS0_4arch9wavefront6targetE0EEEvT1_.kd
    .uniform_work_group_size: 1
    .uses_dynamic_stack: false
    .vgpr_count:     0
    .vgpr_spill_count: 0
    .wavefront_size: 32
    .workgroup_processor_mode: 1
  - .args:
      - .offset:         0
        .size:           40
        .value_kind:     by_value
    .group_segment_fixed_size: 0
    .kernarg_segment_align: 8
    .kernarg_segment_size: 40
    .language:       OpenCL C
    .language_version:
      - 2
      - 0
    .max_flat_workgroup_size: 512
    .name:           _ZN7rocprim17ROCPRIM_400000_NS6detail17trampoline_kernelINS0_14default_configENS1_25transform_config_selectorImLb1EEEZNS1_14transform_implILb1ES3_S5_PmPjNS0_8identityIvEEEE10hipError_tT2_T3_mT4_P12ihipStream_tbEUlT_E_NS1_11comp_targetILNS1_3genE2ELNS1_11target_archE906ELNS1_3gpuE6ELNS1_3repE0EEENS1_30default_config_static_selectorELNS0_4arch9wavefront6targetE0EEEvT1_
    .private_segment_fixed_size: 0
    .sgpr_count:     0
    .sgpr_spill_count: 0
    .symbol:         _ZN7rocprim17ROCPRIM_400000_NS6detail17trampoline_kernelINS0_14default_configENS1_25transform_config_selectorImLb1EEEZNS1_14transform_implILb1ES3_S5_PmPjNS0_8identityIvEEEE10hipError_tT2_T3_mT4_P12ihipStream_tbEUlT_E_NS1_11comp_targetILNS1_3genE2ELNS1_11target_archE906ELNS1_3gpuE6ELNS1_3repE0EEENS1_30default_config_static_selectorELNS0_4arch9wavefront6targetE0EEEvT1_.kd
    .uniform_work_group_size: 1
    .uses_dynamic_stack: false
    .vgpr_count:     0
    .vgpr_spill_count: 0
    .wavefront_size: 32
    .workgroup_processor_mode: 1
  - .args:
      - .offset:         0
        .size:           40
        .value_kind:     by_value
    .group_segment_fixed_size: 0
    .kernarg_segment_align: 8
    .kernarg_segment_size: 40
    .language:       OpenCL C
    .language_version:
      - 2
      - 0
    .max_flat_workgroup_size: 1024
    .name:           _ZN7rocprim17ROCPRIM_400000_NS6detail17trampoline_kernelINS0_14default_configENS1_25transform_config_selectorImLb1EEEZNS1_14transform_implILb1ES3_S5_PmPjNS0_8identityIvEEEE10hipError_tT2_T3_mT4_P12ihipStream_tbEUlT_E_NS1_11comp_targetILNS1_3genE9ELNS1_11target_archE1100ELNS1_3gpuE3ELNS1_3repE0EEENS1_30default_config_static_selectorELNS0_4arch9wavefront6targetE0EEEvT1_
    .private_segment_fixed_size: 0
    .sgpr_count:     0
    .sgpr_spill_count: 0
    .symbol:         _ZN7rocprim17ROCPRIM_400000_NS6detail17trampoline_kernelINS0_14default_configENS1_25transform_config_selectorImLb1EEEZNS1_14transform_implILb1ES3_S5_PmPjNS0_8identityIvEEEE10hipError_tT2_T3_mT4_P12ihipStream_tbEUlT_E_NS1_11comp_targetILNS1_3genE9ELNS1_11target_archE1100ELNS1_3gpuE3ELNS1_3repE0EEENS1_30default_config_static_selectorELNS0_4arch9wavefront6targetE0EEEvT1_.kd
    .uniform_work_group_size: 1
    .uses_dynamic_stack: false
    .vgpr_count:     0
    .vgpr_spill_count: 0
    .wavefront_size: 32
    .workgroup_processor_mode: 1
  - .args:
      - .offset:         0
        .size:           40
        .value_kind:     by_value
      - .offset:         40
        .size:           4
        .value_kind:     hidden_block_count_x
      - .offset:         44
        .size:           4
        .value_kind:     hidden_block_count_y
      - .offset:         48
        .size:           4
        .value_kind:     hidden_block_count_z
      - .offset:         52
        .size:           2
        .value_kind:     hidden_group_size_x
      - .offset:         54
        .size:           2
        .value_kind:     hidden_group_size_y
      - .offset:         56
        .size:           2
        .value_kind:     hidden_group_size_z
      - .offset:         58
        .size:           2
        .value_kind:     hidden_remainder_x
      - .offset:         60
        .size:           2
        .value_kind:     hidden_remainder_y
      - .offset:         62
        .size:           2
        .value_kind:     hidden_remainder_z
      - .offset:         80
        .size:           8
        .value_kind:     hidden_global_offset_x
      - .offset:         88
        .size:           8
        .value_kind:     hidden_global_offset_y
      - .offset:         96
        .size:           8
        .value_kind:     hidden_global_offset_z
      - .offset:         104
        .size:           2
        .value_kind:     hidden_grid_dims
    .group_segment_fixed_size: 0
    .kernarg_segment_align: 8
    .kernarg_segment_size: 296
    .language:       OpenCL C
    .language_version:
      - 2
      - 0
    .max_flat_workgroup_size: 1024
    .name:           _ZN7rocprim17ROCPRIM_400000_NS6detail17trampoline_kernelINS0_14default_configENS1_25transform_config_selectorImLb1EEEZNS1_14transform_implILb1ES3_S5_PmPjNS0_8identityIvEEEE10hipError_tT2_T3_mT4_P12ihipStream_tbEUlT_E_NS1_11comp_targetILNS1_3genE8ELNS1_11target_archE1030ELNS1_3gpuE2ELNS1_3repE0EEENS1_30default_config_static_selectorELNS0_4arch9wavefront6targetE0EEEvT1_
    .private_segment_fixed_size: 0
    .sgpr_count:     14
    .sgpr_spill_count: 0
    .symbol:         _ZN7rocprim17ROCPRIM_400000_NS6detail17trampoline_kernelINS0_14default_configENS1_25transform_config_selectorImLb1EEEZNS1_14transform_implILb1ES3_S5_PmPjNS0_8identityIvEEEE10hipError_tT2_T3_mT4_P12ihipStream_tbEUlT_E_NS1_11comp_targetILNS1_3genE8ELNS1_11target_archE1030ELNS1_3gpuE2ELNS1_3repE0EEENS1_30default_config_static_selectorELNS0_4arch9wavefront6targetE0EEEvT1_.kd
    .uniform_work_group_size: 1
    .uses_dynamic_stack: false
    .vgpr_count:     2
    .vgpr_spill_count: 0
    .wavefront_size: 32
    .workgroup_processor_mode: 1
  - .args:
      - .address_space:  global
        .offset:         0
        .size:           8
        .value_kind:     global_buffer
      - .offset:         8
        .size:           4
        .value_kind:     by_value
      - .address_space:  global
        .offset:         16
        .size:           8
        .value_kind:     global_buffer
      - .offset:         24
        .size:           4
        .value_kind:     by_value
      - .address_space:  global
        .offset:         32
        .size:           8
        .value_kind:     global_buffer
      - .offset:         40
        .size:           4
        .value_kind:     hidden_block_count_x
      - .offset:         44
        .size:           4
        .value_kind:     hidden_block_count_y
      - .offset:         48
        .size:           4
        .value_kind:     hidden_block_count_z
      - .offset:         52
        .size:           2
        .value_kind:     hidden_group_size_x
      - .offset:         54
        .size:           2
        .value_kind:     hidden_group_size_y
      - .offset:         56
        .size:           2
        .value_kind:     hidden_group_size_z
      - .offset:         58
        .size:           2
        .value_kind:     hidden_remainder_x
      - .offset:         60
        .size:           2
        .value_kind:     hidden_remainder_y
      - .offset:         62
        .size:           2
        .value_kind:     hidden_remainder_z
      - .offset:         80
        .size:           8
        .value_kind:     hidden_global_offset_x
      - .offset:         88
        .size:           8
        .value_kind:     hidden_global_offset_y
      - .offset:         96
        .size:           8
        .value_kind:     hidden_global_offset_z
      - .offset:         104
        .size:           2
        .value_kind:     hidden_grid_dims
    .group_segment_fixed_size: 0
    .kernarg_segment_align: 8
    .kernarg_segment_size: 296
    .language:       OpenCL C
    .language_version:
      - 2
      - 0
    .max_flat_workgroup_size: 256
    .name:           _ZN7rocprim17ROCPRIM_400000_NS6detail31init_lookback_scan_state_kernelINS1_19lookback_scan_stateI15HIP_vector_typeIjLj2EELb1ELb1EEENS1_16block_id_wrapperIjLb1EEEEEvT_jT0_jPNS9_10value_typeE
    .private_segment_fixed_size: 0
    .sgpr_count:     14
    .sgpr_spill_count: 0
    .symbol:         _ZN7rocprim17ROCPRIM_400000_NS6detail31init_lookback_scan_state_kernelINS1_19lookback_scan_stateI15HIP_vector_typeIjLj2EELb1ELb1EEENS1_16block_id_wrapperIjLb1EEEEEvT_jT0_jPNS9_10value_typeE.kd
    .uniform_work_group_size: 1
    .uses_dynamic_stack: false
    .vgpr_count:     8
    .vgpr_spill_count: 0
    .wavefront_size: 32
    .workgroup_processor_mode: 1
  - .args:
      - .offset:         0
        .size:           184
        .value_kind:     by_value
    .group_segment_fixed_size: 0
    .kernarg_segment_align: 8
    .kernarg_segment_size: 184
    .language:       OpenCL C
    .language_version:
      - 2
      - 0
    .max_flat_workgroup_size: 256
    .name:           _ZN7rocprim17ROCPRIM_400000_NS6detail17trampoline_kernelINS0_13select_configILj256ELj13ELNS0_17block_load_methodE3ELS4_3ELS4_3ELNS0_20block_scan_algorithmE0ELj4294967295EEENS1_25partition_config_selectorILNS1_17partition_subalgoE4EjNS0_10empty_typeEbEEZZNS1_14partition_implILS8_4ELb0ES6_15HIP_vector_typeIjLj2EENS0_17counting_iteratorIjlEEPS9_SG_NS0_5tupleIJPjSI_NS0_16reverse_iteratorISI_EEEEENSH_IJSG_SG_SG_EEES9_SI_JZNS1_25segmented_radix_sort_implINS0_14default_configELb1EPKhPhPKlPlN2at6native12_GLOBAL__N_18offset_tEEE10hipError_tPvRmT1_PNSt15iterator_traitsIS12_E10value_typeET2_T3_PNS13_IS18_E10value_typeET4_jRbjT5_S1E_jjP12ihipStream_tbEUljE_ZNSN_ISO_Lb1ESQ_SR_ST_SU_SY_EESZ_S10_S11_S12_S16_S17_S18_S1B_S1C_jS1D_jS1E_S1E_jjS1G_bEUljE0_EEESZ_S10_S11_S18_S1C_S1E_T6_T7_T9_mT8_S1G_bDpT10_ENKUlT_T0_E_clISt17integral_constantIbLb1EES1U_EEDaS1P_S1Q_EUlS1P_E_NS1_11comp_targetILNS1_3genE0ELNS1_11target_archE4294967295ELNS1_3gpuE0ELNS1_3repE0EEENS1_30default_config_static_selectorELNS0_4arch9wavefront6targetE0EEEvS12_
    .private_segment_fixed_size: 0
    .sgpr_count:     0
    .sgpr_spill_count: 0
    .symbol:         _ZN7rocprim17ROCPRIM_400000_NS6detail17trampoline_kernelINS0_13select_configILj256ELj13ELNS0_17block_load_methodE3ELS4_3ELS4_3ELNS0_20block_scan_algorithmE0ELj4294967295EEENS1_25partition_config_selectorILNS1_17partition_subalgoE4EjNS0_10empty_typeEbEEZZNS1_14partition_implILS8_4ELb0ES6_15HIP_vector_typeIjLj2EENS0_17counting_iteratorIjlEEPS9_SG_NS0_5tupleIJPjSI_NS0_16reverse_iteratorISI_EEEEENSH_IJSG_SG_SG_EEES9_SI_JZNS1_25segmented_radix_sort_implINS0_14default_configELb1EPKhPhPKlPlN2at6native12_GLOBAL__N_18offset_tEEE10hipError_tPvRmT1_PNSt15iterator_traitsIS12_E10value_typeET2_T3_PNS13_IS18_E10value_typeET4_jRbjT5_S1E_jjP12ihipStream_tbEUljE_ZNSN_ISO_Lb1ESQ_SR_ST_SU_SY_EESZ_S10_S11_S12_S16_S17_S18_S1B_S1C_jS1D_jS1E_S1E_jjS1G_bEUljE0_EEESZ_S10_S11_S18_S1C_S1E_T6_T7_T9_mT8_S1G_bDpT10_ENKUlT_T0_E_clISt17integral_constantIbLb1EES1U_EEDaS1P_S1Q_EUlS1P_E_NS1_11comp_targetILNS1_3genE0ELNS1_11target_archE4294967295ELNS1_3gpuE0ELNS1_3repE0EEENS1_30default_config_static_selectorELNS0_4arch9wavefront6targetE0EEEvS12_.kd
    .uniform_work_group_size: 1
    .uses_dynamic_stack: false
    .vgpr_count:     0
    .vgpr_spill_count: 0
    .wavefront_size: 32
    .workgroup_processor_mode: 1
  - .args:
      - .offset:         0
        .size:           184
        .value_kind:     by_value
    .group_segment_fixed_size: 0
    .kernarg_segment_align: 8
    .kernarg_segment_size: 184
    .language:       OpenCL C
    .language_version:
      - 2
      - 0
    .max_flat_workgroup_size: 256
    .name:           _ZN7rocprim17ROCPRIM_400000_NS6detail17trampoline_kernelINS0_13select_configILj256ELj13ELNS0_17block_load_methodE3ELS4_3ELS4_3ELNS0_20block_scan_algorithmE0ELj4294967295EEENS1_25partition_config_selectorILNS1_17partition_subalgoE4EjNS0_10empty_typeEbEEZZNS1_14partition_implILS8_4ELb0ES6_15HIP_vector_typeIjLj2EENS0_17counting_iteratorIjlEEPS9_SG_NS0_5tupleIJPjSI_NS0_16reverse_iteratorISI_EEEEENSH_IJSG_SG_SG_EEES9_SI_JZNS1_25segmented_radix_sort_implINS0_14default_configELb1EPKhPhPKlPlN2at6native12_GLOBAL__N_18offset_tEEE10hipError_tPvRmT1_PNSt15iterator_traitsIS12_E10value_typeET2_T3_PNS13_IS18_E10value_typeET4_jRbjT5_S1E_jjP12ihipStream_tbEUljE_ZNSN_ISO_Lb1ESQ_SR_ST_SU_SY_EESZ_S10_S11_S12_S16_S17_S18_S1B_S1C_jS1D_jS1E_S1E_jjS1G_bEUljE0_EEESZ_S10_S11_S18_S1C_S1E_T6_T7_T9_mT8_S1G_bDpT10_ENKUlT_T0_E_clISt17integral_constantIbLb1EES1U_EEDaS1P_S1Q_EUlS1P_E_NS1_11comp_targetILNS1_3genE5ELNS1_11target_archE942ELNS1_3gpuE9ELNS1_3repE0EEENS1_30default_config_static_selectorELNS0_4arch9wavefront6targetE0EEEvS12_
    .private_segment_fixed_size: 0
    .sgpr_count:     0
    .sgpr_spill_count: 0
    .symbol:         _ZN7rocprim17ROCPRIM_400000_NS6detail17trampoline_kernelINS0_13select_configILj256ELj13ELNS0_17block_load_methodE3ELS4_3ELS4_3ELNS0_20block_scan_algorithmE0ELj4294967295EEENS1_25partition_config_selectorILNS1_17partition_subalgoE4EjNS0_10empty_typeEbEEZZNS1_14partition_implILS8_4ELb0ES6_15HIP_vector_typeIjLj2EENS0_17counting_iteratorIjlEEPS9_SG_NS0_5tupleIJPjSI_NS0_16reverse_iteratorISI_EEEEENSH_IJSG_SG_SG_EEES9_SI_JZNS1_25segmented_radix_sort_implINS0_14default_configELb1EPKhPhPKlPlN2at6native12_GLOBAL__N_18offset_tEEE10hipError_tPvRmT1_PNSt15iterator_traitsIS12_E10value_typeET2_T3_PNS13_IS18_E10value_typeET4_jRbjT5_S1E_jjP12ihipStream_tbEUljE_ZNSN_ISO_Lb1ESQ_SR_ST_SU_SY_EESZ_S10_S11_S12_S16_S17_S18_S1B_S1C_jS1D_jS1E_S1E_jjS1G_bEUljE0_EEESZ_S10_S11_S18_S1C_S1E_T6_T7_T9_mT8_S1G_bDpT10_ENKUlT_T0_E_clISt17integral_constantIbLb1EES1U_EEDaS1P_S1Q_EUlS1P_E_NS1_11comp_targetILNS1_3genE5ELNS1_11target_archE942ELNS1_3gpuE9ELNS1_3repE0EEENS1_30default_config_static_selectorELNS0_4arch9wavefront6targetE0EEEvS12_.kd
    .uniform_work_group_size: 1
    .uses_dynamic_stack: false
    .vgpr_count:     0
    .vgpr_spill_count: 0
    .wavefront_size: 32
    .workgroup_processor_mode: 1
  - .args:
      - .offset:         0
        .size:           184
        .value_kind:     by_value
    .group_segment_fixed_size: 0
    .kernarg_segment_align: 8
    .kernarg_segment_size: 184
    .language:       OpenCL C
    .language_version:
      - 2
      - 0
    .max_flat_workgroup_size: 256
    .name:           _ZN7rocprim17ROCPRIM_400000_NS6detail17trampoline_kernelINS0_13select_configILj256ELj13ELNS0_17block_load_methodE3ELS4_3ELS4_3ELNS0_20block_scan_algorithmE0ELj4294967295EEENS1_25partition_config_selectorILNS1_17partition_subalgoE4EjNS0_10empty_typeEbEEZZNS1_14partition_implILS8_4ELb0ES6_15HIP_vector_typeIjLj2EENS0_17counting_iteratorIjlEEPS9_SG_NS0_5tupleIJPjSI_NS0_16reverse_iteratorISI_EEEEENSH_IJSG_SG_SG_EEES9_SI_JZNS1_25segmented_radix_sort_implINS0_14default_configELb1EPKhPhPKlPlN2at6native12_GLOBAL__N_18offset_tEEE10hipError_tPvRmT1_PNSt15iterator_traitsIS12_E10value_typeET2_T3_PNS13_IS18_E10value_typeET4_jRbjT5_S1E_jjP12ihipStream_tbEUljE_ZNSN_ISO_Lb1ESQ_SR_ST_SU_SY_EESZ_S10_S11_S12_S16_S17_S18_S1B_S1C_jS1D_jS1E_S1E_jjS1G_bEUljE0_EEESZ_S10_S11_S18_S1C_S1E_T6_T7_T9_mT8_S1G_bDpT10_ENKUlT_T0_E_clISt17integral_constantIbLb1EES1U_EEDaS1P_S1Q_EUlS1P_E_NS1_11comp_targetILNS1_3genE4ELNS1_11target_archE910ELNS1_3gpuE8ELNS1_3repE0EEENS1_30default_config_static_selectorELNS0_4arch9wavefront6targetE0EEEvS12_
    .private_segment_fixed_size: 0
    .sgpr_count:     0
    .sgpr_spill_count: 0
    .symbol:         _ZN7rocprim17ROCPRIM_400000_NS6detail17trampoline_kernelINS0_13select_configILj256ELj13ELNS0_17block_load_methodE3ELS4_3ELS4_3ELNS0_20block_scan_algorithmE0ELj4294967295EEENS1_25partition_config_selectorILNS1_17partition_subalgoE4EjNS0_10empty_typeEbEEZZNS1_14partition_implILS8_4ELb0ES6_15HIP_vector_typeIjLj2EENS0_17counting_iteratorIjlEEPS9_SG_NS0_5tupleIJPjSI_NS0_16reverse_iteratorISI_EEEEENSH_IJSG_SG_SG_EEES9_SI_JZNS1_25segmented_radix_sort_implINS0_14default_configELb1EPKhPhPKlPlN2at6native12_GLOBAL__N_18offset_tEEE10hipError_tPvRmT1_PNSt15iterator_traitsIS12_E10value_typeET2_T3_PNS13_IS18_E10value_typeET4_jRbjT5_S1E_jjP12ihipStream_tbEUljE_ZNSN_ISO_Lb1ESQ_SR_ST_SU_SY_EESZ_S10_S11_S12_S16_S17_S18_S1B_S1C_jS1D_jS1E_S1E_jjS1G_bEUljE0_EEESZ_S10_S11_S18_S1C_S1E_T6_T7_T9_mT8_S1G_bDpT10_ENKUlT_T0_E_clISt17integral_constantIbLb1EES1U_EEDaS1P_S1Q_EUlS1P_E_NS1_11comp_targetILNS1_3genE4ELNS1_11target_archE910ELNS1_3gpuE8ELNS1_3repE0EEENS1_30default_config_static_selectorELNS0_4arch9wavefront6targetE0EEEvS12_.kd
    .uniform_work_group_size: 1
    .uses_dynamic_stack: false
    .vgpr_count:     0
    .vgpr_spill_count: 0
    .wavefront_size: 32
    .workgroup_processor_mode: 1
  - .args:
      - .offset:         0
        .size:           184
        .value_kind:     by_value
    .group_segment_fixed_size: 0
    .kernarg_segment_align: 8
    .kernarg_segment_size: 184
    .language:       OpenCL C
    .language_version:
      - 2
      - 0
    .max_flat_workgroup_size: 256
    .name:           _ZN7rocprim17ROCPRIM_400000_NS6detail17trampoline_kernelINS0_13select_configILj256ELj13ELNS0_17block_load_methodE3ELS4_3ELS4_3ELNS0_20block_scan_algorithmE0ELj4294967295EEENS1_25partition_config_selectorILNS1_17partition_subalgoE4EjNS0_10empty_typeEbEEZZNS1_14partition_implILS8_4ELb0ES6_15HIP_vector_typeIjLj2EENS0_17counting_iteratorIjlEEPS9_SG_NS0_5tupleIJPjSI_NS0_16reverse_iteratorISI_EEEEENSH_IJSG_SG_SG_EEES9_SI_JZNS1_25segmented_radix_sort_implINS0_14default_configELb1EPKhPhPKlPlN2at6native12_GLOBAL__N_18offset_tEEE10hipError_tPvRmT1_PNSt15iterator_traitsIS12_E10value_typeET2_T3_PNS13_IS18_E10value_typeET4_jRbjT5_S1E_jjP12ihipStream_tbEUljE_ZNSN_ISO_Lb1ESQ_SR_ST_SU_SY_EESZ_S10_S11_S12_S16_S17_S18_S1B_S1C_jS1D_jS1E_S1E_jjS1G_bEUljE0_EEESZ_S10_S11_S18_S1C_S1E_T6_T7_T9_mT8_S1G_bDpT10_ENKUlT_T0_E_clISt17integral_constantIbLb1EES1U_EEDaS1P_S1Q_EUlS1P_E_NS1_11comp_targetILNS1_3genE3ELNS1_11target_archE908ELNS1_3gpuE7ELNS1_3repE0EEENS1_30default_config_static_selectorELNS0_4arch9wavefront6targetE0EEEvS12_
    .private_segment_fixed_size: 0
    .sgpr_count:     0
    .sgpr_spill_count: 0
    .symbol:         _ZN7rocprim17ROCPRIM_400000_NS6detail17trampoline_kernelINS0_13select_configILj256ELj13ELNS0_17block_load_methodE3ELS4_3ELS4_3ELNS0_20block_scan_algorithmE0ELj4294967295EEENS1_25partition_config_selectorILNS1_17partition_subalgoE4EjNS0_10empty_typeEbEEZZNS1_14partition_implILS8_4ELb0ES6_15HIP_vector_typeIjLj2EENS0_17counting_iteratorIjlEEPS9_SG_NS0_5tupleIJPjSI_NS0_16reverse_iteratorISI_EEEEENSH_IJSG_SG_SG_EEES9_SI_JZNS1_25segmented_radix_sort_implINS0_14default_configELb1EPKhPhPKlPlN2at6native12_GLOBAL__N_18offset_tEEE10hipError_tPvRmT1_PNSt15iterator_traitsIS12_E10value_typeET2_T3_PNS13_IS18_E10value_typeET4_jRbjT5_S1E_jjP12ihipStream_tbEUljE_ZNSN_ISO_Lb1ESQ_SR_ST_SU_SY_EESZ_S10_S11_S12_S16_S17_S18_S1B_S1C_jS1D_jS1E_S1E_jjS1G_bEUljE0_EEESZ_S10_S11_S18_S1C_S1E_T6_T7_T9_mT8_S1G_bDpT10_ENKUlT_T0_E_clISt17integral_constantIbLb1EES1U_EEDaS1P_S1Q_EUlS1P_E_NS1_11comp_targetILNS1_3genE3ELNS1_11target_archE908ELNS1_3gpuE7ELNS1_3repE0EEENS1_30default_config_static_selectorELNS0_4arch9wavefront6targetE0EEEvS12_.kd
    .uniform_work_group_size: 1
    .uses_dynamic_stack: false
    .vgpr_count:     0
    .vgpr_spill_count: 0
    .wavefront_size: 32
    .workgroup_processor_mode: 1
  - .args:
      - .offset:         0
        .size:           184
        .value_kind:     by_value
    .group_segment_fixed_size: 0
    .kernarg_segment_align: 8
    .kernarg_segment_size: 184
    .language:       OpenCL C
    .language_version:
      - 2
      - 0
    .max_flat_workgroup_size: 256
    .name:           _ZN7rocprim17ROCPRIM_400000_NS6detail17trampoline_kernelINS0_13select_configILj256ELj13ELNS0_17block_load_methodE3ELS4_3ELS4_3ELNS0_20block_scan_algorithmE0ELj4294967295EEENS1_25partition_config_selectorILNS1_17partition_subalgoE4EjNS0_10empty_typeEbEEZZNS1_14partition_implILS8_4ELb0ES6_15HIP_vector_typeIjLj2EENS0_17counting_iteratorIjlEEPS9_SG_NS0_5tupleIJPjSI_NS0_16reverse_iteratorISI_EEEEENSH_IJSG_SG_SG_EEES9_SI_JZNS1_25segmented_radix_sort_implINS0_14default_configELb1EPKhPhPKlPlN2at6native12_GLOBAL__N_18offset_tEEE10hipError_tPvRmT1_PNSt15iterator_traitsIS12_E10value_typeET2_T3_PNS13_IS18_E10value_typeET4_jRbjT5_S1E_jjP12ihipStream_tbEUljE_ZNSN_ISO_Lb1ESQ_SR_ST_SU_SY_EESZ_S10_S11_S12_S16_S17_S18_S1B_S1C_jS1D_jS1E_S1E_jjS1G_bEUljE0_EEESZ_S10_S11_S18_S1C_S1E_T6_T7_T9_mT8_S1G_bDpT10_ENKUlT_T0_E_clISt17integral_constantIbLb1EES1U_EEDaS1P_S1Q_EUlS1P_E_NS1_11comp_targetILNS1_3genE2ELNS1_11target_archE906ELNS1_3gpuE6ELNS1_3repE0EEENS1_30default_config_static_selectorELNS0_4arch9wavefront6targetE0EEEvS12_
    .private_segment_fixed_size: 0
    .sgpr_count:     0
    .sgpr_spill_count: 0
    .symbol:         _ZN7rocprim17ROCPRIM_400000_NS6detail17trampoline_kernelINS0_13select_configILj256ELj13ELNS0_17block_load_methodE3ELS4_3ELS4_3ELNS0_20block_scan_algorithmE0ELj4294967295EEENS1_25partition_config_selectorILNS1_17partition_subalgoE4EjNS0_10empty_typeEbEEZZNS1_14partition_implILS8_4ELb0ES6_15HIP_vector_typeIjLj2EENS0_17counting_iteratorIjlEEPS9_SG_NS0_5tupleIJPjSI_NS0_16reverse_iteratorISI_EEEEENSH_IJSG_SG_SG_EEES9_SI_JZNS1_25segmented_radix_sort_implINS0_14default_configELb1EPKhPhPKlPlN2at6native12_GLOBAL__N_18offset_tEEE10hipError_tPvRmT1_PNSt15iterator_traitsIS12_E10value_typeET2_T3_PNS13_IS18_E10value_typeET4_jRbjT5_S1E_jjP12ihipStream_tbEUljE_ZNSN_ISO_Lb1ESQ_SR_ST_SU_SY_EESZ_S10_S11_S12_S16_S17_S18_S1B_S1C_jS1D_jS1E_S1E_jjS1G_bEUljE0_EEESZ_S10_S11_S18_S1C_S1E_T6_T7_T9_mT8_S1G_bDpT10_ENKUlT_T0_E_clISt17integral_constantIbLb1EES1U_EEDaS1P_S1Q_EUlS1P_E_NS1_11comp_targetILNS1_3genE2ELNS1_11target_archE906ELNS1_3gpuE6ELNS1_3repE0EEENS1_30default_config_static_selectorELNS0_4arch9wavefront6targetE0EEEvS12_.kd
    .uniform_work_group_size: 1
    .uses_dynamic_stack: false
    .vgpr_count:     0
    .vgpr_spill_count: 0
    .wavefront_size: 32
    .workgroup_processor_mode: 1
  - .args:
      - .offset:         0
        .size:           184
        .value_kind:     by_value
    .group_segment_fixed_size: 0
    .kernarg_segment_align: 8
    .kernarg_segment_size: 184
    .language:       OpenCL C
    .language_version:
      - 2
      - 0
    .max_flat_workgroup_size: 256
    .name:           _ZN7rocprim17ROCPRIM_400000_NS6detail17trampoline_kernelINS0_13select_configILj256ELj13ELNS0_17block_load_methodE3ELS4_3ELS4_3ELNS0_20block_scan_algorithmE0ELj4294967295EEENS1_25partition_config_selectorILNS1_17partition_subalgoE4EjNS0_10empty_typeEbEEZZNS1_14partition_implILS8_4ELb0ES6_15HIP_vector_typeIjLj2EENS0_17counting_iteratorIjlEEPS9_SG_NS0_5tupleIJPjSI_NS0_16reverse_iteratorISI_EEEEENSH_IJSG_SG_SG_EEES9_SI_JZNS1_25segmented_radix_sort_implINS0_14default_configELb1EPKhPhPKlPlN2at6native12_GLOBAL__N_18offset_tEEE10hipError_tPvRmT1_PNSt15iterator_traitsIS12_E10value_typeET2_T3_PNS13_IS18_E10value_typeET4_jRbjT5_S1E_jjP12ihipStream_tbEUljE_ZNSN_ISO_Lb1ESQ_SR_ST_SU_SY_EESZ_S10_S11_S12_S16_S17_S18_S1B_S1C_jS1D_jS1E_S1E_jjS1G_bEUljE0_EEESZ_S10_S11_S18_S1C_S1E_T6_T7_T9_mT8_S1G_bDpT10_ENKUlT_T0_E_clISt17integral_constantIbLb1EES1U_EEDaS1P_S1Q_EUlS1P_E_NS1_11comp_targetILNS1_3genE10ELNS1_11target_archE1200ELNS1_3gpuE4ELNS1_3repE0EEENS1_30default_config_static_selectorELNS0_4arch9wavefront6targetE0EEEvS12_
    .private_segment_fixed_size: 0
    .sgpr_count:     0
    .sgpr_spill_count: 0
    .symbol:         _ZN7rocprim17ROCPRIM_400000_NS6detail17trampoline_kernelINS0_13select_configILj256ELj13ELNS0_17block_load_methodE3ELS4_3ELS4_3ELNS0_20block_scan_algorithmE0ELj4294967295EEENS1_25partition_config_selectorILNS1_17partition_subalgoE4EjNS0_10empty_typeEbEEZZNS1_14partition_implILS8_4ELb0ES6_15HIP_vector_typeIjLj2EENS0_17counting_iteratorIjlEEPS9_SG_NS0_5tupleIJPjSI_NS0_16reverse_iteratorISI_EEEEENSH_IJSG_SG_SG_EEES9_SI_JZNS1_25segmented_radix_sort_implINS0_14default_configELb1EPKhPhPKlPlN2at6native12_GLOBAL__N_18offset_tEEE10hipError_tPvRmT1_PNSt15iterator_traitsIS12_E10value_typeET2_T3_PNS13_IS18_E10value_typeET4_jRbjT5_S1E_jjP12ihipStream_tbEUljE_ZNSN_ISO_Lb1ESQ_SR_ST_SU_SY_EESZ_S10_S11_S12_S16_S17_S18_S1B_S1C_jS1D_jS1E_S1E_jjS1G_bEUljE0_EEESZ_S10_S11_S18_S1C_S1E_T6_T7_T9_mT8_S1G_bDpT10_ENKUlT_T0_E_clISt17integral_constantIbLb1EES1U_EEDaS1P_S1Q_EUlS1P_E_NS1_11comp_targetILNS1_3genE10ELNS1_11target_archE1200ELNS1_3gpuE4ELNS1_3repE0EEENS1_30default_config_static_selectorELNS0_4arch9wavefront6targetE0EEEvS12_.kd
    .uniform_work_group_size: 1
    .uses_dynamic_stack: false
    .vgpr_count:     0
    .vgpr_spill_count: 0
    .wavefront_size: 32
    .workgroup_processor_mode: 1
  - .args:
      - .offset:         0
        .size:           184
        .value_kind:     by_value
    .group_segment_fixed_size: 0
    .kernarg_segment_align: 8
    .kernarg_segment_size: 184
    .language:       OpenCL C
    .language_version:
      - 2
      - 0
    .max_flat_workgroup_size: 256
    .name:           _ZN7rocprim17ROCPRIM_400000_NS6detail17trampoline_kernelINS0_13select_configILj256ELj13ELNS0_17block_load_methodE3ELS4_3ELS4_3ELNS0_20block_scan_algorithmE0ELj4294967295EEENS1_25partition_config_selectorILNS1_17partition_subalgoE4EjNS0_10empty_typeEbEEZZNS1_14partition_implILS8_4ELb0ES6_15HIP_vector_typeIjLj2EENS0_17counting_iteratorIjlEEPS9_SG_NS0_5tupleIJPjSI_NS0_16reverse_iteratorISI_EEEEENSH_IJSG_SG_SG_EEES9_SI_JZNS1_25segmented_radix_sort_implINS0_14default_configELb1EPKhPhPKlPlN2at6native12_GLOBAL__N_18offset_tEEE10hipError_tPvRmT1_PNSt15iterator_traitsIS12_E10value_typeET2_T3_PNS13_IS18_E10value_typeET4_jRbjT5_S1E_jjP12ihipStream_tbEUljE_ZNSN_ISO_Lb1ESQ_SR_ST_SU_SY_EESZ_S10_S11_S12_S16_S17_S18_S1B_S1C_jS1D_jS1E_S1E_jjS1G_bEUljE0_EEESZ_S10_S11_S18_S1C_S1E_T6_T7_T9_mT8_S1G_bDpT10_ENKUlT_T0_E_clISt17integral_constantIbLb1EES1U_EEDaS1P_S1Q_EUlS1P_E_NS1_11comp_targetILNS1_3genE9ELNS1_11target_archE1100ELNS1_3gpuE3ELNS1_3repE0EEENS1_30default_config_static_selectorELNS0_4arch9wavefront6targetE0EEEvS12_
    .private_segment_fixed_size: 0
    .sgpr_count:     0
    .sgpr_spill_count: 0
    .symbol:         _ZN7rocprim17ROCPRIM_400000_NS6detail17trampoline_kernelINS0_13select_configILj256ELj13ELNS0_17block_load_methodE3ELS4_3ELS4_3ELNS0_20block_scan_algorithmE0ELj4294967295EEENS1_25partition_config_selectorILNS1_17partition_subalgoE4EjNS0_10empty_typeEbEEZZNS1_14partition_implILS8_4ELb0ES6_15HIP_vector_typeIjLj2EENS0_17counting_iteratorIjlEEPS9_SG_NS0_5tupleIJPjSI_NS0_16reverse_iteratorISI_EEEEENSH_IJSG_SG_SG_EEES9_SI_JZNS1_25segmented_radix_sort_implINS0_14default_configELb1EPKhPhPKlPlN2at6native12_GLOBAL__N_18offset_tEEE10hipError_tPvRmT1_PNSt15iterator_traitsIS12_E10value_typeET2_T3_PNS13_IS18_E10value_typeET4_jRbjT5_S1E_jjP12ihipStream_tbEUljE_ZNSN_ISO_Lb1ESQ_SR_ST_SU_SY_EESZ_S10_S11_S12_S16_S17_S18_S1B_S1C_jS1D_jS1E_S1E_jjS1G_bEUljE0_EEESZ_S10_S11_S18_S1C_S1E_T6_T7_T9_mT8_S1G_bDpT10_ENKUlT_T0_E_clISt17integral_constantIbLb1EES1U_EEDaS1P_S1Q_EUlS1P_E_NS1_11comp_targetILNS1_3genE9ELNS1_11target_archE1100ELNS1_3gpuE3ELNS1_3repE0EEENS1_30default_config_static_selectorELNS0_4arch9wavefront6targetE0EEEvS12_.kd
    .uniform_work_group_size: 1
    .uses_dynamic_stack: false
    .vgpr_count:     0
    .vgpr_spill_count: 0
    .wavefront_size: 32
    .workgroup_processor_mode: 1
  - .args:
      - .offset:         0
        .size:           184
        .value_kind:     by_value
    .group_segment_fixed_size: 0
    .kernarg_segment_align: 8
    .kernarg_segment_size: 184
    .language:       OpenCL C
    .language_version:
      - 2
      - 0
    .max_flat_workgroup_size: 256
    .name:           _ZN7rocprim17ROCPRIM_400000_NS6detail17trampoline_kernelINS0_13select_configILj256ELj13ELNS0_17block_load_methodE3ELS4_3ELS4_3ELNS0_20block_scan_algorithmE0ELj4294967295EEENS1_25partition_config_selectorILNS1_17partition_subalgoE4EjNS0_10empty_typeEbEEZZNS1_14partition_implILS8_4ELb0ES6_15HIP_vector_typeIjLj2EENS0_17counting_iteratorIjlEEPS9_SG_NS0_5tupleIJPjSI_NS0_16reverse_iteratorISI_EEEEENSH_IJSG_SG_SG_EEES9_SI_JZNS1_25segmented_radix_sort_implINS0_14default_configELb1EPKhPhPKlPlN2at6native12_GLOBAL__N_18offset_tEEE10hipError_tPvRmT1_PNSt15iterator_traitsIS12_E10value_typeET2_T3_PNS13_IS18_E10value_typeET4_jRbjT5_S1E_jjP12ihipStream_tbEUljE_ZNSN_ISO_Lb1ESQ_SR_ST_SU_SY_EESZ_S10_S11_S12_S16_S17_S18_S1B_S1C_jS1D_jS1E_S1E_jjS1G_bEUljE0_EEESZ_S10_S11_S18_S1C_S1E_T6_T7_T9_mT8_S1G_bDpT10_ENKUlT_T0_E_clISt17integral_constantIbLb1EES1U_EEDaS1P_S1Q_EUlS1P_E_NS1_11comp_targetILNS1_3genE8ELNS1_11target_archE1030ELNS1_3gpuE2ELNS1_3repE0EEENS1_30default_config_static_selectorELNS0_4arch9wavefront6targetE0EEEvS12_
    .private_segment_fixed_size: 0
    .sgpr_count:     0
    .sgpr_spill_count: 0
    .symbol:         _ZN7rocprim17ROCPRIM_400000_NS6detail17trampoline_kernelINS0_13select_configILj256ELj13ELNS0_17block_load_methodE3ELS4_3ELS4_3ELNS0_20block_scan_algorithmE0ELj4294967295EEENS1_25partition_config_selectorILNS1_17partition_subalgoE4EjNS0_10empty_typeEbEEZZNS1_14partition_implILS8_4ELb0ES6_15HIP_vector_typeIjLj2EENS0_17counting_iteratorIjlEEPS9_SG_NS0_5tupleIJPjSI_NS0_16reverse_iteratorISI_EEEEENSH_IJSG_SG_SG_EEES9_SI_JZNS1_25segmented_radix_sort_implINS0_14default_configELb1EPKhPhPKlPlN2at6native12_GLOBAL__N_18offset_tEEE10hipError_tPvRmT1_PNSt15iterator_traitsIS12_E10value_typeET2_T3_PNS13_IS18_E10value_typeET4_jRbjT5_S1E_jjP12ihipStream_tbEUljE_ZNSN_ISO_Lb1ESQ_SR_ST_SU_SY_EESZ_S10_S11_S12_S16_S17_S18_S1B_S1C_jS1D_jS1E_S1E_jjS1G_bEUljE0_EEESZ_S10_S11_S18_S1C_S1E_T6_T7_T9_mT8_S1G_bDpT10_ENKUlT_T0_E_clISt17integral_constantIbLb1EES1U_EEDaS1P_S1Q_EUlS1P_E_NS1_11comp_targetILNS1_3genE8ELNS1_11target_archE1030ELNS1_3gpuE2ELNS1_3repE0EEENS1_30default_config_static_selectorELNS0_4arch9wavefront6targetE0EEEvS12_.kd
    .uniform_work_group_size: 1
    .uses_dynamic_stack: false
    .vgpr_count:     0
    .vgpr_spill_count: 0
    .wavefront_size: 32
    .workgroup_processor_mode: 1
  - .args:
      - .address_space:  global
        .offset:         0
        .size:           8
        .value_kind:     global_buffer
      - .offset:         8
        .size:           4
        .value_kind:     by_value
      - .offset:         12
        .size:           1
        .value_kind:     by_value
      - .offset:         16
        .size:           4
        .value_kind:     by_value
      - .address_space:  global
        .offset:         24
        .size:           8
        .value_kind:     global_buffer
      - .offset:         32
        .size:           4
        .value_kind:     hidden_block_count_x
      - .offset:         36
        .size:           4
        .value_kind:     hidden_block_count_y
      - .offset:         40
        .size:           4
        .value_kind:     hidden_block_count_z
      - .offset:         44
        .size:           2
        .value_kind:     hidden_group_size_x
      - .offset:         46
        .size:           2
        .value_kind:     hidden_group_size_y
      - .offset:         48
        .size:           2
        .value_kind:     hidden_group_size_z
      - .offset:         50
        .size:           2
        .value_kind:     hidden_remainder_x
      - .offset:         52
        .size:           2
        .value_kind:     hidden_remainder_y
      - .offset:         54
        .size:           2
        .value_kind:     hidden_remainder_z
      - .offset:         72
        .size:           8
        .value_kind:     hidden_global_offset_x
      - .offset:         80
        .size:           8
        .value_kind:     hidden_global_offset_y
      - .offset:         88
        .size:           8
        .value_kind:     hidden_global_offset_z
      - .offset:         96
        .size:           2
        .value_kind:     hidden_grid_dims
    .group_segment_fixed_size: 0
    .kernarg_segment_align: 8
    .kernarg_segment_size: 288
    .language:       OpenCL C
    .language_version:
      - 2
      - 0
    .max_flat_workgroup_size: 256
    .name:           _ZN7rocprim17ROCPRIM_400000_NS6detail31init_lookback_scan_state_kernelINS1_19lookback_scan_stateI15HIP_vector_typeIjLj2EELb1ELb1EEENS1_16block_id_wrapperIjLb0EEEEEvT_jT0_jPNS9_10value_typeE
    .private_segment_fixed_size: 0
    .sgpr_count:     12
    .sgpr_spill_count: 0
    .symbol:         _ZN7rocprim17ROCPRIM_400000_NS6detail31init_lookback_scan_state_kernelINS1_19lookback_scan_stateI15HIP_vector_typeIjLj2EELb1ELb1EEENS1_16block_id_wrapperIjLb0EEEEEvT_jT0_jPNS9_10value_typeE.kd
    .uniform_work_group_size: 1
    .uses_dynamic_stack: false
    .vgpr_count:     8
    .vgpr_spill_count: 0
    .wavefront_size: 32
    .workgroup_processor_mode: 1
  - .args:
      - .offset:         0
        .size:           176
        .value_kind:     by_value
    .group_segment_fixed_size: 0
    .kernarg_segment_align: 8
    .kernarg_segment_size: 176
    .language:       OpenCL C
    .language_version:
      - 2
      - 0
    .max_flat_workgroup_size: 256
    .name:           _ZN7rocprim17ROCPRIM_400000_NS6detail17trampoline_kernelINS0_13select_configILj256ELj13ELNS0_17block_load_methodE3ELS4_3ELS4_3ELNS0_20block_scan_algorithmE0ELj4294967295EEENS1_25partition_config_selectorILNS1_17partition_subalgoE4EjNS0_10empty_typeEbEEZZNS1_14partition_implILS8_4ELb0ES6_15HIP_vector_typeIjLj2EENS0_17counting_iteratorIjlEEPS9_SG_NS0_5tupleIJPjSI_NS0_16reverse_iteratorISI_EEEEENSH_IJSG_SG_SG_EEES9_SI_JZNS1_25segmented_radix_sort_implINS0_14default_configELb1EPKhPhPKlPlN2at6native12_GLOBAL__N_18offset_tEEE10hipError_tPvRmT1_PNSt15iterator_traitsIS12_E10value_typeET2_T3_PNS13_IS18_E10value_typeET4_jRbjT5_S1E_jjP12ihipStream_tbEUljE_ZNSN_ISO_Lb1ESQ_SR_ST_SU_SY_EESZ_S10_S11_S12_S16_S17_S18_S1B_S1C_jS1D_jS1E_S1E_jjS1G_bEUljE0_EEESZ_S10_S11_S18_S1C_S1E_T6_T7_T9_mT8_S1G_bDpT10_ENKUlT_T0_E_clISt17integral_constantIbLb1EES1T_IbLb0EEEEDaS1P_S1Q_EUlS1P_E_NS1_11comp_targetILNS1_3genE0ELNS1_11target_archE4294967295ELNS1_3gpuE0ELNS1_3repE0EEENS1_30default_config_static_selectorELNS0_4arch9wavefront6targetE0EEEvS12_
    .private_segment_fixed_size: 0
    .sgpr_count:     0
    .sgpr_spill_count: 0
    .symbol:         _ZN7rocprim17ROCPRIM_400000_NS6detail17trampoline_kernelINS0_13select_configILj256ELj13ELNS0_17block_load_methodE3ELS4_3ELS4_3ELNS0_20block_scan_algorithmE0ELj4294967295EEENS1_25partition_config_selectorILNS1_17partition_subalgoE4EjNS0_10empty_typeEbEEZZNS1_14partition_implILS8_4ELb0ES6_15HIP_vector_typeIjLj2EENS0_17counting_iteratorIjlEEPS9_SG_NS0_5tupleIJPjSI_NS0_16reverse_iteratorISI_EEEEENSH_IJSG_SG_SG_EEES9_SI_JZNS1_25segmented_radix_sort_implINS0_14default_configELb1EPKhPhPKlPlN2at6native12_GLOBAL__N_18offset_tEEE10hipError_tPvRmT1_PNSt15iterator_traitsIS12_E10value_typeET2_T3_PNS13_IS18_E10value_typeET4_jRbjT5_S1E_jjP12ihipStream_tbEUljE_ZNSN_ISO_Lb1ESQ_SR_ST_SU_SY_EESZ_S10_S11_S12_S16_S17_S18_S1B_S1C_jS1D_jS1E_S1E_jjS1G_bEUljE0_EEESZ_S10_S11_S18_S1C_S1E_T6_T7_T9_mT8_S1G_bDpT10_ENKUlT_T0_E_clISt17integral_constantIbLb1EES1T_IbLb0EEEEDaS1P_S1Q_EUlS1P_E_NS1_11comp_targetILNS1_3genE0ELNS1_11target_archE4294967295ELNS1_3gpuE0ELNS1_3repE0EEENS1_30default_config_static_selectorELNS0_4arch9wavefront6targetE0EEEvS12_.kd
    .uniform_work_group_size: 1
    .uses_dynamic_stack: false
    .vgpr_count:     0
    .vgpr_spill_count: 0
    .wavefront_size: 32
    .workgroup_processor_mode: 1
  - .args:
      - .offset:         0
        .size:           176
        .value_kind:     by_value
    .group_segment_fixed_size: 0
    .kernarg_segment_align: 8
    .kernarg_segment_size: 176
    .language:       OpenCL C
    .language_version:
      - 2
      - 0
    .max_flat_workgroup_size: 256
    .name:           _ZN7rocprim17ROCPRIM_400000_NS6detail17trampoline_kernelINS0_13select_configILj256ELj13ELNS0_17block_load_methodE3ELS4_3ELS4_3ELNS0_20block_scan_algorithmE0ELj4294967295EEENS1_25partition_config_selectorILNS1_17partition_subalgoE4EjNS0_10empty_typeEbEEZZNS1_14partition_implILS8_4ELb0ES6_15HIP_vector_typeIjLj2EENS0_17counting_iteratorIjlEEPS9_SG_NS0_5tupleIJPjSI_NS0_16reverse_iteratorISI_EEEEENSH_IJSG_SG_SG_EEES9_SI_JZNS1_25segmented_radix_sort_implINS0_14default_configELb1EPKhPhPKlPlN2at6native12_GLOBAL__N_18offset_tEEE10hipError_tPvRmT1_PNSt15iterator_traitsIS12_E10value_typeET2_T3_PNS13_IS18_E10value_typeET4_jRbjT5_S1E_jjP12ihipStream_tbEUljE_ZNSN_ISO_Lb1ESQ_SR_ST_SU_SY_EESZ_S10_S11_S12_S16_S17_S18_S1B_S1C_jS1D_jS1E_S1E_jjS1G_bEUljE0_EEESZ_S10_S11_S18_S1C_S1E_T6_T7_T9_mT8_S1G_bDpT10_ENKUlT_T0_E_clISt17integral_constantIbLb1EES1T_IbLb0EEEEDaS1P_S1Q_EUlS1P_E_NS1_11comp_targetILNS1_3genE5ELNS1_11target_archE942ELNS1_3gpuE9ELNS1_3repE0EEENS1_30default_config_static_selectorELNS0_4arch9wavefront6targetE0EEEvS12_
    .private_segment_fixed_size: 0
    .sgpr_count:     0
    .sgpr_spill_count: 0
    .symbol:         _ZN7rocprim17ROCPRIM_400000_NS6detail17trampoline_kernelINS0_13select_configILj256ELj13ELNS0_17block_load_methodE3ELS4_3ELS4_3ELNS0_20block_scan_algorithmE0ELj4294967295EEENS1_25partition_config_selectorILNS1_17partition_subalgoE4EjNS0_10empty_typeEbEEZZNS1_14partition_implILS8_4ELb0ES6_15HIP_vector_typeIjLj2EENS0_17counting_iteratorIjlEEPS9_SG_NS0_5tupleIJPjSI_NS0_16reverse_iteratorISI_EEEEENSH_IJSG_SG_SG_EEES9_SI_JZNS1_25segmented_radix_sort_implINS0_14default_configELb1EPKhPhPKlPlN2at6native12_GLOBAL__N_18offset_tEEE10hipError_tPvRmT1_PNSt15iterator_traitsIS12_E10value_typeET2_T3_PNS13_IS18_E10value_typeET4_jRbjT5_S1E_jjP12ihipStream_tbEUljE_ZNSN_ISO_Lb1ESQ_SR_ST_SU_SY_EESZ_S10_S11_S12_S16_S17_S18_S1B_S1C_jS1D_jS1E_S1E_jjS1G_bEUljE0_EEESZ_S10_S11_S18_S1C_S1E_T6_T7_T9_mT8_S1G_bDpT10_ENKUlT_T0_E_clISt17integral_constantIbLb1EES1T_IbLb0EEEEDaS1P_S1Q_EUlS1P_E_NS1_11comp_targetILNS1_3genE5ELNS1_11target_archE942ELNS1_3gpuE9ELNS1_3repE0EEENS1_30default_config_static_selectorELNS0_4arch9wavefront6targetE0EEEvS12_.kd
    .uniform_work_group_size: 1
    .uses_dynamic_stack: false
    .vgpr_count:     0
    .vgpr_spill_count: 0
    .wavefront_size: 32
    .workgroup_processor_mode: 1
  - .args:
      - .offset:         0
        .size:           176
        .value_kind:     by_value
    .group_segment_fixed_size: 0
    .kernarg_segment_align: 8
    .kernarg_segment_size: 176
    .language:       OpenCL C
    .language_version:
      - 2
      - 0
    .max_flat_workgroup_size: 256
    .name:           _ZN7rocprim17ROCPRIM_400000_NS6detail17trampoline_kernelINS0_13select_configILj256ELj13ELNS0_17block_load_methodE3ELS4_3ELS4_3ELNS0_20block_scan_algorithmE0ELj4294967295EEENS1_25partition_config_selectorILNS1_17partition_subalgoE4EjNS0_10empty_typeEbEEZZNS1_14partition_implILS8_4ELb0ES6_15HIP_vector_typeIjLj2EENS0_17counting_iteratorIjlEEPS9_SG_NS0_5tupleIJPjSI_NS0_16reverse_iteratorISI_EEEEENSH_IJSG_SG_SG_EEES9_SI_JZNS1_25segmented_radix_sort_implINS0_14default_configELb1EPKhPhPKlPlN2at6native12_GLOBAL__N_18offset_tEEE10hipError_tPvRmT1_PNSt15iterator_traitsIS12_E10value_typeET2_T3_PNS13_IS18_E10value_typeET4_jRbjT5_S1E_jjP12ihipStream_tbEUljE_ZNSN_ISO_Lb1ESQ_SR_ST_SU_SY_EESZ_S10_S11_S12_S16_S17_S18_S1B_S1C_jS1D_jS1E_S1E_jjS1G_bEUljE0_EEESZ_S10_S11_S18_S1C_S1E_T6_T7_T9_mT8_S1G_bDpT10_ENKUlT_T0_E_clISt17integral_constantIbLb1EES1T_IbLb0EEEEDaS1P_S1Q_EUlS1P_E_NS1_11comp_targetILNS1_3genE4ELNS1_11target_archE910ELNS1_3gpuE8ELNS1_3repE0EEENS1_30default_config_static_selectorELNS0_4arch9wavefront6targetE0EEEvS12_
    .private_segment_fixed_size: 0
    .sgpr_count:     0
    .sgpr_spill_count: 0
    .symbol:         _ZN7rocprim17ROCPRIM_400000_NS6detail17trampoline_kernelINS0_13select_configILj256ELj13ELNS0_17block_load_methodE3ELS4_3ELS4_3ELNS0_20block_scan_algorithmE0ELj4294967295EEENS1_25partition_config_selectorILNS1_17partition_subalgoE4EjNS0_10empty_typeEbEEZZNS1_14partition_implILS8_4ELb0ES6_15HIP_vector_typeIjLj2EENS0_17counting_iteratorIjlEEPS9_SG_NS0_5tupleIJPjSI_NS0_16reverse_iteratorISI_EEEEENSH_IJSG_SG_SG_EEES9_SI_JZNS1_25segmented_radix_sort_implINS0_14default_configELb1EPKhPhPKlPlN2at6native12_GLOBAL__N_18offset_tEEE10hipError_tPvRmT1_PNSt15iterator_traitsIS12_E10value_typeET2_T3_PNS13_IS18_E10value_typeET4_jRbjT5_S1E_jjP12ihipStream_tbEUljE_ZNSN_ISO_Lb1ESQ_SR_ST_SU_SY_EESZ_S10_S11_S12_S16_S17_S18_S1B_S1C_jS1D_jS1E_S1E_jjS1G_bEUljE0_EEESZ_S10_S11_S18_S1C_S1E_T6_T7_T9_mT8_S1G_bDpT10_ENKUlT_T0_E_clISt17integral_constantIbLb1EES1T_IbLb0EEEEDaS1P_S1Q_EUlS1P_E_NS1_11comp_targetILNS1_3genE4ELNS1_11target_archE910ELNS1_3gpuE8ELNS1_3repE0EEENS1_30default_config_static_selectorELNS0_4arch9wavefront6targetE0EEEvS12_.kd
    .uniform_work_group_size: 1
    .uses_dynamic_stack: false
    .vgpr_count:     0
    .vgpr_spill_count: 0
    .wavefront_size: 32
    .workgroup_processor_mode: 1
  - .args:
      - .offset:         0
        .size:           176
        .value_kind:     by_value
    .group_segment_fixed_size: 0
    .kernarg_segment_align: 8
    .kernarg_segment_size: 176
    .language:       OpenCL C
    .language_version:
      - 2
      - 0
    .max_flat_workgroup_size: 256
    .name:           _ZN7rocprim17ROCPRIM_400000_NS6detail17trampoline_kernelINS0_13select_configILj256ELj13ELNS0_17block_load_methodE3ELS4_3ELS4_3ELNS0_20block_scan_algorithmE0ELj4294967295EEENS1_25partition_config_selectorILNS1_17partition_subalgoE4EjNS0_10empty_typeEbEEZZNS1_14partition_implILS8_4ELb0ES6_15HIP_vector_typeIjLj2EENS0_17counting_iteratorIjlEEPS9_SG_NS0_5tupleIJPjSI_NS0_16reverse_iteratorISI_EEEEENSH_IJSG_SG_SG_EEES9_SI_JZNS1_25segmented_radix_sort_implINS0_14default_configELb1EPKhPhPKlPlN2at6native12_GLOBAL__N_18offset_tEEE10hipError_tPvRmT1_PNSt15iterator_traitsIS12_E10value_typeET2_T3_PNS13_IS18_E10value_typeET4_jRbjT5_S1E_jjP12ihipStream_tbEUljE_ZNSN_ISO_Lb1ESQ_SR_ST_SU_SY_EESZ_S10_S11_S12_S16_S17_S18_S1B_S1C_jS1D_jS1E_S1E_jjS1G_bEUljE0_EEESZ_S10_S11_S18_S1C_S1E_T6_T7_T9_mT8_S1G_bDpT10_ENKUlT_T0_E_clISt17integral_constantIbLb1EES1T_IbLb0EEEEDaS1P_S1Q_EUlS1P_E_NS1_11comp_targetILNS1_3genE3ELNS1_11target_archE908ELNS1_3gpuE7ELNS1_3repE0EEENS1_30default_config_static_selectorELNS0_4arch9wavefront6targetE0EEEvS12_
    .private_segment_fixed_size: 0
    .sgpr_count:     0
    .sgpr_spill_count: 0
    .symbol:         _ZN7rocprim17ROCPRIM_400000_NS6detail17trampoline_kernelINS0_13select_configILj256ELj13ELNS0_17block_load_methodE3ELS4_3ELS4_3ELNS0_20block_scan_algorithmE0ELj4294967295EEENS1_25partition_config_selectorILNS1_17partition_subalgoE4EjNS0_10empty_typeEbEEZZNS1_14partition_implILS8_4ELb0ES6_15HIP_vector_typeIjLj2EENS0_17counting_iteratorIjlEEPS9_SG_NS0_5tupleIJPjSI_NS0_16reverse_iteratorISI_EEEEENSH_IJSG_SG_SG_EEES9_SI_JZNS1_25segmented_radix_sort_implINS0_14default_configELb1EPKhPhPKlPlN2at6native12_GLOBAL__N_18offset_tEEE10hipError_tPvRmT1_PNSt15iterator_traitsIS12_E10value_typeET2_T3_PNS13_IS18_E10value_typeET4_jRbjT5_S1E_jjP12ihipStream_tbEUljE_ZNSN_ISO_Lb1ESQ_SR_ST_SU_SY_EESZ_S10_S11_S12_S16_S17_S18_S1B_S1C_jS1D_jS1E_S1E_jjS1G_bEUljE0_EEESZ_S10_S11_S18_S1C_S1E_T6_T7_T9_mT8_S1G_bDpT10_ENKUlT_T0_E_clISt17integral_constantIbLb1EES1T_IbLb0EEEEDaS1P_S1Q_EUlS1P_E_NS1_11comp_targetILNS1_3genE3ELNS1_11target_archE908ELNS1_3gpuE7ELNS1_3repE0EEENS1_30default_config_static_selectorELNS0_4arch9wavefront6targetE0EEEvS12_.kd
    .uniform_work_group_size: 1
    .uses_dynamic_stack: false
    .vgpr_count:     0
    .vgpr_spill_count: 0
    .wavefront_size: 32
    .workgroup_processor_mode: 1
  - .args:
      - .offset:         0
        .size:           176
        .value_kind:     by_value
    .group_segment_fixed_size: 0
    .kernarg_segment_align: 8
    .kernarg_segment_size: 176
    .language:       OpenCL C
    .language_version:
      - 2
      - 0
    .max_flat_workgroup_size: 256
    .name:           _ZN7rocprim17ROCPRIM_400000_NS6detail17trampoline_kernelINS0_13select_configILj256ELj13ELNS0_17block_load_methodE3ELS4_3ELS4_3ELNS0_20block_scan_algorithmE0ELj4294967295EEENS1_25partition_config_selectorILNS1_17partition_subalgoE4EjNS0_10empty_typeEbEEZZNS1_14partition_implILS8_4ELb0ES6_15HIP_vector_typeIjLj2EENS0_17counting_iteratorIjlEEPS9_SG_NS0_5tupleIJPjSI_NS0_16reverse_iteratorISI_EEEEENSH_IJSG_SG_SG_EEES9_SI_JZNS1_25segmented_radix_sort_implINS0_14default_configELb1EPKhPhPKlPlN2at6native12_GLOBAL__N_18offset_tEEE10hipError_tPvRmT1_PNSt15iterator_traitsIS12_E10value_typeET2_T3_PNS13_IS18_E10value_typeET4_jRbjT5_S1E_jjP12ihipStream_tbEUljE_ZNSN_ISO_Lb1ESQ_SR_ST_SU_SY_EESZ_S10_S11_S12_S16_S17_S18_S1B_S1C_jS1D_jS1E_S1E_jjS1G_bEUljE0_EEESZ_S10_S11_S18_S1C_S1E_T6_T7_T9_mT8_S1G_bDpT10_ENKUlT_T0_E_clISt17integral_constantIbLb1EES1T_IbLb0EEEEDaS1P_S1Q_EUlS1P_E_NS1_11comp_targetILNS1_3genE2ELNS1_11target_archE906ELNS1_3gpuE6ELNS1_3repE0EEENS1_30default_config_static_selectorELNS0_4arch9wavefront6targetE0EEEvS12_
    .private_segment_fixed_size: 0
    .sgpr_count:     0
    .sgpr_spill_count: 0
    .symbol:         _ZN7rocprim17ROCPRIM_400000_NS6detail17trampoline_kernelINS0_13select_configILj256ELj13ELNS0_17block_load_methodE3ELS4_3ELS4_3ELNS0_20block_scan_algorithmE0ELj4294967295EEENS1_25partition_config_selectorILNS1_17partition_subalgoE4EjNS0_10empty_typeEbEEZZNS1_14partition_implILS8_4ELb0ES6_15HIP_vector_typeIjLj2EENS0_17counting_iteratorIjlEEPS9_SG_NS0_5tupleIJPjSI_NS0_16reverse_iteratorISI_EEEEENSH_IJSG_SG_SG_EEES9_SI_JZNS1_25segmented_radix_sort_implINS0_14default_configELb1EPKhPhPKlPlN2at6native12_GLOBAL__N_18offset_tEEE10hipError_tPvRmT1_PNSt15iterator_traitsIS12_E10value_typeET2_T3_PNS13_IS18_E10value_typeET4_jRbjT5_S1E_jjP12ihipStream_tbEUljE_ZNSN_ISO_Lb1ESQ_SR_ST_SU_SY_EESZ_S10_S11_S12_S16_S17_S18_S1B_S1C_jS1D_jS1E_S1E_jjS1G_bEUljE0_EEESZ_S10_S11_S18_S1C_S1E_T6_T7_T9_mT8_S1G_bDpT10_ENKUlT_T0_E_clISt17integral_constantIbLb1EES1T_IbLb0EEEEDaS1P_S1Q_EUlS1P_E_NS1_11comp_targetILNS1_3genE2ELNS1_11target_archE906ELNS1_3gpuE6ELNS1_3repE0EEENS1_30default_config_static_selectorELNS0_4arch9wavefront6targetE0EEEvS12_.kd
    .uniform_work_group_size: 1
    .uses_dynamic_stack: false
    .vgpr_count:     0
    .vgpr_spill_count: 0
    .wavefront_size: 32
    .workgroup_processor_mode: 1
  - .args:
      - .offset:         0
        .size:           176
        .value_kind:     by_value
    .group_segment_fixed_size: 0
    .kernarg_segment_align: 8
    .kernarg_segment_size: 176
    .language:       OpenCL C
    .language_version:
      - 2
      - 0
    .max_flat_workgroup_size: 256
    .name:           _ZN7rocprim17ROCPRIM_400000_NS6detail17trampoline_kernelINS0_13select_configILj256ELj13ELNS0_17block_load_methodE3ELS4_3ELS4_3ELNS0_20block_scan_algorithmE0ELj4294967295EEENS1_25partition_config_selectorILNS1_17partition_subalgoE4EjNS0_10empty_typeEbEEZZNS1_14partition_implILS8_4ELb0ES6_15HIP_vector_typeIjLj2EENS0_17counting_iteratorIjlEEPS9_SG_NS0_5tupleIJPjSI_NS0_16reverse_iteratorISI_EEEEENSH_IJSG_SG_SG_EEES9_SI_JZNS1_25segmented_radix_sort_implINS0_14default_configELb1EPKhPhPKlPlN2at6native12_GLOBAL__N_18offset_tEEE10hipError_tPvRmT1_PNSt15iterator_traitsIS12_E10value_typeET2_T3_PNS13_IS18_E10value_typeET4_jRbjT5_S1E_jjP12ihipStream_tbEUljE_ZNSN_ISO_Lb1ESQ_SR_ST_SU_SY_EESZ_S10_S11_S12_S16_S17_S18_S1B_S1C_jS1D_jS1E_S1E_jjS1G_bEUljE0_EEESZ_S10_S11_S18_S1C_S1E_T6_T7_T9_mT8_S1G_bDpT10_ENKUlT_T0_E_clISt17integral_constantIbLb1EES1T_IbLb0EEEEDaS1P_S1Q_EUlS1P_E_NS1_11comp_targetILNS1_3genE10ELNS1_11target_archE1200ELNS1_3gpuE4ELNS1_3repE0EEENS1_30default_config_static_selectorELNS0_4arch9wavefront6targetE0EEEvS12_
    .private_segment_fixed_size: 0
    .sgpr_count:     0
    .sgpr_spill_count: 0
    .symbol:         _ZN7rocprim17ROCPRIM_400000_NS6detail17trampoline_kernelINS0_13select_configILj256ELj13ELNS0_17block_load_methodE3ELS4_3ELS4_3ELNS0_20block_scan_algorithmE0ELj4294967295EEENS1_25partition_config_selectorILNS1_17partition_subalgoE4EjNS0_10empty_typeEbEEZZNS1_14partition_implILS8_4ELb0ES6_15HIP_vector_typeIjLj2EENS0_17counting_iteratorIjlEEPS9_SG_NS0_5tupleIJPjSI_NS0_16reverse_iteratorISI_EEEEENSH_IJSG_SG_SG_EEES9_SI_JZNS1_25segmented_radix_sort_implINS0_14default_configELb1EPKhPhPKlPlN2at6native12_GLOBAL__N_18offset_tEEE10hipError_tPvRmT1_PNSt15iterator_traitsIS12_E10value_typeET2_T3_PNS13_IS18_E10value_typeET4_jRbjT5_S1E_jjP12ihipStream_tbEUljE_ZNSN_ISO_Lb1ESQ_SR_ST_SU_SY_EESZ_S10_S11_S12_S16_S17_S18_S1B_S1C_jS1D_jS1E_S1E_jjS1G_bEUljE0_EEESZ_S10_S11_S18_S1C_S1E_T6_T7_T9_mT8_S1G_bDpT10_ENKUlT_T0_E_clISt17integral_constantIbLb1EES1T_IbLb0EEEEDaS1P_S1Q_EUlS1P_E_NS1_11comp_targetILNS1_3genE10ELNS1_11target_archE1200ELNS1_3gpuE4ELNS1_3repE0EEENS1_30default_config_static_selectorELNS0_4arch9wavefront6targetE0EEEvS12_.kd
    .uniform_work_group_size: 1
    .uses_dynamic_stack: false
    .vgpr_count:     0
    .vgpr_spill_count: 0
    .wavefront_size: 32
    .workgroup_processor_mode: 1
  - .args:
      - .offset:         0
        .size:           176
        .value_kind:     by_value
    .group_segment_fixed_size: 0
    .kernarg_segment_align: 8
    .kernarg_segment_size: 176
    .language:       OpenCL C
    .language_version:
      - 2
      - 0
    .max_flat_workgroup_size: 256
    .name:           _ZN7rocprim17ROCPRIM_400000_NS6detail17trampoline_kernelINS0_13select_configILj256ELj13ELNS0_17block_load_methodE3ELS4_3ELS4_3ELNS0_20block_scan_algorithmE0ELj4294967295EEENS1_25partition_config_selectorILNS1_17partition_subalgoE4EjNS0_10empty_typeEbEEZZNS1_14partition_implILS8_4ELb0ES6_15HIP_vector_typeIjLj2EENS0_17counting_iteratorIjlEEPS9_SG_NS0_5tupleIJPjSI_NS0_16reverse_iteratorISI_EEEEENSH_IJSG_SG_SG_EEES9_SI_JZNS1_25segmented_radix_sort_implINS0_14default_configELb1EPKhPhPKlPlN2at6native12_GLOBAL__N_18offset_tEEE10hipError_tPvRmT1_PNSt15iterator_traitsIS12_E10value_typeET2_T3_PNS13_IS18_E10value_typeET4_jRbjT5_S1E_jjP12ihipStream_tbEUljE_ZNSN_ISO_Lb1ESQ_SR_ST_SU_SY_EESZ_S10_S11_S12_S16_S17_S18_S1B_S1C_jS1D_jS1E_S1E_jjS1G_bEUljE0_EEESZ_S10_S11_S18_S1C_S1E_T6_T7_T9_mT8_S1G_bDpT10_ENKUlT_T0_E_clISt17integral_constantIbLb1EES1T_IbLb0EEEEDaS1P_S1Q_EUlS1P_E_NS1_11comp_targetILNS1_3genE9ELNS1_11target_archE1100ELNS1_3gpuE3ELNS1_3repE0EEENS1_30default_config_static_selectorELNS0_4arch9wavefront6targetE0EEEvS12_
    .private_segment_fixed_size: 0
    .sgpr_count:     0
    .sgpr_spill_count: 0
    .symbol:         _ZN7rocprim17ROCPRIM_400000_NS6detail17trampoline_kernelINS0_13select_configILj256ELj13ELNS0_17block_load_methodE3ELS4_3ELS4_3ELNS0_20block_scan_algorithmE0ELj4294967295EEENS1_25partition_config_selectorILNS1_17partition_subalgoE4EjNS0_10empty_typeEbEEZZNS1_14partition_implILS8_4ELb0ES6_15HIP_vector_typeIjLj2EENS0_17counting_iteratorIjlEEPS9_SG_NS0_5tupleIJPjSI_NS0_16reverse_iteratorISI_EEEEENSH_IJSG_SG_SG_EEES9_SI_JZNS1_25segmented_radix_sort_implINS0_14default_configELb1EPKhPhPKlPlN2at6native12_GLOBAL__N_18offset_tEEE10hipError_tPvRmT1_PNSt15iterator_traitsIS12_E10value_typeET2_T3_PNS13_IS18_E10value_typeET4_jRbjT5_S1E_jjP12ihipStream_tbEUljE_ZNSN_ISO_Lb1ESQ_SR_ST_SU_SY_EESZ_S10_S11_S12_S16_S17_S18_S1B_S1C_jS1D_jS1E_S1E_jjS1G_bEUljE0_EEESZ_S10_S11_S18_S1C_S1E_T6_T7_T9_mT8_S1G_bDpT10_ENKUlT_T0_E_clISt17integral_constantIbLb1EES1T_IbLb0EEEEDaS1P_S1Q_EUlS1P_E_NS1_11comp_targetILNS1_3genE9ELNS1_11target_archE1100ELNS1_3gpuE3ELNS1_3repE0EEENS1_30default_config_static_selectorELNS0_4arch9wavefront6targetE0EEEvS12_.kd
    .uniform_work_group_size: 1
    .uses_dynamic_stack: false
    .vgpr_count:     0
    .vgpr_spill_count: 0
    .wavefront_size: 32
    .workgroup_processor_mode: 1
  - .args:
      - .offset:         0
        .size:           176
        .value_kind:     by_value
    .group_segment_fixed_size: 0
    .kernarg_segment_align: 8
    .kernarg_segment_size: 176
    .language:       OpenCL C
    .language_version:
      - 2
      - 0
    .max_flat_workgroup_size: 256
    .name:           _ZN7rocprim17ROCPRIM_400000_NS6detail17trampoline_kernelINS0_13select_configILj256ELj13ELNS0_17block_load_methodE3ELS4_3ELS4_3ELNS0_20block_scan_algorithmE0ELj4294967295EEENS1_25partition_config_selectorILNS1_17partition_subalgoE4EjNS0_10empty_typeEbEEZZNS1_14partition_implILS8_4ELb0ES6_15HIP_vector_typeIjLj2EENS0_17counting_iteratorIjlEEPS9_SG_NS0_5tupleIJPjSI_NS0_16reverse_iteratorISI_EEEEENSH_IJSG_SG_SG_EEES9_SI_JZNS1_25segmented_radix_sort_implINS0_14default_configELb1EPKhPhPKlPlN2at6native12_GLOBAL__N_18offset_tEEE10hipError_tPvRmT1_PNSt15iterator_traitsIS12_E10value_typeET2_T3_PNS13_IS18_E10value_typeET4_jRbjT5_S1E_jjP12ihipStream_tbEUljE_ZNSN_ISO_Lb1ESQ_SR_ST_SU_SY_EESZ_S10_S11_S12_S16_S17_S18_S1B_S1C_jS1D_jS1E_S1E_jjS1G_bEUljE0_EEESZ_S10_S11_S18_S1C_S1E_T6_T7_T9_mT8_S1G_bDpT10_ENKUlT_T0_E_clISt17integral_constantIbLb1EES1T_IbLb0EEEEDaS1P_S1Q_EUlS1P_E_NS1_11comp_targetILNS1_3genE8ELNS1_11target_archE1030ELNS1_3gpuE2ELNS1_3repE0EEENS1_30default_config_static_selectorELNS0_4arch9wavefront6targetE0EEEvS12_
    .private_segment_fixed_size: 0
    .sgpr_count:     0
    .sgpr_spill_count: 0
    .symbol:         _ZN7rocprim17ROCPRIM_400000_NS6detail17trampoline_kernelINS0_13select_configILj256ELj13ELNS0_17block_load_methodE3ELS4_3ELS4_3ELNS0_20block_scan_algorithmE0ELj4294967295EEENS1_25partition_config_selectorILNS1_17partition_subalgoE4EjNS0_10empty_typeEbEEZZNS1_14partition_implILS8_4ELb0ES6_15HIP_vector_typeIjLj2EENS0_17counting_iteratorIjlEEPS9_SG_NS0_5tupleIJPjSI_NS0_16reverse_iteratorISI_EEEEENSH_IJSG_SG_SG_EEES9_SI_JZNS1_25segmented_radix_sort_implINS0_14default_configELb1EPKhPhPKlPlN2at6native12_GLOBAL__N_18offset_tEEE10hipError_tPvRmT1_PNSt15iterator_traitsIS12_E10value_typeET2_T3_PNS13_IS18_E10value_typeET4_jRbjT5_S1E_jjP12ihipStream_tbEUljE_ZNSN_ISO_Lb1ESQ_SR_ST_SU_SY_EESZ_S10_S11_S12_S16_S17_S18_S1B_S1C_jS1D_jS1E_S1E_jjS1G_bEUljE0_EEESZ_S10_S11_S18_S1C_S1E_T6_T7_T9_mT8_S1G_bDpT10_ENKUlT_T0_E_clISt17integral_constantIbLb1EES1T_IbLb0EEEEDaS1P_S1Q_EUlS1P_E_NS1_11comp_targetILNS1_3genE8ELNS1_11target_archE1030ELNS1_3gpuE2ELNS1_3repE0EEENS1_30default_config_static_selectorELNS0_4arch9wavefront6targetE0EEEvS12_.kd
    .uniform_work_group_size: 1
    .uses_dynamic_stack: false
    .vgpr_count:     0
    .vgpr_spill_count: 0
    .wavefront_size: 32
    .workgroup_processor_mode: 1
  - .args:
      - .address_space:  global
        .offset:         0
        .size:           8
        .value_kind:     global_buffer
      - .offset:         8
        .size:           4
        .value_kind:     by_value
      - .address_space:  global
        .offset:         16
        .size:           8
        .value_kind:     global_buffer
      - .offset:         24
        .size:           4
        .value_kind:     by_value
      - .address_space:  global
        .offset:         32
        .size:           8
        .value_kind:     global_buffer
      - .offset:         40
        .size:           4
        .value_kind:     hidden_block_count_x
      - .offset:         44
        .size:           4
        .value_kind:     hidden_block_count_y
      - .offset:         48
        .size:           4
        .value_kind:     hidden_block_count_z
      - .offset:         52
        .size:           2
        .value_kind:     hidden_group_size_x
      - .offset:         54
        .size:           2
        .value_kind:     hidden_group_size_y
      - .offset:         56
        .size:           2
        .value_kind:     hidden_group_size_z
      - .offset:         58
        .size:           2
        .value_kind:     hidden_remainder_x
      - .offset:         60
        .size:           2
        .value_kind:     hidden_remainder_y
      - .offset:         62
        .size:           2
        .value_kind:     hidden_remainder_z
      - .offset:         80
        .size:           8
        .value_kind:     hidden_global_offset_x
      - .offset:         88
        .size:           8
        .value_kind:     hidden_global_offset_y
      - .offset:         96
        .size:           8
        .value_kind:     hidden_global_offset_z
      - .offset:         104
        .size:           2
        .value_kind:     hidden_grid_dims
    .group_segment_fixed_size: 0
    .kernarg_segment_align: 8
    .kernarg_segment_size: 296
    .language:       OpenCL C
    .language_version:
      - 2
      - 0
    .max_flat_workgroup_size: 256
    .name:           _ZN7rocprim17ROCPRIM_400000_NS6detail31init_lookback_scan_state_kernelINS1_19lookback_scan_stateI15HIP_vector_typeIjLj2EELb0ELb1EEENS1_16block_id_wrapperIjLb1EEEEEvT_jT0_jPNS9_10value_typeE
    .private_segment_fixed_size: 0
    .sgpr_count:     13
    .sgpr_spill_count: 0
    .symbol:         _ZN7rocprim17ROCPRIM_400000_NS6detail31init_lookback_scan_state_kernelINS1_19lookback_scan_stateI15HIP_vector_typeIjLj2EELb0ELb1EEENS1_16block_id_wrapperIjLb1EEEEEvT_jT0_jPNS9_10value_typeE.kd
    .uniform_work_group_size: 1
    .uses_dynamic_stack: false
    .vgpr_count:     8
    .vgpr_spill_count: 0
    .wavefront_size: 32
    .workgroup_processor_mode: 1
  - .args:
      - .offset:         0
        .size:           184
        .value_kind:     by_value
    .group_segment_fixed_size: 0
    .kernarg_segment_align: 8
    .kernarg_segment_size: 184
    .language:       OpenCL C
    .language_version:
      - 2
      - 0
    .max_flat_workgroup_size: 256
    .name:           _ZN7rocprim17ROCPRIM_400000_NS6detail17trampoline_kernelINS0_13select_configILj256ELj13ELNS0_17block_load_methodE3ELS4_3ELS4_3ELNS0_20block_scan_algorithmE0ELj4294967295EEENS1_25partition_config_selectorILNS1_17partition_subalgoE4EjNS0_10empty_typeEbEEZZNS1_14partition_implILS8_4ELb0ES6_15HIP_vector_typeIjLj2EENS0_17counting_iteratorIjlEEPS9_SG_NS0_5tupleIJPjSI_NS0_16reverse_iteratorISI_EEEEENSH_IJSG_SG_SG_EEES9_SI_JZNS1_25segmented_radix_sort_implINS0_14default_configELb1EPKhPhPKlPlN2at6native12_GLOBAL__N_18offset_tEEE10hipError_tPvRmT1_PNSt15iterator_traitsIS12_E10value_typeET2_T3_PNS13_IS18_E10value_typeET4_jRbjT5_S1E_jjP12ihipStream_tbEUljE_ZNSN_ISO_Lb1ESQ_SR_ST_SU_SY_EESZ_S10_S11_S12_S16_S17_S18_S1B_S1C_jS1D_jS1E_S1E_jjS1G_bEUljE0_EEESZ_S10_S11_S18_S1C_S1E_T6_T7_T9_mT8_S1G_bDpT10_ENKUlT_T0_E_clISt17integral_constantIbLb0EES1T_IbLb1EEEEDaS1P_S1Q_EUlS1P_E_NS1_11comp_targetILNS1_3genE0ELNS1_11target_archE4294967295ELNS1_3gpuE0ELNS1_3repE0EEENS1_30default_config_static_selectorELNS0_4arch9wavefront6targetE0EEEvS12_
    .private_segment_fixed_size: 0
    .sgpr_count:     0
    .sgpr_spill_count: 0
    .symbol:         _ZN7rocprim17ROCPRIM_400000_NS6detail17trampoline_kernelINS0_13select_configILj256ELj13ELNS0_17block_load_methodE3ELS4_3ELS4_3ELNS0_20block_scan_algorithmE0ELj4294967295EEENS1_25partition_config_selectorILNS1_17partition_subalgoE4EjNS0_10empty_typeEbEEZZNS1_14partition_implILS8_4ELb0ES6_15HIP_vector_typeIjLj2EENS0_17counting_iteratorIjlEEPS9_SG_NS0_5tupleIJPjSI_NS0_16reverse_iteratorISI_EEEEENSH_IJSG_SG_SG_EEES9_SI_JZNS1_25segmented_radix_sort_implINS0_14default_configELb1EPKhPhPKlPlN2at6native12_GLOBAL__N_18offset_tEEE10hipError_tPvRmT1_PNSt15iterator_traitsIS12_E10value_typeET2_T3_PNS13_IS18_E10value_typeET4_jRbjT5_S1E_jjP12ihipStream_tbEUljE_ZNSN_ISO_Lb1ESQ_SR_ST_SU_SY_EESZ_S10_S11_S12_S16_S17_S18_S1B_S1C_jS1D_jS1E_S1E_jjS1G_bEUljE0_EEESZ_S10_S11_S18_S1C_S1E_T6_T7_T9_mT8_S1G_bDpT10_ENKUlT_T0_E_clISt17integral_constantIbLb0EES1T_IbLb1EEEEDaS1P_S1Q_EUlS1P_E_NS1_11comp_targetILNS1_3genE0ELNS1_11target_archE4294967295ELNS1_3gpuE0ELNS1_3repE0EEENS1_30default_config_static_selectorELNS0_4arch9wavefront6targetE0EEEvS12_.kd
    .uniform_work_group_size: 1
    .uses_dynamic_stack: false
    .vgpr_count:     0
    .vgpr_spill_count: 0
    .wavefront_size: 32
    .workgroup_processor_mode: 1
  - .args:
      - .offset:         0
        .size:           184
        .value_kind:     by_value
    .group_segment_fixed_size: 0
    .kernarg_segment_align: 8
    .kernarg_segment_size: 184
    .language:       OpenCL C
    .language_version:
      - 2
      - 0
    .max_flat_workgroup_size: 256
    .name:           _ZN7rocprim17ROCPRIM_400000_NS6detail17trampoline_kernelINS0_13select_configILj256ELj13ELNS0_17block_load_methodE3ELS4_3ELS4_3ELNS0_20block_scan_algorithmE0ELj4294967295EEENS1_25partition_config_selectorILNS1_17partition_subalgoE4EjNS0_10empty_typeEbEEZZNS1_14partition_implILS8_4ELb0ES6_15HIP_vector_typeIjLj2EENS0_17counting_iteratorIjlEEPS9_SG_NS0_5tupleIJPjSI_NS0_16reverse_iteratorISI_EEEEENSH_IJSG_SG_SG_EEES9_SI_JZNS1_25segmented_radix_sort_implINS0_14default_configELb1EPKhPhPKlPlN2at6native12_GLOBAL__N_18offset_tEEE10hipError_tPvRmT1_PNSt15iterator_traitsIS12_E10value_typeET2_T3_PNS13_IS18_E10value_typeET4_jRbjT5_S1E_jjP12ihipStream_tbEUljE_ZNSN_ISO_Lb1ESQ_SR_ST_SU_SY_EESZ_S10_S11_S12_S16_S17_S18_S1B_S1C_jS1D_jS1E_S1E_jjS1G_bEUljE0_EEESZ_S10_S11_S18_S1C_S1E_T6_T7_T9_mT8_S1G_bDpT10_ENKUlT_T0_E_clISt17integral_constantIbLb0EES1T_IbLb1EEEEDaS1P_S1Q_EUlS1P_E_NS1_11comp_targetILNS1_3genE5ELNS1_11target_archE942ELNS1_3gpuE9ELNS1_3repE0EEENS1_30default_config_static_selectorELNS0_4arch9wavefront6targetE0EEEvS12_
    .private_segment_fixed_size: 0
    .sgpr_count:     0
    .sgpr_spill_count: 0
    .symbol:         _ZN7rocprim17ROCPRIM_400000_NS6detail17trampoline_kernelINS0_13select_configILj256ELj13ELNS0_17block_load_methodE3ELS4_3ELS4_3ELNS0_20block_scan_algorithmE0ELj4294967295EEENS1_25partition_config_selectorILNS1_17partition_subalgoE4EjNS0_10empty_typeEbEEZZNS1_14partition_implILS8_4ELb0ES6_15HIP_vector_typeIjLj2EENS0_17counting_iteratorIjlEEPS9_SG_NS0_5tupleIJPjSI_NS0_16reverse_iteratorISI_EEEEENSH_IJSG_SG_SG_EEES9_SI_JZNS1_25segmented_radix_sort_implINS0_14default_configELb1EPKhPhPKlPlN2at6native12_GLOBAL__N_18offset_tEEE10hipError_tPvRmT1_PNSt15iterator_traitsIS12_E10value_typeET2_T3_PNS13_IS18_E10value_typeET4_jRbjT5_S1E_jjP12ihipStream_tbEUljE_ZNSN_ISO_Lb1ESQ_SR_ST_SU_SY_EESZ_S10_S11_S12_S16_S17_S18_S1B_S1C_jS1D_jS1E_S1E_jjS1G_bEUljE0_EEESZ_S10_S11_S18_S1C_S1E_T6_T7_T9_mT8_S1G_bDpT10_ENKUlT_T0_E_clISt17integral_constantIbLb0EES1T_IbLb1EEEEDaS1P_S1Q_EUlS1P_E_NS1_11comp_targetILNS1_3genE5ELNS1_11target_archE942ELNS1_3gpuE9ELNS1_3repE0EEENS1_30default_config_static_selectorELNS0_4arch9wavefront6targetE0EEEvS12_.kd
    .uniform_work_group_size: 1
    .uses_dynamic_stack: false
    .vgpr_count:     0
    .vgpr_spill_count: 0
    .wavefront_size: 32
    .workgroup_processor_mode: 1
  - .args:
      - .offset:         0
        .size:           184
        .value_kind:     by_value
    .group_segment_fixed_size: 0
    .kernarg_segment_align: 8
    .kernarg_segment_size: 184
    .language:       OpenCL C
    .language_version:
      - 2
      - 0
    .max_flat_workgroup_size: 256
    .name:           _ZN7rocprim17ROCPRIM_400000_NS6detail17trampoline_kernelINS0_13select_configILj256ELj13ELNS0_17block_load_methodE3ELS4_3ELS4_3ELNS0_20block_scan_algorithmE0ELj4294967295EEENS1_25partition_config_selectorILNS1_17partition_subalgoE4EjNS0_10empty_typeEbEEZZNS1_14partition_implILS8_4ELb0ES6_15HIP_vector_typeIjLj2EENS0_17counting_iteratorIjlEEPS9_SG_NS0_5tupleIJPjSI_NS0_16reverse_iteratorISI_EEEEENSH_IJSG_SG_SG_EEES9_SI_JZNS1_25segmented_radix_sort_implINS0_14default_configELb1EPKhPhPKlPlN2at6native12_GLOBAL__N_18offset_tEEE10hipError_tPvRmT1_PNSt15iterator_traitsIS12_E10value_typeET2_T3_PNS13_IS18_E10value_typeET4_jRbjT5_S1E_jjP12ihipStream_tbEUljE_ZNSN_ISO_Lb1ESQ_SR_ST_SU_SY_EESZ_S10_S11_S12_S16_S17_S18_S1B_S1C_jS1D_jS1E_S1E_jjS1G_bEUljE0_EEESZ_S10_S11_S18_S1C_S1E_T6_T7_T9_mT8_S1G_bDpT10_ENKUlT_T0_E_clISt17integral_constantIbLb0EES1T_IbLb1EEEEDaS1P_S1Q_EUlS1P_E_NS1_11comp_targetILNS1_3genE4ELNS1_11target_archE910ELNS1_3gpuE8ELNS1_3repE0EEENS1_30default_config_static_selectorELNS0_4arch9wavefront6targetE0EEEvS12_
    .private_segment_fixed_size: 0
    .sgpr_count:     0
    .sgpr_spill_count: 0
    .symbol:         _ZN7rocprim17ROCPRIM_400000_NS6detail17trampoline_kernelINS0_13select_configILj256ELj13ELNS0_17block_load_methodE3ELS4_3ELS4_3ELNS0_20block_scan_algorithmE0ELj4294967295EEENS1_25partition_config_selectorILNS1_17partition_subalgoE4EjNS0_10empty_typeEbEEZZNS1_14partition_implILS8_4ELb0ES6_15HIP_vector_typeIjLj2EENS0_17counting_iteratorIjlEEPS9_SG_NS0_5tupleIJPjSI_NS0_16reverse_iteratorISI_EEEEENSH_IJSG_SG_SG_EEES9_SI_JZNS1_25segmented_radix_sort_implINS0_14default_configELb1EPKhPhPKlPlN2at6native12_GLOBAL__N_18offset_tEEE10hipError_tPvRmT1_PNSt15iterator_traitsIS12_E10value_typeET2_T3_PNS13_IS18_E10value_typeET4_jRbjT5_S1E_jjP12ihipStream_tbEUljE_ZNSN_ISO_Lb1ESQ_SR_ST_SU_SY_EESZ_S10_S11_S12_S16_S17_S18_S1B_S1C_jS1D_jS1E_S1E_jjS1G_bEUljE0_EEESZ_S10_S11_S18_S1C_S1E_T6_T7_T9_mT8_S1G_bDpT10_ENKUlT_T0_E_clISt17integral_constantIbLb0EES1T_IbLb1EEEEDaS1P_S1Q_EUlS1P_E_NS1_11comp_targetILNS1_3genE4ELNS1_11target_archE910ELNS1_3gpuE8ELNS1_3repE0EEENS1_30default_config_static_selectorELNS0_4arch9wavefront6targetE0EEEvS12_.kd
    .uniform_work_group_size: 1
    .uses_dynamic_stack: false
    .vgpr_count:     0
    .vgpr_spill_count: 0
    .wavefront_size: 32
    .workgroup_processor_mode: 1
  - .args:
      - .offset:         0
        .size:           184
        .value_kind:     by_value
    .group_segment_fixed_size: 0
    .kernarg_segment_align: 8
    .kernarg_segment_size: 184
    .language:       OpenCL C
    .language_version:
      - 2
      - 0
    .max_flat_workgroup_size: 256
    .name:           _ZN7rocprim17ROCPRIM_400000_NS6detail17trampoline_kernelINS0_13select_configILj256ELj13ELNS0_17block_load_methodE3ELS4_3ELS4_3ELNS0_20block_scan_algorithmE0ELj4294967295EEENS1_25partition_config_selectorILNS1_17partition_subalgoE4EjNS0_10empty_typeEbEEZZNS1_14partition_implILS8_4ELb0ES6_15HIP_vector_typeIjLj2EENS0_17counting_iteratorIjlEEPS9_SG_NS0_5tupleIJPjSI_NS0_16reverse_iteratorISI_EEEEENSH_IJSG_SG_SG_EEES9_SI_JZNS1_25segmented_radix_sort_implINS0_14default_configELb1EPKhPhPKlPlN2at6native12_GLOBAL__N_18offset_tEEE10hipError_tPvRmT1_PNSt15iterator_traitsIS12_E10value_typeET2_T3_PNS13_IS18_E10value_typeET4_jRbjT5_S1E_jjP12ihipStream_tbEUljE_ZNSN_ISO_Lb1ESQ_SR_ST_SU_SY_EESZ_S10_S11_S12_S16_S17_S18_S1B_S1C_jS1D_jS1E_S1E_jjS1G_bEUljE0_EEESZ_S10_S11_S18_S1C_S1E_T6_T7_T9_mT8_S1G_bDpT10_ENKUlT_T0_E_clISt17integral_constantIbLb0EES1T_IbLb1EEEEDaS1P_S1Q_EUlS1P_E_NS1_11comp_targetILNS1_3genE3ELNS1_11target_archE908ELNS1_3gpuE7ELNS1_3repE0EEENS1_30default_config_static_selectorELNS0_4arch9wavefront6targetE0EEEvS12_
    .private_segment_fixed_size: 0
    .sgpr_count:     0
    .sgpr_spill_count: 0
    .symbol:         _ZN7rocprim17ROCPRIM_400000_NS6detail17trampoline_kernelINS0_13select_configILj256ELj13ELNS0_17block_load_methodE3ELS4_3ELS4_3ELNS0_20block_scan_algorithmE0ELj4294967295EEENS1_25partition_config_selectorILNS1_17partition_subalgoE4EjNS0_10empty_typeEbEEZZNS1_14partition_implILS8_4ELb0ES6_15HIP_vector_typeIjLj2EENS0_17counting_iteratorIjlEEPS9_SG_NS0_5tupleIJPjSI_NS0_16reverse_iteratorISI_EEEEENSH_IJSG_SG_SG_EEES9_SI_JZNS1_25segmented_radix_sort_implINS0_14default_configELb1EPKhPhPKlPlN2at6native12_GLOBAL__N_18offset_tEEE10hipError_tPvRmT1_PNSt15iterator_traitsIS12_E10value_typeET2_T3_PNS13_IS18_E10value_typeET4_jRbjT5_S1E_jjP12ihipStream_tbEUljE_ZNSN_ISO_Lb1ESQ_SR_ST_SU_SY_EESZ_S10_S11_S12_S16_S17_S18_S1B_S1C_jS1D_jS1E_S1E_jjS1G_bEUljE0_EEESZ_S10_S11_S18_S1C_S1E_T6_T7_T9_mT8_S1G_bDpT10_ENKUlT_T0_E_clISt17integral_constantIbLb0EES1T_IbLb1EEEEDaS1P_S1Q_EUlS1P_E_NS1_11comp_targetILNS1_3genE3ELNS1_11target_archE908ELNS1_3gpuE7ELNS1_3repE0EEENS1_30default_config_static_selectorELNS0_4arch9wavefront6targetE0EEEvS12_.kd
    .uniform_work_group_size: 1
    .uses_dynamic_stack: false
    .vgpr_count:     0
    .vgpr_spill_count: 0
    .wavefront_size: 32
    .workgroup_processor_mode: 1
  - .args:
      - .offset:         0
        .size:           184
        .value_kind:     by_value
    .group_segment_fixed_size: 0
    .kernarg_segment_align: 8
    .kernarg_segment_size: 184
    .language:       OpenCL C
    .language_version:
      - 2
      - 0
    .max_flat_workgroup_size: 256
    .name:           _ZN7rocprim17ROCPRIM_400000_NS6detail17trampoline_kernelINS0_13select_configILj256ELj13ELNS0_17block_load_methodE3ELS4_3ELS4_3ELNS0_20block_scan_algorithmE0ELj4294967295EEENS1_25partition_config_selectorILNS1_17partition_subalgoE4EjNS0_10empty_typeEbEEZZNS1_14partition_implILS8_4ELb0ES6_15HIP_vector_typeIjLj2EENS0_17counting_iteratorIjlEEPS9_SG_NS0_5tupleIJPjSI_NS0_16reverse_iteratorISI_EEEEENSH_IJSG_SG_SG_EEES9_SI_JZNS1_25segmented_radix_sort_implINS0_14default_configELb1EPKhPhPKlPlN2at6native12_GLOBAL__N_18offset_tEEE10hipError_tPvRmT1_PNSt15iterator_traitsIS12_E10value_typeET2_T3_PNS13_IS18_E10value_typeET4_jRbjT5_S1E_jjP12ihipStream_tbEUljE_ZNSN_ISO_Lb1ESQ_SR_ST_SU_SY_EESZ_S10_S11_S12_S16_S17_S18_S1B_S1C_jS1D_jS1E_S1E_jjS1G_bEUljE0_EEESZ_S10_S11_S18_S1C_S1E_T6_T7_T9_mT8_S1G_bDpT10_ENKUlT_T0_E_clISt17integral_constantIbLb0EES1T_IbLb1EEEEDaS1P_S1Q_EUlS1P_E_NS1_11comp_targetILNS1_3genE2ELNS1_11target_archE906ELNS1_3gpuE6ELNS1_3repE0EEENS1_30default_config_static_selectorELNS0_4arch9wavefront6targetE0EEEvS12_
    .private_segment_fixed_size: 0
    .sgpr_count:     0
    .sgpr_spill_count: 0
    .symbol:         _ZN7rocprim17ROCPRIM_400000_NS6detail17trampoline_kernelINS0_13select_configILj256ELj13ELNS0_17block_load_methodE3ELS4_3ELS4_3ELNS0_20block_scan_algorithmE0ELj4294967295EEENS1_25partition_config_selectorILNS1_17partition_subalgoE4EjNS0_10empty_typeEbEEZZNS1_14partition_implILS8_4ELb0ES6_15HIP_vector_typeIjLj2EENS0_17counting_iteratorIjlEEPS9_SG_NS0_5tupleIJPjSI_NS0_16reverse_iteratorISI_EEEEENSH_IJSG_SG_SG_EEES9_SI_JZNS1_25segmented_radix_sort_implINS0_14default_configELb1EPKhPhPKlPlN2at6native12_GLOBAL__N_18offset_tEEE10hipError_tPvRmT1_PNSt15iterator_traitsIS12_E10value_typeET2_T3_PNS13_IS18_E10value_typeET4_jRbjT5_S1E_jjP12ihipStream_tbEUljE_ZNSN_ISO_Lb1ESQ_SR_ST_SU_SY_EESZ_S10_S11_S12_S16_S17_S18_S1B_S1C_jS1D_jS1E_S1E_jjS1G_bEUljE0_EEESZ_S10_S11_S18_S1C_S1E_T6_T7_T9_mT8_S1G_bDpT10_ENKUlT_T0_E_clISt17integral_constantIbLb0EES1T_IbLb1EEEEDaS1P_S1Q_EUlS1P_E_NS1_11comp_targetILNS1_3genE2ELNS1_11target_archE906ELNS1_3gpuE6ELNS1_3repE0EEENS1_30default_config_static_selectorELNS0_4arch9wavefront6targetE0EEEvS12_.kd
    .uniform_work_group_size: 1
    .uses_dynamic_stack: false
    .vgpr_count:     0
    .vgpr_spill_count: 0
    .wavefront_size: 32
    .workgroup_processor_mode: 1
  - .args:
      - .offset:         0
        .size:           184
        .value_kind:     by_value
    .group_segment_fixed_size: 0
    .kernarg_segment_align: 8
    .kernarg_segment_size: 184
    .language:       OpenCL C
    .language_version:
      - 2
      - 0
    .max_flat_workgroup_size: 256
    .name:           _ZN7rocprim17ROCPRIM_400000_NS6detail17trampoline_kernelINS0_13select_configILj256ELj13ELNS0_17block_load_methodE3ELS4_3ELS4_3ELNS0_20block_scan_algorithmE0ELj4294967295EEENS1_25partition_config_selectorILNS1_17partition_subalgoE4EjNS0_10empty_typeEbEEZZNS1_14partition_implILS8_4ELb0ES6_15HIP_vector_typeIjLj2EENS0_17counting_iteratorIjlEEPS9_SG_NS0_5tupleIJPjSI_NS0_16reverse_iteratorISI_EEEEENSH_IJSG_SG_SG_EEES9_SI_JZNS1_25segmented_radix_sort_implINS0_14default_configELb1EPKhPhPKlPlN2at6native12_GLOBAL__N_18offset_tEEE10hipError_tPvRmT1_PNSt15iterator_traitsIS12_E10value_typeET2_T3_PNS13_IS18_E10value_typeET4_jRbjT5_S1E_jjP12ihipStream_tbEUljE_ZNSN_ISO_Lb1ESQ_SR_ST_SU_SY_EESZ_S10_S11_S12_S16_S17_S18_S1B_S1C_jS1D_jS1E_S1E_jjS1G_bEUljE0_EEESZ_S10_S11_S18_S1C_S1E_T6_T7_T9_mT8_S1G_bDpT10_ENKUlT_T0_E_clISt17integral_constantIbLb0EES1T_IbLb1EEEEDaS1P_S1Q_EUlS1P_E_NS1_11comp_targetILNS1_3genE10ELNS1_11target_archE1200ELNS1_3gpuE4ELNS1_3repE0EEENS1_30default_config_static_selectorELNS0_4arch9wavefront6targetE0EEEvS12_
    .private_segment_fixed_size: 0
    .sgpr_count:     0
    .sgpr_spill_count: 0
    .symbol:         _ZN7rocprim17ROCPRIM_400000_NS6detail17trampoline_kernelINS0_13select_configILj256ELj13ELNS0_17block_load_methodE3ELS4_3ELS4_3ELNS0_20block_scan_algorithmE0ELj4294967295EEENS1_25partition_config_selectorILNS1_17partition_subalgoE4EjNS0_10empty_typeEbEEZZNS1_14partition_implILS8_4ELb0ES6_15HIP_vector_typeIjLj2EENS0_17counting_iteratorIjlEEPS9_SG_NS0_5tupleIJPjSI_NS0_16reverse_iteratorISI_EEEEENSH_IJSG_SG_SG_EEES9_SI_JZNS1_25segmented_radix_sort_implINS0_14default_configELb1EPKhPhPKlPlN2at6native12_GLOBAL__N_18offset_tEEE10hipError_tPvRmT1_PNSt15iterator_traitsIS12_E10value_typeET2_T3_PNS13_IS18_E10value_typeET4_jRbjT5_S1E_jjP12ihipStream_tbEUljE_ZNSN_ISO_Lb1ESQ_SR_ST_SU_SY_EESZ_S10_S11_S12_S16_S17_S18_S1B_S1C_jS1D_jS1E_S1E_jjS1G_bEUljE0_EEESZ_S10_S11_S18_S1C_S1E_T6_T7_T9_mT8_S1G_bDpT10_ENKUlT_T0_E_clISt17integral_constantIbLb0EES1T_IbLb1EEEEDaS1P_S1Q_EUlS1P_E_NS1_11comp_targetILNS1_3genE10ELNS1_11target_archE1200ELNS1_3gpuE4ELNS1_3repE0EEENS1_30default_config_static_selectorELNS0_4arch9wavefront6targetE0EEEvS12_.kd
    .uniform_work_group_size: 1
    .uses_dynamic_stack: false
    .vgpr_count:     0
    .vgpr_spill_count: 0
    .wavefront_size: 32
    .workgroup_processor_mode: 1
  - .args:
      - .offset:         0
        .size:           184
        .value_kind:     by_value
    .group_segment_fixed_size: 0
    .kernarg_segment_align: 8
    .kernarg_segment_size: 184
    .language:       OpenCL C
    .language_version:
      - 2
      - 0
    .max_flat_workgroup_size: 256
    .name:           _ZN7rocprim17ROCPRIM_400000_NS6detail17trampoline_kernelINS0_13select_configILj256ELj13ELNS0_17block_load_methodE3ELS4_3ELS4_3ELNS0_20block_scan_algorithmE0ELj4294967295EEENS1_25partition_config_selectorILNS1_17partition_subalgoE4EjNS0_10empty_typeEbEEZZNS1_14partition_implILS8_4ELb0ES6_15HIP_vector_typeIjLj2EENS0_17counting_iteratorIjlEEPS9_SG_NS0_5tupleIJPjSI_NS0_16reverse_iteratorISI_EEEEENSH_IJSG_SG_SG_EEES9_SI_JZNS1_25segmented_radix_sort_implINS0_14default_configELb1EPKhPhPKlPlN2at6native12_GLOBAL__N_18offset_tEEE10hipError_tPvRmT1_PNSt15iterator_traitsIS12_E10value_typeET2_T3_PNS13_IS18_E10value_typeET4_jRbjT5_S1E_jjP12ihipStream_tbEUljE_ZNSN_ISO_Lb1ESQ_SR_ST_SU_SY_EESZ_S10_S11_S12_S16_S17_S18_S1B_S1C_jS1D_jS1E_S1E_jjS1G_bEUljE0_EEESZ_S10_S11_S18_S1C_S1E_T6_T7_T9_mT8_S1G_bDpT10_ENKUlT_T0_E_clISt17integral_constantIbLb0EES1T_IbLb1EEEEDaS1P_S1Q_EUlS1P_E_NS1_11comp_targetILNS1_3genE9ELNS1_11target_archE1100ELNS1_3gpuE3ELNS1_3repE0EEENS1_30default_config_static_selectorELNS0_4arch9wavefront6targetE0EEEvS12_
    .private_segment_fixed_size: 0
    .sgpr_count:     0
    .sgpr_spill_count: 0
    .symbol:         _ZN7rocprim17ROCPRIM_400000_NS6detail17trampoline_kernelINS0_13select_configILj256ELj13ELNS0_17block_load_methodE3ELS4_3ELS4_3ELNS0_20block_scan_algorithmE0ELj4294967295EEENS1_25partition_config_selectorILNS1_17partition_subalgoE4EjNS0_10empty_typeEbEEZZNS1_14partition_implILS8_4ELb0ES6_15HIP_vector_typeIjLj2EENS0_17counting_iteratorIjlEEPS9_SG_NS0_5tupleIJPjSI_NS0_16reverse_iteratorISI_EEEEENSH_IJSG_SG_SG_EEES9_SI_JZNS1_25segmented_radix_sort_implINS0_14default_configELb1EPKhPhPKlPlN2at6native12_GLOBAL__N_18offset_tEEE10hipError_tPvRmT1_PNSt15iterator_traitsIS12_E10value_typeET2_T3_PNS13_IS18_E10value_typeET4_jRbjT5_S1E_jjP12ihipStream_tbEUljE_ZNSN_ISO_Lb1ESQ_SR_ST_SU_SY_EESZ_S10_S11_S12_S16_S17_S18_S1B_S1C_jS1D_jS1E_S1E_jjS1G_bEUljE0_EEESZ_S10_S11_S18_S1C_S1E_T6_T7_T9_mT8_S1G_bDpT10_ENKUlT_T0_E_clISt17integral_constantIbLb0EES1T_IbLb1EEEEDaS1P_S1Q_EUlS1P_E_NS1_11comp_targetILNS1_3genE9ELNS1_11target_archE1100ELNS1_3gpuE3ELNS1_3repE0EEENS1_30default_config_static_selectorELNS0_4arch9wavefront6targetE0EEEvS12_.kd
    .uniform_work_group_size: 1
    .uses_dynamic_stack: false
    .vgpr_count:     0
    .vgpr_spill_count: 0
    .wavefront_size: 32
    .workgroup_processor_mode: 1
  - .args:
      - .offset:         0
        .size:           184
        .value_kind:     by_value
    .group_segment_fixed_size: 13328
    .kernarg_segment_align: 8
    .kernarg_segment_size: 184
    .language:       OpenCL C
    .language_version:
      - 2
      - 0
    .max_flat_workgroup_size: 256
    .name:           _ZN7rocprim17ROCPRIM_400000_NS6detail17trampoline_kernelINS0_13select_configILj256ELj13ELNS0_17block_load_methodE3ELS4_3ELS4_3ELNS0_20block_scan_algorithmE0ELj4294967295EEENS1_25partition_config_selectorILNS1_17partition_subalgoE4EjNS0_10empty_typeEbEEZZNS1_14partition_implILS8_4ELb0ES6_15HIP_vector_typeIjLj2EENS0_17counting_iteratorIjlEEPS9_SG_NS0_5tupleIJPjSI_NS0_16reverse_iteratorISI_EEEEENSH_IJSG_SG_SG_EEES9_SI_JZNS1_25segmented_radix_sort_implINS0_14default_configELb1EPKhPhPKlPlN2at6native12_GLOBAL__N_18offset_tEEE10hipError_tPvRmT1_PNSt15iterator_traitsIS12_E10value_typeET2_T3_PNS13_IS18_E10value_typeET4_jRbjT5_S1E_jjP12ihipStream_tbEUljE_ZNSN_ISO_Lb1ESQ_SR_ST_SU_SY_EESZ_S10_S11_S12_S16_S17_S18_S1B_S1C_jS1D_jS1E_S1E_jjS1G_bEUljE0_EEESZ_S10_S11_S18_S1C_S1E_T6_T7_T9_mT8_S1G_bDpT10_ENKUlT_T0_E_clISt17integral_constantIbLb0EES1T_IbLb1EEEEDaS1P_S1Q_EUlS1P_E_NS1_11comp_targetILNS1_3genE8ELNS1_11target_archE1030ELNS1_3gpuE2ELNS1_3repE0EEENS1_30default_config_static_selectorELNS0_4arch9wavefront6targetE0EEEvS12_
    .private_segment_fixed_size: 0
    .sgpr_count:     57
    .sgpr_spill_count: 0
    .symbol:         _ZN7rocprim17ROCPRIM_400000_NS6detail17trampoline_kernelINS0_13select_configILj256ELj13ELNS0_17block_load_methodE3ELS4_3ELS4_3ELNS0_20block_scan_algorithmE0ELj4294967295EEENS1_25partition_config_selectorILNS1_17partition_subalgoE4EjNS0_10empty_typeEbEEZZNS1_14partition_implILS8_4ELb0ES6_15HIP_vector_typeIjLj2EENS0_17counting_iteratorIjlEEPS9_SG_NS0_5tupleIJPjSI_NS0_16reverse_iteratorISI_EEEEENSH_IJSG_SG_SG_EEES9_SI_JZNS1_25segmented_radix_sort_implINS0_14default_configELb1EPKhPhPKlPlN2at6native12_GLOBAL__N_18offset_tEEE10hipError_tPvRmT1_PNSt15iterator_traitsIS12_E10value_typeET2_T3_PNS13_IS18_E10value_typeET4_jRbjT5_S1E_jjP12ihipStream_tbEUljE_ZNSN_ISO_Lb1ESQ_SR_ST_SU_SY_EESZ_S10_S11_S12_S16_S17_S18_S1B_S1C_jS1D_jS1E_S1E_jjS1G_bEUljE0_EEESZ_S10_S11_S18_S1C_S1E_T6_T7_T9_mT8_S1G_bDpT10_ENKUlT_T0_E_clISt17integral_constantIbLb0EES1T_IbLb1EEEEDaS1P_S1Q_EUlS1P_E_NS1_11comp_targetILNS1_3genE8ELNS1_11target_archE1030ELNS1_3gpuE2ELNS1_3repE0EEENS1_30default_config_static_selectorELNS0_4arch9wavefront6targetE0EEEvS12_.kd
    .uniform_work_group_size: 1
    .uses_dynamic_stack: false
    .vgpr_count:     87
    .vgpr_spill_count: 0
    .wavefront_size: 32
    .workgroup_processor_mode: 1
  - .args:
      - .address_space:  global
        .offset:         0
        .size:           8
        .value_kind:     global_buffer
      - .offset:         8
        .size:           4
        .value_kind:     by_value
      - .offset:         12
        .size:           1
        .value_kind:     by_value
      - .offset:         16
        .size:           4
        .value_kind:     by_value
      - .address_space:  global
        .offset:         24
        .size:           8
        .value_kind:     global_buffer
      - .offset:         32
        .size:           4
        .value_kind:     hidden_block_count_x
      - .offset:         36
        .size:           4
        .value_kind:     hidden_block_count_y
      - .offset:         40
        .size:           4
        .value_kind:     hidden_block_count_z
      - .offset:         44
        .size:           2
        .value_kind:     hidden_group_size_x
      - .offset:         46
        .size:           2
        .value_kind:     hidden_group_size_y
      - .offset:         48
        .size:           2
        .value_kind:     hidden_group_size_z
      - .offset:         50
        .size:           2
        .value_kind:     hidden_remainder_x
      - .offset:         52
        .size:           2
        .value_kind:     hidden_remainder_y
      - .offset:         54
        .size:           2
        .value_kind:     hidden_remainder_z
      - .offset:         72
        .size:           8
        .value_kind:     hidden_global_offset_x
      - .offset:         80
        .size:           8
        .value_kind:     hidden_global_offset_y
      - .offset:         88
        .size:           8
        .value_kind:     hidden_global_offset_z
      - .offset:         96
        .size:           2
        .value_kind:     hidden_grid_dims
    .group_segment_fixed_size: 0
    .kernarg_segment_align: 8
    .kernarg_segment_size: 288
    .language:       OpenCL C
    .language_version:
      - 2
      - 0
    .max_flat_workgroup_size: 256
    .name:           _ZN7rocprim17ROCPRIM_400000_NS6detail31init_lookback_scan_state_kernelINS1_19lookback_scan_stateIjLb0ELb1EEENS1_16block_id_wrapperIjLb0EEEEEvT_jT0_jPNS7_10value_typeE
    .private_segment_fixed_size: 0
    .sgpr_count:     11
    .sgpr_spill_count: 0
    .symbol:         _ZN7rocprim17ROCPRIM_400000_NS6detail31init_lookback_scan_state_kernelINS1_19lookback_scan_stateIjLb0ELb1EEENS1_16block_id_wrapperIjLb0EEEEEvT_jT0_jPNS7_10value_typeE.kd
    .uniform_work_group_size: 1
    .uses_dynamic_stack: false
    .vgpr_count:     7
    .vgpr_spill_count: 0
    .wavefront_size: 32
    .workgroup_processor_mode: 1
  - .args:
      - .offset:         0
        .size:           144
        .value_kind:     by_value
    .group_segment_fixed_size: 0
    .kernarg_segment_align: 8
    .kernarg_segment_size: 144
    .language:       OpenCL C
    .language_version:
      - 2
      - 0
    .max_flat_workgroup_size: 256
    .name:           _ZN7rocprim17ROCPRIM_400000_NS6detail17trampoline_kernelINS0_13select_configILj256ELj13ELNS0_17block_load_methodE3ELS4_3ELS4_3ELNS0_20block_scan_algorithmE0ELj4294967295EEENS1_25partition_config_selectorILNS1_17partition_subalgoE3EjNS0_10empty_typeEbEEZZNS1_14partition_implILS8_3ELb0ES6_jNS0_17counting_iteratorIjlEEPS9_SE_NS0_5tupleIJPjSE_EEENSF_IJSE_SE_EEES9_SG_JZNS1_25segmented_radix_sort_implINS0_14default_configELb1EPKhPhPKlPlN2at6native12_GLOBAL__N_18offset_tEEE10hipError_tPvRmT1_PNSt15iterator_traitsISY_E10value_typeET2_T3_PNSZ_IS14_E10value_typeET4_jRbjT5_S1A_jjP12ihipStream_tbEUljE_EEESV_SW_SX_S14_S18_S1A_T6_T7_T9_mT8_S1C_bDpT10_ENKUlT_T0_E_clISt17integral_constantIbLb0EES1P_EEDaS1K_S1L_EUlS1K_E_NS1_11comp_targetILNS1_3genE0ELNS1_11target_archE4294967295ELNS1_3gpuE0ELNS1_3repE0EEENS1_30default_config_static_selectorELNS0_4arch9wavefront6targetE0EEEvSY_
    .private_segment_fixed_size: 0
    .sgpr_count:     0
    .sgpr_spill_count: 0
    .symbol:         _ZN7rocprim17ROCPRIM_400000_NS6detail17trampoline_kernelINS0_13select_configILj256ELj13ELNS0_17block_load_methodE3ELS4_3ELS4_3ELNS0_20block_scan_algorithmE0ELj4294967295EEENS1_25partition_config_selectorILNS1_17partition_subalgoE3EjNS0_10empty_typeEbEEZZNS1_14partition_implILS8_3ELb0ES6_jNS0_17counting_iteratorIjlEEPS9_SE_NS0_5tupleIJPjSE_EEENSF_IJSE_SE_EEES9_SG_JZNS1_25segmented_radix_sort_implINS0_14default_configELb1EPKhPhPKlPlN2at6native12_GLOBAL__N_18offset_tEEE10hipError_tPvRmT1_PNSt15iterator_traitsISY_E10value_typeET2_T3_PNSZ_IS14_E10value_typeET4_jRbjT5_S1A_jjP12ihipStream_tbEUljE_EEESV_SW_SX_S14_S18_S1A_T6_T7_T9_mT8_S1C_bDpT10_ENKUlT_T0_E_clISt17integral_constantIbLb0EES1P_EEDaS1K_S1L_EUlS1K_E_NS1_11comp_targetILNS1_3genE0ELNS1_11target_archE4294967295ELNS1_3gpuE0ELNS1_3repE0EEENS1_30default_config_static_selectorELNS0_4arch9wavefront6targetE0EEEvSY_.kd
    .uniform_work_group_size: 1
    .uses_dynamic_stack: false
    .vgpr_count:     0
    .vgpr_spill_count: 0
    .wavefront_size: 32
    .workgroup_processor_mode: 1
  - .args:
      - .offset:         0
        .size:           144
        .value_kind:     by_value
    .group_segment_fixed_size: 0
    .kernarg_segment_align: 8
    .kernarg_segment_size: 144
    .language:       OpenCL C
    .language_version:
      - 2
      - 0
    .max_flat_workgroup_size: 256
    .name:           _ZN7rocprim17ROCPRIM_400000_NS6detail17trampoline_kernelINS0_13select_configILj256ELj13ELNS0_17block_load_methodE3ELS4_3ELS4_3ELNS0_20block_scan_algorithmE0ELj4294967295EEENS1_25partition_config_selectorILNS1_17partition_subalgoE3EjNS0_10empty_typeEbEEZZNS1_14partition_implILS8_3ELb0ES6_jNS0_17counting_iteratorIjlEEPS9_SE_NS0_5tupleIJPjSE_EEENSF_IJSE_SE_EEES9_SG_JZNS1_25segmented_radix_sort_implINS0_14default_configELb1EPKhPhPKlPlN2at6native12_GLOBAL__N_18offset_tEEE10hipError_tPvRmT1_PNSt15iterator_traitsISY_E10value_typeET2_T3_PNSZ_IS14_E10value_typeET4_jRbjT5_S1A_jjP12ihipStream_tbEUljE_EEESV_SW_SX_S14_S18_S1A_T6_T7_T9_mT8_S1C_bDpT10_ENKUlT_T0_E_clISt17integral_constantIbLb0EES1P_EEDaS1K_S1L_EUlS1K_E_NS1_11comp_targetILNS1_3genE5ELNS1_11target_archE942ELNS1_3gpuE9ELNS1_3repE0EEENS1_30default_config_static_selectorELNS0_4arch9wavefront6targetE0EEEvSY_
    .private_segment_fixed_size: 0
    .sgpr_count:     0
    .sgpr_spill_count: 0
    .symbol:         _ZN7rocprim17ROCPRIM_400000_NS6detail17trampoline_kernelINS0_13select_configILj256ELj13ELNS0_17block_load_methodE3ELS4_3ELS4_3ELNS0_20block_scan_algorithmE0ELj4294967295EEENS1_25partition_config_selectorILNS1_17partition_subalgoE3EjNS0_10empty_typeEbEEZZNS1_14partition_implILS8_3ELb0ES6_jNS0_17counting_iteratorIjlEEPS9_SE_NS0_5tupleIJPjSE_EEENSF_IJSE_SE_EEES9_SG_JZNS1_25segmented_radix_sort_implINS0_14default_configELb1EPKhPhPKlPlN2at6native12_GLOBAL__N_18offset_tEEE10hipError_tPvRmT1_PNSt15iterator_traitsISY_E10value_typeET2_T3_PNSZ_IS14_E10value_typeET4_jRbjT5_S1A_jjP12ihipStream_tbEUljE_EEESV_SW_SX_S14_S18_S1A_T6_T7_T9_mT8_S1C_bDpT10_ENKUlT_T0_E_clISt17integral_constantIbLb0EES1P_EEDaS1K_S1L_EUlS1K_E_NS1_11comp_targetILNS1_3genE5ELNS1_11target_archE942ELNS1_3gpuE9ELNS1_3repE0EEENS1_30default_config_static_selectorELNS0_4arch9wavefront6targetE0EEEvSY_.kd
    .uniform_work_group_size: 1
    .uses_dynamic_stack: false
    .vgpr_count:     0
    .vgpr_spill_count: 0
    .wavefront_size: 32
    .workgroup_processor_mode: 1
  - .args:
      - .offset:         0
        .size:           144
        .value_kind:     by_value
    .group_segment_fixed_size: 0
    .kernarg_segment_align: 8
    .kernarg_segment_size: 144
    .language:       OpenCL C
    .language_version:
      - 2
      - 0
    .max_flat_workgroup_size: 256
    .name:           _ZN7rocprim17ROCPRIM_400000_NS6detail17trampoline_kernelINS0_13select_configILj256ELj13ELNS0_17block_load_methodE3ELS4_3ELS4_3ELNS0_20block_scan_algorithmE0ELj4294967295EEENS1_25partition_config_selectorILNS1_17partition_subalgoE3EjNS0_10empty_typeEbEEZZNS1_14partition_implILS8_3ELb0ES6_jNS0_17counting_iteratorIjlEEPS9_SE_NS0_5tupleIJPjSE_EEENSF_IJSE_SE_EEES9_SG_JZNS1_25segmented_radix_sort_implINS0_14default_configELb1EPKhPhPKlPlN2at6native12_GLOBAL__N_18offset_tEEE10hipError_tPvRmT1_PNSt15iterator_traitsISY_E10value_typeET2_T3_PNSZ_IS14_E10value_typeET4_jRbjT5_S1A_jjP12ihipStream_tbEUljE_EEESV_SW_SX_S14_S18_S1A_T6_T7_T9_mT8_S1C_bDpT10_ENKUlT_T0_E_clISt17integral_constantIbLb0EES1P_EEDaS1K_S1L_EUlS1K_E_NS1_11comp_targetILNS1_3genE4ELNS1_11target_archE910ELNS1_3gpuE8ELNS1_3repE0EEENS1_30default_config_static_selectorELNS0_4arch9wavefront6targetE0EEEvSY_
    .private_segment_fixed_size: 0
    .sgpr_count:     0
    .sgpr_spill_count: 0
    .symbol:         _ZN7rocprim17ROCPRIM_400000_NS6detail17trampoline_kernelINS0_13select_configILj256ELj13ELNS0_17block_load_methodE3ELS4_3ELS4_3ELNS0_20block_scan_algorithmE0ELj4294967295EEENS1_25partition_config_selectorILNS1_17partition_subalgoE3EjNS0_10empty_typeEbEEZZNS1_14partition_implILS8_3ELb0ES6_jNS0_17counting_iteratorIjlEEPS9_SE_NS0_5tupleIJPjSE_EEENSF_IJSE_SE_EEES9_SG_JZNS1_25segmented_radix_sort_implINS0_14default_configELb1EPKhPhPKlPlN2at6native12_GLOBAL__N_18offset_tEEE10hipError_tPvRmT1_PNSt15iterator_traitsISY_E10value_typeET2_T3_PNSZ_IS14_E10value_typeET4_jRbjT5_S1A_jjP12ihipStream_tbEUljE_EEESV_SW_SX_S14_S18_S1A_T6_T7_T9_mT8_S1C_bDpT10_ENKUlT_T0_E_clISt17integral_constantIbLb0EES1P_EEDaS1K_S1L_EUlS1K_E_NS1_11comp_targetILNS1_3genE4ELNS1_11target_archE910ELNS1_3gpuE8ELNS1_3repE0EEENS1_30default_config_static_selectorELNS0_4arch9wavefront6targetE0EEEvSY_.kd
    .uniform_work_group_size: 1
    .uses_dynamic_stack: false
    .vgpr_count:     0
    .vgpr_spill_count: 0
    .wavefront_size: 32
    .workgroup_processor_mode: 1
  - .args:
      - .offset:         0
        .size:           144
        .value_kind:     by_value
    .group_segment_fixed_size: 0
    .kernarg_segment_align: 8
    .kernarg_segment_size: 144
    .language:       OpenCL C
    .language_version:
      - 2
      - 0
    .max_flat_workgroup_size: 256
    .name:           _ZN7rocprim17ROCPRIM_400000_NS6detail17trampoline_kernelINS0_13select_configILj256ELj13ELNS0_17block_load_methodE3ELS4_3ELS4_3ELNS0_20block_scan_algorithmE0ELj4294967295EEENS1_25partition_config_selectorILNS1_17partition_subalgoE3EjNS0_10empty_typeEbEEZZNS1_14partition_implILS8_3ELb0ES6_jNS0_17counting_iteratorIjlEEPS9_SE_NS0_5tupleIJPjSE_EEENSF_IJSE_SE_EEES9_SG_JZNS1_25segmented_radix_sort_implINS0_14default_configELb1EPKhPhPKlPlN2at6native12_GLOBAL__N_18offset_tEEE10hipError_tPvRmT1_PNSt15iterator_traitsISY_E10value_typeET2_T3_PNSZ_IS14_E10value_typeET4_jRbjT5_S1A_jjP12ihipStream_tbEUljE_EEESV_SW_SX_S14_S18_S1A_T6_T7_T9_mT8_S1C_bDpT10_ENKUlT_T0_E_clISt17integral_constantIbLb0EES1P_EEDaS1K_S1L_EUlS1K_E_NS1_11comp_targetILNS1_3genE3ELNS1_11target_archE908ELNS1_3gpuE7ELNS1_3repE0EEENS1_30default_config_static_selectorELNS0_4arch9wavefront6targetE0EEEvSY_
    .private_segment_fixed_size: 0
    .sgpr_count:     0
    .sgpr_spill_count: 0
    .symbol:         _ZN7rocprim17ROCPRIM_400000_NS6detail17trampoline_kernelINS0_13select_configILj256ELj13ELNS0_17block_load_methodE3ELS4_3ELS4_3ELNS0_20block_scan_algorithmE0ELj4294967295EEENS1_25partition_config_selectorILNS1_17partition_subalgoE3EjNS0_10empty_typeEbEEZZNS1_14partition_implILS8_3ELb0ES6_jNS0_17counting_iteratorIjlEEPS9_SE_NS0_5tupleIJPjSE_EEENSF_IJSE_SE_EEES9_SG_JZNS1_25segmented_radix_sort_implINS0_14default_configELb1EPKhPhPKlPlN2at6native12_GLOBAL__N_18offset_tEEE10hipError_tPvRmT1_PNSt15iterator_traitsISY_E10value_typeET2_T3_PNSZ_IS14_E10value_typeET4_jRbjT5_S1A_jjP12ihipStream_tbEUljE_EEESV_SW_SX_S14_S18_S1A_T6_T7_T9_mT8_S1C_bDpT10_ENKUlT_T0_E_clISt17integral_constantIbLb0EES1P_EEDaS1K_S1L_EUlS1K_E_NS1_11comp_targetILNS1_3genE3ELNS1_11target_archE908ELNS1_3gpuE7ELNS1_3repE0EEENS1_30default_config_static_selectorELNS0_4arch9wavefront6targetE0EEEvSY_.kd
    .uniform_work_group_size: 1
    .uses_dynamic_stack: false
    .vgpr_count:     0
    .vgpr_spill_count: 0
    .wavefront_size: 32
    .workgroup_processor_mode: 1
  - .args:
      - .offset:         0
        .size:           144
        .value_kind:     by_value
    .group_segment_fixed_size: 0
    .kernarg_segment_align: 8
    .kernarg_segment_size: 144
    .language:       OpenCL C
    .language_version:
      - 2
      - 0
    .max_flat_workgroup_size: 256
    .name:           _ZN7rocprim17ROCPRIM_400000_NS6detail17trampoline_kernelINS0_13select_configILj256ELj13ELNS0_17block_load_methodE3ELS4_3ELS4_3ELNS0_20block_scan_algorithmE0ELj4294967295EEENS1_25partition_config_selectorILNS1_17partition_subalgoE3EjNS0_10empty_typeEbEEZZNS1_14partition_implILS8_3ELb0ES6_jNS0_17counting_iteratorIjlEEPS9_SE_NS0_5tupleIJPjSE_EEENSF_IJSE_SE_EEES9_SG_JZNS1_25segmented_radix_sort_implINS0_14default_configELb1EPKhPhPKlPlN2at6native12_GLOBAL__N_18offset_tEEE10hipError_tPvRmT1_PNSt15iterator_traitsISY_E10value_typeET2_T3_PNSZ_IS14_E10value_typeET4_jRbjT5_S1A_jjP12ihipStream_tbEUljE_EEESV_SW_SX_S14_S18_S1A_T6_T7_T9_mT8_S1C_bDpT10_ENKUlT_T0_E_clISt17integral_constantIbLb0EES1P_EEDaS1K_S1L_EUlS1K_E_NS1_11comp_targetILNS1_3genE2ELNS1_11target_archE906ELNS1_3gpuE6ELNS1_3repE0EEENS1_30default_config_static_selectorELNS0_4arch9wavefront6targetE0EEEvSY_
    .private_segment_fixed_size: 0
    .sgpr_count:     0
    .sgpr_spill_count: 0
    .symbol:         _ZN7rocprim17ROCPRIM_400000_NS6detail17trampoline_kernelINS0_13select_configILj256ELj13ELNS0_17block_load_methodE3ELS4_3ELS4_3ELNS0_20block_scan_algorithmE0ELj4294967295EEENS1_25partition_config_selectorILNS1_17partition_subalgoE3EjNS0_10empty_typeEbEEZZNS1_14partition_implILS8_3ELb0ES6_jNS0_17counting_iteratorIjlEEPS9_SE_NS0_5tupleIJPjSE_EEENSF_IJSE_SE_EEES9_SG_JZNS1_25segmented_radix_sort_implINS0_14default_configELb1EPKhPhPKlPlN2at6native12_GLOBAL__N_18offset_tEEE10hipError_tPvRmT1_PNSt15iterator_traitsISY_E10value_typeET2_T3_PNSZ_IS14_E10value_typeET4_jRbjT5_S1A_jjP12ihipStream_tbEUljE_EEESV_SW_SX_S14_S18_S1A_T6_T7_T9_mT8_S1C_bDpT10_ENKUlT_T0_E_clISt17integral_constantIbLb0EES1P_EEDaS1K_S1L_EUlS1K_E_NS1_11comp_targetILNS1_3genE2ELNS1_11target_archE906ELNS1_3gpuE6ELNS1_3repE0EEENS1_30default_config_static_selectorELNS0_4arch9wavefront6targetE0EEEvSY_.kd
    .uniform_work_group_size: 1
    .uses_dynamic_stack: false
    .vgpr_count:     0
    .vgpr_spill_count: 0
    .wavefront_size: 32
    .workgroup_processor_mode: 1
  - .args:
      - .offset:         0
        .size:           144
        .value_kind:     by_value
    .group_segment_fixed_size: 0
    .kernarg_segment_align: 8
    .kernarg_segment_size: 144
    .language:       OpenCL C
    .language_version:
      - 2
      - 0
    .max_flat_workgroup_size: 256
    .name:           _ZN7rocprim17ROCPRIM_400000_NS6detail17trampoline_kernelINS0_13select_configILj256ELj13ELNS0_17block_load_methodE3ELS4_3ELS4_3ELNS0_20block_scan_algorithmE0ELj4294967295EEENS1_25partition_config_selectorILNS1_17partition_subalgoE3EjNS0_10empty_typeEbEEZZNS1_14partition_implILS8_3ELb0ES6_jNS0_17counting_iteratorIjlEEPS9_SE_NS0_5tupleIJPjSE_EEENSF_IJSE_SE_EEES9_SG_JZNS1_25segmented_radix_sort_implINS0_14default_configELb1EPKhPhPKlPlN2at6native12_GLOBAL__N_18offset_tEEE10hipError_tPvRmT1_PNSt15iterator_traitsISY_E10value_typeET2_T3_PNSZ_IS14_E10value_typeET4_jRbjT5_S1A_jjP12ihipStream_tbEUljE_EEESV_SW_SX_S14_S18_S1A_T6_T7_T9_mT8_S1C_bDpT10_ENKUlT_T0_E_clISt17integral_constantIbLb0EES1P_EEDaS1K_S1L_EUlS1K_E_NS1_11comp_targetILNS1_3genE10ELNS1_11target_archE1200ELNS1_3gpuE4ELNS1_3repE0EEENS1_30default_config_static_selectorELNS0_4arch9wavefront6targetE0EEEvSY_
    .private_segment_fixed_size: 0
    .sgpr_count:     0
    .sgpr_spill_count: 0
    .symbol:         _ZN7rocprim17ROCPRIM_400000_NS6detail17trampoline_kernelINS0_13select_configILj256ELj13ELNS0_17block_load_methodE3ELS4_3ELS4_3ELNS0_20block_scan_algorithmE0ELj4294967295EEENS1_25partition_config_selectorILNS1_17partition_subalgoE3EjNS0_10empty_typeEbEEZZNS1_14partition_implILS8_3ELb0ES6_jNS0_17counting_iteratorIjlEEPS9_SE_NS0_5tupleIJPjSE_EEENSF_IJSE_SE_EEES9_SG_JZNS1_25segmented_radix_sort_implINS0_14default_configELb1EPKhPhPKlPlN2at6native12_GLOBAL__N_18offset_tEEE10hipError_tPvRmT1_PNSt15iterator_traitsISY_E10value_typeET2_T3_PNSZ_IS14_E10value_typeET4_jRbjT5_S1A_jjP12ihipStream_tbEUljE_EEESV_SW_SX_S14_S18_S1A_T6_T7_T9_mT8_S1C_bDpT10_ENKUlT_T0_E_clISt17integral_constantIbLb0EES1P_EEDaS1K_S1L_EUlS1K_E_NS1_11comp_targetILNS1_3genE10ELNS1_11target_archE1200ELNS1_3gpuE4ELNS1_3repE0EEENS1_30default_config_static_selectorELNS0_4arch9wavefront6targetE0EEEvSY_.kd
    .uniform_work_group_size: 1
    .uses_dynamic_stack: false
    .vgpr_count:     0
    .vgpr_spill_count: 0
    .wavefront_size: 32
    .workgroup_processor_mode: 1
  - .args:
      - .offset:         0
        .size:           144
        .value_kind:     by_value
    .group_segment_fixed_size: 0
    .kernarg_segment_align: 8
    .kernarg_segment_size: 144
    .language:       OpenCL C
    .language_version:
      - 2
      - 0
    .max_flat_workgroup_size: 256
    .name:           _ZN7rocprim17ROCPRIM_400000_NS6detail17trampoline_kernelINS0_13select_configILj256ELj13ELNS0_17block_load_methodE3ELS4_3ELS4_3ELNS0_20block_scan_algorithmE0ELj4294967295EEENS1_25partition_config_selectorILNS1_17partition_subalgoE3EjNS0_10empty_typeEbEEZZNS1_14partition_implILS8_3ELb0ES6_jNS0_17counting_iteratorIjlEEPS9_SE_NS0_5tupleIJPjSE_EEENSF_IJSE_SE_EEES9_SG_JZNS1_25segmented_radix_sort_implINS0_14default_configELb1EPKhPhPKlPlN2at6native12_GLOBAL__N_18offset_tEEE10hipError_tPvRmT1_PNSt15iterator_traitsISY_E10value_typeET2_T3_PNSZ_IS14_E10value_typeET4_jRbjT5_S1A_jjP12ihipStream_tbEUljE_EEESV_SW_SX_S14_S18_S1A_T6_T7_T9_mT8_S1C_bDpT10_ENKUlT_T0_E_clISt17integral_constantIbLb0EES1P_EEDaS1K_S1L_EUlS1K_E_NS1_11comp_targetILNS1_3genE9ELNS1_11target_archE1100ELNS1_3gpuE3ELNS1_3repE0EEENS1_30default_config_static_selectorELNS0_4arch9wavefront6targetE0EEEvSY_
    .private_segment_fixed_size: 0
    .sgpr_count:     0
    .sgpr_spill_count: 0
    .symbol:         _ZN7rocprim17ROCPRIM_400000_NS6detail17trampoline_kernelINS0_13select_configILj256ELj13ELNS0_17block_load_methodE3ELS4_3ELS4_3ELNS0_20block_scan_algorithmE0ELj4294967295EEENS1_25partition_config_selectorILNS1_17partition_subalgoE3EjNS0_10empty_typeEbEEZZNS1_14partition_implILS8_3ELb0ES6_jNS0_17counting_iteratorIjlEEPS9_SE_NS0_5tupleIJPjSE_EEENSF_IJSE_SE_EEES9_SG_JZNS1_25segmented_radix_sort_implINS0_14default_configELb1EPKhPhPKlPlN2at6native12_GLOBAL__N_18offset_tEEE10hipError_tPvRmT1_PNSt15iterator_traitsISY_E10value_typeET2_T3_PNSZ_IS14_E10value_typeET4_jRbjT5_S1A_jjP12ihipStream_tbEUljE_EEESV_SW_SX_S14_S18_S1A_T6_T7_T9_mT8_S1C_bDpT10_ENKUlT_T0_E_clISt17integral_constantIbLb0EES1P_EEDaS1K_S1L_EUlS1K_E_NS1_11comp_targetILNS1_3genE9ELNS1_11target_archE1100ELNS1_3gpuE3ELNS1_3repE0EEENS1_30default_config_static_selectorELNS0_4arch9wavefront6targetE0EEEvSY_.kd
    .uniform_work_group_size: 1
    .uses_dynamic_stack: false
    .vgpr_count:     0
    .vgpr_spill_count: 0
    .wavefront_size: 32
    .workgroup_processor_mode: 1
  - .args:
      - .offset:         0
        .size:           144
        .value_kind:     by_value
    .group_segment_fixed_size: 13320
    .kernarg_segment_align: 8
    .kernarg_segment_size: 144
    .language:       OpenCL C
    .language_version:
      - 2
      - 0
    .max_flat_workgroup_size: 256
    .name:           _ZN7rocprim17ROCPRIM_400000_NS6detail17trampoline_kernelINS0_13select_configILj256ELj13ELNS0_17block_load_methodE3ELS4_3ELS4_3ELNS0_20block_scan_algorithmE0ELj4294967295EEENS1_25partition_config_selectorILNS1_17partition_subalgoE3EjNS0_10empty_typeEbEEZZNS1_14partition_implILS8_3ELb0ES6_jNS0_17counting_iteratorIjlEEPS9_SE_NS0_5tupleIJPjSE_EEENSF_IJSE_SE_EEES9_SG_JZNS1_25segmented_radix_sort_implINS0_14default_configELb1EPKhPhPKlPlN2at6native12_GLOBAL__N_18offset_tEEE10hipError_tPvRmT1_PNSt15iterator_traitsISY_E10value_typeET2_T3_PNSZ_IS14_E10value_typeET4_jRbjT5_S1A_jjP12ihipStream_tbEUljE_EEESV_SW_SX_S14_S18_S1A_T6_T7_T9_mT8_S1C_bDpT10_ENKUlT_T0_E_clISt17integral_constantIbLb0EES1P_EEDaS1K_S1L_EUlS1K_E_NS1_11comp_targetILNS1_3genE8ELNS1_11target_archE1030ELNS1_3gpuE2ELNS1_3repE0EEENS1_30default_config_static_selectorELNS0_4arch9wavefront6targetE0EEEvSY_
    .private_segment_fixed_size: 0
    .sgpr_count:     29
    .sgpr_spill_count: 0
    .symbol:         _ZN7rocprim17ROCPRIM_400000_NS6detail17trampoline_kernelINS0_13select_configILj256ELj13ELNS0_17block_load_methodE3ELS4_3ELS4_3ELNS0_20block_scan_algorithmE0ELj4294967295EEENS1_25partition_config_selectorILNS1_17partition_subalgoE3EjNS0_10empty_typeEbEEZZNS1_14partition_implILS8_3ELb0ES6_jNS0_17counting_iteratorIjlEEPS9_SE_NS0_5tupleIJPjSE_EEENSF_IJSE_SE_EEES9_SG_JZNS1_25segmented_radix_sort_implINS0_14default_configELb1EPKhPhPKlPlN2at6native12_GLOBAL__N_18offset_tEEE10hipError_tPvRmT1_PNSt15iterator_traitsISY_E10value_typeET2_T3_PNSZ_IS14_E10value_typeET4_jRbjT5_S1A_jjP12ihipStream_tbEUljE_EEESV_SW_SX_S14_S18_S1A_T6_T7_T9_mT8_S1C_bDpT10_ENKUlT_T0_E_clISt17integral_constantIbLb0EES1P_EEDaS1K_S1L_EUlS1K_E_NS1_11comp_targetILNS1_3genE8ELNS1_11target_archE1030ELNS1_3gpuE2ELNS1_3repE0EEENS1_30default_config_static_selectorELNS0_4arch9wavefront6targetE0EEEvSY_.kd
    .uniform_work_group_size: 1
    .uses_dynamic_stack: false
    .vgpr_count:     69
    .vgpr_spill_count: 0
    .wavefront_size: 32
    .workgroup_processor_mode: 1
  - .args:
      - .address_space:  global
        .offset:         0
        .size:           8
        .value_kind:     global_buffer
      - .offset:         8
        .size:           4
        .value_kind:     by_value
      - .address_space:  global
        .offset:         16
        .size:           8
        .value_kind:     global_buffer
      - .offset:         24
        .size:           4
        .value_kind:     by_value
      - .address_space:  global
        .offset:         32
        .size:           8
        .value_kind:     global_buffer
      - .offset:         40
        .size:           4
        .value_kind:     hidden_block_count_x
      - .offset:         44
        .size:           4
        .value_kind:     hidden_block_count_y
      - .offset:         48
        .size:           4
        .value_kind:     hidden_block_count_z
      - .offset:         52
        .size:           2
        .value_kind:     hidden_group_size_x
      - .offset:         54
        .size:           2
        .value_kind:     hidden_group_size_y
      - .offset:         56
        .size:           2
        .value_kind:     hidden_group_size_z
      - .offset:         58
        .size:           2
        .value_kind:     hidden_remainder_x
      - .offset:         60
        .size:           2
        .value_kind:     hidden_remainder_y
      - .offset:         62
        .size:           2
        .value_kind:     hidden_remainder_z
      - .offset:         80
        .size:           8
        .value_kind:     hidden_global_offset_x
      - .offset:         88
        .size:           8
        .value_kind:     hidden_global_offset_y
      - .offset:         96
        .size:           8
        .value_kind:     hidden_global_offset_z
      - .offset:         104
        .size:           2
        .value_kind:     hidden_grid_dims
    .group_segment_fixed_size: 0
    .kernarg_segment_align: 8
    .kernarg_segment_size: 296
    .language:       OpenCL C
    .language_version:
      - 2
      - 0
    .max_flat_workgroup_size: 256
    .name:           _ZN7rocprim17ROCPRIM_400000_NS6detail31init_lookback_scan_state_kernelINS1_19lookback_scan_stateIjLb1ELb1EEENS1_16block_id_wrapperIjLb1EEEEEvT_jT0_jPNS7_10value_typeE
    .private_segment_fixed_size: 0
    .sgpr_count:     14
    .sgpr_spill_count: 0
    .symbol:         _ZN7rocprim17ROCPRIM_400000_NS6detail31init_lookback_scan_state_kernelINS1_19lookback_scan_stateIjLb1ELb1EEENS1_16block_id_wrapperIjLb1EEEEEvT_jT0_jPNS7_10value_typeE.kd
    .uniform_work_group_size: 1
    .uses_dynamic_stack: false
    .vgpr_count:     7
    .vgpr_spill_count: 0
    .wavefront_size: 32
    .workgroup_processor_mode: 1
  - .args:
      - .offset:         0
        .size:           152
        .value_kind:     by_value
    .group_segment_fixed_size: 0
    .kernarg_segment_align: 8
    .kernarg_segment_size: 152
    .language:       OpenCL C
    .language_version:
      - 2
      - 0
    .max_flat_workgroup_size: 256
    .name:           _ZN7rocprim17ROCPRIM_400000_NS6detail17trampoline_kernelINS0_13select_configILj256ELj13ELNS0_17block_load_methodE3ELS4_3ELS4_3ELNS0_20block_scan_algorithmE0ELj4294967295EEENS1_25partition_config_selectorILNS1_17partition_subalgoE3EjNS0_10empty_typeEbEEZZNS1_14partition_implILS8_3ELb0ES6_jNS0_17counting_iteratorIjlEEPS9_SE_NS0_5tupleIJPjSE_EEENSF_IJSE_SE_EEES9_SG_JZNS1_25segmented_radix_sort_implINS0_14default_configELb1EPKhPhPKlPlN2at6native12_GLOBAL__N_18offset_tEEE10hipError_tPvRmT1_PNSt15iterator_traitsISY_E10value_typeET2_T3_PNSZ_IS14_E10value_typeET4_jRbjT5_S1A_jjP12ihipStream_tbEUljE_EEESV_SW_SX_S14_S18_S1A_T6_T7_T9_mT8_S1C_bDpT10_ENKUlT_T0_E_clISt17integral_constantIbLb1EES1P_EEDaS1K_S1L_EUlS1K_E_NS1_11comp_targetILNS1_3genE0ELNS1_11target_archE4294967295ELNS1_3gpuE0ELNS1_3repE0EEENS1_30default_config_static_selectorELNS0_4arch9wavefront6targetE0EEEvSY_
    .private_segment_fixed_size: 0
    .sgpr_count:     0
    .sgpr_spill_count: 0
    .symbol:         _ZN7rocprim17ROCPRIM_400000_NS6detail17trampoline_kernelINS0_13select_configILj256ELj13ELNS0_17block_load_methodE3ELS4_3ELS4_3ELNS0_20block_scan_algorithmE0ELj4294967295EEENS1_25partition_config_selectorILNS1_17partition_subalgoE3EjNS0_10empty_typeEbEEZZNS1_14partition_implILS8_3ELb0ES6_jNS0_17counting_iteratorIjlEEPS9_SE_NS0_5tupleIJPjSE_EEENSF_IJSE_SE_EEES9_SG_JZNS1_25segmented_radix_sort_implINS0_14default_configELb1EPKhPhPKlPlN2at6native12_GLOBAL__N_18offset_tEEE10hipError_tPvRmT1_PNSt15iterator_traitsISY_E10value_typeET2_T3_PNSZ_IS14_E10value_typeET4_jRbjT5_S1A_jjP12ihipStream_tbEUljE_EEESV_SW_SX_S14_S18_S1A_T6_T7_T9_mT8_S1C_bDpT10_ENKUlT_T0_E_clISt17integral_constantIbLb1EES1P_EEDaS1K_S1L_EUlS1K_E_NS1_11comp_targetILNS1_3genE0ELNS1_11target_archE4294967295ELNS1_3gpuE0ELNS1_3repE0EEENS1_30default_config_static_selectorELNS0_4arch9wavefront6targetE0EEEvSY_.kd
    .uniform_work_group_size: 1
    .uses_dynamic_stack: false
    .vgpr_count:     0
    .vgpr_spill_count: 0
    .wavefront_size: 32
    .workgroup_processor_mode: 1
  - .args:
      - .offset:         0
        .size:           152
        .value_kind:     by_value
    .group_segment_fixed_size: 0
    .kernarg_segment_align: 8
    .kernarg_segment_size: 152
    .language:       OpenCL C
    .language_version:
      - 2
      - 0
    .max_flat_workgroup_size: 256
    .name:           _ZN7rocprim17ROCPRIM_400000_NS6detail17trampoline_kernelINS0_13select_configILj256ELj13ELNS0_17block_load_methodE3ELS4_3ELS4_3ELNS0_20block_scan_algorithmE0ELj4294967295EEENS1_25partition_config_selectorILNS1_17partition_subalgoE3EjNS0_10empty_typeEbEEZZNS1_14partition_implILS8_3ELb0ES6_jNS0_17counting_iteratorIjlEEPS9_SE_NS0_5tupleIJPjSE_EEENSF_IJSE_SE_EEES9_SG_JZNS1_25segmented_radix_sort_implINS0_14default_configELb1EPKhPhPKlPlN2at6native12_GLOBAL__N_18offset_tEEE10hipError_tPvRmT1_PNSt15iterator_traitsISY_E10value_typeET2_T3_PNSZ_IS14_E10value_typeET4_jRbjT5_S1A_jjP12ihipStream_tbEUljE_EEESV_SW_SX_S14_S18_S1A_T6_T7_T9_mT8_S1C_bDpT10_ENKUlT_T0_E_clISt17integral_constantIbLb1EES1P_EEDaS1K_S1L_EUlS1K_E_NS1_11comp_targetILNS1_3genE5ELNS1_11target_archE942ELNS1_3gpuE9ELNS1_3repE0EEENS1_30default_config_static_selectorELNS0_4arch9wavefront6targetE0EEEvSY_
    .private_segment_fixed_size: 0
    .sgpr_count:     0
    .sgpr_spill_count: 0
    .symbol:         _ZN7rocprim17ROCPRIM_400000_NS6detail17trampoline_kernelINS0_13select_configILj256ELj13ELNS0_17block_load_methodE3ELS4_3ELS4_3ELNS0_20block_scan_algorithmE0ELj4294967295EEENS1_25partition_config_selectorILNS1_17partition_subalgoE3EjNS0_10empty_typeEbEEZZNS1_14partition_implILS8_3ELb0ES6_jNS0_17counting_iteratorIjlEEPS9_SE_NS0_5tupleIJPjSE_EEENSF_IJSE_SE_EEES9_SG_JZNS1_25segmented_radix_sort_implINS0_14default_configELb1EPKhPhPKlPlN2at6native12_GLOBAL__N_18offset_tEEE10hipError_tPvRmT1_PNSt15iterator_traitsISY_E10value_typeET2_T3_PNSZ_IS14_E10value_typeET4_jRbjT5_S1A_jjP12ihipStream_tbEUljE_EEESV_SW_SX_S14_S18_S1A_T6_T7_T9_mT8_S1C_bDpT10_ENKUlT_T0_E_clISt17integral_constantIbLb1EES1P_EEDaS1K_S1L_EUlS1K_E_NS1_11comp_targetILNS1_3genE5ELNS1_11target_archE942ELNS1_3gpuE9ELNS1_3repE0EEENS1_30default_config_static_selectorELNS0_4arch9wavefront6targetE0EEEvSY_.kd
    .uniform_work_group_size: 1
    .uses_dynamic_stack: false
    .vgpr_count:     0
    .vgpr_spill_count: 0
    .wavefront_size: 32
    .workgroup_processor_mode: 1
  - .args:
      - .offset:         0
        .size:           152
        .value_kind:     by_value
    .group_segment_fixed_size: 0
    .kernarg_segment_align: 8
    .kernarg_segment_size: 152
    .language:       OpenCL C
    .language_version:
      - 2
      - 0
    .max_flat_workgroup_size: 256
    .name:           _ZN7rocprim17ROCPRIM_400000_NS6detail17trampoline_kernelINS0_13select_configILj256ELj13ELNS0_17block_load_methodE3ELS4_3ELS4_3ELNS0_20block_scan_algorithmE0ELj4294967295EEENS1_25partition_config_selectorILNS1_17partition_subalgoE3EjNS0_10empty_typeEbEEZZNS1_14partition_implILS8_3ELb0ES6_jNS0_17counting_iteratorIjlEEPS9_SE_NS0_5tupleIJPjSE_EEENSF_IJSE_SE_EEES9_SG_JZNS1_25segmented_radix_sort_implINS0_14default_configELb1EPKhPhPKlPlN2at6native12_GLOBAL__N_18offset_tEEE10hipError_tPvRmT1_PNSt15iterator_traitsISY_E10value_typeET2_T3_PNSZ_IS14_E10value_typeET4_jRbjT5_S1A_jjP12ihipStream_tbEUljE_EEESV_SW_SX_S14_S18_S1A_T6_T7_T9_mT8_S1C_bDpT10_ENKUlT_T0_E_clISt17integral_constantIbLb1EES1P_EEDaS1K_S1L_EUlS1K_E_NS1_11comp_targetILNS1_3genE4ELNS1_11target_archE910ELNS1_3gpuE8ELNS1_3repE0EEENS1_30default_config_static_selectorELNS0_4arch9wavefront6targetE0EEEvSY_
    .private_segment_fixed_size: 0
    .sgpr_count:     0
    .sgpr_spill_count: 0
    .symbol:         _ZN7rocprim17ROCPRIM_400000_NS6detail17trampoline_kernelINS0_13select_configILj256ELj13ELNS0_17block_load_methodE3ELS4_3ELS4_3ELNS0_20block_scan_algorithmE0ELj4294967295EEENS1_25partition_config_selectorILNS1_17partition_subalgoE3EjNS0_10empty_typeEbEEZZNS1_14partition_implILS8_3ELb0ES6_jNS0_17counting_iteratorIjlEEPS9_SE_NS0_5tupleIJPjSE_EEENSF_IJSE_SE_EEES9_SG_JZNS1_25segmented_radix_sort_implINS0_14default_configELb1EPKhPhPKlPlN2at6native12_GLOBAL__N_18offset_tEEE10hipError_tPvRmT1_PNSt15iterator_traitsISY_E10value_typeET2_T3_PNSZ_IS14_E10value_typeET4_jRbjT5_S1A_jjP12ihipStream_tbEUljE_EEESV_SW_SX_S14_S18_S1A_T6_T7_T9_mT8_S1C_bDpT10_ENKUlT_T0_E_clISt17integral_constantIbLb1EES1P_EEDaS1K_S1L_EUlS1K_E_NS1_11comp_targetILNS1_3genE4ELNS1_11target_archE910ELNS1_3gpuE8ELNS1_3repE0EEENS1_30default_config_static_selectorELNS0_4arch9wavefront6targetE0EEEvSY_.kd
    .uniform_work_group_size: 1
    .uses_dynamic_stack: false
    .vgpr_count:     0
    .vgpr_spill_count: 0
    .wavefront_size: 32
    .workgroup_processor_mode: 1
  - .args:
      - .offset:         0
        .size:           152
        .value_kind:     by_value
    .group_segment_fixed_size: 0
    .kernarg_segment_align: 8
    .kernarg_segment_size: 152
    .language:       OpenCL C
    .language_version:
      - 2
      - 0
    .max_flat_workgroup_size: 256
    .name:           _ZN7rocprim17ROCPRIM_400000_NS6detail17trampoline_kernelINS0_13select_configILj256ELj13ELNS0_17block_load_methodE3ELS4_3ELS4_3ELNS0_20block_scan_algorithmE0ELj4294967295EEENS1_25partition_config_selectorILNS1_17partition_subalgoE3EjNS0_10empty_typeEbEEZZNS1_14partition_implILS8_3ELb0ES6_jNS0_17counting_iteratorIjlEEPS9_SE_NS0_5tupleIJPjSE_EEENSF_IJSE_SE_EEES9_SG_JZNS1_25segmented_radix_sort_implINS0_14default_configELb1EPKhPhPKlPlN2at6native12_GLOBAL__N_18offset_tEEE10hipError_tPvRmT1_PNSt15iterator_traitsISY_E10value_typeET2_T3_PNSZ_IS14_E10value_typeET4_jRbjT5_S1A_jjP12ihipStream_tbEUljE_EEESV_SW_SX_S14_S18_S1A_T6_T7_T9_mT8_S1C_bDpT10_ENKUlT_T0_E_clISt17integral_constantIbLb1EES1P_EEDaS1K_S1L_EUlS1K_E_NS1_11comp_targetILNS1_3genE3ELNS1_11target_archE908ELNS1_3gpuE7ELNS1_3repE0EEENS1_30default_config_static_selectorELNS0_4arch9wavefront6targetE0EEEvSY_
    .private_segment_fixed_size: 0
    .sgpr_count:     0
    .sgpr_spill_count: 0
    .symbol:         _ZN7rocprim17ROCPRIM_400000_NS6detail17trampoline_kernelINS0_13select_configILj256ELj13ELNS0_17block_load_methodE3ELS4_3ELS4_3ELNS0_20block_scan_algorithmE0ELj4294967295EEENS1_25partition_config_selectorILNS1_17partition_subalgoE3EjNS0_10empty_typeEbEEZZNS1_14partition_implILS8_3ELb0ES6_jNS0_17counting_iteratorIjlEEPS9_SE_NS0_5tupleIJPjSE_EEENSF_IJSE_SE_EEES9_SG_JZNS1_25segmented_radix_sort_implINS0_14default_configELb1EPKhPhPKlPlN2at6native12_GLOBAL__N_18offset_tEEE10hipError_tPvRmT1_PNSt15iterator_traitsISY_E10value_typeET2_T3_PNSZ_IS14_E10value_typeET4_jRbjT5_S1A_jjP12ihipStream_tbEUljE_EEESV_SW_SX_S14_S18_S1A_T6_T7_T9_mT8_S1C_bDpT10_ENKUlT_T0_E_clISt17integral_constantIbLb1EES1P_EEDaS1K_S1L_EUlS1K_E_NS1_11comp_targetILNS1_3genE3ELNS1_11target_archE908ELNS1_3gpuE7ELNS1_3repE0EEENS1_30default_config_static_selectorELNS0_4arch9wavefront6targetE0EEEvSY_.kd
    .uniform_work_group_size: 1
    .uses_dynamic_stack: false
    .vgpr_count:     0
    .vgpr_spill_count: 0
    .wavefront_size: 32
    .workgroup_processor_mode: 1
  - .args:
      - .offset:         0
        .size:           152
        .value_kind:     by_value
    .group_segment_fixed_size: 0
    .kernarg_segment_align: 8
    .kernarg_segment_size: 152
    .language:       OpenCL C
    .language_version:
      - 2
      - 0
    .max_flat_workgroup_size: 256
    .name:           _ZN7rocprim17ROCPRIM_400000_NS6detail17trampoline_kernelINS0_13select_configILj256ELj13ELNS0_17block_load_methodE3ELS4_3ELS4_3ELNS0_20block_scan_algorithmE0ELj4294967295EEENS1_25partition_config_selectorILNS1_17partition_subalgoE3EjNS0_10empty_typeEbEEZZNS1_14partition_implILS8_3ELb0ES6_jNS0_17counting_iteratorIjlEEPS9_SE_NS0_5tupleIJPjSE_EEENSF_IJSE_SE_EEES9_SG_JZNS1_25segmented_radix_sort_implINS0_14default_configELb1EPKhPhPKlPlN2at6native12_GLOBAL__N_18offset_tEEE10hipError_tPvRmT1_PNSt15iterator_traitsISY_E10value_typeET2_T3_PNSZ_IS14_E10value_typeET4_jRbjT5_S1A_jjP12ihipStream_tbEUljE_EEESV_SW_SX_S14_S18_S1A_T6_T7_T9_mT8_S1C_bDpT10_ENKUlT_T0_E_clISt17integral_constantIbLb1EES1P_EEDaS1K_S1L_EUlS1K_E_NS1_11comp_targetILNS1_3genE2ELNS1_11target_archE906ELNS1_3gpuE6ELNS1_3repE0EEENS1_30default_config_static_selectorELNS0_4arch9wavefront6targetE0EEEvSY_
    .private_segment_fixed_size: 0
    .sgpr_count:     0
    .sgpr_spill_count: 0
    .symbol:         _ZN7rocprim17ROCPRIM_400000_NS6detail17trampoline_kernelINS0_13select_configILj256ELj13ELNS0_17block_load_methodE3ELS4_3ELS4_3ELNS0_20block_scan_algorithmE0ELj4294967295EEENS1_25partition_config_selectorILNS1_17partition_subalgoE3EjNS0_10empty_typeEbEEZZNS1_14partition_implILS8_3ELb0ES6_jNS0_17counting_iteratorIjlEEPS9_SE_NS0_5tupleIJPjSE_EEENSF_IJSE_SE_EEES9_SG_JZNS1_25segmented_radix_sort_implINS0_14default_configELb1EPKhPhPKlPlN2at6native12_GLOBAL__N_18offset_tEEE10hipError_tPvRmT1_PNSt15iterator_traitsISY_E10value_typeET2_T3_PNSZ_IS14_E10value_typeET4_jRbjT5_S1A_jjP12ihipStream_tbEUljE_EEESV_SW_SX_S14_S18_S1A_T6_T7_T9_mT8_S1C_bDpT10_ENKUlT_T0_E_clISt17integral_constantIbLb1EES1P_EEDaS1K_S1L_EUlS1K_E_NS1_11comp_targetILNS1_3genE2ELNS1_11target_archE906ELNS1_3gpuE6ELNS1_3repE0EEENS1_30default_config_static_selectorELNS0_4arch9wavefront6targetE0EEEvSY_.kd
    .uniform_work_group_size: 1
    .uses_dynamic_stack: false
    .vgpr_count:     0
    .vgpr_spill_count: 0
    .wavefront_size: 32
    .workgroup_processor_mode: 1
  - .args:
      - .offset:         0
        .size:           152
        .value_kind:     by_value
    .group_segment_fixed_size: 0
    .kernarg_segment_align: 8
    .kernarg_segment_size: 152
    .language:       OpenCL C
    .language_version:
      - 2
      - 0
    .max_flat_workgroup_size: 256
    .name:           _ZN7rocprim17ROCPRIM_400000_NS6detail17trampoline_kernelINS0_13select_configILj256ELj13ELNS0_17block_load_methodE3ELS4_3ELS4_3ELNS0_20block_scan_algorithmE0ELj4294967295EEENS1_25partition_config_selectorILNS1_17partition_subalgoE3EjNS0_10empty_typeEbEEZZNS1_14partition_implILS8_3ELb0ES6_jNS0_17counting_iteratorIjlEEPS9_SE_NS0_5tupleIJPjSE_EEENSF_IJSE_SE_EEES9_SG_JZNS1_25segmented_radix_sort_implINS0_14default_configELb1EPKhPhPKlPlN2at6native12_GLOBAL__N_18offset_tEEE10hipError_tPvRmT1_PNSt15iterator_traitsISY_E10value_typeET2_T3_PNSZ_IS14_E10value_typeET4_jRbjT5_S1A_jjP12ihipStream_tbEUljE_EEESV_SW_SX_S14_S18_S1A_T6_T7_T9_mT8_S1C_bDpT10_ENKUlT_T0_E_clISt17integral_constantIbLb1EES1P_EEDaS1K_S1L_EUlS1K_E_NS1_11comp_targetILNS1_3genE10ELNS1_11target_archE1200ELNS1_3gpuE4ELNS1_3repE0EEENS1_30default_config_static_selectorELNS0_4arch9wavefront6targetE0EEEvSY_
    .private_segment_fixed_size: 0
    .sgpr_count:     0
    .sgpr_spill_count: 0
    .symbol:         _ZN7rocprim17ROCPRIM_400000_NS6detail17trampoline_kernelINS0_13select_configILj256ELj13ELNS0_17block_load_methodE3ELS4_3ELS4_3ELNS0_20block_scan_algorithmE0ELj4294967295EEENS1_25partition_config_selectorILNS1_17partition_subalgoE3EjNS0_10empty_typeEbEEZZNS1_14partition_implILS8_3ELb0ES6_jNS0_17counting_iteratorIjlEEPS9_SE_NS0_5tupleIJPjSE_EEENSF_IJSE_SE_EEES9_SG_JZNS1_25segmented_radix_sort_implINS0_14default_configELb1EPKhPhPKlPlN2at6native12_GLOBAL__N_18offset_tEEE10hipError_tPvRmT1_PNSt15iterator_traitsISY_E10value_typeET2_T3_PNSZ_IS14_E10value_typeET4_jRbjT5_S1A_jjP12ihipStream_tbEUljE_EEESV_SW_SX_S14_S18_S1A_T6_T7_T9_mT8_S1C_bDpT10_ENKUlT_T0_E_clISt17integral_constantIbLb1EES1P_EEDaS1K_S1L_EUlS1K_E_NS1_11comp_targetILNS1_3genE10ELNS1_11target_archE1200ELNS1_3gpuE4ELNS1_3repE0EEENS1_30default_config_static_selectorELNS0_4arch9wavefront6targetE0EEEvSY_.kd
    .uniform_work_group_size: 1
    .uses_dynamic_stack: false
    .vgpr_count:     0
    .vgpr_spill_count: 0
    .wavefront_size: 32
    .workgroup_processor_mode: 1
  - .args:
      - .offset:         0
        .size:           152
        .value_kind:     by_value
    .group_segment_fixed_size: 0
    .kernarg_segment_align: 8
    .kernarg_segment_size: 152
    .language:       OpenCL C
    .language_version:
      - 2
      - 0
    .max_flat_workgroup_size: 256
    .name:           _ZN7rocprim17ROCPRIM_400000_NS6detail17trampoline_kernelINS0_13select_configILj256ELj13ELNS0_17block_load_methodE3ELS4_3ELS4_3ELNS0_20block_scan_algorithmE0ELj4294967295EEENS1_25partition_config_selectorILNS1_17partition_subalgoE3EjNS0_10empty_typeEbEEZZNS1_14partition_implILS8_3ELb0ES6_jNS0_17counting_iteratorIjlEEPS9_SE_NS0_5tupleIJPjSE_EEENSF_IJSE_SE_EEES9_SG_JZNS1_25segmented_radix_sort_implINS0_14default_configELb1EPKhPhPKlPlN2at6native12_GLOBAL__N_18offset_tEEE10hipError_tPvRmT1_PNSt15iterator_traitsISY_E10value_typeET2_T3_PNSZ_IS14_E10value_typeET4_jRbjT5_S1A_jjP12ihipStream_tbEUljE_EEESV_SW_SX_S14_S18_S1A_T6_T7_T9_mT8_S1C_bDpT10_ENKUlT_T0_E_clISt17integral_constantIbLb1EES1P_EEDaS1K_S1L_EUlS1K_E_NS1_11comp_targetILNS1_3genE9ELNS1_11target_archE1100ELNS1_3gpuE3ELNS1_3repE0EEENS1_30default_config_static_selectorELNS0_4arch9wavefront6targetE0EEEvSY_
    .private_segment_fixed_size: 0
    .sgpr_count:     0
    .sgpr_spill_count: 0
    .symbol:         _ZN7rocprim17ROCPRIM_400000_NS6detail17trampoline_kernelINS0_13select_configILj256ELj13ELNS0_17block_load_methodE3ELS4_3ELS4_3ELNS0_20block_scan_algorithmE0ELj4294967295EEENS1_25partition_config_selectorILNS1_17partition_subalgoE3EjNS0_10empty_typeEbEEZZNS1_14partition_implILS8_3ELb0ES6_jNS0_17counting_iteratorIjlEEPS9_SE_NS0_5tupleIJPjSE_EEENSF_IJSE_SE_EEES9_SG_JZNS1_25segmented_radix_sort_implINS0_14default_configELb1EPKhPhPKlPlN2at6native12_GLOBAL__N_18offset_tEEE10hipError_tPvRmT1_PNSt15iterator_traitsISY_E10value_typeET2_T3_PNSZ_IS14_E10value_typeET4_jRbjT5_S1A_jjP12ihipStream_tbEUljE_EEESV_SW_SX_S14_S18_S1A_T6_T7_T9_mT8_S1C_bDpT10_ENKUlT_T0_E_clISt17integral_constantIbLb1EES1P_EEDaS1K_S1L_EUlS1K_E_NS1_11comp_targetILNS1_3genE9ELNS1_11target_archE1100ELNS1_3gpuE3ELNS1_3repE0EEENS1_30default_config_static_selectorELNS0_4arch9wavefront6targetE0EEEvSY_.kd
    .uniform_work_group_size: 1
    .uses_dynamic_stack: false
    .vgpr_count:     0
    .vgpr_spill_count: 0
    .wavefront_size: 32
    .workgroup_processor_mode: 1
  - .args:
      - .offset:         0
        .size:           152
        .value_kind:     by_value
    .group_segment_fixed_size: 0
    .kernarg_segment_align: 8
    .kernarg_segment_size: 152
    .language:       OpenCL C
    .language_version:
      - 2
      - 0
    .max_flat_workgroup_size: 256
    .name:           _ZN7rocprim17ROCPRIM_400000_NS6detail17trampoline_kernelINS0_13select_configILj256ELj13ELNS0_17block_load_methodE3ELS4_3ELS4_3ELNS0_20block_scan_algorithmE0ELj4294967295EEENS1_25partition_config_selectorILNS1_17partition_subalgoE3EjNS0_10empty_typeEbEEZZNS1_14partition_implILS8_3ELb0ES6_jNS0_17counting_iteratorIjlEEPS9_SE_NS0_5tupleIJPjSE_EEENSF_IJSE_SE_EEES9_SG_JZNS1_25segmented_radix_sort_implINS0_14default_configELb1EPKhPhPKlPlN2at6native12_GLOBAL__N_18offset_tEEE10hipError_tPvRmT1_PNSt15iterator_traitsISY_E10value_typeET2_T3_PNSZ_IS14_E10value_typeET4_jRbjT5_S1A_jjP12ihipStream_tbEUljE_EEESV_SW_SX_S14_S18_S1A_T6_T7_T9_mT8_S1C_bDpT10_ENKUlT_T0_E_clISt17integral_constantIbLb1EES1P_EEDaS1K_S1L_EUlS1K_E_NS1_11comp_targetILNS1_3genE8ELNS1_11target_archE1030ELNS1_3gpuE2ELNS1_3repE0EEENS1_30default_config_static_selectorELNS0_4arch9wavefront6targetE0EEEvSY_
    .private_segment_fixed_size: 0
    .sgpr_count:     0
    .sgpr_spill_count: 0
    .symbol:         _ZN7rocprim17ROCPRIM_400000_NS6detail17trampoline_kernelINS0_13select_configILj256ELj13ELNS0_17block_load_methodE3ELS4_3ELS4_3ELNS0_20block_scan_algorithmE0ELj4294967295EEENS1_25partition_config_selectorILNS1_17partition_subalgoE3EjNS0_10empty_typeEbEEZZNS1_14partition_implILS8_3ELb0ES6_jNS0_17counting_iteratorIjlEEPS9_SE_NS0_5tupleIJPjSE_EEENSF_IJSE_SE_EEES9_SG_JZNS1_25segmented_radix_sort_implINS0_14default_configELb1EPKhPhPKlPlN2at6native12_GLOBAL__N_18offset_tEEE10hipError_tPvRmT1_PNSt15iterator_traitsISY_E10value_typeET2_T3_PNSZ_IS14_E10value_typeET4_jRbjT5_S1A_jjP12ihipStream_tbEUljE_EEESV_SW_SX_S14_S18_S1A_T6_T7_T9_mT8_S1C_bDpT10_ENKUlT_T0_E_clISt17integral_constantIbLb1EES1P_EEDaS1K_S1L_EUlS1K_E_NS1_11comp_targetILNS1_3genE8ELNS1_11target_archE1030ELNS1_3gpuE2ELNS1_3repE0EEENS1_30default_config_static_selectorELNS0_4arch9wavefront6targetE0EEEvSY_.kd
    .uniform_work_group_size: 1
    .uses_dynamic_stack: false
    .vgpr_count:     0
    .vgpr_spill_count: 0
    .wavefront_size: 32
    .workgroup_processor_mode: 1
  - .args:
      - .address_space:  global
        .offset:         0
        .size:           8
        .value_kind:     global_buffer
      - .offset:         8
        .size:           4
        .value_kind:     by_value
      - .offset:         12
        .size:           1
        .value_kind:     by_value
      - .offset:         16
        .size:           4
        .value_kind:     by_value
      - .address_space:  global
        .offset:         24
        .size:           8
        .value_kind:     global_buffer
      - .offset:         32
        .size:           4
        .value_kind:     hidden_block_count_x
      - .offset:         36
        .size:           4
        .value_kind:     hidden_block_count_y
      - .offset:         40
        .size:           4
        .value_kind:     hidden_block_count_z
      - .offset:         44
        .size:           2
        .value_kind:     hidden_group_size_x
      - .offset:         46
        .size:           2
        .value_kind:     hidden_group_size_y
      - .offset:         48
        .size:           2
        .value_kind:     hidden_group_size_z
      - .offset:         50
        .size:           2
        .value_kind:     hidden_remainder_x
      - .offset:         52
        .size:           2
        .value_kind:     hidden_remainder_y
      - .offset:         54
        .size:           2
        .value_kind:     hidden_remainder_z
      - .offset:         72
        .size:           8
        .value_kind:     hidden_global_offset_x
      - .offset:         80
        .size:           8
        .value_kind:     hidden_global_offset_y
      - .offset:         88
        .size:           8
        .value_kind:     hidden_global_offset_z
      - .offset:         96
        .size:           2
        .value_kind:     hidden_grid_dims
    .group_segment_fixed_size: 0
    .kernarg_segment_align: 8
    .kernarg_segment_size: 288
    .language:       OpenCL C
    .language_version:
      - 2
      - 0
    .max_flat_workgroup_size: 256
    .name:           _ZN7rocprim17ROCPRIM_400000_NS6detail31init_lookback_scan_state_kernelINS1_19lookback_scan_stateIjLb1ELb1EEENS1_16block_id_wrapperIjLb0EEEEEvT_jT0_jPNS7_10value_typeE
    .private_segment_fixed_size: 0
    .sgpr_count:     12
    .sgpr_spill_count: 0
    .symbol:         _ZN7rocprim17ROCPRIM_400000_NS6detail31init_lookback_scan_state_kernelINS1_19lookback_scan_stateIjLb1ELb1EEENS1_16block_id_wrapperIjLb0EEEEEvT_jT0_jPNS7_10value_typeE.kd
    .uniform_work_group_size: 1
    .uses_dynamic_stack: false
    .vgpr_count:     7
    .vgpr_spill_count: 0
    .wavefront_size: 32
    .workgroup_processor_mode: 1
  - .args:
      - .offset:         0
        .size:           144
        .value_kind:     by_value
    .group_segment_fixed_size: 0
    .kernarg_segment_align: 8
    .kernarg_segment_size: 144
    .language:       OpenCL C
    .language_version:
      - 2
      - 0
    .max_flat_workgroup_size: 256
    .name:           _ZN7rocprim17ROCPRIM_400000_NS6detail17trampoline_kernelINS0_13select_configILj256ELj13ELNS0_17block_load_methodE3ELS4_3ELS4_3ELNS0_20block_scan_algorithmE0ELj4294967295EEENS1_25partition_config_selectorILNS1_17partition_subalgoE3EjNS0_10empty_typeEbEEZZNS1_14partition_implILS8_3ELb0ES6_jNS0_17counting_iteratorIjlEEPS9_SE_NS0_5tupleIJPjSE_EEENSF_IJSE_SE_EEES9_SG_JZNS1_25segmented_radix_sort_implINS0_14default_configELb1EPKhPhPKlPlN2at6native12_GLOBAL__N_18offset_tEEE10hipError_tPvRmT1_PNSt15iterator_traitsISY_E10value_typeET2_T3_PNSZ_IS14_E10value_typeET4_jRbjT5_S1A_jjP12ihipStream_tbEUljE_EEESV_SW_SX_S14_S18_S1A_T6_T7_T9_mT8_S1C_bDpT10_ENKUlT_T0_E_clISt17integral_constantIbLb1EES1O_IbLb0EEEEDaS1K_S1L_EUlS1K_E_NS1_11comp_targetILNS1_3genE0ELNS1_11target_archE4294967295ELNS1_3gpuE0ELNS1_3repE0EEENS1_30default_config_static_selectorELNS0_4arch9wavefront6targetE0EEEvSY_
    .private_segment_fixed_size: 0
    .sgpr_count:     0
    .sgpr_spill_count: 0
    .symbol:         _ZN7rocprim17ROCPRIM_400000_NS6detail17trampoline_kernelINS0_13select_configILj256ELj13ELNS0_17block_load_methodE3ELS4_3ELS4_3ELNS0_20block_scan_algorithmE0ELj4294967295EEENS1_25partition_config_selectorILNS1_17partition_subalgoE3EjNS0_10empty_typeEbEEZZNS1_14partition_implILS8_3ELb0ES6_jNS0_17counting_iteratorIjlEEPS9_SE_NS0_5tupleIJPjSE_EEENSF_IJSE_SE_EEES9_SG_JZNS1_25segmented_radix_sort_implINS0_14default_configELb1EPKhPhPKlPlN2at6native12_GLOBAL__N_18offset_tEEE10hipError_tPvRmT1_PNSt15iterator_traitsISY_E10value_typeET2_T3_PNSZ_IS14_E10value_typeET4_jRbjT5_S1A_jjP12ihipStream_tbEUljE_EEESV_SW_SX_S14_S18_S1A_T6_T7_T9_mT8_S1C_bDpT10_ENKUlT_T0_E_clISt17integral_constantIbLb1EES1O_IbLb0EEEEDaS1K_S1L_EUlS1K_E_NS1_11comp_targetILNS1_3genE0ELNS1_11target_archE4294967295ELNS1_3gpuE0ELNS1_3repE0EEENS1_30default_config_static_selectorELNS0_4arch9wavefront6targetE0EEEvSY_.kd
    .uniform_work_group_size: 1
    .uses_dynamic_stack: false
    .vgpr_count:     0
    .vgpr_spill_count: 0
    .wavefront_size: 32
    .workgroup_processor_mode: 1
  - .args:
      - .offset:         0
        .size:           144
        .value_kind:     by_value
    .group_segment_fixed_size: 0
    .kernarg_segment_align: 8
    .kernarg_segment_size: 144
    .language:       OpenCL C
    .language_version:
      - 2
      - 0
    .max_flat_workgroup_size: 256
    .name:           _ZN7rocprim17ROCPRIM_400000_NS6detail17trampoline_kernelINS0_13select_configILj256ELj13ELNS0_17block_load_methodE3ELS4_3ELS4_3ELNS0_20block_scan_algorithmE0ELj4294967295EEENS1_25partition_config_selectorILNS1_17partition_subalgoE3EjNS0_10empty_typeEbEEZZNS1_14partition_implILS8_3ELb0ES6_jNS0_17counting_iteratorIjlEEPS9_SE_NS0_5tupleIJPjSE_EEENSF_IJSE_SE_EEES9_SG_JZNS1_25segmented_radix_sort_implINS0_14default_configELb1EPKhPhPKlPlN2at6native12_GLOBAL__N_18offset_tEEE10hipError_tPvRmT1_PNSt15iterator_traitsISY_E10value_typeET2_T3_PNSZ_IS14_E10value_typeET4_jRbjT5_S1A_jjP12ihipStream_tbEUljE_EEESV_SW_SX_S14_S18_S1A_T6_T7_T9_mT8_S1C_bDpT10_ENKUlT_T0_E_clISt17integral_constantIbLb1EES1O_IbLb0EEEEDaS1K_S1L_EUlS1K_E_NS1_11comp_targetILNS1_3genE5ELNS1_11target_archE942ELNS1_3gpuE9ELNS1_3repE0EEENS1_30default_config_static_selectorELNS0_4arch9wavefront6targetE0EEEvSY_
    .private_segment_fixed_size: 0
    .sgpr_count:     0
    .sgpr_spill_count: 0
    .symbol:         _ZN7rocprim17ROCPRIM_400000_NS6detail17trampoline_kernelINS0_13select_configILj256ELj13ELNS0_17block_load_methodE3ELS4_3ELS4_3ELNS0_20block_scan_algorithmE0ELj4294967295EEENS1_25partition_config_selectorILNS1_17partition_subalgoE3EjNS0_10empty_typeEbEEZZNS1_14partition_implILS8_3ELb0ES6_jNS0_17counting_iteratorIjlEEPS9_SE_NS0_5tupleIJPjSE_EEENSF_IJSE_SE_EEES9_SG_JZNS1_25segmented_radix_sort_implINS0_14default_configELb1EPKhPhPKlPlN2at6native12_GLOBAL__N_18offset_tEEE10hipError_tPvRmT1_PNSt15iterator_traitsISY_E10value_typeET2_T3_PNSZ_IS14_E10value_typeET4_jRbjT5_S1A_jjP12ihipStream_tbEUljE_EEESV_SW_SX_S14_S18_S1A_T6_T7_T9_mT8_S1C_bDpT10_ENKUlT_T0_E_clISt17integral_constantIbLb1EES1O_IbLb0EEEEDaS1K_S1L_EUlS1K_E_NS1_11comp_targetILNS1_3genE5ELNS1_11target_archE942ELNS1_3gpuE9ELNS1_3repE0EEENS1_30default_config_static_selectorELNS0_4arch9wavefront6targetE0EEEvSY_.kd
    .uniform_work_group_size: 1
    .uses_dynamic_stack: false
    .vgpr_count:     0
    .vgpr_spill_count: 0
    .wavefront_size: 32
    .workgroup_processor_mode: 1
  - .args:
      - .offset:         0
        .size:           144
        .value_kind:     by_value
    .group_segment_fixed_size: 0
    .kernarg_segment_align: 8
    .kernarg_segment_size: 144
    .language:       OpenCL C
    .language_version:
      - 2
      - 0
    .max_flat_workgroup_size: 256
    .name:           _ZN7rocprim17ROCPRIM_400000_NS6detail17trampoline_kernelINS0_13select_configILj256ELj13ELNS0_17block_load_methodE3ELS4_3ELS4_3ELNS0_20block_scan_algorithmE0ELj4294967295EEENS1_25partition_config_selectorILNS1_17partition_subalgoE3EjNS0_10empty_typeEbEEZZNS1_14partition_implILS8_3ELb0ES6_jNS0_17counting_iteratorIjlEEPS9_SE_NS0_5tupleIJPjSE_EEENSF_IJSE_SE_EEES9_SG_JZNS1_25segmented_radix_sort_implINS0_14default_configELb1EPKhPhPKlPlN2at6native12_GLOBAL__N_18offset_tEEE10hipError_tPvRmT1_PNSt15iterator_traitsISY_E10value_typeET2_T3_PNSZ_IS14_E10value_typeET4_jRbjT5_S1A_jjP12ihipStream_tbEUljE_EEESV_SW_SX_S14_S18_S1A_T6_T7_T9_mT8_S1C_bDpT10_ENKUlT_T0_E_clISt17integral_constantIbLb1EES1O_IbLb0EEEEDaS1K_S1L_EUlS1K_E_NS1_11comp_targetILNS1_3genE4ELNS1_11target_archE910ELNS1_3gpuE8ELNS1_3repE0EEENS1_30default_config_static_selectorELNS0_4arch9wavefront6targetE0EEEvSY_
    .private_segment_fixed_size: 0
    .sgpr_count:     0
    .sgpr_spill_count: 0
    .symbol:         _ZN7rocprim17ROCPRIM_400000_NS6detail17trampoline_kernelINS0_13select_configILj256ELj13ELNS0_17block_load_methodE3ELS4_3ELS4_3ELNS0_20block_scan_algorithmE0ELj4294967295EEENS1_25partition_config_selectorILNS1_17partition_subalgoE3EjNS0_10empty_typeEbEEZZNS1_14partition_implILS8_3ELb0ES6_jNS0_17counting_iteratorIjlEEPS9_SE_NS0_5tupleIJPjSE_EEENSF_IJSE_SE_EEES9_SG_JZNS1_25segmented_radix_sort_implINS0_14default_configELb1EPKhPhPKlPlN2at6native12_GLOBAL__N_18offset_tEEE10hipError_tPvRmT1_PNSt15iterator_traitsISY_E10value_typeET2_T3_PNSZ_IS14_E10value_typeET4_jRbjT5_S1A_jjP12ihipStream_tbEUljE_EEESV_SW_SX_S14_S18_S1A_T6_T7_T9_mT8_S1C_bDpT10_ENKUlT_T0_E_clISt17integral_constantIbLb1EES1O_IbLb0EEEEDaS1K_S1L_EUlS1K_E_NS1_11comp_targetILNS1_3genE4ELNS1_11target_archE910ELNS1_3gpuE8ELNS1_3repE0EEENS1_30default_config_static_selectorELNS0_4arch9wavefront6targetE0EEEvSY_.kd
    .uniform_work_group_size: 1
    .uses_dynamic_stack: false
    .vgpr_count:     0
    .vgpr_spill_count: 0
    .wavefront_size: 32
    .workgroup_processor_mode: 1
  - .args:
      - .offset:         0
        .size:           144
        .value_kind:     by_value
    .group_segment_fixed_size: 0
    .kernarg_segment_align: 8
    .kernarg_segment_size: 144
    .language:       OpenCL C
    .language_version:
      - 2
      - 0
    .max_flat_workgroup_size: 256
    .name:           _ZN7rocprim17ROCPRIM_400000_NS6detail17trampoline_kernelINS0_13select_configILj256ELj13ELNS0_17block_load_methodE3ELS4_3ELS4_3ELNS0_20block_scan_algorithmE0ELj4294967295EEENS1_25partition_config_selectorILNS1_17partition_subalgoE3EjNS0_10empty_typeEbEEZZNS1_14partition_implILS8_3ELb0ES6_jNS0_17counting_iteratorIjlEEPS9_SE_NS0_5tupleIJPjSE_EEENSF_IJSE_SE_EEES9_SG_JZNS1_25segmented_radix_sort_implINS0_14default_configELb1EPKhPhPKlPlN2at6native12_GLOBAL__N_18offset_tEEE10hipError_tPvRmT1_PNSt15iterator_traitsISY_E10value_typeET2_T3_PNSZ_IS14_E10value_typeET4_jRbjT5_S1A_jjP12ihipStream_tbEUljE_EEESV_SW_SX_S14_S18_S1A_T6_T7_T9_mT8_S1C_bDpT10_ENKUlT_T0_E_clISt17integral_constantIbLb1EES1O_IbLb0EEEEDaS1K_S1L_EUlS1K_E_NS1_11comp_targetILNS1_3genE3ELNS1_11target_archE908ELNS1_3gpuE7ELNS1_3repE0EEENS1_30default_config_static_selectorELNS0_4arch9wavefront6targetE0EEEvSY_
    .private_segment_fixed_size: 0
    .sgpr_count:     0
    .sgpr_spill_count: 0
    .symbol:         _ZN7rocprim17ROCPRIM_400000_NS6detail17trampoline_kernelINS0_13select_configILj256ELj13ELNS0_17block_load_methodE3ELS4_3ELS4_3ELNS0_20block_scan_algorithmE0ELj4294967295EEENS1_25partition_config_selectorILNS1_17partition_subalgoE3EjNS0_10empty_typeEbEEZZNS1_14partition_implILS8_3ELb0ES6_jNS0_17counting_iteratorIjlEEPS9_SE_NS0_5tupleIJPjSE_EEENSF_IJSE_SE_EEES9_SG_JZNS1_25segmented_radix_sort_implINS0_14default_configELb1EPKhPhPKlPlN2at6native12_GLOBAL__N_18offset_tEEE10hipError_tPvRmT1_PNSt15iterator_traitsISY_E10value_typeET2_T3_PNSZ_IS14_E10value_typeET4_jRbjT5_S1A_jjP12ihipStream_tbEUljE_EEESV_SW_SX_S14_S18_S1A_T6_T7_T9_mT8_S1C_bDpT10_ENKUlT_T0_E_clISt17integral_constantIbLb1EES1O_IbLb0EEEEDaS1K_S1L_EUlS1K_E_NS1_11comp_targetILNS1_3genE3ELNS1_11target_archE908ELNS1_3gpuE7ELNS1_3repE0EEENS1_30default_config_static_selectorELNS0_4arch9wavefront6targetE0EEEvSY_.kd
    .uniform_work_group_size: 1
    .uses_dynamic_stack: false
    .vgpr_count:     0
    .vgpr_spill_count: 0
    .wavefront_size: 32
    .workgroup_processor_mode: 1
  - .args:
      - .offset:         0
        .size:           144
        .value_kind:     by_value
    .group_segment_fixed_size: 0
    .kernarg_segment_align: 8
    .kernarg_segment_size: 144
    .language:       OpenCL C
    .language_version:
      - 2
      - 0
    .max_flat_workgroup_size: 256
    .name:           _ZN7rocprim17ROCPRIM_400000_NS6detail17trampoline_kernelINS0_13select_configILj256ELj13ELNS0_17block_load_methodE3ELS4_3ELS4_3ELNS0_20block_scan_algorithmE0ELj4294967295EEENS1_25partition_config_selectorILNS1_17partition_subalgoE3EjNS0_10empty_typeEbEEZZNS1_14partition_implILS8_3ELb0ES6_jNS0_17counting_iteratorIjlEEPS9_SE_NS0_5tupleIJPjSE_EEENSF_IJSE_SE_EEES9_SG_JZNS1_25segmented_radix_sort_implINS0_14default_configELb1EPKhPhPKlPlN2at6native12_GLOBAL__N_18offset_tEEE10hipError_tPvRmT1_PNSt15iterator_traitsISY_E10value_typeET2_T3_PNSZ_IS14_E10value_typeET4_jRbjT5_S1A_jjP12ihipStream_tbEUljE_EEESV_SW_SX_S14_S18_S1A_T6_T7_T9_mT8_S1C_bDpT10_ENKUlT_T0_E_clISt17integral_constantIbLb1EES1O_IbLb0EEEEDaS1K_S1L_EUlS1K_E_NS1_11comp_targetILNS1_3genE2ELNS1_11target_archE906ELNS1_3gpuE6ELNS1_3repE0EEENS1_30default_config_static_selectorELNS0_4arch9wavefront6targetE0EEEvSY_
    .private_segment_fixed_size: 0
    .sgpr_count:     0
    .sgpr_spill_count: 0
    .symbol:         _ZN7rocprim17ROCPRIM_400000_NS6detail17trampoline_kernelINS0_13select_configILj256ELj13ELNS0_17block_load_methodE3ELS4_3ELS4_3ELNS0_20block_scan_algorithmE0ELj4294967295EEENS1_25partition_config_selectorILNS1_17partition_subalgoE3EjNS0_10empty_typeEbEEZZNS1_14partition_implILS8_3ELb0ES6_jNS0_17counting_iteratorIjlEEPS9_SE_NS0_5tupleIJPjSE_EEENSF_IJSE_SE_EEES9_SG_JZNS1_25segmented_radix_sort_implINS0_14default_configELb1EPKhPhPKlPlN2at6native12_GLOBAL__N_18offset_tEEE10hipError_tPvRmT1_PNSt15iterator_traitsISY_E10value_typeET2_T3_PNSZ_IS14_E10value_typeET4_jRbjT5_S1A_jjP12ihipStream_tbEUljE_EEESV_SW_SX_S14_S18_S1A_T6_T7_T9_mT8_S1C_bDpT10_ENKUlT_T0_E_clISt17integral_constantIbLb1EES1O_IbLb0EEEEDaS1K_S1L_EUlS1K_E_NS1_11comp_targetILNS1_3genE2ELNS1_11target_archE906ELNS1_3gpuE6ELNS1_3repE0EEENS1_30default_config_static_selectorELNS0_4arch9wavefront6targetE0EEEvSY_.kd
    .uniform_work_group_size: 1
    .uses_dynamic_stack: false
    .vgpr_count:     0
    .vgpr_spill_count: 0
    .wavefront_size: 32
    .workgroup_processor_mode: 1
  - .args:
      - .offset:         0
        .size:           144
        .value_kind:     by_value
    .group_segment_fixed_size: 0
    .kernarg_segment_align: 8
    .kernarg_segment_size: 144
    .language:       OpenCL C
    .language_version:
      - 2
      - 0
    .max_flat_workgroup_size: 256
    .name:           _ZN7rocprim17ROCPRIM_400000_NS6detail17trampoline_kernelINS0_13select_configILj256ELj13ELNS0_17block_load_methodE3ELS4_3ELS4_3ELNS0_20block_scan_algorithmE0ELj4294967295EEENS1_25partition_config_selectorILNS1_17partition_subalgoE3EjNS0_10empty_typeEbEEZZNS1_14partition_implILS8_3ELb0ES6_jNS0_17counting_iteratorIjlEEPS9_SE_NS0_5tupleIJPjSE_EEENSF_IJSE_SE_EEES9_SG_JZNS1_25segmented_radix_sort_implINS0_14default_configELb1EPKhPhPKlPlN2at6native12_GLOBAL__N_18offset_tEEE10hipError_tPvRmT1_PNSt15iterator_traitsISY_E10value_typeET2_T3_PNSZ_IS14_E10value_typeET4_jRbjT5_S1A_jjP12ihipStream_tbEUljE_EEESV_SW_SX_S14_S18_S1A_T6_T7_T9_mT8_S1C_bDpT10_ENKUlT_T0_E_clISt17integral_constantIbLb1EES1O_IbLb0EEEEDaS1K_S1L_EUlS1K_E_NS1_11comp_targetILNS1_3genE10ELNS1_11target_archE1200ELNS1_3gpuE4ELNS1_3repE0EEENS1_30default_config_static_selectorELNS0_4arch9wavefront6targetE0EEEvSY_
    .private_segment_fixed_size: 0
    .sgpr_count:     0
    .sgpr_spill_count: 0
    .symbol:         _ZN7rocprim17ROCPRIM_400000_NS6detail17trampoline_kernelINS0_13select_configILj256ELj13ELNS0_17block_load_methodE3ELS4_3ELS4_3ELNS0_20block_scan_algorithmE0ELj4294967295EEENS1_25partition_config_selectorILNS1_17partition_subalgoE3EjNS0_10empty_typeEbEEZZNS1_14partition_implILS8_3ELb0ES6_jNS0_17counting_iteratorIjlEEPS9_SE_NS0_5tupleIJPjSE_EEENSF_IJSE_SE_EEES9_SG_JZNS1_25segmented_radix_sort_implINS0_14default_configELb1EPKhPhPKlPlN2at6native12_GLOBAL__N_18offset_tEEE10hipError_tPvRmT1_PNSt15iterator_traitsISY_E10value_typeET2_T3_PNSZ_IS14_E10value_typeET4_jRbjT5_S1A_jjP12ihipStream_tbEUljE_EEESV_SW_SX_S14_S18_S1A_T6_T7_T9_mT8_S1C_bDpT10_ENKUlT_T0_E_clISt17integral_constantIbLb1EES1O_IbLb0EEEEDaS1K_S1L_EUlS1K_E_NS1_11comp_targetILNS1_3genE10ELNS1_11target_archE1200ELNS1_3gpuE4ELNS1_3repE0EEENS1_30default_config_static_selectorELNS0_4arch9wavefront6targetE0EEEvSY_.kd
    .uniform_work_group_size: 1
    .uses_dynamic_stack: false
    .vgpr_count:     0
    .vgpr_spill_count: 0
    .wavefront_size: 32
    .workgroup_processor_mode: 1
  - .args:
      - .offset:         0
        .size:           144
        .value_kind:     by_value
    .group_segment_fixed_size: 0
    .kernarg_segment_align: 8
    .kernarg_segment_size: 144
    .language:       OpenCL C
    .language_version:
      - 2
      - 0
    .max_flat_workgroup_size: 256
    .name:           _ZN7rocprim17ROCPRIM_400000_NS6detail17trampoline_kernelINS0_13select_configILj256ELj13ELNS0_17block_load_methodE3ELS4_3ELS4_3ELNS0_20block_scan_algorithmE0ELj4294967295EEENS1_25partition_config_selectorILNS1_17partition_subalgoE3EjNS0_10empty_typeEbEEZZNS1_14partition_implILS8_3ELb0ES6_jNS0_17counting_iteratorIjlEEPS9_SE_NS0_5tupleIJPjSE_EEENSF_IJSE_SE_EEES9_SG_JZNS1_25segmented_radix_sort_implINS0_14default_configELb1EPKhPhPKlPlN2at6native12_GLOBAL__N_18offset_tEEE10hipError_tPvRmT1_PNSt15iterator_traitsISY_E10value_typeET2_T3_PNSZ_IS14_E10value_typeET4_jRbjT5_S1A_jjP12ihipStream_tbEUljE_EEESV_SW_SX_S14_S18_S1A_T6_T7_T9_mT8_S1C_bDpT10_ENKUlT_T0_E_clISt17integral_constantIbLb1EES1O_IbLb0EEEEDaS1K_S1L_EUlS1K_E_NS1_11comp_targetILNS1_3genE9ELNS1_11target_archE1100ELNS1_3gpuE3ELNS1_3repE0EEENS1_30default_config_static_selectorELNS0_4arch9wavefront6targetE0EEEvSY_
    .private_segment_fixed_size: 0
    .sgpr_count:     0
    .sgpr_spill_count: 0
    .symbol:         _ZN7rocprim17ROCPRIM_400000_NS6detail17trampoline_kernelINS0_13select_configILj256ELj13ELNS0_17block_load_methodE3ELS4_3ELS4_3ELNS0_20block_scan_algorithmE0ELj4294967295EEENS1_25partition_config_selectorILNS1_17partition_subalgoE3EjNS0_10empty_typeEbEEZZNS1_14partition_implILS8_3ELb0ES6_jNS0_17counting_iteratorIjlEEPS9_SE_NS0_5tupleIJPjSE_EEENSF_IJSE_SE_EEES9_SG_JZNS1_25segmented_radix_sort_implINS0_14default_configELb1EPKhPhPKlPlN2at6native12_GLOBAL__N_18offset_tEEE10hipError_tPvRmT1_PNSt15iterator_traitsISY_E10value_typeET2_T3_PNSZ_IS14_E10value_typeET4_jRbjT5_S1A_jjP12ihipStream_tbEUljE_EEESV_SW_SX_S14_S18_S1A_T6_T7_T9_mT8_S1C_bDpT10_ENKUlT_T0_E_clISt17integral_constantIbLb1EES1O_IbLb0EEEEDaS1K_S1L_EUlS1K_E_NS1_11comp_targetILNS1_3genE9ELNS1_11target_archE1100ELNS1_3gpuE3ELNS1_3repE0EEENS1_30default_config_static_selectorELNS0_4arch9wavefront6targetE0EEEvSY_.kd
    .uniform_work_group_size: 1
    .uses_dynamic_stack: false
    .vgpr_count:     0
    .vgpr_spill_count: 0
    .wavefront_size: 32
    .workgroup_processor_mode: 1
  - .args:
      - .offset:         0
        .size:           144
        .value_kind:     by_value
    .group_segment_fixed_size: 0
    .kernarg_segment_align: 8
    .kernarg_segment_size: 144
    .language:       OpenCL C
    .language_version:
      - 2
      - 0
    .max_flat_workgroup_size: 256
    .name:           _ZN7rocprim17ROCPRIM_400000_NS6detail17trampoline_kernelINS0_13select_configILj256ELj13ELNS0_17block_load_methodE3ELS4_3ELS4_3ELNS0_20block_scan_algorithmE0ELj4294967295EEENS1_25partition_config_selectorILNS1_17partition_subalgoE3EjNS0_10empty_typeEbEEZZNS1_14partition_implILS8_3ELb0ES6_jNS0_17counting_iteratorIjlEEPS9_SE_NS0_5tupleIJPjSE_EEENSF_IJSE_SE_EEES9_SG_JZNS1_25segmented_radix_sort_implINS0_14default_configELb1EPKhPhPKlPlN2at6native12_GLOBAL__N_18offset_tEEE10hipError_tPvRmT1_PNSt15iterator_traitsISY_E10value_typeET2_T3_PNSZ_IS14_E10value_typeET4_jRbjT5_S1A_jjP12ihipStream_tbEUljE_EEESV_SW_SX_S14_S18_S1A_T6_T7_T9_mT8_S1C_bDpT10_ENKUlT_T0_E_clISt17integral_constantIbLb1EES1O_IbLb0EEEEDaS1K_S1L_EUlS1K_E_NS1_11comp_targetILNS1_3genE8ELNS1_11target_archE1030ELNS1_3gpuE2ELNS1_3repE0EEENS1_30default_config_static_selectorELNS0_4arch9wavefront6targetE0EEEvSY_
    .private_segment_fixed_size: 0
    .sgpr_count:     0
    .sgpr_spill_count: 0
    .symbol:         _ZN7rocprim17ROCPRIM_400000_NS6detail17trampoline_kernelINS0_13select_configILj256ELj13ELNS0_17block_load_methodE3ELS4_3ELS4_3ELNS0_20block_scan_algorithmE0ELj4294967295EEENS1_25partition_config_selectorILNS1_17partition_subalgoE3EjNS0_10empty_typeEbEEZZNS1_14partition_implILS8_3ELb0ES6_jNS0_17counting_iteratorIjlEEPS9_SE_NS0_5tupleIJPjSE_EEENSF_IJSE_SE_EEES9_SG_JZNS1_25segmented_radix_sort_implINS0_14default_configELb1EPKhPhPKlPlN2at6native12_GLOBAL__N_18offset_tEEE10hipError_tPvRmT1_PNSt15iterator_traitsISY_E10value_typeET2_T3_PNSZ_IS14_E10value_typeET4_jRbjT5_S1A_jjP12ihipStream_tbEUljE_EEESV_SW_SX_S14_S18_S1A_T6_T7_T9_mT8_S1C_bDpT10_ENKUlT_T0_E_clISt17integral_constantIbLb1EES1O_IbLb0EEEEDaS1K_S1L_EUlS1K_E_NS1_11comp_targetILNS1_3genE8ELNS1_11target_archE1030ELNS1_3gpuE2ELNS1_3repE0EEENS1_30default_config_static_selectorELNS0_4arch9wavefront6targetE0EEEvSY_.kd
    .uniform_work_group_size: 1
    .uses_dynamic_stack: false
    .vgpr_count:     0
    .vgpr_spill_count: 0
    .wavefront_size: 32
    .workgroup_processor_mode: 1
  - .args:
      - .address_space:  global
        .offset:         0
        .size:           8
        .value_kind:     global_buffer
      - .offset:         8
        .size:           4
        .value_kind:     by_value
      - .address_space:  global
        .offset:         16
        .size:           8
        .value_kind:     global_buffer
      - .offset:         24
        .size:           4
        .value_kind:     by_value
      - .address_space:  global
        .offset:         32
        .size:           8
        .value_kind:     global_buffer
      - .offset:         40
        .size:           4
        .value_kind:     hidden_block_count_x
      - .offset:         44
        .size:           4
        .value_kind:     hidden_block_count_y
      - .offset:         48
        .size:           4
        .value_kind:     hidden_block_count_z
      - .offset:         52
        .size:           2
        .value_kind:     hidden_group_size_x
      - .offset:         54
        .size:           2
        .value_kind:     hidden_group_size_y
      - .offset:         56
        .size:           2
        .value_kind:     hidden_group_size_z
      - .offset:         58
        .size:           2
        .value_kind:     hidden_remainder_x
      - .offset:         60
        .size:           2
        .value_kind:     hidden_remainder_y
      - .offset:         62
        .size:           2
        .value_kind:     hidden_remainder_z
      - .offset:         80
        .size:           8
        .value_kind:     hidden_global_offset_x
      - .offset:         88
        .size:           8
        .value_kind:     hidden_global_offset_y
      - .offset:         96
        .size:           8
        .value_kind:     hidden_global_offset_z
      - .offset:         104
        .size:           2
        .value_kind:     hidden_grid_dims
    .group_segment_fixed_size: 0
    .kernarg_segment_align: 8
    .kernarg_segment_size: 296
    .language:       OpenCL C
    .language_version:
      - 2
      - 0
    .max_flat_workgroup_size: 256
    .name:           _ZN7rocprim17ROCPRIM_400000_NS6detail31init_lookback_scan_state_kernelINS1_19lookback_scan_stateIjLb0ELb1EEENS1_16block_id_wrapperIjLb1EEEEEvT_jT0_jPNS7_10value_typeE
    .private_segment_fixed_size: 0
    .sgpr_count:     12
    .sgpr_spill_count: 0
    .symbol:         _ZN7rocprim17ROCPRIM_400000_NS6detail31init_lookback_scan_state_kernelINS1_19lookback_scan_stateIjLb0ELb1EEENS1_16block_id_wrapperIjLb1EEEEEvT_jT0_jPNS7_10value_typeE.kd
    .uniform_work_group_size: 1
    .uses_dynamic_stack: false
    .vgpr_count:     7
    .vgpr_spill_count: 0
    .wavefront_size: 32
    .workgroup_processor_mode: 1
  - .args:
      - .offset:         0
        .size:           152
        .value_kind:     by_value
    .group_segment_fixed_size: 0
    .kernarg_segment_align: 8
    .kernarg_segment_size: 152
    .language:       OpenCL C
    .language_version:
      - 2
      - 0
    .max_flat_workgroup_size: 256
    .name:           _ZN7rocprim17ROCPRIM_400000_NS6detail17trampoline_kernelINS0_13select_configILj256ELj13ELNS0_17block_load_methodE3ELS4_3ELS4_3ELNS0_20block_scan_algorithmE0ELj4294967295EEENS1_25partition_config_selectorILNS1_17partition_subalgoE3EjNS0_10empty_typeEbEEZZNS1_14partition_implILS8_3ELb0ES6_jNS0_17counting_iteratorIjlEEPS9_SE_NS0_5tupleIJPjSE_EEENSF_IJSE_SE_EEES9_SG_JZNS1_25segmented_radix_sort_implINS0_14default_configELb1EPKhPhPKlPlN2at6native12_GLOBAL__N_18offset_tEEE10hipError_tPvRmT1_PNSt15iterator_traitsISY_E10value_typeET2_T3_PNSZ_IS14_E10value_typeET4_jRbjT5_S1A_jjP12ihipStream_tbEUljE_EEESV_SW_SX_S14_S18_S1A_T6_T7_T9_mT8_S1C_bDpT10_ENKUlT_T0_E_clISt17integral_constantIbLb0EES1O_IbLb1EEEEDaS1K_S1L_EUlS1K_E_NS1_11comp_targetILNS1_3genE0ELNS1_11target_archE4294967295ELNS1_3gpuE0ELNS1_3repE0EEENS1_30default_config_static_selectorELNS0_4arch9wavefront6targetE0EEEvSY_
    .private_segment_fixed_size: 0
    .sgpr_count:     0
    .sgpr_spill_count: 0
    .symbol:         _ZN7rocprim17ROCPRIM_400000_NS6detail17trampoline_kernelINS0_13select_configILj256ELj13ELNS0_17block_load_methodE3ELS4_3ELS4_3ELNS0_20block_scan_algorithmE0ELj4294967295EEENS1_25partition_config_selectorILNS1_17partition_subalgoE3EjNS0_10empty_typeEbEEZZNS1_14partition_implILS8_3ELb0ES6_jNS0_17counting_iteratorIjlEEPS9_SE_NS0_5tupleIJPjSE_EEENSF_IJSE_SE_EEES9_SG_JZNS1_25segmented_radix_sort_implINS0_14default_configELb1EPKhPhPKlPlN2at6native12_GLOBAL__N_18offset_tEEE10hipError_tPvRmT1_PNSt15iterator_traitsISY_E10value_typeET2_T3_PNSZ_IS14_E10value_typeET4_jRbjT5_S1A_jjP12ihipStream_tbEUljE_EEESV_SW_SX_S14_S18_S1A_T6_T7_T9_mT8_S1C_bDpT10_ENKUlT_T0_E_clISt17integral_constantIbLb0EES1O_IbLb1EEEEDaS1K_S1L_EUlS1K_E_NS1_11comp_targetILNS1_3genE0ELNS1_11target_archE4294967295ELNS1_3gpuE0ELNS1_3repE0EEENS1_30default_config_static_selectorELNS0_4arch9wavefront6targetE0EEEvSY_.kd
    .uniform_work_group_size: 1
    .uses_dynamic_stack: false
    .vgpr_count:     0
    .vgpr_spill_count: 0
    .wavefront_size: 32
    .workgroup_processor_mode: 1
  - .args:
      - .offset:         0
        .size:           152
        .value_kind:     by_value
    .group_segment_fixed_size: 0
    .kernarg_segment_align: 8
    .kernarg_segment_size: 152
    .language:       OpenCL C
    .language_version:
      - 2
      - 0
    .max_flat_workgroup_size: 256
    .name:           _ZN7rocprim17ROCPRIM_400000_NS6detail17trampoline_kernelINS0_13select_configILj256ELj13ELNS0_17block_load_methodE3ELS4_3ELS4_3ELNS0_20block_scan_algorithmE0ELj4294967295EEENS1_25partition_config_selectorILNS1_17partition_subalgoE3EjNS0_10empty_typeEbEEZZNS1_14partition_implILS8_3ELb0ES6_jNS0_17counting_iteratorIjlEEPS9_SE_NS0_5tupleIJPjSE_EEENSF_IJSE_SE_EEES9_SG_JZNS1_25segmented_radix_sort_implINS0_14default_configELb1EPKhPhPKlPlN2at6native12_GLOBAL__N_18offset_tEEE10hipError_tPvRmT1_PNSt15iterator_traitsISY_E10value_typeET2_T3_PNSZ_IS14_E10value_typeET4_jRbjT5_S1A_jjP12ihipStream_tbEUljE_EEESV_SW_SX_S14_S18_S1A_T6_T7_T9_mT8_S1C_bDpT10_ENKUlT_T0_E_clISt17integral_constantIbLb0EES1O_IbLb1EEEEDaS1K_S1L_EUlS1K_E_NS1_11comp_targetILNS1_3genE5ELNS1_11target_archE942ELNS1_3gpuE9ELNS1_3repE0EEENS1_30default_config_static_selectorELNS0_4arch9wavefront6targetE0EEEvSY_
    .private_segment_fixed_size: 0
    .sgpr_count:     0
    .sgpr_spill_count: 0
    .symbol:         _ZN7rocprim17ROCPRIM_400000_NS6detail17trampoline_kernelINS0_13select_configILj256ELj13ELNS0_17block_load_methodE3ELS4_3ELS4_3ELNS0_20block_scan_algorithmE0ELj4294967295EEENS1_25partition_config_selectorILNS1_17partition_subalgoE3EjNS0_10empty_typeEbEEZZNS1_14partition_implILS8_3ELb0ES6_jNS0_17counting_iteratorIjlEEPS9_SE_NS0_5tupleIJPjSE_EEENSF_IJSE_SE_EEES9_SG_JZNS1_25segmented_radix_sort_implINS0_14default_configELb1EPKhPhPKlPlN2at6native12_GLOBAL__N_18offset_tEEE10hipError_tPvRmT1_PNSt15iterator_traitsISY_E10value_typeET2_T3_PNSZ_IS14_E10value_typeET4_jRbjT5_S1A_jjP12ihipStream_tbEUljE_EEESV_SW_SX_S14_S18_S1A_T6_T7_T9_mT8_S1C_bDpT10_ENKUlT_T0_E_clISt17integral_constantIbLb0EES1O_IbLb1EEEEDaS1K_S1L_EUlS1K_E_NS1_11comp_targetILNS1_3genE5ELNS1_11target_archE942ELNS1_3gpuE9ELNS1_3repE0EEENS1_30default_config_static_selectorELNS0_4arch9wavefront6targetE0EEEvSY_.kd
    .uniform_work_group_size: 1
    .uses_dynamic_stack: false
    .vgpr_count:     0
    .vgpr_spill_count: 0
    .wavefront_size: 32
    .workgroup_processor_mode: 1
  - .args:
      - .offset:         0
        .size:           152
        .value_kind:     by_value
    .group_segment_fixed_size: 0
    .kernarg_segment_align: 8
    .kernarg_segment_size: 152
    .language:       OpenCL C
    .language_version:
      - 2
      - 0
    .max_flat_workgroup_size: 256
    .name:           _ZN7rocprim17ROCPRIM_400000_NS6detail17trampoline_kernelINS0_13select_configILj256ELj13ELNS0_17block_load_methodE3ELS4_3ELS4_3ELNS0_20block_scan_algorithmE0ELj4294967295EEENS1_25partition_config_selectorILNS1_17partition_subalgoE3EjNS0_10empty_typeEbEEZZNS1_14partition_implILS8_3ELb0ES6_jNS0_17counting_iteratorIjlEEPS9_SE_NS0_5tupleIJPjSE_EEENSF_IJSE_SE_EEES9_SG_JZNS1_25segmented_radix_sort_implINS0_14default_configELb1EPKhPhPKlPlN2at6native12_GLOBAL__N_18offset_tEEE10hipError_tPvRmT1_PNSt15iterator_traitsISY_E10value_typeET2_T3_PNSZ_IS14_E10value_typeET4_jRbjT5_S1A_jjP12ihipStream_tbEUljE_EEESV_SW_SX_S14_S18_S1A_T6_T7_T9_mT8_S1C_bDpT10_ENKUlT_T0_E_clISt17integral_constantIbLb0EES1O_IbLb1EEEEDaS1K_S1L_EUlS1K_E_NS1_11comp_targetILNS1_3genE4ELNS1_11target_archE910ELNS1_3gpuE8ELNS1_3repE0EEENS1_30default_config_static_selectorELNS0_4arch9wavefront6targetE0EEEvSY_
    .private_segment_fixed_size: 0
    .sgpr_count:     0
    .sgpr_spill_count: 0
    .symbol:         _ZN7rocprim17ROCPRIM_400000_NS6detail17trampoline_kernelINS0_13select_configILj256ELj13ELNS0_17block_load_methodE3ELS4_3ELS4_3ELNS0_20block_scan_algorithmE0ELj4294967295EEENS1_25partition_config_selectorILNS1_17partition_subalgoE3EjNS0_10empty_typeEbEEZZNS1_14partition_implILS8_3ELb0ES6_jNS0_17counting_iteratorIjlEEPS9_SE_NS0_5tupleIJPjSE_EEENSF_IJSE_SE_EEES9_SG_JZNS1_25segmented_radix_sort_implINS0_14default_configELb1EPKhPhPKlPlN2at6native12_GLOBAL__N_18offset_tEEE10hipError_tPvRmT1_PNSt15iterator_traitsISY_E10value_typeET2_T3_PNSZ_IS14_E10value_typeET4_jRbjT5_S1A_jjP12ihipStream_tbEUljE_EEESV_SW_SX_S14_S18_S1A_T6_T7_T9_mT8_S1C_bDpT10_ENKUlT_T0_E_clISt17integral_constantIbLb0EES1O_IbLb1EEEEDaS1K_S1L_EUlS1K_E_NS1_11comp_targetILNS1_3genE4ELNS1_11target_archE910ELNS1_3gpuE8ELNS1_3repE0EEENS1_30default_config_static_selectorELNS0_4arch9wavefront6targetE0EEEvSY_.kd
    .uniform_work_group_size: 1
    .uses_dynamic_stack: false
    .vgpr_count:     0
    .vgpr_spill_count: 0
    .wavefront_size: 32
    .workgroup_processor_mode: 1
  - .args:
      - .offset:         0
        .size:           152
        .value_kind:     by_value
    .group_segment_fixed_size: 0
    .kernarg_segment_align: 8
    .kernarg_segment_size: 152
    .language:       OpenCL C
    .language_version:
      - 2
      - 0
    .max_flat_workgroup_size: 256
    .name:           _ZN7rocprim17ROCPRIM_400000_NS6detail17trampoline_kernelINS0_13select_configILj256ELj13ELNS0_17block_load_methodE3ELS4_3ELS4_3ELNS0_20block_scan_algorithmE0ELj4294967295EEENS1_25partition_config_selectorILNS1_17partition_subalgoE3EjNS0_10empty_typeEbEEZZNS1_14partition_implILS8_3ELb0ES6_jNS0_17counting_iteratorIjlEEPS9_SE_NS0_5tupleIJPjSE_EEENSF_IJSE_SE_EEES9_SG_JZNS1_25segmented_radix_sort_implINS0_14default_configELb1EPKhPhPKlPlN2at6native12_GLOBAL__N_18offset_tEEE10hipError_tPvRmT1_PNSt15iterator_traitsISY_E10value_typeET2_T3_PNSZ_IS14_E10value_typeET4_jRbjT5_S1A_jjP12ihipStream_tbEUljE_EEESV_SW_SX_S14_S18_S1A_T6_T7_T9_mT8_S1C_bDpT10_ENKUlT_T0_E_clISt17integral_constantIbLb0EES1O_IbLb1EEEEDaS1K_S1L_EUlS1K_E_NS1_11comp_targetILNS1_3genE3ELNS1_11target_archE908ELNS1_3gpuE7ELNS1_3repE0EEENS1_30default_config_static_selectorELNS0_4arch9wavefront6targetE0EEEvSY_
    .private_segment_fixed_size: 0
    .sgpr_count:     0
    .sgpr_spill_count: 0
    .symbol:         _ZN7rocprim17ROCPRIM_400000_NS6detail17trampoline_kernelINS0_13select_configILj256ELj13ELNS0_17block_load_methodE3ELS4_3ELS4_3ELNS0_20block_scan_algorithmE0ELj4294967295EEENS1_25partition_config_selectorILNS1_17partition_subalgoE3EjNS0_10empty_typeEbEEZZNS1_14partition_implILS8_3ELb0ES6_jNS0_17counting_iteratorIjlEEPS9_SE_NS0_5tupleIJPjSE_EEENSF_IJSE_SE_EEES9_SG_JZNS1_25segmented_radix_sort_implINS0_14default_configELb1EPKhPhPKlPlN2at6native12_GLOBAL__N_18offset_tEEE10hipError_tPvRmT1_PNSt15iterator_traitsISY_E10value_typeET2_T3_PNSZ_IS14_E10value_typeET4_jRbjT5_S1A_jjP12ihipStream_tbEUljE_EEESV_SW_SX_S14_S18_S1A_T6_T7_T9_mT8_S1C_bDpT10_ENKUlT_T0_E_clISt17integral_constantIbLb0EES1O_IbLb1EEEEDaS1K_S1L_EUlS1K_E_NS1_11comp_targetILNS1_3genE3ELNS1_11target_archE908ELNS1_3gpuE7ELNS1_3repE0EEENS1_30default_config_static_selectorELNS0_4arch9wavefront6targetE0EEEvSY_.kd
    .uniform_work_group_size: 1
    .uses_dynamic_stack: false
    .vgpr_count:     0
    .vgpr_spill_count: 0
    .wavefront_size: 32
    .workgroup_processor_mode: 1
  - .args:
      - .offset:         0
        .size:           152
        .value_kind:     by_value
    .group_segment_fixed_size: 0
    .kernarg_segment_align: 8
    .kernarg_segment_size: 152
    .language:       OpenCL C
    .language_version:
      - 2
      - 0
    .max_flat_workgroup_size: 256
    .name:           _ZN7rocprim17ROCPRIM_400000_NS6detail17trampoline_kernelINS0_13select_configILj256ELj13ELNS0_17block_load_methodE3ELS4_3ELS4_3ELNS0_20block_scan_algorithmE0ELj4294967295EEENS1_25partition_config_selectorILNS1_17partition_subalgoE3EjNS0_10empty_typeEbEEZZNS1_14partition_implILS8_3ELb0ES6_jNS0_17counting_iteratorIjlEEPS9_SE_NS0_5tupleIJPjSE_EEENSF_IJSE_SE_EEES9_SG_JZNS1_25segmented_radix_sort_implINS0_14default_configELb1EPKhPhPKlPlN2at6native12_GLOBAL__N_18offset_tEEE10hipError_tPvRmT1_PNSt15iterator_traitsISY_E10value_typeET2_T3_PNSZ_IS14_E10value_typeET4_jRbjT5_S1A_jjP12ihipStream_tbEUljE_EEESV_SW_SX_S14_S18_S1A_T6_T7_T9_mT8_S1C_bDpT10_ENKUlT_T0_E_clISt17integral_constantIbLb0EES1O_IbLb1EEEEDaS1K_S1L_EUlS1K_E_NS1_11comp_targetILNS1_3genE2ELNS1_11target_archE906ELNS1_3gpuE6ELNS1_3repE0EEENS1_30default_config_static_selectorELNS0_4arch9wavefront6targetE0EEEvSY_
    .private_segment_fixed_size: 0
    .sgpr_count:     0
    .sgpr_spill_count: 0
    .symbol:         _ZN7rocprim17ROCPRIM_400000_NS6detail17trampoline_kernelINS0_13select_configILj256ELj13ELNS0_17block_load_methodE3ELS4_3ELS4_3ELNS0_20block_scan_algorithmE0ELj4294967295EEENS1_25partition_config_selectorILNS1_17partition_subalgoE3EjNS0_10empty_typeEbEEZZNS1_14partition_implILS8_3ELb0ES6_jNS0_17counting_iteratorIjlEEPS9_SE_NS0_5tupleIJPjSE_EEENSF_IJSE_SE_EEES9_SG_JZNS1_25segmented_radix_sort_implINS0_14default_configELb1EPKhPhPKlPlN2at6native12_GLOBAL__N_18offset_tEEE10hipError_tPvRmT1_PNSt15iterator_traitsISY_E10value_typeET2_T3_PNSZ_IS14_E10value_typeET4_jRbjT5_S1A_jjP12ihipStream_tbEUljE_EEESV_SW_SX_S14_S18_S1A_T6_T7_T9_mT8_S1C_bDpT10_ENKUlT_T0_E_clISt17integral_constantIbLb0EES1O_IbLb1EEEEDaS1K_S1L_EUlS1K_E_NS1_11comp_targetILNS1_3genE2ELNS1_11target_archE906ELNS1_3gpuE6ELNS1_3repE0EEENS1_30default_config_static_selectorELNS0_4arch9wavefront6targetE0EEEvSY_.kd
    .uniform_work_group_size: 1
    .uses_dynamic_stack: false
    .vgpr_count:     0
    .vgpr_spill_count: 0
    .wavefront_size: 32
    .workgroup_processor_mode: 1
  - .args:
      - .offset:         0
        .size:           152
        .value_kind:     by_value
    .group_segment_fixed_size: 0
    .kernarg_segment_align: 8
    .kernarg_segment_size: 152
    .language:       OpenCL C
    .language_version:
      - 2
      - 0
    .max_flat_workgroup_size: 256
    .name:           _ZN7rocprim17ROCPRIM_400000_NS6detail17trampoline_kernelINS0_13select_configILj256ELj13ELNS0_17block_load_methodE3ELS4_3ELS4_3ELNS0_20block_scan_algorithmE0ELj4294967295EEENS1_25partition_config_selectorILNS1_17partition_subalgoE3EjNS0_10empty_typeEbEEZZNS1_14partition_implILS8_3ELb0ES6_jNS0_17counting_iteratorIjlEEPS9_SE_NS0_5tupleIJPjSE_EEENSF_IJSE_SE_EEES9_SG_JZNS1_25segmented_radix_sort_implINS0_14default_configELb1EPKhPhPKlPlN2at6native12_GLOBAL__N_18offset_tEEE10hipError_tPvRmT1_PNSt15iterator_traitsISY_E10value_typeET2_T3_PNSZ_IS14_E10value_typeET4_jRbjT5_S1A_jjP12ihipStream_tbEUljE_EEESV_SW_SX_S14_S18_S1A_T6_T7_T9_mT8_S1C_bDpT10_ENKUlT_T0_E_clISt17integral_constantIbLb0EES1O_IbLb1EEEEDaS1K_S1L_EUlS1K_E_NS1_11comp_targetILNS1_3genE10ELNS1_11target_archE1200ELNS1_3gpuE4ELNS1_3repE0EEENS1_30default_config_static_selectorELNS0_4arch9wavefront6targetE0EEEvSY_
    .private_segment_fixed_size: 0
    .sgpr_count:     0
    .sgpr_spill_count: 0
    .symbol:         _ZN7rocprim17ROCPRIM_400000_NS6detail17trampoline_kernelINS0_13select_configILj256ELj13ELNS0_17block_load_methodE3ELS4_3ELS4_3ELNS0_20block_scan_algorithmE0ELj4294967295EEENS1_25partition_config_selectorILNS1_17partition_subalgoE3EjNS0_10empty_typeEbEEZZNS1_14partition_implILS8_3ELb0ES6_jNS0_17counting_iteratorIjlEEPS9_SE_NS0_5tupleIJPjSE_EEENSF_IJSE_SE_EEES9_SG_JZNS1_25segmented_radix_sort_implINS0_14default_configELb1EPKhPhPKlPlN2at6native12_GLOBAL__N_18offset_tEEE10hipError_tPvRmT1_PNSt15iterator_traitsISY_E10value_typeET2_T3_PNSZ_IS14_E10value_typeET4_jRbjT5_S1A_jjP12ihipStream_tbEUljE_EEESV_SW_SX_S14_S18_S1A_T6_T7_T9_mT8_S1C_bDpT10_ENKUlT_T0_E_clISt17integral_constantIbLb0EES1O_IbLb1EEEEDaS1K_S1L_EUlS1K_E_NS1_11comp_targetILNS1_3genE10ELNS1_11target_archE1200ELNS1_3gpuE4ELNS1_3repE0EEENS1_30default_config_static_selectorELNS0_4arch9wavefront6targetE0EEEvSY_.kd
    .uniform_work_group_size: 1
    .uses_dynamic_stack: false
    .vgpr_count:     0
    .vgpr_spill_count: 0
    .wavefront_size: 32
    .workgroup_processor_mode: 1
  - .args:
      - .offset:         0
        .size:           152
        .value_kind:     by_value
    .group_segment_fixed_size: 0
    .kernarg_segment_align: 8
    .kernarg_segment_size: 152
    .language:       OpenCL C
    .language_version:
      - 2
      - 0
    .max_flat_workgroup_size: 256
    .name:           _ZN7rocprim17ROCPRIM_400000_NS6detail17trampoline_kernelINS0_13select_configILj256ELj13ELNS0_17block_load_methodE3ELS4_3ELS4_3ELNS0_20block_scan_algorithmE0ELj4294967295EEENS1_25partition_config_selectorILNS1_17partition_subalgoE3EjNS0_10empty_typeEbEEZZNS1_14partition_implILS8_3ELb0ES6_jNS0_17counting_iteratorIjlEEPS9_SE_NS0_5tupleIJPjSE_EEENSF_IJSE_SE_EEES9_SG_JZNS1_25segmented_radix_sort_implINS0_14default_configELb1EPKhPhPKlPlN2at6native12_GLOBAL__N_18offset_tEEE10hipError_tPvRmT1_PNSt15iterator_traitsISY_E10value_typeET2_T3_PNSZ_IS14_E10value_typeET4_jRbjT5_S1A_jjP12ihipStream_tbEUljE_EEESV_SW_SX_S14_S18_S1A_T6_T7_T9_mT8_S1C_bDpT10_ENKUlT_T0_E_clISt17integral_constantIbLb0EES1O_IbLb1EEEEDaS1K_S1L_EUlS1K_E_NS1_11comp_targetILNS1_3genE9ELNS1_11target_archE1100ELNS1_3gpuE3ELNS1_3repE0EEENS1_30default_config_static_selectorELNS0_4arch9wavefront6targetE0EEEvSY_
    .private_segment_fixed_size: 0
    .sgpr_count:     0
    .sgpr_spill_count: 0
    .symbol:         _ZN7rocprim17ROCPRIM_400000_NS6detail17trampoline_kernelINS0_13select_configILj256ELj13ELNS0_17block_load_methodE3ELS4_3ELS4_3ELNS0_20block_scan_algorithmE0ELj4294967295EEENS1_25partition_config_selectorILNS1_17partition_subalgoE3EjNS0_10empty_typeEbEEZZNS1_14partition_implILS8_3ELb0ES6_jNS0_17counting_iteratorIjlEEPS9_SE_NS0_5tupleIJPjSE_EEENSF_IJSE_SE_EEES9_SG_JZNS1_25segmented_radix_sort_implINS0_14default_configELb1EPKhPhPKlPlN2at6native12_GLOBAL__N_18offset_tEEE10hipError_tPvRmT1_PNSt15iterator_traitsISY_E10value_typeET2_T3_PNSZ_IS14_E10value_typeET4_jRbjT5_S1A_jjP12ihipStream_tbEUljE_EEESV_SW_SX_S14_S18_S1A_T6_T7_T9_mT8_S1C_bDpT10_ENKUlT_T0_E_clISt17integral_constantIbLb0EES1O_IbLb1EEEEDaS1K_S1L_EUlS1K_E_NS1_11comp_targetILNS1_3genE9ELNS1_11target_archE1100ELNS1_3gpuE3ELNS1_3repE0EEENS1_30default_config_static_selectorELNS0_4arch9wavefront6targetE0EEEvSY_.kd
    .uniform_work_group_size: 1
    .uses_dynamic_stack: false
    .vgpr_count:     0
    .vgpr_spill_count: 0
    .wavefront_size: 32
    .workgroup_processor_mode: 1
  - .args:
      - .offset:         0
        .size:           152
        .value_kind:     by_value
    .group_segment_fixed_size: 13320
    .kernarg_segment_align: 8
    .kernarg_segment_size: 152
    .language:       OpenCL C
    .language_version:
      - 2
      - 0
    .max_flat_workgroup_size: 256
    .name:           _ZN7rocprim17ROCPRIM_400000_NS6detail17trampoline_kernelINS0_13select_configILj256ELj13ELNS0_17block_load_methodE3ELS4_3ELS4_3ELNS0_20block_scan_algorithmE0ELj4294967295EEENS1_25partition_config_selectorILNS1_17partition_subalgoE3EjNS0_10empty_typeEbEEZZNS1_14partition_implILS8_3ELb0ES6_jNS0_17counting_iteratorIjlEEPS9_SE_NS0_5tupleIJPjSE_EEENSF_IJSE_SE_EEES9_SG_JZNS1_25segmented_radix_sort_implINS0_14default_configELb1EPKhPhPKlPlN2at6native12_GLOBAL__N_18offset_tEEE10hipError_tPvRmT1_PNSt15iterator_traitsISY_E10value_typeET2_T3_PNSZ_IS14_E10value_typeET4_jRbjT5_S1A_jjP12ihipStream_tbEUljE_EEESV_SW_SX_S14_S18_S1A_T6_T7_T9_mT8_S1C_bDpT10_ENKUlT_T0_E_clISt17integral_constantIbLb0EES1O_IbLb1EEEEDaS1K_S1L_EUlS1K_E_NS1_11comp_targetILNS1_3genE8ELNS1_11target_archE1030ELNS1_3gpuE2ELNS1_3repE0EEENS1_30default_config_static_selectorELNS0_4arch9wavefront6targetE0EEEvSY_
    .private_segment_fixed_size: 0
    .sgpr_count:     28
    .sgpr_spill_count: 0
    .symbol:         _ZN7rocprim17ROCPRIM_400000_NS6detail17trampoline_kernelINS0_13select_configILj256ELj13ELNS0_17block_load_methodE3ELS4_3ELS4_3ELNS0_20block_scan_algorithmE0ELj4294967295EEENS1_25partition_config_selectorILNS1_17partition_subalgoE3EjNS0_10empty_typeEbEEZZNS1_14partition_implILS8_3ELb0ES6_jNS0_17counting_iteratorIjlEEPS9_SE_NS0_5tupleIJPjSE_EEENSF_IJSE_SE_EEES9_SG_JZNS1_25segmented_radix_sort_implINS0_14default_configELb1EPKhPhPKlPlN2at6native12_GLOBAL__N_18offset_tEEE10hipError_tPvRmT1_PNSt15iterator_traitsISY_E10value_typeET2_T3_PNSZ_IS14_E10value_typeET4_jRbjT5_S1A_jjP12ihipStream_tbEUljE_EEESV_SW_SX_S14_S18_S1A_T6_T7_T9_mT8_S1C_bDpT10_ENKUlT_T0_E_clISt17integral_constantIbLb0EES1O_IbLb1EEEEDaS1K_S1L_EUlS1K_E_NS1_11comp_targetILNS1_3genE8ELNS1_11target_archE1030ELNS1_3gpuE2ELNS1_3repE0EEENS1_30default_config_static_selectorELNS0_4arch9wavefront6targetE0EEEvSY_.kd
    .uniform_work_group_size: 1
    .uses_dynamic_stack: false
    .vgpr_count:     71
    .vgpr_spill_count: 0
    .wavefront_size: 32
    .workgroup_processor_mode: 1
  - .args:
      - .offset:         0
        .size:           96
        .value_kind:     by_value
    .group_segment_fixed_size: 0
    .kernarg_segment_align: 8
    .kernarg_segment_size: 96
    .language:       OpenCL C
    .language_version:
      - 2
      - 0
    .max_flat_workgroup_size: 256
    .name:           _ZN7rocprim17ROCPRIM_400000_NS6detail17trampoline_kernelINS0_14default_configENS1_36segmented_radix_sort_config_selectorIhlEEZNS1_25segmented_radix_sort_implIS3_Lb1EPKhPhPKlPlN2at6native12_GLOBAL__N_18offset_tEEE10hipError_tPvRmT1_PNSt15iterator_traitsISK_E10value_typeET2_T3_PNSL_ISQ_E10value_typeET4_jRbjT5_SW_jjP12ihipStream_tbEUlT_E_NS1_11comp_targetILNS1_3genE0ELNS1_11target_archE4294967295ELNS1_3gpuE0ELNS1_3repE0EEENS1_30default_config_static_selectorELNS0_4arch9wavefront6targetE0EEEvSK_
    .private_segment_fixed_size: 0
    .sgpr_count:     0
    .sgpr_spill_count: 0
    .symbol:         _ZN7rocprim17ROCPRIM_400000_NS6detail17trampoline_kernelINS0_14default_configENS1_36segmented_radix_sort_config_selectorIhlEEZNS1_25segmented_radix_sort_implIS3_Lb1EPKhPhPKlPlN2at6native12_GLOBAL__N_18offset_tEEE10hipError_tPvRmT1_PNSt15iterator_traitsISK_E10value_typeET2_T3_PNSL_ISQ_E10value_typeET4_jRbjT5_SW_jjP12ihipStream_tbEUlT_E_NS1_11comp_targetILNS1_3genE0ELNS1_11target_archE4294967295ELNS1_3gpuE0ELNS1_3repE0EEENS1_30default_config_static_selectorELNS0_4arch9wavefront6targetE0EEEvSK_.kd
    .uniform_work_group_size: 1
    .uses_dynamic_stack: false
    .vgpr_count:     0
    .vgpr_spill_count: 0
    .wavefront_size: 32
    .workgroup_processor_mode: 1
  - .args:
      - .offset:         0
        .size:           96
        .value_kind:     by_value
    .group_segment_fixed_size: 0
    .kernarg_segment_align: 8
    .kernarg_segment_size: 96
    .language:       OpenCL C
    .language_version:
      - 2
      - 0
    .max_flat_workgroup_size: 256
    .name:           _ZN7rocprim17ROCPRIM_400000_NS6detail17trampoline_kernelINS0_14default_configENS1_36segmented_radix_sort_config_selectorIhlEEZNS1_25segmented_radix_sort_implIS3_Lb1EPKhPhPKlPlN2at6native12_GLOBAL__N_18offset_tEEE10hipError_tPvRmT1_PNSt15iterator_traitsISK_E10value_typeET2_T3_PNSL_ISQ_E10value_typeET4_jRbjT5_SW_jjP12ihipStream_tbEUlT_E_NS1_11comp_targetILNS1_3genE5ELNS1_11target_archE942ELNS1_3gpuE9ELNS1_3repE0EEENS1_30default_config_static_selectorELNS0_4arch9wavefront6targetE0EEEvSK_
    .private_segment_fixed_size: 0
    .sgpr_count:     0
    .sgpr_spill_count: 0
    .symbol:         _ZN7rocprim17ROCPRIM_400000_NS6detail17trampoline_kernelINS0_14default_configENS1_36segmented_radix_sort_config_selectorIhlEEZNS1_25segmented_radix_sort_implIS3_Lb1EPKhPhPKlPlN2at6native12_GLOBAL__N_18offset_tEEE10hipError_tPvRmT1_PNSt15iterator_traitsISK_E10value_typeET2_T3_PNSL_ISQ_E10value_typeET4_jRbjT5_SW_jjP12ihipStream_tbEUlT_E_NS1_11comp_targetILNS1_3genE5ELNS1_11target_archE942ELNS1_3gpuE9ELNS1_3repE0EEENS1_30default_config_static_selectorELNS0_4arch9wavefront6targetE0EEEvSK_.kd
    .uniform_work_group_size: 1
    .uses_dynamic_stack: false
    .vgpr_count:     0
    .vgpr_spill_count: 0
    .wavefront_size: 32
    .workgroup_processor_mode: 1
  - .args:
      - .offset:         0
        .size:           96
        .value_kind:     by_value
    .group_segment_fixed_size: 0
    .kernarg_segment_align: 8
    .kernarg_segment_size: 96
    .language:       OpenCL C
    .language_version:
      - 2
      - 0
    .max_flat_workgroup_size: 256
    .name:           _ZN7rocprim17ROCPRIM_400000_NS6detail17trampoline_kernelINS0_14default_configENS1_36segmented_radix_sort_config_selectorIhlEEZNS1_25segmented_radix_sort_implIS3_Lb1EPKhPhPKlPlN2at6native12_GLOBAL__N_18offset_tEEE10hipError_tPvRmT1_PNSt15iterator_traitsISK_E10value_typeET2_T3_PNSL_ISQ_E10value_typeET4_jRbjT5_SW_jjP12ihipStream_tbEUlT_E_NS1_11comp_targetILNS1_3genE4ELNS1_11target_archE910ELNS1_3gpuE8ELNS1_3repE0EEENS1_30default_config_static_selectorELNS0_4arch9wavefront6targetE0EEEvSK_
    .private_segment_fixed_size: 0
    .sgpr_count:     0
    .sgpr_spill_count: 0
    .symbol:         _ZN7rocprim17ROCPRIM_400000_NS6detail17trampoline_kernelINS0_14default_configENS1_36segmented_radix_sort_config_selectorIhlEEZNS1_25segmented_radix_sort_implIS3_Lb1EPKhPhPKlPlN2at6native12_GLOBAL__N_18offset_tEEE10hipError_tPvRmT1_PNSt15iterator_traitsISK_E10value_typeET2_T3_PNSL_ISQ_E10value_typeET4_jRbjT5_SW_jjP12ihipStream_tbEUlT_E_NS1_11comp_targetILNS1_3genE4ELNS1_11target_archE910ELNS1_3gpuE8ELNS1_3repE0EEENS1_30default_config_static_selectorELNS0_4arch9wavefront6targetE0EEEvSK_.kd
    .uniform_work_group_size: 1
    .uses_dynamic_stack: false
    .vgpr_count:     0
    .vgpr_spill_count: 0
    .wavefront_size: 32
    .workgroup_processor_mode: 1
  - .args:
      - .offset:         0
        .size:           96
        .value_kind:     by_value
    .group_segment_fixed_size: 0
    .kernarg_segment_align: 8
    .kernarg_segment_size: 96
    .language:       OpenCL C
    .language_version:
      - 2
      - 0
    .max_flat_workgroup_size: 256
    .name:           _ZN7rocprim17ROCPRIM_400000_NS6detail17trampoline_kernelINS0_14default_configENS1_36segmented_radix_sort_config_selectorIhlEEZNS1_25segmented_radix_sort_implIS3_Lb1EPKhPhPKlPlN2at6native12_GLOBAL__N_18offset_tEEE10hipError_tPvRmT1_PNSt15iterator_traitsISK_E10value_typeET2_T3_PNSL_ISQ_E10value_typeET4_jRbjT5_SW_jjP12ihipStream_tbEUlT_E_NS1_11comp_targetILNS1_3genE3ELNS1_11target_archE908ELNS1_3gpuE7ELNS1_3repE0EEENS1_30default_config_static_selectorELNS0_4arch9wavefront6targetE0EEEvSK_
    .private_segment_fixed_size: 0
    .sgpr_count:     0
    .sgpr_spill_count: 0
    .symbol:         _ZN7rocprim17ROCPRIM_400000_NS6detail17trampoline_kernelINS0_14default_configENS1_36segmented_radix_sort_config_selectorIhlEEZNS1_25segmented_radix_sort_implIS3_Lb1EPKhPhPKlPlN2at6native12_GLOBAL__N_18offset_tEEE10hipError_tPvRmT1_PNSt15iterator_traitsISK_E10value_typeET2_T3_PNSL_ISQ_E10value_typeET4_jRbjT5_SW_jjP12ihipStream_tbEUlT_E_NS1_11comp_targetILNS1_3genE3ELNS1_11target_archE908ELNS1_3gpuE7ELNS1_3repE0EEENS1_30default_config_static_selectorELNS0_4arch9wavefront6targetE0EEEvSK_.kd
    .uniform_work_group_size: 1
    .uses_dynamic_stack: false
    .vgpr_count:     0
    .vgpr_spill_count: 0
    .wavefront_size: 32
    .workgroup_processor_mode: 1
  - .args:
      - .offset:         0
        .size:           96
        .value_kind:     by_value
    .group_segment_fixed_size: 0
    .kernarg_segment_align: 8
    .kernarg_segment_size: 96
    .language:       OpenCL C
    .language_version:
      - 2
      - 0
    .max_flat_workgroup_size: 256
    .name:           _ZN7rocprim17ROCPRIM_400000_NS6detail17trampoline_kernelINS0_14default_configENS1_36segmented_radix_sort_config_selectorIhlEEZNS1_25segmented_radix_sort_implIS3_Lb1EPKhPhPKlPlN2at6native12_GLOBAL__N_18offset_tEEE10hipError_tPvRmT1_PNSt15iterator_traitsISK_E10value_typeET2_T3_PNSL_ISQ_E10value_typeET4_jRbjT5_SW_jjP12ihipStream_tbEUlT_E_NS1_11comp_targetILNS1_3genE2ELNS1_11target_archE906ELNS1_3gpuE6ELNS1_3repE0EEENS1_30default_config_static_selectorELNS0_4arch9wavefront6targetE0EEEvSK_
    .private_segment_fixed_size: 0
    .sgpr_count:     0
    .sgpr_spill_count: 0
    .symbol:         _ZN7rocprim17ROCPRIM_400000_NS6detail17trampoline_kernelINS0_14default_configENS1_36segmented_radix_sort_config_selectorIhlEEZNS1_25segmented_radix_sort_implIS3_Lb1EPKhPhPKlPlN2at6native12_GLOBAL__N_18offset_tEEE10hipError_tPvRmT1_PNSt15iterator_traitsISK_E10value_typeET2_T3_PNSL_ISQ_E10value_typeET4_jRbjT5_SW_jjP12ihipStream_tbEUlT_E_NS1_11comp_targetILNS1_3genE2ELNS1_11target_archE906ELNS1_3gpuE6ELNS1_3repE0EEENS1_30default_config_static_selectorELNS0_4arch9wavefront6targetE0EEEvSK_.kd
    .uniform_work_group_size: 1
    .uses_dynamic_stack: false
    .vgpr_count:     0
    .vgpr_spill_count: 0
    .wavefront_size: 32
    .workgroup_processor_mode: 1
  - .args:
      - .offset:         0
        .size:           96
        .value_kind:     by_value
    .group_segment_fixed_size: 0
    .kernarg_segment_align: 8
    .kernarg_segment_size: 96
    .language:       OpenCL C
    .language_version:
      - 2
      - 0
    .max_flat_workgroup_size: 256
    .name:           _ZN7rocprim17ROCPRIM_400000_NS6detail17trampoline_kernelINS0_14default_configENS1_36segmented_radix_sort_config_selectorIhlEEZNS1_25segmented_radix_sort_implIS3_Lb1EPKhPhPKlPlN2at6native12_GLOBAL__N_18offset_tEEE10hipError_tPvRmT1_PNSt15iterator_traitsISK_E10value_typeET2_T3_PNSL_ISQ_E10value_typeET4_jRbjT5_SW_jjP12ihipStream_tbEUlT_E_NS1_11comp_targetILNS1_3genE10ELNS1_11target_archE1201ELNS1_3gpuE5ELNS1_3repE0EEENS1_30default_config_static_selectorELNS0_4arch9wavefront6targetE0EEEvSK_
    .private_segment_fixed_size: 0
    .sgpr_count:     0
    .sgpr_spill_count: 0
    .symbol:         _ZN7rocprim17ROCPRIM_400000_NS6detail17trampoline_kernelINS0_14default_configENS1_36segmented_radix_sort_config_selectorIhlEEZNS1_25segmented_radix_sort_implIS3_Lb1EPKhPhPKlPlN2at6native12_GLOBAL__N_18offset_tEEE10hipError_tPvRmT1_PNSt15iterator_traitsISK_E10value_typeET2_T3_PNSL_ISQ_E10value_typeET4_jRbjT5_SW_jjP12ihipStream_tbEUlT_E_NS1_11comp_targetILNS1_3genE10ELNS1_11target_archE1201ELNS1_3gpuE5ELNS1_3repE0EEENS1_30default_config_static_selectorELNS0_4arch9wavefront6targetE0EEEvSK_.kd
    .uniform_work_group_size: 1
    .uses_dynamic_stack: false
    .vgpr_count:     0
    .vgpr_spill_count: 0
    .wavefront_size: 32
    .workgroup_processor_mode: 1
  - .args:
      - .offset:         0
        .size:           96
        .value_kind:     by_value
    .group_segment_fixed_size: 0
    .kernarg_segment_align: 8
    .kernarg_segment_size: 96
    .language:       OpenCL C
    .language_version:
      - 2
      - 0
    .max_flat_workgroup_size: 128
    .name:           _ZN7rocprim17ROCPRIM_400000_NS6detail17trampoline_kernelINS0_14default_configENS1_36segmented_radix_sort_config_selectorIhlEEZNS1_25segmented_radix_sort_implIS3_Lb1EPKhPhPKlPlN2at6native12_GLOBAL__N_18offset_tEEE10hipError_tPvRmT1_PNSt15iterator_traitsISK_E10value_typeET2_T3_PNSL_ISQ_E10value_typeET4_jRbjT5_SW_jjP12ihipStream_tbEUlT_E_NS1_11comp_targetILNS1_3genE10ELNS1_11target_archE1200ELNS1_3gpuE4ELNS1_3repE0EEENS1_30default_config_static_selectorELNS0_4arch9wavefront6targetE0EEEvSK_
    .private_segment_fixed_size: 0
    .sgpr_count:     0
    .sgpr_spill_count: 0
    .symbol:         _ZN7rocprim17ROCPRIM_400000_NS6detail17trampoline_kernelINS0_14default_configENS1_36segmented_radix_sort_config_selectorIhlEEZNS1_25segmented_radix_sort_implIS3_Lb1EPKhPhPKlPlN2at6native12_GLOBAL__N_18offset_tEEE10hipError_tPvRmT1_PNSt15iterator_traitsISK_E10value_typeET2_T3_PNSL_ISQ_E10value_typeET4_jRbjT5_SW_jjP12ihipStream_tbEUlT_E_NS1_11comp_targetILNS1_3genE10ELNS1_11target_archE1200ELNS1_3gpuE4ELNS1_3repE0EEENS1_30default_config_static_selectorELNS0_4arch9wavefront6targetE0EEEvSK_.kd
    .uniform_work_group_size: 1
    .uses_dynamic_stack: false
    .vgpr_count:     0
    .vgpr_spill_count: 0
    .wavefront_size: 32
    .workgroup_processor_mode: 1
  - .args:
      - .offset:         0
        .size:           96
        .value_kind:     by_value
    .group_segment_fixed_size: 0
    .kernarg_segment_align: 8
    .kernarg_segment_size: 96
    .language:       OpenCL C
    .language_version:
      - 2
      - 0
    .max_flat_workgroup_size: 256
    .name:           _ZN7rocprim17ROCPRIM_400000_NS6detail17trampoline_kernelINS0_14default_configENS1_36segmented_radix_sort_config_selectorIhlEEZNS1_25segmented_radix_sort_implIS3_Lb1EPKhPhPKlPlN2at6native12_GLOBAL__N_18offset_tEEE10hipError_tPvRmT1_PNSt15iterator_traitsISK_E10value_typeET2_T3_PNSL_ISQ_E10value_typeET4_jRbjT5_SW_jjP12ihipStream_tbEUlT_E_NS1_11comp_targetILNS1_3genE9ELNS1_11target_archE1100ELNS1_3gpuE3ELNS1_3repE0EEENS1_30default_config_static_selectorELNS0_4arch9wavefront6targetE0EEEvSK_
    .private_segment_fixed_size: 0
    .sgpr_count:     0
    .sgpr_spill_count: 0
    .symbol:         _ZN7rocprim17ROCPRIM_400000_NS6detail17trampoline_kernelINS0_14default_configENS1_36segmented_radix_sort_config_selectorIhlEEZNS1_25segmented_radix_sort_implIS3_Lb1EPKhPhPKlPlN2at6native12_GLOBAL__N_18offset_tEEE10hipError_tPvRmT1_PNSt15iterator_traitsISK_E10value_typeET2_T3_PNSL_ISQ_E10value_typeET4_jRbjT5_SW_jjP12ihipStream_tbEUlT_E_NS1_11comp_targetILNS1_3genE9ELNS1_11target_archE1100ELNS1_3gpuE3ELNS1_3repE0EEENS1_30default_config_static_selectorELNS0_4arch9wavefront6targetE0EEEvSK_.kd
    .uniform_work_group_size: 1
    .uses_dynamic_stack: false
    .vgpr_count:     0
    .vgpr_spill_count: 0
    .wavefront_size: 32
    .workgroup_processor_mode: 1
  - .args:
      - .offset:         0
        .size:           96
        .value_kind:     by_value
      - .offset:         96
        .size:           4
        .value_kind:     hidden_block_count_x
      - .offset:         100
        .size:           4
        .value_kind:     hidden_block_count_y
      - .offset:         104
        .size:           4
        .value_kind:     hidden_block_count_z
      - .offset:         108
        .size:           2
        .value_kind:     hidden_group_size_x
      - .offset:         110
        .size:           2
        .value_kind:     hidden_group_size_y
      - .offset:         112
        .size:           2
        .value_kind:     hidden_group_size_z
      - .offset:         114
        .size:           2
        .value_kind:     hidden_remainder_x
      - .offset:         116
        .size:           2
        .value_kind:     hidden_remainder_y
      - .offset:         118
        .size:           2
        .value_kind:     hidden_remainder_z
      - .offset:         136
        .size:           8
        .value_kind:     hidden_global_offset_x
      - .offset:         144
        .size:           8
        .value_kind:     hidden_global_offset_y
      - .offset:         152
        .size:           8
        .value_kind:     hidden_global_offset_z
      - .offset:         160
        .size:           2
        .value_kind:     hidden_grid_dims
    .group_segment_fixed_size: 35344
    .kernarg_segment_align: 8
    .kernarg_segment_size: 352
    .language:       OpenCL C
    .language_version:
      - 2
      - 0
    .max_flat_workgroup_size: 256
    .name:           _ZN7rocprim17ROCPRIM_400000_NS6detail17trampoline_kernelINS0_14default_configENS1_36segmented_radix_sort_config_selectorIhlEEZNS1_25segmented_radix_sort_implIS3_Lb1EPKhPhPKlPlN2at6native12_GLOBAL__N_18offset_tEEE10hipError_tPvRmT1_PNSt15iterator_traitsISK_E10value_typeET2_T3_PNSL_ISQ_E10value_typeET4_jRbjT5_SW_jjP12ihipStream_tbEUlT_E_NS1_11comp_targetILNS1_3genE8ELNS1_11target_archE1030ELNS1_3gpuE2ELNS1_3repE0EEENS1_30default_config_static_selectorELNS0_4arch9wavefront6targetE0EEEvSK_
    .private_segment_fixed_size: 240
    .sgpr_count:     70
    .sgpr_spill_count: 0
    .symbol:         _ZN7rocprim17ROCPRIM_400000_NS6detail17trampoline_kernelINS0_14default_configENS1_36segmented_radix_sort_config_selectorIhlEEZNS1_25segmented_radix_sort_implIS3_Lb1EPKhPhPKlPlN2at6native12_GLOBAL__N_18offset_tEEE10hipError_tPvRmT1_PNSt15iterator_traitsISK_E10value_typeET2_T3_PNSL_ISQ_E10value_typeET4_jRbjT5_SW_jjP12ihipStream_tbEUlT_E_NS1_11comp_targetILNS1_3genE8ELNS1_11target_archE1030ELNS1_3gpuE2ELNS1_3repE0EEENS1_30default_config_static_selectorELNS0_4arch9wavefront6targetE0EEEvSK_.kd
    .uniform_work_group_size: 1
    .uses_dynamic_stack: false
    .vgpr_count:     248
    .vgpr_spill_count: 0
    .wavefront_size: 32
    .workgroup_processor_mode: 1
  - .args:
      - .offset:         0
        .size:           88
        .value_kind:     by_value
    .group_segment_fixed_size: 0
    .kernarg_segment_align: 8
    .kernarg_segment_size: 88
    .language:       OpenCL C
    .language_version:
      - 2
      - 0
    .max_flat_workgroup_size: 256
    .name:           _ZN7rocprim17ROCPRIM_400000_NS6detail17trampoline_kernelINS0_14default_configENS1_36segmented_radix_sort_config_selectorIhlEEZNS1_25segmented_radix_sort_implIS3_Lb1EPKhPhPKlPlN2at6native12_GLOBAL__N_18offset_tEEE10hipError_tPvRmT1_PNSt15iterator_traitsISK_E10value_typeET2_T3_PNSL_ISQ_E10value_typeET4_jRbjT5_SW_jjP12ihipStream_tbEUlT_E0_NS1_11comp_targetILNS1_3genE0ELNS1_11target_archE4294967295ELNS1_3gpuE0ELNS1_3repE0EEENS1_60segmented_radix_sort_warp_sort_medium_config_static_selectorELNS0_4arch9wavefront6targetE0EEEvSK_
    .private_segment_fixed_size: 0
    .sgpr_count:     0
    .sgpr_spill_count: 0
    .symbol:         _ZN7rocprim17ROCPRIM_400000_NS6detail17trampoline_kernelINS0_14default_configENS1_36segmented_radix_sort_config_selectorIhlEEZNS1_25segmented_radix_sort_implIS3_Lb1EPKhPhPKlPlN2at6native12_GLOBAL__N_18offset_tEEE10hipError_tPvRmT1_PNSt15iterator_traitsISK_E10value_typeET2_T3_PNSL_ISQ_E10value_typeET4_jRbjT5_SW_jjP12ihipStream_tbEUlT_E0_NS1_11comp_targetILNS1_3genE0ELNS1_11target_archE4294967295ELNS1_3gpuE0ELNS1_3repE0EEENS1_60segmented_radix_sort_warp_sort_medium_config_static_selectorELNS0_4arch9wavefront6targetE0EEEvSK_.kd
    .uniform_work_group_size: 1
    .uses_dynamic_stack: false
    .vgpr_count:     0
    .vgpr_spill_count: 0
    .wavefront_size: 32
    .workgroup_processor_mode: 1
  - .args:
      - .offset:         0
        .size:           88
        .value_kind:     by_value
    .group_segment_fixed_size: 0
    .kernarg_segment_align: 8
    .kernarg_segment_size: 88
    .language:       OpenCL C
    .language_version:
      - 2
      - 0
    .max_flat_workgroup_size: 256
    .name:           _ZN7rocprim17ROCPRIM_400000_NS6detail17trampoline_kernelINS0_14default_configENS1_36segmented_radix_sort_config_selectorIhlEEZNS1_25segmented_radix_sort_implIS3_Lb1EPKhPhPKlPlN2at6native12_GLOBAL__N_18offset_tEEE10hipError_tPvRmT1_PNSt15iterator_traitsISK_E10value_typeET2_T3_PNSL_ISQ_E10value_typeET4_jRbjT5_SW_jjP12ihipStream_tbEUlT_E0_NS1_11comp_targetILNS1_3genE5ELNS1_11target_archE942ELNS1_3gpuE9ELNS1_3repE0EEENS1_60segmented_radix_sort_warp_sort_medium_config_static_selectorELNS0_4arch9wavefront6targetE0EEEvSK_
    .private_segment_fixed_size: 0
    .sgpr_count:     0
    .sgpr_spill_count: 0
    .symbol:         _ZN7rocprim17ROCPRIM_400000_NS6detail17trampoline_kernelINS0_14default_configENS1_36segmented_radix_sort_config_selectorIhlEEZNS1_25segmented_radix_sort_implIS3_Lb1EPKhPhPKlPlN2at6native12_GLOBAL__N_18offset_tEEE10hipError_tPvRmT1_PNSt15iterator_traitsISK_E10value_typeET2_T3_PNSL_ISQ_E10value_typeET4_jRbjT5_SW_jjP12ihipStream_tbEUlT_E0_NS1_11comp_targetILNS1_3genE5ELNS1_11target_archE942ELNS1_3gpuE9ELNS1_3repE0EEENS1_60segmented_radix_sort_warp_sort_medium_config_static_selectorELNS0_4arch9wavefront6targetE0EEEvSK_.kd
    .uniform_work_group_size: 1
    .uses_dynamic_stack: false
    .vgpr_count:     0
    .vgpr_spill_count: 0
    .wavefront_size: 32
    .workgroup_processor_mode: 1
  - .args:
      - .offset:         0
        .size:           88
        .value_kind:     by_value
    .group_segment_fixed_size: 0
    .kernarg_segment_align: 8
    .kernarg_segment_size: 88
    .language:       OpenCL C
    .language_version:
      - 2
      - 0
    .max_flat_workgroup_size: 256
    .name:           _ZN7rocprim17ROCPRIM_400000_NS6detail17trampoline_kernelINS0_14default_configENS1_36segmented_radix_sort_config_selectorIhlEEZNS1_25segmented_radix_sort_implIS3_Lb1EPKhPhPKlPlN2at6native12_GLOBAL__N_18offset_tEEE10hipError_tPvRmT1_PNSt15iterator_traitsISK_E10value_typeET2_T3_PNSL_ISQ_E10value_typeET4_jRbjT5_SW_jjP12ihipStream_tbEUlT_E0_NS1_11comp_targetILNS1_3genE4ELNS1_11target_archE910ELNS1_3gpuE8ELNS1_3repE0EEENS1_60segmented_radix_sort_warp_sort_medium_config_static_selectorELNS0_4arch9wavefront6targetE0EEEvSK_
    .private_segment_fixed_size: 0
    .sgpr_count:     0
    .sgpr_spill_count: 0
    .symbol:         _ZN7rocprim17ROCPRIM_400000_NS6detail17trampoline_kernelINS0_14default_configENS1_36segmented_radix_sort_config_selectorIhlEEZNS1_25segmented_radix_sort_implIS3_Lb1EPKhPhPKlPlN2at6native12_GLOBAL__N_18offset_tEEE10hipError_tPvRmT1_PNSt15iterator_traitsISK_E10value_typeET2_T3_PNSL_ISQ_E10value_typeET4_jRbjT5_SW_jjP12ihipStream_tbEUlT_E0_NS1_11comp_targetILNS1_3genE4ELNS1_11target_archE910ELNS1_3gpuE8ELNS1_3repE0EEENS1_60segmented_radix_sort_warp_sort_medium_config_static_selectorELNS0_4arch9wavefront6targetE0EEEvSK_.kd
    .uniform_work_group_size: 1
    .uses_dynamic_stack: false
    .vgpr_count:     0
    .vgpr_spill_count: 0
    .wavefront_size: 32
    .workgroup_processor_mode: 1
  - .args:
      - .offset:         0
        .size:           88
        .value_kind:     by_value
    .group_segment_fixed_size: 0
    .kernarg_segment_align: 8
    .kernarg_segment_size: 88
    .language:       OpenCL C
    .language_version:
      - 2
      - 0
    .max_flat_workgroup_size: 256
    .name:           _ZN7rocprim17ROCPRIM_400000_NS6detail17trampoline_kernelINS0_14default_configENS1_36segmented_radix_sort_config_selectorIhlEEZNS1_25segmented_radix_sort_implIS3_Lb1EPKhPhPKlPlN2at6native12_GLOBAL__N_18offset_tEEE10hipError_tPvRmT1_PNSt15iterator_traitsISK_E10value_typeET2_T3_PNSL_ISQ_E10value_typeET4_jRbjT5_SW_jjP12ihipStream_tbEUlT_E0_NS1_11comp_targetILNS1_3genE3ELNS1_11target_archE908ELNS1_3gpuE7ELNS1_3repE0EEENS1_60segmented_radix_sort_warp_sort_medium_config_static_selectorELNS0_4arch9wavefront6targetE0EEEvSK_
    .private_segment_fixed_size: 0
    .sgpr_count:     0
    .sgpr_spill_count: 0
    .symbol:         _ZN7rocprim17ROCPRIM_400000_NS6detail17trampoline_kernelINS0_14default_configENS1_36segmented_radix_sort_config_selectorIhlEEZNS1_25segmented_radix_sort_implIS3_Lb1EPKhPhPKlPlN2at6native12_GLOBAL__N_18offset_tEEE10hipError_tPvRmT1_PNSt15iterator_traitsISK_E10value_typeET2_T3_PNSL_ISQ_E10value_typeET4_jRbjT5_SW_jjP12ihipStream_tbEUlT_E0_NS1_11comp_targetILNS1_3genE3ELNS1_11target_archE908ELNS1_3gpuE7ELNS1_3repE0EEENS1_60segmented_radix_sort_warp_sort_medium_config_static_selectorELNS0_4arch9wavefront6targetE0EEEvSK_.kd
    .uniform_work_group_size: 1
    .uses_dynamic_stack: false
    .vgpr_count:     0
    .vgpr_spill_count: 0
    .wavefront_size: 32
    .workgroup_processor_mode: 1
  - .args:
      - .offset:         0
        .size:           88
        .value_kind:     by_value
    .group_segment_fixed_size: 0
    .kernarg_segment_align: 8
    .kernarg_segment_size: 88
    .language:       OpenCL C
    .language_version:
      - 2
      - 0
    .max_flat_workgroup_size: 256
    .name:           _ZN7rocprim17ROCPRIM_400000_NS6detail17trampoline_kernelINS0_14default_configENS1_36segmented_radix_sort_config_selectorIhlEEZNS1_25segmented_radix_sort_implIS3_Lb1EPKhPhPKlPlN2at6native12_GLOBAL__N_18offset_tEEE10hipError_tPvRmT1_PNSt15iterator_traitsISK_E10value_typeET2_T3_PNSL_ISQ_E10value_typeET4_jRbjT5_SW_jjP12ihipStream_tbEUlT_E0_NS1_11comp_targetILNS1_3genE2ELNS1_11target_archE906ELNS1_3gpuE6ELNS1_3repE0EEENS1_60segmented_radix_sort_warp_sort_medium_config_static_selectorELNS0_4arch9wavefront6targetE0EEEvSK_
    .private_segment_fixed_size: 0
    .sgpr_count:     0
    .sgpr_spill_count: 0
    .symbol:         _ZN7rocprim17ROCPRIM_400000_NS6detail17trampoline_kernelINS0_14default_configENS1_36segmented_radix_sort_config_selectorIhlEEZNS1_25segmented_radix_sort_implIS3_Lb1EPKhPhPKlPlN2at6native12_GLOBAL__N_18offset_tEEE10hipError_tPvRmT1_PNSt15iterator_traitsISK_E10value_typeET2_T3_PNSL_ISQ_E10value_typeET4_jRbjT5_SW_jjP12ihipStream_tbEUlT_E0_NS1_11comp_targetILNS1_3genE2ELNS1_11target_archE906ELNS1_3gpuE6ELNS1_3repE0EEENS1_60segmented_radix_sort_warp_sort_medium_config_static_selectorELNS0_4arch9wavefront6targetE0EEEvSK_.kd
    .uniform_work_group_size: 1
    .uses_dynamic_stack: false
    .vgpr_count:     0
    .vgpr_spill_count: 0
    .wavefront_size: 32
    .workgroup_processor_mode: 1
  - .args:
      - .offset:         0
        .size:           88
        .value_kind:     by_value
    .group_segment_fixed_size: 0
    .kernarg_segment_align: 8
    .kernarg_segment_size: 88
    .language:       OpenCL C
    .language_version:
      - 2
      - 0
    .max_flat_workgroup_size: 256
    .name:           _ZN7rocprim17ROCPRIM_400000_NS6detail17trampoline_kernelINS0_14default_configENS1_36segmented_radix_sort_config_selectorIhlEEZNS1_25segmented_radix_sort_implIS3_Lb1EPKhPhPKlPlN2at6native12_GLOBAL__N_18offset_tEEE10hipError_tPvRmT1_PNSt15iterator_traitsISK_E10value_typeET2_T3_PNSL_ISQ_E10value_typeET4_jRbjT5_SW_jjP12ihipStream_tbEUlT_E0_NS1_11comp_targetILNS1_3genE10ELNS1_11target_archE1201ELNS1_3gpuE5ELNS1_3repE0EEENS1_60segmented_radix_sort_warp_sort_medium_config_static_selectorELNS0_4arch9wavefront6targetE0EEEvSK_
    .private_segment_fixed_size: 0
    .sgpr_count:     0
    .sgpr_spill_count: 0
    .symbol:         _ZN7rocprim17ROCPRIM_400000_NS6detail17trampoline_kernelINS0_14default_configENS1_36segmented_radix_sort_config_selectorIhlEEZNS1_25segmented_radix_sort_implIS3_Lb1EPKhPhPKlPlN2at6native12_GLOBAL__N_18offset_tEEE10hipError_tPvRmT1_PNSt15iterator_traitsISK_E10value_typeET2_T3_PNSL_ISQ_E10value_typeET4_jRbjT5_SW_jjP12ihipStream_tbEUlT_E0_NS1_11comp_targetILNS1_3genE10ELNS1_11target_archE1201ELNS1_3gpuE5ELNS1_3repE0EEENS1_60segmented_radix_sort_warp_sort_medium_config_static_selectorELNS0_4arch9wavefront6targetE0EEEvSK_.kd
    .uniform_work_group_size: 1
    .uses_dynamic_stack: false
    .vgpr_count:     0
    .vgpr_spill_count: 0
    .wavefront_size: 32
    .workgroup_processor_mode: 1
  - .args:
      - .offset:         0
        .size:           88
        .value_kind:     by_value
    .group_segment_fixed_size: 0
    .kernarg_segment_align: 8
    .kernarg_segment_size: 88
    .language:       OpenCL C
    .language_version:
      - 2
      - 0
    .max_flat_workgroup_size: 256
    .name:           _ZN7rocprim17ROCPRIM_400000_NS6detail17trampoline_kernelINS0_14default_configENS1_36segmented_radix_sort_config_selectorIhlEEZNS1_25segmented_radix_sort_implIS3_Lb1EPKhPhPKlPlN2at6native12_GLOBAL__N_18offset_tEEE10hipError_tPvRmT1_PNSt15iterator_traitsISK_E10value_typeET2_T3_PNSL_ISQ_E10value_typeET4_jRbjT5_SW_jjP12ihipStream_tbEUlT_E0_NS1_11comp_targetILNS1_3genE10ELNS1_11target_archE1200ELNS1_3gpuE4ELNS1_3repE0EEENS1_60segmented_radix_sort_warp_sort_medium_config_static_selectorELNS0_4arch9wavefront6targetE0EEEvSK_
    .private_segment_fixed_size: 0
    .sgpr_count:     0
    .sgpr_spill_count: 0
    .symbol:         _ZN7rocprim17ROCPRIM_400000_NS6detail17trampoline_kernelINS0_14default_configENS1_36segmented_radix_sort_config_selectorIhlEEZNS1_25segmented_radix_sort_implIS3_Lb1EPKhPhPKlPlN2at6native12_GLOBAL__N_18offset_tEEE10hipError_tPvRmT1_PNSt15iterator_traitsISK_E10value_typeET2_T3_PNSL_ISQ_E10value_typeET4_jRbjT5_SW_jjP12ihipStream_tbEUlT_E0_NS1_11comp_targetILNS1_3genE10ELNS1_11target_archE1200ELNS1_3gpuE4ELNS1_3repE0EEENS1_60segmented_radix_sort_warp_sort_medium_config_static_selectorELNS0_4arch9wavefront6targetE0EEEvSK_.kd
    .uniform_work_group_size: 1
    .uses_dynamic_stack: false
    .vgpr_count:     0
    .vgpr_spill_count: 0
    .wavefront_size: 32
    .workgroup_processor_mode: 1
  - .args:
      - .offset:         0
        .size:           88
        .value_kind:     by_value
    .group_segment_fixed_size: 0
    .kernarg_segment_align: 8
    .kernarg_segment_size: 88
    .language:       OpenCL C
    .language_version:
      - 2
      - 0
    .max_flat_workgroup_size: 256
    .name:           _ZN7rocprim17ROCPRIM_400000_NS6detail17trampoline_kernelINS0_14default_configENS1_36segmented_radix_sort_config_selectorIhlEEZNS1_25segmented_radix_sort_implIS3_Lb1EPKhPhPKlPlN2at6native12_GLOBAL__N_18offset_tEEE10hipError_tPvRmT1_PNSt15iterator_traitsISK_E10value_typeET2_T3_PNSL_ISQ_E10value_typeET4_jRbjT5_SW_jjP12ihipStream_tbEUlT_E0_NS1_11comp_targetILNS1_3genE9ELNS1_11target_archE1100ELNS1_3gpuE3ELNS1_3repE0EEENS1_60segmented_radix_sort_warp_sort_medium_config_static_selectorELNS0_4arch9wavefront6targetE0EEEvSK_
    .private_segment_fixed_size: 0
    .sgpr_count:     0
    .sgpr_spill_count: 0
    .symbol:         _ZN7rocprim17ROCPRIM_400000_NS6detail17trampoline_kernelINS0_14default_configENS1_36segmented_radix_sort_config_selectorIhlEEZNS1_25segmented_radix_sort_implIS3_Lb1EPKhPhPKlPlN2at6native12_GLOBAL__N_18offset_tEEE10hipError_tPvRmT1_PNSt15iterator_traitsISK_E10value_typeET2_T3_PNSL_ISQ_E10value_typeET4_jRbjT5_SW_jjP12ihipStream_tbEUlT_E0_NS1_11comp_targetILNS1_3genE9ELNS1_11target_archE1100ELNS1_3gpuE3ELNS1_3repE0EEENS1_60segmented_radix_sort_warp_sort_medium_config_static_selectorELNS0_4arch9wavefront6targetE0EEEvSK_.kd
    .uniform_work_group_size: 1
    .uses_dynamic_stack: false
    .vgpr_count:     0
    .vgpr_spill_count: 0
    .wavefront_size: 32
    .workgroup_processor_mode: 1
  - .args:
      - .offset:         0
        .size:           88
        .value_kind:     by_value
      - .offset:         88
        .size:           4
        .value_kind:     hidden_block_count_x
      - .offset:         92
        .size:           4
        .value_kind:     hidden_block_count_y
      - .offset:         96
        .size:           4
        .value_kind:     hidden_block_count_z
      - .offset:         100
        .size:           2
        .value_kind:     hidden_group_size_x
      - .offset:         102
        .size:           2
        .value_kind:     hidden_group_size_y
      - .offset:         104
        .size:           2
        .value_kind:     hidden_group_size_z
      - .offset:         106
        .size:           2
        .value_kind:     hidden_remainder_x
      - .offset:         108
        .size:           2
        .value_kind:     hidden_remainder_y
      - .offset:         110
        .size:           2
        .value_kind:     hidden_remainder_z
      - .offset:         128
        .size:           8
        .value_kind:     hidden_global_offset_x
      - .offset:         136
        .size:           8
        .value_kind:     hidden_global_offset_y
      - .offset:         144
        .size:           8
        .value_kind:     hidden_global_offset_z
      - .offset:         152
        .size:           2
        .value_kind:     hidden_grid_dims
    .group_segment_fixed_size: 9216
    .kernarg_segment_align: 8
    .kernarg_segment_size: 344
    .language:       OpenCL C
    .language_version:
      - 2
      - 0
    .max_flat_workgroup_size: 256
    .name:           _ZN7rocprim17ROCPRIM_400000_NS6detail17trampoline_kernelINS0_14default_configENS1_36segmented_radix_sort_config_selectorIhlEEZNS1_25segmented_radix_sort_implIS3_Lb1EPKhPhPKlPlN2at6native12_GLOBAL__N_18offset_tEEE10hipError_tPvRmT1_PNSt15iterator_traitsISK_E10value_typeET2_T3_PNSL_ISQ_E10value_typeET4_jRbjT5_SW_jjP12ihipStream_tbEUlT_E0_NS1_11comp_targetILNS1_3genE8ELNS1_11target_archE1030ELNS1_3gpuE2ELNS1_3repE0EEENS1_60segmented_radix_sort_warp_sort_medium_config_static_selectorELNS0_4arch9wavefront6targetE0EEEvSK_
    .private_segment_fixed_size: 0
    .sgpr_count:     42
    .sgpr_spill_count: 0
    .symbol:         _ZN7rocprim17ROCPRIM_400000_NS6detail17trampoline_kernelINS0_14default_configENS1_36segmented_radix_sort_config_selectorIhlEEZNS1_25segmented_radix_sort_implIS3_Lb1EPKhPhPKlPlN2at6native12_GLOBAL__N_18offset_tEEE10hipError_tPvRmT1_PNSt15iterator_traitsISK_E10value_typeET2_T3_PNSL_ISQ_E10value_typeET4_jRbjT5_SW_jjP12ihipStream_tbEUlT_E0_NS1_11comp_targetILNS1_3genE8ELNS1_11target_archE1030ELNS1_3gpuE2ELNS1_3repE0EEENS1_60segmented_radix_sort_warp_sort_medium_config_static_selectorELNS0_4arch9wavefront6targetE0EEEvSK_.kd
    .uniform_work_group_size: 1
    .uses_dynamic_stack: false
    .vgpr_count:     54
    .vgpr_spill_count: 0
    .wavefront_size: 32
    .workgroup_processor_mode: 1
  - .args:
      - .offset:         0
        .size:           88
        .value_kind:     by_value
    .group_segment_fixed_size: 0
    .kernarg_segment_align: 8
    .kernarg_segment_size: 88
    .language:       OpenCL C
    .language_version:
      - 2
      - 0
    .max_flat_workgroup_size: 256
    .name:           _ZN7rocprim17ROCPRIM_400000_NS6detail17trampoline_kernelINS0_14default_configENS1_36segmented_radix_sort_config_selectorIhlEEZNS1_25segmented_radix_sort_implIS3_Lb1EPKhPhPKlPlN2at6native12_GLOBAL__N_18offset_tEEE10hipError_tPvRmT1_PNSt15iterator_traitsISK_E10value_typeET2_T3_PNSL_ISQ_E10value_typeET4_jRbjT5_SW_jjP12ihipStream_tbEUlT_E1_NS1_11comp_targetILNS1_3genE0ELNS1_11target_archE4294967295ELNS1_3gpuE0ELNS1_3repE0EEENS1_59segmented_radix_sort_warp_sort_small_config_static_selectorELNS0_4arch9wavefront6targetE0EEEvSK_
    .private_segment_fixed_size: 0
    .sgpr_count:     0
    .sgpr_spill_count: 0
    .symbol:         _ZN7rocprim17ROCPRIM_400000_NS6detail17trampoline_kernelINS0_14default_configENS1_36segmented_radix_sort_config_selectorIhlEEZNS1_25segmented_radix_sort_implIS3_Lb1EPKhPhPKlPlN2at6native12_GLOBAL__N_18offset_tEEE10hipError_tPvRmT1_PNSt15iterator_traitsISK_E10value_typeET2_T3_PNSL_ISQ_E10value_typeET4_jRbjT5_SW_jjP12ihipStream_tbEUlT_E1_NS1_11comp_targetILNS1_3genE0ELNS1_11target_archE4294967295ELNS1_3gpuE0ELNS1_3repE0EEENS1_59segmented_radix_sort_warp_sort_small_config_static_selectorELNS0_4arch9wavefront6targetE0EEEvSK_.kd
    .uniform_work_group_size: 1
    .uses_dynamic_stack: false
    .vgpr_count:     0
    .vgpr_spill_count: 0
    .wavefront_size: 32
    .workgroup_processor_mode: 1
  - .args:
      - .offset:         0
        .size:           88
        .value_kind:     by_value
    .group_segment_fixed_size: 0
    .kernarg_segment_align: 8
    .kernarg_segment_size: 88
    .language:       OpenCL C
    .language_version:
      - 2
      - 0
    .max_flat_workgroup_size: 256
    .name:           _ZN7rocprim17ROCPRIM_400000_NS6detail17trampoline_kernelINS0_14default_configENS1_36segmented_radix_sort_config_selectorIhlEEZNS1_25segmented_radix_sort_implIS3_Lb1EPKhPhPKlPlN2at6native12_GLOBAL__N_18offset_tEEE10hipError_tPvRmT1_PNSt15iterator_traitsISK_E10value_typeET2_T3_PNSL_ISQ_E10value_typeET4_jRbjT5_SW_jjP12ihipStream_tbEUlT_E1_NS1_11comp_targetILNS1_3genE5ELNS1_11target_archE942ELNS1_3gpuE9ELNS1_3repE0EEENS1_59segmented_radix_sort_warp_sort_small_config_static_selectorELNS0_4arch9wavefront6targetE0EEEvSK_
    .private_segment_fixed_size: 0
    .sgpr_count:     0
    .sgpr_spill_count: 0
    .symbol:         _ZN7rocprim17ROCPRIM_400000_NS6detail17trampoline_kernelINS0_14default_configENS1_36segmented_radix_sort_config_selectorIhlEEZNS1_25segmented_radix_sort_implIS3_Lb1EPKhPhPKlPlN2at6native12_GLOBAL__N_18offset_tEEE10hipError_tPvRmT1_PNSt15iterator_traitsISK_E10value_typeET2_T3_PNSL_ISQ_E10value_typeET4_jRbjT5_SW_jjP12ihipStream_tbEUlT_E1_NS1_11comp_targetILNS1_3genE5ELNS1_11target_archE942ELNS1_3gpuE9ELNS1_3repE0EEENS1_59segmented_radix_sort_warp_sort_small_config_static_selectorELNS0_4arch9wavefront6targetE0EEEvSK_.kd
    .uniform_work_group_size: 1
    .uses_dynamic_stack: false
    .vgpr_count:     0
    .vgpr_spill_count: 0
    .wavefront_size: 32
    .workgroup_processor_mode: 1
  - .args:
      - .offset:         0
        .size:           88
        .value_kind:     by_value
    .group_segment_fixed_size: 0
    .kernarg_segment_align: 8
    .kernarg_segment_size: 88
    .language:       OpenCL C
    .language_version:
      - 2
      - 0
    .max_flat_workgroup_size: 256
    .name:           _ZN7rocprim17ROCPRIM_400000_NS6detail17trampoline_kernelINS0_14default_configENS1_36segmented_radix_sort_config_selectorIhlEEZNS1_25segmented_radix_sort_implIS3_Lb1EPKhPhPKlPlN2at6native12_GLOBAL__N_18offset_tEEE10hipError_tPvRmT1_PNSt15iterator_traitsISK_E10value_typeET2_T3_PNSL_ISQ_E10value_typeET4_jRbjT5_SW_jjP12ihipStream_tbEUlT_E1_NS1_11comp_targetILNS1_3genE4ELNS1_11target_archE910ELNS1_3gpuE8ELNS1_3repE0EEENS1_59segmented_radix_sort_warp_sort_small_config_static_selectorELNS0_4arch9wavefront6targetE0EEEvSK_
    .private_segment_fixed_size: 0
    .sgpr_count:     0
    .sgpr_spill_count: 0
    .symbol:         _ZN7rocprim17ROCPRIM_400000_NS6detail17trampoline_kernelINS0_14default_configENS1_36segmented_radix_sort_config_selectorIhlEEZNS1_25segmented_radix_sort_implIS3_Lb1EPKhPhPKlPlN2at6native12_GLOBAL__N_18offset_tEEE10hipError_tPvRmT1_PNSt15iterator_traitsISK_E10value_typeET2_T3_PNSL_ISQ_E10value_typeET4_jRbjT5_SW_jjP12ihipStream_tbEUlT_E1_NS1_11comp_targetILNS1_3genE4ELNS1_11target_archE910ELNS1_3gpuE8ELNS1_3repE0EEENS1_59segmented_radix_sort_warp_sort_small_config_static_selectorELNS0_4arch9wavefront6targetE0EEEvSK_.kd
    .uniform_work_group_size: 1
    .uses_dynamic_stack: false
    .vgpr_count:     0
    .vgpr_spill_count: 0
    .wavefront_size: 32
    .workgroup_processor_mode: 1
  - .args:
      - .offset:         0
        .size:           88
        .value_kind:     by_value
    .group_segment_fixed_size: 0
    .kernarg_segment_align: 8
    .kernarg_segment_size: 88
    .language:       OpenCL C
    .language_version:
      - 2
      - 0
    .max_flat_workgroup_size: 256
    .name:           _ZN7rocprim17ROCPRIM_400000_NS6detail17trampoline_kernelINS0_14default_configENS1_36segmented_radix_sort_config_selectorIhlEEZNS1_25segmented_radix_sort_implIS3_Lb1EPKhPhPKlPlN2at6native12_GLOBAL__N_18offset_tEEE10hipError_tPvRmT1_PNSt15iterator_traitsISK_E10value_typeET2_T3_PNSL_ISQ_E10value_typeET4_jRbjT5_SW_jjP12ihipStream_tbEUlT_E1_NS1_11comp_targetILNS1_3genE3ELNS1_11target_archE908ELNS1_3gpuE7ELNS1_3repE0EEENS1_59segmented_radix_sort_warp_sort_small_config_static_selectorELNS0_4arch9wavefront6targetE0EEEvSK_
    .private_segment_fixed_size: 0
    .sgpr_count:     0
    .sgpr_spill_count: 0
    .symbol:         _ZN7rocprim17ROCPRIM_400000_NS6detail17trampoline_kernelINS0_14default_configENS1_36segmented_radix_sort_config_selectorIhlEEZNS1_25segmented_radix_sort_implIS3_Lb1EPKhPhPKlPlN2at6native12_GLOBAL__N_18offset_tEEE10hipError_tPvRmT1_PNSt15iterator_traitsISK_E10value_typeET2_T3_PNSL_ISQ_E10value_typeET4_jRbjT5_SW_jjP12ihipStream_tbEUlT_E1_NS1_11comp_targetILNS1_3genE3ELNS1_11target_archE908ELNS1_3gpuE7ELNS1_3repE0EEENS1_59segmented_radix_sort_warp_sort_small_config_static_selectorELNS0_4arch9wavefront6targetE0EEEvSK_.kd
    .uniform_work_group_size: 1
    .uses_dynamic_stack: false
    .vgpr_count:     0
    .vgpr_spill_count: 0
    .wavefront_size: 32
    .workgroup_processor_mode: 1
  - .args:
      - .offset:         0
        .size:           88
        .value_kind:     by_value
    .group_segment_fixed_size: 0
    .kernarg_segment_align: 8
    .kernarg_segment_size: 88
    .language:       OpenCL C
    .language_version:
      - 2
      - 0
    .max_flat_workgroup_size: 256
    .name:           _ZN7rocprim17ROCPRIM_400000_NS6detail17trampoline_kernelINS0_14default_configENS1_36segmented_radix_sort_config_selectorIhlEEZNS1_25segmented_radix_sort_implIS3_Lb1EPKhPhPKlPlN2at6native12_GLOBAL__N_18offset_tEEE10hipError_tPvRmT1_PNSt15iterator_traitsISK_E10value_typeET2_T3_PNSL_ISQ_E10value_typeET4_jRbjT5_SW_jjP12ihipStream_tbEUlT_E1_NS1_11comp_targetILNS1_3genE2ELNS1_11target_archE906ELNS1_3gpuE6ELNS1_3repE0EEENS1_59segmented_radix_sort_warp_sort_small_config_static_selectorELNS0_4arch9wavefront6targetE0EEEvSK_
    .private_segment_fixed_size: 0
    .sgpr_count:     0
    .sgpr_spill_count: 0
    .symbol:         _ZN7rocprim17ROCPRIM_400000_NS6detail17trampoline_kernelINS0_14default_configENS1_36segmented_radix_sort_config_selectorIhlEEZNS1_25segmented_radix_sort_implIS3_Lb1EPKhPhPKlPlN2at6native12_GLOBAL__N_18offset_tEEE10hipError_tPvRmT1_PNSt15iterator_traitsISK_E10value_typeET2_T3_PNSL_ISQ_E10value_typeET4_jRbjT5_SW_jjP12ihipStream_tbEUlT_E1_NS1_11comp_targetILNS1_3genE2ELNS1_11target_archE906ELNS1_3gpuE6ELNS1_3repE0EEENS1_59segmented_radix_sort_warp_sort_small_config_static_selectorELNS0_4arch9wavefront6targetE0EEEvSK_.kd
    .uniform_work_group_size: 1
    .uses_dynamic_stack: false
    .vgpr_count:     0
    .vgpr_spill_count: 0
    .wavefront_size: 32
    .workgroup_processor_mode: 1
  - .args:
      - .offset:         0
        .size:           88
        .value_kind:     by_value
    .group_segment_fixed_size: 0
    .kernarg_segment_align: 8
    .kernarg_segment_size: 88
    .language:       OpenCL C
    .language_version:
      - 2
      - 0
    .max_flat_workgroup_size: 256
    .name:           _ZN7rocprim17ROCPRIM_400000_NS6detail17trampoline_kernelINS0_14default_configENS1_36segmented_radix_sort_config_selectorIhlEEZNS1_25segmented_radix_sort_implIS3_Lb1EPKhPhPKlPlN2at6native12_GLOBAL__N_18offset_tEEE10hipError_tPvRmT1_PNSt15iterator_traitsISK_E10value_typeET2_T3_PNSL_ISQ_E10value_typeET4_jRbjT5_SW_jjP12ihipStream_tbEUlT_E1_NS1_11comp_targetILNS1_3genE10ELNS1_11target_archE1201ELNS1_3gpuE5ELNS1_3repE0EEENS1_59segmented_radix_sort_warp_sort_small_config_static_selectorELNS0_4arch9wavefront6targetE0EEEvSK_
    .private_segment_fixed_size: 0
    .sgpr_count:     0
    .sgpr_spill_count: 0
    .symbol:         _ZN7rocprim17ROCPRIM_400000_NS6detail17trampoline_kernelINS0_14default_configENS1_36segmented_radix_sort_config_selectorIhlEEZNS1_25segmented_radix_sort_implIS3_Lb1EPKhPhPKlPlN2at6native12_GLOBAL__N_18offset_tEEE10hipError_tPvRmT1_PNSt15iterator_traitsISK_E10value_typeET2_T3_PNSL_ISQ_E10value_typeET4_jRbjT5_SW_jjP12ihipStream_tbEUlT_E1_NS1_11comp_targetILNS1_3genE10ELNS1_11target_archE1201ELNS1_3gpuE5ELNS1_3repE0EEENS1_59segmented_radix_sort_warp_sort_small_config_static_selectorELNS0_4arch9wavefront6targetE0EEEvSK_.kd
    .uniform_work_group_size: 1
    .uses_dynamic_stack: false
    .vgpr_count:     0
    .vgpr_spill_count: 0
    .wavefront_size: 32
    .workgroup_processor_mode: 1
  - .args:
      - .offset:         0
        .size:           88
        .value_kind:     by_value
    .group_segment_fixed_size: 0
    .kernarg_segment_align: 8
    .kernarg_segment_size: 88
    .language:       OpenCL C
    .language_version:
      - 2
      - 0
    .max_flat_workgroup_size: 256
    .name:           _ZN7rocprim17ROCPRIM_400000_NS6detail17trampoline_kernelINS0_14default_configENS1_36segmented_radix_sort_config_selectorIhlEEZNS1_25segmented_radix_sort_implIS3_Lb1EPKhPhPKlPlN2at6native12_GLOBAL__N_18offset_tEEE10hipError_tPvRmT1_PNSt15iterator_traitsISK_E10value_typeET2_T3_PNSL_ISQ_E10value_typeET4_jRbjT5_SW_jjP12ihipStream_tbEUlT_E1_NS1_11comp_targetILNS1_3genE10ELNS1_11target_archE1200ELNS1_3gpuE4ELNS1_3repE0EEENS1_59segmented_radix_sort_warp_sort_small_config_static_selectorELNS0_4arch9wavefront6targetE0EEEvSK_
    .private_segment_fixed_size: 0
    .sgpr_count:     0
    .sgpr_spill_count: 0
    .symbol:         _ZN7rocprim17ROCPRIM_400000_NS6detail17trampoline_kernelINS0_14default_configENS1_36segmented_radix_sort_config_selectorIhlEEZNS1_25segmented_radix_sort_implIS3_Lb1EPKhPhPKlPlN2at6native12_GLOBAL__N_18offset_tEEE10hipError_tPvRmT1_PNSt15iterator_traitsISK_E10value_typeET2_T3_PNSL_ISQ_E10value_typeET4_jRbjT5_SW_jjP12ihipStream_tbEUlT_E1_NS1_11comp_targetILNS1_3genE10ELNS1_11target_archE1200ELNS1_3gpuE4ELNS1_3repE0EEENS1_59segmented_radix_sort_warp_sort_small_config_static_selectorELNS0_4arch9wavefront6targetE0EEEvSK_.kd
    .uniform_work_group_size: 1
    .uses_dynamic_stack: false
    .vgpr_count:     0
    .vgpr_spill_count: 0
    .wavefront_size: 32
    .workgroup_processor_mode: 1
  - .args:
      - .offset:         0
        .size:           88
        .value_kind:     by_value
    .group_segment_fixed_size: 0
    .kernarg_segment_align: 8
    .kernarg_segment_size: 88
    .language:       OpenCL C
    .language_version:
      - 2
      - 0
    .max_flat_workgroup_size: 256
    .name:           _ZN7rocprim17ROCPRIM_400000_NS6detail17trampoline_kernelINS0_14default_configENS1_36segmented_radix_sort_config_selectorIhlEEZNS1_25segmented_radix_sort_implIS3_Lb1EPKhPhPKlPlN2at6native12_GLOBAL__N_18offset_tEEE10hipError_tPvRmT1_PNSt15iterator_traitsISK_E10value_typeET2_T3_PNSL_ISQ_E10value_typeET4_jRbjT5_SW_jjP12ihipStream_tbEUlT_E1_NS1_11comp_targetILNS1_3genE9ELNS1_11target_archE1100ELNS1_3gpuE3ELNS1_3repE0EEENS1_59segmented_radix_sort_warp_sort_small_config_static_selectorELNS0_4arch9wavefront6targetE0EEEvSK_
    .private_segment_fixed_size: 0
    .sgpr_count:     0
    .sgpr_spill_count: 0
    .symbol:         _ZN7rocprim17ROCPRIM_400000_NS6detail17trampoline_kernelINS0_14default_configENS1_36segmented_radix_sort_config_selectorIhlEEZNS1_25segmented_radix_sort_implIS3_Lb1EPKhPhPKlPlN2at6native12_GLOBAL__N_18offset_tEEE10hipError_tPvRmT1_PNSt15iterator_traitsISK_E10value_typeET2_T3_PNSL_ISQ_E10value_typeET4_jRbjT5_SW_jjP12ihipStream_tbEUlT_E1_NS1_11comp_targetILNS1_3genE9ELNS1_11target_archE1100ELNS1_3gpuE3ELNS1_3repE0EEENS1_59segmented_radix_sort_warp_sort_small_config_static_selectorELNS0_4arch9wavefront6targetE0EEEvSK_.kd
    .uniform_work_group_size: 1
    .uses_dynamic_stack: false
    .vgpr_count:     0
    .vgpr_spill_count: 0
    .wavefront_size: 32
    .workgroup_processor_mode: 1
  - .args:
      - .offset:         0
        .size:           88
        .value_kind:     by_value
      - .offset:         88
        .size:           4
        .value_kind:     hidden_block_count_x
      - .offset:         92
        .size:           4
        .value_kind:     hidden_block_count_y
      - .offset:         96
        .size:           4
        .value_kind:     hidden_block_count_z
      - .offset:         100
        .size:           2
        .value_kind:     hidden_group_size_x
      - .offset:         102
        .size:           2
        .value_kind:     hidden_group_size_y
      - .offset:         104
        .size:           2
        .value_kind:     hidden_group_size_z
      - .offset:         106
        .size:           2
        .value_kind:     hidden_remainder_x
      - .offset:         108
        .size:           2
        .value_kind:     hidden_remainder_y
      - .offset:         110
        .size:           2
        .value_kind:     hidden_remainder_z
      - .offset:         128
        .size:           8
        .value_kind:     hidden_global_offset_x
      - .offset:         136
        .size:           8
        .value_kind:     hidden_global_offset_y
      - .offset:         144
        .size:           8
        .value_kind:     hidden_global_offset_z
      - .offset:         152
        .size:           2
        .value_kind:     hidden_grid_dims
    .group_segment_fixed_size: 9216
    .kernarg_segment_align: 8
    .kernarg_segment_size: 344
    .language:       OpenCL C
    .language_version:
      - 2
      - 0
    .max_flat_workgroup_size: 256
    .name:           _ZN7rocprim17ROCPRIM_400000_NS6detail17trampoline_kernelINS0_14default_configENS1_36segmented_radix_sort_config_selectorIhlEEZNS1_25segmented_radix_sort_implIS3_Lb1EPKhPhPKlPlN2at6native12_GLOBAL__N_18offset_tEEE10hipError_tPvRmT1_PNSt15iterator_traitsISK_E10value_typeET2_T3_PNSL_ISQ_E10value_typeET4_jRbjT5_SW_jjP12ihipStream_tbEUlT_E1_NS1_11comp_targetILNS1_3genE8ELNS1_11target_archE1030ELNS1_3gpuE2ELNS1_3repE0EEENS1_59segmented_radix_sort_warp_sort_small_config_static_selectorELNS0_4arch9wavefront6targetE0EEEvSK_
    .private_segment_fixed_size: 0
    .sgpr_count:     42
    .sgpr_spill_count: 0
    .symbol:         _ZN7rocprim17ROCPRIM_400000_NS6detail17trampoline_kernelINS0_14default_configENS1_36segmented_radix_sort_config_selectorIhlEEZNS1_25segmented_radix_sort_implIS3_Lb1EPKhPhPKlPlN2at6native12_GLOBAL__N_18offset_tEEE10hipError_tPvRmT1_PNSt15iterator_traitsISK_E10value_typeET2_T3_PNSL_ISQ_E10value_typeET4_jRbjT5_SW_jjP12ihipStream_tbEUlT_E1_NS1_11comp_targetILNS1_3genE8ELNS1_11target_archE1030ELNS1_3gpuE2ELNS1_3repE0EEENS1_59segmented_radix_sort_warp_sort_small_config_static_selectorELNS0_4arch9wavefront6targetE0EEEvSK_.kd
    .uniform_work_group_size: 1
    .uses_dynamic_stack: false
    .vgpr_count:     54
    .vgpr_spill_count: 0
    .wavefront_size: 32
    .workgroup_processor_mode: 1
  - .args:
      - .offset:         0
        .size:           80
        .value_kind:     by_value
    .group_segment_fixed_size: 0
    .kernarg_segment_align: 8
    .kernarg_segment_size: 80
    .language:       OpenCL C
    .language_version:
      - 2
      - 0
    .max_flat_workgroup_size: 256
    .name:           _ZN7rocprim17ROCPRIM_400000_NS6detail17trampoline_kernelINS0_14default_configENS1_36segmented_radix_sort_config_selectorIhlEEZNS1_25segmented_radix_sort_implIS3_Lb1EPKhPhPKlPlN2at6native12_GLOBAL__N_18offset_tEEE10hipError_tPvRmT1_PNSt15iterator_traitsISK_E10value_typeET2_T3_PNSL_ISQ_E10value_typeET4_jRbjT5_SW_jjP12ihipStream_tbEUlT_E2_NS1_11comp_targetILNS1_3genE0ELNS1_11target_archE4294967295ELNS1_3gpuE0ELNS1_3repE0EEENS1_30default_config_static_selectorELNS0_4arch9wavefront6targetE0EEEvSK_
    .private_segment_fixed_size: 0
    .sgpr_count:     0
    .sgpr_spill_count: 0
    .symbol:         _ZN7rocprim17ROCPRIM_400000_NS6detail17trampoline_kernelINS0_14default_configENS1_36segmented_radix_sort_config_selectorIhlEEZNS1_25segmented_radix_sort_implIS3_Lb1EPKhPhPKlPlN2at6native12_GLOBAL__N_18offset_tEEE10hipError_tPvRmT1_PNSt15iterator_traitsISK_E10value_typeET2_T3_PNSL_ISQ_E10value_typeET4_jRbjT5_SW_jjP12ihipStream_tbEUlT_E2_NS1_11comp_targetILNS1_3genE0ELNS1_11target_archE4294967295ELNS1_3gpuE0ELNS1_3repE0EEENS1_30default_config_static_selectorELNS0_4arch9wavefront6targetE0EEEvSK_.kd
    .uniform_work_group_size: 1
    .uses_dynamic_stack: false
    .vgpr_count:     0
    .vgpr_spill_count: 0
    .wavefront_size: 32
    .workgroup_processor_mode: 1
  - .args:
      - .offset:         0
        .size:           80
        .value_kind:     by_value
    .group_segment_fixed_size: 0
    .kernarg_segment_align: 8
    .kernarg_segment_size: 80
    .language:       OpenCL C
    .language_version:
      - 2
      - 0
    .max_flat_workgroup_size: 256
    .name:           _ZN7rocprim17ROCPRIM_400000_NS6detail17trampoline_kernelINS0_14default_configENS1_36segmented_radix_sort_config_selectorIhlEEZNS1_25segmented_radix_sort_implIS3_Lb1EPKhPhPKlPlN2at6native12_GLOBAL__N_18offset_tEEE10hipError_tPvRmT1_PNSt15iterator_traitsISK_E10value_typeET2_T3_PNSL_ISQ_E10value_typeET4_jRbjT5_SW_jjP12ihipStream_tbEUlT_E2_NS1_11comp_targetILNS1_3genE5ELNS1_11target_archE942ELNS1_3gpuE9ELNS1_3repE0EEENS1_30default_config_static_selectorELNS0_4arch9wavefront6targetE0EEEvSK_
    .private_segment_fixed_size: 0
    .sgpr_count:     0
    .sgpr_spill_count: 0
    .symbol:         _ZN7rocprim17ROCPRIM_400000_NS6detail17trampoline_kernelINS0_14default_configENS1_36segmented_radix_sort_config_selectorIhlEEZNS1_25segmented_radix_sort_implIS3_Lb1EPKhPhPKlPlN2at6native12_GLOBAL__N_18offset_tEEE10hipError_tPvRmT1_PNSt15iterator_traitsISK_E10value_typeET2_T3_PNSL_ISQ_E10value_typeET4_jRbjT5_SW_jjP12ihipStream_tbEUlT_E2_NS1_11comp_targetILNS1_3genE5ELNS1_11target_archE942ELNS1_3gpuE9ELNS1_3repE0EEENS1_30default_config_static_selectorELNS0_4arch9wavefront6targetE0EEEvSK_.kd
    .uniform_work_group_size: 1
    .uses_dynamic_stack: false
    .vgpr_count:     0
    .vgpr_spill_count: 0
    .wavefront_size: 32
    .workgroup_processor_mode: 1
  - .args:
      - .offset:         0
        .size:           80
        .value_kind:     by_value
    .group_segment_fixed_size: 0
    .kernarg_segment_align: 8
    .kernarg_segment_size: 80
    .language:       OpenCL C
    .language_version:
      - 2
      - 0
    .max_flat_workgroup_size: 256
    .name:           _ZN7rocprim17ROCPRIM_400000_NS6detail17trampoline_kernelINS0_14default_configENS1_36segmented_radix_sort_config_selectorIhlEEZNS1_25segmented_radix_sort_implIS3_Lb1EPKhPhPKlPlN2at6native12_GLOBAL__N_18offset_tEEE10hipError_tPvRmT1_PNSt15iterator_traitsISK_E10value_typeET2_T3_PNSL_ISQ_E10value_typeET4_jRbjT5_SW_jjP12ihipStream_tbEUlT_E2_NS1_11comp_targetILNS1_3genE4ELNS1_11target_archE910ELNS1_3gpuE8ELNS1_3repE0EEENS1_30default_config_static_selectorELNS0_4arch9wavefront6targetE0EEEvSK_
    .private_segment_fixed_size: 0
    .sgpr_count:     0
    .sgpr_spill_count: 0
    .symbol:         _ZN7rocprim17ROCPRIM_400000_NS6detail17trampoline_kernelINS0_14default_configENS1_36segmented_radix_sort_config_selectorIhlEEZNS1_25segmented_radix_sort_implIS3_Lb1EPKhPhPKlPlN2at6native12_GLOBAL__N_18offset_tEEE10hipError_tPvRmT1_PNSt15iterator_traitsISK_E10value_typeET2_T3_PNSL_ISQ_E10value_typeET4_jRbjT5_SW_jjP12ihipStream_tbEUlT_E2_NS1_11comp_targetILNS1_3genE4ELNS1_11target_archE910ELNS1_3gpuE8ELNS1_3repE0EEENS1_30default_config_static_selectorELNS0_4arch9wavefront6targetE0EEEvSK_.kd
    .uniform_work_group_size: 1
    .uses_dynamic_stack: false
    .vgpr_count:     0
    .vgpr_spill_count: 0
    .wavefront_size: 32
    .workgroup_processor_mode: 1
  - .args:
      - .offset:         0
        .size:           80
        .value_kind:     by_value
    .group_segment_fixed_size: 0
    .kernarg_segment_align: 8
    .kernarg_segment_size: 80
    .language:       OpenCL C
    .language_version:
      - 2
      - 0
    .max_flat_workgroup_size: 256
    .name:           _ZN7rocprim17ROCPRIM_400000_NS6detail17trampoline_kernelINS0_14default_configENS1_36segmented_radix_sort_config_selectorIhlEEZNS1_25segmented_radix_sort_implIS3_Lb1EPKhPhPKlPlN2at6native12_GLOBAL__N_18offset_tEEE10hipError_tPvRmT1_PNSt15iterator_traitsISK_E10value_typeET2_T3_PNSL_ISQ_E10value_typeET4_jRbjT5_SW_jjP12ihipStream_tbEUlT_E2_NS1_11comp_targetILNS1_3genE3ELNS1_11target_archE908ELNS1_3gpuE7ELNS1_3repE0EEENS1_30default_config_static_selectorELNS0_4arch9wavefront6targetE0EEEvSK_
    .private_segment_fixed_size: 0
    .sgpr_count:     0
    .sgpr_spill_count: 0
    .symbol:         _ZN7rocprim17ROCPRIM_400000_NS6detail17trampoline_kernelINS0_14default_configENS1_36segmented_radix_sort_config_selectorIhlEEZNS1_25segmented_radix_sort_implIS3_Lb1EPKhPhPKlPlN2at6native12_GLOBAL__N_18offset_tEEE10hipError_tPvRmT1_PNSt15iterator_traitsISK_E10value_typeET2_T3_PNSL_ISQ_E10value_typeET4_jRbjT5_SW_jjP12ihipStream_tbEUlT_E2_NS1_11comp_targetILNS1_3genE3ELNS1_11target_archE908ELNS1_3gpuE7ELNS1_3repE0EEENS1_30default_config_static_selectorELNS0_4arch9wavefront6targetE0EEEvSK_.kd
    .uniform_work_group_size: 1
    .uses_dynamic_stack: false
    .vgpr_count:     0
    .vgpr_spill_count: 0
    .wavefront_size: 32
    .workgroup_processor_mode: 1
  - .args:
      - .offset:         0
        .size:           80
        .value_kind:     by_value
    .group_segment_fixed_size: 0
    .kernarg_segment_align: 8
    .kernarg_segment_size: 80
    .language:       OpenCL C
    .language_version:
      - 2
      - 0
    .max_flat_workgroup_size: 256
    .name:           _ZN7rocprim17ROCPRIM_400000_NS6detail17trampoline_kernelINS0_14default_configENS1_36segmented_radix_sort_config_selectorIhlEEZNS1_25segmented_radix_sort_implIS3_Lb1EPKhPhPKlPlN2at6native12_GLOBAL__N_18offset_tEEE10hipError_tPvRmT1_PNSt15iterator_traitsISK_E10value_typeET2_T3_PNSL_ISQ_E10value_typeET4_jRbjT5_SW_jjP12ihipStream_tbEUlT_E2_NS1_11comp_targetILNS1_3genE2ELNS1_11target_archE906ELNS1_3gpuE6ELNS1_3repE0EEENS1_30default_config_static_selectorELNS0_4arch9wavefront6targetE0EEEvSK_
    .private_segment_fixed_size: 0
    .sgpr_count:     0
    .sgpr_spill_count: 0
    .symbol:         _ZN7rocprim17ROCPRIM_400000_NS6detail17trampoline_kernelINS0_14default_configENS1_36segmented_radix_sort_config_selectorIhlEEZNS1_25segmented_radix_sort_implIS3_Lb1EPKhPhPKlPlN2at6native12_GLOBAL__N_18offset_tEEE10hipError_tPvRmT1_PNSt15iterator_traitsISK_E10value_typeET2_T3_PNSL_ISQ_E10value_typeET4_jRbjT5_SW_jjP12ihipStream_tbEUlT_E2_NS1_11comp_targetILNS1_3genE2ELNS1_11target_archE906ELNS1_3gpuE6ELNS1_3repE0EEENS1_30default_config_static_selectorELNS0_4arch9wavefront6targetE0EEEvSK_.kd
    .uniform_work_group_size: 1
    .uses_dynamic_stack: false
    .vgpr_count:     0
    .vgpr_spill_count: 0
    .wavefront_size: 32
    .workgroup_processor_mode: 1
  - .args:
      - .offset:         0
        .size:           80
        .value_kind:     by_value
    .group_segment_fixed_size: 0
    .kernarg_segment_align: 8
    .kernarg_segment_size: 80
    .language:       OpenCL C
    .language_version:
      - 2
      - 0
    .max_flat_workgroup_size: 256
    .name:           _ZN7rocprim17ROCPRIM_400000_NS6detail17trampoline_kernelINS0_14default_configENS1_36segmented_radix_sort_config_selectorIhlEEZNS1_25segmented_radix_sort_implIS3_Lb1EPKhPhPKlPlN2at6native12_GLOBAL__N_18offset_tEEE10hipError_tPvRmT1_PNSt15iterator_traitsISK_E10value_typeET2_T3_PNSL_ISQ_E10value_typeET4_jRbjT5_SW_jjP12ihipStream_tbEUlT_E2_NS1_11comp_targetILNS1_3genE10ELNS1_11target_archE1201ELNS1_3gpuE5ELNS1_3repE0EEENS1_30default_config_static_selectorELNS0_4arch9wavefront6targetE0EEEvSK_
    .private_segment_fixed_size: 0
    .sgpr_count:     0
    .sgpr_spill_count: 0
    .symbol:         _ZN7rocprim17ROCPRIM_400000_NS6detail17trampoline_kernelINS0_14default_configENS1_36segmented_radix_sort_config_selectorIhlEEZNS1_25segmented_radix_sort_implIS3_Lb1EPKhPhPKlPlN2at6native12_GLOBAL__N_18offset_tEEE10hipError_tPvRmT1_PNSt15iterator_traitsISK_E10value_typeET2_T3_PNSL_ISQ_E10value_typeET4_jRbjT5_SW_jjP12ihipStream_tbEUlT_E2_NS1_11comp_targetILNS1_3genE10ELNS1_11target_archE1201ELNS1_3gpuE5ELNS1_3repE0EEENS1_30default_config_static_selectorELNS0_4arch9wavefront6targetE0EEEvSK_.kd
    .uniform_work_group_size: 1
    .uses_dynamic_stack: false
    .vgpr_count:     0
    .vgpr_spill_count: 0
    .wavefront_size: 32
    .workgroup_processor_mode: 1
  - .args:
      - .offset:         0
        .size:           80
        .value_kind:     by_value
    .group_segment_fixed_size: 0
    .kernarg_segment_align: 8
    .kernarg_segment_size: 80
    .language:       OpenCL C
    .language_version:
      - 2
      - 0
    .max_flat_workgroup_size: 128
    .name:           _ZN7rocprim17ROCPRIM_400000_NS6detail17trampoline_kernelINS0_14default_configENS1_36segmented_radix_sort_config_selectorIhlEEZNS1_25segmented_radix_sort_implIS3_Lb1EPKhPhPKlPlN2at6native12_GLOBAL__N_18offset_tEEE10hipError_tPvRmT1_PNSt15iterator_traitsISK_E10value_typeET2_T3_PNSL_ISQ_E10value_typeET4_jRbjT5_SW_jjP12ihipStream_tbEUlT_E2_NS1_11comp_targetILNS1_3genE10ELNS1_11target_archE1200ELNS1_3gpuE4ELNS1_3repE0EEENS1_30default_config_static_selectorELNS0_4arch9wavefront6targetE0EEEvSK_
    .private_segment_fixed_size: 0
    .sgpr_count:     0
    .sgpr_spill_count: 0
    .symbol:         _ZN7rocprim17ROCPRIM_400000_NS6detail17trampoline_kernelINS0_14default_configENS1_36segmented_radix_sort_config_selectorIhlEEZNS1_25segmented_radix_sort_implIS3_Lb1EPKhPhPKlPlN2at6native12_GLOBAL__N_18offset_tEEE10hipError_tPvRmT1_PNSt15iterator_traitsISK_E10value_typeET2_T3_PNSL_ISQ_E10value_typeET4_jRbjT5_SW_jjP12ihipStream_tbEUlT_E2_NS1_11comp_targetILNS1_3genE10ELNS1_11target_archE1200ELNS1_3gpuE4ELNS1_3repE0EEENS1_30default_config_static_selectorELNS0_4arch9wavefront6targetE0EEEvSK_.kd
    .uniform_work_group_size: 1
    .uses_dynamic_stack: false
    .vgpr_count:     0
    .vgpr_spill_count: 0
    .wavefront_size: 32
    .workgroup_processor_mode: 1
  - .args:
      - .offset:         0
        .size:           80
        .value_kind:     by_value
    .group_segment_fixed_size: 0
    .kernarg_segment_align: 8
    .kernarg_segment_size: 80
    .language:       OpenCL C
    .language_version:
      - 2
      - 0
    .max_flat_workgroup_size: 256
    .name:           _ZN7rocprim17ROCPRIM_400000_NS6detail17trampoline_kernelINS0_14default_configENS1_36segmented_radix_sort_config_selectorIhlEEZNS1_25segmented_radix_sort_implIS3_Lb1EPKhPhPKlPlN2at6native12_GLOBAL__N_18offset_tEEE10hipError_tPvRmT1_PNSt15iterator_traitsISK_E10value_typeET2_T3_PNSL_ISQ_E10value_typeET4_jRbjT5_SW_jjP12ihipStream_tbEUlT_E2_NS1_11comp_targetILNS1_3genE9ELNS1_11target_archE1100ELNS1_3gpuE3ELNS1_3repE0EEENS1_30default_config_static_selectorELNS0_4arch9wavefront6targetE0EEEvSK_
    .private_segment_fixed_size: 0
    .sgpr_count:     0
    .sgpr_spill_count: 0
    .symbol:         _ZN7rocprim17ROCPRIM_400000_NS6detail17trampoline_kernelINS0_14default_configENS1_36segmented_radix_sort_config_selectorIhlEEZNS1_25segmented_radix_sort_implIS3_Lb1EPKhPhPKlPlN2at6native12_GLOBAL__N_18offset_tEEE10hipError_tPvRmT1_PNSt15iterator_traitsISK_E10value_typeET2_T3_PNSL_ISQ_E10value_typeET4_jRbjT5_SW_jjP12ihipStream_tbEUlT_E2_NS1_11comp_targetILNS1_3genE9ELNS1_11target_archE1100ELNS1_3gpuE3ELNS1_3repE0EEENS1_30default_config_static_selectorELNS0_4arch9wavefront6targetE0EEEvSK_.kd
    .uniform_work_group_size: 1
    .uses_dynamic_stack: false
    .vgpr_count:     0
    .vgpr_spill_count: 0
    .wavefront_size: 32
    .workgroup_processor_mode: 1
  - .args:
      - .offset:         0
        .size:           80
        .value_kind:     by_value
      - .offset:         80
        .size:           4
        .value_kind:     hidden_block_count_x
      - .offset:         84
        .size:           4
        .value_kind:     hidden_block_count_y
      - .offset:         88
        .size:           4
        .value_kind:     hidden_block_count_z
      - .offset:         92
        .size:           2
        .value_kind:     hidden_group_size_x
      - .offset:         94
        .size:           2
        .value_kind:     hidden_group_size_y
      - .offset:         96
        .size:           2
        .value_kind:     hidden_group_size_z
      - .offset:         98
        .size:           2
        .value_kind:     hidden_remainder_x
      - .offset:         100
        .size:           2
        .value_kind:     hidden_remainder_y
      - .offset:         102
        .size:           2
        .value_kind:     hidden_remainder_z
      - .offset:         120
        .size:           8
        .value_kind:     hidden_global_offset_x
      - .offset:         128
        .size:           8
        .value_kind:     hidden_global_offset_y
      - .offset:         136
        .size:           8
        .value_kind:     hidden_global_offset_z
      - .offset:         144
        .size:           2
        .value_kind:     hidden_grid_dims
    .group_segment_fixed_size: 35344
    .kernarg_segment_align: 8
    .kernarg_segment_size: 336
    .language:       OpenCL C
    .language_version:
      - 2
      - 0
    .max_flat_workgroup_size: 256
    .name:           _ZN7rocprim17ROCPRIM_400000_NS6detail17trampoline_kernelINS0_14default_configENS1_36segmented_radix_sort_config_selectorIhlEEZNS1_25segmented_radix_sort_implIS3_Lb1EPKhPhPKlPlN2at6native12_GLOBAL__N_18offset_tEEE10hipError_tPvRmT1_PNSt15iterator_traitsISK_E10value_typeET2_T3_PNSL_ISQ_E10value_typeET4_jRbjT5_SW_jjP12ihipStream_tbEUlT_E2_NS1_11comp_targetILNS1_3genE8ELNS1_11target_archE1030ELNS1_3gpuE2ELNS1_3repE0EEENS1_30default_config_static_selectorELNS0_4arch9wavefront6targetE0EEEvSK_
    .private_segment_fixed_size: 240
    .sgpr_count:     70
    .sgpr_spill_count: 0
    .symbol:         _ZN7rocprim17ROCPRIM_400000_NS6detail17trampoline_kernelINS0_14default_configENS1_36segmented_radix_sort_config_selectorIhlEEZNS1_25segmented_radix_sort_implIS3_Lb1EPKhPhPKlPlN2at6native12_GLOBAL__N_18offset_tEEE10hipError_tPvRmT1_PNSt15iterator_traitsISK_E10value_typeET2_T3_PNSL_ISQ_E10value_typeET4_jRbjT5_SW_jjP12ihipStream_tbEUlT_E2_NS1_11comp_targetILNS1_3genE8ELNS1_11target_archE1030ELNS1_3gpuE2ELNS1_3repE0EEENS1_30default_config_static_selectorELNS0_4arch9wavefront6targetE0EEEvSK_.kd
    .uniform_work_group_size: 1
    .uses_dynamic_stack: false
    .vgpr_count:     248
    .vgpr_spill_count: 0
    .wavefront_size: 32
    .workgroup_processor_mode: 1
  - .args:
      - .offset:         0
        .size:           176
        .value_kind:     by_value
    .group_segment_fixed_size: 0
    .kernarg_segment_align: 8
    .kernarg_segment_size: 176
    .language:       OpenCL C
    .language_version:
      - 2
      - 0
    .max_flat_workgroup_size: 256
    .name:           _ZN7rocprim17ROCPRIM_400000_NS6detail17trampoline_kernelINS0_13select_configILj256ELj13ELNS0_17block_load_methodE3ELS4_3ELS4_3ELNS0_20block_scan_algorithmE0ELj4294967295EEENS1_25partition_config_selectorILNS1_17partition_subalgoE4EjNS0_10empty_typeEbEEZZNS1_14partition_implILS8_4ELb0ES6_15HIP_vector_typeIjLj2EENS0_17counting_iteratorIjlEEPS9_SG_NS0_5tupleIJPjSI_NS0_16reverse_iteratorISI_EEEEENSH_IJSG_SG_SG_EEES9_SI_JZNS1_25segmented_radix_sort_implINS0_14default_configELb0EPKhPhPKlPlN2at6native12_GLOBAL__N_18offset_tEEE10hipError_tPvRmT1_PNSt15iterator_traitsIS12_E10value_typeET2_T3_PNS13_IS18_E10value_typeET4_jRbjT5_S1E_jjP12ihipStream_tbEUljE_ZNSN_ISO_Lb0ESQ_SR_ST_SU_SY_EESZ_S10_S11_S12_S16_S17_S18_S1B_S1C_jS1D_jS1E_S1E_jjS1G_bEUljE0_EEESZ_S10_S11_S18_S1C_S1E_T6_T7_T9_mT8_S1G_bDpT10_ENKUlT_T0_E_clISt17integral_constantIbLb0EES1U_EEDaS1P_S1Q_EUlS1P_E_NS1_11comp_targetILNS1_3genE0ELNS1_11target_archE4294967295ELNS1_3gpuE0ELNS1_3repE0EEENS1_30default_config_static_selectorELNS0_4arch9wavefront6targetE0EEEvS12_
    .private_segment_fixed_size: 0
    .sgpr_count:     0
    .sgpr_spill_count: 0
    .symbol:         _ZN7rocprim17ROCPRIM_400000_NS6detail17trampoline_kernelINS0_13select_configILj256ELj13ELNS0_17block_load_methodE3ELS4_3ELS4_3ELNS0_20block_scan_algorithmE0ELj4294967295EEENS1_25partition_config_selectorILNS1_17partition_subalgoE4EjNS0_10empty_typeEbEEZZNS1_14partition_implILS8_4ELb0ES6_15HIP_vector_typeIjLj2EENS0_17counting_iteratorIjlEEPS9_SG_NS0_5tupleIJPjSI_NS0_16reverse_iteratorISI_EEEEENSH_IJSG_SG_SG_EEES9_SI_JZNS1_25segmented_radix_sort_implINS0_14default_configELb0EPKhPhPKlPlN2at6native12_GLOBAL__N_18offset_tEEE10hipError_tPvRmT1_PNSt15iterator_traitsIS12_E10value_typeET2_T3_PNS13_IS18_E10value_typeET4_jRbjT5_S1E_jjP12ihipStream_tbEUljE_ZNSN_ISO_Lb0ESQ_SR_ST_SU_SY_EESZ_S10_S11_S12_S16_S17_S18_S1B_S1C_jS1D_jS1E_S1E_jjS1G_bEUljE0_EEESZ_S10_S11_S18_S1C_S1E_T6_T7_T9_mT8_S1G_bDpT10_ENKUlT_T0_E_clISt17integral_constantIbLb0EES1U_EEDaS1P_S1Q_EUlS1P_E_NS1_11comp_targetILNS1_3genE0ELNS1_11target_archE4294967295ELNS1_3gpuE0ELNS1_3repE0EEENS1_30default_config_static_selectorELNS0_4arch9wavefront6targetE0EEEvS12_.kd
    .uniform_work_group_size: 1
    .uses_dynamic_stack: false
    .vgpr_count:     0
    .vgpr_spill_count: 0
    .wavefront_size: 32
    .workgroup_processor_mode: 1
  - .args:
      - .offset:         0
        .size:           176
        .value_kind:     by_value
    .group_segment_fixed_size: 0
    .kernarg_segment_align: 8
    .kernarg_segment_size: 176
    .language:       OpenCL C
    .language_version:
      - 2
      - 0
    .max_flat_workgroup_size: 256
    .name:           _ZN7rocprim17ROCPRIM_400000_NS6detail17trampoline_kernelINS0_13select_configILj256ELj13ELNS0_17block_load_methodE3ELS4_3ELS4_3ELNS0_20block_scan_algorithmE0ELj4294967295EEENS1_25partition_config_selectorILNS1_17partition_subalgoE4EjNS0_10empty_typeEbEEZZNS1_14partition_implILS8_4ELb0ES6_15HIP_vector_typeIjLj2EENS0_17counting_iteratorIjlEEPS9_SG_NS0_5tupleIJPjSI_NS0_16reverse_iteratorISI_EEEEENSH_IJSG_SG_SG_EEES9_SI_JZNS1_25segmented_radix_sort_implINS0_14default_configELb0EPKhPhPKlPlN2at6native12_GLOBAL__N_18offset_tEEE10hipError_tPvRmT1_PNSt15iterator_traitsIS12_E10value_typeET2_T3_PNS13_IS18_E10value_typeET4_jRbjT5_S1E_jjP12ihipStream_tbEUljE_ZNSN_ISO_Lb0ESQ_SR_ST_SU_SY_EESZ_S10_S11_S12_S16_S17_S18_S1B_S1C_jS1D_jS1E_S1E_jjS1G_bEUljE0_EEESZ_S10_S11_S18_S1C_S1E_T6_T7_T9_mT8_S1G_bDpT10_ENKUlT_T0_E_clISt17integral_constantIbLb0EES1U_EEDaS1P_S1Q_EUlS1P_E_NS1_11comp_targetILNS1_3genE5ELNS1_11target_archE942ELNS1_3gpuE9ELNS1_3repE0EEENS1_30default_config_static_selectorELNS0_4arch9wavefront6targetE0EEEvS12_
    .private_segment_fixed_size: 0
    .sgpr_count:     0
    .sgpr_spill_count: 0
    .symbol:         _ZN7rocprim17ROCPRIM_400000_NS6detail17trampoline_kernelINS0_13select_configILj256ELj13ELNS0_17block_load_methodE3ELS4_3ELS4_3ELNS0_20block_scan_algorithmE0ELj4294967295EEENS1_25partition_config_selectorILNS1_17partition_subalgoE4EjNS0_10empty_typeEbEEZZNS1_14partition_implILS8_4ELb0ES6_15HIP_vector_typeIjLj2EENS0_17counting_iteratorIjlEEPS9_SG_NS0_5tupleIJPjSI_NS0_16reverse_iteratorISI_EEEEENSH_IJSG_SG_SG_EEES9_SI_JZNS1_25segmented_radix_sort_implINS0_14default_configELb0EPKhPhPKlPlN2at6native12_GLOBAL__N_18offset_tEEE10hipError_tPvRmT1_PNSt15iterator_traitsIS12_E10value_typeET2_T3_PNS13_IS18_E10value_typeET4_jRbjT5_S1E_jjP12ihipStream_tbEUljE_ZNSN_ISO_Lb0ESQ_SR_ST_SU_SY_EESZ_S10_S11_S12_S16_S17_S18_S1B_S1C_jS1D_jS1E_S1E_jjS1G_bEUljE0_EEESZ_S10_S11_S18_S1C_S1E_T6_T7_T9_mT8_S1G_bDpT10_ENKUlT_T0_E_clISt17integral_constantIbLb0EES1U_EEDaS1P_S1Q_EUlS1P_E_NS1_11comp_targetILNS1_3genE5ELNS1_11target_archE942ELNS1_3gpuE9ELNS1_3repE0EEENS1_30default_config_static_selectorELNS0_4arch9wavefront6targetE0EEEvS12_.kd
    .uniform_work_group_size: 1
    .uses_dynamic_stack: false
    .vgpr_count:     0
    .vgpr_spill_count: 0
    .wavefront_size: 32
    .workgroup_processor_mode: 1
  - .args:
      - .offset:         0
        .size:           176
        .value_kind:     by_value
    .group_segment_fixed_size: 0
    .kernarg_segment_align: 8
    .kernarg_segment_size: 176
    .language:       OpenCL C
    .language_version:
      - 2
      - 0
    .max_flat_workgroup_size: 256
    .name:           _ZN7rocprim17ROCPRIM_400000_NS6detail17trampoline_kernelINS0_13select_configILj256ELj13ELNS0_17block_load_methodE3ELS4_3ELS4_3ELNS0_20block_scan_algorithmE0ELj4294967295EEENS1_25partition_config_selectorILNS1_17partition_subalgoE4EjNS0_10empty_typeEbEEZZNS1_14partition_implILS8_4ELb0ES6_15HIP_vector_typeIjLj2EENS0_17counting_iteratorIjlEEPS9_SG_NS0_5tupleIJPjSI_NS0_16reverse_iteratorISI_EEEEENSH_IJSG_SG_SG_EEES9_SI_JZNS1_25segmented_radix_sort_implINS0_14default_configELb0EPKhPhPKlPlN2at6native12_GLOBAL__N_18offset_tEEE10hipError_tPvRmT1_PNSt15iterator_traitsIS12_E10value_typeET2_T3_PNS13_IS18_E10value_typeET4_jRbjT5_S1E_jjP12ihipStream_tbEUljE_ZNSN_ISO_Lb0ESQ_SR_ST_SU_SY_EESZ_S10_S11_S12_S16_S17_S18_S1B_S1C_jS1D_jS1E_S1E_jjS1G_bEUljE0_EEESZ_S10_S11_S18_S1C_S1E_T6_T7_T9_mT8_S1G_bDpT10_ENKUlT_T0_E_clISt17integral_constantIbLb0EES1U_EEDaS1P_S1Q_EUlS1P_E_NS1_11comp_targetILNS1_3genE4ELNS1_11target_archE910ELNS1_3gpuE8ELNS1_3repE0EEENS1_30default_config_static_selectorELNS0_4arch9wavefront6targetE0EEEvS12_
    .private_segment_fixed_size: 0
    .sgpr_count:     0
    .sgpr_spill_count: 0
    .symbol:         _ZN7rocprim17ROCPRIM_400000_NS6detail17trampoline_kernelINS0_13select_configILj256ELj13ELNS0_17block_load_methodE3ELS4_3ELS4_3ELNS0_20block_scan_algorithmE0ELj4294967295EEENS1_25partition_config_selectorILNS1_17partition_subalgoE4EjNS0_10empty_typeEbEEZZNS1_14partition_implILS8_4ELb0ES6_15HIP_vector_typeIjLj2EENS0_17counting_iteratorIjlEEPS9_SG_NS0_5tupleIJPjSI_NS0_16reverse_iteratorISI_EEEEENSH_IJSG_SG_SG_EEES9_SI_JZNS1_25segmented_radix_sort_implINS0_14default_configELb0EPKhPhPKlPlN2at6native12_GLOBAL__N_18offset_tEEE10hipError_tPvRmT1_PNSt15iterator_traitsIS12_E10value_typeET2_T3_PNS13_IS18_E10value_typeET4_jRbjT5_S1E_jjP12ihipStream_tbEUljE_ZNSN_ISO_Lb0ESQ_SR_ST_SU_SY_EESZ_S10_S11_S12_S16_S17_S18_S1B_S1C_jS1D_jS1E_S1E_jjS1G_bEUljE0_EEESZ_S10_S11_S18_S1C_S1E_T6_T7_T9_mT8_S1G_bDpT10_ENKUlT_T0_E_clISt17integral_constantIbLb0EES1U_EEDaS1P_S1Q_EUlS1P_E_NS1_11comp_targetILNS1_3genE4ELNS1_11target_archE910ELNS1_3gpuE8ELNS1_3repE0EEENS1_30default_config_static_selectorELNS0_4arch9wavefront6targetE0EEEvS12_.kd
    .uniform_work_group_size: 1
    .uses_dynamic_stack: false
    .vgpr_count:     0
    .vgpr_spill_count: 0
    .wavefront_size: 32
    .workgroup_processor_mode: 1
  - .args:
      - .offset:         0
        .size:           176
        .value_kind:     by_value
    .group_segment_fixed_size: 0
    .kernarg_segment_align: 8
    .kernarg_segment_size: 176
    .language:       OpenCL C
    .language_version:
      - 2
      - 0
    .max_flat_workgroup_size: 256
    .name:           _ZN7rocprim17ROCPRIM_400000_NS6detail17trampoline_kernelINS0_13select_configILj256ELj13ELNS0_17block_load_methodE3ELS4_3ELS4_3ELNS0_20block_scan_algorithmE0ELj4294967295EEENS1_25partition_config_selectorILNS1_17partition_subalgoE4EjNS0_10empty_typeEbEEZZNS1_14partition_implILS8_4ELb0ES6_15HIP_vector_typeIjLj2EENS0_17counting_iteratorIjlEEPS9_SG_NS0_5tupleIJPjSI_NS0_16reverse_iteratorISI_EEEEENSH_IJSG_SG_SG_EEES9_SI_JZNS1_25segmented_radix_sort_implINS0_14default_configELb0EPKhPhPKlPlN2at6native12_GLOBAL__N_18offset_tEEE10hipError_tPvRmT1_PNSt15iterator_traitsIS12_E10value_typeET2_T3_PNS13_IS18_E10value_typeET4_jRbjT5_S1E_jjP12ihipStream_tbEUljE_ZNSN_ISO_Lb0ESQ_SR_ST_SU_SY_EESZ_S10_S11_S12_S16_S17_S18_S1B_S1C_jS1D_jS1E_S1E_jjS1G_bEUljE0_EEESZ_S10_S11_S18_S1C_S1E_T6_T7_T9_mT8_S1G_bDpT10_ENKUlT_T0_E_clISt17integral_constantIbLb0EES1U_EEDaS1P_S1Q_EUlS1P_E_NS1_11comp_targetILNS1_3genE3ELNS1_11target_archE908ELNS1_3gpuE7ELNS1_3repE0EEENS1_30default_config_static_selectorELNS0_4arch9wavefront6targetE0EEEvS12_
    .private_segment_fixed_size: 0
    .sgpr_count:     0
    .sgpr_spill_count: 0
    .symbol:         _ZN7rocprim17ROCPRIM_400000_NS6detail17trampoline_kernelINS0_13select_configILj256ELj13ELNS0_17block_load_methodE3ELS4_3ELS4_3ELNS0_20block_scan_algorithmE0ELj4294967295EEENS1_25partition_config_selectorILNS1_17partition_subalgoE4EjNS0_10empty_typeEbEEZZNS1_14partition_implILS8_4ELb0ES6_15HIP_vector_typeIjLj2EENS0_17counting_iteratorIjlEEPS9_SG_NS0_5tupleIJPjSI_NS0_16reverse_iteratorISI_EEEEENSH_IJSG_SG_SG_EEES9_SI_JZNS1_25segmented_radix_sort_implINS0_14default_configELb0EPKhPhPKlPlN2at6native12_GLOBAL__N_18offset_tEEE10hipError_tPvRmT1_PNSt15iterator_traitsIS12_E10value_typeET2_T3_PNS13_IS18_E10value_typeET4_jRbjT5_S1E_jjP12ihipStream_tbEUljE_ZNSN_ISO_Lb0ESQ_SR_ST_SU_SY_EESZ_S10_S11_S12_S16_S17_S18_S1B_S1C_jS1D_jS1E_S1E_jjS1G_bEUljE0_EEESZ_S10_S11_S18_S1C_S1E_T6_T7_T9_mT8_S1G_bDpT10_ENKUlT_T0_E_clISt17integral_constantIbLb0EES1U_EEDaS1P_S1Q_EUlS1P_E_NS1_11comp_targetILNS1_3genE3ELNS1_11target_archE908ELNS1_3gpuE7ELNS1_3repE0EEENS1_30default_config_static_selectorELNS0_4arch9wavefront6targetE0EEEvS12_.kd
    .uniform_work_group_size: 1
    .uses_dynamic_stack: false
    .vgpr_count:     0
    .vgpr_spill_count: 0
    .wavefront_size: 32
    .workgroup_processor_mode: 1
  - .args:
      - .offset:         0
        .size:           176
        .value_kind:     by_value
    .group_segment_fixed_size: 0
    .kernarg_segment_align: 8
    .kernarg_segment_size: 176
    .language:       OpenCL C
    .language_version:
      - 2
      - 0
    .max_flat_workgroup_size: 256
    .name:           _ZN7rocprim17ROCPRIM_400000_NS6detail17trampoline_kernelINS0_13select_configILj256ELj13ELNS0_17block_load_methodE3ELS4_3ELS4_3ELNS0_20block_scan_algorithmE0ELj4294967295EEENS1_25partition_config_selectorILNS1_17partition_subalgoE4EjNS0_10empty_typeEbEEZZNS1_14partition_implILS8_4ELb0ES6_15HIP_vector_typeIjLj2EENS0_17counting_iteratorIjlEEPS9_SG_NS0_5tupleIJPjSI_NS0_16reverse_iteratorISI_EEEEENSH_IJSG_SG_SG_EEES9_SI_JZNS1_25segmented_radix_sort_implINS0_14default_configELb0EPKhPhPKlPlN2at6native12_GLOBAL__N_18offset_tEEE10hipError_tPvRmT1_PNSt15iterator_traitsIS12_E10value_typeET2_T3_PNS13_IS18_E10value_typeET4_jRbjT5_S1E_jjP12ihipStream_tbEUljE_ZNSN_ISO_Lb0ESQ_SR_ST_SU_SY_EESZ_S10_S11_S12_S16_S17_S18_S1B_S1C_jS1D_jS1E_S1E_jjS1G_bEUljE0_EEESZ_S10_S11_S18_S1C_S1E_T6_T7_T9_mT8_S1G_bDpT10_ENKUlT_T0_E_clISt17integral_constantIbLb0EES1U_EEDaS1P_S1Q_EUlS1P_E_NS1_11comp_targetILNS1_3genE2ELNS1_11target_archE906ELNS1_3gpuE6ELNS1_3repE0EEENS1_30default_config_static_selectorELNS0_4arch9wavefront6targetE0EEEvS12_
    .private_segment_fixed_size: 0
    .sgpr_count:     0
    .sgpr_spill_count: 0
    .symbol:         _ZN7rocprim17ROCPRIM_400000_NS6detail17trampoline_kernelINS0_13select_configILj256ELj13ELNS0_17block_load_methodE3ELS4_3ELS4_3ELNS0_20block_scan_algorithmE0ELj4294967295EEENS1_25partition_config_selectorILNS1_17partition_subalgoE4EjNS0_10empty_typeEbEEZZNS1_14partition_implILS8_4ELb0ES6_15HIP_vector_typeIjLj2EENS0_17counting_iteratorIjlEEPS9_SG_NS0_5tupleIJPjSI_NS0_16reverse_iteratorISI_EEEEENSH_IJSG_SG_SG_EEES9_SI_JZNS1_25segmented_radix_sort_implINS0_14default_configELb0EPKhPhPKlPlN2at6native12_GLOBAL__N_18offset_tEEE10hipError_tPvRmT1_PNSt15iterator_traitsIS12_E10value_typeET2_T3_PNS13_IS18_E10value_typeET4_jRbjT5_S1E_jjP12ihipStream_tbEUljE_ZNSN_ISO_Lb0ESQ_SR_ST_SU_SY_EESZ_S10_S11_S12_S16_S17_S18_S1B_S1C_jS1D_jS1E_S1E_jjS1G_bEUljE0_EEESZ_S10_S11_S18_S1C_S1E_T6_T7_T9_mT8_S1G_bDpT10_ENKUlT_T0_E_clISt17integral_constantIbLb0EES1U_EEDaS1P_S1Q_EUlS1P_E_NS1_11comp_targetILNS1_3genE2ELNS1_11target_archE906ELNS1_3gpuE6ELNS1_3repE0EEENS1_30default_config_static_selectorELNS0_4arch9wavefront6targetE0EEEvS12_.kd
    .uniform_work_group_size: 1
    .uses_dynamic_stack: false
    .vgpr_count:     0
    .vgpr_spill_count: 0
    .wavefront_size: 32
    .workgroup_processor_mode: 1
  - .args:
      - .offset:         0
        .size:           176
        .value_kind:     by_value
    .group_segment_fixed_size: 0
    .kernarg_segment_align: 8
    .kernarg_segment_size: 176
    .language:       OpenCL C
    .language_version:
      - 2
      - 0
    .max_flat_workgroup_size: 256
    .name:           _ZN7rocprim17ROCPRIM_400000_NS6detail17trampoline_kernelINS0_13select_configILj256ELj13ELNS0_17block_load_methodE3ELS4_3ELS4_3ELNS0_20block_scan_algorithmE0ELj4294967295EEENS1_25partition_config_selectorILNS1_17partition_subalgoE4EjNS0_10empty_typeEbEEZZNS1_14partition_implILS8_4ELb0ES6_15HIP_vector_typeIjLj2EENS0_17counting_iteratorIjlEEPS9_SG_NS0_5tupleIJPjSI_NS0_16reverse_iteratorISI_EEEEENSH_IJSG_SG_SG_EEES9_SI_JZNS1_25segmented_radix_sort_implINS0_14default_configELb0EPKhPhPKlPlN2at6native12_GLOBAL__N_18offset_tEEE10hipError_tPvRmT1_PNSt15iterator_traitsIS12_E10value_typeET2_T3_PNS13_IS18_E10value_typeET4_jRbjT5_S1E_jjP12ihipStream_tbEUljE_ZNSN_ISO_Lb0ESQ_SR_ST_SU_SY_EESZ_S10_S11_S12_S16_S17_S18_S1B_S1C_jS1D_jS1E_S1E_jjS1G_bEUljE0_EEESZ_S10_S11_S18_S1C_S1E_T6_T7_T9_mT8_S1G_bDpT10_ENKUlT_T0_E_clISt17integral_constantIbLb0EES1U_EEDaS1P_S1Q_EUlS1P_E_NS1_11comp_targetILNS1_3genE10ELNS1_11target_archE1200ELNS1_3gpuE4ELNS1_3repE0EEENS1_30default_config_static_selectorELNS0_4arch9wavefront6targetE0EEEvS12_
    .private_segment_fixed_size: 0
    .sgpr_count:     0
    .sgpr_spill_count: 0
    .symbol:         _ZN7rocprim17ROCPRIM_400000_NS6detail17trampoline_kernelINS0_13select_configILj256ELj13ELNS0_17block_load_methodE3ELS4_3ELS4_3ELNS0_20block_scan_algorithmE0ELj4294967295EEENS1_25partition_config_selectorILNS1_17partition_subalgoE4EjNS0_10empty_typeEbEEZZNS1_14partition_implILS8_4ELb0ES6_15HIP_vector_typeIjLj2EENS0_17counting_iteratorIjlEEPS9_SG_NS0_5tupleIJPjSI_NS0_16reverse_iteratorISI_EEEEENSH_IJSG_SG_SG_EEES9_SI_JZNS1_25segmented_radix_sort_implINS0_14default_configELb0EPKhPhPKlPlN2at6native12_GLOBAL__N_18offset_tEEE10hipError_tPvRmT1_PNSt15iterator_traitsIS12_E10value_typeET2_T3_PNS13_IS18_E10value_typeET4_jRbjT5_S1E_jjP12ihipStream_tbEUljE_ZNSN_ISO_Lb0ESQ_SR_ST_SU_SY_EESZ_S10_S11_S12_S16_S17_S18_S1B_S1C_jS1D_jS1E_S1E_jjS1G_bEUljE0_EEESZ_S10_S11_S18_S1C_S1E_T6_T7_T9_mT8_S1G_bDpT10_ENKUlT_T0_E_clISt17integral_constantIbLb0EES1U_EEDaS1P_S1Q_EUlS1P_E_NS1_11comp_targetILNS1_3genE10ELNS1_11target_archE1200ELNS1_3gpuE4ELNS1_3repE0EEENS1_30default_config_static_selectorELNS0_4arch9wavefront6targetE0EEEvS12_.kd
    .uniform_work_group_size: 1
    .uses_dynamic_stack: false
    .vgpr_count:     0
    .vgpr_spill_count: 0
    .wavefront_size: 32
    .workgroup_processor_mode: 1
  - .args:
      - .offset:         0
        .size:           176
        .value_kind:     by_value
    .group_segment_fixed_size: 0
    .kernarg_segment_align: 8
    .kernarg_segment_size: 176
    .language:       OpenCL C
    .language_version:
      - 2
      - 0
    .max_flat_workgroup_size: 256
    .name:           _ZN7rocprim17ROCPRIM_400000_NS6detail17trampoline_kernelINS0_13select_configILj256ELj13ELNS0_17block_load_methodE3ELS4_3ELS4_3ELNS0_20block_scan_algorithmE0ELj4294967295EEENS1_25partition_config_selectorILNS1_17partition_subalgoE4EjNS0_10empty_typeEbEEZZNS1_14partition_implILS8_4ELb0ES6_15HIP_vector_typeIjLj2EENS0_17counting_iteratorIjlEEPS9_SG_NS0_5tupleIJPjSI_NS0_16reverse_iteratorISI_EEEEENSH_IJSG_SG_SG_EEES9_SI_JZNS1_25segmented_radix_sort_implINS0_14default_configELb0EPKhPhPKlPlN2at6native12_GLOBAL__N_18offset_tEEE10hipError_tPvRmT1_PNSt15iterator_traitsIS12_E10value_typeET2_T3_PNS13_IS18_E10value_typeET4_jRbjT5_S1E_jjP12ihipStream_tbEUljE_ZNSN_ISO_Lb0ESQ_SR_ST_SU_SY_EESZ_S10_S11_S12_S16_S17_S18_S1B_S1C_jS1D_jS1E_S1E_jjS1G_bEUljE0_EEESZ_S10_S11_S18_S1C_S1E_T6_T7_T9_mT8_S1G_bDpT10_ENKUlT_T0_E_clISt17integral_constantIbLb0EES1U_EEDaS1P_S1Q_EUlS1P_E_NS1_11comp_targetILNS1_3genE9ELNS1_11target_archE1100ELNS1_3gpuE3ELNS1_3repE0EEENS1_30default_config_static_selectorELNS0_4arch9wavefront6targetE0EEEvS12_
    .private_segment_fixed_size: 0
    .sgpr_count:     0
    .sgpr_spill_count: 0
    .symbol:         _ZN7rocprim17ROCPRIM_400000_NS6detail17trampoline_kernelINS0_13select_configILj256ELj13ELNS0_17block_load_methodE3ELS4_3ELS4_3ELNS0_20block_scan_algorithmE0ELj4294967295EEENS1_25partition_config_selectorILNS1_17partition_subalgoE4EjNS0_10empty_typeEbEEZZNS1_14partition_implILS8_4ELb0ES6_15HIP_vector_typeIjLj2EENS0_17counting_iteratorIjlEEPS9_SG_NS0_5tupleIJPjSI_NS0_16reverse_iteratorISI_EEEEENSH_IJSG_SG_SG_EEES9_SI_JZNS1_25segmented_radix_sort_implINS0_14default_configELb0EPKhPhPKlPlN2at6native12_GLOBAL__N_18offset_tEEE10hipError_tPvRmT1_PNSt15iterator_traitsIS12_E10value_typeET2_T3_PNS13_IS18_E10value_typeET4_jRbjT5_S1E_jjP12ihipStream_tbEUljE_ZNSN_ISO_Lb0ESQ_SR_ST_SU_SY_EESZ_S10_S11_S12_S16_S17_S18_S1B_S1C_jS1D_jS1E_S1E_jjS1G_bEUljE0_EEESZ_S10_S11_S18_S1C_S1E_T6_T7_T9_mT8_S1G_bDpT10_ENKUlT_T0_E_clISt17integral_constantIbLb0EES1U_EEDaS1P_S1Q_EUlS1P_E_NS1_11comp_targetILNS1_3genE9ELNS1_11target_archE1100ELNS1_3gpuE3ELNS1_3repE0EEENS1_30default_config_static_selectorELNS0_4arch9wavefront6targetE0EEEvS12_.kd
    .uniform_work_group_size: 1
    .uses_dynamic_stack: false
    .vgpr_count:     0
    .vgpr_spill_count: 0
    .wavefront_size: 32
    .workgroup_processor_mode: 1
  - .args:
      - .offset:         0
        .size:           176
        .value_kind:     by_value
    .group_segment_fixed_size: 13328
    .kernarg_segment_align: 8
    .kernarg_segment_size: 176
    .language:       OpenCL C
    .language_version:
      - 2
      - 0
    .max_flat_workgroup_size: 256
    .name:           _ZN7rocprim17ROCPRIM_400000_NS6detail17trampoline_kernelINS0_13select_configILj256ELj13ELNS0_17block_load_methodE3ELS4_3ELS4_3ELNS0_20block_scan_algorithmE0ELj4294967295EEENS1_25partition_config_selectorILNS1_17partition_subalgoE4EjNS0_10empty_typeEbEEZZNS1_14partition_implILS8_4ELb0ES6_15HIP_vector_typeIjLj2EENS0_17counting_iteratorIjlEEPS9_SG_NS0_5tupleIJPjSI_NS0_16reverse_iteratorISI_EEEEENSH_IJSG_SG_SG_EEES9_SI_JZNS1_25segmented_radix_sort_implINS0_14default_configELb0EPKhPhPKlPlN2at6native12_GLOBAL__N_18offset_tEEE10hipError_tPvRmT1_PNSt15iterator_traitsIS12_E10value_typeET2_T3_PNS13_IS18_E10value_typeET4_jRbjT5_S1E_jjP12ihipStream_tbEUljE_ZNSN_ISO_Lb0ESQ_SR_ST_SU_SY_EESZ_S10_S11_S12_S16_S17_S18_S1B_S1C_jS1D_jS1E_S1E_jjS1G_bEUljE0_EEESZ_S10_S11_S18_S1C_S1E_T6_T7_T9_mT8_S1G_bDpT10_ENKUlT_T0_E_clISt17integral_constantIbLb0EES1U_EEDaS1P_S1Q_EUlS1P_E_NS1_11comp_targetILNS1_3genE8ELNS1_11target_archE1030ELNS1_3gpuE2ELNS1_3repE0EEENS1_30default_config_static_selectorELNS0_4arch9wavefront6targetE0EEEvS12_
    .private_segment_fixed_size: 0
    .sgpr_count:     61
    .sgpr_spill_count: 0
    .symbol:         _ZN7rocprim17ROCPRIM_400000_NS6detail17trampoline_kernelINS0_13select_configILj256ELj13ELNS0_17block_load_methodE3ELS4_3ELS4_3ELNS0_20block_scan_algorithmE0ELj4294967295EEENS1_25partition_config_selectorILNS1_17partition_subalgoE4EjNS0_10empty_typeEbEEZZNS1_14partition_implILS8_4ELb0ES6_15HIP_vector_typeIjLj2EENS0_17counting_iteratorIjlEEPS9_SG_NS0_5tupleIJPjSI_NS0_16reverse_iteratorISI_EEEEENSH_IJSG_SG_SG_EEES9_SI_JZNS1_25segmented_radix_sort_implINS0_14default_configELb0EPKhPhPKlPlN2at6native12_GLOBAL__N_18offset_tEEE10hipError_tPvRmT1_PNSt15iterator_traitsIS12_E10value_typeET2_T3_PNS13_IS18_E10value_typeET4_jRbjT5_S1E_jjP12ihipStream_tbEUljE_ZNSN_ISO_Lb0ESQ_SR_ST_SU_SY_EESZ_S10_S11_S12_S16_S17_S18_S1B_S1C_jS1D_jS1E_S1E_jjS1G_bEUljE0_EEESZ_S10_S11_S18_S1C_S1E_T6_T7_T9_mT8_S1G_bDpT10_ENKUlT_T0_E_clISt17integral_constantIbLb0EES1U_EEDaS1P_S1Q_EUlS1P_E_NS1_11comp_targetILNS1_3genE8ELNS1_11target_archE1030ELNS1_3gpuE2ELNS1_3repE0EEENS1_30default_config_static_selectorELNS0_4arch9wavefront6targetE0EEEvS12_.kd
    .uniform_work_group_size: 1
    .uses_dynamic_stack: false
    .vgpr_count:     82
    .vgpr_spill_count: 0
    .wavefront_size: 32
    .workgroup_processor_mode: 1
  - .args:
      - .offset:         0
        .size:           184
        .value_kind:     by_value
    .group_segment_fixed_size: 0
    .kernarg_segment_align: 8
    .kernarg_segment_size: 184
    .language:       OpenCL C
    .language_version:
      - 2
      - 0
    .max_flat_workgroup_size: 256
    .name:           _ZN7rocprim17ROCPRIM_400000_NS6detail17trampoline_kernelINS0_13select_configILj256ELj13ELNS0_17block_load_methodE3ELS4_3ELS4_3ELNS0_20block_scan_algorithmE0ELj4294967295EEENS1_25partition_config_selectorILNS1_17partition_subalgoE4EjNS0_10empty_typeEbEEZZNS1_14partition_implILS8_4ELb0ES6_15HIP_vector_typeIjLj2EENS0_17counting_iteratorIjlEEPS9_SG_NS0_5tupleIJPjSI_NS0_16reverse_iteratorISI_EEEEENSH_IJSG_SG_SG_EEES9_SI_JZNS1_25segmented_radix_sort_implINS0_14default_configELb0EPKhPhPKlPlN2at6native12_GLOBAL__N_18offset_tEEE10hipError_tPvRmT1_PNSt15iterator_traitsIS12_E10value_typeET2_T3_PNS13_IS18_E10value_typeET4_jRbjT5_S1E_jjP12ihipStream_tbEUljE_ZNSN_ISO_Lb0ESQ_SR_ST_SU_SY_EESZ_S10_S11_S12_S16_S17_S18_S1B_S1C_jS1D_jS1E_S1E_jjS1G_bEUljE0_EEESZ_S10_S11_S18_S1C_S1E_T6_T7_T9_mT8_S1G_bDpT10_ENKUlT_T0_E_clISt17integral_constantIbLb1EES1U_EEDaS1P_S1Q_EUlS1P_E_NS1_11comp_targetILNS1_3genE0ELNS1_11target_archE4294967295ELNS1_3gpuE0ELNS1_3repE0EEENS1_30default_config_static_selectorELNS0_4arch9wavefront6targetE0EEEvS12_
    .private_segment_fixed_size: 0
    .sgpr_count:     0
    .sgpr_spill_count: 0
    .symbol:         _ZN7rocprim17ROCPRIM_400000_NS6detail17trampoline_kernelINS0_13select_configILj256ELj13ELNS0_17block_load_methodE3ELS4_3ELS4_3ELNS0_20block_scan_algorithmE0ELj4294967295EEENS1_25partition_config_selectorILNS1_17partition_subalgoE4EjNS0_10empty_typeEbEEZZNS1_14partition_implILS8_4ELb0ES6_15HIP_vector_typeIjLj2EENS0_17counting_iteratorIjlEEPS9_SG_NS0_5tupleIJPjSI_NS0_16reverse_iteratorISI_EEEEENSH_IJSG_SG_SG_EEES9_SI_JZNS1_25segmented_radix_sort_implINS0_14default_configELb0EPKhPhPKlPlN2at6native12_GLOBAL__N_18offset_tEEE10hipError_tPvRmT1_PNSt15iterator_traitsIS12_E10value_typeET2_T3_PNS13_IS18_E10value_typeET4_jRbjT5_S1E_jjP12ihipStream_tbEUljE_ZNSN_ISO_Lb0ESQ_SR_ST_SU_SY_EESZ_S10_S11_S12_S16_S17_S18_S1B_S1C_jS1D_jS1E_S1E_jjS1G_bEUljE0_EEESZ_S10_S11_S18_S1C_S1E_T6_T7_T9_mT8_S1G_bDpT10_ENKUlT_T0_E_clISt17integral_constantIbLb1EES1U_EEDaS1P_S1Q_EUlS1P_E_NS1_11comp_targetILNS1_3genE0ELNS1_11target_archE4294967295ELNS1_3gpuE0ELNS1_3repE0EEENS1_30default_config_static_selectorELNS0_4arch9wavefront6targetE0EEEvS12_.kd
    .uniform_work_group_size: 1
    .uses_dynamic_stack: false
    .vgpr_count:     0
    .vgpr_spill_count: 0
    .wavefront_size: 32
    .workgroup_processor_mode: 1
  - .args:
      - .offset:         0
        .size:           184
        .value_kind:     by_value
    .group_segment_fixed_size: 0
    .kernarg_segment_align: 8
    .kernarg_segment_size: 184
    .language:       OpenCL C
    .language_version:
      - 2
      - 0
    .max_flat_workgroup_size: 256
    .name:           _ZN7rocprim17ROCPRIM_400000_NS6detail17trampoline_kernelINS0_13select_configILj256ELj13ELNS0_17block_load_methodE3ELS4_3ELS4_3ELNS0_20block_scan_algorithmE0ELj4294967295EEENS1_25partition_config_selectorILNS1_17partition_subalgoE4EjNS0_10empty_typeEbEEZZNS1_14partition_implILS8_4ELb0ES6_15HIP_vector_typeIjLj2EENS0_17counting_iteratorIjlEEPS9_SG_NS0_5tupleIJPjSI_NS0_16reverse_iteratorISI_EEEEENSH_IJSG_SG_SG_EEES9_SI_JZNS1_25segmented_radix_sort_implINS0_14default_configELb0EPKhPhPKlPlN2at6native12_GLOBAL__N_18offset_tEEE10hipError_tPvRmT1_PNSt15iterator_traitsIS12_E10value_typeET2_T3_PNS13_IS18_E10value_typeET4_jRbjT5_S1E_jjP12ihipStream_tbEUljE_ZNSN_ISO_Lb0ESQ_SR_ST_SU_SY_EESZ_S10_S11_S12_S16_S17_S18_S1B_S1C_jS1D_jS1E_S1E_jjS1G_bEUljE0_EEESZ_S10_S11_S18_S1C_S1E_T6_T7_T9_mT8_S1G_bDpT10_ENKUlT_T0_E_clISt17integral_constantIbLb1EES1U_EEDaS1P_S1Q_EUlS1P_E_NS1_11comp_targetILNS1_3genE5ELNS1_11target_archE942ELNS1_3gpuE9ELNS1_3repE0EEENS1_30default_config_static_selectorELNS0_4arch9wavefront6targetE0EEEvS12_
    .private_segment_fixed_size: 0
    .sgpr_count:     0
    .sgpr_spill_count: 0
    .symbol:         _ZN7rocprim17ROCPRIM_400000_NS6detail17trampoline_kernelINS0_13select_configILj256ELj13ELNS0_17block_load_methodE3ELS4_3ELS4_3ELNS0_20block_scan_algorithmE0ELj4294967295EEENS1_25partition_config_selectorILNS1_17partition_subalgoE4EjNS0_10empty_typeEbEEZZNS1_14partition_implILS8_4ELb0ES6_15HIP_vector_typeIjLj2EENS0_17counting_iteratorIjlEEPS9_SG_NS0_5tupleIJPjSI_NS0_16reverse_iteratorISI_EEEEENSH_IJSG_SG_SG_EEES9_SI_JZNS1_25segmented_radix_sort_implINS0_14default_configELb0EPKhPhPKlPlN2at6native12_GLOBAL__N_18offset_tEEE10hipError_tPvRmT1_PNSt15iterator_traitsIS12_E10value_typeET2_T3_PNS13_IS18_E10value_typeET4_jRbjT5_S1E_jjP12ihipStream_tbEUljE_ZNSN_ISO_Lb0ESQ_SR_ST_SU_SY_EESZ_S10_S11_S12_S16_S17_S18_S1B_S1C_jS1D_jS1E_S1E_jjS1G_bEUljE0_EEESZ_S10_S11_S18_S1C_S1E_T6_T7_T9_mT8_S1G_bDpT10_ENKUlT_T0_E_clISt17integral_constantIbLb1EES1U_EEDaS1P_S1Q_EUlS1P_E_NS1_11comp_targetILNS1_3genE5ELNS1_11target_archE942ELNS1_3gpuE9ELNS1_3repE0EEENS1_30default_config_static_selectorELNS0_4arch9wavefront6targetE0EEEvS12_.kd
    .uniform_work_group_size: 1
    .uses_dynamic_stack: false
    .vgpr_count:     0
    .vgpr_spill_count: 0
    .wavefront_size: 32
    .workgroup_processor_mode: 1
  - .args:
      - .offset:         0
        .size:           184
        .value_kind:     by_value
    .group_segment_fixed_size: 0
    .kernarg_segment_align: 8
    .kernarg_segment_size: 184
    .language:       OpenCL C
    .language_version:
      - 2
      - 0
    .max_flat_workgroup_size: 256
    .name:           _ZN7rocprim17ROCPRIM_400000_NS6detail17trampoline_kernelINS0_13select_configILj256ELj13ELNS0_17block_load_methodE3ELS4_3ELS4_3ELNS0_20block_scan_algorithmE0ELj4294967295EEENS1_25partition_config_selectorILNS1_17partition_subalgoE4EjNS0_10empty_typeEbEEZZNS1_14partition_implILS8_4ELb0ES6_15HIP_vector_typeIjLj2EENS0_17counting_iteratorIjlEEPS9_SG_NS0_5tupleIJPjSI_NS0_16reverse_iteratorISI_EEEEENSH_IJSG_SG_SG_EEES9_SI_JZNS1_25segmented_radix_sort_implINS0_14default_configELb0EPKhPhPKlPlN2at6native12_GLOBAL__N_18offset_tEEE10hipError_tPvRmT1_PNSt15iterator_traitsIS12_E10value_typeET2_T3_PNS13_IS18_E10value_typeET4_jRbjT5_S1E_jjP12ihipStream_tbEUljE_ZNSN_ISO_Lb0ESQ_SR_ST_SU_SY_EESZ_S10_S11_S12_S16_S17_S18_S1B_S1C_jS1D_jS1E_S1E_jjS1G_bEUljE0_EEESZ_S10_S11_S18_S1C_S1E_T6_T7_T9_mT8_S1G_bDpT10_ENKUlT_T0_E_clISt17integral_constantIbLb1EES1U_EEDaS1P_S1Q_EUlS1P_E_NS1_11comp_targetILNS1_3genE4ELNS1_11target_archE910ELNS1_3gpuE8ELNS1_3repE0EEENS1_30default_config_static_selectorELNS0_4arch9wavefront6targetE0EEEvS12_
    .private_segment_fixed_size: 0
    .sgpr_count:     0
    .sgpr_spill_count: 0
    .symbol:         _ZN7rocprim17ROCPRIM_400000_NS6detail17trampoline_kernelINS0_13select_configILj256ELj13ELNS0_17block_load_methodE3ELS4_3ELS4_3ELNS0_20block_scan_algorithmE0ELj4294967295EEENS1_25partition_config_selectorILNS1_17partition_subalgoE4EjNS0_10empty_typeEbEEZZNS1_14partition_implILS8_4ELb0ES6_15HIP_vector_typeIjLj2EENS0_17counting_iteratorIjlEEPS9_SG_NS0_5tupleIJPjSI_NS0_16reverse_iteratorISI_EEEEENSH_IJSG_SG_SG_EEES9_SI_JZNS1_25segmented_radix_sort_implINS0_14default_configELb0EPKhPhPKlPlN2at6native12_GLOBAL__N_18offset_tEEE10hipError_tPvRmT1_PNSt15iterator_traitsIS12_E10value_typeET2_T3_PNS13_IS18_E10value_typeET4_jRbjT5_S1E_jjP12ihipStream_tbEUljE_ZNSN_ISO_Lb0ESQ_SR_ST_SU_SY_EESZ_S10_S11_S12_S16_S17_S18_S1B_S1C_jS1D_jS1E_S1E_jjS1G_bEUljE0_EEESZ_S10_S11_S18_S1C_S1E_T6_T7_T9_mT8_S1G_bDpT10_ENKUlT_T0_E_clISt17integral_constantIbLb1EES1U_EEDaS1P_S1Q_EUlS1P_E_NS1_11comp_targetILNS1_3genE4ELNS1_11target_archE910ELNS1_3gpuE8ELNS1_3repE0EEENS1_30default_config_static_selectorELNS0_4arch9wavefront6targetE0EEEvS12_.kd
    .uniform_work_group_size: 1
    .uses_dynamic_stack: false
    .vgpr_count:     0
    .vgpr_spill_count: 0
    .wavefront_size: 32
    .workgroup_processor_mode: 1
  - .args:
      - .offset:         0
        .size:           184
        .value_kind:     by_value
    .group_segment_fixed_size: 0
    .kernarg_segment_align: 8
    .kernarg_segment_size: 184
    .language:       OpenCL C
    .language_version:
      - 2
      - 0
    .max_flat_workgroup_size: 256
    .name:           _ZN7rocprim17ROCPRIM_400000_NS6detail17trampoline_kernelINS0_13select_configILj256ELj13ELNS0_17block_load_methodE3ELS4_3ELS4_3ELNS0_20block_scan_algorithmE0ELj4294967295EEENS1_25partition_config_selectorILNS1_17partition_subalgoE4EjNS0_10empty_typeEbEEZZNS1_14partition_implILS8_4ELb0ES6_15HIP_vector_typeIjLj2EENS0_17counting_iteratorIjlEEPS9_SG_NS0_5tupleIJPjSI_NS0_16reverse_iteratorISI_EEEEENSH_IJSG_SG_SG_EEES9_SI_JZNS1_25segmented_radix_sort_implINS0_14default_configELb0EPKhPhPKlPlN2at6native12_GLOBAL__N_18offset_tEEE10hipError_tPvRmT1_PNSt15iterator_traitsIS12_E10value_typeET2_T3_PNS13_IS18_E10value_typeET4_jRbjT5_S1E_jjP12ihipStream_tbEUljE_ZNSN_ISO_Lb0ESQ_SR_ST_SU_SY_EESZ_S10_S11_S12_S16_S17_S18_S1B_S1C_jS1D_jS1E_S1E_jjS1G_bEUljE0_EEESZ_S10_S11_S18_S1C_S1E_T6_T7_T9_mT8_S1G_bDpT10_ENKUlT_T0_E_clISt17integral_constantIbLb1EES1U_EEDaS1P_S1Q_EUlS1P_E_NS1_11comp_targetILNS1_3genE3ELNS1_11target_archE908ELNS1_3gpuE7ELNS1_3repE0EEENS1_30default_config_static_selectorELNS0_4arch9wavefront6targetE0EEEvS12_
    .private_segment_fixed_size: 0
    .sgpr_count:     0
    .sgpr_spill_count: 0
    .symbol:         _ZN7rocprim17ROCPRIM_400000_NS6detail17trampoline_kernelINS0_13select_configILj256ELj13ELNS0_17block_load_methodE3ELS4_3ELS4_3ELNS0_20block_scan_algorithmE0ELj4294967295EEENS1_25partition_config_selectorILNS1_17partition_subalgoE4EjNS0_10empty_typeEbEEZZNS1_14partition_implILS8_4ELb0ES6_15HIP_vector_typeIjLj2EENS0_17counting_iteratorIjlEEPS9_SG_NS0_5tupleIJPjSI_NS0_16reverse_iteratorISI_EEEEENSH_IJSG_SG_SG_EEES9_SI_JZNS1_25segmented_radix_sort_implINS0_14default_configELb0EPKhPhPKlPlN2at6native12_GLOBAL__N_18offset_tEEE10hipError_tPvRmT1_PNSt15iterator_traitsIS12_E10value_typeET2_T3_PNS13_IS18_E10value_typeET4_jRbjT5_S1E_jjP12ihipStream_tbEUljE_ZNSN_ISO_Lb0ESQ_SR_ST_SU_SY_EESZ_S10_S11_S12_S16_S17_S18_S1B_S1C_jS1D_jS1E_S1E_jjS1G_bEUljE0_EEESZ_S10_S11_S18_S1C_S1E_T6_T7_T9_mT8_S1G_bDpT10_ENKUlT_T0_E_clISt17integral_constantIbLb1EES1U_EEDaS1P_S1Q_EUlS1P_E_NS1_11comp_targetILNS1_3genE3ELNS1_11target_archE908ELNS1_3gpuE7ELNS1_3repE0EEENS1_30default_config_static_selectorELNS0_4arch9wavefront6targetE0EEEvS12_.kd
    .uniform_work_group_size: 1
    .uses_dynamic_stack: false
    .vgpr_count:     0
    .vgpr_spill_count: 0
    .wavefront_size: 32
    .workgroup_processor_mode: 1
  - .args:
      - .offset:         0
        .size:           184
        .value_kind:     by_value
    .group_segment_fixed_size: 0
    .kernarg_segment_align: 8
    .kernarg_segment_size: 184
    .language:       OpenCL C
    .language_version:
      - 2
      - 0
    .max_flat_workgroup_size: 256
    .name:           _ZN7rocprim17ROCPRIM_400000_NS6detail17trampoline_kernelINS0_13select_configILj256ELj13ELNS0_17block_load_methodE3ELS4_3ELS4_3ELNS0_20block_scan_algorithmE0ELj4294967295EEENS1_25partition_config_selectorILNS1_17partition_subalgoE4EjNS0_10empty_typeEbEEZZNS1_14partition_implILS8_4ELb0ES6_15HIP_vector_typeIjLj2EENS0_17counting_iteratorIjlEEPS9_SG_NS0_5tupleIJPjSI_NS0_16reverse_iteratorISI_EEEEENSH_IJSG_SG_SG_EEES9_SI_JZNS1_25segmented_radix_sort_implINS0_14default_configELb0EPKhPhPKlPlN2at6native12_GLOBAL__N_18offset_tEEE10hipError_tPvRmT1_PNSt15iterator_traitsIS12_E10value_typeET2_T3_PNS13_IS18_E10value_typeET4_jRbjT5_S1E_jjP12ihipStream_tbEUljE_ZNSN_ISO_Lb0ESQ_SR_ST_SU_SY_EESZ_S10_S11_S12_S16_S17_S18_S1B_S1C_jS1D_jS1E_S1E_jjS1G_bEUljE0_EEESZ_S10_S11_S18_S1C_S1E_T6_T7_T9_mT8_S1G_bDpT10_ENKUlT_T0_E_clISt17integral_constantIbLb1EES1U_EEDaS1P_S1Q_EUlS1P_E_NS1_11comp_targetILNS1_3genE2ELNS1_11target_archE906ELNS1_3gpuE6ELNS1_3repE0EEENS1_30default_config_static_selectorELNS0_4arch9wavefront6targetE0EEEvS12_
    .private_segment_fixed_size: 0
    .sgpr_count:     0
    .sgpr_spill_count: 0
    .symbol:         _ZN7rocprim17ROCPRIM_400000_NS6detail17trampoline_kernelINS0_13select_configILj256ELj13ELNS0_17block_load_methodE3ELS4_3ELS4_3ELNS0_20block_scan_algorithmE0ELj4294967295EEENS1_25partition_config_selectorILNS1_17partition_subalgoE4EjNS0_10empty_typeEbEEZZNS1_14partition_implILS8_4ELb0ES6_15HIP_vector_typeIjLj2EENS0_17counting_iteratorIjlEEPS9_SG_NS0_5tupleIJPjSI_NS0_16reverse_iteratorISI_EEEEENSH_IJSG_SG_SG_EEES9_SI_JZNS1_25segmented_radix_sort_implINS0_14default_configELb0EPKhPhPKlPlN2at6native12_GLOBAL__N_18offset_tEEE10hipError_tPvRmT1_PNSt15iterator_traitsIS12_E10value_typeET2_T3_PNS13_IS18_E10value_typeET4_jRbjT5_S1E_jjP12ihipStream_tbEUljE_ZNSN_ISO_Lb0ESQ_SR_ST_SU_SY_EESZ_S10_S11_S12_S16_S17_S18_S1B_S1C_jS1D_jS1E_S1E_jjS1G_bEUljE0_EEESZ_S10_S11_S18_S1C_S1E_T6_T7_T9_mT8_S1G_bDpT10_ENKUlT_T0_E_clISt17integral_constantIbLb1EES1U_EEDaS1P_S1Q_EUlS1P_E_NS1_11comp_targetILNS1_3genE2ELNS1_11target_archE906ELNS1_3gpuE6ELNS1_3repE0EEENS1_30default_config_static_selectorELNS0_4arch9wavefront6targetE0EEEvS12_.kd
    .uniform_work_group_size: 1
    .uses_dynamic_stack: false
    .vgpr_count:     0
    .vgpr_spill_count: 0
    .wavefront_size: 32
    .workgroup_processor_mode: 1
  - .args:
      - .offset:         0
        .size:           184
        .value_kind:     by_value
    .group_segment_fixed_size: 0
    .kernarg_segment_align: 8
    .kernarg_segment_size: 184
    .language:       OpenCL C
    .language_version:
      - 2
      - 0
    .max_flat_workgroup_size: 256
    .name:           _ZN7rocprim17ROCPRIM_400000_NS6detail17trampoline_kernelINS0_13select_configILj256ELj13ELNS0_17block_load_methodE3ELS4_3ELS4_3ELNS0_20block_scan_algorithmE0ELj4294967295EEENS1_25partition_config_selectorILNS1_17partition_subalgoE4EjNS0_10empty_typeEbEEZZNS1_14partition_implILS8_4ELb0ES6_15HIP_vector_typeIjLj2EENS0_17counting_iteratorIjlEEPS9_SG_NS0_5tupleIJPjSI_NS0_16reverse_iteratorISI_EEEEENSH_IJSG_SG_SG_EEES9_SI_JZNS1_25segmented_radix_sort_implINS0_14default_configELb0EPKhPhPKlPlN2at6native12_GLOBAL__N_18offset_tEEE10hipError_tPvRmT1_PNSt15iterator_traitsIS12_E10value_typeET2_T3_PNS13_IS18_E10value_typeET4_jRbjT5_S1E_jjP12ihipStream_tbEUljE_ZNSN_ISO_Lb0ESQ_SR_ST_SU_SY_EESZ_S10_S11_S12_S16_S17_S18_S1B_S1C_jS1D_jS1E_S1E_jjS1G_bEUljE0_EEESZ_S10_S11_S18_S1C_S1E_T6_T7_T9_mT8_S1G_bDpT10_ENKUlT_T0_E_clISt17integral_constantIbLb1EES1U_EEDaS1P_S1Q_EUlS1P_E_NS1_11comp_targetILNS1_3genE10ELNS1_11target_archE1200ELNS1_3gpuE4ELNS1_3repE0EEENS1_30default_config_static_selectorELNS0_4arch9wavefront6targetE0EEEvS12_
    .private_segment_fixed_size: 0
    .sgpr_count:     0
    .sgpr_spill_count: 0
    .symbol:         _ZN7rocprim17ROCPRIM_400000_NS6detail17trampoline_kernelINS0_13select_configILj256ELj13ELNS0_17block_load_methodE3ELS4_3ELS4_3ELNS0_20block_scan_algorithmE0ELj4294967295EEENS1_25partition_config_selectorILNS1_17partition_subalgoE4EjNS0_10empty_typeEbEEZZNS1_14partition_implILS8_4ELb0ES6_15HIP_vector_typeIjLj2EENS0_17counting_iteratorIjlEEPS9_SG_NS0_5tupleIJPjSI_NS0_16reverse_iteratorISI_EEEEENSH_IJSG_SG_SG_EEES9_SI_JZNS1_25segmented_radix_sort_implINS0_14default_configELb0EPKhPhPKlPlN2at6native12_GLOBAL__N_18offset_tEEE10hipError_tPvRmT1_PNSt15iterator_traitsIS12_E10value_typeET2_T3_PNS13_IS18_E10value_typeET4_jRbjT5_S1E_jjP12ihipStream_tbEUljE_ZNSN_ISO_Lb0ESQ_SR_ST_SU_SY_EESZ_S10_S11_S12_S16_S17_S18_S1B_S1C_jS1D_jS1E_S1E_jjS1G_bEUljE0_EEESZ_S10_S11_S18_S1C_S1E_T6_T7_T9_mT8_S1G_bDpT10_ENKUlT_T0_E_clISt17integral_constantIbLb1EES1U_EEDaS1P_S1Q_EUlS1P_E_NS1_11comp_targetILNS1_3genE10ELNS1_11target_archE1200ELNS1_3gpuE4ELNS1_3repE0EEENS1_30default_config_static_selectorELNS0_4arch9wavefront6targetE0EEEvS12_.kd
    .uniform_work_group_size: 1
    .uses_dynamic_stack: false
    .vgpr_count:     0
    .vgpr_spill_count: 0
    .wavefront_size: 32
    .workgroup_processor_mode: 1
  - .args:
      - .offset:         0
        .size:           184
        .value_kind:     by_value
    .group_segment_fixed_size: 0
    .kernarg_segment_align: 8
    .kernarg_segment_size: 184
    .language:       OpenCL C
    .language_version:
      - 2
      - 0
    .max_flat_workgroup_size: 256
    .name:           _ZN7rocprim17ROCPRIM_400000_NS6detail17trampoline_kernelINS0_13select_configILj256ELj13ELNS0_17block_load_methodE3ELS4_3ELS4_3ELNS0_20block_scan_algorithmE0ELj4294967295EEENS1_25partition_config_selectorILNS1_17partition_subalgoE4EjNS0_10empty_typeEbEEZZNS1_14partition_implILS8_4ELb0ES6_15HIP_vector_typeIjLj2EENS0_17counting_iteratorIjlEEPS9_SG_NS0_5tupleIJPjSI_NS0_16reverse_iteratorISI_EEEEENSH_IJSG_SG_SG_EEES9_SI_JZNS1_25segmented_radix_sort_implINS0_14default_configELb0EPKhPhPKlPlN2at6native12_GLOBAL__N_18offset_tEEE10hipError_tPvRmT1_PNSt15iterator_traitsIS12_E10value_typeET2_T3_PNS13_IS18_E10value_typeET4_jRbjT5_S1E_jjP12ihipStream_tbEUljE_ZNSN_ISO_Lb0ESQ_SR_ST_SU_SY_EESZ_S10_S11_S12_S16_S17_S18_S1B_S1C_jS1D_jS1E_S1E_jjS1G_bEUljE0_EEESZ_S10_S11_S18_S1C_S1E_T6_T7_T9_mT8_S1G_bDpT10_ENKUlT_T0_E_clISt17integral_constantIbLb1EES1U_EEDaS1P_S1Q_EUlS1P_E_NS1_11comp_targetILNS1_3genE9ELNS1_11target_archE1100ELNS1_3gpuE3ELNS1_3repE0EEENS1_30default_config_static_selectorELNS0_4arch9wavefront6targetE0EEEvS12_
    .private_segment_fixed_size: 0
    .sgpr_count:     0
    .sgpr_spill_count: 0
    .symbol:         _ZN7rocprim17ROCPRIM_400000_NS6detail17trampoline_kernelINS0_13select_configILj256ELj13ELNS0_17block_load_methodE3ELS4_3ELS4_3ELNS0_20block_scan_algorithmE0ELj4294967295EEENS1_25partition_config_selectorILNS1_17partition_subalgoE4EjNS0_10empty_typeEbEEZZNS1_14partition_implILS8_4ELb0ES6_15HIP_vector_typeIjLj2EENS0_17counting_iteratorIjlEEPS9_SG_NS0_5tupleIJPjSI_NS0_16reverse_iteratorISI_EEEEENSH_IJSG_SG_SG_EEES9_SI_JZNS1_25segmented_radix_sort_implINS0_14default_configELb0EPKhPhPKlPlN2at6native12_GLOBAL__N_18offset_tEEE10hipError_tPvRmT1_PNSt15iterator_traitsIS12_E10value_typeET2_T3_PNS13_IS18_E10value_typeET4_jRbjT5_S1E_jjP12ihipStream_tbEUljE_ZNSN_ISO_Lb0ESQ_SR_ST_SU_SY_EESZ_S10_S11_S12_S16_S17_S18_S1B_S1C_jS1D_jS1E_S1E_jjS1G_bEUljE0_EEESZ_S10_S11_S18_S1C_S1E_T6_T7_T9_mT8_S1G_bDpT10_ENKUlT_T0_E_clISt17integral_constantIbLb1EES1U_EEDaS1P_S1Q_EUlS1P_E_NS1_11comp_targetILNS1_3genE9ELNS1_11target_archE1100ELNS1_3gpuE3ELNS1_3repE0EEENS1_30default_config_static_selectorELNS0_4arch9wavefront6targetE0EEEvS12_.kd
    .uniform_work_group_size: 1
    .uses_dynamic_stack: false
    .vgpr_count:     0
    .vgpr_spill_count: 0
    .wavefront_size: 32
    .workgroup_processor_mode: 1
  - .args:
      - .offset:         0
        .size:           184
        .value_kind:     by_value
    .group_segment_fixed_size: 0
    .kernarg_segment_align: 8
    .kernarg_segment_size: 184
    .language:       OpenCL C
    .language_version:
      - 2
      - 0
    .max_flat_workgroup_size: 256
    .name:           _ZN7rocprim17ROCPRIM_400000_NS6detail17trampoline_kernelINS0_13select_configILj256ELj13ELNS0_17block_load_methodE3ELS4_3ELS4_3ELNS0_20block_scan_algorithmE0ELj4294967295EEENS1_25partition_config_selectorILNS1_17partition_subalgoE4EjNS0_10empty_typeEbEEZZNS1_14partition_implILS8_4ELb0ES6_15HIP_vector_typeIjLj2EENS0_17counting_iteratorIjlEEPS9_SG_NS0_5tupleIJPjSI_NS0_16reverse_iteratorISI_EEEEENSH_IJSG_SG_SG_EEES9_SI_JZNS1_25segmented_radix_sort_implINS0_14default_configELb0EPKhPhPKlPlN2at6native12_GLOBAL__N_18offset_tEEE10hipError_tPvRmT1_PNSt15iterator_traitsIS12_E10value_typeET2_T3_PNS13_IS18_E10value_typeET4_jRbjT5_S1E_jjP12ihipStream_tbEUljE_ZNSN_ISO_Lb0ESQ_SR_ST_SU_SY_EESZ_S10_S11_S12_S16_S17_S18_S1B_S1C_jS1D_jS1E_S1E_jjS1G_bEUljE0_EEESZ_S10_S11_S18_S1C_S1E_T6_T7_T9_mT8_S1G_bDpT10_ENKUlT_T0_E_clISt17integral_constantIbLb1EES1U_EEDaS1P_S1Q_EUlS1P_E_NS1_11comp_targetILNS1_3genE8ELNS1_11target_archE1030ELNS1_3gpuE2ELNS1_3repE0EEENS1_30default_config_static_selectorELNS0_4arch9wavefront6targetE0EEEvS12_
    .private_segment_fixed_size: 0
    .sgpr_count:     0
    .sgpr_spill_count: 0
    .symbol:         _ZN7rocprim17ROCPRIM_400000_NS6detail17trampoline_kernelINS0_13select_configILj256ELj13ELNS0_17block_load_methodE3ELS4_3ELS4_3ELNS0_20block_scan_algorithmE0ELj4294967295EEENS1_25partition_config_selectorILNS1_17partition_subalgoE4EjNS0_10empty_typeEbEEZZNS1_14partition_implILS8_4ELb0ES6_15HIP_vector_typeIjLj2EENS0_17counting_iteratorIjlEEPS9_SG_NS0_5tupleIJPjSI_NS0_16reverse_iteratorISI_EEEEENSH_IJSG_SG_SG_EEES9_SI_JZNS1_25segmented_radix_sort_implINS0_14default_configELb0EPKhPhPKlPlN2at6native12_GLOBAL__N_18offset_tEEE10hipError_tPvRmT1_PNSt15iterator_traitsIS12_E10value_typeET2_T3_PNS13_IS18_E10value_typeET4_jRbjT5_S1E_jjP12ihipStream_tbEUljE_ZNSN_ISO_Lb0ESQ_SR_ST_SU_SY_EESZ_S10_S11_S12_S16_S17_S18_S1B_S1C_jS1D_jS1E_S1E_jjS1G_bEUljE0_EEESZ_S10_S11_S18_S1C_S1E_T6_T7_T9_mT8_S1G_bDpT10_ENKUlT_T0_E_clISt17integral_constantIbLb1EES1U_EEDaS1P_S1Q_EUlS1P_E_NS1_11comp_targetILNS1_3genE8ELNS1_11target_archE1030ELNS1_3gpuE2ELNS1_3repE0EEENS1_30default_config_static_selectorELNS0_4arch9wavefront6targetE0EEEvS12_.kd
    .uniform_work_group_size: 1
    .uses_dynamic_stack: false
    .vgpr_count:     0
    .vgpr_spill_count: 0
    .wavefront_size: 32
    .workgroup_processor_mode: 1
  - .args:
      - .offset:         0
        .size:           176
        .value_kind:     by_value
    .group_segment_fixed_size: 0
    .kernarg_segment_align: 8
    .kernarg_segment_size: 176
    .language:       OpenCL C
    .language_version:
      - 2
      - 0
    .max_flat_workgroup_size: 256
    .name:           _ZN7rocprim17ROCPRIM_400000_NS6detail17trampoline_kernelINS0_13select_configILj256ELj13ELNS0_17block_load_methodE3ELS4_3ELS4_3ELNS0_20block_scan_algorithmE0ELj4294967295EEENS1_25partition_config_selectorILNS1_17partition_subalgoE4EjNS0_10empty_typeEbEEZZNS1_14partition_implILS8_4ELb0ES6_15HIP_vector_typeIjLj2EENS0_17counting_iteratorIjlEEPS9_SG_NS0_5tupleIJPjSI_NS0_16reverse_iteratorISI_EEEEENSH_IJSG_SG_SG_EEES9_SI_JZNS1_25segmented_radix_sort_implINS0_14default_configELb0EPKhPhPKlPlN2at6native12_GLOBAL__N_18offset_tEEE10hipError_tPvRmT1_PNSt15iterator_traitsIS12_E10value_typeET2_T3_PNS13_IS18_E10value_typeET4_jRbjT5_S1E_jjP12ihipStream_tbEUljE_ZNSN_ISO_Lb0ESQ_SR_ST_SU_SY_EESZ_S10_S11_S12_S16_S17_S18_S1B_S1C_jS1D_jS1E_S1E_jjS1G_bEUljE0_EEESZ_S10_S11_S18_S1C_S1E_T6_T7_T9_mT8_S1G_bDpT10_ENKUlT_T0_E_clISt17integral_constantIbLb1EES1T_IbLb0EEEEDaS1P_S1Q_EUlS1P_E_NS1_11comp_targetILNS1_3genE0ELNS1_11target_archE4294967295ELNS1_3gpuE0ELNS1_3repE0EEENS1_30default_config_static_selectorELNS0_4arch9wavefront6targetE0EEEvS12_
    .private_segment_fixed_size: 0
    .sgpr_count:     0
    .sgpr_spill_count: 0
    .symbol:         _ZN7rocprim17ROCPRIM_400000_NS6detail17trampoline_kernelINS0_13select_configILj256ELj13ELNS0_17block_load_methodE3ELS4_3ELS4_3ELNS0_20block_scan_algorithmE0ELj4294967295EEENS1_25partition_config_selectorILNS1_17partition_subalgoE4EjNS0_10empty_typeEbEEZZNS1_14partition_implILS8_4ELb0ES6_15HIP_vector_typeIjLj2EENS0_17counting_iteratorIjlEEPS9_SG_NS0_5tupleIJPjSI_NS0_16reverse_iteratorISI_EEEEENSH_IJSG_SG_SG_EEES9_SI_JZNS1_25segmented_radix_sort_implINS0_14default_configELb0EPKhPhPKlPlN2at6native12_GLOBAL__N_18offset_tEEE10hipError_tPvRmT1_PNSt15iterator_traitsIS12_E10value_typeET2_T3_PNS13_IS18_E10value_typeET4_jRbjT5_S1E_jjP12ihipStream_tbEUljE_ZNSN_ISO_Lb0ESQ_SR_ST_SU_SY_EESZ_S10_S11_S12_S16_S17_S18_S1B_S1C_jS1D_jS1E_S1E_jjS1G_bEUljE0_EEESZ_S10_S11_S18_S1C_S1E_T6_T7_T9_mT8_S1G_bDpT10_ENKUlT_T0_E_clISt17integral_constantIbLb1EES1T_IbLb0EEEEDaS1P_S1Q_EUlS1P_E_NS1_11comp_targetILNS1_3genE0ELNS1_11target_archE4294967295ELNS1_3gpuE0ELNS1_3repE0EEENS1_30default_config_static_selectorELNS0_4arch9wavefront6targetE0EEEvS12_.kd
    .uniform_work_group_size: 1
    .uses_dynamic_stack: false
    .vgpr_count:     0
    .vgpr_spill_count: 0
    .wavefront_size: 32
    .workgroup_processor_mode: 1
  - .args:
      - .offset:         0
        .size:           176
        .value_kind:     by_value
    .group_segment_fixed_size: 0
    .kernarg_segment_align: 8
    .kernarg_segment_size: 176
    .language:       OpenCL C
    .language_version:
      - 2
      - 0
    .max_flat_workgroup_size: 256
    .name:           _ZN7rocprim17ROCPRIM_400000_NS6detail17trampoline_kernelINS0_13select_configILj256ELj13ELNS0_17block_load_methodE3ELS4_3ELS4_3ELNS0_20block_scan_algorithmE0ELj4294967295EEENS1_25partition_config_selectorILNS1_17partition_subalgoE4EjNS0_10empty_typeEbEEZZNS1_14partition_implILS8_4ELb0ES6_15HIP_vector_typeIjLj2EENS0_17counting_iteratorIjlEEPS9_SG_NS0_5tupleIJPjSI_NS0_16reverse_iteratorISI_EEEEENSH_IJSG_SG_SG_EEES9_SI_JZNS1_25segmented_radix_sort_implINS0_14default_configELb0EPKhPhPKlPlN2at6native12_GLOBAL__N_18offset_tEEE10hipError_tPvRmT1_PNSt15iterator_traitsIS12_E10value_typeET2_T3_PNS13_IS18_E10value_typeET4_jRbjT5_S1E_jjP12ihipStream_tbEUljE_ZNSN_ISO_Lb0ESQ_SR_ST_SU_SY_EESZ_S10_S11_S12_S16_S17_S18_S1B_S1C_jS1D_jS1E_S1E_jjS1G_bEUljE0_EEESZ_S10_S11_S18_S1C_S1E_T6_T7_T9_mT8_S1G_bDpT10_ENKUlT_T0_E_clISt17integral_constantIbLb1EES1T_IbLb0EEEEDaS1P_S1Q_EUlS1P_E_NS1_11comp_targetILNS1_3genE5ELNS1_11target_archE942ELNS1_3gpuE9ELNS1_3repE0EEENS1_30default_config_static_selectorELNS0_4arch9wavefront6targetE0EEEvS12_
    .private_segment_fixed_size: 0
    .sgpr_count:     0
    .sgpr_spill_count: 0
    .symbol:         _ZN7rocprim17ROCPRIM_400000_NS6detail17trampoline_kernelINS0_13select_configILj256ELj13ELNS0_17block_load_methodE3ELS4_3ELS4_3ELNS0_20block_scan_algorithmE0ELj4294967295EEENS1_25partition_config_selectorILNS1_17partition_subalgoE4EjNS0_10empty_typeEbEEZZNS1_14partition_implILS8_4ELb0ES6_15HIP_vector_typeIjLj2EENS0_17counting_iteratorIjlEEPS9_SG_NS0_5tupleIJPjSI_NS0_16reverse_iteratorISI_EEEEENSH_IJSG_SG_SG_EEES9_SI_JZNS1_25segmented_radix_sort_implINS0_14default_configELb0EPKhPhPKlPlN2at6native12_GLOBAL__N_18offset_tEEE10hipError_tPvRmT1_PNSt15iterator_traitsIS12_E10value_typeET2_T3_PNS13_IS18_E10value_typeET4_jRbjT5_S1E_jjP12ihipStream_tbEUljE_ZNSN_ISO_Lb0ESQ_SR_ST_SU_SY_EESZ_S10_S11_S12_S16_S17_S18_S1B_S1C_jS1D_jS1E_S1E_jjS1G_bEUljE0_EEESZ_S10_S11_S18_S1C_S1E_T6_T7_T9_mT8_S1G_bDpT10_ENKUlT_T0_E_clISt17integral_constantIbLb1EES1T_IbLb0EEEEDaS1P_S1Q_EUlS1P_E_NS1_11comp_targetILNS1_3genE5ELNS1_11target_archE942ELNS1_3gpuE9ELNS1_3repE0EEENS1_30default_config_static_selectorELNS0_4arch9wavefront6targetE0EEEvS12_.kd
    .uniform_work_group_size: 1
    .uses_dynamic_stack: false
    .vgpr_count:     0
    .vgpr_spill_count: 0
    .wavefront_size: 32
    .workgroup_processor_mode: 1
  - .args:
      - .offset:         0
        .size:           176
        .value_kind:     by_value
    .group_segment_fixed_size: 0
    .kernarg_segment_align: 8
    .kernarg_segment_size: 176
    .language:       OpenCL C
    .language_version:
      - 2
      - 0
    .max_flat_workgroup_size: 256
    .name:           _ZN7rocprim17ROCPRIM_400000_NS6detail17trampoline_kernelINS0_13select_configILj256ELj13ELNS0_17block_load_methodE3ELS4_3ELS4_3ELNS0_20block_scan_algorithmE0ELj4294967295EEENS1_25partition_config_selectorILNS1_17partition_subalgoE4EjNS0_10empty_typeEbEEZZNS1_14partition_implILS8_4ELb0ES6_15HIP_vector_typeIjLj2EENS0_17counting_iteratorIjlEEPS9_SG_NS0_5tupleIJPjSI_NS0_16reverse_iteratorISI_EEEEENSH_IJSG_SG_SG_EEES9_SI_JZNS1_25segmented_radix_sort_implINS0_14default_configELb0EPKhPhPKlPlN2at6native12_GLOBAL__N_18offset_tEEE10hipError_tPvRmT1_PNSt15iterator_traitsIS12_E10value_typeET2_T3_PNS13_IS18_E10value_typeET4_jRbjT5_S1E_jjP12ihipStream_tbEUljE_ZNSN_ISO_Lb0ESQ_SR_ST_SU_SY_EESZ_S10_S11_S12_S16_S17_S18_S1B_S1C_jS1D_jS1E_S1E_jjS1G_bEUljE0_EEESZ_S10_S11_S18_S1C_S1E_T6_T7_T9_mT8_S1G_bDpT10_ENKUlT_T0_E_clISt17integral_constantIbLb1EES1T_IbLb0EEEEDaS1P_S1Q_EUlS1P_E_NS1_11comp_targetILNS1_3genE4ELNS1_11target_archE910ELNS1_3gpuE8ELNS1_3repE0EEENS1_30default_config_static_selectorELNS0_4arch9wavefront6targetE0EEEvS12_
    .private_segment_fixed_size: 0
    .sgpr_count:     0
    .sgpr_spill_count: 0
    .symbol:         _ZN7rocprim17ROCPRIM_400000_NS6detail17trampoline_kernelINS0_13select_configILj256ELj13ELNS0_17block_load_methodE3ELS4_3ELS4_3ELNS0_20block_scan_algorithmE0ELj4294967295EEENS1_25partition_config_selectorILNS1_17partition_subalgoE4EjNS0_10empty_typeEbEEZZNS1_14partition_implILS8_4ELb0ES6_15HIP_vector_typeIjLj2EENS0_17counting_iteratorIjlEEPS9_SG_NS0_5tupleIJPjSI_NS0_16reverse_iteratorISI_EEEEENSH_IJSG_SG_SG_EEES9_SI_JZNS1_25segmented_radix_sort_implINS0_14default_configELb0EPKhPhPKlPlN2at6native12_GLOBAL__N_18offset_tEEE10hipError_tPvRmT1_PNSt15iterator_traitsIS12_E10value_typeET2_T3_PNS13_IS18_E10value_typeET4_jRbjT5_S1E_jjP12ihipStream_tbEUljE_ZNSN_ISO_Lb0ESQ_SR_ST_SU_SY_EESZ_S10_S11_S12_S16_S17_S18_S1B_S1C_jS1D_jS1E_S1E_jjS1G_bEUljE0_EEESZ_S10_S11_S18_S1C_S1E_T6_T7_T9_mT8_S1G_bDpT10_ENKUlT_T0_E_clISt17integral_constantIbLb1EES1T_IbLb0EEEEDaS1P_S1Q_EUlS1P_E_NS1_11comp_targetILNS1_3genE4ELNS1_11target_archE910ELNS1_3gpuE8ELNS1_3repE0EEENS1_30default_config_static_selectorELNS0_4arch9wavefront6targetE0EEEvS12_.kd
    .uniform_work_group_size: 1
    .uses_dynamic_stack: false
    .vgpr_count:     0
    .vgpr_spill_count: 0
    .wavefront_size: 32
    .workgroup_processor_mode: 1
  - .args:
      - .offset:         0
        .size:           176
        .value_kind:     by_value
    .group_segment_fixed_size: 0
    .kernarg_segment_align: 8
    .kernarg_segment_size: 176
    .language:       OpenCL C
    .language_version:
      - 2
      - 0
    .max_flat_workgroup_size: 256
    .name:           _ZN7rocprim17ROCPRIM_400000_NS6detail17trampoline_kernelINS0_13select_configILj256ELj13ELNS0_17block_load_methodE3ELS4_3ELS4_3ELNS0_20block_scan_algorithmE0ELj4294967295EEENS1_25partition_config_selectorILNS1_17partition_subalgoE4EjNS0_10empty_typeEbEEZZNS1_14partition_implILS8_4ELb0ES6_15HIP_vector_typeIjLj2EENS0_17counting_iteratorIjlEEPS9_SG_NS0_5tupleIJPjSI_NS0_16reverse_iteratorISI_EEEEENSH_IJSG_SG_SG_EEES9_SI_JZNS1_25segmented_radix_sort_implINS0_14default_configELb0EPKhPhPKlPlN2at6native12_GLOBAL__N_18offset_tEEE10hipError_tPvRmT1_PNSt15iterator_traitsIS12_E10value_typeET2_T3_PNS13_IS18_E10value_typeET4_jRbjT5_S1E_jjP12ihipStream_tbEUljE_ZNSN_ISO_Lb0ESQ_SR_ST_SU_SY_EESZ_S10_S11_S12_S16_S17_S18_S1B_S1C_jS1D_jS1E_S1E_jjS1G_bEUljE0_EEESZ_S10_S11_S18_S1C_S1E_T6_T7_T9_mT8_S1G_bDpT10_ENKUlT_T0_E_clISt17integral_constantIbLb1EES1T_IbLb0EEEEDaS1P_S1Q_EUlS1P_E_NS1_11comp_targetILNS1_3genE3ELNS1_11target_archE908ELNS1_3gpuE7ELNS1_3repE0EEENS1_30default_config_static_selectorELNS0_4arch9wavefront6targetE0EEEvS12_
    .private_segment_fixed_size: 0
    .sgpr_count:     0
    .sgpr_spill_count: 0
    .symbol:         _ZN7rocprim17ROCPRIM_400000_NS6detail17trampoline_kernelINS0_13select_configILj256ELj13ELNS0_17block_load_methodE3ELS4_3ELS4_3ELNS0_20block_scan_algorithmE0ELj4294967295EEENS1_25partition_config_selectorILNS1_17partition_subalgoE4EjNS0_10empty_typeEbEEZZNS1_14partition_implILS8_4ELb0ES6_15HIP_vector_typeIjLj2EENS0_17counting_iteratorIjlEEPS9_SG_NS0_5tupleIJPjSI_NS0_16reverse_iteratorISI_EEEEENSH_IJSG_SG_SG_EEES9_SI_JZNS1_25segmented_radix_sort_implINS0_14default_configELb0EPKhPhPKlPlN2at6native12_GLOBAL__N_18offset_tEEE10hipError_tPvRmT1_PNSt15iterator_traitsIS12_E10value_typeET2_T3_PNS13_IS18_E10value_typeET4_jRbjT5_S1E_jjP12ihipStream_tbEUljE_ZNSN_ISO_Lb0ESQ_SR_ST_SU_SY_EESZ_S10_S11_S12_S16_S17_S18_S1B_S1C_jS1D_jS1E_S1E_jjS1G_bEUljE0_EEESZ_S10_S11_S18_S1C_S1E_T6_T7_T9_mT8_S1G_bDpT10_ENKUlT_T0_E_clISt17integral_constantIbLb1EES1T_IbLb0EEEEDaS1P_S1Q_EUlS1P_E_NS1_11comp_targetILNS1_3genE3ELNS1_11target_archE908ELNS1_3gpuE7ELNS1_3repE0EEENS1_30default_config_static_selectorELNS0_4arch9wavefront6targetE0EEEvS12_.kd
    .uniform_work_group_size: 1
    .uses_dynamic_stack: false
    .vgpr_count:     0
    .vgpr_spill_count: 0
    .wavefront_size: 32
    .workgroup_processor_mode: 1
  - .args:
      - .offset:         0
        .size:           176
        .value_kind:     by_value
    .group_segment_fixed_size: 0
    .kernarg_segment_align: 8
    .kernarg_segment_size: 176
    .language:       OpenCL C
    .language_version:
      - 2
      - 0
    .max_flat_workgroup_size: 256
    .name:           _ZN7rocprim17ROCPRIM_400000_NS6detail17trampoline_kernelINS0_13select_configILj256ELj13ELNS0_17block_load_methodE3ELS4_3ELS4_3ELNS0_20block_scan_algorithmE0ELj4294967295EEENS1_25partition_config_selectorILNS1_17partition_subalgoE4EjNS0_10empty_typeEbEEZZNS1_14partition_implILS8_4ELb0ES6_15HIP_vector_typeIjLj2EENS0_17counting_iteratorIjlEEPS9_SG_NS0_5tupleIJPjSI_NS0_16reverse_iteratorISI_EEEEENSH_IJSG_SG_SG_EEES9_SI_JZNS1_25segmented_radix_sort_implINS0_14default_configELb0EPKhPhPKlPlN2at6native12_GLOBAL__N_18offset_tEEE10hipError_tPvRmT1_PNSt15iterator_traitsIS12_E10value_typeET2_T3_PNS13_IS18_E10value_typeET4_jRbjT5_S1E_jjP12ihipStream_tbEUljE_ZNSN_ISO_Lb0ESQ_SR_ST_SU_SY_EESZ_S10_S11_S12_S16_S17_S18_S1B_S1C_jS1D_jS1E_S1E_jjS1G_bEUljE0_EEESZ_S10_S11_S18_S1C_S1E_T6_T7_T9_mT8_S1G_bDpT10_ENKUlT_T0_E_clISt17integral_constantIbLb1EES1T_IbLb0EEEEDaS1P_S1Q_EUlS1P_E_NS1_11comp_targetILNS1_3genE2ELNS1_11target_archE906ELNS1_3gpuE6ELNS1_3repE0EEENS1_30default_config_static_selectorELNS0_4arch9wavefront6targetE0EEEvS12_
    .private_segment_fixed_size: 0
    .sgpr_count:     0
    .sgpr_spill_count: 0
    .symbol:         _ZN7rocprim17ROCPRIM_400000_NS6detail17trampoline_kernelINS0_13select_configILj256ELj13ELNS0_17block_load_methodE3ELS4_3ELS4_3ELNS0_20block_scan_algorithmE0ELj4294967295EEENS1_25partition_config_selectorILNS1_17partition_subalgoE4EjNS0_10empty_typeEbEEZZNS1_14partition_implILS8_4ELb0ES6_15HIP_vector_typeIjLj2EENS0_17counting_iteratorIjlEEPS9_SG_NS0_5tupleIJPjSI_NS0_16reverse_iteratorISI_EEEEENSH_IJSG_SG_SG_EEES9_SI_JZNS1_25segmented_radix_sort_implINS0_14default_configELb0EPKhPhPKlPlN2at6native12_GLOBAL__N_18offset_tEEE10hipError_tPvRmT1_PNSt15iterator_traitsIS12_E10value_typeET2_T3_PNS13_IS18_E10value_typeET4_jRbjT5_S1E_jjP12ihipStream_tbEUljE_ZNSN_ISO_Lb0ESQ_SR_ST_SU_SY_EESZ_S10_S11_S12_S16_S17_S18_S1B_S1C_jS1D_jS1E_S1E_jjS1G_bEUljE0_EEESZ_S10_S11_S18_S1C_S1E_T6_T7_T9_mT8_S1G_bDpT10_ENKUlT_T0_E_clISt17integral_constantIbLb1EES1T_IbLb0EEEEDaS1P_S1Q_EUlS1P_E_NS1_11comp_targetILNS1_3genE2ELNS1_11target_archE906ELNS1_3gpuE6ELNS1_3repE0EEENS1_30default_config_static_selectorELNS0_4arch9wavefront6targetE0EEEvS12_.kd
    .uniform_work_group_size: 1
    .uses_dynamic_stack: false
    .vgpr_count:     0
    .vgpr_spill_count: 0
    .wavefront_size: 32
    .workgroup_processor_mode: 1
  - .args:
      - .offset:         0
        .size:           176
        .value_kind:     by_value
    .group_segment_fixed_size: 0
    .kernarg_segment_align: 8
    .kernarg_segment_size: 176
    .language:       OpenCL C
    .language_version:
      - 2
      - 0
    .max_flat_workgroup_size: 256
    .name:           _ZN7rocprim17ROCPRIM_400000_NS6detail17trampoline_kernelINS0_13select_configILj256ELj13ELNS0_17block_load_methodE3ELS4_3ELS4_3ELNS0_20block_scan_algorithmE0ELj4294967295EEENS1_25partition_config_selectorILNS1_17partition_subalgoE4EjNS0_10empty_typeEbEEZZNS1_14partition_implILS8_4ELb0ES6_15HIP_vector_typeIjLj2EENS0_17counting_iteratorIjlEEPS9_SG_NS0_5tupleIJPjSI_NS0_16reverse_iteratorISI_EEEEENSH_IJSG_SG_SG_EEES9_SI_JZNS1_25segmented_radix_sort_implINS0_14default_configELb0EPKhPhPKlPlN2at6native12_GLOBAL__N_18offset_tEEE10hipError_tPvRmT1_PNSt15iterator_traitsIS12_E10value_typeET2_T3_PNS13_IS18_E10value_typeET4_jRbjT5_S1E_jjP12ihipStream_tbEUljE_ZNSN_ISO_Lb0ESQ_SR_ST_SU_SY_EESZ_S10_S11_S12_S16_S17_S18_S1B_S1C_jS1D_jS1E_S1E_jjS1G_bEUljE0_EEESZ_S10_S11_S18_S1C_S1E_T6_T7_T9_mT8_S1G_bDpT10_ENKUlT_T0_E_clISt17integral_constantIbLb1EES1T_IbLb0EEEEDaS1P_S1Q_EUlS1P_E_NS1_11comp_targetILNS1_3genE10ELNS1_11target_archE1200ELNS1_3gpuE4ELNS1_3repE0EEENS1_30default_config_static_selectorELNS0_4arch9wavefront6targetE0EEEvS12_
    .private_segment_fixed_size: 0
    .sgpr_count:     0
    .sgpr_spill_count: 0
    .symbol:         _ZN7rocprim17ROCPRIM_400000_NS6detail17trampoline_kernelINS0_13select_configILj256ELj13ELNS0_17block_load_methodE3ELS4_3ELS4_3ELNS0_20block_scan_algorithmE0ELj4294967295EEENS1_25partition_config_selectorILNS1_17partition_subalgoE4EjNS0_10empty_typeEbEEZZNS1_14partition_implILS8_4ELb0ES6_15HIP_vector_typeIjLj2EENS0_17counting_iteratorIjlEEPS9_SG_NS0_5tupleIJPjSI_NS0_16reverse_iteratorISI_EEEEENSH_IJSG_SG_SG_EEES9_SI_JZNS1_25segmented_radix_sort_implINS0_14default_configELb0EPKhPhPKlPlN2at6native12_GLOBAL__N_18offset_tEEE10hipError_tPvRmT1_PNSt15iterator_traitsIS12_E10value_typeET2_T3_PNS13_IS18_E10value_typeET4_jRbjT5_S1E_jjP12ihipStream_tbEUljE_ZNSN_ISO_Lb0ESQ_SR_ST_SU_SY_EESZ_S10_S11_S12_S16_S17_S18_S1B_S1C_jS1D_jS1E_S1E_jjS1G_bEUljE0_EEESZ_S10_S11_S18_S1C_S1E_T6_T7_T9_mT8_S1G_bDpT10_ENKUlT_T0_E_clISt17integral_constantIbLb1EES1T_IbLb0EEEEDaS1P_S1Q_EUlS1P_E_NS1_11comp_targetILNS1_3genE10ELNS1_11target_archE1200ELNS1_3gpuE4ELNS1_3repE0EEENS1_30default_config_static_selectorELNS0_4arch9wavefront6targetE0EEEvS12_.kd
    .uniform_work_group_size: 1
    .uses_dynamic_stack: false
    .vgpr_count:     0
    .vgpr_spill_count: 0
    .wavefront_size: 32
    .workgroup_processor_mode: 1
  - .args:
      - .offset:         0
        .size:           176
        .value_kind:     by_value
    .group_segment_fixed_size: 0
    .kernarg_segment_align: 8
    .kernarg_segment_size: 176
    .language:       OpenCL C
    .language_version:
      - 2
      - 0
    .max_flat_workgroup_size: 256
    .name:           _ZN7rocprim17ROCPRIM_400000_NS6detail17trampoline_kernelINS0_13select_configILj256ELj13ELNS0_17block_load_methodE3ELS4_3ELS4_3ELNS0_20block_scan_algorithmE0ELj4294967295EEENS1_25partition_config_selectorILNS1_17partition_subalgoE4EjNS0_10empty_typeEbEEZZNS1_14partition_implILS8_4ELb0ES6_15HIP_vector_typeIjLj2EENS0_17counting_iteratorIjlEEPS9_SG_NS0_5tupleIJPjSI_NS0_16reverse_iteratorISI_EEEEENSH_IJSG_SG_SG_EEES9_SI_JZNS1_25segmented_radix_sort_implINS0_14default_configELb0EPKhPhPKlPlN2at6native12_GLOBAL__N_18offset_tEEE10hipError_tPvRmT1_PNSt15iterator_traitsIS12_E10value_typeET2_T3_PNS13_IS18_E10value_typeET4_jRbjT5_S1E_jjP12ihipStream_tbEUljE_ZNSN_ISO_Lb0ESQ_SR_ST_SU_SY_EESZ_S10_S11_S12_S16_S17_S18_S1B_S1C_jS1D_jS1E_S1E_jjS1G_bEUljE0_EEESZ_S10_S11_S18_S1C_S1E_T6_T7_T9_mT8_S1G_bDpT10_ENKUlT_T0_E_clISt17integral_constantIbLb1EES1T_IbLb0EEEEDaS1P_S1Q_EUlS1P_E_NS1_11comp_targetILNS1_3genE9ELNS1_11target_archE1100ELNS1_3gpuE3ELNS1_3repE0EEENS1_30default_config_static_selectorELNS0_4arch9wavefront6targetE0EEEvS12_
    .private_segment_fixed_size: 0
    .sgpr_count:     0
    .sgpr_spill_count: 0
    .symbol:         _ZN7rocprim17ROCPRIM_400000_NS6detail17trampoline_kernelINS0_13select_configILj256ELj13ELNS0_17block_load_methodE3ELS4_3ELS4_3ELNS0_20block_scan_algorithmE0ELj4294967295EEENS1_25partition_config_selectorILNS1_17partition_subalgoE4EjNS0_10empty_typeEbEEZZNS1_14partition_implILS8_4ELb0ES6_15HIP_vector_typeIjLj2EENS0_17counting_iteratorIjlEEPS9_SG_NS0_5tupleIJPjSI_NS0_16reverse_iteratorISI_EEEEENSH_IJSG_SG_SG_EEES9_SI_JZNS1_25segmented_radix_sort_implINS0_14default_configELb0EPKhPhPKlPlN2at6native12_GLOBAL__N_18offset_tEEE10hipError_tPvRmT1_PNSt15iterator_traitsIS12_E10value_typeET2_T3_PNS13_IS18_E10value_typeET4_jRbjT5_S1E_jjP12ihipStream_tbEUljE_ZNSN_ISO_Lb0ESQ_SR_ST_SU_SY_EESZ_S10_S11_S12_S16_S17_S18_S1B_S1C_jS1D_jS1E_S1E_jjS1G_bEUljE0_EEESZ_S10_S11_S18_S1C_S1E_T6_T7_T9_mT8_S1G_bDpT10_ENKUlT_T0_E_clISt17integral_constantIbLb1EES1T_IbLb0EEEEDaS1P_S1Q_EUlS1P_E_NS1_11comp_targetILNS1_3genE9ELNS1_11target_archE1100ELNS1_3gpuE3ELNS1_3repE0EEENS1_30default_config_static_selectorELNS0_4arch9wavefront6targetE0EEEvS12_.kd
    .uniform_work_group_size: 1
    .uses_dynamic_stack: false
    .vgpr_count:     0
    .vgpr_spill_count: 0
    .wavefront_size: 32
    .workgroup_processor_mode: 1
  - .args:
      - .offset:         0
        .size:           176
        .value_kind:     by_value
    .group_segment_fixed_size: 0
    .kernarg_segment_align: 8
    .kernarg_segment_size: 176
    .language:       OpenCL C
    .language_version:
      - 2
      - 0
    .max_flat_workgroup_size: 256
    .name:           _ZN7rocprim17ROCPRIM_400000_NS6detail17trampoline_kernelINS0_13select_configILj256ELj13ELNS0_17block_load_methodE3ELS4_3ELS4_3ELNS0_20block_scan_algorithmE0ELj4294967295EEENS1_25partition_config_selectorILNS1_17partition_subalgoE4EjNS0_10empty_typeEbEEZZNS1_14partition_implILS8_4ELb0ES6_15HIP_vector_typeIjLj2EENS0_17counting_iteratorIjlEEPS9_SG_NS0_5tupleIJPjSI_NS0_16reverse_iteratorISI_EEEEENSH_IJSG_SG_SG_EEES9_SI_JZNS1_25segmented_radix_sort_implINS0_14default_configELb0EPKhPhPKlPlN2at6native12_GLOBAL__N_18offset_tEEE10hipError_tPvRmT1_PNSt15iterator_traitsIS12_E10value_typeET2_T3_PNS13_IS18_E10value_typeET4_jRbjT5_S1E_jjP12ihipStream_tbEUljE_ZNSN_ISO_Lb0ESQ_SR_ST_SU_SY_EESZ_S10_S11_S12_S16_S17_S18_S1B_S1C_jS1D_jS1E_S1E_jjS1G_bEUljE0_EEESZ_S10_S11_S18_S1C_S1E_T6_T7_T9_mT8_S1G_bDpT10_ENKUlT_T0_E_clISt17integral_constantIbLb1EES1T_IbLb0EEEEDaS1P_S1Q_EUlS1P_E_NS1_11comp_targetILNS1_3genE8ELNS1_11target_archE1030ELNS1_3gpuE2ELNS1_3repE0EEENS1_30default_config_static_selectorELNS0_4arch9wavefront6targetE0EEEvS12_
    .private_segment_fixed_size: 0
    .sgpr_count:     0
    .sgpr_spill_count: 0
    .symbol:         _ZN7rocprim17ROCPRIM_400000_NS6detail17trampoline_kernelINS0_13select_configILj256ELj13ELNS0_17block_load_methodE3ELS4_3ELS4_3ELNS0_20block_scan_algorithmE0ELj4294967295EEENS1_25partition_config_selectorILNS1_17partition_subalgoE4EjNS0_10empty_typeEbEEZZNS1_14partition_implILS8_4ELb0ES6_15HIP_vector_typeIjLj2EENS0_17counting_iteratorIjlEEPS9_SG_NS0_5tupleIJPjSI_NS0_16reverse_iteratorISI_EEEEENSH_IJSG_SG_SG_EEES9_SI_JZNS1_25segmented_radix_sort_implINS0_14default_configELb0EPKhPhPKlPlN2at6native12_GLOBAL__N_18offset_tEEE10hipError_tPvRmT1_PNSt15iterator_traitsIS12_E10value_typeET2_T3_PNS13_IS18_E10value_typeET4_jRbjT5_S1E_jjP12ihipStream_tbEUljE_ZNSN_ISO_Lb0ESQ_SR_ST_SU_SY_EESZ_S10_S11_S12_S16_S17_S18_S1B_S1C_jS1D_jS1E_S1E_jjS1G_bEUljE0_EEESZ_S10_S11_S18_S1C_S1E_T6_T7_T9_mT8_S1G_bDpT10_ENKUlT_T0_E_clISt17integral_constantIbLb1EES1T_IbLb0EEEEDaS1P_S1Q_EUlS1P_E_NS1_11comp_targetILNS1_3genE8ELNS1_11target_archE1030ELNS1_3gpuE2ELNS1_3repE0EEENS1_30default_config_static_selectorELNS0_4arch9wavefront6targetE0EEEvS12_.kd
    .uniform_work_group_size: 1
    .uses_dynamic_stack: false
    .vgpr_count:     0
    .vgpr_spill_count: 0
    .wavefront_size: 32
    .workgroup_processor_mode: 1
  - .args:
      - .offset:         0
        .size:           184
        .value_kind:     by_value
    .group_segment_fixed_size: 0
    .kernarg_segment_align: 8
    .kernarg_segment_size: 184
    .language:       OpenCL C
    .language_version:
      - 2
      - 0
    .max_flat_workgroup_size: 256
    .name:           _ZN7rocprim17ROCPRIM_400000_NS6detail17trampoline_kernelINS0_13select_configILj256ELj13ELNS0_17block_load_methodE3ELS4_3ELS4_3ELNS0_20block_scan_algorithmE0ELj4294967295EEENS1_25partition_config_selectorILNS1_17partition_subalgoE4EjNS0_10empty_typeEbEEZZNS1_14partition_implILS8_4ELb0ES6_15HIP_vector_typeIjLj2EENS0_17counting_iteratorIjlEEPS9_SG_NS0_5tupleIJPjSI_NS0_16reverse_iteratorISI_EEEEENSH_IJSG_SG_SG_EEES9_SI_JZNS1_25segmented_radix_sort_implINS0_14default_configELb0EPKhPhPKlPlN2at6native12_GLOBAL__N_18offset_tEEE10hipError_tPvRmT1_PNSt15iterator_traitsIS12_E10value_typeET2_T3_PNS13_IS18_E10value_typeET4_jRbjT5_S1E_jjP12ihipStream_tbEUljE_ZNSN_ISO_Lb0ESQ_SR_ST_SU_SY_EESZ_S10_S11_S12_S16_S17_S18_S1B_S1C_jS1D_jS1E_S1E_jjS1G_bEUljE0_EEESZ_S10_S11_S18_S1C_S1E_T6_T7_T9_mT8_S1G_bDpT10_ENKUlT_T0_E_clISt17integral_constantIbLb0EES1T_IbLb1EEEEDaS1P_S1Q_EUlS1P_E_NS1_11comp_targetILNS1_3genE0ELNS1_11target_archE4294967295ELNS1_3gpuE0ELNS1_3repE0EEENS1_30default_config_static_selectorELNS0_4arch9wavefront6targetE0EEEvS12_
    .private_segment_fixed_size: 0
    .sgpr_count:     0
    .sgpr_spill_count: 0
    .symbol:         _ZN7rocprim17ROCPRIM_400000_NS6detail17trampoline_kernelINS0_13select_configILj256ELj13ELNS0_17block_load_methodE3ELS4_3ELS4_3ELNS0_20block_scan_algorithmE0ELj4294967295EEENS1_25partition_config_selectorILNS1_17partition_subalgoE4EjNS0_10empty_typeEbEEZZNS1_14partition_implILS8_4ELb0ES6_15HIP_vector_typeIjLj2EENS0_17counting_iteratorIjlEEPS9_SG_NS0_5tupleIJPjSI_NS0_16reverse_iteratorISI_EEEEENSH_IJSG_SG_SG_EEES9_SI_JZNS1_25segmented_radix_sort_implINS0_14default_configELb0EPKhPhPKlPlN2at6native12_GLOBAL__N_18offset_tEEE10hipError_tPvRmT1_PNSt15iterator_traitsIS12_E10value_typeET2_T3_PNS13_IS18_E10value_typeET4_jRbjT5_S1E_jjP12ihipStream_tbEUljE_ZNSN_ISO_Lb0ESQ_SR_ST_SU_SY_EESZ_S10_S11_S12_S16_S17_S18_S1B_S1C_jS1D_jS1E_S1E_jjS1G_bEUljE0_EEESZ_S10_S11_S18_S1C_S1E_T6_T7_T9_mT8_S1G_bDpT10_ENKUlT_T0_E_clISt17integral_constantIbLb0EES1T_IbLb1EEEEDaS1P_S1Q_EUlS1P_E_NS1_11comp_targetILNS1_3genE0ELNS1_11target_archE4294967295ELNS1_3gpuE0ELNS1_3repE0EEENS1_30default_config_static_selectorELNS0_4arch9wavefront6targetE0EEEvS12_.kd
    .uniform_work_group_size: 1
    .uses_dynamic_stack: false
    .vgpr_count:     0
    .vgpr_spill_count: 0
    .wavefront_size: 32
    .workgroup_processor_mode: 1
  - .args:
      - .offset:         0
        .size:           184
        .value_kind:     by_value
    .group_segment_fixed_size: 0
    .kernarg_segment_align: 8
    .kernarg_segment_size: 184
    .language:       OpenCL C
    .language_version:
      - 2
      - 0
    .max_flat_workgroup_size: 256
    .name:           _ZN7rocprim17ROCPRIM_400000_NS6detail17trampoline_kernelINS0_13select_configILj256ELj13ELNS0_17block_load_methodE3ELS4_3ELS4_3ELNS0_20block_scan_algorithmE0ELj4294967295EEENS1_25partition_config_selectorILNS1_17partition_subalgoE4EjNS0_10empty_typeEbEEZZNS1_14partition_implILS8_4ELb0ES6_15HIP_vector_typeIjLj2EENS0_17counting_iteratorIjlEEPS9_SG_NS0_5tupleIJPjSI_NS0_16reverse_iteratorISI_EEEEENSH_IJSG_SG_SG_EEES9_SI_JZNS1_25segmented_radix_sort_implINS0_14default_configELb0EPKhPhPKlPlN2at6native12_GLOBAL__N_18offset_tEEE10hipError_tPvRmT1_PNSt15iterator_traitsIS12_E10value_typeET2_T3_PNS13_IS18_E10value_typeET4_jRbjT5_S1E_jjP12ihipStream_tbEUljE_ZNSN_ISO_Lb0ESQ_SR_ST_SU_SY_EESZ_S10_S11_S12_S16_S17_S18_S1B_S1C_jS1D_jS1E_S1E_jjS1G_bEUljE0_EEESZ_S10_S11_S18_S1C_S1E_T6_T7_T9_mT8_S1G_bDpT10_ENKUlT_T0_E_clISt17integral_constantIbLb0EES1T_IbLb1EEEEDaS1P_S1Q_EUlS1P_E_NS1_11comp_targetILNS1_3genE5ELNS1_11target_archE942ELNS1_3gpuE9ELNS1_3repE0EEENS1_30default_config_static_selectorELNS0_4arch9wavefront6targetE0EEEvS12_
    .private_segment_fixed_size: 0
    .sgpr_count:     0
    .sgpr_spill_count: 0
    .symbol:         _ZN7rocprim17ROCPRIM_400000_NS6detail17trampoline_kernelINS0_13select_configILj256ELj13ELNS0_17block_load_methodE3ELS4_3ELS4_3ELNS0_20block_scan_algorithmE0ELj4294967295EEENS1_25partition_config_selectorILNS1_17partition_subalgoE4EjNS0_10empty_typeEbEEZZNS1_14partition_implILS8_4ELb0ES6_15HIP_vector_typeIjLj2EENS0_17counting_iteratorIjlEEPS9_SG_NS0_5tupleIJPjSI_NS0_16reverse_iteratorISI_EEEEENSH_IJSG_SG_SG_EEES9_SI_JZNS1_25segmented_radix_sort_implINS0_14default_configELb0EPKhPhPKlPlN2at6native12_GLOBAL__N_18offset_tEEE10hipError_tPvRmT1_PNSt15iterator_traitsIS12_E10value_typeET2_T3_PNS13_IS18_E10value_typeET4_jRbjT5_S1E_jjP12ihipStream_tbEUljE_ZNSN_ISO_Lb0ESQ_SR_ST_SU_SY_EESZ_S10_S11_S12_S16_S17_S18_S1B_S1C_jS1D_jS1E_S1E_jjS1G_bEUljE0_EEESZ_S10_S11_S18_S1C_S1E_T6_T7_T9_mT8_S1G_bDpT10_ENKUlT_T0_E_clISt17integral_constantIbLb0EES1T_IbLb1EEEEDaS1P_S1Q_EUlS1P_E_NS1_11comp_targetILNS1_3genE5ELNS1_11target_archE942ELNS1_3gpuE9ELNS1_3repE0EEENS1_30default_config_static_selectorELNS0_4arch9wavefront6targetE0EEEvS12_.kd
    .uniform_work_group_size: 1
    .uses_dynamic_stack: false
    .vgpr_count:     0
    .vgpr_spill_count: 0
    .wavefront_size: 32
    .workgroup_processor_mode: 1
  - .args:
      - .offset:         0
        .size:           184
        .value_kind:     by_value
    .group_segment_fixed_size: 0
    .kernarg_segment_align: 8
    .kernarg_segment_size: 184
    .language:       OpenCL C
    .language_version:
      - 2
      - 0
    .max_flat_workgroup_size: 256
    .name:           _ZN7rocprim17ROCPRIM_400000_NS6detail17trampoline_kernelINS0_13select_configILj256ELj13ELNS0_17block_load_methodE3ELS4_3ELS4_3ELNS0_20block_scan_algorithmE0ELj4294967295EEENS1_25partition_config_selectorILNS1_17partition_subalgoE4EjNS0_10empty_typeEbEEZZNS1_14partition_implILS8_4ELb0ES6_15HIP_vector_typeIjLj2EENS0_17counting_iteratorIjlEEPS9_SG_NS0_5tupleIJPjSI_NS0_16reverse_iteratorISI_EEEEENSH_IJSG_SG_SG_EEES9_SI_JZNS1_25segmented_radix_sort_implINS0_14default_configELb0EPKhPhPKlPlN2at6native12_GLOBAL__N_18offset_tEEE10hipError_tPvRmT1_PNSt15iterator_traitsIS12_E10value_typeET2_T3_PNS13_IS18_E10value_typeET4_jRbjT5_S1E_jjP12ihipStream_tbEUljE_ZNSN_ISO_Lb0ESQ_SR_ST_SU_SY_EESZ_S10_S11_S12_S16_S17_S18_S1B_S1C_jS1D_jS1E_S1E_jjS1G_bEUljE0_EEESZ_S10_S11_S18_S1C_S1E_T6_T7_T9_mT8_S1G_bDpT10_ENKUlT_T0_E_clISt17integral_constantIbLb0EES1T_IbLb1EEEEDaS1P_S1Q_EUlS1P_E_NS1_11comp_targetILNS1_3genE4ELNS1_11target_archE910ELNS1_3gpuE8ELNS1_3repE0EEENS1_30default_config_static_selectorELNS0_4arch9wavefront6targetE0EEEvS12_
    .private_segment_fixed_size: 0
    .sgpr_count:     0
    .sgpr_spill_count: 0
    .symbol:         _ZN7rocprim17ROCPRIM_400000_NS6detail17trampoline_kernelINS0_13select_configILj256ELj13ELNS0_17block_load_methodE3ELS4_3ELS4_3ELNS0_20block_scan_algorithmE0ELj4294967295EEENS1_25partition_config_selectorILNS1_17partition_subalgoE4EjNS0_10empty_typeEbEEZZNS1_14partition_implILS8_4ELb0ES6_15HIP_vector_typeIjLj2EENS0_17counting_iteratorIjlEEPS9_SG_NS0_5tupleIJPjSI_NS0_16reverse_iteratorISI_EEEEENSH_IJSG_SG_SG_EEES9_SI_JZNS1_25segmented_radix_sort_implINS0_14default_configELb0EPKhPhPKlPlN2at6native12_GLOBAL__N_18offset_tEEE10hipError_tPvRmT1_PNSt15iterator_traitsIS12_E10value_typeET2_T3_PNS13_IS18_E10value_typeET4_jRbjT5_S1E_jjP12ihipStream_tbEUljE_ZNSN_ISO_Lb0ESQ_SR_ST_SU_SY_EESZ_S10_S11_S12_S16_S17_S18_S1B_S1C_jS1D_jS1E_S1E_jjS1G_bEUljE0_EEESZ_S10_S11_S18_S1C_S1E_T6_T7_T9_mT8_S1G_bDpT10_ENKUlT_T0_E_clISt17integral_constantIbLb0EES1T_IbLb1EEEEDaS1P_S1Q_EUlS1P_E_NS1_11comp_targetILNS1_3genE4ELNS1_11target_archE910ELNS1_3gpuE8ELNS1_3repE0EEENS1_30default_config_static_selectorELNS0_4arch9wavefront6targetE0EEEvS12_.kd
    .uniform_work_group_size: 1
    .uses_dynamic_stack: false
    .vgpr_count:     0
    .vgpr_spill_count: 0
    .wavefront_size: 32
    .workgroup_processor_mode: 1
  - .args:
      - .offset:         0
        .size:           184
        .value_kind:     by_value
    .group_segment_fixed_size: 0
    .kernarg_segment_align: 8
    .kernarg_segment_size: 184
    .language:       OpenCL C
    .language_version:
      - 2
      - 0
    .max_flat_workgroup_size: 256
    .name:           _ZN7rocprim17ROCPRIM_400000_NS6detail17trampoline_kernelINS0_13select_configILj256ELj13ELNS0_17block_load_methodE3ELS4_3ELS4_3ELNS0_20block_scan_algorithmE0ELj4294967295EEENS1_25partition_config_selectorILNS1_17partition_subalgoE4EjNS0_10empty_typeEbEEZZNS1_14partition_implILS8_4ELb0ES6_15HIP_vector_typeIjLj2EENS0_17counting_iteratorIjlEEPS9_SG_NS0_5tupleIJPjSI_NS0_16reverse_iteratorISI_EEEEENSH_IJSG_SG_SG_EEES9_SI_JZNS1_25segmented_radix_sort_implINS0_14default_configELb0EPKhPhPKlPlN2at6native12_GLOBAL__N_18offset_tEEE10hipError_tPvRmT1_PNSt15iterator_traitsIS12_E10value_typeET2_T3_PNS13_IS18_E10value_typeET4_jRbjT5_S1E_jjP12ihipStream_tbEUljE_ZNSN_ISO_Lb0ESQ_SR_ST_SU_SY_EESZ_S10_S11_S12_S16_S17_S18_S1B_S1C_jS1D_jS1E_S1E_jjS1G_bEUljE0_EEESZ_S10_S11_S18_S1C_S1E_T6_T7_T9_mT8_S1G_bDpT10_ENKUlT_T0_E_clISt17integral_constantIbLb0EES1T_IbLb1EEEEDaS1P_S1Q_EUlS1P_E_NS1_11comp_targetILNS1_3genE3ELNS1_11target_archE908ELNS1_3gpuE7ELNS1_3repE0EEENS1_30default_config_static_selectorELNS0_4arch9wavefront6targetE0EEEvS12_
    .private_segment_fixed_size: 0
    .sgpr_count:     0
    .sgpr_spill_count: 0
    .symbol:         _ZN7rocprim17ROCPRIM_400000_NS6detail17trampoline_kernelINS0_13select_configILj256ELj13ELNS0_17block_load_methodE3ELS4_3ELS4_3ELNS0_20block_scan_algorithmE0ELj4294967295EEENS1_25partition_config_selectorILNS1_17partition_subalgoE4EjNS0_10empty_typeEbEEZZNS1_14partition_implILS8_4ELb0ES6_15HIP_vector_typeIjLj2EENS0_17counting_iteratorIjlEEPS9_SG_NS0_5tupleIJPjSI_NS0_16reverse_iteratorISI_EEEEENSH_IJSG_SG_SG_EEES9_SI_JZNS1_25segmented_radix_sort_implINS0_14default_configELb0EPKhPhPKlPlN2at6native12_GLOBAL__N_18offset_tEEE10hipError_tPvRmT1_PNSt15iterator_traitsIS12_E10value_typeET2_T3_PNS13_IS18_E10value_typeET4_jRbjT5_S1E_jjP12ihipStream_tbEUljE_ZNSN_ISO_Lb0ESQ_SR_ST_SU_SY_EESZ_S10_S11_S12_S16_S17_S18_S1B_S1C_jS1D_jS1E_S1E_jjS1G_bEUljE0_EEESZ_S10_S11_S18_S1C_S1E_T6_T7_T9_mT8_S1G_bDpT10_ENKUlT_T0_E_clISt17integral_constantIbLb0EES1T_IbLb1EEEEDaS1P_S1Q_EUlS1P_E_NS1_11comp_targetILNS1_3genE3ELNS1_11target_archE908ELNS1_3gpuE7ELNS1_3repE0EEENS1_30default_config_static_selectorELNS0_4arch9wavefront6targetE0EEEvS12_.kd
    .uniform_work_group_size: 1
    .uses_dynamic_stack: false
    .vgpr_count:     0
    .vgpr_spill_count: 0
    .wavefront_size: 32
    .workgroup_processor_mode: 1
  - .args:
      - .offset:         0
        .size:           184
        .value_kind:     by_value
    .group_segment_fixed_size: 0
    .kernarg_segment_align: 8
    .kernarg_segment_size: 184
    .language:       OpenCL C
    .language_version:
      - 2
      - 0
    .max_flat_workgroup_size: 256
    .name:           _ZN7rocprim17ROCPRIM_400000_NS6detail17trampoline_kernelINS0_13select_configILj256ELj13ELNS0_17block_load_methodE3ELS4_3ELS4_3ELNS0_20block_scan_algorithmE0ELj4294967295EEENS1_25partition_config_selectorILNS1_17partition_subalgoE4EjNS0_10empty_typeEbEEZZNS1_14partition_implILS8_4ELb0ES6_15HIP_vector_typeIjLj2EENS0_17counting_iteratorIjlEEPS9_SG_NS0_5tupleIJPjSI_NS0_16reverse_iteratorISI_EEEEENSH_IJSG_SG_SG_EEES9_SI_JZNS1_25segmented_radix_sort_implINS0_14default_configELb0EPKhPhPKlPlN2at6native12_GLOBAL__N_18offset_tEEE10hipError_tPvRmT1_PNSt15iterator_traitsIS12_E10value_typeET2_T3_PNS13_IS18_E10value_typeET4_jRbjT5_S1E_jjP12ihipStream_tbEUljE_ZNSN_ISO_Lb0ESQ_SR_ST_SU_SY_EESZ_S10_S11_S12_S16_S17_S18_S1B_S1C_jS1D_jS1E_S1E_jjS1G_bEUljE0_EEESZ_S10_S11_S18_S1C_S1E_T6_T7_T9_mT8_S1G_bDpT10_ENKUlT_T0_E_clISt17integral_constantIbLb0EES1T_IbLb1EEEEDaS1P_S1Q_EUlS1P_E_NS1_11comp_targetILNS1_3genE2ELNS1_11target_archE906ELNS1_3gpuE6ELNS1_3repE0EEENS1_30default_config_static_selectorELNS0_4arch9wavefront6targetE0EEEvS12_
    .private_segment_fixed_size: 0
    .sgpr_count:     0
    .sgpr_spill_count: 0
    .symbol:         _ZN7rocprim17ROCPRIM_400000_NS6detail17trampoline_kernelINS0_13select_configILj256ELj13ELNS0_17block_load_methodE3ELS4_3ELS4_3ELNS0_20block_scan_algorithmE0ELj4294967295EEENS1_25partition_config_selectorILNS1_17partition_subalgoE4EjNS0_10empty_typeEbEEZZNS1_14partition_implILS8_4ELb0ES6_15HIP_vector_typeIjLj2EENS0_17counting_iteratorIjlEEPS9_SG_NS0_5tupleIJPjSI_NS0_16reverse_iteratorISI_EEEEENSH_IJSG_SG_SG_EEES9_SI_JZNS1_25segmented_radix_sort_implINS0_14default_configELb0EPKhPhPKlPlN2at6native12_GLOBAL__N_18offset_tEEE10hipError_tPvRmT1_PNSt15iterator_traitsIS12_E10value_typeET2_T3_PNS13_IS18_E10value_typeET4_jRbjT5_S1E_jjP12ihipStream_tbEUljE_ZNSN_ISO_Lb0ESQ_SR_ST_SU_SY_EESZ_S10_S11_S12_S16_S17_S18_S1B_S1C_jS1D_jS1E_S1E_jjS1G_bEUljE0_EEESZ_S10_S11_S18_S1C_S1E_T6_T7_T9_mT8_S1G_bDpT10_ENKUlT_T0_E_clISt17integral_constantIbLb0EES1T_IbLb1EEEEDaS1P_S1Q_EUlS1P_E_NS1_11comp_targetILNS1_3genE2ELNS1_11target_archE906ELNS1_3gpuE6ELNS1_3repE0EEENS1_30default_config_static_selectorELNS0_4arch9wavefront6targetE0EEEvS12_.kd
    .uniform_work_group_size: 1
    .uses_dynamic_stack: false
    .vgpr_count:     0
    .vgpr_spill_count: 0
    .wavefront_size: 32
    .workgroup_processor_mode: 1
  - .args:
      - .offset:         0
        .size:           184
        .value_kind:     by_value
    .group_segment_fixed_size: 0
    .kernarg_segment_align: 8
    .kernarg_segment_size: 184
    .language:       OpenCL C
    .language_version:
      - 2
      - 0
    .max_flat_workgroup_size: 256
    .name:           _ZN7rocprim17ROCPRIM_400000_NS6detail17trampoline_kernelINS0_13select_configILj256ELj13ELNS0_17block_load_methodE3ELS4_3ELS4_3ELNS0_20block_scan_algorithmE0ELj4294967295EEENS1_25partition_config_selectorILNS1_17partition_subalgoE4EjNS0_10empty_typeEbEEZZNS1_14partition_implILS8_4ELb0ES6_15HIP_vector_typeIjLj2EENS0_17counting_iteratorIjlEEPS9_SG_NS0_5tupleIJPjSI_NS0_16reverse_iteratorISI_EEEEENSH_IJSG_SG_SG_EEES9_SI_JZNS1_25segmented_radix_sort_implINS0_14default_configELb0EPKhPhPKlPlN2at6native12_GLOBAL__N_18offset_tEEE10hipError_tPvRmT1_PNSt15iterator_traitsIS12_E10value_typeET2_T3_PNS13_IS18_E10value_typeET4_jRbjT5_S1E_jjP12ihipStream_tbEUljE_ZNSN_ISO_Lb0ESQ_SR_ST_SU_SY_EESZ_S10_S11_S12_S16_S17_S18_S1B_S1C_jS1D_jS1E_S1E_jjS1G_bEUljE0_EEESZ_S10_S11_S18_S1C_S1E_T6_T7_T9_mT8_S1G_bDpT10_ENKUlT_T0_E_clISt17integral_constantIbLb0EES1T_IbLb1EEEEDaS1P_S1Q_EUlS1P_E_NS1_11comp_targetILNS1_3genE10ELNS1_11target_archE1200ELNS1_3gpuE4ELNS1_3repE0EEENS1_30default_config_static_selectorELNS0_4arch9wavefront6targetE0EEEvS12_
    .private_segment_fixed_size: 0
    .sgpr_count:     0
    .sgpr_spill_count: 0
    .symbol:         _ZN7rocprim17ROCPRIM_400000_NS6detail17trampoline_kernelINS0_13select_configILj256ELj13ELNS0_17block_load_methodE3ELS4_3ELS4_3ELNS0_20block_scan_algorithmE0ELj4294967295EEENS1_25partition_config_selectorILNS1_17partition_subalgoE4EjNS0_10empty_typeEbEEZZNS1_14partition_implILS8_4ELb0ES6_15HIP_vector_typeIjLj2EENS0_17counting_iteratorIjlEEPS9_SG_NS0_5tupleIJPjSI_NS0_16reverse_iteratorISI_EEEEENSH_IJSG_SG_SG_EEES9_SI_JZNS1_25segmented_radix_sort_implINS0_14default_configELb0EPKhPhPKlPlN2at6native12_GLOBAL__N_18offset_tEEE10hipError_tPvRmT1_PNSt15iterator_traitsIS12_E10value_typeET2_T3_PNS13_IS18_E10value_typeET4_jRbjT5_S1E_jjP12ihipStream_tbEUljE_ZNSN_ISO_Lb0ESQ_SR_ST_SU_SY_EESZ_S10_S11_S12_S16_S17_S18_S1B_S1C_jS1D_jS1E_S1E_jjS1G_bEUljE0_EEESZ_S10_S11_S18_S1C_S1E_T6_T7_T9_mT8_S1G_bDpT10_ENKUlT_T0_E_clISt17integral_constantIbLb0EES1T_IbLb1EEEEDaS1P_S1Q_EUlS1P_E_NS1_11comp_targetILNS1_3genE10ELNS1_11target_archE1200ELNS1_3gpuE4ELNS1_3repE0EEENS1_30default_config_static_selectorELNS0_4arch9wavefront6targetE0EEEvS12_.kd
    .uniform_work_group_size: 1
    .uses_dynamic_stack: false
    .vgpr_count:     0
    .vgpr_spill_count: 0
    .wavefront_size: 32
    .workgroup_processor_mode: 1
  - .args:
      - .offset:         0
        .size:           184
        .value_kind:     by_value
    .group_segment_fixed_size: 0
    .kernarg_segment_align: 8
    .kernarg_segment_size: 184
    .language:       OpenCL C
    .language_version:
      - 2
      - 0
    .max_flat_workgroup_size: 256
    .name:           _ZN7rocprim17ROCPRIM_400000_NS6detail17trampoline_kernelINS0_13select_configILj256ELj13ELNS0_17block_load_methodE3ELS4_3ELS4_3ELNS0_20block_scan_algorithmE0ELj4294967295EEENS1_25partition_config_selectorILNS1_17partition_subalgoE4EjNS0_10empty_typeEbEEZZNS1_14partition_implILS8_4ELb0ES6_15HIP_vector_typeIjLj2EENS0_17counting_iteratorIjlEEPS9_SG_NS0_5tupleIJPjSI_NS0_16reverse_iteratorISI_EEEEENSH_IJSG_SG_SG_EEES9_SI_JZNS1_25segmented_radix_sort_implINS0_14default_configELb0EPKhPhPKlPlN2at6native12_GLOBAL__N_18offset_tEEE10hipError_tPvRmT1_PNSt15iterator_traitsIS12_E10value_typeET2_T3_PNS13_IS18_E10value_typeET4_jRbjT5_S1E_jjP12ihipStream_tbEUljE_ZNSN_ISO_Lb0ESQ_SR_ST_SU_SY_EESZ_S10_S11_S12_S16_S17_S18_S1B_S1C_jS1D_jS1E_S1E_jjS1G_bEUljE0_EEESZ_S10_S11_S18_S1C_S1E_T6_T7_T9_mT8_S1G_bDpT10_ENKUlT_T0_E_clISt17integral_constantIbLb0EES1T_IbLb1EEEEDaS1P_S1Q_EUlS1P_E_NS1_11comp_targetILNS1_3genE9ELNS1_11target_archE1100ELNS1_3gpuE3ELNS1_3repE0EEENS1_30default_config_static_selectorELNS0_4arch9wavefront6targetE0EEEvS12_
    .private_segment_fixed_size: 0
    .sgpr_count:     0
    .sgpr_spill_count: 0
    .symbol:         _ZN7rocprim17ROCPRIM_400000_NS6detail17trampoline_kernelINS0_13select_configILj256ELj13ELNS0_17block_load_methodE3ELS4_3ELS4_3ELNS0_20block_scan_algorithmE0ELj4294967295EEENS1_25partition_config_selectorILNS1_17partition_subalgoE4EjNS0_10empty_typeEbEEZZNS1_14partition_implILS8_4ELb0ES6_15HIP_vector_typeIjLj2EENS0_17counting_iteratorIjlEEPS9_SG_NS0_5tupleIJPjSI_NS0_16reverse_iteratorISI_EEEEENSH_IJSG_SG_SG_EEES9_SI_JZNS1_25segmented_radix_sort_implINS0_14default_configELb0EPKhPhPKlPlN2at6native12_GLOBAL__N_18offset_tEEE10hipError_tPvRmT1_PNSt15iterator_traitsIS12_E10value_typeET2_T3_PNS13_IS18_E10value_typeET4_jRbjT5_S1E_jjP12ihipStream_tbEUljE_ZNSN_ISO_Lb0ESQ_SR_ST_SU_SY_EESZ_S10_S11_S12_S16_S17_S18_S1B_S1C_jS1D_jS1E_S1E_jjS1G_bEUljE0_EEESZ_S10_S11_S18_S1C_S1E_T6_T7_T9_mT8_S1G_bDpT10_ENKUlT_T0_E_clISt17integral_constantIbLb0EES1T_IbLb1EEEEDaS1P_S1Q_EUlS1P_E_NS1_11comp_targetILNS1_3genE9ELNS1_11target_archE1100ELNS1_3gpuE3ELNS1_3repE0EEENS1_30default_config_static_selectorELNS0_4arch9wavefront6targetE0EEEvS12_.kd
    .uniform_work_group_size: 1
    .uses_dynamic_stack: false
    .vgpr_count:     0
    .vgpr_spill_count: 0
    .wavefront_size: 32
    .workgroup_processor_mode: 1
  - .args:
      - .offset:         0
        .size:           184
        .value_kind:     by_value
    .group_segment_fixed_size: 13328
    .kernarg_segment_align: 8
    .kernarg_segment_size: 184
    .language:       OpenCL C
    .language_version:
      - 2
      - 0
    .max_flat_workgroup_size: 256
    .name:           _ZN7rocprim17ROCPRIM_400000_NS6detail17trampoline_kernelINS0_13select_configILj256ELj13ELNS0_17block_load_methodE3ELS4_3ELS4_3ELNS0_20block_scan_algorithmE0ELj4294967295EEENS1_25partition_config_selectorILNS1_17partition_subalgoE4EjNS0_10empty_typeEbEEZZNS1_14partition_implILS8_4ELb0ES6_15HIP_vector_typeIjLj2EENS0_17counting_iteratorIjlEEPS9_SG_NS0_5tupleIJPjSI_NS0_16reverse_iteratorISI_EEEEENSH_IJSG_SG_SG_EEES9_SI_JZNS1_25segmented_radix_sort_implINS0_14default_configELb0EPKhPhPKlPlN2at6native12_GLOBAL__N_18offset_tEEE10hipError_tPvRmT1_PNSt15iterator_traitsIS12_E10value_typeET2_T3_PNS13_IS18_E10value_typeET4_jRbjT5_S1E_jjP12ihipStream_tbEUljE_ZNSN_ISO_Lb0ESQ_SR_ST_SU_SY_EESZ_S10_S11_S12_S16_S17_S18_S1B_S1C_jS1D_jS1E_S1E_jjS1G_bEUljE0_EEESZ_S10_S11_S18_S1C_S1E_T6_T7_T9_mT8_S1G_bDpT10_ENKUlT_T0_E_clISt17integral_constantIbLb0EES1T_IbLb1EEEEDaS1P_S1Q_EUlS1P_E_NS1_11comp_targetILNS1_3genE8ELNS1_11target_archE1030ELNS1_3gpuE2ELNS1_3repE0EEENS1_30default_config_static_selectorELNS0_4arch9wavefront6targetE0EEEvS12_
    .private_segment_fixed_size: 0
    .sgpr_count:     57
    .sgpr_spill_count: 0
    .symbol:         _ZN7rocprim17ROCPRIM_400000_NS6detail17trampoline_kernelINS0_13select_configILj256ELj13ELNS0_17block_load_methodE3ELS4_3ELS4_3ELNS0_20block_scan_algorithmE0ELj4294967295EEENS1_25partition_config_selectorILNS1_17partition_subalgoE4EjNS0_10empty_typeEbEEZZNS1_14partition_implILS8_4ELb0ES6_15HIP_vector_typeIjLj2EENS0_17counting_iteratorIjlEEPS9_SG_NS0_5tupleIJPjSI_NS0_16reverse_iteratorISI_EEEEENSH_IJSG_SG_SG_EEES9_SI_JZNS1_25segmented_radix_sort_implINS0_14default_configELb0EPKhPhPKlPlN2at6native12_GLOBAL__N_18offset_tEEE10hipError_tPvRmT1_PNSt15iterator_traitsIS12_E10value_typeET2_T3_PNS13_IS18_E10value_typeET4_jRbjT5_S1E_jjP12ihipStream_tbEUljE_ZNSN_ISO_Lb0ESQ_SR_ST_SU_SY_EESZ_S10_S11_S12_S16_S17_S18_S1B_S1C_jS1D_jS1E_S1E_jjS1G_bEUljE0_EEESZ_S10_S11_S18_S1C_S1E_T6_T7_T9_mT8_S1G_bDpT10_ENKUlT_T0_E_clISt17integral_constantIbLb0EES1T_IbLb1EEEEDaS1P_S1Q_EUlS1P_E_NS1_11comp_targetILNS1_3genE8ELNS1_11target_archE1030ELNS1_3gpuE2ELNS1_3repE0EEENS1_30default_config_static_selectorELNS0_4arch9wavefront6targetE0EEEvS12_.kd
    .uniform_work_group_size: 1
    .uses_dynamic_stack: false
    .vgpr_count:     87
    .vgpr_spill_count: 0
    .wavefront_size: 32
    .workgroup_processor_mode: 1
  - .args:
      - .offset:         0
        .size:           144
        .value_kind:     by_value
    .group_segment_fixed_size: 0
    .kernarg_segment_align: 8
    .kernarg_segment_size: 144
    .language:       OpenCL C
    .language_version:
      - 2
      - 0
    .max_flat_workgroup_size: 256
    .name:           _ZN7rocprim17ROCPRIM_400000_NS6detail17trampoline_kernelINS0_13select_configILj256ELj13ELNS0_17block_load_methodE3ELS4_3ELS4_3ELNS0_20block_scan_algorithmE0ELj4294967295EEENS1_25partition_config_selectorILNS1_17partition_subalgoE3EjNS0_10empty_typeEbEEZZNS1_14partition_implILS8_3ELb0ES6_jNS0_17counting_iteratorIjlEEPS9_SE_NS0_5tupleIJPjSE_EEENSF_IJSE_SE_EEES9_SG_JZNS1_25segmented_radix_sort_implINS0_14default_configELb0EPKhPhPKlPlN2at6native12_GLOBAL__N_18offset_tEEE10hipError_tPvRmT1_PNSt15iterator_traitsISY_E10value_typeET2_T3_PNSZ_IS14_E10value_typeET4_jRbjT5_S1A_jjP12ihipStream_tbEUljE_EEESV_SW_SX_S14_S18_S1A_T6_T7_T9_mT8_S1C_bDpT10_ENKUlT_T0_E_clISt17integral_constantIbLb0EES1P_EEDaS1K_S1L_EUlS1K_E_NS1_11comp_targetILNS1_3genE0ELNS1_11target_archE4294967295ELNS1_3gpuE0ELNS1_3repE0EEENS1_30default_config_static_selectorELNS0_4arch9wavefront6targetE0EEEvSY_
    .private_segment_fixed_size: 0
    .sgpr_count:     0
    .sgpr_spill_count: 0
    .symbol:         _ZN7rocprim17ROCPRIM_400000_NS6detail17trampoline_kernelINS0_13select_configILj256ELj13ELNS0_17block_load_methodE3ELS4_3ELS4_3ELNS0_20block_scan_algorithmE0ELj4294967295EEENS1_25partition_config_selectorILNS1_17partition_subalgoE3EjNS0_10empty_typeEbEEZZNS1_14partition_implILS8_3ELb0ES6_jNS0_17counting_iteratorIjlEEPS9_SE_NS0_5tupleIJPjSE_EEENSF_IJSE_SE_EEES9_SG_JZNS1_25segmented_radix_sort_implINS0_14default_configELb0EPKhPhPKlPlN2at6native12_GLOBAL__N_18offset_tEEE10hipError_tPvRmT1_PNSt15iterator_traitsISY_E10value_typeET2_T3_PNSZ_IS14_E10value_typeET4_jRbjT5_S1A_jjP12ihipStream_tbEUljE_EEESV_SW_SX_S14_S18_S1A_T6_T7_T9_mT8_S1C_bDpT10_ENKUlT_T0_E_clISt17integral_constantIbLb0EES1P_EEDaS1K_S1L_EUlS1K_E_NS1_11comp_targetILNS1_3genE0ELNS1_11target_archE4294967295ELNS1_3gpuE0ELNS1_3repE0EEENS1_30default_config_static_selectorELNS0_4arch9wavefront6targetE0EEEvSY_.kd
    .uniform_work_group_size: 1
    .uses_dynamic_stack: false
    .vgpr_count:     0
    .vgpr_spill_count: 0
    .wavefront_size: 32
    .workgroup_processor_mode: 1
  - .args:
      - .offset:         0
        .size:           144
        .value_kind:     by_value
    .group_segment_fixed_size: 0
    .kernarg_segment_align: 8
    .kernarg_segment_size: 144
    .language:       OpenCL C
    .language_version:
      - 2
      - 0
    .max_flat_workgroup_size: 256
    .name:           _ZN7rocprim17ROCPRIM_400000_NS6detail17trampoline_kernelINS0_13select_configILj256ELj13ELNS0_17block_load_methodE3ELS4_3ELS4_3ELNS0_20block_scan_algorithmE0ELj4294967295EEENS1_25partition_config_selectorILNS1_17partition_subalgoE3EjNS0_10empty_typeEbEEZZNS1_14partition_implILS8_3ELb0ES6_jNS0_17counting_iteratorIjlEEPS9_SE_NS0_5tupleIJPjSE_EEENSF_IJSE_SE_EEES9_SG_JZNS1_25segmented_radix_sort_implINS0_14default_configELb0EPKhPhPKlPlN2at6native12_GLOBAL__N_18offset_tEEE10hipError_tPvRmT1_PNSt15iterator_traitsISY_E10value_typeET2_T3_PNSZ_IS14_E10value_typeET4_jRbjT5_S1A_jjP12ihipStream_tbEUljE_EEESV_SW_SX_S14_S18_S1A_T6_T7_T9_mT8_S1C_bDpT10_ENKUlT_T0_E_clISt17integral_constantIbLb0EES1P_EEDaS1K_S1L_EUlS1K_E_NS1_11comp_targetILNS1_3genE5ELNS1_11target_archE942ELNS1_3gpuE9ELNS1_3repE0EEENS1_30default_config_static_selectorELNS0_4arch9wavefront6targetE0EEEvSY_
    .private_segment_fixed_size: 0
    .sgpr_count:     0
    .sgpr_spill_count: 0
    .symbol:         _ZN7rocprim17ROCPRIM_400000_NS6detail17trampoline_kernelINS0_13select_configILj256ELj13ELNS0_17block_load_methodE3ELS4_3ELS4_3ELNS0_20block_scan_algorithmE0ELj4294967295EEENS1_25partition_config_selectorILNS1_17partition_subalgoE3EjNS0_10empty_typeEbEEZZNS1_14partition_implILS8_3ELb0ES6_jNS0_17counting_iteratorIjlEEPS9_SE_NS0_5tupleIJPjSE_EEENSF_IJSE_SE_EEES9_SG_JZNS1_25segmented_radix_sort_implINS0_14default_configELb0EPKhPhPKlPlN2at6native12_GLOBAL__N_18offset_tEEE10hipError_tPvRmT1_PNSt15iterator_traitsISY_E10value_typeET2_T3_PNSZ_IS14_E10value_typeET4_jRbjT5_S1A_jjP12ihipStream_tbEUljE_EEESV_SW_SX_S14_S18_S1A_T6_T7_T9_mT8_S1C_bDpT10_ENKUlT_T0_E_clISt17integral_constantIbLb0EES1P_EEDaS1K_S1L_EUlS1K_E_NS1_11comp_targetILNS1_3genE5ELNS1_11target_archE942ELNS1_3gpuE9ELNS1_3repE0EEENS1_30default_config_static_selectorELNS0_4arch9wavefront6targetE0EEEvSY_.kd
    .uniform_work_group_size: 1
    .uses_dynamic_stack: false
    .vgpr_count:     0
    .vgpr_spill_count: 0
    .wavefront_size: 32
    .workgroup_processor_mode: 1
  - .args:
      - .offset:         0
        .size:           144
        .value_kind:     by_value
    .group_segment_fixed_size: 0
    .kernarg_segment_align: 8
    .kernarg_segment_size: 144
    .language:       OpenCL C
    .language_version:
      - 2
      - 0
    .max_flat_workgroup_size: 256
    .name:           _ZN7rocprim17ROCPRIM_400000_NS6detail17trampoline_kernelINS0_13select_configILj256ELj13ELNS0_17block_load_methodE3ELS4_3ELS4_3ELNS0_20block_scan_algorithmE0ELj4294967295EEENS1_25partition_config_selectorILNS1_17partition_subalgoE3EjNS0_10empty_typeEbEEZZNS1_14partition_implILS8_3ELb0ES6_jNS0_17counting_iteratorIjlEEPS9_SE_NS0_5tupleIJPjSE_EEENSF_IJSE_SE_EEES9_SG_JZNS1_25segmented_radix_sort_implINS0_14default_configELb0EPKhPhPKlPlN2at6native12_GLOBAL__N_18offset_tEEE10hipError_tPvRmT1_PNSt15iterator_traitsISY_E10value_typeET2_T3_PNSZ_IS14_E10value_typeET4_jRbjT5_S1A_jjP12ihipStream_tbEUljE_EEESV_SW_SX_S14_S18_S1A_T6_T7_T9_mT8_S1C_bDpT10_ENKUlT_T0_E_clISt17integral_constantIbLb0EES1P_EEDaS1K_S1L_EUlS1K_E_NS1_11comp_targetILNS1_3genE4ELNS1_11target_archE910ELNS1_3gpuE8ELNS1_3repE0EEENS1_30default_config_static_selectorELNS0_4arch9wavefront6targetE0EEEvSY_
    .private_segment_fixed_size: 0
    .sgpr_count:     0
    .sgpr_spill_count: 0
    .symbol:         _ZN7rocprim17ROCPRIM_400000_NS6detail17trampoline_kernelINS0_13select_configILj256ELj13ELNS0_17block_load_methodE3ELS4_3ELS4_3ELNS0_20block_scan_algorithmE0ELj4294967295EEENS1_25partition_config_selectorILNS1_17partition_subalgoE3EjNS0_10empty_typeEbEEZZNS1_14partition_implILS8_3ELb0ES6_jNS0_17counting_iteratorIjlEEPS9_SE_NS0_5tupleIJPjSE_EEENSF_IJSE_SE_EEES9_SG_JZNS1_25segmented_radix_sort_implINS0_14default_configELb0EPKhPhPKlPlN2at6native12_GLOBAL__N_18offset_tEEE10hipError_tPvRmT1_PNSt15iterator_traitsISY_E10value_typeET2_T3_PNSZ_IS14_E10value_typeET4_jRbjT5_S1A_jjP12ihipStream_tbEUljE_EEESV_SW_SX_S14_S18_S1A_T6_T7_T9_mT8_S1C_bDpT10_ENKUlT_T0_E_clISt17integral_constantIbLb0EES1P_EEDaS1K_S1L_EUlS1K_E_NS1_11comp_targetILNS1_3genE4ELNS1_11target_archE910ELNS1_3gpuE8ELNS1_3repE0EEENS1_30default_config_static_selectorELNS0_4arch9wavefront6targetE0EEEvSY_.kd
    .uniform_work_group_size: 1
    .uses_dynamic_stack: false
    .vgpr_count:     0
    .vgpr_spill_count: 0
    .wavefront_size: 32
    .workgroup_processor_mode: 1
  - .args:
      - .offset:         0
        .size:           144
        .value_kind:     by_value
    .group_segment_fixed_size: 0
    .kernarg_segment_align: 8
    .kernarg_segment_size: 144
    .language:       OpenCL C
    .language_version:
      - 2
      - 0
    .max_flat_workgroup_size: 256
    .name:           _ZN7rocprim17ROCPRIM_400000_NS6detail17trampoline_kernelINS0_13select_configILj256ELj13ELNS0_17block_load_methodE3ELS4_3ELS4_3ELNS0_20block_scan_algorithmE0ELj4294967295EEENS1_25partition_config_selectorILNS1_17partition_subalgoE3EjNS0_10empty_typeEbEEZZNS1_14partition_implILS8_3ELb0ES6_jNS0_17counting_iteratorIjlEEPS9_SE_NS0_5tupleIJPjSE_EEENSF_IJSE_SE_EEES9_SG_JZNS1_25segmented_radix_sort_implINS0_14default_configELb0EPKhPhPKlPlN2at6native12_GLOBAL__N_18offset_tEEE10hipError_tPvRmT1_PNSt15iterator_traitsISY_E10value_typeET2_T3_PNSZ_IS14_E10value_typeET4_jRbjT5_S1A_jjP12ihipStream_tbEUljE_EEESV_SW_SX_S14_S18_S1A_T6_T7_T9_mT8_S1C_bDpT10_ENKUlT_T0_E_clISt17integral_constantIbLb0EES1P_EEDaS1K_S1L_EUlS1K_E_NS1_11comp_targetILNS1_3genE3ELNS1_11target_archE908ELNS1_3gpuE7ELNS1_3repE0EEENS1_30default_config_static_selectorELNS0_4arch9wavefront6targetE0EEEvSY_
    .private_segment_fixed_size: 0
    .sgpr_count:     0
    .sgpr_spill_count: 0
    .symbol:         _ZN7rocprim17ROCPRIM_400000_NS6detail17trampoline_kernelINS0_13select_configILj256ELj13ELNS0_17block_load_methodE3ELS4_3ELS4_3ELNS0_20block_scan_algorithmE0ELj4294967295EEENS1_25partition_config_selectorILNS1_17partition_subalgoE3EjNS0_10empty_typeEbEEZZNS1_14partition_implILS8_3ELb0ES6_jNS0_17counting_iteratorIjlEEPS9_SE_NS0_5tupleIJPjSE_EEENSF_IJSE_SE_EEES9_SG_JZNS1_25segmented_radix_sort_implINS0_14default_configELb0EPKhPhPKlPlN2at6native12_GLOBAL__N_18offset_tEEE10hipError_tPvRmT1_PNSt15iterator_traitsISY_E10value_typeET2_T3_PNSZ_IS14_E10value_typeET4_jRbjT5_S1A_jjP12ihipStream_tbEUljE_EEESV_SW_SX_S14_S18_S1A_T6_T7_T9_mT8_S1C_bDpT10_ENKUlT_T0_E_clISt17integral_constantIbLb0EES1P_EEDaS1K_S1L_EUlS1K_E_NS1_11comp_targetILNS1_3genE3ELNS1_11target_archE908ELNS1_3gpuE7ELNS1_3repE0EEENS1_30default_config_static_selectorELNS0_4arch9wavefront6targetE0EEEvSY_.kd
    .uniform_work_group_size: 1
    .uses_dynamic_stack: false
    .vgpr_count:     0
    .vgpr_spill_count: 0
    .wavefront_size: 32
    .workgroup_processor_mode: 1
  - .args:
      - .offset:         0
        .size:           144
        .value_kind:     by_value
    .group_segment_fixed_size: 0
    .kernarg_segment_align: 8
    .kernarg_segment_size: 144
    .language:       OpenCL C
    .language_version:
      - 2
      - 0
    .max_flat_workgroup_size: 256
    .name:           _ZN7rocprim17ROCPRIM_400000_NS6detail17trampoline_kernelINS0_13select_configILj256ELj13ELNS0_17block_load_methodE3ELS4_3ELS4_3ELNS0_20block_scan_algorithmE0ELj4294967295EEENS1_25partition_config_selectorILNS1_17partition_subalgoE3EjNS0_10empty_typeEbEEZZNS1_14partition_implILS8_3ELb0ES6_jNS0_17counting_iteratorIjlEEPS9_SE_NS0_5tupleIJPjSE_EEENSF_IJSE_SE_EEES9_SG_JZNS1_25segmented_radix_sort_implINS0_14default_configELb0EPKhPhPKlPlN2at6native12_GLOBAL__N_18offset_tEEE10hipError_tPvRmT1_PNSt15iterator_traitsISY_E10value_typeET2_T3_PNSZ_IS14_E10value_typeET4_jRbjT5_S1A_jjP12ihipStream_tbEUljE_EEESV_SW_SX_S14_S18_S1A_T6_T7_T9_mT8_S1C_bDpT10_ENKUlT_T0_E_clISt17integral_constantIbLb0EES1P_EEDaS1K_S1L_EUlS1K_E_NS1_11comp_targetILNS1_3genE2ELNS1_11target_archE906ELNS1_3gpuE6ELNS1_3repE0EEENS1_30default_config_static_selectorELNS0_4arch9wavefront6targetE0EEEvSY_
    .private_segment_fixed_size: 0
    .sgpr_count:     0
    .sgpr_spill_count: 0
    .symbol:         _ZN7rocprim17ROCPRIM_400000_NS6detail17trampoline_kernelINS0_13select_configILj256ELj13ELNS0_17block_load_methodE3ELS4_3ELS4_3ELNS0_20block_scan_algorithmE0ELj4294967295EEENS1_25partition_config_selectorILNS1_17partition_subalgoE3EjNS0_10empty_typeEbEEZZNS1_14partition_implILS8_3ELb0ES6_jNS0_17counting_iteratorIjlEEPS9_SE_NS0_5tupleIJPjSE_EEENSF_IJSE_SE_EEES9_SG_JZNS1_25segmented_radix_sort_implINS0_14default_configELb0EPKhPhPKlPlN2at6native12_GLOBAL__N_18offset_tEEE10hipError_tPvRmT1_PNSt15iterator_traitsISY_E10value_typeET2_T3_PNSZ_IS14_E10value_typeET4_jRbjT5_S1A_jjP12ihipStream_tbEUljE_EEESV_SW_SX_S14_S18_S1A_T6_T7_T9_mT8_S1C_bDpT10_ENKUlT_T0_E_clISt17integral_constantIbLb0EES1P_EEDaS1K_S1L_EUlS1K_E_NS1_11comp_targetILNS1_3genE2ELNS1_11target_archE906ELNS1_3gpuE6ELNS1_3repE0EEENS1_30default_config_static_selectorELNS0_4arch9wavefront6targetE0EEEvSY_.kd
    .uniform_work_group_size: 1
    .uses_dynamic_stack: false
    .vgpr_count:     0
    .vgpr_spill_count: 0
    .wavefront_size: 32
    .workgroup_processor_mode: 1
  - .args:
      - .offset:         0
        .size:           144
        .value_kind:     by_value
    .group_segment_fixed_size: 0
    .kernarg_segment_align: 8
    .kernarg_segment_size: 144
    .language:       OpenCL C
    .language_version:
      - 2
      - 0
    .max_flat_workgroup_size: 256
    .name:           _ZN7rocprim17ROCPRIM_400000_NS6detail17trampoline_kernelINS0_13select_configILj256ELj13ELNS0_17block_load_methodE3ELS4_3ELS4_3ELNS0_20block_scan_algorithmE0ELj4294967295EEENS1_25partition_config_selectorILNS1_17partition_subalgoE3EjNS0_10empty_typeEbEEZZNS1_14partition_implILS8_3ELb0ES6_jNS0_17counting_iteratorIjlEEPS9_SE_NS0_5tupleIJPjSE_EEENSF_IJSE_SE_EEES9_SG_JZNS1_25segmented_radix_sort_implINS0_14default_configELb0EPKhPhPKlPlN2at6native12_GLOBAL__N_18offset_tEEE10hipError_tPvRmT1_PNSt15iterator_traitsISY_E10value_typeET2_T3_PNSZ_IS14_E10value_typeET4_jRbjT5_S1A_jjP12ihipStream_tbEUljE_EEESV_SW_SX_S14_S18_S1A_T6_T7_T9_mT8_S1C_bDpT10_ENKUlT_T0_E_clISt17integral_constantIbLb0EES1P_EEDaS1K_S1L_EUlS1K_E_NS1_11comp_targetILNS1_3genE10ELNS1_11target_archE1200ELNS1_3gpuE4ELNS1_3repE0EEENS1_30default_config_static_selectorELNS0_4arch9wavefront6targetE0EEEvSY_
    .private_segment_fixed_size: 0
    .sgpr_count:     0
    .sgpr_spill_count: 0
    .symbol:         _ZN7rocprim17ROCPRIM_400000_NS6detail17trampoline_kernelINS0_13select_configILj256ELj13ELNS0_17block_load_methodE3ELS4_3ELS4_3ELNS0_20block_scan_algorithmE0ELj4294967295EEENS1_25partition_config_selectorILNS1_17partition_subalgoE3EjNS0_10empty_typeEbEEZZNS1_14partition_implILS8_3ELb0ES6_jNS0_17counting_iteratorIjlEEPS9_SE_NS0_5tupleIJPjSE_EEENSF_IJSE_SE_EEES9_SG_JZNS1_25segmented_radix_sort_implINS0_14default_configELb0EPKhPhPKlPlN2at6native12_GLOBAL__N_18offset_tEEE10hipError_tPvRmT1_PNSt15iterator_traitsISY_E10value_typeET2_T3_PNSZ_IS14_E10value_typeET4_jRbjT5_S1A_jjP12ihipStream_tbEUljE_EEESV_SW_SX_S14_S18_S1A_T6_T7_T9_mT8_S1C_bDpT10_ENKUlT_T0_E_clISt17integral_constantIbLb0EES1P_EEDaS1K_S1L_EUlS1K_E_NS1_11comp_targetILNS1_3genE10ELNS1_11target_archE1200ELNS1_3gpuE4ELNS1_3repE0EEENS1_30default_config_static_selectorELNS0_4arch9wavefront6targetE0EEEvSY_.kd
    .uniform_work_group_size: 1
    .uses_dynamic_stack: false
    .vgpr_count:     0
    .vgpr_spill_count: 0
    .wavefront_size: 32
    .workgroup_processor_mode: 1
  - .args:
      - .offset:         0
        .size:           144
        .value_kind:     by_value
    .group_segment_fixed_size: 0
    .kernarg_segment_align: 8
    .kernarg_segment_size: 144
    .language:       OpenCL C
    .language_version:
      - 2
      - 0
    .max_flat_workgroup_size: 256
    .name:           _ZN7rocprim17ROCPRIM_400000_NS6detail17trampoline_kernelINS0_13select_configILj256ELj13ELNS0_17block_load_methodE3ELS4_3ELS4_3ELNS0_20block_scan_algorithmE0ELj4294967295EEENS1_25partition_config_selectorILNS1_17partition_subalgoE3EjNS0_10empty_typeEbEEZZNS1_14partition_implILS8_3ELb0ES6_jNS0_17counting_iteratorIjlEEPS9_SE_NS0_5tupleIJPjSE_EEENSF_IJSE_SE_EEES9_SG_JZNS1_25segmented_radix_sort_implINS0_14default_configELb0EPKhPhPKlPlN2at6native12_GLOBAL__N_18offset_tEEE10hipError_tPvRmT1_PNSt15iterator_traitsISY_E10value_typeET2_T3_PNSZ_IS14_E10value_typeET4_jRbjT5_S1A_jjP12ihipStream_tbEUljE_EEESV_SW_SX_S14_S18_S1A_T6_T7_T9_mT8_S1C_bDpT10_ENKUlT_T0_E_clISt17integral_constantIbLb0EES1P_EEDaS1K_S1L_EUlS1K_E_NS1_11comp_targetILNS1_3genE9ELNS1_11target_archE1100ELNS1_3gpuE3ELNS1_3repE0EEENS1_30default_config_static_selectorELNS0_4arch9wavefront6targetE0EEEvSY_
    .private_segment_fixed_size: 0
    .sgpr_count:     0
    .sgpr_spill_count: 0
    .symbol:         _ZN7rocprim17ROCPRIM_400000_NS6detail17trampoline_kernelINS0_13select_configILj256ELj13ELNS0_17block_load_methodE3ELS4_3ELS4_3ELNS0_20block_scan_algorithmE0ELj4294967295EEENS1_25partition_config_selectorILNS1_17partition_subalgoE3EjNS0_10empty_typeEbEEZZNS1_14partition_implILS8_3ELb0ES6_jNS0_17counting_iteratorIjlEEPS9_SE_NS0_5tupleIJPjSE_EEENSF_IJSE_SE_EEES9_SG_JZNS1_25segmented_radix_sort_implINS0_14default_configELb0EPKhPhPKlPlN2at6native12_GLOBAL__N_18offset_tEEE10hipError_tPvRmT1_PNSt15iterator_traitsISY_E10value_typeET2_T3_PNSZ_IS14_E10value_typeET4_jRbjT5_S1A_jjP12ihipStream_tbEUljE_EEESV_SW_SX_S14_S18_S1A_T6_T7_T9_mT8_S1C_bDpT10_ENKUlT_T0_E_clISt17integral_constantIbLb0EES1P_EEDaS1K_S1L_EUlS1K_E_NS1_11comp_targetILNS1_3genE9ELNS1_11target_archE1100ELNS1_3gpuE3ELNS1_3repE0EEENS1_30default_config_static_selectorELNS0_4arch9wavefront6targetE0EEEvSY_.kd
    .uniform_work_group_size: 1
    .uses_dynamic_stack: false
    .vgpr_count:     0
    .vgpr_spill_count: 0
    .wavefront_size: 32
    .workgroup_processor_mode: 1
  - .args:
      - .offset:         0
        .size:           144
        .value_kind:     by_value
    .group_segment_fixed_size: 13320
    .kernarg_segment_align: 8
    .kernarg_segment_size: 144
    .language:       OpenCL C
    .language_version:
      - 2
      - 0
    .max_flat_workgroup_size: 256
    .name:           _ZN7rocprim17ROCPRIM_400000_NS6detail17trampoline_kernelINS0_13select_configILj256ELj13ELNS0_17block_load_methodE3ELS4_3ELS4_3ELNS0_20block_scan_algorithmE0ELj4294967295EEENS1_25partition_config_selectorILNS1_17partition_subalgoE3EjNS0_10empty_typeEbEEZZNS1_14partition_implILS8_3ELb0ES6_jNS0_17counting_iteratorIjlEEPS9_SE_NS0_5tupleIJPjSE_EEENSF_IJSE_SE_EEES9_SG_JZNS1_25segmented_radix_sort_implINS0_14default_configELb0EPKhPhPKlPlN2at6native12_GLOBAL__N_18offset_tEEE10hipError_tPvRmT1_PNSt15iterator_traitsISY_E10value_typeET2_T3_PNSZ_IS14_E10value_typeET4_jRbjT5_S1A_jjP12ihipStream_tbEUljE_EEESV_SW_SX_S14_S18_S1A_T6_T7_T9_mT8_S1C_bDpT10_ENKUlT_T0_E_clISt17integral_constantIbLb0EES1P_EEDaS1K_S1L_EUlS1K_E_NS1_11comp_targetILNS1_3genE8ELNS1_11target_archE1030ELNS1_3gpuE2ELNS1_3repE0EEENS1_30default_config_static_selectorELNS0_4arch9wavefront6targetE0EEEvSY_
    .private_segment_fixed_size: 0
    .sgpr_count:     29
    .sgpr_spill_count: 0
    .symbol:         _ZN7rocprim17ROCPRIM_400000_NS6detail17trampoline_kernelINS0_13select_configILj256ELj13ELNS0_17block_load_methodE3ELS4_3ELS4_3ELNS0_20block_scan_algorithmE0ELj4294967295EEENS1_25partition_config_selectorILNS1_17partition_subalgoE3EjNS0_10empty_typeEbEEZZNS1_14partition_implILS8_3ELb0ES6_jNS0_17counting_iteratorIjlEEPS9_SE_NS0_5tupleIJPjSE_EEENSF_IJSE_SE_EEES9_SG_JZNS1_25segmented_radix_sort_implINS0_14default_configELb0EPKhPhPKlPlN2at6native12_GLOBAL__N_18offset_tEEE10hipError_tPvRmT1_PNSt15iterator_traitsISY_E10value_typeET2_T3_PNSZ_IS14_E10value_typeET4_jRbjT5_S1A_jjP12ihipStream_tbEUljE_EEESV_SW_SX_S14_S18_S1A_T6_T7_T9_mT8_S1C_bDpT10_ENKUlT_T0_E_clISt17integral_constantIbLb0EES1P_EEDaS1K_S1L_EUlS1K_E_NS1_11comp_targetILNS1_3genE8ELNS1_11target_archE1030ELNS1_3gpuE2ELNS1_3repE0EEENS1_30default_config_static_selectorELNS0_4arch9wavefront6targetE0EEEvSY_.kd
    .uniform_work_group_size: 1
    .uses_dynamic_stack: false
    .vgpr_count:     69
    .vgpr_spill_count: 0
    .wavefront_size: 32
    .workgroup_processor_mode: 1
  - .args:
      - .offset:         0
        .size:           152
        .value_kind:     by_value
    .group_segment_fixed_size: 0
    .kernarg_segment_align: 8
    .kernarg_segment_size: 152
    .language:       OpenCL C
    .language_version:
      - 2
      - 0
    .max_flat_workgroup_size: 256
    .name:           _ZN7rocprim17ROCPRIM_400000_NS6detail17trampoline_kernelINS0_13select_configILj256ELj13ELNS0_17block_load_methodE3ELS4_3ELS4_3ELNS0_20block_scan_algorithmE0ELj4294967295EEENS1_25partition_config_selectorILNS1_17partition_subalgoE3EjNS0_10empty_typeEbEEZZNS1_14partition_implILS8_3ELb0ES6_jNS0_17counting_iteratorIjlEEPS9_SE_NS0_5tupleIJPjSE_EEENSF_IJSE_SE_EEES9_SG_JZNS1_25segmented_radix_sort_implINS0_14default_configELb0EPKhPhPKlPlN2at6native12_GLOBAL__N_18offset_tEEE10hipError_tPvRmT1_PNSt15iterator_traitsISY_E10value_typeET2_T3_PNSZ_IS14_E10value_typeET4_jRbjT5_S1A_jjP12ihipStream_tbEUljE_EEESV_SW_SX_S14_S18_S1A_T6_T7_T9_mT8_S1C_bDpT10_ENKUlT_T0_E_clISt17integral_constantIbLb1EES1P_EEDaS1K_S1L_EUlS1K_E_NS1_11comp_targetILNS1_3genE0ELNS1_11target_archE4294967295ELNS1_3gpuE0ELNS1_3repE0EEENS1_30default_config_static_selectorELNS0_4arch9wavefront6targetE0EEEvSY_
    .private_segment_fixed_size: 0
    .sgpr_count:     0
    .sgpr_spill_count: 0
    .symbol:         _ZN7rocprim17ROCPRIM_400000_NS6detail17trampoline_kernelINS0_13select_configILj256ELj13ELNS0_17block_load_methodE3ELS4_3ELS4_3ELNS0_20block_scan_algorithmE0ELj4294967295EEENS1_25partition_config_selectorILNS1_17partition_subalgoE3EjNS0_10empty_typeEbEEZZNS1_14partition_implILS8_3ELb0ES6_jNS0_17counting_iteratorIjlEEPS9_SE_NS0_5tupleIJPjSE_EEENSF_IJSE_SE_EEES9_SG_JZNS1_25segmented_radix_sort_implINS0_14default_configELb0EPKhPhPKlPlN2at6native12_GLOBAL__N_18offset_tEEE10hipError_tPvRmT1_PNSt15iterator_traitsISY_E10value_typeET2_T3_PNSZ_IS14_E10value_typeET4_jRbjT5_S1A_jjP12ihipStream_tbEUljE_EEESV_SW_SX_S14_S18_S1A_T6_T7_T9_mT8_S1C_bDpT10_ENKUlT_T0_E_clISt17integral_constantIbLb1EES1P_EEDaS1K_S1L_EUlS1K_E_NS1_11comp_targetILNS1_3genE0ELNS1_11target_archE4294967295ELNS1_3gpuE0ELNS1_3repE0EEENS1_30default_config_static_selectorELNS0_4arch9wavefront6targetE0EEEvSY_.kd
    .uniform_work_group_size: 1
    .uses_dynamic_stack: false
    .vgpr_count:     0
    .vgpr_spill_count: 0
    .wavefront_size: 32
    .workgroup_processor_mode: 1
  - .args:
      - .offset:         0
        .size:           152
        .value_kind:     by_value
    .group_segment_fixed_size: 0
    .kernarg_segment_align: 8
    .kernarg_segment_size: 152
    .language:       OpenCL C
    .language_version:
      - 2
      - 0
    .max_flat_workgroup_size: 256
    .name:           _ZN7rocprim17ROCPRIM_400000_NS6detail17trampoline_kernelINS0_13select_configILj256ELj13ELNS0_17block_load_methodE3ELS4_3ELS4_3ELNS0_20block_scan_algorithmE0ELj4294967295EEENS1_25partition_config_selectorILNS1_17partition_subalgoE3EjNS0_10empty_typeEbEEZZNS1_14partition_implILS8_3ELb0ES6_jNS0_17counting_iteratorIjlEEPS9_SE_NS0_5tupleIJPjSE_EEENSF_IJSE_SE_EEES9_SG_JZNS1_25segmented_radix_sort_implINS0_14default_configELb0EPKhPhPKlPlN2at6native12_GLOBAL__N_18offset_tEEE10hipError_tPvRmT1_PNSt15iterator_traitsISY_E10value_typeET2_T3_PNSZ_IS14_E10value_typeET4_jRbjT5_S1A_jjP12ihipStream_tbEUljE_EEESV_SW_SX_S14_S18_S1A_T6_T7_T9_mT8_S1C_bDpT10_ENKUlT_T0_E_clISt17integral_constantIbLb1EES1P_EEDaS1K_S1L_EUlS1K_E_NS1_11comp_targetILNS1_3genE5ELNS1_11target_archE942ELNS1_3gpuE9ELNS1_3repE0EEENS1_30default_config_static_selectorELNS0_4arch9wavefront6targetE0EEEvSY_
    .private_segment_fixed_size: 0
    .sgpr_count:     0
    .sgpr_spill_count: 0
    .symbol:         _ZN7rocprim17ROCPRIM_400000_NS6detail17trampoline_kernelINS0_13select_configILj256ELj13ELNS0_17block_load_methodE3ELS4_3ELS4_3ELNS0_20block_scan_algorithmE0ELj4294967295EEENS1_25partition_config_selectorILNS1_17partition_subalgoE3EjNS0_10empty_typeEbEEZZNS1_14partition_implILS8_3ELb0ES6_jNS0_17counting_iteratorIjlEEPS9_SE_NS0_5tupleIJPjSE_EEENSF_IJSE_SE_EEES9_SG_JZNS1_25segmented_radix_sort_implINS0_14default_configELb0EPKhPhPKlPlN2at6native12_GLOBAL__N_18offset_tEEE10hipError_tPvRmT1_PNSt15iterator_traitsISY_E10value_typeET2_T3_PNSZ_IS14_E10value_typeET4_jRbjT5_S1A_jjP12ihipStream_tbEUljE_EEESV_SW_SX_S14_S18_S1A_T6_T7_T9_mT8_S1C_bDpT10_ENKUlT_T0_E_clISt17integral_constantIbLb1EES1P_EEDaS1K_S1L_EUlS1K_E_NS1_11comp_targetILNS1_3genE5ELNS1_11target_archE942ELNS1_3gpuE9ELNS1_3repE0EEENS1_30default_config_static_selectorELNS0_4arch9wavefront6targetE0EEEvSY_.kd
    .uniform_work_group_size: 1
    .uses_dynamic_stack: false
    .vgpr_count:     0
    .vgpr_spill_count: 0
    .wavefront_size: 32
    .workgroup_processor_mode: 1
  - .args:
      - .offset:         0
        .size:           152
        .value_kind:     by_value
    .group_segment_fixed_size: 0
    .kernarg_segment_align: 8
    .kernarg_segment_size: 152
    .language:       OpenCL C
    .language_version:
      - 2
      - 0
    .max_flat_workgroup_size: 256
    .name:           _ZN7rocprim17ROCPRIM_400000_NS6detail17trampoline_kernelINS0_13select_configILj256ELj13ELNS0_17block_load_methodE3ELS4_3ELS4_3ELNS0_20block_scan_algorithmE0ELj4294967295EEENS1_25partition_config_selectorILNS1_17partition_subalgoE3EjNS0_10empty_typeEbEEZZNS1_14partition_implILS8_3ELb0ES6_jNS0_17counting_iteratorIjlEEPS9_SE_NS0_5tupleIJPjSE_EEENSF_IJSE_SE_EEES9_SG_JZNS1_25segmented_radix_sort_implINS0_14default_configELb0EPKhPhPKlPlN2at6native12_GLOBAL__N_18offset_tEEE10hipError_tPvRmT1_PNSt15iterator_traitsISY_E10value_typeET2_T3_PNSZ_IS14_E10value_typeET4_jRbjT5_S1A_jjP12ihipStream_tbEUljE_EEESV_SW_SX_S14_S18_S1A_T6_T7_T9_mT8_S1C_bDpT10_ENKUlT_T0_E_clISt17integral_constantIbLb1EES1P_EEDaS1K_S1L_EUlS1K_E_NS1_11comp_targetILNS1_3genE4ELNS1_11target_archE910ELNS1_3gpuE8ELNS1_3repE0EEENS1_30default_config_static_selectorELNS0_4arch9wavefront6targetE0EEEvSY_
    .private_segment_fixed_size: 0
    .sgpr_count:     0
    .sgpr_spill_count: 0
    .symbol:         _ZN7rocprim17ROCPRIM_400000_NS6detail17trampoline_kernelINS0_13select_configILj256ELj13ELNS0_17block_load_methodE3ELS4_3ELS4_3ELNS0_20block_scan_algorithmE0ELj4294967295EEENS1_25partition_config_selectorILNS1_17partition_subalgoE3EjNS0_10empty_typeEbEEZZNS1_14partition_implILS8_3ELb0ES6_jNS0_17counting_iteratorIjlEEPS9_SE_NS0_5tupleIJPjSE_EEENSF_IJSE_SE_EEES9_SG_JZNS1_25segmented_radix_sort_implINS0_14default_configELb0EPKhPhPKlPlN2at6native12_GLOBAL__N_18offset_tEEE10hipError_tPvRmT1_PNSt15iterator_traitsISY_E10value_typeET2_T3_PNSZ_IS14_E10value_typeET4_jRbjT5_S1A_jjP12ihipStream_tbEUljE_EEESV_SW_SX_S14_S18_S1A_T6_T7_T9_mT8_S1C_bDpT10_ENKUlT_T0_E_clISt17integral_constantIbLb1EES1P_EEDaS1K_S1L_EUlS1K_E_NS1_11comp_targetILNS1_3genE4ELNS1_11target_archE910ELNS1_3gpuE8ELNS1_3repE0EEENS1_30default_config_static_selectorELNS0_4arch9wavefront6targetE0EEEvSY_.kd
    .uniform_work_group_size: 1
    .uses_dynamic_stack: false
    .vgpr_count:     0
    .vgpr_spill_count: 0
    .wavefront_size: 32
    .workgroup_processor_mode: 1
  - .args:
      - .offset:         0
        .size:           152
        .value_kind:     by_value
    .group_segment_fixed_size: 0
    .kernarg_segment_align: 8
    .kernarg_segment_size: 152
    .language:       OpenCL C
    .language_version:
      - 2
      - 0
    .max_flat_workgroup_size: 256
    .name:           _ZN7rocprim17ROCPRIM_400000_NS6detail17trampoline_kernelINS0_13select_configILj256ELj13ELNS0_17block_load_methodE3ELS4_3ELS4_3ELNS0_20block_scan_algorithmE0ELj4294967295EEENS1_25partition_config_selectorILNS1_17partition_subalgoE3EjNS0_10empty_typeEbEEZZNS1_14partition_implILS8_3ELb0ES6_jNS0_17counting_iteratorIjlEEPS9_SE_NS0_5tupleIJPjSE_EEENSF_IJSE_SE_EEES9_SG_JZNS1_25segmented_radix_sort_implINS0_14default_configELb0EPKhPhPKlPlN2at6native12_GLOBAL__N_18offset_tEEE10hipError_tPvRmT1_PNSt15iterator_traitsISY_E10value_typeET2_T3_PNSZ_IS14_E10value_typeET4_jRbjT5_S1A_jjP12ihipStream_tbEUljE_EEESV_SW_SX_S14_S18_S1A_T6_T7_T9_mT8_S1C_bDpT10_ENKUlT_T0_E_clISt17integral_constantIbLb1EES1P_EEDaS1K_S1L_EUlS1K_E_NS1_11comp_targetILNS1_3genE3ELNS1_11target_archE908ELNS1_3gpuE7ELNS1_3repE0EEENS1_30default_config_static_selectorELNS0_4arch9wavefront6targetE0EEEvSY_
    .private_segment_fixed_size: 0
    .sgpr_count:     0
    .sgpr_spill_count: 0
    .symbol:         _ZN7rocprim17ROCPRIM_400000_NS6detail17trampoline_kernelINS0_13select_configILj256ELj13ELNS0_17block_load_methodE3ELS4_3ELS4_3ELNS0_20block_scan_algorithmE0ELj4294967295EEENS1_25partition_config_selectorILNS1_17partition_subalgoE3EjNS0_10empty_typeEbEEZZNS1_14partition_implILS8_3ELb0ES6_jNS0_17counting_iteratorIjlEEPS9_SE_NS0_5tupleIJPjSE_EEENSF_IJSE_SE_EEES9_SG_JZNS1_25segmented_radix_sort_implINS0_14default_configELb0EPKhPhPKlPlN2at6native12_GLOBAL__N_18offset_tEEE10hipError_tPvRmT1_PNSt15iterator_traitsISY_E10value_typeET2_T3_PNSZ_IS14_E10value_typeET4_jRbjT5_S1A_jjP12ihipStream_tbEUljE_EEESV_SW_SX_S14_S18_S1A_T6_T7_T9_mT8_S1C_bDpT10_ENKUlT_T0_E_clISt17integral_constantIbLb1EES1P_EEDaS1K_S1L_EUlS1K_E_NS1_11comp_targetILNS1_3genE3ELNS1_11target_archE908ELNS1_3gpuE7ELNS1_3repE0EEENS1_30default_config_static_selectorELNS0_4arch9wavefront6targetE0EEEvSY_.kd
    .uniform_work_group_size: 1
    .uses_dynamic_stack: false
    .vgpr_count:     0
    .vgpr_spill_count: 0
    .wavefront_size: 32
    .workgroup_processor_mode: 1
  - .args:
      - .offset:         0
        .size:           152
        .value_kind:     by_value
    .group_segment_fixed_size: 0
    .kernarg_segment_align: 8
    .kernarg_segment_size: 152
    .language:       OpenCL C
    .language_version:
      - 2
      - 0
    .max_flat_workgroup_size: 256
    .name:           _ZN7rocprim17ROCPRIM_400000_NS6detail17trampoline_kernelINS0_13select_configILj256ELj13ELNS0_17block_load_methodE3ELS4_3ELS4_3ELNS0_20block_scan_algorithmE0ELj4294967295EEENS1_25partition_config_selectorILNS1_17partition_subalgoE3EjNS0_10empty_typeEbEEZZNS1_14partition_implILS8_3ELb0ES6_jNS0_17counting_iteratorIjlEEPS9_SE_NS0_5tupleIJPjSE_EEENSF_IJSE_SE_EEES9_SG_JZNS1_25segmented_radix_sort_implINS0_14default_configELb0EPKhPhPKlPlN2at6native12_GLOBAL__N_18offset_tEEE10hipError_tPvRmT1_PNSt15iterator_traitsISY_E10value_typeET2_T3_PNSZ_IS14_E10value_typeET4_jRbjT5_S1A_jjP12ihipStream_tbEUljE_EEESV_SW_SX_S14_S18_S1A_T6_T7_T9_mT8_S1C_bDpT10_ENKUlT_T0_E_clISt17integral_constantIbLb1EES1P_EEDaS1K_S1L_EUlS1K_E_NS1_11comp_targetILNS1_3genE2ELNS1_11target_archE906ELNS1_3gpuE6ELNS1_3repE0EEENS1_30default_config_static_selectorELNS0_4arch9wavefront6targetE0EEEvSY_
    .private_segment_fixed_size: 0
    .sgpr_count:     0
    .sgpr_spill_count: 0
    .symbol:         _ZN7rocprim17ROCPRIM_400000_NS6detail17trampoline_kernelINS0_13select_configILj256ELj13ELNS0_17block_load_methodE3ELS4_3ELS4_3ELNS0_20block_scan_algorithmE0ELj4294967295EEENS1_25partition_config_selectorILNS1_17partition_subalgoE3EjNS0_10empty_typeEbEEZZNS1_14partition_implILS8_3ELb0ES6_jNS0_17counting_iteratorIjlEEPS9_SE_NS0_5tupleIJPjSE_EEENSF_IJSE_SE_EEES9_SG_JZNS1_25segmented_radix_sort_implINS0_14default_configELb0EPKhPhPKlPlN2at6native12_GLOBAL__N_18offset_tEEE10hipError_tPvRmT1_PNSt15iterator_traitsISY_E10value_typeET2_T3_PNSZ_IS14_E10value_typeET4_jRbjT5_S1A_jjP12ihipStream_tbEUljE_EEESV_SW_SX_S14_S18_S1A_T6_T7_T9_mT8_S1C_bDpT10_ENKUlT_T0_E_clISt17integral_constantIbLb1EES1P_EEDaS1K_S1L_EUlS1K_E_NS1_11comp_targetILNS1_3genE2ELNS1_11target_archE906ELNS1_3gpuE6ELNS1_3repE0EEENS1_30default_config_static_selectorELNS0_4arch9wavefront6targetE0EEEvSY_.kd
    .uniform_work_group_size: 1
    .uses_dynamic_stack: false
    .vgpr_count:     0
    .vgpr_spill_count: 0
    .wavefront_size: 32
    .workgroup_processor_mode: 1
  - .args:
      - .offset:         0
        .size:           152
        .value_kind:     by_value
    .group_segment_fixed_size: 0
    .kernarg_segment_align: 8
    .kernarg_segment_size: 152
    .language:       OpenCL C
    .language_version:
      - 2
      - 0
    .max_flat_workgroup_size: 256
    .name:           _ZN7rocprim17ROCPRIM_400000_NS6detail17trampoline_kernelINS0_13select_configILj256ELj13ELNS0_17block_load_methodE3ELS4_3ELS4_3ELNS0_20block_scan_algorithmE0ELj4294967295EEENS1_25partition_config_selectorILNS1_17partition_subalgoE3EjNS0_10empty_typeEbEEZZNS1_14partition_implILS8_3ELb0ES6_jNS0_17counting_iteratorIjlEEPS9_SE_NS0_5tupleIJPjSE_EEENSF_IJSE_SE_EEES9_SG_JZNS1_25segmented_radix_sort_implINS0_14default_configELb0EPKhPhPKlPlN2at6native12_GLOBAL__N_18offset_tEEE10hipError_tPvRmT1_PNSt15iterator_traitsISY_E10value_typeET2_T3_PNSZ_IS14_E10value_typeET4_jRbjT5_S1A_jjP12ihipStream_tbEUljE_EEESV_SW_SX_S14_S18_S1A_T6_T7_T9_mT8_S1C_bDpT10_ENKUlT_T0_E_clISt17integral_constantIbLb1EES1P_EEDaS1K_S1L_EUlS1K_E_NS1_11comp_targetILNS1_3genE10ELNS1_11target_archE1200ELNS1_3gpuE4ELNS1_3repE0EEENS1_30default_config_static_selectorELNS0_4arch9wavefront6targetE0EEEvSY_
    .private_segment_fixed_size: 0
    .sgpr_count:     0
    .sgpr_spill_count: 0
    .symbol:         _ZN7rocprim17ROCPRIM_400000_NS6detail17trampoline_kernelINS0_13select_configILj256ELj13ELNS0_17block_load_methodE3ELS4_3ELS4_3ELNS0_20block_scan_algorithmE0ELj4294967295EEENS1_25partition_config_selectorILNS1_17partition_subalgoE3EjNS0_10empty_typeEbEEZZNS1_14partition_implILS8_3ELb0ES6_jNS0_17counting_iteratorIjlEEPS9_SE_NS0_5tupleIJPjSE_EEENSF_IJSE_SE_EEES9_SG_JZNS1_25segmented_radix_sort_implINS0_14default_configELb0EPKhPhPKlPlN2at6native12_GLOBAL__N_18offset_tEEE10hipError_tPvRmT1_PNSt15iterator_traitsISY_E10value_typeET2_T3_PNSZ_IS14_E10value_typeET4_jRbjT5_S1A_jjP12ihipStream_tbEUljE_EEESV_SW_SX_S14_S18_S1A_T6_T7_T9_mT8_S1C_bDpT10_ENKUlT_T0_E_clISt17integral_constantIbLb1EES1P_EEDaS1K_S1L_EUlS1K_E_NS1_11comp_targetILNS1_3genE10ELNS1_11target_archE1200ELNS1_3gpuE4ELNS1_3repE0EEENS1_30default_config_static_selectorELNS0_4arch9wavefront6targetE0EEEvSY_.kd
    .uniform_work_group_size: 1
    .uses_dynamic_stack: false
    .vgpr_count:     0
    .vgpr_spill_count: 0
    .wavefront_size: 32
    .workgroup_processor_mode: 1
  - .args:
      - .offset:         0
        .size:           152
        .value_kind:     by_value
    .group_segment_fixed_size: 0
    .kernarg_segment_align: 8
    .kernarg_segment_size: 152
    .language:       OpenCL C
    .language_version:
      - 2
      - 0
    .max_flat_workgroup_size: 256
    .name:           _ZN7rocprim17ROCPRIM_400000_NS6detail17trampoline_kernelINS0_13select_configILj256ELj13ELNS0_17block_load_methodE3ELS4_3ELS4_3ELNS0_20block_scan_algorithmE0ELj4294967295EEENS1_25partition_config_selectorILNS1_17partition_subalgoE3EjNS0_10empty_typeEbEEZZNS1_14partition_implILS8_3ELb0ES6_jNS0_17counting_iteratorIjlEEPS9_SE_NS0_5tupleIJPjSE_EEENSF_IJSE_SE_EEES9_SG_JZNS1_25segmented_radix_sort_implINS0_14default_configELb0EPKhPhPKlPlN2at6native12_GLOBAL__N_18offset_tEEE10hipError_tPvRmT1_PNSt15iterator_traitsISY_E10value_typeET2_T3_PNSZ_IS14_E10value_typeET4_jRbjT5_S1A_jjP12ihipStream_tbEUljE_EEESV_SW_SX_S14_S18_S1A_T6_T7_T9_mT8_S1C_bDpT10_ENKUlT_T0_E_clISt17integral_constantIbLb1EES1P_EEDaS1K_S1L_EUlS1K_E_NS1_11comp_targetILNS1_3genE9ELNS1_11target_archE1100ELNS1_3gpuE3ELNS1_3repE0EEENS1_30default_config_static_selectorELNS0_4arch9wavefront6targetE0EEEvSY_
    .private_segment_fixed_size: 0
    .sgpr_count:     0
    .sgpr_spill_count: 0
    .symbol:         _ZN7rocprim17ROCPRIM_400000_NS6detail17trampoline_kernelINS0_13select_configILj256ELj13ELNS0_17block_load_methodE3ELS4_3ELS4_3ELNS0_20block_scan_algorithmE0ELj4294967295EEENS1_25partition_config_selectorILNS1_17partition_subalgoE3EjNS0_10empty_typeEbEEZZNS1_14partition_implILS8_3ELb0ES6_jNS0_17counting_iteratorIjlEEPS9_SE_NS0_5tupleIJPjSE_EEENSF_IJSE_SE_EEES9_SG_JZNS1_25segmented_radix_sort_implINS0_14default_configELb0EPKhPhPKlPlN2at6native12_GLOBAL__N_18offset_tEEE10hipError_tPvRmT1_PNSt15iterator_traitsISY_E10value_typeET2_T3_PNSZ_IS14_E10value_typeET4_jRbjT5_S1A_jjP12ihipStream_tbEUljE_EEESV_SW_SX_S14_S18_S1A_T6_T7_T9_mT8_S1C_bDpT10_ENKUlT_T0_E_clISt17integral_constantIbLb1EES1P_EEDaS1K_S1L_EUlS1K_E_NS1_11comp_targetILNS1_3genE9ELNS1_11target_archE1100ELNS1_3gpuE3ELNS1_3repE0EEENS1_30default_config_static_selectorELNS0_4arch9wavefront6targetE0EEEvSY_.kd
    .uniform_work_group_size: 1
    .uses_dynamic_stack: false
    .vgpr_count:     0
    .vgpr_spill_count: 0
    .wavefront_size: 32
    .workgroup_processor_mode: 1
  - .args:
      - .offset:         0
        .size:           152
        .value_kind:     by_value
    .group_segment_fixed_size: 0
    .kernarg_segment_align: 8
    .kernarg_segment_size: 152
    .language:       OpenCL C
    .language_version:
      - 2
      - 0
    .max_flat_workgroup_size: 256
    .name:           _ZN7rocprim17ROCPRIM_400000_NS6detail17trampoline_kernelINS0_13select_configILj256ELj13ELNS0_17block_load_methodE3ELS4_3ELS4_3ELNS0_20block_scan_algorithmE0ELj4294967295EEENS1_25partition_config_selectorILNS1_17partition_subalgoE3EjNS0_10empty_typeEbEEZZNS1_14partition_implILS8_3ELb0ES6_jNS0_17counting_iteratorIjlEEPS9_SE_NS0_5tupleIJPjSE_EEENSF_IJSE_SE_EEES9_SG_JZNS1_25segmented_radix_sort_implINS0_14default_configELb0EPKhPhPKlPlN2at6native12_GLOBAL__N_18offset_tEEE10hipError_tPvRmT1_PNSt15iterator_traitsISY_E10value_typeET2_T3_PNSZ_IS14_E10value_typeET4_jRbjT5_S1A_jjP12ihipStream_tbEUljE_EEESV_SW_SX_S14_S18_S1A_T6_T7_T9_mT8_S1C_bDpT10_ENKUlT_T0_E_clISt17integral_constantIbLb1EES1P_EEDaS1K_S1L_EUlS1K_E_NS1_11comp_targetILNS1_3genE8ELNS1_11target_archE1030ELNS1_3gpuE2ELNS1_3repE0EEENS1_30default_config_static_selectorELNS0_4arch9wavefront6targetE0EEEvSY_
    .private_segment_fixed_size: 0
    .sgpr_count:     0
    .sgpr_spill_count: 0
    .symbol:         _ZN7rocprim17ROCPRIM_400000_NS6detail17trampoline_kernelINS0_13select_configILj256ELj13ELNS0_17block_load_methodE3ELS4_3ELS4_3ELNS0_20block_scan_algorithmE0ELj4294967295EEENS1_25partition_config_selectorILNS1_17partition_subalgoE3EjNS0_10empty_typeEbEEZZNS1_14partition_implILS8_3ELb0ES6_jNS0_17counting_iteratorIjlEEPS9_SE_NS0_5tupleIJPjSE_EEENSF_IJSE_SE_EEES9_SG_JZNS1_25segmented_radix_sort_implINS0_14default_configELb0EPKhPhPKlPlN2at6native12_GLOBAL__N_18offset_tEEE10hipError_tPvRmT1_PNSt15iterator_traitsISY_E10value_typeET2_T3_PNSZ_IS14_E10value_typeET4_jRbjT5_S1A_jjP12ihipStream_tbEUljE_EEESV_SW_SX_S14_S18_S1A_T6_T7_T9_mT8_S1C_bDpT10_ENKUlT_T0_E_clISt17integral_constantIbLb1EES1P_EEDaS1K_S1L_EUlS1K_E_NS1_11comp_targetILNS1_3genE8ELNS1_11target_archE1030ELNS1_3gpuE2ELNS1_3repE0EEENS1_30default_config_static_selectorELNS0_4arch9wavefront6targetE0EEEvSY_.kd
    .uniform_work_group_size: 1
    .uses_dynamic_stack: false
    .vgpr_count:     0
    .vgpr_spill_count: 0
    .wavefront_size: 32
    .workgroup_processor_mode: 1
  - .args:
      - .offset:         0
        .size:           144
        .value_kind:     by_value
    .group_segment_fixed_size: 0
    .kernarg_segment_align: 8
    .kernarg_segment_size: 144
    .language:       OpenCL C
    .language_version:
      - 2
      - 0
    .max_flat_workgroup_size: 256
    .name:           _ZN7rocprim17ROCPRIM_400000_NS6detail17trampoline_kernelINS0_13select_configILj256ELj13ELNS0_17block_load_methodE3ELS4_3ELS4_3ELNS0_20block_scan_algorithmE0ELj4294967295EEENS1_25partition_config_selectorILNS1_17partition_subalgoE3EjNS0_10empty_typeEbEEZZNS1_14partition_implILS8_3ELb0ES6_jNS0_17counting_iteratorIjlEEPS9_SE_NS0_5tupleIJPjSE_EEENSF_IJSE_SE_EEES9_SG_JZNS1_25segmented_radix_sort_implINS0_14default_configELb0EPKhPhPKlPlN2at6native12_GLOBAL__N_18offset_tEEE10hipError_tPvRmT1_PNSt15iterator_traitsISY_E10value_typeET2_T3_PNSZ_IS14_E10value_typeET4_jRbjT5_S1A_jjP12ihipStream_tbEUljE_EEESV_SW_SX_S14_S18_S1A_T6_T7_T9_mT8_S1C_bDpT10_ENKUlT_T0_E_clISt17integral_constantIbLb1EES1O_IbLb0EEEEDaS1K_S1L_EUlS1K_E_NS1_11comp_targetILNS1_3genE0ELNS1_11target_archE4294967295ELNS1_3gpuE0ELNS1_3repE0EEENS1_30default_config_static_selectorELNS0_4arch9wavefront6targetE0EEEvSY_
    .private_segment_fixed_size: 0
    .sgpr_count:     0
    .sgpr_spill_count: 0
    .symbol:         _ZN7rocprim17ROCPRIM_400000_NS6detail17trampoline_kernelINS0_13select_configILj256ELj13ELNS0_17block_load_methodE3ELS4_3ELS4_3ELNS0_20block_scan_algorithmE0ELj4294967295EEENS1_25partition_config_selectorILNS1_17partition_subalgoE3EjNS0_10empty_typeEbEEZZNS1_14partition_implILS8_3ELb0ES6_jNS0_17counting_iteratorIjlEEPS9_SE_NS0_5tupleIJPjSE_EEENSF_IJSE_SE_EEES9_SG_JZNS1_25segmented_radix_sort_implINS0_14default_configELb0EPKhPhPKlPlN2at6native12_GLOBAL__N_18offset_tEEE10hipError_tPvRmT1_PNSt15iterator_traitsISY_E10value_typeET2_T3_PNSZ_IS14_E10value_typeET4_jRbjT5_S1A_jjP12ihipStream_tbEUljE_EEESV_SW_SX_S14_S18_S1A_T6_T7_T9_mT8_S1C_bDpT10_ENKUlT_T0_E_clISt17integral_constantIbLb1EES1O_IbLb0EEEEDaS1K_S1L_EUlS1K_E_NS1_11comp_targetILNS1_3genE0ELNS1_11target_archE4294967295ELNS1_3gpuE0ELNS1_3repE0EEENS1_30default_config_static_selectorELNS0_4arch9wavefront6targetE0EEEvSY_.kd
    .uniform_work_group_size: 1
    .uses_dynamic_stack: false
    .vgpr_count:     0
    .vgpr_spill_count: 0
    .wavefront_size: 32
    .workgroup_processor_mode: 1
  - .args:
      - .offset:         0
        .size:           144
        .value_kind:     by_value
    .group_segment_fixed_size: 0
    .kernarg_segment_align: 8
    .kernarg_segment_size: 144
    .language:       OpenCL C
    .language_version:
      - 2
      - 0
    .max_flat_workgroup_size: 256
    .name:           _ZN7rocprim17ROCPRIM_400000_NS6detail17trampoline_kernelINS0_13select_configILj256ELj13ELNS0_17block_load_methodE3ELS4_3ELS4_3ELNS0_20block_scan_algorithmE0ELj4294967295EEENS1_25partition_config_selectorILNS1_17partition_subalgoE3EjNS0_10empty_typeEbEEZZNS1_14partition_implILS8_3ELb0ES6_jNS0_17counting_iteratorIjlEEPS9_SE_NS0_5tupleIJPjSE_EEENSF_IJSE_SE_EEES9_SG_JZNS1_25segmented_radix_sort_implINS0_14default_configELb0EPKhPhPKlPlN2at6native12_GLOBAL__N_18offset_tEEE10hipError_tPvRmT1_PNSt15iterator_traitsISY_E10value_typeET2_T3_PNSZ_IS14_E10value_typeET4_jRbjT5_S1A_jjP12ihipStream_tbEUljE_EEESV_SW_SX_S14_S18_S1A_T6_T7_T9_mT8_S1C_bDpT10_ENKUlT_T0_E_clISt17integral_constantIbLb1EES1O_IbLb0EEEEDaS1K_S1L_EUlS1K_E_NS1_11comp_targetILNS1_3genE5ELNS1_11target_archE942ELNS1_3gpuE9ELNS1_3repE0EEENS1_30default_config_static_selectorELNS0_4arch9wavefront6targetE0EEEvSY_
    .private_segment_fixed_size: 0
    .sgpr_count:     0
    .sgpr_spill_count: 0
    .symbol:         _ZN7rocprim17ROCPRIM_400000_NS6detail17trampoline_kernelINS0_13select_configILj256ELj13ELNS0_17block_load_methodE3ELS4_3ELS4_3ELNS0_20block_scan_algorithmE0ELj4294967295EEENS1_25partition_config_selectorILNS1_17partition_subalgoE3EjNS0_10empty_typeEbEEZZNS1_14partition_implILS8_3ELb0ES6_jNS0_17counting_iteratorIjlEEPS9_SE_NS0_5tupleIJPjSE_EEENSF_IJSE_SE_EEES9_SG_JZNS1_25segmented_radix_sort_implINS0_14default_configELb0EPKhPhPKlPlN2at6native12_GLOBAL__N_18offset_tEEE10hipError_tPvRmT1_PNSt15iterator_traitsISY_E10value_typeET2_T3_PNSZ_IS14_E10value_typeET4_jRbjT5_S1A_jjP12ihipStream_tbEUljE_EEESV_SW_SX_S14_S18_S1A_T6_T7_T9_mT8_S1C_bDpT10_ENKUlT_T0_E_clISt17integral_constantIbLb1EES1O_IbLb0EEEEDaS1K_S1L_EUlS1K_E_NS1_11comp_targetILNS1_3genE5ELNS1_11target_archE942ELNS1_3gpuE9ELNS1_3repE0EEENS1_30default_config_static_selectorELNS0_4arch9wavefront6targetE0EEEvSY_.kd
    .uniform_work_group_size: 1
    .uses_dynamic_stack: false
    .vgpr_count:     0
    .vgpr_spill_count: 0
    .wavefront_size: 32
    .workgroup_processor_mode: 1
  - .args:
      - .offset:         0
        .size:           144
        .value_kind:     by_value
    .group_segment_fixed_size: 0
    .kernarg_segment_align: 8
    .kernarg_segment_size: 144
    .language:       OpenCL C
    .language_version:
      - 2
      - 0
    .max_flat_workgroup_size: 256
    .name:           _ZN7rocprim17ROCPRIM_400000_NS6detail17trampoline_kernelINS0_13select_configILj256ELj13ELNS0_17block_load_methodE3ELS4_3ELS4_3ELNS0_20block_scan_algorithmE0ELj4294967295EEENS1_25partition_config_selectorILNS1_17partition_subalgoE3EjNS0_10empty_typeEbEEZZNS1_14partition_implILS8_3ELb0ES6_jNS0_17counting_iteratorIjlEEPS9_SE_NS0_5tupleIJPjSE_EEENSF_IJSE_SE_EEES9_SG_JZNS1_25segmented_radix_sort_implINS0_14default_configELb0EPKhPhPKlPlN2at6native12_GLOBAL__N_18offset_tEEE10hipError_tPvRmT1_PNSt15iterator_traitsISY_E10value_typeET2_T3_PNSZ_IS14_E10value_typeET4_jRbjT5_S1A_jjP12ihipStream_tbEUljE_EEESV_SW_SX_S14_S18_S1A_T6_T7_T9_mT8_S1C_bDpT10_ENKUlT_T0_E_clISt17integral_constantIbLb1EES1O_IbLb0EEEEDaS1K_S1L_EUlS1K_E_NS1_11comp_targetILNS1_3genE4ELNS1_11target_archE910ELNS1_3gpuE8ELNS1_3repE0EEENS1_30default_config_static_selectorELNS0_4arch9wavefront6targetE0EEEvSY_
    .private_segment_fixed_size: 0
    .sgpr_count:     0
    .sgpr_spill_count: 0
    .symbol:         _ZN7rocprim17ROCPRIM_400000_NS6detail17trampoline_kernelINS0_13select_configILj256ELj13ELNS0_17block_load_methodE3ELS4_3ELS4_3ELNS0_20block_scan_algorithmE0ELj4294967295EEENS1_25partition_config_selectorILNS1_17partition_subalgoE3EjNS0_10empty_typeEbEEZZNS1_14partition_implILS8_3ELb0ES6_jNS0_17counting_iteratorIjlEEPS9_SE_NS0_5tupleIJPjSE_EEENSF_IJSE_SE_EEES9_SG_JZNS1_25segmented_radix_sort_implINS0_14default_configELb0EPKhPhPKlPlN2at6native12_GLOBAL__N_18offset_tEEE10hipError_tPvRmT1_PNSt15iterator_traitsISY_E10value_typeET2_T3_PNSZ_IS14_E10value_typeET4_jRbjT5_S1A_jjP12ihipStream_tbEUljE_EEESV_SW_SX_S14_S18_S1A_T6_T7_T9_mT8_S1C_bDpT10_ENKUlT_T0_E_clISt17integral_constantIbLb1EES1O_IbLb0EEEEDaS1K_S1L_EUlS1K_E_NS1_11comp_targetILNS1_3genE4ELNS1_11target_archE910ELNS1_3gpuE8ELNS1_3repE0EEENS1_30default_config_static_selectorELNS0_4arch9wavefront6targetE0EEEvSY_.kd
    .uniform_work_group_size: 1
    .uses_dynamic_stack: false
    .vgpr_count:     0
    .vgpr_spill_count: 0
    .wavefront_size: 32
    .workgroup_processor_mode: 1
  - .args:
      - .offset:         0
        .size:           144
        .value_kind:     by_value
    .group_segment_fixed_size: 0
    .kernarg_segment_align: 8
    .kernarg_segment_size: 144
    .language:       OpenCL C
    .language_version:
      - 2
      - 0
    .max_flat_workgroup_size: 256
    .name:           _ZN7rocprim17ROCPRIM_400000_NS6detail17trampoline_kernelINS0_13select_configILj256ELj13ELNS0_17block_load_methodE3ELS4_3ELS4_3ELNS0_20block_scan_algorithmE0ELj4294967295EEENS1_25partition_config_selectorILNS1_17partition_subalgoE3EjNS0_10empty_typeEbEEZZNS1_14partition_implILS8_3ELb0ES6_jNS0_17counting_iteratorIjlEEPS9_SE_NS0_5tupleIJPjSE_EEENSF_IJSE_SE_EEES9_SG_JZNS1_25segmented_radix_sort_implINS0_14default_configELb0EPKhPhPKlPlN2at6native12_GLOBAL__N_18offset_tEEE10hipError_tPvRmT1_PNSt15iterator_traitsISY_E10value_typeET2_T3_PNSZ_IS14_E10value_typeET4_jRbjT5_S1A_jjP12ihipStream_tbEUljE_EEESV_SW_SX_S14_S18_S1A_T6_T7_T9_mT8_S1C_bDpT10_ENKUlT_T0_E_clISt17integral_constantIbLb1EES1O_IbLb0EEEEDaS1K_S1L_EUlS1K_E_NS1_11comp_targetILNS1_3genE3ELNS1_11target_archE908ELNS1_3gpuE7ELNS1_3repE0EEENS1_30default_config_static_selectorELNS0_4arch9wavefront6targetE0EEEvSY_
    .private_segment_fixed_size: 0
    .sgpr_count:     0
    .sgpr_spill_count: 0
    .symbol:         _ZN7rocprim17ROCPRIM_400000_NS6detail17trampoline_kernelINS0_13select_configILj256ELj13ELNS0_17block_load_methodE3ELS4_3ELS4_3ELNS0_20block_scan_algorithmE0ELj4294967295EEENS1_25partition_config_selectorILNS1_17partition_subalgoE3EjNS0_10empty_typeEbEEZZNS1_14partition_implILS8_3ELb0ES6_jNS0_17counting_iteratorIjlEEPS9_SE_NS0_5tupleIJPjSE_EEENSF_IJSE_SE_EEES9_SG_JZNS1_25segmented_radix_sort_implINS0_14default_configELb0EPKhPhPKlPlN2at6native12_GLOBAL__N_18offset_tEEE10hipError_tPvRmT1_PNSt15iterator_traitsISY_E10value_typeET2_T3_PNSZ_IS14_E10value_typeET4_jRbjT5_S1A_jjP12ihipStream_tbEUljE_EEESV_SW_SX_S14_S18_S1A_T6_T7_T9_mT8_S1C_bDpT10_ENKUlT_T0_E_clISt17integral_constantIbLb1EES1O_IbLb0EEEEDaS1K_S1L_EUlS1K_E_NS1_11comp_targetILNS1_3genE3ELNS1_11target_archE908ELNS1_3gpuE7ELNS1_3repE0EEENS1_30default_config_static_selectorELNS0_4arch9wavefront6targetE0EEEvSY_.kd
    .uniform_work_group_size: 1
    .uses_dynamic_stack: false
    .vgpr_count:     0
    .vgpr_spill_count: 0
    .wavefront_size: 32
    .workgroup_processor_mode: 1
  - .args:
      - .offset:         0
        .size:           144
        .value_kind:     by_value
    .group_segment_fixed_size: 0
    .kernarg_segment_align: 8
    .kernarg_segment_size: 144
    .language:       OpenCL C
    .language_version:
      - 2
      - 0
    .max_flat_workgroup_size: 256
    .name:           _ZN7rocprim17ROCPRIM_400000_NS6detail17trampoline_kernelINS0_13select_configILj256ELj13ELNS0_17block_load_methodE3ELS4_3ELS4_3ELNS0_20block_scan_algorithmE0ELj4294967295EEENS1_25partition_config_selectorILNS1_17partition_subalgoE3EjNS0_10empty_typeEbEEZZNS1_14partition_implILS8_3ELb0ES6_jNS0_17counting_iteratorIjlEEPS9_SE_NS0_5tupleIJPjSE_EEENSF_IJSE_SE_EEES9_SG_JZNS1_25segmented_radix_sort_implINS0_14default_configELb0EPKhPhPKlPlN2at6native12_GLOBAL__N_18offset_tEEE10hipError_tPvRmT1_PNSt15iterator_traitsISY_E10value_typeET2_T3_PNSZ_IS14_E10value_typeET4_jRbjT5_S1A_jjP12ihipStream_tbEUljE_EEESV_SW_SX_S14_S18_S1A_T6_T7_T9_mT8_S1C_bDpT10_ENKUlT_T0_E_clISt17integral_constantIbLb1EES1O_IbLb0EEEEDaS1K_S1L_EUlS1K_E_NS1_11comp_targetILNS1_3genE2ELNS1_11target_archE906ELNS1_3gpuE6ELNS1_3repE0EEENS1_30default_config_static_selectorELNS0_4arch9wavefront6targetE0EEEvSY_
    .private_segment_fixed_size: 0
    .sgpr_count:     0
    .sgpr_spill_count: 0
    .symbol:         _ZN7rocprim17ROCPRIM_400000_NS6detail17trampoline_kernelINS0_13select_configILj256ELj13ELNS0_17block_load_methodE3ELS4_3ELS4_3ELNS0_20block_scan_algorithmE0ELj4294967295EEENS1_25partition_config_selectorILNS1_17partition_subalgoE3EjNS0_10empty_typeEbEEZZNS1_14partition_implILS8_3ELb0ES6_jNS0_17counting_iteratorIjlEEPS9_SE_NS0_5tupleIJPjSE_EEENSF_IJSE_SE_EEES9_SG_JZNS1_25segmented_radix_sort_implINS0_14default_configELb0EPKhPhPKlPlN2at6native12_GLOBAL__N_18offset_tEEE10hipError_tPvRmT1_PNSt15iterator_traitsISY_E10value_typeET2_T3_PNSZ_IS14_E10value_typeET4_jRbjT5_S1A_jjP12ihipStream_tbEUljE_EEESV_SW_SX_S14_S18_S1A_T6_T7_T9_mT8_S1C_bDpT10_ENKUlT_T0_E_clISt17integral_constantIbLb1EES1O_IbLb0EEEEDaS1K_S1L_EUlS1K_E_NS1_11comp_targetILNS1_3genE2ELNS1_11target_archE906ELNS1_3gpuE6ELNS1_3repE0EEENS1_30default_config_static_selectorELNS0_4arch9wavefront6targetE0EEEvSY_.kd
    .uniform_work_group_size: 1
    .uses_dynamic_stack: false
    .vgpr_count:     0
    .vgpr_spill_count: 0
    .wavefront_size: 32
    .workgroup_processor_mode: 1
  - .args:
      - .offset:         0
        .size:           144
        .value_kind:     by_value
    .group_segment_fixed_size: 0
    .kernarg_segment_align: 8
    .kernarg_segment_size: 144
    .language:       OpenCL C
    .language_version:
      - 2
      - 0
    .max_flat_workgroup_size: 256
    .name:           _ZN7rocprim17ROCPRIM_400000_NS6detail17trampoline_kernelINS0_13select_configILj256ELj13ELNS0_17block_load_methodE3ELS4_3ELS4_3ELNS0_20block_scan_algorithmE0ELj4294967295EEENS1_25partition_config_selectorILNS1_17partition_subalgoE3EjNS0_10empty_typeEbEEZZNS1_14partition_implILS8_3ELb0ES6_jNS0_17counting_iteratorIjlEEPS9_SE_NS0_5tupleIJPjSE_EEENSF_IJSE_SE_EEES9_SG_JZNS1_25segmented_radix_sort_implINS0_14default_configELb0EPKhPhPKlPlN2at6native12_GLOBAL__N_18offset_tEEE10hipError_tPvRmT1_PNSt15iterator_traitsISY_E10value_typeET2_T3_PNSZ_IS14_E10value_typeET4_jRbjT5_S1A_jjP12ihipStream_tbEUljE_EEESV_SW_SX_S14_S18_S1A_T6_T7_T9_mT8_S1C_bDpT10_ENKUlT_T0_E_clISt17integral_constantIbLb1EES1O_IbLb0EEEEDaS1K_S1L_EUlS1K_E_NS1_11comp_targetILNS1_3genE10ELNS1_11target_archE1200ELNS1_3gpuE4ELNS1_3repE0EEENS1_30default_config_static_selectorELNS0_4arch9wavefront6targetE0EEEvSY_
    .private_segment_fixed_size: 0
    .sgpr_count:     0
    .sgpr_spill_count: 0
    .symbol:         _ZN7rocprim17ROCPRIM_400000_NS6detail17trampoline_kernelINS0_13select_configILj256ELj13ELNS0_17block_load_methodE3ELS4_3ELS4_3ELNS0_20block_scan_algorithmE0ELj4294967295EEENS1_25partition_config_selectorILNS1_17partition_subalgoE3EjNS0_10empty_typeEbEEZZNS1_14partition_implILS8_3ELb0ES6_jNS0_17counting_iteratorIjlEEPS9_SE_NS0_5tupleIJPjSE_EEENSF_IJSE_SE_EEES9_SG_JZNS1_25segmented_radix_sort_implINS0_14default_configELb0EPKhPhPKlPlN2at6native12_GLOBAL__N_18offset_tEEE10hipError_tPvRmT1_PNSt15iterator_traitsISY_E10value_typeET2_T3_PNSZ_IS14_E10value_typeET4_jRbjT5_S1A_jjP12ihipStream_tbEUljE_EEESV_SW_SX_S14_S18_S1A_T6_T7_T9_mT8_S1C_bDpT10_ENKUlT_T0_E_clISt17integral_constantIbLb1EES1O_IbLb0EEEEDaS1K_S1L_EUlS1K_E_NS1_11comp_targetILNS1_3genE10ELNS1_11target_archE1200ELNS1_3gpuE4ELNS1_3repE0EEENS1_30default_config_static_selectorELNS0_4arch9wavefront6targetE0EEEvSY_.kd
    .uniform_work_group_size: 1
    .uses_dynamic_stack: false
    .vgpr_count:     0
    .vgpr_spill_count: 0
    .wavefront_size: 32
    .workgroup_processor_mode: 1
  - .args:
      - .offset:         0
        .size:           144
        .value_kind:     by_value
    .group_segment_fixed_size: 0
    .kernarg_segment_align: 8
    .kernarg_segment_size: 144
    .language:       OpenCL C
    .language_version:
      - 2
      - 0
    .max_flat_workgroup_size: 256
    .name:           _ZN7rocprim17ROCPRIM_400000_NS6detail17trampoline_kernelINS0_13select_configILj256ELj13ELNS0_17block_load_methodE3ELS4_3ELS4_3ELNS0_20block_scan_algorithmE0ELj4294967295EEENS1_25partition_config_selectorILNS1_17partition_subalgoE3EjNS0_10empty_typeEbEEZZNS1_14partition_implILS8_3ELb0ES6_jNS0_17counting_iteratorIjlEEPS9_SE_NS0_5tupleIJPjSE_EEENSF_IJSE_SE_EEES9_SG_JZNS1_25segmented_radix_sort_implINS0_14default_configELb0EPKhPhPKlPlN2at6native12_GLOBAL__N_18offset_tEEE10hipError_tPvRmT1_PNSt15iterator_traitsISY_E10value_typeET2_T3_PNSZ_IS14_E10value_typeET4_jRbjT5_S1A_jjP12ihipStream_tbEUljE_EEESV_SW_SX_S14_S18_S1A_T6_T7_T9_mT8_S1C_bDpT10_ENKUlT_T0_E_clISt17integral_constantIbLb1EES1O_IbLb0EEEEDaS1K_S1L_EUlS1K_E_NS1_11comp_targetILNS1_3genE9ELNS1_11target_archE1100ELNS1_3gpuE3ELNS1_3repE0EEENS1_30default_config_static_selectorELNS0_4arch9wavefront6targetE0EEEvSY_
    .private_segment_fixed_size: 0
    .sgpr_count:     0
    .sgpr_spill_count: 0
    .symbol:         _ZN7rocprim17ROCPRIM_400000_NS6detail17trampoline_kernelINS0_13select_configILj256ELj13ELNS0_17block_load_methodE3ELS4_3ELS4_3ELNS0_20block_scan_algorithmE0ELj4294967295EEENS1_25partition_config_selectorILNS1_17partition_subalgoE3EjNS0_10empty_typeEbEEZZNS1_14partition_implILS8_3ELb0ES6_jNS0_17counting_iteratorIjlEEPS9_SE_NS0_5tupleIJPjSE_EEENSF_IJSE_SE_EEES9_SG_JZNS1_25segmented_radix_sort_implINS0_14default_configELb0EPKhPhPKlPlN2at6native12_GLOBAL__N_18offset_tEEE10hipError_tPvRmT1_PNSt15iterator_traitsISY_E10value_typeET2_T3_PNSZ_IS14_E10value_typeET4_jRbjT5_S1A_jjP12ihipStream_tbEUljE_EEESV_SW_SX_S14_S18_S1A_T6_T7_T9_mT8_S1C_bDpT10_ENKUlT_T0_E_clISt17integral_constantIbLb1EES1O_IbLb0EEEEDaS1K_S1L_EUlS1K_E_NS1_11comp_targetILNS1_3genE9ELNS1_11target_archE1100ELNS1_3gpuE3ELNS1_3repE0EEENS1_30default_config_static_selectorELNS0_4arch9wavefront6targetE0EEEvSY_.kd
    .uniform_work_group_size: 1
    .uses_dynamic_stack: false
    .vgpr_count:     0
    .vgpr_spill_count: 0
    .wavefront_size: 32
    .workgroup_processor_mode: 1
  - .args:
      - .offset:         0
        .size:           144
        .value_kind:     by_value
    .group_segment_fixed_size: 0
    .kernarg_segment_align: 8
    .kernarg_segment_size: 144
    .language:       OpenCL C
    .language_version:
      - 2
      - 0
    .max_flat_workgroup_size: 256
    .name:           _ZN7rocprim17ROCPRIM_400000_NS6detail17trampoline_kernelINS0_13select_configILj256ELj13ELNS0_17block_load_methodE3ELS4_3ELS4_3ELNS0_20block_scan_algorithmE0ELj4294967295EEENS1_25partition_config_selectorILNS1_17partition_subalgoE3EjNS0_10empty_typeEbEEZZNS1_14partition_implILS8_3ELb0ES6_jNS0_17counting_iteratorIjlEEPS9_SE_NS0_5tupleIJPjSE_EEENSF_IJSE_SE_EEES9_SG_JZNS1_25segmented_radix_sort_implINS0_14default_configELb0EPKhPhPKlPlN2at6native12_GLOBAL__N_18offset_tEEE10hipError_tPvRmT1_PNSt15iterator_traitsISY_E10value_typeET2_T3_PNSZ_IS14_E10value_typeET4_jRbjT5_S1A_jjP12ihipStream_tbEUljE_EEESV_SW_SX_S14_S18_S1A_T6_T7_T9_mT8_S1C_bDpT10_ENKUlT_T0_E_clISt17integral_constantIbLb1EES1O_IbLb0EEEEDaS1K_S1L_EUlS1K_E_NS1_11comp_targetILNS1_3genE8ELNS1_11target_archE1030ELNS1_3gpuE2ELNS1_3repE0EEENS1_30default_config_static_selectorELNS0_4arch9wavefront6targetE0EEEvSY_
    .private_segment_fixed_size: 0
    .sgpr_count:     0
    .sgpr_spill_count: 0
    .symbol:         _ZN7rocprim17ROCPRIM_400000_NS6detail17trampoline_kernelINS0_13select_configILj256ELj13ELNS0_17block_load_methodE3ELS4_3ELS4_3ELNS0_20block_scan_algorithmE0ELj4294967295EEENS1_25partition_config_selectorILNS1_17partition_subalgoE3EjNS0_10empty_typeEbEEZZNS1_14partition_implILS8_3ELb0ES6_jNS0_17counting_iteratorIjlEEPS9_SE_NS0_5tupleIJPjSE_EEENSF_IJSE_SE_EEES9_SG_JZNS1_25segmented_radix_sort_implINS0_14default_configELb0EPKhPhPKlPlN2at6native12_GLOBAL__N_18offset_tEEE10hipError_tPvRmT1_PNSt15iterator_traitsISY_E10value_typeET2_T3_PNSZ_IS14_E10value_typeET4_jRbjT5_S1A_jjP12ihipStream_tbEUljE_EEESV_SW_SX_S14_S18_S1A_T6_T7_T9_mT8_S1C_bDpT10_ENKUlT_T0_E_clISt17integral_constantIbLb1EES1O_IbLb0EEEEDaS1K_S1L_EUlS1K_E_NS1_11comp_targetILNS1_3genE8ELNS1_11target_archE1030ELNS1_3gpuE2ELNS1_3repE0EEENS1_30default_config_static_selectorELNS0_4arch9wavefront6targetE0EEEvSY_.kd
    .uniform_work_group_size: 1
    .uses_dynamic_stack: false
    .vgpr_count:     0
    .vgpr_spill_count: 0
    .wavefront_size: 32
    .workgroup_processor_mode: 1
  - .args:
      - .offset:         0
        .size:           152
        .value_kind:     by_value
    .group_segment_fixed_size: 0
    .kernarg_segment_align: 8
    .kernarg_segment_size: 152
    .language:       OpenCL C
    .language_version:
      - 2
      - 0
    .max_flat_workgroup_size: 256
    .name:           _ZN7rocprim17ROCPRIM_400000_NS6detail17trampoline_kernelINS0_13select_configILj256ELj13ELNS0_17block_load_methodE3ELS4_3ELS4_3ELNS0_20block_scan_algorithmE0ELj4294967295EEENS1_25partition_config_selectorILNS1_17partition_subalgoE3EjNS0_10empty_typeEbEEZZNS1_14partition_implILS8_3ELb0ES6_jNS0_17counting_iteratorIjlEEPS9_SE_NS0_5tupleIJPjSE_EEENSF_IJSE_SE_EEES9_SG_JZNS1_25segmented_radix_sort_implINS0_14default_configELb0EPKhPhPKlPlN2at6native12_GLOBAL__N_18offset_tEEE10hipError_tPvRmT1_PNSt15iterator_traitsISY_E10value_typeET2_T3_PNSZ_IS14_E10value_typeET4_jRbjT5_S1A_jjP12ihipStream_tbEUljE_EEESV_SW_SX_S14_S18_S1A_T6_T7_T9_mT8_S1C_bDpT10_ENKUlT_T0_E_clISt17integral_constantIbLb0EES1O_IbLb1EEEEDaS1K_S1L_EUlS1K_E_NS1_11comp_targetILNS1_3genE0ELNS1_11target_archE4294967295ELNS1_3gpuE0ELNS1_3repE0EEENS1_30default_config_static_selectorELNS0_4arch9wavefront6targetE0EEEvSY_
    .private_segment_fixed_size: 0
    .sgpr_count:     0
    .sgpr_spill_count: 0
    .symbol:         _ZN7rocprim17ROCPRIM_400000_NS6detail17trampoline_kernelINS0_13select_configILj256ELj13ELNS0_17block_load_methodE3ELS4_3ELS4_3ELNS0_20block_scan_algorithmE0ELj4294967295EEENS1_25partition_config_selectorILNS1_17partition_subalgoE3EjNS0_10empty_typeEbEEZZNS1_14partition_implILS8_3ELb0ES6_jNS0_17counting_iteratorIjlEEPS9_SE_NS0_5tupleIJPjSE_EEENSF_IJSE_SE_EEES9_SG_JZNS1_25segmented_radix_sort_implINS0_14default_configELb0EPKhPhPKlPlN2at6native12_GLOBAL__N_18offset_tEEE10hipError_tPvRmT1_PNSt15iterator_traitsISY_E10value_typeET2_T3_PNSZ_IS14_E10value_typeET4_jRbjT5_S1A_jjP12ihipStream_tbEUljE_EEESV_SW_SX_S14_S18_S1A_T6_T7_T9_mT8_S1C_bDpT10_ENKUlT_T0_E_clISt17integral_constantIbLb0EES1O_IbLb1EEEEDaS1K_S1L_EUlS1K_E_NS1_11comp_targetILNS1_3genE0ELNS1_11target_archE4294967295ELNS1_3gpuE0ELNS1_3repE0EEENS1_30default_config_static_selectorELNS0_4arch9wavefront6targetE0EEEvSY_.kd
    .uniform_work_group_size: 1
    .uses_dynamic_stack: false
    .vgpr_count:     0
    .vgpr_spill_count: 0
    .wavefront_size: 32
    .workgroup_processor_mode: 1
  - .args:
      - .offset:         0
        .size:           152
        .value_kind:     by_value
    .group_segment_fixed_size: 0
    .kernarg_segment_align: 8
    .kernarg_segment_size: 152
    .language:       OpenCL C
    .language_version:
      - 2
      - 0
    .max_flat_workgroup_size: 256
    .name:           _ZN7rocprim17ROCPRIM_400000_NS6detail17trampoline_kernelINS0_13select_configILj256ELj13ELNS0_17block_load_methodE3ELS4_3ELS4_3ELNS0_20block_scan_algorithmE0ELj4294967295EEENS1_25partition_config_selectorILNS1_17partition_subalgoE3EjNS0_10empty_typeEbEEZZNS1_14partition_implILS8_3ELb0ES6_jNS0_17counting_iteratorIjlEEPS9_SE_NS0_5tupleIJPjSE_EEENSF_IJSE_SE_EEES9_SG_JZNS1_25segmented_radix_sort_implINS0_14default_configELb0EPKhPhPKlPlN2at6native12_GLOBAL__N_18offset_tEEE10hipError_tPvRmT1_PNSt15iterator_traitsISY_E10value_typeET2_T3_PNSZ_IS14_E10value_typeET4_jRbjT5_S1A_jjP12ihipStream_tbEUljE_EEESV_SW_SX_S14_S18_S1A_T6_T7_T9_mT8_S1C_bDpT10_ENKUlT_T0_E_clISt17integral_constantIbLb0EES1O_IbLb1EEEEDaS1K_S1L_EUlS1K_E_NS1_11comp_targetILNS1_3genE5ELNS1_11target_archE942ELNS1_3gpuE9ELNS1_3repE0EEENS1_30default_config_static_selectorELNS0_4arch9wavefront6targetE0EEEvSY_
    .private_segment_fixed_size: 0
    .sgpr_count:     0
    .sgpr_spill_count: 0
    .symbol:         _ZN7rocprim17ROCPRIM_400000_NS6detail17trampoline_kernelINS0_13select_configILj256ELj13ELNS0_17block_load_methodE3ELS4_3ELS4_3ELNS0_20block_scan_algorithmE0ELj4294967295EEENS1_25partition_config_selectorILNS1_17partition_subalgoE3EjNS0_10empty_typeEbEEZZNS1_14partition_implILS8_3ELb0ES6_jNS0_17counting_iteratorIjlEEPS9_SE_NS0_5tupleIJPjSE_EEENSF_IJSE_SE_EEES9_SG_JZNS1_25segmented_radix_sort_implINS0_14default_configELb0EPKhPhPKlPlN2at6native12_GLOBAL__N_18offset_tEEE10hipError_tPvRmT1_PNSt15iterator_traitsISY_E10value_typeET2_T3_PNSZ_IS14_E10value_typeET4_jRbjT5_S1A_jjP12ihipStream_tbEUljE_EEESV_SW_SX_S14_S18_S1A_T6_T7_T9_mT8_S1C_bDpT10_ENKUlT_T0_E_clISt17integral_constantIbLb0EES1O_IbLb1EEEEDaS1K_S1L_EUlS1K_E_NS1_11comp_targetILNS1_3genE5ELNS1_11target_archE942ELNS1_3gpuE9ELNS1_3repE0EEENS1_30default_config_static_selectorELNS0_4arch9wavefront6targetE0EEEvSY_.kd
    .uniform_work_group_size: 1
    .uses_dynamic_stack: false
    .vgpr_count:     0
    .vgpr_spill_count: 0
    .wavefront_size: 32
    .workgroup_processor_mode: 1
  - .args:
      - .offset:         0
        .size:           152
        .value_kind:     by_value
    .group_segment_fixed_size: 0
    .kernarg_segment_align: 8
    .kernarg_segment_size: 152
    .language:       OpenCL C
    .language_version:
      - 2
      - 0
    .max_flat_workgroup_size: 256
    .name:           _ZN7rocprim17ROCPRIM_400000_NS6detail17trampoline_kernelINS0_13select_configILj256ELj13ELNS0_17block_load_methodE3ELS4_3ELS4_3ELNS0_20block_scan_algorithmE0ELj4294967295EEENS1_25partition_config_selectorILNS1_17partition_subalgoE3EjNS0_10empty_typeEbEEZZNS1_14partition_implILS8_3ELb0ES6_jNS0_17counting_iteratorIjlEEPS9_SE_NS0_5tupleIJPjSE_EEENSF_IJSE_SE_EEES9_SG_JZNS1_25segmented_radix_sort_implINS0_14default_configELb0EPKhPhPKlPlN2at6native12_GLOBAL__N_18offset_tEEE10hipError_tPvRmT1_PNSt15iterator_traitsISY_E10value_typeET2_T3_PNSZ_IS14_E10value_typeET4_jRbjT5_S1A_jjP12ihipStream_tbEUljE_EEESV_SW_SX_S14_S18_S1A_T6_T7_T9_mT8_S1C_bDpT10_ENKUlT_T0_E_clISt17integral_constantIbLb0EES1O_IbLb1EEEEDaS1K_S1L_EUlS1K_E_NS1_11comp_targetILNS1_3genE4ELNS1_11target_archE910ELNS1_3gpuE8ELNS1_3repE0EEENS1_30default_config_static_selectorELNS0_4arch9wavefront6targetE0EEEvSY_
    .private_segment_fixed_size: 0
    .sgpr_count:     0
    .sgpr_spill_count: 0
    .symbol:         _ZN7rocprim17ROCPRIM_400000_NS6detail17trampoline_kernelINS0_13select_configILj256ELj13ELNS0_17block_load_methodE3ELS4_3ELS4_3ELNS0_20block_scan_algorithmE0ELj4294967295EEENS1_25partition_config_selectorILNS1_17partition_subalgoE3EjNS0_10empty_typeEbEEZZNS1_14partition_implILS8_3ELb0ES6_jNS0_17counting_iteratorIjlEEPS9_SE_NS0_5tupleIJPjSE_EEENSF_IJSE_SE_EEES9_SG_JZNS1_25segmented_radix_sort_implINS0_14default_configELb0EPKhPhPKlPlN2at6native12_GLOBAL__N_18offset_tEEE10hipError_tPvRmT1_PNSt15iterator_traitsISY_E10value_typeET2_T3_PNSZ_IS14_E10value_typeET4_jRbjT5_S1A_jjP12ihipStream_tbEUljE_EEESV_SW_SX_S14_S18_S1A_T6_T7_T9_mT8_S1C_bDpT10_ENKUlT_T0_E_clISt17integral_constantIbLb0EES1O_IbLb1EEEEDaS1K_S1L_EUlS1K_E_NS1_11comp_targetILNS1_3genE4ELNS1_11target_archE910ELNS1_3gpuE8ELNS1_3repE0EEENS1_30default_config_static_selectorELNS0_4arch9wavefront6targetE0EEEvSY_.kd
    .uniform_work_group_size: 1
    .uses_dynamic_stack: false
    .vgpr_count:     0
    .vgpr_spill_count: 0
    .wavefront_size: 32
    .workgroup_processor_mode: 1
  - .args:
      - .offset:         0
        .size:           152
        .value_kind:     by_value
    .group_segment_fixed_size: 0
    .kernarg_segment_align: 8
    .kernarg_segment_size: 152
    .language:       OpenCL C
    .language_version:
      - 2
      - 0
    .max_flat_workgroup_size: 256
    .name:           _ZN7rocprim17ROCPRIM_400000_NS6detail17trampoline_kernelINS0_13select_configILj256ELj13ELNS0_17block_load_methodE3ELS4_3ELS4_3ELNS0_20block_scan_algorithmE0ELj4294967295EEENS1_25partition_config_selectorILNS1_17partition_subalgoE3EjNS0_10empty_typeEbEEZZNS1_14partition_implILS8_3ELb0ES6_jNS0_17counting_iteratorIjlEEPS9_SE_NS0_5tupleIJPjSE_EEENSF_IJSE_SE_EEES9_SG_JZNS1_25segmented_radix_sort_implINS0_14default_configELb0EPKhPhPKlPlN2at6native12_GLOBAL__N_18offset_tEEE10hipError_tPvRmT1_PNSt15iterator_traitsISY_E10value_typeET2_T3_PNSZ_IS14_E10value_typeET4_jRbjT5_S1A_jjP12ihipStream_tbEUljE_EEESV_SW_SX_S14_S18_S1A_T6_T7_T9_mT8_S1C_bDpT10_ENKUlT_T0_E_clISt17integral_constantIbLb0EES1O_IbLb1EEEEDaS1K_S1L_EUlS1K_E_NS1_11comp_targetILNS1_3genE3ELNS1_11target_archE908ELNS1_3gpuE7ELNS1_3repE0EEENS1_30default_config_static_selectorELNS0_4arch9wavefront6targetE0EEEvSY_
    .private_segment_fixed_size: 0
    .sgpr_count:     0
    .sgpr_spill_count: 0
    .symbol:         _ZN7rocprim17ROCPRIM_400000_NS6detail17trampoline_kernelINS0_13select_configILj256ELj13ELNS0_17block_load_methodE3ELS4_3ELS4_3ELNS0_20block_scan_algorithmE0ELj4294967295EEENS1_25partition_config_selectorILNS1_17partition_subalgoE3EjNS0_10empty_typeEbEEZZNS1_14partition_implILS8_3ELb0ES6_jNS0_17counting_iteratorIjlEEPS9_SE_NS0_5tupleIJPjSE_EEENSF_IJSE_SE_EEES9_SG_JZNS1_25segmented_radix_sort_implINS0_14default_configELb0EPKhPhPKlPlN2at6native12_GLOBAL__N_18offset_tEEE10hipError_tPvRmT1_PNSt15iterator_traitsISY_E10value_typeET2_T3_PNSZ_IS14_E10value_typeET4_jRbjT5_S1A_jjP12ihipStream_tbEUljE_EEESV_SW_SX_S14_S18_S1A_T6_T7_T9_mT8_S1C_bDpT10_ENKUlT_T0_E_clISt17integral_constantIbLb0EES1O_IbLb1EEEEDaS1K_S1L_EUlS1K_E_NS1_11comp_targetILNS1_3genE3ELNS1_11target_archE908ELNS1_3gpuE7ELNS1_3repE0EEENS1_30default_config_static_selectorELNS0_4arch9wavefront6targetE0EEEvSY_.kd
    .uniform_work_group_size: 1
    .uses_dynamic_stack: false
    .vgpr_count:     0
    .vgpr_spill_count: 0
    .wavefront_size: 32
    .workgroup_processor_mode: 1
  - .args:
      - .offset:         0
        .size:           152
        .value_kind:     by_value
    .group_segment_fixed_size: 0
    .kernarg_segment_align: 8
    .kernarg_segment_size: 152
    .language:       OpenCL C
    .language_version:
      - 2
      - 0
    .max_flat_workgroup_size: 256
    .name:           _ZN7rocprim17ROCPRIM_400000_NS6detail17trampoline_kernelINS0_13select_configILj256ELj13ELNS0_17block_load_methodE3ELS4_3ELS4_3ELNS0_20block_scan_algorithmE0ELj4294967295EEENS1_25partition_config_selectorILNS1_17partition_subalgoE3EjNS0_10empty_typeEbEEZZNS1_14partition_implILS8_3ELb0ES6_jNS0_17counting_iteratorIjlEEPS9_SE_NS0_5tupleIJPjSE_EEENSF_IJSE_SE_EEES9_SG_JZNS1_25segmented_radix_sort_implINS0_14default_configELb0EPKhPhPKlPlN2at6native12_GLOBAL__N_18offset_tEEE10hipError_tPvRmT1_PNSt15iterator_traitsISY_E10value_typeET2_T3_PNSZ_IS14_E10value_typeET4_jRbjT5_S1A_jjP12ihipStream_tbEUljE_EEESV_SW_SX_S14_S18_S1A_T6_T7_T9_mT8_S1C_bDpT10_ENKUlT_T0_E_clISt17integral_constantIbLb0EES1O_IbLb1EEEEDaS1K_S1L_EUlS1K_E_NS1_11comp_targetILNS1_3genE2ELNS1_11target_archE906ELNS1_3gpuE6ELNS1_3repE0EEENS1_30default_config_static_selectorELNS0_4arch9wavefront6targetE0EEEvSY_
    .private_segment_fixed_size: 0
    .sgpr_count:     0
    .sgpr_spill_count: 0
    .symbol:         _ZN7rocprim17ROCPRIM_400000_NS6detail17trampoline_kernelINS0_13select_configILj256ELj13ELNS0_17block_load_methodE3ELS4_3ELS4_3ELNS0_20block_scan_algorithmE0ELj4294967295EEENS1_25partition_config_selectorILNS1_17partition_subalgoE3EjNS0_10empty_typeEbEEZZNS1_14partition_implILS8_3ELb0ES6_jNS0_17counting_iteratorIjlEEPS9_SE_NS0_5tupleIJPjSE_EEENSF_IJSE_SE_EEES9_SG_JZNS1_25segmented_radix_sort_implINS0_14default_configELb0EPKhPhPKlPlN2at6native12_GLOBAL__N_18offset_tEEE10hipError_tPvRmT1_PNSt15iterator_traitsISY_E10value_typeET2_T3_PNSZ_IS14_E10value_typeET4_jRbjT5_S1A_jjP12ihipStream_tbEUljE_EEESV_SW_SX_S14_S18_S1A_T6_T7_T9_mT8_S1C_bDpT10_ENKUlT_T0_E_clISt17integral_constantIbLb0EES1O_IbLb1EEEEDaS1K_S1L_EUlS1K_E_NS1_11comp_targetILNS1_3genE2ELNS1_11target_archE906ELNS1_3gpuE6ELNS1_3repE0EEENS1_30default_config_static_selectorELNS0_4arch9wavefront6targetE0EEEvSY_.kd
    .uniform_work_group_size: 1
    .uses_dynamic_stack: false
    .vgpr_count:     0
    .vgpr_spill_count: 0
    .wavefront_size: 32
    .workgroup_processor_mode: 1
  - .args:
      - .offset:         0
        .size:           152
        .value_kind:     by_value
    .group_segment_fixed_size: 0
    .kernarg_segment_align: 8
    .kernarg_segment_size: 152
    .language:       OpenCL C
    .language_version:
      - 2
      - 0
    .max_flat_workgroup_size: 256
    .name:           _ZN7rocprim17ROCPRIM_400000_NS6detail17trampoline_kernelINS0_13select_configILj256ELj13ELNS0_17block_load_methodE3ELS4_3ELS4_3ELNS0_20block_scan_algorithmE0ELj4294967295EEENS1_25partition_config_selectorILNS1_17partition_subalgoE3EjNS0_10empty_typeEbEEZZNS1_14partition_implILS8_3ELb0ES6_jNS0_17counting_iteratorIjlEEPS9_SE_NS0_5tupleIJPjSE_EEENSF_IJSE_SE_EEES9_SG_JZNS1_25segmented_radix_sort_implINS0_14default_configELb0EPKhPhPKlPlN2at6native12_GLOBAL__N_18offset_tEEE10hipError_tPvRmT1_PNSt15iterator_traitsISY_E10value_typeET2_T3_PNSZ_IS14_E10value_typeET4_jRbjT5_S1A_jjP12ihipStream_tbEUljE_EEESV_SW_SX_S14_S18_S1A_T6_T7_T9_mT8_S1C_bDpT10_ENKUlT_T0_E_clISt17integral_constantIbLb0EES1O_IbLb1EEEEDaS1K_S1L_EUlS1K_E_NS1_11comp_targetILNS1_3genE10ELNS1_11target_archE1200ELNS1_3gpuE4ELNS1_3repE0EEENS1_30default_config_static_selectorELNS0_4arch9wavefront6targetE0EEEvSY_
    .private_segment_fixed_size: 0
    .sgpr_count:     0
    .sgpr_spill_count: 0
    .symbol:         _ZN7rocprim17ROCPRIM_400000_NS6detail17trampoline_kernelINS0_13select_configILj256ELj13ELNS0_17block_load_methodE3ELS4_3ELS4_3ELNS0_20block_scan_algorithmE0ELj4294967295EEENS1_25partition_config_selectorILNS1_17partition_subalgoE3EjNS0_10empty_typeEbEEZZNS1_14partition_implILS8_3ELb0ES6_jNS0_17counting_iteratorIjlEEPS9_SE_NS0_5tupleIJPjSE_EEENSF_IJSE_SE_EEES9_SG_JZNS1_25segmented_radix_sort_implINS0_14default_configELb0EPKhPhPKlPlN2at6native12_GLOBAL__N_18offset_tEEE10hipError_tPvRmT1_PNSt15iterator_traitsISY_E10value_typeET2_T3_PNSZ_IS14_E10value_typeET4_jRbjT5_S1A_jjP12ihipStream_tbEUljE_EEESV_SW_SX_S14_S18_S1A_T6_T7_T9_mT8_S1C_bDpT10_ENKUlT_T0_E_clISt17integral_constantIbLb0EES1O_IbLb1EEEEDaS1K_S1L_EUlS1K_E_NS1_11comp_targetILNS1_3genE10ELNS1_11target_archE1200ELNS1_3gpuE4ELNS1_3repE0EEENS1_30default_config_static_selectorELNS0_4arch9wavefront6targetE0EEEvSY_.kd
    .uniform_work_group_size: 1
    .uses_dynamic_stack: false
    .vgpr_count:     0
    .vgpr_spill_count: 0
    .wavefront_size: 32
    .workgroup_processor_mode: 1
  - .args:
      - .offset:         0
        .size:           152
        .value_kind:     by_value
    .group_segment_fixed_size: 0
    .kernarg_segment_align: 8
    .kernarg_segment_size: 152
    .language:       OpenCL C
    .language_version:
      - 2
      - 0
    .max_flat_workgroup_size: 256
    .name:           _ZN7rocprim17ROCPRIM_400000_NS6detail17trampoline_kernelINS0_13select_configILj256ELj13ELNS0_17block_load_methodE3ELS4_3ELS4_3ELNS0_20block_scan_algorithmE0ELj4294967295EEENS1_25partition_config_selectorILNS1_17partition_subalgoE3EjNS0_10empty_typeEbEEZZNS1_14partition_implILS8_3ELb0ES6_jNS0_17counting_iteratorIjlEEPS9_SE_NS0_5tupleIJPjSE_EEENSF_IJSE_SE_EEES9_SG_JZNS1_25segmented_radix_sort_implINS0_14default_configELb0EPKhPhPKlPlN2at6native12_GLOBAL__N_18offset_tEEE10hipError_tPvRmT1_PNSt15iterator_traitsISY_E10value_typeET2_T3_PNSZ_IS14_E10value_typeET4_jRbjT5_S1A_jjP12ihipStream_tbEUljE_EEESV_SW_SX_S14_S18_S1A_T6_T7_T9_mT8_S1C_bDpT10_ENKUlT_T0_E_clISt17integral_constantIbLb0EES1O_IbLb1EEEEDaS1K_S1L_EUlS1K_E_NS1_11comp_targetILNS1_3genE9ELNS1_11target_archE1100ELNS1_3gpuE3ELNS1_3repE0EEENS1_30default_config_static_selectorELNS0_4arch9wavefront6targetE0EEEvSY_
    .private_segment_fixed_size: 0
    .sgpr_count:     0
    .sgpr_spill_count: 0
    .symbol:         _ZN7rocprim17ROCPRIM_400000_NS6detail17trampoline_kernelINS0_13select_configILj256ELj13ELNS0_17block_load_methodE3ELS4_3ELS4_3ELNS0_20block_scan_algorithmE0ELj4294967295EEENS1_25partition_config_selectorILNS1_17partition_subalgoE3EjNS0_10empty_typeEbEEZZNS1_14partition_implILS8_3ELb0ES6_jNS0_17counting_iteratorIjlEEPS9_SE_NS0_5tupleIJPjSE_EEENSF_IJSE_SE_EEES9_SG_JZNS1_25segmented_radix_sort_implINS0_14default_configELb0EPKhPhPKlPlN2at6native12_GLOBAL__N_18offset_tEEE10hipError_tPvRmT1_PNSt15iterator_traitsISY_E10value_typeET2_T3_PNSZ_IS14_E10value_typeET4_jRbjT5_S1A_jjP12ihipStream_tbEUljE_EEESV_SW_SX_S14_S18_S1A_T6_T7_T9_mT8_S1C_bDpT10_ENKUlT_T0_E_clISt17integral_constantIbLb0EES1O_IbLb1EEEEDaS1K_S1L_EUlS1K_E_NS1_11comp_targetILNS1_3genE9ELNS1_11target_archE1100ELNS1_3gpuE3ELNS1_3repE0EEENS1_30default_config_static_selectorELNS0_4arch9wavefront6targetE0EEEvSY_.kd
    .uniform_work_group_size: 1
    .uses_dynamic_stack: false
    .vgpr_count:     0
    .vgpr_spill_count: 0
    .wavefront_size: 32
    .workgroup_processor_mode: 1
  - .args:
      - .offset:         0
        .size:           152
        .value_kind:     by_value
    .group_segment_fixed_size: 13320
    .kernarg_segment_align: 8
    .kernarg_segment_size: 152
    .language:       OpenCL C
    .language_version:
      - 2
      - 0
    .max_flat_workgroup_size: 256
    .name:           _ZN7rocprim17ROCPRIM_400000_NS6detail17trampoline_kernelINS0_13select_configILj256ELj13ELNS0_17block_load_methodE3ELS4_3ELS4_3ELNS0_20block_scan_algorithmE0ELj4294967295EEENS1_25partition_config_selectorILNS1_17partition_subalgoE3EjNS0_10empty_typeEbEEZZNS1_14partition_implILS8_3ELb0ES6_jNS0_17counting_iteratorIjlEEPS9_SE_NS0_5tupleIJPjSE_EEENSF_IJSE_SE_EEES9_SG_JZNS1_25segmented_radix_sort_implINS0_14default_configELb0EPKhPhPKlPlN2at6native12_GLOBAL__N_18offset_tEEE10hipError_tPvRmT1_PNSt15iterator_traitsISY_E10value_typeET2_T3_PNSZ_IS14_E10value_typeET4_jRbjT5_S1A_jjP12ihipStream_tbEUljE_EEESV_SW_SX_S14_S18_S1A_T6_T7_T9_mT8_S1C_bDpT10_ENKUlT_T0_E_clISt17integral_constantIbLb0EES1O_IbLb1EEEEDaS1K_S1L_EUlS1K_E_NS1_11comp_targetILNS1_3genE8ELNS1_11target_archE1030ELNS1_3gpuE2ELNS1_3repE0EEENS1_30default_config_static_selectorELNS0_4arch9wavefront6targetE0EEEvSY_
    .private_segment_fixed_size: 0
    .sgpr_count:     28
    .sgpr_spill_count: 0
    .symbol:         _ZN7rocprim17ROCPRIM_400000_NS6detail17trampoline_kernelINS0_13select_configILj256ELj13ELNS0_17block_load_methodE3ELS4_3ELS4_3ELNS0_20block_scan_algorithmE0ELj4294967295EEENS1_25partition_config_selectorILNS1_17partition_subalgoE3EjNS0_10empty_typeEbEEZZNS1_14partition_implILS8_3ELb0ES6_jNS0_17counting_iteratorIjlEEPS9_SE_NS0_5tupleIJPjSE_EEENSF_IJSE_SE_EEES9_SG_JZNS1_25segmented_radix_sort_implINS0_14default_configELb0EPKhPhPKlPlN2at6native12_GLOBAL__N_18offset_tEEE10hipError_tPvRmT1_PNSt15iterator_traitsISY_E10value_typeET2_T3_PNSZ_IS14_E10value_typeET4_jRbjT5_S1A_jjP12ihipStream_tbEUljE_EEESV_SW_SX_S14_S18_S1A_T6_T7_T9_mT8_S1C_bDpT10_ENKUlT_T0_E_clISt17integral_constantIbLb0EES1O_IbLb1EEEEDaS1K_S1L_EUlS1K_E_NS1_11comp_targetILNS1_3genE8ELNS1_11target_archE1030ELNS1_3gpuE2ELNS1_3repE0EEENS1_30default_config_static_selectorELNS0_4arch9wavefront6targetE0EEEvSY_.kd
    .uniform_work_group_size: 1
    .uses_dynamic_stack: false
    .vgpr_count:     71
    .vgpr_spill_count: 0
    .wavefront_size: 32
    .workgroup_processor_mode: 1
  - .args:
      - .offset:         0
        .size:           96
        .value_kind:     by_value
    .group_segment_fixed_size: 0
    .kernarg_segment_align: 8
    .kernarg_segment_size: 96
    .language:       OpenCL C
    .language_version:
      - 2
      - 0
    .max_flat_workgroup_size: 256
    .name:           _ZN7rocprim17ROCPRIM_400000_NS6detail17trampoline_kernelINS0_14default_configENS1_36segmented_radix_sort_config_selectorIhlEEZNS1_25segmented_radix_sort_implIS3_Lb0EPKhPhPKlPlN2at6native12_GLOBAL__N_18offset_tEEE10hipError_tPvRmT1_PNSt15iterator_traitsISK_E10value_typeET2_T3_PNSL_ISQ_E10value_typeET4_jRbjT5_SW_jjP12ihipStream_tbEUlT_E_NS1_11comp_targetILNS1_3genE0ELNS1_11target_archE4294967295ELNS1_3gpuE0ELNS1_3repE0EEENS1_30default_config_static_selectorELNS0_4arch9wavefront6targetE0EEEvSK_
    .private_segment_fixed_size: 0
    .sgpr_count:     0
    .sgpr_spill_count: 0
    .symbol:         _ZN7rocprim17ROCPRIM_400000_NS6detail17trampoline_kernelINS0_14default_configENS1_36segmented_radix_sort_config_selectorIhlEEZNS1_25segmented_radix_sort_implIS3_Lb0EPKhPhPKlPlN2at6native12_GLOBAL__N_18offset_tEEE10hipError_tPvRmT1_PNSt15iterator_traitsISK_E10value_typeET2_T3_PNSL_ISQ_E10value_typeET4_jRbjT5_SW_jjP12ihipStream_tbEUlT_E_NS1_11comp_targetILNS1_3genE0ELNS1_11target_archE4294967295ELNS1_3gpuE0ELNS1_3repE0EEENS1_30default_config_static_selectorELNS0_4arch9wavefront6targetE0EEEvSK_.kd
    .uniform_work_group_size: 1
    .uses_dynamic_stack: false
    .vgpr_count:     0
    .vgpr_spill_count: 0
    .wavefront_size: 32
    .workgroup_processor_mode: 1
  - .args:
      - .offset:         0
        .size:           96
        .value_kind:     by_value
    .group_segment_fixed_size: 0
    .kernarg_segment_align: 8
    .kernarg_segment_size: 96
    .language:       OpenCL C
    .language_version:
      - 2
      - 0
    .max_flat_workgroup_size: 256
    .name:           _ZN7rocprim17ROCPRIM_400000_NS6detail17trampoline_kernelINS0_14default_configENS1_36segmented_radix_sort_config_selectorIhlEEZNS1_25segmented_radix_sort_implIS3_Lb0EPKhPhPKlPlN2at6native12_GLOBAL__N_18offset_tEEE10hipError_tPvRmT1_PNSt15iterator_traitsISK_E10value_typeET2_T3_PNSL_ISQ_E10value_typeET4_jRbjT5_SW_jjP12ihipStream_tbEUlT_E_NS1_11comp_targetILNS1_3genE5ELNS1_11target_archE942ELNS1_3gpuE9ELNS1_3repE0EEENS1_30default_config_static_selectorELNS0_4arch9wavefront6targetE0EEEvSK_
    .private_segment_fixed_size: 0
    .sgpr_count:     0
    .sgpr_spill_count: 0
    .symbol:         _ZN7rocprim17ROCPRIM_400000_NS6detail17trampoline_kernelINS0_14default_configENS1_36segmented_radix_sort_config_selectorIhlEEZNS1_25segmented_radix_sort_implIS3_Lb0EPKhPhPKlPlN2at6native12_GLOBAL__N_18offset_tEEE10hipError_tPvRmT1_PNSt15iterator_traitsISK_E10value_typeET2_T3_PNSL_ISQ_E10value_typeET4_jRbjT5_SW_jjP12ihipStream_tbEUlT_E_NS1_11comp_targetILNS1_3genE5ELNS1_11target_archE942ELNS1_3gpuE9ELNS1_3repE0EEENS1_30default_config_static_selectorELNS0_4arch9wavefront6targetE0EEEvSK_.kd
    .uniform_work_group_size: 1
    .uses_dynamic_stack: false
    .vgpr_count:     0
    .vgpr_spill_count: 0
    .wavefront_size: 32
    .workgroup_processor_mode: 1
  - .args:
      - .offset:         0
        .size:           96
        .value_kind:     by_value
    .group_segment_fixed_size: 0
    .kernarg_segment_align: 8
    .kernarg_segment_size: 96
    .language:       OpenCL C
    .language_version:
      - 2
      - 0
    .max_flat_workgroup_size: 256
    .name:           _ZN7rocprim17ROCPRIM_400000_NS6detail17trampoline_kernelINS0_14default_configENS1_36segmented_radix_sort_config_selectorIhlEEZNS1_25segmented_radix_sort_implIS3_Lb0EPKhPhPKlPlN2at6native12_GLOBAL__N_18offset_tEEE10hipError_tPvRmT1_PNSt15iterator_traitsISK_E10value_typeET2_T3_PNSL_ISQ_E10value_typeET4_jRbjT5_SW_jjP12ihipStream_tbEUlT_E_NS1_11comp_targetILNS1_3genE4ELNS1_11target_archE910ELNS1_3gpuE8ELNS1_3repE0EEENS1_30default_config_static_selectorELNS0_4arch9wavefront6targetE0EEEvSK_
    .private_segment_fixed_size: 0
    .sgpr_count:     0
    .sgpr_spill_count: 0
    .symbol:         _ZN7rocprim17ROCPRIM_400000_NS6detail17trampoline_kernelINS0_14default_configENS1_36segmented_radix_sort_config_selectorIhlEEZNS1_25segmented_radix_sort_implIS3_Lb0EPKhPhPKlPlN2at6native12_GLOBAL__N_18offset_tEEE10hipError_tPvRmT1_PNSt15iterator_traitsISK_E10value_typeET2_T3_PNSL_ISQ_E10value_typeET4_jRbjT5_SW_jjP12ihipStream_tbEUlT_E_NS1_11comp_targetILNS1_3genE4ELNS1_11target_archE910ELNS1_3gpuE8ELNS1_3repE0EEENS1_30default_config_static_selectorELNS0_4arch9wavefront6targetE0EEEvSK_.kd
    .uniform_work_group_size: 1
    .uses_dynamic_stack: false
    .vgpr_count:     0
    .vgpr_spill_count: 0
    .wavefront_size: 32
    .workgroup_processor_mode: 1
  - .args:
      - .offset:         0
        .size:           96
        .value_kind:     by_value
    .group_segment_fixed_size: 0
    .kernarg_segment_align: 8
    .kernarg_segment_size: 96
    .language:       OpenCL C
    .language_version:
      - 2
      - 0
    .max_flat_workgroup_size: 256
    .name:           _ZN7rocprim17ROCPRIM_400000_NS6detail17trampoline_kernelINS0_14default_configENS1_36segmented_radix_sort_config_selectorIhlEEZNS1_25segmented_radix_sort_implIS3_Lb0EPKhPhPKlPlN2at6native12_GLOBAL__N_18offset_tEEE10hipError_tPvRmT1_PNSt15iterator_traitsISK_E10value_typeET2_T3_PNSL_ISQ_E10value_typeET4_jRbjT5_SW_jjP12ihipStream_tbEUlT_E_NS1_11comp_targetILNS1_3genE3ELNS1_11target_archE908ELNS1_3gpuE7ELNS1_3repE0EEENS1_30default_config_static_selectorELNS0_4arch9wavefront6targetE0EEEvSK_
    .private_segment_fixed_size: 0
    .sgpr_count:     0
    .sgpr_spill_count: 0
    .symbol:         _ZN7rocprim17ROCPRIM_400000_NS6detail17trampoline_kernelINS0_14default_configENS1_36segmented_radix_sort_config_selectorIhlEEZNS1_25segmented_radix_sort_implIS3_Lb0EPKhPhPKlPlN2at6native12_GLOBAL__N_18offset_tEEE10hipError_tPvRmT1_PNSt15iterator_traitsISK_E10value_typeET2_T3_PNSL_ISQ_E10value_typeET4_jRbjT5_SW_jjP12ihipStream_tbEUlT_E_NS1_11comp_targetILNS1_3genE3ELNS1_11target_archE908ELNS1_3gpuE7ELNS1_3repE0EEENS1_30default_config_static_selectorELNS0_4arch9wavefront6targetE0EEEvSK_.kd
    .uniform_work_group_size: 1
    .uses_dynamic_stack: false
    .vgpr_count:     0
    .vgpr_spill_count: 0
    .wavefront_size: 32
    .workgroup_processor_mode: 1
  - .args:
      - .offset:         0
        .size:           96
        .value_kind:     by_value
    .group_segment_fixed_size: 0
    .kernarg_segment_align: 8
    .kernarg_segment_size: 96
    .language:       OpenCL C
    .language_version:
      - 2
      - 0
    .max_flat_workgroup_size: 256
    .name:           _ZN7rocprim17ROCPRIM_400000_NS6detail17trampoline_kernelINS0_14default_configENS1_36segmented_radix_sort_config_selectorIhlEEZNS1_25segmented_radix_sort_implIS3_Lb0EPKhPhPKlPlN2at6native12_GLOBAL__N_18offset_tEEE10hipError_tPvRmT1_PNSt15iterator_traitsISK_E10value_typeET2_T3_PNSL_ISQ_E10value_typeET4_jRbjT5_SW_jjP12ihipStream_tbEUlT_E_NS1_11comp_targetILNS1_3genE2ELNS1_11target_archE906ELNS1_3gpuE6ELNS1_3repE0EEENS1_30default_config_static_selectorELNS0_4arch9wavefront6targetE0EEEvSK_
    .private_segment_fixed_size: 0
    .sgpr_count:     0
    .sgpr_spill_count: 0
    .symbol:         _ZN7rocprim17ROCPRIM_400000_NS6detail17trampoline_kernelINS0_14default_configENS1_36segmented_radix_sort_config_selectorIhlEEZNS1_25segmented_radix_sort_implIS3_Lb0EPKhPhPKlPlN2at6native12_GLOBAL__N_18offset_tEEE10hipError_tPvRmT1_PNSt15iterator_traitsISK_E10value_typeET2_T3_PNSL_ISQ_E10value_typeET4_jRbjT5_SW_jjP12ihipStream_tbEUlT_E_NS1_11comp_targetILNS1_3genE2ELNS1_11target_archE906ELNS1_3gpuE6ELNS1_3repE0EEENS1_30default_config_static_selectorELNS0_4arch9wavefront6targetE0EEEvSK_.kd
    .uniform_work_group_size: 1
    .uses_dynamic_stack: false
    .vgpr_count:     0
    .vgpr_spill_count: 0
    .wavefront_size: 32
    .workgroup_processor_mode: 1
  - .args:
      - .offset:         0
        .size:           96
        .value_kind:     by_value
    .group_segment_fixed_size: 0
    .kernarg_segment_align: 8
    .kernarg_segment_size: 96
    .language:       OpenCL C
    .language_version:
      - 2
      - 0
    .max_flat_workgroup_size: 256
    .name:           _ZN7rocprim17ROCPRIM_400000_NS6detail17trampoline_kernelINS0_14default_configENS1_36segmented_radix_sort_config_selectorIhlEEZNS1_25segmented_radix_sort_implIS3_Lb0EPKhPhPKlPlN2at6native12_GLOBAL__N_18offset_tEEE10hipError_tPvRmT1_PNSt15iterator_traitsISK_E10value_typeET2_T3_PNSL_ISQ_E10value_typeET4_jRbjT5_SW_jjP12ihipStream_tbEUlT_E_NS1_11comp_targetILNS1_3genE10ELNS1_11target_archE1201ELNS1_3gpuE5ELNS1_3repE0EEENS1_30default_config_static_selectorELNS0_4arch9wavefront6targetE0EEEvSK_
    .private_segment_fixed_size: 0
    .sgpr_count:     0
    .sgpr_spill_count: 0
    .symbol:         _ZN7rocprim17ROCPRIM_400000_NS6detail17trampoline_kernelINS0_14default_configENS1_36segmented_radix_sort_config_selectorIhlEEZNS1_25segmented_radix_sort_implIS3_Lb0EPKhPhPKlPlN2at6native12_GLOBAL__N_18offset_tEEE10hipError_tPvRmT1_PNSt15iterator_traitsISK_E10value_typeET2_T3_PNSL_ISQ_E10value_typeET4_jRbjT5_SW_jjP12ihipStream_tbEUlT_E_NS1_11comp_targetILNS1_3genE10ELNS1_11target_archE1201ELNS1_3gpuE5ELNS1_3repE0EEENS1_30default_config_static_selectorELNS0_4arch9wavefront6targetE0EEEvSK_.kd
    .uniform_work_group_size: 1
    .uses_dynamic_stack: false
    .vgpr_count:     0
    .vgpr_spill_count: 0
    .wavefront_size: 32
    .workgroup_processor_mode: 1
  - .args:
      - .offset:         0
        .size:           96
        .value_kind:     by_value
    .group_segment_fixed_size: 0
    .kernarg_segment_align: 8
    .kernarg_segment_size: 96
    .language:       OpenCL C
    .language_version:
      - 2
      - 0
    .max_flat_workgroup_size: 128
    .name:           _ZN7rocprim17ROCPRIM_400000_NS6detail17trampoline_kernelINS0_14default_configENS1_36segmented_radix_sort_config_selectorIhlEEZNS1_25segmented_radix_sort_implIS3_Lb0EPKhPhPKlPlN2at6native12_GLOBAL__N_18offset_tEEE10hipError_tPvRmT1_PNSt15iterator_traitsISK_E10value_typeET2_T3_PNSL_ISQ_E10value_typeET4_jRbjT5_SW_jjP12ihipStream_tbEUlT_E_NS1_11comp_targetILNS1_3genE10ELNS1_11target_archE1200ELNS1_3gpuE4ELNS1_3repE0EEENS1_30default_config_static_selectorELNS0_4arch9wavefront6targetE0EEEvSK_
    .private_segment_fixed_size: 0
    .sgpr_count:     0
    .sgpr_spill_count: 0
    .symbol:         _ZN7rocprim17ROCPRIM_400000_NS6detail17trampoline_kernelINS0_14default_configENS1_36segmented_radix_sort_config_selectorIhlEEZNS1_25segmented_radix_sort_implIS3_Lb0EPKhPhPKlPlN2at6native12_GLOBAL__N_18offset_tEEE10hipError_tPvRmT1_PNSt15iterator_traitsISK_E10value_typeET2_T3_PNSL_ISQ_E10value_typeET4_jRbjT5_SW_jjP12ihipStream_tbEUlT_E_NS1_11comp_targetILNS1_3genE10ELNS1_11target_archE1200ELNS1_3gpuE4ELNS1_3repE0EEENS1_30default_config_static_selectorELNS0_4arch9wavefront6targetE0EEEvSK_.kd
    .uniform_work_group_size: 1
    .uses_dynamic_stack: false
    .vgpr_count:     0
    .vgpr_spill_count: 0
    .wavefront_size: 32
    .workgroup_processor_mode: 1
  - .args:
      - .offset:         0
        .size:           96
        .value_kind:     by_value
    .group_segment_fixed_size: 0
    .kernarg_segment_align: 8
    .kernarg_segment_size: 96
    .language:       OpenCL C
    .language_version:
      - 2
      - 0
    .max_flat_workgroup_size: 256
    .name:           _ZN7rocprim17ROCPRIM_400000_NS6detail17trampoline_kernelINS0_14default_configENS1_36segmented_radix_sort_config_selectorIhlEEZNS1_25segmented_radix_sort_implIS3_Lb0EPKhPhPKlPlN2at6native12_GLOBAL__N_18offset_tEEE10hipError_tPvRmT1_PNSt15iterator_traitsISK_E10value_typeET2_T3_PNSL_ISQ_E10value_typeET4_jRbjT5_SW_jjP12ihipStream_tbEUlT_E_NS1_11comp_targetILNS1_3genE9ELNS1_11target_archE1100ELNS1_3gpuE3ELNS1_3repE0EEENS1_30default_config_static_selectorELNS0_4arch9wavefront6targetE0EEEvSK_
    .private_segment_fixed_size: 0
    .sgpr_count:     0
    .sgpr_spill_count: 0
    .symbol:         _ZN7rocprim17ROCPRIM_400000_NS6detail17trampoline_kernelINS0_14default_configENS1_36segmented_radix_sort_config_selectorIhlEEZNS1_25segmented_radix_sort_implIS3_Lb0EPKhPhPKlPlN2at6native12_GLOBAL__N_18offset_tEEE10hipError_tPvRmT1_PNSt15iterator_traitsISK_E10value_typeET2_T3_PNSL_ISQ_E10value_typeET4_jRbjT5_SW_jjP12ihipStream_tbEUlT_E_NS1_11comp_targetILNS1_3genE9ELNS1_11target_archE1100ELNS1_3gpuE3ELNS1_3repE0EEENS1_30default_config_static_selectorELNS0_4arch9wavefront6targetE0EEEvSK_.kd
    .uniform_work_group_size: 1
    .uses_dynamic_stack: false
    .vgpr_count:     0
    .vgpr_spill_count: 0
    .wavefront_size: 32
    .workgroup_processor_mode: 1
  - .args:
      - .offset:         0
        .size:           96
        .value_kind:     by_value
      - .offset:         96
        .size:           4
        .value_kind:     hidden_block_count_x
      - .offset:         100
        .size:           4
        .value_kind:     hidden_block_count_y
      - .offset:         104
        .size:           4
        .value_kind:     hidden_block_count_z
      - .offset:         108
        .size:           2
        .value_kind:     hidden_group_size_x
      - .offset:         110
        .size:           2
        .value_kind:     hidden_group_size_y
      - .offset:         112
        .size:           2
        .value_kind:     hidden_group_size_z
      - .offset:         114
        .size:           2
        .value_kind:     hidden_remainder_x
      - .offset:         116
        .size:           2
        .value_kind:     hidden_remainder_y
      - .offset:         118
        .size:           2
        .value_kind:     hidden_remainder_z
      - .offset:         136
        .size:           8
        .value_kind:     hidden_global_offset_x
      - .offset:         144
        .size:           8
        .value_kind:     hidden_global_offset_y
      - .offset:         152
        .size:           8
        .value_kind:     hidden_global_offset_z
      - .offset:         160
        .size:           2
        .value_kind:     hidden_grid_dims
    .group_segment_fixed_size: 35344
    .kernarg_segment_align: 8
    .kernarg_segment_size: 352
    .language:       OpenCL C
    .language_version:
      - 2
      - 0
    .max_flat_workgroup_size: 256
    .name:           _ZN7rocprim17ROCPRIM_400000_NS6detail17trampoline_kernelINS0_14default_configENS1_36segmented_radix_sort_config_selectorIhlEEZNS1_25segmented_radix_sort_implIS3_Lb0EPKhPhPKlPlN2at6native12_GLOBAL__N_18offset_tEEE10hipError_tPvRmT1_PNSt15iterator_traitsISK_E10value_typeET2_T3_PNSL_ISQ_E10value_typeET4_jRbjT5_SW_jjP12ihipStream_tbEUlT_E_NS1_11comp_targetILNS1_3genE8ELNS1_11target_archE1030ELNS1_3gpuE2ELNS1_3repE0EEENS1_30default_config_static_selectorELNS0_4arch9wavefront6targetE0EEEvSK_
    .private_segment_fixed_size: 196
    .sgpr_count:     70
    .sgpr_spill_count: 0
    .symbol:         _ZN7rocprim17ROCPRIM_400000_NS6detail17trampoline_kernelINS0_14default_configENS1_36segmented_radix_sort_config_selectorIhlEEZNS1_25segmented_radix_sort_implIS3_Lb0EPKhPhPKlPlN2at6native12_GLOBAL__N_18offset_tEEE10hipError_tPvRmT1_PNSt15iterator_traitsISK_E10value_typeET2_T3_PNSL_ISQ_E10value_typeET4_jRbjT5_SW_jjP12ihipStream_tbEUlT_E_NS1_11comp_targetILNS1_3genE8ELNS1_11target_archE1030ELNS1_3gpuE2ELNS1_3repE0EEENS1_30default_config_static_selectorELNS0_4arch9wavefront6targetE0EEEvSK_.kd
    .uniform_work_group_size: 1
    .uses_dynamic_stack: false
    .vgpr_count:     248
    .vgpr_spill_count: 0
    .wavefront_size: 32
    .workgroup_processor_mode: 1
  - .args:
      - .offset:         0
        .size:           88
        .value_kind:     by_value
    .group_segment_fixed_size: 0
    .kernarg_segment_align: 8
    .kernarg_segment_size: 88
    .language:       OpenCL C
    .language_version:
      - 2
      - 0
    .max_flat_workgroup_size: 256
    .name:           _ZN7rocprim17ROCPRIM_400000_NS6detail17trampoline_kernelINS0_14default_configENS1_36segmented_radix_sort_config_selectorIhlEEZNS1_25segmented_radix_sort_implIS3_Lb0EPKhPhPKlPlN2at6native12_GLOBAL__N_18offset_tEEE10hipError_tPvRmT1_PNSt15iterator_traitsISK_E10value_typeET2_T3_PNSL_ISQ_E10value_typeET4_jRbjT5_SW_jjP12ihipStream_tbEUlT_E0_NS1_11comp_targetILNS1_3genE0ELNS1_11target_archE4294967295ELNS1_3gpuE0ELNS1_3repE0EEENS1_60segmented_radix_sort_warp_sort_medium_config_static_selectorELNS0_4arch9wavefront6targetE0EEEvSK_
    .private_segment_fixed_size: 0
    .sgpr_count:     0
    .sgpr_spill_count: 0
    .symbol:         _ZN7rocprim17ROCPRIM_400000_NS6detail17trampoline_kernelINS0_14default_configENS1_36segmented_radix_sort_config_selectorIhlEEZNS1_25segmented_radix_sort_implIS3_Lb0EPKhPhPKlPlN2at6native12_GLOBAL__N_18offset_tEEE10hipError_tPvRmT1_PNSt15iterator_traitsISK_E10value_typeET2_T3_PNSL_ISQ_E10value_typeET4_jRbjT5_SW_jjP12ihipStream_tbEUlT_E0_NS1_11comp_targetILNS1_3genE0ELNS1_11target_archE4294967295ELNS1_3gpuE0ELNS1_3repE0EEENS1_60segmented_radix_sort_warp_sort_medium_config_static_selectorELNS0_4arch9wavefront6targetE0EEEvSK_.kd
    .uniform_work_group_size: 1
    .uses_dynamic_stack: false
    .vgpr_count:     0
    .vgpr_spill_count: 0
    .wavefront_size: 32
    .workgroup_processor_mode: 1
  - .args:
      - .offset:         0
        .size:           88
        .value_kind:     by_value
    .group_segment_fixed_size: 0
    .kernarg_segment_align: 8
    .kernarg_segment_size: 88
    .language:       OpenCL C
    .language_version:
      - 2
      - 0
    .max_flat_workgroup_size: 256
    .name:           _ZN7rocprim17ROCPRIM_400000_NS6detail17trampoline_kernelINS0_14default_configENS1_36segmented_radix_sort_config_selectorIhlEEZNS1_25segmented_radix_sort_implIS3_Lb0EPKhPhPKlPlN2at6native12_GLOBAL__N_18offset_tEEE10hipError_tPvRmT1_PNSt15iterator_traitsISK_E10value_typeET2_T3_PNSL_ISQ_E10value_typeET4_jRbjT5_SW_jjP12ihipStream_tbEUlT_E0_NS1_11comp_targetILNS1_3genE5ELNS1_11target_archE942ELNS1_3gpuE9ELNS1_3repE0EEENS1_60segmented_radix_sort_warp_sort_medium_config_static_selectorELNS0_4arch9wavefront6targetE0EEEvSK_
    .private_segment_fixed_size: 0
    .sgpr_count:     0
    .sgpr_spill_count: 0
    .symbol:         _ZN7rocprim17ROCPRIM_400000_NS6detail17trampoline_kernelINS0_14default_configENS1_36segmented_radix_sort_config_selectorIhlEEZNS1_25segmented_radix_sort_implIS3_Lb0EPKhPhPKlPlN2at6native12_GLOBAL__N_18offset_tEEE10hipError_tPvRmT1_PNSt15iterator_traitsISK_E10value_typeET2_T3_PNSL_ISQ_E10value_typeET4_jRbjT5_SW_jjP12ihipStream_tbEUlT_E0_NS1_11comp_targetILNS1_3genE5ELNS1_11target_archE942ELNS1_3gpuE9ELNS1_3repE0EEENS1_60segmented_radix_sort_warp_sort_medium_config_static_selectorELNS0_4arch9wavefront6targetE0EEEvSK_.kd
    .uniform_work_group_size: 1
    .uses_dynamic_stack: false
    .vgpr_count:     0
    .vgpr_spill_count: 0
    .wavefront_size: 32
    .workgroup_processor_mode: 1
  - .args:
      - .offset:         0
        .size:           88
        .value_kind:     by_value
    .group_segment_fixed_size: 0
    .kernarg_segment_align: 8
    .kernarg_segment_size: 88
    .language:       OpenCL C
    .language_version:
      - 2
      - 0
    .max_flat_workgroup_size: 256
    .name:           _ZN7rocprim17ROCPRIM_400000_NS6detail17trampoline_kernelINS0_14default_configENS1_36segmented_radix_sort_config_selectorIhlEEZNS1_25segmented_radix_sort_implIS3_Lb0EPKhPhPKlPlN2at6native12_GLOBAL__N_18offset_tEEE10hipError_tPvRmT1_PNSt15iterator_traitsISK_E10value_typeET2_T3_PNSL_ISQ_E10value_typeET4_jRbjT5_SW_jjP12ihipStream_tbEUlT_E0_NS1_11comp_targetILNS1_3genE4ELNS1_11target_archE910ELNS1_3gpuE8ELNS1_3repE0EEENS1_60segmented_radix_sort_warp_sort_medium_config_static_selectorELNS0_4arch9wavefront6targetE0EEEvSK_
    .private_segment_fixed_size: 0
    .sgpr_count:     0
    .sgpr_spill_count: 0
    .symbol:         _ZN7rocprim17ROCPRIM_400000_NS6detail17trampoline_kernelINS0_14default_configENS1_36segmented_radix_sort_config_selectorIhlEEZNS1_25segmented_radix_sort_implIS3_Lb0EPKhPhPKlPlN2at6native12_GLOBAL__N_18offset_tEEE10hipError_tPvRmT1_PNSt15iterator_traitsISK_E10value_typeET2_T3_PNSL_ISQ_E10value_typeET4_jRbjT5_SW_jjP12ihipStream_tbEUlT_E0_NS1_11comp_targetILNS1_3genE4ELNS1_11target_archE910ELNS1_3gpuE8ELNS1_3repE0EEENS1_60segmented_radix_sort_warp_sort_medium_config_static_selectorELNS0_4arch9wavefront6targetE0EEEvSK_.kd
    .uniform_work_group_size: 1
    .uses_dynamic_stack: false
    .vgpr_count:     0
    .vgpr_spill_count: 0
    .wavefront_size: 32
    .workgroup_processor_mode: 1
  - .args:
      - .offset:         0
        .size:           88
        .value_kind:     by_value
    .group_segment_fixed_size: 0
    .kernarg_segment_align: 8
    .kernarg_segment_size: 88
    .language:       OpenCL C
    .language_version:
      - 2
      - 0
    .max_flat_workgroup_size: 256
    .name:           _ZN7rocprim17ROCPRIM_400000_NS6detail17trampoline_kernelINS0_14default_configENS1_36segmented_radix_sort_config_selectorIhlEEZNS1_25segmented_radix_sort_implIS3_Lb0EPKhPhPKlPlN2at6native12_GLOBAL__N_18offset_tEEE10hipError_tPvRmT1_PNSt15iterator_traitsISK_E10value_typeET2_T3_PNSL_ISQ_E10value_typeET4_jRbjT5_SW_jjP12ihipStream_tbEUlT_E0_NS1_11comp_targetILNS1_3genE3ELNS1_11target_archE908ELNS1_3gpuE7ELNS1_3repE0EEENS1_60segmented_radix_sort_warp_sort_medium_config_static_selectorELNS0_4arch9wavefront6targetE0EEEvSK_
    .private_segment_fixed_size: 0
    .sgpr_count:     0
    .sgpr_spill_count: 0
    .symbol:         _ZN7rocprim17ROCPRIM_400000_NS6detail17trampoline_kernelINS0_14default_configENS1_36segmented_radix_sort_config_selectorIhlEEZNS1_25segmented_radix_sort_implIS3_Lb0EPKhPhPKlPlN2at6native12_GLOBAL__N_18offset_tEEE10hipError_tPvRmT1_PNSt15iterator_traitsISK_E10value_typeET2_T3_PNSL_ISQ_E10value_typeET4_jRbjT5_SW_jjP12ihipStream_tbEUlT_E0_NS1_11comp_targetILNS1_3genE3ELNS1_11target_archE908ELNS1_3gpuE7ELNS1_3repE0EEENS1_60segmented_radix_sort_warp_sort_medium_config_static_selectorELNS0_4arch9wavefront6targetE0EEEvSK_.kd
    .uniform_work_group_size: 1
    .uses_dynamic_stack: false
    .vgpr_count:     0
    .vgpr_spill_count: 0
    .wavefront_size: 32
    .workgroup_processor_mode: 1
  - .args:
      - .offset:         0
        .size:           88
        .value_kind:     by_value
    .group_segment_fixed_size: 0
    .kernarg_segment_align: 8
    .kernarg_segment_size: 88
    .language:       OpenCL C
    .language_version:
      - 2
      - 0
    .max_flat_workgroup_size: 256
    .name:           _ZN7rocprim17ROCPRIM_400000_NS6detail17trampoline_kernelINS0_14default_configENS1_36segmented_radix_sort_config_selectorIhlEEZNS1_25segmented_radix_sort_implIS3_Lb0EPKhPhPKlPlN2at6native12_GLOBAL__N_18offset_tEEE10hipError_tPvRmT1_PNSt15iterator_traitsISK_E10value_typeET2_T3_PNSL_ISQ_E10value_typeET4_jRbjT5_SW_jjP12ihipStream_tbEUlT_E0_NS1_11comp_targetILNS1_3genE2ELNS1_11target_archE906ELNS1_3gpuE6ELNS1_3repE0EEENS1_60segmented_radix_sort_warp_sort_medium_config_static_selectorELNS0_4arch9wavefront6targetE0EEEvSK_
    .private_segment_fixed_size: 0
    .sgpr_count:     0
    .sgpr_spill_count: 0
    .symbol:         _ZN7rocprim17ROCPRIM_400000_NS6detail17trampoline_kernelINS0_14default_configENS1_36segmented_radix_sort_config_selectorIhlEEZNS1_25segmented_radix_sort_implIS3_Lb0EPKhPhPKlPlN2at6native12_GLOBAL__N_18offset_tEEE10hipError_tPvRmT1_PNSt15iterator_traitsISK_E10value_typeET2_T3_PNSL_ISQ_E10value_typeET4_jRbjT5_SW_jjP12ihipStream_tbEUlT_E0_NS1_11comp_targetILNS1_3genE2ELNS1_11target_archE906ELNS1_3gpuE6ELNS1_3repE0EEENS1_60segmented_radix_sort_warp_sort_medium_config_static_selectorELNS0_4arch9wavefront6targetE0EEEvSK_.kd
    .uniform_work_group_size: 1
    .uses_dynamic_stack: false
    .vgpr_count:     0
    .vgpr_spill_count: 0
    .wavefront_size: 32
    .workgroup_processor_mode: 1
  - .args:
      - .offset:         0
        .size:           88
        .value_kind:     by_value
    .group_segment_fixed_size: 0
    .kernarg_segment_align: 8
    .kernarg_segment_size: 88
    .language:       OpenCL C
    .language_version:
      - 2
      - 0
    .max_flat_workgroup_size: 256
    .name:           _ZN7rocprim17ROCPRIM_400000_NS6detail17trampoline_kernelINS0_14default_configENS1_36segmented_radix_sort_config_selectorIhlEEZNS1_25segmented_radix_sort_implIS3_Lb0EPKhPhPKlPlN2at6native12_GLOBAL__N_18offset_tEEE10hipError_tPvRmT1_PNSt15iterator_traitsISK_E10value_typeET2_T3_PNSL_ISQ_E10value_typeET4_jRbjT5_SW_jjP12ihipStream_tbEUlT_E0_NS1_11comp_targetILNS1_3genE10ELNS1_11target_archE1201ELNS1_3gpuE5ELNS1_3repE0EEENS1_60segmented_radix_sort_warp_sort_medium_config_static_selectorELNS0_4arch9wavefront6targetE0EEEvSK_
    .private_segment_fixed_size: 0
    .sgpr_count:     0
    .sgpr_spill_count: 0
    .symbol:         _ZN7rocprim17ROCPRIM_400000_NS6detail17trampoline_kernelINS0_14default_configENS1_36segmented_radix_sort_config_selectorIhlEEZNS1_25segmented_radix_sort_implIS3_Lb0EPKhPhPKlPlN2at6native12_GLOBAL__N_18offset_tEEE10hipError_tPvRmT1_PNSt15iterator_traitsISK_E10value_typeET2_T3_PNSL_ISQ_E10value_typeET4_jRbjT5_SW_jjP12ihipStream_tbEUlT_E0_NS1_11comp_targetILNS1_3genE10ELNS1_11target_archE1201ELNS1_3gpuE5ELNS1_3repE0EEENS1_60segmented_radix_sort_warp_sort_medium_config_static_selectorELNS0_4arch9wavefront6targetE0EEEvSK_.kd
    .uniform_work_group_size: 1
    .uses_dynamic_stack: false
    .vgpr_count:     0
    .vgpr_spill_count: 0
    .wavefront_size: 32
    .workgroup_processor_mode: 1
  - .args:
      - .offset:         0
        .size:           88
        .value_kind:     by_value
    .group_segment_fixed_size: 0
    .kernarg_segment_align: 8
    .kernarg_segment_size: 88
    .language:       OpenCL C
    .language_version:
      - 2
      - 0
    .max_flat_workgroup_size: 256
    .name:           _ZN7rocprim17ROCPRIM_400000_NS6detail17trampoline_kernelINS0_14default_configENS1_36segmented_radix_sort_config_selectorIhlEEZNS1_25segmented_radix_sort_implIS3_Lb0EPKhPhPKlPlN2at6native12_GLOBAL__N_18offset_tEEE10hipError_tPvRmT1_PNSt15iterator_traitsISK_E10value_typeET2_T3_PNSL_ISQ_E10value_typeET4_jRbjT5_SW_jjP12ihipStream_tbEUlT_E0_NS1_11comp_targetILNS1_3genE10ELNS1_11target_archE1200ELNS1_3gpuE4ELNS1_3repE0EEENS1_60segmented_radix_sort_warp_sort_medium_config_static_selectorELNS0_4arch9wavefront6targetE0EEEvSK_
    .private_segment_fixed_size: 0
    .sgpr_count:     0
    .sgpr_spill_count: 0
    .symbol:         _ZN7rocprim17ROCPRIM_400000_NS6detail17trampoline_kernelINS0_14default_configENS1_36segmented_radix_sort_config_selectorIhlEEZNS1_25segmented_radix_sort_implIS3_Lb0EPKhPhPKlPlN2at6native12_GLOBAL__N_18offset_tEEE10hipError_tPvRmT1_PNSt15iterator_traitsISK_E10value_typeET2_T3_PNSL_ISQ_E10value_typeET4_jRbjT5_SW_jjP12ihipStream_tbEUlT_E0_NS1_11comp_targetILNS1_3genE10ELNS1_11target_archE1200ELNS1_3gpuE4ELNS1_3repE0EEENS1_60segmented_radix_sort_warp_sort_medium_config_static_selectorELNS0_4arch9wavefront6targetE0EEEvSK_.kd
    .uniform_work_group_size: 1
    .uses_dynamic_stack: false
    .vgpr_count:     0
    .vgpr_spill_count: 0
    .wavefront_size: 32
    .workgroup_processor_mode: 1
  - .args:
      - .offset:         0
        .size:           88
        .value_kind:     by_value
    .group_segment_fixed_size: 0
    .kernarg_segment_align: 8
    .kernarg_segment_size: 88
    .language:       OpenCL C
    .language_version:
      - 2
      - 0
    .max_flat_workgroup_size: 256
    .name:           _ZN7rocprim17ROCPRIM_400000_NS6detail17trampoline_kernelINS0_14default_configENS1_36segmented_radix_sort_config_selectorIhlEEZNS1_25segmented_radix_sort_implIS3_Lb0EPKhPhPKlPlN2at6native12_GLOBAL__N_18offset_tEEE10hipError_tPvRmT1_PNSt15iterator_traitsISK_E10value_typeET2_T3_PNSL_ISQ_E10value_typeET4_jRbjT5_SW_jjP12ihipStream_tbEUlT_E0_NS1_11comp_targetILNS1_3genE9ELNS1_11target_archE1100ELNS1_3gpuE3ELNS1_3repE0EEENS1_60segmented_radix_sort_warp_sort_medium_config_static_selectorELNS0_4arch9wavefront6targetE0EEEvSK_
    .private_segment_fixed_size: 0
    .sgpr_count:     0
    .sgpr_spill_count: 0
    .symbol:         _ZN7rocprim17ROCPRIM_400000_NS6detail17trampoline_kernelINS0_14default_configENS1_36segmented_radix_sort_config_selectorIhlEEZNS1_25segmented_radix_sort_implIS3_Lb0EPKhPhPKlPlN2at6native12_GLOBAL__N_18offset_tEEE10hipError_tPvRmT1_PNSt15iterator_traitsISK_E10value_typeET2_T3_PNSL_ISQ_E10value_typeET4_jRbjT5_SW_jjP12ihipStream_tbEUlT_E0_NS1_11comp_targetILNS1_3genE9ELNS1_11target_archE1100ELNS1_3gpuE3ELNS1_3repE0EEENS1_60segmented_radix_sort_warp_sort_medium_config_static_selectorELNS0_4arch9wavefront6targetE0EEEvSK_.kd
    .uniform_work_group_size: 1
    .uses_dynamic_stack: false
    .vgpr_count:     0
    .vgpr_spill_count: 0
    .wavefront_size: 32
    .workgroup_processor_mode: 1
  - .args:
      - .offset:         0
        .size:           88
        .value_kind:     by_value
      - .offset:         88
        .size:           4
        .value_kind:     hidden_block_count_x
      - .offset:         92
        .size:           4
        .value_kind:     hidden_block_count_y
      - .offset:         96
        .size:           4
        .value_kind:     hidden_block_count_z
      - .offset:         100
        .size:           2
        .value_kind:     hidden_group_size_x
      - .offset:         102
        .size:           2
        .value_kind:     hidden_group_size_y
      - .offset:         104
        .size:           2
        .value_kind:     hidden_group_size_z
      - .offset:         106
        .size:           2
        .value_kind:     hidden_remainder_x
      - .offset:         108
        .size:           2
        .value_kind:     hidden_remainder_y
      - .offset:         110
        .size:           2
        .value_kind:     hidden_remainder_z
      - .offset:         128
        .size:           8
        .value_kind:     hidden_global_offset_x
      - .offset:         136
        .size:           8
        .value_kind:     hidden_global_offset_y
      - .offset:         144
        .size:           8
        .value_kind:     hidden_global_offset_z
      - .offset:         152
        .size:           2
        .value_kind:     hidden_grid_dims
    .group_segment_fixed_size: 9216
    .kernarg_segment_align: 8
    .kernarg_segment_size: 344
    .language:       OpenCL C
    .language_version:
      - 2
      - 0
    .max_flat_workgroup_size: 256
    .name:           _ZN7rocprim17ROCPRIM_400000_NS6detail17trampoline_kernelINS0_14default_configENS1_36segmented_radix_sort_config_selectorIhlEEZNS1_25segmented_radix_sort_implIS3_Lb0EPKhPhPKlPlN2at6native12_GLOBAL__N_18offset_tEEE10hipError_tPvRmT1_PNSt15iterator_traitsISK_E10value_typeET2_T3_PNSL_ISQ_E10value_typeET4_jRbjT5_SW_jjP12ihipStream_tbEUlT_E0_NS1_11comp_targetILNS1_3genE8ELNS1_11target_archE1030ELNS1_3gpuE2ELNS1_3repE0EEENS1_60segmented_radix_sort_warp_sort_medium_config_static_selectorELNS0_4arch9wavefront6targetE0EEEvSK_
    .private_segment_fixed_size: 0
    .sgpr_count:     42
    .sgpr_spill_count: 0
    .symbol:         _ZN7rocprim17ROCPRIM_400000_NS6detail17trampoline_kernelINS0_14default_configENS1_36segmented_radix_sort_config_selectorIhlEEZNS1_25segmented_radix_sort_implIS3_Lb0EPKhPhPKlPlN2at6native12_GLOBAL__N_18offset_tEEE10hipError_tPvRmT1_PNSt15iterator_traitsISK_E10value_typeET2_T3_PNSL_ISQ_E10value_typeET4_jRbjT5_SW_jjP12ihipStream_tbEUlT_E0_NS1_11comp_targetILNS1_3genE8ELNS1_11target_archE1030ELNS1_3gpuE2ELNS1_3repE0EEENS1_60segmented_radix_sort_warp_sort_medium_config_static_selectorELNS0_4arch9wavefront6targetE0EEEvSK_.kd
    .uniform_work_group_size: 1
    .uses_dynamic_stack: false
    .vgpr_count:     53
    .vgpr_spill_count: 0
    .wavefront_size: 32
    .workgroup_processor_mode: 1
  - .args:
      - .offset:         0
        .size:           88
        .value_kind:     by_value
    .group_segment_fixed_size: 0
    .kernarg_segment_align: 8
    .kernarg_segment_size: 88
    .language:       OpenCL C
    .language_version:
      - 2
      - 0
    .max_flat_workgroup_size: 256
    .name:           _ZN7rocprim17ROCPRIM_400000_NS6detail17trampoline_kernelINS0_14default_configENS1_36segmented_radix_sort_config_selectorIhlEEZNS1_25segmented_radix_sort_implIS3_Lb0EPKhPhPKlPlN2at6native12_GLOBAL__N_18offset_tEEE10hipError_tPvRmT1_PNSt15iterator_traitsISK_E10value_typeET2_T3_PNSL_ISQ_E10value_typeET4_jRbjT5_SW_jjP12ihipStream_tbEUlT_E1_NS1_11comp_targetILNS1_3genE0ELNS1_11target_archE4294967295ELNS1_3gpuE0ELNS1_3repE0EEENS1_59segmented_radix_sort_warp_sort_small_config_static_selectorELNS0_4arch9wavefront6targetE0EEEvSK_
    .private_segment_fixed_size: 0
    .sgpr_count:     0
    .sgpr_spill_count: 0
    .symbol:         _ZN7rocprim17ROCPRIM_400000_NS6detail17trampoline_kernelINS0_14default_configENS1_36segmented_radix_sort_config_selectorIhlEEZNS1_25segmented_radix_sort_implIS3_Lb0EPKhPhPKlPlN2at6native12_GLOBAL__N_18offset_tEEE10hipError_tPvRmT1_PNSt15iterator_traitsISK_E10value_typeET2_T3_PNSL_ISQ_E10value_typeET4_jRbjT5_SW_jjP12ihipStream_tbEUlT_E1_NS1_11comp_targetILNS1_3genE0ELNS1_11target_archE4294967295ELNS1_3gpuE0ELNS1_3repE0EEENS1_59segmented_radix_sort_warp_sort_small_config_static_selectorELNS0_4arch9wavefront6targetE0EEEvSK_.kd
    .uniform_work_group_size: 1
    .uses_dynamic_stack: false
    .vgpr_count:     0
    .vgpr_spill_count: 0
    .wavefront_size: 32
    .workgroup_processor_mode: 1
  - .args:
      - .offset:         0
        .size:           88
        .value_kind:     by_value
    .group_segment_fixed_size: 0
    .kernarg_segment_align: 8
    .kernarg_segment_size: 88
    .language:       OpenCL C
    .language_version:
      - 2
      - 0
    .max_flat_workgroup_size: 256
    .name:           _ZN7rocprim17ROCPRIM_400000_NS6detail17trampoline_kernelINS0_14default_configENS1_36segmented_radix_sort_config_selectorIhlEEZNS1_25segmented_radix_sort_implIS3_Lb0EPKhPhPKlPlN2at6native12_GLOBAL__N_18offset_tEEE10hipError_tPvRmT1_PNSt15iterator_traitsISK_E10value_typeET2_T3_PNSL_ISQ_E10value_typeET4_jRbjT5_SW_jjP12ihipStream_tbEUlT_E1_NS1_11comp_targetILNS1_3genE5ELNS1_11target_archE942ELNS1_3gpuE9ELNS1_3repE0EEENS1_59segmented_radix_sort_warp_sort_small_config_static_selectorELNS0_4arch9wavefront6targetE0EEEvSK_
    .private_segment_fixed_size: 0
    .sgpr_count:     0
    .sgpr_spill_count: 0
    .symbol:         _ZN7rocprim17ROCPRIM_400000_NS6detail17trampoline_kernelINS0_14default_configENS1_36segmented_radix_sort_config_selectorIhlEEZNS1_25segmented_radix_sort_implIS3_Lb0EPKhPhPKlPlN2at6native12_GLOBAL__N_18offset_tEEE10hipError_tPvRmT1_PNSt15iterator_traitsISK_E10value_typeET2_T3_PNSL_ISQ_E10value_typeET4_jRbjT5_SW_jjP12ihipStream_tbEUlT_E1_NS1_11comp_targetILNS1_3genE5ELNS1_11target_archE942ELNS1_3gpuE9ELNS1_3repE0EEENS1_59segmented_radix_sort_warp_sort_small_config_static_selectorELNS0_4arch9wavefront6targetE0EEEvSK_.kd
    .uniform_work_group_size: 1
    .uses_dynamic_stack: false
    .vgpr_count:     0
    .vgpr_spill_count: 0
    .wavefront_size: 32
    .workgroup_processor_mode: 1
  - .args:
      - .offset:         0
        .size:           88
        .value_kind:     by_value
    .group_segment_fixed_size: 0
    .kernarg_segment_align: 8
    .kernarg_segment_size: 88
    .language:       OpenCL C
    .language_version:
      - 2
      - 0
    .max_flat_workgroup_size: 256
    .name:           _ZN7rocprim17ROCPRIM_400000_NS6detail17trampoline_kernelINS0_14default_configENS1_36segmented_radix_sort_config_selectorIhlEEZNS1_25segmented_radix_sort_implIS3_Lb0EPKhPhPKlPlN2at6native12_GLOBAL__N_18offset_tEEE10hipError_tPvRmT1_PNSt15iterator_traitsISK_E10value_typeET2_T3_PNSL_ISQ_E10value_typeET4_jRbjT5_SW_jjP12ihipStream_tbEUlT_E1_NS1_11comp_targetILNS1_3genE4ELNS1_11target_archE910ELNS1_3gpuE8ELNS1_3repE0EEENS1_59segmented_radix_sort_warp_sort_small_config_static_selectorELNS0_4arch9wavefront6targetE0EEEvSK_
    .private_segment_fixed_size: 0
    .sgpr_count:     0
    .sgpr_spill_count: 0
    .symbol:         _ZN7rocprim17ROCPRIM_400000_NS6detail17trampoline_kernelINS0_14default_configENS1_36segmented_radix_sort_config_selectorIhlEEZNS1_25segmented_radix_sort_implIS3_Lb0EPKhPhPKlPlN2at6native12_GLOBAL__N_18offset_tEEE10hipError_tPvRmT1_PNSt15iterator_traitsISK_E10value_typeET2_T3_PNSL_ISQ_E10value_typeET4_jRbjT5_SW_jjP12ihipStream_tbEUlT_E1_NS1_11comp_targetILNS1_3genE4ELNS1_11target_archE910ELNS1_3gpuE8ELNS1_3repE0EEENS1_59segmented_radix_sort_warp_sort_small_config_static_selectorELNS0_4arch9wavefront6targetE0EEEvSK_.kd
    .uniform_work_group_size: 1
    .uses_dynamic_stack: false
    .vgpr_count:     0
    .vgpr_spill_count: 0
    .wavefront_size: 32
    .workgroup_processor_mode: 1
  - .args:
      - .offset:         0
        .size:           88
        .value_kind:     by_value
    .group_segment_fixed_size: 0
    .kernarg_segment_align: 8
    .kernarg_segment_size: 88
    .language:       OpenCL C
    .language_version:
      - 2
      - 0
    .max_flat_workgroup_size: 256
    .name:           _ZN7rocprim17ROCPRIM_400000_NS6detail17trampoline_kernelINS0_14default_configENS1_36segmented_radix_sort_config_selectorIhlEEZNS1_25segmented_radix_sort_implIS3_Lb0EPKhPhPKlPlN2at6native12_GLOBAL__N_18offset_tEEE10hipError_tPvRmT1_PNSt15iterator_traitsISK_E10value_typeET2_T3_PNSL_ISQ_E10value_typeET4_jRbjT5_SW_jjP12ihipStream_tbEUlT_E1_NS1_11comp_targetILNS1_3genE3ELNS1_11target_archE908ELNS1_3gpuE7ELNS1_3repE0EEENS1_59segmented_radix_sort_warp_sort_small_config_static_selectorELNS0_4arch9wavefront6targetE0EEEvSK_
    .private_segment_fixed_size: 0
    .sgpr_count:     0
    .sgpr_spill_count: 0
    .symbol:         _ZN7rocprim17ROCPRIM_400000_NS6detail17trampoline_kernelINS0_14default_configENS1_36segmented_radix_sort_config_selectorIhlEEZNS1_25segmented_radix_sort_implIS3_Lb0EPKhPhPKlPlN2at6native12_GLOBAL__N_18offset_tEEE10hipError_tPvRmT1_PNSt15iterator_traitsISK_E10value_typeET2_T3_PNSL_ISQ_E10value_typeET4_jRbjT5_SW_jjP12ihipStream_tbEUlT_E1_NS1_11comp_targetILNS1_3genE3ELNS1_11target_archE908ELNS1_3gpuE7ELNS1_3repE0EEENS1_59segmented_radix_sort_warp_sort_small_config_static_selectorELNS0_4arch9wavefront6targetE0EEEvSK_.kd
    .uniform_work_group_size: 1
    .uses_dynamic_stack: false
    .vgpr_count:     0
    .vgpr_spill_count: 0
    .wavefront_size: 32
    .workgroup_processor_mode: 1
  - .args:
      - .offset:         0
        .size:           88
        .value_kind:     by_value
    .group_segment_fixed_size: 0
    .kernarg_segment_align: 8
    .kernarg_segment_size: 88
    .language:       OpenCL C
    .language_version:
      - 2
      - 0
    .max_flat_workgroup_size: 256
    .name:           _ZN7rocprim17ROCPRIM_400000_NS6detail17trampoline_kernelINS0_14default_configENS1_36segmented_radix_sort_config_selectorIhlEEZNS1_25segmented_radix_sort_implIS3_Lb0EPKhPhPKlPlN2at6native12_GLOBAL__N_18offset_tEEE10hipError_tPvRmT1_PNSt15iterator_traitsISK_E10value_typeET2_T3_PNSL_ISQ_E10value_typeET4_jRbjT5_SW_jjP12ihipStream_tbEUlT_E1_NS1_11comp_targetILNS1_3genE2ELNS1_11target_archE906ELNS1_3gpuE6ELNS1_3repE0EEENS1_59segmented_radix_sort_warp_sort_small_config_static_selectorELNS0_4arch9wavefront6targetE0EEEvSK_
    .private_segment_fixed_size: 0
    .sgpr_count:     0
    .sgpr_spill_count: 0
    .symbol:         _ZN7rocprim17ROCPRIM_400000_NS6detail17trampoline_kernelINS0_14default_configENS1_36segmented_radix_sort_config_selectorIhlEEZNS1_25segmented_radix_sort_implIS3_Lb0EPKhPhPKlPlN2at6native12_GLOBAL__N_18offset_tEEE10hipError_tPvRmT1_PNSt15iterator_traitsISK_E10value_typeET2_T3_PNSL_ISQ_E10value_typeET4_jRbjT5_SW_jjP12ihipStream_tbEUlT_E1_NS1_11comp_targetILNS1_3genE2ELNS1_11target_archE906ELNS1_3gpuE6ELNS1_3repE0EEENS1_59segmented_radix_sort_warp_sort_small_config_static_selectorELNS0_4arch9wavefront6targetE0EEEvSK_.kd
    .uniform_work_group_size: 1
    .uses_dynamic_stack: false
    .vgpr_count:     0
    .vgpr_spill_count: 0
    .wavefront_size: 32
    .workgroup_processor_mode: 1
  - .args:
      - .offset:         0
        .size:           88
        .value_kind:     by_value
    .group_segment_fixed_size: 0
    .kernarg_segment_align: 8
    .kernarg_segment_size: 88
    .language:       OpenCL C
    .language_version:
      - 2
      - 0
    .max_flat_workgroup_size: 256
    .name:           _ZN7rocprim17ROCPRIM_400000_NS6detail17trampoline_kernelINS0_14default_configENS1_36segmented_radix_sort_config_selectorIhlEEZNS1_25segmented_radix_sort_implIS3_Lb0EPKhPhPKlPlN2at6native12_GLOBAL__N_18offset_tEEE10hipError_tPvRmT1_PNSt15iterator_traitsISK_E10value_typeET2_T3_PNSL_ISQ_E10value_typeET4_jRbjT5_SW_jjP12ihipStream_tbEUlT_E1_NS1_11comp_targetILNS1_3genE10ELNS1_11target_archE1201ELNS1_3gpuE5ELNS1_3repE0EEENS1_59segmented_radix_sort_warp_sort_small_config_static_selectorELNS0_4arch9wavefront6targetE0EEEvSK_
    .private_segment_fixed_size: 0
    .sgpr_count:     0
    .sgpr_spill_count: 0
    .symbol:         _ZN7rocprim17ROCPRIM_400000_NS6detail17trampoline_kernelINS0_14default_configENS1_36segmented_radix_sort_config_selectorIhlEEZNS1_25segmented_radix_sort_implIS3_Lb0EPKhPhPKlPlN2at6native12_GLOBAL__N_18offset_tEEE10hipError_tPvRmT1_PNSt15iterator_traitsISK_E10value_typeET2_T3_PNSL_ISQ_E10value_typeET4_jRbjT5_SW_jjP12ihipStream_tbEUlT_E1_NS1_11comp_targetILNS1_3genE10ELNS1_11target_archE1201ELNS1_3gpuE5ELNS1_3repE0EEENS1_59segmented_radix_sort_warp_sort_small_config_static_selectorELNS0_4arch9wavefront6targetE0EEEvSK_.kd
    .uniform_work_group_size: 1
    .uses_dynamic_stack: false
    .vgpr_count:     0
    .vgpr_spill_count: 0
    .wavefront_size: 32
    .workgroup_processor_mode: 1
  - .args:
      - .offset:         0
        .size:           88
        .value_kind:     by_value
    .group_segment_fixed_size: 0
    .kernarg_segment_align: 8
    .kernarg_segment_size: 88
    .language:       OpenCL C
    .language_version:
      - 2
      - 0
    .max_flat_workgroup_size: 256
    .name:           _ZN7rocprim17ROCPRIM_400000_NS6detail17trampoline_kernelINS0_14default_configENS1_36segmented_radix_sort_config_selectorIhlEEZNS1_25segmented_radix_sort_implIS3_Lb0EPKhPhPKlPlN2at6native12_GLOBAL__N_18offset_tEEE10hipError_tPvRmT1_PNSt15iterator_traitsISK_E10value_typeET2_T3_PNSL_ISQ_E10value_typeET4_jRbjT5_SW_jjP12ihipStream_tbEUlT_E1_NS1_11comp_targetILNS1_3genE10ELNS1_11target_archE1200ELNS1_3gpuE4ELNS1_3repE0EEENS1_59segmented_radix_sort_warp_sort_small_config_static_selectorELNS0_4arch9wavefront6targetE0EEEvSK_
    .private_segment_fixed_size: 0
    .sgpr_count:     0
    .sgpr_spill_count: 0
    .symbol:         _ZN7rocprim17ROCPRIM_400000_NS6detail17trampoline_kernelINS0_14default_configENS1_36segmented_radix_sort_config_selectorIhlEEZNS1_25segmented_radix_sort_implIS3_Lb0EPKhPhPKlPlN2at6native12_GLOBAL__N_18offset_tEEE10hipError_tPvRmT1_PNSt15iterator_traitsISK_E10value_typeET2_T3_PNSL_ISQ_E10value_typeET4_jRbjT5_SW_jjP12ihipStream_tbEUlT_E1_NS1_11comp_targetILNS1_3genE10ELNS1_11target_archE1200ELNS1_3gpuE4ELNS1_3repE0EEENS1_59segmented_radix_sort_warp_sort_small_config_static_selectorELNS0_4arch9wavefront6targetE0EEEvSK_.kd
    .uniform_work_group_size: 1
    .uses_dynamic_stack: false
    .vgpr_count:     0
    .vgpr_spill_count: 0
    .wavefront_size: 32
    .workgroup_processor_mode: 1
  - .args:
      - .offset:         0
        .size:           88
        .value_kind:     by_value
    .group_segment_fixed_size: 0
    .kernarg_segment_align: 8
    .kernarg_segment_size: 88
    .language:       OpenCL C
    .language_version:
      - 2
      - 0
    .max_flat_workgroup_size: 256
    .name:           _ZN7rocprim17ROCPRIM_400000_NS6detail17trampoline_kernelINS0_14default_configENS1_36segmented_radix_sort_config_selectorIhlEEZNS1_25segmented_radix_sort_implIS3_Lb0EPKhPhPKlPlN2at6native12_GLOBAL__N_18offset_tEEE10hipError_tPvRmT1_PNSt15iterator_traitsISK_E10value_typeET2_T3_PNSL_ISQ_E10value_typeET4_jRbjT5_SW_jjP12ihipStream_tbEUlT_E1_NS1_11comp_targetILNS1_3genE9ELNS1_11target_archE1100ELNS1_3gpuE3ELNS1_3repE0EEENS1_59segmented_radix_sort_warp_sort_small_config_static_selectorELNS0_4arch9wavefront6targetE0EEEvSK_
    .private_segment_fixed_size: 0
    .sgpr_count:     0
    .sgpr_spill_count: 0
    .symbol:         _ZN7rocprim17ROCPRIM_400000_NS6detail17trampoline_kernelINS0_14default_configENS1_36segmented_radix_sort_config_selectorIhlEEZNS1_25segmented_radix_sort_implIS3_Lb0EPKhPhPKlPlN2at6native12_GLOBAL__N_18offset_tEEE10hipError_tPvRmT1_PNSt15iterator_traitsISK_E10value_typeET2_T3_PNSL_ISQ_E10value_typeET4_jRbjT5_SW_jjP12ihipStream_tbEUlT_E1_NS1_11comp_targetILNS1_3genE9ELNS1_11target_archE1100ELNS1_3gpuE3ELNS1_3repE0EEENS1_59segmented_radix_sort_warp_sort_small_config_static_selectorELNS0_4arch9wavefront6targetE0EEEvSK_.kd
    .uniform_work_group_size: 1
    .uses_dynamic_stack: false
    .vgpr_count:     0
    .vgpr_spill_count: 0
    .wavefront_size: 32
    .workgroup_processor_mode: 1
  - .args:
      - .offset:         0
        .size:           88
        .value_kind:     by_value
      - .offset:         88
        .size:           4
        .value_kind:     hidden_block_count_x
      - .offset:         92
        .size:           4
        .value_kind:     hidden_block_count_y
      - .offset:         96
        .size:           4
        .value_kind:     hidden_block_count_z
      - .offset:         100
        .size:           2
        .value_kind:     hidden_group_size_x
      - .offset:         102
        .size:           2
        .value_kind:     hidden_group_size_y
      - .offset:         104
        .size:           2
        .value_kind:     hidden_group_size_z
      - .offset:         106
        .size:           2
        .value_kind:     hidden_remainder_x
      - .offset:         108
        .size:           2
        .value_kind:     hidden_remainder_y
      - .offset:         110
        .size:           2
        .value_kind:     hidden_remainder_z
      - .offset:         128
        .size:           8
        .value_kind:     hidden_global_offset_x
      - .offset:         136
        .size:           8
        .value_kind:     hidden_global_offset_y
      - .offset:         144
        .size:           8
        .value_kind:     hidden_global_offset_z
      - .offset:         152
        .size:           2
        .value_kind:     hidden_grid_dims
    .group_segment_fixed_size: 9216
    .kernarg_segment_align: 8
    .kernarg_segment_size: 344
    .language:       OpenCL C
    .language_version:
      - 2
      - 0
    .max_flat_workgroup_size: 256
    .name:           _ZN7rocprim17ROCPRIM_400000_NS6detail17trampoline_kernelINS0_14default_configENS1_36segmented_radix_sort_config_selectorIhlEEZNS1_25segmented_radix_sort_implIS3_Lb0EPKhPhPKlPlN2at6native12_GLOBAL__N_18offset_tEEE10hipError_tPvRmT1_PNSt15iterator_traitsISK_E10value_typeET2_T3_PNSL_ISQ_E10value_typeET4_jRbjT5_SW_jjP12ihipStream_tbEUlT_E1_NS1_11comp_targetILNS1_3genE8ELNS1_11target_archE1030ELNS1_3gpuE2ELNS1_3repE0EEENS1_59segmented_radix_sort_warp_sort_small_config_static_selectorELNS0_4arch9wavefront6targetE0EEEvSK_
    .private_segment_fixed_size: 0
    .sgpr_count:     42
    .sgpr_spill_count: 0
    .symbol:         _ZN7rocprim17ROCPRIM_400000_NS6detail17trampoline_kernelINS0_14default_configENS1_36segmented_radix_sort_config_selectorIhlEEZNS1_25segmented_radix_sort_implIS3_Lb0EPKhPhPKlPlN2at6native12_GLOBAL__N_18offset_tEEE10hipError_tPvRmT1_PNSt15iterator_traitsISK_E10value_typeET2_T3_PNSL_ISQ_E10value_typeET4_jRbjT5_SW_jjP12ihipStream_tbEUlT_E1_NS1_11comp_targetILNS1_3genE8ELNS1_11target_archE1030ELNS1_3gpuE2ELNS1_3repE0EEENS1_59segmented_radix_sort_warp_sort_small_config_static_selectorELNS0_4arch9wavefront6targetE0EEEvSK_.kd
    .uniform_work_group_size: 1
    .uses_dynamic_stack: false
    .vgpr_count:     53
    .vgpr_spill_count: 0
    .wavefront_size: 32
    .workgroup_processor_mode: 1
  - .args:
      - .offset:         0
        .size:           80
        .value_kind:     by_value
    .group_segment_fixed_size: 0
    .kernarg_segment_align: 8
    .kernarg_segment_size: 80
    .language:       OpenCL C
    .language_version:
      - 2
      - 0
    .max_flat_workgroup_size: 256
    .name:           _ZN7rocprim17ROCPRIM_400000_NS6detail17trampoline_kernelINS0_14default_configENS1_36segmented_radix_sort_config_selectorIhlEEZNS1_25segmented_radix_sort_implIS3_Lb0EPKhPhPKlPlN2at6native12_GLOBAL__N_18offset_tEEE10hipError_tPvRmT1_PNSt15iterator_traitsISK_E10value_typeET2_T3_PNSL_ISQ_E10value_typeET4_jRbjT5_SW_jjP12ihipStream_tbEUlT_E2_NS1_11comp_targetILNS1_3genE0ELNS1_11target_archE4294967295ELNS1_3gpuE0ELNS1_3repE0EEENS1_30default_config_static_selectorELNS0_4arch9wavefront6targetE0EEEvSK_
    .private_segment_fixed_size: 0
    .sgpr_count:     0
    .sgpr_spill_count: 0
    .symbol:         _ZN7rocprim17ROCPRIM_400000_NS6detail17trampoline_kernelINS0_14default_configENS1_36segmented_radix_sort_config_selectorIhlEEZNS1_25segmented_radix_sort_implIS3_Lb0EPKhPhPKlPlN2at6native12_GLOBAL__N_18offset_tEEE10hipError_tPvRmT1_PNSt15iterator_traitsISK_E10value_typeET2_T3_PNSL_ISQ_E10value_typeET4_jRbjT5_SW_jjP12ihipStream_tbEUlT_E2_NS1_11comp_targetILNS1_3genE0ELNS1_11target_archE4294967295ELNS1_3gpuE0ELNS1_3repE0EEENS1_30default_config_static_selectorELNS0_4arch9wavefront6targetE0EEEvSK_.kd
    .uniform_work_group_size: 1
    .uses_dynamic_stack: false
    .vgpr_count:     0
    .vgpr_spill_count: 0
    .wavefront_size: 32
    .workgroup_processor_mode: 1
  - .args:
      - .offset:         0
        .size:           80
        .value_kind:     by_value
    .group_segment_fixed_size: 0
    .kernarg_segment_align: 8
    .kernarg_segment_size: 80
    .language:       OpenCL C
    .language_version:
      - 2
      - 0
    .max_flat_workgroup_size: 256
    .name:           _ZN7rocprim17ROCPRIM_400000_NS6detail17trampoline_kernelINS0_14default_configENS1_36segmented_radix_sort_config_selectorIhlEEZNS1_25segmented_radix_sort_implIS3_Lb0EPKhPhPKlPlN2at6native12_GLOBAL__N_18offset_tEEE10hipError_tPvRmT1_PNSt15iterator_traitsISK_E10value_typeET2_T3_PNSL_ISQ_E10value_typeET4_jRbjT5_SW_jjP12ihipStream_tbEUlT_E2_NS1_11comp_targetILNS1_3genE5ELNS1_11target_archE942ELNS1_3gpuE9ELNS1_3repE0EEENS1_30default_config_static_selectorELNS0_4arch9wavefront6targetE0EEEvSK_
    .private_segment_fixed_size: 0
    .sgpr_count:     0
    .sgpr_spill_count: 0
    .symbol:         _ZN7rocprim17ROCPRIM_400000_NS6detail17trampoline_kernelINS0_14default_configENS1_36segmented_radix_sort_config_selectorIhlEEZNS1_25segmented_radix_sort_implIS3_Lb0EPKhPhPKlPlN2at6native12_GLOBAL__N_18offset_tEEE10hipError_tPvRmT1_PNSt15iterator_traitsISK_E10value_typeET2_T3_PNSL_ISQ_E10value_typeET4_jRbjT5_SW_jjP12ihipStream_tbEUlT_E2_NS1_11comp_targetILNS1_3genE5ELNS1_11target_archE942ELNS1_3gpuE9ELNS1_3repE0EEENS1_30default_config_static_selectorELNS0_4arch9wavefront6targetE0EEEvSK_.kd
    .uniform_work_group_size: 1
    .uses_dynamic_stack: false
    .vgpr_count:     0
    .vgpr_spill_count: 0
    .wavefront_size: 32
    .workgroup_processor_mode: 1
  - .args:
      - .offset:         0
        .size:           80
        .value_kind:     by_value
    .group_segment_fixed_size: 0
    .kernarg_segment_align: 8
    .kernarg_segment_size: 80
    .language:       OpenCL C
    .language_version:
      - 2
      - 0
    .max_flat_workgroup_size: 256
    .name:           _ZN7rocprim17ROCPRIM_400000_NS6detail17trampoline_kernelINS0_14default_configENS1_36segmented_radix_sort_config_selectorIhlEEZNS1_25segmented_radix_sort_implIS3_Lb0EPKhPhPKlPlN2at6native12_GLOBAL__N_18offset_tEEE10hipError_tPvRmT1_PNSt15iterator_traitsISK_E10value_typeET2_T3_PNSL_ISQ_E10value_typeET4_jRbjT5_SW_jjP12ihipStream_tbEUlT_E2_NS1_11comp_targetILNS1_3genE4ELNS1_11target_archE910ELNS1_3gpuE8ELNS1_3repE0EEENS1_30default_config_static_selectorELNS0_4arch9wavefront6targetE0EEEvSK_
    .private_segment_fixed_size: 0
    .sgpr_count:     0
    .sgpr_spill_count: 0
    .symbol:         _ZN7rocprim17ROCPRIM_400000_NS6detail17trampoline_kernelINS0_14default_configENS1_36segmented_radix_sort_config_selectorIhlEEZNS1_25segmented_radix_sort_implIS3_Lb0EPKhPhPKlPlN2at6native12_GLOBAL__N_18offset_tEEE10hipError_tPvRmT1_PNSt15iterator_traitsISK_E10value_typeET2_T3_PNSL_ISQ_E10value_typeET4_jRbjT5_SW_jjP12ihipStream_tbEUlT_E2_NS1_11comp_targetILNS1_3genE4ELNS1_11target_archE910ELNS1_3gpuE8ELNS1_3repE0EEENS1_30default_config_static_selectorELNS0_4arch9wavefront6targetE0EEEvSK_.kd
    .uniform_work_group_size: 1
    .uses_dynamic_stack: false
    .vgpr_count:     0
    .vgpr_spill_count: 0
    .wavefront_size: 32
    .workgroup_processor_mode: 1
  - .args:
      - .offset:         0
        .size:           80
        .value_kind:     by_value
    .group_segment_fixed_size: 0
    .kernarg_segment_align: 8
    .kernarg_segment_size: 80
    .language:       OpenCL C
    .language_version:
      - 2
      - 0
    .max_flat_workgroup_size: 256
    .name:           _ZN7rocprim17ROCPRIM_400000_NS6detail17trampoline_kernelINS0_14default_configENS1_36segmented_radix_sort_config_selectorIhlEEZNS1_25segmented_radix_sort_implIS3_Lb0EPKhPhPKlPlN2at6native12_GLOBAL__N_18offset_tEEE10hipError_tPvRmT1_PNSt15iterator_traitsISK_E10value_typeET2_T3_PNSL_ISQ_E10value_typeET4_jRbjT5_SW_jjP12ihipStream_tbEUlT_E2_NS1_11comp_targetILNS1_3genE3ELNS1_11target_archE908ELNS1_3gpuE7ELNS1_3repE0EEENS1_30default_config_static_selectorELNS0_4arch9wavefront6targetE0EEEvSK_
    .private_segment_fixed_size: 0
    .sgpr_count:     0
    .sgpr_spill_count: 0
    .symbol:         _ZN7rocprim17ROCPRIM_400000_NS6detail17trampoline_kernelINS0_14default_configENS1_36segmented_radix_sort_config_selectorIhlEEZNS1_25segmented_radix_sort_implIS3_Lb0EPKhPhPKlPlN2at6native12_GLOBAL__N_18offset_tEEE10hipError_tPvRmT1_PNSt15iterator_traitsISK_E10value_typeET2_T3_PNSL_ISQ_E10value_typeET4_jRbjT5_SW_jjP12ihipStream_tbEUlT_E2_NS1_11comp_targetILNS1_3genE3ELNS1_11target_archE908ELNS1_3gpuE7ELNS1_3repE0EEENS1_30default_config_static_selectorELNS0_4arch9wavefront6targetE0EEEvSK_.kd
    .uniform_work_group_size: 1
    .uses_dynamic_stack: false
    .vgpr_count:     0
    .vgpr_spill_count: 0
    .wavefront_size: 32
    .workgroup_processor_mode: 1
  - .args:
      - .offset:         0
        .size:           80
        .value_kind:     by_value
    .group_segment_fixed_size: 0
    .kernarg_segment_align: 8
    .kernarg_segment_size: 80
    .language:       OpenCL C
    .language_version:
      - 2
      - 0
    .max_flat_workgroup_size: 256
    .name:           _ZN7rocprim17ROCPRIM_400000_NS6detail17trampoline_kernelINS0_14default_configENS1_36segmented_radix_sort_config_selectorIhlEEZNS1_25segmented_radix_sort_implIS3_Lb0EPKhPhPKlPlN2at6native12_GLOBAL__N_18offset_tEEE10hipError_tPvRmT1_PNSt15iterator_traitsISK_E10value_typeET2_T3_PNSL_ISQ_E10value_typeET4_jRbjT5_SW_jjP12ihipStream_tbEUlT_E2_NS1_11comp_targetILNS1_3genE2ELNS1_11target_archE906ELNS1_3gpuE6ELNS1_3repE0EEENS1_30default_config_static_selectorELNS0_4arch9wavefront6targetE0EEEvSK_
    .private_segment_fixed_size: 0
    .sgpr_count:     0
    .sgpr_spill_count: 0
    .symbol:         _ZN7rocprim17ROCPRIM_400000_NS6detail17trampoline_kernelINS0_14default_configENS1_36segmented_radix_sort_config_selectorIhlEEZNS1_25segmented_radix_sort_implIS3_Lb0EPKhPhPKlPlN2at6native12_GLOBAL__N_18offset_tEEE10hipError_tPvRmT1_PNSt15iterator_traitsISK_E10value_typeET2_T3_PNSL_ISQ_E10value_typeET4_jRbjT5_SW_jjP12ihipStream_tbEUlT_E2_NS1_11comp_targetILNS1_3genE2ELNS1_11target_archE906ELNS1_3gpuE6ELNS1_3repE0EEENS1_30default_config_static_selectorELNS0_4arch9wavefront6targetE0EEEvSK_.kd
    .uniform_work_group_size: 1
    .uses_dynamic_stack: false
    .vgpr_count:     0
    .vgpr_spill_count: 0
    .wavefront_size: 32
    .workgroup_processor_mode: 1
  - .args:
      - .offset:         0
        .size:           80
        .value_kind:     by_value
    .group_segment_fixed_size: 0
    .kernarg_segment_align: 8
    .kernarg_segment_size: 80
    .language:       OpenCL C
    .language_version:
      - 2
      - 0
    .max_flat_workgroup_size: 256
    .name:           _ZN7rocprim17ROCPRIM_400000_NS6detail17trampoline_kernelINS0_14default_configENS1_36segmented_radix_sort_config_selectorIhlEEZNS1_25segmented_radix_sort_implIS3_Lb0EPKhPhPKlPlN2at6native12_GLOBAL__N_18offset_tEEE10hipError_tPvRmT1_PNSt15iterator_traitsISK_E10value_typeET2_T3_PNSL_ISQ_E10value_typeET4_jRbjT5_SW_jjP12ihipStream_tbEUlT_E2_NS1_11comp_targetILNS1_3genE10ELNS1_11target_archE1201ELNS1_3gpuE5ELNS1_3repE0EEENS1_30default_config_static_selectorELNS0_4arch9wavefront6targetE0EEEvSK_
    .private_segment_fixed_size: 0
    .sgpr_count:     0
    .sgpr_spill_count: 0
    .symbol:         _ZN7rocprim17ROCPRIM_400000_NS6detail17trampoline_kernelINS0_14default_configENS1_36segmented_radix_sort_config_selectorIhlEEZNS1_25segmented_radix_sort_implIS3_Lb0EPKhPhPKlPlN2at6native12_GLOBAL__N_18offset_tEEE10hipError_tPvRmT1_PNSt15iterator_traitsISK_E10value_typeET2_T3_PNSL_ISQ_E10value_typeET4_jRbjT5_SW_jjP12ihipStream_tbEUlT_E2_NS1_11comp_targetILNS1_3genE10ELNS1_11target_archE1201ELNS1_3gpuE5ELNS1_3repE0EEENS1_30default_config_static_selectorELNS0_4arch9wavefront6targetE0EEEvSK_.kd
    .uniform_work_group_size: 1
    .uses_dynamic_stack: false
    .vgpr_count:     0
    .vgpr_spill_count: 0
    .wavefront_size: 32
    .workgroup_processor_mode: 1
  - .args:
      - .offset:         0
        .size:           80
        .value_kind:     by_value
    .group_segment_fixed_size: 0
    .kernarg_segment_align: 8
    .kernarg_segment_size: 80
    .language:       OpenCL C
    .language_version:
      - 2
      - 0
    .max_flat_workgroup_size: 128
    .name:           _ZN7rocprim17ROCPRIM_400000_NS6detail17trampoline_kernelINS0_14default_configENS1_36segmented_radix_sort_config_selectorIhlEEZNS1_25segmented_radix_sort_implIS3_Lb0EPKhPhPKlPlN2at6native12_GLOBAL__N_18offset_tEEE10hipError_tPvRmT1_PNSt15iterator_traitsISK_E10value_typeET2_T3_PNSL_ISQ_E10value_typeET4_jRbjT5_SW_jjP12ihipStream_tbEUlT_E2_NS1_11comp_targetILNS1_3genE10ELNS1_11target_archE1200ELNS1_3gpuE4ELNS1_3repE0EEENS1_30default_config_static_selectorELNS0_4arch9wavefront6targetE0EEEvSK_
    .private_segment_fixed_size: 0
    .sgpr_count:     0
    .sgpr_spill_count: 0
    .symbol:         _ZN7rocprim17ROCPRIM_400000_NS6detail17trampoline_kernelINS0_14default_configENS1_36segmented_radix_sort_config_selectorIhlEEZNS1_25segmented_radix_sort_implIS3_Lb0EPKhPhPKlPlN2at6native12_GLOBAL__N_18offset_tEEE10hipError_tPvRmT1_PNSt15iterator_traitsISK_E10value_typeET2_T3_PNSL_ISQ_E10value_typeET4_jRbjT5_SW_jjP12ihipStream_tbEUlT_E2_NS1_11comp_targetILNS1_3genE10ELNS1_11target_archE1200ELNS1_3gpuE4ELNS1_3repE0EEENS1_30default_config_static_selectorELNS0_4arch9wavefront6targetE0EEEvSK_.kd
    .uniform_work_group_size: 1
    .uses_dynamic_stack: false
    .vgpr_count:     0
    .vgpr_spill_count: 0
    .wavefront_size: 32
    .workgroup_processor_mode: 1
  - .args:
      - .offset:         0
        .size:           80
        .value_kind:     by_value
    .group_segment_fixed_size: 0
    .kernarg_segment_align: 8
    .kernarg_segment_size: 80
    .language:       OpenCL C
    .language_version:
      - 2
      - 0
    .max_flat_workgroup_size: 256
    .name:           _ZN7rocprim17ROCPRIM_400000_NS6detail17trampoline_kernelINS0_14default_configENS1_36segmented_radix_sort_config_selectorIhlEEZNS1_25segmented_radix_sort_implIS3_Lb0EPKhPhPKlPlN2at6native12_GLOBAL__N_18offset_tEEE10hipError_tPvRmT1_PNSt15iterator_traitsISK_E10value_typeET2_T3_PNSL_ISQ_E10value_typeET4_jRbjT5_SW_jjP12ihipStream_tbEUlT_E2_NS1_11comp_targetILNS1_3genE9ELNS1_11target_archE1100ELNS1_3gpuE3ELNS1_3repE0EEENS1_30default_config_static_selectorELNS0_4arch9wavefront6targetE0EEEvSK_
    .private_segment_fixed_size: 0
    .sgpr_count:     0
    .sgpr_spill_count: 0
    .symbol:         _ZN7rocprim17ROCPRIM_400000_NS6detail17trampoline_kernelINS0_14default_configENS1_36segmented_radix_sort_config_selectorIhlEEZNS1_25segmented_radix_sort_implIS3_Lb0EPKhPhPKlPlN2at6native12_GLOBAL__N_18offset_tEEE10hipError_tPvRmT1_PNSt15iterator_traitsISK_E10value_typeET2_T3_PNSL_ISQ_E10value_typeET4_jRbjT5_SW_jjP12ihipStream_tbEUlT_E2_NS1_11comp_targetILNS1_3genE9ELNS1_11target_archE1100ELNS1_3gpuE3ELNS1_3repE0EEENS1_30default_config_static_selectorELNS0_4arch9wavefront6targetE0EEEvSK_.kd
    .uniform_work_group_size: 1
    .uses_dynamic_stack: false
    .vgpr_count:     0
    .vgpr_spill_count: 0
    .wavefront_size: 32
    .workgroup_processor_mode: 1
  - .args:
      - .offset:         0
        .size:           80
        .value_kind:     by_value
      - .offset:         80
        .size:           4
        .value_kind:     hidden_block_count_x
      - .offset:         84
        .size:           4
        .value_kind:     hidden_block_count_y
      - .offset:         88
        .size:           4
        .value_kind:     hidden_block_count_z
      - .offset:         92
        .size:           2
        .value_kind:     hidden_group_size_x
      - .offset:         94
        .size:           2
        .value_kind:     hidden_group_size_y
      - .offset:         96
        .size:           2
        .value_kind:     hidden_group_size_z
      - .offset:         98
        .size:           2
        .value_kind:     hidden_remainder_x
      - .offset:         100
        .size:           2
        .value_kind:     hidden_remainder_y
      - .offset:         102
        .size:           2
        .value_kind:     hidden_remainder_z
      - .offset:         120
        .size:           8
        .value_kind:     hidden_global_offset_x
      - .offset:         128
        .size:           8
        .value_kind:     hidden_global_offset_y
      - .offset:         136
        .size:           8
        .value_kind:     hidden_global_offset_z
      - .offset:         144
        .size:           2
        .value_kind:     hidden_grid_dims
    .group_segment_fixed_size: 35344
    .kernarg_segment_align: 8
    .kernarg_segment_size: 336
    .language:       OpenCL C
    .language_version:
      - 2
      - 0
    .max_flat_workgroup_size: 256
    .name:           _ZN7rocprim17ROCPRIM_400000_NS6detail17trampoline_kernelINS0_14default_configENS1_36segmented_radix_sort_config_selectorIhlEEZNS1_25segmented_radix_sort_implIS3_Lb0EPKhPhPKlPlN2at6native12_GLOBAL__N_18offset_tEEE10hipError_tPvRmT1_PNSt15iterator_traitsISK_E10value_typeET2_T3_PNSL_ISQ_E10value_typeET4_jRbjT5_SW_jjP12ihipStream_tbEUlT_E2_NS1_11comp_targetILNS1_3genE8ELNS1_11target_archE1030ELNS1_3gpuE2ELNS1_3repE0EEENS1_30default_config_static_selectorELNS0_4arch9wavefront6targetE0EEEvSK_
    .private_segment_fixed_size: 196
    .sgpr_count:     70
    .sgpr_spill_count: 0
    .symbol:         _ZN7rocprim17ROCPRIM_400000_NS6detail17trampoline_kernelINS0_14default_configENS1_36segmented_radix_sort_config_selectorIhlEEZNS1_25segmented_radix_sort_implIS3_Lb0EPKhPhPKlPlN2at6native12_GLOBAL__N_18offset_tEEE10hipError_tPvRmT1_PNSt15iterator_traitsISK_E10value_typeET2_T3_PNSL_ISQ_E10value_typeET4_jRbjT5_SW_jjP12ihipStream_tbEUlT_E2_NS1_11comp_targetILNS1_3genE8ELNS1_11target_archE1030ELNS1_3gpuE2ELNS1_3repE0EEENS1_30default_config_static_selectorELNS0_4arch9wavefront6targetE0EEEvSK_.kd
    .uniform_work_group_size: 1
    .uses_dynamic_stack: false
    .vgpr_count:     248
    .vgpr_spill_count: 0
    .wavefront_size: 32
    .workgroup_processor_mode: 1
  - .args:
      - .address_space:  global
        .offset:         0
        .size:           8
        .value_kind:     global_buffer
      - .address_space:  global
        .offset:         8
        .size:           8
        .value_kind:     global_buffer
      - .address_space:  global
        .offset:         16
        .size:           8
        .value_kind:     global_buffer
      - .address_space:  global
        .offset:         24
        .size:           8
        .value_kind:     global_buffer
      - .offset:         32
        .size:           4
        .value_kind:     by_value
      - .offset:         36
        .size:           4
        .value_kind:     by_value
      - .offset:         40
        .size:           4
        .value_kind:     hidden_block_count_x
      - .offset:         44
        .size:           4
        .value_kind:     hidden_block_count_y
      - .offset:         48
        .size:           4
        .value_kind:     hidden_block_count_z
      - .offset:         52
        .size:           2
        .value_kind:     hidden_group_size_x
      - .offset:         54
        .size:           2
        .value_kind:     hidden_group_size_y
      - .offset:         56
        .size:           2
        .value_kind:     hidden_group_size_z
      - .offset:         58
        .size:           2
        .value_kind:     hidden_remainder_x
      - .offset:         60
        .size:           2
        .value_kind:     hidden_remainder_y
      - .offset:         62
        .size:           2
        .value_kind:     hidden_remainder_z
      - .offset:         80
        .size:           8
        .value_kind:     hidden_global_offset_x
      - .offset:         88
        .size:           8
        .value_kind:     hidden_global_offset_y
      - .offset:         96
        .size:           8
        .value_kind:     hidden_global_offset_z
      - .offset:         104
        .size:           2
        .value_kind:     hidden_grid_dims
    .group_segment_fixed_size: 0
    .kernarg_segment_align: 8
    .kernarg_segment_size: 296
    .language:       OpenCL C
    .language_version:
      - 2
      - 0
    .max_flat_workgroup_size: 1024
    .name:           _ZN2at6native12_GLOBAL__N_123sort_postprocess_kernelIaEEvPKT_PS3_PlPK15HIP_vector_typeIiLj2EEii
    .private_segment_fixed_size: 0
    .sgpr_count:     18
    .sgpr_spill_count: 0
    .symbol:         _ZN2at6native12_GLOBAL__N_123sort_postprocess_kernelIaEEvPKT_PS3_PlPK15HIP_vector_typeIiLj2EEii.kd
    .uniform_work_group_size: 1
    .uses_dynamic_stack: false
    .vgpr_count:     15
    .vgpr_spill_count: 0
    .wavefront_size: 32
    .workgroup_processor_mode: 1
  - .args:
      - .offset:         0
        .size:           176
        .value_kind:     by_value
    .group_segment_fixed_size: 0
    .kernarg_segment_align: 8
    .kernarg_segment_size: 176
    .language:       OpenCL C
    .language_version:
      - 2
      - 0
    .max_flat_workgroup_size: 256
    .name:           _ZN7rocprim17ROCPRIM_400000_NS6detail17trampoline_kernelINS0_13select_configILj256ELj13ELNS0_17block_load_methodE3ELS4_3ELS4_3ELNS0_20block_scan_algorithmE0ELj4294967295EEENS1_25partition_config_selectorILNS1_17partition_subalgoE4EjNS0_10empty_typeEbEEZZNS1_14partition_implILS8_4ELb0ES6_15HIP_vector_typeIjLj2EENS0_17counting_iteratorIjlEEPS9_SG_NS0_5tupleIJPjSI_NS0_16reverse_iteratorISI_EEEEENSH_IJSG_SG_SG_EEES9_SI_JZNS1_25segmented_radix_sort_implINS0_14default_configELb1EPKaPaPKlPlN2at6native12_GLOBAL__N_18offset_tEEE10hipError_tPvRmT1_PNSt15iterator_traitsIS12_E10value_typeET2_T3_PNS13_IS18_E10value_typeET4_jRbjT5_S1E_jjP12ihipStream_tbEUljE_ZNSN_ISO_Lb1ESQ_SR_ST_SU_SY_EESZ_S10_S11_S12_S16_S17_S18_S1B_S1C_jS1D_jS1E_S1E_jjS1G_bEUljE0_EEESZ_S10_S11_S18_S1C_S1E_T6_T7_T9_mT8_S1G_bDpT10_ENKUlT_T0_E_clISt17integral_constantIbLb0EES1U_EEDaS1P_S1Q_EUlS1P_E_NS1_11comp_targetILNS1_3genE0ELNS1_11target_archE4294967295ELNS1_3gpuE0ELNS1_3repE0EEENS1_30default_config_static_selectorELNS0_4arch9wavefront6targetE0EEEvS12_
    .private_segment_fixed_size: 0
    .sgpr_count:     0
    .sgpr_spill_count: 0
    .symbol:         _ZN7rocprim17ROCPRIM_400000_NS6detail17trampoline_kernelINS0_13select_configILj256ELj13ELNS0_17block_load_methodE3ELS4_3ELS4_3ELNS0_20block_scan_algorithmE0ELj4294967295EEENS1_25partition_config_selectorILNS1_17partition_subalgoE4EjNS0_10empty_typeEbEEZZNS1_14partition_implILS8_4ELb0ES6_15HIP_vector_typeIjLj2EENS0_17counting_iteratorIjlEEPS9_SG_NS0_5tupleIJPjSI_NS0_16reverse_iteratorISI_EEEEENSH_IJSG_SG_SG_EEES9_SI_JZNS1_25segmented_radix_sort_implINS0_14default_configELb1EPKaPaPKlPlN2at6native12_GLOBAL__N_18offset_tEEE10hipError_tPvRmT1_PNSt15iterator_traitsIS12_E10value_typeET2_T3_PNS13_IS18_E10value_typeET4_jRbjT5_S1E_jjP12ihipStream_tbEUljE_ZNSN_ISO_Lb1ESQ_SR_ST_SU_SY_EESZ_S10_S11_S12_S16_S17_S18_S1B_S1C_jS1D_jS1E_S1E_jjS1G_bEUljE0_EEESZ_S10_S11_S18_S1C_S1E_T6_T7_T9_mT8_S1G_bDpT10_ENKUlT_T0_E_clISt17integral_constantIbLb0EES1U_EEDaS1P_S1Q_EUlS1P_E_NS1_11comp_targetILNS1_3genE0ELNS1_11target_archE4294967295ELNS1_3gpuE0ELNS1_3repE0EEENS1_30default_config_static_selectorELNS0_4arch9wavefront6targetE0EEEvS12_.kd
    .uniform_work_group_size: 1
    .uses_dynamic_stack: false
    .vgpr_count:     0
    .vgpr_spill_count: 0
    .wavefront_size: 32
    .workgroup_processor_mode: 1
  - .args:
      - .offset:         0
        .size:           176
        .value_kind:     by_value
    .group_segment_fixed_size: 0
    .kernarg_segment_align: 8
    .kernarg_segment_size: 176
    .language:       OpenCL C
    .language_version:
      - 2
      - 0
    .max_flat_workgroup_size: 256
    .name:           _ZN7rocprim17ROCPRIM_400000_NS6detail17trampoline_kernelINS0_13select_configILj256ELj13ELNS0_17block_load_methodE3ELS4_3ELS4_3ELNS0_20block_scan_algorithmE0ELj4294967295EEENS1_25partition_config_selectorILNS1_17partition_subalgoE4EjNS0_10empty_typeEbEEZZNS1_14partition_implILS8_4ELb0ES6_15HIP_vector_typeIjLj2EENS0_17counting_iteratorIjlEEPS9_SG_NS0_5tupleIJPjSI_NS0_16reverse_iteratorISI_EEEEENSH_IJSG_SG_SG_EEES9_SI_JZNS1_25segmented_radix_sort_implINS0_14default_configELb1EPKaPaPKlPlN2at6native12_GLOBAL__N_18offset_tEEE10hipError_tPvRmT1_PNSt15iterator_traitsIS12_E10value_typeET2_T3_PNS13_IS18_E10value_typeET4_jRbjT5_S1E_jjP12ihipStream_tbEUljE_ZNSN_ISO_Lb1ESQ_SR_ST_SU_SY_EESZ_S10_S11_S12_S16_S17_S18_S1B_S1C_jS1D_jS1E_S1E_jjS1G_bEUljE0_EEESZ_S10_S11_S18_S1C_S1E_T6_T7_T9_mT8_S1G_bDpT10_ENKUlT_T0_E_clISt17integral_constantIbLb0EES1U_EEDaS1P_S1Q_EUlS1P_E_NS1_11comp_targetILNS1_3genE5ELNS1_11target_archE942ELNS1_3gpuE9ELNS1_3repE0EEENS1_30default_config_static_selectorELNS0_4arch9wavefront6targetE0EEEvS12_
    .private_segment_fixed_size: 0
    .sgpr_count:     0
    .sgpr_spill_count: 0
    .symbol:         _ZN7rocprim17ROCPRIM_400000_NS6detail17trampoline_kernelINS0_13select_configILj256ELj13ELNS0_17block_load_methodE3ELS4_3ELS4_3ELNS0_20block_scan_algorithmE0ELj4294967295EEENS1_25partition_config_selectorILNS1_17partition_subalgoE4EjNS0_10empty_typeEbEEZZNS1_14partition_implILS8_4ELb0ES6_15HIP_vector_typeIjLj2EENS0_17counting_iteratorIjlEEPS9_SG_NS0_5tupleIJPjSI_NS0_16reverse_iteratorISI_EEEEENSH_IJSG_SG_SG_EEES9_SI_JZNS1_25segmented_radix_sort_implINS0_14default_configELb1EPKaPaPKlPlN2at6native12_GLOBAL__N_18offset_tEEE10hipError_tPvRmT1_PNSt15iterator_traitsIS12_E10value_typeET2_T3_PNS13_IS18_E10value_typeET4_jRbjT5_S1E_jjP12ihipStream_tbEUljE_ZNSN_ISO_Lb1ESQ_SR_ST_SU_SY_EESZ_S10_S11_S12_S16_S17_S18_S1B_S1C_jS1D_jS1E_S1E_jjS1G_bEUljE0_EEESZ_S10_S11_S18_S1C_S1E_T6_T7_T9_mT8_S1G_bDpT10_ENKUlT_T0_E_clISt17integral_constantIbLb0EES1U_EEDaS1P_S1Q_EUlS1P_E_NS1_11comp_targetILNS1_3genE5ELNS1_11target_archE942ELNS1_3gpuE9ELNS1_3repE0EEENS1_30default_config_static_selectorELNS0_4arch9wavefront6targetE0EEEvS12_.kd
    .uniform_work_group_size: 1
    .uses_dynamic_stack: false
    .vgpr_count:     0
    .vgpr_spill_count: 0
    .wavefront_size: 32
    .workgroup_processor_mode: 1
  - .args:
      - .offset:         0
        .size:           176
        .value_kind:     by_value
    .group_segment_fixed_size: 0
    .kernarg_segment_align: 8
    .kernarg_segment_size: 176
    .language:       OpenCL C
    .language_version:
      - 2
      - 0
    .max_flat_workgroup_size: 256
    .name:           _ZN7rocprim17ROCPRIM_400000_NS6detail17trampoline_kernelINS0_13select_configILj256ELj13ELNS0_17block_load_methodE3ELS4_3ELS4_3ELNS0_20block_scan_algorithmE0ELj4294967295EEENS1_25partition_config_selectorILNS1_17partition_subalgoE4EjNS0_10empty_typeEbEEZZNS1_14partition_implILS8_4ELb0ES6_15HIP_vector_typeIjLj2EENS0_17counting_iteratorIjlEEPS9_SG_NS0_5tupleIJPjSI_NS0_16reverse_iteratorISI_EEEEENSH_IJSG_SG_SG_EEES9_SI_JZNS1_25segmented_radix_sort_implINS0_14default_configELb1EPKaPaPKlPlN2at6native12_GLOBAL__N_18offset_tEEE10hipError_tPvRmT1_PNSt15iterator_traitsIS12_E10value_typeET2_T3_PNS13_IS18_E10value_typeET4_jRbjT5_S1E_jjP12ihipStream_tbEUljE_ZNSN_ISO_Lb1ESQ_SR_ST_SU_SY_EESZ_S10_S11_S12_S16_S17_S18_S1B_S1C_jS1D_jS1E_S1E_jjS1G_bEUljE0_EEESZ_S10_S11_S18_S1C_S1E_T6_T7_T9_mT8_S1G_bDpT10_ENKUlT_T0_E_clISt17integral_constantIbLb0EES1U_EEDaS1P_S1Q_EUlS1P_E_NS1_11comp_targetILNS1_3genE4ELNS1_11target_archE910ELNS1_3gpuE8ELNS1_3repE0EEENS1_30default_config_static_selectorELNS0_4arch9wavefront6targetE0EEEvS12_
    .private_segment_fixed_size: 0
    .sgpr_count:     0
    .sgpr_spill_count: 0
    .symbol:         _ZN7rocprim17ROCPRIM_400000_NS6detail17trampoline_kernelINS0_13select_configILj256ELj13ELNS0_17block_load_methodE3ELS4_3ELS4_3ELNS0_20block_scan_algorithmE0ELj4294967295EEENS1_25partition_config_selectorILNS1_17partition_subalgoE4EjNS0_10empty_typeEbEEZZNS1_14partition_implILS8_4ELb0ES6_15HIP_vector_typeIjLj2EENS0_17counting_iteratorIjlEEPS9_SG_NS0_5tupleIJPjSI_NS0_16reverse_iteratorISI_EEEEENSH_IJSG_SG_SG_EEES9_SI_JZNS1_25segmented_radix_sort_implINS0_14default_configELb1EPKaPaPKlPlN2at6native12_GLOBAL__N_18offset_tEEE10hipError_tPvRmT1_PNSt15iterator_traitsIS12_E10value_typeET2_T3_PNS13_IS18_E10value_typeET4_jRbjT5_S1E_jjP12ihipStream_tbEUljE_ZNSN_ISO_Lb1ESQ_SR_ST_SU_SY_EESZ_S10_S11_S12_S16_S17_S18_S1B_S1C_jS1D_jS1E_S1E_jjS1G_bEUljE0_EEESZ_S10_S11_S18_S1C_S1E_T6_T7_T9_mT8_S1G_bDpT10_ENKUlT_T0_E_clISt17integral_constantIbLb0EES1U_EEDaS1P_S1Q_EUlS1P_E_NS1_11comp_targetILNS1_3genE4ELNS1_11target_archE910ELNS1_3gpuE8ELNS1_3repE0EEENS1_30default_config_static_selectorELNS0_4arch9wavefront6targetE0EEEvS12_.kd
    .uniform_work_group_size: 1
    .uses_dynamic_stack: false
    .vgpr_count:     0
    .vgpr_spill_count: 0
    .wavefront_size: 32
    .workgroup_processor_mode: 1
  - .args:
      - .offset:         0
        .size:           176
        .value_kind:     by_value
    .group_segment_fixed_size: 0
    .kernarg_segment_align: 8
    .kernarg_segment_size: 176
    .language:       OpenCL C
    .language_version:
      - 2
      - 0
    .max_flat_workgroup_size: 256
    .name:           _ZN7rocprim17ROCPRIM_400000_NS6detail17trampoline_kernelINS0_13select_configILj256ELj13ELNS0_17block_load_methodE3ELS4_3ELS4_3ELNS0_20block_scan_algorithmE0ELj4294967295EEENS1_25partition_config_selectorILNS1_17partition_subalgoE4EjNS0_10empty_typeEbEEZZNS1_14partition_implILS8_4ELb0ES6_15HIP_vector_typeIjLj2EENS0_17counting_iteratorIjlEEPS9_SG_NS0_5tupleIJPjSI_NS0_16reverse_iteratorISI_EEEEENSH_IJSG_SG_SG_EEES9_SI_JZNS1_25segmented_radix_sort_implINS0_14default_configELb1EPKaPaPKlPlN2at6native12_GLOBAL__N_18offset_tEEE10hipError_tPvRmT1_PNSt15iterator_traitsIS12_E10value_typeET2_T3_PNS13_IS18_E10value_typeET4_jRbjT5_S1E_jjP12ihipStream_tbEUljE_ZNSN_ISO_Lb1ESQ_SR_ST_SU_SY_EESZ_S10_S11_S12_S16_S17_S18_S1B_S1C_jS1D_jS1E_S1E_jjS1G_bEUljE0_EEESZ_S10_S11_S18_S1C_S1E_T6_T7_T9_mT8_S1G_bDpT10_ENKUlT_T0_E_clISt17integral_constantIbLb0EES1U_EEDaS1P_S1Q_EUlS1P_E_NS1_11comp_targetILNS1_3genE3ELNS1_11target_archE908ELNS1_3gpuE7ELNS1_3repE0EEENS1_30default_config_static_selectorELNS0_4arch9wavefront6targetE0EEEvS12_
    .private_segment_fixed_size: 0
    .sgpr_count:     0
    .sgpr_spill_count: 0
    .symbol:         _ZN7rocprim17ROCPRIM_400000_NS6detail17trampoline_kernelINS0_13select_configILj256ELj13ELNS0_17block_load_methodE3ELS4_3ELS4_3ELNS0_20block_scan_algorithmE0ELj4294967295EEENS1_25partition_config_selectorILNS1_17partition_subalgoE4EjNS0_10empty_typeEbEEZZNS1_14partition_implILS8_4ELb0ES6_15HIP_vector_typeIjLj2EENS0_17counting_iteratorIjlEEPS9_SG_NS0_5tupleIJPjSI_NS0_16reverse_iteratorISI_EEEEENSH_IJSG_SG_SG_EEES9_SI_JZNS1_25segmented_radix_sort_implINS0_14default_configELb1EPKaPaPKlPlN2at6native12_GLOBAL__N_18offset_tEEE10hipError_tPvRmT1_PNSt15iterator_traitsIS12_E10value_typeET2_T3_PNS13_IS18_E10value_typeET4_jRbjT5_S1E_jjP12ihipStream_tbEUljE_ZNSN_ISO_Lb1ESQ_SR_ST_SU_SY_EESZ_S10_S11_S12_S16_S17_S18_S1B_S1C_jS1D_jS1E_S1E_jjS1G_bEUljE0_EEESZ_S10_S11_S18_S1C_S1E_T6_T7_T9_mT8_S1G_bDpT10_ENKUlT_T0_E_clISt17integral_constantIbLb0EES1U_EEDaS1P_S1Q_EUlS1P_E_NS1_11comp_targetILNS1_3genE3ELNS1_11target_archE908ELNS1_3gpuE7ELNS1_3repE0EEENS1_30default_config_static_selectorELNS0_4arch9wavefront6targetE0EEEvS12_.kd
    .uniform_work_group_size: 1
    .uses_dynamic_stack: false
    .vgpr_count:     0
    .vgpr_spill_count: 0
    .wavefront_size: 32
    .workgroup_processor_mode: 1
  - .args:
      - .offset:         0
        .size:           176
        .value_kind:     by_value
    .group_segment_fixed_size: 0
    .kernarg_segment_align: 8
    .kernarg_segment_size: 176
    .language:       OpenCL C
    .language_version:
      - 2
      - 0
    .max_flat_workgroup_size: 256
    .name:           _ZN7rocprim17ROCPRIM_400000_NS6detail17trampoline_kernelINS0_13select_configILj256ELj13ELNS0_17block_load_methodE3ELS4_3ELS4_3ELNS0_20block_scan_algorithmE0ELj4294967295EEENS1_25partition_config_selectorILNS1_17partition_subalgoE4EjNS0_10empty_typeEbEEZZNS1_14partition_implILS8_4ELb0ES6_15HIP_vector_typeIjLj2EENS0_17counting_iteratorIjlEEPS9_SG_NS0_5tupleIJPjSI_NS0_16reverse_iteratorISI_EEEEENSH_IJSG_SG_SG_EEES9_SI_JZNS1_25segmented_radix_sort_implINS0_14default_configELb1EPKaPaPKlPlN2at6native12_GLOBAL__N_18offset_tEEE10hipError_tPvRmT1_PNSt15iterator_traitsIS12_E10value_typeET2_T3_PNS13_IS18_E10value_typeET4_jRbjT5_S1E_jjP12ihipStream_tbEUljE_ZNSN_ISO_Lb1ESQ_SR_ST_SU_SY_EESZ_S10_S11_S12_S16_S17_S18_S1B_S1C_jS1D_jS1E_S1E_jjS1G_bEUljE0_EEESZ_S10_S11_S18_S1C_S1E_T6_T7_T9_mT8_S1G_bDpT10_ENKUlT_T0_E_clISt17integral_constantIbLb0EES1U_EEDaS1P_S1Q_EUlS1P_E_NS1_11comp_targetILNS1_3genE2ELNS1_11target_archE906ELNS1_3gpuE6ELNS1_3repE0EEENS1_30default_config_static_selectorELNS0_4arch9wavefront6targetE0EEEvS12_
    .private_segment_fixed_size: 0
    .sgpr_count:     0
    .sgpr_spill_count: 0
    .symbol:         _ZN7rocprim17ROCPRIM_400000_NS6detail17trampoline_kernelINS0_13select_configILj256ELj13ELNS0_17block_load_methodE3ELS4_3ELS4_3ELNS0_20block_scan_algorithmE0ELj4294967295EEENS1_25partition_config_selectorILNS1_17partition_subalgoE4EjNS0_10empty_typeEbEEZZNS1_14partition_implILS8_4ELb0ES6_15HIP_vector_typeIjLj2EENS0_17counting_iteratorIjlEEPS9_SG_NS0_5tupleIJPjSI_NS0_16reverse_iteratorISI_EEEEENSH_IJSG_SG_SG_EEES9_SI_JZNS1_25segmented_radix_sort_implINS0_14default_configELb1EPKaPaPKlPlN2at6native12_GLOBAL__N_18offset_tEEE10hipError_tPvRmT1_PNSt15iterator_traitsIS12_E10value_typeET2_T3_PNS13_IS18_E10value_typeET4_jRbjT5_S1E_jjP12ihipStream_tbEUljE_ZNSN_ISO_Lb1ESQ_SR_ST_SU_SY_EESZ_S10_S11_S12_S16_S17_S18_S1B_S1C_jS1D_jS1E_S1E_jjS1G_bEUljE0_EEESZ_S10_S11_S18_S1C_S1E_T6_T7_T9_mT8_S1G_bDpT10_ENKUlT_T0_E_clISt17integral_constantIbLb0EES1U_EEDaS1P_S1Q_EUlS1P_E_NS1_11comp_targetILNS1_3genE2ELNS1_11target_archE906ELNS1_3gpuE6ELNS1_3repE0EEENS1_30default_config_static_selectorELNS0_4arch9wavefront6targetE0EEEvS12_.kd
    .uniform_work_group_size: 1
    .uses_dynamic_stack: false
    .vgpr_count:     0
    .vgpr_spill_count: 0
    .wavefront_size: 32
    .workgroup_processor_mode: 1
  - .args:
      - .offset:         0
        .size:           176
        .value_kind:     by_value
    .group_segment_fixed_size: 0
    .kernarg_segment_align: 8
    .kernarg_segment_size: 176
    .language:       OpenCL C
    .language_version:
      - 2
      - 0
    .max_flat_workgroup_size: 256
    .name:           _ZN7rocprim17ROCPRIM_400000_NS6detail17trampoline_kernelINS0_13select_configILj256ELj13ELNS0_17block_load_methodE3ELS4_3ELS4_3ELNS0_20block_scan_algorithmE0ELj4294967295EEENS1_25partition_config_selectorILNS1_17partition_subalgoE4EjNS0_10empty_typeEbEEZZNS1_14partition_implILS8_4ELb0ES6_15HIP_vector_typeIjLj2EENS0_17counting_iteratorIjlEEPS9_SG_NS0_5tupleIJPjSI_NS0_16reverse_iteratorISI_EEEEENSH_IJSG_SG_SG_EEES9_SI_JZNS1_25segmented_radix_sort_implINS0_14default_configELb1EPKaPaPKlPlN2at6native12_GLOBAL__N_18offset_tEEE10hipError_tPvRmT1_PNSt15iterator_traitsIS12_E10value_typeET2_T3_PNS13_IS18_E10value_typeET4_jRbjT5_S1E_jjP12ihipStream_tbEUljE_ZNSN_ISO_Lb1ESQ_SR_ST_SU_SY_EESZ_S10_S11_S12_S16_S17_S18_S1B_S1C_jS1D_jS1E_S1E_jjS1G_bEUljE0_EEESZ_S10_S11_S18_S1C_S1E_T6_T7_T9_mT8_S1G_bDpT10_ENKUlT_T0_E_clISt17integral_constantIbLb0EES1U_EEDaS1P_S1Q_EUlS1P_E_NS1_11comp_targetILNS1_3genE10ELNS1_11target_archE1200ELNS1_3gpuE4ELNS1_3repE0EEENS1_30default_config_static_selectorELNS0_4arch9wavefront6targetE0EEEvS12_
    .private_segment_fixed_size: 0
    .sgpr_count:     0
    .sgpr_spill_count: 0
    .symbol:         _ZN7rocprim17ROCPRIM_400000_NS6detail17trampoline_kernelINS0_13select_configILj256ELj13ELNS0_17block_load_methodE3ELS4_3ELS4_3ELNS0_20block_scan_algorithmE0ELj4294967295EEENS1_25partition_config_selectorILNS1_17partition_subalgoE4EjNS0_10empty_typeEbEEZZNS1_14partition_implILS8_4ELb0ES6_15HIP_vector_typeIjLj2EENS0_17counting_iteratorIjlEEPS9_SG_NS0_5tupleIJPjSI_NS0_16reverse_iteratorISI_EEEEENSH_IJSG_SG_SG_EEES9_SI_JZNS1_25segmented_radix_sort_implINS0_14default_configELb1EPKaPaPKlPlN2at6native12_GLOBAL__N_18offset_tEEE10hipError_tPvRmT1_PNSt15iterator_traitsIS12_E10value_typeET2_T3_PNS13_IS18_E10value_typeET4_jRbjT5_S1E_jjP12ihipStream_tbEUljE_ZNSN_ISO_Lb1ESQ_SR_ST_SU_SY_EESZ_S10_S11_S12_S16_S17_S18_S1B_S1C_jS1D_jS1E_S1E_jjS1G_bEUljE0_EEESZ_S10_S11_S18_S1C_S1E_T6_T7_T9_mT8_S1G_bDpT10_ENKUlT_T0_E_clISt17integral_constantIbLb0EES1U_EEDaS1P_S1Q_EUlS1P_E_NS1_11comp_targetILNS1_3genE10ELNS1_11target_archE1200ELNS1_3gpuE4ELNS1_3repE0EEENS1_30default_config_static_selectorELNS0_4arch9wavefront6targetE0EEEvS12_.kd
    .uniform_work_group_size: 1
    .uses_dynamic_stack: false
    .vgpr_count:     0
    .vgpr_spill_count: 0
    .wavefront_size: 32
    .workgroup_processor_mode: 1
  - .args:
      - .offset:         0
        .size:           176
        .value_kind:     by_value
    .group_segment_fixed_size: 0
    .kernarg_segment_align: 8
    .kernarg_segment_size: 176
    .language:       OpenCL C
    .language_version:
      - 2
      - 0
    .max_flat_workgroup_size: 256
    .name:           _ZN7rocprim17ROCPRIM_400000_NS6detail17trampoline_kernelINS0_13select_configILj256ELj13ELNS0_17block_load_methodE3ELS4_3ELS4_3ELNS0_20block_scan_algorithmE0ELj4294967295EEENS1_25partition_config_selectorILNS1_17partition_subalgoE4EjNS0_10empty_typeEbEEZZNS1_14partition_implILS8_4ELb0ES6_15HIP_vector_typeIjLj2EENS0_17counting_iteratorIjlEEPS9_SG_NS0_5tupleIJPjSI_NS0_16reverse_iteratorISI_EEEEENSH_IJSG_SG_SG_EEES9_SI_JZNS1_25segmented_radix_sort_implINS0_14default_configELb1EPKaPaPKlPlN2at6native12_GLOBAL__N_18offset_tEEE10hipError_tPvRmT1_PNSt15iterator_traitsIS12_E10value_typeET2_T3_PNS13_IS18_E10value_typeET4_jRbjT5_S1E_jjP12ihipStream_tbEUljE_ZNSN_ISO_Lb1ESQ_SR_ST_SU_SY_EESZ_S10_S11_S12_S16_S17_S18_S1B_S1C_jS1D_jS1E_S1E_jjS1G_bEUljE0_EEESZ_S10_S11_S18_S1C_S1E_T6_T7_T9_mT8_S1G_bDpT10_ENKUlT_T0_E_clISt17integral_constantIbLb0EES1U_EEDaS1P_S1Q_EUlS1P_E_NS1_11comp_targetILNS1_3genE9ELNS1_11target_archE1100ELNS1_3gpuE3ELNS1_3repE0EEENS1_30default_config_static_selectorELNS0_4arch9wavefront6targetE0EEEvS12_
    .private_segment_fixed_size: 0
    .sgpr_count:     0
    .sgpr_spill_count: 0
    .symbol:         _ZN7rocprim17ROCPRIM_400000_NS6detail17trampoline_kernelINS0_13select_configILj256ELj13ELNS0_17block_load_methodE3ELS4_3ELS4_3ELNS0_20block_scan_algorithmE0ELj4294967295EEENS1_25partition_config_selectorILNS1_17partition_subalgoE4EjNS0_10empty_typeEbEEZZNS1_14partition_implILS8_4ELb0ES6_15HIP_vector_typeIjLj2EENS0_17counting_iteratorIjlEEPS9_SG_NS0_5tupleIJPjSI_NS0_16reverse_iteratorISI_EEEEENSH_IJSG_SG_SG_EEES9_SI_JZNS1_25segmented_radix_sort_implINS0_14default_configELb1EPKaPaPKlPlN2at6native12_GLOBAL__N_18offset_tEEE10hipError_tPvRmT1_PNSt15iterator_traitsIS12_E10value_typeET2_T3_PNS13_IS18_E10value_typeET4_jRbjT5_S1E_jjP12ihipStream_tbEUljE_ZNSN_ISO_Lb1ESQ_SR_ST_SU_SY_EESZ_S10_S11_S12_S16_S17_S18_S1B_S1C_jS1D_jS1E_S1E_jjS1G_bEUljE0_EEESZ_S10_S11_S18_S1C_S1E_T6_T7_T9_mT8_S1G_bDpT10_ENKUlT_T0_E_clISt17integral_constantIbLb0EES1U_EEDaS1P_S1Q_EUlS1P_E_NS1_11comp_targetILNS1_3genE9ELNS1_11target_archE1100ELNS1_3gpuE3ELNS1_3repE0EEENS1_30default_config_static_selectorELNS0_4arch9wavefront6targetE0EEEvS12_.kd
    .uniform_work_group_size: 1
    .uses_dynamic_stack: false
    .vgpr_count:     0
    .vgpr_spill_count: 0
    .wavefront_size: 32
    .workgroup_processor_mode: 1
  - .args:
      - .offset:         0
        .size:           176
        .value_kind:     by_value
    .group_segment_fixed_size: 13328
    .kernarg_segment_align: 8
    .kernarg_segment_size: 176
    .language:       OpenCL C
    .language_version:
      - 2
      - 0
    .max_flat_workgroup_size: 256
    .name:           _ZN7rocprim17ROCPRIM_400000_NS6detail17trampoline_kernelINS0_13select_configILj256ELj13ELNS0_17block_load_methodE3ELS4_3ELS4_3ELNS0_20block_scan_algorithmE0ELj4294967295EEENS1_25partition_config_selectorILNS1_17partition_subalgoE4EjNS0_10empty_typeEbEEZZNS1_14partition_implILS8_4ELb0ES6_15HIP_vector_typeIjLj2EENS0_17counting_iteratorIjlEEPS9_SG_NS0_5tupleIJPjSI_NS0_16reverse_iteratorISI_EEEEENSH_IJSG_SG_SG_EEES9_SI_JZNS1_25segmented_radix_sort_implINS0_14default_configELb1EPKaPaPKlPlN2at6native12_GLOBAL__N_18offset_tEEE10hipError_tPvRmT1_PNSt15iterator_traitsIS12_E10value_typeET2_T3_PNS13_IS18_E10value_typeET4_jRbjT5_S1E_jjP12ihipStream_tbEUljE_ZNSN_ISO_Lb1ESQ_SR_ST_SU_SY_EESZ_S10_S11_S12_S16_S17_S18_S1B_S1C_jS1D_jS1E_S1E_jjS1G_bEUljE0_EEESZ_S10_S11_S18_S1C_S1E_T6_T7_T9_mT8_S1G_bDpT10_ENKUlT_T0_E_clISt17integral_constantIbLb0EES1U_EEDaS1P_S1Q_EUlS1P_E_NS1_11comp_targetILNS1_3genE8ELNS1_11target_archE1030ELNS1_3gpuE2ELNS1_3repE0EEENS1_30default_config_static_selectorELNS0_4arch9wavefront6targetE0EEEvS12_
    .private_segment_fixed_size: 0
    .sgpr_count:     61
    .sgpr_spill_count: 0
    .symbol:         _ZN7rocprim17ROCPRIM_400000_NS6detail17trampoline_kernelINS0_13select_configILj256ELj13ELNS0_17block_load_methodE3ELS4_3ELS4_3ELNS0_20block_scan_algorithmE0ELj4294967295EEENS1_25partition_config_selectorILNS1_17partition_subalgoE4EjNS0_10empty_typeEbEEZZNS1_14partition_implILS8_4ELb0ES6_15HIP_vector_typeIjLj2EENS0_17counting_iteratorIjlEEPS9_SG_NS0_5tupleIJPjSI_NS0_16reverse_iteratorISI_EEEEENSH_IJSG_SG_SG_EEES9_SI_JZNS1_25segmented_radix_sort_implINS0_14default_configELb1EPKaPaPKlPlN2at6native12_GLOBAL__N_18offset_tEEE10hipError_tPvRmT1_PNSt15iterator_traitsIS12_E10value_typeET2_T3_PNS13_IS18_E10value_typeET4_jRbjT5_S1E_jjP12ihipStream_tbEUljE_ZNSN_ISO_Lb1ESQ_SR_ST_SU_SY_EESZ_S10_S11_S12_S16_S17_S18_S1B_S1C_jS1D_jS1E_S1E_jjS1G_bEUljE0_EEESZ_S10_S11_S18_S1C_S1E_T6_T7_T9_mT8_S1G_bDpT10_ENKUlT_T0_E_clISt17integral_constantIbLb0EES1U_EEDaS1P_S1Q_EUlS1P_E_NS1_11comp_targetILNS1_3genE8ELNS1_11target_archE1030ELNS1_3gpuE2ELNS1_3repE0EEENS1_30default_config_static_selectorELNS0_4arch9wavefront6targetE0EEEvS12_.kd
    .uniform_work_group_size: 1
    .uses_dynamic_stack: false
    .vgpr_count:     82
    .vgpr_spill_count: 0
    .wavefront_size: 32
    .workgroup_processor_mode: 1
  - .args:
      - .offset:         0
        .size:           184
        .value_kind:     by_value
    .group_segment_fixed_size: 0
    .kernarg_segment_align: 8
    .kernarg_segment_size: 184
    .language:       OpenCL C
    .language_version:
      - 2
      - 0
    .max_flat_workgroup_size: 256
    .name:           _ZN7rocprim17ROCPRIM_400000_NS6detail17trampoline_kernelINS0_13select_configILj256ELj13ELNS0_17block_load_methodE3ELS4_3ELS4_3ELNS0_20block_scan_algorithmE0ELj4294967295EEENS1_25partition_config_selectorILNS1_17partition_subalgoE4EjNS0_10empty_typeEbEEZZNS1_14partition_implILS8_4ELb0ES6_15HIP_vector_typeIjLj2EENS0_17counting_iteratorIjlEEPS9_SG_NS0_5tupleIJPjSI_NS0_16reverse_iteratorISI_EEEEENSH_IJSG_SG_SG_EEES9_SI_JZNS1_25segmented_radix_sort_implINS0_14default_configELb1EPKaPaPKlPlN2at6native12_GLOBAL__N_18offset_tEEE10hipError_tPvRmT1_PNSt15iterator_traitsIS12_E10value_typeET2_T3_PNS13_IS18_E10value_typeET4_jRbjT5_S1E_jjP12ihipStream_tbEUljE_ZNSN_ISO_Lb1ESQ_SR_ST_SU_SY_EESZ_S10_S11_S12_S16_S17_S18_S1B_S1C_jS1D_jS1E_S1E_jjS1G_bEUljE0_EEESZ_S10_S11_S18_S1C_S1E_T6_T7_T9_mT8_S1G_bDpT10_ENKUlT_T0_E_clISt17integral_constantIbLb1EES1U_EEDaS1P_S1Q_EUlS1P_E_NS1_11comp_targetILNS1_3genE0ELNS1_11target_archE4294967295ELNS1_3gpuE0ELNS1_3repE0EEENS1_30default_config_static_selectorELNS0_4arch9wavefront6targetE0EEEvS12_
    .private_segment_fixed_size: 0
    .sgpr_count:     0
    .sgpr_spill_count: 0
    .symbol:         _ZN7rocprim17ROCPRIM_400000_NS6detail17trampoline_kernelINS0_13select_configILj256ELj13ELNS0_17block_load_methodE3ELS4_3ELS4_3ELNS0_20block_scan_algorithmE0ELj4294967295EEENS1_25partition_config_selectorILNS1_17partition_subalgoE4EjNS0_10empty_typeEbEEZZNS1_14partition_implILS8_4ELb0ES6_15HIP_vector_typeIjLj2EENS0_17counting_iteratorIjlEEPS9_SG_NS0_5tupleIJPjSI_NS0_16reverse_iteratorISI_EEEEENSH_IJSG_SG_SG_EEES9_SI_JZNS1_25segmented_radix_sort_implINS0_14default_configELb1EPKaPaPKlPlN2at6native12_GLOBAL__N_18offset_tEEE10hipError_tPvRmT1_PNSt15iterator_traitsIS12_E10value_typeET2_T3_PNS13_IS18_E10value_typeET4_jRbjT5_S1E_jjP12ihipStream_tbEUljE_ZNSN_ISO_Lb1ESQ_SR_ST_SU_SY_EESZ_S10_S11_S12_S16_S17_S18_S1B_S1C_jS1D_jS1E_S1E_jjS1G_bEUljE0_EEESZ_S10_S11_S18_S1C_S1E_T6_T7_T9_mT8_S1G_bDpT10_ENKUlT_T0_E_clISt17integral_constantIbLb1EES1U_EEDaS1P_S1Q_EUlS1P_E_NS1_11comp_targetILNS1_3genE0ELNS1_11target_archE4294967295ELNS1_3gpuE0ELNS1_3repE0EEENS1_30default_config_static_selectorELNS0_4arch9wavefront6targetE0EEEvS12_.kd
    .uniform_work_group_size: 1
    .uses_dynamic_stack: false
    .vgpr_count:     0
    .vgpr_spill_count: 0
    .wavefront_size: 32
    .workgroup_processor_mode: 1
  - .args:
      - .offset:         0
        .size:           184
        .value_kind:     by_value
    .group_segment_fixed_size: 0
    .kernarg_segment_align: 8
    .kernarg_segment_size: 184
    .language:       OpenCL C
    .language_version:
      - 2
      - 0
    .max_flat_workgroup_size: 256
    .name:           _ZN7rocprim17ROCPRIM_400000_NS6detail17trampoline_kernelINS0_13select_configILj256ELj13ELNS0_17block_load_methodE3ELS4_3ELS4_3ELNS0_20block_scan_algorithmE0ELj4294967295EEENS1_25partition_config_selectorILNS1_17partition_subalgoE4EjNS0_10empty_typeEbEEZZNS1_14partition_implILS8_4ELb0ES6_15HIP_vector_typeIjLj2EENS0_17counting_iteratorIjlEEPS9_SG_NS0_5tupleIJPjSI_NS0_16reverse_iteratorISI_EEEEENSH_IJSG_SG_SG_EEES9_SI_JZNS1_25segmented_radix_sort_implINS0_14default_configELb1EPKaPaPKlPlN2at6native12_GLOBAL__N_18offset_tEEE10hipError_tPvRmT1_PNSt15iterator_traitsIS12_E10value_typeET2_T3_PNS13_IS18_E10value_typeET4_jRbjT5_S1E_jjP12ihipStream_tbEUljE_ZNSN_ISO_Lb1ESQ_SR_ST_SU_SY_EESZ_S10_S11_S12_S16_S17_S18_S1B_S1C_jS1D_jS1E_S1E_jjS1G_bEUljE0_EEESZ_S10_S11_S18_S1C_S1E_T6_T7_T9_mT8_S1G_bDpT10_ENKUlT_T0_E_clISt17integral_constantIbLb1EES1U_EEDaS1P_S1Q_EUlS1P_E_NS1_11comp_targetILNS1_3genE5ELNS1_11target_archE942ELNS1_3gpuE9ELNS1_3repE0EEENS1_30default_config_static_selectorELNS0_4arch9wavefront6targetE0EEEvS12_
    .private_segment_fixed_size: 0
    .sgpr_count:     0
    .sgpr_spill_count: 0
    .symbol:         _ZN7rocprim17ROCPRIM_400000_NS6detail17trampoline_kernelINS0_13select_configILj256ELj13ELNS0_17block_load_methodE3ELS4_3ELS4_3ELNS0_20block_scan_algorithmE0ELj4294967295EEENS1_25partition_config_selectorILNS1_17partition_subalgoE4EjNS0_10empty_typeEbEEZZNS1_14partition_implILS8_4ELb0ES6_15HIP_vector_typeIjLj2EENS0_17counting_iteratorIjlEEPS9_SG_NS0_5tupleIJPjSI_NS0_16reverse_iteratorISI_EEEEENSH_IJSG_SG_SG_EEES9_SI_JZNS1_25segmented_radix_sort_implINS0_14default_configELb1EPKaPaPKlPlN2at6native12_GLOBAL__N_18offset_tEEE10hipError_tPvRmT1_PNSt15iterator_traitsIS12_E10value_typeET2_T3_PNS13_IS18_E10value_typeET4_jRbjT5_S1E_jjP12ihipStream_tbEUljE_ZNSN_ISO_Lb1ESQ_SR_ST_SU_SY_EESZ_S10_S11_S12_S16_S17_S18_S1B_S1C_jS1D_jS1E_S1E_jjS1G_bEUljE0_EEESZ_S10_S11_S18_S1C_S1E_T6_T7_T9_mT8_S1G_bDpT10_ENKUlT_T0_E_clISt17integral_constantIbLb1EES1U_EEDaS1P_S1Q_EUlS1P_E_NS1_11comp_targetILNS1_3genE5ELNS1_11target_archE942ELNS1_3gpuE9ELNS1_3repE0EEENS1_30default_config_static_selectorELNS0_4arch9wavefront6targetE0EEEvS12_.kd
    .uniform_work_group_size: 1
    .uses_dynamic_stack: false
    .vgpr_count:     0
    .vgpr_spill_count: 0
    .wavefront_size: 32
    .workgroup_processor_mode: 1
  - .args:
      - .offset:         0
        .size:           184
        .value_kind:     by_value
    .group_segment_fixed_size: 0
    .kernarg_segment_align: 8
    .kernarg_segment_size: 184
    .language:       OpenCL C
    .language_version:
      - 2
      - 0
    .max_flat_workgroup_size: 256
    .name:           _ZN7rocprim17ROCPRIM_400000_NS6detail17trampoline_kernelINS0_13select_configILj256ELj13ELNS0_17block_load_methodE3ELS4_3ELS4_3ELNS0_20block_scan_algorithmE0ELj4294967295EEENS1_25partition_config_selectorILNS1_17partition_subalgoE4EjNS0_10empty_typeEbEEZZNS1_14partition_implILS8_4ELb0ES6_15HIP_vector_typeIjLj2EENS0_17counting_iteratorIjlEEPS9_SG_NS0_5tupleIJPjSI_NS0_16reverse_iteratorISI_EEEEENSH_IJSG_SG_SG_EEES9_SI_JZNS1_25segmented_radix_sort_implINS0_14default_configELb1EPKaPaPKlPlN2at6native12_GLOBAL__N_18offset_tEEE10hipError_tPvRmT1_PNSt15iterator_traitsIS12_E10value_typeET2_T3_PNS13_IS18_E10value_typeET4_jRbjT5_S1E_jjP12ihipStream_tbEUljE_ZNSN_ISO_Lb1ESQ_SR_ST_SU_SY_EESZ_S10_S11_S12_S16_S17_S18_S1B_S1C_jS1D_jS1E_S1E_jjS1G_bEUljE0_EEESZ_S10_S11_S18_S1C_S1E_T6_T7_T9_mT8_S1G_bDpT10_ENKUlT_T0_E_clISt17integral_constantIbLb1EES1U_EEDaS1P_S1Q_EUlS1P_E_NS1_11comp_targetILNS1_3genE4ELNS1_11target_archE910ELNS1_3gpuE8ELNS1_3repE0EEENS1_30default_config_static_selectorELNS0_4arch9wavefront6targetE0EEEvS12_
    .private_segment_fixed_size: 0
    .sgpr_count:     0
    .sgpr_spill_count: 0
    .symbol:         _ZN7rocprim17ROCPRIM_400000_NS6detail17trampoline_kernelINS0_13select_configILj256ELj13ELNS0_17block_load_methodE3ELS4_3ELS4_3ELNS0_20block_scan_algorithmE0ELj4294967295EEENS1_25partition_config_selectorILNS1_17partition_subalgoE4EjNS0_10empty_typeEbEEZZNS1_14partition_implILS8_4ELb0ES6_15HIP_vector_typeIjLj2EENS0_17counting_iteratorIjlEEPS9_SG_NS0_5tupleIJPjSI_NS0_16reverse_iteratorISI_EEEEENSH_IJSG_SG_SG_EEES9_SI_JZNS1_25segmented_radix_sort_implINS0_14default_configELb1EPKaPaPKlPlN2at6native12_GLOBAL__N_18offset_tEEE10hipError_tPvRmT1_PNSt15iterator_traitsIS12_E10value_typeET2_T3_PNS13_IS18_E10value_typeET4_jRbjT5_S1E_jjP12ihipStream_tbEUljE_ZNSN_ISO_Lb1ESQ_SR_ST_SU_SY_EESZ_S10_S11_S12_S16_S17_S18_S1B_S1C_jS1D_jS1E_S1E_jjS1G_bEUljE0_EEESZ_S10_S11_S18_S1C_S1E_T6_T7_T9_mT8_S1G_bDpT10_ENKUlT_T0_E_clISt17integral_constantIbLb1EES1U_EEDaS1P_S1Q_EUlS1P_E_NS1_11comp_targetILNS1_3genE4ELNS1_11target_archE910ELNS1_3gpuE8ELNS1_3repE0EEENS1_30default_config_static_selectorELNS0_4arch9wavefront6targetE0EEEvS12_.kd
    .uniform_work_group_size: 1
    .uses_dynamic_stack: false
    .vgpr_count:     0
    .vgpr_spill_count: 0
    .wavefront_size: 32
    .workgroup_processor_mode: 1
  - .args:
      - .offset:         0
        .size:           184
        .value_kind:     by_value
    .group_segment_fixed_size: 0
    .kernarg_segment_align: 8
    .kernarg_segment_size: 184
    .language:       OpenCL C
    .language_version:
      - 2
      - 0
    .max_flat_workgroup_size: 256
    .name:           _ZN7rocprim17ROCPRIM_400000_NS6detail17trampoline_kernelINS0_13select_configILj256ELj13ELNS0_17block_load_methodE3ELS4_3ELS4_3ELNS0_20block_scan_algorithmE0ELj4294967295EEENS1_25partition_config_selectorILNS1_17partition_subalgoE4EjNS0_10empty_typeEbEEZZNS1_14partition_implILS8_4ELb0ES6_15HIP_vector_typeIjLj2EENS0_17counting_iteratorIjlEEPS9_SG_NS0_5tupleIJPjSI_NS0_16reverse_iteratorISI_EEEEENSH_IJSG_SG_SG_EEES9_SI_JZNS1_25segmented_radix_sort_implINS0_14default_configELb1EPKaPaPKlPlN2at6native12_GLOBAL__N_18offset_tEEE10hipError_tPvRmT1_PNSt15iterator_traitsIS12_E10value_typeET2_T3_PNS13_IS18_E10value_typeET4_jRbjT5_S1E_jjP12ihipStream_tbEUljE_ZNSN_ISO_Lb1ESQ_SR_ST_SU_SY_EESZ_S10_S11_S12_S16_S17_S18_S1B_S1C_jS1D_jS1E_S1E_jjS1G_bEUljE0_EEESZ_S10_S11_S18_S1C_S1E_T6_T7_T9_mT8_S1G_bDpT10_ENKUlT_T0_E_clISt17integral_constantIbLb1EES1U_EEDaS1P_S1Q_EUlS1P_E_NS1_11comp_targetILNS1_3genE3ELNS1_11target_archE908ELNS1_3gpuE7ELNS1_3repE0EEENS1_30default_config_static_selectorELNS0_4arch9wavefront6targetE0EEEvS12_
    .private_segment_fixed_size: 0
    .sgpr_count:     0
    .sgpr_spill_count: 0
    .symbol:         _ZN7rocprim17ROCPRIM_400000_NS6detail17trampoline_kernelINS0_13select_configILj256ELj13ELNS0_17block_load_methodE3ELS4_3ELS4_3ELNS0_20block_scan_algorithmE0ELj4294967295EEENS1_25partition_config_selectorILNS1_17partition_subalgoE4EjNS0_10empty_typeEbEEZZNS1_14partition_implILS8_4ELb0ES6_15HIP_vector_typeIjLj2EENS0_17counting_iteratorIjlEEPS9_SG_NS0_5tupleIJPjSI_NS0_16reverse_iteratorISI_EEEEENSH_IJSG_SG_SG_EEES9_SI_JZNS1_25segmented_radix_sort_implINS0_14default_configELb1EPKaPaPKlPlN2at6native12_GLOBAL__N_18offset_tEEE10hipError_tPvRmT1_PNSt15iterator_traitsIS12_E10value_typeET2_T3_PNS13_IS18_E10value_typeET4_jRbjT5_S1E_jjP12ihipStream_tbEUljE_ZNSN_ISO_Lb1ESQ_SR_ST_SU_SY_EESZ_S10_S11_S12_S16_S17_S18_S1B_S1C_jS1D_jS1E_S1E_jjS1G_bEUljE0_EEESZ_S10_S11_S18_S1C_S1E_T6_T7_T9_mT8_S1G_bDpT10_ENKUlT_T0_E_clISt17integral_constantIbLb1EES1U_EEDaS1P_S1Q_EUlS1P_E_NS1_11comp_targetILNS1_3genE3ELNS1_11target_archE908ELNS1_3gpuE7ELNS1_3repE0EEENS1_30default_config_static_selectorELNS0_4arch9wavefront6targetE0EEEvS12_.kd
    .uniform_work_group_size: 1
    .uses_dynamic_stack: false
    .vgpr_count:     0
    .vgpr_spill_count: 0
    .wavefront_size: 32
    .workgroup_processor_mode: 1
  - .args:
      - .offset:         0
        .size:           184
        .value_kind:     by_value
    .group_segment_fixed_size: 0
    .kernarg_segment_align: 8
    .kernarg_segment_size: 184
    .language:       OpenCL C
    .language_version:
      - 2
      - 0
    .max_flat_workgroup_size: 256
    .name:           _ZN7rocprim17ROCPRIM_400000_NS6detail17trampoline_kernelINS0_13select_configILj256ELj13ELNS0_17block_load_methodE3ELS4_3ELS4_3ELNS0_20block_scan_algorithmE0ELj4294967295EEENS1_25partition_config_selectorILNS1_17partition_subalgoE4EjNS0_10empty_typeEbEEZZNS1_14partition_implILS8_4ELb0ES6_15HIP_vector_typeIjLj2EENS0_17counting_iteratorIjlEEPS9_SG_NS0_5tupleIJPjSI_NS0_16reverse_iteratorISI_EEEEENSH_IJSG_SG_SG_EEES9_SI_JZNS1_25segmented_radix_sort_implINS0_14default_configELb1EPKaPaPKlPlN2at6native12_GLOBAL__N_18offset_tEEE10hipError_tPvRmT1_PNSt15iterator_traitsIS12_E10value_typeET2_T3_PNS13_IS18_E10value_typeET4_jRbjT5_S1E_jjP12ihipStream_tbEUljE_ZNSN_ISO_Lb1ESQ_SR_ST_SU_SY_EESZ_S10_S11_S12_S16_S17_S18_S1B_S1C_jS1D_jS1E_S1E_jjS1G_bEUljE0_EEESZ_S10_S11_S18_S1C_S1E_T6_T7_T9_mT8_S1G_bDpT10_ENKUlT_T0_E_clISt17integral_constantIbLb1EES1U_EEDaS1P_S1Q_EUlS1P_E_NS1_11comp_targetILNS1_3genE2ELNS1_11target_archE906ELNS1_3gpuE6ELNS1_3repE0EEENS1_30default_config_static_selectorELNS0_4arch9wavefront6targetE0EEEvS12_
    .private_segment_fixed_size: 0
    .sgpr_count:     0
    .sgpr_spill_count: 0
    .symbol:         _ZN7rocprim17ROCPRIM_400000_NS6detail17trampoline_kernelINS0_13select_configILj256ELj13ELNS0_17block_load_methodE3ELS4_3ELS4_3ELNS0_20block_scan_algorithmE0ELj4294967295EEENS1_25partition_config_selectorILNS1_17partition_subalgoE4EjNS0_10empty_typeEbEEZZNS1_14partition_implILS8_4ELb0ES6_15HIP_vector_typeIjLj2EENS0_17counting_iteratorIjlEEPS9_SG_NS0_5tupleIJPjSI_NS0_16reverse_iteratorISI_EEEEENSH_IJSG_SG_SG_EEES9_SI_JZNS1_25segmented_radix_sort_implINS0_14default_configELb1EPKaPaPKlPlN2at6native12_GLOBAL__N_18offset_tEEE10hipError_tPvRmT1_PNSt15iterator_traitsIS12_E10value_typeET2_T3_PNS13_IS18_E10value_typeET4_jRbjT5_S1E_jjP12ihipStream_tbEUljE_ZNSN_ISO_Lb1ESQ_SR_ST_SU_SY_EESZ_S10_S11_S12_S16_S17_S18_S1B_S1C_jS1D_jS1E_S1E_jjS1G_bEUljE0_EEESZ_S10_S11_S18_S1C_S1E_T6_T7_T9_mT8_S1G_bDpT10_ENKUlT_T0_E_clISt17integral_constantIbLb1EES1U_EEDaS1P_S1Q_EUlS1P_E_NS1_11comp_targetILNS1_3genE2ELNS1_11target_archE906ELNS1_3gpuE6ELNS1_3repE0EEENS1_30default_config_static_selectorELNS0_4arch9wavefront6targetE0EEEvS12_.kd
    .uniform_work_group_size: 1
    .uses_dynamic_stack: false
    .vgpr_count:     0
    .vgpr_spill_count: 0
    .wavefront_size: 32
    .workgroup_processor_mode: 1
  - .args:
      - .offset:         0
        .size:           184
        .value_kind:     by_value
    .group_segment_fixed_size: 0
    .kernarg_segment_align: 8
    .kernarg_segment_size: 184
    .language:       OpenCL C
    .language_version:
      - 2
      - 0
    .max_flat_workgroup_size: 256
    .name:           _ZN7rocprim17ROCPRIM_400000_NS6detail17trampoline_kernelINS0_13select_configILj256ELj13ELNS0_17block_load_methodE3ELS4_3ELS4_3ELNS0_20block_scan_algorithmE0ELj4294967295EEENS1_25partition_config_selectorILNS1_17partition_subalgoE4EjNS0_10empty_typeEbEEZZNS1_14partition_implILS8_4ELb0ES6_15HIP_vector_typeIjLj2EENS0_17counting_iteratorIjlEEPS9_SG_NS0_5tupleIJPjSI_NS0_16reverse_iteratorISI_EEEEENSH_IJSG_SG_SG_EEES9_SI_JZNS1_25segmented_radix_sort_implINS0_14default_configELb1EPKaPaPKlPlN2at6native12_GLOBAL__N_18offset_tEEE10hipError_tPvRmT1_PNSt15iterator_traitsIS12_E10value_typeET2_T3_PNS13_IS18_E10value_typeET4_jRbjT5_S1E_jjP12ihipStream_tbEUljE_ZNSN_ISO_Lb1ESQ_SR_ST_SU_SY_EESZ_S10_S11_S12_S16_S17_S18_S1B_S1C_jS1D_jS1E_S1E_jjS1G_bEUljE0_EEESZ_S10_S11_S18_S1C_S1E_T6_T7_T9_mT8_S1G_bDpT10_ENKUlT_T0_E_clISt17integral_constantIbLb1EES1U_EEDaS1P_S1Q_EUlS1P_E_NS1_11comp_targetILNS1_3genE10ELNS1_11target_archE1200ELNS1_3gpuE4ELNS1_3repE0EEENS1_30default_config_static_selectorELNS0_4arch9wavefront6targetE0EEEvS12_
    .private_segment_fixed_size: 0
    .sgpr_count:     0
    .sgpr_spill_count: 0
    .symbol:         _ZN7rocprim17ROCPRIM_400000_NS6detail17trampoline_kernelINS0_13select_configILj256ELj13ELNS0_17block_load_methodE3ELS4_3ELS4_3ELNS0_20block_scan_algorithmE0ELj4294967295EEENS1_25partition_config_selectorILNS1_17partition_subalgoE4EjNS0_10empty_typeEbEEZZNS1_14partition_implILS8_4ELb0ES6_15HIP_vector_typeIjLj2EENS0_17counting_iteratorIjlEEPS9_SG_NS0_5tupleIJPjSI_NS0_16reverse_iteratorISI_EEEEENSH_IJSG_SG_SG_EEES9_SI_JZNS1_25segmented_radix_sort_implINS0_14default_configELb1EPKaPaPKlPlN2at6native12_GLOBAL__N_18offset_tEEE10hipError_tPvRmT1_PNSt15iterator_traitsIS12_E10value_typeET2_T3_PNS13_IS18_E10value_typeET4_jRbjT5_S1E_jjP12ihipStream_tbEUljE_ZNSN_ISO_Lb1ESQ_SR_ST_SU_SY_EESZ_S10_S11_S12_S16_S17_S18_S1B_S1C_jS1D_jS1E_S1E_jjS1G_bEUljE0_EEESZ_S10_S11_S18_S1C_S1E_T6_T7_T9_mT8_S1G_bDpT10_ENKUlT_T0_E_clISt17integral_constantIbLb1EES1U_EEDaS1P_S1Q_EUlS1P_E_NS1_11comp_targetILNS1_3genE10ELNS1_11target_archE1200ELNS1_3gpuE4ELNS1_3repE0EEENS1_30default_config_static_selectorELNS0_4arch9wavefront6targetE0EEEvS12_.kd
    .uniform_work_group_size: 1
    .uses_dynamic_stack: false
    .vgpr_count:     0
    .vgpr_spill_count: 0
    .wavefront_size: 32
    .workgroup_processor_mode: 1
  - .args:
      - .offset:         0
        .size:           184
        .value_kind:     by_value
    .group_segment_fixed_size: 0
    .kernarg_segment_align: 8
    .kernarg_segment_size: 184
    .language:       OpenCL C
    .language_version:
      - 2
      - 0
    .max_flat_workgroup_size: 256
    .name:           _ZN7rocprim17ROCPRIM_400000_NS6detail17trampoline_kernelINS0_13select_configILj256ELj13ELNS0_17block_load_methodE3ELS4_3ELS4_3ELNS0_20block_scan_algorithmE0ELj4294967295EEENS1_25partition_config_selectorILNS1_17partition_subalgoE4EjNS0_10empty_typeEbEEZZNS1_14partition_implILS8_4ELb0ES6_15HIP_vector_typeIjLj2EENS0_17counting_iteratorIjlEEPS9_SG_NS0_5tupleIJPjSI_NS0_16reverse_iteratorISI_EEEEENSH_IJSG_SG_SG_EEES9_SI_JZNS1_25segmented_radix_sort_implINS0_14default_configELb1EPKaPaPKlPlN2at6native12_GLOBAL__N_18offset_tEEE10hipError_tPvRmT1_PNSt15iterator_traitsIS12_E10value_typeET2_T3_PNS13_IS18_E10value_typeET4_jRbjT5_S1E_jjP12ihipStream_tbEUljE_ZNSN_ISO_Lb1ESQ_SR_ST_SU_SY_EESZ_S10_S11_S12_S16_S17_S18_S1B_S1C_jS1D_jS1E_S1E_jjS1G_bEUljE0_EEESZ_S10_S11_S18_S1C_S1E_T6_T7_T9_mT8_S1G_bDpT10_ENKUlT_T0_E_clISt17integral_constantIbLb1EES1U_EEDaS1P_S1Q_EUlS1P_E_NS1_11comp_targetILNS1_3genE9ELNS1_11target_archE1100ELNS1_3gpuE3ELNS1_3repE0EEENS1_30default_config_static_selectorELNS0_4arch9wavefront6targetE0EEEvS12_
    .private_segment_fixed_size: 0
    .sgpr_count:     0
    .sgpr_spill_count: 0
    .symbol:         _ZN7rocprim17ROCPRIM_400000_NS6detail17trampoline_kernelINS0_13select_configILj256ELj13ELNS0_17block_load_methodE3ELS4_3ELS4_3ELNS0_20block_scan_algorithmE0ELj4294967295EEENS1_25partition_config_selectorILNS1_17partition_subalgoE4EjNS0_10empty_typeEbEEZZNS1_14partition_implILS8_4ELb0ES6_15HIP_vector_typeIjLj2EENS0_17counting_iteratorIjlEEPS9_SG_NS0_5tupleIJPjSI_NS0_16reverse_iteratorISI_EEEEENSH_IJSG_SG_SG_EEES9_SI_JZNS1_25segmented_radix_sort_implINS0_14default_configELb1EPKaPaPKlPlN2at6native12_GLOBAL__N_18offset_tEEE10hipError_tPvRmT1_PNSt15iterator_traitsIS12_E10value_typeET2_T3_PNS13_IS18_E10value_typeET4_jRbjT5_S1E_jjP12ihipStream_tbEUljE_ZNSN_ISO_Lb1ESQ_SR_ST_SU_SY_EESZ_S10_S11_S12_S16_S17_S18_S1B_S1C_jS1D_jS1E_S1E_jjS1G_bEUljE0_EEESZ_S10_S11_S18_S1C_S1E_T6_T7_T9_mT8_S1G_bDpT10_ENKUlT_T0_E_clISt17integral_constantIbLb1EES1U_EEDaS1P_S1Q_EUlS1P_E_NS1_11comp_targetILNS1_3genE9ELNS1_11target_archE1100ELNS1_3gpuE3ELNS1_3repE0EEENS1_30default_config_static_selectorELNS0_4arch9wavefront6targetE0EEEvS12_.kd
    .uniform_work_group_size: 1
    .uses_dynamic_stack: false
    .vgpr_count:     0
    .vgpr_spill_count: 0
    .wavefront_size: 32
    .workgroup_processor_mode: 1
  - .args:
      - .offset:         0
        .size:           184
        .value_kind:     by_value
    .group_segment_fixed_size: 0
    .kernarg_segment_align: 8
    .kernarg_segment_size: 184
    .language:       OpenCL C
    .language_version:
      - 2
      - 0
    .max_flat_workgroup_size: 256
    .name:           _ZN7rocprim17ROCPRIM_400000_NS6detail17trampoline_kernelINS0_13select_configILj256ELj13ELNS0_17block_load_methodE3ELS4_3ELS4_3ELNS0_20block_scan_algorithmE0ELj4294967295EEENS1_25partition_config_selectorILNS1_17partition_subalgoE4EjNS0_10empty_typeEbEEZZNS1_14partition_implILS8_4ELb0ES6_15HIP_vector_typeIjLj2EENS0_17counting_iteratorIjlEEPS9_SG_NS0_5tupleIJPjSI_NS0_16reverse_iteratorISI_EEEEENSH_IJSG_SG_SG_EEES9_SI_JZNS1_25segmented_radix_sort_implINS0_14default_configELb1EPKaPaPKlPlN2at6native12_GLOBAL__N_18offset_tEEE10hipError_tPvRmT1_PNSt15iterator_traitsIS12_E10value_typeET2_T3_PNS13_IS18_E10value_typeET4_jRbjT5_S1E_jjP12ihipStream_tbEUljE_ZNSN_ISO_Lb1ESQ_SR_ST_SU_SY_EESZ_S10_S11_S12_S16_S17_S18_S1B_S1C_jS1D_jS1E_S1E_jjS1G_bEUljE0_EEESZ_S10_S11_S18_S1C_S1E_T6_T7_T9_mT8_S1G_bDpT10_ENKUlT_T0_E_clISt17integral_constantIbLb1EES1U_EEDaS1P_S1Q_EUlS1P_E_NS1_11comp_targetILNS1_3genE8ELNS1_11target_archE1030ELNS1_3gpuE2ELNS1_3repE0EEENS1_30default_config_static_selectorELNS0_4arch9wavefront6targetE0EEEvS12_
    .private_segment_fixed_size: 0
    .sgpr_count:     0
    .sgpr_spill_count: 0
    .symbol:         _ZN7rocprim17ROCPRIM_400000_NS6detail17trampoline_kernelINS0_13select_configILj256ELj13ELNS0_17block_load_methodE3ELS4_3ELS4_3ELNS0_20block_scan_algorithmE0ELj4294967295EEENS1_25partition_config_selectorILNS1_17partition_subalgoE4EjNS0_10empty_typeEbEEZZNS1_14partition_implILS8_4ELb0ES6_15HIP_vector_typeIjLj2EENS0_17counting_iteratorIjlEEPS9_SG_NS0_5tupleIJPjSI_NS0_16reverse_iteratorISI_EEEEENSH_IJSG_SG_SG_EEES9_SI_JZNS1_25segmented_radix_sort_implINS0_14default_configELb1EPKaPaPKlPlN2at6native12_GLOBAL__N_18offset_tEEE10hipError_tPvRmT1_PNSt15iterator_traitsIS12_E10value_typeET2_T3_PNS13_IS18_E10value_typeET4_jRbjT5_S1E_jjP12ihipStream_tbEUljE_ZNSN_ISO_Lb1ESQ_SR_ST_SU_SY_EESZ_S10_S11_S12_S16_S17_S18_S1B_S1C_jS1D_jS1E_S1E_jjS1G_bEUljE0_EEESZ_S10_S11_S18_S1C_S1E_T6_T7_T9_mT8_S1G_bDpT10_ENKUlT_T0_E_clISt17integral_constantIbLb1EES1U_EEDaS1P_S1Q_EUlS1P_E_NS1_11comp_targetILNS1_3genE8ELNS1_11target_archE1030ELNS1_3gpuE2ELNS1_3repE0EEENS1_30default_config_static_selectorELNS0_4arch9wavefront6targetE0EEEvS12_.kd
    .uniform_work_group_size: 1
    .uses_dynamic_stack: false
    .vgpr_count:     0
    .vgpr_spill_count: 0
    .wavefront_size: 32
    .workgroup_processor_mode: 1
  - .args:
      - .offset:         0
        .size:           176
        .value_kind:     by_value
    .group_segment_fixed_size: 0
    .kernarg_segment_align: 8
    .kernarg_segment_size: 176
    .language:       OpenCL C
    .language_version:
      - 2
      - 0
    .max_flat_workgroup_size: 256
    .name:           _ZN7rocprim17ROCPRIM_400000_NS6detail17trampoline_kernelINS0_13select_configILj256ELj13ELNS0_17block_load_methodE3ELS4_3ELS4_3ELNS0_20block_scan_algorithmE0ELj4294967295EEENS1_25partition_config_selectorILNS1_17partition_subalgoE4EjNS0_10empty_typeEbEEZZNS1_14partition_implILS8_4ELb0ES6_15HIP_vector_typeIjLj2EENS0_17counting_iteratorIjlEEPS9_SG_NS0_5tupleIJPjSI_NS0_16reverse_iteratorISI_EEEEENSH_IJSG_SG_SG_EEES9_SI_JZNS1_25segmented_radix_sort_implINS0_14default_configELb1EPKaPaPKlPlN2at6native12_GLOBAL__N_18offset_tEEE10hipError_tPvRmT1_PNSt15iterator_traitsIS12_E10value_typeET2_T3_PNS13_IS18_E10value_typeET4_jRbjT5_S1E_jjP12ihipStream_tbEUljE_ZNSN_ISO_Lb1ESQ_SR_ST_SU_SY_EESZ_S10_S11_S12_S16_S17_S18_S1B_S1C_jS1D_jS1E_S1E_jjS1G_bEUljE0_EEESZ_S10_S11_S18_S1C_S1E_T6_T7_T9_mT8_S1G_bDpT10_ENKUlT_T0_E_clISt17integral_constantIbLb1EES1T_IbLb0EEEEDaS1P_S1Q_EUlS1P_E_NS1_11comp_targetILNS1_3genE0ELNS1_11target_archE4294967295ELNS1_3gpuE0ELNS1_3repE0EEENS1_30default_config_static_selectorELNS0_4arch9wavefront6targetE0EEEvS12_
    .private_segment_fixed_size: 0
    .sgpr_count:     0
    .sgpr_spill_count: 0
    .symbol:         _ZN7rocprim17ROCPRIM_400000_NS6detail17trampoline_kernelINS0_13select_configILj256ELj13ELNS0_17block_load_methodE3ELS4_3ELS4_3ELNS0_20block_scan_algorithmE0ELj4294967295EEENS1_25partition_config_selectorILNS1_17partition_subalgoE4EjNS0_10empty_typeEbEEZZNS1_14partition_implILS8_4ELb0ES6_15HIP_vector_typeIjLj2EENS0_17counting_iteratorIjlEEPS9_SG_NS0_5tupleIJPjSI_NS0_16reverse_iteratorISI_EEEEENSH_IJSG_SG_SG_EEES9_SI_JZNS1_25segmented_radix_sort_implINS0_14default_configELb1EPKaPaPKlPlN2at6native12_GLOBAL__N_18offset_tEEE10hipError_tPvRmT1_PNSt15iterator_traitsIS12_E10value_typeET2_T3_PNS13_IS18_E10value_typeET4_jRbjT5_S1E_jjP12ihipStream_tbEUljE_ZNSN_ISO_Lb1ESQ_SR_ST_SU_SY_EESZ_S10_S11_S12_S16_S17_S18_S1B_S1C_jS1D_jS1E_S1E_jjS1G_bEUljE0_EEESZ_S10_S11_S18_S1C_S1E_T6_T7_T9_mT8_S1G_bDpT10_ENKUlT_T0_E_clISt17integral_constantIbLb1EES1T_IbLb0EEEEDaS1P_S1Q_EUlS1P_E_NS1_11comp_targetILNS1_3genE0ELNS1_11target_archE4294967295ELNS1_3gpuE0ELNS1_3repE0EEENS1_30default_config_static_selectorELNS0_4arch9wavefront6targetE0EEEvS12_.kd
    .uniform_work_group_size: 1
    .uses_dynamic_stack: false
    .vgpr_count:     0
    .vgpr_spill_count: 0
    .wavefront_size: 32
    .workgroup_processor_mode: 1
  - .args:
      - .offset:         0
        .size:           176
        .value_kind:     by_value
    .group_segment_fixed_size: 0
    .kernarg_segment_align: 8
    .kernarg_segment_size: 176
    .language:       OpenCL C
    .language_version:
      - 2
      - 0
    .max_flat_workgroup_size: 256
    .name:           _ZN7rocprim17ROCPRIM_400000_NS6detail17trampoline_kernelINS0_13select_configILj256ELj13ELNS0_17block_load_methodE3ELS4_3ELS4_3ELNS0_20block_scan_algorithmE0ELj4294967295EEENS1_25partition_config_selectorILNS1_17partition_subalgoE4EjNS0_10empty_typeEbEEZZNS1_14partition_implILS8_4ELb0ES6_15HIP_vector_typeIjLj2EENS0_17counting_iteratorIjlEEPS9_SG_NS0_5tupleIJPjSI_NS0_16reverse_iteratorISI_EEEEENSH_IJSG_SG_SG_EEES9_SI_JZNS1_25segmented_radix_sort_implINS0_14default_configELb1EPKaPaPKlPlN2at6native12_GLOBAL__N_18offset_tEEE10hipError_tPvRmT1_PNSt15iterator_traitsIS12_E10value_typeET2_T3_PNS13_IS18_E10value_typeET4_jRbjT5_S1E_jjP12ihipStream_tbEUljE_ZNSN_ISO_Lb1ESQ_SR_ST_SU_SY_EESZ_S10_S11_S12_S16_S17_S18_S1B_S1C_jS1D_jS1E_S1E_jjS1G_bEUljE0_EEESZ_S10_S11_S18_S1C_S1E_T6_T7_T9_mT8_S1G_bDpT10_ENKUlT_T0_E_clISt17integral_constantIbLb1EES1T_IbLb0EEEEDaS1P_S1Q_EUlS1P_E_NS1_11comp_targetILNS1_3genE5ELNS1_11target_archE942ELNS1_3gpuE9ELNS1_3repE0EEENS1_30default_config_static_selectorELNS0_4arch9wavefront6targetE0EEEvS12_
    .private_segment_fixed_size: 0
    .sgpr_count:     0
    .sgpr_spill_count: 0
    .symbol:         _ZN7rocprim17ROCPRIM_400000_NS6detail17trampoline_kernelINS0_13select_configILj256ELj13ELNS0_17block_load_methodE3ELS4_3ELS4_3ELNS0_20block_scan_algorithmE0ELj4294967295EEENS1_25partition_config_selectorILNS1_17partition_subalgoE4EjNS0_10empty_typeEbEEZZNS1_14partition_implILS8_4ELb0ES6_15HIP_vector_typeIjLj2EENS0_17counting_iteratorIjlEEPS9_SG_NS0_5tupleIJPjSI_NS0_16reverse_iteratorISI_EEEEENSH_IJSG_SG_SG_EEES9_SI_JZNS1_25segmented_radix_sort_implINS0_14default_configELb1EPKaPaPKlPlN2at6native12_GLOBAL__N_18offset_tEEE10hipError_tPvRmT1_PNSt15iterator_traitsIS12_E10value_typeET2_T3_PNS13_IS18_E10value_typeET4_jRbjT5_S1E_jjP12ihipStream_tbEUljE_ZNSN_ISO_Lb1ESQ_SR_ST_SU_SY_EESZ_S10_S11_S12_S16_S17_S18_S1B_S1C_jS1D_jS1E_S1E_jjS1G_bEUljE0_EEESZ_S10_S11_S18_S1C_S1E_T6_T7_T9_mT8_S1G_bDpT10_ENKUlT_T0_E_clISt17integral_constantIbLb1EES1T_IbLb0EEEEDaS1P_S1Q_EUlS1P_E_NS1_11comp_targetILNS1_3genE5ELNS1_11target_archE942ELNS1_3gpuE9ELNS1_3repE0EEENS1_30default_config_static_selectorELNS0_4arch9wavefront6targetE0EEEvS12_.kd
    .uniform_work_group_size: 1
    .uses_dynamic_stack: false
    .vgpr_count:     0
    .vgpr_spill_count: 0
    .wavefront_size: 32
    .workgroup_processor_mode: 1
  - .args:
      - .offset:         0
        .size:           176
        .value_kind:     by_value
    .group_segment_fixed_size: 0
    .kernarg_segment_align: 8
    .kernarg_segment_size: 176
    .language:       OpenCL C
    .language_version:
      - 2
      - 0
    .max_flat_workgroup_size: 256
    .name:           _ZN7rocprim17ROCPRIM_400000_NS6detail17trampoline_kernelINS0_13select_configILj256ELj13ELNS0_17block_load_methodE3ELS4_3ELS4_3ELNS0_20block_scan_algorithmE0ELj4294967295EEENS1_25partition_config_selectorILNS1_17partition_subalgoE4EjNS0_10empty_typeEbEEZZNS1_14partition_implILS8_4ELb0ES6_15HIP_vector_typeIjLj2EENS0_17counting_iteratorIjlEEPS9_SG_NS0_5tupleIJPjSI_NS0_16reverse_iteratorISI_EEEEENSH_IJSG_SG_SG_EEES9_SI_JZNS1_25segmented_radix_sort_implINS0_14default_configELb1EPKaPaPKlPlN2at6native12_GLOBAL__N_18offset_tEEE10hipError_tPvRmT1_PNSt15iterator_traitsIS12_E10value_typeET2_T3_PNS13_IS18_E10value_typeET4_jRbjT5_S1E_jjP12ihipStream_tbEUljE_ZNSN_ISO_Lb1ESQ_SR_ST_SU_SY_EESZ_S10_S11_S12_S16_S17_S18_S1B_S1C_jS1D_jS1E_S1E_jjS1G_bEUljE0_EEESZ_S10_S11_S18_S1C_S1E_T6_T7_T9_mT8_S1G_bDpT10_ENKUlT_T0_E_clISt17integral_constantIbLb1EES1T_IbLb0EEEEDaS1P_S1Q_EUlS1P_E_NS1_11comp_targetILNS1_3genE4ELNS1_11target_archE910ELNS1_3gpuE8ELNS1_3repE0EEENS1_30default_config_static_selectorELNS0_4arch9wavefront6targetE0EEEvS12_
    .private_segment_fixed_size: 0
    .sgpr_count:     0
    .sgpr_spill_count: 0
    .symbol:         _ZN7rocprim17ROCPRIM_400000_NS6detail17trampoline_kernelINS0_13select_configILj256ELj13ELNS0_17block_load_methodE3ELS4_3ELS4_3ELNS0_20block_scan_algorithmE0ELj4294967295EEENS1_25partition_config_selectorILNS1_17partition_subalgoE4EjNS0_10empty_typeEbEEZZNS1_14partition_implILS8_4ELb0ES6_15HIP_vector_typeIjLj2EENS0_17counting_iteratorIjlEEPS9_SG_NS0_5tupleIJPjSI_NS0_16reverse_iteratorISI_EEEEENSH_IJSG_SG_SG_EEES9_SI_JZNS1_25segmented_radix_sort_implINS0_14default_configELb1EPKaPaPKlPlN2at6native12_GLOBAL__N_18offset_tEEE10hipError_tPvRmT1_PNSt15iterator_traitsIS12_E10value_typeET2_T3_PNS13_IS18_E10value_typeET4_jRbjT5_S1E_jjP12ihipStream_tbEUljE_ZNSN_ISO_Lb1ESQ_SR_ST_SU_SY_EESZ_S10_S11_S12_S16_S17_S18_S1B_S1C_jS1D_jS1E_S1E_jjS1G_bEUljE0_EEESZ_S10_S11_S18_S1C_S1E_T6_T7_T9_mT8_S1G_bDpT10_ENKUlT_T0_E_clISt17integral_constantIbLb1EES1T_IbLb0EEEEDaS1P_S1Q_EUlS1P_E_NS1_11comp_targetILNS1_3genE4ELNS1_11target_archE910ELNS1_3gpuE8ELNS1_3repE0EEENS1_30default_config_static_selectorELNS0_4arch9wavefront6targetE0EEEvS12_.kd
    .uniform_work_group_size: 1
    .uses_dynamic_stack: false
    .vgpr_count:     0
    .vgpr_spill_count: 0
    .wavefront_size: 32
    .workgroup_processor_mode: 1
  - .args:
      - .offset:         0
        .size:           176
        .value_kind:     by_value
    .group_segment_fixed_size: 0
    .kernarg_segment_align: 8
    .kernarg_segment_size: 176
    .language:       OpenCL C
    .language_version:
      - 2
      - 0
    .max_flat_workgroup_size: 256
    .name:           _ZN7rocprim17ROCPRIM_400000_NS6detail17trampoline_kernelINS0_13select_configILj256ELj13ELNS0_17block_load_methodE3ELS4_3ELS4_3ELNS0_20block_scan_algorithmE0ELj4294967295EEENS1_25partition_config_selectorILNS1_17partition_subalgoE4EjNS0_10empty_typeEbEEZZNS1_14partition_implILS8_4ELb0ES6_15HIP_vector_typeIjLj2EENS0_17counting_iteratorIjlEEPS9_SG_NS0_5tupleIJPjSI_NS0_16reverse_iteratorISI_EEEEENSH_IJSG_SG_SG_EEES9_SI_JZNS1_25segmented_radix_sort_implINS0_14default_configELb1EPKaPaPKlPlN2at6native12_GLOBAL__N_18offset_tEEE10hipError_tPvRmT1_PNSt15iterator_traitsIS12_E10value_typeET2_T3_PNS13_IS18_E10value_typeET4_jRbjT5_S1E_jjP12ihipStream_tbEUljE_ZNSN_ISO_Lb1ESQ_SR_ST_SU_SY_EESZ_S10_S11_S12_S16_S17_S18_S1B_S1C_jS1D_jS1E_S1E_jjS1G_bEUljE0_EEESZ_S10_S11_S18_S1C_S1E_T6_T7_T9_mT8_S1G_bDpT10_ENKUlT_T0_E_clISt17integral_constantIbLb1EES1T_IbLb0EEEEDaS1P_S1Q_EUlS1P_E_NS1_11comp_targetILNS1_3genE3ELNS1_11target_archE908ELNS1_3gpuE7ELNS1_3repE0EEENS1_30default_config_static_selectorELNS0_4arch9wavefront6targetE0EEEvS12_
    .private_segment_fixed_size: 0
    .sgpr_count:     0
    .sgpr_spill_count: 0
    .symbol:         _ZN7rocprim17ROCPRIM_400000_NS6detail17trampoline_kernelINS0_13select_configILj256ELj13ELNS0_17block_load_methodE3ELS4_3ELS4_3ELNS0_20block_scan_algorithmE0ELj4294967295EEENS1_25partition_config_selectorILNS1_17partition_subalgoE4EjNS0_10empty_typeEbEEZZNS1_14partition_implILS8_4ELb0ES6_15HIP_vector_typeIjLj2EENS0_17counting_iteratorIjlEEPS9_SG_NS0_5tupleIJPjSI_NS0_16reverse_iteratorISI_EEEEENSH_IJSG_SG_SG_EEES9_SI_JZNS1_25segmented_radix_sort_implINS0_14default_configELb1EPKaPaPKlPlN2at6native12_GLOBAL__N_18offset_tEEE10hipError_tPvRmT1_PNSt15iterator_traitsIS12_E10value_typeET2_T3_PNS13_IS18_E10value_typeET4_jRbjT5_S1E_jjP12ihipStream_tbEUljE_ZNSN_ISO_Lb1ESQ_SR_ST_SU_SY_EESZ_S10_S11_S12_S16_S17_S18_S1B_S1C_jS1D_jS1E_S1E_jjS1G_bEUljE0_EEESZ_S10_S11_S18_S1C_S1E_T6_T7_T9_mT8_S1G_bDpT10_ENKUlT_T0_E_clISt17integral_constantIbLb1EES1T_IbLb0EEEEDaS1P_S1Q_EUlS1P_E_NS1_11comp_targetILNS1_3genE3ELNS1_11target_archE908ELNS1_3gpuE7ELNS1_3repE0EEENS1_30default_config_static_selectorELNS0_4arch9wavefront6targetE0EEEvS12_.kd
    .uniform_work_group_size: 1
    .uses_dynamic_stack: false
    .vgpr_count:     0
    .vgpr_spill_count: 0
    .wavefront_size: 32
    .workgroup_processor_mode: 1
  - .args:
      - .offset:         0
        .size:           176
        .value_kind:     by_value
    .group_segment_fixed_size: 0
    .kernarg_segment_align: 8
    .kernarg_segment_size: 176
    .language:       OpenCL C
    .language_version:
      - 2
      - 0
    .max_flat_workgroup_size: 256
    .name:           _ZN7rocprim17ROCPRIM_400000_NS6detail17trampoline_kernelINS0_13select_configILj256ELj13ELNS0_17block_load_methodE3ELS4_3ELS4_3ELNS0_20block_scan_algorithmE0ELj4294967295EEENS1_25partition_config_selectorILNS1_17partition_subalgoE4EjNS0_10empty_typeEbEEZZNS1_14partition_implILS8_4ELb0ES6_15HIP_vector_typeIjLj2EENS0_17counting_iteratorIjlEEPS9_SG_NS0_5tupleIJPjSI_NS0_16reverse_iteratorISI_EEEEENSH_IJSG_SG_SG_EEES9_SI_JZNS1_25segmented_radix_sort_implINS0_14default_configELb1EPKaPaPKlPlN2at6native12_GLOBAL__N_18offset_tEEE10hipError_tPvRmT1_PNSt15iterator_traitsIS12_E10value_typeET2_T3_PNS13_IS18_E10value_typeET4_jRbjT5_S1E_jjP12ihipStream_tbEUljE_ZNSN_ISO_Lb1ESQ_SR_ST_SU_SY_EESZ_S10_S11_S12_S16_S17_S18_S1B_S1C_jS1D_jS1E_S1E_jjS1G_bEUljE0_EEESZ_S10_S11_S18_S1C_S1E_T6_T7_T9_mT8_S1G_bDpT10_ENKUlT_T0_E_clISt17integral_constantIbLb1EES1T_IbLb0EEEEDaS1P_S1Q_EUlS1P_E_NS1_11comp_targetILNS1_3genE2ELNS1_11target_archE906ELNS1_3gpuE6ELNS1_3repE0EEENS1_30default_config_static_selectorELNS0_4arch9wavefront6targetE0EEEvS12_
    .private_segment_fixed_size: 0
    .sgpr_count:     0
    .sgpr_spill_count: 0
    .symbol:         _ZN7rocprim17ROCPRIM_400000_NS6detail17trampoline_kernelINS0_13select_configILj256ELj13ELNS0_17block_load_methodE3ELS4_3ELS4_3ELNS0_20block_scan_algorithmE0ELj4294967295EEENS1_25partition_config_selectorILNS1_17partition_subalgoE4EjNS0_10empty_typeEbEEZZNS1_14partition_implILS8_4ELb0ES6_15HIP_vector_typeIjLj2EENS0_17counting_iteratorIjlEEPS9_SG_NS0_5tupleIJPjSI_NS0_16reverse_iteratorISI_EEEEENSH_IJSG_SG_SG_EEES9_SI_JZNS1_25segmented_radix_sort_implINS0_14default_configELb1EPKaPaPKlPlN2at6native12_GLOBAL__N_18offset_tEEE10hipError_tPvRmT1_PNSt15iterator_traitsIS12_E10value_typeET2_T3_PNS13_IS18_E10value_typeET4_jRbjT5_S1E_jjP12ihipStream_tbEUljE_ZNSN_ISO_Lb1ESQ_SR_ST_SU_SY_EESZ_S10_S11_S12_S16_S17_S18_S1B_S1C_jS1D_jS1E_S1E_jjS1G_bEUljE0_EEESZ_S10_S11_S18_S1C_S1E_T6_T7_T9_mT8_S1G_bDpT10_ENKUlT_T0_E_clISt17integral_constantIbLb1EES1T_IbLb0EEEEDaS1P_S1Q_EUlS1P_E_NS1_11comp_targetILNS1_3genE2ELNS1_11target_archE906ELNS1_3gpuE6ELNS1_3repE0EEENS1_30default_config_static_selectorELNS0_4arch9wavefront6targetE0EEEvS12_.kd
    .uniform_work_group_size: 1
    .uses_dynamic_stack: false
    .vgpr_count:     0
    .vgpr_spill_count: 0
    .wavefront_size: 32
    .workgroup_processor_mode: 1
  - .args:
      - .offset:         0
        .size:           176
        .value_kind:     by_value
    .group_segment_fixed_size: 0
    .kernarg_segment_align: 8
    .kernarg_segment_size: 176
    .language:       OpenCL C
    .language_version:
      - 2
      - 0
    .max_flat_workgroup_size: 256
    .name:           _ZN7rocprim17ROCPRIM_400000_NS6detail17trampoline_kernelINS0_13select_configILj256ELj13ELNS0_17block_load_methodE3ELS4_3ELS4_3ELNS0_20block_scan_algorithmE0ELj4294967295EEENS1_25partition_config_selectorILNS1_17partition_subalgoE4EjNS0_10empty_typeEbEEZZNS1_14partition_implILS8_4ELb0ES6_15HIP_vector_typeIjLj2EENS0_17counting_iteratorIjlEEPS9_SG_NS0_5tupleIJPjSI_NS0_16reverse_iteratorISI_EEEEENSH_IJSG_SG_SG_EEES9_SI_JZNS1_25segmented_radix_sort_implINS0_14default_configELb1EPKaPaPKlPlN2at6native12_GLOBAL__N_18offset_tEEE10hipError_tPvRmT1_PNSt15iterator_traitsIS12_E10value_typeET2_T3_PNS13_IS18_E10value_typeET4_jRbjT5_S1E_jjP12ihipStream_tbEUljE_ZNSN_ISO_Lb1ESQ_SR_ST_SU_SY_EESZ_S10_S11_S12_S16_S17_S18_S1B_S1C_jS1D_jS1E_S1E_jjS1G_bEUljE0_EEESZ_S10_S11_S18_S1C_S1E_T6_T7_T9_mT8_S1G_bDpT10_ENKUlT_T0_E_clISt17integral_constantIbLb1EES1T_IbLb0EEEEDaS1P_S1Q_EUlS1P_E_NS1_11comp_targetILNS1_3genE10ELNS1_11target_archE1200ELNS1_3gpuE4ELNS1_3repE0EEENS1_30default_config_static_selectorELNS0_4arch9wavefront6targetE0EEEvS12_
    .private_segment_fixed_size: 0
    .sgpr_count:     0
    .sgpr_spill_count: 0
    .symbol:         _ZN7rocprim17ROCPRIM_400000_NS6detail17trampoline_kernelINS0_13select_configILj256ELj13ELNS0_17block_load_methodE3ELS4_3ELS4_3ELNS0_20block_scan_algorithmE0ELj4294967295EEENS1_25partition_config_selectorILNS1_17partition_subalgoE4EjNS0_10empty_typeEbEEZZNS1_14partition_implILS8_4ELb0ES6_15HIP_vector_typeIjLj2EENS0_17counting_iteratorIjlEEPS9_SG_NS0_5tupleIJPjSI_NS0_16reverse_iteratorISI_EEEEENSH_IJSG_SG_SG_EEES9_SI_JZNS1_25segmented_radix_sort_implINS0_14default_configELb1EPKaPaPKlPlN2at6native12_GLOBAL__N_18offset_tEEE10hipError_tPvRmT1_PNSt15iterator_traitsIS12_E10value_typeET2_T3_PNS13_IS18_E10value_typeET4_jRbjT5_S1E_jjP12ihipStream_tbEUljE_ZNSN_ISO_Lb1ESQ_SR_ST_SU_SY_EESZ_S10_S11_S12_S16_S17_S18_S1B_S1C_jS1D_jS1E_S1E_jjS1G_bEUljE0_EEESZ_S10_S11_S18_S1C_S1E_T6_T7_T9_mT8_S1G_bDpT10_ENKUlT_T0_E_clISt17integral_constantIbLb1EES1T_IbLb0EEEEDaS1P_S1Q_EUlS1P_E_NS1_11comp_targetILNS1_3genE10ELNS1_11target_archE1200ELNS1_3gpuE4ELNS1_3repE0EEENS1_30default_config_static_selectorELNS0_4arch9wavefront6targetE0EEEvS12_.kd
    .uniform_work_group_size: 1
    .uses_dynamic_stack: false
    .vgpr_count:     0
    .vgpr_spill_count: 0
    .wavefront_size: 32
    .workgroup_processor_mode: 1
  - .args:
      - .offset:         0
        .size:           176
        .value_kind:     by_value
    .group_segment_fixed_size: 0
    .kernarg_segment_align: 8
    .kernarg_segment_size: 176
    .language:       OpenCL C
    .language_version:
      - 2
      - 0
    .max_flat_workgroup_size: 256
    .name:           _ZN7rocprim17ROCPRIM_400000_NS6detail17trampoline_kernelINS0_13select_configILj256ELj13ELNS0_17block_load_methodE3ELS4_3ELS4_3ELNS0_20block_scan_algorithmE0ELj4294967295EEENS1_25partition_config_selectorILNS1_17partition_subalgoE4EjNS0_10empty_typeEbEEZZNS1_14partition_implILS8_4ELb0ES6_15HIP_vector_typeIjLj2EENS0_17counting_iteratorIjlEEPS9_SG_NS0_5tupleIJPjSI_NS0_16reverse_iteratorISI_EEEEENSH_IJSG_SG_SG_EEES9_SI_JZNS1_25segmented_radix_sort_implINS0_14default_configELb1EPKaPaPKlPlN2at6native12_GLOBAL__N_18offset_tEEE10hipError_tPvRmT1_PNSt15iterator_traitsIS12_E10value_typeET2_T3_PNS13_IS18_E10value_typeET4_jRbjT5_S1E_jjP12ihipStream_tbEUljE_ZNSN_ISO_Lb1ESQ_SR_ST_SU_SY_EESZ_S10_S11_S12_S16_S17_S18_S1B_S1C_jS1D_jS1E_S1E_jjS1G_bEUljE0_EEESZ_S10_S11_S18_S1C_S1E_T6_T7_T9_mT8_S1G_bDpT10_ENKUlT_T0_E_clISt17integral_constantIbLb1EES1T_IbLb0EEEEDaS1P_S1Q_EUlS1P_E_NS1_11comp_targetILNS1_3genE9ELNS1_11target_archE1100ELNS1_3gpuE3ELNS1_3repE0EEENS1_30default_config_static_selectorELNS0_4arch9wavefront6targetE0EEEvS12_
    .private_segment_fixed_size: 0
    .sgpr_count:     0
    .sgpr_spill_count: 0
    .symbol:         _ZN7rocprim17ROCPRIM_400000_NS6detail17trampoline_kernelINS0_13select_configILj256ELj13ELNS0_17block_load_methodE3ELS4_3ELS4_3ELNS0_20block_scan_algorithmE0ELj4294967295EEENS1_25partition_config_selectorILNS1_17partition_subalgoE4EjNS0_10empty_typeEbEEZZNS1_14partition_implILS8_4ELb0ES6_15HIP_vector_typeIjLj2EENS0_17counting_iteratorIjlEEPS9_SG_NS0_5tupleIJPjSI_NS0_16reverse_iteratorISI_EEEEENSH_IJSG_SG_SG_EEES9_SI_JZNS1_25segmented_radix_sort_implINS0_14default_configELb1EPKaPaPKlPlN2at6native12_GLOBAL__N_18offset_tEEE10hipError_tPvRmT1_PNSt15iterator_traitsIS12_E10value_typeET2_T3_PNS13_IS18_E10value_typeET4_jRbjT5_S1E_jjP12ihipStream_tbEUljE_ZNSN_ISO_Lb1ESQ_SR_ST_SU_SY_EESZ_S10_S11_S12_S16_S17_S18_S1B_S1C_jS1D_jS1E_S1E_jjS1G_bEUljE0_EEESZ_S10_S11_S18_S1C_S1E_T6_T7_T9_mT8_S1G_bDpT10_ENKUlT_T0_E_clISt17integral_constantIbLb1EES1T_IbLb0EEEEDaS1P_S1Q_EUlS1P_E_NS1_11comp_targetILNS1_3genE9ELNS1_11target_archE1100ELNS1_3gpuE3ELNS1_3repE0EEENS1_30default_config_static_selectorELNS0_4arch9wavefront6targetE0EEEvS12_.kd
    .uniform_work_group_size: 1
    .uses_dynamic_stack: false
    .vgpr_count:     0
    .vgpr_spill_count: 0
    .wavefront_size: 32
    .workgroup_processor_mode: 1
  - .args:
      - .offset:         0
        .size:           176
        .value_kind:     by_value
    .group_segment_fixed_size: 0
    .kernarg_segment_align: 8
    .kernarg_segment_size: 176
    .language:       OpenCL C
    .language_version:
      - 2
      - 0
    .max_flat_workgroup_size: 256
    .name:           _ZN7rocprim17ROCPRIM_400000_NS6detail17trampoline_kernelINS0_13select_configILj256ELj13ELNS0_17block_load_methodE3ELS4_3ELS4_3ELNS0_20block_scan_algorithmE0ELj4294967295EEENS1_25partition_config_selectorILNS1_17partition_subalgoE4EjNS0_10empty_typeEbEEZZNS1_14partition_implILS8_4ELb0ES6_15HIP_vector_typeIjLj2EENS0_17counting_iteratorIjlEEPS9_SG_NS0_5tupleIJPjSI_NS0_16reverse_iteratorISI_EEEEENSH_IJSG_SG_SG_EEES9_SI_JZNS1_25segmented_radix_sort_implINS0_14default_configELb1EPKaPaPKlPlN2at6native12_GLOBAL__N_18offset_tEEE10hipError_tPvRmT1_PNSt15iterator_traitsIS12_E10value_typeET2_T3_PNS13_IS18_E10value_typeET4_jRbjT5_S1E_jjP12ihipStream_tbEUljE_ZNSN_ISO_Lb1ESQ_SR_ST_SU_SY_EESZ_S10_S11_S12_S16_S17_S18_S1B_S1C_jS1D_jS1E_S1E_jjS1G_bEUljE0_EEESZ_S10_S11_S18_S1C_S1E_T6_T7_T9_mT8_S1G_bDpT10_ENKUlT_T0_E_clISt17integral_constantIbLb1EES1T_IbLb0EEEEDaS1P_S1Q_EUlS1P_E_NS1_11comp_targetILNS1_3genE8ELNS1_11target_archE1030ELNS1_3gpuE2ELNS1_3repE0EEENS1_30default_config_static_selectorELNS0_4arch9wavefront6targetE0EEEvS12_
    .private_segment_fixed_size: 0
    .sgpr_count:     0
    .sgpr_spill_count: 0
    .symbol:         _ZN7rocprim17ROCPRIM_400000_NS6detail17trampoline_kernelINS0_13select_configILj256ELj13ELNS0_17block_load_methodE3ELS4_3ELS4_3ELNS0_20block_scan_algorithmE0ELj4294967295EEENS1_25partition_config_selectorILNS1_17partition_subalgoE4EjNS0_10empty_typeEbEEZZNS1_14partition_implILS8_4ELb0ES6_15HIP_vector_typeIjLj2EENS0_17counting_iteratorIjlEEPS9_SG_NS0_5tupleIJPjSI_NS0_16reverse_iteratorISI_EEEEENSH_IJSG_SG_SG_EEES9_SI_JZNS1_25segmented_radix_sort_implINS0_14default_configELb1EPKaPaPKlPlN2at6native12_GLOBAL__N_18offset_tEEE10hipError_tPvRmT1_PNSt15iterator_traitsIS12_E10value_typeET2_T3_PNS13_IS18_E10value_typeET4_jRbjT5_S1E_jjP12ihipStream_tbEUljE_ZNSN_ISO_Lb1ESQ_SR_ST_SU_SY_EESZ_S10_S11_S12_S16_S17_S18_S1B_S1C_jS1D_jS1E_S1E_jjS1G_bEUljE0_EEESZ_S10_S11_S18_S1C_S1E_T6_T7_T9_mT8_S1G_bDpT10_ENKUlT_T0_E_clISt17integral_constantIbLb1EES1T_IbLb0EEEEDaS1P_S1Q_EUlS1P_E_NS1_11comp_targetILNS1_3genE8ELNS1_11target_archE1030ELNS1_3gpuE2ELNS1_3repE0EEENS1_30default_config_static_selectorELNS0_4arch9wavefront6targetE0EEEvS12_.kd
    .uniform_work_group_size: 1
    .uses_dynamic_stack: false
    .vgpr_count:     0
    .vgpr_spill_count: 0
    .wavefront_size: 32
    .workgroup_processor_mode: 1
  - .args:
      - .offset:         0
        .size:           184
        .value_kind:     by_value
    .group_segment_fixed_size: 0
    .kernarg_segment_align: 8
    .kernarg_segment_size: 184
    .language:       OpenCL C
    .language_version:
      - 2
      - 0
    .max_flat_workgroup_size: 256
    .name:           _ZN7rocprim17ROCPRIM_400000_NS6detail17trampoline_kernelINS0_13select_configILj256ELj13ELNS0_17block_load_methodE3ELS4_3ELS4_3ELNS0_20block_scan_algorithmE0ELj4294967295EEENS1_25partition_config_selectorILNS1_17partition_subalgoE4EjNS0_10empty_typeEbEEZZNS1_14partition_implILS8_4ELb0ES6_15HIP_vector_typeIjLj2EENS0_17counting_iteratorIjlEEPS9_SG_NS0_5tupleIJPjSI_NS0_16reverse_iteratorISI_EEEEENSH_IJSG_SG_SG_EEES9_SI_JZNS1_25segmented_radix_sort_implINS0_14default_configELb1EPKaPaPKlPlN2at6native12_GLOBAL__N_18offset_tEEE10hipError_tPvRmT1_PNSt15iterator_traitsIS12_E10value_typeET2_T3_PNS13_IS18_E10value_typeET4_jRbjT5_S1E_jjP12ihipStream_tbEUljE_ZNSN_ISO_Lb1ESQ_SR_ST_SU_SY_EESZ_S10_S11_S12_S16_S17_S18_S1B_S1C_jS1D_jS1E_S1E_jjS1G_bEUljE0_EEESZ_S10_S11_S18_S1C_S1E_T6_T7_T9_mT8_S1G_bDpT10_ENKUlT_T0_E_clISt17integral_constantIbLb0EES1T_IbLb1EEEEDaS1P_S1Q_EUlS1P_E_NS1_11comp_targetILNS1_3genE0ELNS1_11target_archE4294967295ELNS1_3gpuE0ELNS1_3repE0EEENS1_30default_config_static_selectorELNS0_4arch9wavefront6targetE0EEEvS12_
    .private_segment_fixed_size: 0
    .sgpr_count:     0
    .sgpr_spill_count: 0
    .symbol:         _ZN7rocprim17ROCPRIM_400000_NS6detail17trampoline_kernelINS0_13select_configILj256ELj13ELNS0_17block_load_methodE3ELS4_3ELS4_3ELNS0_20block_scan_algorithmE0ELj4294967295EEENS1_25partition_config_selectorILNS1_17partition_subalgoE4EjNS0_10empty_typeEbEEZZNS1_14partition_implILS8_4ELb0ES6_15HIP_vector_typeIjLj2EENS0_17counting_iteratorIjlEEPS9_SG_NS0_5tupleIJPjSI_NS0_16reverse_iteratorISI_EEEEENSH_IJSG_SG_SG_EEES9_SI_JZNS1_25segmented_radix_sort_implINS0_14default_configELb1EPKaPaPKlPlN2at6native12_GLOBAL__N_18offset_tEEE10hipError_tPvRmT1_PNSt15iterator_traitsIS12_E10value_typeET2_T3_PNS13_IS18_E10value_typeET4_jRbjT5_S1E_jjP12ihipStream_tbEUljE_ZNSN_ISO_Lb1ESQ_SR_ST_SU_SY_EESZ_S10_S11_S12_S16_S17_S18_S1B_S1C_jS1D_jS1E_S1E_jjS1G_bEUljE0_EEESZ_S10_S11_S18_S1C_S1E_T6_T7_T9_mT8_S1G_bDpT10_ENKUlT_T0_E_clISt17integral_constantIbLb0EES1T_IbLb1EEEEDaS1P_S1Q_EUlS1P_E_NS1_11comp_targetILNS1_3genE0ELNS1_11target_archE4294967295ELNS1_3gpuE0ELNS1_3repE0EEENS1_30default_config_static_selectorELNS0_4arch9wavefront6targetE0EEEvS12_.kd
    .uniform_work_group_size: 1
    .uses_dynamic_stack: false
    .vgpr_count:     0
    .vgpr_spill_count: 0
    .wavefront_size: 32
    .workgroup_processor_mode: 1
  - .args:
      - .offset:         0
        .size:           184
        .value_kind:     by_value
    .group_segment_fixed_size: 0
    .kernarg_segment_align: 8
    .kernarg_segment_size: 184
    .language:       OpenCL C
    .language_version:
      - 2
      - 0
    .max_flat_workgroup_size: 256
    .name:           _ZN7rocprim17ROCPRIM_400000_NS6detail17trampoline_kernelINS0_13select_configILj256ELj13ELNS0_17block_load_methodE3ELS4_3ELS4_3ELNS0_20block_scan_algorithmE0ELj4294967295EEENS1_25partition_config_selectorILNS1_17partition_subalgoE4EjNS0_10empty_typeEbEEZZNS1_14partition_implILS8_4ELb0ES6_15HIP_vector_typeIjLj2EENS0_17counting_iteratorIjlEEPS9_SG_NS0_5tupleIJPjSI_NS0_16reverse_iteratorISI_EEEEENSH_IJSG_SG_SG_EEES9_SI_JZNS1_25segmented_radix_sort_implINS0_14default_configELb1EPKaPaPKlPlN2at6native12_GLOBAL__N_18offset_tEEE10hipError_tPvRmT1_PNSt15iterator_traitsIS12_E10value_typeET2_T3_PNS13_IS18_E10value_typeET4_jRbjT5_S1E_jjP12ihipStream_tbEUljE_ZNSN_ISO_Lb1ESQ_SR_ST_SU_SY_EESZ_S10_S11_S12_S16_S17_S18_S1B_S1C_jS1D_jS1E_S1E_jjS1G_bEUljE0_EEESZ_S10_S11_S18_S1C_S1E_T6_T7_T9_mT8_S1G_bDpT10_ENKUlT_T0_E_clISt17integral_constantIbLb0EES1T_IbLb1EEEEDaS1P_S1Q_EUlS1P_E_NS1_11comp_targetILNS1_3genE5ELNS1_11target_archE942ELNS1_3gpuE9ELNS1_3repE0EEENS1_30default_config_static_selectorELNS0_4arch9wavefront6targetE0EEEvS12_
    .private_segment_fixed_size: 0
    .sgpr_count:     0
    .sgpr_spill_count: 0
    .symbol:         _ZN7rocprim17ROCPRIM_400000_NS6detail17trampoline_kernelINS0_13select_configILj256ELj13ELNS0_17block_load_methodE3ELS4_3ELS4_3ELNS0_20block_scan_algorithmE0ELj4294967295EEENS1_25partition_config_selectorILNS1_17partition_subalgoE4EjNS0_10empty_typeEbEEZZNS1_14partition_implILS8_4ELb0ES6_15HIP_vector_typeIjLj2EENS0_17counting_iteratorIjlEEPS9_SG_NS0_5tupleIJPjSI_NS0_16reverse_iteratorISI_EEEEENSH_IJSG_SG_SG_EEES9_SI_JZNS1_25segmented_radix_sort_implINS0_14default_configELb1EPKaPaPKlPlN2at6native12_GLOBAL__N_18offset_tEEE10hipError_tPvRmT1_PNSt15iterator_traitsIS12_E10value_typeET2_T3_PNS13_IS18_E10value_typeET4_jRbjT5_S1E_jjP12ihipStream_tbEUljE_ZNSN_ISO_Lb1ESQ_SR_ST_SU_SY_EESZ_S10_S11_S12_S16_S17_S18_S1B_S1C_jS1D_jS1E_S1E_jjS1G_bEUljE0_EEESZ_S10_S11_S18_S1C_S1E_T6_T7_T9_mT8_S1G_bDpT10_ENKUlT_T0_E_clISt17integral_constantIbLb0EES1T_IbLb1EEEEDaS1P_S1Q_EUlS1P_E_NS1_11comp_targetILNS1_3genE5ELNS1_11target_archE942ELNS1_3gpuE9ELNS1_3repE0EEENS1_30default_config_static_selectorELNS0_4arch9wavefront6targetE0EEEvS12_.kd
    .uniform_work_group_size: 1
    .uses_dynamic_stack: false
    .vgpr_count:     0
    .vgpr_spill_count: 0
    .wavefront_size: 32
    .workgroup_processor_mode: 1
  - .args:
      - .offset:         0
        .size:           184
        .value_kind:     by_value
    .group_segment_fixed_size: 0
    .kernarg_segment_align: 8
    .kernarg_segment_size: 184
    .language:       OpenCL C
    .language_version:
      - 2
      - 0
    .max_flat_workgroup_size: 256
    .name:           _ZN7rocprim17ROCPRIM_400000_NS6detail17trampoline_kernelINS0_13select_configILj256ELj13ELNS0_17block_load_methodE3ELS4_3ELS4_3ELNS0_20block_scan_algorithmE0ELj4294967295EEENS1_25partition_config_selectorILNS1_17partition_subalgoE4EjNS0_10empty_typeEbEEZZNS1_14partition_implILS8_4ELb0ES6_15HIP_vector_typeIjLj2EENS0_17counting_iteratorIjlEEPS9_SG_NS0_5tupleIJPjSI_NS0_16reverse_iteratorISI_EEEEENSH_IJSG_SG_SG_EEES9_SI_JZNS1_25segmented_radix_sort_implINS0_14default_configELb1EPKaPaPKlPlN2at6native12_GLOBAL__N_18offset_tEEE10hipError_tPvRmT1_PNSt15iterator_traitsIS12_E10value_typeET2_T3_PNS13_IS18_E10value_typeET4_jRbjT5_S1E_jjP12ihipStream_tbEUljE_ZNSN_ISO_Lb1ESQ_SR_ST_SU_SY_EESZ_S10_S11_S12_S16_S17_S18_S1B_S1C_jS1D_jS1E_S1E_jjS1G_bEUljE0_EEESZ_S10_S11_S18_S1C_S1E_T6_T7_T9_mT8_S1G_bDpT10_ENKUlT_T0_E_clISt17integral_constantIbLb0EES1T_IbLb1EEEEDaS1P_S1Q_EUlS1P_E_NS1_11comp_targetILNS1_3genE4ELNS1_11target_archE910ELNS1_3gpuE8ELNS1_3repE0EEENS1_30default_config_static_selectorELNS0_4arch9wavefront6targetE0EEEvS12_
    .private_segment_fixed_size: 0
    .sgpr_count:     0
    .sgpr_spill_count: 0
    .symbol:         _ZN7rocprim17ROCPRIM_400000_NS6detail17trampoline_kernelINS0_13select_configILj256ELj13ELNS0_17block_load_methodE3ELS4_3ELS4_3ELNS0_20block_scan_algorithmE0ELj4294967295EEENS1_25partition_config_selectorILNS1_17partition_subalgoE4EjNS0_10empty_typeEbEEZZNS1_14partition_implILS8_4ELb0ES6_15HIP_vector_typeIjLj2EENS0_17counting_iteratorIjlEEPS9_SG_NS0_5tupleIJPjSI_NS0_16reverse_iteratorISI_EEEEENSH_IJSG_SG_SG_EEES9_SI_JZNS1_25segmented_radix_sort_implINS0_14default_configELb1EPKaPaPKlPlN2at6native12_GLOBAL__N_18offset_tEEE10hipError_tPvRmT1_PNSt15iterator_traitsIS12_E10value_typeET2_T3_PNS13_IS18_E10value_typeET4_jRbjT5_S1E_jjP12ihipStream_tbEUljE_ZNSN_ISO_Lb1ESQ_SR_ST_SU_SY_EESZ_S10_S11_S12_S16_S17_S18_S1B_S1C_jS1D_jS1E_S1E_jjS1G_bEUljE0_EEESZ_S10_S11_S18_S1C_S1E_T6_T7_T9_mT8_S1G_bDpT10_ENKUlT_T0_E_clISt17integral_constantIbLb0EES1T_IbLb1EEEEDaS1P_S1Q_EUlS1P_E_NS1_11comp_targetILNS1_3genE4ELNS1_11target_archE910ELNS1_3gpuE8ELNS1_3repE0EEENS1_30default_config_static_selectorELNS0_4arch9wavefront6targetE0EEEvS12_.kd
    .uniform_work_group_size: 1
    .uses_dynamic_stack: false
    .vgpr_count:     0
    .vgpr_spill_count: 0
    .wavefront_size: 32
    .workgroup_processor_mode: 1
  - .args:
      - .offset:         0
        .size:           184
        .value_kind:     by_value
    .group_segment_fixed_size: 0
    .kernarg_segment_align: 8
    .kernarg_segment_size: 184
    .language:       OpenCL C
    .language_version:
      - 2
      - 0
    .max_flat_workgroup_size: 256
    .name:           _ZN7rocprim17ROCPRIM_400000_NS6detail17trampoline_kernelINS0_13select_configILj256ELj13ELNS0_17block_load_methodE3ELS4_3ELS4_3ELNS0_20block_scan_algorithmE0ELj4294967295EEENS1_25partition_config_selectorILNS1_17partition_subalgoE4EjNS0_10empty_typeEbEEZZNS1_14partition_implILS8_4ELb0ES6_15HIP_vector_typeIjLj2EENS0_17counting_iteratorIjlEEPS9_SG_NS0_5tupleIJPjSI_NS0_16reverse_iteratorISI_EEEEENSH_IJSG_SG_SG_EEES9_SI_JZNS1_25segmented_radix_sort_implINS0_14default_configELb1EPKaPaPKlPlN2at6native12_GLOBAL__N_18offset_tEEE10hipError_tPvRmT1_PNSt15iterator_traitsIS12_E10value_typeET2_T3_PNS13_IS18_E10value_typeET4_jRbjT5_S1E_jjP12ihipStream_tbEUljE_ZNSN_ISO_Lb1ESQ_SR_ST_SU_SY_EESZ_S10_S11_S12_S16_S17_S18_S1B_S1C_jS1D_jS1E_S1E_jjS1G_bEUljE0_EEESZ_S10_S11_S18_S1C_S1E_T6_T7_T9_mT8_S1G_bDpT10_ENKUlT_T0_E_clISt17integral_constantIbLb0EES1T_IbLb1EEEEDaS1P_S1Q_EUlS1P_E_NS1_11comp_targetILNS1_3genE3ELNS1_11target_archE908ELNS1_3gpuE7ELNS1_3repE0EEENS1_30default_config_static_selectorELNS0_4arch9wavefront6targetE0EEEvS12_
    .private_segment_fixed_size: 0
    .sgpr_count:     0
    .sgpr_spill_count: 0
    .symbol:         _ZN7rocprim17ROCPRIM_400000_NS6detail17trampoline_kernelINS0_13select_configILj256ELj13ELNS0_17block_load_methodE3ELS4_3ELS4_3ELNS0_20block_scan_algorithmE0ELj4294967295EEENS1_25partition_config_selectorILNS1_17partition_subalgoE4EjNS0_10empty_typeEbEEZZNS1_14partition_implILS8_4ELb0ES6_15HIP_vector_typeIjLj2EENS0_17counting_iteratorIjlEEPS9_SG_NS0_5tupleIJPjSI_NS0_16reverse_iteratorISI_EEEEENSH_IJSG_SG_SG_EEES9_SI_JZNS1_25segmented_radix_sort_implINS0_14default_configELb1EPKaPaPKlPlN2at6native12_GLOBAL__N_18offset_tEEE10hipError_tPvRmT1_PNSt15iterator_traitsIS12_E10value_typeET2_T3_PNS13_IS18_E10value_typeET4_jRbjT5_S1E_jjP12ihipStream_tbEUljE_ZNSN_ISO_Lb1ESQ_SR_ST_SU_SY_EESZ_S10_S11_S12_S16_S17_S18_S1B_S1C_jS1D_jS1E_S1E_jjS1G_bEUljE0_EEESZ_S10_S11_S18_S1C_S1E_T6_T7_T9_mT8_S1G_bDpT10_ENKUlT_T0_E_clISt17integral_constantIbLb0EES1T_IbLb1EEEEDaS1P_S1Q_EUlS1P_E_NS1_11comp_targetILNS1_3genE3ELNS1_11target_archE908ELNS1_3gpuE7ELNS1_3repE0EEENS1_30default_config_static_selectorELNS0_4arch9wavefront6targetE0EEEvS12_.kd
    .uniform_work_group_size: 1
    .uses_dynamic_stack: false
    .vgpr_count:     0
    .vgpr_spill_count: 0
    .wavefront_size: 32
    .workgroup_processor_mode: 1
  - .args:
      - .offset:         0
        .size:           184
        .value_kind:     by_value
    .group_segment_fixed_size: 0
    .kernarg_segment_align: 8
    .kernarg_segment_size: 184
    .language:       OpenCL C
    .language_version:
      - 2
      - 0
    .max_flat_workgroup_size: 256
    .name:           _ZN7rocprim17ROCPRIM_400000_NS6detail17trampoline_kernelINS0_13select_configILj256ELj13ELNS0_17block_load_methodE3ELS4_3ELS4_3ELNS0_20block_scan_algorithmE0ELj4294967295EEENS1_25partition_config_selectorILNS1_17partition_subalgoE4EjNS0_10empty_typeEbEEZZNS1_14partition_implILS8_4ELb0ES6_15HIP_vector_typeIjLj2EENS0_17counting_iteratorIjlEEPS9_SG_NS0_5tupleIJPjSI_NS0_16reverse_iteratorISI_EEEEENSH_IJSG_SG_SG_EEES9_SI_JZNS1_25segmented_radix_sort_implINS0_14default_configELb1EPKaPaPKlPlN2at6native12_GLOBAL__N_18offset_tEEE10hipError_tPvRmT1_PNSt15iterator_traitsIS12_E10value_typeET2_T3_PNS13_IS18_E10value_typeET4_jRbjT5_S1E_jjP12ihipStream_tbEUljE_ZNSN_ISO_Lb1ESQ_SR_ST_SU_SY_EESZ_S10_S11_S12_S16_S17_S18_S1B_S1C_jS1D_jS1E_S1E_jjS1G_bEUljE0_EEESZ_S10_S11_S18_S1C_S1E_T6_T7_T9_mT8_S1G_bDpT10_ENKUlT_T0_E_clISt17integral_constantIbLb0EES1T_IbLb1EEEEDaS1P_S1Q_EUlS1P_E_NS1_11comp_targetILNS1_3genE2ELNS1_11target_archE906ELNS1_3gpuE6ELNS1_3repE0EEENS1_30default_config_static_selectorELNS0_4arch9wavefront6targetE0EEEvS12_
    .private_segment_fixed_size: 0
    .sgpr_count:     0
    .sgpr_spill_count: 0
    .symbol:         _ZN7rocprim17ROCPRIM_400000_NS6detail17trampoline_kernelINS0_13select_configILj256ELj13ELNS0_17block_load_methodE3ELS4_3ELS4_3ELNS0_20block_scan_algorithmE0ELj4294967295EEENS1_25partition_config_selectorILNS1_17partition_subalgoE4EjNS0_10empty_typeEbEEZZNS1_14partition_implILS8_4ELb0ES6_15HIP_vector_typeIjLj2EENS0_17counting_iteratorIjlEEPS9_SG_NS0_5tupleIJPjSI_NS0_16reverse_iteratorISI_EEEEENSH_IJSG_SG_SG_EEES9_SI_JZNS1_25segmented_radix_sort_implINS0_14default_configELb1EPKaPaPKlPlN2at6native12_GLOBAL__N_18offset_tEEE10hipError_tPvRmT1_PNSt15iterator_traitsIS12_E10value_typeET2_T3_PNS13_IS18_E10value_typeET4_jRbjT5_S1E_jjP12ihipStream_tbEUljE_ZNSN_ISO_Lb1ESQ_SR_ST_SU_SY_EESZ_S10_S11_S12_S16_S17_S18_S1B_S1C_jS1D_jS1E_S1E_jjS1G_bEUljE0_EEESZ_S10_S11_S18_S1C_S1E_T6_T7_T9_mT8_S1G_bDpT10_ENKUlT_T0_E_clISt17integral_constantIbLb0EES1T_IbLb1EEEEDaS1P_S1Q_EUlS1P_E_NS1_11comp_targetILNS1_3genE2ELNS1_11target_archE906ELNS1_3gpuE6ELNS1_3repE0EEENS1_30default_config_static_selectorELNS0_4arch9wavefront6targetE0EEEvS12_.kd
    .uniform_work_group_size: 1
    .uses_dynamic_stack: false
    .vgpr_count:     0
    .vgpr_spill_count: 0
    .wavefront_size: 32
    .workgroup_processor_mode: 1
  - .args:
      - .offset:         0
        .size:           184
        .value_kind:     by_value
    .group_segment_fixed_size: 0
    .kernarg_segment_align: 8
    .kernarg_segment_size: 184
    .language:       OpenCL C
    .language_version:
      - 2
      - 0
    .max_flat_workgroup_size: 256
    .name:           _ZN7rocprim17ROCPRIM_400000_NS6detail17trampoline_kernelINS0_13select_configILj256ELj13ELNS0_17block_load_methodE3ELS4_3ELS4_3ELNS0_20block_scan_algorithmE0ELj4294967295EEENS1_25partition_config_selectorILNS1_17partition_subalgoE4EjNS0_10empty_typeEbEEZZNS1_14partition_implILS8_4ELb0ES6_15HIP_vector_typeIjLj2EENS0_17counting_iteratorIjlEEPS9_SG_NS0_5tupleIJPjSI_NS0_16reverse_iteratorISI_EEEEENSH_IJSG_SG_SG_EEES9_SI_JZNS1_25segmented_radix_sort_implINS0_14default_configELb1EPKaPaPKlPlN2at6native12_GLOBAL__N_18offset_tEEE10hipError_tPvRmT1_PNSt15iterator_traitsIS12_E10value_typeET2_T3_PNS13_IS18_E10value_typeET4_jRbjT5_S1E_jjP12ihipStream_tbEUljE_ZNSN_ISO_Lb1ESQ_SR_ST_SU_SY_EESZ_S10_S11_S12_S16_S17_S18_S1B_S1C_jS1D_jS1E_S1E_jjS1G_bEUljE0_EEESZ_S10_S11_S18_S1C_S1E_T6_T7_T9_mT8_S1G_bDpT10_ENKUlT_T0_E_clISt17integral_constantIbLb0EES1T_IbLb1EEEEDaS1P_S1Q_EUlS1P_E_NS1_11comp_targetILNS1_3genE10ELNS1_11target_archE1200ELNS1_3gpuE4ELNS1_3repE0EEENS1_30default_config_static_selectorELNS0_4arch9wavefront6targetE0EEEvS12_
    .private_segment_fixed_size: 0
    .sgpr_count:     0
    .sgpr_spill_count: 0
    .symbol:         _ZN7rocprim17ROCPRIM_400000_NS6detail17trampoline_kernelINS0_13select_configILj256ELj13ELNS0_17block_load_methodE3ELS4_3ELS4_3ELNS0_20block_scan_algorithmE0ELj4294967295EEENS1_25partition_config_selectorILNS1_17partition_subalgoE4EjNS0_10empty_typeEbEEZZNS1_14partition_implILS8_4ELb0ES6_15HIP_vector_typeIjLj2EENS0_17counting_iteratorIjlEEPS9_SG_NS0_5tupleIJPjSI_NS0_16reverse_iteratorISI_EEEEENSH_IJSG_SG_SG_EEES9_SI_JZNS1_25segmented_radix_sort_implINS0_14default_configELb1EPKaPaPKlPlN2at6native12_GLOBAL__N_18offset_tEEE10hipError_tPvRmT1_PNSt15iterator_traitsIS12_E10value_typeET2_T3_PNS13_IS18_E10value_typeET4_jRbjT5_S1E_jjP12ihipStream_tbEUljE_ZNSN_ISO_Lb1ESQ_SR_ST_SU_SY_EESZ_S10_S11_S12_S16_S17_S18_S1B_S1C_jS1D_jS1E_S1E_jjS1G_bEUljE0_EEESZ_S10_S11_S18_S1C_S1E_T6_T7_T9_mT8_S1G_bDpT10_ENKUlT_T0_E_clISt17integral_constantIbLb0EES1T_IbLb1EEEEDaS1P_S1Q_EUlS1P_E_NS1_11comp_targetILNS1_3genE10ELNS1_11target_archE1200ELNS1_3gpuE4ELNS1_3repE0EEENS1_30default_config_static_selectorELNS0_4arch9wavefront6targetE0EEEvS12_.kd
    .uniform_work_group_size: 1
    .uses_dynamic_stack: false
    .vgpr_count:     0
    .vgpr_spill_count: 0
    .wavefront_size: 32
    .workgroup_processor_mode: 1
  - .args:
      - .offset:         0
        .size:           184
        .value_kind:     by_value
    .group_segment_fixed_size: 0
    .kernarg_segment_align: 8
    .kernarg_segment_size: 184
    .language:       OpenCL C
    .language_version:
      - 2
      - 0
    .max_flat_workgroup_size: 256
    .name:           _ZN7rocprim17ROCPRIM_400000_NS6detail17trampoline_kernelINS0_13select_configILj256ELj13ELNS0_17block_load_methodE3ELS4_3ELS4_3ELNS0_20block_scan_algorithmE0ELj4294967295EEENS1_25partition_config_selectorILNS1_17partition_subalgoE4EjNS0_10empty_typeEbEEZZNS1_14partition_implILS8_4ELb0ES6_15HIP_vector_typeIjLj2EENS0_17counting_iteratorIjlEEPS9_SG_NS0_5tupleIJPjSI_NS0_16reverse_iteratorISI_EEEEENSH_IJSG_SG_SG_EEES9_SI_JZNS1_25segmented_radix_sort_implINS0_14default_configELb1EPKaPaPKlPlN2at6native12_GLOBAL__N_18offset_tEEE10hipError_tPvRmT1_PNSt15iterator_traitsIS12_E10value_typeET2_T3_PNS13_IS18_E10value_typeET4_jRbjT5_S1E_jjP12ihipStream_tbEUljE_ZNSN_ISO_Lb1ESQ_SR_ST_SU_SY_EESZ_S10_S11_S12_S16_S17_S18_S1B_S1C_jS1D_jS1E_S1E_jjS1G_bEUljE0_EEESZ_S10_S11_S18_S1C_S1E_T6_T7_T9_mT8_S1G_bDpT10_ENKUlT_T0_E_clISt17integral_constantIbLb0EES1T_IbLb1EEEEDaS1P_S1Q_EUlS1P_E_NS1_11comp_targetILNS1_3genE9ELNS1_11target_archE1100ELNS1_3gpuE3ELNS1_3repE0EEENS1_30default_config_static_selectorELNS0_4arch9wavefront6targetE0EEEvS12_
    .private_segment_fixed_size: 0
    .sgpr_count:     0
    .sgpr_spill_count: 0
    .symbol:         _ZN7rocprim17ROCPRIM_400000_NS6detail17trampoline_kernelINS0_13select_configILj256ELj13ELNS0_17block_load_methodE3ELS4_3ELS4_3ELNS0_20block_scan_algorithmE0ELj4294967295EEENS1_25partition_config_selectorILNS1_17partition_subalgoE4EjNS0_10empty_typeEbEEZZNS1_14partition_implILS8_4ELb0ES6_15HIP_vector_typeIjLj2EENS0_17counting_iteratorIjlEEPS9_SG_NS0_5tupleIJPjSI_NS0_16reverse_iteratorISI_EEEEENSH_IJSG_SG_SG_EEES9_SI_JZNS1_25segmented_radix_sort_implINS0_14default_configELb1EPKaPaPKlPlN2at6native12_GLOBAL__N_18offset_tEEE10hipError_tPvRmT1_PNSt15iterator_traitsIS12_E10value_typeET2_T3_PNS13_IS18_E10value_typeET4_jRbjT5_S1E_jjP12ihipStream_tbEUljE_ZNSN_ISO_Lb1ESQ_SR_ST_SU_SY_EESZ_S10_S11_S12_S16_S17_S18_S1B_S1C_jS1D_jS1E_S1E_jjS1G_bEUljE0_EEESZ_S10_S11_S18_S1C_S1E_T6_T7_T9_mT8_S1G_bDpT10_ENKUlT_T0_E_clISt17integral_constantIbLb0EES1T_IbLb1EEEEDaS1P_S1Q_EUlS1P_E_NS1_11comp_targetILNS1_3genE9ELNS1_11target_archE1100ELNS1_3gpuE3ELNS1_3repE0EEENS1_30default_config_static_selectorELNS0_4arch9wavefront6targetE0EEEvS12_.kd
    .uniform_work_group_size: 1
    .uses_dynamic_stack: false
    .vgpr_count:     0
    .vgpr_spill_count: 0
    .wavefront_size: 32
    .workgroup_processor_mode: 1
  - .args:
      - .offset:         0
        .size:           184
        .value_kind:     by_value
    .group_segment_fixed_size: 13328
    .kernarg_segment_align: 8
    .kernarg_segment_size: 184
    .language:       OpenCL C
    .language_version:
      - 2
      - 0
    .max_flat_workgroup_size: 256
    .name:           _ZN7rocprim17ROCPRIM_400000_NS6detail17trampoline_kernelINS0_13select_configILj256ELj13ELNS0_17block_load_methodE3ELS4_3ELS4_3ELNS0_20block_scan_algorithmE0ELj4294967295EEENS1_25partition_config_selectorILNS1_17partition_subalgoE4EjNS0_10empty_typeEbEEZZNS1_14partition_implILS8_4ELb0ES6_15HIP_vector_typeIjLj2EENS0_17counting_iteratorIjlEEPS9_SG_NS0_5tupleIJPjSI_NS0_16reverse_iteratorISI_EEEEENSH_IJSG_SG_SG_EEES9_SI_JZNS1_25segmented_radix_sort_implINS0_14default_configELb1EPKaPaPKlPlN2at6native12_GLOBAL__N_18offset_tEEE10hipError_tPvRmT1_PNSt15iterator_traitsIS12_E10value_typeET2_T3_PNS13_IS18_E10value_typeET4_jRbjT5_S1E_jjP12ihipStream_tbEUljE_ZNSN_ISO_Lb1ESQ_SR_ST_SU_SY_EESZ_S10_S11_S12_S16_S17_S18_S1B_S1C_jS1D_jS1E_S1E_jjS1G_bEUljE0_EEESZ_S10_S11_S18_S1C_S1E_T6_T7_T9_mT8_S1G_bDpT10_ENKUlT_T0_E_clISt17integral_constantIbLb0EES1T_IbLb1EEEEDaS1P_S1Q_EUlS1P_E_NS1_11comp_targetILNS1_3genE8ELNS1_11target_archE1030ELNS1_3gpuE2ELNS1_3repE0EEENS1_30default_config_static_selectorELNS0_4arch9wavefront6targetE0EEEvS12_
    .private_segment_fixed_size: 0
    .sgpr_count:     57
    .sgpr_spill_count: 0
    .symbol:         _ZN7rocprim17ROCPRIM_400000_NS6detail17trampoline_kernelINS0_13select_configILj256ELj13ELNS0_17block_load_methodE3ELS4_3ELS4_3ELNS0_20block_scan_algorithmE0ELj4294967295EEENS1_25partition_config_selectorILNS1_17partition_subalgoE4EjNS0_10empty_typeEbEEZZNS1_14partition_implILS8_4ELb0ES6_15HIP_vector_typeIjLj2EENS0_17counting_iteratorIjlEEPS9_SG_NS0_5tupleIJPjSI_NS0_16reverse_iteratorISI_EEEEENSH_IJSG_SG_SG_EEES9_SI_JZNS1_25segmented_radix_sort_implINS0_14default_configELb1EPKaPaPKlPlN2at6native12_GLOBAL__N_18offset_tEEE10hipError_tPvRmT1_PNSt15iterator_traitsIS12_E10value_typeET2_T3_PNS13_IS18_E10value_typeET4_jRbjT5_S1E_jjP12ihipStream_tbEUljE_ZNSN_ISO_Lb1ESQ_SR_ST_SU_SY_EESZ_S10_S11_S12_S16_S17_S18_S1B_S1C_jS1D_jS1E_S1E_jjS1G_bEUljE0_EEESZ_S10_S11_S18_S1C_S1E_T6_T7_T9_mT8_S1G_bDpT10_ENKUlT_T0_E_clISt17integral_constantIbLb0EES1T_IbLb1EEEEDaS1P_S1Q_EUlS1P_E_NS1_11comp_targetILNS1_3genE8ELNS1_11target_archE1030ELNS1_3gpuE2ELNS1_3repE0EEENS1_30default_config_static_selectorELNS0_4arch9wavefront6targetE0EEEvS12_.kd
    .uniform_work_group_size: 1
    .uses_dynamic_stack: false
    .vgpr_count:     87
    .vgpr_spill_count: 0
    .wavefront_size: 32
    .workgroup_processor_mode: 1
  - .args:
      - .offset:         0
        .size:           144
        .value_kind:     by_value
    .group_segment_fixed_size: 0
    .kernarg_segment_align: 8
    .kernarg_segment_size: 144
    .language:       OpenCL C
    .language_version:
      - 2
      - 0
    .max_flat_workgroup_size: 256
    .name:           _ZN7rocprim17ROCPRIM_400000_NS6detail17trampoline_kernelINS0_13select_configILj256ELj13ELNS0_17block_load_methodE3ELS4_3ELS4_3ELNS0_20block_scan_algorithmE0ELj4294967295EEENS1_25partition_config_selectorILNS1_17partition_subalgoE3EjNS0_10empty_typeEbEEZZNS1_14partition_implILS8_3ELb0ES6_jNS0_17counting_iteratorIjlEEPS9_SE_NS0_5tupleIJPjSE_EEENSF_IJSE_SE_EEES9_SG_JZNS1_25segmented_radix_sort_implINS0_14default_configELb1EPKaPaPKlPlN2at6native12_GLOBAL__N_18offset_tEEE10hipError_tPvRmT1_PNSt15iterator_traitsISY_E10value_typeET2_T3_PNSZ_IS14_E10value_typeET4_jRbjT5_S1A_jjP12ihipStream_tbEUljE_EEESV_SW_SX_S14_S18_S1A_T6_T7_T9_mT8_S1C_bDpT10_ENKUlT_T0_E_clISt17integral_constantIbLb0EES1P_EEDaS1K_S1L_EUlS1K_E_NS1_11comp_targetILNS1_3genE0ELNS1_11target_archE4294967295ELNS1_3gpuE0ELNS1_3repE0EEENS1_30default_config_static_selectorELNS0_4arch9wavefront6targetE0EEEvSY_
    .private_segment_fixed_size: 0
    .sgpr_count:     0
    .sgpr_spill_count: 0
    .symbol:         _ZN7rocprim17ROCPRIM_400000_NS6detail17trampoline_kernelINS0_13select_configILj256ELj13ELNS0_17block_load_methodE3ELS4_3ELS4_3ELNS0_20block_scan_algorithmE0ELj4294967295EEENS1_25partition_config_selectorILNS1_17partition_subalgoE3EjNS0_10empty_typeEbEEZZNS1_14partition_implILS8_3ELb0ES6_jNS0_17counting_iteratorIjlEEPS9_SE_NS0_5tupleIJPjSE_EEENSF_IJSE_SE_EEES9_SG_JZNS1_25segmented_radix_sort_implINS0_14default_configELb1EPKaPaPKlPlN2at6native12_GLOBAL__N_18offset_tEEE10hipError_tPvRmT1_PNSt15iterator_traitsISY_E10value_typeET2_T3_PNSZ_IS14_E10value_typeET4_jRbjT5_S1A_jjP12ihipStream_tbEUljE_EEESV_SW_SX_S14_S18_S1A_T6_T7_T9_mT8_S1C_bDpT10_ENKUlT_T0_E_clISt17integral_constantIbLb0EES1P_EEDaS1K_S1L_EUlS1K_E_NS1_11comp_targetILNS1_3genE0ELNS1_11target_archE4294967295ELNS1_3gpuE0ELNS1_3repE0EEENS1_30default_config_static_selectorELNS0_4arch9wavefront6targetE0EEEvSY_.kd
    .uniform_work_group_size: 1
    .uses_dynamic_stack: false
    .vgpr_count:     0
    .vgpr_spill_count: 0
    .wavefront_size: 32
    .workgroup_processor_mode: 1
  - .args:
      - .offset:         0
        .size:           144
        .value_kind:     by_value
    .group_segment_fixed_size: 0
    .kernarg_segment_align: 8
    .kernarg_segment_size: 144
    .language:       OpenCL C
    .language_version:
      - 2
      - 0
    .max_flat_workgroup_size: 256
    .name:           _ZN7rocprim17ROCPRIM_400000_NS6detail17trampoline_kernelINS0_13select_configILj256ELj13ELNS0_17block_load_methodE3ELS4_3ELS4_3ELNS0_20block_scan_algorithmE0ELj4294967295EEENS1_25partition_config_selectorILNS1_17partition_subalgoE3EjNS0_10empty_typeEbEEZZNS1_14partition_implILS8_3ELb0ES6_jNS0_17counting_iteratorIjlEEPS9_SE_NS0_5tupleIJPjSE_EEENSF_IJSE_SE_EEES9_SG_JZNS1_25segmented_radix_sort_implINS0_14default_configELb1EPKaPaPKlPlN2at6native12_GLOBAL__N_18offset_tEEE10hipError_tPvRmT1_PNSt15iterator_traitsISY_E10value_typeET2_T3_PNSZ_IS14_E10value_typeET4_jRbjT5_S1A_jjP12ihipStream_tbEUljE_EEESV_SW_SX_S14_S18_S1A_T6_T7_T9_mT8_S1C_bDpT10_ENKUlT_T0_E_clISt17integral_constantIbLb0EES1P_EEDaS1K_S1L_EUlS1K_E_NS1_11comp_targetILNS1_3genE5ELNS1_11target_archE942ELNS1_3gpuE9ELNS1_3repE0EEENS1_30default_config_static_selectorELNS0_4arch9wavefront6targetE0EEEvSY_
    .private_segment_fixed_size: 0
    .sgpr_count:     0
    .sgpr_spill_count: 0
    .symbol:         _ZN7rocprim17ROCPRIM_400000_NS6detail17trampoline_kernelINS0_13select_configILj256ELj13ELNS0_17block_load_methodE3ELS4_3ELS4_3ELNS0_20block_scan_algorithmE0ELj4294967295EEENS1_25partition_config_selectorILNS1_17partition_subalgoE3EjNS0_10empty_typeEbEEZZNS1_14partition_implILS8_3ELb0ES6_jNS0_17counting_iteratorIjlEEPS9_SE_NS0_5tupleIJPjSE_EEENSF_IJSE_SE_EEES9_SG_JZNS1_25segmented_radix_sort_implINS0_14default_configELb1EPKaPaPKlPlN2at6native12_GLOBAL__N_18offset_tEEE10hipError_tPvRmT1_PNSt15iterator_traitsISY_E10value_typeET2_T3_PNSZ_IS14_E10value_typeET4_jRbjT5_S1A_jjP12ihipStream_tbEUljE_EEESV_SW_SX_S14_S18_S1A_T6_T7_T9_mT8_S1C_bDpT10_ENKUlT_T0_E_clISt17integral_constantIbLb0EES1P_EEDaS1K_S1L_EUlS1K_E_NS1_11comp_targetILNS1_3genE5ELNS1_11target_archE942ELNS1_3gpuE9ELNS1_3repE0EEENS1_30default_config_static_selectorELNS0_4arch9wavefront6targetE0EEEvSY_.kd
    .uniform_work_group_size: 1
    .uses_dynamic_stack: false
    .vgpr_count:     0
    .vgpr_spill_count: 0
    .wavefront_size: 32
    .workgroup_processor_mode: 1
  - .args:
      - .offset:         0
        .size:           144
        .value_kind:     by_value
    .group_segment_fixed_size: 0
    .kernarg_segment_align: 8
    .kernarg_segment_size: 144
    .language:       OpenCL C
    .language_version:
      - 2
      - 0
    .max_flat_workgroup_size: 256
    .name:           _ZN7rocprim17ROCPRIM_400000_NS6detail17trampoline_kernelINS0_13select_configILj256ELj13ELNS0_17block_load_methodE3ELS4_3ELS4_3ELNS0_20block_scan_algorithmE0ELj4294967295EEENS1_25partition_config_selectorILNS1_17partition_subalgoE3EjNS0_10empty_typeEbEEZZNS1_14partition_implILS8_3ELb0ES6_jNS0_17counting_iteratorIjlEEPS9_SE_NS0_5tupleIJPjSE_EEENSF_IJSE_SE_EEES9_SG_JZNS1_25segmented_radix_sort_implINS0_14default_configELb1EPKaPaPKlPlN2at6native12_GLOBAL__N_18offset_tEEE10hipError_tPvRmT1_PNSt15iterator_traitsISY_E10value_typeET2_T3_PNSZ_IS14_E10value_typeET4_jRbjT5_S1A_jjP12ihipStream_tbEUljE_EEESV_SW_SX_S14_S18_S1A_T6_T7_T9_mT8_S1C_bDpT10_ENKUlT_T0_E_clISt17integral_constantIbLb0EES1P_EEDaS1K_S1L_EUlS1K_E_NS1_11comp_targetILNS1_3genE4ELNS1_11target_archE910ELNS1_3gpuE8ELNS1_3repE0EEENS1_30default_config_static_selectorELNS0_4arch9wavefront6targetE0EEEvSY_
    .private_segment_fixed_size: 0
    .sgpr_count:     0
    .sgpr_spill_count: 0
    .symbol:         _ZN7rocprim17ROCPRIM_400000_NS6detail17trampoline_kernelINS0_13select_configILj256ELj13ELNS0_17block_load_methodE3ELS4_3ELS4_3ELNS0_20block_scan_algorithmE0ELj4294967295EEENS1_25partition_config_selectorILNS1_17partition_subalgoE3EjNS0_10empty_typeEbEEZZNS1_14partition_implILS8_3ELb0ES6_jNS0_17counting_iteratorIjlEEPS9_SE_NS0_5tupleIJPjSE_EEENSF_IJSE_SE_EEES9_SG_JZNS1_25segmented_radix_sort_implINS0_14default_configELb1EPKaPaPKlPlN2at6native12_GLOBAL__N_18offset_tEEE10hipError_tPvRmT1_PNSt15iterator_traitsISY_E10value_typeET2_T3_PNSZ_IS14_E10value_typeET4_jRbjT5_S1A_jjP12ihipStream_tbEUljE_EEESV_SW_SX_S14_S18_S1A_T6_T7_T9_mT8_S1C_bDpT10_ENKUlT_T0_E_clISt17integral_constantIbLb0EES1P_EEDaS1K_S1L_EUlS1K_E_NS1_11comp_targetILNS1_3genE4ELNS1_11target_archE910ELNS1_3gpuE8ELNS1_3repE0EEENS1_30default_config_static_selectorELNS0_4arch9wavefront6targetE0EEEvSY_.kd
    .uniform_work_group_size: 1
    .uses_dynamic_stack: false
    .vgpr_count:     0
    .vgpr_spill_count: 0
    .wavefront_size: 32
    .workgroup_processor_mode: 1
  - .args:
      - .offset:         0
        .size:           144
        .value_kind:     by_value
    .group_segment_fixed_size: 0
    .kernarg_segment_align: 8
    .kernarg_segment_size: 144
    .language:       OpenCL C
    .language_version:
      - 2
      - 0
    .max_flat_workgroup_size: 256
    .name:           _ZN7rocprim17ROCPRIM_400000_NS6detail17trampoline_kernelINS0_13select_configILj256ELj13ELNS0_17block_load_methodE3ELS4_3ELS4_3ELNS0_20block_scan_algorithmE0ELj4294967295EEENS1_25partition_config_selectorILNS1_17partition_subalgoE3EjNS0_10empty_typeEbEEZZNS1_14partition_implILS8_3ELb0ES6_jNS0_17counting_iteratorIjlEEPS9_SE_NS0_5tupleIJPjSE_EEENSF_IJSE_SE_EEES9_SG_JZNS1_25segmented_radix_sort_implINS0_14default_configELb1EPKaPaPKlPlN2at6native12_GLOBAL__N_18offset_tEEE10hipError_tPvRmT1_PNSt15iterator_traitsISY_E10value_typeET2_T3_PNSZ_IS14_E10value_typeET4_jRbjT5_S1A_jjP12ihipStream_tbEUljE_EEESV_SW_SX_S14_S18_S1A_T6_T7_T9_mT8_S1C_bDpT10_ENKUlT_T0_E_clISt17integral_constantIbLb0EES1P_EEDaS1K_S1L_EUlS1K_E_NS1_11comp_targetILNS1_3genE3ELNS1_11target_archE908ELNS1_3gpuE7ELNS1_3repE0EEENS1_30default_config_static_selectorELNS0_4arch9wavefront6targetE0EEEvSY_
    .private_segment_fixed_size: 0
    .sgpr_count:     0
    .sgpr_spill_count: 0
    .symbol:         _ZN7rocprim17ROCPRIM_400000_NS6detail17trampoline_kernelINS0_13select_configILj256ELj13ELNS0_17block_load_methodE3ELS4_3ELS4_3ELNS0_20block_scan_algorithmE0ELj4294967295EEENS1_25partition_config_selectorILNS1_17partition_subalgoE3EjNS0_10empty_typeEbEEZZNS1_14partition_implILS8_3ELb0ES6_jNS0_17counting_iteratorIjlEEPS9_SE_NS0_5tupleIJPjSE_EEENSF_IJSE_SE_EEES9_SG_JZNS1_25segmented_radix_sort_implINS0_14default_configELb1EPKaPaPKlPlN2at6native12_GLOBAL__N_18offset_tEEE10hipError_tPvRmT1_PNSt15iterator_traitsISY_E10value_typeET2_T3_PNSZ_IS14_E10value_typeET4_jRbjT5_S1A_jjP12ihipStream_tbEUljE_EEESV_SW_SX_S14_S18_S1A_T6_T7_T9_mT8_S1C_bDpT10_ENKUlT_T0_E_clISt17integral_constantIbLb0EES1P_EEDaS1K_S1L_EUlS1K_E_NS1_11comp_targetILNS1_3genE3ELNS1_11target_archE908ELNS1_3gpuE7ELNS1_3repE0EEENS1_30default_config_static_selectorELNS0_4arch9wavefront6targetE0EEEvSY_.kd
    .uniform_work_group_size: 1
    .uses_dynamic_stack: false
    .vgpr_count:     0
    .vgpr_spill_count: 0
    .wavefront_size: 32
    .workgroup_processor_mode: 1
  - .args:
      - .offset:         0
        .size:           144
        .value_kind:     by_value
    .group_segment_fixed_size: 0
    .kernarg_segment_align: 8
    .kernarg_segment_size: 144
    .language:       OpenCL C
    .language_version:
      - 2
      - 0
    .max_flat_workgroup_size: 256
    .name:           _ZN7rocprim17ROCPRIM_400000_NS6detail17trampoline_kernelINS0_13select_configILj256ELj13ELNS0_17block_load_methodE3ELS4_3ELS4_3ELNS0_20block_scan_algorithmE0ELj4294967295EEENS1_25partition_config_selectorILNS1_17partition_subalgoE3EjNS0_10empty_typeEbEEZZNS1_14partition_implILS8_3ELb0ES6_jNS0_17counting_iteratorIjlEEPS9_SE_NS0_5tupleIJPjSE_EEENSF_IJSE_SE_EEES9_SG_JZNS1_25segmented_radix_sort_implINS0_14default_configELb1EPKaPaPKlPlN2at6native12_GLOBAL__N_18offset_tEEE10hipError_tPvRmT1_PNSt15iterator_traitsISY_E10value_typeET2_T3_PNSZ_IS14_E10value_typeET4_jRbjT5_S1A_jjP12ihipStream_tbEUljE_EEESV_SW_SX_S14_S18_S1A_T6_T7_T9_mT8_S1C_bDpT10_ENKUlT_T0_E_clISt17integral_constantIbLb0EES1P_EEDaS1K_S1L_EUlS1K_E_NS1_11comp_targetILNS1_3genE2ELNS1_11target_archE906ELNS1_3gpuE6ELNS1_3repE0EEENS1_30default_config_static_selectorELNS0_4arch9wavefront6targetE0EEEvSY_
    .private_segment_fixed_size: 0
    .sgpr_count:     0
    .sgpr_spill_count: 0
    .symbol:         _ZN7rocprim17ROCPRIM_400000_NS6detail17trampoline_kernelINS0_13select_configILj256ELj13ELNS0_17block_load_methodE3ELS4_3ELS4_3ELNS0_20block_scan_algorithmE0ELj4294967295EEENS1_25partition_config_selectorILNS1_17partition_subalgoE3EjNS0_10empty_typeEbEEZZNS1_14partition_implILS8_3ELb0ES6_jNS0_17counting_iteratorIjlEEPS9_SE_NS0_5tupleIJPjSE_EEENSF_IJSE_SE_EEES9_SG_JZNS1_25segmented_radix_sort_implINS0_14default_configELb1EPKaPaPKlPlN2at6native12_GLOBAL__N_18offset_tEEE10hipError_tPvRmT1_PNSt15iterator_traitsISY_E10value_typeET2_T3_PNSZ_IS14_E10value_typeET4_jRbjT5_S1A_jjP12ihipStream_tbEUljE_EEESV_SW_SX_S14_S18_S1A_T6_T7_T9_mT8_S1C_bDpT10_ENKUlT_T0_E_clISt17integral_constantIbLb0EES1P_EEDaS1K_S1L_EUlS1K_E_NS1_11comp_targetILNS1_3genE2ELNS1_11target_archE906ELNS1_3gpuE6ELNS1_3repE0EEENS1_30default_config_static_selectorELNS0_4arch9wavefront6targetE0EEEvSY_.kd
    .uniform_work_group_size: 1
    .uses_dynamic_stack: false
    .vgpr_count:     0
    .vgpr_spill_count: 0
    .wavefront_size: 32
    .workgroup_processor_mode: 1
  - .args:
      - .offset:         0
        .size:           144
        .value_kind:     by_value
    .group_segment_fixed_size: 0
    .kernarg_segment_align: 8
    .kernarg_segment_size: 144
    .language:       OpenCL C
    .language_version:
      - 2
      - 0
    .max_flat_workgroup_size: 256
    .name:           _ZN7rocprim17ROCPRIM_400000_NS6detail17trampoline_kernelINS0_13select_configILj256ELj13ELNS0_17block_load_methodE3ELS4_3ELS4_3ELNS0_20block_scan_algorithmE0ELj4294967295EEENS1_25partition_config_selectorILNS1_17partition_subalgoE3EjNS0_10empty_typeEbEEZZNS1_14partition_implILS8_3ELb0ES6_jNS0_17counting_iteratorIjlEEPS9_SE_NS0_5tupleIJPjSE_EEENSF_IJSE_SE_EEES9_SG_JZNS1_25segmented_radix_sort_implINS0_14default_configELb1EPKaPaPKlPlN2at6native12_GLOBAL__N_18offset_tEEE10hipError_tPvRmT1_PNSt15iterator_traitsISY_E10value_typeET2_T3_PNSZ_IS14_E10value_typeET4_jRbjT5_S1A_jjP12ihipStream_tbEUljE_EEESV_SW_SX_S14_S18_S1A_T6_T7_T9_mT8_S1C_bDpT10_ENKUlT_T0_E_clISt17integral_constantIbLb0EES1P_EEDaS1K_S1L_EUlS1K_E_NS1_11comp_targetILNS1_3genE10ELNS1_11target_archE1200ELNS1_3gpuE4ELNS1_3repE0EEENS1_30default_config_static_selectorELNS0_4arch9wavefront6targetE0EEEvSY_
    .private_segment_fixed_size: 0
    .sgpr_count:     0
    .sgpr_spill_count: 0
    .symbol:         _ZN7rocprim17ROCPRIM_400000_NS6detail17trampoline_kernelINS0_13select_configILj256ELj13ELNS0_17block_load_methodE3ELS4_3ELS4_3ELNS0_20block_scan_algorithmE0ELj4294967295EEENS1_25partition_config_selectorILNS1_17partition_subalgoE3EjNS0_10empty_typeEbEEZZNS1_14partition_implILS8_3ELb0ES6_jNS0_17counting_iteratorIjlEEPS9_SE_NS0_5tupleIJPjSE_EEENSF_IJSE_SE_EEES9_SG_JZNS1_25segmented_radix_sort_implINS0_14default_configELb1EPKaPaPKlPlN2at6native12_GLOBAL__N_18offset_tEEE10hipError_tPvRmT1_PNSt15iterator_traitsISY_E10value_typeET2_T3_PNSZ_IS14_E10value_typeET4_jRbjT5_S1A_jjP12ihipStream_tbEUljE_EEESV_SW_SX_S14_S18_S1A_T6_T7_T9_mT8_S1C_bDpT10_ENKUlT_T0_E_clISt17integral_constantIbLb0EES1P_EEDaS1K_S1L_EUlS1K_E_NS1_11comp_targetILNS1_3genE10ELNS1_11target_archE1200ELNS1_3gpuE4ELNS1_3repE0EEENS1_30default_config_static_selectorELNS0_4arch9wavefront6targetE0EEEvSY_.kd
    .uniform_work_group_size: 1
    .uses_dynamic_stack: false
    .vgpr_count:     0
    .vgpr_spill_count: 0
    .wavefront_size: 32
    .workgroup_processor_mode: 1
  - .args:
      - .offset:         0
        .size:           144
        .value_kind:     by_value
    .group_segment_fixed_size: 0
    .kernarg_segment_align: 8
    .kernarg_segment_size: 144
    .language:       OpenCL C
    .language_version:
      - 2
      - 0
    .max_flat_workgroup_size: 256
    .name:           _ZN7rocprim17ROCPRIM_400000_NS6detail17trampoline_kernelINS0_13select_configILj256ELj13ELNS0_17block_load_methodE3ELS4_3ELS4_3ELNS0_20block_scan_algorithmE0ELj4294967295EEENS1_25partition_config_selectorILNS1_17partition_subalgoE3EjNS0_10empty_typeEbEEZZNS1_14partition_implILS8_3ELb0ES6_jNS0_17counting_iteratorIjlEEPS9_SE_NS0_5tupleIJPjSE_EEENSF_IJSE_SE_EEES9_SG_JZNS1_25segmented_radix_sort_implINS0_14default_configELb1EPKaPaPKlPlN2at6native12_GLOBAL__N_18offset_tEEE10hipError_tPvRmT1_PNSt15iterator_traitsISY_E10value_typeET2_T3_PNSZ_IS14_E10value_typeET4_jRbjT5_S1A_jjP12ihipStream_tbEUljE_EEESV_SW_SX_S14_S18_S1A_T6_T7_T9_mT8_S1C_bDpT10_ENKUlT_T0_E_clISt17integral_constantIbLb0EES1P_EEDaS1K_S1L_EUlS1K_E_NS1_11comp_targetILNS1_3genE9ELNS1_11target_archE1100ELNS1_3gpuE3ELNS1_3repE0EEENS1_30default_config_static_selectorELNS0_4arch9wavefront6targetE0EEEvSY_
    .private_segment_fixed_size: 0
    .sgpr_count:     0
    .sgpr_spill_count: 0
    .symbol:         _ZN7rocprim17ROCPRIM_400000_NS6detail17trampoline_kernelINS0_13select_configILj256ELj13ELNS0_17block_load_methodE3ELS4_3ELS4_3ELNS0_20block_scan_algorithmE0ELj4294967295EEENS1_25partition_config_selectorILNS1_17partition_subalgoE3EjNS0_10empty_typeEbEEZZNS1_14partition_implILS8_3ELb0ES6_jNS0_17counting_iteratorIjlEEPS9_SE_NS0_5tupleIJPjSE_EEENSF_IJSE_SE_EEES9_SG_JZNS1_25segmented_radix_sort_implINS0_14default_configELb1EPKaPaPKlPlN2at6native12_GLOBAL__N_18offset_tEEE10hipError_tPvRmT1_PNSt15iterator_traitsISY_E10value_typeET2_T3_PNSZ_IS14_E10value_typeET4_jRbjT5_S1A_jjP12ihipStream_tbEUljE_EEESV_SW_SX_S14_S18_S1A_T6_T7_T9_mT8_S1C_bDpT10_ENKUlT_T0_E_clISt17integral_constantIbLb0EES1P_EEDaS1K_S1L_EUlS1K_E_NS1_11comp_targetILNS1_3genE9ELNS1_11target_archE1100ELNS1_3gpuE3ELNS1_3repE0EEENS1_30default_config_static_selectorELNS0_4arch9wavefront6targetE0EEEvSY_.kd
    .uniform_work_group_size: 1
    .uses_dynamic_stack: false
    .vgpr_count:     0
    .vgpr_spill_count: 0
    .wavefront_size: 32
    .workgroup_processor_mode: 1
  - .args:
      - .offset:         0
        .size:           144
        .value_kind:     by_value
    .group_segment_fixed_size: 13320
    .kernarg_segment_align: 8
    .kernarg_segment_size: 144
    .language:       OpenCL C
    .language_version:
      - 2
      - 0
    .max_flat_workgroup_size: 256
    .name:           _ZN7rocprim17ROCPRIM_400000_NS6detail17trampoline_kernelINS0_13select_configILj256ELj13ELNS0_17block_load_methodE3ELS4_3ELS4_3ELNS0_20block_scan_algorithmE0ELj4294967295EEENS1_25partition_config_selectorILNS1_17partition_subalgoE3EjNS0_10empty_typeEbEEZZNS1_14partition_implILS8_3ELb0ES6_jNS0_17counting_iteratorIjlEEPS9_SE_NS0_5tupleIJPjSE_EEENSF_IJSE_SE_EEES9_SG_JZNS1_25segmented_radix_sort_implINS0_14default_configELb1EPKaPaPKlPlN2at6native12_GLOBAL__N_18offset_tEEE10hipError_tPvRmT1_PNSt15iterator_traitsISY_E10value_typeET2_T3_PNSZ_IS14_E10value_typeET4_jRbjT5_S1A_jjP12ihipStream_tbEUljE_EEESV_SW_SX_S14_S18_S1A_T6_T7_T9_mT8_S1C_bDpT10_ENKUlT_T0_E_clISt17integral_constantIbLb0EES1P_EEDaS1K_S1L_EUlS1K_E_NS1_11comp_targetILNS1_3genE8ELNS1_11target_archE1030ELNS1_3gpuE2ELNS1_3repE0EEENS1_30default_config_static_selectorELNS0_4arch9wavefront6targetE0EEEvSY_
    .private_segment_fixed_size: 0
    .sgpr_count:     29
    .sgpr_spill_count: 0
    .symbol:         _ZN7rocprim17ROCPRIM_400000_NS6detail17trampoline_kernelINS0_13select_configILj256ELj13ELNS0_17block_load_methodE3ELS4_3ELS4_3ELNS0_20block_scan_algorithmE0ELj4294967295EEENS1_25partition_config_selectorILNS1_17partition_subalgoE3EjNS0_10empty_typeEbEEZZNS1_14partition_implILS8_3ELb0ES6_jNS0_17counting_iteratorIjlEEPS9_SE_NS0_5tupleIJPjSE_EEENSF_IJSE_SE_EEES9_SG_JZNS1_25segmented_radix_sort_implINS0_14default_configELb1EPKaPaPKlPlN2at6native12_GLOBAL__N_18offset_tEEE10hipError_tPvRmT1_PNSt15iterator_traitsISY_E10value_typeET2_T3_PNSZ_IS14_E10value_typeET4_jRbjT5_S1A_jjP12ihipStream_tbEUljE_EEESV_SW_SX_S14_S18_S1A_T6_T7_T9_mT8_S1C_bDpT10_ENKUlT_T0_E_clISt17integral_constantIbLb0EES1P_EEDaS1K_S1L_EUlS1K_E_NS1_11comp_targetILNS1_3genE8ELNS1_11target_archE1030ELNS1_3gpuE2ELNS1_3repE0EEENS1_30default_config_static_selectorELNS0_4arch9wavefront6targetE0EEEvSY_.kd
    .uniform_work_group_size: 1
    .uses_dynamic_stack: false
    .vgpr_count:     69
    .vgpr_spill_count: 0
    .wavefront_size: 32
    .workgroup_processor_mode: 1
  - .args:
      - .offset:         0
        .size:           152
        .value_kind:     by_value
    .group_segment_fixed_size: 0
    .kernarg_segment_align: 8
    .kernarg_segment_size: 152
    .language:       OpenCL C
    .language_version:
      - 2
      - 0
    .max_flat_workgroup_size: 256
    .name:           _ZN7rocprim17ROCPRIM_400000_NS6detail17trampoline_kernelINS0_13select_configILj256ELj13ELNS0_17block_load_methodE3ELS4_3ELS4_3ELNS0_20block_scan_algorithmE0ELj4294967295EEENS1_25partition_config_selectorILNS1_17partition_subalgoE3EjNS0_10empty_typeEbEEZZNS1_14partition_implILS8_3ELb0ES6_jNS0_17counting_iteratorIjlEEPS9_SE_NS0_5tupleIJPjSE_EEENSF_IJSE_SE_EEES9_SG_JZNS1_25segmented_radix_sort_implINS0_14default_configELb1EPKaPaPKlPlN2at6native12_GLOBAL__N_18offset_tEEE10hipError_tPvRmT1_PNSt15iterator_traitsISY_E10value_typeET2_T3_PNSZ_IS14_E10value_typeET4_jRbjT5_S1A_jjP12ihipStream_tbEUljE_EEESV_SW_SX_S14_S18_S1A_T6_T7_T9_mT8_S1C_bDpT10_ENKUlT_T0_E_clISt17integral_constantIbLb1EES1P_EEDaS1K_S1L_EUlS1K_E_NS1_11comp_targetILNS1_3genE0ELNS1_11target_archE4294967295ELNS1_3gpuE0ELNS1_3repE0EEENS1_30default_config_static_selectorELNS0_4arch9wavefront6targetE0EEEvSY_
    .private_segment_fixed_size: 0
    .sgpr_count:     0
    .sgpr_spill_count: 0
    .symbol:         _ZN7rocprim17ROCPRIM_400000_NS6detail17trampoline_kernelINS0_13select_configILj256ELj13ELNS0_17block_load_methodE3ELS4_3ELS4_3ELNS0_20block_scan_algorithmE0ELj4294967295EEENS1_25partition_config_selectorILNS1_17partition_subalgoE3EjNS0_10empty_typeEbEEZZNS1_14partition_implILS8_3ELb0ES6_jNS0_17counting_iteratorIjlEEPS9_SE_NS0_5tupleIJPjSE_EEENSF_IJSE_SE_EEES9_SG_JZNS1_25segmented_radix_sort_implINS0_14default_configELb1EPKaPaPKlPlN2at6native12_GLOBAL__N_18offset_tEEE10hipError_tPvRmT1_PNSt15iterator_traitsISY_E10value_typeET2_T3_PNSZ_IS14_E10value_typeET4_jRbjT5_S1A_jjP12ihipStream_tbEUljE_EEESV_SW_SX_S14_S18_S1A_T6_T7_T9_mT8_S1C_bDpT10_ENKUlT_T0_E_clISt17integral_constantIbLb1EES1P_EEDaS1K_S1L_EUlS1K_E_NS1_11comp_targetILNS1_3genE0ELNS1_11target_archE4294967295ELNS1_3gpuE0ELNS1_3repE0EEENS1_30default_config_static_selectorELNS0_4arch9wavefront6targetE0EEEvSY_.kd
    .uniform_work_group_size: 1
    .uses_dynamic_stack: false
    .vgpr_count:     0
    .vgpr_spill_count: 0
    .wavefront_size: 32
    .workgroup_processor_mode: 1
  - .args:
      - .offset:         0
        .size:           152
        .value_kind:     by_value
    .group_segment_fixed_size: 0
    .kernarg_segment_align: 8
    .kernarg_segment_size: 152
    .language:       OpenCL C
    .language_version:
      - 2
      - 0
    .max_flat_workgroup_size: 256
    .name:           _ZN7rocprim17ROCPRIM_400000_NS6detail17trampoline_kernelINS0_13select_configILj256ELj13ELNS0_17block_load_methodE3ELS4_3ELS4_3ELNS0_20block_scan_algorithmE0ELj4294967295EEENS1_25partition_config_selectorILNS1_17partition_subalgoE3EjNS0_10empty_typeEbEEZZNS1_14partition_implILS8_3ELb0ES6_jNS0_17counting_iteratorIjlEEPS9_SE_NS0_5tupleIJPjSE_EEENSF_IJSE_SE_EEES9_SG_JZNS1_25segmented_radix_sort_implINS0_14default_configELb1EPKaPaPKlPlN2at6native12_GLOBAL__N_18offset_tEEE10hipError_tPvRmT1_PNSt15iterator_traitsISY_E10value_typeET2_T3_PNSZ_IS14_E10value_typeET4_jRbjT5_S1A_jjP12ihipStream_tbEUljE_EEESV_SW_SX_S14_S18_S1A_T6_T7_T9_mT8_S1C_bDpT10_ENKUlT_T0_E_clISt17integral_constantIbLb1EES1P_EEDaS1K_S1L_EUlS1K_E_NS1_11comp_targetILNS1_3genE5ELNS1_11target_archE942ELNS1_3gpuE9ELNS1_3repE0EEENS1_30default_config_static_selectorELNS0_4arch9wavefront6targetE0EEEvSY_
    .private_segment_fixed_size: 0
    .sgpr_count:     0
    .sgpr_spill_count: 0
    .symbol:         _ZN7rocprim17ROCPRIM_400000_NS6detail17trampoline_kernelINS0_13select_configILj256ELj13ELNS0_17block_load_methodE3ELS4_3ELS4_3ELNS0_20block_scan_algorithmE0ELj4294967295EEENS1_25partition_config_selectorILNS1_17partition_subalgoE3EjNS0_10empty_typeEbEEZZNS1_14partition_implILS8_3ELb0ES6_jNS0_17counting_iteratorIjlEEPS9_SE_NS0_5tupleIJPjSE_EEENSF_IJSE_SE_EEES9_SG_JZNS1_25segmented_radix_sort_implINS0_14default_configELb1EPKaPaPKlPlN2at6native12_GLOBAL__N_18offset_tEEE10hipError_tPvRmT1_PNSt15iterator_traitsISY_E10value_typeET2_T3_PNSZ_IS14_E10value_typeET4_jRbjT5_S1A_jjP12ihipStream_tbEUljE_EEESV_SW_SX_S14_S18_S1A_T6_T7_T9_mT8_S1C_bDpT10_ENKUlT_T0_E_clISt17integral_constantIbLb1EES1P_EEDaS1K_S1L_EUlS1K_E_NS1_11comp_targetILNS1_3genE5ELNS1_11target_archE942ELNS1_3gpuE9ELNS1_3repE0EEENS1_30default_config_static_selectorELNS0_4arch9wavefront6targetE0EEEvSY_.kd
    .uniform_work_group_size: 1
    .uses_dynamic_stack: false
    .vgpr_count:     0
    .vgpr_spill_count: 0
    .wavefront_size: 32
    .workgroup_processor_mode: 1
  - .args:
      - .offset:         0
        .size:           152
        .value_kind:     by_value
    .group_segment_fixed_size: 0
    .kernarg_segment_align: 8
    .kernarg_segment_size: 152
    .language:       OpenCL C
    .language_version:
      - 2
      - 0
    .max_flat_workgroup_size: 256
    .name:           _ZN7rocprim17ROCPRIM_400000_NS6detail17trampoline_kernelINS0_13select_configILj256ELj13ELNS0_17block_load_methodE3ELS4_3ELS4_3ELNS0_20block_scan_algorithmE0ELj4294967295EEENS1_25partition_config_selectorILNS1_17partition_subalgoE3EjNS0_10empty_typeEbEEZZNS1_14partition_implILS8_3ELb0ES6_jNS0_17counting_iteratorIjlEEPS9_SE_NS0_5tupleIJPjSE_EEENSF_IJSE_SE_EEES9_SG_JZNS1_25segmented_radix_sort_implINS0_14default_configELb1EPKaPaPKlPlN2at6native12_GLOBAL__N_18offset_tEEE10hipError_tPvRmT1_PNSt15iterator_traitsISY_E10value_typeET2_T3_PNSZ_IS14_E10value_typeET4_jRbjT5_S1A_jjP12ihipStream_tbEUljE_EEESV_SW_SX_S14_S18_S1A_T6_T7_T9_mT8_S1C_bDpT10_ENKUlT_T0_E_clISt17integral_constantIbLb1EES1P_EEDaS1K_S1L_EUlS1K_E_NS1_11comp_targetILNS1_3genE4ELNS1_11target_archE910ELNS1_3gpuE8ELNS1_3repE0EEENS1_30default_config_static_selectorELNS0_4arch9wavefront6targetE0EEEvSY_
    .private_segment_fixed_size: 0
    .sgpr_count:     0
    .sgpr_spill_count: 0
    .symbol:         _ZN7rocprim17ROCPRIM_400000_NS6detail17trampoline_kernelINS0_13select_configILj256ELj13ELNS0_17block_load_methodE3ELS4_3ELS4_3ELNS0_20block_scan_algorithmE0ELj4294967295EEENS1_25partition_config_selectorILNS1_17partition_subalgoE3EjNS0_10empty_typeEbEEZZNS1_14partition_implILS8_3ELb0ES6_jNS0_17counting_iteratorIjlEEPS9_SE_NS0_5tupleIJPjSE_EEENSF_IJSE_SE_EEES9_SG_JZNS1_25segmented_radix_sort_implINS0_14default_configELb1EPKaPaPKlPlN2at6native12_GLOBAL__N_18offset_tEEE10hipError_tPvRmT1_PNSt15iterator_traitsISY_E10value_typeET2_T3_PNSZ_IS14_E10value_typeET4_jRbjT5_S1A_jjP12ihipStream_tbEUljE_EEESV_SW_SX_S14_S18_S1A_T6_T7_T9_mT8_S1C_bDpT10_ENKUlT_T0_E_clISt17integral_constantIbLb1EES1P_EEDaS1K_S1L_EUlS1K_E_NS1_11comp_targetILNS1_3genE4ELNS1_11target_archE910ELNS1_3gpuE8ELNS1_3repE0EEENS1_30default_config_static_selectorELNS0_4arch9wavefront6targetE0EEEvSY_.kd
    .uniform_work_group_size: 1
    .uses_dynamic_stack: false
    .vgpr_count:     0
    .vgpr_spill_count: 0
    .wavefront_size: 32
    .workgroup_processor_mode: 1
  - .args:
      - .offset:         0
        .size:           152
        .value_kind:     by_value
    .group_segment_fixed_size: 0
    .kernarg_segment_align: 8
    .kernarg_segment_size: 152
    .language:       OpenCL C
    .language_version:
      - 2
      - 0
    .max_flat_workgroup_size: 256
    .name:           _ZN7rocprim17ROCPRIM_400000_NS6detail17trampoline_kernelINS0_13select_configILj256ELj13ELNS0_17block_load_methodE3ELS4_3ELS4_3ELNS0_20block_scan_algorithmE0ELj4294967295EEENS1_25partition_config_selectorILNS1_17partition_subalgoE3EjNS0_10empty_typeEbEEZZNS1_14partition_implILS8_3ELb0ES6_jNS0_17counting_iteratorIjlEEPS9_SE_NS0_5tupleIJPjSE_EEENSF_IJSE_SE_EEES9_SG_JZNS1_25segmented_radix_sort_implINS0_14default_configELb1EPKaPaPKlPlN2at6native12_GLOBAL__N_18offset_tEEE10hipError_tPvRmT1_PNSt15iterator_traitsISY_E10value_typeET2_T3_PNSZ_IS14_E10value_typeET4_jRbjT5_S1A_jjP12ihipStream_tbEUljE_EEESV_SW_SX_S14_S18_S1A_T6_T7_T9_mT8_S1C_bDpT10_ENKUlT_T0_E_clISt17integral_constantIbLb1EES1P_EEDaS1K_S1L_EUlS1K_E_NS1_11comp_targetILNS1_3genE3ELNS1_11target_archE908ELNS1_3gpuE7ELNS1_3repE0EEENS1_30default_config_static_selectorELNS0_4arch9wavefront6targetE0EEEvSY_
    .private_segment_fixed_size: 0
    .sgpr_count:     0
    .sgpr_spill_count: 0
    .symbol:         _ZN7rocprim17ROCPRIM_400000_NS6detail17trampoline_kernelINS0_13select_configILj256ELj13ELNS0_17block_load_methodE3ELS4_3ELS4_3ELNS0_20block_scan_algorithmE0ELj4294967295EEENS1_25partition_config_selectorILNS1_17partition_subalgoE3EjNS0_10empty_typeEbEEZZNS1_14partition_implILS8_3ELb0ES6_jNS0_17counting_iteratorIjlEEPS9_SE_NS0_5tupleIJPjSE_EEENSF_IJSE_SE_EEES9_SG_JZNS1_25segmented_radix_sort_implINS0_14default_configELb1EPKaPaPKlPlN2at6native12_GLOBAL__N_18offset_tEEE10hipError_tPvRmT1_PNSt15iterator_traitsISY_E10value_typeET2_T3_PNSZ_IS14_E10value_typeET4_jRbjT5_S1A_jjP12ihipStream_tbEUljE_EEESV_SW_SX_S14_S18_S1A_T6_T7_T9_mT8_S1C_bDpT10_ENKUlT_T0_E_clISt17integral_constantIbLb1EES1P_EEDaS1K_S1L_EUlS1K_E_NS1_11comp_targetILNS1_3genE3ELNS1_11target_archE908ELNS1_3gpuE7ELNS1_3repE0EEENS1_30default_config_static_selectorELNS0_4arch9wavefront6targetE0EEEvSY_.kd
    .uniform_work_group_size: 1
    .uses_dynamic_stack: false
    .vgpr_count:     0
    .vgpr_spill_count: 0
    .wavefront_size: 32
    .workgroup_processor_mode: 1
  - .args:
      - .offset:         0
        .size:           152
        .value_kind:     by_value
    .group_segment_fixed_size: 0
    .kernarg_segment_align: 8
    .kernarg_segment_size: 152
    .language:       OpenCL C
    .language_version:
      - 2
      - 0
    .max_flat_workgroup_size: 256
    .name:           _ZN7rocprim17ROCPRIM_400000_NS6detail17trampoline_kernelINS0_13select_configILj256ELj13ELNS0_17block_load_methodE3ELS4_3ELS4_3ELNS0_20block_scan_algorithmE0ELj4294967295EEENS1_25partition_config_selectorILNS1_17partition_subalgoE3EjNS0_10empty_typeEbEEZZNS1_14partition_implILS8_3ELb0ES6_jNS0_17counting_iteratorIjlEEPS9_SE_NS0_5tupleIJPjSE_EEENSF_IJSE_SE_EEES9_SG_JZNS1_25segmented_radix_sort_implINS0_14default_configELb1EPKaPaPKlPlN2at6native12_GLOBAL__N_18offset_tEEE10hipError_tPvRmT1_PNSt15iterator_traitsISY_E10value_typeET2_T3_PNSZ_IS14_E10value_typeET4_jRbjT5_S1A_jjP12ihipStream_tbEUljE_EEESV_SW_SX_S14_S18_S1A_T6_T7_T9_mT8_S1C_bDpT10_ENKUlT_T0_E_clISt17integral_constantIbLb1EES1P_EEDaS1K_S1L_EUlS1K_E_NS1_11comp_targetILNS1_3genE2ELNS1_11target_archE906ELNS1_3gpuE6ELNS1_3repE0EEENS1_30default_config_static_selectorELNS0_4arch9wavefront6targetE0EEEvSY_
    .private_segment_fixed_size: 0
    .sgpr_count:     0
    .sgpr_spill_count: 0
    .symbol:         _ZN7rocprim17ROCPRIM_400000_NS6detail17trampoline_kernelINS0_13select_configILj256ELj13ELNS0_17block_load_methodE3ELS4_3ELS4_3ELNS0_20block_scan_algorithmE0ELj4294967295EEENS1_25partition_config_selectorILNS1_17partition_subalgoE3EjNS0_10empty_typeEbEEZZNS1_14partition_implILS8_3ELb0ES6_jNS0_17counting_iteratorIjlEEPS9_SE_NS0_5tupleIJPjSE_EEENSF_IJSE_SE_EEES9_SG_JZNS1_25segmented_radix_sort_implINS0_14default_configELb1EPKaPaPKlPlN2at6native12_GLOBAL__N_18offset_tEEE10hipError_tPvRmT1_PNSt15iterator_traitsISY_E10value_typeET2_T3_PNSZ_IS14_E10value_typeET4_jRbjT5_S1A_jjP12ihipStream_tbEUljE_EEESV_SW_SX_S14_S18_S1A_T6_T7_T9_mT8_S1C_bDpT10_ENKUlT_T0_E_clISt17integral_constantIbLb1EES1P_EEDaS1K_S1L_EUlS1K_E_NS1_11comp_targetILNS1_3genE2ELNS1_11target_archE906ELNS1_3gpuE6ELNS1_3repE0EEENS1_30default_config_static_selectorELNS0_4arch9wavefront6targetE0EEEvSY_.kd
    .uniform_work_group_size: 1
    .uses_dynamic_stack: false
    .vgpr_count:     0
    .vgpr_spill_count: 0
    .wavefront_size: 32
    .workgroup_processor_mode: 1
  - .args:
      - .offset:         0
        .size:           152
        .value_kind:     by_value
    .group_segment_fixed_size: 0
    .kernarg_segment_align: 8
    .kernarg_segment_size: 152
    .language:       OpenCL C
    .language_version:
      - 2
      - 0
    .max_flat_workgroup_size: 256
    .name:           _ZN7rocprim17ROCPRIM_400000_NS6detail17trampoline_kernelINS0_13select_configILj256ELj13ELNS0_17block_load_methodE3ELS4_3ELS4_3ELNS0_20block_scan_algorithmE0ELj4294967295EEENS1_25partition_config_selectorILNS1_17partition_subalgoE3EjNS0_10empty_typeEbEEZZNS1_14partition_implILS8_3ELb0ES6_jNS0_17counting_iteratorIjlEEPS9_SE_NS0_5tupleIJPjSE_EEENSF_IJSE_SE_EEES9_SG_JZNS1_25segmented_radix_sort_implINS0_14default_configELb1EPKaPaPKlPlN2at6native12_GLOBAL__N_18offset_tEEE10hipError_tPvRmT1_PNSt15iterator_traitsISY_E10value_typeET2_T3_PNSZ_IS14_E10value_typeET4_jRbjT5_S1A_jjP12ihipStream_tbEUljE_EEESV_SW_SX_S14_S18_S1A_T6_T7_T9_mT8_S1C_bDpT10_ENKUlT_T0_E_clISt17integral_constantIbLb1EES1P_EEDaS1K_S1L_EUlS1K_E_NS1_11comp_targetILNS1_3genE10ELNS1_11target_archE1200ELNS1_3gpuE4ELNS1_3repE0EEENS1_30default_config_static_selectorELNS0_4arch9wavefront6targetE0EEEvSY_
    .private_segment_fixed_size: 0
    .sgpr_count:     0
    .sgpr_spill_count: 0
    .symbol:         _ZN7rocprim17ROCPRIM_400000_NS6detail17trampoline_kernelINS0_13select_configILj256ELj13ELNS0_17block_load_methodE3ELS4_3ELS4_3ELNS0_20block_scan_algorithmE0ELj4294967295EEENS1_25partition_config_selectorILNS1_17partition_subalgoE3EjNS0_10empty_typeEbEEZZNS1_14partition_implILS8_3ELb0ES6_jNS0_17counting_iteratorIjlEEPS9_SE_NS0_5tupleIJPjSE_EEENSF_IJSE_SE_EEES9_SG_JZNS1_25segmented_radix_sort_implINS0_14default_configELb1EPKaPaPKlPlN2at6native12_GLOBAL__N_18offset_tEEE10hipError_tPvRmT1_PNSt15iterator_traitsISY_E10value_typeET2_T3_PNSZ_IS14_E10value_typeET4_jRbjT5_S1A_jjP12ihipStream_tbEUljE_EEESV_SW_SX_S14_S18_S1A_T6_T7_T9_mT8_S1C_bDpT10_ENKUlT_T0_E_clISt17integral_constantIbLb1EES1P_EEDaS1K_S1L_EUlS1K_E_NS1_11comp_targetILNS1_3genE10ELNS1_11target_archE1200ELNS1_3gpuE4ELNS1_3repE0EEENS1_30default_config_static_selectorELNS0_4arch9wavefront6targetE0EEEvSY_.kd
    .uniform_work_group_size: 1
    .uses_dynamic_stack: false
    .vgpr_count:     0
    .vgpr_spill_count: 0
    .wavefront_size: 32
    .workgroup_processor_mode: 1
  - .args:
      - .offset:         0
        .size:           152
        .value_kind:     by_value
    .group_segment_fixed_size: 0
    .kernarg_segment_align: 8
    .kernarg_segment_size: 152
    .language:       OpenCL C
    .language_version:
      - 2
      - 0
    .max_flat_workgroup_size: 256
    .name:           _ZN7rocprim17ROCPRIM_400000_NS6detail17trampoline_kernelINS0_13select_configILj256ELj13ELNS0_17block_load_methodE3ELS4_3ELS4_3ELNS0_20block_scan_algorithmE0ELj4294967295EEENS1_25partition_config_selectorILNS1_17partition_subalgoE3EjNS0_10empty_typeEbEEZZNS1_14partition_implILS8_3ELb0ES6_jNS0_17counting_iteratorIjlEEPS9_SE_NS0_5tupleIJPjSE_EEENSF_IJSE_SE_EEES9_SG_JZNS1_25segmented_radix_sort_implINS0_14default_configELb1EPKaPaPKlPlN2at6native12_GLOBAL__N_18offset_tEEE10hipError_tPvRmT1_PNSt15iterator_traitsISY_E10value_typeET2_T3_PNSZ_IS14_E10value_typeET4_jRbjT5_S1A_jjP12ihipStream_tbEUljE_EEESV_SW_SX_S14_S18_S1A_T6_T7_T9_mT8_S1C_bDpT10_ENKUlT_T0_E_clISt17integral_constantIbLb1EES1P_EEDaS1K_S1L_EUlS1K_E_NS1_11comp_targetILNS1_3genE9ELNS1_11target_archE1100ELNS1_3gpuE3ELNS1_3repE0EEENS1_30default_config_static_selectorELNS0_4arch9wavefront6targetE0EEEvSY_
    .private_segment_fixed_size: 0
    .sgpr_count:     0
    .sgpr_spill_count: 0
    .symbol:         _ZN7rocprim17ROCPRIM_400000_NS6detail17trampoline_kernelINS0_13select_configILj256ELj13ELNS0_17block_load_methodE3ELS4_3ELS4_3ELNS0_20block_scan_algorithmE0ELj4294967295EEENS1_25partition_config_selectorILNS1_17partition_subalgoE3EjNS0_10empty_typeEbEEZZNS1_14partition_implILS8_3ELb0ES6_jNS0_17counting_iteratorIjlEEPS9_SE_NS0_5tupleIJPjSE_EEENSF_IJSE_SE_EEES9_SG_JZNS1_25segmented_radix_sort_implINS0_14default_configELb1EPKaPaPKlPlN2at6native12_GLOBAL__N_18offset_tEEE10hipError_tPvRmT1_PNSt15iterator_traitsISY_E10value_typeET2_T3_PNSZ_IS14_E10value_typeET4_jRbjT5_S1A_jjP12ihipStream_tbEUljE_EEESV_SW_SX_S14_S18_S1A_T6_T7_T9_mT8_S1C_bDpT10_ENKUlT_T0_E_clISt17integral_constantIbLb1EES1P_EEDaS1K_S1L_EUlS1K_E_NS1_11comp_targetILNS1_3genE9ELNS1_11target_archE1100ELNS1_3gpuE3ELNS1_3repE0EEENS1_30default_config_static_selectorELNS0_4arch9wavefront6targetE0EEEvSY_.kd
    .uniform_work_group_size: 1
    .uses_dynamic_stack: false
    .vgpr_count:     0
    .vgpr_spill_count: 0
    .wavefront_size: 32
    .workgroup_processor_mode: 1
  - .args:
      - .offset:         0
        .size:           152
        .value_kind:     by_value
    .group_segment_fixed_size: 0
    .kernarg_segment_align: 8
    .kernarg_segment_size: 152
    .language:       OpenCL C
    .language_version:
      - 2
      - 0
    .max_flat_workgroup_size: 256
    .name:           _ZN7rocprim17ROCPRIM_400000_NS6detail17trampoline_kernelINS0_13select_configILj256ELj13ELNS0_17block_load_methodE3ELS4_3ELS4_3ELNS0_20block_scan_algorithmE0ELj4294967295EEENS1_25partition_config_selectorILNS1_17partition_subalgoE3EjNS0_10empty_typeEbEEZZNS1_14partition_implILS8_3ELb0ES6_jNS0_17counting_iteratorIjlEEPS9_SE_NS0_5tupleIJPjSE_EEENSF_IJSE_SE_EEES9_SG_JZNS1_25segmented_radix_sort_implINS0_14default_configELb1EPKaPaPKlPlN2at6native12_GLOBAL__N_18offset_tEEE10hipError_tPvRmT1_PNSt15iterator_traitsISY_E10value_typeET2_T3_PNSZ_IS14_E10value_typeET4_jRbjT5_S1A_jjP12ihipStream_tbEUljE_EEESV_SW_SX_S14_S18_S1A_T6_T7_T9_mT8_S1C_bDpT10_ENKUlT_T0_E_clISt17integral_constantIbLb1EES1P_EEDaS1K_S1L_EUlS1K_E_NS1_11comp_targetILNS1_3genE8ELNS1_11target_archE1030ELNS1_3gpuE2ELNS1_3repE0EEENS1_30default_config_static_selectorELNS0_4arch9wavefront6targetE0EEEvSY_
    .private_segment_fixed_size: 0
    .sgpr_count:     0
    .sgpr_spill_count: 0
    .symbol:         _ZN7rocprim17ROCPRIM_400000_NS6detail17trampoline_kernelINS0_13select_configILj256ELj13ELNS0_17block_load_methodE3ELS4_3ELS4_3ELNS0_20block_scan_algorithmE0ELj4294967295EEENS1_25partition_config_selectorILNS1_17partition_subalgoE3EjNS0_10empty_typeEbEEZZNS1_14partition_implILS8_3ELb0ES6_jNS0_17counting_iteratorIjlEEPS9_SE_NS0_5tupleIJPjSE_EEENSF_IJSE_SE_EEES9_SG_JZNS1_25segmented_radix_sort_implINS0_14default_configELb1EPKaPaPKlPlN2at6native12_GLOBAL__N_18offset_tEEE10hipError_tPvRmT1_PNSt15iterator_traitsISY_E10value_typeET2_T3_PNSZ_IS14_E10value_typeET4_jRbjT5_S1A_jjP12ihipStream_tbEUljE_EEESV_SW_SX_S14_S18_S1A_T6_T7_T9_mT8_S1C_bDpT10_ENKUlT_T0_E_clISt17integral_constantIbLb1EES1P_EEDaS1K_S1L_EUlS1K_E_NS1_11comp_targetILNS1_3genE8ELNS1_11target_archE1030ELNS1_3gpuE2ELNS1_3repE0EEENS1_30default_config_static_selectorELNS0_4arch9wavefront6targetE0EEEvSY_.kd
    .uniform_work_group_size: 1
    .uses_dynamic_stack: false
    .vgpr_count:     0
    .vgpr_spill_count: 0
    .wavefront_size: 32
    .workgroup_processor_mode: 1
  - .args:
      - .offset:         0
        .size:           144
        .value_kind:     by_value
    .group_segment_fixed_size: 0
    .kernarg_segment_align: 8
    .kernarg_segment_size: 144
    .language:       OpenCL C
    .language_version:
      - 2
      - 0
    .max_flat_workgroup_size: 256
    .name:           _ZN7rocprim17ROCPRIM_400000_NS6detail17trampoline_kernelINS0_13select_configILj256ELj13ELNS0_17block_load_methodE3ELS4_3ELS4_3ELNS0_20block_scan_algorithmE0ELj4294967295EEENS1_25partition_config_selectorILNS1_17partition_subalgoE3EjNS0_10empty_typeEbEEZZNS1_14partition_implILS8_3ELb0ES6_jNS0_17counting_iteratorIjlEEPS9_SE_NS0_5tupleIJPjSE_EEENSF_IJSE_SE_EEES9_SG_JZNS1_25segmented_radix_sort_implINS0_14default_configELb1EPKaPaPKlPlN2at6native12_GLOBAL__N_18offset_tEEE10hipError_tPvRmT1_PNSt15iterator_traitsISY_E10value_typeET2_T3_PNSZ_IS14_E10value_typeET4_jRbjT5_S1A_jjP12ihipStream_tbEUljE_EEESV_SW_SX_S14_S18_S1A_T6_T7_T9_mT8_S1C_bDpT10_ENKUlT_T0_E_clISt17integral_constantIbLb1EES1O_IbLb0EEEEDaS1K_S1L_EUlS1K_E_NS1_11comp_targetILNS1_3genE0ELNS1_11target_archE4294967295ELNS1_3gpuE0ELNS1_3repE0EEENS1_30default_config_static_selectorELNS0_4arch9wavefront6targetE0EEEvSY_
    .private_segment_fixed_size: 0
    .sgpr_count:     0
    .sgpr_spill_count: 0
    .symbol:         _ZN7rocprim17ROCPRIM_400000_NS6detail17trampoline_kernelINS0_13select_configILj256ELj13ELNS0_17block_load_methodE3ELS4_3ELS4_3ELNS0_20block_scan_algorithmE0ELj4294967295EEENS1_25partition_config_selectorILNS1_17partition_subalgoE3EjNS0_10empty_typeEbEEZZNS1_14partition_implILS8_3ELb0ES6_jNS0_17counting_iteratorIjlEEPS9_SE_NS0_5tupleIJPjSE_EEENSF_IJSE_SE_EEES9_SG_JZNS1_25segmented_radix_sort_implINS0_14default_configELb1EPKaPaPKlPlN2at6native12_GLOBAL__N_18offset_tEEE10hipError_tPvRmT1_PNSt15iterator_traitsISY_E10value_typeET2_T3_PNSZ_IS14_E10value_typeET4_jRbjT5_S1A_jjP12ihipStream_tbEUljE_EEESV_SW_SX_S14_S18_S1A_T6_T7_T9_mT8_S1C_bDpT10_ENKUlT_T0_E_clISt17integral_constantIbLb1EES1O_IbLb0EEEEDaS1K_S1L_EUlS1K_E_NS1_11comp_targetILNS1_3genE0ELNS1_11target_archE4294967295ELNS1_3gpuE0ELNS1_3repE0EEENS1_30default_config_static_selectorELNS0_4arch9wavefront6targetE0EEEvSY_.kd
    .uniform_work_group_size: 1
    .uses_dynamic_stack: false
    .vgpr_count:     0
    .vgpr_spill_count: 0
    .wavefront_size: 32
    .workgroup_processor_mode: 1
  - .args:
      - .offset:         0
        .size:           144
        .value_kind:     by_value
    .group_segment_fixed_size: 0
    .kernarg_segment_align: 8
    .kernarg_segment_size: 144
    .language:       OpenCL C
    .language_version:
      - 2
      - 0
    .max_flat_workgroup_size: 256
    .name:           _ZN7rocprim17ROCPRIM_400000_NS6detail17trampoline_kernelINS0_13select_configILj256ELj13ELNS0_17block_load_methodE3ELS4_3ELS4_3ELNS0_20block_scan_algorithmE0ELj4294967295EEENS1_25partition_config_selectorILNS1_17partition_subalgoE3EjNS0_10empty_typeEbEEZZNS1_14partition_implILS8_3ELb0ES6_jNS0_17counting_iteratorIjlEEPS9_SE_NS0_5tupleIJPjSE_EEENSF_IJSE_SE_EEES9_SG_JZNS1_25segmented_radix_sort_implINS0_14default_configELb1EPKaPaPKlPlN2at6native12_GLOBAL__N_18offset_tEEE10hipError_tPvRmT1_PNSt15iterator_traitsISY_E10value_typeET2_T3_PNSZ_IS14_E10value_typeET4_jRbjT5_S1A_jjP12ihipStream_tbEUljE_EEESV_SW_SX_S14_S18_S1A_T6_T7_T9_mT8_S1C_bDpT10_ENKUlT_T0_E_clISt17integral_constantIbLb1EES1O_IbLb0EEEEDaS1K_S1L_EUlS1K_E_NS1_11comp_targetILNS1_3genE5ELNS1_11target_archE942ELNS1_3gpuE9ELNS1_3repE0EEENS1_30default_config_static_selectorELNS0_4arch9wavefront6targetE0EEEvSY_
    .private_segment_fixed_size: 0
    .sgpr_count:     0
    .sgpr_spill_count: 0
    .symbol:         _ZN7rocprim17ROCPRIM_400000_NS6detail17trampoline_kernelINS0_13select_configILj256ELj13ELNS0_17block_load_methodE3ELS4_3ELS4_3ELNS0_20block_scan_algorithmE0ELj4294967295EEENS1_25partition_config_selectorILNS1_17partition_subalgoE3EjNS0_10empty_typeEbEEZZNS1_14partition_implILS8_3ELb0ES6_jNS0_17counting_iteratorIjlEEPS9_SE_NS0_5tupleIJPjSE_EEENSF_IJSE_SE_EEES9_SG_JZNS1_25segmented_radix_sort_implINS0_14default_configELb1EPKaPaPKlPlN2at6native12_GLOBAL__N_18offset_tEEE10hipError_tPvRmT1_PNSt15iterator_traitsISY_E10value_typeET2_T3_PNSZ_IS14_E10value_typeET4_jRbjT5_S1A_jjP12ihipStream_tbEUljE_EEESV_SW_SX_S14_S18_S1A_T6_T7_T9_mT8_S1C_bDpT10_ENKUlT_T0_E_clISt17integral_constantIbLb1EES1O_IbLb0EEEEDaS1K_S1L_EUlS1K_E_NS1_11comp_targetILNS1_3genE5ELNS1_11target_archE942ELNS1_3gpuE9ELNS1_3repE0EEENS1_30default_config_static_selectorELNS0_4arch9wavefront6targetE0EEEvSY_.kd
    .uniform_work_group_size: 1
    .uses_dynamic_stack: false
    .vgpr_count:     0
    .vgpr_spill_count: 0
    .wavefront_size: 32
    .workgroup_processor_mode: 1
  - .args:
      - .offset:         0
        .size:           144
        .value_kind:     by_value
    .group_segment_fixed_size: 0
    .kernarg_segment_align: 8
    .kernarg_segment_size: 144
    .language:       OpenCL C
    .language_version:
      - 2
      - 0
    .max_flat_workgroup_size: 256
    .name:           _ZN7rocprim17ROCPRIM_400000_NS6detail17trampoline_kernelINS0_13select_configILj256ELj13ELNS0_17block_load_methodE3ELS4_3ELS4_3ELNS0_20block_scan_algorithmE0ELj4294967295EEENS1_25partition_config_selectorILNS1_17partition_subalgoE3EjNS0_10empty_typeEbEEZZNS1_14partition_implILS8_3ELb0ES6_jNS0_17counting_iteratorIjlEEPS9_SE_NS0_5tupleIJPjSE_EEENSF_IJSE_SE_EEES9_SG_JZNS1_25segmented_radix_sort_implINS0_14default_configELb1EPKaPaPKlPlN2at6native12_GLOBAL__N_18offset_tEEE10hipError_tPvRmT1_PNSt15iterator_traitsISY_E10value_typeET2_T3_PNSZ_IS14_E10value_typeET4_jRbjT5_S1A_jjP12ihipStream_tbEUljE_EEESV_SW_SX_S14_S18_S1A_T6_T7_T9_mT8_S1C_bDpT10_ENKUlT_T0_E_clISt17integral_constantIbLb1EES1O_IbLb0EEEEDaS1K_S1L_EUlS1K_E_NS1_11comp_targetILNS1_3genE4ELNS1_11target_archE910ELNS1_3gpuE8ELNS1_3repE0EEENS1_30default_config_static_selectorELNS0_4arch9wavefront6targetE0EEEvSY_
    .private_segment_fixed_size: 0
    .sgpr_count:     0
    .sgpr_spill_count: 0
    .symbol:         _ZN7rocprim17ROCPRIM_400000_NS6detail17trampoline_kernelINS0_13select_configILj256ELj13ELNS0_17block_load_methodE3ELS4_3ELS4_3ELNS0_20block_scan_algorithmE0ELj4294967295EEENS1_25partition_config_selectorILNS1_17partition_subalgoE3EjNS0_10empty_typeEbEEZZNS1_14partition_implILS8_3ELb0ES6_jNS0_17counting_iteratorIjlEEPS9_SE_NS0_5tupleIJPjSE_EEENSF_IJSE_SE_EEES9_SG_JZNS1_25segmented_radix_sort_implINS0_14default_configELb1EPKaPaPKlPlN2at6native12_GLOBAL__N_18offset_tEEE10hipError_tPvRmT1_PNSt15iterator_traitsISY_E10value_typeET2_T3_PNSZ_IS14_E10value_typeET4_jRbjT5_S1A_jjP12ihipStream_tbEUljE_EEESV_SW_SX_S14_S18_S1A_T6_T7_T9_mT8_S1C_bDpT10_ENKUlT_T0_E_clISt17integral_constantIbLb1EES1O_IbLb0EEEEDaS1K_S1L_EUlS1K_E_NS1_11comp_targetILNS1_3genE4ELNS1_11target_archE910ELNS1_3gpuE8ELNS1_3repE0EEENS1_30default_config_static_selectorELNS0_4arch9wavefront6targetE0EEEvSY_.kd
    .uniform_work_group_size: 1
    .uses_dynamic_stack: false
    .vgpr_count:     0
    .vgpr_spill_count: 0
    .wavefront_size: 32
    .workgroup_processor_mode: 1
  - .args:
      - .offset:         0
        .size:           144
        .value_kind:     by_value
    .group_segment_fixed_size: 0
    .kernarg_segment_align: 8
    .kernarg_segment_size: 144
    .language:       OpenCL C
    .language_version:
      - 2
      - 0
    .max_flat_workgroup_size: 256
    .name:           _ZN7rocprim17ROCPRIM_400000_NS6detail17trampoline_kernelINS0_13select_configILj256ELj13ELNS0_17block_load_methodE3ELS4_3ELS4_3ELNS0_20block_scan_algorithmE0ELj4294967295EEENS1_25partition_config_selectorILNS1_17partition_subalgoE3EjNS0_10empty_typeEbEEZZNS1_14partition_implILS8_3ELb0ES6_jNS0_17counting_iteratorIjlEEPS9_SE_NS0_5tupleIJPjSE_EEENSF_IJSE_SE_EEES9_SG_JZNS1_25segmented_radix_sort_implINS0_14default_configELb1EPKaPaPKlPlN2at6native12_GLOBAL__N_18offset_tEEE10hipError_tPvRmT1_PNSt15iterator_traitsISY_E10value_typeET2_T3_PNSZ_IS14_E10value_typeET4_jRbjT5_S1A_jjP12ihipStream_tbEUljE_EEESV_SW_SX_S14_S18_S1A_T6_T7_T9_mT8_S1C_bDpT10_ENKUlT_T0_E_clISt17integral_constantIbLb1EES1O_IbLb0EEEEDaS1K_S1L_EUlS1K_E_NS1_11comp_targetILNS1_3genE3ELNS1_11target_archE908ELNS1_3gpuE7ELNS1_3repE0EEENS1_30default_config_static_selectorELNS0_4arch9wavefront6targetE0EEEvSY_
    .private_segment_fixed_size: 0
    .sgpr_count:     0
    .sgpr_spill_count: 0
    .symbol:         _ZN7rocprim17ROCPRIM_400000_NS6detail17trampoline_kernelINS0_13select_configILj256ELj13ELNS0_17block_load_methodE3ELS4_3ELS4_3ELNS0_20block_scan_algorithmE0ELj4294967295EEENS1_25partition_config_selectorILNS1_17partition_subalgoE3EjNS0_10empty_typeEbEEZZNS1_14partition_implILS8_3ELb0ES6_jNS0_17counting_iteratorIjlEEPS9_SE_NS0_5tupleIJPjSE_EEENSF_IJSE_SE_EEES9_SG_JZNS1_25segmented_radix_sort_implINS0_14default_configELb1EPKaPaPKlPlN2at6native12_GLOBAL__N_18offset_tEEE10hipError_tPvRmT1_PNSt15iterator_traitsISY_E10value_typeET2_T3_PNSZ_IS14_E10value_typeET4_jRbjT5_S1A_jjP12ihipStream_tbEUljE_EEESV_SW_SX_S14_S18_S1A_T6_T7_T9_mT8_S1C_bDpT10_ENKUlT_T0_E_clISt17integral_constantIbLb1EES1O_IbLb0EEEEDaS1K_S1L_EUlS1K_E_NS1_11comp_targetILNS1_3genE3ELNS1_11target_archE908ELNS1_3gpuE7ELNS1_3repE0EEENS1_30default_config_static_selectorELNS0_4arch9wavefront6targetE0EEEvSY_.kd
    .uniform_work_group_size: 1
    .uses_dynamic_stack: false
    .vgpr_count:     0
    .vgpr_spill_count: 0
    .wavefront_size: 32
    .workgroup_processor_mode: 1
  - .args:
      - .offset:         0
        .size:           144
        .value_kind:     by_value
    .group_segment_fixed_size: 0
    .kernarg_segment_align: 8
    .kernarg_segment_size: 144
    .language:       OpenCL C
    .language_version:
      - 2
      - 0
    .max_flat_workgroup_size: 256
    .name:           _ZN7rocprim17ROCPRIM_400000_NS6detail17trampoline_kernelINS0_13select_configILj256ELj13ELNS0_17block_load_methodE3ELS4_3ELS4_3ELNS0_20block_scan_algorithmE0ELj4294967295EEENS1_25partition_config_selectorILNS1_17partition_subalgoE3EjNS0_10empty_typeEbEEZZNS1_14partition_implILS8_3ELb0ES6_jNS0_17counting_iteratorIjlEEPS9_SE_NS0_5tupleIJPjSE_EEENSF_IJSE_SE_EEES9_SG_JZNS1_25segmented_radix_sort_implINS0_14default_configELb1EPKaPaPKlPlN2at6native12_GLOBAL__N_18offset_tEEE10hipError_tPvRmT1_PNSt15iterator_traitsISY_E10value_typeET2_T3_PNSZ_IS14_E10value_typeET4_jRbjT5_S1A_jjP12ihipStream_tbEUljE_EEESV_SW_SX_S14_S18_S1A_T6_T7_T9_mT8_S1C_bDpT10_ENKUlT_T0_E_clISt17integral_constantIbLb1EES1O_IbLb0EEEEDaS1K_S1L_EUlS1K_E_NS1_11comp_targetILNS1_3genE2ELNS1_11target_archE906ELNS1_3gpuE6ELNS1_3repE0EEENS1_30default_config_static_selectorELNS0_4arch9wavefront6targetE0EEEvSY_
    .private_segment_fixed_size: 0
    .sgpr_count:     0
    .sgpr_spill_count: 0
    .symbol:         _ZN7rocprim17ROCPRIM_400000_NS6detail17trampoline_kernelINS0_13select_configILj256ELj13ELNS0_17block_load_methodE3ELS4_3ELS4_3ELNS0_20block_scan_algorithmE0ELj4294967295EEENS1_25partition_config_selectorILNS1_17partition_subalgoE3EjNS0_10empty_typeEbEEZZNS1_14partition_implILS8_3ELb0ES6_jNS0_17counting_iteratorIjlEEPS9_SE_NS0_5tupleIJPjSE_EEENSF_IJSE_SE_EEES9_SG_JZNS1_25segmented_radix_sort_implINS0_14default_configELb1EPKaPaPKlPlN2at6native12_GLOBAL__N_18offset_tEEE10hipError_tPvRmT1_PNSt15iterator_traitsISY_E10value_typeET2_T3_PNSZ_IS14_E10value_typeET4_jRbjT5_S1A_jjP12ihipStream_tbEUljE_EEESV_SW_SX_S14_S18_S1A_T6_T7_T9_mT8_S1C_bDpT10_ENKUlT_T0_E_clISt17integral_constantIbLb1EES1O_IbLb0EEEEDaS1K_S1L_EUlS1K_E_NS1_11comp_targetILNS1_3genE2ELNS1_11target_archE906ELNS1_3gpuE6ELNS1_3repE0EEENS1_30default_config_static_selectorELNS0_4arch9wavefront6targetE0EEEvSY_.kd
    .uniform_work_group_size: 1
    .uses_dynamic_stack: false
    .vgpr_count:     0
    .vgpr_spill_count: 0
    .wavefront_size: 32
    .workgroup_processor_mode: 1
  - .args:
      - .offset:         0
        .size:           144
        .value_kind:     by_value
    .group_segment_fixed_size: 0
    .kernarg_segment_align: 8
    .kernarg_segment_size: 144
    .language:       OpenCL C
    .language_version:
      - 2
      - 0
    .max_flat_workgroup_size: 256
    .name:           _ZN7rocprim17ROCPRIM_400000_NS6detail17trampoline_kernelINS0_13select_configILj256ELj13ELNS0_17block_load_methodE3ELS4_3ELS4_3ELNS0_20block_scan_algorithmE0ELj4294967295EEENS1_25partition_config_selectorILNS1_17partition_subalgoE3EjNS0_10empty_typeEbEEZZNS1_14partition_implILS8_3ELb0ES6_jNS0_17counting_iteratorIjlEEPS9_SE_NS0_5tupleIJPjSE_EEENSF_IJSE_SE_EEES9_SG_JZNS1_25segmented_radix_sort_implINS0_14default_configELb1EPKaPaPKlPlN2at6native12_GLOBAL__N_18offset_tEEE10hipError_tPvRmT1_PNSt15iterator_traitsISY_E10value_typeET2_T3_PNSZ_IS14_E10value_typeET4_jRbjT5_S1A_jjP12ihipStream_tbEUljE_EEESV_SW_SX_S14_S18_S1A_T6_T7_T9_mT8_S1C_bDpT10_ENKUlT_T0_E_clISt17integral_constantIbLb1EES1O_IbLb0EEEEDaS1K_S1L_EUlS1K_E_NS1_11comp_targetILNS1_3genE10ELNS1_11target_archE1200ELNS1_3gpuE4ELNS1_3repE0EEENS1_30default_config_static_selectorELNS0_4arch9wavefront6targetE0EEEvSY_
    .private_segment_fixed_size: 0
    .sgpr_count:     0
    .sgpr_spill_count: 0
    .symbol:         _ZN7rocprim17ROCPRIM_400000_NS6detail17trampoline_kernelINS0_13select_configILj256ELj13ELNS0_17block_load_methodE3ELS4_3ELS4_3ELNS0_20block_scan_algorithmE0ELj4294967295EEENS1_25partition_config_selectorILNS1_17partition_subalgoE3EjNS0_10empty_typeEbEEZZNS1_14partition_implILS8_3ELb0ES6_jNS0_17counting_iteratorIjlEEPS9_SE_NS0_5tupleIJPjSE_EEENSF_IJSE_SE_EEES9_SG_JZNS1_25segmented_radix_sort_implINS0_14default_configELb1EPKaPaPKlPlN2at6native12_GLOBAL__N_18offset_tEEE10hipError_tPvRmT1_PNSt15iterator_traitsISY_E10value_typeET2_T3_PNSZ_IS14_E10value_typeET4_jRbjT5_S1A_jjP12ihipStream_tbEUljE_EEESV_SW_SX_S14_S18_S1A_T6_T7_T9_mT8_S1C_bDpT10_ENKUlT_T0_E_clISt17integral_constantIbLb1EES1O_IbLb0EEEEDaS1K_S1L_EUlS1K_E_NS1_11comp_targetILNS1_3genE10ELNS1_11target_archE1200ELNS1_3gpuE4ELNS1_3repE0EEENS1_30default_config_static_selectorELNS0_4arch9wavefront6targetE0EEEvSY_.kd
    .uniform_work_group_size: 1
    .uses_dynamic_stack: false
    .vgpr_count:     0
    .vgpr_spill_count: 0
    .wavefront_size: 32
    .workgroup_processor_mode: 1
  - .args:
      - .offset:         0
        .size:           144
        .value_kind:     by_value
    .group_segment_fixed_size: 0
    .kernarg_segment_align: 8
    .kernarg_segment_size: 144
    .language:       OpenCL C
    .language_version:
      - 2
      - 0
    .max_flat_workgroup_size: 256
    .name:           _ZN7rocprim17ROCPRIM_400000_NS6detail17trampoline_kernelINS0_13select_configILj256ELj13ELNS0_17block_load_methodE3ELS4_3ELS4_3ELNS0_20block_scan_algorithmE0ELj4294967295EEENS1_25partition_config_selectorILNS1_17partition_subalgoE3EjNS0_10empty_typeEbEEZZNS1_14partition_implILS8_3ELb0ES6_jNS0_17counting_iteratorIjlEEPS9_SE_NS0_5tupleIJPjSE_EEENSF_IJSE_SE_EEES9_SG_JZNS1_25segmented_radix_sort_implINS0_14default_configELb1EPKaPaPKlPlN2at6native12_GLOBAL__N_18offset_tEEE10hipError_tPvRmT1_PNSt15iterator_traitsISY_E10value_typeET2_T3_PNSZ_IS14_E10value_typeET4_jRbjT5_S1A_jjP12ihipStream_tbEUljE_EEESV_SW_SX_S14_S18_S1A_T6_T7_T9_mT8_S1C_bDpT10_ENKUlT_T0_E_clISt17integral_constantIbLb1EES1O_IbLb0EEEEDaS1K_S1L_EUlS1K_E_NS1_11comp_targetILNS1_3genE9ELNS1_11target_archE1100ELNS1_3gpuE3ELNS1_3repE0EEENS1_30default_config_static_selectorELNS0_4arch9wavefront6targetE0EEEvSY_
    .private_segment_fixed_size: 0
    .sgpr_count:     0
    .sgpr_spill_count: 0
    .symbol:         _ZN7rocprim17ROCPRIM_400000_NS6detail17trampoline_kernelINS0_13select_configILj256ELj13ELNS0_17block_load_methodE3ELS4_3ELS4_3ELNS0_20block_scan_algorithmE0ELj4294967295EEENS1_25partition_config_selectorILNS1_17partition_subalgoE3EjNS0_10empty_typeEbEEZZNS1_14partition_implILS8_3ELb0ES6_jNS0_17counting_iteratorIjlEEPS9_SE_NS0_5tupleIJPjSE_EEENSF_IJSE_SE_EEES9_SG_JZNS1_25segmented_radix_sort_implINS0_14default_configELb1EPKaPaPKlPlN2at6native12_GLOBAL__N_18offset_tEEE10hipError_tPvRmT1_PNSt15iterator_traitsISY_E10value_typeET2_T3_PNSZ_IS14_E10value_typeET4_jRbjT5_S1A_jjP12ihipStream_tbEUljE_EEESV_SW_SX_S14_S18_S1A_T6_T7_T9_mT8_S1C_bDpT10_ENKUlT_T0_E_clISt17integral_constantIbLb1EES1O_IbLb0EEEEDaS1K_S1L_EUlS1K_E_NS1_11comp_targetILNS1_3genE9ELNS1_11target_archE1100ELNS1_3gpuE3ELNS1_3repE0EEENS1_30default_config_static_selectorELNS0_4arch9wavefront6targetE0EEEvSY_.kd
    .uniform_work_group_size: 1
    .uses_dynamic_stack: false
    .vgpr_count:     0
    .vgpr_spill_count: 0
    .wavefront_size: 32
    .workgroup_processor_mode: 1
  - .args:
      - .offset:         0
        .size:           144
        .value_kind:     by_value
    .group_segment_fixed_size: 0
    .kernarg_segment_align: 8
    .kernarg_segment_size: 144
    .language:       OpenCL C
    .language_version:
      - 2
      - 0
    .max_flat_workgroup_size: 256
    .name:           _ZN7rocprim17ROCPRIM_400000_NS6detail17trampoline_kernelINS0_13select_configILj256ELj13ELNS0_17block_load_methodE3ELS4_3ELS4_3ELNS0_20block_scan_algorithmE0ELj4294967295EEENS1_25partition_config_selectorILNS1_17partition_subalgoE3EjNS0_10empty_typeEbEEZZNS1_14partition_implILS8_3ELb0ES6_jNS0_17counting_iteratorIjlEEPS9_SE_NS0_5tupleIJPjSE_EEENSF_IJSE_SE_EEES9_SG_JZNS1_25segmented_radix_sort_implINS0_14default_configELb1EPKaPaPKlPlN2at6native12_GLOBAL__N_18offset_tEEE10hipError_tPvRmT1_PNSt15iterator_traitsISY_E10value_typeET2_T3_PNSZ_IS14_E10value_typeET4_jRbjT5_S1A_jjP12ihipStream_tbEUljE_EEESV_SW_SX_S14_S18_S1A_T6_T7_T9_mT8_S1C_bDpT10_ENKUlT_T0_E_clISt17integral_constantIbLb1EES1O_IbLb0EEEEDaS1K_S1L_EUlS1K_E_NS1_11comp_targetILNS1_3genE8ELNS1_11target_archE1030ELNS1_3gpuE2ELNS1_3repE0EEENS1_30default_config_static_selectorELNS0_4arch9wavefront6targetE0EEEvSY_
    .private_segment_fixed_size: 0
    .sgpr_count:     0
    .sgpr_spill_count: 0
    .symbol:         _ZN7rocprim17ROCPRIM_400000_NS6detail17trampoline_kernelINS0_13select_configILj256ELj13ELNS0_17block_load_methodE3ELS4_3ELS4_3ELNS0_20block_scan_algorithmE0ELj4294967295EEENS1_25partition_config_selectorILNS1_17partition_subalgoE3EjNS0_10empty_typeEbEEZZNS1_14partition_implILS8_3ELb0ES6_jNS0_17counting_iteratorIjlEEPS9_SE_NS0_5tupleIJPjSE_EEENSF_IJSE_SE_EEES9_SG_JZNS1_25segmented_radix_sort_implINS0_14default_configELb1EPKaPaPKlPlN2at6native12_GLOBAL__N_18offset_tEEE10hipError_tPvRmT1_PNSt15iterator_traitsISY_E10value_typeET2_T3_PNSZ_IS14_E10value_typeET4_jRbjT5_S1A_jjP12ihipStream_tbEUljE_EEESV_SW_SX_S14_S18_S1A_T6_T7_T9_mT8_S1C_bDpT10_ENKUlT_T0_E_clISt17integral_constantIbLb1EES1O_IbLb0EEEEDaS1K_S1L_EUlS1K_E_NS1_11comp_targetILNS1_3genE8ELNS1_11target_archE1030ELNS1_3gpuE2ELNS1_3repE0EEENS1_30default_config_static_selectorELNS0_4arch9wavefront6targetE0EEEvSY_.kd
    .uniform_work_group_size: 1
    .uses_dynamic_stack: false
    .vgpr_count:     0
    .vgpr_spill_count: 0
    .wavefront_size: 32
    .workgroup_processor_mode: 1
  - .args:
      - .offset:         0
        .size:           152
        .value_kind:     by_value
    .group_segment_fixed_size: 0
    .kernarg_segment_align: 8
    .kernarg_segment_size: 152
    .language:       OpenCL C
    .language_version:
      - 2
      - 0
    .max_flat_workgroup_size: 256
    .name:           _ZN7rocprim17ROCPRIM_400000_NS6detail17trampoline_kernelINS0_13select_configILj256ELj13ELNS0_17block_load_methodE3ELS4_3ELS4_3ELNS0_20block_scan_algorithmE0ELj4294967295EEENS1_25partition_config_selectorILNS1_17partition_subalgoE3EjNS0_10empty_typeEbEEZZNS1_14partition_implILS8_3ELb0ES6_jNS0_17counting_iteratorIjlEEPS9_SE_NS0_5tupleIJPjSE_EEENSF_IJSE_SE_EEES9_SG_JZNS1_25segmented_radix_sort_implINS0_14default_configELb1EPKaPaPKlPlN2at6native12_GLOBAL__N_18offset_tEEE10hipError_tPvRmT1_PNSt15iterator_traitsISY_E10value_typeET2_T3_PNSZ_IS14_E10value_typeET4_jRbjT5_S1A_jjP12ihipStream_tbEUljE_EEESV_SW_SX_S14_S18_S1A_T6_T7_T9_mT8_S1C_bDpT10_ENKUlT_T0_E_clISt17integral_constantIbLb0EES1O_IbLb1EEEEDaS1K_S1L_EUlS1K_E_NS1_11comp_targetILNS1_3genE0ELNS1_11target_archE4294967295ELNS1_3gpuE0ELNS1_3repE0EEENS1_30default_config_static_selectorELNS0_4arch9wavefront6targetE0EEEvSY_
    .private_segment_fixed_size: 0
    .sgpr_count:     0
    .sgpr_spill_count: 0
    .symbol:         _ZN7rocprim17ROCPRIM_400000_NS6detail17trampoline_kernelINS0_13select_configILj256ELj13ELNS0_17block_load_methodE3ELS4_3ELS4_3ELNS0_20block_scan_algorithmE0ELj4294967295EEENS1_25partition_config_selectorILNS1_17partition_subalgoE3EjNS0_10empty_typeEbEEZZNS1_14partition_implILS8_3ELb0ES6_jNS0_17counting_iteratorIjlEEPS9_SE_NS0_5tupleIJPjSE_EEENSF_IJSE_SE_EEES9_SG_JZNS1_25segmented_radix_sort_implINS0_14default_configELb1EPKaPaPKlPlN2at6native12_GLOBAL__N_18offset_tEEE10hipError_tPvRmT1_PNSt15iterator_traitsISY_E10value_typeET2_T3_PNSZ_IS14_E10value_typeET4_jRbjT5_S1A_jjP12ihipStream_tbEUljE_EEESV_SW_SX_S14_S18_S1A_T6_T7_T9_mT8_S1C_bDpT10_ENKUlT_T0_E_clISt17integral_constantIbLb0EES1O_IbLb1EEEEDaS1K_S1L_EUlS1K_E_NS1_11comp_targetILNS1_3genE0ELNS1_11target_archE4294967295ELNS1_3gpuE0ELNS1_3repE0EEENS1_30default_config_static_selectorELNS0_4arch9wavefront6targetE0EEEvSY_.kd
    .uniform_work_group_size: 1
    .uses_dynamic_stack: false
    .vgpr_count:     0
    .vgpr_spill_count: 0
    .wavefront_size: 32
    .workgroup_processor_mode: 1
  - .args:
      - .offset:         0
        .size:           152
        .value_kind:     by_value
    .group_segment_fixed_size: 0
    .kernarg_segment_align: 8
    .kernarg_segment_size: 152
    .language:       OpenCL C
    .language_version:
      - 2
      - 0
    .max_flat_workgroup_size: 256
    .name:           _ZN7rocprim17ROCPRIM_400000_NS6detail17trampoline_kernelINS0_13select_configILj256ELj13ELNS0_17block_load_methodE3ELS4_3ELS4_3ELNS0_20block_scan_algorithmE0ELj4294967295EEENS1_25partition_config_selectorILNS1_17partition_subalgoE3EjNS0_10empty_typeEbEEZZNS1_14partition_implILS8_3ELb0ES6_jNS0_17counting_iteratorIjlEEPS9_SE_NS0_5tupleIJPjSE_EEENSF_IJSE_SE_EEES9_SG_JZNS1_25segmented_radix_sort_implINS0_14default_configELb1EPKaPaPKlPlN2at6native12_GLOBAL__N_18offset_tEEE10hipError_tPvRmT1_PNSt15iterator_traitsISY_E10value_typeET2_T3_PNSZ_IS14_E10value_typeET4_jRbjT5_S1A_jjP12ihipStream_tbEUljE_EEESV_SW_SX_S14_S18_S1A_T6_T7_T9_mT8_S1C_bDpT10_ENKUlT_T0_E_clISt17integral_constantIbLb0EES1O_IbLb1EEEEDaS1K_S1L_EUlS1K_E_NS1_11comp_targetILNS1_3genE5ELNS1_11target_archE942ELNS1_3gpuE9ELNS1_3repE0EEENS1_30default_config_static_selectorELNS0_4arch9wavefront6targetE0EEEvSY_
    .private_segment_fixed_size: 0
    .sgpr_count:     0
    .sgpr_spill_count: 0
    .symbol:         _ZN7rocprim17ROCPRIM_400000_NS6detail17trampoline_kernelINS0_13select_configILj256ELj13ELNS0_17block_load_methodE3ELS4_3ELS4_3ELNS0_20block_scan_algorithmE0ELj4294967295EEENS1_25partition_config_selectorILNS1_17partition_subalgoE3EjNS0_10empty_typeEbEEZZNS1_14partition_implILS8_3ELb0ES6_jNS0_17counting_iteratorIjlEEPS9_SE_NS0_5tupleIJPjSE_EEENSF_IJSE_SE_EEES9_SG_JZNS1_25segmented_radix_sort_implINS0_14default_configELb1EPKaPaPKlPlN2at6native12_GLOBAL__N_18offset_tEEE10hipError_tPvRmT1_PNSt15iterator_traitsISY_E10value_typeET2_T3_PNSZ_IS14_E10value_typeET4_jRbjT5_S1A_jjP12ihipStream_tbEUljE_EEESV_SW_SX_S14_S18_S1A_T6_T7_T9_mT8_S1C_bDpT10_ENKUlT_T0_E_clISt17integral_constantIbLb0EES1O_IbLb1EEEEDaS1K_S1L_EUlS1K_E_NS1_11comp_targetILNS1_3genE5ELNS1_11target_archE942ELNS1_3gpuE9ELNS1_3repE0EEENS1_30default_config_static_selectorELNS0_4arch9wavefront6targetE0EEEvSY_.kd
    .uniform_work_group_size: 1
    .uses_dynamic_stack: false
    .vgpr_count:     0
    .vgpr_spill_count: 0
    .wavefront_size: 32
    .workgroup_processor_mode: 1
  - .args:
      - .offset:         0
        .size:           152
        .value_kind:     by_value
    .group_segment_fixed_size: 0
    .kernarg_segment_align: 8
    .kernarg_segment_size: 152
    .language:       OpenCL C
    .language_version:
      - 2
      - 0
    .max_flat_workgroup_size: 256
    .name:           _ZN7rocprim17ROCPRIM_400000_NS6detail17trampoline_kernelINS0_13select_configILj256ELj13ELNS0_17block_load_methodE3ELS4_3ELS4_3ELNS0_20block_scan_algorithmE0ELj4294967295EEENS1_25partition_config_selectorILNS1_17partition_subalgoE3EjNS0_10empty_typeEbEEZZNS1_14partition_implILS8_3ELb0ES6_jNS0_17counting_iteratorIjlEEPS9_SE_NS0_5tupleIJPjSE_EEENSF_IJSE_SE_EEES9_SG_JZNS1_25segmented_radix_sort_implINS0_14default_configELb1EPKaPaPKlPlN2at6native12_GLOBAL__N_18offset_tEEE10hipError_tPvRmT1_PNSt15iterator_traitsISY_E10value_typeET2_T3_PNSZ_IS14_E10value_typeET4_jRbjT5_S1A_jjP12ihipStream_tbEUljE_EEESV_SW_SX_S14_S18_S1A_T6_T7_T9_mT8_S1C_bDpT10_ENKUlT_T0_E_clISt17integral_constantIbLb0EES1O_IbLb1EEEEDaS1K_S1L_EUlS1K_E_NS1_11comp_targetILNS1_3genE4ELNS1_11target_archE910ELNS1_3gpuE8ELNS1_3repE0EEENS1_30default_config_static_selectorELNS0_4arch9wavefront6targetE0EEEvSY_
    .private_segment_fixed_size: 0
    .sgpr_count:     0
    .sgpr_spill_count: 0
    .symbol:         _ZN7rocprim17ROCPRIM_400000_NS6detail17trampoline_kernelINS0_13select_configILj256ELj13ELNS0_17block_load_methodE3ELS4_3ELS4_3ELNS0_20block_scan_algorithmE0ELj4294967295EEENS1_25partition_config_selectorILNS1_17partition_subalgoE3EjNS0_10empty_typeEbEEZZNS1_14partition_implILS8_3ELb0ES6_jNS0_17counting_iteratorIjlEEPS9_SE_NS0_5tupleIJPjSE_EEENSF_IJSE_SE_EEES9_SG_JZNS1_25segmented_radix_sort_implINS0_14default_configELb1EPKaPaPKlPlN2at6native12_GLOBAL__N_18offset_tEEE10hipError_tPvRmT1_PNSt15iterator_traitsISY_E10value_typeET2_T3_PNSZ_IS14_E10value_typeET4_jRbjT5_S1A_jjP12ihipStream_tbEUljE_EEESV_SW_SX_S14_S18_S1A_T6_T7_T9_mT8_S1C_bDpT10_ENKUlT_T0_E_clISt17integral_constantIbLb0EES1O_IbLb1EEEEDaS1K_S1L_EUlS1K_E_NS1_11comp_targetILNS1_3genE4ELNS1_11target_archE910ELNS1_3gpuE8ELNS1_3repE0EEENS1_30default_config_static_selectorELNS0_4arch9wavefront6targetE0EEEvSY_.kd
    .uniform_work_group_size: 1
    .uses_dynamic_stack: false
    .vgpr_count:     0
    .vgpr_spill_count: 0
    .wavefront_size: 32
    .workgroup_processor_mode: 1
  - .args:
      - .offset:         0
        .size:           152
        .value_kind:     by_value
    .group_segment_fixed_size: 0
    .kernarg_segment_align: 8
    .kernarg_segment_size: 152
    .language:       OpenCL C
    .language_version:
      - 2
      - 0
    .max_flat_workgroup_size: 256
    .name:           _ZN7rocprim17ROCPRIM_400000_NS6detail17trampoline_kernelINS0_13select_configILj256ELj13ELNS0_17block_load_methodE3ELS4_3ELS4_3ELNS0_20block_scan_algorithmE0ELj4294967295EEENS1_25partition_config_selectorILNS1_17partition_subalgoE3EjNS0_10empty_typeEbEEZZNS1_14partition_implILS8_3ELb0ES6_jNS0_17counting_iteratorIjlEEPS9_SE_NS0_5tupleIJPjSE_EEENSF_IJSE_SE_EEES9_SG_JZNS1_25segmented_radix_sort_implINS0_14default_configELb1EPKaPaPKlPlN2at6native12_GLOBAL__N_18offset_tEEE10hipError_tPvRmT1_PNSt15iterator_traitsISY_E10value_typeET2_T3_PNSZ_IS14_E10value_typeET4_jRbjT5_S1A_jjP12ihipStream_tbEUljE_EEESV_SW_SX_S14_S18_S1A_T6_T7_T9_mT8_S1C_bDpT10_ENKUlT_T0_E_clISt17integral_constantIbLb0EES1O_IbLb1EEEEDaS1K_S1L_EUlS1K_E_NS1_11comp_targetILNS1_3genE3ELNS1_11target_archE908ELNS1_3gpuE7ELNS1_3repE0EEENS1_30default_config_static_selectorELNS0_4arch9wavefront6targetE0EEEvSY_
    .private_segment_fixed_size: 0
    .sgpr_count:     0
    .sgpr_spill_count: 0
    .symbol:         _ZN7rocprim17ROCPRIM_400000_NS6detail17trampoline_kernelINS0_13select_configILj256ELj13ELNS0_17block_load_methodE3ELS4_3ELS4_3ELNS0_20block_scan_algorithmE0ELj4294967295EEENS1_25partition_config_selectorILNS1_17partition_subalgoE3EjNS0_10empty_typeEbEEZZNS1_14partition_implILS8_3ELb0ES6_jNS0_17counting_iteratorIjlEEPS9_SE_NS0_5tupleIJPjSE_EEENSF_IJSE_SE_EEES9_SG_JZNS1_25segmented_radix_sort_implINS0_14default_configELb1EPKaPaPKlPlN2at6native12_GLOBAL__N_18offset_tEEE10hipError_tPvRmT1_PNSt15iterator_traitsISY_E10value_typeET2_T3_PNSZ_IS14_E10value_typeET4_jRbjT5_S1A_jjP12ihipStream_tbEUljE_EEESV_SW_SX_S14_S18_S1A_T6_T7_T9_mT8_S1C_bDpT10_ENKUlT_T0_E_clISt17integral_constantIbLb0EES1O_IbLb1EEEEDaS1K_S1L_EUlS1K_E_NS1_11comp_targetILNS1_3genE3ELNS1_11target_archE908ELNS1_3gpuE7ELNS1_3repE0EEENS1_30default_config_static_selectorELNS0_4arch9wavefront6targetE0EEEvSY_.kd
    .uniform_work_group_size: 1
    .uses_dynamic_stack: false
    .vgpr_count:     0
    .vgpr_spill_count: 0
    .wavefront_size: 32
    .workgroup_processor_mode: 1
  - .args:
      - .offset:         0
        .size:           152
        .value_kind:     by_value
    .group_segment_fixed_size: 0
    .kernarg_segment_align: 8
    .kernarg_segment_size: 152
    .language:       OpenCL C
    .language_version:
      - 2
      - 0
    .max_flat_workgroup_size: 256
    .name:           _ZN7rocprim17ROCPRIM_400000_NS6detail17trampoline_kernelINS0_13select_configILj256ELj13ELNS0_17block_load_methodE3ELS4_3ELS4_3ELNS0_20block_scan_algorithmE0ELj4294967295EEENS1_25partition_config_selectorILNS1_17partition_subalgoE3EjNS0_10empty_typeEbEEZZNS1_14partition_implILS8_3ELb0ES6_jNS0_17counting_iteratorIjlEEPS9_SE_NS0_5tupleIJPjSE_EEENSF_IJSE_SE_EEES9_SG_JZNS1_25segmented_radix_sort_implINS0_14default_configELb1EPKaPaPKlPlN2at6native12_GLOBAL__N_18offset_tEEE10hipError_tPvRmT1_PNSt15iterator_traitsISY_E10value_typeET2_T3_PNSZ_IS14_E10value_typeET4_jRbjT5_S1A_jjP12ihipStream_tbEUljE_EEESV_SW_SX_S14_S18_S1A_T6_T7_T9_mT8_S1C_bDpT10_ENKUlT_T0_E_clISt17integral_constantIbLb0EES1O_IbLb1EEEEDaS1K_S1L_EUlS1K_E_NS1_11comp_targetILNS1_3genE2ELNS1_11target_archE906ELNS1_3gpuE6ELNS1_3repE0EEENS1_30default_config_static_selectorELNS0_4arch9wavefront6targetE0EEEvSY_
    .private_segment_fixed_size: 0
    .sgpr_count:     0
    .sgpr_spill_count: 0
    .symbol:         _ZN7rocprim17ROCPRIM_400000_NS6detail17trampoline_kernelINS0_13select_configILj256ELj13ELNS0_17block_load_methodE3ELS4_3ELS4_3ELNS0_20block_scan_algorithmE0ELj4294967295EEENS1_25partition_config_selectorILNS1_17partition_subalgoE3EjNS0_10empty_typeEbEEZZNS1_14partition_implILS8_3ELb0ES6_jNS0_17counting_iteratorIjlEEPS9_SE_NS0_5tupleIJPjSE_EEENSF_IJSE_SE_EEES9_SG_JZNS1_25segmented_radix_sort_implINS0_14default_configELb1EPKaPaPKlPlN2at6native12_GLOBAL__N_18offset_tEEE10hipError_tPvRmT1_PNSt15iterator_traitsISY_E10value_typeET2_T3_PNSZ_IS14_E10value_typeET4_jRbjT5_S1A_jjP12ihipStream_tbEUljE_EEESV_SW_SX_S14_S18_S1A_T6_T7_T9_mT8_S1C_bDpT10_ENKUlT_T0_E_clISt17integral_constantIbLb0EES1O_IbLb1EEEEDaS1K_S1L_EUlS1K_E_NS1_11comp_targetILNS1_3genE2ELNS1_11target_archE906ELNS1_3gpuE6ELNS1_3repE0EEENS1_30default_config_static_selectorELNS0_4arch9wavefront6targetE0EEEvSY_.kd
    .uniform_work_group_size: 1
    .uses_dynamic_stack: false
    .vgpr_count:     0
    .vgpr_spill_count: 0
    .wavefront_size: 32
    .workgroup_processor_mode: 1
  - .args:
      - .offset:         0
        .size:           152
        .value_kind:     by_value
    .group_segment_fixed_size: 0
    .kernarg_segment_align: 8
    .kernarg_segment_size: 152
    .language:       OpenCL C
    .language_version:
      - 2
      - 0
    .max_flat_workgroup_size: 256
    .name:           _ZN7rocprim17ROCPRIM_400000_NS6detail17trampoline_kernelINS0_13select_configILj256ELj13ELNS0_17block_load_methodE3ELS4_3ELS4_3ELNS0_20block_scan_algorithmE0ELj4294967295EEENS1_25partition_config_selectorILNS1_17partition_subalgoE3EjNS0_10empty_typeEbEEZZNS1_14partition_implILS8_3ELb0ES6_jNS0_17counting_iteratorIjlEEPS9_SE_NS0_5tupleIJPjSE_EEENSF_IJSE_SE_EEES9_SG_JZNS1_25segmented_radix_sort_implINS0_14default_configELb1EPKaPaPKlPlN2at6native12_GLOBAL__N_18offset_tEEE10hipError_tPvRmT1_PNSt15iterator_traitsISY_E10value_typeET2_T3_PNSZ_IS14_E10value_typeET4_jRbjT5_S1A_jjP12ihipStream_tbEUljE_EEESV_SW_SX_S14_S18_S1A_T6_T7_T9_mT8_S1C_bDpT10_ENKUlT_T0_E_clISt17integral_constantIbLb0EES1O_IbLb1EEEEDaS1K_S1L_EUlS1K_E_NS1_11comp_targetILNS1_3genE10ELNS1_11target_archE1200ELNS1_3gpuE4ELNS1_3repE0EEENS1_30default_config_static_selectorELNS0_4arch9wavefront6targetE0EEEvSY_
    .private_segment_fixed_size: 0
    .sgpr_count:     0
    .sgpr_spill_count: 0
    .symbol:         _ZN7rocprim17ROCPRIM_400000_NS6detail17trampoline_kernelINS0_13select_configILj256ELj13ELNS0_17block_load_methodE3ELS4_3ELS4_3ELNS0_20block_scan_algorithmE0ELj4294967295EEENS1_25partition_config_selectorILNS1_17partition_subalgoE3EjNS0_10empty_typeEbEEZZNS1_14partition_implILS8_3ELb0ES6_jNS0_17counting_iteratorIjlEEPS9_SE_NS0_5tupleIJPjSE_EEENSF_IJSE_SE_EEES9_SG_JZNS1_25segmented_radix_sort_implINS0_14default_configELb1EPKaPaPKlPlN2at6native12_GLOBAL__N_18offset_tEEE10hipError_tPvRmT1_PNSt15iterator_traitsISY_E10value_typeET2_T3_PNSZ_IS14_E10value_typeET4_jRbjT5_S1A_jjP12ihipStream_tbEUljE_EEESV_SW_SX_S14_S18_S1A_T6_T7_T9_mT8_S1C_bDpT10_ENKUlT_T0_E_clISt17integral_constantIbLb0EES1O_IbLb1EEEEDaS1K_S1L_EUlS1K_E_NS1_11comp_targetILNS1_3genE10ELNS1_11target_archE1200ELNS1_3gpuE4ELNS1_3repE0EEENS1_30default_config_static_selectorELNS0_4arch9wavefront6targetE0EEEvSY_.kd
    .uniform_work_group_size: 1
    .uses_dynamic_stack: false
    .vgpr_count:     0
    .vgpr_spill_count: 0
    .wavefront_size: 32
    .workgroup_processor_mode: 1
  - .args:
      - .offset:         0
        .size:           152
        .value_kind:     by_value
    .group_segment_fixed_size: 0
    .kernarg_segment_align: 8
    .kernarg_segment_size: 152
    .language:       OpenCL C
    .language_version:
      - 2
      - 0
    .max_flat_workgroup_size: 256
    .name:           _ZN7rocprim17ROCPRIM_400000_NS6detail17trampoline_kernelINS0_13select_configILj256ELj13ELNS0_17block_load_methodE3ELS4_3ELS4_3ELNS0_20block_scan_algorithmE0ELj4294967295EEENS1_25partition_config_selectorILNS1_17partition_subalgoE3EjNS0_10empty_typeEbEEZZNS1_14partition_implILS8_3ELb0ES6_jNS0_17counting_iteratorIjlEEPS9_SE_NS0_5tupleIJPjSE_EEENSF_IJSE_SE_EEES9_SG_JZNS1_25segmented_radix_sort_implINS0_14default_configELb1EPKaPaPKlPlN2at6native12_GLOBAL__N_18offset_tEEE10hipError_tPvRmT1_PNSt15iterator_traitsISY_E10value_typeET2_T3_PNSZ_IS14_E10value_typeET4_jRbjT5_S1A_jjP12ihipStream_tbEUljE_EEESV_SW_SX_S14_S18_S1A_T6_T7_T9_mT8_S1C_bDpT10_ENKUlT_T0_E_clISt17integral_constantIbLb0EES1O_IbLb1EEEEDaS1K_S1L_EUlS1K_E_NS1_11comp_targetILNS1_3genE9ELNS1_11target_archE1100ELNS1_3gpuE3ELNS1_3repE0EEENS1_30default_config_static_selectorELNS0_4arch9wavefront6targetE0EEEvSY_
    .private_segment_fixed_size: 0
    .sgpr_count:     0
    .sgpr_spill_count: 0
    .symbol:         _ZN7rocprim17ROCPRIM_400000_NS6detail17trampoline_kernelINS0_13select_configILj256ELj13ELNS0_17block_load_methodE3ELS4_3ELS4_3ELNS0_20block_scan_algorithmE0ELj4294967295EEENS1_25partition_config_selectorILNS1_17partition_subalgoE3EjNS0_10empty_typeEbEEZZNS1_14partition_implILS8_3ELb0ES6_jNS0_17counting_iteratorIjlEEPS9_SE_NS0_5tupleIJPjSE_EEENSF_IJSE_SE_EEES9_SG_JZNS1_25segmented_radix_sort_implINS0_14default_configELb1EPKaPaPKlPlN2at6native12_GLOBAL__N_18offset_tEEE10hipError_tPvRmT1_PNSt15iterator_traitsISY_E10value_typeET2_T3_PNSZ_IS14_E10value_typeET4_jRbjT5_S1A_jjP12ihipStream_tbEUljE_EEESV_SW_SX_S14_S18_S1A_T6_T7_T9_mT8_S1C_bDpT10_ENKUlT_T0_E_clISt17integral_constantIbLb0EES1O_IbLb1EEEEDaS1K_S1L_EUlS1K_E_NS1_11comp_targetILNS1_3genE9ELNS1_11target_archE1100ELNS1_3gpuE3ELNS1_3repE0EEENS1_30default_config_static_selectorELNS0_4arch9wavefront6targetE0EEEvSY_.kd
    .uniform_work_group_size: 1
    .uses_dynamic_stack: false
    .vgpr_count:     0
    .vgpr_spill_count: 0
    .wavefront_size: 32
    .workgroup_processor_mode: 1
  - .args:
      - .offset:         0
        .size:           152
        .value_kind:     by_value
    .group_segment_fixed_size: 13320
    .kernarg_segment_align: 8
    .kernarg_segment_size: 152
    .language:       OpenCL C
    .language_version:
      - 2
      - 0
    .max_flat_workgroup_size: 256
    .name:           _ZN7rocprim17ROCPRIM_400000_NS6detail17trampoline_kernelINS0_13select_configILj256ELj13ELNS0_17block_load_methodE3ELS4_3ELS4_3ELNS0_20block_scan_algorithmE0ELj4294967295EEENS1_25partition_config_selectorILNS1_17partition_subalgoE3EjNS0_10empty_typeEbEEZZNS1_14partition_implILS8_3ELb0ES6_jNS0_17counting_iteratorIjlEEPS9_SE_NS0_5tupleIJPjSE_EEENSF_IJSE_SE_EEES9_SG_JZNS1_25segmented_radix_sort_implINS0_14default_configELb1EPKaPaPKlPlN2at6native12_GLOBAL__N_18offset_tEEE10hipError_tPvRmT1_PNSt15iterator_traitsISY_E10value_typeET2_T3_PNSZ_IS14_E10value_typeET4_jRbjT5_S1A_jjP12ihipStream_tbEUljE_EEESV_SW_SX_S14_S18_S1A_T6_T7_T9_mT8_S1C_bDpT10_ENKUlT_T0_E_clISt17integral_constantIbLb0EES1O_IbLb1EEEEDaS1K_S1L_EUlS1K_E_NS1_11comp_targetILNS1_3genE8ELNS1_11target_archE1030ELNS1_3gpuE2ELNS1_3repE0EEENS1_30default_config_static_selectorELNS0_4arch9wavefront6targetE0EEEvSY_
    .private_segment_fixed_size: 0
    .sgpr_count:     28
    .sgpr_spill_count: 0
    .symbol:         _ZN7rocprim17ROCPRIM_400000_NS6detail17trampoline_kernelINS0_13select_configILj256ELj13ELNS0_17block_load_methodE3ELS4_3ELS4_3ELNS0_20block_scan_algorithmE0ELj4294967295EEENS1_25partition_config_selectorILNS1_17partition_subalgoE3EjNS0_10empty_typeEbEEZZNS1_14partition_implILS8_3ELb0ES6_jNS0_17counting_iteratorIjlEEPS9_SE_NS0_5tupleIJPjSE_EEENSF_IJSE_SE_EEES9_SG_JZNS1_25segmented_radix_sort_implINS0_14default_configELb1EPKaPaPKlPlN2at6native12_GLOBAL__N_18offset_tEEE10hipError_tPvRmT1_PNSt15iterator_traitsISY_E10value_typeET2_T3_PNSZ_IS14_E10value_typeET4_jRbjT5_S1A_jjP12ihipStream_tbEUljE_EEESV_SW_SX_S14_S18_S1A_T6_T7_T9_mT8_S1C_bDpT10_ENKUlT_T0_E_clISt17integral_constantIbLb0EES1O_IbLb1EEEEDaS1K_S1L_EUlS1K_E_NS1_11comp_targetILNS1_3genE8ELNS1_11target_archE1030ELNS1_3gpuE2ELNS1_3repE0EEENS1_30default_config_static_selectorELNS0_4arch9wavefront6targetE0EEEvSY_.kd
    .uniform_work_group_size: 1
    .uses_dynamic_stack: false
    .vgpr_count:     71
    .vgpr_spill_count: 0
    .wavefront_size: 32
    .workgroup_processor_mode: 1
  - .args:
      - .offset:         0
        .size:           96
        .value_kind:     by_value
    .group_segment_fixed_size: 0
    .kernarg_segment_align: 8
    .kernarg_segment_size: 96
    .language:       OpenCL C
    .language_version:
      - 2
      - 0
    .max_flat_workgroup_size: 256
    .name:           _ZN7rocprim17ROCPRIM_400000_NS6detail17trampoline_kernelINS0_14default_configENS1_36segmented_radix_sort_config_selectorIalEEZNS1_25segmented_radix_sort_implIS3_Lb1EPKaPaPKlPlN2at6native12_GLOBAL__N_18offset_tEEE10hipError_tPvRmT1_PNSt15iterator_traitsISK_E10value_typeET2_T3_PNSL_ISQ_E10value_typeET4_jRbjT5_SW_jjP12ihipStream_tbEUlT_E_NS1_11comp_targetILNS1_3genE0ELNS1_11target_archE4294967295ELNS1_3gpuE0ELNS1_3repE0EEENS1_30default_config_static_selectorELNS0_4arch9wavefront6targetE0EEEvSK_
    .private_segment_fixed_size: 0
    .sgpr_count:     0
    .sgpr_spill_count: 0
    .symbol:         _ZN7rocprim17ROCPRIM_400000_NS6detail17trampoline_kernelINS0_14default_configENS1_36segmented_radix_sort_config_selectorIalEEZNS1_25segmented_radix_sort_implIS3_Lb1EPKaPaPKlPlN2at6native12_GLOBAL__N_18offset_tEEE10hipError_tPvRmT1_PNSt15iterator_traitsISK_E10value_typeET2_T3_PNSL_ISQ_E10value_typeET4_jRbjT5_SW_jjP12ihipStream_tbEUlT_E_NS1_11comp_targetILNS1_3genE0ELNS1_11target_archE4294967295ELNS1_3gpuE0ELNS1_3repE0EEENS1_30default_config_static_selectorELNS0_4arch9wavefront6targetE0EEEvSK_.kd
    .uniform_work_group_size: 1
    .uses_dynamic_stack: false
    .vgpr_count:     0
    .vgpr_spill_count: 0
    .wavefront_size: 32
    .workgroup_processor_mode: 1
  - .args:
      - .offset:         0
        .size:           96
        .value_kind:     by_value
    .group_segment_fixed_size: 0
    .kernarg_segment_align: 8
    .kernarg_segment_size: 96
    .language:       OpenCL C
    .language_version:
      - 2
      - 0
    .max_flat_workgroup_size: 256
    .name:           _ZN7rocprim17ROCPRIM_400000_NS6detail17trampoline_kernelINS0_14default_configENS1_36segmented_radix_sort_config_selectorIalEEZNS1_25segmented_radix_sort_implIS3_Lb1EPKaPaPKlPlN2at6native12_GLOBAL__N_18offset_tEEE10hipError_tPvRmT1_PNSt15iterator_traitsISK_E10value_typeET2_T3_PNSL_ISQ_E10value_typeET4_jRbjT5_SW_jjP12ihipStream_tbEUlT_E_NS1_11comp_targetILNS1_3genE5ELNS1_11target_archE942ELNS1_3gpuE9ELNS1_3repE0EEENS1_30default_config_static_selectorELNS0_4arch9wavefront6targetE0EEEvSK_
    .private_segment_fixed_size: 0
    .sgpr_count:     0
    .sgpr_spill_count: 0
    .symbol:         _ZN7rocprim17ROCPRIM_400000_NS6detail17trampoline_kernelINS0_14default_configENS1_36segmented_radix_sort_config_selectorIalEEZNS1_25segmented_radix_sort_implIS3_Lb1EPKaPaPKlPlN2at6native12_GLOBAL__N_18offset_tEEE10hipError_tPvRmT1_PNSt15iterator_traitsISK_E10value_typeET2_T3_PNSL_ISQ_E10value_typeET4_jRbjT5_SW_jjP12ihipStream_tbEUlT_E_NS1_11comp_targetILNS1_3genE5ELNS1_11target_archE942ELNS1_3gpuE9ELNS1_3repE0EEENS1_30default_config_static_selectorELNS0_4arch9wavefront6targetE0EEEvSK_.kd
    .uniform_work_group_size: 1
    .uses_dynamic_stack: false
    .vgpr_count:     0
    .vgpr_spill_count: 0
    .wavefront_size: 32
    .workgroup_processor_mode: 1
  - .args:
      - .offset:         0
        .size:           96
        .value_kind:     by_value
    .group_segment_fixed_size: 0
    .kernarg_segment_align: 8
    .kernarg_segment_size: 96
    .language:       OpenCL C
    .language_version:
      - 2
      - 0
    .max_flat_workgroup_size: 256
    .name:           _ZN7rocprim17ROCPRIM_400000_NS6detail17trampoline_kernelINS0_14default_configENS1_36segmented_radix_sort_config_selectorIalEEZNS1_25segmented_radix_sort_implIS3_Lb1EPKaPaPKlPlN2at6native12_GLOBAL__N_18offset_tEEE10hipError_tPvRmT1_PNSt15iterator_traitsISK_E10value_typeET2_T3_PNSL_ISQ_E10value_typeET4_jRbjT5_SW_jjP12ihipStream_tbEUlT_E_NS1_11comp_targetILNS1_3genE4ELNS1_11target_archE910ELNS1_3gpuE8ELNS1_3repE0EEENS1_30default_config_static_selectorELNS0_4arch9wavefront6targetE0EEEvSK_
    .private_segment_fixed_size: 0
    .sgpr_count:     0
    .sgpr_spill_count: 0
    .symbol:         _ZN7rocprim17ROCPRIM_400000_NS6detail17trampoline_kernelINS0_14default_configENS1_36segmented_radix_sort_config_selectorIalEEZNS1_25segmented_radix_sort_implIS3_Lb1EPKaPaPKlPlN2at6native12_GLOBAL__N_18offset_tEEE10hipError_tPvRmT1_PNSt15iterator_traitsISK_E10value_typeET2_T3_PNSL_ISQ_E10value_typeET4_jRbjT5_SW_jjP12ihipStream_tbEUlT_E_NS1_11comp_targetILNS1_3genE4ELNS1_11target_archE910ELNS1_3gpuE8ELNS1_3repE0EEENS1_30default_config_static_selectorELNS0_4arch9wavefront6targetE0EEEvSK_.kd
    .uniform_work_group_size: 1
    .uses_dynamic_stack: false
    .vgpr_count:     0
    .vgpr_spill_count: 0
    .wavefront_size: 32
    .workgroup_processor_mode: 1
  - .args:
      - .offset:         0
        .size:           96
        .value_kind:     by_value
    .group_segment_fixed_size: 0
    .kernarg_segment_align: 8
    .kernarg_segment_size: 96
    .language:       OpenCL C
    .language_version:
      - 2
      - 0
    .max_flat_workgroup_size: 256
    .name:           _ZN7rocprim17ROCPRIM_400000_NS6detail17trampoline_kernelINS0_14default_configENS1_36segmented_radix_sort_config_selectorIalEEZNS1_25segmented_radix_sort_implIS3_Lb1EPKaPaPKlPlN2at6native12_GLOBAL__N_18offset_tEEE10hipError_tPvRmT1_PNSt15iterator_traitsISK_E10value_typeET2_T3_PNSL_ISQ_E10value_typeET4_jRbjT5_SW_jjP12ihipStream_tbEUlT_E_NS1_11comp_targetILNS1_3genE3ELNS1_11target_archE908ELNS1_3gpuE7ELNS1_3repE0EEENS1_30default_config_static_selectorELNS0_4arch9wavefront6targetE0EEEvSK_
    .private_segment_fixed_size: 0
    .sgpr_count:     0
    .sgpr_spill_count: 0
    .symbol:         _ZN7rocprim17ROCPRIM_400000_NS6detail17trampoline_kernelINS0_14default_configENS1_36segmented_radix_sort_config_selectorIalEEZNS1_25segmented_radix_sort_implIS3_Lb1EPKaPaPKlPlN2at6native12_GLOBAL__N_18offset_tEEE10hipError_tPvRmT1_PNSt15iterator_traitsISK_E10value_typeET2_T3_PNSL_ISQ_E10value_typeET4_jRbjT5_SW_jjP12ihipStream_tbEUlT_E_NS1_11comp_targetILNS1_3genE3ELNS1_11target_archE908ELNS1_3gpuE7ELNS1_3repE0EEENS1_30default_config_static_selectorELNS0_4arch9wavefront6targetE0EEEvSK_.kd
    .uniform_work_group_size: 1
    .uses_dynamic_stack: false
    .vgpr_count:     0
    .vgpr_spill_count: 0
    .wavefront_size: 32
    .workgroup_processor_mode: 1
  - .args:
      - .offset:         0
        .size:           96
        .value_kind:     by_value
    .group_segment_fixed_size: 0
    .kernarg_segment_align: 8
    .kernarg_segment_size: 96
    .language:       OpenCL C
    .language_version:
      - 2
      - 0
    .max_flat_workgroup_size: 256
    .name:           _ZN7rocprim17ROCPRIM_400000_NS6detail17trampoline_kernelINS0_14default_configENS1_36segmented_radix_sort_config_selectorIalEEZNS1_25segmented_radix_sort_implIS3_Lb1EPKaPaPKlPlN2at6native12_GLOBAL__N_18offset_tEEE10hipError_tPvRmT1_PNSt15iterator_traitsISK_E10value_typeET2_T3_PNSL_ISQ_E10value_typeET4_jRbjT5_SW_jjP12ihipStream_tbEUlT_E_NS1_11comp_targetILNS1_3genE2ELNS1_11target_archE906ELNS1_3gpuE6ELNS1_3repE0EEENS1_30default_config_static_selectorELNS0_4arch9wavefront6targetE0EEEvSK_
    .private_segment_fixed_size: 0
    .sgpr_count:     0
    .sgpr_spill_count: 0
    .symbol:         _ZN7rocprim17ROCPRIM_400000_NS6detail17trampoline_kernelINS0_14default_configENS1_36segmented_radix_sort_config_selectorIalEEZNS1_25segmented_radix_sort_implIS3_Lb1EPKaPaPKlPlN2at6native12_GLOBAL__N_18offset_tEEE10hipError_tPvRmT1_PNSt15iterator_traitsISK_E10value_typeET2_T3_PNSL_ISQ_E10value_typeET4_jRbjT5_SW_jjP12ihipStream_tbEUlT_E_NS1_11comp_targetILNS1_3genE2ELNS1_11target_archE906ELNS1_3gpuE6ELNS1_3repE0EEENS1_30default_config_static_selectorELNS0_4arch9wavefront6targetE0EEEvSK_.kd
    .uniform_work_group_size: 1
    .uses_dynamic_stack: false
    .vgpr_count:     0
    .vgpr_spill_count: 0
    .wavefront_size: 32
    .workgroup_processor_mode: 1
  - .args:
      - .offset:         0
        .size:           96
        .value_kind:     by_value
    .group_segment_fixed_size: 0
    .kernarg_segment_align: 8
    .kernarg_segment_size: 96
    .language:       OpenCL C
    .language_version:
      - 2
      - 0
    .max_flat_workgroup_size: 256
    .name:           _ZN7rocprim17ROCPRIM_400000_NS6detail17trampoline_kernelINS0_14default_configENS1_36segmented_radix_sort_config_selectorIalEEZNS1_25segmented_radix_sort_implIS3_Lb1EPKaPaPKlPlN2at6native12_GLOBAL__N_18offset_tEEE10hipError_tPvRmT1_PNSt15iterator_traitsISK_E10value_typeET2_T3_PNSL_ISQ_E10value_typeET4_jRbjT5_SW_jjP12ihipStream_tbEUlT_E_NS1_11comp_targetILNS1_3genE10ELNS1_11target_archE1201ELNS1_3gpuE5ELNS1_3repE0EEENS1_30default_config_static_selectorELNS0_4arch9wavefront6targetE0EEEvSK_
    .private_segment_fixed_size: 0
    .sgpr_count:     0
    .sgpr_spill_count: 0
    .symbol:         _ZN7rocprim17ROCPRIM_400000_NS6detail17trampoline_kernelINS0_14default_configENS1_36segmented_radix_sort_config_selectorIalEEZNS1_25segmented_radix_sort_implIS3_Lb1EPKaPaPKlPlN2at6native12_GLOBAL__N_18offset_tEEE10hipError_tPvRmT1_PNSt15iterator_traitsISK_E10value_typeET2_T3_PNSL_ISQ_E10value_typeET4_jRbjT5_SW_jjP12ihipStream_tbEUlT_E_NS1_11comp_targetILNS1_3genE10ELNS1_11target_archE1201ELNS1_3gpuE5ELNS1_3repE0EEENS1_30default_config_static_selectorELNS0_4arch9wavefront6targetE0EEEvSK_.kd
    .uniform_work_group_size: 1
    .uses_dynamic_stack: false
    .vgpr_count:     0
    .vgpr_spill_count: 0
    .wavefront_size: 32
    .workgroup_processor_mode: 1
  - .args:
      - .offset:         0
        .size:           96
        .value_kind:     by_value
    .group_segment_fixed_size: 0
    .kernarg_segment_align: 8
    .kernarg_segment_size: 96
    .language:       OpenCL C
    .language_version:
      - 2
      - 0
    .max_flat_workgroup_size: 128
    .name:           _ZN7rocprim17ROCPRIM_400000_NS6detail17trampoline_kernelINS0_14default_configENS1_36segmented_radix_sort_config_selectorIalEEZNS1_25segmented_radix_sort_implIS3_Lb1EPKaPaPKlPlN2at6native12_GLOBAL__N_18offset_tEEE10hipError_tPvRmT1_PNSt15iterator_traitsISK_E10value_typeET2_T3_PNSL_ISQ_E10value_typeET4_jRbjT5_SW_jjP12ihipStream_tbEUlT_E_NS1_11comp_targetILNS1_3genE10ELNS1_11target_archE1200ELNS1_3gpuE4ELNS1_3repE0EEENS1_30default_config_static_selectorELNS0_4arch9wavefront6targetE0EEEvSK_
    .private_segment_fixed_size: 0
    .sgpr_count:     0
    .sgpr_spill_count: 0
    .symbol:         _ZN7rocprim17ROCPRIM_400000_NS6detail17trampoline_kernelINS0_14default_configENS1_36segmented_radix_sort_config_selectorIalEEZNS1_25segmented_radix_sort_implIS3_Lb1EPKaPaPKlPlN2at6native12_GLOBAL__N_18offset_tEEE10hipError_tPvRmT1_PNSt15iterator_traitsISK_E10value_typeET2_T3_PNSL_ISQ_E10value_typeET4_jRbjT5_SW_jjP12ihipStream_tbEUlT_E_NS1_11comp_targetILNS1_3genE10ELNS1_11target_archE1200ELNS1_3gpuE4ELNS1_3repE0EEENS1_30default_config_static_selectorELNS0_4arch9wavefront6targetE0EEEvSK_.kd
    .uniform_work_group_size: 1
    .uses_dynamic_stack: false
    .vgpr_count:     0
    .vgpr_spill_count: 0
    .wavefront_size: 32
    .workgroup_processor_mode: 1
  - .args:
      - .offset:         0
        .size:           96
        .value_kind:     by_value
    .group_segment_fixed_size: 0
    .kernarg_segment_align: 8
    .kernarg_segment_size: 96
    .language:       OpenCL C
    .language_version:
      - 2
      - 0
    .max_flat_workgroup_size: 256
    .name:           _ZN7rocprim17ROCPRIM_400000_NS6detail17trampoline_kernelINS0_14default_configENS1_36segmented_radix_sort_config_selectorIalEEZNS1_25segmented_radix_sort_implIS3_Lb1EPKaPaPKlPlN2at6native12_GLOBAL__N_18offset_tEEE10hipError_tPvRmT1_PNSt15iterator_traitsISK_E10value_typeET2_T3_PNSL_ISQ_E10value_typeET4_jRbjT5_SW_jjP12ihipStream_tbEUlT_E_NS1_11comp_targetILNS1_3genE9ELNS1_11target_archE1100ELNS1_3gpuE3ELNS1_3repE0EEENS1_30default_config_static_selectorELNS0_4arch9wavefront6targetE0EEEvSK_
    .private_segment_fixed_size: 0
    .sgpr_count:     0
    .sgpr_spill_count: 0
    .symbol:         _ZN7rocprim17ROCPRIM_400000_NS6detail17trampoline_kernelINS0_14default_configENS1_36segmented_radix_sort_config_selectorIalEEZNS1_25segmented_radix_sort_implIS3_Lb1EPKaPaPKlPlN2at6native12_GLOBAL__N_18offset_tEEE10hipError_tPvRmT1_PNSt15iterator_traitsISK_E10value_typeET2_T3_PNSL_ISQ_E10value_typeET4_jRbjT5_SW_jjP12ihipStream_tbEUlT_E_NS1_11comp_targetILNS1_3genE9ELNS1_11target_archE1100ELNS1_3gpuE3ELNS1_3repE0EEENS1_30default_config_static_selectorELNS0_4arch9wavefront6targetE0EEEvSK_.kd
    .uniform_work_group_size: 1
    .uses_dynamic_stack: false
    .vgpr_count:     0
    .vgpr_spill_count: 0
    .wavefront_size: 32
    .workgroup_processor_mode: 1
  - .args:
      - .offset:         0
        .size:           96
        .value_kind:     by_value
      - .offset:         96
        .size:           4
        .value_kind:     hidden_block_count_x
      - .offset:         100
        .size:           4
        .value_kind:     hidden_block_count_y
      - .offset:         104
        .size:           4
        .value_kind:     hidden_block_count_z
      - .offset:         108
        .size:           2
        .value_kind:     hidden_group_size_x
      - .offset:         110
        .size:           2
        .value_kind:     hidden_group_size_y
      - .offset:         112
        .size:           2
        .value_kind:     hidden_group_size_z
      - .offset:         114
        .size:           2
        .value_kind:     hidden_remainder_x
      - .offset:         116
        .size:           2
        .value_kind:     hidden_remainder_y
      - .offset:         118
        .size:           2
        .value_kind:     hidden_remainder_z
      - .offset:         136
        .size:           8
        .value_kind:     hidden_global_offset_x
      - .offset:         144
        .size:           8
        .value_kind:     hidden_global_offset_y
      - .offset:         152
        .size:           8
        .value_kind:     hidden_global_offset_z
      - .offset:         160
        .size:           2
        .value_kind:     hidden_grid_dims
    .group_segment_fixed_size: 35344
    .kernarg_segment_align: 8
    .kernarg_segment_size: 352
    .language:       OpenCL C
    .language_version:
      - 2
      - 0
    .max_flat_workgroup_size: 256
    .name:           _ZN7rocprim17ROCPRIM_400000_NS6detail17trampoline_kernelINS0_14default_configENS1_36segmented_radix_sort_config_selectorIalEEZNS1_25segmented_radix_sort_implIS3_Lb1EPKaPaPKlPlN2at6native12_GLOBAL__N_18offset_tEEE10hipError_tPvRmT1_PNSt15iterator_traitsISK_E10value_typeET2_T3_PNSL_ISQ_E10value_typeET4_jRbjT5_SW_jjP12ihipStream_tbEUlT_E_NS1_11comp_targetILNS1_3genE8ELNS1_11target_archE1030ELNS1_3gpuE2ELNS1_3repE0EEENS1_30default_config_static_selectorELNS0_4arch9wavefront6targetE0EEEvSK_
    .private_segment_fixed_size: 240
    .sgpr_count:     70
    .sgpr_spill_count: 0
    .symbol:         _ZN7rocprim17ROCPRIM_400000_NS6detail17trampoline_kernelINS0_14default_configENS1_36segmented_radix_sort_config_selectorIalEEZNS1_25segmented_radix_sort_implIS3_Lb1EPKaPaPKlPlN2at6native12_GLOBAL__N_18offset_tEEE10hipError_tPvRmT1_PNSt15iterator_traitsISK_E10value_typeET2_T3_PNSL_ISQ_E10value_typeET4_jRbjT5_SW_jjP12ihipStream_tbEUlT_E_NS1_11comp_targetILNS1_3genE8ELNS1_11target_archE1030ELNS1_3gpuE2ELNS1_3repE0EEENS1_30default_config_static_selectorELNS0_4arch9wavefront6targetE0EEEvSK_.kd
    .uniform_work_group_size: 1
    .uses_dynamic_stack: false
    .vgpr_count:     248
    .vgpr_spill_count: 0
    .wavefront_size: 32
    .workgroup_processor_mode: 1
  - .args:
      - .offset:         0
        .size:           88
        .value_kind:     by_value
    .group_segment_fixed_size: 0
    .kernarg_segment_align: 8
    .kernarg_segment_size: 88
    .language:       OpenCL C
    .language_version:
      - 2
      - 0
    .max_flat_workgroup_size: 256
    .name:           _ZN7rocprim17ROCPRIM_400000_NS6detail17trampoline_kernelINS0_14default_configENS1_36segmented_radix_sort_config_selectorIalEEZNS1_25segmented_radix_sort_implIS3_Lb1EPKaPaPKlPlN2at6native12_GLOBAL__N_18offset_tEEE10hipError_tPvRmT1_PNSt15iterator_traitsISK_E10value_typeET2_T3_PNSL_ISQ_E10value_typeET4_jRbjT5_SW_jjP12ihipStream_tbEUlT_E0_NS1_11comp_targetILNS1_3genE0ELNS1_11target_archE4294967295ELNS1_3gpuE0ELNS1_3repE0EEENS1_60segmented_radix_sort_warp_sort_medium_config_static_selectorELNS0_4arch9wavefront6targetE0EEEvSK_
    .private_segment_fixed_size: 0
    .sgpr_count:     0
    .sgpr_spill_count: 0
    .symbol:         _ZN7rocprim17ROCPRIM_400000_NS6detail17trampoline_kernelINS0_14default_configENS1_36segmented_radix_sort_config_selectorIalEEZNS1_25segmented_radix_sort_implIS3_Lb1EPKaPaPKlPlN2at6native12_GLOBAL__N_18offset_tEEE10hipError_tPvRmT1_PNSt15iterator_traitsISK_E10value_typeET2_T3_PNSL_ISQ_E10value_typeET4_jRbjT5_SW_jjP12ihipStream_tbEUlT_E0_NS1_11comp_targetILNS1_3genE0ELNS1_11target_archE4294967295ELNS1_3gpuE0ELNS1_3repE0EEENS1_60segmented_radix_sort_warp_sort_medium_config_static_selectorELNS0_4arch9wavefront6targetE0EEEvSK_.kd
    .uniform_work_group_size: 1
    .uses_dynamic_stack: false
    .vgpr_count:     0
    .vgpr_spill_count: 0
    .wavefront_size: 32
    .workgroup_processor_mode: 1
  - .args:
      - .offset:         0
        .size:           88
        .value_kind:     by_value
    .group_segment_fixed_size: 0
    .kernarg_segment_align: 8
    .kernarg_segment_size: 88
    .language:       OpenCL C
    .language_version:
      - 2
      - 0
    .max_flat_workgroup_size: 256
    .name:           _ZN7rocprim17ROCPRIM_400000_NS6detail17trampoline_kernelINS0_14default_configENS1_36segmented_radix_sort_config_selectorIalEEZNS1_25segmented_radix_sort_implIS3_Lb1EPKaPaPKlPlN2at6native12_GLOBAL__N_18offset_tEEE10hipError_tPvRmT1_PNSt15iterator_traitsISK_E10value_typeET2_T3_PNSL_ISQ_E10value_typeET4_jRbjT5_SW_jjP12ihipStream_tbEUlT_E0_NS1_11comp_targetILNS1_3genE5ELNS1_11target_archE942ELNS1_3gpuE9ELNS1_3repE0EEENS1_60segmented_radix_sort_warp_sort_medium_config_static_selectorELNS0_4arch9wavefront6targetE0EEEvSK_
    .private_segment_fixed_size: 0
    .sgpr_count:     0
    .sgpr_spill_count: 0
    .symbol:         _ZN7rocprim17ROCPRIM_400000_NS6detail17trampoline_kernelINS0_14default_configENS1_36segmented_radix_sort_config_selectorIalEEZNS1_25segmented_radix_sort_implIS3_Lb1EPKaPaPKlPlN2at6native12_GLOBAL__N_18offset_tEEE10hipError_tPvRmT1_PNSt15iterator_traitsISK_E10value_typeET2_T3_PNSL_ISQ_E10value_typeET4_jRbjT5_SW_jjP12ihipStream_tbEUlT_E0_NS1_11comp_targetILNS1_3genE5ELNS1_11target_archE942ELNS1_3gpuE9ELNS1_3repE0EEENS1_60segmented_radix_sort_warp_sort_medium_config_static_selectorELNS0_4arch9wavefront6targetE0EEEvSK_.kd
    .uniform_work_group_size: 1
    .uses_dynamic_stack: false
    .vgpr_count:     0
    .vgpr_spill_count: 0
    .wavefront_size: 32
    .workgroup_processor_mode: 1
  - .args:
      - .offset:         0
        .size:           88
        .value_kind:     by_value
    .group_segment_fixed_size: 0
    .kernarg_segment_align: 8
    .kernarg_segment_size: 88
    .language:       OpenCL C
    .language_version:
      - 2
      - 0
    .max_flat_workgroup_size: 256
    .name:           _ZN7rocprim17ROCPRIM_400000_NS6detail17trampoline_kernelINS0_14default_configENS1_36segmented_radix_sort_config_selectorIalEEZNS1_25segmented_radix_sort_implIS3_Lb1EPKaPaPKlPlN2at6native12_GLOBAL__N_18offset_tEEE10hipError_tPvRmT1_PNSt15iterator_traitsISK_E10value_typeET2_T3_PNSL_ISQ_E10value_typeET4_jRbjT5_SW_jjP12ihipStream_tbEUlT_E0_NS1_11comp_targetILNS1_3genE4ELNS1_11target_archE910ELNS1_3gpuE8ELNS1_3repE0EEENS1_60segmented_radix_sort_warp_sort_medium_config_static_selectorELNS0_4arch9wavefront6targetE0EEEvSK_
    .private_segment_fixed_size: 0
    .sgpr_count:     0
    .sgpr_spill_count: 0
    .symbol:         _ZN7rocprim17ROCPRIM_400000_NS6detail17trampoline_kernelINS0_14default_configENS1_36segmented_radix_sort_config_selectorIalEEZNS1_25segmented_radix_sort_implIS3_Lb1EPKaPaPKlPlN2at6native12_GLOBAL__N_18offset_tEEE10hipError_tPvRmT1_PNSt15iterator_traitsISK_E10value_typeET2_T3_PNSL_ISQ_E10value_typeET4_jRbjT5_SW_jjP12ihipStream_tbEUlT_E0_NS1_11comp_targetILNS1_3genE4ELNS1_11target_archE910ELNS1_3gpuE8ELNS1_3repE0EEENS1_60segmented_radix_sort_warp_sort_medium_config_static_selectorELNS0_4arch9wavefront6targetE0EEEvSK_.kd
    .uniform_work_group_size: 1
    .uses_dynamic_stack: false
    .vgpr_count:     0
    .vgpr_spill_count: 0
    .wavefront_size: 32
    .workgroup_processor_mode: 1
  - .args:
      - .offset:         0
        .size:           88
        .value_kind:     by_value
    .group_segment_fixed_size: 0
    .kernarg_segment_align: 8
    .kernarg_segment_size: 88
    .language:       OpenCL C
    .language_version:
      - 2
      - 0
    .max_flat_workgroup_size: 256
    .name:           _ZN7rocprim17ROCPRIM_400000_NS6detail17trampoline_kernelINS0_14default_configENS1_36segmented_radix_sort_config_selectorIalEEZNS1_25segmented_radix_sort_implIS3_Lb1EPKaPaPKlPlN2at6native12_GLOBAL__N_18offset_tEEE10hipError_tPvRmT1_PNSt15iterator_traitsISK_E10value_typeET2_T3_PNSL_ISQ_E10value_typeET4_jRbjT5_SW_jjP12ihipStream_tbEUlT_E0_NS1_11comp_targetILNS1_3genE3ELNS1_11target_archE908ELNS1_3gpuE7ELNS1_3repE0EEENS1_60segmented_radix_sort_warp_sort_medium_config_static_selectorELNS0_4arch9wavefront6targetE0EEEvSK_
    .private_segment_fixed_size: 0
    .sgpr_count:     0
    .sgpr_spill_count: 0
    .symbol:         _ZN7rocprim17ROCPRIM_400000_NS6detail17trampoline_kernelINS0_14default_configENS1_36segmented_radix_sort_config_selectorIalEEZNS1_25segmented_radix_sort_implIS3_Lb1EPKaPaPKlPlN2at6native12_GLOBAL__N_18offset_tEEE10hipError_tPvRmT1_PNSt15iterator_traitsISK_E10value_typeET2_T3_PNSL_ISQ_E10value_typeET4_jRbjT5_SW_jjP12ihipStream_tbEUlT_E0_NS1_11comp_targetILNS1_3genE3ELNS1_11target_archE908ELNS1_3gpuE7ELNS1_3repE0EEENS1_60segmented_radix_sort_warp_sort_medium_config_static_selectorELNS0_4arch9wavefront6targetE0EEEvSK_.kd
    .uniform_work_group_size: 1
    .uses_dynamic_stack: false
    .vgpr_count:     0
    .vgpr_spill_count: 0
    .wavefront_size: 32
    .workgroup_processor_mode: 1
  - .args:
      - .offset:         0
        .size:           88
        .value_kind:     by_value
    .group_segment_fixed_size: 0
    .kernarg_segment_align: 8
    .kernarg_segment_size: 88
    .language:       OpenCL C
    .language_version:
      - 2
      - 0
    .max_flat_workgroup_size: 256
    .name:           _ZN7rocprim17ROCPRIM_400000_NS6detail17trampoline_kernelINS0_14default_configENS1_36segmented_radix_sort_config_selectorIalEEZNS1_25segmented_radix_sort_implIS3_Lb1EPKaPaPKlPlN2at6native12_GLOBAL__N_18offset_tEEE10hipError_tPvRmT1_PNSt15iterator_traitsISK_E10value_typeET2_T3_PNSL_ISQ_E10value_typeET4_jRbjT5_SW_jjP12ihipStream_tbEUlT_E0_NS1_11comp_targetILNS1_3genE2ELNS1_11target_archE906ELNS1_3gpuE6ELNS1_3repE0EEENS1_60segmented_radix_sort_warp_sort_medium_config_static_selectorELNS0_4arch9wavefront6targetE0EEEvSK_
    .private_segment_fixed_size: 0
    .sgpr_count:     0
    .sgpr_spill_count: 0
    .symbol:         _ZN7rocprim17ROCPRIM_400000_NS6detail17trampoline_kernelINS0_14default_configENS1_36segmented_radix_sort_config_selectorIalEEZNS1_25segmented_radix_sort_implIS3_Lb1EPKaPaPKlPlN2at6native12_GLOBAL__N_18offset_tEEE10hipError_tPvRmT1_PNSt15iterator_traitsISK_E10value_typeET2_T3_PNSL_ISQ_E10value_typeET4_jRbjT5_SW_jjP12ihipStream_tbEUlT_E0_NS1_11comp_targetILNS1_3genE2ELNS1_11target_archE906ELNS1_3gpuE6ELNS1_3repE0EEENS1_60segmented_radix_sort_warp_sort_medium_config_static_selectorELNS0_4arch9wavefront6targetE0EEEvSK_.kd
    .uniform_work_group_size: 1
    .uses_dynamic_stack: false
    .vgpr_count:     0
    .vgpr_spill_count: 0
    .wavefront_size: 32
    .workgroup_processor_mode: 1
  - .args:
      - .offset:         0
        .size:           88
        .value_kind:     by_value
    .group_segment_fixed_size: 0
    .kernarg_segment_align: 8
    .kernarg_segment_size: 88
    .language:       OpenCL C
    .language_version:
      - 2
      - 0
    .max_flat_workgroup_size: 256
    .name:           _ZN7rocprim17ROCPRIM_400000_NS6detail17trampoline_kernelINS0_14default_configENS1_36segmented_radix_sort_config_selectorIalEEZNS1_25segmented_radix_sort_implIS3_Lb1EPKaPaPKlPlN2at6native12_GLOBAL__N_18offset_tEEE10hipError_tPvRmT1_PNSt15iterator_traitsISK_E10value_typeET2_T3_PNSL_ISQ_E10value_typeET4_jRbjT5_SW_jjP12ihipStream_tbEUlT_E0_NS1_11comp_targetILNS1_3genE10ELNS1_11target_archE1201ELNS1_3gpuE5ELNS1_3repE0EEENS1_60segmented_radix_sort_warp_sort_medium_config_static_selectorELNS0_4arch9wavefront6targetE0EEEvSK_
    .private_segment_fixed_size: 0
    .sgpr_count:     0
    .sgpr_spill_count: 0
    .symbol:         _ZN7rocprim17ROCPRIM_400000_NS6detail17trampoline_kernelINS0_14default_configENS1_36segmented_radix_sort_config_selectorIalEEZNS1_25segmented_radix_sort_implIS3_Lb1EPKaPaPKlPlN2at6native12_GLOBAL__N_18offset_tEEE10hipError_tPvRmT1_PNSt15iterator_traitsISK_E10value_typeET2_T3_PNSL_ISQ_E10value_typeET4_jRbjT5_SW_jjP12ihipStream_tbEUlT_E0_NS1_11comp_targetILNS1_3genE10ELNS1_11target_archE1201ELNS1_3gpuE5ELNS1_3repE0EEENS1_60segmented_radix_sort_warp_sort_medium_config_static_selectorELNS0_4arch9wavefront6targetE0EEEvSK_.kd
    .uniform_work_group_size: 1
    .uses_dynamic_stack: false
    .vgpr_count:     0
    .vgpr_spill_count: 0
    .wavefront_size: 32
    .workgroup_processor_mode: 1
  - .args:
      - .offset:         0
        .size:           88
        .value_kind:     by_value
    .group_segment_fixed_size: 0
    .kernarg_segment_align: 8
    .kernarg_segment_size: 88
    .language:       OpenCL C
    .language_version:
      - 2
      - 0
    .max_flat_workgroup_size: 256
    .name:           _ZN7rocprim17ROCPRIM_400000_NS6detail17trampoline_kernelINS0_14default_configENS1_36segmented_radix_sort_config_selectorIalEEZNS1_25segmented_radix_sort_implIS3_Lb1EPKaPaPKlPlN2at6native12_GLOBAL__N_18offset_tEEE10hipError_tPvRmT1_PNSt15iterator_traitsISK_E10value_typeET2_T3_PNSL_ISQ_E10value_typeET4_jRbjT5_SW_jjP12ihipStream_tbEUlT_E0_NS1_11comp_targetILNS1_3genE10ELNS1_11target_archE1200ELNS1_3gpuE4ELNS1_3repE0EEENS1_60segmented_radix_sort_warp_sort_medium_config_static_selectorELNS0_4arch9wavefront6targetE0EEEvSK_
    .private_segment_fixed_size: 0
    .sgpr_count:     0
    .sgpr_spill_count: 0
    .symbol:         _ZN7rocprim17ROCPRIM_400000_NS6detail17trampoline_kernelINS0_14default_configENS1_36segmented_radix_sort_config_selectorIalEEZNS1_25segmented_radix_sort_implIS3_Lb1EPKaPaPKlPlN2at6native12_GLOBAL__N_18offset_tEEE10hipError_tPvRmT1_PNSt15iterator_traitsISK_E10value_typeET2_T3_PNSL_ISQ_E10value_typeET4_jRbjT5_SW_jjP12ihipStream_tbEUlT_E0_NS1_11comp_targetILNS1_3genE10ELNS1_11target_archE1200ELNS1_3gpuE4ELNS1_3repE0EEENS1_60segmented_radix_sort_warp_sort_medium_config_static_selectorELNS0_4arch9wavefront6targetE0EEEvSK_.kd
    .uniform_work_group_size: 1
    .uses_dynamic_stack: false
    .vgpr_count:     0
    .vgpr_spill_count: 0
    .wavefront_size: 32
    .workgroup_processor_mode: 1
  - .args:
      - .offset:         0
        .size:           88
        .value_kind:     by_value
    .group_segment_fixed_size: 0
    .kernarg_segment_align: 8
    .kernarg_segment_size: 88
    .language:       OpenCL C
    .language_version:
      - 2
      - 0
    .max_flat_workgroup_size: 256
    .name:           _ZN7rocprim17ROCPRIM_400000_NS6detail17trampoline_kernelINS0_14default_configENS1_36segmented_radix_sort_config_selectorIalEEZNS1_25segmented_radix_sort_implIS3_Lb1EPKaPaPKlPlN2at6native12_GLOBAL__N_18offset_tEEE10hipError_tPvRmT1_PNSt15iterator_traitsISK_E10value_typeET2_T3_PNSL_ISQ_E10value_typeET4_jRbjT5_SW_jjP12ihipStream_tbEUlT_E0_NS1_11comp_targetILNS1_3genE9ELNS1_11target_archE1100ELNS1_3gpuE3ELNS1_3repE0EEENS1_60segmented_radix_sort_warp_sort_medium_config_static_selectorELNS0_4arch9wavefront6targetE0EEEvSK_
    .private_segment_fixed_size: 0
    .sgpr_count:     0
    .sgpr_spill_count: 0
    .symbol:         _ZN7rocprim17ROCPRIM_400000_NS6detail17trampoline_kernelINS0_14default_configENS1_36segmented_radix_sort_config_selectorIalEEZNS1_25segmented_radix_sort_implIS3_Lb1EPKaPaPKlPlN2at6native12_GLOBAL__N_18offset_tEEE10hipError_tPvRmT1_PNSt15iterator_traitsISK_E10value_typeET2_T3_PNSL_ISQ_E10value_typeET4_jRbjT5_SW_jjP12ihipStream_tbEUlT_E0_NS1_11comp_targetILNS1_3genE9ELNS1_11target_archE1100ELNS1_3gpuE3ELNS1_3repE0EEENS1_60segmented_radix_sort_warp_sort_medium_config_static_selectorELNS0_4arch9wavefront6targetE0EEEvSK_.kd
    .uniform_work_group_size: 1
    .uses_dynamic_stack: false
    .vgpr_count:     0
    .vgpr_spill_count: 0
    .wavefront_size: 32
    .workgroup_processor_mode: 1
  - .args:
      - .offset:         0
        .size:           88
        .value_kind:     by_value
      - .offset:         88
        .size:           4
        .value_kind:     hidden_block_count_x
      - .offset:         92
        .size:           4
        .value_kind:     hidden_block_count_y
      - .offset:         96
        .size:           4
        .value_kind:     hidden_block_count_z
      - .offset:         100
        .size:           2
        .value_kind:     hidden_group_size_x
      - .offset:         102
        .size:           2
        .value_kind:     hidden_group_size_y
      - .offset:         104
        .size:           2
        .value_kind:     hidden_group_size_z
      - .offset:         106
        .size:           2
        .value_kind:     hidden_remainder_x
      - .offset:         108
        .size:           2
        .value_kind:     hidden_remainder_y
      - .offset:         110
        .size:           2
        .value_kind:     hidden_remainder_z
      - .offset:         128
        .size:           8
        .value_kind:     hidden_global_offset_x
      - .offset:         136
        .size:           8
        .value_kind:     hidden_global_offset_y
      - .offset:         144
        .size:           8
        .value_kind:     hidden_global_offset_z
      - .offset:         152
        .size:           2
        .value_kind:     hidden_grid_dims
    .group_segment_fixed_size: 9216
    .kernarg_segment_align: 8
    .kernarg_segment_size: 344
    .language:       OpenCL C
    .language_version:
      - 2
      - 0
    .max_flat_workgroup_size: 256
    .name:           _ZN7rocprim17ROCPRIM_400000_NS6detail17trampoline_kernelINS0_14default_configENS1_36segmented_radix_sort_config_selectorIalEEZNS1_25segmented_radix_sort_implIS3_Lb1EPKaPaPKlPlN2at6native12_GLOBAL__N_18offset_tEEE10hipError_tPvRmT1_PNSt15iterator_traitsISK_E10value_typeET2_T3_PNSL_ISQ_E10value_typeET4_jRbjT5_SW_jjP12ihipStream_tbEUlT_E0_NS1_11comp_targetILNS1_3genE8ELNS1_11target_archE1030ELNS1_3gpuE2ELNS1_3repE0EEENS1_60segmented_radix_sort_warp_sort_medium_config_static_selectorELNS0_4arch9wavefront6targetE0EEEvSK_
    .private_segment_fixed_size: 0
    .sgpr_count:     42
    .sgpr_spill_count: 0
    .symbol:         _ZN7rocprim17ROCPRIM_400000_NS6detail17trampoline_kernelINS0_14default_configENS1_36segmented_radix_sort_config_selectorIalEEZNS1_25segmented_radix_sort_implIS3_Lb1EPKaPaPKlPlN2at6native12_GLOBAL__N_18offset_tEEE10hipError_tPvRmT1_PNSt15iterator_traitsISK_E10value_typeET2_T3_PNSL_ISQ_E10value_typeET4_jRbjT5_SW_jjP12ihipStream_tbEUlT_E0_NS1_11comp_targetILNS1_3genE8ELNS1_11target_archE1030ELNS1_3gpuE2ELNS1_3repE0EEENS1_60segmented_radix_sort_warp_sort_medium_config_static_selectorELNS0_4arch9wavefront6targetE0EEEvSK_.kd
    .uniform_work_group_size: 1
    .uses_dynamic_stack: false
    .vgpr_count:     53
    .vgpr_spill_count: 0
    .wavefront_size: 32
    .workgroup_processor_mode: 1
  - .args:
      - .offset:         0
        .size:           88
        .value_kind:     by_value
    .group_segment_fixed_size: 0
    .kernarg_segment_align: 8
    .kernarg_segment_size: 88
    .language:       OpenCL C
    .language_version:
      - 2
      - 0
    .max_flat_workgroup_size: 256
    .name:           _ZN7rocprim17ROCPRIM_400000_NS6detail17trampoline_kernelINS0_14default_configENS1_36segmented_radix_sort_config_selectorIalEEZNS1_25segmented_radix_sort_implIS3_Lb1EPKaPaPKlPlN2at6native12_GLOBAL__N_18offset_tEEE10hipError_tPvRmT1_PNSt15iterator_traitsISK_E10value_typeET2_T3_PNSL_ISQ_E10value_typeET4_jRbjT5_SW_jjP12ihipStream_tbEUlT_E1_NS1_11comp_targetILNS1_3genE0ELNS1_11target_archE4294967295ELNS1_3gpuE0ELNS1_3repE0EEENS1_59segmented_radix_sort_warp_sort_small_config_static_selectorELNS0_4arch9wavefront6targetE0EEEvSK_
    .private_segment_fixed_size: 0
    .sgpr_count:     0
    .sgpr_spill_count: 0
    .symbol:         _ZN7rocprim17ROCPRIM_400000_NS6detail17trampoline_kernelINS0_14default_configENS1_36segmented_radix_sort_config_selectorIalEEZNS1_25segmented_radix_sort_implIS3_Lb1EPKaPaPKlPlN2at6native12_GLOBAL__N_18offset_tEEE10hipError_tPvRmT1_PNSt15iterator_traitsISK_E10value_typeET2_T3_PNSL_ISQ_E10value_typeET4_jRbjT5_SW_jjP12ihipStream_tbEUlT_E1_NS1_11comp_targetILNS1_3genE0ELNS1_11target_archE4294967295ELNS1_3gpuE0ELNS1_3repE0EEENS1_59segmented_radix_sort_warp_sort_small_config_static_selectorELNS0_4arch9wavefront6targetE0EEEvSK_.kd
    .uniform_work_group_size: 1
    .uses_dynamic_stack: false
    .vgpr_count:     0
    .vgpr_spill_count: 0
    .wavefront_size: 32
    .workgroup_processor_mode: 1
  - .args:
      - .offset:         0
        .size:           88
        .value_kind:     by_value
    .group_segment_fixed_size: 0
    .kernarg_segment_align: 8
    .kernarg_segment_size: 88
    .language:       OpenCL C
    .language_version:
      - 2
      - 0
    .max_flat_workgroup_size: 256
    .name:           _ZN7rocprim17ROCPRIM_400000_NS6detail17trampoline_kernelINS0_14default_configENS1_36segmented_radix_sort_config_selectorIalEEZNS1_25segmented_radix_sort_implIS3_Lb1EPKaPaPKlPlN2at6native12_GLOBAL__N_18offset_tEEE10hipError_tPvRmT1_PNSt15iterator_traitsISK_E10value_typeET2_T3_PNSL_ISQ_E10value_typeET4_jRbjT5_SW_jjP12ihipStream_tbEUlT_E1_NS1_11comp_targetILNS1_3genE5ELNS1_11target_archE942ELNS1_3gpuE9ELNS1_3repE0EEENS1_59segmented_radix_sort_warp_sort_small_config_static_selectorELNS0_4arch9wavefront6targetE0EEEvSK_
    .private_segment_fixed_size: 0
    .sgpr_count:     0
    .sgpr_spill_count: 0
    .symbol:         _ZN7rocprim17ROCPRIM_400000_NS6detail17trampoline_kernelINS0_14default_configENS1_36segmented_radix_sort_config_selectorIalEEZNS1_25segmented_radix_sort_implIS3_Lb1EPKaPaPKlPlN2at6native12_GLOBAL__N_18offset_tEEE10hipError_tPvRmT1_PNSt15iterator_traitsISK_E10value_typeET2_T3_PNSL_ISQ_E10value_typeET4_jRbjT5_SW_jjP12ihipStream_tbEUlT_E1_NS1_11comp_targetILNS1_3genE5ELNS1_11target_archE942ELNS1_3gpuE9ELNS1_3repE0EEENS1_59segmented_radix_sort_warp_sort_small_config_static_selectorELNS0_4arch9wavefront6targetE0EEEvSK_.kd
    .uniform_work_group_size: 1
    .uses_dynamic_stack: false
    .vgpr_count:     0
    .vgpr_spill_count: 0
    .wavefront_size: 32
    .workgroup_processor_mode: 1
  - .args:
      - .offset:         0
        .size:           88
        .value_kind:     by_value
    .group_segment_fixed_size: 0
    .kernarg_segment_align: 8
    .kernarg_segment_size: 88
    .language:       OpenCL C
    .language_version:
      - 2
      - 0
    .max_flat_workgroup_size: 256
    .name:           _ZN7rocprim17ROCPRIM_400000_NS6detail17trampoline_kernelINS0_14default_configENS1_36segmented_radix_sort_config_selectorIalEEZNS1_25segmented_radix_sort_implIS3_Lb1EPKaPaPKlPlN2at6native12_GLOBAL__N_18offset_tEEE10hipError_tPvRmT1_PNSt15iterator_traitsISK_E10value_typeET2_T3_PNSL_ISQ_E10value_typeET4_jRbjT5_SW_jjP12ihipStream_tbEUlT_E1_NS1_11comp_targetILNS1_3genE4ELNS1_11target_archE910ELNS1_3gpuE8ELNS1_3repE0EEENS1_59segmented_radix_sort_warp_sort_small_config_static_selectorELNS0_4arch9wavefront6targetE0EEEvSK_
    .private_segment_fixed_size: 0
    .sgpr_count:     0
    .sgpr_spill_count: 0
    .symbol:         _ZN7rocprim17ROCPRIM_400000_NS6detail17trampoline_kernelINS0_14default_configENS1_36segmented_radix_sort_config_selectorIalEEZNS1_25segmented_radix_sort_implIS3_Lb1EPKaPaPKlPlN2at6native12_GLOBAL__N_18offset_tEEE10hipError_tPvRmT1_PNSt15iterator_traitsISK_E10value_typeET2_T3_PNSL_ISQ_E10value_typeET4_jRbjT5_SW_jjP12ihipStream_tbEUlT_E1_NS1_11comp_targetILNS1_3genE4ELNS1_11target_archE910ELNS1_3gpuE8ELNS1_3repE0EEENS1_59segmented_radix_sort_warp_sort_small_config_static_selectorELNS0_4arch9wavefront6targetE0EEEvSK_.kd
    .uniform_work_group_size: 1
    .uses_dynamic_stack: false
    .vgpr_count:     0
    .vgpr_spill_count: 0
    .wavefront_size: 32
    .workgroup_processor_mode: 1
  - .args:
      - .offset:         0
        .size:           88
        .value_kind:     by_value
    .group_segment_fixed_size: 0
    .kernarg_segment_align: 8
    .kernarg_segment_size: 88
    .language:       OpenCL C
    .language_version:
      - 2
      - 0
    .max_flat_workgroup_size: 256
    .name:           _ZN7rocprim17ROCPRIM_400000_NS6detail17trampoline_kernelINS0_14default_configENS1_36segmented_radix_sort_config_selectorIalEEZNS1_25segmented_radix_sort_implIS3_Lb1EPKaPaPKlPlN2at6native12_GLOBAL__N_18offset_tEEE10hipError_tPvRmT1_PNSt15iterator_traitsISK_E10value_typeET2_T3_PNSL_ISQ_E10value_typeET4_jRbjT5_SW_jjP12ihipStream_tbEUlT_E1_NS1_11comp_targetILNS1_3genE3ELNS1_11target_archE908ELNS1_3gpuE7ELNS1_3repE0EEENS1_59segmented_radix_sort_warp_sort_small_config_static_selectorELNS0_4arch9wavefront6targetE0EEEvSK_
    .private_segment_fixed_size: 0
    .sgpr_count:     0
    .sgpr_spill_count: 0
    .symbol:         _ZN7rocprim17ROCPRIM_400000_NS6detail17trampoline_kernelINS0_14default_configENS1_36segmented_radix_sort_config_selectorIalEEZNS1_25segmented_radix_sort_implIS3_Lb1EPKaPaPKlPlN2at6native12_GLOBAL__N_18offset_tEEE10hipError_tPvRmT1_PNSt15iterator_traitsISK_E10value_typeET2_T3_PNSL_ISQ_E10value_typeET4_jRbjT5_SW_jjP12ihipStream_tbEUlT_E1_NS1_11comp_targetILNS1_3genE3ELNS1_11target_archE908ELNS1_3gpuE7ELNS1_3repE0EEENS1_59segmented_radix_sort_warp_sort_small_config_static_selectorELNS0_4arch9wavefront6targetE0EEEvSK_.kd
    .uniform_work_group_size: 1
    .uses_dynamic_stack: false
    .vgpr_count:     0
    .vgpr_spill_count: 0
    .wavefront_size: 32
    .workgroup_processor_mode: 1
  - .args:
      - .offset:         0
        .size:           88
        .value_kind:     by_value
    .group_segment_fixed_size: 0
    .kernarg_segment_align: 8
    .kernarg_segment_size: 88
    .language:       OpenCL C
    .language_version:
      - 2
      - 0
    .max_flat_workgroup_size: 256
    .name:           _ZN7rocprim17ROCPRIM_400000_NS6detail17trampoline_kernelINS0_14default_configENS1_36segmented_radix_sort_config_selectorIalEEZNS1_25segmented_radix_sort_implIS3_Lb1EPKaPaPKlPlN2at6native12_GLOBAL__N_18offset_tEEE10hipError_tPvRmT1_PNSt15iterator_traitsISK_E10value_typeET2_T3_PNSL_ISQ_E10value_typeET4_jRbjT5_SW_jjP12ihipStream_tbEUlT_E1_NS1_11comp_targetILNS1_3genE2ELNS1_11target_archE906ELNS1_3gpuE6ELNS1_3repE0EEENS1_59segmented_radix_sort_warp_sort_small_config_static_selectorELNS0_4arch9wavefront6targetE0EEEvSK_
    .private_segment_fixed_size: 0
    .sgpr_count:     0
    .sgpr_spill_count: 0
    .symbol:         _ZN7rocprim17ROCPRIM_400000_NS6detail17trampoline_kernelINS0_14default_configENS1_36segmented_radix_sort_config_selectorIalEEZNS1_25segmented_radix_sort_implIS3_Lb1EPKaPaPKlPlN2at6native12_GLOBAL__N_18offset_tEEE10hipError_tPvRmT1_PNSt15iterator_traitsISK_E10value_typeET2_T3_PNSL_ISQ_E10value_typeET4_jRbjT5_SW_jjP12ihipStream_tbEUlT_E1_NS1_11comp_targetILNS1_3genE2ELNS1_11target_archE906ELNS1_3gpuE6ELNS1_3repE0EEENS1_59segmented_radix_sort_warp_sort_small_config_static_selectorELNS0_4arch9wavefront6targetE0EEEvSK_.kd
    .uniform_work_group_size: 1
    .uses_dynamic_stack: false
    .vgpr_count:     0
    .vgpr_spill_count: 0
    .wavefront_size: 32
    .workgroup_processor_mode: 1
  - .args:
      - .offset:         0
        .size:           88
        .value_kind:     by_value
    .group_segment_fixed_size: 0
    .kernarg_segment_align: 8
    .kernarg_segment_size: 88
    .language:       OpenCL C
    .language_version:
      - 2
      - 0
    .max_flat_workgroup_size: 256
    .name:           _ZN7rocprim17ROCPRIM_400000_NS6detail17trampoline_kernelINS0_14default_configENS1_36segmented_radix_sort_config_selectorIalEEZNS1_25segmented_radix_sort_implIS3_Lb1EPKaPaPKlPlN2at6native12_GLOBAL__N_18offset_tEEE10hipError_tPvRmT1_PNSt15iterator_traitsISK_E10value_typeET2_T3_PNSL_ISQ_E10value_typeET4_jRbjT5_SW_jjP12ihipStream_tbEUlT_E1_NS1_11comp_targetILNS1_3genE10ELNS1_11target_archE1201ELNS1_3gpuE5ELNS1_3repE0EEENS1_59segmented_radix_sort_warp_sort_small_config_static_selectorELNS0_4arch9wavefront6targetE0EEEvSK_
    .private_segment_fixed_size: 0
    .sgpr_count:     0
    .sgpr_spill_count: 0
    .symbol:         _ZN7rocprim17ROCPRIM_400000_NS6detail17trampoline_kernelINS0_14default_configENS1_36segmented_radix_sort_config_selectorIalEEZNS1_25segmented_radix_sort_implIS3_Lb1EPKaPaPKlPlN2at6native12_GLOBAL__N_18offset_tEEE10hipError_tPvRmT1_PNSt15iterator_traitsISK_E10value_typeET2_T3_PNSL_ISQ_E10value_typeET4_jRbjT5_SW_jjP12ihipStream_tbEUlT_E1_NS1_11comp_targetILNS1_3genE10ELNS1_11target_archE1201ELNS1_3gpuE5ELNS1_3repE0EEENS1_59segmented_radix_sort_warp_sort_small_config_static_selectorELNS0_4arch9wavefront6targetE0EEEvSK_.kd
    .uniform_work_group_size: 1
    .uses_dynamic_stack: false
    .vgpr_count:     0
    .vgpr_spill_count: 0
    .wavefront_size: 32
    .workgroup_processor_mode: 1
  - .args:
      - .offset:         0
        .size:           88
        .value_kind:     by_value
    .group_segment_fixed_size: 0
    .kernarg_segment_align: 8
    .kernarg_segment_size: 88
    .language:       OpenCL C
    .language_version:
      - 2
      - 0
    .max_flat_workgroup_size: 256
    .name:           _ZN7rocprim17ROCPRIM_400000_NS6detail17trampoline_kernelINS0_14default_configENS1_36segmented_radix_sort_config_selectorIalEEZNS1_25segmented_radix_sort_implIS3_Lb1EPKaPaPKlPlN2at6native12_GLOBAL__N_18offset_tEEE10hipError_tPvRmT1_PNSt15iterator_traitsISK_E10value_typeET2_T3_PNSL_ISQ_E10value_typeET4_jRbjT5_SW_jjP12ihipStream_tbEUlT_E1_NS1_11comp_targetILNS1_3genE10ELNS1_11target_archE1200ELNS1_3gpuE4ELNS1_3repE0EEENS1_59segmented_radix_sort_warp_sort_small_config_static_selectorELNS0_4arch9wavefront6targetE0EEEvSK_
    .private_segment_fixed_size: 0
    .sgpr_count:     0
    .sgpr_spill_count: 0
    .symbol:         _ZN7rocprim17ROCPRIM_400000_NS6detail17trampoline_kernelINS0_14default_configENS1_36segmented_radix_sort_config_selectorIalEEZNS1_25segmented_radix_sort_implIS3_Lb1EPKaPaPKlPlN2at6native12_GLOBAL__N_18offset_tEEE10hipError_tPvRmT1_PNSt15iterator_traitsISK_E10value_typeET2_T3_PNSL_ISQ_E10value_typeET4_jRbjT5_SW_jjP12ihipStream_tbEUlT_E1_NS1_11comp_targetILNS1_3genE10ELNS1_11target_archE1200ELNS1_3gpuE4ELNS1_3repE0EEENS1_59segmented_radix_sort_warp_sort_small_config_static_selectorELNS0_4arch9wavefront6targetE0EEEvSK_.kd
    .uniform_work_group_size: 1
    .uses_dynamic_stack: false
    .vgpr_count:     0
    .vgpr_spill_count: 0
    .wavefront_size: 32
    .workgroup_processor_mode: 1
  - .args:
      - .offset:         0
        .size:           88
        .value_kind:     by_value
    .group_segment_fixed_size: 0
    .kernarg_segment_align: 8
    .kernarg_segment_size: 88
    .language:       OpenCL C
    .language_version:
      - 2
      - 0
    .max_flat_workgroup_size: 256
    .name:           _ZN7rocprim17ROCPRIM_400000_NS6detail17trampoline_kernelINS0_14default_configENS1_36segmented_radix_sort_config_selectorIalEEZNS1_25segmented_radix_sort_implIS3_Lb1EPKaPaPKlPlN2at6native12_GLOBAL__N_18offset_tEEE10hipError_tPvRmT1_PNSt15iterator_traitsISK_E10value_typeET2_T3_PNSL_ISQ_E10value_typeET4_jRbjT5_SW_jjP12ihipStream_tbEUlT_E1_NS1_11comp_targetILNS1_3genE9ELNS1_11target_archE1100ELNS1_3gpuE3ELNS1_3repE0EEENS1_59segmented_radix_sort_warp_sort_small_config_static_selectorELNS0_4arch9wavefront6targetE0EEEvSK_
    .private_segment_fixed_size: 0
    .sgpr_count:     0
    .sgpr_spill_count: 0
    .symbol:         _ZN7rocprim17ROCPRIM_400000_NS6detail17trampoline_kernelINS0_14default_configENS1_36segmented_radix_sort_config_selectorIalEEZNS1_25segmented_radix_sort_implIS3_Lb1EPKaPaPKlPlN2at6native12_GLOBAL__N_18offset_tEEE10hipError_tPvRmT1_PNSt15iterator_traitsISK_E10value_typeET2_T3_PNSL_ISQ_E10value_typeET4_jRbjT5_SW_jjP12ihipStream_tbEUlT_E1_NS1_11comp_targetILNS1_3genE9ELNS1_11target_archE1100ELNS1_3gpuE3ELNS1_3repE0EEENS1_59segmented_radix_sort_warp_sort_small_config_static_selectorELNS0_4arch9wavefront6targetE0EEEvSK_.kd
    .uniform_work_group_size: 1
    .uses_dynamic_stack: false
    .vgpr_count:     0
    .vgpr_spill_count: 0
    .wavefront_size: 32
    .workgroup_processor_mode: 1
  - .args:
      - .offset:         0
        .size:           88
        .value_kind:     by_value
      - .offset:         88
        .size:           4
        .value_kind:     hidden_block_count_x
      - .offset:         92
        .size:           4
        .value_kind:     hidden_block_count_y
      - .offset:         96
        .size:           4
        .value_kind:     hidden_block_count_z
      - .offset:         100
        .size:           2
        .value_kind:     hidden_group_size_x
      - .offset:         102
        .size:           2
        .value_kind:     hidden_group_size_y
      - .offset:         104
        .size:           2
        .value_kind:     hidden_group_size_z
      - .offset:         106
        .size:           2
        .value_kind:     hidden_remainder_x
      - .offset:         108
        .size:           2
        .value_kind:     hidden_remainder_y
      - .offset:         110
        .size:           2
        .value_kind:     hidden_remainder_z
      - .offset:         128
        .size:           8
        .value_kind:     hidden_global_offset_x
      - .offset:         136
        .size:           8
        .value_kind:     hidden_global_offset_y
      - .offset:         144
        .size:           8
        .value_kind:     hidden_global_offset_z
      - .offset:         152
        .size:           2
        .value_kind:     hidden_grid_dims
    .group_segment_fixed_size: 9216
    .kernarg_segment_align: 8
    .kernarg_segment_size: 344
    .language:       OpenCL C
    .language_version:
      - 2
      - 0
    .max_flat_workgroup_size: 256
    .name:           _ZN7rocprim17ROCPRIM_400000_NS6detail17trampoline_kernelINS0_14default_configENS1_36segmented_radix_sort_config_selectorIalEEZNS1_25segmented_radix_sort_implIS3_Lb1EPKaPaPKlPlN2at6native12_GLOBAL__N_18offset_tEEE10hipError_tPvRmT1_PNSt15iterator_traitsISK_E10value_typeET2_T3_PNSL_ISQ_E10value_typeET4_jRbjT5_SW_jjP12ihipStream_tbEUlT_E1_NS1_11comp_targetILNS1_3genE8ELNS1_11target_archE1030ELNS1_3gpuE2ELNS1_3repE0EEENS1_59segmented_radix_sort_warp_sort_small_config_static_selectorELNS0_4arch9wavefront6targetE0EEEvSK_
    .private_segment_fixed_size: 0
    .sgpr_count:     42
    .sgpr_spill_count: 0
    .symbol:         _ZN7rocprim17ROCPRIM_400000_NS6detail17trampoline_kernelINS0_14default_configENS1_36segmented_radix_sort_config_selectorIalEEZNS1_25segmented_radix_sort_implIS3_Lb1EPKaPaPKlPlN2at6native12_GLOBAL__N_18offset_tEEE10hipError_tPvRmT1_PNSt15iterator_traitsISK_E10value_typeET2_T3_PNSL_ISQ_E10value_typeET4_jRbjT5_SW_jjP12ihipStream_tbEUlT_E1_NS1_11comp_targetILNS1_3genE8ELNS1_11target_archE1030ELNS1_3gpuE2ELNS1_3repE0EEENS1_59segmented_radix_sort_warp_sort_small_config_static_selectorELNS0_4arch9wavefront6targetE0EEEvSK_.kd
    .uniform_work_group_size: 1
    .uses_dynamic_stack: false
    .vgpr_count:     53
    .vgpr_spill_count: 0
    .wavefront_size: 32
    .workgroup_processor_mode: 1
  - .args:
      - .offset:         0
        .size:           80
        .value_kind:     by_value
    .group_segment_fixed_size: 0
    .kernarg_segment_align: 8
    .kernarg_segment_size: 80
    .language:       OpenCL C
    .language_version:
      - 2
      - 0
    .max_flat_workgroup_size: 256
    .name:           _ZN7rocprim17ROCPRIM_400000_NS6detail17trampoline_kernelINS0_14default_configENS1_36segmented_radix_sort_config_selectorIalEEZNS1_25segmented_radix_sort_implIS3_Lb1EPKaPaPKlPlN2at6native12_GLOBAL__N_18offset_tEEE10hipError_tPvRmT1_PNSt15iterator_traitsISK_E10value_typeET2_T3_PNSL_ISQ_E10value_typeET4_jRbjT5_SW_jjP12ihipStream_tbEUlT_E2_NS1_11comp_targetILNS1_3genE0ELNS1_11target_archE4294967295ELNS1_3gpuE0ELNS1_3repE0EEENS1_30default_config_static_selectorELNS0_4arch9wavefront6targetE0EEEvSK_
    .private_segment_fixed_size: 0
    .sgpr_count:     0
    .sgpr_spill_count: 0
    .symbol:         _ZN7rocprim17ROCPRIM_400000_NS6detail17trampoline_kernelINS0_14default_configENS1_36segmented_radix_sort_config_selectorIalEEZNS1_25segmented_radix_sort_implIS3_Lb1EPKaPaPKlPlN2at6native12_GLOBAL__N_18offset_tEEE10hipError_tPvRmT1_PNSt15iterator_traitsISK_E10value_typeET2_T3_PNSL_ISQ_E10value_typeET4_jRbjT5_SW_jjP12ihipStream_tbEUlT_E2_NS1_11comp_targetILNS1_3genE0ELNS1_11target_archE4294967295ELNS1_3gpuE0ELNS1_3repE0EEENS1_30default_config_static_selectorELNS0_4arch9wavefront6targetE0EEEvSK_.kd
    .uniform_work_group_size: 1
    .uses_dynamic_stack: false
    .vgpr_count:     0
    .vgpr_spill_count: 0
    .wavefront_size: 32
    .workgroup_processor_mode: 1
  - .args:
      - .offset:         0
        .size:           80
        .value_kind:     by_value
    .group_segment_fixed_size: 0
    .kernarg_segment_align: 8
    .kernarg_segment_size: 80
    .language:       OpenCL C
    .language_version:
      - 2
      - 0
    .max_flat_workgroup_size: 256
    .name:           _ZN7rocprim17ROCPRIM_400000_NS6detail17trampoline_kernelINS0_14default_configENS1_36segmented_radix_sort_config_selectorIalEEZNS1_25segmented_radix_sort_implIS3_Lb1EPKaPaPKlPlN2at6native12_GLOBAL__N_18offset_tEEE10hipError_tPvRmT1_PNSt15iterator_traitsISK_E10value_typeET2_T3_PNSL_ISQ_E10value_typeET4_jRbjT5_SW_jjP12ihipStream_tbEUlT_E2_NS1_11comp_targetILNS1_3genE5ELNS1_11target_archE942ELNS1_3gpuE9ELNS1_3repE0EEENS1_30default_config_static_selectorELNS0_4arch9wavefront6targetE0EEEvSK_
    .private_segment_fixed_size: 0
    .sgpr_count:     0
    .sgpr_spill_count: 0
    .symbol:         _ZN7rocprim17ROCPRIM_400000_NS6detail17trampoline_kernelINS0_14default_configENS1_36segmented_radix_sort_config_selectorIalEEZNS1_25segmented_radix_sort_implIS3_Lb1EPKaPaPKlPlN2at6native12_GLOBAL__N_18offset_tEEE10hipError_tPvRmT1_PNSt15iterator_traitsISK_E10value_typeET2_T3_PNSL_ISQ_E10value_typeET4_jRbjT5_SW_jjP12ihipStream_tbEUlT_E2_NS1_11comp_targetILNS1_3genE5ELNS1_11target_archE942ELNS1_3gpuE9ELNS1_3repE0EEENS1_30default_config_static_selectorELNS0_4arch9wavefront6targetE0EEEvSK_.kd
    .uniform_work_group_size: 1
    .uses_dynamic_stack: false
    .vgpr_count:     0
    .vgpr_spill_count: 0
    .wavefront_size: 32
    .workgroup_processor_mode: 1
  - .args:
      - .offset:         0
        .size:           80
        .value_kind:     by_value
    .group_segment_fixed_size: 0
    .kernarg_segment_align: 8
    .kernarg_segment_size: 80
    .language:       OpenCL C
    .language_version:
      - 2
      - 0
    .max_flat_workgroup_size: 256
    .name:           _ZN7rocprim17ROCPRIM_400000_NS6detail17trampoline_kernelINS0_14default_configENS1_36segmented_radix_sort_config_selectorIalEEZNS1_25segmented_radix_sort_implIS3_Lb1EPKaPaPKlPlN2at6native12_GLOBAL__N_18offset_tEEE10hipError_tPvRmT1_PNSt15iterator_traitsISK_E10value_typeET2_T3_PNSL_ISQ_E10value_typeET4_jRbjT5_SW_jjP12ihipStream_tbEUlT_E2_NS1_11comp_targetILNS1_3genE4ELNS1_11target_archE910ELNS1_3gpuE8ELNS1_3repE0EEENS1_30default_config_static_selectorELNS0_4arch9wavefront6targetE0EEEvSK_
    .private_segment_fixed_size: 0
    .sgpr_count:     0
    .sgpr_spill_count: 0
    .symbol:         _ZN7rocprim17ROCPRIM_400000_NS6detail17trampoline_kernelINS0_14default_configENS1_36segmented_radix_sort_config_selectorIalEEZNS1_25segmented_radix_sort_implIS3_Lb1EPKaPaPKlPlN2at6native12_GLOBAL__N_18offset_tEEE10hipError_tPvRmT1_PNSt15iterator_traitsISK_E10value_typeET2_T3_PNSL_ISQ_E10value_typeET4_jRbjT5_SW_jjP12ihipStream_tbEUlT_E2_NS1_11comp_targetILNS1_3genE4ELNS1_11target_archE910ELNS1_3gpuE8ELNS1_3repE0EEENS1_30default_config_static_selectorELNS0_4arch9wavefront6targetE0EEEvSK_.kd
    .uniform_work_group_size: 1
    .uses_dynamic_stack: false
    .vgpr_count:     0
    .vgpr_spill_count: 0
    .wavefront_size: 32
    .workgroup_processor_mode: 1
  - .args:
      - .offset:         0
        .size:           80
        .value_kind:     by_value
    .group_segment_fixed_size: 0
    .kernarg_segment_align: 8
    .kernarg_segment_size: 80
    .language:       OpenCL C
    .language_version:
      - 2
      - 0
    .max_flat_workgroup_size: 256
    .name:           _ZN7rocprim17ROCPRIM_400000_NS6detail17trampoline_kernelINS0_14default_configENS1_36segmented_radix_sort_config_selectorIalEEZNS1_25segmented_radix_sort_implIS3_Lb1EPKaPaPKlPlN2at6native12_GLOBAL__N_18offset_tEEE10hipError_tPvRmT1_PNSt15iterator_traitsISK_E10value_typeET2_T3_PNSL_ISQ_E10value_typeET4_jRbjT5_SW_jjP12ihipStream_tbEUlT_E2_NS1_11comp_targetILNS1_3genE3ELNS1_11target_archE908ELNS1_3gpuE7ELNS1_3repE0EEENS1_30default_config_static_selectorELNS0_4arch9wavefront6targetE0EEEvSK_
    .private_segment_fixed_size: 0
    .sgpr_count:     0
    .sgpr_spill_count: 0
    .symbol:         _ZN7rocprim17ROCPRIM_400000_NS6detail17trampoline_kernelINS0_14default_configENS1_36segmented_radix_sort_config_selectorIalEEZNS1_25segmented_radix_sort_implIS3_Lb1EPKaPaPKlPlN2at6native12_GLOBAL__N_18offset_tEEE10hipError_tPvRmT1_PNSt15iterator_traitsISK_E10value_typeET2_T3_PNSL_ISQ_E10value_typeET4_jRbjT5_SW_jjP12ihipStream_tbEUlT_E2_NS1_11comp_targetILNS1_3genE3ELNS1_11target_archE908ELNS1_3gpuE7ELNS1_3repE0EEENS1_30default_config_static_selectorELNS0_4arch9wavefront6targetE0EEEvSK_.kd
    .uniform_work_group_size: 1
    .uses_dynamic_stack: false
    .vgpr_count:     0
    .vgpr_spill_count: 0
    .wavefront_size: 32
    .workgroup_processor_mode: 1
  - .args:
      - .offset:         0
        .size:           80
        .value_kind:     by_value
    .group_segment_fixed_size: 0
    .kernarg_segment_align: 8
    .kernarg_segment_size: 80
    .language:       OpenCL C
    .language_version:
      - 2
      - 0
    .max_flat_workgroup_size: 256
    .name:           _ZN7rocprim17ROCPRIM_400000_NS6detail17trampoline_kernelINS0_14default_configENS1_36segmented_radix_sort_config_selectorIalEEZNS1_25segmented_radix_sort_implIS3_Lb1EPKaPaPKlPlN2at6native12_GLOBAL__N_18offset_tEEE10hipError_tPvRmT1_PNSt15iterator_traitsISK_E10value_typeET2_T3_PNSL_ISQ_E10value_typeET4_jRbjT5_SW_jjP12ihipStream_tbEUlT_E2_NS1_11comp_targetILNS1_3genE2ELNS1_11target_archE906ELNS1_3gpuE6ELNS1_3repE0EEENS1_30default_config_static_selectorELNS0_4arch9wavefront6targetE0EEEvSK_
    .private_segment_fixed_size: 0
    .sgpr_count:     0
    .sgpr_spill_count: 0
    .symbol:         _ZN7rocprim17ROCPRIM_400000_NS6detail17trampoline_kernelINS0_14default_configENS1_36segmented_radix_sort_config_selectorIalEEZNS1_25segmented_radix_sort_implIS3_Lb1EPKaPaPKlPlN2at6native12_GLOBAL__N_18offset_tEEE10hipError_tPvRmT1_PNSt15iterator_traitsISK_E10value_typeET2_T3_PNSL_ISQ_E10value_typeET4_jRbjT5_SW_jjP12ihipStream_tbEUlT_E2_NS1_11comp_targetILNS1_3genE2ELNS1_11target_archE906ELNS1_3gpuE6ELNS1_3repE0EEENS1_30default_config_static_selectorELNS0_4arch9wavefront6targetE0EEEvSK_.kd
    .uniform_work_group_size: 1
    .uses_dynamic_stack: false
    .vgpr_count:     0
    .vgpr_spill_count: 0
    .wavefront_size: 32
    .workgroup_processor_mode: 1
  - .args:
      - .offset:         0
        .size:           80
        .value_kind:     by_value
    .group_segment_fixed_size: 0
    .kernarg_segment_align: 8
    .kernarg_segment_size: 80
    .language:       OpenCL C
    .language_version:
      - 2
      - 0
    .max_flat_workgroup_size: 256
    .name:           _ZN7rocprim17ROCPRIM_400000_NS6detail17trampoline_kernelINS0_14default_configENS1_36segmented_radix_sort_config_selectorIalEEZNS1_25segmented_radix_sort_implIS3_Lb1EPKaPaPKlPlN2at6native12_GLOBAL__N_18offset_tEEE10hipError_tPvRmT1_PNSt15iterator_traitsISK_E10value_typeET2_T3_PNSL_ISQ_E10value_typeET4_jRbjT5_SW_jjP12ihipStream_tbEUlT_E2_NS1_11comp_targetILNS1_3genE10ELNS1_11target_archE1201ELNS1_3gpuE5ELNS1_3repE0EEENS1_30default_config_static_selectorELNS0_4arch9wavefront6targetE0EEEvSK_
    .private_segment_fixed_size: 0
    .sgpr_count:     0
    .sgpr_spill_count: 0
    .symbol:         _ZN7rocprim17ROCPRIM_400000_NS6detail17trampoline_kernelINS0_14default_configENS1_36segmented_radix_sort_config_selectorIalEEZNS1_25segmented_radix_sort_implIS3_Lb1EPKaPaPKlPlN2at6native12_GLOBAL__N_18offset_tEEE10hipError_tPvRmT1_PNSt15iterator_traitsISK_E10value_typeET2_T3_PNSL_ISQ_E10value_typeET4_jRbjT5_SW_jjP12ihipStream_tbEUlT_E2_NS1_11comp_targetILNS1_3genE10ELNS1_11target_archE1201ELNS1_3gpuE5ELNS1_3repE0EEENS1_30default_config_static_selectorELNS0_4arch9wavefront6targetE0EEEvSK_.kd
    .uniform_work_group_size: 1
    .uses_dynamic_stack: false
    .vgpr_count:     0
    .vgpr_spill_count: 0
    .wavefront_size: 32
    .workgroup_processor_mode: 1
  - .args:
      - .offset:         0
        .size:           80
        .value_kind:     by_value
    .group_segment_fixed_size: 0
    .kernarg_segment_align: 8
    .kernarg_segment_size: 80
    .language:       OpenCL C
    .language_version:
      - 2
      - 0
    .max_flat_workgroup_size: 128
    .name:           _ZN7rocprim17ROCPRIM_400000_NS6detail17trampoline_kernelINS0_14default_configENS1_36segmented_radix_sort_config_selectorIalEEZNS1_25segmented_radix_sort_implIS3_Lb1EPKaPaPKlPlN2at6native12_GLOBAL__N_18offset_tEEE10hipError_tPvRmT1_PNSt15iterator_traitsISK_E10value_typeET2_T3_PNSL_ISQ_E10value_typeET4_jRbjT5_SW_jjP12ihipStream_tbEUlT_E2_NS1_11comp_targetILNS1_3genE10ELNS1_11target_archE1200ELNS1_3gpuE4ELNS1_3repE0EEENS1_30default_config_static_selectorELNS0_4arch9wavefront6targetE0EEEvSK_
    .private_segment_fixed_size: 0
    .sgpr_count:     0
    .sgpr_spill_count: 0
    .symbol:         _ZN7rocprim17ROCPRIM_400000_NS6detail17trampoline_kernelINS0_14default_configENS1_36segmented_radix_sort_config_selectorIalEEZNS1_25segmented_radix_sort_implIS3_Lb1EPKaPaPKlPlN2at6native12_GLOBAL__N_18offset_tEEE10hipError_tPvRmT1_PNSt15iterator_traitsISK_E10value_typeET2_T3_PNSL_ISQ_E10value_typeET4_jRbjT5_SW_jjP12ihipStream_tbEUlT_E2_NS1_11comp_targetILNS1_3genE10ELNS1_11target_archE1200ELNS1_3gpuE4ELNS1_3repE0EEENS1_30default_config_static_selectorELNS0_4arch9wavefront6targetE0EEEvSK_.kd
    .uniform_work_group_size: 1
    .uses_dynamic_stack: false
    .vgpr_count:     0
    .vgpr_spill_count: 0
    .wavefront_size: 32
    .workgroup_processor_mode: 1
  - .args:
      - .offset:         0
        .size:           80
        .value_kind:     by_value
    .group_segment_fixed_size: 0
    .kernarg_segment_align: 8
    .kernarg_segment_size: 80
    .language:       OpenCL C
    .language_version:
      - 2
      - 0
    .max_flat_workgroup_size: 256
    .name:           _ZN7rocprim17ROCPRIM_400000_NS6detail17trampoline_kernelINS0_14default_configENS1_36segmented_radix_sort_config_selectorIalEEZNS1_25segmented_radix_sort_implIS3_Lb1EPKaPaPKlPlN2at6native12_GLOBAL__N_18offset_tEEE10hipError_tPvRmT1_PNSt15iterator_traitsISK_E10value_typeET2_T3_PNSL_ISQ_E10value_typeET4_jRbjT5_SW_jjP12ihipStream_tbEUlT_E2_NS1_11comp_targetILNS1_3genE9ELNS1_11target_archE1100ELNS1_3gpuE3ELNS1_3repE0EEENS1_30default_config_static_selectorELNS0_4arch9wavefront6targetE0EEEvSK_
    .private_segment_fixed_size: 0
    .sgpr_count:     0
    .sgpr_spill_count: 0
    .symbol:         _ZN7rocprim17ROCPRIM_400000_NS6detail17trampoline_kernelINS0_14default_configENS1_36segmented_radix_sort_config_selectorIalEEZNS1_25segmented_radix_sort_implIS3_Lb1EPKaPaPKlPlN2at6native12_GLOBAL__N_18offset_tEEE10hipError_tPvRmT1_PNSt15iterator_traitsISK_E10value_typeET2_T3_PNSL_ISQ_E10value_typeET4_jRbjT5_SW_jjP12ihipStream_tbEUlT_E2_NS1_11comp_targetILNS1_3genE9ELNS1_11target_archE1100ELNS1_3gpuE3ELNS1_3repE0EEENS1_30default_config_static_selectorELNS0_4arch9wavefront6targetE0EEEvSK_.kd
    .uniform_work_group_size: 1
    .uses_dynamic_stack: false
    .vgpr_count:     0
    .vgpr_spill_count: 0
    .wavefront_size: 32
    .workgroup_processor_mode: 1
  - .args:
      - .offset:         0
        .size:           80
        .value_kind:     by_value
      - .offset:         80
        .size:           4
        .value_kind:     hidden_block_count_x
      - .offset:         84
        .size:           4
        .value_kind:     hidden_block_count_y
      - .offset:         88
        .size:           4
        .value_kind:     hidden_block_count_z
      - .offset:         92
        .size:           2
        .value_kind:     hidden_group_size_x
      - .offset:         94
        .size:           2
        .value_kind:     hidden_group_size_y
      - .offset:         96
        .size:           2
        .value_kind:     hidden_group_size_z
      - .offset:         98
        .size:           2
        .value_kind:     hidden_remainder_x
      - .offset:         100
        .size:           2
        .value_kind:     hidden_remainder_y
      - .offset:         102
        .size:           2
        .value_kind:     hidden_remainder_z
      - .offset:         120
        .size:           8
        .value_kind:     hidden_global_offset_x
      - .offset:         128
        .size:           8
        .value_kind:     hidden_global_offset_y
      - .offset:         136
        .size:           8
        .value_kind:     hidden_global_offset_z
      - .offset:         144
        .size:           2
        .value_kind:     hidden_grid_dims
    .group_segment_fixed_size: 35344
    .kernarg_segment_align: 8
    .kernarg_segment_size: 336
    .language:       OpenCL C
    .language_version:
      - 2
      - 0
    .max_flat_workgroup_size: 256
    .name:           _ZN7rocprim17ROCPRIM_400000_NS6detail17trampoline_kernelINS0_14default_configENS1_36segmented_radix_sort_config_selectorIalEEZNS1_25segmented_radix_sort_implIS3_Lb1EPKaPaPKlPlN2at6native12_GLOBAL__N_18offset_tEEE10hipError_tPvRmT1_PNSt15iterator_traitsISK_E10value_typeET2_T3_PNSL_ISQ_E10value_typeET4_jRbjT5_SW_jjP12ihipStream_tbEUlT_E2_NS1_11comp_targetILNS1_3genE8ELNS1_11target_archE1030ELNS1_3gpuE2ELNS1_3repE0EEENS1_30default_config_static_selectorELNS0_4arch9wavefront6targetE0EEEvSK_
    .private_segment_fixed_size: 240
    .sgpr_count:     70
    .sgpr_spill_count: 0
    .symbol:         _ZN7rocprim17ROCPRIM_400000_NS6detail17trampoline_kernelINS0_14default_configENS1_36segmented_radix_sort_config_selectorIalEEZNS1_25segmented_radix_sort_implIS3_Lb1EPKaPaPKlPlN2at6native12_GLOBAL__N_18offset_tEEE10hipError_tPvRmT1_PNSt15iterator_traitsISK_E10value_typeET2_T3_PNSL_ISQ_E10value_typeET4_jRbjT5_SW_jjP12ihipStream_tbEUlT_E2_NS1_11comp_targetILNS1_3genE8ELNS1_11target_archE1030ELNS1_3gpuE2ELNS1_3repE0EEENS1_30default_config_static_selectorELNS0_4arch9wavefront6targetE0EEEvSK_.kd
    .uniform_work_group_size: 1
    .uses_dynamic_stack: false
    .vgpr_count:     248
    .vgpr_spill_count: 0
    .wavefront_size: 32
    .workgroup_processor_mode: 1
  - .args:
      - .offset:         0
        .size:           176
        .value_kind:     by_value
    .group_segment_fixed_size: 0
    .kernarg_segment_align: 8
    .kernarg_segment_size: 176
    .language:       OpenCL C
    .language_version:
      - 2
      - 0
    .max_flat_workgroup_size: 256
    .name:           _ZN7rocprim17ROCPRIM_400000_NS6detail17trampoline_kernelINS0_13select_configILj256ELj13ELNS0_17block_load_methodE3ELS4_3ELS4_3ELNS0_20block_scan_algorithmE0ELj4294967295EEENS1_25partition_config_selectorILNS1_17partition_subalgoE4EjNS0_10empty_typeEbEEZZNS1_14partition_implILS8_4ELb0ES6_15HIP_vector_typeIjLj2EENS0_17counting_iteratorIjlEEPS9_SG_NS0_5tupleIJPjSI_NS0_16reverse_iteratorISI_EEEEENSH_IJSG_SG_SG_EEES9_SI_JZNS1_25segmented_radix_sort_implINS0_14default_configELb0EPKaPaPKlPlN2at6native12_GLOBAL__N_18offset_tEEE10hipError_tPvRmT1_PNSt15iterator_traitsIS12_E10value_typeET2_T3_PNS13_IS18_E10value_typeET4_jRbjT5_S1E_jjP12ihipStream_tbEUljE_ZNSN_ISO_Lb0ESQ_SR_ST_SU_SY_EESZ_S10_S11_S12_S16_S17_S18_S1B_S1C_jS1D_jS1E_S1E_jjS1G_bEUljE0_EEESZ_S10_S11_S18_S1C_S1E_T6_T7_T9_mT8_S1G_bDpT10_ENKUlT_T0_E_clISt17integral_constantIbLb0EES1U_EEDaS1P_S1Q_EUlS1P_E_NS1_11comp_targetILNS1_3genE0ELNS1_11target_archE4294967295ELNS1_3gpuE0ELNS1_3repE0EEENS1_30default_config_static_selectorELNS0_4arch9wavefront6targetE0EEEvS12_
    .private_segment_fixed_size: 0
    .sgpr_count:     0
    .sgpr_spill_count: 0
    .symbol:         _ZN7rocprim17ROCPRIM_400000_NS6detail17trampoline_kernelINS0_13select_configILj256ELj13ELNS0_17block_load_methodE3ELS4_3ELS4_3ELNS0_20block_scan_algorithmE0ELj4294967295EEENS1_25partition_config_selectorILNS1_17partition_subalgoE4EjNS0_10empty_typeEbEEZZNS1_14partition_implILS8_4ELb0ES6_15HIP_vector_typeIjLj2EENS0_17counting_iteratorIjlEEPS9_SG_NS0_5tupleIJPjSI_NS0_16reverse_iteratorISI_EEEEENSH_IJSG_SG_SG_EEES9_SI_JZNS1_25segmented_radix_sort_implINS0_14default_configELb0EPKaPaPKlPlN2at6native12_GLOBAL__N_18offset_tEEE10hipError_tPvRmT1_PNSt15iterator_traitsIS12_E10value_typeET2_T3_PNS13_IS18_E10value_typeET4_jRbjT5_S1E_jjP12ihipStream_tbEUljE_ZNSN_ISO_Lb0ESQ_SR_ST_SU_SY_EESZ_S10_S11_S12_S16_S17_S18_S1B_S1C_jS1D_jS1E_S1E_jjS1G_bEUljE0_EEESZ_S10_S11_S18_S1C_S1E_T6_T7_T9_mT8_S1G_bDpT10_ENKUlT_T0_E_clISt17integral_constantIbLb0EES1U_EEDaS1P_S1Q_EUlS1P_E_NS1_11comp_targetILNS1_3genE0ELNS1_11target_archE4294967295ELNS1_3gpuE0ELNS1_3repE0EEENS1_30default_config_static_selectorELNS0_4arch9wavefront6targetE0EEEvS12_.kd
    .uniform_work_group_size: 1
    .uses_dynamic_stack: false
    .vgpr_count:     0
    .vgpr_spill_count: 0
    .wavefront_size: 32
    .workgroup_processor_mode: 1
  - .args:
      - .offset:         0
        .size:           176
        .value_kind:     by_value
    .group_segment_fixed_size: 0
    .kernarg_segment_align: 8
    .kernarg_segment_size: 176
    .language:       OpenCL C
    .language_version:
      - 2
      - 0
    .max_flat_workgroup_size: 256
    .name:           _ZN7rocprim17ROCPRIM_400000_NS6detail17trampoline_kernelINS0_13select_configILj256ELj13ELNS0_17block_load_methodE3ELS4_3ELS4_3ELNS0_20block_scan_algorithmE0ELj4294967295EEENS1_25partition_config_selectorILNS1_17partition_subalgoE4EjNS0_10empty_typeEbEEZZNS1_14partition_implILS8_4ELb0ES6_15HIP_vector_typeIjLj2EENS0_17counting_iteratorIjlEEPS9_SG_NS0_5tupleIJPjSI_NS0_16reverse_iteratorISI_EEEEENSH_IJSG_SG_SG_EEES9_SI_JZNS1_25segmented_radix_sort_implINS0_14default_configELb0EPKaPaPKlPlN2at6native12_GLOBAL__N_18offset_tEEE10hipError_tPvRmT1_PNSt15iterator_traitsIS12_E10value_typeET2_T3_PNS13_IS18_E10value_typeET4_jRbjT5_S1E_jjP12ihipStream_tbEUljE_ZNSN_ISO_Lb0ESQ_SR_ST_SU_SY_EESZ_S10_S11_S12_S16_S17_S18_S1B_S1C_jS1D_jS1E_S1E_jjS1G_bEUljE0_EEESZ_S10_S11_S18_S1C_S1E_T6_T7_T9_mT8_S1G_bDpT10_ENKUlT_T0_E_clISt17integral_constantIbLb0EES1U_EEDaS1P_S1Q_EUlS1P_E_NS1_11comp_targetILNS1_3genE5ELNS1_11target_archE942ELNS1_3gpuE9ELNS1_3repE0EEENS1_30default_config_static_selectorELNS0_4arch9wavefront6targetE0EEEvS12_
    .private_segment_fixed_size: 0
    .sgpr_count:     0
    .sgpr_spill_count: 0
    .symbol:         _ZN7rocprim17ROCPRIM_400000_NS6detail17trampoline_kernelINS0_13select_configILj256ELj13ELNS0_17block_load_methodE3ELS4_3ELS4_3ELNS0_20block_scan_algorithmE0ELj4294967295EEENS1_25partition_config_selectorILNS1_17partition_subalgoE4EjNS0_10empty_typeEbEEZZNS1_14partition_implILS8_4ELb0ES6_15HIP_vector_typeIjLj2EENS0_17counting_iteratorIjlEEPS9_SG_NS0_5tupleIJPjSI_NS0_16reverse_iteratorISI_EEEEENSH_IJSG_SG_SG_EEES9_SI_JZNS1_25segmented_radix_sort_implINS0_14default_configELb0EPKaPaPKlPlN2at6native12_GLOBAL__N_18offset_tEEE10hipError_tPvRmT1_PNSt15iterator_traitsIS12_E10value_typeET2_T3_PNS13_IS18_E10value_typeET4_jRbjT5_S1E_jjP12ihipStream_tbEUljE_ZNSN_ISO_Lb0ESQ_SR_ST_SU_SY_EESZ_S10_S11_S12_S16_S17_S18_S1B_S1C_jS1D_jS1E_S1E_jjS1G_bEUljE0_EEESZ_S10_S11_S18_S1C_S1E_T6_T7_T9_mT8_S1G_bDpT10_ENKUlT_T0_E_clISt17integral_constantIbLb0EES1U_EEDaS1P_S1Q_EUlS1P_E_NS1_11comp_targetILNS1_3genE5ELNS1_11target_archE942ELNS1_3gpuE9ELNS1_3repE0EEENS1_30default_config_static_selectorELNS0_4arch9wavefront6targetE0EEEvS12_.kd
    .uniform_work_group_size: 1
    .uses_dynamic_stack: false
    .vgpr_count:     0
    .vgpr_spill_count: 0
    .wavefront_size: 32
    .workgroup_processor_mode: 1
  - .args:
      - .offset:         0
        .size:           176
        .value_kind:     by_value
    .group_segment_fixed_size: 0
    .kernarg_segment_align: 8
    .kernarg_segment_size: 176
    .language:       OpenCL C
    .language_version:
      - 2
      - 0
    .max_flat_workgroup_size: 256
    .name:           _ZN7rocprim17ROCPRIM_400000_NS6detail17trampoline_kernelINS0_13select_configILj256ELj13ELNS0_17block_load_methodE3ELS4_3ELS4_3ELNS0_20block_scan_algorithmE0ELj4294967295EEENS1_25partition_config_selectorILNS1_17partition_subalgoE4EjNS0_10empty_typeEbEEZZNS1_14partition_implILS8_4ELb0ES6_15HIP_vector_typeIjLj2EENS0_17counting_iteratorIjlEEPS9_SG_NS0_5tupleIJPjSI_NS0_16reverse_iteratorISI_EEEEENSH_IJSG_SG_SG_EEES9_SI_JZNS1_25segmented_radix_sort_implINS0_14default_configELb0EPKaPaPKlPlN2at6native12_GLOBAL__N_18offset_tEEE10hipError_tPvRmT1_PNSt15iterator_traitsIS12_E10value_typeET2_T3_PNS13_IS18_E10value_typeET4_jRbjT5_S1E_jjP12ihipStream_tbEUljE_ZNSN_ISO_Lb0ESQ_SR_ST_SU_SY_EESZ_S10_S11_S12_S16_S17_S18_S1B_S1C_jS1D_jS1E_S1E_jjS1G_bEUljE0_EEESZ_S10_S11_S18_S1C_S1E_T6_T7_T9_mT8_S1G_bDpT10_ENKUlT_T0_E_clISt17integral_constantIbLb0EES1U_EEDaS1P_S1Q_EUlS1P_E_NS1_11comp_targetILNS1_3genE4ELNS1_11target_archE910ELNS1_3gpuE8ELNS1_3repE0EEENS1_30default_config_static_selectorELNS0_4arch9wavefront6targetE0EEEvS12_
    .private_segment_fixed_size: 0
    .sgpr_count:     0
    .sgpr_spill_count: 0
    .symbol:         _ZN7rocprim17ROCPRIM_400000_NS6detail17trampoline_kernelINS0_13select_configILj256ELj13ELNS0_17block_load_methodE3ELS4_3ELS4_3ELNS0_20block_scan_algorithmE0ELj4294967295EEENS1_25partition_config_selectorILNS1_17partition_subalgoE4EjNS0_10empty_typeEbEEZZNS1_14partition_implILS8_4ELb0ES6_15HIP_vector_typeIjLj2EENS0_17counting_iteratorIjlEEPS9_SG_NS0_5tupleIJPjSI_NS0_16reverse_iteratorISI_EEEEENSH_IJSG_SG_SG_EEES9_SI_JZNS1_25segmented_radix_sort_implINS0_14default_configELb0EPKaPaPKlPlN2at6native12_GLOBAL__N_18offset_tEEE10hipError_tPvRmT1_PNSt15iterator_traitsIS12_E10value_typeET2_T3_PNS13_IS18_E10value_typeET4_jRbjT5_S1E_jjP12ihipStream_tbEUljE_ZNSN_ISO_Lb0ESQ_SR_ST_SU_SY_EESZ_S10_S11_S12_S16_S17_S18_S1B_S1C_jS1D_jS1E_S1E_jjS1G_bEUljE0_EEESZ_S10_S11_S18_S1C_S1E_T6_T7_T9_mT8_S1G_bDpT10_ENKUlT_T0_E_clISt17integral_constantIbLb0EES1U_EEDaS1P_S1Q_EUlS1P_E_NS1_11comp_targetILNS1_3genE4ELNS1_11target_archE910ELNS1_3gpuE8ELNS1_3repE0EEENS1_30default_config_static_selectorELNS0_4arch9wavefront6targetE0EEEvS12_.kd
    .uniform_work_group_size: 1
    .uses_dynamic_stack: false
    .vgpr_count:     0
    .vgpr_spill_count: 0
    .wavefront_size: 32
    .workgroup_processor_mode: 1
  - .args:
      - .offset:         0
        .size:           176
        .value_kind:     by_value
    .group_segment_fixed_size: 0
    .kernarg_segment_align: 8
    .kernarg_segment_size: 176
    .language:       OpenCL C
    .language_version:
      - 2
      - 0
    .max_flat_workgroup_size: 256
    .name:           _ZN7rocprim17ROCPRIM_400000_NS6detail17trampoline_kernelINS0_13select_configILj256ELj13ELNS0_17block_load_methodE3ELS4_3ELS4_3ELNS0_20block_scan_algorithmE0ELj4294967295EEENS1_25partition_config_selectorILNS1_17partition_subalgoE4EjNS0_10empty_typeEbEEZZNS1_14partition_implILS8_4ELb0ES6_15HIP_vector_typeIjLj2EENS0_17counting_iteratorIjlEEPS9_SG_NS0_5tupleIJPjSI_NS0_16reverse_iteratorISI_EEEEENSH_IJSG_SG_SG_EEES9_SI_JZNS1_25segmented_radix_sort_implINS0_14default_configELb0EPKaPaPKlPlN2at6native12_GLOBAL__N_18offset_tEEE10hipError_tPvRmT1_PNSt15iterator_traitsIS12_E10value_typeET2_T3_PNS13_IS18_E10value_typeET4_jRbjT5_S1E_jjP12ihipStream_tbEUljE_ZNSN_ISO_Lb0ESQ_SR_ST_SU_SY_EESZ_S10_S11_S12_S16_S17_S18_S1B_S1C_jS1D_jS1E_S1E_jjS1G_bEUljE0_EEESZ_S10_S11_S18_S1C_S1E_T6_T7_T9_mT8_S1G_bDpT10_ENKUlT_T0_E_clISt17integral_constantIbLb0EES1U_EEDaS1P_S1Q_EUlS1P_E_NS1_11comp_targetILNS1_3genE3ELNS1_11target_archE908ELNS1_3gpuE7ELNS1_3repE0EEENS1_30default_config_static_selectorELNS0_4arch9wavefront6targetE0EEEvS12_
    .private_segment_fixed_size: 0
    .sgpr_count:     0
    .sgpr_spill_count: 0
    .symbol:         _ZN7rocprim17ROCPRIM_400000_NS6detail17trampoline_kernelINS0_13select_configILj256ELj13ELNS0_17block_load_methodE3ELS4_3ELS4_3ELNS0_20block_scan_algorithmE0ELj4294967295EEENS1_25partition_config_selectorILNS1_17partition_subalgoE4EjNS0_10empty_typeEbEEZZNS1_14partition_implILS8_4ELb0ES6_15HIP_vector_typeIjLj2EENS0_17counting_iteratorIjlEEPS9_SG_NS0_5tupleIJPjSI_NS0_16reverse_iteratorISI_EEEEENSH_IJSG_SG_SG_EEES9_SI_JZNS1_25segmented_radix_sort_implINS0_14default_configELb0EPKaPaPKlPlN2at6native12_GLOBAL__N_18offset_tEEE10hipError_tPvRmT1_PNSt15iterator_traitsIS12_E10value_typeET2_T3_PNS13_IS18_E10value_typeET4_jRbjT5_S1E_jjP12ihipStream_tbEUljE_ZNSN_ISO_Lb0ESQ_SR_ST_SU_SY_EESZ_S10_S11_S12_S16_S17_S18_S1B_S1C_jS1D_jS1E_S1E_jjS1G_bEUljE0_EEESZ_S10_S11_S18_S1C_S1E_T6_T7_T9_mT8_S1G_bDpT10_ENKUlT_T0_E_clISt17integral_constantIbLb0EES1U_EEDaS1P_S1Q_EUlS1P_E_NS1_11comp_targetILNS1_3genE3ELNS1_11target_archE908ELNS1_3gpuE7ELNS1_3repE0EEENS1_30default_config_static_selectorELNS0_4arch9wavefront6targetE0EEEvS12_.kd
    .uniform_work_group_size: 1
    .uses_dynamic_stack: false
    .vgpr_count:     0
    .vgpr_spill_count: 0
    .wavefront_size: 32
    .workgroup_processor_mode: 1
  - .args:
      - .offset:         0
        .size:           176
        .value_kind:     by_value
    .group_segment_fixed_size: 0
    .kernarg_segment_align: 8
    .kernarg_segment_size: 176
    .language:       OpenCL C
    .language_version:
      - 2
      - 0
    .max_flat_workgroup_size: 256
    .name:           _ZN7rocprim17ROCPRIM_400000_NS6detail17trampoline_kernelINS0_13select_configILj256ELj13ELNS0_17block_load_methodE3ELS4_3ELS4_3ELNS0_20block_scan_algorithmE0ELj4294967295EEENS1_25partition_config_selectorILNS1_17partition_subalgoE4EjNS0_10empty_typeEbEEZZNS1_14partition_implILS8_4ELb0ES6_15HIP_vector_typeIjLj2EENS0_17counting_iteratorIjlEEPS9_SG_NS0_5tupleIJPjSI_NS0_16reverse_iteratorISI_EEEEENSH_IJSG_SG_SG_EEES9_SI_JZNS1_25segmented_radix_sort_implINS0_14default_configELb0EPKaPaPKlPlN2at6native12_GLOBAL__N_18offset_tEEE10hipError_tPvRmT1_PNSt15iterator_traitsIS12_E10value_typeET2_T3_PNS13_IS18_E10value_typeET4_jRbjT5_S1E_jjP12ihipStream_tbEUljE_ZNSN_ISO_Lb0ESQ_SR_ST_SU_SY_EESZ_S10_S11_S12_S16_S17_S18_S1B_S1C_jS1D_jS1E_S1E_jjS1G_bEUljE0_EEESZ_S10_S11_S18_S1C_S1E_T6_T7_T9_mT8_S1G_bDpT10_ENKUlT_T0_E_clISt17integral_constantIbLb0EES1U_EEDaS1P_S1Q_EUlS1P_E_NS1_11comp_targetILNS1_3genE2ELNS1_11target_archE906ELNS1_3gpuE6ELNS1_3repE0EEENS1_30default_config_static_selectorELNS0_4arch9wavefront6targetE0EEEvS12_
    .private_segment_fixed_size: 0
    .sgpr_count:     0
    .sgpr_spill_count: 0
    .symbol:         _ZN7rocprim17ROCPRIM_400000_NS6detail17trampoline_kernelINS0_13select_configILj256ELj13ELNS0_17block_load_methodE3ELS4_3ELS4_3ELNS0_20block_scan_algorithmE0ELj4294967295EEENS1_25partition_config_selectorILNS1_17partition_subalgoE4EjNS0_10empty_typeEbEEZZNS1_14partition_implILS8_4ELb0ES6_15HIP_vector_typeIjLj2EENS0_17counting_iteratorIjlEEPS9_SG_NS0_5tupleIJPjSI_NS0_16reverse_iteratorISI_EEEEENSH_IJSG_SG_SG_EEES9_SI_JZNS1_25segmented_radix_sort_implINS0_14default_configELb0EPKaPaPKlPlN2at6native12_GLOBAL__N_18offset_tEEE10hipError_tPvRmT1_PNSt15iterator_traitsIS12_E10value_typeET2_T3_PNS13_IS18_E10value_typeET4_jRbjT5_S1E_jjP12ihipStream_tbEUljE_ZNSN_ISO_Lb0ESQ_SR_ST_SU_SY_EESZ_S10_S11_S12_S16_S17_S18_S1B_S1C_jS1D_jS1E_S1E_jjS1G_bEUljE0_EEESZ_S10_S11_S18_S1C_S1E_T6_T7_T9_mT8_S1G_bDpT10_ENKUlT_T0_E_clISt17integral_constantIbLb0EES1U_EEDaS1P_S1Q_EUlS1P_E_NS1_11comp_targetILNS1_3genE2ELNS1_11target_archE906ELNS1_3gpuE6ELNS1_3repE0EEENS1_30default_config_static_selectorELNS0_4arch9wavefront6targetE0EEEvS12_.kd
    .uniform_work_group_size: 1
    .uses_dynamic_stack: false
    .vgpr_count:     0
    .vgpr_spill_count: 0
    .wavefront_size: 32
    .workgroup_processor_mode: 1
  - .args:
      - .offset:         0
        .size:           176
        .value_kind:     by_value
    .group_segment_fixed_size: 0
    .kernarg_segment_align: 8
    .kernarg_segment_size: 176
    .language:       OpenCL C
    .language_version:
      - 2
      - 0
    .max_flat_workgroup_size: 256
    .name:           _ZN7rocprim17ROCPRIM_400000_NS6detail17trampoline_kernelINS0_13select_configILj256ELj13ELNS0_17block_load_methodE3ELS4_3ELS4_3ELNS0_20block_scan_algorithmE0ELj4294967295EEENS1_25partition_config_selectorILNS1_17partition_subalgoE4EjNS0_10empty_typeEbEEZZNS1_14partition_implILS8_4ELb0ES6_15HIP_vector_typeIjLj2EENS0_17counting_iteratorIjlEEPS9_SG_NS0_5tupleIJPjSI_NS0_16reverse_iteratorISI_EEEEENSH_IJSG_SG_SG_EEES9_SI_JZNS1_25segmented_radix_sort_implINS0_14default_configELb0EPKaPaPKlPlN2at6native12_GLOBAL__N_18offset_tEEE10hipError_tPvRmT1_PNSt15iterator_traitsIS12_E10value_typeET2_T3_PNS13_IS18_E10value_typeET4_jRbjT5_S1E_jjP12ihipStream_tbEUljE_ZNSN_ISO_Lb0ESQ_SR_ST_SU_SY_EESZ_S10_S11_S12_S16_S17_S18_S1B_S1C_jS1D_jS1E_S1E_jjS1G_bEUljE0_EEESZ_S10_S11_S18_S1C_S1E_T6_T7_T9_mT8_S1G_bDpT10_ENKUlT_T0_E_clISt17integral_constantIbLb0EES1U_EEDaS1P_S1Q_EUlS1P_E_NS1_11comp_targetILNS1_3genE10ELNS1_11target_archE1200ELNS1_3gpuE4ELNS1_3repE0EEENS1_30default_config_static_selectorELNS0_4arch9wavefront6targetE0EEEvS12_
    .private_segment_fixed_size: 0
    .sgpr_count:     0
    .sgpr_spill_count: 0
    .symbol:         _ZN7rocprim17ROCPRIM_400000_NS6detail17trampoline_kernelINS0_13select_configILj256ELj13ELNS0_17block_load_methodE3ELS4_3ELS4_3ELNS0_20block_scan_algorithmE0ELj4294967295EEENS1_25partition_config_selectorILNS1_17partition_subalgoE4EjNS0_10empty_typeEbEEZZNS1_14partition_implILS8_4ELb0ES6_15HIP_vector_typeIjLj2EENS0_17counting_iteratorIjlEEPS9_SG_NS0_5tupleIJPjSI_NS0_16reverse_iteratorISI_EEEEENSH_IJSG_SG_SG_EEES9_SI_JZNS1_25segmented_radix_sort_implINS0_14default_configELb0EPKaPaPKlPlN2at6native12_GLOBAL__N_18offset_tEEE10hipError_tPvRmT1_PNSt15iterator_traitsIS12_E10value_typeET2_T3_PNS13_IS18_E10value_typeET4_jRbjT5_S1E_jjP12ihipStream_tbEUljE_ZNSN_ISO_Lb0ESQ_SR_ST_SU_SY_EESZ_S10_S11_S12_S16_S17_S18_S1B_S1C_jS1D_jS1E_S1E_jjS1G_bEUljE0_EEESZ_S10_S11_S18_S1C_S1E_T6_T7_T9_mT8_S1G_bDpT10_ENKUlT_T0_E_clISt17integral_constantIbLb0EES1U_EEDaS1P_S1Q_EUlS1P_E_NS1_11comp_targetILNS1_3genE10ELNS1_11target_archE1200ELNS1_3gpuE4ELNS1_3repE0EEENS1_30default_config_static_selectorELNS0_4arch9wavefront6targetE0EEEvS12_.kd
    .uniform_work_group_size: 1
    .uses_dynamic_stack: false
    .vgpr_count:     0
    .vgpr_spill_count: 0
    .wavefront_size: 32
    .workgroup_processor_mode: 1
  - .args:
      - .offset:         0
        .size:           176
        .value_kind:     by_value
    .group_segment_fixed_size: 0
    .kernarg_segment_align: 8
    .kernarg_segment_size: 176
    .language:       OpenCL C
    .language_version:
      - 2
      - 0
    .max_flat_workgroup_size: 256
    .name:           _ZN7rocprim17ROCPRIM_400000_NS6detail17trampoline_kernelINS0_13select_configILj256ELj13ELNS0_17block_load_methodE3ELS4_3ELS4_3ELNS0_20block_scan_algorithmE0ELj4294967295EEENS1_25partition_config_selectorILNS1_17partition_subalgoE4EjNS0_10empty_typeEbEEZZNS1_14partition_implILS8_4ELb0ES6_15HIP_vector_typeIjLj2EENS0_17counting_iteratorIjlEEPS9_SG_NS0_5tupleIJPjSI_NS0_16reverse_iteratorISI_EEEEENSH_IJSG_SG_SG_EEES9_SI_JZNS1_25segmented_radix_sort_implINS0_14default_configELb0EPKaPaPKlPlN2at6native12_GLOBAL__N_18offset_tEEE10hipError_tPvRmT1_PNSt15iterator_traitsIS12_E10value_typeET2_T3_PNS13_IS18_E10value_typeET4_jRbjT5_S1E_jjP12ihipStream_tbEUljE_ZNSN_ISO_Lb0ESQ_SR_ST_SU_SY_EESZ_S10_S11_S12_S16_S17_S18_S1B_S1C_jS1D_jS1E_S1E_jjS1G_bEUljE0_EEESZ_S10_S11_S18_S1C_S1E_T6_T7_T9_mT8_S1G_bDpT10_ENKUlT_T0_E_clISt17integral_constantIbLb0EES1U_EEDaS1P_S1Q_EUlS1P_E_NS1_11comp_targetILNS1_3genE9ELNS1_11target_archE1100ELNS1_3gpuE3ELNS1_3repE0EEENS1_30default_config_static_selectorELNS0_4arch9wavefront6targetE0EEEvS12_
    .private_segment_fixed_size: 0
    .sgpr_count:     0
    .sgpr_spill_count: 0
    .symbol:         _ZN7rocprim17ROCPRIM_400000_NS6detail17trampoline_kernelINS0_13select_configILj256ELj13ELNS0_17block_load_methodE3ELS4_3ELS4_3ELNS0_20block_scan_algorithmE0ELj4294967295EEENS1_25partition_config_selectorILNS1_17partition_subalgoE4EjNS0_10empty_typeEbEEZZNS1_14partition_implILS8_4ELb0ES6_15HIP_vector_typeIjLj2EENS0_17counting_iteratorIjlEEPS9_SG_NS0_5tupleIJPjSI_NS0_16reverse_iteratorISI_EEEEENSH_IJSG_SG_SG_EEES9_SI_JZNS1_25segmented_radix_sort_implINS0_14default_configELb0EPKaPaPKlPlN2at6native12_GLOBAL__N_18offset_tEEE10hipError_tPvRmT1_PNSt15iterator_traitsIS12_E10value_typeET2_T3_PNS13_IS18_E10value_typeET4_jRbjT5_S1E_jjP12ihipStream_tbEUljE_ZNSN_ISO_Lb0ESQ_SR_ST_SU_SY_EESZ_S10_S11_S12_S16_S17_S18_S1B_S1C_jS1D_jS1E_S1E_jjS1G_bEUljE0_EEESZ_S10_S11_S18_S1C_S1E_T6_T7_T9_mT8_S1G_bDpT10_ENKUlT_T0_E_clISt17integral_constantIbLb0EES1U_EEDaS1P_S1Q_EUlS1P_E_NS1_11comp_targetILNS1_3genE9ELNS1_11target_archE1100ELNS1_3gpuE3ELNS1_3repE0EEENS1_30default_config_static_selectorELNS0_4arch9wavefront6targetE0EEEvS12_.kd
    .uniform_work_group_size: 1
    .uses_dynamic_stack: false
    .vgpr_count:     0
    .vgpr_spill_count: 0
    .wavefront_size: 32
    .workgroup_processor_mode: 1
  - .args:
      - .offset:         0
        .size:           176
        .value_kind:     by_value
    .group_segment_fixed_size: 13328
    .kernarg_segment_align: 8
    .kernarg_segment_size: 176
    .language:       OpenCL C
    .language_version:
      - 2
      - 0
    .max_flat_workgroup_size: 256
    .name:           _ZN7rocprim17ROCPRIM_400000_NS6detail17trampoline_kernelINS0_13select_configILj256ELj13ELNS0_17block_load_methodE3ELS4_3ELS4_3ELNS0_20block_scan_algorithmE0ELj4294967295EEENS1_25partition_config_selectorILNS1_17partition_subalgoE4EjNS0_10empty_typeEbEEZZNS1_14partition_implILS8_4ELb0ES6_15HIP_vector_typeIjLj2EENS0_17counting_iteratorIjlEEPS9_SG_NS0_5tupleIJPjSI_NS0_16reverse_iteratorISI_EEEEENSH_IJSG_SG_SG_EEES9_SI_JZNS1_25segmented_radix_sort_implINS0_14default_configELb0EPKaPaPKlPlN2at6native12_GLOBAL__N_18offset_tEEE10hipError_tPvRmT1_PNSt15iterator_traitsIS12_E10value_typeET2_T3_PNS13_IS18_E10value_typeET4_jRbjT5_S1E_jjP12ihipStream_tbEUljE_ZNSN_ISO_Lb0ESQ_SR_ST_SU_SY_EESZ_S10_S11_S12_S16_S17_S18_S1B_S1C_jS1D_jS1E_S1E_jjS1G_bEUljE0_EEESZ_S10_S11_S18_S1C_S1E_T6_T7_T9_mT8_S1G_bDpT10_ENKUlT_T0_E_clISt17integral_constantIbLb0EES1U_EEDaS1P_S1Q_EUlS1P_E_NS1_11comp_targetILNS1_3genE8ELNS1_11target_archE1030ELNS1_3gpuE2ELNS1_3repE0EEENS1_30default_config_static_selectorELNS0_4arch9wavefront6targetE0EEEvS12_
    .private_segment_fixed_size: 0
    .sgpr_count:     61
    .sgpr_spill_count: 0
    .symbol:         _ZN7rocprim17ROCPRIM_400000_NS6detail17trampoline_kernelINS0_13select_configILj256ELj13ELNS0_17block_load_methodE3ELS4_3ELS4_3ELNS0_20block_scan_algorithmE0ELj4294967295EEENS1_25partition_config_selectorILNS1_17partition_subalgoE4EjNS0_10empty_typeEbEEZZNS1_14partition_implILS8_4ELb0ES6_15HIP_vector_typeIjLj2EENS0_17counting_iteratorIjlEEPS9_SG_NS0_5tupleIJPjSI_NS0_16reverse_iteratorISI_EEEEENSH_IJSG_SG_SG_EEES9_SI_JZNS1_25segmented_radix_sort_implINS0_14default_configELb0EPKaPaPKlPlN2at6native12_GLOBAL__N_18offset_tEEE10hipError_tPvRmT1_PNSt15iterator_traitsIS12_E10value_typeET2_T3_PNS13_IS18_E10value_typeET4_jRbjT5_S1E_jjP12ihipStream_tbEUljE_ZNSN_ISO_Lb0ESQ_SR_ST_SU_SY_EESZ_S10_S11_S12_S16_S17_S18_S1B_S1C_jS1D_jS1E_S1E_jjS1G_bEUljE0_EEESZ_S10_S11_S18_S1C_S1E_T6_T7_T9_mT8_S1G_bDpT10_ENKUlT_T0_E_clISt17integral_constantIbLb0EES1U_EEDaS1P_S1Q_EUlS1P_E_NS1_11comp_targetILNS1_3genE8ELNS1_11target_archE1030ELNS1_3gpuE2ELNS1_3repE0EEENS1_30default_config_static_selectorELNS0_4arch9wavefront6targetE0EEEvS12_.kd
    .uniform_work_group_size: 1
    .uses_dynamic_stack: false
    .vgpr_count:     82
    .vgpr_spill_count: 0
    .wavefront_size: 32
    .workgroup_processor_mode: 1
  - .args:
      - .offset:         0
        .size:           184
        .value_kind:     by_value
    .group_segment_fixed_size: 0
    .kernarg_segment_align: 8
    .kernarg_segment_size: 184
    .language:       OpenCL C
    .language_version:
      - 2
      - 0
    .max_flat_workgroup_size: 256
    .name:           _ZN7rocprim17ROCPRIM_400000_NS6detail17trampoline_kernelINS0_13select_configILj256ELj13ELNS0_17block_load_methodE3ELS4_3ELS4_3ELNS0_20block_scan_algorithmE0ELj4294967295EEENS1_25partition_config_selectorILNS1_17partition_subalgoE4EjNS0_10empty_typeEbEEZZNS1_14partition_implILS8_4ELb0ES6_15HIP_vector_typeIjLj2EENS0_17counting_iteratorIjlEEPS9_SG_NS0_5tupleIJPjSI_NS0_16reverse_iteratorISI_EEEEENSH_IJSG_SG_SG_EEES9_SI_JZNS1_25segmented_radix_sort_implINS0_14default_configELb0EPKaPaPKlPlN2at6native12_GLOBAL__N_18offset_tEEE10hipError_tPvRmT1_PNSt15iterator_traitsIS12_E10value_typeET2_T3_PNS13_IS18_E10value_typeET4_jRbjT5_S1E_jjP12ihipStream_tbEUljE_ZNSN_ISO_Lb0ESQ_SR_ST_SU_SY_EESZ_S10_S11_S12_S16_S17_S18_S1B_S1C_jS1D_jS1E_S1E_jjS1G_bEUljE0_EEESZ_S10_S11_S18_S1C_S1E_T6_T7_T9_mT8_S1G_bDpT10_ENKUlT_T0_E_clISt17integral_constantIbLb1EES1U_EEDaS1P_S1Q_EUlS1P_E_NS1_11comp_targetILNS1_3genE0ELNS1_11target_archE4294967295ELNS1_3gpuE0ELNS1_3repE0EEENS1_30default_config_static_selectorELNS0_4arch9wavefront6targetE0EEEvS12_
    .private_segment_fixed_size: 0
    .sgpr_count:     0
    .sgpr_spill_count: 0
    .symbol:         _ZN7rocprim17ROCPRIM_400000_NS6detail17trampoline_kernelINS0_13select_configILj256ELj13ELNS0_17block_load_methodE3ELS4_3ELS4_3ELNS0_20block_scan_algorithmE0ELj4294967295EEENS1_25partition_config_selectorILNS1_17partition_subalgoE4EjNS0_10empty_typeEbEEZZNS1_14partition_implILS8_4ELb0ES6_15HIP_vector_typeIjLj2EENS0_17counting_iteratorIjlEEPS9_SG_NS0_5tupleIJPjSI_NS0_16reverse_iteratorISI_EEEEENSH_IJSG_SG_SG_EEES9_SI_JZNS1_25segmented_radix_sort_implINS0_14default_configELb0EPKaPaPKlPlN2at6native12_GLOBAL__N_18offset_tEEE10hipError_tPvRmT1_PNSt15iterator_traitsIS12_E10value_typeET2_T3_PNS13_IS18_E10value_typeET4_jRbjT5_S1E_jjP12ihipStream_tbEUljE_ZNSN_ISO_Lb0ESQ_SR_ST_SU_SY_EESZ_S10_S11_S12_S16_S17_S18_S1B_S1C_jS1D_jS1E_S1E_jjS1G_bEUljE0_EEESZ_S10_S11_S18_S1C_S1E_T6_T7_T9_mT8_S1G_bDpT10_ENKUlT_T0_E_clISt17integral_constantIbLb1EES1U_EEDaS1P_S1Q_EUlS1P_E_NS1_11comp_targetILNS1_3genE0ELNS1_11target_archE4294967295ELNS1_3gpuE0ELNS1_3repE0EEENS1_30default_config_static_selectorELNS0_4arch9wavefront6targetE0EEEvS12_.kd
    .uniform_work_group_size: 1
    .uses_dynamic_stack: false
    .vgpr_count:     0
    .vgpr_spill_count: 0
    .wavefront_size: 32
    .workgroup_processor_mode: 1
  - .args:
      - .offset:         0
        .size:           184
        .value_kind:     by_value
    .group_segment_fixed_size: 0
    .kernarg_segment_align: 8
    .kernarg_segment_size: 184
    .language:       OpenCL C
    .language_version:
      - 2
      - 0
    .max_flat_workgroup_size: 256
    .name:           _ZN7rocprim17ROCPRIM_400000_NS6detail17trampoline_kernelINS0_13select_configILj256ELj13ELNS0_17block_load_methodE3ELS4_3ELS4_3ELNS0_20block_scan_algorithmE0ELj4294967295EEENS1_25partition_config_selectorILNS1_17partition_subalgoE4EjNS0_10empty_typeEbEEZZNS1_14partition_implILS8_4ELb0ES6_15HIP_vector_typeIjLj2EENS0_17counting_iteratorIjlEEPS9_SG_NS0_5tupleIJPjSI_NS0_16reverse_iteratorISI_EEEEENSH_IJSG_SG_SG_EEES9_SI_JZNS1_25segmented_radix_sort_implINS0_14default_configELb0EPKaPaPKlPlN2at6native12_GLOBAL__N_18offset_tEEE10hipError_tPvRmT1_PNSt15iterator_traitsIS12_E10value_typeET2_T3_PNS13_IS18_E10value_typeET4_jRbjT5_S1E_jjP12ihipStream_tbEUljE_ZNSN_ISO_Lb0ESQ_SR_ST_SU_SY_EESZ_S10_S11_S12_S16_S17_S18_S1B_S1C_jS1D_jS1E_S1E_jjS1G_bEUljE0_EEESZ_S10_S11_S18_S1C_S1E_T6_T7_T9_mT8_S1G_bDpT10_ENKUlT_T0_E_clISt17integral_constantIbLb1EES1U_EEDaS1P_S1Q_EUlS1P_E_NS1_11comp_targetILNS1_3genE5ELNS1_11target_archE942ELNS1_3gpuE9ELNS1_3repE0EEENS1_30default_config_static_selectorELNS0_4arch9wavefront6targetE0EEEvS12_
    .private_segment_fixed_size: 0
    .sgpr_count:     0
    .sgpr_spill_count: 0
    .symbol:         _ZN7rocprim17ROCPRIM_400000_NS6detail17trampoline_kernelINS0_13select_configILj256ELj13ELNS0_17block_load_methodE3ELS4_3ELS4_3ELNS0_20block_scan_algorithmE0ELj4294967295EEENS1_25partition_config_selectorILNS1_17partition_subalgoE4EjNS0_10empty_typeEbEEZZNS1_14partition_implILS8_4ELb0ES6_15HIP_vector_typeIjLj2EENS0_17counting_iteratorIjlEEPS9_SG_NS0_5tupleIJPjSI_NS0_16reverse_iteratorISI_EEEEENSH_IJSG_SG_SG_EEES9_SI_JZNS1_25segmented_radix_sort_implINS0_14default_configELb0EPKaPaPKlPlN2at6native12_GLOBAL__N_18offset_tEEE10hipError_tPvRmT1_PNSt15iterator_traitsIS12_E10value_typeET2_T3_PNS13_IS18_E10value_typeET4_jRbjT5_S1E_jjP12ihipStream_tbEUljE_ZNSN_ISO_Lb0ESQ_SR_ST_SU_SY_EESZ_S10_S11_S12_S16_S17_S18_S1B_S1C_jS1D_jS1E_S1E_jjS1G_bEUljE0_EEESZ_S10_S11_S18_S1C_S1E_T6_T7_T9_mT8_S1G_bDpT10_ENKUlT_T0_E_clISt17integral_constantIbLb1EES1U_EEDaS1P_S1Q_EUlS1P_E_NS1_11comp_targetILNS1_3genE5ELNS1_11target_archE942ELNS1_3gpuE9ELNS1_3repE0EEENS1_30default_config_static_selectorELNS0_4arch9wavefront6targetE0EEEvS12_.kd
    .uniform_work_group_size: 1
    .uses_dynamic_stack: false
    .vgpr_count:     0
    .vgpr_spill_count: 0
    .wavefront_size: 32
    .workgroup_processor_mode: 1
  - .args:
      - .offset:         0
        .size:           184
        .value_kind:     by_value
    .group_segment_fixed_size: 0
    .kernarg_segment_align: 8
    .kernarg_segment_size: 184
    .language:       OpenCL C
    .language_version:
      - 2
      - 0
    .max_flat_workgroup_size: 256
    .name:           _ZN7rocprim17ROCPRIM_400000_NS6detail17trampoline_kernelINS0_13select_configILj256ELj13ELNS0_17block_load_methodE3ELS4_3ELS4_3ELNS0_20block_scan_algorithmE0ELj4294967295EEENS1_25partition_config_selectorILNS1_17partition_subalgoE4EjNS0_10empty_typeEbEEZZNS1_14partition_implILS8_4ELb0ES6_15HIP_vector_typeIjLj2EENS0_17counting_iteratorIjlEEPS9_SG_NS0_5tupleIJPjSI_NS0_16reverse_iteratorISI_EEEEENSH_IJSG_SG_SG_EEES9_SI_JZNS1_25segmented_radix_sort_implINS0_14default_configELb0EPKaPaPKlPlN2at6native12_GLOBAL__N_18offset_tEEE10hipError_tPvRmT1_PNSt15iterator_traitsIS12_E10value_typeET2_T3_PNS13_IS18_E10value_typeET4_jRbjT5_S1E_jjP12ihipStream_tbEUljE_ZNSN_ISO_Lb0ESQ_SR_ST_SU_SY_EESZ_S10_S11_S12_S16_S17_S18_S1B_S1C_jS1D_jS1E_S1E_jjS1G_bEUljE0_EEESZ_S10_S11_S18_S1C_S1E_T6_T7_T9_mT8_S1G_bDpT10_ENKUlT_T0_E_clISt17integral_constantIbLb1EES1U_EEDaS1P_S1Q_EUlS1P_E_NS1_11comp_targetILNS1_3genE4ELNS1_11target_archE910ELNS1_3gpuE8ELNS1_3repE0EEENS1_30default_config_static_selectorELNS0_4arch9wavefront6targetE0EEEvS12_
    .private_segment_fixed_size: 0
    .sgpr_count:     0
    .sgpr_spill_count: 0
    .symbol:         _ZN7rocprim17ROCPRIM_400000_NS6detail17trampoline_kernelINS0_13select_configILj256ELj13ELNS0_17block_load_methodE3ELS4_3ELS4_3ELNS0_20block_scan_algorithmE0ELj4294967295EEENS1_25partition_config_selectorILNS1_17partition_subalgoE4EjNS0_10empty_typeEbEEZZNS1_14partition_implILS8_4ELb0ES6_15HIP_vector_typeIjLj2EENS0_17counting_iteratorIjlEEPS9_SG_NS0_5tupleIJPjSI_NS0_16reverse_iteratorISI_EEEEENSH_IJSG_SG_SG_EEES9_SI_JZNS1_25segmented_radix_sort_implINS0_14default_configELb0EPKaPaPKlPlN2at6native12_GLOBAL__N_18offset_tEEE10hipError_tPvRmT1_PNSt15iterator_traitsIS12_E10value_typeET2_T3_PNS13_IS18_E10value_typeET4_jRbjT5_S1E_jjP12ihipStream_tbEUljE_ZNSN_ISO_Lb0ESQ_SR_ST_SU_SY_EESZ_S10_S11_S12_S16_S17_S18_S1B_S1C_jS1D_jS1E_S1E_jjS1G_bEUljE0_EEESZ_S10_S11_S18_S1C_S1E_T6_T7_T9_mT8_S1G_bDpT10_ENKUlT_T0_E_clISt17integral_constantIbLb1EES1U_EEDaS1P_S1Q_EUlS1P_E_NS1_11comp_targetILNS1_3genE4ELNS1_11target_archE910ELNS1_3gpuE8ELNS1_3repE0EEENS1_30default_config_static_selectorELNS0_4arch9wavefront6targetE0EEEvS12_.kd
    .uniform_work_group_size: 1
    .uses_dynamic_stack: false
    .vgpr_count:     0
    .vgpr_spill_count: 0
    .wavefront_size: 32
    .workgroup_processor_mode: 1
  - .args:
      - .offset:         0
        .size:           184
        .value_kind:     by_value
    .group_segment_fixed_size: 0
    .kernarg_segment_align: 8
    .kernarg_segment_size: 184
    .language:       OpenCL C
    .language_version:
      - 2
      - 0
    .max_flat_workgroup_size: 256
    .name:           _ZN7rocprim17ROCPRIM_400000_NS6detail17trampoline_kernelINS0_13select_configILj256ELj13ELNS0_17block_load_methodE3ELS4_3ELS4_3ELNS0_20block_scan_algorithmE0ELj4294967295EEENS1_25partition_config_selectorILNS1_17partition_subalgoE4EjNS0_10empty_typeEbEEZZNS1_14partition_implILS8_4ELb0ES6_15HIP_vector_typeIjLj2EENS0_17counting_iteratorIjlEEPS9_SG_NS0_5tupleIJPjSI_NS0_16reverse_iteratorISI_EEEEENSH_IJSG_SG_SG_EEES9_SI_JZNS1_25segmented_radix_sort_implINS0_14default_configELb0EPKaPaPKlPlN2at6native12_GLOBAL__N_18offset_tEEE10hipError_tPvRmT1_PNSt15iterator_traitsIS12_E10value_typeET2_T3_PNS13_IS18_E10value_typeET4_jRbjT5_S1E_jjP12ihipStream_tbEUljE_ZNSN_ISO_Lb0ESQ_SR_ST_SU_SY_EESZ_S10_S11_S12_S16_S17_S18_S1B_S1C_jS1D_jS1E_S1E_jjS1G_bEUljE0_EEESZ_S10_S11_S18_S1C_S1E_T6_T7_T9_mT8_S1G_bDpT10_ENKUlT_T0_E_clISt17integral_constantIbLb1EES1U_EEDaS1P_S1Q_EUlS1P_E_NS1_11comp_targetILNS1_3genE3ELNS1_11target_archE908ELNS1_3gpuE7ELNS1_3repE0EEENS1_30default_config_static_selectorELNS0_4arch9wavefront6targetE0EEEvS12_
    .private_segment_fixed_size: 0
    .sgpr_count:     0
    .sgpr_spill_count: 0
    .symbol:         _ZN7rocprim17ROCPRIM_400000_NS6detail17trampoline_kernelINS0_13select_configILj256ELj13ELNS0_17block_load_methodE3ELS4_3ELS4_3ELNS0_20block_scan_algorithmE0ELj4294967295EEENS1_25partition_config_selectorILNS1_17partition_subalgoE4EjNS0_10empty_typeEbEEZZNS1_14partition_implILS8_4ELb0ES6_15HIP_vector_typeIjLj2EENS0_17counting_iteratorIjlEEPS9_SG_NS0_5tupleIJPjSI_NS0_16reverse_iteratorISI_EEEEENSH_IJSG_SG_SG_EEES9_SI_JZNS1_25segmented_radix_sort_implINS0_14default_configELb0EPKaPaPKlPlN2at6native12_GLOBAL__N_18offset_tEEE10hipError_tPvRmT1_PNSt15iterator_traitsIS12_E10value_typeET2_T3_PNS13_IS18_E10value_typeET4_jRbjT5_S1E_jjP12ihipStream_tbEUljE_ZNSN_ISO_Lb0ESQ_SR_ST_SU_SY_EESZ_S10_S11_S12_S16_S17_S18_S1B_S1C_jS1D_jS1E_S1E_jjS1G_bEUljE0_EEESZ_S10_S11_S18_S1C_S1E_T6_T7_T9_mT8_S1G_bDpT10_ENKUlT_T0_E_clISt17integral_constantIbLb1EES1U_EEDaS1P_S1Q_EUlS1P_E_NS1_11comp_targetILNS1_3genE3ELNS1_11target_archE908ELNS1_3gpuE7ELNS1_3repE0EEENS1_30default_config_static_selectorELNS0_4arch9wavefront6targetE0EEEvS12_.kd
    .uniform_work_group_size: 1
    .uses_dynamic_stack: false
    .vgpr_count:     0
    .vgpr_spill_count: 0
    .wavefront_size: 32
    .workgroup_processor_mode: 1
  - .args:
      - .offset:         0
        .size:           184
        .value_kind:     by_value
    .group_segment_fixed_size: 0
    .kernarg_segment_align: 8
    .kernarg_segment_size: 184
    .language:       OpenCL C
    .language_version:
      - 2
      - 0
    .max_flat_workgroup_size: 256
    .name:           _ZN7rocprim17ROCPRIM_400000_NS6detail17trampoline_kernelINS0_13select_configILj256ELj13ELNS0_17block_load_methodE3ELS4_3ELS4_3ELNS0_20block_scan_algorithmE0ELj4294967295EEENS1_25partition_config_selectorILNS1_17partition_subalgoE4EjNS0_10empty_typeEbEEZZNS1_14partition_implILS8_4ELb0ES6_15HIP_vector_typeIjLj2EENS0_17counting_iteratorIjlEEPS9_SG_NS0_5tupleIJPjSI_NS0_16reverse_iteratorISI_EEEEENSH_IJSG_SG_SG_EEES9_SI_JZNS1_25segmented_radix_sort_implINS0_14default_configELb0EPKaPaPKlPlN2at6native12_GLOBAL__N_18offset_tEEE10hipError_tPvRmT1_PNSt15iterator_traitsIS12_E10value_typeET2_T3_PNS13_IS18_E10value_typeET4_jRbjT5_S1E_jjP12ihipStream_tbEUljE_ZNSN_ISO_Lb0ESQ_SR_ST_SU_SY_EESZ_S10_S11_S12_S16_S17_S18_S1B_S1C_jS1D_jS1E_S1E_jjS1G_bEUljE0_EEESZ_S10_S11_S18_S1C_S1E_T6_T7_T9_mT8_S1G_bDpT10_ENKUlT_T0_E_clISt17integral_constantIbLb1EES1U_EEDaS1P_S1Q_EUlS1P_E_NS1_11comp_targetILNS1_3genE2ELNS1_11target_archE906ELNS1_3gpuE6ELNS1_3repE0EEENS1_30default_config_static_selectorELNS0_4arch9wavefront6targetE0EEEvS12_
    .private_segment_fixed_size: 0
    .sgpr_count:     0
    .sgpr_spill_count: 0
    .symbol:         _ZN7rocprim17ROCPRIM_400000_NS6detail17trampoline_kernelINS0_13select_configILj256ELj13ELNS0_17block_load_methodE3ELS4_3ELS4_3ELNS0_20block_scan_algorithmE0ELj4294967295EEENS1_25partition_config_selectorILNS1_17partition_subalgoE4EjNS0_10empty_typeEbEEZZNS1_14partition_implILS8_4ELb0ES6_15HIP_vector_typeIjLj2EENS0_17counting_iteratorIjlEEPS9_SG_NS0_5tupleIJPjSI_NS0_16reverse_iteratorISI_EEEEENSH_IJSG_SG_SG_EEES9_SI_JZNS1_25segmented_radix_sort_implINS0_14default_configELb0EPKaPaPKlPlN2at6native12_GLOBAL__N_18offset_tEEE10hipError_tPvRmT1_PNSt15iterator_traitsIS12_E10value_typeET2_T3_PNS13_IS18_E10value_typeET4_jRbjT5_S1E_jjP12ihipStream_tbEUljE_ZNSN_ISO_Lb0ESQ_SR_ST_SU_SY_EESZ_S10_S11_S12_S16_S17_S18_S1B_S1C_jS1D_jS1E_S1E_jjS1G_bEUljE0_EEESZ_S10_S11_S18_S1C_S1E_T6_T7_T9_mT8_S1G_bDpT10_ENKUlT_T0_E_clISt17integral_constantIbLb1EES1U_EEDaS1P_S1Q_EUlS1P_E_NS1_11comp_targetILNS1_3genE2ELNS1_11target_archE906ELNS1_3gpuE6ELNS1_3repE0EEENS1_30default_config_static_selectorELNS0_4arch9wavefront6targetE0EEEvS12_.kd
    .uniform_work_group_size: 1
    .uses_dynamic_stack: false
    .vgpr_count:     0
    .vgpr_spill_count: 0
    .wavefront_size: 32
    .workgroup_processor_mode: 1
  - .args:
      - .offset:         0
        .size:           184
        .value_kind:     by_value
    .group_segment_fixed_size: 0
    .kernarg_segment_align: 8
    .kernarg_segment_size: 184
    .language:       OpenCL C
    .language_version:
      - 2
      - 0
    .max_flat_workgroup_size: 256
    .name:           _ZN7rocprim17ROCPRIM_400000_NS6detail17trampoline_kernelINS0_13select_configILj256ELj13ELNS0_17block_load_methodE3ELS4_3ELS4_3ELNS0_20block_scan_algorithmE0ELj4294967295EEENS1_25partition_config_selectorILNS1_17partition_subalgoE4EjNS0_10empty_typeEbEEZZNS1_14partition_implILS8_4ELb0ES6_15HIP_vector_typeIjLj2EENS0_17counting_iteratorIjlEEPS9_SG_NS0_5tupleIJPjSI_NS0_16reverse_iteratorISI_EEEEENSH_IJSG_SG_SG_EEES9_SI_JZNS1_25segmented_radix_sort_implINS0_14default_configELb0EPKaPaPKlPlN2at6native12_GLOBAL__N_18offset_tEEE10hipError_tPvRmT1_PNSt15iterator_traitsIS12_E10value_typeET2_T3_PNS13_IS18_E10value_typeET4_jRbjT5_S1E_jjP12ihipStream_tbEUljE_ZNSN_ISO_Lb0ESQ_SR_ST_SU_SY_EESZ_S10_S11_S12_S16_S17_S18_S1B_S1C_jS1D_jS1E_S1E_jjS1G_bEUljE0_EEESZ_S10_S11_S18_S1C_S1E_T6_T7_T9_mT8_S1G_bDpT10_ENKUlT_T0_E_clISt17integral_constantIbLb1EES1U_EEDaS1P_S1Q_EUlS1P_E_NS1_11comp_targetILNS1_3genE10ELNS1_11target_archE1200ELNS1_3gpuE4ELNS1_3repE0EEENS1_30default_config_static_selectorELNS0_4arch9wavefront6targetE0EEEvS12_
    .private_segment_fixed_size: 0
    .sgpr_count:     0
    .sgpr_spill_count: 0
    .symbol:         _ZN7rocprim17ROCPRIM_400000_NS6detail17trampoline_kernelINS0_13select_configILj256ELj13ELNS0_17block_load_methodE3ELS4_3ELS4_3ELNS0_20block_scan_algorithmE0ELj4294967295EEENS1_25partition_config_selectorILNS1_17partition_subalgoE4EjNS0_10empty_typeEbEEZZNS1_14partition_implILS8_4ELb0ES6_15HIP_vector_typeIjLj2EENS0_17counting_iteratorIjlEEPS9_SG_NS0_5tupleIJPjSI_NS0_16reverse_iteratorISI_EEEEENSH_IJSG_SG_SG_EEES9_SI_JZNS1_25segmented_radix_sort_implINS0_14default_configELb0EPKaPaPKlPlN2at6native12_GLOBAL__N_18offset_tEEE10hipError_tPvRmT1_PNSt15iterator_traitsIS12_E10value_typeET2_T3_PNS13_IS18_E10value_typeET4_jRbjT5_S1E_jjP12ihipStream_tbEUljE_ZNSN_ISO_Lb0ESQ_SR_ST_SU_SY_EESZ_S10_S11_S12_S16_S17_S18_S1B_S1C_jS1D_jS1E_S1E_jjS1G_bEUljE0_EEESZ_S10_S11_S18_S1C_S1E_T6_T7_T9_mT8_S1G_bDpT10_ENKUlT_T0_E_clISt17integral_constantIbLb1EES1U_EEDaS1P_S1Q_EUlS1P_E_NS1_11comp_targetILNS1_3genE10ELNS1_11target_archE1200ELNS1_3gpuE4ELNS1_3repE0EEENS1_30default_config_static_selectorELNS0_4arch9wavefront6targetE0EEEvS12_.kd
    .uniform_work_group_size: 1
    .uses_dynamic_stack: false
    .vgpr_count:     0
    .vgpr_spill_count: 0
    .wavefront_size: 32
    .workgroup_processor_mode: 1
  - .args:
      - .offset:         0
        .size:           184
        .value_kind:     by_value
    .group_segment_fixed_size: 0
    .kernarg_segment_align: 8
    .kernarg_segment_size: 184
    .language:       OpenCL C
    .language_version:
      - 2
      - 0
    .max_flat_workgroup_size: 256
    .name:           _ZN7rocprim17ROCPRIM_400000_NS6detail17trampoline_kernelINS0_13select_configILj256ELj13ELNS0_17block_load_methodE3ELS4_3ELS4_3ELNS0_20block_scan_algorithmE0ELj4294967295EEENS1_25partition_config_selectorILNS1_17partition_subalgoE4EjNS0_10empty_typeEbEEZZNS1_14partition_implILS8_4ELb0ES6_15HIP_vector_typeIjLj2EENS0_17counting_iteratorIjlEEPS9_SG_NS0_5tupleIJPjSI_NS0_16reverse_iteratorISI_EEEEENSH_IJSG_SG_SG_EEES9_SI_JZNS1_25segmented_radix_sort_implINS0_14default_configELb0EPKaPaPKlPlN2at6native12_GLOBAL__N_18offset_tEEE10hipError_tPvRmT1_PNSt15iterator_traitsIS12_E10value_typeET2_T3_PNS13_IS18_E10value_typeET4_jRbjT5_S1E_jjP12ihipStream_tbEUljE_ZNSN_ISO_Lb0ESQ_SR_ST_SU_SY_EESZ_S10_S11_S12_S16_S17_S18_S1B_S1C_jS1D_jS1E_S1E_jjS1G_bEUljE0_EEESZ_S10_S11_S18_S1C_S1E_T6_T7_T9_mT8_S1G_bDpT10_ENKUlT_T0_E_clISt17integral_constantIbLb1EES1U_EEDaS1P_S1Q_EUlS1P_E_NS1_11comp_targetILNS1_3genE9ELNS1_11target_archE1100ELNS1_3gpuE3ELNS1_3repE0EEENS1_30default_config_static_selectorELNS0_4arch9wavefront6targetE0EEEvS12_
    .private_segment_fixed_size: 0
    .sgpr_count:     0
    .sgpr_spill_count: 0
    .symbol:         _ZN7rocprim17ROCPRIM_400000_NS6detail17trampoline_kernelINS0_13select_configILj256ELj13ELNS0_17block_load_methodE3ELS4_3ELS4_3ELNS0_20block_scan_algorithmE0ELj4294967295EEENS1_25partition_config_selectorILNS1_17partition_subalgoE4EjNS0_10empty_typeEbEEZZNS1_14partition_implILS8_4ELb0ES6_15HIP_vector_typeIjLj2EENS0_17counting_iteratorIjlEEPS9_SG_NS0_5tupleIJPjSI_NS0_16reverse_iteratorISI_EEEEENSH_IJSG_SG_SG_EEES9_SI_JZNS1_25segmented_radix_sort_implINS0_14default_configELb0EPKaPaPKlPlN2at6native12_GLOBAL__N_18offset_tEEE10hipError_tPvRmT1_PNSt15iterator_traitsIS12_E10value_typeET2_T3_PNS13_IS18_E10value_typeET4_jRbjT5_S1E_jjP12ihipStream_tbEUljE_ZNSN_ISO_Lb0ESQ_SR_ST_SU_SY_EESZ_S10_S11_S12_S16_S17_S18_S1B_S1C_jS1D_jS1E_S1E_jjS1G_bEUljE0_EEESZ_S10_S11_S18_S1C_S1E_T6_T7_T9_mT8_S1G_bDpT10_ENKUlT_T0_E_clISt17integral_constantIbLb1EES1U_EEDaS1P_S1Q_EUlS1P_E_NS1_11comp_targetILNS1_3genE9ELNS1_11target_archE1100ELNS1_3gpuE3ELNS1_3repE0EEENS1_30default_config_static_selectorELNS0_4arch9wavefront6targetE0EEEvS12_.kd
    .uniform_work_group_size: 1
    .uses_dynamic_stack: false
    .vgpr_count:     0
    .vgpr_spill_count: 0
    .wavefront_size: 32
    .workgroup_processor_mode: 1
  - .args:
      - .offset:         0
        .size:           184
        .value_kind:     by_value
    .group_segment_fixed_size: 0
    .kernarg_segment_align: 8
    .kernarg_segment_size: 184
    .language:       OpenCL C
    .language_version:
      - 2
      - 0
    .max_flat_workgroup_size: 256
    .name:           _ZN7rocprim17ROCPRIM_400000_NS6detail17trampoline_kernelINS0_13select_configILj256ELj13ELNS0_17block_load_methodE3ELS4_3ELS4_3ELNS0_20block_scan_algorithmE0ELj4294967295EEENS1_25partition_config_selectorILNS1_17partition_subalgoE4EjNS0_10empty_typeEbEEZZNS1_14partition_implILS8_4ELb0ES6_15HIP_vector_typeIjLj2EENS0_17counting_iteratorIjlEEPS9_SG_NS0_5tupleIJPjSI_NS0_16reverse_iteratorISI_EEEEENSH_IJSG_SG_SG_EEES9_SI_JZNS1_25segmented_radix_sort_implINS0_14default_configELb0EPKaPaPKlPlN2at6native12_GLOBAL__N_18offset_tEEE10hipError_tPvRmT1_PNSt15iterator_traitsIS12_E10value_typeET2_T3_PNS13_IS18_E10value_typeET4_jRbjT5_S1E_jjP12ihipStream_tbEUljE_ZNSN_ISO_Lb0ESQ_SR_ST_SU_SY_EESZ_S10_S11_S12_S16_S17_S18_S1B_S1C_jS1D_jS1E_S1E_jjS1G_bEUljE0_EEESZ_S10_S11_S18_S1C_S1E_T6_T7_T9_mT8_S1G_bDpT10_ENKUlT_T0_E_clISt17integral_constantIbLb1EES1U_EEDaS1P_S1Q_EUlS1P_E_NS1_11comp_targetILNS1_3genE8ELNS1_11target_archE1030ELNS1_3gpuE2ELNS1_3repE0EEENS1_30default_config_static_selectorELNS0_4arch9wavefront6targetE0EEEvS12_
    .private_segment_fixed_size: 0
    .sgpr_count:     0
    .sgpr_spill_count: 0
    .symbol:         _ZN7rocprim17ROCPRIM_400000_NS6detail17trampoline_kernelINS0_13select_configILj256ELj13ELNS0_17block_load_methodE3ELS4_3ELS4_3ELNS0_20block_scan_algorithmE0ELj4294967295EEENS1_25partition_config_selectorILNS1_17partition_subalgoE4EjNS0_10empty_typeEbEEZZNS1_14partition_implILS8_4ELb0ES6_15HIP_vector_typeIjLj2EENS0_17counting_iteratorIjlEEPS9_SG_NS0_5tupleIJPjSI_NS0_16reverse_iteratorISI_EEEEENSH_IJSG_SG_SG_EEES9_SI_JZNS1_25segmented_radix_sort_implINS0_14default_configELb0EPKaPaPKlPlN2at6native12_GLOBAL__N_18offset_tEEE10hipError_tPvRmT1_PNSt15iterator_traitsIS12_E10value_typeET2_T3_PNS13_IS18_E10value_typeET4_jRbjT5_S1E_jjP12ihipStream_tbEUljE_ZNSN_ISO_Lb0ESQ_SR_ST_SU_SY_EESZ_S10_S11_S12_S16_S17_S18_S1B_S1C_jS1D_jS1E_S1E_jjS1G_bEUljE0_EEESZ_S10_S11_S18_S1C_S1E_T6_T7_T9_mT8_S1G_bDpT10_ENKUlT_T0_E_clISt17integral_constantIbLb1EES1U_EEDaS1P_S1Q_EUlS1P_E_NS1_11comp_targetILNS1_3genE8ELNS1_11target_archE1030ELNS1_3gpuE2ELNS1_3repE0EEENS1_30default_config_static_selectorELNS0_4arch9wavefront6targetE0EEEvS12_.kd
    .uniform_work_group_size: 1
    .uses_dynamic_stack: false
    .vgpr_count:     0
    .vgpr_spill_count: 0
    .wavefront_size: 32
    .workgroup_processor_mode: 1
  - .args:
      - .offset:         0
        .size:           176
        .value_kind:     by_value
    .group_segment_fixed_size: 0
    .kernarg_segment_align: 8
    .kernarg_segment_size: 176
    .language:       OpenCL C
    .language_version:
      - 2
      - 0
    .max_flat_workgroup_size: 256
    .name:           _ZN7rocprim17ROCPRIM_400000_NS6detail17trampoline_kernelINS0_13select_configILj256ELj13ELNS0_17block_load_methodE3ELS4_3ELS4_3ELNS0_20block_scan_algorithmE0ELj4294967295EEENS1_25partition_config_selectorILNS1_17partition_subalgoE4EjNS0_10empty_typeEbEEZZNS1_14partition_implILS8_4ELb0ES6_15HIP_vector_typeIjLj2EENS0_17counting_iteratorIjlEEPS9_SG_NS0_5tupleIJPjSI_NS0_16reverse_iteratorISI_EEEEENSH_IJSG_SG_SG_EEES9_SI_JZNS1_25segmented_radix_sort_implINS0_14default_configELb0EPKaPaPKlPlN2at6native12_GLOBAL__N_18offset_tEEE10hipError_tPvRmT1_PNSt15iterator_traitsIS12_E10value_typeET2_T3_PNS13_IS18_E10value_typeET4_jRbjT5_S1E_jjP12ihipStream_tbEUljE_ZNSN_ISO_Lb0ESQ_SR_ST_SU_SY_EESZ_S10_S11_S12_S16_S17_S18_S1B_S1C_jS1D_jS1E_S1E_jjS1G_bEUljE0_EEESZ_S10_S11_S18_S1C_S1E_T6_T7_T9_mT8_S1G_bDpT10_ENKUlT_T0_E_clISt17integral_constantIbLb1EES1T_IbLb0EEEEDaS1P_S1Q_EUlS1P_E_NS1_11comp_targetILNS1_3genE0ELNS1_11target_archE4294967295ELNS1_3gpuE0ELNS1_3repE0EEENS1_30default_config_static_selectorELNS0_4arch9wavefront6targetE0EEEvS12_
    .private_segment_fixed_size: 0
    .sgpr_count:     0
    .sgpr_spill_count: 0
    .symbol:         _ZN7rocprim17ROCPRIM_400000_NS6detail17trampoline_kernelINS0_13select_configILj256ELj13ELNS0_17block_load_methodE3ELS4_3ELS4_3ELNS0_20block_scan_algorithmE0ELj4294967295EEENS1_25partition_config_selectorILNS1_17partition_subalgoE4EjNS0_10empty_typeEbEEZZNS1_14partition_implILS8_4ELb0ES6_15HIP_vector_typeIjLj2EENS0_17counting_iteratorIjlEEPS9_SG_NS0_5tupleIJPjSI_NS0_16reverse_iteratorISI_EEEEENSH_IJSG_SG_SG_EEES9_SI_JZNS1_25segmented_radix_sort_implINS0_14default_configELb0EPKaPaPKlPlN2at6native12_GLOBAL__N_18offset_tEEE10hipError_tPvRmT1_PNSt15iterator_traitsIS12_E10value_typeET2_T3_PNS13_IS18_E10value_typeET4_jRbjT5_S1E_jjP12ihipStream_tbEUljE_ZNSN_ISO_Lb0ESQ_SR_ST_SU_SY_EESZ_S10_S11_S12_S16_S17_S18_S1B_S1C_jS1D_jS1E_S1E_jjS1G_bEUljE0_EEESZ_S10_S11_S18_S1C_S1E_T6_T7_T9_mT8_S1G_bDpT10_ENKUlT_T0_E_clISt17integral_constantIbLb1EES1T_IbLb0EEEEDaS1P_S1Q_EUlS1P_E_NS1_11comp_targetILNS1_3genE0ELNS1_11target_archE4294967295ELNS1_3gpuE0ELNS1_3repE0EEENS1_30default_config_static_selectorELNS0_4arch9wavefront6targetE0EEEvS12_.kd
    .uniform_work_group_size: 1
    .uses_dynamic_stack: false
    .vgpr_count:     0
    .vgpr_spill_count: 0
    .wavefront_size: 32
    .workgroup_processor_mode: 1
  - .args:
      - .offset:         0
        .size:           176
        .value_kind:     by_value
    .group_segment_fixed_size: 0
    .kernarg_segment_align: 8
    .kernarg_segment_size: 176
    .language:       OpenCL C
    .language_version:
      - 2
      - 0
    .max_flat_workgroup_size: 256
    .name:           _ZN7rocprim17ROCPRIM_400000_NS6detail17trampoline_kernelINS0_13select_configILj256ELj13ELNS0_17block_load_methodE3ELS4_3ELS4_3ELNS0_20block_scan_algorithmE0ELj4294967295EEENS1_25partition_config_selectorILNS1_17partition_subalgoE4EjNS0_10empty_typeEbEEZZNS1_14partition_implILS8_4ELb0ES6_15HIP_vector_typeIjLj2EENS0_17counting_iteratorIjlEEPS9_SG_NS0_5tupleIJPjSI_NS0_16reverse_iteratorISI_EEEEENSH_IJSG_SG_SG_EEES9_SI_JZNS1_25segmented_radix_sort_implINS0_14default_configELb0EPKaPaPKlPlN2at6native12_GLOBAL__N_18offset_tEEE10hipError_tPvRmT1_PNSt15iterator_traitsIS12_E10value_typeET2_T3_PNS13_IS18_E10value_typeET4_jRbjT5_S1E_jjP12ihipStream_tbEUljE_ZNSN_ISO_Lb0ESQ_SR_ST_SU_SY_EESZ_S10_S11_S12_S16_S17_S18_S1B_S1C_jS1D_jS1E_S1E_jjS1G_bEUljE0_EEESZ_S10_S11_S18_S1C_S1E_T6_T7_T9_mT8_S1G_bDpT10_ENKUlT_T0_E_clISt17integral_constantIbLb1EES1T_IbLb0EEEEDaS1P_S1Q_EUlS1P_E_NS1_11comp_targetILNS1_3genE5ELNS1_11target_archE942ELNS1_3gpuE9ELNS1_3repE0EEENS1_30default_config_static_selectorELNS0_4arch9wavefront6targetE0EEEvS12_
    .private_segment_fixed_size: 0
    .sgpr_count:     0
    .sgpr_spill_count: 0
    .symbol:         _ZN7rocprim17ROCPRIM_400000_NS6detail17trampoline_kernelINS0_13select_configILj256ELj13ELNS0_17block_load_methodE3ELS4_3ELS4_3ELNS0_20block_scan_algorithmE0ELj4294967295EEENS1_25partition_config_selectorILNS1_17partition_subalgoE4EjNS0_10empty_typeEbEEZZNS1_14partition_implILS8_4ELb0ES6_15HIP_vector_typeIjLj2EENS0_17counting_iteratorIjlEEPS9_SG_NS0_5tupleIJPjSI_NS0_16reverse_iteratorISI_EEEEENSH_IJSG_SG_SG_EEES9_SI_JZNS1_25segmented_radix_sort_implINS0_14default_configELb0EPKaPaPKlPlN2at6native12_GLOBAL__N_18offset_tEEE10hipError_tPvRmT1_PNSt15iterator_traitsIS12_E10value_typeET2_T3_PNS13_IS18_E10value_typeET4_jRbjT5_S1E_jjP12ihipStream_tbEUljE_ZNSN_ISO_Lb0ESQ_SR_ST_SU_SY_EESZ_S10_S11_S12_S16_S17_S18_S1B_S1C_jS1D_jS1E_S1E_jjS1G_bEUljE0_EEESZ_S10_S11_S18_S1C_S1E_T6_T7_T9_mT8_S1G_bDpT10_ENKUlT_T0_E_clISt17integral_constantIbLb1EES1T_IbLb0EEEEDaS1P_S1Q_EUlS1P_E_NS1_11comp_targetILNS1_3genE5ELNS1_11target_archE942ELNS1_3gpuE9ELNS1_3repE0EEENS1_30default_config_static_selectorELNS0_4arch9wavefront6targetE0EEEvS12_.kd
    .uniform_work_group_size: 1
    .uses_dynamic_stack: false
    .vgpr_count:     0
    .vgpr_spill_count: 0
    .wavefront_size: 32
    .workgroup_processor_mode: 1
  - .args:
      - .offset:         0
        .size:           176
        .value_kind:     by_value
    .group_segment_fixed_size: 0
    .kernarg_segment_align: 8
    .kernarg_segment_size: 176
    .language:       OpenCL C
    .language_version:
      - 2
      - 0
    .max_flat_workgroup_size: 256
    .name:           _ZN7rocprim17ROCPRIM_400000_NS6detail17trampoline_kernelINS0_13select_configILj256ELj13ELNS0_17block_load_methodE3ELS4_3ELS4_3ELNS0_20block_scan_algorithmE0ELj4294967295EEENS1_25partition_config_selectorILNS1_17partition_subalgoE4EjNS0_10empty_typeEbEEZZNS1_14partition_implILS8_4ELb0ES6_15HIP_vector_typeIjLj2EENS0_17counting_iteratorIjlEEPS9_SG_NS0_5tupleIJPjSI_NS0_16reverse_iteratorISI_EEEEENSH_IJSG_SG_SG_EEES9_SI_JZNS1_25segmented_radix_sort_implINS0_14default_configELb0EPKaPaPKlPlN2at6native12_GLOBAL__N_18offset_tEEE10hipError_tPvRmT1_PNSt15iterator_traitsIS12_E10value_typeET2_T3_PNS13_IS18_E10value_typeET4_jRbjT5_S1E_jjP12ihipStream_tbEUljE_ZNSN_ISO_Lb0ESQ_SR_ST_SU_SY_EESZ_S10_S11_S12_S16_S17_S18_S1B_S1C_jS1D_jS1E_S1E_jjS1G_bEUljE0_EEESZ_S10_S11_S18_S1C_S1E_T6_T7_T9_mT8_S1G_bDpT10_ENKUlT_T0_E_clISt17integral_constantIbLb1EES1T_IbLb0EEEEDaS1P_S1Q_EUlS1P_E_NS1_11comp_targetILNS1_3genE4ELNS1_11target_archE910ELNS1_3gpuE8ELNS1_3repE0EEENS1_30default_config_static_selectorELNS0_4arch9wavefront6targetE0EEEvS12_
    .private_segment_fixed_size: 0
    .sgpr_count:     0
    .sgpr_spill_count: 0
    .symbol:         _ZN7rocprim17ROCPRIM_400000_NS6detail17trampoline_kernelINS0_13select_configILj256ELj13ELNS0_17block_load_methodE3ELS4_3ELS4_3ELNS0_20block_scan_algorithmE0ELj4294967295EEENS1_25partition_config_selectorILNS1_17partition_subalgoE4EjNS0_10empty_typeEbEEZZNS1_14partition_implILS8_4ELb0ES6_15HIP_vector_typeIjLj2EENS0_17counting_iteratorIjlEEPS9_SG_NS0_5tupleIJPjSI_NS0_16reverse_iteratorISI_EEEEENSH_IJSG_SG_SG_EEES9_SI_JZNS1_25segmented_radix_sort_implINS0_14default_configELb0EPKaPaPKlPlN2at6native12_GLOBAL__N_18offset_tEEE10hipError_tPvRmT1_PNSt15iterator_traitsIS12_E10value_typeET2_T3_PNS13_IS18_E10value_typeET4_jRbjT5_S1E_jjP12ihipStream_tbEUljE_ZNSN_ISO_Lb0ESQ_SR_ST_SU_SY_EESZ_S10_S11_S12_S16_S17_S18_S1B_S1C_jS1D_jS1E_S1E_jjS1G_bEUljE0_EEESZ_S10_S11_S18_S1C_S1E_T6_T7_T9_mT8_S1G_bDpT10_ENKUlT_T0_E_clISt17integral_constantIbLb1EES1T_IbLb0EEEEDaS1P_S1Q_EUlS1P_E_NS1_11comp_targetILNS1_3genE4ELNS1_11target_archE910ELNS1_3gpuE8ELNS1_3repE0EEENS1_30default_config_static_selectorELNS0_4arch9wavefront6targetE0EEEvS12_.kd
    .uniform_work_group_size: 1
    .uses_dynamic_stack: false
    .vgpr_count:     0
    .vgpr_spill_count: 0
    .wavefront_size: 32
    .workgroup_processor_mode: 1
  - .args:
      - .offset:         0
        .size:           176
        .value_kind:     by_value
    .group_segment_fixed_size: 0
    .kernarg_segment_align: 8
    .kernarg_segment_size: 176
    .language:       OpenCL C
    .language_version:
      - 2
      - 0
    .max_flat_workgroup_size: 256
    .name:           _ZN7rocprim17ROCPRIM_400000_NS6detail17trampoline_kernelINS0_13select_configILj256ELj13ELNS0_17block_load_methodE3ELS4_3ELS4_3ELNS0_20block_scan_algorithmE0ELj4294967295EEENS1_25partition_config_selectorILNS1_17partition_subalgoE4EjNS0_10empty_typeEbEEZZNS1_14partition_implILS8_4ELb0ES6_15HIP_vector_typeIjLj2EENS0_17counting_iteratorIjlEEPS9_SG_NS0_5tupleIJPjSI_NS0_16reverse_iteratorISI_EEEEENSH_IJSG_SG_SG_EEES9_SI_JZNS1_25segmented_radix_sort_implINS0_14default_configELb0EPKaPaPKlPlN2at6native12_GLOBAL__N_18offset_tEEE10hipError_tPvRmT1_PNSt15iterator_traitsIS12_E10value_typeET2_T3_PNS13_IS18_E10value_typeET4_jRbjT5_S1E_jjP12ihipStream_tbEUljE_ZNSN_ISO_Lb0ESQ_SR_ST_SU_SY_EESZ_S10_S11_S12_S16_S17_S18_S1B_S1C_jS1D_jS1E_S1E_jjS1G_bEUljE0_EEESZ_S10_S11_S18_S1C_S1E_T6_T7_T9_mT8_S1G_bDpT10_ENKUlT_T0_E_clISt17integral_constantIbLb1EES1T_IbLb0EEEEDaS1P_S1Q_EUlS1P_E_NS1_11comp_targetILNS1_3genE3ELNS1_11target_archE908ELNS1_3gpuE7ELNS1_3repE0EEENS1_30default_config_static_selectorELNS0_4arch9wavefront6targetE0EEEvS12_
    .private_segment_fixed_size: 0
    .sgpr_count:     0
    .sgpr_spill_count: 0
    .symbol:         _ZN7rocprim17ROCPRIM_400000_NS6detail17trampoline_kernelINS0_13select_configILj256ELj13ELNS0_17block_load_methodE3ELS4_3ELS4_3ELNS0_20block_scan_algorithmE0ELj4294967295EEENS1_25partition_config_selectorILNS1_17partition_subalgoE4EjNS0_10empty_typeEbEEZZNS1_14partition_implILS8_4ELb0ES6_15HIP_vector_typeIjLj2EENS0_17counting_iteratorIjlEEPS9_SG_NS0_5tupleIJPjSI_NS0_16reverse_iteratorISI_EEEEENSH_IJSG_SG_SG_EEES9_SI_JZNS1_25segmented_radix_sort_implINS0_14default_configELb0EPKaPaPKlPlN2at6native12_GLOBAL__N_18offset_tEEE10hipError_tPvRmT1_PNSt15iterator_traitsIS12_E10value_typeET2_T3_PNS13_IS18_E10value_typeET4_jRbjT5_S1E_jjP12ihipStream_tbEUljE_ZNSN_ISO_Lb0ESQ_SR_ST_SU_SY_EESZ_S10_S11_S12_S16_S17_S18_S1B_S1C_jS1D_jS1E_S1E_jjS1G_bEUljE0_EEESZ_S10_S11_S18_S1C_S1E_T6_T7_T9_mT8_S1G_bDpT10_ENKUlT_T0_E_clISt17integral_constantIbLb1EES1T_IbLb0EEEEDaS1P_S1Q_EUlS1P_E_NS1_11comp_targetILNS1_3genE3ELNS1_11target_archE908ELNS1_3gpuE7ELNS1_3repE0EEENS1_30default_config_static_selectorELNS0_4arch9wavefront6targetE0EEEvS12_.kd
    .uniform_work_group_size: 1
    .uses_dynamic_stack: false
    .vgpr_count:     0
    .vgpr_spill_count: 0
    .wavefront_size: 32
    .workgroup_processor_mode: 1
  - .args:
      - .offset:         0
        .size:           176
        .value_kind:     by_value
    .group_segment_fixed_size: 0
    .kernarg_segment_align: 8
    .kernarg_segment_size: 176
    .language:       OpenCL C
    .language_version:
      - 2
      - 0
    .max_flat_workgroup_size: 256
    .name:           _ZN7rocprim17ROCPRIM_400000_NS6detail17trampoline_kernelINS0_13select_configILj256ELj13ELNS0_17block_load_methodE3ELS4_3ELS4_3ELNS0_20block_scan_algorithmE0ELj4294967295EEENS1_25partition_config_selectorILNS1_17partition_subalgoE4EjNS0_10empty_typeEbEEZZNS1_14partition_implILS8_4ELb0ES6_15HIP_vector_typeIjLj2EENS0_17counting_iteratorIjlEEPS9_SG_NS0_5tupleIJPjSI_NS0_16reverse_iteratorISI_EEEEENSH_IJSG_SG_SG_EEES9_SI_JZNS1_25segmented_radix_sort_implINS0_14default_configELb0EPKaPaPKlPlN2at6native12_GLOBAL__N_18offset_tEEE10hipError_tPvRmT1_PNSt15iterator_traitsIS12_E10value_typeET2_T3_PNS13_IS18_E10value_typeET4_jRbjT5_S1E_jjP12ihipStream_tbEUljE_ZNSN_ISO_Lb0ESQ_SR_ST_SU_SY_EESZ_S10_S11_S12_S16_S17_S18_S1B_S1C_jS1D_jS1E_S1E_jjS1G_bEUljE0_EEESZ_S10_S11_S18_S1C_S1E_T6_T7_T9_mT8_S1G_bDpT10_ENKUlT_T0_E_clISt17integral_constantIbLb1EES1T_IbLb0EEEEDaS1P_S1Q_EUlS1P_E_NS1_11comp_targetILNS1_3genE2ELNS1_11target_archE906ELNS1_3gpuE6ELNS1_3repE0EEENS1_30default_config_static_selectorELNS0_4arch9wavefront6targetE0EEEvS12_
    .private_segment_fixed_size: 0
    .sgpr_count:     0
    .sgpr_spill_count: 0
    .symbol:         _ZN7rocprim17ROCPRIM_400000_NS6detail17trampoline_kernelINS0_13select_configILj256ELj13ELNS0_17block_load_methodE3ELS4_3ELS4_3ELNS0_20block_scan_algorithmE0ELj4294967295EEENS1_25partition_config_selectorILNS1_17partition_subalgoE4EjNS0_10empty_typeEbEEZZNS1_14partition_implILS8_4ELb0ES6_15HIP_vector_typeIjLj2EENS0_17counting_iteratorIjlEEPS9_SG_NS0_5tupleIJPjSI_NS0_16reverse_iteratorISI_EEEEENSH_IJSG_SG_SG_EEES9_SI_JZNS1_25segmented_radix_sort_implINS0_14default_configELb0EPKaPaPKlPlN2at6native12_GLOBAL__N_18offset_tEEE10hipError_tPvRmT1_PNSt15iterator_traitsIS12_E10value_typeET2_T3_PNS13_IS18_E10value_typeET4_jRbjT5_S1E_jjP12ihipStream_tbEUljE_ZNSN_ISO_Lb0ESQ_SR_ST_SU_SY_EESZ_S10_S11_S12_S16_S17_S18_S1B_S1C_jS1D_jS1E_S1E_jjS1G_bEUljE0_EEESZ_S10_S11_S18_S1C_S1E_T6_T7_T9_mT8_S1G_bDpT10_ENKUlT_T0_E_clISt17integral_constantIbLb1EES1T_IbLb0EEEEDaS1P_S1Q_EUlS1P_E_NS1_11comp_targetILNS1_3genE2ELNS1_11target_archE906ELNS1_3gpuE6ELNS1_3repE0EEENS1_30default_config_static_selectorELNS0_4arch9wavefront6targetE0EEEvS12_.kd
    .uniform_work_group_size: 1
    .uses_dynamic_stack: false
    .vgpr_count:     0
    .vgpr_spill_count: 0
    .wavefront_size: 32
    .workgroup_processor_mode: 1
  - .args:
      - .offset:         0
        .size:           176
        .value_kind:     by_value
    .group_segment_fixed_size: 0
    .kernarg_segment_align: 8
    .kernarg_segment_size: 176
    .language:       OpenCL C
    .language_version:
      - 2
      - 0
    .max_flat_workgroup_size: 256
    .name:           _ZN7rocprim17ROCPRIM_400000_NS6detail17trampoline_kernelINS0_13select_configILj256ELj13ELNS0_17block_load_methodE3ELS4_3ELS4_3ELNS0_20block_scan_algorithmE0ELj4294967295EEENS1_25partition_config_selectorILNS1_17partition_subalgoE4EjNS0_10empty_typeEbEEZZNS1_14partition_implILS8_4ELb0ES6_15HIP_vector_typeIjLj2EENS0_17counting_iteratorIjlEEPS9_SG_NS0_5tupleIJPjSI_NS0_16reverse_iteratorISI_EEEEENSH_IJSG_SG_SG_EEES9_SI_JZNS1_25segmented_radix_sort_implINS0_14default_configELb0EPKaPaPKlPlN2at6native12_GLOBAL__N_18offset_tEEE10hipError_tPvRmT1_PNSt15iterator_traitsIS12_E10value_typeET2_T3_PNS13_IS18_E10value_typeET4_jRbjT5_S1E_jjP12ihipStream_tbEUljE_ZNSN_ISO_Lb0ESQ_SR_ST_SU_SY_EESZ_S10_S11_S12_S16_S17_S18_S1B_S1C_jS1D_jS1E_S1E_jjS1G_bEUljE0_EEESZ_S10_S11_S18_S1C_S1E_T6_T7_T9_mT8_S1G_bDpT10_ENKUlT_T0_E_clISt17integral_constantIbLb1EES1T_IbLb0EEEEDaS1P_S1Q_EUlS1P_E_NS1_11comp_targetILNS1_3genE10ELNS1_11target_archE1200ELNS1_3gpuE4ELNS1_3repE0EEENS1_30default_config_static_selectorELNS0_4arch9wavefront6targetE0EEEvS12_
    .private_segment_fixed_size: 0
    .sgpr_count:     0
    .sgpr_spill_count: 0
    .symbol:         _ZN7rocprim17ROCPRIM_400000_NS6detail17trampoline_kernelINS0_13select_configILj256ELj13ELNS0_17block_load_methodE3ELS4_3ELS4_3ELNS0_20block_scan_algorithmE0ELj4294967295EEENS1_25partition_config_selectorILNS1_17partition_subalgoE4EjNS0_10empty_typeEbEEZZNS1_14partition_implILS8_4ELb0ES6_15HIP_vector_typeIjLj2EENS0_17counting_iteratorIjlEEPS9_SG_NS0_5tupleIJPjSI_NS0_16reverse_iteratorISI_EEEEENSH_IJSG_SG_SG_EEES9_SI_JZNS1_25segmented_radix_sort_implINS0_14default_configELb0EPKaPaPKlPlN2at6native12_GLOBAL__N_18offset_tEEE10hipError_tPvRmT1_PNSt15iterator_traitsIS12_E10value_typeET2_T3_PNS13_IS18_E10value_typeET4_jRbjT5_S1E_jjP12ihipStream_tbEUljE_ZNSN_ISO_Lb0ESQ_SR_ST_SU_SY_EESZ_S10_S11_S12_S16_S17_S18_S1B_S1C_jS1D_jS1E_S1E_jjS1G_bEUljE0_EEESZ_S10_S11_S18_S1C_S1E_T6_T7_T9_mT8_S1G_bDpT10_ENKUlT_T0_E_clISt17integral_constantIbLb1EES1T_IbLb0EEEEDaS1P_S1Q_EUlS1P_E_NS1_11comp_targetILNS1_3genE10ELNS1_11target_archE1200ELNS1_3gpuE4ELNS1_3repE0EEENS1_30default_config_static_selectorELNS0_4arch9wavefront6targetE0EEEvS12_.kd
    .uniform_work_group_size: 1
    .uses_dynamic_stack: false
    .vgpr_count:     0
    .vgpr_spill_count: 0
    .wavefront_size: 32
    .workgroup_processor_mode: 1
  - .args:
      - .offset:         0
        .size:           176
        .value_kind:     by_value
    .group_segment_fixed_size: 0
    .kernarg_segment_align: 8
    .kernarg_segment_size: 176
    .language:       OpenCL C
    .language_version:
      - 2
      - 0
    .max_flat_workgroup_size: 256
    .name:           _ZN7rocprim17ROCPRIM_400000_NS6detail17trampoline_kernelINS0_13select_configILj256ELj13ELNS0_17block_load_methodE3ELS4_3ELS4_3ELNS0_20block_scan_algorithmE0ELj4294967295EEENS1_25partition_config_selectorILNS1_17partition_subalgoE4EjNS0_10empty_typeEbEEZZNS1_14partition_implILS8_4ELb0ES6_15HIP_vector_typeIjLj2EENS0_17counting_iteratorIjlEEPS9_SG_NS0_5tupleIJPjSI_NS0_16reverse_iteratorISI_EEEEENSH_IJSG_SG_SG_EEES9_SI_JZNS1_25segmented_radix_sort_implINS0_14default_configELb0EPKaPaPKlPlN2at6native12_GLOBAL__N_18offset_tEEE10hipError_tPvRmT1_PNSt15iterator_traitsIS12_E10value_typeET2_T3_PNS13_IS18_E10value_typeET4_jRbjT5_S1E_jjP12ihipStream_tbEUljE_ZNSN_ISO_Lb0ESQ_SR_ST_SU_SY_EESZ_S10_S11_S12_S16_S17_S18_S1B_S1C_jS1D_jS1E_S1E_jjS1G_bEUljE0_EEESZ_S10_S11_S18_S1C_S1E_T6_T7_T9_mT8_S1G_bDpT10_ENKUlT_T0_E_clISt17integral_constantIbLb1EES1T_IbLb0EEEEDaS1P_S1Q_EUlS1P_E_NS1_11comp_targetILNS1_3genE9ELNS1_11target_archE1100ELNS1_3gpuE3ELNS1_3repE0EEENS1_30default_config_static_selectorELNS0_4arch9wavefront6targetE0EEEvS12_
    .private_segment_fixed_size: 0
    .sgpr_count:     0
    .sgpr_spill_count: 0
    .symbol:         _ZN7rocprim17ROCPRIM_400000_NS6detail17trampoline_kernelINS0_13select_configILj256ELj13ELNS0_17block_load_methodE3ELS4_3ELS4_3ELNS0_20block_scan_algorithmE0ELj4294967295EEENS1_25partition_config_selectorILNS1_17partition_subalgoE4EjNS0_10empty_typeEbEEZZNS1_14partition_implILS8_4ELb0ES6_15HIP_vector_typeIjLj2EENS0_17counting_iteratorIjlEEPS9_SG_NS0_5tupleIJPjSI_NS0_16reverse_iteratorISI_EEEEENSH_IJSG_SG_SG_EEES9_SI_JZNS1_25segmented_radix_sort_implINS0_14default_configELb0EPKaPaPKlPlN2at6native12_GLOBAL__N_18offset_tEEE10hipError_tPvRmT1_PNSt15iterator_traitsIS12_E10value_typeET2_T3_PNS13_IS18_E10value_typeET4_jRbjT5_S1E_jjP12ihipStream_tbEUljE_ZNSN_ISO_Lb0ESQ_SR_ST_SU_SY_EESZ_S10_S11_S12_S16_S17_S18_S1B_S1C_jS1D_jS1E_S1E_jjS1G_bEUljE0_EEESZ_S10_S11_S18_S1C_S1E_T6_T7_T9_mT8_S1G_bDpT10_ENKUlT_T0_E_clISt17integral_constantIbLb1EES1T_IbLb0EEEEDaS1P_S1Q_EUlS1P_E_NS1_11comp_targetILNS1_3genE9ELNS1_11target_archE1100ELNS1_3gpuE3ELNS1_3repE0EEENS1_30default_config_static_selectorELNS0_4arch9wavefront6targetE0EEEvS12_.kd
    .uniform_work_group_size: 1
    .uses_dynamic_stack: false
    .vgpr_count:     0
    .vgpr_spill_count: 0
    .wavefront_size: 32
    .workgroup_processor_mode: 1
  - .args:
      - .offset:         0
        .size:           176
        .value_kind:     by_value
    .group_segment_fixed_size: 0
    .kernarg_segment_align: 8
    .kernarg_segment_size: 176
    .language:       OpenCL C
    .language_version:
      - 2
      - 0
    .max_flat_workgroup_size: 256
    .name:           _ZN7rocprim17ROCPRIM_400000_NS6detail17trampoline_kernelINS0_13select_configILj256ELj13ELNS0_17block_load_methodE3ELS4_3ELS4_3ELNS0_20block_scan_algorithmE0ELj4294967295EEENS1_25partition_config_selectorILNS1_17partition_subalgoE4EjNS0_10empty_typeEbEEZZNS1_14partition_implILS8_4ELb0ES6_15HIP_vector_typeIjLj2EENS0_17counting_iteratorIjlEEPS9_SG_NS0_5tupleIJPjSI_NS0_16reverse_iteratorISI_EEEEENSH_IJSG_SG_SG_EEES9_SI_JZNS1_25segmented_radix_sort_implINS0_14default_configELb0EPKaPaPKlPlN2at6native12_GLOBAL__N_18offset_tEEE10hipError_tPvRmT1_PNSt15iterator_traitsIS12_E10value_typeET2_T3_PNS13_IS18_E10value_typeET4_jRbjT5_S1E_jjP12ihipStream_tbEUljE_ZNSN_ISO_Lb0ESQ_SR_ST_SU_SY_EESZ_S10_S11_S12_S16_S17_S18_S1B_S1C_jS1D_jS1E_S1E_jjS1G_bEUljE0_EEESZ_S10_S11_S18_S1C_S1E_T6_T7_T9_mT8_S1G_bDpT10_ENKUlT_T0_E_clISt17integral_constantIbLb1EES1T_IbLb0EEEEDaS1P_S1Q_EUlS1P_E_NS1_11comp_targetILNS1_3genE8ELNS1_11target_archE1030ELNS1_3gpuE2ELNS1_3repE0EEENS1_30default_config_static_selectorELNS0_4arch9wavefront6targetE0EEEvS12_
    .private_segment_fixed_size: 0
    .sgpr_count:     0
    .sgpr_spill_count: 0
    .symbol:         _ZN7rocprim17ROCPRIM_400000_NS6detail17trampoline_kernelINS0_13select_configILj256ELj13ELNS0_17block_load_methodE3ELS4_3ELS4_3ELNS0_20block_scan_algorithmE0ELj4294967295EEENS1_25partition_config_selectorILNS1_17partition_subalgoE4EjNS0_10empty_typeEbEEZZNS1_14partition_implILS8_4ELb0ES6_15HIP_vector_typeIjLj2EENS0_17counting_iteratorIjlEEPS9_SG_NS0_5tupleIJPjSI_NS0_16reverse_iteratorISI_EEEEENSH_IJSG_SG_SG_EEES9_SI_JZNS1_25segmented_radix_sort_implINS0_14default_configELb0EPKaPaPKlPlN2at6native12_GLOBAL__N_18offset_tEEE10hipError_tPvRmT1_PNSt15iterator_traitsIS12_E10value_typeET2_T3_PNS13_IS18_E10value_typeET4_jRbjT5_S1E_jjP12ihipStream_tbEUljE_ZNSN_ISO_Lb0ESQ_SR_ST_SU_SY_EESZ_S10_S11_S12_S16_S17_S18_S1B_S1C_jS1D_jS1E_S1E_jjS1G_bEUljE0_EEESZ_S10_S11_S18_S1C_S1E_T6_T7_T9_mT8_S1G_bDpT10_ENKUlT_T0_E_clISt17integral_constantIbLb1EES1T_IbLb0EEEEDaS1P_S1Q_EUlS1P_E_NS1_11comp_targetILNS1_3genE8ELNS1_11target_archE1030ELNS1_3gpuE2ELNS1_3repE0EEENS1_30default_config_static_selectorELNS0_4arch9wavefront6targetE0EEEvS12_.kd
    .uniform_work_group_size: 1
    .uses_dynamic_stack: false
    .vgpr_count:     0
    .vgpr_spill_count: 0
    .wavefront_size: 32
    .workgroup_processor_mode: 1
  - .args:
      - .offset:         0
        .size:           184
        .value_kind:     by_value
    .group_segment_fixed_size: 0
    .kernarg_segment_align: 8
    .kernarg_segment_size: 184
    .language:       OpenCL C
    .language_version:
      - 2
      - 0
    .max_flat_workgroup_size: 256
    .name:           _ZN7rocprim17ROCPRIM_400000_NS6detail17trampoline_kernelINS0_13select_configILj256ELj13ELNS0_17block_load_methodE3ELS4_3ELS4_3ELNS0_20block_scan_algorithmE0ELj4294967295EEENS1_25partition_config_selectorILNS1_17partition_subalgoE4EjNS0_10empty_typeEbEEZZNS1_14partition_implILS8_4ELb0ES6_15HIP_vector_typeIjLj2EENS0_17counting_iteratorIjlEEPS9_SG_NS0_5tupleIJPjSI_NS0_16reverse_iteratorISI_EEEEENSH_IJSG_SG_SG_EEES9_SI_JZNS1_25segmented_radix_sort_implINS0_14default_configELb0EPKaPaPKlPlN2at6native12_GLOBAL__N_18offset_tEEE10hipError_tPvRmT1_PNSt15iterator_traitsIS12_E10value_typeET2_T3_PNS13_IS18_E10value_typeET4_jRbjT5_S1E_jjP12ihipStream_tbEUljE_ZNSN_ISO_Lb0ESQ_SR_ST_SU_SY_EESZ_S10_S11_S12_S16_S17_S18_S1B_S1C_jS1D_jS1E_S1E_jjS1G_bEUljE0_EEESZ_S10_S11_S18_S1C_S1E_T6_T7_T9_mT8_S1G_bDpT10_ENKUlT_T0_E_clISt17integral_constantIbLb0EES1T_IbLb1EEEEDaS1P_S1Q_EUlS1P_E_NS1_11comp_targetILNS1_3genE0ELNS1_11target_archE4294967295ELNS1_3gpuE0ELNS1_3repE0EEENS1_30default_config_static_selectorELNS0_4arch9wavefront6targetE0EEEvS12_
    .private_segment_fixed_size: 0
    .sgpr_count:     0
    .sgpr_spill_count: 0
    .symbol:         _ZN7rocprim17ROCPRIM_400000_NS6detail17trampoline_kernelINS0_13select_configILj256ELj13ELNS0_17block_load_methodE3ELS4_3ELS4_3ELNS0_20block_scan_algorithmE0ELj4294967295EEENS1_25partition_config_selectorILNS1_17partition_subalgoE4EjNS0_10empty_typeEbEEZZNS1_14partition_implILS8_4ELb0ES6_15HIP_vector_typeIjLj2EENS0_17counting_iteratorIjlEEPS9_SG_NS0_5tupleIJPjSI_NS0_16reverse_iteratorISI_EEEEENSH_IJSG_SG_SG_EEES9_SI_JZNS1_25segmented_radix_sort_implINS0_14default_configELb0EPKaPaPKlPlN2at6native12_GLOBAL__N_18offset_tEEE10hipError_tPvRmT1_PNSt15iterator_traitsIS12_E10value_typeET2_T3_PNS13_IS18_E10value_typeET4_jRbjT5_S1E_jjP12ihipStream_tbEUljE_ZNSN_ISO_Lb0ESQ_SR_ST_SU_SY_EESZ_S10_S11_S12_S16_S17_S18_S1B_S1C_jS1D_jS1E_S1E_jjS1G_bEUljE0_EEESZ_S10_S11_S18_S1C_S1E_T6_T7_T9_mT8_S1G_bDpT10_ENKUlT_T0_E_clISt17integral_constantIbLb0EES1T_IbLb1EEEEDaS1P_S1Q_EUlS1P_E_NS1_11comp_targetILNS1_3genE0ELNS1_11target_archE4294967295ELNS1_3gpuE0ELNS1_3repE0EEENS1_30default_config_static_selectorELNS0_4arch9wavefront6targetE0EEEvS12_.kd
    .uniform_work_group_size: 1
    .uses_dynamic_stack: false
    .vgpr_count:     0
    .vgpr_spill_count: 0
    .wavefront_size: 32
    .workgroup_processor_mode: 1
  - .args:
      - .offset:         0
        .size:           184
        .value_kind:     by_value
    .group_segment_fixed_size: 0
    .kernarg_segment_align: 8
    .kernarg_segment_size: 184
    .language:       OpenCL C
    .language_version:
      - 2
      - 0
    .max_flat_workgroup_size: 256
    .name:           _ZN7rocprim17ROCPRIM_400000_NS6detail17trampoline_kernelINS0_13select_configILj256ELj13ELNS0_17block_load_methodE3ELS4_3ELS4_3ELNS0_20block_scan_algorithmE0ELj4294967295EEENS1_25partition_config_selectorILNS1_17partition_subalgoE4EjNS0_10empty_typeEbEEZZNS1_14partition_implILS8_4ELb0ES6_15HIP_vector_typeIjLj2EENS0_17counting_iteratorIjlEEPS9_SG_NS0_5tupleIJPjSI_NS0_16reverse_iteratorISI_EEEEENSH_IJSG_SG_SG_EEES9_SI_JZNS1_25segmented_radix_sort_implINS0_14default_configELb0EPKaPaPKlPlN2at6native12_GLOBAL__N_18offset_tEEE10hipError_tPvRmT1_PNSt15iterator_traitsIS12_E10value_typeET2_T3_PNS13_IS18_E10value_typeET4_jRbjT5_S1E_jjP12ihipStream_tbEUljE_ZNSN_ISO_Lb0ESQ_SR_ST_SU_SY_EESZ_S10_S11_S12_S16_S17_S18_S1B_S1C_jS1D_jS1E_S1E_jjS1G_bEUljE0_EEESZ_S10_S11_S18_S1C_S1E_T6_T7_T9_mT8_S1G_bDpT10_ENKUlT_T0_E_clISt17integral_constantIbLb0EES1T_IbLb1EEEEDaS1P_S1Q_EUlS1P_E_NS1_11comp_targetILNS1_3genE5ELNS1_11target_archE942ELNS1_3gpuE9ELNS1_3repE0EEENS1_30default_config_static_selectorELNS0_4arch9wavefront6targetE0EEEvS12_
    .private_segment_fixed_size: 0
    .sgpr_count:     0
    .sgpr_spill_count: 0
    .symbol:         _ZN7rocprim17ROCPRIM_400000_NS6detail17trampoline_kernelINS0_13select_configILj256ELj13ELNS0_17block_load_methodE3ELS4_3ELS4_3ELNS0_20block_scan_algorithmE0ELj4294967295EEENS1_25partition_config_selectorILNS1_17partition_subalgoE4EjNS0_10empty_typeEbEEZZNS1_14partition_implILS8_4ELb0ES6_15HIP_vector_typeIjLj2EENS0_17counting_iteratorIjlEEPS9_SG_NS0_5tupleIJPjSI_NS0_16reverse_iteratorISI_EEEEENSH_IJSG_SG_SG_EEES9_SI_JZNS1_25segmented_radix_sort_implINS0_14default_configELb0EPKaPaPKlPlN2at6native12_GLOBAL__N_18offset_tEEE10hipError_tPvRmT1_PNSt15iterator_traitsIS12_E10value_typeET2_T3_PNS13_IS18_E10value_typeET4_jRbjT5_S1E_jjP12ihipStream_tbEUljE_ZNSN_ISO_Lb0ESQ_SR_ST_SU_SY_EESZ_S10_S11_S12_S16_S17_S18_S1B_S1C_jS1D_jS1E_S1E_jjS1G_bEUljE0_EEESZ_S10_S11_S18_S1C_S1E_T6_T7_T9_mT8_S1G_bDpT10_ENKUlT_T0_E_clISt17integral_constantIbLb0EES1T_IbLb1EEEEDaS1P_S1Q_EUlS1P_E_NS1_11comp_targetILNS1_3genE5ELNS1_11target_archE942ELNS1_3gpuE9ELNS1_3repE0EEENS1_30default_config_static_selectorELNS0_4arch9wavefront6targetE0EEEvS12_.kd
    .uniform_work_group_size: 1
    .uses_dynamic_stack: false
    .vgpr_count:     0
    .vgpr_spill_count: 0
    .wavefront_size: 32
    .workgroup_processor_mode: 1
  - .args:
      - .offset:         0
        .size:           184
        .value_kind:     by_value
    .group_segment_fixed_size: 0
    .kernarg_segment_align: 8
    .kernarg_segment_size: 184
    .language:       OpenCL C
    .language_version:
      - 2
      - 0
    .max_flat_workgroup_size: 256
    .name:           _ZN7rocprim17ROCPRIM_400000_NS6detail17trampoline_kernelINS0_13select_configILj256ELj13ELNS0_17block_load_methodE3ELS4_3ELS4_3ELNS0_20block_scan_algorithmE0ELj4294967295EEENS1_25partition_config_selectorILNS1_17partition_subalgoE4EjNS0_10empty_typeEbEEZZNS1_14partition_implILS8_4ELb0ES6_15HIP_vector_typeIjLj2EENS0_17counting_iteratorIjlEEPS9_SG_NS0_5tupleIJPjSI_NS0_16reverse_iteratorISI_EEEEENSH_IJSG_SG_SG_EEES9_SI_JZNS1_25segmented_radix_sort_implINS0_14default_configELb0EPKaPaPKlPlN2at6native12_GLOBAL__N_18offset_tEEE10hipError_tPvRmT1_PNSt15iterator_traitsIS12_E10value_typeET2_T3_PNS13_IS18_E10value_typeET4_jRbjT5_S1E_jjP12ihipStream_tbEUljE_ZNSN_ISO_Lb0ESQ_SR_ST_SU_SY_EESZ_S10_S11_S12_S16_S17_S18_S1B_S1C_jS1D_jS1E_S1E_jjS1G_bEUljE0_EEESZ_S10_S11_S18_S1C_S1E_T6_T7_T9_mT8_S1G_bDpT10_ENKUlT_T0_E_clISt17integral_constantIbLb0EES1T_IbLb1EEEEDaS1P_S1Q_EUlS1P_E_NS1_11comp_targetILNS1_3genE4ELNS1_11target_archE910ELNS1_3gpuE8ELNS1_3repE0EEENS1_30default_config_static_selectorELNS0_4arch9wavefront6targetE0EEEvS12_
    .private_segment_fixed_size: 0
    .sgpr_count:     0
    .sgpr_spill_count: 0
    .symbol:         _ZN7rocprim17ROCPRIM_400000_NS6detail17trampoline_kernelINS0_13select_configILj256ELj13ELNS0_17block_load_methodE3ELS4_3ELS4_3ELNS0_20block_scan_algorithmE0ELj4294967295EEENS1_25partition_config_selectorILNS1_17partition_subalgoE4EjNS0_10empty_typeEbEEZZNS1_14partition_implILS8_4ELb0ES6_15HIP_vector_typeIjLj2EENS0_17counting_iteratorIjlEEPS9_SG_NS0_5tupleIJPjSI_NS0_16reverse_iteratorISI_EEEEENSH_IJSG_SG_SG_EEES9_SI_JZNS1_25segmented_radix_sort_implINS0_14default_configELb0EPKaPaPKlPlN2at6native12_GLOBAL__N_18offset_tEEE10hipError_tPvRmT1_PNSt15iterator_traitsIS12_E10value_typeET2_T3_PNS13_IS18_E10value_typeET4_jRbjT5_S1E_jjP12ihipStream_tbEUljE_ZNSN_ISO_Lb0ESQ_SR_ST_SU_SY_EESZ_S10_S11_S12_S16_S17_S18_S1B_S1C_jS1D_jS1E_S1E_jjS1G_bEUljE0_EEESZ_S10_S11_S18_S1C_S1E_T6_T7_T9_mT8_S1G_bDpT10_ENKUlT_T0_E_clISt17integral_constantIbLb0EES1T_IbLb1EEEEDaS1P_S1Q_EUlS1P_E_NS1_11comp_targetILNS1_3genE4ELNS1_11target_archE910ELNS1_3gpuE8ELNS1_3repE0EEENS1_30default_config_static_selectorELNS0_4arch9wavefront6targetE0EEEvS12_.kd
    .uniform_work_group_size: 1
    .uses_dynamic_stack: false
    .vgpr_count:     0
    .vgpr_spill_count: 0
    .wavefront_size: 32
    .workgroup_processor_mode: 1
  - .args:
      - .offset:         0
        .size:           184
        .value_kind:     by_value
    .group_segment_fixed_size: 0
    .kernarg_segment_align: 8
    .kernarg_segment_size: 184
    .language:       OpenCL C
    .language_version:
      - 2
      - 0
    .max_flat_workgroup_size: 256
    .name:           _ZN7rocprim17ROCPRIM_400000_NS6detail17trampoline_kernelINS0_13select_configILj256ELj13ELNS0_17block_load_methodE3ELS4_3ELS4_3ELNS0_20block_scan_algorithmE0ELj4294967295EEENS1_25partition_config_selectorILNS1_17partition_subalgoE4EjNS0_10empty_typeEbEEZZNS1_14partition_implILS8_4ELb0ES6_15HIP_vector_typeIjLj2EENS0_17counting_iteratorIjlEEPS9_SG_NS0_5tupleIJPjSI_NS0_16reverse_iteratorISI_EEEEENSH_IJSG_SG_SG_EEES9_SI_JZNS1_25segmented_radix_sort_implINS0_14default_configELb0EPKaPaPKlPlN2at6native12_GLOBAL__N_18offset_tEEE10hipError_tPvRmT1_PNSt15iterator_traitsIS12_E10value_typeET2_T3_PNS13_IS18_E10value_typeET4_jRbjT5_S1E_jjP12ihipStream_tbEUljE_ZNSN_ISO_Lb0ESQ_SR_ST_SU_SY_EESZ_S10_S11_S12_S16_S17_S18_S1B_S1C_jS1D_jS1E_S1E_jjS1G_bEUljE0_EEESZ_S10_S11_S18_S1C_S1E_T6_T7_T9_mT8_S1G_bDpT10_ENKUlT_T0_E_clISt17integral_constantIbLb0EES1T_IbLb1EEEEDaS1P_S1Q_EUlS1P_E_NS1_11comp_targetILNS1_3genE3ELNS1_11target_archE908ELNS1_3gpuE7ELNS1_3repE0EEENS1_30default_config_static_selectorELNS0_4arch9wavefront6targetE0EEEvS12_
    .private_segment_fixed_size: 0
    .sgpr_count:     0
    .sgpr_spill_count: 0
    .symbol:         _ZN7rocprim17ROCPRIM_400000_NS6detail17trampoline_kernelINS0_13select_configILj256ELj13ELNS0_17block_load_methodE3ELS4_3ELS4_3ELNS0_20block_scan_algorithmE0ELj4294967295EEENS1_25partition_config_selectorILNS1_17partition_subalgoE4EjNS0_10empty_typeEbEEZZNS1_14partition_implILS8_4ELb0ES6_15HIP_vector_typeIjLj2EENS0_17counting_iteratorIjlEEPS9_SG_NS0_5tupleIJPjSI_NS0_16reverse_iteratorISI_EEEEENSH_IJSG_SG_SG_EEES9_SI_JZNS1_25segmented_radix_sort_implINS0_14default_configELb0EPKaPaPKlPlN2at6native12_GLOBAL__N_18offset_tEEE10hipError_tPvRmT1_PNSt15iterator_traitsIS12_E10value_typeET2_T3_PNS13_IS18_E10value_typeET4_jRbjT5_S1E_jjP12ihipStream_tbEUljE_ZNSN_ISO_Lb0ESQ_SR_ST_SU_SY_EESZ_S10_S11_S12_S16_S17_S18_S1B_S1C_jS1D_jS1E_S1E_jjS1G_bEUljE0_EEESZ_S10_S11_S18_S1C_S1E_T6_T7_T9_mT8_S1G_bDpT10_ENKUlT_T0_E_clISt17integral_constantIbLb0EES1T_IbLb1EEEEDaS1P_S1Q_EUlS1P_E_NS1_11comp_targetILNS1_3genE3ELNS1_11target_archE908ELNS1_3gpuE7ELNS1_3repE0EEENS1_30default_config_static_selectorELNS0_4arch9wavefront6targetE0EEEvS12_.kd
    .uniform_work_group_size: 1
    .uses_dynamic_stack: false
    .vgpr_count:     0
    .vgpr_spill_count: 0
    .wavefront_size: 32
    .workgroup_processor_mode: 1
  - .args:
      - .offset:         0
        .size:           184
        .value_kind:     by_value
    .group_segment_fixed_size: 0
    .kernarg_segment_align: 8
    .kernarg_segment_size: 184
    .language:       OpenCL C
    .language_version:
      - 2
      - 0
    .max_flat_workgroup_size: 256
    .name:           _ZN7rocprim17ROCPRIM_400000_NS6detail17trampoline_kernelINS0_13select_configILj256ELj13ELNS0_17block_load_methodE3ELS4_3ELS4_3ELNS0_20block_scan_algorithmE0ELj4294967295EEENS1_25partition_config_selectorILNS1_17partition_subalgoE4EjNS0_10empty_typeEbEEZZNS1_14partition_implILS8_4ELb0ES6_15HIP_vector_typeIjLj2EENS0_17counting_iteratorIjlEEPS9_SG_NS0_5tupleIJPjSI_NS0_16reverse_iteratorISI_EEEEENSH_IJSG_SG_SG_EEES9_SI_JZNS1_25segmented_radix_sort_implINS0_14default_configELb0EPKaPaPKlPlN2at6native12_GLOBAL__N_18offset_tEEE10hipError_tPvRmT1_PNSt15iterator_traitsIS12_E10value_typeET2_T3_PNS13_IS18_E10value_typeET4_jRbjT5_S1E_jjP12ihipStream_tbEUljE_ZNSN_ISO_Lb0ESQ_SR_ST_SU_SY_EESZ_S10_S11_S12_S16_S17_S18_S1B_S1C_jS1D_jS1E_S1E_jjS1G_bEUljE0_EEESZ_S10_S11_S18_S1C_S1E_T6_T7_T9_mT8_S1G_bDpT10_ENKUlT_T0_E_clISt17integral_constantIbLb0EES1T_IbLb1EEEEDaS1P_S1Q_EUlS1P_E_NS1_11comp_targetILNS1_3genE2ELNS1_11target_archE906ELNS1_3gpuE6ELNS1_3repE0EEENS1_30default_config_static_selectorELNS0_4arch9wavefront6targetE0EEEvS12_
    .private_segment_fixed_size: 0
    .sgpr_count:     0
    .sgpr_spill_count: 0
    .symbol:         _ZN7rocprim17ROCPRIM_400000_NS6detail17trampoline_kernelINS0_13select_configILj256ELj13ELNS0_17block_load_methodE3ELS4_3ELS4_3ELNS0_20block_scan_algorithmE0ELj4294967295EEENS1_25partition_config_selectorILNS1_17partition_subalgoE4EjNS0_10empty_typeEbEEZZNS1_14partition_implILS8_4ELb0ES6_15HIP_vector_typeIjLj2EENS0_17counting_iteratorIjlEEPS9_SG_NS0_5tupleIJPjSI_NS0_16reverse_iteratorISI_EEEEENSH_IJSG_SG_SG_EEES9_SI_JZNS1_25segmented_radix_sort_implINS0_14default_configELb0EPKaPaPKlPlN2at6native12_GLOBAL__N_18offset_tEEE10hipError_tPvRmT1_PNSt15iterator_traitsIS12_E10value_typeET2_T3_PNS13_IS18_E10value_typeET4_jRbjT5_S1E_jjP12ihipStream_tbEUljE_ZNSN_ISO_Lb0ESQ_SR_ST_SU_SY_EESZ_S10_S11_S12_S16_S17_S18_S1B_S1C_jS1D_jS1E_S1E_jjS1G_bEUljE0_EEESZ_S10_S11_S18_S1C_S1E_T6_T7_T9_mT8_S1G_bDpT10_ENKUlT_T0_E_clISt17integral_constantIbLb0EES1T_IbLb1EEEEDaS1P_S1Q_EUlS1P_E_NS1_11comp_targetILNS1_3genE2ELNS1_11target_archE906ELNS1_3gpuE6ELNS1_3repE0EEENS1_30default_config_static_selectorELNS0_4arch9wavefront6targetE0EEEvS12_.kd
    .uniform_work_group_size: 1
    .uses_dynamic_stack: false
    .vgpr_count:     0
    .vgpr_spill_count: 0
    .wavefront_size: 32
    .workgroup_processor_mode: 1
  - .args:
      - .offset:         0
        .size:           184
        .value_kind:     by_value
    .group_segment_fixed_size: 0
    .kernarg_segment_align: 8
    .kernarg_segment_size: 184
    .language:       OpenCL C
    .language_version:
      - 2
      - 0
    .max_flat_workgroup_size: 256
    .name:           _ZN7rocprim17ROCPRIM_400000_NS6detail17trampoline_kernelINS0_13select_configILj256ELj13ELNS0_17block_load_methodE3ELS4_3ELS4_3ELNS0_20block_scan_algorithmE0ELj4294967295EEENS1_25partition_config_selectorILNS1_17partition_subalgoE4EjNS0_10empty_typeEbEEZZNS1_14partition_implILS8_4ELb0ES6_15HIP_vector_typeIjLj2EENS0_17counting_iteratorIjlEEPS9_SG_NS0_5tupleIJPjSI_NS0_16reverse_iteratorISI_EEEEENSH_IJSG_SG_SG_EEES9_SI_JZNS1_25segmented_radix_sort_implINS0_14default_configELb0EPKaPaPKlPlN2at6native12_GLOBAL__N_18offset_tEEE10hipError_tPvRmT1_PNSt15iterator_traitsIS12_E10value_typeET2_T3_PNS13_IS18_E10value_typeET4_jRbjT5_S1E_jjP12ihipStream_tbEUljE_ZNSN_ISO_Lb0ESQ_SR_ST_SU_SY_EESZ_S10_S11_S12_S16_S17_S18_S1B_S1C_jS1D_jS1E_S1E_jjS1G_bEUljE0_EEESZ_S10_S11_S18_S1C_S1E_T6_T7_T9_mT8_S1G_bDpT10_ENKUlT_T0_E_clISt17integral_constantIbLb0EES1T_IbLb1EEEEDaS1P_S1Q_EUlS1P_E_NS1_11comp_targetILNS1_3genE10ELNS1_11target_archE1200ELNS1_3gpuE4ELNS1_3repE0EEENS1_30default_config_static_selectorELNS0_4arch9wavefront6targetE0EEEvS12_
    .private_segment_fixed_size: 0
    .sgpr_count:     0
    .sgpr_spill_count: 0
    .symbol:         _ZN7rocprim17ROCPRIM_400000_NS6detail17trampoline_kernelINS0_13select_configILj256ELj13ELNS0_17block_load_methodE3ELS4_3ELS4_3ELNS0_20block_scan_algorithmE0ELj4294967295EEENS1_25partition_config_selectorILNS1_17partition_subalgoE4EjNS0_10empty_typeEbEEZZNS1_14partition_implILS8_4ELb0ES6_15HIP_vector_typeIjLj2EENS0_17counting_iteratorIjlEEPS9_SG_NS0_5tupleIJPjSI_NS0_16reverse_iteratorISI_EEEEENSH_IJSG_SG_SG_EEES9_SI_JZNS1_25segmented_radix_sort_implINS0_14default_configELb0EPKaPaPKlPlN2at6native12_GLOBAL__N_18offset_tEEE10hipError_tPvRmT1_PNSt15iterator_traitsIS12_E10value_typeET2_T3_PNS13_IS18_E10value_typeET4_jRbjT5_S1E_jjP12ihipStream_tbEUljE_ZNSN_ISO_Lb0ESQ_SR_ST_SU_SY_EESZ_S10_S11_S12_S16_S17_S18_S1B_S1C_jS1D_jS1E_S1E_jjS1G_bEUljE0_EEESZ_S10_S11_S18_S1C_S1E_T6_T7_T9_mT8_S1G_bDpT10_ENKUlT_T0_E_clISt17integral_constantIbLb0EES1T_IbLb1EEEEDaS1P_S1Q_EUlS1P_E_NS1_11comp_targetILNS1_3genE10ELNS1_11target_archE1200ELNS1_3gpuE4ELNS1_3repE0EEENS1_30default_config_static_selectorELNS0_4arch9wavefront6targetE0EEEvS12_.kd
    .uniform_work_group_size: 1
    .uses_dynamic_stack: false
    .vgpr_count:     0
    .vgpr_spill_count: 0
    .wavefront_size: 32
    .workgroup_processor_mode: 1
  - .args:
      - .offset:         0
        .size:           184
        .value_kind:     by_value
    .group_segment_fixed_size: 0
    .kernarg_segment_align: 8
    .kernarg_segment_size: 184
    .language:       OpenCL C
    .language_version:
      - 2
      - 0
    .max_flat_workgroup_size: 256
    .name:           _ZN7rocprim17ROCPRIM_400000_NS6detail17trampoline_kernelINS0_13select_configILj256ELj13ELNS0_17block_load_methodE3ELS4_3ELS4_3ELNS0_20block_scan_algorithmE0ELj4294967295EEENS1_25partition_config_selectorILNS1_17partition_subalgoE4EjNS0_10empty_typeEbEEZZNS1_14partition_implILS8_4ELb0ES6_15HIP_vector_typeIjLj2EENS0_17counting_iteratorIjlEEPS9_SG_NS0_5tupleIJPjSI_NS0_16reverse_iteratorISI_EEEEENSH_IJSG_SG_SG_EEES9_SI_JZNS1_25segmented_radix_sort_implINS0_14default_configELb0EPKaPaPKlPlN2at6native12_GLOBAL__N_18offset_tEEE10hipError_tPvRmT1_PNSt15iterator_traitsIS12_E10value_typeET2_T3_PNS13_IS18_E10value_typeET4_jRbjT5_S1E_jjP12ihipStream_tbEUljE_ZNSN_ISO_Lb0ESQ_SR_ST_SU_SY_EESZ_S10_S11_S12_S16_S17_S18_S1B_S1C_jS1D_jS1E_S1E_jjS1G_bEUljE0_EEESZ_S10_S11_S18_S1C_S1E_T6_T7_T9_mT8_S1G_bDpT10_ENKUlT_T0_E_clISt17integral_constantIbLb0EES1T_IbLb1EEEEDaS1P_S1Q_EUlS1P_E_NS1_11comp_targetILNS1_3genE9ELNS1_11target_archE1100ELNS1_3gpuE3ELNS1_3repE0EEENS1_30default_config_static_selectorELNS0_4arch9wavefront6targetE0EEEvS12_
    .private_segment_fixed_size: 0
    .sgpr_count:     0
    .sgpr_spill_count: 0
    .symbol:         _ZN7rocprim17ROCPRIM_400000_NS6detail17trampoline_kernelINS0_13select_configILj256ELj13ELNS0_17block_load_methodE3ELS4_3ELS4_3ELNS0_20block_scan_algorithmE0ELj4294967295EEENS1_25partition_config_selectorILNS1_17partition_subalgoE4EjNS0_10empty_typeEbEEZZNS1_14partition_implILS8_4ELb0ES6_15HIP_vector_typeIjLj2EENS0_17counting_iteratorIjlEEPS9_SG_NS0_5tupleIJPjSI_NS0_16reverse_iteratorISI_EEEEENSH_IJSG_SG_SG_EEES9_SI_JZNS1_25segmented_radix_sort_implINS0_14default_configELb0EPKaPaPKlPlN2at6native12_GLOBAL__N_18offset_tEEE10hipError_tPvRmT1_PNSt15iterator_traitsIS12_E10value_typeET2_T3_PNS13_IS18_E10value_typeET4_jRbjT5_S1E_jjP12ihipStream_tbEUljE_ZNSN_ISO_Lb0ESQ_SR_ST_SU_SY_EESZ_S10_S11_S12_S16_S17_S18_S1B_S1C_jS1D_jS1E_S1E_jjS1G_bEUljE0_EEESZ_S10_S11_S18_S1C_S1E_T6_T7_T9_mT8_S1G_bDpT10_ENKUlT_T0_E_clISt17integral_constantIbLb0EES1T_IbLb1EEEEDaS1P_S1Q_EUlS1P_E_NS1_11comp_targetILNS1_3genE9ELNS1_11target_archE1100ELNS1_3gpuE3ELNS1_3repE0EEENS1_30default_config_static_selectorELNS0_4arch9wavefront6targetE0EEEvS12_.kd
    .uniform_work_group_size: 1
    .uses_dynamic_stack: false
    .vgpr_count:     0
    .vgpr_spill_count: 0
    .wavefront_size: 32
    .workgroup_processor_mode: 1
  - .args:
      - .offset:         0
        .size:           184
        .value_kind:     by_value
    .group_segment_fixed_size: 13328
    .kernarg_segment_align: 8
    .kernarg_segment_size: 184
    .language:       OpenCL C
    .language_version:
      - 2
      - 0
    .max_flat_workgroup_size: 256
    .name:           _ZN7rocprim17ROCPRIM_400000_NS6detail17trampoline_kernelINS0_13select_configILj256ELj13ELNS0_17block_load_methodE3ELS4_3ELS4_3ELNS0_20block_scan_algorithmE0ELj4294967295EEENS1_25partition_config_selectorILNS1_17partition_subalgoE4EjNS0_10empty_typeEbEEZZNS1_14partition_implILS8_4ELb0ES6_15HIP_vector_typeIjLj2EENS0_17counting_iteratorIjlEEPS9_SG_NS0_5tupleIJPjSI_NS0_16reverse_iteratorISI_EEEEENSH_IJSG_SG_SG_EEES9_SI_JZNS1_25segmented_radix_sort_implINS0_14default_configELb0EPKaPaPKlPlN2at6native12_GLOBAL__N_18offset_tEEE10hipError_tPvRmT1_PNSt15iterator_traitsIS12_E10value_typeET2_T3_PNS13_IS18_E10value_typeET4_jRbjT5_S1E_jjP12ihipStream_tbEUljE_ZNSN_ISO_Lb0ESQ_SR_ST_SU_SY_EESZ_S10_S11_S12_S16_S17_S18_S1B_S1C_jS1D_jS1E_S1E_jjS1G_bEUljE0_EEESZ_S10_S11_S18_S1C_S1E_T6_T7_T9_mT8_S1G_bDpT10_ENKUlT_T0_E_clISt17integral_constantIbLb0EES1T_IbLb1EEEEDaS1P_S1Q_EUlS1P_E_NS1_11comp_targetILNS1_3genE8ELNS1_11target_archE1030ELNS1_3gpuE2ELNS1_3repE0EEENS1_30default_config_static_selectorELNS0_4arch9wavefront6targetE0EEEvS12_
    .private_segment_fixed_size: 0
    .sgpr_count:     57
    .sgpr_spill_count: 0
    .symbol:         _ZN7rocprim17ROCPRIM_400000_NS6detail17trampoline_kernelINS0_13select_configILj256ELj13ELNS0_17block_load_methodE3ELS4_3ELS4_3ELNS0_20block_scan_algorithmE0ELj4294967295EEENS1_25partition_config_selectorILNS1_17partition_subalgoE4EjNS0_10empty_typeEbEEZZNS1_14partition_implILS8_4ELb0ES6_15HIP_vector_typeIjLj2EENS0_17counting_iteratorIjlEEPS9_SG_NS0_5tupleIJPjSI_NS0_16reverse_iteratorISI_EEEEENSH_IJSG_SG_SG_EEES9_SI_JZNS1_25segmented_radix_sort_implINS0_14default_configELb0EPKaPaPKlPlN2at6native12_GLOBAL__N_18offset_tEEE10hipError_tPvRmT1_PNSt15iterator_traitsIS12_E10value_typeET2_T3_PNS13_IS18_E10value_typeET4_jRbjT5_S1E_jjP12ihipStream_tbEUljE_ZNSN_ISO_Lb0ESQ_SR_ST_SU_SY_EESZ_S10_S11_S12_S16_S17_S18_S1B_S1C_jS1D_jS1E_S1E_jjS1G_bEUljE0_EEESZ_S10_S11_S18_S1C_S1E_T6_T7_T9_mT8_S1G_bDpT10_ENKUlT_T0_E_clISt17integral_constantIbLb0EES1T_IbLb1EEEEDaS1P_S1Q_EUlS1P_E_NS1_11comp_targetILNS1_3genE8ELNS1_11target_archE1030ELNS1_3gpuE2ELNS1_3repE0EEENS1_30default_config_static_selectorELNS0_4arch9wavefront6targetE0EEEvS12_.kd
    .uniform_work_group_size: 1
    .uses_dynamic_stack: false
    .vgpr_count:     87
    .vgpr_spill_count: 0
    .wavefront_size: 32
    .workgroup_processor_mode: 1
  - .args:
      - .offset:         0
        .size:           144
        .value_kind:     by_value
    .group_segment_fixed_size: 0
    .kernarg_segment_align: 8
    .kernarg_segment_size: 144
    .language:       OpenCL C
    .language_version:
      - 2
      - 0
    .max_flat_workgroup_size: 256
    .name:           _ZN7rocprim17ROCPRIM_400000_NS6detail17trampoline_kernelINS0_13select_configILj256ELj13ELNS0_17block_load_methodE3ELS4_3ELS4_3ELNS0_20block_scan_algorithmE0ELj4294967295EEENS1_25partition_config_selectorILNS1_17partition_subalgoE3EjNS0_10empty_typeEbEEZZNS1_14partition_implILS8_3ELb0ES6_jNS0_17counting_iteratorIjlEEPS9_SE_NS0_5tupleIJPjSE_EEENSF_IJSE_SE_EEES9_SG_JZNS1_25segmented_radix_sort_implINS0_14default_configELb0EPKaPaPKlPlN2at6native12_GLOBAL__N_18offset_tEEE10hipError_tPvRmT1_PNSt15iterator_traitsISY_E10value_typeET2_T3_PNSZ_IS14_E10value_typeET4_jRbjT5_S1A_jjP12ihipStream_tbEUljE_EEESV_SW_SX_S14_S18_S1A_T6_T7_T9_mT8_S1C_bDpT10_ENKUlT_T0_E_clISt17integral_constantIbLb0EES1P_EEDaS1K_S1L_EUlS1K_E_NS1_11comp_targetILNS1_3genE0ELNS1_11target_archE4294967295ELNS1_3gpuE0ELNS1_3repE0EEENS1_30default_config_static_selectorELNS0_4arch9wavefront6targetE0EEEvSY_
    .private_segment_fixed_size: 0
    .sgpr_count:     0
    .sgpr_spill_count: 0
    .symbol:         _ZN7rocprim17ROCPRIM_400000_NS6detail17trampoline_kernelINS0_13select_configILj256ELj13ELNS0_17block_load_methodE3ELS4_3ELS4_3ELNS0_20block_scan_algorithmE0ELj4294967295EEENS1_25partition_config_selectorILNS1_17partition_subalgoE3EjNS0_10empty_typeEbEEZZNS1_14partition_implILS8_3ELb0ES6_jNS0_17counting_iteratorIjlEEPS9_SE_NS0_5tupleIJPjSE_EEENSF_IJSE_SE_EEES9_SG_JZNS1_25segmented_radix_sort_implINS0_14default_configELb0EPKaPaPKlPlN2at6native12_GLOBAL__N_18offset_tEEE10hipError_tPvRmT1_PNSt15iterator_traitsISY_E10value_typeET2_T3_PNSZ_IS14_E10value_typeET4_jRbjT5_S1A_jjP12ihipStream_tbEUljE_EEESV_SW_SX_S14_S18_S1A_T6_T7_T9_mT8_S1C_bDpT10_ENKUlT_T0_E_clISt17integral_constantIbLb0EES1P_EEDaS1K_S1L_EUlS1K_E_NS1_11comp_targetILNS1_3genE0ELNS1_11target_archE4294967295ELNS1_3gpuE0ELNS1_3repE0EEENS1_30default_config_static_selectorELNS0_4arch9wavefront6targetE0EEEvSY_.kd
    .uniform_work_group_size: 1
    .uses_dynamic_stack: false
    .vgpr_count:     0
    .vgpr_spill_count: 0
    .wavefront_size: 32
    .workgroup_processor_mode: 1
  - .args:
      - .offset:         0
        .size:           144
        .value_kind:     by_value
    .group_segment_fixed_size: 0
    .kernarg_segment_align: 8
    .kernarg_segment_size: 144
    .language:       OpenCL C
    .language_version:
      - 2
      - 0
    .max_flat_workgroup_size: 256
    .name:           _ZN7rocprim17ROCPRIM_400000_NS6detail17trampoline_kernelINS0_13select_configILj256ELj13ELNS0_17block_load_methodE3ELS4_3ELS4_3ELNS0_20block_scan_algorithmE0ELj4294967295EEENS1_25partition_config_selectorILNS1_17partition_subalgoE3EjNS0_10empty_typeEbEEZZNS1_14partition_implILS8_3ELb0ES6_jNS0_17counting_iteratorIjlEEPS9_SE_NS0_5tupleIJPjSE_EEENSF_IJSE_SE_EEES9_SG_JZNS1_25segmented_radix_sort_implINS0_14default_configELb0EPKaPaPKlPlN2at6native12_GLOBAL__N_18offset_tEEE10hipError_tPvRmT1_PNSt15iterator_traitsISY_E10value_typeET2_T3_PNSZ_IS14_E10value_typeET4_jRbjT5_S1A_jjP12ihipStream_tbEUljE_EEESV_SW_SX_S14_S18_S1A_T6_T7_T9_mT8_S1C_bDpT10_ENKUlT_T0_E_clISt17integral_constantIbLb0EES1P_EEDaS1K_S1L_EUlS1K_E_NS1_11comp_targetILNS1_3genE5ELNS1_11target_archE942ELNS1_3gpuE9ELNS1_3repE0EEENS1_30default_config_static_selectorELNS0_4arch9wavefront6targetE0EEEvSY_
    .private_segment_fixed_size: 0
    .sgpr_count:     0
    .sgpr_spill_count: 0
    .symbol:         _ZN7rocprim17ROCPRIM_400000_NS6detail17trampoline_kernelINS0_13select_configILj256ELj13ELNS0_17block_load_methodE3ELS4_3ELS4_3ELNS0_20block_scan_algorithmE0ELj4294967295EEENS1_25partition_config_selectorILNS1_17partition_subalgoE3EjNS0_10empty_typeEbEEZZNS1_14partition_implILS8_3ELb0ES6_jNS0_17counting_iteratorIjlEEPS9_SE_NS0_5tupleIJPjSE_EEENSF_IJSE_SE_EEES9_SG_JZNS1_25segmented_radix_sort_implINS0_14default_configELb0EPKaPaPKlPlN2at6native12_GLOBAL__N_18offset_tEEE10hipError_tPvRmT1_PNSt15iterator_traitsISY_E10value_typeET2_T3_PNSZ_IS14_E10value_typeET4_jRbjT5_S1A_jjP12ihipStream_tbEUljE_EEESV_SW_SX_S14_S18_S1A_T6_T7_T9_mT8_S1C_bDpT10_ENKUlT_T0_E_clISt17integral_constantIbLb0EES1P_EEDaS1K_S1L_EUlS1K_E_NS1_11comp_targetILNS1_3genE5ELNS1_11target_archE942ELNS1_3gpuE9ELNS1_3repE0EEENS1_30default_config_static_selectorELNS0_4arch9wavefront6targetE0EEEvSY_.kd
    .uniform_work_group_size: 1
    .uses_dynamic_stack: false
    .vgpr_count:     0
    .vgpr_spill_count: 0
    .wavefront_size: 32
    .workgroup_processor_mode: 1
  - .args:
      - .offset:         0
        .size:           144
        .value_kind:     by_value
    .group_segment_fixed_size: 0
    .kernarg_segment_align: 8
    .kernarg_segment_size: 144
    .language:       OpenCL C
    .language_version:
      - 2
      - 0
    .max_flat_workgroup_size: 256
    .name:           _ZN7rocprim17ROCPRIM_400000_NS6detail17trampoline_kernelINS0_13select_configILj256ELj13ELNS0_17block_load_methodE3ELS4_3ELS4_3ELNS0_20block_scan_algorithmE0ELj4294967295EEENS1_25partition_config_selectorILNS1_17partition_subalgoE3EjNS0_10empty_typeEbEEZZNS1_14partition_implILS8_3ELb0ES6_jNS0_17counting_iteratorIjlEEPS9_SE_NS0_5tupleIJPjSE_EEENSF_IJSE_SE_EEES9_SG_JZNS1_25segmented_radix_sort_implINS0_14default_configELb0EPKaPaPKlPlN2at6native12_GLOBAL__N_18offset_tEEE10hipError_tPvRmT1_PNSt15iterator_traitsISY_E10value_typeET2_T3_PNSZ_IS14_E10value_typeET4_jRbjT5_S1A_jjP12ihipStream_tbEUljE_EEESV_SW_SX_S14_S18_S1A_T6_T7_T9_mT8_S1C_bDpT10_ENKUlT_T0_E_clISt17integral_constantIbLb0EES1P_EEDaS1K_S1L_EUlS1K_E_NS1_11comp_targetILNS1_3genE4ELNS1_11target_archE910ELNS1_3gpuE8ELNS1_3repE0EEENS1_30default_config_static_selectorELNS0_4arch9wavefront6targetE0EEEvSY_
    .private_segment_fixed_size: 0
    .sgpr_count:     0
    .sgpr_spill_count: 0
    .symbol:         _ZN7rocprim17ROCPRIM_400000_NS6detail17trampoline_kernelINS0_13select_configILj256ELj13ELNS0_17block_load_methodE3ELS4_3ELS4_3ELNS0_20block_scan_algorithmE0ELj4294967295EEENS1_25partition_config_selectorILNS1_17partition_subalgoE3EjNS0_10empty_typeEbEEZZNS1_14partition_implILS8_3ELb0ES6_jNS0_17counting_iteratorIjlEEPS9_SE_NS0_5tupleIJPjSE_EEENSF_IJSE_SE_EEES9_SG_JZNS1_25segmented_radix_sort_implINS0_14default_configELb0EPKaPaPKlPlN2at6native12_GLOBAL__N_18offset_tEEE10hipError_tPvRmT1_PNSt15iterator_traitsISY_E10value_typeET2_T3_PNSZ_IS14_E10value_typeET4_jRbjT5_S1A_jjP12ihipStream_tbEUljE_EEESV_SW_SX_S14_S18_S1A_T6_T7_T9_mT8_S1C_bDpT10_ENKUlT_T0_E_clISt17integral_constantIbLb0EES1P_EEDaS1K_S1L_EUlS1K_E_NS1_11comp_targetILNS1_3genE4ELNS1_11target_archE910ELNS1_3gpuE8ELNS1_3repE0EEENS1_30default_config_static_selectorELNS0_4arch9wavefront6targetE0EEEvSY_.kd
    .uniform_work_group_size: 1
    .uses_dynamic_stack: false
    .vgpr_count:     0
    .vgpr_spill_count: 0
    .wavefront_size: 32
    .workgroup_processor_mode: 1
  - .args:
      - .offset:         0
        .size:           144
        .value_kind:     by_value
    .group_segment_fixed_size: 0
    .kernarg_segment_align: 8
    .kernarg_segment_size: 144
    .language:       OpenCL C
    .language_version:
      - 2
      - 0
    .max_flat_workgroup_size: 256
    .name:           _ZN7rocprim17ROCPRIM_400000_NS6detail17trampoline_kernelINS0_13select_configILj256ELj13ELNS0_17block_load_methodE3ELS4_3ELS4_3ELNS0_20block_scan_algorithmE0ELj4294967295EEENS1_25partition_config_selectorILNS1_17partition_subalgoE3EjNS0_10empty_typeEbEEZZNS1_14partition_implILS8_3ELb0ES6_jNS0_17counting_iteratorIjlEEPS9_SE_NS0_5tupleIJPjSE_EEENSF_IJSE_SE_EEES9_SG_JZNS1_25segmented_radix_sort_implINS0_14default_configELb0EPKaPaPKlPlN2at6native12_GLOBAL__N_18offset_tEEE10hipError_tPvRmT1_PNSt15iterator_traitsISY_E10value_typeET2_T3_PNSZ_IS14_E10value_typeET4_jRbjT5_S1A_jjP12ihipStream_tbEUljE_EEESV_SW_SX_S14_S18_S1A_T6_T7_T9_mT8_S1C_bDpT10_ENKUlT_T0_E_clISt17integral_constantIbLb0EES1P_EEDaS1K_S1L_EUlS1K_E_NS1_11comp_targetILNS1_3genE3ELNS1_11target_archE908ELNS1_3gpuE7ELNS1_3repE0EEENS1_30default_config_static_selectorELNS0_4arch9wavefront6targetE0EEEvSY_
    .private_segment_fixed_size: 0
    .sgpr_count:     0
    .sgpr_spill_count: 0
    .symbol:         _ZN7rocprim17ROCPRIM_400000_NS6detail17trampoline_kernelINS0_13select_configILj256ELj13ELNS0_17block_load_methodE3ELS4_3ELS4_3ELNS0_20block_scan_algorithmE0ELj4294967295EEENS1_25partition_config_selectorILNS1_17partition_subalgoE3EjNS0_10empty_typeEbEEZZNS1_14partition_implILS8_3ELb0ES6_jNS0_17counting_iteratorIjlEEPS9_SE_NS0_5tupleIJPjSE_EEENSF_IJSE_SE_EEES9_SG_JZNS1_25segmented_radix_sort_implINS0_14default_configELb0EPKaPaPKlPlN2at6native12_GLOBAL__N_18offset_tEEE10hipError_tPvRmT1_PNSt15iterator_traitsISY_E10value_typeET2_T3_PNSZ_IS14_E10value_typeET4_jRbjT5_S1A_jjP12ihipStream_tbEUljE_EEESV_SW_SX_S14_S18_S1A_T6_T7_T9_mT8_S1C_bDpT10_ENKUlT_T0_E_clISt17integral_constantIbLb0EES1P_EEDaS1K_S1L_EUlS1K_E_NS1_11comp_targetILNS1_3genE3ELNS1_11target_archE908ELNS1_3gpuE7ELNS1_3repE0EEENS1_30default_config_static_selectorELNS0_4arch9wavefront6targetE0EEEvSY_.kd
    .uniform_work_group_size: 1
    .uses_dynamic_stack: false
    .vgpr_count:     0
    .vgpr_spill_count: 0
    .wavefront_size: 32
    .workgroup_processor_mode: 1
  - .args:
      - .offset:         0
        .size:           144
        .value_kind:     by_value
    .group_segment_fixed_size: 0
    .kernarg_segment_align: 8
    .kernarg_segment_size: 144
    .language:       OpenCL C
    .language_version:
      - 2
      - 0
    .max_flat_workgroup_size: 256
    .name:           _ZN7rocprim17ROCPRIM_400000_NS6detail17trampoline_kernelINS0_13select_configILj256ELj13ELNS0_17block_load_methodE3ELS4_3ELS4_3ELNS0_20block_scan_algorithmE0ELj4294967295EEENS1_25partition_config_selectorILNS1_17partition_subalgoE3EjNS0_10empty_typeEbEEZZNS1_14partition_implILS8_3ELb0ES6_jNS0_17counting_iteratorIjlEEPS9_SE_NS0_5tupleIJPjSE_EEENSF_IJSE_SE_EEES9_SG_JZNS1_25segmented_radix_sort_implINS0_14default_configELb0EPKaPaPKlPlN2at6native12_GLOBAL__N_18offset_tEEE10hipError_tPvRmT1_PNSt15iterator_traitsISY_E10value_typeET2_T3_PNSZ_IS14_E10value_typeET4_jRbjT5_S1A_jjP12ihipStream_tbEUljE_EEESV_SW_SX_S14_S18_S1A_T6_T7_T9_mT8_S1C_bDpT10_ENKUlT_T0_E_clISt17integral_constantIbLb0EES1P_EEDaS1K_S1L_EUlS1K_E_NS1_11comp_targetILNS1_3genE2ELNS1_11target_archE906ELNS1_3gpuE6ELNS1_3repE0EEENS1_30default_config_static_selectorELNS0_4arch9wavefront6targetE0EEEvSY_
    .private_segment_fixed_size: 0
    .sgpr_count:     0
    .sgpr_spill_count: 0
    .symbol:         _ZN7rocprim17ROCPRIM_400000_NS6detail17trampoline_kernelINS0_13select_configILj256ELj13ELNS0_17block_load_methodE3ELS4_3ELS4_3ELNS0_20block_scan_algorithmE0ELj4294967295EEENS1_25partition_config_selectorILNS1_17partition_subalgoE3EjNS0_10empty_typeEbEEZZNS1_14partition_implILS8_3ELb0ES6_jNS0_17counting_iteratorIjlEEPS9_SE_NS0_5tupleIJPjSE_EEENSF_IJSE_SE_EEES9_SG_JZNS1_25segmented_radix_sort_implINS0_14default_configELb0EPKaPaPKlPlN2at6native12_GLOBAL__N_18offset_tEEE10hipError_tPvRmT1_PNSt15iterator_traitsISY_E10value_typeET2_T3_PNSZ_IS14_E10value_typeET4_jRbjT5_S1A_jjP12ihipStream_tbEUljE_EEESV_SW_SX_S14_S18_S1A_T6_T7_T9_mT8_S1C_bDpT10_ENKUlT_T0_E_clISt17integral_constantIbLb0EES1P_EEDaS1K_S1L_EUlS1K_E_NS1_11comp_targetILNS1_3genE2ELNS1_11target_archE906ELNS1_3gpuE6ELNS1_3repE0EEENS1_30default_config_static_selectorELNS0_4arch9wavefront6targetE0EEEvSY_.kd
    .uniform_work_group_size: 1
    .uses_dynamic_stack: false
    .vgpr_count:     0
    .vgpr_spill_count: 0
    .wavefront_size: 32
    .workgroup_processor_mode: 1
  - .args:
      - .offset:         0
        .size:           144
        .value_kind:     by_value
    .group_segment_fixed_size: 0
    .kernarg_segment_align: 8
    .kernarg_segment_size: 144
    .language:       OpenCL C
    .language_version:
      - 2
      - 0
    .max_flat_workgroup_size: 256
    .name:           _ZN7rocprim17ROCPRIM_400000_NS6detail17trampoline_kernelINS0_13select_configILj256ELj13ELNS0_17block_load_methodE3ELS4_3ELS4_3ELNS0_20block_scan_algorithmE0ELj4294967295EEENS1_25partition_config_selectorILNS1_17partition_subalgoE3EjNS0_10empty_typeEbEEZZNS1_14partition_implILS8_3ELb0ES6_jNS0_17counting_iteratorIjlEEPS9_SE_NS0_5tupleIJPjSE_EEENSF_IJSE_SE_EEES9_SG_JZNS1_25segmented_radix_sort_implINS0_14default_configELb0EPKaPaPKlPlN2at6native12_GLOBAL__N_18offset_tEEE10hipError_tPvRmT1_PNSt15iterator_traitsISY_E10value_typeET2_T3_PNSZ_IS14_E10value_typeET4_jRbjT5_S1A_jjP12ihipStream_tbEUljE_EEESV_SW_SX_S14_S18_S1A_T6_T7_T9_mT8_S1C_bDpT10_ENKUlT_T0_E_clISt17integral_constantIbLb0EES1P_EEDaS1K_S1L_EUlS1K_E_NS1_11comp_targetILNS1_3genE10ELNS1_11target_archE1200ELNS1_3gpuE4ELNS1_3repE0EEENS1_30default_config_static_selectorELNS0_4arch9wavefront6targetE0EEEvSY_
    .private_segment_fixed_size: 0
    .sgpr_count:     0
    .sgpr_spill_count: 0
    .symbol:         _ZN7rocprim17ROCPRIM_400000_NS6detail17trampoline_kernelINS0_13select_configILj256ELj13ELNS0_17block_load_methodE3ELS4_3ELS4_3ELNS0_20block_scan_algorithmE0ELj4294967295EEENS1_25partition_config_selectorILNS1_17partition_subalgoE3EjNS0_10empty_typeEbEEZZNS1_14partition_implILS8_3ELb0ES6_jNS0_17counting_iteratorIjlEEPS9_SE_NS0_5tupleIJPjSE_EEENSF_IJSE_SE_EEES9_SG_JZNS1_25segmented_radix_sort_implINS0_14default_configELb0EPKaPaPKlPlN2at6native12_GLOBAL__N_18offset_tEEE10hipError_tPvRmT1_PNSt15iterator_traitsISY_E10value_typeET2_T3_PNSZ_IS14_E10value_typeET4_jRbjT5_S1A_jjP12ihipStream_tbEUljE_EEESV_SW_SX_S14_S18_S1A_T6_T7_T9_mT8_S1C_bDpT10_ENKUlT_T0_E_clISt17integral_constantIbLb0EES1P_EEDaS1K_S1L_EUlS1K_E_NS1_11comp_targetILNS1_3genE10ELNS1_11target_archE1200ELNS1_3gpuE4ELNS1_3repE0EEENS1_30default_config_static_selectorELNS0_4arch9wavefront6targetE0EEEvSY_.kd
    .uniform_work_group_size: 1
    .uses_dynamic_stack: false
    .vgpr_count:     0
    .vgpr_spill_count: 0
    .wavefront_size: 32
    .workgroup_processor_mode: 1
  - .args:
      - .offset:         0
        .size:           144
        .value_kind:     by_value
    .group_segment_fixed_size: 0
    .kernarg_segment_align: 8
    .kernarg_segment_size: 144
    .language:       OpenCL C
    .language_version:
      - 2
      - 0
    .max_flat_workgroup_size: 256
    .name:           _ZN7rocprim17ROCPRIM_400000_NS6detail17trampoline_kernelINS0_13select_configILj256ELj13ELNS0_17block_load_methodE3ELS4_3ELS4_3ELNS0_20block_scan_algorithmE0ELj4294967295EEENS1_25partition_config_selectorILNS1_17partition_subalgoE3EjNS0_10empty_typeEbEEZZNS1_14partition_implILS8_3ELb0ES6_jNS0_17counting_iteratorIjlEEPS9_SE_NS0_5tupleIJPjSE_EEENSF_IJSE_SE_EEES9_SG_JZNS1_25segmented_radix_sort_implINS0_14default_configELb0EPKaPaPKlPlN2at6native12_GLOBAL__N_18offset_tEEE10hipError_tPvRmT1_PNSt15iterator_traitsISY_E10value_typeET2_T3_PNSZ_IS14_E10value_typeET4_jRbjT5_S1A_jjP12ihipStream_tbEUljE_EEESV_SW_SX_S14_S18_S1A_T6_T7_T9_mT8_S1C_bDpT10_ENKUlT_T0_E_clISt17integral_constantIbLb0EES1P_EEDaS1K_S1L_EUlS1K_E_NS1_11comp_targetILNS1_3genE9ELNS1_11target_archE1100ELNS1_3gpuE3ELNS1_3repE0EEENS1_30default_config_static_selectorELNS0_4arch9wavefront6targetE0EEEvSY_
    .private_segment_fixed_size: 0
    .sgpr_count:     0
    .sgpr_spill_count: 0
    .symbol:         _ZN7rocprim17ROCPRIM_400000_NS6detail17trampoline_kernelINS0_13select_configILj256ELj13ELNS0_17block_load_methodE3ELS4_3ELS4_3ELNS0_20block_scan_algorithmE0ELj4294967295EEENS1_25partition_config_selectorILNS1_17partition_subalgoE3EjNS0_10empty_typeEbEEZZNS1_14partition_implILS8_3ELb0ES6_jNS0_17counting_iteratorIjlEEPS9_SE_NS0_5tupleIJPjSE_EEENSF_IJSE_SE_EEES9_SG_JZNS1_25segmented_radix_sort_implINS0_14default_configELb0EPKaPaPKlPlN2at6native12_GLOBAL__N_18offset_tEEE10hipError_tPvRmT1_PNSt15iterator_traitsISY_E10value_typeET2_T3_PNSZ_IS14_E10value_typeET4_jRbjT5_S1A_jjP12ihipStream_tbEUljE_EEESV_SW_SX_S14_S18_S1A_T6_T7_T9_mT8_S1C_bDpT10_ENKUlT_T0_E_clISt17integral_constantIbLb0EES1P_EEDaS1K_S1L_EUlS1K_E_NS1_11comp_targetILNS1_3genE9ELNS1_11target_archE1100ELNS1_3gpuE3ELNS1_3repE0EEENS1_30default_config_static_selectorELNS0_4arch9wavefront6targetE0EEEvSY_.kd
    .uniform_work_group_size: 1
    .uses_dynamic_stack: false
    .vgpr_count:     0
    .vgpr_spill_count: 0
    .wavefront_size: 32
    .workgroup_processor_mode: 1
  - .args:
      - .offset:         0
        .size:           144
        .value_kind:     by_value
    .group_segment_fixed_size: 13320
    .kernarg_segment_align: 8
    .kernarg_segment_size: 144
    .language:       OpenCL C
    .language_version:
      - 2
      - 0
    .max_flat_workgroup_size: 256
    .name:           _ZN7rocprim17ROCPRIM_400000_NS6detail17trampoline_kernelINS0_13select_configILj256ELj13ELNS0_17block_load_methodE3ELS4_3ELS4_3ELNS0_20block_scan_algorithmE0ELj4294967295EEENS1_25partition_config_selectorILNS1_17partition_subalgoE3EjNS0_10empty_typeEbEEZZNS1_14partition_implILS8_3ELb0ES6_jNS0_17counting_iteratorIjlEEPS9_SE_NS0_5tupleIJPjSE_EEENSF_IJSE_SE_EEES9_SG_JZNS1_25segmented_radix_sort_implINS0_14default_configELb0EPKaPaPKlPlN2at6native12_GLOBAL__N_18offset_tEEE10hipError_tPvRmT1_PNSt15iterator_traitsISY_E10value_typeET2_T3_PNSZ_IS14_E10value_typeET4_jRbjT5_S1A_jjP12ihipStream_tbEUljE_EEESV_SW_SX_S14_S18_S1A_T6_T7_T9_mT8_S1C_bDpT10_ENKUlT_T0_E_clISt17integral_constantIbLb0EES1P_EEDaS1K_S1L_EUlS1K_E_NS1_11comp_targetILNS1_3genE8ELNS1_11target_archE1030ELNS1_3gpuE2ELNS1_3repE0EEENS1_30default_config_static_selectorELNS0_4arch9wavefront6targetE0EEEvSY_
    .private_segment_fixed_size: 0
    .sgpr_count:     29
    .sgpr_spill_count: 0
    .symbol:         _ZN7rocprim17ROCPRIM_400000_NS6detail17trampoline_kernelINS0_13select_configILj256ELj13ELNS0_17block_load_methodE3ELS4_3ELS4_3ELNS0_20block_scan_algorithmE0ELj4294967295EEENS1_25partition_config_selectorILNS1_17partition_subalgoE3EjNS0_10empty_typeEbEEZZNS1_14partition_implILS8_3ELb0ES6_jNS0_17counting_iteratorIjlEEPS9_SE_NS0_5tupleIJPjSE_EEENSF_IJSE_SE_EEES9_SG_JZNS1_25segmented_radix_sort_implINS0_14default_configELb0EPKaPaPKlPlN2at6native12_GLOBAL__N_18offset_tEEE10hipError_tPvRmT1_PNSt15iterator_traitsISY_E10value_typeET2_T3_PNSZ_IS14_E10value_typeET4_jRbjT5_S1A_jjP12ihipStream_tbEUljE_EEESV_SW_SX_S14_S18_S1A_T6_T7_T9_mT8_S1C_bDpT10_ENKUlT_T0_E_clISt17integral_constantIbLb0EES1P_EEDaS1K_S1L_EUlS1K_E_NS1_11comp_targetILNS1_3genE8ELNS1_11target_archE1030ELNS1_3gpuE2ELNS1_3repE0EEENS1_30default_config_static_selectorELNS0_4arch9wavefront6targetE0EEEvSY_.kd
    .uniform_work_group_size: 1
    .uses_dynamic_stack: false
    .vgpr_count:     69
    .vgpr_spill_count: 0
    .wavefront_size: 32
    .workgroup_processor_mode: 1
  - .args:
      - .offset:         0
        .size:           152
        .value_kind:     by_value
    .group_segment_fixed_size: 0
    .kernarg_segment_align: 8
    .kernarg_segment_size: 152
    .language:       OpenCL C
    .language_version:
      - 2
      - 0
    .max_flat_workgroup_size: 256
    .name:           _ZN7rocprim17ROCPRIM_400000_NS6detail17trampoline_kernelINS0_13select_configILj256ELj13ELNS0_17block_load_methodE3ELS4_3ELS4_3ELNS0_20block_scan_algorithmE0ELj4294967295EEENS1_25partition_config_selectorILNS1_17partition_subalgoE3EjNS0_10empty_typeEbEEZZNS1_14partition_implILS8_3ELb0ES6_jNS0_17counting_iteratorIjlEEPS9_SE_NS0_5tupleIJPjSE_EEENSF_IJSE_SE_EEES9_SG_JZNS1_25segmented_radix_sort_implINS0_14default_configELb0EPKaPaPKlPlN2at6native12_GLOBAL__N_18offset_tEEE10hipError_tPvRmT1_PNSt15iterator_traitsISY_E10value_typeET2_T3_PNSZ_IS14_E10value_typeET4_jRbjT5_S1A_jjP12ihipStream_tbEUljE_EEESV_SW_SX_S14_S18_S1A_T6_T7_T9_mT8_S1C_bDpT10_ENKUlT_T0_E_clISt17integral_constantIbLb1EES1P_EEDaS1K_S1L_EUlS1K_E_NS1_11comp_targetILNS1_3genE0ELNS1_11target_archE4294967295ELNS1_3gpuE0ELNS1_3repE0EEENS1_30default_config_static_selectorELNS0_4arch9wavefront6targetE0EEEvSY_
    .private_segment_fixed_size: 0
    .sgpr_count:     0
    .sgpr_spill_count: 0
    .symbol:         _ZN7rocprim17ROCPRIM_400000_NS6detail17trampoline_kernelINS0_13select_configILj256ELj13ELNS0_17block_load_methodE3ELS4_3ELS4_3ELNS0_20block_scan_algorithmE0ELj4294967295EEENS1_25partition_config_selectorILNS1_17partition_subalgoE3EjNS0_10empty_typeEbEEZZNS1_14partition_implILS8_3ELb0ES6_jNS0_17counting_iteratorIjlEEPS9_SE_NS0_5tupleIJPjSE_EEENSF_IJSE_SE_EEES9_SG_JZNS1_25segmented_radix_sort_implINS0_14default_configELb0EPKaPaPKlPlN2at6native12_GLOBAL__N_18offset_tEEE10hipError_tPvRmT1_PNSt15iterator_traitsISY_E10value_typeET2_T3_PNSZ_IS14_E10value_typeET4_jRbjT5_S1A_jjP12ihipStream_tbEUljE_EEESV_SW_SX_S14_S18_S1A_T6_T7_T9_mT8_S1C_bDpT10_ENKUlT_T0_E_clISt17integral_constantIbLb1EES1P_EEDaS1K_S1L_EUlS1K_E_NS1_11comp_targetILNS1_3genE0ELNS1_11target_archE4294967295ELNS1_3gpuE0ELNS1_3repE0EEENS1_30default_config_static_selectorELNS0_4arch9wavefront6targetE0EEEvSY_.kd
    .uniform_work_group_size: 1
    .uses_dynamic_stack: false
    .vgpr_count:     0
    .vgpr_spill_count: 0
    .wavefront_size: 32
    .workgroup_processor_mode: 1
  - .args:
      - .offset:         0
        .size:           152
        .value_kind:     by_value
    .group_segment_fixed_size: 0
    .kernarg_segment_align: 8
    .kernarg_segment_size: 152
    .language:       OpenCL C
    .language_version:
      - 2
      - 0
    .max_flat_workgroup_size: 256
    .name:           _ZN7rocprim17ROCPRIM_400000_NS6detail17trampoline_kernelINS0_13select_configILj256ELj13ELNS0_17block_load_methodE3ELS4_3ELS4_3ELNS0_20block_scan_algorithmE0ELj4294967295EEENS1_25partition_config_selectorILNS1_17partition_subalgoE3EjNS0_10empty_typeEbEEZZNS1_14partition_implILS8_3ELb0ES6_jNS0_17counting_iteratorIjlEEPS9_SE_NS0_5tupleIJPjSE_EEENSF_IJSE_SE_EEES9_SG_JZNS1_25segmented_radix_sort_implINS0_14default_configELb0EPKaPaPKlPlN2at6native12_GLOBAL__N_18offset_tEEE10hipError_tPvRmT1_PNSt15iterator_traitsISY_E10value_typeET2_T3_PNSZ_IS14_E10value_typeET4_jRbjT5_S1A_jjP12ihipStream_tbEUljE_EEESV_SW_SX_S14_S18_S1A_T6_T7_T9_mT8_S1C_bDpT10_ENKUlT_T0_E_clISt17integral_constantIbLb1EES1P_EEDaS1K_S1L_EUlS1K_E_NS1_11comp_targetILNS1_3genE5ELNS1_11target_archE942ELNS1_3gpuE9ELNS1_3repE0EEENS1_30default_config_static_selectorELNS0_4arch9wavefront6targetE0EEEvSY_
    .private_segment_fixed_size: 0
    .sgpr_count:     0
    .sgpr_spill_count: 0
    .symbol:         _ZN7rocprim17ROCPRIM_400000_NS6detail17trampoline_kernelINS0_13select_configILj256ELj13ELNS0_17block_load_methodE3ELS4_3ELS4_3ELNS0_20block_scan_algorithmE0ELj4294967295EEENS1_25partition_config_selectorILNS1_17partition_subalgoE3EjNS0_10empty_typeEbEEZZNS1_14partition_implILS8_3ELb0ES6_jNS0_17counting_iteratorIjlEEPS9_SE_NS0_5tupleIJPjSE_EEENSF_IJSE_SE_EEES9_SG_JZNS1_25segmented_radix_sort_implINS0_14default_configELb0EPKaPaPKlPlN2at6native12_GLOBAL__N_18offset_tEEE10hipError_tPvRmT1_PNSt15iterator_traitsISY_E10value_typeET2_T3_PNSZ_IS14_E10value_typeET4_jRbjT5_S1A_jjP12ihipStream_tbEUljE_EEESV_SW_SX_S14_S18_S1A_T6_T7_T9_mT8_S1C_bDpT10_ENKUlT_T0_E_clISt17integral_constantIbLb1EES1P_EEDaS1K_S1L_EUlS1K_E_NS1_11comp_targetILNS1_3genE5ELNS1_11target_archE942ELNS1_3gpuE9ELNS1_3repE0EEENS1_30default_config_static_selectorELNS0_4arch9wavefront6targetE0EEEvSY_.kd
    .uniform_work_group_size: 1
    .uses_dynamic_stack: false
    .vgpr_count:     0
    .vgpr_spill_count: 0
    .wavefront_size: 32
    .workgroup_processor_mode: 1
  - .args:
      - .offset:         0
        .size:           152
        .value_kind:     by_value
    .group_segment_fixed_size: 0
    .kernarg_segment_align: 8
    .kernarg_segment_size: 152
    .language:       OpenCL C
    .language_version:
      - 2
      - 0
    .max_flat_workgroup_size: 256
    .name:           _ZN7rocprim17ROCPRIM_400000_NS6detail17trampoline_kernelINS0_13select_configILj256ELj13ELNS0_17block_load_methodE3ELS4_3ELS4_3ELNS0_20block_scan_algorithmE0ELj4294967295EEENS1_25partition_config_selectorILNS1_17partition_subalgoE3EjNS0_10empty_typeEbEEZZNS1_14partition_implILS8_3ELb0ES6_jNS0_17counting_iteratorIjlEEPS9_SE_NS0_5tupleIJPjSE_EEENSF_IJSE_SE_EEES9_SG_JZNS1_25segmented_radix_sort_implINS0_14default_configELb0EPKaPaPKlPlN2at6native12_GLOBAL__N_18offset_tEEE10hipError_tPvRmT1_PNSt15iterator_traitsISY_E10value_typeET2_T3_PNSZ_IS14_E10value_typeET4_jRbjT5_S1A_jjP12ihipStream_tbEUljE_EEESV_SW_SX_S14_S18_S1A_T6_T7_T9_mT8_S1C_bDpT10_ENKUlT_T0_E_clISt17integral_constantIbLb1EES1P_EEDaS1K_S1L_EUlS1K_E_NS1_11comp_targetILNS1_3genE4ELNS1_11target_archE910ELNS1_3gpuE8ELNS1_3repE0EEENS1_30default_config_static_selectorELNS0_4arch9wavefront6targetE0EEEvSY_
    .private_segment_fixed_size: 0
    .sgpr_count:     0
    .sgpr_spill_count: 0
    .symbol:         _ZN7rocprim17ROCPRIM_400000_NS6detail17trampoline_kernelINS0_13select_configILj256ELj13ELNS0_17block_load_methodE3ELS4_3ELS4_3ELNS0_20block_scan_algorithmE0ELj4294967295EEENS1_25partition_config_selectorILNS1_17partition_subalgoE3EjNS0_10empty_typeEbEEZZNS1_14partition_implILS8_3ELb0ES6_jNS0_17counting_iteratorIjlEEPS9_SE_NS0_5tupleIJPjSE_EEENSF_IJSE_SE_EEES9_SG_JZNS1_25segmented_radix_sort_implINS0_14default_configELb0EPKaPaPKlPlN2at6native12_GLOBAL__N_18offset_tEEE10hipError_tPvRmT1_PNSt15iterator_traitsISY_E10value_typeET2_T3_PNSZ_IS14_E10value_typeET4_jRbjT5_S1A_jjP12ihipStream_tbEUljE_EEESV_SW_SX_S14_S18_S1A_T6_T7_T9_mT8_S1C_bDpT10_ENKUlT_T0_E_clISt17integral_constantIbLb1EES1P_EEDaS1K_S1L_EUlS1K_E_NS1_11comp_targetILNS1_3genE4ELNS1_11target_archE910ELNS1_3gpuE8ELNS1_3repE0EEENS1_30default_config_static_selectorELNS0_4arch9wavefront6targetE0EEEvSY_.kd
    .uniform_work_group_size: 1
    .uses_dynamic_stack: false
    .vgpr_count:     0
    .vgpr_spill_count: 0
    .wavefront_size: 32
    .workgroup_processor_mode: 1
  - .args:
      - .offset:         0
        .size:           152
        .value_kind:     by_value
    .group_segment_fixed_size: 0
    .kernarg_segment_align: 8
    .kernarg_segment_size: 152
    .language:       OpenCL C
    .language_version:
      - 2
      - 0
    .max_flat_workgroup_size: 256
    .name:           _ZN7rocprim17ROCPRIM_400000_NS6detail17trampoline_kernelINS0_13select_configILj256ELj13ELNS0_17block_load_methodE3ELS4_3ELS4_3ELNS0_20block_scan_algorithmE0ELj4294967295EEENS1_25partition_config_selectorILNS1_17partition_subalgoE3EjNS0_10empty_typeEbEEZZNS1_14partition_implILS8_3ELb0ES6_jNS0_17counting_iteratorIjlEEPS9_SE_NS0_5tupleIJPjSE_EEENSF_IJSE_SE_EEES9_SG_JZNS1_25segmented_radix_sort_implINS0_14default_configELb0EPKaPaPKlPlN2at6native12_GLOBAL__N_18offset_tEEE10hipError_tPvRmT1_PNSt15iterator_traitsISY_E10value_typeET2_T3_PNSZ_IS14_E10value_typeET4_jRbjT5_S1A_jjP12ihipStream_tbEUljE_EEESV_SW_SX_S14_S18_S1A_T6_T7_T9_mT8_S1C_bDpT10_ENKUlT_T0_E_clISt17integral_constantIbLb1EES1P_EEDaS1K_S1L_EUlS1K_E_NS1_11comp_targetILNS1_3genE3ELNS1_11target_archE908ELNS1_3gpuE7ELNS1_3repE0EEENS1_30default_config_static_selectorELNS0_4arch9wavefront6targetE0EEEvSY_
    .private_segment_fixed_size: 0
    .sgpr_count:     0
    .sgpr_spill_count: 0
    .symbol:         _ZN7rocprim17ROCPRIM_400000_NS6detail17trampoline_kernelINS0_13select_configILj256ELj13ELNS0_17block_load_methodE3ELS4_3ELS4_3ELNS0_20block_scan_algorithmE0ELj4294967295EEENS1_25partition_config_selectorILNS1_17partition_subalgoE3EjNS0_10empty_typeEbEEZZNS1_14partition_implILS8_3ELb0ES6_jNS0_17counting_iteratorIjlEEPS9_SE_NS0_5tupleIJPjSE_EEENSF_IJSE_SE_EEES9_SG_JZNS1_25segmented_radix_sort_implINS0_14default_configELb0EPKaPaPKlPlN2at6native12_GLOBAL__N_18offset_tEEE10hipError_tPvRmT1_PNSt15iterator_traitsISY_E10value_typeET2_T3_PNSZ_IS14_E10value_typeET4_jRbjT5_S1A_jjP12ihipStream_tbEUljE_EEESV_SW_SX_S14_S18_S1A_T6_T7_T9_mT8_S1C_bDpT10_ENKUlT_T0_E_clISt17integral_constantIbLb1EES1P_EEDaS1K_S1L_EUlS1K_E_NS1_11comp_targetILNS1_3genE3ELNS1_11target_archE908ELNS1_3gpuE7ELNS1_3repE0EEENS1_30default_config_static_selectorELNS0_4arch9wavefront6targetE0EEEvSY_.kd
    .uniform_work_group_size: 1
    .uses_dynamic_stack: false
    .vgpr_count:     0
    .vgpr_spill_count: 0
    .wavefront_size: 32
    .workgroup_processor_mode: 1
  - .args:
      - .offset:         0
        .size:           152
        .value_kind:     by_value
    .group_segment_fixed_size: 0
    .kernarg_segment_align: 8
    .kernarg_segment_size: 152
    .language:       OpenCL C
    .language_version:
      - 2
      - 0
    .max_flat_workgroup_size: 256
    .name:           _ZN7rocprim17ROCPRIM_400000_NS6detail17trampoline_kernelINS0_13select_configILj256ELj13ELNS0_17block_load_methodE3ELS4_3ELS4_3ELNS0_20block_scan_algorithmE0ELj4294967295EEENS1_25partition_config_selectorILNS1_17partition_subalgoE3EjNS0_10empty_typeEbEEZZNS1_14partition_implILS8_3ELb0ES6_jNS0_17counting_iteratorIjlEEPS9_SE_NS0_5tupleIJPjSE_EEENSF_IJSE_SE_EEES9_SG_JZNS1_25segmented_radix_sort_implINS0_14default_configELb0EPKaPaPKlPlN2at6native12_GLOBAL__N_18offset_tEEE10hipError_tPvRmT1_PNSt15iterator_traitsISY_E10value_typeET2_T3_PNSZ_IS14_E10value_typeET4_jRbjT5_S1A_jjP12ihipStream_tbEUljE_EEESV_SW_SX_S14_S18_S1A_T6_T7_T9_mT8_S1C_bDpT10_ENKUlT_T0_E_clISt17integral_constantIbLb1EES1P_EEDaS1K_S1L_EUlS1K_E_NS1_11comp_targetILNS1_3genE2ELNS1_11target_archE906ELNS1_3gpuE6ELNS1_3repE0EEENS1_30default_config_static_selectorELNS0_4arch9wavefront6targetE0EEEvSY_
    .private_segment_fixed_size: 0
    .sgpr_count:     0
    .sgpr_spill_count: 0
    .symbol:         _ZN7rocprim17ROCPRIM_400000_NS6detail17trampoline_kernelINS0_13select_configILj256ELj13ELNS0_17block_load_methodE3ELS4_3ELS4_3ELNS0_20block_scan_algorithmE0ELj4294967295EEENS1_25partition_config_selectorILNS1_17partition_subalgoE3EjNS0_10empty_typeEbEEZZNS1_14partition_implILS8_3ELb0ES6_jNS0_17counting_iteratorIjlEEPS9_SE_NS0_5tupleIJPjSE_EEENSF_IJSE_SE_EEES9_SG_JZNS1_25segmented_radix_sort_implINS0_14default_configELb0EPKaPaPKlPlN2at6native12_GLOBAL__N_18offset_tEEE10hipError_tPvRmT1_PNSt15iterator_traitsISY_E10value_typeET2_T3_PNSZ_IS14_E10value_typeET4_jRbjT5_S1A_jjP12ihipStream_tbEUljE_EEESV_SW_SX_S14_S18_S1A_T6_T7_T9_mT8_S1C_bDpT10_ENKUlT_T0_E_clISt17integral_constantIbLb1EES1P_EEDaS1K_S1L_EUlS1K_E_NS1_11comp_targetILNS1_3genE2ELNS1_11target_archE906ELNS1_3gpuE6ELNS1_3repE0EEENS1_30default_config_static_selectorELNS0_4arch9wavefront6targetE0EEEvSY_.kd
    .uniform_work_group_size: 1
    .uses_dynamic_stack: false
    .vgpr_count:     0
    .vgpr_spill_count: 0
    .wavefront_size: 32
    .workgroup_processor_mode: 1
  - .args:
      - .offset:         0
        .size:           152
        .value_kind:     by_value
    .group_segment_fixed_size: 0
    .kernarg_segment_align: 8
    .kernarg_segment_size: 152
    .language:       OpenCL C
    .language_version:
      - 2
      - 0
    .max_flat_workgroup_size: 256
    .name:           _ZN7rocprim17ROCPRIM_400000_NS6detail17trampoline_kernelINS0_13select_configILj256ELj13ELNS0_17block_load_methodE3ELS4_3ELS4_3ELNS0_20block_scan_algorithmE0ELj4294967295EEENS1_25partition_config_selectorILNS1_17partition_subalgoE3EjNS0_10empty_typeEbEEZZNS1_14partition_implILS8_3ELb0ES6_jNS0_17counting_iteratorIjlEEPS9_SE_NS0_5tupleIJPjSE_EEENSF_IJSE_SE_EEES9_SG_JZNS1_25segmented_radix_sort_implINS0_14default_configELb0EPKaPaPKlPlN2at6native12_GLOBAL__N_18offset_tEEE10hipError_tPvRmT1_PNSt15iterator_traitsISY_E10value_typeET2_T3_PNSZ_IS14_E10value_typeET4_jRbjT5_S1A_jjP12ihipStream_tbEUljE_EEESV_SW_SX_S14_S18_S1A_T6_T7_T9_mT8_S1C_bDpT10_ENKUlT_T0_E_clISt17integral_constantIbLb1EES1P_EEDaS1K_S1L_EUlS1K_E_NS1_11comp_targetILNS1_3genE10ELNS1_11target_archE1200ELNS1_3gpuE4ELNS1_3repE0EEENS1_30default_config_static_selectorELNS0_4arch9wavefront6targetE0EEEvSY_
    .private_segment_fixed_size: 0
    .sgpr_count:     0
    .sgpr_spill_count: 0
    .symbol:         _ZN7rocprim17ROCPRIM_400000_NS6detail17trampoline_kernelINS0_13select_configILj256ELj13ELNS0_17block_load_methodE3ELS4_3ELS4_3ELNS0_20block_scan_algorithmE0ELj4294967295EEENS1_25partition_config_selectorILNS1_17partition_subalgoE3EjNS0_10empty_typeEbEEZZNS1_14partition_implILS8_3ELb0ES6_jNS0_17counting_iteratorIjlEEPS9_SE_NS0_5tupleIJPjSE_EEENSF_IJSE_SE_EEES9_SG_JZNS1_25segmented_radix_sort_implINS0_14default_configELb0EPKaPaPKlPlN2at6native12_GLOBAL__N_18offset_tEEE10hipError_tPvRmT1_PNSt15iterator_traitsISY_E10value_typeET2_T3_PNSZ_IS14_E10value_typeET4_jRbjT5_S1A_jjP12ihipStream_tbEUljE_EEESV_SW_SX_S14_S18_S1A_T6_T7_T9_mT8_S1C_bDpT10_ENKUlT_T0_E_clISt17integral_constantIbLb1EES1P_EEDaS1K_S1L_EUlS1K_E_NS1_11comp_targetILNS1_3genE10ELNS1_11target_archE1200ELNS1_3gpuE4ELNS1_3repE0EEENS1_30default_config_static_selectorELNS0_4arch9wavefront6targetE0EEEvSY_.kd
    .uniform_work_group_size: 1
    .uses_dynamic_stack: false
    .vgpr_count:     0
    .vgpr_spill_count: 0
    .wavefront_size: 32
    .workgroup_processor_mode: 1
  - .args:
      - .offset:         0
        .size:           152
        .value_kind:     by_value
    .group_segment_fixed_size: 0
    .kernarg_segment_align: 8
    .kernarg_segment_size: 152
    .language:       OpenCL C
    .language_version:
      - 2
      - 0
    .max_flat_workgroup_size: 256
    .name:           _ZN7rocprim17ROCPRIM_400000_NS6detail17trampoline_kernelINS0_13select_configILj256ELj13ELNS0_17block_load_methodE3ELS4_3ELS4_3ELNS0_20block_scan_algorithmE0ELj4294967295EEENS1_25partition_config_selectorILNS1_17partition_subalgoE3EjNS0_10empty_typeEbEEZZNS1_14partition_implILS8_3ELb0ES6_jNS0_17counting_iteratorIjlEEPS9_SE_NS0_5tupleIJPjSE_EEENSF_IJSE_SE_EEES9_SG_JZNS1_25segmented_radix_sort_implINS0_14default_configELb0EPKaPaPKlPlN2at6native12_GLOBAL__N_18offset_tEEE10hipError_tPvRmT1_PNSt15iterator_traitsISY_E10value_typeET2_T3_PNSZ_IS14_E10value_typeET4_jRbjT5_S1A_jjP12ihipStream_tbEUljE_EEESV_SW_SX_S14_S18_S1A_T6_T7_T9_mT8_S1C_bDpT10_ENKUlT_T0_E_clISt17integral_constantIbLb1EES1P_EEDaS1K_S1L_EUlS1K_E_NS1_11comp_targetILNS1_3genE9ELNS1_11target_archE1100ELNS1_3gpuE3ELNS1_3repE0EEENS1_30default_config_static_selectorELNS0_4arch9wavefront6targetE0EEEvSY_
    .private_segment_fixed_size: 0
    .sgpr_count:     0
    .sgpr_spill_count: 0
    .symbol:         _ZN7rocprim17ROCPRIM_400000_NS6detail17trampoline_kernelINS0_13select_configILj256ELj13ELNS0_17block_load_methodE3ELS4_3ELS4_3ELNS0_20block_scan_algorithmE0ELj4294967295EEENS1_25partition_config_selectorILNS1_17partition_subalgoE3EjNS0_10empty_typeEbEEZZNS1_14partition_implILS8_3ELb0ES6_jNS0_17counting_iteratorIjlEEPS9_SE_NS0_5tupleIJPjSE_EEENSF_IJSE_SE_EEES9_SG_JZNS1_25segmented_radix_sort_implINS0_14default_configELb0EPKaPaPKlPlN2at6native12_GLOBAL__N_18offset_tEEE10hipError_tPvRmT1_PNSt15iterator_traitsISY_E10value_typeET2_T3_PNSZ_IS14_E10value_typeET4_jRbjT5_S1A_jjP12ihipStream_tbEUljE_EEESV_SW_SX_S14_S18_S1A_T6_T7_T9_mT8_S1C_bDpT10_ENKUlT_T0_E_clISt17integral_constantIbLb1EES1P_EEDaS1K_S1L_EUlS1K_E_NS1_11comp_targetILNS1_3genE9ELNS1_11target_archE1100ELNS1_3gpuE3ELNS1_3repE0EEENS1_30default_config_static_selectorELNS0_4arch9wavefront6targetE0EEEvSY_.kd
    .uniform_work_group_size: 1
    .uses_dynamic_stack: false
    .vgpr_count:     0
    .vgpr_spill_count: 0
    .wavefront_size: 32
    .workgroup_processor_mode: 1
  - .args:
      - .offset:         0
        .size:           152
        .value_kind:     by_value
    .group_segment_fixed_size: 0
    .kernarg_segment_align: 8
    .kernarg_segment_size: 152
    .language:       OpenCL C
    .language_version:
      - 2
      - 0
    .max_flat_workgroup_size: 256
    .name:           _ZN7rocprim17ROCPRIM_400000_NS6detail17trampoline_kernelINS0_13select_configILj256ELj13ELNS0_17block_load_methodE3ELS4_3ELS4_3ELNS0_20block_scan_algorithmE0ELj4294967295EEENS1_25partition_config_selectorILNS1_17partition_subalgoE3EjNS0_10empty_typeEbEEZZNS1_14partition_implILS8_3ELb0ES6_jNS0_17counting_iteratorIjlEEPS9_SE_NS0_5tupleIJPjSE_EEENSF_IJSE_SE_EEES9_SG_JZNS1_25segmented_radix_sort_implINS0_14default_configELb0EPKaPaPKlPlN2at6native12_GLOBAL__N_18offset_tEEE10hipError_tPvRmT1_PNSt15iterator_traitsISY_E10value_typeET2_T3_PNSZ_IS14_E10value_typeET4_jRbjT5_S1A_jjP12ihipStream_tbEUljE_EEESV_SW_SX_S14_S18_S1A_T6_T7_T9_mT8_S1C_bDpT10_ENKUlT_T0_E_clISt17integral_constantIbLb1EES1P_EEDaS1K_S1L_EUlS1K_E_NS1_11comp_targetILNS1_3genE8ELNS1_11target_archE1030ELNS1_3gpuE2ELNS1_3repE0EEENS1_30default_config_static_selectorELNS0_4arch9wavefront6targetE0EEEvSY_
    .private_segment_fixed_size: 0
    .sgpr_count:     0
    .sgpr_spill_count: 0
    .symbol:         _ZN7rocprim17ROCPRIM_400000_NS6detail17trampoline_kernelINS0_13select_configILj256ELj13ELNS0_17block_load_methodE3ELS4_3ELS4_3ELNS0_20block_scan_algorithmE0ELj4294967295EEENS1_25partition_config_selectorILNS1_17partition_subalgoE3EjNS0_10empty_typeEbEEZZNS1_14partition_implILS8_3ELb0ES6_jNS0_17counting_iteratorIjlEEPS9_SE_NS0_5tupleIJPjSE_EEENSF_IJSE_SE_EEES9_SG_JZNS1_25segmented_radix_sort_implINS0_14default_configELb0EPKaPaPKlPlN2at6native12_GLOBAL__N_18offset_tEEE10hipError_tPvRmT1_PNSt15iterator_traitsISY_E10value_typeET2_T3_PNSZ_IS14_E10value_typeET4_jRbjT5_S1A_jjP12ihipStream_tbEUljE_EEESV_SW_SX_S14_S18_S1A_T6_T7_T9_mT8_S1C_bDpT10_ENKUlT_T0_E_clISt17integral_constantIbLb1EES1P_EEDaS1K_S1L_EUlS1K_E_NS1_11comp_targetILNS1_3genE8ELNS1_11target_archE1030ELNS1_3gpuE2ELNS1_3repE0EEENS1_30default_config_static_selectorELNS0_4arch9wavefront6targetE0EEEvSY_.kd
    .uniform_work_group_size: 1
    .uses_dynamic_stack: false
    .vgpr_count:     0
    .vgpr_spill_count: 0
    .wavefront_size: 32
    .workgroup_processor_mode: 1
  - .args:
      - .offset:         0
        .size:           144
        .value_kind:     by_value
    .group_segment_fixed_size: 0
    .kernarg_segment_align: 8
    .kernarg_segment_size: 144
    .language:       OpenCL C
    .language_version:
      - 2
      - 0
    .max_flat_workgroup_size: 256
    .name:           _ZN7rocprim17ROCPRIM_400000_NS6detail17trampoline_kernelINS0_13select_configILj256ELj13ELNS0_17block_load_methodE3ELS4_3ELS4_3ELNS0_20block_scan_algorithmE0ELj4294967295EEENS1_25partition_config_selectorILNS1_17partition_subalgoE3EjNS0_10empty_typeEbEEZZNS1_14partition_implILS8_3ELb0ES6_jNS0_17counting_iteratorIjlEEPS9_SE_NS0_5tupleIJPjSE_EEENSF_IJSE_SE_EEES9_SG_JZNS1_25segmented_radix_sort_implINS0_14default_configELb0EPKaPaPKlPlN2at6native12_GLOBAL__N_18offset_tEEE10hipError_tPvRmT1_PNSt15iterator_traitsISY_E10value_typeET2_T3_PNSZ_IS14_E10value_typeET4_jRbjT5_S1A_jjP12ihipStream_tbEUljE_EEESV_SW_SX_S14_S18_S1A_T6_T7_T9_mT8_S1C_bDpT10_ENKUlT_T0_E_clISt17integral_constantIbLb1EES1O_IbLb0EEEEDaS1K_S1L_EUlS1K_E_NS1_11comp_targetILNS1_3genE0ELNS1_11target_archE4294967295ELNS1_3gpuE0ELNS1_3repE0EEENS1_30default_config_static_selectorELNS0_4arch9wavefront6targetE0EEEvSY_
    .private_segment_fixed_size: 0
    .sgpr_count:     0
    .sgpr_spill_count: 0
    .symbol:         _ZN7rocprim17ROCPRIM_400000_NS6detail17trampoline_kernelINS0_13select_configILj256ELj13ELNS0_17block_load_methodE3ELS4_3ELS4_3ELNS0_20block_scan_algorithmE0ELj4294967295EEENS1_25partition_config_selectorILNS1_17partition_subalgoE3EjNS0_10empty_typeEbEEZZNS1_14partition_implILS8_3ELb0ES6_jNS0_17counting_iteratorIjlEEPS9_SE_NS0_5tupleIJPjSE_EEENSF_IJSE_SE_EEES9_SG_JZNS1_25segmented_radix_sort_implINS0_14default_configELb0EPKaPaPKlPlN2at6native12_GLOBAL__N_18offset_tEEE10hipError_tPvRmT1_PNSt15iterator_traitsISY_E10value_typeET2_T3_PNSZ_IS14_E10value_typeET4_jRbjT5_S1A_jjP12ihipStream_tbEUljE_EEESV_SW_SX_S14_S18_S1A_T6_T7_T9_mT8_S1C_bDpT10_ENKUlT_T0_E_clISt17integral_constantIbLb1EES1O_IbLb0EEEEDaS1K_S1L_EUlS1K_E_NS1_11comp_targetILNS1_3genE0ELNS1_11target_archE4294967295ELNS1_3gpuE0ELNS1_3repE0EEENS1_30default_config_static_selectorELNS0_4arch9wavefront6targetE0EEEvSY_.kd
    .uniform_work_group_size: 1
    .uses_dynamic_stack: false
    .vgpr_count:     0
    .vgpr_spill_count: 0
    .wavefront_size: 32
    .workgroup_processor_mode: 1
  - .args:
      - .offset:         0
        .size:           144
        .value_kind:     by_value
    .group_segment_fixed_size: 0
    .kernarg_segment_align: 8
    .kernarg_segment_size: 144
    .language:       OpenCL C
    .language_version:
      - 2
      - 0
    .max_flat_workgroup_size: 256
    .name:           _ZN7rocprim17ROCPRIM_400000_NS6detail17trampoline_kernelINS0_13select_configILj256ELj13ELNS0_17block_load_methodE3ELS4_3ELS4_3ELNS0_20block_scan_algorithmE0ELj4294967295EEENS1_25partition_config_selectorILNS1_17partition_subalgoE3EjNS0_10empty_typeEbEEZZNS1_14partition_implILS8_3ELb0ES6_jNS0_17counting_iteratorIjlEEPS9_SE_NS0_5tupleIJPjSE_EEENSF_IJSE_SE_EEES9_SG_JZNS1_25segmented_radix_sort_implINS0_14default_configELb0EPKaPaPKlPlN2at6native12_GLOBAL__N_18offset_tEEE10hipError_tPvRmT1_PNSt15iterator_traitsISY_E10value_typeET2_T3_PNSZ_IS14_E10value_typeET4_jRbjT5_S1A_jjP12ihipStream_tbEUljE_EEESV_SW_SX_S14_S18_S1A_T6_T7_T9_mT8_S1C_bDpT10_ENKUlT_T0_E_clISt17integral_constantIbLb1EES1O_IbLb0EEEEDaS1K_S1L_EUlS1K_E_NS1_11comp_targetILNS1_3genE5ELNS1_11target_archE942ELNS1_3gpuE9ELNS1_3repE0EEENS1_30default_config_static_selectorELNS0_4arch9wavefront6targetE0EEEvSY_
    .private_segment_fixed_size: 0
    .sgpr_count:     0
    .sgpr_spill_count: 0
    .symbol:         _ZN7rocprim17ROCPRIM_400000_NS6detail17trampoline_kernelINS0_13select_configILj256ELj13ELNS0_17block_load_methodE3ELS4_3ELS4_3ELNS0_20block_scan_algorithmE0ELj4294967295EEENS1_25partition_config_selectorILNS1_17partition_subalgoE3EjNS0_10empty_typeEbEEZZNS1_14partition_implILS8_3ELb0ES6_jNS0_17counting_iteratorIjlEEPS9_SE_NS0_5tupleIJPjSE_EEENSF_IJSE_SE_EEES9_SG_JZNS1_25segmented_radix_sort_implINS0_14default_configELb0EPKaPaPKlPlN2at6native12_GLOBAL__N_18offset_tEEE10hipError_tPvRmT1_PNSt15iterator_traitsISY_E10value_typeET2_T3_PNSZ_IS14_E10value_typeET4_jRbjT5_S1A_jjP12ihipStream_tbEUljE_EEESV_SW_SX_S14_S18_S1A_T6_T7_T9_mT8_S1C_bDpT10_ENKUlT_T0_E_clISt17integral_constantIbLb1EES1O_IbLb0EEEEDaS1K_S1L_EUlS1K_E_NS1_11comp_targetILNS1_3genE5ELNS1_11target_archE942ELNS1_3gpuE9ELNS1_3repE0EEENS1_30default_config_static_selectorELNS0_4arch9wavefront6targetE0EEEvSY_.kd
    .uniform_work_group_size: 1
    .uses_dynamic_stack: false
    .vgpr_count:     0
    .vgpr_spill_count: 0
    .wavefront_size: 32
    .workgroup_processor_mode: 1
  - .args:
      - .offset:         0
        .size:           144
        .value_kind:     by_value
    .group_segment_fixed_size: 0
    .kernarg_segment_align: 8
    .kernarg_segment_size: 144
    .language:       OpenCL C
    .language_version:
      - 2
      - 0
    .max_flat_workgroup_size: 256
    .name:           _ZN7rocprim17ROCPRIM_400000_NS6detail17trampoline_kernelINS0_13select_configILj256ELj13ELNS0_17block_load_methodE3ELS4_3ELS4_3ELNS0_20block_scan_algorithmE0ELj4294967295EEENS1_25partition_config_selectorILNS1_17partition_subalgoE3EjNS0_10empty_typeEbEEZZNS1_14partition_implILS8_3ELb0ES6_jNS0_17counting_iteratorIjlEEPS9_SE_NS0_5tupleIJPjSE_EEENSF_IJSE_SE_EEES9_SG_JZNS1_25segmented_radix_sort_implINS0_14default_configELb0EPKaPaPKlPlN2at6native12_GLOBAL__N_18offset_tEEE10hipError_tPvRmT1_PNSt15iterator_traitsISY_E10value_typeET2_T3_PNSZ_IS14_E10value_typeET4_jRbjT5_S1A_jjP12ihipStream_tbEUljE_EEESV_SW_SX_S14_S18_S1A_T6_T7_T9_mT8_S1C_bDpT10_ENKUlT_T0_E_clISt17integral_constantIbLb1EES1O_IbLb0EEEEDaS1K_S1L_EUlS1K_E_NS1_11comp_targetILNS1_3genE4ELNS1_11target_archE910ELNS1_3gpuE8ELNS1_3repE0EEENS1_30default_config_static_selectorELNS0_4arch9wavefront6targetE0EEEvSY_
    .private_segment_fixed_size: 0
    .sgpr_count:     0
    .sgpr_spill_count: 0
    .symbol:         _ZN7rocprim17ROCPRIM_400000_NS6detail17trampoline_kernelINS0_13select_configILj256ELj13ELNS0_17block_load_methodE3ELS4_3ELS4_3ELNS0_20block_scan_algorithmE0ELj4294967295EEENS1_25partition_config_selectorILNS1_17partition_subalgoE3EjNS0_10empty_typeEbEEZZNS1_14partition_implILS8_3ELb0ES6_jNS0_17counting_iteratorIjlEEPS9_SE_NS0_5tupleIJPjSE_EEENSF_IJSE_SE_EEES9_SG_JZNS1_25segmented_radix_sort_implINS0_14default_configELb0EPKaPaPKlPlN2at6native12_GLOBAL__N_18offset_tEEE10hipError_tPvRmT1_PNSt15iterator_traitsISY_E10value_typeET2_T3_PNSZ_IS14_E10value_typeET4_jRbjT5_S1A_jjP12ihipStream_tbEUljE_EEESV_SW_SX_S14_S18_S1A_T6_T7_T9_mT8_S1C_bDpT10_ENKUlT_T0_E_clISt17integral_constantIbLb1EES1O_IbLb0EEEEDaS1K_S1L_EUlS1K_E_NS1_11comp_targetILNS1_3genE4ELNS1_11target_archE910ELNS1_3gpuE8ELNS1_3repE0EEENS1_30default_config_static_selectorELNS0_4arch9wavefront6targetE0EEEvSY_.kd
    .uniform_work_group_size: 1
    .uses_dynamic_stack: false
    .vgpr_count:     0
    .vgpr_spill_count: 0
    .wavefront_size: 32
    .workgroup_processor_mode: 1
  - .args:
      - .offset:         0
        .size:           144
        .value_kind:     by_value
    .group_segment_fixed_size: 0
    .kernarg_segment_align: 8
    .kernarg_segment_size: 144
    .language:       OpenCL C
    .language_version:
      - 2
      - 0
    .max_flat_workgroup_size: 256
    .name:           _ZN7rocprim17ROCPRIM_400000_NS6detail17trampoline_kernelINS0_13select_configILj256ELj13ELNS0_17block_load_methodE3ELS4_3ELS4_3ELNS0_20block_scan_algorithmE0ELj4294967295EEENS1_25partition_config_selectorILNS1_17partition_subalgoE3EjNS0_10empty_typeEbEEZZNS1_14partition_implILS8_3ELb0ES6_jNS0_17counting_iteratorIjlEEPS9_SE_NS0_5tupleIJPjSE_EEENSF_IJSE_SE_EEES9_SG_JZNS1_25segmented_radix_sort_implINS0_14default_configELb0EPKaPaPKlPlN2at6native12_GLOBAL__N_18offset_tEEE10hipError_tPvRmT1_PNSt15iterator_traitsISY_E10value_typeET2_T3_PNSZ_IS14_E10value_typeET4_jRbjT5_S1A_jjP12ihipStream_tbEUljE_EEESV_SW_SX_S14_S18_S1A_T6_T7_T9_mT8_S1C_bDpT10_ENKUlT_T0_E_clISt17integral_constantIbLb1EES1O_IbLb0EEEEDaS1K_S1L_EUlS1K_E_NS1_11comp_targetILNS1_3genE3ELNS1_11target_archE908ELNS1_3gpuE7ELNS1_3repE0EEENS1_30default_config_static_selectorELNS0_4arch9wavefront6targetE0EEEvSY_
    .private_segment_fixed_size: 0
    .sgpr_count:     0
    .sgpr_spill_count: 0
    .symbol:         _ZN7rocprim17ROCPRIM_400000_NS6detail17trampoline_kernelINS0_13select_configILj256ELj13ELNS0_17block_load_methodE3ELS4_3ELS4_3ELNS0_20block_scan_algorithmE0ELj4294967295EEENS1_25partition_config_selectorILNS1_17partition_subalgoE3EjNS0_10empty_typeEbEEZZNS1_14partition_implILS8_3ELb0ES6_jNS0_17counting_iteratorIjlEEPS9_SE_NS0_5tupleIJPjSE_EEENSF_IJSE_SE_EEES9_SG_JZNS1_25segmented_radix_sort_implINS0_14default_configELb0EPKaPaPKlPlN2at6native12_GLOBAL__N_18offset_tEEE10hipError_tPvRmT1_PNSt15iterator_traitsISY_E10value_typeET2_T3_PNSZ_IS14_E10value_typeET4_jRbjT5_S1A_jjP12ihipStream_tbEUljE_EEESV_SW_SX_S14_S18_S1A_T6_T7_T9_mT8_S1C_bDpT10_ENKUlT_T0_E_clISt17integral_constantIbLb1EES1O_IbLb0EEEEDaS1K_S1L_EUlS1K_E_NS1_11comp_targetILNS1_3genE3ELNS1_11target_archE908ELNS1_3gpuE7ELNS1_3repE0EEENS1_30default_config_static_selectorELNS0_4arch9wavefront6targetE0EEEvSY_.kd
    .uniform_work_group_size: 1
    .uses_dynamic_stack: false
    .vgpr_count:     0
    .vgpr_spill_count: 0
    .wavefront_size: 32
    .workgroup_processor_mode: 1
  - .args:
      - .offset:         0
        .size:           144
        .value_kind:     by_value
    .group_segment_fixed_size: 0
    .kernarg_segment_align: 8
    .kernarg_segment_size: 144
    .language:       OpenCL C
    .language_version:
      - 2
      - 0
    .max_flat_workgroup_size: 256
    .name:           _ZN7rocprim17ROCPRIM_400000_NS6detail17trampoline_kernelINS0_13select_configILj256ELj13ELNS0_17block_load_methodE3ELS4_3ELS4_3ELNS0_20block_scan_algorithmE0ELj4294967295EEENS1_25partition_config_selectorILNS1_17partition_subalgoE3EjNS0_10empty_typeEbEEZZNS1_14partition_implILS8_3ELb0ES6_jNS0_17counting_iteratorIjlEEPS9_SE_NS0_5tupleIJPjSE_EEENSF_IJSE_SE_EEES9_SG_JZNS1_25segmented_radix_sort_implINS0_14default_configELb0EPKaPaPKlPlN2at6native12_GLOBAL__N_18offset_tEEE10hipError_tPvRmT1_PNSt15iterator_traitsISY_E10value_typeET2_T3_PNSZ_IS14_E10value_typeET4_jRbjT5_S1A_jjP12ihipStream_tbEUljE_EEESV_SW_SX_S14_S18_S1A_T6_T7_T9_mT8_S1C_bDpT10_ENKUlT_T0_E_clISt17integral_constantIbLb1EES1O_IbLb0EEEEDaS1K_S1L_EUlS1K_E_NS1_11comp_targetILNS1_3genE2ELNS1_11target_archE906ELNS1_3gpuE6ELNS1_3repE0EEENS1_30default_config_static_selectorELNS0_4arch9wavefront6targetE0EEEvSY_
    .private_segment_fixed_size: 0
    .sgpr_count:     0
    .sgpr_spill_count: 0
    .symbol:         _ZN7rocprim17ROCPRIM_400000_NS6detail17trampoline_kernelINS0_13select_configILj256ELj13ELNS0_17block_load_methodE3ELS4_3ELS4_3ELNS0_20block_scan_algorithmE0ELj4294967295EEENS1_25partition_config_selectorILNS1_17partition_subalgoE3EjNS0_10empty_typeEbEEZZNS1_14partition_implILS8_3ELb0ES6_jNS0_17counting_iteratorIjlEEPS9_SE_NS0_5tupleIJPjSE_EEENSF_IJSE_SE_EEES9_SG_JZNS1_25segmented_radix_sort_implINS0_14default_configELb0EPKaPaPKlPlN2at6native12_GLOBAL__N_18offset_tEEE10hipError_tPvRmT1_PNSt15iterator_traitsISY_E10value_typeET2_T3_PNSZ_IS14_E10value_typeET4_jRbjT5_S1A_jjP12ihipStream_tbEUljE_EEESV_SW_SX_S14_S18_S1A_T6_T7_T9_mT8_S1C_bDpT10_ENKUlT_T0_E_clISt17integral_constantIbLb1EES1O_IbLb0EEEEDaS1K_S1L_EUlS1K_E_NS1_11comp_targetILNS1_3genE2ELNS1_11target_archE906ELNS1_3gpuE6ELNS1_3repE0EEENS1_30default_config_static_selectorELNS0_4arch9wavefront6targetE0EEEvSY_.kd
    .uniform_work_group_size: 1
    .uses_dynamic_stack: false
    .vgpr_count:     0
    .vgpr_spill_count: 0
    .wavefront_size: 32
    .workgroup_processor_mode: 1
  - .args:
      - .offset:         0
        .size:           144
        .value_kind:     by_value
    .group_segment_fixed_size: 0
    .kernarg_segment_align: 8
    .kernarg_segment_size: 144
    .language:       OpenCL C
    .language_version:
      - 2
      - 0
    .max_flat_workgroup_size: 256
    .name:           _ZN7rocprim17ROCPRIM_400000_NS6detail17trampoline_kernelINS0_13select_configILj256ELj13ELNS0_17block_load_methodE3ELS4_3ELS4_3ELNS0_20block_scan_algorithmE0ELj4294967295EEENS1_25partition_config_selectorILNS1_17partition_subalgoE3EjNS0_10empty_typeEbEEZZNS1_14partition_implILS8_3ELb0ES6_jNS0_17counting_iteratorIjlEEPS9_SE_NS0_5tupleIJPjSE_EEENSF_IJSE_SE_EEES9_SG_JZNS1_25segmented_radix_sort_implINS0_14default_configELb0EPKaPaPKlPlN2at6native12_GLOBAL__N_18offset_tEEE10hipError_tPvRmT1_PNSt15iterator_traitsISY_E10value_typeET2_T3_PNSZ_IS14_E10value_typeET4_jRbjT5_S1A_jjP12ihipStream_tbEUljE_EEESV_SW_SX_S14_S18_S1A_T6_T7_T9_mT8_S1C_bDpT10_ENKUlT_T0_E_clISt17integral_constantIbLb1EES1O_IbLb0EEEEDaS1K_S1L_EUlS1K_E_NS1_11comp_targetILNS1_3genE10ELNS1_11target_archE1200ELNS1_3gpuE4ELNS1_3repE0EEENS1_30default_config_static_selectorELNS0_4arch9wavefront6targetE0EEEvSY_
    .private_segment_fixed_size: 0
    .sgpr_count:     0
    .sgpr_spill_count: 0
    .symbol:         _ZN7rocprim17ROCPRIM_400000_NS6detail17trampoline_kernelINS0_13select_configILj256ELj13ELNS0_17block_load_methodE3ELS4_3ELS4_3ELNS0_20block_scan_algorithmE0ELj4294967295EEENS1_25partition_config_selectorILNS1_17partition_subalgoE3EjNS0_10empty_typeEbEEZZNS1_14partition_implILS8_3ELb0ES6_jNS0_17counting_iteratorIjlEEPS9_SE_NS0_5tupleIJPjSE_EEENSF_IJSE_SE_EEES9_SG_JZNS1_25segmented_radix_sort_implINS0_14default_configELb0EPKaPaPKlPlN2at6native12_GLOBAL__N_18offset_tEEE10hipError_tPvRmT1_PNSt15iterator_traitsISY_E10value_typeET2_T3_PNSZ_IS14_E10value_typeET4_jRbjT5_S1A_jjP12ihipStream_tbEUljE_EEESV_SW_SX_S14_S18_S1A_T6_T7_T9_mT8_S1C_bDpT10_ENKUlT_T0_E_clISt17integral_constantIbLb1EES1O_IbLb0EEEEDaS1K_S1L_EUlS1K_E_NS1_11comp_targetILNS1_3genE10ELNS1_11target_archE1200ELNS1_3gpuE4ELNS1_3repE0EEENS1_30default_config_static_selectorELNS0_4arch9wavefront6targetE0EEEvSY_.kd
    .uniform_work_group_size: 1
    .uses_dynamic_stack: false
    .vgpr_count:     0
    .vgpr_spill_count: 0
    .wavefront_size: 32
    .workgroup_processor_mode: 1
  - .args:
      - .offset:         0
        .size:           144
        .value_kind:     by_value
    .group_segment_fixed_size: 0
    .kernarg_segment_align: 8
    .kernarg_segment_size: 144
    .language:       OpenCL C
    .language_version:
      - 2
      - 0
    .max_flat_workgroup_size: 256
    .name:           _ZN7rocprim17ROCPRIM_400000_NS6detail17trampoline_kernelINS0_13select_configILj256ELj13ELNS0_17block_load_methodE3ELS4_3ELS4_3ELNS0_20block_scan_algorithmE0ELj4294967295EEENS1_25partition_config_selectorILNS1_17partition_subalgoE3EjNS0_10empty_typeEbEEZZNS1_14partition_implILS8_3ELb0ES6_jNS0_17counting_iteratorIjlEEPS9_SE_NS0_5tupleIJPjSE_EEENSF_IJSE_SE_EEES9_SG_JZNS1_25segmented_radix_sort_implINS0_14default_configELb0EPKaPaPKlPlN2at6native12_GLOBAL__N_18offset_tEEE10hipError_tPvRmT1_PNSt15iterator_traitsISY_E10value_typeET2_T3_PNSZ_IS14_E10value_typeET4_jRbjT5_S1A_jjP12ihipStream_tbEUljE_EEESV_SW_SX_S14_S18_S1A_T6_T7_T9_mT8_S1C_bDpT10_ENKUlT_T0_E_clISt17integral_constantIbLb1EES1O_IbLb0EEEEDaS1K_S1L_EUlS1K_E_NS1_11comp_targetILNS1_3genE9ELNS1_11target_archE1100ELNS1_3gpuE3ELNS1_3repE0EEENS1_30default_config_static_selectorELNS0_4arch9wavefront6targetE0EEEvSY_
    .private_segment_fixed_size: 0
    .sgpr_count:     0
    .sgpr_spill_count: 0
    .symbol:         _ZN7rocprim17ROCPRIM_400000_NS6detail17trampoline_kernelINS0_13select_configILj256ELj13ELNS0_17block_load_methodE3ELS4_3ELS4_3ELNS0_20block_scan_algorithmE0ELj4294967295EEENS1_25partition_config_selectorILNS1_17partition_subalgoE3EjNS0_10empty_typeEbEEZZNS1_14partition_implILS8_3ELb0ES6_jNS0_17counting_iteratorIjlEEPS9_SE_NS0_5tupleIJPjSE_EEENSF_IJSE_SE_EEES9_SG_JZNS1_25segmented_radix_sort_implINS0_14default_configELb0EPKaPaPKlPlN2at6native12_GLOBAL__N_18offset_tEEE10hipError_tPvRmT1_PNSt15iterator_traitsISY_E10value_typeET2_T3_PNSZ_IS14_E10value_typeET4_jRbjT5_S1A_jjP12ihipStream_tbEUljE_EEESV_SW_SX_S14_S18_S1A_T6_T7_T9_mT8_S1C_bDpT10_ENKUlT_T0_E_clISt17integral_constantIbLb1EES1O_IbLb0EEEEDaS1K_S1L_EUlS1K_E_NS1_11comp_targetILNS1_3genE9ELNS1_11target_archE1100ELNS1_3gpuE3ELNS1_3repE0EEENS1_30default_config_static_selectorELNS0_4arch9wavefront6targetE0EEEvSY_.kd
    .uniform_work_group_size: 1
    .uses_dynamic_stack: false
    .vgpr_count:     0
    .vgpr_spill_count: 0
    .wavefront_size: 32
    .workgroup_processor_mode: 1
  - .args:
      - .offset:         0
        .size:           144
        .value_kind:     by_value
    .group_segment_fixed_size: 0
    .kernarg_segment_align: 8
    .kernarg_segment_size: 144
    .language:       OpenCL C
    .language_version:
      - 2
      - 0
    .max_flat_workgroup_size: 256
    .name:           _ZN7rocprim17ROCPRIM_400000_NS6detail17trampoline_kernelINS0_13select_configILj256ELj13ELNS0_17block_load_methodE3ELS4_3ELS4_3ELNS0_20block_scan_algorithmE0ELj4294967295EEENS1_25partition_config_selectorILNS1_17partition_subalgoE3EjNS0_10empty_typeEbEEZZNS1_14partition_implILS8_3ELb0ES6_jNS0_17counting_iteratorIjlEEPS9_SE_NS0_5tupleIJPjSE_EEENSF_IJSE_SE_EEES9_SG_JZNS1_25segmented_radix_sort_implINS0_14default_configELb0EPKaPaPKlPlN2at6native12_GLOBAL__N_18offset_tEEE10hipError_tPvRmT1_PNSt15iterator_traitsISY_E10value_typeET2_T3_PNSZ_IS14_E10value_typeET4_jRbjT5_S1A_jjP12ihipStream_tbEUljE_EEESV_SW_SX_S14_S18_S1A_T6_T7_T9_mT8_S1C_bDpT10_ENKUlT_T0_E_clISt17integral_constantIbLb1EES1O_IbLb0EEEEDaS1K_S1L_EUlS1K_E_NS1_11comp_targetILNS1_3genE8ELNS1_11target_archE1030ELNS1_3gpuE2ELNS1_3repE0EEENS1_30default_config_static_selectorELNS0_4arch9wavefront6targetE0EEEvSY_
    .private_segment_fixed_size: 0
    .sgpr_count:     0
    .sgpr_spill_count: 0
    .symbol:         _ZN7rocprim17ROCPRIM_400000_NS6detail17trampoline_kernelINS0_13select_configILj256ELj13ELNS0_17block_load_methodE3ELS4_3ELS4_3ELNS0_20block_scan_algorithmE0ELj4294967295EEENS1_25partition_config_selectorILNS1_17partition_subalgoE3EjNS0_10empty_typeEbEEZZNS1_14partition_implILS8_3ELb0ES6_jNS0_17counting_iteratorIjlEEPS9_SE_NS0_5tupleIJPjSE_EEENSF_IJSE_SE_EEES9_SG_JZNS1_25segmented_radix_sort_implINS0_14default_configELb0EPKaPaPKlPlN2at6native12_GLOBAL__N_18offset_tEEE10hipError_tPvRmT1_PNSt15iterator_traitsISY_E10value_typeET2_T3_PNSZ_IS14_E10value_typeET4_jRbjT5_S1A_jjP12ihipStream_tbEUljE_EEESV_SW_SX_S14_S18_S1A_T6_T7_T9_mT8_S1C_bDpT10_ENKUlT_T0_E_clISt17integral_constantIbLb1EES1O_IbLb0EEEEDaS1K_S1L_EUlS1K_E_NS1_11comp_targetILNS1_3genE8ELNS1_11target_archE1030ELNS1_3gpuE2ELNS1_3repE0EEENS1_30default_config_static_selectorELNS0_4arch9wavefront6targetE0EEEvSY_.kd
    .uniform_work_group_size: 1
    .uses_dynamic_stack: false
    .vgpr_count:     0
    .vgpr_spill_count: 0
    .wavefront_size: 32
    .workgroup_processor_mode: 1
  - .args:
      - .offset:         0
        .size:           152
        .value_kind:     by_value
    .group_segment_fixed_size: 0
    .kernarg_segment_align: 8
    .kernarg_segment_size: 152
    .language:       OpenCL C
    .language_version:
      - 2
      - 0
    .max_flat_workgroup_size: 256
    .name:           _ZN7rocprim17ROCPRIM_400000_NS6detail17trampoline_kernelINS0_13select_configILj256ELj13ELNS0_17block_load_methodE3ELS4_3ELS4_3ELNS0_20block_scan_algorithmE0ELj4294967295EEENS1_25partition_config_selectorILNS1_17partition_subalgoE3EjNS0_10empty_typeEbEEZZNS1_14partition_implILS8_3ELb0ES6_jNS0_17counting_iteratorIjlEEPS9_SE_NS0_5tupleIJPjSE_EEENSF_IJSE_SE_EEES9_SG_JZNS1_25segmented_radix_sort_implINS0_14default_configELb0EPKaPaPKlPlN2at6native12_GLOBAL__N_18offset_tEEE10hipError_tPvRmT1_PNSt15iterator_traitsISY_E10value_typeET2_T3_PNSZ_IS14_E10value_typeET4_jRbjT5_S1A_jjP12ihipStream_tbEUljE_EEESV_SW_SX_S14_S18_S1A_T6_T7_T9_mT8_S1C_bDpT10_ENKUlT_T0_E_clISt17integral_constantIbLb0EES1O_IbLb1EEEEDaS1K_S1L_EUlS1K_E_NS1_11comp_targetILNS1_3genE0ELNS1_11target_archE4294967295ELNS1_3gpuE0ELNS1_3repE0EEENS1_30default_config_static_selectorELNS0_4arch9wavefront6targetE0EEEvSY_
    .private_segment_fixed_size: 0
    .sgpr_count:     0
    .sgpr_spill_count: 0
    .symbol:         _ZN7rocprim17ROCPRIM_400000_NS6detail17trampoline_kernelINS0_13select_configILj256ELj13ELNS0_17block_load_methodE3ELS4_3ELS4_3ELNS0_20block_scan_algorithmE0ELj4294967295EEENS1_25partition_config_selectorILNS1_17partition_subalgoE3EjNS0_10empty_typeEbEEZZNS1_14partition_implILS8_3ELb0ES6_jNS0_17counting_iteratorIjlEEPS9_SE_NS0_5tupleIJPjSE_EEENSF_IJSE_SE_EEES9_SG_JZNS1_25segmented_radix_sort_implINS0_14default_configELb0EPKaPaPKlPlN2at6native12_GLOBAL__N_18offset_tEEE10hipError_tPvRmT1_PNSt15iterator_traitsISY_E10value_typeET2_T3_PNSZ_IS14_E10value_typeET4_jRbjT5_S1A_jjP12ihipStream_tbEUljE_EEESV_SW_SX_S14_S18_S1A_T6_T7_T9_mT8_S1C_bDpT10_ENKUlT_T0_E_clISt17integral_constantIbLb0EES1O_IbLb1EEEEDaS1K_S1L_EUlS1K_E_NS1_11comp_targetILNS1_3genE0ELNS1_11target_archE4294967295ELNS1_3gpuE0ELNS1_3repE0EEENS1_30default_config_static_selectorELNS0_4arch9wavefront6targetE0EEEvSY_.kd
    .uniform_work_group_size: 1
    .uses_dynamic_stack: false
    .vgpr_count:     0
    .vgpr_spill_count: 0
    .wavefront_size: 32
    .workgroup_processor_mode: 1
  - .args:
      - .offset:         0
        .size:           152
        .value_kind:     by_value
    .group_segment_fixed_size: 0
    .kernarg_segment_align: 8
    .kernarg_segment_size: 152
    .language:       OpenCL C
    .language_version:
      - 2
      - 0
    .max_flat_workgroup_size: 256
    .name:           _ZN7rocprim17ROCPRIM_400000_NS6detail17trampoline_kernelINS0_13select_configILj256ELj13ELNS0_17block_load_methodE3ELS4_3ELS4_3ELNS0_20block_scan_algorithmE0ELj4294967295EEENS1_25partition_config_selectorILNS1_17partition_subalgoE3EjNS0_10empty_typeEbEEZZNS1_14partition_implILS8_3ELb0ES6_jNS0_17counting_iteratorIjlEEPS9_SE_NS0_5tupleIJPjSE_EEENSF_IJSE_SE_EEES9_SG_JZNS1_25segmented_radix_sort_implINS0_14default_configELb0EPKaPaPKlPlN2at6native12_GLOBAL__N_18offset_tEEE10hipError_tPvRmT1_PNSt15iterator_traitsISY_E10value_typeET2_T3_PNSZ_IS14_E10value_typeET4_jRbjT5_S1A_jjP12ihipStream_tbEUljE_EEESV_SW_SX_S14_S18_S1A_T6_T7_T9_mT8_S1C_bDpT10_ENKUlT_T0_E_clISt17integral_constantIbLb0EES1O_IbLb1EEEEDaS1K_S1L_EUlS1K_E_NS1_11comp_targetILNS1_3genE5ELNS1_11target_archE942ELNS1_3gpuE9ELNS1_3repE0EEENS1_30default_config_static_selectorELNS0_4arch9wavefront6targetE0EEEvSY_
    .private_segment_fixed_size: 0
    .sgpr_count:     0
    .sgpr_spill_count: 0
    .symbol:         _ZN7rocprim17ROCPRIM_400000_NS6detail17trampoline_kernelINS0_13select_configILj256ELj13ELNS0_17block_load_methodE3ELS4_3ELS4_3ELNS0_20block_scan_algorithmE0ELj4294967295EEENS1_25partition_config_selectorILNS1_17partition_subalgoE3EjNS0_10empty_typeEbEEZZNS1_14partition_implILS8_3ELb0ES6_jNS0_17counting_iteratorIjlEEPS9_SE_NS0_5tupleIJPjSE_EEENSF_IJSE_SE_EEES9_SG_JZNS1_25segmented_radix_sort_implINS0_14default_configELb0EPKaPaPKlPlN2at6native12_GLOBAL__N_18offset_tEEE10hipError_tPvRmT1_PNSt15iterator_traitsISY_E10value_typeET2_T3_PNSZ_IS14_E10value_typeET4_jRbjT5_S1A_jjP12ihipStream_tbEUljE_EEESV_SW_SX_S14_S18_S1A_T6_T7_T9_mT8_S1C_bDpT10_ENKUlT_T0_E_clISt17integral_constantIbLb0EES1O_IbLb1EEEEDaS1K_S1L_EUlS1K_E_NS1_11comp_targetILNS1_3genE5ELNS1_11target_archE942ELNS1_3gpuE9ELNS1_3repE0EEENS1_30default_config_static_selectorELNS0_4arch9wavefront6targetE0EEEvSY_.kd
    .uniform_work_group_size: 1
    .uses_dynamic_stack: false
    .vgpr_count:     0
    .vgpr_spill_count: 0
    .wavefront_size: 32
    .workgroup_processor_mode: 1
  - .args:
      - .offset:         0
        .size:           152
        .value_kind:     by_value
    .group_segment_fixed_size: 0
    .kernarg_segment_align: 8
    .kernarg_segment_size: 152
    .language:       OpenCL C
    .language_version:
      - 2
      - 0
    .max_flat_workgroup_size: 256
    .name:           _ZN7rocprim17ROCPRIM_400000_NS6detail17trampoline_kernelINS0_13select_configILj256ELj13ELNS0_17block_load_methodE3ELS4_3ELS4_3ELNS0_20block_scan_algorithmE0ELj4294967295EEENS1_25partition_config_selectorILNS1_17partition_subalgoE3EjNS0_10empty_typeEbEEZZNS1_14partition_implILS8_3ELb0ES6_jNS0_17counting_iteratorIjlEEPS9_SE_NS0_5tupleIJPjSE_EEENSF_IJSE_SE_EEES9_SG_JZNS1_25segmented_radix_sort_implINS0_14default_configELb0EPKaPaPKlPlN2at6native12_GLOBAL__N_18offset_tEEE10hipError_tPvRmT1_PNSt15iterator_traitsISY_E10value_typeET2_T3_PNSZ_IS14_E10value_typeET4_jRbjT5_S1A_jjP12ihipStream_tbEUljE_EEESV_SW_SX_S14_S18_S1A_T6_T7_T9_mT8_S1C_bDpT10_ENKUlT_T0_E_clISt17integral_constantIbLb0EES1O_IbLb1EEEEDaS1K_S1L_EUlS1K_E_NS1_11comp_targetILNS1_3genE4ELNS1_11target_archE910ELNS1_3gpuE8ELNS1_3repE0EEENS1_30default_config_static_selectorELNS0_4arch9wavefront6targetE0EEEvSY_
    .private_segment_fixed_size: 0
    .sgpr_count:     0
    .sgpr_spill_count: 0
    .symbol:         _ZN7rocprim17ROCPRIM_400000_NS6detail17trampoline_kernelINS0_13select_configILj256ELj13ELNS0_17block_load_methodE3ELS4_3ELS4_3ELNS0_20block_scan_algorithmE0ELj4294967295EEENS1_25partition_config_selectorILNS1_17partition_subalgoE3EjNS0_10empty_typeEbEEZZNS1_14partition_implILS8_3ELb0ES6_jNS0_17counting_iteratorIjlEEPS9_SE_NS0_5tupleIJPjSE_EEENSF_IJSE_SE_EEES9_SG_JZNS1_25segmented_radix_sort_implINS0_14default_configELb0EPKaPaPKlPlN2at6native12_GLOBAL__N_18offset_tEEE10hipError_tPvRmT1_PNSt15iterator_traitsISY_E10value_typeET2_T3_PNSZ_IS14_E10value_typeET4_jRbjT5_S1A_jjP12ihipStream_tbEUljE_EEESV_SW_SX_S14_S18_S1A_T6_T7_T9_mT8_S1C_bDpT10_ENKUlT_T0_E_clISt17integral_constantIbLb0EES1O_IbLb1EEEEDaS1K_S1L_EUlS1K_E_NS1_11comp_targetILNS1_3genE4ELNS1_11target_archE910ELNS1_3gpuE8ELNS1_3repE0EEENS1_30default_config_static_selectorELNS0_4arch9wavefront6targetE0EEEvSY_.kd
    .uniform_work_group_size: 1
    .uses_dynamic_stack: false
    .vgpr_count:     0
    .vgpr_spill_count: 0
    .wavefront_size: 32
    .workgroup_processor_mode: 1
  - .args:
      - .offset:         0
        .size:           152
        .value_kind:     by_value
    .group_segment_fixed_size: 0
    .kernarg_segment_align: 8
    .kernarg_segment_size: 152
    .language:       OpenCL C
    .language_version:
      - 2
      - 0
    .max_flat_workgroup_size: 256
    .name:           _ZN7rocprim17ROCPRIM_400000_NS6detail17trampoline_kernelINS0_13select_configILj256ELj13ELNS0_17block_load_methodE3ELS4_3ELS4_3ELNS0_20block_scan_algorithmE0ELj4294967295EEENS1_25partition_config_selectorILNS1_17partition_subalgoE3EjNS0_10empty_typeEbEEZZNS1_14partition_implILS8_3ELb0ES6_jNS0_17counting_iteratorIjlEEPS9_SE_NS0_5tupleIJPjSE_EEENSF_IJSE_SE_EEES9_SG_JZNS1_25segmented_radix_sort_implINS0_14default_configELb0EPKaPaPKlPlN2at6native12_GLOBAL__N_18offset_tEEE10hipError_tPvRmT1_PNSt15iterator_traitsISY_E10value_typeET2_T3_PNSZ_IS14_E10value_typeET4_jRbjT5_S1A_jjP12ihipStream_tbEUljE_EEESV_SW_SX_S14_S18_S1A_T6_T7_T9_mT8_S1C_bDpT10_ENKUlT_T0_E_clISt17integral_constantIbLb0EES1O_IbLb1EEEEDaS1K_S1L_EUlS1K_E_NS1_11comp_targetILNS1_3genE3ELNS1_11target_archE908ELNS1_3gpuE7ELNS1_3repE0EEENS1_30default_config_static_selectorELNS0_4arch9wavefront6targetE0EEEvSY_
    .private_segment_fixed_size: 0
    .sgpr_count:     0
    .sgpr_spill_count: 0
    .symbol:         _ZN7rocprim17ROCPRIM_400000_NS6detail17trampoline_kernelINS0_13select_configILj256ELj13ELNS0_17block_load_methodE3ELS4_3ELS4_3ELNS0_20block_scan_algorithmE0ELj4294967295EEENS1_25partition_config_selectorILNS1_17partition_subalgoE3EjNS0_10empty_typeEbEEZZNS1_14partition_implILS8_3ELb0ES6_jNS0_17counting_iteratorIjlEEPS9_SE_NS0_5tupleIJPjSE_EEENSF_IJSE_SE_EEES9_SG_JZNS1_25segmented_radix_sort_implINS0_14default_configELb0EPKaPaPKlPlN2at6native12_GLOBAL__N_18offset_tEEE10hipError_tPvRmT1_PNSt15iterator_traitsISY_E10value_typeET2_T3_PNSZ_IS14_E10value_typeET4_jRbjT5_S1A_jjP12ihipStream_tbEUljE_EEESV_SW_SX_S14_S18_S1A_T6_T7_T9_mT8_S1C_bDpT10_ENKUlT_T0_E_clISt17integral_constantIbLb0EES1O_IbLb1EEEEDaS1K_S1L_EUlS1K_E_NS1_11comp_targetILNS1_3genE3ELNS1_11target_archE908ELNS1_3gpuE7ELNS1_3repE0EEENS1_30default_config_static_selectorELNS0_4arch9wavefront6targetE0EEEvSY_.kd
    .uniform_work_group_size: 1
    .uses_dynamic_stack: false
    .vgpr_count:     0
    .vgpr_spill_count: 0
    .wavefront_size: 32
    .workgroup_processor_mode: 1
  - .args:
      - .offset:         0
        .size:           152
        .value_kind:     by_value
    .group_segment_fixed_size: 0
    .kernarg_segment_align: 8
    .kernarg_segment_size: 152
    .language:       OpenCL C
    .language_version:
      - 2
      - 0
    .max_flat_workgroup_size: 256
    .name:           _ZN7rocprim17ROCPRIM_400000_NS6detail17trampoline_kernelINS0_13select_configILj256ELj13ELNS0_17block_load_methodE3ELS4_3ELS4_3ELNS0_20block_scan_algorithmE0ELj4294967295EEENS1_25partition_config_selectorILNS1_17partition_subalgoE3EjNS0_10empty_typeEbEEZZNS1_14partition_implILS8_3ELb0ES6_jNS0_17counting_iteratorIjlEEPS9_SE_NS0_5tupleIJPjSE_EEENSF_IJSE_SE_EEES9_SG_JZNS1_25segmented_radix_sort_implINS0_14default_configELb0EPKaPaPKlPlN2at6native12_GLOBAL__N_18offset_tEEE10hipError_tPvRmT1_PNSt15iterator_traitsISY_E10value_typeET2_T3_PNSZ_IS14_E10value_typeET4_jRbjT5_S1A_jjP12ihipStream_tbEUljE_EEESV_SW_SX_S14_S18_S1A_T6_T7_T9_mT8_S1C_bDpT10_ENKUlT_T0_E_clISt17integral_constantIbLb0EES1O_IbLb1EEEEDaS1K_S1L_EUlS1K_E_NS1_11comp_targetILNS1_3genE2ELNS1_11target_archE906ELNS1_3gpuE6ELNS1_3repE0EEENS1_30default_config_static_selectorELNS0_4arch9wavefront6targetE0EEEvSY_
    .private_segment_fixed_size: 0
    .sgpr_count:     0
    .sgpr_spill_count: 0
    .symbol:         _ZN7rocprim17ROCPRIM_400000_NS6detail17trampoline_kernelINS0_13select_configILj256ELj13ELNS0_17block_load_methodE3ELS4_3ELS4_3ELNS0_20block_scan_algorithmE0ELj4294967295EEENS1_25partition_config_selectorILNS1_17partition_subalgoE3EjNS0_10empty_typeEbEEZZNS1_14partition_implILS8_3ELb0ES6_jNS0_17counting_iteratorIjlEEPS9_SE_NS0_5tupleIJPjSE_EEENSF_IJSE_SE_EEES9_SG_JZNS1_25segmented_radix_sort_implINS0_14default_configELb0EPKaPaPKlPlN2at6native12_GLOBAL__N_18offset_tEEE10hipError_tPvRmT1_PNSt15iterator_traitsISY_E10value_typeET2_T3_PNSZ_IS14_E10value_typeET4_jRbjT5_S1A_jjP12ihipStream_tbEUljE_EEESV_SW_SX_S14_S18_S1A_T6_T7_T9_mT8_S1C_bDpT10_ENKUlT_T0_E_clISt17integral_constantIbLb0EES1O_IbLb1EEEEDaS1K_S1L_EUlS1K_E_NS1_11comp_targetILNS1_3genE2ELNS1_11target_archE906ELNS1_3gpuE6ELNS1_3repE0EEENS1_30default_config_static_selectorELNS0_4arch9wavefront6targetE0EEEvSY_.kd
    .uniform_work_group_size: 1
    .uses_dynamic_stack: false
    .vgpr_count:     0
    .vgpr_spill_count: 0
    .wavefront_size: 32
    .workgroup_processor_mode: 1
  - .args:
      - .offset:         0
        .size:           152
        .value_kind:     by_value
    .group_segment_fixed_size: 0
    .kernarg_segment_align: 8
    .kernarg_segment_size: 152
    .language:       OpenCL C
    .language_version:
      - 2
      - 0
    .max_flat_workgroup_size: 256
    .name:           _ZN7rocprim17ROCPRIM_400000_NS6detail17trampoline_kernelINS0_13select_configILj256ELj13ELNS0_17block_load_methodE3ELS4_3ELS4_3ELNS0_20block_scan_algorithmE0ELj4294967295EEENS1_25partition_config_selectorILNS1_17partition_subalgoE3EjNS0_10empty_typeEbEEZZNS1_14partition_implILS8_3ELb0ES6_jNS0_17counting_iteratorIjlEEPS9_SE_NS0_5tupleIJPjSE_EEENSF_IJSE_SE_EEES9_SG_JZNS1_25segmented_radix_sort_implINS0_14default_configELb0EPKaPaPKlPlN2at6native12_GLOBAL__N_18offset_tEEE10hipError_tPvRmT1_PNSt15iterator_traitsISY_E10value_typeET2_T3_PNSZ_IS14_E10value_typeET4_jRbjT5_S1A_jjP12ihipStream_tbEUljE_EEESV_SW_SX_S14_S18_S1A_T6_T7_T9_mT8_S1C_bDpT10_ENKUlT_T0_E_clISt17integral_constantIbLb0EES1O_IbLb1EEEEDaS1K_S1L_EUlS1K_E_NS1_11comp_targetILNS1_3genE10ELNS1_11target_archE1200ELNS1_3gpuE4ELNS1_3repE0EEENS1_30default_config_static_selectorELNS0_4arch9wavefront6targetE0EEEvSY_
    .private_segment_fixed_size: 0
    .sgpr_count:     0
    .sgpr_spill_count: 0
    .symbol:         _ZN7rocprim17ROCPRIM_400000_NS6detail17trampoline_kernelINS0_13select_configILj256ELj13ELNS0_17block_load_methodE3ELS4_3ELS4_3ELNS0_20block_scan_algorithmE0ELj4294967295EEENS1_25partition_config_selectorILNS1_17partition_subalgoE3EjNS0_10empty_typeEbEEZZNS1_14partition_implILS8_3ELb0ES6_jNS0_17counting_iteratorIjlEEPS9_SE_NS0_5tupleIJPjSE_EEENSF_IJSE_SE_EEES9_SG_JZNS1_25segmented_radix_sort_implINS0_14default_configELb0EPKaPaPKlPlN2at6native12_GLOBAL__N_18offset_tEEE10hipError_tPvRmT1_PNSt15iterator_traitsISY_E10value_typeET2_T3_PNSZ_IS14_E10value_typeET4_jRbjT5_S1A_jjP12ihipStream_tbEUljE_EEESV_SW_SX_S14_S18_S1A_T6_T7_T9_mT8_S1C_bDpT10_ENKUlT_T0_E_clISt17integral_constantIbLb0EES1O_IbLb1EEEEDaS1K_S1L_EUlS1K_E_NS1_11comp_targetILNS1_3genE10ELNS1_11target_archE1200ELNS1_3gpuE4ELNS1_3repE0EEENS1_30default_config_static_selectorELNS0_4arch9wavefront6targetE0EEEvSY_.kd
    .uniform_work_group_size: 1
    .uses_dynamic_stack: false
    .vgpr_count:     0
    .vgpr_spill_count: 0
    .wavefront_size: 32
    .workgroup_processor_mode: 1
  - .args:
      - .offset:         0
        .size:           152
        .value_kind:     by_value
    .group_segment_fixed_size: 0
    .kernarg_segment_align: 8
    .kernarg_segment_size: 152
    .language:       OpenCL C
    .language_version:
      - 2
      - 0
    .max_flat_workgroup_size: 256
    .name:           _ZN7rocprim17ROCPRIM_400000_NS6detail17trampoline_kernelINS0_13select_configILj256ELj13ELNS0_17block_load_methodE3ELS4_3ELS4_3ELNS0_20block_scan_algorithmE0ELj4294967295EEENS1_25partition_config_selectorILNS1_17partition_subalgoE3EjNS0_10empty_typeEbEEZZNS1_14partition_implILS8_3ELb0ES6_jNS0_17counting_iteratorIjlEEPS9_SE_NS0_5tupleIJPjSE_EEENSF_IJSE_SE_EEES9_SG_JZNS1_25segmented_radix_sort_implINS0_14default_configELb0EPKaPaPKlPlN2at6native12_GLOBAL__N_18offset_tEEE10hipError_tPvRmT1_PNSt15iterator_traitsISY_E10value_typeET2_T3_PNSZ_IS14_E10value_typeET4_jRbjT5_S1A_jjP12ihipStream_tbEUljE_EEESV_SW_SX_S14_S18_S1A_T6_T7_T9_mT8_S1C_bDpT10_ENKUlT_T0_E_clISt17integral_constantIbLb0EES1O_IbLb1EEEEDaS1K_S1L_EUlS1K_E_NS1_11comp_targetILNS1_3genE9ELNS1_11target_archE1100ELNS1_3gpuE3ELNS1_3repE0EEENS1_30default_config_static_selectorELNS0_4arch9wavefront6targetE0EEEvSY_
    .private_segment_fixed_size: 0
    .sgpr_count:     0
    .sgpr_spill_count: 0
    .symbol:         _ZN7rocprim17ROCPRIM_400000_NS6detail17trampoline_kernelINS0_13select_configILj256ELj13ELNS0_17block_load_methodE3ELS4_3ELS4_3ELNS0_20block_scan_algorithmE0ELj4294967295EEENS1_25partition_config_selectorILNS1_17partition_subalgoE3EjNS0_10empty_typeEbEEZZNS1_14partition_implILS8_3ELb0ES6_jNS0_17counting_iteratorIjlEEPS9_SE_NS0_5tupleIJPjSE_EEENSF_IJSE_SE_EEES9_SG_JZNS1_25segmented_radix_sort_implINS0_14default_configELb0EPKaPaPKlPlN2at6native12_GLOBAL__N_18offset_tEEE10hipError_tPvRmT1_PNSt15iterator_traitsISY_E10value_typeET2_T3_PNSZ_IS14_E10value_typeET4_jRbjT5_S1A_jjP12ihipStream_tbEUljE_EEESV_SW_SX_S14_S18_S1A_T6_T7_T9_mT8_S1C_bDpT10_ENKUlT_T0_E_clISt17integral_constantIbLb0EES1O_IbLb1EEEEDaS1K_S1L_EUlS1K_E_NS1_11comp_targetILNS1_3genE9ELNS1_11target_archE1100ELNS1_3gpuE3ELNS1_3repE0EEENS1_30default_config_static_selectorELNS0_4arch9wavefront6targetE0EEEvSY_.kd
    .uniform_work_group_size: 1
    .uses_dynamic_stack: false
    .vgpr_count:     0
    .vgpr_spill_count: 0
    .wavefront_size: 32
    .workgroup_processor_mode: 1
  - .args:
      - .offset:         0
        .size:           152
        .value_kind:     by_value
    .group_segment_fixed_size: 13320
    .kernarg_segment_align: 8
    .kernarg_segment_size: 152
    .language:       OpenCL C
    .language_version:
      - 2
      - 0
    .max_flat_workgroup_size: 256
    .name:           _ZN7rocprim17ROCPRIM_400000_NS6detail17trampoline_kernelINS0_13select_configILj256ELj13ELNS0_17block_load_methodE3ELS4_3ELS4_3ELNS0_20block_scan_algorithmE0ELj4294967295EEENS1_25partition_config_selectorILNS1_17partition_subalgoE3EjNS0_10empty_typeEbEEZZNS1_14partition_implILS8_3ELb0ES6_jNS0_17counting_iteratorIjlEEPS9_SE_NS0_5tupleIJPjSE_EEENSF_IJSE_SE_EEES9_SG_JZNS1_25segmented_radix_sort_implINS0_14default_configELb0EPKaPaPKlPlN2at6native12_GLOBAL__N_18offset_tEEE10hipError_tPvRmT1_PNSt15iterator_traitsISY_E10value_typeET2_T3_PNSZ_IS14_E10value_typeET4_jRbjT5_S1A_jjP12ihipStream_tbEUljE_EEESV_SW_SX_S14_S18_S1A_T6_T7_T9_mT8_S1C_bDpT10_ENKUlT_T0_E_clISt17integral_constantIbLb0EES1O_IbLb1EEEEDaS1K_S1L_EUlS1K_E_NS1_11comp_targetILNS1_3genE8ELNS1_11target_archE1030ELNS1_3gpuE2ELNS1_3repE0EEENS1_30default_config_static_selectorELNS0_4arch9wavefront6targetE0EEEvSY_
    .private_segment_fixed_size: 0
    .sgpr_count:     28
    .sgpr_spill_count: 0
    .symbol:         _ZN7rocprim17ROCPRIM_400000_NS6detail17trampoline_kernelINS0_13select_configILj256ELj13ELNS0_17block_load_methodE3ELS4_3ELS4_3ELNS0_20block_scan_algorithmE0ELj4294967295EEENS1_25partition_config_selectorILNS1_17partition_subalgoE3EjNS0_10empty_typeEbEEZZNS1_14partition_implILS8_3ELb0ES6_jNS0_17counting_iteratorIjlEEPS9_SE_NS0_5tupleIJPjSE_EEENSF_IJSE_SE_EEES9_SG_JZNS1_25segmented_radix_sort_implINS0_14default_configELb0EPKaPaPKlPlN2at6native12_GLOBAL__N_18offset_tEEE10hipError_tPvRmT1_PNSt15iterator_traitsISY_E10value_typeET2_T3_PNSZ_IS14_E10value_typeET4_jRbjT5_S1A_jjP12ihipStream_tbEUljE_EEESV_SW_SX_S14_S18_S1A_T6_T7_T9_mT8_S1C_bDpT10_ENKUlT_T0_E_clISt17integral_constantIbLb0EES1O_IbLb1EEEEDaS1K_S1L_EUlS1K_E_NS1_11comp_targetILNS1_3genE8ELNS1_11target_archE1030ELNS1_3gpuE2ELNS1_3repE0EEENS1_30default_config_static_selectorELNS0_4arch9wavefront6targetE0EEEvSY_.kd
    .uniform_work_group_size: 1
    .uses_dynamic_stack: false
    .vgpr_count:     71
    .vgpr_spill_count: 0
    .wavefront_size: 32
    .workgroup_processor_mode: 1
  - .args:
      - .offset:         0
        .size:           96
        .value_kind:     by_value
    .group_segment_fixed_size: 0
    .kernarg_segment_align: 8
    .kernarg_segment_size: 96
    .language:       OpenCL C
    .language_version:
      - 2
      - 0
    .max_flat_workgroup_size: 256
    .name:           _ZN7rocprim17ROCPRIM_400000_NS6detail17trampoline_kernelINS0_14default_configENS1_36segmented_radix_sort_config_selectorIalEEZNS1_25segmented_radix_sort_implIS3_Lb0EPKaPaPKlPlN2at6native12_GLOBAL__N_18offset_tEEE10hipError_tPvRmT1_PNSt15iterator_traitsISK_E10value_typeET2_T3_PNSL_ISQ_E10value_typeET4_jRbjT5_SW_jjP12ihipStream_tbEUlT_E_NS1_11comp_targetILNS1_3genE0ELNS1_11target_archE4294967295ELNS1_3gpuE0ELNS1_3repE0EEENS1_30default_config_static_selectorELNS0_4arch9wavefront6targetE0EEEvSK_
    .private_segment_fixed_size: 0
    .sgpr_count:     0
    .sgpr_spill_count: 0
    .symbol:         _ZN7rocprim17ROCPRIM_400000_NS6detail17trampoline_kernelINS0_14default_configENS1_36segmented_radix_sort_config_selectorIalEEZNS1_25segmented_radix_sort_implIS3_Lb0EPKaPaPKlPlN2at6native12_GLOBAL__N_18offset_tEEE10hipError_tPvRmT1_PNSt15iterator_traitsISK_E10value_typeET2_T3_PNSL_ISQ_E10value_typeET4_jRbjT5_SW_jjP12ihipStream_tbEUlT_E_NS1_11comp_targetILNS1_3genE0ELNS1_11target_archE4294967295ELNS1_3gpuE0ELNS1_3repE0EEENS1_30default_config_static_selectorELNS0_4arch9wavefront6targetE0EEEvSK_.kd
    .uniform_work_group_size: 1
    .uses_dynamic_stack: false
    .vgpr_count:     0
    .vgpr_spill_count: 0
    .wavefront_size: 32
    .workgroup_processor_mode: 1
  - .args:
      - .offset:         0
        .size:           96
        .value_kind:     by_value
    .group_segment_fixed_size: 0
    .kernarg_segment_align: 8
    .kernarg_segment_size: 96
    .language:       OpenCL C
    .language_version:
      - 2
      - 0
    .max_flat_workgroup_size: 256
    .name:           _ZN7rocprim17ROCPRIM_400000_NS6detail17trampoline_kernelINS0_14default_configENS1_36segmented_radix_sort_config_selectorIalEEZNS1_25segmented_radix_sort_implIS3_Lb0EPKaPaPKlPlN2at6native12_GLOBAL__N_18offset_tEEE10hipError_tPvRmT1_PNSt15iterator_traitsISK_E10value_typeET2_T3_PNSL_ISQ_E10value_typeET4_jRbjT5_SW_jjP12ihipStream_tbEUlT_E_NS1_11comp_targetILNS1_3genE5ELNS1_11target_archE942ELNS1_3gpuE9ELNS1_3repE0EEENS1_30default_config_static_selectorELNS0_4arch9wavefront6targetE0EEEvSK_
    .private_segment_fixed_size: 0
    .sgpr_count:     0
    .sgpr_spill_count: 0
    .symbol:         _ZN7rocprim17ROCPRIM_400000_NS6detail17trampoline_kernelINS0_14default_configENS1_36segmented_radix_sort_config_selectorIalEEZNS1_25segmented_radix_sort_implIS3_Lb0EPKaPaPKlPlN2at6native12_GLOBAL__N_18offset_tEEE10hipError_tPvRmT1_PNSt15iterator_traitsISK_E10value_typeET2_T3_PNSL_ISQ_E10value_typeET4_jRbjT5_SW_jjP12ihipStream_tbEUlT_E_NS1_11comp_targetILNS1_3genE5ELNS1_11target_archE942ELNS1_3gpuE9ELNS1_3repE0EEENS1_30default_config_static_selectorELNS0_4arch9wavefront6targetE0EEEvSK_.kd
    .uniform_work_group_size: 1
    .uses_dynamic_stack: false
    .vgpr_count:     0
    .vgpr_spill_count: 0
    .wavefront_size: 32
    .workgroup_processor_mode: 1
  - .args:
      - .offset:         0
        .size:           96
        .value_kind:     by_value
    .group_segment_fixed_size: 0
    .kernarg_segment_align: 8
    .kernarg_segment_size: 96
    .language:       OpenCL C
    .language_version:
      - 2
      - 0
    .max_flat_workgroup_size: 256
    .name:           _ZN7rocprim17ROCPRIM_400000_NS6detail17trampoline_kernelINS0_14default_configENS1_36segmented_radix_sort_config_selectorIalEEZNS1_25segmented_radix_sort_implIS3_Lb0EPKaPaPKlPlN2at6native12_GLOBAL__N_18offset_tEEE10hipError_tPvRmT1_PNSt15iterator_traitsISK_E10value_typeET2_T3_PNSL_ISQ_E10value_typeET4_jRbjT5_SW_jjP12ihipStream_tbEUlT_E_NS1_11comp_targetILNS1_3genE4ELNS1_11target_archE910ELNS1_3gpuE8ELNS1_3repE0EEENS1_30default_config_static_selectorELNS0_4arch9wavefront6targetE0EEEvSK_
    .private_segment_fixed_size: 0
    .sgpr_count:     0
    .sgpr_spill_count: 0
    .symbol:         _ZN7rocprim17ROCPRIM_400000_NS6detail17trampoline_kernelINS0_14default_configENS1_36segmented_radix_sort_config_selectorIalEEZNS1_25segmented_radix_sort_implIS3_Lb0EPKaPaPKlPlN2at6native12_GLOBAL__N_18offset_tEEE10hipError_tPvRmT1_PNSt15iterator_traitsISK_E10value_typeET2_T3_PNSL_ISQ_E10value_typeET4_jRbjT5_SW_jjP12ihipStream_tbEUlT_E_NS1_11comp_targetILNS1_3genE4ELNS1_11target_archE910ELNS1_3gpuE8ELNS1_3repE0EEENS1_30default_config_static_selectorELNS0_4arch9wavefront6targetE0EEEvSK_.kd
    .uniform_work_group_size: 1
    .uses_dynamic_stack: false
    .vgpr_count:     0
    .vgpr_spill_count: 0
    .wavefront_size: 32
    .workgroup_processor_mode: 1
  - .args:
      - .offset:         0
        .size:           96
        .value_kind:     by_value
    .group_segment_fixed_size: 0
    .kernarg_segment_align: 8
    .kernarg_segment_size: 96
    .language:       OpenCL C
    .language_version:
      - 2
      - 0
    .max_flat_workgroup_size: 256
    .name:           _ZN7rocprim17ROCPRIM_400000_NS6detail17trampoline_kernelINS0_14default_configENS1_36segmented_radix_sort_config_selectorIalEEZNS1_25segmented_radix_sort_implIS3_Lb0EPKaPaPKlPlN2at6native12_GLOBAL__N_18offset_tEEE10hipError_tPvRmT1_PNSt15iterator_traitsISK_E10value_typeET2_T3_PNSL_ISQ_E10value_typeET4_jRbjT5_SW_jjP12ihipStream_tbEUlT_E_NS1_11comp_targetILNS1_3genE3ELNS1_11target_archE908ELNS1_3gpuE7ELNS1_3repE0EEENS1_30default_config_static_selectorELNS0_4arch9wavefront6targetE0EEEvSK_
    .private_segment_fixed_size: 0
    .sgpr_count:     0
    .sgpr_spill_count: 0
    .symbol:         _ZN7rocprim17ROCPRIM_400000_NS6detail17trampoline_kernelINS0_14default_configENS1_36segmented_radix_sort_config_selectorIalEEZNS1_25segmented_radix_sort_implIS3_Lb0EPKaPaPKlPlN2at6native12_GLOBAL__N_18offset_tEEE10hipError_tPvRmT1_PNSt15iterator_traitsISK_E10value_typeET2_T3_PNSL_ISQ_E10value_typeET4_jRbjT5_SW_jjP12ihipStream_tbEUlT_E_NS1_11comp_targetILNS1_3genE3ELNS1_11target_archE908ELNS1_3gpuE7ELNS1_3repE0EEENS1_30default_config_static_selectorELNS0_4arch9wavefront6targetE0EEEvSK_.kd
    .uniform_work_group_size: 1
    .uses_dynamic_stack: false
    .vgpr_count:     0
    .vgpr_spill_count: 0
    .wavefront_size: 32
    .workgroup_processor_mode: 1
  - .args:
      - .offset:         0
        .size:           96
        .value_kind:     by_value
    .group_segment_fixed_size: 0
    .kernarg_segment_align: 8
    .kernarg_segment_size: 96
    .language:       OpenCL C
    .language_version:
      - 2
      - 0
    .max_flat_workgroup_size: 256
    .name:           _ZN7rocprim17ROCPRIM_400000_NS6detail17trampoline_kernelINS0_14default_configENS1_36segmented_radix_sort_config_selectorIalEEZNS1_25segmented_radix_sort_implIS3_Lb0EPKaPaPKlPlN2at6native12_GLOBAL__N_18offset_tEEE10hipError_tPvRmT1_PNSt15iterator_traitsISK_E10value_typeET2_T3_PNSL_ISQ_E10value_typeET4_jRbjT5_SW_jjP12ihipStream_tbEUlT_E_NS1_11comp_targetILNS1_3genE2ELNS1_11target_archE906ELNS1_3gpuE6ELNS1_3repE0EEENS1_30default_config_static_selectorELNS0_4arch9wavefront6targetE0EEEvSK_
    .private_segment_fixed_size: 0
    .sgpr_count:     0
    .sgpr_spill_count: 0
    .symbol:         _ZN7rocprim17ROCPRIM_400000_NS6detail17trampoline_kernelINS0_14default_configENS1_36segmented_radix_sort_config_selectorIalEEZNS1_25segmented_radix_sort_implIS3_Lb0EPKaPaPKlPlN2at6native12_GLOBAL__N_18offset_tEEE10hipError_tPvRmT1_PNSt15iterator_traitsISK_E10value_typeET2_T3_PNSL_ISQ_E10value_typeET4_jRbjT5_SW_jjP12ihipStream_tbEUlT_E_NS1_11comp_targetILNS1_3genE2ELNS1_11target_archE906ELNS1_3gpuE6ELNS1_3repE0EEENS1_30default_config_static_selectorELNS0_4arch9wavefront6targetE0EEEvSK_.kd
    .uniform_work_group_size: 1
    .uses_dynamic_stack: false
    .vgpr_count:     0
    .vgpr_spill_count: 0
    .wavefront_size: 32
    .workgroup_processor_mode: 1
  - .args:
      - .offset:         0
        .size:           96
        .value_kind:     by_value
    .group_segment_fixed_size: 0
    .kernarg_segment_align: 8
    .kernarg_segment_size: 96
    .language:       OpenCL C
    .language_version:
      - 2
      - 0
    .max_flat_workgroup_size: 256
    .name:           _ZN7rocprim17ROCPRIM_400000_NS6detail17trampoline_kernelINS0_14default_configENS1_36segmented_radix_sort_config_selectorIalEEZNS1_25segmented_radix_sort_implIS3_Lb0EPKaPaPKlPlN2at6native12_GLOBAL__N_18offset_tEEE10hipError_tPvRmT1_PNSt15iterator_traitsISK_E10value_typeET2_T3_PNSL_ISQ_E10value_typeET4_jRbjT5_SW_jjP12ihipStream_tbEUlT_E_NS1_11comp_targetILNS1_3genE10ELNS1_11target_archE1201ELNS1_3gpuE5ELNS1_3repE0EEENS1_30default_config_static_selectorELNS0_4arch9wavefront6targetE0EEEvSK_
    .private_segment_fixed_size: 0
    .sgpr_count:     0
    .sgpr_spill_count: 0
    .symbol:         _ZN7rocprim17ROCPRIM_400000_NS6detail17trampoline_kernelINS0_14default_configENS1_36segmented_radix_sort_config_selectorIalEEZNS1_25segmented_radix_sort_implIS3_Lb0EPKaPaPKlPlN2at6native12_GLOBAL__N_18offset_tEEE10hipError_tPvRmT1_PNSt15iterator_traitsISK_E10value_typeET2_T3_PNSL_ISQ_E10value_typeET4_jRbjT5_SW_jjP12ihipStream_tbEUlT_E_NS1_11comp_targetILNS1_3genE10ELNS1_11target_archE1201ELNS1_3gpuE5ELNS1_3repE0EEENS1_30default_config_static_selectorELNS0_4arch9wavefront6targetE0EEEvSK_.kd
    .uniform_work_group_size: 1
    .uses_dynamic_stack: false
    .vgpr_count:     0
    .vgpr_spill_count: 0
    .wavefront_size: 32
    .workgroup_processor_mode: 1
  - .args:
      - .offset:         0
        .size:           96
        .value_kind:     by_value
    .group_segment_fixed_size: 0
    .kernarg_segment_align: 8
    .kernarg_segment_size: 96
    .language:       OpenCL C
    .language_version:
      - 2
      - 0
    .max_flat_workgroup_size: 128
    .name:           _ZN7rocprim17ROCPRIM_400000_NS6detail17trampoline_kernelINS0_14default_configENS1_36segmented_radix_sort_config_selectorIalEEZNS1_25segmented_radix_sort_implIS3_Lb0EPKaPaPKlPlN2at6native12_GLOBAL__N_18offset_tEEE10hipError_tPvRmT1_PNSt15iterator_traitsISK_E10value_typeET2_T3_PNSL_ISQ_E10value_typeET4_jRbjT5_SW_jjP12ihipStream_tbEUlT_E_NS1_11comp_targetILNS1_3genE10ELNS1_11target_archE1200ELNS1_3gpuE4ELNS1_3repE0EEENS1_30default_config_static_selectorELNS0_4arch9wavefront6targetE0EEEvSK_
    .private_segment_fixed_size: 0
    .sgpr_count:     0
    .sgpr_spill_count: 0
    .symbol:         _ZN7rocprim17ROCPRIM_400000_NS6detail17trampoline_kernelINS0_14default_configENS1_36segmented_radix_sort_config_selectorIalEEZNS1_25segmented_radix_sort_implIS3_Lb0EPKaPaPKlPlN2at6native12_GLOBAL__N_18offset_tEEE10hipError_tPvRmT1_PNSt15iterator_traitsISK_E10value_typeET2_T3_PNSL_ISQ_E10value_typeET4_jRbjT5_SW_jjP12ihipStream_tbEUlT_E_NS1_11comp_targetILNS1_3genE10ELNS1_11target_archE1200ELNS1_3gpuE4ELNS1_3repE0EEENS1_30default_config_static_selectorELNS0_4arch9wavefront6targetE0EEEvSK_.kd
    .uniform_work_group_size: 1
    .uses_dynamic_stack: false
    .vgpr_count:     0
    .vgpr_spill_count: 0
    .wavefront_size: 32
    .workgroup_processor_mode: 1
  - .args:
      - .offset:         0
        .size:           96
        .value_kind:     by_value
    .group_segment_fixed_size: 0
    .kernarg_segment_align: 8
    .kernarg_segment_size: 96
    .language:       OpenCL C
    .language_version:
      - 2
      - 0
    .max_flat_workgroup_size: 256
    .name:           _ZN7rocprim17ROCPRIM_400000_NS6detail17trampoline_kernelINS0_14default_configENS1_36segmented_radix_sort_config_selectorIalEEZNS1_25segmented_radix_sort_implIS3_Lb0EPKaPaPKlPlN2at6native12_GLOBAL__N_18offset_tEEE10hipError_tPvRmT1_PNSt15iterator_traitsISK_E10value_typeET2_T3_PNSL_ISQ_E10value_typeET4_jRbjT5_SW_jjP12ihipStream_tbEUlT_E_NS1_11comp_targetILNS1_3genE9ELNS1_11target_archE1100ELNS1_3gpuE3ELNS1_3repE0EEENS1_30default_config_static_selectorELNS0_4arch9wavefront6targetE0EEEvSK_
    .private_segment_fixed_size: 0
    .sgpr_count:     0
    .sgpr_spill_count: 0
    .symbol:         _ZN7rocprim17ROCPRIM_400000_NS6detail17trampoline_kernelINS0_14default_configENS1_36segmented_radix_sort_config_selectorIalEEZNS1_25segmented_radix_sort_implIS3_Lb0EPKaPaPKlPlN2at6native12_GLOBAL__N_18offset_tEEE10hipError_tPvRmT1_PNSt15iterator_traitsISK_E10value_typeET2_T3_PNSL_ISQ_E10value_typeET4_jRbjT5_SW_jjP12ihipStream_tbEUlT_E_NS1_11comp_targetILNS1_3genE9ELNS1_11target_archE1100ELNS1_3gpuE3ELNS1_3repE0EEENS1_30default_config_static_selectorELNS0_4arch9wavefront6targetE0EEEvSK_.kd
    .uniform_work_group_size: 1
    .uses_dynamic_stack: false
    .vgpr_count:     0
    .vgpr_spill_count: 0
    .wavefront_size: 32
    .workgroup_processor_mode: 1
  - .args:
      - .offset:         0
        .size:           96
        .value_kind:     by_value
      - .offset:         96
        .size:           4
        .value_kind:     hidden_block_count_x
      - .offset:         100
        .size:           4
        .value_kind:     hidden_block_count_y
      - .offset:         104
        .size:           4
        .value_kind:     hidden_block_count_z
      - .offset:         108
        .size:           2
        .value_kind:     hidden_group_size_x
      - .offset:         110
        .size:           2
        .value_kind:     hidden_group_size_y
      - .offset:         112
        .size:           2
        .value_kind:     hidden_group_size_z
      - .offset:         114
        .size:           2
        .value_kind:     hidden_remainder_x
      - .offset:         116
        .size:           2
        .value_kind:     hidden_remainder_y
      - .offset:         118
        .size:           2
        .value_kind:     hidden_remainder_z
      - .offset:         136
        .size:           8
        .value_kind:     hidden_global_offset_x
      - .offset:         144
        .size:           8
        .value_kind:     hidden_global_offset_y
      - .offset:         152
        .size:           8
        .value_kind:     hidden_global_offset_z
      - .offset:         160
        .size:           2
        .value_kind:     hidden_grid_dims
    .group_segment_fixed_size: 35344
    .kernarg_segment_align: 8
    .kernarg_segment_size: 352
    .language:       OpenCL C
    .language_version:
      - 2
      - 0
    .max_flat_workgroup_size: 256
    .name:           _ZN7rocprim17ROCPRIM_400000_NS6detail17trampoline_kernelINS0_14default_configENS1_36segmented_radix_sort_config_selectorIalEEZNS1_25segmented_radix_sort_implIS3_Lb0EPKaPaPKlPlN2at6native12_GLOBAL__N_18offset_tEEE10hipError_tPvRmT1_PNSt15iterator_traitsISK_E10value_typeET2_T3_PNSL_ISQ_E10value_typeET4_jRbjT5_SW_jjP12ihipStream_tbEUlT_E_NS1_11comp_targetILNS1_3genE8ELNS1_11target_archE1030ELNS1_3gpuE2ELNS1_3repE0EEENS1_30default_config_static_selectorELNS0_4arch9wavefront6targetE0EEEvSK_
    .private_segment_fixed_size: 240
    .sgpr_count:     70
    .sgpr_spill_count: 0
    .symbol:         _ZN7rocprim17ROCPRIM_400000_NS6detail17trampoline_kernelINS0_14default_configENS1_36segmented_radix_sort_config_selectorIalEEZNS1_25segmented_radix_sort_implIS3_Lb0EPKaPaPKlPlN2at6native12_GLOBAL__N_18offset_tEEE10hipError_tPvRmT1_PNSt15iterator_traitsISK_E10value_typeET2_T3_PNSL_ISQ_E10value_typeET4_jRbjT5_SW_jjP12ihipStream_tbEUlT_E_NS1_11comp_targetILNS1_3genE8ELNS1_11target_archE1030ELNS1_3gpuE2ELNS1_3repE0EEENS1_30default_config_static_selectorELNS0_4arch9wavefront6targetE0EEEvSK_.kd
    .uniform_work_group_size: 1
    .uses_dynamic_stack: false
    .vgpr_count:     248
    .vgpr_spill_count: 0
    .wavefront_size: 32
    .workgroup_processor_mode: 1
  - .args:
      - .offset:         0
        .size:           88
        .value_kind:     by_value
    .group_segment_fixed_size: 0
    .kernarg_segment_align: 8
    .kernarg_segment_size: 88
    .language:       OpenCL C
    .language_version:
      - 2
      - 0
    .max_flat_workgroup_size: 256
    .name:           _ZN7rocprim17ROCPRIM_400000_NS6detail17trampoline_kernelINS0_14default_configENS1_36segmented_radix_sort_config_selectorIalEEZNS1_25segmented_radix_sort_implIS3_Lb0EPKaPaPKlPlN2at6native12_GLOBAL__N_18offset_tEEE10hipError_tPvRmT1_PNSt15iterator_traitsISK_E10value_typeET2_T3_PNSL_ISQ_E10value_typeET4_jRbjT5_SW_jjP12ihipStream_tbEUlT_E0_NS1_11comp_targetILNS1_3genE0ELNS1_11target_archE4294967295ELNS1_3gpuE0ELNS1_3repE0EEENS1_60segmented_radix_sort_warp_sort_medium_config_static_selectorELNS0_4arch9wavefront6targetE0EEEvSK_
    .private_segment_fixed_size: 0
    .sgpr_count:     0
    .sgpr_spill_count: 0
    .symbol:         _ZN7rocprim17ROCPRIM_400000_NS6detail17trampoline_kernelINS0_14default_configENS1_36segmented_radix_sort_config_selectorIalEEZNS1_25segmented_radix_sort_implIS3_Lb0EPKaPaPKlPlN2at6native12_GLOBAL__N_18offset_tEEE10hipError_tPvRmT1_PNSt15iterator_traitsISK_E10value_typeET2_T3_PNSL_ISQ_E10value_typeET4_jRbjT5_SW_jjP12ihipStream_tbEUlT_E0_NS1_11comp_targetILNS1_3genE0ELNS1_11target_archE4294967295ELNS1_3gpuE0ELNS1_3repE0EEENS1_60segmented_radix_sort_warp_sort_medium_config_static_selectorELNS0_4arch9wavefront6targetE0EEEvSK_.kd
    .uniform_work_group_size: 1
    .uses_dynamic_stack: false
    .vgpr_count:     0
    .vgpr_spill_count: 0
    .wavefront_size: 32
    .workgroup_processor_mode: 1
  - .args:
      - .offset:         0
        .size:           88
        .value_kind:     by_value
    .group_segment_fixed_size: 0
    .kernarg_segment_align: 8
    .kernarg_segment_size: 88
    .language:       OpenCL C
    .language_version:
      - 2
      - 0
    .max_flat_workgroup_size: 256
    .name:           _ZN7rocprim17ROCPRIM_400000_NS6detail17trampoline_kernelINS0_14default_configENS1_36segmented_radix_sort_config_selectorIalEEZNS1_25segmented_radix_sort_implIS3_Lb0EPKaPaPKlPlN2at6native12_GLOBAL__N_18offset_tEEE10hipError_tPvRmT1_PNSt15iterator_traitsISK_E10value_typeET2_T3_PNSL_ISQ_E10value_typeET4_jRbjT5_SW_jjP12ihipStream_tbEUlT_E0_NS1_11comp_targetILNS1_3genE5ELNS1_11target_archE942ELNS1_3gpuE9ELNS1_3repE0EEENS1_60segmented_radix_sort_warp_sort_medium_config_static_selectorELNS0_4arch9wavefront6targetE0EEEvSK_
    .private_segment_fixed_size: 0
    .sgpr_count:     0
    .sgpr_spill_count: 0
    .symbol:         _ZN7rocprim17ROCPRIM_400000_NS6detail17trampoline_kernelINS0_14default_configENS1_36segmented_radix_sort_config_selectorIalEEZNS1_25segmented_radix_sort_implIS3_Lb0EPKaPaPKlPlN2at6native12_GLOBAL__N_18offset_tEEE10hipError_tPvRmT1_PNSt15iterator_traitsISK_E10value_typeET2_T3_PNSL_ISQ_E10value_typeET4_jRbjT5_SW_jjP12ihipStream_tbEUlT_E0_NS1_11comp_targetILNS1_3genE5ELNS1_11target_archE942ELNS1_3gpuE9ELNS1_3repE0EEENS1_60segmented_radix_sort_warp_sort_medium_config_static_selectorELNS0_4arch9wavefront6targetE0EEEvSK_.kd
    .uniform_work_group_size: 1
    .uses_dynamic_stack: false
    .vgpr_count:     0
    .vgpr_spill_count: 0
    .wavefront_size: 32
    .workgroup_processor_mode: 1
  - .args:
      - .offset:         0
        .size:           88
        .value_kind:     by_value
    .group_segment_fixed_size: 0
    .kernarg_segment_align: 8
    .kernarg_segment_size: 88
    .language:       OpenCL C
    .language_version:
      - 2
      - 0
    .max_flat_workgroup_size: 256
    .name:           _ZN7rocprim17ROCPRIM_400000_NS6detail17trampoline_kernelINS0_14default_configENS1_36segmented_radix_sort_config_selectorIalEEZNS1_25segmented_radix_sort_implIS3_Lb0EPKaPaPKlPlN2at6native12_GLOBAL__N_18offset_tEEE10hipError_tPvRmT1_PNSt15iterator_traitsISK_E10value_typeET2_T3_PNSL_ISQ_E10value_typeET4_jRbjT5_SW_jjP12ihipStream_tbEUlT_E0_NS1_11comp_targetILNS1_3genE4ELNS1_11target_archE910ELNS1_3gpuE8ELNS1_3repE0EEENS1_60segmented_radix_sort_warp_sort_medium_config_static_selectorELNS0_4arch9wavefront6targetE0EEEvSK_
    .private_segment_fixed_size: 0
    .sgpr_count:     0
    .sgpr_spill_count: 0
    .symbol:         _ZN7rocprim17ROCPRIM_400000_NS6detail17trampoline_kernelINS0_14default_configENS1_36segmented_radix_sort_config_selectorIalEEZNS1_25segmented_radix_sort_implIS3_Lb0EPKaPaPKlPlN2at6native12_GLOBAL__N_18offset_tEEE10hipError_tPvRmT1_PNSt15iterator_traitsISK_E10value_typeET2_T3_PNSL_ISQ_E10value_typeET4_jRbjT5_SW_jjP12ihipStream_tbEUlT_E0_NS1_11comp_targetILNS1_3genE4ELNS1_11target_archE910ELNS1_3gpuE8ELNS1_3repE0EEENS1_60segmented_radix_sort_warp_sort_medium_config_static_selectorELNS0_4arch9wavefront6targetE0EEEvSK_.kd
    .uniform_work_group_size: 1
    .uses_dynamic_stack: false
    .vgpr_count:     0
    .vgpr_spill_count: 0
    .wavefront_size: 32
    .workgroup_processor_mode: 1
  - .args:
      - .offset:         0
        .size:           88
        .value_kind:     by_value
    .group_segment_fixed_size: 0
    .kernarg_segment_align: 8
    .kernarg_segment_size: 88
    .language:       OpenCL C
    .language_version:
      - 2
      - 0
    .max_flat_workgroup_size: 256
    .name:           _ZN7rocprim17ROCPRIM_400000_NS6detail17trampoline_kernelINS0_14default_configENS1_36segmented_radix_sort_config_selectorIalEEZNS1_25segmented_radix_sort_implIS3_Lb0EPKaPaPKlPlN2at6native12_GLOBAL__N_18offset_tEEE10hipError_tPvRmT1_PNSt15iterator_traitsISK_E10value_typeET2_T3_PNSL_ISQ_E10value_typeET4_jRbjT5_SW_jjP12ihipStream_tbEUlT_E0_NS1_11comp_targetILNS1_3genE3ELNS1_11target_archE908ELNS1_3gpuE7ELNS1_3repE0EEENS1_60segmented_radix_sort_warp_sort_medium_config_static_selectorELNS0_4arch9wavefront6targetE0EEEvSK_
    .private_segment_fixed_size: 0
    .sgpr_count:     0
    .sgpr_spill_count: 0
    .symbol:         _ZN7rocprim17ROCPRIM_400000_NS6detail17trampoline_kernelINS0_14default_configENS1_36segmented_radix_sort_config_selectorIalEEZNS1_25segmented_radix_sort_implIS3_Lb0EPKaPaPKlPlN2at6native12_GLOBAL__N_18offset_tEEE10hipError_tPvRmT1_PNSt15iterator_traitsISK_E10value_typeET2_T3_PNSL_ISQ_E10value_typeET4_jRbjT5_SW_jjP12ihipStream_tbEUlT_E0_NS1_11comp_targetILNS1_3genE3ELNS1_11target_archE908ELNS1_3gpuE7ELNS1_3repE0EEENS1_60segmented_radix_sort_warp_sort_medium_config_static_selectorELNS0_4arch9wavefront6targetE0EEEvSK_.kd
    .uniform_work_group_size: 1
    .uses_dynamic_stack: false
    .vgpr_count:     0
    .vgpr_spill_count: 0
    .wavefront_size: 32
    .workgroup_processor_mode: 1
  - .args:
      - .offset:         0
        .size:           88
        .value_kind:     by_value
    .group_segment_fixed_size: 0
    .kernarg_segment_align: 8
    .kernarg_segment_size: 88
    .language:       OpenCL C
    .language_version:
      - 2
      - 0
    .max_flat_workgroup_size: 256
    .name:           _ZN7rocprim17ROCPRIM_400000_NS6detail17trampoline_kernelINS0_14default_configENS1_36segmented_radix_sort_config_selectorIalEEZNS1_25segmented_radix_sort_implIS3_Lb0EPKaPaPKlPlN2at6native12_GLOBAL__N_18offset_tEEE10hipError_tPvRmT1_PNSt15iterator_traitsISK_E10value_typeET2_T3_PNSL_ISQ_E10value_typeET4_jRbjT5_SW_jjP12ihipStream_tbEUlT_E0_NS1_11comp_targetILNS1_3genE2ELNS1_11target_archE906ELNS1_3gpuE6ELNS1_3repE0EEENS1_60segmented_radix_sort_warp_sort_medium_config_static_selectorELNS0_4arch9wavefront6targetE0EEEvSK_
    .private_segment_fixed_size: 0
    .sgpr_count:     0
    .sgpr_spill_count: 0
    .symbol:         _ZN7rocprim17ROCPRIM_400000_NS6detail17trampoline_kernelINS0_14default_configENS1_36segmented_radix_sort_config_selectorIalEEZNS1_25segmented_radix_sort_implIS3_Lb0EPKaPaPKlPlN2at6native12_GLOBAL__N_18offset_tEEE10hipError_tPvRmT1_PNSt15iterator_traitsISK_E10value_typeET2_T3_PNSL_ISQ_E10value_typeET4_jRbjT5_SW_jjP12ihipStream_tbEUlT_E0_NS1_11comp_targetILNS1_3genE2ELNS1_11target_archE906ELNS1_3gpuE6ELNS1_3repE0EEENS1_60segmented_radix_sort_warp_sort_medium_config_static_selectorELNS0_4arch9wavefront6targetE0EEEvSK_.kd
    .uniform_work_group_size: 1
    .uses_dynamic_stack: false
    .vgpr_count:     0
    .vgpr_spill_count: 0
    .wavefront_size: 32
    .workgroup_processor_mode: 1
  - .args:
      - .offset:         0
        .size:           88
        .value_kind:     by_value
    .group_segment_fixed_size: 0
    .kernarg_segment_align: 8
    .kernarg_segment_size: 88
    .language:       OpenCL C
    .language_version:
      - 2
      - 0
    .max_flat_workgroup_size: 256
    .name:           _ZN7rocprim17ROCPRIM_400000_NS6detail17trampoline_kernelINS0_14default_configENS1_36segmented_radix_sort_config_selectorIalEEZNS1_25segmented_radix_sort_implIS3_Lb0EPKaPaPKlPlN2at6native12_GLOBAL__N_18offset_tEEE10hipError_tPvRmT1_PNSt15iterator_traitsISK_E10value_typeET2_T3_PNSL_ISQ_E10value_typeET4_jRbjT5_SW_jjP12ihipStream_tbEUlT_E0_NS1_11comp_targetILNS1_3genE10ELNS1_11target_archE1201ELNS1_3gpuE5ELNS1_3repE0EEENS1_60segmented_radix_sort_warp_sort_medium_config_static_selectorELNS0_4arch9wavefront6targetE0EEEvSK_
    .private_segment_fixed_size: 0
    .sgpr_count:     0
    .sgpr_spill_count: 0
    .symbol:         _ZN7rocprim17ROCPRIM_400000_NS6detail17trampoline_kernelINS0_14default_configENS1_36segmented_radix_sort_config_selectorIalEEZNS1_25segmented_radix_sort_implIS3_Lb0EPKaPaPKlPlN2at6native12_GLOBAL__N_18offset_tEEE10hipError_tPvRmT1_PNSt15iterator_traitsISK_E10value_typeET2_T3_PNSL_ISQ_E10value_typeET4_jRbjT5_SW_jjP12ihipStream_tbEUlT_E0_NS1_11comp_targetILNS1_3genE10ELNS1_11target_archE1201ELNS1_3gpuE5ELNS1_3repE0EEENS1_60segmented_radix_sort_warp_sort_medium_config_static_selectorELNS0_4arch9wavefront6targetE0EEEvSK_.kd
    .uniform_work_group_size: 1
    .uses_dynamic_stack: false
    .vgpr_count:     0
    .vgpr_spill_count: 0
    .wavefront_size: 32
    .workgroup_processor_mode: 1
  - .args:
      - .offset:         0
        .size:           88
        .value_kind:     by_value
    .group_segment_fixed_size: 0
    .kernarg_segment_align: 8
    .kernarg_segment_size: 88
    .language:       OpenCL C
    .language_version:
      - 2
      - 0
    .max_flat_workgroup_size: 256
    .name:           _ZN7rocprim17ROCPRIM_400000_NS6detail17trampoline_kernelINS0_14default_configENS1_36segmented_radix_sort_config_selectorIalEEZNS1_25segmented_radix_sort_implIS3_Lb0EPKaPaPKlPlN2at6native12_GLOBAL__N_18offset_tEEE10hipError_tPvRmT1_PNSt15iterator_traitsISK_E10value_typeET2_T3_PNSL_ISQ_E10value_typeET4_jRbjT5_SW_jjP12ihipStream_tbEUlT_E0_NS1_11comp_targetILNS1_3genE10ELNS1_11target_archE1200ELNS1_3gpuE4ELNS1_3repE0EEENS1_60segmented_radix_sort_warp_sort_medium_config_static_selectorELNS0_4arch9wavefront6targetE0EEEvSK_
    .private_segment_fixed_size: 0
    .sgpr_count:     0
    .sgpr_spill_count: 0
    .symbol:         _ZN7rocprim17ROCPRIM_400000_NS6detail17trampoline_kernelINS0_14default_configENS1_36segmented_radix_sort_config_selectorIalEEZNS1_25segmented_radix_sort_implIS3_Lb0EPKaPaPKlPlN2at6native12_GLOBAL__N_18offset_tEEE10hipError_tPvRmT1_PNSt15iterator_traitsISK_E10value_typeET2_T3_PNSL_ISQ_E10value_typeET4_jRbjT5_SW_jjP12ihipStream_tbEUlT_E0_NS1_11comp_targetILNS1_3genE10ELNS1_11target_archE1200ELNS1_3gpuE4ELNS1_3repE0EEENS1_60segmented_radix_sort_warp_sort_medium_config_static_selectorELNS0_4arch9wavefront6targetE0EEEvSK_.kd
    .uniform_work_group_size: 1
    .uses_dynamic_stack: false
    .vgpr_count:     0
    .vgpr_spill_count: 0
    .wavefront_size: 32
    .workgroup_processor_mode: 1
  - .args:
      - .offset:         0
        .size:           88
        .value_kind:     by_value
    .group_segment_fixed_size: 0
    .kernarg_segment_align: 8
    .kernarg_segment_size: 88
    .language:       OpenCL C
    .language_version:
      - 2
      - 0
    .max_flat_workgroup_size: 256
    .name:           _ZN7rocprim17ROCPRIM_400000_NS6detail17trampoline_kernelINS0_14default_configENS1_36segmented_radix_sort_config_selectorIalEEZNS1_25segmented_radix_sort_implIS3_Lb0EPKaPaPKlPlN2at6native12_GLOBAL__N_18offset_tEEE10hipError_tPvRmT1_PNSt15iterator_traitsISK_E10value_typeET2_T3_PNSL_ISQ_E10value_typeET4_jRbjT5_SW_jjP12ihipStream_tbEUlT_E0_NS1_11comp_targetILNS1_3genE9ELNS1_11target_archE1100ELNS1_3gpuE3ELNS1_3repE0EEENS1_60segmented_radix_sort_warp_sort_medium_config_static_selectorELNS0_4arch9wavefront6targetE0EEEvSK_
    .private_segment_fixed_size: 0
    .sgpr_count:     0
    .sgpr_spill_count: 0
    .symbol:         _ZN7rocprim17ROCPRIM_400000_NS6detail17trampoline_kernelINS0_14default_configENS1_36segmented_radix_sort_config_selectorIalEEZNS1_25segmented_radix_sort_implIS3_Lb0EPKaPaPKlPlN2at6native12_GLOBAL__N_18offset_tEEE10hipError_tPvRmT1_PNSt15iterator_traitsISK_E10value_typeET2_T3_PNSL_ISQ_E10value_typeET4_jRbjT5_SW_jjP12ihipStream_tbEUlT_E0_NS1_11comp_targetILNS1_3genE9ELNS1_11target_archE1100ELNS1_3gpuE3ELNS1_3repE0EEENS1_60segmented_radix_sort_warp_sort_medium_config_static_selectorELNS0_4arch9wavefront6targetE0EEEvSK_.kd
    .uniform_work_group_size: 1
    .uses_dynamic_stack: false
    .vgpr_count:     0
    .vgpr_spill_count: 0
    .wavefront_size: 32
    .workgroup_processor_mode: 1
  - .args:
      - .offset:         0
        .size:           88
        .value_kind:     by_value
      - .offset:         88
        .size:           4
        .value_kind:     hidden_block_count_x
      - .offset:         92
        .size:           4
        .value_kind:     hidden_block_count_y
      - .offset:         96
        .size:           4
        .value_kind:     hidden_block_count_z
      - .offset:         100
        .size:           2
        .value_kind:     hidden_group_size_x
      - .offset:         102
        .size:           2
        .value_kind:     hidden_group_size_y
      - .offset:         104
        .size:           2
        .value_kind:     hidden_group_size_z
      - .offset:         106
        .size:           2
        .value_kind:     hidden_remainder_x
      - .offset:         108
        .size:           2
        .value_kind:     hidden_remainder_y
      - .offset:         110
        .size:           2
        .value_kind:     hidden_remainder_z
      - .offset:         128
        .size:           8
        .value_kind:     hidden_global_offset_x
      - .offset:         136
        .size:           8
        .value_kind:     hidden_global_offset_y
      - .offset:         144
        .size:           8
        .value_kind:     hidden_global_offset_z
      - .offset:         152
        .size:           2
        .value_kind:     hidden_grid_dims
    .group_segment_fixed_size: 9216
    .kernarg_segment_align: 8
    .kernarg_segment_size: 344
    .language:       OpenCL C
    .language_version:
      - 2
      - 0
    .max_flat_workgroup_size: 256
    .name:           _ZN7rocprim17ROCPRIM_400000_NS6detail17trampoline_kernelINS0_14default_configENS1_36segmented_radix_sort_config_selectorIalEEZNS1_25segmented_radix_sort_implIS3_Lb0EPKaPaPKlPlN2at6native12_GLOBAL__N_18offset_tEEE10hipError_tPvRmT1_PNSt15iterator_traitsISK_E10value_typeET2_T3_PNSL_ISQ_E10value_typeET4_jRbjT5_SW_jjP12ihipStream_tbEUlT_E0_NS1_11comp_targetILNS1_3genE8ELNS1_11target_archE1030ELNS1_3gpuE2ELNS1_3repE0EEENS1_60segmented_radix_sort_warp_sort_medium_config_static_selectorELNS0_4arch9wavefront6targetE0EEEvSK_
    .private_segment_fixed_size: 0
    .sgpr_count:     42
    .sgpr_spill_count: 0
    .symbol:         _ZN7rocprim17ROCPRIM_400000_NS6detail17trampoline_kernelINS0_14default_configENS1_36segmented_radix_sort_config_selectorIalEEZNS1_25segmented_radix_sort_implIS3_Lb0EPKaPaPKlPlN2at6native12_GLOBAL__N_18offset_tEEE10hipError_tPvRmT1_PNSt15iterator_traitsISK_E10value_typeET2_T3_PNSL_ISQ_E10value_typeET4_jRbjT5_SW_jjP12ihipStream_tbEUlT_E0_NS1_11comp_targetILNS1_3genE8ELNS1_11target_archE1030ELNS1_3gpuE2ELNS1_3repE0EEENS1_60segmented_radix_sort_warp_sort_medium_config_static_selectorELNS0_4arch9wavefront6targetE0EEEvSK_.kd
    .uniform_work_group_size: 1
    .uses_dynamic_stack: false
    .vgpr_count:     53
    .vgpr_spill_count: 0
    .wavefront_size: 32
    .workgroup_processor_mode: 1
  - .args:
      - .offset:         0
        .size:           88
        .value_kind:     by_value
    .group_segment_fixed_size: 0
    .kernarg_segment_align: 8
    .kernarg_segment_size: 88
    .language:       OpenCL C
    .language_version:
      - 2
      - 0
    .max_flat_workgroup_size: 256
    .name:           _ZN7rocprim17ROCPRIM_400000_NS6detail17trampoline_kernelINS0_14default_configENS1_36segmented_radix_sort_config_selectorIalEEZNS1_25segmented_radix_sort_implIS3_Lb0EPKaPaPKlPlN2at6native12_GLOBAL__N_18offset_tEEE10hipError_tPvRmT1_PNSt15iterator_traitsISK_E10value_typeET2_T3_PNSL_ISQ_E10value_typeET4_jRbjT5_SW_jjP12ihipStream_tbEUlT_E1_NS1_11comp_targetILNS1_3genE0ELNS1_11target_archE4294967295ELNS1_3gpuE0ELNS1_3repE0EEENS1_59segmented_radix_sort_warp_sort_small_config_static_selectorELNS0_4arch9wavefront6targetE0EEEvSK_
    .private_segment_fixed_size: 0
    .sgpr_count:     0
    .sgpr_spill_count: 0
    .symbol:         _ZN7rocprim17ROCPRIM_400000_NS6detail17trampoline_kernelINS0_14default_configENS1_36segmented_radix_sort_config_selectorIalEEZNS1_25segmented_radix_sort_implIS3_Lb0EPKaPaPKlPlN2at6native12_GLOBAL__N_18offset_tEEE10hipError_tPvRmT1_PNSt15iterator_traitsISK_E10value_typeET2_T3_PNSL_ISQ_E10value_typeET4_jRbjT5_SW_jjP12ihipStream_tbEUlT_E1_NS1_11comp_targetILNS1_3genE0ELNS1_11target_archE4294967295ELNS1_3gpuE0ELNS1_3repE0EEENS1_59segmented_radix_sort_warp_sort_small_config_static_selectorELNS0_4arch9wavefront6targetE0EEEvSK_.kd
    .uniform_work_group_size: 1
    .uses_dynamic_stack: false
    .vgpr_count:     0
    .vgpr_spill_count: 0
    .wavefront_size: 32
    .workgroup_processor_mode: 1
  - .args:
      - .offset:         0
        .size:           88
        .value_kind:     by_value
    .group_segment_fixed_size: 0
    .kernarg_segment_align: 8
    .kernarg_segment_size: 88
    .language:       OpenCL C
    .language_version:
      - 2
      - 0
    .max_flat_workgroup_size: 256
    .name:           _ZN7rocprim17ROCPRIM_400000_NS6detail17trampoline_kernelINS0_14default_configENS1_36segmented_radix_sort_config_selectorIalEEZNS1_25segmented_radix_sort_implIS3_Lb0EPKaPaPKlPlN2at6native12_GLOBAL__N_18offset_tEEE10hipError_tPvRmT1_PNSt15iterator_traitsISK_E10value_typeET2_T3_PNSL_ISQ_E10value_typeET4_jRbjT5_SW_jjP12ihipStream_tbEUlT_E1_NS1_11comp_targetILNS1_3genE5ELNS1_11target_archE942ELNS1_3gpuE9ELNS1_3repE0EEENS1_59segmented_radix_sort_warp_sort_small_config_static_selectorELNS0_4arch9wavefront6targetE0EEEvSK_
    .private_segment_fixed_size: 0
    .sgpr_count:     0
    .sgpr_spill_count: 0
    .symbol:         _ZN7rocprim17ROCPRIM_400000_NS6detail17trampoline_kernelINS0_14default_configENS1_36segmented_radix_sort_config_selectorIalEEZNS1_25segmented_radix_sort_implIS3_Lb0EPKaPaPKlPlN2at6native12_GLOBAL__N_18offset_tEEE10hipError_tPvRmT1_PNSt15iterator_traitsISK_E10value_typeET2_T3_PNSL_ISQ_E10value_typeET4_jRbjT5_SW_jjP12ihipStream_tbEUlT_E1_NS1_11comp_targetILNS1_3genE5ELNS1_11target_archE942ELNS1_3gpuE9ELNS1_3repE0EEENS1_59segmented_radix_sort_warp_sort_small_config_static_selectorELNS0_4arch9wavefront6targetE0EEEvSK_.kd
    .uniform_work_group_size: 1
    .uses_dynamic_stack: false
    .vgpr_count:     0
    .vgpr_spill_count: 0
    .wavefront_size: 32
    .workgroup_processor_mode: 1
  - .args:
      - .offset:         0
        .size:           88
        .value_kind:     by_value
    .group_segment_fixed_size: 0
    .kernarg_segment_align: 8
    .kernarg_segment_size: 88
    .language:       OpenCL C
    .language_version:
      - 2
      - 0
    .max_flat_workgroup_size: 256
    .name:           _ZN7rocprim17ROCPRIM_400000_NS6detail17trampoline_kernelINS0_14default_configENS1_36segmented_radix_sort_config_selectorIalEEZNS1_25segmented_radix_sort_implIS3_Lb0EPKaPaPKlPlN2at6native12_GLOBAL__N_18offset_tEEE10hipError_tPvRmT1_PNSt15iterator_traitsISK_E10value_typeET2_T3_PNSL_ISQ_E10value_typeET4_jRbjT5_SW_jjP12ihipStream_tbEUlT_E1_NS1_11comp_targetILNS1_3genE4ELNS1_11target_archE910ELNS1_3gpuE8ELNS1_3repE0EEENS1_59segmented_radix_sort_warp_sort_small_config_static_selectorELNS0_4arch9wavefront6targetE0EEEvSK_
    .private_segment_fixed_size: 0
    .sgpr_count:     0
    .sgpr_spill_count: 0
    .symbol:         _ZN7rocprim17ROCPRIM_400000_NS6detail17trampoline_kernelINS0_14default_configENS1_36segmented_radix_sort_config_selectorIalEEZNS1_25segmented_radix_sort_implIS3_Lb0EPKaPaPKlPlN2at6native12_GLOBAL__N_18offset_tEEE10hipError_tPvRmT1_PNSt15iterator_traitsISK_E10value_typeET2_T3_PNSL_ISQ_E10value_typeET4_jRbjT5_SW_jjP12ihipStream_tbEUlT_E1_NS1_11comp_targetILNS1_3genE4ELNS1_11target_archE910ELNS1_3gpuE8ELNS1_3repE0EEENS1_59segmented_radix_sort_warp_sort_small_config_static_selectorELNS0_4arch9wavefront6targetE0EEEvSK_.kd
    .uniform_work_group_size: 1
    .uses_dynamic_stack: false
    .vgpr_count:     0
    .vgpr_spill_count: 0
    .wavefront_size: 32
    .workgroup_processor_mode: 1
  - .args:
      - .offset:         0
        .size:           88
        .value_kind:     by_value
    .group_segment_fixed_size: 0
    .kernarg_segment_align: 8
    .kernarg_segment_size: 88
    .language:       OpenCL C
    .language_version:
      - 2
      - 0
    .max_flat_workgroup_size: 256
    .name:           _ZN7rocprim17ROCPRIM_400000_NS6detail17trampoline_kernelINS0_14default_configENS1_36segmented_radix_sort_config_selectorIalEEZNS1_25segmented_radix_sort_implIS3_Lb0EPKaPaPKlPlN2at6native12_GLOBAL__N_18offset_tEEE10hipError_tPvRmT1_PNSt15iterator_traitsISK_E10value_typeET2_T3_PNSL_ISQ_E10value_typeET4_jRbjT5_SW_jjP12ihipStream_tbEUlT_E1_NS1_11comp_targetILNS1_3genE3ELNS1_11target_archE908ELNS1_3gpuE7ELNS1_3repE0EEENS1_59segmented_radix_sort_warp_sort_small_config_static_selectorELNS0_4arch9wavefront6targetE0EEEvSK_
    .private_segment_fixed_size: 0
    .sgpr_count:     0
    .sgpr_spill_count: 0
    .symbol:         _ZN7rocprim17ROCPRIM_400000_NS6detail17trampoline_kernelINS0_14default_configENS1_36segmented_radix_sort_config_selectorIalEEZNS1_25segmented_radix_sort_implIS3_Lb0EPKaPaPKlPlN2at6native12_GLOBAL__N_18offset_tEEE10hipError_tPvRmT1_PNSt15iterator_traitsISK_E10value_typeET2_T3_PNSL_ISQ_E10value_typeET4_jRbjT5_SW_jjP12ihipStream_tbEUlT_E1_NS1_11comp_targetILNS1_3genE3ELNS1_11target_archE908ELNS1_3gpuE7ELNS1_3repE0EEENS1_59segmented_radix_sort_warp_sort_small_config_static_selectorELNS0_4arch9wavefront6targetE0EEEvSK_.kd
    .uniform_work_group_size: 1
    .uses_dynamic_stack: false
    .vgpr_count:     0
    .vgpr_spill_count: 0
    .wavefront_size: 32
    .workgroup_processor_mode: 1
  - .args:
      - .offset:         0
        .size:           88
        .value_kind:     by_value
    .group_segment_fixed_size: 0
    .kernarg_segment_align: 8
    .kernarg_segment_size: 88
    .language:       OpenCL C
    .language_version:
      - 2
      - 0
    .max_flat_workgroup_size: 256
    .name:           _ZN7rocprim17ROCPRIM_400000_NS6detail17trampoline_kernelINS0_14default_configENS1_36segmented_radix_sort_config_selectorIalEEZNS1_25segmented_radix_sort_implIS3_Lb0EPKaPaPKlPlN2at6native12_GLOBAL__N_18offset_tEEE10hipError_tPvRmT1_PNSt15iterator_traitsISK_E10value_typeET2_T3_PNSL_ISQ_E10value_typeET4_jRbjT5_SW_jjP12ihipStream_tbEUlT_E1_NS1_11comp_targetILNS1_3genE2ELNS1_11target_archE906ELNS1_3gpuE6ELNS1_3repE0EEENS1_59segmented_radix_sort_warp_sort_small_config_static_selectorELNS0_4arch9wavefront6targetE0EEEvSK_
    .private_segment_fixed_size: 0
    .sgpr_count:     0
    .sgpr_spill_count: 0
    .symbol:         _ZN7rocprim17ROCPRIM_400000_NS6detail17trampoline_kernelINS0_14default_configENS1_36segmented_radix_sort_config_selectorIalEEZNS1_25segmented_radix_sort_implIS3_Lb0EPKaPaPKlPlN2at6native12_GLOBAL__N_18offset_tEEE10hipError_tPvRmT1_PNSt15iterator_traitsISK_E10value_typeET2_T3_PNSL_ISQ_E10value_typeET4_jRbjT5_SW_jjP12ihipStream_tbEUlT_E1_NS1_11comp_targetILNS1_3genE2ELNS1_11target_archE906ELNS1_3gpuE6ELNS1_3repE0EEENS1_59segmented_radix_sort_warp_sort_small_config_static_selectorELNS0_4arch9wavefront6targetE0EEEvSK_.kd
    .uniform_work_group_size: 1
    .uses_dynamic_stack: false
    .vgpr_count:     0
    .vgpr_spill_count: 0
    .wavefront_size: 32
    .workgroup_processor_mode: 1
  - .args:
      - .offset:         0
        .size:           88
        .value_kind:     by_value
    .group_segment_fixed_size: 0
    .kernarg_segment_align: 8
    .kernarg_segment_size: 88
    .language:       OpenCL C
    .language_version:
      - 2
      - 0
    .max_flat_workgroup_size: 256
    .name:           _ZN7rocprim17ROCPRIM_400000_NS6detail17trampoline_kernelINS0_14default_configENS1_36segmented_radix_sort_config_selectorIalEEZNS1_25segmented_radix_sort_implIS3_Lb0EPKaPaPKlPlN2at6native12_GLOBAL__N_18offset_tEEE10hipError_tPvRmT1_PNSt15iterator_traitsISK_E10value_typeET2_T3_PNSL_ISQ_E10value_typeET4_jRbjT5_SW_jjP12ihipStream_tbEUlT_E1_NS1_11comp_targetILNS1_3genE10ELNS1_11target_archE1201ELNS1_3gpuE5ELNS1_3repE0EEENS1_59segmented_radix_sort_warp_sort_small_config_static_selectorELNS0_4arch9wavefront6targetE0EEEvSK_
    .private_segment_fixed_size: 0
    .sgpr_count:     0
    .sgpr_spill_count: 0
    .symbol:         _ZN7rocprim17ROCPRIM_400000_NS6detail17trampoline_kernelINS0_14default_configENS1_36segmented_radix_sort_config_selectorIalEEZNS1_25segmented_radix_sort_implIS3_Lb0EPKaPaPKlPlN2at6native12_GLOBAL__N_18offset_tEEE10hipError_tPvRmT1_PNSt15iterator_traitsISK_E10value_typeET2_T3_PNSL_ISQ_E10value_typeET4_jRbjT5_SW_jjP12ihipStream_tbEUlT_E1_NS1_11comp_targetILNS1_3genE10ELNS1_11target_archE1201ELNS1_3gpuE5ELNS1_3repE0EEENS1_59segmented_radix_sort_warp_sort_small_config_static_selectorELNS0_4arch9wavefront6targetE0EEEvSK_.kd
    .uniform_work_group_size: 1
    .uses_dynamic_stack: false
    .vgpr_count:     0
    .vgpr_spill_count: 0
    .wavefront_size: 32
    .workgroup_processor_mode: 1
  - .args:
      - .offset:         0
        .size:           88
        .value_kind:     by_value
    .group_segment_fixed_size: 0
    .kernarg_segment_align: 8
    .kernarg_segment_size: 88
    .language:       OpenCL C
    .language_version:
      - 2
      - 0
    .max_flat_workgroup_size: 256
    .name:           _ZN7rocprim17ROCPRIM_400000_NS6detail17trampoline_kernelINS0_14default_configENS1_36segmented_radix_sort_config_selectorIalEEZNS1_25segmented_radix_sort_implIS3_Lb0EPKaPaPKlPlN2at6native12_GLOBAL__N_18offset_tEEE10hipError_tPvRmT1_PNSt15iterator_traitsISK_E10value_typeET2_T3_PNSL_ISQ_E10value_typeET4_jRbjT5_SW_jjP12ihipStream_tbEUlT_E1_NS1_11comp_targetILNS1_3genE10ELNS1_11target_archE1200ELNS1_3gpuE4ELNS1_3repE0EEENS1_59segmented_radix_sort_warp_sort_small_config_static_selectorELNS0_4arch9wavefront6targetE0EEEvSK_
    .private_segment_fixed_size: 0
    .sgpr_count:     0
    .sgpr_spill_count: 0
    .symbol:         _ZN7rocprim17ROCPRIM_400000_NS6detail17trampoline_kernelINS0_14default_configENS1_36segmented_radix_sort_config_selectorIalEEZNS1_25segmented_radix_sort_implIS3_Lb0EPKaPaPKlPlN2at6native12_GLOBAL__N_18offset_tEEE10hipError_tPvRmT1_PNSt15iterator_traitsISK_E10value_typeET2_T3_PNSL_ISQ_E10value_typeET4_jRbjT5_SW_jjP12ihipStream_tbEUlT_E1_NS1_11comp_targetILNS1_3genE10ELNS1_11target_archE1200ELNS1_3gpuE4ELNS1_3repE0EEENS1_59segmented_radix_sort_warp_sort_small_config_static_selectorELNS0_4arch9wavefront6targetE0EEEvSK_.kd
    .uniform_work_group_size: 1
    .uses_dynamic_stack: false
    .vgpr_count:     0
    .vgpr_spill_count: 0
    .wavefront_size: 32
    .workgroup_processor_mode: 1
  - .args:
      - .offset:         0
        .size:           88
        .value_kind:     by_value
    .group_segment_fixed_size: 0
    .kernarg_segment_align: 8
    .kernarg_segment_size: 88
    .language:       OpenCL C
    .language_version:
      - 2
      - 0
    .max_flat_workgroup_size: 256
    .name:           _ZN7rocprim17ROCPRIM_400000_NS6detail17trampoline_kernelINS0_14default_configENS1_36segmented_radix_sort_config_selectorIalEEZNS1_25segmented_radix_sort_implIS3_Lb0EPKaPaPKlPlN2at6native12_GLOBAL__N_18offset_tEEE10hipError_tPvRmT1_PNSt15iterator_traitsISK_E10value_typeET2_T3_PNSL_ISQ_E10value_typeET4_jRbjT5_SW_jjP12ihipStream_tbEUlT_E1_NS1_11comp_targetILNS1_3genE9ELNS1_11target_archE1100ELNS1_3gpuE3ELNS1_3repE0EEENS1_59segmented_radix_sort_warp_sort_small_config_static_selectorELNS0_4arch9wavefront6targetE0EEEvSK_
    .private_segment_fixed_size: 0
    .sgpr_count:     0
    .sgpr_spill_count: 0
    .symbol:         _ZN7rocprim17ROCPRIM_400000_NS6detail17trampoline_kernelINS0_14default_configENS1_36segmented_radix_sort_config_selectorIalEEZNS1_25segmented_radix_sort_implIS3_Lb0EPKaPaPKlPlN2at6native12_GLOBAL__N_18offset_tEEE10hipError_tPvRmT1_PNSt15iterator_traitsISK_E10value_typeET2_T3_PNSL_ISQ_E10value_typeET4_jRbjT5_SW_jjP12ihipStream_tbEUlT_E1_NS1_11comp_targetILNS1_3genE9ELNS1_11target_archE1100ELNS1_3gpuE3ELNS1_3repE0EEENS1_59segmented_radix_sort_warp_sort_small_config_static_selectorELNS0_4arch9wavefront6targetE0EEEvSK_.kd
    .uniform_work_group_size: 1
    .uses_dynamic_stack: false
    .vgpr_count:     0
    .vgpr_spill_count: 0
    .wavefront_size: 32
    .workgroup_processor_mode: 1
  - .args:
      - .offset:         0
        .size:           88
        .value_kind:     by_value
      - .offset:         88
        .size:           4
        .value_kind:     hidden_block_count_x
      - .offset:         92
        .size:           4
        .value_kind:     hidden_block_count_y
      - .offset:         96
        .size:           4
        .value_kind:     hidden_block_count_z
      - .offset:         100
        .size:           2
        .value_kind:     hidden_group_size_x
      - .offset:         102
        .size:           2
        .value_kind:     hidden_group_size_y
      - .offset:         104
        .size:           2
        .value_kind:     hidden_group_size_z
      - .offset:         106
        .size:           2
        .value_kind:     hidden_remainder_x
      - .offset:         108
        .size:           2
        .value_kind:     hidden_remainder_y
      - .offset:         110
        .size:           2
        .value_kind:     hidden_remainder_z
      - .offset:         128
        .size:           8
        .value_kind:     hidden_global_offset_x
      - .offset:         136
        .size:           8
        .value_kind:     hidden_global_offset_y
      - .offset:         144
        .size:           8
        .value_kind:     hidden_global_offset_z
      - .offset:         152
        .size:           2
        .value_kind:     hidden_grid_dims
    .group_segment_fixed_size: 9216
    .kernarg_segment_align: 8
    .kernarg_segment_size: 344
    .language:       OpenCL C
    .language_version:
      - 2
      - 0
    .max_flat_workgroup_size: 256
    .name:           _ZN7rocprim17ROCPRIM_400000_NS6detail17trampoline_kernelINS0_14default_configENS1_36segmented_radix_sort_config_selectorIalEEZNS1_25segmented_radix_sort_implIS3_Lb0EPKaPaPKlPlN2at6native12_GLOBAL__N_18offset_tEEE10hipError_tPvRmT1_PNSt15iterator_traitsISK_E10value_typeET2_T3_PNSL_ISQ_E10value_typeET4_jRbjT5_SW_jjP12ihipStream_tbEUlT_E1_NS1_11comp_targetILNS1_3genE8ELNS1_11target_archE1030ELNS1_3gpuE2ELNS1_3repE0EEENS1_59segmented_radix_sort_warp_sort_small_config_static_selectorELNS0_4arch9wavefront6targetE0EEEvSK_
    .private_segment_fixed_size: 0
    .sgpr_count:     42
    .sgpr_spill_count: 0
    .symbol:         _ZN7rocprim17ROCPRIM_400000_NS6detail17trampoline_kernelINS0_14default_configENS1_36segmented_radix_sort_config_selectorIalEEZNS1_25segmented_radix_sort_implIS3_Lb0EPKaPaPKlPlN2at6native12_GLOBAL__N_18offset_tEEE10hipError_tPvRmT1_PNSt15iterator_traitsISK_E10value_typeET2_T3_PNSL_ISQ_E10value_typeET4_jRbjT5_SW_jjP12ihipStream_tbEUlT_E1_NS1_11comp_targetILNS1_3genE8ELNS1_11target_archE1030ELNS1_3gpuE2ELNS1_3repE0EEENS1_59segmented_radix_sort_warp_sort_small_config_static_selectorELNS0_4arch9wavefront6targetE0EEEvSK_.kd
    .uniform_work_group_size: 1
    .uses_dynamic_stack: false
    .vgpr_count:     53
    .vgpr_spill_count: 0
    .wavefront_size: 32
    .workgroup_processor_mode: 1
  - .args:
      - .offset:         0
        .size:           80
        .value_kind:     by_value
    .group_segment_fixed_size: 0
    .kernarg_segment_align: 8
    .kernarg_segment_size: 80
    .language:       OpenCL C
    .language_version:
      - 2
      - 0
    .max_flat_workgroup_size: 256
    .name:           _ZN7rocprim17ROCPRIM_400000_NS6detail17trampoline_kernelINS0_14default_configENS1_36segmented_radix_sort_config_selectorIalEEZNS1_25segmented_radix_sort_implIS3_Lb0EPKaPaPKlPlN2at6native12_GLOBAL__N_18offset_tEEE10hipError_tPvRmT1_PNSt15iterator_traitsISK_E10value_typeET2_T3_PNSL_ISQ_E10value_typeET4_jRbjT5_SW_jjP12ihipStream_tbEUlT_E2_NS1_11comp_targetILNS1_3genE0ELNS1_11target_archE4294967295ELNS1_3gpuE0ELNS1_3repE0EEENS1_30default_config_static_selectorELNS0_4arch9wavefront6targetE0EEEvSK_
    .private_segment_fixed_size: 0
    .sgpr_count:     0
    .sgpr_spill_count: 0
    .symbol:         _ZN7rocprim17ROCPRIM_400000_NS6detail17trampoline_kernelINS0_14default_configENS1_36segmented_radix_sort_config_selectorIalEEZNS1_25segmented_radix_sort_implIS3_Lb0EPKaPaPKlPlN2at6native12_GLOBAL__N_18offset_tEEE10hipError_tPvRmT1_PNSt15iterator_traitsISK_E10value_typeET2_T3_PNSL_ISQ_E10value_typeET4_jRbjT5_SW_jjP12ihipStream_tbEUlT_E2_NS1_11comp_targetILNS1_3genE0ELNS1_11target_archE4294967295ELNS1_3gpuE0ELNS1_3repE0EEENS1_30default_config_static_selectorELNS0_4arch9wavefront6targetE0EEEvSK_.kd
    .uniform_work_group_size: 1
    .uses_dynamic_stack: false
    .vgpr_count:     0
    .vgpr_spill_count: 0
    .wavefront_size: 32
    .workgroup_processor_mode: 1
  - .args:
      - .offset:         0
        .size:           80
        .value_kind:     by_value
    .group_segment_fixed_size: 0
    .kernarg_segment_align: 8
    .kernarg_segment_size: 80
    .language:       OpenCL C
    .language_version:
      - 2
      - 0
    .max_flat_workgroup_size: 256
    .name:           _ZN7rocprim17ROCPRIM_400000_NS6detail17trampoline_kernelINS0_14default_configENS1_36segmented_radix_sort_config_selectorIalEEZNS1_25segmented_radix_sort_implIS3_Lb0EPKaPaPKlPlN2at6native12_GLOBAL__N_18offset_tEEE10hipError_tPvRmT1_PNSt15iterator_traitsISK_E10value_typeET2_T3_PNSL_ISQ_E10value_typeET4_jRbjT5_SW_jjP12ihipStream_tbEUlT_E2_NS1_11comp_targetILNS1_3genE5ELNS1_11target_archE942ELNS1_3gpuE9ELNS1_3repE0EEENS1_30default_config_static_selectorELNS0_4arch9wavefront6targetE0EEEvSK_
    .private_segment_fixed_size: 0
    .sgpr_count:     0
    .sgpr_spill_count: 0
    .symbol:         _ZN7rocprim17ROCPRIM_400000_NS6detail17trampoline_kernelINS0_14default_configENS1_36segmented_radix_sort_config_selectorIalEEZNS1_25segmented_radix_sort_implIS3_Lb0EPKaPaPKlPlN2at6native12_GLOBAL__N_18offset_tEEE10hipError_tPvRmT1_PNSt15iterator_traitsISK_E10value_typeET2_T3_PNSL_ISQ_E10value_typeET4_jRbjT5_SW_jjP12ihipStream_tbEUlT_E2_NS1_11comp_targetILNS1_3genE5ELNS1_11target_archE942ELNS1_3gpuE9ELNS1_3repE0EEENS1_30default_config_static_selectorELNS0_4arch9wavefront6targetE0EEEvSK_.kd
    .uniform_work_group_size: 1
    .uses_dynamic_stack: false
    .vgpr_count:     0
    .vgpr_spill_count: 0
    .wavefront_size: 32
    .workgroup_processor_mode: 1
  - .args:
      - .offset:         0
        .size:           80
        .value_kind:     by_value
    .group_segment_fixed_size: 0
    .kernarg_segment_align: 8
    .kernarg_segment_size: 80
    .language:       OpenCL C
    .language_version:
      - 2
      - 0
    .max_flat_workgroup_size: 256
    .name:           _ZN7rocprim17ROCPRIM_400000_NS6detail17trampoline_kernelINS0_14default_configENS1_36segmented_radix_sort_config_selectorIalEEZNS1_25segmented_radix_sort_implIS3_Lb0EPKaPaPKlPlN2at6native12_GLOBAL__N_18offset_tEEE10hipError_tPvRmT1_PNSt15iterator_traitsISK_E10value_typeET2_T3_PNSL_ISQ_E10value_typeET4_jRbjT5_SW_jjP12ihipStream_tbEUlT_E2_NS1_11comp_targetILNS1_3genE4ELNS1_11target_archE910ELNS1_3gpuE8ELNS1_3repE0EEENS1_30default_config_static_selectorELNS0_4arch9wavefront6targetE0EEEvSK_
    .private_segment_fixed_size: 0
    .sgpr_count:     0
    .sgpr_spill_count: 0
    .symbol:         _ZN7rocprim17ROCPRIM_400000_NS6detail17trampoline_kernelINS0_14default_configENS1_36segmented_radix_sort_config_selectorIalEEZNS1_25segmented_radix_sort_implIS3_Lb0EPKaPaPKlPlN2at6native12_GLOBAL__N_18offset_tEEE10hipError_tPvRmT1_PNSt15iterator_traitsISK_E10value_typeET2_T3_PNSL_ISQ_E10value_typeET4_jRbjT5_SW_jjP12ihipStream_tbEUlT_E2_NS1_11comp_targetILNS1_3genE4ELNS1_11target_archE910ELNS1_3gpuE8ELNS1_3repE0EEENS1_30default_config_static_selectorELNS0_4arch9wavefront6targetE0EEEvSK_.kd
    .uniform_work_group_size: 1
    .uses_dynamic_stack: false
    .vgpr_count:     0
    .vgpr_spill_count: 0
    .wavefront_size: 32
    .workgroup_processor_mode: 1
  - .args:
      - .offset:         0
        .size:           80
        .value_kind:     by_value
    .group_segment_fixed_size: 0
    .kernarg_segment_align: 8
    .kernarg_segment_size: 80
    .language:       OpenCL C
    .language_version:
      - 2
      - 0
    .max_flat_workgroup_size: 256
    .name:           _ZN7rocprim17ROCPRIM_400000_NS6detail17trampoline_kernelINS0_14default_configENS1_36segmented_radix_sort_config_selectorIalEEZNS1_25segmented_radix_sort_implIS3_Lb0EPKaPaPKlPlN2at6native12_GLOBAL__N_18offset_tEEE10hipError_tPvRmT1_PNSt15iterator_traitsISK_E10value_typeET2_T3_PNSL_ISQ_E10value_typeET4_jRbjT5_SW_jjP12ihipStream_tbEUlT_E2_NS1_11comp_targetILNS1_3genE3ELNS1_11target_archE908ELNS1_3gpuE7ELNS1_3repE0EEENS1_30default_config_static_selectorELNS0_4arch9wavefront6targetE0EEEvSK_
    .private_segment_fixed_size: 0
    .sgpr_count:     0
    .sgpr_spill_count: 0
    .symbol:         _ZN7rocprim17ROCPRIM_400000_NS6detail17trampoline_kernelINS0_14default_configENS1_36segmented_radix_sort_config_selectorIalEEZNS1_25segmented_radix_sort_implIS3_Lb0EPKaPaPKlPlN2at6native12_GLOBAL__N_18offset_tEEE10hipError_tPvRmT1_PNSt15iterator_traitsISK_E10value_typeET2_T3_PNSL_ISQ_E10value_typeET4_jRbjT5_SW_jjP12ihipStream_tbEUlT_E2_NS1_11comp_targetILNS1_3genE3ELNS1_11target_archE908ELNS1_3gpuE7ELNS1_3repE0EEENS1_30default_config_static_selectorELNS0_4arch9wavefront6targetE0EEEvSK_.kd
    .uniform_work_group_size: 1
    .uses_dynamic_stack: false
    .vgpr_count:     0
    .vgpr_spill_count: 0
    .wavefront_size: 32
    .workgroup_processor_mode: 1
  - .args:
      - .offset:         0
        .size:           80
        .value_kind:     by_value
    .group_segment_fixed_size: 0
    .kernarg_segment_align: 8
    .kernarg_segment_size: 80
    .language:       OpenCL C
    .language_version:
      - 2
      - 0
    .max_flat_workgroup_size: 256
    .name:           _ZN7rocprim17ROCPRIM_400000_NS6detail17trampoline_kernelINS0_14default_configENS1_36segmented_radix_sort_config_selectorIalEEZNS1_25segmented_radix_sort_implIS3_Lb0EPKaPaPKlPlN2at6native12_GLOBAL__N_18offset_tEEE10hipError_tPvRmT1_PNSt15iterator_traitsISK_E10value_typeET2_T3_PNSL_ISQ_E10value_typeET4_jRbjT5_SW_jjP12ihipStream_tbEUlT_E2_NS1_11comp_targetILNS1_3genE2ELNS1_11target_archE906ELNS1_3gpuE6ELNS1_3repE0EEENS1_30default_config_static_selectorELNS0_4arch9wavefront6targetE0EEEvSK_
    .private_segment_fixed_size: 0
    .sgpr_count:     0
    .sgpr_spill_count: 0
    .symbol:         _ZN7rocprim17ROCPRIM_400000_NS6detail17trampoline_kernelINS0_14default_configENS1_36segmented_radix_sort_config_selectorIalEEZNS1_25segmented_radix_sort_implIS3_Lb0EPKaPaPKlPlN2at6native12_GLOBAL__N_18offset_tEEE10hipError_tPvRmT1_PNSt15iterator_traitsISK_E10value_typeET2_T3_PNSL_ISQ_E10value_typeET4_jRbjT5_SW_jjP12ihipStream_tbEUlT_E2_NS1_11comp_targetILNS1_3genE2ELNS1_11target_archE906ELNS1_3gpuE6ELNS1_3repE0EEENS1_30default_config_static_selectorELNS0_4arch9wavefront6targetE0EEEvSK_.kd
    .uniform_work_group_size: 1
    .uses_dynamic_stack: false
    .vgpr_count:     0
    .vgpr_spill_count: 0
    .wavefront_size: 32
    .workgroup_processor_mode: 1
  - .args:
      - .offset:         0
        .size:           80
        .value_kind:     by_value
    .group_segment_fixed_size: 0
    .kernarg_segment_align: 8
    .kernarg_segment_size: 80
    .language:       OpenCL C
    .language_version:
      - 2
      - 0
    .max_flat_workgroup_size: 256
    .name:           _ZN7rocprim17ROCPRIM_400000_NS6detail17trampoline_kernelINS0_14default_configENS1_36segmented_radix_sort_config_selectorIalEEZNS1_25segmented_radix_sort_implIS3_Lb0EPKaPaPKlPlN2at6native12_GLOBAL__N_18offset_tEEE10hipError_tPvRmT1_PNSt15iterator_traitsISK_E10value_typeET2_T3_PNSL_ISQ_E10value_typeET4_jRbjT5_SW_jjP12ihipStream_tbEUlT_E2_NS1_11comp_targetILNS1_3genE10ELNS1_11target_archE1201ELNS1_3gpuE5ELNS1_3repE0EEENS1_30default_config_static_selectorELNS0_4arch9wavefront6targetE0EEEvSK_
    .private_segment_fixed_size: 0
    .sgpr_count:     0
    .sgpr_spill_count: 0
    .symbol:         _ZN7rocprim17ROCPRIM_400000_NS6detail17trampoline_kernelINS0_14default_configENS1_36segmented_radix_sort_config_selectorIalEEZNS1_25segmented_radix_sort_implIS3_Lb0EPKaPaPKlPlN2at6native12_GLOBAL__N_18offset_tEEE10hipError_tPvRmT1_PNSt15iterator_traitsISK_E10value_typeET2_T3_PNSL_ISQ_E10value_typeET4_jRbjT5_SW_jjP12ihipStream_tbEUlT_E2_NS1_11comp_targetILNS1_3genE10ELNS1_11target_archE1201ELNS1_3gpuE5ELNS1_3repE0EEENS1_30default_config_static_selectorELNS0_4arch9wavefront6targetE0EEEvSK_.kd
    .uniform_work_group_size: 1
    .uses_dynamic_stack: false
    .vgpr_count:     0
    .vgpr_spill_count: 0
    .wavefront_size: 32
    .workgroup_processor_mode: 1
  - .args:
      - .offset:         0
        .size:           80
        .value_kind:     by_value
    .group_segment_fixed_size: 0
    .kernarg_segment_align: 8
    .kernarg_segment_size: 80
    .language:       OpenCL C
    .language_version:
      - 2
      - 0
    .max_flat_workgroup_size: 128
    .name:           _ZN7rocprim17ROCPRIM_400000_NS6detail17trampoline_kernelINS0_14default_configENS1_36segmented_radix_sort_config_selectorIalEEZNS1_25segmented_radix_sort_implIS3_Lb0EPKaPaPKlPlN2at6native12_GLOBAL__N_18offset_tEEE10hipError_tPvRmT1_PNSt15iterator_traitsISK_E10value_typeET2_T3_PNSL_ISQ_E10value_typeET4_jRbjT5_SW_jjP12ihipStream_tbEUlT_E2_NS1_11comp_targetILNS1_3genE10ELNS1_11target_archE1200ELNS1_3gpuE4ELNS1_3repE0EEENS1_30default_config_static_selectorELNS0_4arch9wavefront6targetE0EEEvSK_
    .private_segment_fixed_size: 0
    .sgpr_count:     0
    .sgpr_spill_count: 0
    .symbol:         _ZN7rocprim17ROCPRIM_400000_NS6detail17trampoline_kernelINS0_14default_configENS1_36segmented_radix_sort_config_selectorIalEEZNS1_25segmented_radix_sort_implIS3_Lb0EPKaPaPKlPlN2at6native12_GLOBAL__N_18offset_tEEE10hipError_tPvRmT1_PNSt15iterator_traitsISK_E10value_typeET2_T3_PNSL_ISQ_E10value_typeET4_jRbjT5_SW_jjP12ihipStream_tbEUlT_E2_NS1_11comp_targetILNS1_3genE10ELNS1_11target_archE1200ELNS1_3gpuE4ELNS1_3repE0EEENS1_30default_config_static_selectorELNS0_4arch9wavefront6targetE0EEEvSK_.kd
    .uniform_work_group_size: 1
    .uses_dynamic_stack: false
    .vgpr_count:     0
    .vgpr_spill_count: 0
    .wavefront_size: 32
    .workgroup_processor_mode: 1
  - .args:
      - .offset:         0
        .size:           80
        .value_kind:     by_value
    .group_segment_fixed_size: 0
    .kernarg_segment_align: 8
    .kernarg_segment_size: 80
    .language:       OpenCL C
    .language_version:
      - 2
      - 0
    .max_flat_workgroup_size: 256
    .name:           _ZN7rocprim17ROCPRIM_400000_NS6detail17trampoline_kernelINS0_14default_configENS1_36segmented_radix_sort_config_selectorIalEEZNS1_25segmented_radix_sort_implIS3_Lb0EPKaPaPKlPlN2at6native12_GLOBAL__N_18offset_tEEE10hipError_tPvRmT1_PNSt15iterator_traitsISK_E10value_typeET2_T3_PNSL_ISQ_E10value_typeET4_jRbjT5_SW_jjP12ihipStream_tbEUlT_E2_NS1_11comp_targetILNS1_3genE9ELNS1_11target_archE1100ELNS1_3gpuE3ELNS1_3repE0EEENS1_30default_config_static_selectorELNS0_4arch9wavefront6targetE0EEEvSK_
    .private_segment_fixed_size: 0
    .sgpr_count:     0
    .sgpr_spill_count: 0
    .symbol:         _ZN7rocprim17ROCPRIM_400000_NS6detail17trampoline_kernelINS0_14default_configENS1_36segmented_radix_sort_config_selectorIalEEZNS1_25segmented_radix_sort_implIS3_Lb0EPKaPaPKlPlN2at6native12_GLOBAL__N_18offset_tEEE10hipError_tPvRmT1_PNSt15iterator_traitsISK_E10value_typeET2_T3_PNSL_ISQ_E10value_typeET4_jRbjT5_SW_jjP12ihipStream_tbEUlT_E2_NS1_11comp_targetILNS1_3genE9ELNS1_11target_archE1100ELNS1_3gpuE3ELNS1_3repE0EEENS1_30default_config_static_selectorELNS0_4arch9wavefront6targetE0EEEvSK_.kd
    .uniform_work_group_size: 1
    .uses_dynamic_stack: false
    .vgpr_count:     0
    .vgpr_spill_count: 0
    .wavefront_size: 32
    .workgroup_processor_mode: 1
  - .args:
      - .offset:         0
        .size:           80
        .value_kind:     by_value
      - .offset:         80
        .size:           4
        .value_kind:     hidden_block_count_x
      - .offset:         84
        .size:           4
        .value_kind:     hidden_block_count_y
      - .offset:         88
        .size:           4
        .value_kind:     hidden_block_count_z
      - .offset:         92
        .size:           2
        .value_kind:     hidden_group_size_x
      - .offset:         94
        .size:           2
        .value_kind:     hidden_group_size_y
      - .offset:         96
        .size:           2
        .value_kind:     hidden_group_size_z
      - .offset:         98
        .size:           2
        .value_kind:     hidden_remainder_x
      - .offset:         100
        .size:           2
        .value_kind:     hidden_remainder_y
      - .offset:         102
        .size:           2
        .value_kind:     hidden_remainder_z
      - .offset:         120
        .size:           8
        .value_kind:     hidden_global_offset_x
      - .offset:         128
        .size:           8
        .value_kind:     hidden_global_offset_y
      - .offset:         136
        .size:           8
        .value_kind:     hidden_global_offset_z
      - .offset:         144
        .size:           2
        .value_kind:     hidden_grid_dims
    .group_segment_fixed_size: 35344
    .kernarg_segment_align: 8
    .kernarg_segment_size: 336
    .language:       OpenCL C
    .language_version:
      - 2
      - 0
    .max_flat_workgroup_size: 256
    .name:           _ZN7rocprim17ROCPRIM_400000_NS6detail17trampoline_kernelINS0_14default_configENS1_36segmented_radix_sort_config_selectorIalEEZNS1_25segmented_radix_sort_implIS3_Lb0EPKaPaPKlPlN2at6native12_GLOBAL__N_18offset_tEEE10hipError_tPvRmT1_PNSt15iterator_traitsISK_E10value_typeET2_T3_PNSL_ISQ_E10value_typeET4_jRbjT5_SW_jjP12ihipStream_tbEUlT_E2_NS1_11comp_targetILNS1_3genE8ELNS1_11target_archE1030ELNS1_3gpuE2ELNS1_3repE0EEENS1_30default_config_static_selectorELNS0_4arch9wavefront6targetE0EEEvSK_
    .private_segment_fixed_size: 240
    .sgpr_count:     70
    .sgpr_spill_count: 0
    .symbol:         _ZN7rocprim17ROCPRIM_400000_NS6detail17trampoline_kernelINS0_14default_configENS1_36segmented_radix_sort_config_selectorIalEEZNS1_25segmented_radix_sort_implIS3_Lb0EPKaPaPKlPlN2at6native12_GLOBAL__N_18offset_tEEE10hipError_tPvRmT1_PNSt15iterator_traitsISK_E10value_typeET2_T3_PNSL_ISQ_E10value_typeET4_jRbjT5_SW_jjP12ihipStream_tbEUlT_E2_NS1_11comp_targetILNS1_3genE8ELNS1_11target_archE1030ELNS1_3gpuE2ELNS1_3repE0EEENS1_30default_config_static_selectorELNS0_4arch9wavefront6targetE0EEEvSK_.kd
    .uniform_work_group_size: 1
    .uses_dynamic_stack: false
    .vgpr_count:     248
    .vgpr_spill_count: 0
    .wavefront_size: 32
    .workgroup_processor_mode: 1
  - .args:
      - .address_space:  global
        .offset:         0
        .size:           8
        .value_kind:     global_buffer
      - .address_space:  global
        .offset:         8
        .size:           8
        .value_kind:     global_buffer
      - .address_space:  global
        .offset:         16
        .size:           8
        .value_kind:     global_buffer
      - .address_space:  global
        .offset:         24
        .size:           8
        .value_kind:     global_buffer
      - .offset:         32
        .size:           4
        .value_kind:     by_value
      - .offset:         36
        .size:           4
        .value_kind:     by_value
      - .offset:         40
        .size:           4
        .value_kind:     hidden_block_count_x
      - .offset:         44
        .size:           4
        .value_kind:     hidden_block_count_y
      - .offset:         48
        .size:           4
        .value_kind:     hidden_block_count_z
      - .offset:         52
        .size:           2
        .value_kind:     hidden_group_size_x
      - .offset:         54
        .size:           2
        .value_kind:     hidden_group_size_y
      - .offset:         56
        .size:           2
        .value_kind:     hidden_group_size_z
      - .offset:         58
        .size:           2
        .value_kind:     hidden_remainder_x
      - .offset:         60
        .size:           2
        .value_kind:     hidden_remainder_y
      - .offset:         62
        .size:           2
        .value_kind:     hidden_remainder_z
      - .offset:         80
        .size:           8
        .value_kind:     hidden_global_offset_x
      - .offset:         88
        .size:           8
        .value_kind:     hidden_global_offset_y
      - .offset:         96
        .size:           8
        .value_kind:     hidden_global_offset_z
      - .offset:         104
        .size:           2
        .value_kind:     hidden_grid_dims
    .group_segment_fixed_size: 0
    .kernarg_segment_align: 8
    .kernarg_segment_size: 296
    .language:       OpenCL C
    .language_version:
      - 2
      - 0
    .max_flat_workgroup_size: 1024
    .name:           _ZN2at6native12_GLOBAL__N_123sort_postprocess_kernelIiEEvPKT_PS3_PlPK15HIP_vector_typeIiLj2EEii
    .private_segment_fixed_size: 0
    .sgpr_count:     18
    .sgpr_spill_count: 0
    .symbol:         _ZN2at6native12_GLOBAL__N_123sort_postprocess_kernelIiEEvPKT_PS3_PlPK15HIP_vector_typeIiLj2EEii.kd
    .uniform_work_group_size: 1
    .uses_dynamic_stack: false
    .vgpr_count:     17
    .vgpr_spill_count: 0
    .wavefront_size: 32
    .workgroup_processor_mode: 1
  - .args:
      - .offset:         0
        .size:           176
        .value_kind:     by_value
    .group_segment_fixed_size: 0
    .kernarg_segment_align: 8
    .kernarg_segment_size: 176
    .language:       OpenCL C
    .language_version:
      - 2
      - 0
    .max_flat_workgroup_size: 256
    .name:           _ZN7rocprim17ROCPRIM_400000_NS6detail17trampoline_kernelINS0_13select_configILj256ELj13ELNS0_17block_load_methodE3ELS4_3ELS4_3ELNS0_20block_scan_algorithmE0ELj4294967295EEENS1_25partition_config_selectorILNS1_17partition_subalgoE4EjNS0_10empty_typeEbEEZZNS1_14partition_implILS8_4ELb0ES6_15HIP_vector_typeIjLj2EENS0_17counting_iteratorIjlEEPS9_SG_NS0_5tupleIJPjSI_NS0_16reverse_iteratorISI_EEEEENSH_IJSG_SG_SG_EEES9_SI_JZNS1_25segmented_radix_sort_implINS0_14default_configELb1EPKiPiPKlPlN2at6native12_GLOBAL__N_18offset_tEEE10hipError_tPvRmT1_PNSt15iterator_traitsIS12_E10value_typeET2_T3_PNS13_IS18_E10value_typeET4_jRbjT5_S1E_jjP12ihipStream_tbEUljE_ZNSN_ISO_Lb1ESQ_SR_ST_SU_SY_EESZ_S10_S11_S12_S16_S17_S18_S1B_S1C_jS1D_jS1E_S1E_jjS1G_bEUljE0_EEESZ_S10_S11_S18_S1C_S1E_T6_T7_T9_mT8_S1G_bDpT10_ENKUlT_T0_E_clISt17integral_constantIbLb0EES1U_EEDaS1P_S1Q_EUlS1P_E_NS1_11comp_targetILNS1_3genE0ELNS1_11target_archE4294967295ELNS1_3gpuE0ELNS1_3repE0EEENS1_30default_config_static_selectorELNS0_4arch9wavefront6targetE0EEEvS12_
    .private_segment_fixed_size: 0
    .sgpr_count:     0
    .sgpr_spill_count: 0
    .symbol:         _ZN7rocprim17ROCPRIM_400000_NS6detail17trampoline_kernelINS0_13select_configILj256ELj13ELNS0_17block_load_methodE3ELS4_3ELS4_3ELNS0_20block_scan_algorithmE0ELj4294967295EEENS1_25partition_config_selectorILNS1_17partition_subalgoE4EjNS0_10empty_typeEbEEZZNS1_14partition_implILS8_4ELb0ES6_15HIP_vector_typeIjLj2EENS0_17counting_iteratorIjlEEPS9_SG_NS0_5tupleIJPjSI_NS0_16reverse_iteratorISI_EEEEENSH_IJSG_SG_SG_EEES9_SI_JZNS1_25segmented_radix_sort_implINS0_14default_configELb1EPKiPiPKlPlN2at6native12_GLOBAL__N_18offset_tEEE10hipError_tPvRmT1_PNSt15iterator_traitsIS12_E10value_typeET2_T3_PNS13_IS18_E10value_typeET4_jRbjT5_S1E_jjP12ihipStream_tbEUljE_ZNSN_ISO_Lb1ESQ_SR_ST_SU_SY_EESZ_S10_S11_S12_S16_S17_S18_S1B_S1C_jS1D_jS1E_S1E_jjS1G_bEUljE0_EEESZ_S10_S11_S18_S1C_S1E_T6_T7_T9_mT8_S1G_bDpT10_ENKUlT_T0_E_clISt17integral_constantIbLb0EES1U_EEDaS1P_S1Q_EUlS1P_E_NS1_11comp_targetILNS1_3genE0ELNS1_11target_archE4294967295ELNS1_3gpuE0ELNS1_3repE0EEENS1_30default_config_static_selectorELNS0_4arch9wavefront6targetE0EEEvS12_.kd
    .uniform_work_group_size: 1
    .uses_dynamic_stack: false
    .vgpr_count:     0
    .vgpr_spill_count: 0
    .wavefront_size: 32
    .workgroup_processor_mode: 1
  - .args:
      - .offset:         0
        .size:           176
        .value_kind:     by_value
    .group_segment_fixed_size: 0
    .kernarg_segment_align: 8
    .kernarg_segment_size: 176
    .language:       OpenCL C
    .language_version:
      - 2
      - 0
    .max_flat_workgroup_size: 256
    .name:           _ZN7rocprim17ROCPRIM_400000_NS6detail17trampoline_kernelINS0_13select_configILj256ELj13ELNS0_17block_load_methodE3ELS4_3ELS4_3ELNS0_20block_scan_algorithmE0ELj4294967295EEENS1_25partition_config_selectorILNS1_17partition_subalgoE4EjNS0_10empty_typeEbEEZZNS1_14partition_implILS8_4ELb0ES6_15HIP_vector_typeIjLj2EENS0_17counting_iteratorIjlEEPS9_SG_NS0_5tupleIJPjSI_NS0_16reverse_iteratorISI_EEEEENSH_IJSG_SG_SG_EEES9_SI_JZNS1_25segmented_radix_sort_implINS0_14default_configELb1EPKiPiPKlPlN2at6native12_GLOBAL__N_18offset_tEEE10hipError_tPvRmT1_PNSt15iterator_traitsIS12_E10value_typeET2_T3_PNS13_IS18_E10value_typeET4_jRbjT5_S1E_jjP12ihipStream_tbEUljE_ZNSN_ISO_Lb1ESQ_SR_ST_SU_SY_EESZ_S10_S11_S12_S16_S17_S18_S1B_S1C_jS1D_jS1E_S1E_jjS1G_bEUljE0_EEESZ_S10_S11_S18_S1C_S1E_T6_T7_T9_mT8_S1G_bDpT10_ENKUlT_T0_E_clISt17integral_constantIbLb0EES1U_EEDaS1P_S1Q_EUlS1P_E_NS1_11comp_targetILNS1_3genE5ELNS1_11target_archE942ELNS1_3gpuE9ELNS1_3repE0EEENS1_30default_config_static_selectorELNS0_4arch9wavefront6targetE0EEEvS12_
    .private_segment_fixed_size: 0
    .sgpr_count:     0
    .sgpr_spill_count: 0
    .symbol:         _ZN7rocprim17ROCPRIM_400000_NS6detail17trampoline_kernelINS0_13select_configILj256ELj13ELNS0_17block_load_methodE3ELS4_3ELS4_3ELNS0_20block_scan_algorithmE0ELj4294967295EEENS1_25partition_config_selectorILNS1_17partition_subalgoE4EjNS0_10empty_typeEbEEZZNS1_14partition_implILS8_4ELb0ES6_15HIP_vector_typeIjLj2EENS0_17counting_iteratorIjlEEPS9_SG_NS0_5tupleIJPjSI_NS0_16reverse_iteratorISI_EEEEENSH_IJSG_SG_SG_EEES9_SI_JZNS1_25segmented_radix_sort_implINS0_14default_configELb1EPKiPiPKlPlN2at6native12_GLOBAL__N_18offset_tEEE10hipError_tPvRmT1_PNSt15iterator_traitsIS12_E10value_typeET2_T3_PNS13_IS18_E10value_typeET4_jRbjT5_S1E_jjP12ihipStream_tbEUljE_ZNSN_ISO_Lb1ESQ_SR_ST_SU_SY_EESZ_S10_S11_S12_S16_S17_S18_S1B_S1C_jS1D_jS1E_S1E_jjS1G_bEUljE0_EEESZ_S10_S11_S18_S1C_S1E_T6_T7_T9_mT8_S1G_bDpT10_ENKUlT_T0_E_clISt17integral_constantIbLb0EES1U_EEDaS1P_S1Q_EUlS1P_E_NS1_11comp_targetILNS1_3genE5ELNS1_11target_archE942ELNS1_3gpuE9ELNS1_3repE0EEENS1_30default_config_static_selectorELNS0_4arch9wavefront6targetE0EEEvS12_.kd
    .uniform_work_group_size: 1
    .uses_dynamic_stack: false
    .vgpr_count:     0
    .vgpr_spill_count: 0
    .wavefront_size: 32
    .workgroup_processor_mode: 1
  - .args:
      - .offset:         0
        .size:           176
        .value_kind:     by_value
    .group_segment_fixed_size: 0
    .kernarg_segment_align: 8
    .kernarg_segment_size: 176
    .language:       OpenCL C
    .language_version:
      - 2
      - 0
    .max_flat_workgroup_size: 256
    .name:           _ZN7rocprim17ROCPRIM_400000_NS6detail17trampoline_kernelINS0_13select_configILj256ELj13ELNS0_17block_load_methodE3ELS4_3ELS4_3ELNS0_20block_scan_algorithmE0ELj4294967295EEENS1_25partition_config_selectorILNS1_17partition_subalgoE4EjNS0_10empty_typeEbEEZZNS1_14partition_implILS8_4ELb0ES6_15HIP_vector_typeIjLj2EENS0_17counting_iteratorIjlEEPS9_SG_NS0_5tupleIJPjSI_NS0_16reverse_iteratorISI_EEEEENSH_IJSG_SG_SG_EEES9_SI_JZNS1_25segmented_radix_sort_implINS0_14default_configELb1EPKiPiPKlPlN2at6native12_GLOBAL__N_18offset_tEEE10hipError_tPvRmT1_PNSt15iterator_traitsIS12_E10value_typeET2_T3_PNS13_IS18_E10value_typeET4_jRbjT5_S1E_jjP12ihipStream_tbEUljE_ZNSN_ISO_Lb1ESQ_SR_ST_SU_SY_EESZ_S10_S11_S12_S16_S17_S18_S1B_S1C_jS1D_jS1E_S1E_jjS1G_bEUljE0_EEESZ_S10_S11_S18_S1C_S1E_T6_T7_T9_mT8_S1G_bDpT10_ENKUlT_T0_E_clISt17integral_constantIbLb0EES1U_EEDaS1P_S1Q_EUlS1P_E_NS1_11comp_targetILNS1_3genE4ELNS1_11target_archE910ELNS1_3gpuE8ELNS1_3repE0EEENS1_30default_config_static_selectorELNS0_4arch9wavefront6targetE0EEEvS12_
    .private_segment_fixed_size: 0
    .sgpr_count:     0
    .sgpr_spill_count: 0
    .symbol:         _ZN7rocprim17ROCPRIM_400000_NS6detail17trampoline_kernelINS0_13select_configILj256ELj13ELNS0_17block_load_methodE3ELS4_3ELS4_3ELNS0_20block_scan_algorithmE0ELj4294967295EEENS1_25partition_config_selectorILNS1_17partition_subalgoE4EjNS0_10empty_typeEbEEZZNS1_14partition_implILS8_4ELb0ES6_15HIP_vector_typeIjLj2EENS0_17counting_iteratorIjlEEPS9_SG_NS0_5tupleIJPjSI_NS0_16reverse_iteratorISI_EEEEENSH_IJSG_SG_SG_EEES9_SI_JZNS1_25segmented_radix_sort_implINS0_14default_configELb1EPKiPiPKlPlN2at6native12_GLOBAL__N_18offset_tEEE10hipError_tPvRmT1_PNSt15iterator_traitsIS12_E10value_typeET2_T3_PNS13_IS18_E10value_typeET4_jRbjT5_S1E_jjP12ihipStream_tbEUljE_ZNSN_ISO_Lb1ESQ_SR_ST_SU_SY_EESZ_S10_S11_S12_S16_S17_S18_S1B_S1C_jS1D_jS1E_S1E_jjS1G_bEUljE0_EEESZ_S10_S11_S18_S1C_S1E_T6_T7_T9_mT8_S1G_bDpT10_ENKUlT_T0_E_clISt17integral_constantIbLb0EES1U_EEDaS1P_S1Q_EUlS1P_E_NS1_11comp_targetILNS1_3genE4ELNS1_11target_archE910ELNS1_3gpuE8ELNS1_3repE0EEENS1_30default_config_static_selectorELNS0_4arch9wavefront6targetE0EEEvS12_.kd
    .uniform_work_group_size: 1
    .uses_dynamic_stack: false
    .vgpr_count:     0
    .vgpr_spill_count: 0
    .wavefront_size: 32
    .workgroup_processor_mode: 1
  - .args:
      - .offset:         0
        .size:           176
        .value_kind:     by_value
    .group_segment_fixed_size: 0
    .kernarg_segment_align: 8
    .kernarg_segment_size: 176
    .language:       OpenCL C
    .language_version:
      - 2
      - 0
    .max_flat_workgroup_size: 256
    .name:           _ZN7rocprim17ROCPRIM_400000_NS6detail17trampoline_kernelINS0_13select_configILj256ELj13ELNS0_17block_load_methodE3ELS4_3ELS4_3ELNS0_20block_scan_algorithmE0ELj4294967295EEENS1_25partition_config_selectorILNS1_17partition_subalgoE4EjNS0_10empty_typeEbEEZZNS1_14partition_implILS8_4ELb0ES6_15HIP_vector_typeIjLj2EENS0_17counting_iteratorIjlEEPS9_SG_NS0_5tupleIJPjSI_NS0_16reverse_iteratorISI_EEEEENSH_IJSG_SG_SG_EEES9_SI_JZNS1_25segmented_radix_sort_implINS0_14default_configELb1EPKiPiPKlPlN2at6native12_GLOBAL__N_18offset_tEEE10hipError_tPvRmT1_PNSt15iterator_traitsIS12_E10value_typeET2_T3_PNS13_IS18_E10value_typeET4_jRbjT5_S1E_jjP12ihipStream_tbEUljE_ZNSN_ISO_Lb1ESQ_SR_ST_SU_SY_EESZ_S10_S11_S12_S16_S17_S18_S1B_S1C_jS1D_jS1E_S1E_jjS1G_bEUljE0_EEESZ_S10_S11_S18_S1C_S1E_T6_T7_T9_mT8_S1G_bDpT10_ENKUlT_T0_E_clISt17integral_constantIbLb0EES1U_EEDaS1P_S1Q_EUlS1P_E_NS1_11comp_targetILNS1_3genE3ELNS1_11target_archE908ELNS1_3gpuE7ELNS1_3repE0EEENS1_30default_config_static_selectorELNS0_4arch9wavefront6targetE0EEEvS12_
    .private_segment_fixed_size: 0
    .sgpr_count:     0
    .sgpr_spill_count: 0
    .symbol:         _ZN7rocprim17ROCPRIM_400000_NS6detail17trampoline_kernelINS0_13select_configILj256ELj13ELNS0_17block_load_methodE3ELS4_3ELS4_3ELNS0_20block_scan_algorithmE0ELj4294967295EEENS1_25partition_config_selectorILNS1_17partition_subalgoE4EjNS0_10empty_typeEbEEZZNS1_14partition_implILS8_4ELb0ES6_15HIP_vector_typeIjLj2EENS0_17counting_iteratorIjlEEPS9_SG_NS0_5tupleIJPjSI_NS0_16reverse_iteratorISI_EEEEENSH_IJSG_SG_SG_EEES9_SI_JZNS1_25segmented_radix_sort_implINS0_14default_configELb1EPKiPiPKlPlN2at6native12_GLOBAL__N_18offset_tEEE10hipError_tPvRmT1_PNSt15iterator_traitsIS12_E10value_typeET2_T3_PNS13_IS18_E10value_typeET4_jRbjT5_S1E_jjP12ihipStream_tbEUljE_ZNSN_ISO_Lb1ESQ_SR_ST_SU_SY_EESZ_S10_S11_S12_S16_S17_S18_S1B_S1C_jS1D_jS1E_S1E_jjS1G_bEUljE0_EEESZ_S10_S11_S18_S1C_S1E_T6_T7_T9_mT8_S1G_bDpT10_ENKUlT_T0_E_clISt17integral_constantIbLb0EES1U_EEDaS1P_S1Q_EUlS1P_E_NS1_11comp_targetILNS1_3genE3ELNS1_11target_archE908ELNS1_3gpuE7ELNS1_3repE0EEENS1_30default_config_static_selectorELNS0_4arch9wavefront6targetE0EEEvS12_.kd
    .uniform_work_group_size: 1
    .uses_dynamic_stack: false
    .vgpr_count:     0
    .vgpr_spill_count: 0
    .wavefront_size: 32
    .workgroup_processor_mode: 1
  - .args:
      - .offset:         0
        .size:           176
        .value_kind:     by_value
    .group_segment_fixed_size: 0
    .kernarg_segment_align: 8
    .kernarg_segment_size: 176
    .language:       OpenCL C
    .language_version:
      - 2
      - 0
    .max_flat_workgroup_size: 256
    .name:           _ZN7rocprim17ROCPRIM_400000_NS6detail17trampoline_kernelINS0_13select_configILj256ELj13ELNS0_17block_load_methodE3ELS4_3ELS4_3ELNS0_20block_scan_algorithmE0ELj4294967295EEENS1_25partition_config_selectorILNS1_17partition_subalgoE4EjNS0_10empty_typeEbEEZZNS1_14partition_implILS8_4ELb0ES6_15HIP_vector_typeIjLj2EENS0_17counting_iteratorIjlEEPS9_SG_NS0_5tupleIJPjSI_NS0_16reverse_iteratorISI_EEEEENSH_IJSG_SG_SG_EEES9_SI_JZNS1_25segmented_radix_sort_implINS0_14default_configELb1EPKiPiPKlPlN2at6native12_GLOBAL__N_18offset_tEEE10hipError_tPvRmT1_PNSt15iterator_traitsIS12_E10value_typeET2_T3_PNS13_IS18_E10value_typeET4_jRbjT5_S1E_jjP12ihipStream_tbEUljE_ZNSN_ISO_Lb1ESQ_SR_ST_SU_SY_EESZ_S10_S11_S12_S16_S17_S18_S1B_S1C_jS1D_jS1E_S1E_jjS1G_bEUljE0_EEESZ_S10_S11_S18_S1C_S1E_T6_T7_T9_mT8_S1G_bDpT10_ENKUlT_T0_E_clISt17integral_constantIbLb0EES1U_EEDaS1P_S1Q_EUlS1P_E_NS1_11comp_targetILNS1_3genE2ELNS1_11target_archE906ELNS1_3gpuE6ELNS1_3repE0EEENS1_30default_config_static_selectorELNS0_4arch9wavefront6targetE0EEEvS12_
    .private_segment_fixed_size: 0
    .sgpr_count:     0
    .sgpr_spill_count: 0
    .symbol:         _ZN7rocprim17ROCPRIM_400000_NS6detail17trampoline_kernelINS0_13select_configILj256ELj13ELNS0_17block_load_methodE3ELS4_3ELS4_3ELNS0_20block_scan_algorithmE0ELj4294967295EEENS1_25partition_config_selectorILNS1_17partition_subalgoE4EjNS0_10empty_typeEbEEZZNS1_14partition_implILS8_4ELb0ES6_15HIP_vector_typeIjLj2EENS0_17counting_iteratorIjlEEPS9_SG_NS0_5tupleIJPjSI_NS0_16reverse_iteratorISI_EEEEENSH_IJSG_SG_SG_EEES9_SI_JZNS1_25segmented_radix_sort_implINS0_14default_configELb1EPKiPiPKlPlN2at6native12_GLOBAL__N_18offset_tEEE10hipError_tPvRmT1_PNSt15iterator_traitsIS12_E10value_typeET2_T3_PNS13_IS18_E10value_typeET4_jRbjT5_S1E_jjP12ihipStream_tbEUljE_ZNSN_ISO_Lb1ESQ_SR_ST_SU_SY_EESZ_S10_S11_S12_S16_S17_S18_S1B_S1C_jS1D_jS1E_S1E_jjS1G_bEUljE0_EEESZ_S10_S11_S18_S1C_S1E_T6_T7_T9_mT8_S1G_bDpT10_ENKUlT_T0_E_clISt17integral_constantIbLb0EES1U_EEDaS1P_S1Q_EUlS1P_E_NS1_11comp_targetILNS1_3genE2ELNS1_11target_archE906ELNS1_3gpuE6ELNS1_3repE0EEENS1_30default_config_static_selectorELNS0_4arch9wavefront6targetE0EEEvS12_.kd
    .uniform_work_group_size: 1
    .uses_dynamic_stack: false
    .vgpr_count:     0
    .vgpr_spill_count: 0
    .wavefront_size: 32
    .workgroup_processor_mode: 1
  - .args:
      - .offset:         0
        .size:           176
        .value_kind:     by_value
    .group_segment_fixed_size: 0
    .kernarg_segment_align: 8
    .kernarg_segment_size: 176
    .language:       OpenCL C
    .language_version:
      - 2
      - 0
    .max_flat_workgroup_size: 256
    .name:           _ZN7rocprim17ROCPRIM_400000_NS6detail17trampoline_kernelINS0_13select_configILj256ELj13ELNS0_17block_load_methodE3ELS4_3ELS4_3ELNS0_20block_scan_algorithmE0ELj4294967295EEENS1_25partition_config_selectorILNS1_17partition_subalgoE4EjNS0_10empty_typeEbEEZZNS1_14partition_implILS8_4ELb0ES6_15HIP_vector_typeIjLj2EENS0_17counting_iteratorIjlEEPS9_SG_NS0_5tupleIJPjSI_NS0_16reverse_iteratorISI_EEEEENSH_IJSG_SG_SG_EEES9_SI_JZNS1_25segmented_radix_sort_implINS0_14default_configELb1EPKiPiPKlPlN2at6native12_GLOBAL__N_18offset_tEEE10hipError_tPvRmT1_PNSt15iterator_traitsIS12_E10value_typeET2_T3_PNS13_IS18_E10value_typeET4_jRbjT5_S1E_jjP12ihipStream_tbEUljE_ZNSN_ISO_Lb1ESQ_SR_ST_SU_SY_EESZ_S10_S11_S12_S16_S17_S18_S1B_S1C_jS1D_jS1E_S1E_jjS1G_bEUljE0_EEESZ_S10_S11_S18_S1C_S1E_T6_T7_T9_mT8_S1G_bDpT10_ENKUlT_T0_E_clISt17integral_constantIbLb0EES1U_EEDaS1P_S1Q_EUlS1P_E_NS1_11comp_targetILNS1_3genE10ELNS1_11target_archE1200ELNS1_3gpuE4ELNS1_3repE0EEENS1_30default_config_static_selectorELNS0_4arch9wavefront6targetE0EEEvS12_
    .private_segment_fixed_size: 0
    .sgpr_count:     0
    .sgpr_spill_count: 0
    .symbol:         _ZN7rocprim17ROCPRIM_400000_NS6detail17trampoline_kernelINS0_13select_configILj256ELj13ELNS0_17block_load_methodE3ELS4_3ELS4_3ELNS0_20block_scan_algorithmE0ELj4294967295EEENS1_25partition_config_selectorILNS1_17partition_subalgoE4EjNS0_10empty_typeEbEEZZNS1_14partition_implILS8_4ELb0ES6_15HIP_vector_typeIjLj2EENS0_17counting_iteratorIjlEEPS9_SG_NS0_5tupleIJPjSI_NS0_16reverse_iteratorISI_EEEEENSH_IJSG_SG_SG_EEES9_SI_JZNS1_25segmented_radix_sort_implINS0_14default_configELb1EPKiPiPKlPlN2at6native12_GLOBAL__N_18offset_tEEE10hipError_tPvRmT1_PNSt15iterator_traitsIS12_E10value_typeET2_T3_PNS13_IS18_E10value_typeET4_jRbjT5_S1E_jjP12ihipStream_tbEUljE_ZNSN_ISO_Lb1ESQ_SR_ST_SU_SY_EESZ_S10_S11_S12_S16_S17_S18_S1B_S1C_jS1D_jS1E_S1E_jjS1G_bEUljE0_EEESZ_S10_S11_S18_S1C_S1E_T6_T7_T9_mT8_S1G_bDpT10_ENKUlT_T0_E_clISt17integral_constantIbLb0EES1U_EEDaS1P_S1Q_EUlS1P_E_NS1_11comp_targetILNS1_3genE10ELNS1_11target_archE1200ELNS1_3gpuE4ELNS1_3repE0EEENS1_30default_config_static_selectorELNS0_4arch9wavefront6targetE0EEEvS12_.kd
    .uniform_work_group_size: 1
    .uses_dynamic_stack: false
    .vgpr_count:     0
    .vgpr_spill_count: 0
    .wavefront_size: 32
    .workgroup_processor_mode: 1
  - .args:
      - .offset:         0
        .size:           176
        .value_kind:     by_value
    .group_segment_fixed_size: 0
    .kernarg_segment_align: 8
    .kernarg_segment_size: 176
    .language:       OpenCL C
    .language_version:
      - 2
      - 0
    .max_flat_workgroup_size: 256
    .name:           _ZN7rocprim17ROCPRIM_400000_NS6detail17trampoline_kernelINS0_13select_configILj256ELj13ELNS0_17block_load_methodE3ELS4_3ELS4_3ELNS0_20block_scan_algorithmE0ELj4294967295EEENS1_25partition_config_selectorILNS1_17partition_subalgoE4EjNS0_10empty_typeEbEEZZNS1_14partition_implILS8_4ELb0ES6_15HIP_vector_typeIjLj2EENS0_17counting_iteratorIjlEEPS9_SG_NS0_5tupleIJPjSI_NS0_16reverse_iteratorISI_EEEEENSH_IJSG_SG_SG_EEES9_SI_JZNS1_25segmented_radix_sort_implINS0_14default_configELb1EPKiPiPKlPlN2at6native12_GLOBAL__N_18offset_tEEE10hipError_tPvRmT1_PNSt15iterator_traitsIS12_E10value_typeET2_T3_PNS13_IS18_E10value_typeET4_jRbjT5_S1E_jjP12ihipStream_tbEUljE_ZNSN_ISO_Lb1ESQ_SR_ST_SU_SY_EESZ_S10_S11_S12_S16_S17_S18_S1B_S1C_jS1D_jS1E_S1E_jjS1G_bEUljE0_EEESZ_S10_S11_S18_S1C_S1E_T6_T7_T9_mT8_S1G_bDpT10_ENKUlT_T0_E_clISt17integral_constantIbLb0EES1U_EEDaS1P_S1Q_EUlS1P_E_NS1_11comp_targetILNS1_3genE9ELNS1_11target_archE1100ELNS1_3gpuE3ELNS1_3repE0EEENS1_30default_config_static_selectorELNS0_4arch9wavefront6targetE0EEEvS12_
    .private_segment_fixed_size: 0
    .sgpr_count:     0
    .sgpr_spill_count: 0
    .symbol:         _ZN7rocprim17ROCPRIM_400000_NS6detail17trampoline_kernelINS0_13select_configILj256ELj13ELNS0_17block_load_methodE3ELS4_3ELS4_3ELNS0_20block_scan_algorithmE0ELj4294967295EEENS1_25partition_config_selectorILNS1_17partition_subalgoE4EjNS0_10empty_typeEbEEZZNS1_14partition_implILS8_4ELb0ES6_15HIP_vector_typeIjLj2EENS0_17counting_iteratorIjlEEPS9_SG_NS0_5tupleIJPjSI_NS0_16reverse_iteratorISI_EEEEENSH_IJSG_SG_SG_EEES9_SI_JZNS1_25segmented_radix_sort_implINS0_14default_configELb1EPKiPiPKlPlN2at6native12_GLOBAL__N_18offset_tEEE10hipError_tPvRmT1_PNSt15iterator_traitsIS12_E10value_typeET2_T3_PNS13_IS18_E10value_typeET4_jRbjT5_S1E_jjP12ihipStream_tbEUljE_ZNSN_ISO_Lb1ESQ_SR_ST_SU_SY_EESZ_S10_S11_S12_S16_S17_S18_S1B_S1C_jS1D_jS1E_S1E_jjS1G_bEUljE0_EEESZ_S10_S11_S18_S1C_S1E_T6_T7_T9_mT8_S1G_bDpT10_ENKUlT_T0_E_clISt17integral_constantIbLb0EES1U_EEDaS1P_S1Q_EUlS1P_E_NS1_11comp_targetILNS1_3genE9ELNS1_11target_archE1100ELNS1_3gpuE3ELNS1_3repE0EEENS1_30default_config_static_selectorELNS0_4arch9wavefront6targetE0EEEvS12_.kd
    .uniform_work_group_size: 1
    .uses_dynamic_stack: false
    .vgpr_count:     0
    .vgpr_spill_count: 0
    .wavefront_size: 32
    .workgroup_processor_mode: 1
  - .args:
      - .offset:         0
        .size:           176
        .value_kind:     by_value
    .group_segment_fixed_size: 13328
    .kernarg_segment_align: 8
    .kernarg_segment_size: 176
    .language:       OpenCL C
    .language_version:
      - 2
      - 0
    .max_flat_workgroup_size: 256
    .name:           _ZN7rocprim17ROCPRIM_400000_NS6detail17trampoline_kernelINS0_13select_configILj256ELj13ELNS0_17block_load_methodE3ELS4_3ELS4_3ELNS0_20block_scan_algorithmE0ELj4294967295EEENS1_25partition_config_selectorILNS1_17partition_subalgoE4EjNS0_10empty_typeEbEEZZNS1_14partition_implILS8_4ELb0ES6_15HIP_vector_typeIjLj2EENS0_17counting_iteratorIjlEEPS9_SG_NS0_5tupleIJPjSI_NS0_16reverse_iteratorISI_EEEEENSH_IJSG_SG_SG_EEES9_SI_JZNS1_25segmented_radix_sort_implINS0_14default_configELb1EPKiPiPKlPlN2at6native12_GLOBAL__N_18offset_tEEE10hipError_tPvRmT1_PNSt15iterator_traitsIS12_E10value_typeET2_T3_PNS13_IS18_E10value_typeET4_jRbjT5_S1E_jjP12ihipStream_tbEUljE_ZNSN_ISO_Lb1ESQ_SR_ST_SU_SY_EESZ_S10_S11_S12_S16_S17_S18_S1B_S1C_jS1D_jS1E_S1E_jjS1G_bEUljE0_EEESZ_S10_S11_S18_S1C_S1E_T6_T7_T9_mT8_S1G_bDpT10_ENKUlT_T0_E_clISt17integral_constantIbLb0EES1U_EEDaS1P_S1Q_EUlS1P_E_NS1_11comp_targetILNS1_3genE8ELNS1_11target_archE1030ELNS1_3gpuE2ELNS1_3repE0EEENS1_30default_config_static_selectorELNS0_4arch9wavefront6targetE0EEEvS12_
    .private_segment_fixed_size: 0
    .sgpr_count:     61
    .sgpr_spill_count: 0
    .symbol:         _ZN7rocprim17ROCPRIM_400000_NS6detail17trampoline_kernelINS0_13select_configILj256ELj13ELNS0_17block_load_methodE3ELS4_3ELS4_3ELNS0_20block_scan_algorithmE0ELj4294967295EEENS1_25partition_config_selectorILNS1_17partition_subalgoE4EjNS0_10empty_typeEbEEZZNS1_14partition_implILS8_4ELb0ES6_15HIP_vector_typeIjLj2EENS0_17counting_iteratorIjlEEPS9_SG_NS0_5tupleIJPjSI_NS0_16reverse_iteratorISI_EEEEENSH_IJSG_SG_SG_EEES9_SI_JZNS1_25segmented_radix_sort_implINS0_14default_configELb1EPKiPiPKlPlN2at6native12_GLOBAL__N_18offset_tEEE10hipError_tPvRmT1_PNSt15iterator_traitsIS12_E10value_typeET2_T3_PNS13_IS18_E10value_typeET4_jRbjT5_S1E_jjP12ihipStream_tbEUljE_ZNSN_ISO_Lb1ESQ_SR_ST_SU_SY_EESZ_S10_S11_S12_S16_S17_S18_S1B_S1C_jS1D_jS1E_S1E_jjS1G_bEUljE0_EEESZ_S10_S11_S18_S1C_S1E_T6_T7_T9_mT8_S1G_bDpT10_ENKUlT_T0_E_clISt17integral_constantIbLb0EES1U_EEDaS1P_S1Q_EUlS1P_E_NS1_11comp_targetILNS1_3genE8ELNS1_11target_archE1030ELNS1_3gpuE2ELNS1_3repE0EEENS1_30default_config_static_selectorELNS0_4arch9wavefront6targetE0EEEvS12_.kd
    .uniform_work_group_size: 1
    .uses_dynamic_stack: false
    .vgpr_count:     82
    .vgpr_spill_count: 0
    .wavefront_size: 32
    .workgroup_processor_mode: 1
  - .args:
      - .offset:         0
        .size:           184
        .value_kind:     by_value
    .group_segment_fixed_size: 0
    .kernarg_segment_align: 8
    .kernarg_segment_size: 184
    .language:       OpenCL C
    .language_version:
      - 2
      - 0
    .max_flat_workgroup_size: 256
    .name:           _ZN7rocprim17ROCPRIM_400000_NS6detail17trampoline_kernelINS0_13select_configILj256ELj13ELNS0_17block_load_methodE3ELS4_3ELS4_3ELNS0_20block_scan_algorithmE0ELj4294967295EEENS1_25partition_config_selectorILNS1_17partition_subalgoE4EjNS0_10empty_typeEbEEZZNS1_14partition_implILS8_4ELb0ES6_15HIP_vector_typeIjLj2EENS0_17counting_iteratorIjlEEPS9_SG_NS0_5tupleIJPjSI_NS0_16reverse_iteratorISI_EEEEENSH_IJSG_SG_SG_EEES9_SI_JZNS1_25segmented_radix_sort_implINS0_14default_configELb1EPKiPiPKlPlN2at6native12_GLOBAL__N_18offset_tEEE10hipError_tPvRmT1_PNSt15iterator_traitsIS12_E10value_typeET2_T3_PNS13_IS18_E10value_typeET4_jRbjT5_S1E_jjP12ihipStream_tbEUljE_ZNSN_ISO_Lb1ESQ_SR_ST_SU_SY_EESZ_S10_S11_S12_S16_S17_S18_S1B_S1C_jS1D_jS1E_S1E_jjS1G_bEUljE0_EEESZ_S10_S11_S18_S1C_S1E_T6_T7_T9_mT8_S1G_bDpT10_ENKUlT_T0_E_clISt17integral_constantIbLb1EES1U_EEDaS1P_S1Q_EUlS1P_E_NS1_11comp_targetILNS1_3genE0ELNS1_11target_archE4294967295ELNS1_3gpuE0ELNS1_3repE0EEENS1_30default_config_static_selectorELNS0_4arch9wavefront6targetE0EEEvS12_
    .private_segment_fixed_size: 0
    .sgpr_count:     0
    .sgpr_spill_count: 0
    .symbol:         _ZN7rocprim17ROCPRIM_400000_NS6detail17trampoline_kernelINS0_13select_configILj256ELj13ELNS0_17block_load_methodE3ELS4_3ELS4_3ELNS0_20block_scan_algorithmE0ELj4294967295EEENS1_25partition_config_selectorILNS1_17partition_subalgoE4EjNS0_10empty_typeEbEEZZNS1_14partition_implILS8_4ELb0ES6_15HIP_vector_typeIjLj2EENS0_17counting_iteratorIjlEEPS9_SG_NS0_5tupleIJPjSI_NS0_16reverse_iteratorISI_EEEEENSH_IJSG_SG_SG_EEES9_SI_JZNS1_25segmented_radix_sort_implINS0_14default_configELb1EPKiPiPKlPlN2at6native12_GLOBAL__N_18offset_tEEE10hipError_tPvRmT1_PNSt15iterator_traitsIS12_E10value_typeET2_T3_PNS13_IS18_E10value_typeET4_jRbjT5_S1E_jjP12ihipStream_tbEUljE_ZNSN_ISO_Lb1ESQ_SR_ST_SU_SY_EESZ_S10_S11_S12_S16_S17_S18_S1B_S1C_jS1D_jS1E_S1E_jjS1G_bEUljE0_EEESZ_S10_S11_S18_S1C_S1E_T6_T7_T9_mT8_S1G_bDpT10_ENKUlT_T0_E_clISt17integral_constantIbLb1EES1U_EEDaS1P_S1Q_EUlS1P_E_NS1_11comp_targetILNS1_3genE0ELNS1_11target_archE4294967295ELNS1_3gpuE0ELNS1_3repE0EEENS1_30default_config_static_selectorELNS0_4arch9wavefront6targetE0EEEvS12_.kd
    .uniform_work_group_size: 1
    .uses_dynamic_stack: false
    .vgpr_count:     0
    .vgpr_spill_count: 0
    .wavefront_size: 32
    .workgroup_processor_mode: 1
  - .args:
      - .offset:         0
        .size:           184
        .value_kind:     by_value
    .group_segment_fixed_size: 0
    .kernarg_segment_align: 8
    .kernarg_segment_size: 184
    .language:       OpenCL C
    .language_version:
      - 2
      - 0
    .max_flat_workgroup_size: 256
    .name:           _ZN7rocprim17ROCPRIM_400000_NS6detail17trampoline_kernelINS0_13select_configILj256ELj13ELNS0_17block_load_methodE3ELS4_3ELS4_3ELNS0_20block_scan_algorithmE0ELj4294967295EEENS1_25partition_config_selectorILNS1_17partition_subalgoE4EjNS0_10empty_typeEbEEZZNS1_14partition_implILS8_4ELb0ES6_15HIP_vector_typeIjLj2EENS0_17counting_iteratorIjlEEPS9_SG_NS0_5tupleIJPjSI_NS0_16reverse_iteratorISI_EEEEENSH_IJSG_SG_SG_EEES9_SI_JZNS1_25segmented_radix_sort_implINS0_14default_configELb1EPKiPiPKlPlN2at6native12_GLOBAL__N_18offset_tEEE10hipError_tPvRmT1_PNSt15iterator_traitsIS12_E10value_typeET2_T3_PNS13_IS18_E10value_typeET4_jRbjT5_S1E_jjP12ihipStream_tbEUljE_ZNSN_ISO_Lb1ESQ_SR_ST_SU_SY_EESZ_S10_S11_S12_S16_S17_S18_S1B_S1C_jS1D_jS1E_S1E_jjS1G_bEUljE0_EEESZ_S10_S11_S18_S1C_S1E_T6_T7_T9_mT8_S1G_bDpT10_ENKUlT_T0_E_clISt17integral_constantIbLb1EES1U_EEDaS1P_S1Q_EUlS1P_E_NS1_11comp_targetILNS1_3genE5ELNS1_11target_archE942ELNS1_3gpuE9ELNS1_3repE0EEENS1_30default_config_static_selectorELNS0_4arch9wavefront6targetE0EEEvS12_
    .private_segment_fixed_size: 0
    .sgpr_count:     0
    .sgpr_spill_count: 0
    .symbol:         _ZN7rocprim17ROCPRIM_400000_NS6detail17trampoline_kernelINS0_13select_configILj256ELj13ELNS0_17block_load_methodE3ELS4_3ELS4_3ELNS0_20block_scan_algorithmE0ELj4294967295EEENS1_25partition_config_selectorILNS1_17partition_subalgoE4EjNS0_10empty_typeEbEEZZNS1_14partition_implILS8_4ELb0ES6_15HIP_vector_typeIjLj2EENS0_17counting_iteratorIjlEEPS9_SG_NS0_5tupleIJPjSI_NS0_16reverse_iteratorISI_EEEEENSH_IJSG_SG_SG_EEES9_SI_JZNS1_25segmented_radix_sort_implINS0_14default_configELb1EPKiPiPKlPlN2at6native12_GLOBAL__N_18offset_tEEE10hipError_tPvRmT1_PNSt15iterator_traitsIS12_E10value_typeET2_T3_PNS13_IS18_E10value_typeET4_jRbjT5_S1E_jjP12ihipStream_tbEUljE_ZNSN_ISO_Lb1ESQ_SR_ST_SU_SY_EESZ_S10_S11_S12_S16_S17_S18_S1B_S1C_jS1D_jS1E_S1E_jjS1G_bEUljE0_EEESZ_S10_S11_S18_S1C_S1E_T6_T7_T9_mT8_S1G_bDpT10_ENKUlT_T0_E_clISt17integral_constantIbLb1EES1U_EEDaS1P_S1Q_EUlS1P_E_NS1_11comp_targetILNS1_3genE5ELNS1_11target_archE942ELNS1_3gpuE9ELNS1_3repE0EEENS1_30default_config_static_selectorELNS0_4arch9wavefront6targetE0EEEvS12_.kd
    .uniform_work_group_size: 1
    .uses_dynamic_stack: false
    .vgpr_count:     0
    .vgpr_spill_count: 0
    .wavefront_size: 32
    .workgroup_processor_mode: 1
  - .args:
      - .offset:         0
        .size:           184
        .value_kind:     by_value
    .group_segment_fixed_size: 0
    .kernarg_segment_align: 8
    .kernarg_segment_size: 184
    .language:       OpenCL C
    .language_version:
      - 2
      - 0
    .max_flat_workgroup_size: 256
    .name:           _ZN7rocprim17ROCPRIM_400000_NS6detail17trampoline_kernelINS0_13select_configILj256ELj13ELNS0_17block_load_methodE3ELS4_3ELS4_3ELNS0_20block_scan_algorithmE0ELj4294967295EEENS1_25partition_config_selectorILNS1_17partition_subalgoE4EjNS0_10empty_typeEbEEZZNS1_14partition_implILS8_4ELb0ES6_15HIP_vector_typeIjLj2EENS0_17counting_iteratorIjlEEPS9_SG_NS0_5tupleIJPjSI_NS0_16reverse_iteratorISI_EEEEENSH_IJSG_SG_SG_EEES9_SI_JZNS1_25segmented_radix_sort_implINS0_14default_configELb1EPKiPiPKlPlN2at6native12_GLOBAL__N_18offset_tEEE10hipError_tPvRmT1_PNSt15iterator_traitsIS12_E10value_typeET2_T3_PNS13_IS18_E10value_typeET4_jRbjT5_S1E_jjP12ihipStream_tbEUljE_ZNSN_ISO_Lb1ESQ_SR_ST_SU_SY_EESZ_S10_S11_S12_S16_S17_S18_S1B_S1C_jS1D_jS1E_S1E_jjS1G_bEUljE0_EEESZ_S10_S11_S18_S1C_S1E_T6_T7_T9_mT8_S1G_bDpT10_ENKUlT_T0_E_clISt17integral_constantIbLb1EES1U_EEDaS1P_S1Q_EUlS1P_E_NS1_11comp_targetILNS1_3genE4ELNS1_11target_archE910ELNS1_3gpuE8ELNS1_3repE0EEENS1_30default_config_static_selectorELNS0_4arch9wavefront6targetE0EEEvS12_
    .private_segment_fixed_size: 0
    .sgpr_count:     0
    .sgpr_spill_count: 0
    .symbol:         _ZN7rocprim17ROCPRIM_400000_NS6detail17trampoline_kernelINS0_13select_configILj256ELj13ELNS0_17block_load_methodE3ELS4_3ELS4_3ELNS0_20block_scan_algorithmE0ELj4294967295EEENS1_25partition_config_selectorILNS1_17partition_subalgoE4EjNS0_10empty_typeEbEEZZNS1_14partition_implILS8_4ELb0ES6_15HIP_vector_typeIjLj2EENS0_17counting_iteratorIjlEEPS9_SG_NS0_5tupleIJPjSI_NS0_16reverse_iteratorISI_EEEEENSH_IJSG_SG_SG_EEES9_SI_JZNS1_25segmented_radix_sort_implINS0_14default_configELb1EPKiPiPKlPlN2at6native12_GLOBAL__N_18offset_tEEE10hipError_tPvRmT1_PNSt15iterator_traitsIS12_E10value_typeET2_T3_PNS13_IS18_E10value_typeET4_jRbjT5_S1E_jjP12ihipStream_tbEUljE_ZNSN_ISO_Lb1ESQ_SR_ST_SU_SY_EESZ_S10_S11_S12_S16_S17_S18_S1B_S1C_jS1D_jS1E_S1E_jjS1G_bEUljE0_EEESZ_S10_S11_S18_S1C_S1E_T6_T7_T9_mT8_S1G_bDpT10_ENKUlT_T0_E_clISt17integral_constantIbLb1EES1U_EEDaS1P_S1Q_EUlS1P_E_NS1_11comp_targetILNS1_3genE4ELNS1_11target_archE910ELNS1_3gpuE8ELNS1_3repE0EEENS1_30default_config_static_selectorELNS0_4arch9wavefront6targetE0EEEvS12_.kd
    .uniform_work_group_size: 1
    .uses_dynamic_stack: false
    .vgpr_count:     0
    .vgpr_spill_count: 0
    .wavefront_size: 32
    .workgroup_processor_mode: 1
  - .args:
      - .offset:         0
        .size:           184
        .value_kind:     by_value
    .group_segment_fixed_size: 0
    .kernarg_segment_align: 8
    .kernarg_segment_size: 184
    .language:       OpenCL C
    .language_version:
      - 2
      - 0
    .max_flat_workgroup_size: 256
    .name:           _ZN7rocprim17ROCPRIM_400000_NS6detail17trampoline_kernelINS0_13select_configILj256ELj13ELNS0_17block_load_methodE3ELS4_3ELS4_3ELNS0_20block_scan_algorithmE0ELj4294967295EEENS1_25partition_config_selectorILNS1_17partition_subalgoE4EjNS0_10empty_typeEbEEZZNS1_14partition_implILS8_4ELb0ES6_15HIP_vector_typeIjLj2EENS0_17counting_iteratorIjlEEPS9_SG_NS0_5tupleIJPjSI_NS0_16reverse_iteratorISI_EEEEENSH_IJSG_SG_SG_EEES9_SI_JZNS1_25segmented_radix_sort_implINS0_14default_configELb1EPKiPiPKlPlN2at6native12_GLOBAL__N_18offset_tEEE10hipError_tPvRmT1_PNSt15iterator_traitsIS12_E10value_typeET2_T3_PNS13_IS18_E10value_typeET4_jRbjT5_S1E_jjP12ihipStream_tbEUljE_ZNSN_ISO_Lb1ESQ_SR_ST_SU_SY_EESZ_S10_S11_S12_S16_S17_S18_S1B_S1C_jS1D_jS1E_S1E_jjS1G_bEUljE0_EEESZ_S10_S11_S18_S1C_S1E_T6_T7_T9_mT8_S1G_bDpT10_ENKUlT_T0_E_clISt17integral_constantIbLb1EES1U_EEDaS1P_S1Q_EUlS1P_E_NS1_11comp_targetILNS1_3genE3ELNS1_11target_archE908ELNS1_3gpuE7ELNS1_3repE0EEENS1_30default_config_static_selectorELNS0_4arch9wavefront6targetE0EEEvS12_
    .private_segment_fixed_size: 0
    .sgpr_count:     0
    .sgpr_spill_count: 0
    .symbol:         _ZN7rocprim17ROCPRIM_400000_NS6detail17trampoline_kernelINS0_13select_configILj256ELj13ELNS0_17block_load_methodE3ELS4_3ELS4_3ELNS0_20block_scan_algorithmE0ELj4294967295EEENS1_25partition_config_selectorILNS1_17partition_subalgoE4EjNS0_10empty_typeEbEEZZNS1_14partition_implILS8_4ELb0ES6_15HIP_vector_typeIjLj2EENS0_17counting_iteratorIjlEEPS9_SG_NS0_5tupleIJPjSI_NS0_16reverse_iteratorISI_EEEEENSH_IJSG_SG_SG_EEES9_SI_JZNS1_25segmented_radix_sort_implINS0_14default_configELb1EPKiPiPKlPlN2at6native12_GLOBAL__N_18offset_tEEE10hipError_tPvRmT1_PNSt15iterator_traitsIS12_E10value_typeET2_T3_PNS13_IS18_E10value_typeET4_jRbjT5_S1E_jjP12ihipStream_tbEUljE_ZNSN_ISO_Lb1ESQ_SR_ST_SU_SY_EESZ_S10_S11_S12_S16_S17_S18_S1B_S1C_jS1D_jS1E_S1E_jjS1G_bEUljE0_EEESZ_S10_S11_S18_S1C_S1E_T6_T7_T9_mT8_S1G_bDpT10_ENKUlT_T0_E_clISt17integral_constantIbLb1EES1U_EEDaS1P_S1Q_EUlS1P_E_NS1_11comp_targetILNS1_3genE3ELNS1_11target_archE908ELNS1_3gpuE7ELNS1_3repE0EEENS1_30default_config_static_selectorELNS0_4arch9wavefront6targetE0EEEvS12_.kd
    .uniform_work_group_size: 1
    .uses_dynamic_stack: false
    .vgpr_count:     0
    .vgpr_spill_count: 0
    .wavefront_size: 32
    .workgroup_processor_mode: 1
  - .args:
      - .offset:         0
        .size:           184
        .value_kind:     by_value
    .group_segment_fixed_size: 0
    .kernarg_segment_align: 8
    .kernarg_segment_size: 184
    .language:       OpenCL C
    .language_version:
      - 2
      - 0
    .max_flat_workgroup_size: 256
    .name:           _ZN7rocprim17ROCPRIM_400000_NS6detail17trampoline_kernelINS0_13select_configILj256ELj13ELNS0_17block_load_methodE3ELS4_3ELS4_3ELNS0_20block_scan_algorithmE0ELj4294967295EEENS1_25partition_config_selectorILNS1_17partition_subalgoE4EjNS0_10empty_typeEbEEZZNS1_14partition_implILS8_4ELb0ES6_15HIP_vector_typeIjLj2EENS0_17counting_iteratorIjlEEPS9_SG_NS0_5tupleIJPjSI_NS0_16reverse_iteratorISI_EEEEENSH_IJSG_SG_SG_EEES9_SI_JZNS1_25segmented_radix_sort_implINS0_14default_configELb1EPKiPiPKlPlN2at6native12_GLOBAL__N_18offset_tEEE10hipError_tPvRmT1_PNSt15iterator_traitsIS12_E10value_typeET2_T3_PNS13_IS18_E10value_typeET4_jRbjT5_S1E_jjP12ihipStream_tbEUljE_ZNSN_ISO_Lb1ESQ_SR_ST_SU_SY_EESZ_S10_S11_S12_S16_S17_S18_S1B_S1C_jS1D_jS1E_S1E_jjS1G_bEUljE0_EEESZ_S10_S11_S18_S1C_S1E_T6_T7_T9_mT8_S1G_bDpT10_ENKUlT_T0_E_clISt17integral_constantIbLb1EES1U_EEDaS1P_S1Q_EUlS1P_E_NS1_11comp_targetILNS1_3genE2ELNS1_11target_archE906ELNS1_3gpuE6ELNS1_3repE0EEENS1_30default_config_static_selectorELNS0_4arch9wavefront6targetE0EEEvS12_
    .private_segment_fixed_size: 0
    .sgpr_count:     0
    .sgpr_spill_count: 0
    .symbol:         _ZN7rocprim17ROCPRIM_400000_NS6detail17trampoline_kernelINS0_13select_configILj256ELj13ELNS0_17block_load_methodE3ELS4_3ELS4_3ELNS0_20block_scan_algorithmE0ELj4294967295EEENS1_25partition_config_selectorILNS1_17partition_subalgoE4EjNS0_10empty_typeEbEEZZNS1_14partition_implILS8_4ELb0ES6_15HIP_vector_typeIjLj2EENS0_17counting_iteratorIjlEEPS9_SG_NS0_5tupleIJPjSI_NS0_16reverse_iteratorISI_EEEEENSH_IJSG_SG_SG_EEES9_SI_JZNS1_25segmented_radix_sort_implINS0_14default_configELb1EPKiPiPKlPlN2at6native12_GLOBAL__N_18offset_tEEE10hipError_tPvRmT1_PNSt15iterator_traitsIS12_E10value_typeET2_T3_PNS13_IS18_E10value_typeET4_jRbjT5_S1E_jjP12ihipStream_tbEUljE_ZNSN_ISO_Lb1ESQ_SR_ST_SU_SY_EESZ_S10_S11_S12_S16_S17_S18_S1B_S1C_jS1D_jS1E_S1E_jjS1G_bEUljE0_EEESZ_S10_S11_S18_S1C_S1E_T6_T7_T9_mT8_S1G_bDpT10_ENKUlT_T0_E_clISt17integral_constantIbLb1EES1U_EEDaS1P_S1Q_EUlS1P_E_NS1_11comp_targetILNS1_3genE2ELNS1_11target_archE906ELNS1_3gpuE6ELNS1_3repE0EEENS1_30default_config_static_selectorELNS0_4arch9wavefront6targetE0EEEvS12_.kd
    .uniform_work_group_size: 1
    .uses_dynamic_stack: false
    .vgpr_count:     0
    .vgpr_spill_count: 0
    .wavefront_size: 32
    .workgroup_processor_mode: 1
  - .args:
      - .offset:         0
        .size:           184
        .value_kind:     by_value
    .group_segment_fixed_size: 0
    .kernarg_segment_align: 8
    .kernarg_segment_size: 184
    .language:       OpenCL C
    .language_version:
      - 2
      - 0
    .max_flat_workgroup_size: 256
    .name:           _ZN7rocprim17ROCPRIM_400000_NS6detail17trampoline_kernelINS0_13select_configILj256ELj13ELNS0_17block_load_methodE3ELS4_3ELS4_3ELNS0_20block_scan_algorithmE0ELj4294967295EEENS1_25partition_config_selectorILNS1_17partition_subalgoE4EjNS0_10empty_typeEbEEZZNS1_14partition_implILS8_4ELb0ES6_15HIP_vector_typeIjLj2EENS0_17counting_iteratorIjlEEPS9_SG_NS0_5tupleIJPjSI_NS0_16reverse_iteratorISI_EEEEENSH_IJSG_SG_SG_EEES9_SI_JZNS1_25segmented_radix_sort_implINS0_14default_configELb1EPKiPiPKlPlN2at6native12_GLOBAL__N_18offset_tEEE10hipError_tPvRmT1_PNSt15iterator_traitsIS12_E10value_typeET2_T3_PNS13_IS18_E10value_typeET4_jRbjT5_S1E_jjP12ihipStream_tbEUljE_ZNSN_ISO_Lb1ESQ_SR_ST_SU_SY_EESZ_S10_S11_S12_S16_S17_S18_S1B_S1C_jS1D_jS1E_S1E_jjS1G_bEUljE0_EEESZ_S10_S11_S18_S1C_S1E_T6_T7_T9_mT8_S1G_bDpT10_ENKUlT_T0_E_clISt17integral_constantIbLb1EES1U_EEDaS1P_S1Q_EUlS1P_E_NS1_11comp_targetILNS1_3genE10ELNS1_11target_archE1200ELNS1_3gpuE4ELNS1_3repE0EEENS1_30default_config_static_selectorELNS0_4arch9wavefront6targetE0EEEvS12_
    .private_segment_fixed_size: 0
    .sgpr_count:     0
    .sgpr_spill_count: 0
    .symbol:         _ZN7rocprim17ROCPRIM_400000_NS6detail17trampoline_kernelINS0_13select_configILj256ELj13ELNS0_17block_load_methodE3ELS4_3ELS4_3ELNS0_20block_scan_algorithmE0ELj4294967295EEENS1_25partition_config_selectorILNS1_17partition_subalgoE4EjNS0_10empty_typeEbEEZZNS1_14partition_implILS8_4ELb0ES6_15HIP_vector_typeIjLj2EENS0_17counting_iteratorIjlEEPS9_SG_NS0_5tupleIJPjSI_NS0_16reverse_iteratorISI_EEEEENSH_IJSG_SG_SG_EEES9_SI_JZNS1_25segmented_radix_sort_implINS0_14default_configELb1EPKiPiPKlPlN2at6native12_GLOBAL__N_18offset_tEEE10hipError_tPvRmT1_PNSt15iterator_traitsIS12_E10value_typeET2_T3_PNS13_IS18_E10value_typeET4_jRbjT5_S1E_jjP12ihipStream_tbEUljE_ZNSN_ISO_Lb1ESQ_SR_ST_SU_SY_EESZ_S10_S11_S12_S16_S17_S18_S1B_S1C_jS1D_jS1E_S1E_jjS1G_bEUljE0_EEESZ_S10_S11_S18_S1C_S1E_T6_T7_T9_mT8_S1G_bDpT10_ENKUlT_T0_E_clISt17integral_constantIbLb1EES1U_EEDaS1P_S1Q_EUlS1P_E_NS1_11comp_targetILNS1_3genE10ELNS1_11target_archE1200ELNS1_3gpuE4ELNS1_3repE0EEENS1_30default_config_static_selectorELNS0_4arch9wavefront6targetE0EEEvS12_.kd
    .uniform_work_group_size: 1
    .uses_dynamic_stack: false
    .vgpr_count:     0
    .vgpr_spill_count: 0
    .wavefront_size: 32
    .workgroup_processor_mode: 1
  - .args:
      - .offset:         0
        .size:           184
        .value_kind:     by_value
    .group_segment_fixed_size: 0
    .kernarg_segment_align: 8
    .kernarg_segment_size: 184
    .language:       OpenCL C
    .language_version:
      - 2
      - 0
    .max_flat_workgroup_size: 256
    .name:           _ZN7rocprim17ROCPRIM_400000_NS6detail17trampoline_kernelINS0_13select_configILj256ELj13ELNS0_17block_load_methodE3ELS4_3ELS4_3ELNS0_20block_scan_algorithmE0ELj4294967295EEENS1_25partition_config_selectorILNS1_17partition_subalgoE4EjNS0_10empty_typeEbEEZZNS1_14partition_implILS8_4ELb0ES6_15HIP_vector_typeIjLj2EENS0_17counting_iteratorIjlEEPS9_SG_NS0_5tupleIJPjSI_NS0_16reverse_iteratorISI_EEEEENSH_IJSG_SG_SG_EEES9_SI_JZNS1_25segmented_radix_sort_implINS0_14default_configELb1EPKiPiPKlPlN2at6native12_GLOBAL__N_18offset_tEEE10hipError_tPvRmT1_PNSt15iterator_traitsIS12_E10value_typeET2_T3_PNS13_IS18_E10value_typeET4_jRbjT5_S1E_jjP12ihipStream_tbEUljE_ZNSN_ISO_Lb1ESQ_SR_ST_SU_SY_EESZ_S10_S11_S12_S16_S17_S18_S1B_S1C_jS1D_jS1E_S1E_jjS1G_bEUljE0_EEESZ_S10_S11_S18_S1C_S1E_T6_T7_T9_mT8_S1G_bDpT10_ENKUlT_T0_E_clISt17integral_constantIbLb1EES1U_EEDaS1P_S1Q_EUlS1P_E_NS1_11comp_targetILNS1_3genE9ELNS1_11target_archE1100ELNS1_3gpuE3ELNS1_3repE0EEENS1_30default_config_static_selectorELNS0_4arch9wavefront6targetE0EEEvS12_
    .private_segment_fixed_size: 0
    .sgpr_count:     0
    .sgpr_spill_count: 0
    .symbol:         _ZN7rocprim17ROCPRIM_400000_NS6detail17trampoline_kernelINS0_13select_configILj256ELj13ELNS0_17block_load_methodE3ELS4_3ELS4_3ELNS0_20block_scan_algorithmE0ELj4294967295EEENS1_25partition_config_selectorILNS1_17partition_subalgoE4EjNS0_10empty_typeEbEEZZNS1_14partition_implILS8_4ELb0ES6_15HIP_vector_typeIjLj2EENS0_17counting_iteratorIjlEEPS9_SG_NS0_5tupleIJPjSI_NS0_16reverse_iteratorISI_EEEEENSH_IJSG_SG_SG_EEES9_SI_JZNS1_25segmented_radix_sort_implINS0_14default_configELb1EPKiPiPKlPlN2at6native12_GLOBAL__N_18offset_tEEE10hipError_tPvRmT1_PNSt15iterator_traitsIS12_E10value_typeET2_T3_PNS13_IS18_E10value_typeET4_jRbjT5_S1E_jjP12ihipStream_tbEUljE_ZNSN_ISO_Lb1ESQ_SR_ST_SU_SY_EESZ_S10_S11_S12_S16_S17_S18_S1B_S1C_jS1D_jS1E_S1E_jjS1G_bEUljE0_EEESZ_S10_S11_S18_S1C_S1E_T6_T7_T9_mT8_S1G_bDpT10_ENKUlT_T0_E_clISt17integral_constantIbLb1EES1U_EEDaS1P_S1Q_EUlS1P_E_NS1_11comp_targetILNS1_3genE9ELNS1_11target_archE1100ELNS1_3gpuE3ELNS1_3repE0EEENS1_30default_config_static_selectorELNS0_4arch9wavefront6targetE0EEEvS12_.kd
    .uniform_work_group_size: 1
    .uses_dynamic_stack: false
    .vgpr_count:     0
    .vgpr_spill_count: 0
    .wavefront_size: 32
    .workgroup_processor_mode: 1
  - .args:
      - .offset:         0
        .size:           184
        .value_kind:     by_value
    .group_segment_fixed_size: 0
    .kernarg_segment_align: 8
    .kernarg_segment_size: 184
    .language:       OpenCL C
    .language_version:
      - 2
      - 0
    .max_flat_workgroup_size: 256
    .name:           _ZN7rocprim17ROCPRIM_400000_NS6detail17trampoline_kernelINS0_13select_configILj256ELj13ELNS0_17block_load_methodE3ELS4_3ELS4_3ELNS0_20block_scan_algorithmE0ELj4294967295EEENS1_25partition_config_selectorILNS1_17partition_subalgoE4EjNS0_10empty_typeEbEEZZNS1_14partition_implILS8_4ELb0ES6_15HIP_vector_typeIjLj2EENS0_17counting_iteratorIjlEEPS9_SG_NS0_5tupleIJPjSI_NS0_16reverse_iteratorISI_EEEEENSH_IJSG_SG_SG_EEES9_SI_JZNS1_25segmented_radix_sort_implINS0_14default_configELb1EPKiPiPKlPlN2at6native12_GLOBAL__N_18offset_tEEE10hipError_tPvRmT1_PNSt15iterator_traitsIS12_E10value_typeET2_T3_PNS13_IS18_E10value_typeET4_jRbjT5_S1E_jjP12ihipStream_tbEUljE_ZNSN_ISO_Lb1ESQ_SR_ST_SU_SY_EESZ_S10_S11_S12_S16_S17_S18_S1B_S1C_jS1D_jS1E_S1E_jjS1G_bEUljE0_EEESZ_S10_S11_S18_S1C_S1E_T6_T7_T9_mT8_S1G_bDpT10_ENKUlT_T0_E_clISt17integral_constantIbLb1EES1U_EEDaS1P_S1Q_EUlS1P_E_NS1_11comp_targetILNS1_3genE8ELNS1_11target_archE1030ELNS1_3gpuE2ELNS1_3repE0EEENS1_30default_config_static_selectorELNS0_4arch9wavefront6targetE0EEEvS12_
    .private_segment_fixed_size: 0
    .sgpr_count:     0
    .sgpr_spill_count: 0
    .symbol:         _ZN7rocprim17ROCPRIM_400000_NS6detail17trampoline_kernelINS0_13select_configILj256ELj13ELNS0_17block_load_methodE3ELS4_3ELS4_3ELNS0_20block_scan_algorithmE0ELj4294967295EEENS1_25partition_config_selectorILNS1_17partition_subalgoE4EjNS0_10empty_typeEbEEZZNS1_14partition_implILS8_4ELb0ES6_15HIP_vector_typeIjLj2EENS0_17counting_iteratorIjlEEPS9_SG_NS0_5tupleIJPjSI_NS0_16reverse_iteratorISI_EEEEENSH_IJSG_SG_SG_EEES9_SI_JZNS1_25segmented_radix_sort_implINS0_14default_configELb1EPKiPiPKlPlN2at6native12_GLOBAL__N_18offset_tEEE10hipError_tPvRmT1_PNSt15iterator_traitsIS12_E10value_typeET2_T3_PNS13_IS18_E10value_typeET4_jRbjT5_S1E_jjP12ihipStream_tbEUljE_ZNSN_ISO_Lb1ESQ_SR_ST_SU_SY_EESZ_S10_S11_S12_S16_S17_S18_S1B_S1C_jS1D_jS1E_S1E_jjS1G_bEUljE0_EEESZ_S10_S11_S18_S1C_S1E_T6_T7_T9_mT8_S1G_bDpT10_ENKUlT_T0_E_clISt17integral_constantIbLb1EES1U_EEDaS1P_S1Q_EUlS1P_E_NS1_11comp_targetILNS1_3genE8ELNS1_11target_archE1030ELNS1_3gpuE2ELNS1_3repE0EEENS1_30default_config_static_selectorELNS0_4arch9wavefront6targetE0EEEvS12_.kd
    .uniform_work_group_size: 1
    .uses_dynamic_stack: false
    .vgpr_count:     0
    .vgpr_spill_count: 0
    .wavefront_size: 32
    .workgroup_processor_mode: 1
  - .args:
      - .offset:         0
        .size:           176
        .value_kind:     by_value
    .group_segment_fixed_size: 0
    .kernarg_segment_align: 8
    .kernarg_segment_size: 176
    .language:       OpenCL C
    .language_version:
      - 2
      - 0
    .max_flat_workgroup_size: 256
    .name:           _ZN7rocprim17ROCPRIM_400000_NS6detail17trampoline_kernelINS0_13select_configILj256ELj13ELNS0_17block_load_methodE3ELS4_3ELS4_3ELNS0_20block_scan_algorithmE0ELj4294967295EEENS1_25partition_config_selectorILNS1_17partition_subalgoE4EjNS0_10empty_typeEbEEZZNS1_14partition_implILS8_4ELb0ES6_15HIP_vector_typeIjLj2EENS0_17counting_iteratorIjlEEPS9_SG_NS0_5tupleIJPjSI_NS0_16reverse_iteratorISI_EEEEENSH_IJSG_SG_SG_EEES9_SI_JZNS1_25segmented_radix_sort_implINS0_14default_configELb1EPKiPiPKlPlN2at6native12_GLOBAL__N_18offset_tEEE10hipError_tPvRmT1_PNSt15iterator_traitsIS12_E10value_typeET2_T3_PNS13_IS18_E10value_typeET4_jRbjT5_S1E_jjP12ihipStream_tbEUljE_ZNSN_ISO_Lb1ESQ_SR_ST_SU_SY_EESZ_S10_S11_S12_S16_S17_S18_S1B_S1C_jS1D_jS1E_S1E_jjS1G_bEUljE0_EEESZ_S10_S11_S18_S1C_S1E_T6_T7_T9_mT8_S1G_bDpT10_ENKUlT_T0_E_clISt17integral_constantIbLb1EES1T_IbLb0EEEEDaS1P_S1Q_EUlS1P_E_NS1_11comp_targetILNS1_3genE0ELNS1_11target_archE4294967295ELNS1_3gpuE0ELNS1_3repE0EEENS1_30default_config_static_selectorELNS0_4arch9wavefront6targetE0EEEvS12_
    .private_segment_fixed_size: 0
    .sgpr_count:     0
    .sgpr_spill_count: 0
    .symbol:         _ZN7rocprim17ROCPRIM_400000_NS6detail17trampoline_kernelINS0_13select_configILj256ELj13ELNS0_17block_load_methodE3ELS4_3ELS4_3ELNS0_20block_scan_algorithmE0ELj4294967295EEENS1_25partition_config_selectorILNS1_17partition_subalgoE4EjNS0_10empty_typeEbEEZZNS1_14partition_implILS8_4ELb0ES6_15HIP_vector_typeIjLj2EENS0_17counting_iteratorIjlEEPS9_SG_NS0_5tupleIJPjSI_NS0_16reverse_iteratorISI_EEEEENSH_IJSG_SG_SG_EEES9_SI_JZNS1_25segmented_radix_sort_implINS0_14default_configELb1EPKiPiPKlPlN2at6native12_GLOBAL__N_18offset_tEEE10hipError_tPvRmT1_PNSt15iterator_traitsIS12_E10value_typeET2_T3_PNS13_IS18_E10value_typeET4_jRbjT5_S1E_jjP12ihipStream_tbEUljE_ZNSN_ISO_Lb1ESQ_SR_ST_SU_SY_EESZ_S10_S11_S12_S16_S17_S18_S1B_S1C_jS1D_jS1E_S1E_jjS1G_bEUljE0_EEESZ_S10_S11_S18_S1C_S1E_T6_T7_T9_mT8_S1G_bDpT10_ENKUlT_T0_E_clISt17integral_constantIbLb1EES1T_IbLb0EEEEDaS1P_S1Q_EUlS1P_E_NS1_11comp_targetILNS1_3genE0ELNS1_11target_archE4294967295ELNS1_3gpuE0ELNS1_3repE0EEENS1_30default_config_static_selectorELNS0_4arch9wavefront6targetE0EEEvS12_.kd
    .uniform_work_group_size: 1
    .uses_dynamic_stack: false
    .vgpr_count:     0
    .vgpr_spill_count: 0
    .wavefront_size: 32
    .workgroup_processor_mode: 1
  - .args:
      - .offset:         0
        .size:           176
        .value_kind:     by_value
    .group_segment_fixed_size: 0
    .kernarg_segment_align: 8
    .kernarg_segment_size: 176
    .language:       OpenCL C
    .language_version:
      - 2
      - 0
    .max_flat_workgroup_size: 256
    .name:           _ZN7rocprim17ROCPRIM_400000_NS6detail17trampoline_kernelINS0_13select_configILj256ELj13ELNS0_17block_load_methodE3ELS4_3ELS4_3ELNS0_20block_scan_algorithmE0ELj4294967295EEENS1_25partition_config_selectorILNS1_17partition_subalgoE4EjNS0_10empty_typeEbEEZZNS1_14partition_implILS8_4ELb0ES6_15HIP_vector_typeIjLj2EENS0_17counting_iteratorIjlEEPS9_SG_NS0_5tupleIJPjSI_NS0_16reverse_iteratorISI_EEEEENSH_IJSG_SG_SG_EEES9_SI_JZNS1_25segmented_radix_sort_implINS0_14default_configELb1EPKiPiPKlPlN2at6native12_GLOBAL__N_18offset_tEEE10hipError_tPvRmT1_PNSt15iterator_traitsIS12_E10value_typeET2_T3_PNS13_IS18_E10value_typeET4_jRbjT5_S1E_jjP12ihipStream_tbEUljE_ZNSN_ISO_Lb1ESQ_SR_ST_SU_SY_EESZ_S10_S11_S12_S16_S17_S18_S1B_S1C_jS1D_jS1E_S1E_jjS1G_bEUljE0_EEESZ_S10_S11_S18_S1C_S1E_T6_T7_T9_mT8_S1G_bDpT10_ENKUlT_T0_E_clISt17integral_constantIbLb1EES1T_IbLb0EEEEDaS1P_S1Q_EUlS1P_E_NS1_11comp_targetILNS1_3genE5ELNS1_11target_archE942ELNS1_3gpuE9ELNS1_3repE0EEENS1_30default_config_static_selectorELNS0_4arch9wavefront6targetE0EEEvS12_
    .private_segment_fixed_size: 0
    .sgpr_count:     0
    .sgpr_spill_count: 0
    .symbol:         _ZN7rocprim17ROCPRIM_400000_NS6detail17trampoline_kernelINS0_13select_configILj256ELj13ELNS0_17block_load_methodE3ELS4_3ELS4_3ELNS0_20block_scan_algorithmE0ELj4294967295EEENS1_25partition_config_selectorILNS1_17partition_subalgoE4EjNS0_10empty_typeEbEEZZNS1_14partition_implILS8_4ELb0ES6_15HIP_vector_typeIjLj2EENS0_17counting_iteratorIjlEEPS9_SG_NS0_5tupleIJPjSI_NS0_16reverse_iteratorISI_EEEEENSH_IJSG_SG_SG_EEES9_SI_JZNS1_25segmented_radix_sort_implINS0_14default_configELb1EPKiPiPKlPlN2at6native12_GLOBAL__N_18offset_tEEE10hipError_tPvRmT1_PNSt15iterator_traitsIS12_E10value_typeET2_T3_PNS13_IS18_E10value_typeET4_jRbjT5_S1E_jjP12ihipStream_tbEUljE_ZNSN_ISO_Lb1ESQ_SR_ST_SU_SY_EESZ_S10_S11_S12_S16_S17_S18_S1B_S1C_jS1D_jS1E_S1E_jjS1G_bEUljE0_EEESZ_S10_S11_S18_S1C_S1E_T6_T7_T9_mT8_S1G_bDpT10_ENKUlT_T0_E_clISt17integral_constantIbLb1EES1T_IbLb0EEEEDaS1P_S1Q_EUlS1P_E_NS1_11comp_targetILNS1_3genE5ELNS1_11target_archE942ELNS1_3gpuE9ELNS1_3repE0EEENS1_30default_config_static_selectorELNS0_4arch9wavefront6targetE0EEEvS12_.kd
    .uniform_work_group_size: 1
    .uses_dynamic_stack: false
    .vgpr_count:     0
    .vgpr_spill_count: 0
    .wavefront_size: 32
    .workgroup_processor_mode: 1
  - .args:
      - .offset:         0
        .size:           176
        .value_kind:     by_value
    .group_segment_fixed_size: 0
    .kernarg_segment_align: 8
    .kernarg_segment_size: 176
    .language:       OpenCL C
    .language_version:
      - 2
      - 0
    .max_flat_workgroup_size: 256
    .name:           _ZN7rocprim17ROCPRIM_400000_NS6detail17trampoline_kernelINS0_13select_configILj256ELj13ELNS0_17block_load_methodE3ELS4_3ELS4_3ELNS0_20block_scan_algorithmE0ELj4294967295EEENS1_25partition_config_selectorILNS1_17partition_subalgoE4EjNS0_10empty_typeEbEEZZNS1_14partition_implILS8_4ELb0ES6_15HIP_vector_typeIjLj2EENS0_17counting_iteratorIjlEEPS9_SG_NS0_5tupleIJPjSI_NS0_16reverse_iteratorISI_EEEEENSH_IJSG_SG_SG_EEES9_SI_JZNS1_25segmented_radix_sort_implINS0_14default_configELb1EPKiPiPKlPlN2at6native12_GLOBAL__N_18offset_tEEE10hipError_tPvRmT1_PNSt15iterator_traitsIS12_E10value_typeET2_T3_PNS13_IS18_E10value_typeET4_jRbjT5_S1E_jjP12ihipStream_tbEUljE_ZNSN_ISO_Lb1ESQ_SR_ST_SU_SY_EESZ_S10_S11_S12_S16_S17_S18_S1B_S1C_jS1D_jS1E_S1E_jjS1G_bEUljE0_EEESZ_S10_S11_S18_S1C_S1E_T6_T7_T9_mT8_S1G_bDpT10_ENKUlT_T0_E_clISt17integral_constantIbLb1EES1T_IbLb0EEEEDaS1P_S1Q_EUlS1P_E_NS1_11comp_targetILNS1_3genE4ELNS1_11target_archE910ELNS1_3gpuE8ELNS1_3repE0EEENS1_30default_config_static_selectorELNS0_4arch9wavefront6targetE0EEEvS12_
    .private_segment_fixed_size: 0
    .sgpr_count:     0
    .sgpr_spill_count: 0
    .symbol:         _ZN7rocprim17ROCPRIM_400000_NS6detail17trampoline_kernelINS0_13select_configILj256ELj13ELNS0_17block_load_methodE3ELS4_3ELS4_3ELNS0_20block_scan_algorithmE0ELj4294967295EEENS1_25partition_config_selectorILNS1_17partition_subalgoE4EjNS0_10empty_typeEbEEZZNS1_14partition_implILS8_4ELb0ES6_15HIP_vector_typeIjLj2EENS0_17counting_iteratorIjlEEPS9_SG_NS0_5tupleIJPjSI_NS0_16reverse_iteratorISI_EEEEENSH_IJSG_SG_SG_EEES9_SI_JZNS1_25segmented_radix_sort_implINS0_14default_configELb1EPKiPiPKlPlN2at6native12_GLOBAL__N_18offset_tEEE10hipError_tPvRmT1_PNSt15iterator_traitsIS12_E10value_typeET2_T3_PNS13_IS18_E10value_typeET4_jRbjT5_S1E_jjP12ihipStream_tbEUljE_ZNSN_ISO_Lb1ESQ_SR_ST_SU_SY_EESZ_S10_S11_S12_S16_S17_S18_S1B_S1C_jS1D_jS1E_S1E_jjS1G_bEUljE0_EEESZ_S10_S11_S18_S1C_S1E_T6_T7_T9_mT8_S1G_bDpT10_ENKUlT_T0_E_clISt17integral_constantIbLb1EES1T_IbLb0EEEEDaS1P_S1Q_EUlS1P_E_NS1_11comp_targetILNS1_3genE4ELNS1_11target_archE910ELNS1_3gpuE8ELNS1_3repE0EEENS1_30default_config_static_selectorELNS0_4arch9wavefront6targetE0EEEvS12_.kd
    .uniform_work_group_size: 1
    .uses_dynamic_stack: false
    .vgpr_count:     0
    .vgpr_spill_count: 0
    .wavefront_size: 32
    .workgroup_processor_mode: 1
  - .args:
      - .offset:         0
        .size:           176
        .value_kind:     by_value
    .group_segment_fixed_size: 0
    .kernarg_segment_align: 8
    .kernarg_segment_size: 176
    .language:       OpenCL C
    .language_version:
      - 2
      - 0
    .max_flat_workgroup_size: 256
    .name:           _ZN7rocprim17ROCPRIM_400000_NS6detail17trampoline_kernelINS0_13select_configILj256ELj13ELNS0_17block_load_methodE3ELS4_3ELS4_3ELNS0_20block_scan_algorithmE0ELj4294967295EEENS1_25partition_config_selectorILNS1_17partition_subalgoE4EjNS0_10empty_typeEbEEZZNS1_14partition_implILS8_4ELb0ES6_15HIP_vector_typeIjLj2EENS0_17counting_iteratorIjlEEPS9_SG_NS0_5tupleIJPjSI_NS0_16reverse_iteratorISI_EEEEENSH_IJSG_SG_SG_EEES9_SI_JZNS1_25segmented_radix_sort_implINS0_14default_configELb1EPKiPiPKlPlN2at6native12_GLOBAL__N_18offset_tEEE10hipError_tPvRmT1_PNSt15iterator_traitsIS12_E10value_typeET2_T3_PNS13_IS18_E10value_typeET4_jRbjT5_S1E_jjP12ihipStream_tbEUljE_ZNSN_ISO_Lb1ESQ_SR_ST_SU_SY_EESZ_S10_S11_S12_S16_S17_S18_S1B_S1C_jS1D_jS1E_S1E_jjS1G_bEUljE0_EEESZ_S10_S11_S18_S1C_S1E_T6_T7_T9_mT8_S1G_bDpT10_ENKUlT_T0_E_clISt17integral_constantIbLb1EES1T_IbLb0EEEEDaS1P_S1Q_EUlS1P_E_NS1_11comp_targetILNS1_3genE3ELNS1_11target_archE908ELNS1_3gpuE7ELNS1_3repE0EEENS1_30default_config_static_selectorELNS0_4arch9wavefront6targetE0EEEvS12_
    .private_segment_fixed_size: 0
    .sgpr_count:     0
    .sgpr_spill_count: 0
    .symbol:         _ZN7rocprim17ROCPRIM_400000_NS6detail17trampoline_kernelINS0_13select_configILj256ELj13ELNS0_17block_load_methodE3ELS4_3ELS4_3ELNS0_20block_scan_algorithmE0ELj4294967295EEENS1_25partition_config_selectorILNS1_17partition_subalgoE4EjNS0_10empty_typeEbEEZZNS1_14partition_implILS8_4ELb0ES6_15HIP_vector_typeIjLj2EENS0_17counting_iteratorIjlEEPS9_SG_NS0_5tupleIJPjSI_NS0_16reverse_iteratorISI_EEEEENSH_IJSG_SG_SG_EEES9_SI_JZNS1_25segmented_radix_sort_implINS0_14default_configELb1EPKiPiPKlPlN2at6native12_GLOBAL__N_18offset_tEEE10hipError_tPvRmT1_PNSt15iterator_traitsIS12_E10value_typeET2_T3_PNS13_IS18_E10value_typeET4_jRbjT5_S1E_jjP12ihipStream_tbEUljE_ZNSN_ISO_Lb1ESQ_SR_ST_SU_SY_EESZ_S10_S11_S12_S16_S17_S18_S1B_S1C_jS1D_jS1E_S1E_jjS1G_bEUljE0_EEESZ_S10_S11_S18_S1C_S1E_T6_T7_T9_mT8_S1G_bDpT10_ENKUlT_T0_E_clISt17integral_constantIbLb1EES1T_IbLb0EEEEDaS1P_S1Q_EUlS1P_E_NS1_11comp_targetILNS1_3genE3ELNS1_11target_archE908ELNS1_3gpuE7ELNS1_3repE0EEENS1_30default_config_static_selectorELNS0_4arch9wavefront6targetE0EEEvS12_.kd
    .uniform_work_group_size: 1
    .uses_dynamic_stack: false
    .vgpr_count:     0
    .vgpr_spill_count: 0
    .wavefront_size: 32
    .workgroup_processor_mode: 1
  - .args:
      - .offset:         0
        .size:           176
        .value_kind:     by_value
    .group_segment_fixed_size: 0
    .kernarg_segment_align: 8
    .kernarg_segment_size: 176
    .language:       OpenCL C
    .language_version:
      - 2
      - 0
    .max_flat_workgroup_size: 256
    .name:           _ZN7rocprim17ROCPRIM_400000_NS6detail17trampoline_kernelINS0_13select_configILj256ELj13ELNS0_17block_load_methodE3ELS4_3ELS4_3ELNS0_20block_scan_algorithmE0ELj4294967295EEENS1_25partition_config_selectorILNS1_17partition_subalgoE4EjNS0_10empty_typeEbEEZZNS1_14partition_implILS8_4ELb0ES6_15HIP_vector_typeIjLj2EENS0_17counting_iteratorIjlEEPS9_SG_NS0_5tupleIJPjSI_NS0_16reverse_iteratorISI_EEEEENSH_IJSG_SG_SG_EEES9_SI_JZNS1_25segmented_radix_sort_implINS0_14default_configELb1EPKiPiPKlPlN2at6native12_GLOBAL__N_18offset_tEEE10hipError_tPvRmT1_PNSt15iterator_traitsIS12_E10value_typeET2_T3_PNS13_IS18_E10value_typeET4_jRbjT5_S1E_jjP12ihipStream_tbEUljE_ZNSN_ISO_Lb1ESQ_SR_ST_SU_SY_EESZ_S10_S11_S12_S16_S17_S18_S1B_S1C_jS1D_jS1E_S1E_jjS1G_bEUljE0_EEESZ_S10_S11_S18_S1C_S1E_T6_T7_T9_mT8_S1G_bDpT10_ENKUlT_T0_E_clISt17integral_constantIbLb1EES1T_IbLb0EEEEDaS1P_S1Q_EUlS1P_E_NS1_11comp_targetILNS1_3genE2ELNS1_11target_archE906ELNS1_3gpuE6ELNS1_3repE0EEENS1_30default_config_static_selectorELNS0_4arch9wavefront6targetE0EEEvS12_
    .private_segment_fixed_size: 0
    .sgpr_count:     0
    .sgpr_spill_count: 0
    .symbol:         _ZN7rocprim17ROCPRIM_400000_NS6detail17trampoline_kernelINS0_13select_configILj256ELj13ELNS0_17block_load_methodE3ELS4_3ELS4_3ELNS0_20block_scan_algorithmE0ELj4294967295EEENS1_25partition_config_selectorILNS1_17partition_subalgoE4EjNS0_10empty_typeEbEEZZNS1_14partition_implILS8_4ELb0ES6_15HIP_vector_typeIjLj2EENS0_17counting_iteratorIjlEEPS9_SG_NS0_5tupleIJPjSI_NS0_16reverse_iteratorISI_EEEEENSH_IJSG_SG_SG_EEES9_SI_JZNS1_25segmented_radix_sort_implINS0_14default_configELb1EPKiPiPKlPlN2at6native12_GLOBAL__N_18offset_tEEE10hipError_tPvRmT1_PNSt15iterator_traitsIS12_E10value_typeET2_T3_PNS13_IS18_E10value_typeET4_jRbjT5_S1E_jjP12ihipStream_tbEUljE_ZNSN_ISO_Lb1ESQ_SR_ST_SU_SY_EESZ_S10_S11_S12_S16_S17_S18_S1B_S1C_jS1D_jS1E_S1E_jjS1G_bEUljE0_EEESZ_S10_S11_S18_S1C_S1E_T6_T7_T9_mT8_S1G_bDpT10_ENKUlT_T0_E_clISt17integral_constantIbLb1EES1T_IbLb0EEEEDaS1P_S1Q_EUlS1P_E_NS1_11comp_targetILNS1_3genE2ELNS1_11target_archE906ELNS1_3gpuE6ELNS1_3repE0EEENS1_30default_config_static_selectorELNS0_4arch9wavefront6targetE0EEEvS12_.kd
    .uniform_work_group_size: 1
    .uses_dynamic_stack: false
    .vgpr_count:     0
    .vgpr_spill_count: 0
    .wavefront_size: 32
    .workgroup_processor_mode: 1
  - .args:
      - .offset:         0
        .size:           176
        .value_kind:     by_value
    .group_segment_fixed_size: 0
    .kernarg_segment_align: 8
    .kernarg_segment_size: 176
    .language:       OpenCL C
    .language_version:
      - 2
      - 0
    .max_flat_workgroup_size: 256
    .name:           _ZN7rocprim17ROCPRIM_400000_NS6detail17trampoline_kernelINS0_13select_configILj256ELj13ELNS0_17block_load_methodE3ELS4_3ELS4_3ELNS0_20block_scan_algorithmE0ELj4294967295EEENS1_25partition_config_selectorILNS1_17partition_subalgoE4EjNS0_10empty_typeEbEEZZNS1_14partition_implILS8_4ELb0ES6_15HIP_vector_typeIjLj2EENS0_17counting_iteratorIjlEEPS9_SG_NS0_5tupleIJPjSI_NS0_16reverse_iteratorISI_EEEEENSH_IJSG_SG_SG_EEES9_SI_JZNS1_25segmented_radix_sort_implINS0_14default_configELb1EPKiPiPKlPlN2at6native12_GLOBAL__N_18offset_tEEE10hipError_tPvRmT1_PNSt15iterator_traitsIS12_E10value_typeET2_T3_PNS13_IS18_E10value_typeET4_jRbjT5_S1E_jjP12ihipStream_tbEUljE_ZNSN_ISO_Lb1ESQ_SR_ST_SU_SY_EESZ_S10_S11_S12_S16_S17_S18_S1B_S1C_jS1D_jS1E_S1E_jjS1G_bEUljE0_EEESZ_S10_S11_S18_S1C_S1E_T6_T7_T9_mT8_S1G_bDpT10_ENKUlT_T0_E_clISt17integral_constantIbLb1EES1T_IbLb0EEEEDaS1P_S1Q_EUlS1P_E_NS1_11comp_targetILNS1_3genE10ELNS1_11target_archE1200ELNS1_3gpuE4ELNS1_3repE0EEENS1_30default_config_static_selectorELNS0_4arch9wavefront6targetE0EEEvS12_
    .private_segment_fixed_size: 0
    .sgpr_count:     0
    .sgpr_spill_count: 0
    .symbol:         _ZN7rocprim17ROCPRIM_400000_NS6detail17trampoline_kernelINS0_13select_configILj256ELj13ELNS0_17block_load_methodE3ELS4_3ELS4_3ELNS0_20block_scan_algorithmE0ELj4294967295EEENS1_25partition_config_selectorILNS1_17partition_subalgoE4EjNS0_10empty_typeEbEEZZNS1_14partition_implILS8_4ELb0ES6_15HIP_vector_typeIjLj2EENS0_17counting_iteratorIjlEEPS9_SG_NS0_5tupleIJPjSI_NS0_16reverse_iteratorISI_EEEEENSH_IJSG_SG_SG_EEES9_SI_JZNS1_25segmented_radix_sort_implINS0_14default_configELb1EPKiPiPKlPlN2at6native12_GLOBAL__N_18offset_tEEE10hipError_tPvRmT1_PNSt15iterator_traitsIS12_E10value_typeET2_T3_PNS13_IS18_E10value_typeET4_jRbjT5_S1E_jjP12ihipStream_tbEUljE_ZNSN_ISO_Lb1ESQ_SR_ST_SU_SY_EESZ_S10_S11_S12_S16_S17_S18_S1B_S1C_jS1D_jS1E_S1E_jjS1G_bEUljE0_EEESZ_S10_S11_S18_S1C_S1E_T6_T7_T9_mT8_S1G_bDpT10_ENKUlT_T0_E_clISt17integral_constantIbLb1EES1T_IbLb0EEEEDaS1P_S1Q_EUlS1P_E_NS1_11comp_targetILNS1_3genE10ELNS1_11target_archE1200ELNS1_3gpuE4ELNS1_3repE0EEENS1_30default_config_static_selectorELNS0_4arch9wavefront6targetE0EEEvS12_.kd
    .uniform_work_group_size: 1
    .uses_dynamic_stack: false
    .vgpr_count:     0
    .vgpr_spill_count: 0
    .wavefront_size: 32
    .workgroup_processor_mode: 1
  - .args:
      - .offset:         0
        .size:           176
        .value_kind:     by_value
    .group_segment_fixed_size: 0
    .kernarg_segment_align: 8
    .kernarg_segment_size: 176
    .language:       OpenCL C
    .language_version:
      - 2
      - 0
    .max_flat_workgroup_size: 256
    .name:           _ZN7rocprim17ROCPRIM_400000_NS6detail17trampoline_kernelINS0_13select_configILj256ELj13ELNS0_17block_load_methodE3ELS4_3ELS4_3ELNS0_20block_scan_algorithmE0ELj4294967295EEENS1_25partition_config_selectorILNS1_17partition_subalgoE4EjNS0_10empty_typeEbEEZZNS1_14partition_implILS8_4ELb0ES6_15HIP_vector_typeIjLj2EENS0_17counting_iteratorIjlEEPS9_SG_NS0_5tupleIJPjSI_NS0_16reverse_iteratorISI_EEEEENSH_IJSG_SG_SG_EEES9_SI_JZNS1_25segmented_radix_sort_implINS0_14default_configELb1EPKiPiPKlPlN2at6native12_GLOBAL__N_18offset_tEEE10hipError_tPvRmT1_PNSt15iterator_traitsIS12_E10value_typeET2_T3_PNS13_IS18_E10value_typeET4_jRbjT5_S1E_jjP12ihipStream_tbEUljE_ZNSN_ISO_Lb1ESQ_SR_ST_SU_SY_EESZ_S10_S11_S12_S16_S17_S18_S1B_S1C_jS1D_jS1E_S1E_jjS1G_bEUljE0_EEESZ_S10_S11_S18_S1C_S1E_T6_T7_T9_mT8_S1G_bDpT10_ENKUlT_T0_E_clISt17integral_constantIbLb1EES1T_IbLb0EEEEDaS1P_S1Q_EUlS1P_E_NS1_11comp_targetILNS1_3genE9ELNS1_11target_archE1100ELNS1_3gpuE3ELNS1_3repE0EEENS1_30default_config_static_selectorELNS0_4arch9wavefront6targetE0EEEvS12_
    .private_segment_fixed_size: 0
    .sgpr_count:     0
    .sgpr_spill_count: 0
    .symbol:         _ZN7rocprim17ROCPRIM_400000_NS6detail17trampoline_kernelINS0_13select_configILj256ELj13ELNS0_17block_load_methodE3ELS4_3ELS4_3ELNS0_20block_scan_algorithmE0ELj4294967295EEENS1_25partition_config_selectorILNS1_17partition_subalgoE4EjNS0_10empty_typeEbEEZZNS1_14partition_implILS8_4ELb0ES6_15HIP_vector_typeIjLj2EENS0_17counting_iteratorIjlEEPS9_SG_NS0_5tupleIJPjSI_NS0_16reverse_iteratorISI_EEEEENSH_IJSG_SG_SG_EEES9_SI_JZNS1_25segmented_radix_sort_implINS0_14default_configELb1EPKiPiPKlPlN2at6native12_GLOBAL__N_18offset_tEEE10hipError_tPvRmT1_PNSt15iterator_traitsIS12_E10value_typeET2_T3_PNS13_IS18_E10value_typeET4_jRbjT5_S1E_jjP12ihipStream_tbEUljE_ZNSN_ISO_Lb1ESQ_SR_ST_SU_SY_EESZ_S10_S11_S12_S16_S17_S18_S1B_S1C_jS1D_jS1E_S1E_jjS1G_bEUljE0_EEESZ_S10_S11_S18_S1C_S1E_T6_T7_T9_mT8_S1G_bDpT10_ENKUlT_T0_E_clISt17integral_constantIbLb1EES1T_IbLb0EEEEDaS1P_S1Q_EUlS1P_E_NS1_11comp_targetILNS1_3genE9ELNS1_11target_archE1100ELNS1_3gpuE3ELNS1_3repE0EEENS1_30default_config_static_selectorELNS0_4arch9wavefront6targetE0EEEvS12_.kd
    .uniform_work_group_size: 1
    .uses_dynamic_stack: false
    .vgpr_count:     0
    .vgpr_spill_count: 0
    .wavefront_size: 32
    .workgroup_processor_mode: 1
  - .args:
      - .offset:         0
        .size:           176
        .value_kind:     by_value
    .group_segment_fixed_size: 0
    .kernarg_segment_align: 8
    .kernarg_segment_size: 176
    .language:       OpenCL C
    .language_version:
      - 2
      - 0
    .max_flat_workgroup_size: 256
    .name:           _ZN7rocprim17ROCPRIM_400000_NS6detail17trampoline_kernelINS0_13select_configILj256ELj13ELNS0_17block_load_methodE3ELS4_3ELS4_3ELNS0_20block_scan_algorithmE0ELj4294967295EEENS1_25partition_config_selectorILNS1_17partition_subalgoE4EjNS0_10empty_typeEbEEZZNS1_14partition_implILS8_4ELb0ES6_15HIP_vector_typeIjLj2EENS0_17counting_iteratorIjlEEPS9_SG_NS0_5tupleIJPjSI_NS0_16reverse_iteratorISI_EEEEENSH_IJSG_SG_SG_EEES9_SI_JZNS1_25segmented_radix_sort_implINS0_14default_configELb1EPKiPiPKlPlN2at6native12_GLOBAL__N_18offset_tEEE10hipError_tPvRmT1_PNSt15iterator_traitsIS12_E10value_typeET2_T3_PNS13_IS18_E10value_typeET4_jRbjT5_S1E_jjP12ihipStream_tbEUljE_ZNSN_ISO_Lb1ESQ_SR_ST_SU_SY_EESZ_S10_S11_S12_S16_S17_S18_S1B_S1C_jS1D_jS1E_S1E_jjS1G_bEUljE0_EEESZ_S10_S11_S18_S1C_S1E_T6_T7_T9_mT8_S1G_bDpT10_ENKUlT_T0_E_clISt17integral_constantIbLb1EES1T_IbLb0EEEEDaS1P_S1Q_EUlS1P_E_NS1_11comp_targetILNS1_3genE8ELNS1_11target_archE1030ELNS1_3gpuE2ELNS1_3repE0EEENS1_30default_config_static_selectorELNS0_4arch9wavefront6targetE0EEEvS12_
    .private_segment_fixed_size: 0
    .sgpr_count:     0
    .sgpr_spill_count: 0
    .symbol:         _ZN7rocprim17ROCPRIM_400000_NS6detail17trampoline_kernelINS0_13select_configILj256ELj13ELNS0_17block_load_methodE3ELS4_3ELS4_3ELNS0_20block_scan_algorithmE0ELj4294967295EEENS1_25partition_config_selectorILNS1_17partition_subalgoE4EjNS0_10empty_typeEbEEZZNS1_14partition_implILS8_4ELb0ES6_15HIP_vector_typeIjLj2EENS0_17counting_iteratorIjlEEPS9_SG_NS0_5tupleIJPjSI_NS0_16reverse_iteratorISI_EEEEENSH_IJSG_SG_SG_EEES9_SI_JZNS1_25segmented_radix_sort_implINS0_14default_configELb1EPKiPiPKlPlN2at6native12_GLOBAL__N_18offset_tEEE10hipError_tPvRmT1_PNSt15iterator_traitsIS12_E10value_typeET2_T3_PNS13_IS18_E10value_typeET4_jRbjT5_S1E_jjP12ihipStream_tbEUljE_ZNSN_ISO_Lb1ESQ_SR_ST_SU_SY_EESZ_S10_S11_S12_S16_S17_S18_S1B_S1C_jS1D_jS1E_S1E_jjS1G_bEUljE0_EEESZ_S10_S11_S18_S1C_S1E_T6_T7_T9_mT8_S1G_bDpT10_ENKUlT_T0_E_clISt17integral_constantIbLb1EES1T_IbLb0EEEEDaS1P_S1Q_EUlS1P_E_NS1_11comp_targetILNS1_3genE8ELNS1_11target_archE1030ELNS1_3gpuE2ELNS1_3repE0EEENS1_30default_config_static_selectorELNS0_4arch9wavefront6targetE0EEEvS12_.kd
    .uniform_work_group_size: 1
    .uses_dynamic_stack: false
    .vgpr_count:     0
    .vgpr_spill_count: 0
    .wavefront_size: 32
    .workgroup_processor_mode: 1
  - .args:
      - .offset:         0
        .size:           184
        .value_kind:     by_value
    .group_segment_fixed_size: 0
    .kernarg_segment_align: 8
    .kernarg_segment_size: 184
    .language:       OpenCL C
    .language_version:
      - 2
      - 0
    .max_flat_workgroup_size: 256
    .name:           _ZN7rocprim17ROCPRIM_400000_NS6detail17trampoline_kernelINS0_13select_configILj256ELj13ELNS0_17block_load_methodE3ELS4_3ELS4_3ELNS0_20block_scan_algorithmE0ELj4294967295EEENS1_25partition_config_selectorILNS1_17partition_subalgoE4EjNS0_10empty_typeEbEEZZNS1_14partition_implILS8_4ELb0ES6_15HIP_vector_typeIjLj2EENS0_17counting_iteratorIjlEEPS9_SG_NS0_5tupleIJPjSI_NS0_16reverse_iteratorISI_EEEEENSH_IJSG_SG_SG_EEES9_SI_JZNS1_25segmented_radix_sort_implINS0_14default_configELb1EPKiPiPKlPlN2at6native12_GLOBAL__N_18offset_tEEE10hipError_tPvRmT1_PNSt15iterator_traitsIS12_E10value_typeET2_T3_PNS13_IS18_E10value_typeET4_jRbjT5_S1E_jjP12ihipStream_tbEUljE_ZNSN_ISO_Lb1ESQ_SR_ST_SU_SY_EESZ_S10_S11_S12_S16_S17_S18_S1B_S1C_jS1D_jS1E_S1E_jjS1G_bEUljE0_EEESZ_S10_S11_S18_S1C_S1E_T6_T7_T9_mT8_S1G_bDpT10_ENKUlT_T0_E_clISt17integral_constantIbLb0EES1T_IbLb1EEEEDaS1P_S1Q_EUlS1P_E_NS1_11comp_targetILNS1_3genE0ELNS1_11target_archE4294967295ELNS1_3gpuE0ELNS1_3repE0EEENS1_30default_config_static_selectorELNS0_4arch9wavefront6targetE0EEEvS12_
    .private_segment_fixed_size: 0
    .sgpr_count:     0
    .sgpr_spill_count: 0
    .symbol:         _ZN7rocprim17ROCPRIM_400000_NS6detail17trampoline_kernelINS0_13select_configILj256ELj13ELNS0_17block_load_methodE3ELS4_3ELS4_3ELNS0_20block_scan_algorithmE0ELj4294967295EEENS1_25partition_config_selectorILNS1_17partition_subalgoE4EjNS0_10empty_typeEbEEZZNS1_14partition_implILS8_4ELb0ES6_15HIP_vector_typeIjLj2EENS0_17counting_iteratorIjlEEPS9_SG_NS0_5tupleIJPjSI_NS0_16reverse_iteratorISI_EEEEENSH_IJSG_SG_SG_EEES9_SI_JZNS1_25segmented_radix_sort_implINS0_14default_configELb1EPKiPiPKlPlN2at6native12_GLOBAL__N_18offset_tEEE10hipError_tPvRmT1_PNSt15iterator_traitsIS12_E10value_typeET2_T3_PNS13_IS18_E10value_typeET4_jRbjT5_S1E_jjP12ihipStream_tbEUljE_ZNSN_ISO_Lb1ESQ_SR_ST_SU_SY_EESZ_S10_S11_S12_S16_S17_S18_S1B_S1C_jS1D_jS1E_S1E_jjS1G_bEUljE0_EEESZ_S10_S11_S18_S1C_S1E_T6_T7_T9_mT8_S1G_bDpT10_ENKUlT_T0_E_clISt17integral_constantIbLb0EES1T_IbLb1EEEEDaS1P_S1Q_EUlS1P_E_NS1_11comp_targetILNS1_3genE0ELNS1_11target_archE4294967295ELNS1_3gpuE0ELNS1_3repE0EEENS1_30default_config_static_selectorELNS0_4arch9wavefront6targetE0EEEvS12_.kd
    .uniform_work_group_size: 1
    .uses_dynamic_stack: false
    .vgpr_count:     0
    .vgpr_spill_count: 0
    .wavefront_size: 32
    .workgroup_processor_mode: 1
  - .args:
      - .offset:         0
        .size:           184
        .value_kind:     by_value
    .group_segment_fixed_size: 0
    .kernarg_segment_align: 8
    .kernarg_segment_size: 184
    .language:       OpenCL C
    .language_version:
      - 2
      - 0
    .max_flat_workgroup_size: 256
    .name:           _ZN7rocprim17ROCPRIM_400000_NS6detail17trampoline_kernelINS0_13select_configILj256ELj13ELNS0_17block_load_methodE3ELS4_3ELS4_3ELNS0_20block_scan_algorithmE0ELj4294967295EEENS1_25partition_config_selectorILNS1_17partition_subalgoE4EjNS0_10empty_typeEbEEZZNS1_14partition_implILS8_4ELb0ES6_15HIP_vector_typeIjLj2EENS0_17counting_iteratorIjlEEPS9_SG_NS0_5tupleIJPjSI_NS0_16reverse_iteratorISI_EEEEENSH_IJSG_SG_SG_EEES9_SI_JZNS1_25segmented_radix_sort_implINS0_14default_configELb1EPKiPiPKlPlN2at6native12_GLOBAL__N_18offset_tEEE10hipError_tPvRmT1_PNSt15iterator_traitsIS12_E10value_typeET2_T3_PNS13_IS18_E10value_typeET4_jRbjT5_S1E_jjP12ihipStream_tbEUljE_ZNSN_ISO_Lb1ESQ_SR_ST_SU_SY_EESZ_S10_S11_S12_S16_S17_S18_S1B_S1C_jS1D_jS1E_S1E_jjS1G_bEUljE0_EEESZ_S10_S11_S18_S1C_S1E_T6_T7_T9_mT8_S1G_bDpT10_ENKUlT_T0_E_clISt17integral_constantIbLb0EES1T_IbLb1EEEEDaS1P_S1Q_EUlS1P_E_NS1_11comp_targetILNS1_3genE5ELNS1_11target_archE942ELNS1_3gpuE9ELNS1_3repE0EEENS1_30default_config_static_selectorELNS0_4arch9wavefront6targetE0EEEvS12_
    .private_segment_fixed_size: 0
    .sgpr_count:     0
    .sgpr_spill_count: 0
    .symbol:         _ZN7rocprim17ROCPRIM_400000_NS6detail17trampoline_kernelINS0_13select_configILj256ELj13ELNS0_17block_load_methodE3ELS4_3ELS4_3ELNS0_20block_scan_algorithmE0ELj4294967295EEENS1_25partition_config_selectorILNS1_17partition_subalgoE4EjNS0_10empty_typeEbEEZZNS1_14partition_implILS8_4ELb0ES6_15HIP_vector_typeIjLj2EENS0_17counting_iteratorIjlEEPS9_SG_NS0_5tupleIJPjSI_NS0_16reverse_iteratorISI_EEEEENSH_IJSG_SG_SG_EEES9_SI_JZNS1_25segmented_radix_sort_implINS0_14default_configELb1EPKiPiPKlPlN2at6native12_GLOBAL__N_18offset_tEEE10hipError_tPvRmT1_PNSt15iterator_traitsIS12_E10value_typeET2_T3_PNS13_IS18_E10value_typeET4_jRbjT5_S1E_jjP12ihipStream_tbEUljE_ZNSN_ISO_Lb1ESQ_SR_ST_SU_SY_EESZ_S10_S11_S12_S16_S17_S18_S1B_S1C_jS1D_jS1E_S1E_jjS1G_bEUljE0_EEESZ_S10_S11_S18_S1C_S1E_T6_T7_T9_mT8_S1G_bDpT10_ENKUlT_T0_E_clISt17integral_constantIbLb0EES1T_IbLb1EEEEDaS1P_S1Q_EUlS1P_E_NS1_11comp_targetILNS1_3genE5ELNS1_11target_archE942ELNS1_3gpuE9ELNS1_3repE0EEENS1_30default_config_static_selectorELNS0_4arch9wavefront6targetE0EEEvS12_.kd
    .uniform_work_group_size: 1
    .uses_dynamic_stack: false
    .vgpr_count:     0
    .vgpr_spill_count: 0
    .wavefront_size: 32
    .workgroup_processor_mode: 1
  - .args:
      - .offset:         0
        .size:           184
        .value_kind:     by_value
    .group_segment_fixed_size: 0
    .kernarg_segment_align: 8
    .kernarg_segment_size: 184
    .language:       OpenCL C
    .language_version:
      - 2
      - 0
    .max_flat_workgroup_size: 256
    .name:           _ZN7rocprim17ROCPRIM_400000_NS6detail17trampoline_kernelINS0_13select_configILj256ELj13ELNS0_17block_load_methodE3ELS4_3ELS4_3ELNS0_20block_scan_algorithmE0ELj4294967295EEENS1_25partition_config_selectorILNS1_17partition_subalgoE4EjNS0_10empty_typeEbEEZZNS1_14partition_implILS8_4ELb0ES6_15HIP_vector_typeIjLj2EENS0_17counting_iteratorIjlEEPS9_SG_NS0_5tupleIJPjSI_NS0_16reverse_iteratorISI_EEEEENSH_IJSG_SG_SG_EEES9_SI_JZNS1_25segmented_radix_sort_implINS0_14default_configELb1EPKiPiPKlPlN2at6native12_GLOBAL__N_18offset_tEEE10hipError_tPvRmT1_PNSt15iterator_traitsIS12_E10value_typeET2_T3_PNS13_IS18_E10value_typeET4_jRbjT5_S1E_jjP12ihipStream_tbEUljE_ZNSN_ISO_Lb1ESQ_SR_ST_SU_SY_EESZ_S10_S11_S12_S16_S17_S18_S1B_S1C_jS1D_jS1E_S1E_jjS1G_bEUljE0_EEESZ_S10_S11_S18_S1C_S1E_T6_T7_T9_mT8_S1G_bDpT10_ENKUlT_T0_E_clISt17integral_constantIbLb0EES1T_IbLb1EEEEDaS1P_S1Q_EUlS1P_E_NS1_11comp_targetILNS1_3genE4ELNS1_11target_archE910ELNS1_3gpuE8ELNS1_3repE0EEENS1_30default_config_static_selectorELNS0_4arch9wavefront6targetE0EEEvS12_
    .private_segment_fixed_size: 0
    .sgpr_count:     0
    .sgpr_spill_count: 0
    .symbol:         _ZN7rocprim17ROCPRIM_400000_NS6detail17trampoline_kernelINS0_13select_configILj256ELj13ELNS0_17block_load_methodE3ELS4_3ELS4_3ELNS0_20block_scan_algorithmE0ELj4294967295EEENS1_25partition_config_selectorILNS1_17partition_subalgoE4EjNS0_10empty_typeEbEEZZNS1_14partition_implILS8_4ELb0ES6_15HIP_vector_typeIjLj2EENS0_17counting_iteratorIjlEEPS9_SG_NS0_5tupleIJPjSI_NS0_16reverse_iteratorISI_EEEEENSH_IJSG_SG_SG_EEES9_SI_JZNS1_25segmented_radix_sort_implINS0_14default_configELb1EPKiPiPKlPlN2at6native12_GLOBAL__N_18offset_tEEE10hipError_tPvRmT1_PNSt15iterator_traitsIS12_E10value_typeET2_T3_PNS13_IS18_E10value_typeET4_jRbjT5_S1E_jjP12ihipStream_tbEUljE_ZNSN_ISO_Lb1ESQ_SR_ST_SU_SY_EESZ_S10_S11_S12_S16_S17_S18_S1B_S1C_jS1D_jS1E_S1E_jjS1G_bEUljE0_EEESZ_S10_S11_S18_S1C_S1E_T6_T7_T9_mT8_S1G_bDpT10_ENKUlT_T0_E_clISt17integral_constantIbLb0EES1T_IbLb1EEEEDaS1P_S1Q_EUlS1P_E_NS1_11comp_targetILNS1_3genE4ELNS1_11target_archE910ELNS1_3gpuE8ELNS1_3repE0EEENS1_30default_config_static_selectorELNS0_4arch9wavefront6targetE0EEEvS12_.kd
    .uniform_work_group_size: 1
    .uses_dynamic_stack: false
    .vgpr_count:     0
    .vgpr_spill_count: 0
    .wavefront_size: 32
    .workgroup_processor_mode: 1
  - .args:
      - .offset:         0
        .size:           184
        .value_kind:     by_value
    .group_segment_fixed_size: 0
    .kernarg_segment_align: 8
    .kernarg_segment_size: 184
    .language:       OpenCL C
    .language_version:
      - 2
      - 0
    .max_flat_workgroup_size: 256
    .name:           _ZN7rocprim17ROCPRIM_400000_NS6detail17trampoline_kernelINS0_13select_configILj256ELj13ELNS0_17block_load_methodE3ELS4_3ELS4_3ELNS0_20block_scan_algorithmE0ELj4294967295EEENS1_25partition_config_selectorILNS1_17partition_subalgoE4EjNS0_10empty_typeEbEEZZNS1_14partition_implILS8_4ELb0ES6_15HIP_vector_typeIjLj2EENS0_17counting_iteratorIjlEEPS9_SG_NS0_5tupleIJPjSI_NS0_16reverse_iteratorISI_EEEEENSH_IJSG_SG_SG_EEES9_SI_JZNS1_25segmented_radix_sort_implINS0_14default_configELb1EPKiPiPKlPlN2at6native12_GLOBAL__N_18offset_tEEE10hipError_tPvRmT1_PNSt15iterator_traitsIS12_E10value_typeET2_T3_PNS13_IS18_E10value_typeET4_jRbjT5_S1E_jjP12ihipStream_tbEUljE_ZNSN_ISO_Lb1ESQ_SR_ST_SU_SY_EESZ_S10_S11_S12_S16_S17_S18_S1B_S1C_jS1D_jS1E_S1E_jjS1G_bEUljE0_EEESZ_S10_S11_S18_S1C_S1E_T6_T7_T9_mT8_S1G_bDpT10_ENKUlT_T0_E_clISt17integral_constantIbLb0EES1T_IbLb1EEEEDaS1P_S1Q_EUlS1P_E_NS1_11comp_targetILNS1_3genE3ELNS1_11target_archE908ELNS1_3gpuE7ELNS1_3repE0EEENS1_30default_config_static_selectorELNS0_4arch9wavefront6targetE0EEEvS12_
    .private_segment_fixed_size: 0
    .sgpr_count:     0
    .sgpr_spill_count: 0
    .symbol:         _ZN7rocprim17ROCPRIM_400000_NS6detail17trampoline_kernelINS0_13select_configILj256ELj13ELNS0_17block_load_methodE3ELS4_3ELS4_3ELNS0_20block_scan_algorithmE0ELj4294967295EEENS1_25partition_config_selectorILNS1_17partition_subalgoE4EjNS0_10empty_typeEbEEZZNS1_14partition_implILS8_4ELb0ES6_15HIP_vector_typeIjLj2EENS0_17counting_iteratorIjlEEPS9_SG_NS0_5tupleIJPjSI_NS0_16reverse_iteratorISI_EEEEENSH_IJSG_SG_SG_EEES9_SI_JZNS1_25segmented_radix_sort_implINS0_14default_configELb1EPKiPiPKlPlN2at6native12_GLOBAL__N_18offset_tEEE10hipError_tPvRmT1_PNSt15iterator_traitsIS12_E10value_typeET2_T3_PNS13_IS18_E10value_typeET4_jRbjT5_S1E_jjP12ihipStream_tbEUljE_ZNSN_ISO_Lb1ESQ_SR_ST_SU_SY_EESZ_S10_S11_S12_S16_S17_S18_S1B_S1C_jS1D_jS1E_S1E_jjS1G_bEUljE0_EEESZ_S10_S11_S18_S1C_S1E_T6_T7_T9_mT8_S1G_bDpT10_ENKUlT_T0_E_clISt17integral_constantIbLb0EES1T_IbLb1EEEEDaS1P_S1Q_EUlS1P_E_NS1_11comp_targetILNS1_3genE3ELNS1_11target_archE908ELNS1_3gpuE7ELNS1_3repE0EEENS1_30default_config_static_selectorELNS0_4arch9wavefront6targetE0EEEvS12_.kd
    .uniform_work_group_size: 1
    .uses_dynamic_stack: false
    .vgpr_count:     0
    .vgpr_spill_count: 0
    .wavefront_size: 32
    .workgroup_processor_mode: 1
  - .args:
      - .offset:         0
        .size:           184
        .value_kind:     by_value
    .group_segment_fixed_size: 0
    .kernarg_segment_align: 8
    .kernarg_segment_size: 184
    .language:       OpenCL C
    .language_version:
      - 2
      - 0
    .max_flat_workgroup_size: 256
    .name:           _ZN7rocprim17ROCPRIM_400000_NS6detail17trampoline_kernelINS0_13select_configILj256ELj13ELNS0_17block_load_methodE3ELS4_3ELS4_3ELNS0_20block_scan_algorithmE0ELj4294967295EEENS1_25partition_config_selectorILNS1_17partition_subalgoE4EjNS0_10empty_typeEbEEZZNS1_14partition_implILS8_4ELb0ES6_15HIP_vector_typeIjLj2EENS0_17counting_iteratorIjlEEPS9_SG_NS0_5tupleIJPjSI_NS0_16reverse_iteratorISI_EEEEENSH_IJSG_SG_SG_EEES9_SI_JZNS1_25segmented_radix_sort_implINS0_14default_configELb1EPKiPiPKlPlN2at6native12_GLOBAL__N_18offset_tEEE10hipError_tPvRmT1_PNSt15iterator_traitsIS12_E10value_typeET2_T3_PNS13_IS18_E10value_typeET4_jRbjT5_S1E_jjP12ihipStream_tbEUljE_ZNSN_ISO_Lb1ESQ_SR_ST_SU_SY_EESZ_S10_S11_S12_S16_S17_S18_S1B_S1C_jS1D_jS1E_S1E_jjS1G_bEUljE0_EEESZ_S10_S11_S18_S1C_S1E_T6_T7_T9_mT8_S1G_bDpT10_ENKUlT_T0_E_clISt17integral_constantIbLb0EES1T_IbLb1EEEEDaS1P_S1Q_EUlS1P_E_NS1_11comp_targetILNS1_3genE2ELNS1_11target_archE906ELNS1_3gpuE6ELNS1_3repE0EEENS1_30default_config_static_selectorELNS0_4arch9wavefront6targetE0EEEvS12_
    .private_segment_fixed_size: 0
    .sgpr_count:     0
    .sgpr_spill_count: 0
    .symbol:         _ZN7rocprim17ROCPRIM_400000_NS6detail17trampoline_kernelINS0_13select_configILj256ELj13ELNS0_17block_load_methodE3ELS4_3ELS4_3ELNS0_20block_scan_algorithmE0ELj4294967295EEENS1_25partition_config_selectorILNS1_17partition_subalgoE4EjNS0_10empty_typeEbEEZZNS1_14partition_implILS8_4ELb0ES6_15HIP_vector_typeIjLj2EENS0_17counting_iteratorIjlEEPS9_SG_NS0_5tupleIJPjSI_NS0_16reverse_iteratorISI_EEEEENSH_IJSG_SG_SG_EEES9_SI_JZNS1_25segmented_radix_sort_implINS0_14default_configELb1EPKiPiPKlPlN2at6native12_GLOBAL__N_18offset_tEEE10hipError_tPvRmT1_PNSt15iterator_traitsIS12_E10value_typeET2_T3_PNS13_IS18_E10value_typeET4_jRbjT5_S1E_jjP12ihipStream_tbEUljE_ZNSN_ISO_Lb1ESQ_SR_ST_SU_SY_EESZ_S10_S11_S12_S16_S17_S18_S1B_S1C_jS1D_jS1E_S1E_jjS1G_bEUljE0_EEESZ_S10_S11_S18_S1C_S1E_T6_T7_T9_mT8_S1G_bDpT10_ENKUlT_T0_E_clISt17integral_constantIbLb0EES1T_IbLb1EEEEDaS1P_S1Q_EUlS1P_E_NS1_11comp_targetILNS1_3genE2ELNS1_11target_archE906ELNS1_3gpuE6ELNS1_3repE0EEENS1_30default_config_static_selectorELNS0_4arch9wavefront6targetE0EEEvS12_.kd
    .uniform_work_group_size: 1
    .uses_dynamic_stack: false
    .vgpr_count:     0
    .vgpr_spill_count: 0
    .wavefront_size: 32
    .workgroup_processor_mode: 1
  - .args:
      - .offset:         0
        .size:           184
        .value_kind:     by_value
    .group_segment_fixed_size: 0
    .kernarg_segment_align: 8
    .kernarg_segment_size: 184
    .language:       OpenCL C
    .language_version:
      - 2
      - 0
    .max_flat_workgroup_size: 256
    .name:           _ZN7rocprim17ROCPRIM_400000_NS6detail17trampoline_kernelINS0_13select_configILj256ELj13ELNS0_17block_load_methodE3ELS4_3ELS4_3ELNS0_20block_scan_algorithmE0ELj4294967295EEENS1_25partition_config_selectorILNS1_17partition_subalgoE4EjNS0_10empty_typeEbEEZZNS1_14partition_implILS8_4ELb0ES6_15HIP_vector_typeIjLj2EENS0_17counting_iteratorIjlEEPS9_SG_NS0_5tupleIJPjSI_NS0_16reverse_iteratorISI_EEEEENSH_IJSG_SG_SG_EEES9_SI_JZNS1_25segmented_radix_sort_implINS0_14default_configELb1EPKiPiPKlPlN2at6native12_GLOBAL__N_18offset_tEEE10hipError_tPvRmT1_PNSt15iterator_traitsIS12_E10value_typeET2_T3_PNS13_IS18_E10value_typeET4_jRbjT5_S1E_jjP12ihipStream_tbEUljE_ZNSN_ISO_Lb1ESQ_SR_ST_SU_SY_EESZ_S10_S11_S12_S16_S17_S18_S1B_S1C_jS1D_jS1E_S1E_jjS1G_bEUljE0_EEESZ_S10_S11_S18_S1C_S1E_T6_T7_T9_mT8_S1G_bDpT10_ENKUlT_T0_E_clISt17integral_constantIbLb0EES1T_IbLb1EEEEDaS1P_S1Q_EUlS1P_E_NS1_11comp_targetILNS1_3genE10ELNS1_11target_archE1200ELNS1_3gpuE4ELNS1_3repE0EEENS1_30default_config_static_selectorELNS0_4arch9wavefront6targetE0EEEvS12_
    .private_segment_fixed_size: 0
    .sgpr_count:     0
    .sgpr_spill_count: 0
    .symbol:         _ZN7rocprim17ROCPRIM_400000_NS6detail17trampoline_kernelINS0_13select_configILj256ELj13ELNS0_17block_load_methodE3ELS4_3ELS4_3ELNS0_20block_scan_algorithmE0ELj4294967295EEENS1_25partition_config_selectorILNS1_17partition_subalgoE4EjNS0_10empty_typeEbEEZZNS1_14partition_implILS8_4ELb0ES6_15HIP_vector_typeIjLj2EENS0_17counting_iteratorIjlEEPS9_SG_NS0_5tupleIJPjSI_NS0_16reverse_iteratorISI_EEEEENSH_IJSG_SG_SG_EEES9_SI_JZNS1_25segmented_radix_sort_implINS0_14default_configELb1EPKiPiPKlPlN2at6native12_GLOBAL__N_18offset_tEEE10hipError_tPvRmT1_PNSt15iterator_traitsIS12_E10value_typeET2_T3_PNS13_IS18_E10value_typeET4_jRbjT5_S1E_jjP12ihipStream_tbEUljE_ZNSN_ISO_Lb1ESQ_SR_ST_SU_SY_EESZ_S10_S11_S12_S16_S17_S18_S1B_S1C_jS1D_jS1E_S1E_jjS1G_bEUljE0_EEESZ_S10_S11_S18_S1C_S1E_T6_T7_T9_mT8_S1G_bDpT10_ENKUlT_T0_E_clISt17integral_constantIbLb0EES1T_IbLb1EEEEDaS1P_S1Q_EUlS1P_E_NS1_11comp_targetILNS1_3genE10ELNS1_11target_archE1200ELNS1_3gpuE4ELNS1_3repE0EEENS1_30default_config_static_selectorELNS0_4arch9wavefront6targetE0EEEvS12_.kd
    .uniform_work_group_size: 1
    .uses_dynamic_stack: false
    .vgpr_count:     0
    .vgpr_spill_count: 0
    .wavefront_size: 32
    .workgroup_processor_mode: 1
  - .args:
      - .offset:         0
        .size:           184
        .value_kind:     by_value
    .group_segment_fixed_size: 0
    .kernarg_segment_align: 8
    .kernarg_segment_size: 184
    .language:       OpenCL C
    .language_version:
      - 2
      - 0
    .max_flat_workgroup_size: 256
    .name:           _ZN7rocprim17ROCPRIM_400000_NS6detail17trampoline_kernelINS0_13select_configILj256ELj13ELNS0_17block_load_methodE3ELS4_3ELS4_3ELNS0_20block_scan_algorithmE0ELj4294967295EEENS1_25partition_config_selectorILNS1_17partition_subalgoE4EjNS0_10empty_typeEbEEZZNS1_14partition_implILS8_4ELb0ES6_15HIP_vector_typeIjLj2EENS0_17counting_iteratorIjlEEPS9_SG_NS0_5tupleIJPjSI_NS0_16reverse_iteratorISI_EEEEENSH_IJSG_SG_SG_EEES9_SI_JZNS1_25segmented_radix_sort_implINS0_14default_configELb1EPKiPiPKlPlN2at6native12_GLOBAL__N_18offset_tEEE10hipError_tPvRmT1_PNSt15iterator_traitsIS12_E10value_typeET2_T3_PNS13_IS18_E10value_typeET4_jRbjT5_S1E_jjP12ihipStream_tbEUljE_ZNSN_ISO_Lb1ESQ_SR_ST_SU_SY_EESZ_S10_S11_S12_S16_S17_S18_S1B_S1C_jS1D_jS1E_S1E_jjS1G_bEUljE0_EEESZ_S10_S11_S18_S1C_S1E_T6_T7_T9_mT8_S1G_bDpT10_ENKUlT_T0_E_clISt17integral_constantIbLb0EES1T_IbLb1EEEEDaS1P_S1Q_EUlS1P_E_NS1_11comp_targetILNS1_3genE9ELNS1_11target_archE1100ELNS1_3gpuE3ELNS1_3repE0EEENS1_30default_config_static_selectorELNS0_4arch9wavefront6targetE0EEEvS12_
    .private_segment_fixed_size: 0
    .sgpr_count:     0
    .sgpr_spill_count: 0
    .symbol:         _ZN7rocprim17ROCPRIM_400000_NS6detail17trampoline_kernelINS0_13select_configILj256ELj13ELNS0_17block_load_methodE3ELS4_3ELS4_3ELNS0_20block_scan_algorithmE0ELj4294967295EEENS1_25partition_config_selectorILNS1_17partition_subalgoE4EjNS0_10empty_typeEbEEZZNS1_14partition_implILS8_4ELb0ES6_15HIP_vector_typeIjLj2EENS0_17counting_iteratorIjlEEPS9_SG_NS0_5tupleIJPjSI_NS0_16reverse_iteratorISI_EEEEENSH_IJSG_SG_SG_EEES9_SI_JZNS1_25segmented_radix_sort_implINS0_14default_configELb1EPKiPiPKlPlN2at6native12_GLOBAL__N_18offset_tEEE10hipError_tPvRmT1_PNSt15iterator_traitsIS12_E10value_typeET2_T3_PNS13_IS18_E10value_typeET4_jRbjT5_S1E_jjP12ihipStream_tbEUljE_ZNSN_ISO_Lb1ESQ_SR_ST_SU_SY_EESZ_S10_S11_S12_S16_S17_S18_S1B_S1C_jS1D_jS1E_S1E_jjS1G_bEUljE0_EEESZ_S10_S11_S18_S1C_S1E_T6_T7_T9_mT8_S1G_bDpT10_ENKUlT_T0_E_clISt17integral_constantIbLb0EES1T_IbLb1EEEEDaS1P_S1Q_EUlS1P_E_NS1_11comp_targetILNS1_3genE9ELNS1_11target_archE1100ELNS1_3gpuE3ELNS1_3repE0EEENS1_30default_config_static_selectorELNS0_4arch9wavefront6targetE0EEEvS12_.kd
    .uniform_work_group_size: 1
    .uses_dynamic_stack: false
    .vgpr_count:     0
    .vgpr_spill_count: 0
    .wavefront_size: 32
    .workgroup_processor_mode: 1
  - .args:
      - .offset:         0
        .size:           184
        .value_kind:     by_value
    .group_segment_fixed_size: 13328
    .kernarg_segment_align: 8
    .kernarg_segment_size: 184
    .language:       OpenCL C
    .language_version:
      - 2
      - 0
    .max_flat_workgroup_size: 256
    .name:           _ZN7rocprim17ROCPRIM_400000_NS6detail17trampoline_kernelINS0_13select_configILj256ELj13ELNS0_17block_load_methodE3ELS4_3ELS4_3ELNS0_20block_scan_algorithmE0ELj4294967295EEENS1_25partition_config_selectorILNS1_17partition_subalgoE4EjNS0_10empty_typeEbEEZZNS1_14partition_implILS8_4ELb0ES6_15HIP_vector_typeIjLj2EENS0_17counting_iteratorIjlEEPS9_SG_NS0_5tupleIJPjSI_NS0_16reverse_iteratorISI_EEEEENSH_IJSG_SG_SG_EEES9_SI_JZNS1_25segmented_radix_sort_implINS0_14default_configELb1EPKiPiPKlPlN2at6native12_GLOBAL__N_18offset_tEEE10hipError_tPvRmT1_PNSt15iterator_traitsIS12_E10value_typeET2_T3_PNS13_IS18_E10value_typeET4_jRbjT5_S1E_jjP12ihipStream_tbEUljE_ZNSN_ISO_Lb1ESQ_SR_ST_SU_SY_EESZ_S10_S11_S12_S16_S17_S18_S1B_S1C_jS1D_jS1E_S1E_jjS1G_bEUljE0_EEESZ_S10_S11_S18_S1C_S1E_T6_T7_T9_mT8_S1G_bDpT10_ENKUlT_T0_E_clISt17integral_constantIbLb0EES1T_IbLb1EEEEDaS1P_S1Q_EUlS1P_E_NS1_11comp_targetILNS1_3genE8ELNS1_11target_archE1030ELNS1_3gpuE2ELNS1_3repE0EEENS1_30default_config_static_selectorELNS0_4arch9wavefront6targetE0EEEvS12_
    .private_segment_fixed_size: 0
    .sgpr_count:     57
    .sgpr_spill_count: 0
    .symbol:         _ZN7rocprim17ROCPRIM_400000_NS6detail17trampoline_kernelINS0_13select_configILj256ELj13ELNS0_17block_load_methodE3ELS4_3ELS4_3ELNS0_20block_scan_algorithmE0ELj4294967295EEENS1_25partition_config_selectorILNS1_17partition_subalgoE4EjNS0_10empty_typeEbEEZZNS1_14partition_implILS8_4ELb0ES6_15HIP_vector_typeIjLj2EENS0_17counting_iteratorIjlEEPS9_SG_NS0_5tupleIJPjSI_NS0_16reverse_iteratorISI_EEEEENSH_IJSG_SG_SG_EEES9_SI_JZNS1_25segmented_radix_sort_implINS0_14default_configELb1EPKiPiPKlPlN2at6native12_GLOBAL__N_18offset_tEEE10hipError_tPvRmT1_PNSt15iterator_traitsIS12_E10value_typeET2_T3_PNS13_IS18_E10value_typeET4_jRbjT5_S1E_jjP12ihipStream_tbEUljE_ZNSN_ISO_Lb1ESQ_SR_ST_SU_SY_EESZ_S10_S11_S12_S16_S17_S18_S1B_S1C_jS1D_jS1E_S1E_jjS1G_bEUljE0_EEESZ_S10_S11_S18_S1C_S1E_T6_T7_T9_mT8_S1G_bDpT10_ENKUlT_T0_E_clISt17integral_constantIbLb0EES1T_IbLb1EEEEDaS1P_S1Q_EUlS1P_E_NS1_11comp_targetILNS1_3genE8ELNS1_11target_archE1030ELNS1_3gpuE2ELNS1_3repE0EEENS1_30default_config_static_selectorELNS0_4arch9wavefront6targetE0EEEvS12_.kd
    .uniform_work_group_size: 1
    .uses_dynamic_stack: false
    .vgpr_count:     87
    .vgpr_spill_count: 0
    .wavefront_size: 32
    .workgroup_processor_mode: 1
  - .args:
      - .offset:         0
        .size:           144
        .value_kind:     by_value
    .group_segment_fixed_size: 0
    .kernarg_segment_align: 8
    .kernarg_segment_size: 144
    .language:       OpenCL C
    .language_version:
      - 2
      - 0
    .max_flat_workgroup_size: 256
    .name:           _ZN7rocprim17ROCPRIM_400000_NS6detail17trampoline_kernelINS0_13select_configILj256ELj13ELNS0_17block_load_methodE3ELS4_3ELS4_3ELNS0_20block_scan_algorithmE0ELj4294967295EEENS1_25partition_config_selectorILNS1_17partition_subalgoE3EjNS0_10empty_typeEbEEZZNS1_14partition_implILS8_3ELb0ES6_jNS0_17counting_iteratorIjlEEPS9_SE_NS0_5tupleIJPjSE_EEENSF_IJSE_SE_EEES9_SG_JZNS1_25segmented_radix_sort_implINS0_14default_configELb1EPKiPiPKlPlN2at6native12_GLOBAL__N_18offset_tEEE10hipError_tPvRmT1_PNSt15iterator_traitsISY_E10value_typeET2_T3_PNSZ_IS14_E10value_typeET4_jRbjT5_S1A_jjP12ihipStream_tbEUljE_EEESV_SW_SX_S14_S18_S1A_T6_T7_T9_mT8_S1C_bDpT10_ENKUlT_T0_E_clISt17integral_constantIbLb0EES1P_EEDaS1K_S1L_EUlS1K_E_NS1_11comp_targetILNS1_3genE0ELNS1_11target_archE4294967295ELNS1_3gpuE0ELNS1_3repE0EEENS1_30default_config_static_selectorELNS0_4arch9wavefront6targetE0EEEvSY_
    .private_segment_fixed_size: 0
    .sgpr_count:     0
    .sgpr_spill_count: 0
    .symbol:         _ZN7rocprim17ROCPRIM_400000_NS6detail17trampoline_kernelINS0_13select_configILj256ELj13ELNS0_17block_load_methodE3ELS4_3ELS4_3ELNS0_20block_scan_algorithmE0ELj4294967295EEENS1_25partition_config_selectorILNS1_17partition_subalgoE3EjNS0_10empty_typeEbEEZZNS1_14partition_implILS8_3ELb0ES6_jNS0_17counting_iteratorIjlEEPS9_SE_NS0_5tupleIJPjSE_EEENSF_IJSE_SE_EEES9_SG_JZNS1_25segmented_radix_sort_implINS0_14default_configELb1EPKiPiPKlPlN2at6native12_GLOBAL__N_18offset_tEEE10hipError_tPvRmT1_PNSt15iterator_traitsISY_E10value_typeET2_T3_PNSZ_IS14_E10value_typeET4_jRbjT5_S1A_jjP12ihipStream_tbEUljE_EEESV_SW_SX_S14_S18_S1A_T6_T7_T9_mT8_S1C_bDpT10_ENKUlT_T0_E_clISt17integral_constantIbLb0EES1P_EEDaS1K_S1L_EUlS1K_E_NS1_11comp_targetILNS1_3genE0ELNS1_11target_archE4294967295ELNS1_3gpuE0ELNS1_3repE0EEENS1_30default_config_static_selectorELNS0_4arch9wavefront6targetE0EEEvSY_.kd
    .uniform_work_group_size: 1
    .uses_dynamic_stack: false
    .vgpr_count:     0
    .vgpr_spill_count: 0
    .wavefront_size: 32
    .workgroup_processor_mode: 1
  - .args:
      - .offset:         0
        .size:           144
        .value_kind:     by_value
    .group_segment_fixed_size: 0
    .kernarg_segment_align: 8
    .kernarg_segment_size: 144
    .language:       OpenCL C
    .language_version:
      - 2
      - 0
    .max_flat_workgroup_size: 256
    .name:           _ZN7rocprim17ROCPRIM_400000_NS6detail17trampoline_kernelINS0_13select_configILj256ELj13ELNS0_17block_load_methodE3ELS4_3ELS4_3ELNS0_20block_scan_algorithmE0ELj4294967295EEENS1_25partition_config_selectorILNS1_17partition_subalgoE3EjNS0_10empty_typeEbEEZZNS1_14partition_implILS8_3ELb0ES6_jNS0_17counting_iteratorIjlEEPS9_SE_NS0_5tupleIJPjSE_EEENSF_IJSE_SE_EEES9_SG_JZNS1_25segmented_radix_sort_implINS0_14default_configELb1EPKiPiPKlPlN2at6native12_GLOBAL__N_18offset_tEEE10hipError_tPvRmT1_PNSt15iterator_traitsISY_E10value_typeET2_T3_PNSZ_IS14_E10value_typeET4_jRbjT5_S1A_jjP12ihipStream_tbEUljE_EEESV_SW_SX_S14_S18_S1A_T6_T7_T9_mT8_S1C_bDpT10_ENKUlT_T0_E_clISt17integral_constantIbLb0EES1P_EEDaS1K_S1L_EUlS1K_E_NS1_11comp_targetILNS1_3genE5ELNS1_11target_archE942ELNS1_3gpuE9ELNS1_3repE0EEENS1_30default_config_static_selectorELNS0_4arch9wavefront6targetE0EEEvSY_
    .private_segment_fixed_size: 0
    .sgpr_count:     0
    .sgpr_spill_count: 0
    .symbol:         _ZN7rocprim17ROCPRIM_400000_NS6detail17trampoline_kernelINS0_13select_configILj256ELj13ELNS0_17block_load_methodE3ELS4_3ELS4_3ELNS0_20block_scan_algorithmE0ELj4294967295EEENS1_25partition_config_selectorILNS1_17partition_subalgoE3EjNS0_10empty_typeEbEEZZNS1_14partition_implILS8_3ELb0ES6_jNS0_17counting_iteratorIjlEEPS9_SE_NS0_5tupleIJPjSE_EEENSF_IJSE_SE_EEES9_SG_JZNS1_25segmented_radix_sort_implINS0_14default_configELb1EPKiPiPKlPlN2at6native12_GLOBAL__N_18offset_tEEE10hipError_tPvRmT1_PNSt15iterator_traitsISY_E10value_typeET2_T3_PNSZ_IS14_E10value_typeET4_jRbjT5_S1A_jjP12ihipStream_tbEUljE_EEESV_SW_SX_S14_S18_S1A_T6_T7_T9_mT8_S1C_bDpT10_ENKUlT_T0_E_clISt17integral_constantIbLb0EES1P_EEDaS1K_S1L_EUlS1K_E_NS1_11comp_targetILNS1_3genE5ELNS1_11target_archE942ELNS1_3gpuE9ELNS1_3repE0EEENS1_30default_config_static_selectorELNS0_4arch9wavefront6targetE0EEEvSY_.kd
    .uniform_work_group_size: 1
    .uses_dynamic_stack: false
    .vgpr_count:     0
    .vgpr_spill_count: 0
    .wavefront_size: 32
    .workgroup_processor_mode: 1
  - .args:
      - .offset:         0
        .size:           144
        .value_kind:     by_value
    .group_segment_fixed_size: 0
    .kernarg_segment_align: 8
    .kernarg_segment_size: 144
    .language:       OpenCL C
    .language_version:
      - 2
      - 0
    .max_flat_workgroup_size: 256
    .name:           _ZN7rocprim17ROCPRIM_400000_NS6detail17trampoline_kernelINS0_13select_configILj256ELj13ELNS0_17block_load_methodE3ELS4_3ELS4_3ELNS0_20block_scan_algorithmE0ELj4294967295EEENS1_25partition_config_selectorILNS1_17partition_subalgoE3EjNS0_10empty_typeEbEEZZNS1_14partition_implILS8_3ELb0ES6_jNS0_17counting_iteratorIjlEEPS9_SE_NS0_5tupleIJPjSE_EEENSF_IJSE_SE_EEES9_SG_JZNS1_25segmented_radix_sort_implINS0_14default_configELb1EPKiPiPKlPlN2at6native12_GLOBAL__N_18offset_tEEE10hipError_tPvRmT1_PNSt15iterator_traitsISY_E10value_typeET2_T3_PNSZ_IS14_E10value_typeET4_jRbjT5_S1A_jjP12ihipStream_tbEUljE_EEESV_SW_SX_S14_S18_S1A_T6_T7_T9_mT8_S1C_bDpT10_ENKUlT_T0_E_clISt17integral_constantIbLb0EES1P_EEDaS1K_S1L_EUlS1K_E_NS1_11comp_targetILNS1_3genE4ELNS1_11target_archE910ELNS1_3gpuE8ELNS1_3repE0EEENS1_30default_config_static_selectorELNS0_4arch9wavefront6targetE0EEEvSY_
    .private_segment_fixed_size: 0
    .sgpr_count:     0
    .sgpr_spill_count: 0
    .symbol:         _ZN7rocprim17ROCPRIM_400000_NS6detail17trampoline_kernelINS0_13select_configILj256ELj13ELNS0_17block_load_methodE3ELS4_3ELS4_3ELNS0_20block_scan_algorithmE0ELj4294967295EEENS1_25partition_config_selectorILNS1_17partition_subalgoE3EjNS0_10empty_typeEbEEZZNS1_14partition_implILS8_3ELb0ES6_jNS0_17counting_iteratorIjlEEPS9_SE_NS0_5tupleIJPjSE_EEENSF_IJSE_SE_EEES9_SG_JZNS1_25segmented_radix_sort_implINS0_14default_configELb1EPKiPiPKlPlN2at6native12_GLOBAL__N_18offset_tEEE10hipError_tPvRmT1_PNSt15iterator_traitsISY_E10value_typeET2_T3_PNSZ_IS14_E10value_typeET4_jRbjT5_S1A_jjP12ihipStream_tbEUljE_EEESV_SW_SX_S14_S18_S1A_T6_T7_T9_mT8_S1C_bDpT10_ENKUlT_T0_E_clISt17integral_constantIbLb0EES1P_EEDaS1K_S1L_EUlS1K_E_NS1_11comp_targetILNS1_3genE4ELNS1_11target_archE910ELNS1_3gpuE8ELNS1_3repE0EEENS1_30default_config_static_selectorELNS0_4arch9wavefront6targetE0EEEvSY_.kd
    .uniform_work_group_size: 1
    .uses_dynamic_stack: false
    .vgpr_count:     0
    .vgpr_spill_count: 0
    .wavefront_size: 32
    .workgroup_processor_mode: 1
  - .args:
      - .offset:         0
        .size:           144
        .value_kind:     by_value
    .group_segment_fixed_size: 0
    .kernarg_segment_align: 8
    .kernarg_segment_size: 144
    .language:       OpenCL C
    .language_version:
      - 2
      - 0
    .max_flat_workgroup_size: 256
    .name:           _ZN7rocprim17ROCPRIM_400000_NS6detail17trampoline_kernelINS0_13select_configILj256ELj13ELNS0_17block_load_methodE3ELS4_3ELS4_3ELNS0_20block_scan_algorithmE0ELj4294967295EEENS1_25partition_config_selectorILNS1_17partition_subalgoE3EjNS0_10empty_typeEbEEZZNS1_14partition_implILS8_3ELb0ES6_jNS0_17counting_iteratorIjlEEPS9_SE_NS0_5tupleIJPjSE_EEENSF_IJSE_SE_EEES9_SG_JZNS1_25segmented_radix_sort_implINS0_14default_configELb1EPKiPiPKlPlN2at6native12_GLOBAL__N_18offset_tEEE10hipError_tPvRmT1_PNSt15iterator_traitsISY_E10value_typeET2_T3_PNSZ_IS14_E10value_typeET4_jRbjT5_S1A_jjP12ihipStream_tbEUljE_EEESV_SW_SX_S14_S18_S1A_T6_T7_T9_mT8_S1C_bDpT10_ENKUlT_T0_E_clISt17integral_constantIbLb0EES1P_EEDaS1K_S1L_EUlS1K_E_NS1_11comp_targetILNS1_3genE3ELNS1_11target_archE908ELNS1_3gpuE7ELNS1_3repE0EEENS1_30default_config_static_selectorELNS0_4arch9wavefront6targetE0EEEvSY_
    .private_segment_fixed_size: 0
    .sgpr_count:     0
    .sgpr_spill_count: 0
    .symbol:         _ZN7rocprim17ROCPRIM_400000_NS6detail17trampoline_kernelINS0_13select_configILj256ELj13ELNS0_17block_load_methodE3ELS4_3ELS4_3ELNS0_20block_scan_algorithmE0ELj4294967295EEENS1_25partition_config_selectorILNS1_17partition_subalgoE3EjNS0_10empty_typeEbEEZZNS1_14partition_implILS8_3ELb0ES6_jNS0_17counting_iteratorIjlEEPS9_SE_NS0_5tupleIJPjSE_EEENSF_IJSE_SE_EEES9_SG_JZNS1_25segmented_radix_sort_implINS0_14default_configELb1EPKiPiPKlPlN2at6native12_GLOBAL__N_18offset_tEEE10hipError_tPvRmT1_PNSt15iterator_traitsISY_E10value_typeET2_T3_PNSZ_IS14_E10value_typeET4_jRbjT5_S1A_jjP12ihipStream_tbEUljE_EEESV_SW_SX_S14_S18_S1A_T6_T7_T9_mT8_S1C_bDpT10_ENKUlT_T0_E_clISt17integral_constantIbLb0EES1P_EEDaS1K_S1L_EUlS1K_E_NS1_11comp_targetILNS1_3genE3ELNS1_11target_archE908ELNS1_3gpuE7ELNS1_3repE0EEENS1_30default_config_static_selectorELNS0_4arch9wavefront6targetE0EEEvSY_.kd
    .uniform_work_group_size: 1
    .uses_dynamic_stack: false
    .vgpr_count:     0
    .vgpr_spill_count: 0
    .wavefront_size: 32
    .workgroup_processor_mode: 1
  - .args:
      - .offset:         0
        .size:           144
        .value_kind:     by_value
    .group_segment_fixed_size: 0
    .kernarg_segment_align: 8
    .kernarg_segment_size: 144
    .language:       OpenCL C
    .language_version:
      - 2
      - 0
    .max_flat_workgroup_size: 256
    .name:           _ZN7rocprim17ROCPRIM_400000_NS6detail17trampoline_kernelINS0_13select_configILj256ELj13ELNS0_17block_load_methodE3ELS4_3ELS4_3ELNS0_20block_scan_algorithmE0ELj4294967295EEENS1_25partition_config_selectorILNS1_17partition_subalgoE3EjNS0_10empty_typeEbEEZZNS1_14partition_implILS8_3ELb0ES6_jNS0_17counting_iteratorIjlEEPS9_SE_NS0_5tupleIJPjSE_EEENSF_IJSE_SE_EEES9_SG_JZNS1_25segmented_radix_sort_implINS0_14default_configELb1EPKiPiPKlPlN2at6native12_GLOBAL__N_18offset_tEEE10hipError_tPvRmT1_PNSt15iterator_traitsISY_E10value_typeET2_T3_PNSZ_IS14_E10value_typeET4_jRbjT5_S1A_jjP12ihipStream_tbEUljE_EEESV_SW_SX_S14_S18_S1A_T6_T7_T9_mT8_S1C_bDpT10_ENKUlT_T0_E_clISt17integral_constantIbLb0EES1P_EEDaS1K_S1L_EUlS1K_E_NS1_11comp_targetILNS1_3genE2ELNS1_11target_archE906ELNS1_3gpuE6ELNS1_3repE0EEENS1_30default_config_static_selectorELNS0_4arch9wavefront6targetE0EEEvSY_
    .private_segment_fixed_size: 0
    .sgpr_count:     0
    .sgpr_spill_count: 0
    .symbol:         _ZN7rocprim17ROCPRIM_400000_NS6detail17trampoline_kernelINS0_13select_configILj256ELj13ELNS0_17block_load_methodE3ELS4_3ELS4_3ELNS0_20block_scan_algorithmE0ELj4294967295EEENS1_25partition_config_selectorILNS1_17partition_subalgoE3EjNS0_10empty_typeEbEEZZNS1_14partition_implILS8_3ELb0ES6_jNS0_17counting_iteratorIjlEEPS9_SE_NS0_5tupleIJPjSE_EEENSF_IJSE_SE_EEES9_SG_JZNS1_25segmented_radix_sort_implINS0_14default_configELb1EPKiPiPKlPlN2at6native12_GLOBAL__N_18offset_tEEE10hipError_tPvRmT1_PNSt15iterator_traitsISY_E10value_typeET2_T3_PNSZ_IS14_E10value_typeET4_jRbjT5_S1A_jjP12ihipStream_tbEUljE_EEESV_SW_SX_S14_S18_S1A_T6_T7_T9_mT8_S1C_bDpT10_ENKUlT_T0_E_clISt17integral_constantIbLb0EES1P_EEDaS1K_S1L_EUlS1K_E_NS1_11comp_targetILNS1_3genE2ELNS1_11target_archE906ELNS1_3gpuE6ELNS1_3repE0EEENS1_30default_config_static_selectorELNS0_4arch9wavefront6targetE0EEEvSY_.kd
    .uniform_work_group_size: 1
    .uses_dynamic_stack: false
    .vgpr_count:     0
    .vgpr_spill_count: 0
    .wavefront_size: 32
    .workgroup_processor_mode: 1
  - .args:
      - .offset:         0
        .size:           144
        .value_kind:     by_value
    .group_segment_fixed_size: 0
    .kernarg_segment_align: 8
    .kernarg_segment_size: 144
    .language:       OpenCL C
    .language_version:
      - 2
      - 0
    .max_flat_workgroup_size: 256
    .name:           _ZN7rocprim17ROCPRIM_400000_NS6detail17trampoline_kernelINS0_13select_configILj256ELj13ELNS0_17block_load_methodE3ELS4_3ELS4_3ELNS0_20block_scan_algorithmE0ELj4294967295EEENS1_25partition_config_selectorILNS1_17partition_subalgoE3EjNS0_10empty_typeEbEEZZNS1_14partition_implILS8_3ELb0ES6_jNS0_17counting_iteratorIjlEEPS9_SE_NS0_5tupleIJPjSE_EEENSF_IJSE_SE_EEES9_SG_JZNS1_25segmented_radix_sort_implINS0_14default_configELb1EPKiPiPKlPlN2at6native12_GLOBAL__N_18offset_tEEE10hipError_tPvRmT1_PNSt15iterator_traitsISY_E10value_typeET2_T3_PNSZ_IS14_E10value_typeET4_jRbjT5_S1A_jjP12ihipStream_tbEUljE_EEESV_SW_SX_S14_S18_S1A_T6_T7_T9_mT8_S1C_bDpT10_ENKUlT_T0_E_clISt17integral_constantIbLb0EES1P_EEDaS1K_S1L_EUlS1K_E_NS1_11comp_targetILNS1_3genE10ELNS1_11target_archE1200ELNS1_3gpuE4ELNS1_3repE0EEENS1_30default_config_static_selectorELNS0_4arch9wavefront6targetE0EEEvSY_
    .private_segment_fixed_size: 0
    .sgpr_count:     0
    .sgpr_spill_count: 0
    .symbol:         _ZN7rocprim17ROCPRIM_400000_NS6detail17trampoline_kernelINS0_13select_configILj256ELj13ELNS0_17block_load_methodE3ELS4_3ELS4_3ELNS0_20block_scan_algorithmE0ELj4294967295EEENS1_25partition_config_selectorILNS1_17partition_subalgoE3EjNS0_10empty_typeEbEEZZNS1_14partition_implILS8_3ELb0ES6_jNS0_17counting_iteratorIjlEEPS9_SE_NS0_5tupleIJPjSE_EEENSF_IJSE_SE_EEES9_SG_JZNS1_25segmented_radix_sort_implINS0_14default_configELb1EPKiPiPKlPlN2at6native12_GLOBAL__N_18offset_tEEE10hipError_tPvRmT1_PNSt15iterator_traitsISY_E10value_typeET2_T3_PNSZ_IS14_E10value_typeET4_jRbjT5_S1A_jjP12ihipStream_tbEUljE_EEESV_SW_SX_S14_S18_S1A_T6_T7_T9_mT8_S1C_bDpT10_ENKUlT_T0_E_clISt17integral_constantIbLb0EES1P_EEDaS1K_S1L_EUlS1K_E_NS1_11comp_targetILNS1_3genE10ELNS1_11target_archE1200ELNS1_3gpuE4ELNS1_3repE0EEENS1_30default_config_static_selectorELNS0_4arch9wavefront6targetE0EEEvSY_.kd
    .uniform_work_group_size: 1
    .uses_dynamic_stack: false
    .vgpr_count:     0
    .vgpr_spill_count: 0
    .wavefront_size: 32
    .workgroup_processor_mode: 1
  - .args:
      - .offset:         0
        .size:           144
        .value_kind:     by_value
    .group_segment_fixed_size: 0
    .kernarg_segment_align: 8
    .kernarg_segment_size: 144
    .language:       OpenCL C
    .language_version:
      - 2
      - 0
    .max_flat_workgroup_size: 256
    .name:           _ZN7rocprim17ROCPRIM_400000_NS6detail17trampoline_kernelINS0_13select_configILj256ELj13ELNS0_17block_load_methodE3ELS4_3ELS4_3ELNS0_20block_scan_algorithmE0ELj4294967295EEENS1_25partition_config_selectorILNS1_17partition_subalgoE3EjNS0_10empty_typeEbEEZZNS1_14partition_implILS8_3ELb0ES6_jNS0_17counting_iteratorIjlEEPS9_SE_NS0_5tupleIJPjSE_EEENSF_IJSE_SE_EEES9_SG_JZNS1_25segmented_radix_sort_implINS0_14default_configELb1EPKiPiPKlPlN2at6native12_GLOBAL__N_18offset_tEEE10hipError_tPvRmT1_PNSt15iterator_traitsISY_E10value_typeET2_T3_PNSZ_IS14_E10value_typeET4_jRbjT5_S1A_jjP12ihipStream_tbEUljE_EEESV_SW_SX_S14_S18_S1A_T6_T7_T9_mT8_S1C_bDpT10_ENKUlT_T0_E_clISt17integral_constantIbLb0EES1P_EEDaS1K_S1L_EUlS1K_E_NS1_11comp_targetILNS1_3genE9ELNS1_11target_archE1100ELNS1_3gpuE3ELNS1_3repE0EEENS1_30default_config_static_selectorELNS0_4arch9wavefront6targetE0EEEvSY_
    .private_segment_fixed_size: 0
    .sgpr_count:     0
    .sgpr_spill_count: 0
    .symbol:         _ZN7rocprim17ROCPRIM_400000_NS6detail17trampoline_kernelINS0_13select_configILj256ELj13ELNS0_17block_load_methodE3ELS4_3ELS4_3ELNS0_20block_scan_algorithmE0ELj4294967295EEENS1_25partition_config_selectorILNS1_17partition_subalgoE3EjNS0_10empty_typeEbEEZZNS1_14partition_implILS8_3ELb0ES6_jNS0_17counting_iteratorIjlEEPS9_SE_NS0_5tupleIJPjSE_EEENSF_IJSE_SE_EEES9_SG_JZNS1_25segmented_radix_sort_implINS0_14default_configELb1EPKiPiPKlPlN2at6native12_GLOBAL__N_18offset_tEEE10hipError_tPvRmT1_PNSt15iterator_traitsISY_E10value_typeET2_T3_PNSZ_IS14_E10value_typeET4_jRbjT5_S1A_jjP12ihipStream_tbEUljE_EEESV_SW_SX_S14_S18_S1A_T6_T7_T9_mT8_S1C_bDpT10_ENKUlT_T0_E_clISt17integral_constantIbLb0EES1P_EEDaS1K_S1L_EUlS1K_E_NS1_11comp_targetILNS1_3genE9ELNS1_11target_archE1100ELNS1_3gpuE3ELNS1_3repE0EEENS1_30default_config_static_selectorELNS0_4arch9wavefront6targetE0EEEvSY_.kd
    .uniform_work_group_size: 1
    .uses_dynamic_stack: false
    .vgpr_count:     0
    .vgpr_spill_count: 0
    .wavefront_size: 32
    .workgroup_processor_mode: 1
  - .args:
      - .offset:         0
        .size:           144
        .value_kind:     by_value
    .group_segment_fixed_size: 13320
    .kernarg_segment_align: 8
    .kernarg_segment_size: 144
    .language:       OpenCL C
    .language_version:
      - 2
      - 0
    .max_flat_workgroup_size: 256
    .name:           _ZN7rocprim17ROCPRIM_400000_NS6detail17trampoline_kernelINS0_13select_configILj256ELj13ELNS0_17block_load_methodE3ELS4_3ELS4_3ELNS0_20block_scan_algorithmE0ELj4294967295EEENS1_25partition_config_selectorILNS1_17partition_subalgoE3EjNS0_10empty_typeEbEEZZNS1_14partition_implILS8_3ELb0ES6_jNS0_17counting_iteratorIjlEEPS9_SE_NS0_5tupleIJPjSE_EEENSF_IJSE_SE_EEES9_SG_JZNS1_25segmented_radix_sort_implINS0_14default_configELb1EPKiPiPKlPlN2at6native12_GLOBAL__N_18offset_tEEE10hipError_tPvRmT1_PNSt15iterator_traitsISY_E10value_typeET2_T3_PNSZ_IS14_E10value_typeET4_jRbjT5_S1A_jjP12ihipStream_tbEUljE_EEESV_SW_SX_S14_S18_S1A_T6_T7_T9_mT8_S1C_bDpT10_ENKUlT_T0_E_clISt17integral_constantIbLb0EES1P_EEDaS1K_S1L_EUlS1K_E_NS1_11comp_targetILNS1_3genE8ELNS1_11target_archE1030ELNS1_3gpuE2ELNS1_3repE0EEENS1_30default_config_static_selectorELNS0_4arch9wavefront6targetE0EEEvSY_
    .private_segment_fixed_size: 0
    .sgpr_count:     29
    .sgpr_spill_count: 0
    .symbol:         _ZN7rocprim17ROCPRIM_400000_NS6detail17trampoline_kernelINS0_13select_configILj256ELj13ELNS0_17block_load_methodE3ELS4_3ELS4_3ELNS0_20block_scan_algorithmE0ELj4294967295EEENS1_25partition_config_selectorILNS1_17partition_subalgoE3EjNS0_10empty_typeEbEEZZNS1_14partition_implILS8_3ELb0ES6_jNS0_17counting_iteratorIjlEEPS9_SE_NS0_5tupleIJPjSE_EEENSF_IJSE_SE_EEES9_SG_JZNS1_25segmented_radix_sort_implINS0_14default_configELb1EPKiPiPKlPlN2at6native12_GLOBAL__N_18offset_tEEE10hipError_tPvRmT1_PNSt15iterator_traitsISY_E10value_typeET2_T3_PNSZ_IS14_E10value_typeET4_jRbjT5_S1A_jjP12ihipStream_tbEUljE_EEESV_SW_SX_S14_S18_S1A_T6_T7_T9_mT8_S1C_bDpT10_ENKUlT_T0_E_clISt17integral_constantIbLb0EES1P_EEDaS1K_S1L_EUlS1K_E_NS1_11comp_targetILNS1_3genE8ELNS1_11target_archE1030ELNS1_3gpuE2ELNS1_3repE0EEENS1_30default_config_static_selectorELNS0_4arch9wavefront6targetE0EEEvSY_.kd
    .uniform_work_group_size: 1
    .uses_dynamic_stack: false
    .vgpr_count:     69
    .vgpr_spill_count: 0
    .wavefront_size: 32
    .workgroup_processor_mode: 1
  - .args:
      - .offset:         0
        .size:           152
        .value_kind:     by_value
    .group_segment_fixed_size: 0
    .kernarg_segment_align: 8
    .kernarg_segment_size: 152
    .language:       OpenCL C
    .language_version:
      - 2
      - 0
    .max_flat_workgroup_size: 256
    .name:           _ZN7rocprim17ROCPRIM_400000_NS6detail17trampoline_kernelINS0_13select_configILj256ELj13ELNS0_17block_load_methodE3ELS4_3ELS4_3ELNS0_20block_scan_algorithmE0ELj4294967295EEENS1_25partition_config_selectorILNS1_17partition_subalgoE3EjNS0_10empty_typeEbEEZZNS1_14partition_implILS8_3ELb0ES6_jNS0_17counting_iteratorIjlEEPS9_SE_NS0_5tupleIJPjSE_EEENSF_IJSE_SE_EEES9_SG_JZNS1_25segmented_radix_sort_implINS0_14default_configELb1EPKiPiPKlPlN2at6native12_GLOBAL__N_18offset_tEEE10hipError_tPvRmT1_PNSt15iterator_traitsISY_E10value_typeET2_T3_PNSZ_IS14_E10value_typeET4_jRbjT5_S1A_jjP12ihipStream_tbEUljE_EEESV_SW_SX_S14_S18_S1A_T6_T7_T9_mT8_S1C_bDpT10_ENKUlT_T0_E_clISt17integral_constantIbLb1EES1P_EEDaS1K_S1L_EUlS1K_E_NS1_11comp_targetILNS1_3genE0ELNS1_11target_archE4294967295ELNS1_3gpuE0ELNS1_3repE0EEENS1_30default_config_static_selectorELNS0_4arch9wavefront6targetE0EEEvSY_
    .private_segment_fixed_size: 0
    .sgpr_count:     0
    .sgpr_spill_count: 0
    .symbol:         _ZN7rocprim17ROCPRIM_400000_NS6detail17trampoline_kernelINS0_13select_configILj256ELj13ELNS0_17block_load_methodE3ELS4_3ELS4_3ELNS0_20block_scan_algorithmE0ELj4294967295EEENS1_25partition_config_selectorILNS1_17partition_subalgoE3EjNS0_10empty_typeEbEEZZNS1_14partition_implILS8_3ELb0ES6_jNS0_17counting_iteratorIjlEEPS9_SE_NS0_5tupleIJPjSE_EEENSF_IJSE_SE_EEES9_SG_JZNS1_25segmented_radix_sort_implINS0_14default_configELb1EPKiPiPKlPlN2at6native12_GLOBAL__N_18offset_tEEE10hipError_tPvRmT1_PNSt15iterator_traitsISY_E10value_typeET2_T3_PNSZ_IS14_E10value_typeET4_jRbjT5_S1A_jjP12ihipStream_tbEUljE_EEESV_SW_SX_S14_S18_S1A_T6_T7_T9_mT8_S1C_bDpT10_ENKUlT_T0_E_clISt17integral_constantIbLb1EES1P_EEDaS1K_S1L_EUlS1K_E_NS1_11comp_targetILNS1_3genE0ELNS1_11target_archE4294967295ELNS1_3gpuE0ELNS1_3repE0EEENS1_30default_config_static_selectorELNS0_4arch9wavefront6targetE0EEEvSY_.kd
    .uniform_work_group_size: 1
    .uses_dynamic_stack: false
    .vgpr_count:     0
    .vgpr_spill_count: 0
    .wavefront_size: 32
    .workgroup_processor_mode: 1
  - .args:
      - .offset:         0
        .size:           152
        .value_kind:     by_value
    .group_segment_fixed_size: 0
    .kernarg_segment_align: 8
    .kernarg_segment_size: 152
    .language:       OpenCL C
    .language_version:
      - 2
      - 0
    .max_flat_workgroup_size: 256
    .name:           _ZN7rocprim17ROCPRIM_400000_NS6detail17trampoline_kernelINS0_13select_configILj256ELj13ELNS0_17block_load_methodE3ELS4_3ELS4_3ELNS0_20block_scan_algorithmE0ELj4294967295EEENS1_25partition_config_selectorILNS1_17partition_subalgoE3EjNS0_10empty_typeEbEEZZNS1_14partition_implILS8_3ELb0ES6_jNS0_17counting_iteratorIjlEEPS9_SE_NS0_5tupleIJPjSE_EEENSF_IJSE_SE_EEES9_SG_JZNS1_25segmented_radix_sort_implINS0_14default_configELb1EPKiPiPKlPlN2at6native12_GLOBAL__N_18offset_tEEE10hipError_tPvRmT1_PNSt15iterator_traitsISY_E10value_typeET2_T3_PNSZ_IS14_E10value_typeET4_jRbjT5_S1A_jjP12ihipStream_tbEUljE_EEESV_SW_SX_S14_S18_S1A_T6_T7_T9_mT8_S1C_bDpT10_ENKUlT_T0_E_clISt17integral_constantIbLb1EES1P_EEDaS1K_S1L_EUlS1K_E_NS1_11comp_targetILNS1_3genE5ELNS1_11target_archE942ELNS1_3gpuE9ELNS1_3repE0EEENS1_30default_config_static_selectorELNS0_4arch9wavefront6targetE0EEEvSY_
    .private_segment_fixed_size: 0
    .sgpr_count:     0
    .sgpr_spill_count: 0
    .symbol:         _ZN7rocprim17ROCPRIM_400000_NS6detail17trampoline_kernelINS0_13select_configILj256ELj13ELNS0_17block_load_methodE3ELS4_3ELS4_3ELNS0_20block_scan_algorithmE0ELj4294967295EEENS1_25partition_config_selectorILNS1_17partition_subalgoE3EjNS0_10empty_typeEbEEZZNS1_14partition_implILS8_3ELb0ES6_jNS0_17counting_iteratorIjlEEPS9_SE_NS0_5tupleIJPjSE_EEENSF_IJSE_SE_EEES9_SG_JZNS1_25segmented_radix_sort_implINS0_14default_configELb1EPKiPiPKlPlN2at6native12_GLOBAL__N_18offset_tEEE10hipError_tPvRmT1_PNSt15iterator_traitsISY_E10value_typeET2_T3_PNSZ_IS14_E10value_typeET4_jRbjT5_S1A_jjP12ihipStream_tbEUljE_EEESV_SW_SX_S14_S18_S1A_T6_T7_T9_mT8_S1C_bDpT10_ENKUlT_T0_E_clISt17integral_constantIbLb1EES1P_EEDaS1K_S1L_EUlS1K_E_NS1_11comp_targetILNS1_3genE5ELNS1_11target_archE942ELNS1_3gpuE9ELNS1_3repE0EEENS1_30default_config_static_selectorELNS0_4arch9wavefront6targetE0EEEvSY_.kd
    .uniform_work_group_size: 1
    .uses_dynamic_stack: false
    .vgpr_count:     0
    .vgpr_spill_count: 0
    .wavefront_size: 32
    .workgroup_processor_mode: 1
  - .args:
      - .offset:         0
        .size:           152
        .value_kind:     by_value
    .group_segment_fixed_size: 0
    .kernarg_segment_align: 8
    .kernarg_segment_size: 152
    .language:       OpenCL C
    .language_version:
      - 2
      - 0
    .max_flat_workgroup_size: 256
    .name:           _ZN7rocprim17ROCPRIM_400000_NS6detail17trampoline_kernelINS0_13select_configILj256ELj13ELNS0_17block_load_methodE3ELS4_3ELS4_3ELNS0_20block_scan_algorithmE0ELj4294967295EEENS1_25partition_config_selectorILNS1_17partition_subalgoE3EjNS0_10empty_typeEbEEZZNS1_14partition_implILS8_3ELb0ES6_jNS0_17counting_iteratorIjlEEPS9_SE_NS0_5tupleIJPjSE_EEENSF_IJSE_SE_EEES9_SG_JZNS1_25segmented_radix_sort_implINS0_14default_configELb1EPKiPiPKlPlN2at6native12_GLOBAL__N_18offset_tEEE10hipError_tPvRmT1_PNSt15iterator_traitsISY_E10value_typeET2_T3_PNSZ_IS14_E10value_typeET4_jRbjT5_S1A_jjP12ihipStream_tbEUljE_EEESV_SW_SX_S14_S18_S1A_T6_T7_T9_mT8_S1C_bDpT10_ENKUlT_T0_E_clISt17integral_constantIbLb1EES1P_EEDaS1K_S1L_EUlS1K_E_NS1_11comp_targetILNS1_3genE4ELNS1_11target_archE910ELNS1_3gpuE8ELNS1_3repE0EEENS1_30default_config_static_selectorELNS0_4arch9wavefront6targetE0EEEvSY_
    .private_segment_fixed_size: 0
    .sgpr_count:     0
    .sgpr_spill_count: 0
    .symbol:         _ZN7rocprim17ROCPRIM_400000_NS6detail17trampoline_kernelINS0_13select_configILj256ELj13ELNS0_17block_load_methodE3ELS4_3ELS4_3ELNS0_20block_scan_algorithmE0ELj4294967295EEENS1_25partition_config_selectorILNS1_17partition_subalgoE3EjNS0_10empty_typeEbEEZZNS1_14partition_implILS8_3ELb0ES6_jNS0_17counting_iteratorIjlEEPS9_SE_NS0_5tupleIJPjSE_EEENSF_IJSE_SE_EEES9_SG_JZNS1_25segmented_radix_sort_implINS0_14default_configELb1EPKiPiPKlPlN2at6native12_GLOBAL__N_18offset_tEEE10hipError_tPvRmT1_PNSt15iterator_traitsISY_E10value_typeET2_T3_PNSZ_IS14_E10value_typeET4_jRbjT5_S1A_jjP12ihipStream_tbEUljE_EEESV_SW_SX_S14_S18_S1A_T6_T7_T9_mT8_S1C_bDpT10_ENKUlT_T0_E_clISt17integral_constantIbLb1EES1P_EEDaS1K_S1L_EUlS1K_E_NS1_11comp_targetILNS1_3genE4ELNS1_11target_archE910ELNS1_3gpuE8ELNS1_3repE0EEENS1_30default_config_static_selectorELNS0_4arch9wavefront6targetE0EEEvSY_.kd
    .uniform_work_group_size: 1
    .uses_dynamic_stack: false
    .vgpr_count:     0
    .vgpr_spill_count: 0
    .wavefront_size: 32
    .workgroup_processor_mode: 1
  - .args:
      - .offset:         0
        .size:           152
        .value_kind:     by_value
    .group_segment_fixed_size: 0
    .kernarg_segment_align: 8
    .kernarg_segment_size: 152
    .language:       OpenCL C
    .language_version:
      - 2
      - 0
    .max_flat_workgroup_size: 256
    .name:           _ZN7rocprim17ROCPRIM_400000_NS6detail17trampoline_kernelINS0_13select_configILj256ELj13ELNS0_17block_load_methodE3ELS4_3ELS4_3ELNS0_20block_scan_algorithmE0ELj4294967295EEENS1_25partition_config_selectorILNS1_17partition_subalgoE3EjNS0_10empty_typeEbEEZZNS1_14partition_implILS8_3ELb0ES6_jNS0_17counting_iteratorIjlEEPS9_SE_NS0_5tupleIJPjSE_EEENSF_IJSE_SE_EEES9_SG_JZNS1_25segmented_radix_sort_implINS0_14default_configELb1EPKiPiPKlPlN2at6native12_GLOBAL__N_18offset_tEEE10hipError_tPvRmT1_PNSt15iterator_traitsISY_E10value_typeET2_T3_PNSZ_IS14_E10value_typeET4_jRbjT5_S1A_jjP12ihipStream_tbEUljE_EEESV_SW_SX_S14_S18_S1A_T6_T7_T9_mT8_S1C_bDpT10_ENKUlT_T0_E_clISt17integral_constantIbLb1EES1P_EEDaS1K_S1L_EUlS1K_E_NS1_11comp_targetILNS1_3genE3ELNS1_11target_archE908ELNS1_3gpuE7ELNS1_3repE0EEENS1_30default_config_static_selectorELNS0_4arch9wavefront6targetE0EEEvSY_
    .private_segment_fixed_size: 0
    .sgpr_count:     0
    .sgpr_spill_count: 0
    .symbol:         _ZN7rocprim17ROCPRIM_400000_NS6detail17trampoline_kernelINS0_13select_configILj256ELj13ELNS0_17block_load_methodE3ELS4_3ELS4_3ELNS0_20block_scan_algorithmE0ELj4294967295EEENS1_25partition_config_selectorILNS1_17partition_subalgoE3EjNS0_10empty_typeEbEEZZNS1_14partition_implILS8_3ELb0ES6_jNS0_17counting_iteratorIjlEEPS9_SE_NS0_5tupleIJPjSE_EEENSF_IJSE_SE_EEES9_SG_JZNS1_25segmented_radix_sort_implINS0_14default_configELb1EPKiPiPKlPlN2at6native12_GLOBAL__N_18offset_tEEE10hipError_tPvRmT1_PNSt15iterator_traitsISY_E10value_typeET2_T3_PNSZ_IS14_E10value_typeET4_jRbjT5_S1A_jjP12ihipStream_tbEUljE_EEESV_SW_SX_S14_S18_S1A_T6_T7_T9_mT8_S1C_bDpT10_ENKUlT_T0_E_clISt17integral_constantIbLb1EES1P_EEDaS1K_S1L_EUlS1K_E_NS1_11comp_targetILNS1_3genE3ELNS1_11target_archE908ELNS1_3gpuE7ELNS1_3repE0EEENS1_30default_config_static_selectorELNS0_4arch9wavefront6targetE0EEEvSY_.kd
    .uniform_work_group_size: 1
    .uses_dynamic_stack: false
    .vgpr_count:     0
    .vgpr_spill_count: 0
    .wavefront_size: 32
    .workgroup_processor_mode: 1
  - .args:
      - .offset:         0
        .size:           152
        .value_kind:     by_value
    .group_segment_fixed_size: 0
    .kernarg_segment_align: 8
    .kernarg_segment_size: 152
    .language:       OpenCL C
    .language_version:
      - 2
      - 0
    .max_flat_workgroup_size: 256
    .name:           _ZN7rocprim17ROCPRIM_400000_NS6detail17trampoline_kernelINS0_13select_configILj256ELj13ELNS0_17block_load_methodE3ELS4_3ELS4_3ELNS0_20block_scan_algorithmE0ELj4294967295EEENS1_25partition_config_selectorILNS1_17partition_subalgoE3EjNS0_10empty_typeEbEEZZNS1_14partition_implILS8_3ELb0ES6_jNS0_17counting_iteratorIjlEEPS9_SE_NS0_5tupleIJPjSE_EEENSF_IJSE_SE_EEES9_SG_JZNS1_25segmented_radix_sort_implINS0_14default_configELb1EPKiPiPKlPlN2at6native12_GLOBAL__N_18offset_tEEE10hipError_tPvRmT1_PNSt15iterator_traitsISY_E10value_typeET2_T3_PNSZ_IS14_E10value_typeET4_jRbjT5_S1A_jjP12ihipStream_tbEUljE_EEESV_SW_SX_S14_S18_S1A_T6_T7_T9_mT8_S1C_bDpT10_ENKUlT_T0_E_clISt17integral_constantIbLb1EES1P_EEDaS1K_S1L_EUlS1K_E_NS1_11comp_targetILNS1_3genE2ELNS1_11target_archE906ELNS1_3gpuE6ELNS1_3repE0EEENS1_30default_config_static_selectorELNS0_4arch9wavefront6targetE0EEEvSY_
    .private_segment_fixed_size: 0
    .sgpr_count:     0
    .sgpr_spill_count: 0
    .symbol:         _ZN7rocprim17ROCPRIM_400000_NS6detail17trampoline_kernelINS0_13select_configILj256ELj13ELNS0_17block_load_methodE3ELS4_3ELS4_3ELNS0_20block_scan_algorithmE0ELj4294967295EEENS1_25partition_config_selectorILNS1_17partition_subalgoE3EjNS0_10empty_typeEbEEZZNS1_14partition_implILS8_3ELb0ES6_jNS0_17counting_iteratorIjlEEPS9_SE_NS0_5tupleIJPjSE_EEENSF_IJSE_SE_EEES9_SG_JZNS1_25segmented_radix_sort_implINS0_14default_configELb1EPKiPiPKlPlN2at6native12_GLOBAL__N_18offset_tEEE10hipError_tPvRmT1_PNSt15iterator_traitsISY_E10value_typeET2_T3_PNSZ_IS14_E10value_typeET4_jRbjT5_S1A_jjP12ihipStream_tbEUljE_EEESV_SW_SX_S14_S18_S1A_T6_T7_T9_mT8_S1C_bDpT10_ENKUlT_T0_E_clISt17integral_constantIbLb1EES1P_EEDaS1K_S1L_EUlS1K_E_NS1_11comp_targetILNS1_3genE2ELNS1_11target_archE906ELNS1_3gpuE6ELNS1_3repE0EEENS1_30default_config_static_selectorELNS0_4arch9wavefront6targetE0EEEvSY_.kd
    .uniform_work_group_size: 1
    .uses_dynamic_stack: false
    .vgpr_count:     0
    .vgpr_spill_count: 0
    .wavefront_size: 32
    .workgroup_processor_mode: 1
  - .args:
      - .offset:         0
        .size:           152
        .value_kind:     by_value
    .group_segment_fixed_size: 0
    .kernarg_segment_align: 8
    .kernarg_segment_size: 152
    .language:       OpenCL C
    .language_version:
      - 2
      - 0
    .max_flat_workgroup_size: 256
    .name:           _ZN7rocprim17ROCPRIM_400000_NS6detail17trampoline_kernelINS0_13select_configILj256ELj13ELNS0_17block_load_methodE3ELS4_3ELS4_3ELNS0_20block_scan_algorithmE0ELj4294967295EEENS1_25partition_config_selectorILNS1_17partition_subalgoE3EjNS0_10empty_typeEbEEZZNS1_14partition_implILS8_3ELb0ES6_jNS0_17counting_iteratorIjlEEPS9_SE_NS0_5tupleIJPjSE_EEENSF_IJSE_SE_EEES9_SG_JZNS1_25segmented_radix_sort_implINS0_14default_configELb1EPKiPiPKlPlN2at6native12_GLOBAL__N_18offset_tEEE10hipError_tPvRmT1_PNSt15iterator_traitsISY_E10value_typeET2_T3_PNSZ_IS14_E10value_typeET4_jRbjT5_S1A_jjP12ihipStream_tbEUljE_EEESV_SW_SX_S14_S18_S1A_T6_T7_T9_mT8_S1C_bDpT10_ENKUlT_T0_E_clISt17integral_constantIbLb1EES1P_EEDaS1K_S1L_EUlS1K_E_NS1_11comp_targetILNS1_3genE10ELNS1_11target_archE1200ELNS1_3gpuE4ELNS1_3repE0EEENS1_30default_config_static_selectorELNS0_4arch9wavefront6targetE0EEEvSY_
    .private_segment_fixed_size: 0
    .sgpr_count:     0
    .sgpr_spill_count: 0
    .symbol:         _ZN7rocprim17ROCPRIM_400000_NS6detail17trampoline_kernelINS0_13select_configILj256ELj13ELNS0_17block_load_methodE3ELS4_3ELS4_3ELNS0_20block_scan_algorithmE0ELj4294967295EEENS1_25partition_config_selectorILNS1_17partition_subalgoE3EjNS0_10empty_typeEbEEZZNS1_14partition_implILS8_3ELb0ES6_jNS0_17counting_iteratorIjlEEPS9_SE_NS0_5tupleIJPjSE_EEENSF_IJSE_SE_EEES9_SG_JZNS1_25segmented_radix_sort_implINS0_14default_configELb1EPKiPiPKlPlN2at6native12_GLOBAL__N_18offset_tEEE10hipError_tPvRmT1_PNSt15iterator_traitsISY_E10value_typeET2_T3_PNSZ_IS14_E10value_typeET4_jRbjT5_S1A_jjP12ihipStream_tbEUljE_EEESV_SW_SX_S14_S18_S1A_T6_T7_T9_mT8_S1C_bDpT10_ENKUlT_T0_E_clISt17integral_constantIbLb1EES1P_EEDaS1K_S1L_EUlS1K_E_NS1_11comp_targetILNS1_3genE10ELNS1_11target_archE1200ELNS1_3gpuE4ELNS1_3repE0EEENS1_30default_config_static_selectorELNS0_4arch9wavefront6targetE0EEEvSY_.kd
    .uniform_work_group_size: 1
    .uses_dynamic_stack: false
    .vgpr_count:     0
    .vgpr_spill_count: 0
    .wavefront_size: 32
    .workgroup_processor_mode: 1
  - .args:
      - .offset:         0
        .size:           152
        .value_kind:     by_value
    .group_segment_fixed_size: 0
    .kernarg_segment_align: 8
    .kernarg_segment_size: 152
    .language:       OpenCL C
    .language_version:
      - 2
      - 0
    .max_flat_workgroup_size: 256
    .name:           _ZN7rocprim17ROCPRIM_400000_NS6detail17trampoline_kernelINS0_13select_configILj256ELj13ELNS0_17block_load_methodE3ELS4_3ELS4_3ELNS0_20block_scan_algorithmE0ELj4294967295EEENS1_25partition_config_selectorILNS1_17partition_subalgoE3EjNS0_10empty_typeEbEEZZNS1_14partition_implILS8_3ELb0ES6_jNS0_17counting_iteratorIjlEEPS9_SE_NS0_5tupleIJPjSE_EEENSF_IJSE_SE_EEES9_SG_JZNS1_25segmented_radix_sort_implINS0_14default_configELb1EPKiPiPKlPlN2at6native12_GLOBAL__N_18offset_tEEE10hipError_tPvRmT1_PNSt15iterator_traitsISY_E10value_typeET2_T3_PNSZ_IS14_E10value_typeET4_jRbjT5_S1A_jjP12ihipStream_tbEUljE_EEESV_SW_SX_S14_S18_S1A_T6_T7_T9_mT8_S1C_bDpT10_ENKUlT_T0_E_clISt17integral_constantIbLb1EES1P_EEDaS1K_S1L_EUlS1K_E_NS1_11comp_targetILNS1_3genE9ELNS1_11target_archE1100ELNS1_3gpuE3ELNS1_3repE0EEENS1_30default_config_static_selectorELNS0_4arch9wavefront6targetE0EEEvSY_
    .private_segment_fixed_size: 0
    .sgpr_count:     0
    .sgpr_spill_count: 0
    .symbol:         _ZN7rocprim17ROCPRIM_400000_NS6detail17trampoline_kernelINS0_13select_configILj256ELj13ELNS0_17block_load_methodE3ELS4_3ELS4_3ELNS0_20block_scan_algorithmE0ELj4294967295EEENS1_25partition_config_selectorILNS1_17partition_subalgoE3EjNS0_10empty_typeEbEEZZNS1_14partition_implILS8_3ELb0ES6_jNS0_17counting_iteratorIjlEEPS9_SE_NS0_5tupleIJPjSE_EEENSF_IJSE_SE_EEES9_SG_JZNS1_25segmented_radix_sort_implINS0_14default_configELb1EPKiPiPKlPlN2at6native12_GLOBAL__N_18offset_tEEE10hipError_tPvRmT1_PNSt15iterator_traitsISY_E10value_typeET2_T3_PNSZ_IS14_E10value_typeET4_jRbjT5_S1A_jjP12ihipStream_tbEUljE_EEESV_SW_SX_S14_S18_S1A_T6_T7_T9_mT8_S1C_bDpT10_ENKUlT_T0_E_clISt17integral_constantIbLb1EES1P_EEDaS1K_S1L_EUlS1K_E_NS1_11comp_targetILNS1_3genE9ELNS1_11target_archE1100ELNS1_3gpuE3ELNS1_3repE0EEENS1_30default_config_static_selectorELNS0_4arch9wavefront6targetE0EEEvSY_.kd
    .uniform_work_group_size: 1
    .uses_dynamic_stack: false
    .vgpr_count:     0
    .vgpr_spill_count: 0
    .wavefront_size: 32
    .workgroup_processor_mode: 1
  - .args:
      - .offset:         0
        .size:           152
        .value_kind:     by_value
    .group_segment_fixed_size: 0
    .kernarg_segment_align: 8
    .kernarg_segment_size: 152
    .language:       OpenCL C
    .language_version:
      - 2
      - 0
    .max_flat_workgroup_size: 256
    .name:           _ZN7rocprim17ROCPRIM_400000_NS6detail17trampoline_kernelINS0_13select_configILj256ELj13ELNS0_17block_load_methodE3ELS4_3ELS4_3ELNS0_20block_scan_algorithmE0ELj4294967295EEENS1_25partition_config_selectorILNS1_17partition_subalgoE3EjNS0_10empty_typeEbEEZZNS1_14partition_implILS8_3ELb0ES6_jNS0_17counting_iteratorIjlEEPS9_SE_NS0_5tupleIJPjSE_EEENSF_IJSE_SE_EEES9_SG_JZNS1_25segmented_radix_sort_implINS0_14default_configELb1EPKiPiPKlPlN2at6native12_GLOBAL__N_18offset_tEEE10hipError_tPvRmT1_PNSt15iterator_traitsISY_E10value_typeET2_T3_PNSZ_IS14_E10value_typeET4_jRbjT5_S1A_jjP12ihipStream_tbEUljE_EEESV_SW_SX_S14_S18_S1A_T6_T7_T9_mT8_S1C_bDpT10_ENKUlT_T0_E_clISt17integral_constantIbLb1EES1P_EEDaS1K_S1L_EUlS1K_E_NS1_11comp_targetILNS1_3genE8ELNS1_11target_archE1030ELNS1_3gpuE2ELNS1_3repE0EEENS1_30default_config_static_selectorELNS0_4arch9wavefront6targetE0EEEvSY_
    .private_segment_fixed_size: 0
    .sgpr_count:     0
    .sgpr_spill_count: 0
    .symbol:         _ZN7rocprim17ROCPRIM_400000_NS6detail17trampoline_kernelINS0_13select_configILj256ELj13ELNS0_17block_load_methodE3ELS4_3ELS4_3ELNS0_20block_scan_algorithmE0ELj4294967295EEENS1_25partition_config_selectorILNS1_17partition_subalgoE3EjNS0_10empty_typeEbEEZZNS1_14partition_implILS8_3ELb0ES6_jNS0_17counting_iteratorIjlEEPS9_SE_NS0_5tupleIJPjSE_EEENSF_IJSE_SE_EEES9_SG_JZNS1_25segmented_radix_sort_implINS0_14default_configELb1EPKiPiPKlPlN2at6native12_GLOBAL__N_18offset_tEEE10hipError_tPvRmT1_PNSt15iterator_traitsISY_E10value_typeET2_T3_PNSZ_IS14_E10value_typeET4_jRbjT5_S1A_jjP12ihipStream_tbEUljE_EEESV_SW_SX_S14_S18_S1A_T6_T7_T9_mT8_S1C_bDpT10_ENKUlT_T0_E_clISt17integral_constantIbLb1EES1P_EEDaS1K_S1L_EUlS1K_E_NS1_11comp_targetILNS1_3genE8ELNS1_11target_archE1030ELNS1_3gpuE2ELNS1_3repE0EEENS1_30default_config_static_selectorELNS0_4arch9wavefront6targetE0EEEvSY_.kd
    .uniform_work_group_size: 1
    .uses_dynamic_stack: false
    .vgpr_count:     0
    .vgpr_spill_count: 0
    .wavefront_size: 32
    .workgroup_processor_mode: 1
  - .args:
      - .offset:         0
        .size:           144
        .value_kind:     by_value
    .group_segment_fixed_size: 0
    .kernarg_segment_align: 8
    .kernarg_segment_size: 144
    .language:       OpenCL C
    .language_version:
      - 2
      - 0
    .max_flat_workgroup_size: 256
    .name:           _ZN7rocprim17ROCPRIM_400000_NS6detail17trampoline_kernelINS0_13select_configILj256ELj13ELNS0_17block_load_methodE3ELS4_3ELS4_3ELNS0_20block_scan_algorithmE0ELj4294967295EEENS1_25partition_config_selectorILNS1_17partition_subalgoE3EjNS0_10empty_typeEbEEZZNS1_14partition_implILS8_3ELb0ES6_jNS0_17counting_iteratorIjlEEPS9_SE_NS0_5tupleIJPjSE_EEENSF_IJSE_SE_EEES9_SG_JZNS1_25segmented_radix_sort_implINS0_14default_configELb1EPKiPiPKlPlN2at6native12_GLOBAL__N_18offset_tEEE10hipError_tPvRmT1_PNSt15iterator_traitsISY_E10value_typeET2_T3_PNSZ_IS14_E10value_typeET4_jRbjT5_S1A_jjP12ihipStream_tbEUljE_EEESV_SW_SX_S14_S18_S1A_T6_T7_T9_mT8_S1C_bDpT10_ENKUlT_T0_E_clISt17integral_constantIbLb1EES1O_IbLb0EEEEDaS1K_S1L_EUlS1K_E_NS1_11comp_targetILNS1_3genE0ELNS1_11target_archE4294967295ELNS1_3gpuE0ELNS1_3repE0EEENS1_30default_config_static_selectorELNS0_4arch9wavefront6targetE0EEEvSY_
    .private_segment_fixed_size: 0
    .sgpr_count:     0
    .sgpr_spill_count: 0
    .symbol:         _ZN7rocprim17ROCPRIM_400000_NS6detail17trampoline_kernelINS0_13select_configILj256ELj13ELNS0_17block_load_methodE3ELS4_3ELS4_3ELNS0_20block_scan_algorithmE0ELj4294967295EEENS1_25partition_config_selectorILNS1_17partition_subalgoE3EjNS0_10empty_typeEbEEZZNS1_14partition_implILS8_3ELb0ES6_jNS0_17counting_iteratorIjlEEPS9_SE_NS0_5tupleIJPjSE_EEENSF_IJSE_SE_EEES9_SG_JZNS1_25segmented_radix_sort_implINS0_14default_configELb1EPKiPiPKlPlN2at6native12_GLOBAL__N_18offset_tEEE10hipError_tPvRmT1_PNSt15iterator_traitsISY_E10value_typeET2_T3_PNSZ_IS14_E10value_typeET4_jRbjT5_S1A_jjP12ihipStream_tbEUljE_EEESV_SW_SX_S14_S18_S1A_T6_T7_T9_mT8_S1C_bDpT10_ENKUlT_T0_E_clISt17integral_constantIbLb1EES1O_IbLb0EEEEDaS1K_S1L_EUlS1K_E_NS1_11comp_targetILNS1_3genE0ELNS1_11target_archE4294967295ELNS1_3gpuE0ELNS1_3repE0EEENS1_30default_config_static_selectorELNS0_4arch9wavefront6targetE0EEEvSY_.kd
    .uniform_work_group_size: 1
    .uses_dynamic_stack: false
    .vgpr_count:     0
    .vgpr_spill_count: 0
    .wavefront_size: 32
    .workgroup_processor_mode: 1
  - .args:
      - .offset:         0
        .size:           144
        .value_kind:     by_value
    .group_segment_fixed_size: 0
    .kernarg_segment_align: 8
    .kernarg_segment_size: 144
    .language:       OpenCL C
    .language_version:
      - 2
      - 0
    .max_flat_workgroup_size: 256
    .name:           _ZN7rocprim17ROCPRIM_400000_NS6detail17trampoline_kernelINS0_13select_configILj256ELj13ELNS0_17block_load_methodE3ELS4_3ELS4_3ELNS0_20block_scan_algorithmE0ELj4294967295EEENS1_25partition_config_selectorILNS1_17partition_subalgoE3EjNS0_10empty_typeEbEEZZNS1_14partition_implILS8_3ELb0ES6_jNS0_17counting_iteratorIjlEEPS9_SE_NS0_5tupleIJPjSE_EEENSF_IJSE_SE_EEES9_SG_JZNS1_25segmented_radix_sort_implINS0_14default_configELb1EPKiPiPKlPlN2at6native12_GLOBAL__N_18offset_tEEE10hipError_tPvRmT1_PNSt15iterator_traitsISY_E10value_typeET2_T3_PNSZ_IS14_E10value_typeET4_jRbjT5_S1A_jjP12ihipStream_tbEUljE_EEESV_SW_SX_S14_S18_S1A_T6_T7_T9_mT8_S1C_bDpT10_ENKUlT_T0_E_clISt17integral_constantIbLb1EES1O_IbLb0EEEEDaS1K_S1L_EUlS1K_E_NS1_11comp_targetILNS1_3genE5ELNS1_11target_archE942ELNS1_3gpuE9ELNS1_3repE0EEENS1_30default_config_static_selectorELNS0_4arch9wavefront6targetE0EEEvSY_
    .private_segment_fixed_size: 0
    .sgpr_count:     0
    .sgpr_spill_count: 0
    .symbol:         _ZN7rocprim17ROCPRIM_400000_NS6detail17trampoline_kernelINS0_13select_configILj256ELj13ELNS0_17block_load_methodE3ELS4_3ELS4_3ELNS0_20block_scan_algorithmE0ELj4294967295EEENS1_25partition_config_selectorILNS1_17partition_subalgoE3EjNS0_10empty_typeEbEEZZNS1_14partition_implILS8_3ELb0ES6_jNS0_17counting_iteratorIjlEEPS9_SE_NS0_5tupleIJPjSE_EEENSF_IJSE_SE_EEES9_SG_JZNS1_25segmented_radix_sort_implINS0_14default_configELb1EPKiPiPKlPlN2at6native12_GLOBAL__N_18offset_tEEE10hipError_tPvRmT1_PNSt15iterator_traitsISY_E10value_typeET2_T3_PNSZ_IS14_E10value_typeET4_jRbjT5_S1A_jjP12ihipStream_tbEUljE_EEESV_SW_SX_S14_S18_S1A_T6_T7_T9_mT8_S1C_bDpT10_ENKUlT_T0_E_clISt17integral_constantIbLb1EES1O_IbLb0EEEEDaS1K_S1L_EUlS1K_E_NS1_11comp_targetILNS1_3genE5ELNS1_11target_archE942ELNS1_3gpuE9ELNS1_3repE0EEENS1_30default_config_static_selectorELNS0_4arch9wavefront6targetE0EEEvSY_.kd
    .uniform_work_group_size: 1
    .uses_dynamic_stack: false
    .vgpr_count:     0
    .vgpr_spill_count: 0
    .wavefront_size: 32
    .workgroup_processor_mode: 1
  - .args:
      - .offset:         0
        .size:           144
        .value_kind:     by_value
    .group_segment_fixed_size: 0
    .kernarg_segment_align: 8
    .kernarg_segment_size: 144
    .language:       OpenCL C
    .language_version:
      - 2
      - 0
    .max_flat_workgroup_size: 256
    .name:           _ZN7rocprim17ROCPRIM_400000_NS6detail17trampoline_kernelINS0_13select_configILj256ELj13ELNS0_17block_load_methodE3ELS4_3ELS4_3ELNS0_20block_scan_algorithmE0ELj4294967295EEENS1_25partition_config_selectorILNS1_17partition_subalgoE3EjNS0_10empty_typeEbEEZZNS1_14partition_implILS8_3ELb0ES6_jNS0_17counting_iteratorIjlEEPS9_SE_NS0_5tupleIJPjSE_EEENSF_IJSE_SE_EEES9_SG_JZNS1_25segmented_radix_sort_implINS0_14default_configELb1EPKiPiPKlPlN2at6native12_GLOBAL__N_18offset_tEEE10hipError_tPvRmT1_PNSt15iterator_traitsISY_E10value_typeET2_T3_PNSZ_IS14_E10value_typeET4_jRbjT5_S1A_jjP12ihipStream_tbEUljE_EEESV_SW_SX_S14_S18_S1A_T6_T7_T9_mT8_S1C_bDpT10_ENKUlT_T0_E_clISt17integral_constantIbLb1EES1O_IbLb0EEEEDaS1K_S1L_EUlS1K_E_NS1_11comp_targetILNS1_3genE4ELNS1_11target_archE910ELNS1_3gpuE8ELNS1_3repE0EEENS1_30default_config_static_selectorELNS0_4arch9wavefront6targetE0EEEvSY_
    .private_segment_fixed_size: 0
    .sgpr_count:     0
    .sgpr_spill_count: 0
    .symbol:         _ZN7rocprim17ROCPRIM_400000_NS6detail17trampoline_kernelINS0_13select_configILj256ELj13ELNS0_17block_load_methodE3ELS4_3ELS4_3ELNS0_20block_scan_algorithmE0ELj4294967295EEENS1_25partition_config_selectorILNS1_17partition_subalgoE3EjNS0_10empty_typeEbEEZZNS1_14partition_implILS8_3ELb0ES6_jNS0_17counting_iteratorIjlEEPS9_SE_NS0_5tupleIJPjSE_EEENSF_IJSE_SE_EEES9_SG_JZNS1_25segmented_radix_sort_implINS0_14default_configELb1EPKiPiPKlPlN2at6native12_GLOBAL__N_18offset_tEEE10hipError_tPvRmT1_PNSt15iterator_traitsISY_E10value_typeET2_T3_PNSZ_IS14_E10value_typeET4_jRbjT5_S1A_jjP12ihipStream_tbEUljE_EEESV_SW_SX_S14_S18_S1A_T6_T7_T9_mT8_S1C_bDpT10_ENKUlT_T0_E_clISt17integral_constantIbLb1EES1O_IbLb0EEEEDaS1K_S1L_EUlS1K_E_NS1_11comp_targetILNS1_3genE4ELNS1_11target_archE910ELNS1_3gpuE8ELNS1_3repE0EEENS1_30default_config_static_selectorELNS0_4arch9wavefront6targetE0EEEvSY_.kd
    .uniform_work_group_size: 1
    .uses_dynamic_stack: false
    .vgpr_count:     0
    .vgpr_spill_count: 0
    .wavefront_size: 32
    .workgroup_processor_mode: 1
  - .args:
      - .offset:         0
        .size:           144
        .value_kind:     by_value
    .group_segment_fixed_size: 0
    .kernarg_segment_align: 8
    .kernarg_segment_size: 144
    .language:       OpenCL C
    .language_version:
      - 2
      - 0
    .max_flat_workgroup_size: 256
    .name:           _ZN7rocprim17ROCPRIM_400000_NS6detail17trampoline_kernelINS0_13select_configILj256ELj13ELNS0_17block_load_methodE3ELS4_3ELS4_3ELNS0_20block_scan_algorithmE0ELj4294967295EEENS1_25partition_config_selectorILNS1_17partition_subalgoE3EjNS0_10empty_typeEbEEZZNS1_14partition_implILS8_3ELb0ES6_jNS0_17counting_iteratorIjlEEPS9_SE_NS0_5tupleIJPjSE_EEENSF_IJSE_SE_EEES9_SG_JZNS1_25segmented_radix_sort_implINS0_14default_configELb1EPKiPiPKlPlN2at6native12_GLOBAL__N_18offset_tEEE10hipError_tPvRmT1_PNSt15iterator_traitsISY_E10value_typeET2_T3_PNSZ_IS14_E10value_typeET4_jRbjT5_S1A_jjP12ihipStream_tbEUljE_EEESV_SW_SX_S14_S18_S1A_T6_T7_T9_mT8_S1C_bDpT10_ENKUlT_T0_E_clISt17integral_constantIbLb1EES1O_IbLb0EEEEDaS1K_S1L_EUlS1K_E_NS1_11comp_targetILNS1_3genE3ELNS1_11target_archE908ELNS1_3gpuE7ELNS1_3repE0EEENS1_30default_config_static_selectorELNS0_4arch9wavefront6targetE0EEEvSY_
    .private_segment_fixed_size: 0
    .sgpr_count:     0
    .sgpr_spill_count: 0
    .symbol:         _ZN7rocprim17ROCPRIM_400000_NS6detail17trampoline_kernelINS0_13select_configILj256ELj13ELNS0_17block_load_methodE3ELS4_3ELS4_3ELNS0_20block_scan_algorithmE0ELj4294967295EEENS1_25partition_config_selectorILNS1_17partition_subalgoE3EjNS0_10empty_typeEbEEZZNS1_14partition_implILS8_3ELb0ES6_jNS0_17counting_iteratorIjlEEPS9_SE_NS0_5tupleIJPjSE_EEENSF_IJSE_SE_EEES9_SG_JZNS1_25segmented_radix_sort_implINS0_14default_configELb1EPKiPiPKlPlN2at6native12_GLOBAL__N_18offset_tEEE10hipError_tPvRmT1_PNSt15iterator_traitsISY_E10value_typeET2_T3_PNSZ_IS14_E10value_typeET4_jRbjT5_S1A_jjP12ihipStream_tbEUljE_EEESV_SW_SX_S14_S18_S1A_T6_T7_T9_mT8_S1C_bDpT10_ENKUlT_T0_E_clISt17integral_constantIbLb1EES1O_IbLb0EEEEDaS1K_S1L_EUlS1K_E_NS1_11comp_targetILNS1_3genE3ELNS1_11target_archE908ELNS1_3gpuE7ELNS1_3repE0EEENS1_30default_config_static_selectorELNS0_4arch9wavefront6targetE0EEEvSY_.kd
    .uniform_work_group_size: 1
    .uses_dynamic_stack: false
    .vgpr_count:     0
    .vgpr_spill_count: 0
    .wavefront_size: 32
    .workgroup_processor_mode: 1
  - .args:
      - .offset:         0
        .size:           144
        .value_kind:     by_value
    .group_segment_fixed_size: 0
    .kernarg_segment_align: 8
    .kernarg_segment_size: 144
    .language:       OpenCL C
    .language_version:
      - 2
      - 0
    .max_flat_workgroup_size: 256
    .name:           _ZN7rocprim17ROCPRIM_400000_NS6detail17trampoline_kernelINS0_13select_configILj256ELj13ELNS0_17block_load_methodE3ELS4_3ELS4_3ELNS0_20block_scan_algorithmE0ELj4294967295EEENS1_25partition_config_selectorILNS1_17partition_subalgoE3EjNS0_10empty_typeEbEEZZNS1_14partition_implILS8_3ELb0ES6_jNS0_17counting_iteratorIjlEEPS9_SE_NS0_5tupleIJPjSE_EEENSF_IJSE_SE_EEES9_SG_JZNS1_25segmented_radix_sort_implINS0_14default_configELb1EPKiPiPKlPlN2at6native12_GLOBAL__N_18offset_tEEE10hipError_tPvRmT1_PNSt15iterator_traitsISY_E10value_typeET2_T3_PNSZ_IS14_E10value_typeET4_jRbjT5_S1A_jjP12ihipStream_tbEUljE_EEESV_SW_SX_S14_S18_S1A_T6_T7_T9_mT8_S1C_bDpT10_ENKUlT_T0_E_clISt17integral_constantIbLb1EES1O_IbLb0EEEEDaS1K_S1L_EUlS1K_E_NS1_11comp_targetILNS1_3genE2ELNS1_11target_archE906ELNS1_3gpuE6ELNS1_3repE0EEENS1_30default_config_static_selectorELNS0_4arch9wavefront6targetE0EEEvSY_
    .private_segment_fixed_size: 0
    .sgpr_count:     0
    .sgpr_spill_count: 0
    .symbol:         _ZN7rocprim17ROCPRIM_400000_NS6detail17trampoline_kernelINS0_13select_configILj256ELj13ELNS0_17block_load_methodE3ELS4_3ELS4_3ELNS0_20block_scan_algorithmE0ELj4294967295EEENS1_25partition_config_selectorILNS1_17partition_subalgoE3EjNS0_10empty_typeEbEEZZNS1_14partition_implILS8_3ELb0ES6_jNS0_17counting_iteratorIjlEEPS9_SE_NS0_5tupleIJPjSE_EEENSF_IJSE_SE_EEES9_SG_JZNS1_25segmented_radix_sort_implINS0_14default_configELb1EPKiPiPKlPlN2at6native12_GLOBAL__N_18offset_tEEE10hipError_tPvRmT1_PNSt15iterator_traitsISY_E10value_typeET2_T3_PNSZ_IS14_E10value_typeET4_jRbjT5_S1A_jjP12ihipStream_tbEUljE_EEESV_SW_SX_S14_S18_S1A_T6_T7_T9_mT8_S1C_bDpT10_ENKUlT_T0_E_clISt17integral_constantIbLb1EES1O_IbLb0EEEEDaS1K_S1L_EUlS1K_E_NS1_11comp_targetILNS1_3genE2ELNS1_11target_archE906ELNS1_3gpuE6ELNS1_3repE0EEENS1_30default_config_static_selectorELNS0_4arch9wavefront6targetE0EEEvSY_.kd
    .uniform_work_group_size: 1
    .uses_dynamic_stack: false
    .vgpr_count:     0
    .vgpr_spill_count: 0
    .wavefront_size: 32
    .workgroup_processor_mode: 1
  - .args:
      - .offset:         0
        .size:           144
        .value_kind:     by_value
    .group_segment_fixed_size: 0
    .kernarg_segment_align: 8
    .kernarg_segment_size: 144
    .language:       OpenCL C
    .language_version:
      - 2
      - 0
    .max_flat_workgroup_size: 256
    .name:           _ZN7rocprim17ROCPRIM_400000_NS6detail17trampoline_kernelINS0_13select_configILj256ELj13ELNS0_17block_load_methodE3ELS4_3ELS4_3ELNS0_20block_scan_algorithmE0ELj4294967295EEENS1_25partition_config_selectorILNS1_17partition_subalgoE3EjNS0_10empty_typeEbEEZZNS1_14partition_implILS8_3ELb0ES6_jNS0_17counting_iteratorIjlEEPS9_SE_NS0_5tupleIJPjSE_EEENSF_IJSE_SE_EEES9_SG_JZNS1_25segmented_radix_sort_implINS0_14default_configELb1EPKiPiPKlPlN2at6native12_GLOBAL__N_18offset_tEEE10hipError_tPvRmT1_PNSt15iterator_traitsISY_E10value_typeET2_T3_PNSZ_IS14_E10value_typeET4_jRbjT5_S1A_jjP12ihipStream_tbEUljE_EEESV_SW_SX_S14_S18_S1A_T6_T7_T9_mT8_S1C_bDpT10_ENKUlT_T0_E_clISt17integral_constantIbLb1EES1O_IbLb0EEEEDaS1K_S1L_EUlS1K_E_NS1_11comp_targetILNS1_3genE10ELNS1_11target_archE1200ELNS1_3gpuE4ELNS1_3repE0EEENS1_30default_config_static_selectorELNS0_4arch9wavefront6targetE0EEEvSY_
    .private_segment_fixed_size: 0
    .sgpr_count:     0
    .sgpr_spill_count: 0
    .symbol:         _ZN7rocprim17ROCPRIM_400000_NS6detail17trampoline_kernelINS0_13select_configILj256ELj13ELNS0_17block_load_methodE3ELS4_3ELS4_3ELNS0_20block_scan_algorithmE0ELj4294967295EEENS1_25partition_config_selectorILNS1_17partition_subalgoE3EjNS0_10empty_typeEbEEZZNS1_14partition_implILS8_3ELb0ES6_jNS0_17counting_iteratorIjlEEPS9_SE_NS0_5tupleIJPjSE_EEENSF_IJSE_SE_EEES9_SG_JZNS1_25segmented_radix_sort_implINS0_14default_configELb1EPKiPiPKlPlN2at6native12_GLOBAL__N_18offset_tEEE10hipError_tPvRmT1_PNSt15iterator_traitsISY_E10value_typeET2_T3_PNSZ_IS14_E10value_typeET4_jRbjT5_S1A_jjP12ihipStream_tbEUljE_EEESV_SW_SX_S14_S18_S1A_T6_T7_T9_mT8_S1C_bDpT10_ENKUlT_T0_E_clISt17integral_constantIbLb1EES1O_IbLb0EEEEDaS1K_S1L_EUlS1K_E_NS1_11comp_targetILNS1_3genE10ELNS1_11target_archE1200ELNS1_3gpuE4ELNS1_3repE0EEENS1_30default_config_static_selectorELNS0_4arch9wavefront6targetE0EEEvSY_.kd
    .uniform_work_group_size: 1
    .uses_dynamic_stack: false
    .vgpr_count:     0
    .vgpr_spill_count: 0
    .wavefront_size: 32
    .workgroup_processor_mode: 1
  - .args:
      - .offset:         0
        .size:           144
        .value_kind:     by_value
    .group_segment_fixed_size: 0
    .kernarg_segment_align: 8
    .kernarg_segment_size: 144
    .language:       OpenCL C
    .language_version:
      - 2
      - 0
    .max_flat_workgroup_size: 256
    .name:           _ZN7rocprim17ROCPRIM_400000_NS6detail17trampoline_kernelINS0_13select_configILj256ELj13ELNS0_17block_load_methodE3ELS4_3ELS4_3ELNS0_20block_scan_algorithmE0ELj4294967295EEENS1_25partition_config_selectorILNS1_17partition_subalgoE3EjNS0_10empty_typeEbEEZZNS1_14partition_implILS8_3ELb0ES6_jNS0_17counting_iteratorIjlEEPS9_SE_NS0_5tupleIJPjSE_EEENSF_IJSE_SE_EEES9_SG_JZNS1_25segmented_radix_sort_implINS0_14default_configELb1EPKiPiPKlPlN2at6native12_GLOBAL__N_18offset_tEEE10hipError_tPvRmT1_PNSt15iterator_traitsISY_E10value_typeET2_T3_PNSZ_IS14_E10value_typeET4_jRbjT5_S1A_jjP12ihipStream_tbEUljE_EEESV_SW_SX_S14_S18_S1A_T6_T7_T9_mT8_S1C_bDpT10_ENKUlT_T0_E_clISt17integral_constantIbLb1EES1O_IbLb0EEEEDaS1K_S1L_EUlS1K_E_NS1_11comp_targetILNS1_3genE9ELNS1_11target_archE1100ELNS1_3gpuE3ELNS1_3repE0EEENS1_30default_config_static_selectorELNS0_4arch9wavefront6targetE0EEEvSY_
    .private_segment_fixed_size: 0
    .sgpr_count:     0
    .sgpr_spill_count: 0
    .symbol:         _ZN7rocprim17ROCPRIM_400000_NS6detail17trampoline_kernelINS0_13select_configILj256ELj13ELNS0_17block_load_methodE3ELS4_3ELS4_3ELNS0_20block_scan_algorithmE0ELj4294967295EEENS1_25partition_config_selectorILNS1_17partition_subalgoE3EjNS0_10empty_typeEbEEZZNS1_14partition_implILS8_3ELb0ES6_jNS0_17counting_iteratorIjlEEPS9_SE_NS0_5tupleIJPjSE_EEENSF_IJSE_SE_EEES9_SG_JZNS1_25segmented_radix_sort_implINS0_14default_configELb1EPKiPiPKlPlN2at6native12_GLOBAL__N_18offset_tEEE10hipError_tPvRmT1_PNSt15iterator_traitsISY_E10value_typeET2_T3_PNSZ_IS14_E10value_typeET4_jRbjT5_S1A_jjP12ihipStream_tbEUljE_EEESV_SW_SX_S14_S18_S1A_T6_T7_T9_mT8_S1C_bDpT10_ENKUlT_T0_E_clISt17integral_constantIbLb1EES1O_IbLb0EEEEDaS1K_S1L_EUlS1K_E_NS1_11comp_targetILNS1_3genE9ELNS1_11target_archE1100ELNS1_3gpuE3ELNS1_3repE0EEENS1_30default_config_static_selectorELNS0_4arch9wavefront6targetE0EEEvSY_.kd
    .uniform_work_group_size: 1
    .uses_dynamic_stack: false
    .vgpr_count:     0
    .vgpr_spill_count: 0
    .wavefront_size: 32
    .workgroup_processor_mode: 1
  - .args:
      - .offset:         0
        .size:           144
        .value_kind:     by_value
    .group_segment_fixed_size: 0
    .kernarg_segment_align: 8
    .kernarg_segment_size: 144
    .language:       OpenCL C
    .language_version:
      - 2
      - 0
    .max_flat_workgroup_size: 256
    .name:           _ZN7rocprim17ROCPRIM_400000_NS6detail17trampoline_kernelINS0_13select_configILj256ELj13ELNS0_17block_load_methodE3ELS4_3ELS4_3ELNS0_20block_scan_algorithmE0ELj4294967295EEENS1_25partition_config_selectorILNS1_17partition_subalgoE3EjNS0_10empty_typeEbEEZZNS1_14partition_implILS8_3ELb0ES6_jNS0_17counting_iteratorIjlEEPS9_SE_NS0_5tupleIJPjSE_EEENSF_IJSE_SE_EEES9_SG_JZNS1_25segmented_radix_sort_implINS0_14default_configELb1EPKiPiPKlPlN2at6native12_GLOBAL__N_18offset_tEEE10hipError_tPvRmT1_PNSt15iterator_traitsISY_E10value_typeET2_T3_PNSZ_IS14_E10value_typeET4_jRbjT5_S1A_jjP12ihipStream_tbEUljE_EEESV_SW_SX_S14_S18_S1A_T6_T7_T9_mT8_S1C_bDpT10_ENKUlT_T0_E_clISt17integral_constantIbLb1EES1O_IbLb0EEEEDaS1K_S1L_EUlS1K_E_NS1_11comp_targetILNS1_3genE8ELNS1_11target_archE1030ELNS1_3gpuE2ELNS1_3repE0EEENS1_30default_config_static_selectorELNS0_4arch9wavefront6targetE0EEEvSY_
    .private_segment_fixed_size: 0
    .sgpr_count:     0
    .sgpr_spill_count: 0
    .symbol:         _ZN7rocprim17ROCPRIM_400000_NS6detail17trampoline_kernelINS0_13select_configILj256ELj13ELNS0_17block_load_methodE3ELS4_3ELS4_3ELNS0_20block_scan_algorithmE0ELj4294967295EEENS1_25partition_config_selectorILNS1_17partition_subalgoE3EjNS0_10empty_typeEbEEZZNS1_14partition_implILS8_3ELb0ES6_jNS0_17counting_iteratorIjlEEPS9_SE_NS0_5tupleIJPjSE_EEENSF_IJSE_SE_EEES9_SG_JZNS1_25segmented_radix_sort_implINS0_14default_configELb1EPKiPiPKlPlN2at6native12_GLOBAL__N_18offset_tEEE10hipError_tPvRmT1_PNSt15iterator_traitsISY_E10value_typeET2_T3_PNSZ_IS14_E10value_typeET4_jRbjT5_S1A_jjP12ihipStream_tbEUljE_EEESV_SW_SX_S14_S18_S1A_T6_T7_T9_mT8_S1C_bDpT10_ENKUlT_T0_E_clISt17integral_constantIbLb1EES1O_IbLb0EEEEDaS1K_S1L_EUlS1K_E_NS1_11comp_targetILNS1_3genE8ELNS1_11target_archE1030ELNS1_3gpuE2ELNS1_3repE0EEENS1_30default_config_static_selectorELNS0_4arch9wavefront6targetE0EEEvSY_.kd
    .uniform_work_group_size: 1
    .uses_dynamic_stack: false
    .vgpr_count:     0
    .vgpr_spill_count: 0
    .wavefront_size: 32
    .workgroup_processor_mode: 1
  - .args:
      - .offset:         0
        .size:           152
        .value_kind:     by_value
    .group_segment_fixed_size: 0
    .kernarg_segment_align: 8
    .kernarg_segment_size: 152
    .language:       OpenCL C
    .language_version:
      - 2
      - 0
    .max_flat_workgroup_size: 256
    .name:           _ZN7rocprim17ROCPRIM_400000_NS6detail17trampoline_kernelINS0_13select_configILj256ELj13ELNS0_17block_load_methodE3ELS4_3ELS4_3ELNS0_20block_scan_algorithmE0ELj4294967295EEENS1_25partition_config_selectorILNS1_17partition_subalgoE3EjNS0_10empty_typeEbEEZZNS1_14partition_implILS8_3ELb0ES6_jNS0_17counting_iteratorIjlEEPS9_SE_NS0_5tupleIJPjSE_EEENSF_IJSE_SE_EEES9_SG_JZNS1_25segmented_radix_sort_implINS0_14default_configELb1EPKiPiPKlPlN2at6native12_GLOBAL__N_18offset_tEEE10hipError_tPvRmT1_PNSt15iterator_traitsISY_E10value_typeET2_T3_PNSZ_IS14_E10value_typeET4_jRbjT5_S1A_jjP12ihipStream_tbEUljE_EEESV_SW_SX_S14_S18_S1A_T6_T7_T9_mT8_S1C_bDpT10_ENKUlT_T0_E_clISt17integral_constantIbLb0EES1O_IbLb1EEEEDaS1K_S1L_EUlS1K_E_NS1_11comp_targetILNS1_3genE0ELNS1_11target_archE4294967295ELNS1_3gpuE0ELNS1_3repE0EEENS1_30default_config_static_selectorELNS0_4arch9wavefront6targetE0EEEvSY_
    .private_segment_fixed_size: 0
    .sgpr_count:     0
    .sgpr_spill_count: 0
    .symbol:         _ZN7rocprim17ROCPRIM_400000_NS6detail17trampoline_kernelINS0_13select_configILj256ELj13ELNS0_17block_load_methodE3ELS4_3ELS4_3ELNS0_20block_scan_algorithmE0ELj4294967295EEENS1_25partition_config_selectorILNS1_17partition_subalgoE3EjNS0_10empty_typeEbEEZZNS1_14partition_implILS8_3ELb0ES6_jNS0_17counting_iteratorIjlEEPS9_SE_NS0_5tupleIJPjSE_EEENSF_IJSE_SE_EEES9_SG_JZNS1_25segmented_radix_sort_implINS0_14default_configELb1EPKiPiPKlPlN2at6native12_GLOBAL__N_18offset_tEEE10hipError_tPvRmT1_PNSt15iterator_traitsISY_E10value_typeET2_T3_PNSZ_IS14_E10value_typeET4_jRbjT5_S1A_jjP12ihipStream_tbEUljE_EEESV_SW_SX_S14_S18_S1A_T6_T7_T9_mT8_S1C_bDpT10_ENKUlT_T0_E_clISt17integral_constantIbLb0EES1O_IbLb1EEEEDaS1K_S1L_EUlS1K_E_NS1_11comp_targetILNS1_3genE0ELNS1_11target_archE4294967295ELNS1_3gpuE0ELNS1_3repE0EEENS1_30default_config_static_selectorELNS0_4arch9wavefront6targetE0EEEvSY_.kd
    .uniform_work_group_size: 1
    .uses_dynamic_stack: false
    .vgpr_count:     0
    .vgpr_spill_count: 0
    .wavefront_size: 32
    .workgroup_processor_mode: 1
  - .args:
      - .offset:         0
        .size:           152
        .value_kind:     by_value
    .group_segment_fixed_size: 0
    .kernarg_segment_align: 8
    .kernarg_segment_size: 152
    .language:       OpenCL C
    .language_version:
      - 2
      - 0
    .max_flat_workgroup_size: 256
    .name:           _ZN7rocprim17ROCPRIM_400000_NS6detail17trampoline_kernelINS0_13select_configILj256ELj13ELNS0_17block_load_methodE3ELS4_3ELS4_3ELNS0_20block_scan_algorithmE0ELj4294967295EEENS1_25partition_config_selectorILNS1_17partition_subalgoE3EjNS0_10empty_typeEbEEZZNS1_14partition_implILS8_3ELb0ES6_jNS0_17counting_iteratorIjlEEPS9_SE_NS0_5tupleIJPjSE_EEENSF_IJSE_SE_EEES9_SG_JZNS1_25segmented_radix_sort_implINS0_14default_configELb1EPKiPiPKlPlN2at6native12_GLOBAL__N_18offset_tEEE10hipError_tPvRmT1_PNSt15iterator_traitsISY_E10value_typeET2_T3_PNSZ_IS14_E10value_typeET4_jRbjT5_S1A_jjP12ihipStream_tbEUljE_EEESV_SW_SX_S14_S18_S1A_T6_T7_T9_mT8_S1C_bDpT10_ENKUlT_T0_E_clISt17integral_constantIbLb0EES1O_IbLb1EEEEDaS1K_S1L_EUlS1K_E_NS1_11comp_targetILNS1_3genE5ELNS1_11target_archE942ELNS1_3gpuE9ELNS1_3repE0EEENS1_30default_config_static_selectorELNS0_4arch9wavefront6targetE0EEEvSY_
    .private_segment_fixed_size: 0
    .sgpr_count:     0
    .sgpr_spill_count: 0
    .symbol:         _ZN7rocprim17ROCPRIM_400000_NS6detail17trampoline_kernelINS0_13select_configILj256ELj13ELNS0_17block_load_methodE3ELS4_3ELS4_3ELNS0_20block_scan_algorithmE0ELj4294967295EEENS1_25partition_config_selectorILNS1_17partition_subalgoE3EjNS0_10empty_typeEbEEZZNS1_14partition_implILS8_3ELb0ES6_jNS0_17counting_iteratorIjlEEPS9_SE_NS0_5tupleIJPjSE_EEENSF_IJSE_SE_EEES9_SG_JZNS1_25segmented_radix_sort_implINS0_14default_configELb1EPKiPiPKlPlN2at6native12_GLOBAL__N_18offset_tEEE10hipError_tPvRmT1_PNSt15iterator_traitsISY_E10value_typeET2_T3_PNSZ_IS14_E10value_typeET4_jRbjT5_S1A_jjP12ihipStream_tbEUljE_EEESV_SW_SX_S14_S18_S1A_T6_T7_T9_mT8_S1C_bDpT10_ENKUlT_T0_E_clISt17integral_constantIbLb0EES1O_IbLb1EEEEDaS1K_S1L_EUlS1K_E_NS1_11comp_targetILNS1_3genE5ELNS1_11target_archE942ELNS1_3gpuE9ELNS1_3repE0EEENS1_30default_config_static_selectorELNS0_4arch9wavefront6targetE0EEEvSY_.kd
    .uniform_work_group_size: 1
    .uses_dynamic_stack: false
    .vgpr_count:     0
    .vgpr_spill_count: 0
    .wavefront_size: 32
    .workgroup_processor_mode: 1
  - .args:
      - .offset:         0
        .size:           152
        .value_kind:     by_value
    .group_segment_fixed_size: 0
    .kernarg_segment_align: 8
    .kernarg_segment_size: 152
    .language:       OpenCL C
    .language_version:
      - 2
      - 0
    .max_flat_workgroup_size: 256
    .name:           _ZN7rocprim17ROCPRIM_400000_NS6detail17trampoline_kernelINS0_13select_configILj256ELj13ELNS0_17block_load_methodE3ELS4_3ELS4_3ELNS0_20block_scan_algorithmE0ELj4294967295EEENS1_25partition_config_selectorILNS1_17partition_subalgoE3EjNS0_10empty_typeEbEEZZNS1_14partition_implILS8_3ELb0ES6_jNS0_17counting_iteratorIjlEEPS9_SE_NS0_5tupleIJPjSE_EEENSF_IJSE_SE_EEES9_SG_JZNS1_25segmented_radix_sort_implINS0_14default_configELb1EPKiPiPKlPlN2at6native12_GLOBAL__N_18offset_tEEE10hipError_tPvRmT1_PNSt15iterator_traitsISY_E10value_typeET2_T3_PNSZ_IS14_E10value_typeET4_jRbjT5_S1A_jjP12ihipStream_tbEUljE_EEESV_SW_SX_S14_S18_S1A_T6_T7_T9_mT8_S1C_bDpT10_ENKUlT_T0_E_clISt17integral_constantIbLb0EES1O_IbLb1EEEEDaS1K_S1L_EUlS1K_E_NS1_11comp_targetILNS1_3genE4ELNS1_11target_archE910ELNS1_3gpuE8ELNS1_3repE0EEENS1_30default_config_static_selectorELNS0_4arch9wavefront6targetE0EEEvSY_
    .private_segment_fixed_size: 0
    .sgpr_count:     0
    .sgpr_spill_count: 0
    .symbol:         _ZN7rocprim17ROCPRIM_400000_NS6detail17trampoline_kernelINS0_13select_configILj256ELj13ELNS0_17block_load_methodE3ELS4_3ELS4_3ELNS0_20block_scan_algorithmE0ELj4294967295EEENS1_25partition_config_selectorILNS1_17partition_subalgoE3EjNS0_10empty_typeEbEEZZNS1_14partition_implILS8_3ELb0ES6_jNS0_17counting_iteratorIjlEEPS9_SE_NS0_5tupleIJPjSE_EEENSF_IJSE_SE_EEES9_SG_JZNS1_25segmented_radix_sort_implINS0_14default_configELb1EPKiPiPKlPlN2at6native12_GLOBAL__N_18offset_tEEE10hipError_tPvRmT1_PNSt15iterator_traitsISY_E10value_typeET2_T3_PNSZ_IS14_E10value_typeET4_jRbjT5_S1A_jjP12ihipStream_tbEUljE_EEESV_SW_SX_S14_S18_S1A_T6_T7_T9_mT8_S1C_bDpT10_ENKUlT_T0_E_clISt17integral_constantIbLb0EES1O_IbLb1EEEEDaS1K_S1L_EUlS1K_E_NS1_11comp_targetILNS1_3genE4ELNS1_11target_archE910ELNS1_3gpuE8ELNS1_3repE0EEENS1_30default_config_static_selectorELNS0_4arch9wavefront6targetE0EEEvSY_.kd
    .uniform_work_group_size: 1
    .uses_dynamic_stack: false
    .vgpr_count:     0
    .vgpr_spill_count: 0
    .wavefront_size: 32
    .workgroup_processor_mode: 1
  - .args:
      - .offset:         0
        .size:           152
        .value_kind:     by_value
    .group_segment_fixed_size: 0
    .kernarg_segment_align: 8
    .kernarg_segment_size: 152
    .language:       OpenCL C
    .language_version:
      - 2
      - 0
    .max_flat_workgroup_size: 256
    .name:           _ZN7rocprim17ROCPRIM_400000_NS6detail17trampoline_kernelINS0_13select_configILj256ELj13ELNS0_17block_load_methodE3ELS4_3ELS4_3ELNS0_20block_scan_algorithmE0ELj4294967295EEENS1_25partition_config_selectorILNS1_17partition_subalgoE3EjNS0_10empty_typeEbEEZZNS1_14partition_implILS8_3ELb0ES6_jNS0_17counting_iteratorIjlEEPS9_SE_NS0_5tupleIJPjSE_EEENSF_IJSE_SE_EEES9_SG_JZNS1_25segmented_radix_sort_implINS0_14default_configELb1EPKiPiPKlPlN2at6native12_GLOBAL__N_18offset_tEEE10hipError_tPvRmT1_PNSt15iterator_traitsISY_E10value_typeET2_T3_PNSZ_IS14_E10value_typeET4_jRbjT5_S1A_jjP12ihipStream_tbEUljE_EEESV_SW_SX_S14_S18_S1A_T6_T7_T9_mT8_S1C_bDpT10_ENKUlT_T0_E_clISt17integral_constantIbLb0EES1O_IbLb1EEEEDaS1K_S1L_EUlS1K_E_NS1_11comp_targetILNS1_3genE3ELNS1_11target_archE908ELNS1_3gpuE7ELNS1_3repE0EEENS1_30default_config_static_selectorELNS0_4arch9wavefront6targetE0EEEvSY_
    .private_segment_fixed_size: 0
    .sgpr_count:     0
    .sgpr_spill_count: 0
    .symbol:         _ZN7rocprim17ROCPRIM_400000_NS6detail17trampoline_kernelINS0_13select_configILj256ELj13ELNS0_17block_load_methodE3ELS4_3ELS4_3ELNS0_20block_scan_algorithmE0ELj4294967295EEENS1_25partition_config_selectorILNS1_17partition_subalgoE3EjNS0_10empty_typeEbEEZZNS1_14partition_implILS8_3ELb0ES6_jNS0_17counting_iteratorIjlEEPS9_SE_NS0_5tupleIJPjSE_EEENSF_IJSE_SE_EEES9_SG_JZNS1_25segmented_radix_sort_implINS0_14default_configELb1EPKiPiPKlPlN2at6native12_GLOBAL__N_18offset_tEEE10hipError_tPvRmT1_PNSt15iterator_traitsISY_E10value_typeET2_T3_PNSZ_IS14_E10value_typeET4_jRbjT5_S1A_jjP12ihipStream_tbEUljE_EEESV_SW_SX_S14_S18_S1A_T6_T7_T9_mT8_S1C_bDpT10_ENKUlT_T0_E_clISt17integral_constantIbLb0EES1O_IbLb1EEEEDaS1K_S1L_EUlS1K_E_NS1_11comp_targetILNS1_3genE3ELNS1_11target_archE908ELNS1_3gpuE7ELNS1_3repE0EEENS1_30default_config_static_selectorELNS0_4arch9wavefront6targetE0EEEvSY_.kd
    .uniform_work_group_size: 1
    .uses_dynamic_stack: false
    .vgpr_count:     0
    .vgpr_spill_count: 0
    .wavefront_size: 32
    .workgroup_processor_mode: 1
  - .args:
      - .offset:         0
        .size:           152
        .value_kind:     by_value
    .group_segment_fixed_size: 0
    .kernarg_segment_align: 8
    .kernarg_segment_size: 152
    .language:       OpenCL C
    .language_version:
      - 2
      - 0
    .max_flat_workgroup_size: 256
    .name:           _ZN7rocprim17ROCPRIM_400000_NS6detail17trampoline_kernelINS0_13select_configILj256ELj13ELNS0_17block_load_methodE3ELS4_3ELS4_3ELNS0_20block_scan_algorithmE0ELj4294967295EEENS1_25partition_config_selectorILNS1_17partition_subalgoE3EjNS0_10empty_typeEbEEZZNS1_14partition_implILS8_3ELb0ES6_jNS0_17counting_iteratorIjlEEPS9_SE_NS0_5tupleIJPjSE_EEENSF_IJSE_SE_EEES9_SG_JZNS1_25segmented_radix_sort_implINS0_14default_configELb1EPKiPiPKlPlN2at6native12_GLOBAL__N_18offset_tEEE10hipError_tPvRmT1_PNSt15iterator_traitsISY_E10value_typeET2_T3_PNSZ_IS14_E10value_typeET4_jRbjT5_S1A_jjP12ihipStream_tbEUljE_EEESV_SW_SX_S14_S18_S1A_T6_T7_T9_mT8_S1C_bDpT10_ENKUlT_T0_E_clISt17integral_constantIbLb0EES1O_IbLb1EEEEDaS1K_S1L_EUlS1K_E_NS1_11comp_targetILNS1_3genE2ELNS1_11target_archE906ELNS1_3gpuE6ELNS1_3repE0EEENS1_30default_config_static_selectorELNS0_4arch9wavefront6targetE0EEEvSY_
    .private_segment_fixed_size: 0
    .sgpr_count:     0
    .sgpr_spill_count: 0
    .symbol:         _ZN7rocprim17ROCPRIM_400000_NS6detail17trampoline_kernelINS0_13select_configILj256ELj13ELNS0_17block_load_methodE3ELS4_3ELS4_3ELNS0_20block_scan_algorithmE0ELj4294967295EEENS1_25partition_config_selectorILNS1_17partition_subalgoE3EjNS0_10empty_typeEbEEZZNS1_14partition_implILS8_3ELb0ES6_jNS0_17counting_iteratorIjlEEPS9_SE_NS0_5tupleIJPjSE_EEENSF_IJSE_SE_EEES9_SG_JZNS1_25segmented_radix_sort_implINS0_14default_configELb1EPKiPiPKlPlN2at6native12_GLOBAL__N_18offset_tEEE10hipError_tPvRmT1_PNSt15iterator_traitsISY_E10value_typeET2_T3_PNSZ_IS14_E10value_typeET4_jRbjT5_S1A_jjP12ihipStream_tbEUljE_EEESV_SW_SX_S14_S18_S1A_T6_T7_T9_mT8_S1C_bDpT10_ENKUlT_T0_E_clISt17integral_constantIbLb0EES1O_IbLb1EEEEDaS1K_S1L_EUlS1K_E_NS1_11comp_targetILNS1_3genE2ELNS1_11target_archE906ELNS1_3gpuE6ELNS1_3repE0EEENS1_30default_config_static_selectorELNS0_4arch9wavefront6targetE0EEEvSY_.kd
    .uniform_work_group_size: 1
    .uses_dynamic_stack: false
    .vgpr_count:     0
    .vgpr_spill_count: 0
    .wavefront_size: 32
    .workgroup_processor_mode: 1
  - .args:
      - .offset:         0
        .size:           152
        .value_kind:     by_value
    .group_segment_fixed_size: 0
    .kernarg_segment_align: 8
    .kernarg_segment_size: 152
    .language:       OpenCL C
    .language_version:
      - 2
      - 0
    .max_flat_workgroup_size: 256
    .name:           _ZN7rocprim17ROCPRIM_400000_NS6detail17trampoline_kernelINS0_13select_configILj256ELj13ELNS0_17block_load_methodE3ELS4_3ELS4_3ELNS0_20block_scan_algorithmE0ELj4294967295EEENS1_25partition_config_selectorILNS1_17partition_subalgoE3EjNS0_10empty_typeEbEEZZNS1_14partition_implILS8_3ELb0ES6_jNS0_17counting_iteratorIjlEEPS9_SE_NS0_5tupleIJPjSE_EEENSF_IJSE_SE_EEES9_SG_JZNS1_25segmented_radix_sort_implINS0_14default_configELb1EPKiPiPKlPlN2at6native12_GLOBAL__N_18offset_tEEE10hipError_tPvRmT1_PNSt15iterator_traitsISY_E10value_typeET2_T3_PNSZ_IS14_E10value_typeET4_jRbjT5_S1A_jjP12ihipStream_tbEUljE_EEESV_SW_SX_S14_S18_S1A_T6_T7_T9_mT8_S1C_bDpT10_ENKUlT_T0_E_clISt17integral_constantIbLb0EES1O_IbLb1EEEEDaS1K_S1L_EUlS1K_E_NS1_11comp_targetILNS1_3genE10ELNS1_11target_archE1200ELNS1_3gpuE4ELNS1_3repE0EEENS1_30default_config_static_selectorELNS0_4arch9wavefront6targetE0EEEvSY_
    .private_segment_fixed_size: 0
    .sgpr_count:     0
    .sgpr_spill_count: 0
    .symbol:         _ZN7rocprim17ROCPRIM_400000_NS6detail17trampoline_kernelINS0_13select_configILj256ELj13ELNS0_17block_load_methodE3ELS4_3ELS4_3ELNS0_20block_scan_algorithmE0ELj4294967295EEENS1_25partition_config_selectorILNS1_17partition_subalgoE3EjNS0_10empty_typeEbEEZZNS1_14partition_implILS8_3ELb0ES6_jNS0_17counting_iteratorIjlEEPS9_SE_NS0_5tupleIJPjSE_EEENSF_IJSE_SE_EEES9_SG_JZNS1_25segmented_radix_sort_implINS0_14default_configELb1EPKiPiPKlPlN2at6native12_GLOBAL__N_18offset_tEEE10hipError_tPvRmT1_PNSt15iterator_traitsISY_E10value_typeET2_T3_PNSZ_IS14_E10value_typeET4_jRbjT5_S1A_jjP12ihipStream_tbEUljE_EEESV_SW_SX_S14_S18_S1A_T6_T7_T9_mT8_S1C_bDpT10_ENKUlT_T0_E_clISt17integral_constantIbLb0EES1O_IbLb1EEEEDaS1K_S1L_EUlS1K_E_NS1_11comp_targetILNS1_3genE10ELNS1_11target_archE1200ELNS1_3gpuE4ELNS1_3repE0EEENS1_30default_config_static_selectorELNS0_4arch9wavefront6targetE0EEEvSY_.kd
    .uniform_work_group_size: 1
    .uses_dynamic_stack: false
    .vgpr_count:     0
    .vgpr_spill_count: 0
    .wavefront_size: 32
    .workgroup_processor_mode: 1
  - .args:
      - .offset:         0
        .size:           152
        .value_kind:     by_value
    .group_segment_fixed_size: 0
    .kernarg_segment_align: 8
    .kernarg_segment_size: 152
    .language:       OpenCL C
    .language_version:
      - 2
      - 0
    .max_flat_workgroup_size: 256
    .name:           _ZN7rocprim17ROCPRIM_400000_NS6detail17trampoline_kernelINS0_13select_configILj256ELj13ELNS0_17block_load_methodE3ELS4_3ELS4_3ELNS0_20block_scan_algorithmE0ELj4294967295EEENS1_25partition_config_selectorILNS1_17partition_subalgoE3EjNS0_10empty_typeEbEEZZNS1_14partition_implILS8_3ELb0ES6_jNS0_17counting_iteratorIjlEEPS9_SE_NS0_5tupleIJPjSE_EEENSF_IJSE_SE_EEES9_SG_JZNS1_25segmented_radix_sort_implINS0_14default_configELb1EPKiPiPKlPlN2at6native12_GLOBAL__N_18offset_tEEE10hipError_tPvRmT1_PNSt15iterator_traitsISY_E10value_typeET2_T3_PNSZ_IS14_E10value_typeET4_jRbjT5_S1A_jjP12ihipStream_tbEUljE_EEESV_SW_SX_S14_S18_S1A_T6_T7_T9_mT8_S1C_bDpT10_ENKUlT_T0_E_clISt17integral_constantIbLb0EES1O_IbLb1EEEEDaS1K_S1L_EUlS1K_E_NS1_11comp_targetILNS1_3genE9ELNS1_11target_archE1100ELNS1_3gpuE3ELNS1_3repE0EEENS1_30default_config_static_selectorELNS0_4arch9wavefront6targetE0EEEvSY_
    .private_segment_fixed_size: 0
    .sgpr_count:     0
    .sgpr_spill_count: 0
    .symbol:         _ZN7rocprim17ROCPRIM_400000_NS6detail17trampoline_kernelINS0_13select_configILj256ELj13ELNS0_17block_load_methodE3ELS4_3ELS4_3ELNS0_20block_scan_algorithmE0ELj4294967295EEENS1_25partition_config_selectorILNS1_17partition_subalgoE3EjNS0_10empty_typeEbEEZZNS1_14partition_implILS8_3ELb0ES6_jNS0_17counting_iteratorIjlEEPS9_SE_NS0_5tupleIJPjSE_EEENSF_IJSE_SE_EEES9_SG_JZNS1_25segmented_radix_sort_implINS0_14default_configELb1EPKiPiPKlPlN2at6native12_GLOBAL__N_18offset_tEEE10hipError_tPvRmT1_PNSt15iterator_traitsISY_E10value_typeET2_T3_PNSZ_IS14_E10value_typeET4_jRbjT5_S1A_jjP12ihipStream_tbEUljE_EEESV_SW_SX_S14_S18_S1A_T6_T7_T9_mT8_S1C_bDpT10_ENKUlT_T0_E_clISt17integral_constantIbLb0EES1O_IbLb1EEEEDaS1K_S1L_EUlS1K_E_NS1_11comp_targetILNS1_3genE9ELNS1_11target_archE1100ELNS1_3gpuE3ELNS1_3repE0EEENS1_30default_config_static_selectorELNS0_4arch9wavefront6targetE0EEEvSY_.kd
    .uniform_work_group_size: 1
    .uses_dynamic_stack: false
    .vgpr_count:     0
    .vgpr_spill_count: 0
    .wavefront_size: 32
    .workgroup_processor_mode: 1
  - .args:
      - .offset:         0
        .size:           152
        .value_kind:     by_value
    .group_segment_fixed_size: 13320
    .kernarg_segment_align: 8
    .kernarg_segment_size: 152
    .language:       OpenCL C
    .language_version:
      - 2
      - 0
    .max_flat_workgroup_size: 256
    .name:           _ZN7rocprim17ROCPRIM_400000_NS6detail17trampoline_kernelINS0_13select_configILj256ELj13ELNS0_17block_load_methodE3ELS4_3ELS4_3ELNS0_20block_scan_algorithmE0ELj4294967295EEENS1_25partition_config_selectorILNS1_17partition_subalgoE3EjNS0_10empty_typeEbEEZZNS1_14partition_implILS8_3ELb0ES6_jNS0_17counting_iteratorIjlEEPS9_SE_NS0_5tupleIJPjSE_EEENSF_IJSE_SE_EEES9_SG_JZNS1_25segmented_radix_sort_implINS0_14default_configELb1EPKiPiPKlPlN2at6native12_GLOBAL__N_18offset_tEEE10hipError_tPvRmT1_PNSt15iterator_traitsISY_E10value_typeET2_T3_PNSZ_IS14_E10value_typeET4_jRbjT5_S1A_jjP12ihipStream_tbEUljE_EEESV_SW_SX_S14_S18_S1A_T6_T7_T9_mT8_S1C_bDpT10_ENKUlT_T0_E_clISt17integral_constantIbLb0EES1O_IbLb1EEEEDaS1K_S1L_EUlS1K_E_NS1_11comp_targetILNS1_3genE8ELNS1_11target_archE1030ELNS1_3gpuE2ELNS1_3repE0EEENS1_30default_config_static_selectorELNS0_4arch9wavefront6targetE0EEEvSY_
    .private_segment_fixed_size: 0
    .sgpr_count:     28
    .sgpr_spill_count: 0
    .symbol:         _ZN7rocprim17ROCPRIM_400000_NS6detail17trampoline_kernelINS0_13select_configILj256ELj13ELNS0_17block_load_methodE3ELS4_3ELS4_3ELNS0_20block_scan_algorithmE0ELj4294967295EEENS1_25partition_config_selectorILNS1_17partition_subalgoE3EjNS0_10empty_typeEbEEZZNS1_14partition_implILS8_3ELb0ES6_jNS0_17counting_iteratorIjlEEPS9_SE_NS0_5tupleIJPjSE_EEENSF_IJSE_SE_EEES9_SG_JZNS1_25segmented_radix_sort_implINS0_14default_configELb1EPKiPiPKlPlN2at6native12_GLOBAL__N_18offset_tEEE10hipError_tPvRmT1_PNSt15iterator_traitsISY_E10value_typeET2_T3_PNSZ_IS14_E10value_typeET4_jRbjT5_S1A_jjP12ihipStream_tbEUljE_EEESV_SW_SX_S14_S18_S1A_T6_T7_T9_mT8_S1C_bDpT10_ENKUlT_T0_E_clISt17integral_constantIbLb0EES1O_IbLb1EEEEDaS1K_S1L_EUlS1K_E_NS1_11comp_targetILNS1_3genE8ELNS1_11target_archE1030ELNS1_3gpuE2ELNS1_3repE0EEENS1_30default_config_static_selectorELNS0_4arch9wavefront6targetE0EEEvSY_.kd
    .uniform_work_group_size: 1
    .uses_dynamic_stack: false
    .vgpr_count:     71
    .vgpr_spill_count: 0
    .wavefront_size: 32
    .workgroup_processor_mode: 1
  - .args:
      - .offset:         0
        .size:           96
        .value_kind:     by_value
    .group_segment_fixed_size: 0
    .kernarg_segment_align: 8
    .kernarg_segment_size: 96
    .language:       OpenCL C
    .language_version:
      - 2
      - 0
    .max_flat_workgroup_size: 256
    .name:           _ZN7rocprim17ROCPRIM_400000_NS6detail17trampoline_kernelINS0_14default_configENS1_36segmented_radix_sort_config_selectorIilEEZNS1_25segmented_radix_sort_implIS3_Lb1EPKiPiPKlPlN2at6native12_GLOBAL__N_18offset_tEEE10hipError_tPvRmT1_PNSt15iterator_traitsISK_E10value_typeET2_T3_PNSL_ISQ_E10value_typeET4_jRbjT5_SW_jjP12ihipStream_tbEUlT_E_NS1_11comp_targetILNS1_3genE0ELNS1_11target_archE4294967295ELNS1_3gpuE0ELNS1_3repE0EEENS1_30default_config_static_selectorELNS0_4arch9wavefront6targetE0EEEvSK_
    .private_segment_fixed_size: 0
    .sgpr_count:     0
    .sgpr_spill_count: 0
    .symbol:         _ZN7rocprim17ROCPRIM_400000_NS6detail17trampoline_kernelINS0_14default_configENS1_36segmented_radix_sort_config_selectorIilEEZNS1_25segmented_radix_sort_implIS3_Lb1EPKiPiPKlPlN2at6native12_GLOBAL__N_18offset_tEEE10hipError_tPvRmT1_PNSt15iterator_traitsISK_E10value_typeET2_T3_PNSL_ISQ_E10value_typeET4_jRbjT5_SW_jjP12ihipStream_tbEUlT_E_NS1_11comp_targetILNS1_3genE0ELNS1_11target_archE4294967295ELNS1_3gpuE0ELNS1_3repE0EEENS1_30default_config_static_selectorELNS0_4arch9wavefront6targetE0EEEvSK_.kd
    .uniform_work_group_size: 1
    .uses_dynamic_stack: false
    .vgpr_count:     0
    .vgpr_spill_count: 0
    .wavefront_size: 32
    .workgroup_processor_mode: 1
  - .args:
      - .offset:         0
        .size:           96
        .value_kind:     by_value
    .group_segment_fixed_size: 0
    .kernarg_segment_align: 8
    .kernarg_segment_size: 96
    .language:       OpenCL C
    .language_version:
      - 2
      - 0
    .max_flat_workgroup_size: 256
    .name:           _ZN7rocprim17ROCPRIM_400000_NS6detail17trampoline_kernelINS0_14default_configENS1_36segmented_radix_sort_config_selectorIilEEZNS1_25segmented_radix_sort_implIS3_Lb1EPKiPiPKlPlN2at6native12_GLOBAL__N_18offset_tEEE10hipError_tPvRmT1_PNSt15iterator_traitsISK_E10value_typeET2_T3_PNSL_ISQ_E10value_typeET4_jRbjT5_SW_jjP12ihipStream_tbEUlT_E_NS1_11comp_targetILNS1_3genE5ELNS1_11target_archE942ELNS1_3gpuE9ELNS1_3repE0EEENS1_30default_config_static_selectorELNS0_4arch9wavefront6targetE0EEEvSK_
    .private_segment_fixed_size: 0
    .sgpr_count:     0
    .sgpr_spill_count: 0
    .symbol:         _ZN7rocprim17ROCPRIM_400000_NS6detail17trampoline_kernelINS0_14default_configENS1_36segmented_radix_sort_config_selectorIilEEZNS1_25segmented_radix_sort_implIS3_Lb1EPKiPiPKlPlN2at6native12_GLOBAL__N_18offset_tEEE10hipError_tPvRmT1_PNSt15iterator_traitsISK_E10value_typeET2_T3_PNSL_ISQ_E10value_typeET4_jRbjT5_SW_jjP12ihipStream_tbEUlT_E_NS1_11comp_targetILNS1_3genE5ELNS1_11target_archE942ELNS1_3gpuE9ELNS1_3repE0EEENS1_30default_config_static_selectorELNS0_4arch9wavefront6targetE0EEEvSK_.kd
    .uniform_work_group_size: 1
    .uses_dynamic_stack: false
    .vgpr_count:     0
    .vgpr_spill_count: 0
    .wavefront_size: 32
    .workgroup_processor_mode: 1
  - .args:
      - .offset:         0
        .size:           96
        .value_kind:     by_value
    .group_segment_fixed_size: 0
    .kernarg_segment_align: 8
    .kernarg_segment_size: 96
    .language:       OpenCL C
    .language_version:
      - 2
      - 0
    .max_flat_workgroup_size: 256
    .name:           _ZN7rocprim17ROCPRIM_400000_NS6detail17trampoline_kernelINS0_14default_configENS1_36segmented_radix_sort_config_selectorIilEEZNS1_25segmented_radix_sort_implIS3_Lb1EPKiPiPKlPlN2at6native12_GLOBAL__N_18offset_tEEE10hipError_tPvRmT1_PNSt15iterator_traitsISK_E10value_typeET2_T3_PNSL_ISQ_E10value_typeET4_jRbjT5_SW_jjP12ihipStream_tbEUlT_E_NS1_11comp_targetILNS1_3genE4ELNS1_11target_archE910ELNS1_3gpuE8ELNS1_3repE0EEENS1_30default_config_static_selectorELNS0_4arch9wavefront6targetE0EEEvSK_
    .private_segment_fixed_size: 0
    .sgpr_count:     0
    .sgpr_spill_count: 0
    .symbol:         _ZN7rocprim17ROCPRIM_400000_NS6detail17trampoline_kernelINS0_14default_configENS1_36segmented_radix_sort_config_selectorIilEEZNS1_25segmented_radix_sort_implIS3_Lb1EPKiPiPKlPlN2at6native12_GLOBAL__N_18offset_tEEE10hipError_tPvRmT1_PNSt15iterator_traitsISK_E10value_typeET2_T3_PNSL_ISQ_E10value_typeET4_jRbjT5_SW_jjP12ihipStream_tbEUlT_E_NS1_11comp_targetILNS1_3genE4ELNS1_11target_archE910ELNS1_3gpuE8ELNS1_3repE0EEENS1_30default_config_static_selectorELNS0_4arch9wavefront6targetE0EEEvSK_.kd
    .uniform_work_group_size: 1
    .uses_dynamic_stack: false
    .vgpr_count:     0
    .vgpr_spill_count: 0
    .wavefront_size: 32
    .workgroup_processor_mode: 1
  - .args:
      - .offset:         0
        .size:           96
        .value_kind:     by_value
    .group_segment_fixed_size: 0
    .kernarg_segment_align: 8
    .kernarg_segment_size: 96
    .language:       OpenCL C
    .language_version:
      - 2
      - 0
    .max_flat_workgroup_size: 256
    .name:           _ZN7rocprim17ROCPRIM_400000_NS6detail17trampoline_kernelINS0_14default_configENS1_36segmented_radix_sort_config_selectorIilEEZNS1_25segmented_radix_sort_implIS3_Lb1EPKiPiPKlPlN2at6native12_GLOBAL__N_18offset_tEEE10hipError_tPvRmT1_PNSt15iterator_traitsISK_E10value_typeET2_T3_PNSL_ISQ_E10value_typeET4_jRbjT5_SW_jjP12ihipStream_tbEUlT_E_NS1_11comp_targetILNS1_3genE3ELNS1_11target_archE908ELNS1_3gpuE7ELNS1_3repE0EEENS1_30default_config_static_selectorELNS0_4arch9wavefront6targetE0EEEvSK_
    .private_segment_fixed_size: 0
    .sgpr_count:     0
    .sgpr_spill_count: 0
    .symbol:         _ZN7rocprim17ROCPRIM_400000_NS6detail17trampoline_kernelINS0_14default_configENS1_36segmented_radix_sort_config_selectorIilEEZNS1_25segmented_radix_sort_implIS3_Lb1EPKiPiPKlPlN2at6native12_GLOBAL__N_18offset_tEEE10hipError_tPvRmT1_PNSt15iterator_traitsISK_E10value_typeET2_T3_PNSL_ISQ_E10value_typeET4_jRbjT5_SW_jjP12ihipStream_tbEUlT_E_NS1_11comp_targetILNS1_3genE3ELNS1_11target_archE908ELNS1_3gpuE7ELNS1_3repE0EEENS1_30default_config_static_selectorELNS0_4arch9wavefront6targetE0EEEvSK_.kd
    .uniform_work_group_size: 1
    .uses_dynamic_stack: false
    .vgpr_count:     0
    .vgpr_spill_count: 0
    .wavefront_size: 32
    .workgroup_processor_mode: 1
  - .args:
      - .offset:         0
        .size:           96
        .value_kind:     by_value
    .group_segment_fixed_size: 0
    .kernarg_segment_align: 8
    .kernarg_segment_size: 96
    .language:       OpenCL C
    .language_version:
      - 2
      - 0
    .max_flat_workgroup_size: 256
    .name:           _ZN7rocprim17ROCPRIM_400000_NS6detail17trampoline_kernelINS0_14default_configENS1_36segmented_radix_sort_config_selectorIilEEZNS1_25segmented_radix_sort_implIS3_Lb1EPKiPiPKlPlN2at6native12_GLOBAL__N_18offset_tEEE10hipError_tPvRmT1_PNSt15iterator_traitsISK_E10value_typeET2_T3_PNSL_ISQ_E10value_typeET4_jRbjT5_SW_jjP12ihipStream_tbEUlT_E_NS1_11comp_targetILNS1_3genE2ELNS1_11target_archE906ELNS1_3gpuE6ELNS1_3repE0EEENS1_30default_config_static_selectorELNS0_4arch9wavefront6targetE0EEEvSK_
    .private_segment_fixed_size: 0
    .sgpr_count:     0
    .sgpr_spill_count: 0
    .symbol:         _ZN7rocprim17ROCPRIM_400000_NS6detail17trampoline_kernelINS0_14default_configENS1_36segmented_radix_sort_config_selectorIilEEZNS1_25segmented_radix_sort_implIS3_Lb1EPKiPiPKlPlN2at6native12_GLOBAL__N_18offset_tEEE10hipError_tPvRmT1_PNSt15iterator_traitsISK_E10value_typeET2_T3_PNSL_ISQ_E10value_typeET4_jRbjT5_SW_jjP12ihipStream_tbEUlT_E_NS1_11comp_targetILNS1_3genE2ELNS1_11target_archE906ELNS1_3gpuE6ELNS1_3repE0EEENS1_30default_config_static_selectorELNS0_4arch9wavefront6targetE0EEEvSK_.kd
    .uniform_work_group_size: 1
    .uses_dynamic_stack: false
    .vgpr_count:     0
    .vgpr_spill_count: 0
    .wavefront_size: 32
    .workgroup_processor_mode: 1
  - .args:
      - .offset:         0
        .size:           96
        .value_kind:     by_value
    .group_segment_fixed_size: 0
    .kernarg_segment_align: 8
    .kernarg_segment_size: 96
    .language:       OpenCL C
    .language_version:
      - 2
      - 0
    .max_flat_workgroup_size: 256
    .name:           _ZN7rocprim17ROCPRIM_400000_NS6detail17trampoline_kernelINS0_14default_configENS1_36segmented_radix_sort_config_selectorIilEEZNS1_25segmented_radix_sort_implIS3_Lb1EPKiPiPKlPlN2at6native12_GLOBAL__N_18offset_tEEE10hipError_tPvRmT1_PNSt15iterator_traitsISK_E10value_typeET2_T3_PNSL_ISQ_E10value_typeET4_jRbjT5_SW_jjP12ihipStream_tbEUlT_E_NS1_11comp_targetILNS1_3genE10ELNS1_11target_archE1201ELNS1_3gpuE5ELNS1_3repE0EEENS1_30default_config_static_selectorELNS0_4arch9wavefront6targetE0EEEvSK_
    .private_segment_fixed_size: 0
    .sgpr_count:     0
    .sgpr_spill_count: 0
    .symbol:         _ZN7rocprim17ROCPRIM_400000_NS6detail17trampoline_kernelINS0_14default_configENS1_36segmented_radix_sort_config_selectorIilEEZNS1_25segmented_radix_sort_implIS3_Lb1EPKiPiPKlPlN2at6native12_GLOBAL__N_18offset_tEEE10hipError_tPvRmT1_PNSt15iterator_traitsISK_E10value_typeET2_T3_PNSL_ISQ_E10value_typeET4_jRbjT5_SW_jjP12ihipStream_tbEUlT_E_NS1_11comp_targetILNS1_3genE10ELNS1_11target_archE1201ELNS1_3gpuE5ELNS1_3repE0EEENS1_30default_config_static_selectorELNS0_4arch9wavefront6targetE0EEEvSK_.kd
    .uniform_work_group_size: 1
    .uses_dynamic_stack: false
    .vgpr_count:     0
    .vgpr_spill_count: 0
    .wavefront_size: 32
    .workgroup_processor_mode: 1
  - .args:
      - .offset:         0
        .size:           96
        .value_kind:     by_value
    .group_segment_fixed_size: 0
    .kernarg_segment_align: 8
    .kernarg_segment_size: 96
    .language:       OpenCL C
    .language_version:
      - 2
      - 0
    .max_flat_workgroup_size: 128
    .name:           _ZN7rocprim17ROCPRIM_400000_NS6detail17trampoline_kernelINS0_14default_configENS1_36segmented_radix_sort_config_selectorIilEEZNS1_25segmented_radix_sort_implIS3_Lb1EPKiPiPKlPlN2at6native12_GLOBAL__N_18offset_tEEE10hipError_tPvRmT1_PNSt15iterator_traitsISK_E10value_typeET2_T3_PNSL_ISQ_E10value_typeET4_jRbjT5_SW_jjP12ihipStream_tbEUlT_E_NS1_11comp_targetILNS1_3genE10ELNS1_11target_archE1200ELNS1_3gpuE4ELNS1_3repE0EEENS1_30default_config_static_selectorELNS0_4arch9wavefront6targetE0EEEvSK_
    .private_segment_fixed_size: 0
    .sgpr_count:     0
    .sgpr_spill_count: 0
    .symbol:         _ZN7rocprim17ROCPRIM_400000_NS6detail17trampoline_kernelINS0_14default_configENS1_36segmented_radix_sort_config_selectorIilEEZNS1_25segmented_radix_sort_implIS3_Lb1EPKiPiPKlPlN2at6native12_GLOBAL__N_18offset_tEEE10hipError_tPvRmT1_PNSt15iterator_traitsISK_E10value_typeET2_T3_PNSL_ISQ_E10value_typeET4_jRbjT5_SW_jjP12ihipStream_tbEUlT_E_NS1_11comp_targetILNS1_3genE10ELNS1_11target_archE1200ELNS1_3gpuE4ELNS1_3repE0EEENS1_30default_config_static_selectorELNS0_4arch9wavefront6targetE0EEEvSK_.kd
    .uniform_work_group_size: 1
    .uses_dynamic_stack: false
    .vgpr_count:     0
    .vgpr_spill_count: 0
    .wavefront_size: 32
    .workgroup_processor_mode: 1
  - .args:
      - .offset:         0
        .size:           96
        .value_kind:     by_value
    .group_segment_fixed_size: 0
    .kernarg_segment_align: 8
    .kernarg_segment_size: 96
    .language:       OpenCL C
    .language_version:
      - 2
      - 0
    .max_flat_workgroup_size: 256
    .name:           _ZN7rocprim17ROCPRIM_400000_NS6detail17trampoline_kernelINS0_14default_configENS1_36segmented_radix_sort_config_selectorIilEEZNS1_25segmented_radix_sort_implIS3_Lb1EPKiPiPKlPlN2at6native12_GLOBAL__N_18offset_tEEE10hipError_tPvRmT1_PNSt15iterator_traitsISK_E10value_typeET2_T3_PNSL_ISQ_E10value_typeET4_jRbjT5_SW_jjP12ihipStream_tbEUlT_E_NS1_11comp_targetILNS1_3genE9ELNS1_11target_archE1100ELNS1_3gpuE3ELNS1_3repE0EEENS1_30default_config_static_selectorELNS0_4arch9wavefront6targetE0EEEvSK_
    .private_segment_fixed_size: 0
    .sgpr_count:     0
    .sgpr_spill_count: 0
    .symbol:         _ZN7rocprim17ROCPRIM_400000_NS6detail17trampoline_kernelINS0_14default_configENS1_36segmented_radix_sort_config_selectorIilEEZNS1_25segmented_radix_sort_implIS3_Lb1EPKiPiPKlPlN2at6native12_GLOBAL__N_18offset_tEEE10hipError_tPvRmT1_PNSt15iterator_traitsISK_E10value_typeET2_T3_PNSL_ISQ_E10value_typeET4_jRbjT5_SW_jjP12ihipStream_tbEUlT_E_NS1_11comp_targetILNS1_3genE9ELNS1_11target_archE1100ELNS1_3gpuE3ELNS1_3repE0EEENS1_30default_config_static_selectorELNS0_4arch9wavefront6targetE0EEEvSK_.kd
    .uniform_work_group_size: 1
    .uses_dynamic_stack: false
    .vgpr_count:     0
    .vgpr_spill_count: 0
    .wavefront_size: 32
    .workgroup_processor_mode: 1
  - .args:
      - .offset:         0
        .size:           96
        .value_kind:     by_value
      - .offset:         96
        .size:           4
        .value_kind:     hidden_block_count_x
      - .offset:         100
        .size:           4
        .value_kind:     hidden_block_count_y
      - .offset:         104
        .size:           4
        .value_kind:     hidden_block_count_z
      - .offset:         108
        .size:           2
        .value_kind:     hidden_group_size_x
      - .offset:         110
        .size:           2
        .value_kind:     hidden_group_size_y
      - .offset:         112
        .size:           2
        .value_kind:     hidden_group_size_z
      - .offset:         114
        .size:           2
        .value_kind:     hidden_remainder_x
      - .offset:         116
        .size:           2
        .value_kind:     hidden_remainder_y
      - .offset:         118
        .size:           2
        .value_kind:     hidden_remainder_z
      - .offset:         136
        .size:           8
        .value_kind:     hidden_global_offset_x
      - .offset:         144
        .size:           8
        .value_kind:     hidden_global_offset_y
      - .offset:         152
        .size:           8
        .value_kind:     hidden_global_offset_z
      - .offset:         160
        .size:           2
        .value_kind:     hidden_grid_dims
    .group_segment_fixed_size: 35344
    .kernarg_segment_align: 8
    .kernarg_segment_size: 352
    .language:       OpenCL C
    .language_version:
      - 2
      - 0
    .max_flat_workgroup_size: 256
    .name:           _ZN7rocprim17ROCPRIM_400000_NS6detail17trampoline_kernelINS0_14default_configENS1_36segmented_radix_sort_config_selectorIilEEZNS1_25segmented_radix_sort_implIS3_Lb1EPKiPiPKlPlN2at6native12_GLOBAL__N_18offset_tEEE10hipError_tPvRmT1_PNSt15iterator_traitsISK_E10value_typeET2_T3_PNSL_ISQ_E10value_typeET4_jRbjT5_SW_jjP12ihipStream_tbEUlT_E_NS1_11comp_targetILNS1_3genE8ELNS1_11target_archE1030ELNS1_3gpuE2ELNS1_3repE0EEENS1_30default_config_static_selectorELNS0_4arch9wavefront6targetE0EEEvSK_
    .private_segment_fixed_size: 196
    .sgpr_count:     70
    .sgpr_spill_count: 0
    .symbol:         _ZN7rocprim17ROCPRIM_400000_NS6detail17trampoline_kernelINS0_14default_configENS1_36segmented_radix_sort_config_selectorIilEEZNS1_25segmented_radix_sort_implIS3_Lb1EPKiPiPKlPlN2at6native12_GLOBAL__N_18offset_tEEE10hipError_tPvRmT1_PNSt15iterator_traitsISK_E10value_typeET2_T3_PNSL_ISQ_E10value_typeET4_jRbjT5_SW_jjP12ihipStream_tbEUlT_E_NS1_11comp_targetILNS1_3genE8ELNS1_11target_archE1030ELNS1_3gpuE2ELNS1_3repE0EEENS1_30default_config_static_selectorELNS0_4arch9wavefront6targetE0EEEvSK_.kd
    .uniform_work_group_size: 1
    .uses_dynamic_stack: false
    .vgpr_count:     248
    .vgpr_spill_count: 0
    .wavefront_size: 32
    .workgroup_processor_mode: 1
  - .args:
      - .offset:         0
        .size:           88
        .value_kind:     by_value
    .group_segment_fixed_size: 0
    .kernarg_segment_align: 8
    .kernarg_segment_size: 88
    .language:       OpenCL C
    .language_version:
      - 2
      - 0
    .max_flat_workgroup_size: 256
    .name:           _ZN7rocprim17ROCPRIM_400000_NS6detail17trampoline_kernelINS0_14default_configENS1_36segmented_radix_sort_config_selectorIilEEZNS1_25segmented_radix_sort_implIS3_Lb1EPKiPiPKlPlN2at6native12_GLOBAL__N_18offset_tEEE10hipError_tPvRmT1_PNSt15iterator_traitsISK_E10value_typeET2_T3_PNSL_ISQ_E10value_typeET4_jRbjT5_SW_jjP12ihipStream_tbEUlT_E0_NS1_11comp_targetILNS1_3genE0ELNS1_11target_archE4294967295ELNS1_3gpuE0ELNS1_3repE0EEENS1_60segmented_radix_sort_warp_sort_medium_config_static_selectorELNS0_4arch9wavefront6targetE0EEEvSK_
    .private_segment_fixed_size: 0
    .sgpr_count:     0
    .sgpr_spill_count: 0
    .symbol:         _ZN7rocprim17ROCPRIM_400000_NS6detail17trampoline_kernelINS0_14default_configENS1_36segmented_radix_sort_config_selectorIilEEZNS1_25segmented_radix_sort_implIS3_Lb1EPKiPiPKlPlN2at6native12_GLOBAL__N_18offset_tEEE10hipError_tPvRmT1_PNSt15iterator_traitsISK_E10value_typeET2_T3_PNSL_ISQ_E10value_typeET4_jRbjT5_SW_jjP12ihipStream_tbEUlT_E0_NS1_11comp_targetILNS1_3genE0ELNS1_11target_archE4294967295ELNS1_3gpuE0ELNS1_3repE0EEENS1_60segmented_radix_sort_warp_sort_medium_config_static_selectorELNS0_4arch9wavefront6targetE0EEEvSK_.kd
    .uniform_work_group_size: 1
    .uses_dynamic_stack: false
    .vgpr_count:     0
    .vgpr_spill_count: 0
    .wavefront_size: 32
    .workgroup_processor_mode: 1
  - .args:
      - .offset:         0
        .size:           88
        .value_kind:     by_value
    .group_segment_fixed_size: 0
    .kernarg_segment_align: 8
    .kernarg_segment_size: 88
    .language:       OpenCL C
    .language_version:
      - 2
      - 0
    .max_flat_workgroup_size: 256
    .name:           _ZN7rocprim17ROCPRIM_400000_NS6detail17trampoline_kernelINS0_14default_configENS1_36segmented_radix_sort_config_selectorIilEEZNS1_25segmented_radix_sort_implIS3_Lb1EPKiPiPKlPlN2at6native12_GLOBAL__N_18offset_tEEE10hipError_tPvRmT1_PNSt15iterator_traitsISK_E10value_typeET2_T3_PNSL_ISQ_E10value_typeET4_jRbjT5_SW_jjP12ihipStream_tbEUlT_E0_NS1_11comp_targetILNS1_3genE5ELNS1_11target_archE942ELNS1_3gpuE9ELNS1_3repE0EEENS1_60segmented_radix_sort_warp_sort_medium_config_static_selectorELNS0_4arch9wavefront6targetE0EEEvSK_
    .private_segment_fixed_size: 0
    .sgpr_count:     0
    .sgpr_spill_count: 0
    .symbol:         _ZN7rocprim17ROCPRIM_400000_NS6detail17trampoline_kernelINS0_14default_configENS1_36segmented_radix_sort_config_selectorIilEEZNS1_25segmented_radix_sort_implIS3_Lb1EPKiPiPKlPlN2at6native12_GLOBAL__N_18offset_tEEE10hipError_tPvRmT1_PNSt15iterator_traitsISK_E10value_typeET2_T3_PNSL_ISQ_E10value_typeET4_jRbjT5_SW_jjP12ihipStream_tbEUlT_E0_NS1_11comp_targetILNS1_3genE5ELNS1_11target_archE942ELNS1_3gpuE9ELNS1_3repE0EEENS1_60segmented_radix_sort_warp_sort_medium_config_static_selectorELNS0_4arch9wavefront6targetE0EEEvSK_.kd
    .uniform_work_group_size: 1
    .uses_dynamic_stack: false
    .vgpr_count:     0
    .vgpr_spill_count: 0
    .wavefront_size: 32
    .workgroup_processor_mode: 1
  - .args:
      - .offset:         0
        .size:           88
        .value_kind:     by_value
    .group_segment_fixed_size: 0
    .kernarg_segment_align: 8
    .kernarg_segment_size: 88
    .language:       OpenCL C
    .language_version:
      - 2
      - 0
    .max_flat_workgroup_size: 256
    .name:           _ZN7rocprim17ROCPRIM_400000_NS6detail17trampoline_kernelINS0_14default_configENS1_36segmented_radix_sort_config_selectorIilEEZNS1_25segmented_radix_sort_implIS3_Lb1EPKiPiPKlPlN2at6native12_GLOBAL__N_18offset_tEEE10hipError_tPvRmT1_PNSt15iterator_traitsISK_E10value_typeET2_T3_PNSL_ISQ_E10value_typeET4_jRbjT5_SW_jjP12ihipStream_tbEUlT_E0_NS1_11comp_targetILNS1_3genE4ELNS1_11target_archE910ELNS1_3gpuE8ELNS1_3repE0EEENS1_60segmented_radix_sort_warp_sort_medium_config_static_selectorELNS0_4arch9wavefront6targetE0EEEvSK_
    .private_segment_fixed_size: 0
    .sgpr_count:     0
    .sgpr_spill_count: 0
    .symbol:         _ZN7rocprim17ROCPRIM_400000_NS6detail17trampoline_kernelINS0_14default_configENS1_36segmented_radix_sort_config_selectorIilEEZNS1_25segmented_radix_sort_implIS3_Lb1EPKiPiPKlPlN2at6native12_GLOBAL__N_18offset_tEEE10hipError_tPvRmT1_PNSt15iterator_traitsISK_E10value_typeET2_T3_PNSL_ISQ_E10value_typeET4_jRbjT5_SW_jjP12ihipStream_tbEUlT_E0_NS1_11comp_targetILNS1_3genE4ELNS1_11target_archE910ELNS1_3gpuE8ELNS1_3repE0EEENS1_60segmented_radix_sort_warp_sort_medium_config_static_selectorELNS0_4arch9wavefront6targetE0EEEvSK_.kd
    .uniform_work_group_size: 1
    .uses_dynamic_stack: false
    .vgpr_count:     0
    .vgpr_spill_count: 0
    .wavefront_size: 32
    .workgroup_processor_mode: 1
  - .args:
      - .offset:         0
        .size:           88
        .value_kind:     by_value
    .group_segment_fixed_size: 0
    .kernarg_segment_align: 8
    .kernarg_segment_size: 88
    .language:       OpenCL C
    .language_version:
      - 2
      - 0
    .max_flat_workgroup_size: 256
    .name:           _ZN7rocprim17ROCPRIM_400000_NS6detail17trampoline_kernelINS0_14default_configENS1_36segmented_radix_sort_config_selectorIilEEZNS1_25segmented_radix_sort_implIS3_Lb1EPKiPiPKlPlN2at6native12_GLOBAL__N_18offset_tEEE10hipError_tPvRmT1_PNSt15iterator_traitsISK_E10value_typeET2_T3_PNSL_ISQ_E10value_typeET4_jRbjT5_SW_jjP12ihipStream_tbEUlT_E0_NS1_11comp_targetILNS1_3genE3ELNS1_11target_archE908ELNS1_3gpuE7ELNS1_3repE0EEENS1_60segmented_radix_sort_warp_sort_medium_config_static_selectorELNS0_4arch9wavefront6targetE0EEEvSK_
    .private_segment_fixed_size: 0
    .sgpr_count:     0
    .sgpr_spill_count: 0
    .symbol:         _ZN7rocprim17ROCPRIM_400000_NS6detail17trampoline_kernelINS0_14default_configENS1_36segmented_radix_sort_config_selectorIilEEZNS1_25segmented_radix_sort_implIS3_Lb1EPKiPiPKlPlN2at6native12_GLOBAL__N_18offset_tEEE10hipError_tPvRmT1_PNSt15iterator_traitsISK_E10value_typeET2_T3_PNSL_ISQ_E10value_typeET4_jRbjT5_SW_jjP12ihipStream_tbEUlT_E0_NS1_11comp_targetILNS1_3genE3ELNS1_11target_archE908ELNS1_3gpuE7ELNS1_3repE0EEENS1_60segmented_radix_sort_warp_sort_medium_config_static_selectorELNS0_4arch9wavefront6targetE0EEEvSK_.kd
    .uniform_work_group_size: 1
    .uses_dynamic_stack: false
    .vgpr_count:     0
    .vgpr_spill_count: 0
    .wavefront_size: 32
    .workgroup_processor_mode: 1
  - .args:
      - .offset:         0
        .size:           88
        .value_kind:     by_value
    .group_segment_fixed_size: 0
    .kernarg_segment_align: 8
    .kernarg_segment_size: 88
    .language:       OpenCL C
    .language_version:
      - 2
      - 0
    .max_flat_workgroup_size: 256
    .name:           _ZN7rocprim17ROCPRIM_400000_NS6detail17trampoline_kernelINS0_14default_configENS1_36segmented_radix_sort_config_selectorIilEEZNS1_25segmented_radix_sort_implIS3_Lb1EPKiPiPKlPlN2at6native12_GLOBAL__N_18offset_tEEE10hipError_tPvRmT1_PNSt15iterator_traitsISK_E10value_typeET2_T3_PNSL_ISQ_E10value_typeET4_jRbjT5_SW_jjP12ihipStream_tbEUlT_E0_NS1_11comp_targetILNS1_3genE2ELNS1_11target_archE906ELNS1_3gpuE6ELNS1_3repE0EEENS1_60segmented_radix_sort_warp_sort_medium_config_static_selectorELNS0_4arch9wavefront6targetE0EEEvSK_
    .private_segment_fixed_size: 0
    .sgpr_count:     0
    .sgpr_spill_count: 0
    .symbol:         _ZN7rocprim17ROCPRIM_400000_NS6detail17trampoline_kernelINS0_14default_configENS1_36segmented_radix_sort_config_selectorIilEEZNS1_25segmented_radix_sort_implIS3_Lb1EPKiPiPKlPlN2at6native12_GLOBAL__N_18offset_tEEE10hipError_tPvRmT1_PNSt15iterator_traitsISK_E10value_typeET2_T3_PNSL_ISQ_E10value_typeET4_jRbjT5_SW_jjP12ihipStream_tbEUlT_E0_NS1_11comp_targetILNS1_3genE2ELNS1_11target_archE906ELNS1_3gpuE6ELNS1_3repE0EEENS1_60segmented_radix_sort_warp_sort_medium_config_static_selectorELNS0_4arch9wavefront6targetE0EEEvSK_.kd
    .uniform_work_group_size: 1
    .uses_dynamic_stack: false
    .vgpr_count:     0
    .vgpr_spill_count: 0
    .wavefront_size: 32
    .workgroup_processor_mode: 1
  - .args:
      - .offset:         0
        .size:           88
        .value_kind:     by_value
    .group_segment_fixed_size: 0
    .kernarg_segment_align: 8
    .kernarg_segment_size: 88
    .language:       OpenCL C
    .language_version:
      - 2
      - 0
    .max_flat_workgroup_size: 256
    .name:           _ZN7rocprim17ROCPRIM_400000_NS6detail17trampoline_kernelINS0_14default_configENS1_36segmented_radix_sort_config_selectorIilEEZNS1_25segmented_radix_sort_implIS3_Lb1EPKiPiPKlPlN2at6native12_GLOBAL__N_18offset_tEEE10hipError_tPvRmT1_PNSt15iterator_traitsISK_E10value_typeET2_T3_PNSL_ISQ_E10value_typeET4_jRbjT5_SW_jjP12ihipStream_tbEUlT_E0_NS1_11comp_targetILNS1_3genE10ELNS1_11target_archE1201ELNS1_3gpuE5ELNS1_3repE0EEENS1_60segmented_radix_sort_warp_sort_medium_config_static_selectorELNS0_4arch9wavefront6targetE0EEEvSK_
    .private_segment_fixed_size: 0
    .sgpr_count:     0
    .sgpr_spill_count: 0
    .symbol:         _ZN7rocprim17ROCPRIM_400000_NS6detail17trampoline_kernelINS0_14default_configENS1_36segmented_radix_sort_config_selectorIilEEZNS1_25segmented_radix_sort_implIS3_Lb1EPKiPiPKlPlN2at6native12_GLOBAL__N_18offset_tEEE10hipError_tPvRmT1_PNSt15iterator_traitsISK_E10value_typeET2_T3_PNSL_ISQ_E10value_typeET4_jRbjT5_SW_jjP12ihipStream_tbEUlT_E0_NS1_11comp_targetILNS1_3genE10ELNS1_11target_archE1201ELNS1_3gpuE5ELNS1_3repE0EEENS1_60segmented_radix_sort_warp_sort_medium_config_static_selectorELNS0_4arch9wavefront6targetE0EEEvSK_.kd
    .uniform_work_group_size: 1
    .uses_dynamic_stack: false
    .vgpr_count:     0
    .vgpr_spill_count: 0
    .wavefront_size: 32
    .workgroup_processor_mode: 1
  - .args:
      - .offset:         0
        .size:           88
        .value_kind:     by_value
    .group_segment_fixed_size: 0
    .kernarg_segment_align: 8
    .kernarg_segment_size: 88
    .language:       OpenCL C
    .language_version:
      - 2
      - 0
    .max_flat_workgroup_size: 256
    .name:           _ZN7rocprim17ROCPRIM_400000_NS6detail17trampoline_kernelINS0_14default_configENS1_36segmented_radix_sort_config_selectorIilEEZNS1_25segmented_radix_sort_implIS3_Lb1EPKiPiPKlPlN2at6native12_GLOBAL__N_18offset_tEEE10hipError_tPvRmT1_PNSt15iterator_traitsISK_E10value_typeET2_T3_PNSL_ISQ_E10value_typeET4_jRbjT5_SW_jjP12ihipStream_tbEUlT_E0_NS1_11comp_targetILNS1_3genE10ELNS1_11target_archE1200ELNS1_3gpuE4ELNS1_3repE0EEENS1_60segmented_radix_sort_warp_sort_medium_config_static_selectorELNS0_4arch9wavefront6targetE0EEEvSK_
    .private_segment_fixed_size: 0
    .sgpr_count:     0
    .sgpr_spill_count: 0
    .symbol:         _ZN7rocprim17ROCPRIM_400000_NS6detail17trampoline_kernelINS0_14default_configENS1_36segmented_radix_sort_config_selectorIilEEZNS1_25segmented_radix_sort_implIS3_Lb1EPKiPiPKlPlN2at6native12_GLOBAL__N_18offset_tEEE10hipError_tPvRmT1_PNSt15iterator_traitsISK_E10value_typeET2_T3_PNSL_ISQ_E10value_typeET4_jRbjT5_SW_jjP12ihipStream_tbEUlT_E0_NS1_11comp_targetILNS1_3genE10ELNS1_11target_archE1200ELNS1_3gpuE4ELNS1_3repE0EEENS1_60segmented_radix_sort_warp_sort_medium_config_static_selectorELNS0_4arch9wavefront6targetE0EEEvSK_.kd
    .uniform_work_group_size: 1
    .uses_dynamic_stack: false
    .vgpr_count:     0
    .vgpr_spill_count: 0
    .wavefront_size: 32
    .workgroup_processor_mode: 1
  - .args:
      - .offset:         0
        .size:           88
        .value_kind:     by_value
    .group_segment_fixed_size: 0
    .kernarg_segment_align: 8
    .kernarg_segment_size: 88
    .language:       OpenCL C
    .language_version:
      - 2
      - 0
    .max_flat_workgroup_size: 256
    .name:           _ZN7rocprim17ROCPRIM_400000_NS6detail17trampoline_kernelINS0_14default_configENS1_36segmented_radix_sort_config_selectorIilEEZNS1_25segmented_radix_sort_implIS3_Lb1EPKiPiPKlPlN2at6native12_GLOBAL__N_18offset_tEEE10hipError_tPvRmT1_PNSt15iterator_traitsISK_E10value_typeET2_T3_PNSL_ISQ_E10value_typeET4_jRbjT5_SW_jjP12ihipStream_tbEUlT_E0_NS1_11comp_targetILNS1_3genE9ELNS1_11target_archE1100ELNS1_3gpuE3ELNS1_3repE0EEENS1_60segmented_radix_sort_warp_sort_medium_config_static_selectorELNS0_4arch9wavefront6targetE0EEEvSK_
    .private_segment_fixed_size: 0
    .sgpr_count:     0
    .sgpr_spill_count: 0
    .symbol:         _ZN7rocprim17ROCPRIM_400000_NS6detail17trampoline_kernelINS0_14default_configENS1_36segmented_radix_sort_config_selectorIilEEZNS1_25segmented_radix_sort_implIS3_Lb1EPKiPiPKlPlN2at6native12_GLOBAL__N_18offset_tEEE10hipError_tPvRmT1_PNSt15iterator_traitsISK_E10value_typeET2_T3_PNSL_ISQ_E10value_typeET4_jRbjT5_SW_jjP12ihipStream_tbEUlT_E0_NS1_11comp_targetILNS1_3genE9ELNS1_11target_archE1100ELNS1_3gpuE3ELNS1_3repE0EEENS1_60segmented_radix_sort_warp_sort_medium_config_static_selectorELNS0_4arch9wavefront6targetE0EEEvSK_.kd
    .uniform_work_group_size: 1
    .uses_dynamic_stack: false
    .vgpr_count:     0
    .vgpr_spill_count: 0
    .wavefront_size: 32
    .workgroup_processor_mode: 1
  - .args:
      - .offset:         0
        .size:           88
        .value_kind:     by_value
      - .offset:         88
        .size:           4
        .value_kind:     hidden_block_count_x
      - .offset:         92
        .size:           4
        .value_kind:     hidden_block_count_y
      - .offset:         96
        .size:           4
        .value_kind:     hidden_block_count_z
      - .offset:         100
        .size:           2
        .value_kind:     hidden_group_size_x
      - .offset:         102
        .size:           2
        .value_kind:     hidden_group_size_y
      - .offset:         104
        .size:           2
        .value_kind:     hidden_group_size_z
      - .offset:         106
        .size:           2
        .value_kind:     hidden_remainder_x
      - .offset:         108
        .size:           2
        .value_kind:     hidden_remainder_y
      - .offset:         110
        .size:           2
        .value_kind:     hidden_remainder_z
      - .offset:         128
        .size:           8
        .value_kind:     hidden_global_offset_x
      - .offset:         136
        .size:           8
        .value_kind:     hidden_global_offset_y
      - .offset:         144
        .size:           8
        .value_kind:     hidden_global_offset_z
      - .offset:         152
        .size:           2
        .value_kind:     hidden_grid_dims
    .group_segment_fixed_size: 12288
    .kernarg_segment_align: 8
    .kernarg_segment_size: 344
    .language:       OpenCL C
    .language_version:
      - 2
      - 0
    .max_flat_workgroup_size: 256
    .name:           _ZN7rocprim17ROCPRIM_400000_NS6detail17trampoline_kernelINS0_14default_configENS1_36segmented_radix_sort_config_selectorIilEEZNS1_25segmented_radix_sort_implIS3_Lb1EPKiPiPKlPlN2at6native12_GLOBAL__N_18offset_tEEE10hipError_tPvRmT1_PNSt15iterator_traitsISK_E10value_typeET2_T3_PNSL_ISQ_E10value_typeET4_jRbjT5_SW_jjP12ihipStream_tbEUlT_E0_NS1_11comp_targetILNS1_3genE8ELNS1_11target_archE1030ELNS1_3gpuE2ELNS1_3repE0EEENS1_60segmented_radix_sort_warp_sort_medium_config_static_selectorELNS0_4arch9wavefront6targetE0EEEvSK_
    .private_segment_fixed_size: 0
    .sgpr_count:     42
    .sgpr_spill_count: 0
    .symbol:         _ZN7rocprim17ROCPRIM_400000_NS6detail17trampoline_kernelINS0_14default_configENS1_36segmented_radix_sort_config_selectorIilEEZNS1_25segmented_radix_sort_implIS3_Lb1EPKiPiPKlPlN2at6native12_GLOBAL__N_18offset_tEEE10hipError_tPvRmT1_PNSt15iterator_traitsISK_E10value_typeET2_T3_PNSL_ISQ_E10value_typeET4_jRbjT5_SW_jjP12ihipStream_tbEUlT_E0_NS1_11comp_targetILNS1_3genE8ELNS1_11target_archE1030ELNS1_3gpuE2ELNS1_3repE0EEENS1_60segmented_radix_sort_warp_sort_medium_config_static_selectorELNS0_4arch9wavefront6targetE0EEEvSK_.kd
    .uniform_work_group_size: 1
    .uses_dynamic_stack: false
    .vgpr_count:     54
    .vgpr_spill_count: 0
    .wavefront_size: 32
    .workgroup_processor_mode: 1
  - .args:
      - .offset:         0
        .size:           88
        .value_kind:     by_value
    .group_segment_fixed_size: 0
    .kernarg_segment_align: 8
    .kernarg_segment_size: 88
    .language:       OpenCL C
    .language_version:
      - 2
      - 0
    .max_flat_workgroup_size: 256
    .name:           _ZN7rocprim17ROCPRIM_400000_NS6detail17trampoline_kernelINS0_14default_configENS1_36segmented_radix_sort_config_selectorIilEEZNS1_25segmented_radix_sort_implIS3_Lb1EPKiPiPKlPlN2at6native12_GLOBAL__N_18offset_tEEE10hipError_tPvRmT1_PNSt15iterator_traitsISK_E10value_typeET2_T3_PNSL_ISQ_E10value_typeET4_jRbjT5_SW_jjP12ihipStream_tbEUlT_E1_NS1_11comp_targetILNS1_3genE0ELNS1_11target_archE4294967295ELNS1_3gpuE0ELNS1_3repE0EEENS1_59segmented_radix_sort_warp_sort_small_config_static_selectorELNS0_4arch9wavefront6targetE0EEEvSK_
    .private_segment_fixed_size: 0
    .sgpr_count:     0
    .sgpr_spill_count: 0
    .symbol:         _ZN7rocprim17ROCPRIM_400000_NS6detail17trampoline_kernelINS0_14default_configENS1_36segmented_radix_sort_config_selectorIilEEZNS1_25segmented_radix_sort_implIS3_Lb1EPKiPiPKlPlN2at6native12_GLOBAL__N_18offset_tEEE10hipError_tPvRmT1_PNSt15iterator_traitsISK_E10value_typeET2_T3_PNSL_ISQ_E10value_typeET4_jRbjT5_SW_jjP12ihipStream_tbEUlT_E1_NS1_11comp_targetILNS1_3genE0ELNS1_11target_archE4294967295ELNS1_3gpuE0ELNS1_3repE0EEENS1_59segmented_radix_sort_warp_sort_small_config_static_selectorELNS0_4arch9wavefront6targetE0EEEvSK_.kd
    .uniform_work_group_size: 1
    .uses_dynamic_stack: false
    .vgpr_count:     0
    .vgpr_spill_count: 0
    .wavefront_size: 32
    .workgroup_processor_mode: 1
  - .args:
      - .offset:         0
        .size:           88
        .value_kind:     by_value
    .group_segment_fixed_size: 0
    .kernarg_segment_align: 8
    .kernarg_segment_size: 88
    .language:       OpenCL C
    .language_version:
      - 2
      - 0
    .max_flat_workgroup_size: 256
    .name:           _ZN7rocprim17ROCPRIM_400000_NS6detail17trampoline_kernelINS0_14default_configENS1_36segmented_radix_sort_config_selectorIilEEZNS1_25segmented_radix_sort_implIS3_Lb1EPKiPiPKlPlN2at6native12_GLOBAL__N_18offset_tEEE10hipError_tPvRmT1_PNSt15iterator_traitsISK_E10value_typeET2_T3_PNSL_ISQ_E10value_typeET4_jRbjT5_SW_jjP12ihipStream_tbEUlT_E1_NS1_11comp_targetILNS1_3genE5ELNS1_11target_archE942ELNS1_3gpuE9ELNS1_3repE0EEENS1_59segmented_radix_sort_warp_sort_small_config_static_selectorELNS0_4arch9wavefront6targetE0EEEvSK_
    .private_segment_fixed_size: 0
    .sgpr_count:     0
    .sgpr_spill_count: 0
    .symbol:         _ZN7rocprim17ROCPRIM_400000_NS6detail17trampoline_kernelINS0_14default_configENS1_36segmented_radix_sort_config_selectorIilEEZNS1_25segmented_radix_sort_implIS3_Lb1EPKiPiPKlPlN2at6native12_GLOBAL__N_18offset_tEEE10hipError_tPvRmT1_PNSt15iterator_traitsISK_E10value_typeET2_T3_PNSL_ISQ_E10value_typeET4_jRbjT5_SW_jjP12ihipStream_tbEUlT_E1_NS1_11comp_targetILNS1_3genE5ELNS1_11target_archE942ELNS1_3gpuE9ELNS1_3repE0EEENS1_59segmented_radix_sort_warp_sort_small_config_static_selectorELNS0_4arch9wavefront6targetE0EEEvSK_.kd
    .uniform_work_group_size: 1
    .uses_dynamic_stack: false
    .vgpr_count:     0
    .vgpr_spill_count: 0
    .wavefront_size: 32
    .workgroup_processor_mode: 1
  - .args:
      - .offset:         0
        .size:           88
        .value_kind:     by_value
    .group_segment_fixed_size: 0
    .kernarg_segment_align: 8
    .kernarg_segment_size: 88
    .language:       OpenCL C
    .language_version:
      - 2
      - 0
    .max_flat_workgroup_size: 256
    .name:           _ZN7rocprim17ROCPRIM_400000_NS6detail17trampoline_kernelINS0_14default_configENS1_36segmented_radix_sort_config_selectorIilEEZNS1_25segmented_radix_sort_implIS3_Lb1EPKiPiPKlPlN2at6native12_GLOBAL__N_18offset_tEEE10hipError_tPvRmT1_PNSt15iterator_traitsISK_E10value_typeET2_T3_PNSL_ISQ_E10value_typeET4_jRbjT5_SW_jjP12ihipStream_tbEUlT_E1_NS1_11comp_targetILNS1_3genE4ELNS1_11target_archE910ELNS1_3gpuE8ELNS1_3repE0EEENS1_59segmented_radix_sort_warp_sort_small_config_static_selectorELNS0_4arch9wavefront6targetE0EEEvSK_
    .private_segment_fixed_size: 0
    .sgpr_count:     0
    .sgpr_spill_count: 0
    .symbol:         _ZN7rocprim17ROCPRIM_400000_NS6detail17trampoline_kernelINS0_14default_configENS1_36segmented_radix_sort_config_selectorIilEEZNS1_25segmented_radix_sort_implIS3_Lb1EPKiPiPKlPlN2at6native12_GLOBAL__N_18offset_tEEE10hipError_tPvRmT1_PNSt15iterator_traitsISK_E10value_typeET2_T3_PNSL_ISQ_E10value_typeET4_jRbjT5_SW_jjP12ihipStream_tbEUlT_E1_NS1_11comp_targetILNS1_3genE4ELNS1_11target_archE910ELNS1_3gpuE8ELNS1_3repE0EEENS1_59segmented_radix_sort_warp_sort_small_config_static_selectorELNS0_4arch9wavefront6targetE0EEEvSK_.kd
    .uniform_work_group_size: 1
    .uses_dynamic_stack: false
    .vgpr_count:     0
    .vgpr_spill_count: 0
    .wavefront_size: 32
    .workgroup_processor_mode: 1
  - .args:
      - .offset:         0
        .size:           88
        .value_kind:     by_value
    .group_segment_fixed_size: 0
    .kernarg_segment_align: 8
    .kernarg_segment_size: 88
    .language:       OpenCL C
    .language_version:
      - 2
      - 0
    .max_flat_workgroup_size: 256
    .name:           _ZN7rocprim17ROCPRIM_400000_NS6detail17trampoline_kernelINS0_14default_configENS1_36segmented_radix_sort_config_selectorIilEEZNS1_25segmented_radix_sort_implIS3_Lb1EPKiPiPKlPlN2at6native12_GLOBAL__N_18offset_tEEE10hipError_tPvRmT1_PNSt15iterator_traitsISK_E10value_typeET2_T3_PNSL_ISQ_E10value_typeET4_jRbjT5_SW_jjP12ihipStream_tbEUlT_E1_NS1_11comp_targetILNS1_3genE3ELNS1_11target_archE908ELNS1_3gpuE7ELNS1_3repE0EEENS1_59segmented_radix_sort_warp_sort_small_config_static_selectorELNS0_4arch9wavefront6targetE0EEEvSK_
    .private_segment_fixed_size: 0
    .sgpr_count:     0
    .sgpr_spill_count: 0
    .symbol:         _ZN7rocprim17ROCPRIM_400000_NS6detail17trampoline_kernelINS0_14default_configENS1_36segmented_radix_sort_config_selectorIilEEZNS1_25segmented_radix_sort_implIS3_Lb1EPKiPiPKlPlN2at6native12_GLOBAL__N_18offset_tEEE10hipError_tPvRmT1_PNSt15iterator_traitsISK_E10value_typeET2_T3_PNSL_ISQ_E10value_typeET4_jRbjT5_SW_jjP12ihipStream_tbEUlT_E1_NS1_11comp_targetILNS1_3genE3ELNS1_11target_archE908ELNS1_3gpuE7ELNS1_3repE0EEENS1_59segmented_radix_sort_warp_sort_small_config_static_selectorELNS0_4arch9wavefront6targetE0EEEvSK_.kd
    .uniform_work_group_size: 1
    .uses_dynamic_stack: false
    .vgpr_count:     0
    .vgpr_spill_count: 0
    .wavefront_size: 32
    .workgroup_processor_mode: 1
  - .args:
      - .offset:         0
        .size:           88
        .value_kind:     by_value
    .group_segment_fixed_size: 0
    .kernarg_segment_align: 8
    .kernarg_segment_size: 88
    .language:       OpenCL C
    .language_version:
      - 2
      - 0
    .max_flat_workgroup_size: 256
    .name:           _ZN7rocprim17ROCPRIM_400000_NS6detail17trampoline_kernelINS0_14default_configENS1_36segmented_radix_sort_config_selectorIilEEZNS1_25segmented_radix_sort_implIS3_Lb1EPKiPiPKlPlN2at6native12_GLOBAL__N_18offset_tEEE10hipError_tPvRmT1_PNSt15iterator_traitsISK_E10value_typeET2_T3_PNSL_ISQ_E10value_typeET4_jRbjT5_SW_jjP12ihipStream_tbEUlT_E1_NS1_11comp_targetILNS1_3genE2ELNS1_11target_archE906ELNS1_3gpuE6ELNS1_3repE0EEENS1_59segmented_radix_sort_warp_sort_small_config_static_selectorELNS0_4arch9wavefront6targetE0EEEvSK_
    .private_segment_fixed_size: 0
    .sgpr_count:     0
    .sgpr_spill_count: 0
    .symbol:         _ZN7rocprim17ROCPRIM_400000_NS6detail17trampoline_kernelINS0_14default_configENS1_36segmented_radix_sort_config_selectorIilEEZNS1_25segmented_radix_sort_implIS3_Lb1EPKiPiPKlPlN2at6native12_GLOBAL__N_18offset_tEEE10hipError_tPvRmT1_PNSt15iterator_traitsISK_E10value_typeET2_T3_PNSL_ISQ_E10value_typeET4_jRbjT5_SW_jjP12ihipStream_tbEUlT_E1_NS1_11comp_targetILNS1_3genE2ELNS1_11target_archE906ELNS1_3gpuE6ELNS1_3repE0EEENS1_59segmented_radix_sort_warp_sort_small_config_static_selectorELNS0_4arch9wavefront6targetE0EEEvSK_.kd
    .uniform_work_group_size: 1
    .uses_dynamic_stack: false
    .vgpr_count:     0
    .vgpr_spill_count: 0
    .wavefront_size: 32
    .workgroup_processor_mode: 1
  - .args:
      - .offset:         0
        .size:           88
        .value_kind:     by_value
    .group_segment_fixed_size: 0
    .kernarg_segment_align: 8
    .kernarg_segment_size: 88
    .language:       OpenCL C
    .language_version:
      - 2
      - 0
    .max_flat_workgroup_size: 256
    .name:           _ZN7rocprim17ROCPRIM_400000_NS6detail17trampoline_kernelINS0_14default_configENS1_36segmented_radix_sort_config_selectorIilEEZNS1_25segmented_radix_sort_implIS3_Lb1EPKiPiPKlPlN2at6native12_GLOBAL__N_18offset_tEEE10hipError_tPvRmT1_PNSt15iterator_traitsISK_E10value_typeET2_T3_PNSL_ISQ_E10value_typeET4_jRbjT5_SW_jjP12ihipStream_tbEUlT_E1_NS1_11comp_targetILNS1_3genE10ELNS1_11target_archE1201ELNS1_3gpuE5ELNS1_3repE0EEENS1_59segmented_radix_sort_warp_sort_small_config_static_selectorELNS0_4arch9wavefront6targetE0EEEvSK_
    .private_segment_fixed_size: 0
    .sgpr_count:     0
    .sgpr_spill_count: 0
    .symbol:         _ZN7rocprim17ROCPRIM_400000_NS6detail17trampoline_kernelINS0_14default_configENS1_36segmented_radix_sort_config_selectorIilEEZNS1_25segmented_radix_sort_implIS3_Lb1EPKiPiPKlPlN2at6native12_GLOBAL__N_18offset_tEEE10hipError_tPvRmT1_PNSt15iterator_traitsISK_E10value_typeET2_T3_PNSL_ISQ_E10value_typeET4_jRbjT5_SW_jjP12ihipStream_tbEUlT_E1_NS1_11comp_targetILNS1_3genE10ELNS1_11target_archE1201ELNS1_3gpuE5ELNS1_3repE0EEENS1_59segmented_radix_sort_warp_sort_small_config_static_selectorELNS0_4arch9wavefront6targetE0EEEvSK_.kd
    .uniform_work_group_size: 1
    .uses_dynamic_stack: false
    .vgpr_count:     0
    .vgpr_spill_count: 0
    .wavefront_size: 32
    .workgroup_processor_mode: 1
  - .args:
      - .offset:         0
        .size:           88
        .value_kind:     by_value
    .group_segment_fixed_size: 0
    .kernarg_segment_align: 8
    .kernarg_segment_size: 88
    .language:       OpenCL C
    .language_version:
      - 2
      - 0
    .max_flat_workgroup_size: 256
    .name:           _ZN7rocprim17ROCPRIM_400000_NS6detail17trampoline_kernelINS0_14default_configENS1_36segmented_radix_sort_config_selectorIilEEZNS1_25segmented_radix_sort_implIS3_Lb1EPKiPiPKlPlN2at6native12_GLOBAL__N_18offset_tEEE10hipError_tPvRmT1_PNSt15iterator_traitsISK_E10value_typeET2_T3_PNSL_ISQ_E10value_typeET4_jRbjT5_SW_jjP12ihipStream_tbEUlT_E1_NS1_11comp_targetILNS1_3genE10ELNS1_11target_archE1200ELNS1_3gpuE4ELNS1_3repE0EEENS1_59segmented_radix_sort_warp_sort_small_config_static_selectorELNS0_4arch9wavefront6targetE0EEEvSK_
    .private_segment_fixed_size: 0
    .sgpr_count:     0
    .sgpr_spill_count: 0
    .symbol:         _ZN7rocprim17ROCPRIM_400000_NS6detail17trampoline_kernelINS0_14default_configENS1_36segmented_radix_sort_config_selectorIilEEZNS1_25segmented_radix_sort_implIS3_Lb1EPKiPiPKlPlN2at6native12_GLOBAL__N_18offset_tEEE10hipError_tPvRmT1_PNSt15iterator_traitsISK_E10value_typeET2_T3_PNSL_ISQ_E10value_typeET4_jRbjT5_SW_jjP12ihipStream_tbEUlT_E1_NS1_11comp_targetILNS1_3genE10ELNS1_11target_archE1200ELNS1_3gpuE4ELNS1_3repE0EEENS1_59segmented_radix_sort_warp_sort_small_config_static_selectorELNS0_4arch9wavefront6targetE0EEEvSK_.kd
    .uniform_work_group_size: 1
    .uses_dynamic_stack: false
    .vgpr_count:     0
    .vgpr_spill_count: 0
    .wavefront_size: 32
    .workgroup_processor_mode: 1
  - .args:
      - .offset:         0
        .size:           88
        .value_kind:     by_value
    .group_segment_fixed_size: 0
    .kernarg_segment_align: 8
    .kernarg_segment_size: 88
    .language:       OpenCL C
    .language_version:
      - 2
      - 0
    .max_flat_workgroup_size: 256
    .name:           _ZN7rocprim17ROCPRIM_400000_NS6detail17trampoline_kernelINS0_14default_configENS1_36segmented_radix_sort_config_selectorIilEEZNS1_25segmented_radix_sort_implIS3_Lb1EPKiPiPKlPlN2at6native12_GLOBAL__N_18offset_tEEE10hipError_tPvRmT1_PNSt15iterator_traitsISK_E10value_typeET2_T3_PNSL_ISQ_E10value_typeET4_jRbjT5_SW_jjP12ihipStream_tbEUlT_E1_NS1_11comp_targetILNS1_3genE9ELNS1_11target_archE1100ELNS1_3gpuE3ELNS1_3repE0EEENS1_59segmented_radix_sort_warp_sort_small_config_static_selectorELNS0_4arch9wavefront6targetE0EEEvSK_
    .private_segment_fixed_size: 0
    .sgpr_count:     0
    .sgpr_spill_count: 0
    .symbol:         _ZN7rocprim17ROCPRIM_400000_NS6detail17trampoline_kernelINS0_14default_configENS1_36segmented_radix_sort_config_selectorIilEEZNS1_25segmented_radix_sort_implIS3_Lb1EPKiPiPKlPlN2at6native12_GLOBAL__N_18offset_tEEE10hipError_tPvRmT1_PNSt15iterator_traitsISK_E10value_typeET2_T3_PNSL_ISQ_E10value_typeET4_jRbjT5_SW_jjP12ihipStream_tbEUlT_E1_NS1_11comp_targetILNS1_3genE9ELNS1_11target_archE1100ELNS1_3gpuE3ELNS1_3repE0EEENS1_59segmented_radix_sort_warp_sort_small_config_static_selectorELNS0_4arch9wavefront6targetE0EEEvSK_.kd
    .uniform_work_group_size: 1
    .uses_dynamic_stack: false
    .vgpr_count:     0
    .vgpr_spill_count: 0
    .wavefront_size: 32
    .workgroup_processor_mode: 1
  - .args:
      - .offset:         0
        .size:           88
        .value_kind:     by_value
      - .offset:         88
        .size:           4
        .value_kind:     hidden_block_count_x
      - .offset:         92
        .size:           4
        .value_kind:     hidden_block_count_y
      - .offset:         96
        .size:           4
        .value_kind:     hidden_block_count_z
      - .offset:         100
        .size:           2
        .value_kind:     hidden_group_size_x
      - .offset:         102
        .size:           2
        .value_kind:     hidden_group_size_y
      - .offset:         104
        .size:           2
        .value_kind:     hidden_group_size_z
      - .offset:         106
        .size:           2
        .value_kind:     hidden_remainder_x
      - .offset:         108
        .size:           2
        .value_kind:     hidden_remainder_y
      - .offset:         110
        .size:           2
        .value_kind:     hidden_remainder_z
      - .offset:         128
        .size:           8
        .value_kind:     hidden_global_offset_x
      - .offset:         136
        .size:           8
        .value_kind:     hidden_global_offset_y
      - .offset:         144
        .size:           8
        .value_kind:     hidden_global_offset_z
      - .offset:         152
        .size:           2
        .value_kind:     hidden_grid_dims
    .group_segment_fixed_size: 12288
    .kernarg_segment_align: 8
    .kernarg_segment_size: 344
    .language:       OpenCL C
    .language_version:
      - 2
      - 0
    .max_flat_workgroup_size: 256
    .name:           _ZN7rocprim17ROCPRIM_400000_NS6detail17trampoline_kernelINS0_14default_configENS1_36segmented_radix_sort_config_selectorIilEEZNS1_25segmented_radix_sort_implIS3_Lb1EPKiPiPKlPlN2at6native12_GLOBAL__N_18offset_tEEE10hipError_tPvRmT1_PNSt15iterator_traitsISK_E10value_typeET2_T3_PNSL_ISQ_E10value_typeET4_jRbjT5_SW_jjP12ihipStream_tbEUlT_E1_NS1_11comp_targetILNS1_3genE8ELNS1_11target_archE1030ELNS1_3gpuE2ELNS1_3repE0EEENS1_59segmented_radix_sort_warp_sort_small_config_static_selectorELNS0_4arch9wavefront6targetE0EEEvSK_
    .private_segment_fixed_size: 0
    .sgpr_count:     42
    .sgpr_spill_count: 0
    .symbol:         _ZN7rocprim17ROCPRIM_400000_NS6detail17trampoline_kernelINS0_14default_configENS1_36segmented_radix_sort_config_selectorIilEEZNS1_25segmented_radix_sort_implIS3_Lb1EPKiPiPKlPlN2at6native12_GLOBAL__N_18offset_tEEE10hipError_tPvRmT1_PNSt15iterator_traitsISK_E10value_typeET2_T3_PNSL_ISQ_E10value_typeET4_jRbjT5_SW_jjP12ihipStream_tbEUlT_E1_NS1_11comp_targetILNS1_3genE8ELNS1_11target_archE1030ELNS1_3gpuE2ELNS1_3repE0EEENS1_59segmented_radix_sort_warp_sort_small_config_static_selectorELNS0_4arch9wavefront6targetE0EEEvSK_.kd
    .uniform_work_group_size: 1
    .uses_dynamic_stack: false
    .vgpr_count:     54
    .vgpr_spill_count: 0
    .wavefront_size: 32
    .workgroup_processor_mode: 1
  - .args:
      - .offset:         0
        .size:           80
        .value_kind:     by_value
    .group_segment_fixed_size: 0
    .kernarg_segment_align: 8
    .kernarg_segment_size: 80
    .language:       OpenCL C
    .language_version:
      - 2
      - 0
    .max_flat_workgroup_size: 256
    .name:           _ZN7rocprim17ROCPRIM_400000_NS6detail17trampoline_kernelINS0_14default_configENS1_36segmented_radix_sort_config_selectorIilEEZNS1_25segmented_radix_sort_implIS3_Lb1EPKiPiPKlPlN2at6native12_GLOBAL__N_18offset_tEEE10hipError_tPvRmT1_PNSt15iterator_traitsISK_E10value_typeET2_T3_PNSL_ISQ_E10value_typeET4_jRbjT5_SW_jjP12ihipStream_tbEUlT_E2_NS1_11comp_targetILNS1_3genE0ELNS1_11target_archE4294967295ELNS1_3gpuE0ELNS1_3repE0EEENS1_30default_config_static_selectorELNS0_4arch9wavefront6targetE0EEEvSK_
    .private_segment_fixed_size: 0
    .sgpr_count:     0
    .sgpr_spill_count: 0
    .symbol:         _ZN7rocprim17ROCPRIM_400000_NS6detail17trampoline_kernelINS0_14default_configENS1_36segmented_radix_sort_config_selectorIilEEZNS1_25segmented_radix_sort_implIS3_Lb1EPKiPiPKlPlN2at6native12_GLOBAL__N_18offset_tEEE10hipError_tPvRmT1_PNSt15iterator_traitsISK_E10value_typeET2_T3_PNSL_ISQ_E10value_typeET4_jRbjT5_SW_jjP12ihipStream_tbEUlT_E2_NS1_11comp_targetILNS1_3genE0ELNS1_11target_archE4294967295ELNS1_3gpuE0ELNS1_3repE0EEENS1_30default_config_static_selectorELNS0_4arch9wavefront6targetE0EEEvSK_.kd
    .uniform_work_group_size: 1
    .uses_dynamic_stack: false
    .vgpr_count:     0
    .vgpr_spill_count: 0
    .wavefront_size: 32
    .workgroup_processor_mode: 1
  - .args:
      - .offset:         0
        .size:           80
        .value_kind:     by_value
    .group_segment_fixed_size: 0
    .kernarg_segment_align: 8
    .kernarg_segment_size: 80
    .language:       OpenCL C
    .language_version:
      - 2
      - 0
    .max_flat_workgroup_size: 256
    .name:           _ZN7rocprim17ROCPRIM_400000_NS6detail17trampoline_kernelINS0_14default_configENS1_36segmented_radix_sort_config_selectorIilEEZNS1_25segmented_radix_sort_implIS3_Lb1EPKiPiPKlPlN2at6native12_GLOBAL__N_18offset_tEEE10hipError_tPvRmT1_PNSt15iterator_traitsISK_E10value_typeET2_T3_PNSL_ISQ_E10value_typeET4_jRbjT5_SW_jjP12ihipStream_tbEUlT_E2_NS1_11comp_targetILNS1_3genE5ELNS1_11target_archE942ELNS1_3gpuE9ELNS1_3repE0EEENS1_30default_config_static_selectorELNS0_4arch9wavefront6targetE0EEEvSK_
    .private_segment_fixed_size: 0
    .sgpr_count:     0
    .sgpr_spill_count: 0
    .symbol:         _ZN7rocprim17ROCPRIM_400000_NS6detail17trampoline_kernelINS0_14default_configENS1_36segmented_radix_sort_config_selectorIilEEZNS1_25segmented_radix_sort_implIS3_Lb1EPKiPiPKlPlN2at6native12_GLOBAL__N_18offset_tEEE10hipError_tPvRmT1_PNSt15iterator_traitsISK_E10value_typeET2_T3_PNSL_ISQ_E10value_typeET4_jRbjT5_SW_jjP12ihipStream_tbEUlT_E2_NS1_11comp_targetILNS1_3genE5ELNS1_11target_archE942ELNS1_3gpuE9ELNS1_3repE0EEENS1_30default_config_static_selectorELNS0_4arch9wavefront6targetE0EEEvSK_.kd
    .uniform_work_group_size: 1
    .uses_dynamic_stack: false
    .vgpr_count:     0
    .vgpr_spill_count: 0
    .wavefront_size: 32
    .workgroup_processor_mode: 1
  - .args:
      - .offset:         0
        .size:           80
        .value_kind:     by_value
    .group_segment_fixed_size: 0
    .kernarg_segment_align: 8
    .kernarg_segment_size: 80
    .language:       OpenCL C
    .language_version:
      - 2
      - 0
    .max_flat_workgroup_size: 256
    .name:           _ZN7rocprim17ROCPRIM_400000_NS6detail17trampoline_kernelINS0_14default_configENS1_36segmented_radix_sort_config_selectorIilEEZNS1_25segmented_radix_sort_implIS3_Lb1EPKiPiPKlPlN2at6native12_GLOBAL__N_18offset_tEEE10hipError_tPvRmT1_PNSt15iterator_traitsISK_E10value_typeET2_T3_PNSL_ISQ_E10value_typeET4_jRbjT5_SW_jjP12ihipStream_tbEUlT_E2_NS1_11comp_targetILNS1_3genE4ELNS1_11target_archE910ELNS1_3gpuE8ELNS1_3repE0EEENS1_30default_config_static_selectorELNS0_4arch9wavefront6targetE0EEEvSK_
    .private_segment_fixed_size: 0
    .sgpr_count:     0
    .sgpr_spill_count: 0
    .symbol:         _ZN7rocprim17ROCPRIM_400000_NS6detail17trampoline_kernelINS0_14default_configENS1_36segmented_radix_sort_config_selectorIilEEZNS1_25segmented_radix_sort_implIS3_Lb1EPKiPiPKlPlN2at6native12_GLOBAL__N_18offset_tEEE10hipError_tPvRmT1_PNSt15iterator_traitsISK_E10value_typeET2_T3_PNSL_ISQ_E10value_typeET4_jRbjT5_SW_jjP12ihipStream_tbEUlT_E2_NS1_11comp_targetILNS1_3genE4ELNS1_11target_archE910ELNS1_3gpuE8ELNS1_3repE0EEENS1_30default_config_static_selectorELNS0_4arch9wavefront6targetE0EEEvSK_.kd
    .uniform_work_group_size: 1
    .uses_dynamic_stack: false
    .vgpr_count:     0
    .vgpr_spill_count: 0
    .wavefront_size: 32
    .workgroup_processor_mode: 1
  - .args:
      - .offset:         0
        .size:           80
        .value_kind:     by_value
    .group_segment_fixed_size: 0
    .kernarg_segment_align: 8
    .kernarg_segment_size: 80
    .language:       OpenCL C
    .language_version:
      - 2
      - 0
    .max_flat_workgroup_size: 256
    .name:           _ZN7rocprim17ROCPRIM_400000_NS6detail17trampoline_kernelINS0_14default_configENS1_36segmented_radix_sort_config_selectorIilEEZNS1_25segmented_radix_sort_implIS3_Lb1EPKiPiPKlPlN2at6native12_GLOBAL__N_18offset_tEEE10hipError_tPvRmT1_PNSt15iterator_traitsISK_E10value_typeET2_T3_PNSL_ISQ_E10value_typeET4_jRbjT5_SW_jjP12ihipStream_tbEUlT_E2_NS1_11comp_targetILNS1_3genE3ELNS1_11target_archE908ELNS1_3gpuE7ELNS1_3repE0EEENS1_30default_config_static_selectorELNS0_4arch9wavefront6targetE0EEEvSK_
    .private_segment_fixed_size: 0
    .sgpr_count:     0
    .sgpr_spill_count: 0
    .symbol:         _ZN7rocprim17ROCPRIM_400000_NS6detail17trampoline_kernelINS0_14default_configENS1_36segmented_radix_sort_config_selectorIilEEZNS1_25segmented_radix_sort_implIS3_Lb1EPKiPiPKlPlN2at6native12_GLOBAL__N_18offset_tEEE10hipError_tPvRmT1_PNSt15iterator_traitsISK_E10value_typeET2_T3_PNSL_ISQ_E10value_typeET4_jRbjT5_SW_jjP12ihipStream_tbEUlT_E2_NS1_11comp_targetILNS1_3genE3ELNS1_11target_archE908ELNS1_3gpuE7ELNS1_3repE0EEENS1_30default_config_static_selectorELNS0_4arch9wavefront6targetE0EEEvSK_.kd
    .uniform_work_group_size: 1
    .uses_dynamic_stack: false
    .vgpr_count:     0
    .vgpr_spill_count: 0
    .wavefront_size: 32
    .workgroup_processor_mode: 1
  - .args:
      - .offset:         0
        .size:           80
        .value_kind:     by_value
    .group_segment_fixed_size: 0
    .kernarg_segment_align: 8
    .kernarg_segment_size: 80
    .language:       OpenCL C
    .language_version:
      - 2
      - 0
    .max_flat_workgroup_size: 256
    .name:           _ZN7rocprim17ROCPRIM_400000_NS6detail17trampoline_kernelINS0_14default_configENS1_36segmented_radix_sort_config_selectorIilEEZNS1_25segmented_radix_sort_implIS3_Lb1EPKiPiPKlPlN2at6native12_GLOBAL__N_18offset_tEEE10hipError_tPvRmT1_PNSt15iterator_traitsISK_E10value_typeET2_T3_PNSL_ISQ_E10value_typeET4_jRbjT5_SW_jjP12ihipStream_tbEUlT_E2_NS1_11comp_targetILNS1_3genE2ELNS1_11target_archE906ELNS1_3gpuE6ELNS1_3repE0EEENS1_30default_config_static_selectorELNS0_4arch9wavefront6targetE0EEEvSK_
    .private_segment_fixed_size: 0
    .sgpr_count:     0
    .sgpr_spill_count: 0
    .symbol:         _ZN7rocprim17ROCPRIM_400000_NS6detail17trampoline_kernelINS0_14default_configENS1_36segmented_radix_sort_config_selectorIilEEZNS1_25segmented_radix_sort_implIS3_Lb1EPKiPiPKlPlN2at6native12_GLOBAL__N_18offset_tEEE10hipError_tPvRmT1_PNSt15iterator_traitsISK_E10value_typeET2_T3_PNSL_ISQ_E10value_typeET4_jRbjT5_SW_jjP12ihipStream_tbEUlT_E2_NS1_11comp_targetILNS1_3genE2ELNS1_11target_archE906ELNS1_3gpuE6ELNS1_3repE0EEENS1_30default_config_static_selectorELNS0_4arch9wavefront6targetE0EEEvSK_.kd
    .uniform_work_group_size: 1
    .uses_dynamic_stack: false
    .vgpr_count:     0
    .vgpr_spill_count: 0
    .wavefront_size: 32
    .workgroup_processor_mode: 1
  - .args:
      - .offset:         0
        .size:           80
        .value_kind:     by_value
    .group_segment_fixed_size: 0
    .kernarg_segment_align: 8
    .kernarg_segment_size: 80
    .language:       OpenCL C
    .language_version:
      - 2
      - 0
    .max_flat_workgroup_size: 256
    .name:           _ZN7rocprim17ROCPRIM_400000_NS6detail17trampoline_kernelINS0_14default_configENS1_36segmented_radix_sort_config_selectorIilEEZNS1_25segmented_radix_sort_implIS3_Lb1EPKiPiPKlPlN2at6native12_GLOBAL__N_18offset_tEEE10hipError_tPvRmT1_PNSt15iterator_traitsISK_E10value_typeET2_T3_PNSL_ISQ_E10value_typeET4_jRbjT5_SW_jjP12ihipStream_tbEUlT_E2_NS1_11comp_targetILNS1_3genE10ELNS1_11target_archE1201ELNS1_3gpuE5ELNS1_3repE0EEENS1_30default_config_static_selectorELNS0_4arch9wavefront6targetE0EEEvSK_
    .private_segment_fixed_size: 0
    .sgpr_count:     0
    .sgpr_spill_count: 0
    .symbol:         _ZN7rocprim17ROCPRIM_400000_NS6detail17trampoline_kernelINS0_14default_configENS1_36segmented_radix_sort_config_selectorIilEEZNS1_25segmented_radix_sort_implIS3_Lb1EPKiPiPKlPlN2at6native12_GLOBAL__N_18offset_tEEE10hipError_tPvRmT1_PNSt15iterator_traitsISK_E10value_typeET2_T3_PNSL_ISQ_E10value_typeET4_jRbjT5_SW_jjP12ihipStream_tbEUlT_E2_NS1_11comp_targetILNS1_3genE10ELNS1_11target_archE1201ELNS1_3gpuE5ELNS1_3repE0EEENS1_30default_config_static_selectorELNS0_4arch9wavefront6targetE0EEEvSK_.kd
    .uniform_work_group_size: 1
    .uses_dynamic_stack: false
    .vgpr_count:     0
    .vgpr_spill_count: 0
    .wavefront_size: 32
    .workgroup_processor_mode: 1
  - .args:
      - .offset:         0
        .size:           80
        .value_kind:     by_value
    .group_segment_fixed_size: 0
    .kernarg_segment_align: 8
    .kernarg_segment_size: 80
    .language:       OpenCL C
    .language_version:
      - 2
      - 0
    .max_flat_workgroup_size: 128
    .name:           _ZN7rocprim17ROCPRIM_400000_NS6detail17trampoline_kernelINS0_14default_configENS1_36segmented_radix_sort_config_selectorIilEEZNS1_25segmented_radix_sort_implIS3_Lb1EPKiPiPKlPlN2at6native12_GLOBAL__N_18offset_tEEE10hipError_tPvRmT1_PNSt15iterator_traitsISK_E10value_typeET2_T3_PNSL_ISQ_E10value_typeET4_jRbjT5_SW_jjP12ihipStream_tbEUlT_E2_NS1_11comp_targetILNS1_3genE10ELNS1_11target_archE1200ELNS1_3gpuE4ELNS1_3repE0EEENS1_30default_config_static_selectorELNS0_4arch9wavefront6targetE0EEEvSK_
    .private_segment_fixed_size: 0
    .sgpr_count:     0
    .sgpr_spill_count: 0
    .symbol:         _ZN7rocprim17ROCPRIM_400000_NS6detail17trampoline_kernelINS0_14default_configENS1_36segmented_radix_sort_config_selectorIilEEZNS1_25segmented_radix_sort_implIS3_Lb1EPKiPiPKlPlN2at6native12_GLOBAL__N_18offset_tEEE10hipError_tPvRmT1_PNSt15iterator_traitsISK_E10value_typeET2_T3_PNSL_ISQ_E10value_typeET4_jRbjT5_SW_jjP12ihipStream_tbEUlT_E2_NS1_11comp_targetILNS1_3genE10ELNS1_11target_archE1200ELNS1_3gpuE4ELNS1_3repE0EEENS1_30default_config_static_selectorELNS0_4arch9wavefront6targetE0EEEvSK_.kd
    .uniform_work_group_size: 1
    .uses_dynamic_stack: false
    .vgpr_count:     0
    .vgpr_spill_count: 0
    .wavefront_size: 32
    .workgroup_processor_mode: 1
  - .args:
      - .offset:         0
        .size:           80
        .value_kind:     by_value
    .group_segment_fixed_size: 0
    .kernarg_segment_align: 8
    .kernarg_segment_size: 80
    .language:       OpenCL C
    .language_version:
      - 2
      - 0
    .max_flat_workgroup_size: 256
    .name:           _ZN7rocprim17ROCPRIM_400000_NS6detail17trampoline_kernelINS0_14default_configENS1_36segmented_radix_sort_config_selectorIilEEZNS1_25segmented_radix_sort_implIS3_Lb1EPKiPiPKlPlN2at6native12_GLOBAL__N_18offset_tEEE10hipError_tPvRmT1_PNSt15iterator_traitsISK_E10value_typeET2_T3_PNSL_ISQ_E10value_typeET4_jRbjT5_SW_jjP12ihipStream_tbEUlT_E2_NS1_11comp_targetILNS1_3genE9ELNS1_11target_archE1100ELNS1_3gpuE3ELNS1_3repE0EEENS1_30default_config_static_selectorELNS0_4arch9wavefront6targetE0EEEvSK_
    .private_segment_fixed_size: 0
    .sgpr_count:     0
    .sgpr_spill_count: 0
    .symbol:         _ZN7rocprim17ROCPRIM_400000_NS6detail17trampoline_kernelINS0_14default_configENS1_36segmented_radix_sort_config_selectorIilEEZNS1_25segmented_radix_sort_implIS3_Lb1EPKiPiPKlPlN2at6native12_GLOBAL__N_18offset_tEEE10hipError_tPvRmT1_PNSt15iterator_traitsISK_E10value_typeET2_T3_PNSL_ISQ_E10value_typeET4_jRbjT5_SW_jjP12ihipStream_tbEUlT_E2_NS1_11comp_targetILNS1_3genE9ELNS1_11target_archE1100ELNS1_3gpuE3ELNS1_3repE0EEENS1_30default_config_static_selectorELNS0_4arch9wavefront6targetE0EEEvSK_.kd
    .uniform_work_group_size: 1
    .uses_dynamic_stack: false
    .vgpr_count:     0
    .vgpr_spill_count: 0
    .wavefront_size: 32
    .workgroup_processor_mode: 1
  - .args:
      - .offset:         0
        .size:           80
        .value_kind:     by_value
      - .offset:         80
        .size:           4
        .value_kind:     hidden_block_count_x
      - .offset:         84
        .size:           4
        .value_kind:     hidden_block_count_y
      - .offset:         88
        .size:           4
        .value_kind:     hidden_block_count_z
      - .offset:         92
        .size:           2
        .value_kind:     hidden_group_size_x
      - .offset:         94
        .size:           2
        .value_kind:     hidden_group_size_y
      - .offset:         96
        .size:           2
        .value_kind:     hidden_group_size_z
      - .offset:         98
        .size:           2
        .value_kind:     hidden_remainder_x
      - .offset:         100
        .size:           2
        .value_kind:     hidden_remainder_y
      - .offset:         102
        .size:           2
        .value_kind:     hidden_remainder_z
      - .offset:         120
        .size:           8
        .value_kind:     hidden_global_offset_x
      - .offset:         128
        .size:           8
        .value_kind:     hidden_global_offset_y
      - .offset:         136
        .size:           8
        .value_kind:     hidden_global_offset_z
      - .offset:         144
        .size:           2
        .value_kind:     hidden_grid_dims
    .group_segment_fixed_size: 35344
    .kernarg_segment_align: 8
    .kernarg_segment_size: 336
    .language:       OpenCL C
    .language_version:
      - 2
      - 0
    .max_flat_workgroup_size: 256
    .name:           _ZN7rocprim17ROCPRIM_400000_NS6detail17trampoline_kernelINS0_14default_configENS1_36segmented_radix_sort_config_selectorIilEEZNS1_25segmented_radix_sort_implIS3_Lb1EPKiPiPKlPlN2at6native12_GLOBAL__N_18offset_tEEE10hipError_tPvRmT1_PNSt15iterator_traitsISK_E10value_typeET2_T3_PNSL_ISQ_E10value_typeET4_jRbjT5_SW_jjP12ihipStream_tbEUlT_E2_NS1_11comp_targetILNS1_3genE8ELNS1_11target_archE1030ELNS1_3gpuE2ELNS1_3repE0EEENS1_30default_config_static_selectorELNS0_4arch9wavefront6targetE0EEEvSK_
    .private_segment_fixed_size: 196
    .sgpr_count:     70
    .sgpr_spill_count: 0
    .symbol:         _ZN7rocprim17ROCPRIM_400000_NS6detail17trampoline_kernelINS0_14default_configENS1_36segmented_radix_sort_config_selectorIilEEZNS1_25segmented_radix_sort_implIS3_Lb1EPKiPiPKlPlN2at6native12_GLOBAL__N_18offset_tEEE10hipError_tPvRmT1_PNSt15iterator_traitsISK_E10value_typeET2_T3_PNSL_ISQ_E10value_typeET4_jRbjT5_SW_jjP12ihipStream_tbEUlT_E2_NS1_11comp_targetILNS1_3genE8ELNS1_11target_archE1030ELNS1_3gpuE2ELNS1_3repE0EEENS1_30default_config_static_selectorELNS0_4arch9wavefront6targetE0EEEvSK_.kd
    .uniform_work_group_size: 1
    .uses_dynamic_stack: false
    .vgpr_count:     248
    .vgpr_spill_count: 0
    .wavefront_size: 32
    .workgroup_processor_mode: 1
  - .args:
      - .offset:         0
        .size:           176
        .value_kind:     by_value
    .group_segment_fixed_size: 0
    .kernarg_segment_align: 8
    .kernarg_segment_size: 176
    .language:       OpenCL C
    .language_version:
      - 2
      - 0
    .max_flat_workgroup_size: 256
    .name:           _ZN7rocprim17ROCPRIM_400000_NS6detail17trampoline_kernelINS0_13select_configILj256ELj13ELNS0_17block_load_methodE3ELS4_3ELS4_3ELNS0_20block_scan_algorithmE0ELj4294967295EEENS1_25partition_config_selectorILNS1_17partition_subalgoE4EjNS0_10empty_typeEbEEZZNS1_14partition_implILS8_4ELb0ES6_15HIP_vector_typeIjLj2EENS0_17counting_iteratorIjlEEPS9_SG_NS0_5tupleIJPjSI_NS0_16reverse_iteratorISI_EEEEENSH_IJSG_SG_SG_EEES9_SI_JZNS1_25segmented_radix_sort_implINS0_14default_configELb0EPKiPiPKlPlN2at6native12_GLOBAL__N_18offset_tEEE10hipError_tPvRmT1_PNSt15iterator_traitsIS12_E10value_typeET2_T3_PNS13_IS18_E10value_typeET4_jRbjT5_S1E_jjP12ihipStream_tbEUljE_ZNSN_ISO_Lb0ESQ_SR_ST_SU_SY_EESZ_S10_S11_S12_S16_S17_S18_S1B_S1C_jS1D_jS1E_S1E_jjS1G_bEUljE0_EEESZ_S10_S11_S18_S1C_S1E_T6_T7_T9_mT8_S1G_bDpT10_ENKUlT_T0_E_clISt17integral_constantIbLb0EES1U_EEDaS1P_S1Q_EUlS1P_E_NS1_11comp_targetILNS1_3genE0ELNS1_11target_archE4294967295ELNS1_3gpuE0ELNS1_3repE0EEENS1_30default_config_static_selectorELNS0_4arch9wavefront6targetE0EEEvS12_
    .private_segment_fixed_size: 0
    .sgpr_count:     0
    .sgpr_spill_count: 0
    .symbol:         _ZN7rocprim17ROCPRIM_400000_NS6detail17trampoline_kernelINS0_13select_configILj256ELj13ELNS0_17block_load_methodE3ELS4_3ELS4_3ELNS0_20block_scan_algorithmE0ELj4294967295EEENS1_25partition_config_selectorILNS1_17partition_subalgoE4EjNS0_10empty_typeEbEEZZNS1_14partition_implILS8_4ELb0ES6_15HIP_vector_typeIjLj2EENS0_17counting_iteratorIjlEEPS9_SG_NS0_5tupleIJPjSI_NS0_16reverse_iteratorISI_EEEEENSH_IJSG_SG_SG_EEES9_SI_JZNS1_25segmented_radix_sort_implINS0_14default_configELb0EPKiPiPKlPlN2at6native12_GLOBAL__N_18offset_tEEE10hipError_tPvRmT1_PNSt15iterator_traitsIS12_E10value_typeET2_T3_PNS13_IS18_E10value_typeET4_jRbjT5_S1E_jjP12ihipStream_tbEUljE_ZNSN_ISO_Lb0ESQ_SR_ST_SU_SY_EESZ_S10_S11_S12_S16_S17_S18_S1B_S1C_jS1D_jS1E_S1E_jjS1G_bEUljE0_EEESZ_S10_S11_S18_S1C_S1E_T6_T7_T9_mT8_S1G_bDpT10_ENKUlT_T0_E_clISt17integral_constantIbLb0EES1U_EEDaS1P_S1Q_EUlS1P_E_NS1_11comp_targetILNS1_3genE0ELNS1_11target_archE4294967295ELNS1_3gpuE0ELNS1_3repE0EEENS1_30default_config_static_selectorELNS0_4arch9wavefront6targetE0EEEvS12_.kd
    .uniform_work_group_size: 1
    .uses_dynamic_stack: false
    .vgpr_count:     0
    .vgpr_spill_count: 0
    .wavefront_size: 32
    .workgroup_processor_mode: 1
  - .args:
      - .offset:         0
        .size:           176
        .value_kind:     by_value
    .group_segment_fixed_size: 0
    .kernarg_segment_align: 8
    .kernarg_segment_size: 176
    .language:       OpenCL C
    .language_version:
      - 2
      - 0
    .max_flat_workgroup_size: 256
    .name:           _ZN7rocprim17ROCPRIM_400000_NS6detail17trampoline_kernelINS0_13select_configILj256ELj13ELNS0_17block_load_methodE3ELS4_3ELS4_3ELNS0_20block_scan_algorithmE0ELj4294967295EEENS1_25partition_config_selectorILNS1_17partition_subalgoE4EjNS0_10empty_typeEbEEZZNS1_14partition_implILS8_4ELb0ES6_15HIP_vector_typeIjLj2EENS0_17counting_iteratorIjlEEPS9_SG_NS0_5tupleIJPjSI_NS0_16reverse_iteratorISI_EEEEENSH_IJSG_SG_SG_EEES9_SI_JZNS1_25segmented_radix_sort_implINS0_14default_configELb0EPKiPiPKlPlN2at6native12_GLOBAL__N_18offset_tEEE10hipError_tPvRmT1_PNSt15iterator_traitsIS12_E10value_typeET2_T3_PNS13_IS18_E10value_typeET4_jRbjT5_S1E_jjP12ihipStream_tbEUljE_ZNSN_ISO_Lb0ESQ_SR_ST_SU_SY_EESZ_S10_S11_S12_S16_S17_S18_S1B_S1C_jS1D_jS1E_S1E_jjS1G_bEUljE0_EEESZ_S10_S11_S18_S1C_S1E_T6_T7_T9_mT8_S1G_bDpT10_ENKUlT_T0_E_clISt17integral_constantIbLb0EES1U_EEDaS1P_S1Q_EUlS1P_E_NS1_11comp_targetILNS1_3genE5ELNS1_11target_archE942ELNS1_3gpuE9ELNS1_3repE0EEENS1_30default_config_static_selectorELNS0_4arch9wavefront6targetE0EEEvS12_
    .private_segment_fixed_size: 0
    .sgpr_count:     0
    .sgpr_spill_count: 0
    .symbol:         _ZN7rocprim17ROCPRIM_400000_NS6detail17trampoline_kernelINS0_13select_configILj256ELj13ELNS0_17block_load_methodE3ELS4_3ELS4_3ELNS0_20block_scan_algorithmE0ELj4294967295EEENS1_25partition_config_selectorILNS1_17partition_subalgoE4EjNS0_10empty_typeEbEEZZNS1_14partition_implILS8_4ELb0ES6_15HIP_vector_typeIjLj2EENS0_17counting_iteratorIjlEEPS9_SG_NS0_5tupleIJPjSI_NS0_16reverse_iteratorISI_EEEEENSH_IJSG_SG_SG_EEES9_SI_JZNS1_25segmented_radix_sort_implINS0_14default_configELb0EPKiPiPKlPlN2at6native12_GLOBAL__N_18offset_tEEE10hipError_tPvRmT1_PNSt15iterator_traitsIS12_E10value_typeET2_T3_PNS13_IS18_E10value_typeET4_jRbjT5_S1E_jjP12ihipStream_tbEUljE_ZNSN_ISO_Lb0ESQ_SR_ST_SU_SY_EESZ_S10_S11_S12_S16_S17_S18_S1B_S1C_jS1D_jS1E_S1E_jjS1G_bEUljE0_EEESZ_S10_S11_S18_S1C_S1E_T6_T7_T9_mT8_S1G_bDpT10_ENKUlT_T0_E_clISt17integral_constantIbLb0EES1U_EEDaS1P_S1Q_EUlS1P_E_NS1_11comp_targetILNS1_3genE5ELNS1_11target_archE942ELNS1_3gpuE9ELNS1_3repE0EEENS1_30default_config_static_selectorELNS0_4arch9wavefront6targetE0EEEvS12_.kd
    .uniform_work_group_size: 1
    .uses_dynamic_stack: false
    .vgpr_count:     0
    .vgpr_spill_count: 0
    .wavefront_size: 32
    .workgroup_processor_mode: 1
  - .args:
      - .offset:         0
        .size:           176
        .value_kind:     by_value
    .group_segment_fixed_size: 0
    .kernarg_segment_align: 8
    .kernarg_segment_size: 176
    .language:       OpenCL C
    .language_version:
      - 2
      - 0
    .max_flat_workgroup_size: 256
    .name:           _ZN7rocprim17ROCPRIM_400000_NS6detail17trampoline_kernelINS0_13select_configILj256ELj13ELNS0_17block_load_methodE3ELS4_3ELS4_3ELNS0_20block_scan_algorithmE0ELj4294967295EEENS1_25partition_config_selectorILNS1_17partition_subalgoE4EjNS0_10empty_typeEbEEZZNS1_14partition_implILS8_4ELb0ES6_15HIP_vector_typeIjLj2EENS0_17counting_iteratorIjlEEPS9_SG_NS0_5tupleIJPjSI_NS0_16reverse_iteratorISI_EEEEENSH_IJSG_SG_SG_EEES9_SI_JZNS1_25segmented_radix_sort_implINS0_14default_configELb0EPKiPiPKlPlN2at6native12_GLOBAL__N_18offset_tEEE10hipError_tPvRmT1_PNSt15iterator_traitsIS12_E10value_typeET2_T3_PNS13_IS18_E10value_typeET4_jRbjT5_S1E_jjP12ihipStream_tbEUljE_ZNSN_ISO_Lb0ESQ_SR_ST_SU_SY_EESZ_S10_S11_S12_S16_S17_S18_S1B_S1C_jS1D_jS1E_S1E_jjS1G_bEUljE0_EEESZ_S10_S11_S18_S1C_S1E_T6_T7_T9_mT8_S1G_bDpT10_ENKUlT_T0_E_clISt17integral_constantIbLb0EES1U_EEDaS1P_S1Q_EUlS1P_E_NS1_11comp_targetILNS1_3genE4ELNS1_11target_archE910ELNS1_3gpuE8ELNS1_3repE0EEENS1_30default_config_static_selectorELNS0_4arch9wavefront6targetE0EEEvS12_
    .private_segment_fixed_size: 0
    .sgpr_count:     0
    .sgpr_spill_count: 0
    .symbol:         _ZN7rocprim17ROCPRIM_400000_NS6detail17trampoline_kernelINS0_13select_configILj256ELj13ELNS0_17block_load_methodE3ELS4_3ELS4_3ELNS0_20block_scan_algorithmE0ELj4294967295EEENS1_25partition_config_selectorILNS1_17partition_subalgoE4EjNS0_10empty_typeEbEEZZNS1_14partition_implILS8_4ELb0ES6_15HIP_vector_typeIjLj2EENS0_17counting_iteratorIjlEEPS9_SG_NS0_5tupleIJPjSI_NS0_16reverse_iteratorISI_EEEEENSH_IJSG_SG_SG_EEES9_SI_JZNS1_25segmented_radix_sort_implINS0_14default_configELb0EPKiPiPKlPlN2at6native12_GLOBAL__N_18offset_tEEE10hipError_tPvRmT1_PNSt15iterator_traitsIS12_E10value_typeET2_T3_PNS13_IS18_E10value_typeET4_jRbjT5_S1E_jjP12ihipStream_tbEUljE_ZNSN_ISO_Lb0ESQ_SR_ST_SU_SY_EESZ_S10_S11_S12_S16_S17_S18_S1B_S1C_jS1D_jS1E_S1E_jjS1G_bEUljE0_EEESZ_S10_S11_S18_S1C_S1E_T6_T7_T9_mT8_S1G_bDpT10_ENKUlT_T0_E_clISt17integral_constantIbLb0EES1U_EEDaS1P_S1Q_EUlS1P_E_NS1_11comp_targetILNS1_3genE4ELNS1_11target_archE910ELNS1_3gpuE8ELNS1_3repE0EEENS1_30default_config_static_selectorELNS0_4arch9wavefront6targetE0EEEvS12_.kd
    .uniform_work_group_size: 1
    .uses_dynamic_stack: false
    .vgpr_count:     0
    .vgpr_spill_count: 0
    .wavefront_size: 32
    .workgroup_processor_mode: 1
  - .args:
      - .offset:         0
        .size:           176
        .value_kind:     by_value
    .group_segment_fixed_size: 0
    .kernarg_segment_align: 8
    .kernarg_segment_size: 176
    .language:       OpenCL C
    .language_version:
      - 2
      - 0
    .max_flat_workgroup_size: 256
    .name:           _ZN7rocprim17ROCPRIM_400000_NS6detail17trampoline_kernelINS0_13select_configILj256ELj13ELNS0_17block_load_methodE3ELS4_3ELS4_3ELNS0_20block_scan_algorithmE0ELj4294967295EEENS1_25partition_config_selectorILNS1_17partition_subalgoE4EjNS0_10empty_typeEbEEZZNS1_14partition_implILS8_4ELb0ES6_15HIP_vector_typeIjLj2EENS0_17counting_iteratorIjlEEPS9_SG_NS0_5tupleIJPjSI_NS0_16reverse_iteratorISI_EEEEENSH_IJSG_SG_SG_EEES9_SI_JZNS1_25segmented_radix_sort_implINS0_14default_configELb0EPKiPiPKlPlN2at6native12_GLOBAL__N_18offset_tEEE10hipError_tPvRmT1_PNSt15iterator_traitsIS12_E10value_typeET2_T3_PNS13_IS18_E10value_typeET4_jRbjT5_S1E_jjP12ihipStream_tbEUljE_ZNSN_ISO_Lb0ESQ_SR_ST_SU_SY_EESZ_S10_S11_S12_S16_S17_S18_S1B_S1C_jS1D_jS1E_S1E_jjS1G_bEUljE0_EEESZ_S10_S11_S18_S1C_S1E_T6_T7_T9_mT8_S1G_bDpT10_ENKUlT_T0_E_clISt17integral_constantIbLb0EES1U_EEDaS1P_S1Q_EUlS1P_E_NS1_11comp_targetILNS1_3genE3ELNS1_11target_archE908ELNS1_3gpuE7ELNS1_3repE0EEENS1_30default_config_static_selectorELNS0_4arch9wavefront6targetE0EEEvS12_
    .private_segment_fixed_size: 0
    .sgpr_count:     0
    .sgpr_spill_count: 0
    .symbol:         _ZN7rocprim17ROCPRIM_400000_NS6detail17trampoline_kernelINS0_13select_configILj256ELj13ELNS0_17block_load_methodE3ELS4_3ELS4_3ELNS0_20block_scan_algorithmE0ELj4294967295EEENS1_25partition_config_selectorILNS1_17partition_subalgoE4EjNS0_10empty_typeEbEEZZNS1_14partition_implILS8_4ELb0ES6_15HIP_vector_typeIjLj2EENS0_17counting_iteratorIjlEEPS9_SG_NS0_5tupleIJPjSI_NS0_16reverse_iteratorISI_EEEEENSH_IJSG_SG_SG_EEES9_SI_JZNS1_25segmented_radix_sort_implINS0_14default_configELb0EPKiPiPKlPlN2at6native12_GLOBAL__N_18offset_tEEE10hipError_tPvRmT1_PNSt15iterator_traitsIS12_E10value_typeET2_T3_PNS13_IS18_E10value_typeET4_jRbjT5_S1E_jjP12ihipStream_tbEUljE_ZNSN_ISO_Lb0ESQ_SR_ST_SU_SY_EESZ_S10_S11_S12_S16_S17_S18_S1B_S1C_jS1D_jS1E_S1E_jjS1G_bEUljE0_EEESZ_S10_S11_S18_S1C_S1E_T6_T7_T9_mT8_S1G_bDpT10_ENKUlT_T0_E_clISt17integral_constantIbLb0EES1U_EEDaS1P_S1Q_EUlS1P_E_NS1_11comp_targetILNS1_3genE3ELNS1_11target_archE908ELNS1_3gpuE7ELNS1_3repE0EEENS1_30default_config_static_selectorELNS0_4arch9wavefront6targetE0EEEvS12_.kd
    .uniform_work_group_size: 1
    .uses_dynamic_stack: false
    .vgpr_count:     0
    .vgpr_spill_count: 0
    .wavefront_size: 32
    .workgroup_processor_mode: 1
  - .args:
      - .offset:         0
        .size:           176
        .value_kind:     by_value
    .group_segment_fixed_size: 0
    .kernarg_segment_align: 8
    .kernarg_segment_size: 176
    .language:       OpenCL C
    .language_version:
      - 2
      - 0
    .max_flat_workgroup_size: 256
    .name:           _ZN7rocprim17ROCPRIM_400000_NS6detail17trampoline_kernelINS0_13select_configILj256ELj13ELNS0_17block_load_methodE3ELS4_3ELS4_3ELNS0_20block_scan_algorithmE0ELj4294967295EEENS1_25partition_config_selectorILNS1_17partition_subalgoE4EjNS0_10empty_typeEbEEZZNS1_14partition_implILS8_4ELb0ES6_15HIP_vector_typeIjLj2EENS0_17counting_iteratorIjlEEPS9_SG_NS0_5tupleIJPjSI_NS0_16reverse_iteratorISI_EEEEENSH_IJSG_SG_SG_EEES9_SI_JZNS1_25segmented_radix_sort_implINS0_14default_configELb0EPKiPiPKlPlN2at6native12_GLOBAL__N_18offset_tEEE10hipError_tPvRmT1_PNSt15iterator_traitsIS12_E10value_typeET2_T3_PNS13_IS18_E10value_typeET4_jRbjT5_S1E_jjP12ihipStream_tbEUljE_ZNSN_ISO_Lb0ESQ_SR_ST_SU_SY_EESZ_S10_S11_S12_S16_S17_S18_S1B_S1C_jS1D_jS1E_S1E_jjS1G_bEUljE0_EEESZ_S10_S11_S18_S1C_S1E_T6_T7_T9_mT8_S1G_bDpT10_ENKUlT_T0_E_clISt17integral_constantIbLb0EES1U_EEDaS1P_S1Q_EUlS1P_E_NS1_11comp_targetILNS1_3genE2ELNS1_11target_archE906ELNS1_3gpuE6ELNS1_3repE0EEENS1_30default_config_static_selectorELNS0_4arch9wavefront6targetE0EEEvS12_
    .private_segment_fixed_size: 0
    .sgpr_count:     0
    .sgpr_spill_count: 0
    .symbol:         _ZN7rocprim17ROCPRIM_400000_NS6detail17trampoline_kernelINS0_13select_configILj256ELj13ELNS0_17block_load_methodE3ELS4_3ELS4_3ELNS0_20block_scan_algorithmE0ELj4294967295EEENS1_25partition_config_selectorILNS1_17partition_subalgoE4EjNS0_10empty_typeEbEEZZNS1_14partition_implILS8_4ELb0ES6_15HIP_vector_typeIjLj2EENS0_17counting_iteratorIjlEEPS9_SG_NS0_5tupleIJPjSI_NS0_16reverse_iteratorISI_EEEEENSH_IJSG_SG_SG_EEES9_SI_JZNS1_25segmented_radix_sort_implINS0_14default_configELb0EPKiPiPKlPlN2at6native12_GLOBAL__N_18offset_tEEE10hipError_tPvRmT1_PNSt15iterator_traitsIS12_E10value_typeET2_T3_PNS13_IS18_E10value_typeET4_jRbjT5_S1E_jjP12ihipStream_tbEUljE_ZNSN_ISO_Lb0ESQ_SR_ST_SU_SY_EESZ_S10_S11_S12_S16_S17_S18_S1B_S1C_jS1D_jS1E_S1E_jjS1G_bEUljE0_EEESZ_S10_S11_S18_S1C_S1E_T6_T7_T9_mT8_S1G_bDpT10_ENKUlT_T0_E_clISt17integral_constantIbLb0EES1U_EEDaS1P_S1Q_EUlS1P_E_NS1_11comp_targetILNS1_3genE2ELNS1_11target_archE906ELNS1_3gpuE6ELNS1_3repE0EEENS1_30default_config_static_selectorELNS0_4arch9wavefront6targetE0EEEvS12_.kd
    .uniform_work_group_size: 1
    .uses_dynamic_stack: false
    .vgpr_count:     0
    .vgpr_spill_count: 0
    .wavefront_size: 32
    .workgroup_processor_mode: 1
  - .args:
      - .offset:         0
        .size:           176
        .value_kind:     by_value
    .group_segment_fixed_size: 0
    .kernarg_segment_align: 8
    .kernarg_segment_size: 176
    .language:       OpenCL C
    .language_version:
      - 2
      - 0
    .max_flat_workgroup_size: 256
    .name:           _ZN7rocprim17ROCPRIM_400000_NS6detail17trampoline_kernelINS0_13select_configILj256ELj13ELNS0_17block_load_methodE3ELS4_3ELS4_3ELNS0_20block_scan_algorithmE0ELj4294967295EEENS1_25partition_config_selectorILNS1_17partition_subalgoE4EjNS0_10empty_typeEbEEZZNS1_14partition_implILS8_4ELb0ES6_15HIP_vector_typeIjLj2EENS0_17counting_iteratorIjlEEPS9_SG_NS0_5tupleIJPjSI_NS0_16reverse_iteratorISI_EEEEENSH_IJSG_SG_SG_EEES9_SI_JZNS1_25segmented_radix_sort_implINS0_14default_configELb0EPKiPiPKlPlN2at6native12_GLOBAL__N_18offset_tEEE10hipError_tPvRmT1_PNSt15iterator_traitsIS12_E10value_typeET2_T3_PNS13_IS18_E10value_typeET4_jRbjT5_S1E_jjP12ihipStream_tbEUljE_ZNSN_ISO_Lb0ESQ_SR_ST_SU_SY_EESZ_S10_S11_S12_S16_S17_S18_S1B_S1C_jS1D_jS1E_S1E_jjS1G_bEUljE0_EEESZ_S10_S11_S18_S1C_S1E_T6_T7_T9_mT8_S1G_bDpT10_ENKUlT_T0_E_clISt17integral_constantIbLb0EES1U_EEDaS1P_S1Q_EUlS1P_E_NS1_11comp_targetILNS1_3genE10ELNS1_11target_archE1200ELNS1_3gpuE4ELNS1_3repE0EEENS1_30default_config_static_selectorELNS0_4arch9wavefront6targetE0EEEvS12_
    .private_segment_fixed_size: 0
    .sgpr_count:     0
    .sgpr_spill_count: 0
    .symbol:         _ZN7rocprim17ROCPRIM_400000_NS6detail17trampoline_kernelINS0_13select_configILj256ELj13ELNS0_17block_load_methodE3ELS4_3ELS4_3ELNS0_20block_scan_algorithmE0ELj4294967295EEENS1_25partition_config_selectorILNS1_17partition_subalgoE4EjNS0_10empty_typeEbEEZZNS1_14partition_implILS8_4ELb0ES6_15HIP_vector_typeIjLj2EENS0_17counting_iteratorIjlEEPS9_SG_NS0_5tupleIJPjSI_NS0_16reverse_iteratorISI_EEEEENSH_IJSG_SG_SG_EEES9_SI_JZNS1_25segmented_radix_sort_implINS0_14default_configELb0EPKiPiPKlPlN2at6native12_GLOBAL__N_18offset_tEEE10hipError_tPvRmT1_PNSt15iterator_traitsIS12_E10value_typeET2_T3_PNS13_IS18_E10value_typeET4_jRbjT5_S1E_jjP12ihipStream_tbEUljE_ZNSN_ISO_Lb0ESQ_SR_ST_SU_SY_EESZ_S10_S11_S12_S16_S17_S18_S1B_S1C_jS1D_jS1E_S1E_jjS1G_bEUljE0_EEESZ_S10_S11_S18_S1C_S1E_T6_T7_T9_mT8_S1G_bDpT10_ENKUlT_T0_E_clISt17integral_constantIbLb0EES1U_EEDaS1P_S1Q_EUlS1P_E_NS1_11comp_targetILNS1_3genE10ELNS1_11target_archE1200ELNS1_3gpuE4ELNS1_3repE0EEENS1_30default_config_static_selectorELNS0_4arch9wavefront6targetE0EEEvS12_.kd
    .uniform_work_group_size: 1
    .uses_dynamic_stack: false
    .vgpr_count:     0
    .vgpr_spill_count: 0
    .wavefront_size: 32
    .workgroup_processor_mode: 1
  - .args:
      - .offset:         0
        .size:           176
        .value_kind:     by_value
    .group_segment_fixed_size: 0
    .kernarg_segment_align: 8
    .kernarg_segment_size: 176
    .language:       OpenCL C
    .language_version:
      - 2
      - 0
    .max_flat_workgroup_size: 256
    .name:           _ZN7rocprim17ROCPRIM_400000_NS6detail17trampoline_kernelINS0_13select_configILj256ELj13ELNS0_17block_load_methodE3ELS4_3ELS4_3ELNS0_20block_scan_algorithmE0ELj4294967295EEENS1_25partition_config_selectorILNS1_17partition_subalgoE4EjNS0_10empty_typeEbEEZZNS1_14partition_implILS8_4ELb0ES6_15HIP_vector_typeIjLj2EENS0_17counting_iteratorIjlEEPS9_SG_NS0_5tupleIJPjSI_NS0_16reverse_iteratorISI_EEEEENSH_IJSG_SG_SG_EEES9_SI_JZNS1_25segmented_radix_sort_implINS0_14default_configELb0EPKiPiPKlPlN2at6native12_GLOBAL__N_18offset_tEEE10hipError_tPvRmT1_PNSt15iterator_traitsIS12_E10value_typeET2_T3_PNS13_IS18_E10value_typeET4_jRbjT5_S1E_jjP12ihipStream_tbEUljE_ZNSN_ISO_Lb0ESQ_SR_ST_SU_SY_EESZ_S10_S11_S12_S16_S17_S18_S1B_S1C_jS1D_jS1E_S1E_jjS1G_bEUljE0_EEESZ_S10_S11_S18_S1C_S1E_T6_T7_T9_mT8_S1G_bDpT10_ENKUlT_T0_E_clISt17integral_constantIbLb0EES1U_EEDaS1P_S1Q_EUlS1P_E_NS1_11comp_targetILNS1_3genE9ELNS1_11target_archE1100ELNS1_3gpuE3ELNS1_3repE0EEENS1_30default_config_static_selectorELNS0_4arch9wavefront6targetE0EEEvS12_
    .private_segment_fixed_size: 0
    .sgpr_count:     0
    .sgpr_spill_count: 0
    .symbol:         _ZN7rocprim17ROCPRIM_400000_NS6detail17trampoline_kernelINS0_13select_configILj256ELj13ELNS0_17block_load_methodE3ELS4_3ELS4_3ELNS0_20block_scan_algorithmE0ELj4294967295EEENS1_25partition_config_selectorILNS1_17partition_subalgoE4EjNS0_10empty_typeEbEEZZNS1_14partition_implILS8_4ELb0ES6_15HIP_vector_typeIjLj2EENS0_17counting_iteratorIjlEEPS9_SG_NS0_5tupleIJPjSI_NS0_16reverse_iteratorISI_EEEEENSH_IJSG_SG_SG_EEES9_SI_JZNS1_25segmented_radix_sort_implINS0_14default_configELb0EPKiPiPKlPlN2at6native12_GLOBAL__N_18offset_tEEE10hipError_tPvRmT1_PNSt15iterator_traitsIS12_E10value_typeET2_T3_PNS13_IS18_E10value_typeET4_jRbjT5_S1E_jjP12ihipStream_tbEUljE_ZNSN_ISO_Lb0ESQ_SR_ST_SU_SY_EESZ_S10_S11_S12_S16_S17_S18_S1B_S1C_jS1D_jS1E_S1E_jjS1G_bEUljE0_EEESZ_S10_S11_S18_S1C_S1E_T6_T7_T9_mT8_S1G_bDpT10_ENKUlT_T0_E_clISt17integral_constantIbLb0EES1U_EEDaS1P_S1Q_EUlS1P_E_NS1_11comp_targetILNS1_3genE9ELNS1_11target_archE1100ELNS1_3gpuE3ELNS1_3repE0EEENS1_30default_config_static_selectorELNS0_4arch9wavefront6targetE0EEEvS12_.kd
    .uniform_work_group_size: 1
    .uses_dynamic_stack: false
    .vgpr_count:     0
    .vgpr_spill_count: 0
    .wavefront_size: 32
    .workgroup_processor_mode: 1
  - .args:
      - .offset:         0
        .size:           176
        .value_kind:     by_value
    .group_segment_fixed_size: 13328
    .kernarg_segment_align: 8
    .kernarg_segment_size: 176
    .language:       OpenCL C
    .language_version:
      - 2
      - 0
    .max_flat_workgroup_size: 256
    .name:           _ZN7rocprim17ROCPRIM_400000_NS6detail17trampoline_kernelINS0_13select_configILj256ELj13ELNS0_17block_load_methodE3ELS4_3ELS4_3ELNS0_20block_scan_algorithmE0ELj4294967295EEENS1_25partition_config_selectorILNS1_17partition_subalgoE4EjNS0_10empty_typeEbEEZZNS1_14partition_implILS8_4ELb0ES6_15HIP_vector_typeIjLj2EENS0_17counting_iteratorIjlEEPS9_SG_NS0_5tupleIJPjSI_NS0_16reverse_iteratorISI_EEEEENSH_IJSG_SG_SG_EEES9_SI_JZNS1_25segmented_radix_sort_implINS0_14default_configELb0EPKiPiPKlPlN2at6native12_GLOBAL__N_18offset_tEEE10hipError_tPvRmT1_PNSt15iterator_traitsIS12_E10value_typeET2_T3_PNS13_IS18_E10value_typeET4_jRbjT5_S1E_jjP12ihipStream_tbEUljE_ZNSN_ISO_Lb0ESQ_SR_ST_SU_SY_EESZ_S10_S11_S12_S16_S17_S18_S1B_S1C_jS1D_jS1E_S1E_jjS1G_bEUljE0_EEESZ_S10_S11_S18_S1C_S1E_T6_T7_T9_mT8_S1G_bDpT10_ENKUlT_T0_E_clISt17integral_constantIbLb0EES1U_EEDaS1P_S1Q_EUlS1P_E_NS1_11comp_targetILNS1_3genE8ELNS1_11target_archE1030ELNS1_3gpuE2ELNS1_3repE0EEENS1_30default_config_static_selectorELNS0_4arch9wavefront6targetE0EEEvS12_
    .private_segment_fixed_size: 0
    .sgpr_count:     61
    .sgpr_spill_count: 0
    .symbol:         _ZN7rocprim17ROCPRIM_400000_NS6detail17trampoline_kernelINS0_13select_configILj256ELj13ELNS0_17block_load_methodE3ELS4_3ELS4_3ELNS0_20block_scan_algorithmE0ELj4294967295EEENS1_25partition_config_selectorILNS1_17partition_subalgoE4EjNS0_10empty_typeEbEEZZNS1_14partition_implILS8_4ELb0ES6_15HIP_vector_typeIjLj2EENS0_17counting_iteratorIjlEEPS9_SG_NS0_5tupleIJPjSI_NS0_16reverse_iteratorISI_EEEEENSH_IJSG_SG_SG_EEES9_SI_JZNS1_25segmented_radix_sort_implINS0_14default_configELb0EPKiPiPKlPlN2at6native12_GLOBAL__N_18offset_tEEE10hipError_tPvRmT1_PNSt15iterator_traitsIS12_E10value_typeET2_T3_PNS13_IS18_E10value_typeET4_jRbjT5_S1E_jjP12ihipStream_tbEUljE_ZNSN_ISO_Lb0ESQ_SR_ST_SU_SY_EESZ_S10_S11_S12_S16_S17_S18_S1B_S1C_jS1D_jS1E_S1E_jjS1G_bEUljE0_EEESZ_S10_S11_S18_S1C_S1E_T6_T7_T9_mT8_S1G_bDpT10_ENKUlT_T0_E_clISt17integral_constantIbLb0EES1U_EEDaS1P_S1Q_EUlS1P_E_NS1_11comp_targetILNS1_3genE8ELNS1_11target_archE1030ELNS1_3gpuE2ELNS1_3repE0EEENS1_30default_config_static_selectorELNS0_4arch9wavefront6targetE0EEEvS12_.kd
    .uniform_work_group_size: 1
    .uses_dynamic_stack: false
    .vgpr_count:     82
    .vgpr_spill_count: 0
    .wavefront_size: 32
    .workgroup_processor_mode: 1
  - .args:
      - .offset:         0
        .size:           184
        .value_kind:     by_value
    .group_segment_fixed_size: 0
    .kernarg_segment_align: 8
    .kernarg_segment_size: 184
    .language:       OpenCL C
    .language_version:
      - 2
      - 0
    .max_flat_workgroup_size: 256
    .name:           _ZN7rocprim17ROCPRIM_400000_NS6detail17trampoline_kernelINS0_13select_configILj256ELj13ELNS0_17block_load_methodE3ELS4_3ELS4_3ELNS0_20block_scan_algorithmE0ELj4294967295EEENS1_25partition_config_selectorILNS1_17partition_subalgoE4EjNS0_10empty_typeEbEEZZNS1_14partition_implILS8_4ELb0ES6_15HIP_vector_typeIjLj2EENS0_17counting_iteratorIjlEEPS9_SG_NS0_5tupleIJPjSI_NS0_16reverse_iteratorISI_EEEEENSH_IJSG_SG_SG_EEES9_SI_JZNS1_25segmented_radix_sort_implINS0_14default_configELb0EPKiPiPKlPlN2at6native12_GLOBAL__N_18offset_tEEE10hipError_tPvRmT1_PNSt15iterator_traitsIS12_E10value_typeET2_T3_PNS13_IS18_E10value_typeET4_jRbjT5_S1E_jjP12ihipStream_tbEUljE_ZNSN_ISO_Lb0ESQ_SR_ST_SU_SY_EESZ_S10_S11_S12_S16_S17_S18_S1B_S1C_jS1D_jS1E_S1E_jjS1G_bEUljE0_EEESZ_S10_S11_S18_S1C_S1E_T6_T7_T9_mT8_S1G_bDpT10_ENKUlT_T0_E_clISt17integral_constantIbLb1EES1U_EEDaS1P_S1Q_EUlS1P_E_NS1_11comp_targetILNS1_3genE0ELNS1_11target_archE4294967295ELNS1_3gpuE0ELNS1_3repE0EEENS1_30default_config_static_selectorELNS0_4arch9wavefront6targetE0EEEvS12_
    .private_segment_fixed_size: 0
    .sgpr_count:     0
    .sgpr_spill_count: 0
    .symbol:         _ZN7rocprim17ROCPRIM_400000_NS6detail17trampoline_kernelINS0_13select_configILj256ELj13ELNS0_17block_load_methodE3ELS4_3ELS4_3ELNS0_20block_scan_algorithmE0ELj4294967295EEENS1_25partition_config_selectorILNS1_17partition_subalgoE4EjNS0_10empty_typeEbEEZZNS1_14partition_implILS8_4ELb0ES6_15HIP_vector_typeIjLj2EENS0_17counting_iteratorIjlEEPS9_SG_NS0_5tupleIJPjSI_NS0_16reverse_iteratorISI_EEEEENSH_IJSG_SG_SG_EEES9_SI_JZNS1_25segmented_radix_sort_implINS0_14default_configELb0EPKiPiPKlPlN2at6native12_GLOBAL__N_18offset_tEEE10hipError_tPvRmT1_PNSt15iterator_traitsIS12_E10value_typeET2_T3_PNS13_IS18_E10value_typeET4_jRbjT5_S1E_jjP12ihipStream_tbEUljE_ZNSN_ISO_Lb0ESQ_SR_ST_SU_SY_EESZ_S10_S11_S12_S16_S17_S18_S1B_S1C_jS1D_jS1E_S1E_jjS1G_bEUljE0_EEESZ_S10_S11_S18_S1C_S1E_T6_T7_T9_mT8_S1G_bDpT10_ENKUlT_T0_E_clISt17integral_constantIbLb1EES1U_EEDaS1P_S1Q_EUlS1P_E_NS1_11comp_targetILNS1_3genE0ELNS1_11target_archE4294967295ELNS1_3gpuE0ELNS1_3repE0EEENS1_30default_config_static_selectorELNS0_4arch9wavefront6targetE0EEEvS12_.kd
    .uniform_work_group_size: 1
    .uses_dynamic_stack: false
    .vgpr_count:     0
    .vgpr_spill_count: 0
    .wavefront_size: 32
    .workgroup_processor_mode: 1
  - .args:
      - .offset:         0
        .size:           184
        .value_kind:     by_value
    .group_segment_fixed_size: 0
    .kernarg_segment_align: 8
    .kernarg_segment_size: 184
    .language:       OpenCL C
    .language_version:
      - 2
      - 0
    .max_flat_workgroup_size: 256
    .name:           _ZN7rocprim17ROCPRIM_400000_NS6detail17trampoline_kernelINS0_13select_configILj256ELj13ELNS0_17block_load_methodE3ELS4_3ELS4_3ELNS0_20block_scan_algorithmE0ELj4294967295EEENS1_25partition_config_selectorILNS1_17partition_subalgoE4EjNS0_10empty_typeEbEEZZNS1_14partition_implILS8_4ELb0ES6_15HIP_vector_typeIjLj2EENS0_17counting_iteratorIjlEEPS9_SG_NS0_5tupleIJPjSI_NS0_16reverse_iteratorISI_EEEEENSH_IJSG_SG_SG_EEES9_SI_JZNS1_25segmented_radix_sort_implINS0_14default_configELb0EPKiPiPKlPlN2at6native12_GLOBAL__N_18offset_tEEE10hipError_tPvRmT1_PNSt15iterator_traitsIS12_E10value_typeET2_T3_PNS13_IS18_E10value_typeET4_jRbjT5_S1E_jjP12ihipStream_tbEUljE_ZNSN_ISO_Lb0ESQ_SR_ST_SU_SY_EESZ_S10_S11_S12_S16_S17_S18_S1B_S1C_jS1D_jS1E_S1E_jjS1G_bEUljE0_EEESZ_S10_S11_S18_S1C_S1E_T6_T7_T9_mT8_S1G_bDpT10_ENKUlT_T0_E_clISt17integral_constantIbLb1EES1U_EEDaS1P_S1Q_EUlS1P_E_NS1_11comp_targetILNS1_3genE5ELNS1_11target_archE942ELNS1_3gpuE9ELNS1_3repE0EEENS1_30default_config_static_selectorELNS0_4arch9wavefront6targetE0EEEvS12_
    .private_segment_fixed_size: 0
    .sgpr_count:     0
    .sgpr_spill_count: 0
    .symbol:         _ZN7rocprim17ROCPRIM_400000_NS6detail17trampoline_kernelINS0_13select_configILj256ELj13ELNS0_17block_load_methodE3ELS4_3ELS4_3ELNS0_20block_scan_algorithmE0ELj4294967295EEENS1_25partition_config_selectorILNS1_17partition_subalgoE4EjNS0_10empty_typeEbEEZZNS1_14partition_implILS8_4ELb0ES6_15HIP_vector_typeIjLj2EENS0_17counting_iteratorIjlEEPS9_SG_NS0_5tupleIJPjSI_NS0_16reverse_iteratorISI_EEEEENSH_IJSG_SG_SG_EEES9_SI_JZNS1_25segmented_radix_sort_implINS0_14default_configELb0EPKiPiPKlPlN2at6native12_GLOBAL__N_18offset_tEEE10hipError_tPvRmT1_PNSt15iterator_traitsIS12_E10value_typeET2_T3_PNS13_IS18_E10value_typeET4_jRbjT5_S1E_jjP12ihipStream_tbEUljE_ZNSN_ISO_Lb0ESQ_SR_ST_SU_SY_EESZ_S10_S11_S12_S16_S17_S18_S1B_S1C_jS1D_jS1E_S1E_jjS1G_bEUljE0_EEESZ_S10_S11_S18_S1C_S1E_T6_T7_T9_mT8_S1G_bDpT10_ENKUlT_T0_E_clISt17integral_constantIbLb1EES1U_EEDaS1P_S1Q_EUlS1P_E_NS1_11comp_targetILNS1_3genE5ELNS1_11target_archE942ELNS1_3gpuE9ELNS1_3repE0EEENS1_30default_config_static_selectorELNS0_4arch9wavefront6targetE0EEEvS12_.kd
    .uniform_work_group_size: 1
    .uses_dynamic_stack: false
    .vgpr_count:     0
    .vgpr_spill_count: 0
    .wavefront_size: 32
    .workgroup_processor_mode: 1
  - .args:
      - .offset:         0
        .size:           184
        .value_kind:     by_value
    .group_segment_fixed_size: 0
    .kernarg_segment_align: 8
    .kernarg_segment_size: 184
    .language:       OpenCL C
    .language_version:
      - 2
      - 0
    .max_flat_workgroup_size: 256
    .name:           _ZN7rocprim17ROCPRIM_400000_NS6detail17trampoline_kernelINS0_13select_configILj256ELj13ELNS0_17block_load_methodE3ELS4_3ELS4_3ELNS0_20block_scan_algorithmE0ELj4294967295EEENS1_25partition_config_selectorILNS1_17partition_subalgoE4EjNS0_10empty_typeEbEEZZNS1_14partition_implILS8_4ELb0ES6_15HIP_vector_typeIjLj2EENS0_17counting_iteratorIjlEEPS9_SG_NS0_5tupleIJPjSI_NS0_16reverse_iteratorISI_EEEEENSH_IJSG_SG_SG_EEES9_SI_JZNS1_25segmented_radix_sort_implINS0_14default_configELb0EPKiPiPKlPlN2at6native12_GLOBAL__N_18offset_tEEE10hipError_tPvRmT1_PNSt15iterator_traitsIS12_E10value_typeET2_T3_PNS13_IS18_E10value_typeET4_jRbjT5_S1E_jjP12ihipStream_tbEUljE_ZNSN_ISO_Lb0ESQ_SR_ST_SU_SY_EESZ_S10_S11_S12_S16_S17_S18_S1B_S1C_jS1D_jS1E_S1E_jjS1G_bEUljE0_EEESZ_S10_S11_S18_S1C_S1E_T6_T7_T9_mT8_S1G_bDpT10_ENKUlT_T0_E_clISt17integral_constantIbLb1EES1U_EEDaS1P_S1Q_EUlS1P_E_NS1_11comp_targetILNS1_3genE4ELNS1_11target_archE910ELNS1_3gpuE8ELNS1_3repE0EEENS1_30default_config_static_selectorELNS0_4arch9wavefront6targetE0EEEvS12_
    .private_segment_fixed_size: 0
    .sgpr_count:     0
    .sgpr_spill_count: 0
    .symbol:         _ZN7rocprim17ROCPRIM_400000_NS6detail17trampoline_kernelINS0_13select_configILj256ELj13ELNS0_17block_load_methodE3ELS4_3ELS4_3ELNS0_20block_scan_algorithmE0ELj4294967295EEENS1_25partition_config_selectorILNS1_17partition_subalgoE4EjNS0_10empty_typeEbEEZZNS1_14partition_implILS8_4ELb0ES6_15HIP_vector_typeIjLj2EENS0_17counting_iteratorIjlEEPS9_SG_NS0_5tupleIJPjSI_NS0_16reverse_iteratorISI_EEEEENSH_IJSG_SG_SG_EEES9_SI_JZNS1_25segmented_radix_sort_implINS0_14default_configELb0EPKiPiPKlPlN2at6native12_GLOBAL__N_18offset_tEEE10hipError_tPvRmT1_PNSt15iterator_traitsIS12_E10value_typeET2_T3_PNS13_IS18_E10value_typeET4_jRbjT5_S1E_jjP12ihipStream_tbEUljE_ZNSN_ISO_Lb0ESQ_SR_ST_SU_SY_EESZ_S10_S11_S12_S16_S17_S18_S1B_S1C_jS1D_jS1E_S1E_jjS1G_bEUljE0_EEESZ_S10_S11_S18_S1C_S1E_T6_T7_T9_mT8_S1G_bDpT10_ENKUlT_T0_E_clISt17integral_constantIbLb1EES1U_EEDaS1P_S1Q_EUlS1P_E_NS1_11comp_targetILNS1_3genE4ELNS1_11target_archE910ELNS1_3gpuE8ELNS1_3repE0EEENS1_30default_config_static_selectorELNS0_4arch9wavefront6targetE0EEEvS12_.kd
    .uniform_work_group_size: 1
    .uses_dynamic_stack: false
    .vgpr_count:     0
    .vgpr_spill_count: 0
    .wavefront_size: 32
    .workgroup_processor_mode: 1
  - .args:
      - .offset:         0
        .size:           184
        .value_kind:     by_value
    .group_segment_fixed_size: 0
    .kernarg_segment_align: 8
    .kernarg_segment_size: 184
    .language:       OpenCL C
    .language_version:
      - 2
      - 0
    .max_flat_workgroup_size: 256
    .name:           _ZN7rocprim17ROCPRIM_400000_NS6detail17trampoline_kernelINS0_13select_configILj256ELj13ELNS0_17block_load_methodE3ELS4_3ELS4_3ELNS0_20block_scan_algorithmE0ELj4294967295EEENS1_25partition_config_selectorILNS1_17partition_subalgoE4EjNS0_10empty_typeEbEEZZNS1_14partition_implILS8_4ELb0ES6_15HIP_vector_typeIjLj2EENS0_17counting_iteratorIjlEEPS9_SG_NS0_5tupleIJPjSI_NS0_16reverse_iteratorISI_EEEEENSH_IJSG_SG_SG_EEES9_SI_JZNS1_25segmented_radix_sort_implINS0_14default_configELb0EPKiPiPKlPlN2at6native12_GLOBAL__N_18offset_tEEE10hipError_tPvRmT1_PNSt15iterator_traitsIS12_E10value_typeET2_T3_PNS13_IS18_E10value_typeET4_jRbjT5_S1E_jjP12ihipStream_tbEUljE_ZNSN_ISO_Lb0ESQ_SR_ST_SU_SY_EESZ_S10_S11_S12_S16_S17_S18_S1B_S1C_jS1D_jS1E_S1E_jjS1G_bEUljE0_EEESZ_S10_S11_S18_S1C_S1E_T6_T7_T9_mT8_S1G_bDpT10_ENKUlT_T0_E_clISt17integral_constantIbLb1EES1U_EEDaS1P_S1Q_EUlS1P_E_NS1_11comp_targetILNS1_3genE3ELNS1_11target_archE908ELNS1_3gpuE7ELNS1_3repE0EEENS1_30default_config_static_selectorELNS0_4arch9wavefront6targetE0EEEvS12_
    .private_segment_fixed_size: 0
    .sgpr_count:     0
    .sgpr_spill_count: 0
    .symbol:         _ZN7rocprim17ROCPRIM_400000_NS6detail17trampoline_kernelINS0_13select_configILj256ELj13ELNS0_17block_load_methodE3ELS4_3ELS4_3ELNS0_20block_scan_algorithmE0ELj4294967295EEENS1_25partition_config_selectorILNS1_17partition_subalgoE4EjNS0_10empty_typeEbEEZZNS1_14partition_implILS8_4ELb0ES6_15HIP_vector_typeIjLj2EENS0_17counting_iteratorIjlEEPS9_SG_NS0_5tupleIJPjSI_NS0_16reverse_iteratorISI_EEEEENSH_IJSG_SG_SG_EEES9_SI_JZNS1_25segmented_radix_sort_implINS0_14default_configELb0EPKiPiPKlPlN2at6native12_GLOBAL__N_18offset_tEEE10hipError_tPvRmT1_PNSt15iterator_traitsIS12_E10value_typeET2_T3_PNS13_IS18_E10value_typeET4_jRbjT5_S1E_jjP12ihipStream_tbEUljE_ZNSN_ISO_Lb0ESQ_SR_ST_SU_SY_EESZ_S10_S11_S12_S16_S17_S18_S1B_S1C_jS1D_jS1E_S1E_jjS1G_bEUljE0_EEESZ_S10_S11_S18_S1C_S1E_T6_T7_T9_mT8_S1G_bDpT10_ENKUlT_T0_E_clISt17integral_constantIbLb1EES1U_EEDaS1P_S1Q_EUlS1P_E_NS1_11comp_targetILNS1_3genE3ELNS1_11target_archE908ELNS1_3gpuE7ELNS1_3repE0EEENS1_30default_config_static_selectorELNS0_4arch9wavefront6targetE0EEEvS12_.kd
    .uniform_work_group_size: 1
    .uses_dynamic_stack: false
    .vgpr_count:     0
    .vgpr_spill_count: 0
    .wavefront_size: 32
    .workgroup_processor_mode: 1
  - .args:
      - .offset:         0
        .size:           184
        .value_kind:     by_value
    .group_segment_fixed_size: 0
    .kernarg_segment_align: 8
    .kernarg_segment_size: 184
    .language:       OpenCL C
    .language_version:
      - 2
      - 0
    .max_flat_workgroup_size: 256
    .name:           _ZN7rocprim17ROCPRIM_400000_NS6detail17trampoline_kernelINS0_13select_configILj256ELj13ELNS0_17block_load_methodE3ELS4_3ELS4_3ELNS0_20block_scan_algorithmE0ELj4294967295EEENS1_25partition_config_selectorILNS1_17partition_subalgoE4EjNS0_10empty_typeEbEEZZNS1_14partition_implILS8_4ELb0ES6_15HIP_vector_typeIjLj2EENS0_17counting_iteratorIjlEEPS9_SG_NS0_5tupleIJPjSI_NS0_16reverse_iteratorISI_EEEEENSH_IJSG_SG_SG_EEES9_SI_JZNS1_25segmented_radix_sort_implINS0_14default_configELb0EPKiPiPKlPlN2at6native12_GLOBAL__N_18offset_tEEE10hipError_tPvRmT1_PNSt15iterator_traitsIS12_E10value_typeET2_T3_PNS13_IS18_E10value_typeET4_jRbjT5_S1E_jjP12ihipStream_tbEUljE_ZNSN_ISO_Lb0ESQ_SR_ST_SU_SY_EESZ_S10_S11_S12_S16_S17_S18_S1B_S1C_jS1D_jS1E_S1E_jjS1G_bEUljE0_EEESZ_S10_S11_S18_S1C_S1E_T6_T7_T9_mT8_S1G_bDpT10_ENKUlT_T0_E_clISt17integral_constantIbLb1EES1U_EEDaS1P_S1Q_EUlS1P_E_NS1_11comp_targetILNS1_3genE2ELNS1_11target_archE906ELNS1_3gpuE6ELNS1_3repE0EEENS1_30default_config_static_selectorELNS0_4arch9wavefront6targetE0EEEvS12_
    .private_segment_fixed_size: 0
    .sgpr_count:     0
    .sgpr_spill_count: 0
    .symbol:         _ZN7rocprim17ROCPRIM_400000_NS6detail17trampoline_kernelINS0_13select_configILj256ELj13ELNS0_17block_load_methodE3ELS4_3ELS4_3ELNS0_20block_scan_algorithmE0ELj4294967295EEENS1_25partition_config_selectorILNS1_17partition_subalgoE4EjNS0_10empty_typeEbEEZZNS1_14partition_implILS8_4ELb0ES6_15HIP_vector_typeIjLj2EENS0_17counting_iteratorIjlEEPS9_SG_NS0_5tupleIJPjSI_NS0_16reverse_iteratorISI_EEEEENSH_IJSG_SG_SG_EEES9_SI_JZNS1_25segmented_radix_sort_implINS0_14default_configELb0EPKiPiPKlPlN2at6native12_GLOBAL__N_18offset_tEEE10hipError_tPvRmT1_PNSt15iterator_traitsIS12_E10value_typeET2_T3_PNS13_IS18_E10value_typeET4_jRbjT5_S1E_jjP12ihipStream_tbEUljE_ZNSN_ISO_Lb0ESQ_SR_ST_SU_SY_EESZ_S10_S11_S12_S16_S17_S18_S1B_S1C_jS1D_jS1E_S1E_jjS1G_bEUljE0_EEESZ_S10_S11_S18_S1C_S1E_T6_T7_T9_mT8_S1G_bDpT10_ENKUlT_T0_E_clISt17integral_constantIbLb1EES1U_EEDaS1P_S1Q_EUlS1P_E_NS1_11comp_targetILNS1_3genE2ELNS1_11target_archE906ELNS1_3gpuE6ELNS1_3repE0EEENS1_30default_config_static_selectorELNS0_4arch9wavefront6targetE0EEEvS12_.kd
    .uniform_work_group_size: 1
    .uses_dynamic_stack: false
    .vgpr_count:     0
    .vgpr_spill_count: 0
    .wavefront_size: 32
    .workgroup_processor_mode: 1
  - .args:
      - .offset:         0
        .size:           184
        .value_kind:     by_value
    .group_segment_fixed_size: 0
    .kernarg_segment_align: 8
    .kernarg_segment_size: 184
    .language:       OpenCL C
    .language_version:
      - 2
      - 0
    .max_flat_workgroup_size: 256
    .name:           _ZN7rocprim17ROCPRIM_400000_NS6detail17trampoline_kernelINS0_13select_configILj256ELj13ELNS0_17block_load_methodE3ELS4_3ELS4_3ELNS0_20block_scan_algorithmE0ELj4294967295EEENS1_25partition_config_selectorILNS1_17partition_subalgoE4EjNS0_10empty_typeEbEEZZNS1_14partition_implILS8_4ELb0ES6_15HIP_vector_typeIjLj2EENS0_17counting_iteratorIjlEEPS9_SG_NS0_5tupleIJPjSI_NS0_16reverse_iteratorISI_EEEEENSH_IJSG_SG_SG_EEES9_SI_JZNS1_25segmented_radix_sort_implINS0_14default_configELb0EPKiPiPKlPlN2at6native12_GLOBAL__N_18offset_tEEE10hipError_tPvRmT1_PNSt15iterator_traitsIS12_E10value_typeET2_T3_PNS13_IS18_E10value_typeET4_jRbjT5_S1E_jjP12ihipStream_tbEUljE_ZNSN_ISO_Lb0ESQ_SR_ST_SU_SY_EESZ_S10_S11_S12_S16_S17_S18_S1B_S1C_jS1D_jS1E_S1E_jjS1G_bEUljE0_EEESZ_S10_S11_S18_S1C_S1E_T6_T7_T9_mT8_S1G_bDpT10_ENKUlT_T0_E_clISt17integral_constantIbLb1EES1U_EEDaS1P_S1Q_EUlS1P_E_NS1_11comp_targetILNS1_3genE10ELNS1_11target_archE1200ELNS1_3gpuE4ELNS1_3repE0EEENS1_30default_config_static_selectorELNS0_4arch9wavefront6targetE0EEEvS12_
    .private_segment_fixed_size: 0
    .sgpr_count:     0
    .sgpr_spill_count: 0
    .symbol:         _ZN7rocprim17ROCPRIM_400000_NS6detail17trampoline_kernelINS0_13select_configILj256ELj13ELNS0_17block_load_methodE3ELS4_3ELS4_3ELNS0_20block_scan_algorithmE0ELj4294967295EEENS1_25partition_config_selectorILNS1_17partition_subalgoE4EjNS0_10empty_typeEbEEZZNS1_14partition_implILS8_4ELb0ES6_15HIP_vector_typeIjLj2EENS0_17counting_iteratorIjlEEPS9_SG_NS0_5tupleIJPjSI_NS0_16reverse_iteratorISI_EEEEENSH_IJSG_SG_SG_EEES9_SI_JZNS1_25segmented_radix_sort_implINS0_14default_configELb0EPKiPiPKlPlN2at6native12_GLOBAL__N_18offset_tEEE10hipError_tPvRmT1_PNSt15iterator_traitsIS12_E10value_typeET2_T3_PNS13_IS18_E10value_typeET4_jRbjT5_S1E_jjP12ihipStream_tbEUljE_ZNSN_ISO_Lb0ESQ_SR_ST_SU_SY_EESZ_S10_S11_S12_S16_S17_S18_S1B_S1C_jS1D_jS1E_S1E_jjS1G_bEUljE0_EEESZ_S10_S11_S18_S1C_S1E_T6_T7_T9_mT8_S1G_bDpT10_ENKUlT_T0_E_clISt17integral_constantIbLb1EES1U_EEDaS1P_S1Q_EUlS1P_E_NS1_11comp_targetILNS1_3genE10ELNS1_11target_archE1200ELNS1_3gpuE4ELNS1_3repE0EEENS1_30default_config_static_selectorELNS0_4arch9wavefront6targetE0EEEvS12_.kd
    .uniform_work_group_size: 1
    .uses_dynamic_stack: false
    .vgpr_count:     0
    .vgpr_spill_count: 0
    .wavefront_size: 32
    .workgroup_processor_mode: 1
  - .args:
      - .offset:         0
        .size:           184
        .value_kind:     by_value
    .group_segment_fixed_size: 0
    .kernarg_segment_align: 8
    .kernarg_segment_size: 184
    .language:       OpenCL C
    .language_version:
      - 2
      - 0
    .max_flat_workgroup_size: 256
    .name:           _ZN7rocprim17ROCPRIM_400000_NS6detail17trampoline_kernelINS0_13select_configILj256ELj13ELNS0_17block_load_methodE3ELS4_3ELS4_3ELNS0_20block_scan_algorithmE0ELj4294967295EEENS1_25partition_config_selectorILNS1_17partition_subalgoE4EjNS0_10empty_typeEbEEZZNS1_14partition_implILS8_4ELb0ES6_15HIP_vector_typeIjLj2EENS0_17counting_iteratorIjlEEPS9_SG_NS0_5tupleIJPjSI_NS0_16reverse_iteratorISI_EEEEENSH_IJSG_SG_SG_EEES9_SI_JZNS1_25segmented_radix_sort_implINS0_14default_configELb0EPKiPiPKlPlN2at6native12_GLOBAL__N_18offset_tEEE10hipError_tPvRmT1_PNSt15iterator_traitsIS12_E10value_typeET2_T3_PNS13_IS18_E10value_typeET4_jRbjT5_S1E_jjP12ihipStream_tbEUljE_ZNSN_ISO_Lb0ESQ_SR_ST_SU_SY_EESZ_S10_S11_S12_S16_S17_S18_S1B_S1C_jS1D_jS1E_S1E_jjS1G_bEUljE0_EEESZ_S10_S11_S18_S1C_S1E_T6_T7_T9_mT8_S1G_bDpT10_ENKUlT_T0_E_clISt17integral_constantIbLb1EES1U_EEDaS1P_S1Q_EUlS1P_E_NS1_11comp_targetILNS1_3genE9ELNS1_11target_archE1100ELNS1_3gpuE3ELNS1_3repE0EEENS1_30default_config_static_selectorELNS0_4arch9wavefront6targetE0EEEvS12_
    .private_segment_fixed_size: 0
    .sgpr_count:     0
    .sgpr_spill_count: 0
    .symbol:         _ZN7rocprim17ROCPRIM_400000_NS6detail17trampoline_kernelINS0_13select_configILj256ELj13ELNS0_17block_load_methodE3ELS4_3ELS4_3ELNS0_20block_scan_algorithmE0ELj4294967295EEENS1_25partition_config_selectorILNS1_17partition_subalgoE4EjNS0_10empty_typeEbEEZZNS1_14partition_implILS8_4ELb0ES6_15HIP_vector_typeIjLj2EENS0_17counting_iteratorIjlEEPS9_SG_NS0_5tupleIJPjSI_NS0_16reverse_iteratorISI_EEEEENSH_IJSG_SG_SG_EEES9_SI_JZNS1_25segmented_radix_sort_implINS0_14default_configELb0EPKiPiPKlPlN2at6native12_GLOBAL__N_18offset_tEEE10hipError_tPvRmT1_PNSt15iterator_traitsIS12_E10value_typeET2_T3_PNS13_IS18_E10value_typeET4_jRbjT5_S1E_jjP12ihipStream_tbEUljE_ZNSN_ISO_Lb0ESQ_SR_ST_SU_SY_EESZ_S10_S11_S12_S16_S17_S18_S1B_S1C_jS1D_jS1E_S1E_jjS1G_bEUljE0_EEESZ_S10_S11_S18_S1C_S1E_T6_T7_T9_mT8_S1G_bDpT10_ENKUlT_T0_E_clISt17integral_constantIbLb1EES1U_EEDaS1P_S1Q_EUlS1P_E_NS1_11comp_targetILNS1_3genE9ELNS1_11target_archE1100ELNS1_3gpuE3ELNS1_3repE0EEENS1_30default_config_static_selectorELNS0_4arch9wavefront6targetE0EEEvS12_.kd
    .uniform_work_group_size: 1
    .uses_dynamic_stack: false
    .vgpr_count:     0
    .vgpr_spill_count: 0
    .wavefront_size: 32
    .workgroup_processor_mode: 1
  - .args:
      - .offset:         0
        .size:           184
        .value_kind:     by_value
    .group_segment_fixed_size: 0
    .kernarg_segment_align: 8
    .kernarg_segment_size: 184
    .language:       OpenCL C
    .language_version:
      - 2
      - 0
    .max_flat_workgroup_size: 256
    .name:           _ZN7rocprim17ROCPRIM_400000_NS6detail17trampoline_kernelINS0_13select_configILj256ELj13ELNS0_17block_load_methodE3ELS4_3ELS4_3ELNS0_20block_scan_algorithmE0ELj4294967295EEENS1_25partition_config_selectorILNS1_17partition_subalgoE4EjNS0_10empty_typeEbEEZZNS1_14partition_implILS8_4ELb0ES6_15HIP_vector_typeIjLj2EENS0_17counting_iteratorIjlEEPS9_SG_NS0_5tupleIJPjSI_NS0_16reverse_iteratorISI_EEEEENSH_IJSG_SG_SG_EEES9_SI_JZNS1_25segmented_radix_sort_implINS0_14default_configELb0EPKiPiPKlPlN2at6native12_GLOBAL__N_18offset_tEEE10hipError_tPvRmT1_PNSt15iterator_traitsIS12_E10value_typeET2_T3_PNS13_IS18_E10value_typeET4_jRbjT5_S1E_jjP12ihipStream_tbEUljE_ZNSN_ISO_Lb0ESQ_SR_ST_SU_SY_EESZ_S10_S11_S12_S16_S17_S18_S1B_S1C_jS1D_jS1E_S1E_jjS1G_bEUljE0_EEESZ_S10_S11_S18_S1C_S1E_T6_T7_T9_mT8_S1G_bDpT10_ENKUlT_T0_E_clISt17integral_constantIbLb1EES1U_EEDaS1P_S1Q_EUlS1P_E_NS1_11comp_targetILNS1_3genE8ELNS1_11target_archE1030ELNS1_3gpuE2ELNS1_3repE0EEENS1_30default_config_static_selectorELNS0_4arch9wavefront6targetE0EEEvS12_
    .private_segment_fixed_size: 0
    .sgpr_count:     0
    .sgpr_spill_count: 0
    .symbol:         _ZN7rocprim17ROCPRIM_400000_NS6detail17trampoline_kernelINS0_13select_configILj256ELj13ELNS0_17block_load_methodE3ELS4_3ELS4_3ELNS0_20block_scan_algorithmE0ELj4294967295EEENS1_25partition_config_selectorILNS1_17partition_subalgoE4EjNS0_10empty_typeEbEEZZNS1_14partition_implILS8_4ELb0ES6_15HIP_vector_typeIjLj2EENS0_17counting_iteratorIjlEEPS9_SG_NS0_5tupleIJPjSI_NS0_16reverse_iteratorISI_EEEEENSH_IJSG_SG_SG_EEES9_SI_JZNS1_25segmented_radix_sort_implINS0_14default_configELb0EPKiPiPKlPlN2at6native12_GLOBAL__N_18offset_tEEE10hipError_tPvRmT1_PNSt15iterator_traitsIS12_E10value_typeET2_T3_PNS13_IS18_E10value_typeET4_jRbjT5_S1E_jjP12ihipStream_tbEUljE_ZNSN_ISO_Lb0ESQ_SR_ST_SU_SY_EESZ_S10_S11_S12_S16_S17_S18_S1B_S1C_jS1D_jS1E_S1E_jjS1G_bEUljE0_EEESZ_S10_S11_S18_S1C_S1E_T6_T7_T9_mT8_S1G_bDpT10_ENKUlT_T0_E_clISt17integral_constantIbLb1EES1U_EEDaS1P_S1Q_EUlS1P_E_NS1_11comp_targetILNS1_3genE8ELNS1_11target_archE1030ELNS1_3gpuE2ELNS1_3repE0EEENS1_30default_config_static_selectorELNS0_4arch9wavefront6targetE0EEEvS12_.kd
    .uniform_work_group_size: 1
    .uses_dynamic_stack: false
    .vgpr_count:     0
    .vgpr_spill_count: 0
    .wavefront_size: 32
    .workgroup_processor_mode: 1
  - .args:
      - .offset:         0
        .size:           176
        .value_kind:     by_value
    .group_segment_fixed_size: 0
    .kernarg_segment_align: 8
    .kernarg_segment_size: 176
    .language:       OpenCL C
    .language_version:
      - 2
      - 0
    .max_flat_workgroup_size: 256
    .name:           _ZN7rocprim17ROCPRIM_400000_NS6detail17trampoline_kernelINS0_13select_configILj256ELj13ELNS0_17block_load_methodE3ELS4_3ELS4_3ELNS0_20block_scan_algorithmE0ELj4294967295EEENS1_25partition_config_selectorILNS1_17partition_subalgoE4EjNS0_10empty_typeEbEEZZNS1_14partition_implILS8_4ELb0ES6_15HIP_vector_typeIjLj2EENS0_17counting_iteratorIjlEEPS9_SG_NS0_5tupleIJPjSI_NS0_16reverse_iteratorISI_EEEEENSH_IJSG_SG_SG_EEES9_SI_JZNS1_25segmented_radix_sort_implINS0_14default_configELb0EPKiPiPKlPlN2at6native12_GLOBAL__N_18offset_tEEE10hipError_tPvRmT1_PNSt15iterator_traitsIS12_E10value_typeET2_T3_PNS13_IS18_E10value_typeET4_jRbjT5_S1E_jjP12ihipStream_tbEUljE_ZNSN_ISO_Lb0ESQ_SR_ST_SU_SY_EESZ_S10_S11_S12_S16_S17_S18_S1B_S1C_jS1D_jS1E_S1E_jjS1G_bEUljE0_EEESZ_S10_S11_S18_S1C_S1E_T6_T7_T9_mT8_S1G_bDpT10_ENKUlT_T0_E_clISt17integral_constantIbLb1EES1T_IbLb0EEEEDaS1P_S1Q_EUlS1P_E_NS1_11comp_targetILNS1_3genE0ELNS1_11target_archE4294967295ELNS1_3gpuE0ELNS1_3repE0EEENS1_30default_config_static_selectorELNS0_4arch9wavefront6targetE0EEEvS12_
    .private_segment_fixed_size: 0
    .sgpr_count:     0
    .sgpr_spill_count: 0
    .symbol:         _ZN7rocprim17ROCPRIM_400000_NS6detail17trampoline_kernelINS0_13select_configILj256ELj13ELNS0_17block_load_methodE3ELS4_3ELS4_3ELNS0_20block_scan_algorithmE0ELj4294967295EEENS1_25partition_config_selectorILNS1_17partition_subalgoE4EjNS0_10empty_typeEbEEZZNS1_14partition_implILS8_4ELb0ES6_15HIP_vector_typeIjLj2EENS0_17counting_iteratorIjlEEPS9_SG_NS0_5tupleIJPjSI_NS0_16reverse_iteratorISI_EEEEENSH_IJSG_SG_SG_EEES9_SI_JZNS1_25segmented_radix_sort_implINS0_14default_configELb0EPKiPiPKlPlN2at6native12_GLOBAL__N_18offset_tEEE10hipError_tPvRmT1_PNSt15iterator_traitsIS12_E10value_typeET2_T3_PNS13_IS18_E10value_typeET4_jRbjT5_S1E_jjP12ihipStream_tbEUljE_ZNSN_ISO_Lb0ESQ_SR_ST_SU_SY_EESZ_S10_S11_S12_S16_S17_S18_S1B_S1C_jS1D_jS1E_S1E_jjS1G_bEUljE0_EEESZ_S10_S11_S18_S1C_S1E_T6_T7_T9_mT8_S1G_bDpT10_ENKUlT_T0_E_clISt17integral_constantIbLb1EES1T_IbLb0EEEEDaS1P_S1Q_EUlS1P_E_NS1_11comp_targetILNS1_3genE0ELNS1_11target_archE4294967295ELNS1_3gpuE0ELNS1_3repE0EEENS1_30default_config_static_selectorELNS0_4arch9wavefront6targetE0EEEvS12_.kd
    .uniform_work_group_size: 1
    .uses_dynamic_stack: false
    .vgpr_count:     0
    .vgpr_spill_count: 0
    .wavefront_size: 32
    .workgroup_processor_mode: 1
  - .args:
      - .offset:         0
        .size:           176
        .value_kind:     by_value
    .group_segment_fixed_size: 0
    .kernarg_segment_align: 8
    .kernarg_segment_size: 176
    .language:       OpenCL C
    .language_version:
      - 2
      - 0
    .max_flat_workgroup_size: 256
    .name:           _ZN7rocprim17ROCPRIM_400000_NS6detail17trampoline_kernelINS0_13select_configILj256ELj13ELNS0_17block_load_methodE3ELS4_3ELS4_3ELNS0_20block_scan_algorithmE0ELj4294967295EEENS1_25partition_config_selectorILNS1_17partition_subalgoE4EjNS0_10empty_typeEbEEZZNS1_14partition_implILS8_4ELb0ES6_15HIP_vector_typeIjLj2EENS0_17counting_iteratorIjlEEPS9_SG_NS0_5tupleIJPjSI_NS0_16reverse_iteratorISI_EEEEENSH_IJSG_SG_SG_EEES9_SI_JZNS1_25segmented_radix_sort_implINS0_14default_configELb0EPKiPiPKlPlN2at6native12_GLOBAL__N_18offset_tEEE10hipError_tPvRmT1_PNSt15iterator_traitsIS12_E10value_typeET2_T3_PNS13_IS18_E10value_typeET4_jRbjT5_S1E_jjP12ihipStream_tbEUljE_ZNSN_ISO_Lb0ESQ_SR_ST_SU_SY_EESZ_S10_S11_S12_S16_S17_S18_S1B_S1C_jS1D_jS1E_S1E_jjS1G_bEUljE0_EEESZ_S10_S11_S18_S1C_S1E_T6_T7_T9_mT8_S1G_bDpT10_ENKUlT_T0_E_clISt17integral_constantIbLb1EES1T_IbLb0EEEEDaS1P_S1Q_EUlS1P_E_NS1_11comp_targetILNS1_3genE5ELNS1_11target_archE942ELNS1_3gpuE9ELNS1_3repE0EEENS1_30default_config_static_selectorELNS0_4arch9wavefront6targetE0EEEvS12_
    .private_segment_fixed_size: 0
    .sgpr_count:     0
    .sgpr_spill_count: 0
    .symbol:         _ZN7rocprim17ROCPRIM_400000_NS6detail17trampoline_kernelINS0_13select_configILj256ELj13ELNS0_17block_load_methodE3ELS4_3ELS4_3ELNS0_20block_scan_algorithmE0ELj4294967295EEENS1_25partition_config_selectorILNS1_17partition_subalgoE4EjNS0_10empty_typeEbEEZZNS1_14partition_implILS8_4ELb0ES6_15HIP_vector_typeIjLj2EENS0_17counting_iteratorIjlEEPS9_SG_NS0_5tupleIJPjSI_NS0_16reverse_iteratorISI_EEEEENSH_IJSG_SG_SG_EEES9_SI_JZNS1_25segmented_radix_sort_implINS0_14default_configELb0EPKiPiPKlPlN2at6native12_GLOBAL__N_18offset_tEEE10hipError_tPvRmT1_PNSt15iterator_traitsIS12_E10value_typeET2_T3_PNS13_IS18_E10value_typeET4_jRbjT5_S1E_jjP12ihipStream_tbEUljE_ZNSN_ISO_Lb0ESQ_SR_ST_SU_SY_EESZ_S10_S11_S12_S16_S17_S18_S1B_S1C_jS1D_jS1E_S1E_jjS1G_bEUljE0_EEESZ_S10_S11_S18_S1C_S1E_T6_T7_T9_mT8_S1G_bDpT10_ENKUlT_T0_E_clISt17integral_constantIbLb1EES1T_IbLb0EEEEDaS1P_S1Q_EUlS1P_E_NS1_11comp_targetILNS1_3genE5ELNS1_11target_archE942ELNS1_3gpuE9ELNS1_3repE0EEENS1_30default_config_static_selectorELNS0_4arch9wavefront6targetE0EEEvS12_.kd
    .uniform_work_group_size: 1
    .uses_dynamic_stack: false
    .vgpr_count:     0
    .vgpr_spill_count: 0
    .wavefront_size: 32
    .workgroup_processor_mode: 1
  - .args:
      - .offset:         0
        .size:           176
        .value_kind:     by_value
    .group_segment_fixed_size: 0
    .kernarg_segment_align: 8
    .kernarg_segment_size: 176
    .language:       OpenCL C
    .language_version:
      - 2
      - 0
    .max_flat_workgroup_size: 256
    .name:           _ZN7rocprim17ROCPRIM_400000_NS6detail17trampoline_kernelINS0_13select_configILj256ELj13ELNS0_17block_load_methodE3ELS4_3ELS4_3ELNS0_20block_scan_algorithmE0ELj4294967295EEENS1_25partition_config_selectorILNS1_17partition_subalgoE4EjNS0_10empty_typeEbEEZZNS1_14partition_implILS8_4ELb0ES6_15HIP_vector_typeIjLj2EENS0_17counting_iteratorIjlEEPS9_SG_NS0_5tupleIJPjSI_NS0_16reverse_iteratorISI_EEEEENSH_IJSG_SG_SG_EEES9_SI_JZNS1_25segmented_radix_sort_implINS0_14default_configELb0EPKiPiPKlPlN2at6native12_GLOBAL__N_18offset_tEEE10hipError_tPvRmT1_PNSt15iterator_traitsIS12_E10value_typeET2_T3_PNS13_IS18_E10value_typeET4_jRbjT5_S1E_jjP12ihipStream_tbEUljE_ZNSN_ISO_Lb0ESQ_SR_ST_SU_SY_EESZ_S10_S11_S12_S16_S17_S18_S1B_S1C_jS1D_jS1E_S1E_jjS1G_bEUljE0_EEESZ_S10_S11_S18_S1C_S1E_T6_T7_T9_mT8_S1G_bDpT10_ENKUlT_T0_E_clISt17integral_constantIbLb1EES1T_IbLb0EEEEDaS1P_S1Q_EUlS1P_E_NS1_11comp_targetILNS1_3genE4ELNS1_11target_archE910ELNS1_3gpuE8ELNS1_3repE0EEENS1_30default_config_static_selectorELNS0_4arch9wavefront6targetE0EEEvS12_
    .private_segment_fixed_size: 0
    .sgpr_count:     0
    .sgpr_spill_count: 0
    .symbol:         _ZN7rocprim17ROCPRIM_400000_NS6detail17trampoline_kernelINS0_13select_configILj256ELj13ELNS0_17block_load_methodE3ELS4_3ELS4_3ELNS0_20block_scan_algorithmE0ELj4294967295EEENS1_25partition_config_selectorILNS1_17partition_subalgoE4EjNS0_10empty_typeEbEEZZNS1_14partition_implILS8_4ELb0ES6_15HIP_vector_typeIjLj2EENS0_17counting_iteratorIjlEEPS9_SG_NS0_5tupleIJPjSI_NS0_16reverse_iteratorISI_EEEEENSH_IJSG_SG_SG_EEES9_SI_JZNS1_25segmented_radix_sort_implINS0_14default_configELb0EPKiPiPKlPlN2at6native12_GLOBAL__N_18offset_tEEE10hipError_tPvRmT1_PNSt15iterator_traitsIS12_E10value_typeET2_T3_PNS13_IS18_E10value_typeET4_jRbjT5_S1E_jjP12ihipStream_tbEUljE_ZNSN_ISO_Lb0ESQ_SR_ST_SU_SY_EESZ_S10_S11_S12_S16_S17_S18_S1B_S1C_jS1D_jS1E_S1E_jjS1G_bEUljE0_EEESZ_S10_S11_S18_S1C_S1E_T6_T7_T9_mT8_S1G_bDpT10_ENKUlT_T0_E_clISt17integral_constantIbLb1EES1T_IbLb0EEEEDaS1P_S1Q_EUlS1P_E_NS1_11comp_targetILNS1_3genE4ELNS1_11target_archE910ELNS1_3gpuE8ELNS1_3repE0EEENS1_30default_config_static_selectorELNS0_4arch9wavefront6targetE0EEEvS12_.kd
    .uniform_work_group_size: 1
    .uses_dynamic_stack: false
    .vgpr_count:     0
    .vgpr_spill_count: 0
    .wavefront_size: 32
    .workgroup_processor_mode: 1
  - .args:
      - .offset:         0
        .size:           176
        .value_kind:     by_value
    .group_segment_fixed_size: 0
    .kernarg_segment_align: 8
    .kernarg_segment_size: 176
    .language:       OpenCL C
    .language_version:
      - 2
      - 0
    .max_flat_workgroup_size: 256
    .name:           _ZN7rocprim17ROCPRIM_400000_NS6detail17trampoline_kernelINS0_13select_configILj256ELj13ELNS0_17block_load_methodE3ELS4_3ELS4_3ELNS0_20block_scan_algorithmE0ELj4294967295EEENS1_25partition_config_selectorILNS1_17partition_subalgoE4EjNS0_10empty_typeEbEEZZNS1_14partition_implILS8_4ELb0ES6_15HIP_vector_typeIjLj2EENS0_17counting_iteratorIjlEEPS9_SG_NS0_5tupleIJPjSI_NS0_16reverse_iteratorISI_EEEEENSH_IJSG_SG_SG_EEES9_SI_JZNS1_25segmented_radix_sort_implINS0_14default_configELb0EPKiPiPKlPlN2at6native12_GLOBAL__N_18offset_tEEE10hipError_tPvRmT1_PNSt15iterator_traitsIS12_E10value_typeET2_T3_PNS13_IS18_E10value_typeET4_jRbjT5_S1E_jjP12ihipStream_tbEUljE_ZNSN_ISO_Lb0ESQ_SR_ST_SU_SY_EESZ_S10_S11_S12_S16_S17_S18_S1B_S1C_jS1D_jS1E_S1E_jjS1G_bEUljE0_EEESZ_S10_S11_S18_S1C_S1E_T6_T7_T9_mT8_S1G_bDpT10_ENKUlT_T0_E_clISt17integral_constantIbLb1EES1T_IbLb0EEEEDaS1P_S1Q_EUlS1P_E_NS1_11comp_targetILNS1_3genE3ELNS1_11target_archE908ELNS1_3gpuE7ELNS1_3repE0EEENS1_30default_config_static_selectorELNS0_4arch9wavefront6targetE0EEEvS12_
    .private_segment_fixed_size: 0
    .sgpr_count:     0
    .sgpr_spill_count: 0
    .symbol:         _ZN7rocprim17ROCPRIM_400000_NS6detail17trampoline_kernelINS0_13select_configILj256ELj13ELNS0_17block_load_methodE3ELS4_3ELS4_3ELNS0_20block_scan_algorithmE0ELj4294967295EEENS1_25partition_config_selectorILNS1_17partition_subalgoE4EjNS0_10empty_typeEbEEZZNS1_14partition_implILS8_4ELb0ES6_15HIP_vector_typeIjLj2EENS0_17counting_iteratorIjlEEPS9_SG_NS0_5tupleIJPjSI_NS0_16reverse_iteratorISI_EEEEENSH_IJSG_SG_SG_EEES9_SI_JZNS1_25segmented_radix_sort_implINS0_14default_configELb0EPKiPiPKlPlN2at6native12_GLOBAL__N_18offset_tEEE10hipError_tPvRmT1_PNSt15iterator_traitsIS12_E10value_typeET2_T3_PNS13_IS18_E10value_typeET4_jRbjT5_S1E_jjP12ihipStream_tbEUljE_ZNSN_ISO_Lb0ESQ_SR_ST_SU_SY_EESZ_S10_S11_S12_S16_S17_S18_S1B_S1C_jS1D_jS1E_S1E_jjS1G_bEUljE0_EEESZ_S10_S11_S18_S1C_S1E_T6_T7_T9_mT8_S1G_bDpT10_ENKUlT_T0_E_clISt17integral_constantIbLb1EES1T_IbLb0EEEEDaS1P_S1Q_EUlS1P_E_NS1_11comp_targetILNS1_3genE3ELNS1_11target_archE908ELNS1_3gpuE7ELNS1_3repE0EEENS1_30default_config_static_selectorELNS0_4arch9wavefront6targetE0EEEvS12_.kd
    .uniform_work_group_size: 1
    .uses_dynamic_stack: false
    .vgpr_count:     0
    .vgpr_spill_count: 0
    .wavefront_size: 32
    .workgroup_processor_mode: 1
  - .args:
      - .offset:         0
        .size:           176
        .value_kind:     by_value
    .group_segment_fixed_size: 0
    .kernarg_segment_align: 8
    .kernarg_segment_size: 176
    .language:       OpenCL C
    .language_version:
      - 2
      - 0
    .max_flat_workgroup_size: 256
    .name:           _ZN7rocprim17ROCPRIM_400000_NS6detail17trampoline_kernelINS0_13select_configILj256ELj13ELNS0_17block_load_methodE3ELS4_3ELS4_3ELNS0_20block_scan_algorithmE0ELj4294967295EEENS1_25partition_config_selectorILNS1_17partition_subalgoE4EjNS0_10empty_typeEbEEZZNS1_14partition_implILS8_4ELb0ES6_15HIP_vector_typeIjLj2EENS0_17counting_iteratorIjlEEPS9_SG_NS0_5tupleIJPjSI_NS0_16reverse_iteratorISI_EEEEENSH_IJSG_SG_SG_EEES9_SI_JZNS1_25segmented_radix_sort_implINS0_14default_configELb0EPKiPiPKlPlN2at6native12_GLOBAL__N_18offset_tEEE10hipError_tPvRmT1_PNSt15iterator_traitsIS12_E10value_typeET2_T3_PNS13_IS18_E10value_typeET4_jRbjT5_S1E_jjP12ihipStream_tbEUljE_ZNSN_ISO_Lb0ESQ_SR_ST_SU_SY_EESZ_S10_S11_S12_S16_S17_S18_S1B_S1C_jS1D_jS1E_S1E_jjS1G_bEUljE0_EEESZ_S10_S11_S18_S1C_S1E_T6_T7_T9_mT8_S1G_bDpT10_ENKUlT_T0_E_clISt17integral_constantIbLb1EES1T_IbLb0EEEEDaS1P_S1Q_EUlS1P_E_NS1_11comp_targetILNS1_3genE2ELNS1_11target_archE906ELNS1_3gpuE6ELNS1_3repE0EEENS1_30default_config_static_selectorELNS0_4arch9wavefront6targetE0EEEvS12_
    .private_segment_fixed_size: 0
    .sgpr_count:     0
    .sgpr_spill_count: 0
    .symbol:         _ZN7rocprim17ROCPRIM_400000_NS6detail17trampoline_kernelINS0_13select_configILj256ELj13ELNS0_17block_load_methodE3ELS4_3ELS4_3ELNS0_20block_scan_algorithmE0ELj4294967295EEENS1_25partition_config_selectorILNS1_17partition_subalgoE4EjNS0_10empty_typeEbEEZZNS1_14partition_implILS8_4ELb0ES6_15HIP_vector_typeIjLj2EENS0_17counting_iteratorIjlEEPS9_SG_NS0_5tupleIJPjSI_NS0_16reverse_iteratorISI_EEEEENSH_IJSG_SG_SG_EEES9_SI_JZNS1_25segmented_radix_sort_implINS0_14default_configELb0EPKiPiPKlPlN2at6native12_GLOBAL__N_18offset_tEEE10hipError_tPvRmT1_PNSt15iterator_traitsIS12_E10value_typeET2_T3_PNS13_IS18_E10value_typeET4_jRbjT5_S1E_jjP12ihipStream_tbEUljE_ZNSN_ISO_Lb0ESQ_SR_ST_SU_SY_EESZ_S10_S11_S12_S16_S17_S18_S1B_S1C_jS1D_jS1E_S1E_jjS1G_bEUljE0_EEESZ_S10_S11_S18_S1C_S1E_T6_T7_T9_mT8_S1G_bDpT10_ENKUlT_T0_E_clISt17integral_constantIbLb1EES1T_IbLb0EEEEDaS1P_S1Q_EUlS1P_E_NS1_11comp_targetILNS1_3genE2ELNS1_11target_archE906ELNS1_3gpuE6ELNS1_3repE0EEENS1_30default_config_static_selectorELNS0_4arch9wavefront6targetE0EEEvS12_.kd
    .uniform_work_group_size: 1
    .uses_dynamic_stack: false
    .vgpr_count:     0
    .vgpr_spill_count: 0
    .wavefront_size: 32
    .workgroup_processor_mode: 1
  - .args:
      - .offset:         0
        .size:           176
        .value_kind:     by_value
    .group_segment_fixed_size: 0
    .kernarg_segment_align: 8
    .kernarg_segment_size: 176
    .language:       OpenCL C
    .language_version:
      - 2
      - 0
    .max_flat_workgroup_size: 256
    .name:           _ZN7rocprim17ROCPRIM_400000_NS6detail17trampoline_kernelINS0_13select_configILj256ELj13ELNS0_17block_load_methodE3ELS4_3ELS4_3ELNS0_20block_scan_algorithmE0ELj4294967295EEENS1_25partition_config_selectorILNS1_17partition_subalgoE4EjNS0_10empty_typeEbEEZZNS1_14partition_implILS8_4ELb0ES6_15HIP_vector_typeIjLj2EENS0_17counting_iteratorIjlEEPS9_SG_NS0_5tupleIJPjSI_NS0_16reverse_iteratorISI_EEEEENSH_IJSG_SG_SG_EEES9_SI_JZNS1_25segmented_radix_sort_implINS0_14default_configELb0EPKiPiPKlPlN2at6native12_GLOBAL__N_18offset_tEEE10hipError_tPvRmT1_PNSt15iterator_traitsIS12_E10value_typeET2_T3_PNS13_IS18_E10value_typeET4_jRbjT5_S1E_jjP12ihipStream_tbEUljE_ZNSN_ISO_Lb0ESQ_SR_ST_SU_SY_EESZ_S10_S11_S12_S16_S17_S18_S1B_S1C_jS1D_jS1E_S1E_jjS1G_bEUljE0_EEESZ_S10_S11_S18_S1C_S1E_T6_T7_T9_mT8_S1G_bDpT10_ENKUlT_T0_E_clISt17integral_constantIbLb1EES1T_IbLb0EEEEDaS1P_S1Q_EUlS1P_E_NS1_11comp_targetILNS1_3genE10ELNS1_11target_archE1200ELNS1_3gpuE4ELNS1_3repE0EEENS1_30default_config_static_selectorELNS0_4arch9wavefront6targetE0EEEvS12_
    .private_segment_fixed_size: 0
    .sgpr_count:     0
    .sgpr_spill_count: 0
    .symbol:         _ZN7rocprim17ROCPRIM_400000_NS6detail17trampoline_kernelINS0_13select_configILj256ELj13ELNS0_17block_load_methodE3ELS4_3ELS4_3ELNS0_20block_scan_algorithmE0ELj4294967295EEENS1_25partition_config_selectorILNS1_17partition_subalgoE4EjNS0_10empty_typeEbEEZZNS1_14partition_implILS8_4ELb0ES6_15HIP_vector_typeIjLj2EENS0_17counting_iteratorIjlEEPS9_SG_NS0_5tupleIJPjSI_NS0_16reverse_iteratorISI_EEEEENSH_IJSG_SG_SG_EEES9_SI_JZNS1_25segmented_radix_sort_implINS0_14default_configELb0EPKiPiPKlPlN2at6native12_GLOBAL__N_18offset_tEEE10hipError_tPvRmT1_PNSt15iterator_traitsIS12_E10value_typeET2_T3_PNS13_IS18_E10value_typeET4_jRbjT5_S1E_jjP12ihipStream_tbEUljE_ZNSN_ISO_Lb0ESQ_SR_ST_SU_SY_EESZ_S10_S11_S12_S16_S17_S18_S1B_S1C_jS1D_jS1E_S1E_jjS1G_bEUljE0_EEESZ_S10_S11_S18_S1C_S1E_T6_T7_T9_mT8_S1G_bDpT10_ENKUlT_T0_E_clISt17integral_constantIbLb1EES1T_IbLb0EEEEDaS1P_S1Q_EUlS1P_E_NS1_11comp_targetILNS1_3genE10ELNS1_11target_archE1200ELNS1_3gpuE4ELNS1_3repE0EEENS1_30default_config_static_selectorELNS0_4arch9wavefront6targetE0EEEvS12_.kd
    .uniform_work_group_size: 1
    .uses_dynamic_stack: false
    .vgpr_count:     0
    .vgpr_spill_count: 0
    .wavefront_size: 32
    .workgroup_processor_mode: 1
  - .args:
      - .offset:         0
        .size:           176
        .value_kind:     by_value
    .group_segment_fixed_size: 0
    .kernarg_segment_align: 8
    .kernarg_segment_size: 176
    .language:       OpenCL C
    .language_version:
      - 2
      - 0
    .max_flat_workgroup_size: 256
    .name:           _ZN7rocprim17ROCPRIM_400000_NS6detail17trampoline_kernelINS0_13select_configILj256ELj13ELNS0_17block_load_methodE3ELS4_3ELS4_3ELNS0_20block_scan_algorithmE0ELj4294967295EEENS1_25partition_config_selectorILNS1_17partition_subalgoE4EjNS0_10empty_typeEbEEZZNS1_14partition_implILS8_4ELb0ES6_15HIP_vector_typeIjLj2EENS0_17counting_iteratorIjlEEPS9_SG_NS0_5tupleIJPjSI_NS0_16reverse_iteratorISI_EEEEENSH_IJSG_SG_SG_EEES9_SI_JZNS1_25segmented_radix_sort_implINS0_14default_configELb0EPKiPiPKlPlN2at6native12_GLOBAL__N_18offset_tEEE10hipError_tPvRmT1_PNSt15iterator_traitsIS12_E10value_typeET2_T3_PNS13_IS18_E10value_typeET4_jRbjT5_S1E_jjP12ihipStream_tbEUljE_ZNSN_ISO_Lb0ESQ_SR_ST_SU_SY_EESZ_S10_S11_S12_S16_S17_S18_S1B_S1C_jS1D_jS1E_S1E_jjS1G_bEUljE0_EEESZ_S10_S11_S18_S1C_S1E_T6_T7_T9_mT8_S1G_bDpT10_ENKUlT_T0_E_clISt17integral_constantIbLb1EES1T_IbLb0EEEEDaS1P_S1Q_EUlS1P_E_NS1_11comp_targetILNS1_3genE9ELNS1_11target_archE1100ELNS1_3gpuE3ELNS1_3repE0EEENS1_30default_config_static_selectorELNS0_4arch9wavefront6targetE0EEEvS12_
    .private_segment_fixed_size: 0
    .sgpr_count:     0
    .sgpr_spill_count: 0
    .symbol:         _ZN7rocprim17ROCPRIM_400000_NS6detail17trampoline_kernelINS0_13select_configILj256ELj13ELNS0_17block_load_methodE3ELS4_3ELS4_3ELNS0_20block_scan_algorithmE0ELj4294967295EEENS1_25partition_config_selectorILNS1_17partition_subalgoE4EjNS0_10empty_typeEbEEZZNS1_14partition_implILS8_4ELb0ES6_15HIP_vector_typeIjLj2EENS0_17counting_iteratorIjlEEPS9_SG_NS0_5tupleIJPjSI_NS0_16reverse_iteratorISI_EEEEENSH_IJSG_SG_SG_EEES9_SI_JZNS1_25segmented_radix_sort_implINS0_14default_configELb0EPKiPiPKlPlN2at6native12_GLOBAL__N_18offset_tEEE10hipError_tPvRmT1_PNSt15iterator_traitsIS12_E10value_typeET2_T3_PNS13_IS18_E10value_typeET4_jRbjT5_S1E_jjP12ihipStream_tbEUljE_ZNSN_ISO_Lb0ESQ_SR_ST_SU_SY_EESZ_S10_S11_S12_S16_S17_S18_S1B_S1C_jS1D_jS1E_S1E_jjS1G_bEUljE0_EEESZ_S10_S11_S18_S1C_S1E_T6_T7_T9_mT8_S1G_bDpT10_ENKUlT_T0_E_clISt17integral_constantIbLb1EES1T_IbLb0EEEEDaS1P_S1Q_EUlS1P_E_NS1_11comp_targetILNS1_3genE9ELNS1_11target_archE1100ELNS1_3gpuE3ELNS1_3repE0EEENS1_30default_config_static_selectorELNS0_4arch9wavefront6targetE0EEEvS12_.kd
    .uniform_work_group_size: 1
    .uses_dynamic_stack: false
    .vgpr_count:     0
    .vgpr_spill_count: 0
    .wavefront_size: 32
    .workgroup_processor_mode: 1
  - .args:
      - .offset:         0
        .size:           176
        .value_kind:     by_value
    .group_segment_fixed_size: 0
    .kernarg_segment_align: 8
    .kernarg_segment_size: 176
    .language:       OpenCL C
    .language_version:
      - 2
      - 0
    .max_flat_workgroup_size: 256
    .name:           _ZN7rocprim17ROCPRIM_400000_NS6detail17trampoline_kernelINS0_13select_configILj256ELj13ELNS0_17block_load_methodE3ELS4_3ELS4_3ELNS0_20block_scan_algorithmE0ELj4294967295EEENS1_25partition_config_selectorILNS1_17partition_subalgoE4EjNS0_10empty_typeEbEEZZNS1_14partition_implILS8_4ELb0ES6_15HIP_vector_typeIjLj2EENS0_17counting_iteratorIjlEEPS9_SG_NS0_5tupleIJPjSI_NS0_16reverse_iteratorISI_EEEEENSH_IJSG_SG_SG_EEES9_SI_JZNS1_25segmented_radix_sort_implINS0_14default_configELb0EPKiPiPKlPlN2at6native12_GLOBAL__N_18offset_tEEE10hipError_tPvRmT1_PNSt15iterator_traitsIS12_E10value_typeET2_T3_PNS13_IS18_E10value_typeET4_jRbjT5_S1E_jjP12ihipStream_tbEUljE_ZNSN_ISO_Lb0ESQ_SR_ST_SU_SY_EESZ_S10_S11_S12_S16_S17_S18_S1B_S1C_jS1D_jS1E_S1E_jjS1G_bEUljE0_EEESZ_S10_S11_S18_S1C_S1E_T6_T7_T9_mT8_S1G_bDpT10_ENKUlT_T0_E_clISt17integral_constantIbLb1EES1T_IbLb0EEEEDaS1P_S1Q_EUlS1P_E_NS1_11comp_targetILNS1_3genE8ELNS1_11target_archE1030ELNS1_3gpuE2ELNS1_3repE0EEENS1_30default_config_static_selectorELNS0_4arch9wavefront6targetE0EEEvS12_
    .private_segment_fixed_size: 0
    .sgpr_count:     0
    .sgpr_spill_count: 0
    .symbol:         _ZN7rocprim17ROCPRIM_400000_NS6detail17trampoline_kernelINS0_13select_configILj256ELj13ELNS0_17block_load_methodE3ELS4_3ELS4_3ELNS0_20block_scan_algorithmE0ELj4294967295EEENS1_25partition_config_selectorILNS1_17partition_subalgoE4EjNS0_10empty_typeEbEEZZNS1_14partition_implILS8_4ELb0ES6_15HIP_vector_typeIjLj2EENS0_17counting_iteratorIjlEEPS9_SG_NS0_5tupleIJPjSI_NS0_16reverse_iteratorISI_EEEEENSH_IJSG_SG_SG_EEES9_SI_JZNS1_25segmented_radix_sort_implINS0_14default_configELb0EPKiPiPKlPlN2at6native12_GLOBAL__N_18offset_tEEE10hipError_tPvRmT1_PNSt15iterator_traitsIS12_E10value_typeET2_T3_PNS13_IS18_E10value_typeET4_jRbjT5_S1E_jjP12ihipStream_tbEUljE_ZNSN_ISO_Lb0ESQ_SR_ST_SU_SY_EESZ_S10_S11_S12_S16_S17_S18_S1B_S1C_jS1D_jS1E_S1E_jjS1G_bEUljE0_EEESZ_S10_S11_S18_S1C_S1E_T6_T7_T9_mT8_S1G_bDpT10_ENKUlT_T0_E_clISt17integral_constantIbLb1EES1T_IbLb0EEEEDaS1P_S1Q_EUlS1P_E_NS1_11comp_targetILNS1_3genE8ELNS1_11target_archE1030ELNS1_3gpuE2ELNS1_3repE0EEENS1_30default_config_static_selectorELNS0_4arch9wavefront6targetE0EEEvS12_.kd
    .uniform_work_group_size: 1
    .uses_dynamic_stack: false
    .vgpr_count:     0
    .vgpr_spill_count: 0
    .wavefront_size: 32
    .workgroup_processor_mode: 1
  - .args:
      - .offset:         0
        .size:           184
        .value_kind:     by_value
    .group_segment_fixed_size: 0
    .kernarg_segment_align: 8
    .kernarg_segment_size: 184
    .language:       OpenCL C
    .language_version:
      - 2
      - 0
    .max_flat_workgroup_size: 256
    .name:           _ZN7rocprim17ROCPRIM_400000_NS6detail17trampoline_kernelINS0_13select_configILj256ELj13ELNS0_17block_load_methodE3ELS4_3ELS4_3ELNS0_20block_scan_algorithmE0ELj4294967295EEENS1_25partition_config_selectorILNS1_17partition_subalgoE4EjNS0_10empty_typeEbEEZZNS1_14partition_implILS8_4ELb0ES6_15HIP_vector_typeIjLj2EENS0_17counting_iteratorIjlEEPS9_SG_NS0_5tupleIJPjSI_NS0_16reverse_iteratorISI_EEEEENSH_IJSG_SG_SG_EEES9_SI_JZNS1_25segmented_radix_sort_implINS0_14default_configELb0EPKiPiPKlPlN2at6native12_GLOBAL__N_18offset_tEEE10hipError_tPvRmT1_PNSt15iterator_traitsIS12_E10value_typeET2_T3_PNS13_IS18_E10value_typeET4_jRbjT5_S1E_jjP12ihipStream_tbEUljE_ZNSN_ISO_Lb0ESQ_SR_ST_SU_SY_EESZ_S10_S11_S12_S16_S17_S18_S1B_S1C_jS1D_jS1E_S1E_jjS1G_bEUljE0_EEESZ_S10_S11_S18_S1C_S1E_T6_T7_T9_mT8_S1G_bDpT10_ENKUlT_T0_E_clISt17integral_constantIbLb0EES1T_IbLb1EEEEDaS1P_S1Q_EUlS1P_E_NS1_11comp_targetILNS1_3genE0ELNS1_11target_archE4294967295ELNS1_3gpuE0ELNS1_3repE0EEENS1_30default_config_static_selectorELNS0_4arch9wavefront6targetE0EEEvS12_
    .private_segment_fixed_size: 0
    .sgpr_count:     0
    .sgpr_spill_count: 0
    .symbol:         _ZN7rocprim17ROCPRIM_400000_NS6detail17trampoline_kernelINS0_13select_configILj256ELj13ELNS0_17block_load_methodE3ELS4_3ELS4_3ELNS0_20block_scan_algorithmE0ELj4294967295EEENS1_25partition_config_selectorILNS1_17partition_subalgoE4EjNS0_10empty_typeEbEEZZNS1_14partition_implILS8_4ELb0ES6_15HIP_vector_typeIjLj2EENS0_17counting_iteratorIjlEEPS9_SG_NS0_5tupleIJPjSI_NS0_16reverse_iteratorISI_EEEEENSH_IJSG_SG_SG_EEES9_SI_JZNS1_25segmented_radix_sort_implINS0_14default_configELb0EPKiPiPKlPlN2at6native12_GLOBAL__N_18offset_tEEE10hipError_tPvRmT1_PNSt15iterator_traitsIS12_E10value_typeET2_T3_PNS13_IS18_E10value_typeET4_jRbjT5_S1E_jjP12ihipStream_tbEUljE_ZNSN_ISO_Lb0ESQ_SR_ST_SU_SY_EESZ_S10_S11_S12_S16_S17_S18_S1B_S1C_jS1D_jS1E_S1E_jjS1G_bEUljE0_EEESZ_S10_S11_S18_S1C_S1E_T6_T7_T9_mT8_S1G_bDpT10_ENKUlT_T0_E_clISt17integral_constantIbLb0EES1T_IbLb1EEEEDaS1P_S1Q_EUlS1P_E_NS1_11comp_targetILNS1_3genE0ELNS1_11target_archE4294967295ELNS1_3gpuE0ELNS1_3repE0EEENS1_30default_config_static_selectorELNS0_4arch9wavefront6targetE0EEEvS12_.kd
    .uniform_work_group_size: 1
    .uses_dynamic_stack: false
    .vgpr_count:     0
    .vgpr_spill_count: 0
    .wavefront_size: 32
    .workgroup_processor_mode: 1
  - .args:
      - .offset:         0
        .size:           184
        .value_kind:     by_value
    .group_segment_fixed_size: 0
    .kernarg_segment_align: 8
    .kernarg_segment_size: 184
    .language:       OpenCL C
    .language_version:
      - 2
      - 0
    .max_flat_workgroup_size: 256
    .name:           _ZN7rocprim17ROCPRIM_400000_NS6detail17trampoline_kernelINS0_13select_configILj256ELj13ELNS0_17block_load_methodE3ELS4_3ELS4_3ELNS0_20block_scan_algorithmE0ELj4294967295EEENS1_25partition_config_selectorILNS1_17partition_subalgoE4EjNS0_10empty_typeEbEEZZNS1_14partition_implILS8_4ELb0ES6_15HIP_vector_typeIjLj2EENS0_17counting_iteratorIjlEEPS9_SG_NS0_5tupleIJPjSI_NS0_16reverse_iteratorISI_EEEEENSH_IJSG_SG_SG_EEES9_SI_JZNS1_25segmented_radix_sort_implINS0_14default_configELb0EPKiPiPKlPlN2at6native12_GLOBAL__N_18offset_tEEE10hipError_tPvRmT1_PNSt15iterator_traitsIS12_E10value_typeET2_T3_PNS13_IS18_E10value_typeET4_jRbjT5_S1E_jjP12ihipStream_tbEUljE_ZNSN_ISO_Lb0ESQ_SR_ST_SU_SY_EESZ_S10_S11_S12_S16_S17_S18_S1B_S1C_jS1D_jS1E_S1E_jjS1G_bEUljE0_EEESZ_S10_S11_S18_S1C_S1E_T6_T7_T9_mT8_S1G_bDpT10_ENKUlT_T0_E_clISt17integral_constantIbLb0EES1T_IbLb1EEEEDaS1P_S1Q_EUlS1P_E_NS1_11comp_targetILNS1_3genE5ELNS1_11target_archE942ELNS1_3gpuE9ELNS1_3repE0EEENS1_30default_config_static_selectorELNS0_4arch9wavefront6targetE0EEEvS12_
    .private_segment_fixed_size: 0
    .sgpr_count:     0
    .sgpr_spill_count: 0
    .symbol:         _ZN7rocprim17ROCPRIM_400000_NS6detail17trampoline_kernelINS0_13select_configILj256ELj13ELNS0_17block_load_methodE3ELS4_3ELS4_3ELNS0_20block_scan_algorithmE0ELj4294967295EEENS1_25partition_config_selectorILNS1_17partition_subalgoE4EjNS0_10empty_typeEbEEZZNS1_14partition_implILS8_4ELb0ES6_15HIP_vector_typeIjLj2EENS0_17counting_iteratorIjlEEPS9_SG_NS0_5tupleIJPjSI_NS0_16reverse_iteratorISI_EEEEENSH_IJSG_SG_SG_EEES9_SI_JZNS1_25segmented_radix_sort_implINS0_14default_configELb0EPKiPiPKlPlN2at6native12_GLOBAL__N_18offset_tEEE10hipError_tPvRmT1_PNSt15iterator_traitsIS12_E10value_typeET2_T3_PNS13_IS18_E10value_typeET4_jRbjT5_S1E_jjP12ihipStream_tbEUljE_ZNSN_ISO_Lb0ESQ_SR_ST_SU_SY_EESZ_S10_S11_S12_S16_S17_S18_S1B_S1C_jS1D_jS1E_S1E_jjS1G_bEUljE0_EEESZ_S10_S11_S18_S1C_S1E_T6_T7_T9_mT8_S1G_bDpT10_ENKUlT_T0_E_clISt17integral_constantIbLb0EES1T_IbLb1EEEEDaS1P_S1Q_EUlS1P_E_NS1_11comp_targetILNS1_3genE5ELNS1_11target_archE942ELNS1_3gpuE9ELNS1_3repE0EEENS1_30default_config_static_selectorELNS0_4arch9wavefront6targetE0EEEvS12_.kd
    .uniform_work_group_size: 1
    .uses_dynamic_stack: false
    .vgpr_count:     0
    .vgpr_spill_count: 0
    .wavefront_size: 32
    .workgroup_processor_mode: 1
  - .args:
      - .offset:         0
        .size:           184
        .value_kind:     by_value
    .group_segment_fixed_size: 0
    .kernarg_segment_align: 8
    .kernarg_segment_size: 184
    .language:       OpenCL C
    .language_version:
      - 2
      - 0
    .max_flat_workgroup_size: 256
    .name:           _ZN7rocprim17ROCPRIM_400000_NS6detail17trampoline_kernelINS0_13select_configILj256ELj13ELNS0_17block_load_methodE3ELS4_3ELS4_3ELNS0_20block_scan_algorithmE0ELj4294967295EEENS1_25partition_config_selectorILNS1_17partition_subalgoE4EjNS0_10empty_typeEbEEZZNS1_14partition_implILS8_4ELb0ES6_15HIP_vector_typeIjLj2EENS0_17counting_iteratorIjlEEPS9_SG_NS0_5tupleIJPjSI_NS0_16reverse_iteratorISI_EEEEENSH_IJSG_SG_SG_EEES9_SI_JZNS1_25segmented_radix_sort_implINS0_14default_configELb0EPKiPiPKlPlN2at6native12_GLOBAL__N_18offset_tEEE10hipError_tPvRmT1_PNSt15iterator_traitsIS12_E10value_typeET2_T3_PNS13_IS18_E10value_typeET4_jRbjT5_S1E_jjP12ihipStream_tbEUljE_ZNSN_ISO_Lb0ESQ_SR_ST_SU_SY_EESZ_S10_S11_S12_S16_S17_S18_S1B_S1C_jS1D_jS1E_S1E_jjS1G_bEUljE0_EEESZ_S10_S11_S18_S1C_S1E_T6_T7_T9_mT8_S1G_bDpT10_ENKUlT_T0_E_clISt17integral_constantIbLb0EES1T_IbLb1EEEEDaS1P_S1Q_EUlS1P_E_NS1_11comp_targetILNS1_3genE4ELNS1_11target_archE910ELNS1_3gpuE8ELNS1_3repE0EEENS1_30default_config_static_selectorELNS0_4arch9wavefront6targetE0EEEvS12_
    .private_segment_fixed_size: 0
    .sgpr_count:     0
    .sgpr_spill_count: 0
    .symbol:         _ZN7rocprim17ROCPRIM_400000_NS6detail17trampoline_kernelINS0_13select_configILj256ELj13ELNS0_17block_load_methodE3ELS4_3ELS4_3ELNS0_20block_scan_algorithmE0ELj4294967295EEENS1_25partition_config_selectorILNS1_17partition_subalgoE4EjNS0_10empty_typeEbEEZZNS1_14partition_implILS8_4ELb0ES6_15HIP_vector_typeIjLj2EENS0_17counting_iteratorIjlEEPS9_SG_NS0_5tupleIJPjSI_NS0_16reverse_iteratorISI_EEEEENSH_IJSG_SG_SG_EEES9_SI_JZNS1_25segmented_radix_sort_implINS0_14default_configELb0EPKiPiPKlPlN2at6native12_GLOBAL__N_18offset_tEEE10hipError_tPvRmT1_PNSt15iterator_traitsIS12_E10value_typeET2_T3_PNS13_IS18_E10value_typeET4_jRbjT5_S1E_jjP12ihipStream_tbEUljE_ZNSN_ISO_Lb0ESQ_SR_ST_SU_SY_EESZ_S10_S11_S12_S16_S17_S18_S1B_S1C_jS1D_jS1E_S1E_jjS1G_bEUljE0_EEESZ_S10_S11_S18_S1C_S1E_T6_T7_T9_mT8_S1G_bDpT10_ENKUlT_T0_E_clISt17integral_constantIbLb0EES1T_IbLb1EEEEDaS1P_S1Q_EUlS1P_E_NS1_11comp_targetILNS1_3genE4ELNS1_11target_archE910ELNS1_3gpuE8ELNS1_3repE0EEENS1_30default_config_static_selectorELNS0_4arch9wavefront6targetE0EEEvS12_.kd
    .uniform_work_group_size: 1
    .uses_dynamic_stack: false
    .vgpr_count:     0
    .vgpr_spill_count: 0
    .wavefront_size: 32
    .workgroup_processor_mode: 1
  - .args:
      - .offset:         0
        .size:           184
        .value_kind:     by_value
    .group_segment_fixed_size: 0
    .kernarg_segment_align: 8
    .kernarg_segment_size: 184
    .language:       OpenCL C
    .language_version:
      - 2
      - 0
    .max_flat_workgroup_size: 256
    .name:           _ZN7rocprim17ROCPRIM_400000_NS6detail17trampoline_kernelINS0_13select_configILj256ELj13ELNS0_17block_load_methodE3ELS4_3ELS4_3ELNS0_20block_scan_algorithmE0ELj4294967295EEENS1_25partition_config_selectorILNS1_17partition_subalgoE4EjNS0_10empty_typeEbEEZZNS1_14partition_implILS8_4ELb0ES6_15HIP_vector_typeIjLj2EENS0_17counting_iteratorIjlEEPS9_SG_NS0_5tupleIJPjSI_NS0_16reverse_iteratorISI_EEEEENSH_IJSG_SG_SG_EEES9_SI_JZNS1_25segmented_radix_sort_implINS0_14default_configELb0EPKiPiPKlPlN2at6native12_GLOBAL__N_18offset_tEEE10hipError_tPvRmT1_PNSt15iterator_traitsIS12_E10value_typeET2_T3_PNS13_IS18_E10value_typeET4_jRbjT5_S1E_jjP12ihipStream_tbEUljE_ZNSN_ISO_Lb0ESQ_SR_ST_SU_SY_EESZ_S10_S11_S12_S16_S17_S18_S1B_S1C_jS1D_jS1E_S1E_jjS1G_bEUljE0_EEESZ_S10_S11_S18_S1C_S1E_T6_T7_T9_mT8_S1G_bDpT10_ENKUlT_T0_E_clISt17integral_constantIbLb0EES1T_IbLb1EEEEDaS1P_S1Q_EUlS1P_E_NS1_11comp_targetILNS1_3genE3ELNS1_11target_archE908ELNS1_3gpuE7ELNS1_3repE0EEENS1_30default_config_static_selectorELNS0_4arch9wavefront6targetE0EEEvS12_
    .private_segment_fixed_size: 0
    .sgpr_count:     0
    .sgpr_spill_count: 0
    .symbol:         _ZN7rocprim17ROCPRIM_400000_NS6detail17trampoline_kernelINS0_13select_configILj256ELj13ELNS0_17block_load_methodE3ELS4_3ELS4_3ELNS0_20block_scan_algorithmE0ELj4294967295EEENS1_25partition_config_selectorILNS1_17partition_subalgoE4EjNS0_10empty_typeEbEEZZNS1_14partition_implILS8_4ELb0ES6_15HIP_vector_typeIjLj2EENS0_17counting_iteratorIjlEEPS9_SG_NS0_5tupleIJPjSI_NS0_16reverse_iteratorISI_EEEEENSH_IJSG_SG_SG_EEES9_SI_JZNS1_25segmented_radix_sort_implINS0_14default_configELb0EPKiPiPKlPlN2at6native12_GLOBAL__N_18offset_tEEE10hipError_tPvRmT1_PNSt15iterator_traitsIS12_E10value_typeET2_T3_PNS13_IS18_E10value_typeET4_jRbjT5_S1E_jjP12ihipStream_tbEUljE_ZNSN_ISO_Lb0ESQ_SR_ST_SU_SY_EESZ_S10_S11_S12_S16_S17_S18_S1B_S1C_jS1D_jS1E_S1E_jjS1G_bEUljE0_EEESZ_S10_S11_S18_S1C_S1E_T6_T7_T9_mT8_S1G_bDpT10_ENKUlT_T0_E_clISt17integral_constantIbLb0EES1T_IbLb1EEEEDaS1P_S1Q_EUlS1P_E_NS1_11comp_targetILNS1_3genE3ELNS1_11target_archE908ELNS1_3gpuE7ELNS1_3repE0EEENS1_30default_config_static_selectorELNS0_4arch9wavefront6targetE0EEEvS12_.kd
    .uniform_work_group_size: 1
    .uses_dynamic_stack: false
    .vgpr_count:     0
    .vgpr_spill_count: 0
    .wavefront_size: 32
    .workgroup_processor_mode: 1
  - .args:
      - .offset:         0
        .size:           184
        .value_kind:     by_value
    .group_segment_fixed_size: 0
    .kernarg_segment_align: 8
    .kernarg_segment_size: 184
    .language:       OpenCL C
    .language_version:
      - 2
      - 0
    .max_flat_workgroup_size: 256
    .name:           _ZN7rocprim17ROCPRIM_400000_NS6detail17trampoline_kernelINS0_13select_configILj256ELj13ELNS0_17block_load_methodE3ELS4_3ELS4_3ELNS0_20block_scan_algorithmE0ELj4294967295EEENS1_25partition_config_selectorILNS1_17partition_subalgoE4EjNS0_10empty_typeEbEEZZNS1_14partition_implILS8_4ELb0ES6_15HIP_vector_typeIjLj2EENS0_17counting_iteratorIjlEEPS9_SG_NS0_5tupleIJPjSI_NS0_16reverse_iteratorISI_EEEEENSH_IJSG_SG_SG_EEES9_SI_JZNS1_25segmented_radix_sort_implINS0_14default_configELb0EPKiPiPKlPlN2at6native12_GLOBAL__N_18offset_tEEE10hipError_tPvRmT1_PNSt15iterator_traitsIS12_E10value_typeET2_T3_PNS13_IS18_E10value_typeET4_jRbjT5_S1E_jjP12ihipStream_tbEUljE_ZNSN_ISO_Lb0ESQ_SR_ST_SU_SY_EESZ_S10_S11_S12_S16_S17_S18_S1B_S1C_jS1D_jS1E_S1E_jjS1G_bEUljE0_EEESZ_S10_S11_S18_S1C_S1E_T6_T7_T9_mT8_S1G_bDpT10_ENKUlT_T0_E_clISt17integral_constantIbLb0EES1T_IbLb1EEEEDaS1P_S1Q_EUlS1P_E_NS1_11comp_targetILNS1_3genE2ELNS1_11target_archE906ELNS1_3gpuE6ELNS1_3repE0EEENS1_30default_config_static_selectorELNS0_4arch9wavefront6targetE0EEEvS12_
    .private_segment_fixed_size: 0
    .sgpr_count:     0
    .sgpr_spill_count: 0
    .symbol:         _ZN7rocprim17ROCPRIM_400000_NS6detail17trampoline_kernelINS0_13select_configILj256ELj13ELNS0_17block_load_methodE3ELS4_3ELS4_3ELNS0_20block_scan_algorithmE0ELj4294967295EEENS1_25partition_config_selectorILNS1_17partition_subalgoE4EjNS0_10empty_typeEbEEZZNS1_14partition_implILS8_4ELb0ES6_15HIP_vector_typeIjLj2EENS0_17counting_iteratorIjlEEPS9_SG_NS0_5tupleIJPjSI_NS0_16reverse_iteratorISI_EEEEENSH_IJSG_SG_SG_EEES9_SI_JZNS1_25segmented_radix_sort_implINS0_14default_configELb0EPKiPiPKlPlN2at6native12_GLOBAL__N_18offset_tEEE10hipError_tPvRmT1_PNSt15iterator_traitsIS12_E10value_typeET2_T3_PNS13_IS18_E10value_typeET4_jRbjT5_S1E_jjP12ihipStream_tbEUljE_ZNSN_ISO_Lb0ESQ_SR_ST_SU_SY_EESZ_S10_S11_S12_S16_S17_S18_S1B_S1C_jS1D_jS1E_S1E_jjS1G_bEUljE0_EEESZ_S10_S11_S18_S1C_S1E_T6_T7_T9_mT8_S1G_bDpT10_ENKUlT_T0_E_clISt17integral_constantIbLb0EES1T_IbLb1EEEEDaS1P_S1Q_EUlS1P_E_NS1_11comp_targetILNS1_3genE2ELNS1_11target_archE906ELNS1_3gpuE6ELNS1_3repE0EEENS1_30default_config_static_selectorELNS0_4arch9wavefront6targetE0EEEvS12_.kd
    .uniform_work_group_size: 1
    .uses_dynamic_stack: false
    .vgpr_count:     0
    .vgpr_spill_count: 0
    .wavefront_size: 32
    .workgroup_processor_mode: 1
  - .args:
      - .offset:         0
        .size:           184
        .value_kind:     by_value
    .group_segment_fixed_size: 0
    .kernarg_segment_align: 8
    .kernarg_segment_size: 184
    .language:       OpenCL C
    .language_version:
      - 2
      - 0
    .max_flat_workgroup_size: 256
    .name:           _ZN7rocprim17ROCPRIM_400000_NS6detail17trampoline_kernelINS0_13select_configILj256ELj13ELNS0_17block_load_methodE3ELS4_3ELS4_3ELNS0_20block_scan_algorithmE0ELj4294967295EEENS1_25partition_config_selectorILNS1_17partition_subalgoE4EjNS0_10empty_typeEbEEZZNS1_14partition_implILS8_4ELb0ES6_15HIP_vector_typeIjLj2EENS0_17counting_iteratorIjlEEPS9_SG_NS0_5tupleIJPjSI_NS0_16reverse_iteratorISI_EEEEENSH_IJSG_SG_SG_EEES9_SI_JZNS1_25segmented_radix_sort_implINS0_14default_configELb0EPKiPiPKlPlN2at6native12_GLOBAL__N_18offset_tEEE10hipError_tPvRmT1_PNSt15iterator_traitsIS12_E10value_typeET2_T3_PNS13_IS18_E10value_typeET4_jRbjT5_S1E_jjP12ihipStream_tbEUljE_ZNSN_ISO_Lb0ESQ_SR_ST_SU_SY_EESZ_S10_S11_S12_S16_S17_S18_S1B_S1C_jS1D_jS1E_S1E_jjS1G_bEUljE0_EEESZ_S10_S11_S18_S1C_S1E_T6_T7_T9_mT8_S1G_bDpT10_ENKUlT_T0_E_clISt17integral_constantIbLb0EES1T_IbLb1EEEEDaS1P_S1Q_EUlS1P_E_NS1_11comp_targetILNS1_3genE10ELNS1_11target_archE1200ELNS1_3gpuE4ELNS1_3repE0EEENS1_30default_config_static_selectorELNS0_4arch9wavefront6targetE0EEEvS12_
    .private_segment_fixed_size: 0
    .sgpr_count:     0
    .sgpr_spill_count: 0
    .symbol:         _ZN7rocprim17ROCPRIM_400000_NS6detail17trampoline_kernelINS0_13select_configILj256ELj13ELNS0_17block_load_methodE3ELS4_3ELS4_3ELNS0_20block_scan_algorithmE0ELj4294967295EEENS1_25partition_config_selectorILNS1_17partition_subalgoE4EjNS0_10empty_typeEbEEZZNS1_14partition_implILS8_4ELb0ES6_15HIP_vector_typeIjLj2EENS0_17counting_iteratorIjlEEPS9_SG_NS0_5tupleIJPjSI_NS0_16reverse_iteratorISI_EEEEENSH_IJSG_SG_SG_EEES9_SI_JZNS1_25segmented_radix_sort_implINS0_14default_configELb0EPKiPiPKlPlN2at6native12_GLOBAL__N_18offset_tEEE10hipError_tPvRmT1_PNSt15iterator_traitsIS12_E10value_typeET2_T3_PNS13_IS18_E10value_typeET4_jRbjT5_S1E_jjP12ihipStream_tbEUljE_ZNSN_ISO_Lb0ESQ_SR_ST_SU_SY_EESZ_S10_S11_S12_S16_S17_S18_S1B_S1C_jS1D_jS1E_S1E_jjS1G_bEUljE0_EEESZ_S10_S11_S18_S1C_S1E_T6_T7_T9_mT8_S1G_bDpT10_ENKUlT_T0_E_clISt17integral_constantIbLb0EES1T_IbLb1EEEEDaS1P_S1Q_EUlS1P_E_NS1_11comp_targetILNS1_3genE10ELNS1_11target_archE1200ELNS1_3gpuE4ELNS1_3repE0EEENS1_30default_config_static_selectorELNS0_4arch9wavefront6targetE0EEEvS12_.kd
    .uniform_work_group_size: 1
    .uses_dynamic_stack: false
    .vgpr_count:     0
    .vgpr_spill_count: 0
    .wavefront_size: 32
    .workgroup_processor_mode: 1
  - .args:
      - .offset:         0
        .size:           184
        .value_kind:     by_value
    .group_segment_fixed_size: 0
    .kernarg_segment_align: 8
    .kernarg_segment_size: 184
    .language:       OpenCL C
    .language_version:
      - 2
      - 0
    .max_flat_workgroup_size: 256
    .name:           _ZN7rocprim17ROCPRIM_400000_NS6detail17trampoline_kernelINS0_13select_configILj256ELj13ELNS0_17block_load_methodE3ELS4_3ELS4_3ELNS0_20block_scan_algorithmE0ELj4294967295EEENS1_25partition_config_selectorILNS1_17partition_subalgoE4EjNS0_10empty_typeEbEEZZNS1_14partition_implILS8_4ELb0ES6_15HIP_vector_typeIjLj2EENS0_17counting_iteratorIjlEEPS9_SG_NS0_5tupleIJPjSI_NS0_16reverse_iteratorISI_EEEEENSH_IJSG_SG_SG_EEES9_SI_JZNS1_25segmented_radix_sort_implINS0_14default_configELb0EPKiPiPKlPlN2at6native12_GLOBAL__N_18offset_tEEE10hipError_tPvRmT1_PNSt15iterator_traitsIS12_E10value_typeET2_T3_PNS13_IS18_E10value_typeET4_jRbjT5_S1E_jjP12ihipStream_tbEUljE_ZNSN_ISO_Lb0ESQ_SR_ST_SU_SY_EESZ_S10_S11_S12_S16_S17_S18_S1B_S1C_jS1D_jS1E_S1E_jjS1G_bEUljE0_EEESZ_S10_S11_S18_S1C_S1E_T6_T7_T9_mT8_S1G_bDpT10_ENKUlT_T0_E_clISt17integral_constantIbLb0EES1T_IbLb1EEEEDaS1P_S1Q_EUlS1P_E_NS1_11comp_targetILNS1_3genE9ELNS1_11target_archE1100ELNS1_3gpuE3ELNS1_3repE0EEENS1_30default_config_static_selectorELNS0_4arch9wavefront6targetE0EEEvS12_
    .private_segment_fixed_size: 0
    .sgpr_count:     0
    .sgpr_spill_count: 0
    .symbol:         _ZN7rocprim17ROCPRIM_400000_NS6detail17trampoline_kernelINS0_13select_configILj256ELj13ELNS0_17block_load_methodE3ELS4_3ELS4_3ELNS0_20block_scan_algorithmE0ELj4294967295EEENS1_25partition_config_selectorILNS1_17partition_subalgoE4EjNS0_10empty_typeEbEEZZNS1_14partition_implILS8_4ELb0ES6_15HIP_vector_typeIjLj2EENS0_17counting_iteratorIjlEEPS9_SG_NS0_5tupleIJPjSI_NS0_16reverse_iteratorISI_EEEEENSH_IJSG_SG_SG_EEES9_SI_JZNS1_25segmented_radix_sort_implINS0_14default_configELb0EPKiPiPKlPlN2at6native12_GLOBAL__N_18offset_tEEE10hipError_tPvRmT1_PNSt15iterator_traitsIS12_E10value_typeET2_T3_PNS13_IS18_E10value_typeET4_jRbjT5_S1E_jjP12ihipStream_tbEUljE_ZNSN_ISO_Lb0ESQ_SR_ST_SU_SY_EESZ_S10_S11_S12_S16_S17_S18_S1B_S1C_jS1D_jS1E_S1E_jjS1G_bEUljE0_EEESZ_S10_S11_S18_S1C_S1E_T6_T7_T9_mT8_S1G_bDpT10_ENKUlT_T0_E_clISt17integral_constantIbLb0EES1T_IbLb1EEEEDaS1P_S1Q_EUlS1P_E_NS1_11comp_targetILNS1_3genE9ELNS1_11target_archE1100ELNS1_3gpuE3ELNS1_3repE0EEENS1_30default_config_static_selectorELNS0_4arch9wavefront6targetE0EEEvS12_.kd
    .uniform_work_group_size: 1
    .uses_dynamic_stack: false
    .vgpr_count:     0
    .vgpr_spill_count: 0
    .wavefront_size: 32
    .workgroup_processor_mode: 1
  - .args:
      - .offset:         0
        .size:           184
        .value_kind:     by_value
    .group_segment_fixed_size: 13328
    .kernarg_segment_align: 8
    .kernarg_segment_size: 184
    .language:       OpenCL C
    .language_version:
      - 2
      - 0
    .max_flat_workgroup_size: 256
    .name:           _ZN7rocprim17ROCPRIM_400000_NS6detail17trampoline_kernelINS0_13select_configILj256ELj13ELNS0_17block_load_methodE3ELS4_3ELS4_3ELNS0_20block_scan_algorithmE0ELj4294967295EEENS1_25partition_config_selectorILNS1_17partition_subalgoE4EjNS0_10empty_typeEbEEZZNS1_14partition_implILS8_4ELb0ES6_15HIP_vector_typeIjLj2EENS0_17counting_iteratorIjlEEPS9_SG_NS0_5tupleIJPjSI_NS0_16reverse_iteratorISI_EEEEENSH_IJSG_SG_SG_EEES9_SI_JZNS1_25segmented_radix_sort_implINS0_14default_configELb0EPKiPiPKlPlN2at6native12_GLOBAL__N_18offset_tEEE10hipError_tPvRmT1_PNSt15iterator_traitsIS12_E10value_typeET2_T3_PNS13_IS18_E10value_typeET4_jRbjT5_S1E_jjP12ihipStream_tbEUljE_ZNSN_ISO_Lb0ESQ_SR_ST_SU_SY_EESZ_S10_S11_S12_S16_S17_S18_S1B_S1C_jS1D_jS1E_S1E_jjS1G_bEUljE0_EEESZ_S10_S11_S18_S1C_S1E_T6_T7_T9_mT8_S1G_bDpT10_ENKUlT_T0_E_clISt17integral_constantIbLb0EES1T_IbLb1EEEEDaS1P_S1Q_EUlS1P_E_NS1_11comp_targetILNS1_3genE8ELNS1_11target_archE1030ELNS1_3gpuE2ELNS1_3repE0EEENS1_30default_config_static_selectorELNS0_4arch9wavefront6targetE0EEEvS12_
    .private_segment_fixed_size: 0
    .sgpr_count:     57
    .sgpr_spill_count: 0
    .symbol:         _ZN7rocprim17ROCPRIM_400000_NS6detail17trampoline_kernelINS0_13select_configILj256ELj13ELNS0_17block_load_methodE3ELS4_3ELS4_3ELNS0_20block_scan_algorithmE0ELj4294967295EEENS1_25partition_config_selectorILNS1_17partition_subalgoE4EjNS0_10empty_typeEbEEZZNS1_14partition_implILS8_4ELb0ES6_15HIP_vector_typeIjLj2EENS0_17counting_iteratorIjlEEPS9_SG_NS0_5tupleIJPjSI_NS0_16reverse_iteratorISI_EEEEENSH_IJSG_SG_SG_EEES9_SI_JZNS1_25segmented_radix_sort_implINS0_14default_configELb0EPKiPiPKlPlN2at6native12_GLOBAL__N_18offset_tEEE10hipError_tPvRmT1_PNSt15iterator_traitsIS12_E10value_typeET2_T3_PNS13_IS18_E10value_typeET4_jRbjT5_S1E_jjP12ihipStream_tbEUljE_ZNSN_ISO_Lb0ESQ_SR_ST_SU_SY_EESZ_S10_S11_S12_S16_S17_S18_S1B_S1C_jS1D_jS1E_S1E_jjS1G_bEUljE0_EEESZ_S10_S11_S18_S1C_S1E_T6_T7_T9_mT8_S1G_bDpT10_ENKUlT_T0_E_clISt17integral_constantIbLb0EES1T_IbLb1EEEEDaS1P_S1Q_EUlS1P_E_NS1_11comp_targetILNS1_3genE8ELNS1_11target_archE1030ELNS1_3gpuE2ELNS1_3repE0EEENS1_30default_config_static_selectorELNS0_4arch9wavefront6targetE0EEEvS12_.kd
    .uniform_work_group_size: 1
    .uses_dynamic_stack: false
    .vgpr_count:     87
    .vgpr_spill_count: 0
    .wavefront_size: 32
    .workgroup_processor_mode: 1
  - .args:
      - .offset:         0
        .size:           144
        .value_kind:     by_value
    .group_segment_fixed_size: 0
    .kernarg_segment_align: 8
    .kernarg_segment_size: 144
    .language:       OpenCL C
    .language_version:
      - 2
      - 0
    .max_flat_workgroup_size: 256
    .name:           _ZN7rocprim17ROCPRIM_400000_NS6detail17trampoline_kernelINS0_13select_configILj256ELj13ELNS0_17block_load_methodE3ELS4_3ELS4_3ELNS0_20block_scan_algorithmE0ELj4294967295EEENS1_25partition_config_selectorILNS1_17partition_subalgoE3EjNS0_10empty_typeEbEEZZNS1_14partition_implILS8_3ELb0ES6_jNS0_17counting_iteratorIjlEEPS9_SE_NS0_5tupleIJPjSE_EEENSF_IJSE_SE_EEES9_SG_JZNS1_25segmented_radix_sort_implINS0_14default_configELb0EPKiPiPKlPlN2at6native12_GLOBAL__N_18offset_tEEE10hipError_tPvRmT1_PNSt15iterator_traitsISY_E10value_typeET2_T3_PNSZ_IS14_E10value_typeET4_jRbjT5_S1A_jjP12ihipStream_tbEUljE_EEESV_SW_SX_S14_S18_S1A_T6_T7_T9_mT8_S1C_bDpT10_ENKUlT_T0_E_clISt17integral_constantIbLb0EES1P_EEDaS1K_S1L_EUlS1K_E_NS1_11comp_targetILNS1_3genE0ELNS1_11target_archE4294967295ELNS1_3gpuE0ELNS1_3repE0EEENS1_30default_config_static_selectorELNS0_4arch9wavefront6targetE0EEEvSY_
    .private_segment_fixed_size: 0
    .sgpr_count:     0
    .sgpr_spill_count: 0
    .symbol:         _ZN7rocprim17ROCPRIM_400000_NS6detail17trampoline_kernelINS0_13select_configILj256ELj13ELNS0_17block_load_methodE3ELS4_3ELS4_3ELNS0_20block_scan_algorithmE0ELj4294967295EEENS1_25partition_config_selectorILNS1_17partition_subalgoE3EjNS0_10empty_typeEbEEZZNS1_14partition_implILS8_3ELb0ES6_jNS0_17counting_iteratorIjlEEPS9_SE_NS0_5tupleIJPjSE_EEENSF_IJSE_SE_EEES9_SG_JZNS1_25segmented_radix_sort_implINS0_14default_configELb0EPKiPiPKlPlN2at6native12_GLOBAL__N_18offset_tEEE10hipError_tPvRmT1_PNSt15iterator_traitsISY_E10value_typeET2_T3_PNSZ_IS14_E10value_typeET4_jRbjT5_S1A_jjP12ihipStream_tbEUljE_EEESV_SW_SX_S14_S18_S1A_T6_T7_T9_mT8_S1C_bDpT10_ENKUlT_T0_E_clISt17integral_constantIbLb0EES1P_EEDaS1K_S1L_EUlS1K_E_NS1_11comp_targetILNS1_3genE0ELNS1_11target_archE4294967295ELNS1_3gpuE0ELNS1_3repE0EEENS1_30default_config_static_selectorELNS0_4arch9wavefront6targetE0EEEvSY_.kd
    .uniform_work_group_size: 1
    .uses_dynamic_stack: false
    .vgpr_count:     0
    .vgpr_spill_count: 0
    .wavefront_size: 32
    .workgroup_processor_mode: 1
  - .args:
      - .offset:         0
        .size:           144
        .value_kind:     by_value
    .group_segment_fixed_size: 0
    .kernarg_segment_align: 8
    .kernarg_segment_size: 144
    .language:       OpenCL C
    .language_version:
      - 2
      - 0
    .max_flat_workgroup_size: 256
    .name:           _ZN7rocprim17ROCPRIM_400000_NS6detail17trampoline_kernelINS0_13select_configILj256ELj13ELNS0_17block_load_methodE3ELS4_3ELS4_3ELNS0_20block_scan_algorithmE0ELj4294967295EEENS1_25partition_config_selectorILNS1_17partition_subalgoE3EjNS0_10empty_typeEbEEZZNS1_14partition_implILS8_3ELb0ES6_jNS0_17counting_iteratorIjlEEPS9_SE_NS0_5tupleIJPjSE_EEENSF_IJSE_SE_EEES9_SG_JZNS1_25segmented_radix_sort_implINS0_14default_configELb0EPKiPiPKlPlN2at6native12_GLOBAL__N_18offset_tEEE10hipError_tPvRmT1_PNSt15iterator_traitsISY_E10value_typeET2_T3_PNSZ_IS14_E10value_typeET4_jRbjT5_S1A_jjP12ihipStream_tbEUljE_EEESV_SW_SX_S14_S18_S1A_T6_T7_T9_mT8_S1C_bDpT10_ENKUlT_T0_E_clISt17integral_constantIbLb0EES1P_EEDaS1K_S1L_EUlS1K_E_NS1_11comp_targetILNS1_3genE5ELNS1_11target_archE942ELNS1_3gpuE9ELNS1_3repE0EEENS1_30default_config_static_selectorELNS0_4arch9wavefront6targetE0EEEvSY_
    .private_segment_fixed_size: 0
    .sgpr_count:     0
    .sgpr_spill_count: 0
    .symbol:         _ZN7rocprim17ROCPRIM_400000_NS6detail17trampoline_kernelINS0_13select_configILj256ELj13ELNS0_17block_load_methodE3ELS4_3ELS4_3ELNS0_20block_scan_algorithmE0ELj4294967295EEENS1_25partition_config_selectorILNS1_17partition_subalgoE3EjNS0_10empty_typeEbEEZZNS1_14partition_implILS8_3ELb0ES6_jNS0_17counting_iteratorIjlEEPS9_SE_NS0_5tupleIJPjSE_EEENSF_IJSE_SE_EEES9_SG_JZNS1_25segmented_radix_sort_implINS0_14default_configELb0EPKiPiPKlPlN2at6native12_GLOBAL__N_18offset_tEEE10hipError_tPvRmT1_PNSt15iterator_traitsISY_E10value_typeET2_T3_PNSZ_IS14_E10value_typeET4_jRbjT5_S1A_jjP12ihipStream_tbEUljE_EEESV_SW_SX_S14_S18_S1A_T6_T7_T9_mT8_S1C_bDpT10_ENKUlT_T0_E_clISt17integral_constantIbLb0EES1P_EEDaS1K_S1L_EUlS1K_E_NS1_11comp_targetILNS1_3genE5ELNS1_11target_archE942ELNS1_3gpuE9ELNS1_3repE0EEENS1_30default_config_static_selectorELNS0_4arch9wavefront6targetE0EEEvSY_.kd
    .uniform_work_group_size: 1
    .uses_dynamic_stack: false
    .vgpr_count:     0
    .vgpr_spill_count: 0
    .wavefront_size: 32
    .workgroup_processor_mode: 1
  - .args:
      - .offset:         0
        .size:           144
        .value_kind:     by_value
    .group_segment_fixed_size: 0
    .kernarg_segment_align: 8
    .kernarg_segment_size: 144
    .language:       OpenCL C
    .language_version:
      - 2
      - 0
    .max_flat_workgroup_size: 256
    .name:           _ZN7rocprim17ROCPRIM_400000_NS6detail17trampoline_kernelINS0_13select_configILj256ELj13ELNS0_17block_load_methodE3ELS4_3ELS4_3ELNS0_20block_scan_algorithmE0ELj4294967295EEENS1_25partition_config_selectorILNS1_17partition_subalgoE3EjNS0_10empty_typeEbEEZZNS1_14partition_implILS8_3ELb0ES6_jNS0_17counting_iteratorIjlEEPS9_SE_NS0_5tupleIJPjSE_EEENSF_IJSE_SE_EEES9_SG_JZNS1_25segmented_radix_sort_implINS0_14default_configELb0EPKiPiPKlPlN2at6native12_GLOBAL__N_18offset_tEEE10hipError_tPvRmT1_PNSt15iterator_traitsISY_E10value_typeET2_T3_PNSZ_IS14_E10value_typeET4_jRbjT5_S1A_jjP12ihipStream_tbEUljE_EEESV_SW_SX_S14_S18_S1A_T6_T7_T9_mT8_S1C_bDpT10_ENKUlT_T0_E_clISt17integral_constantIbLb0EES1P_EEDaS1K_S1L_EUlS1K_E_NS1_11comp_targetILNS1_3genE4ELNS1_11target_archE910ELNS1_3gpuE8ELNS1_3repE0EEENS1_30default_config_static_selectorELNS0_4arch9wavefront6targetE0EEEvSY_
    .private_segment_fixed_size: 0
    .sgpr_count:     0
    .sgpr_spill_count: 0
    .symbol:         _ZN7rocprim17ROCPRIM_400000_NS6detail17trampoline_kernelINS0_13select_configILj256ELj13ELNS0_17block_load_methodE3ELS4_3ELS4_3ELNS0_20block_scan_algorithmE0ELj4294967295EEENS1_25partition_config_selectorILNS1_17partition_subalgoE3EjNS0_10empty_typeEbEEZZNS1_14partition_implILS8_3ELb0ES6_jNS0_17counting_iteratorIjlEEPS9_SE_NS0_5tupleIJPjSE_EEENSF_IJSE_SE_EEES9_SG_JZNS1_25segmented_radix_sort_implINS0_14default_configELb0EPKiPiPKlPlN2at6native12_GLOBAL__N_18offset_tEEE10hipError_tPvRmT1_PNSt15iterator_traitsISY_E10value_typeET2_T3_PNSZ_IS14_E10value_typeET4_jRbjT5_S1A_jjP12ihipStream_tbEUljE_EEESV_SW_SX_S14_S18_S1A_T6_T7_T9_mT8_S1C_bDpT10_ENKUlT_T0_E_clISt17integral_constantIbLb0EES1P_EEDaS1K_S1L_EUlS1K_E_NS1_11comp_targetILNS1_3genE4ELNS1_11target_archE910ELNS1_3gpuE8ELNS1_3repE0EEENS1_30default_config_static_selectorELNS0_4arch9wavefront6targetE0EEEvSY_.kd
    .uniform_work_group_size: 1
    .uses_dynamic_stack: false
    .vgpr_count:     0
    .vgpr_spill_count: 0
    .wavefront_size: 32
    .workgroup_processor_mode: 1
  - .args:
      - .offset:         0
        .size:           144
        .value_kind:     by_value
    .group_segment_fixed_size: 0
    .kernarg_segment_align: 8
    .kernarg_segment_size: 144
    .language:       OpenCL C
    .language_version:
      - 2
      - 0
    .max_flat_workgroup_size: 256
    .name:           _ZN7rocprim17ROCPRIM_400000_NS6detail17trampoline_kernelINS0_13select_configILj256ELj13ELNS0_17block_load_methodE3ELS4_3ELS4_3ELNS0_20block_scan_algorithmE0ELj4294967295EEENS1_25partition_config_selectorILNS1_17partition_subalgoE3EjNS0_10empty_typeEbEEZZNS1_14partition_implILS8_3ELb0ES6_jNS0_17counting_iteratorIjlEEPS9_SE_NS0_5tupleIJPjSE_EEENSF_IJSE_SE_EEES9_SG_JZNS1_25segmented_radix_sort_implINS0_14default_configELb0EPKiPiPKlPlN2at6native12_GLOBAL__N_18offset_tEEE10hipError_tPvRmT1_PNSt15iterator_traitsISY_E10value_typeET2_T3_PNSZ_IS14_E10value_typeET4_jRbjT5_S1A_jjP12ihipStream_tbEUljE_EEESV_SW_SX_S14_S18_S1A_T6_T7_T9_mT8_S1C_bDpT10_ENKUlT_T0_E_clISt17integral_constantIbLb0EES1P_EEDaS1K_S1L_EUlS1K_E_NS1_11comp_targetILNS1_3genE3ELNS1_11target_archE908ELNS1_3gpuE7ELNS1_3repE0EEENS1_30default_config_static_selectorELNS0_4arch9wavefront6targetE0EEEvSY_
    .private_segment_fixed_size: 0
    .sgpr_count:     0
    .sgpr_spill_count: 0
    .symbol:         _ZN7rocprim17ROCPRIM_400000_NS6detail17trampoline_kernelINS0_13select_configILj256ELj13ELNS0_17block_load_methodE3ELS4_3ELS4_3ELNS0_20block_scan_algorithmE0ELj4294967295EEENS1_25partition_config_selectorILNS1_17partition_subalgoE3EjNS0_10empty_typeEbEEZZNS1_14partition_implILS8_3ELb0ES6_jNS0_17counting_iteratorIjlEEPS9_SE_NS0_5tupleIJPjSE_EEENSF_IJSE_SE_EEES9_SG_JZNS1_25segmented_radix_sort_implINS0_14default_configELb0EPKiPiPKlPlN2at6native12_GLOBAL__N_18offset_tEEE10hipError_tPvRmT1_PNSt15iterator_traitsISY_E10value_typeET2_T3_PNSZ_IS14_E10value_typeET4_jRbjT5_S1A_jjP12ihipStream_tbEUljE_EEESV_SW_SX_S14_S18_S1A_T6_T7_T9_mT8_S1C_bDpT10_ENKUlT_T0_E_clISt17integral_constantIbLb0EES1P_EEDaS1K_S1L_EUlS1K_E_NS1_11comp_targetILNS1_3genE3ELNS1_11target_archE908ELNS1_3gpuE7ELNS1_3repE0EEENS1_30default_config_static_selectorELNS0_4arch9wavefront6targetE0EEEvSY_.kd
    .uniform_work_group_size: 1
    .uses_dynamic_stack: false
    .vgpr_count:     0
    .vgpr_spill_count: 0
    .wavefront_size: 32
    .workgroup_processor_mode: 1
  - .args:
      - .offset:         0
        .size:           144
        .value_kind:     by_value
    .group_segment_fixed_size: 0
    .kernarg_segment_align: 8
    .kernarg_segment_size: 144
    .language:       OpenCL C
    .language_version:
      - 2
      - 0
    .max_flat_workgroup_size: 256
    .name:           _ZN7rocprim17ROCPRIM_400000_NS6detail17trampoline_kernelINS0_13select_configILj256ELj13ELNS0_17block_load_methodE3ELS4_3ELS4_3ELNS0_20block_scan_algorithmE0ELj4294967295EEENS1_25partition_config_selectorILNS1_17partition_subalgoE3EjNS0_10empty_typeEbEEZZNS1_14partition_implILS8_3ELb0ES6_jNS0_17counting_iteratorIjlEEPS9_SE_NS0_5tupleIJPjSE_EEENSF_IJSE_SE_EEES9_SG_JZNS1_25segmented_radix_sort_implINS0_14default_configELb0EPKiPiPKlPlN2at6native12_GLOBAL__N_18offset_tEEE10hipError_tPvRmT1_PNSt15iterator_traitsISY_E10value_typeET2_T3_PNSZ_IS14_E10value_typeET4_jRbjT5_S1A_jjP12ihipStream_tbEUljE_EEESV_SW_SX_S14_S18_S1A_T6_T7_T9_mT8_S1C_bDpT10_ENKUlT_T0_E_clISt17integral_constantIbLb0EES1P_EEDaS1K_S1L_EUlS1K_E_NS1_11comp_targetILNS1_3genE2ELNS1_11target_archE906ELNS1_3gpuE6ELNS1_3repE0EEENS1_30default_config_static_selectorELNS0_4arch9wavefront6targetE0EEEvSY_
    .private_segment_fixed_size: 0
    .sgpr_count:     0
    .sgpr_spill_count: 0
    .symbol:         _ZN7rocprim17ROCPRIM_400000_NS6detail17trampoline_kernelINS0_13select_configILj256ELj13ELNS0_17block_load_methodE3ELS4_3ELS4_3ELNS0_20block_scan_algorithmE0ELj4294967295EEENS1_25partition_config_selectorILNS1_17partition_subalgoE3EjNS0_10empty_typeEbEEZZNS1_14partition_implILS8_3ELb0ES6_jNS0_17counting_iteratorIjlEEPS9_SE_NS0_5tupleIJPjSE_EEENSF_IJSE_SE_EEES9_SG_JZNS1_25segmented_radix_sort_implINS0_14default_configELb0EPKiPiPKlPlN2at6native12_GLOBAL__N_18offset_tEEE10hipError_tPvRmT1_PNSt15iterator_traitsISY_E10value_typeET2_T3_PNSZ_IS14_E10value_typeET4_jRbjT5_S1A_jjP12ihipStream_tbEUljE_EEESV_SW_SX_S14_S18_S1A_T6_T7_T9_mT8_S1C_bDpT10_ENKUlT_T0_E_clISt17integral_constantIbLb0EES1P_EEDaS1K_S1L_EUlS1K_E_NS1_11comp_targetILNS1_3genE2ELNS1_11target_archE906ELNS1_3gpuE6ELNS1_3repE0EEENS1_30default_config_static_selectorELNS0_4arch9wavefront6targetE0EEEvSY_.kd
    .uniform_work_group_size: 1
    .uses_dynamic_stack: false
    .vgpr_count:     0
    .vgpr_spill_count: 0
    .wavefront_size: 32
    .workgroup_processor_mode: 1
  - .args:
      - .offset:         0
        .size:           144
        .value_kind:     by_value
    .group_segment_fixed_size: 0
    .kernarg_segment_align: 8
    .kernarg_segment_size: 144
    .language:       OpenCL C
    .language_version:
      - 2
      - 0
    .max_flat_workgroup_size: 256
    .name:           _ZN7rocprim17ROCPRIM_400000_NS6detail17trampoline_kernelINS0_13select_configILj256ELj13ELNS0_17block_load_methodE3ELS4_3ELS4_3ELNS0_20block_scan_algorithmE0ELj4294967295EEENS1_25partition_config_selectorILNS1_17partition_subalgoE3EjNS0_10empty_typeEbEEZZNS1_14partition_implILS8_3ELb0ES6_jNS0_17counting_iteratorIjlEEPS9_SE_NS0_5tupleIJPjSE_EEENSF_IJSE_SE_EEES9_SG_JZNS1_25segmented_radix_sort_implINS0_14default_configELb0EPKiPiPKlPlN2at6native12_GLOBAL__N_18offset_tEEE10hipError_tPvRmT1_PNSt15iterator_traitsISY_E10value_typeET2_T3_PNSZ_IS14_E10value_typeET4_jRbjT5_S1A_jjP12ihipStream_tbEUljE_EEESV_SW_SX_S14_S18_S1A_T6_T7_T9_mT8_S1C_bDpT10_ENKUlT_T0_E_clISt17integral_constantIbLb0EES1P_EEDaS1K_S1L_EUlS1K_E_NS1_11comp_targetILNS1_3genE10ELNS1_11target_archE1200ELNS1_3gpuE4ELNS1_3repE0EEENS1_30default_config_static_selectorELNS0_4arch9wavefront6targetE0EEEvSY_
    .private_segment_fixed_size: 0
    .sgpr_count:     0
    .sgpr_spill_count: 0
    .symbol:         _ZN7rocprim17ROCPRIM_400000_NS6detail17trampoline_kernelINS0_13select_configILj256ELj13ELNS0_17block_load_methodE3ELS4_3ELS4_3ELNS0_20block_scan_algorithmE0ELj4294967295EEENS1_25partition_config_selectorILNS1_17partition_subalgoE3EjNS0_10empty_typeEbEEZZNS1_14partition_implILS8_3ELb0ES6_jNS0_17counting_iteratorIjlEEPS9_SE_NS0_5tupleIJPjSE_EEENSF_IJSE_SE_EEES9_SG_JZNS1_25segmented_radix_sort_implINS0_14default_configELb0EPKiPiPKlPlN2at6native12_GLOBAL__N_18offset_tEEE10hipError_tPvRmT1_PNSt15iterator_traitsISY_E10value_typeET2_T3_PNSZ_IS14_E10value_typeET4_jRbjT5_S1A_jjP12ihipStream_tbEUljE_EEESV_SW_SX_S14_S18_S1A_T6_T7_T9_mT8_S1C_bDpT10_ENKUlT_T0_E_clISt17integral_constantIbLb0EES1P_EEDaS1K_S1L_EUlS1K_E_NS1_11comp_targetILNS1_3genE10ELNS1_11target_archE1200ELNS1_3gpuE4ELNS1_3repE0EEENS1_30default_config_static_selectorELNS0_4arch9wavefront6targetE0EEEvSY_.kd
    .uniform_work_group_size: 1
    .uses_dynamic_stack: false
    .vgpr_count:     0
    .vgpr_spill_count: 0
    .wavefront_size: 32
    .workgroup_processor_mode: 1
  - .args:
      - .offset:         0
        .size:           144
        .value_kind:     by_value
    .group_segment_fixed_size: 0
    .kernarg_segment_align: 8
    .kernarg_segment_size: 144
    .language:       OpenCL C
    .language_version:
      - 2
      - 0
    .max_flat_workgroup_size: 256
    .name:           _ZN7rocprim17ROCPRIM_400000_NS6detail17trampoline_kernelINS0_13select_configILj256ELj13ELNS0_17block_load_methodE3ELS4_3ELS4_3ELNS0_20block_scan_algorithmE0ELj4294967295EEENS1_25partition_config_selectorILNS1_17partition_subalgoE3EjNS0_10empty_typeEbEEZZNS1_14partition_implILS8_3ELb0ES6_jNS0_17counting_iteratorIjlEEPS9_SE_NS0_5tupleIJPjSE_EEENSF_IJSE_SE_EEES9_SG_JZNS1_25segmented_radix_sort_implINS0_14default_configELb0EPKiPiPKlPlN2at6native12_GLOBAL__N_18offset_tEEE10hipError_tPvRmT1_PNSt15iterator_traitsISY_E10value_typeET2_T3_PNSZ_IS14_E10value_typeET4_jRbjT5_S1A_jjP12ihipStream_tbEUljE_EEESV_SW_SX_S14_S18_S1A_T6_T7_T9_mT8_S1C_bDpT10_ENKUlT_T0_E_clISt17integral_constantIbLb0EES1P_EEDaS1K_S1L_EUlS1K_E_NS1_11comp_targetILNS1_3genE9ELNS1_11target_archE1100ELNS1_3gpuE3ELNS1_3repE0EEENS1_30default_config_static_selectorELNS0_4arch9wavefront6targetE0EEEvSY_
    .private_segment_fixed_size: 0
    .sgpr_count:     0
    .sgpr_spill_count: 0
    .symbol:         _ZN7rocprim17ROCPRIM_400000_NS6detail17trampoline_kernelINS0_13select_configILj256ELj13ELNS0_17block_load_methodE3ELS4_3ELS4_3ELNS0_20block_scan_algorithmE0ELj4294967295EEENS1_25partition_config_selectorILNS1_17partition_subalgoE3EjNS0_10empty_typeEbEEZZNS1_14partition_implILS8_3ELb0ES6_jNS0_17counting_iteratorIjlEEPS9_SE_NS0_5tupleIJPjSE_EEENSF_IJSE_SE_EEES9_SG_JZNS1_25segmented_radix_sort_implINS0_14default_configELb0EPKiPiPKlPlN2at6native12_GLOBAL__N_18offset_tEEE10hipError_tPvRmT1_PNSt15iterator_traitsISY_E10value_typeET2_T3_PNSZ_IS14_E10value_typeET4_jRbjT5_S1A_jjP12ihipStream_tbEUljE_EEESV_SW_SX_S14_S18_S1A_T6_T7_T9_mT8_S1C_bDpT10_ENKUlT_T0_E_clISt17integral_constantIbLb0EES1P_EEDaS1K_S1L_EUlS1K_E_NS1_11comp_targetILNS1_3genE9ELNS1_11target_archE1100ELNS1_3gpuE3ELNS1_3repE0EEENS1_30default_config_static_selectorELNS0_4arch9wavefront6targetE0EEEvSY_.kd
    .uniform_work_group_size: 1
    .uses_dynamic_stack: false
    .vgpr_count:     0
    .vgpr_spill_count: 0
    .wavefront_size: 32
    .workgroup_processor_mode: 1
  - .args:
      - .offset:         0
        .size:           144
        .value_kind:     by_value
    .group_segment_fixed_size: 13320
    .kernarg_segment_align: 8
    .kernarg_segment_size: 144
    .language:       OpenCL C
    .language_version:
      - 2
      - 0
    .max_flat_workgroup_size: 256
    .name:           _ZN7rocprim17ROCPRIM_400000_NS6detail17trampoline_kernelINS0_13select_configILj256ELj13ELNS0_17block_load_methodE3ELS4_3ELS4_3ELNS0_20block_scan_algorithmE0ELj4294967295EEENS1_25partition_config_selectorILNS1_17partition_subalgoE3EjNS0_10empty_typeEbEEZZNS1_14partition_implILS8_3ELb0ES6_jNS0_17counting_iteratorIjlEEPS9_SE_NS0_5tupleIJPjSE_EEENSF_IJSE_SE_EEES9_SG_JZNS1_25segmented_radix_sort_implINS0_14default_configELb0EPKiPiPKlPlN2at6native12_GLOBAL__N_18offset_tEEE10hipError_tPvRmT1_PNSt15iterator_traitsISY_E10value_typeET2_T3_PNSZ_IS14_E10value_typeET4_jRbjT5_S1A_jjP12ihipStream_tbEUljE_EEESV_SW_SX_S14_S18_S1A_T6_T7_T9_mT8_S1C_bDpT10_ENKUlT_T0_E_clISt17integral_constantIbLb0EES1P_EEDaS1K_S1L_EUlS1K_E_NS1_11comp_targetILNS1_3genE8ELNS1_11target_archE1030ELNS1_3gpuE2ELNS1_3repE0EEENS1_30default_config_static_selectorELNS0_4arch9wavefront6targetE0EEEvSY_
    .private_segment_fixed_size: 0
    .sgpr_count:     29
    .sgpr_spill_count: 0
    .symbol:         _ZN7rocprim17ROCPRIM_400000_NS6detail17trampoline_kernelINS0_13select_configILj256ELj13ELNS0_17block_load_methodE3ELS4_3ELS4_3ELNS0_20block_scan_algorithmE0ELj4294967295EEENS1_25partition_config_selectorILNS1_17partition_subalgoE3EjNS0_10empty_typeEbEEZZNS1_14partition_implILS8_3ELb0ES6_jNS0_17counting_iteratorIjlEEPS9_SE_NS0_5tupleIJPjSE_EEENSF_IJSE_SE_EEES9_SG_JZNS1_25segmented_radix_sort_implINS0_14default_configELb0EPKiPiPKlPlN2at6native12_GLOBAL__N_18offset_tEEE10hipError_tPvRmT1_PNSt15iterator_traitsISY_E10value_typeET2_T3_PNSZ_IS14_E10value_typeET4_jRbjT5_S1A_jjP12ihipStream_tbEUljE_EEESV_SW_SX_S14_S18_S1A_T6_T7_T9_mT8_S1C_bDpT10_ENKUlT_T0_E_clISt17integral_constantIbLb0EES1P_EEDaS1K_S1L_EUlS1K_E_NS1_11comp_targetILNS1_3genE8ELNS1_11target_archE1030ELNS1_3gpuE2ELNS1_3repE0EEENS1_30default_config_static_selectorELNS0_4arch9wavefront6targetE0EEEvSY_.kd
    .uniform_work_group_size: 1
    .uses_dynamic_stack: false
    .vgpr_count:     69
    .vgpr_spill_count: 0
    .wavefront_size: 32
    .workgroup_processor_mode: 1
  - .args:
      - .offset:         0
        .size:           152
        .value_kind:     by_value
    .group_segment_fixed_size: 0
    .kernarg_segment_align: 8
    .kernarg_segment_size: 152
    .language:       OpenCL C
    .language_version:
      - 2
      - 0
    .max_flat_workgroup_size: 256
    .name:           _ZN7rocprim17ROCPRIM_400000_NS6detail17trampoline_kernelINS0_13select_configILj256ELj13ELNS0_17block_load_methodE3ELS4_3ELS4_3ELNS0_20block_scan_algorithmE0ELj4294967295EEENS1_25partition_config_selectorILNS1_17partition_subalgoE3EjNS0_10empty_typeEbEEZZNS1_14partition_implILS8_3ELb0ES6_jNS0_17counting_iteratorIjlEEPS9_SE_NS0_5tupleIJPjSE_EEENSF_IJSE_SE_EEES9_SG_JZNS1_25segmented_radix_sort_implINS0_14default_configELb0EPKiPiPKlPlN2at6native12_GLOBAL__N_18offset_tEEE10hipError_tPvRmT1_PNSt15iterator_traitsISY_E10value_typeET2_T3_PNSZ_IS14_E10value_typeET4_jRbjT5_S1A_jjP12ihipStream_tbEUljE_EEESV_SW_SX_S14_S18_S1A_T6_T7_T9_mT8_S1C_bDpT10_ENKUlT_T0_E_clISt17integral_constantIbLb1EES1P_EEDaS1K_S1L_EUlS1K_E_NS1_11comp_targetILNS1_3genE0ELNS1_11target_archE4294967295ELNS1_3gpuE0ELNS1_3repE0EEENS1_30default_config_static_selectorELNS0_4arch9wavefront6targetE0EEEvSY_
    .private_segment_fixed_size: 0
    .sgpr_count:     0
    .sgpr_spill_count: 0
    .symbol:         _ZN7rocprim17ROCPRIM_400000_NS6detail17trampoline_kernelINS0_13select_configILj256ELj13ELNS0_17block_load_methodE3ELS4_3ELS4_3ELNS0_20block_scan_algorithmE0ELj4294967295EEENS1_25partition_config_selectorILNS1_17partition_subalgoE3EjNS0_10empty_typeEbEEZZNS1_14partition_implILS8_3ELb0ES6_jNS0_17counting_iteratorIjlEEPS9_SE_NS0_5tupleIJPjSE_EEENSF_IJSE_SE_EEES9_SG_JZNS1_25segmented_radix_sort_implINS0_14default_configELb0EPKiPiPKlPlN2at6native12_GLOBAL__N_18offset_tEEE10hipError_tPvRmT1_PNSt15iterator_traitsISY_E10value_typeET2_T3_PNSZ_IS14_E10value_typeET4_jRbjT5_S1A_jjP12ihipStream_tbEUljE_EEESV_SW_SX_S14_S18_S1A_T6_T7_T9_mT8_S1C_bDpT10_ENKUlT_T0_E_clISt17integral_constantIbLb1EES1P_EEDaS1K_S1L_EUlS1K_E_NS1_11comp_targetILNS1_3genE0ELNS1_11target_archE4294967295ELNS1_3gpuE0ELNS1_3repE0EEENS1_30default_config_static_selectorELNS0_4arch9wavefront6targetE0EEEvSY_.kd
    .uniform_work_group_size: 1
    .uses_dynamic_stack: false
    .vgpr_count:     0
    .vgpr_spill_count: 0
    .wavefront_size: 32
    .workgroup_processor_mode: 1
  - .args:
      - .offset:         0
        .size:           152
        .value_kind:     by_value
    .group_segment_fixed_size: 0
    .kernarg_segment_align: 8
    .kernarg_segment_size: 152
    .language:       OpenCL C
    .language_version:
      - 2
      - 0
    .max_flat_workgroup_size: 256
    .name:           _ZN7rocprim17ROCPRIM_400000_NS6detail17trampoline_kernelINS0_13select_configILj256ELj13ELNS0_17block_load_methodE3ELS4_3ELS4_3ELNS0_20block_scan_algorithmE0ELj4294967295EEENS1_25partition_config_selectorILNS1_17partition_subalgoE3EjNS0_10empty_typeEbEEZZNS1_14partition_implILS8_3ELb0ES6_jNS0_17counting_iteratorIjlEEPS9_SE_NS0_5tupleIJPjSE_EEENSF_IJSE_SE_EEES9_SG_JZNS1_25segmented_radix_sort_implINS0_14default_configELb0EPKiPiPKlPlN2at6native12_GLOBAL__N_18offset_tEEE10hipError_tPvRmT1_PNSt15iterator_traitsISY_E10value_typeET2_T3_PNSZ_IS14_E10value_typeET4_jRbjT5_S1A_jjP12ihipStream_tbEUljE_EEESV_SW_SX_S14_S18_S1A_T6_T7_T9_mT8_S1C_bDpT10_ENKUlT_T0_E_clISt17integral_constantIbLb1EES1P_EEDaS1K_S1L_EUlS1K_E_NS1_11comp_targetILNS1_3genE5ELNS1_11target_archE942ELNS1_3gpuE9ELNS1_3repE0EEENS1_30default_config_static_selectorELNS0_4arch9wavefront6targetE0EEEvSY_
    .private_segment_fixed_size: 0
    .sgpr_count:     0
    .sgpr_spill_count: 0
    .symbol:         _ZN7rocprim17ROCPRIM_400000_NS6detail17trampoline_kernelINS0_13select_configILj256ELj13ELNS0_17block_load_methodE3ELS4_3ELS4_3ELNS0_20block_scan_algorithmE0ELj4294967295EEENS1_25partition_config_selectorILNS1_17partition_subalgoE3EjNS0_10empty_typeEbEEZZNS1_14partition_implILS8_3ELb0ES6_jNS0_17counting_iteratorIjlEEPS9_SE_NS0_5tupleIJPjSE_EEENSF_IJSE_SE_EEES9_SG_JZNS1_25segmented_radix_sort_implINS0_14default_configELb0EPKiPiPKlPlN2at6native12_GLOBAL__N_18offset_tEEE10hipError_tPvRmT1_PNSt15iterator_traitsISY_E10value_typeET2_T3_PNSZ_IS14_E10value_typeET4_jRbjT5_S1A_jjP12ihipStream_tbEUljE_EEESV_SW_SX_S14_S18_S1A_T6_T7_T9_mT8_S1C_bDpT10_ENKUlT_T0_E_clISt17integral_constantIbLb1EES1P_EEDaS1K_S1L_EUlS1K_E_NS1_11comp_targetILNS1_3genE5ELNS1_11target_archE942ELNS1_3gpuE9ELNS1_3repE0EEENS1_30default_config_static_selectorELNS0_4arch9wavefront6targetE0EEEvSY_.kd
    .uniform_work_group_size: 1
    .uses_dynamic_stack: false
    .vgpr_count:     0
    .vgpr_spill_count: 0
    .wavefront_size: 32
    .workgroup_processor_mode: 1
  - .args:
      - .offset:         0
        .size:           152
        .value_kind:     by_value
    .group_segment_fixed_size: 0
    .kernarg_segment_align: 8
    .kernarg_segment_size: 152
    .language:       OpenCL C
    .language_version:
      - 2
      - 0
    .max_flat_workgroup_size: 256
    .name:           _ZN7rocprim17ROCPRIM_400000_NS6detail17trampoline_kernelINS0_13select_configILj256ELj13ELNS0_17block_load_methodE3ELS4_3ELS4_3ELNS0_20block_scan_algorithmE0ELj4294967295EEENS1_25partition_config_selectorILNS1_17partition_subalgoE3EjNS0_10empty_typeEbEEZZNS1_14partition_implILS8_3ELb0ES6_jNS0_17counting_iteratorIjlEEPS9_SE_NS0_5tupleIJPjSE_EEENSF_IJSE_SE_EEES9_SG_JZNS1_25segmented_radix_sort_implINS0_14default_configELb0EPKiPiPKlPlN2at6native12_GLOBAL__N_18offset_tEEE10hipError_tPvRmT1_PNSt15iterator_traitsISY_E10value_typeET2_T3_PNSZ_IS14_E10value_typeET4_jRbjT5_S1A_jjP12ihipStream_tbEUljE_EEESV_SW_SX_S14_S18_S1A_T6_T7_T9_mT8_S1C_bDpT10_ENKUlT_T0_E_clISt17integral_constantIbLb1EES1P_EEDaS1K_S1L_EUlS1K_E_NS1_11comp_targetILNS1_3genE4ELNS1_11target_archE910ELNS1_3gpuE8ELNS1_3repE0EEENS1_30default_config_static_selectorELNS0_4arch9wavefront6targetE0EEEvSY_
    .private_segment_fixed_size: 0
    .sgpr_count:     0
    .sgpr_spill_count: 0
    .symbol:         _ZN7rocprim17ROCPRIM_400000_NS6detail17trampoline_kernelINS0_13select_configILj256ELj13ELNS0_17block_load_methodE3ELS4_3ELS4_3ELNS0_20block_scan_algorithmE0ELj4294967295EEENS1_25partition_config_selectorILNS1_17partition_subalgoE3EjNS0_10empty_typeEbEEZZNS1_14partition_implILS8_3ELb0ES6_jNS0_17counting_iteratorIjlEEPS9_SE_NS0_5tupleIJPjSE_EEENSF_IJSE_SE_EEES9_SG_JZNS1_25segmented_radix_sort_implINS0_14default_configELb0EPKiPiPKlPlN2at6native12_GLOBAL__N_18offset_tEEE10hipError_tPvRmT1_PNSt15iterator_traitsISY_E10value_typeET2_T3_PNSZ_IS14_E10value_typeET4_jRbjT5_S1A_jjP12ihipStream_tbEUljE_EEESV_SW_SX_S14_S18_S1A_T6_T7_T9_mT8_S1C_bDpT10_ENKUlT_T0_E_clISt17integral_constantIbLb1EES1P_EEDaS1K_S1L_EUlS1K_E_NS1_11comp_targetILNS1_3genE4ELNS1_11target_archE910ELNS1_3gpuE8ELNS1_3repE0EEENS1_30default_config_static_selectorELNS0_4arch9wavefront6targetE0EEEvSY_.kd
    .uniform_work_group_size: 1
    .uses_dynamic_stack: false
    .vgpr_count:     0
    .vgpr_spill_count: 0
    .wavefront_size: 32
    .workgroup_processor_mode: 1
  - .args:
      - .offset:         0
        .size:           152
        .value_kind:     by_value
    .group_segment_fixed_size: 0
    .kernarg_segment_align: 8
    .kernarg_segment_size: 152
    .language:       OpenCL C
    .language_version:
      - 2
      - 0
    .max_flat_workgroup_size: 256
    .name:           _ZN7rocprim17ROCPRIM_400000_NS6detail17trampoline_kernelINS0_13select_configILj256ELj13ELNS0_17block_load_methodE3ELS4_3ELS4_3ELNS0_20block_scan_algorithmE0ELj4294967295EEENS1_25partition_config_selectorILNS1_17partition_subalgoE3EjNS0_10empty_typeEbEEZZNS1_14partition_implILS8_3ELb0ES6_jNS0_17counting_iteratorIjlEEPS9_SE_NS0_5tupleIJPjSE_EEENSF_IJSE_SE_EEES9_SG_JZNS1_25segmented_radix_sort_implINS0_14default_configELb0EPKiPiPKlPlN2at6native12_GLOBAL__N_18offset_tEEE10hipError_tPvRmT1_PNSt15iterator_traitsISY_E10value_typeET2_T3_PNSZ_IS14_E10value_typeET4_jRbjT5_S1A_jjP12ihipStream_tbEUljE_EEESV_SW_SX_S14_S18_S1A_T6_T7_T9_mT8_S1C_bDpT10_ENKUlT_T0_E_clISt17integral_constantIbLb1EES1P_EEDaS1K_S1L_EUlS1K_E_NS1_11comp_targetILNS1_3genE3ELNS1_11target_archE908ELNS1_3gpuE7ELNS1_3repE0EEENS1_30default_config_static_selectorELNS0_4arch9wavefront6targetE0EEEvSY_
    .private_segment_fixed_size: 0
    .sgpr_count:     0
    .sgpr_spill_count: 0
    .symbol:         _ZN7rocprim17ROCPRIM_400000_NS6detail17trampoline_kernelINS0_13select_configILj256ELj13ELNS0_17block_load_methodE3ELS4_3ELS4_3ELNS0_20block_scan_algorithmE0ELj4294967295EEENS1_25partition_config_selectorILNS1_17partition_subalgoE3EjNS0_10empty_typeEbEEZZNS1_14partition_implILS8_3ELb0ES6_jNS0_17counting_iteratorIjlEEPS9_SE_NS0_5tupleIJPjSE_EEENSF_IJSE_SE_EEES9_SG_JZNS1_25segmented_radix_sort_implINS0_14default_configELb0EPKiPiPKlPlN2at6native12_GLOBAL__N_18offset_tEEE10hipError_tPvRmT1_PNSt15iterator_traitsISY_E10value_typeET2_T3_PNSZ_IS14_E10value_typeET4_jRbjT5_S1A_jjP12ihipStream_tbEUljE_EEESV_SW_SX_S14_S18_S1A_T6_T7_T9_mT8_S1C_bDpT10_ENKUlT_T0_E_clISt17integral_constantIbLb1EES1P_EEDaS1K_S1L_EUlS1K_E_NS1_11comp_targetILNS1_3genE3ELNS1_11target_archE908ELNS1_3gpuE7ELNS1_3repE0EEENS1_30default_config_static_selectorELNS0_4arch9wavefront6targetE0EEEvSY_.kd
    .uniform_work_group_size: 1
    .uses_dynamic_stack: false
    .vgpr_count:     0
    .vgpr_spill_count: 0
    .wavefront_size: 32
    .workgroup_processor_mode: 1
  - .args:
      - .offset:         0
        .size:           152
        .value_kind:     by_value
    .group_segment_fixed_size: 0
    .kernarg_segment_align: 8
    .kernarg_segment_size: 152
    .language:       OpenCL C
    .language_version:
      - 2
      - 0
    .max_flat_workgroup_size: 256
    .name:           _ZN7rocprim17ROCPRIM_400000_NS6detail17trampoline_kernelINS0_13select_configILj256ELj13ELNS0_17block_load_methodE3ELS4_3ELS4_3ELNS0_20block_scan_algorithmE0ELj4294967295EEENS1_25partition_config_selectorILNS1_17partition_subalgoE3EjNS0_10empty_typeEbEEZZNS1_14partition_implILS8_3ELb0ES6_jNS0_17counting_iteratorIjlEEPS9_SE_NS0_5tupleIJPjSE_EEENSF_IJSE_SE_EEES9_SG_JZNS1_25segmented_radix_sort_implINS0_14default_configELb0EPKiPiPKlPlN2at6native12_GLOBAL__N_18offset_tEEE10hipError_tPvRmT1_PNSt15iterator_traitsISY_E10value_typeET2_T3_PNSZ_IS14_E10value_typeET4_jRbjT5_S1A_jjP12ihipStream_tbEUljE_EEESV_SW_SX_S14_S18_S1A_T6_T7_T9_mT8_S1C_bDpT10_ENKUlT_T0_E_clISt17integral_constantIbLb1EES1P_EEDaS1K_S1L_EUlS1K_E_NS1_11comp_targetILNS1_3genE2ELNS1_11target_archE906ELNS1_3gpuE6ELNS1_3repE0EEENS1_30default_config_static_selectorELNS0_4arch9wavefront6targetE0EEEvSY_
    .private_segment_fixed_size: 0
    .sgpr_count:     0
    .sgpr_spill_count: 0
    .symbol:         _ZN7rocprim17ROCPRIM_400000_NS6detail17trampoline_kernelINS0_13select_configILj256ELj13ELNS0_17block_load_methodE3ELS4_3ELS4_3ELNS0_20block_scan_algorithmE0ELj4294967295EEENS1_25partition_config_selectorILNS1_17partition_subalgoE3EjNS0_10empty_typeEbEEZZNS1_14partition_implILS8_3ELb0ES6_jNS0_17counting_iteratorIjlEEPS9_SE_NS0_5tupleIJPjSE_EEENSF_IJSE_SE_EEES9_SG_JZNS1_25segmented_radix_sort_implINS0_14default_configELb0EPKiPiPKlPlN2at6native12_GLOBAL__N_18offset_tEEE10hipError_tPvRmT1_PNSt15iterator_traitsISY_E10value_typeET2_T3_PNSZ_IS14_E10value_typeET4_jRbjT5_S1A_jjP12ihipStream_tbEUljE_EEESV_SW_SX_S14_S18_S1A_T6_T7_T9_mT8_S1C_bDpT10_ENKUlT_T0_E_clISt17integral_constantIbLb1EES1P_EEDaS1K_S1L_EUlS1K_E_NS1_11comp_targetILNS1_3genE2ELNS1_11target_archE906ELNS1_3gpuE6ELNS1_3repE0EEENS1_30default_config_static_selectorELNS0_4arch9wavefront6targetE0EEEvSY_.kd
    .uniform_work_group_size: 1
    .uses_dynamic_stack: false
    .vgpr_count:     0
    .vgpr_spill_count: 0
    .wavefront_size: 32
    .workgroup_processor_mode: 1
  - .args:
      - .offset:         0
        .size:           152
        .value_kind:     by_value
    .group_segment_fixed_size: 0
    .kernarg_segment_align: 8
    .kernarg_segment_size: 152
    .language:       OpenCL C
    .language_version:
      - 2
      - 0
    .max_flat_workgroup_size: 256
    .name:           _ZN7rocprim17ROCPRIM_400000_NS6detail17trampoline_kernelINS0_13select_configILj256ELj13ELNS0_17block_load_methodE3ELS4_3ELS4_3ELNS0_20block_scan_algorithmE0ELj4294967295EEENS1_25partition_config_selectorILNS1_17partition_subalgoE3EjNS0_10empty_typeEbEEZZNS1_14partition_implILS8_3ELb0ES6_jNS0_17counting_iteratorIjlEEPS9_SE_NS0_5tupleIJPjSE_EEENSF_IJSE_SE_EEES9_SG_JZNS1_25segmented_radix_sort_implINS0_14default_configELb0EPKiPiPKlPlN2at6native12_GLOBAL__N_18offset_tEEE10hipError_tPvRmT1_PNSt15iterator_traitsISY_E10value_typeET2_T3_PNSZ_IS14_E10value_typeET4_jRbjT5_S1A_jjP12ihipStream_tbEUljE_EEESV_SW_SX_S14_S18_S1A_T6_T7_T9_mT8_S1C_bDpT10_ENKUlT_T0_E_clISt17integral_constantIbLb1EES1P_EEDaS1K_S1L_EUlS1K_E_NS1_11comp_targetILNS1_3genE10ELNS1_11target_archE1200ELNS1_3gpuE4ELNS1_3repE0EEENS1_30default_config_static_selectorELNS0_4arch9wavefront6targetE0EEEvSY_
    .private_segment_fixed_size: 0
    .sgpr_count:     0
    .sgpr_spill_count: 0
    .symbol:         _ZN7rocprim17ROCPRIM_400000_NS6detail17trampoline_kernelINS0_13select_configILj256ELj13ELNS0_17block_load_methodE3ELS4_3ELS4_3ELNS0_20block_scan_algorithmE0ELj4294967295EEENS1_25partition_config_selectorILNS1_17partition_subalgoE3EjNS0_10empty_typeEbEEZZNS1_14partition_implILS8_3ELb0ES6_jNS0_17counting_iteratorIjlEEPS9_SE_NS0_5tupleIJPjSE_EEENSF_IJSE_SE_EEES9_SG_JZNS1_25segmented_radix_sort_implINS0_14default_configELb0EPKiPiPKlPlN2at6native12_GLOBAL__N_18offset_tEEE10hipError_tPvRmT1_PNSt15iterator_traitsISY_E10value_typeET2_T3_PNSZ_IS14_E10value_typeET4_jRbjT5_S1A_jjP12ihipStream_tbEUljE_EEESV_SW_SX_S14_S18_S1A_T6_T7_T9_mT8_S1C_bDpT10_ENKUlT_T0_E_clISt17integral_constantIbLb1EES1P_EEDaS1K_S1L_EUlS1K_E_NS1_11comp_targetILNS1_3genE10ELNS1_11target_archE1200ELNS1_3gpuE4ELNS1_3repE0EEENS1_30default_config_static_selectorELNS0_4arch9wavefront6targetE0EEEvSY_.kd
    .uniform_work_group_size: 1
    .uses_dynamic_stack: false
    .vgpr_count:     0
    .vgpr_spill_count: 0
    .wavefront_size: 32
    .workgroup_processor_mode: 1
  - .args:
      - .offset:         0
        .size:           152
        .value_kind:     by_value
    .group_segment_fixed_size: 0
    .kernarg_segment_align: 8
    .kernarg_segment_size: 152
    .language:       OpenCL C
    .language_version:
      - 2
      - 0
    .max_flat_workgroup_size: 256
    .name:           _ZN7rocprim17ROCPRIM_400000_NS6detail17trampoline_kernelINS0_13select_configILj256ELj13ELNS0_17block_load_methodE3ELS4_3ELS4_3ELNS0_20block_scan_algorithmE0ELj4294967295EEENS1_25partition_config_selectorILNS1_17partition_subalgoE3EjNS0_10empty_typeEbEEZZNS1_14partition_implILS8_3ELb0ES6_jNS0_17counting_iteratorIjlEEPS9_SE_NS0_5tupleIJPjSE_EEENSF_IJSE_SE_EEES9_SG_JZNS1_25segmented_radix_sort_implINS0_14default_configELb0EPKiPiPKlPlN2at6native12_GLOBAL__N_18offset_tEEE10hipError_tPvRmT1_PNSt15iterator_traitsISY_E10value_typeET2_T3_PNSZ_IS14_E10value_typeET4_jRbjT5_S1A_jjP12ihipStream_tbEUljE_EEESV_SW_SX_S14_S18_S1A_T6_T7_T9_mT8_S1C_bDpT10_ENKUlT_T0_E_clISt17integral_constantIbLb1EES1P_EEDaS1K_S1L_EUlS1K_E_NS1_11comp_targetILNS1_3genE9ELNS1_11target_archE1100ELNS1_3gpuE3ELNS1_3repE0EEENS1_30default_config_static_selectorELNS0_4arch9wavefront6targetE0EEEvSY_
    .private_segment_fixed_size: 0
    .sgpr_count:     0
    .sgpr_spill_count: 0
    .symbol:         _ZN7rocprim17ROCPRIM_400000_NS6detail17trampoline_kernelINS0_13select_configILj256ELj13ELNS0_17block_load_methodE3ELS4_3ELS4_3ELNS0_20block_scan_algorithmE0ELj4294967295EEENS1_25partition_config_selectorILNS1_17partition_subalgoE3EjNS0_10empty_typeEbEEZZNS1_14partition_implILS8_3ELb0ES6_jNS0_17counting_iteratorIjlEEPS9_SE_NS0_5tupleIJPjSE_EEENSF_IJSE_SE_EEES9_SG_JZNS1_25segmented_radix_sort_implINS0_14default_configELb0EPKiPiPKlPlN2at6native12_GLOBAL__N_18offset_tEEE10hipError_tPvRmT1_PNSt15iterator_traitsISY_E10value_typeET2_T3_PNSZ_IS14_E10value_typeET4_jRbjT5_S1A_jjP12ihipStream_tbEUljE_EEESV_SW_SX_S14_S18_S1A_T6_T7_T9_mT8_S1C_bDpT10_ENKUlT_T0_E_clISt17integral_constantIbLb1EES1P_EEDaS1K_S1L_EUlS1K_E_NS1_11comp_targetILNS1_3genE9ELNS1_11target_archE1100ELNS1_3gpuE3ELNS1_3repE0EEENS1_30default_config_static_selectorELNS0_4arch9wavefront6targetE0EEEvSY_.kd
    .uniform_work_group_size: 1
    .uses_dynamic_stack: false
    .vgpr_count:     0
    .vgpr_spill_count: 0
    .wavefront_size: 32
    .workgroup_processor_mode: 1
  - .args:
      - .offset:         0
        .size:           152
        .value_kind:     by_value
    .group_segment_fixed_size: 0
    .kernarg_segment_align: 8
    .kernarg_segment_size: 152
    .language:       OpenCL C
    .language_version:
      - 2
      - 0
    .max_flat_workgroup_size: 256
    .name:           _ZN7rocprim17ROCPRIM_400000_NS6detail17trampoline_kernelINS0_13select_configILj256ELj13ELNS0_17block_load_methodE3ELS4_3ELS4_3ELNS0_20block_scan_algorithmE0ELj4294967295EEENS1_25partition_config_selectorILNS1_17partition_subalgoE3EjNS0_10empty_typeEbEEZZNS1_14partition_implILS8_3ELb0ES6_jNS0_17counting_iteratorIjlEEPS9_SE_NS0_5tupleIJPjSE_EEENSF_IJSE_SE_EEES9_SG_JZNS1_25segmented_radix_sort_implINS0_14default_configELb0EPKiPiPKlPlN2at6native12_GLOBAL__N_18offset_tEEE10hipError_tPvRmT1_PNSt15iterator_traitsISY_E10value_typeET2_T3_PNSZ_IS14_E10value_typeET4_jRbjT5_S1A_jjP12ihipStream_tbEUljE_EEESV_SW_SX_S14_S18_S1A_T6_T7_T9_mT8_S1C_bDpT10_ENKUlT_T0_E_clISt17integral_constantIbLb1EES1P_EEDaS1K_S1L_EUlS1K_E_NS1_11comp_targetILNS1_3genE8ELNS1_11target_archE1030ELNS1_3gpuE2ELNS1_3repE0EEENS1_30default_config_static_selectorELNS0_4arch9wavefront6targetE0EEEvSY_
    .private_segment_fixed_size: 0
    .sgpr_count:     0
    .sgpr_spill_count: 0
    .symbol:         _ZN7rocprim17ROCPRIM_400000_NS6detail17trampoline_kernelINS0_13select_configILj256ELj13ELNS0_17block_load_methodE3ELS4_3ELS4_3ELNS0_20block_scan_algorithmE0ELj4294967295EEENS1_25partition_config_selectorILNS1_17partition_subalgoE3EjNS0_10empty_typeEbEEZZNS1_14partition_implILS8_3ELb0ES6_jNS0_17counting_iteratorIjlEEPS9_SE_NS0_5tupleIJPjSE_EEENSF_IJSE_SE_EEES9_SG_JZNS1_25segmented_radix_sort_implINS0_14default_configELb0EPKiPiPKlPlN2at6native12_GLOBAL__N_18offset_tEEE10hipError_tPvRmT1_PNSt15iterator_traitsISY_E10value_typeET2_T3_PNSZ_IS14_E10value_typeET4_jRbjT5_S1A_jjP12ihipStream_tbEUljE_EEESV_SW_SX_S14_S18_S1A_T6_T7_T9_mT8_S1C_bDpT10_ENKUlT_T0_E_clISt17integral_constantIbLb1EES1P_EEDaS1K_S1L_EUlS1K_E_NS1_11comp_targetILNS1_3genE8ELNS1_11target_archE1030ELNS1_3gpuE2ELNS1_3repE0EEENS1_30default_config_static_selectorELNS0_4arch9wavefront6targetE0EEEvSY_.kd
    .uniform_work_group_size: 1
    .uses_dynamic_stack: false
    .vgpr_count:     0
    .vgpr_spill_count: 0
    .wavefront_size: 32
    .workgroup_processor_mode: 1
  - .args:
      - .offset:         0
        .size:           144
        .value_kind:     by_value
    .group_segment_fixed_size: 0
    .kernarg_segment_align: 8
    .kernarg_segment_size: 144
    .language:       OpenCL C
    .language_version:
      - 2
      - 0
    .max_flat_workgroup_size: 256
    .name:           _ZN7rocprim17ROCPRIM_400000_NS6detail17trampoline_kernelINS0_13select_configILj256ELj13ELNS0_17block_load_methodE3ELS4_3ELS4_3ELNS0_20block_scan_algorithmE0ELj4294967295EEENS1_25partition_config_selectorILNS1_17partition_subalgoE3EjNS0_10empty_typeEbEEZZNS1_14partition_implILS8_3ELb0ES6_jNS0_17counting_iteratorIjlEEPS9_SE_NS0_5tupleIJPjSE_EEENSF_IJSE_SE_EEES9_SG_JZNS1_25segmented_radix_sort_implINS0_14default_configELb0EPKiPiPKlPlN2at6native12_GLOBAL__N_18offset_tEEE10hipError_tPvRmT1_PNSt15iterator_traitsISY_E10value_typeET2_T3_PNSZ_IS14_E10value_typeET4_jRbjT5_S1A_jjP12ihipStream_tbEUljE_EEESV_SW_SX_S14_S18_S1A_T6_T7_T9_mT8_S1C_bDpT10_ENKUlT_T0_E_clISt17integral_constantIbLb1EES1O_IbLb0EEEEDaS1K_S1L_EUlS1K_E_NS1_11comp_targetILNS1_3genE0ELNS1_11target_archE4294967295ELNS1_3gpuE0ELNS1_3repE0EEENS1_30default_config_static_selectorELNS0_4arch9wavefront6targetE0EEEvSY_
    .private_segment_fixed_size: 0
    .sgpr_count:     0
    .sgpr_spill_count: 0
    .symbol:         _ZN7rocprim17ROCPRIM_400000_NS6detail17trampoline_kernelINS0_13select_configILj256ELj13ELNS0_17block_load_methodE3ELS4_3ELS4_3ELNS0_20block_scan_algorithmE0ELj4294967295EEENS1_25partition_config_selectorILNS1_17partition_subalgoE3EjNS0_10empty_typeEbEEZZNS1_14partition_implILS8_3ELb0ES6_jNS0_17counting_iteratorIjlEEPS9_SE_NS0_5tupleIJPjSE_EEENSF_IJSE_SE_EEES9_SG_JZNS1_25segmented_radix_sort_implINS0_14default_configELb0EPKiPiPKlPlN2at6native12_GLOBAL__N_18offset_tEEE10hipError_tPvRmT1_PNSt15iterator_traitsISY_E10value_typeET2_T3_PNSZ_IS14_E10value_typeET4_jRbjT5_S1A_jjP12ihipStream_tbEUljE_EEESV_SW_SX_S14_S18_S1A_T6_T7_T9_mT8_S1C_bDpT10_ENKUlT_T0_E_clISt17integral_constantIbLb1EES1O_IbLb0EEEEDaS1K_S1L_EUlS1K_E_NS1_11comp_targetILNS1_3genE0ELNS1_11target_archE4294967295ELNS1_3gpuE0ELNS1_3repE0EEENS1_30default_config_static_selectorELNS0_4arch9wavefront6targetE0EEEvSY_.kd
    .uniform_work_group_size: 1
    .uses_dynamic_stack: false
    .vgpr_count:     0
    .vgpr_spill_count: 0
    .wavefront_size: 32
    .workgroup_processor_mode: 1
  - .args:
      - .offset:         0
        .size:           144
        .value_kind:     by_value
    .group_segment_fixed_size: 0
    .kernarg_segment_align: 8
    .kernarg_segment_size: 144
    .language:       OpenCL C
    .language_version:
      - 2
      - 0
    .max_flat_workgroup_size: 256
    .name:           _ZN7rocprim17ROCPRIM_400000_NS6detail17trampoline_kernelINS0_13select_configILj256ELj13ELNS0_17block_load_methodE3ELS4_3ELS4_3ELNS0_20block_scan_algorithmE0ELj4294967295EEENS1_25partition_config_selectorILNS1_17partition_subalgoE3EjNS0_10empty_typeEbEEZZNS1_14partition_implILS8_3ELb0ES6_jNS0_17counting_iteratorIjlEEPS9_SE_NS0_5tupleIJPjSE_EEENSF_IJSE_SE_EEES9_SG_JZNS1_25segmented_radix_sort_implINS0_14default_configELb0EPKiPiPKlPlN2at6native12_GLOBAL__N_18offset_tEEE10hipError_tPvRmT1_PNSt15iterator_traitsISY_E10value_typeET2_T3_PNSZ_IS14_E10value_typeET4_jRbjT5_S1A_jjP12ihipStream_tbEUljE_EEESV_SW_SX_S14_S18_S1A_T6_T7_T9_mT8_S1C_bDpT10_ENKUlT_T0_E_clISt17integral_constantIbLb1EES1O_IbLb0EEEEDaS1K_S1L_EUlS1K_E_NS1_11comp_targetILNS1_3genE5ELNS1_11target_archE942ELNS1_3gpuE9ELNS1_3repE0EEENS1_30default_config_static_selectorELNS0_4arch9wavefront6targetE0EEEvSY_
    .private_segment_fixed_size: 0
    .sgpr_count:     0
    .sgpr_spill_count: 0
    .symbol:         _ZN7rocprim17ROCPRIM_400000_NS6detail17trampoline_kernelINS0_13select_configILj256ELj13ELNS0_17block_load_methodE3ELS4_3ELS4_3ELNS0_20block_scan_algorithmE0ELj4294967295EEENS1_25partition_config_selectorILNS1_17partition_subalgoE3EjNS0_10empty_typeEbEEZZNS1_14partition_implILS8_3ELb0ES6_jNS0_17counting_iteratorIjlEEPS9_SE_NS0_5tupleIJPjSE_EEENSF_IJSE_SE_EEES9_SG_JZNS1_25segmented_radix_sort_implINS0_14default_configELb0EPKiPiPKlPlN2at6native12_GLOBAL__N_18offset_tEEE10hipError_tPvRmT1_PNSt15iterator_traitsISY_E10value_typeET2_T3_PNSZ_IS14_E10value_typeET4_jRbjT5_S1A_jjP12ihipStream_tbEUljE_EEESV_SW_SX_S14_S18_S1A_T6_T7_T9_mT8_S1C_bDpT10_ENKUlT_T0_E_clISt17integral_constantIbLb1EES1O_IbLb0EEEEDaS1K_S1L_EUlS1K_E_NS1_11comp_targetILNS1_3genE5ELNS1_11target_archE942ELNS1_3gpuE9ELNS1_3repE0EEENS1_30default_config_static_selectorELNS0_4arch9wavefront6targetE0EEEvSY_.kd
    .uniform_work_group_size: 1
    .uses_dynamic_stack: false
    .vgpr_count:     0
    .vgpr_spill_count: 0
    .wavefront_size: 32
    .workgroup_processor_mode: 1
  - .args:
      - .offset:         0
        .size:           144
        .value_kind:     by_value
    .group_segment_fixed_size: 0
    .kernarg_segment_align: 8
    .kernarg_segment_size: 144
    .language:       OpenCL C
    .language_version:
      - 2
      - 0
    .max_flat_workgroup_size: 256
    .name:           _ZN7rocprim17ROCPRIM_400000_NS6detail17trampoline_kernelINS0_13select_configILj256ELj13ELNS0_17block_load_methodE3ELS4_3ELS4_3ELNS0_20block_scan_algorithmE0ELj4294967295EEENS1_25partition_config_selectorILNS1_17partition_subalgoE3EjNS0_10empty_typeEbEEZZNS1_14partition_implILS8_3ELb0ES6_jNS0_17counting_iteratorIjlEEPS9_SE_NS0_5tupleIJPjSE_EEENSF_IJSE_SE_EEES9_SG_JZNS1_25segmented_radix_sort_implINS0_14default_configELb0EPKiPiPKlPlN2at6native12_GLOBAL__N_18offset_tEEE10hipError_tPvRmT1_PNSt15iterator_traitsISY_E10value_typeET2_T3_PNSZ_IS14_E10value_typeET4_jRbjT5_S1A_jjP12ihipStream_tbEUljE_EEESV_SW_SX_S14_S18_S1A_T6_T7_T9_mT8_S1C_bDpT10_ENKUlT_T0_E_clISt17integral_constantIbLb1EES1O_IbLb0EEEEDaS1K_S1L_EUlS1K_E_NS1_11comp_targetILNS1_3genE4ELNS1_11target_archE910ELNS1_3gpuE8ELNS1_3repE0EEENS1_30default_config_static_selectorELNS0_4arch9wavefront6targetE0EEEvSY_
    .private_segment_fixed_size: 0
    .sgpr_count:     0
    .sgpr_spill_count: 0
    .symbol:         _ZN7rocprim17ROCPRIM_400000_NS6detail17trampoline_kernelINS0_13select_configILj256ELj13ELNS0_17block_load_methodE3ELS4_3ELS4_3ELNS0_20block_scan_algorithmE0ELj4294967295EEENS1_25partition_config_selectorILNS1_17partition_subalgoE3EjNS0_10empty_typeEbEEZZNS1_14partition_implILS8_3ELb0ES6_jNS0_17counting_iteratorIjlEEPS9_SE_NS0_5tupleIJPjSE_EEENSF_IJSE_SE_EEES9_SG_JZNS1_25segmented_radix_sort_implINS0_14default_configELb0EPKiPiPKlPlN2at6native12_GLOBAL__N_18offset_tEEE10hipError_tPvRmT1_PNSt15iterator_traitsISY_E10value_typeET2_T3_PNSZ_IS14_E10value_typeET4_jRbjT5_S1A_jjP12ihipStream_tbEUljE_EEESV_SW_SX_S14_S18_S1A_T6_T7_T9_mT8_S1C_bDpT10_ENKUlT_T0_E_clISt17integral_constantIbLb1EES1O_IbLb0EEEEDaS1K_S1L_EUlS1K_E_NS1_11comp_targetILNS1_3genE4ELNS1_11target_archE910ELNS1_3gpuE8ELNS1_3repE0EEENS1_30default_config_static_selectorELNS0_4arch9wavefront6targetE0EEEvSY_.kd
    .uniform_work_group_size: 1
    .uses_dynamic_stack: false
    .vgpr_count:     0
    .vgpr_spill_count: 0
    .wavefront_size: 32
    .workgroup_processor_mode: 1
  - .args:
      - .offset:         0
        .size:           144
        .value_kind:     by_value
    .group_segment_fixed_size: 0
    .kernarg_segment_align: 8
    .kernarg_segment_size: 144
    .language:       OpenCL C
    .language_version:
      - 2
      - 0
    .max_flat_workgroup_size: 256
    .name:           _ZN7rocprim17ROCPRIM_400000_NS6detail17trampoline_kernelINS0_13select_configILj256ELj13ELNS0_17block_load_methodE3ELS4_3ELS4_3ELNS0_20block_scan_algorithmE0ELj4294967295EEENS1_25partition_config_selectorILNS1_17partition_subalgoE3EjNS0_10empty_typeEbEEZZNS1_14partition_implILS8_3ELb0ES6_jNS0_17counting_iteratorIjlEEPS9_SE_NS0_5tupleIJPjSE_EEENSF_IJSE_SE_EEES9_SG_JZNS1_25segmented_radix_sort_implINS0_14default_configELb0EPKiPiPKlPlN2at6native12_GLOBAL__N_18offset_tEEE10hipError_tPvRmT1_PNSt15iterator_traitsISY_E10value_typeET2_T3_PNSZ_IS14_E10value_typeET4_jRbjT5_S1A_jjP12ihipStream_tbEUljE_EEESV_SW_SX_S14_S18_S1A_T6_T7_T9_mT8_S1C_bDpT10_ENKUlT_T0_E_clISt17integral_constantIbLb1EES1O_IbLb0EEEEDaS1K_S1L_EUlS1K_E_NS1_11comp_targetILNS1_3genE3ELNS1_11target_archE908ELNS1_3gpuE7ELNS1_3repE0EEENS1_30default_config_static_selectorELNS0_4arch9wavefront6targetE0EEEvSY_
    .private_segment_fixed_size: 0
    .sgpr_count:     0
    .sgpr_spill_count: 0
    .symbol:         _ZN7rocprim17ROCPRIM_400000_NS6detail17trampoline_kernelINS0_13select_configILj256ELj13ELNS0_17block_load_methodE3ELS4_3ELS4_3ELNS0_20block_scan_algorithmE0ELj4294967295EEENS1_25partition_config_selectorILNS1_17partition_subalgoE3EjNS0_10empty_typeEbEEZZNS1_14partition_implILS8_3ELb0ES6_jNS0_17counting_iteratorIjlEEPS9_SE_NS0_5tupleIJPjSE_EEENSF_IJSE_SE_EEES9_SG_JZNS1_25segmented_radix_sort_implINS0_14default_configELb0EPKiPiPKlPlN2at6native12_GLOBAL__N_18offset_tEEE10hipError_tPvRmT1_PNSt15iterator_traitsISY_E10value_typeET2_T3_PNSZ_IS14_E10value_typeET4_jRbjT5_S1A_jjP12ihipStream_tbEUljE_EEESV_SW_SX_S14_S18_S1A_T6_T7_T9_mT8_S1C_bDpT10_ENKUlT_T0_E_clISt17integral_constantIbLb1EES1O_IbLb0EEEEDaS1K_S1L_EUlS1K_E_NS1_11comp_targetILNS1_3genE3ELNS1_11target_archE908ELNS1_3gpuE7ELNS1_3repE0EEENS1_30default_config_static_selectorELNS0_4arch9wavefront6targetE0EEEvSY_.kd
    .uniform_work_group_size: 1
    .uses_dynamic_stack: false
    .vgpr_count:     0
    .vgpr_spill_count: 0
    .wavefront_size: 32
    .workgroup_processor_mode: 1
  - .args:
      - .offset:         0
        .size:           144
        .value_kind:     by_value
    .group_segment_fixed_size: 0
    .kernarg_segment_align: 8
    .kernarg_segment_size: 144
    .language:       OpenCL C
    .language_version:
      - 2
      - 0
    .max_flat_workgroup_size: 256
    .name:           _ZN7rocprim17ROCPRIM_400000_NS6detail17trampoline_kernelINS0_13select_configILj256ELj13ELNS0_17block_load_methodE3ELS4_3ELS4_3ELNS0_20block_scan_algorithmE0ELj4294967295EEENS1_25partition_config_selectorILNS1_17partition_subalgoE3EjNS0_10empty_typeEbEEZZNS1_14partition_implILS8_3ELb0ES6_jNS0_17counting_iteratorIjlEEPS9_SE_NS0_5tupleIJPjSE_EEENSF_IJSE_SE_EEES9_SG_JZNS1_25segmented_radix_sort_implINS0_14default_configELb0EPKiPiPKlPlN2at6native12_GLOBAL__N_18offset_tEEE10hipError_tPvRmT1_PNSt15iterator_traitsISY_E10value_typeET2_T3_PNSZ_IS14_E10value_typeET4_jRbjT5_S1A_jjP12ihipStream_tbEUljE_EEESV_SW_SX_S14_S18_S1A_T6_T7_T9_mT8_S1C_bDpT10_ENKUlT_T0_E_clISt17integral_constantIbLb1EES1O_IbLb0EEEEDaS1K_S1L_EUlS1K_E_NS1_11comp_targetILNS1_3genE2ELNS1_11target_archE906ELNS1_3gpuE6ELNS1_3repE0EEENS1_30default_config_static_selectorELNS0_4arch9wavefront6targetE0EEEvSY_
    .private_segment_fixed_size: 0
    .sgpr_count:     0
    .sgpr_spill_count: 0
    .symbol:         _ZN7rocprim17ROCPRIM_400000_NS6detail17trampoline_kernelINS0_13select_configILj256ELj13ELNS0_17block_load_methodE3ELS4_3ELS4_3ELNS0_20block_scan_algorithmE0ELj4294967295EEENS1_25partition_config_selectorILNS1_17partition_subalgoE3EjNS0_10empty_typeEbEEZZNS1_14partition_implILS8_3ELb0ES6_jNS0_17counting_iteratorIjlEEPS9_SE_NS0_5tupleIJPjSE_EEENSF_IJSE_SE_EEES9_SG_JZNS1_25segmented_radix_sort_implINS0_14default_configELb0EPKiPiPKlPlN2at6native12_GLOBAL__N_18offset_tEEE10hipError_tPvRmT1_PNSt15iterator_traitsISY_E10value_typeET2_T3_PNSZ_IS14_E10value_typeET4_jRbjT5_S1A_jjP12ihipStream_tbEUljE_EEESV_SW_SX_S14_S18_S1A_T6_T7_T9_mT8_S1C_bDpT10_ENKUlT_T0_E_clISt17integral_constantIbLb1EES1O_IbLb0EEEEDaS1K_S1L_EUlS1K_E_NS1_11comp_targetILNS1_3genE2ELNS1_11target_archE906ELNS1_3gpuE6ELNS1_3repE0EEENS1_30default_config_static_selectorELNS0_4arch9wavefront6targetE0EEEvSY_.kd
    .uniform_work_group_size: 1
    .uses_dynamic_stack: false
    .vgpr_count:     0
    .vgpr_spill_count: 0
    .wavefront_size: 32
    .workgroup_processor_mode: 1
  - .args:
      - .offset:         0
        .size:           144
        .value_kind:     by_value
    .group_segment_fixed_size: 0
    .kernarg_segment_align: 8
    .kernarg_segment_size: 144
    .language:       OpenCL C
    .language_version:
      - 2
      - 0
    .max_flat_workgroup_size: 256
    .name:           _ZN7rocprim17ROCPRIM_400000_NS6detail17trampoline_kernelINS0_13select_configILj256ELj13ELNS0_17block_load_methodE3ELS4_3ELS4_3ELNS0_20block_scan_algorithmE0ELj4294967295EEENS1_25partition_config_selectorILNS1_17partition_subalgoE3EjNS0_10empty_typeEbEEZZNS1_14partition_implILS8_3ELb0ES6_jNS0_17counting_iteratorIjlEEPS9_SE_NS0_5tupleIJPjSE_EEENSF_IJSE_SE_EEES9_SG_JZNS1_25segmented_radix_sort_implINS0_14default_configELb0EPKiPiPKlPlN2at6native12_GLOBAL__N_18offset_tEEE10hipError_tPvRmT1_PNSt15iterator_traitsISY_E10value_typeET2_T3_PNSZ_IS14_E10value_typeET4_jRbjT5_S1A_jjP12ihipStream_tbEUljE_EEESV_SW_SX_S14_S18_S1A_T6_T7_T9_mT8_S1C_bDpT10_ENKUlT_T0_E_clISt17integral_constantIbLb1EES1O_IbLb0EEEEDaS1K_S1L_EUlS1K_E_NS1_11comp_targetILNS1_3genE10ELNS1_11target_archE1200ELNS1_3gpuE4ELNS1_3repE0EEENS1_30default_config_static_selectorELNS0_4arch9wavefront6targetE0EEEvSY_
    .private_segment_fixed_size: 0
    .sgpr_count:     0
    .sgpr_spill_count: 0
    .symbol:         _ZN7rocprim17ROCPRIM_400000_NS6detail17trampoline_kernelINS0_13select_configILj256ELj13ELNS0_17block_load_methodE3ELS4_3ELS4_3ELNS0_20block_scan_algorithmE0ELj4294967295EEENS1_25partition_config_selectorILNS1_17partition_subalgoE3EjNS0_10empty_typeEbEEZZNS1_14partition_implILS8_3ELb0ES6_jNS0_17counting_iteratorIjlEEPS9_SE_NS0_5tupleIJPjSE_EEENSF_IJSE_SE_EEES9_SG_JZNS1_25segmented_radix_sort_implINS0_14default_configELb0EPKiPiPKlPlN2at6native12_GLOBAL__N_18offset_tEEE10hipError_tPvRmT1_PNSt15iterator_traitsISY_E10value_typeET2_T3_PNSZ_IS14_E10value_typeET4_jRbjT5_S1A_jjP12ihipStream_tbEUljE_EEESV_SW_SX_S14_S18_S1A_T6_T7_T9_mT8_S1C_bDpT10_ENKUlT_T0_E_clISt17integral_constantIbLb1EES1O_IbLb0EEEEDaS1K_S1L_EUlS1K_E_NS1_11comp_targetILNS1_3genE10ELNS1_11target_archE1200ELNS1_3gpuE4ELNS1_3repE0EEENS1_30default_config_static_selectorELNS0_4arch9wavefront6targetE0EEEvSY_.kd
    .uniform_work_group_size: 1
    .uses_dynamic_stack: false
    .vgpr_count:     0
    .vgpr_spill_count: 0
    .wavefront_size: 32
    .workgroup_processor_mode: 1
  - .args:
      - .offset:         0
        .size:           144
        .value_kind:     by_value
    .group_segment_fixed_size: 0
    .kernarg_segment_align: 8
    .kernarg_segment_size: 144
    .language:       OpenCL C
    .language_version:
      - 2
      - 0
    .max_flat_workgroup_size: 256
    .name:           _ZN7rocprim17ROCPRIM_400000_NS6detail17trampoline_kernelINS0_13select_configILj256ELj13ELNS0_17block_load_methodE3ELS4_3ELS4_3ELNS0_20block_scan_algorithmE0ELj4294967295EEENS1_25partition_config_selectorILNS1_17partition_subalgoE3EjNS0_10empty_typeEbEEZZNS1_14partition_implILS8_3ELb0ES6_jNS0_17counting_iteratorIjlEEPS9_SE_NS0_5tupleIJPjSE_EEENSF_IJSE_SE_EEES9_SG_JZNS1_25segmented_radix_sort_implINS0_14default_configELb0EPKiPiPKlPlN2at6native12_GLOBAL__N_18offset_tEEE10hipError_tPvRmT1_PNSt15iterator_traitsISY_E10value_typeET2_T3_PNSZ_IS14_E10value_typeET4_jRbjT5_S1A_jjP12ihipStream_tbEUljE_EEESV_SW_SX_S14_S18_S1A_T6_T7_T9_mT8_S1C_bDpT10_ENKUlT_T0_E_clISt17integral_constantIbLb1EES1O_IbLb0EEEEDaS1K_S1L_EUlS1K_E_NS1_11comp_targetILNS1_3genE9ELNS1_11target_archE1100ELNS1_3gpuE3ELNS1_3repE0EEENS1_30default_config_static_selectorELNS0_4arch9wavefront6targetE0EEEvSY_
    .private_segment_fixed_size: 0
    .sgpr_count:     0
    .sgpr_spill_count: 0
    .symbol:         _ZN7rocprim17ROCPRIM_400000_NS6detail17trampoline_kernelINS0_13select_configILj256ELj13ELNS0_17block_load_methodE3ELS4_3ELS4_3ELNS0_20block_scan_algorithmE0ELj4294967295EEENS1_25partition_config_selectorILNS1_17partition_subalgoE3EjNS0_10empty_typeEbEEZZNS1_14partition_implILS8_3ELb0ES6_jNS0_17counting_iteratorIjlEEPS9_SE_NS0_5tupleIJPjSE_EEENSF_IJSE_SE_EEES9_SG_JZNS1_25segmented_radix_sort_implINS0_14default_configELb0EPKiPiPKlPlN2at6native12_GLOBAL__N_18offset_tEEE10hipError_tPvRmT1_PNSt15iterator_traitsISY_E10value_typeET2_T3_PNSZ_IS14_E10value_typeET4_jRbjT5_S1A_jjP12ihipStream_tbEUljE_EEESV_SW_SX_S14_S18_S1A_T6_T7_T9_mT8_S1C_bDpT10_ENKUlT_T0_E_clISt17integral_constantIbLb1EES1O_IbLb0EEEEDaS1K_S1L_EUlS1K_E_NS1_11comp_targetILNS1_3genE9ELNS1_11target_archE1100ELNS1_3gpuE3ELNS1_3repE0EEENS1_30default_config_static_selectorELNS0_4arch9wavefront6targetE0EEEvSY_.kd
    .uniform_work_group_size: 1
    .uses_dynamic_stack: false
    .vgpr_count:     0
    .vgpr_spill_count: 0
    .wavefront_size: 32
    .workgroup_processor_mode: 1
  - .args:
      - .offset:         0
        .size:           144
        .value_kind:     by_value
    .group_segment_fixed_size: 0
    .kernarg_segment_align: 8
    .kernarg_segment_size: 144
    .language:       OpenCL C
    .language_version:
      - 2
      - 0
    .max_flat_workgroup_size: 256
    .name:           _ZN7rocprim17ROCPRIM_400000_NS6detail17trampoline_kernelINS0_13select_configILj256ELj13ELNS0_17block_load_methodE3ELS4_3ELS4_3ELNS0_20block_scan_algorithmE0ELj4294967295EEENS1_25partition_config_selectorILNS1_17partition_subalgoE3EjNS0_10empty_typeEbEEZZNS1_14partition_implILS8_3ELb0ES6_jNS0_17counting_iteratorIjlEEPS9_SE_NS0_5tupleIJPjSE_EEENSF_IJSE_SE_EEES9_SG_JZNS1_25segmented_radix_sort_implINS0_14default_configELb0EPKiPiPKlPlN2at6native12_GLOBAL__N_18offset_tEEE10hipError_tPvRmT1_PNSt15iterator_traitsISY_E10value_typeET2_T3_PNSZ_IS14_E10value_typeET4_jRbjT5_S1A_jjP12ihipStream_tbEUljE_EEESV_SW_SX_S14_S18_S1A_T6_T7_T9_mT8_S1C_bDpT10_ENKUlT_T0_E_clISt17integral_constantIbLb1EES1O_IbLb0EEEEDaS1K_S1L_EUlS1K_E_NS1_11comp_targetILNS1_3genE8ELNS1_11target_archE1030ELNS1_3gpuE2ELNS1_3repE0EEENS1_30default_config_static_selectorELNS0_4arch9wavefront6targetE0EEEvSY_
    .private_segment_fixed_size: 0
    .sgpr_count:     0
    .sgpr_spill_count: 0
    .symbol:         _ZN7rocprim17ROCPRIM_400000_NS6detail17trampoline_kernelINS0_13select_configILj256ELj13ELNS0_17block_load_methodE3ELS4_3ELS4_3ELNS0_20block_scan_algorithmE0ELj4294967295EEENS1_25partition_config_selectorILNS1_17partition_subalgoE3EjNS0_10empty_typeEbEEZZNS1_14partition_implILS8_3ELb0ES6_jNS0_17counting_iteratorIjlEEPS9_SE_NS0_5tupleIJPjSE_EEENSF_IJSE_SE_EEES9_SG_JZNS1_25segmented_radix_sort_implINS0_14default_configELb0EPKiPiPKlPlN2at6native12_GLOBAL__N_18offset_tEEE10hipError_tPvRmT1_PNSt15iterator_traitsISY_E10value_typeET2_T3_PNSZ_IS14_E10value_typeET4_jRbjT5_S1A_jjP12ihipStream_tbEUljE_EEESV_SW_SX_S14_S18_S1A_T6_T7_T9_mT8_S1C_bDpT10_ENKUlT_T0_E_clISt17integral_constantIbLb1EES1O_IbLb0EEEEDaS1K_S1L_EUlS1K_E_NS1_11comp_targetILNS1_3genE8ELNS1_11target_archE1030ELNS1_3gpuE2ELNS1_3repE0EEENS1_30default_config_static_selectorELNS0_4arch9wavefront6targetE0EEEvSY_.kd
    .uniform_work_group_size: 1
    .uses_dynamic_stack: false
    .vgpr_count:     0
    .vgpr_spill_count: 0
    .wavefront_size: 32
    .workgroup_processor_mode: 1
  - .args:
      - .offset:         0
        .size:           152
        .value_kind:     by_value
    .group_segment_fixed_size: 0
    .kernarg_segment_align: 8
    .kernarg_segment_size: 152
    .language:       OpenCL C
    .language_version:
      - 2
      - 0
    .max_flat_workgroup_size: 256
    .name:           _ZN7rocprim17ROCPRIM_400000_NS6detail17trampoline_kernelINS0_13select_configILj256ELj13ELNS0_17block_load_methodE3ELS4_3ELS4_3ELNS0_20block_scan_algorithmE0ELj4294967295EEENS1_25partition_config_selectorILNS1_17partition_subalgoE3EjNS0_10empty_typeEbEEZZNS1_14partition_implILS8_3ELb0ES6_jNS0_17counting_iteratorIjlEEPS9_SE_NS0_5tupleIJPjSE_EEENSF_IJSE_SE_EEES9_SG_JZNS1_25segmented_radix_sort_implINS0_14default_configELb0EPKiPiPKlPlN2at6native12_GLOBAL__N_18offset_tEEE10hipError_tPvRmT1_PNSt15iterator_traitsISY_E10value_typeET2_T3_PNSZ_IS14_E10value_typeET4_jRbjT5_S1A_jjP12ihipStream_tbEUljE_EEESV_SW_SX_S14_S18_S1A_T6_T7_T9_mT8_S1C_bDpT10_ENKUlT_T0_E_clISt17integral_constantIbLb0EES1O_IbLb1EEEEDaS1K_S1L_EUlS1K_E_NS1_11comp_targetILNS1_3genE0ELNS1_11target_archE4294967295ELNS1_3gpuE0ELNS1_3repE0EEENS1_30default_config_static_selectorELNS0_4arch9wavefront6targetE0EEEvSY_
    .private_segment_fixed_size: 0
    .sgpr_count:     0
    .sgpr_spill_count: 0
    .symbol:         _ZN7rocprim17ROCPRIM_400000_NS6detail17trampoline_kernelINS0_13select_configILj256ELj13ELNS0_17block_load_methodE3ELS4_3ELS4_3ELNS0_20block_scan_algorithmE0ELj4294967295EEENS1_25partition_config_selectorILNS1_17partition_subalgoE3EjNS0_10empty_typeEbEEZZNS1_14partition_implILS8_3ELb0ES6_jNS0_17counting_iteratorIjlEEPS9_SE_NS0_5tupleIJPjSE_EEENSF_IJSE_SE_EEES9_SG_JZNS1_25segmented_radix_sort_implINS0_14default_configELb0EPKiPiPKlPlN2at6native12_GLOBAL__N_18offset_tEEE10hipError_tPvRmT1_PNSt15iterator_traitsISY_E10value_typeET2_T3_PNSZ_IS14_E10value_typeET4_jRbjT5_S1A_jjP12ihipStream_tbEUljE_EEESV_SW_SX_S14_S18_S1A_T6_T7_T9_mT8_S1C_bDpT10_ENKUlT_T0_E_clISt17integral_constantIbLb0EES1O_IbLb1EEEEDaS1K_S1L_EUlS1K_E_NS1_11comp_targetILNS1_3genE0ELNS1_11target_archE4294967295ELNS1_3gpuE0ELNS1_3repE0EEENS1_30default_config_static_selectorELNS0_4arch9wavefront6targetE0EEEvSY_.kd
    .uniform_work_group_size: 1
    .uses_dynamic_stack: false
    .vgpr_count:     0
    .vgpr_spill_count: 0
    .wavefront_size: 32
    .workgroup_processor_mode: 1
  - .args:
      - .offset:         0
        .size:           152
        .value_kind:     by_value
    .group_segment_fixed_size: 0
    .kernarg_segment_align: 8
    .kernarg_segment_size: 152
    .language:       OpenCL C
    .language_version:
      - 2
      - 0
    .max_flat_workgroup_size: 256
    .name:           _ZN7rocprim17ROCPRIM_400000_NS6detail17trampoline_kernelINS0_13select_configILj256ELj13ELNS0_17block_load_methodE3ELS4_3ELS4_3ELNS0_20block_scan_algorithmE0ELj4294967295EEENS1_25partition_config_selectorILNS1_17partition_subalgoE3EjNS0_10empty_typeEbEEZZNS1_14partition_implILS8_3ELb0ES6_jNS0_17counting_iteratorIjlEEPS9_SE_NS0_5tupleIJPjSE_EEENSF_IJSE_SE_EEES9_SG_JZNS1_25segmented_radix_sort_implINS0_14default_configELb0EPKiPiPKlPlN2at6native12_GLOBAL__N_18offset_tEEE10hipError_tPvRmT1_PNSt15iterator_traitsISY_E10value_typeET2_T3_PNSZ_IS14_E10value_typeET4_jRbjT5_S1A_jjP12ihipStream_tbEUljE_EEESV_SW_SX_S14_S18_S1A_T6_T7_T9_mT8_S1C_bDpT10_ENKUlT_T0_E_clISt17integral_constantIbLb0EES1O_IbLb1EEEEDaS1K_S1L_EUlS1K_E_NS1_11comp_targetILNS1_3genE5ELNS1_11target_archE942ELNS1_3gpuE9ELNS1_3repE0EEENS1_30default_config_static_selectorELNS0_4arch9wavefront6targetE0EEEvSY_
    .private_segment_fixed_size: 0
    .sgpr_count:     0
    .sgpr_spill_count: 0
    .symbol:         _ZN7rocprim17ROCPRIM_400000_NS6detail17trampoline_kernelINS0_13select_configILj256ELj13ELNS0_17block_load_methodE3ELS4_3ELS4_3ELNS0_20block_scan_algorithmE0ELj4294967295EEENS1_25partition_config_selectorILNS1_17partition_subalgoE3EjNS0_10empty_typeEbEEZZNS1_14partition_implILS8_3ELb0ES6_jNS0_17counting_iteratorIjlEEPS9_SE_NS0_5tupleIJPjSE_EEENSF_IJSE_SE_EEES9_SG_JZNS1_25segmented_radix_sort_implINS0_14default_configELb0EPKiPiPKlPlN2at6native12_GLOBAL__N_18offset_tEEE10hipError_tPvRmT1_PNSt15iterator_traitsISY_E10value_typeET2_T3_PNSZ_IS14_E10value_typeET4_jRbjT5_S1A_jjP12ihipStream_tbEUljE_EEESV_SW_SX_S14_S18_S1A_T6_T7_T9_mT8_S1C_bDpT10_ENKUlT_T0_E_clISt17integral_constantIbLb0EES1O_IbLb1EEEEDaS1K_S1L_EUlS1K_E_NS1_11comp_targetILNS1_3genE5ELNS1_11target_archE942ELNS1_3gpuE9ELNS1_3repE0EEENS1_30default_config_static_selectorELNS0_4arch9wavefront6targetE0EEEvSY_.kd
    .uniform_work_group_size: 1
    .uses_dynamic_stack: false
    .vgpr_count:     0
    .vgpr_spill_count: 0
    .wavefront_size: 32
    .workgroup_processor_mode: 1
  - .args:
      - .offset:         0
        .size:           152
        .value_kind:     by_value
    .group_segment_fixed_size: 0
    .kernarg_segment_align: 8
    .kernarg_segment_size: 152
    .language:       OpenCL C
    .language_version:
      - 2
      - 0
    .max_flat_workgroup_size: 256
    .name:           _ZN7rocprim17ROCPRIM_400000_NS6detail17trampoline_kernelINS0_13select_configILj256ELj13ELNS0_17block_load_methodE3ELS4_3ELS4_3ELNS0_20block_scan_algorithmE0ELj4294967295EEENS1_25partition_config_selectorILNS1_17partition_subalgoE3EjNS0_10empty_typeEbEEZZNS1_14partition_implILS8_3ELb0ES6_jNS0_17counting_iteratorIjlEEPS9_SE_NS0_5tupleIJPjSE_EEENSF_IJSE_SE_EEES9_SG_JZNS1_25segmented_radix_sort_implINS0_14default_configELb0EPKiPiPKlPlN2at6native12_GLOBAL__N_18offset_tEEE10hipError_tPvRmT1_PNSt15iterator_traitsISY_E10value_typeET2_T3_PNSZ_IS14_E10value_typeET4_jRbjT5_S1A_jjP12ihipStream_tbEUljE_EEESV_SW_SX_S14_S18_S1A_T6_T7_T9_mT8_S1C_bDpT10_ENKUlT_T0_E_clISt17integral_constantIbLb0EES1O_IbLb1EEEEDaS1K_S1L_EUlS1K_E_NS1_11comp_targetILNS1_3genE4ELNS1_11target_archE910ELNS1_3gpuE8ELNS1_3repE0EEENS1_30default_config_static_selectorELNS0_4arch9wavefront6targetE0EEEvSY_
    .private_segment_fixed_size: 0
    .sgpr_count:     0
    .sgpr_spill_count: 0
    .symbol:         _ZN7rocprim17ROCPRIM_400000_NS6detail17trampoline_kernelINS0_13select_configILj256ELj13ELNS0_17block_load_methodE3ELS4_3ELS4_3ELNS0_20block_scan_algorithmE0ELj4294967295EEENS1_25partition_config_selectorILNS1_17partition_subalgoE3EjNS0_10empty_typeEbEEZZNS1_14partition_implILS8_3ELb0ES6_jNS0_17counting_iteratorIjlEEPS9_SE_NS0_5tupleIJPjSE_EEENSF_IJSE_SE_EEES9_SG_JZNS1_25segmented_radix_sort_implINS0_14default_configELb0EPKiPiPKlPlN2at6native12_GLOBAL__N_18offset_tEEE10hipError_tPvRmT1_PNSt15iterator_traitsISY_E10value_typeET2_T3_PNSZ_IS14_E10value_typeET4_jRbjT5_S1A_jjP12ihipStream_tbEUljE_EEESV_SW_SX_S14_S18_S1A_T6_T7_T9_mT8_S1C_bDpT10_ENKUlT_T0_E_clISt17integral_constantIbLb0EES1O_IbLb1EEEEDaS1K_S1L_EUlS1K_E_NS1_11comp_targetILNS1_3genE4ELNS1_11target_archE910ELNS1_3gpuE8ELNS1_3repE0EEENS1_30default_config_static_selectorELNS0_4arch9wavefront6targetE0EEEvSY_.kd
    .uniform_work_group_size: 1
    .uses_dynamic_stack: false
    .vgpr_count:     0
    .vgpr_spill_count: 0
    .wavefront_size: 32
    .workgroup_processor_mode: 1
  - .args:
      - .offset:         0
        .size:           152
        .value_kind:     by_value
    .group_segment_fixed_size: 0
    .kernarg_segment_align: 8
    .kernarg_segment_size: 152
    .language:       OpenCL C
    .language_version:
      - 2
      - 0
    .max_flat_workgroup_size: 256
    .name:           _ZN7rocprim17ROCPRIM_400000_NS6detail17trampoline_kernelINS0_13select_configILj256ELj13ELNS0_17block_load_methodE3ELS4_3ELS4_3ELNS0_20block_scan_algorithmE0ELj4294967295EEENS1_25partition_config_selectorILNS1_17partition_subalgoE3EjNS0_10empty_typeEbEEZZNS1_14partition_implILS8_3ELb0ES6_jNS0_17counting_iteratorIjlEEPS9_SE_NS0_5tupleIJPjSE_EEENSF_IJSE_SE_EEES9_SG_JZNS1_25segmented_radix_sort_implINS0_14default_configELb0EPKiPiPKlPlN2at6native12_GLOBAL__N_18offset_tEEE10hipError_tPvRmT1_PNSt15iterator_traitsISY_E10value_typeET2_T3_PNSZ_IS14_E10value_typeET4_jRbjT5_S1A_jjP12ihipStream_tbEUljE_EEESV_SW_SX_S14_S18_S1A_T6_T7_T9_mT8_S1C_bDpT10_ENKUlT_T0_E_clISt17integral_constantIbLb0EES1O_IbLb1EEEEDaS1K_S1L_EUlS1K_E_NS1_11comp_targetILNS1_3genE3ELNS1_11target_archE908ELNS1_3gpuE7ELNS1_3repE0EEENS1_30default_config_static_selectorELNS0_4arch9wavefront6targetE0EEEvSY_
    .private_segment_fixed_size: 0
    .sgpr_count:     0
    .sgpr_spill_count: 0
    .symbol:         _ZN7rocprim17ROCPRIM_400000_NS6detail17trampoline_kernelINS0_13select_configILj256ELj13ELNS0_17block_load_methodE3ELS4_3ELS4_3ELNS0_20block_scan_algorithmE0ELj4294967295EEENS1_25partition_config_selectorILNS1_17partition_subalgoE3EjNS0_10empty_typeEbEEZZNS1_14partition_implILS8_3ELb0ES6_jNS0_17counting_iteratorIjlEEPS9_SE_NS0_5tupleIJPjSE_EEENSF_IJSE_SE_EEES9_SG_JZNS1_25segmented_radix_sort_implINS0_14default_configELb0EPKiPiPKlPlN2at6native12_GLOBAL__N_18offset_tEEE10hipError_tPvRmT1_PNSt15iterator_traitsISY_E10value_typeET2_T3_PNSZ_IS14_E10value_typeET4_jRbjT5_S1A_jjP12ihipStream_tbEUljE_EEESV_SW_SX_S14_S18_S1A_T6_T7_T9_mT8_S1C_bDpT10_ENKUlT_T0_E_clISt17integral_constantIbLb0EES1O_IbLb1EEEEDaS1K_S1L_EUlS1K_E_NS1_11comp_targetILNS1_3genE3ELNS1_11target_archE908ELNS1_3gpuE7ELNS1_3repE0EEENS1_30default_config_static_selectorELNS0_4arch9wavefront6targetE0EEEvSY_.kd
    .uniform_work_group_size: 1
    .uses_dynamic_stack: false
    .vgpr_count:     0
    .vgpr_spill_count: 0
    .wavefront_size: 32
    .workgroup_processor_mode: 1
  - .args:
      - .offset:         0
        .size:           152
        .value_kind:     by_value
    .group_segment_fixed_size: 0
    .kernarg_segment_align: 8
    .kernarg_segment_size: 152
    .language:       OpenCL C
    .language_version:
      - 2
      - 0
    .max_flat_workgroup_size: 256
    .name:           _ZN7rocprim17ROCPRIM_400000_NS6detail17trampoline_kernelINS0_13select_configILj256ELj13ELNS0_17block_load_methodE3ELS4_3ELS4_3ELNS0_20block_scan_algorithmE0ELj4294967295EEENS1_25partition_config_selectorILNS1_17partition_subalgoE3EjNS0_10empty_typeEbEEZZNS1_14partition_implILS8_3ELb0ES6_jNS0_17counting_iteratorIjlEEPS9_SE_NS0_5tupleIJPjSE_EEENSF_IJSE_SE_EEES9_SG_JZNS1_25segmented_radix_sort_implINS0_14default_configELb0EPKiPiPKlPlN2at6native12_GLOBAL__N_18offset_tEEE10hipError_tPvRmT1_PNSt15iterator_traitsISY_E10value_typeET2_T3_PNSZ_IS14_E10value_typeET4_jRbjT5_S1A_jjP12ihipStream_tbEUljE_EEESV_SW_SX_S14_S18_S1A_T6_T7_T9_mT8_S1C_bDpT10_ENKUlT_T0_E_clISt17integral_constantIbLb0EES1O_IbLb1EEEEDaS1K_S1L_EUlS1K_E_NS1_11comp_targetILNS1_3genE2ELNS1_11target_archE906ELNS1_3gpuE6ELNS1_3repE0EEENS1_30default_config_static_selectorELNS0_4arch9wavefront6targetE0EEEvSY_
    .private_segment_fixed_size: 0
    .sgpr_count:     0
    .sgpr_spill_count: 0
    .symbol:         _ZN7rocprim17ROCPRIM_400000_NS6detail17trampoline_kernelINS0_13select_configILj256ELj13ELNS0_17block_load_methodE3ELS4_3ELS4_3ELNS0_20block_scan_algorithmE0ELj4294967295EEENS1_25partition_config_selectorILNS1_17partition_subalgoE3EjNS0_10empty_typeEbEEZZNS1_14partition_implILS8_3ELb0ES6_jNS0_17counting_iteratorIjlEEPS9_SE_NS0_5tupleIJPjSE_EEENSF_IJSE_SE_EEES9_SG_JZNS1_25segmented_radix_sort_implINS0_14default_configELb0EPKiPiPKlPlN2at6native12_GLOBAL__N_18offset_tEEE10hipError_tPvRmT1_PNSt15iterator_traitsISY_E10value_typeET2_T3_PNSZ_IS14_E10value_typeET4_jRbjT5_S1A_jjP12ihipStream_tbEUljE_EEESV_SW_SX_S14_S18_S1A_T6_T7_T9_mT8_S1C_bDpT10_ENKUlT_T0_E_clISt17integral_constantIbLb0EES1O_IbLb1EEEEDaS1K_S1L_EUlS1K_E_NS1_11comp_targetILNS1_3genE2ELNS1_11target_archE906ELNS1_3gpuE6ELNS1_3repE0EEENS1_30default_config_static_selectorELNS0_4arch9wavefront6targetE0EEEvSY_.kd
    .uniform_work_group_size: 1
    .uses_dynamic_stack: false
    .vgpr_count:     0
    .vgpr_spill_count: 0
    .wavefront_size: 32
    .workgroup_processor_mode: 1
  - .args:
      - .offset:         0
        .size:           152
        .value_kind:     by_value
    .group_segment_fixed_size: 0
    .kernarg_segment_align: 8
    .kernarg_segment_size: 152
    .language:       OpenCL C
    .language_version:
      - 2
      - 0
    .max_flat_workgroup_size: 256
    .name:           _ZN7rocprim17ROCPRIM_400000_NS6detail17trampoline_kernelINS0_13select_configILj256ELj13ELNS0_17block_load_methodE3ELS4_3ELS4_3ELNS0_20block_scan_algorithmE0ELj4294967295EEENS1_25partition_config_selectorILNS1_17partition_subalgoE3EjNS0_10empty_typeEbEEZZNS1_14partition_implILS8_3ELb0ES6_jNS0_17counting_iteratorIjlEEPS9_SE_NS0_5tupleIJPjSE_EEENSF_IJSE_SE_EEES9_SG_JZNS1_25segmented_radix_sort_implINS0_14default_configELb0EPKiPiPKlPlN2at6native12_GLOBAL__N_18offset_tEEE10hipError_tPvRmT1_PNSt15iterator_traitsISY_E10value_typeET2_T3_PNSZ_IS14_E10value_typeET4_jRbjT5_S1A_jjP12ihipStream_tbEUljE_EEESV_SW_SX_S14_S18_S1A_T6_T7_T9_mT8_S1C_bDpT10_ENKUlT_T0_E_clISt17integral_constantIbLb0EES1O_IbLb1EEEEDaS1K_S1L_EUlS1K_E_NS1_11comp_targetILNS1_3genE10ELNS1_11target_archE1200ELNS1_3gpuE4ELNS1_3repE0EEENS1_30default_config_static_selectorELNS0_4arch9wavefront6targetE0EEEvSY_
    .private_segment_fixed_size: 0
    .sgpr_count:     0
    .sgpr_spill_count: 0
    .symbol:         _ZN7rocprim17ROCPRIM_400000_NS6detail17trampoline_kernelINS0_13select_configILj256ELj13ELNS0_17block_load_methodE3ELS4_3ELS4_3ELNS0_20block_scan_algorithmE0ELj4294967295EEENS1_25partition_config_selectorILNS1_17partition_subalgoE3EjNS0_10empty_typeEbEEZZNS1_14partition_implILS8_3ELb0ES6_jNS0_17counting_iteratorIjlEEPS9_SE_NS0_5tupleIJPjSE_EEENSF_IJSE_SE_EEES9_SG_JZNS1_25segmented_radix_sort_implINS0_14default_configELb0EPKiPiPKlPlN2at6native12_GLOBAL__N_18offset_tEEE10hipError_tPvRmT1_PNSt15iterator_traitsISY_E10value_typeET2_T3_PNSZ_IS14_E10value_typeET4_jRbjT5_S1A_jjP12ihipStream_tbEUljE_EEESV_SW_SX_S14_S18_S1A_T6_T7_T9_mT8_S1C_bDpT10_ENKUlT_T0_E_clISt17integral_constantIbLb0EES1O_IbLb1EEEEDaS1K_S1L_EUlS1K_E_NS1_11comp_targetILNS1_3genE10ELNS1_11target_archE1200ELNS1_3gpuE4ELNS1_3repE0EEENS1_30default_config_static_selectorELNS0_4arch9wavefront6targetE0EEEvSY_.kd
    .uniform_work_group_size: 1
    .uses_dynamic_stack: false
    .vgpr_count:     0
    .vgpr_spill_count: 0
    .wavefront_size: 32
    .workgroup_processor_mode: 1
  - .args:
      - .offset:         0
        .size:           152
        .value_kind:     by_value
    .group_segment_fixed_size: 0
    .kernarg_segment_align: 8
    .kernarg_segment_size: 152
    .language:       OpenCL C
    .language_version:
      - 2
      - 0
    .max_flat_workgroup_size: 256
    .name:           _ZN7rocprim17ROCPRIM_400000_NS6detail17trampoline_kernelINS0_13select_configILj256ELj13ELNS0_17block_load_methodE3ELS4_3ELS4_3ELNS0_20block_scan_algorithmE0ELj4294967295EEENS1_25partition_config_selectorILNS1_17partition_subalgoE3EjNS0_10empty_typeEbEEZZNS1_14partition_implILS8_3ELb0ES6_jNS0_17counting_iteratorIjlEEPS9_SE_NS0_5tupleIJPjSE_EEENSF_IJSE_SE_EEES9_SG_JZNS1_25segmented_radix_sort_implINS0_14default_configELb0EPKiPiPKlPlN2at6native12_GLOBAL__N_18offset_tEEE10hipError_tPvRmT1_PNSt15iterator_traitsISY_E10value_typeET2_T3_PNSZ_IS14_E10value_typeET4_jRbjT5_S1A_jjP12ihipStream_tbEUljE_EEESV_SW_SX_S14_S18_S1A_T6_T7_T9_mT8_S1C_bDpT10_ENKUlT_T0_E_clISt17integral_constantIbLb0EES1O_IbLb1EEEEDaS1K_S1L_EUlS1K_E_NS1_11comp_targetILNS1_3genE9ELNS1_11target_archE1100ELNS1_3gpuE3ELNS1_3repE0EEENS1_30default_config_static_selectorELNS0_4arch9wavefront6targetE0EEEvSY_
    .private_segment_fixed_size: 0
    .sgpr_count:     0
    .sgpr_spill_count: 0
    .symbol:         _ZN7rocprim17ROCPRIM_400000_NS6detail17trampoline_kernelINS0_13select_configILj256ELj13ELNS0_17block_load_methodE3ELS4_3ELS4_3ELNS0_20block_scan_algorithmE0ELj4294967295EEENS1_25partition_config_selectorILNS1_17partition_subalgoE3EjNS0_10empty_typeEbEEZZNS1_14partition_implILS8_3ELb0ES6_jNS0_17counting_iteratorIjlEEPS9_SE_NS0_5tupleIJPjSE_EEENSF_IJSE_SE_EEES9_SG_JZNS1_25segmented_radix_sort_implINS0_14default_configELb0EPKiPiPKlPlN2at6native12_GLOBAL__N_18offset_tEEE10hipError_tPvRmT1_PNSt15iterator_traitsISY_E10value_typeET2_T3_PNSZ_IS14_E10value_typeET4_jRbjT5_S1A_jjP12ihipStream_tbEUljE_EEESV_SW_SX_S14_S18_S1A_T6_T7_T9_mT8_S1C_bDpT10_ENKUlT_T0_E_clISt17integral_constantIbLb0EES1O_IbLb1EEEEDaS1K_S1L_EUlS1K_E_NS1_11comp_targetILNS1_3genE9ELNS1_11target_archE1100ELNS1_3gpuE3ELNS1_3repE0EEENS1_30default_config_static_selectorELNS0_4arch9wavefront6targetE0EEEvSY_.kd
    .uniform_work_group_size: 1
    .uses_dynamic_stack: false
    .vgpr_count:     0
    .vgpr_spill_count: 0
    .wavefront_size: 32
    .workgroup_processor_mode: 1
  - .args:
      - .offset:         0
        .size:           152
        .value_kind:     by_value
    .group_segment_fixed_size: 13320
    .kernarg_segment_align: 8
    .kernarg_segment_size: 152
    .language:       OpenCL C
    .language_version:
      - 2
      - 0
    .max_flat_workgroup_size: 256
    .name:           _ZN7rocprim17ROCPRIM_400000_NS6detail17trampoline_kernelINS0_13select_configILj256ELj13ELNS0_17block_load_methodE3ELS4_3ELS4_3ELNS0_20block_scan_algorithmE0ELj4294967295EEENS1_25partition_config_selectorILNS1_17partition_subalgoE3EjNS0_10empty_typeEbEEZZNS1_14partition_implILS8_3ELb0ES6_jNS0_17counting_iteratorIjlEEPS9_SE_NS0_5tupleIJPjSE_EEENSF_IJSE_SE_EEES9_SG_JZNS1_25segmented_radix_sort_implINS0_14default_configELb0EPKiPiPKlPlN2at6native12_GLOBAL__N_18offset_tEEE10hipError_tPvRmT1_PNSt15iterator_traitsISY_E10value_typeET2_T3_PNSZ_IS14_E10value_typeET4_jRbjT5_S1A_jjP12ihipStream_tbEUljE_EEESV_SW_SX_S14_S18_S1A_T6_T7_T9_mT8_S1C_bDpT10_ENKUlT_T0_E_clISt17integral_constantIbLb0EES1O_IbLb1EEEEDaS1K_S1L_EUlS1K_E_NS1_11comp_targetILNS1_3genE8ELNS1_11target_archE1030ELNS1_3gpuE2ELNS1_3repE0EEENS1_30default_config_static_selectorELNS0_4arch9wavefront6targetE0EEEvSY_
    .private_segment_fixed_size: 0
    .sgpr_count:     28
    .sgpr_spill_count: 0
    .symbol:         _ZN7rocprim17ROCPRIM_400000_NS6detail17trampoline_kernelINS0_13select_configILj256ELj13ELNS0_17block_load_methodE3ELS4_3ELS4_3ELNS0_20block_scan_algorithmE0ELj4294967295EEENS1_25partition_config_selectorILNS1_17partition_subalgoE3EjNS0_10empty_typeEbEEZZNS1_14partition_implILS8_3ELb0ES6_jNS0_17counting_iteratorIjlEEPS9_SE_NS0_5tupleIJPjSE_EEENSF_IJSE_SE_EEES9_SG_JZNS1_25segmented_radix_sort_implINS0_14default_configELb0EPKiPiPKlPlN2at6native12_GLOBAL__N_18offset_tEEE10hipError_tPvRmT1_PNSt15iterator_traitsISY_E10value_typeET2_T3_PNSZ_IS14_E10value_typeET4_jRbjT5_S1A_jjP12ihipStream_tbEUljE_EEESV_SW_SX_S14_S18_S1A_T6_T7_T9_mT8_S1C_bDpT10_ENKUlT_T0_E_clISt17integral_constantIbLb0EES1O_IbLb1EEEEDaS1K_S1L_EUlS1K_E_NS1_11comp_targetILNS1_3genE8ELNS1_11target_archE1030ELNS1_3gpuE2ELNS1_3repE0EEENS1_30default_config_static_selectorELNS0_4arch9wavefront6targetE0EEEvSY_.kd
    .uniform_work_group_size: 1
    .uses_dynamic_stack: false
    .vgpr_count:     71
    .vgpr_spill_count: 0
    .wavefront_size: 32
    .workgroup_processor_mode: 1
  - .args:
      - .offset:         0
        .size:           96
        .value_kind:     by_value
    .group_segment_fixed_size: 0
    .kernarg_segment_align: 8
    .kernarg_segment_size: 96
    .language:       OpenCL C
    .language_version:
      - 2
      - 0
    .max_flat_workgroup_size: 256
    .name:           _ZN7rocprim17ROCPRIM_400000_NS6detail17trampoline_kernelINS0_14default_configENS1_36segmented_radix_sort_config_selectorIilEEZNS1_25segmented_radix_sort_implIS3_Lb0EPKiPiPKlPlN2at6native12_GLOBAL__N_18offset_tEEE10hipError_tPvRmT1_PNSt15iterator_traitsISK_E10value_typeET2_T3_PNSL_ISQ_E10value_typeET4_jRbjT5_SW_jjP12ihipStream_tbEUlT_E_NS1_11comp_targetILNS1_3genE0ELNS1_11target_archE4294967295ELNS1_3gpuE0ELNS1_3repE0EEENS1_30default_config_static_selectorELNS0_4arch9wavefront6targetE0EEEvSK_
    .private_segment_fixed_size: 0
    .sgpr_count:     0
    .sgpr_spill_count: 0
    .symbol:         _ZN7rocprim17ROCPRIM_400000_NS6detail17trampoline_kernelINS0_14default_configENS1_36segmented_radix_sort_config_selectorIilEEZNS1_25segmented_radix_sort_implIS3_Lb0EPKiPiPKlPlN2at6native12_GLOBAL__N_18offset_tEEE10hipError_tPvRmT1_PNSt15iterator_traitsISK_E10value_typeET2_T3_PNSL_ISQ_E10value_typeET4_jRbjT5_SW_jjP12ihipStream_tbEUlT_E_NS1_11comp_targetILNS1_3genE0ELNS1_11target_archE4294967295ELNS1_3gpuE0ELNS1_3repE0EEENS1_30default_config_static_selectorELNS0_4arch9wavefront6targetE0EEEvSK_.kd
    .uniform_work_group_size: 1
    .uses_dynamic_stack: false
    .vgpr_count:     0
    .vgpr_spill_count: 0
    .wavefront_size: 32
    .workgroup_processor_mode: 1
  - .args:
      - .offset:         0
        .size:           96
        .value_kind:     by_value
    .group_segment_fixed_size: 0
    .kernarg_segment_align: 8
    .kernarg_segment_size: 96
    .language:       OpenCL C
    .language_version:
      - 2
      - 0
    .max_flat_workgroup_size: 256
    .name:           _ZN7rocprim17ROCPRIM_400000_NS6detail17trampoline_kernelINS0_14default_configENS1_36segmented_radix_sort_config_selectorIilEEZNS1_25segmented_radix_sort_implIS3_Lb0EPKiPiPKlPlN2at6native12_GLOBAL__N_18offset_tEEE10hipError_tPvRmT1_PNSt15iterator_traitsISK_E10value_typeET2_T3_PNSL_ISQ_E10value_typeET4_jRbjT5_SW_jjP12ihipStream_tbEUlT_E_NS1_11comp_targetILNS1_3genE5ELNS1_11target_archE942ELNS1_3gpuE9ELNS1_3repE0EEENS1_30default_config_static_selectorELNS0_4arch9wavefront6targetE0EEEvSK_
    .private_segment_fixed_size: 0
    .sgpr_count:     0
    .sgpr_spill_count: 0
    .symbol:         _ZN7rocprim17ROCPRIM_400000_NS6detail17trampoline_kernelINS0_14default_configENS1_36segmented_radix_sort_config_selectorIilEEZNS1_25segmented_radix_sort_implIS3_Lb0EPKiPiPKlPlN2at6native12_GLOBAL__N_18offset_tEEE10hipError_tPvRmT1_PNSt15iterator_traitsISK_E10value_typeET2_T3_PNSL_ISQ_E10value_typeET4_jRbjT5_SW_jjP12ihipStream_tbEUlT_E_NS1_11comp_targetILNS1_3genE5ELNS1_11target_archE942ELNS1_3gpuE9ELNS1_3repE0EEENS1_30default_config_static_selectorELNS0_4arch9wavefront6targetE0EEEvSK_.kd
    .uniform_work_group_size: 1
    .uses_dynamic_stack: false
    .vgpr_count:     0
    .vgpr_spill_count: 0
    .wavefront_size: 32
    .workgroup_processor_mode: 1
  - .args:
      - .offset:         0
        .size:           96
        .value_kind:     by_value
    .group_segment_fixed_size: 0
    .kernarg_segment_align: 8
    .kernarg_segment_size: 96
    .language:       OpenCL C
    .language_version:
      - 2
      - 0
    .max_flat_workgroup_size: 256
    .name:           _ZN7rocprim17ROCPRIM_400000_NS6detail17trampoline_kernelINS0_14default_configENS1_36segmented_radix_sort_config_selectorIilEEZNS1_25segmented_radix_sort_implIS3_Lb0EPKiPiPKlPlN2at6native12_GLOBAL__N_18offset_tEEE10hipError_tPvRmT1_PNSt15iterator_traitsISK_E10value_typeET2_T3_PNSL_ISQ_E10value_typeET4_jRbjT5_SW_jjP12ihipStream_tbEUlT_E_NS1_11comp_targetILNS1_3genE4ELNS1_11target_archE910ELNS1_3gpuE8ELNS1_3repE0EEENS1_30default_config_static_selectorELNS0_4arch9wavefront6targetE0EEEvSK_
    .private_segment_fixed_size: 0
    .sgpr_count:     0
    .sgpr_spill_count: 0
    .symbol:         _ZN7rocprim17ROCPRIM_400000_NS6detail17trampoline_kernelINS0_14default_configENS1_36segmented_radix_sort_config_selectorIilEEZNS1_25segmented_radix_sort_implIS3_Lb0EPKiPiPKlPlN2at6native12_GLOBAL__N_18offset_tEEE10hipError_tPvRmT1_PNSt15iterator_traitsISK_E10value_typeET2_T3_PNSL_ISQ_E10value_typeET4_jRbjT5_SW_jjP12ihipStream_tbEUlT_E_NS1_11comp_targetILNS1_3genE4ELNS1_11target_archE910ELNS1_3gpuE8ELNS1_3repE0EEENS1_30default_config_static_selectorELNS0_4arch9wavefront6targetE0EEEvSK_.kd
    .uniform_work_group_size: 1
    .uses_dynamic_stack: false
    .vgpr_count:     0
    .vgpr_spill_count: 0
    .wavefront_size: 32
    .workgroup_processor_mode: 1
  - .args:
      - .offset:         0
        .size:           96
        .value_kind:     by_value
    .group_segment_fixed_size: 0
    .kernarg_segment_align: 8
    .kernarg_segment_size: 96
    .language:       OpenCL C
    .language_version:
      - 2
      - 0
    .max_flat_workgroup_size: 256
    .name:           _ZN7rocprim17ROCPRIM_400000_NS6detail17trampoline_kernelINS0_14default_configENS1_36segmented_radix_sort_config_selectorIilEEZNS1_25segmented_radix_sort_implIS3_Lb0EPKiPiPKlPlN2at6native12_GLOBAL__N_18offset_tEEE10hipError_tPvRmT1_PNSt15iterator_traitsISK_E10value_typeET2_T3_PNSL_ISQ_E10value_typeET4_jRbjT5_SW_jjP12ihipStream_tbEUlT_E_NS1_11comp_targetILNS1_3genE3ELNS1_11target_archE908ELNS1_3gpuE7ELNS1_3repE0EEENS1_30default_config_static_selectorELNS0_4arch9wavefront6targetE0EEEvSK_
    .private_segment_fixed_size: 0
    .sgpr_count:     0
    .sgpr_spill_count: 0
    .symbol:         _ZN7rocprim17ROCPRIM_400000_NS6detail17trampoline_kernelINS0_14default_configENS1_36segmented_radix_sort_config_selectorIilEEZNS1_25segmented_radix_sort_implIS3_Lb0EPKiPiPKlPlN2at6native12_GLOBAL__N_18offset_tEEE10hipError_tPvRmT1_PNSt15iterator_traitsISK_E10value_typeET2_T3_PNSL_ISQ_E10value_typeET4_jRbjT5_SW_jjP12ihipStream_tbEUlT_E_NS1_11comp_targetILNS1_3genE3ELNS1_11target_archE908ELNS1_3gpuE7ELNS1_3repE0EEENS1_30default_config_static_selectorELNS0_4arch9wavefront6targetE0EEEvSK_.kd
    .uniform_work_group_size: 1
    .uses_dynamic_stack: false
    .vgpr_count:     0
    .vgpr_spill_count: 0
    .wavefront_size: 32
    .workgroup_processor_mode: 1
  - .args:
      - .offset:         0
        .size:           96
        .value_kind:     by_value
    .group_segment_fixed_size: 0
    .kernarg_segment_align: 8
    .kernarg_segment_size: 96
    .language:       OpenCL C
    .language_version:
      - 2
      - 0
    .max_flat_workgroup_size: 256
    .name:           _ZN7rocprim17ROCPRIM_400000_NS6detail17trampoline_kernelINS0_14default_configENS1_36segmented_radix_sort_config_selectorIilEEZNS1_25segmented_radix_sort_implIS3_Lb0EPKiPiPKlPlN2at6native12_GLOBAL__N_18offset_tEEE10hipError_tPvRmT1_PNSt15iterator_traitsISK_E10value_typeET2_T3_PNSL_ISQ_E10value_typeET4_jRbjT5_SW_jjP12ihipStream_tbEUlT_E_NS1_11comp_targetILNS1_3genE2ELNS1_11target_archE906ELNS1_3gpuE6ELNS1_3repE0EEENS1_30default_config_static_selectorELNS0_4arch9wavefront6targetE0EEEvSK_
    .private_segment_fixed_size: 0
    .sgpr_count:     0
    .sgpr_spill_count: 0
    .symbol:         _ZN7rocprim17ROCPRIM_400000_NS6detail17trampoline_kernelINS0_14default_configENS1_36segmented_radix_sort_config_selectorIilEEZNS1_25segmented_radix_sort_implIS3_Lb0EPKiPiPKlPlN2at6native12_GLOBAL__N_18offset_tEEE10hipError_tPvRmT1_PNSt15iterator_traitsISK_E10value_typeET2_T3_PNSL_ISQ_E10value_typeET4_jRbjT5_SW_jjP12ihipStream_tbEUlT_E_NS1_11comp_targetILNS1_3genE2ELNS1_11target_archE906ELNS1_3gpuE6ELNS1_3repE0EEENS1_30default_config_static_selectorELNS0_4arch9wavefront6targetE0EEEvSK_.kd
    .uniform_work_group_size: 1
    .uses_dynamic_stack: false
    .vgpr_count:     0
    .vgpr_spill_count: 0
    .wavefront_size: 32
    .workgroup_processor_mode: 1
  - .args:
      - .offset:         0
        .size:           96
        .value_kind:     by_value
    .group_segment_fixed_size: 0
    .kernarg_segment_align: 8
    .kernarg_segment_size: 96
    .language:       OpenCL C
    .language_version:
      - 2
      - 0
    .max_flat_workgroup_size: 256
    .name:           _ZN7rocprim17ROCPRIM_400000_NS6detail17trampoline_kernelINS0_14default_configENS1_36segmented_radix_sort_config_selectorIilEEZNS1_25segmented_radix_sort_implIS3_Lb0EPKiPiPKlPlN2at6native12_GLOBAL__N_18offset_tEEE10hipError_tPvRmT1_PNSt15iterator_traitsISK_E10value_typeET2_T3_PNSL_ISQ_E10value_typeET4_jRbjT5_SW_jjP12ihipStream_tbEUlT_E_NS1_11comp_targetILNS1_3genE10ELNS1_11target_archE1201ELNS1_3gpuE5ELNS1_3repE0EEENS1_30default_config_static_selectorELNS0_4arch9wavefront6targetE0EEEvSK_
    .private_segment_fixed_size: 0
    .sgpr_count:     0
    .sgpr_spill_count: 0
    .symbol:         _ZN7rocprim17ROCPRIM_400000_NS6detail17trampoline_kernelINS0_14default_configENS1_36segmented_radix_sort_config_selectorIilEEZNS1_25segmented_radix_sort_implIS3_Lb0EPKiPiPKlPlN2at6native12_GLOBAL__N_18offset_tEEE10hipError_tPvRmT1_PNSt15iterator_traitsISK_E10value_typeET2_T3_PNSL_ISQ_E10value_typeET4_jRbjT5_SW_jjP12ihipStream_tbEUlT_E_NS1_11comp_targetILNS1_3genE10ELNS1_11target_archE1201ELNS1_3gpuE5ELNS1_3repE0EEENS1_30default_config_static_selectorELNS0_4arch9wavefront6targetE0EEEvSK_.kd
    .uniform_work_group_size: 1
    .uses_dynamic_stack: false
    .vgpr_count:     0
    .vgpr_spill_count: 0
    .wavefront_size: 32
    .workgroup_processor_mode: 1
  - .args:
      - .offset:         0
        .size:           96
        .value_kind:     by_value
    .group_segment_fixed_size: 0
    .kernarg_segment_align: 8
    .kernarg_segment_size: 96
    .language:       OpenCL C
    .language_version:
      - 2
      - 0
    .max_flat_workgroup_size: 128
    .name:           _ZN7rocprim17ROCPRIM_400000_NS6detail17trampoline_kernelINS0_14default_configENS1_36segmented_radix_sort_config_selectorIilEEZNS1_25segmented_radix_sort_implIS3_Lb0EPKiPiPKlPlN2at6native12_GLOBAL__N_18offset_tEEE10hipError_tPvRmT1_PNSt15iterator_traitsISK_E10value_typeET2_T3_PNSL_ISQ_E10value_typeET4_jRbjT5_SW_jjP12ihipStream_tbEUlT_E_NS1_11comp_targetILNS1_3genE10ELNS1_11target_archE1200ELNS1_3gpuE4ELNS1_3repE0EEENS1_30default_config_static_selectorELNS0_4arch9wavefront6targetE0EEEvSK_
    .private_segment_fixed_size: 0
    .sgpr_count:     0
    .sgpr_spill_count: 0
    .symbol:         _ZN7rocprim17ROCPRIM_400000_NS6detail17trampoline_kernelINS0_14default_configENS1_36segmented_radix_sort_config_selectorIilEEZNS1_25segmented_radix_sort_implIS3_Lb0EPKiPiPKlPlN2at6native12_GLOBAL__N_18offset_tEEE10hipError_tPvRmT1_PNSt15iterator_traitsISK_E10value_typeET2_T3_PNSL_ISQ_E10value_typeET4_jRbjT5_SW_jjP12ihipStream_tbEUlT_E_NS1_11comp_targetILNS1_3genE10ELNS1_11target_archE1200ELNS1_3gpuE4ELNS1_3repE0EEENS1_30default_config_static_selectorELNS0_4arch9wavefront6targetE0EEEvSK_.kd
    .uniform_work_group_size: 1
    .uses_dynamic_stack: false
    .vgpr_count:     0
    .vgpr_spill_count: 0
    .wavefront_size: 32
    .workgroup_processor_mode: 1
  - .args:
      - .offset:         0
        .size:           96
        .value_kind:     by_value
    .group_segment_fixed_size: 0
    .kernarg_segment_align: 8
    .kernarg_segment_size: 96
    .language:       OpenCL C
    .language_version:
      - 2
      - 0
    .max_flat_workgroup_size: 256
    .name:           _ZN7rocprim17ROCPRIM_400000_NS6detail17trampoline_kernelINS0_14default_configENS1_36segmented_radix_sort_config_selectorIilEEZNS1_25segmented_radix_sort_implIS3_Lb0EPKiPiPKlPlN2at6native12_GLOBAL__N_18offset_tEEE10hipError_tPvRmT1_PNSt15iterator_traitsISK_E10value_typeET2_T3_PNSL_ISQ_E10value_typeET4_jRbjT5_SW_jjP12ihipStream_tbEUlT_E_NS1_11comp_targetILNS1_3genE9ELNS1_11target_archE1100ELNS1_3gpuE3ELNS1_3repE0EEENS1_30default_config_static_selectorELNS0_4arch9wavefront6targetE0EEEvSK_
    .private_segment_fixed_size: 0
    .sgpr_count:     0
    .sgpr_spill_count: 0
    .symbol:         _ZN7rocprim17ROCPRIM_400000_NS6detail17trampoline_kernelINS0_14default_configENS1_36segmented_radix_sort_config_selectorIilEEZNS1_25segmented_radix_sort_implIS3_Lb0EPKiPiPKlPlN2at6native12_GLOBAL__N_18offset_tEEE10hipError_tPvRmT1_PNSt15iterator_traitsISK_E10value_typeET2_T3_PNSL_ISQ_E10value_typeET4_jRbjT5_SW_jjP12ihipStream_tbEUlT_E_NS1_11comp_targetILNS1_3genE9ELNS1_11target_archE1100ELNS1_3gpuE3ELNS1_3repE0EEENS1_30default_config_static_selectorELNS0_4arch9wavefront6targetE0EEEvSK_.kd
    .uniform_work_group_size: 1
    .uses_dynamic_stack: false
    .vgpr_count:     0
    .vgpr_spill_count: 0
    .wavefront_size: 32
    .workgroup_processor_mode: 1
  - .args:
      - .offset:         0
        .size:           96
        .value_kind:     by_value
      - .offset:         96
        .size:           4
        .value_kind:     hidden_block_count_x
      - .offset:         100
        .size:           4
        .value_kind:     hidden_block_count_y
      - .offset:         104
        .size:           4
        .value_kind:     hidden_block_count_z
      - .offset:         108
        .size:           2
        .value_kind:     hidden_group_size_x
      - .offset:         110
        .size:           2
        .value_kind:     hidden_group_size_y
      - .offset:         112
        .size:           2
        .value_kind:     hidden_group_size_z
      - .offset:         114
        .size:           2
        .value_kind:     hidden_remainder_x
      - .offset:         116
        .size:           2
        .value_kind:     hidden_remainder_y
      - .offset:         118
        .size:           2
        .value_kind:     hidden_remainder_z
      - .offset:         136
        .size:           8
        .value_kind:     hidden_global_offset_x
      - .offset:         144
        .size:           8
        .value_kind:     hidden_global_offset_y
      - .offset:         152
        .size:           8
        .value_kind:     hidden_global_offset_z
      - .offset:         160
        .size:           2
        .value_kind:     hidden_grid_dims
    .group_segment_fixed_size: 35344
    .kernarg_segment_align: 8
    .kernarg_segment_size: 352
    .language:       OpenCL C
    .language_version:
      - 2
      - 0
    .max_flat_workgroup_size: 256
    .name:           _ZN7rocprim17ROCPRIM_400000_NS6detail17trampoline_kernelINS0_14default_configENS1_36segmented_radix_sort_config_selectorIilEEZNS1_25segmented_radix_sort_implIS3_Lb0EPKiPiPKlPlN2at6native12_GLOBAL__N_18offset_tEEE10hipError_tPvRmT1_PNSt15iterator_traitsISK_E10value_typeET2_T3_PNSL_ISQ_E10value_typeET4_jRbjT5_SW_jjP12ihipStream_tbEUlT_E_NS1_11comp_targetILNS1_3genE8ELNS1_11target_archE1030ELNS1_3gpuE2ELNS1_3repE0EEENS1_30default_config_static_selectorELNS0_4arch9wavefront6targetE0EEEvSK_
    .private_segment_fixed_size: 196
    .sgpr_count:     70
    .sgpr_spill_count: 0
    .symbol:         _ZN7rocprim17ROCPRIM_400000_NS6detail17trampoline_kernelINS0_14default_configENS1_36segmented_radix_sort_config_selectorIilEEZNS1_25segmented_radix_sort_implIS3_Lb0EPKiPiPKlPlN2at6native12_GLOBAL__N_18offset_tEEE10hipError_tPvRmT1_PNSt15iterator_traitsISK_E10value_typeET2_T3_PNSL_ISQ_E10value_typeET4_jRbjT5_SW_jjP12ihipStream_tbEUlT_E_NS1_11comp_targetILNS1_3genE8ELNS1_11target_archE1030ELNS1_3gpuE2ELNS1_3repE0EEENS1_30default_config_static_selectorELNS0_4arch9wavefront6targetE0EEEvSK_.kd
    .uniform_work_group_size: 1
    .uses_dynamic_stack: false
    .vgpr_count:     248
    .vgpr_spill_count: 0
    .wavefront_size: 32
    .workgroup_processor_mode: 1
  - .args:
      - .offset:         0
        .size:           88
        .value_kind:     by_value
    .group_segment_fixed_size: 0
    .kernarg_segment_align: 8
    .kernarg_segment_size: 88
    .language:       OpenCL C
    .language_version:
      - 2
      - 0
    .max_flat_workgroup_size: 256
    .name:           _ZN7rocprim17ROCPRIM_400000_NS6detail17trampoline_kernelINS0_14default_configENS1_36segmented_radix_sort_config_selectorIilEEZNS1_25segmented_radix_sort_implIS3_Lb0EPKiPiPKlPlN2at6native12_GLOBAL__N_18offset_tEEE10hipError_tPvRmT1_PNSt15iterator_traitsISK_E10value_typeET2_T3_PNSL_ISQ_E10value_typeET4_jRbjT5_SW_jjP12ihipStream_tbEUlT_E0_NS1_11comp_targetILNS1_3genE0ELNS1_11target_archE4294967295ELNS1_3gpuE0ELNS1_3repE0EEENS1_60segmented_radix_sort_warp_sort_medium_config_static_selectorELNS0_4arch9wavefront6targetE0EEEvSK_
    .private_segment_fixed_size: 0
    .sgpr_count:     0
    .sgpr_spill_count: 0
    .symbol:         _ZN7rocprim17ROCPRIM_400000_NS6detail17trampoline_kernelINS0_14default_configENS1_36segmented_radix_sort_config_selectorIilEEZNS1_25segmented_radix_sort_implIS3_Lb0EPKiPiPKlPlN2at6native12_GLOBAL__N_18offset_tEEE10hipError_tPvRmT1_PNSt15iterator_traitsISK_E10value_typeET2_T3_PNSL_ISQ_E10value_typeET4_jRbjT5_SW_jjP12ihipStream_tbEUlT_E0_NS1_11comp_targetILNS1_3genE0ELNS1_11target_archE4294967295ELNS1_3gpuE0ELNS1_3repE0EEENS1_60segmented_radix_sort_warp_sort_medium_config_static_selectorELNS0_4arch9wavefront6targetE0EEEvSK_.kd
    .uniform_work_group_size: 1
    .uses_dynamic_stack: false
    .vgpr_count:     0
    .vgpr_spill_count: 0
    .wavefront_size: 32
    .workgroup_processor_mode: 1
  - .args:
      - .offset:         0
        .size:           88
        .value_kind:     by_value
    .group_segment_fixed_size: 0
    .kernarg_segment_align: 8
    .kernarg_segment_size: 88
    .language:       OpenCL C
    .language_version:
      - 2
      - 0
    .max_flat_workgroup_size: 256
    .name:           _ZN7rocprim17ROCPRIM_400000_NS6detail17trampoline_kernelINS0_14default_configENS1_36segmented_radix_sort_config_selectorIilEEZNS1_25segmented_radix_sort_implIS3_Lb0EPKiPiPKlPlN2at6native12_GLOBAL__N_18offset_tEEE10hipError_tPvRmT1_PNSt15iterator_traitsISK_E10value_typeET2_T3_PNSL_ISQ_E10value_typeET4_jRbjT5_SW_jjP12ihipStream_tbEUlT_E0_NS1_11comp_targetILNS1_3genE5ELNS1_11target_archE942ELNS1_3gpuE9ELNS1_3repE0EEENS1_60segmented_radix_sort_warp_sort_medium_config_static_selectorELNS0_4arch9wavefront6targetE0EEEvSK_
    .private_segment_fixed_size: 0
    .sgpr_count:     0
    .sgpr_spill_count: 0
    .symbol:         _ZN7rocprim17ROCPRIM_400000_NS6detail17trampoline_kernelINS0_14default_configENS1_36segmented_radix_sort_config_selectorIilEEZNS1_25segmented_radix_sort_implIS3_Lb0EPKiPiPKlPlN2at6native12_GLOBAL__N_18offset_tEEE10hipError_tPvRmT1_PNSt15iterator_traitsISK_E10value_typeET2_T3_PNSL_ISQ_E10value_typeET4_jRbjT5_SW_jjP12ihipStream_tbEUlT_E0_NS1_11comp_targetILNS1_3genE5ELNS1_11target_archE942ELNS1_3gpuE9ELNS1_3repE0EEENS1_60segmented_radix_sort_warp_sort_medium_config_static_selectorELNS0_4arch9wavefront6targetE0EEEvSK_.kd
    .uniform_work_group_size: 1
    .uses_dynamic_stack: false
    .vgpr_count:     0
    .vgpr_spill_count: 0
    .wavefront_size: 32
    .workgroup_processor_mode: 1
  - .args:
      - .offset:         0
        .size:           88
        .value_kind:     by_value
    .group_segment_fixed_size: 0
    .kernarg_segment_align: 8
    .kernarg_segment_size: 88
    .language:       OpenCL C
    .language_version:
      - 2
      - 0
    .max_flat_workgroup_size: 256
    .name:           _ZN7rocprim17ROCPRIM_400000_NS6detail17trampoline_kernelINS0_14default_configENS1_36segmented_radix_sort_config_selectorIilEEZNS1_25segmented_radix_sort_implIS3_Lb0EPKiPiPKlPlN2at6native12_GLOBAL__N_18offset_tEEE10hipError_tPvRmT1_PNSt15iterator_traitsISK_E10value_typeET2_T3_PNSL_ISQ_E10value_typeET4_jRbjT5_SW_jjP12ihipStream_tbEUlT_E0_NS1_11comp_targetILNS1_3genE4ELNS1_11target_archE910ELNS1_3gpuE8ELNS1_3repE0EEENS1_60segmented_radix_sort_warp_sort_medium_config_static_selectorELNS0_4arch9wavefront6targetE0EEEvSK_
    .private_segment_fixed_size: 0
    .sgpr_count:     0
    .sgpr_spill_count: 0
    .symbol:         _ZN7rocprim17ROCPRIM_400000_NS6detail17trampoline_kernelINS0_14default_configENS1_36segmented_radix_sort_config_selectorIilEEZNS1_25segmented_radix_sort_implIS3_Lb0EPKiPiPKlPlN2at6native12_GLOBAL__N_18offset_tEEE10hipError_tPvRmT1_PNSt15iterator_traitsISK_E10value_typeET2_T3_PNSL_ISQ_E10value_typeET4_jRbjT5_SW_jjP12ihipStream_tbEUlT_E0_NS1_11comp_targetILNS1_3genE4ELNS1_11target_archE910ELNS1_3gpuE8ELNS1_3repE0EEENS1_60segmented_radix_sort_warp_sort_medium_config_static_selectorELNS0_4arch9wavefront6targetE0EEEvSK_.kd
    .uniform_work_group_size: 1
    .uses_dynamic_stack: false
    .vgpr_count:     0
    .vgpr_spill_count: 0
    .wavefront_size: 32
    .workgroup_processor_mode: 1
  - .args:
      - .offset:         0
        .size:           88
        .value_kind:     by_value
    .group_segment_fixed_size: 0
    .kernarg_segment_align: 8
    .kernarg_segment_size: 88
    .language:       OpenCL C
    .language_version:
      - 2
      - 0
    .max_flat_workgroup_size: 256
    .name:           _ZN7rocprim17ROCPRIM_400000_NS6detail17trampoline_kernelINS0_14default_configENS1_36segmented_radix_sort_config_selectorIilEEZNS1_25segmented_radix_sort_implIS3_Lb0EPKiPiPKlPlN2at6native12_GLOBAL__N_18offset_tEEE10hipError_tPvRmT1_PNSt15iterator_traitsISK_E10value_typeET2_T3_PNSL_ISQ_E10value_typeET4_jRbjT5_SW_jjP12ihipStream_tbEUlT_E0_NS1_11comp_targetILNS1_3genE3ELNS1_11target_archE908ELNS1_3gpuE7ELNS1_3repE0EEENS1_60segmented_radix_sort_warp_sort_medium_config_static_selectorELNS0_4arch9wavefront6targetE0EEEvSK_
    .private_segment_fixed_size: 0
    .sgpr_count:     0
    .sgpr_spill_count: 0
    .symbol:         _ZN7rocprim17ROCPRIM_400000_NS6detail17trampoline_kernelINS0_14default_configENS1_36segmented_radix_sort_config_selectorIilEEZNS1_25segmented_radix_sort_implIS3_Lb0EPKiPiPKlPlN2at6native12_GLOBAL__N_18offset_tEEE10hipError_tPvRmT1_PNSt15iterator_traitsISK_E10value_typeET2_T3_PNSL_ISQ_E10value_typeET4_jRbjT5_SW_jjP12ihipStream_tbEUlT_E0_NS1_11comp_targetILNS1_3genE3ELNS1_11target_archE908ELNS1_3gpuE7ELNS1_3repE0EEENS1_60segmented_radix_sort_warp_sort_medium_config_static_selectorELNS0_4arch9wavefront6targetE0EEEvSK_.kd
    .uniform_work_group_size: 1
    .uses_dynamic_stack: false
    .vgpr_count:     0
    .vgpr_spill_count: 0
    .wavefront_size: 32
    .workgroup_processor_mode: 1
  - .args:
      - .offset:         0
        .size:           88
        .value_kind:     by_value
    .group_segment_fixed_size: 0
    .kernarg_segment_align: 8
    .kernarg_segment_size: 88
    .language:       OpenCL C
    .language_version:
      - 2
      - 0
    .max_flat_workgroup_size: 256
    .name:           _ZN7rocprim17ROCPRIM_400000_NS6detail17trampoline_kernelINS0_14default_configENS1_36segmented_radix_sort_config_selectorIilEEZNS1_25segmented_radix_sort_implIS3_Lb0EPKiPiPKlPlN2at6native12_GLOBAL__N_18offset_tEEE10hipError_tPvRmT1_PNSt15iterator_traitsISK_E10value_typeET2_T3_PNSL_ISQ_E10value_typeET4_jRbjT5_SW_jjP12ihipStream_tbEUlT_E0_NS1_11comp_targetILNS1_3genE2ELNS1_11target_archE906ELNS1_3gpuE6ELNS1_3repE0EEENS1_60segmented_radix_sort_warp_sort_medium_config_static_selectorELNS0_4arch9wavefront6targetE0EEEvSK_
    .private_segment_fixed_size: 0
    .sgpr_count:     0
    .sgpr_spill_count: 0
    .symbol:         _ZN7rocprim17ROCPRIM_400000_NS6detail17trampoline_kernelINS0_14default_configENS1_36segmented_radix_sort_config_selectorIilEEZNS1_25segmented_radix_sort_implIS3_Lb0EPKiPiPKlPlN2at6native12_GLOBAL__N_18offset_tEEE10hipError_tPvRmT1_PNSt15iterator_traitsISK_E10value_typeET2_T3_PNSL_ISQ_E10value_typeET4_jRbjT5_SW_jjP12ihipStream_tbEUlT_E0_NS1_11comp_targetILNS1_3genE2ELNS1_11target_archE906ELNS1_3gpuE6ELNS1_3repE0EEENS1_60segmented_radix_sort_warp_sort_medium_config_static_selectorELNS0_4arch9wavefront6targetE0EEEvSK_.kd
    .uniform_work_group_size: 1
    .uses_dynamic_stack: false
    .vgpr_count:     0
    .vgpr_spill_count: 0
    .wavefront_size: 32
    .workgroup_processor_mode: 1
  - .args:
      - .offset:         0
        .size:           88
        .value_kind:     by_value
    .group_segment_fixed_size: 0
    .kernarg_segment_align: 8
    .kernarg_segment_size: 88
    .language:       OpenCL C
    .language_version:
      - 2
      - 0
    .max_flat_workgroup_size: 256
    .name:           _ZN7rocprim17ROCPRIM_400000_NS6detail17trampoline_kernelINS0_14default_configENS1_36segmented_radix_sort_config_selectorIilEEZNS1_25segmented_radix_sort_implIS3_Lb0EPKiPiPKlPlN2at6native12_GLOBAL__N_18offset_tEEE10hipError_tPvRmT1_PNSt15iterator_traitsISK_E10value_typeET2_T3_PNSL_ISQ_E10value_typeET4_jRbjT5_SW_jjP12ihipStream_tbEUlT_E0_NS1_11comp_targetILNS1_3genE10ELNS1_11target_archE1201ELNS1_3gpuE5ELNS1_3repE0EEENS1_60segmented_radix_sort_warp_sort_medium_config_static_selectorELNS0_4arch9wavefront6targetE0EEEvSK_
    .private_segment_fixed_size: 0
    .sgpr_count:     0
    .sgpr_spill_count: 0
    .symbol:         _ZN7rocprim17ROCPRIM_400000_NS6detail17trampoline_kernelINS0_14default_configENS1_36segmented_radix_sort_config_selectorIilEEZNS1_25segmented_radix_sort_implIS3_Lb0EPKiPiPKlPlN2at6native12_GLOBAL__N_18offset_tEEE10hipError_tPvRmT1_PNSt15iterator_traitsISK_E10value_typeET2_T3_PNSL_ISQ_E10value_typeET4_jRbjT5_SW_jjP12ihipStream_tbEUlT_E0_NS1_11comp_targetILNS1_3genE10ELNS1_11target_archE1201ELNS1_3gpuE5ELNS1_3repE0EEENS1_60segmented_radix_sort_warp_sort_medium_config_static_selectorELNS0_4arch9wavefront6targetE0EEEvSK_.kd
    .uniform_work_group_size: 1
    .uses_dynamic_stack: false
    .vgpr_count:     0
    .vgpr_spill_count: 0
    .wavefront_size: 32
    .workgroup_processor_mode: 1
  - .args:
      - .offset:         0
        .size:           88
        .value_kind:     by_value
    .group_segment_fixed_size: 0
    .kernarg_segment_align: 8
    .kernarg_segment_size: 88
    .language:       OpenCL C
    .language_version:
      - 2
      - 0
    .max_flat_workgroup_size: 256
    .name:           _ZN7rocprim17ROCPRIM_400000_NS6detail17trampoline_kernelINS0_14default_configENS1_36segmented_radix_sort_config_selectorIilEEZNS1_25segmented_radix_sort_implIS3_Lb0EPKiPiPKlPlN2at6native12_GLOBAL__N_18offset_tEEE10hipError_tPvRmT1_PNSt15iterator_traitsISK_E10value_typeET2_T3_PNSL_ISQ_E10value_typeET4_jRbjT5_SW_jjP12ihipStream_tbEUlT_E0_NS1_11comp_targetILNS1_3genE10ELNS1_11target_archE1200ELNS1_3gpuE4ELNS1_3repE0EEENS1_60segmented_radix_sort_warp_sort_medium_config_static_selectorELNS0_4arch9wavefront6targetE0EEEvSK_
    .private_segment_fixed_size: 0
    .sgpr_count:     0
    .sgpr_spill_count: 0
    .symbol:         _ZN7rocprim17ROCPRIM_400000_NS6detail17trampoline_kernelINS0_14default_configENS1_36segmented_radix_sort_config_selectorIilEEZNS1_25segmented_radix_sort_implIS3_Lb0EPKiPiPKlPlN2at6native12_GLOBAL__N_18offset_tEEE10hipError_tPvRmT1_PNSt15iterator_traitsISK_E10value_typeET2_T3_PNSL_ISQ_E10value_typeET4_jRbjT5_SW_jjP12ihipStream_tbEUlT_E0_NS1_11comp_targetILNS1_3genE10ELNS1_11target_archE1200ELNS1_3gpuE4ELNS1_3repE0EEENS1_60segmented_radix_sort_warp_sort_medium_config_static_selectorELNS0_4arch9wavefront6targetE0EEEvSK_.kd
    .uniform_work_group_size: 1
    .uses_dynamic_stack: false
    .vgpr_count:     0
    .vgpr_spill_count: 0
    .wavefront_size: 32
    .workgroup_processor_mode: 1
  - .args:
      - .offset:         0
        .size:           88
        .value_kind:     by_value
    .group_segment_fixed_size: 0
    .kernarg_segment_align: 8
    .kernarg_segment_size: 88
    .language:       OpenCL C
    .language_version:
      - 2
      - 0
    .max_flat_workgroup_size: 256
    .name:           _ZN7rocprim17ROCPRIM_400000_NS6detail17trampoline_kernelINS0_14default_configENS1_36segmented_radix_sort_config_selectorIilEEZNS1_25segmented_radix_sort_implIS3_Lb0EPKiPiPKlPlN2at6native12_GLOBAL__N_18offset_tEEE10hipError_tPvRmT1_PNSt15iterator_traitsISK_E10value_typeET2_T3_PNSL_ISQ_E10value_typeET4_jRbjT5_SW_jjP12ihipStream_tbEUlT_E0_NS1_11comp_targetILNS1_3genE9ELNS1_11target_archE1100ELNS1_3gpuE3ELNS1_3repE0EEENS1_60segmented_radix_sort_warp_sort_medium_config_static_selectorELNS0_4arch9wavefront6targetE0EEEvSK_
    .private_segment_fixed_size: 0
    .sgpr_count:     0
    .sgpr_spill_count: 0
    .symbol:         _ZN7rocprim17ROCPRIM_400000_NS6detail17trampoline_kernelINS0_14default_configENS1_36segmented_radix_sort_config_selectorIilEEZNS1_25segmented_radix_sort_implIS3_Lb0EPKiPiPKlPlN2at6native12_GLOBAL__N_18offset_tEEE10hipError_tPvRmT1_PNSt15iterator_traitsISK_E10value_typeET2_T3_PNSL_ISQ_E10value_typeET4_jRbjT5_SW_jjP12ihipStream_tbEUlT_E0_NS1_11comp_targetILNS1_3genE9ELNS1_11target_archE1100ELNS1_3gpuE3ELNS1_3repE0EEENS1_60segmented_radix_sort_warp_sort_medium_config_static_selectorELNS0_4arch9wavefront6targetE0EEEvSK_.kd
    .uniform_work_group_size: 1
    .uses_dynamic_stack: false
    .vgpr_count:     0
    .vgpr_spill_count: 0
    .wavefront_size: 32
    .workgroup_processor_mode: 1
  - .args:
      - .offset:         0
        .size:           88
        .value_kind:     by_value
      - .offset:         88
        .size:           4
        .value_kind:     hidden_block_count_x
      - .offset:         92
        .size:           4
        .value_kind:     hidden_block_count_y
      - .offset:         96
        .size:           4
        .value_kind:     hidden_block_count_z
      - .offset:         100
        .size:           2
        .value_kind:     hidden_group_size_x
      - .offset:         102
        .size:           2
        .value_kind:     hidden_group_size_y
      - .offset:         104
        .size:           2
        .value_kind:     hidden_group_size_z
      - .offset:         106
        .size:           2
        .value_kind:     hidden_remainder_x
      - .offset:         108
        .size:           2
        .value_kind:     hidden_remainder_y
      - .offset:         110
        .size:           2
        .value_kind:     hidden_remainder_z
      - .offset:         128
        .size:           8
        .value_kind:     hidden_global_offset_x
      - .offset:         136
        .size:           8
        .value_kind:     hidden_global_offset_y
      - .offset:         144
        .size:           8
        .value_kind:     hidden_global_offset_z
      - .offset:         152
        .size:           2
        .value_kind:     hidden_grid_dims
    .group_segment_fixed_size: 12288
    .kernarg_segment_align: 8
    .kernarg_segment_size: 344
    .language:       OpenCL C
    .language_version:
      - 2
      - 0
    .max_flat_workgroup_size: 256
    .name:           _ZN7rocprim17ROCPRIM_400000_NS6detail17trampoline_kernelINS0_14default_configENS1_36segmented_radix_sort_config_selectorIilEEZNS1_25segmented_radix_sort_implIS3_Lb0EPKiPiPKlPlN2at6native12_GLOBAL__N_18offset_tEEE10hipError_tPvRmT1_PNSt15iterator_traitsISK_E10value_typeET2_T3_PNSL_ISQ_E10value_typeET4_jRbjT5_SW_jjP12ihipStream_tbEUlT_E0_NS1_11comp_targetILNS1_3genE8ELNS1_11target_archE1030ELNS1_3gpuE2ELNS1_3repE0EEENS1_60segmented_radix_sort_warp_sort_medium_config_static_selectorELNS0_4arch9wavefront6targetE0EEEvSK_
    .private_segment_fixed_size: 0
    .sgpr_count:     42
    .sgpr_spill_count: 0
    .symbol:         _ZN7rocprim17ROCPRIM_400000_NS6detail17trampoline_kernelINS0_14default_configENS1_36segmented_radix_sort_config_selectorIilEEZNS1_25segmented_radix_sort_implIS3_Lb0EPKiPiPKlPlN2at6native12_GLOBAL__N_18offset_tEEE10hipError_tPvRmT1_PNSt15iterator_traitsISK_E10value_typeET2_T3_PNSL_ISQ_E10value_typeET4_jRbjT5_SW_jjP12ihipStream_tbEUlT_E0_NS1_11comp_targetILNS1_3genE8ELNS1_11target_archE1030ELNS1_3gpuE2ELNS1_3repE0EEENS1_60segmented_radix_sort_warp_sort_medium_config_static_selectorELNS0_4arch9wavefront6targetE0EEEvSK_.kd
    .uniform_work_group_size: 1
    .uses_dynamic_stack: false
    .vgpr_count:     54
    .vgpr_spill_count: 0
    .wavefront_size: 32
    .workgroup_processor_mode: 1
  - .args:
      - .offset:         0
        .size:           88
        .value_kind:     by_value
    .group_segment_fixed_size: 0
    .kernarg_segment_align: 8
    .kernarg_segment_size: 88
    .language:       OpenCL C
    .language_version:
      - 2
      - 0
    .max_flat_workgroup_size: 256
    .name:           _ZN7rocprim17ROCPRIM_400000_NS6detail17trampoline_kernelINS0_14default_configENS1_36segmented_radix_sort_config_selectorIilEEZNS1_25segmented_radix_sort_implIS3_Lb0EPKiPiPKlPlN2at6native12_GLOBAL__N_18offset_tEEE10hipError_tPvRmT1_PNSt15iterator_traitsISK_E10value_typeET2_T3_PNSL_ISQ_E10value_typeET4_jRbjT5_SW_jjP12ihipStream_tbEUlT_E1_NS1_11comp_targetILNS1_3genE0ELNS1_11target_archE4294967295ELNS1_3gpuE0ELNS1_3repE0EEENS1_59segmented_radix_sort_warp_sort_small_config_static_selectorELNS0_4arch9wavefront6targetE0EEEvSK_
    .private_segment_fixed_size: 0
    .sgpr_count:     0
    .sgpr_spill_count: 0
    .symbol:         _ZN7rocprim17ROCPRIM_400000_NS6detail17trampoline_kernelINS0_14default_configENS1_36segmented_radix_sort_config_selectorIilEEZNS1_25segmented_radix_sort_implIS3_Lb0EPKiPiPKlPlN2at6native12_GLOBAL__N_18offset_tEEE10hipError_tPvRmT1_PNSt15iterator_traitsISK_E10value_typeET2_T3_PNSL_ISQ_E10value_typeET4_jRbjT5_SW_jjP12ihipStream_tbEUlT_E1_NS1_11comp_targetILNS1_3genE0ELNS1_11target_archE4294967295ELNS1_3gpuE0ELNS1_3repE0EEENS1_59segmented_radix_sort_warp_sort_small_config_static_selectorELNS0_4arch9wavefront6targetE0EEEvSK_.kd
    .uniform_work_group_size: 1
    .uses_dynamic_stack: false
    .vgpr_count:     0
    .vgpr_spill_count: 0
    .wavefront_size: 32
    .workgroup_processor_mode: 1
  - .args:
      - .offset:         0
        .size:           88
        .value_kind:     by_value
    .group_segment_fixed_size: 0
    .kernarg_segment_align: 8
    .kernarg_segment_size: 88
    .language:       OpenCL C
    .language_version:
      - 2
      - 0
    .max_flat_workgroup_size: 256
    .name:           _ZN7rocprim17ROCPRIM_400000_NS6detail17trampoline_kernelINS0_14default_configENS1_36segmented_radix_sort_config_selectorIilEEZNS1_25segmented_radix_sort_implIS3_Lb0EPKiPiPKlPlN2at6native12_GLOBAL__N_18offset_tEEE10hipError_tPvRmT1_PNSt15iterator_traitsISK_E10value_typeET2_T3_PNSL_ISQ_E10value_typeET4_jRbjT5_SW_jjP12ihipStream_tbEUlT_E1_NS1_11comp_targetILNS1_3genE5ELNS1_11target_archE942ELNS1_3gpuE9ELNS1_3repE0EEENS1_59segmented_radix_sort_warp_sort_small_config_static_selectorELNS0_4arch9wavefront6targetE0EEEvSK_
    .private_segment_fixed_size: 0
    .sgpr_count:     0
    .sgpr_spill_count: 0
    .symbol:         _ZN7rocprim17ROCPRIM_400000_NS6detail17trampoline_kernelINS0_14default_configENS1_36segmented_radix_sort_config_selectorIilEEZNS1_25segmented_radix_sort_implIS3_Lb0EPKiPiPKlPlN2at6native12_GLOBAL__N_18offset_tEEE10hipError_tPvRmT1_PNSt15iterator_traitsISK_E10value_typeET2_T3_PNSL_ISQ_E10value_typeET4_jRbjT5_SW_jjP12ihipStream_tbEUlT_E1_NS1_11comp_targetILNS1_3genE5ELNS1_11target_archE942ELNS1_3gpuE9ELNS1_3repE0EEENS1_59segmented_radix_sort_warp_sort_small_config_static_selectorELNS0_4arch9wavefront6targetE0EEEvSK_.kd
    .uniform_work_group_size: 1
    .uses_dynamic_stack: false
    .vgpr_count:     0
    .vgpr_spill_count: 0
    .wavefront_size: 32
    .workgroup_processor_mode: 1
  - .args:
      - .offset:         0
        .size:           88
        .value_kind:     by_value
    .group_segment_fixed_size: 0
    .kernarg_segment_align: 8
    .kernarg_segment_size: 88
    .language:       OpenCL C
    .language_version:
      - 2
      - 0
    .max_flat_workgroup_size: 256
    .name:           _ZN7rocprim17ROCPRIM_400000_NS6detail17trampoline_kernelINS0_14default_configENS1_36segmented_radix_sort_config_selectorIilEEZNS1_25segmented_radix_sort_implIS3_Lb0EPKiPiPKlPlN2at6native12_GLOBAL__N_18offset_tEEE10hipError_tPvRmT1_PNSt15iterator_traitsISK_E10value_typeET2_T3_PNSL_ISQ_E10value_typeET4_jRbjT5_SW_jjP12ihipStream_tbEUlT_E1_NS1_11comp_targetILNS1_3genE4ELNS1_11target_archE910ELNS1_3gpuE8ELNS1_3repE0EEENS1_59segmented_radix_sort_warp_sort_small_config_static_selectorELNS0_4arch9wavefront6targetE0EEEvSK_
    .private_segment_fixed_size: 0
    .sgpr_count:     0
    .sgpr_spill_count: 0
    .symbol:         _ZN7rocprim17ROCPRIM_400000_NS6detail17trampoline_kernelINS0_14default_configENS1_36segmented_radix_sort_config_selectorIilEEZNS1_25segmented_radix_sort_implIS3_Lb0EPKiPiPKlPlN2at6native12_GLOBAL__N_18offset_tEEE10hipError_tPvRmT1_PNSt15iterator_traitsISK_E10value_typeET2_T3_PNSL_ISQ_E10value_typeET4_jRbjT5_SW_jjP12ihipStream_tbEUlT_E1_NS1_11comp_targetILNS1_3genE4ELNS1_11target_archE910ELNS1_3gpuE8ELNS1_3repE0EEENS1_59segmented_radix_sort_warp_sort_small_config_static_selectorELNS0_4arch9wavefront6targetE0EEEvSK_.kd
    .uniform_work_group_size: 1
    .uses_dynamic_stack: false
    .vgpr_count:     0
    .vgpr_spill_count: 0
    .wavefront_size: 32
    .workgroup_processor_mode: 1
  - .args:
      - .offset:         0
        .size:           88
        .value_kind:     by_value
    .group_segment_fixed_size: 0
    .kernarg_segment_align: 8
    .kernarg_segment_size: 88
    .language:       OpenCL C
    .language_version:
      - 2
      - 0
    .max_flat_workgroup_size: 256
    .name:           _ZN7rocprim17ROCPRIM_400000_NS6detail17trampoline_kernelINS0_14default_configENS1_36segmented_radix_sort_config_selectorIilEEZNS1_25segmented_radix_sort_implIS3_Lb0EPKiPiPKlPlN2at6native12_GLOBAL__N_18offset_tEEE10hipError_tPvRmT1_PNSt15iterator_traitsISK_E10value_typeET2_T3_PNSL_ISQ_E10value_typeET4_jRbjT5_SW_jjP12ihipStream_tbEUlT_E1_NS1_11comp_targetILNS1_3genE3ELNS1_11target_archE908ELNS1_3gpuE7ELNS1_3repE0EEENS1_59segmented_radix_sort_warp_sort_small_config_static_selectorELNS0_4arch9wavefront6targetE0EEEvSK_
    .private_segment_fixed_size: 0
    .sgpr_count:     0
    .sgpr_spill_count: 0
    .symbol:         _ZN7rocprim17ROCPRIM_400000_NS6detail17trampoline_kernelINS0_14default_configENS1_36segmented_radix_sort_config_selectorIilEEZNS1_25segmented_radix_sort_implIS3_Lb0EPKiPiPKlPlN2at6native12_GLOBAL__N_18offset_tEEE10hipError_tPvRmT1_PNSt15iterator_traitsISK_E10value_typeET2_T3_PNSL_ISQ_E10value_typeET4_jRbjT5_SW_jjP12ihipStream_tbEUlT_E1_NS1_11comp_targetILNS1_3genE3ELNS1_11target_archE908ELNS1_3gpuE7ELNS1_3repE0EEENS1_59segmented_radix_sort_warp_sort_small_config_static_selectorELNS0_4arch9wavefront6targetE0EEEvSK_.kd
    .uniform_work_group_size: 1
    .uses_dynamic_stack: false
    .vgpr_count:     0
    .vgpr_spill_count: 0
    .wavefront_size: 32
    .workgroup_processor_mode: 1
  - .args:
      - .offset:         0
        .size:           88
        .value_kind:     by_value
    .group_segment_fixed_size: 0
    .kernarg_segment_align: 8
    .kernarg_segment_size: 88
    .language:       OpenCL C
    .language_version:
      - 2
      - 0
    .max_flat_workgroup_size: 256
    .name:           _ZN7rocprim17ROCPRIM_400000_NS6detail17trampoline_kernelINS0_14default_configENS1_36segmented_radix_sort_config_selectorIilEEZNS1_25segmented_radix_sort_implIS3_Lb0EPKiPiPKlPlN2at6native12_GLOBAL__N_18offset_tEEE10hipError_tPvRmT1_PNSt15iterator_traitsISK_E10value_typeET2_T3_PNSL_ISQ_E10value_typeET4_jRbjT5_SW_jjP12ihipStream_tbEUlT_E1_NS1_11comp_targetILNS1_3genE2ELNS1_11target_archE906ELNS1_3gpuE6ELNS1_3repE0EEENS1_59segmented_radix_sort_warp_sort_small_config_static_selectorELNS0_4arch9wavefront6targetE0EEEvSK_
    .private_segment_fixed_size: 0
    .sgpr_count:     0
    .sgpr_spill_count: 0
    .symbol:         _ZN7rocprim17ROCPRIM_400000_NS6detail17trampoline_kernelINS0_14default_configENS1_36segmented_radix_sort_config_selectorIilEEZNS1_25segmented_radix_sort_implIS3_Lb0EPKiPiPKlPlN2at6native12_GLOBAL__N_18offset_tEEE10hipError_tPvRmT1_PNSt15iterator_traitsISK_E10value_typeET2_T3_PNSL_ISQ_E10value_typeET4_jRbjT5_SW_jjP12ihipStream_tbEUlT_E1_NS1_11comp_targetILNS1_3genE2ELNS1_11target_archE906ELNS1_3gpuE6ELNS1_3repE0EEENS1_59segmented_radix_sort_warp_sort_small_config_static_selectorELNS0_4arch9wavefront6targetE0EEEvSK_.kd
    .uniform_work_group_size: 1
    .uses_dynamic_stack: false
    .vgpr_count:     0
    .vgpr_spill_count: 0
    .wavefront_size: 32
    .workgroup_processor_mode: 1
  - .args:
      - .offset:         0
        .size:           88
        .value_kind:     by_value
    .group_segment_fixed_size: 0
    .kernarg_segment_align: 8
    .kernarg_segment_size: 88
    .language:       OpenCL C
    .language_version:
      - 2
      - 0
    .max_flat_workgroup_size: 256
    .name:           _ZN7rocprim17ROCPRIM_400000_NS6detail17trampoline_kernelINS0_14default_configENS1_36segmented_radix_sort_config_selectorIilEEZNS1_25segmented_radix_sort_implIS3_Lb0EPKiPiPKlPlN2at6native12_GLOBAL__N_18offset_tEEE10hipError_tPvRmT1_PNSt15iterator_traitsISK_E10value_typeET2_T3_PNSL_ISQ_E10value_typeET4_jRbjT5_SW_jjP12ihipStream_tbEUlT_E1_NS1_11comp_targetILNS1_3genE10ELNS1_11target_archE1201ELNS1_3gpuE5ELNS1_3repE0EEENS1_59segmented_radix_sort_warp_sort_small_config_static_selectorELNS0_4arch9wavefront6targetE0EEEvSK_
    .private_segment_fixed_size: 0
    .sgpr_count:     0
    .sgpr_spill_count: 0
    .symbol:         _ZN7rocprim17ROCPRIM_400000_NS6detail17trampoline_kernelINS0_14default_configENS1_36segmented_radix_sort_config_selectorIilEEZNS1_25segmented_radix_sort_implIS3_Lb0EPKiPiPKlPlN2at6native12_GLOBAL__N_18offset_tEEE10hipError_tPvRmT1_PNSt15iterator_traitsISK_E10value_typeET2_T3_PNSL_ISQ_E10value_typeET4_jRbjT5_SW_jjP12ihipStream_tbEUlT_E1_NS1_11comp_targetILNS1_3genE10ELNS1_11target_archE1201ELNS1_3gpuE5ELNS1_3repE0EEENS1_59segmented_radix_sort_warp_sort_small_config_static_selectorELNS0_4arch9wavefront6targetE0EEEvSK_.kd
    .uniform_work_group_size: 1
    .uses_dynamic_stack: false
    .vgpr_count:     0
    .vgpr_spill_count: 0
    .wavefront_size: 32
    .workgroup_processor_mode: 1
  - .args:
      - .offset:         0
        .size:           88
        .value_kind:     by_value
    .group_segment_fixed_size: 0
    .kernarg_segment_align: 8
    .kernarg_segment_size: 88
    .language:       OpenCL C
    .language_version:
      - 2
      - 0
    .max_flat_workgroup_size: 256
    .name:           _ZN7rocprim17ROCPRIM_400000_NS6detail17trampoline_kernelINS0_14default_configENS1_36segmented_radix_sort_config_selectorIilEEZNS1_25segmented_radix_sort_implIS3_Lb0EPKiPiPKlPlN2at6native12_GLOBAL__N_18offset_tEEE10hipError_tPvRmT1_PNSt15iterator_traitsISK_E10value_typeET2_T3_PNSL_ISQ_E10value_typeET4_jRbjT5_SW_jjP12ihipStream_tbEUlT_E1_NS1_11comp_targetILNS1_3genE10ELNS1_11target_archE1200ELNS1_3gpuE4ELNS1_3repE0EEENS1_59segmented_radix_sort_warp_sort_small_config_static_selectorELNS0_4arch9wavefront6targetE0EEEvSK_
    .private_segment_fixed_size: 0
    .sgpr_count:     0
    .sgpr_spill_count: 0
    .symbol:         _ZN7rocprim17ROCPRIM_400000_NS6detail17trampoline_kernelINS0_14default_configENS1_36segmented_radix_sort_config_selectorIilEEZNS1_25segmented_radix_sort_implIS3_Lb0EPKiPiPKlPlN2at6native12_GLOBAL__N_18offset_tEEE10hipError_tPvRmT1_PNSt15iterator_traitsISK_E10value_typeET2_T3_PNSL_ISQ_E10value_typeET4_jRbjT5_SW_jjP12ihipStream_tbEUlT_E1_NS1_11comp_targetILNS1_3genE10ELNS1_11target_archE1200ELNS1_3gpuE4ELNS1_3repE0EEENS1_59segmented_radix_sort_warp_sort_small_config_static_selectorELNS0_4arch9wavefront6targetE0EEEvSK_.kd
    .uniform_work_group_size: 1
    .uses_dynamic_stack: false
    .vgpr_count:     0
    .vgpr_spill_count: 0
    .wavefront_size: 32
    .workgroup_processor_mode: 1
  - .args:
      - .offset:         0
        .size:           88
        .value_kind:     by_value
    .group_segment_fixed_size: 0
    .kernarg_segment_align: 8
    .kernarg_segment_size: 88
    .language:       OpenCL C
    .language_version:
      - 2
      - 0
    .max_flat_workgroup_size: 256
    .name:           _ZN7rocprim17ROCPRIM_400000_NS6detail17trampoline_kernelINS0_14default_configENS1_36segmented_radix_sort_config_selectorIilEEZNS1_25segmented_radix_sort_implIS3_Lb0EPKiPiPKlPlN2at6native12_GLOBAL__N_18offset_tEEE10hipError_tPvRmT1_PNSt15iterator_traitsISK_E10value_typeET2_T3_PNSL_ISQ_E10value_typeET4_jRbjT5_SW_jjP12ihipStream_tbEUlT_E1_NS1_11comp_targetILNS1_3genE9ELNS1_11target_archE1100ELNS1_3gpuE3ELNS1_3repE0EEENS1_59segmented_radix_sort_warp_sort_small_config_static_selectorELNS0_4arch9wavefront6targetE0EEEvSK_
    .private_segment_fixed_size: 0
    .sgpr_count:     0
    .sgpr_spill_count: 0
    .symbol:         _ZN7rocprim17ROCPRIM_400000_NS6detail17trampoline_kernelINS0_14default_configENS1_36segmented_radix_sort_config_selectorIilEEZNS1_25segmented_radix_sort_implIS3_Lb0EPKiPiPKlPlN2at6native12_GLOBAL__N_18offset_tEEE10hipError_tPvRmT1_PNSt15iterator_traitsISK_E10value_typeET2_T3_PNSL_ISQ_E10value_typeET4_jRbjT5_SW_jjP12ihipStream_tbEUlT_E1_NS1_11comp_targetILNS1_3genE9ELNS1_11target_archE1100ELNS1_3gpuE3ELNS1_3repE0EEENS1_59segmented_radix_sort_warp_sort_small_config_static_selectorELNS0_4arch9wavefront6targetE0EEEvSK_.kd
    .uniform_work_group_size: 1
    .uses_dynamic_stack: false
    .vgpr_count:     0
    .vgpr_spill_count: 0
    .wavefront_size: 32
    .workgroup_processor_mode: 1
  - .args:
      - .offset:         0
        .size:           88
        .value_kind:     by_value
      - .offset:         88
        .size:           4
        .value_kind:     hidden_block_count_x
      - .offset:         92
        .size:           4
        .value_kind:     hidden_block_count_y
      - .offset:         96
        .size:           4
        .value_kind:     hidden_block_count_z
      - .offset:         100
        .size:           2
        .value_kind:     hidden_group_size_x
      - .offset:         102
        .size:           2
        .value_kind:     hidden_group_size_y
      - .offset:         104
        .size:           2
        .value_kind:     hidden_group_size_z
      - .offset:         106
        .size:           2
        .value_kind:     hidden_remainder_x
      - .offset:         108
        .size:           2
        .value_kind:     hidden_remainder_y
      - .offset:         110
        .size:           2
        .value_kind:     hidden_remainder_z
      - .offset:         128
        .size:           8
        .value_kind:     hidden_global_offset_x
      - .offset:         136
        .size:           8
        .value_kind:     hidden_global_offset_y
      - .offset:         144
        .size:           8
        .value_kind:     hidden_global_offset_z
      - .offset:         152
        .size:           2
        .value_kind:     hidden_grid_dims
    .group_segment_fixed_size: 12288
    .kernarg_segment_align: 8
    .kernarg_segment_size: 344
    .language:       OpenCL C
    .language_version:
      - 2
      - 0
    .max_flat_workgroup_size: 256
    .name:           _ZN7rocprim17ROCPRIM_400000_NS6detail17trampoline_kernelINS0_14default_configENS1_36segmented_radix_sort_config_selectorIilEEZNS1_25segmented_radix_sort_implIS3_Lb0EPKiPiPKlPlN2at6native12_GLOBAL__N_18offset_tEEE10hipError_tPvRmT1_PNSt15iterator_traitsISK_E10value_typeET2_T3_PNSL_ISQ_E10value_typeET4_jRbjT5_SW_jjP12ihipStream_tbEUlT_E1_NS1_11comp_targetILNS1_3genE8ELNS1_11target_archE1030ELNS1_3gpuE2ELNS1_3repE0EEENS1_59segmented_radix_sort_warp_sort_small_config_static_selectorELNS0_4arch9wavefront6targetE0EEEvSK_
    .private_segment_fixed_size: 0
    .sgpr_count:     42
    .sgpr_spill_count: 0
    .symbol:         _ZN7rocprim17ROCPRIM_400000_NS6detail17trampoline_kernelINS0_14default_configENS1_36segmented_radix_sort_config_selectorIilEEZNS1_25segmented_radix_sort_implIS3_Lb0EPKiPiPKlPlN2at6native12_GLOBAL__N_18offset_tEEE10hipError_tPvRmT1_PNSt15iterator_traitsISK_E10value_typeET2_T3_PNSL_ISQ_E10value_typeET4_jRbjT5_SW_jjP12ihipStream_tbEUlT_E1_NS1_11comp_targetILNS1_3genE8ELNS1_11target_archE1030ELNS1_3gpuE2ELNS1_3repE0EEENS1_59segmented_radix_sort_warp_sort_small_config_static_selectorELNS0_4arch9wavefront6targetE0EEEvSK_.kd
    .uniform_work_group_size: 1
    .uses_dynamic_stack: false
    .vgpr_count:     54
    .vgpr_spill_count: 0
    .wavefront_size: 32
    .workgroup_processor_mode: 1
  - .args:
      - .offset:         0
        .size:           80
        .value_kind:     by_value
    .group_segment_fixed_size: 0
    .kernarg_segment_align: 8
    .kernarg_segment_size: 80
    .language:       OpenCL C
    .language_version:
      - 2
      - 0
    .max_flat_workgroup_size: 256
    .name:           _ZN7rocprim17ROCPRIM_400000_NS6detail17trampoline_kernelINS0_14default_configENS1_36segmented_radix_sort_config_selectorIilEEZNS1_25segmented_radix_sort_implIS3_Lb0EPKiPiPKlPlN2at6native12_GLOBAL__N_18offset_tEEE10hipError_tPvRmT1_PNSt15iterator_traitsISK_E10value_typeET2_T3_PNSL_ISQ_E10value_typeET4_jRbjT5_SW_jjP12ihipStream_tbEUlT_E2_NS1_11comp_targetILNS1_3genE0ELNS1_11target_archE4294967295ELNS1_3gpuE0ELNS1_3repE0EEENS1_30default_config_static_selectorELNS0_4arch9wavefront6targetE0EEEvSK_
    .private_segment_fixed_size: 0
    .sgpr_count:     0
    .sgpr_spill_count: 0
    .symbol:         _ZN7rocprim17ROCPRIM_400000_NS6detail17trampoline_kernelINS0_14default_configENS1_36segmented_radix_sort_config_selectorIilEEZNS1_25segmented_radix_sort_implIS3_Lb0EPKiPiPKlPlN2at6native12_GLOBAL__N_18offset_tEEE10hipError_tPvRmT1_PNSt15iterator_traitsISK_E10value_typeET2_T3_PNSL_ISQ_E10value_typeET4_jRbjT5_SW_jjP12ihipStream_tbEUlT_E2_NS1_11comp_targetILNS1_3genE0ELNS1_11target_archE4294967295ELNS1_3gpuE0ELNS1_3repE0EEENS1_30default_config_static_selectorELNS0_4arch9wavefront6targetE0EEEvSK_.kd
    .uniform_work_group_size: 1
    .uses_dynamic_stack: false
    .vgpr_count:     0
    .vgpr_spill_count: 0
    .wavefront_size: 32
    .workgroup_processor_mode: 1
  - .args:
      - .offset:         0
        .size:           80
        .value_kind:     by_value
    .group_segment_fixed_size: 0
    .kernarg_segment_align: 8
    .kernarg_segment_size: 80
    .language:       OpenCL C
    .language_version:
      - 2
      - 0
    .max_flat_workgroup_size: 256
    .name:           _ZN7rocprim17ROCPRIM_400000_NS6detail17trampoline_kernelINS0_14default_configENS1_36segmented_radix_sort_config_selectorIilEEZNS1_25segmented_radix_sort_implIS3_Lb0EPKiPiPKlPlN2at6native12_GLOBAL__N_18offset_tEEE10hipError_tPvRmT1_PNSt15iterator_traitsISK_E10value_typeET2_T3_PNSL_ISQ_E10value_typeET4_jRbjT5_SW_jjP12ihipStream_tbEUlT_E2_NS1_11comp_targetILNS1_3genE5ELNS1_11target_archE942ELNS1_3gpuE9ELNS1_3repE0EEENS1_30default_config_static_selectorELNS0_4arch9wavefront6targetE0EEEvSK_
    .private_segment_fixed_size: 0
    .sgpr_count:     0
    .sgpr_spill_count: 0
    .symbol:         _ZN7rocprim17ROCPRIM_400000_NS6detail17trampoline_kernelINS0_14default_configENS1_36segmented_radix_sort_config_selectorIilEEZNS1_25segmented_radix_sort_implIS3_Lb0EPKiPiPKlPlN2at6native12_GLOBAL__N_18offset_tEEE10hipError_tPvRmT1_PNSt15iterator_traitsISK_E10value_typeET2_T3_PNSL_ISQ_E10value_typeET4_jRbjT5_SW_jjP12ihipStream_tbEUlT_E2_NS1_11comp_targetILNS1_3genE5ELNS1_11target_archE942ELNS1_3gpuE9ELNS1_3repE0EEENS1_30default_config_static_selectorELNS0_4arch9wavefront6targetE0EEEvSK_.kd
    .uniform_work_group_size: 1
    .uses_dynamic_stack: false
    .vgpr_count:     0
    .vgpr_spill_count: 0
    .wavefront_size: 32
    .workgroup_processor_mode: 1
  - .args:
      - .offset:         0
        .size:           80
        .value_kind:     by_value
    .group_segment_fixed_size: 0
    .kernarg_segment_align: 8
    .kernarg_segment_size: 80
    .language:       OpenCL C
    .language_version:
      - 2
      - 0
    .max_flat_workgroup_size: 256
    .name:           _ZN7rocprim17ROCPRIM_400000_NS6detail17trampoline_kernelINS0_14default_configENS1_36segmented_radix_sort_config_selectorIilEEZNS1_25segmented_radix_sort_implIS3_Lb0EPKiPiPKlPlN2at6native12_GLOBAL__N_18offset_tEEE10hipError_tPvRmT1_PNSt15iterator_traitsISK_E10value_typeET2_T3_PNSL_ISQ_E10value_typeET4_jRbjT5_SW_jjP12ihipStream_tbEUlT_E2_NS1_11comp_targetILNS1_3genE4ELNS1_11target_archE910ELNS1_3gpuE8ELNS1_3repE0EEENS1_30default_config_static_selectorELNS0_4arch9wavefront6targetE0EEEvSK_
    .private_segment_fixed_size: 0
    .sgpr_count:     0
    .sgpr_spill_count: 0
    .symbol:         _ZN7rocprim17ROCPRIM_400000_NS6detail17trampoline_kernelINS0_14default_configENS1_36segmented_radix_sort_config_selectorIilEEZNS1_25segmented_radix_sort_implIS3_Lb0EPKiPiPKlPlN2at6native12_GLOBAL__N_18offset_tEEE10hipError_tPvRmT1_PNSt15iterator_traitsISK_E10value_typeET2_T3_PNSL_ISQ_E10value_typeET4_jRbjT5_SW_jjP12ihipStream_tbEUlT_E2_NS1_11comp_targetILNS1_3genE4ELNS1_11target_archE910ELNS1_3gpuE8ELNS1_3repE0EEENS1_30default_config_static_selectorELNS0_4arch9wavefront6targetE0EEEvSK_.kd
    .uniform_work_group_size: 1
    .uses_dynamic_stack: false
    .vgpr_count:     0
    .vgpr_spill_count: 0
    .wavefront_size: 32
    .workgroup_processor_mode: 1
  - .args:
      - .offset:         0
        .size:           80
        .value_kind:     by_value
    .group_segment_fixed_size: 0
    .kernarg_segment_align: 8
    .kernarg_segment_size: 80
    .language:       OpenCL C
    .language_version:
      - 2
      - 0
    .max_flat_workgroup_size: 256
    .name:           _ZN7rocprim17ROCPRIM_400000_NS6detail17trampoline_kernelINS0_14default_configENS1_36segmented_radix_sort_config_selectorIilEEZNS1_25segmented_radix_sort_implIS3_Lb0EPKiPiPKlPlN2at6native12_GLOBAL__N_18offset_tEEE10hipError_tPvRmT1_PNSt15iterator_traitsISK_E10value_typeET2_T3_PNSL_ISQ_E10value_typeET4_jRbjT5_SW_jjP12ihipStream_tbEUlT_E2_NS1_11comp_targetILNS1_3genE3ELNS1_11target_archE908ELNS1_3gpuE7ELNS1_3repE0EEENS1_30default_config_static_selectorELNS0_4arch9wavefront6targetE0EEEvSK_
    .private_segment_fixed_size: 0
    .sgpr_count:     0
    .sgpr_spill_count: 0
    .symbol:         _ZN7rocprim17ROCPRIM_400000_NS6detail17trampoline_kernelINS0_14default_configENS1_36segmented_radix_sort_config_selectorIilEEZNS1_25segmented_radix_sort_implIS3_Lb0EPKiPiPKlPlN2at6native12_GLOBAL__N_18offset_tEEE10hipError_tPvRmT1_PNSt15iterator_traitsISK_E10value_typeET2_T3_PNSL_ISQ_E10value_typeET4_jRbjT5_SW_jjP12ihipStream_tbEUlT_E2_NS1_11comp_targetILNS1_3genE3ELNS1_11target_archE908ELNS1_3gpuE7ELNS1_3repE0EEENS1_30default_config_static_selectorELNS0_4arch9wavefront6targetE0EEEvSK_.kd
    .uniform_work_group_size: 1
    .uses_dynamic_stack: false
    .vgpr_count:     0
    .vgpr_spill_count: 0
    .wavefront_size: 32
    .workgroup_processor_mode: 1
  - .args:
      - .offset:         0
        .size:           80
        .value_kind:     by_value
    .group_segment_fixed_size: 0
    .kernarg_segment_align: 8
    .kernarg_segment_size: 80
    .language:       OpenCL C
    .language_version:
      - 2
      - 0
    .max_flat_workgroup_size: 256
    .name:           _ZN7rocprim17ROCPRIM_400000_NS6detail17trampoline_kernelINS0_14default_configENS1_36segmented_radix_sort_config_selectorIilEEZNS1_25segmented_radix_sort_implIS3_Lb0EPKiPiPKlPlN2at6native12_GLOBAL__N_18offset_tEEE10hipError_tPvRmT1_PNSt15iterator_traitsISK_E10value_typeET2_T3_PNSL_ISQ_E10value_typeET4_jRbjT5_SW_jjP12ihipStream_tbEUlT_E2_NS1_11comp_targetILNS1_3genE2ELNS1_11target_archE906ELNS1_3gpuE6ELNS1_3repE0EEENS1_30default_config_static_selectorELNS0_4arch9wavefront6targetE0EEEvSK_
    .private_segment_fixed_size: 0
    .sgpr_count:     0
    .sgpr_spill_count: 0
    .symbol:         _ZN7rocprim17ROCPRIM_400000_NS6detail17trampoline_kernelINS0_14default_configENS1_36segmented_radix_sort_config_selectorIilEEZNS1_25segmented_radix_sort_implIS3_Lb0EPKiPiPKlPlN2at6native12_GLOBAL__N_18offset_tEEE10hipError_tPvRmT1_PNSt15iterator_traitsISK_E10value_typeET2_T3_PNSL_ISQ_E10value_typeET4_jRbjT5_SW_jjP12ihipStream_tbEUlT_E2_NS1_11comp_targetILNS1_3genE2ELNS1_11target_archE906ELNS1_3gpuE6ELNS1_3repE0EEENS1_30default_config_static_selectorELNS0_4arch9wavefront6targetE0EEEvSK_.kd
    .uniform_work_group_size: 1
    .uses_dynamic_stack: false
    .vgpr_count:     0
    .vgpr_spill_count: 0
    .wavefront_size: 32
    .workgroup_processor_mode: 1
  - .args:
      - .offset:         0
        .size:           80
        .value_kind:     by_value
    .group_segment_fixed_size: 0
    .kernarg_segment_align: 8
    .kernarg_segment_size: 80
    .language:       OpenCL C
    .language_version:
      - 2
      - 0
    .max_flat_workgroup_size: 256
    .name:           _ZN7rocprim17ROCPRIM_400000_NS6detail17trampoline_kernelINS0_14default_configENS1_36segmented_radix_sort_config_selectorIilEEZNS1_25segmented_radix_sort_implIS3_Lb0EPKiPiPKlPlN2at6native12_GLOBAL__N_18offset_tEEE10hipError_tPvRmT1_PNSt15iterator_traitsISK_E10value_typeET2_T3_PNSL_ISQ_E10value_typeET4_jRbjT5_SW_jjP12ihipStream_tbEUlT_E2_NS1_11comp_targetILNS1_3genE10ELNS1_11target_archE1201ELNS1_3gpuE5ELNS1_3repE0EEENS1_30default_config_static_selectorELNS0_4arch9wavefront6targetE0EEEvSK_
    .private_segment_fixed_size: 0
    .sgpr_count:     0
    .sgpr_spill_count: 0
    .symbol:         _ZN7rocprim17ROCPRIM_400000_NS6detail17trampoline_kernelINS0_14default_configENS1_36segmented_radix_sort_config_selectorIilEEZNS1_25segmented_radix_sort_implIS3_Lb0EPKiPiPKlPlN2at6native12_GLOBAL__N_18offset_tEEE10hipError_tPvRmT1_PNSt15iterator_traitsISK_E10value_typeET2_T3_PNSL_ISQ_E10value_typeET4_jRbjT5_SW_jjP12ihipStream_tbEUlT_E2_NS1_11comp_targetILNS1_3genE10ELNS1_11target_archE1201ELNS1_3gpuE5ELNS1_3repE0EEENS1_30default_config_static_selectorELNS0_4arch9wavefront6targetE0EEEvSK_.kd
    .uniform_work_group_size: 1
    .uses_dynamic_stack: false
    .vgpr_count:     0
    .vgpr_spill_count: 0
    .wavefront_size: 32
    .workgroup_processor_mode: 1
  - .args:
      - .offset:         0
        .size:           80
        .value_kind:     by_value
    .group_segment_fixed_size: 0
    .kernarg_segment_align: 8
    .kernarg_segment_size: 80
    .language:       OpenCL C
    .language_version:
      - 2
      - 0
    .max_flat_workgroup_size: 128
    .name:           _ZN7rocprim17ROCPRIM_400000_NS6detail17trampoline_kernelINS0_14default_configENS1_36segmented_radix_sort_config_selectorIilEEZNS1_25segmented_radix_sort_implIS3_Lb0EPKiPiPKlPlN2at6native12_GLOBAL__N_18offset_tEEE10hipError_tPvRmT1_PNSt15iterator_traitsISK_E10value_typeET2_T3_PNSL_ISQ_E10value_typeET4_jRbjT5_SW_jjP12ihipStream_tbEUlT_E2_NS1_11comp_targetILNS1_3genE10ELNS1_11target_archE1200ELNS1_3gpuE4ELNS1_3repE0EEENS1_30default_config_static_selectorELNS0_4arch9wavefront6targetE0EEEvSK_
    .private_segment_fixed_size: 0
    .sgpr_count:     0
    .sgpr_spill_count: 0
    .symbol:         _ZN7rocprim17ROCPRIM_400000_NS6detail17trampoline_kernelINS0_14default_configENS1_36segmented_radix_sort_config_selectorIilEEZNS1_25segmented_radix_sort_implIS3_Lb0EPKiPiPKlPlN2at6native12_GLOBAL__N_18offset_tEEE10hipError_tPvRmT1_PNSt15iterator_traitsISK_E10value_typeET2_T3_PNSL_ISQ_E10value_typeET4_jRbjT5_SW_jjP12ihipStream_tbEUlT_E2_NS1_11comp_targetILNS1_3genE10ELNS1_11target_archE1200ELNS1_3gpuE4ELNS1_3repE0EEENS1_30default_config_static_selectorELNS0_4arch9wavefront6targetE0EEEvSK_.kd
    .uniform_work_group_size: 1
    .uses_dynamic_stack: false
    .vgpr_count:     0
    .vgpr_spill_count: 0
    .wavefront_size: 32
    .workgroup_processor_mode: 1
  - .args:
      - .offset:         0
        .size:           80
        .value_kind:     by_value
    .group_segment_fixed_size: 0
    .kernarg_segment_align: 8
    .kernarg_segment_size: 80
    .language:       OpenCL C
    .language_version:
      - 2
      - 0
    .max_flat_workgroup_size: 256
    .name:           _ZN7rocprim17ROCPRIM_400000_NS6detail17trampoline_kernelINS0_14default_configENS1_36segmented_radix_sort_config_selectorIilEEZNS1_25segmented_radix_sort_implIS3_Lb0EPKiPiPKlPlN2at6native12_GLOBAL__N_18offset_tEEE10hipError_tPvRmT1_PNSt15iterator_traitsISK_E10value_typeET2_T3_PNSL_ISQ_E10value_typeET4_jRbjT5_SW_jjP12ihipStream_tbEUlT_E2_NS1_11comp_targetILNS1_3genE9ELNS1_11target_archE1100ELNS1_3gpuE3ELNS1_3repE0EEENS1_30default_config_static_selectorELNS0_4arch9wavefront6targetE0EEEvSK_
    .private_segment_fixed_size: 0
    .sgpr_count:     0
    .sgpr_spill_count: 0
    .symbol:         _ZN7rocprim17ROCPRIM_400000_NS6detail17trampoline_kernelINS0_14default_configENS1_36segmented_radix_sort_config_selectorIilEEZNS1_25segmented_radix_sort_implIS3_Lb0EPKiPiPKlPlN2at6native12_GLOBAL__N_18offset_tEEE10hipError_tPvRmT1_PNSt15iterator_traitsISK_E10value_typeET2_T3_PNSL_ISQ_E10value_typeET4_jRbjT5_SW_jjP12ihipStream_tbEUlT_E2_NS1_11comp_targetILNS1_3genE9ELNS1_11target_archE1100ELNS1_3gpuE3ELNS1_3repE0EEENS1_30default_config_static_selectorELNS0_4arch9wavefront6targetE0EEEvSK_.kd
    .uniform_work_group_size: 1
    .uses_dynamic_stack: false
    .vgpr_count:     0
    .vgpr_spill_count: 0
    .wavefront_size: 32
    .workgroup_processor_mode: 1
  - .args:
      - .offset:         0
        .size:           80
        .value_kind:     by_value
      - .offset:         80
        .size:           4
        .value_kind:     hidden_block_count_x
      - .offset:         84
        .size:           4
        .value_kind:     hidden_block_count_y
      - .offset:         88
        .size:           4
        .value_kind:     hidden_block_count_z
      - .offset:         92
        .size:           2
        .value_kind:     hidden_group_size_x
      - .offset:         94
        .size:           2
        .value_kind:     hidden_group_size_y
      - .offset:         96
        .size:           2
        .value_kind:     hidden_group_size_z
      - .offset:         98
        .size:           2
        .value_kind:     hidden_remainder_x
      - .offset:         100
        .size:           2
        .value_kind:     hidden_remainder_y
      - .offset:         102
        .size:           2
        .value_kind:     hidden_remainder_z
      - .offset:         120
        .size:           8
        .value_kind:     hidden_global_offset_x
      - .offset:         128
        .size:           8
        .value_kind:     hidden_global_offset_y
      - .offset:         136
        .size:           8
        .value_kind:     hidden_global_offset_z
      - .offset:         144
        .size:           2
        .value_kind:     hidden_grid_dims
    .group_segment_fixed_size: 35344
    .kernarg_segment_align: 8
    .kernarg_segment_size: 336
    .language:       OpenCL C
    .language_version:
      - 2
      - 0
    .max_flat_workgroup_size: 256
    .name:           _ZN7rocprim17ROCPRIM_400000_NS6detail17trampoline_kernelINS0_14default_configENS1_36segmented_radix_sort_config_selectorIilEEZNS1_25segmented_radix_sort_implIS3_Lb0EPKiPiPKlPlN2at6native12_GLOBAL__N_18offset_tEEE10hipError_tPvRmT1_PNSt15iterator_traitsISK_E10value_typeET2_T3_PNSL_ISQ_E10value_typeET4_jRbjT5_SW_jjP12ihipStream_tbEUlT_E2_NS1_11comp_targetILNS1_3genE8ELNS1_11target_archE1030ELNS1_3gpuE2ELNS1_3repE0EEENS1_30default_config_static_selectorELNS0_4arch9wavefront6targetE0EEEvSK_
    .private_segment_fixed_size: 196
    .sgpr_count:     70
    .sgpr_spill_count: 0
    .symbol:         _ZN7rocprim17ROCPRIM_400000_NS6detail17trampoline_kernelINS0_14default_configENS1_36segmented_radix_sort_config_selectorIilEEZNS1_25segmented_radix_sort_implIS3_Lb0EPKiPiPKlPlN2at6native12_GLOBAL__N_18offset_tEEE10hipError_tPvRmT1_PNSt15iterator_traitsISK_E10value_typeET2_T3_PNSL_ISQ_E10value_typeET4_jRbjT5_SW_jjP12ihipStream_tbEUlT_E2_NS1_11comp_targetILNS1_3genE8ELNS1_11target_archE1030ELNS1_3gpuE2ELNS1_3repE0EEENS1_30default_config_static_selectorELNS0_4arch9wavefront6targetE0EEEvSK_.kd
    .uniform_work_group_size: 1
    .uses_dynamic_stack: false
    .vgpr_count:     248
    .vgpr_spill_count: 0
    .wavefront_size: 32
    .workgroup_processor_mode: 1
  - .args:
      - .address_space:  global
        .offset:         0
        .size:           8
        .value_kind:     global_buffer
      - .address_space:  global
        .offset:         8
        .size:           8
        .value_kind:     global_buffer
      - .address_space:  global
        .offset:         16
        .size:           8
        .value_kind:     global_buffer
      - .address_space:  global
        .offset:         24
        .size:           8
        .value_kind:     global_buffer
      - .offset:         32
        .size:           4
        .value_kind:     by_value
      - .offset:         36
        .size:           4
        .value_kind:     by_value
      - .offset:         40
        .size:           4
        .value_kind:     hidden_block_count_x
      - .offset:         44
        .size:           4
        .value_kind:     hidden_block_count_y
      - .offset:         48
        .size:           4
        .value_kind:     hidden_block_count_z
      - .offset:         52
        .size:           2
        .value_kind:     hidden_group_size_x
      - .offset:         54
        .size:           2
        .value_kind:     hidden_group_size_y
      - .offset:         56
        .size:           2
        .value_kind:     hidden_group_size_z
      - .offset:         58
        .size:           2
        .value_kind:     hidden_remainder_x
      - .offset:         60
        .size:           2
        .value_kind:     hidden_remainder_y
      - .offset:         62
        .size:           2
        .value_kind:     hidden_remainder_z
      - .offset:         80
        .size:           8
        .value_kind:     hidden_global_offset_x
      - .offset:         88
        .size:           8
        .value_kind:     hidden_global_offset_y
      - .offset:         96
        .size:           8
        .value_kind:     hidden_global_offset_z
      - .offset:         104
        .size:           2
        .value_kind:     hidden_grid_dims
    .group_segment_fixed_size: 0
    .kernarg_segment_align: 8
    .kernarg_segment_size: 296
    .language:       OpenCL C
    .language_version:
      - 2
      - 0
    .max_flat_workgroup_size: 1024
    .name:           _ZN2at6native12_GLOBAL__N_123sort_postprocess_kernelIlEEvPKT_PS3_PlPK15HIP_vector_typeIiLj2EEii
    .private_segment_fixed_size: 0
    .sgpr_count:     18
    .sgpr_spill_count: 0
    .symbol:         _ZN2at6native12_GLOBAL__N_123sort_postprocess_kernelIlEEvPKT_PS3_PlPK15HIP_vector_typeIiLj2EEii.kd
    .uniform_work_group_size: 1
    .uses_dynamic_stack: false
    .vgpr_count:     15
    .vgpr_spill_count: 0
    .wavefront_size: 32
    .workgroup_processor_mode: 1
  - .args:
      - .offset:         0
        .size:           176
        .value_kind:     by_value
    .group_segment_fixed_size: 0
    .kernarg_segment_align: 8
    .kernarg_segment_size: 176
    .language:       OpenCL C
    .language_version:
      - 2
      - 0
    .max_flat_workgroup_size: 256
    .name:           _ZN7rocprim17ROCPRIM_400000_NS6detail17trampoline_kernelINS0_13select_configILj256ELj13ELNS0_17block_load_methodE3ELS4_3ELS4_3ELNS0_20block_scan_algorithmE0ELj4294967295EEENS1_25partition_config_selectorILNS1_17partition_subalgoE4EjNS0_10empty_typeEbEEZZNS1_14partition_implILS8_4ELb0ES6_15HIP_vector_typeIjLj2EENS0_17counting_iteratorIjlEEPS9_SG_NS0_5tupleIJPjSI_NS0_16reverse_iteratorISI_EEEEENSH_IJSG_SG_SG_EEES9_SI_JZNS1_25segmented_radix_sort_implINS0_14default_configELb1EPKlPlSQ_SR_N2at6native12_GLOBAL__N_18offset_tEEE10hipError_tPvRmT1_PNSt15iterator_traitsISZ_E10value_typeET2_T3_PNS10_IS15_E10value_typeET4_jRbjT5_S1B_jjP12ihipStream_tbEUljE_ZNSN_ISO_Lb1ESQ_SR_SQ_SR_SV_EESW_SX_SY_SZ_S13_S14_S15_S18_S19_jS1A_jS1B_S1B_jjS1D_bEUljE0_EEESW_SX_SY_S15_S19_S1B_T6_T7_T9_mT8_S1D_bDpT10_ENKUlT_T0_E_clISt17integral_constantIbLb0EES1R_EEDaS1M_S1N_EUlS1M_E_NS1_11comp_targetILNS1_3genE0ELNS1_11target_archE4294967295ELNS1_3gpuE0ELNS1_3repE0EEENS1_30default_config_static_selectorELNS0_4arch9wavefront6targetE0EEEvSZ_
    .private_segment_fixed_size: 0
    .sgpr_count:     0
    .sgpr_spill_count: 0
    .symbol:         _ZN7rocprim17ROCPRIM_400000_NS6detail17trampoline_kernelINS0_13select_configILj256ELj13ELNS0_17block_load_methodE3ELS4_3ELS4_3ELNS0_20block_scan_algorithmE0ELj4294967295EEENS1_25partition_config_selectorILNS1_17partition_subalgoE4EjNS0_10empty_typeEbEEZZNS1_14partition_implILS8_4ELb0ES6_15HIP_vector_typeIjLj2EENS0_17counting_iteratorIjlEEPS9_SG_NS0_5tupleIJPjSI_NS0_16reverse_iteratorISI_EEEEENSH_IJSG_SG_SG_EEES9_SI_JZNS1_25segmented_radix_sort_implINS0_14default_configELb1EPKlPlSQ_SR_N2at6native12_GLOBAL__N_18offset_tEEE10hipError_tPvRmT1_PNSt15iterator_traitsISZ_E10value_typeET2_T3_PNS10_IS15_E10value_typeET4_jRbjT5_S1B_jjP12ihipStream_tbEUljE_ZNSN_ISO_Lb1ESQ_SR_SQ_SR_SV_EESW_SX_SY_SZ_S13_S14_S15_S18_S19_jS1A_jS1B_S1B_jjS1D_bEUljE0_EEESW_SX_SY_S15_S19_S1B_T6_T7_T9_mT8_S1D_bDpT10_ENKUlT_T0_E_clISt17integral_constantIbLb0EES1R_EEDaS1M_S1N_EUlS1M_E_NS1_11comp_targetILNS1_3genE0ELNS1_11target_archE4294967295ELNS1_3gpuE0ELNS1_3repE0EEENS1_30default_config_static_selectorELNS0_4arch9wavefront6targetE0EEEvSZ_.kd
    .uniform_work_group_size: 1
    .uses_dynamic_stack: false
    .vgpr_count:     0
    .vgpr_spill_count: 0
    .wavefront_size: 32
    .workgroup_processor_mode: 1
  - .args:
      - .offset:         0
        .size:           176
        .value_kind:     by_value
    .group_segment_fixed_size: 0
    .kernarg_segment_align: 8
    .kernarg_segment_size: 176
    .language:       OpenCL C
    .language_version:
      - 2
      - 0
    .max_flat_workgroup_size: 256
    .name:           _ZN7rocprim17ROCPRIM_400000_NS6detail17trampoline_kernelINS0_13select_configILj256ELj13ELNS0_17block_load_methodE3ELS4_3ELS4_3ELNS0_20block_scan_algorithmE0ELj4294967295EEENS1_25partition_config_selectorILNS1_17partition_subalgoE4EjNS0_10empty_typeEbEEZZNS1_14partition_implILS8_4ELb0ES6_15HIP_vector_typeIjLj2EENS0_17counting_iteratorIjlEEPS9_SG_NS0_5tupleIJPjSI_NS0_16reverse_iteratorISI_EEEEENSH_IJSG_SG_SG_EEES9_SI_JZNS1_25segmented_radix_sort_implINS0_14default_configELb1EPKlPlSQ_SR_N2at6native12_GLOBAL__N_18offset_tEEE10hipError_tPvRmT1_PNSt15iterator_traitsISZ_E10value_typeET2_T3_PNS10_IS15_E10value_typeET4_jRbjT5_S1B_jjP12ihipStream_tbEUljE_ZNSN_ISO_Lb1ESQ_SR_SQ_SR_SV_EESW_SX_SY_SZ_S13_S14_S15_S18_S19_jS1A_jS1B_S1B_jjS1D_bEUljE0_EEESW_SX_SY_S15_S19_S1B_T6_T7_T9_mT8_S1D_bDpT10_ENKUlT_T0_E_clISt17integral_constantIbLb0EES1R_EEDaS1M_S1N_EUlS1M_E_NS1_11comp_targetILNS1_3genE5ELNS1_11target_archE942ELNS1_3gpuE9ELNS1_3repE0EEENS1_30default_config_static_selectorELNS0_4arch9wavefront6targetE0EEEvSZ_
    .private_segment_fixed_size: 0
    .sgpr_count:     0
    .sgpr_spill_count: 0
    .symbol:         _ZN7rocprim17ROCPRIM_400000_NS6detail17trampoline_kernelINS0_13select_configILj256ELj13ELNS0_17block_load_methodE3ELS4_3ELS4_3ELNS0_20block_scan_algorithmE0ELj4294967295EEENS1_25partition_config_selectorILNS1_17partition_subalgoE4EjNS0_10empty_typeEbEEZZNS1_14partition_implILS8_4ELb0ES6_15HIP_vector_typeIjLj2EENS0_17counting_iteratorIjlEEPS9_SG_NS0_5tupleIJPjSI_NS0_16reverse_iteratorISI_EEEEENSH_IJSG_SG_SG_EEES9_SI_JZNS1_25segmented_radix_sort_implINS0_14default_configELb1EPKlPlSQ_SR_N2at6native12_GLOBAL__N_18offset_tEEE10hipError_tPvRmT1_PNSt15iterator_traitsISZ_E10value_typeET2_T3_PNS10_IS15_E10value_typeET4_jRbjT5_S1B_jjP12ihipStream_tbEUljE_ZNSN_ISO_Lb1ESQ_SR_SQ_SR_SV_EESW_SX_SY_SZ_S13_S14_S15_S18_S19_jS1A_jS1B_S1B_jjS1D_bEUljE0_EEESW_SX_SY_S15_S19_S1B_T6_T7_T9_mT8_S1D_bDpT10_ENKUlT_T0_E_clISt17integral_constantIbLb0EES1R_EEDaS1M_S1N_EUlS1M_E_NS1_11comp_targetILNS1_3genE5ELNS1_11target_archE942ELNS1_3gpuE9ELNS1_3repE0EEENS1_30default_config_static_selectorELNS0_4arch9wavefront6targetE0EEEvSZ_.kd
    .uniform_work_group_size: 1
    .uses_dynamic_stack: false
    .vgpr_count:     0
    .vgpr_spill_count: 0
    .wavefront_size: 32
    .workgroup_processor_mode: 1
  - .args:
      - .offset:         0
        .size:           176
        .value_kind:     by_value
    .group_segment_fixed_size: 0
    .kernarg_segment_align: 8
    .kernarg_segment_size: 176
    .language:       OpenCL C
    .language_version:
      - 2
      - 0
    .max_flat_workgroup_size: 256
    .name:           _ZN7rocprim17ROCPRIM_400000_NS6detail17trampoline_kernelINS0_13select_configILj256ELj13ELNS0_17block_load_methodE3ELS4_3ELS4_3ELNS0_20block_scan_algorithmE0ELj4294967295EEENS1_25partition_config_selectorILNS1_17partition_subalgoE4EjNS0_10empty_typeEbEEZZNS1_14partition_implILS8_4ELb0ES6_15HIP_vector_typeIjLj2EENS0_17counting_iteratorIjlEEPS9_SG_NS0_5tupleIJPjSI_NS0_16reverse_iteratorISI_EEEEENSH_IJSG_SG_SG_EEES9_SI_JZNS1_25segmented_radix_sort_implINS0_14default_configELb1EPKlPlSQ_SR_N2at6native12_GLOBAL__N_18offset_tEEE10hipError_tPvRmT1_PNSt15iterator_traitsISZ_E10value_typeET2_T3_PNS10_IS15_E10value_typeET4_jRbjT5_S1B_jjP12ihipStream_tbEUljE_ZNSN_ISO_Lb1ESQ_SR_SQ_SR_SV_EESW_SX_SY_SZ_S13_S14_S15_S18_S19_jS1A_jS1B_S1B_jjS1D_bEUljE0_EEESW_SX_SY_S15_S19_S1B_T6_T7_T9_mT8_S1D_bDpT10_ENKUlT_T0_E_clISt17integral_constantIbLb0EES1R_EEDaS1M_S1N_EUlS1M_E_NS1_11comp_targetILNS1_3genE4ELNS1_11target_archE910ELNS1_3gpuE8ELNS1_3repE0EEENS1_30default_config_static_selectorELNS0_4arch9wavefront6targetE0EEEvSZ_
    .private_segment_fixed_size: 0
    .sgpr_count:     0
    .sgpr_spill_count: 0
    .symbol:         _ZN7rocprim17ROCPRIM_400000_NS6detail17trampoline_kernelINS0_13select_configILj256ELj13ELNS0_17block_load_methodE3ELS4_3ELS4_3ELNS0_20block_scan_algorithmE0ELj4294967295EEENS1_25partition_config_selectorILNS1_17partition_subalgoE4EjNS0_10empty_typeEbEEZZNS1_14partition_implILS8_4ELb0ES6_15HIP_vector_typeIjLj2EENS0_17counting_iteratorIjlEEPS9_SG_NS0_5tupleIJPjSI_NS0_16reverse_iteratorISI_EEEEENSH_IJSG_SG_SG_EEES9_SI_JZNS1_25segmented_radix_sort_implINS0_14default_configELb1EPKlPlSQ_SR_N2at6native12_GLOBAL__N_18offset_tEEE10hipError_tPvRmT1_PNSt15iterator_traitsISZ_E10value_typeET2_T3_PNS10_IS15_E10value_typeET4_jRbjT5_S1B_jjP12ihipStream_tbEUljE_ZNSN_ISO_Lb1ESQ_SR_SQ_SR_SV_EESW_SX_SY_SZ_S13_S14_S15_S18_S19_jS1A_jS1B_S1B_jjS1D_bEUljE0_EEESW_SX_SY_S15_S19_S1B_T6_T7_T9_mT8_S1D_bDpT10_ENKUlT_T0_E_clISt17integral_constantIbLb0EES1R_EEDaS1M_S1N_EUlS1M_E_NS1_11comp_targetILNS1_3genE4ELNS1_11target_archE910ELNS1_3gpuE8ELNS1_3repE0EEENS1_30default_config_static_selectorELNS0_4arch9wavefront6targetE0EEEvSZ_.kd
    .uniform_work_group_size: 1
    .uses_dynamic_stack: false
    .vgpr_count:     0
    .vgpr_spill_count: 0
    .wavefront_size: 32
    .workgroup_processor_mode: 1
  - .args:
      - .offset:         0
        .size:           176
        .value_kind:     by_value
    .group_segment_fixed_size: 0
    .kernarg_segment_align: 8
    .kernarg_segment_size: 176
    .language:       OpenCL C
    .language_version:
      - 2
      - 0
    .max_flat_workgroup_size: 256
    .name:           _ZN7rocprim17ROCPRIM_400000_NS6detail17trampoline_kernelINS0_13select_configILj256ELj13ELNS0_17block_load_methodE3ELS4_3ELS4_3ELNS0_20block_scan_algorithmE0ELj4294967295EEENS1_25partition_config_selectorILNS1_17partition_subalgoE4EjNS0_10empty_typeEbEEZZNS1_14partition_implILS8_4ELb0ES6_15HIP_vector_typeIjLj2EENS0_17counting_iteratorIjlEEPS9_SG_NS0_5tupleIJPjSI_NS0_16reverse_iteratorISI_EEEEENSH_IJSG_SG_SG_EEES9_SI_JZNS1_25segmented_radix_sort_implINS0_14default_configELb1EPKlPlSQ_SR_N2at6native12_GLOBAL__N_18offset_tEEE10hipError_tPvRmT1_PNSt15iterator_traitsISZ_E10value_typeET2_T3_PNS10_IS15_E10value_typeET4_jRbjT5_S1B_jjP12ihipStream_tbEUljE_ZNSN_ISO_Lb1ESQ_SR_SQ_SR_SV_EESW_SX_SY_SZ_S13_S14_S15_S18_S19_jS1A_jS1B_S1B_jjS1D_bEUljE0_EEESW_SX_SY_S15_S19_S1B_T6_T7_T9_mT8_S1D_bDpT10_ENKUlT_T0_E_clISt17integral_constantIbLb0EES1R_EEDaS1M_S1N_EUlS1M_E_NS1_11comp_targetILNS1_3genE3ELNS1_11target_archE908ELNS1_3gpuE7ELNS1_3repE0EEENS1_30default_config_static_selectorELNS0_4arch9wavefront6targetE0EEEvSZ_
    .private_segment_fixed_size: 0
    .sgpr_count:     0
    .sgpr_spill_count: 0
    .symbol:         _ZN7rocprim17ROCPRIM_400000_NS6detail17trampoline_kernelINS0_13select_configILj256ELj13ELNS0_17block_load_methodE3ELS4_3ELS4_3ELNS0_20block_scan_algorithmE0ELj4294967295EEENS1_25partition_config_selectorILNS1_17partition_subalgoE4EjNS0_10empty_typeEbEEZZNS1_14partition_implILS8_4ELb0ES6_15HIP_vector_typeIjLj2EENS0_17counting_iteratorIjlEEPS9_SG_NS0_5tupleIJPjSI_NS0_16reverse_iteratorISI_EEEEENSH_IJSG_SG_SG_EEES9_SI_JZNS1_25segmented_radix_sort_implINS0_14default_configELb1EPKlPlSQ_SR_N2at6native12_GLOBAL__N_18offset_tEEE10hipError_tPvRmT1_PNSt15iterator_traitsISZ_E10value_typeET2_T3_PNS10_IS15_E10value_typeET4_jRbjT5_S1B_jjP12ihipStream_tbEUljE_ZNSN_ISO_Lb1ESQ_SR_SQ_SR_SV_EESW_SX_SY_SZ_S13_S14_S15_S18_S19_jS1A_jS1B_S1B_jjS1D_bEUljE0_EEESW_SX_SY_S15_S19_S1B_T6_T7_T9_mT8_S1D_bDpT10_ENKUlT_T0_E_clISt17integral_constantIbLb0EES1R_EEDaS1M_S1N_EUlS1M_E_NS1_11comp_targetILNS1_3genE3ELNS1_11target_archE908ELNS1_3gpuE7ELNS1_3repE0EEENS1_30default_config_static_selectorELNS0_4arch9wavefront6targetE0EEEvSZ_.kd
    .uniform_work_group_size: 1
    .uses_dynamic_stack: false
    .vgpr_count:     0
    .vgpr_spill_count: 0
    .wavefront_size: 32
    .workgroup_processor_mode: 1
  - .args:
      - .offset:         0
        .size:           176
        .value_kind:     by_value
    .group_segment_fixed_size: 0
    .kernarg_segment_align: 8
    .kernarg_segment_size: 176
    .language:       OpenCL C
    .language_version:
      - 2
      - 0
    .max_flat_workgroup_size: 256
    .name:           _ZN7rocprim17ROCPRIM_400000_NS6detail17trampoline_kernelINS0_13select_configILj256ELj13ELNS0_17block_load_methodE3ELS4_3ELS4_3ELNS0_20block_scan_algorithmE0ELj4294967295EEENS1_25partition_config_selectorILNS1_17partition_subalgoE4EjNS0_10empty_typeEbEEZZNS1_14partition_implILS8_4ELb0ES6_15HIP_vector_typeIjLj2EENS0_17counting_iteratorIjlEEPS9_SG_NS0_5tupleIJPjSI_NS0_16reverse_iteratorISI_EEEEENSH_IJSG_SG_SG_EEES9_SI_JZNS1_25segmented_radix_sort_implINS0_14default_configELb1EPKlPlSQ_SR_N2at6native12_GLOBAL__N_18offset_tEEE10hipError_tPvRmT1_PNSt15iterator_traitsISZ_E10value_typeET2_T3_PNS10_IS15_E10value_typeET4_jRbjT5_S1B_jjP12ihipStream_tbEUljE_ZNSN_ISO_Lb1ESQ_SR_SQ_SR_SV_EESW_SX_SY_SZ_S13_S14_S15_S18_S19_jS1A_jS1B_S1B_jjS1D_bEUljE0_EEESW_SX_SY_S15_S19_S1B_T6_T7_T9_mT8_S1D_bDpT10_ENKUlT_T0_E_clISt17integral_constantIbLb0EES1R_EEDaS1M_S1N_EUlS1M_E_NS1_11comp_targetILNS1_3genE2ELNS1_11target_archE906ELNS1_3gpuE6ELNS1_3repE0EEENS1_30default_config_static_selectorELNS0_4arch9wavefront6targetE0EEEvSZ_
    .private_segment_fixed_size: 0
    .sgpr_count:     0
    .sgpr_spill_count: 0
    .symbol:         _ZN7rocprim17ROCPRIM_400000_NS6detail17trampoline_kernelINS0_13select_configILj256ELj13ELNS0_17block_load_methodE3ELS4_3ELS4_3ELNS0_20block_scan_algorithmE0ELj4294967295EEENS1_25partition_config_selectorILNS1_17partition_subalgoE4EjNS0_10empty_typeEbEEZZNS1_14partition_implILS8_4ELb0ES6_15HIP_vector_typeIjLj2EENS0_17counting_iteratorIjlEEPS9_SG_NS0_5tupleIJPjSI_NS0_16reverse_iteratorISI_EEEEENSH_IJSG_SG_SG_EEES9_SI_JZNS1_25segmented_radix_sort_implINS0_14default_configELb1EPKlPlSQ_SR_N2at6native12_GLOBAL__N_18offset_tEEE10hipError_tPvRmT1_PNSt15iterator_traitsISZ_E10value_typeET2_T3_PNS10_IS15_E10value_typeET4_jRbjT5_S1B_jjP12ihipStream_tbEUljE_ZNSN_ISO_Lb1ESQ_SR_SQ_SR_SV_EESW_SX_SY_SZ_S13_S14_S15_S18_S19_jS1A_jS1B_S1B_jjS1D_bEUljE0_EEESW_SX_SY_S15_S19_S1B_T6_T7_T9_mT8_S1D_bDpT10_ENKUlT_T0_E_clISt17integral_constantIbLb0EES1R_EEDaS1M_S1N_EUlS1M_E_NS1_11comp_targetILNS1_3genE2ELNS1_11target_archE906ELNS1_3gpuE6ELNS1_3repE0EEENS1_30default_config_static_selectorELNS0_4arch9wavefront6targetE0EEEvSZ_.kd
    .uniform_work_group_size: 1
    .uses_dynamic_stack: false
    .vgpr_count:     0
    .vgpr_spill_count: 0
    .wavefront_size: 32
    .workgroup_processor_mode: 1
  - .args:
      - .offset:         0
        .size:           176
        .value_kind:     by_value
    .group_segment_fixed_size: 0
    .kernarg_segment_align: 8
    .kernarg_segment_size: 176
    .language:       OpenCL C
    .language_version:
      - 2
      - 0
    .max_flat_workgroup_size: 256
    .name:           _ZN7rocprim17ROCPRIM_400000_NS6detail17trampoline_kernelINS0_13select_configILj256ELj13ELNS0_17block_load_methodE3ELS4_3ELS4_3ELNS0_20block_scan_algorithmE0ELj4294967295EEENS1_25partition_config_selectorILNS1_17partition_subalgoE4EjNS0_10empty_typeEbEEZZNS1_14partition_implILS8_4ELb0ES6_15HIP_vector_typeIjLj2EENS0_17counting_iteratorIjlEEPS9_SG_NS0_5tupleIJPjSI_NS0_16reverse_iteratorISI_EEEEENSH_IJSG_SG_SG_EEES9_SI_JZNS1_25segmented_radix_sort_implINS0_14default_configELb1EPKlPlSQ_SR_N2at6native12_GLOBAL__N_18offset_tEEE10hipError_tPvRmT1_PNSt15iterator_traitsISZ_E10value_typeET2_T3_PNS10_IS15_E10value_typeET4_jRbjT5_S1B_jjP12ihipStream_tbEUljE_ZNSN_ISO_Lb1ESQ_SR_SQ_SR_SV_EESW_SX_SY_SZ_S13_S14_S15_S18_S19_jS1A_jS1B_S1B_jjS1D_bEUljE0_EEESW_SX_SY_S15_S19_S1B_T6_T7_T9_mT8_S1D_bDpT10_ENKUlT_T0_E_clISt17integral_constantIbLb0EES1R_EEDaS1M_S1N_EUlS1M_E_NS1_11comp_targetILNS1_3genE10ELNS1_11target_archE1200ELNS1_3gpuE4ELNS1_3repE0EEENS1_30default_config_static_selectorELNS0_4arch9wavefront6targetE0EEEvSZ_
    .private_segment_fixed_size: 0
    .sgpr_count:     0
    .sgpr_spill_count: 0
    .symbol:         _ZN7rocprim17ROCPRIM_400000_NS6detail17trampoline_kernelINS0_13select_configILj256ELj13ELNS0_17block_load_methodE3ELS4_3ELS4_3ELNS0_20block_scan_algorithmE0ELj4294967295EEENS1_25partition_config_selectorILNS1_17partition_subalgoE4EjNS0_10empty_typeEbEEZZNS1_14partition_implILS8_4ELb0ES6_15HIP_vector_typeIjLj2EENS0_17counting_iteratorIjlEEPS9_SG_NS0_5tupleIJPjSI_NS0_16reverse_iteratorISI_EEEEENSH_IJSG_SG_SG_EEES9_SI_JZNS1_25segmented_radix_sort_implINS0_14default_configELb1EPKlPlSQ_SR_N2at6native12_GLOBAL__N_18offset_tEEE10hipError_tPvRmT1_PNSt15iterator_traitsISZ_E10value_typeET2_T3_PNS10_IS15_E10value_typeET4_jRbjT5_S1B_jjP12ihipStream_tbEUljE_ZNSN_ISO_Lb1ESQ_SR_SQ_SR_SV_EESW_SX_SY_SZ_S13_S14_S15_S18_S19_jS1A_jS1B_S1B_jjS1D_bEUljE0_EEESW_SX_SY_S15_S19_S1B_T6_T7_T9_mT8_S1D_bDpT10_ENKUlT_T0_E_clISt17integral_constantIbLb0EES1R_EEDaS1M_S1N_EUlS1M_E_NS1_11comp_targetILNS1_3genE10ELNS1_11target_archE1200ELNS1_3gpuE4ELNS1_3repE0EEENS1_30default_config_static_selectorELNS0_4arch9wavefront6targetE0EEEvSZ_.kd
    .uniform_work_group_size: 1
    .uses_dynamic_stack: false
    .vgpr_count:     0
    .vgpr_spill_count: 0
    .wavefront_size: 32
    .workgroup_processor_mode: 1
  - .args:
      - .offset:         0
        .size:           176
        .value_kind:     by_value
    .group_segment_fixed_size: 0
    .kernarg_segment_align: 8
    .kernarg_segment_size: 176
    .language:       OpenCL C
    .language_version:
      - 2
      - 0
    .max_flat_workgroup_size: 256
    .name:           _ZN7rocprim17ROCPRIM_400000_NS6detail17trampoline_kernelINS0_13select_configILj256ELj13ELNS0_17block_load_methodE3ELS4_3ELS4_3ELNS0_20block_scan_algorithmE0ELj4294967295EEENS1_25partition_config_selectorILNS1_17partition_subalgoE4EjNS0_10empty_typeEbEEZZNS1_14partition_implILS8_4ELb0ES6_15HIP_vector_typeIjLj2EENS0_17counting_iteratorIjlEEPS9_SG_NS0_5tupleIJPjSI_NS0_16reverse_iteratorISI_EEEEENSH_IJSG_SG_SG_EEES9_SI_JZNS1_25segmented_radix_sort_implINS0_14default_configELb1EPKlPlSQ_SR_N2at6native12_GLOBAL__N_18offset_tEEE10hipError_tPvRmT1_PNSt15iterator_traitsISZ_E10value_typeET2_T3_PNS10_IS15_E10value_typeET4_jRbjT5_S1B_jjP12ihipStream_tbEUljE_ZNSN_ISO_Lb1ESQ_SR_SQ_SR_SV_EESW_SX_SY_SZ_S13_S14_S15_S18_S19_jS1A_jS1B_S1B_jjS1D_bEUljE0_EEESW_SX_SY_S15_S19_S1B_T6_T7_T9_mT8_S1D_bDpT10_ENKUlT_T0_E_clISt17integral_constantIbLb0EES1R_EEDaS1M_S1N_EUlS1M_E_NS1_11comp_targetILNS1_3genE9ELNS1_11target_archE1100ELNS1_3gpuE3ELNS1_3repE0EEENS1_30default_config_static_selectorELNS0_4arch9wavefront6targetE0EEEvSZ_
    .private_segment_fixed_size: 0
    .sgpr_count:     0
    .sgpr_spill_count: 0
    .symbol:         _ZN7rocprim17ROCPRIM_400000_NS6detail17trampoline_kernelINS0_13select_configILj256ELj13ELNS0_17block_load_methodE3ELS4_3ELS4_3ELNS0_20block_scan_algorithmE0ELj4294967295EEENS1_25partition_config_selectorILNS1_17partition_subalgoE4EjNS0_10empty_typeEbEEZZNS1_14partition_implILS8_4ELb0ES6_15HIP_vector_typeIjLj2EENS0_17counting_iteratorIjlEEPS9_SG_NS0_5tupleIJPjSI_NS0_16reverse_iteratorISI_EEEEENSH_IJSG_SG_SG_EEES9_SI_JZNS1_25segmented_radix_sort_implINS0_14default_configELb1EPKlPlSQ_SR_N2at6native12_GLOBAL__N_18offset_tEEE10hipError_tPvRmT1_PNSt15iterator_traitsISZ_E10value_typeET2_T3_PNS10_IS15_E10value_typeET4_jRbjT5_S1B_jjP12ihipStream_tbEUljE_ZNSN_ISO_Lb1ESQ_SR_SQ_SR_SV_EESW_SX_SY_SZ_S13_S14_S15_S18_S19_jS1A_jS1B_S1B_jjS1D_bEUljE0_EEESW_SX_SY_S15_S19_S1B_T6_T7_T9_mT8_S1D_bDpT10_ENKUlT_T0_E_clISt17integral_constantIbLb0EES1R_EEDaS1M_S1N_EUlS1M_E_NS1_11comp_targetILNS1_3genE9ELNS1_11target_archE1100ELNS1_3gpuE3ELNS1_3repE0EEENS1_30default_config_static_selectorELNS0_4arch9wavefront6targetE0EEEvSZ_.kd
    .uniform_work_group_size: 1
    .uses_dynamic_stack: false
    .vgpr_count:     0
    .vgpr_spill_count: 0
    .wavefront_size: 32
    .workgroup_processor_mode: 1
  - .args:
      - .offset:         0
        .size:           176
        .value_kind:     by_value
    .group_segment_fixed_size: 13328
    .kernarg_segment_align: 8
    .kernarg_segment_size: 176
    .language:       OpenCL C
    .language_version:
      - 2
      - 0
    .max_flat_workgroup_size: 256
    .name:           _ZN7rocprim17ROCPRIM_400000_NS6detail17trampoline_kernelINS0_13select_configILj256ELj13ELNS0_17block_load_methodE3ELS4_3ELS4_3ELNS0_20block_scan_algorithmE0ELj4294967295EEENS1_25partition_config_selectorILNS1_17partition_subalgoE4EjNS0_10empty_typeEbEEZZNS1_14partition_implILS8_4ELb0ES6_15HIP_vector_typeIjLj2EENS0_17counting_iteratorIjlEEPS9_SG_NS0_5tupleIJPjSI_NS0_16reverse_iteratorISI_EEEEENSH_IJSG_SG_SG_EEES9_SI_JZNS1_25segmented_radix_sort_implINS0_14default_configELb1EPKlPlSQ_SR_N2at6native12_GLOBAL__N_18offset_tEEE10hipError_tPvRmT1_PNSt15iterator_traitsISZ_E10value_typeET2_T3_PNS10_IS15_E10value_typeET4_jRbjT5_S1B_jjP12ihipStream_tbEUljE_ZNSN_ISO_Lb1ESQ_SR_SQ_SR_SV_EESW_SX_SY_SZ_S13_S14_S15_S18_S19_jS1A_jS1B_S1B_jjS1D_bEUljE0_EEESW_SX_SY_S15_S19_S1B_T6_T7_T9_mT8_S1D_bDpT10_ENKUlT_T0_E_clISt17integral_constantIbLb0EES1R_EEDaS1M_S1N_EUlS1M_E_NS1_11comp_targetILNS1_3genE8ELNS1_11target_archE1030ELNS1_3gpuE2ELNS1_3repE0EEENS1_30default_config_static_selectorELNS0_4arch9wavefront6targetE0EEEvSZ_
    .private_segment_fixed_size: 0
    .sgpr_count:     61
    .sgpr_spill_count: 0
    .symbol:         _ZN7rocprim17ROCPRIM_400000_NS6detail17trampoline_kernelINS0_13select_configILj256ELj13ELNS0_17block_load_methodE3ELS4_3ELS4_3ELNS0_20block_scan_algorithmE0ELj4294967295EEENS1_25partition_config_selectorILNS1_17partition_subalgoE4EjNS0_10empty_typeEbEEZZNS1_14partition_implILS8_4ELb0ES6_15HIP_vector_typeIjLj2EENS0_17counting_iteratorIjlEEPS9_SG_NS0_5tupleIJPjSI_NS0_16reverse_iteratorISI_EEEEENSH_IJSG_SG_SG_EEES9_SI_JZNS1_25segmented_radix_sort_implINS0_14default_configELb1EPKlPlSQ_SR_N2at6native12_GLOBAL__N_18offset_tEEE10hipError_tPvRmT1_PNSt15iterator_traitsISZ_E10value_typeET2_T3_PNS10_IS15_E10value_typeET4_jRbjT5_S1B_jjP12ihipStream_tbEUljE_ZNSN_ISO_Lb1ESQ_SR_SQ_SR_SV_EESW_SX_SY_SZ_S13_S14_S15_S18_S19_jS1A_jS1B_S1B_jjS1D_bEUljE0_EEESW_SX_SY_S15_S19_S1B_T6_T7_T9_mT8_S1D_bDpT10_ENKUlT_T0_E_clISt17integral_constantIbLb0EES1R_EEDaS1M_S1N_EUlS1M_E_NS1_11comp_targetILNS1_3genE8ELNS1_11target_archE1030ELNS1_3gpuE2ELNS1_3repE0EEENS1_30default_config_static_selectorELNS0_4arch9wavefront6targetE0EEEvSZ_.kd
    .uniform_work_group_size: 1
    .uses_dynamic_stack: false
    .vgpr_count:     82
    .vgpr_spill_count: 0
    .wavefront_size: 32
    .workgroup_processor_mode: 1
  - .args:
      - .offset:         0
        .size:           184
        .value_kind:     by_value
    .group_segment_fixed_size: 0
    .kernarg_segment_align: 8
    .kernarg_segment_size: 184
    .language:       OpenCL C
    .language_version:
      - 2
      - 0
    .max_flat_workgroup_size: 256
    .name:           _ZN7rocprim17ROCPRIM_400000_NS6detail17trampoline_kernelINS0_13select_configILj256ELj13ELNS0_17block_load_methodE3ELS4_3ELS4_3ELNS0_20block_scan_algorithmE0ELj4294967295EEENS1_25partition_config_selectorILNS1_17partition_subalgoE4EjNS0_10empty_typeEbEEZZNS1_14partition_implILS8_4ELb0ES6_15HIP_vector_typeIjLj2EENS0_17counting_iteratorIjlEEPS9_SG_NS0_5tupleIJPjSI_NS0_16reverse_iteratorISI_EEEEENSH_IJSG_SG_SG_EEES9_SI_JZNS1_25segmented_radix_sort_implINS0_14default_configELb1EPKlPlSQ_SR_N2at6native12_GLOBAL__N_18offset_tEEE10hipError_tPvRmT1_PNSt15iterator_traitsISZ_E10value_typeET2_T3_PNS10_IS15_E10value_typeET4_jRbjT5_S1B_jjP12ihipStream_tbEUljE_ZNSN_ISO_Lb1ESQ_SR_SQ_SR_SV_EESW_SX_SY_SZ_S13_S14_S15_S18_S19_jS1A_jS1B_S1B_jjS1D_bEUljE0_EEESW_SX_SY_S15_S19_S1B_T6_T7_T9_mT8_S1D_bDpT10_ENKUlT_T0_E_clISt17integral_constantIbLb1EES1R_EEDaS1M_S1N_EUlS1M_E_NS1_11comp_targetILNS1_3genE0ELNS1_11target_archE4294967295ELNS1_3gpuE0ELNS1_3repE0EEENS1_30default_config_static_selectorELNS0_4arch9wavefront6targetE0EEEvSZ_
    .private_segment_fixed_size: 0
    .sgpr_count:     0
    .sgpr_spill_count: 0
    .symbol:         _ZN7rocprim17ROCPRIM_400000_NS6detail17trampoline_kernelINS0_13select_configILj256ELj13ELNS0_17block_load_methodE3ELS4_3ELS4_3ELNS0_20block_scan_algorithmE0ELj4294967295EEENS1_25partition_config_selectorILNS1_17partition_subalgoE4EjNS0_10empty_typeEbEEZZNS1_14partition_implILS8_4ELb0ES6_15HIP_vector_typeIjLj2EENS0_17counting_iteratorIjlEEPS9_SG_NS0_5tupleIJPjSI_NS0_16reverse_iteratorISI_EEEEENSH_IJSG_SG_SG_EEES9_SI_JZNS1_25segmented_radix_sort_implINS0_14default_configELb1EPKlPlSQ_SR_N2at6native12_GLOBAL__N_18offset_tEEE10hipError_tPvRmT1_PNSt15iterator_traitsISZ_E10value_typeET2_T3_PNS10_IS15_E10value_typeET4_jRbjT5_S1B_jjP12ihipStream_tbEUljE_ZNSN_ISO_Lb1ESQ_SR_SQ_SR_SV_EESW_SX_SY_SZ_S13_S14_S15_S18_S19_jS1A_jS1B_S1B_jjS1D_bEUljE0_EEESW_SX_SY_S15_S19_S1B_T6_T7_T9_mT8_S1D_bDpT10_ENKUlT_T0_E_clISt17integral_constantIbLb1EES1R_EEDaS1M_S1N_EUlS1M_E_NS1_11comp_targetILNS1_3genE0ELNS1_11target_archE4294967295ELNS1_3gpuE0ELNS1_3repE0EEENS1_30default_config_static_selectorELNS0_4arch9wavefront6targetE0EEEvSZ_.kd
    .uniform_work_group_size: 1
    .uses_dynamic_stack: false
    .vgpr_count:     0
    .vgpr_spill_count: 0
    .wavefront_size: 32
    .workgroup_processor_mode: 1
  - .args:
      - .offset:         0
        .size:           184
        .value_kind:     by_value
    .group_segment_fixed_size: 0
    .kernarg_segment_align: 8
    .kernarg_segment_size: 184
    .language:       OpenCL C
    .language_version:
      - 2
      - 0
    .max_flat_workgroup_size: 256
    .name:           _ZN7rocprim17ROCPRIM_400000_NS6detail17trampoline_kernelINS0_13select_configILj256ELj13ELNS0_17block_load_methodE3ELS4_3ELS4_3ELNS0_20block_scan_algorithmE0ELj4294967295EEENS1_25partition_config_selectorILNS1_17partition_subalgoE4EjNS0_10empty_typeEbEEZZNS1_14partition_implILS8_4ELb0ES6_15HIP_vector_typeIjLj2EENS0_17counting_iteratorIjlEEPS9_SG_NS0_5tupleIJPjSI_NS0_16reverse_iteratorISI_EEEEENSH_IJSG_SG_SG_EEES9_SI_JZNS1_25segmented_radix_sort_implINS0_14default_configELb1EPKlPlSQ_SR_N2at6native12_GLOBAL__N_18offset_tEEE10hipError_tPvRmT1_PNSt15iterator_traitsISZ_E10value_typeET2_T3_PNS10_IS15_E10value_typeET4_jRbjT5_S1B_jjP12ihipStream_tbEUljE_ZNSN_ISO_Lb1ESQ_SR_SQ_SR_SV_EESW_SX_SY_SZ_S13_S14_S15_S18_S19_jS1A_jS1B_S1B_jjS1D_bEUljE0_EEESW_SX_SY_S15_S19_S1B_T6_T7_T9_mT8_S1D_bDpT10_ENKUlT_T0_E_clISt17integral_constantIbLb1EES1R_EEDaS1M_S1N_EUlS1M_E_NS1_11comp_targetILNS1_3genE5ELNS1_11target_archE942ELNS1_3gpuE9ELNS1_3repE0EEENS1_30default_config_static_selectorELNS0_4arch9wavefront6targetE0EEEvSZ_
    .private_segment_fixed_size: 0
    .sgpr_count:     0
    .sgpr_spill_count: 0
    .symbol:         _ZN7rocprim17ROCPRIM_400000_NS6detail17trampoline_kernelINS0_13select_configILj256ELj13ELNS0_17block_load_methodE3ELS4_3ELS4_3ELNS0_20block_scan_algorithmE0ELj4294967295EEENS1_25partition_config_selectorILNS1_17partition_subalgoE4EjNS0_10empty_typeEbEEZZNS1_14partition_implILS8_4ELb0ES6_15HIP_vector_typeIjLj2EENS0_17counting_iteratorIjlEEPS9_SG_NS0_5tupleIJPjSI_NS0_16reverse_iteratorISI_EEEEENSH_IJSG_SG_SG_EEES9_SI_JZNS1_25segmented_radix_sort_implINS0_14default_configELb1EPKlPlSQ_SR_N2at6native12_GLOBAL__N_18offset_tEEE10hipError_tPvRmT1_PNSt15iterator_traitsISZ_E10value_typeET2_T3_PNS10_IS15_E10value_typeET4_jRbjT5_S1B_jjP12ihipStream_tbEUljE_ZNSN_ISO_Lb1ESQ_SR_SQ_SR_SV_EESW_SX_SY_SZ_S13_S14_S15_S18_S19_jS1A_jS1B_S1B_jjS1D_bEUljE0_EEESW_SX_SY_S15_S19_S1B_T6_T7_T9_mT8_S1D_bDpT10_ENKUlT_T0_E_clISt17integral_constantIbLb1EES1R_EEDaS1M_S1N_EUlS1M_E_NS1_11comp_targetILNS1_3genE5ELNS1_11target_archE942ELNS1_3gpuE9ELNS1_3repE0EEENS1_30default_config_static_selectorELNS0_4arch9wavefront6targetE0EEEvSZ_.kd
    .uniform_work_group_size: 1
    .uses_dynamic_stack: false
    .vgpr_count:     0
    .vgpr_spill_count: 0
    .wavefront_size: 32
    .workgroup_processor_mode: 1
  - .args:
      - .offset:         0
        .size:           184
        .value_kind:     by_value
    .group_segment_fixed_size: 0
    .kernarg_segment_align: 8
    .kernarg_segment_size: 184
    .language:       OpenCL C
    .language_version:
      - 2
      - 0
    .max_flat_workgroup_size: 256
    .name:           _ZN7rocprim17ROCPRIM_400000_NS6detail17trampoline_kernelINS0_13select_configILj256ELj13ELNS0_17block_load_methodE3ELS4_3ELS4_3ELNS0_20block_scan_algorithmE0ELj4294967295EEENS1_25partition_config_selectorILNS1_17partition_subalgoE4EjNS0_10empty_typeEbEEZZNS1_14partition_implILS8_4ELb0ES6_15HIP_vector_typeIjLj2EENS0_17counting_iteratorIjlEEPS9_SG_NS0_5tupleIJPjSI_NS0_16reverse_iteratorISI_EEEEENSH_IJSG_SG_SG_EEES9_SI_JZNS1_25segmented_radix_sort_implINS0_14default_configELb1EPKlPlSQ_SR_N2at6native12_GLOBAL__N_18offset_tEEE10hipError_tPvRmT1_PNSt15iterator_traitsISZ_E10value_typeET2_T3_PNS10_IS15_E10value_typeET4_jRbjT5_S1B_jjP12ihipStream_tbEUljE_ZNSN_ISO_Lb1ESQ_SR_SQ_SR_SV_EESW_SX_SY_SZ_S13_S14_S15_S18_S19_jS1A_jS1B_S1B_jjS1D_bEUljE0_EEESW_SX_SY_S15_S19_S1B_T6_T7_T9_mT8_S1D_bDpT10_ENKUlT_T0_E_clISt17integral_constantIbLb1EES1R_EEDaS1M_S1N_EUlS1M_E_NS1_11comp_targetILNS1_3genE4ELNS1_11target_archE910ELNS1_3gpuE8ELNS1_3repE0EEENS1_30default_config_static_selectorELNS0_4arch9wavefront6targetE0EEEvSZ_
    .private_segment_fixed_size: 0
    .sgpr_count:     0
    .sgpr_spill_count: 0
    .symbol:         _ZN7rocprim17ROCPRIM_400000_NS6detail17trampoline_kernelINS0_13select_configILj256ELj13ELNS0_17block_load_methodE3ELS4_3ELS4_3ELNS0_20block_scan_algorithmE0ELj4294967295EEENS1_25partition_config_selectorILNS1_17partition_subalgoE4EjNS0_10empty_typeEbEEZZNS1_14partition_implILS8_4ELb0ES6_15HIP_vector_typeIjLj2EENS0_17counting_iteratorIjlEEPS9_SG_NS0_5tupleIJPjSI_NS0_16reverse_iteratorISI_EEEEENSH_IJSG_SG_SG_EEES9_SI_JZNS1_25segmented_radix_sort_implINS0_14default_configELb1EPKlPlSQ_SR_N2at6native12_GLOBAL__N_18offset_tEEE10hipError_tPvRmT1_PNSt15iterator_traitsISZ_E10value_typeET2_T3_PNS10_IS15_E10value_typeET4_jRbjT5_S1B_jjP12ihipStream_tbEUljE_ZNSN_ISO_Lb1ESQ_SR_SQ_SR_SV_EESW_SX_SY_SZ_S13_S14_S15_S18_S19_jS1A_jS1B_S1B_jjS1D_bEUljE0_EEESW_SX_SY_S15_S19_S1B_T6_T7_T9_mT8_S1D_bDpT10_ENKUlT_T0_E_clISt17integral_constantIbLb1EES1R_EEDaS1M_S1N_EUlS1M_E_NS1_11comp_targetILNS1_3genE4ELNS1_11target_archE910ELNS1_3gpuE8ELNS1_3repE0EEENS1_30default_config_static_selectorELNS0_4arch9wavefront6targetE0EEEvSZ_.kd
    .uniform_work_group_size: 1
    .uses_dynamic_stack: false
    .vgpr_count:     0
    .vgpr_spill_count: 0
    .wavefront_size: 32
    .workgroup_processor_mode: 1
  - .args:
      - .offset:         0
        .size:           184
        .value_kind:     by_value
    .group_segment_fixed_size: 0
    .kernarg_segment_align: 8
    .kernarg_segment_size: 184
    .language:       OpenCL C
    .language_version:
      - 2
      - 0
    .max_flat_workgroup_size: 256
    .name:           _ZN7rocprim17ROCPRIM_400000_NS6detail17trampoline_kernelINS0_13select_configILj256ELj13ELNS0_17block_load_methodE3ELS4_3ELS4_3ELNS0_20block_scan_algorithmE0ELj4294967295EEENS1_25partition_config_selectorILNS1_17partition_subalgoE4EjNS0_10empty_typeEbEEZZNS1_14partition_implILS8_4ELb0ES6_15HIP_vector_typeIjLj2EENS0_17counting_iteratorIjlEEPS9_SG_NS0_5tupleIJPjSI_NS0_16reverse_iteratorISI_EEEEENSH_IJSG_SG_SG_EEES9_SI_JZNS1_25segmented_radix_sort_implINS0_14default_configELb1EPKlPlSQ_SR_N2at6native12_GLOBAL__N_18offset_tEEE10hipError_tPvRmT1_PNSt15iterator_traitsISZ_E10value_typeET2_T3_PNS10_IS15_E10value_typeET4_jRbjT5_S1B_jjP12ihipStream_tbEUljE_ZNSN_ISO_Lb1ESQ_SR_SQ_SR_SV_EESW_SX_SY_SZ_S13_S14_S15_S18_S19_jS1A_jS1B_S1B_jjS1D_bEUljE0_EEESW_SX_SY_S15_S19_S1B_T6_T7_T9_mT8_S1D_bDpT10_ENKUlT_T0_E_clISt17integral_constantIbLb1EES1R_EEDaS1M_S1N_EUlS1M_E_NS1_11comp_targetILNS1_3genE3ELNS1_11target_archE908ELNS1_3gpuE7ELNS1_3repE0EEENS1_30default_config_static_selectorELNS0_4arch9wavefront6targetE0EEEvSZ_
    .private_segment_fixed_size: 0
    .sgpr_count:     0
    .sgpr_spill_count: 0
    .symbol:         _ZN7rocprim17ROCPRIM_400000_NS6detail17trampoline_kernelINS0_13select_configILj256ELj13ELNS0_17block_load_methodE3ELS4_3ELS4_3ELNS0_20block_scan_algorithmE0ELj4294967295EEENS1_25partition_config_selectorILNS1_17partition_subalgoE4EjNS0_10empty_typeEbEEZZNS1_14partition_implILS8_4ELb0ES6_15HIP_vector_typeIjLj2EENS0_17counting_iteratorIjlEEPS9_SG_NS0_5tupleIJPjSI_NS0_16reverse_iteratorISI_EEEEENSH_IJSG_SG_SG_EEES9_SI_JZNS1_25segmented_radix_sort_implINS0_14default_configELb1EPKlPlSQ_SR_N2at6native12_GLOBAL__N_18offset_tEEE10hipError_tPvRmT1_PNSt15iterator_traitsISZ_E10value_typeET2_T3_PNS10_IS15_E10value_typeET4_jRbjT5_S1B_jjP12ihipStream_tbEUljE_ZNSN_ISO_Lb1ESQ_SR_SQ_SR_SV_EESW_SX_SY_SZ_S13_S14_S15_S18_S19_jS1A_jS1B_S1B_jjS1D_bEUljE0_EEESW_SX_SY_S15_S19_S1B_T6_T7_T9_mT8_S1D_bDpT10_ENKUlT_T0_E_clISt17integral_constantIbLb1EES1R_EEDaS1M_S1N_EUlS1M_E_NS1_11comp_targetILNS1_3genE3ELNS1_11target_archE908ELNS1_3gpuE7ELNS1_3repE0EEENS1_30default_config_static_selectorELNS0_4arch9wavefront6targetE0EEEvSZ_.kd
    .uniform_work_group_size: 1
    .uses_dynamic_stack: false
    .vgpr_count:     0
    .vgpr_spill_count: 0
    .wavefront_size: 32
    .workgroup_processor_mode: 1
  - .args:
      - .offset:         0
        .size:           184
        .value_kind:     by_value
    .group_segment_fixed_size: 0
    .kernarg_segment_align: 8
    .kernarg_segment_size: 184
    .language:       OpenCL C
    .language_version:
      - 2
      - 0
    .max_flat_workgroup_size: 256
    .name:           _ZN7rocprim17ROCPRIM_400000_NS6detail17trampoline_kernelINS0_13select_configILj256ELj13ELNS0_17block_load_methodE3ELS4_3ELS4_3ELNS0_20block_scan_algorithmE0ELj4294967295EEENS1_25partition_config_selectorILNS1_17partition_subalgoE4EjNS0_10empty_typeEbEEZZNS1_14partition_implILS8_4ELb0ES6_15HIP_vector_typeIjLj2EENS0_17counting_iteratorIjlEEPS9_SG_NS0_5tupleIJPjSI_NS0_16reverse_iteratorISI_EEEEENSH_IJSG_SG_SG_EEES9_SI_JZNS1_25segmented_radix_sort_implINS0_14default_configELb1EPKlPlSQ_SR_N2at6native12_GLOBAL__N_18offset_tEEE10hipError_tPvRmT1_PNSt15iterator_traitsISZ_E10value_typeET2_T3_PNS10_IS15_E10value_typeET4_jRbjT5_S1B_jjP12ihipStream_tbEUljE_ZNSN_ISO_Lb1ESQ_SR_SQ_SR_SV_EESW_SX_SY_SZ_S13_S14_S15_S18_S19_jS1A_jS1B_S1B_jjS1D_bEUljE0_EEESW_SX_SY_S15_S19_S1B_T6_T7_T9_mT8_S1D_bDpT10_ENKUlT_T0_E_clISt17integral_constantIbLb1EES1R_EEDaS1M_S1N_EUlS1M_E_NS1_11comp_targetILNS1_3genE2ELNS1_11target_archE906ELNS1_3gpuE6ELNS1_3repE0EEENS1_30default_config_static_selectorELNS0_4arch9wavefront6targetE0EEEvSZ_
    .private_segment_fixed_size: 0
    .sgpr_count:     0
    .sgpr_spill_count: 0
    .symbol:         _ZN7rocprim17ROCPRIM_400000_NS6detail17trampoline_kernelINS0_13select_configILj256ELj13ELNS0_17block_load_methodE3ELS4_3ELS4_3ELNS0_20block_scan_algorithmE0ELj4294967295EEENS1_25partition_config_selectorILNS1_17partition_subalgoE4EjNS0_10empty_typeEbEEZZNS1_14partition_implILS8_4ELb0ES6_15HIP_vector_typeIjLj2EENS0_17counting_iteratorIjlEEPS9_SG_NS0_5tupleIJPjSI_NS0_16reverse_iteratorISI_EEEEENSH_IJSG_SG_SG_EEES9_SI_JZNS1_25segmented_radix_sort_implINS0_14default_configELb1EPKlPlSQ_SR_N2at6native12_GLOBAL__N_18offset_tEEE10hipError_tPvRmT1_PNSt15iterator_traitsISZ_E10value_typeET2_T3_PNS10_IS15_E10value_typeET4_jRbjT5_S1B_jjP12ihipStream_tbEUljE_ZNSN_ISO_Lb1ESQ_SR_SQ_SR_SV_EESW_SX_SY_SZ_S13_S14_S15_S18_S19_jS1A_jS1B_S1B_jjS1D_bEUljE0_EEESW_SX_SY_S15_S19_S1B_T6_T7_T9_mT8_S1D_bDpT10_ENKUlT_T0_E_clISt17integral_constantIbLb1EES1R_EEDaS1M_S1N_EUlS1M_E_NS1_11comp_targetILNS1_3genE2ELNS1_11target_archE906ELNS1_3gpuE6ELNS1_3repE0EEENS1_30default_config_static_selectorELNS0_4arch9wavefront6targetE0EEEvSZ_.kd
    .uniform_work_group_size: 1
    .uses_dynamic_stack: false
    .vgpr_count:     0
    .vgpr_spill_count: 0
    .wavefront_size: 32
    .workgroup_processor_mode: 1
  - .args:
      - .offset:         0
        .size:           184
        .value_kind:     by_value
    .group_segment_fixed_size: 0
    .kernarg_segment_align: 8
    .kernarg_segment_size: 184
    .language:       OpenCL C
    .language_version:
      - 2
      - 0
    .max_flat_workgroup_size: 256
    .name:           _ZN7rocprim17ROCPRIM_400000_NS6detail17trampoline_kernelINS0_13select_configILj256ELj13ELNS0_17block_load_methodE3ELS4_3ELS4_3ELNS0_20block_scan_algorithmE0ELj4294967295EEENS1_25partition_config_selectorILNS1_17partition_subalgoE4EjNS0_10empty_typeEbEEZZNS1_14partition_implILS8_4ELb0ES6_15HIP_vector_typeIjLj2EENS0_17counting_iteratorIjlEEPS9_SG_NS0_5tupleIJPjSI_NS0_16reverse_iteratorISI_EEEEENSH_IJSG_SG_SG_EEES9_SI_JZNS1_25segmented_radix_sort_implINS0_14default_configELb1EPKlPlSQ_SR_N2at6native12_GLOBAL__N_18offset_tEEE10hipError_tPvRmT1_PNSt15iterator_traitsISZ_E10value_typeET2_T3_PNS10_IS15_E10value_typeET4_jRbjT5_S1B_jjP12ihipStream_tbEUljE_ZNSN_ISO_Lb1ESQ_SR_SQ_SR_SV_EESW_SX_SY_SZ_S13_S14_S15_S18_S19_jS1A_jS1B_S1B_jjS1D_bEUljE0_EEESW_SX_SY_S15_S19_S1B_T6_T7_T9_mT8_S1D_bDpT10_ENKUlT_T0_E_clISt17integral_constantIbLb1EES1R_EEDaS1M_S1N_EUlS1M_E_NS1_11comp_targetILNS1_3genE10ELNS1_11target_archE1200ELNS1_3gpuE4ELNS1_3repE0EEENS1_30default_config_static_selectorELNS0_4arch9wavefront6targetE0EEEvSZ_
    .private_segment_fixed_size: 0
    .sgpr_count:     0
    .sgpr_spill_count: 0
    .symbol:         _ZN7rocprim17ROCPRIM_400000_NS6detail17trampoline_kernelINS0_13select_configILj256ELj13ELNS0_17block_load_methodE3ELS4_3ELS4_3ELNS0_20block_scan_algorithmE0ELj4294967295EEENS1_25partition_config_selectorILNS1_17partition_subalgoE4EjNS0_10empty_typeEbEEZZNS1_14partition_implILS8_4ELb0ES6_15HIP_vector_typeIjLj2EENS0_17counting_iteratorIjlEEPS9_SG_NS0_5tupleIJPjSI_NS0_16reverse_iteratorISI_EEEEENSH_IJSG_SG_SG_EEES9_SI_JZNS1_25segmented_radix_sort_implINS0_14default_configELb1EPKlPlSQ_SR_N2at6native12_GLOBAL__N_18offset_tEEE10hipError_tPvRmT1_PNSt15iterator_traitsISZ_E10value_typeET2_T3_PNS10_IS15_E10value_typeET4_jRbjT5_S1B_jjP12ihipStream_tbEUljE_ZNSN_ISO_Lb1ESQ_SR_SQ_SR_SV_EESW_SX_SY_SZ_S13_S14_S15_S18_S19_jS1A_jS1B_S1B_jjS1D_bEUljE0_EEESW_SX_SY_S15_S19_S1B_T6_T7_T9_mT8_S1D_bDpT10_ENKUlT_T0_E_clISt17integral_constantIbLb1EES1R_EEDaS1M_S1N_EUlS1M_E_NS1_11comp_targetILNS1_3genE10ELNS1_11target_archE1200ELNS1_3gpuE4ELNS1_3repE0EEENS1_30default_config_static_selectorELNS0_4arch9wavefront6targetE0EEEvSZ_.kd
    .uniform_work_group_size: 1
    .uses_dynamic_stack: false
    .vgpr_count:     0
    .vgpr_spill_count: 0
    .wavefront_size: 32
    .workgroup_processor_mode: 1
  - .args:
      - .offset:         0
        .size:           184
        .value_kind:     by_value
    .group_segment_fixed_size: 0
    .kernarg_segment_align: 8
    .kernarg_segment_size: 184
    .language:       OpenCL C
    .language_version:
      - 2
      - 0
    .max_flat_workgroup_size: 256
    .name:           _ZN7rocprim17ROCPRIM_400000_NS6detail17trampoline_kernelINS0_13select_configILj256ELj13ELNS0_17block_load_methodE3ELS4_3ELS4_3ELNS0_20block_scan_algorithmE0ELj4294967295EEENS1_25partition_config_selectorILNS1_17partition_subalgoE4EjNS0_10empty_typeEbEEZZNS1_14partition_implILS8_4ELb0ES6_15HIP_vector_typeIjLj2EENS0_17counting_iteratorIjlEEPS9_SG_NS0_5tupleIJPjSI_NS0_16reverse_iteratorISI_EEEEENSH_IJSG_SG_SG_EEES9_SI_JZNS1_25segmented_radix_sort_implINS0_14default_configELb1EPKlPlSQ_SR_N2at6native12_GLOBAL__N_18offset_tEEE10hipError_tPvRmT1_PNSt15iterator_traitsISZ_E10value_typeET2_T3_PNS10_IS15_E10value_typeET4_jRbjT5_S1B_jjP12ihipStream_tbEUljE_ZNSN_ISO_Lb1ESQ_SR_SQ_SR_SV_EESW_SX_SY_SZ_S13_S14_S15_S18_S19_jS1A_jS1B_S1B_jjS1D_bEUljE0_EEESW_SX_SY_S15_S19_S1B_T6_T7_T9_mT8_S1D_bDpT10_ENKUlT_T0_E_clISt17integral_constantIbLb1EES1R_EEDaS1M_S1N_EUlS1M_E_NS1_11comp_targetILNS1_3genE9ELNS1_11target_archE1100ELNS1_3gpuE3ELNS1_3repE0EEENS1_30default_config_static_selectorELNS0_4arch9wavefront6targetE0EEEvSZ_
    .private_segment_fixed_size: 0
    .sgpr_count:     0
    .sgpr_spill_count: 0
    .symbol:         _ZN7rocprim17ROCPRIM_400000_NS6detail17trampoline_kernelINS0_13select_configILj256ELj13ELNS0_17block_load_methodE3ELS4_3ELS4_3ELNS0_20block_scan_algorithmE0ELj4294967295EEENS1_25partition_config_selectorILNS1_17partition_subalgoE4EjNS0_10empty_typeEbEEZZNS1_14partition_implILS8_4ELb0ES6_15HIP_vector_typeIjLj2EENS0_17counting_iteratorIjlEEPS9_SG_NS0_5tupleIJPjSI_NS0_16reverse_iteratorISI_EEEEENSH_IJSG_SG_SG_EEES9_SI_JZNS1_25segmented_radix_sort_implINS0_14default_configELb1EPKlPlSQ_SR_N2at6native12_GLOBAL__N_18offset_tEEE10hipError_tPvRmT1_PNSt15iterator_traitsISZ_E10value_typeET2_T3_PNS10_IS15_E10value_typeET4_jRbjT5_S1B_jjP12ihipStream_tbEUljE_ZNSN_ISO_Lb1ESQ_SR_SQ_SR_SV_EESW_SX_SY_SZ_S13_S14_S15_S18_S19_jS1A_jS1B_S1B_jjS1D_bEUljE0_EEESW_SX_SY_S15_S19_S1B_T6_T7_T9_mT8_S1D_bDpT10_ENKUlT_T0_E_clISt17integral_constantIbLb1EES1R_EEDaS1M_S1N_EUlS1M_E_NS1_11comp_targetILNS1_3genE9ELNS1_11target_archE1100ELNS1_3gpuE3ELNS1_3repE0EEENS1_30default_config_static_selectorELNS0_4arch9wavefront6targetE0EEEvSZ_.kd
    .uniform_work_group_size: 1
    .uses_dynamic_stack: false
    .vgpr_count:     0
    .vgpr_spill_count: 0
    .wavefront_size: 32
    .workgroup_processor_mode: 1
  - .args:
      - .offset:         0
        .size:           184
        .value_kind:     by_value
    .group_segment_fixed_size: 0
    .kernarg_segment_align: 8
    .kernarg_segment_size: 184
    .language:       OpenCL C
    .language_version:
      - 2
      - 0
    .max_flat_workgroup_size: 256
    .name:           _ZN7rocprim17ROCPRIM_400000_NS6detail17trampoline_kernelINS0_13select_configILj256ELj13ELNS0_17block_load_methodE3ELS4_3ELS4_3ELNS0_20block_scan_algorithmE0ELj4294967295EEENS1_25partition_config_selectorILNS1_17partition_subalgoE4EjNS0_10empty_typeEbEEZZNS1_14partition_implILS8_4ELb0ES6_15HIP_vector_typeIjLj2EENS0_17counting_iteratorIjlEEPS9_SG_NS0_5tupleIJPjSI_NS0_16reverse_iteratorISI_EEEEENSH_IJSG_SG_SG_EEES9_SI_JZNS1_25segmented_radix_sort_implINS0_14default_configELb1EPKlPlSQ_SR_N2at6native12_GLOBAL__N_18offset_tEEE10hipError_tPvRmT1_PNSt15iterator_traitsISZ_E10value_typeET2_T3_PNS10_IS15_E10value_typeET4_jRbjT5_S1B_jjP12ihipStream_tbEUljE_ZNSN_ISO_Lb1ESQ_SR_SQ_SR_SV_EESW_SX_SY_SZ_S13_S14_S15_S18_S19_jS1A_jS1B_S1B_jjS1D_bEUljE0_EEESW_SX_SY_S15_S19_S1B_T6_T7_T9_mT8_S1D_bDpT10_ENKUlT_T0_E_clISt17integral_constantIbLb1EES1R_EEDaS1M_S1N_EUlS1M_E_NS1_11comp_targetILNS1_3genE8ELNS1_11target_archE1030ELNS1_3gpuE2ELNS1_3repE0EEENS1_30default_config_static_selectorELNS0_4arch9wavefront6targetE0EEEvSZ_
    .private_segment_fixed_size: 0
    .sgpr_count:     0
    .sgpr_spill_count: 0
    .symbol:         _ZN7rocprim17ROCPRIM_400000_NS6detail17trampoline_kernelINS0_13select_configILj256ELj13ELNS0_17block_load_methodE3ELS4_3ELS4_3ELNS0_20block_scan_algorithmE0ELj4294967295EEENS1_25partition_config_selectorILNS1_17partition_subalgoE4EjNS0_10empty_typeEbEEZZNS1_14partition_implILS8_4ELb0ES6_15HIP_vector_typeIjLj2EENS0_17counting_iteratorIjlEEPS9_SG_NS0_5tupleIJPjSI_NS0_16reverse_iteratorISI_EEEEENSH_IJSG_SG_SG_EEES9_SI_JZNS1_25segmented_radix_sort_implINS0_14default_configELb1EPKlPlSQ_SR_N2at6native12_GLOBAL__N_18offset_tEEE10hipError_tPvRmT1_PNSt15iterator_traitsISZ_E10value_typeET2_T3_PNS10_IS15_E10value_typeET4_jRbjT5_S1B_jjP12ihipStream_tbEUljE_ZNSN_ISO_Lb1ESQ_SR_SQ_SR_SV_EESW_SX_SY_SZ_S13_S14_S15_S18_S19_jS1A_jS1B_S1B_jjS1D_bEUljE0_EEESW_SX_SY_S15_S19_S1B_T6_T7_T9_mT8_S1D_bDpT10_ENKUlT_T0_E_clISt17integral_constantIbLb1EES1R_EEDaS1M_S1N_EUlS1M_E_NS1_11comp_targetILNS1_3genE8ELNS1_11target_archE1030ELNS1_3gpuE2ELNS1_3repE0EEENS1_30default_config_static_selectorELNS0_4arch9wavefront6targetE0EEEvSZ_.kd
    .uniform_work_group_size: 1
    .uses_dynamic_stack: false
    .vgpr_count:     0
    .vgpr_spill_count: 0
    .wavefront_size: 32
    .workgroup_processor_mode: 1
  - .args:
      - .offset:         0
        .size:           176
        .value_kind:     by_value
    .group_segment_fixed_size: 0
    .kernarg_segment_align: 8
    .kernarg_segment_size: 176
    .language:       OpenCL C
    .language_version:
      - 2
      - 0
    .max_flat_workgroup_size: 256
    .name:           _ZN7rocprim17ROCPRIM_400000_NS6detail17trampoline_kernelINS0_13select_configILj256ELj13ELNS0_17block_load_methodE3ELS4_3ELS4_3ELNS0_20block_scan_algorithmE0ELj4294967295EEENS1_25partition_config_selectorILNS1_17partition_subalgoE4EjNS0_10empty_typeEbEEZZNS1_14partition_implILS8_4ELb0ES6_15HIP_vector_typeIjLj2EENS0_17counting_iteratorIjlEEPS9_SG_NS0_5tupleIJPjSI_NS0_16reverse_iteratorISI_EEEEENSH_IJSG_SG_SG_EEES9_SI_JZNS1_25segmented_radix_sort_implINS0_14default_configELb1EPKlPlSQ_SR_N2at6native12_GLOBAL__N_18offset_tEEE10hipError_tPvRmT1_PNSt15iterator_traitsISZ_E10value_typeET2_T3_PNS10_IS15_E10value_typeET4_jRbjT5_S1B_jjP12ihipStream_tbEUljE_ZNSN_ISO_Lb1ESQ_SR_SQ_SR_SV_EESW_SX_SY_SZ_S13_S14_S15_S18_S19_jS1A_jS1B_S1B_jjS1D_bEUljE0_EEESW_SX_SY_S15_S19_S1B_T6_T7_T9_mT8_S1D_bDpT10_ENKUlT_T0_E_clISt17integral_constantIbLb1EES1Q_IbLb0EEEEDaS1M_S1N_EUlS1M_E_NS1_11comp_targetILNS1_3genE0ELNS1_11target_archE4294967295ELNS1_3gpuE0ELNS1_3repE0EEENS1_30default_config_static_selectorELNS0_4arch9wavefront6targetE0EEEvSZ_
    .private_segment_fixed_size: 0
    .sgpr_count:     0
    .sgpr_spill_count: 0
    .symbol:         _ZN7rocprim17ROCPRIM_400000_NS6detail17trampoline_kernelINS0_13select_configILj256ELj13ELNS0_17block_load_methodE3ELS4_3ELS4_3ELNS0_20block_scan_algorithmE0ELj4294967295EEENS1_25partition_config_selectorILNS1_17partition_subalgoE4EjNS0_10empty_typeEbEEZZNS1_14partition_implILS8_4ELb0ES6_15HIP_vector_typeIjLj2EENS0_17counting_iteratorIjlEEPS9_SG_NS0_5tupleIJPjSI_NS0_16reverse_iteratorISI_EEEEENSH_IJSG_SG_SG_EEES9_SI_JZNS1_25segmented_radix_sort_implINS0_14default_configELb1EPKlPlSQ_SR_N2at6native12_GLOBAL__N_18offset_tEEE10hipError_tPvRmT1_PNSt15iterator_traitsISZ_E10value_typeET2_T3_PNS10_IS15_E10value_typeET4_jRbjT5_S1B_jjP12ihipStream_tbEUljE_ZNSN_ISO_Lb1ESQ_SR_SQ_SR_SV_EESW_SX_SY_SZ_S13_S14_S15_S18_S19_jS1A_jS1B_S1B_jjS1D_bEUljE0_EEESW_SX_SY_S15_S19_S1B_T6_T7_T9_mT8_S1D_bDpT10_ENKUlT_T0_E_clISt17integral_constantIbLb1EES1Q_IbLb0EEEEDaS1M_S1N_EUlS1M_E_NS1_11comp_targetILNS1_3genE0ELNS1_11target_archE4294967295ELNS1_3gpuE0ELNS1_3repE0EEENS1_30default_config_static_selectorELNS0_4arch9wavefront6targetE0EEEvSZ_.kd
    .uniform_work_group_size: 1
    .uses_dynamic_stack: false
    .vgpr_count:     0
    .vgpr_spill_count: 0
    .wavefront_size: 32
    .workgroup_processor_mode: 1
  - .args:
      - .offset:         0
        .size:           176
        .value_kind:     by_value
    .group_segment_fixed_size: 0
    .kernarg_segment_align: 8
    .kernarg_segment_size: 176
    .language:       OpenCL C
    .language_version:
      - 2
      - 0
    .max_flat_workgroup_size: 256
    .name:           _ZN7rocprim17ROCPRIM_400000_NS6detail17trampoline_kernelINS0_13select_configILj256ELj13ELNS0_17block_load_methodE3ELS4_3ELS4_3ELNS0_20block_scan_algorithmE0ELj4294967295EEENS1_25partition_config_selectorILNS1_17partition_subalgoE4EjNS0_10empty_typeEbEEZZNS1_14partition_implILS8_4ELb0ES6_15HIP_vector_typeIjLj2EENS0_17counting_iteratorIjlEEPS9_SG_NS0_5tupleIJPjSI_NS0_16reverse_iteratorISI_EEEEENSH_IJSG_SG_SG_EEES9_SI_JZNS1_25segmented_radix_sort_implINS0_14default_configELb1EPKlPlSQ_SR_N2at6native12_GLOBAL__N_18offset_tEEE10hipError_tPvRmT1_PNSt15iterator_traitsISZ_E10value_typeET2_T3_PNS10_IS15_E10value_typeET4_jRbjT5_S1B_jjP12ihipStream_tbEUljE_ZNSN_ISO_Lb1ESQ_SR_SQ_SR_SV_EESW_SX_SY_SZ_S13_S14_S15_S18_S19_jS1A_jS1B_S1B_jjS1D_bEUljE0_EEESW_SX_SY_S15_S19_S1B_T6_T7_T9_mT8_S1D_bDpT10_ENKUlT_T0_E_clISt17integral_constantIbLb1EES1Q_IbLb0EEEEDaS1M_S1N_EUlS1M_E_NS1_11comp_targetILNS1_3genE5ELNS1_11target_archE942ELNS1_3gpuE9ELNS1_3repE0EEENS1_30default_config_static_selectorELNS0_4arch9wavefront6targetE0EEEvSZ_
    .private_segment_fixed_size: 0
    .sgpr_count:     0
    .sgpr_spill_count: 0
    .symbol:         _ZN7rocprim17ROCPRIM_400000_NS6detail17trampoline_kernelINS0_13select_configILj256ELj13ELNS0_17block_load_methodE3ELS4_3ELS4_3ELNS0_20block_scan_algorithmE0ELj4294967295EEENS1_25partition_config_selectorILNS1_17partition_subalgoE4EjNS0_10empty_typeEbEEZZNS1_14partition_implILS8_4ELb0ES6_15HIP_vector_typeIjLj2EENS0_17counting_iteratorIjlEEPS9_SG_NS0_5tupleIJPjSI_NS0_16reverse_iteratorISI_EEEEENSH_IJSG_SG_SG_EEES9_SI_JZNS1_25segmented_radix_sort_implINS0_14default_configELb1EPKlPlSQ_SR_N2at6native12_GLOBAL__N_18offset_tEEE10hipError_tPvRmT1_PNSt15iterator_traitsISZ_E10value_typeET2_T3_PNS10_IS15_E10value_typeET4_jRbjT5_S1B_jjP12ihipStream_tbEUljE_ZNSN_ISO_Lb1ESQ_SR_SQ_SR_SV_EESW_SX_SY_SZ_S13_S14_S15_S18_S19_jS1A_jS1B_S1B_jjS1D_bEUljE0_EEESW_SX_SY_S15_S19_S1B_T6_T7_T9_mT8_S1D_bDpT10_ENKUlT_T0_E_clISt17integral_constantIbLb1EES1Q_IbLb0EEEEDaS1M_S1N_EUlS1M_E_NS1_11comp_targetILNS1_3genE5ELNS1_11target_archE942ELNS1_3gpuE9ELNS1_3repE0EEENS1_30default_config_static_selectorELNS0_4arch9wavefront6targetE0EEEvSZ_.kd
    .uniform_work_group_size: 1
    .uses_dynamic_stack: false
    .vgpr_count:     0
    .vgpr_spill_count: 0
    .wavefront_size: 32
    .workgroup_processor_mode: 1
  - .args:
      - .offset:         0
        .size:           176
        .value_kind:     by_value
    .group_segment_fixed_size: 0
    .kernarg_segment_align: 8
    .kernarg_segment_size: 176
    .language:       OpenCL C
    .language_version:
      - 2
      - 0
    .max_flat_workgroup_size: 256
    .name:           _ZN7rocprim17ROCPRIM_400000_NS6detail17trampoline_kernelINS0_13select_configILj256ELj13ELNS0_17block_load_methodE3ELS4_3ELS4_3ELNS0_20block_scan_algorithmE0ELj4294967295EEENS1_25partition_config_selectorILNS1_17partition_subalgoE4EjNS0_10empty_typeEbEEZZNS1_14partition_implILS8_4ELb0ES6_15HIP_vector_typeIjLj2EENS0_17counting_iteratorIjlEEPS9_SG_NS0_5tupleIJPjSI_NS0_16reverse_iteratorISI_EEEEENSH_IJSG_SG_SG_EEES9_SI_JZNS1_25segmented_radix_sort_implINS0_14default_configELb1EPKlPlSQ_SR_N2at6native12_GLOBAL__N_18offset_tEEE10hipError_tPvRmT1_PNSt15iterator_traitsISZ_E10value_typeET2_T3_PNS10_IS15_E10value_typeET4_jRbjT5_S1B_jjP12ihipStream_tbEUljE_ZNSN_ISO_Lb1ESQ_SR_SQ_SR_SV_EESW_SX_SY_SZ_S13_S14_S15_S18_S19_jS1A_jS1B_S1B_jjS1D_bEUljE0_EEESW_SX_SY_S15_S19_S1B_T6_T7_T9_mT8_S1D_bDpT10_ENKUlT_T0_E_clISt17integral_constantIbLb1EES1Q_IbLb0EEEEDaS1M_S1N_EUlS1M_E_NS1_11comp_targetILNS1_3genE4ELNS1_11target_archE910ELNS1_3gpuE8ELNS1_3repE0EEENS1_30default_config_static_selectorELNS0_4arch9wavefront6targetE0EEEvSZ_
    .private_segment_fixed_size: 0
    .sgpr_count:     0
    .sgpr_spill_count: 0
    .symbol:         _ZN7rocprim17ROCPRIM_400000_NS6detail17trampoline_kernelINS0_13select_configILj256ELj13ELNS0_17block_load_methodE3ELS4_3ELS4_3ELNS0_20block_scan_algorithmE0ELj4294967295EEENS1_25partition_config_selectorILNS1_17partition_subalgoE4EjNS0_10empty_typeEbEEZZNS1_14partition_implILS8_4ELb0ES6_15HIP_vector_typeIjLj2EENS0_17counting_iteratorIjlEEPS9_SG_NS0_5tupleIJPjSI_NS0_16reverse_iteratorISI_EEEEENSH_IJSG_SG_SG_EEES9_SI_JZNS1_25segmented_radix_sort_implINS0_14default_configELb1EPKlPlSQ_SR_N2at6native12_GLOBAL__N_18offset_tEEE10hipError_tPvRmT1_PNSt15iterator_traitsISZ_E10value_typeET2_T3_PNS10_IS15_E10value_typeET4_jRbjT5_S1B_jjP12ihipStream_tbEUljE_ZNSN_ISO_Lb1ESQ_SR_SQ_SR_SV_EESW_SX_SY_SZ_S13_S14_S15_S18_S19_jS1A_jS1B_S1B_jjS1D_bEUljE0_EEESW_SX_SY_S15_S19_S1B_T6_T7_T9_mT8_S1D_bDpT10_ENKUlT_T0_E_clISt17integral_constantIbLb1EES1Q_IbLb0EEEEDaS1M_S1N_EUlS1M_E_NS1_11comp_targetILNS1_3genE4ELNS1_11target_archE910ELNS1_3gpuE8ELNS1_3repE0EEENS1_30default_config_static_selectorELNS0_4arch9wavefront6targetE0EEEvSZ_.kd
    .uniform_work_group_size: 1
    .uses_dynamic_stack: false
    .vgpr_count:     0
    .vgpr_spill_count: 0
    .wavefront_size: 32
    .workgroup_processor_mode: 1
  - .args:
      - .offset:         0
        .size:           176
        .value_kind:     by_value
    .group_segment_fixed_size: 0
    .kernarg_segment_align: 8
    .kernarg_segment_size: 176
    .language:       OpenCL C
    .language_version:
      - 2
      - 0
    .max_flat_workgroup_size: 256
    .name:           _ZN7rocprim17ROCPRIM_400000_NS6detail17trampoline_kernelINS0_13select_configILj256ELj13ELNS0_17block_load_methodE3ELS4_3ELS4_3ELNS0_20block_scan_algorithmE0ELj4294967295EEENS1_25partition_config_selectorILNS1_17partition_subalgoE4EjNS0_10empty_typeEbEEZZNS1_14partition_implILS8_4ELb0ES6_15HIP_vector_typeIjLj2EENS0_17counting_iteratorIjlEEPS9_SG_NS0_5tupleIJPjSI_NS0_16reverse_iteratorISI_EEEEENSH_IJSG_SG_SG_EEES9_SI_JZNS1_25segmented_radix_sort_implINS0_14default_configELb1EPKlPlSQ_SR_N2at6native12_GLOBAL__N_18offset_tEEE10hipError_tPvRmT1_PNSt15iterator_traitsISZ_E10value_typeET2_T3_PNS10_IS15_E10value_typeET4_jRbjT5_S1B_jjP12ihipStream_tbEUljE_ZNSN_ISO_Lb1ESQ_SR_SQ_SR_SV_EESW_SX_SY_SZ_S13_S14_S15_S18_S19_jS1A_jS1B_S1B_jjS1D_bEUljE0_EEESW_SX_SY_S15_S19_S1B_T6_T7_T9_mT8_S1D_bDpT10_ENKUlT_T0_E_clISt17integral_constantIbLb1EES1Q_IbLb0EEEEDaS1M_S1N_EUlS1M_E_NS1_11comp_targetILNS1_3genE3ELNS1_11target_archE908ELNS1_3gpuE7ELNS1_3repE0EEENS1_30default_config_static_selectorELNS0_4arch9wavefront6targetE0EEEvSZ_
    .private_segment_fixed_size: 0
    .sgpr_count:     0
    .sgpr_spill_count: 0
    .symbol:         _ZN7rocprim17ROCPRIM_400000_NS6detail17trampoline_kernelINS0_13select_configILj256ELj13ELNS0_17block_load_methodE3ELS4_3ELS4_3ELNS0_20block_scan_algorithmE0ELj4294967295EEENS1_25partition_config_selectorILNS1_17partition_subalgoE4EjNS0_10empty_typeEbEEZZNS1_14partition_implILS8_4ELb0ES6_15HIP_vector_typeIjLj2EENS0_17counting_iteratorIjlEEPS9_SG_NS0_5tupleIJPjSI_NS0_16reverse_iteratorISI_EEEEENSH_IJSG_SG_SG_EEES9_SI_JZNS1_25segmented_radix_sort_implINS0_14default_configELb1EPKlPlSQ_SR_N2at6native12_GLOBAL__N_18offset_tEEE10hipError_tPvRmT1_PNSt15iterator_traitsISZ_E10value_typeET2_T3_PNS10_IS15_E10value_typeET4_jRbjT5_S1B_jjP12ihipStream_tbEUljE_ZNSN_ISO_Lb1ESQ_SR_SQ_SR_SV_EESW_SX_SY_SZ_S13_S14_S15_S18_S19_jS1A_jS1B_S1B_jjS1D_bEUljE0_EEESW_SX_SY_S15_S19_S1B_T6_T7_T9_mT8_S1D_bDpT10_ENKUlT_T0_E_clISt17integral_constantIbLb1EES1Q_IbLb0EEEEDaS1M_S1N_EUlS1M_E_NS1_11comp_targetILNS1_3genE3ELNS1_11target_archE908ELNS1_3gpuE7ELNS1_3repE0EEENS1_30default_config_static_selectorELNS0_4arch9wavefront6targetE0EEEvSZ_.kd
    .uniform_work_group_size: 1
    .uses_dynamic_stack: false
    .vgpr_count:     0
    .vgpr_spill_count: 0
    .wavefront_size: 32
    .workgroup_processor_mode: 1
  - .args:
      - .offset:         0
        .size:           176
        .value_kind:     by_value
    .group_segment_fixed_size: 0
    .kernarg_segment_align: 8
    .kernarg_segment_size: 176
    .language:       OpenCL C
    .language_version:
      - 2
      - 0
    .max_flat_workgroup_size: 256
    .name:           _ZN7rocprim17ROCPRIM_400000_NS6detail17trampoline_kernelINS0_13select_configILj256ELj13ELNS0_17block_load_methodE3ELS4_3ELS4_3ELNS0_20block_scan_algorithmE0ELj4294967295EEENS1_25partition_config_selectorILNS1_17partition_subalgoE4EjNS0_10empty_typeEbEEZZNS1_14partition_implILS8_4ELb0ES6_15HIP_vector_typeIjLj2EENS0_17counting_iteratorIjlEEPS9_SG_NS0_5tupleIJPjSI_NS0_16reverse_iteratorISI_EEEEENSH_IJSG_SG_SG_EEES9_SI_JZNS1_25segmented_radix_sort_implINS0_14default_configELb1EPKlPlSQ_SR_N2at6native12_GLOBAL__N_18offset_tEEE10hipError_tPvRmT1_PNSt15iterator_traitsISZ_E10value_typeET2_T3_PNS10_IS15_E10value_typeET4_jRbjT5_S1B_jjP12ihipStream_tbEUljE_ZNSN_ISO_Lb1ESQ_SR_SQ_SR_SV_EESW_SX_SY_SZ_S13_S14_S15_S18_S19_jS1A_jS1B_S1B_jjS1D_bEUljE0_EEESW_SX_SY_S15_S19_S1B_T6_T7_T9_mT8_S1D_bDpT10_ENKUlT_T0_E_clISt17integral_constantIbLb1EES1Q_IbLb0EEEEDaS1M_S1N_EUlS1M_E_NS1_11comp_targetILNS1_3genE2ELNS1_11target_archE906ELNS1_3gpuE6ELNS1_3repE0EEENS1_30default_config_static_selectorELNS0_4arch9wavefront6targetE0EEEvSZ_
    .private_segment_fixed_size: 0
    .sgpr_count:     0
    .sgpr_spill_count: 0
    .symbol:         _ZN7rocprim17ROCPRIM_400000_NS6detail17trampoline_kernelINS0_13select_configILj256ELj13ELNS0_17block_load_methodE3ELS4_3ELS4_3ELNS0_20block_scan_algorithmE0ELj4294967295EEENS1_25partition_config_selectorILNS1_17partition_subalgoE4EjNS0_10empty_typeEbEEZZNS1_14partition_implILS8_4ELb0ES6_15HIP_vector_typeIjLj2EENS0_17counting_iteratorIjlEEPS9_SG_NS0_5tupleIJPjSI_NS0_16reverse_iteratorISI_EEEEENSH_IJSG_SG_SG_EEES9_SI_JZNS1_25segmented_radix_sort_implINS0_14default_configELb1EPKlPlSQ_SR_N2at6native12_GLOBAL__N_18offset_tEEE10hipError_tPvRmT1_PNSt15iterator_traitsISZ_E10value_typeET2_T3_PNS10_IS15_E10value_typeET4_jRbjT5_S1B_jjP12ihipStream_tbEUljE_ZNSN_ISO_Lb1ESQ_SR_SQ_SR_SV_EESW_SX_SY_SZ_S13_S14_S15_S18_S19_jS1A_jS1B_S1B_jjS1D_bEUljE0_EEESW_SX_SY_S15_S19_S1B_T6_T7_T9_mT8_S1D_bDpT10_ENKUlT_T0_E_clISt17integral_constantIbLb1EES1Q_IbLb0EEEEDaS1M_S1N_EUlS1M_E_NS1_11comp_targetILNS1_3genE2ELNS1_11target_archE906ELNS1_3gpuE6ELNS1_3repE0EEENS1_30default_config_static_selectorELNS0_4arch9wavefront6targetE0EEEvSZ_.kd
    .uniform_work_group_size: 1
    .uses_dynamic_stack: false
    .vgpr_count:     0
    .vgpr_spill_count: 0
    .wavefront_size: 32
    .workgroup_processor_mode: 1
  - .args:
      - .offset:         0
        .size:           176
        .value_kind:     by_value
    .group_segment_fixed_size: 0
    .kernarg_segment_align: 8
    .kernarg_segment_size: 176
    .language:       OpenCL C
    .language_version:
      - 2
      - 0
    .max_flat_workgroup_size: 256
    .name:           _ZN7rocprim17ROCPRIM_400000_NS6detail17trampoline_kernelINS0_13select_configILj256ELj13ELNS0_17block_load_methodE3ELS4_3ELS4_3ELNS0_20block_scan_algorithmE0ELj4294967295EEENS1_25partition_config_selectorILNS1_17partition_subalgoE4EjNS0_10empty_typeEbEEZZNS1_14partition_implILS8_4ELb0ES6_15HIP_vector_typeIjLj2EENS0_17counting_iteratorIjlEEPS9_SG_NS0_5tupleIJPjSI_NS0_16reverse_iteratorISI_EEEEENSH_IJSG_SG_SG_EEES9_SI_JZNS1_25segmented_radix_sort_implINS0_14default_configELb1EPKlPlSQ_SR_N2at6native12_GLOBAL__N_18offset_tEEE10hipError_tPvRmT1_PNSt15iterator_traitsISZ_E10value_typeET2_T3_PNS10_IS15_E10value_typeET4_jRbjT5_S1B_jjP12ihipStream_tbEUljE_ZNSN_ISO_Lb1ESQ_SR_SQ_SR_SV_EESW_SX_SY_SZ_S13_S14_S15_S18_S19_jS1A_jS1B_S1B_jjS1D_bEUljE0_EEESW_SX_SY_S15_S19_S1B_T6_T7_T9_mT8_S1D_bDpT10_ENKUlT_T0_E_clISt17integral_constantIbLb1EES1Q_IbLb0EEEEDaS1M_S1N_EUlS1M_E_NS1_11comp_targetILNS1_3genE10ELNS1_11target_archE1200ELNS1_3gpuE4ELNS1_3repE0EEENS1_30default_config_static_selectorELNS0_4arch9wavefront6targetE0EEEvSZ_
    .private_segment_fixed_size: 0
    .sgpr_count:     0
    .sgpr_spill_count: 0
    .symbol:         _ZN7rocprim17ROCPRIM_400000_NS6detail17trampoline_kernelINS0_13select_configILj256ELj13ELNS0_17block_load_methodE3ELS4_3ELS4_3ELNS0_20block_scan_algorithmE0ELj4294967295EEENS1_25partition_config_selectorILNS1_17partition_subalgoE4EjNS0_10empty_typeEbEEZZNS1_14partition_implILS8_4ELb0ES6_15HIP_vector_typeIjLj2EENS0_17counting_iteratorIjlEEPS9_SG_NS0_5tupleIJPjSI_NS0_16reverse_iteratorISI_EEEEENSH_IJSG_SG_SG_EEES9_SI_JZNS1_25segmented_radix_sort_implINS0_14default_configELb1EPKlPlSQ_SR_N2at6native12_GLOBAL__N_18offset_tEEE10hipError_tPvRmT1_PNSt15iterator_traitsISZ_E10value_typeET2_T3_PNS10_IS15_E10value_typeET4_jRbjT5_S1B_jjP12ihipStream_tbEUljE_ZNSN_ISO_Lb1ESQ_SR_SQ_SR_SV_EESW_SX_SY_SZ_S13_S14_S15_S18_S19_jS1A_jS1B_S1B_jjS1D_bEUljE0_EEESW_SX_SY_S15_S19_S1B_T6_T7_T9_mT8_S1D_bDpT10_ENKUlT_T0_E_clISt17integral_constantIbLb1EES1Q_IbLb0EEEEDaS1M_S1N_EUlS1M_E_NS1_11comp_targetILNS1_3genE10ELNS1_11target_archE1200ELNS1_3gpuE4ELNS1_3repE0EEENS1_30default_config_static_selectorELNS0_4arch9wavefront6targetE0EEEvSZ_.kd
    .uniform_work_group_size: 1
    .uses_dynamic_stack: false
    .vgpr_count:     0
    .vgpr_spill_count: 0
    .wavefront_size: 32
    .workgroup_processor_mode: 1
  - .args:
      - .offset:         0
        .size:           176
        .value_kind:     by_value
    .group_segment_fixed_size: 0
    .kernarg_segment_align: 8
    .kernarg_segment_size: 176
    .language:       OpenCL C
    .language_version:
      - 2
      - 0
    .max_flat_workgroup_size: 256
    .name:           _ZN7rocprim17ROCPRIM_400000_NS6detail17trampoline_kernelINS0_13select_configILj256ELj13ELNS0_17block_load_methodE3ELS4_3ELS4_3ELNS0_20block_scan_algorithmE0ELj4294967295EEENS1_25partition_config_selectorILNS1_17partition_subalgoE4EjNS0_10empty_typeEbEEZZNS1_14partition_implILS8_4ELb0ES6_15HIP_vector_typeIjLj2EENS0_17counting_iteratorIjlEEPS9_SG_NS0_5tupleIJPjSI_NS0_16reverse_iteratorISI_EEEEENSH_IJSG_SG_SG_EEES9_SI_JZNS1_25segmented_radix_sort_implINS0_14default_configELb1EPKlPlSQ_SR_N2at6native12_GLOBAL__N_18offset_tEEE10hipError_tPvRmT1_PNSt15iterator_traitsISZ_E10value_typeET2_T3_PNS10_IS15_E10value_typeET4_jRbjT5_S1B_jjP12ihipStream_tbEUljE_ZNSN_ISO_Lb1ESQ_SR_SQ_SR_SV_EESW_SX_SY_SZ_S13_S14_S15_S18_S19_jS1A_jS1B_S1B_jjS1D_bEUljE0_EEESW_SX_SY_S15_S19_S1B_T6_T7_T9_mT8_S1D_bDpT10_ENKUlT_T0_E_clISt17integral_constantIbLb1EES1Q_IbLb0EEEEDaS1M_S1N_EUlS1M_E_NS1_11comp_targetILNS1_3genE9ELNS1_11target_archE1100ELNS1_3gpuE3ELNS1_3repE0EEENS1_30default_config_static_selectorELNS0_4arch9wavefront6targetE0EEEvSZ_
    .private_segment_fixed_size: 0
    .sgpr_count:     0
    .sgpr_spill_count: 0
    .symbol:         _ZN7rocprim17ROCPRIM_400000_NS6detail17trampoline_kernelINS0_13select_configILj256ELj13ELNS0_17block_load_methodE3ELS4_3ELS4_3ELNS0_20block_scan_algorithmE0ELj4294967295EEENS1_25partition_config_selectorILNS1_17partition_subalgoE4EjNS0_10empty_typeEbEEZZNS1_14partition_implILS8_4ELb0ES6_15HIP_vector_typeIjLj2EENS0_17counting_iteratorIjlEEPS9_SG_NS0_5tupleIJPjSI_NS0_16reverse_iteratorISI_EEEEENSH_IJSG_SG_SG_EEES9_SI_JZNS1_25segmented_radix_sort_implINS0_14default_configELb1EPKlPlSQ_SR_N2at6native12_GLOBAL__N_18offset_tEEE10hipError_tPvRmT1_PNSt15iterator_traitsISZ_E10value_typeET2_T3_PNS10_IS15_E10value_typeET4_jRbjT5_S1B_jjP12ihipStream_tbEUljE_ZNSN_ISO_Lb1ESQ_SR_SQ_SR_SV_EESW_SX_SY_SZ_S13_S14_S15_S18_S19_jS1A_jS1B_S1B_jjS1D_bEUljE0_EEESW_SX_SY_S15_S19_S1B_T6_T7_T9_mT8_S1D_bDpT10_ENKUlT_T0_E_clISt17integral_constantIbLb1EES1Q_IbLb0EEEEDaS1M_S1N_EUlS1M_E_NS1_11comp_targetILNS1_3genE9ELNS1_11target_archE1100ELNS1_3gpuE3ELNS1_3repE0EEENS1_30default_config_static_selectorELNS0_4arch9wavefront6targetE0EEEvSZ_.kd
    .uniform_work_group_size: 1
    .uses_dynamic_stack: false
    .vgpr_count:     0
    .vgpr_spill_count: 0
    .wavefront_size: 32
    .workgroup_processor_mode: 1
  - .args:
      - .offset:         0
        .size:           176
        .value_kind:     by_value
    .group_segment_fixed_size: 0
    .kernarg_segment_align: 8
    .kernarg_segment_size: 176
    .language:       OpenCL C
    .language_version:
      - 2
      - 0
    .max_flat_workgroup_size: 256
    .name:           _ZN7rocprim17ROCPRIM_400000_NS6detail17trampoline_kernelINS0_13select_configILj256ELj13ELNS0_17block_load_methodE3ELS4_3ELS4_3ELNS0_20block_scan_algorithmE0ELj4294967295EEENS1_25partition_config_selectorILNS1_17partition_subalgoE4EjNS0_10empty_typeEbEEZZNS1_14partition_implILS8_4ELb0ES6_15HIP_vector_typeIjLj2EENS0_17counting_iteratorIjlEEPS9_SG_NS0_5tupleIJPjSI_NS0_16reverse_iteratorISI_EEEEENSH_IJSG_SG_SG_EEES9_SI_JZNS1_25segmented_radix_sort_implINS0_14default_configELb1EPKlPlSQ_SR_N2at6native12_GLOBAL__N_18offset_tEEE10hipError_tPvRmT1_PNSt15iterator_traitsISZ_E10value_typeET2_T3_PNS10_IS15_E10value_typeET4_jRbjT5_S1B_jjP12ihipStream_tbEUljE_ZNSN_ISO_Lb1ESQ_SR_SQ_SR_SV_EESW_SX_SY_SZ_S13_S14_S15_S18_S19_jS1A_jS1B_S1B_jjS1D_bEUljE0_EEESW_SX_SY_S15_S19_S1B_T6_T7_T9_mT8_S1D_bDpT10_ENKUlT_T0_E_clISt17integral_constantIbLb1EES1Q_IbLb0EEEEDaS1M_S1N_EUlS1M_E_NS1_11comp_targetILNS1_3genE8ELNS1_11target_archE1030ELNS1_3gpuE2ELNS1_3repE0EEENS1_30default_config_static_selectorELNS0_4arch9wavefront6targetE0EEEvSZ_
    .private_segment_fixed_size: 0
    .sgpr_count:     0
    .sgpr_spill_count: 0
    .symbol:         _ZN7rocprim17ROCPRIM_400000_NS6detail17trampoline_kernelINS0_13select_configILj256ELj13ELNS0_17block_load_methodE3ELS4_3ELS4_3ELNS0_20block_scan_algorithmE0ELj4294967295EEENS1_25partition_config_selectorILNS1_17partition_subalgoE4EjNS0_10empty_typeEbEEZZNS1_14partition_implILS8_4ELb0ES6_15HIP_vector_typeIjLj2EENS0_17counting_iteratorIjlEEPS9_SG_NS0_5tupleIJPjSI_NS0_16reverse_iteratorISI_EEEEENSH_IJSG_SG_SG_EEES9_SI_JZNS1_25segmented_radix_sort_implINS0_14default_configELb1EPKlPlSQ_SR_N2at6native12_GLOBAL__N_18offset_tEEE10hipError_tPvRmT1_PNSt15iterator_traitsISZ_E10value_typeET2_T3_PNS10_IS15_E10value_typeET4_jRbjT5_S1B_jjP12ihipStream_tbEUljE_ZNSN_ISO_Lb1ESQ_SR_SQ_SR_SV_EESW_SX_SY_SZ_S13_S14_S15_S18_S19_jS1A_jS1B_S1B_jjS1D_bEUljE0_EEESW_SX_SY_S15_S19_S1B_T6_T7_T9_mT8_S1D_bDpT10_ENKUlT_T0_E_clISt17integral_constantIbLb1EES1Q_IbLb0EEEEDaS1M_S1N_EUlS1M_E_NS1_11comp_targetILNS1_3genE8ELNS1_11target_archE1030ELNS1_3gpuE2ELNS1_3repE0EEENS1_30default_config_static_selectorELNS0_4arch9wavefront6targetE0EEEvSZ_.kd
    .uniform_work_group_size: 1
    .uses_dynamic_stack: false
    .vgpr_count:     0
    .vgpr_spill_count: 0
    .wavefront_size: 32
    .workgroup_processor_mode: 1
  - .args:
      - .offset:         0
        .size:           184
        .value_kind:     by_value
    .group_segment_fixed_size: 0
    .kernarg_segment_align: 8
    .kernarg_segment_size: 184
    .language:       OpenCL C
    .language_version:
      - 2
      - 0
    .max_flat_workgroup_size: 256
    .name:           _ZN7rocprim17ROCPRIM_400000_NS6detail17trampoline_kernelINS0_13select_configILj256ELj13ELNS0_17block_load_methodE3ELS4_3ELS4_3ELNS0_20block_scan_algorithmE0ELj4294967295EEENS1_25partition_config_selectorILNS1_17partition_subalgoE4EjNS0_10empty_typeEbEEZZNS1_14partition_implILS8_4ELb0ES6_15HIP_vector_typeIjLj2EENS0_17counting_iteratorIjlEEPS9_SG_NS0_5tupleIJPjSI_NS0_16reverse_iteratorISI_EEEEENSH_IJSG_SG_SG_EEES9_SI_JZNS1_25segmented_radix_sort_implINS0_14default_configELb1EPKlPlSQ_SR_N2at6native12_GLOBAL__N_18offset_tEEE10hipError_tPvRmT1_PNSt15iterator_traitsISZ_E10value_typeET2_T3_PNS10_IS15_E10value_typeET4_jRbjT5_S1B_jjP12ihipStream_tbEUljE_ZNSN_ISO_Lb1ESQ_SR_SQ_SR_SV_EESW_SX_SY_SZ_S13_S14_S15_S18_S19_jS1A_jS1B_S1B_jjS1D_bEUljE0_EEESW_SX_SY_S15_S19_S1B_T6_T7_T9_mT8_S1D_bDpT10_ENKUlT_T0_E_clISt17integral_constantIbLb0EES1Q_IbLb1EEEEDaS1M_S1N_EUlS1M_E_NS1_11comp_targetILNS1_3genE0ELNS1_11target_archE4294967295ELNS1_3gpuE0ELNS1_3repE0EEENS1_30default_config_static_selectorELNS0_4arch9wavefront6targetE0EEEvSZ_
    .private_segment_fixed_size: 0
    .sgpr_count:     0
    .sgpr_spill_count: 0
    .symbol:         _ZN7rocprim17ROCPRIM_400000_NS6detail17trampoline_kernelINS0_13select_configILj256ELj13ELNS0_17block_load_methodE3ELS4_3ELS4_3ELNS0_20block_scan_algorithmE0ELj4294967295EEENS1_25partition_config_selectorILNS1_17partition_subalgoE4EjNS0_10empty_typeEbEEZZNS1_14partition_implILS8_4ELb0ES6_15HIP_vector_typeIjLj2EENS0_17counting_iteratorIjlEEPS9_SG_NS0_5tupleIJPjSI_NS0_16reverse_iteratorISI_EEEEENSH_IJSG_SG_SG_EEES9_SI_JZNS1_25segmented_radix_sort_implINS0_14default_configELb1EPKlPlSQ_SR_N2at6native12_GLOBAL__N_18offset_tEEE10hipError_tPvRmT1_PNSt15iterator_traitsISZ_E10value_typeET2_T3_PNS10_IS15_E10value_typeET4_jRbjT5_S1B_jjP12ihipStream_tbEUljE_ZNSN_ISO_Lb1ESQ_SR_SQ_SR_SV_EESW_SX_SY_SZ_S13_S14_S15_S18_S19_jS1A_jS1B_S1B_jjS1D_bEUljE0_EEESW_SX_SY_S15_S19_S1B_T6_T7_T9_mT8_S1D_bDpT10_ENKUlT_T0_E_clISt17integral_constantIbLb0EES1Q_IbLb1EEEEDaS1M_S1N_EUlS1M_E_NS1_11comp_targetILNS1_3genE0ELNS1_11target_archE4294967295ELNS1_3gpuE0ELNS1_3repE0EEENS1_30default_config_static_selectorELNS0_4arch9wavefront6targetE0EEEvSZ_.kd
    .uniform_work_group_size: 1
    .uses_dynamic_stack: false
    .vgpr_count:     0
    .vgpr_spill_count: 0
    .wavefront_size: 32
    .workgroup_processor_mode: 1
  - .args:
      - .offset:         0
        .size:           184
        .value_kind:     by_value
    .group_segment_fixed_size: 0
    .kernarg_segment_align: 8
    .kernarg_segment_size: 184
    .language:       OpenCL C
    .language_version:
      - 2
      - 0
    .max_flat_workgroup_size: 256
    .name:           _ZN7rocprim17ROCPRIM_400000_NS6detail17trampoline_kernelINS0_13select_configILj256ELj13ELNS0_17block_load_methodE3ELS4_3ELS4_3ELNS0_20block_scan_algorithmE0ELj4294967295EEENS1_25partition_config_selectorILNS1_17partition_subalgoE4EjNS0_10empty_typeEbEEZZNS1_14partition_implILS8_4ELb0ES6_15HIP_vector_typeIjLj2EENS0_17counting_iteratorIjlEEPS9_SG_NS0_5tupleIJPjSI_NS0_16reverse_iteratorISI_EEEEENSH_IJSG_SG_SG_EEES9_SI_JZNS1_25segmented_radix_sort_implINS0_14default_configELb1EPKlPlSQ_SR_N2at6native12_GLOBAL__N_18offset_tEEE10hipError_tPvRmT1_PNSt15iterator_traitsISZ_E10value_typeET2_T3_PNS10_IS15_E10value_typeET4_jRbjT5_S1B_jjP12ihipStream_tbEUljE_ZNSN_ISO_Lb1ESQ_SR_SQ_SR_SV_EESW_SX_SY_SZ_S13_S14_S15_S18_S19_jS1A_jS1B_S1B_jjS1D_bEUljE0_EEESW_SX_SY_S15_S19_S1B_T6_T7_T9_mT8_S1D_bDpT10_ENKUlT_T0_E_clISt17integral_constantIbLb0EES1Q_IbLb1EEEEDaS1M_S1N_EUlS1M_E_NS1_11comp_targetILNS1_3genE5ELNS1_11target_archE942ELNS1_3gpuE9ELNS1_3repE0EEENS1_30default_config_static_selectorELNS0_4arch9wavefront6targetE0EEEvSZ_
    .private_segment_fixed_size: 0
    .sgpr_count:     0
    .sgpr_spill_count: 0
    .symbol:         _ZN7rocprim17ROCPRIM_400000_NS6detail17trampoline_kernelINS0_13select_configILj256ELj13ELNS0_17block_load_methodE3ELS4_3ELS4_3ELNS0_20block_scan_algorithmE0ELj4294967295EEENS1_25partition_config_selectorILNS1_17partition_subalgoE4EjNS0_10empty_typeEbEEZZNS1_14partition_implILS8_4ELb0ES6_15HIP_vector_typeIjLj2EENS0_17counting_iteratorIjlEEPS9_SG_NS0_5tupleIJPjSI_NS0_16reverse_iteratorISI_EEEEENSH_IJSG_SG_SG_EEES9_SI_JZNS1_25segmented_radix_sort_implINS0_14default_configELb1EPKlPlSQ_SR_N2at6native12_GLOBAL__N_18offset_tEEE10hipError_tPvRmT1_PNSt15iterator_traitsISZ_E10value_typeET2_T3_PNS10_IS15_E10value_typeET4_jRbjT5_S1B_jjP12ihipStream_tbEUljE_ZNSN_ISO_Lb1ESQ_SR_SQ_SR_SV_EESW_SX_SY_SZ_S13_S14_S15_S18_S19_jS1A_jS1B_S1B_jjS1D_bEUljE0_EEESW_SX_SY_S15_S19_S1B_T6_T7_T9_mT8_S1D_bDpT10_ENKUlT_T0_E_clISt17integral_constantIbLb0EES1Q_IbLb1EEEEDaS1M_S1N_EUlS1M_E_NS1_11comp_targetILNS1_3genE5ELNS1_11target_archE942ELNS1_3gpuE9ELNS1_3repE0EEENS1_30default_config_static_selectorELNS0_4arch9wavefront6targetE0EEEvSZ_.kd
    .uniform_work_group_size: 1
    .uses_dynamic_stack: false
    .vgpr_count:     0
    .vgpr_spill_count: 0
    .wavefront_size: 32
    .workgroup_processor_mode: 1
  - .args:
      - .offset:         0
        .size:           184
        .value_kind:     by_value
    .group_segment_fixed_size: 0
    .kernarg_segment_align: 8
    .kernarg_segment_size: 184
    .language:       OpenCL C
    .language_version:
      - 2
      - 0
    .max_flat_workgroup_size: 256
    .name:           _ZN7rocprim17ROCPRIM_400000_NS6detail17trampoline_kernelINS0_13select_configILj256ELj13ELNS0_17block_load_methodE3ELS4_3ELS4_3ELNS0_20block_scan_algorithmE0ELj4294967295EEENS1_25partition_config_selectorILNS1_17partition_subalgoE4EjNS0_10empty_typeEbEEZZNS1_14partition_implILS8_4ELb0ES6_15HIP_vector_typeIjLj2EENS0_17counting_iteratorIjlEEPS9_SG_NS0_5tupleIJPjSI_NS0_16reverse_iteratorISI_EEEEENSH_IJSG_SG_SG_EEES9_SI_JZNS1_25segmented_radix_sort_implINS0_14default_configELb1EPKlPlSQ_SR_N2at6native12_GLOBAL__N_18offset_tEEE10hipError_tPvRmT1_PNSt15iterator_traitsISZ_E10value_typeET2_T3_PNS10_IS15_E10value_typeET4_jRbjT5_S1B_jjP12ihipStream_tbEUljE_ZNSN_ISO_Lb1ESQ_SR_SQ_SR_SV_EESW_SX_SY_SZ_S13_S14_S15_S18_S19_jS1A_jS1B_S1B_jjS1D_bEUljE0_EEESW_SX_SY_S15_S19_S1B_T6_T7_T9_mT8_S1D_bDpT10_ENKUlT_T0_E_clISt17integral_constantIbLb0EES1Q_IbLb1EEEEDaS1M_S1N_EUlS1M_E_NS1_11comp_targetILNS1_3genE4ELNS1_11target_archE910ELNS1_3gpuE8ELNS1_3repE0EEENS1_30default_config_static_selectorELNS0_4arch9wavefront6targetE0EEEvSZ_
    .private_segment_fixed_size: 0
    .sgpr_count:     0
    .sgpr_spill_count: 0
    .symbol:         _ZN7rocprim17ROCPRIM_400000_NS6detail17trampoline_kernelINS0_13select_configILj256ELj13ELNS0_17block_load_methodE3ELS4_3ELS4_3ELNS0_20block_scan_algorithmE0ELj4294967295EEENS1_25partition_config_selectorILNS1_17partition_subalgoE4EjNS0_10empty_typeEbEEZZNS1_14partition_implILS8_4ELb0ES6_15HIP_vector_typeIjLj2EENS0_17counting_iteratorIjlEEPS9_SG_NS0_5tupleIJPjSI_NS0_16reverse_iteratorISI_EEEEENSH_IJSG_SG_SG_EEES9_SI_JZNS1_25segmented_radix_sort_implINS0_14default_configELb1EPKlPlSQ_SR_N2at6native12_GLOBAL__N_18offset_tEEE10hipError_tPvRmT1_PNSt15iterator_traitsISZ_E10value_typeET2_T3_PNS10_IS15_E10value_typeET4_jRbjT5_S1B_jjP12ihipStream_tbEUljE_ZNSN_ISO_Lb1ESQ_SR_SQ_SR_SV_EESW_SX_SY_SZ_S13_S14_S15_S18_S19_jS1A_jS1B_S1B_jjS1D_bEUljE0_EEESW_SX_SY_S15_S19_S1B_T6_T7_T9_mT8_S1D_bDpT10_ENKUlT_T0_E_clISt17integral_constantIbLb0EES1Q_IbLb1EEEEDaS1M_S1N_EUlS1M_E_NS1_11comp_targetILNS1_3genE4ELNS1_11target_archE910ELNS1_3gpuE8ELNS1_3repE0EEENS1_30default_config_static_selectorELNS0_4arch9wavefront6targetE0EEEvSZ_.kd
    .uniform_work_group_size: 1
    .uses_dynamic_stack: false
    .vgpr_count:     0
    .vgpr_spill_count: 0
    .wavefront_size: 32
    .workgroup_processor_mode: 1
  - .args:
      - .offset:         0
        .size:           184
        .value_kind:     by_value
    .group_segment_fixed_size: 0
    .kernarg_segment_align: 8
    .kernarg_segment_size: 184
    .language:       OpenCL C
    .language_version:
      - 2
      - 0
    .max_flat_workgroup_size: 256
    .name:           _ZN7rocprim17ROCPRIM_400000_NS6detail17trampoline_kernelINS0_13select_configILj256ELj13ELNS0_17block_load_methodE3ELS4_3ELS4_3ELNS0_20block_scan_algorithmE0ELj4294967295EEENS1_25partition_config_selectorILNS1_17partition_subalgoE4EjNS0_10empty_typeEbEEZZNS1_14partition_implILS8_4ELb0ES6_15HIP_vector_typeIjLj2EENS0_17counting_iteratorIjlEEPS9_SG_NS0_5tupleIJPjSI_NS0_16reverse_iteratorISI_EEEEENSH_IJSG_SG_SG_EEES9_SI_JZNS1_25segmented_radix_sort_implINS0_14default_configELb1EPKlPlSQ_SR_N2at6native12_GLOBAL__N_18offset_tEEE10hipError_tPvRmT1_PNSt15iterator_traitsISZ_E10value_typeET2_T3_PNS10_IS15_E10value_typeET4_jRbjT5_S1B_jjP12ihipStream_tbEUljE_ZNSN_ISO_Lb1ESQ_SR_SQ_SR_SV_EESW_SX_SY_SZ_S13_S14_S15_S18_S19_jS1A_jS1B_S1B_jjS1D_bEUljE0_EEESW_SX_SY_S15_S19_S1B_T6_T7_T9_mT8_S1D_bDpT10_ENKUlT_T0_E_clISt17integral_constantIbLb0EES1Q_IbLb1EEEEDaS1M_S1N_EUlS1M_E_NS1_11comp_targetILNS1_3genE3ELNS1_11target_archE908ELNS1_3gpuE7ELNS1_3repE0EEENS1_30default_config_static_selectorELNS0_4arch9wavefront6targetE0EEEvSZ_
    .private_segment_fixed_size: 0
    .sgpr_count:     0
    .sgpr_spill_count: 0
    .symbol:         _ZN7rocprim17ROCPRIM_400000_NS6detail17trampoline_kernelINS0_13select_configILj256ELj13ELNS0_17block_load_methodE3ELS4_3ELS4_3ELNS0_20block_scan_algorithmE0ELj4294967295EEENS1_25partition_config_selectorILNS1_17partition_subalgoE4EjNS0_10empty_typeEbEEZZNS1_14partition_implILS8_4ELb0ES6_15HIP_vector_typeIjLj2EENS0_17counting_iteratorIjlEEPS9_SG_NS0_5tupleIJPjSI_NS0_16reverse_iteratorISI_EEEEENSH_IJSG_SG_SG_EEES9_SI_JZNS1_25segmented_radix_sort_implINS0_14default_configELb1EPKlPlSQ_SR_N2at6native12_GLOBAL__N_18offset_tEEE10hipError_tPvRmT1_PNSt15iterator_traitsISZ_E10value_typeET2_T3_PNS10_IS15_E10value_typeET4_jRbjT5_S1B_jjP12ihipStream_tbEUljE_ZNSN_ISO_Lb1ESQ_SR_SQ_SR_SV_EESW_SX_SY_SZ_S13_S14_S15_S18_S19_jS1A_jS1B_S1B_jjS1D_bEUljE0_EEESW_SX_SY_S15_S19_S1B_T6_T7_T9_mT8_S1D_bDpT10_ENKUlT_T0_E_clISt17integral_constantIbLb0EES1Q_IbLb1EEEEDaS1M_S1N_EUlS1M_E_NS1_11comp_targetILNS1_3genE3ELNS1_11target_archE908ELNS1_3gpuE7ELNS1_3repE0EEENS1_30default_config_static_selectorELNS0_4arch9wavefront6targetE0EEEvSZ_.kd
    .uniform_work_group_size: 1
    .uses_dynamic_stack: false
    .vgpr_count:     0
    .vgpr_spill_count: 0
    .wavefront_size: 32
    .workgroup_processor_mode: 1
  - .args:
      - .offset:         0
        .size:           184
        .value_kind:     by_value
    .group_segment_fixed_size: 0
    .kernarg_segment_align: 8
    .kernarg_segment_size: 184
    .language:       OpenCL C
    .language_version:
      - 2
      - 0
    .max_flat_workgroup_size: 256
    .name:           _ZN7rocprim17ROCPRIM_400000_NS6detail17trampoline_kernelINS0_13select_configILj256ELj13ELNS0_17block_load_methodE3ELS4_3ELS4_3ELNS0_20block_scan_algorithmE0ELj4294967295EEENS1_25partition_config_selectorILNS1_17partition_subalgoE4EjNS0_10empty_typeEbEEZZNS1_14partition_implILS8_4ELb0ES6_15HIP_vector_typeIjLj2EENS0_17counting_iteratorIjlEEPS9_SG_NS0_5tupleIJPjSI_NS0_16reverse_iteratorISI_EEEEENSH_IJSG_SG_SG_EEES9_SI_JZNS1_25segmented_radix_sort_implINS0_14default_configELb1EPKlPlSQ_SR_N2at6native12_GLOBAL__N_18offset_tEEE10hipError_tPvRmT1_PNSt15iterator_traitsISZ_E10value_typeET2_T3_PNS10_IS15_E10value_typeET4_jRbjT5_S1B_jjP12ihipStream_tbEUljE_ZNSN_ISO_Lb1ESQ_SR_SQ_SR_SV_EESW_SX_SY_SZ_S13_S14_S15_S18_S19_jS1A_jS1B_S1B_jjS1D_bEUljE0_EEESW_SX_SY_S15_S19_S1B_T6_T7_T9_mT8_S1D_bDpT10_ENKUlT_T0_E_clISt17integral_constantIbLb0EES1Q_IbLb1EEEEDaS1M_S1N_EUlS1M_E_NS1_11comp_targetILNS1_3genE2ELNS1_11target_archE906ELNS1_3gpuE6ELNS1_3repE0EEENS1_30default_config_static_selectorELNS0_4arch9wavefront6targetE0EEEvSZ_
    .private_segment_fixed_size: 0
    .sgpr_count:     0
    .sgpr_spill_count: 0
    .symbol:         _ZN7rocprim17ROCPRIM_400000_NS6detail17trampoline_kernelINS0_13select_configILj256ELj13ELNS0_17block_load_methodE3ELS4_3ELS4_3ELNS0_20block_scan_algorithmE0ELj4294967295EEENS1_25partition_config_selectorILNS1_17partition_subalgoE4EjNS0_10empty_typeEbEEZZNS1_14partition_implILS8_4ELb0ES6_15HIP_vector_typeIjLj2EENS0_17counting_iteratorIjlEEPS9_SG_NS0_5tupleIJPjSI_NS0_16reverse_iteratorISI_EEEEENSH_IJSG_SG_SG_EEES9_SI_JZNS1_25segmented_radix_sort_implINS0_14default_configELb1EPKlPlSQ_SR_N2at6native12_GLOBAL__N_18offset_tEEE10hipError_tPvRmT1_PNSt15iterator_traitsISZ_E10value_typeET2_T3_PNS10_IS15_E10value_typeET4_jRbjT5_S1B_jjP12ihipStream_tbEUljE_ZNSN_ISO_Lb1ESQ_SR_SQ_SR_SV_EESW_SX_SY_SZ_S13_S14_S15_S18_S19_jS1A_jS1B_S1B_jjS1D_bEUljE0_EEESW_SX_SY_S15_S19_S1B_T6_T7_T9_mT8_S1D_bDpT10_ENKUlT_T0_E_clISt17integral_constantIbLb0EES1Q_IbLb1EEEEDaS1M_S1N_EUlS1M_E_NS1_11comp_targetILNS1_3genE2ELNS1_11target_archE906ELNS1_3gpuE6ELNS1_3repE0EEENS1_30default_config_static_selectorELNS0_4arch9wavefront6targetE0EEEvSZ_.kd
    .uniform_work_group_size: 1
    .uses_dynamic_stack: false
    .vgpr_count:     0
    .vgpr_spill_count: 0
    .wavefront_size: 32
    .workgroup_processor_mode: 1
  - .args:
      - .offset:         0
        .size:           184
        .value_kind:     by_value
    .group_segment_fixed_size: 0
    .kernarg_segment_align: 8
    .kernarg_segment_size: 184
    .language:       OpenCL C
    .language_version:
      - 2
      - 0
    .max_flat_workgroup_size: 256
    .name:           _ZN7rocprim17ROCPRIM_400000_NS6detail17trampoline_kernelINS0_13select_configILj256ELj13ELNS0_17block_load_methodE3ELS4_3ELS4_3ELNS0_20block_scan_algorithmE0ELj4294967295EEENS1_25partition_config_selectorILNS1_17partition_subalgoE4EjNS0_10empty_typeEbEEZZNS1_14partition_implILS8_4ELb0ES6_15HIP_vector_typeIjLj2EENS0_17counting_iteratorIjlEEPS9_SG_NS0_5tupleIJPjSI_NS0_16reverse_iteratorISI_EEEEENSH_IJSG_SG_SG_EEES9_SI_JZNS1_25segmented_radix_sort_implINS0_14default_configELb1EPKlPlSQ_SR_N2at6native12_GLOBAL__N_18offset_tEEE10hipError_tPvRmT1_PNSt15iterator_traitsISZ_E10value_typeET2_T3_PNS10_IS15_E10value_typeET4_jRbjT5_S1B_jjP12ihipStream_tbEUljE_ZNSN_ISO_Lb1ESQ_SR_SQ_SR_SV_EESW_SX_SY_SZ_S13_S14_S15_S18_S19_jS1A_jS1B_S1B_jjS1D_bEUljE0_EEESW_SX_SY_S15_S19_S1B_T6_T7_T9_mT8_S1D_bDpT10_ENKUlT_T0_E_clISt17integral_constantIbLb0EES1Q_IbLb1EEEEDaS1M_S1N_EUlS1M_E_NS1_11comp_targetILNS1_3genE10ELNS1_11target_archE1200ELNS1_3gpuE4ELNS1_3repE0EEENS1_30default_config_static_selectorELNS0_4arch9wavefront6targetE0EEEvSZ_
    .private_segment_fixed_size: 0
    .sgpr_count:     0
    .sgpr_spill_count: 0
    .symbol:         _ZN7rocprim17ROCPRIM_400000_NS6detail17trampoline_kernelINS0_13select_configILj256ELj13ELNS0_17block_load_methodE3ELS4_3ELS4_3ELNS0_20block_scan_algorithmE0ELj4294967295EEENS1_25partition_config_selectorILNS1_17partition_subalgoE4EjNS0_10empty_typeEbEEZZNS1_14partition_implILS8_4ELb0ES6_15HIP_vector_typeIjLj2EENS0_17counting_iteratorIjlEEPS9_SG_NS0_5tupleIJPjSI_NS0_16reverse_iteratorISI_EEEEENSH_IJSG_SG_SG_EEES9_SI_JZNS1_25segmented_radix_sort_implINS0_14default_configELb1EPKlPlSQ_SR_N2at6native12_GLOBAL__N_18offset_tEEE10hipError_tPvRmT1_PNSt15iterator_traitsISZ_E10value_typeET2_T3_PNS10_IS15_E10value_typeET4_jRbjT5_S1B_jjP12ihipStream_tbEUljE_ZNSN_ISO_Lb1ESQ_SR_SQ_SR_SV_EESW_SX_SY_SZ_S13_S14_S15_S18_S19_jS1A_jS1B_S1B_jjS1D_bEUljE0_EEESW_SX_SY_S15_S19_S1B_T6_T7_T9_mT8_S1D_bDpT10_ENKUlT_T0_E_clISt17integral_constantIbLb0EES1Q_IbLb1EEEEDaS1M_S1N_EUlS1M_E_NS1_11comp_targetILNS1_3genE10ELNS1_11target_archE1200ELNS1_3gpuE4ELNS1_3repE0EEENS1_30default_config_static_selectorELNS0_4arch9wavefront6targetE0EEEvSZ_.kd
    .uniform_work_group_size: 1
    .uses_dynamic_stack: false
    .vgpr_count:     0
    .vgpr_spill_count: 0
    .wavefront_size: 32
    .workgroup_processor_mode: 1
  - .args:
      - .offset:         0
        .size:           184
        .value_kind:     by_value
    .group_segment_fixed_size: 0
    .kernarg_segment_align: 8
    .kernarg_segment_size: 184
    .language:       OpenCL C
    .language_version:
      - 2
      - 0
    .max_flat_workgroup_size: 256
    .name:           _ZN7rocprim17ROCPRIM_400000_NS6detail17trampoline_kernelINS0_13select_configILj256ELj13ELNS0_17block_load_methodE3ELS4_3ELS4_3ELNS0_20block_scan_algorithmE0ELj4294967295EEENS1_25partition_config_selectorILNS1_17partition_subalgoE4EjNS0_10empty_typeEbEEZZNS1_14partition_implILS8_4ELb0ES6_15HIP_vector_typeIjLj2EENS0_17counting_iteratorIjlEEPS9_SG_NS0_5tupleIJPjSI_NS0_16reverse_iteratorISI_EEEEENSH_IJSG_SG_SG_EEES9_SI_JZNS1_25segmented_radix_sort_implINS0_14default_configELb1EPKlPlSQ_SR_N2at6native12_GLOBAL__N_18offset_tEEE10hipError_tPvRmT1_PNSt15iterator_traitsISZ_E10value_typeET2_T3_PNS10_IS15_E10value_typeET4_jRbjT5_S1B_jjP12ihipStream_tbEUljE_ZNSN_ISO_Lb1ESQ_SR_SQ_SR_SV_EESW_SX_SY_SZ_S13_S14_S15_S18_S19_jS1A_jS1B_S1B_jjS1D_bEUljE0_EEESW_SX_SY_S15_S19_S1B_T6_T7_T9_mT8_S1D_bDpT10_ENKUlT_T0_E_clISt17integral_constantIbLb0EES1Q_IbLb1EEEEDaS1M_S1N_EUlS1M_E_NS1_11comp_targetILNS1_3genE9ELNS1_11target_archE1100ELNS1_3gpuE3ELNS1_3repE0EEENS1_30default_config_static_selectorELNS0_4arch9wavefront6targetE0EEEvSZ_
    .private_segment_fixed_size: 0
    .sgpr_count:     0
    .sgpr_spill_count: 0
    .symbol:         _ZN7rocprim17ROCPRIM_400000_NS6detail17trampoline_kernelINS0_13select_configILj256ELj13ELNS0_17block_load_methodE3ELS4_3ELS4_3ELNS0_20block_scan_algorithmE0ELj4294967295EEENS1_25partition_config_selectorILNS1_17partition_subalgoE4EjNS0_10empty_typeEbEEZZNS1_14partition_implILS8_4ELb0ES6_15HIP_vector_typeIjLj2EENS0_17counting_iteratorIjlEEPS9_SG_NS0_5tupleIJPjSI_NS0_16reverse_iteratorISI_EEEEENSH_IJSG_SG_SG_EEES9_SI_JZNS1_25segmented_radix_sort_implINS0_14default_configELb1EPKlPlSQ_SR_N2at6native12_GLOBAL__N_18offset_tEEE10hipError_tPvRmT1_PNSt15iterator_traitsISZ_E10value_typeET2_T3_PNS10_IS15_E10value_typeET4_jRbjT5_S1B_jjP12ihipStream_tbEUljE_ZNSN_ISO_Lb1ESQ_SR_SQ_SR_SV_EESW_SX_SY_SZ_S13_S14_S15_S18_S19_jS1A_jS1B_S1B_jjS1D_bEUljE0_EEESW_SX_SY_S15_S19_S1B_T6_T7_T9_mT8_S1D_bDpT10_ENKUlT_T0_E_clISt17integral_constantIbLb0EES1Q_IbLb1EEEEDaS1M_S1N_EUlS1M_E_NS1_11comp_targetILNS1_3genE9ELNS1_11target_archE1100ELNS1_3gpuE3ELNS1_3repE0EEENS1_30default_config_static_selectorELNS0_4arch9wavefront6targetE0EEEvSZ_.kd
    .uniform_work_group_size: 1
    .uses_dynamic_stack: false
    .vgpr_count:     0
    .vgpr_spill_count: 0
    .wavefront_size: 32
    .workgroup_processor_mode: 1
  - .args:
      - .offset:         0
        .size:           184
        .value_kind:     by_value
    .group_segment_fixed_size: 13328
    .kernarg_segment_align: 8
    .kernarg_segment_size: 184
    .language:       OpenCL C
    .language_version:
      - 2
      - 0
    .max_flat_workgroup_size: 256
    .name:           _ZN7rocprim17ROCPRIM_400000_NS6detail17trampoline_kernelINS0_13select_configILj256ELj13ELNS0_17block_load_methodE3ELS4_3ELS4_3ELNS0_20block_scan_algorithmE0ELj4294967295EEENS1_25partition_config_selectorILNS1_17partition_subalgoE4EjNS0_10empty_typeEbEEZZNS1_14partition_implILS8_4ELb0ES6_15HIP_vector_typeIjLj2EENS0_17counting_iteratorIjlEEPS9_SG_NS0_5tupleIJPjSI_NS0_16reverse_iteratorISI_EEEEENSH_IJSG_SG_SG_EEES9_SI_JZNS1_25segmented_radix_sort_implINS0_14default_configELb1EPKlPlSQ_SR_N2at6native12_GLOBAL__N_18offset_tEEE10hipError_tPvRmT1_PNSt15iterator_traitsISZ_E10value_typeET2_T3_PNS10_IS15_E10value_typeET4_jRbjT5_S1B_jjP12ihipStream_tbEUljE_ZNSN_ISO_Lb1ESQ_SR_SQ_SR_SV_EESW_SX_SY_SZ_S13_S14_S15_S18_S19_jS1A_jS1B_S1B_jjS1D_bEUljE0_EEESW_SX_SY_S15_S19_S1B_T6_T7_T9_mT8_S1D_bDpT10_ENKUlT_T0_E_clISt17integral_constantIbLb0EES1Q_IbLb1EEEEDaS1M_S1N_EUlS1M_E_NS1_11comp_targetILNS1_3genE8ELNS1_11target_archE1030ELNS1_3gpuE2ELNS1_3repE0EEENS1_30default_config_static_selectorELNS0_4arch9wavefront6targetE0EEEvSZ_
    .private_segment_fixed_size: 0
    .sgpr_count:     57
    .sgpr_spill_count: 0
    .symbol:         _ZN7rocprim17ROCPRIM_400000_NS6detail17trampoline_kernelINS0_13select_configILj256ELj13ELNS0_17block_load_methodE3ELS4_3ELS4_3ELNS0_20block_scan_algorithmE0ELj4294967295EEENS1_25partition_config_selectorILNS1_17partition_subalgoE4EjNS0_10empty_typeEbEEZZNS1_14partition_implILS8_4ELb0ES6_15HIP_vector_typeIjLj2EENS0_17counting_iteratorIjlEEPS9_SG_NS0_5tupleIJPjSI_NS0_16reverse_iteratorISI_EEEEENSH_IJSG_SG_SG_EEES9_SI_JZNS1_25segmented_radix_sort_implINS0_14default_configELb1EPKlPlSQ_SR_N2at6native12_GLOBAL__N_18offset_tEEE10hipError_tPvRmT1_PNSt15iterator_traitsISZ_E10value_typeET2_T3_PNS10_IS15_E10value_typeET4_jRbjT5_S1B_jjP12ihipStream_tbEUljE_ZNSN_ISO_Lb1ESQ_SR_SQ_SR_SV_EESW_SX_SY_SZ_S13_S14_S15_S18_S19_jS1A_jS1B_S1B_jjS1D_bEUljE0_EEESW_SX_SY_S15_S19_S1B_T6_T7_T9_mT8_S1D_bDpT10_ENKUlT_T0_E_clISt17integral_constantIbLb0EES1Q_IbLb1EEEEDaS1M_S1N_EUlS1M_E_NS1_11comp_targetILNS1_3genE8ELNS1_11target_archE1030ELNS1_3gpuE2ELNS1_3repE0EEENS1_30default_config_static_selectorELNS0_4arch9wavefront6targetE0EEEvSZ_.kd
    .uniform_work_group_size: 1
    .uses_dynamic_stack: false
    .vgpr_count:     87
    .vgpr_spill_count: 0
    .wavefront_size: 32
    .workgroup_processor_mode: 1
  - .args:
      - .offset:         0
        .size:           144
        .value_kind:     by_value
    .group_segment_fixed_size: 0
    .kernarg_segment_align: 8
    .kernarg_segment_size: 144
    .language:       OpenCL C
    .language_version:
      - 2
      - 0
    .max_flat_workgroup_size: 256
    .name:           _ZN7rocprim17ROCPRIM_400000_NS6detail17trampoline_kernelINS0_13select_configILj256ELj13ELNS0_17block_load_methodE3ELS4_3ELS4_3ELNS0_20block_scan_algorithmE0ELj4294967295EEENS1_25partition_config_selectorILNS1_17partition_subalgoE3EjNS0_10empty_typeEbEEZZNS1_14partition_implILS8_3ELb0ES6_jNS0_17counting_iteratorIjlEEPS9_SE_NS0_5tupleIJPjSE_EEENSF_IJSE_SE_EEES9_SG_JZNS1_25segmented_radix_sort_implINS0_14default_configELb1EPKlPlSM_SN_N2at6native12_GLOBAL__N_18offset_tEEE10hipError_tPvRmT1_PNSt15iterator_traitsISV_E10value_typeET2_T3_PNSW_IS11_E10value_typeET4_jRbjT5_S17_jjP12ihipStream_tbEUljE_EEESS_ST_SU_S11_S15_S17_T6_T7_T9_mT8_S19_bDpT10_ENKUlT_T0_E_clISt17integral_constantIbLb0EES1M_EEDaS1H_S1I_EUlS1H_E_NS1_11comp_targetILNS1_3genE0ELNS1_11target_archE4294967295ELNS1_3gpuE0ELNS1_3repE0EEENS1_30default_config_static_selectorELNS0_4arch9wavefront6targetE0EEEvSV_
    .private_segment_fixed_size: 0
    .sgpr_count:     0
    .sgpr_spill_count: 0
    .symbol:         _ZN7rocprim17ROCPRIM_400000_NS6detail17trampoline_kernelINS0_13select_configILj256ELj13ELNS0_17block_load_methodE3ELS4_3ELS4_3ELNS0_20block_scan_algorithmE0ELj4294967295EEENS1_25partition_config_selectorILNS1_17partition_subalgoE3EjNS0_10empty_typeEbEEZZNS1_14partition_implILS8_3ELb0ES6_jNS0_17counting_iteratorIjlEEPS9_SE_NS0_5tupleIJPjSE_EEENSF_IJSE_SE_EEES9_SG_JZNS1_25segmented_radix_sort_implINS0_14default_configELb1EPKlPlSM_SN_N2at6native12_GLOBAL__N_18offset_tEEE10hipError_tPvRmT1_PNSt15iterator_traitsISV_E10value_typeET2_T3_PNSW_IS11_E10value_typeET4_jRbjT5_S17_jjP12ihipStream_tbEUljE_EEESS_ST_SU_S11_S15_S17_T6_T7_T9_mT8_S19_bDpT10_ENKUlT_T0_E_clISt17integral_constantIbLb0EES1M_EEDaS1H_S1I_EUlS1H_E_NS1_11comp_targetILNS1_3genE0ELNS1_11target_archE4294967295ELNS1_3gpuE0ELNS1_3repE0EEENS1_30default_config_static_selectorELNS0_4arch9wavefront6targetE0EEEvSV_.kd
    .uniform_work_group_size: 1
    .uses_dynamic_stack: false
    .vgpr_count:     0
    .vgpr_spill_count: 0
    .wavefront_size: 32
    .workgroup_processor_mode: 1
  - .args:
      - .offset:         0
        .size:           144
        .value_kind:     by_value
    .group_segment_fixed_size: 0
    .kernarg_segment_align: 8
    .kernarg_segment_size: 144
    .language:       OpenCL C
    .language_version:
      - 2
      - 0
    .max_flat_workgroup_size: 256
    .name:           _ZN7rocprim17ROCPRIM_400000_NS6detail17trampoline_kernelINS0_13select_configILj256ELj13ELNS0_17block_load_methodE3ELS4_3ELS4_3ELNS0_20block_scan_algorithmE0ELj4294967295EEENS1_25partition_config_selectorILNS1_17partition_subalgoE3EjNS0_10empty_typeEbEEZZNS1_14partition_implILS8_3ELb0ES6_jNS0_17counting_iteratorIjlEEPS9_SE_NS0_5tupleIJPjSE_EEENSF_IJSE_SE_EEES9_SG_JZNS1_25segmented_radix_sort_implINS0_14default_configELb1EPKlPlSM_SN_N2at6native12_GLOBAL__N_18offset_tEEE10hipError_tPvRmT1_PNSt15iterator_traitsISV_E10value_typeET2_T3_PNSW_IS11_E10value_typeET4_jRbjT5_S17_jjP12ihipStream_tbEUljE_EEESS_ST_SU_S11_S15_S17_T6_T7_T9_mT8_S19_bDpT10_ENKUlT_T0_E_clISt17integral_constantIbLb0EES1M_EEDaS1H_S1I_EUlS1H_E_NS1_11comp_targetILNS1_3genE5ELNS1_11target_archE942ELNS1_3gpuE9ELNS1_3repE0EEENS1_30default_config_static_selectorELNS0_4arch9wavefront6targetE0EEEvSV_
    .private_segment_fixed_size: 0
    .sgpr_count:     0
    .sgpr_spill_count: 0
    .symbol:         _ZN7rocprim17ROCPRIM_400000_NS6detail17trampoline_kernelINS0_13select_configILj256ELj13ELNS0_17block_load_methodE3ELS4_3ELS4_3ELNS0_20block_scan_algorithmE0ELj4294967295EEENS1_25partition_config_selectorILNS1_17partition_subalgoE3EjNS0_10empty_typeEbEEZZNS1_14partition_implILS8_3ELb0ES6_jNS0_17counting_iteratorIjlEEPS9_SE_NS0_5tupleIJPjSE_EEENSF_IJSE_SE_EEES9_SG_JZNS1_25segmented_radix_sort_implINS0_14default_configELb1EPKlPlSM_SN_N2at6native12_GLOBAL__N_18offset_tEEE10hipError_tPvRmT1_PNSt15iterator_traitsISV_E10value_typeET2_T3_PNSW_IS11_E10value_typeET4_jRbjT5_S17_jjP12ihipStream_tbEUljE_EEESS_ST_SU_S11_S15_S17_T6_T7_T9_mT8_S19_bDpT10_ENKUlT_T0_E_clISt17integral_constantIbLb0EES1M_EEDaS1H_S1I_EUlS1H_E_NS1_11comp_targetILNS1_3genE5ELNS1_11target_archE942ELNS1_3gpuE9ELNS1_3repE0EEENS1_30default_config_static_selectorELNS0_4arch9wavefront6targetE0EEEvSV_.kd
    .uniform_work_group_size: 1
    .uses_dynamic_stack: false
    .vgpr_count:     0
    .vgpr_spill_count: 0
    .wavefront_size: 32
    .workgroup_processor_mode: 1
  - .args:
      - .offset:         0
        .size:           144
        .value_kind:     by_value
    .group_segment_fixed_size: 0
    .kernarg_segment_align: 8
    .kernarg_segment_size: 144
    .language:       OpenCL C
    .language_version:
      - 2
      - 0
    .max_flat_workgroup_size: 256
    .name:           _ZN7rocprim17ROCPRIM_400000_NS6detail17trampoline_kernelINS0_13select_configILj256ELj13ELNS0_17block_load_methodE3ELS4_3ELS4_3ELNS0_20block_scan_algorithmE0ELj4294967295EEENS1_25partition_config_selectorILNS1_17partition_subalgoE3EjNS0_10empty_typeEbEEZZNS1_14partition_implILS8_3ELb0ES6_jNS0_17counting_iteratorIjlEEPS9_SE_NS0_5tupleIJPjSE_EEENSF_IJSE_SE_EEES9_SG_JZNS1_25segmented_radix_sort_implINS0_14default_configELb1EPKlPlSM_SN_N2at6native12_GLOBAL__N_18offset_tEEE10hipError_tPvRmT1_PNSt15iterator_traitsISV_E10value_typeET2_T3_PNSW_IS11_E10value_typeET4_jRbjT5_S17_jjP12ihipStream_tbEUljE_EEESS_ST_SU_S11_S15_S17_T6_T7_T9_mT8_S19_bDpT10_ENKUlT_T0_E_clISt17integral_constantIbLb0EES1M_EEDaS1H_S1I_EUlS1H_E_NS1_11comp_targetILNS1_3genE4ELNS1_11target_archE910ELNS1_3gpuE8ELNS1_3repE0EEENS1_30default_config_static_selectorELNS0_4arch9wavefront6targetE0EEEvSV_
    .private_segment_fixed_size: 0
    .sgpr_count:     0
    .sgpr_spill_count: 0
    .symbol:         _ZN7rocprim17ROCPRIM_400000_NS6detail17trampoline_kernelINS0_13select_configILj256ELj13ELNS0_17block_load_methodE3ELS4_3ELS4_3ELNS0_20block_scan_algorithmE0ELj4294967295EEENS1_25partition_config_selectorILNS1_17partition_subalgoE3EjNS0_10empty_typeEbEEZZNS1_14partition_implILS8_3ELb0ES6_jNS0_17counting_iteratorIjlEEPS9_SE_NS0_5tupleIJPjSE_EEENSF_IJSE_SE_EEES9_SG_JZNS1_25segmented_radix_sort_implINS0_14default_configELb1EPKlPlSM_SN_N2at6native12_GLOBAL__N_18offset_tEEE10hipError_tPvRmT1_PNSt15iterator_traitsISV_E10value_typeET2_T3_PNSW_IS11_E10value_typeET4_jRbjT5_S17_jjP12ihipStream_tbEUljE_EEESS_ST_SU_S11_S15_S17_T6_T7_T9_mT8_S19_bDpT10_ENKUlT_T0_E_clISt17integral_constantIbLb0EES1M_EEDaS1H_S1I_EUlS1H_E_NS1_11comp_targetILNS1_3genE4ELNS1_11target_archE910ELNS1_3gpuE8ELNS1_3repE0EEENS1_30default_config_static_selectorELNS0_4arch9wavefront6targetE0EEEvSV_.kd
    .uniform_work_group_size: 1
    .uses_dynamic_stack: false
    .vgpr_count:     0
    .vgpr_spill_count: 0
    .wavefront_size: 32
    .workgroup_processor_mode: 1
  - .args:
      - .offset:         0
        .size:           144
        .value_kind:     by_value
    .group_segment_fixed_size: 0
    .kernarg_segment_align: 8
    .kernarg_segment_size: 144
    .language:       OpenCL C
    .language_version:
      - 2
      - 0
    .max_flat_workgroup_size: 256
    .name:           _ZN7rocprim17ROCPRIM_400000_NS6detail17trampoline_kernelINS0_13select_configILj256ELj13ELNS0_17block_load_methodE3ELS4_3ELS4_3ELNS0_20block_scan_algorithmE0ELj4294967295EEENS1_25partition_config_selectorILNS1_17partition_subalgoE3EjNS0_10empty_typeEbEEZZNS1_14partition_implILS8_3ELb0ES6_jNS0_17counting_iteratorIjlEEPS9_SE_NS0_5tupleIJPjSE_EEENSF_IJSE_SE_EEES9_SG_JZNS1_25segmented_radix_sort_implINS0_14default_configELb1EPKlPlSM_SN_N2at6native12_GLOBAL__N_18offset_tEEE10hipError_tPvRmT1_PNSt15iterator_traitsISV_E10value_typeET2_T3_PNSW_IS11_E10value_typeET4_jRbjT5_S17_jjP12ihipStream_tbEUljE_EEESS_ST_SU_S11_S15_S17_T6_T7_T9_mT8_S19_bDpT10_ENKUlT_T0_E_clISt17integral_constantIbLb0EES1M_EEDaS1H_S1I_EUlS1H_E_NS1_11comp_targetILNS1_3genE3ELNS1_11target_archE908ELNS1_3gpuE7ELNS1_3repE0EEENS1_30default_config_static_selectorELNS0_4arch9wavefront6targetE0EEEvSV_
    .private_segment_fixed_size: 0
    .sgpr_count:     0
    .sgpr_spill_count: 0
    .symbol:         _ZN7rocprim17ROCPRIM_400000_NS6detail17trampoline_kernelINS0_13select_configILj256ELj13ELNS0_17block_load_methodE3ELS4_3ELS4_3ELNS0_20block_scan_algorithmE0ELj4294967295EEENS1_25partition_config_selectorILNS1_17partition_subalgoE3EjNS0_10empty_typeEbEEZZNS1_14partition_implILS8_3ELb0ES6_jNS0_17counting_iteratorIjlEEPS9_SE_NS0_5tupleIJPjSE_EEENSF_IJSE_SE_EEES9_SG_JZNS1_25segmented_radix_sort_implINS0_14default_configELb1EPKlPlSM_SN_N2at6native12_GLOBAL__N_18offset_tEEE10hipError_tPvRmT1_PNSt15iterator_traitsISV_E10value_typeET2_T3_PNSW_IS11_E10value_typeET4_jRbjT5_S17_jjP12ihipStream_tbEUljE_EEESS_ST_SU_S11_S15_S17_T6_T7_T9_mT8_S19_bDpT10_ENKUlT_T0_E_clISt17integral_constantIbLb0EES1M_EEDaS1H_S1I_EUlS1H_E_NS1_11comp_targetILNS1_3genE3ELNS1_11target_archE908ELNS1_3gpuE7ELNS1_3repE0EEENS1_30default_config_static_selectorELNS0_4arch9wavefront6targetE0EEEvSV_.kd
    .uniform_work_group_size: 1
    .uses_dynamic_stack: false
    .vgpr_count:     0
    .vgpr_spill_count: 0
    .wavefront_size: 32
    .workgroup_processor_mode: 1
  - .args:
      - .offset:         0
        .size:           144
        .value_kind:     by_value
    .group_segment_fixed_size: 0
    .kernarg_segment_align: 8
    .kernarg_segment_size: 144
    .language:       OpenCL C
    .language_version:
      - 2
      - 0
    .max_flat_workgroup_size: 256
    .name:           _ZN7rocprim17ROCPRIM_400000_NS6detail17trampoline_kernelINS0_13select_configILj256ELj13ELNS0_17block_load_methodE3ELS4_3ELS4_3ELNS0_20block_scan_algorithmE0ELj4294967295EEENS1_25partition_config_selectorILNS1_17partition_subalgoE3EjNS0_10empty_typeEbEEZZNS1_14partition_implILS8_3ELb0ES6_jNS0_17counting_iteratorIjlEEPS9_SE_NS0_5tupleIJPjSE_EEENSF_IJSE_SE_EEES9_SG_JZNS1_25segmented_radix_sort_implINS0_14default_configELb1EPKlPlSM_SN_N2at6native12_GLOBAL__N_18offset_tEEE10hipError_tPvRmT1_PNSt15iterator_traitsISV_E10value_typeET2_T3_PNSW_IS11_E10value_typeET4_jRbjT5_S17_jjP12ihipStream_tbEUljE_EEESS_ST_SU_S11_S15_S17_T6_T7_T9_mT8_S19_bDpT10_ENKUlT_T0_E_clISt17integral_constantIbLb0EES1M_EEDaS1H_S1I_EUlS1H_E_NS1_11comp_targetILNS1_3genE2ELNS1_11target_archE906ELNS1_3gpuE6ELNS1_3repE0EEENS1_30default_config_static_selectorELNS0_4arch9wavefront6targetE0EEEvSV_
    .private_segment_fixed_size: 0
    .sgpr_count:     0
    .sgpr_spill_count: 0
    .symbol:         _ZN7rocprim17ROCPRIM_400000_NS6detail17trampoline_kernelINS0_13select_configILj256ELj13ELNS0_17block_load_methodE3ELS4_3ELS4_3ELNS0_20block_scan_algorithmE0ELj4294967295EEENS1_25partition_config_selectorILNS1_17partition_subalgoE3EjNS0_10empty_typeEbEEZZNS1_14partition_implILS8_3ELb0ES6_jNS0_17counting_iteratorIjlEEPS9_SE_NS0_5tupleIJPjSE_EEENSF_IJSE_SE_EEES9_SG_JZNS1_25segmented_radix_sort_implINS0_14default_configELb1EPKlPlSM_SN_N2at6native12_GLOBAL__N_18offset_tEEE10hipError_tPvRmT1_PNSt15iterator_traitsISV_E10value_typeET2_T3_PNSW_IS11_E10value_typeET4_jRbjT5_S17_jjP12ihipStream_tbEUljE_EEESS_ST_SU_S11_S15_S17_T6_T7_T9_mT8_S19_bDpT10_ENKUlT_T0_E_clISt17integral_constantIbLb0EES1M_EEDaS1H_S1I_EUlS1H_E_NS1_11comp_targetILNS1_3genE2ELNS1_11target_archE906ELNS1_3gpuE6ELNS1_3repE0EEENS1_30default_config_static_selectorELNS0_4arch9wavefront6targetE0EEEvSV_.kd
    .uniform_work_group_size: 1
    .uses_dynamic_stack: false
    .vgpr_count:     0
    .vgpr_spill_count: 0
    .wavefront_size: 32
    .workgroup_processor_mode: 1
  - .args:
      - .offset:         0
        .size:           144
        .value_kind:     by_value
    .group_segment_fixed_size: 0
    .kernarg_segment_align: 8
    .kernarg_segment_size: 144
    .language:       OpenCL C
    .language_version:
      - 2
      - 0
    .max_flat_workgroup_size: 256
    .name:           _ZN7rocprim17ROCPRIM_400000_NS6detail17trampoline_kernelINS0_13select_configILj256ELj13ELNS0_17block_load_methodE3ELS4_3ELS4_3ELNS0_20block_scan_algorithmE0ELj4294967295EEENS1_25partition_config_selectorILNS1_17partition_subalgoE3EjNS0_10empty_typeEbEEZZNS1_14partition_implILS8_3ELb0ES6_jNS0_17counting_iteratorIjlEEPS9_SE_NS0_5tupleIJPjSE_EEENSF_IJSE_SE_EEES9_SG_JZNS1_25segmented_radix_sort_implINS0_14default_configELb1EPKlPlSM_SN_N2at6native12_GLOBAL__N_18offset_tEEE10hipError_tPvRmT1_PNSt15iterator_traitsISV_E10value_typeET2_T3_PNSW_IS11_E10value_typeET4_jRbjT5_S17_jjP12ihipStream_tbEUljE_EEESS_ST_SU_S11_S15_S17_T6_T7_T9_mT8_S19_bDpT10_ENKUlT_T0_E_clISt17integral_constantIbLb0EES1M_EEDaS1H_S1I_EUlS1H_E_NS1_11comp_targetILNS1_3genE10ELNS1_11target_archE1200ELNS1_3gpuE4ELNS1_3repE0EEENS1_30default_config_static_selectorELNS0_4arch9wavefront6targetE0EEEvSV_
    .private_segment_fixed_size: 0
    .sgpr_count:     0
    .sgpr_spill_count: 0
    .symbol:         _ZN7rocprim17ROCPRIM_400000_NS6detail17trampoline_kernelINS0_13select_configILj256ELj13ELNS0_17block_load_methodE3ELS4_3ELS4_3ELNS0_20block_scan_algorithmE0ELj4294967295EEENS1_25partition_config_selectorILNS1_17partition_subalgoE3EjNS0_10empty_typeEbEEZZNS1_14partition_implILS8_3ELb0ES6_jNS0_17counting_iteratorIjlEEPS9_SE_NS0_5tupleIJPjSE_EEENSF_IJSE_SE_EEES9_SG_JZNS1_25segmented_radix_sort_implINS0_14default_configELb1EPKlPlSM_SN_N2at6native12_GLOBAL__N_18offset_tEEE10hipError_tPvRmT1_PNSt15iterator_traitsISV_E10value_typeET2_T3_PNSW_IS11_E10value_typeET4_jRbjT5_S17_jjP12ihipStream_tbEUljE_EEESS_ST_SU_S11_S15_S17_T6_T7_T9_mT8_S19_bDpT10_ENKUlT_T0_E_clISt17integral_constantIbLb0EES1M_EEDaS1H_S1I_EUlS1H_E_NS1_11comp_targetILNS1_3genE10ELNS1_11target_archE1200ELNS1_3gpuE4ELNS1_3repE0EEENS1_30default_config_static_selectorELNS0_4arch9wavefront6targetE0EEEvSV_.kd
    .uniform_work_group_size: 1
    .uses_dynamic_stack: false
    .vgpr_count:     0
    .vgpr_spill_count: 0
    .wavefront_size: 32
    .workgroup_processor_mode: 1
  - .args:
      - .offset:         0
        .size:           144
        .value_kind:     by_value
    .group_segment_fixed_size: 0
    .kernarg_segment_align: 8
    .kernarg_segment_size: 144
    .language:       OpenCL C
    .language_version:
      - 2
      - 0
    .max_flat_workgroup_size: 256
    .name:           _ZN7rocprim17ROCPRIM_400000_NS6detail17trampoline_kernelINS0_13select_configILj256ELj13ELNS0_17block_load_methodE3ELS4_3ELS4_3ELNS0_20block_scan_algorithmE0ELj4294967295EEENS1_25partition_config_selectorILNS1_17partition_subalgoE3EjNS0_10empty_typeEbEEZZNS1_14partition_implILS8_3ELb0ES6_jNS0_17counting_iteratorIjlEEPS9_SE_NS0_5tupleIJPjSE_EEENSF_IJSE_SE_EEES9_SG_JZNS1_25segmented_radix_sort_implINS0_14default_configELb1EPKlPlSM_SN_N2at6native12_GLOBAL__N_18offset_tEEE10hipError_tPvRmT1_PNSt15iterator_traitsISV_E10value_typeET2_T3_PNSW_IS11_E10value_typeET4_jRbjT5_S17_jjP12ihipStream_tbEUljE_EEESS_ST_SU_S11_S15_S17_T6_T7_T9_mT8_S19_bDpT10_ENKUlT_T0_E_clISt17integral_constantIbLb0EES1M_EEDaS1H_S1I_EUlS1H_E_NS1_11comp_targetILNS1_3genE9ELNS1_11target_archE1100ELNS1_3gpuE3ELNS1_3repE0EEENS1_30default_config_static_selectorELNS0_4arch9wavefront6targetE0EEEvSV_
    .private_segment_fixed_size: 0
    .sgpr_count:     0
    .sgpr_spill_count: 0
    .symbol:         _ZN7rocprim17ROCPRIM_400000_NS6detail17trampoline_kernelINS0_13select_configILj256ELj13ELNS0_17block_load_methodE3ELS4_3ELS4_3ELNS0_20block_scan_algorithmE0ELj4294967295EEENS1_25partition_config_selectorILNS1_17partition_subalgoE3EjNS0_10empty_typeEbEEZZNS1_14partition_implILS8_3ELb0ES6_jNS0_17counting_iteratorIjlEEPS9_SE_NS0_5tupleIJPjSE_EEENSF_IJSE_SE_EEES9_SG_JZNS1_25segmented_radix_sort_implINS0_14default_configELb1EPKlPlSM_SN_N2at6native12_GLOBAL__N_18offset_tEEE10hipError_tPvRmT1_PNSt15iterator_traitsISV_E10value_typeET2_T3_PNSW_IS11_E10value_typeET4_jRbjT5_S17_jjP12ihipStream_tbEUljE_EEESS_ST_SU_S11_S15_S17_T6_T7_T9_mT8_S19_bDpT10_ENKUlT_T0_E_clISt17integral_constantIbLb0EES1M_EEDaS1H_S1I_EUlS1H_E_NS1_11comp_targetILNS1_3genE9ELNS1_11target_archE1100ELNS1_3gpuE3ELNS1_3repE0EEENS1_30default_config_static_selectorELNS0_4arch9wavefront6targetE0EEEvSV_.kd
    .uniform_work_group_size: 1
    .uses_dynamic_stack: false
    .vgpr_count:     0
    .vgpr_spill_count: 0
    .wavefront_size: 32
    .workgroup_processor_mode: 1
  - .args:
      - .offset:         0
        .size:           144
        .value_kind:     by_value
    .group_segment_fixed_size: 13320
    .kernarg_segment_align: 8
    .kernarg_segment_size: 144
    .language:       OpenCL C
    .language_version:
      - 2
      - 0
    .max_flat_workgroup_size: 256
    .name:           _ZN7rocprim17ROCPRIM_400000_NS6detail17trampoline_kernelINS0_13select_configILj256ELj13ELNS0_17block_load_methodE3ELS4_3ELS4_3ELNS0_20block_scan_algorithmE0ELj4294967295EEENS1_25partition_config_selectorILNS1_17partition_subalgoE3EjNS0_10empty_typeEbEEZZNS1_14partition_implILS8_3ELb0ES6_jNS0_17counting_iteratorIjlEEPS9_SE_NS0_5tupleIJPjSE_EEENSF_IJSE_SE_EEES9_SG_JZNS1_25segmented_radix_sort_implINS0_14default_configELb1EPKlPlSM_SN_N2at6native12_GLOBAL__N_18offset_tEEE10hipError_tPvRmT1_PNSt15iterator_traitsISV_E10value_typeET2_T3_PNSW_IS11_E10value_typeET4_jRbjT5_S17_jjP12ihipStream_tbEUljE_EEESS_ST_SU_S11_S15_S17_T6_T7_T9_mT8_S19_bDpT10_ENKUlT_T0_E_clISt17integral_constantIbLb0EES1M_EEDaS1H_S1I_EUlS1H_E_NS1_11comp_targetILNS1_3genE8ELNS1_11target_archE1030ELNS1_3gpuE2ELNS1_3repE0EEENS1_30default_config_static_selectorELNS0_4arch9wavefront6targetE0EEEvSV_
    .private_segment_fixed_size: 0
    .sgpr_count:     29
    .sgpr_spill_count: 0
    .symbol:         _ZN7rocprim17ROCPRIM_400000_NS6detail17trampoline_kernelINS0_13select_configILj256ELj13ELNS0_17block_load_methodE3ELS4_3ELS4_3ELNS0_20block_scan_algorithmE0ELj4294967295EEENS1_25partition_config_selectorILNS1_17partition_subalgoE3EjNS0_10empty_typeEbEEZZNS1_14partition_implILS8_3ELb0ES6_jNS0_17counting_iteratorIjlEEPS9_SE_NS0_5tupleIJPjSE_EEENSF_IJSE_SE_EEES9_SG_JZNS1_25segmented_radix_sort_implINS0_14default_configELb1EPKlPlSM_SN_N2at6native12_GLOBAL__N_18offset_tEEE10hipError_tPvRmT1_PNSt15iterator_traitsISV_E10value_typeET2_T3_PNSW_IS11_E10value_typeET4_jRbjT5_S17_jjP12ihipStream_tbEUljE_EEESS_ST_SU_S11_S15_S17_T6_T7_T9_mT8_S19_bDpT10_ENKUlT_T0_E_clISt17integral_constantIbLb0EES1M_EEDaS1H_S1I_EUlS1H_E_NS1_11comp_targetILNS1_3genE8ELNS1_11target_archE1030ELNS1_3gpuE2ELNS1_3repE0EEENS1_30default_config_static_selectorELNS0_4arch9wavefront6targetE0EEEvSV_.kd
    .uniform_work_group_size: 1
    .uses_dynamic_stack: false
    .vgpr_count:     69
    .vgpr_spill_count: 0
    .wavefront_size: 32
    .workgroup_processor_mode: 1
  - .args:
      - .offset:         0
        .size:           152
        .value_kind:     by_value
    .group_segment_fixed_size: 0
    .kernarg_segment_align: 8
    .kernarg_segment_size: 152
    .language:       OpenCL C
    .language_version:
      - 2
      - 0
    .max_flat_workgroup_size: 256
    .name:           _ZN7rocprim17ROCPRIM_400000_NS6detail17trampoline_kernelINS0_13select_configILj256ELj13ELNS0_17block_load_methodE3ELS4_3ELS4_3ELNS0_20block_scan_algorithmE0ELj4294967295EEENS1_25partition_config_selectorILNS1_17partition_subalgoE3EjNS0_10empty_typeEbEEZZNS1_14partition_implILS8_3ELb0ES6_jNS0_17counting_iteratorIjlEEPS9_SE_NS0_5tupleIJPjSE_EEENSF_IJSE_SE_EEES9_SG_JZNS1_25segmented_radix_sort_implINS0_14default_configELb1EPKlPlSM_SN_N2at6native12_GLOBAL__N_18offset_tEEE10hipError_tPvRmT1_PNSt15iterator_traitsISV_E10value_typeET2_T3_PNSW_IS11_E10value_typeET4_jRbjT5_S17_jjP12ihipStream_tbEUljE_EEESS_ST_SU_S11_S15_S17_T6_T7_T9_mT8_S19_bDpT10_ENKUlT_T0_E_clISt17integral_constantIbLb1EES1M_EEDaS1H_S1I_EUlS1H_E_NS1_11comp_targetILNS1_3genE0ELNS1_11target_archE4294967295ELNS1_3gpuE0ELNS1_3repE0EEENS1_30default_config_static_selectorELNS0_4arch9wavefront6targetE0EEEvSV_
    .private_segment_fixed_size: 0
    .sgpr_count:     0
    .sgpr_spill_count: 0
    .symbol:         _ZN7rocprim17ROCPRIM_400000_NS6detail17trampoline_kernelINS0_13select_configILj256ELj13ELNS0_17block_load_methodE3ELS4_3ELS4_3ELNS0_20block_scan_algorithmE0ELj4294967295EEENS1_25partition_config_selectorILNS1_17partition_subalgoE3EjNS0_10empty_typeEbEEZZNS1_14partition_implILS8_3ELb0ES6_jNS0_17counting_iteratorIjlEEPS9_SE_NS0_5tupleIJPjSE_EEENSF_IJSE_SE_EEES9_SG_JZNS1_25segmented_radix_sort_implINS0_14default_configELb1EPKlPlSM_SN_N2at6native12_GLOBAL__N_18offset_tEEE10hipError_tPvRmT1_PNSt15iterator_traitsISV_E10value_typeET2_T3_PNSW_IS11_E10value_typeET4_jRbjT5_S17_jjP12ihipStream_tbEUljE_EEESS_ST_SU_S11_S15_S17_T6_T7_T9_mT8_S19_bDpT10_ENKUlT_T0_E_clISt17integral_constantIbLb1EES1M_EEDaS1H_S1I_EUlS1H_E_NS1_11comp_targetILNS1_3genE0ELNS1_11target_archE4294967295ELNS1_3gpuE0ELNS1_3repE0EEENS1_30default_config_static_selectorELNS0_4arch9wavefront6targetE0EEEvSV_.kd
    .uniform_work_group_size: 1
    .uses_dynamic_stack: false
    .vgpr_count:     0
    .vgpr_spill_count: 0
    .wavefront_size: 32
    .workgroup_processor_mode: 1
  - .args:
      - .offset:         0
        .size:           152
        .value_kind:     by_value
    .group_segment_fixed_size: 0
    .kernarg_segment_align: 8
    .kernarg_segment_size: 152
    .language:       OpenCL C
    .language_version:
      - 2
      - 0
    .max_flat_workgroup_size: 256
    .name:           _ZN7rocprim17ROCPRIM_400000_NS6detail17trampoline_kernelINS0_13select_configILj256ELj13ELNS0_17block_load_methodE3ELS4_3ELS4_3ELNS0_20block_scan_algorithmE0ELj4294967295EEENS1_25partition_config_selectorILNS1_17partition_subalgoE3EjNS0_10empty_typeEbEEZZNS1_14partition_implILS8_3ELb0ES6_jNS0_17counting_iteratorIjlEEPS9_SE_NS0_5tupleIJPjSE_EEENSF_IJSE_SE_EEES9_SG_JZNS1_25segmented_radix_sort_implINS0_14default_configELb1EPKlPlSM_SN_N2at6native12_GLOBAL__N_18offset_tEEE10hipError_tPvRmT1_PNSt15iterator_traitsISV_E10value_typeET2_T3_PNSW_IS11_E10value_typeET4_jRbjT5_S17_jjP12ihipStream_tbEUljE_EEESS_ST_SU_S11_S15_S17_T6_T7_T9_mT8_S19_bDpT10_ENKUlT_T0_E_clISt17integral_constantIbLb1EES1M_EEDaS1H_S1I_EUlS1H_E_NS1_11comp_targetILNS1_3genE5ELNS1_11target_archE942ELNS1_3gpuE9ELNS1_3repE0EEENS1_30default_config_static_selectorELNS0_4arch9wavefront6targetE0EEEvSV_
    .private_segment_fixed_size: 0
    .sgpr_count:     0
    .sgpr_spill_count: 0
    .symbol:         _ZN7rocprim17ROCPRIM_400000_NS6detail17trampoline_kernelINS0_13select_configILj256ELj13ELNS0_17block_load_methodE3ELS4_3ELS4_3ELNS0_20block_scan_algorithmE0ELj4294967295EEENS1_25partition_config_selectorILNS1_17partition_subalgoE3EjNS0_10empty_typeEbEEZZNS1_14partition_implILS8_3ELb0ES6_jNS0_17counting_iteratorIjlEEPS9_SE_NS0_5tupleIJPjSE_EEENSF_IJSE_SE_EEES9_SG_JZNS1_25segmented_radix_sort_implINS0_14default_configELb1EPKlPlSM_SN_N2at6native12_GLOBAL__N_18offset_tEEE10hipError_tPvRmT1_PNSt15iterator_traitsISV_E10value_typeET2_T3_PNSW_IS11_E10value_typeET4_jRbjT5_S17_jjP12ihipStream_tbEUljE_EEESS_ST_SU_S11_S15_S17_T6_T7_T9_mT8_S19_bDpT10_ENKUlT_T0_E_clISt17integral_constantIbLb1EES1M_EEDaS1H_S1I_EUlS1H_E_NS1_11comp_targetILNS1_3genE5ELNS1_11target_archE942ELNS1_3gpuE9ELNS1_3repE0EEENS1_30default_config_static_selectorELNS0_4arch9wavefront6targetE0EEEvSV_.kd
    .uniform_work_group_size: 1
    .uses_dynamic_stack: false
    .vgpr_count:     0
    .vgpr_spill_count: 0
    .wavefront_size: 32
    .workgroup_processor_mode: 1
  - .args:
      - .offset:         0
        .size:           152
        .value_kind:     by_value
    .group_segment_fixed_size: 0
    .kernarg_segment_align: 8
    .kernarg_segment_size: 152
    .language:       OpenCL C
    .language_version:
      - 2
      - 0
    .max_flat_workgroup_size: 256
    .name:           _ZN7rocprim17ROCPRIM_400000_NS6detail17trampoline_kernelINS0_13select_configILj256ELj13ELNS0_17block_load_methodE3ELS4_3ELS4_3ELNS0_20block_scan_algorithmE0ELj4294967295EEENS1_25partition_config_selectorILNS1_17partition_subalgoE3EjNS0_10empty_typeEbEEZZNS1_14partition_implILS8_3ELb0ES6_jNS0_17counting_iteratorIjlEEPS9_SE_NS0_5tupleIJPjSE_EEENSF_IJSE_SE_EEES9_SG_JZNS1_25segmented_radix_sort_implINS0_14default_configELb1EPKlPlSM_SN_N2at6native12_GLOBAL__N_18offset_tEEE10hipError_tPvRmT1_PNSt15iterator_traitsISV_E10value_typeET2_T3_PNSW_IS11_E10value_typeET4_jRbjT5_S17_jjP12ihipStream_tbEUljE_EEESS_ST_SU_S11_S15_S17_T6_T7_T9_mT8_S19_bDpT10_ENKUlT_T0_E_clISt17integral_constantIbLb1EES1M_EEDaS1H_S1I_EUlS1H_E_NS1_11comp_targetILNS1_3genE4ELNS1_11target_archE910ELNS1_3gpuE8ELNS1_3repE0EEENS1_30default_config_static_selectorELNS0_4arch9wavefront6targetE0EEEvSV_
    .private_segment_fixed_size: 0
    .sgpr_count:     0
    .sgpr_spill_count: 0
    .symbol:         _ZN7rocprim17ROCPRIM_400000_NS6detail17trampoline_kernelINS0_13select_configILj256ELj13ELNS0_17block_load_methodE3ELS4_3ELS4_3ELNS0_20block_scan_algorithmE0ELj4294967295EEENS1_25partition_config_selectorILNS1_17partition_subalgoE3EjNS0_10empty_typeEbEEZZNS1_14partition_implILS8_3ELb0ES6_jNS0_17counting_iteratorIjlEEPS9_SE_NS0_5tupleIJPjSE_EEENSF_IJSE_SE_EEES9_SG_JZNS1_25segmented_radix_sort_implINS0_14default_configELb1EPKlPlSM_SN_N2at6native12_GLOBAL__N_18offset_tEEE10hipError_tPvRmT1_PNSt15iterator_traitsISV_E10value_typeET2_T3_PNSW_IS11_E10value_typeET4_jRbjT5_S17_jjP12ihipStream_tbEUljE_EEESS_ST_SU_S11_S15_S17_T6_T7_T9_mT8_S19_bDpT10_ENKUlT_T0_E_clISt17integral_constantIbLb1EES1M_EEDaS1H_S1I_EUlS1H_E_NS1_11comp_targetILNS1_3genE4ELNS1_11target_archE910ELNS1_3gpuE8ELNS1_3repE0EEENS1_30default_config_static_selectorELNS0_4arch9wavefront6targetE0EEEvSV_.kd
    .uniform_work_group_size: 1
    .uses_dynamic_stack: false
    .vgpr_count:     0
    .vgpr_spill_count: 0
    .wavefront_size: 32
    .workgroup_processor_mode: 1
  - .args:
      - .offset:         0
        .size:           152
        .value_kind:     by_value
    .group_segment_fixed_size: 0
    .kernarg_segment_align: 8
    .kernarg_segment_size: 152
    .language:       OpenCL C
    .language_version:
      - 2
      - 0
    .max_flat_workgroup_size: 256
    .name:           _ZN7rocprim17ROCPRIM_400000_NS6detail17trampoline_kernelINS0_13select_configILj256ELj13ELNS0_17block_load_methodE3ELS4_3ELS4_3ELNS0_20block_scan_algorithmE0ELj4294967295EEENS1_25partition_config_selectorILNS1_17partition_subalgoE3EjNS0_10empty_typeEbEEZZNS1_14partition_implILS8_3ELb0ES6_jNS0_17counting_iteratorIjlEEPS9_SE_NS0_5tupleIJPjSE_EEENSF_IJSE_SE_EEES9_SG_JZNS1_25segmented_radix_sort_implINS0_14default_configELb1EPKlPlSM_SN_N2at6native12_GLOBAL__N_18offset_tEEE10hipError_tPvRmT1_PNSt15iterator_traitsISV_E10value_typeET2_T3_PNSW_IS11_E10value_typeET4_jRbjT5_S17_jjP12ihipStream_tbEUljE_EEESS_ST_SU_S11_S15_S17_T6_T7_T9_mT8_S19_bDpT10_ENKUlT_T0_E_clISt17integral_constantIbLb1EES1M_EEDaS1H_S1I_EUlS1H_E_NS1_11comp_targetILNS1_3genE3ELNS1_11target_archE908ELNS1_3gpuE7ELNS1_3repE0EEENS1_30default_config_static_selectorELNS0_4arch9wavefront6targetE0EEEvSV_
    .private_segment_fixed_size: 0
    .sgpr_count:     0
    .sgpr_spill_count: 0
    .symbol:         _ZN7rocprim17ROCPRIM_400000_NS6detail17trampoline_kernelINS0_13select_configILj256ELj13ELNS0_17block_load_methodE3ELS4_3ELS4_3ELNS0_20block_scan_algorithmE0ELj4294967295EEENS1_25partition_config_selectorILNS1_17partition_subalgoE3EjNS0_10empty_typeEbEEZZNS1_14partition_implILS8_3ELb0ES6_jNS0_17counting_iteratorIjlEEPS9_SE_NS0_5tupleIJPjSE_EEENSF_IJSE_SE_EEES9_SG_JZNS1_25segmented_radix_sort_implINS0_14default_configELb1EPKlPlSM_SN_N2at6native12_GLOBAL__N_18offset_tEEE10hipError_tPvRmT1_PNSt15iterator_traitsISV_E10value_typeET2_T3_PNSW_IS11_E10value_typeET4_jRbjT5_S17_jjP12ihipStream_tbEUljE_EEESS_ST_SU_S11_S15_S17_T6_T7_T9_mT8_S19_bDpT10_ENKUlT_T0_E_clISt17integral_constantIbLb1EES1M_EEDaS1H_S1I_EUlS1H_E_NS1_11comp_targetILNS1_3genE3ELNS1_11target_archE908ELNS1_3gpuE7ELNS1_3repE0EEENS1_30default_config_static_selectorELNS0_4arch9wavefront6targetE0EEEvSV_.kd
    .uniform_work_group_size: 1
    .uses_dynamic_stack: false
    .vgpr_count:     0
    .vgpr_spill_count: 0
    .wavefront_size: 32
    .workgroup_processor_mode: 1
  - .args:
      - .offset:         0
        .size:           152
        .value_kind:     by_value
    .group_segment_fixed_size: 0
    .kernarg_segment_align: 8
    .kernarg_segment_size: 152
    .language:       OpenCL C
    .language_version:
      - 2
      - 0
    .max_flat_workgroup_size: 256
    .name:           _ZN7rocprim17ROCPRIM_400000_NS6detail17trampoline_kernelINS0_13select_configILj256ELj13ELNS0_17block_load_methodE3ELS4_3ELS4_3ELNS0_20block_scan_algorithmE0ELj4294967295EEENS1_25partition_config_selectorILNS1_17partition_subalgoE3EjNS0_10empty_typeEbEEZZNS1_14partition_implILS8_3ELb0ES6_jNS0_17counting_iteratorIjlEEPS9_SE_NS0_5tupleIJPjSE_EEENSF_IJSE_SE_EEES9_SG_JZNS1_25segmented_radix_sort_implINS0_14default_configELb1EPKlPlSM_SN_N2at6native12_GLOBAL__N_18offset_tEEE10hipError_tPvRmT1_PNSt15iterator_traitsISV_E10value_typeET2_T3_PNSW_IS11_E10value_typeET4_jRbjT5_S17_jjP12ihipStream_tbEUljE_EEESS_ST_SU_S11_S15_S17_T6_T7_T9_mT8_S19_bDpT10_ENKUlT_T0_E_clISt17integral_constantIbLb1EES1M_EEDaS1H_S1I_EUlS1H_E_NS1_11comp_targetILNS1_3genE2ELNS1_11target_archE906ELNS1_3gpuE6ELNS1_3repE0EEENS1_30default_config_static_selectorELNS0_4arch9wavefront6targetE0EEEvSV_
    .private_segment_fixed_size: 0
    .sgpr_count:     0
    .sgpr_spill_count: 0
    .symbol:         _ZN7rocprim17ROCPRIM_400000_NS6detail17trampoline_kernelINS0_13select_configILj256ELj13ELNS0_17block_load_methodE3ELS4_3ELS4_3ELNS0_20block_scan_algorithmE0ELj4294967295EEENS1_25partition_config_selectorILNS1_17partition_subalgoE3EjNS0_10empty_typeEbEEZZNS1_14partition_implILS8_3ELb0ES6_jNS0_17counting_iteratorIjlEEPS9_SE_NS0_5tupleIJPjSE_EEENSF_IJSE_SE_EEES9_SG_JZNS1_25segmented_radix_sort_implINS0_14default_configELb1EPKlPlSM_SN_N2at6native12_GLOBAL__N_18offset_tEEE10hipError_tPvRmT1_PNSt15iterator_traitsISV_E10value_typeET2_T3_PNSW_IS11_E10value_typeET4_jRbjT5_S17_jjP12ihipStream_tbEUljE_EEESS_ST_SU_S11_S15_S17_T6_T7_T9_mT8_S19_bDpT10_ENKUlT_T0_E_clISt17integral_constantIbLb1EES1M_EEDaS1H_S1I_EUlS1H_E_NS1_11comp_targetILNS1_3genE2ELNS1_11target_archE906ELNS1_3gpuE6ELNS1_3repE0EEENS1_30default_config_static_selectorELNS0_4arch9wavefront6targetE0EEEvSV_.kd
    .uniform_work_group_size: 1
    .uses_dynamic_stack: false
    .vgpr_count:     0
    .vgpr_spill_count: 0
    .wavefront_size: 32
    .workgroup_processor_mode: 1
  - .args:
      - .offset:         0
        .size:           152
        .value_kind:     by_value
    .group_segment_fixed_size: 0
    .kernarg_segment_align: 8
    .kernarg_segment_size: 152
    .language:       OpenCL C
    .language_version:
      - 2
      - 0
    .max_flat_workgroup_size: 256
    .name:           _ZN7rocprim17ROCPRIM_400000_NS6detail17trampoline_kernelINS0_13select_configILj256ELj13ELNS0_17block_load_methodE3ELS4_3ELS4_3ELNS0_20block_scan_algorithmE0ELj4294967295EEENS1_25partition_config_selectorILNS1_17partition_subalgoE3EjNS0_10empty_typeEbEEZZNS1_14partition_implILS8_3ELb0ES6_jNS0_17counting_iteratorIjlEEPS9_SE_NS0_5tupleIJPjSE_EEENSF_IJSE_SE_EEES9_SG_JZNS1_25segmented_radix_sort_implINS0_14default_configELb1EPKlPlSM_SN_N2at6native12_GLOBAL__N_18offset_tEEE10hipError_tPvRmT1_PNSt15iterator_traitsISV_E10value_typeET2_T3_PNSW_IS11_E10value_typeET4_jRbjT5_S17_jjP12ihipStream_tbEUljE_EEESS_ST_SU_S11_S15_S17_T6_T7_T9_mT8_S19_bDpT10_ENKUlT_T0_E_clISt17integral_constantIbLb1EES1M_EEDaS1H_S1I_EUlS1H_E_NS1_11comp_targetILNS1_3genE10ELNS1_11target_archE1200ELNS1_3gpuE4ELNS1_3repE0EEENS1_30default_config_static_selectorELNS0_4arch9wavefront6targetE0EEEvSV_
    .private_segment_fixed_size: 0
    .sgpr_count:     0
    .sgpr_spill_count: 0
    .symbol:         _ZN7rocprim17ROCPRIM_400000_NS6detail17trampoline_kernelINS0_13select_configILj256ELj13ELNS0_17block_load_methodE3ELS4_3ELS4_3ELNS0_20block_scan_algorithmE0ELj4294967295EEENS1_25partition_config_selectorILNS1_17partition_subalgoE3EjNS0_10empty_typeEbEEZZNS1_14partition_implILS8_3ELb0ES6_jNS0_17counting_iteratorIjlEEPS9_SE_NS0_5tupleIJPjSE_EEENSF_IJSE_SE_EEES9_SG_JZNS1_25segmented_radix_sort_implINS0_14default_configELb1EPKlPlSM_SN_N2at6native12_GLOBAL__N_18offset_tEEE10hipError_tPvRmT1_PNSt15iterator_traitsISV_E10value_typeET2_T3_PNSW_IS11_E10value_typeET4_jRbjT5_S17_jjP12ihipStream_tbEUljE_EEESS_ST_SU_S11_S15_S17_T6_T7_T9_mT8_S19_bDpT10_ENKUlT_T0_E_clISt17integral_constantIbLb1EES1M_EEDaS1H_S1I_EUlS1H_E_NS1_11comp_targetILNS1_3genE10ELNS1_11target_archE1200ELNS1_3gpuE4ELNS1_3repE0EEENS1_30default_config_static_selectorELNS0_4arch9wavefront6targetE0EEEvSV_.kd
    .uniform_work_group_size: 1
    .uses_dynamic_stack: false
    .vgpr_count:     0
    .vgpr_spill_count: 0
    .wavefront_size: 32
    .workgroup_processor_mode: 1
  - .args:
      - .offset:         0
        .size:           152
        .value_kind:     by_value
    .group_segment_fixed_size: 0
    .kernarg_segment_align: 8
    .kernarg_segment_size: 152
    .language:       OpenCL C
    .language_version:
      - 2
      - 0
    .max_flat_workgroup_size: 256
    .name:           _ZN7rocprim17ROCPRIM_400000_NS6detail17trampoline_kernelINS0_13select_configILj256ELj13ELNS0_17block_load_methodE3ELS4_3ELS4_3ELNS0_20block_scan_algorithmE0ELj4294967295EEENS1_25partition_config_selectorILNS1_17partition_subalgoE3EjNS0_10empty_typeEbEEZZNS1_14partition_implILS8_3ELb0ES6_jNS0_17counting_iteratorIjlEEPS9_SE_NS0_5tupleIJPjSE_EEENSF_IJSE_SE_EEES9_SG_JZNS1_25segmented_radix_sort_implINS0_14default_configELb1EPKlPlSM_SN_N2at6native12_GLOBAL__N_18offset_tEEE10hipError_tPvRmT1_PNSt15iterator_traitsISV_E10value_typeET2_T3_PNSW_IS11_E10value_typeET4_jRbjT5_S17_jjP12ihipStream_tbEUljE_EEESS_ST_SU_S11_S15_S17_T6_T7_T9_mT8_S19_bDpT10_ENKUlT_T0_E_clISt17integral_constantIbLb1EES1M_EEDaS1H_S1I_EUlS1H_E_NS1_11comp_targetILNS1_3genE9ELNS1_11target_archE1100ELNS1_3gpuE3ELNS1_3repE0EEENS1_30default_config_static_selectorELNS0_4arch9wavefront6targetE0EEEvSV_
    .private_segment_fixed_size: 0
    .sgpr_count:     0
    .sgpr_spill_count: 0
    .symbol:         _ZN7rocprim17ROCPRIM_400000_NS6detail17trampoline_kernelINS0_13select_configILj256ELj13ELNS0_17block_load_methodE3ELS4_3ELS4_3ELNS0_20block_scan_algorithmE0ELj4294967295EEENS1_25partition_config_selectorILNS1_17partition_subalgoE3EjNS0_10empty_typeEbEEZZNS1_14partition_implILS8_3ELb0ES6_jNS0_17counting_iteratorIjlEEPS9_SE_NS0_5tupleIJPjSE_EEENSF_IJSE_SE_EEES9_SG_JZNS1_25segmented_radix_sort_implINS0_14default_configELb1EPKlPlSM_SN_N2at6native12_GLOBAL__N_18offset_tEEE10hipError_tPvRmT1_PNSt15iterator_traitsISV_E10value_typeET2_T3_PNSW_IS11_E10value_typeET4_jRbjT5_S17_jjP12ihipStream_tbEUljE_EEESS_ST_SU_S11_S15_S17_T6_T7_T9_mT8_S19_bDpT10_ENKUlT_T0_E_clISt17integral_constantIbLb1EES1M_EEDaS1H_S1I_EUlS1H_E_NS1_11comp_targetILNS1_3genE9ELNS1_11target_archE1100ELNS1_3gpuE3ELNS1_3repE0EEENS1_30default_config_static_selectorELNS0_4arch9wavefront6targetE0EEEvSV_.kd
    .uniform_work_group_size: 1
    .uses_dynamic_stack: false
    .vgpr_count:     0
    .vgpr_spill_count: 0
    .wavefront_size: 32
    .workgroup_processor_mode: 1
  - .args:
      - .offset:         0
        .size:           152
        .value_kind:     by_value
    .group_segment_fixed_size: 0
    .kernarg_segment_align: 8
    .kernarg_segment_size: 152
    .language:       OpenCL C
    .language_version:
      - 2
      - 0
    .max_flat_workgroup_size: 256
    .name:           _ZN7rocprim17ROCPRIM_400000_NS6detail17trampoline_kernelINS0_13select_configILj256ELj13ELNS0_17block_load_methodE3ELS4_3ELS4_3ELNS0_20block_scan_algorithmE0ELj4294967295EEENS1_25partition_config_selectorILNS1_17partition_subalgoE3EjNS0_10empty_typeEbEEZZNS1_14partition_implILS8_3ELb0ES6_jNS0_17counting_iteratorIjlEEPS9_SE_NS0_5tupleIJPjSE_EEENSF_IJSE_SE_EEES9_SG_JZNS1_25segmented_radix_sort_implINS0_14default_configELb1EPKlPlSM_SN_N2at6native12_GLOBAL__N_18offset_tEEE10hipError_tPvRmT1_PNSt15iterator_traitsISV_E10value_typeET2_T3_PNSW_IS11_E10value_typeET4_jRbjT5_S17_jjP12ihipStream_tbEUljE_EEESS_ST_SU_S11_S15_S17_T6_T7_T9_mT8_S19_bDpT10_ENKUlT_T0_E_clISt17integral_constantIbLb1EES1M_EEDaS1H_S1I_EUlS1H_E_NS1_11comp_targetILNS1_3genE8ELNS1_11target_archE1030ELNS1_3gpuE2ELNS1_3repE0EEENS1_30default_config_static_selectorELNS0_4arch9wavefront6targetE0EEEvSV_
    .private_segment_fixed_size: 0
    .sgpr_count:     0
    .sgpr_spill_count: 0
    .symbol:         _ZN7rocprim17ROCPRIM_400000_NS6detail17trampoline_kernelINS0_13select_configILj256ELj13ELNS0_17block_load_methodE3ELS4_3ELS4_3ELNS0_20block_scan_algorithmE0ELj4294967295EEENS1_25partition_config_selectorILNS1_17partition_subalgoE3EjNS0_10empty_typeEbEEZZNS1_14partition_implILS8_3ELb0ES6_jNS0_17counting_iteratorIjlEEPS9_SE_NS0_5tupleIJPjSE_EEENSF_IJSE_SE_EEES9_SG_JZNS1_25segmented_radix_sort_implINS0_14default_configELb1EPKlPlSM_SN_N2at6native12_GLOBAL__N_18offset_tEEE10hipError_tPvRmT1_PNSt15iterator_traitsISV_E10value_typeET2_T3_PNSW_IS11_E10value_typeET4_jRbjT5_S17_jjP12ihipStream_tbEUljE_EEESS_ST_SU_S11_S15_S17_T6_T7_T9_mT8_S19_bDpT10_ENKUlT_T0_E_clISt17integral_constantIbLb1EES1M_EEDaS1H_S1I_EUlS1H_E_NS1_11comp_targetILNS1_3genE8ELNS1_11target_archE1030ELNS1_3gpuE2ELNS1_3repE0EEENS1_30default_config_static_selectorELNS0_4arch9wavefront6targetE0EEEvSV_.kd
    .uniform_work_group_size: 1
    .uses_dynamic_stack: false
    .vgpr_count:     0
    .vgpr_spill_count: 0
    .wavefront_size: 32
    .workgroup_processor_mode: 1
  - .args:
      - .offset:         0
        .size:           144
        .value_kind:     by_value
    .group_segment_fixed_size: 0
    .kernarg_segment_align: 8
    .kernarg_segment_size: 144
    .language:       OpenCL C
    .language_version:
      - 2
      - 0
    .max_flat_workgroup_size: 256
    .name:           _ZN7rocprim17ROCPRIM_400000_NS6detail17trampoline_kernelINS0_13select_configILj256ELj13ELNS0_17block_load_methodE3ELS4_3ELS4_3ELNS0_20block_scan_algorithmE0ELj4294967295EEENS1_25partition_config_selectorILNS1_17partition_subalgoE3EjNS0_10empty_typeEbEEZZNS1_14partition_implILS8_3ELb0ES6_jNS0_17counting_iteratorIjlEEPS9_SE_NS0_5tupleIJPjSE_EEENSF_IJSE_SE_EEES9_SG_JZNS1_25segmented_radix_sort_implINS0_14default_configELb1EPKlPlSM_SN_N2at6native12_GLOBAL__N_18offset_tEEE10hipError_tPvRmT1_PNSt15iterator_traitsISV_E10value_typeET2_T3_PNSW_IS11_E10value_typeET4_jRbjT5_S17_jjP12ihipStream_tbEUljE_EEESS_ST_SU_S11_S15_S17_T6_T7_T9_mT8_S19_bDpT10_ENKUlT_T0_E_clISt17integral_constantIbLb1EES1L_IbLb0EEEEDaS1H_S1I_EUlS1H_E_NS1_11comp_targetILNS1_3genE0ELNS1_11target_archE4294967295ELNS1_3gpuE0ELNS1_3repE0EEENS1_30default_config_static_selectorELNS0_4arch9wavefront6targetE0EEEvSV_
    .private_segment_fixed_size: 0
    .sgpr_count:     0
    .sgpr_spill_count: 0
    .symbol:         _ZN7rocprim17ROCPRIM_400000_NS6detail17trampoline_kernelINS0_13select_configILj256ELj13ELNS0_17block_load_methodE3ELS4_3ELS4_3ELNS0_20block_scan_algorithmE0ELj4294967295EEENS1_25partition_config_selectorILNS1_17partition_subalgoE3EjNS0_10empty_typeEbEEZZNS1_14partition_implILS8_3ELb0ES6_jNS0_17counting_iteratorIjlEEPS9_SE_NS0_5tupleIJPjSE_EEENSF_IJSE_SE_EEES9_SG_JZNS1_25segmented_radix_sort_implINS0_14default_configELb1EPKlPlSM_SN_N2at6native12_GLOBAL__N_18offset_tEEE10hipError_tPvRmT1_PNSt15iterator_traitsISV_E10value_typeET2_T3_PNSW_IS11_E10value_typeET4_jRbjT5_S17_jjP12ihipStream_tbEUljE_EEESS_ST_SU_S11_S15_S17_T6_T7_T9_mT8_S19_bDpT10_ENKUlT_T0_E_clISt17integral_constantIbLb1EES1L_IbLb0EEEEDaS1H_S1I_EUlS1H_E_NS1_11comp_targetILNS1_3genE0ELNS1_11target_archE4294967295ELNS1_3gpuE0ELNS1_3repE0EEENS1_30default_config_static_selectorELNS0_4arch9wavefront6targetE0EEEvSV_.kd
    .uniform_work_group_size: 1
    .uses_dynamic_stack: false
    .vgpr_count:     0
    .vgpr_spill_count: 0
    .wavefront_size: 32
    .workgroup_processor_mode: 1
  - .args:
      - .offset:         0
        .size:           144
        .value_kind:     by_value
    .group_segment_fixed_size: 0
    .kernarg_segment_align: 8
    .kernarg_segment_size: 144
    .language:       OpenCL C
    .language_version:
      - 2
      - 0
    .max_flat_workgroup_size: 256
    .name:           _ZN7rocprim17ROCPRIM_400000_NS6detail17trampoline_kernelINS0_13select_configILj256ELj13ELNS0_17block_load_methodE3ELS4_3ELS4_3ELNS0_20block_scan_algorithmE0ELj4294967295EEENS1_25partition_config_selectorILNS1_17partition_subalgoE3EjNS0_10empty_typeEbEEZZNS1_14partition_implILS8_3ELb0ES6_jNS0_17counting_iteratorIjlEEPS9_SE_NS0_5tupleIJPjSE_EEENSF_IJSE_SE_EEES9_SG_JZNS1_25segmented_radix_sort_implINS0_14default_configELb1EPKlPlSM_SN_N2at6native12_GLOBAL__N_18offset_tEEE10hipError_tPvRmT1_PNSt15iterator_traitsISV_E10value_typeET2_T3_PNSW_IS11_E10value_typeET4_jRbjT5_S17_jjP12ihipStream_tbEUljE_EEESS_ST_SU_S11_S15_S17_T6_T7_T9_mT8_S19_bDpT10_ENKUlT_T0_E_clISt17integral_constantIbLb1EES1L_IbLb0EEEEDaS1H_S1I_EUlS1H_E_NS1_11comp_targetILNS1_3genE5ELNS1_11target_archE942ELNS1_3gpuE9ELNS1_3repE0EEENS1_30default_config_static_selectorELNS0_4arch9wavefront6targetE0EEEvSV_
    .private_segment_fixed_size: 0
    .sgpr_count:     0
    .sgpr_spill_count: 0
    .symbol:         _ZN7rocprim17ROCPRIM_400000_NS6detail17trampoline_kernelINS0_13select_configILj256ELj13ELNS0_17block_load_methodE3ELS4_3ELS4_3ELNS0_20block_scan_algorithmE0ELj4294967295EEENS1_25partition_config_selectorILNS1_17partition_subalgoE3EjNS0_10empty_typeEbEEZZNS1_14partition_implILS8_3ELb0ES6_jNS0_17counting_iteratorIjlEEPS9_SE_NS0_5tupleIJPjSE_EEENSF_IJSE_SE_EEES9_SG_JZNS1_25segmented_radix_sort_implINS0_14default_configELb1EPKlPlSM_SN_N2at6native12_GLOBAL__N_18offset_tEEE10hipError_tPvRmT1_PNSt15iterator_traitsISV_E10value_typeET2_T3_PNSW_IS11_E10value_typeET4_jRbjT5_S17_jjP12ihipStream_tbEUljE_EEESS_ST_SU_S11_S15_S17_T6_T7_T9_mT8_S19_bDpT10_ENKUlT_T0_E_clISt17integral_constantIbLb1EES1L_IbLb0EEEEDaS1H_S1I_EUlS1H_E_NS1_11comp_targetILNS1_3genE5ELNS1_11target_archE942ELNS1_3gpuE9ELNS1_3repE0EEENS1_30default_config_static_selectorELNS0_4arch9wavefront6targetE0EEEvSV_.kd
    .uniform_work_group_size: 1
    .uses_dynamic_stack: false
    .vgpr_count:     0
    .vgpr_spill_count: 0
    .wavefront_size: 32
    .workgroup_processor_mode: 1
  - .args:
      - .offset:         0
        .size:           144
        .value_kind:     by_value
    .group_segment_fixed_size: 0
    .kernarg_segment_align: 8
    .kernarg_segment_size: 144
    .language:       OpenCL C
    .language_version:
      - 2
      - 0
    .max_flat_workgroup_size: 256
    .name:           _ZN7rocprim17ROCPRIM_400000_NS6detail17trampoline_kernelINS0_13select_configILj256ELj13ELNS0_17block_load_methodE3ELS4_3ELS4_3ELNS0_20block_scan_algorithmE0ELj4294967295EEENS1_25partition_config_selectorILNS1_17partition_subalgoE3EjNS0_10empty_typeEbEEZZNS1_14partition_implILS8_3ELb0ES6_jNS0_17counting_iteratorIjlEEPS9_SE_NS0_5tupleIJPjSE_EEENSF_IJSE_SE_EEES9_SG_JZNS1_25segmented_radix_sort_implINS0_14default_configELb1EPKlPlSM_SN_N2at6native12_GLOBAL__N_18offset_tEEE10hipError_tPvRmT1_PNSt15iterator_traitsISV_E10value_typeET2_T3_PNSW_IS11_E10value_typeET4_jRbjT5_S17_jjP12ihipStream_tbEUljE_EEESS_ST_SU_S11_S15_S17_T6_T7_T9_mT8_S19_bDpT10_ENKUlT_T0_E_clISt17integral_constantIbLb1EES1L_IbLb0EEEEDaS1H_S1I_EUlS1H_E_NS1_11comp_targetILNS1_3genE4ELNS1_11target_archE910ELNS1_3gpuE8ELNS1_3repE0EEENS1_30default_config_static_selectorELNS0_4arch9wavefront6targetE0EEEvSV_
    .private_segment_fixed_size: 0
    .sgpr_count:     0
    .sgpr_spill_count: 0
    .symbol:         _ZN7rocprim17ROCPRIM_400000_NS6detail17trampoline_kernelINS0_13select_configILj256ELj13ELNS0_17block_load_methodE3ELS4_3ELS4_3ELNS0_20block_scan_algorithmE0ELj4294967295EEENS1_25partition_config_selectorILNS1_17partition_subalgoE3EjNS0_10empty_typeEbEEZZNS1_14partition_implILS8_3ELb0ES6_jNS0_17counting_iteratorIjlEEPS9_SE_NS0_5tupleIJPjSE_EEENSF_IJSE_SE_EEES9_SG_JZNS1_25segmented_radix_sort_implINS0_14default_configELb1EPKlPlSM_SN_N2at6native12_GLOBAL__N_18offset_tEEE10hipError_tPvRmT1_PNSt15iterator_traitsISV_E10value_typeET2_T3_PNSW_IS11_E10value_typeET4_jRbjT5_S17_jjP12ihipStream_tbEUljE_EEESS_ST_SU_S11_S15_S17_T6_T7_T9_mT8_S19_bDpT10_ENKUlT_T0_E_clISt17integral_constantIbLb1EES1L_IbLb0EEEEDaS1H_S1I_EUlS1H_E_NS1_11comp_targetILNS1_3genE4ELNS1_11target_archE910ELNS1_3gpuE8ELNS1_3repE0EEENS1_30default_config_static_selectorELNS0_4arch9wavefront6targetE0EEEvSV_.kd
    .uniform_work_group_size: 1
    .uses_dynamic_stack: false
    .vgpr_count:     0
    .vgpr_spill_count: 0
    .wavefront_size: 32
    .workgroup_processor_mode: 1
  - .args:
      - .offset:         0
        .size:           144
        .value_kind:     by_value
    .group_segment_fixed_size: 0
    .kernarg_segment_align: 8
    .kernarg_segment_size: 144
    .language:       OpenCL C
    .language_version:
      - 2
      - 0
    .max_flat_workgroup_size: 256
    .name:           _ZN7rocprim17ROCPRIM_400000_NS6detail17trampoline_kernelINS0_13select_configILj256ELj13ELNS0_17block_load_methodE3ELS4_3ELS4_3ELNS0_20block_scan_algorithmE0ELj4294967295EEENS1_25partition_config_selectorILNS1_17partition_subalgoE3EjNS0_10empty_typeEbEEZZNS1_14partition_implILS8_3ELb0ES6_jNS0_17counting_iteratorIjlEEPS9_SE_NS0_5tupleIJPjSE_EEENSF_IJSE_SE_EEES9_SG_JZNS1_25segmented_radix_sort_implINS0_14default_configELb1EPKlPlSM_SN_N2at6native12_GLOBAL__N_18offset_tEEE10hipError_tPvRmT1_PNSt15iterator_traitsISV_E10value_typeET2_T3_PNSW_IS11_E10value_typeET4_jRbjT5_S17_jjP12ihipStream_tbEUljE_EEESS_ST_SU_S11_S15_S17_T6_T7_T9_mT8_S19_bDpT10_ENKUlT_T0_E_clISt17integral_constantIbLb1EES1L_IbLb0EEEEDaS1H_S1I_EUlS1H_E_NS1_11comp_targetILNS1_3genE3ELNS1_11target_archE908ELNS1_3gpuE7ELNS1_3repE0EEENS1_30default_config_static_selectorELNS0_4arch9wavefront6targetE0EEEvSV_
    .private_segment_fixed_size: 0
    .sgpr_count:     0
    .sgpr_spill_count: 0
    .symbol:         _ZN7rocprim17ROCPRIM_400000_NS6detail17trampoline_kernelINS0_13select_configILj256ELj13ELNS0_17block_load_methodE3ELS4_3ELS4_3ELNS0_20block_scan_algorithmE0ELj4294967295EEENS1_25partition_config_selectorILNS1_17partition_subalgoE3EjNS0_10empty_typeEbEEZZNS1_14partition_implILS8_3ELb0ES6_jNS0_17counting_iteratorIjlEEPS9_SE_NS0_5tupleIJPjSE_EEENSF_IJSE_SE_EEES9_SG_JZNS1_25segmented_radix_sort_implINS0_14default_configELb1EPKlPlSM_SN_N2at6native12_GLOBAL__N_18offset_tEEE10hipError_tPvRmT1_PNSt15iterator_traitsISV_E10value_typeET2_T3_PNSW_IS11_E10value_typeET4_jRbjT5_S17_jjP12ihipStream_tbEUljE_EEESS_ST_SU_S11_S15_S17_T6_T7_T9_mT8_S19_bDpT10_ENKUlT_T0_E_clISt17integral_constantIbLb1EES1L_IbLb0EEEEDaS1H_S1I_EUlS1H_E_NS1_11comp_targetILNS1_3genE3ELNS1_11target_archE908ELNS1_3gpuE7ELNS1_3repE0EEENS1_30default_config_static_selectorELNS0_4arch9wavefront6targetE0EEEvSV_.kd
    .uniform_work_group_size: 1
    .uses_dynamic_stack: false
    .vgpr_count:     0
    .vgpr_spill_count: 0
    .wavefront_size: 32
    .workgroup_processor_mode: 1
  - .args:
      - .offset:         0
        .size:           144
        .value_kind:     by_value
    .group_segment_fixed_size: 0
    .kernarg_segment_align: 8
    .kernarg_segment_size: 144
    .language:       OpenCL C
    .language_version:
      - 2
      - 0
    .max_flat_workgroup_size: 256
    .name:           _ZN7rocprim17ROCPRIM_400000_NS6detail17trampoline_kernelINS0_13select_configILj256ELj13ELNS0_17block_load_methodE3ELS4_3ELS4_3ELNS0_20block_scan_algorithmE0ELj4294967295EEENS1_25partition_config_selectorILNS1_17partition_subalgoE3EjNS0_10empty_typeEbEEZZNS1_14partition_implILS8_3ELb0ES6_jNS0_17counting_iteratorIjlEEPS9_SE_NS0_5tupleIJPjSE_EEENSF_IJSE_SE_EEES9_SG_JZNS1_25segmented_radix_sort_implINS0_14default_configELb1EPKlPlSM_SN_N2at6native12_GLOBAL__N_18offset_tEEE10hipError_tPvRmT1_PNSt15iterator_traitsISV_E10value_typeET2_T3_PNSW_IS11_E10value_typeET4_jRbjT5_S17_jjP12ihipStream_tbEUljE_EEESS_ST_SU_S11_S15_S17_T6_T7_T9_mT8_S19_bDpT10_ENKUlT_T0_E_clISt17integral_constantIbLb1EES1L_IbLb0EEEEDaS1H_S1I_EUlS1H_E_NS1_11comp_targetILNS1_3genE2ELNS1_11target_archE906ELNS1_3gpuE6ELNS1_3repE0EEENS1_30default_config_static_selectorELNS0_4arch9wavefront6targetE0EEEvSV_
    .private_segment_fixed_size: 0
    .sgpr_count:     0
    .sgpr_spill_count: 0
    .symbol:         _ZN7rocprim17ROCPRIM_400000_NS6detail17trampoline_kernelINS0_13select_configILj256ELj13ELNS0_17block_load_methodE3ELS4_3ELS4_3ELNS0_20block_scan_algorithmE0ELj4294967295EEENS1_25partition_config_selectorILNS1_17partition_subalgoE3EjNS0_10empty_typeEbEEZZNS1_14partition_implILS8_3ELb0ES6_jNS0_17counting_iteratorIjlEEPS9_SE_NS0_5tupleIJPjSE_EEENSF_IJSE_SE_EEES9_SG_JZNS1_25segmented_radix_sort_implINS0_14default_configELb1EPKlPlSM_SN_N2at6native12_GLOBAL__N_18offset_tEEE10hipError_tPvRmT1_PNSt15iterator_traitsISV_E10value_typeET2_T3_PNSW_IS11_E10value_typeET4_jRbjT5_S17_jjP12ihipStream_tbEUljE_EEESS_ST_SU_S11_S15_S17_T6_T7_T9_mT8_S19_bDpT10_ENKUlT_T0_E_clISt17integral_constantIbLb1EES1L_IbLb0EEEEDaS1H_S1I_EUlS1H_E_NS1_11comp_targetILNS1_3genE2ELNS1_11target_archE906ELNS1_3gpuE6ELNS1_3repE0EEENS1_30default_config_static_selectorELNS0_4arch9wavefront6targetE0EEEvSV_.kd
    .uniform_work_group_size: 1
    .uses_dynamic_stack: false
    .vgpr_count:     0
    .vgpr_spill_count: 0
    .wavefront_size: 32
    .workgroup_processor_mode: 1
  - .args:
      - .offset:         0
        .size:           144
        .value_kind:     by_value
    .group_segment_fixed_size: 0
    .kernarg_segment_align: 8
    .kernarg_segment_size: 144
    .language:       OpenCL C
    .language_version:
      - 2
      - 0
    .max_flat_workgroup_size: 256
    .name:           _ZN7rocprim17ROCPRIM_400000_NS6detail17trampoline_kernelINS0_13select_configILj256ELj13ELNS0_17block_load_methodE3ELS4_3ELS4_3ELNS0_20block_scan_algorithmE0ELj4294967295EEENS1_25partition_config_selectorILNS1_17partition_subalgoE3EjNS0_10empty_typeEbEEZZNS1_14partition_implILS8_3ELb0ES6_jNS0_17counting_iteratorIjlEEPS9_SE_NS0_5tupleIJPjSE_EEENSF_IJSE_SE_EEES9_SG_JZNS1_25segmented_radix_sort_implINS0_14default_configELb1EPKlPlSM_SN_N2at6native12_GLOBAL__N_18offset_tEEE10hipError_tPvRmT1_PNSt15iterator_traitsISV_E10value_typeET2_T3_PNSW_IS11_E10value_typeET4_jRbjT5_S17_jjP12ihipStream_tbEUljE_EEESS_ST_SU_S11_S15_S17_T6_T7_T9_mT8_S19_bDpT10_ENKUlT_T0_E_clISt17integral_constantIbLb1EES1L_IbLb0EEEEDaS1H_S1I_EUlS1H_E_NS1_11comp_targetILNS1_3genE10ELNS1_11target_archE1200ELNS1_3gpuE4ELNS1_3repE0EEENS1_30default_config_static_selectorELNS0_4arch9wavefront6targetE0EEEvSV_
    .private_segment_fixed_size: 0
    .sgpr_count:     0
    .sgpr_spill_count: 0
    .symbol:         _ZN7rocprim17ROCPRIM_400000_NS6detail17trampoline_kernelINS0_13select_configILj256ELj13ELNS0_17block_load_methodE3ELS4_3ELS4_3ELNS0_20block_scan_algorithmE0ELj4294967295EEENS1_25partition_config_selectorILNS1_17partition_subalgoE3EjNS0_10empty_typeEbEEZZNS1_14partition_implILS8_3ELb0ES6_jNS0_17counting_iteratorIjlEEPS9_SE_NS0_5tupleIJPjSE_EEENSF_IJSE_SE_EEES9_SG_JZNS1_25segmented_radix_sort_implINS0_14default_configELb1EPKlPlSM_SN_N2at6native12_GLOBAL__N_18offset_tEEE10hipError_tPvRmT1_PNSt15iterator_traitsISV_E10value_typeET2_T3_PNSW_IS11_E10value_typeET4_jRbjT5_S17_jjP12ihipStream_tbEUljE_EEESS_ST_SU_S11_S15_S17_T6_T7_T9_mT8_S19_bDpT10_ENKUlT_T0_E_clISt17integral_constantIbLb1EES1L_IbLb0EEEEDaS1H_S1I_EUlS1H_E_NS1_11comp_targetILNS1_3genE10ELNS1_11target_archE1200ELNS1_3gpuE4ELNS1_3repE0EEENS1_30default_config_static_selectorELNS0_4arch9wavefront6targetE0EEEvSV_.kd
    .uniform_work_group_size: 1
    .uses_dynamic_stack: false
    .vgpr_count:     0
    .vgpr_spill_count: 0
    .wavefront_size: 32
    .workgroup_processor_mode: 1
  - .args:
      - .offset:         0
        .size:           144
        .value_kind:     by_value
    .group_segment_fixed_size: 0
    .kernarg_segment_align: 8
    .kernarg_segment_size: 144
    .language:       OpenCL C
    .language_version:
      - 2
      - 0
    .max_flat_workgroup_size: 256
    .name:           _ZN7rocprim17ROCPRIM_400000_NS6detail17trampoline_kernelINS0_13select_configILj256ELj13ELNS0_17block_load_methodE3ELS4_3ELS4_3ELNS0_20block_scan_algorithmE0ELj4294967295EEENS1_25partition_config_selectorILNS1_17partition_subalgoE3EjNS0_10empty_typeEbEEZZNS1_14partition_implILS8_3ELb0ES6_jNS0_17counting_iteratorIjlEEPS9_SE_NS0_5tupleIJPjSE_EEENSF_IJSE_SE_EEES9_SG_JZNS1_25segmented_radix_sort_implINS0_14default_configELb1EPKlPlSM_SN_N2at6native12_GLOBAL__N_18offset_tEEE10hipError_tPvRmT1_PNSt15iterator_traitsISV_E10value_typeET2_T3_PNSW_IS11_E10value_typeET4_jRbjT5_S17_jjP12ihipStream_tbEUljE_EEESS_ST_SU_S11_S15_S17_T6_T7_T9_mT8_S19_bDpT10_ENKUlT_T0_E_clISt17integral_constantIbLb1EES1L_IbLb0EEEEDaS1H_S1I_EUlS1H_E_NS1_11comp_targetILNS1_3genE9ELNS1_11target_archE1100ELNS1_3gpuE3ELNS1_3repE0EEENS1_30default_config_static_selectorELNS0_4arch9wavefront6targetE0EEEvSV_
    .private_segment_fixed_size: 0
    .sgpr_count:     0
    .sgpr_spill_count: 0
    .symbol:         _ZN7rocprim17ROCPRIM_400000_NS6detail17trampoline_kernelINS0_13select_configILj256ELj13ELNS0_17block_load_methodE3ELS4_3ELS4_3ELNS0_20block_scan_algorithmE0ELj4294967295EEENS1_25partition_config_selectorILNS1_17partition_subalgoE3EjNS0_10empty_typeEbEEZZNS1_14partition_implILS8_3ELb0ES6_jNS0_17counting_iteratorIjlEEPS9_SE_NS0_5tupleIJPjSE_EEENSF_IJSE_SE_EEES9_SG_JZNS1_25segmented_radix_sort_implINS0_14default_configELb1EPKlPlSM_SN_N2at6native12_GLOBAL__N_18offset_tEEE10hipError_tPvRmT1_PNSt15iterator_traitsISV_E10value_typeET2_T3_PNSW_IS11_E10value_typeET4_jRbjT5_S17_jjP12ihipStream_tbEUljE_EEESS_ST_SU_S11_S15_S17_T6_T7_T9_mT8_S19_bDpT10_ENKUlT_T0_E_clISt17integral_constantIbLb1EES1L_IbLb0EEEEDaS1H_S1I_EUlS1H_E_NS1_11comp_targetILNS1_3genE9ELNS1_11target_archE1100ELNS1_3gpuE3ELNS1_3repE0EEENS1_30default_config_static_selectorELNS0_4arch9wavefront6targetE0EEEvSV_.kd
    .uniform_work_group_size: 1
    .uses_dynamic_stack: false
    .vgpr_count:     0
    .vgpr_spill_count: 0
    .wavefront_size: 32
    .workgroup_processor_mode: 1
  - .args:
      - .offset:         0
        .size:           144
        .value_kind:     by_value
    .group_segment_fixed_size: 0
    .kernarg_segment_align: 8
    .kernarg_segment_size: 144
    .language:       OpenCL C
    .language_version:
      - 2
      - 0
    .max_flat_workgroup_size: 256
    .name:           _ZN7rocprim17ROCPRIM_400000_NS6detail17trampoline_kernelINS0_13select_configILj256ELj13ELNS0_17block_load_methodE3ELS4_3ELS4_3ELNS0_20block_scan_algorithmE0ELj4294967295EEENS1_25partition_config_selectorILNS1_17partition_subalgoE3EjNS0_10empty_typeEbEEZZNS1_14partition_implILS8_3ELb0ES6_jNS0_17counting_iteratorIjlEEPS9_SE_NS0_5tupleIJPjSE_EEENSF_IJSE_SE_EEES9_SG_JZNS1_25segmented_radix_sort_implINS0_14default_configELb1EPKlPlSM_SN_N2at6native12_GLOBAL__N_18offset_tEEE10hipError_tPvRmT1_PNSt15iterator_traitsISV_E10value_typeET2_T3_PNSW_IS11_E10value_typeET4_jRbjT5_S17_jjP12ihipStream_tbEUljE_EEESS_ST_SU_S11_S15_S17_T6_T7_T9_mT8_S19_bDpT10_ENKUlT_T0_E_clISt17integral_constantIbLb1EES1L_IbLb0EEEEDaS1H_S1I_EUlS1H_E_NS1_11comp_targetILNS1_3genE8ELNS1_11target_archE1030ELNS1_3gpuE2ELNS1_3repE0EEENS1_30default_config_static_selectorELNS0_4arch9wavefront6targetE0EEEvSV_
    .private_segment_fixed_size: 0
    .sgpr_count:     0
    .sgpr_spill_count: 0
    .symbol:         _ZN7rocprim17ROCPRIM_400000_NS6detail17trampoline_kernelINS0_13select_configILj256ELj13ELNS0_17block_load_methodE3ELS4_3ELS4_3ELNS0_20block_scan_algorithmE0ELj4294967295EEENS1_25partition_config_selectorILNS1_17partition_subalgoE3EjNS0_10empty_typeEbEEZZNS1_14partition_implILS8_3ELb0ES6_jNS0_17counting_iteratorIjlEEPS9_SE_NS0_5tupleIJPjSE_EEENSF_IJSE_SE_EEES9_SG_JZNS1_25segmented_radix_sort_implINS0_14default_configELb1EPKlPlSM_SN_N2at6native12_GLOBAL__N_18offset_tEEE10hipError_tPvRmT1_PNSt15iterator_traitsISV_E10value_typeET2_T3_PNSW_IS11_E10value_typeET4_jRbjT5_S17_jjP12ihipStream_tbEUljE_EEESS_ST_SU_S11_S15_S17_T6_T7_T9_mT8_S19_bDpT10_ENKUlT_T0_E_clISt17integral_constantIbLb1EES1L_IbLb0EEEEDaS1H_S1I_EUlS1H_E_NS1_11comp_targetILNS1_3genE8ELNS1_11target_archE1030ELNS1_3gpuE2ELNS1_3repE0EEENS1_30default_config_static_selectorELNS0_4arch9wavefront6targetE0EEEvSV_.kd
    .uniform_work_group_size: 1
    .uses_dynamic_stack: false
    .vgpr_count:     0
    .vgpr_spill_count: 0
    .wavefront_size: 32
    .workgroup_processor_mode: 1
  - .args:
      - .offset:         0
        .size:           152
        .value_kind:     by_value
    .group_segment_fixed_size: 0
    .kernarg_segment_align: 8
    .kernarg_segment_size: 152
    .language:       OpenCL C
    .language_version:
      - 2
      - 0
    .max_flat_workgroup_size: 256
    .name:           _ZN7rocprim17ROCPRIM_400000_NS6detail17trampoline_kernelINS0_13select_configILj256ELj13ELNS0_17block_load_methodE3ELS4_3ELS4_3ELNS0_20block_scan_algorithmE0ELj4294967295EEENS1_25partition_config_selectorILNS1_17partition_subalgoE3EjNS0_10empty_typeEbEEZZNS1_14partition_implILS8_3ELb0ES6_jNS0_17counting_iteratorIjlEEPS9_SE_NS0_5tupleIJPjSE_EEENSF_IJSE_SE_EEES9_SG_JZNS1_25segmented_radix_sort_implINS0_14default_configELb1EPKlPlSM_SN_N2at6native12_GLOBAL__N_18offset_tEEE10hipError_tPvRmT1_PNSt15iterator_traitsISV_E10value_typeET2_T3_PNSW_IS11_E10value_typeET4_jRbjT5_S17_jjP12ihipStream_tbEUljE_EEESS_ST_SU_S11_S15_S17_T6_T7_T9_mT8_S19_bDpT10_ENKUlT_T0_E_clISt17integral_constantIbLb0EES1L_IbLb1EEEEDaS1H_S1I_EUlS1H_E_NS1_11comp_targetILNS1_3genE0ELNS1_11target_archE4294967295ELNS1_3gpuE0ELNS1_3repE0EEENS1_30default_config_static_selectorELNS0_4arch9wavefront6targetE0EEEvSV_
    .private_segment_fixed_size: 0
    .sgpr_count:     0
    .sgpr_spill_count: 0
    .symbol:         _ZN7rocprim17ROCPRIM_400000_NS6detail17trampoline_kernelINS0_13select_configILj256ELj13ELNS0_17block_load_methodE3ELS4_3ELS4_3ELNS0_20block_scan_algorithmE0ELj4294967295EEENS1_25partition_config_selectorILNS1_17partition_subalgoE3EjNS0_10empty_typeEbEEZZNS1_14partition_implILS8_3ELb0ES6_jNS0_17counting_iteratorIjlEEPS9_SE_NS0_5tupleIJPjSE_EEENSF_IJSE_SE_EEES9_SG_JZNS1_25segmented_radix_sort_implINS0_14default_configELb1EPKlPlSM_SN_N2at6native12_GLOBAL__N_18offset_tEEE10hipError_tPvRmT1_PNSt15iterator_traitsISV_E10value_typeET2_T3_PNSW_IS11_E10value_typeET4_jRbjT5_S17_jjP12ihipStream_tbEUljE_EEESS_ST_SU_S11_S15_S17_T6_T7_T9_mT8_S19_bDpT10_ENKUlT_T0_E_clISt17integral_constantIbLb0EES1L_IbLb1EEEEDaS1H_S1I_EUlS1H_E_NS1_11comp_targetILNS1_3genE0ELNS1_11target_archE4294967295ELNS1_3gpuE0ELNS1_3repE0EEENS1_30default_config_static_selectorELNS0_4arch9wavefront6targetE0EEEvSV_.kd
    .uniform_work_group_size: 1
    .uses_dynamic_stack: false
    .vgpr_count:     0
    .vgpr_spill_count: 0
    .wavefront_size: 32
    .workgroup_processor_mode: 1
  - .args:
      - .offset:         0
        .size:           152
        .value_kind:     by_value
    .group_segment_fixed_size: 0
    .kernarg_segment_align: 8
    .kernarg_segment_size: 152
    .language:       OpenCL C
    .language_version:
      - 2
      - 0
    .max_flat_workgroup_size: 256
    .name:           _ZN7rocprim17ROCPRIM_400000_NS6detail17trampoline_kernelINS0_13select_configILj256ELj13ELNS0_17block_load_methodE3ELS4_3ELS4_3ELNS0_20block_scan_algorithmE0ELj4294967295EEENS1_25partition_config_selectorILNS1_17partition_subalgoE3EjNS0_10empty_typeEbEEZZNS1_14partition_implILS8_3ELb0ES6_jNS0_17counting_iteratorIjlEEPS9_SE_NS0_5tupleIJPjSE_EEENSF_IJSE_SE_EEES9_SG_JZNS1_25segmented_radix_sort_implINS0_14default_configELb1EPKlPlSM_SN_N2at6native12_GLOBAL__N_18offset_tEEE10hipError_tPvRmT1_PNSt15iterator_traitsISV_E10value_typeET2_T3_PNSW_IS11_E10value_typeET4_jRbjT5_S17_jjP12ihipStream_tbEUljE_EEESS_ST_SU_S11_S15_S17_T6_T7_T9_mT8_S19_bDpT10_ENKUlT_T0_E_clISt17integral_constantIbLb0EES1L_IbLb1EEEEDaS1H_S1I_EUlS1H_E_NS1_11comp_targetILNS1_3genE5ELNS1_11target_archE942ELNS1_3gpuE9ELNS1_3repE0EEENS1_30default_config_static_selectorELNS0_4arch9wavefront6targetE0EEEvSV_
    .private_segment_fixed_size: 0
    .sgpr_count:     0
    .sgpr_spill_count: 0
    .symbol:         _ZN7rocprim17ROCPRIM_400000_NS6detail17trampoline_kernelINS0_13select_configILj256ELj13ELNS0_17block_load_methodE3ELS4_3ELS4_3ELNS0_20block_scan_algorithmE0ELj4294967295EEENS1_25partition_config_selectorILNS1_17partition_subalgoE3EjNS0_10empty_typeEbEEZZNS1_14partition_implILS8_3ELb0ES6_jNS0_17counting_iteratorIjlEEPS9_SE_NS0_5tupleIJPjSE_EEENSF_IJSE_SE_EEES9_SG_JZNS1_25segmented_radix_sort_implINS0_14default_configELb1EPKlPlSM_SN_N2at6native12_GLOBAL__N_18offset_tEEE10hipError_tPvRmT1_PNSt15iterator_traitsISV_E10value_typeET2_T3_PNSW_IS11_E10value_typeET4_jRbjT5_S17_jjP12ihipStream_tbEUljE_EEESS_ST_SU_S11_S15_S17_T6_T7_T9_mT8_S19_bDpT10_ENKUlT_T0_E_clISt17integral_constantIbLb0EES1L_IbLb1EEEEDaS1H_S1I_EUlS1H_E_NS1_11comp_targetILNS1_3genE5ELNS1_11target_archE942ELNS1_3gpuE9ELNS1_3repE0EEENS1_30default_config_static_selectorELNS0_4arch9wavefront6targetE0EEEvSV_.kd
    .uniform_work_group_size: 1
    .uses_dynamic_stack: false
    .vgpr_count:     0
    .vgpr_spill_count: 0
    .wavefront_size: 32
    .workgroup_processor_mode: 1
  - .args:
      - .offset:         0
        .size:           152
        .value_kind:     by_value
    .group_segment_fixed_size: 0
    .kernarg_segment_align: 8
    .kernarg_segment_size: 152
    .language:       OpenCL C
    .language_version:
      - 2
      - 0
    .max_flat_workgroup_size: 256
    .name:           _ZN7rocprim17ROCPRIM_400000_NS6detail17trampoline_kernelINS0_13select_configILj256ELj13ELNS0_17block_load_methodE3ELS4_3ELS4_3ELNS0_20block_scan_algorithmE0ELj4294967295EEENS1_25partition_config_selectorILNS1_17partition_subalgoE3EjNS0_10empty_typeEbEEZZNS1_14partition_implILS8_3ELb0ES6_jNS0_17counting_iteratorIjlEEPS9_SE_NS0_5tupleIJPjSE_EEENSF_IJSE_SE_EEES9_SG_JZNS1_25segmented_radix_sort_implINS0_14default_configELb1EPKlPlSM_SN_N2at6native12_GLOBAL__N_18offset_tEEE10hipError_tPvRmT1_PNSt15iterator_traitsISV_E10value_typeET2_T3_PNSW_IS11_E10value_typeET4_jRbjT5_S17_jjP12ihipStream_tbEUljE_EEESS_ST_SU_S11_S15_S17_T6_T7_T9_mT8_S19_bDpT10_ENKUlT_T0_E_clISt17integral_constantIbLb0EES1L_IbLb1EEEEDaS1H_S1I_EUlS1H_E_NS1_11comp_targetILNS1_3genE4ELNS1_11target_archE910ELNS1_3gpuE8ELNS1_3repE0EEENS1_30default_config_static_selectorELNS0_4arch9wavefront6targetE0EEEvSV_
    .private_segment_fixed_size: 0
    .sgpr_count:     0
    .sgpr_spill_count: 0
    .symbol:         _ZN7rocprim17ROCPRIM_400000_NS6detail17trampoline_kernelINS0_13select_configILj256ELj13ELNS0_17block_load_methodE3ELS4_3ELS4_3ELNS0_20block_scan_algorithmE0ELj4294967295EEENS1_25partition_config_selectorILNS1_17partition_subalgoE3EjNS0_10empty_typeEbEEZZNS1_14partition_implILS8_3ELb0ES6_jNS0_17counting_iteratorIjlEEPS9_SE_NS0_5tupleIJPjSE_EEENSF_IJSE_SE_EEES9_SG_JZNS1_25segmented_radix_sort_implINS0_14default_configELb1EPKlPlSM_SN_N2at6native12_GLOBAL__N_18offset_tEEE10hipError_tPvRmT1_PNSt15iterator_traitsISV_E10value_typeET2_T3_PNSW_IS11_E10value_typeET4_jRbjT5_S17_jjP12ihipStream_tbEUljE_EEESS_ST_SU_S11_S15_S17_T6_T7_T9_mT8_S19_bDpT10_ENKUlT_T0_E_clISt17integral_constantIbLb0EES1L_IbLb1EEEEDaS1H_S1I_EUlS1H_E_NS1_11comp_targetILNS1_3genE4ELNS1_11target_archE910ELNS1_3gpuE8ELNS1_3repE0EEENS1_30default_config_static_selectorELNS0_4arch9wavefront6targetE0EEEvSV_.kd
    .uniform_work_group_size: 1
    .uses_dynamic_stack: false
    .vgpr_count:     0
    .vgpr_spill_count: 0
    .wavefront_size: 32
    .workgroup_processor_mode: 1
  - .args:
      - .offset:         0
        .size:           152
        .value_kind:     by_value
    .group_segment_fixed_size: 0
    .kernarg_segment_align: 8
    .kernarg_segment_size: 152
    .language:       OpenCL C
    .language_version:
      - 2
      - 0
    .max_flat_workgroup_size: 256
    .name:           _ZN7rocprim17ROCPRIM_400000_NS6detail17trampoline_kernelINS0_13select_configILj256ELj13ELNS0_17block_load_methodE3ELS4_3ELS4_3ELNS0_20block_scan_algorithmE0ELj4294967295EEENS1_25partition_config_selectorILNS1_17partition_subalgoE3EjNS0_10empty_typeEbEEZZNS1_14partition_implILS8_3ELb0ES6_jNS0_17counting_iteratorIjlEEPS9_SE_NS0_5tupleIJPjSE_EEENSF_IJSE_SE_EEES9_SG_JZNS1_25segmented_radix_sort_implINS0_14default_configELb1EPKlPlSM_SN_N2at6native12_GLOBAL__N_18offset_tEEE10hipError_tPvRmT1_PNSt15iterator_traitsISV_E10value_typeET2_T3_PNSW_IS11_E10value_typeET4_jRbjT5_S17_jjP12ihipStream_tbEUljE_EEESS_ST_SU_S11_S15_S17_T6_T7_T9_mT8_S19_bDpT10_ENKUlT_T0_E_clISt17integral_constantIbLb0EES1L_IbLb1EEEEDaS1H_S1I_EUlS1H_E_NS1_11comp_targetILNS1_3genE3ELNS1_11target_archE908ELNS1_3gpuE7ELNS1_3repE0EEENS1_30default_config_static_selectorELNS0_4arch9wavefront6targetE0EEEvSV_
    .private_segment_fixed_size: 0
    .sgpr_count:     0
    .sgpr_spill_count: 0
    .symbol:         _ZN7rocprim17ROCPRIM_400000_NS6detail17trampoline_kernelINS0_13select_configILj256ELj13ELNS0_17block_load_methodE3ELS4_3ELS4_3ELNS0_20block_scan_algorithmE0ELj4294967295EEENS1_25partition_config_selectorILNS1_17partition_subalgoE3EjNS0_10empty_typeEbEEZZNS1_14partition_implILS8_3ELb0ES6_jNS0_17counting_iteratorIjlEEPS9_SE_NS0_5tupleIJPjSE_EEENSF_IJSE_SE_EEES9_SG_JZNS1_25segmented_radix_sort_implINS0_14default_configELb1EPKlPlSM_SN_N2at6native12_GLOBAL__N_18offset_tEEE10hipError_tPvRmT1_PNSt15iterator_traitsISV_E10value_typeET2_T3_PNSW_IS11_E10value_typeET4_jRbjT5_S17_jjP12ihipStream_tbEUljE_EEESS_ST_SU_S11_S15_S17_T6_T7_T9_mT8_S19_bDpT10_ENKUlT_T0_E_clISt17integral_constantIbLb0EES1L_IbLb1EEEEDaS1H_S1I_EUlS1H_E_NS1_11comp_targetILNS1_3genE3ELNS1_11target_archE908ELNS1_3gpuE7ELNS1_3repE0EEENS1_30default_config_static_selectorELNS0_4arch9wavefront6targetE0EEEvSV_.kd
    .uniform_work_group_size: 1
    .uses_dynamic_stack: false
    .vgpr_count:     0
    .vgpr_spill_count: 0
    .wavefront_size: 32
    .workgroup_processor_mode: 1
  - .args:
      - .offset:         0
        .size:           152
        .value_kind:     by_value
    .group_segment_fixed_size: 0
    .kernarg_segment_align: 8
    .kernarg_segment_size: 152
    .language:       OpenCL C
    .language_version:
      - 2
      - 0
    .max_flat_workgroup_size: 256
    .name:           _ZN7rocprim17ROCPRIM_400000_NS6detail17trampoline_kernelINS0_13select_configILj256ELj13ELNS0_17block_load_methodE3ELS4_3ELS4_3ELNS0_20block_scan_algorithmE0ELj4294967295EEENS1_25partition_config_selectorILNS1_17partition_subalgoE3EjNS0_10empty_typeEbEEZZNS1_14partition_implILS8_3ELb0ES6_jNS0_17counting_iteratorIjlEEPS9_SE_NS0_5tupleIJPjSE_EEENSF_IJSE_SE_EEES9_SG_JZNS1_25segmented_radix_sort_implINS0_14default_configELb1EPKlPlSM_SN_N2at6native12_GLOBAL__N_18offset_tEEE10hipError_tPvRmT1_PNSt15iterator_traitsISV_E10value_typeET2_T3_PNSW_IS11_E10value_typeET4_jRbjT5_S17_jjP12ihipStream_tbEUljE_EEESS_ST_SU_S11_S15_S17_T6_T7_T9_mT8_S19_bDpT10_ENKUlT_T0_E_clISt17integral_constantIbLb0EES1L_IbLb1EEEEDaS1H_S1I_EUlS1H_E_NS1_11comp_targetILNS1_3genE2ELNS1_11target_archE906ELNS1_3gpuE6ELNS1_3repE0EEENS1_30default_config_static_selectorELNS0_4arch9wavefront6targetE0EEEvSV_
    .private_segment_fixed_size: 0
    .sgpr_count:     0
    .sgpr_spill_count: 0
    .symbol:         _ZN7rocprim17ROCPRIM_400000_NS6detail17trampoline_kernelINS0_13select_configILj256ELj13ELNS0_17block_load_methodE3ELS4_3ELS4_3ELNS0_20block_scan_algorithmE0ELj4294967295EEENS1_25partition_config_selectorILNS1_17partition_subalgoE3EjNS0_10empty_typeEbEEZZNS1_14partition_implILS8_3ELb0ES6_jNS0_17counting_iteratorIjlEEPS9_SE_NS0_5tupleIJPjSE_EEENSF_IJSE_SE_EEES9_SG_JZNS1_25segmented_radix_sort_implINS0_14default_configELb1EPKlPlSM_SN_N2at6native12_GLOBAL__N_18offset_tEEE10hipError_tPvRmT1_PNSt15iterator_traitsISV_E10value_typeET2_T3_PNSW_IS11_E10value_typeET4_jRbjT5_S17_jjP12ihipStream_tbEUljE_EEESS_ST_SU_S11_S15_S17_T6_T7_T9_mT8_S19_bDpT10_ENKUlT_T0_E_clISt17integral_constantIbLb0EES1L_IbLb1EEEEDaS1H_S1I_EUlS1H_E_NS1_11comp_targetILNS1_3genE2ELNS1_11target_archE906ELNS1_3gpuE6ELNS1_3repE0EEENS1_30default_config_static_selectorELNS0_4arch9wavefront6targetE0EEEvSV_.kd
    .uniform_work_group_size: 1
    .uses_dynamic_stack: false
    .vgpr_count:     0
    .vgpr_spill_count: 0
    .wavefront_size: 32
    .workgroup_processor_mode: 1
  - .args:
      - .offset:         0
        .size:           152
        .value_kind:     by_value
    .group_segment_fixed_size: 0
    .kernarg_segment_align: 8
    .kernarg_segment_size: 152
    .language:       OpenCL C
    .language_version:
      - 2
      - 0
    .max_flat_workgroup_size: 256
    .name:           _ZN7rocprim17ROCPRIM_400000_NS6detail17trampoline_kernelINS0_13select_configILj256ELj13ELNS0_17block_load_methodE3ELS4_3ELS4_3ELNS0_20block_scan_algorithmE0ELj4294967295EEENS1_25partition_config_selectorILNS1_17partition_subalgoE3EjNS0_10empty_typeEbEEZZNS1_14partition_implILS8_3ELb0ES6_jNS0_17counting_iteratorIjlEEPS9_SE_NS0_5tupleIJPjSE_EEENSF_IJSE_SE_EEES9_SG_JZNS1_25segmented_radix_sort_implINS0_14default_configELb1EPKlPlSM_SN_N2at6native12_GLOBAL__N_18offset_tEEE10hipError_tPvRmT1_PNSt15iterator_traitsISV_E10value_typeET2_T3_PNSW_IS11_E10value_typeET4_jRbjT5_S17_jjP12ihipStream_tbEUljE_EEESS_ST_SU_S11_S15_S17_T6_T7_T9_mT8_S19_bDpT10_ENKUlT_T0_E_clISt17integral_constantIbLb0EES1L_IbLb1EEEEDaS1H_S1I_EUlS1H_E_NS1_11comp_targetILNS1_3genE10ELNS1_11target_archE1200ELNS1_3gpuE4ELNS1_3repE0EEENS1_30default_config_static_selectorELNS0_4arch9wavefront6targetE0EEEvSV_
    .private_segment_fixed_size: 0
    .sgpr_count:     0
    .sgpr_spill_count: 0
    .symbol:         _ZN7rocprim17ROCPRIM_400000_NS6detail17trampoline_kernelINS0_13select_configILj256ELj13ELNS0_17block_load_methodE3ELS4_3ELS4_3ELNS0_20block_scan_algorithmE0ELj4294967295EEENS1_25partition_config_selectorILNS1_17partition_subalgoE3EjNS0_10empty_typeEbEEZZNS1_14partition_implILS8_3ELb0ES6_jNS0_17counting_iteratorIjlEEPS9_SE_NS0_5tupleIJPjSE_EEENSF_IJSE_SE_EEES9_SG_JZNS1_25segmented_radix_sort_implINS0_14default_configELb1EPKlPlSM_SN_N2at6native12_GLOBAL__N_18offset_tEEE10hipError_tPvRmT1_PNSt15iterator_traitsISV_E10value_typeET2_T3_PNSW_IS11_E10value_typeET4_jRbjT5_S17_jjP12ihipStream_tbEUljE_EEESS_ST_SU_S11_S15_S17_T6_T7_T9_mT8_S19_bDpT10_ENKUlT_T0_E_clISt17integral_constantIbLb0EES1L_IbLb1EEEEDaS1H_S1I_EUlS1H_E_NS1_11comp_targetILNS1_3genE10ELNS1_11target_archE1200ELNS1_3gpuE4ELNS1_3repE0EEENS1_30default_config_static_selectorELNS0_4arch9wavefront6targetE0EEEvSV_.kd
    .uniform_work_group_size: 1
    .uses_dynamic_stack: false
    .vgpr_count:     0
    .vgpr_spill_count: 0
    .wavefront_size: 32
    .workgroup_processor_mode: 1
  - .args:
      - .offset:         0
        .size:           152
        .value_kind:     by_value
    .group_segment_fixed_size: 0
    .kernarg_segment_align: 8
    .kernarg_segment_size: 152
    .language:       OpenCL C
    .language_version:
      - 2
      - 0
    .max_flat_workgroup_size: 256
    .name:           _ZN7rocprim17ROCPRIM_400000_NS6detail17trampoline_kernelINS0_13select_configILj256ELj13ELNS0_17block_load_methodE3ELS4_3ELS4_3ELNS0_20block_scan_algorithmE0ELj4294967295EEENS1_25partition_config_selectorILNS1_17partition_subalgoE3EjNS0_10empty_typeEbEEZZNS1_14partition_implILS8_3ELb0ES6_jNS0_17counting_iteratorIjlEEPS9_SE_NS0_5tupleIJPjSE_EEENSF_IJSE_SE_EEES9_SG_JZNS1_25segmented_radix_sort_implINS0_14default_configELb1EPKlPlSM_SN_N2at6native12_GLOBAL__N_18offset_tEEE10hipError_tPvRmT1_PNSt15iterator_traitsISV_E10value_typeET2_T3_PNSW_IS11_E10value_typeET4_jRbjT5_S17_jjP12ihipStream_tbEUljE_EEESS_ST_SU_S11_S15_S17_T6_T7_T9_mT8_S19_bDpT10_ENKUlT_T0_E_clISt17integral_constantIbLb0EES1L_IbLb1EEEEDaS1H_S1I_EUlS1H_E_NS1_11comp_targetILNS1_3genE9ELNS1_11target_archE1100ELNS1_3gpuE3ELNS1_3repE0EEENS1_30default_config_static_selectorELNS0_4arch9wavefront6targetE0EEEvSV_
    .private_segment_fixed_size: 0
    .sgpr_count:     0
    .sgpr_spill_count: 0
    .symbol:         _ZN7rocprim17ROCPRIM_400000_NS6detail17trampoline_kernelINS0_13select_configILj256ELj13ELNS0_17block_load_methodE3ELS4_3ELS4_3ELNS0_20block_scan_algorithmE0ELj4294967295EEENS1_25partition_config_selectorILNS1_17partition_subalgoE3EjNS0_10empty_typeEbEEZZNS1_14partition_implILS8_3ELb0ES6_jNS0_17counting_iteratorIjlEEPS9_SE_NS0_5tupleIJPjSE_EEENSF_IJSE_SE_EEES9_SG_JZNS1_25segmented_radix_sort_implINS0_14default_configELb1EPKlPlSM_SN_N2at6native12_GLOBAL__N_18offset_tEEE10hipError_tPvRmT1_PNSt15iterator_traitsISV_E10value_typeET2_T3_PNSW_IS11_E10value_typeET4_jRbjT5_S17_jjP12ihipStream_tbEUljE_EEESS_ST_SU_S11_S15_S17_T6_T7_T9_mT8_S19_bDpT10_ENKUlT_T0_E_clISt17integral_constantIbLb0EES1L_IbLb1EEEEDaS1H_S1I_EUlS1H_E_NS1_11comp_targetILNS1_3genE9ELNS1_11target_archE1100ELNS1_3gpuE3ELNS1_3repE0EEENS1_30default_config_static_selectorELNS0_4arch9wavefront6targetE0EEEvSV_.kd
    .uniform_work_group_size: 1
    .uses_dynamic_stack: false
    .vgpr_count:     0
    .vgpr_spill_count: 0
    .wavefront_size: 32
    .workgroup_processor_mode: 1
  - .args:
      - .offset:         0
        .size:           152
        .value_kind:     by_value
    .group_segment_fixed_size: 13320
    .kernarg_segment_align: 8
    .kernarg_segment_size: 152
    .language:       OpenCL C
    .language_version:
      - 2
      - 0
    .max_flat_workgroup_size: 256
    .name:           _ZN7rocprim17ROCPRIM_400000_NS6detail17trampoline_kernelINS0_13select_configILj256ELj13ELNS0_17block_load_methodE3ELS4_3ELS4_3ELNS0_20block_scan_algorithmE0ELj4294967295EEENS1_25partition_config_selectorILNS1_17partition_subalgoE3EjNS0_10empty_typeEbEEZZNS1_14partition_implILS8_3ELb0ES6_jNS0_17counting_iteratorIjlEEPS9_SE_NS0_5tupleIJPjSE_EEENSF_IJSE_SE_EEES9_SG_JZNS1_25segmented_radix_sort_implINS0_14default_configELb1EPKlPlSM_SN_N2at6native12_GLOBAL__N_18offset_tEEE10hipError_tPvRmT1_PNSt15iterator_traitsISV_E10value_typeET2_T3_PNSW_IS11_E10value_typeET4_jRbjT5_S17_jjP12ihipStream_tbEUljE_EEESS_ST_SU_S11_S15_S17_T6_T7_T9_mT8_S19_bDpT10_ENKUlT_T0_E_clISt17integral_constantIbLb0EES1L_IbLb1EEEEDaS1H_S1I_EUlS1H_E_NS1_11comp_targetILNS1_3genE8ELNS1_11target_archE1030ELNS1_3gpuE2ELNS1_3repE0EEENS1_30default_config_static_selectorELNS0_4arch9wavefront6targetE0EEEvSV_
    .private_segment_fixed_size: 0
    .sgpr_count:     28
    .sgpr_spill_count: 0
    .symbol:         _ZN7rocprim17ROCPRIM_400000_NS6detail17trampoline_kernelINS0_13select_configILj256ELj13ELNS0_17block_load_methodE3ELS4_3ELS4_3ELNS0_20block_scan_algorithmE0ELj4294967295EEENS1_25partition_config_selectorILNS1_17partition_subalgoE3EjNS0_10empty_typeEbEEZZNS1_14partition_implILS8_3ELb0ES6_jNS0_17counting_iteratorIjlEEPS9_SE_NS0_5tupleIJPjSE_EEENSF_IJSE_SE_EEES9_SG_JZNS1_25segmented_radix_sort_implINS0_14default_configELb1EPKlPlSM_SN_N2at6native12_GLOBAL__N_18offset_tEEE10hipError_tPvRmT1_PNSt15iterator_traitsISV_E10value_typeET2_T3_PNSW_IS11_E10value_typeET4_jRbjT5_S17_jjP12ihipStream_tbEUljE_EEESS_ST_SU_S11_S15_S17_T6_T7_T9_mT8_S19_bDpT10_ENKUlT_T0_E_clISt17integral_constantIbLb0EES1L_IbLb1EEEEDaS1H_S1I_EUlS1H_E_NS1_11comp_targetILNS1_3genE8ELNS1_11target_archE1030ELNS1_3gpuE2ELNS1_3repE0EEENS1_30default_config_static_selectorELNS0_4arch9wavefront6targetE0EEEvSV_.kd
    .uniform_work_group_size: 1
    .uses_dynamic_stack: false
    .vgpr_count:     71
    .vgpr_spill_count: 0
    .wavefront_size: 32
    .workgroup_processor_mode: 1
  - .args:
      - .offset:         0
        .size:           96
        .value_kind:     by_value
    .group_segment_fixed_size: 0
    .kernarg_segment_align: 8
    .kernarg_segment_size: 96
    .language:       OpenCL C
    .language_version:
      - 2
      - 0
    .max_flat_workgroup_size: 256
    .name:           _ZN7rocprim17ROCPRIM_400000_NS6detail17trampoline_kernelINS0_14default_configENS1_36segmented_radix_sort_config_selectorIllEEZNS1_25segmented_radix_sort_implIS3_Lb1EPKlPlS8_S9_N2at6native12_GLOBAL__N_18offset_tEEE10hipError_tPvRmT1_PNSt15iterator_traitsISH_E10value_typeET2_T3_PNSI_ISN_E10value_typeET4_jRbjT5_ST_jjP12ihipStream_tbEUlT_E_NS1_11comp_targetILNS1_3genE0ELNS1_11target_archE4294967295ELNS1_3gpuE0ELNS1_3repE0EEENS1_30default_config_static_selectorELNS0_4arch9wavefront6targetE0EEEvSH_
    .private_segment_fixed_size: 0
    .sgpr_count:     0
    .sgpr_spill_count: 0
    .symbol:         _ZN7rocprim17ROCPRIM_400000_NS6detail17trampoline_kernelINS0_14default_configENS1_36segmented_radix_sort_config_selectorIllEEZNS1_25segmented_radix_sort_implIS3_Lb1EPKlPlS8_S9_N2at6native12_GLOBAL__N_18offset_tEEE10hipError_tPvRmT1_PNSt15iterator_traitsISH_E10value_typeET2_T3_PNSI_ISN_E10value_typeET4_jRbjT5_ST_jjP12ihipStream_tbEUlT_E_NS1_11comp_targetILNS1_3genE0ELNS1_11target_archE4294967295ELNS1_3gpuE0ELNS1_3repE0EEENS1_30default_config_static_selectorELNS0_4arch9wavefront6targetE0EEEvSH_.kd
    .uniform_work_group_size: 1
    .uses_dynamic_stack: false
    .vgpr_count:     0
    .vgpr_spill_count: 0
    .wavefront_size: 32
    .workgroup_processor_mode: 1
  - .args:
      - .offset:         0
        .size:           96
        .value_kind:     by_value
    .group_segment_fixed_size: 0
    .kernarg_segment_align: 8
    .kernarg_segment_size: 96
    .language:       OpenCL C
    .language_version:
      - 2
      - 0
    .max_flat_workgroup_size: 256
    .name:           _ZN7rocprim17ROCPRIM_400000_NS6detail17trampoline_kernelINS0_14default_configENS1_36segmented_radix_sort_config_selectorIllEEZNS1_25segmented_radix_sort_implIS3_Lb1EPKlPlS8_S9_N2at6native12_GLOBAL__N_18offset_tEEE10hipError_tPvRmT1_PNSt15iterator_traitsISH_E10value_typeET2_T3_PNSI_ISN_E10value_typeET4_jRbjT5_ST_jjP12ihipStream_tbEUlT_E_NS1_11comp_targetILNS1_3genE5ELNS1_11target_archE942ELNS1_3gpuE9ELNS1_3repE0EEENS1_30default_config_static_selectorELNS0_4arch9wavefront6targetE0EEEvSH_
    .private_segment_fixed_size: 0
    .sgpr_count:     0
    .sgpr_spill_count: 0
    .symbol:         _ZN7rocprim17ROCPRIM_400000_NS6detail17trampoline_kernelINS0_14default_configENS1_36segmented_radix_sort_config_selectorIllEEZNS1_25segmented_radix_sort_implIS3_Lb1EPKlPlS8_S9_N2at6native12_GLOBAL__N_18offset_tEEE10hipError_tPvRmT1_PNSt15iterator_traitsISH_E10value_typeET2_T3_PNSI_ISN_E10value_typeET4_jRbjT5_ST_jjP12ihipStream_tbEUlT_E_NS1_11comp_targetILNS1_3genE5ELNS1_11target_archE942ELNS1_3gpuE9ELNS1_3repE0EEENS1_30default_config_static_selectorELNS0_4arch9wavefront6targetE0EEEvSH_.kd
    .uniform_work_group_size: 1
    .uses_dynamic_stack: false
    .vgpr_count:     0
    .vgpr_spill_count: 0
    .wavefront_size: 32
    .workgroup_processor_mode: 1
  - .args:
      - .offset:         0
        .size:           96
        .value_kind:     by_value
    .group_segment_fixed_size: 0
    .kernarg_segment_align: 8
    .kernarg_segment_size: 96
    .language:       OpenCL C
    .language_version:
      - 2
      - 0
    .max_flat_workgroup_size: 256
    .name:           _ZN7rocprim17ROCPRIM_400000_NS6detail17trampoline_kernelINS0_14default_configENS1_36segmented_radix_sort_config_selectorIllEEZNS1_25segmented_radix_sort_implIS3_Lb1EPKlPlS8_S9_N2at6native12_GLOBAL__N_18offset_tEEE10hipError_tPvRmT1_PNSt15iterator_traitsISH_E10value_typeET2_T3_PNSI_ISN_E10value_typeET4_jRbjT5_ST_jjP12ihipStream_tbEUlT_E_NS1_11comp_targetILNS1_3genE4ELNS1_11target_archE910ELNS1_3gpuE8ELNS1_3repE0EEENS1_30default_config_static_selectorELNS0_4arch9wavefront6targetE0EEEvSH_
    .private_segment_fixed_size: 0
    .sgpr_count:     0
    .sgpr_spill_count: 0
    .symbol:         _ZN7rocprim17ROCPRIM_400000_NS6detail17trampoline_kernelINS0_14default_configENS1_36segmented_radix_sort_config_selectorIllEEZNS1_25segmented_radix_sort_implIS3_Lb1EPKlPlS8_S9_N2at6native12_GLOBAL__N_18offset_tEEE10hipError_tPvRmT1_PNSt15iterator_traitsISH_E10value_typeET2_T3_PNSI_ISN_E10value_typeET4_jRbjT5_ST_jjP12ihipStream_tbEUlT_E_NS1_11comp_targetILNS1_3genE4ELNS1_11target_archE910ELNS1_3gpuE8ELNS1_3repE0EEENS1_30default_config_static_selectorELNS0_4arch9wavefront6targetE0EEEvSH_.kd
    .uniform_work_group_size: 1
    .uses_dynamic_stack: false
    .vgpr_count:     0
    .vgpr_spill_count: 0
    .wavefront_size: 32
    .workgroup_processor_mode: 1
  - .args:
      - .offset:         0
        .size:           96
        .value_kind:     by_value
    .group_segment_fixed_size: 0
    .kernarg_segment_align: 8
    .kernarg_segment_size: 96
    .language:       OpenCL C
    .language_version:
      - 2
      - 0
    .max_flat_workgroup_size: 256
    .name:           _ZN7rocprim17ROCPRIM_400000_NS6detail17trampoline_kernelINS0_14default_configENS1_36segmented_radix_sort_config_selectorIllEEZNS1_25segmented_radix_sort_implIS3_Lb1EPKlPlS8_S9_N2at6native12_GLOBAL__N_18offset_tEEE10hipError_tPvRmT1_PNSt15iterator_traitsISH_E10value_typeET2_T3_PNSI_ISN_E10value_typeET4_jRbjT5_ST_jjP12ihipStream_tbEUlT_E_NS1_11comp_targetILNS1_3genE3ELNS1_11target_archE908ELNS1_3gpuE7ELNS1_3repE0EEENS1_30default_config_static_selectorELNS0_4arch9wavefront6targetE0EEEvSH_
    .private_segment_fixed_size: 0
    .sgpr_count:     0
    .sgpr_spill_count: 0
    .symbol:         _ZN7rocprim17ROCPRIM_400000_NS6detail17trampoline_kernelINS0_14default_configENS1_36segmented_radix_sort_config_selectorIllEEZNS1_25segmented_radix_sort_implIS3_Lb1EPKlPlS8_S9_N2at6native12_GLOBAL__N_18offset_tEEE10hipError_tPvRmT1_PNSt15iterator_traitsISH_E10value_typeET2_T3_PNSI_ISN_E10value_typeET4_jRbjT5_ST_jjP12ihipStream_tbEUlT_E_NS1_11comp_targetILNS1_3genE3ELNS1_11target_archE908ELNS1_3gpuE7ELNS1_3repE0EEENS1_30default_config_static_selectorELNS0_4arch9wavefront6targetE0EEEvSH_.kd
    .uniform_work_group_size: 1
    .uses_dynamic_stack: false
    .vgpr_count:     0
    .vgpr_spill_count: 0
    .wavefront_size: 32
    .workgroup_processor_mode: 1
  - .args:
      - .offset:         0
        .size:           96
        .value_kind:     by_value
    .group_segment_fixed_size: 0
    .kernarg_segment_align: 8
    .kernarg_segment_size: 96
    .language:       OpenCL C
    .language_version:
      - 2
      - 0
    .max_flat_workgroup_size: 256
    .name:           _ZN7rocprim17ROCPRIM_400000_NS6detail17trampoline_kernelINS0_14default_configENS1_36segmented_radix_sort_config_selectorIllEEZNS1_25segmented_radix_sort_implIS3_Lb1EPKlPlS8_S9_N2at6native12_GLOBAL__N_18offset_tEEE10hipError_tPvRmT1_PNSt15iterator_traitsISH_E10value_typeET2_T3_PNSI_ISN_E10value_typeET4_jRbjT5_ST_jjP12ihipStream_tbEUlT_E_NS1_11comp_targetILNS1_3genE2ELNS1_11target_archE906ELNS1_3gpuE6ELNS1_3repE0EEENS1_30default_config_static_selectorELNS0_4arch9wavefront6targetE0EEEvSH_
    .private_segment_fixed_size: 0
    .sgpr_count:     0
    .sgpr_spill_count: 0
    .symbol:         _ZN7rocprim17ROCPRIM_400000_NS6detail17trampoline_kernelINS0_14default_configENS1_36segmented_radix_sort_config_selectorIllEEZNS1_25segmented_radix_sort_implIS3_Lb1EPKlPlS8_S9_N2at6native12_GLOBAL__N_18offset_tEEE10hipError_tPvRmT1_PNSt15iterator_traitsISH_E10value_typeET2_T3_PNSI_ISN_E10value_typeET4_jRbjT5_ST_jjP12ihipStream_tbEUlT_E_NS1_11comp_targetILNS1_3genE2ELNS1_11target_archE906ELNS1_3gpuE6ELNS1_3repE0EEENS1_30default_config_static_selectorELNS0_4arch9wavefront6targetE0EEEvSH_.kd
    .uniform_work_group_size: 1
    .uses_dynamic_stack: false
    .vgpr_count:     0
    .vgpr_spill_count: 0
    .wavefront_size: 32
    .workgroup_processor_mode: 1
  - .args:
      - .offset:         0
        .size:           96
        .value_kind:     by_value
    .group_segment_fixed_size: 0
    .kernarg_segment_align: 8
    .kernarg_segment_size: 96
    .language:       OpenCL C
    .language_version:
      - 2
      - 0
    .max_flat_workgroup_size: 256
    .name:           _ZN7rocprim17ROCPRIM_400000_NS6detail17trampoline_kernelINS0_14default_configENS1_36segmented_radix_sort_config_selectorIllEEZNS1_25segmented_radix_sort_implIS3_Lb1EPKlPlS8_S9_N2at6native12_GLOBAL__N_18offset_tEEE10hipError_tPvRmT1_PNSt15iterator_traitsISH_E10value_typeET2_T3_PNSI_ISN_E10value_typeET4_jRbjT5_ST_jjP12ihipStream_tbEUlT_E_NS1_11comp_targetILNS1_3genE10ELNS1_11target_archE1201ELNS1_3gpuE5ELNS1_3repE0EEENS1_30default_config_static_selectorELNS0_4arch9wavefront6targetE0EEEvSH_
    .private_segment_fixed_size: 0
    .sgpr_count:     0
    .sgpr_spill_count: 0
    .symbol:         _ZN7rocprim17ROCPRIM_400000_NS6detail17trampoline_kernelINS0_14default_configENS1_36segmented_radix_sort_config_selectorIllEEZNS1_25segmented_radix_sort_implIS3_Lb1EPKlPlS8_S9_N2at6native12_GLOBAL__N_18offset_tEEE10hipError_tPvRmT1_PNSt15iterator_traitsISH_E10value_typeET2_T3_PNSI_ISN_E10value_typeET4_jRbjT5_ST_jjP12ihipStream_tbEUlT_E_NS1_11comp_targetILNS1_3genE10ELNS1_11target_archE1201ELNS1_3gpuE5ELNS1_3repE0EEENS1_30default_config_static_selectorELNS0_4arch9wavefront6targetE0EEEvSH_.kd
    .uniform_work_group_size: 1
    .uses_dynamic_stack: false
    .vgpr_count:     0
    .vgpr_spill_count: 0
    .wavefront_size: 32
    .workgroup_processor_mode: 1
  - .args:
      - .offset:         0
        .size:           96
        .value_kind:     by_value
    .group_segment_fixed_size: 0
    .kernarg_segment_align: 8
    .kernarg_segment_size: 96
    .language:       OpenCL C
    .language_version:
      - 2
      - 0
    .max_flat_workgroup_size: 128
    .name:           _ZN7rocprim17ROCPRIM_400000_NS6detail17trampoline_kernelINS0_14default_configENS1_36segmented_radix_sort_config_selectorIllEEZNS1_25segmented_radix_sort_implIS3_Lb1EPKlPlS8_S9_N2at6native12_GLOBAL__N_18offset_tEEE10hipError_tPvRmT1_PNSt15iterator_traitsISH_E10value_typeET2_T3_PNSI_ISN_E10value_typeET4_jRbjT5_ST_jjP12ihipStream_tbEUlT_E_NS1_11comp_targetILNS1_3genE10ELNS1_11target_archE1200ELNS1_3gpuE4ELNS1_3repE0EEENS1_30default_config_static_selectorELNS0_4arch9wavefront6targetE0EEEvSH_
    .private_segment_fixed_size: 0
    .sgpr_count:     0
    .sgpr_spill_count: 0
    .symbol:         _ZN7rocprim17ROCPRIM_400000_NS6detail17trampoline_kernelINS0_14default_configENS1_36segmented_radix_sort_config_selectorIllEEZNS1_25segmented_radix_sort_implIS3_Lb1EPKlPlS8_S9_N2at6native12_GLOBAL__N_18offset_tEEE10hipError_tPvRmT1_PNSt15iterator_traitsISH_E10value_typeET2_T3_PNSI_ISN_E10value_typeET4_jRbjT5_ST_jjP12ihipStream_tbEUlT_E_NS1_11comp_targetILNS1_3genE10ELNS1_11target_archE1200ELNS1_3gpuE4ELNS1_3repE0EEENS1_30default_config_static_selectorELNS0_4arch9wavefront6targetE0EEEvSH_.kd
    .uniform_work_group_size: 1
    .uses_dynamic_stack: false
    .vgpr_count:     0
    .vgpr_spill_count: 0
    .wavefront_size: 32
    .workgroup_processor_mode: 1
  - .args:
      - .offset:         0
        .size:           96
        .value_kind:     by_value
    .group_segment_fixed_size: 0
    .kernarg_segment_align: 8
    .kernarg_segment_size: 96
    .language:       OpenCL C
    .language_version:
      - 2
      - 0
    .max_flat_workgroup_size: 256
    .name:           _ZN7rocprim17ROCPRIM_400000_NS6detail17trampoline_kernelINS0_14default_configENS1_36segmented_radix_sort_config_selectorIllEEZNS1_25segmented_radix_sort_implIS3_Lb1EPKlPlS8_S9_N2at6native12_GLOBAL__N_18offset_tEEE10hipError_tPvRmT1_PNSt15iterator_traitsISH_E10value_typeET2_T3_PNSI_ISN_E10value_typeET4_jRbjT5_ST_jjP12ihipStream_tbEUlT_E_NS1_11comp_targetILNS1_3genE9ELNS1_11target_archE1100ELNS1_3gpuE3ELNS1_3repE0EEENS1_30default_config_static_selectorELNS0_4arch9wavefront6targetE0EEEvSH_
    .private_segment_fixed_size: 0
    .sgpr_count:     0
    .sgpr_spill_count: 0
    .symbol:         _ZN7rocprim17ROCPRIM_400000_NS6detail17trampoline_kernelINS0_14default_configENS1_36segmented_radix_sort_config_selectorIllEEZNS1_25segmented_radix_sort_implIS3_Lb1EPKlPlS8_S9_N2at6native12_GLOBAL__N_18offset_tEEE10hipError_tPvRmT1_PNSt15iterator_traitsISH_E10value_typeET2_T3_PNSI_ISN_E10value_typeET4_jRbjT5_ST_jjP12ihipStream_tbEUlT_E_NS1_11comp_targetILNS1_3genE9ELNS1_11target_archE1100ELNS1_3gpuE3ELNS1_3repE0EEENS1_30default_config_static_selectorELNS0_4arch9wavefront6targetE0EEEvSH_.kd
    .uniform_work_group_size: 1
    .uses_dynamic_stack: false
    .vgpr_count:     0
    .vgpr_spill_count: 0
    .wavefront_size: 32
    .workgroup_processor_mode: 1
  - .args:
      - .offset:         0
        .size:           96
        .value_kind:     by_value
      - .offset:         96
        .size:           4
        .value_kind:     hidden_block_count_x
      - .offset:         100
        .size:           4
        .value_kind:     hidden_block_count_y
      - .offset:         104
        .size:           4
        .value_kind:     hidden_block_count_z
      - .offset:         108
        .size:           2
        .value_kind:     hidden_group_size_x
      - .offset:         110
        .size:           2
        .value_kind:     hidden_group_size_y
      - .offset:         112
        .size:           2
        .value_kind:     hidden_group_size_z
      - .offset:         114
        .size:           2
        .value_kind:     hidden_remainder_x
      - .offset:         116
        .size:           2
        .value_kind:     hidden_remainder_y
      - .offset:         118
        .size:           2
        .value_kind:     hidden_remainder_z
      - .offset:         136
        .size:           8
        .value_kind:     hidden_global_offset_x
      - .offset:         144
        .size:           8
        .value_kind:     hidden_global_offset_y
      - .offset:         152
        .size:           8
        .value_kind:     hidden_global_offset_z
      - .offset:         160
        .size:           2
        .value_kind:     hidden_grid_dims
    .group_segment_fixed_size: 33296
    .kernarg_segment_align: 8
    .kernarg_segment_size: 352
    .language:       OpenCL C
    .language_version:
      - 2
      - 0
    .max_flat_workgroup_size: 256
    .name:           _ZN7rocprim17ROCPRIM_400000_NS6detail17trampoline_kernelINS0_14default_configENS1_36segmented_radix_sort_config_selectorIllEEZNS1_25segmented_radix_sort_implIS3_Lb1EPKlPlS8_S9_N2at6native12_GLOBAL__N_18offset_tEEE10hipError_tPvRmT1_PNSt15iterator_traitsISH_E10value_typeET2_T3_PNSI_ISN_E10value_typeET4_jRbjT5_ST_jjP12ihipStream_tbEUlT_E_NS1_11comp_targetILNS1_3genE8ELNS1_11target_archE1030ELNS1_3gpuE2ELNS1_3repE0EEENS1_30default_config_static_selectorELNS0_4arch9wavefront6targetE0EEEvSH_
    .private_segment_fixed_size: 176
    .sgpr_count:     70
    .sgpr_spill_count: 0
    .symbol:         _ZN7rocprim17ROCPRIM_400000_NS6detail17trampoline_kernelINS0_14default_configENS1_36segmented_radix_sort_config_selectorIllEEZNS1_25segmented_radix_sort_implIS3_Lb1EPKlPlS8_S9_N2at6native12_GLOBAL__N_18offset_tEEE10hipError_tPvRmT1_PNSt15iterator_traitsISH_E10value_typeET2_T3_PNSI_ISN_E10value_typeET4_jRbjT5_ST_jjP12ihipStream_tbEUlT_E_NS1_11comp_targetILNS1_3genE8ELNS1_11target_archE1030ELNS1_3gpuE2ELNS1_3repE0EEENS1_30default_config_static_selectorELNS0_4arch9wavefront6targetE0EEEvSH_.kd
    .uniform_work_group_size: 1
    .uses_dynamic_stack: false
    .vgpr_count:     248
    .vgpr_spill_count: 0
    .wavefront_size: 32
    .workgroup_processor_mode: 1
  - .args:
      - .offset:         0
        .size:           88
        .value_kind:     by_value
    .group_segment_fixed_size: 0
    .kernarg_segment_align: 8
    .kernarg_segment_size: 88
    .language:       OpenCL C
    .language_version:
      - 2
      - 0
    .max_flat_workgroup_size: 256
    .name:           _ZN7rocprim17ROCPRIM_400000_NS6detail17trampoline_kernelINS0_14default_configENS1_36segmented_radix_sort_config_selectorIllEEZNS1_25segmented_radix_sort_implIS3_Lb1EPKlPlS8_S9_N2at6native12_GLOBAL__N_18offset_tEEE10hipError_tPvRmT1_PNSt15iterator_traitsISH_E10value_typeET2_T3_PNSI_ISN_E10value_typeET4_jRbjT5_ST_jjP12ihipStream_tbEUlT_E0_NS1_11comp_targetILNS1_3genE0ELNS1_11target_archE4294967295ELNS1_3gpuE0ELNS1_3repE0EEENS1_60segmented_radix_sort_warp_sort_medium_config_static_selectorELNS0_4arch9wavefront6targetE0EEEvSH_
    .private_segment_fixed_size: 0
    .sgpr_count:     0
    .sgpr_spill_count: 0
    .symbol:         _ZN7rocprim17ROCPRIM_400000_NS6detail17trampoline_kernelINS0_14default_configENS1_36segmented_radix_sort_config_selectorIllEEZNS1_25segmented_radix_sort_implIS3_Lb1EPKlPlS8_S9_N2at6native12_GLOBAL__N_18offset_tEEE10hipError_tPvRmT1_PNSt15iterator_traitsISH_E10value_typeET2_T3_PNSI_ISN_E10value_typeET4_jRbjT5_ST_jjP12ihipStream_tbEUlT_E0_NS1_11comp_targetILNS1_3genE0ELNS1_11target_archE4294967295ELNS1_3gpuE0ELNS1_3repE0EEENS1_60segmented_radix_sort_warp_sort_medium_config_static_selectorELNS0_4arch9wavefront6targetE0EEEvSH_.kd
    .uniform_work_group_size: 1
    .uses_dynamic_stack: false
    .vgpr_count:     0
    .vgpr_spill_count: 0
    .wavefront_size: 32
    .workgroup_processor_mode: 1
  - .args:
      - .offset:         0
        .size:           88
        .value_kind:     by_value
    .group_segment_fixed_size: 0
    .kernarg_segment_align: 8
    .kernarg_segment_size: 88
    .language:       OpenCL C
    .language_version:
      - 2
      - 0
    .max_flat_workgroup_size: 256
    .name:           _ZN7rocprim17ROCPRIM_400000_NS6detail17trampoline_kernelINS0_14default_configENS1_36segmented_radix_sort_config_selectorIllEEZNS1_25segmented_radix_sort_implIS3_Lb1EPKlPlS8_S9_N2at6native12_GLOBAL__N_18offset_tEEE10hipError_tPvRmT1_PNSt15iterator_traitsISH_E10value_typeET2_T3_PNSI_ISN_E10value_typeET4_jRbjT5_ST_jjP12ihipStream_tbEUlT_E0_NS1_11comp_targetILNS1_3genE5ELNS1_11target_archE942ELNS1_3gpuE9ELNS1_3repE0EEENS1_60segmented_radix_sort_warp_sort_medium_config_static_selectorELNS0_4arch9wavefront6targetE0EEEvSH_
    .private_segment_fixed_size: 0
    .sgpr_count:     0
    .sgpr_spill_count: 0
    .symbol:         _ZN7rocprim17ROCPRIM_400000_NS6detail17trampoline_kernelINS0_14default_configENS1_36segmented_radix_sort_config_selectorIllEEZNS1_25segmented_radix_sort_implIS3_Lb1EPKlPlS8_S9_N2at6native12_GLOBAL__N_18offset_tEEE10hipError_tPvRmT1_PNSt15iterator_traitsISH_E10value_typeET2_T3_PNSI_ISN_E10value_typeET4_jRbjT5_ST_jjP12ihipStream_tbEUlT_E0_NS1_11comp_targetILNS1_3genE5ELNS1_11target_archE942ELNS1_3gpuE9ELNS1_3repE0EEENS1_60segmented_radix_sort_warp_sort_medium_config_static_selectorELNS0_4arch9wavefront6targetE0EEEvSH_.kd
    .uniform_work_group_size: 1
    .uses_dynamic_stack: false
    .vgpr_count:     0
    .vgpr_spill_count: 0
    .wavefront_size: 32
    .workgroup_processor_mode: 1
  - .args:
      - .offset:         0
        .size:           88
        .value_kind:     by_value
    .group_segment_fixed_size: 0
    .kernarg_segment_align: 8
    .kernarg_segment_size: 88
    .language:       OpenCL C
    .language_version:
      - 2
      - 0
    .max_flat_workgroup_size: 256
    .name:           _ZN7rocprim17ROCPRIM_400000_NS6detail17trampoline_kernelINS0_14default_configENS1_36segmented_radix_sort_config_selectorIllEEZNS1_25segmented_radix_sort_implIS3_Lb1EPKlPlS8_S9_N2at6native12_GLOBAL__N_18offset_tEEE10hipError_tPvRmT1_PNSt15iterator_traitsISH_E10value_typeET2_T3_PNSI_ISN_E10value_typeET4_jRbjT5_ST_jjP12ihipStream_tbEUlT_E0_NS1_11comp_targetILNS1_3genE4ELNS1_11target_archE910ELNS1_3gpuE8ELNS1_3repE0EEENS1_60segmented_radix_sort_warp_sort_medium_config_static_selectorELNS0_4arch9wavefront6targetE0EEEvSH_
    .private_segment_fixed_size: 0
    .sgpr_count:     0
    .sgpr_spill_count: 0
    .symbol:         _ZN7rocprim17ROCPRIM_400000_NS6detail17trampoline_kernelINS0_14default_configENS1_36segmented_radix_sort_config_selectorIllEEZNS1_25segmented_radix_sort_implIS3_Lb1EPKlPlS8_S9_N2at6native12_GLOBAL__N_18offset_tEEE10hipError_tPvRmT1_PNSt15iterator_traitsISH_E10value_typeET2_T3_PNSI_ISN_E10value_typeET4_jRbjT5_ST_jjP12ihipStream_tbEUlT_E0_NS1_11comp_targetILNS1_3genE4ELNS1_11target_archE910ELNS1_3gpuE8ELNS1_3repE0EEENS1_60segmented_radix_sort_warp_sort_medium_config_static_selectorELNS0_4arch9wavefront6targetE0EEEvSH_.kd
    .uniform_work_group_size: 1
    .uses_dynamic_stack: false
    .vgpr_count:     0
    .vgpr_spill_count: 0
    .wavefront_size: 32
    .workgroup_processor_mode: 1
  - .args:
      - .offset:         0
        .size:           88
        .value_kind:     by_value
    .group_segment_fixed_size: 0
    .kernarg_segment_align: 8
    .kernarg_segment_size: 88
    .language:       OpenCL C
    .language_version:
      - 2
      - 0
    .max_flat_workgroup_size: 256
    .name:           _ZN7rocprim17ROCPRIM_400000_NS6detail17trampoline_kernelINS0_14default_configENS1_36segmented_radix_sort_config_selectorIllEEZNS1_25segmented_radix_sort_implIS3_Lb1EPKlPlS8_S9_N2at6native12_GLOBAL__N_18offset_tEEE10hipError_tPvRmT1_PNSt15iterator_traitsISH_E10value_typeET2_T3_PNSI_ISN_E10value_typeET4_jRbjT5_ST_jjP12ihipStream_tbEUlT_E0_NS1_11comp_targetILNS1_3genE3ELNS1_11target_archE908ELNS1_3gpuE7ELNS1_3repE0EEENS1_60segmented_radix_sort_warp_sort_medium_config_static_selectorELNS0_4arch9wavefront6targetE0EEEvSH_
    .private_segment_fixed_size: 0
    .sgpr_count:     0
    .sgpr_spill_count: 0
    .symbol:         _ZN7rocprim17ROCPRIM_400000_NS6detail17trampoline_kernelINS0_14default_configENS1_36segmented_radix_sort_config_selectorIllEEZNS1_25segmented_radix_sort_implIS3_Lb1EPKlPlS8_S9_N2at6native12_GLOBAL__N_18offset_tEEE10hipError_tPvRmT1_PNSt15iterator_traitsISH_E10value_typeET2_T3_PNSI_ISN_E10value_typeET4_jRbjT5_ST_jjP12ihipStream_tbEUlT_E0_NS1_11comp_targetILNS1_3genE3ELNS1_11target_archE908ELNS1_3gpuE7ELNS1_3repE0EEENS1_60segmented_radix_sort_warp_sort_medium_config_static_selectorELNS0_4arch9wavefront6targetE0EEEvSH_.kd
    .uniform_work_group_size: 1
    .uses_dynamic_stack: false
    .vgpr_count:     0
    .vgpr_spill_count: 0
    .wavefront_size: 32
    .workgroup_processor_mode: 1
  - .args:
      - .offset:         0
        .size:           88
        .value_kind:     by_value
    .group_segment_fixed_size: 0
    .kernarg_segment_align: 8
    .kernarg_segment_size: 88
    .language:       OpenCL C
    .language_version:
      - 2
      - 0
    .max_flat_workgroup_size: 256
    .name:           _ZN7rocprim17ROCPRIM_400000_NS6detail17trampoline_kernelINS0_14default_configENS1_36segmented_radix_sort_config_selectorIllEEZNS1_25segmented_radix_sort_implIS3_Lb1EPKlPlS8_S9_N2at6native12_GLOBAL__N_18offset_tEEE10hipError_tPvRmT1_PNSt15iterator_traitsISH_E10value_typeET2_T3_PNSI_ISN_E10value_typeET4_jRbjT5_ST_jjP12ihipStream_tbEUlT_E0_NS1_11comp_targetILNS1_3genE2ELNS1_11target_archE906ELNS1_3gpuE6ELNS1_3repE0EEENS1_60segmented_radix_sort_warp_sort_medium_config_static_selectorELNS0_4arch9wavefront6targetE0EEEvSH_
    .private_segment_fixed_size: 0
    .sgpr_count:     0
    .sgpr_spill_count: 0
    .symbol:         _ZN7rocprim17ROCPRIM_400000_NS6detail17trampoline_kernelINS0_14default_configENS1_36segmented_radix_sort_config_selectorIllEEZNS1_25segmented_radix_sort_implIS3_Lb1EPKlPlS8_S9_N2at6native12_GLOBAL__N_18offset_tEEE10hipError_tPvRmT1_PNSt15iterator_traitsISH_E10value_typeET2_T3_PNSI_ISN_E10value_typeET4_jRbjT5_ST_jjP12ihipStream_tbEUlT_E0_NS1_11comp_targetILNS1_3genE2ELNS1_11target_archE906ELNS1_3gpuE6ELNS1_3repE0EEENS1_60segmented_radix_sort_warp_sort_medium_config_static_selectorELNS0_4arch9wavefront6targetE0EEEvSH_.kd
    .uniform_work_group_size: 1
    .uses_dynamic_stack: false
    .vgpr_count:     0
    .vgpr_spill_count: 0
    .wavefront_size: 32
    .workgroup_processor_mode: 1
  - .args:
      - .offset:         0
        .size:           88
        .value_kind:     by_value
    .group_segment_fixed_size: 0
    .kernarg_segment_align: 8
    .kernarg_segment_size: 88
    .language:       OpenCL C
    .language_version:
      - 2
      - 0
    .max_flat_workgroup_size: 256
    .name:           _ZN7rocprim17ROCPRIM_400000_NS6detail17trampoline_kernelINS0_14default_configENS1_36segmented_radix_sort_config_selectorIllEEZNS1_25segmented_radix_sort_implIS3_Lb1EPKlPlS8_S9_N2at6native12_GLOBAL__N_18offset_tEEE10hipError_tPvRmT1_PNSt15iterator_traitsISH_E10value_typeET2_T3_PNSI_ISN_E10value_typeET4_jRbjT5_ST_jjP12ihipStream_tbEUlT_E0_NS1_11comp_targetILNS1_3genE10ELNS1_11target_archE1201ELNS1_3gpuE5ELNS1_3repE0EEENS1_60segmented_radix_sort_warp_sort_medium_config_static_selectorELNS0_4arch9wavefront6targetE0EEEvSH_
    .private_segment_fixed_size: 0
    .sgpr_count:     0
    .sgpr_spill_count: 0
    .symbol:         _ZN7rocprim17ROCPRIM_400000_NS6detail17trampoline_kernelINS0_14default_configENS1_36segmented_radix_sort_config_selectorIllEEZNS1_25segmented_radix_sort_implIS3_Lb1EPKlPlS8_S9_N2at6native12_GLOBAL__N_18offset_tEEE10hipError_tPvRmT1_PNSt15iterator_traitsISH_E10value_typeET2_T3_PNSI_ISN_E10value_typeET4_jRbjT5_ST_jjP12ihipStream_tbEUlT_E0_NS1_11comp_targetILNS1_3genE10ELNS1_11target_archE1201ELNS1_3gpuE5ELNS1_3repE0EEENS1_60segmented_radix_sort_warp_sort_medium_config_static_selectorELNS0_4arch9wavefront6targetE0EEEvSH_.kd
    .uniform_work_group_size: 1
    .uses_dynamic_stack: false
    .vgpr_count:     0
    .vgpr_spill_count: 0
    .wavefront_size: 32
    .workgroup_processor_mode: 1
  - .args:
      - .offset:         0
        .size:           88
        .value_kind:     by_value
    .group_segment_fixed_size: 0
    .kernarg_segment_align: 8
    .kernarg_segment_size: 88
    .language:       OpenCL C
    .language_version:
      - 2
      - 0
    .max_flat_workgroup_size: 256
    .name:           _ZN7rocprim17ROCPRIM_400000_NS6detail17trampoline_kernelINS0_14default_configENS1_36segmented_radix_sort_config_selectorIllEEZNS1_25segmented_radix_sort_implIS3_Lb1EPKlPlS8_S9_N2at6native12_GLOBAL__N_18offset_tEEE10hipError_tPvRmT1_PNSt15iterator_traitsISH_E10value_typeET2_T3_PNSI_ISN_E10value_typeET4_jRbjT5_ST_jjP12ihipStream_tbEUlT_E0_NS1_11comp_targetILNS1_3genE10ELNS1_11target_archE1200ELNS1_3gpuE4ELNS1_3repE0EEENS1_60segmented_radix_sort_warp_sort_medium_config_static_selectorELNS0_4arch9wavefront6targetE0EEEvSH_
    .private_segment_fixed_size: 0
    .sgpr_count:     0
    .sgpr_spill_count: 0
    .symbol:         _ZN7rocprim17ROCPRIM_400000_NS6detail17trampoline_kernelINS0_14default_configENS1_36segmented_radix_sort_config_selectorIllEEZNS1_25segmented_radix_sort_implIS3_Lb1EPKlPlS8_S9_N2at6native12_GLOBAL__N_18offset_tEEE10hipError_tPvRmT1_PNSt15iterator_traitsISH_E10value_typeET2_T3_PNSI_ISN_E10value_typeET4_jRbjT5_ST_jjP12ihipStream_tbEUlT_E0_NS1_11comp_targetILNS1_3genE10ELNS1_11target_archE1200ELNS1_3gpuE4ELNS1_3repE0EEENS1_60segmented_radix_sort_warp_sort_medium_config_static_selectorELNS0_4arch9wavefront6targetE0EEEvSH_.kd
    .uniform_work_group_size: 1
    .uses_dynamic_stack: false
    .vgpr_count:     0
    .vgpr_spill_count: 0
    .wavefront_size: 32
    .workgroup_processor_mode: 1
  - .args:
      - .offset:         0
        .size:           88
        .value_kind:     by_value
    .group_segment_fixed_size: 0
    .kernarg_segment_align: 8
    .kernarg_segment_size: 88
    .language:       OpenCL C
    .language_version:
      - 2
      - 0
    .max_flat_workgroup_size: 256
    .name:           _ZN7rocprim17ROCPRIM_400000_NS6detail17trampoline_kernelINS0_14default_configENS1_36segmented_radix_sort_config_selectorIllEEZNS1_25segmented_radix_sort_implIS3_Lb1EPKlPlS8_S9_N2at6native12_GLOBAL__N_18offset_tEEE10hipError_tPvRmT1_PNSt15iterator_traitsISH_E10value_typeET2_T3_PNSI_ISN_E10value_typeET4_jRbjT5_ST_jjP12ihipStream_tbEUlT_E0_NS1_11comp_targetILNS1_3genE9ELNS1_11target_archE1100ELNS1_3gpuE3ELNS1_3repE0EEENS1_60segmented_radix_sort_warp_sort_medium_config_static_selectorELNS0_4arch9wavefront6targetE0EEEvSH_
    .private_segment_fixed_size: 0
    .sgpr_count:     0
    .sgpr_spill_count: 0
    .symbol:         _ZN7rocprim17ROCPRIM_400000_NS6detail17trampoline_kernelINS0_14default_configENS1_36segmented_radix_sort_config_selectorIllEEZNS1_25segmented_radix_sort_implIS3_Lb1EPKlPlS8_S9_N2at6native12_GLOBAL__N_18offset_tEEE10hipError_tPvRmT1_PNSt15iterator_traitsISH_E10value_typeET2_T3_PNSI_ISN_E10value_typeET4_jRbjT5_ST_jjP12ihipStream_tbEUlT_E0_NS1_11comp_targetILNS1_3genE9ELNS1_11target_archE1100ELNS1_3gpuE3ELNS1_3repE0EEENS1_60segmented_radix_sort_warp_sort_medium_config_static_selectorELNS0_4arch9wavefront6targetE0EEEvSH_.kd
    .uniform_work_group_size: 1
    .uses_dynamic_stack: false
    .vgpr_count:     0
    .vgpr_spill_count: 0
    .wavefront_size: 32
    .workgroup_processor_mode: 1
  - .args:
      - .offset:         0
        .size:           88
        .value_kind:     by_value
      - .offset:         88
        .size:           4
        .value_kind:     hidden_block_count_x
      - .offset:         92
        .size:           4
        .value_kind:     hidden_block_count_y
      - .offset:         96
        .size:           4
        .value_kind:     hidden_block_count_z
      - .offset:         100
        .size:           2
        .value_kind:     hidden_group_size_x
      - .offset:         102
        .size:           2
        .value_kind:     hidden_group_size_y
      - .offset:         104
        .size:           2
        .value_kind:     hidden_group_size_z
      - .offset:         106
        .size:           2
        .value_kind:     hidden_remainder_x
      - .offset:         108
        .size:           2
        .value_kind:     hidden_remainder_y
      - .offset:         110
        .size:           2
        .value_kind:     hidden_remainder_z
      - .offset:         128
        .size:           8
        .value_kind:     hidden_global_offset_x
      - .offset:         136
        .size:           8
        .value_kind:     hidden_global_offset_y
      - .offset:         144
        .size:           8
        .value_kind:     hidden_global_offset_z
      - .offset:         152
        .size:           2
        .value_kind:     hidden_grid_dims
    .group_segment_fixed_size: 65536
    .kernarg_segment_align: 8
    .kernarg_segment_size: 344
    .language:       OpenCL C
    .language_version:
      - 2
      - 0
    .max_flat_workgroup_size: 256
    .name:           _ZN7rocprim17ROCPRIM_400000_NS6detail17trampoline_kernelINS0_14default_configENS1_36segmented_radix_sort_config_selectorIllEEZNS1_25segmented_radix_sort_implIS3_Lb1EPKlPlS8_S9_N2at6native12_GLOBAL__N_18offset_tEEE10hipError_tPvRmT1_PNSt15iterator_traitsISH_E10value_typeET2_T3_PNSI_ISN_E10value_typeET4_jRbjT5_ST_jjP12ihipStream_tbEUlT_E0_NS1_11comp_targetILNS1_3genE8ELNS1_11target_archE1030ELNS1_3gpuE2ELNS1_3repE0EEENS1_60segmented_radix_sort_warp_sort_medium_config_static_selectorELNS0_4arch9wavefront6targetE0EEEvSH_
    .private_segment_fixed_size: 0
    .sgpr_count:     62
    .sgpr_spill_count: 0
    .symbol:         _ZN7rocprim17ROCPRIM_400000_NS6detail17trampoline_kernelINS0_14default_configENS1_36segmented_radix_sort_config_selectorIllEEZNS1_25segmented_radix_sort_implIS3_Lb1EPKlPlS8_S9_N2at6native12_GLOBAL__N_18offset_tEEE10hipError_tPvRmT1_PNSt15iterator_traitsISH_E10value_typeET2_T3_PNSI_ISN_E10value_typeET4_jRbjT5_ST_jjP12ihipStream_tbEUlT_E0_NS1_11comp_targetILNS1_3genE8ELNS1_11target_archE1030ELNS1_3gpuE2ELNS1_3repE0EEENS1_60segmented_radix_sort_warp_sort_medium_config_static_selectorELNS0_4arch9wavefront6targetE0EEEvSH_.kd
    .uniform_work_group_size: 1
    .uses_dynamic_stack: false
    .vgpr_count:     193
    .vgpr_spill_count: 0
    .wavefront_size: 32
    .workgroup_processor_mode: 1
  - .args:
      - .offset:         0
        .size:           88
        .value_kind:     by_value
    .group_segment_fixed_size: 0
    .kernarg_segment_align: 8
    .kernarg_segment_size: 88
    .language:       OpenCL C
    .language_version:
      - 2
      - 0
    .max_flat_workgroup_size: 256
    .name:           _ZN7rocprim17ROCPRIM_400000_NS6detail17trampoline_kernelINS0_14default_configENS1_36segmented_radix_sort_config_selectorIllEEZNS1_25segmented_radix_sort_implIS3_Lb1EPKlPlS8_S9_N2at6native12_GLOBAL__N_18offset_tEEE10hipError_tPvRmT1_PNSt15iterator_traitsISH_E10value_typeET2_T3_PNSI_ISN_E10value_typeET4_jRbjT5_ST_jjP12ihipStream_tbEUlT_E1_NS1_11comp_targetILNS1_3genE0ELNS1_11target_archE4294967295ELNS1_3gpuE0ELNS1_3repE0EEENS1_59segmented_radix_sort_warp_sort_small_config_static_selectorELNS0_4arch9wavefront6targetE0EEEvSH_
    .private_segment_fixed_size: 0
    .sgpr_count:     0
    .sgpr_spill_count: 0
    .symbol:         _ZN7rocprim17ROCPRIM_400000_NS6detail17trampoline_kernelINS0_14default_configENS1_36segmented_radix_sort_config_selectorIllEEZNS1_25segmented_radix_sort_implIS3_Lb1EPKlPlS8_S9_N2at6native12_GLOBAL__N_18offset_tEEE10hipError_tPvRmT1_PNSt15iterator_traitsISH_E10value_typeET2_T3_PNSI_ISN_E10value_typeET4_jRbjT5_ST_jjP12ihipStream_tbEUlT_E1_NS1_11comp_targetILNS1_3genE0ELNS1_11target_archE4294967295ELNS1_3gpuE0ELNS1_3repE0EEENS1_59segmented_radix_sort_warp_sort_small_config_static_selectorELNS0_4arch9wavefront6targetE0EEEvSH_.kd
    .uniform_work_group_size: 1
    .uses_dynamic_stack: false
    .vgpr_count:     0
    .vgpr_spill_count: 0
    .wavefront_size: 32
    .workgroup_processor_mode: 1
  - .args:
      - .offset:         0
        .size:           88
        .value_kind:     by_value
    .group_segment_fixed_size: 0
    .kernarg_segment_align: 8
    .kernarg_segment_size: 88
    .language:       OpenCL C
    .language_version:
      - 2
      - 0
    .max_flat_workgroup_size: 256
    .name:           _ZN7rocprim17ROCPRIM_400000_NS6detail17trampoline_kernelINS0_14default_configENS1_36segmented_radix_sort_config_selectorIllEEZNS1_25segmented_radix_sort_implIS3_Lb1EPKlPlS8_S9_N2at6native12_GLOBAL__N_18offset_tEEE10hipError_tPvRmT1_PNSt15iterator_traitsISH_E10value_typeET2_T3_PNSI_ISN_E10value_typeET4_jRbjT5_ST_jjP12ihipStream_tbEUlT_E1_NS1_11comp_targetILNS1_3genE5ELNS1_11target_archE942ELNS1_3gpuE9ELNS1_3repE0EEENS1_59segmented_radix_sort_warp_sort_small_config_static_selectorELNS0_4arch9wavefront6targetE0EEEvSH_
    .private_segment_fixed_size: 0
    .sgpr_count:     0
    .sgpr_spill_count: 0
    .symbol:         _ZN7rocprim17ROCPRIM_400000_NS6detail17trampoline_kernelINS0_14default_configENS1_36segmented_radix_sort_config_selectorIllEEZNS1_25segmented_radix_sort_implIS3_Lb1EPKlPlS8_S9_N2at6native12_GLOBAL__N_18offset_tEEE10hipError_tPvRmT1_PNSt15iterator_traitsISH_E10value_typeET2_T3_PNSI_ISN_E10value_typeET4_jRbjT5_ST_jjP12ihipStream_tbEUlT_E1_NS1_11comp_targetILNS1_3genE5ELNS1_11target_archE942ELNS1_3gpuE9ELNS1_3repE0EEENS1_59segmented_radix_sort_warp_sort_small_config_static_selectorELNS0_4arch9wavefront6targetE0EEEvSH_.kd
    .uniform_work_group_size: 1
    .uses_dynamic_stack: false
    .vgpr_count:     0
    .vgpr_spill_count: 0
    .wavefront_size: 32
    .workgroup_processor_mode: 1
  - .args:
      - .offset:         0
        .size:           88
        .value_kind:     by_value
    .group_segment_fixed_size: 0
    .kernarg_segment_align: 8
    .kernarg_segment_size: 88
    .language:       OpenCL C
    .language_version:
      - 2
      - 0
    .max_flat_workgroup_size: 256
    .name:           _ZN7rocprim17ROCPRIM_400000_NS6detail17trampoline_kernelINS0_14default_configENS1_36segmented_radix_sort_config_selectorIllEEZNS1_25segmented_radix_sort_implIS3_Lb1EPKlPlS8_S9_N2at6native12_GLOBAL__N_18offset_tEEE10hipError_tPvRmT1_PNSt15iterator_traitsISH_E10value_typeET2_T3_PNSI_ISN_E10value_typeET4_jRbjT5_ST_jjP12ihipStream_tbEUlT_E1_NS1_11comp_targetILNS1_3genE4ELNS1_11target_archE910ELNS1_3gpuE8ELNS1_3repE0EEENS1_59segmented_radix_sort_warp_sort_small_config_static_selectorELNS0_4arch9wavefront6targetE0EEEvSH_
    .private_segment_fixed_size: 0
    .sgpr_count:     0
    .sgpr_spill_count: 0
    .symbol:         _ZN7rocprim17ROCPRIM_400000_NS6detail17trampoline_kernelINS0_14default_configENS1_36segmented_radix_sort_config_selectorIllEEZNS1_25segmented_radix_sort_implIS3_Lb1EPKlPlS8_S9_N2at6native12_GLOBAL__N_18offset_tEEE10hipError_tPvRmT1_PNSt15iterator_traitsISH_E10value_typeET2_T3_PNSI_ISN_E10value_typeET4_jRbjT5_ST_jjP12ihipStream_tbEUlT_E1_NS1_11comp_targetILNS1_3genE4ELNS1_11target_archE910ELNS1_3gpuE8ELNS1_3repE0EEENS1_59segmented_radix_sort_warp_sort_small_config_static_selectorELNS0_4arch9wavefront6targetE0EEEvSH_.kd
    .uniform_work_group_size: 1
    .uses_dynamic_stack: false
    .vgpr_count:     0
    .vgpr_spill_count: 0
    .wavefront_size: 32
    .workgroup_processor_mode: 1
  - .args:
      - .offset:         0
        .size:           88
        .value_kind:     by_value
    .group_segment_fixed_size: 0
    .kernarg_segment_align: 8
    .kernarg_segment_size: 88
    .language:       OpenCL C
    .language_version:
      - 2
      - 0
    .max_flat_workgroup_size: 256
    .name:           _ZN7rocprim17ROCPRIM_400000_NS6detail17trampoline_kernelINS0_14default_configENS1_36segmented_radix_sort_config_selectorIllEEZNS1_25segmented_radix_sort_implIS3_Lb1EPKlPlS8_S9_N2at6native12_GLOBAL__N_18offset_tEEE10hipError_tPvRmT1_PNSt15iterator_traitsISH_E10value_typeET2_T3_PNSI_ISN_E10value_typeET4_jRbjT5_ST_jjP12ihipStream_tbEUlT_E1_NS1_11comp_targetILNS1_3genE3ELNS1_11target_archE908ELNS1_3gpuE7ELNS1_3repE0EEENS1_59segmented_radix_sort_warp_sort_small_config_static_selectorELNS0_4arch9wavefront6targetE0EEEvSH_
    .private_segment_fixed_size: 0
    .sgpr_count:     0
    .sgpr_spill_count: 0
    .symbol:         _ZN7rocprim17ROCPRIM_400000_NS6detail17trampoline_kernelINS0_14default_configENS1_36segmented_radix_sort_config_selectorIllEEZNS1_25segmented_radix_sort_implIS3_Lb1EPKlPlS8_S9_N2at6native12_GLOBAL__N_18offset_tEEE10hipError_tPvRmT1_PNSt15iterator_traitsISH_E10value_typeET2_T3_PNSI_ISN_E10value_typeET4_jRbjT5_ST_jjP12ihipStream_tbEUlT_E1_NS1_11comp_targetILNS1_3genE3ELNS1_11target_archE908ELNS1_3gpuE7ELNS1_3repE0EEENS1_59segmented_radix_sort_warp_sort_small_config_static_selectorELNS0_4arch9wavefront6targetE0EEEvSH_.kd
    .uniform_work_group_size: 1
    .uses_dynamic_stack: false
    .vgpr_count:     0
    .vgpr_spill_count: 0
    .wavefront_size: 32
    .workgroup_processor_mode: 1
  - .args:
      - .offset:         0
        .size:           88
        .value_kind:     by_value
    .group_segment_fixed_size: 0
    .kernarg_segment_align: 8
    .kernarg_segment_size: 88
    .language:       OpenCL C
    .language_version:
      - 2
      - 0
    .max_flat_workgroup_size: 256
    .name:           _ZN7rocprim17ROCPRIM_400000_NS6detail17trampoline_kernelINS0_14default_configENS1_36segmented_radix_sort_config_selectorIllEEZNS1_25segmented_radix_sort_implIS3_Lb1EPKlPlS8_S9_N2at6native12_GLOBAL__N_18offset_tEEE10hipError_tPvRmT1_PNSt15iterator_traitsISH_E10value_typeET2_T3_PNSI_ISN_E10value_typeET4_jRbjT5_ST_jjP12ihipStream_tbEUlT_E1_NS1_11comp_targetILNS1_3genE2ELNS1_11target_archE906ELNS1_3gpuE6ELNS1_3repE0EEENS1_59segmented_radix_sort_warp_sort_small_config_static_selectorELNS0_4arch9wavefront6targetE0EEEvSH_
    .private_segment_fixed_size: 0
    .sgpr_count:     0
    .sgpr_spill_count: 0
    .symbol:         _ZN7rocprim17ROCPRIM_400000_NS6detail17trampoline_kernelINS0_14default_configENS1_36segmented_radix_sort_config_selectorIllEEZNS1_25segmented_radix_sort_implIS3_Lb1EPKlPlS8_S9_N2at6native12_GLOBAL__N_18offset_tEEE10hipError_tPvRmT1_PNSt15iterator_traitsISH_E10value_typeET2_T3_PNSI_ISN_E10value_typeET4_jRbjT5_ST_jjP12ihipStream_tbEUlT_E1_NS1_11comp_targetILNS1_3genE2ELNS1_11target_archE906ELNS1_3gpuE6ELNS1_3repE0EEENS1_59segmented_radix_sort_warp_sort_small_config_static_selectorELNS0_4arch9wavefront6targetE0EEEvSH_.kd
    .uniform_work_group_size: 1
    .uses_dynamic_stack: false
    .vgpr_count:     0
    .vgpr_spill_count: 0
    .wavefront_size: 32
    .workgroup_processor_mode: 1
  - .args:
      - .offset:         0
        .size:           88
        .value_kind:     by_value
    .group_segment_fixed_size: 0
    .kernarg_segment_align: 8
    .kernarg_segment_size: 88
    .language:       OpenCL C
    .language_version:
      - 2
      - 0
    .max_flat_workgroup_size: 256
    .name:           _ZN7rocprim17ROCPRIM_400000_NS6detail17trampoline_kernelINS0_14default_configENS1_36segmented_radix_sort_config_selectorIllEEZNS1_25segmented_radix_sort_implIS3_Lb1EPKlPlS8_S9_N2at6native12_GLOBAL__N_18offset_tEEE10hipError_tPvRmT1_PNSt15iterator_traitsISH_E10value_typeET2_T3_PNSI_ISN_E10value_typeET4_jRbjT5_ST_jjP12ihipStream_tbEUlT_E1_NS1_11comp_targetILNS1_3genE10ELNS1_11target_archE1201ELNS1_3gpuE5ELNS1_3repE0EEENS1_59segmented_radix_sort_warp_sort_small_config_static_selectorELNS0_4arch9wavefront6targetE0EEEvSH_
    .private_segment_fixed_size: 0
    .sgpr_count:     0
    .sgpr_spill_count: 0
    .symbol:         _ZN7rocprim17ROCPRIM_400000_NS6detail17trampoline_kernelINS0_14default_configENS1_36segmented_radix_sort_config_selectorIllEEZNS1_25segmented_radix_sort_implIS3_Lb1EPKlPlS8_S9_N2at6native12_GLOBAL__N_18offset_tEEE10hipError_tPvRmT1_PNSt15iterator_traitsISH_E10value_typeET2_T3_PNSI_ISN_E10value_typeET4_jRbjT5_ST_jjP12ihipStream_tbEUlT_E1_NS1_11comp_targetILNS1_3genE10ELNS1_11target_archE1201ELNS1_3gpuE5ELNS1_3repE0EEENS1_59segmented_radix_sort_warp_sort_small_config_static_selectorELNS0_4arch9wavefront6targetE0EEEvSH_.kd
    .uniform_work_group_size: 1
    .uses_dynamic_stack: false
    .vgpr_count:     0
    .vgpr_spill_count: 0
    .wavefront_size: 32
    .workgroup_processor_mode: 1
  - .args:
      - .offset:         0
        .size:           88
        .value_kind:     by_value
    .group_segment_fixed_size: 0
    .kernarg_segment_align: 8
    .kernarg_segment_size: 88
    .language:       OpenCL C
    .language_version:
      - 2
      - 0
    .max_flat_workgroup_size: 256
    .name:           _ZN7rocprim17ROCPRIM_400000_NS6detail17trampoline_kernelINS0_14default_configENS1_36segmented_radix_sort_config_selectorIllEEZNS1_25segmented_radix_sort_implIS3_Lb1EPKlPlS8_S9_N2at6native12_GLOBAL__N_18offset_tEEE10hipError_tPvRmT1_PNSt15iterator_traitsISH_E10value_typeET2_T3_PNSI_ISN_E10value_typeET4_jRbjT5_ST_jjP12ihipStream_tbEUlT_E1_NS1_11comp_targetILNS1_3genE10ELNS1_11target_archE1200ELNS1_3gpuE4ELNS1_3repE0EEENS1_59segmented_radix_sort_warp_sort_small_config_static_selectorELNS0_4arch9wavefront6targetE0EEEvSH_
    .private_segment_fixed_size: 0
    .sgpr_count:     0
    .sgpr_spill_count: 0
    .symbol:         _ZN7rocprim17ROCPRIM_400000_NS6detail17trampoline_kernelINS0_14default_configENS1_36segmented_radix_sort_config_selectorIllEEZNS1_25segmented_radix_sort_implIS3_Lb1EPKlPlS8_S9_N2at6native12_GLOBAL__N_18offset_tEEE10hipError_tPvRmT1_PNSt15iterator_traitsISH_E10value_typeET2_T3_PNSI_ISN_E10value_typeET4_jRbjT5_ST_jjP12ihipStream_tbEUlT_E1_NS1_11comp_targetILNS1_3genE10ELNS1_11target_archE1200ELNS1_3gpuE4ELNS1_3repE0EEENS1_59segmented_radix_sort_warp_sort_small_config_static_selectorELNS0_4arch9wavefront6targetE0EEEvSH_.kd
    .uniform_work_group_size: 1
    .uses_dynamic_stack: false
    .vgpr_count:     0
    .vgpr_spill_count: 0
    .wavefront_size: 32
    .workgroup_processor_mode: 1
  - .args:
      - .offset:         0
        .size:           88
        .value_kind:     by_value
    .group_segment_fixed_size: 0
    .kernarg_segment_align: 8
    .kernarg_segment_size: 88
    .language:       OpenCL C
    .language_version:
      - 2
      - 0
    .max_flat_workgroup_size: 256
    .name:           _ZN7rocprim17ROCPRIM_400000_NS6detail17trampoline_kernelINS0_14default_configENS1_36segmented_radix_sort_config_selectorIllEEZNS1_25segmented_radix_sort_implIS3_Lb1EPKlPlS8_S9_N2at6native12_GLOBAL__N_18offset_tEEE10hipError_tPvRmT1_PNSt15iterator_traitsISH_E10value_typeET2_T3_PNSI_ISN_E10value_typeET4_jRbjT5_ST_jjP12ihipStream_tbEUlT_E1_NS1_11comp_targetILNS1_3genE9ELNS1_11target_archE1100ELNS1_3gpuE3ELNS1_3repE0EEENS1_59segmented_radix_sort_warp_sort_small_config_static_selectorELNS0_4arch9wavefront6targetE0EEEvSH_
    .private_segment_fixed_size: 0
    .sgpr_count:     0
    .sgpr_spill_count: 0
    .symbol:         _ZN7rocprim17ROCPRIM_400000_NS6detail17trampoline_kernelINS0_14default_configENS1_36segmented_radix_sort_config_selectorIllEEZNS1_25segmented_radix_sort_implIS3_Lb1EPKlPlS8_S9_N2at6native12_GLOBAL__N_18offset_tEEE10hipError_tPvRmT1_PNSt15iterator_traitsISH_E10value_typeET2_T3_PNSI_ISN_E10value_typeET4_jRbjT5_ST_jjP12ihipStream_tbEUlT_E1_NS1_11comp_targetILNS1_3genE9ELNS1_11target_archE1100ELNS1_3gpuE3ELNS1_3repE0EEENS1_59segmented_radix_sort_warp_sort_small_config_static_selectorELNS0_4arch9wavefront6targetE0EEEvSH_.kd
    .uniform_work_group_size: 1
    .uses_dynamic_stack: false
    .vgpr_count:     0
    .vgpr_spill_count: 0
    .wavefront_size: 32
    .workgroup_processor_mode: 1
  - .args:
      - .offset:         0
        .size:           88
        .value_kind:     by_value
      - .offset:         88
        .size:           4
        .value_kind:     hidden_block_count_x
      - .offset:         92
        .size:           4
        .value_kind:     hidden_block_count_y
      - .offset:         96
        .size:           4
        .value_kind:     hidden_block_count_z
      - .offset:         100
        .size:           2
        .value_kind:     hidden_group_size_x
      - .offset:         102
        .size:           2
        .value_kind:     hidden_group_size_y
      - .offset:         104
        .size:           2
        .value_kind:     hidden_group_size_z
      - .offset:         106
        .size:           2
        .value_kind:     hidden_remainder_x
      - .offset:         108
        .size:           2
        .value_kind:     hidden_remainder_y
      - .offset:         110
        .size:           2
        .value_kind:     hidden_remainder_z
      - .offset:         128
        .size:           8
        .value_kind:     hidden_global_offset_x
      - .offset:         136
        .size:           8
        .value_kind:     hidden_global_offset_y
      - .offset:         144
        .size:           8
        .value_kind:     hidden_global_offset_z
      - .offset:         152
        .size:           2
        .value_kind:     hidden_grid_dims
    .group_segment_fixed_size: 32768
    .kernarg_segment_align: 8
    .kernarg_segment_size: 344
    .language:       OpenCL C
    .language_version:
      - 2
      - 0
    .max_flat_workgroup_size: 256
    .name:           _ZN7rocprim17ROCPRIM_400000_NS6detail17trampoline_kernelINS0_14default_configENS1_36segmented_radix_sort_config_selectorIllEEZNS1_25segmented_radix_sort_implIS3_Lb1EPKlPlS8_S9_N2at6native12_GLOBAL__N_18offset_tEEE10hipError_tPvRmT1_PNSt15iterator_traitsISH_E10value_typeET2_T3_PNSI_ISN_E10value_typeET4_jRbjT5_ST_jjP12ihipStream_tbEUlT_E1_NS1_11comp_targetILNS1_3genE8ELNS1_11target_archE1030ELNS1_3gpuE2ELNS1_3repE0EEENS1_59segmented_radix_sort_warp_sort_small_config_static_selectorELNS0_4arch9wavefront6targetE0EEEvSH_
    .private_segment_fixed_size: 0
    .sgpr_count:     50
    .sgpr_spill_count: 0
    .symbol:         _ZN7rocprim17ROCPRIM_400000_NS6detail17trampoline_kernelINS0_14default_configENS1_36segmented_radix_sort_config_selectorIllEEZNS1_25segmented_radix_sort_implIS3_Lb1EPKlPlS8_S9_N2at6native12_GLOBAL__N_18offset_tEEE10hipError_tPvRmT1_PNSt15iterator_traitsISH_E10value_typeET2_T3_PNSI_ISN_E10value_typeET4_jRbjT5_ST_jjP12ihipStream_tbEUlT_E1_NS1_11comp_targetILNS1_3genE8ELNS1_11target_archE1030ELNS1_3gpuE2ELNS1_3repE0EEENS1_59segmented_radix_sort_warp_sort_small_config_static_selectorELNS0_4arch9wavefront6targetE0EEEvSH_.kd
    .uniform_work_group_size: 1
    .uses_dynamic_stack: false
    .vgpr_count:     130
    .vgpr_spill_count: 0
    .wavefront_size: 32
    .workgroup_processor_mode: 1
  - .args:
      - .offset:         0
        .size:           80
        .value_kind:     by_value
    .group_segment_fixed_size: 0
    .kernarg_segment_align: 8
    .kernarg_segment_size: 80
    .language:       OpenCL C
    .language_version:
      - 2
      - 0
    .max_flat_workgroup_size: 256
    .name:           _ZN7rocprim17ROCPRIM_400000_NS6detail17trampoline_kernelINS0_14default_configENS1_36segmented_radix_sort_config_selectorIllEEZNS1_25segmented_radix_sort_implIS3_Lb1EPKlPlS8_S9_N2at6native12_GLOBAL__N_18offset_tEEE10hipError_tPvRmT1_PNSt15iterator_traitsISH_E10value_typeET2_T3_PNSI_ISN_E10value_typeET4_jRbjT5_ST_jjP12ihipStream_tbEUlT_E2_NS1_11comp_targetILNS1_3genE0ELNS1_11target_archE4294967295ELNS1_3gpuE0ELNS1_3repE0EEENS1_30default_config_static_selectorELNS0_4arch9wavefront6targetE0EEEvSH_
    .private_segment_fixed_size: 0
    .sgpr_count:     0
    .sgpr_spill_count: 0
    .symbol:         _ZN7rocprim17ROCPRIM_400000_NS6detail17trampoline_kernelINS0_14default_configENS1_36segmented_radix_sort_config_selectorIllEEZNS1_25segmented_radix_sort_implIS3_Lb1EPKlPlS8_S9_N2at6native12_GLOBAL__N_18offset_tEEE10hipError_tPvRmT1_PNSt15iterator_traitsISH_E10value_typeET2_T3_PNSI_ISN_E10value_typeET4_jRbjT5_ST_jjP12ihipStream_tbEUlT_E2_NS1_11comp_targetILNS1_3genE0ELNS1_11target_archE4294967295ELNS1_3gpuE0ELNS1_3repE0EEENS1_30default_config_static_selectorELNS0_4arch9wavefront6targetE0EEEvSH_.kd
    .uniform_work_group_size: 1
    .uses_dynamic_stack: false
    .vgpr_count:     0
    .vgpr_spill_count: 0
    .wavefront_size: 32
    .workgroup_processor_mode: 1
  - .args:
      - .offset:         0
        .size:           80
        .value_kind:     by_value
    .group_segment_fixed_size: 0
    .kernarg_segment_align: 8
    .kernarg_segment_size: 80
    .language:       OpenCL C
    .language_version:
      - 2
      - 0
    .max_flat_workgroup_size: 256
    .name:           _ZN7rocprim17ROCPRIM_400000_NS6detail17trampoline_kernelINS0_14default_configENS1_36segmented_radix_sort_config_selectorIllEEZNS1_25segmented_radix_sort_implIS3_Lb1EPKlPlS8_S9_N2at6native12_GLOBAL__N_18offset_tEEE10hipError_tPvRmT1_PNSt15iterator_traitsISH_E10value_typeET2_T3_PNSI_ISN_E10value_typeET4_jRbjT5_ST_jjP12ihipStream_tbEUlT_E2_NS1_11comp_targetILNS1_3genE5ELNS1_11target_archE942ELNS1_3gpuE9ELNS1_3repE0EEENS1_30default_config_static_selectorELNS0_4arch9wavefront6targetE0EEEvSH_
    .private_segment_fixed_size: 0
    .sgpr_count:     0
    .sgpr_spill_count: 0
    .symbol:         _ZN7rocprim17ROCPRIM_400000_NS6detail17trampoline_kernelINS0_14default_configENS1_36segmented_radix_sort_config_selectorIllEEZNS1_25segmented_radix_sort_implIS3_Lb1EPKlPlS8_S9_N2at6native12_GLOBAL__N_18offset_tEEE10hipError_tPvRmT1_PNSt15iterator_traitsISH_E10value_typeET2_T3_PNSI_ISN_E10value_typeET4_jRbjT5_ST_jjP12ihipStream_tbEUlT_E2_NS1_11comp_targetILNS1_3genE5ELNS1_11target_archE942ELNS1_3gpuE9ELNS1_3repE0EEENS1_30default_config_static_selectorELNS0_4arch9wavefront6targetE0EEEvSH_.kd
    .uniform_work_group_size: 1
    .uses_dynamic_stack: false
    .vgpr_count:     0
    .vgpr_spill_count: 0
    .wavefront_size: 32
    .workgroup_processor_mode: 1
  - .args:
      - .offset:         0
        .size:           80
        .value_kind:     by_value
    .group_segment_fixed_size: 0
    .kernarg_segment_align: 8
    .kernarg_segment_size: 80
    .language:       OpenCL C
    .language_version:
      - 2
      - 0
    .max_flat_workgroup_size: 256
    .name:           _ZN7rocprim17ROCPRIM_400000_NS6detail17trampoline_kernelINS0_14default_configENS1_36segmented_radix_sort_config_selectorIllEEZNS1_25segmented_radix_sort_implIS3_Lb1EPKlPlS8_S9_N2at6native12_GLOBAL__N_18offset_tEEE10hipError_tPvRmT1_PNSt15iterator_traitsISH_E10value_typeET2_T3_PNSI_ISN_E10value_typeET4_jRbjT5_ST_jjP12ihipStream_tbEUlT_E2_NS1_11comp_targetILNS1_3genE4ELNS1_11target_archE910ELNS1_3gpuE8ELNS1_3repE0EEENS1_30default_config_static_selectorELNS0_4arch9wavefront6targetE0EEEvSH_
    .private_segment_fixed_size: 0
    .sgpr_count:     0
    .sgpr_spill_count: 0
    .symbol:         _ZN7rocprim17ROCPRIM_400000_NS6detail17trampoline_kernelINS0_14default_configENS1_36segmented_radix_sort_config_selectorIllEEZNS1_25segmented_radix_sort_implIS3_Lb1EPKlPlS8_S9_N2at6native12_GLOBAL__N_18offset_tEEE10hipError_tPvRmT1_PNSt15iterator_traitsISH_E10value_typeET2_T3_PNSI_ISN_E10value_typeET4_jRbjT5_ST_jjP12ihipStream_tbEUlT_E2_NS1_11comp_targetILNS1_3genE4ELNS1_11target_archE910ELNS1_3gpuE8ELNS1_3repE0EEENS1_30default_config_static_selectorELNS0_4arch9wavefront6targetE0EEEvSH_.kd
    .uniform_work_group_size: 1
    .uses_dynamic_stack: false
    .vgpr_count:     0
    .vgpr_spill_count: 0
    .wavefront_size: 32
    .workgroup_processor_mode: 1
  - .args:
      - .offset:         0
        .size:           80
        .value_kind:     by_value
    .group_segment_fixed_size: 0
    .kernarg_segment_align: 8
    .kernarg_segment_size: 80
    .language:       OpenCL C
    .language_version:
      - 2
      - 0
    .max_flat_workgroup_size: 256
    .name:           _ZN7rocprim17ROCPRIM_400000_NS6detail17trampoline_kernelINS0_14default_configENS1_36segmented_radix_sort_config_selectorIllEEZNS1_25segmented_radix_sort_implIS3_Lb1EPKlPlS8_S9_N2at6native12_GLOBAL__N_18offset_tEEE10hipError_tPvRmT1_PNSt15iterator_traitsISH_E10value_typeET2_T3_PNSI_ISN_E10value_typeET4_jRbjT5_ST_jjP12ihipStream_tbEUlT_E2_NS1_11comp_targetILNS1_3genE3ELNS1_11target_archE908ELNS1_3gpuE7ELNS1_3repE0EEENS1_30default_config_static_selectorELNS0_4arch9wavefront6targetE0EEEvSH_
    .private_segment_fixed_size: 0
    .sgpr_count:     0
    .sgpr_spill_count: 0
    .symbol:         _ZN7rocprim17ROCPRIM_400000_NS6detail17trampoline_kernelINS0_14default_configENS1_36segmented_radix_sort_config_selectorIllEEZNS1_25segmented_radix_sort_implIS3_Lb1EPKlPlS8_S9_N2at6native12_GLOBAL__N_18offset_tEEE10hipError_tPvRmT1_PNSt15iterator_traitsISH_E10value_typeET2_T3_PNSI_ISN_E10value_typeET4_jRbjT5_ST_jjP12ihipStream_tbEUlT_E2_NS1_11comp_targetILNS1_3genE3ELNS1_11target_archE908ELNS1_3gpuE7ELNS1_3repE0EEENS1_30default_config_static_selectorELNS0_4arch9wavefront6targetE0EEEvSH_.kd
    .uniform_work_group_size: 1
    .uses_dynamic_stack: false
    .vgpr_count:     0
    .vgpr_spill_count: 0
    .wavefront_size: 32
    .workgroup_processor_mode: 1
  - .args:
      - .offset:         0
        .size:           80
        .value_kind:     by_value
    .group_segment_fixed_size: 0
    .kernarg_segment_align: 8
    .kernarg_segment_size: 80
    .language:       OpenCL C
    .language_version:
      - 2
      - 0
    .max_flat_workgroup_size: 256
    .name:           _ZN7rocprim17ROCPRIM_400000_NS6detail17trampoline_kernelINS0_14default_configENS1_36segmented_radix_sort_config_selectorIllEEZNS1_25segmented_radix_sort_implIS3_Lb1EPKlPlS8_S9_N2at6native12_GLOBAL__N_18offset_tEEE10hipError_tPvRmT1_PNSt15iterator_traitsISH_E10value_typeET2_T3_PNSI_ISN_E10value_typeET4_jRbjT5_ST_jjP12ihipStream_tbEUlT_E2_NS1_11comp_targetILNS1_3genE2ELNS1_11target_archE906ELNS1_3gpuE6ELNS1_3repE0EEENS1_30default_config_static_selectorELNS0_4arch9wavefront6targetE0EEEvSH_
    .private_segment_fixed_size: 0
    .sgpr_count:     0
    .sgpr_spill_count: 0
    .symbol:         _ZN7rocprim17ROCPRIM_400000_NS6detail17trampoline_kernelINS0_14default_configENS1_36segmented_radix_sort_config_selectorIllEEZNS1_25segmented_radix_sort_implIS3_Lb1EPKlPlS8_S9_N2at6native12_GLOBAL__N_18offset_tEEE10hipError_tPvRmT1_PNSt15iterator_traitsISH_E10value_typeET2_T3_PNSI_ISN_E10value_typeET4_jRbjT5_ST_jjP12ihipStream_tbEUlT_E2_NS1_11comp_targetILNS1_3genE2ELNS1_11target_archE906ELNS1_3gpuE6ELNS1_3repE0EEENS1_30default_config_static_selectorELNS0_4arch9wavefront6targetE0EEEvSH_.kd
    .uniform_work_group_size: 1
    .uses_dynamic_stack: false
    .vgpr_count:     0
    .vgpr_spill_count: 0
    .wavefront_size: 32
    .workgroup_processor_mode: 1
  - .args:
      - .offset:         0
        .size:           80
        .value_kind:     by_value
    .group_segment_fixed_size: 0
    .kernarg_segment_align: 8
    .kernarg_segment_size: 80
    .language:       OpenCL C
    .language_version:
      - 2
      - 0
    .max_flat_workgroup_size: 256
    .name:           _ZN7rocprim17ROCPRIM_400000_NS6detail17trampoline_kernelINS0_14default_configENS1_36segmented_radix_sort_config_selectorIllEEZNS1_25segmented_radix_sort_implIS3_Lb1EPKlPlS8_S9_N2at6native12_GLOBAL__N_18offset_tEEE10hipError_tPvRmT1_PNSt15iterator_traitsISH_E10value_typeET2_T3_PNSI_ISN_E10value_typeET4_jRbjT5_ST_jjP12ihipStream_tbEUlT_E2_NS1_11comp_targetILNS1_3genE10ELNS1_11target_archE1201ELNS1_3gpuE5ELNS1_3repE0EEENS1_30default_config_static_selectorELNS0_4arch9wavefront6targetE0EEEvSH_
    .private_segment_fixed_size: 0
    .sgpr_count:     0
    .sgpr_spill_count: 0
    .symbol:         _ZN7rocprim17ROCPRIM_400000_NS6detail17trampoline_kernelINS0_14default_configENS1_36segmented_radix_sort_config_selectorIllEEZNS1_25segmented_radix_sort_implIS3_Lb1EPKlPlS8_S9_N2at6native12_GLOBAL__N_18offset_tEEE10hipError_tPvRmT1_PNSt15iterator_traitsISH_E10value_typeET2_T3_PNSI_ISN_E10value_typeET4_jRbjT5_ST_jjP12ihipStream_tbEUlT_E2_NS1_11comp_targetILNS1_3genE10ELNS1_11target_archE1201ELNS1_3gpuE5ELNS1_3repE0EEENS1_30default_config_static_selectorELNS0_4arch9wavefront6targetE0EEEvSH_.kd
    .uniform_work_group_size: 1
    .uses_dynamic_stack: false
    .vgpr_count:     0
    .vgpr_spill_count: 0
    .wavefront_size: 32
    .workgroup_processor_mode: 1
  - .args:
      - .offset:         0
        .size:           80
        .value_kind:     by_value
    .group_segment_fixed_size: 0
    .kernarg_segment_align: 8
    .kernarg_segment_size: 80
    .language:       OpenCL C
    .language_version:
      - 2
      - 0
    .max_flat_workgroup_size: 128
    .name:           _ZN7rocprim17ROCPRIM_400000_NS6detail17trampoline_kernelINS0_14default_configENS1_36segmented_radix_sort_config_selectorIllEEZNS1_25segmented_radix_sort_implIS3_Lb1EPKlPlS8_S9_N2at6native12_GLOBAL__N_18offset_tEEE10hipError_tPvRmT1_PNSt15iterator_traitsISH_E10value_typeET2_T3_PNSI_ISN_E10value_typeET4_jRbjT5_ST_jjP12ihipStream_tbEUlT_E2_NS1_11comp_targetILNS1_3genE10ELNS1_11target_archE1200ELNS1_3gpuE4ELNS1_3repE0EEENS1_30default_config_static_selectorELNS0_4arch9wavefront6targetE0EEEvSH_
    .private_segment_fixed_size: 0
    .sgpr_count:     0
    .sgpr_spill_count: 0
    .symbol:         _ZN7rocprim17ROCPRIM_400000_NS6detail17trampoline_kernelINS0_14default_configENS1_36segmented_radix_sort_config_selectorIllEEZNS1_25segmented_radix_sort_implIS3_Lb1EPKlPlS8_S9_N2at6native12_GLOBAL__N_18offset_tEEE10hipError_tPvRmT1_PNSt15iterator_traitsISH_E10value_typeET2_T3_PNSI_ISN_E10value_typeET4_jRbjT5_ST_jjP12ihipStream_tbEUlT_E2_NS1_11comp_targetILNS1_3genE10ELNS1_11target_archE1200ELNS1_3gpuE4ELNS1_3repE0EEENS1_30default_config_static_selectorELNS0_4arch9wavefront6targetE0EEEvSH_.kd
    .uniform_work_group_size: 1
    .uses_dynamic_stack: false
    .vgpr_count:     0
    .vgpr_spill_count: 0
    .wavefront_size: 32
    .workgroup_processor_mode: 1
  - .args:
      - .offset:         0
        .size:           80
        .value_kind:     by_value
    .group_segment_fixed_size: 0
    .kernarg_segment_align: 8
    .kernarg_segment_size: 80
    .language:       OpenCL C
    .language_version:
      - 2
      - 0
    .max_flat_workgroup_size: 256
    .name:           _ZN7rocprim17ROCPRIM_400000_NS6detail17trampoline_kernelINS0_14default_configENS1_36segmented_radix_sort_config_selectorIllEEZNS1_25segmented_radix_sort_implIS3_Lb1EPKlPlS8_S9_N2at6native12_GLOBAL__N_18offset_tEEE10hipError_tPvRmT1_PNSt15iterator_traitsISH_E10value_typeET2_T3_PNSI_ISN_E10value_typeET4_jRbjT5_ST_jjP12ihipStream_tbEUlT_E2_NS1_11comp_targetILNS1_3genE9ELNS1_11target_archE1100ELNS1_3gpuE3ELNS1_3repE0EEENS1_30default_config_static_selectorELNS0_4arch9wavefront6targetE0EEEvSH_
    .private_segment_fixed_size: 0
    .sgpr_count:     0
    .sgpr_spill_count: 0
    .symbol:         _ZN7rocprim17ROCPRIM_400000_NS6detail17trampoline_kernelINS0_14default_configENS1_36segmented_radix_sort_config_selectorIllEEZNS1_25segmented_radix_sort_implIS3_Lb1EPKlPlS8_S9_N2at6native12_GLOBAL__N_18offset_tEEE10hipError_tPvRmT1_PNSt15iterator_traitsISH_E10value_typeET2_T3_PNSI_ISN_E10value_typeET4_jRbjT5_ST_jjP12ihipStream_tbEUlT_E2_NS1_11comp_targetILNS1_3genE9ELNS1_11target_archE1100ELNS1_3gpuE3ELNS1_3repE0EEENS1_30default_config_static_selectorELNS0_4arch9wavefront6targetE0EEEvSH_.kd
    .uniform_work_group_size: 1
    .uses_dynamic_stack: false
    .vgpr_count:     0
    .vgpr_spill_count: 0
    .wavefront_size: 32
    .workgroup_processor_mode: 1
  - .args:
      - .offset:         0
        .size:           80
        .value_kind:     by_value
      - .offset:         80
        .size:           4
        .value_kind:     hidden_block_count_x
      - .offset:         84
        .size:           4
        .value_kind:     hidden_block_count_y
      - .offset:         88
        .size:           4
        .value_kind:     hidden_block_count_z
      - .offset:         92
        .size:           2
        .value_kind:     hidden_group_size_x
      - .offset:         94
        .size:           2
        .value_kind:     hidden_group_size_y
      - .offset:         96
        .size:           2
        .value_kind:     hidden_group_size_z
      - .offset:         98
        .size:           2
        .value_kind:     hidden_remainder_x
      - .offset:         100
        .size:           2
        .value_kind:     hidden_remainder_y
      - .offset:         102
        .size:           2
        .value_kind:     hidden_remainder_z
      - .offset:         120
        .size:           8
        .value_kind:     hidden_global_offset_x
      - .offset:         128
        .size:           8
        .value_kind:     hidden_global_offset_y
      - .offset:         136
        .size:           8
        .value_kind:     hidden_global_offset_z
      - .offset:         144
        .size:           2
        .value_kind:     hidden_grid_dims
    .group_segment_fixed_size: 33296
    .kernarg_segment_align: 8
    .kernarg_segment_size: 336
    .language:       OpenCL C
    .language_version:
      - 2
      - 0
    .max_flat_workgroup_size: 256
    .name:           _ZN7rocprim17ROCPRIM_400000_NS6detail17trampoline_kernelINS0_14default_configENS1_36segmented_radix_sort_config_selectorIllEEZNS1_25segmented_radix_sort_implIS3_Lb1EPKlPlS8_S9_N2at6native12_GLOBAL__N_18offset_tEEE10hipError_tPvRmT1_PNSt15iterator_traitsISH_E10value_typeET2_T3_PNSI_ISN_E10value_typeET4_jRbjT5_ST_jjP12ihipStream_tbEUlT_E2_NS1_11comp_targetILNS1_3genE8ELNS1_11target_archE1030ELNS1_3gpuE2ELNS1_3repE0EEENS1_30default_config_static_selectorELNS0_4arch9wavefront6targetE0EEEvSH_
    .private_segment_fixed_size: 176
    .sgpr_count:     70
    .sgpr_spill_count: 0
    .symbol:         _ZN7rocprim17ROCPRIM_400000_NS6detail17trampoline_kernelINS0_14default_configENS1_36segmented_radix_sort_config_selectorIllEEZNS1_25segmented_radix_sort_implIS3_Lb1EPKlPlS8_S9_N2at6native12_GLOBAL__N_18offset_tEEE10hipError_tPvRmT1_PNSt15iterator_traitsISH_E10value_typeET2_T3_PNSI_ISN_E10value_typeET4_jRbjT5_ST_jjP12ihipStream_tbEUlT_E2_NS1_11comp_targetILNS1_3genE8ELNS1_11target_archE1030ELNS1_3gpuE2ELNS1_3repE0EEENS1_30default_config_static_selectorELNS0_4arch9wavefront6targetE0EEEvSH_.kd
    .uniform_work_group_size: 1
    .uses_dynamic_stack: false
    .vgpr_count:     248
    .vgpr_spill_count: 0
    .wavefront_size: 32
    .workgroup_processor_mode: 1
  - .args:
      - .offset:         0
        .size:           176
        .value_kind:     by_value
    .group_segment_fixed_size: 0
    .kernarg_segment_align: 8
    .kernarg_segment_size: 176
    .language:       OpenCL C
    .language_version:
      - 2
      - 0
    .max_flat_workgroup_size: 256
    .name:           _ZN7rocprim17ROCPRIM_400000_NS6detail17trampoline_kernelINS0_13select_configILj256ELj13ELNS0_17block_load_methodE3ELS4_3ELS4_3ELNS0_20block_scan_algorithmE0ELj4294967295EEENS1_25partition_config_selectorILNS1_17partition_subalgoE4EjNS0_10empty_typeEbEEZZNS1_14partition_implILS8_4ELb0ES6_15HIP_vector_typeIjLj2EENS0_17counting_iteratorIjlEEPS9_SG_NS0_5tupleIJPjSI_NS0_16reverse_iteratorISI_EEEEENSH_IJSG_SG_SG_EEES9_SI_JZNS1_25segmented_radix_sort_implINS0_14default_configELb0EPKlPlSQ_SR_N2at6native12_GLOBAL__N_18offset_tEEE10hipError_tPvRmT1_PNSt15iterator_traitsISZ_E10value_typeET2_T3_PNS10_IS15_E10value_typeET4_jRbjT5_S1B_jjP12ihipStream_tbEUljE_ZNSN_ISO_Lb0ESQ_SR_SQ_SR_SV_EESW_SX_SY_SZ_S13_S14_S15_S18_S19_jS1A_jS1B_S1B_jjS1D_bEUljE0_EEESW_SX_SY_S15_S19_S1B_T6_T7_T9_mT8_S1D_bDpT10_ENKUlT_T0_E_clISt17integral_constantIbLb0EES1R_EEDaS1M_S1N_EUlS1M_E_NS1_11comp_targetILNS1_3genE0ELNS1_11target_archE4294967295ELNS1_3gpuE0ELNS1_3repE0EEENS1_30default_config_static_selectorELNS0_4arch9wavefront6targetE0EEEvSZ_
    .private_segment_fixed_size: 0
    .sgpr_count:     0
    .sgpr_spill_count: 0
    .symbol:         _ZN7rocprim17ROCPRIM_400000_NS6detail17trampoline_kernelINS0_13select_configILj256ELj13ELNS0_17block_load_methodE3ELS4_3ELS4_3ELNS0_20block_scan_algorithmE0ELj4294967295EEENS1_25partition_config_selectorILNS1_17partition_subalgoE4EjNS0_10empty_typeEbEEZZNS1_14partition_implILS8_4ELb0ES6_15HIP_vector_typeIjLj2EENS0_17counting_iteratorIjlEEPS9_SG_NS0_5tupleIJPjSI_NS0_16reverse_iteratorISI_EEEEENSH_IJSG_SG_SG_EEES9_SI_JZNS1_25segmented_radix_sort_implINS0_14default_configELb0EPKlPlSQ_SR_N2at6native12_GLOBAL__N_18offset_tEEE10hipError_tPvRmT1_PNSt15iterator_traitsISZ_E10value_typeET2_T3_PNS10_IS15_E10value_typeET4_jRbjT5_S1B_jjP12ihipStream_tbEUljE_ZNSN_ISO_Lb0ESQ_SR_SQ_SR_SV_EESW_SX_SY_SZ_S13_S14_S15_S18_S19_jS1A_jS1B_S1B_jjS1D_bEUljE0_EEESW_SX_SY_S15_S19_S1B_T6_T7_T9_mT8_S1D_bDpT10_ENKUlT_T0_E_clISt17integral_constantIbLb0EES1R_EEDaS1M_S1N_EUlS1M_E_NS1_11comp_targetILNS1_3genE0ELNS1_11target_archE4294967295ELNS1_3gpuE0ELNS1_3repE0EEENS1_30default_config_static_selectorELNS0_4arch9wavefront6targetE0EEEvSZ_.kd
    .uniform_work_group_size: 1
    .uses_dynamic_stack: false
    .vgpr_count:     0
    .vgpr_spill_count: 0
    .wavefront_size: 32
    .workgroup_processor_mode: 1
  - .args:
      - .offset:         0
        .size:           176
        .value_kind:     by_value
    .group_segment_fixed_size: 0
    .kernarg_segment_align: 8
    .kernarg_segment_size: 176
    .language:       OpenCL C
    .language_version:
      - 2
      - 0
    .max_flat_workgroup_size: 256
    .name:           _ZN7rocprim17ROCPRIM_400000_NS6detail17trampoline_kernelINS0_13select_configILj256ELj13ELNS0_17block_load_methodE3ELS4_3ELS4_3ELNS0_20block_scan_algorithmE0ELj4294967295EEENS1_25partition_config_selectorILNS1_17partition_subalgoE4EjNS0_10empty_typeEbEEZZNS1_14partition_implILS8_4ELb0ES6_15HIP_vector_typeIjLj2EENS0_17counting_iteratorIjlEEPS9_SG_NS0_5tupleIJPjSI_NS0_16reverse_iteratorISI_EEEEENSH_IJSG_SG_SG_EEES9_SI_JZNS1_25segmented_radix_sort_implINS0_14default_configELb0EPKlPlSQ_SR_N2at6native12_GLOBAL__N_18offset_tEEE10hipError_tPvRmT1_PNSt15iterator_traitsISZ_E10value_typeET2_T3_PNS10_IS15_E10value_typeET4_jRbjT5_S1B_jjP12ihipStream_tbEUljE_ZNSN_ISO_Lb0ESQ_SR_SQ_SR_SV_EESW_SX_SY_SZ_S13_S14_S15_S18_S19_jS1A_jS1B_S1B_jjS1D_bEUljE0_EEESW_SX_SY_S15_S19_S1B_T6_T7_T9_mT8_S1D_bDpT10_ENKUlT_T0_E_clISt17integral_constantIbLb0EES1R_EEDaS1M_S1N_EUlS1M_E_NS1_11comp_targetILNS1_3genE5ELNS1_11target_archE942ELNS1_3gpuE9ELNS1_3repE0EEENS1_30default_config_static_selectorELNS0_4arch9wavefront6targetE0EEEvSZ_
    .private_segment_fixed_size: 0
    .sgpr_count:     0
    .sgpr_spill_count: 0
    .symbol:         _ZN7rocprim17ROCPRIM_400000_NS6detail17trampoline_kernelINS0_13select_configILj256ELj13ELNS0_17block_load_methodE3ELS4_3ELS4_3ELNS0_20block_scan_algorithmE0ELj4294967295EEENS1_25partition_config_selectorILNS1_17partition_subalgoE4EjNS0_10empty_typeEbEEZZNS1_14partition_implILS8_4ELb0ES6_15HIP_vector_typeIjLj2EENS0_17counting_iteratorIjlEEPS9_SG_NS0_5tupleIJPjSI_NS0_16reverse_iteratorISI_EEEEENSH_IJSG_SG_SG_EEES9_SI_JZNS1_25segmented_radix_sort_implINS0_14default_configELb0EPKlPlSQ_SR_N2at6native12_GLOBAL__N_18offset_tEEE10hipError_tPvRmT1_PNSt15iterator_traitsISZ_E10value_typeET2_T3_PNS10_IS15_E10value_typeET4_jRbjT5_S1B_jjP12ihipStream_tbEUljE_ZNSN_ISO_Lb0ESQ_SR_SQ_SR_SV_EESW_SX_SY_SZ_S13_S14_S15_S18_S19_jS1A_jS1B_S1B_jjS1D_bEUljE0_EEESW_SX_SY_S15_S19_S1B_T6_T7_T9_mT8_S1D_bDpT10_ENKUlT_T0_E_clISt17integral_constantIbLb0EES1R_EEDaS1M_S1N_EUlS1M_E_NS1_11comp_targetILNS1_3genE5ELNS1_11target_archE942ELNS1_3gpuE9ELNS1_3repE0EEENS1_30default_config_static_selectorELNS0_4arch9wavefront6targetE0EEEvSZ_.kd
    .uniform_work_group_size: 1
    .uses_dynamic_stack: false
    .vgpr_count:     0
    .vgpr_spill_count: 0
    .wavefront_size: 32
    .workgroup_processor_mode: 1
  - .args:
      - .offset:         0
        .size:           176
        .value_kind:     by_value
    .group_segment_fixed_size: 0
    .kernarg_segment_align: 8
    .kernarg_segment_size: 176
    .language:       OpenCL C
    .language_version:
      - 2
      - 0
    .max_flat_workgroup_size: 256
    .name:           _ZN7rocprim17ROCPRIM_400000_NS6detail17trampoline_kernelINS0_13select_configILj256ELj13ELNS0_17block_load_methodE3ELS4_3ELS4_3ELNS0_20block_scan_algorithmE0ELj4294967295EEENS1_25partition_config_selectorILNS1_17partition_subalgoE4EjNS0_10empty_typeEbEEZZNS1_14partition_implILS8_4ELb0ES6_15HIP_vector_typeIjLj2EENS0_17counting_iteratorIjlEEPS9_SG_NS0_5tupleIJPjSI_NS0_16reverse_iteratorISI_EEEEENSH_IJSG_SG_SG_EEES9_SI_JZNS1_25segmented_radix_sort_implINS0_14default_configELb0EPKlPlSQ_SR_N2at6native12_GLOBAL__N_18offset_tEEE10hipError_tPvRmT1_PNSt15iterator_traitsISZ_E10value_typeET2_T3_PNS10_IS15_E10value_typeET4_jRbjT5_S1B_jjP12ihipStream_tbEUljE_ZNSN_ISO_Lb0ESQ_SR_SQ_SR_SV_EESW_SX_SY_SZ_S13_S14_S15_S18_S19_jS1A_jS1B_S1B_jjS1D_bEUljE0_EEESW_SX_SY_S15_S19_S1B_T6_T7_T9_mT8_S1D_bDpT10_ENKUlT_T0_E_clISt17integral_constantIbLb0EES1R_EEDaS1M_S1N_EUlS1M_E_NS1_11comp_targetILNS1_3genE4ELNS1_11target_archE910ELNS1_3gpuE8ELNS1_3repE0EEENS1_30default_config_static_selectorELNS0_4arch9wavefront6targetE0EEEvSZ_
    .private_segment_fixed_size: 0
    .sgpr_count:     0
    .sgpr_spill_count: 0
    .symbol:         _ZN7rocprim17ROCPRIM_400000_NS6detail17trampoline_kernelINS0_13select_configILj256ELj13ELNS0_17block_load_methodE3ELS4_3ELS4_3ELNS0_20block_scan_algorithmE0ELj4294967295EEENS1_25partition_config_selectorILNS1_17partition_subalgoE4EjNS0_10empty_typeEbEEZZNS1_14partition_implILS8_4ELb0ES6_15HIP_vector_typeIjLj2EENS0_17counting_iteratorIjlEEPS9_SG_NS0_5tupleIJPjSI_NS0_16reverse_iteratorISI_EEEEENSH_IJSG_SG_SG_EEES9_SI_JZNS1_25segmented_radix_sort_implINS0_14default_configELb0EPKlPlSQ_SR_N2at6native12_GLOBAL__N_18offset_tEEE10hipError_tPvRmT1_PNSt15iterator_traitsISZ_E10value_typeET2_T3_PNS10_IS15_E10value_typeET4_jRbjT5_S1B_jjP12ihipStream_tbEUljE_ZNSN_ISO_Lb0ESQ_SR_SQ_SR_SV_EESW_SX_SY_SZ_S13_S14_S15_S18_S19_jS1A_jS1B_S1B_jjS1D_bEUljE0_EEESW_SX_SY_S15_S19_S1B_T6_T7_T9_mT8_S1D_bDpT10_ENKUlT_T0_E_clISt17integral_constantIbLb0EES1R_EEDaS1M_S1N_EUlS1M_E_NS1_11comp_targetILNS1_3genE4ELNS1_11target_archE910ELNS1_3gpuE8ELNS1_3repE0EEENS1_30default_config_static_selectorELNS0_4arch9wavefront6targetE0EEEvSZ_.kd
    .uniform_work_group_size: 1
    .uses_dynamic_stack: false
    .vgpr_count:     0
    .vgpr_spill_count: 0
    .wavefront_size: 32
    .workgroup_processor_mode: 1
  - .args:
      - .offset:         0
        .size:           176
        .value_kind:     by_value
    .group_segment_fixed_size: 0
    .kernarg_segment_align: 8
    .kernarg_segment_size: 176
    .language:       OpenCL C
    .language_version:
      - 2
      - 0
    .max_flat_workgroup_size: 256
    .name:           _ZN7rocprim17ROCPRIM_400000_NS6detail17trampoline_kernelINS0_13select_configILj256ELj13ELNS0_17block_load_methodE3ELS4_3ELS4_3ELNS0_20block_scan_algorithmE0ELj4294967295EEENS1_25partition_config_selectorILNS1_17partition_subalgoE4EjNS0_10empty_typeEbEEZZNS1_14partition_implILS8_4ELb0ES6_15HIP_vector_typeIjLj2EENS0_17counting_iteratorIjlEEPS9_SG_NS0_5tupleIJPjSI_NS0_16reverse_iteratorISI_EEEEENSH_IJSG_SG_SG_EEES9_SI_JZNS1_25segmented_radix_sort_implINS0_14default_configELb0EPKlPlSQ_SR_N2at6native12_GLOBAL__N_18offset_tEEE10hipError_tPvRmT1_PNSt15iterator_traitsISZ_E10value_typeET2_T3_PNS10_IS15_E10value_typeET4_jRbjT5_S1B_jjP12ihipStream_tbEUljE_ZNSN_ISO_Lb0ESQ_SR_SQ_SR_SV_EESW_SX_SY_SZ_S13_S14_S15_S18_S19_jS1A_jS1B_S1B_jjS1D_bEUljE0_EEESW_SX_SY_S15_S19_S1B_T6_T7_T9_mT8_S1D_bDpT10_ENKUlT_T0_E_clISt17integral_constantIbLb0EES1R_EEDaS1M_S1N_EUlS1M_E_NS1_11comp_targetILNS1_3genE3ELNS1_11target_archE908ELNS1_3gpuE7ELNS1_3repE0EEENS1_30default_config_static_selectorELNS0_4arch9wavefront6targetE0EEEvSZ_
    .private_segment_fixed_size: 0
    .sgpr_count:     0
    .sgpr_spill_count: 0
    .symbol:         _ZN7rocprim17ROCPRIM_400000_NS6detail17trampoline_kernelINS0_13select_configILj256ELj13ELNS0_17block_load_methodE3ELS4_3ELS4_3ELNS0_20block_scan_algorithmE0ELj4294967295EEENS1_25partition_config_selectorILNS1_17partition_subalgoE4EjNS0_10empty_typeEbEEZZNS1_14partition_implILS8_4ELb0ES6_15HIP_vector_typeIjLj2EENS0_17counting_iteratorIjlEEPS9_SG_NS0_5tupleIJPjSI_NS0_16reverse_iteratorISI_EEEEENSH_IJSG_SG_SG_EEES9_SI_JZNS1_25segmented_radix_sort_implINS0_14default_configELb0EPKlPlSQ_SR_N2at6native12_GLOBAL__N_18offset_tEEE10hipError_tPvRmT1_PNSt15iterator_traitsISZ_E10value_typeET2_T3_PNS10_IS15_E10value_typeET4_jRbjT5_S1B_jjP12ihipStream_tbEUljE_ZNSN_ISO_Lb0ESQ_SR_SQ_SR_SV_EESW_SX_SY_SZ_S13_S14_S15_S18_S19_jS1A_jS1B_S1B_jjS1D_bEUljE0_EEESW_SX_SY_S15_S19_S1B_T6_T7_T9_mT8_S1D_bDpT10_ENKUlT_T0_E_clISt17integral_constantIbLb0EES1R_EEDaS1M_S1N_EUlS1M_E_NS1_11comp_targetILNS1_3genE3ELNS1_11target_archE908ELNS1_3gpuE7ELNS1_3repE0EEENS1_30default_config_static_selectorELNS0_4arch9wavefront6targetE0EEEvSZ_.kd
    .uniform_work_group_size: 1
    .uses_dynamic_stack: false
    .vgpr_count:     0
    .vgpr_spill_count: 0
    .wavefront_size: 32
    .workgroup_processor_mode: 1
  - .args:
      - .offset:         0
        .size:           176
        .value_kind:     by_value
    .group_segment_fixed_size: 0
    .kernarg_segment_align: 8
    .kernarg_segment_size: 176
    .language:       OpenCL C
    .language_version:
      - 2
      - 0
    .max_flat_workgroup_size: 256
    .name:           _ZN7rocprim17ROCPRIM_400000_NS6detail17trampoline_kernelINS0_13select_configILj256ELj13ELNS0_17block_load_methodE3ELS4_3ELS4_3ELNS0_20block_scan_algorithmE0ELj4294967295EEENS1_25partition_config_selectorILNS1_17partition_subalgoE4EjNS0_10empty_typeEbEEZZNS1_14partition_implILS8_4ELb0ES6_15HIP_vector_typeIjLj2EENS0_17counting_iteratorIjlEEPS9_SG_NS0_5tupleIJPjSI_NS0_16reverse_iteratorISI_EEEEENSH_IJSG_SG_SG_EEES9_SI_JZNS1_25segmented_radix_sort_implINS0_14default_configELb0EPKlPlSQ_SR_N2at6native12_GLOBAL__N_18offset_tEEE10hipError_tPvRmT1_PNSt15iterator_traitsISZ_E10value_typeET2_T3_PNS10_IS15_E10value_typeET4_jRbjT5_S1B_jjP12ihipStream_tbEUljE_ZNSN_ISO_Lb0ESQ_SR_SQ_SR_SV_EESW_SX_SY_SZ_S13_S14_S15_S18_S19_jS1A_jS1B_S1B_jjS1D_bEUljE0_EEESW_SX_SY_S15_S19_S1B_T6_T7_T9_mT8_S1D_bDpT10_ENKUlT_T0_E_clISt17integral_constantIbLb0EES1R_EEDaS1M_S1N_EUlS1M_E_NS1_11comp_targetILNS1_3genE2ELNS1_11target_archE906ELNS1_3gpuE6ELNS1_3repE0EEENS1_30default_config_static_selectorELNS0_4arch9wavefront6targetE0EEEvSZ_
    .private_segment_fixed_size: 0
    .sgpr_count:     0
    .sgpr_spill_count: 0
    .symbol:         _ZN7rocprim17ROCPRIM_400000_NS6detail17trampoline_kernelINS0_13select_configILj256ELj13ELNS0_17block_load_methodE3ELS4_3ELS4_3ELNS0_20block_scan_algorithmE0ELj4294967295EEENS1_25partition_config_selectorILNS1_17partition_subalgoE4EjNS0_10empty_typeEbEEZZNS1_14partition_implILS8_4ELb0ES6_15HIP_vector_typeIjLj2EENS0_17counting_iteratorIjlEEPS9_SG_NS0_5tupleIJPjSI_NS0_16reverse_iteratorISI_EEEEENSH_IJSG_SG_SG_EEES9_SI_JZNS1_25segmented_radix_sort_implINS0_14default_configELb0EPKlPlSQ_SR_N2at6native12_GLOBAL__N_18offset_tEEE10hipError_tPvRmT1_PNSt15iterator_traitsISZ_E10value_typeET2_T3_PNS10_IS15_E10value_typeET4_jRbjT5_S1B_jjP12ihipStream_tbEUljE_ZNSN_ISO_Lb0ESQ_SR_SQ_SR_SV_EESW_SX_SY_SZ_S13_S14_S15_S18_S19_jS1A_jS1B_S1B_jjS1D_bEUljE0_EEESW_SX_SY_S15_S19_S1B_T6_T7_T9_mT8_S1D_bDpT10_ENKUlT_T0_E_clISt17integral_constantIbLb0EES1R_EEDaS1M_S1N_EUlS1M_E_NS1_11comp_targetILNS1_3genE2ELNS1_11target_archE906ELNS1_3gpuE6ELNS1_3repE0EEENS1_30default_config_static_selectorELNS0_4arch9wavefront6targetE0EEEvSZ_.kd
    .uniform_work_group_size: 1
    .uses_dynamic_stack: false
    .vgpr_count:     0
    .vgpr_spill_count: 0
    .wavefront_size: 32
    .workgroup_processor_mode: 1
  - .args:
      - .offset:         0
        .size:           176
        .value_kind:     by_value
    .group_segment_fixed_size: 0
    .kernarg_segment_align: 8
    .kernarg_segment_size: 176
    .language:       OpenCL C
    .language_version:
      - 2
      - 0
    .max_flat_workgroup_size: 256
    .name:           _ZN7rocprim17ROCPRIM_400000_NS6detail17trampoline_kernelINS0_13select_configILj256ELj13ELNS0_17block_load_methodE3ELS4_3ELS4_3ELNS0_20block_scan_algorithmE0ELj4294967295EEENS1_25partition_config_selectorILNS1_17partition_subalgoE4EjNS0_10empty_typeEbEEZZNS1_14partition_implILS8_4ELb0ES6_15HIP_vector_typeIjLj2EENS0_17counting_iteratorIjlEEPS9_SG_NS0_5tupleIJPjSI_NS0_16reverse_iteratorISI_EEEEENSH_IJSG_SG_SG_EEES9_SI_JZNS1_25segmented_radix_sort_implINS0_14default_configELb0EPKlPlSQ_SR_N2at6native12_GLOBAL__N_18offset_tEEE10hipError_tPvRmT1_PNSt15iterator_traitsISZ_E10value_typeET2_T3_PNS10_IS15_E10value_typeET4_jRbjT5_S1B_jjP12ihipStream_tbEUljE_ZNSN_ISO_Lb0ESQ_SR_SQ_SR_SV_EESW_SX_SY_SZ_S13_S14_S15_S18_S19_jS1A_jS1B_S1B_jjS1D_bEUljE0_EEESW_SX_SY_S15_S19_S1B_T6_T7_T9_mT8_S1D_bDpT10_ENKUlT_T0_E_clISt17integral_constantIbLb0EES1R_EEDaS1M_S1N_EUlS1M_E_NS1_11comp_targetILNS1_3genE10ELNS1_11target_archE1200ELNS1_3gpuE4ELNS1_3repE0EEENS1_30default_config_static_selectorELNS0_4arch9wavefront6targetE0EEEvSZ_
    .private_segment_fixed_size: 0
    .sgpr_count:     0
    .sgpr_spill_count: 0
    .symbol:         _ZN7rocprim17ROCPRIM_400000_NS6detail17trampoline_kernelINS0_13select_configILj256ELj13ELNS0_17block_load_methodE3ELS4_3ELS4_3ELNS0_20block_scan_algorithmE0ELj4294967295EEENS1_25partition_config_selectorILNS1_17partition_subalgoE4EjNS0_10empty_typeEbEEZZNS1_14partition_implILS8_4ELb0ES6_15HIP_vector_typeIjLj2EENS0_17counting_iteratorIjlEEPS9_SG_NS0_5tupleIJPjSI_NS0_16reverse_iteratorISI_EEEEENSH_IJSG_SG_SG_EEES9_SI_JZNS1_25segmented_radix_sort_implINS0_14default_configELb0EPKlPlSQ_SR_N2at6native12_GLOBAL__N_18offset_tEEE10hipError_tPvRmT1_PNSt15iterator_traitsISZ_E10value_typeET2_T3_PNS10_IS15_E10value_typeET4_jRbjT5_S1B_jjP12ihipStream_tbEUljE_ZNSN_ISO_Lb0ESQ_SR_SQ_SR_SV_EESW_SX_SY_SZ_S13_S14_S15_S18_S19_jS1A_jS1B_S1B_jjS1D_bEUljE0_EEESW_SX_SY_S15_S19_S1B_T6_T7_T9_mT8_S1D_bDpT10_ENKUlT_T0_E_clISt17integral_constantIbLb0EES1R_EEDaS1M_S1N_EUlS1M_E_NS1_11comp_targetILNS1_3genE10ELNS1_11target_archE1200ELNS1_3gpuE4ELNS1_3repE0EEENS1_30default_config_static_selectorELNS0_4arch9wavefront6targetE0EEEvSZ_.kd
    .uniform_work_group_size: 1
    .uses_dynamic_stack: false
    .vgpr_count:     0
    .vgpr_spill_count: 0
    .wavefront_size: 32
    .workgroup_processor_mode: 1
  - .args:
      - .offset:         0
        .size:           176
        .value_kind:     by_value
    .group_segment_fixed_size: 0
    .kernarg_segment_align: 8
    .kernarg_segment_size: 176
    .language:       OpenCL C
    .language_version:
      - 2
      - 0
    .max_flat_workgroup_size: 256
    .name:           _ZN7rocprim17ROCPRIM_400000_NS6detail17trampoline_kernelINS0_13select_configILj256ELj13ELNS0_17block_load_methodE3ELS4_3ELS4_3ELNS0_20block_scan_algorithmE0ELj4294967295EEENS1_25partition_config_selectorILNS1_17partition_subalgoE4EjNS0_10empty_typeEbEEZZNS1_14partition_implILS8_4ELb0ES6_15HIP_vector_typeIjLj2EENS0_17counting_iteratorIjlEEPS9_SG_NS0_5tupleIJPjSI_NS0_16reverse_iteratorISI_EEEEENSH_IJSG_SG_SG_EEES9_SI_JZNS1_25segmented_radix_sort_implINS0_14default_configELb0EPKlPlSQ_SR_N2at6native12_GLOBAL__N_18offset_tEEE10hipError_tPvRmT1_PNSt15iterator_traitsISZ_E10value_typeET2_T3_PNS10_IS15_E10value_typeET4_jRbjT5_S1B_jjP12ihipStream_tbEUljE_ZNSN_ISO_Lb0ESQ_SR_SQ_SR_SV_EESW_SX_SY_SZ_S13_S14_S15_S18_S19_jS1A_jS1B_S1B_jjS1D_bEUljE0_EEESW_SX_SY_S15_S19_S1B_T6_T7_T9_mT8_S1D_bDpT10_ENKUlT_T0_E_clISt17integral_constantIbLb0EES1R_EEDaS1M_S1N_EUlS1M_E_NS1_11comp_targetILNS1_3genE9ELNS1_11target_archE1100ELNS1_3gpuE3ELNS1_3repE0EEENS1_30default_config_static_selectorELNS0_4arch9wavefront6targetE0EEEvSZ_
    .private_segment_fixed_size: 0
    .sgpr_count:     0
    .sgpr_spill_count: 0
    .symbol:         _ZN7rocprim17ROCPRIM_400000_NS6detail17trampoline_kernelINS0_13select_configILj256ELj13ELNS0_17block_load_methodE3ELS4_3ELS4_3ELNS0_20block_scan_algorithmE0ELj4294967295EEENS1_25partition_config_selectorILNS1_17partition_subalgoE4EjNS0_10empty_typeEbEEZZNS1_14partition_implILS8_4ELb0ES6_15HIP_vector_typeIjLj2EENS0_17counting_iteratorIjlEEPS9_SG_NS0_5tupleIJPjSI_NS0_16reverse_iteratorISI_EEEEENSH_IJSG_SG_SG_EEES9_SI_JZNS1_25segmented_radix_sort_implINS0_14default_configELb0EPKlPlSQ_SR_N2at6native12_GLOBAL__N_18offset_tEEE10hipError_tPvRmT1_PNSt15iterator_traitsISZ_E10value_typeET2_T3_PNS10_IS15_E10value_typeET4_jRbjT5_S1B_jjP12ihipStream_tbEUljE_ZNSN_ISO_Lb0ESQ_SR_SQ_SR_SV_EESW_SX_SY_SZ_S13_S14_S15_S18_S19_jS1A_jS1B_S1B_jjS1D_bEUljE0_EEESW_SX_SY_S15_S19_S1B_T6_T7_T9_mT8_S1D_bDpT10_ENKUlT_T0_E_clISt17integral_constantIbLb0EES1R_EEDaS1M_S1N_EUlS1M_E_NS1_11comp_targetILNS1_3genE9ELNS1_11target_archE1100ELNS1_3gpuE3ELNS1_3repE0EEENS1_30default_config_static_selectorELNS0_4arch9wavefront6targetE0EEEvSZ_.kd
    .uniform_work_group_size: 1
    .uses_dynamic_stack: false
    .vgpr_count:     0
    .vgpr_spill_count: 0
    .wavefront_size: 32
    .workgroup_processor_mode: 1
  - .args:
      - .offset:         0
        .size:           176
        .value_kind:     by_value
    .group_segment_fixed_size: 13328
    .kernarg_segment_align: 8
    .kernarg_segment_size: 176
    .language:       OpenCL C
    .language_version:
      - 2
      - 0
    .max_flat_workgroup_size: 256
    .name:           _ZN7rocprim17ROCPRIM_400000_NS6detail17trampoline_kernelINS0_13select_configILj256ELj13ELNS0_17block_load_methodE3ELS4_3ELS4_3ELNS0_20block_scan_algorithmE0ELj4294967295EEENS1_25partition_config_selectorILNS1_17partition_subalgoE4EjNS0_10empty_typeEbEEZZNS1_14partition_implILS8_4ELb0ES6_15HIP_vector_typeIjLj2EENS0_17counting_iteratorIjlEEPS9_SG_NS0_5tupleIJPjSI_NS0_16reverse_iteratorISI_EEEEENSH_IJSG_SG_SG_EEES9_SI_JZNS1_25segmented_radix_sort_implINS0_14default_configELb0EPKlPlSQ_SR_N2at6native12_GLOBAL__N_18offset_tEEE10hipError_tPvRmT1_PNSt15iterator_traitsISZ_E10value_typeET2_T3_PNS10_IS15_E10value_typeET4_jRbjT5_S1B_jjP12ihipStream_tbEUljE_ZNSN_ISO_Lb0ESQ_SR_SQ_SR_SV_EESW_SX_SY_SZ_S13_S14_S15_S18_S19_jS1A_jS1B_S1B_jjS1D_bEUljE0_EEESW_SX_SY_S15_S19_S1B_T6_T7_T9_mT8_S1D_bDpT10_ENKUlT_T0_E_clISt17integral_constantIbLb0EES1R_EEDaS1M_S1N_EUlS1M_E_NS1_11comp_targetILNS1_3genE8ELNS1_11target_archE1030ELNS1_3gpuE2ELNS1_3repE0EEENS1_30default_config_static_selectorELNS0_4arch9wavefront6targetE0EEEvSZ_
    .private_segment_fixed_size: 0
    .sgpr_count:     61
    .sgpr_spill_count: 0
    .symbol:         _ZN7rocprim17ROCPRIM_400000_NS6detail17trampoline_kernelINS0_13select_configILj256ELj13ELNS0_17block_load_methodE3ELS4_3ELS4_3ELNS0_20block_scan_algorithmE0ELj4294967295EEENS1_25partition_config_selectorILNS1_17partition_subalgoE4EjNS0_10empty_typeEbEEZZNS1_14partition_implILS8_4ELb0ES6_15HIP_vector_typeIjLj2EENS0_17counting_iteratorIjlEEPS9_SG_NS0_5tupleIJPjSI_NS0_16reverse_iteratorISI_EEEEENSH_IJSG_SG_SG_EEES9_SI_JZNS1_25segmented_radix_sort_implINS0_14default_configELb0EPKlPlSQ_SR_N2at6native12_GLOBAL__N_18offset_tEEE10hipError_tPvRmT1_PNSt15iterator_traitsISZ_E10value_typeET2_T3_PNS10_IS15_E10value_typeET4_jRbjT5_S1B_jjP12ihipStream_tbEUljE_ZNSN_ISO_Lb0ESQ_SR_SQ_SR_SV_EESW_SX_SY_SZ_S13_S14_S15_S18_S19_jS1A_jS1B_S1B_jjS1D_bEUljE0_EEESW_SX_SY_S15_S19_S1B_T6_T7_T9_mT8_S1D_bDpT10_ENKUlT_T0_E_clISt17integral_constantIbLb0EES1R_EEDaS1M_S1N_EUlS1M_E_NS1_11comp_targetILNS1_3genE8ELNS1_11target_archE1030ELNS1_3gpuE2ELNS1_3repE0EEENS1_30default_config_static_selectorELNS0_4arch9wavefront6targetE0EEEvSZ_.kd
    .uniform_work_group_size: 1
    .uses_dynamic_stack: false
    .vgpr_count:     82
    .vgpr_spill_count: 0
    .wavefront_size: 32
    .workgroup_processor_mode: 1
  - .args:
      - .offset:         0
        .size:           184
        .value_kind:     by_value
    .group_segment_fixed_size: 0
    .kernarg_segment_align: 8
    .kernarg_segment_size: 184
    .language:       OpenCL C
    .language_version:
      - 2
      - 0
    .max_flat_workgroup_size: 256
    .name:           _ZN7rocprim17ROCPRIM_400000_NS6detail17trampoline_kernelINS0_13select_configILj256ELj13ELNS0_17block_load_methodE3ELS4_3ELS4_3ELNS0_20block_scan_algorithmE0ELj4294967295EEENS1_25partition_config_selectorILNS1_17partition_subalgoE4EjNS0_10empty_typeEbEEZZNS1_14partition_implILS8_4ELb0ES6_15HIP_vector_typeIjLj2EENS0_17counting_iteratorIjlEEPS9_SG_NS0_5tupleIJPjSI_NS0_16reverse_iteratorISI_EEEEENSH_IJSG_SG_SG_EEES9_SI_JZNS1_25segmented_radix_sort_implINS0_14default_configELb0EPKlPlSQ_SR_N2at6native12_GLOBAL__N_18offset_tEEE10hipError_tPvRmT1_PNSt15iterator_traitsISZ_E10value_typeET2_T3_PNS10_IS15_E10value_typeET4_jRbjT5_S1B_jjP12ihipStream_tbEUljE_ZNSN_ISO_Lb0ESQ_SR_SQ_SR_SV_EESW_SX_SY_SZ_S13_S14_S15_S18_S19_jS1A_jS1B_S1B_jjS1D_bEUljE0_EEESW_SX_SY_S15_S19_S1B_T6_T7_T9_mT8_S1D_bDpT10_ENKUlT_T0_E_clISt17integral_constantIbLb1EES1R_EEDaS1M_S1N_EUlS1M_E_NS1_11comp_targetILNS1_3genE0ELNS1_11target_archE4294967295ELNS1_3gpuE0ELNS1_3repE0EEENS1_30default_config_static_selectorELNS0_4arch9wavefront6targetE0EEEvSZ_
    .private_segment_fixed_size: 0
    .sgpr_count:     0
    .sgpr_spill_count: 0
    .symbol:         _ZN7rocprim17ROCPRIM_400000_NS6detail17trampoline_kernelINS0_13select_configILj256ELj13ELNS0_17block_load_methodE3ELS4_3ELS4_3ELNS0_20block_scan_algorithmE0ELj4294967295EEENS1_25partition_config_selectorILNS1_17partition_subalgoE4EjNS0_10empty_typeEbEEZZNS1_14partition_implILS8_4ELb0ES6_15HIP_vector_typeIjLj2EENS0_17counting_iteratorIjlEEPS9_SG_NS0_5tupleIJPjSI_NS0_16reverse_iteratorISI_EEEEENSH_IJSG_SG_SG_EEES9_SI_JZNS1_25segmented_radix_sort_implINS0_14default_configELb0EPKlPlSQ_SR_N2at6native12_GLOBAL__N_18offset_tEEE10hipError_tPvRmT1_PNSt15iterator_traitsISZ_E10value_typeET2_T3_PNS10_IS15_E10value_typeET4_jRbjT5_S1B_jjP12ihipStream_tbEUljE_ZNSN_ISO_Lb0ESQ_SR_SQ_SR_SV_EESW_SX_SY_SZ_S13_S14_S15_S18_S19_jS1A_jS1B_S1B_jjS1D_bEUljE0_EEESW_SX_SY_S15_S19_S1B_T6_T7_T9_mT8_S1D_bDpT10_ENKUlT_T0_E_clISt17integral_constantIbLb1EES1R_EEDaS1M_S1N_EUlS1M_E_NS1_11comp_targetILNS1_3genE0ELNS1_11target_archE4294967295ELNS1_3gpuE0ELNS1_3repE0EEENS1_30default_config_static_selectorELNS0_4arch9wavefront6targetE0EEEvSZ_.kd
    .uniform_work_group_size: 1
    .uses_dynamic_stack: false
    .vgpr_count:     0
    .vgpr_spill_count: 0
    .wavefront_size: 32
    .workgroup_processor_mode: 1
  - .args:
      - .offset:         0
        .size:           184
        .value_kind:     by_value
    .group_segment_fixed_size: 0
    .kernarg_segment_align: 8
    .kernarg_segment_size: 184
    .language:       OpenCL C
    .language_version:
      - 2
      - 0
    .max_flat_workgroup_size: 256
    .name:           _ZN7rocprim17ROCPRIM_400000_NS6detail17trampoline_kernelINS0_13select_configILj256ELj13ELNS0_17block_load_methodE3ELS4_3ELS4_3ELNS0_20block_scan_algorithmE0ELj4294967295EEENS1_25partition_config_selectorILNS1_17partition_subalgoE4EjNS0_10empty_typeEbEEZZNS1_14partition_implILS8_4ELb0ES6_15HIP_vector_typeIjLj2EENS0_17counting_iteratorIjlEEPS9_SG_NS0_5tupleIJPjSI_NS0_16reverse_iteratorISI_EEEEENSH_IJSG_SG_SG_EEES9_SI_JZNS1_25segmented_radix_sort_implINS0_14default_configELb0EPKlPlSQ_SR_N2at6native12_GLOBAL__N_18offset_tEEE10hipError_tPvRmT1_PNSt15iterator_traitsISZ_E10value_typeET2_T3_PNS10_IS15_E10value_typeET4_jRbjT5_S1B_jjP12ihipStream_tbEUljE_ZNSN_ISO_Lb0ESQ_SR_SQ_SR_SV_EESW_SX_SY_SZ_S13_S14_S15_S18_S19_jS1A_jS1B_S1B_jjS1D_bEUljE0_EEESW_SX_SY_S15_S19_S1B_T6_T7_T9_mT8_S1D_bDpT10_ENKUlT_T0_E_clISt17integral_constantIbLb1EES1R_EEDaS1M_S1N_EUlS1M_E_NS1_11comp_targetILNS1_3genE5ELNS1_11target_archE942ELNS1_3gpuE9ELNS1_3repE0EEENS1_30default_config_static_selectorELNS0_4arch9wavefront6targetE0EEEvSZ_
    .private_segment_fixed_size: 0
    .sgpr_count:     0
    .sgpr_spill_count: 0
    .symbol:         _ZN7rocprim17ROCPRIM_400000_NS6detail17trampoline_kernelINS0_13select_configILj256ELj13ELNS0_17block_load_methodE3ELS4_3ELS4_3ELNS0_20block_scan_algorithmE0ELj4294967295EEENS1_25partition_config_selectorILNS1_17partition_subalgoE4EjNS0_10empty_typeEbEEZZNS1_14partition_implILS8_4ELb0ES6_15HIP_vector_typeIjLj2EENS0_17counting_iteratorIjlEEPS9_SG_NS0_5tupleIJPjSI_NS0_16reverse_iteratorISI_EEEEENSH_IJSG_SG_SG_EEES9_SI_JZNS1_25segmented_radix_sort_implINS0_14default_configELb0EPKlPlSQ_SR_N2at6native12_GLOBAL__N_18offset_tEEE10hipError_tPvRmT1_PNSt15iterator_traitsISZ_E10value_typeET2_T3_PNS10_IS15_E10value_typeET4_jRbjT5_S1B_jjP12ihipStream_tbEUljE_ZNSN_ISO_Lb0ESQ_SR_SQ_SR_SV_EESW_SX_SY_SZ_S13_S14_S15_S18_S19_jS1A_jS1B_S1B_jjS1D_bEUljE0_EEESW_SX_SY_S15_S19_S1B_T6_T7_T9_mT8_S1D_bDpT10_ENKUlT_T0_E_clISt17integral_constantIbLb1EES1R_EEDaS1M_S1N_EUlS1M_E_NS1_11comp_targetILNS1_3genE5ELNS1_11target_archE942ELNS1_3gpuE9ELNS1_3repE0EEENS1_30default_config_static_selectorELNS0_4arch9wavefront6targetE0EEEvSZ_.kd
    .uniform_work_group_size: 1
    .uses_dynamic_stack: false
    .vgpr_count:     0
    .vgpr_spill_count: 0
    .wavefront_size: 32
    .workgroup_processor_mode: 1
  - .args:
      - .offset:         0
        .size:           184
        .value_kind:     by_value
    .group_segment_fixed_size: 0
    .kernarg_segment_align: 8
    .kernarg_segment_size: 184
    .language:       OpenCL C
    .language_version:
      - 2
      - 0
    .max_flat_workgroup_size: 256
    .name:           _ZN7rocprim17ROCPRIM_400000_NS6detail17trampoline_kernelINS0_13select_configILj256ELj13ELNS0_17block_load_methodE3ELS4_3ELS4_3ELNS0_20block_scan_algorithmE0ELj4294967295EEENS1_25partition_config_selectorILNS1_17partition_subalgoE4EjNS0_10empty_typeEbEEZZNS1_14partition_implILS8_4ELb0ES6_15HIP_vector_typeIjLj2EENS0_17counting_iteratorIjlEEPS9_SG_NS0_5tupleIJPjSI_NS0_16reverse_iteratorISI_EEEEENSH_IJSG_SG_SG_EEES9_SI_JZNS1_25segmented_radix_sort_implINS0_14default_configELb0EPKlPlSQ_SR_N2at6native12_GLOBAL__N_18offset_tEEE10hipError_tPvRmT1_PNSt15iterator_traitsISZ_E10value_typeET2_T3_PNS10_IS15_E10value_typeET4_jRbjT5_S1B_jjP12ihipStream_tbEUljE_ZNSN_ISO_Lb0ESQ_SR_SQ_SR_SV_EESW_SX_SY_SZ_S13_S14_S15_S18_S19_jS1A_jS1B_S1B_jjS1D_bEUljE0_EEESW_SX_SY_S15_S19_S1B_T6_T7_T9_mT8_S1D_bDpT10_ENKUlT_T0_E_clISt17integral_constantIbLb1EES1R_EEDaS1M_S1N_EUlS1M_E_NS1_11comp_targetILNS1_3genE4ELNS1_11target_archE910ELNS1_3gpuE8ELNS1_3repE0EEENS1_30default_config_static_selectorELNS0_4arch9wavefront6targetE0EEEvSZ_
    .private_segment_fixed_size: 0
    .sgpr_count:     0
    .sgpr_spill_count: 0
    .symbol:         _ZN7rocprim17ROCPRIM_400000_NS6detail17trampoline_kernelINS0_13select_configILj256ELj13ELNS0_17block_load_methodE3ELS4_3ELS4_3ELNS0_20block_scan_algorithmE0ELj4294967295EEENS1_25partition_config_selectorILNS1_17partition_subalgoE4EjNS0_10empty_typeEbEEZZNS1_14partition_implILS8_4ELb0ES6_15HIP_vector_typeIjLj2EENS0_17counting_iteratorIjlEEPS9_SG_NS0_5tupleIJPjSI_NS0_16reverse_iteratorISI_EEEEENSH_IJSG_SG_SG_EEES9_SI_JZNS1_25segmented_radix_sort_implINS0_14default_configELb0EPKlPlSQ_SR_N2at6native12_GLOBAL__N_18offset_tEEE10hipError_tPvRmT1_PNSt15iterator_traitsISZ_E10value_typeET2_T3_PNS10_IS15_E10value_typeET4_jRbjT5_S1B_jjP12ihipStream_tbEUljE_ZNSN_ISO_Lb0ESQ_SR_SQ_SR_SV_EESW_SX_SY_SZ_S13_S14_S15_S18_S19_jS1A_jS1B_S1B_jjS1D_bEUljE0_EEESW_SX_SY_S15_S19_S1B_T6_T7_T9_mT8_S1D_bDpT10_ENKUlT_T0_E_clISt17integral_constantIbLb1EES1R_EEDaS1M_S1N_EUlS1M_E_NS1_11comp_targetILNS1_3genE4ELNS1_11target_archE910ELNS1_3gpuE8ELNS1_3repE0EEENS1_30default_config_static_selectorELNS0_4arch9wavefront6targetE0EEEvSZ_.kd
    .uniform_work_group_size: 1
    .uses_dynamic_stack: false
    .vgpr_count:     0
    .vgpr_spill_count: 0
    .wavefront_size: 32
    .workgroup_processor_mode: 1
  - .args:
      - .offset:         0
        .size:           184
        .value_kind:     by_value
    .group_segment_fixed_size: 0
    .kernarg_segment_align: 8
    .kernarg_segment_size: 184
    .language:       OpenCL C
    .language_version:
      - 2
      - 0
    .max_flat_workgroup_size: 256
    .name:           _ZN7rocprim17ROCPRIM_400000_NS6detail17trampoline_kernelINS0_13select_configILj256ELj13ELNS0_17block_load_methodE3ELS4_3ELS4_3ELNS0_20block_scan_algorithmE0ELj4294967295EEENS1_25partition_config_selectorILNS1_17partition_subalgoE4EjNS0_10empty_typeEbEEZZNS1_14partition_implILS8_4ELb0ES6_15HIP_vector_typeIjLj2EENS0_17counting_iteratorIjlEEPS9_SG_NS0_5tupleIJPjSI_NS0_16reverse_iteratorISI_EEEEENSH_IJSG_SG_SG_EEES9_SI_JZNS1_25segmented_radix_sort_implINS0_14default_configELb0EPKlPlSQ_SR_N2at6native12_GLOBAL__N_18offset_tEEE10hipError_tPvRmT1_PNSt15iterator_traitsISZ_E10value_typeET2_T3_PNS10_IS15_E10value_typeET4_jRbjT5_S1B_jjP12ihipStream_tbEUljE_ZNSN_ISO_Lb0ESQ_SR_SQ_SR_SV_EESW_SX_SY_SZ_S13_S14_S15_S18_S19_jS1A_jS1B_S1B_jjS1D_bEUljE0_EEESW_SX_SY_S15_S19_S1B_T6_T7_T9_mT8_S1D_bDpT10_ENKUlT_T0_E_clISt17integral_constantIbLb1EES1R_EEDaS1M_S1N_EUlS1M_E_NS1_11comp_targetILNS1_3genE3ELNS1_11target_archE908ELNS1_3gpuE7ELNS1_3repE0EEENS1_30default_config_static_selectorELNS0_4arch9wavefront6targetE0EEEvSZ_
    .private_segment_fixed_size: 0
    .sgpr_count:     0
    .sgpr_spill_count: 0
    .symbol:         _ZN7rocprim17ROCPRIM_400000_NS6detail17trampoline_kernelINS0_13select_configILj256ELj13ELNS0_17block_load_methodE3ELS4_3ELS4_3ELNS0_20block_scan_algorithmE0ELj4294967295EEENS1_25partition_config_selectorILNS1_17partition_subalgoE4EjNS0_10empty_typeEbEEZZNS1_14partition_implILS8_4ELb0ES6_15HIP_vector_typeIjLj2EENS0_17counting_iteratorIjlEEPS9_SG_NS0_5tupleIJPjSI_NS0_16reverse_iteratorISI_EEEEENSH_IJSG_SG_SG_EEES9_SI_JZNS1_25segmented_radix_sort_implINS0_14default_configELb0EPKlPlSQ_SR_N2at6native12_GLOBAL__N_18offset_tEEE10hipError_tPvRmT1_PNSt15iterator_traitsISZ_E10value_typeET2_T3_PNS10_IS15_E10value_typeET4_jRbjT5_S1B_jjP12ihipStream_tbEUljE_ZNSN_ISO_Lb0ESQ_SR_SQ_SR_SV_EESW_SX_SY_SZ_S13_S14_S15_S18_S19_jS1A_jS1B_S1B_jjS1D_bEUljE0_EEESW_SX_SY_S15_S19_S1B_T6_T7_T9_mT8_S1D_bDpT10_ENKUlT_T0_E_clISt17integral_constantIbLb1EES1R_EEDaS1M_S1N_EUlS1M_E_NS1_11comp_targetILNS1_3genE3ELNS1_11target_archE908ELNS1_3gpuE7ELNS1_3repE0EEENS1_30default_config_static_selectorELNS0_4arch9wavefront6targetE0EEEvSZ_.kd
    .uniform_work_group_size: 1
    .uses_dynamic_stack: false
    .vgpr_count:     0
    .vgpr_spill_count: 0
    .wavefront_size: 32
    .workgroup_processor_mode: 1
  - .args:
      - .offset:         0
        .size:           184
        .value_kind:     by_value
    .group_segment_fixed_size: 0
    .kernarg_segment_align: 8
    .kernarg_segment_size: 184
    .language:       OpenCL C
    .language_version:
      - 2
      - 0
    .max_flat_workgroup_size: 256
    .name:           _ZN7rocprim17ROCPRIM_400000_NS6detail17trampoline_kernelINS0_13select_configILj256ELj13ELNS0_17block_load_methodE3ELS4_3ELS4_3ELNS0_20block_scan_algorithmE0ELj4294967295EEENS1_25partition_config_selectorILNS1_17partition_subalgoE4EjNS0_10empty_typeEbEEZZNS1_14partition_implILS8_4ELb0ES6_15HIP_vector_typeIjLj2EENS0_17counting_iteratorIjlEEPS9_SG_NS0_5tupleIJPjSI_NS0_16reverse_iteratorISI_EEEEENSH_IJSG_SG_SG_EEES9_SI_JZNS1_25segmented_radix_sort_implINS0_14default_configELb0EPKlPlSQ_SR_N2at6native12_GLOBAL__N_18offset_tEEE10hipError_tPvRmT1_PNSt15iterator_traitsISZ_E10value_typeET2_T3_PNS10_IS15_E10value_typeET4_jRbjT5_S1B_jjP12ihipStream_tbEUljE_ZNSN_ISO_Lb0ESQ_SR_SQ_SR_SV_EESW_SX_SY_SZ_S13_S14_S15_S18_S19_jS1A_jS1B_S1B_jjS1D_bEUljE0_EEESW_SX_SY_S15_S19_S1B_T6_T7_T9_mT8_S1D_bDpT10_ENKUlT_T0_E_clISt17integral_constantIbLb1EES1R_EEDaS1M_S1N_EUlS1M_E_NS1_11comp_targetILNS1_3genE2ELNS1_11target_archE906ELNS1_3gpuE6ELNS1_3repE0EEENS1_30default_config_static_selectorELNS0_4arch9wavefront6targetE0EEEvSZ_
    .private_segment_fixed_size: 0
    .sgpr_count:     0
    .sgpr_spill_count: 0
    .symbol:         _ZN7rocprim17ROCPRIM_400000_NS6detail17trampoline_kernelINS0_13select_configILj256ELj13ELNS0_17block_load_methodE3ELS4_3ELS4_3ELNS0_20block_scan_algorithmE0ELj4294967295EEENS1_25partition_config_selectorILNS1_17partition_subalgoE4EjNS0_10empty_typeEbEEZZNS1_14partition_implILS8_4ELb0ES6_15HIP_vector_typeIjLj2EENS0_17counting_iteratorIjlEEPS9_SG_NS0_5tupleIJPjSI_NS0_16reverse_iteratorISI_EEEEENSH_IJSG_SG_SG_EEES9_SI_JZNS1_25segmented_radix_sort_implINS0_14default_configELb0EPKlPlSQ_SR_N2at6native12_GLOBAL__N_18offset_tEEE10hipError_tPvRmT1_PNSt15iterator_traitsISZ_E10value_typeET2_T3_PNS10_IS15_E10value_typeET4_jRbjT5_S1B_jjP12ihipStream_tbEUljE_ZNSN_ISO_Lb0ESQ_SR_SQ_SR_SV_EESW_SX_SY_SZ_S13_S14_S15_S18_S19_jS1A_jS1B_S1B_jjS1D_bEUljE0_EEESW_SX_SY_S15_S19_S1B_T6_T7_T9_mT8_S1D_bDpT10_ENKUlT_T0_E_clISt17integral_constantIbLb1EES1R_EEDaS1M_S1N_EUlS1M_E_NS1_11comp_targetILNS1_3genE2ELNS1_11target_archE906ELNS1_3gpuE6ELNS1_3repE0EEENS1_30default_config_static_selectorELNS0_4arch9wavefront6targetE0EEEvSZ_.kd
    .uniform_work_group_size: 1
    .uses_dynamic_stack: false
    .vgpr_count:     0
    .vgpr_spill_count: 0
    .wavefront_size: 32
    .workgroup_processor_mode: 1
  - .args:
      - .offset:         0
        .size:           184
        .value_kind:     by_value
    .group_segment_fixed_size: 0
    .kernarg_segment_align: 8
    .kernarg_segment_size: 184
    .language:       OpenCL C
    .language_version:
      - 2
      - 0
    .max_flat_workgroup_size: 256
    .name:           _ZN7rocprim17ROCPRIM_400000_NS6detail17trampoline_kernelINS0_13select_configILj256ELj13ELNS0_17block_load_methodE3ELS4_3ELS4_3ELNS0_20block_scan_algorithmE0ELj4294967295EEENS1_25partition_config_selectorILNS1_17partition_subalgoE4EjNS0_10empty_typeEbEEZZNS1_14partition_implILS8_4ELb0ES6_15HIP_vector_typeIjLj2EENS0_17counting_iteratorIjlEEPS9_SG_NS0_5tupleIJPjSI_NS0_16reverse_iteratorISI_EEEEENSH_IJSG_SG_SG_EEES9_SI_JZNS1_25segmented_radix_sort_implINS0_14default_configELb0EPKlPlSQ_SR_N2at6native12_GLOBAL__N_18offset_tEEE10hipError_tPvRmT1_PNSt15iterator_traitsISZ_E10value_typeET2_T3_PNS10_IS15_E10value_typeET4_jRbjT5_S1B_jjP12ihipStream_tbEUljE_ZNSN_ISO_Lb0ESQ_SR_SQ_SR_SV_EESW_SX_SY_SZ_S13_S14_S15_S18_S19_jS1A_jS1B_S1B_jjS1D_bEUljE0_EEESW_SX_SY_S15_S19_S1B_T6_T7_T9_mT8_S1D_bDpT10_ENKUlT_T0_E_clISt17integral_constantIbLb1EES1R_EEDaS1M_S1N_EUlS1M_E_NS1_11comp_targetILNS1_3genE10ELNS1_11target_archE1200ELNS1_3gpuE4ELNS1_3repE0EEENS1_30default_config_static_selectorELNS0_4arch9wavefront6targetE0EEEvSZ_
    .private_segment_fixed_size: 0
    .sgpr_count:     0
    .sgpr_spill_count: 0
    .symbol:         _ZN7rocprim17ROCPRIM_400000_NS6detail17trampoline_kernelINS0_13select_configILj256ELj13ELNS0_17block_load_methodE3ELS4_3ELS4_3ELNS0_20block_scan_algorithmE0ELj4294967295EEENS1_25partition_config_selectorILNS1_17partition_subalgoE4EjNS0_10empty_typeEbEEZZNS1_14partition_implILS8_4ELb0ES6_15HIP_vector_typeIjLj2EENS0_17counting_iteratorIjlEEPS9_SG_NS0_5tupleIJPjSI_NS0_16reverse_iteratorISI_EEEEENSH_IJSG_SG_SG_EEES9_SI_JZNS1_25segmented_radix_sort_implINS0_14default_configELb0EPKlPlSQ_SR_N2at6native12_GLOBAL__N_18offset_tEEE10hipError_tPvRmT1_PNSt15iterator_traitsISZ_E10value_typeET2_T3_PNS10_IS15_E10value_typeET4_jRbjT5_S1B_jjP12ihipStream_tbEUljE_ZNSN_ISO_Lb0ESQ_SR_SQ_SR_SV_EESW_SX_SY_SZ_S13_S14_S15_S18_S19_jS1A_jS1B_S1B_jjS1D_bEUljE0_EEESW_SX_SY_S15_S19_S1B_T6_T7_T9_mT8_S1D_bDpT10_ENKUlT_T0_E_clISt17integral_constantIbLb1EES1R_EEDaS1M_S1N_EUlS1M_E_NS1_11comp_targetILNS1_3genE10ELNS1_11target_archE1200ELNS1_3gpuE4ELNS1_3repE0EEENS1_30default_config_static_selectorELNS0_4arch9wavefront6targetE0EEEvSZ_.kd
    .uniform_work_group_size: 1
    .uses_dynamic_stack: false
    .vgpr_count:     0
    .vgpr_spill_count: 0
    .wavefront_size: 32
    .workgroup_processor_mode: 1
  - .args:
      - .offset:         0
        .size:           184
        .value_kind:     by_value
    .group_segment_fixed_size: 0
    .kernarg_segment_align: 8
    .kernarg_segment_size: 184
    .language:       OpenCL C
    .language_version:
      - 2
      - 0
    .max_flat_workgroup_size: 256
    .name:           _ZN7rocprim17ROCPRIM_400000_NS6detail17trampoline_kernelINS0_13select_configILj256ELj13ELNS0_17block_load_methodE3ELS4_3ELS4_3ELNS0_20block_scan_algorithmE0ELj4294967295EEENS1_25partition_config_selectorILNS1_17partition_subalgoE4EjNS0_10empty_typeEbEEZZNS1_14partition_implILS8_4ELb0ES6_15HIP_vector_typeIjLj2EENS0_17counting_iteratorIjlEEPS9_SG_NS0_5tupleIJPjSI_NS0_16reverse_iteratorISI_EEEEENSH_IJSG_SG_SG_EEES9_SI_JZNS1_25segmented_radix_sort_implINS0_14default_configELb0EPKlPlSQ_SR_N2at6native12_GLOBAL__N_18offset_tEEE10hipError_tPvRmT1_PNSt15iterator_traitsISZ_E10value_typeET2_T3_PNS10_IS15_E10value_typeET4_jRbjT5_S1B_jjP12ihipStream_tbEUljE_ZNSN_ISO_Lb0ESQ_SR_SQ_SR_SV_EESW_SX_SY_SZ_S13_S14_S15_S18_S19_jS1A_jS1B_S1B_jjS1D_bEUljE0_EEESW_SX_SY_S15_S19_S1B_T6_T7_T9_mT8_S1D_bDpT10_ENKUlT_T0_E_clISt17integral_constantIbLb1EES1R_EEDaS1M_S1N_EUlS1M_E_NS1_11comp_targetILNS1_3genE9ELNS1_11target_archE1100ELNS1_3gpuE3ELNS1_3repE0EEENS1_30default_config_static_selectorELNS0_4arch9wavefront6targetE0EEEvSZ_
    .private_segment_fixed_size: 0
    .sgpr_count:     0
    .sgpr_spill_count: 0
    .symbol:         _ZN7rocprim17ROCPRIM_400000_NS6detail17trampoline_kernelINS0_13select_configILj256ELj13ELNS0_17block_load_methodE3ELS4_3ELS4_3ELNS0_20block_scan_algorithmE0ELj4294967295EEENS1_25partition_config_selectorILNS1_17partition_subalgoE4EjNS0_10empty_typeEbEEZZNS1_14partition_implILS8_4ELb0ES6_15HIP_vector_typeIjLj2EENS0_17counting_iteratorIjlEEPS9_SG_NS0_5tupleIJPjSI_NS0_16reverse_iteratorISI_EEEEENSH_IJSG_SG_SG_EEES9_SI_JZNS1_25segmented_radix_sort_implINS0_14default_configELb0EPKlPlSQ_SR_N2at6native12_GLOBAL__N_18offset_tEEE10hipError_tPvRmT1_PNSt15iterator_traitsISZ_E10value_typeET2_T3_PNS10_IS15_E10value_typeET4_jRbjT5_S1B_jjP12ihipStream_tbEUljE_ZNSN_ISO_Lb0ESQ_SR_SQ_SR_SV_EESW_SX_SY_SZ_S13_S14_S15_S18_S19_jS1A_jS1B_S1B_jjS1D_bEUljE0_EEESW_SX_SY_S15_S19_S1B_T6_T7_T9_mT8_S1D_bDpT10_ENKUlT_T0_E_clISt17integral_constantIbLb1EES1R_EEDaS1M_S1N_EUlS1M_E_NS1_11comp_targetILNS1_3genE9ELNS1_11target_archE1100ELNS1_3gpuE3ELNS1_3repE0EEENS1_30default_config_static_selectorELNS0_4arch9wavefront6targetE0EEEvSZ_.kd
    .uniform_work_group_size: 1
    .uses_dynamic_stack: false
    .vgpr_count:     0
    .vgpr_spill_count: 0
    .wavefront_size: 32
    .workgroup_processor_mode: 1
  - .args:
      - .offset:         0
        .size:           184
        .value_kind:     by_value
    .group_segment_fixed_size: 0
    .kernarg_segment_align: 8
    .kernarg_segment_size: 184
    .language:       OpenCL C
    .language_version:
      - 2
      - 0
    .max_flat_workgroup_size: 256
    .name:           _ZN7rocprim17ROCPRIM_400000_NS6detail17trampoline_kernelINS0_13select_configILj256ELj13ELNS0_17block_load_methodE3ELS4_3ELS4_3ELNS0_20block_scan_algorithmE0ELj4294967295EEENS1_25partition_config_selectorILNS1_17partition_subalgoE4EjNS0_10empty_typeEbEEZZNS1_14partition_implILS8_4ELb0ES6_15HIP_vector_typeIjLj2EENS0_17counting_iteratorIjlEEPS9_SG_NS0_5tupleIJPjSI_NS0_16reverse_iteratorISI_EEEEENSH_IJSG_SG_SG_EEES9_SI_JZNS1_25segmented_radix_sort_implINS0_14default_configELb0EPKlPlSQ_SR_N2at6native12_GLOBAL__N_18offset_tEEE10hipError_tPvRmT1_PNSt15iterator_traitsISZ_E10value_typeET2_T3_PNS10_IS15_E10value_typeET4_jRbjT5_S1B_jjP12ihipStream_tbEUljE_ZNSN_ISO_Lb0ESQ_SR_SQ_SR_SV_EESW_SX_SY_SZ_S13_S14_S15_S18_S19_jS1A_jS1B_S1B_jjS1D_bEUljE0_EEESW_SX_SY_S15_S19_S1B_T6_T7_T9_mT8_S1D_bDpT10_ENKUlT_T0_E_clISt17integral_constantIbLb1EES1R_EEDaS1M_S1N_EUlS1M_E_NS1_11comp_targetILNS1_3genE8ELNS1_11target_archE1030ELNS1_3gpuE2ELNS1_3repE0EEENS1_30default_config_static_selectorELNS0_4arch9wavefront6targetE0EEEvSZ_
    .private_segment_fixed_size: 0
    .sgpr_count:     0
    .sgpr_spill_count: 0
    .symbol:         _ZN7rocprim17ROCPRIM_400000_NS6detail17trampoline_kernelINS0_13select_configILj256ELj13ELNS0_17block_load_methodE3ELS4_3ELS4_3ELNS0_20block_scan_algorithmE0ELj4294967295EEENS1_25partition_config_selectorILNS1_17partition_subalgoE4EjNS0_10empty_typeEbEEZZNS1_14partition_implILS8_4ELb0ES6_15HIP_vector_typeIjLj2EENS0_17counting_iteratorIjlEEPS9_SG_NS0_5tupleIJPjSI_NS0_16reverse_iteratorISI_EEEEENSH_IJSG_SG_SG_EEES9_SI_JZNS1_25segmented_radix_sort_implINS0_14default_configELb0EPKlPlSQ_SR_N2at6native12_GLOBAL__N_18offset_tEEE10hipError_tPvRmT1_PNSt15iterator_traitsISZ_E10value_typeET2_T3_PNS10_IS15_E10value_typeET4_jRbjT5_S1B_jjP12ihipStream_tbEUljE_ZNSN_ISO_Lb0ESQ_SR_SQ_SR_SV_EESW_SX_SY_SZ_S13_S14_S15_S18_S19_jS1A_jS1B_S1B_jjS1D_bEUljE0_EEESW_SX_SY_S15_S19_S1B_T6_T7_T9_mT8_S1D_bDpT10_ENKUlT_T0_E_clISt17integral_constantIbLb1EES1R_EEDaS1M_S1N_EUlS1M_E_NS1_11comp_targetILNS1_3genE8ELNS1_11target_archE1030ELNS1_3gpuE2ELNS1_3repE0EEENS1_30default_config_static_selectorELNS0_4arch9wavefront6targetE0EEEvSZ_.kd
    .uniform_work_group_size: 1
    .uses_dynamic_stack: false
    .vgpr_count:     0
    .vgpr_spill_count: 0
    .wavefront_size: 32
    .workgroup_processor_mode: 1
  - .args:
      - .offset:         0
        .size:           176
        .value_kind:     by_value
    .group_segment_fixed_size: 0
    .kernarg_segment_align: 8
    .kernarg_segment_size: 176
    .language:       OpenCL C
    .language_version:
      - 2
      - 0
    .max_flat_workgroup_size: 256
    .name:           _ZN7rocprim17ROCPRIM_400000_NS6detail17trampoline_kernelINS0_13select_configILj256ELj13ELNS0_17block_load_methodE3ELS4_3ELS4_3ELNS0_20block_scan_algorithmE0ELj4294967295EEENS1_25partition_config_selectorILNS1_17partition_subalgoE4EjNS0_10empty_typeEbEEZZNS1_14partition_implILS8_4ELb0ES6_15HIP_vector_typeIjLj2EENS0_17counting_iteratorIjlEEPS9_SG_NS0_5tupleIJPjSI_NS0_16reverse_iteratorISI_EEEEENSH_IJSG_SG_SG_EEES9_SI_JZNS1_25segmented_radix_sort_implINS0_14default_configELb0EPKlPlSQ_SR_N2at6native12_GLOBAL__N_18offset_tEEE10hipError_tPvRmT1_PNSt15iterator_traitsISZ_E10value_typeET2_T3_PNS10_IS15_E10value_typeET4_jRbjT5_S1B_jjP12ihipStream_tbEUljE_ZNSN_ISO_Lb0ESQ_SR_SQ_SR_SV_EESW_SX_SY_SZ_S13_S14_S15_S18_S19_jS1A_jS1B_S1B_jjS1D_bEUljE0_EEESW_SX_SY_S15_S19_S1B_T6_T7_T9_mT8_S1D_bDpT10_ENKUlT_T0_E_clISt17integral_constantIbLb1EES1Q_IbLb0EEEEDaS1M_S1N_EUlS1M_E_NS1_11comp_targetILNS1_3genE0ELNS1_11target_archE4294967295ELNS1_3gpuE0ELNS1_3repE0EEENS1_30default_config_static_selectorELNS0_4arch9wavefront6targetE0EEEvSZ_
    .private_segment_fixed_size: 0
    .sgpr_count:     0
    .sgpr_spill_count: 0
    .symbol:         _ZN7rocprim17ROCPRIM_400000_NS6detail17trampoline_kernelINS0_13select_configILj256ELj13ELNS0_17block_load_methodE3ELS4_3ELS4_3ELNS0_20block_scan_algorithmE0ELj4294967295EEENS1_25partition_config_selectorILNS1_17partition_subalgoE4EjNS0_10empty_typeEbEEZZNS1_14partition_implILS8_4ELb0ES6_15HIP_vector_typeIjLj2EENS0_17counting_iteratorIjlEEPS9_SG_NS0_5tupleIJPjSI_NS0_16reverse_iteratorISI_EEEEENSH_IJSG_SG_SG_EEES9_SI_JZNS1_25segmented_radix_sort_implINS0_14default_configELb0EPKlPlSQ_SR_N2at6native12_GLOBAL__N_18offset_tEEE10hipError_tPvRmT1_PNSt15iterator_traitsISZ_E10value_typeET2_T3_PNS10_IS15_E10value_typeET4_jRbjT5_S1B_jjP12ihipStream_tbEUljE_ZNSN_ISO_Lb0ESQ_SR_SQ_SR_SV_EESW_SX_SY_SZ_S13_S14_S15_S18_S19_jS1A_jS1B_S1B_jjS1D_bEUljE0_EEESW_SX_SY_S15_S19_S1B_T6_T7_T9_mT8_S1D_bDpT10_ENKUlT_T0_E_clISt17integral_constantIbLb1EES1Q_IbLb0EEEEDaS1M_S1N_EUlS1M_E_NS1_11comp_targetILNS1_3genE0ELNS1_11target_archE4294967295ELNS1_3gpuE0ELNS1_3repE0EEENS1_30default_config_static_selectorELNS0_4arch9wavefront6targetE0EEEvSZ_.kd
    .uniform_work_group_size: 1
    .uses_dynamic_stack: false
    .vgpr_count:     0
    .vgpr_spill_count: 0
    .wavefront_size: 32
    .workgroup_processor_mode: 1
  - .args:
      - .offset:         0
        .size:           176
        .value_kind:     by_value
    .group_segment_fixed_size: 0
    .kernarg_segment_align: 8
    .kernarg_segment_size: 176
    .language:       OpenCL C
    .language_version:
      - 2
      - 0
    .max_flat_workgroup_size: 256
    .name:           _ZN7rocprim17ROCPRIM_400000_NS6detail17trampoline_kernelINS0_13select_configILj256ELj13ELNS0_17block_load_methodE3ELS4_3ELS4_3ELNS0_20block_scan_algorithmE0ELj4294967295EEENS1_25partition_config_selectorILNS1_17partition_subalgoE4EjNS0_10empty_typeEbEEZZNS1_14partition_implILS8_4ELb0ES6_15HIP_vector_typeIjLj2EENS0_17counting_iteratorIjlEEPS9_SG_NS0_5tupleIJPjSI_NS0_16reverse_iteratorISI_EEEEENSH_IJSG_SG_SG_EEES9_SI_JZNS1_25segmented_radix_sort_implINS0_14default_configELb0EPKlPlSQ_SR_N2at6native12_GLOBAL__N_18offset_tEEE10hipError_tPvRmT1_PNSt15iterator_traitsISZ_E10value_typeET2_T3_PNS10_IS15_E10value_typeET4_jRbjT5_S1B_jjP12ihipStream_tbEUljE_ZNSN_ISO_Lb0ESQ_SR_SQ_SR_SV_EESW_SX_SY_SZ_S13_S14_S15_S18_S19_jS1A_jS1B_S1B_jjS1D_bEUljE0_EEESW_SX_SY_S15_S19_S1B_T6_T7_T9_mT8_S1D_bDpT10_ENKUlT_T0_E_clISt17integral_constantIbLb1EES1Q_IbLb0EEEEDaS1M_S1N_EUlS1M_E_NS1_11comp_targetILNS1_3genE5ELNS1_11target_archE942ELNS1_3gpuE9ELNS1_3repE0EEENS1_30default_config_static_selectorELNS0_4arch9wavefront6targetE0EEEvSZ_
    .private_segment_fixed_size: 0
    .sgpr_count:     0
    .sgpr_spill_count: 0
    .symbol:         _ZN7rocprim17ROCPRIM_400000_NS6detail17trampoline_kernelINS0_13select_configILj256ELj13ELNS0_17block_load_methodE3ELS4_3ELS4_3ELNS0_20block_scan_algorithmE0ELj4294967295EEENS1_25partition_config_selectorILNS1_17partition_subalgoE4EjNS0_10empty_typeEbEEZZNS1_14partition_implILS8_4ELb0ES6_15HIP_vector_typeIjLj2EENS0_17counting_iteratorIjlEEPS9_SG_NS0_5tupleIJPjSI_NS0_16reverse_iteratorISI_EEEEENSH_IJSG_SG_SG_EEES9_SI_JZNS1_25segmented_radix_sort_implINS0_14default_configELb0EPKlPlSQ_SR_N2at6native12_GLOBAL__N_18offset_tEEE10hipError_tPvRmT1_PNSt15iterator_traitsISZ_E10value_typeET2_T3_PNS10_IS15_E10value_typeET4_jRbjT5_S1B_jjP12ihipStream_tbEUljE_ZNSN_ISO_Lb0ESQ_SR_SQ_SR_SV_EESW_SX_SY_SZ_S13_S14_S15_S18_S19_jS1A_jS1B_S1B_jjS1D_bEUljE0_EEESW_SX_SY_S15_S19_S1B_T6_T7_T9_mT8_S1D_bDpT10_ENKUlT_T0_E_clISt17integral_constantIbLb1EES1Q_IbLb0EEEEDaS1M_S1N_EUlS1M_E_NS1_11comp_targetILNS1_3genE5ELNS1_11target_archE942ELNS1_3gpuE9ELNS1_3repE0EEENS1_30default_config_static_selectorELNS0_4arch9wavefront6targetE0EEEvSZ_.kd
    .uniform_work_group_size: 1
    .uses_dynamic_stack: false
    .vgpr_count:     0
    .vgpr_spill_count: 0
    .wavefront_size: 32
    .workgroup_processor_mode: 1
  - .args:
      - .offset:         0
        .size:           176
        .value_kind:     by_value
    .group_segment_fixed_size: 0
    .kernarg_segment_align: 8
    .kernarg_segment_size: 176
    .language:       OpenCL C
    .language_version:
      - 2
      - 0
    .max_flat_workgroup_size: 256
    .name:           _ZN7rocprim17ROCPRIM_400000_NS6detail17trampoline_kernelINS0_13select_configILj256ELj13ELNS0_17block_load_methodE3ELS4_3ELS4_3ELNS0_20block_scan_algorithmE0ELj4294967295EEENS1_25partition_config_selectorILNS1_17partition_subalgoE4EjNS0_10empty_typeEbEEZZNS1_14partition_implILS8_4ELb0ES6_15HIP_vector_typeIjLj2EENS0_17counting_iteratorIjlEEPS9_SG_NS0_5tupleIJPjSI_NS0_16reverse_iteratorISI_EEEEENSH_IJSG_SG_SG_EEES9_SI_JZNS1_25segmented_radix_sort_implINS0_14default_configELb0EPKlPlSQ_SR_N2at6native12_GLOBAL__N_18offset_tEEE10hipError_tPvRmT1_PNSt15iterator_traitsISZ_E10value_typeET2_T3_PNS10_IS15_E10value_typeET4_jRbjT5_S1B_jjP12ihipStream_tbEUljE_ZNSN_ISO_Lb0ESQ_SR_SQ_SR_SV_EESW_SX_SY_SZ_S13_S14_S15_S18_S19_jS1A_jS1B_S1B_jjS1D_bEUljE0_EEESW_SX_SY_S15_S19_S1B_T6_T7_T9_mT8_S1D_bDpT10_ENKUlT_T0_E_clISt17integral_constantIbLb1EES1Q_IbLb0EEEEDaS1M_S1N_EUlS1M_E_NS1_11comp_targetILNS1_3genE4ELNS1_11target_archE910ELNS1_3gpuE8ELNS1_3repE0EEENS1_30default_config_static_selectorELNS0_4arch9wavefront6targetE0EEEvSZ_
    .private_segment_fixed_size: 0
    .sgpr_count:     0
    .sgpr_spill_count: 0
    .symbol:         _ZN7rocprim17ROCPRIM_400000_NS6detail17trampoline_kernelINS0_13select_configILj256ELj13ELNS0_17block_load_methodE3ELS4_3ELS4_3ELNS0_20block_scan_algorithmE0ELj4294967295EEENS1_25partition_config_selectorILNS1_17partition_subalgoE4EjNS0_10empty_typeEbEEZZNS1_14partition_implILS8_4ELb0ES6_15HIP_vector_typeIjLj2EENS0_17counting_iteratorIjlEEPS9_SG_NS0_5tupleIJPjSI_NS0_16reverse_iteratorISI_EEEEENSH_IJSG_SG_SG_EEES9_SI_JZNS1_25segmented_radix_sort_implINS0_14default_configELb0EPKlPlSQ_SR_N2at6native12_GLOBAL__N_18offset_tEEE10hipError_tPvRmT1_PNSt15iterator_traitsISZ_E10value_typeET2_T3_PNS10_IS15_E10value_typeET4_jRbjT5_S1B_jjP12ihipStream_tbEUljE_ZNSN_ISO_Lb0ESQ_SR_SQ_SR_SV_EESW_SX_SY_SZ_S13_S14_S15_S18_S19_jS1A_jS1B_S1B_jjS1D_bEUljE0_EEESW_SX_SY_S15_S19_S1B_T6_T7_T9_mT8_S1D_bDpT10_ENKUlT_T0_E_clISt17integral_constantIbLb1EES1Q_IbLb0EEEEDaS1M_S1N_EUlS1M_E_NS1_11comp_targetILNS1_3genE4ELNS1_11target_archE910ELNS1_3gpuE8ELNS1_3repE0EEENS1_30default_config_static_selectorELNS0_4arch9wavefront6targetE0EEEvSZ_.kd
    .uniform_work_group_size: 1
    .uses_dynamic_stack: false
    .vgpr_count:     0
    .vgpr_spill_count: 0
    .wavefront_size: 32
    .workgroup_processor_mode: 1
  - .args:
      - .offset:         0
        .size:           176
        .value_kind:     by_value
    .group_segment_fixed_size: 0
    .kernarg_segment_align: 8
    .kernarg_segment_size: 176
    .language:       OpenCL C
    .language_version:
      - 2
      - 0
    .max_flat_workgroup_size: 256
    .name:           _ZN7rocprim17ROCPRIM_400000_NS6detail17trampoline_kernelINS0_13select_configILj256ELj13ELNS0_17block_load_methodE3ELS4_3ELS4_3ELNS0_20block_scan_algorithmE0ELj4294967295EEENS1_25partition_config_selectorILNS1_17partition_subalgoE4EjNS0_10empty_typeEbEEZZNS1_14partition_implILS8_4ELb0ES6_15HIP_vector_typeIjLj2EENS0_17counting_iteratorIjlEEPS9_SG_NS0_5tupleIJPjSI_NS0_16reverse_iteratorISI_EEEEENSH_IJSG_SG_SG_EEES9_SI_JZNS1_25segmented_radix_sort_implINS0_14default_configELb0EPKlPlSQ_SR_N2at6native12_GLOBAL__N_18offset_tEEE10hipError_tPvRmT1_PNSt15iterator_traitsISZ_E10value_typeET2_T3_PNS10_IS15_E10value_typeET4_jRbjT5_S1B_jjP12ihipStream_tbEUljE_ZNSN_ISO_Lb0ESQ_SR_SQ_SR_SV_EESW_SX_SY_SZ_S13_S14_S15_S18_S19_jS1A_jS1B_S1B_jjS1D_bEUljE0_EEESW_SX_SY_S15_S19_S1B_T6_T7_T9_mT8_S1D_bDpT10_ENKUlT_T0_E_clISt17integral_constantIbLb1EES1Q_IbLb0EEEEDaS1M_S1N_EUlS1M_E_NS1_11comp_targetILNS1_3genE3ELNS1_11target_archE908ELNS1_3gpuE7ELNS1_3repE0EEENS1_30default_config_static_selectorELNS0_4arch9wavefront6targetE0EEEvSZ_
    .private_segment_fixed_size: 0
    .sgpr_count:     0
    .sgpr_spill_count: 0
    .symbol:         _ZN7rocprim17ROCPRIM_400000_NS6detail17trampoline_kernelINS0_13select_configILj256ELj13ELNS0_17block_load_methodE3ELS4_3ELS4_3ELNS0_20block_scan_algorithmE0ELj4294967295EEENS1_25partition_config_selectorILNS1_17partition_subalgoE4EjNS0_10empty_typeEbEEZZNS1_14partition_implILS8_4ELb0ES6_15HIP_vector_typeIjLj2EENS0_17counting_iteratorIjlEEPS9_SG_NS0_5tupleIJPjSI_NS0_16reverse_iteratorISI_EEEEENSH_IJSG_SG_SG_EEES9_SI_JZNS1_25segmented_radix_sort_implINS0_14default_configELb0EPKlPlSQ_SR_N2at6native12_GLOBAL__N_18offset_tEEE10hipError_tPvRmT1_PNSt15iterator_traitsISZ_E10value_typeET2_T3_PNS10_IS15_E10value_typeET4_jRbjT5_S1B_jjP12ihipStream_tbEUljE_ZNSN_ISO_Lb0ESQ_SR_SQ_SR_SV_EESW_SX_SY_SZ_S13_S14_S15_S18_S19_jS1A_jS1B_S1B_jjS1D_bEUljE0_EEESW_SX_SY_S15_S19_S1B_T6_T7_T9_mT8_S1D_bDpT10_ENKUlT_T0_E_clISt17integral_constantIbLb1EES1Q_IbLb0EEEEDaS1M_S1N_EUlS1M_E_NS1_11comp_targetILNS1_3genE3ELNS1_11target_archE908ELNS1_3gpuE7ELNS1_3repE0EEENS1_30default_config_static_selectorELNS0_4arch9wavefront6targetE0EEEvSZ_.kd
    .uniform_work_group_size: 1
    .uses_dynamic_stack: false
    .vgpr_count:     0
    .vgpr_spill_count: 0
    .wavefront_size: 32
    .workgroup_processor_mode: 1
  - .args:
      - .offset:         0
        .size:           176
        .value_kind:     by_value
    .group_segment_fixed_size: 0
    .kernarg_segment_align: 8
    .kernarg_segment_size: 176
    .language:       OpenCL C
    .language_version:
      - 2
      - 0
    .max_flat_workgroup_size: 256
    .name:           _ZN7rocprim17ROCPRIM_400000_NS6detail17trampoline_kernelINS0_13select_configILj256ELj13ELNS0_17block_load_methodE3ELS4_3ELS4_3ELNS0_20block_scan_algorithmE0ELj4294967295EEENS1_25partition_config_selectorILNS1_17partition_subalgoE4EjNS0_10empty_typeEbEEZZNS1_14partition_implILS8_4ELb0ES6_15HIP_vector_typeIjLj2EENS0_17counting_iteratorIjlEEPS9_SG_NS0_5tupleIJPjSI_NS0_16reverse_iteratorISI_EEEEENSH_IJSG_SG_SG_EEES9_SI_JZNS1_25segmented_radix_sort_implINS0_14default_configELb0EPKlPlSQ_SR_N2at6native12_GLOBAL__N_18offset_tEEE10hipError_tPvRmT1_PNSt15iterator_traitsISZ_E10value_typeET2_T3_PNS10_IS15_E10value_typeET4_jRbjT5_S1B_jjP12ihipStream_tbEUljE_ZNSN_ISO_Lb0ESQ_SR_SQ_SR_SV_EESW_SX_SY_SZ_S13_S14_S15_S18_S19_jS1A_jS1B_S1B_jjS1D_bEUljE0_EEESW_SX_SY_S15_S19_S1B_T6_T7_T9_mT8_S1D_bDpT10_ENKUlT_T0_E_clISt17integral_constantIbLb1EES1Q_IbLb0EEEEDaS1M_S1N_EUlS1M_E_NS1_11comp_targetILNS1_3genE2ELNS1_11target_archE906ELNS1_3gpuE6ELNS1_3repE0EEENS1_30default_config_static_selectorELNS0_4arch9wavefront6targetE0EEEvSZ_
    .private_segment_fixed_size: 0
    .sgpr_count:     0
    .sgpr_spill_count: 0
    .symbol:         _ZN7rocprim17ROCPRIM_400000_NS6detail17trampoline_kernelINS0_13select_configILj256ELj13ELNS0_17block_load_methodE3ELS4_3ELS4_3ELNS0_20block_scan_algorithmE0ELj4294967295EEENS1_25partition_config_selectorILNS1_17partition_subalgoE4EjNS0_10empty_typeEbEEZZNS1_14partition_implILS8_4ELb0ES6_15HIP_vector_typeIjLj2EENS0_17counting_iteratorIjlEEPS9_SG_NS0_5tupleIJPjSI_NS0_16reverse_iteratorISI_EEEEENSH_IJSG_SG_SG_EEES9_SI_JZNS1_25segmented_radix_sort_implINS0_14default_configELb0EPKlPlSQ_SR_N2at6native12_GLOBAL__N_18offset_tEEE10hipError_tPvRmT1_PNSt15iterator_traitsISZ_E10value_typeET2_T3_PNS10_IS15_E10value_typeET4_jRbjT5_S1B_jjP12ihipStream_tbEUljE_ZNSN_ISO_Lb0ESQ_SR_SQ_SR_SV_EESW_SX_SY_SZ_S13_S14_S15_S18_S19_jS1A_jS1B_S1B_jjS1D_bEUljE0_EEESW_SX_SY_S15_S19_S1B_T6_T7_T9_mT8_S1D_bDpT10_ENKUlT_T0_E_clISt17integral_constantIbLb1EES1Q_IbLb0EEEEDaS1M_S1N_EUlS1M_E_NS1_11comp_targetILNS1_3genE2ELNS1_11target_archE906ELNS1_3gpuE6ELNS1_3repE0EEENS1_30default_config_static_selectorELNS0_4arch9wavefront6targetE0EEEvSZ_.kd
    .uniform_work_group_size: 1
    .uses_dynamic_stack: false
    .vgpr_count:     0
    .vgpr_spill_count: 0
    .wavefront_size: 32
    .workgroup_processor_mode: 1
  - .args:
      - .offset:         0
        .size:           176
        .value_kind:     by_value
    .group_segment_fixed_size: 0
    .kernarg_segment_align: 8
    .kernarg_segment_size: 176
    .language:       OpenCL C
    .language_version:
      - 2
      - 0
    .max_flat_workgroup_size: 256
    .name:           _ZN7rocprim17ROCPRIM_400000_NS6detail17trampoline_kernelINS0_13select_configILj256ELj13ELNS0_17block_load_methodE3ELS4_3ELS4_3ELNS0_20block_scan_algorithmE0ELj4294967295EEENS1_25partition_config_selectorILNS1_17partition_subalgoE4EjNS0_10empty_typeEbEEZZNS1_14partition_implILS8_4ELb0ES6_15HIP_vector_typeIjLj2EENS0_17counting_iteratorIjlEEPS9_SG_NS0_5tupleIJPjSI_NS0_16reverse_iteratorISI_EEEEENSH_IJSG_SG_SG_EEES9_SI_JZNS1_25segmented_radix_sort_implINS0_14default_configELb0EPKlPlSQ_SR_N2at6native12_GLOBAL__N_18offset_tEEE10hipError_tPvRmT1_PNSt15iterator_traitsISZ_E10value_typeET2_T3_PNS10_IS15_E10value_typeET4_jRbjT5_S1B_jjP12ihipStream_tbEUljE_ZNSN_ISO_Lb0ESQ_SR_SQ_SR_SV_EESW_SX_SY_SZ_S13_S14_S15_S18_S19_jS1A_jS1B_S1B_jjS1D_bEUljE0_EEESW_SX_SY_S15_S19_S1B_T6_T7_T9_mT8_S1D_bDpT10_ENKUlT_T0_E_clISt17integral_constantIbLb1EES1Q_IbLb0EEEEDaS1M_S1N_EUlS1M_E_NS1_11comp_targetILNS1_3genE10ELNS1_11target_archE1200ELNS1_3gpuE4ELNS1_3repE0EEENS1_30default_config_static_selectorELNS0_4arch9wavefront6targetE0EEEvSZ_
    .private_segment_fixed_size: 0
    .sgpr_count:     0
    .sgpr_spill_count: 0
    .symbol:         _ZN7rocprim17ROCPRIM_400000_NS6detail17trampoline_kernelINS0_13select_configILj256ELj13ELNS0_17block_load_methodE3ELS4_3ELS4_3ELNS0_20block_scan_algorithmE0ELj4294967295EEENS1_25partition_config_selectorILNS1_17partition_subalgoE4EjNS0_10empty_typeEbEEZZNS1_14partition_implILS8_4ELb0ES6_15HIP_vector_typeIjLj2EENS0_17counting_iteratorIjlEEPS9_SG_NS0_5tupleIJPjSI_NS0_16reverse_iteratorISI_EEEEENSH_IJSG_SG_SG_EEES9_SI_JZNS1_25segmented_radix_sort_implINS0_14default_configELb0EPKlPlSQ_SR_N2at6native12_GLOBAL__N_18offset_tEEE10hipError_tPvRmT1_PNSt15iterator_traitsISZ_E10value_typeET2_T3_PNS10_IS15_E10value_typeET4_jRbjT5_S1B_jjP12ihipStream_tbEUljE_ZNSN_ISO_Lb0ESQ_SR_SQ_SR_SV_EESW_SX_SY_SZ_S13_S14_S15_S18_S19_jS1A_jS1B_S1B_jjS1D_bEUljE0_EEESW_SX_SY_S15_S19_S1B_T6_T7_T9_mT8_S1D_bDpT10_ENKUlT_T0_E_clISt17integral_constantIbLb1EES1Q_IbLb0EEEEDaS1M_S1N_EUlS1M_E_NS1_11comp_targetILNS1_3genE10ELNS1_11target_archE1200ELNS1_3gpuE4ELNS1_3repE0EEENS1_30default_config_static_selectorELNS0_4arch9wavefront6targetE0EEEvSZ_.kd
    .uniform_work_group_size: 1
    .uses_dynamic_stack: false
    .vgpr_count:     0
    .vgpr_spill_count: 0
    .wavefront_size: 32
    .workgroup_processor_mode: 1
  - .args:
      - .offset:         0
        .size:           176
        .value_kind:     by_value
    .group_segment_fixed_size: 0
    .kernarg_segment_align: 8
    .kernarg_segment_size: 176
    .language:       OpenCL C
    .language_version:
      - 2
      - 0
    .max_flat_workgroup_size: 256
    .name:           _ZN7rocprim17ROCPRIM_400000_NS6detail17trampoline_kernelINS0_13select_configILj256ELj13ELNS0_17block_load_methodE3ELS4_3ELS4_3ELNS0_20block_scan_algorithmE0ELj4294967295EEENS1_25partition_config_selectorILNS1_17partition_subalgoE4EjNS0_10empty_typeEbEEZZNS1_14partition_implILS8_4ELb0ES6_15HIP_vector_typeIjLj2EENS0_17counting_iteratorIjlEEPS9_SG_NS0_5tupleIJPjSI_NS0_16reverse_iteratorISI_EEEEENSH_IJSG_SG_SG_EEES9_SI_JZNS1_25segmented_radix_sort_implINS0_14default_configELb0EPKlPlSQ_SR_N2at6native12_GLOBAL__N_18offset_tEEE10hipError_tPvRmT1_PNSt15iterator_traitsISZ_E10value_typeET2_T3_PNS10_IS15_E10value_typeET4_jRbjT5_S1B_jjP12ihipStream_tbEUljE_ZNSN_ISO_Lb0ESQ_SR_SQ_SR_SV_EESW_SX_SY_SZ_S13_S14_S15_S18_S19_jS1A_jS1B_S1B_jjS1D_bEUljE0_EEESW_SX_SY_S15_S19_S1B_T6_T7_T9_mT8_S1D_bDpT10_ENKUlT_T0_E_clISt17integral_constantIbLb1EES1Q_IbLb0EEEEDaS1M_S1N_EUlS1M_E_NS1_11comp_targetILNS1_3genE9ELNS1_11target_archE1100ELNS1_3gpuE3ELNS1_3repE0EEENS1_30default_config_static_selectorELNS0_4arch9wavefront6targetE0EEEvSZ_
    .private_segment_fixed_size: 0
    .sgpr_count:     0
    .sgpr_spill_count: 0
    .symbol:         _ZN7rocprim17ROCPRIM_400000_NS6detail17trampoline_kernelINS0_13select_configILj256ELj13ELNS0_17block_load_methodE3ELS4_3ELS4_3ELNS0_20block_scan_algorithmE0ELj4294967295EEENS1_25partition_config_selectorILNS1_17partition_subalgoE4EjNS0_10empty_typeEbEEZZNS1_14partition_implILS8_4ELb0ES6_15HIP_vector_typeIjLj2EENS0_17counting_iteratorIjlEEPS9_SG_NS0_5tupleIJPjSI_NS0_16reverse_iteratorISI_EEEEENSH_IJSG_SG_SG_EEES9_SI_JZNS1_25segmented_radix_sort_implINS0_14default_configELb0EPKlPlSQ_SR_N2at6native12_GLOBAL__N_18offset_tEEE10hipError_tPvRmT1_PNSt15iterator_traitsISZ_E10value_typeET2_T3_PNS10_IS15_E10value_typeET4_jRbjT5_S1B_jjP12ihipStream_tbEUljE_ZNSN_ISO_Lb0ESQ_SR_SQ_SR_SV_EESW_SX_SY_SZ_S13_S14_S15_S18_S19_jS1A_jS1B_S1B_jjS1D_bEUljE0_EEESW_SX_SY_S15_S19_S1B_T6_T7_T9_mT8_S1D_bDpT10_ENKUlT_T0_E_clISt17integral_constantIbLb1EES1Q_IbLb0EEEEDaS1M_S1N_EUlS1M_E_NS1_11comp_targetILNS1_3genE9ELNS1_11target_archE1100ELNS1_3gpuE3ELNS1_3repE0EEENS1_30default_config_static_selectorELNS0_4arch9wavefront6targetE0EEEvSZ_.kd
    .uniform_work_group_size: 1
    .uses_dynamic_stack: false
    .vgpr_count:     0
    .vgpr_spill_count: 0
    .wavefront_size: 32
    .workgroup_processor_mode: 1
  - .args:
      - .offset:         0
        .size:           176
        .value_kind:     by_value
    .group_segment_fixed_size: 0
    .kernarg_segment_align: 8
    .kernarg_segment_size: 176
    .language:       OpenCL C
    .language_version:
      - 2
      - 0
    .max_flat_workgroup_size: 256
    .name:           _ZN7rocprim17ROCPRIM_400000_NS6detail17trampoline_kernelINS0_13select_configILj256ELj13ELNS0_17block_load_methodE3ELS4_3ELS4_3ELNS0_20block_scan_algorithmE0ELj4294967295EEENS1_25partition_config_selectorILNS1_17partition_subalgoE4EjNS0_10empty_typeEbEEZZNS1_14partition_implILS8_4ELb0ES6_15HIP_vector_typeIjLj2EENS0_17counting_iteratorIjlEEPS9_SG_NS0_5tupleIJPjSI_NS0_16reverse_iteratorISI_EEEEENSH_IJSG_SG_SG_EEES9_SI_JZNS1_25segmented_radix_sort_implINS0_14default_configELb0EPKlPlSQ_SR_N2at6native12_GLOBAL__N_18offset_tEEE10hipError_tPvRmT1_PNSt15iterator_traitsISZ_E10value_typeET2_T3_PNS10_IS15_E10value_typeET4_jRbjT5_S1B_jjP12ihipStream_tbEUljE_ZNSN_ISO_Lb0ESQ_SR_SQ_SR_SV_EESW_SX_SY_SZ_S13_S14_S15_S18_S19_jS1A_jS1B_S1B_jjS1D_bEUljE0_EEESW_SX_SY_S15_S19_S1B_T6_T7_T9_mT8_S1D_bDpT10_ENKUlT_T0_E_clISt17integral_constantIbLb1EES1Q_IbLb0EEEEDaS1M_S1N_EUlS1M_E_NS1_11comp_targetILNS1_3genE8ELNS1_11target_archE1030ELNS1_3gpuE2ELNS1_3repE0EEENS1_30default_config_static_selectorELNS0_4arch9wavefront6targetE0EEEvSZ_
    .private_segment_fixed_size: 0
    .sgpr_count:     0
    .sgpr_spill_count: 0
    .symbol:         _ZN7rocprim17ROCPRIM_400000_NS6detail17trampoline_kernelINS0_13select_configILj256ELj13ELNS0_17block_load_methodE3ELS4_3ELS4_3ELNS0_20block_scan_algorithmE0ELj4294967295EEENS1_25partition_config_selectorILNS1_17partition_subalgoE4EjNS0_10empty_typeEbEEZZNS1_14partition_implILS8_4ELb0ES6_15HIP_vector_typeIjLj2EENS0_17counting_iteratorIjlEEPS9_SG_NS0_5tupleIJPjSI_NS0_16reverse_iteratorISI_EEEEENSH_IJSG_SG_SG_EEES9_SI_JZNS1_25segmented_radix_sort_implINS0_14default_configELb0EPKlPlSQ_SR_N2at6native12_GLOBAL__N_18offset_tEEE10hipError_tPvRmT1_PNSt15iterator_traitsISZ_E10value_typeET2_T3_PNS10_IS15_E10value_typeET4_jRbjT5_S1B_jjP12ihipStream_tbEUljE_ZNSN_ISO_Lb0ESQ_SR_SQ_SR_SV_EESW_SX_SY_SZ_S13_S14_S15_S18_S19_jS1A_jS1B_S1B_jjS1D_bEUljE0_EEESW_SX_SY_S15_S19_S1B_T6_T7_T9_mT8_S1D_bDpT10_ENKUlT_T0_E_clISt17integral_constantIbLb1EES1Q_IbLb0EEEEDaS1M_S1N_EUlS1M_E_NS1_11comp_targetILNS1_3genE8ELNS1_11target_archE1030ELNS1_3gpuE2ELNS1_3repE0EEENS1_30default_config_static_selectorELNS0_4arch9wavefront6targetE0EEEvSZ_.kd
    .uniform_work_group_size: 1
    .uses_dynamic_stack: false
    .vgpr_count:     0
    .vgpr_spill_count: 0
    .wavefront_size: 32
    .workgroup_processor_mode: 1
  - .args:
      - .offset:         0
        .size:           184
        .value_kind:     by_value
    .group_segment_fixed_size: 0
    .kernarg_segment_align: 8
    .kernarg_segment_size: 184
    .language:       OpenCL C
    .language_version:
      - 2
      - 0
    .max_flat_workgroup_size: 256
    .name:           _ZN7rocprim17ROCPRIM_400000_NS6detail17trampoline_kernelINS0_13select_configILj256ELj13ELNS0_17block_load_methodE3ELS4_3ELS4_3ELNS0_20block_scan_algorithmE0ELj4294967295EEENS1_25partition_config_selectorILNS1_17partition_subalgoE4EjNS0_10empty_typeEbEEZZNS1_14partition_implILS8_4ELb0ES6_15HIP_vector_typeIjLj2EENS0_17counting_iteratorIjlEEPS9_SG_NS0_5tupleIJPjSI_NS0_16reverse_iteratorISI_EEEEENSH_IJSG_SG_SG_EEES9_SI_JZNS1_25segmented_radix_sort_implINS0_14default_configELb0EPKlPlSQ_SR_N2at6native12_GLOBAL__N_18offset_tEEE10hipError_tPvRmT1_PNSt15iterator_traitsISZ_E10value_typeET2_T3_PNS10_IS15_E10value_typeET4_jRbjT5_S1B_jjP12ihipStream_tbEUljE_ZNSN_ISO_Lb0ESQ_SR_SQ_SR_SV_EESW_SX_SY_SZ_S13_S14_S15_S18_S19_jS1A_jS1B_S1B_jjS1D_bEUljE0_EEESW_SX_SY_S15_S19_S1B_T6_T7_T9_mT8_S1D_bDpT10_ENKUlT_T0_E_clISt17integral_constantIbLb0EES1Q_IbLb1EEEEDaS1M_S1N_EUlS1M_E_NS1_11comp_targetILNS1_3genE0ELNS1_11target_archE4294967295ELNS1_3gpuE0ELNS1_3repE0EEENS1_30default_config_static_selectorELNS0_4arch9wavefront6targetE0EEEvSZ_
    .private_segment_fixed_size: 0
    .sgpr_count:     0
    .sgpr_spill_count: 0
    .symbol:         _ZN7rocprim17ROCPRIM_400000_NS6detail17trampoline_kernelINS0_13select_configILj256ELj13ELNS0_17block_load_methodE3ELS4_3ELS4_3ELNS0_20block_scan_algorithmE0ELj4294967295EEENS1_25partition_config_selectorILNS1_17partition_subalgoE4EjNS0_10empty_typeEbEEZZNS1_14partition_implILS8_4ELb0ES6_15HIP_vector_typeIjLj2EENS0_17counting_iteratorIjlEEPS9_SG_NS0_5tupleIJPjSI_NS0_16reverse_iteratorISI_EEEEENSH_IJSG_SG_SG_EEES9_SI_JZNS1_25segmented_radix_sort_implINS0_14default_configELb0EPKlPlSQ_SR_N2at6native12_GLOBAL__N_18offset_tEEE10hipError_tPvRmT1_PNSt15iterator_traitsISZ_E10value_typeET2_T3_PNS10_IS15_E10value_typeET4_jRbjT5_S1B_jjP12ihipStream_tbEUljE_ZNSN_ISO_Lb0ESQ_SR_SQ_SR_SV_EESW_SX_SY_SZ_S13_S14_S15_S18_S19_jS1A_jS1B_S1B_jjS1D_bEUljE0_EEESW_SX_SY_S15_S19_S1B_T6_T7_T9_mT8_S1D_bDpT10_ENKUlT_T0_E_clISt17integral_constantIbLb0EES1Q_IbLb1EEEEDaS1M_S1N_EUlS1M_E_NS1_11comp_targetILNS1_3genE0ELNS1_11target_archE4294967295ELNS1_3gpuE0ELNS1_3repE0EEENS1_30default_config_static_selectorELNS0_4arch9wavefront6targetE0EEEvSZ_.kd
    .uniform_work_group_size: 1
    .uses_dynamic_stack: false
    .vgpr_count:     0
    .vgpr_spill_count: 0
    .wavefront_size: 32
    .workgroup_processor_mode: 1
  - .args:
      - .offset:         0
        .size:           184
        .value_kind:     by_value
    .group_segment_fixed_size: 0
    .kernarg_segment_align: 8
    .kernarg_segment_size: 184
    .language:       OpenCL C
    .language_version:
      - 2
      - 0
    .max_flat_workgroup_size: 256
    .name:           _ZN7rocprim17ROCPRIM_400000_NS6detail17trampoline_kernelINS0_13select_configILj256ELj13ELNS0_17block_load_methodE3ELS4_3ELS4_3ELNS0_20block_scan_algorithmE0ELj4294967295EEENS1_25partition_config_selectorILNS1_17partition_subalgoE4EjNS0_10empty_typeEbEEZZNS1_14partition_implILS8_4ELb0ES6_15HIP_vector_typeIjLj2EENS0_17counting_iteratorIjlEEPS9_SG_NS0_5tupleIJPjSI_NS0_16reverse_iteratorISI_EEEEENSH_IJSG_SG_SG_EEES9_SI_JZNS1_25segmented_radix_sort_implINS0_14default_configELb0EPKlPlSQ_SR_N2at6native12_GLOBAL__N_18offset_tEEE10hipError_tPvRmT1_PNSt15iterator_traitsISZ_E10value_typeET2_T3_PNS10_IS15_E10value_typeET4_jRbjT5_S1B_jjP12ihipStream_tbEUljE_ZNSN_ISO_Lb0ESQ_SR_SQ_SR_SV_EESW_SX_SY_SZ_S13_S14_S15_S18_S19_jS1A_jS1B_S1B_jjS1D_bEUljE0_EEESW_SX_SY_S15_S19_S1B_T6_T7_T9_mT8_S1D_bDpT10_ENKUlT_T0_E_clISt17integral_constantIbLb0EES1Q_IbLb1EEEEDaS1M_S1N_EUlS1M_E_NS1_11comp_targetILNS1_3genE5ELNS1_11target_archE942ELNS1_3gpuE9ELNS1_3repE0EEENS1_30default_config_static_selectorELNS0_4arch9wavefront6targetE0EEEvSZ_
    .private_segment_fixed_size: 0
    .sgpr_count:     0
    .sgpr_spill_count: 0
    .symbol:         _ZN7rocprim17ROCPRIM_400000_NS6detail17trampoline_kernelINS0_13select_configILj256ELj13ELNS0_17block_load_methodE3ELS4_3ELS4_3ELNS0_20block_scan_algorithmE0ELj4294967295EEENS1_25partition_config_selectorILNS1_17partition_subalgoE4EjNS0_10empty_typeEbEEZZNS1_14partition_implILS8_4ELb0ES6_15HIP_vector_typeIjLj2EENS0_17counting_iteratorIjlEEPS9_SG_NS0_5tupleIJPjSI_NS0_16reverse_iteratorISI_EEEEENSH_IJSG_SG_SG_EEES9_SI_JZNS1_25segmented_radix_sort_implINS0_14default_configELb0EPKlPlSQ_SR_N2at6native12_GLOBAL__N_18offset_tEEE10hipError_tPvRmT1_PNSt15iterator_traitsISZ_E10value_typeET2_T3_PNS10_IS15_E10value_typeET4_jRbjT5_S1B_jjP12ihipStream_tbEUljE_ZNSN_ISO_Lb0ESQ_SR_SQ_SR_SV_EESW_SX_SY_SZ_S13_S14_S15_S18_S19_jS1A_jS1B_S1B_jjS1D_bEUljE0_EEESW_SX_SY_S15_S19_S1B_T6_T7_T9_mT8_S1D_bDpT10_ENKUlT_T0_E_clISt17integral_constantIbLb0EES1Q_IbLb1EEEEDaS1M_S1N_EUlS1M_E_NS1_11comp_targetILNS1_3genE5ELNS1_11target_archE942ELNS1_3gpuE9ELNS1_3repE0EEENS1_30default_config_static_selectorELNS0_4arch9wavefront6targetE0EEEvSZ_.kd
    .uniform_work_group_size: 1
    .uses_dynamic_stack: false
    .vgpr_count:     0
    .vgpr_spill_count: 0
    .wavefront_size: 32
    .workgroup_processor_mode: 1
  - .args:
      - .offset:         0
        .size:           184
        .value_kind:     by_value
    .group_segment_fixed_size: 0
    .kernarg_segment_align: 8
    .kernarg_segment_size: 184
    .language:       OpenCL C
    .language_version:
      - 2
      - 0
    .max_flat_workgroup_size: 256
    .name:           _ZN7rocprim17ROCPRIM_400000_NS6detail17trampoline_kernelINS0_13select_configILj256ELj13ELNS0_17block_load_methodE3ELS4_3ELS4_3ELNS0_20block_scan_algorithmE0ELj4294967295EEENS1_25partition_config_selectorILNS1_17partition_subalgoE4EjNS0_10empty_typeEbEEZZNS1_14partition_implILS8_4ELb0ES6_15HIP_vector_typeIjLj2EENS0_17counting_iteratorIjlEEPS9_SG_NS0_5tupleIJPjSI_NS0_16reverse_iteratorISI_EEEEENSH_IJSG_SG_SG_EEES9_SI_JZNS1_25segmented_radix_sort_implINS0_14default_configELb0EPKlPlSQ_SR_N2at6native12_GLOBAL__N_18offset_tEEE10hipError_tPvRmT1_PNSt15iterator_traitsISZ_E10value_typeET2_T3_PNS10_IS15_E10value_typeET4_jRbjT5_S1B_jjP12ihipStream_tbEUljE_ZNSN_ISO_Lb0ESQ_SR_SQ_SR_SV_EESW_SX_SY_SZ_S13_S14_S15_S18_S19_jS1A_jS1B_S1B_jjS1D_bEUljE0_EEESW_SX_SY_S15_S19_S1B_T6_T7_T9_mT8_S1D_bDpT10_ENKUlT_T0_E_clISt17integral_constantIbLb0EES1Q_IbLb1EEEEDaS1M_S1N_EUlS1M_E_NS1_11comp_targetILNS1_3genE4ELNS1_11target_archE910ELNS1_3gpuE8ELNS1_3repE0EEENS1_30default_config_static_selectorELNS0_4arch9wavefront6targetE0EEEvSZ_
    .private_segment_fixed_size: 0
    .sgpr_count:     0
    .sgpr_spill_count: 0
    .symbol:         _ZN7rocprim17ROCPRIM_400000_NS6detail17trampoline_kernelINS0_13select_configILj256ELj13ELNS0_17block_load_methodE3ELS4_3ELS4_3ELNS0_20block_scan_algorithmE0ELj4294967295EEENS1_25partition_config_selectorILNS1_17partition_subalgoE4EjNS0_10empty_typeEbEEZZNS1_14partition_implILS8_4ELb0ES6_15HIP_vector_typeIjLj2EENS0_17counting_iteratorIjlEEPS9_SG_NS0_5tupleIJPjSI_NS0_16reverse_iteratorISI_EEEEENSH_IJSG_SG_SG_EEES9_SI_JZNS1_25segmented_radix_sort_implINS0_14default_configELb0EPKlPlSQ_SR_N2at6native12_GLOBAL__N_18offset_tEEE10hipError_tPvRmT1_PNSt15iterator_traitsISZ_E10value_typeET2_T3_PNS10_IS15_E10value_typeET4_jRbjT5_S1B_jjP12ihipStream_tbEUljE_ZNSN_ISO_Lb0ESQ_SR_SQ_SR_SV_EESW_SX_SY_SZ_S13_S14_S15_S18_S19_jS1A_jS1B_S1B_jjS1D_bEUljE0_EEESW_SX_SY_S15_S19_S1B_T6_T7_T9_mT8_S1D_bDpT10_ENKUlT_T0_E_clISt17integral_constantIbLb0EES1Q_IbLb1EEEEDaS1M_S1N_EUlS1M_E_NS1_11comp_targetILNS1_3genE4ELNS1_11target_archE910ELNS1_3gpuE8ELNS1_3repE0EEENS1_30default_config_static_selectorELNS0_4arch9wavefront6targetE0EEEvSZ_.kd
    .uniform_work_group_size: 1
    .uses_dynamic_stack: false
    .vgpr_count:     0
    .vgpr_spill_count: 0
    .wavefront_size: 32
    .workgroup_processor_mode: 1
  - .args:
      - .offset:         0
        .size:           184
        .value_kind:     by_value
    .group_segment_fixed_size: 0
    .kernarg_segment_align: 8
    .kernarg_segment_size: 184
    .language:       OpenCL C
    .language_version:
      - 2
      - 0
    .max_flat_workgroup_size: 256
    .name:           _ZN7rocprim17ROCPRIM_400000_NS6detail17trampoline_kernelINS0_13select_configILj256ELj13ELNS0_17block_load_methodE3ELS4_3ELS4_3ELNS0_20block_scan_algorithmE0ELj4294967295EEENS1_25partition_config_selectorILNS1_17partition_subalgoE4EjNS0_10empty_typeEbEEZZNS1_14partition_implILS8_4ELb0ES6_15HIP_vector_typeIjLj2EENS0_17counting_iteratorIjlEEPS9_SG_NS0_5tupleIJPjSI_NS0_16reverse_iteratorISI_EEEEENSH_IJSG_SG_SG_EEES9_SI_JZNS1_25segmented_radix_sort_implINS0_14default_configELb0EPKlPlSQ_SR_N2at6native12_GLOBAL__N_18offset_tEEE10hipError_tPvRmT1_PNSt15iterator_traitsISZ_E10value_typeET2_T3_PNS10_IS15_E10value_typeET4_jRbjT5_S1B_jjP12ihipStream_tbEUljE_ZNSN_ISO_Lb0ESQ_SR_SQ_SR_SV_EESW_SX_SY_SZ_S13_S14_S15_S18_S19_jS1A_jS1B_S1B_jjS1D_bEUljE0_EEESW_SX_SY_S15_S19_S1B_T6_T7_T9_mT8_S1D_bDpT10_ENKUlT_T0_E_clISt17integral_constantIbLb0EES1Q_IbLb1EEEEDaS1M_S1N_EUlS1M_E_NS1_11comp_targetILNS1_3genE3ELNS1_11target_archE908ELNS1_3gpuE7ELNS1_3repE0EEENS1_30default_config_static_selectorELNS0_4arch9wavefront6targetE0EEEvSZ_
    .private_segment_fixed_size: 0
    .sgpr_count:     0
    .sgpr_spill_count: 0
    .symbol:         _ZN7rocprim17ROCPRIM_400000_NS6detail17trampoline_kernelINS0_13select_configILj256ELj13ELNS0_17block_load_methodE3ELS4_3ELS4_3ELNS0_20block_scan_algorithmE0ELj4294967295EEENS1_25partition_config_selectorILNS1_17partition_subalgoE4EjNS0_10empty_typeEbEEZZNS1_14partition_implILS8_4ELb0ES6_15HIP_vector_typeIjLj2EENS0_17counting_iteratorIjlEEPS9_SG_NS0_5tupleIJPjSI_NS0_16reverse_iteratorISI_EEEEENSH_IJSG_SG_SG_EEES9_SI_JZNS1_25segmented_radix_sort_implINS0_14default_configELb0EPKlPlSQ_SR_N2at6native12_GLOBAL__N_18offset_tEEE10hipError_tPvRmT1_PNSt15iterator_traitsISZ_E10value_typeET2_T3_PNS10_IS15_E10value_typeET4_jRbjT5_S1B_jjP12ihipStream_tbEUljE_ZNSN_ISO_Lb0ESQ_SR_SQ_SR_SV_EESW_SX_SY_SZ_S13_S14_S15_S18_S19_jS1A_jS1B_S1B_jjS1D_bEUljE0_EEESW_SX_SY_S15_S19_S1B_T6_T7_T9_mT8_S1D_bDpT10_ENKUlT_T0_E_clISt17integral_constantIbLb0EES1Q_IbLb1EEEEDaS1M_S1N_EUlS1M_E_NS1_11comp_targetILNS1_3genE3ELNS1_11target_archE908ELNS1_3gpuE7ELNS1_3repE0EEENS1_30default_config_static_selectorELNS0_4arch9wavefront6targetE0EEEvSZ_.kd
    .uniform_work_group_size: 1
    .uses_dynamic_stack: false
    .vgpr_count:     0
    .vgpr_spill_count: 0
    .wavefront_size: 32
    .workgroup_processor_mode: 1
  - .args:
      - .offset:         0
        .size:           184
        .value_kind:     by_value
    .group_segment_fixed_size: 0
    .kernarg_segment_align: 8
    .kernarg_segment_size: 184
    .language:       OpenCL C
    .language_version:
      - 2
      - 0
    .max_flat_workgroup_size: 256
    .name:           _ZN7rocprim17ROCPRIM_400000_NS6detail17trampoline_kernelINS0_13select_configILj256ELj13ELNS0_17block_load_methodE3ELS4_3ELS4_3ELNS0_20block_scan_algorithmE0ELj4294967295EEENS1_25partition_config_selectorILNS1_17partition_subalgoE4EjNS0_10empty_typeEbEEZZNS1_14partition_implILS8_4ELb0ES6_15HIP_vector_typeIjLj2EENS0_17counting_iteratorIjlEEPS9_SG_NS0_5tupleIJPjSI_NS0_16reverse_iteratorISI_EEEEENSH_IJSG_SG_SG_EEES9_SI_JZNS1_25segmented_radix_sort_implINS0_14default_configELb0EPKlPlSQ_SR_N2at6native12_GLOBAL__N_18offset_tEEE10hipError_tPvRmT1_PNSt15iterator_traitsISZ_E10value_typeET2_T3_PNS10_IS15_E10value_typeET4_jRbjT5_S1B_jjP12ihipStream_tbEUljE_ZNSN_ISO_Lb0ESQ_SR_SQ_SR_SV_EESW_SX_SY_SZ_S13_S14_S15_S18_S19_jS1A_jS1B_S1B_jjS1D_bEUljE0_EEESW_SX_SY_S15_S19_S1B_T6_T7_T9_mT8_S1D_bDpT10_ENKUlT_T0_E_clISt17integral_constantIbLb0EES1Q_IbLb1EEEEDaS1M_S1N_EUlS1M_E_NS1_11comp_targetILNS1_3genE2ELNS1_11target_archE906ELNS1_3gpuE6ELNS1_3repE0EEENS1_30default_config_static_selectorELNS0_4arch9wavefront6targetE0EEEvSZ_
    .private_segment_fixed_size: 0
    .sgpr_count:     0
    .sgpr_spill_count: 0
    .symbol:         _ZN7rocprim17ROCPRIM_400000_NS6detail17trampoline_kernelINS0_13select_configILj256ELj13ELNS0_17block_load_methodE3ELS4_3ELS4_3ELNS0_20block_scan_algorithmE0ELj4294967295EEENS1_25partition_config_selectorILNS1_17partition_subalgoE4EjNS0_10empty_typeEbEEZZNS1_14partition_implILS8_4ELb0ES6_15HIP_vector_typeIjLj2EENS0_17counting_iteratorIjlEEPS9_SG_NS0_5tupleIJPjSI_NS0_16reverse_iteratorISI_EEEEENSH_IJSG_SG_SG_EEES9_SI_JZNS1_25segmented_radix_sort_implINS0_14default_configELb0EPKlPlSQ_SR_N2at6native12_GLOBAL__N_18offset_tEEE10hipError_tPvRmT1_PNSt15iterator_traitsISZ_E10value_typeET2_T3_PNS10_IS15_E10value_typeET4_jRbjT5_S1B_jjP12ihipStream_tbEUljE_ZNSN_ISO_Lb0ESQ_SR_SQ_SR_SV_EESW_SX_SY_SZ_S13_S14_S15_S18_S19_jS1A_jS1B_S1B_jjS1D_bEUljE0_EEESW_SX_SY_S15_S19_S1B_T6_T7_T9_mT8_S1D_bDpT10_ENKUlT_T0_E_clISt17integral_constantIbLb0EES1Q_IbLb1EEEEDaS1M_S1N_EUlS1M_E_NS1_11comp_targetILNS1_3genE2ELNS1_11target_archE906ELNS1_3gpuE6ELNS1_3repE0EEENS1_30default_config_static_selectorELNS0_4arch9wavefront6targetE0EEEvSZ_.kd
    .uniform_work_group_size: 1
    .uses_dynamic_stack: false
    .vgpr_count:     0
    .vgpr_spill_count: 0
    .wavefront_size: 32
    .workgroup_processor_mode: 1
  - .args:
      - .offset:         0
        .size:           184
        .value_kind:     by_value
    .group_segment_fixed_size: 0
    .kernarg_segment_align: 8
    .kernarg_segment_size: 184
    .language:       OpenCL C
    .language_version:
      - 2
      - 0
    .max_flat_workgroup_size: 256
    .name:           _ZN7rocprim17ROCPRIM_400000_NS6detail17trampoline_kernelINS0_13select_configILj256ELj13ELNS0_17block_load_methodE3ELS4_3ELS4_3ELNS0_20block_scan_algorithmE0ELj4294967295EEENS1_25partition_config_selectorILNS1_17partition_subalgoE4EjNS0_10empty_typeEbEEZZNS1_14partition_implILS8_4ELb0ES6_15HIP_vector_typeIjLj2EENS0_17counting_iteratorIjlEEPS9_SG_NS0_5tupleIJPjSI_NS0_16reverse_iteratorISI_EEEEENSH_IJSG_SG_SG_EEES9_SI_JZNS1_25segmented_radix_sort_implINS0_14default_configELb0EPKlPlSQ_SR_N2at6native12_GLOBAL__N_18offset_tEEE10hipError_tPvRmT1_PNSt15iterator_traitsISZ_E10value_typeET2_T3_PNS10_IS15_E10value_typeET4_jRbjT5_S1B_jjP12ihipStream_tbEUljE_ZNSN_ISO_Lb0ESQ_SR_SQ_SR_SV_EESW_SX_SY_SZ_S13_S14_S15_S18_S19_jS1A_jS1B_S1B_jjS1D_bEUljE0_EEESW_SX_SY_S15_S19_S1B_T6_T7_T9_mT8_S1D_bDpT10_ENKUlT_T0_E_clISt17integral_constantIbLb0EES1Q_IbLb1EEEEDaS1M_S1N_EUlS1M_E_NS1_11comp_targetILNS1_3genE10ELNS1_11target_archE1200ELNS1_3gpuE4ELNS1_3repE0EEENS1_30default_config_static_selectorELNS0_4arch9wavefront6targetE0EEEvSZ_
    .private_segment_fixed_size: 0
    .sgpr_count:     0
    .sgpr_spill_count: 0
    .symbol:         _ZN7rocprim17ROCPRIM_400000_NS6detail17trampoline_kernelINS0_13select_configILj256ELj13ELNS0_17block_load_methodE3ELS4_3ELS4_3ELNS0_20block_scan_algorithmE0ELj4294967295EEENS1_25partition_config_selectorILNS1_17partition_subalgoE4EjNS0_10empty_typeEbEEZZNS1_14partition_implILS8_4ELb0ES6_15HIP_vector_typeIjLj2EENS0_17counting_iteratorIjlEEPS9_SG_NS0_5tupleIJPjSI_NS0_16reverse_iteratorISI_EEEEENSH_IJSG_SG_SG_EEES9_SI_JZNS1_25segmented_radix_sort_implINS0_14default_configELb0EPKlPlSQ_SR_N2at6native12_GLOBAL__N_18offset_tEEE10hipError_tPvRmT1_PNSt15iterator_traitsISZ_E10value_typeET2_T3_PNS10_IS15_E10value_typeET4_jRbjT5_S1B_jjP12ihipStream_tbEUljE_ZNSN_ISO_Lb0ESQ_SR_SQ_SR_SV_EESW_SX_SY_SZ_S13_S14_S15_S18_S19_jS1A_jS1B_S1B_jjS1D_bEUljE0_EEESW_SX_SY_S15_S19_S1B_T6_T7_T9_mT8_S1D_bDpT10_ENKUlT_T0_E_clISt17integral_constantIbLb0EES1Q_IbLb1EEEEDaS1M_S1N_EUlS1M_E_NS1_11comp_targetILNS1_3genE10ELNS1_11target_archE1200ELNS1_3gpuE4ELNS1_3repE0EEENS1_30default_config_static_selectorELNS0_4arch9wavefront6targetE0EEEvSZ_.kd
    .uniform_work_group_size: 1
    .uses_dynamic_stack: false
    .vgpr_count:     0
    .vgpr_spill_count: 0
    .wavefront_size: 32
    .workgroup_processor_mode: 1
  - .args:
      - .offset:         0
        .size:           184
        .value_kind:     by_value
    .group_segment_fixed_size: 0
    .kernarg_segment_align: 8
    .kernarg_segment_size: 184
    .language:       OpenCL C
    .language_version:
      - 2
      - 0
    .max_flat_workgroup_size: 256
    .name:           _ZN7rocprim17ROCPRIM_400000_NS6detail17trampoline_kernelINS0_13select_configILj256ELj13ELNS0_17block_load_methodE3ELS4_3ELS4_3ELNS0_20block_scan_algorithmE0ELj4294967295EEENS1_25partition_config_selectorILNS1_17partition_subalgoE4EjNS0_10empty_typeEbEEZZNS1_14partition_implILS8_4ELb0ES6_15HIP_vector_typeIjLj2EENS0_17counting_iteratorIjlEEPS9_SG_NS0_5tupleIJPjSI_NS0_16reverse_iteratorISI_EEEEENSH_IJSG_SG_SG_EEES9_SI_JZNS1_25segmented_radix_sort_implINS0_14default_configELb0EPKlPlSQ_SR_N2at6native12_GLOBAL__N_18offset_tEEE10hipError_tPvRmT1_PNSt15iterator_traitsISZ_E10value_typeET2_T3_PNS10_IS15_E10value_typeET4_jRbjT5_S1B_jjP12ihipStream_tbEUljE_ZNSN_ISO_Lb0ESQ_SR_SQ_SR_SV_EESW_SX_SY_SZ_S13_S14_S15_S18_S19_jS1A_jS1B_S1B_jjS1D_bEUljE0_EEESW_SX_SY_S15_S19_S1B_T6_T7_T9_mT8_S1D_bDpT10_ENKUlT_T0_E_clISt17integral_constantIbLb0EES1Q_IbLb1EEEEDaS1M_S1N_EUlS1M_E_NS1_11comp_targetILNS1_3genE9ELNS1_11target_archE1100ELNS1_3gpuE3ELNS1_3repE0EEENS1_30default_config_static_selectorELNS0_4arch9wavefront6targetE0EEEvSZ_
    .private_segment_fixed_size: 0
    .sgpr_count:     0
    .sgpr_spill_count: 0
    .symbol:         _ZN7rocprim17ROCPRIM_400000_NS6detail17trampoline_kernelINS0_13select_configILj256ELj13ELNS0_17block_load_methodE3ELS4_3ELS4_3ELNS0_20block_scan_algorithmE0ELj4294967295EEENS1_25partition_config_selectorILNS1_17partition_subalgoE4EjNS0_10empty_typeEbEEZZNS1_14partition_implILS8_4ELb0ES6_15HIP_vector_typeIjLj2EENS0_17counting_iteratorIjlEEPS9_SG_NS0_5tupleIJPjSI_NS0_16reverse_iteratorISI_EEEEENSH_IJSG_SG_SG_EEES9_SI_JZNS1_25segmented_radix_sort_implINS0_14default_configELb0EPKlPlSQ_SR_N2at6native12_GLOBAL__N_18offset_tEEE10hipError_tPvRmT1_PNSt15iterator_traitsISZ_E10value_typeET2_T3_PNS10_IS15_E10value_typeET4_jRbjT5_S1B_jjP12ihipStream_tbEUljE_ZNSN_ISO_Lb0ESQ_SR_SQ_SR_SV_EESW_SX_SY_SZ_S13_S14_S15_S18_S19_jS1A_jS1B_S1B_jjS1D_bEUljE0_EEESW_SX_SY_S15_S19_S1B_T6_T7_T9_mT8_S1D_bDpT10_ENKUlT_T0_E_clISt17integral_constantIbLb0EES1Q_IbLb1EEEEDaS1M_S1N_EUlS1M_E_NS1_11comp_targetILNS1_3genE9ELNS1_11target_archE1100ELNS1_3gpuE3ELNS1_3repE0EEENS1_30default_config_static_selectorELNS0_4arch9wavefront6targetE0EEEvSZ_.kd
    .uniform_work_group_size: 1
    .uses_dynamic_stack: false
    .vgpr_count:     0
    .vgpr_spill_count: 0
    .wavefront_size: 32
    .workgroup_processor_mode: 1
  - .args:
      - .offset:         0
        .size:           184
        .value_kind:     by_value
    .group_segment_fixed_size: 13328
    .kernarg_segment_align: 8
    .kernarg_segment_size: 184
    .language:       OpenCL C
    .language_version:
      - 2
      - 0
    .max_flat_workgroup_size: 256
    .name:           _ZN7rocprim17ROCPRIM_400000_NS6detail17trampoline_kernelINS0_13select_configILj256ELj13ELNS0_17block_load_methodE3ELS4_3ELS4_3ELNS0_20block_scan_algorithmE0ELj4294967295EEENS1_25partition_config_selectorILNS1_17partition_subalgoE4EjNS0_10empty_typeEbEEZZNS1_14partition_implILS8_4ELb0ES6_15HIP_vector_typeIjLj2EENS0_17counting_iteratorIjlEEPS9_SG_NS0_5tupleIJPjSI_NS0_16reverse_iteratorISI_EEEEENSH_IJSG_SG_SG_EEES9_SI_JZNS1_25segmented_radix_sort_implINS0_14default_configELb0EPKlPlSQ_SR_N2at6native12_GLOBAL__N_18offset_tEEE10hipError_tPvRmT1_PNSt15iterator_traitsISZ_E10value_typeET2_T3_PNS10_IS15_E10value_typeET4_jRbjT5_S1B_jjP12ihipStream_tbEUljE_ZNSN_ISO_Lb0ESQ_SR_SQ_SR_SV_EESW_SX_SY_SZ_S13_S14_S15_S18_S19_jS1A_jS1B_S1B_jjS1D_bEUljE0_EEESW_SX_SY_S15_S19_S1B_T6_T7_T9_mT8_S1D_bDpT10_ENKUlT_T0_E_clISt17integral_constantIbLb0EES1Q_IbLb1EEEEDaS1M_S1N_EUlS1M_E_NS1_11comp_targetILNS1_3genE8ELNS1_11target_archE1030ELNS1_3gpuE2ELNS1_3repE0EEENS1_30default_config_static_selectorELNS0_4arch9wavefront6targetE0EEEvSZ_
    .private_segment_fixed_size: 0
    .sgpr_count:     57
    .sgpr_spill_count: 0
    .symbol:         _ZN7rocprim17ROCPRIM_400000_NS6detail17trampoline_kernelINS0_13select_configILj256ELj13ELNS0_17block_load_methodE3ELS4_3ELS4_3ELNS0_20block_scan_algorithmE0ELj4294967295EEENS1_25partition_config_selectorILNS1_17partition_subalgoE4EjNS0_10empty_typeEbEEZZNS1_14partition_implILS8_4ELb0ES6_15HIP_vector_typeIjLj2EENS0_17counting_iteratorIjlEEPS9_SG_NS0_5tupleIJPjSI_NS0_16reverse_iteratorISI_EEEEENSH_IJSG_SG_SG_EEES9_SI_JZNS1_25segmented_radix_sort_implINS0_14default_configELb0EPKlPlSQ_SR_N2at6native12_GLOBAL__N_18offset_tEEE10hipError_tPvRmT1_PNSt15iterator_traitsISZ_E10value_typeET2_T3_PNS10_IS15_E10value_typeET4_jRbjT5_S1B_jjP12ihipStream_tbEUljE_ZNSN_ISO_Lb0ESQ_SR_SQ_SR_SV_EESW_SX_SY_SZ_S13_S14_S15_S18_S19_jS1A_jS1B_S1B_jjS1D_bEUljE0_EEESW_SX_SY_S15_S19_S1B_T6_T7_T9_mT8_S1D_bDpT10_ENKUlT_T0_E_clISt17integral_constantIbLb0EES1Q_IbLb1EEEEDaS1M_S1N_EUlS1M_E_NS1_11comp_targetILNS1_3genE8ELNS1_11target_archE1030ELNS1_3gpuE2ELNS1_3repE0EEENS1_30default_config_static_selectorELNS0_4arch9wavefront6targetE0EEEvSZ_.kd
    .uniform_work_group_size: 1
    .uses_dynamic_stack: false
    .vgpr_count:     87
    .vgpr_spill_count: 0
    .wavefront_size: 32
    .workgroup_processor_mode: 1
  - .args:
      - .offset:         0
        .size:           144
        .value_kind:     by_value
    .group_segment_fixed_size: 0
    .kernarg_segment_align: 8
    .kernarg_segment_size: 144
    .language:       OpenCL C
    .language_version:
      - 2
      - 0
    .max_flat_workgroup_size: 256
    .name:           _ZN7rocprim17ROCPRIM_400000_NS6detail17trampoline_kernelINS0_13select_configILj256ELj13ELNS0_17block_load_methodE3ELS4_3ELS4_3ELNS0_20block_scan_algorithmE0ELj4294967295EEENS1_25partition_config_selectorILNS1_17partition_subalgoE3EjNS0_10empty_typeEbEEZZNS1_14partition_implILS8_3ELb0ES6_jNS0_17counting_iteratorIjlEEPS9_SE_NS0_5tupleIJPjSE_EEENSF_IJSE_SE_EEES9_SG_JZNS1_25segmented_radix_sort_implINS0_14default_configELb0EPKlPlSM_SN_N2at6native12_GLOBAL__N_18offset_tEEE10hipError_tPvRmT1_PNSt15iterator_traitsISV_E10value_typeET2_T3_PNSW_IS11_E10value_typeET4_jRbjT5_S17_jjP12ihipStream_tbEUljE_EEESS_ST_SU_S11_S15_S17_T6_T7_T9_mT8_S19_bDpT10_ENKUlT_T0_E_clISt17integral_constantIbLb0EES1M_EEDaS1H_S1I_EUlS1H_E_NS1_11comp_targetILNS1_3genE0ELNS1_11target_archE4294967295ELNS1_3gpuE0ELNS1_3repE0EEENS1_30default_config_static_selectorELNS0_4arch9wavefront6targetE0EEEvSV_
    .private_segment_fixed_size: 0
    .sgpr_count:     0
    .sgpr_spill_count: 0
    .symbol:         _ZN7rocprim17ROCPRIM_400000_NS6detail17trampoline_kernelINS0_13select_configILj256ELj13ELNS0_17block_load_methodE3ELS4_3ELS4_3ELNS0_20block_scan_algorithmE0ELj4294967295EEENS1_25partition_config_selectorILNS1_17partition_subalgoE3EjNS0_10empty_typeEbEEZZNS1_14partition_implILS8_3ELb0ES6_jNS0_17counting_iteratorIjlEEPS9_SE_NS0_5tupleIJPjSE_EEENSF_IJSE_SE_EEES9_SG_JZNS1_25segmented_radix_sort_implINS0_14default_configELb0EPKlPlSM_SN_N2at6native12_GLOBAL__N_18offset_tEEE10hipError_tPvRmT1_PNSt15iterator_traitsISV_E10value_typeET2_T3_PNSW_IS11_E10value_typeET4_jRbjT5_S17_jjP12ihipStream_tbEUljE_EEESS_ST_SU_S11_S15_S17_T6_T7_T9_mT8_S19_bDpT10_ENKUlT_T0_E_clISt17integral_constantIbLb0EES1M_EEDaS1H_S1I_EUlS1H_E_NS1_11comp_targetILNS1_3genE0ELNS1_11target_archE4294967295ELNS1_3gpuE0ELNS1_3repE0EEENS1_30default_config_static_selectorELNS0_4arch9wavefront6targetE0EEEvSV_.kd
    .uniform_work_group_size: 1
    .uses_dynamic_stack: false
    .vgpr_count:     0
    .vgpr_spill_count: 0
    .wavefront_size: 32
    .workgroup_processor_mode: 1
  - .args:
      - .offset:         0
        .size:           144
        .value_kind:     by_value
    .group_segment_fixed_size: 0
    .kernarg_segment_align: 8
    .kernarg_segment_size: 144
    .language:       OpenCL C
    .language_version:
      - 2
      - 0
    .max_flat_workgroup_size: 256
    .name:           _ZN7rocprim17ROCPRIM_400000_NS6detail17trampoline_kernelINS0_13select_configILj256ELj13ELNS0_17block_load_methodE3ELS4_3ELS4_3ELNS0_20block_scan_algorithmE0ELj4294967295EEENS1_25partition_config_selectorILNS1_17partition_subalgoE3EjNS0_10empty_typeEbEEZZNS1_14partition_implILS8_3ELb0ES6_jNS0_17counting_iteratorIjlEEPS9_SE_NS0_5tupleIJPjSE_EEENSF_IJSE_SE_EEES9_SG_JZNS1_25segmented_radix_sort_implINS0_14default_configELb0EPKlPlSM_SN_N2at6native12_GLOBAL__N_18offset_tEEE10hipError_tPvRmT1_PNSt15iterator_traitsISV_E10value_typeET2_T3_PNSW_IS11_E10value_typeET4_jRbjT5_S17_jjP12ihipStream_tbEUljE_EEESS_ST_SU_S11_S15_S17_T6_T7_T9_mT8_S19_bDpT10_ENKUlT_T0_E_clISt17integral_constantIbLb0EES1M_EEDaS1H_S1I_EUlS1H_E_NS1_11comp_targetILNS1_3genE5ELNS1_11target_archE942ELNS1_3gpuE9ELNS1_3repE0EEENS1_30default_config_static_selectorELNS0_4arch9wavefront6targetE0EEEvSV_
    .private_segment_fixed_size: 0
    .sgpr_count:     0
    .sgpr_spill_count: 0
    .symbol:         _ZN7rocprim17ROCPRIM_400000_NS6detail17trampoline_kernelINS0_13select_configILj256ELj13ELNS0_17block_load_methodE3ELS4_3ELS4_3ELNS0_20block_scan_algorithmE0ELj4294967295EEENS1_25partition_config_selectorILNS1_17partition_subalgoE3EjNS0_10empty_typeEbEEZZNS1_14partition_implILS8_3ELb0ES6_jNS0_17counting_iteratorIjlEEPS9_SE_NS0_5tupleIJPjSE_EEENSF_IJSE_SE_EEES9_SG_JZNS1_25segmented_radix_sort_implINS0_14default_configELb0EPKlPlSM_SN_N2at6native12_GLOBAL__N_18offset_tEEE10hipError_tPvRmT1_PNSt15iterator_traitsISV_E10value_typeET2_T3_PNSW_IS11_E10value_typeET4_jRbjT5_S17_jjP12ihipStream_tbEUljE_EEESS_ST_SU_S11_S15_S17_T6_T7_T9_mT8_S19_bDpT10_ENKUlT_T0_E_clISt17integral_constantIbLb0EES1M_EEDaS1H_S1I_EUlS1H_E_NS1_11comp_targetILNS1_3genE5ELNS1_11target_archE942ELNS1_3gpuE9ELNS1_3repE0EEENS1_30default_config_static_selectorELNS0_4arch9wavefront6targetE0EEEvSV_.kd
    .uniform_work_group_size: 1
    .uses_dynamic_stack: false
    .vgpr_count:     0
    .vgpr_spill_count: 0
    .wavefront_size: 32
    .workgroup_processor_mode: 1
  - .args:
      - .offset:         0
        .size:           144
        .value_kind:     by_value
    .group_segment_fixed_size: 0
    .kernarg_segment_align: 8
    .kernarg_segment_size: 144
    .language:       OpenCL C
    .language_version:
      - 2
      - 0
    .max_flat_workgroup_size: 256
    .name:           _ZN7rocprim17ROCPRIM_400000_NS6detail17trampoline_kernelINS0_13select_configILj256ELj13ELNS0_17block_load_methodE3ELS4_3ELS4_3ELNS0_20block_scan_algorithmE0ELj4294967295EEENS1_25partition_config_selectorILNS1_17partition_subalgoE3EjNS0_10empty_typeEbEEZZNS1_14partition_implILS8_3ELb0ES6_jNS0_17counting_iteratorIjlEEPS9_SE_NS0_5tupleIJPjSE_EEENSF_IJSE_SE_EEES9_SG_JZNS1_25segmented_radix_sort_implINS0_14default_configELb0EPKlPlSM_SN_N2at6native12_GLOBAL__N_18offset_tEEE10hipError_tPvRmT1_PNSt15iterator_traitsISV_E10value_typeET2_T3_PNSW_IS11_E10value_typeET4_jRbjT5_S17_jjP12ihipStream_tbEUljE_EEESS_ST_SU_S11_S15_S17_T6_T7_T9_mT8_S19_bDpT10_ENKUlT_T0_E_clISt17integral_constantIbLb0EES1M_EEDaS1H_S1I_EUlS1H_E_NS1_11comp_targetILNS1_3genE4ELNS1_11target_archE910ELNS1_3gpuE8ELNS1_3repE0EEENS1_30default_config_static_selectorELNS0_4arch9wavefront6targetE0EEEvSV_
    .private_segment_fixed_size: 0
    .sgpr_count:     0
    .sgpr_spill_count: 0
    .symbol:         _ZN7rocprim17ROCPRIM_400000_NS6detail17trampoline_kernelINS0_13select_configILj256ELj13ELNS0_17block_load_methodE3ELS4_3ELS4_3ELNS0_20block_scan_algorithmE0ELj4294967295EEENS1_25partition_config_selectorILNS1_17partition_subalgoE3EjNS0_10empty_typeEbEEZZNS1_14partition_implILS8_3ELb0ES6_jNS0_17counting_iteratorIjlEEPS9_SE_NS0_5tupleIJPjSE_EEENSF_IJSE_SE_EEES9_SG_JZNS1_25segmented_radix_sort_implINS0_14default_configELb0EPKlPlSM_SN_N2at6native12_GLOBAL__N_18offset_tEEE10hipError_tPvRmT1_PNSt15iterator_traitsISV_E10value_typeET2_T3_PNSW_IS11_E10value_typeET4_jRbjT5_S17_jjP12ihipStream_tbEUljE_EEESS_ST_SU_S11_S15_S17_T6_T7_T9_mT8_S19_bDpT10_ENKUlT_T0_E_clISt17integral_constantIbLb0EES1M_EEDaS1H_S1I_EUlS1H_E_NS1_11comp_targetILNS1_3genE4ELNS1_11target_archE910ELNS1_3gpuE8ELNS1_3repE0EEENS1_30default_config_static_selectorELNS0_4arch9wavefront6targetE0EEEvSV_.kd
    .uniform_work_group_size: 1
    .uses_dynamic_stack: false
    .vgpr_count:     0
    .vgpr_spill_count: 0
    .wavefront_size: 32
    .workgroup_processor_mode: 1
  - .args:
      - .offset:         0
        .size:           144
        .value_kind:     by_value
    .group_segment_fixed_size: 0
    .kernarg_segment_align: 8
    .kernarg_segment_size: 144
    .language:       OpenCL C
    .language_version:
      - 2
      - 0
    .max_flat_workgroup_size: 256
    .name:           _ZN7rocprim17ROCPRIM_400000_NS6detail17trampoline_kernelINS0_13select_configILj256ELj13ELNS0_17block_load_methodE3ELS4_3ELS4_3ELNS0_20block_scan_algorithmE0ELj4294967295EEENS1_25partition_config_selectorILNS1_17partition_subalgoE3EjNS0_10empty_typeEbEEZZNS1_14partition_implILS8_3ELb0ES6_jNS0_17counting_iteratorIjlEEPS9_SE_NS0_5tupleIJPjSE_EEENSF_IJSE_SE_EEES9_SG_JZNS1_25segmented_radix_sort_implINS0_14default_configELb0EPKlPlSM_SN_N2at6native12_GLOBAL__N_18offset_tEEE10hipError_tPvRmT1_PNSt15iterator_traitsISV_E10value_typeET2_T3_PNSW_IS11_E10value_typeET4_jRbjT5_S17_jjP12ihipStream_tbEUljE_EEESS_ST_SU_S11_S15_S17_T6_T7_T9_mT8_S19_bDpT10_ENKUlT_T0_E_clISt17integral_constantIbLb0EES1M_EEDaS1H_S1I_EUlS1H_E_NS1_11comp_targetILNS1_3genE3ELNS1_11target_archE908ELNS1_3gpuE7ELNS1_3repE0EEENS1_30default_config_static_selectorELNS0_4arch9wavefront6targetE0EEEvSV_
    .private_segment_fixed_size: 0
    .sgpr_count:     0
    .sgpr_spill_count: 0
    .symbol:         _ZN7rocprim17ROCPRIM_400000_NS6detail17trampoline_kernelINS0_13select_configILj256ELj13ELNS0_17block_load_methodE3ELS4_3ELS4_3ELNS0_20block_scan_algorithmE0ELj4294967295EEENS1_25partition_config_selectorILNS1_17partition_subalgoE3EjNS0_10empty_typeEbEEZZNS1_14partition_implILS8_3ELb0ES6_jNS0_17counting_iteratorIjlEEPS9_SE_NS0_5tupleIJPjSE_EEENSF_IJSE_SE_EEES9_SG_JZNS1_25segmented_radix_sort_implINS0_14default_configELb0EPKlPlSM_SN_N2at6native12_GLOBAL__N_18offset_tEEE10hipError_tPvRmT1_PNSt15iterator_traitsISV_E10value_typeET2_T3_PNSW_IS11_E10value_typeET4_jRbjT5_S17_jjP12ihipStream_tbEUljE_EEESS_ST_SU_S11_S15_S17_T6_T7_T9_mT8_S19_bDpT10_ENKUlT_T0_E_clISt17integral_constantIbLb0EES1M_EEDaS1H_S1I_EUlS1H_E_NS1_11comp_targetILNS1_3genE3ELNS1_11target_archE908ELNS1_3gpuE7ELNS1_3repE0EEENS1_30default_config_static_selectorELNS0_4arch9wavefront6targetE0EEEvSV_.kd
    .uniform_work_group_size: 1
    .uses_dynamic_stack: false
    .vgpr_count:     0
    .vgpr_spill_count: 0
    .wavefront_size: 32
    .workgroup_processor_mode: 1
  - .args:
      - .offset:         0
        .size:           144
        .value_kind:     by_value
    .group_segment_fixed_size: 0
    .kernarg_segment_align: 8
    .kernarg_segment_size: 144
    .language:       OpenCL C
    .language_version:
      - 2
      - 0
    .max_flat_workgroup_size: 256
    .name:           _ZN7rocprim17ROCPRIM_400000_NS6detail17trampoline_kernelINS0_13select_configILj256ELj13ELNS0_17block_load_methodE3ELS4_3ELS4_3ELNS0_20block_scan_algorithmE0ELj4294967295EEENS1_25partition_config_selectorILNS1_17partition_subalgoE3EjNS0_10empty_typeEbEEZZNS1_14partition_implILS8_3ELb0ES6_jNS0_17counting_iteratorIjlEEPS9_SE_NS0_5tupleIJPjSE_EEENSF_IJSE_SE_EEES9_SG_JZNS1_25segmented_radix_sort_implINS0_14default_configELb0EPKlPlSM_SN_N2at6native12_GLOBAL__N_18offset_tEEE10hipError_tPvRmT1_PNSt15iterator_traitsISV_E10value_typeET2_T3_PNSW_IS11_E10value_typeET4_jRbjT5_S17_jjP12ihipStream_tbEUljE_EEESS_ST_SU_S11_S15_S17_T6_T7_T9_mT8_S19_bDpT10_ENKUlT_T0_E_clISt17integral_constantIbLb0EES1M_EEDaS1H_S1I_EUlS1H_E_NS1_11comp_targetILNS1_3genE2ELNS1_11target_archE906ELNS1_3gpuE6ELNS1_3repE0EEENS1_30default_config_static_selectorELNS0_4arch9wavefront6targetE0EEEvSV_
    .private_segment_fixed_size: 0
    .sgpr_count:     0
    .sgpr_spill_count: 0
    .symbol:         _ZN7rocprim17ROCPRIM_400000_NS6detail17trampoline_kernelINS0_13select_configILj256ELj13ELNS0_17block_load_methodE3ELS4_3ELS4_3ELNS0_20block_scan_algorithmE0ELj4294967295EEENS1_25partition_config_selectorILNS1_17partition_subalgoE3EjNS0_10empty_typeEbEEZZNS1_14partition_implILS8_3ELb0ES6_jNS0_17counting_iteratorIjlEEPS9_SE_NS0_5tupleIJPjSE_EEENSF_IJSE_SE_EEES9_SG_JZNS1_25segmented_radix_sort_implINS0_14default_configELb0EPKlPlSM_SN_N2at6native12_GLOBAL__N_18offset_tEEE10hipError_tPvRmT1_PNSt15iterator_traitsISV_E10value_typeET2_T3_PNSW_IS11_E10value_typeET4_jRbjT5_S17_jjP12ihipStream_tbEUljE_EEESS_ST_SU_S11_S15_S17_T6_T7_T9_mT8_S19_bDpT10_ENKUlT_T0_E_clISt17integral_constantIbLb0EES1M_EEDaS1H_S1I_EUlS1H_E_NS1_11comp_targetILNS1_3genE2ELNS1_11target_archE906ELNS1_3gpuE6ELNS1_3repE0EEENS1_30default_config_static_selectorELNS0_4arch9wavefront6targetE0EEEvSV_.kd
    .uniform_work_group_size: 1
    .uses_dynamic_stack: false
    .vgpr_count:     0
    .vgpr_spill_count: 0
    .wavefront_size: 32
    .workgroup_processor_mode: 1
  - .args:
      - .offset:         0
        .size:           144
        .value_kind:     by_value
    .group_segment_fixed_size: 0
    .kernarg_segment_align: 8
    .kernarg_segment_size: 144
    .language:       OpenCL C
    .language_version:
      - 2
      - 0
    .max_flat_workgroup_size: 256
    .name:           _ZN7rocprim17ROCPRIM_400000_NS6detail17trampoline_kernelINS0_13select_configILj256ELj13ELNS0_17block_load_methodE3ELS4_3ELS4_3ELNS0_20block_scan_algorithmE0ELj4294967295EEENS1_25partition_config_selectorILNS1_17partition_subalgoE3EjNS0_10empty_typeEbEEZZNS1_14partition_implILS8_3ELb0ES6_jNS0_17counting_iteratorIjlEEPS9_SE_NS0_5tupleIJPjSE_EEENSF_IJSE_SE_EEES9_SG_JZNS1_25segmented_radix_sort_implINS0_14default_configELb0EPKlPlSM_SN_N2at6native12_GLOBAL__N_18offset_tEEE10hipError_tPvRmT1_PNSt15iterator_traitsISV_E10value_typeET2_T3_PNSW_IS11_E10value_typeET4_jRbjT5_S17_jjP12ihipStream_tbEUljE_EEESS_ST_SU_S11_S15_S17_T6_T7_T9_mT8_S19_bDpT10_ENKUlT_T0_E_clISt17integral_constantIbLb0EES1M_EEDaS1H_S1I_EUlS1H_E_NS1_11comp_targetILNS1_3genE10ELNS1_11target_archE1200ELNS1_3gpuE4ELNS1_3repE0EEENS1_30default_config_static_selectorELNS0_4arch9wavefront6targetE0EEEvSV_
    .private_segment_fixed_size: 0
    .sgpr_count:     0
    .sgpr_spill_count: 0
    .symbol:         _ZN7rocprim17ROCPRIM_400000_NS6detail17trampoline_kernelINS0_13select_configILj256ELj13ELNS0_17block_load_methodE3ELS4_3ELS4_3ELNS0_20block_scan_algorithmE0ELj4294967295EEENS1_25partition_config_selectorILNS1_17partition_subalgoE3EjNS0_10empty_typeEbEEZZNS1_14partition_implILS8_3ELb0ES6_jNS0_17counting_iteratorIjlEEPS9_SE_NS0_5tupleIJPjSE_EEENSF_IJSE_SE_EEES9_SG_JZNS1_25segmented_radix_sort_implINS0_14default_configELb0EPKlPlSM_SN_N2at6native12_GLOBAL__N_18offset_tEEE10hipError_tPvRmT1_PNSt15iterator_traitsISV_E10value_typeET2_T3_PNSW_IS11_E10value_typeET4_jRbjT5_S17_jjP12ihipStream_tbEUljE_EEESS_ST_SU_S11_S15_S17_T6_T7_T9_mT8_S19_bDpT10_ENKUlT_T0_E_clISt17integral_constantIbLb0EES1M_EEDaS1H_S1I_EUlS1H_E_NS1_11comp_targetILNS1_3genE10ELNS1_11target_archE1200ELNS1_3gpuE4ELNS1_3repE0EEENS1_30default_config_static_selectorELNS0_4arch9wavefront6targetE0EEEvSV_.kd
    .uniform_work_group_size: 1
    .uses_dynamic_stack: false
    .vgpr_count:     0
    .vgpr_spill_count: 0
    .wavefront_size: 32
    .workgroup_processor_mode: 1
  - .args:
      - .offset:         0
        .size:           144
        .value_kind:     by_value
    .group_segment_fixed_size: 0
    .kernarg_segment_align: 8
    .kernarg_segment_size: 144
    .language:       OpenCL C
    .language_version:
      - 2
      - 0
    .max_flat_workgroup_size: 256
    .name:           _ZN7rocprim17ROCPRIM_400000_NS6detail17trampoline_kernelINS0_13select_configILj256ELj13ELNS0_17block_load_methodE3ELS4_3ELS4_3ELNS0_20block_scan_algorithmE0ELj4294967295EEENS1_25partition_config_selectorILNS1_17partition_subalgoE3EjNS0_10empty_typeEbEEZZNS1_14partition_implILS8_3ELb0ES6_jNS0_17counting_iteratorIjlEEPS9_SE_NS0_5tupleIJPjSE_EEENSF_IJSE_SE_EEES9_SG_JZNS1_25segmented_radix_sort_implINS0_14default_configELb0EPKlPlSM_SN_N2at6native12_GLOBAL__N_18offset_tEEE10hipError_tPvRmT1_PNSt15iterator_traitsISV_E10value_typeET2_T3_PNSW_IS11_E10value_typeET4_jRbjT5_S17_jjP12ihipStream_tbEUljE_EEESS_ST_SU_S11_S15_S17_T6_T7_T9_mT8_S19_bDpT10_ENKUlT_T0_E_clISt17integral_constantIbLb0EES1M_EEDaS1H_S1I_EUlS1H_E_NS1_11comp_targetILNS1_3genE9ELNS1_11target_archE1100ELNS1_3gpuE3ELNS1_3repE0EEENS1_30default_config_static_selectorELNS0_4arch9wavefront6targetE0EEEvSV_
    .private_segment_fixed_size: 0
    .sgpr_count:     0
    .sgpr_spill_count: 0
    .symbol:         _ZN7rocprim17ROCPRIM_400000_NS6detail17trampoline_kernelINS0_13select_configILj256ELj13ELNS0_17block_load_methodE3ELS4_3ELS4_3ELNS0_20block_scan_algorithmE0ELj4294967295EEENS1_25partition_config_selectorILNS1_17partition_subalgoE3EjNS0_10empty_typeEbEEZZNS1_14partition_implILS8_3ELb0ES6_jNS0_17counting_iteratorIjlEEPS9_SE_NS0_5tupleIJPjSE_EEENSF_IJSE_SE_EEES9_SG_JZNS1_25segmented_radix_sort_implINS0_14default_configELb0EPKlPlSM_SN_N2at6native12_GLOBAL__N_18offset_tEEE10hipError_tPvRmT1_PNSt15iterator_traitsISV_E10value_typeET2_T3_PNSW_IS11_E10value_typeET4_jRbjT5_S17_jjP12ihipStream_tbEUljE_EEESS_ST_SU_S11_S15_S17_T6_T7_T9_mT8_S19_bDpT10_ENKUlT_T0_E_clISt17integral_constantIbLb0EES1M_EEDaS1H_S1I_EUlS1H_E_NS1_11comp_targetILNS1_3genE9ELNS1_11target_archE1100ELNS1_3gpuE3ELNS1_3repE0EEENS1_30default_config_static_selectorELNS0_4arch9wavefront6targetE0EEEvSV_.kd
    .uniform_work_group_size: 1
    .uses_dynamic_stack: false
    .vgpr_count:     0
    .vgpr_spill_count: 0
    .wavefront_size: 32
    .workgroup_processor_mode: 1
  - .args:
      - .offset:         0
        .size:           144
        .value_kind:     by_value
    .group_segment_fixed_size: 13320
    .kernarg_segment_align: 8
    .kernarg_segment_size: 144
    .language:       OpenCL C
    .language_version:
      - 2
      - 0
    .max_flat_workgroup_size: 256
    .name:           _ZN7rocprim17ROCPRIM_400000_NS6detail17trampoline_kernelINS0_13select_configILj256ELj13ELNS0_17block_load_methodE3ELS4_3ELS4_3ELNS0_20block_scan_algorithmE0ELj4294967295EEENS1_25partition_config_selectorILNS1_17partition_subalgoE3EjNS0_10empty_typeEbEEZZNS1_14partition_implILS8_3ELb0ES6_jNS0_17counting_iteratorIjlEEPS9_SE_NS0_5tupleIJPjSE_EEENSF_IJSE_SE_EEES9_SG_JZNS1_25segmented_radix_sort_implINS0_14default_configELb0EPKlPlSM_SN_N2at6native12_GLOBAL__N_18offset_tEEE10hipError_tPvRmT1_PNSt15iterator_traitsISV_E10value_typeET2_T3_PNSW_IS11_E10value_typeET4_jRbjT5_S17_jjP12ihipStream_tbEUljE_EEESS_ST_SU_S11_S15_S17_T6_T7_T9_mT8_S19_bDpT10_ENKUlT_T0_E_clISt17integral_constantIbLb0EES1M_EEDaS1H_S1I_EUlS1H_E_NS1_11comp_targetILNS1_3genE8ELNS1_11target_archE1030ELNS1_3gpuE2ELNS1_3repE0EEENS1_30default_config_static_selectorELNS0_4arch9wavefront6targetE0EEEvSV_
    .private_segment_fixed_size: 0
    .sgpr_count:     29
    .sgpr_spill_count: 0
    .symbol:         _ZN7rocprim17ROCPRIM_400000_NS6detail17trampoline_kernelINS0_13select_configILj256ELj13ELNS0_17block_load_methodE3ELS4_3ELS4_3ELNS0_20block_scan_algorithmE0ELj4294967295EEENS1_25partition_config_selectorILNS1_17partition_subalgoE3EjNS0_10empty_typeEbEEZZNS1_14partition_implILS8_3ELb0ES6_jNS0_17counting_iteratorIjlEEPS9_SE_NS0_5tupleIJPjSE_EEENSF_IJSE_SE_EEES9_SG_JZNS1_25segmented_radix_sort_implINS0_14default_configELb0EPKlPlSM_SN_N2at6native12_GLOBAL__N_18offset_tEEE10hipError_tPvRmT1_PNSt15iterator_traitsISV_E10value_typeET2_T3_PNSW_IS11_E10value_typeET4_jRbjT5_S17_jjP12ihipStream_tbEUljE_EEESS_ST_SU_S11_S15_S17_T6_T7_T9_mT8_S19_bDpT10_ENKUlT_T0_E_clISt17integral_constantIbLb0EES1M_EEDaS1H_S1I_EUlS1H_E_NS1_11comp_targetILNS1_3genE8ELNS1_11target_archE1030ELNS1_3gpuE2ELNS1_3repE0EEENS1_30default_config_static_selectorELNS0_4arch9wavefront6targetE0EEEvSV_.kd
    .uniform_work_group_size: 1
    .uses_dynamic_stack: false
    .vgpr_count:     69
    .vgpr_spill_count: 0
    .wavefront_size: 32
    .workgroup_processor_mode: 1
  - .args:
      - .offset:         0
        .size:           152
        .value_kind:     by_value
    .group_segment_fixed_size: 0
    .kernarg_segment_align: 8
    .kernarg_segment_size: 152
    .language:       OpenCL C
    .language_version:
      - 2
      - 0
    .max_flat_workgroup_size: 256
    .name:           _ZN7rocprim17ROCPRIM_400000_NS6detail17trampoline_kernelINS0_13select_configILj256ELj13ELNS0_17block_load_methodE3ELS4_3ELS4_3ELNS0_20block_scan_algorithmE0ELj4294967295EEENS1_25partition_config_selectorILNS1_17partition_subalgoE3EjNS0_10empty_typeEbEEZZNS1_14partition_implILS8_3ELb0ES6_jNS0_17counting_iteratorIjlEEPS9_SE_NS0_5tupleIJPjSE_EEENSF_IJSE_SE_EEES9_SG_JZNS1_25segmented_radix_sort_implINS0_14default_configELb0EPKlPlSM_SN_N2at6native12_GLOBAL__N_18offset_tEEE10hipError_tPvRmT1_PNSt15iterator_traitsISV_E10value_typeET2_T3_PNSW_IS11_E10value_typeET4_jRbjT5_S17_jjP12ihipStream_tbEUljE_EEESS_ST_SU_S11_S15_S17_T6_T7_T9_mT8_S19_bDpT10_ENKUlT_T0_E_clISt17integral_constantIbLb1EES1M_EEDaS1H_S1I_EUlS1H_E_NS1_11comp_targetILNS1_3genE0ELNS1_11target_archE4294967295ELNS1_3gpuE0ELNS1_3repE0EEENS1_30default_config_static_selectorELNS0_4arch9wavefront6targetE0EEEvSV_
    .private_segment_fixed_size: 0
    .sgpr_count:     0
    .sgpr_spill_count: 0
    .symbol:         _ZN7rocprim17ROCPRIM_400000_NS6detail17trampoline_kernelINS0_13select_configILj256ELj13ELNS0_17block_load_methodE3ELS4_3ELS4_3ELNS0_20block_scan_algorithmE0ELj4294967295EEENS1_25partition_config_selectorILNS1_17partition_subalgoE3EjNS0_10empty_typeEbEEZZNS1_14partition_implILS8_3ELb0ES6_jNS0_17counting_iteratorIjlEEPS9_SE_NS0_5tupleIJPjSE_EEENSF_IJSE_SE_EEES9_SG_JZNS1_25segmented_radix_sort_implINS0_14default_configELb0EPKlPlSM_SN_N2at6native12_GLOBAL__N_18offset_tEEE10hipError_tPvRmT1_PNSt15iterator_traitsISV_E10value_typeET2_T3_PNSW_IS11_E10value_typeET4_jRbjT5_S17_jjP12ihipStream_tbEUljE_EEESS_ST_SU_S11_S15_S17_T6_T7_T9_mT8_S19_bDpT10_ENKUlT_T0_E_clISt17integral_constantIbLb1EES1M_EEDaS1H_S1I_EUlS1H_E_NS1_11comp_targetILNS1_3genE0ELNS1_11target_archE4294967295ELNS1_3gpuE0ELNS1_3repE0EEENS1_30default_config_static_selectorELNS0_4arch9wavefront6targetE0EEEvSV_.kd
    .uniform_work_group_size: 1
    .uses_dynamic_stack: false
    .vgpr_count:     0
    .vgpr_spill_count: 0
    .wavefront_size: 32
    .workgroup_processor_mode: 1
  - .args:
      - .offset:         0
        .size:           152
        .value_kind:     by_value
    .group_segment_fixed_size: 0
    .kernarg_segment_align: 8
    .kernarg_segment_size: 152
    .language:       OpenCL C
    .language_version:
      - 2
      - 0
    .max_flat_workgroup_size: 256
    .name:           _ZN7rocprim17ROCPRIM_400000_NS6detail17trampoline_kernelINS0_13select_configILj256ELj13ELNS0_17block_load_methodE3ELS4_3ELS4_3ELNS0_20block_scan_algorithmE0ELj4294967295EEENS1_25partition_config_selectorILNS1_17partition_subalgoE3EjNS0_10empty_typeEbEEZZNS1_14partition_implILS8_3ELb0ES6_jNS0_17counting_iteratorIjlEEPS9_SE_NS0_5tupleIJPjSE_EEENSF_IJSE_SE_EEES9_SG_JZNS1_25segmented_radix_sort_implINS0_14default_configELb0EPKlPlSM_SN_N2at6native12_GLOBAL__N_18offset_tEEE10hipError_tPvRmT1_PNSt15iterator_traitsISV_E10value_typeET2_T3_PNSW_IS11_E10value_typeET4_jRbjT5_S17_jjP12ihipStream_tbEUljE_EEESS_ST_SU_S11_S15_S17_T6_T7_T9_mT8_S19_bDpT10_ENKUlT_T0_E_clISt17integral_constantIbLb1EES1M_EEDaS1H_S1I_EUlS1H_E_NS1_11comp_targetILNS1_3genE5ELNS1_11target_archE942ELNS1_3gpuE9ELNS1_3repE0EEENS1_30default_config_static_selectorELNS0_4arch9wavefront6targetE0EEEvSV_
    .private_segment_fixed_size: 0
    .sgpr_count:     0
    .sgpr_spill_count: 0
    .symbol:         _ZN7rocprim17ROCPRIM_400000_NS6detail17trampoline_kernelINS0_13select_configILj256ELj13ELNS0_17block_load_methodE3ELS4_3ELS4_3ELNS0_20block_scan_algorithmE0ELj4294967295EEENS1_25partition_config_selectorILNS1_17partition_subalgoE3EjNS0_10empty_typeEbEEZZNS1_14partition_implILS8_3ELb0ES6_jNS0_17counting_iteratorIjlEEPS9_SE_NS0_5tupleIJPjSE_EEENSF_IJSE_SE_EEES9_SG_JZNS1_25segmented_radix_sort_implINS0_14default_configELb0EPKlPlSM_SN_N2at6native12_GLOBAL__N_18offset_tEEE10hipError_tPvRmT1_PNSt15iterator_traitsISV_E10value_typeET2_T3_PNSW_IS11_E10value_typeET4_jRbjT5_S17_jjP12ihipStream_tbEUljE_EEESS_ST_SU_S11_S15_S17_T6_T7_T9_mT8_S19_bDpT10_ENKUlT_T0_E_clISt17integral_constantIbLb1EES1M_EEDaS1H_S1I_EUlS1H_E_NS1_11comp_targetILNS1_3genE5ELNS1_11target_archE942ELNS1_3gpuE9ELNS1_3repE0EEENS1_30default_config_static_selectorELNS0_4arch9wavefront6targetE0EEEvSV_.kd
    .uniform_work_group_size: 1
    .uses_dynamic_stack: false
    .vgpr_count:     0
    .vgpr_spill_count: 0
    .wavefront_size: 32
    .workgroup_processor_mode: 1
  - .args:
      - .offset:         0
        .size:           152
        .value_kind:     by_value
    .group_segment_fixed_size: 0
    .kernarg_segment_align: 8
    .kernarg_segment_size: 152
    .language:       OpenCL C
    .language_version:
      - 2
      - 0
    .max_flat_workgroup_size: 256
    .name:           _ZN7rocprim17ROCPRIM_400000_NS6detail17trampoline_kernelINS0_13select_configILj256ELj13ELNS0_17block_load_methodE3ELS4_3ELS4_3ELNS0_20block_scan_algorithmE0ELj4294967295EEENS1_25partition_config_selectorILNS1_17partition_subalgoE3EjNS0_10empty_typeEbEEZZNS1_14partition_implILS8_3ELb0ES6_jNS0_17counting_iteratorIjlEEPS9_SE_NS0_5tupleIJPjSE_EEENSF_IJSE_SE_EEES9_SG_JZNS1_25segmented_radix_sort_implINS0_14default_configELb0EPKlPlSM_SN_N2at6native12_GLOBAL__N_18offset_tEEE10hipError_tPvRmT1_PNSt15iterator_traitsISV_E10value_typeET2_T3_PNSW_IS11_E10value_typeET4_jRbjT5_S17_jjP12ihipStream_tbEUljE_EEESS_ST_SU_S11_S15_S17_T6_T7_T9_mT8_S19_bDpT10_ENKUlT_T0_E_clISt17integral_constantIbLb1EES1M_EEDaS1H_S1I_EUlS1H_E_NS1_11comp_targetILNS1_3genE4ELNS1_11target_archE910ELNS1_3gpuE8ELNS1_3repE0EEENS1_30default_config_static_selectorELNS0_4arch9wavefront6targetE0EEEvSV_
    .private_segment_fixed_size: 0
    .sgpr_count:     0
    .sgpr_spill_count: 0
    .symbol:         _ZN7rocprim17ROCPRIM_400000_NS6detail17trampoline_kernelINS0_13select_configILj256ELj13ELNS0_17block_load_methodE3ELS4_3ELS4_3ELNS0_20block_scan_algorithmE0ELj4294967295EEENS1_25partition_config_selectorILNS1_17partition_subalgoE3EjNS0_10empty_typeEbEEZZNS1_14partition_implILS8_3ELb0ES6_jNS0_17counting_iteratorIjlEEPS9_SE_NS0_5tupleIJPjSE_EEENSF_IJSE_SE_EEES9_SG_JZNS1_25segmented_radix_sort_implINS0_14default_configELb0EPKlPlSM_SN_N2at6native12_GLOBAL__N_18offset_tEEE10hipError_tPvRmT1_PNSt15iterator_traitsISV_E10value_typeET2_T3_PNSW_IS11_E10value_typeET4_jRbjT5_S17_jjP12ihipStream_tbEUljE_EEESS_ST_SU_S11_S15_S17_T6_T7_T9_mT8_S19_bDpT10_ENKUlT_T0_E_clISt17integral_constantIbLb1EES1M_EEDaS1H_S1I_EUlS1H_E_NS1_11comp_targetILNS1_3genE4ELNS1_11target_archE910ELNS1_3gpuE8ELNS1_3repE0EEENS1_30default_config_static_selectorELNS0_4arch9wavefront6targetE0EEEvSV_.kd
    .uniform_work_group_size: 1
    .uses_dynamic_stack: false
    .vgpr_count:     0
    .vgpr_spill_count: 0
    .wavefront_size: 32
    .workgroup_processor_mode: 1
  - .args:
      - .offset:         0
        .size:           152
        .value_kind:     by_value
    .group_segment_fixed_size: 0
    .kernarg_segment_align: 8
    .kernarg_segment_size: 152
    .language:       OpenCL C
    .language_version:
      - 2
      - 0
    .max_flat_workgroup_size: 256
    .name:           _ZN7rocprim17ROCPRIM_400000_NS6detail17trampoline_kernelINS0_13select_configILj256ELj13ELNS0_17block_load_methodE3ELS4_3ELS4_3ELNS0_20block_scan_algorithmE0ELj4294967295EEENS1_25partition_config_selectorILNS1_17partition_subalgoE3EjNS0_10empty_typeEbEEZZNS1_14partition_implILS8_3ELb0ES6_jNS0_17counting_iteratorIjlEEPS9_SE_NS0_5tupleIJPjSE_EEENSF_IJSE_SE_EEES9_SG_JZNS1_25segmented_radix_sort_implINS0_14default_configELb0EPKlPlSM_SN_N2at6native12_GLOBAL__N_18offset_tEEE10hipError_tPvRmT1_PNSt15iterator_traitsISV_E10value_typeET2_T3_PNSW_IS11_E10value_typeET4_jRbjT5_S17_jjP12ihipStream_tbEUljE_EEESS_ST_SU_S11_S15_S17_T6_T7_T9_mT8_S19_bDpT10_ENKUlT_T0_E_clISt17integral_constantIbLb1EES1M_EEDaS1H_S1I_EUlS1H_E_NS1_11comp_targetILNS1_3genE3ELNS1_11target_archE908ELNS1_3gpuE7ELNS1_3repE0EEENS1_30default_config_static_selectorELNS0_4arch9wavefront6targetE0EEEvSV_
    .private_segment_fixed_size: 0
    .sgpr_count:     0
    .sgpr_spill_count: 0
    .symbol:         _ZN7rocprim17ROCPRIM_400000_NS6detail17trampoline_kernelINS0_13select_configILj256ELj13ELNS0_17block_load_methodE3ELS4_3ELS4_3ELNS0_20block_scan_algorithmE0ELj4294967295EEENS1_25partition_config_selectorILNS1_17partition_subalgoE3EjNS0_10empty_typeEbEEZZNS1_14partition_implILS8_3ELb0ES6_jNS0_17counting_iteratorIjlEEPS9_SE_NS0_5tupleIJPjSE_EEENSF_IJSE_SE_EEES9_SG_JZNS1_25segmented_radix_sort_implINS0_14default_configELb0EPKlPlSM_SN_N2at6native12_GLOBAL__N_18offset_tEEE10hipError_tPvRmT1_PNSt15iterator_traitsISV_E10value_typeET2_T3_PNSW_IS11_E10value_typeET4_jRbjT5_S17_jjP12ihipStream_tbEUljE_EEESS_ST_SU_S11_S15_S17_T6_T7_T9_mT8_S19_bDpT10_ENKUlT_T0_E_clISt17integral_constantIbLb1EES1M_EEDaS1H_S1I_EUlS1H_E_NS1_11comp_targetILNS1_3genE3ELNS1_11target_archE908ELNS1_3gpuE7ELNS1_3repE0EEENS1_30default_config_static_selectorELNS0_4arch9wavefront6targetE0EEEvSV_.kd
    .uniform_work_group_size: 1
    .uses_dynamic_stack: false
    .vgpr_count:     0
    .vgpr_spill_count: 0
    .wavefront_size: 32
    .workgroup_processor_mode: 1
  - .args:
      - .offset:         0
        .size:           152
        .value_kind:     by_value
    .group_segment_fixed_size: 0
    .kernarg_segment_align: 8
    .kernarg_segment_size: 152
    .language:       OpenCL C
    .language_version:
      - 2
      - 0
    .max_flat_workgroup_size: 256
    .name:           _ZN7rocprim17ROCPRIM_400000_NS6detail17trampoline_kernelINS0_13select_configILj256ELj13ELNS0_17block_load_methodE3ELS4_3ELS4_3ELNS0_20block_scan_algorithmE0ELj4294967295EEENS1_25partition_config_selectorILNS1_17partition_subalgoE3EjNS0_10empty_typeEbEEZZNS1_14partition_implILS8_3ELb0ES6_jNS0_17counting_iteratorIjlEEPS9_SE_NS0_5tupleIJPjSE_EEENSF_IJSE_SE_EEES9_SG_JZNS1_25segmented_radix_sort_implINS0_14default_configELb0EPKlPlSM_SN_N2at6native12_GLOBAL__N_18offset_tEEE10hipError_tPvRmT1_PNSt15iterator_traitsISV_E10value_typeET2_T3_PNSW_IS11_E10value_typeET4_jRbjT5_S17_jjP12ihipStream_tbEUljE_EEESS_ST_SU_S11_S15_S17_T6_T7_T9_mT8_S19_bDpT10_ENKUlT_T0_E_clISt17integral_constantIbLb1EES1M_EEDaS1H_S1I_EUlS1H_E_NS1_11comp_targetILNS1_3genE2ELNS1_11target_archE906ELNS1_3gpuE6ELNS1_3repE0EEENS1_30default_config_static_selectorELNS0_4arch9wavefront6targetE0EEEvSV_
    .private_segment_fixed_size: 0
    .sgpr_count:     0
    .sgpr_spill_count: 0
    .symbol:         _ZN7rocprim17ROCPRIM_400000_NS6detail17trampoline_kernelINS0_13select_configILj256ELj13ELNS0_17block_load_methodE3ELS4_3ELS4_3ELNS0_20block_scan_algorithmE0ELj4294967295EEENS1_25partition_config_selectorILNS1_17partition_subalgoE3EjNS0_10empty_typeEbEEZZNS1_14partition_implILS8_3ELb0ES6_jNS0_17counting_iteratorIjlEEPS9_SE_NS0_5tupleIJPjSE_EEENSF_IJSE_SE_EEES9_SG_JZNS1_25segmented_radix_sort_implINS0_14default_configELb0EPKlPlSM_SN_N2at6native12_GLOBAL__N_18offset_tEEE10hipError_tPvRmT1_PNSt15iterator_traitsISV_E10value_typeET2_T3_PNSW_IS11_E10value_typeET4_jRbjT5_S17_jjP12ihipStream_tbEUljE_EEESS_ST_SU_S11_S15_S17_T6_T7_T9_mT8_S19_bDpT10_ENKUlT_T0_E_clISt17integral_constantIbLb1EES1M_EEDaS1H_S1I_EUlS1H_E_NS1_11comp_targetILNS1_3genE2ELNS1_11target_archE906ELNS1_3gpuE6ELNS1_3repE0EEENS1_30default_config_static_selectorELNS0_4arch9wavefront6targetE0EEEvSV_.kd
    .uniform_work_group_size: 1
    .uses_dynamic_stack: false
    .vgpr_count:     0
    .vgpr_spill_count: 0
    .wavefront_size: 32
    .workgroup_processor_mode: 1
  - .args:
      - .offset:         0
        .size:           152
        .value_kind:     by_value
    .group_segment_fixed_size: 0
    .kernarg_segment_align: 8
    .kernarg_segment_size: 152
    .language:       OpenCL C
    .language_version:
      - 2
      - 0
    .max_flat_workgroup_size: 256
    .name:           _ZN7rocprim17ROCPRIM_400000_NS6detail17trampoline_kernelINS0_13select_configILj256ELj13ELNS0_17block_load_methodE3ELS4_3ELS4_3ELNS0_20block_scan_algorithmE0ELj4294967295EEENS1_25partition_config_selectorILNS1_17partition_subalgoE3EjNS0_10empty_typeEbEEZZNS1_14partition_implILS8_3ELb0ES6_jNS0_17counting_iteratorIjlEEPS9_SE_NS0_5tupleIJPjSE_EEENSF_IJSE_SE_EEES9_SG_JZNS1_25segmented_radix_sort_implINS0_14default_configELb0EPKlPlSM_SN_N2at6native12_GLOBAL__N_18offset_tEEE10hipError_tPvRmT1_PNSt15iterator_traitsISV_E10value_typeET2_T3_PNSW_IS11_E10value_typeET4_jRbjT5_S17_jjP12ihipStream_tbEUljE_EEESS_ST_SU_S11_S15_S17_T6_T7_T9_mT8_S19_bDpT10_ENKUlT_T0_E_clISt17integral_constantIbLb1EES1M_EEDaS1H_S1I_EUlS1H_E_NS1_11comp_targetILNS1_3genE10ELNS1_11target_archE1200ELNS1_3gpuE4ELNS1_3repE0EEENS1_30default_config_static_selectorELNS0_4arch9wavefront6targetE0EEEvSV_
    .private_segment_fixed_size: 0
    .sgpr_count:     0
    .sgpr_spill_count: 0
    .symbol:         _ZN7rocprim17ROCPRIM_400000_NS6detail17trampoline_kernelINS0_13select_configILj256ELj13ELNS0_17block_load_methodE3ELS4_3ELS4_3ELNS0_20block_scan_algorithmE0ELj4294967295EEENS1_25partition_config_selectorILNS1_17partition_subalgoE3EjNS0_10empty_typeEbEEZZNS1_14partition_implILS8_3ELb0ES6_jNS0_17counting_iteratorIjlEEPS9_SE_NS0_5tupleIJPjSE_EEENSF_IJSE_SE_EEES9_SG_JZNS1_25segmented_radix_sort_implINS0_14default_configELb0EPKlPlSM_SN_N2at6native12_GLOBAL__N_18offset_tEEE10hipError_tPvRmT1_PNSt15iterator_traitsISV_E10value_typeET2_T3_PNSW_IS11_E10value_typeET4_jRbjT5_S17_jjP12ihipStream_tbEUljE_EEESS_ST_SU_S11_S15_S17_T6_T7_T9_mT8_S19_bDpT10_ENKUlT_T0_E_clISt17integral_constantIbLb1EES1M_EEDaS1H_S1I_EUlS1H_E_NS1_11comp_targetILNS1_3genE10ELNS1_11target_archE1200ELNS1_3gpuE4ELNS1_3repE0EEENS1_30default_config_static_selectorELNS0_4arch9wavefront6targetE0EEEvSV_.kd
    .uniform_work_group_size: 1
    .uses_dynamic_stack: false
    .vgpr_count:     0
    .vgpr_spill_count: 0
    .wavefront_size: 32
    .workgroup_processor_mode: 1
  - .args:
      - .offset:         0
        .size:           152
        .value_kind:     by_value
    .group_segment_fixed_size: 0
    .kernarg_segment_align: 8
    .kernarg_segment_size: 152
    .language:       OpenCL C
    .language_version:
      - 2
      - 0
    .max_flat_workgroup_size: 256
    .name:           _ZN7rocprim17ROCPRIM_400000_NS6detail17trampoline_kernelINS0_13select_configILj256ELj13ELNS0_17block_load_methodE3ELS4_3ELS4_3ELNS0_20block_scan_algorithmE0ELj4294967295EEENS1_25partition_config_selectorILNS1_17partition_subalgoE3EjNS0_10empty_typeEbEEZZNS1_14partition_implILS8_3ELb0ES6_jNS0_17counting_iteratorIjlEEPS9_SE_NS0_5tupleIJPjSE_EEENSF_IJSE_SE_EEES9_SG_JZNS1_25segmented_radix_sort_implINS0_14default_configELb0EPKlPlSM_SN_N2at6native12_GLOBAL__N_18offset_tEEE10hipError_tPvRmT1_PNSt15iterator_traitsISV_E10value_typeET2_T3_PNSW_IS11_E10value_typeET4_jRbjT5_S17_jjP12ihipStream_tbEUljE_EEESS_ST_SU_S11_S15_S17_T6_T7_T9_mT8_S19_bDpT10_ENKUlT_T0_E_clISt17integral_constantIbLb1EES1M_EEDaS1H_S1I_EUlS1H_E_NS1_11comp_targetILNS1_3genE9ELNS1_11target_archE1100ELNS1_3gpuE3ELNS1_3repE0EEENS1_30default_config_static_selectorELNS0_4arch9wavefront6targetE0EEEvSV_
    .private_segment_fixed_size: 0
    .sgpr_count:     0
    .sgpr_spill_count: 0
    .symbol:         _ZN7rocprim17ROCPRIM_400000_NS6detail17trampoline_kernelINS0_13select_configILj256ELj13ELNS0_17block_load_methodE3ELS4_3ELS4_3ELNS0_20block_scan_algorithmE0ELj4294967295EEENS1_25partition_config_selectorILNS1_17partition_subalgoE3EjNS0_10empty_typeEbEEZZNS1_14partition_implILS8_3ELb0ES6_jNS0_17counting_iteratorIjlEEPS9_SE_NS0_5tupleIJPjSE_EEENSF_IJSE_SE_EEES9_SG_JZNS1_25segmented_radix_sort_implINS0_14default_configELb0EPKlPlSM_SN_N2at6native12_GLOBAL__N_18offset_tEEE10hipError_tPvRmT1_PNSt15iterator_traitsISV_E10value_typeET2_T3_PNSW_IS11_E10value_typeET4_jRbjT5_S17_jjP12ihipStream_tbEUljE_EEESS_ST_SU_S11_S15_S17_T6_T7_T9_mT8_S19_bDpT10_ENKUlT_T0_E_clISt17integral_constantIbLb1EES1M_EEDaS1H_S1I_EUlS1H_E_NS1_11comp_targetILNS1_3genE9ELNS1_11target_archE1100ELNS1_3gpuE3ELNS1_3repE0EEENS1_30default_config_static_selectorELNS0_4arch9wavefront6targetE0EEEvSV_.kd
    .uniform_work_group_size: 1
    .uses_dynamic_stack: false
    .vgpr_count:     0
    .vgpr_spill_count: 0
    .wavefront_size: 32
    .workgroup_processor_mode: 1
  - .args:
      - .offset:         0
        .size:           152
        .value_kind:     by_value
    .group_segment_fixed_size: 0
    .kernarg_segment_align: 8
    .kernarg_segment_size: 152
    .language:       OpenCL C
    .language_version:
      - 2
      - 0
    .max_flat_workgroup_size: 256
    .name:           _ZN7rocprim17ROCPRIM_400000_NS6detail17trampoline_kernelINS0_13select_configILj256ELj13ELNS0_17block_load_methodE3ELS4_3ELS4_3ELNS0_20block_scan_algorithmE0ELj4294967295EEENS1_25partition_config_selectorILNS1_17partition_subalgoE3EjNS0_10empty_typeEbEEZZNS1_14partition_implILS8_3ELb0ES6_jNS0_17counting_iteratorIjlEEPS9_SE_NS0_5tupleIJPjSE_EEENSF_IJSE_SE_EEES9_SG_JZNS1_25segmented_radix_sort_implINS0_14default_configELb0EPKlPlSM_SN_N2at6native12_GLOBAL__N_18offset_tEEE10hipError_tPvRmT1_PNSt15iterator_traitsISV_E10value_typeET2_T3_PNSW_IS11_E10value_typeET4_jRbjT5_S17_jjP12ihipStream_tbEUljE_EEESS_ST_SU_S11_S15_S17_T6_T7_T9_mT8_S19_bDpT10_ENKUlT_T0_E_clISt17integral_constantIbLb1EES1M_EEDaS1H_S1I_EUlS1H_E_NS1_11comp_targetILNS1_3genE8ELNS1_11target_archE1030ELNS1_3gpuE2ELNS1_3repE0EEENS1_30default_config_static_selectorELNS0_4arch9wavefront6targetE0EEEvSV_
    .private_segment_fixed_size: 0
    .sgpr_count:     0
    .sgpr_spill_count: 0
    .symbol:         _ZN7rocprim17ROCPRIM_400000_NS6detail17trampoline_kernelINS0_13select_configILj256ELj13ELNS0_17block_load_methodE3ELS4_3ELS4_3ELNS0_20block_scan_algorithmE0ELj4294967295EEENS1_25partition_config_selectorILNS1_17partition_subalgoE3EjNS0_10empty_typeEbEEZZNS1_14partition_implILS8_3ELb0ES6_jNS0_17counting_iteratorIjlEEPS9_SE_NS0_5tupleIJPjSE_EEENSF_IJSE_SE_EEES9_SG_JZNS1_25segmented_radix_sort_implINS0_14default_configELb0EPKlPlSM_SN_N2at6native12_GLOBAL__N_18offset_tEEE10hipError_tPvRmT1_PNSt15iterator_traitsISV_E10value_typeET2_T3_PNSW_IS11_E10value_typeET4_jRbjT5_S17_jjP12ihipStream_tbEUljE_EEESS_ST_SU_S11_S15_S17_T6_T7_T9_mT8_S19_bDpT10_ENKUlT_T0_E_clISt17integral_constantIbLb1EES1M_EEDaS1H_S1I_EUlS1H_E_NS1_11comp_targetILNS1_3genE8ELNS1_11target_archE1030ELNS1_3gpuE2ELNS1_3repE0EEENS1_30default_config_static_selectorELNS0_4arch9wavefront6targetE0EEEvSV_.kd
    .uniform_work_group_size: 1
    .uses_dynamic_stack: false
    .vgpr_count:     0
    .vgpr_spill_count: 0
    .wavefront_size: 32
    .workgroup_processor_mode: 1
  - .args:
      - .offset:         0
        .size:           144
        .value_kind:     by_value
    .group_segment_fixed_size: 0
    .kernarg_segment_align: 8
    .kernarg_segment_size: 144
    .language:       OpenCL C
    .language_version:
      - 2
      - 0
    .max_flat_workgroup_size: 256
    .name:           _ZN7rocprim17ROCPRIM_400000_NS6detail17trampoline_kernelINS0_13select_configILj256ELj13ELNS0_17block_load_methodE3ELS4_3ELS4_3ELNS0_20block_scan_algorithmE0ELj4294967295EEENS1_25partition_config_selectorILNS1_17partition_subalgoE3EjNS0_10empty_typeEbEEZZNS1_14partition_implILS8_3ELb0ES6_jNS0_17counting_iteratorIjlEEPS9_SE_NS0_5tupleIJPjSE_EEENSF_IJSE_SE_EEES9_SG_JZNS1_25segmented_radix_sort_implINS0_14default_configELb0EPKlPlSM_SN_N2at6native12_GLOBAL__N_18offset_tEEE10hipError_tPvRmT1_PNSt15iterator_traitsISV_E10value_typeET2_T3_PNSW_IS11_E10value_typeET4_jRbjT5_S17_jjP12ihipStream_tbEUljE_EEESS_ST_SU_S11_S15_S17_T6_T7_T9_mT8_S19_bDpT10_ENKUlT_T0_E_clISt17integral_constantIbLb1EES1L_IbLb0EEEEDaS1H_S1I_EUlS1H_E_NS1_11comp_targetILNS1_3genE0ELNS1_11target_archE4294967295ELNS1_3gpuE0ELNS1_3repE0EEENS1_30default_config_static_selectorELNS0_4arch9wavefront6targetE0EEEvSV_
    .private_segment_fixed_size: 0
    .sgpr_count:     0
    .sgpr_spill_count: 0
    .symbol:         _ZN7rocprim17ROCPRIM_400000_NS6detail17trampoline_kernelINS0_13select_configILj256ELj13ELNS0_17block_load_methodE3ELS4_3ELS4_3ELNS0_20block_scan_algorithmE0ELj4294967295EEENS1_25partition_config_selectorILNS1_17partition_subalgoE3EjNS0_10empty_typeEbEEZZNS1_14partition_implILS8_3ELb0ES6_jNS0_17counting_iteratorIjlEEPS9_SE_NS0_5tupleIJPjSE_EEENSF_IJSE_SE_EEES9_SG_JZNS1_25segmented_radix_sort_implINS0_14default_configELb0EPKlPlSM_SN_N2at6native12_GLOBAL__N_18offset_tEEE10hipError_tPvRmT1_PNSt15iterator_traitsISV_E10value_typeET2_T3_PNSW_IS11_E10value_typeET4_jRbjT5_S17_jjP12ihipStream_tbEUljE_EEESS_ST_SU_S11_S15_S17_T6_T7_T9_mT8_S19_bDpT10_ENKUlT_T0_E_clISt17integral_constantIbLb1EES1L_IbLb0EEEEDaS1H_S1I_EUlS1H_E_NS1_11comp_targetILNS1_3genE0ELNS1_11target_archE4294967295ELNS1_3gpuE0ELNS1_3repE0EEENS1_30default_config_static_selectorELNS0_4arch9wavefront6targetE0EEEvSV_.kd
    .uniform_work_group_size: 1
    .uses_dynamic_stack: false
    .vgpr_count:     0
    .vgpr_spill_count: 0
    .wavefront_size: 32
    .workgroup_processor_mode: 1
  - .args:
      - .offset:         0
        .size:           144
        .value_kind:     by_value
    .group_segment_fixed_size: 0
    .kernarg_segment_align: 8
    .kernarg_segment_size: 144
    .language:       OpenCL C
    .language_version:
      - 2
      - 0
    .max_flat_workgroup_size: 256
    .name:           _ZN7rocprim17ROCPRIM_400000_NS6detail17trampoline_kernelINS0_13select_configILj256ELj13ELNS0_17block_load_methodE3ELS4_3ELS4_3ELNS0_20block_scan_algorithmE0ELj4294967295EEENS1_25partition_config_selectorILNS1_17partition_subalgoE3EjNS0_10empty_typeEbEEZZNS1_14partition_implILS8_3ELb0ES6_jNS0_17counting_iteratorIjlEEPS9_SE_NS0_5tupleIJPjSE_EEENSF_IJSE_SE_EEES9_SG_JZNS1_25segmented_radix_sort_implINS0_14default_configELb0EPKlPlSM_SN_N2at6native12_GLOBAL__N_18offset_tEEE10hipError_tPvRmT1_PNSt15iterator_traitsISV_E10value_typeET2_T3_PNSW_IS11_E10value_typeET4_jRbjT5_S17_jjP12ihipStream_tbEUljE_EEESS_ST_SU_S11_S15_S17_T6_T7_T9_mT8_S19_bDpT10_ENKUlT_T0_E_clISt17integral_constantIbLb1EES1L_IbLb0EEEEDaS1H_S1I_EUlS1H_E_NS1_11comp_targetILNS1_3genE5ELNS1_11target_archE942ELNS1_3gpuE9ELNS1_3repE0EEENS1_30default_config_static_selectorELNS0_4arch9wavefront6targetE0EEEvSV_
    .private_segment_fixed_size: 0
    .sgpr_count:     0
    .sgpr_spill_count: 0
    .symbol:         _ZN7rocprim17ROCPRIM_400000_NS6detail17trampoline_kernelINS0_13select_configILj256ELj13ELNS0_17block_load_methodE3ELS4_3ELS4_3ELNS0_20block_scan_algorithmE0ELj4294967295EEENS1_25partition_config_selectorILNS1_17partition_subalgoE3EjNS0_10empty_typeEbEEZZNS1_14partition_implILS8_3ELb0ES6_jNS0_17counting_iteratorIjlEEPS9_SE_NS0_5tupleIJPjSE_EEENSF_IJSE_SE_EEES9_SG_JZNS1_25segmented_radix_sort_implINS0_14default_configELb0EPKlPlSM_SN_N2at6native12_GLOBAL__N_18offset_tEEE10hipError_tPvRmT1_PNSt15iterator_traitsISV_E10value_typeET2_T3_PNSW_IS11_E10value_typeET4_jRbjT5_S17_jjP12ihipStream_tbEUljE_EEESS_ST_SU_S11_S15_S17_T6_T7_T9_mT8_S19_bDpT10_ENKUlT_T0_E_clISt17integral_constantIbLb1EES1L_IbLb0EEEEDaS1H_S1I_EUlS1H_E_NS1_11comp_targetILNS1_3genE5ELNS1_11target_archE942ELNS1_3gpuE9ELNS1_3repE0EEENS1_30default_config_static_selectorELNS0_4arch9wavefront6targetE0EEEvSV_.kd
    .uniform_work_group_size: 1
    .uses_dynamic_stack: false
    .vgpr_count:     0
    .vgpr_spill_count: 0
    .wavefront_size: 32
    .workgroup_processor_mode: 1
  - .args:
      - .offset:         0
        .size:           144
        .value_kind:     by_value
    .group_segment_fixed_size: 0
    .kernarg_segment_align: 8
    .kernarg_segment_size: 144
    .language:       OpenCL C
    .language_version:
      - 2
      - 0
    .max_flat_workgroup_size: 256
    .name:           _ZN7rocprim17ROCPRIM_400000_NS6detail17trampoline_kernelINS0_13select_configILj256ELj13ELNS0_17block_load_methodE3ELS4_3ELS4_3ELNS0_20block_scan_algorithmE0ELj4294967295EEENS1_25partition_config_selectorILNS1_17partition_subalgoE3EjNS0_10empty_typeEbEEZZNS1_14partition_implILS8_3ELb0ES6_jNS0_17counting_iteratorIjlEEPS9_SE_NS0_5tupleIJPjSE_EEENSF_IJSE_SE_EEES9_SG_JZNS1_25segmented_radix_sort_implINS0_14default_configELb0EPKlPlSM_SN_N2at6native12_GLOBAL__N_18offset_tEEE10hipError_tPvRmT1_PNSt15iterator_traitsISV_E10value_typeET2_T3_PNSW_IS11_E10value_typeET4_jRbjT5_S17_jjP12ihipStream_tbEUljE_EEESS_ST_SU_S11_S15_S17_T6_T7_T9_mT8_S19_bDpT10_ENKUlT_T0_E_clISt17integral_constantIbLb1EES1L_IbLb0EEEEDaS1H_S1I_EUlS1H_E_NS1_11comp_targetILNS1_3genE4ELNS1_11target_archE910ELNS1_3gpuE8ELNS1_3repE0EEENS1_30default_config_static_selectorELNS0_4arch9wavefront6targetE0EEEvSV_
    .private_segment_fixed_size: 0
    .sgpr_count:     0
    .sgpr_spill_count: 0
    .symbol:         _ZN7rocprim17ROCPRIM_400000_NS6detail17trampoline_kernelINS0_13select_configILj256ELj13ELNS0_17block_load_methodE3ELS4_3ELS4_3ELNS0_20block_scan_algorithmE0ELj4294967295EEENS1_25partition_config_selectorILNS1_17partition_subalgoE3EjNS0_10empty_typeEbEEZZNS1_14partition_implILS8_3ELb0ES6_jNS0_17counting_iteratorIjlEEPS9_SE_NS0_5tupleIJPjSE_EEENSF_IJSE_SE_EEES9_SG_JZNS1_25segmented_radix_sort_implINS0_14default_configELb0EPKlPlSM_SN_N2at6native12_GLOBAL__N_18offset_tEEE10hipError_tPvRmT1_PNSt15iterator_traitsISV_E10value_typeET2_T3_PNSW_IS11_E10value_typeET4_jRbjT5_S17_jjP12ihipStream_tbEUljE_EEESS_ST_SU_S11_S15_S17_T6_T7_T9_mT8_S19_bDpT10_ENKUlT_T0_E_clISt17integral_constantIbLb1EES1L_IbLb0EEEEDaS1H_S1I_EUlS1H_E_NS1_11comp_targetILNS1_3genE4ELNS1_11target_archE910ELNS1_3gpuE8ELNS1_3repE0EEENS1_30default_config_static_selectorELNS0_4arch9wavefront6targetE0EEEvSV_.kd
    .uniform_work_group_size: 1
    .uses_dynamic_stack: false
    .vgpr_count:     0
    .vgpr_spill_count: 0
    .wavefront_size: 32
    .workgroup_processor_mode: 1
  - .args:
      - .offset:         0
        .size:           144
        .value_kind:     by_value
    .group_segment_fixed_size: 0
    .kernarg_segment_align: 8
    .kernarg_segment_size: 144
    .language:       OpenCL C
    .language_version:
      - 2
      - 0
    .max_flat_workgroup_size: 256
    .name:           _ZN7rocprim17ROCPRIM_400000_NS6detail17trampoline_kernelINS0_13select_configILj256ELj13ELNS0_17block_load_methodE3ELS4_3ELS4_3ELNS0_20block_scan_algorithmE0ELj4294967295EEENS1_25partition_config_selectorILNS1_17partition_subalgoE3EjNS0_10empty_typeEbEEZZNS1_14partition_implILS8_3ELb0ES6_jNS0_17counting_iteratorIjlEEPS9_SE_NS0_5tupleIJPjSE_EEENSF_IJSE_SE_EEES9_SG_JZNS1_25segmented_radix_sort_implINS0_14default_configELb0EPKlPlSM_SN_N2at6native12_GLOBAL__N_18offset_tEEE10hipError_tPvRmT1_PNSt15iterator_traitsISV_E10value_typeET2_T3_PNSW_IS11_E10value_typeET4_jRbjT5_S17_jjP12ihipStream_tbEUljE_EEESS_ST_SU_S11_S15_S17_T6_T7_T9_mT8_S19_bDpT10_ENKUlT_T0_E_clISt17integral_constantIbLb1EES1L_IbLb0EEEEDaS1H_S1I_EUlS1H_E_NS1_11comp_targetILNS1_3genE3ELNS1_11target_archE908ELNS1_3gpuE7ELNS1_3repE0EEENS1_30default_config_static_selectorELNS0_4arch9wavefront6targetE0EEEvSV_
    .private_segment_fixed_size: 0
    .sgpr_count:     0
    .sgpr_spill_count: 0
    .symbol:         _ZN7rocprim17ROCPRIM_400000_NS6detail17trampoline_kernelINS0_13select_configILj256ELj13ELNS0_17block_load_methodE3ELS4_3ELS4_3ELNS0_20block_scan_algorithmE0ELj4294967295EEENS1_25partition_config_selectorILNS1_17partition_subalgoE3EjNS0_10empty_typeEbEEZZNS1_14partition_implILS8_3ELb0ES6_jNS0_17counting_iteratorIjlEEPS9_SE_NS0_5tupleIJPjSE_EEENSF_IJSE_SE_EEES9_SG_JZNS1_25segmented_radix_sort_implINS0_14default_configELb0EPKlPlSM_SN_N2at6native12_GLOBAL__N_18offset_tEEE10hipError_tPvRmT1_PNSt15iterator_traitsISV_E10value_typeET2_T3_PNSW_IS11_E10value_typeET4_jRbjT5_S17_jjP12ihipStream_tbEUljE_EEESS_ST_SU_S11_S15_S17_T6_T7_T9_mT8_S19_bDpT10_ENKUlT_T0_E_clISt17integral_constantIbLb1EES1L_IbLb0EEEEDaS1H_S1I_EUlS1H_E_NS1_11comp_targetILNS1_3genE3ELNS1_11target_archE908ELNS1_3gpuE7ELNS1_3repE0EEENS1_30default_config_static_selectorELNS0_4arch9wavefront6targetE0EEEvSV_.kd
    .uniform_work_group_size: 1
    .uses_dynamic_stack: false
    .vgpr_count:     0
    .vgpr_spill_count: 0
    .wavefront_size: 32
    .workgroup_processor_mode: 1
  - .args:
      - .offset:         0
        .size:           144
        .value_kind:     by_value
    .group_segment_fixed_size: 0
    .kernarg_segment_align: 8
    .kernarg_segment_size: 144
    .language:       OpenCL C
    .language_version:
      - 2
      - 0
    .max_flat_workgroup_size: 256
    .name:           _ZN7rocprim17ROCPRIM_400000_NS6detail17trampoline_kernelINS0_13select_configILj256ELj13ELNS0_17block_load_methodE3ELS4_3ELS4_3ELNS0_20block_scan_algorithmE0ELj4294967295EEENS1_25partition_config_selectorILNS1_17partition_subalgoE3EjNS0_10empty_typeEbEEZZNS1_14partition_implILS8_3ELb0ES6_jNS0_17counting_iteratorIjlEEPS9_SE_NS0_5tupleIJPjSE_EEENSF_IJSE_SE_EEES9_SG_JZNS1_25segmented_radix_sort_implINS0_14default_configELb0EPKlPlSM_SN_N2at6native12_GLOBAL__N_18offset_tEEE10hipError_tPvRmT1_PNSt15iterator_traitsISV_E10value_typeET2_T3_PNSW_IS11_E10value_typeET4_jRbjT5_S17_jjP12ihipStream_tbEUljE_EEESS_ST_SU_S11_S15_S17_T6_T7_T9_mT8_S19_bDpT10_ENKUlT_T0_E_clISt17integral_constantIbLb1EES1L_IbLb0EEEEDaS1H_S1I_EUlS1H_E_NS1_11comp_targetILNS1_3genE2ELNS1_11target_archE906ELNS1_3gpuE6ELNS1_3repE0EEENS1_30default_config_static_selectorELNS0_4arch9wavefront6targetE0EEEvSV_
    .private_segment_fixed_size: 0
    .sgpr_count:     0
    .sgpr_spill_count: 0
    .symbol:         _ZN7rocprim17ROCPRIM_400000_NS6detail17trampoline_kernelINS0_13select_configILj256ELj13ELNS0_17block_load_methodE3ELS4_3ELS4_3ELNS0_20block_scan_algorithmE0ELj4294967295EEENS1_25partition_config_selectorILNS1_17partition_subalgoE3EjNS0_10empty_typeEbEEZZNS1_14partition_implILS8_3ELb0ES6_jNS0_17counting_iteratorIjlEEPS9_SE_NS0_5tupleIJPjSE_EEENSF_IJSE_SE_EEES9_SG_JZNS1_25segmented_radix_sort_implINS0_14default_configELb0EPKlPlSM_SN_N2at6native12_GLOBAL__N_18offset_tEEE10hipError_tPvRmT1_PNSt15iterator_traitsISV_E10value_typeET2_T3_PNSW_IS11_E10value_typeET4_jRbjT5_S17_jjP12ihipStream_tbEUljE_EEESS_ST_SU_S11_S15_S17_T6_T7_T9_mT8_S19_bDpT10_ENKUlT_T0_E_clISt17integral_constantIbLb1EES1L_IbLb0EEEEDaS1H_S1I_EUlS1H_E_NS1_11comp_targetILNS1_3genE2ELNS1_11target_archE906ELNS1_3gpuE6ELNS1_3repE0EEENS1_30default_config_static_selectorELNS0_4arch9wavefront6targetE0EEEvSV_.kd
    .uniform_work_group_size: 1
    .uses_dynamic_stack: false
    .vgpr_count:     0
    .vgpr_spill_count: 0
    .wavefront_size: 32
    .workgroup_processor_mode: 1
  - .args:
      - .offset:         0
        .size:           144
        .value_kind:     by_value
    .group_segment_fixed_size: 0
    .kernarg_segment_align: 8
    .kernarg_segment_size: 144
    .language:       OpenCL C
    .language_version:
      - 2
      - 0
    .max_flat_workgroup_size: 256
    .name:           _ZN7rocprim17ROCPRIM_400000_NS6detail17trampoline_kernelINS0_13select_configILj256ELj13ELNS0_17block_load_methodE3ELS4_3ELS4_3ELNS0_20block_scan_algorithmE0ELj4294967295EEENS1_25partition_config_selectorILNS1_17partition_subalgoE3EjNS0_10empty_typeEbEEZZNS1_14partition_implILS8_3ELb0ES6_jNS0_17counting_iteratorIjlEEPS9_SE_NS0_5tupleIJPjSE_EEENSF_IJSE_SE_EEES9_SG_JZNS1_25segmented_radix_sort_implINS0_14default_configELb0EPKlPlSM_SN_N2at6native12_GLOBAL__N_18offset_tEEE10hipError_tPvRmT1_PNSt15iterator_traitsISV_E10value_typeET2_T3_PNSW_IS11_E10value_typeET4_jRbjT5_S17_jjP12ihipStream_tbEUljE_EEESS_ST_SU_S11_S15_S17_T6_T7_T9_mT8_S19_bDpT10_ENKUlT_T0_E_clISt17integral_constantIbLb1EES1L_IbLb0EEEEDaS1H_S1I_EUlS1H_E_NS1_11comp_targetILNS1_3genE10ELNS1_11target_archE1200ELNS1_3gpuE4ELNS1_3repE0EEENS1_30default_config_static_selectorELNS0_4arch9wavefront6targetE0EEEvSV_
    .private_segment_fixed_size: 0
    .sgpr_count:     0
    .sgpr_spill_count: 0
    .symbol:         _ZN7rocprim17ROCPRIM_400000_NS6detail17trampoline_kernelINS0_13select_configILj256ELj13ELNS0_17block_load_methodE3ELS4_3ELS4_3ELNS0_20block_scan_algorithmE0ELj4294967295EEENS1_25partition_config_selectorILNS1_17partition_subalgoE3EjNS0_10empty_typeEbEEZZNS1_14partition_implILS8_3ELb0ES6_jNS0_17counting_iteratorIjlEEPS9_SE_NS0_5tupleIJPjSE_EEENSF_IJSE_SE_EEES9_SG_JZNS1_25segmented_radix_sort_implINS0_14default_configELb0EPKlPlSM_SN_N2at6native12_GLOBAL__N_18offset_tEEE10hipError_tPvRmT1_PNSt15iterator_traitsISV_E10value_typeET2_T3_PNSW_IS11_E10value_typeET4_jRbjT5_S17_jjP12ihipStream_tbEUljE_EEESS_ST_SU_S11_S15_S17_T6_T7_T9_mT8_S19_bDpT10_ENKUlT_T0_E_clISt17integral_constantIbLb1EES1L_IbLb0EEEEDaS1H_S1I_EUlS1H_E_NS1_11comp_targetILNS1_3genE10ELNS1_11target_archE1200ELNS1_3gpuE4ELNS1_3repE0EEENS1_30default_config_static_selectorELNS0_4arch9wavefront6targetE0EEEvSV_.kd
    .uniform_work_group_size: 1
    .uses_dynamic_stack: false
    .vgpr_count:     0
    .vgpr_spill_count: 0
    .wavefront_size: 32
    .workgroup_processor_mode: 1
  - .args:
      - .offset:         0
        .size:           144
        .value_kind:     by_value
    .group_segment_fixed_size: 0
    .kernarg_segment_align: 8
    .kernarg_segment_size: 144
    .language:       OpenCL C
    .language_version:
      - 2
      - 0
    .max_flat_workgroup_size: 256
    .name:           _ZN7rocprim17ROCPRIM_400000_NS6detail17trampoline_kernelINS0_13select_configILj256ELj13ELNS0_17block_load_methodE3ELS4_3ELS4_3ELNS0_20block_scan_algorithmE0ELj4294967295EEENS1_25partition_config_selectorILNS1_17partition_subalgoE3EjNS0_10empty_typeEbEEZZNS1_14partition_implILS8_3ELb0ES6_jNS0_17counting_iteratorIjlEEPS9_SE_NS0_5tupleIJPjSE_EEENSF_IJSE_SE_EEES9_SG_JZNS1_25segmented_radix_sort_implINS0_14default_configELb0EPKlPlSM_SN_N2at6native12_GLOBAL__N_18offset_tEEE10hipError_tPvRmT1_PNSt15iterator_traitsISV_E10value_typeET2_T3_PNSW_IS11_E10value_typeET4_jRbjT5_S17_jjP12ihipStream_tbEUljE_EEESS_ST_SU_S11_S15_S17_T6_T7_T9_mT8_S19_bDpT10_ENKUlT_T0_E_clISt17integral_constantIbLb1EES1L_IbLb0EEEEDaS1H_S1I_EUlS1H_E_NS1_11comp_targetILNS1_3genE9ELNS1_11target_archE1100ELNS1_3gpuE3ELNS1_3repE0EEENS1_30default_config_static_selectorELNS0_4arch9wavefront6targetE0EEEvSV_
    .private_segment_fixed_size: 0
    .sgpr_count:     0
    .sgpr_spill_count: 0
    .symbol:         _ZN7rocprim17ROCPRIM_400000_NS6detail17trampoline_kernelINS0_13select_configILj256ELj13ELNS0_17block_load_methodE3ELS4_3ELS4_3ELNS0_20block_scan_algorithmE0ELj4294967295EEENS1_25partition_config_selectorILNS1_17partition_subalgoE3EjNS0_10empty_typeEbEEZZNS1_14partition_implILS8_3ELb0ES6_jNS0_17counting_iteratorIjlEEPS9_SE_NS0_5tupleIJPjSE_EEENSF_IJSE_SE_EEES9_SG_JZNS1_25segmented_radix_sort_implINS0_14default_configELb0EPKlPlSM_SN_N2at6native12_GLOBAL__N_18offset_tEEE10hipError_tPvRmT1_PNSt15iterator_traitsISV_E10value_typeET2_T3_PNSW_IS11_E10value_typeET4_jRbjT5_S17_jjP12ihipStream_tbEUljE_EEESS_ST_SU_S11_S15_S17_T6_T7_T9_mT8_S19_bDpT10_ENKUlT_T0_E_clISt17integral_constantIbLb1EES1L_IbLb0EEEEDaS1H_S1I_EUlS1H_E_NS1_11comp_targetILNS1_3genE9ELNS1_11target_archE1100ELNS1_3gpuE3ELNS1_3repE0EEENS1_30default_config_static_selectorELNS0_4arch9wavefront6targetE0EEEvSV_.kd
    .uniform_work_group_size: 1
    .uses_dynamic_stack: false
    .vgpr_count:     0
    .vgpr_spill_count: 0
    .wavefront_size: 32
    .workgroup_processor_mode: 1
  - .args:
      - .offset:         0
        .size:           144
        .value_kind:     by_value
    .group_segment_fixed_size: 0
    .kernarg_segment_align: 8
    .kernarg_segment_size: 144
    .language:       OpenCL C
    .language_version:
      - 2
      - 0
    .max_flat_workgroup_size: 256
    .name:           _ZN7rocprim17ROCPRIM_400000_NS6detail17trampoline_kernelINS0_13select_configILj256ELj13ELNS0_17block_load_methodE3ELS4_3ELS4_3ELNS0_20block_scan_algorithmE0ELj4294967295EEENS1_25partition_config_selectorILNS1_17partition_subalgoE3EjNS0_10empty_typeEbEEZZNS1_14partition_implILS8_3ELb0ES6_jNS0_17counting_iteratorIjlEEPS9_SE_NS0_5tupleIJPjSE_EEENSF_IJSE_SE_EEES9_SG_JZNS1_25segmented_radix_sort_implINS0_14default_configELb0EPKlPlSM_SN_N2at6native12_GLOBAL__N_18offset_tEEE10hipError_tPvRmT1_PNSt15iterator_traitsISV_E10value_typeET2_T3_PNSW_IS11_E10value_typeET4_jRbjT5_S17_jjP12ihipStream_tbEUljE_EEESS_ST_SU_S11_S15_S17_T6_T7_T9_mT8_S19_bDpT10_ENKUlT_T0_E_clISt17integral_constantIbLb1EES1L_IbLb0EEEEDaS1H_S1I_EUlS1H_E_NS1_11comp_targetILNS1_3genE8ELNS1_11target_archE1030ELNS1_3gpuE2ELNS1_3repE0EEENS1_30default_config_static_selectorELNS0_4arch9wavefront6targetE0EEEvSV_
    .private_segment_fixed_size: 0
    .sgpr_count:     0
    .sgpr_spill_count: 0
    .symbol:         _ZN7rocprim17ROCPRIM_400000_NS6detail17trampoline_kernelINS0_13select_configILj256ELj13ELNS0_17block_load_methodE3ELS4_3ELS4_3ELNS0_20block_scan_algorithmE0ELj4294967295EEENS1_25partition_config_selectorILNS1_17partition_subalgoE3EjNS0_10empty_typeEbEEZZNS1_14partition_implILS8_3ELb0ES6_jNS0_17counting_iteratorIjlEEPS9_SE_NS0_5tupleIJPjSE_EEENSF_IJSE_SE_EEES9_SG_JZNS1_25segmented_radix_sort_implINS0_14default_configELb0EPKlPlSM_SN_N2at6native12_GLOBAL__N_18offset_tEEE10hipError_tPvRmT1_PNSt15iterator_traitsISV_E10value_typeET2_T3_PNSW_IS11_E10value_typeET4_jRbjT5_S17_jjP12ihipStream_tbEUljE_EEESS_ST_SU_S11_S15_S17_T6_T7_T9_mT8_S19_bDpT10_ENKUlT_T0_E_clISt17integral_constantIbLb1EES1L_IbLb0EEEEDaS1H_S1I_EUlS1H_E_NS1_11comp_targetILNS1_3genE8ELNS1_11target_archE1030ELNS1_3gpuE2ELNS1_3repE0EEENS1_30default_config_static_selectorELNS0_4arch9wavefront6targetE0EEEvSV_.kd
    .uniform_work_group_size: 1
    .uses_dynamic_stack: false
    .vgpr_count:     0
    .vgpr_spill_count: 0
    .wavefront_size: 32
    .workgroup_processor_mode: 1
  - .args:
      - .offset:         0
        .size:           152
        .value_kind:     by_value
    .group_segment_fixed_size: 0
    .kernarg_segment_align: 8
    .kernarg_segment_size: 152
    .language:       OpenCL C
    .language_version:
      - 2
      - 0
    .max_flat_workgroup_size: 256
    .name:           _ZN7rocprim17ROCPRIM_400000_NS6detail17trampoline_kernelINS0_13select_configILj256ELj13ELNS0_17block_load_methodE3ELS4_3ELS4_3ELNS0_20block_scan_algorithmE0ELj4294967295EEENS1_25partition_config_selectorILNS1_17partition_subalgoE3EjNS0_10empty_typeEbEEZZNS1_14partition_implILS8_3ELb0ES6_jNS0_17counting_iteratorIjlEEPS9_SE_NS0_5tupleIJPjSE_EEENSF_IJSE_SE_EEES9_SG_JZNS1_25segmented_radix_sort_implINS0_14default_configELb0EPKlPlSM_SN_N2at6native12_GLOBAL__N_18offset_tEEE10hipError_tPvRmT1_PNSt15iterator_traitsISV_E10value_typeET2_T3_PNSW_IS11_E10value_typeET4_jRbjT5_S17_jjP12ihipStream_tbEUljE_EEESS_ST_SU_S11_S15_S17_T6_T7_T9_mT8_S19_bDpT10_ENKUlT_T0_E_clISt17integral_constantIbLb0EES1L_IbLb1EEEEDaS1H_S1I_EUlS1H_E_NS1_11comp_targetILNS1_3genE0ELNS1_11target_archE4294967295ELNS1_3gpuE0ELNS1_3repE0EEENS1_30default_config_static_selectorELNS0_4arch9wavefront6targetE0EEEvSV_
    .private_segment_fixed_size: 0
    .sgpr_count:     0
    .sgpr_spill_count: 0
    .symbol:         _ZN7rocprim17ROCPRIM_400000_NS6detail17trampoline_kernelINS0_13select_configILj256ELj13ELNS0_17block_load_methodE3ELS4_3ELS4_3ELNS0_20block_scan_algorithmE0ELj4294967295EEENS1_25partition_config_selectorILNS1_17partition_subalgoE3EjNS0_10empty_typeEbEEZZNS1_14partition_implILS8_3ELb0ES6_jNS0_17counting_iteratorIjlEEPS9_SE_NS0_5tupleIJPjSE_EEENSF_IJSE_SE_EEES9_SG_JZNS1_25segmented_radix_sort_implINS0_14default_configELb0EPKlPlSM_SN_N2at6native12_GLOBAL__N_18offset_tEEE10hipError_tPvRmT1_PNSt15iterator_traitsISV_E10value_typeET2_T3_PNSW_IS11_E10value_typeET4_jRbjT5_S17_jjP12ihipStream_tbEUljE_EEESS_ST_SU_S11_S15_S17_T6_T7_T9_mT8_S19_bDpT10_ENKUlT_T0_E_clISt17integral_constantIbLb0EES1L_IbLb1EEEEDaS1H_S1I_EUlS1H_E_NS1_11comp_targetILNS1_3genE0ELNS1_11target_archE4294967295ELNS1_3gpuE0ELNS1_3repE0EEENS1_30default_config_static_selectorELNS0_4arch9wavefront6targetE0EEEvSV_.kd
    .uniform_work_group_size: 1
    .uses_dynamic_stack: false
    .vgpr_count:     0
    .vgpr_spill_count: 0
    .wavefront_size: 32
    .workgroup_processor_mode: 1
  - .args:
      - .offset:         0
        .size:           152
        .value_kind:     by_value
    .group_segment_fixed_size: 0
    .kernarg_segment_align: 8
    .kernarg_segment_size: 152
    .language:       OpenCL C
    .language_version:
      - 2
      - 0
    .max_flat_workgroup_size: 256
    .name:           _ZN7rocprim17ROCPRIM_400000_NS6detail17trampoline_kernelINS0_13select_configILj256ELj13ELNS0_17block_load_methodE3ELS4_3ELS4_3ELNS0_20block_scan_algorithmE0ELj4294967295EEENS1_25partition_config_selectorILNS1_17partition_subalgoE3EjNS0_10empty_typeEbEEZZNS1_14partition_implILS8_3ELb0ES6_jNS0_17counting_iteratorIjlEEPS9_SE_NS0_5tupleIJPjSE_EEENSF_IJSE_SE_EEES9_SG_JZNS1_25segmented_radix_sort_implINS0_14default_configELb0EPKlPlSM_SN_N2at6native12_GLOBAL__N_18offset_tEEE10hipError_tPvRmT1_PNSt15iterator_traitsISV_E10value_typeET2_T3_PNSW_IS11_E10value_typeET4_jRbjT5_S17_jjP12ihipStream_tbEUljE_EEESS_ST_SU_S11_S15_S17_T6_T7_T9_mT8_S19_bDpT10_ENKUlT_T0_E_clISt17integral_constantIbLb0EES1L_IbLb1EEEEDaS1H_S1I_EUlS1H_E_NS1_11comp_targetILNS1_3genE5ELNS1_11target_archE942ELNS1_3gpuE9ELNS1_3repE0EEENS1_30default_config_static_selectorELNS0_4arch9wavefront6targetE0EEEvSV_
    .private_segment_fixed_size: 0
    .sgpr_count:     0
    .sgpr_spill_count: 0
    .symbol:         _ZN7rocprim17ROCPRIM_400000_NS6detail17trampoline_kernelINS0_13select_configILj256ELj13ELNS0_17block_load_methodE3ELS4_3ELS4_3ELNS0_20block_scan_algorithmE0ELj4294967295EEENS1_25partition_config_selectorILNS1_17partition_subalgoE3EjNS0_10empty_typeEbEEZZNS1_14partition_implILS8_3ELb0ES6_jNS0_17counting_iteratorIjlEEPS9_SE_NS0_5tupleIJPjSE_EEENSF_IJSE_SE_EEES9_SG_JZNS1_25segmented_radix_sort_implINS0_14default_configELb0EPKlPlSM_SN_N2at6native12_GLOBAL__N_18offset_tEEE10hipError_tPvRmT1_PNSt15iterator_traitsISV_E10value_typeET2_T3_PNSW_IS11_E10value_typeET4_jRbjT5_S17_jjP12ihipStream_tbEUljE_EEESS_ST_SU_S11_S15_S17_T6_T7_T9_mT8_S19_bDpT10_ENKUlT_T0_E_clISt17integral_constantIbLb0EES1L_IbLb1EEEEDaS1H_S1I_EUlS1H_E_NS1_11comp_targetILNS1_3genE5ELNS1_11target_archE942ELNS1_3gpuE9ELNS1_3repE0EEENS1_30default_config_static_selectorELNS0_4arch9wavefront6targetE0EEEvSV_.kd
    .uniform_work_group_size: 1
    .uses_dynamic_stack: false
    .vgpr_count:     0
    .vgpr_spill_count: 0
    .wavefront_size: 32
    .workgroup_processor_mode: 1
  - .args:
      - .offset:         0
        .size:           152
        .value_kind:     by_value
    .group_segment_fixed_size: 0
    .kernarg_segment_align: 8
    .kernarg_segment_size: 152
    .language:       OpenCL C
    .language_version:
      - 2
      - 0
    .max_flat_workgroup_size: 256
    .name:           _ZN7rocprim17ROCPRIM_400000_NS6detail17trampoline_kernelINS0_13select_configILj256ELj13ELNS0_17block_load_methodE3ELS4_3ELS4_3ELNS0_20block_scan_algorithmE0ELj4294967295EEENS1_25partition_config_selectorILNS1_17partition_subalgoE3EjNS0_10empty_typeEbEEZZNS1_14partition_implILS8_3ELb0ES6_jNS0_17counting_iteratorIjlEEPS9_SE_NS0_5tupleIJPjSE_EEENSF_IJSE_SE_EEES9_SG_JZNS1_25segmented_radix_sort_implINS0_14default_configELb0EPKlPlSM_SN_N2at6native12_GLOBAL__N_18offset_tEEE10hipError_tPvRmT1_PNSt15iterator_traitsISV_E10value_typeET2_T3_PNSW_IS11_E10value_typeET4_jRbjT5_S17_jjP12ihipStream_tbEUljE_EEESS_ST_SU_S11_S15_S17_T6_T7_T9_mT8_S19_bDpT10_ENKUlT_T0_E_clISt17integral_constantIbLb0EES1L_IbLb1EEEEDaS1H_S1I_EUlS1H_E_NS1_11comp_targetILNS1_3genE4ELNS1_11target_archE910ELNS1_3gpuE8ELNS1_3repE0EEENS1_30default_config_static_selectorELNS0_4arch9wavefront6targetE0EEEvSV_
    .private_segment_fixed_size: 0
    .sgpr_count:     0
    .sgpr_spill_count: 0
    .symbol:         _ZN7rocprim17ROCPRIM_400000_NS6detail17trampoline_kernelINS0_13select_configILj256ELj13ELNS0_17block_load_methodE3ELS4_3ELS4_3ELNS0_20block_scan_algorithmE0ELj4294967295EEENS1_25partition_config_selectorILNS1_17partition_subalgoE3EjNS0_10empty_typeEbEEZZNS1_14partition_implILS8_3ELb0ES6_jNS0_17counting_iteratorIjlEEPS9_SE_NS0_5tupleIJPjSE_EEENSF_IJSE_SE_EEES9_SG_JZNS1_25segmented_radix_sort_implINS0_14default_configELb0EPKlPlSM_SN_N2at6native12_GLOBAL__N_18offset_tEEE10hipError_tPvRmT1_PNSt15iterator_traitsISV_E10value_typeET2_T3_PNSW_IS11_E10value_typeET4_jRbjT5_S17_jjP12ihipStream_tbEUljE_EEESS_ST_SU_S11_S15_S17_T6_T7_T9_mT8_S19_bDpT10_ENKUlT_T0_E_clISt17integral_constantIbLb0EES1L_IbLb1EEEEDaS1H_S1I_EUlS1H_E_NS1_11comp_targetILNS1_3genE4ELNS1_11target_archE910ELNS1_3gpuE8ELNS1_3repE0EEENS1_30default_config_static_selectorELNS0_4arch9wavefront6targetE0EEEvSV_.kd
    .uniform_work_group_size: 1
    .uses_dynamic_stack: false
    .vgpr_count:     0
    .vgpr_spill_count: 0
    .wavefront_size: 32
    .workgroup_processor_mode: 1
  - .args:
      - .offset:         0
        .size:           152
        .value_kind:     by_value
    .group_segment_fixed_size: 0
    .kernarg_segment_align: 8
    .kernarg_segment_size: 152
    .language:       OpenCL C
    .language_version:
      - 2
      - 0
    .max_flat_workgroup_size: 256
    .name:           _ZN7rocprim17ROCPRIM_400000_NS6detail17trampoline_kernelINS0_13select_configILj256ELj13ELNS0_17block_load_methodE3ELS4_3ELS4_3ELNS0_20block_scan_algorithmE0ELj4294967295EEENS1_25partition_config_selectorILNS1_17partition_subalgoE3EjNS0_10empty_typeEbEEZZNS1_14partition_implILS8_3ELb0ES6_jNS0_17counting_iteratorIjlEEPS9_SE_NS0_5tupleIJPjSE_EEENSF_IJSE_SE_EEES9_SG_JZNS1_25segmented_radix_sort_implINS0_14default_configELb0EPKlPlSM_SN_N2at6native12_GLOBAL__N_18offset_tEEE10hipError_tPvRmT1_PNSt15iterator_traitsISV_E10value_typeET2_T3_PNSW_IS11_E10value_typeET4_jRbjT5_S17_jjP12ihipStream_tbEUljE_EEESS_ST_SU_S11_S15_S17_T6_T7_T9_mT8_S19_bDpT10_ENKUlT_T0_E_clISt17integral_constantIbLb0EES1L_IbLb1EEEEDaS1H_S1I_EUlS1H_E_NS1_11comp_targetILNS1_3genE3ELNS1_11target_archE908ELNS1_3gpuE7ELNS1_3repE0EEENS1_30default_config_static_selectorELNS0_4arch9wavefront6targetE0EEEvSV_
    .private_segment_fixed_size: 0
    .sgpr_count:     0
    .sgpr_spill_count: 0
    .symbol:         _ZN7rocprim17ROCPRIM_400000_NS6detail17trampoline_kernelINS0_13select_configILj256ELj13ELNS0_17block_load_methodE3ELS4_3ELS4_3ELNS0_20block_scan_algorithmE0ELj4294967295EEENS1_25partition_config_selectorILNS1_17partition_subalgoE3EjNS0_10empty_typeEbEEZZNS1_14partition_implILS8_3ELb0ES6_jNS0_17counting_iteratorIjlEEPS9_SE_NS0_5tupleIJPjSE_EEENSF_IJSE_SE_EEES9_SG_JZNS1_25segmented_radix_sort_implINS0_14default_configELb0EPKlPlSM_SN_N2at6native12_GLOBAL__N_18offset_tEEE10hipError_tPvRmT1_PNSt15iterator_traitsISV_E10value_typeET2_T3_PNSW_IS11_E10value_typeET4_jRbjT5_S17_jjP12ihipStream_tbEUljE_EEESS_ST_SU_S11_S15_S17_T6_T7_T9_mT8_S19_bDpT10_ENKUlT_T0_E_clISt17integral_constantIbLb0EES1L_IbLb1EEEEDaS1H_S1I_EUlS1H_E_NS1_11comp_targetILNS1_3genE3ELNS1_11target_archE908ELNS1_3gpuE7ELNS1_3repE0EEENS1_30default_config_static_selectorELNS0_4arch9wavefront6targetE0EEEvSV_.kd
    .uniform_work_group_size: 1
    .uses_dynamic_stack: false
    .vgpr_count:     0
    .vgpr_spill_count: 0
    .wavefront_size: 32
    .workgroup_processor_mode: 1
  - .args:
      - .offset:         0
        .size:           152
        .value_kind:     by_value
    .group_segment_fixed_size: 0
    .kernarg_segment_align: 8
    .kernarg_segment_size: 152
    .language:       OpenCL C
    .language_version:
      - 2
      - 0
    .max_flat_workgroup_size: 256
    .name:           _ZN7rocprim17ROCPRIM_400000_NS6detail17trampoline_kernelINS0_13select_configILj256ELj13ELNS0_17block_load_methodE3ELS4_3ELS4_3ELNS0_20block_scan_algorithmE0ELj4294967295EEENS1_25partition_config_selectorILNS1_17partition_subalgoE3EjNS0_10empty_typeEbEEZZNS1_14partition_implILS8_3ELb0ES6_jNS0_17counting_iteratorIjlEEPS9_SE_NS0_5tupleIJPjSE_EEENSF_IJSE_SE_EEES9_SG_JZNS1_25segmented_radix_sort_implINS0_14default_configELb0EPKlPlSM_SN_N2at6native12_GLOBAL__N_18offset_tEEE10hipError_tPvRmT1_PNSt15iterator_traitsISV_E10value_typeET2_T3_PNSW_IS11_E10value_typeET4_jRbjT5_S17_jjP12ihipStream_tbEUljE_EEESS_ST_SU_S11_S15_S17_T6_T7_T9_mT8_S19_bDpT10_ENKUlT_T0_E_clISt17integral_constantIbLb0EES1L_IbLb1EEEEDaS1H_S1I_EUlS1H_E_NS1_11comp_targetILNS1_3genE2ELNS1_11target_archE906ELNS1_3gpuE6ELNS1_3repE0EEENS1_30default_config_static_selectorELNS0_4arch9wavefront6targetE0EEEvSV_
    .private_segment_fixed_size: 0
    .sgpr_count:     0
    .sgpr_spill_count: 0
    .symbol:         _ZN7rocprim17ROCPRIM_400000_NS6detail17trampoline_kernelINS0_13select_configILj256ELj13ELNS0_17block_load_methodE3ELS4_3ELS4_3ELNS0_20block_scan_algorithmE0ELj4294967295EEENS1_25partition_config_selectorILNS1_17partition_subalgoE3EjNS0_10empty_typeEbEEZZNS1_14partition_implILS8_3ELb0ES6_jNS0_17counting_iteratorIjlEEPS9_SE_NS0_5tupleIJPjSE_EEENSF_IJSE_SE_EEES9_SG_JZNS1_25segmented_radix_sort_implINS0_14default_configELb0EPKlPlSM_SN_N2at6native12_GLOBAL__N_18offset_tEEE10hipError_tPvRmT1_PNSt15iterator_traitsISV_E10value_typeET2_T3_PNSW_IS11_E10value_typeET4_jRbjT5_S17_jjP12ihipStream_tbEUljE_EEESS_ST_SU_S11_S15_S17_T6_T7_T9_mT8_S19_bDpT10_ENKUlT_T0_E_clISt17integral_constantIbLb0EES1L_IbLb1EEEEDaS1H_S1I_EUlS1H_E_NS1_11comp_targetILNS1_3genE2ELNS1_11target_archE906ELNS1_3gpuE6ELNS1_3repE0EEENS1_30default_config_static_selectorELNS0_4arch9wavefront6targetE0EEEvSV_.kd
    .uniform_work_group_size: 1
    .uses_dynamic_stack: false
    .vgpr_count:     0
    .vgpr_spill_count: 0
    .wavefront_size: 32
    .workgroup_processor_mode: 1
  - .args:
      - .offset:         0
        .size:           152
        .value_kind:     by_value
    .group_segment_fixed_size: 0
    .kernarg_segment_align: 8
    .kernarg_segment_size: 152
    .language:       OpenCL C
    .language_version:
      - 2
      - 0
    .max_flat_workgroup_size: 256
    .name:           _ZN7rocprim17ROCPRIM_400000_NS6detail17trampoline_kernelINS0_13select_configILj256ELj13ELNS0_17block_load_methodE3ELS4_3ELS4_3ELNS0_20block_scan_algorithmE0ELj4294967295EEENS1_25partition_config_selectorILNS1_17partition_subalgoE3EjNS0_10empty_typeEbEEZZNS1_14partition_implILS8_3ELb0ES6_jNS0_17counting_iteratorIjlEEPS9_SE_NS0_5tupleIJPjSE_EEENSF_IJSE_SE_EEES9_SG_JZNS1_25segmented_radix_sort_implINS0_14default_configELb0EPKlPlSM_SN_N2at6native12_GLOBAL__N_18offset_tEEE10hipError_tPvRmT1_PNSt15iterator_traitsISV_E10value_typeET2_T3_PNSW_IS11_E10value_typeET4_jRbjT5_S17_jjP12ihipStream_tbEUljE_EEESS_ST_SU_S11_S15_S17_T6_T7_T9_mT8_S19_bDpT10_ENKUlT_T0_E_clISt17integral_constantIbLb0EES1L_IbLb1EEEEDaS1H_S1I_EUlS1H_E_NS1_11comp_targetILNS1_3genE10ELNS1_11target_archE1200ELNS1_3gpuE4ELNS1_3repE0EEENS1_30default_config_static_selectorELNS0_4arch9wavefront6targetE0EEEvSV_
    .private_segment_fixed_size: 0
    .sgpr_count:     0
    .sgpr_spill_count: 0
    .symbol:         _ZN7rocprim17ROCPRIM_400000_NS6detail17trampoline_kernelINS0_13select_configILj256ELj13ELNS0_17block_load_methodE3ELS4_3ELS4_3ELNS0_20block_scan_algorithmE0ELj4294967295EEENS1_25partition_config_selectorILNS1_17partition_subalgoE3EjNS0_10empty_typeEbEEZZNS1_14partition_implILS8_3ELb0ES6_jNS0_17counting_iteratorIjlEEPS9_SE_NS0_5tupleIJPjSE_EEENSF_IJSE_SE_EEES9_SG_JZNS1_25segmented_radix_sort_implINS0_14default_configELb0EPKlPlSM_SN_N2at6native12_GLOBAL__N_18offset_tEEE10hipError_tPvRmT1_PNSt15iterator_traitsISV_E10value_typeET2_T3_PNSW_IS11_E10value_typeET4_jRbjT5_S17_jjP12ihipStream_tbEUljE_EEESS_ST_SU_S11_S15_S17_T6_T7_T9_mT8_S19_bDpT10_ENKUlT_T0_E_clISt17integral_constantIbLb0EES1L_IbLb1EEEEDaS1H_S1I_EUlS1H_E_NS1_11comp_targetILNS1_3genE10ELNS1_11target_archE1200ELNS1_3gpuE4ELNS1_3repE0EEENS1_30default_config_static_selectorELNS0_4arch9wavefront6targetE0EEEvSV_.kd
    .uniform_work_group_size: 1
    .uses_dynamic_stack: false
    .vgpr_count:     0
    .vgpr_spill_count: 0
    .wavefront_size: 32
    .workgroup_processor_mode: 1
  - .args:
      - .offset:         0
        .size:           152
        .value_kind:     by_value
    .group_segment_fixed_size: 0
    .kernarg_segment_align: 8
    .kernarg_segment_size: 152
    .language:       OpenCL C
    .language_version:
      - 2
      - 0
    .max_flat_workgroup_size: 256
    .name:           _ZN7rocprim17ROCPRIM_400000_NS6detail17trampoline_kernelINS0_13select_configILj256ELj13ELNS0_17block_load_methodE3ELS4_3ELS4_3ELNS0_20block_scan_algorithmE0ELj4294967295EEENS1_25partition_config_selectorILNS1_17partition_subalgoE3EjNS0_10empty_typeEbEEZZNS1_14partition_implILS8_3ELb0ES6_jNS0_17counting_iteratorIjlEEPS9_SE_NS0_5tupleIJPjSE_EEENSF_IJSE_SE_EEES9_SG_JZNS1_25segmented_radix_sort_implINS0_14default_configELb0EPKlPlSM_SN_N2at6native12_GLOBAL__N_18offset_tEEE10hipError_tPvRmT1_PNSt15iterator_traitsISV_E10value_typeET2_T3_PNSW_IS11_E10value_typeET4_jRbjT5_S17_jjP12ihipStream_tbEUljE_EEESS_ST_SU_S11_S15_S17_T6_T7_T9_mT8_S19_bDpT10_ENKUlT_T0_E_clISt17integral_constantIbLb0EES1L_IbLb1EEEEDaS1H_S1I_EUlS1H_E_NS1_11comp_targetILNS1_3genE9ELNS1_11target_archE1100ELNS1_3gpuE3ELNS1_3repE0EEENS1_30default_config_static_selectorELNS0_4arch9wavefront6targetE0EEEvSV_
    .private_segment_fixed_size: 0
    .sgpr_count:     0
    .sgpr_spill_count: 0
    .symbol:         _ZN7rocprim17ROCPRIM_400000_NS6detail17trampoline_kernelINS0_13select_configILj256ELj13ELNS0_17block_load_methodE3ELS4_3ELS4_3ELNS0_20block_scan_algorithmE0ELj4294967295EEENS1_25partition_config_selectorILNS1_17partition_subalgoE3EjNS0_10empty_typeEbEEZZNS1_14partition_implILS8_3ELb0ES6_jNS0_17counting_iteratorIjlEEPS9_SE_NS0_5tupleIJPjSE_EEENSF_IJSE_SE_EEES9_SG_JZNS1_25segmented_radix_sort_implINS0_14default_configELb0EPKlPlSM_SN_N2at6native12_GLOBAL__N_18offset_tEEE10hipError_tPvRmT1_PNSt15iterator_traitsISV_E10value_typeET2_T3_PNSW_IS11_E10value_typeET4_jRbjT5_S17_jjP12ihipStream_tbEUljE_EEESS_ST_SU_S11_S15_S17_T6_T7_T9_mT8_S19_bDpT10_ENKUlT_T0_E_clISt17integral_constantIbLb0EES1L_IbLb1EEEEDaS1H_S1I_EUlS1H_E_NS1_11comp_targetILNS1_3genE9ELNS1_11target_archE1100ELNS1_3gpuE3ELNS1_3repE0EEENS1_30default_config_static_selectorELNS0_4arch9wavefront6targetE0EEEvSV_.kd
    .uniform_work_group_size: 1
    .uses_dynamic_stack: false
    .vgpr_count:     0
    .vgpr_spill_count: 0
    .wavefront_size: 32
    .workgroup_processor_mode: 1
  - .args:
      - .offset:         0
        .size:           152
        .value_kind:     by_value
    .group_segment_fixed_size: 13320
    .kernarg_segment_align: 8
    .kernarg_segment_size: 152
    .language:       OpenCL C
    .language_version:
      - 2
      - 0
    .max_flat_workgroup_size: 256
    .name:           _ZN7rocprim17ROCPRIM_400000_NS6detail17trampoline_kernelINS0_13select_configILj256ELj13ELNS0_17block_load_methodE3ELS4_3ELS4_3ELNS0_20block_scan_algorithmE0ELj4294967295EEENS1_25partition_config_selectorILNS1_17partition_subalgoE3EjNS0_10empty_typeEbEEZZNS1_14partition_implILS8_3ELb0ES6_jNS0_17counting_iteratorIjlEEPS9_SE_NS0_5tupleIJPjSE_EEENSF_IJSE_SE_EEES9_SG_JZNS1_25segmented_radix_sort_implINS0_14default_configELb0EPKlPlSM_SN_N2at6native12_GLOBAL__N_18offset_tEEE10hipError_tPvRmT1_PNSt15iterator_traitsISV_E10value_typeET2_T3_PNSW_IS11_E10value_typeET4_jRbjT5_S17_jjP12ihipStream_tbEUljE_EEESS_ST_SU_S11_S15_S17_T6_T7_T9_mT8_S19_bDpT10_ENKUlT_T0_E_clISt17integral_constantIbLb0EES1L_IbLb1EEEEDaS1H_S1I_EUlS1H_E_NS1_11comp_targetILNS1_3genE8ELNS1_11target_archE1030ELNS1_3gpuE2ELNS1_3repE0EEENS1_30default_config_static_selectorELNS0_4arch9wavefront6targetE0EEEvSV_
    .private_segment_fixed_size: 0
    .sgpr_count:     28
    .sgpr_spill_count: 0
    .symbol:         _ZN7rocprim17ROCPRIM_400000_NS6detail17trampoline_kernelINS0_13select_configILj256ELj13ELNS0_17block_load_methodE3ELS4_3ELS4_3ELNS0_20block_scan_algorithmE0ELj4294967295EEENS1_25partition_config_selectorILNS1_17partition_subalgoE3EjNS0_10empty_typeEbEEZZNS1_14partition_implILS8_3ELb0ES6_jNS0_17counting_iteratorIjlEEPS9_SE_NS0_5tupleIJPjSE_EEENSF_IJSE_SE_EEES9_SG_JZNS1_25segmented_radix_sort_implINS0_14default_configELb0EPKlPlSM_SN_N2at6native12_GLOBAL__N_18offset_tEEE10hipError_tPvRmT1_PNSt15iterator_traitsISV_E10value_typeET2_T3_PNSW_IS11_E10value_typeET4_jRbjT5_S17_jjP12ihipStream_tbEUljE_EEESS_ST_SU_S11_S15_S17_T6_T7_T9_mT8_S19_bDpT10_ENKUlT_T0_E_clISt17integral_constantIbLb0EES1L_IbLb1EEEEDaS1H_S1I_EUlS1H_E_NS1_11comp_targetILNS1_3genE8ELNS1_11target_archE1030ELNS1_3gpuE2ELNS1_3repE0EEENS1_30default_config_static_selectorELNS0_4arch9wavefront6targetE0EEEvSV_.kd
    .uniform_work_group_size: 1
    .uses_dynamic_stack: false
    .vgpr_count:     71
    .vgpr_spill_count: 0
    .wavefront_size: 32
    .workgroup_processor_mode: 1
  - .args:
      - .offset:         0
        .size:           96
        .value_kind:     by_value
    .group_segment_fixed_size: 0
    .kernarg_segment_align: 8
    .kernarg_segment_size: 96
    .language:       OpenCL C
    .language_version:
      - 2
      - 0
    .max_flat_workgroup_size: 256
    .name:           _ZN7rocprim17ROCPRIM_400000_NS6detail17trampoline_kernelINS0_14default_configENS1_36segmented_radix_sort_config_selectorIllEEZNS1_25segmented_radix_sort_implIS3_Lb0EPKlPlS8_S9_N2at6native12_GLOBAL__N_18offset_tEEE10hipError_tPvRmT1_PNSt15iterator_traitsISH_E10value_typeET2_T3_PNSI_ISN_E10value_typeET4_jRbjT5_ST_jjP12ihipStream_tbEUlT_E_NS1_11comp_targetILNS1_3genE0ELNS1_11target_archE4294967295ELNS1_3gpuE0ELNS1_3repE0EEENS1_30default_config_static_selectorELNS0_4arch9wavefront6targetE0EEEvSH_
    .private_segment_fixed_size: 0
    .sgpr_count:     0
    .sgpr_spill_count: 0
    .symbol:         _ZN7rocprim17ROCPRIM_400000_NS6detail17trampoline_kernelINS0_14default_configENS1_36segmented_radix_sort_config_selectorIllEEZNS1_25segmented_radix_sort_implIS3_Lb0EPKlPlS8_S9_N2at6native12_GLOBAL__N_18offset_tEEE10hipError_tPvRmT1_PNSt15iterator_traitsISH_E10value_typeET2_T3_PNSI_ISN_E10value_typeET4_jRbjT5_ST_jjP12ihipStream_tbEUlT_E_NS1_11comp_targetILNS1_3genE0ELNS1_11target_archE4294967295ELNS1_3gpuE0ELNS1_3repE0EEENS1_30default_config_static_selectorELNS0_4arch9wavefront6targetE0EEEvSH_.kd
    .uniform_work_group_size: 1
    .uses_dynamic_stack: false
    .vgpr_count:     0
    .vgpr_spill_count: 0
    .wavefront_size: 32
    .workgroup_processor_mode: 1
  - .args:
      - .offset:         0
        .size:           96
        .value_kind:     by_value
    .group_segment_fixed_size: 0
    .kernarg_segment_align: 8
    .kernarg_segment_size: 96
    .language:       OpenCL C
    .language_version:
      - 2
      - 0
    .max_flat_workgroup_size: 256
    .name:           _ZN7rocprim17ROCPRIM_400000_NS6detail17trampoline_kernelINS0_14default_configENS1_36segmented_radix_sort_config_selectorIllEEZNS1_25segmented_radix_sort_implIS3_Lb0EPKlPlS8_S9_N2at6native12_GLOBAL__N_18offset_tEEE10hipError_tPvRmT1_PNSt15iterator_traitsISH_E10value_typeET2_T3_PNSI_ISN_E10value_typeET4_jRbjT5_ST_jjP12ihipStream_tbEUlT_E_NS1_11comp_targetILNS1_3genE5ELNS1_11target_archE942ELNS1_3gpuE9ELNS1_3repE0EEENS1_30default_config_static_selectorELNS0_4arch9wavefront6targetE0EEEvSH_
    .private_segment_fixed_size: 0
    .sgpr_count:     0
    .sgpr_spill_count: 0
    .symbol:         _ZN7rocprim17ROCPRIM_400000_NS6detail17trampoline_kernelINS0_14default_configENS1_36segmented_radix_sort_config_selectorIllEEZNS1_25segmented_radix_sort_implIS3_Lb0EPKlPlS8_S9_N2at6native12_GLOBAL__N_18offset_tEEE10hipError_tPvRmT1_PNSt15iterator_traitsISH_E10value_typeET2_T3_PNSI_ISN_E10value_typeET4_jRbjT5_ST_jjP12ihipStream_tbEUlT_E_NS1_11comp_targetILNS1_3genE5ELNS1_11target_archE942ELNS1_3gpuE9ELNS1_3repE0EEENS1_30default_config_static_selectorELNS0_4arch9wavefront6targetE0EEEvSH_.kd
    .uniform_work_group_size: 1
    .uses_dynamic_stack: false
    .vgpr_count:     0
    .vgpr_spill_count: 0
    .wavefront_size: 32
    .workgroup_processor_mode: 1
  - .args:
      - .offset:         0
        .size:           96
        .value_kind:     by_value
    .group_segment_fixed_size: 0
    .kernarg_segment_align: 8
    .kernarg_segment_size: 96
    .language:       OpenCL C
    .language_version:
      - 2
      - 0
    .max_flat_workgroup_size: 256
    .name:           _ZN7rocprim17ROCPRIM_400000_NS6detail17trampoline_kernelINS0_14default_configENS1_36segmented_radix_sort_config_selectorIllEEZNS1_25segmented_radix_sort_implIS3_Lb0EPKlPlS8_S9_N2at6native12_GLOBAL__N_18offset_tEEE10hipError_tPvRmT1_PNSt15iterator_traitsISH_E10value_typeET2_T3_PNSI_ISN_E10value_typeET4_jRbjT5_ST_jjP12ihipStream_tbEUlT_E_NS1_11comp_targetILNS1_3genE4ELNS1_11target_archE910ELNS1_3gpuE8ELNS1_3repE0EEENS1_30default_config_static_selectorELNS0_4arch9wavefront6targetE0EEEvSH_
    .private_segment_fixed_size: 0
    .sgpr_count:     0
    .sgpr_spill_count: 0
    .symbol:         _ZN7rocprim17ROCPRIM_400000_NS6detail17trampoline_kernelINS0_14default_configENS1_36segmented_radix_sort_config_selectorIllEEZNS1_25segmented_radix_sort_implIS3_Lb0EPKlPlS8_S9_N2at6native12_GLOBAL__N_18offset_tEEE10hipError_tPvRmT1_PNSt15iterator_traitsISH_E10value_typeET2_T3_PNSI_ISN_E10value_typeET4_jRbjT5_ST_jjP12ihipStream_tbEUlT_E_NS1_11comp_targetILNS1_3genE4ELNS1_11target_archE910ELNS1_3gpuE8ELNS1_3repE0EEENS1_30default_config_static_selectorELNS0_4arch9wavefront6targetE0EEEvSH_.kd
    .uniform_work_group_size: 1
    .uses_dynamic_stack: false
    .vgpr_count:     0
    .vgpr_spill_count: 0
    .wavefront_size: 32
    .workgroup_processor_mode: 1
  - .args:
      - .offset:         0
        .size:           96
        .value_kind:     by_value
    .group_segment_fixed_size: 0
    .kernarg_segment_align: 8
    .kernarg_segment_size: 96
    .language:       OpenCL C
    .language_version:
      - 2
      - 0
    .max_flat_workgroup_size: 256
    .name:           _ZN7rocprim17ROCPRIM_400000_NS6detail17trampoline_kernelINS0_14default_configENS1_36segmented_radix_sort_config_selectorIllEEZNS1_25segmented_radix_sort_implIS3_Lb0EPKlPlS8_S9_N2at6native12_GLOBAL__N_18offset_tEEE10hipError_tPvRmT1_PNSt15iterator_traitsISH_E10value_typeET2_T3_PNSI_ISN_E10value_typeET4_jRbjT5_ST_jjP12ihipStream_tbEUlT_E_NS1_11comp_targetILNS1_3genE3ELNS1_11target_archE908ELNS1_3gpuE7ELNS1_3repE0EEENS1_30default_config_static_selectorELNS0_4arch9wavefront6targetE0EEEvSH_
    .private_segment_fixed_size: 0
    .sgpr_count:     0
    .sgpr_spill_count: 0
    .symbol:         _ZN7rocprim17ROCPRIM_400000_NS6detail17trampoline_kernelINS0_14default_configENS1_36segmented_radix_sort_config_selectorIllEEZNS1_25segmented_radix_sort_implIS3_Lb0EPKlPlS8_S9_N2at6native12_GLOBAL__N_18offset_tEEE10hipError_tPvRmT1_PNSt15iterator_traitsISH_E10value_typeET2_T3_PNSI_ISN_E10value_typeET4_jRbjT5_ST_jjP12ihipStream_tbEUlT_E_NS1_11comp_targetILNS1_3genE3ELNS1_11target_archE908ELNS1_3gpuE7ELNS1_3repE0EEENS1_30default_config_static_selectorELNS0_4arch9wavefront6targetE0EEEvSH_.kd
    .uniform_work_group_size: 1
    .uses_dynamic_stack: false
    .vgpr_count:     0
    .vgpr_spill_count: 0
    .wavefront_size: 32
    .workgroup_processor_mode: 1
  - .args:
      - .offset:         0
        .size:           96
        .value_kind:     by_value
    .group_segment_fixed_size: 0
    .kernarg_segment_align: 8
    .kernarg_segment_size: 96
    .language:       OpenCL C
    .language_version:
      - 2
      - 0
    .max_flat_workgroup_size: 256
    .name:           _ZN7rocprim17ROCPRIM_400000_NS6detail17trampoline_kernelINS0_14default_configENS1_36segmented_radix_sort_config_selectorIllEEZNS1_25segmented_radix_sort_implIS3_Lb0EPKlPlS8_S9_N2at6native12_GLOBAL__N_18offset_tEEE10hipError_tPvRmT1_PNSt15iterator_traitsISH_E10value_typeET2_T3_PNSI_ISN_E10value_typeET4_jRbjT5_ST_jjP12ihipStream_tbEUlT_E_NS1_11comp_targetILNS1_3genE2ELNS1_11target_archE906ELNS1_3gpuE6ELNS1_3repE0EEENS1_30default_config_static_selectorELNS0_4arch9wavefront6targetE0EEEvSH_
    .private_segment_fixed_size: 0
    .sgpr_count:     0
    .sgpr_spill_count: 0
    .symbol:         _ZN7rocprim17ROCPRIM_400000_NS6detail17trampoline_kernelINS0_14default_configENS1_36segmented_radix_sort_config_selectorIllEEZNS1_25segmented_radix_sort_implIS3_Lb0EPKlPlS8_S9_N2at6native12_GLOBAL__N_18offset_tEEE10hipError_tPvRmT1_PNSt15iterator_traitsISH_E10value_typeET2_T3_PNSI_ISN_E10value_typeET4_jRbjT5_ST_jjP12ihipStream_tbEUlT_E_NS1_11comp_targetILNS1_3genE2ELNS1_11target_archE906ELNS1_3gpuE6ELNS1_3repE0EEENS1_30default_config_static_selectorELNS0_4arch9wavefront6targetE0EEEvSH_.kd
    .uniform_work_group_size: 1
    .uses_dynamic_stack: false
    .vgpr_count:     0
    .vgpr_spill_count: 0
    .wavefront_size: 32
    .workgroup_processor_mode: 1
  - .args:
      - .offset:         0
        .size:           96
        .value_kind:     by_value
    .group_segment_fixed_size: 0
    .kernarg_segment_align: 8
    .kernarg_segment_size: 96
    .language:       OpenCL C
    .language_version:
      - 2
      - 0
    .max_flat_workgroup_size: 256
    .name:           _ZN7rocprim17ROCPRIM_400000_NS6detail17trampoline_kernelINS0_14default_configENS1_36segmented_radix_sort_config_selectorIllEEZNS1_25segmented_radix_sort_implIS3_Lb0EPKlPlS8_S9_N2at6native12_GLOBAL__N_18offset_tEEE10hipError_tPvRmT1_PNSt15iterator_traitsISH_E10value_typeET2_T3_PNSI_ISN_E10value_typeET4_jRbjT5_ST_jjP12ihipStream_tbEUlT_E_NS1_11comp_targetILNS1_3genE10ELNS1_11target_archE1201ELNS1_3gpuE5ELNS1_3repE0EEENS1_30default_config_static_selectorELNS0_4arch9wavefront6targetE0EEEvSH_
    .private_segment_fixed_size: 0
    .sgpr_count:     0
    .sgpr_spill_count: 0
    .symbol:         _ZN7rocprim17ROCPRIM_400000_NS6detail17trampoline_kernelINS0_14default_configENS1_36segmented_radix_sort_config_selectorIllEEZNS1_25segmented_radix_sort_implIS3_Lb0EPKlPlS8_S9_N2at6native12_GLOBAL__N_18offset_tEEE10hipError_tPvRmT1_PNSt15iterator_traitsISH_E10value_typeET2_T3_PNSI_ISN_E10value_typeET4_jRbjT5_ST_jjP12ihipStream_tbEUlT_E_NS1_11comp_targetILNS1_3genE10ELNS1_11target_archE1201ELNS1_3gpuE5ELNS1_3repE0EEENS1_30default_config_static_selectorELNS0_4arch9wavefront6targetE0EEEvSH_.kd
    .uniform_work_group_size: 1
    .uses_dynamic_stack: false
    .vgpr_count:     0
    .vgpr_spill_count: 0
    .wavefront_size: 32
    .workgroup_processor_mode: 1
  - .args:
      - .offset:         0
        .size:           96
        .value_kind:     by_value
    .group_segment_fixed_size: 0
    .kernarg_segment_align: 8
    .kernarg_segment_size: 96
    .language:       OpenCL C
    .language_version:
      - 2
      - 0
    .max_flat_workgroup_size: 128
    .name:           _ZN7rocprim17ROCPRIM_400000_NS6detail17trampoline_kernelINS0_14default_configENS1_36segmented_radix_sort_config_selectorIllEEZNS1_25segmented_radix_sort_implIS3_Lb0EPKlPlS8_S9_N2at6native12_GLOBAL__N_18offset_tEEE10hipError_tPvRmT1_PNSt15iterator_traitsISH_E10value_typeET2_T3_PNSI_ISN_E10value_typeET4_jRbjT5_ST_jjP12ihipStream_tbEUlT_E_NS1_11comp_targetILNS1_3genE10ELNS1_11target_archE1200ELNS1_3gpuE4ELNS1_3repE0EEENS1_30default_config_static_selectorELNS0_4arch9wavefront6targetE0EEEvSH_
    .private_segment_fixed_size: 0
    .sgpr_count:     0
    .sgpr_spill_count: 0
    .symbol:         _ZN7rocprim17ROCPRIM_400000_NS6detail17trampoline_kernelINS0_14default_configENS1_36segmented_radix_sort_config_selectorIllEEZNS1_25segmented_radix_sort_implIS3_Lb0EPKlPlS8_S9_N2at6native12_GLOBAL__N_18offset_tEEE10hipError_tPvRmT1_PNSt15iterator_traitsISH_E10value_typeET2_T3_PNSI_ISN_E10value_typeET4_jRbjT5_ST_jjP12ihipStream_tbEUlT_E_NS1_11comp_targetILNS1_3genE10ELNS1_11target_archE1200ELNS1_3gpuE4ELNS1_3repE0EEENS1_30default_config_static_selectorELNS0_4arch9wavefront6targetE0EEEvSH_.kd
    .uniform_work_group_size: 1
    .uses_dynamic_stack: false
    .vgpr_count:     0
    .vgpr_spill_count: 0
    .wavefront_size: 32
    .workgroup_processor_mode: 1
  - .args:
      - .offset:         0
        .size:           96
        .value_kind:     by_value
    .group_segment_fixed_size: 0
    .kernarg_segment_align: 8
    .kernarg_segment_size: 96
    .language:       OpenCL C
    .language_version:
      - 2
      - 0
    .max_flat_workgroup_size: 256
    .name:           _ZN7rocprim17ROCPRIM_400000_NS6detail17trampoline_kernelINS0_14default_configENS1_36segmented_radix_sort_config_selectorIllEEZNS1_25segmented_radix_sort_implIS3_Lb0EPKlPlS8_S9_N2at6native12_GLOBAL__N_18offset_tEEE10hipError_tPvRmT1_PNSt15iterator_traitsISH_E10value_typeET2_T3_PNSI_ISN_E10value_typeET4_jRbjT5_ST_jjP12ihipStream_tbEUlT_E_NS1_11comp_targetILNS1_3genE9ELNS1_11target_archE1100ELNS1_3gpuE3ELNS1_3repE0EEENS1_30default_config_static_selectorELNS0_4arch9wavefront6targetE0EEEvSH_
    .private_segment_fixed_size: 0
    .sgpr_count:     0
    .sgpr_spill_count: 0
    .symbol:         _ZN7rocprim17ROCPRIM_400000_NS6detail17trampoline_kernelINS0_14default_configENS1_36segmented_radix_sort_config_selectorIllEEZNS1_25segmented_radix_sort_implIS3_Lb0EPKlPlS8_S9_N2at6native12_GLOBAL__N_18offset_tEEE10hipError_tPvRmT1_PNSt15iterator_traitsISH_E10value_typeET2_T3_PNSI_ISN_E10value_typeET4_jRbjT5_ST_jjP12ihipStream_tbEUlT_E_NS1_11comp_targetILNS1_3genE9ELNS1_11target_archE1100ELNS1_3gpuE3ELNS1_3repE0EEENS1_30default_config_static_selectorELNS0_4arch9wavefront6targetE0EEEvSH_.kd
    .uniform_work_group_size: 1
    .uses_dynamic_stack: false
    .vgpr_count:     0
    .vgpr_spill_count: 0
    .wavefront_size: 32
    .workgroup_processor_mode: 1
  - .args:
      - .offset:         0
        .size:           96
        .value_kind:     by_value
      - .offset:         96
        .size:           4
        .value_kind:     hidden_block_count_x
      - .offset:         100
        .size:           4
        .value_kind:     hidden_block_count_y
      - .offset:         104
        .size:           4
        .value_kind:     hidden_block_count_z
      - .offset:         108
        .size:           2
        .value_kind:     hidden_group_size_x
      - .offset:         110
        .size:           2
        .value_kind:     hidden_group_size_y
      - .offset:         112
        .size:           2
        .value_kind:     hidden_group_size_z
      - .offset:         114
        .size:           2
        .value_kind:     hidden_remainder_x
      - .offset:         116
        .size:           2
        .value_kind:     hidden_remainder_y
      - .offset:         118
        .size:           2
        .value_kind:     hidden_remainder_z
      - .offset:         136
        .size:           8
        .value_kind:     hidden_global_offset_x
      - .offset:         144
        .size:           8
        .value_kind:     hidden_global_offset_y
      - .offset:         152
        .size:           8
        .value_kind:     hidden_global_offset_z
      - .offset:         160
        .size:           2
        .value_kind:     hidden_grid_dims
    .group_segment_fixed_size: 33296
    .kernarg_segment_align: 8
    .kernarg_segment_size: 352
    .language:       OpenCL C
    .language_version:
      - 2
      - 0
    .max_flat_workgroup_size: 256
    .name:           _ZN7rocprim17ROCPRIM_400000_NS6detail17trampoline_kernelINS0_14default_configENS1_36segmented_radix_sort_config_selectorIllEEZNS1_25segmented_radix_sort_implIS3_Lb0EPKlPlS8_S9_N2at6native12_GLOBAL__N_18offset_tEEE10hipError_tPvRmT1_PNSt15iterator_traitsISH_E10value_typeET2_T3_PNSI_ISN_E10value_typeET4_jRbjT5_ST_jjP12ihipStream_tbEUlT_E_NS1_11comp_targetILNS1_3genE8ELNS1_11target_archE1030ELNS1_3gpuE2ELNS1_3repE0EEENS1_30default_config_static_selectorELNS0_4arch9wavefront6targetE0EEEvSH_
    .private_segment_fixed_size: 176
    .sgpr_count:     70
    .sgpr_spill_count: 0
    .symbol:         _ZN7rocprim17ROCPRIM_400000_NS6detail17trampoline_kernelINS0_14default_configENS1_36segmented_radix_sort_config_selectorIllEEZNS1_25segmented_radix_sort_implIS3_Lb0EPKlPlS8_S9_N2at6native12_GLOBAL__N_18offset_tEEE10hipError_tPvRmT1_PNSt15iterator_traitsISH_E10value_typeET2_T3_PNSI_ISN_E10value_typeET4_jRbjT5_ST_jjP12ihipStream_tbEUlT_E_NS1_11comp_targetILNS1_3genE8ELNS1_11target_archE1030ELNS1_3gpuE2ELNS1_3repE0EEENS1_30default_config_static_selectorELNS0_4arch9wavefront6targetE0EEEvSH_.kd
    .uniform_work_group_size: 1
    .uses_dynamic_stack: false
    .vgpr_count:     248
    .vgpr_spill_count: 0
    .wavefront_size: 32
    .workgroup_processor_mode: 1
  - .args:
      - .offset:         0
        .size:           88
        .value_kind:     by_value
    .group_segment_fixed_size: 0
    .kernarg_segment_align: 8
    .kernarg_segment_size: 88
    .language:       OpenCL C
    .language_version:
      - 2
      - 0
    .max_flat_workgroup_size: 256
    .name:           _ZN7rocprim17ROCPRIM_400000_NS6detail17trampoline_kernelINS0_14default_configENS1_36segmented_radix_sort_config_selectorIllEEZNS1_25segmented_radix_sort_implIS3_Lb0EPKlPlS8_S9_N2at6native12_GLOBAL__N_18offset_tEEE10hipError_tPvRmT1_PNSt15iterator_traitsISH_E10value_typeET2_T3_PNSI_ISN_E10value_typeET4_jRbjT5_ST_jjP12ihipStream_tbEUlT_E0_NS1_11comp_targetILNS1_3genE0ELNS1_11target_archE4294967295ELNS1_3gpuE0ELNS1_3repE0EEENS1_60segmented_radix_sort_warp_sort_medium_config_static_selectorELNS0_4arch9wavefront6targetE0EEEvSH_
    .private_segment_fixed_size: 0
    .sgpr_count:     0
    .sgpr_spill_count: 0
    .symbol:         _ZN7rocprim17ROCPRIM_400000_NS6detail17trampoline_kernelINS0_14default_configENS1_36segmented_radix_sort_config_selectorIllEEZNS1_25segmented_radix_sort_implIS3_Lb0EPKlPlS8_S9_N2at6native12_GLOBAL__N_18offset_tEEE10hipError_tPvRmT1_PNSt15iterator_traitsISH_E10value_typeET2_T3_PNSI_ISN_E10value_typeET4_jRbjT5_ST_jjP12ihipStream_tbEUlT_E0_NS1_11comp_targetILNS1_3genE0ELNS1_11target_archE4294967295ELNS1_3gpuE0ELNS1_3repE0EEENS1_60segmented_radix_sort_warp_sort_medium_config_static_selectorELNS0_4arch9wavefront6targetE0EEEvSH_.kd
    .uniform_work_group_size: 1
    .uses_dynamic_stack: false
    .vgpr_count:     0
    .vgpr_spill_count: 0
    .wavefront_size: 32
    .workgroup_processor_mode: 1
  - .args:
      - .offset:         0
        .size:           88
        .value_kind:     by_value
    .group_segment_fixed_size: 0
    .kernarg_segment_align: 8
    .kernarg_segment_size: 88
    .language:       OpenCL C
    .language_version:
      - 2
      - 0
    .max_flat_workgroup_size: 256
    .name:           _ZN7rocprim17ROCPRIM_400000_NS6detail17trampoline_kernelINS0_14default_configENS1_36segmented_radix_sort_config_selectorIllEEZNS1_25segmented_radix_sort_implIS3_Lb0EPKlPlS8_S9_N2at6native12_GLOBAL__N_18offset_tEEE10hipError_tPvRmT1_PNSt15iterator_traitsISH_E10value_typeET2_T3_PNSI_ISN_E10value_typeET4_jRbjT5_ST_jjP12ihipStream_tbEUlT_E0_NS1_11comp_targetILNS1_3genE5ELNS1_11target_archE942ELNS1_3gpuE9ELNS1_3repE0EEENS1_60segmented_radix_sort_warp_sort_medium_config_static_selectorELNS0_4arch9wavefront6targetE0EEEvSH_
    .private_segment_fixed_size: 0
    .sgpr_count:     0
    .sgpr_spill_count: 0
    .symbol:         _ZN7rocprim17ROCPRIM_400000_NS6detail17trampoline_kernelINS0_14default_configENS1_36segmented_radix_sort_config_selectorIllEEZNS1_25segmented_radix_sort_implIS3_Lb0EPKlPlS8_S9_N2at6native12_GLOBAL__N_18offset_tEEE10hipError_tPvRmT1_PNSt15iterator_traitsISH_E10value_typeET2_T3_PNSI_ISN_E10value_typeET4_jRbjT5_ST_jjP12ihipStream_tbEUlT_E0_NS1_11comp_targetILNS1_3genE5ELNS1_11target_archE942ELNS1_3gpuE9ELNS1_3repE0EEENS1_60segmented_radix_sort_warp_sort_medium_config_static_selectorELNS0_4arch9wavefront6targetE0EEEvSH_.kd
    .uniform_work_group_size: 1
    .uses_dynamic_stack: false
    .vgpr_count:     0
    .vgpr_spill_count: 0
    .wavefront_size: 32
    .workgroup_processor_mode: 1
  - .args:
      - .offset:         0
        .size:           88
        .value_kind:     by_value
    .group_segment_fixed_size: 0
    .kernarg_segment_align: 8
    .kernarg_segment_size: 88
    .language:       OpenCL C
    .language_version:
      - 2
      - 0
    .max_flat_workgroup_size: 256
    .name:           _ZN7rocprim17ROCPRIM_400000_NS6detail17trampoline_kernelINS0_14default_configENS1_36segmented_radix_sort_config_selectorIllEEZNS1_25segmented_radix_sort_implIS3_Lb0EPKlPlS8_S9_N2at6native12_GLOBAL__N_18offset_tEEE10hipError_tPvRmT1_PNSt15iterator_traitsISH_E10value_typeET2_T3_PNSI_ISN_E10value_typeET4_jRbjT5_ST_jjP12ihipStream_tbEUlT_E0_NS1_11comp_targetILNS1_3genE4ELNS1_11target_archE910ELNS1_3gpuE8ELNS1_3repE0EEENS1_60segmented_radix_sort_warp_sort_medium_config_static_selectorELNS0_4arch9wavefront6targetE0EEEvSH_
    .private_segment_fixed_size: 0
    .sgpr_count:     0
    .sgpr_spill_count: 0
    .symbol:         _ZN7rocprim17ROCPRIM_400000_NS6detail17trampoline_kernelINS0_14default_configENS1_36segmented_radix_sort_config_selectorIllEEZNS1_25segmented_radix_sort_implIS3_Lb0EPKlPlS8_S9_N2at6native12_GLOBAL__N_18offset_tEEE10hipError_tPvRmT1_PNSt15iterator_traitsISH_E10value_typeET2_T3_PNSI_ISN_E10value_typeET4_jRbjT5_ST_jjP12ihipStream_tbEUlT_E0_NS1_11comp_targetILNS1_3genE4ELNS1_11target_archE910ELNS1_3gpuE8ELNS1_3repE0EEENS1_60segmented_radix_sort_warp_sort_medium_config_static_selectorELNS0_4arch9wavefront6targetE0EEEvSH_.kd
    .uniform_work_group_size: 1
    .uses_dynamic_stack: false
    .vgpr_count:     0
    .vgpr_spill_count: 0
    .wavefront_size: 32
    .workgroup_processor_mode: 1
  - .args:
      - .offset:         0
        .size:           88
        .value_kind:     by_value
    .group_segment_fixed_size: 0
    .kernarg_segment_align: 8
    .kernarg_segment_size: 88
    .language:       OpenCL C
    .language_version:
      - 2
      - 0
    .max_flat_workgroup_size: 256
    .name:           _ZN7rocprim17ROCPRIM_400000_NS6detail17trampoline_kernelINS0_14default_configENS1_36segmented_radix_sort_config_selectorIllEEZNS1_25segmented_radix_sort_implIS3_Lb0EPKlPlS8_S9_N2at6native12_GLOBAL__N_18offset_tEEE10hipError_tPvRmT1_PNSt15iterator_traitsISH_E10value_typeET2_T3_PNSI_ISN_E10value_typeET4_jRbjT5_ST_jjP12ihipStream_tbEUlT_E0_NS1_11comp_targetILNS1_3genE3ELNS1_11target_archE908ELNS1_3gpuE7ELNS1_3repE0EEENS1_60segmented_radix_sort_warp_sort_medium_config_static_selectorELNS0_4arch9wavefront6targetE0EEEvSH_
    .private_segment_fixed_size: 0
    .sgpr_count:     0
    .sgpr_spill_count: 0
    .symbol:         _ZN7rocprim17ROCPRIM_400000_NS6detail17trampoline_kernelINS0_14default_configENS1_36segmented_radix_sort_config_selectorIllEEZNS1_25segmented_radix_sort_implIS3_Lb0EPKlPlS8_S9_N2at6native12_GLOBAL__N_18offset_tEEE10hipError_tPvRmT1_PNSt15iterator_traitsISH_E10value_typeET2_T3_PNSI_ISN_E10value_typeET4_jRbjT5_ST_jjP12ihipStream_tbEUlT_E0_NS1_11comp_targetILNS1_3genE3ELNS1_11target_archE908ELNS1_3gpuE7ELNS1_3repE0EEENS1_60segmented_radix_sort_warp_sort_medium_config_static_selectorELNS0_4arch9wavefront6targetE0EEEvSH_.kd
    .uniform_work_group_size: 1
    .uses_dynamic_stack: false
    .vgpr_count:     0
    .vgpr_spill_count: 0
    .wavefront_size: 32
    .workgroup_processor_mode: 1
  - .args:
      - .offset:         0
        .size:           88
        .value_kind:     by_value
    .group_segment_fixed_size: 0
    .kernarg_segment_align: 8
    .kernarg_segment_size: 88
    .language:       OpenCL C
    .language_version:
      - 2
      - 0
    .max_flat_workgroup_size: 256
    .name:           _ZN7rocprim17ROCPRIM_400000_NS6detail17trampoline_kernelINS0_14default_configENS1_36segmented_radix_sort_config_selectorIllEEZNS1_25segmented_radix_sort_implIS3_Lb0EPKlPlS8_S9_N2at6native12_GLOBAL__N_18offset_tEEE10hipError_tPvRmT1_PNSt15iterator_traitsISH_E10value_typeET2_T3_PNSI_ISN_E10value_typeET4_jRbjT5_ST_jjP12ihipStream_tbEUlT_E0_NS1_11comp_targetILNS1_3genE2ELNS1_11target_archE906ELNS1_3gpuE6ELNS1_3repE0EEENS1_60segmented_radix_sort_warp_sort_medium_config_static_selectorELNS0_4arch9wavefront6targetE0EEEvSH_
    .private_segment_fixed_size: 0
    .sgpr_count:     0
    .sgpr_spill_count: 0
    .symbol:         _ZN7rocprim17ROCPRIM_400000_NS6detail17trampoline_kernelINS0_14default_configENS1_36segmented_radix_sort_config_selectorIllEEZNS1_25segmented_radix_sort_implIS3_Lb0EPKlPlS8_S9_N2at6native12_GLOBAL__N_18offset_tEEE10hipError_tPvRmT1_PNSt15iterator_traitsISH_E10value_typeET2_T3_PNSI_ISN_E10value_typeET4_jRbjT5_ST_jjP12ihipStream_tbEUlT_E0_NS1_11comp_targetILNS1_3genE2ELNS1_11target_archE906ELNS1_3gpuE6ELNS1_3repE0EEENS1_60segmented_radix_sort_warp_sort_medium_config_static_selectorELNS0_4arch9wavefront6targetE0EEEvSH_.kd
    .uniform_work_group_size: 1
    .uses_dynamic_stack: false
    .vgpr_count:     0
    .vgpr_spill_count: 0
    .wavefront_size: 32
    .workgroup_processor_mode: 1
  - .args:
      - .offset:         0
        .size:           88
        .value_kind:     by_value
    .group_segment_fixed_size: 0
    .kernarg_segment_align: 8
    .kernarg_segment_size: 88
    .language:       OpenCL C
    .language_version:
      - 2
      - 0
    .max_flat_workgroup_size: 256
    .name:           _ZN7rocprim17ROCPRIM_400000_NS6detail17trampoline_kernelINS0_14default_configENS1_36segmented_radix_sort_config_selectorIllEEZNS1_25segmented_radix_sort_implIS3_Lb0EPKlPlS8_S9_N2at6native12_GLOBAL__N_18offset_tEEE10hipError_tPvRmT1_PNSt15iterator_traitsISH_E10value_typeET2_T3_PNSI_ISN_E10value_typeET4_jRbjT5_ST_jjP12ihipStream_tbEUlT_E0_NS1_11comp_targetILNS1_3genE10ELNS1_11target_archE1201ELNS1_3gpuE5ELNS1_3repE0EEENS1_60segmented_radix_sort_warp_sort_medium_config_static_selectorELNS0_4arch9wavefront6targetE0EEEvSH_
    .private_segment_fixed_size: 0
    .sgpr_count:     0
    .sgpr_spill_count: 0
    .symbol:         _ZN7rocprim17ROCPRIM_400000_NS6detail17trampoline_kernelINS0_14default_configENS1_36segmented_radix_sort_config_selectorIllEEZNS1_25segmented_radix_sort_implIS3_Lb0EPKlPlS8_S9_N2at6native12_GLOBAL__N_18offset_tEEE10hipError_tPvRmT1_PNSt15iterator_traitsISH_E10value_typeET2_T3_PNSI_ISN_E10value_typeET4_jRbjT5_ST_jjP12ihipStream_tbEUlT_E0_NS1_11comp_targetILNS1_3genE10ELNS1_11target_archE1201ELNS1_3gpuE5ELNS1_3repE0EEENS1_60segmented_radix_sort_warp_sort_medium_config_static_selectorELNS0_4arch9wavefront6targetE0EEEvSH_.kd
    .uniform_work_group_size: 1
    .uses_dynamic_stack: false
    .vgpr_count:     0
    .vgpr_spill_count: 0
    .wavefront_size: 32
    .workgroup_processor_mode: 1
  - .args:
      - .offset:         0
        .size:           88
        .value_kind:     by_value
    .group_segment_fixed_size: 0
    .kernarg_segment_align: 8
    .kernarg_segment_size: 88
    .language:       OpenCL C
    .language_version:
      - 2
      - 0
    .max_flat_workgroup_size: 256
    .name:           _ZN7rocprim17ROCPRIM_400000_NS6detail17trampoline_kernelINS0_14default_configENS1_36segmented_radix_sort_config_selectorIllEEZNS1_25segmented_radix_sort_implIS3_Lb0EPKlPlS8_S9_N2at6native12_GLOBAL__N_18offset_tEEE10hipError_tPvRmT1_PNSt15iterator_traitsISH_E10value_typeET2_T3_PNSI_ISN_E10value_typeET4_jRbjT5_ST_jjP12ihipStream_tbEUlT_E0_NS1_11comp_targetILNS1_3genE10ELNS1_11target_archE1200ELNS1_3gpuE4ELNS1_3repE0EEENS1_60segmented_radix_sort_warp_sort_medium_config_static_selectorELNS0_4arch9wavefront6targetE0EEEvSH_
    .private_segment_fixed_size: 0
    .sgpr_count:     0
    .sgpr_spill_count: 0
    .symbol:         _ZN7rocprim17ROCPRIM_400000_NS6detail17trampoline_kernelINS0_14default_configENS1_36segmented_radix_sort_config_selectorIllEEZNS1_25segmented_radix_sort_implIS3_Lb0EPKlPlS8_S9_N2at6native12_GLOBAL__N_18offset_tEEE10hipError_tPvRmT1_PNSt15iterator_traitsISH_E10value_typeET2_T3_PNSI_ISN_E10value_typeET4_jRbjT5_ST_jjP12ihipStream_tbEUlT_E0_NS1_11comp_targetILNS1_3genE10ELNS1_11target_archE1200ELNS1_3gpuE4ELNS1_3repE0EEENS1_60segmented_radix_sort_warp_sort_medium_config_static_selectorELNS0_4arch9wavefront6targetE0EEEvSH_.kd
    .uniform_work_group_size: 1
    .uses_dynamic_stack: false
    .vgpr_count:     0
    .vgpr_spill_count: 0
    .wavefront_size: 32
    .workgroup_processor_mode: 1
  - .args:
      - .offset:         0
        .size:           88
        .value_kind:     by_value
    .group_segment_fixed_size: 0
    .kernarg_segment_align: 8
    .kernarg_segment_size: 88
    .language:       OpenCL C
    .language_version:
      - 2
      - 0
    .max_flat_workgroup_size: 256
    .name:           _ZN7rocprim17ROCPRIM_400000_NS6detail17trampoline_kernelINS0_14default_configENS1_36segmented_radix_sort_config_selectorIllEEZNS1_25segmented_radix_sort_implIS3_Lb0EPKlPlS8_S9_N2at6native12_GLOBAL__N_18offset_tEEE10hipError_tPvRmT1_PNSt15iterator_traitsISH_E10value_typeET2_T3_PNSI_ISN_E10value_typeET4_jRbjT5_ST_jjP12ihipStream_tbEUlT_E0_NS1_11comp_targetILNS1_3genE9ELNS1_11target_archE1100ELNS1_3gpuE3ELNS1_3repE0EEENS1_60segmented_radix_sort_warp_sort_medium_config_static_selectorELNS0_4arch9wavefront6targetE0EEEvSH_
    .private_segment_fixed_size: 0
    .sgpr_count:     0
    .sgpr_spill_count: 0
    .symbol:         _ZN7rocprim17ROCPRIM_400000_NS6detail17trampoline_kernelINS0_14default_configENS1_36segmented_radix_sort_config_selectorIllEEZNS1_25segmented_radix_sort_implIS3_Lb0EPKlPlS8_S9_N2at6native12_GLOBAL__N_18offset_tEEE10hipError_tPvRmT1_PNSt15iterator_traitsISH_E10value_typeET2_T3_PNSI_ISN_E10value_typeET4_jRbjT5_ST_jjP12ihipStream_tbEUlT_E0_NS1_11comp_targetILNS1_3genE9ELNS1_11target_archE1100ELNS1_3gpuE3ELNS1_3repE0EEENS1_60segmented_radix_sort_warp_sort_medium_config_static_selectorELNS0_4arch9wavefront6targetE0EEEvSH_.kd
    .uniform_work_group_size: 1
    .uses_dynamic_stack: false
    .vgpr_count:     0
    .vgpr_spill_count: 0
    .wavefront_size: 32
    .workgroup_processor_mode: 1
  - .args:
      - .offset:         0
        .size:           88
        .value_kind:     by_value
      - .offset:         88
        .size:           4
        .value_kind:     hidden_block_count_x
      - .offset:         92
        .size:           4
        .value_kind:     hidden_block_count_y
      - .offset:         96
        .size:           4
        .value_kind:     hidden_block_count_z
      - .offset:         100
        .size:           2
        .value_kind:     hidden_group_size_x
      - .offset:         102
        .size:           2
        .value_kind:     hidden_group_size_y
      - .offset:         104
        .size:           2
        .value_kind:     hidden_group_size_z
      - .offset:         106
        .size:           2
        .value_kind:     hidden_remainder_x
      - .offset:         108
        .size:           2
        .value_kind:     hidden_remainder_y
      - .offset:         110
        .size:           2
        .value_kind:     hidden_remainder_z
      - .offset:         128
        .size:           8
        .value_kind:     hidden_global_offset_x
      - .offset:         136
        .size:           8
        .value_kind:     hidden_global_offset_y
      - .offset:         144
        .size:           8
        .value_kind:     hidden_global_offset_z
      - .offset:         152
        .size:           2
        .value_kind:     hidden_grid_dims
    .group_segment_fixed_size: 65536
    .kernarg_segment_align: 8
    .kernarg_segment_size: 344
    .language:       OpenCL C
    .language_version:
      - 2
      - 0
    .max_flat_workgroup_size: 256
    .name:           _ZN7rocprim17ROCPRIM_400000_NS6detail17trampoline_kernelINS0_14default_configENS1_36segmented_radix_sort_config_selectorIllEEZNS1_25segmented_radix_sort_implIS3_Lb0EPKlPlS8_S9_N2at6native12_GLOBAL__N_18offset_tEEE10hipError_tPvRmT1_PNSt15iterator_traitsISH_E10value_typeET2_T3_PNSI_ISN_E10value_typeET4_jRbjT5_ST_jjP12ihipStream_tbEUlT_E0_NS1_11comp_targetILNS1_3genE8ELNS1_11target_archE1030ELNS1_3gpuE2ELNS1_3repE0EEENS1_60segmented_radix_sort_warp_sort_medium_config_static_selectorELNS0_4arch9wavefront6targetE0EEEvSH_
    .private_segment_fixed_size: 0
    .sgpr_count:     62
    .sgpr_spill_count: 0
    .symbol:         _ZN7rocprim17ROCPRIM_400000_NS6detail17trampoline_kernelINS0_14default_configENS1_36segmented_radix_sort_config_selectorIllEEZNS1_25segmented_radix_sort_implIS3_Lb0EPKlPlS8_S9_N2at6native12_GLOBAL__N_18offset_tEEE10hipError_tPvRmT1_PNSt15iterator_traitsISH_E10value_typeET2_T3_PNSI_ISN_E10value_typeET4_jRbjT5_ST_jjP12ihipStream_tbEUlT_E0_NS1_11comp_targetILNS1_3genE8ELNS1_11target_archE1030ELNS1_3gpuE2ELNS1_3repE0EEENS1_60segmented_radix_sort_warp_sort_medium_config_static_selectorELNS0_4arch9wavefront6targetE0EEEvSH_.kd
    .uniform_work_group_size: 1
    .uses_dynamic_stack: false
    .vgpr_count:     193
    .vgpr_spill_count: 0
    .wavefront_size: 32
    .workgroup_processor_mode: 1
  - .args:
      - .offset:         0
        .size:           88
        .value_kind:     by_value
    .group_segment_fixed_size: 0
    .kernarg_segment_align: 8
    .kernarg_segment_size: 88
    .language:       OpenCL C
    .language_version:
      - 2
      - 0
    .max_flat_workgroup_size: 256
    .name:           _ZN7rocprim17ROCPRIM_400000_NS6detail17trampoline_kernelINS0_14default_configENS1_36segmented_radix_sort_config_selectorIllEEZNS1_25segmented_radix_sort_implIS3_Lb0EPKlPlS8_S9_N2at6native12_GLOBAL__N_18offset_tEEE10hipError_tPvRmT1_PNSt15iterator_traitsISH_E10value_typeET2_T3_PNSI_ISN_E10value_typeET4_jRbjT5_ST_jjP12ihipStream_tbEUlT_E1_NS1_11comp_targetILNS1_3genE0ELNS1_11target_archE4294967295ELNS1_3gpuE0ELNS1_3repE0EEENS1_59segmented_radix_sort_warp_sort_small_config_static_selectorELNS0_4arch9wavefront6targetE0EEEvSH_
    .private_segment_fixed_size: 0
    .sgpr_count:     0
    .sgpr_spill_count: 0
    .symbol:         _ZN7rocprim17ROCPRIM_400000_NS6detail17trampoline_kernelINS0_14default_configENS1_36segmented_radix_sort_config_selectorIllEEZNS1_25segmented_radix_sort_implIS3_Lb0EPKlPlS8_S9_N2at6native12_GLOBAL__N_18offset_tEEE10hipError_tPvRmT1_PNSt15iterator_traitsISH_E10value_typeET2_T3_PNSI_ISN_E10value_typeET4_jRbjT5_ST_jjP12ihipStream_tbEUlT_E1_NS1_11comp_targetILNS1_3genE0ELNS1_11target_archE4294967295ELNS1_3gpuE0ELNS1_3repE0EEENS1_59segmented_radix_sort_warp_sort_small_config_static_selectorELNS0_4arch9wavefront6targetE0EEEvSH_.kd
    .uniform_work_group_size: 1
    .uses_dynamic_stack: false
    .vgpr_count:     0
    .vgpr_spill_count: 0
    .wavefront_size: 32
    .workgroup_processor_mode: 1
  - .args:
      - .offset:         0
        .size:           88
        .value_kind:     by_value
    .group_segment_fixed_size: 0
    .kernarg_segment_align: 8
    .kernarg_segment_size: 88
    .language:       OpenCL C
    .language_version:
      - 2
      - 0
    .max_flat_workgroup_size: 256
    .name:           _ZN7rocprim17ROCPRIM_400000_NS6detail17trampoline_kernelINS0_14default_configENS1_36segmented_radix_sort_config_selectorIllEEZNS1_25segmented_radix_sort_implIS3_Lb0EPKlPlS8_S9_N2at6native12_GLOBAL__N_18offset_tEEE10hipError_tPvRmT1_PNSt15iterator_traitsISH_E10value_typeET2_T3_PNSI_ISN_E10value_typeET4_jRbjT5_ST_jjP12ihipStream_tbEUlT_E1_NS1_11comp_targetILNS1_3genE5ELNS1_11target_archE942ELNS1_3gpuE9ELNS1_3repE0EEENS1_59segmented_radix_sort_warp_sort_small_config_static_selectorELNS0_4arch9wavefront6targetE0EEEvSH_
    .private_segment_fixed_size: 0
    .sgpr_count:     0
    .sgpr_spill_count: 0
    .symbol:         _ZN7rocprim17ROCPRIM_400000_NS6detail17trampoline_kernelINS0_14default_configENS1_36segmented_radix_sort_config_selectorIllEEZNS1_25segmented_radix_sort_implIS3_Lb0EPKlPlS8_S9_N2at6native12_GLOBAL__N_18offset_tEEE10hipError_tPvRmT1_PNSt15iterator_traitsISH_E10value_typeET2_T3_PNSI_ISN_E10value_typeET4_jRbjT5_ST_jjP12ihipStream_tbEUlT_E1_NS1_11comp_targetILNS1_3genE5ELNS1_11target_archE942ELNS1_3gpuE9ELNS1_3repE0EEENS1_59segmented_radix_sort_warp_sort_small_config_static_selectorELNS0_4arch9wavefront6targetE0EEEvSH_.kd
    .uniform_work_group_size: 1
    .uses_dynamic_stack: false
    .vgpr_count:     0
    .vgpr_spill_count: 0
    .wavefront_size: 32
    .workgroup_processor_mode: 1
  - .args:
      - .offset:         0
        .size:           88
        .value_kind:     by_value
    .group_segment_fixed_size: 0
    .kernarg_segment_align: 8
    .kernarg_segment_size: 88
    .language:       OpenCL C
    .language_version:
      - 2
      - 0
    .max_flat_workgroup_size: 256
    .name:           _ZN7rocprim17ROCPRIM_400000_NS6detail17trampoline_kernelINS0_14default_configENS1_36segmented_radix_sort_config_selectorIllEEZNS1_25segmented_radix_sort_implIS3_Lb0EPKlPlS8_S9_N2at6native12_GLOBAL__N_18offset_tEEE10hipError_tPvRmT1_PNSt15iterator_traitsISH_E10value_typeET2_T3_PNSI_ISN_E10value_typeET4_jRbjT5_ST_jjP12ihipStream_tbEUlT_E1_NS1_11comp_targetILNS1_3genE4ELNS1_11target_archE910ELNS1_3gpuE8ELNS1_3repE0EEENS1_59segmented_radix_sort_warp_sort_small_config_static_selectorELNS0_4arch9wavefront6targetE0EEEvSH_
    .private_segment_fixed_size: 0
    .sgpr_count:     0
    .sgpr_spill_count: 0
    .symbol:         _ZN7rocprim17ROCPRIM_400000_NS6detail17trampoline_kernelINS0_14default_configENS1_36segmented_radix_sort_config_selectorIllEEZNS1_25segmented_radix_sort_implIS3_Lb0EPKlPlS8_S9_N2at6native12_GLOBAL__N_18offset_tEEE10hipError_tPvRmT1_PNSt15iterator_traitsISH_E10value_typeET2_T3_PNSI_ISN_E10value_typeET4_jRbjT5_ST_jjP12ihipStream_tbEUlT_E1_NS1_11comp_targetILNS1_3genE4ELNS1_11target_archE910ELNS1_3gpuE8ELNS1_3repE0EEENS1_59segmented_radix_sort_warp_sort_small_config_static_selectorELNS0_4arch9wavefront6targetE0EEEvSH_.kd
    .uniform_work_group_size: 1
    .uses_dynamic_stack: false
    .vgpr_count:     0
    .vgpr_spill_count: 0
    .wavefront_size: 32
    .workgroup_processor_mode: 1
  - .args:
      - .offset:         0
        .size:           88
        .value_kind:     by_value
    .group_segment_fixed_size: 0
    .kernarg_segment_align: 8
    .kernarg_segment_size: 88
    .language:       OpenCL C
    .language_version:
      - 2
      - 0
    .max_flat_workgroup_size: 256
    .name:           _ZN7rocprim17ROCPRIM_400000_NS6detail17trampoline_kernelINS0_14default_configENS1_36segmented_radix_sort_config_selectorIllEEZNS1_25segmented_radix_sort_implIS3_Lb0EPKlPlS8_S9_N2at6native12_GLOBAL__N_18offset_tEEE10hipError_tPvRmT1_PNSt15iterator_traitsISH_E10value_typeET2_T3_PNSI_ISN_E10value_typeET4_jRbjT5_ST_jjP12ihipStream_tbEUlT_E1_NS1_11comp_targetILNS1_3genE3ELNS1_11target_archE908ELNS1_3gpuE7ELNS1_3repE0EEENS1_59segmented_radix_sort_warp_sort_small_config_static_selectorELNS0_4arch9wavefront6targetE0EEEvSH_
    .private_segment_fixed_size: 0
    .sgpr_count:     0
    .sgpr_spill_count: 0
    .symbol:         _ZN7rocprim17ROCPRIM_400000_NS6detail17trampoline_kernelINS0_14default_configENS1_36segmented_radix_sort_config_selectorIllEEZNS1_25segmented_radix_sort_implIS3_Lb0EPKlPlS8_S9_N2at6native12_GLOBAL__N_18offset_tEEE10hipError_tPvRmT1_PNSt15iterator_traitsISH_E10value_typeET2_T3_PNSI_ISN_E10value_typeET4_jRbjT5_ST_jjP12ihipStream_tbEUlT_E1_NS1_11comp_targetILNS1_3genE3ELNS1_11target_archE908ELNS1_3gpuE7ELNS1_3repE0EEENS1_59segmented_radix_sort_warp_sort_small_config_static_selectorELNS0_4arch9wavefront6targetE0EEEvSH_.kd
    .uniform_work_group_size: 1
    .uses_dynamic_stack: false
    .vgpr_count:     0
    .vgpr_spill_count: 0
    .wavefront_size: 32
    .workgroup_processor_mode: 1
  - .args:
      - .offset:         0
        .size:           88
        .value_kind:     by_value
    .group_segment_fixed_size: 0
    .kernarg_segment_align: 8
    .kernarg_segment_size: 88
    .language:       OpenCL C
    .language_version:
      - 2
      - 0
    .max_flat_workgroup_size: 256
    .name:           _ZN7rocprim17ROCPRIM_400000_NS6detail17trampoline_kernelINS0_14default_configENS1_36segmented_radix_sort_config_selectorIllEEZNS1_25segmented_radix_sort_implIS3_Lb0EPKlPlS8_S9_N2at6native12_GLOBAL__N_18offset_tEEE10hipError_tPvRmT1_PNSt15iterator_traitsISH_E10value_typeET2_T3_PNSI_ISN_E10value_typeET4_jRbjT5_ST_jjP12ihipStream_tbEUlT_E1_NS1_11comp_targetILNS1_3genE2ELNS1_11target_archE906ELNS1_3gpuE6ELNS1_3repE0EEENS1_59segmented_radix_sort_warp_sort_small_config_static_selectorELNS0_4arch9wavefront6targetE0EEEvSH_
    .private_segment_fixed_size: 0
    .sgpr_count:     0
    .sgpr_spill_count: 0
    .symbol:         _ZN7rocprim17ROCPRIM_400000_NS6detail17trampoline_kernelINS0_14default_configENS1_36segmented_radix_sort_config_selectorIllEEZNS1_25segmented_radix_sort_implIS3_Lb0EPKlPlS8_S9_N2at6native12_GLOBAL__N_18offset_tEEE10hipError_tPvRmT1_PNSt15iterator_traitsISH_E10value_typeET2_T3_PNSI_ISN_E10value_typeET4_jRbjT5_ST_jjP12ihipStream_tbEUlT_E1_NS1_11comp_targetILNS1_3genE2ELNS1_11target_archE906ELNS1_3gpuE6ELNS1_3repE0EEENS1_59segmented_radix_sort_warp_sort_small_config_static_selectorELNS0_4arch9wavefront6targetE0EEEvSH_.kd
    .uniform_work_group_size: 1
    .uses_dynamic_stack: false
    .vgpr_count:     0
    .vgpr_spill_count: 0
    .wavefront_size: 32
    .workgroup_processor_mode: 1
  - .args:
      - .offset:         0
        .size:           88
        .value_kind:     by_value
    .group_segment_fixed_size: 0
    .kernarg_segment_align: 8
    .kernarg_segment_size: 88
    .language:       OpenCL C
    .language_version:
      - 2
      - 0
    .max_flat_workgroup_size: 256
    .name:           _ZN7rocprim17ROCPRIM_400000_NS6detail17trampoline_kernelINS0_14default_configENS1_36segmented_radix_sort_config_selectorIllEEZNS1_25segmented_radix_sort_implIS3_Lb0EPKlPlS8_S9_N2at6native12_GLOBAL__N_18offset_tEEE10hipError_tPvRmT1_PNSt15iterator_traitsISH_E10value_typeET2_T3_PNSI_ISN_E10value_typeET4_jRbjT5_ST_jjP12ihipStream_tbEUlT_E1_NS1_11comp_targetILNS1_3genE10ELNS1_11target_archE1201ELNS1_3gpuE5ELNS1_3repE0EEENS1_59segmented_radix_sort_warp_sort_small_config_static_selectorELNS0_4arch9wavefront6targetE0EEEvSH_
    .private_segment_fixed_size: 0
    .sgpr_count:     0
    .sgpr_spill_count: 0
    .symbol:         _ZN7rocprim17ROCPRIM_400000_NS6detail17trampoline_kernelINS0_14default_configENS1_36segmented_radix_sort_config_selectorIllEEZNS1_25segmented_radix_sort_implIS3_Lb0EPKlPlS8_S9_N2at6native12_GLOBAL__N_18offset_tEEE10hipError_tPvRmT1_PNSt15iterator_traitsISH_E10value_typeET2_T3_PNSI_ISN_E10value_typeET4_jRbjT5_ST_jjP12ihipStream_tbEUlT_E1_NS1_11comp_targetILNS1_3genE10ELNS1_11target_archE1201ELNS1_3gpuE5ELNS1_3repE0EEENS1_59segmented_radix_sort_warp_sort_small_config_static_selectorELNS0_4arch9wavefront6targetE0EEEvSH_.kd
    .uniform_work_group_size: 1
    .uses_dynamic_stack: false
    .vgpr_count:     0
    .vgpr_spill_count: 0
    .wavefront_size: 32
    .workgroup_processor_mode: 1
  - .args:
      - .offset:         0
        .size:           88
        .value_kind:     by_value
    .group_segment_fixed_size: 0
    .kernarg_segment_align: 8
    .kernarg_segment_size: 88
    .language:       OpenCL C
    .language_version:
      - 2
      - 0
    .max_flat_workgroup_size: 256
    .name:           _ZN7rocprim17ROCPRIM_400000_NS6detail17trampoline_kernelINS0_14default_configENS1_36segmented_radix_sort_config_selectorIllEEZNS1_25segmented_radix_sort_implIS3_Lb0EPKlPlS8_S9_N2at6native12_GLOBAL__N_18offset_tEEE10hipError_tPvRmT1_PNSt15iterator_traitsISH_E10value_typeET2_T3_PNSI_ISN_E10value_typeET4_jRbjT5_ST_jjP12ihipStream_tbEUlT_E1_NS1_11comp_targetILNS1_3genE10ELNS1_11target_archE1200ELNS1_3gpuE4ELNS1_3repE0EEENS1_59segmented_radix_sort_warp_sort_small_config_static_selectorELNS0_4arch9wavefront6targetE0EEEvSH_
    .private_segment_fixed_size: 0
    .sgpr_count:     0
    .sgpr_spill_count: 0
    .symbol:         _ZN7rocprim17ROCPRIM_400000_NS6detail17trampoline_kernelINS0_14default_configENS1_36segmented_radix_sort_config_selectorIllEEZNS1_25segmented_radix_sort_implIS3_Lb0EPKlPlS8_S9_N2at6native12_GLOBAL__N_18offset_tEEE10hipError_tPvRmT1_PNSt15iterator_traitsISH_E10value_typeET2_T3_PNSI_ISN_E10value_typeET4_jRbjT5_ST_jjP12ihipStream_tbEUlT_E1_NS1_11comp_targetILNS1_3genE10ELNS1_11target_archE1200ELNS1_3gpuE4ELNS1_3repE0EEENS1_59segmented_radix_sort_warp_sort_small_config_static_selectorELNS0_4arch9wavefront6targetE0EEEvSH_.kd
    .uniform_work_group_size: 1
    .uses_dynamic_stack: false
    .vgpr_count:     0
    .vgpr_spill_count: 0
    .wavefront_size: 32
    .workgroup_processor_mode: 1
  - .args:
      - .offset:         0
        .size:           88
        .value_kind:     by_value
    .group_segment_fixed_size: 0
    .kernarg_segment_align: 8
    .kernarg_segment_size: 88
    .language:       OpenCL C
    .language_version:
      - 2
      - 0
    .max_flat_workgroup_size: 256
    .name:           _ZN7rocprim17ROCPRIM_400000_NS6detail17trampoline_kernelINS0_14default_configENS1_36segmented_radix_sort_config_selectorIllEEZNS1_25segmented_radix_sort_implIS3_Lb0EPKlPlS8_S9_N2at6native12_GLOBAL__N_18offset_tEEE10hipError_tPvRmT1_PNSt15iterator_traitsISH_E10value_typeET2_T3_PNSI_ISN_E10value_typeET4_jRbjT5_ST_jjP12ihipStream_tbEUlT_E1_NS1_11comp_targetILNS1_3genE9ELNS1_11target_archE1100ELNS1_3gpuE3ELNS1_3repE0EEENS1_59segmented_radix_sort_warp_sort_small_config_static_selectorELNS0_4arch9wavefront6targetE0EEEvSH_
    .private_segment_fixed_size: 0
    .sgpr_count:     0
    .sgpr_spill_count: 0
    .symbol:         _ZN7rocprim17ROCPRIM_400000_NS6detail17trampoline_kernelINS0_14default_configENS1_36segmented_radix_sort_config_selectorIllEEZNS1_25segmented_radix_sort_implIS3_Lb0EPKlPlS8_S9_N2at6native12_GLOBAL__N_18offset_tEEE10hipError_tPvRmT1_PNSt15iterator_traitsISH_E10value_typeET2_T3_PNSI_ISN_E10value_typeET4_jRbjT5_ST_jjP12ihipStream_tbEUlT_E1_NS1_11comp_targetILNS1_3genE9ELNS1_11target_archE1100ELNS1_3gpuE3ELNS1_3repE0EEENS1_59segmented_radix_sort_warp_sort_small_config_static_selectorELNS0_4arch9wavefront6targetE0EEEvSH_.kd
    .uniform_work_group_size: 1
    .uses_dynamic_stack: false
    .vgpr_count:     0
    .vgpr_spill_count: 0
    .wavefront_size: 32
    .workgroup_processor_mode: 1
  - .args:
      - .offset:         0
        .size:           88
        .value_kind:     by_value
      - .offset:         88
        .size:           4
        .value_kind:     hidden_block_count_x
      - .offset:         92
        .size:           4
        .value_kind:     hidden_block_count_y
      - .offset:         96
        .size:           4
        .value_kind:     hidden_block_count_z
      - .offset:         100
        .size:           2
        .value_kind:     hidden_group_size_x
      - .offset:         102
        .size:           2
        .value_kind:     hidden_group_size_y
      - .offset:         104
        .size:           2
        .value_kind:     hidden_group_size_z
      - .offset:         106
        .size:           2
        .value_kind:     hidden_remainder_x
      - .offset:         108
        .size:           2
        .value_kind:     hidden_remainder_y
      - .offset:         110
        .size:           2
        .value_kind:     hidden_remainder_z
      - .offset:         128
        .size:           8
        .value_kind:     hidden_global_offset_x
      - .offset:         136
        .size:           8
        .value_kind:     hidden_global_offset_y
      - .offset:         144
        .size:           8
        .value_kind:     hidden_global_offset_z
      - .offset:         152
        .size:           2
        .value_kind:     hidden_grid_dims
    .group_segment_fixed_size: 32768
    .kernarg_segment_align: 8
    .kernarg_segment_size: 344
    .language:       OpenCL C
    .language_version:
      - 2
      - 0
    .max_flat_workgroup_size: 256
    .name:           _ZN7rocprim17ROCPRIM_400000_NS6detail17trampoline_kernelINS0_14default_configENS1_36segmented_radix_sort_config_selectorIllEEZNS1_25segmented_radix_sort_implIS3_Lb0EPKlPlS8_S9_N2at6native12_GLOBAL__N_18offset_tEEE10hipError_tPvRmT1_PNSt15iterator_traitsISH_E10value_typeET2_T3_PNSI_ISN_E10value_typeET4_jRbjT5_ST_jjP12ihipStream_tbEUlT_E1_NS1_11comp_targetILNS1_3genE8ELNS1_11target_archE1030ELNS1_3gpuE2ELNS1_3repE0EEENS1_59segmented_radix_sort_warp_sort_small_config_static_selectorELNS0_4arch9wavefront6targetE0EEEvSH_
    .private_segment_fixed_size: 0
    .sgpr_count:     50
    .sgpr_spill_count: 0
    .symbol:         _ZN7rocprim17ROCPRIM_400000_NS6detail17trampoline_kernelINS0_14default_configENS1_36segmented_radix_sort_config_selectorIllEEZNS1_25segmented_radix_sort_implIS3_Lb0EPKlPlS8_S9_N2at6native12_GLOBAL__N_18offset_tEEE10hipError_tPvRmT1_PNSt15iterator_traitsISH_E10value_typeET2_T3_PNSI_ISN_E10value_typeET4_jRbjT5_ST_jjP12ihipStream_tbEUlT_E1_NS1_11comp_targetILNS1_3genE8ELNS1_11target_archE1030ELNS1_3gpuE2ELNS1_3repE0EEENS1_59segmented_radix_sort_warp_sort_small_config_static_selectorELNS0_4arch9wavefront6targetE0EEEvSH_.kd
    .uniform_work_group_size: 1
    .uses_dynamic_stack: false
    .vgpr_count:     130
    .vgpr_spill_count: 0
    .wavefront_size: 32
    .workgroup_processor_mode: 1
  - .args:
      - .offset:         0
        .size:           80
        .value_kind:     by_value
    .group_segment_fixed_size: 0
    .kernarg_segment_align: 8
    .kernarg_segment_size: 80
    .language:       OpenCL C
    .language_version:
      - 2
      - 0
    .max_flat_workgroup_size: 256
    .name:           _ZN7rocprim17ROCPRIM_400000_NS6detail17trampoline_kernelINS0_14default_configENS1_36segmented_radix_sort_config_selectorIllEEZNS1_25segmented_radix_sort_implIS3_Lb0EPKlPlS8_S9_N2at6native12_GLOBAL__N_18offset_tEEE10hipError_tPvRmT1_PNSt15iterator_traitsISH_E10value_typeET2_T3_PNSI_ISN_E10value_typeET4_jRbjT5_ST_jjP12ihipStream_tbEUlT_E2_NS1_11comp_targetILNS1_3genE0ELNS1_11target_archE4294967295ELNS1_3gpuE0ELNS1_3repE0EEENS1_30default_config_static_selectorELNS0_4arch9wavefront6targetE0EEEvSH_
    .private_segment_fixed_size: 0
    .sgpr_count:     0
    .sgpr_spill_count: 0
    .symbol:         _ZN7rocprim17ROCPRIM_400000_NS6detail17trampoline_kernelINS0_14default_configENS1_36segmented_radix_sort_config_selectorIllEEZNS1_25segmented_radix_sort_implIS3_Lb0EPKlPlS8_S9_N2at6native12_GLOBAL__N_18offset_tEEE10hipError_tPvRmT1_PNSt15iterator_traitsISH_E10value_typeET2_T3_PNSI_ISN_E10value_typeET4_jRbjT5_ST_jjP12ihipStream_tbEUlT_E2_NS1_11comp_targetILNS1_3genE0ELNS1_11target_archE4294967295ELNS1_3gpuE0ELNS1_3repE0EEENS1_30default_config_static_selectorELNS0_4arch9wavefront6targetE0EEEvSH_.kd
    .uniform_work_group_size: 1
    .uses_dynamic_stack: false
    .vgpr_count:     0
    .vgpr_spill_count: 0
    .wavefront_size: 32
    .workgroup_processor_mode: 1
  - .args:
      - .offset:         0
        .size:           80
        .value_kind:     by_value
    .group_segment_fixed_size: 0
    .kernarg_segment_align: 8
    .kernarg_segment_size: 80
    .language:       OpenCL C
    .language_version:
      - 2
      - 0
    .max_flat_workgroup_size: 256
    .name:           _ZN7rocprim17ROCPRIM_400000_NS6detail17trampoline_kernelINS0_14default_configENS1_36segmented_radix_sort_config_selectorIllEEZNS1_25segmented_radix_sort_implIS3_Lb0EPKlPlS8_S9_N2at6native12_GLOBAL__N_18offset_tEEE10hipError_tPvRmT1_PNSt15iterator_traitsISH_E10value_typeET2_T3_PNSI_ISN_E10value_typeET4_jRbjT5_ST_jjP12ihipStream_tbEUlT_E2_NS1_11comp_targetILNS1_3genE5ELNS1_11target_archE942ELNS1_3gpuE9ELNS1_3repE0EEENS1_30default_config_static_selectorELNS0_4arch9wavefront6targetE0EEEvSH_
    .private_segment_fixed_size: 0
    .sgpr_count:     0
    .sgpr_spill_count: 0
    .symbol:         _ZN7rocprim17ROCPRIM_400000_NS6detail17trampoline_kernelINS0_14default_configENS1_36segmented_radix_sort_config_selectorIllEEZNS1_25segmented_radix_sort_implIS3_Lb0EPKlPlS8_S9_N2at6native12_GLOBAL__N_18offset_tEEE10hipError_tPvRmT1_PNSt15iterator_traitsISH_E10value_typeET2_T3_PNSI_ISN_E10value_typeET4_jRbjT5_ST_jjP12ihipStream_tbEUlT_E2_NS1_11comp_targetILNS1_3genE5ELNS1_11target_archE942ELNS1_3gpuE9ELNS1_3repE0EEENS1_30default_config_static_selectorELNS0_4arch9wavefront6targetE0EEEvSH_.kd
    .uniform_work_group_size: 1
    .uses_dynamic_stack: false
    .vgpr_count:     0
    .vgpr_spill_count: 0
    .wavefront_size: 32
    .workgroup_processor_mode: 1
  - .args:
      - .offset:         0
        .size:           80
        .value_kind:     by_value
    .group_segment_fixed_size: 0
    .kernarg_segment_align: 8
    .kernarg_segment_size: 80
    .language:       OpenCL C
    .language_version:
      - 2
      - 0
    .max_flat_workgroup_size: 256
    .name:           _ZN7rocprim17ROCPRIM_400000_NS6detail17trampoline_kernelINS0_14default_configENS1_36segmented_radix_sort_config_selectorIllEEZNS1_25segmented_radix_sort_implIS3_Lb0EPKlPlS8_S9_N2at6native12_GLOBAL__N_18offset_tEEE10hipError_tPvRmT1_PNSt15iterator_traitsISH_E10value_typeET2_T3_PNSI_ISN_E10value_typeET4_jRbjT5_ST_jjP12ihipStream_tbEUlT_E2_NS1_11comp_targetILNS1_3genE4ELNS1_11target_archE910ELNS1_3gpuE8ELNS1_3repE0EEENS1_30default_config_static_selectorELNS0_4arch9wavefront6targetE0EEEvSH_
    .private_segment_fixed_size: 0
    .sgpr_count:     0
    .sgpr_spill_count: 0
    .symbol:         _ZN7rocprim17ROCPRIM_400000_NS6detail17trampoline_kernelINS0_14default_configENS1_36segmented_radix_sort_config_selectorIllEEZNS1_25segmented_radix_sort_implIS3_Lb0EPKlPlS8_S9_N2at6native12_GLOBAL__N_18offset_tEEE10hipError_tPvRmT1_PNSt15iterator_traitsISH_E10value_typeET2_T3_PNSI_ISN_E10value_typeET4_jRbjT5_ST_jjP12ihipStream_tbEUlT_E2_NS1_11comp_targetILNS1_3genE4ELNS1_11target_archE910ELNS1_3gpuE8ELNS1_3repE0EEENS1_30default_config_static_selectorELNS0_4arch9wavefront6targetE0EEEvSH_.kd
    .uniform_work_group_size: 1
    .uses_dynamic_stack: false
    .vgpr_count:     0
    .vgpr_spill_count: 0
    .wavefront_size: 32
    .workgroup_processor_mode: 1
  - .args:
      - .offset:         0
        .size:           80
        .value_kind:     by_value
    .group_segment_fixed_size: 0
    .kernarg_segment_align: 8
    .kernarg_segment_size: 80
    .language:       OpenCL C
    .language_version:
      - 2
      - 0
    .max_flat_workgroup_size: 256
    .name:           _ZN7rocprim17ROCPRIM_400000_NS6detail17trampoline_kernelINS0_14default_configENS1_36segmented_radix_sort_config_selectorIllEEZNS1_25segmented_radix_sort_implIS3_Lb0EPKlPlS8_S9_N2at6native12_GLOBAL__N_18offset_tEEE10hipError_tPvRmT1_PNSt15iterator_traitsISH_E10value_typeET2_T3_PNSI_ISN_E10value_typeET4_jRbjT5_ST_jjP12ihipStream_tbEUlT_E2_NS1_11comp_targetILNS1_3genE3ELNS1_11target_archE908ELNS1_3gpuE7ELNS1_3repE0EEENS1_30default_config_static_selectorELNS0_4arch9wavefront6targetE0EEEvSH_
    .private_segment_fixed_size: 0
    .sgpr_count:     0
    .sgpr_spill_count: 0
    .symbol:         _ZN7rocprim17ROCPRIM_400000_NS6detail17trampoline_kernelINS0_14default_configENS1_36segmented_radix_sort_config_selectorIllEEZNS1_25segmented_radix_sort_implIS3_Lb0EPKlPlS8_S9_N2at6native12_GLOBAL__N_18offset_tEEE10hipError_tPvRmT1_PNSt15iterator_traitsISH_E10value_typeET2_T3_PNSI_ISN_E10value_typeET4_jRbjT5_ST_jjP12ihipStream_tbEUlT_E2_NS1_11comp_targetILNS1_3genE3ELNS1_11target_archE908ELNS1_3gpuE7ELNS1_3repE0EEENS1_30default_config_static_selectorELNS0_4arch9wavefront6targetE0EEEvSH_.kd
    .uniform_work_group_size: 1
    .uses_dynamic_stack: false
    .vgpr_count:     0
    .vgpr_spill_count: 0
    .wavefront_size: 32
    .workgroup_processor_mode: 1
  - .args:
      - .offset:         0
        .size:           80
        .value_kind:     by_value
    .group_segment_fixed_size: 0
    .kernarg_segment_align: 8
    .kernarg_segment_size: 80
    .language:       OpenCL C
    .language_version:
      - 2
      - 0
    .max_flat_workgroup_size: 256
    .name:           _ZN7rocprim17ROCPRIM_400000_NS6detail17trampoline_kernelINS0_14default_configENS1_36segmented_radix_sort_config_selectorIllEEZNS1_25segmented_radix_sort_implIS3_Lb0EPKlPlS8_S9_N2at6native12_GLOBAL__N_18offset_tEEE10hipError_tPvRmT1_PNSt15iterator_traitsISH_E10value_typeET2_T3_PNSI_ISN_E10value_typeET4_jRbjT5_ST_jjP12ihipStream_tbEUlT_E2_NS1_11comp_targetILNS1_3genE2ELNS1_11target_archE906ELNS1_3gpuE6ELNS1_3repE0EEENS1_30default_config_static_selectorELNS0_4arch9wavefront6targetE0EEEvSH_
    .private_segment_fixed_size: 0
    .sgpr_count:     0
    .sgpr_spill_count: 0
    .symbol:         _ZN7rocprim17ROCPRIM_400000_NS6detail17trampoline_kernelINS0_14default_configENS1_36segmented_radix_sort_config_selectorIllEEZNS1_25segmented_radix_sort_implIS3_Lb0EPKlPlS8_S9_N2at6native12_GLOBAL__N_18offset_tEEE10hipError_tPvRmT1_PNSt15iterator_traitsISH_E10value_typeET2_T3_PNSI_ISN_E10value_typeET4_jRbjT5_ST_jjP12ihipStream_tbEUlT_E2_NS1_11comp_targetILNS1_3genE2ELNS1_11target_archE906ELNS1_3gpuE6ELNS1_3repE0EEENS1_30default_config_static_selectorELNS0_4arch9wavefront6targetE0EEEvSH_.kd
    .uniform_work_group_size: 1
    .uses_dynamic_stack: false
    .vgpr_count:     0
    .vgpr_spill_count: 0
    .wavefront_size: 32
    .workgroup_processor_mode: 1
  - .args:
      - .offset:         0
        .size:           80
        .value_kind:     by_value
    .group_segment_fixed_size: 0
    .kernarg_segment_align: 8
    .kernarg_segment_size: 80
    .language:       OpenCL C
    .language_version:
      - 2
      - 0
    .max_flat_workgroup_size: 256
    .name:           _ZN7rocprim17ROCPRIM_400000_NS6detail17trampoline_kernelINS0_14default_configENS1_36segmented_radix_sort_config_selectorIllEEZNS1_25segmented_radix_sort_implIS3_Lb0EPKlPlS8_S9_N2at6native12_GLOBAL__N_18offset_tEEE10hipError_tPvRmT1_PNSt15iterator_traitsISH_E10value_typeET2_T3_PNSI_ISN_E10value_typeET4_jRbjT5_ST_jjP12ihipStream_tbEUlT_E2_NS1_11comp_targetILNS1_3genE10ELNS1_11target_archE1201ELNS1_3gpuE5ELNS1_3repE0EEENS1_30default_config_static_selectorELNS0_4arch9wavefront6targetE0EEEvSH_
    .private_segment_fixed_size: 0
    .sgpr_count:     0
    .sgpr_spill_count: 0
    .symbol:         _ZN7rocprim17ROCPRIM_400000_NS6detail17trampoline_kernelINS0_14default_configENS1_36segmented_radix_sort_config_selectorIllEEZNS1_25segmented_radix_sort_implIS3_Lb0EPKlPlS8_S9_N2at6native12_GLOBAL__N_18offset_tEEE10hipError_tPvRmT1_PNSt15iterator_traitsISH_E10value_typeET2_T3_PNSI_ISN_E10value_typeET4_jRbjT5_ST_jjP12ihipStream_tbEUlT_E2_NS1_11comp_targetILNS1_3genE10ELNS1_11target_archE1201ELNS1_3gpuE5ELNS1_3repE0EEENS1_30default_config_static_selectorELNS0_4arch9wavefront6targetE0EEEvSH_.kd
    .uniform_work_group_size: 1
    .uses_dynamic_stack: false
    .vgpr_count:     0
    .vgpr_spill_count: 0
    .wavefront_size: 32
    .workgroup_processor_mode: 1
  - .args:
      - .offset:         0
        .size:           80
        .value_kind:     by_value
    .group_segment_fixed_size: 0
    .kernarg_segment_align: 8
    .kernarg_segment_size: 80
    .language:       OpenCL C
    .language_version:
      - 2
      - 0
    .max_flat_workgroup_size: 128
    .name:           _ZN7rocprim17ROCPRIM_400000_NS6detail17trampoline_kernelINS0_14default_configENS1_36segmented_radix_sort_config_selectorIllEEZNS1_25segmented_radix_sort_implIS3_Lb0EPKlPlS8_S9_N2at6native12_GLOBAL__N_18offset_tEEE10hipError_tPvRmT1_PNSt15iterator_traitsISH_E10value_typeET2_T3_PNSI_ISN_E10value_typeET4_jRbjT5_ST_jjP12ihipStream_tbEUlT_E2_NS1_11comp_targetILNS1_3genE10ELNS1_11target_archE1200ELNS1_3gpuE4ELNS1_3repE0EEENS1_30default_config_static_selectorELNS0_4arch9wavefront6targetE0EEEvSH_
    .private_segment_fixed_size: 0
    .sgpr_count:     0
    .sgpr_spill_count: 0
    .symbol:         _ZN7rocprim17ROCPRIM_400000_NS6detail17trampoline_kernelINS0_14default_configENS1_36segmented_radix_sort_config_selectorIllEEZNS1_25segmented_radix_sort_implIS3_Lb0EPKlPlS8_S9_N2at6native12_GLOBAL__N_18offset_tEEE10hipError_tPvRmT1_PNSt15iterator_traitsISH_E10value_typeET2_T3_PNSI_ISN_E10value_typeET4_jRbjT5_ST_jjP12ihipStream_tbEUlT_E2_NS1_11comp_targetILNS1_3genE10ELNS1_11target_archE1200ELNS1_3gpuE4ELNS1_3repE0EEENS1_30default_config_static_selectorELNS0_4arch9wavefront6targetE0EEEvSH_.kd
    .uniform_work_group_size: 1
    .uses_dynamic_stack: false
    .vgpr_count:     0
    .vgpr_spill_count: 0
    .wavefront_size: 32
    .workgroup_processor_mode: 1
  - .args:
      - .offset:         0
        .size:           80
        .value_kind:     by_value
    .group_segment_fixed_size: 0
    .kernarg_segment_align: 8
    .kernarg_segment_size: 80
    .language:       OpenCL C
    .language_version:
      - 2
      - 0
    .max_flat_workgroup_size: 256
    .name:           _ZN7rocprim17ROCPRIM_400000_NS6detail17trampoline_kernelINS0_14default_configENS1_36segmented_radix_sort_config_selectorIllEEZNS1_25segmented_radix_sort_implIS3_Lb0EPKlPlS8_S9_N2at6native12_GLOBAL__N_18offset_tEEE10hipError_tPvRmT1_PNSt15iterator_traitsISH_E10value_typeET2_T3_PNSI_ISN_E10value_typeET4_jRbjT5_ST_jjP12ihipStream_tbEUlT_E2_NS1_11comp_targetILNS1_3genE9ELNS1_11target_archE1100ELNS1_3gpuE3ELNS1_3repE0EEENS1_30default_config_static_selectorELNS0_4arch9wavefront6targetE0EEEvSH_
    .private_segment_fixed_size: 0
    .sgpr_count:     0
    .sgpr_spill_count: 0
    .symbol:         _ZN7rocprim17ROCPRIM_400000_NS6detail17trampoline_kernelINS0_14default_configENS1_36segmented_radix_sort_config_selectorIllEEZNS1_25segmented_radix_sort_implIS3_Lb0EPKlPlS8_S9_N2at6native12_GLOBAL__N_18offset_tEEE10hipError_tPvRmT1_PNSt15iterator_traitsISH_E10value_typeET2_T3_PNSI_ISN_E10value_typeET4_jRbjT5_ST_jjP12ihipStream_tbEUlT_E2_NS1_11comp_targetILNS1_3genE9ELNS1_11target_archE1100ELNS1_3gpuE3ELNS1_3repE0EEENS1_30default_config_static_selectorELNS0_4arch9wavefront6targetE0EEEvSH_.kd
    .uniform_work_group_size: 1
    .uses_dynamic_stack: false
    .vgpr_count:     0
    .vgpr_spill_count: 0
    .wavefront_size: 32
    .workgroup_processor_mode: 1
  - .args:
      - .offset:         0
        .size:           80
        .value_kind:     by_value
      - .offset:         80
        .size:           4
        .value_kind:     hidden_block_count_x
      - .offset:         84
        .size:           4
        .value_kind:     hidden_block_count_y
      - .offset:         88
        .size:           4
        .value_kind:     hidden_block_count_z
      - .offset:         92
        .size:           2
        .value_kind:     hidden_group_size_x
      - .offset:         94
        .size:           2
        .value_kind:     hidden_group_size_y
      - .offset:         96
        .size:           2
        .value_kind:     hidden_group_size_z
      - .offset:         98
        .size:           2
        .value_kind:     hidden_remainder_x
      - .offset:         100
        .size:           2
        .value_kind:     hidden_remainder_y
      - .offset:         102
        .size:           2
        .value_kind:     hidden_remainder_z
      - .offset:         120
        .size:           8
        .value_kind:     hidden_global_offset_x
      - .offset:         128
        .size:           8
        .value_kind:     hidden_global_offset_y
      - .offset:         136
        .size:           8
        .value_kind:     hidden_global_offset_z
      - .offset:         144
        .size:           2
        .value_kind:     hidden_grid_dims
    .group_segment_fixed_size: 33296
    .kernarg_segment_align: 8
    .kernarg_segment_size: 336
    .language:       OpenCL C
    .language_version:
      - 2
      - 0
    .max_flat_workgroup_size: 256
    .name:           _ZN7rocprim17ROCPRIM_400000_NS6detail17trampoline_kernelINS0_14default_configENS1_36segmented_radix_sort_config_selectorIllEEZNS1_25segmented_radix_sort_implIS3_Lb0EPKlPlS8_S9_N2at6native12_GLOBAL__N_18offset_tEEE10hipError_tPvRmT1_PNSt15iterator_traitsISH_E10value_typeET2_T3_PNSI_ISN_E10value_typeET4_jRbjT5_ST_jjP12ihipStream_tbEUlT_E2_NS1_11comp_targetILNS1_3genE8ELNS1_11target_archE1030ELNS1_3gpuE2ELNS1_3repE0EEENS1_30default_config_static_selectorELNS0_4arch9wavefront6targetE0EEEvSH_
    .private_segment_fixed_size: 176
    .sgpr_count:     70
    .sgpr_spill_count: 0
    .symbol:         _ZN7rocprim17ROCPRIM_400000_NS6detail17trampoline_kernelINS0_14default_configENS1_36segmented_radix_sort_config_selectorIllEEZNS1_25segmented_radix_sort_implIS3_Lb0EPKlPlS8_S9_N2at6native12_GLOBAL__N_18offset_tEEE10hipError_tPvRmT1_PNSt15iterator_traitsISH_E10value_typeET2_T3_PNSI_ISN_E10value_typeET4_jRbjT5_ST_jjP12ihipStream_tbEUlT_E2_NS1_11comp_targetILNS1_3genE8ELNS1_11target_archE1030ELNS1_3gpuE2ELNS1_3repE0EEENS1_30default_config_static_selectorELNS0_4arch9wavefront6targetE0EEEvSH_.kd
    .uniform_work_group_size: 1
    .uses_dynamic_stack: false
    .vgpr_count:     248
    .vgpr_spill_count: 0
    .wavefront_size: 32
    .workgroup_processor_mode: 1
  - .args:
      - .address_space:  global
        .offset:         0
        .size:           8
        .value_kind:     global_buffer
      - .address_space:  global
        .offset:         8
        .size:           8
        .value_kind:     global_buffer
      - .address_space:  global
        .offset:         16
        .size:           8
        .value_kind:     global_buffer
      - .address_space:  global
        .offset:         24
        .size:           8
        .value_kind:     global_buffer
      - .offset:         32
        .size:           4
        .value_kind:     by_value
      - .offset:         36
        .size:           4
        .value_kind:     by_value
      - .offset:         40
        .size:           4
        .value_kind:     hidden_block_count_x
      - .offset:         44
        .size:           4
        .value_kind:     hidden_block_count_y
      - .offset:         48
        .size:           4
        .value_kind:     hidden_block_count_z
      - .offset:         52
        .size:           2
        .value_kind:     hidden_group_size_x
      - .offset:         54
        .size:           2
        .value_kind:     hidden_group_size_y
      - .offset:         56
        .size:           2
        .value_kind:     hidden_group_size_z
      - .offset:         58
        .size:           2
        .value_kind:     hidden_remainder_x
      - .offset:         60
        .size:           2
        .value_kind:     hidden_remainder_y
      - .offset:         62
        .size:           2
        .value_kind:     hidden_remainder_z
      - .offset:         80
        .size:           8
        .value_kind:     hidden_global_offset_x
      - .offset:         88
        .size:           8
        .value_kind:     hidden_global_offset_y
      - .offset:         96
        .size:           8
        .value_kind:     hidden_global_offset_z
      - .offset:         104
        .size:           2
        .value_kind:     hidden_grid_dims
    .group_segment_fixed_size: 0
    .kernarg_segment_align: 8
    .kernarg_segment_size: 296
    .language:       OpenCL C
    .language_version:
      - 2
      - 0
    .max_flat_workgroup_size: 1024
    .name:           _ZN2at6native12_GLOBAL__N_123sort_postprocess_kernelIsEEvPKT_PS3_PlPK15HIP_vector_typeIiLj2EEii
    .private_segment_fixed_size: 0
    .sgpr_count:     18
    .sgpr_spill_count: 0
    .symbol:         _ZN2at6native12_GLOBAL__N_123sort_postprocess_kernelIsEEvPKT_PS3_PlPK15HIP_vector_typeIiLj2EEii.kd
    .uniform_work_group_size: 1
    .uses_dynamic_stack: false
    .vgpr_count:     17
    .vgpr_spill_count: 0
    .wavefront_size: 32
    .workgroup_processor_mode: 1
  - .args:
      - .offset:         0
        .size:           176
        .value_kind:     by_value
    .group_segment_fixed_size: 0
    .kernarg_segment_align: 8
    .kernarg_segment_size: 176
    .language:       OpenCL C
    .language_version:
      - 2
      - 0
    .max_flat_workgroup_size: 256
    .name:           _ZN7rocprim17ROCPRIM_400000_NS6detail17trampoline_kernelINS0_13select_configILj256ELj13ELNS0_17block_load_methodE3ELS4_3ELS4_3ELNS0_20block_scan_algorithmE0ELj4294967295EEENS1_25partition_config_selectorILNS1_17partition_subalgoE4EjNS0_10empty_typeEbEEZZNS1_14partition_implILS8_4ELb0ES6_15HIP_vector_typeIjLj2EENS0_17counting_iteratorIjlEEPS9_SG_NS0_5tupleIJPjSI_NS0_16reverse_iteratorISI_EEEEENSH_IJSG_SG_SG_EEES9_SI_JZNS1_25segmented_radix_sort_implINS0_14default_configELb1EPKsPsPKlPlN2at6native12_GLOBAL__N_18offset_tEEE10hipError_tPvRmT1_PNSt15iterator_traitsIS12_E10value_typeET2_T3_PNS13_IS18_E10value_typeET4_jRbjT5_S1E_jjP12ihipStream_tbEUljE_ZNSN_ISO_Lb1ESQ_SR_ST_SU_SY_EESZ_S10_S11_S12_S16_S17_S18_S1B_S1C_jS1D_jS1E_S1E_jjS1G_bEUljE0_EEESZ_S10_S11_S18_S1C_S1E_T6_T7_T9_mT8_S1G_bDpT10_ENKUlT_T0_E_clISt17integral_constantIbLb0EES1U_EEDaS1P_S1Q_EUlS1P_E_NS1_11comp_targetILNS1_3genE0ELNS1_11target_archE4294967295ELNS1_3gpuE0ELNS1_3repE0EEENS1_30default_config_static_selectorELNS0_4arch9wavefront6targetE0EEEvS12_
    .private_segment_fixed_size: 0
    .sgpr_count:     0
    .sgpr_spill_count: 0
    .symbol:         _ZN7rocprim17ROCPRIM_400000_NS6detail17trampoline_kernelINS0_13select_configILj256ELj13ELNS0_17block_load_methodE3ELS4_3ELS4_3ELNS0_20block_scan_algorithmE0ELj4294967295EEENS1_25partition_config_selectorILNS1_17partition_subalgoE4EjNS0_10empty_typeEbEEZZNS1_14partition_implILS8_4ELb0ES6_15HIP_vector_typeIjLj2EENS0_17counting_iteratorIjlEEPS9_SG_NS0_5tupleIJPjSI_NS0_16reverse_iteratorISI_EEEEENSH_IJSG_SG_SG_EEES9_SI_JZNS1_25segmented_radix_sort_implINS0_14default_configELb1EPKsPsPKlPlN2at6native12_GLOBAL__N_18offset_tEEE10hipError_tPvRmT1_PNSt15iterator_traitsIS12_E10value_typeET2_T3_PNS13_IS18_E10value_typeET4_jRbjT5_S1E_jjP12ihipStream_tbEUljE_ZNSN_ISO_Lb1ESQ_SR_ST_SU_SY_EESZ_S10_S11_S12_S16_S17_S18_S1B_S1C_jS1D_jS1E_S1E_jjS1G_bEUljE0_EEESZ_S10_S11_S18_S1C_S1E_T6_T7_T9_mT8_S1G_bDpT10_ENKUlT_T0_E_clISt17integral_constantIbLb0EES1U_EEDaS1P_S1Q_EUlS1P_E_NS1_11comp_targetILNS1_3genE0ELNS1_11target_archE4294967295ELNS1_3gpuE0ELNS1_3repE0EEENS1_30default_config_static_selectorELNS0_4arch9wavefront6targetE0EEEvS12_.kd
    .uniform_work_group_size: 1
    .uses_dynamic_stack: false
    .vgpr_count:     0
    .vgpr_spill_count: 0
    .wavefront_size: 32
    .workgroup_processor_mode: 1
  - .args:
      - .offset:         0
        .size:           176
        .value_kind:     by_value
    .group_segment_fixed_size: 0
    .kernarg_segment_align: 8
    .kernarg_segment_size: 176
    .language:       OpenCL C
    .language_version:
      - 2
      - 0
    .max_flat_workgroup_size: 256
    .name:           _ZN7rocprim17ROCPRIM_400000_NS6detail17trampoline_kernelINS0_13select_configILj256ELj13ELNS0_17block_load_methodE3ELS4_3ELS4_3ELNS0_20block_scan_algorithmE0ELj4294967295EEENS1_25partition_config_selectorILNS1_17partition_subalgoE4EjNS0_10empty_typeEbEEZZNS1_14partition_implILS8_4ELb0ES6_15HIP_vector_typeIjLj2EENS0_17counting_iteratorIjlEEPS9_SG_NS0_5tupleIJPjSI_NS0_16reverse_iteratorISI_EEEEENSH_IJSG_SG_SG_EEES9_SI_JZNS1_25segmented_radix_sort_implINS0_14default_configELb1EPKsPsPKlPlN2at6native12_GLOBAL__N_18offset_tEEE10hipError_tPvRmT1_PNSt15iterator_traitsIS12_E10value_typeET2_T3_PNS13_IS18_E10value_typeET4_jRbjT5_S1E_jjP12ihipStream_tbEUljE_ZNSN_ISO_Lb1ESQ_SR_ST_SU_SY_EESZ_S10_S11_S12_S16_S17_S18_S1B_S1C_jS1D_jS1E_S1E_jjS1G_bEUljE0_EEESZ_S10_S11_S18_S1C_S1E_T6_T7_T9_mT8_S1G_bDpT10_ENKUlT_T0_E_clISt17integral_constantIbLb0EES1U_EEDaS1P_S1Q_EUlS1P_E_NS1_11comp_targetILNS1_3genE5ELNS1_11target_archE942ELNS1_3gpuE9ELNS1_3repE0EEENS1_30default_config_static_selectorELNS0_4arch9wavefront6targetE0EEEvS12_
    .private_segment_fixed_size: 0
    .sgpr_count:     0
    .sgpr_spill_count: 0
    .symbol:         _ZN7rocprim17ROCPRIM_400000_NS6detail17trampoline_kernelINS0_13select_configILj256ELj13ELNS0_17block_load_methodE3ELS4_3ELS4_3ELNS0_20block_scan_algorithmE0ELj4294967295EEENS1_25partition_config_selectorILNS1_17partition_subalgoE4EjNS0_10empty_typeEbEEZZNS1_14partition_implILS8_4ELb0ES6_15HIP_vector_typeIjLj2EENS0_17counting_iteratorIjlEEPS9_SG_NS0_5tupleIJPjSI_NS0_16reverse_iteratorISI_EEEEENSH_IJSG_SG_SG_EEES9_SI_JZNS1_25segmented_radix_sort_implINS0_14default_configELb1EPKsPsPKlPlN2at6native12_GLOBAL__N_18offset_tEEE10hipError_tPvRmT1_PNSt15iterator_traitsIS12_E10value_typeET2_T3_PNS13_IS18_E10value_typeET4_jRbjT5_S1E_jjP12ihipStream_tbEUljE_ZNSN_ISO_Lb1ESQ_SR_ST_SU_SY_EESZ_S10_S11_S12_S16_S17_S18_S1B_S1C_jS1D_jS1E_S1E_jjS1G_bEUljE0_EEESZ_S10_S11_S18_S1C_S1E_T6_T7_T9_mT8_S1G_bDpT10_ENKUlT_T0_E_clISt17integral_constantIbLb0EES1U_EEDaS1P_S1Q_EUlS1P_E_NS1_11comp_targetILNS1_3genE5ELNS1_11target_archE942ELNS1_3gpuE9ELNS1_3repE0EEENS1_30default_config_static_selectorELNS0_4arch9wavefront6targetE0EEEvS12_.kd
    .uniform_work_group_size: 1
    .uses_dynamic_stack: false
    .vgpr_count:     0
    .vgpr_spill_count: 0
    .wavefront_size: 32
    .workgroup_processor_mode: 1
  - .args:
      - .offset:         0
        .size:           176
        .value_kind:     by_value
    .group_segment_fixed_size: 0
    .kernarg_segment_align: 8
    .kernarg_segment_size: 176
    .language:       OpenCL C
    .language_version:
      - 2
      - 0
    .max_flat_workgroup_size: 256
    .name:           _ZN7rocprim17ROCPRIM_400000_NS6detail17trampoline_kernelINS0_13select_configILj256ELj13ELNS0_17block_load_methodE3ELS4_3ELS4_3ELNS0_20block_scan_algorithmE0ELj4294967295EEENS1_25partition_config_selectorILNS1_17partition_subalgoE4EjNS0_10empty_typeEbEEZZNS1_14partition_implILS8_4ELb0ES6_15HIP_vector_typeIjLj2EENS0_17counting_iteratorIjlEEPS9_SG_NS0_5tupleIJPjSI_NS0_16reverse_iteratorISI_EEEEENSH_IJSG_SG_SG_EEES9_SI_JZNS1_25segmented_radix_sort_implINS0_14default_configELb1EPKsPsPKlPlN2at6native12_GLOBAL__N_18offset_tEEE10hipError_tPvRmT1_PNSt15iterator_traitsIS12_E10value_typeET2_T3_PNS13_IS18_E10value_typeET4_jRbjT5_S1E_jjP12ihipStream_tbEUljE_ZNSN_ISO_Lb1ESQ_SR_ST_SU_SY_EESZ_S10_S11_S12_S16_S17_S18_S1B_S1C_jS1D_jS1E_S1E_jjS1G_bEUljE0_EEESZ_S10_S11_S18_S1C_S1E_T6_T7_T9_mT8_S1G_bDpT10_ENKUlT_T0_E_clISt17integral_constantIbLb0EES1U_EEDaS1P_S1Q_EUlS1P_E_NS1_11comp_targetILNS1_3genE4ELNS1_11target_archE910ELNS1_3gpuE8ELNS1_3repE0EEENS1_30default_config_static_selectorELNS0_4arch9wavefront6targetE0EEEvS12_
    .private_segment_fixed_size: 0
    .sgpr_count:     0
    .sgpr_spill_count: 0
    .symbol:         _ZN7rocprim17ROCPRIM_400000_NS6detail17trampoline_kernelINS0_13select_configILj256ELj13ELNS0_17block_load_methodE3ELS4_3ELS4_3ELNS0_20block_scan_algorithmE0ELj4294967295EEENS1_25partition_config_selectorILNS1_17partition_subalgoE4EjNS0_10empty_typeEbEEZZNS1_14partition_implILS8_4ELb0ES6_15HIP_vector_typeIjLj2EENS0_17counting_iteratorIjlEEPS9_SG_NS0_5tupleIJPjSI_NS0_16reverse_iteratorISI_EEEEENSH_IJSG_SG_SG_EEES9_SI_JZNS1_25segmented_radix_sort_implINS0_14default_configELb1EPKsPsPKlPlN2at6native12_GLOBAL__N_18offset_tEEE10hipError_tPvRmT1_PNSt15iterator_traitsIS12_E10value_typeET2_T3_PNS13_IS18_E10value_typeET4_jRbjT5_S1E_jjP12ihipStream_tbEUljE_ZNSN_ISO_Lb1ESQ_SR_ST_SU_SY_EESZ_S10_S11_S12_S16_S17_S18_S1B_S1C_jS1D_jS1E_S1E_jjS1G_bEUljE0_EEESZ_S10_S11_S18_S1C_S1E_T6_T7_T9_mT8_S1G_bDpT10_ENKUlT_T0_E_clISt17integral_constantIbLb0EES1U_EEDaS1P_S1Q_EUlS1P_E_NS1_11comp_targetILNS1_3genE4ELNS1_11target_archE910ELNS1_3gpuE8ELNS1_3repE0EEENS1_30default_config_static_selectorELNS0_4arch9wavefront6targetE0EEEvS12_.kd
    .uniform_work_group_size: 1
    .uses_dynamic_stack: false
    .vgpr_count:     0
    .vgpr_spill_count: 0
    .wavefront_size: 32
    .workgroup_processor_mode: 1
  - .args:
      - .offset:         0
        .size:           176
        .value_kind:     by_value
    .group_segment_fixed_size: 0
    .kernarg_segment_align: 8
    .kernarg_segment_size: 176
    .language:       OpenCL C
    .language_version:
      - 2
      - 0
    .max_flat_workgroup_size: 256
    .name:           _ZN7rocprim17ROCPRIM_400000_NS6detail17trampoline_kernelINS0_13select_configILj256ELj13ELNS0_17block_load_methodE3ELS4_3ELS4_3ELNS0_20block_scan_algorithmE0ELj4294967295EEENS1_25partition_config_selectorILNS1_17partition_subalgoE4EjNS0_10empty_typeEbEEZZNS1_14partition_implILS8_4ELb0ES6_15HIP_vector_typeIjLj2EENS0_17counting_iteratorIjlEEPS9_SG_NS0_5tupleIJPjSI_NS0_16reverse_iteratorISI_EEEEENSH_IJSG_SG_SG_EEES9_SI_JZNS1_25segmented_radix_sort_implINS0_14default_configELb1EPKsPsPKlPlN2at6native12_GLOBAL__N_18offset_tEEE10hipError_tPvRmT1_PNSt15iterator_traitsIS12_E10value_typeET2_T3_PNS13_IS18_E10value_typeET4_jRbjT5_S1E_jjP12ihipStream_tbEUljE_ZNSN_ISO_Lb1ESQ_SR_ST_SU_SY_EESZ_S10_S11_S12_S16_S17_S18_S1B_S1C_jS1D_jS1E_S1E_jjS1G_bEUljE0_EEESZ_S10_S11_S18_S1C_S1E_T6_T7_T9_mT8_S1G_bDpT10_ENKUlT_T0_E_clISt17integral_constantIbLb0EES1U_EEDaS1P_S1Q_EUlS1P_E_NS1_11comp_targetILNS1_3genE3ELNS1_11target_archE908ELNS1_3gpuE7ELNS1_3repE0EEENS1_30default_config_static_selectorELNS0_4arch9wavefront6targetE0EEEvS12_
    .private_segment_fixed_size: 0
    .sgpr_count:     0
    .sgpr_spill_count: 0
    .symbol:         _ZN7rocprim17ROCPRIM_400000_NS6detail17trampoline_kernelINS0_13select_configILj256ELj13ELNS0_17block_load_methodE3ELS4_3ELS4_3ELNS0_20block_scan_algorithmE0ELj4294967295EEENS1_25partition_config_selectorILNS1_17partition_subalgoE4EjNS0_10empty_typeEbEEZZNS1_14partition_implILS8_4ELb0ES6_15HIP_vector_typeIjLj2EENS0_17counting_iteratorIjlEEPS9_SG_NS0_5tupleIJPjSI_NS0_16reverse_iteratorISI_EEEEENSH_IJSG_SG_SG_EEES9_SI_JZNS1_25segmented_radix_sort_implINS0_14default_configELb1EPKsPsPKlPlN2at6native12_GLOBAL__N_18offset_tEEE10hipError_tPvRmT1_PNSt15iterator_traitsIS12_E10value_typeET2_T3_PNS13_IS18_E10value_typeET4_jRbjT5_S1E_jjP12ihipStream_tbEUljE_ZNSN_ISO_Lb1ESQ_SR_ST_SU_SY_EESZ_S10_S11_S12_S16_S17_S18_S1B_S1C_jS1D_jS1E_S1E_jjS1G_bEUljE0_EEESZ_S10_S11_S18_S1C_S1E_T6_T7_T9_mT8_S1G_bDpT10_ENKUlT_T0_E_clISt17integral_constantIbLb0EES1U_EEDaS1P_S1Q_EUlS1P_E_NS1_11comp_targetILNS1_3genE3ELNS1_11target_archE908ELNS1_3gpuE7ELNS1_3repE0EEENS1_30default_config_static_selectorELNS0_4arch9wavefront6targetE0EEEvS12_.kd
    .uniform_work_group_size: 1
    .uses_dynamic_stack: false
    .vgpr_count:     0
    .vgpr_spill_count: 0
    .wavefront_size: 32
    .workgroup_processor_mode: 1
  - .args:
      - .offset:         0
        .size:           176
        .value_kind:     by_value
    .group_segment_fixed_size: 0
    .kernarg_segment_align: 8
    .kernarg_segment_size: 176
    .language:       OpenCL C
    .language_version:
      - 2
      - 0
    .max_flat_workgroup_size: 256
    .name:           _ZN7rocprim17ROCPRIM_400000_NS6detail17trampoline_kernelINS0_13select_configILj256ELj13ELNS0_17block_load_methodE3ELS4_3ELS4_3ELNS0_20block_scan_algorithmE0ELj4294967295EEENS1_25partition_config_selectorILNS1_17partition_subalgoE4EjNS0_10empty_typeEbEEZZNS1_14partition_implILS8_4ELb0ES6_15HIP_vector_typeIjLj2EENS0_17counting_iteratorIjlEEPS9_SG_NS0_5tupleIJPjSI_NS0_16reverse_iteratorISI_EEEEENSH_IJSG_SG_SG_EEES9_SI_JZNS1_25segmented_radix_sort_implINS0_14default_configELb1EPKsPsPKlPlN2at6native12_GLOBAL__N_18offset_tEEE10hipError_tPvRmT1_PNSt15iterator_traitsIS12_E10value_typeET2_T3_PNS13_IS18_E10value_typeET4_jRbjT5_S1E_jjP12ihipStream_tbEUljE_ZNSN_ISO_Lb1ESQ_SR_ST_SU_SY_EESZ_S10_S11_S12_S16_S17_S18_S1B_S1C_jS1D_jS1E_S1E_jjS1G_bEUljE0_EEESZ_S10_S11_S18_S1C_S1E_T6_T7_T9_mT8_S1G_bDpT10_ENKUlT_T0_E_clISt17integral_constantIbLb0EES1U_EEDaS1P_S1Q_EUlS1P_E_NS1_11comp_targetILNS1_3genE2ELNS1_11target_archE906ELNS1_3gpuE6ELNS1_3repE0EEENS1_30default_config_static_selectorELNS0_4arch9wavefront6targetE0EEEvS12_
    .private_segment_fixed_size: 0
    .sgpr_count:     0
    .sgpr_spill_count: 0
    .symbol:         _ZN7rocprim17ROCPRIM_400000_NS6detail17trampoline_kernelINS0_13select_configILj256ELj13ELNS0_17block_load_methodE3ELS4_3ELS4_3ELNS0_20block_scan_algorithmE0ELj4294967295EEENS1_25partition_config_selectorILNS1_17partition_subalgoE4EjNS0_10empty_typeEbEEZZNS1_14partition_implILS8_4ELb0ES6_15HIP_vector_typeIjLj2EENS0_17counting_iteratorIjlEEPS9_SG_NS0_5tupleIJPjSI_NS0_16reverse_iteratorISI_EEEEENSH_IJSG_SG_SG_EEES9_SI_JZNS1_25segmented_radix_sort_implINS0_14default_configELb1EPKsPsPKlPlN2at6native12_GLOBAL__N_18offset_tEEE10hipError_tPvRmT1_PNSt15iterator_traitsIS12_E10value_typeET2_T3_PNS13_IS18_E10value_typeET4_jRbjT5_S1E_jjP12ihipStream_tbEUljE_ZNSN_ISO_Lb1ESQ_SR_ST_SU_SY_EESZ_S10_S11_S12_S16_S17_S18_S1B_S1C_jS1D_jS1E_S1E_jjS1G_bEUljE0_EEESZ_S10_S11_S18_S1C_S1E_T6_T7_T9_mT8_S1G_bDpT10_ENKUlT_T0_E_clISt17integral_constantIbLb0EES1U_EEDaS1P_S1Q_EUlS1P_E_NS1_11comp_targetILNS1_3genE2ELNS1_11target_archE906ELNS1_3gpuE6ELNS1_3repE0EEENS1_30default_config_static_selectorELNS0_4arch9wavefront6targetE0EEEvS12_.kd
    .uniform_work_group_size: 1
    .uses_dynamic_stack: false
    .vgpr_count:     0
    .vgpr_spill_count: 0
    .wavefront_size: 32
    .workgroup_processor_mode: 1
  - .args:
      - .offset:         0
        .size:           176
        .value_kind:     by_value
    .group_segment_fixed_size: 0
    .kernarg_segment_align: 8
    .kernarg_segment_size: 176
    .language:       OpenCL C
    .language_version:
      - 2
      - 0
    .max_flat_workgroup_size: 256
    .name:           _ZN7rocprim17ROCPRIM_400000_NS6detail17trampoline_kernelINS0_13select_configILj256ELj13ELNS0_17block_load_methodE3ELS4_3ELS4_3ELNS0_20block_scan_algorithmE0ELj4294967295EEENS1_25partition_config_selectorILNS1_17partition_subalgoE4EjNS0_10empty_typeEbEEZZNS1_14partition_implILS8_4ELb0ES6_15HIP_vector_typeIjLj2EENS0_17counting_iteratorIjlEEPS9_SG_NS0_5tupleIJPjSI_NS0_16reverse_iteratorISI_EEEEENSH_IJSG_SG_SG_EEES9_SI_JZNS1_25segmented_radix_sort_implINS0_14default_configELb1EPKsPsPKlPlN2at6native12_GLOBAL__N_18offset_tEEE10hipError_tPvRmT1_PNSt15iterator_traitsIS12_E10value_typeET2_T3_PNS13_IS18_E10value_typeET4_jRbjT5_S1E_jjP12ihipStream_tbEUljE_ZNSN_ISO_Lb1ESQ_SR_ST_SU_SY_EESZ_S10_S11_S12_S16_S17_S18_S1B_S1C_jS1D_jS1E_S1E_jjS1G_bEUljE0_EEESZ_S10_S11_S18_S1C_S1E_T6_T7_T9_mT8_S1G_bDpT10_ENKUlT_T0_E_clISt17integral_constantIbLb0EES1U_EEDaS1P_S1Q_EUlS1P_E_NS1_11comp_targetILNS1_3genE10ELNS1_11target_archE1200ELNS1_3gpuE4ELNS1_3repE0EEENS1_30default_config_static_selectorELNS0_4arch9wavefront6targetE0EEEvS12_
    .private_segment_fixed_size: 0
    .sgpr_count:     0
    .sgpr_spill_count: 0
    .symbol:         _ZN7rocprim17ROCPRIM_400000_NS6detail17trampoline_kernelINS0_13select_configILj256ELj13ELNS0_17block_load_methodE3ELS4_3ELS4_3ELNS0_20block_scan_algorithmE0ELj4294967295EEENS1_25partition_config_selectorILNS1_17partition_subalgoE4EjNS0_10empty_typeEbEEZZNS1_14partition_implILS8_4ELb0ES6_15HIP_vector_typeIjLj2EENS0_17counting_iteratorIjlEEPS9_SG_NS0_5tupleIJPjSI_NS0_16reverse_iteratorISI_EEEEENSH_IJSG_SG_SG_EEES9_SI_JZNS1_25segmented_radix_sort_implINS0_14default_configELb1EPKsPsPKlPlN2at6native12_GLOBAL__N_18offset_tEEE10hipError_tPvRmT1_PNSt15iterator_traitsIS12_E10value_typeET2_T3_PNS13_IS18_E10value_typeET4_jRbjT5_S1E_jjP12ihipStream_tbEUljE_ZNSN_ISO_Lb1ESQ_SR_ST_SU_SY_EESZ_S10_S11_S12_S16_S17_S18_S1B_S1C_jS1D_jS1E_S1E_jjS1G_bEUljE0_EEESZ_S10_S11_S18_S1C_S1E_T6_T7_T9_mT8_S1G_bDpT10_ENKUlT_T0_E_clISt17integral_constantIbLb0EES1U_EEDaS1P_S1Q_EUlS1P_E_NS1_11comp_targetILNS1_3genE10ELNS1_11target_archE1200ELNS1_3gpuE4ELNS1_3repE0EEENS1_30default_config_static_selectorELNS0_4arch9wavefront6targetE0EEEvS12_.kd
    .uniform_work_group_size: 1
    .uses_dynamic_stack: false
    .vgpr_count:     0
    .vgpr_spill_count: 0
    .wavefront_size: 32
    .workgroup_processor_mode: 1
  - .args:
      - .offset:         0
        .size:           176
        .value_kind:     by_value
    .group_segment_fixed_size: 0
    .kernarg_segment_align: 8
    .kernarg_segment_size: 176
    .language:       OpenCL C
    .language_version:
      - 2
      - 0
    .max_flat_workgroup_size: 256
    .name:           _ZN7rocprim17ROCPRIM_400000_NS6detail17trampoline_kernelINS0_13select_configILj256ELj13ELNS0_17block_load_methodE3ELS4_3ELS4_3ELNS0_20block_scan_algorithmE0ELj4294967295EEENS1_25partition_config_selectorILNS1_17partition_subalgoE4EjNS0_10empty_typeEbEEZZNS1_14partition_implILS8_4ELb0ES6_15HIP_vector_typeIjLj2EENS0_17counting_iteratorIjlEEPS9_SG_NS0_5tupleIJPjSI_NS0_16reverse_iteratorISI_EEEEENSH_IJSG_SG_SG_EEES9_SI_JZNS1_25segmented_radix_sort_implINS0_14default_configELb1EPKsPsPKlPlN2at6native12_GLOBAL__N_18offset_tEEE10hipError_tPvRmT1_PNSt15iterator_traitsIS12_E10value_typeET2_T3_PNS13_IS18_E10value_typeET4_jRbjT5_S1E_jjP12ihipStream_tbEUljE_ZNSN_ISO_Lb1ESQ_SR_ST_SU_SY_EESZ_S10_S11_S12_S16_S17_S18_S1B_S1C_jS1D_jS1E_S1E_jjS1G_bEUljE0_EEESZ_S10_S11_S18_S1C_S1E_T6_T7_T9_mT8_S1G_bDpT10_ENKUlT_T0_E_clISt17integral_constantIbLb0EES1U_EEDaS1P_S1Q_EUlS1P_E_NS1_11comp_targetILNS1_3genE9ELNS1_11target_archE1100ELNS1_3gpuE3ELNS1_3repE0EEENS1_30default_config_static_selectorELNS0_4arch9wavefront6targetE0EEEvS12_
    .private_segment_fixed_size: 0
    .sgpr_count:     0
    .sgpr_spill_count: 0
    .symbol:         _ZN7rocprim17ROCPRIM_400000_NS6detail17trampoline_kernelINS0_13select_configILj256ELj13ELNS0_17block_load_methodE3ELS4_3ELS4_3ELNS0_20block_scan_algorithmE0ELj4294967295EEENS1_25partition_config_selectorILNS1_17partition_subalgoE4EjNS0_10empty_typeEbEEZZNS1_14partition_implILS8_4ELb0ES6_15HIP_vector_typeIjLj2EENS0_17counting_iteratorIjlEEPS9_SG_NS0_5tupleIJPjSI_NS0_16reverse_iteratorISI_EEEEENSH_IJSG_SG_SG_EEES9_SI_JZNS1_25segmented_radix_sort_implINS0_14default_configELb1EPKsPsPKlPlN2at6native12_GLOBAL__N_18offset_tEEE10hipError_tPvRmT1_PNSt15iterator_traitsIS12_E10value_typeET2_T3_PNS13_IS18_E10value_typeET4_jRbjT5_S1E_jjP12ihipStream_tbEUljE_ZNSN_ISO_Lb1ESQ_SR_ST_SU_SY_EESZ_S10_S11_S12_S16_S17_S18_S1B_S1C_jS1D_jS1E_S1E_jjS1G_bEUljE0_EEESZ_S10_S11_S18_S1C_S1E_T6_T7_T9_mT8_S1G_bDpT10_ENKUlT_T0_E_clISt17integral_constantIbLb0EES1U_EEDaS1P_S1Q_EUlS1P_E_NS1_11comp_targetILNS1_3genE9ELNS1_11target_archE1100ELNS1_3gpuE3ELNS1_3repE0EEENS1_30default_config_static_selectorELNS0_4arch9wavefront6targetE0EEEvS12_.kd
    .uniform_work_group_size: 1
    .uses_dynamic_stack: false
    .vgpr_count:     0
    .vgpr_spill_count: 0
    .wavefront_size: 32
    .workgroup_processor_mode: 1
  - .args:
      - .offset:         0
        .size:           176
        .value_kind:     by_value
    .group_segment_fixed_size: 13328
    .kernarg_segment_align: 8
    .kernarg_segment_size: 176
    .language:       OpenCL C
    .language_version:
      - 2
      - 0
    .max_flat_workgroup_size: 256
    .name:           _ZN7rocprim17ROCPRIM_400000_NS6detail17trampoline_kernelINS0_13select_configILj256ELj13ELNS0_17block_load_methodE3ELS4_3ELS4_3ELNS0_20block_scan_algorithmE0ELj4294967295EEENS1_25partition_config_selectorILNS1_17partition_subalgoE4EjNS0_10empty_typeEbEEZZNS1_14partition_implILS8_4ELb0ES6_15HIP_vector_typeIjLj2EENS0_17counting_iteratorIjlEEPS9_SG_NS0_5tupleIJPjSI_NS0_16reverse_iteratorISI_EEEEENSH_IJSG_SG_SG_EEES9_SI_JZNS1_25segmented_radix_sort_implINS0_14default_configELb1EPKsPsPKlPlN2at6native12_GLOBAL__N_18offset_tEEE10hipError_tPvRmT1_PNSt15iterator_traitsIS12_E10value_typeET2_T3_PNS13_IS18_E10value_typeET4_jRbjT5_S1E_jjP12ihipStream_tbEUljE_ZNSN_ISO_Lb1ESQ_SR_ST_SU_SY_EESZ_S10_S11_S12_S16_S17_S18_S1B_S1C_jS1D_jS1E_S1E_jjS1G_bEUljE0_EEESZ_S10_S11_S18_S1C_S1E_T6_T7_T9_mT8_S1G_bDpT10_ENKUlT_T0_E_clISt17integral_constantIbLb0EES1U_EEDaS1P_S1Q_EUlS1P_E_NS1_11comp_targetILNS1_3genE8ELNS1_11target_archE1030ELNS1_3gpuE2ELNS1_3repE0EEENS1_30default_config_static_selectorELNS0_4arch9wavefront6targetE0EEEvS12_
    .private_segment_fixed_size: 0
    .sgpr_count:     61
    .sgpr_spill_count: 0
    .symbol:         _ZN7rocprim17ROCPRIM_400000_NS6detail17trampoline_kernelINS0_13select_configILj256ELj13ELNS0_17block_load_methodE3ELS4_3ELS4_3ELNS0_20block_scan_algorithmE0ELj4294967295EEENS1_25partition_config_selectorILNS1_17partition_subalgoE4EjNS0_10empty_typeEbEEZZNS1_14partition_implILS8_4ELb0ES6_15HIP_vector_typeIjLj2EENS0_17counting_iteratorIjlEEPS9_SG_NS0_5tupleIJPjSI_NS0_16reverse_iteratorISI_EEEEENSH_IJSG_SG_SG_EEES9_SI_JZNS1_25segmented_radix_sort_implINS0_14default_configELb1EPKsPsPKlPlN2at6native12_GLOBAL__N_18offset_tEEE10hipError_tPvRmT1_PNSt15iterator_traitsIS12_E10value_typeET2_T3_PNS13_IS18_E10value_typeET4_jRbjT5_S1E_jjP12ihipStream_tbEUljE_ZNSN_ISO_Lb1ESQ_SR_ST_SU_SY_EESZ_S10_S11_S12_S16_S17_S18_S1B_S1C_jS1D_jS1E_S1E_jjS1G_bEUljE0_EEESZ_S10_S11_S18_S1C_S1E_T6_T7_T9_mT8_S1G_bDpT10_ENKUlT_T0_E_clISt17integral_constantIbLb0EES1U_EEDaS1P_S1Q_EUlS1P_E_NS1_11comp_targetILNS1_3genE8ELNS1_11target_archE1030ELNS1_3gpuE2ELNS1_3repE0EEENS1_30default_config_static_selectorELNS0_4arch9wavefront6targetE0EEEvS12_.kd
    .uniform_work_group_size: 1
    .uses_dynamic_stack: false
    .vgpr_count:     82
    .vgpr_spill_count: 0
    .wavefront_size: 32
    .workgroup_processor_mode: 1
  - .args:
      - .offset:         0
        .size:           184
        .value_kind:     by_value
    .group_segment_fixed_size: 0
    .kernarg_segment_align: 8
    .kernarg_segment_size: 184
    .language:       OpenCL C
    .language_version:
      - 2
      - 0
    .max_flat_workgroup_size: 256
    .name:           _ZN7rocprim17ROCPRIM_400000_NS6detail17trampoline_kernelINS0_13select_configILj256ELj13ELNS0_17block_load_methodE3ELS4_3ELS4_3ELNS0_20block_scan_algorithmE0ELj4294967295EEENS1_25partition_config_selectorILNS1_17partition_subalgoE4EjNS0_10empty_typeEbEEZZNS1_14partition_implILS8_4ELb0ES6_15HIP_vector_typeIjLj2EENS0_17counting_iteratorIjlEEPS9_SG_NS0_5tupleIJPjSI_NS0_16reverse_iteratorISI_EEEEENSH_IJSG_SG_SG_EEES9_SI_JZNS1_25segmented_radix_sort_implINS0_14default_configELb1EPKsPsPKlPlN2at6native12_GLOBAL__N_18offset_tEEE10hipError_tPvRmT1_PNSt15iterator_traitsIS12_E10value_typeET2_T3_PNS13_IS18_E10value_typeET4_jRbjT5_S1E_jjP12ihipStream_tbEUljE_ZNSN_ISO_Lb1ESQ_SR_ST_SU_SY_EESZ_S10_S11_S12_S16_S17_S18_S1B_S1C_jS1D_jS1E_S1E_jjS1G_bEUljE0_EEESZ_S10_S11_S18_S1C_S1E_T6_T7_T9_mT8_S1G_bDpT10_ENKUlT_T0_E_clISt17integral_constantIbLb1EES1U_EEDaS1P_S1Q_EUlS1P_E_NS1_11comp_targetILNS1_3genE0ELNS1_11target_archE4294967295ELNS1_3gpuE0ELNS1_3repE0EEENS1_30default_config_static_selectorELNS0_4arch9wavefront6targetE0EEEvS12_
    .private_segment_fixed_size: 0
    .sgpr_count:     0
    .sgpr_spill_count: 0
    .symbol:         _ZN7rocprim17ROCPRIM_400000_NS6detail17trampoline_kernelINS0_13select_configILj256ELj13ELNS0_17block_load_methodE3ELS4_3ELS4_3ELNS0_20block_scan_algorithmE0ELj4294967295EEENS1_25partition_config_selectorILNS1_17partition_subalgoE4EjNS0_10empty_typeEbEEZZNS1_14partition_implILS8_4ELb0ES6_15HIP_vector_typeIjLj2EENS0_17counting_iteratorIjlEEPS9_SG_NS0_5tupleIJPjSI_NS0_16reverse_iteratorISI_EEEEENSH_IJSG_SG_SG_EEES9_SI_JZNS1_25segmented_radix_sort_implINS0_14default_configELb1EPKsPsPKlPlN2at6native12_GLOBAL__N_18offset_tEEE10hipError_tPvRmT1_PNSt15iterator_traitsIS12_E10value_typeET2_T3_PNS13_IS18_E10value_typeET4_jRbjT5_S1E_jjP12ihipStream_tbEUljE_ZNSN_ISO_Lb1ESQ_SR_ST_SU_SY_EESZ_S10_S11_S12_S16_S17_S18_S1B_S1C_jS1D_jS1E_S1E_jjS1G_bEUljE0_EEESZ_S10_S11_S18_S1C_S1E_T6_T7_T9_mT8_S1G_bDpT10_ENKUlT_T0_E_clISt17integral_constantIbLb1EES1U_EEDaS1P_S1Q_EUlS1P_E_NS1_11comp_targetILNS1_3genE0ELNS1_11target_archE4294967295ELNS1_3gpuE0ELNS1_3repE0EEENS1_30default_config_static_selectorELNS0_4arch9wavefront6targetE0EEEvS12_.kd
    .uniform_work_group_size: 1
    .uses_dynamic_stack: false
    .vgpr_count:     0
    .vgpr_spill_count: 0
    .wavefront_size: 32
    .workgroup_processor_mode: 1
  - .args:
      - .offset:         0
        .size:           184
        .value_kind:     by_value
    .group_segment_fixed_size: 0
    .kernarg_segment_align: 8
    .kernarg_segment_size: 184
    .language:       OpenCL C
    .language_version:
      - 2
      - 0
    .max_flat_workgroup_size: 256
    .name:           _ZN7rocprim17ROCPRIM_400000_NS6detail17trampoline_kernelINS0_13select_configILj256ELj13ELNS0_17block_load_methodE3ELS4_3ELS4_3ELNS0_20block_scan_algorithmE0ELj4294967295EEENS1_25partition_config_selectorILNS1_17partition_subalgoE4EjNS0_10empty_typeEbEEZZNS1_14partition_implILS8_4ELb0ES6_15HIP_vector_typeIjLj2EENS0_17counting_iteratorIjlEEPS9_SG_NS0_5tupleIJPjSI_NS0_16reverse_iteratorISI_EEEEENSH_IJSG_SG_SG_EEES9_SI_JZNS1_25segmented_radix_sort_implINS0_14default_configELb1EPKsPsPKlPlN2at6native12_GLOBAL__N_18offset_tEEE10hipError_tPvRmT1_PNSt15iterator_traitsIS12_E10value_typeET2_T3_PNS13_IS18_E10value_typeET4_jRbjT5_S1E_jjP12ihipStream_tbEUljE_ZNSN_ISO_Lb1ESQ_SR_ST_SU_SY_EESZ_S10_S11_S12_S16_S17_S18_S1B_S1C_jS1D_jS1E_S1E_jjS1G_bEUljE0_EEESZ_S10_S11_S18_S1C_S1E_T6_T7_T9_mT8_S1G_bDpT10_ENKUlT_T0_E_clISt17integral_constantIbLb1EES1U_EEDaS1P_S1Q_EUlS1P_E_NS1_11comp_targetILNS1_3genE5ELNS1_11target_archE942ELNS1_3gpuE9ELNS1_3repE0EEENS1_30default_config_static_selectorELNS0_4arch9wavefront6targetE0EEEvS12_
    .private_segment_fixed_size: 0
    .sgpr_count:     0
    .sgpr_spill_count: 0
    .symbol:         _ZN7rocprim17ROCPRIM_400000_NS6detail17trampoline_kernelINS0_13select_configILj256ELj13ELNS0_17block_load_methodE3ELS4_3ELS4_3ELNS0_20block_scan_algorithmE0ELj4294967295EEENS1_25partition_config_selectorILNS1_17partition_subalgoE4EjNS0_10empty_typeEbEEZZNS1_14partition_implILS8_4ELb0ES6_15HIP_vector_typeIjLj2EENS0_17counting_iteratorIjlEEPS9_SG_NS0_5tupleIJPjSI_NS0_16reverse_iteratorISI_EEEEENSH_IJSG_SG_SG_EEES9_SI_JZNS1_25segmented_radix_sort_implINS0_14default_configELb1EPKsPsPKlPlN2at6native12_GLOBAL__N_18offset_tEEE10hipError_tPvRmT1_PNSt15iterator_traitsIS12_E10value_typeET2_T3_PNS13_IS18_E10value_typeET4_jRbjT5_S1E_jjP12ihipStream_tbEUljE_ZNSN_ISO_Lb1ESQ_SR_ST_SU_SY_EESZ_S10_S11_S12_S16_S17_S18_S1B_S1C_jS1D_jS1E_S1E_jjS1G_bEUljE0_EEESZ_S10_S11_S18_S1C_S1E_T6_T7_T9_mT8_S1G_bDpT10_ENKUlT_T0_E_clISt17integral_constantIbLb1EES1U_EEDaS1P_S1Q_EUlS1P_E_NS1_11comp_targetILNS1_3genE5ELNS1_11target_archE942ELNS1_3gpuE9ELNS1_3repE0EEENS1_30default_config_static_selectorELNS0_4arch9wavefront6targetE0EEEvS12_.kd
    .uniform_work_group_size: 1
    .uses_dynamic_stack: false
    .vgpr_count:     0
    .vgpr_spill_count: 0
    .wavefront_size: 32
    .workgroup_processor_mode: 1
  - .args:
      - .offset:         0
        .size:           184
        .value_kind:     by_value
    .group_segment_fixed_size: 0
    .kernarg_segment_align: 8
    .kernarg_segment_size: 184
    .language:       OpenCL C
    .language_version:
      - 2
      - 0
    .max_flat_workgroup_size: 256
    .name:           _ZN7rocprim17ROCPRIM_400000_NS6detail17trampoline_kernelINS0_13select_configILj256ELj13ELNS0_17block_load_methodE3ELS4_3ELS4_3ELNS0_20block_scan_algorithmE0ELj4294967295EEENS1_25partition_config_selectorILNS1_17partition_subalgoE4EjNS0_10empty_typeEbEEZZNS1_14partition_implILS8_4ELb0ES6_15HIP_vector_typeIjLj2EENS0_17counting_iteratorIjlEEPS9_SG_NS0_5tupleIJPjSI_NS0_16reverse_iteratorISI_EEEEENSH_IJSG_SG_SG_EEES9_SI_JZNS1_25segmented_radix_sort_implINS0_14default_configELb1EPKsPsPKlPlN2at6native12_GLOBAL__N_18offset_tEEE10hipError_tPvRmT1_PNSt15iterator_traitsIS12_E10value_typeET2_T3_PNS13_IS18_E10value_typeET4_jRbjT5_S1E_jjP12ihipStream_tbEUljE_ZNSN_ISO_Lb1ESQ_SR_ST_SU_SY_EESZ_S10_S11_S12_S16_S17_S18_S1B_S1C_jS1D_jS1E_S1E_jjS1G_bEUljE0_EEESZ_S10_S11_S18_S1C_S1E_T6_T7_T9_mT8_S1G_bDpT10_ENKUlT_T0_E_clISt17integral_constantIbLb1EES1U_EEDaS1P_S1Q_EUlS1P_E_NS1_11comp_targetILNS1_3genE4ELNS1_11target_archE910ELNS1_3gpuE8ELNS1_3repE0EEENS1_30default_config_static_selectorELNS0_4arch9wavefront6targetE0EEEvS12_
    .private_segment_fixed_size: 0
    .sgpr_count:     0
    .sgpr_spill_count: 0
    .symbol:         _ZN7rocprim17ROCPRIM_400000_NS6detail17trampoline_kernelINS0_13select_configILj256ELj13ELNS0_17block_load_methodE3ELS4_3ELS4_3ELNS0_20block_scan_algorithmE0ELj4294967295EEENS1_25partition_config_selectorILNS1_17partition_subalgoE4EjNS0_10empty_typeEbEEZZNS1_14partition_implILS8_4ELb0ES6_15HIP_vector_typeIjLj2EENS0_17counting_iteratorIjlEEPS9_SG_NS0_5tupleIJPjSI_NS0_16reverse_iteratorISI_EEEEENSH_IJSG_SG_SG_EEES9_SI_JZNS1_25segmented_radix_sort_implINS0_14default_configELb1EPKsPsPKlPlN2at6native12_GLOBAL__N_18offset_tEEE10hipError_tPvRmT1_PNSt15iterator_traitsIS12_E10value_typeET2_T3_PNS13_IS18_E10value_typeET4_jRbjT5_S1E_jjP12ihipStream_tbEUljE_ZNSN_ISO_Lb1ESQ_SR_ST_SU_SY_EESZ_S10_S11_S12_S16_S17_S18_S1B_S1C_jS1D_jS1E_S1E_jjS1G_bEUljE0_EEESZ_S10_S11_S18_S1C_S1E_T6_T7_T9_mT8_S1G_bDpT10_ENKUlT_T0_E_clISt17integral_constantIbLb1EES1U_EEDaS1P_S1Q_EUlS1P_E_NS1_11comp_targetILNS1_3genE4ELNS1_11target_archE910ELNS1_3gpuE8ELNS1_3repE0EEENS1_30default_config_static_selectorELNS0_4arch9wavefront6targetE0EEEvS12_.kd
    .uniform_work_group_size: 1
    .uses_dynamic_stack: false
    .vgpr_count:     0
    .vgpr_spill_count: 0
    .wavefront_size: 32
    .workgroup_processor_mode: 1
  - .args:
      - .offset:         0
        .size:           184
        .value_kind:     by_value
    .group_segment_fixed_size: 0
    .kernarg_segment_align: 8
    .kernarg_segment_size: 184
    .language:       OpenCL C
    .language_version:
      - 2
      - 0
    .max_flat_workgroup_size: 256
    .name:           _ZN7rocprim17ROCPRIM_400000_NS6detail17trampoline_kernelINS0_13select_configILj256ELj13ELNS0_17block_load_methodE3ELS4_3ELS4_3ELNS0_20block_scan_algorithmE0ELj4294967295EEENS1_25partition_config_selectorILNS1_17partition_subalgoE4EjNS0_10empty_typeEbEEZZNS1_14partition_implILS8_4ELb0ES6_15HIP_vector_typeIjLj2EENS0_17counting_iteratorIjlEEPS9_SG_NS0_5tupleIJPjSI_NS0_16reverse_iteratorISI_EEEEENSH_IJSG_SG_SG_EEES9_SI_JZNS1_25segmented_radix_sort_implINS0_14default_configELb1EPKsPsPKlPlN2at6native12_GLOBAL__N_18offset_tEEE10hipError_tPvRmT1_PNSt15iterator_traitsIS12_E10value_typeET2_T3_PNS13_IS18_E10value_typeET4_jRbjT5_S1E_jjP12ihipStream_tbEUljE_ZNSN_ISO_Lb1ESQ_SR_ST_SU_SY_EESZ_S10_S11_S12_S16_S17_S18_S1B_S1C_jS1D_jS1E_S1E_jjS1G_bEUljE0_EEESZ_S10_S11_S18_S1C_S1E_T6_T7_T9_mT8_S1G_bDpT10_ENKUlT_T0_E_clISt17integral_constantIbLb1EES1U_EEDaS1P_S1Q_EUlS1P_E_NS1_11comp_targetILNS1_3genE3ELNS1_11target_archE908ELNS1_3gpuE7ELNS1_3repE0EEENS1_30default_config_static_selectorELNS0_4arch9wavefront6targetE0EEEvS12_
    .private_segment_fixed_size: 0
    .sgpr_count:     0
    .sgpr_spill_count: 0
    .symbol:         _ZN7rocprim17ROCPRIM_400000_NS6detail17trampoline_kernelINS0_13select_configILj256ELj13ELNS0_17block_load_methodE3ELS4_3ELS4_3ELNS0_20block_scan_algorithmE0ELj4294967295EEENS1_25partition_config_selectorILNS1_17partition_subalgoE4EjNS0_10empty_typeEbEEZZNS1_14partition_implILS8_4ELb0ES6_15HIP_vector_typeIjLj2EENS0_17counting_iteratorIjlEEPS9_SG_NS0_5tupleIJPjSI_NS0_16reverse_iteratorISI_EEEEENSH_IJSG_SG_SG_EEES9_SI_JZNS1_25segmented_radix_sort_implINS0_14default_configELb1EPKsPsPKlPlN2at6native12_GLOBAL__N_18offset_tEEE10hipError_tPvRmT1_PNSt15iterator_traitsIS12_E10value_typeET2_T3_PNS13_IS18_E10value_typeET4_jRbjT5_S1E_jjP12ihipStream_tbEUljE_ZNSN_ISO_Lb1ESQ_SR_ST_SU_SY_EESZ_S10_S11_S12_S16_S17_S18_S1B_S1C_jS1D_jS1E_S1E_jjS1G_bEUljE0_EEESZ_S10_S11_S18_S1C_S1E_T6_T7_T9_mT8_S1G_bDpT10_ENKUlT_T0_E_clISt17integral_constantIbLb1EES1U_EEDaS1P_S1Q_EUlS1P_E_NS1_11comp_targetILNS1_3genE3ELNS1_11target_archE908ELNS1_3gpuE7ELNS1_3repE0EEENS1_30default_config_static_selectorELNS0_4arch9wavefront6targetE0EEEvS12_.kd
    .uniform_work_group_size: 1
    .uses_dynamic_stack: false
    .vgpr_count:     0
    .vgpr_spill_count: 0
    .wavefront_size: 32
    .workgroup_processor_mode: 1
  - .args:
      - .offset:         0
        .size:           184
        .value_kind:     by_value
    .group_segment_fixed_size: 0
    .kernarg_segment_align: 8
    .kernarg_segment_size: 184
    .language:       OpenCL C
    .language_version:
      - 2
      - 0
    .max_flat_workgroup_size: 256
    .name:           _ZN7rocprim17ROCPRIM_400000_NS6detail17trampoline_kernelINS0_13select_configILj256ELj13ELNS0_17block_load_methodE3ELS4_3ELS4_3ELNS0_20block_scan_algorithmE0ELj4294967295EEENS1_25partition_config_selectorILNS1_17partition_subalgoE4EjNS0_10empty_typeEbEEZZNS1_14partition_implILS8_4ELb0ES6_15HIP_vector_typeIjLj2EENS0_17counting_iteratorIjlEEPS9_SG_NS0_5tupleIJPjSI_NS0_16reverse_iteratorISI_EEEEENSH_IJSG_SG_SG_EEES9_SI_JZNS1_25segmented_radix_sort_implINS0_14default_configELb1EPKsPsPKlPlN2at6native12_GLOBAL__N_18offset_tEEE10hipError_tPvRmT1_PNSt15iterator_traitsIS12_E10value_typeET2_T3_PNS13_IS18_E10value_typeET4_jRbjT5_S1E_jjP12ihipStream_tbEUljE_ZNSN_ISO_Lb1ESQ_SR_ST_SU_SY_EESZ_S10_S11_S12_S16_S17_S18_S1B_S1C_jS1D_jS1E_S1E_jjS1G_bEUljE0_EEESZ_S10_S11_S18_S1C_S1E_T6_T7_T9_mT8_S1G_bDpT10_ENKUlT_T0_E_clISt17integral_constantIbLb1EES1U_EEDaS1P_S1Q_EUlS1P_E_NS1_11comp_targetILNS1_3genE2ELNS1_11target_archE906ELNS1_3gpuE6ELNS1_3repE0EEENS1_30default_config_static_selectorELNS0_4arch9wavefront6targetE0EEEvS12_
    .private_segment_fixed_size: 0
    .sgpr_count:     0
    .sgpr_spill_count: 0
    .symbol:         _ZN7rocprim17ROCPRIM_400000_NS6detail17trampoline_kernelINS0_13select_configILj256ELj13ELNS0_17block_load_methodE3ELS4_3ELS4_3ELNS0_20block_scan_algorithmE0ELj4294967295EEENS1_25partition_config_selectorILNS1_17partition_subalgoE4EjNS0_10empty_typeEbEEZZNS1_14partition_implILS8_4ELb0ES6_15HIP_vector_typeIjLj2EENS0_17counting_iteratorIjlEEPS9_SG_NS0_5tupleIJPjSI_NS0_16reverse_iteratorISI_EEEEENSH_IJSG_SG_SG_EEES9_SI_JZNS1_25segmented_radix_sort_implINS0_14default_configELb1EPKsPsPKlPlN2at6native12_GLOBAL__N_18offset_tEEE10hipError_tPvRmT1_PNSt15iterator_traitsIS12_E10value_typeET2_T3_PNS13_IS18_E10value_typeET4_jRbjT5_S1E_jjP12ihipStream_tbEUljE_ZNSN_ISO_Lb1ESQ_SR_ST_SU_SY_EESZ_S10_S11_S12_S16_S17_S18_S1B_S1C_jS1D_jS1E_S1E_jjS1G_bEUljE0_EEESZ_S10_S11_S18_S1C_S1E_T6_T7_T9_mT8_S1G_bDpT10_ENKUlT_T0_E_clISt17integral_constantIbLb1EES1U_EEDaS1P_S1Q_EUlS1P_E_NS1_11comp_targetILNS1_3genE2ELNS1_11target_archE906ELNS1_3gpuE6ELNS1_3repE0EEENS1_30default_config_static_selectorELNS0_4arch9wavefront6targetE0EEEvS12_.kd
    .uniform_work_group_size: 1
    .uses_dynamic_stack: false
    .vgpr_count:     0
    .vgpr_spill_count: 0
    .wavefront_size: 32
    .workgroup_processor_mode: 1
  - .args:
      - .offset:         0
        .size:           184
        .value_kind:     by_value
    .group_segment_fixed_size: 0
    .kernarg_segment_align: 8
    .kernarg_segment_size: 184
    .language:       OpenCL C
    .language_version:
      - 2
      - 0
    .max_flat_workgroup_size: 256
    .name:           _ZN7rocprim17ROCPRIM_400000_NS6detail17trampoline_kernelINS0_13select_configILj256ELj13ELNS0_17block_load_methodE3ELS4_3ELS4_3ELNS0_20block_scan_algorithmE0ELj4294967295EEENS1_25partition_config_selectorILNS1_17partition_subalgoE4EjNS0_10empty_typeEbEEZZNS1_14partition_implILS8_4ELb0ES6_15HIP_vector_typeIjLj2EENS0_17counting_iteratorIjlEEPS9_SG_NS0_5tupleIJPjSI_NS0_16reverse_iteratorISI_EEEEENSH_IJSG_SG_SG_EEES9_SI_JZNS1_25segmented_radix_sort_implINS0_14default_configELb1EPKsPsPKlPlN2at6native12_GLOBAL__N_18offset_tEEE10hipError_tPvRmT1_PNSt15iterator_traitsIS12_E10value_typeET2_T3_PNS13_IS18_E10value_typeET4_jRbjT5_S1E_jjP12ihipStream_tbEUljE_ZNSN_ISO_Lb1ESQ_SR_ST_SU_SY_EESZ_S10_S11_S12_S16_S17_S18_S1B_S1C_jS1D_jS1E_S1E_jjS1G_bEUljE0_EEESZ_S10_S11_S18_S1C_S1E_T6_T7_T9_mT8_S1G_bDpT10_ENKUlT_T0_E_clISt17integral_constantIbLb1EES1U_EEDaS1P_S1Q_EUlS1P_E_NS1_11comp_targetILNS1_3genE10ELNS1_11target_archE1200ELNS1_3gpuE4ELNS1_3repE0EEENS1_30default_config_static_selectorELNS0_4arch9wavefront6targetE0EEEvS12_
    .private_segment_fixed_size: 0
    .sgpr_count:     0
    .sgpr_spill_count: 0
    .symbol:         _ZN7rocprim17ROCPRIM_400000_NS6detail17trampoline_kernelINS0_13select_configILj256ELj13ELNS0_17block_load_methodE3ELS4_3ELS4_3ELNS0_20block_scan_algorithmE0ELj4294967295EEENS1_25partition_config_selectorILNS1_17partition_subalgoE4EjNS0_10empty_typeEbEEZZNS1_14partition_implILS8_4ELb0ES6_15HIP_vector_typeIjLj2EENS0_17counting_iteratorIjlEEPS9_SG_NS0_5tupleIJPjSI_NS0_16reverse_iteratorISI_EEEEENSH_IJSG_SG_SG_EEES9_SI_JZNS1_25segmented_radix_sort_implINS0_14default_configELb1EPKsPsPKlPlN2at6native12_GLOBAL__N_18offset_tEEE10hipError_tPvRmT1_PNSt15iterator_traitsIS12_E10value_typeET2_T3_PNS13_IS18_E10value_typeET4_jRbjT5_S1E_jjP12ihipStream_tbEUljE_ZNSN_ISO_Lb1ESQ_SR_ST_SU_SY_EESZ_S10_S11_S12_S16_S17_S18_S1B_S1C_jS1D_jS1E_S1E_jjS1G_bEUljE0_EEESZ_S10_S11_S18_S1C_S1E_T6_T7_T9_mT8_S1G_bDpT10_ENKUlT_T0_E_clISt17integral_constantIbLb1EES1U_EEDaS1P_S1Q_EUlS1P_E_NS1_11comp_targetILNS1_3genE10ELNS1_11target_archE1200ELNS1_3gpuE4ELNS1_3repE0EEENS1_30default_config_static_selectorELNS0_4arch9wavefront6targetE0EEEvS12_.kd
    .uniform_work_group_size: 1
    .uses_dynamic_stack: false
    .vgpr_count:     0
    .vgpr_spill_count: 0
    .wavefront_size: 32
    .workgroup_processor_mode: 1
  - .args:
      - .offset:         0
        .size:           184
        .value_kind:     by_value
    .group_segment_fixed_size: 0
    .kernarg_segment_align: 8
    .kernarg_segment_size: 184
    .language:       OpenCL C
    .language_version:
      - 2
      - 0
    .max_flat_workgroup_size: 256
    .name:           _ZN7rocprim17ROCPRIM_400000_NS6detail17trampoline_kernelINS0_13select_configILj256ELj13ELNS0_17block_load_methodE3ELS4_3ELS4_3ELNS0_20block_scan_algorithmE0ELj4294967295EEENS1_25partition_config_selectorILNS1_17partition_subalgoE4EjNS0_10empty_typeEbEEZZNS1_14partition_implILS8_4ELb0ES6_15HIP_vector_typeIjLj2EENS0_17counting_iteratorIjlEEPS9_SG_NS0_5tupleIJPjSI_NS0_16reverse_iteratorISI_EEEEENSH_IJSG_SG_SG_EEES9_SI_JZNS1_25segmented_radix_sort_implINS0_14default_configELb1EPKsPsPKlPlN2at6native12_GLOBAL__N_18offset_tEEE10hipError_tPvRmT1_PNSt15iterator_traitsIS12_E10value_typeET2_T3_PNS13_IS18_E10value_typeET4_jRbjT5_S1E_jjP12ihipStream_tbEUljE_ZNSN_ISO_Lb1ESQ_SR_ST_SU_SY_EESZ_S10_S11_S12_S16_S17_S18_S1B_S1C_jS1D_jS1E_S1E_jjS1G_bEUljE0_EEESZ_S10_S11_S18_S1C_S1E_T6_T7_T9_mT8_S1G_bDpT10_ENKUlT_T0_E_clISt17integral_constantIbLb1EES1U_EEDaS1P_S1Q_EUlS1P_E_NS1_11comp_targetILNS1_3genE9ELNS1_11target_archE1100ELNS1_3gpuE3ELNS1_3repE0EEENS1_30default_config_static_selectorELNS0_4arch9wavefront6targetE0EEEvS12_
    .private_segment_fixed_size: 0
    .sgpr_count:     0
    .sgpr_spill_count: 0
    .symbol:         _ZN7rocprim17ROCPRIM_400000_NS6detail17trampoline_kernelINS0_13select_configILj256ELj13ELNS0_17block_load_methodE3ELS4_3ELS4_3ELNS0_20block_scan_algorithmE0ELj4294967295EEENS1_25partition_config_selectorILNS1_17partition_subalgoE4EjNS0_10empty_typeEbEEZZNS1_14partition_implILS8_4ELb0ES6_15HIP_vector_typeIjLj2EENS0_17counting_iteratorIjlEEPS9_SG_NS0_5tupleIJPjSI_NS0_16reverse_iteratorISI_EEEEENSH_IJSG_SG_SG_EEES9_SI_JZNS1_25segmented_radix_sort_implINS0_14default_configELb1EPKsPsPKlPlN2at6native12_GLOBAL__N_18offset_tEEE10hipError_tPvRmT1_PNSt15iterator_traitsIS12_E10value_typeET2_T3_PNS13_IS18_E10value_typeET4_jRbjT5_S1E_jjP12ihipStream_tbEUljE_ZNSN_ISO_Lb1ESQ_SR_ST_SU_SY_EESZ_S10_S11_S12_S16_S17_S18_S1B_S1C_jS1D_jS1E_S1E_jjS1G_bEUljE0_EEESZ_S10_S11_S18_S1C_S1E_T6_T7_T9_mT8_S1G_bDpT10_ENKUlT_T0_E_clISt17integral_constantIbLb1EES1U_EEDaS1P_S1Q_EUlS1P_E_NS1_11comp_targetILNS1_3genE9ELNS1_11target_archE1100ELNS1_3gpuE3ELNS1_3repE0EEENS1_30default_config_static_selectorELNS0_4arch9wavefront6targetE0EEEvS12_.kd
    .uniform_work_group_size: 1
    .uses_dynamic_stack: false
    .vgpr_count:     0
    .vgpr_spill_count: 0
    .wavefront_size: 32
    .workgroup_processor_mode: 1
  - .args:
      - .offset:         0
        .size:           184
        .value_kind:     by_value
    .group_segment_fixed_size: 0
    .kernarg_segment_align: 8
    .kernarg_segment_size: 184
    .language:       OpenCL C
    .language_version:
      - 2
      - 0
    .max_flat_workgroup_size: 256
    .name:           _ZN7rocprim17ROCPRIM_400000_NS6detail17trampoline_kernelINS0_13select_configILj256ELj13ELNS0_17block_load_methodE3ELS4_3ELS4_3ELNS0_20block_scan_algorithmE0ELj4294967295EEENS1_25partition_config_selectorILNS1_17partition_subalgoE4EjNS0_10empty_typeEbEEZZNS1_14partition_implILS8_4ELb0ES6_15HIP_vector_typeIjLj2EENS0_17counting_iteratorIjlEEPS9_SG_NS0_5tupleIJPjSI_NS0_16reverse_iteratorISI_EEEEENSH_IJSG_SG_SG_EEES9_SI_JZNS1_25segmented_radix_sort_implINS0_14default_configELb1EPKsPsPKlPlN2at6native12_GLOBAL__N_18offset_tEEE10hipError_tPvRmT1_PNSt15iterator_traitsIS12_E10value_typeET2_T3_PNS13_IS18_E10value_typeET4_jRbjT5_S1E_jjP12ihipStream_tbEUljE_ZNSN_ISO_Lb1ESQ_SR_ST_SU_SY_EESZ_S10_S11_S12_S16_S17_S18_S1B_S1C_jS1D_jS1E_S1E_jjS1G_bEUljE0_EEESZ_S10_S11_S18_S1C_S1E_T6_T7_T9_mT8_S1G_bDpT10_ENKUlT_T0_E_clISt17integral_constantIbLb1EES1U_EEDaS1P_S1Q_EUlS1P_E_NS1_11comp_targetILNS1_3genE8ELNS1_11target_archE1030ELNS1_3gpuE2ELNS1_3repE0EEENS1_30default_config_static_selectorELNS0_4arch9wavefront6targetE0EEEvS12_
    .private_segment_fixed_size: 0
    .sgpr_count:     0
    .sgpr_spill_count: 0
    .symbol:         _ZN7rocprim17ROCPRIM_400000_NS6detail17trampoline_kernelINS0_13select_configILj256ELj13ELNS0_17block_load_methodE3ELS4_3ELS4_3ELNS0_20block_scan_algorithmE0ELj4294967295EEENS1_25partition_config_selectorILNS1_17partition_subalgoE4EjNS0_10empty_typeEbEEZZNS1_14partition_implILS8_4ELb0ES6_15HIP_vector_typeIjLj2EENS0_17counting_iteratorIjlEEPS9_SG_NS0_5tupleIJPjSI_NS0_16reverse_iteratorISI_EEEEENSH_IJSG_SG_SG_EEES9_SI_JZNS1_25segmented_radix_sort_implINS0_14default_configELb1EPKsPsPKlPlN2at6native12_GLOBAL__N_18offset_tEEE10hipError_tPvRmT1_PNSt15iterator_traitsIS12_E10value_typeET2_T3_PNS13_IS18_E10value_typeET4_jRbjT5_S1E_jjP12ihipStream_tbEUljE_ZNSN_ISO_Lb1ESQ_SR_ST_SU_SY_EESZ_S10_S11_S12_S16_S17_S18_S1B_S1C_jS1D_jS1E_S1E_jjS1G_bEUljE0_EEESZ_S10_S11_S18_S1C_S1E_T6_T7_T9_mT8_S1G_bDpT10_ENKUlT_T0_E_clISt17integral_constantIbLb1EES1U_EEDaS1P_S1Q_EUlS1P_E_NS1_11comp_targetILNS1_3genE8ELNS1_11target_archE1030ELNS1_3gpuE2ELNS1_3repE0EEENS1_30default_config_static_selectorELNS0_4arch9wavefront6targetE0EEEvS12_.kd
    .uniform_work_group_size: 1
    .uses_dynamic_stack: false
    .vgpr_count:     0
    .vgpr_spill_count: 0
    .wavefront_size: 32
    .workgroup_processor_mode: 1
  - .args:
      - .offset:         0
        .size:           176
        .value_kind:     by_value
    .group_segment_fixed_size: 0
    .kernarg_segment_align: 8
    .kernarg_segment_size: 176
    .language:       OpenCL C
    .language_version:
      - 2
      - 0
    .max_flat_workgroup_size: 256
    .name:           _ZN7rocprim17ROCPRIM_400000_NS6detail17trampoline_kernelINS0_13select_configILj256ELj13ELNS0_17block_load_methodE3ELS4_3ELS4_3ELNS0_20block_scan_algorithmE0ELj4294967295EEENS1_25partition_config_selectorILNS1_17partition_subalgoE4EjNS0_10empty_typeEbEEZZNS1_14partition_implILS8_4ELb0ES6_15HIP_vector_typeIjLj2EENS0_17counting_iteratorIjlEEPS9_SG_NS0_5tupleIJPjSI_NS0_16reverse_iteratorISI_EEEEENSH_IJSG_SG_SG_EEES9_SI_JZNS1_25segmented_radix_sort_implINS0_14default_configELb1EPKsPsPKlPlN2at6native12_GLOBAL__N_18offset_tEEE10hipError_tPvRmT1_PNSt15iterator_traitsIS12_E10value_typeET2_T3_PNS13_IS18_E10value_typeET4_jRbjT5_S1E_jjP12ihipStream_tbEUljE_ZNSN_ISO_Lb1ESQ_SR_ST_SU_SY_EESZ_S10_S11_S12_S16_S17_S18_S1B_S1C_jS1D_jS1E_S1E_jjS1G_bEUljE0_EEESZ_S10_S11_S18_S1C_S1E_T6_T7_T9_mT8_S1G_bDpT10_ENKUlT_T0_E_clISt17integral_constantIbLb1EES1T_IbLb0EEEEDaS1P_S1Q_EUlS1P_E_NS1_11comp_targetILNS1_3genE0ELNS1_11target_archE4294967295ELNS1_3gpuE0ELNS1_3repE0EEENS1_30default_config_static_selectorELNS0_4arch9wavefront6targetE0EEEvS12_
    .private_segment_fixed_size: 0
    .sgpr_count:     0
    .sgpr_spill_count: 0
    .symbol:         _ZN7rocprim17ROCPRIM_400000_NS6detail17trampoline_kernelINS0_13select_configILj256ELj13ELNS0_17block_load_methodE3ELS4_3ELS4_3ELNS0_20block_scan_algorithmE0ELj4294967295EEENS1_25partition_config_selectorILNS1_17partition_subalgoE4EjNS0_10empty_typeEbEEZZNS1_14partition_implILS8_4ELb0ES6_15HIP_vector_typeIjLj2EENS0_17counting_iteratorIjlEEPS9_SG_NS0_5tupleIJPjSI_NS0_16reverse_iteratorISI_EEEEENSH_IJSG_SG_SG_EEES9_SI_JZNS1_25segmented_radix_sort_implINS0_14default_configELb1EPKsPsPKlPlN2at6native12_GLOBAL__N_18offset_tEEE10hipError_tPvRmT1_PNSt15iterator_traitsIS12_E10value_typeET2_T3_PNS13_IS18_E10value_typeET4_jRbjT5_S1E_jjP12ihipStream_tbEUljE_ZNSN_ISO_Lb1ESQ_SR_ST_SU_SY_EESZ_S10_S11_S12_S16_S17_S18_S1B_S1C_jS1D_jS1E_S1E_jjS1G_bEUljE0_EEESZ_S10_S11_S18_S1C_S1E_T6_T7_T9_mT8_S1G_bDpT10_ENKUlT_T0_E_clISt17integral_constantIbLb1EES1T_IbLb0EEEEDaS1P_S1Q_EUlS1P_E_NS1_11comp_targetILNS1_3genE0ELNS1_11target_archE4294967295ELNS1_3gpuE0ELNS1_3repE0EEENS1_30default_config_static_selectorELNS0_4arch9wavefront6targetE0EEEvS12_.kd
    .uniform_work_group_size: 1
    .uses_dynamic_stack: false
    .vgpr_count:     0
    .vgpr_spill_count: 0
    .wavefront_size: 32
    .workgroup_processor_mode: 1
  - .args:
      - .offset:         0
        .size:           176
        .value_kind:     by_value
    .group_segment_fixed_size: 0
    .kernarg_segment_align: 8
    .kernarg_segment_size: 176
    .language:       OpenCL C
    .language_version:
      - 2
      - 0
    .max_flat_workgroup_size: 256
    .name:           _ZN7rocprim17ROCPRIM_400000_NS6detail17trampoline_kernelINS0_13select_configILj256ELj13ELNS0_17block_load_methodE3ELS4_3ELS4_3ELNS0_20block_scan_algorithmE0ELj4294967295EEENS1_25partition_config_selectorILNS1_17partition_subalgoE4EjNS0_10empty_typeEbEEZZNS1_14partition_implILS8_4ELb0ES6_15HIP_vector_typeIjLj2EENS0_17counting_iteratorIjlEEPS9_SG_NS0_5tupleIJPjSI_NS0_16reverse_iteratorISI_EEEEENSH_IJSG_SG_SG_EEES9_SI_JZNS1_25segmented_radix_sort_implINS0_14default_configELb1EPKsPsPKlPlN2at6native12_GLOBAL__N_18offset_tEEE10hipError_tPvRmT1_PNSt15iterator_traitsIS12_E10value_typeET2_T3_PNS13_IS18_E10value_typeET4_jRbjT5_S1E_jjP12ihipStream_tbEUljE_ZNSN_ISO_Lb1ESQ_SR_ST_SU_SY_EESZ_S10_S11_S12_S16_S17_S18_S1B_S1C_jS1D_jS1E_S1E_jjS1G_bEUljE0_EEESZ_S10_S11_S18_S1C_S1E_T6_T7_T9_mT8_S1G_bDpT10_ENKUlT_T0_E_clISt17integral_constantIbLb1EES1T_IbLb0EEEEDaS1P_S1Q_EUlS1P_E_NS1_11comp_targetILNS1_3genE5ELNS1_11target_archE942ELNS1_3gpuE9ELNS1_3repE0EEENS1_30default_config_static_selectorELNS0_4arch9wavefront6targetE0EEEvS12_
    .private_segment_fixed_size: 0
    .sgpr_count:     0
    .sgpr_spill_count: 0
    .symbol:         _ZN7rocprim17ROCPRIM_400000_NS6detail17trampoline_kernelINS0_13select_configILj256ELj13ELNS0_17block_load_methodE3ELS4_3ELS4_3ELNS0_20block_scan_algorithmE0ELj4294967295EEENS1_25partition_config_selectorILNS1_17partition_subalgoE4EjNS0_10empty_typeEbEEZZNS1_14partition_implILS8_4ELb0ES6_15HIP_vector_typeIjLj2EENS0_17counting_iteratorIjlEEPS9_SG_NS0_5tupleIJPjSI_NS0_16reverse_iteratorISI_EEEEENSH_IJSG_SG_SG_EEES9_SI_JZNS1_25segmented_radix_sort_implINS0_14default_configELb1EPKsPsPKlPlN2at6native12_GLOBAL__N_18offset_tEEE10hipError_tPvRmT1_PNSt15iterator_traitsIS12_E10value_typeET2_T3_PNS13_IS18_E10value_typeET4_jRbjT5_S1E_jjP12ihipStream_tbEUljE_ZNSN_ISO_Lb1ESQ_SR_ST_SU_SY_EESZ_S10_S11_S12_S16_S17_S18_S1B_S1C_jS1D_jS1E_S1E_jjS1G_bEUljE0_EEESZ_S10_S11_S18_S1C_S1E_T6_T7_T9_mT8_S1G_bDpT10_ENKUlT_T0_E_clISt17integral_constantIbLb1EES1T_IbLb0EEEEDaS1P_S1Q_EUlS1P_E_NS1_11comp_targetILNS1_3genE5ELNS1_11target_archE942ELNS1_3gpuE9ELNS1_3repE0EEENS1_30default_config_static_selectorELNS0_4arch9wavefront6targetE0EEEvS12_.kd
    .uniform_work_group_size: 1
    .uses_dynamic_stack: false
    .vgpr_count:     0
    .vgpr_spill_count: 0
    .wavefront_size: 32
    .workgroup_processor_mode: 1
  - .args:
      - .offset:         0
        .size:           176
        .value_kind:     by_value
    .group_segment_fixed_size: 0
    .kernarg_segment_align: 8
    .kernarg_segment_size: 176
    .language:       OpenCL C
    .language_version:
      - 2
      - 0
    .max_flat_workgroup_size: 256
    .name:           _ZN7rocprim17ROCPRIM_400000_NS6detail17trampoline_kernelINS0_13select_configILj256ELj13ELNS0_17block_load_methodE3ELS4_3ELS4_3ELNS0_20block_scan_algorithmE0ELj4294967295EEENS1_25partition_config_selectorILNS1_17partition_subalgoE4EjNS0_10empty_typeEbEEZZNS1_14partition_implILS8_4ELb0ES6_15HIP_vector_typeIjLj2EENS0_17counting_iteratorIjlEEPS9_SG_NS0_5tupleIJPjSI_NS0_16reverse_iteratorISI_EEEEENSH_IJSG_SG_SG_EEES9_SI_JZNS1_25segmented_radix_sort_implINS0_14default_configELb1EPKsPsPKlPlN2at6native12_GLOBAL__N_18offset_tEEE10hipError_tPvRmT1_PNSt15iterator_traitsIS12_E10value_typeET2_T3_PNS13_IS18_E10value_typeET4_jRbjT5_S1E_jjP12ihipStream_tbEUljE_ZNSN_ISO_Lb1ESQ_SR_ST_SU_SY_EESZ_S10_S11_S12_S16_S17_S18_S1B_S1C_jS1D_jS1E_S1E_jjS1G_bEUljE0_EEESZ_S10_S11_S18_S1C_S1E_T6_T7_T9_mT8_S1G_bDpT10_ENKUlT_T0_E_clISt17integral_constantIbLb1EES1T_IbLb0EEEEDaS1P_S1Q_EUlS1P_E_NS1_11comp_targetILNS1_3genE4ELNS1_11target_archE910ELNS1_3gpuE8ELNS1_3repE0EEENS1_30default_config_static_selectorELNS0_4arch9wavefront6targetE0EEEvS12_
    .private_segment_fixed_size: 0
    .sgpr_count:     0
    .sgpr_spill_count: 0
    .symbol:         _ZN7rocprim17ROCPRIM_400000_NS6detail17trampoline_kernelINS0_13select_configILj256ELj13ELNS0_17block_load_methodE3ELS4_3ELS4_3ELNS0_20block_scan_algorithmE0ELj4294967295EEENS1_25partition_config_selectorILNS1_17partition_subalgoE4EjNS0_10empty_typeEbEEZZNS1_14partition_implILS8_4ELb0ES6_15HIP_vector_typeIjLj2EENS0_17counting_iteratorIjlEEPS9_SG_NS0_5tupleIJPjSI_NS0_16reverse_iteratorISI_EEEEENSH_IJSG_SG_SG_EEES9_SI_JZNS1_25segmented_radix_sort_implINS0_14default_configELb1EPKsPsPKlPlN2at6native12_GLOBAL__N_18offset_tEEE10hipError_tPvRmT1_PNSt15iterator_traitsIS12_E10value_typeET2_T3_PNS13_IS18_E10value_typeET4_jRbjT5_S1E_jjP12ihipStream_tbEUljE_ZNSN_ISO_Lb1ESQ_SR_ST_SU_SY_EESZ_S10_S11_S12_S16_S17_S18_S1B_S1C_jS1D_jS1E_S1E_jjS1G_bEUljE0_EEESZ_S10_S11_S18_S1C_S1E_T6_T7_T9_mT8_S1G_bDpT10_ENKUlT_T0_E_clISt17integral_constantIbLb1EES1T_IbLb0EEEEDaS1P_S1Q_EUlS1P_E_NS1_11comp_targetILNS1_3genE4ELNS1_11target_archE910ELNS1_3gpuE8ELNS1_3repE0EEENS1_30default_config_static_selectorELNS0_4arch9wavefront6targetE0EEEvS12_.kd
    .uniform_work_group_size: 1
    .uses_dynamic_stack: false
    .vgpr_count:     0
    .vgpr_spill_count: 0
    .wavefront_size: 32
    .workgroup_processor_mode: 1
  - .args:
      - .offset:         0
        .size:           176
        .value_kind:     by_value
    .group_segment_fixed_size: 0
    .kernarg_segment_align: 8
    .kernarg_segment_size: 176
    .language:       OpenCL C
    .language_version:
      - 2
      - 0
    .max_flat_workgroup_size: 256
    .name:           _ZN7rocprim17ROCPRIM_400000_NS6detail17trampoline_kernelINS0_13select_configILj256ELj13ELNS0_17block_load_methodE3ELS4_3ELS4_3ELNS0_20block_scan_algorithmE0ELj4294967295EEENS1_25partition_config_selectorILNS1_17partition_subalgoE4EjNS0_10empty_typeEbEEZZNS1_14partition_implILS8_4ELb0ES6_15HIP_vector_typeIjLj2EENS0_17counting_iteratorIjlEEPS9_SG_NS0_5tupleIJPjSI_NS0_16reverse_iteratorISI_EEEEENSH_IJSG_SG_SG_EEES9_SI_JZNS1_25segmented_radix_sort_implINS0_14default_configELb1EPKsPsPKlPlN2at6native12_GLOBAL__N_18offset_tEEE10hipError_tPvRmT1_PNSt15iterator_traitsIS12_E10value_typeET2_T3_PNS13_IS18_E10value_typeET4_jRbjT5_S1E_jjP12ihipStream_tbEUljE_ZNSN_ISO_Lb1ESQ_SR_ST_SU_SY_EESZ_S10_S11_S12_S16_S17_S18_S1B_S1C_jS1D_jS1E_S1E_jjS1G_bEUljE0_EEESZ_S10_S11_S18_S1C_S1E_T6_T7_T9_mT8_S1G_bDpT10_ENKUlT_T0_E_clISt17integral_constantIbLb1EES1T_IbLb0EEEEDaS1P_S1Q_EUlS1P_E_NS1_11comp_targetILNS1_3genE3ELNS1_11target_archE908ELNS1_3gpuE7ELNS1_3repE0EEENS1_30default_config_static_selectorELNS0_4arch9wavefront6targetE0EEEvS12_
    .private_segment_fixed_size: 0
    .sgpr_count:     0
    .sgpr_spill_count: 0
    .symbol:         _ZN7rocprim17ROCPRIM_400000_NS6detail17trampoline_kernelINS0_13select_configILj256ELj13ELNS0_17block_load_methodE3ELS4_3ELS4_3ELNS0_20block_scan_algorithmE0ELj4294967295EEENS1_25partition_config_selectorILNS1_17partition_subalgoE4EjNS0_10empty_typeEbEEZZNS1_14partition_implILS8_4ELb0ES6_15HIP_vector_typeIjLj2EENS0_17counting_iteratorIjlEEPS9_SG_NS0_5tupleIJPjSI_NS0_16reverse_iteratorISI_EEEEENSH_IJSG_SG_SG_EEES9_SI_JZNS1_25segmented_radix_sort_implINS0_14default_configELb1EPKsPsPKlPlN2at6native12_GLOBAL__N_18offset_tEEE10hipError_tPvRmT1_PNSt15iterator_traitsIS12_E10value_typeET2_T3_PNS13_IS18_E10value_typeET4_jRbjT5_S1E_jjP12ihipStream_tbEUljE_ZNSN_ISO_Lb1ESQ_SR_ST_SU_SY_EESZ_S10_S11_S12_S16_S17_S18_S1B_S1C_jS1D_jS1E_S1E_jjS1G_bEUljE0_EEESZ_S10_S11_S18_S1C_S1E_T6_T7_T9_mT8_S1G_bDpT10_ENKUlT_T0_E_clISt17integral_constantIbLb1EES1T_IbLb0EEEEDaS1P_S1Q_EUlS1P_E_NS1_11comp_targetILNS1_3genE3ELNS1_11target_archE908ELNS1_3gpuE7ELNS1_3repE0EEENS1_30default_config_static_selectorELNS0_4arch9wavefront6targetE0EEEvS12_.kd
    .uniform_work_group_size: 1
    .uses_dynamic_stack: false
    .vgpr_count:     0
    .vgpr_spill_count: 0
    .wavefront_size: 32
    .workgroup_processor_mode: 1
  - .args:
      - .offset:         0
        .size:           176
        .value_kind:     by_value
    .group_segment_fixed_size: 0
    .kernarg_segment_align: 8
    .kernarg_segment_size: 176
    .language:       OpenCL C
    .language_version:
      - 2
      - 0
    .max_flat_workgroup_size: 256
    .name:           _ZN7rocprim17ROCPRIM_400000_NS6detail17trampoline_kernelINS0_13select_configILj256ELj13ELNS0_17block_load_methodE3ELS4_3ELS4_3ELNS0_20block_scan_algorithmE0ELj4294967295EEENS1_25partition_config_selectorILNS1_17partition_subalgoE4EjNS0_10empty_typeEbEEZZNS1_14partition_implILS8_4ELb0ES6_15HIP_vector_typeIjLj2EENS0_17counting_iteratorIjlEEPS9_SG_NS0_5tupleIJPjSI_NS0_16reverse_iteratorISI_EEEEENSH_IJSG_SG_SG_EEES9_SI_JZNS1_25segmented_radix_sort_implINS0_14default_configELb1EPKsPsPKlPlN2at6native12_GLOBAL__N_18offset_tEEE10hipError_tPvRmT1_PNSt15iterator_traitsIS12_E10value_typeET2_T3_PNS13_IS18_E10value_typeET4_jRbjT5_S1E_jjP12ihipStream_tbEUljE_ZNSN_ISO_Lb1ESQ_SR_ST_SU_SY_EESZ_S10_S11_S12_S16_S17_S18_S1B_S1C_jS1D_jS1E_S1E_jjS1G_bEUljE0_EEESZ_S10_S11_S18_S1C_S1E_T6_T7_T9_mT8_S1G_bDpT10_ENKUlT_T0_E_clISt17integral_constantIbLb1EES1T_IbLb0EEEEDaS1P_S1Q_EUlS1P_E_NS1_11comp_targetILNS1_3genE2ELNS1_11target_archE906ELNS1_3gpuE6ELNS1_3repE0EEENS1_30default_config_static_selectorELNS0_4arch9wavefront6targetE0EEEvS12_
    .private_segment_fixed_size: 0
    .sgpr_count:     0
    .sgpr_spill_count: 0
    .symbol:         _ZN7rocprim17ROCPRIM_400000_NS6detail17trampoline_kernelINS0_13select_configILj256ELj13ELNS0_17block_load_methodE3ELS4_3ELS4_3ELNS0_20block_scan_algorithmE0ELj4294967295EEENS1_25partition_config_selectorILNS1_17partition_subalgoE4EjNS0_10empty_typeEbEEZZNS1_14partition_implILS8_4ELb0ES6_15HIP_vector_typeIjLj2EENS0_17counting_iteratorIjlEEPS9_SG_NS0_5tupleIJPjSI_NS0_16reverse_iteratorISI_EEEEENSH_IJSG_SG_SG_EEES9_SI_JZNS1_25segmented_radix_sort_implINS0_14default_configELb1EPKsPsPKlPlN2at6native12_GLOBAL__N_18offset_tEEE10hipError_tPvRmT1_PNSt15iterator_traitsIS12_E10value_typeET2_T3_PNS13_IS18_E10value_typeET4_jRbjT5_S1E_jjP12ihipStream_tbEUljE_ZNSN_ISO_Lb1ESQ_SR_ST_SU_SY_EESZ_S10_S11_S12_S16_S17_S18_S1B_S1C_jS1D_jS1E_S1E_jjS1G_bEUljE0_EEESZ_S10_S11_S18_S1C_S1E_T6_T7_T9_mT8_S1G_bDpT10_ENKUlT_T0_E_clISt17integral_constantIbLb1EES1T_IbLb0EEEEDaS1P_S1Q_EUlS1P_E_NS1_11comp_targetILNS1_3genE2ELNS1_11target_archE906ELNS1_3gpuE6ELNS1_3repE0EEENS1_30default_config_static_selectorELNS0_4arch9wavefront6targetE0EEEvS12_.kd
    .uniform_work_group_size: 1
    .uses_dynamic_stack: false
    .vgpr_count:     0
    .vgpr_spill_count: 0
    .wavefront_size: 32
    .workgroup_processor_mode: 1
  - .args:
      - .offset:         0
        .size:           176
        .value_kind:     by_value
    .group_segment_fixed_size: 0
    .kernarg_segment_align: 8
    .kernarg_segment_size: 176
    .language:       OpenCL C
    .language_version:
      - 2
      - 0
    .max_flat_workgroup_size: 256
    .name:           _ZN7rocprim17ROCPRIM_400000_NS6detail17trampoline_kernelINS0_13select_configILj256ELj13ELNS0_17block_load_methodE3ELS4_3ELS4_3ELNS0_20block_scan_algorithmE0ELj4294967295EEENS1_25partition_config_selectorILNS1_17partition_subalgoE4EjNS0_10empty_typeEbEEZZNS1_14partition_implILS8_4ELb0ES6_15HIP_vector_typeIjLj2EENS0_17counting_iteratorIjlEEPS9_SG_NS0_5tupleIJPjSI_NS0_16reverse_iteratorISI_EEEEENSH_IJSG_SG_SG_EEES9_SI_JZNS1_25segmented_radix_sort_implINS0_14default_configELb1EPKsPsPKlPlN2at6native12_GLOBAL__N_18offset_tEEE10hipError_tPvRmT1_PNSt15iterator_traitsIS12_E10value_typeET2_T3_PNS13_IS18_E10value_typeET4_jRbjT5_S1E_jjP12ihipStream_tbEUljE_ZNSN_ISO_Lb1ESQ_SR_ST_SU_SY_EESZ_S10_S11_S12_S16_S17_S18_S1B_S1C_jS1D_jS1E_S1E_jjS1G_bEUljE0_EEESZ_S10_S11_S18_S1C_S1E_T6_T7_T9_mT8_S1G_bDpT10_ENKUlT_T0_E_clISt17integral_constantIbLb1EES1T_IbLb0EEEEDaS1P_S1Q_EUlS1P_E_NS1_11comp_targetILNS1_3genE10ELNS1_11target_archE1200ELNS1_3gpuE4ELNS1_3repE0EEENS1_30default_config_static_selectorELNS0_4arch9wavefront6targetE0EEEvS12_
    .private_segment_fixed_size: 0
    .sgpr_count:     0
    .sgpr_spill_count: 0
    .symbol:         _ZN7rocprim17ROCPRIM_400000_NS6detail17trampoline_kernelINS0_13select_configILj256ELj13ELNS0_17block_load_methodE3ELS4_3ELS4_3ELNS0_20block_scan_algorithmE0ELj4294967295EEENS1_25partition_config_selectorILNS1_17partition_subalgoE4EjNS0_10empty_typeEbEEZZNS1_14partition_implILS8_4ELb0ES6_15HIP_vector_typeIjLj2EENS0_17counting_iteratorIjlEEPS9_SG_NS0_5tupleIJPjSI_NS0_16reverse_iteratorISI_EEEEENSH_IJSG_SG_SG_EEES9_SI_JZNS1_25segmented_radix_sort_implINS0_14default_configELb1EPKsPsPKlPlN2at6native12_GLOBAL__N_18offset_tEEE10hipError_tPvRmT1_PNSt15iterator_traitsIS12_E10value_typeET2_T3_PNS13_IS18_E10value_typeET4_jRbjT5_S1E_jjP12ihipStream_tbEUljE_ZNSN_ISO_Lb1ESQ_SR_ST_SU_SY_EESZ_S10_S11_S12_S16_S17_S18_S1B_S1C_jS1D_jS1E_S1E_jjS1G_bEUljE0_EEESZ_S10_S11_S18_S1C_S1E_T6_T7_T9_mT8_S1G_bDpT10_ENKUlT_T0_E_clISt17integral_constantIbLb1EES1T_IbLb0EEEEDaS1P_S1Q_EUlS1P_E_NS1_11comp_targetILNS1_3genE10ELNS1_11target_archE1200ELNS1_3gpuE4ELNS1_3repE0EEENS1_30default_config_static_selectorELNS0_4arch9wavefront6targetE0EEEvS12_.kd
    .uniform_work_group_size: 1
    .uses_dynamic_stack: false
    .vgpr_count:     0
    .vgpr_spill_count: 0
    .wavefront_size: 32
    .workgroup_processor_mode: 1
  - .args:
      - .offset:         0
        .size:           176
        .value_kind:     by_value
    .group_segment_fixed_size: 0
    .kernarg_segment_align: 8
    .kernarg_segment_size: 176
    .language:       OpenCL C
    .language_version:
      - 2
      - 0
    .max_flat_workgroup_size: 256
    .name:           _ZN7rocprim17ROCPRIM_400000_NS6detail17trampoline_kernelINS0_13select_configILj256ELj13ELNS0_17block_load_methodE3ELS4_3ELS4_3ELNS0_20block_scan_algorithmE0ELj4294967295EEENS1_25partition_config_selectorILNS1_17partition_subalgoE4EjNS0_10empty_typeEbEEZZNS1_14partition_implILS8_4ELb0ES6_15HIP_vector_typeIjLj2EENS0_17counting_iteratorIjlEEPS9_SG_NS0_5tupleIJPjSI_NS0_16reverse_iteratorISI_EEEEENSH_IJSG_SG_SG_EEES9_SI_JZNS1_25segmented_radix_sort_implINS0_14default_configELb1EPKsPsPKlPlN2at6native12_GLOBAL__N_18offset_tEEE10hipError_tPvRmT1_PNSt15iterator_traitsIS12_E10value_typeET2_T3_PNS13_IS18_E10value_typeET4_jRbjT5_S1E_jjP12ihipStream_tbEUljE_ZNSN_ISO_Lb1ESQ_SR_ST_SU_SY_EESZ_S10_S11_S12_S16_S17_S18_S1B_S1C_jS1D_jS1E_S1E_jjS1G_bEUljE0_EEESZ_S10_S11_S18_S1C_S1E_T6_T7_T9_mT8_S1G_bDpT10_ENKUlT_T0_E_clISt17integral_constantIbLb1EES1T_IbLb0EEEEDaS1P_S1Q_EUlS1P_E_NS1_11comp_targetILNS1_3genE9ELNS1_11target_archE1100ELNS1_3gpuE3ELNS1_3repE0EEENS1_30default_config_static_selectorELNS0_4arch9wavefront6targetE0EEEvS12_
    .private_segment_fixed_size: 0
    .sgpr_count:     0
    .sgpr_spill_count: 0
    .symbol:         _ZN7rocprim17ROCPRIM_400000_NS6detail17trampoline_kernelINS0_13select_configILj256ELj13ELNS0_17block_load_methodE3ELS4_3ELS4_3ELNS0_20block_scan_algorithmE0ELj4294967295EEENS1_25partition_config_selectorILNS1_17partition_subalgoE4EjNS0_10empty_typeEbEEZZNS1_14partition_implILS8_4ELb0ES6_15HIP_vector_typeIjLj2EENS0_17counting_iteratorIjlEEPS9_SG_NS0_5tupleIJPjSI_NS0_16reverse_iteratorISI_EEEEENSH_IJSG_SG_SG_EEES9_SI_JZNS1_25segmented_radix_sort_implINS0_14default_configELb1EPKsPsPKlPlN2at6native12_GLOBAL__N_18offset_tEEE10hipError_tPvRmT1_PNSt15iterator_traitsIS12_E10value_typeET2_T3_PNS13_IS18_E10value_typeET4_jRbjT5_S1E_jjP12ihipStream_tbEUljE_ZNSN_ISO_Lb1ESQ_SR_ST_SU_SY_EESZ_S10_S11_S12_S16_S17_S18_S1B_S1C_jS1D_jS1E_S1E_jjS1G_bEUljE0_EEESZ_S10_S11_S18_S1C_S1E_T6_T7_T9_mT8_S1G_bDpT10_ENKUlT_T0_E_clISt17integral_constantIbLb1EES1T_IbLb0EEEEDaS1P_S1Q_EUlS1P_E_NS1_11comp_targetILNS1_3genE9ELNS1_11target_archE1100ELNS1_3gpuE3ELNS1_3repE0EEENS1_30default_config_static_selectorELNS0_4arch9wavefront6targetE0EEEvS12_.kd
    .uniform_work_group_size: 1
    .uses_dynamic_stack: false
    .vgpr_count:     0
    .vgpr_spill_count: 0
    .wavefront_size: 32
    .workgroup_processor_mode: 1
  - .args:
      - .offset:         0
        .size:           176
        .value_kind:     by_value
    .group_segment_fixed_size: 0
    .kernarg_segment_align: 8
    .kernarg_segment_size: 176
    .language:       OpenCL C
    .language_version:
      - 2
      - 0
    .max_flat_workgroup_size: 256
    .name:           _ZN7rocprim17ROCPRIM_400000_NS6detail17trampoline_kernelINS0_13select_configILj256ELj13ELNS0_17block_load_methodE3ELS4_3ELS4_3ELNS0_20block_scan_algorithmE0ELj4294967295EEENS1_25partition_config_selectorILNS1_17partition_subalgoE4EjNS0_10empty_typeEbEEZZNS1_14partition_implILS8_4ELb0ES6_15HIP_vector_typeIjLj2EENS0_17counting_iteratorIjlEEPS9_SG_NS0_5tupleIJPjSI_NS0_16reverse_iteratorISI_EEEEENSH_IJSG_SG_SG_EEES9_SI_JZNS1_25segmented_radix_sort_implINS0_14default_configELb1EPKsPsPKlPlN2at6native12_GLOBAL__N_18offset_tEEE10hipError_tPvRmT1_PNSt15iterator_traitsIS12_E10value_typeET2_T3_PNS13_IS18_E10value_typeET4_jRbjT5_S1E_jjP12ihipStream_tbEUljE_ZNSN_ISO_Lb1ESQ_SR_ST_SU_SY_EESZ_S10_S11_S12_S16_S17_S18_S1B_S1C_jS1D_jS1E_S1E_jjS1G_bEUljE0_EEESZ_S10_S11_S18_S1C_S1E_T6_T7_T9_mT8_S1G_bDpT10_ENKUlT_T0_E_clISt17integral_constantIbLb1EES1T_IbLb0EEEEDaS1P_S1Q_EUlS1P_E_NS1_11comp_targetILNS1_3genE8ELNS1_11target_archE1030ELNS1_3gpuE2ELNS1_3repE0EEENS1_30default_config_static_selectorELNS0_4arch9wavefront6targetE0EEEvS12_
    .private_segment_fixed_size: 0
    .sgpr_count:     0
    .sgpr_spill_count: 0
    .symbol:         _ZN7rocprim17ROCPRIM_400000_NS6detail17trampoline_kernelINS0_13select_configILj256ELj13ELNS0_17block_load_methodE3ELS4_3ELS4_3ELNS0_20block_scan_algorithmE0ELj4294967295EEENS1_25partition_config_selectorILNS1_17partition_subalgoE4EjNS0_10empty_typeEbEEZZNS1_14partition_implILS8_4ELb0ES6_15HIP_vector_typeIjLj2EENS0_17counting_iteratorIjlEEPS9_SG_NS0_5tupleIJPjSI_NS0_16reverse_iteratorISI_EEEEENSH_IJSG_SG_SG_EEES9_SI_JZNS1_25segmented_radix_sort_implINS0_14default_configELb1EPKsPsPKlPlN2at6native12_GLOBAL__N_18offset_tEEE10hipError_tPvRmT1_PNSt15iterator_traitsIS12_E10value_typeET2_T3_PNS13_IS18_E10value_typeET4_jRbjT5_S1E_jjP12ihipStream_tbEUljE_ZNSN_ISO_Lb1ESQ_SR_ST_SU_SY_EESZ_S10_S11_S12_S16_S17_S18_S1B_S1C_jS1D_jS1E_S1E_jjS1G_bEUljE0_EEESZ_S10_S11_S18_S1C_S1E_T6_T7_T9_mT8_S1G_bDpT10_ENKUlT_T0_E_clISt17integral_constantIbLb1EES1T_IbLb0EEEEDaS1P_S1Q_EUlS1P_E_NS1_11comp_targetILNS1_3genE8ELNS1_11target_archE1030ELNS1_3gpuE2ELNS1_3repE0EEENS1_30default_config_static_selectorELNS0_4arch9wavefront6targetE0EEEvS12_.kd
    .uniform_work_group_size: 1
    .uses_dynamic_stack: false
    .vgpr_count:     0
    .vgpr_spill_count: 0
    .wavefront_size: 32
    .workgroup_processor_mode: 1
  - .args:
      - .offset:         0
        .size:           184
        .value_kind:     by_value
    .group_segment_fixed_size: 0
    .kernarg_segment_align: 8
    .kernarg_segment_size: 184
    .language:       OpenCL C
    .language_version:
      - 2
      - 0
    .max_flat_workgroup_size: 256
    .name:           _ZN7rocprim17ROCPRIM_400000_NS6detail17trampoline_kernelINS0_13select_configILj256ELj13ELNS0_17block_load_methodE3ELS4_3ELS4_3ELNS0_20block_scan_algorithmE0ELj4294967295EEENS1_25partition_config_selectorILNS1_17partition_subalgoE4EjNS0_10empty_typeEbEEZZNS1_14partition_implILS8_4ELb0ES6_15HIP_vector_typeIjLj2EENS0_17counting_iteratorIjlEEPS9_SG_NS0_5tupleIJPjSI_NS0_16reverse_iteratorISI_EEEEENSH_IJSG_SG_SG_EEES9_SI_JZNS1_25segmented_radix_sort_implINS0_14default_configELb1EPKsPsPKlPlN2at6native12_GLOBAL__N_18offset_tEEE10hipError_tPvRmT1_PNSt15iterator_traitsIS12_E10value_typeET2_T3_PNS13_IS18_E10value_typeET4_jRbjT5_S1E_jjP12ihipStream_tbEUljE_ZNSN_ISO_Lb1ESQ_SR_ST_SU_SY_EESZ_S10_S11_S12_S16_S17_S18_S1B_S1C_jS1D_jS1E_S1E_jjS1G_bEUljE0_EEESZ_S10_S11_S18_S1C_S1E_T6_T7_T9_mT8_S1G_bDpT10_ENKUlT_T0_E_clISt17integral_constantIbLb0EES1T_IbLb1EEEEDaS1P_S1Q_EUlS1P_E_NS1_11comp_targetILNS1_3genE0ELNS1_11target_archE4294967295ELNS1_3gpuE0ELNS1_3repE0EEENS1_30default_config_static_selectorELNS0_4arch9wavefront6targetE0EEEvS12_
    .private_segment_fixed_size: 0
    .sgpr_count:     0
    .sgpr_spill_count: 0
    .symbol:         _ZN7rocprim17ROCPRIM_400000_NS6detail17trampoline_kernelINS0_13select_configILj256ELj13ELNS0_17block_load_methodE3ELS4_3ELS4_3ELNS0_20block_scan_algorithmE0ELj4294967295EEENS1_25partition_config_selectorILNS1_17partition_subalgoE4EjNS0_10empty_typeEbEEZZNS1_14partition_implILS8_4ELb0ES6_15HIP_vector_typeIjLj2EENS0_17counting_iteratorIjlEEPS9_SG_NS0_5tupleIJPjSI_NS0_16reverse_iteratorISI_EEEEENSH_IJSG_SG_SG_EEES9_SI_JZNS1_25segmented_radix_sort_implINS0_14default_configELb1EPKsPsPKlPlN2at6native12_GLOBAL__N_18offset_tEEE10hipError_tPvRmT1_PNSt15iterator_traitsIS12_E10value_typeET2_T3_PNS13_IS18_E10value_typeET4_jRbjT5_S1E_jjP12ihipStream_tbEUljE_ZNSN_ISO_Lb1ESQ_SR_ST_SU_SY_EESZ_S10_S11_S12_S16_S17_S18_S1B_S1C_jS1D_jS1E_S1E_jjS1G_bEUljE0_EEESZ_S10_S11_S18_S1C_S1E_T6_T7_T9_mT8_S1G_bDpT10_ENKUlT_T0_E_clISt17integral_constantIbLb0EES1T_IbLb1EEEEDaS1P_S1Q_EUlS1P_E_NS1_11comp_targetILNS1_3genE0ELNS1_11target_archE4294967295ELNS1_3gpuE0ELNS1_3repE0EEENS1_30default_config_static_selectorELNS0_4arch9wavefront6targetE0EEEvS12_.kd
    .uniform_work_group_size: 1
    .uses_dynamic_stack: false
    .vgpr_count:     0
    .vgpr_spill_count: 0
    .wavefront_size: 32
    .workgroup_processor_mode: 1
  - .args:
      - .offset:         0
        .size:           184
        .value_kind:     by_value
    .group_segment_fixed_size: 0
    .kernarg_segment_align: 8
    .kernarg_segment_size: 184
    .language:       OpenCL C
    .language_version:
      - 2
      - 0
    .max_flat_workgroup_size: 256
    .name:           _ZN7rocprim17ROCPRIM_400000_NS6detail17trampoline_kernelINS0_13select_configILj256ELj13ELNS0_17block_load_methodE3ELS4_3ELS4_3ELNS0_20block_scan_algorithmE0ELj4294967295EEENS1_25partition_config_selectorILNS1_17partition_subalgoE4EjNS0_10empty_typeEbEEZZNS1_14partition_implILS8_4ELb0ES6_15HIP_vector_typeIjLj2EENS0_17counting_iteratorIjlEEPS9_SG_NS0_5tupleIJPjSI_NS0_16reverse_iteratorISI_EEEEENSH_IJSG_SG_SG_EEES9_SI_JZNS1_25segmented_radix_sort_implINS0_14default_configELb1EPKsPsPKlPlN2at6native12_GLOBAL__N_18offset_tEEE10hipError_tPvRmT1_PNSt15iterator_traitsIS12_E10value_typeET2_T3_PNS13_IS18_E10value_typeET4_jRbjT5_S1E_jjP12ihipStream_tbEUljE_ZNSN_ISO_Lb1ESQ_SR_ST_SU_SY_EESZ_S10_S11_S12_S16_S17_S18_S1B_S1C_jS1D_jS1E_S1E_jjS1G_bEUljE0_EEESZ_S10_S11_S18_S1C_S1E_T6_T7_T9_mT8_S1G_bDpT10_ENKUlT_T0_E_clISt17integral_constantIbLb0EES1T_IbLb1EEEEDaS1P_S1Q_EUlS1P_E_NS1_11comp_targetILNS1_3genE5ELNS1_11target_archE942ELNS1_3gpuE9ELNS1_3repE0EEENS1_30default_config_static_selectorELNS0_4arch9wavefront6targetE0EEEvS12_
    .private_segment_fixed_size: 0
    .sgpr_count:     0
    .sgpr_spill_count: 0
    .symbol:         _ZN7rocprim17ROCPRIM_400000_NS6detail17trampoline_kernelINS0_13select_configILj256ELj13ELNS0_17block_load_methodE3ELS4_3ELS4_3ELNS0_20block_scan_algorithmE0ELj4294967295EEENS1_25partition_config_selectorILNS1_17partition_subalgoE4EjNS0_10empty_typeEbEEZZNS1_14partition_implILS8_4ELb0ES6_15HIP_vector_typeIjLj2EENS0_17counting_iteratorIjlEEPS9_SG_NS0_5tupleIJPjSI_NS0_16reverse_iteratorISI_EEEEENSH_IJSG_SG_SG_EEES9_SI_JZNS1_25segmented_radix_sort_implINS0_14default_configELb1EPKsPsPKlPlN2at6native12_GLOBAL__N_18offset_tEEE10hipError_tPvRmT1_PNSt15iterator_traitsIS12_E10value_typeET2_T3_PNS13_IS18_E10value_typeET4_jRbjT5_S1E_jjP12ihipStream_tbEUljE_ZNSN_ISO_Lb1ESQ_SR_ST_SU_SY_EESZ_S10_S11_S12_S16_S17_S18_S1B_S1C_jS1D_jS1E_S1E_jjS1G_bEUljE0_EEESZ_S10_S11_S18_S1C_S1E_T6_T7_T9_mT8_S1G_bDpT10_ENKUlT_T0_E_clISt17integral_constantIbLb0EES1T_IbLb1EEEEDaS1P_S1Q_EUlS1P_E_NS1_11comp_targetILNS1_3genE5ELNS1_11target_archE942ELNS1_3gpuE9ELNS1_3repE0EEENS1_30default_config_static_selectorELNS0_4arch9wavefront6targetE0EEEvS12_.kd
    .uniform_work_group_size: 1
    .uses_dynamic_stack: false
    .vgpr_count:     0
    .vgpr_spill_count: 0
    .wavefront_size: 32
    .workgroup_processor_mode: 1
  - .args:
      - .offset:         0
        .size:           184
        .value_kind:     by_value
    .group_segment_fixed_size: 0
    .kernarg_segment_align: 8
    .kernarg_segment_size: 184
    .language:       OpenCL C
    .language_version:
      - 2
      - 0
    .max_flat_workgroup_size: 256
    .name:           _ZN7rocprim17ROCPRIM_400000_NS6detail17trampoline_kernelINS0_13select_configILj256ELj13ELNS0_17block_load_methodE3ELS4_3ELS4_3ELNS0_20block_scan_algorithmE0ELj4294967295EEENS1_25partition_config_selectorILNS1_17partition_subalgoE4EjNS0_10empty_typeEbEEZZNS1_14partition_implILS8_4ELb0ES6_15HIP_vector_typeIjLj2EENS0_17counting_iteratorIjlEEPS9_SG_NS0_5tupleIJPjSI_NS0_16reverse_iteratorISI_EEEEENSH_IJSG_SG_SG_EEES9_SI_JZNS1_25segmented_radix_sort_implINS0_14default_configELb1EPKsPsPKlPlN2at6native12_GLOBAL__N_18offset_tEEE10hipError_tPvRmT1_PNSt15iterator_traitsIS12_E10value_typeET2_T3_PNS13_IS18_E10value_typeET4_jRbjT5_S1E_jjP12ihipStream_tbEUljE_ZNSN_ISO_Lb1ESQ_SR_ST_SU_SY_EESZ_S10_S11_S12_S16_S17_S18_S1B_S1C_jS1D_jS1E_S1E_jjS1G_bEUljE0_EEESZ_S10_S11_S18_S1C_S1E_T6_T7_T9_mT8_S1G_bDpT10_ENKUlT_T0_E_clISt17integral_constantIbLb0EES1T_IbLb1EEEEDaS1P_S1Q_EUlS1P_E_NS1_11comp_targetILNS1_3genE4ELNS1_11target_archE910ELNS1_3gpuE8ELNS1_3repE0EEENS1_30default_config_static_selectorELNS0_4arch9wavefront6targetE0EEEvS12_
    .private_segment_fixed_size: 0
    .sgpr_count:     0
    .sgpr_spill_count: 0
    .symbol:         _ZN7rocprim17ROCPRIM_400000_NS6detail17trampoline_kernelINS0_13select_configILj256ELj13ELNS0_17block_load_methodE3ELS4_3ELS4_3ELNS0_20block_scan_algorithmE0ELj4294967295EEENS1_25partition_config_selectorILNS1_17partition_subalgoE4EjNS0_10empty_typeEbEEZZNS1_14partition_implILS8_4ELb0ES6_15HIP_vector_typeIjLj2EENS0_17counting_iteratorIjlEEPS9_SG_NS0_5tupleIJPjSI_NS0_16reverse_iteratorISI_EEEEENSH_IJSG_SG_SG_EEES9_SI_JZNS1_25segmented_radix_sort_implINS0_14default_configELb1EPKsPsPKlPlN2at6native12_GLOBAL__N_18offset_tEEE10hipError_tPvRmT1_PNSt15iterator_traitsIS12_E10value_typeET2_T3_PNS13_IS18_E10value_typeET4_jRbjT5_S1E_jjP12ihipStream_tbEUljE_ZNSN_ISO_Lb1ESQ_SR_ST_SU_SY_EESZ_S10_S11_S12_S16_S17_S18_S1B_S1C_jS1D_jS1E_S1E_jjS1G_bEUljE0_EEESZ_S10_S11_S18_S1C_S1E_T6_T7_T9_mT8_S1G_bDpT10_ENKUlT_T0_E_clISt17integral_constantIbLb0EES1T_IbLb1EEEEDaS1P_S1Q_EUlS1P_E_NS1_11comp_targetILNS1_3genE4ELNS1_11target_archE910ELNS1_3gpuE8ELNS1_3repE0EEENS1_30default_config_static_selectorELNS0_4arch9wavefront6targetE0EEEvS12_.kd
    .uniform_work_group_size: 1
    .uses_dynamic_stack: false
    .vgpr_count:     0
    .vgpr_spill_count: 0
    .wavefront_size: 32
    .workgroup_processor_mode: 1
  - .args:
      - .offset:         0
        .size:           184
        .value_kind:     by_value
    .group_segment_fixed_size: 0
    .kernarg_segment_align: 8
    .kernarg_segment_size: 184
    .language:       OpenCL C
    .language_version:
      - 2
      - 0
    .max_flat_workgroup_size: 256
    .name:           _ZN7rocprim17ROCPRIM_400000_NS6detail17trampoline_kernelINS0_13select_configILj256ELj13ELNS0_17block_load_methodE3ELS4_3ELS4_3ELNS0_20block_scan_algorithmE0ELj4294967295EEENS1_25partition_config_selectorILNS1_17partition_subalgoE4EjNS0_10empty_typeEbEEZZNS1_14partition_implILS8_4ELb0ES6_15HIP_vector_typeIjLj2EENS0_17counting_iteratorIjlEEPS9_SG_NS0_5tupleIJPjSI_NS0_16reverse_iteratorISI_EEEEENSH_IJSG_SG_SG_EEES9_SI_JZNS1_25segmented_radix_sort_implINS0_14default_configELb1EPKsPsPKlPlN2at6native12_GLOBAL__N_18offset_tEEE10hipError_tPvRmT1_PNSt15iterator_traitsIS12_E10value_typeET2_T3_PNS13_IS18_E10value_typeET4_jRbjT5_S1E_jjP12ihipStream_tbEUljE_ZNSN_ISO_Lb1ESQ_SR_ST_SU_SY_EESZ_S10_S11_S12_S16_S17_S18_S1B_S1C_jS1D_jS1E_S1E_jjS1G_bEUljE0_EEESZ_S10_S11_S18_S1C_S1E_T6_T7_T9_mT8_S1G_bDpT10_ENKUlT_T0_E_clISt17integral_constantIbLb0EES1T_IbLb1EEEEDaS1P_S1Q_EUlS1P_E_NS1_11comp_targetILNS1_3genE3ELNS1_11target_archE908ELNS1_3gpuE7ELNS1_3repE0EEENS1_30default_config_static_selectorELNS0_4arch9wavefront6targetE0EEEvS12_
    .private_segment_fixed_size: 0
    .sgpr_count:     0
    .sgpr_spill_count: 0
    .symbol:         _ZN7rocprim17ROCPRIM_400000_NS6detail17trampoline_kernelINS0_13select_configILj256ELj13ELNS0_17block_load_methodE3ELS4_3ELS4_3ELNS0_20block_scan_algorithmE0ELj4294967295EEENS1_25partition_config_selectorILNS1_17partition_subalgoE4EjNS0_10empty_typeEbEEZZNS1_14partition_implILS8_4ELb0ES6_15HIP_vector_typeIjLj2EENS0_17counting_iteratorIjlEEPS9_SG_NS0_5tupleIJPjSI_NS0_16reverse_iteratorISI_EEEEENSH_IJSG_SG_SG_EEES9_SI_JZNS1_25segmented_radix_sort_implINS0_14default_configELb1EPKsPsPKlPlN2at6native12_GLOBAL__N_18offset_tEEE10hipError_tPvRmT1_PNSt15iterator_traitsIS12_E10value_typeET2_T3_PNS13_IS18_E10value_typeET4_jRbjT5_S1E_jjP12ihipStream_tbEUljE_ZNSN_ISO_Lb1ESQ_SR_ST_SU_SY_EESZ_S10_S11_S12_S16_S17_S18_S1B_S1C_jS1D_jS1E_S1E_jjS1G_bEUljE0_EEESZ_S10_S11_S18_S1C_S1E_T6_T7_T9_mT8_S1G_bDpT10_ENKUlT_T0_E_clISt17integral_constantIbLb0EES1T_IbLb1EEEEDaS1P_S1Q_EUlS1P_E_NS1_11comp_targetILNS1_3genE3ELNS1_11target_archE908ELNS1_3gpuE7ELNS1_3repE0EEENS1_30default_config_static_selectorELNS0_4arch9wavefront6targetE0EEEvS12_.kd
    .uniform_work_group_size: 1
    .uses_dynamic_stack: false
    .vgpr_count:     0
    .vgpr_spill_count: 0
    .wavefront_size: 32
    .workgroup_processor_mode: 1
  - .args:
      - .offset:         0
        .size:           184
        .value_kind:     by_value
    .group_segment_fixed_size: 0
    .kernarg_segment_align: 8
    .kernarg_segment_size: 184
    .language:       OpenCL C
    .language_version:
      - 2
      - 0
    .max_flat_workgroup_size: 256
    .name:           _ZN7rocprim17ROCPRIM_400000_NS6detail17trampoline_kernelINS0_13select_configILj256ELj13ELNS0_17block_load_methodE3ELS4_3ELS4_3ELNS0_20block_scan_algorithmE0ELj4294967295EEENS1_25partition_config_selectorILNS1_17partition_subalgoE4EjNS0_10empty_typeEbEEZZNS1_14partition_implILS8_4ELb0ES6_15HIP_vector_typeIjLj2EENS0_17counting_iteratorIjlEEPS9_SG_NS0_5tupleIJPjSI_NS0_16reverse_iteratorISI_EEEEENSH_IJSG_SG_SG_EEES9_SI_JZNS1_25segmented_radix_sort_implINS0_14default_configELb1EPKsPsPKlPlN2at6native12_GLOBAL__N_18offset_tEEE10hipError_tPvRmT1_PNSt15iterator_traitsIS12_E10value_typeET2_T3_PNS13_IS18_E10value_typeET4_jRbjT5_S1E_jjP12ihipStream_tbEUljE_ZNSN_ISO_Lb1ESQ_SR_ST_SU_SY_EESZ_S10_S11_S12_S16_S17_S18_S1B_S1C_jS1D_jS1E_S1E_jjS1G_bEUljE0_EEESZ_S10_S11_S18_S1C_S1E_T6_T7_T9_mT8_S1G_bDpT10_ENKUlT_T0_E_clISt17integral_constantIbLb0EES1T_IbLb1EEEEDaS1P_S1Q_EUlS1P_E_NS1_11comp_targetILNS1_3genE2ELNS1_11target_archE906ELNS1_3gpuE6ELNS1_3repE0EEENS1_30default_config_static_selectorELNS0_4arch9wavefront6targetE0EEEvS12_
    .private_segment_fixed_size: 0
    .sgpr_count:     0
    .sgpr_spill_count: 0
    .symbol:         _ZN7rocprim17ROCPRIM_400000_NS6detail17trampoline_kernelINS0_13select_configILj256ELj13ELNS0_17block_load_methodE3ELS4_3ELS4_3ELNS0_20block_scan_algorithmE0ELj4294967295EEENS1_25partition_config_selectorILNS1_17partition_subalgoE4EjNS0_10empty_typeEbEEZZNS1_14partition_implILS8_4ELb0ES6_15HIP_vector_typeIjLj2EENS0_17counting_iteratorIjlEEPS9_SG_NS0_5tupleIJPjSI_NS0_16reverse_iteratorISI_EEEEENSH_IJSG_SG_SG_EEES9_SI_JZNS1_25segmented_radix_sort_implINS0_14default_configELb1EPKsPsPKlPlN2at6native12_GLOBAL__N_18offset_tEEE10hipError_tPvRmT1_PNSt15iterator_traitsIS12_E10value_typeET2_T3_PNS13_IS18_E10value_typeET4_jRbjT5_S1E_jjP12ihipStream_tbEUljE_ZNSN_ISO_Lb1ESQ_SR_ST_SU_SY_EESZ_S10_S11_S12_S16_S17_S18_S1B_S1C_jS1D_jS1E_S1E_jjS1G_bEUljE0_EEESZ_S10_S11_S18_S1C_S1E_T6_T7_T9_mT8_S1G_bDpT10_ENKUlT_T0_E_clISt17integral_constantIbLb0EES1T_IbLb1EEEEDaS1P_S1Q_EUlS1P_E_NS1_11comp_targetILNS1_3genE2ELNS1_11target_archE906ELNS1_3gpuE6ELNS1_3repE0EEENS1_30default_config_static_selectorELNS0_4arch9wavefront6targetE0EEEvS12_.kd
    .uniform_work_group_size: 1
    .uses_dynamic_stack: false
    .vgpr_count:     0
    .vgpr_spill_count: 0
    .wavefront_size: 32
    .workgroup_processor_mode: 1
  - .args:
      - .offset:         0
        .size:           184
        .value_kind:     by_value
    .group_segment_fixed_size: 0
    .kernarg_segment_align: 8
    .kernarg_segment_size: 184
    .language:       OpenCL C
    .language_version:
      - 2
      - 0
    .max_flat_workgroup_size: 256
    .name:           _ZN7rocprim17ROCPRIM_400000_NS6detail17trampoline_kernelINS0_13select_configILj256ELj13ELNS0_17block_load_methodE3ELS4_3ELS4_3ELNS0_20block_scan_algorithmE0ELj4294967295EEENS1_25partition_config_selectorILNS1_17partition_subalgoE4EjNS0_10empty_typeEbEEZZNS1_14partition_implILS8_4ELb0ES6_15HIP_vector_typeIjLj2EENS0_17counting_iteratorIjlEEPS9_SG_NS0_5tupleIJPjSI_NS0_16reverse_iteratorISI_EEEEENSH_IJSG_SG_SG_EEES9_SI_JZNS1_25segmented_radix_sort_implINS0_14default_configELb1EPKsPsPKlPlN2at6native12_GLOBAL__N_18offset_tEEE10hipError_tPvRmT1_PNSt15iterator_traitsIS12_E10value_typeET2_T3_PNS13_IS18_E10value_typeET4_jRbjT5_S1E_jjP12ihipStream_tbEUljE_ZNSN_ISO_Lb1ESQ_SR_ST_SU_SY_EESZ_S10_S11_S12_S16_S17_S18_S1B_S1C_jS1D_jS1E_S1E_jjS1G_bEUljE0_EEESZ_S10_S11_S18_S1C_S1E_T6_T7_T9_mT8_S1G_bDpT10_ENKUlT_T0_E_clISt17integral_constantIbLb0EES1T_IbLb1EEEEDaS1P_S1Q_EUlS1P_E_NS1_11comp_targetILNS1_3genE10ELNS1_11target_archE1200ELNS1_3gpuE4ELNS1_3repE0EEENS1_30default_config_static_selectorELNS0_4arch9wavefront6targetE0EEEvS12_
    .private_segment_fixed_size: 0
    .sgpr_count:     0
    .sgpr_spill_count: 0
    .symbol:         _ZN7rocprim17ROCPRIM_400000_NS6detail17trampoline_kernelINS0_13select_configILj256ELj13ELNS0_17block_load_methodE3ELS4_3ELS4_3ELNS0_20block_scan_algorithmE0ELj4294967295EEENS1_25partition_config_selectorILNS1_17partition_subalgoE4EjNS0_10empty_typeEbEEZZNS1_14partition_implILS8_4ELb0ES6_15HIP_vector_typeIjLj2EENS0_17counting_iteratorIjlEEPS9_SG_NS0_5tupleIJPjSI_NS0_16reverse_iteratorISI_EEEEENSH_IJSG_SG_SG_EEES9_SI_JZNS1_25segmented_radix_sort_implINS0_14default_configELb1EPKsPsPKlPlN2at6native12_GLOBAL__N_18offset_tEEE10hipError_tPvRmT1_PNSt15iterator_traitsIS12_E10value_typeET2_T3_PNS13_IS18_E10value_typeET4_jRbjT5_S1E_jjP12ihipStream_tbEUljE_ZNSN_ISO_Lb1ESQ_SR_ST_SU_SY_EESZ_S10_S11_S12_S16_S17_S18_S1B_S1C_jS1D_jS1E_S1E_jjS1G_bEUljE0_EEESZ_S10_S11_S18_S1C_S1E_T6_T7_T9_mT8_S1G_bDpT10_ENKUlT_T0_E_clISt17integral_constantIbLb0EES1T_IbLb1EEEEDaS1P_S1Q_EUlS1P_E_NS1_11comp_targetILNS1_3genE10ELNS1_11target_archE1200ELNS1_3gpuE4ELNS1_3repE0EEENS1_30default_config_static_selectorELNS0_4arch9wavefront6targetE0EEEvS12_.kd
    .uniform_work_group_size: 1
    .uses_dynamic_stack: false
    .vgpr_count:     0
    .vgpr_spill_count: 0
    .wavefront_size: 32
    .workgroup_processor_mode: 1
  - .args:
      - .offset:         0
        .size:           184
        .value_kind:     by_value
    .group_segment_fixed_size: 0
    .kernarg_segment_align: 8
    .kernarg_segment_size: 184
    .language:       OpenCL C
    .language_version:
      - 2
      - 0
    .max_flat_workgroup_size: 256
    .name:           _ZN7rocprim17ROCPRIM_400000_NS6detail17trampoline_kernelINS0_13select_configILj256ELj13ELNS0_17block_load_methodE3ELS4_3ELS4_3ELNS0_20block_scan_algorithmE0ELj4294967295EEENS1_25partition_config_selectorILNS1_17partition_subalgoE4EjNS0_10empty_typeEbEEZZNS1_14partition_implILS8_4ELb0ES6_15HIP_vector_typeIjLj2EENS0_17counting_iteratorIjlEEPS9_SG_NS0_5tupleIJPjSI_NS0_16reverse_iteratorISI_EEEEENSH_IJSG_SG_SG_EEES9_SI_JZNS1_25segmented_radix_sort_implINS0_14default_configELb1EPKsPsPKlPlN2at6native12_GLOBAL__N_18offset_tEEE10hipError_tPvRmT1_PNSt15iterator_traitsIS12_E10value_typeET2_T3_PNS13_IS18_E10value_typeET4_jRbjT5_S1E_jjP12ihipStream_tbEUljE_ZNSN_ISO_Lb1ESQ_SR_ST_SU_SY_EESZ_S10_S11_S12_S16_S17_S18_S1B_S1C_jS1D_jS1E_S1E_jjS1G_bEUljE0_EEESZ_S10_S11_S18_S1C_S1E_T6_T7_T9_mT8_S1G_bDpT10_ENKUlT_T0_E_clISt17integral_constantIbLb0EES1T_IbLb1EEEEDaS1P_S1Q_EUlS1P_E_NS1_11comp_targetILNS1_3genE9ELNS1_11target_archE1100ELNS1_3gpuE3ELNS1_3repE0EEENS1_30default_config_static_selectorELNS0_4arch9wavefront6targetE0EEEvS12_
    .private_segment_fixed_size: 0
    .sgpr_count:     0
    .sgpr_spill_count: 0
    .symbol:         _ZN7rocprim17ROCPRIM_400000_NS6detail17trampoline_kernelINS0_13select_configILj256ELj13ELNS0_17block_load_methodE3ELS4_3ELS4_3ELNS0_20block_scan_algorithmE0ELj4294967295EEENS1_25partition_config_selectorILNS1_17partition_subalgoE4EjNS0_10empty_typeEbEEZZNS1_14partition_implILS8_4ELb0ES6_15HIP_vector_typeIjLj2EENS0_17counting_iteratorIjlEEPS9_SG_NS0_5tupleIJPjSI_NS0_16reverse_iteratorISI_EEEEENSH_IJSG_SG_SG_EEES9_SI_JZNS1_25segmented_radix_sort_implINS0_14default_configELb1EPKsPsPKlPlN2at6native12_GLOBAL__N_18offset_tEEE10hipError_tPvRmT1_PNSt15iterator_traitsIS12_E10value_typeET2_T3_PNS13_IS18_E10value_typeET4_jRbjT5_S1E_jjP12ihipStream_tbEUljE_ZNSN_ISO_Lb1ESQ_SR_ST_SU_SY_EESZ_S10_S11_S12_S16_S17_S18_S1B_S1C_jS1D_jS1E_S1E_jjS1G_bEUljE0_EEESZ_S10_S11_S18_S1C_S1E_T6_T7_T9_mT8_S1G_bDpT10_ENKUlT_T0_E_clISt17integral_constantIbLb0EES1T_IbLb1EEEEDaS1P_S1Q_EUlS1P_E_NS1_11comp_targetILNS1_3genE9ELNS1_11target_archE1100ELNS1_3gpuE3ELNS1_3repE0EEENS1_30default_config_static_selectorELNS0_4arch9wavefront6targetE0EEEvS12_.kd
    .uniform_work_group_size: 1
    .uses_dynamic_stack: false
    .vgpr_count:     0
    .vgpr_spill_count: 0
    .wavefront_size: 32
    .workgroup_processor_mode: 1
  - .args:
      - .offset:         0
        .size:           184
        .value_kind:     by_value
    .group_segment_fixed_size: 13328
    .kernarg_segment_align: 8
    .kernarg_segment_size: 184
    .language:       OpenCL C
    .language_version:
      - 2
      - 0
    .max_flat_workgroup_size: 256
    .name:           _ZN7rocprim17ROCPRIM_400000_NS6detail17trampoline_kernelINS0_13select_configILj256ELj13ELNS0_17block_load_methodE3ELS4_3ELS4_3ELNS0_20block_scan_algorithmE0ELj4294967295EEENS1_25partition_config_selectorILNS1_17partition_subalgoE4EjNS0_10empty_typeEbEEZZNS1_14partition_implILS8_4ELb0ES6_15HIP_vector_typeIjLj2EENS0_17counting_iteratorIjlEEPS9_SG_NS0_5tupleIJPjSI_NS0_16reverse_iteratorISI_EEEEENSH_IJSG_SG_SG_EEES9_SI_JZNS1_25segmented_radix_sort_implINS0_14default_configELb1EPKsPsPKlPlN2at6native12_GLOBAL__N_18offset_tEEE10hipError_tPvRmT1_PNSt15iterator_traitsIS12_E10value_typeET2_T3_PNS13_IS18_E10value_typeET4_jRbjT5_S1E_jjP12ihipStream_tbEUljE_ZNSN_ISO_Lb1ESQ_SR_ST_SU_SY_EESZ_S10_S11_S12_S16_S17_S18_S1B_S1C_jS1D_jS1E_S1E_jjS1G_bEUljE0_EEESZ_S10_S11_S18_S1C_S1E_T6_T7_T9_mT8_S1G_bDpT10_ENKUlT_T0_E_clISt17integral_constantIbLb0EES1T_IbLb1EEEEDaS1P_S1Q_EUlS1P_E_NS1_11comp_targetILNS1_3genE8ELNS1_11target_archE1030ELNS1_3gpuE2ELNS1_3repE0EEENS1_30default_config_static_selectorELNS0_4arch9wavefront6targetE0EEEvS12_
    .private_segment_fixed_size: 0
    .sgpr_count:     57
    .sgpr_spill_count: 0
    .symbol:         _ZN7rocprim17ROCPRIM_400000_NS6detail17trampoline_kernelINS0_13select_configILj256ELj13ELNS0_17block_load_methodE3ELS4_3ELS4_3ELNS0_20block_scan_algorithmE0ELj4294967295EEENS1_25partition_config_selectorILNS1_17partition_subalgoE4EjNS0_10empty_typeEbEEZZNS1_14partition_implILS8_4ELb0ES6_15HIP_vector_typeIjLj2EENS0_17counting_iteratorIjlEEPS9_SG_NS0_5tupleIJPjSI_NS0_16reverse_iteratorISI_EEEEENSH_IJSG_SG_SG_EEES9_SI_JZNS1_25segmented_radix_sort_implINS0_14default_configELb1EPKsPsPKlPlN2at6native12_GLOBAL__N_18offset_tEEE10hipError_tPvRmT1_PNSt15iterator_traitsIS12_E10value_typeET2_T3_PNS13_IS18_E10value_typeET4_jRbjT5_S1E_jjP12ihipStream_tbEUljE_ZNSN_ISO_Lb1ESQ_SR_ST_SU_SY_EESZ_S10_S11_S12_S16_S17_S18_S1B_S1C_jS1D_jS1E_S1E_jjS1G_bEUljE0_EEESZ_S10_S11_S18_S1C_S1E_T6_T7_T9_mT8_S1G_bDpT10_ENKUlT_T0_E_clISt17integral_constantIbLb0EES1T_IbLb1EEEEDaS1P_S1Q_EUlS1P_E_NS1_11comp_targetILNS1_3genE8ELNS1_11target_archE1030ELNS1_3gpuE2ELNS1_3repE0EEENS1_30default_config_static_selectorELNS0_4arch9wavefront6targetE0EEEvS12_.kd
    .uniform_work_group_size: 1
    .uses_dynamic_stack: false
    .vgpr_count:     87
    .vgpr_spill_count: 0
    .wavefront_size: 32
    .workgroup_processor_mode: 1
  - .args:
      - .offset:         0
        .size:           144
        .value_kind:     by_value
    .group_segment_fixed_size: 0
    .kernarg_segment_align: 8
    .kernarg_segment_size: 144
    .language:       OpenCL C
    .language_version:
      - 2
      - 0
    .max_flat_workgroup_size: 256
    .name:           _ZN7rocprim17ROCPRIM_400000_NS6detail17trampoline_kernelINS0_13select_configILj256ELj13ELNS0_17block_load_methodE3ELS4_3ELS4_3ELNS0_20block_scan_algorithmE0ELj4294967295EEENS1_25partition_config_selectorILNS1_17partition_subalgoE3EjNS0_10empty_typeEbEEZZNS1_14partition_implILS8_3ELb0ES6_jNS0_17counting_iteratorIjlEEPS9_SE_NS0_5tupleIJPjSE_EEENSF_IJSE_SE_EEES9_SG_JZNS1_25segmented_radix_sort_implINS0_14default_configELb1EPKsPsPKlPlN2at6native12_GLOBAL__N_18offset_tEEE10hipError_tPvRmT1_PNSt15iterator_traitsISY_E10value_typeET2_T3_PNSZ_IS14_E10value_typeET4_jRbjT5_S1A_jjP12ihipStream_tbEUljE_EEESV_SW_SX_S14_S18_S1A_T6_T7_T9_mT8_S1C_bDpT10_ENKUlT_T0_E_clISt17integral_constantIbLb0EES1P_EEDaS1K_S1L_EUlS1K_E_NS1_11comp_targetILNS1_3genE0ELNS1_11target_archE4294967295ELNS1_3gpuE0ELNS1_3repE0EEENS1_30default_config_static_selectorELNS0_4arch9wavefront6targetE0EEEvSY_
    .private_segment_fixed_size: 0
    .sgpr_count:     0
    .sgpr_spill_count: 0
    .symbol:         _ZN7rocprim17ROCPRIM_400000_NS6detail17trampoline_kernelINS0_13select_configILj256ELj13ELNS0_17block_load_methodE3ELS4_3ELS4_3ELNS0_20block_scan_algorithmE0ELj4294967295EEENS1_25partition_config_selectorILNS1_17partition_subalgoE3EjNS0_10empty_typeEbEEZZNS1_14partition_implILS8_3ELb0ES6_jNS0_17counting_iteratorIjlEEPS9_SE_NS0_5tupleIJPjSE_EEENSF_IJSE_SE_EEES9_SG_JZNS1_25segmented_radix_sort_implINS0_14default_configELb1EPKsPsPKlPlN2at6native12_GLOBAL__N_18offset_tEEE10hipError_tPvRmT1_PNSt15iterator_traitsISY_E10value_typeET2_T3_PNSZ_IS14_E10value_typeET4_jRbjT5_S1A_jjP12ihipStream_tbEUljE_EEESV_SW_SX_S14_S18_S1A_T6_T7_T9_mT8_S1C_bDpT10_ENKUlT_T0_E_clISt17integral_constantIbLb0EES1P_EEDaS1K_S1L_EUlS1K_E_NS1_11comp_targetILNS1_3genE0ELNS1_11target_archE4294967295ELNS1_3gpuE0ELNS1_3repE0EEENS1_30default_config_static_selectorELNS0_4arch9wavefront6targetE0EEEvSY_.kd
    .uniform_work_group_size: 1
    .uses_dynamic_stack: false
    .vgpr_count:     0
    .vgpr_spill_count: 0
    .wavefront_size: 32
    .workgroup_processor_mode: 1
  - .args:
      - .offset:         0
        .size:           144
        .value_kind:     by_value
    .group_segment_fixed_size: 0
    .kernarg_segment_align: 8
    .kernarg_segment_size: 144
    .language:       OpenCL C
    .language_version:
      - 2
      - 0
    .max_flat_workgroup_size: 256
    .name:           _ZN7rocprim17ROCPRIM_400000_NS6detail17trampoline_kernelINS0_13select_configILj256ELj13ELNS0_17block_load_methodE3ELS4_3ELS4_3ELNS0_20block_scan_algorithmE0ELj4294967295EEENS1_25partition_config_selectorILNS1_17partition_subalgoE3EjNS0_10empty_typeEbEEZZNS1_14partition_implILS8_3ELb0ES6_jNS0_17counting_iteratorIjlEEPS9_SE_NS0_5tupleIJPjSE_EEENSF_IJSE_SE_EEES9_SG_JZNS1_25segmented_radix_sort_implINS0_14default_configELb1EPKsPsPKlPlN2at6native12_GLOBAL__N_18offset_tEEE10hipError_tPvRmT1_PNSt15iterator_traitsISY_E10value_typeET2_T3_PNSZ_IS14_E10value_typeET4_jRbjT5_S1A_jjP12ihipStream_tbEUljE_EEESV_SW_SX_S14_S18_S1A_T6_T7_T9_mT8_S1C_bDpT10_ENKUlT_T0_E_clISt17integral_constantIbLb0EES1P_EEDaS1K_S1L_EUlS1K_E_NS1_11comp_targetILNS1_3genE5ELNS1_11target_archE942ELNS1_3gpuE9ELNS1_3repE0EEENS1_30default_config_static_selectorELNS0_4arch9wavefront6targetE0EEEvSY_
    .private_segment_fixed_size: 0
    .sgpr_count:     0
    .sgpr_spill_count: 0
    .symbol:         _ZN7rocprim17ROCPRIM_400000_NS6detail17trampoline_kernelINS0_13select_configILj256ELj13ELNS0_17block_load_methodE3ELS4_3ELS4_3ELNS0_20block_scan_algorithmE0ELj4294967295EEENS1_25partition_config_selectorILNS1_17partition_subalgoE3EjNS0_10empty_typeEbEEZZNS1_14partition_implILS8_3ELb0ES6_jNS0_17counting_iteratorIjlEEPS9_SE_NS0_5tupleIJPjSE_EEENSF_IJSE_SE_EEES9_SG_JZNS1_25segmented_radix_sort_implINS0_14default_configELb1EPKsPsPKlPlN2at6native12_GLOBAL__N_18offset_tEEE10hipError_tPvRmT1_PNSt15iterator_traitsISY_E10value_typeET2_T3_PNSZ_IS14_E10value_typeET4_jRbjT5_S1A_jjP12ihipStream_tbEUljE_EEESV_SW_SX_S14_S18_S1A_T6_T7_T9_mT8_S1C_bDpT10_ENKUlT_T0_E_clISt17integral_constantIbLb0EES1P_EEDaS1K_S1L_EUlS1K_E_NS1_11comp_targetILNS1_3genE5ELNS1_11target_archE942ELNS1_3gpuE9ELNS1_3repE0EEENS1_30default_config_static_selectorELNS0_4arch9wavefront6targetE0EEEvSY_.kd
    .uniform_work_group_size: 1
    .uses_dynamic_stack: false
    .vgpr_count:     0
    .vgpr_spill_count: 0
    .wavefront_size: 32
    .workgroup_processor_mode: 1
  - .args:
      - .offset:         0
        .size:           144
        .value_kind:     by_value
    .group_segment_fixed_size: 0
    .kernarg_segment_align: 8
    .kernarg_segment_size: 144
    .language:       OpenCL C
    .language_version:
      - 2
      - 0
    .max_flat_workgroup_size: 256
    .name:           _ZN7rocprim17ROCPRIM_400000_NS6detail17trampoline_kernelINS0_13select_configILj256ELj13ELNS0_17block_load_methodE3ELS4_3ELS4_3ELNS0_20block_scan_algorithmE0ELj4294967295EEENS1_25partition_config_selectorILNS1_17partition_subalgoE3EjNS0_10empty_typeEbEEZZNS1_14partition_implILS8_3ELb0ES6_jNS0_17counting_iteratorIjlEEPS9_SE_NS0_5tupleIJPjSE_EEENSF_IJSE_SE_EEES9_SG_JZNS1_25segmented_radix_sort_implINS0_14default_configELb1EPKsPsPKlPlN2at6native12_GLOBAL__N_18offset_tEEE10hipError_tPvRmT1_PNSt15iterator_traitsISY_E10value_typeET2_T3_PNSZ_IS14_E10value_typeET4_jRbjT5_S1A_jjP12ihipStream_tbEUljE_EEESV_SW_SX_S14_S18_S1A_T6_T7_T9_mT8_S1C_bDpT10_ENKUlT_T0_E_clISt17integral_constantIbLb0EES1P_EEDaS1K_S1L_EUlS1K_E_NS1_11comp_targetILNS1_3genE4ELNS1_11target_archE910ELNS1_3gpuE8ELNS1_3repE0EEENS1_30default_config_static_selectorELNS0_4arch9wavefront6targetE0EEEvSY_
    .private_segment_fixed_size: 0
    .sgpr_count:     0
    .sgpr_spill_count: 0
    .symbol:         _ZN7rocprim17ROCPRIM_400000_NS6detail17trampoline_kernelINS0_13select_configILj256ELj13ELNS0_17block_load_methodE3ELS4_3ELS4_3ELNS0_20block_scan_algorithmE0ELj4294967295EEENS1_25partition_config_selectorILNS1_17partition_subalgoE3EjNS0_10empty_typeEbEEZZNS1_14partition_implILS8_3ELb0ES6_jNS0_17counting_iteratorIjlEEPS9_SE_NS0_5tupleIJPjSE_EEENSF_IJSE_SE_EEES9_SG_JZNS1_25segmented_radix_sort_implINS0_14default_configELb1EPKsPsPKlPlN2at6native12_GLOBAL__N_18offset_tEEE10hipError_tPvRmT1_PNSt15iterator_traitsISY_E10value_typeET2_T3_PNSZ_IS14_E10value_typeET4_jRbjT5_S1A_jjP12ihipStream_tbEUljE_EEESV_SW_SX_S14_S18_S1A_T6_T7_T9_mT8_S1C_bDpT10_ENKUlT_T0_E_clISt17integral_constantIbLb0EES1P_EEDaS1K_S1L_EUlS1K_E_NS1_11comp_targetILNS1_3genE4ELNS1_11target_archE910ELNS1_3gpuE8ELNS1_3repE0EEENS1_30default_config_static_selectorELNS0_4arch9wavefront6targetE0EEEvSY_.kd
    .uniform_work_group_size: 1
    .uses_dynamic_stack: false
    .vgpr_count:     0
    .vgpr_spill_count: 0
    .wavefront_size: 32
    .workgroup_processor_mode: 1
  - .args:
      - .offset:         0
        .size:           144
        .value_kind:     by_value
    .group_segment_fixed_size: 0
    .kernarg_segment_align: 8
    .kernarg_segment_size: 144
    .language:       OpenCL C
    .language_version:
      - 2
      - 0
    .max_flat_workgroup_size: 256
    .name:           _ZN7rocprim17ROCPRIM_400000_NS6detail17trampoline_kernelINS0_13select_configILj256ELj13ELNS0_17block_load_methodE3ELS4_3ELS4_3ELNS0_20block_scan_algorithmE0ELj4294967295EEENS1_25partition_config_selectorILNS1_17partition_subalgoE3EjNS0_10empty_typeEbEEZZNS1_14partition_implILS8_3ELb0ES6_jNS0_17counting_iteratorIjlEEPS9_SE_NS0_5tupleIJPjSE_EEENSF_IJSE_SE_EEES9_SG_JZNS1_25segmented_radix_sort_implINS0_14default_configELb1EPKsPsPKlPlN2at6native12_GLOBAL__N_18offset_tEEE10hipError_tPvRmT1_PNSt15iterator_traitsISY_E10value_typeET2_T3_PNSZ_IS14_E10value_typeET4_jRbjT5_S1A_jjP12ihipStream_tbEUljE_EEESV_SW_SX_S14_S18_S1A_T6_T7_T9_mT8_S1C_bDpT10_ENKUlT_T0_E_clISt17integral_constantIbLb0EES1P_EEDaS1K_S1L_EUlS1K_E_NS1_11comp_targetILNS1_3genE3ELNS1_11target_archE908ELNS1_3gpuE7ELNS1_3repE0EEENS1_30default_config_static_selectorELNS0_4arch9wavefront6targetE0EEEvSY_
    .private_segment_fixed_size: 0
    .sgpr_count:     0
    .sgpr_spill_count: 0
    .symbol:         _ZN7rocprim17ROCPRIM_400000_NS6detail17trampoline_kernelINS0_13select_configILj256ELj13ELNS0_17block_load_methodE3ELS4_3ELS4_3ELNS0_20block_scan_algorithmE0ELj4294967295EEENS1_25partition_config_selectorILNS1_17partition_subalgoE3EjNS0_10empty_typeEbEEZZNS1_14partition_implILS8_3ELb0ES6_jNS0_17counting_iteratorIjlEEPS9_SE_NS0_5tupleIJPjSE_EEENSF_IJSE_SE_EEES9_SG_JZNS1_25segmented_radix_sort_implINS0_14default_configELb1EPKsPsPKlPlN2at6native12_GLOBAL__N_18offset_tEEE10hipError_tPvRmT1_PNSt15iterator_traitsISY_E10value_typeET2_T3_PNSZ_IS14_E10value_typeET4_jRbjT5_S1A_jjP12ihipStream_tbEUljE_EEESV_SW_SX_S14_S18_S1A_T6_T7_T9_mT8_S1C_bDpT10_ENKUlT_T0_E_clISt17integral_constantIbLb0EES1P_EEDaS1K_S1L_EUlS1K_E_NS1_11comp_targetILNS1_3genE3ELNS1_11target_archE908ELNS1_3gpuE7ELNS1_3repE0EEENS1_30default_config_static_selectorELNS0_4arch9wavefront6targetE0EEEvSY_.kd
    .uniform_work_group_size: 1
    .uses_dynamic_stack: false
    .vgpr_count:     0
    .vgpr_spill_count: 0
    .wavefront_size: 32
    .workgroup_processor_mode: 1
  - .args:
      - .offset:         0
        .size:           144
        .value_kind:     by_value
    .group_segment_fixed_size: 0
    .kernarg_segment_align: 8
    .kernarg_segment_size: 144
    .language:       OpenCL C
    .language_version:
      - 2
      - 0
    .max_flat_workgroup_size: 256
    .name:           _ZN7rocprim17ROCPRIM_400000_NS6detail17trampoline_kernelINS0_13select_configILj256ELj13ELNS0_17block_load_methodE3ELS4_3ELS4_3ELNS0_20block_scan_algorithmE0ELj4294967295EEENS1_25partition_config_selectorILNS1_17partition_subalgoE3EjNS0_10empty_typeEbEEZZNS1_14partition_implILS8_3ELb0ES6_jNS0_17counting_iteratorIjlEEPS9_SE_NS0_5tupleIJPjSE_EEENSF_IJSE_SE_EEES9_SG_JZNS1_25segmented_radix_sort_implINS0_14default_configELb1EPKsPsPKlPlN2at6native12_GLOBAL__N_18offset_tEEE10hipError_tPvRmT1_PNSt15iterator_traitsISY_E10value_typeET2_T3_PNSZ_IS14_E10value_typeET4_jRbjT5_S1A_jjP12ihipStream_tbEUljE_EEESV_SW_SX_S14_S18_S1A_T6_T7_T9_mT8_S1C_bDpT10_ENKUlT_T0_E_clISt17integral_constantIbLb0EES1P_EEDaS1K_S1L_EUlS1K_E_NS1_11comp_targetILNS1_3genE2ELNS1_11target_archE906ELNS1_3gpuE6ELNS1_3repE0EEENS1_30default_config_static_selectorELNS0_4arch9wavefront6targetE0EEEvSY_
    .private_segment_fixed_size: 0
    .sgpr_count:     0
    .sgpr_spill_count: 0
    .symbol:         _ZN7rocprim17ROCPRIM_400000_NS6detail17trampoline_kernelINS0_13select_configILj256ELj13ELNS0_17block_load_methodE3ELS4_3ELS4_3ELNS0_20block_scan_algorithmE0ELj4294967295EEENS1_25partition_config_selectorILNS1_17partition_subalgoE3EjNS0_10empty_typeEbEEZZNS1_14partition_implILS8_3ELb0ES6_jNS0_17counting_iteratorIjlEEPS9_SE_NS0_5tupleIJPjSE_EEENSF_IJSE_SE_EEES9_SG_JZNS1_25segmented_radix_sort_implINS0_14default_configELb1EPKsPsPKlPlN2at6native12_GLOBAL__N_18offset_tEEE10hipError_tPvRmT1_PNSt15iterator_traitsISY_E10value_typeET2_T3_PNSZ_IS14_E10value_typeET4_jRbjT5_S1A_jjP12ihipStream_tbEUljE_EEESV_SW_SX_S14_S18_S1A_T6_T7_T9_mT8_S1C_bDpT10_ENKUlT_T0_E_clISt17integral_constantIbLb0EES1P_EEDaS1K_S1L_EUlS1K_E_NS1_11comp_targetILNS1_3genE2ELNS1_11target_archE906ELNS1_3gpuE6ELNS1_3repE0EEENS1_30default_config_static_selectorELNS0_4arch9wavefront6targetE0EEEvSY_.kd
    .uniform_work_group_size: 1
    .uses_dynamic_stack: false
    .vgpr_count:     0
    .vgpr_spill_count: 0
    .wavefront_size: 32
    .workgroup_processor_mode: 1
  - .args:
      - .offset:         0
        .size:           144
        .value_kind:     by_value
    .group_segment_fixed_size: 0
    .kernarg_segment_align: 8
    .kernarg_segment_size: 144
    .language:       OpenCL C
    .language_version:
      - 2
      - 0
    .max_flat_workgroup_size: 256
    .name:           _ZN7rocprim17ROCPRIM_400000_NS6detail17trampoline_kernelINS0_13select_configILj256ELj13ELNS0_17block_load_methodE3ELS4_3ELS4_3ELNS0_20block_scan_algorithmE0ELj4294967295EEENS1_25partition_config_selectorILNS1_17partition_subalgoE3EjNS0_10empty_typeEbEEZZNS1_14partition_implILS8_3ELb0ES6_jNS0_17counting_iteratorIjlEEPS9_SE_NS0_5tupleIJPjSE_EEENSF_IJSE_SE_EEES9_SG_JZNS1_25segmented_radix_sort_implINS0_14default_configELb1EPKsPsPKlPlN2at6native12_GLOBAL__N_18offset_tEEE10hipError_tPvRmT1_PNSt15iterator_traitsISY_E10value_typeET2_T3_PNSZ_IS14_E10value_typeET4_jRbjT5_S1A_jjP12ihipStream_tbEUljE_EEESV_SW_SX_S14_S18_S1A_T6_T7_T9_mT8_S1C_bDpT10_ENKUlT_T0_E_clISt17integral_constantIbLb0EES1P_EEDaS1K_S1L_EUlS1K_E_NS1_11comp_targetILNS1_3genE10ELNS1_11target_archE1200ELNS1_3gpuE4ELNS1_3repE0EEENS1_30default_config_static_selectorELNS0_4arch9wavefront6targetE0EEEvSY_
    .private_segment_fixed_size: 0
    .sgpr_count:     0
    .sgpr_spill_count: 0
    .symbol:         _ZN7rocprim17ROCPRIM_400000_NS6detail17trampoline_kernelINS0_13select_configILj256ELj13ELNS0_17block_load_methodE3ELS4_3ELS4_3ELNS0_20block_scan_algorithmE0ELj4294967295EEENS1_25partition_config_selectorILNS1_17partition_subalgoE3EjNS0_10empty_typeEbEEZZNS1_14partition_implILS8_3ELb0ES6_jNS0_17counting_iteratorIjlEEPS9_SE_NS0_5tupleIJPjSE_EEENSF_IJSE_SE_EEES9_SG_JZNS1_25segmented_radix_sort_implINS0_14default_configELb1EPKsPsPKlPlN2at6native12_GLOBAL__N_18offset_tEEE10hipError_tPvRmT1_PNSt15iterator_traitsISY_E10value_typeET2_T3_PNSZ_IS14_E10value_typeET4_jRbjT5_S1A_jjP12ihipStream_tbEUljE_EEESV_SW_SX_S14_S18_S1A_T6_T7_T9_mT8_S1C_bDpT10_ENKUlT_T0_E_clISt17integral_constantIbLb0EES1P_EEDaS1K_S1L_EUlS1K_E_NS1_11comp_targetILNS1_3genE10ELNS1_11target_archE1200ELNS1_3gpuE4ELNS1_3repE0EEENS1_30default_config_static_selectorELNS0_4arch9wavefront6targetE0EEEvSY_.kd
    .uniform_work_group_size: 1
    .uses_dynamic_stack: false
    .vgpr_count:     0
    .vgpr_spill_count: 0
    .wavefront_size: 32
    .workgroup_processor_mode: 1
  - .args:
      - .offset:         0
        .size:           144
        .value_kind:     by_value
    .group_segment_fixed_size: 0
    .kernarg_segment_align: 8
    .kernarg_segment_size: 144
    .language:       OpenCL C
    .language_version:
      - 2
      - 0
    .max_flat_workgroup_size: 256
    .name:           _ZN7rocprim17ROCPRIM_400000_NS6detail17trampoline_kernelINS0_13select_configILj256ELj13ELNS0_17block_load_methodE3ELS4_3ELS4_3ELNS0_20block_scan_algorithmE0ELj4294967295EEENS1_25partition_config_selectorILNS1_17partition_subalgoE3EjNS0_10empty_typeEbEEZZNS1_14partition_implILS8_3ELb0ES6_jNS0_17counting_iteratorIjlEEPS9_SE_NS0_5tupleIJPjSE_EEENSF_IJSE_SE_EEES9_SG_JZNS1_25segmented_radix_sort_implINS0_14default_configELb1EPKsPsPKlPlN2at6native12_GLOBAL__N_18offset_tEEE10hipError_tPvRmT1_PNSt15iterator_traitsISY_E10value_typeET2_T3_PNSZ_IS14_E10value_typeET4_jRbjT5_S1A_jjP12ihipStream_tbEUljE_EEESV_SW_SX_S14_S18_S1A_T6_T7_T9_mT8_S1C_bDpT10_ENKUlT_T0_E_clISt17integral_constantIbLb0EES1P_EEDaS1K_S1L_EUlS1K_E_NS1_11comp_targetILNS1_3genE9ELNS1_11target_archE1100ELNS1_3gpuE3ELNS1_3repE0EEENS1_30default_config_static_selectorELNS0_4arch9wavefront6targetE0EEEvSY_
    .private_segment_fixed_size: 0
    .sgpr_count:     0
    .sgpr_spill_count: 0
    .symbol:         _ZN7rocprim17ROCPRIM_400000_NS6detail17trampoline_kernelINS0_13select_configILj256ELj13ELNS0_17block_load_methodE3ELS4_3ELS4_3ELNS0_20block_scan_algorithmE0ELj4294967295EEENS1_25partition_config_selectorILNS1_17partition_subalgoE3EjNS0_10empty_typeEbEEZZNS1_14partition_implILS8_3ELb0ES6_jNS0_17counting_iteratorIjlEEPS9_SE_NS0_5tupleIJPjSE_EEENSF_IJSE_SE_EEES9_SG_JZNS1_25segmented_radix_sort_implINS0_14default_configELb1EPKsPsPKlPlN2at6native12_GLOBAL__N_18offset_tEEE10hipError_tPvRmT1_PNSt15iterator_traitsISY_E10value_typeET2_T3_PNSZ_IS14_E10value_typeET4_jRbjT5_S1A_jjP12ihipStream_tbEUljE_EEESV_SW_SX_S14_S18_S1A_T6_T7_T9_mT8_S1C_bDpT10_ENKUlT_T0_E_clISt17integral_constantIbLb0EES1P_EEDaS1K_S1L_EUlS1K_E_NS1_11comp_targetILNS1_3genE9ELNS1_11target_archE1100ELNS1_3gpuE3ELNS1_3repE0EEENS1_30default_config_static_selectorELNS0_4arch9wavefront6targetE0EEEvSY_.kd
    .uniform_work_group_size: 1
    .uses_dynamic_stack: false
    .vgpr_count:     0
    .vgpr_spill_count: 0
    .wavefront_size: 32
    .workgroup_processor_mode: 1
  - .args:
      - .offset:         0
        .size:           144
        .value_kind:     by_value
    .group_segment_fixed_size: 13320
    .kernarg_segment_align: 8
    .kernarg_segment_size: 144
    .language:       OpenCL C
    .language_version:
      - 2
      - 0
    .max_flat_workgroup_size: 256
    .name:           _ZN7rocprim17ROCPRIM_400000_NS6detail17trampoline_kernelINS0_13select_configILj256ELj13ELNS0_17block_load_methodE3ELS4_3ELS4_3ELNS0_20block_scan_algorithmE0ELj4294967295EEENS1_25partition_config_selectorILNS1_17partition_subalgoE3EjNS0_10empty_typeEbEEZZNS1_14partition_implILS8_3ELb0ES6_jNS0_17counting_iteratorIjlEEPS9_SE_NS0_5tupleIJPjSE_EEENSF_IJSE_SE_EEES9_SG_JZNS1_25segmented_radix_sort_implINS0_14default_configELb1EPKsPsPKlPlN2at6native12_GLOBAL__N_18offset_tEEE10hipError_tPvRmT1_PNSt15iterator_traitsISY_E10value_typeET2_T3_PNSZ_IS14_E10value_typeET4_jRbjT5_S1A_jjP12ihipStream_tbEUljE_EEESV_SW_SX_S14_S18_S1A_T6_T7_T9_mT8_S1C_bDpT10_ENKUlT_T0_E_clISt17integral_constantIbLb0EES1P_EEDaS1K_S1L_EUlS1K_E_NS1_11comp_targetILNS1_3genE8ELNS1_11target_archE1030ELNS1_3gpuE2ELNS1_3repE0EEENS1_30default_config_static_selectorELNS0_4arch9wavefront6targetE0EEEvSY_
    .private_segment_fixed_size: 0
    .sgpr_count:     29
    .sgpr_spill_count: 0
    .symbol:         _ZN7rocprim17ROCPRIM_400000_NS6detail17trampoline_kernelINS0_13select_configILj256ELj13ELNS0_17block_load_methodE3ELS4_3ELS4_3ELNS0_20block_scan_algorithmE0ELj4294967295EEENS1_25partition_config_selectorILNS1_17partition_subalgoE3EjNS0_10empty_typeEbEEZZNS1_14partition_implILS8_3ELb0ES6_jNS0_17counting_iteratorIjlEEPS9_SE_NS0_5tupleIJPjSE_EEENSF_IJSE_SE_EEES9_SG_JZNS1_25segmented_radix_sort_implINS0_14default_configELb1EPKsPsPKlPlN2at6native12_GLOBAL__N_18offset_tEEE10hipError_tPvRmT1_PNSt15iterator_traitsISY_E10value_typeET2_T3_PNSZ_IS14_E10value_typeET4_jRbjT5_S1A_jjP12ihipStream_tbEUljE_EEESV_SW_SX_S14_S18_S1A_T6_T7_T9_mT8_S1C_bDpT10_ENKUlT_T0_E_clISt17integral_constantIbLb0EES1P_EEDaS1K_S1L_EUlS1K_E_NS1_11comp_targetILNS1_3genE8ELNS1_11target_archE1030ELNS1_3gpuE2ELNS1_3repE0EEENS1_30default_config_static_selectorELNS0_4arch9wavefront6targetE0EEEvSY_.kd
    .uniform_work_group_size: 1
    .uses_dynamic_stack: false
    .vgpr_count:     69
    .vgpr_spill_count: 0
    .wavefront_size: 32
    .workgroup_processor_mode: 1
  - .args:
      - .offset:         0
        .size:           152
        .value_kind:     by_value
    .group_segment_fixed_size: 0
    .kernarg_segment_align: 8
    .kernarg_segment_size: 152
    .language:       OpenCL C
    .language_version:
      - 2
      - 0
    .max_flat_workgroup_size: 256
    .name:           _ZN7rocprim17ROCPRIM_400000_NS6detail17trampoline_kernelINS0_13select_configILj256ELj13ELNS0_17block_load_methodE3ELS4_3ELS4_3ELNS0_20block_scan_algorithmE0ELj4294967295EEENS1_25partition_config_selectorILNS1_17partition_subalgoE3EjNS0_10empty_typeEbEEZZNS1_14partition_implILS8_3ELb0ES6_jNS0_17counting_iteratorIjlEEPS9_SE_NS0_5tupleIJPjSE_EEENSF_IJSE_SE_EEES9_SG_JZNS1_25segmented_radix_sort_implINS0_14default_configELb1EPKsPsPKlPlN2at6native12_GLOBAL__N_18offset_tEEE10hipError_tPvRmT1_PNSt15iterator_traitsISY_E10value_typeET2_T3_PNSZ_IS14_E10value_typeET4_jRbjT5_S1A_jjP12ihipStream_tbEUljE_EEESV_SW_SX_S14_S18_S1A_T6_T7_T9_mT8_S1C_bDpT10_ENKUlT_T0_E_clISt17integral_constantIbLb1EES1P_EEDaS1K_S1L_EUlS1K_E_NS1_11comp_targetILNS1_3genE0ELNS1_11target_archE4294967295ELNS1_3gpuE0ELNS1_3repE0EEENS1_30default_config_static_selectorELNS0_4arch9wavefront6targetE0EEEvSY_
    .private_segment_fixed_size: 0
    .sgpr_count:     0
    .sgpr_spill_count: 0
    .symbol:         _ZN7rocprim17ROCPRIM_400000_NS6detail17trampoline_kernelINS0_13select_configILj256ELj13ELNS0_17block_load_methodE3ELS4_3ELS4_3ELNS0_20block_scan_algorithmE0ELj4294967295EEENS1_25partition_config_selectorILNS1_17partition_subalgoE3EjNS0_10empty_typeEbEEZZNS1_14partition_implILS8_3ELb0ES6_jNS0_17counting_iteratorIjlEEPS9_SE_NS0_5tupleIJPjSE_EEENSF_IJSE_SE_EEES9_SG_JZNS1_25segmented_radix_sort_implINS0_14default_configELb1EPKsPsPKlPlN2at6native12_GLOBAL__N_18offset_tEEE10hipError_tPvRmT1_PNSt15iterator_traitsISY_E10value_typeET2_T3_PNSZ_IS14_E10value_typeET4_jRbjT5_S1A_jjP12ihipStream_tbEUljE_EEESV_SW_SX_S14_S18_S1A_T6_T7_T9_mT8_S1C_bDpT10_ENKUlT_T0_E_clISt17integral_constantIbLb1EES1P_EEDaS1K_S1L_EUlS1K_E_NS1_11comp_targetILNS1_3genE0ELNS1_11target_archE4294967295ELNS1_3gpuE0ELNS1_3repE0EEENS1_30default_config_static_selectorELNS0_4arch9wavefront6targetE0EEEvSY_.kd
    .uniform_work_group_size: 1
    .uses_dynamic_stack: false
    .vgpr_count:     0
    .vgpr_spill_count: 0
    .wavefront_size: 32
    .workgroup_processor_mode: 1
  - .args:
      - .offset:         0
        .size:           152
        .value_kind:     by_value
    .group_segment_fixed_size: 0
    .kernarg_segment_align: 8
    .kernarg_segment_size: 152
    .language:       OpenCL C
    .language_version:
      - 2
      - 0
    .max_flat_workgroup_size: 256
    .name:           _ZN7rocprim17ROCPRIM_400000_NS6detail17trampoline_kernelINS0_13select_configILj256ELj13ELNS0_17block_load_methodE3ELS4_3ELS4_3ELNS0_20block_scan_algorithmE0ELj4294967295EEENS1_25partition_config_selectorILNS1_17partition_subalgoE3EjNS0_10empty_typeEbEEZZNS1_14partition_implILS8_3ELb0ES6_jNS0_17counting_iteratorIjlEEPS9_SE_NS0_5tupleIJPjSE_EEENSF_IJSE_SE_EEES9_SG_JZNS1_25segmented_radix_sort_implINS0_14default_configELb1EPKsPsPKlPlN2at6native12_GLOBAL__N_18offset_tEEE10hipError_tPvRmT1_PNSt15iterator_traitsISY_E10value_typeET2_T3_PNSZ_IS14_E10value_typeET4_jRbjT5_S1A_jjP12ihipStream_tbEUljE_EEESV_SW_SX_S14_S18_S1A_T6_T7_T9_mT8_S1C_bDpT10_ENKUlT_T0_E_clISt17integral_constantIbLb1EES1P_EEDaS1K_S1L_EUlS1K_E_NS1_11comp_targetILNS1_3genE5ELNS1_11target_archE942ELNS1_3gpuE9ELNS1_3repE0EEENS1_30default_config_static_selectorELNS0_4arch9wavefront6targetE0EEEvSY_
    .private_segment_fixed_size: 0
    .sgpr_count:     0
    .sgpr_spill_count: 0
    .symbol:         _ZN7rocprim17ROCPRIM_400000_NS6detail17trampoline_kernelINS0_13select_configILj256ELj13ELNS0_17block_load_methodE3ELS4_3ELS4_3ELNS0_20block_scan_algorithmE0ELj4294967295EEENS1_25partition_config_selectorILNS1_17partition_subalgoE3EjNS0_10empty_typeEbEEZZNS1_14partition_implILS8_3ELb0ES6_jNS0_17counting_iteratorIjlEEPS9_SE_NS0_5tupleIJPjSE_EEENSF_IJSE_SE_EEES9_SG_JZNS1_25segmented_radix_sort_implINS0_14default_configELb1EPKsPsPKlPlN2at6native12_GLOBAL__N_18offset_tEEE10hipError_tPvRmT1_PNSt15iterator_traitsISY_E10value_typeET2_T3_PNSZ_IS14_E10value_typeET4_jRbjT5_S1A_jjP12ihipStream_tbEUljE_EEESV_SW_SX_S14_S18_S1A_T6_T7_T9_mT8_S1C_bDpT10_ENKUlT_T0_E_clISt17integral_constantIbLb1EES1P_EEDaS1K_S1L_EUlS1K_E_NS1_11comp_targetILNS1_3genE5ELNS1_11target_archE942ELNS1_3gpuE9ELNS1_3repE0EEENS1_30default_config_static_selectorELNS0_4arch9wavefront6targetE0EEEvSY_.kd
    .uniform_work_group_size: 1
    .uses_dynamic_stack: false
    .vgpr_count:     0
    .vgpr_spill_count: 0
    .wavefront_size: 32
    .workgroup_processor_mode: 1
  - .args:
      - .offset:         0
        .size:           152
        .value_kind:     by_value
    .group_segment_fixed_size: 0
    .kernarg_segment_align: 8
    .kernarg_segment_size: 152
    .language:       OpenCL C
    .language_version:
      - 2
      - 0
    .max_flat_workgroup_size: 256
    .name:           _ZN7rocprim17ROCPRIM_400000_NS6detail17trampoline_kernelINS0_13select_configILj256ELj13ELNS0_17block_load_methodE3ELS4_3ELS4_3ELNS0_20block_scan_algorithmE0ELj4294967295EEENS1_25partition_config_selectorILNS1_17partition_subalgoE3EjNS0_10empty_typeEbEEZZNS1_14partition_implILS8_3ELb0ES6_jNS0_17counting_iteratorIjlEEPS9_SE_NS0_5tupleIJPjSE_EEENSF_IJSE_SE_EEES9_SG_JZNS1_25segmented_radix_sort_implINS0_14default_configELb1EPKsPsPKlPlN2at6native12_GLOBAL__N_18offset_tEEE10hipError_tPvRmT1_PNSt15iterator_traitsISY_E10value_typeET2_T3_PNSZ_IS14_E10value_typeET4_jRbjT5_S1A_jjP12ihipStream_tbEUljE_EEESV_SW_SX_S14_S18_S1A_T6_T7_T9_mT8_S1C_bDpT10_ENKUlT_T0_E_clISt17integral_constantIbLb1EES1P_EEDaS1K_S1L_EUlS1K_E_NS1_11comp_targetILNS1_3genE4ELNS1_11target_archE910ELNS1_3gpuE8ELNS1_3repE0EEENS1_30default_config_static_selectorELNS0_4arch9wavefront6targetE0EEEvSY_
    .private_segment_fixed_size: 0
    .sgpr_count:     0
    .sgpr_spill_count: 0
    .symbol:         _ZN7rocprim17ROCPRIM_400000_NS6detail17trampoline_kernelINS0_13select_configILj256ELj13ELNS0_17block_load_methodE3ELS4_3ELS4_3ELNS0_20block_scan_algorithmE0ELj4294967295EEENS1_25partition_config_selectorILNS1_17partition_subalgoE3EjNS0_10empty_typeEbEEZZNS1_14partition_implILS8_3ELb0ES6_jNS0_17counting_iteratorIjlEEPS9_SE_NS0_5tupleIJPjSE_EEENSF_IJSE_SE_EEES9_SG_JZNS1_25segmented_radix_sort_implINS0_14default_configELb1EPKsPsPKlPlN2at6native12_GLOBAL__N_18offset_tEEE10hipError_tPvRmT1_PNSt15iterator_traitsISY_E10value_typeET2_T3_PNSZ_IS14_E10value_typeET4_jRbjT5_S1A_jjP12ihipStream_tbEUljE_EEESV_SW_SX_S14_S18_S1A_T6_T7_T9_mT8_S1C_bDpT10_ENKUlT_T0_E_clISt17integral_constantIbLb1EES1P_EEDaS1K_S1L_EUlS1K_E_NS1_11comp_targetILNS1_3genE4ELNS1_11target_archE910ELNS1_3gpuE8ELNS1_3repE0EEENS1_30default_config_static_selectorELNS0_4arch9wavefront6targetE0EEEvSY_.kd
    .uniform_work_group_size: 1
    .uses_dynamic_stack: false
    .vgpr_count:     0
    .vgpr_spill_count: 0
    .wavefront_size: 32
    .workgroup_processor_mode: 1
  - .args:
      - .offset:         0
        .size:           152
        .value_kind:     by_value
    .group_segment_fixed_size: 0
    .kernarg_segment_align: 8
    .kernarg_segment_size: 152
    .language:       OpenCL C
    .language_version:
      - 2
      - 0
    .max_flat_workgroup_size: 256
    .name:           _ZN7rocprim17ROCPRIM_400000_NS6detail17trampoline_kernelINS0_13select_configILj256ELj13ELNS0_17block_load_methodE3ELS4_3ELS4_3ELNS0_20block_scan_algorithmE0ELj4294967295EEENS1_25partition_config_selectorILNS1_17partition_subalgoE3EjNS0_10empty_typeEbEEZZNS1_14partition_implILS8_3ELb0ES6_jNS0_17counting_iteratorIjlEEPS9_SE_NS0_5tupleIJPjSE_EEENSF_IJSE_SE_EEES9_SG_JZNS1_25segmented_radix_sort_implINS0_14default_configELb1EPKsPsPKlPlN2at6native12_GLOBAL__N_18offset_tEEE10hipError_tPvRmT1_PNSt15iterator_traitsISY_E10value_typeET2_T3_PNSZ_IS14_E10value_typeET4_jRbjT5_S1A_jjP12ihipStream_tbEUljE_EEESV_SW_SX_S14_S18_S1A_T6_T7_T9_mT8_S1C_bDpT10_ENKUlT_T0_E_clISt17integral_constantIbLb1EES1P_EEDaS1K_S1L_EUlS1K_E_NS1_11comp_targetILNS1_3genE3ELNS1_11target_archE908ELNS1_3gpuE7ELNS1_3repE0EEENS1_30default_config_static_selectorELNS0_4arch9wavefront6targetE0EEEvSY_
    .private_segment_fixed_size: 0
    .sgpr_count:     0
    .sgpr_spill_count: 0
    .symbol:         _ZN7rocprim17ROCPRIM_400000_NS6detail17trampoline_kernelINS0_13select_configILj256ELj13ELNS0_17block_load_methodE3ELS4_3ELS4_3ELNS0_20block_scan_algorithmE0ELj4294967295EEENS1_25partition_config_selectorILNS1_17partition_subalgoE3EjNS0_10empty_typeEbEEZZNS1_14partition_implILS8_3ELb0ES6_jNS0_17counting_iteratorIjlEEPS9_SE_NS0_5tupleIJPjSE_EEENSF_IJSE_SE_EEES9_SG_JZNS1_25segmented_radix_sort_implINS0_14default_configELb1EPKsPsPKlPlN2at6native12_GLOBAL__N_18offset_tEEE10hipError_tPvRmT1_PNSt15iterator_traitsISY_E10value_typeET2_T3_PNSZ_IS14_E10value_typeET4_jRbjT5_S1A_jjP12ihipStream_tbEUljE_EEESV_SW_SX_S14_S18_S1A_T6_T7_T9_mT8_S1C_bDpT10_ENKUlT_T0_E_clISt17integral_constantIbLb1EES1P_EEDaS1K_S1L_EUlS1K_E_NS1_11comp_targetILNS1_3genE3ELNS1_11target_archE908ELNS1_3gpuE7ELNS1_3repE0EEENS1_30default_config_static_selectorELNS0_4arch9wavefront6targetE0EEEvSY_.kd
    .uniform_work_group_size: 1
    .uses_dynamic_stack: false
    .vgpr_count:     0
    .vgpr_spill_count: 0
    .wavefront_size: 32
    .workgroup_processor_mode: 1
  - .args:
      - .offset:         0
        .size:           152
        .value_kind:     by_value
    .group_segment_fixed_size: 0
    .kernarg_segment_align: 8
    .kernarg_segment_size: 152
    .language:       OpenCL C
    .language_version:
      - 2
      - 0
    .max_flat_workgroup_size: 256
    .name:           _ZN7rocprim17ROCPRIM_400000_NS6detail17trampoline_kernelINS0_13select_configILj256ELj13ELNS0_17block_load_methodE3ELS4_3ELS4_3ELNS0_20block_scan_algorithmE0ELj4294967295EEENS1_25partition_config_selectorILNS1_17partition_subalgoE3EjNS0_10empty_typeEbEEZZNS1_14partition_implILS8_3ELb0ES6_jNS0_17counting_iteratorIjlEEPS9_SE_NS0_5tupleIJPjSE_EEENSF_IJSE_SE_EEES9_SG_JZNS1_25segmented_radix_sort_implINS0_14default_configELb1EPKsPsPKlPlN2at6native12_GLOBAL__N_18offset_tEEE10hipError_tPvRmT1_PNSt15iterator_traitsISY_E10value_typeET2_T3_PNSZ_IS14_E10value_typeET4_jRbjT5_S1A_jjP12ihipStream_tbEUljE_EEESV_SW_SX_S14_S18_S1A_T6_T7_T9_mT8_S1C_bDpT10_ENKUlT_T0_E_clISt17integral_constantIbLb1EES1P_EEDaS1K_S1L_EUlS1K_E_NS1_11comp_targetILNS1_3genE2ELNS1_11target_archE906ELNS1_3gpuE6ELNS1_3repE0EEENS1_30default_config_static_selectorELNS0_4arch9wavefront6targetE0EEEvSY_
    .private_segment_fixed_size: 0
    .sgpr_count:     0
    .sgpr_spill_count: 0
    .symbol:         _ZN7rocprim17ROCPRIM_400000_NS6detail17trampoline_kernelINS0_13select_configILj256ELj13ELNS0_17block_load_methodE3ELS4_3ELS4_3ELNS0_20block_scan_algorithmE0ELj4294967295EEENS1_25partition_config_selectorILNS1_17partition_subalgoE3EjNS0_10empty_typeEbEEZZNS1_14partition_implILS8_3ELb0ES6_jNS0_17counting_iteratorIjlEEPS9_SE_NS0_5tupleIJPjSE_EEENSF_IJSE_SE_EEES9_SG_JZNS1_25segmented_radix_sort_implINS0_14default_configELb1EPKsPsPKlPlN2at6native12_GLOBAL__N_18offset_tEEE10hipError_tPvRmT1_PNSt15iterator_traitsISY_E10value_typeET2_T3_PNSZ_IS14_E10value_typeET4_jRbjT5_S1A_jjP12ihipStream_tbEUljE_EEESV_SW_SX_S14_S18_S1A_T6_T7_T9_mT8_S1C_bDpT10_ENKUlT_T0_E_clISt17integral_constantIbLb1EES1P_EEDaS1K_S1L_EUlS1K_E_NS1_11comp_targetILNS1_3genE2ELNS1_11target_archE906ELNS1_3gpuE6ELNS1_3repE0EEENS1_30default_config_static_selectorELNS0_4arch9wavefront6targetE0EEEvSY_.kd
    .uniform_work_group_size: 1
    .uses_dynamic_stack: false
    .vgpr_count:     0
    .vgpr_spill_count: 0
    .wavefront_size: 32
    .workgroup_processor_mode: 1
  - .args:
      - .offset:         0
        .size:           152
        .value_kind:     by_value
    .group_segment_fixed_size: 0
    .kernarg_segment_align: 8
    .kernarg_segment_size: 152
    .language:       OpenCL C
    .language_version:
      - 2
      - 0
    .max_flat_workgroup_size: 256
    .name:           _ZN7rocprim17ROCPRIM_400000_NS6detail17trampoline_kernelINS0_13select_configILj256ELj13ELNS0_17block_load_methodE3ELS4_3ELS4_3ELNS0_20block_scan_algorithmE0ELj4294967295EEENS1_25partition_config_selectorILNS1_17partition_subalgoE3EjNS0_10empty_typeEbEEZZNS1_14partition_implILS8_3ELb0ES6_jNS0_17counting_iteratorIjlEEPS9_SE_NS0_5tupleIJPjSE_EEENSF_IJSE_SE_EEES9_SG_JZNS1_25segmented_radix_sort_implINS0_14default_configELb1EPKsPsPKlPlN2at6native12_GLOBAL__N_18offset_tEEE10hipError_tPvRmT1_PNSt15iterator_traitsISY_E10value_typeET2_T3_PNSZ_IS14_E10value_typeET4_jRbjT5_S1A_jjP12ihipStream_tbEUljE_EEESV_SW_SX_S14_S18_S1A_T6_T7_T9_mT8_S1C_bDpT10_ENKUlT_T0_E_clISt17integral_constantIbLb1EES1P_EEDaS1K_S1L_EUlS1K_E_NS1_11comp_targetILNS1_3genE10ELNS1_11target_archE1200ELNS1_3gpuE4ELNS1_3repE0EEENS1_30default_config_static_selectorELNS0_4arch9wavefront6targetE0EEEvSY_
    .private_segment_fixed_size: 0
    .sgpr_count:     0
    .sgpr_spill_count: 0
    .symbol:         _ZN7rocprim17ROCPRIM_400000_NS6detail17trampoline_kernelINS0_13select_configILj256ELj13ELNS0_17block_load_methodE3ELS4_3ELS4_3ELNS0_20block_scan_algorithmE0ELj4294967295EEENS1_25partition_config_selectorILNS1_17partition_subalgoE3EjNS0_10empty_typeEbEEZZNS1_14partition_implILS8_3ELb0ES6_jNS0_17counting_iteratorIjlEEPS9_SE_NS0_5tupleIJPjSE_EEENSF_IJSE_SE_EEES9_SG_JZNS1_25segmented_radix_sort_implINS0_14default_configELb1EPKsPsPKlPlN2at6native12_GLOBAL__N_18offset_tEEE10hipError_tPvRmT1_PNSt15iterator_traitsISY_E10value_typeET2_T3_PNSZ_IS14_E10value_typeET4_jRbjT5_S1A_jjP12ihipStream_tbEUljE_EEESV_SW_SX_S14_S18_S1A_T6_T7_T9_mT8_S1C_bDpT10_ENKUlT_T0_E_clISt17integral_constantIbLb1EES1P_EEDaS1K_S1L_EUlS1K_E_NS1_11comp_targetILNS1_3genE10ELNS1_11target_archE1200ELNS1_3gpuE4ELNS1_3repE0EEENS1_30default_config_static_selectorELNS0_4arch9wavefront6targetE0EEEvSY_.kd
    .uniform_work_group_size: 1
    .uses_dynamic_stack: false
    .vgpr_count:     0
    .vgpr_spill_count: 0
    .wavefront_size: 32
    .workgroup_processor_mode: 1
  - .args:
      - .offset:         0
        .size:           152
        .value_kind:     by_value
    .group_segment_fixed_size: 0
    .kernarg_segment_align: 8
    .kernarg_segment_size: 152
    .language:       OpenCL C
    .language_version:
      - 2
      - 0
    .max_flat_workgroup_size: 256
    .name:           _ZN7rocprim17ROCPRIM_400000_NS6detail17trampoline_kernelINS0_13select_configILj256ELj13ELNS0_17block_load_methodE3ELS4_3ELS4_3ELNS0_20block_scan_algorithmE0ELj4294967295EEENS1_25partition_config_selectorILNS1_17partition_subalgoE3EjNS0_10empty_typeEbEEZZNS1_14partition_implILS8_3ELb0ES6_jNS0_17counting_iteratorIjlEEPS9_SE_NS0_5tupleIJPjSE_EEENSF_IJSE_SE_EEES9_SG_JZNS1_25segmented_radix_sort_implINS0_14default_configELb1EPKsPsPKlPlN2at6native12_GLOBAL__N_18offset_tEEE10hipError_tPvRmT1_PNSt15iterator_traitsISY_E10value_typeET2_T3_PNSZ_IS14_E10value_typeET4_jRbjT5_S1A_jjP12ihipStream_tbEUljE_EEESV_SW_SX_S14_S18_S1A_T6_T7_T9_mT8_S1C_bDpT10_ENKUlT_T0_E_clISt17integral_constantIbLb1EES1P_EEDaS1K_S1L_EUlS1K_E_NS1_11comp_targetILNS1_3genE9ELNS1_11target_archE1100ELNS1_3gpuE3ELNS1_3repE0EEENS1_30default_config_static_selectorELNS0_4arch9wavefront6targetE0EEEvSY_
    .private_segment_fixed_size: 0
    .sgpr_count:     0
    .sgpr_spill_count: 0
    .symbol:         _ZN7rocprim17ROCPRIM_400000_NS6detail17trampoline_kernelINS0_13select_configILj256ELj13ELNS0_17block_load_methodE3ELS4_3ELS4_3ELNS0_20block_scan_algorithmE0ELj4294967295EEENS1_25partition_config_selectorILNS1_17partition_subalgoE3EjNS0_10empty_typeEbEEZZNS1_14partition_implILS8_3ELb0ES6_jNS0_17counting_iteratorIjlEEPS9_SE_NS0_5tupleIJPjSE_EEENSF_IJSE_SE_EEES9_SG_JZNS1_25segmented_radix_sort_implINS0_14default_configELb1EPKsPsPKlPlN2at6native12_GLOBAL__N_18offset_tEEE10hipError_tPvRmT1_PNSt15iterator_traitsISY_E10value_typeET2_T3_PNSZ_IS14_E10value_typeET4_jRbjT5_S1A_jjP12ihipStream_tbEUljE_EEESV_SW_SX_S14_S18_S1A_T6_T7_T9_mT8_S1C_bDpT10_ENKUlT_T0_E_clISt17integral_constantIbLb1EES1P_EEDaS1K_S1L_EUlS1K_E_NS1_11comp_targetILNS1_3genE9ELNS1_11target_archE1100ELNS1_3gpuE3ELNS1_3repE0EEENS1_30default_config_static_selectorELNS0_4arch9wavefront6targetE0EEEvSY_.kd
    .uniform_work_group_size: 1
    .uses_dynamic_stack: false
    .vgpr_count:     0
    .vgpr_spill_count: 0
    .wavefront_size: 32
    .workgroup_processor_mode: 1
  - .args:
      - .offset:         0
        .size:           152
        .value_kind:     by_value
    .group_segment_fixed_size: 0
    .kernarg_segment_align: 8
    .kernarg_segment_size: 152
    .language:       OpenCL C
    .language_version:
      - 2
      - 0
    .max_flat_workgroup_size: 256
    .name:           _ZN7rocprim17ROCPRIM_400000_NS6detail17trampoline_kernelINS0_13select_configILj256ELj13ELNS0_17block_load_methodE3ELS4_3ELS4_3ELNS0_20block_scan_algorithmE0ELj4294967295EEENS1_25partition_config_selectorILNS1_17partition_subalgoE3EjNS0_10empty_typeEbEEZZNS1_14partition_implILS8_3ELb0ES6_jNS0_17counting_iteratorIjlEEPS9_SE_NS0_5tupleIJPjSE_EEENSF_IJSE_SE_EEES9_SG_JZNS1_25segmented_radix_sort_implINS0_14default_configELb1EPKsPsPKlPlN2at6native12_GLOBAL__N_18offset_tEEE10hipError_tPvRmT1_PNSt15iterator_traitsISY_E10value_typeET2_T3_PNSZ_IS14_E10value_typeET4_jRbjT5_S1A_jjP12ihipStream_tbEUljE_EEESV_SW_SX_S14_S18_S1A_T6_T7_T9_mT8_S1C_bDpT10_ENKUlT_T0_E_clISt17integral_constantIbLb1EES1P_EEDaS1K_S1L_EUlS1K_E_NS1_11comp_targetILNS1_3genE8ELNS1_11target_archE1030ELNS1_3gpuE2ELNS1_3repE0EEENS1_30default_config_static_selectorELNS0_4arch9wavefront6targetE0EEEvSY_
    .private_segment_fixed_size: 0
    .sgpr_count:     0
    .sgpr_spill_count: 0
    .symbol:         _ZN7rocprim17ROCPRIM_400000_NS6detail17trampoline_kernelINS0_13select_configILj256ELj13ELNS0_17block_load_methodE3ELS4_3ELS4_3ELNS0_20block_scan_algorithmE0ELj4294967295EEENS1_25partition_config_selectorILNS1_17partition_subalgoE3EjNS0_10empty_typeEbEEZZNS1_14partition_implILS8_3ELb0ES6_jNS0_17counting_iteratorIjlEEPS9_SE_NS0_5tupleIJPjSE_EEENSF_IJSE_SE_EEES9_SG_JZNS1_25segmented_radix_sort_implINS0_14default_configELb1EPKsPsPKlPlN2at6native12_GLOBAL__N_18offset_tEEE10hipError_tPvRmT1_PNSt15iterator_traitsISY_E10value_typeET2_T3_PNSZ_IS14_E10value_typeET4_jRbjT5_S1A_jjP12ihipStream_tbEUljE_EEESV_SW_SX_S14_S18_S1A_T6_T7_T9_mT8_S1C_bDpT10_ENKUlT_T0_E_clISt17integral_constantIbLb1EES1P_EEDaS1K_S1L_EUlS1K_E_NS1_11comp_targetILNS1_3genE8ELNS1_11target_archE1030ELNS1_3gpuE2ELNS1_3repE0EEENS1_30default_config_static_selectorELNS0_4arch9wavefront6targetE0EEEvSY_.kd
    .uniform_work_group_size: 1
    .uses_dynamic_stack: false
    .vgpr_count:     0
    .vgpr_spill_count: 0
    .wavefront_size: 32
    .workgroup_processor_mode: 1
  - .args:
      - .offset:         0
        .size:           144
        .value_kind:     by_value
    .group_segment_fixed_size: 0
    .kernarg_segment_align: 8
    .kernarg_segment_size: 144
    .language:       OpenCL C
    .language_version:
      - 2
      - 0
    .max_flat_workgroup_size: 256
    .name:           _ZN7rocprim17ROCPRIM_400000_NS6detail17trampoline_kernelINS0_13select_configILj256ELj13ELNS0_17block_load_methodE3ELS4_3ELS4_3ELNS0_20block_scan_algorithmE0ELj4294967295EEENS1_25partition_config_selectorILNS1_17partition_subalgoE3EjNS0_10empty_typeEbEEZZNS1_14partition_implILS8_3ELb0ES6_jNS0_17counting_iteratorIjlEEPS9_SE_NS0_5tupleIJPjSE_EEENSF_IJSE_SE_EEES9_SG_JZNS1_25segmented_radix_sort_implINS0_14default_configELb1EPKsPsPKlPlN2at6native12_GLOBAL__N_18offset_tEEE10hipError_tPvRmT1_PNSt15iterator_traitsISY_E10value_typeET2_T3_PNSZ_IS14_E10value_typeET4_jRbjT5_S1A_jjP12ihipStream_tbEUljE_EEESV_SW_SX_S14_S18_S1A_T6_T7_T9_mT8_S1C_bDpT10_ENKUlT_T0_E_clISt17integral_constantIbLb1EES1O_IbLb0EEEEDaS1K_S1L_EUlS1K_E_NS1_11comp_targetILNS1_3genE0ELNS1_11target_archE4294967295ELNS1_3gpuE0ELNS1_3repE0EEENS1_30default_config_static_selectorELNS0_4arch9wavefront6targetE0EEEvSY_
    .private_segment_fixed_size: 0
    .sgpr_count:     0
    .sgpr_spill_count: 0
    .symbol:         _ZN7rocprim17ROCPRIM_400000_NS6detail17trampoline_kernelINS0_13select_configILj256ELj13ELNS0_17block_load_methodE3ELS4_3ELS4_3ELNS0_20block_scan_algorithmE0ELj4294967295EEENS1_25partition_config_selectorILNS1_17partition_subalgoE3EjNS0_10empty_typeEbEEZZNS1_14partition_implILS8_3ELb0ES6_jNS0_17counting_iteratorIjlEEPS9_SE_NS0_5tupleIJPjSE_EEENSF_IJSE_SE_EEES9_SG_JZNS1_25segmented_radix_sort_implINS0_14default_configELb1EPKsPsPKlPlN2at6native12_GLOBAL__N_18offset_tEEE10hipError_tPvRmT1_PNSt15iterator_traitsISY_E10value_typeET2_T3_PNSZ_IS14_E10value_typeET4_jRbjT5_S1A_jjP12ihipStream_tbEUljE_EEESV_SW_SX_S14_S18_S1A_T6_T7_T9_mT8_S1C_bDpT10_ENKUlT_T0_E_clISt17integral_constantIbLb1EES1O_IbLb0EEEEDaS1K_S1L_EUlS1K_E_NS1_11comp_targetILNS1_3genE0ELNS1_11target_archE4294967295ELNS1_3gpuE0ELNS1_3repE0EEENS1_30default_config_static_selectorELNS0_4arch9wavefront6targetE0EEEvSY_.kd
    .uniform_work_group_size: 1
    .uses_dynamic_stack: false
    .vgpr_count:     0
    .vgpr_spill_count: 0
    .wavefront_size: 32
    .workgroup_processor_mode: 1
  - .args:
      - .offset:         0
        .size:           144
        .value_kind:     by_value
    .group_segment_fixed_size: 0
    .kernarg_segment_align: 8
    .kernarg_segment_size: 144
    .language:       OpenCL C
    .language_version:
      - 2
      - 0
    .max_flat_workgroup_size: 256
    .name:           _ZN7rocprim17ROCPRIM_400000_NS6detail17trampoline_kernelINS0_13select_configILj256ELj13ELNS0_17block_load_methodE3ELS4_3ELS4_3ELNS0_20block_scan_algorithmE0ELj4294967295EEENS1_25partition_config_selectorILNS1_17partition_subalgoE3EjNS0_10empty_typeEbEEZZNS1_14partition_implILS8_3ELb0ES6_jNS0_17counting_iteratorIjlEEPS9_SE_NS0_5tupleIJPjSE_EEENSF_IJSE_SE_EEES9_SG_JZNS1_25segmented_radix_sort_implINS0_14default_configELb1EPKsPsPKlPlN2at6native12_GLOBAL__N_18offset_tEEE10hipError_tPvRmT1_PNSt15iterator_traitsISY_E10value_typeET2_T3_PNSZ_IS14_E10value_typeET4_jRbjT5_S1A_jjP12ihipStream_tbEUljE_EEESV_SW_SX_S14_S18_S1A_T6_T7_T9_mT8_S1C_bDpT10_ENKUlT_T0_E_clISt17integral_constantIbLb1EES1O_IbLb0EEEEDaS1K_S1L_EUlS1K_E_NS1_11comp_targetILNS1_3genE5ELNS1_11target_archE942ELNS1_3gpuE9ELNS1_3repE0EEENS1_30default_config_static_selectorELNS0_4arch9wavefront6targetE0EEEvSY_
    .private_segment_fixed_size: 0
    .sgpr_count:     0
    .sgpr_spill_count: 0
    .symbol:         _ZN7rocprim17ROCPRIM_400000_NS6detail17trampoline_kernelINS0_13select_configILj256ELj13ELNS0_17block_load_methodE3ELS4_3ELS4_3ELNS0_20block_scan_algorithmE0ELj4294967295EEENS1_25partition_config_selectorILNS1_17partition_subalgoE3EjNS0_10empty_typeEbEEZZNS1_14partition_implILS8_3ELb0ES6_jNS0_17counting_iteratorIjlEEPS9_SE_NS0_5tupleIJPjSE_EEENSF_IJSE_SE_EEES9_SG_JZNS1_25segmented_radix_sort_implINS0_14default_configELb1EPKsPsPKlPlN2at6native12_GLOBAL__N_18offset_tEEE10hipError_tPvRmT1_PNSt15iterator_traitsISY_E10value_typeET2_T3_PNSZ_IS14_E10value_typeET4_jRbjT5_S1A_jjP12ihipStream_tbEUljE_EEESV_SW_SX_S14_S18_S1A_T6_T7_T9_mT8_S1C_bDpT10_ENKUlT_T0_E_clISt17integral_constantIbLb1EES1O_IbLb0EEEEDaS1K_S1L_EUlS1K_E_NS1_11comp_targetILNS1_3genE5ELNS1_11target_archE942ELNS1_3gpuE9ELNS1_3repE0EEENS1_30default_config_static_selectorELNS0_4arch9wavefront6targetE0EEEvSY_.kd
    .uniform_work_group_size: 1
    .uses_dynamic_stack: false
    .vgpr_count:     0
    .vgpr_spill_count: 0
    .wavefront_size: 32
    .workgroup_processor_mode: 1
  - .args:
      - .offset:         0
        .size:           144
        .value_kind:     by_value
    .group_segment_fixed_size: 0
    .kernarg_segment_align: 8
    .kernarg_segment_size: 144
    .language:       OpenCL C
    .language_version:
      - 2
      - 0
    .max_flat_workgroup_size: 256
    .name:           _ZN7rocprim17ROCPRIM_400000_NS6detail17trampoline_kernelINS0_13select_configILj256ELj13ELNS0_17block_load_methodE3ELS4_3ELS4_3ELNS0_20block_scan_algorithmE0ELj4294967295EEENS1_25partition_config_selectorILNS1_17partition_subalgoE3EjNS0_10empty_typeEbEEZZNS1_14partition_implILS8_3ELb0ES6_jNS0_17counting_iteratorIjlEEPS9_SE_NS0_5tupleIJPjSE_EEENSF_IJSE_SE_EEES9_SG_JZNS1_25segmented_radix_sort_implINS0_14default_configELb1EPKsPsPKlPlN2at6native12_GLOBAL__N_18offset_tEEE10hipError_tPvRmT1_PNSt15iterator_traitsISY_E10value_typeET2_T3_PNSZ_IS14_E10value_typeET4_jRbjT5_S1A_jjP12ihipStream_tbEUljE_EEESV_SW_SX_S14_S18_S1A_T6_T7_T9_mT8_S1C_bDpT10_ENKUlT_T0_E_clISt17integral_constantIbLb1EES1O_IbLb0EEEEDaS1K_S1L_EUlS1K_E_NS1_11comp_targetILNS1_3genE4ELNS1_11target_archE910ELNS1_3gpuE8ELNS1_3repE0EEENS1_30default_config_static_selectorELNS0_4arch9wavefront6targetE0EEEvSY_
    .private_segment_fixed_size: 0
    .sgpr_count:     0
    .sgpr_spill_count: 0
    .symbol:         _ZN7rocprim17ROCPRIM_400000_NS6detail17trampoline_kernelINS0_13select_configILj256ELj13ELNS0_17block_load_methodE3ELS4_3ELS4_3ELNS0_20block_scan_algorithmE0ELj4294967295EEENS1_25partition_config_selectorILNS1_17partition_subalgoE3EjNS0_10empty_typeEbEEZZNS1_14partition_implILS8_3ELb0ES6_jNS0_17counting_iteratorIjlEEPS9_SE_NS0_5tupleIJPjSE_EEENSF_IJSE_SE_EEES9_SG_JZNS1_25segmented_radix_sort_implINS0_14default_configELb1EPKsPsPKlPlN2at6native12_GLOBAL__N_18offset_tEEE10hipError_tPvRmT1_PNSt15iterator_traitsISY_E10value_typeET2_T3_PNSZ_IS14_E10value_typeET4_jRbjT5_S1A_jjP12ihipStream_tbEUljE_EEESV_SW_SX_S14_S18_S1A_T6_T7_T9_mT8_S1C_bDpT10_ENKUlT_T0_E_clISt17integral_constantIbLb1EES1O_IbLb0EEEEDaS1K_S1L_EUlS1K_E_NS1_11comp_targetILNS1_3genE4ELNS1_11target_archE910ELNS1_3gpuE8ELNS1_3repE0EEENS1_30default_config_static_selectorELNS0_4arch9wavefront6targetE0EEEvSY_.kd
    .uniform_work_group_size: 1
    .uses_dynamic_stack: false
    .vgpr_count:     0
    .vgpr_spill_count: 0
    .wavefront_size: 32
    .workgroup_processor_mode: 1
  - .args:
      - .offset:         0
        .size:           144
        .value_kind:     by_value
    .group_segment_fixed_size: 0
    .kernarg_segment_align: 8
    .kernarg_segment_size: 144
    .language:       OpenCL C
    .language_version:
      - 2
      - 0
    .max_flat_workgroup_size: 256
    .name:           _ZN7rocprim17ROCPRIM_400000_NS6detail17trampoline_kernelINS0_13select_configILj256ELj13ELNS0_17block_load_methodE3ELS4_3ELS4_3ELNS0_20block_scan_algorithmE0ELj4294967295EEENS1_25partition_config_selectorILNS1_17partition_subalgoE3EjNS0_10empty_typeEbEEZZNS1_14partition_implILS8_3ELb0ES6_jNS0_17counting_iteratorIjlEEPS9_SE_NS0_5tupleIJPjSE_EEENSF_IJSE_SE_EEES9_SG_JZNS1_25segmented_radix_sort_implINS0_14default_configELb1EPKsPsPKlPlN2at6native12_GLOBAL__N_18offset_tEEE10hipError_tPvRmT1_PNSt15iterator_traitsISY_E10value_typeET2_T3_PNSZ_IS14_E10value_typeET4_jRbjT5_S1A_jjP12ihipStream_tbEUljE_EEESV_SW_SX_S14_S18_S1A_T6_T7_T9_mT8_S1C_bDpT10_ENKUlT_T0_E_clISt17integral_constantIbLb1EES1O_IbLb0EEEEDaS1K_S1L_EUlS1K_E_NS1_11comp_targetILNS1_3genE3ELNS1_11target_archE908ELNS1_3gpuE7ELNS1_3repE0EEENS1_30default_config_static_selectorELNS0_4arch9wavefront6targetE0EEEvSY_
    .private_segment_fixed_size: 0
    .sgpr_count:     0
    .sgpr_spill_count: 0
    .symbol:         _ZN7rocprim17ROCPRIM_400000_NS6detail17trampoline_kernelINS0_13select_configILj256ELj13ELNS0_17block_load_methodE3ELS4_3ELS4_3ELNS0_20block_scan_algorithmE0ELj4294967295EEENS1_25partition_config_selectorILNS1_17partition_subalgoE3EjNS0_10empty_typeEbEEZZNS1_14partition_implILS8_3ELb0ES6_jNS0_17counting_iteratorIjlEEPS9_SE_NS0_5tupleIJPjSE_EEENSF_IJSE_SE_EEES9_SG_JZNS1_25segmented_radix_sort_implINS0_14default_configELb1EPKsPsPKlPlN2at6native12_GLOBAL__N_18offset_tEEE10hipError_tPvRmT1_PNSt15iterator_traitsISY_E10value_typeET2_T3_PNSZ_IS14_E10value_typeET4_jRbjT5_S1A_jjP12ihipStream_tbEUljE_EEESV_SW_SX_S14_S18_S1A_T6_T7_T9_mT8_S1C_bDpT10_ENKUlT_T0_E_clISt17integral_constantIbLb1EES1O_IbLb0EEEEDaS1K_S1L_EUlS1K_E_NS1_11comp_targetILNS1_3genE3ELNS1_11target_archE908ELNS1_3gpuE7ELNS1_3repE0EEENS1_30default_config_static_selectorELNS0_4arch9wavefront6targetE0EEEvSY_.kd
    .uniform_work_group_size: 1
    .uses_dynamic_stack: false
    .vgpr_count:     0
    .vgpr_spill_count: 0
    .wavefront_size: 32
    .workgroup_processor_mode: 1
  - .args:
      - .offset:         0
        .size:           144
        .value_kind:     by_value
    .group_segment_fixed_size: 0
    .kernarg_segment_align: 8
    .kernarg_segment_size: 144
    .language:       OpenCL C
    .language_version:
      - 2
      - 0
    .max_flat_workgroup_size: 256
    .name:           _ZN7rocprim17ROCPRIM_400000_NS6detail17trampoline_kernelINS0_13select_configILj256ELj13ELNS0_17block_load_methodE3ELS4_3ELS4_3ELNS0_20block_scan_algorithmE0ELj4294967295EEENS1_25partition_config_selectorILNS1_17partition_subalgoE3EjNS0_10empty_typeEbEEZZNS1_14partition_implILS8_3ELb0ES6_jNS0_17counting_iteratorIjlEEPS9_SE_NS0_5tupleIJPjSE_EEENSF_IJSE_SE_EEES9_SG_JZNS1_25segmented_radix_sort_implINS0_14default_configELb1EPKsPsPKlPlN2at6native12_GLOBAL__N_18offset_tEEE10hipError_tPvRmT1_PNSt15iterator_traitsISY_E10value_typeET2_T3_PNSZ_IS14_E10value_typeET4_jRbjT5_S1A_jjP12ihipStream_tbEUljE_EEESV_SW_SX_S14_S18_S1A_T6_T7_T9_mT8_S1C_bDpT10_ENKUlT_T0_E_clISt17integral_constantIbLb1EES1O_IbLb0EEEEDaS1K_S1L_EUlS1K_E_NS1_11comp_targetILNS1_3genE2ELNS1_11target_archE906ELNS1_3gpuE6ELNS1_3repE0EEENS1_30default_config_static_selectorELNS0_4arch9wavefront6targetE0EEEvSY_
    .private_segment_fixed_size: 0
    .sgpr_count:     0
    .sgpr_spill_count: 0
    .symbol:         _ZN7rocprim17ROCPRIM_400000_NS6detail17trampoline_kernelINS0_13select_configILj256ELj13ELNS0_17block_load_methodE3ELS4_3ELS4_3ELNS0_20block_scan_algorithmE0ELj4294967295EEENS1_25partition_config_selectorILNS1_17partition_subalgoE3EjNS0_10empty_typeEbEEZZNS1_14partition_implILS8_3ELb0ES6_jNS0_17counting_iteratorIjlEEPS9_SE_NS0_5tupleIJPjSE_EEENSF_IJSE_SE_EEES9_SG_JZNS1_25segmented_radix_sort_implINS0_14default_configELb1EPKsPsPKlPlN2at6native12_GLOBAL__N_18offset_tEEE10hipError_tPvRmT1_PNSt15iterator_traitsISY_E10value_typeET2_T3_PNSZ_IS14_E10value_typeET4_jRbjT5_S1A_jjP12ihipStream_tbEUljE_EEESV_SW_SX_S14_S18_S1A_T6_T7_T9_mT8_S1C_bDpT10_ENKUlT_T0_E_clISt17integral_constantIbLb1EES1O_IbLb0EEEEDaS1K_S1L_EUlS1K_E_NS1_11comp_targetILNS1_3genE2ELNS1_11target_archE906ELNS1_3gpuE6ELNS1_3repE0EEENS1_30default_config_static_selectorELNS0_4arch9wavefront6targetE0EEEvSY_.kd
    .uniform_work_group_size: 1
    .uses_dynamic_stack: false
    .vgpr_count:     0
    .vgpr_spill_count: 0
    .wavefront_size: 32
    .workgroup_processor_mode: 1
  - .args:
      - .offset:         0
        .size:           144
        .value_kind:     by_value
    .group_segment_fixed_size: 0
    .kernarg_segment_align: 8
    .kernarg_segment_size: 144
    .language:       OpenCL C
    .language_version:
      - 2
      - 0
    .max_flat_workgroup_size: 256
    .name:           _ZN7rocprim17ROCPRIM_400000_NS6detail17trampoline_kernelINS0_13select_configILj256ELj13ELNS0_17block_load_methodE3ELS4_3ELS4_3ELNS0_20block_scan_algorithmE0ELj4294967295EEENS1_25partition_config_selectorILNS1_17partition_subalgoE3EjNS0_10empty_typeEbEEZZNS1_14partition_implILS8_3ELb0ES6_jNS0_17counting_iteratorIjlEEPS9_SE_NS0_5tupleIJPjSE_EEENSF_IJSE_SE_EEES9_SG_JZNS1_25segmented_radix_sort_implINS0_14default_configELb1EPKsPsPKlPlN2at6native12_GLOBAL__N_18offset_tEEE10hipError_tPvRmT1_PNSt15iterator_traitsISY_E10value_typeET2_T3_PNSZ_IS14_E10value_typeET4_jRbjT5_S1A_jjP12ihipStream_tbEUljE_EEESV_SW_SX_S14_S18_S1A_T6_T7_T9_mT8_S1C_bDpT10_ENKUlT_T0_E_clISt17integral_constantIbLb1EES1O_IbLb0EEEEDaS1K_S1L_EUlS1K_E_NS1_11comp_targetILNS1_3genE10ELNS1_11target_archE1200ELNS1_3gpuE4ELNS1_3repE0EEENS1_30default_config_static_selectorELNS0_4arch9wavefront6targetE0EEEvSY_
    .private_segment_fixed_size: 0
    .sgpr_count:     0
    .sgpr_spill_count: 0
    .symbol:         _ZN7rocprim17ROCPRIM_400000_NS6detail17trampoline_kernelINS0_13select_configILj256ELj13ELNS0_17block_load_methodE3ELS4_3ELS4_3ELNS0_20block_scan_algorithmE0ELj4294967295EEENS1_25partition_config_selectorILNS1_17partition_subalgoE3EjNS0_10empty_typeEbEEZZNS1_14partition_implILS8_3ELb0ES6_jNS0_17counting_iteratorIjlEEPS9_SE_NS0_5tupleIJPjSE_EEENSF_IJSE_SE_EEES9_SG_JZNS1_25segmented_radix_sort_implINS0_14default_configELb1EPKsPsPKlPlN2at6native12_GLOBAL__N_18offset_tEEE10hipError_tPvRmT1_PNSt15iterator_traitsISY_E10value_typeET2_T3_PNSZ_IS14_E10value_typeET4_jRbjT5_S1A_jjP12ihipStream_tbEUljE_EEESV_SW_SX_S14_S18_S1A_T6_T7_T9_mT8_S1C_bDpT10_ENKUlT_T0_E_clISt17integral_constantIbLb1EES1O_IbLb0EEEEDaS1K_S1L_EUlS1K_E_NS1_11comp_targetILNS1_3genE10ELNS1_11target_archE1200ELNS1_3gpuE4ELNS1_3repE0EEENS1_30default_config_static_selectorELNS0_4arch9wavefront6targetE0EEEvSY_.kd
    .uniform_work_group_size: 1
    .uses_dynamic_stack: false
    .vgpr_count:     0
    .vgpr_spill_count: 0
    .wavefront_size: 32
    .workgroup_processor_mode: 1
  - .args:
      - .offset:         0
        .size:           144
        .value_kind:     by_value
    .group_segment_fixed_size: 0
    .kernarg_segment_align: 8
    .kernarg_segment_size: 144
    .language:       OpenCL C
    .language_version:
      - 2
      - 0
    .max_flat_workgroup_size: 256
    .name:           _ZN7rocprim17ROCPRIM_400000_NS6detail17trampoline_kernelINS0_13select_configILj256ELj13ELNS0_17block_load_methodE3ELS4_3ELS4_3ELNS0_20block_scan_algorithmE0ELj4294967295EEENS1_25partition_config_selectorILNS1_17partition_subalgoE3EjNS0_10empty_typeEbEEZZNS1_14partition_implILS8_3ELb0ES6_jNS0_17counting_iteratorIjlEEPS9_SE_NS0_5tupleIJPjSE_EEENSF_IJSE_SE_EEES9_SG_JZNS1_25segmented_radix_sort_implINS0_14default_configELb1EPKsPsPKlPlN2at6native12_GLOBAL__N_18offset_tEEE10hipError_tPvRmT1_PNSt15iterator_traitsISY_E10value_typeET2_T3_PNSZ_IS14_E10value_typeET4_jRbjT5_S1A_jjP12ihipStream_tbEUljE_EEESV_SW_SX_S14_S18_S1A_T6_T7_T9_mT8_S1C_bDpT10_ENKUlT_T0_E_clISt17integral_constantIbLb1EES1O_IbLb0EEEEDaS1K_S1L_EUlS1K_E_NS1_11comp_targetILNS1_3genE9ELNS1_11target_archE1100ELNS1_3gpuE3ELNS1_3repE0EEENS1_30default_config_static_selectorELNS0_4arch9wavefront6targetE0EEEvSY_
    .private_segment_fixed_size: 0
    .sgpr_count:     0
    .sgpr_spill_count: 0
    .symbol:         _ZN7rocprim17ROCPRIM_400000_NS6detail17trampoline_kernelINS0_13select_configILj256ELj13ELNS0_17block_load_methodE3ELS4_3ELS4_3ELNS0_20block_scan_algorithmE0ELj4294967295EEENS1_25partition_config_selectorILNS1_17partition_subalgoE3EjNS0_10empty_typeEbEEZZNS1_14partition_implILS8_3ELb0ES6_jNS0_17counting_iteratorIjlEEPS9_SE_NS0_5tupleIJPjSE_EEENSF_IJSE_SE_EEES9_SG_JZNS1_25segmented_radix_sort_implINS0_14default_configELb1EPKsPsPKlPlN2at6native12_GLOBAL__N_18offset_tEEE10hipError_tPvRmT1_PNSt15iterator_traitsISY_E10value_typeET2_T3_PNSZ_IS14_E10value_typeET4_jRbjT5_S1A_jjP12ihipStream_tbEUljE_EEESV_SW_SX_S14_S18_S1A_T6_T7_T9_mT8_S1C_bDpT10_ENKUlT_T0_E_clISt17integral_constantIbLb1EES1O_IbLb0EEEEDaS1K_S1L_EUlS1K_E_NS1_11comp_targetILNS1_3genE9ELNS1_11target_archE1100ELNS1_3gpuE3ELNS1_3repE0EEENS1_30default_config_static_selectorELNS0_4arch9wavefront6targetE0EEEvSY_.kd
    .uniform_work_group_size: 1
    .uses_dynamic_stack: false
    .vgpr_count:     0
    .vgpr_spill_count: 0
    .wavefront_size: 32
    .workgroup_processor_mode: 1
  - .args:
      - .offset:         0
        .size:           144
        .value_kind:     by_value
    .group_segment_fixed_size: 0
    .kernarg_segment_align: 8
    .kernarg_segment_size: 144
    .language:       OpenCL C
    .language_version:
      - 2
      - 0
    .max_flat_workgroup_size: 256
    .name:           _ZN7rocprim17ROCPRIM_400000_NS6detail17trampoline_kernelINS0_13select_configILj256ELj13ELNS0_17block_load_methodE3ELS4_3ELS4_3ELNS0_20block_scan_algorithmE0ELj4294967295EEENS1_25partition_config_selectorILNS1_17partition_subalgoE3EjNS0_10empty_typeEbEEZZNS1_14partition_implILS8_3ELb0ES6_jNS0_17counting_iteratorIjlEEPS9_SE_NS0_5tupleIJPjSE_EEENSF_IJSE_SE_EEES9_SG_JZNS1_25segmented_radix_sort_implINS0_14default_configELb1EPKsPsPKlPlN2at6native12_GLOBAL__N_18offset_tEEE10hipError_tPvRmT1_PNSt15iterator_traitsISY_E10value_typeET2_T3_PNSZ_IS14_E10value_typeET4_jRbjT5_S1A_jjP12ihipStream_tbEUljE_EEESV_SW_SX_S14_S18_S1A_T6_T7_T9_mT8_S1C_bDpT10_ENKUlT_T0_E_clISt17integral_constantIbLb1EES1O_IbLb0EEEEDaS1K_S1L_EUlS1K_E_NS1_11comp_targetILNS1_3genE8ELNS1_11target_archE1030ELNS1_3gpuE2ELNS1_3repE0EEENS1_30default_config_static_selectorELNS0_4arch9wavefront6targetE0EEEvSY_
    .private_segment_fixed_size: 0
    .sgpr_count:     0
    .sgpr_spill_count: 0
    .symbol:         _ZN7rocprim17ROCPRIM_400000_NS6detail17trampoline_kernelINS0_13select_configILj256ELj13ELNS0_17block_load_methodE3ELS4_3ELS4_3ELNS0_20block_scan_algorithmE0ELj4294967295EEENS1_25partition_config_selectorILNS1_17partition_subalgoE3EjNS0_10empty_typeEbEEZZNS1_14partition_implILS8_3ELb0ES6_jNS0_17counting_iteratorIjlEEPS9_SE_NS0_5tupleIJPjSE_EEENSF_IJSE_SE_EEES9_SG_JZNS1_25segmented_radix_sort_implINS0_14default_configELb1EPKsPsPKlPlN2at6native12_GLOBAL__N_18offset_tEEE10hipError_tPvRmT1_PNSt15iterator_traitsISY_E10value_typeET2_T3_PNSZ_IS14_E10value_typeET4_jRbjT5_S1A_jjP12ihipStream_tbEUljE_EEESV_SW_SX_S14_S18_S1A_T6_T7_T9_mT8_S1C_bDpT10_ENKUlT_T0_E_clISt17integral_constantIbLb1EES1O_IbLb0EEEEDaS1K_S1L_EUlS1K_E_NS1_11comp_targetILNS1_3genE8ELNS1_11target_archE1030ELNS1_3gpuE2ELNS1_3repE0EEENS1_30default_config_static_selectorELNS0_4arch9wavefront6targetE0EEEvSY_.kd
    .uniform_work_group_size: 1
    .uses_dynamic_stack: false
    .vgpr_count:     0
    .vgpr_spill_count: 0
    .wavefront_size: 32
    .workgroup_processor_mode: 1
  - .args:
      - .offset:         0
        .size:           152
        .value_kind:     by_value
    .group_segment_fixed_size: 0
    .kernarg_segment_align: 8
    .kernarg_segment_size: 152
    .language:       OpenCL C
    .language_version:
      - 2
      - 0
    .max_flat_workgroup_size: 256
    .name:           _ZN7rocprim17ROCPRIM_400000_NS6detail17trampoline_kernelINS0_13select_configILj256ELj13ELNS0_17block_load_methodE3ELS4_3ELS4_3ELNS0_20block_scan_algorithmE0ELj4294967295EEENS1_25partition_config_selectorILNS1_17partition_subalgoE3EjNS0_10empty_typeEbEEZZNS1_14partition_implILS8_3ELb0ES6_jNS0_17counting_iteratorIjlEEPS9_SE_NS0_5tupleIJPjSE_EEENSF_IJSE_SE_EEES9_SG_JZNS1_25segmented_radix_sort_implINS0_14default_configELb1EPKsPsPKlPlN2at6native12_GLOBAL__N_18offset_tEEE10hipError_tPvRmT1_PNSt15iterator_traitsISY_E10value_typeET2_T3_PNSZ_IS14_E10value_typeET4_jRbjT5_S1A_jjP12ihipStream_tbEUljE_EEESV_SW_SX_S14_S18_S1A_T6_T7_T9_mT8_S1C_bDpT10_ENKUlT_T0_E_clISt17integral_constantIbLb0EES1O_IbLb1EEEEDaS1K_S1L_EUlS1K_E_NS1_11comp_targetILNS1_3genE0ELNS1_11target_archE4294967295ELNS1_3gpuE0ELNS1_3repE0EEENS1_30default_config_static_selectorELNS0_4arch9wavefront6targetE0EEEvSY_
    .private_segment_fixed_size: 0
    .sgpr_count:     0
    .sgpr_spill_count: 0
    .symbol:         _ZN7rocprim17ROCPRIM_400000_NS6detail17trampoline_kernelINS0_13select_configILj256ELj13ELNS0_17block_load_methodE3ELS4_3ELS4_3ELNS0_20block_scan_algorithmE0ELj4294967295EEENS1_25partition_config_selectorILNS1_17partition_subalgoE3EjNS0_10empty_typeEbEEZZNS1_14partition_implILS8_3ELb0ES6_jNS0_17counting_iteratorIjlEEPS9_SE_NS0_5tupleIJPjSE_EEENSF_IJSE_SE_EEES9_SG_JZNS1_25segmented_radix_sort_implINS0_14default_configELb1EPKsPsPKlPlN2at6native12_GLOBAL__N_18offset_tEEE10hipError_tPvRmT1_PNSt15iterator_traitsISY_E10value_typeET2_T3_PNSZ_IS14_E10value_typeET4_jRbjT5_S1A_jjP12ihipStream_tbEUljE_EEESV_SW_SX_S14_S18_S1A_T6_T7_T9_mT8_S1C_bDpT10_ENKUlT_T0_E_clISt17integral_constantIbLb0EES1O_IbLb1EEEEDaS1K_S1L_EUlS1K_E_NS1_11comp_targetILNS1_3genE0ELNS1_11target_archE4294967295ELNS1_3gpuE0ELNS1_3repE0EEENS1_30default_config_static_selectorELNS0_4arch9wavefront6targetE0EEEvSY_.kd
    .uniform_work_group_size: 1
    .uses_dynamic_stack: false
    .vgpr_count:     0
    .vgpr_spill_count: 0
    .wavefront_size: 32
    .workgroup_processor_mode: 1
  - .args:
      - .offset:         0
        .size:           152
        .value_kind:     by_value
    .group_segment_fixed_size: 0
    .kernarg_segment_align: 8
    .kernarg_segment_size: 152
    .language:       OpenCL C
    .language_version:
      - 2
      - 0
    .max_flat_workgroup_size: 256
    .name:           _ZN7rocprim17ROCPRIM_400000_NS6detail17trampoline_kernelINS0_13select_configILj256ELj13ELNS0_17block_load_methodE3ELS4_3ELS4_3ELNS0_20block_scan_algorithmE0ELj4294967295EEENS1_25partition_config_selectorILNS1_17partition_subalgoE3EjNS0_10empty_typeEbEEZZNS1_14partition_implILS8_3ELb0ES6_jNS0_17counting_iteratorIjlEEPS9_SE_NS0_5tupleIJPjSE_EEENSF_IJSE_SE_EEES9_SG_JZNS1_25segmented_radix_sort_implINS0_14default_configELb1EPKsPsPKlPlN2at6native12_GLOBAL__N_18offset_tEEE10hipError_tPvRmT1_PNSt15iterator_traitsISY_E10value_typeET2_T3_PNSZ_IS14_E10value_typeET4_jRbjT5_S1A_jjP12ihipStream_tbEUljE_EEESV_SW_SX_S14_S18_S1A_T6_T7_T9_mT8_S1C_bDpT10_ENKUlT_T0_E_clISt17integral_constantIbLb0EES1O_IbLb1EEEEDaS1K_S1L_EUlS1K_E_NS1_11comp_targetILNS1_3genE5ELNS1_11target_archE942ELNS1_3gpuE9ELNS1_3repE0EEENS1_30default_config_static_selectorELNS0_4arch9wavefront6targetE0EEEvSY_
    .private_segment_fixed_size: 0
    .sgpr_count:     0
    .sgpr_spill_count: 0
    .symbol:         _ZN7rocprim17ROCPRIM_400000_NS6detail17trampoline_kernelINS0_13select_configILj256ELj13ELNS0_17block_load_methodE3ELS4_3ELS4_3ELNS0_20block_scan_algorithmE0ELj4294967295EEENS1_25partition_config_selectorILNS1_17partition_subalgoE3EjNS0_10empty_typeEbEEZZNS1_14partition_implILS8_3ELb0ES6_jNS0_17counting_iteratorIjlEEPS9_SE_NS0_5tupleIJPjSE_EEENSF_IJSE_SE_EEES9_SG_JZNS1_25segmented_radix_sort_implINS0_14default_configELb1EPKsPsPKlPlN2at6native12_GLOBAL__N_18offset_tEEE10hipError_tPvRmT1_PNSt15iterator_traitsISY_E10value_typeET2_T3_PNSZ_IS14_E10value_typeET4_jRbjT5_S1A_jjP12ihipStream_tbEUljE_EEESV_SW_SX_S14_S18_S1A_T6_T7_T9_mT8_S1C_bDpT10_ENKUlT_T0_E_clISt17integral_constantIbLb0EES1O_IbLb1EEEEDaS1K_S1L_EUlS1K_E_NS1_11comp_targetILNS1_3genE5ELNS1_11target_archE942ELNS1_3gpuE9ELNS1_3repE0EEENS1_30default_config_static_selectorELNS0_4arch9wavefront6targetE0EEEvSY_.kd
    .uniform_work_group_size: 1
    .uses_dynamic_stack: false
    .vgpr_count:     0
    .vgpr_spill_count: 0
    .wavefront_size: 32
    .workgroup_processor_mode: 1
  - .args:
      - .offset:         0
        .size:           152
        .value_kind:     by_value
    .group_segment_fixed_size: 0
    .kernarg_segment_align: 8
    .kernarg_segment_size: 152
    .language:       OpenCL C
    .language_version:
      - 2
      - 0
    .max_flat_workgroup_size: 256
    .name:           _ZN7rocprim17ROCPRIM_400000_NS6detail17trampoline_kernelINS0_13select_configILj256ELj13ELNS0_17block_load_methodE3ELS4_3ELS4_3ELNS0_20block_scan_algorithmE0ELj4294967295EEENS1_25partition_config_selectorILNS1_17partition_subalgoE3EjNS0_10empty_typeEbEEZZNS1_14partition_implILS8_3ELb0ES6_jNS0_17counting_iteratorIjlEEPS9_SE_NS0_5tupleIJPjSE_EEENSF_IJSE_SE_EEES9_SG_JZNS1_25segmented_radix_sort_implINS0_14default_configELb1EPKsPsPKlPlN2at6native12_GLOBAL__N_18offset_tEEE10hipError_tPvRmT1_PNSt15iterator_traitsISY_E10value_typeET2_T3_PNSZ_IS14_E10value_typeET4_jRbjT5_S1A_jjP12ihipStream_tbEUljE_EEESV_SW_SX_S14_S18_S1A_T6_T7_T9_mT8_S1C_bDpT10_ENKUlT_T0_E_clISt17integral_constantIbLb0EES1O_IbLb1EEEEDaS1K_S1L_EUlS1K_E_NS1_11comp_targetILNS1_3genE4ELNS1_11target_archE910ELNS1_3gpuE8ELNS1_3repE0EEENS1_30default_config_static_selectorELNS0_4arch9wavefront6targetE0EEEvSY_
    .private_segment_fixed_size: 0
    .sgpr_count:     0
    .sgpr_spill_count: 0
    .symbol:         _ZN7rocprim17ROCPRIM_400000_NS6detail17trampoline_kernelINS0_13select_configILj256ELj13ELNS0_17block_load_methodE3ELS4_3ELS4_3ELNS0_20block_scan_algorithmE0ELj4294967295EEENS1_25partition_config_selectorILNS1_17partition_subalgoE3EjNS0_10empty_typeEbEEZZNS1_14partition_implILS8_3ELb0ES6_jNS0_17counting_iteratorIjlEEPS9_SE_NS0_5tupleIJPjSE_EEENSF_IJSE_SE_EEES9_SG_JZNS1_25segmented_radix_sort_implINS0_14default_configELb1EPKsPsPKlPlN2at6native12_GLOBAL__N_18offset_tEEE10hipError_tPvRmT1_PNSt15iterator_traitsISY_E10value_typeET2_T3_PNSZ_IS14_E10value_typeET4_jRbjT5_S1A_jjP12ihipStream_tbEUljE_EEESV_SW_SX_S14_S18_S1A_T6_T7_T9_mT8_S1C_bDpT10_ENKUlT_T0_E_clISt17integral_constantIbLb0EES1O_IbLb1EEEEDaS1K_S1L_EUlS1K_E_NS1_11comp_targetILNS1_3genE4ELNS1_11target_archE910ELNS1_3gpuE8ELNS1_3repE0EEENS1_30default_config_static_selectorELNS0_4arch9wavefront6targetE0EEEvSY_.kd
    .uniform_work_group_size: 1
    .uses_dynamic_stack: false
    .vgpr_count:     0
    .vgpr_spill_count: 0
    .wavefront_size: 32
    .workgroup_processor_mode: 1
  - .args:
      - .offset:         0
        .size:           152
        .value_kind:     by_value
    .group_segment_fixed_size: 0
    .kernarg_segment_align: 8
    .kernarg_segment_size: 152
    .language:       OpenCL C
    .language_version:
      - 2
      - 0
    .max_flat_workgroup_size: 256
    .name:           _ZN7rocprim17ROCPRIM_400000_NS6detail17trampoline_kernelINS0_13select_configILj256ELj13ELNS0_17block_load_methodE3ELS4_3ELS4_3ELNS0_20block_scan_algorithmE0ELj4294967295EEENS1_25partition_config_selectorILNS1_17partition_subalgoE3EjNS0_10empty_typeEbEEZZNS1_14partition_implILS8_3ELb0ES6_jNS0_17counting_iteratorIjlEEPS9_SE_NS0_5tupleIJPjSE_EEENSF_IJSE_SE_EEES9_SG_JZNS1_25segmented_radix_sort_implINS0_14default_configELb1EPKsPsPKlPlN2at6native12_GLOBAL__N_18offset_tEEE10hipError_tPvRmT1_PNSt15iterator_traitsISY_E10value_typeET2_T3_PNSZ_IS14_E10value_typeET4_jRbjT5_S1A_jjP12ihipStream_tbEUljE_EEESV_SW_SX_S14_S18_S1A_T6_T7_T9_mT8_S1C_bDpT10_ENKUlT_T0_E_clISt17integral_constantIbLb0EES1O_IbLb1EEEEDaS1K_S1L_EUlS1K_E_NS1_11comp_targetILNS1_3genE3ELNS1_11target_archE908ELNS1_3gpuE7ELNS1_3repE0EEENS1_30default_config_static_selectorELNS0_4arch9wavefront6targetE0EEEvSY_
    .private_segment_fixed_size: 0
    .sgpr_count:     0
    .sgpr_spill_count: 0
    .symbol:         _ZN7rocprim17ROCPRIM_400000_NS6detail17trampoline_kernelINS0_13select_configILj256ELj13ELNS0_17block_load_methodE3ELS4_3ELS4_3ELNS0_20block_scan_algorithmE0ELj4294967295EEENS1_25partition_config_selectorILNS1_17partition_subalgoE3EjNS0_10empty_typeEbEEZZNS1_14partition_implILS8_3ELb0ES6_jNS0_17counting_iteratorIjlEEPS9_SE_NS0_5tupleIJPjSE_EEENSF_IJSE_SE_EEES9_SG_JZNS1_25segmented_radix_sort_implINS0_14default_configELb1EPKsPsPKlPlN2at6native12_GLOBAL__N_18offset_tEEE10hipError_tPvRmT1_PNSt15iterator_traitsISY_E10value_typeET2_T3_PNSZ_IS14_E10value_typeET4_jRbjT5_S1A_jjP12ihipStream_tbEUljE_EEESV_SW_SX_S14_S18_S1A_T6_T7_T9_mT8_S1C_bDpT10_ENKUlT_T0_E_clISt17integral_constantIbLb0EES1O_IbLb1EEEEDaS1K_S1L_EUlS1K_E_NS1_11comp_targetILNS1_3genE3ELNS1_11target_archE908ELNS1_3gpuE7ELNS1_3repE0EEENS1_30default_config_static_selectorELNS0_4arch9wavefront6targetE0EEEvSY_.kd
    .uniform_work_group_size: 1
    .uses_dynamic_stack: false
    .vgpr_count:     0
    .vgpr_spill_count: 0
    .wavefront_size: 32
    .workgroup_processor_mode: 1
  - .args:
      - .offset:         0
        .size:           152
        .value_kind:     by_value
    .group_segment_fixed_size: 0
    .kernarg_segment_align: 8
    .kernarg_segment_size: 152
    .language:       OpenCL C
    .language_version:
      - 2
      - 0
    .max_flat_workgroup_size: 256
    .name:           _ZN7rocprim17ROCPRIM_400000_NS6detail17trampoline_kernelINS0_13select_configILj256ELj13ELNS0_17block_load_methodE3ELS4_3ELS4_3ELNS0_20block_scan_algorithmE0ELj4294967295EEENS1_25partition_config_selectorILNS1_17partition_subalgoE3EjNS0_10empty_typeEbEEZZNS1_14partition_implILS8_3ELb0ES6_jNS0_17counting_iteratorIjlEEPS9_SE_NS0_5tupleIJPjSE_EEENSF_IJSE_SE_EEES9_SG_JZNS1_25segmented_radix_sort_implINS0_14default_configELb1EPKsPsPKlPlN2at6native12_GLOBAL__N_18offset_tEEE10hipError_tPvRmT1_PNSt15iterator_traitsISY_E10value_typeET2_T3_PNSZ_IS14_E10value_typeET4_jRbjT5_S1A_jjP12ihipStream_tbEUljE_EEESV_SW_SX_S14_S18_S1A_T6_T7_T9_mT8_S1C_bDpT10_ENKUlT_T0_E_clISt17integral_constantIbLb0EES1O_IbLb1EEEEDaS1K_S1L_EUlS1K_E_NS1_11comp_targetILNS1_3genE2ELNS1_11target_archE906ELNS1_3gpuE6ELNS1_3repE0EEENS1_30default_config_static_selectorELNS0_4arch9wavefront6targetE0EEEvSY_
    .private_segment_fixed_size: 0
    .sgpr_count:     0
    .sgpr_spill_count: 0
    .symbol:         _ZN7rocprim17ROCPRIM_400000_NS6detail17trampoline_kernelINS0_13select_configILj256ELj13ELNS0_17block_load_methodE3ELS4_3ELS4_3ELNS0_20block_scan_algorithmE0ELj4294967295EEENS1_25partition_config_selectorILNS1_17partition_subalgoE3EjNS0_10empty_typeEbEEZZNS1_14partition_implILS8_3ELb0ES6_jNS0_17counting_iteratorIjlEEPS9_SE_NS0_5tupleIJPjSE_EEENSF_IJSE_SE_EEES9_SG_JZNS1_25segmented_radix_sort_implINS0_14default_configELb1EPKsPsPKlPlN2at6native12_GLOBAL__N_18offset_tEEE10hipError_tPvRmT1_PNSt15iterator_traitsISY_E10value_typeET2_T3_PNSZ_IS14_E10value_typeET4_jRbjT5_S1A_jjP12ihipStream_tbEUljE_EEESV_SW_SX_S14_S18_S1A_T6_T7_T9_mT8_S1C_bDpT10_ENKUlT_T0_E_clISt17integral_constantIbLb0EES1O_IbLb1EEEEDaS1K_S1L_EUlS1K_E_NS1_11comp_targetILNS1_3genE2ELNS1_11target_archE906ELNS1_3gpuE6ELNS1_3repE0EEENS1_30default_config_static_selectorELNS0_4arch9wavefront6targetE0EEEvSY_.kd
    .uniform_work_group_size: 1
    .uses_dynamic_stack: false
    .vgpr_count:     0
    .vgpr_spill_count: 0
    .wavefront_size: 32
    .workgroup_processor_mode: 1
  - .args:
      - .offset:         0
        .size:           152
        .value_kind:     by_value
    .group_segment_fixed_size: 0
    .kernarg_segment_align: 8
    .kernarg_segment_size: 152
    .language:       OpenCL C
    .language_version:
      - 2
      - 0
    .max_flat_workgroup_size: 256
    .name:           _ZN7rocprim17ROCPRIM_400000_NS6detail17trampoline_kernelINS0_13select_configILj256ELj13ELNS0_17block_load_methodE3ELS4_3ELS4_3ELNS0_20block_scan_algorithmE0ELj4294967295EEENS1_25partition_config_selectorILNS1_17partition_subalgoE3EjNS0_10empty_typeEbEEZZNS1_14partition_implILS8_3ELb0ES6_jNS0_17counting_iteratorIjlEEPS9_SE_NS0_5tupleIJPjSE_EEENSF_IJSE_SE_EEES9_SG_JZNS1_25segmented_radix_sort_implINS0_14default_configELb1EPKsPsPKlPlN2at6native12_GLOBAL__N_18offset_tEEE10hipError_tPvRmT1_PNSt15iterator_traitsISY_E10value_typeET2_T3_PNSZ_IS14_E10value_typeET4_jRbjT5_S1A_jjP12ihipStream_tbEUljE_EEESV_SW_SX_S14_S18_S1A_T6_T7_T9_mT8_S1C_bDpT10_ENKUlT_T0_E_clISt17integral_constantIbLb0EES1O_IbLb1EEEEDaS1K_S1L_EUlS1K_E_NS1_11comp_targetILNS1_3genE10ELNS1_11target_archE1200ELNS1_3gpuE4ELNS1_3repE0EEENS1_30default_config_static_selectorELNS0_4arch9wavefront6targetE0EEEvSY_
    .private_segment_fixed_size: 0
    .sgpr_count:     0
    .sgpr_spill_count: 0
    .symbol:         _ZN7rocprim17ROCPRIM_400000_NS6detail17trampoline_kernelINS0_13select_configILj256ELj13ELNS0_17block_load_methodE3ELS4_3ELS4_3ELNS0_20block_scan_algorithmE0ELj4294967295EEENS1_25partition_config_selectorILNS1_17partition_subalgoE3EjNS0_10empty_typeEbEEZZNS1_14partition_implILS8_3ELb0ES6_jNS0_17counting_iteratorIjlEEPS9_SE_NS0_5tupleIJPjSE_EEENSF_IJSE_SE_EEES9_SG_JZNS1_25segmented_radix_sort_implINS0_14default_configELb1EPKsPsPKlPlN2at6native12_GLOBAL__N_18offset_tEEE10hipError_tPvRmT1_PNSt15iterator_traitsISY_E10value_typeET2_T3_PNSZ_IS14_E10value_typeET4_jRbjT5_S1A_jjP12ihipStream_tbEUljE_EEESV_SW_SX_S14_S18_S1A_T6_T7_T9_mT8_S1C_bDpT10_ENKUlT_T0_E_clISt17integral_constantIbLb0EES1O_IbLb1EEEEDaS1K_S1L_EUlS1K_E_NS1_11comp_targetILNS1_3genE10ELNS1_11target_archE1200ELNS1_3gpuE4ELNS1_3repE0EEENS1_30default_config_static_selectorELNS0_4arch9wavefront6targetE0EEEvSY_.kd
    .uniform_work_group_size: 1
    .uses_dynamic_stack: false
    .vgpr_count:     0
    .vgpr_spill_count: 0
    .wavefront_size: 32
    .workgroup_processor_mode: 1
  - .args:
      - .offset:         0
        .size:           152
        .value_kind:     by_value
    .group_segment_fixed_size: 0
    .kernarg_segment_align: 8
    .kernarg_segment_size: 152
    .language:       OpenCL C
    .language_version:
      - 2
      - 0
    .max_flat_workgroup_size: 256
    .name:           _ZN7rocprim17ROCPRIM_400000_NS6detail17trampoline_kernelINS0_13select_configILj256ELj13ELNS0_17block_load_methodE3ELS4_3ELS4_3ELNS0_20block_scan_algorithmE0ELj4294967295EEENS1_25partition_config_selectorILNS1_17partition_subalgoE3EjNS0_10empty_typeEbEEZZNS1_14partition_implILS8_3ELb0ES6_jNS0_17counting_iteratorIjlEEPS9_SE_NS0_5tupleIJPjSE_EEENSF_IJSE_SE_EEES9_SG_JZNS1_25segmented_radix_sort_implINS0_14default_configELb1EPKsPsPKlPlN2at6native12_GLOBAL__N_18offset_tEEE10hipError_tPvRmT1_PNSt15iterator_traitsISY_E10value_typeET2_T3_PNSZ_IS14_E10value_typeET4_jRbjT5_S1A_jjP12ihipStream_tbEUljE_EEESV_SW_SX_S14_S18_S1A_T6_T7_T9_mT8_S1C_bDpT10_ENKUlT_T0_E_clISt17integral_constantIbLb0EES1O_IbLb1EEEEDaS1K_S1L_EUlS1K_E_NS1_11comp_targetILNS1_3genE9ELNS1_11target_archE1100ELNS1_3gpuE3ELNS1_3repE0EEENS1_30default_config_static_selectorELNS0_4arch9wavefront6targetE0EEEvSY_
    .private_segment_fixed_size: 0
    .sgpr_count:     0
    .sgpr_spill_count: 0
    .symbol:         _ZN7rocprim17ROCPRIM_400000_NS6detail17trampoline_kernelINS0_13select_configILj256ELj13ELNS0_17block_load_methodE3ELS4_3ELS4_3ELNS0_20block_scan_algorithmE0ELj4294967295EEENS1_25partition_config_selectorILNS1_17partition_subalgoE3EjNS0_10empty_typeEbEEZZNS1_14partition_implILS8_3ELb0ES6_jNS0_17counting_iteratorIjlEEPS9_SE_NS0_5tupleIJPjSE_EEENSF_IJSE_SE_EEES9_SG_JZNS1_25segmented_radix_sort_implINS0_14default_configELb1EPKsPsPKlPlN2at6native12_GLOBAL__N_18offset_tEEE10hipError_tPvRmT1_PNSt15iterator_traitsISY_E10value_typeET2_T3_PNSZ_IS14_E10value_typeET4_jRbjT5_S1A_jjP12ihipStream_tbEUljE_EEESV_SW_SX_S14_S18_S1A_T6_T7_T9_mT8_S1C_bDpT10_ENKUlT_T0_E_clISt17integral_constantIbLb0EES1O_IbLb1EEEEDaS1K_S1L_EUlS1K_E_NS1_11comp_targetILNS1_3genE9ELNS1_11target_archE1100ELNS1_3gpuE3ELNS1_3repE0EEENS1_30default_config_static_selectorELNS0_4arch9wavefront6targetE0EEEvSY_.kd
    .uniform_work_group_size: 1
    .uses_dynamic_stack: false
    .vgpr_count:     0
    .vgpr_spill_count: 0
    .wavefront_size: 32
    .workgroup_processor_mode: 1
  - .args:
      - .offset:         0
        .size:           152
        .value_kind:     by_value
    .group_segment_fixed_size: 13320
    .kernarg_segment_align: 8
    .kernarg_segment_size: 152
    .language:       OpenCL C
    .language_version:
      - 2
      - 0
    .max_flat_workgroup_size: 256
    .name:           _ZN7rocprim17ROCPRIM_400000_NS6detail17trampoline_kernelINS0_13select_configILj256ELj13ELNS0_17block_load_methodE3ELS4_3ELS4_3ELNS0_20block_scan_algorithmE0ELj4294967295EEENS1_25partition_config_selectorILNS1_17partition_subalgoE3EjNS0_10empty_typeEbEEZZNS1_14partition_implILS8_3ELb0ES6_jNS0_17counting_iteratorIjlEEPS9_SE_NS0_5tupleIJPjSE_EEENSF_IJSE_SE_EEES9_SG_JZNS1_25segmented_radix_sort_implINS0_14default_configELb1EPKsPsPKlPlN2at6native12_GLOBAL__N_18offset_tEEE10hipError_tPvRmT1_PNSt15iterator_traitsISY_E10value_typeET2_T3_PNSZ_IS14_E10value_typeET4_jRbjT5_S1A_jjP12ihipStream_tbEUljE_EEESV_SW_SX_S14_S18_S1A_T6_T7_T9_mT8_S1C_bDpT10_ENKUlT_T0_E_clISt17integral_constantIbLb0EES1O_IbLb1EEEEDaS1K_S1L_EUlS1K_E_NS1_11comp_targetILNS1_3genE8ELNS1_11target_archE1030ELNS1_3gpuE2ELNS1_3repE0EEENS1_30default_config_static_selectorELNS0_4arch9wavefront6targetE0EEEvSY_
    .private_segment_fixed_size: 0
    .sgpr_count:     28
    .sgpr_spill_count: 0
    .symbol:         _ZN7rocprim17ROCPRIM_400000_NS6detail17trampoline_kernelINS0_13select_configILj256ELj13ELNS0_17block_load_methodE3ELS4_3ELS4_3ELNS0_20block_scan_algorithmE0ELj4294967295EEENS1_25partition_config_selectorILNS1_17partition_subalgoE3EjNS0_10empty_typeEbEEZZNS1_14partition_implILS8_3ELb0ES6_jNS0_17counting_iteratorIjlEEPS9_SE_NS0_5tupleIJPjSE_EEENSF_IJSE_SE_EEES9_SG_JZNS1_25segmented_radix_sort_implINS0_14default_configELb1EPKsPsPKlPlN2at6native12_GLOBAL__N_18offset_tEEE10hipError_tPvRmT1_PNSt15iterator_traitsISY_E10value_typeET2_T3_PNSZ_IS14_E10value_typeET4_jRbjT5_S1A_jjP12ihipStream_tbEUljE_EEESV_SW_SX_S14_S18_S1A_T6_T7_T9_mT8_S1C_bDpT10_ENKUlT_T0_E_clISt17integral_constantIbLb0EES1O_IbLb1EEEEDaS1K_S1L_EUlS1K_E_NS1_11comp_targetILNS1_3genE8ELNS1_11target_archE1030ELNS1_3gpuE2ELNS1_3repE0EEENS1_30default_config_static_selectorELNS0_4arch9wavefront6targetE0EEEvSY_.kd
    .uniform_work_group_size: 1
    .uses_dynamic_stack: false
    .vgpr_count:     71
    .vgpr_spill_count: 0
    .wavefront_size: 32
    .workgroup_processor_mode: 1
  - .args:
      - .offset:         0
        .size:           96
        .value_kind:     by_value
    .group_segment_fixed_size: 0
    .kernarg_segment_align: 8
    .kernarg_segment_size: 96
    .language:       OpenCL C
    .language_version:
      - 2
      - 0
    .max_flat_workgroup_size: 256
    .name:           _ZN7rocprim17ROCPRIM_400000_NS6detail17trampoline_kernelINS0_14default_configENS1_36segmented_radix_sort_config_selectorIslEEZNS1_25segmented_radix_sort_implIS3_Lb1EPKsPsPKlPlN2at6native12_GLOBAL__N_18offset_tEEE10hipError_tPvRmT1_PNSt15iterator_traitsISK_E10value_typeET2_T3_PNSL_ISQ_E10value_typeET4_jRbjT5_SW_jjP12ihipStream_tbEUlT_E_NS1_11comp_targetILNS1_3genE0ELNS1_11target_archE4294967295ELNS1_3gpuE0ELNS1_3repE0EEENS1_30default_config_static_selectorELNS0_4arch9wavefront6targetE0EEEvSK_
    .private_segment_fixed_size: 0
    .sgpr_count:     0
    .sgpr_spill_count: 0
    .symbol:         _ZN7rocprim17ROCPRIM_400000_NS6detail17trampoline_kernelINS0_14default_configENS1_36segmented_radix_sort_config_selectorIslEEZNS1_25segmented_radix_sort_implIS3_Lb1EPKsPsPKlPlN2at6native12_GLOBAL__N_18offset_tEEE10hipError_tPvRmT1_PNSt15iterator_traitsISK_E10value_typeET2_T3_PNSL_ISQ_E10value_typeET4_jRbjT5_SW_jjP12ihipStream_tbEUlT_E_NS1_11comp_targetILNS1_3genE0ELNS1_11target_archE4294967295ELNS1_3gpuE0ELNS1_3repE0EEENS1_30default_config_static_selectorELNS0_4arch9wavefront6targetE0EEEvSK_.kd
    .uniform_work_group_size: 1
    .uses_dynamic_stack: false
    .vgpr_count:     0
    .vgpr_spill_count: 0
    .wavefront_size: 32
    .workgroup_processor_mode: 1
  - .args:
      - .offset:         0
        .size:           96
        .value_kind:     by_value
    .group_segment_fixed_size: 0
    .kernarg_segment_align: 8
    .kernarg_segment_size: 96
    .language:       OpenCL C
    .language_version:
      - 2
      - 0
    .max_flat_workgroup_size: 256
    .name:           _ZN7rocprim17ROCPRIM_400000_NS6detail17trampoline_kernelINS0_14default_configENS1_36segmented_radix_sort_config_selectorIslEEZNS1_25segmented_radix_sort_implIS3_Lb1EPKsPsPKlPlN2at6native12_GLOBAL__N_18offset_tEEE10hipError_tPvRmT1_PNSt15iterator_traitsISK_E10value_typeET2_T3_PNSL_ISQ_E10value_typeET4_jRbjT5_SW_jjP12ihipStream_tbEUlT_E_NS1_11comp_targetILNS1_3genE5ELNS1_11target_archE942ELNS1_3gpuE9ELNS1_3repE0EEENS1_30default_config_static_selectorELNS0_4arch9wavefront6targetE0EEEvSK_
    .private_segment_fixed_size: 0
    .sgpr_count:     0
    .sgpr_spill_count: 0
    .symbol:         _ZN7rocprim17ROCPRIM_400000_NS6detail17trampoline_kernelINS0_14default_configENS1_36segmented_radix_sort_config_selectorIslEEZNS1_25segmented_radix_sort_implIS3_Lb1EPKsPsPKlPlN2at6native12_GLOBAL__N_18offset_tEEE10hipError_tPvRmT1_PNSt15iterator_traitsISK_E10value_typeET2_T3_PNSL_ISQ_E10value_typeET4_jRbjT5_SW_jjP12ihipStream_tbEUlT_E_NS1_11comp_targetILNS1_3genE5ELNS1_11target_archE942ELNS1_3gpuE9ELNS1_3repE0EEENS1_30default_config_static_selectorELNS0_4arch9wavefront6targetE0EEEvSK_.kd
    .uniform_work_group_size: 1
    .uses_dynamic_stack: false
    .vgpr_count:     0
    .vgpr_spill_count: 0
    .wavefront_size: 32
    .workgroup_processor_mode: 1
  - .args:
      - .offset:         0
        .size:           96
        .value_kind:     by_value
    .group_segment_fixed_size: 0
    .kernarg_segment_align: 8
    .kernarg_segment_size: 96
    .language:       OpenCL C
    .language_version:
      - 2
      - 0
    .max_flat_workgroup_size: 256
    .name:           _ZN7rocprim17ROCPRIM_400000_NS6detail17trampoline_kernelINS0_14default_configENS1_36segmented_radix_sort_config_selectorIslEEZNS1_25segmented_radix_sort_implIS3_Lb1EPKsPsPKlPlN2at6native12_GLOBAL__N_18offset_tEEE10hipError_tPvRmT1_PNSt15iterator_traitsISK_E10value_typeET2_T3_PNSL_ISQ_E10value_typeET4_jRbjT5_SW_jjP12ihipStream_tbEUlT_E_NS1_11comp_targetILNS1_3genE4ELNS1_11target_archE910ELNS1_3gpuE8ELNS1_3repE0EEENS1_30default_config_static_selectorELNS0_4arch9wavefront6targetE0EEEvSK_
    .private_segment_fixed_size: 0
    .sgpr_count:     0
    .sgpr_spill_count: 0
    .symbol:         _ZN7rocprim17ROCPRIM_400000_NS6detail17trampoline_kernelINS0_14default_configENS1_36segmented_radix_sort_config_selectorIslEEZNS1_25segmented_radix_sort_implIS3_Lb1EPKsPsPKlPlN2at6native12_GLOBAL__N_18offset_tEEE10hipError_tPvRmT1_PNSt15iterator_traitsISK_E10value_typeET2_T3_PNSL_ISQ_E10value_typeET4_jRbjT5_SW_jjP12ihipStream_tbEUlT_E_NS1_11comp_targetILNS1_3genE4ELNS1_11target_archE910ELNS1_3gpuE8ELNS1_3repE0EEENS1_30default_config_static_selectorELNS0_4arch9wavefront6targetE0EEEvSK_.kd
    .uniform_work_group_size: 1
    .uses_dynamic_stack: false
    .vgpr_count:     0
    .vgpr_spill_count: 0
    .wavefront_size: 32
    .workgroup_processor_mode: 1
  - .args:
      - .offset:         0
        .size:           96
        .value_kind:     by_value
    .group_segment_fixed_size: 0
    .kernarg_segment_align: 8
    .kernarg_segment_size: 96
    .language:       OpenCL C
    .language_version:
      - 2
      - 0
    .max_flat_workgroup_size: 256
    .name:           _ZN7rocprim17ROCPRIM_400000_NS6detail17trampoline_kernelINS0_14default_configENS1_36segmented_radix_sort_config_selectorIslEEZNS1_25segmented_radix_sort_implIS3_Lb1EPKsPsPKlPlN2at6native12_GLOBAL__N_18offset_tEEE10hipError_tPvRmT1_PNSt15iterator_traitsISK_E10value_typeET2_T3_PNSL_ISQ_E10value_typeET4_jRbjT5_SW_jjP12ihipStream_tbEUlT_E_NS1_11comp_targetILNS1_3genE3ELNS1_11target_archE908ELNS1_3gpuE7ELNS1_3repE0EEENS1_30default_config_static_selectorELNS0_4arch9wavefront6targetE0EEEvSK_
    .private_segment_fixed_size: 0
    .sgpr_count:     0
    .sgpr_spill_count: 0
    .symbol:         _ZN7rocprim17ROCPRIM_400000_NS6detail17trampoline_kernelINS0_14default_configENS1_36segmented_radix_sort_config_selectorIslEEZNS1_25segmented_radix_sort_implIS3_Lb1EPKsPsPKlPlN2at6native12_GLOBAL__N_18offset_tEEE10hipError_tPvRmT1_PNSt15iterator_traitsISK_E10value_typeET2_T3_PNSL_ISQ_E10value_typeET4_jRbjT5_SW_jjP12ihipStream_tbEUlT_E_NS1_11comp_targetILNS1_3genE3ELNS1_11target_archE908ELNS1_3gpuE7ELNS1_3repE0EEENS1_30default_config_static_selectorELNS0_4arch9wavefront6targetE0EEEvSK_.kd
    .uniform_work_group_size: 1
    .uses_dynamic_stack: false
    .vgpr_count:     0
    .vgpr_spill_count: 0
    .wavefront_size: 32
    .workgroup_processor_mode: 1
  - .args:
      - .offset:         0
        .size:           96
        .value_kind:     by_value
    .group_segment_fixed_size: 0
    .kernarg_segment_align: 8
    .kernarg_segment_size: 96
    .language:       OpenCL C
    .language_version:
      - 2
      - 0
    .max_flat_workgroup_size: 256
    .name:           _ZN7rocprim17ROCPRIM_400000_NS6detail17trampoline_kernelINS0_14default_configENS1_36segmented_radix_sort_config_selectorIslEEZNS1_25segmented_radix_sort_implIS3_Lb1EPKsPsPKlPlN2at6native12_GLOBAL__N_18offset_tEEE10hipError_tPvRmT1_PNSt15iterator_traitsISK_E10value_typeET2_T3_PNSL_ISQ_E10value_typeET4_jRbjT5_SW_jjP12ihipStream_tbEUlT_E_NS1_11comp_targetILNS1_3genE2ELNS1_11target_archE906ELNS1_3gpuE6ELNS1_3repE0EEENS1_30default_config_static_selectorELNS0_4arch9wavefront6targetE0EEEvSK_
    .private_segment_fixed_size: 0
    .sgpr_count:     0
    .sgpr_spill_count: 0
    .symbol:         _ZN7rocprim17ROCPRIM_400000_NS6detail17trampoline_kernelINS0_14default_configENS1_36segmented_radix_sort_config_selectorIslEEZNS1_25segmented_radix_sort_implIS3_Lb1EPKsPsPKlPlN2at6native12_GLOBAL__N_18offset_tEEE10hipError_tPvRmT1_PNSt15iterator_traitsISK_E10value_typeET2_T3_PNSL_ISQ_E10value_typeET4_jRbjT5_SW_jjP12ihipStream_tbEUlT_E_NS1_11comp_targetILNS1_3genE2ELNS1_11target_archE906ELNS1_3gpuE6ELNS1_3repE0EEENS1_30default_config_static_selectorELNS0_4arch9wavefront6targetE0EEEvSK_.kd
    .uniform_work_group_size: 1
    .uses_dynamic_stack: false
    .vgpr_count:     0
    .vgpr_spill_count: 0
    .wavefront_size: 32
    .workgroup_processor_mode: 1
  - .args:
      - .offset:         0
        .size:           96
        .value_kind:     by_value
    .group_segment_fixed_size: 0
    .kernarg_segment_align: 8
    .kernarg_segment_size: 96
    .language:       OpenCL C
    .language_version:
      - 2
      - 0
    .max_flat_workgroup_size: 256
    .name:           _ZN7rocprim17ROCPRIM_400000_NS6detail17trampoline_kernelINS0_14default_configENS1_36segmented_radix_sort_config_selectorIslEEZNS1_25segmented_radix_sort_implIS3_Lb1EPKsPsPKlPlN2at6native12_GLOBAL__N_18offset_tEEE10hipError_tPvRmT1_PNSt15iterator_traitsISK_E10value_typeET2_T3_PNSL_ISQ_E10value_typeET4_jRbjT5_SW_jjP12ihipStream_tbEUlT_E_NS1_11comp_targetILNS1_3genE10ELNS1_11target_archE1201ELNS1_3gpuE5ELNS1_3repE0EEENS1_30default_config_static_selectorELNS0_4arch9wavefront6targetE0EEEvSK_
    .private_segment_fixed_size: 0
    .sgpr_count:     0
    .sgpr_spill_count: 0
    .symbol:         _ZN7rocprim17ROCPRIM_400000_NS6detail17trampoline_kernelINS0_14default_configENS1_36segmented_radix_sort_config_selectorIslEEZNS1_25segmented_radix_sort_implIS3_Lb1EPKsPsPKlPlN2at6native12_GLOBAL__N_18offset_tEEE10hipError_tPvRmT1_PNSt15iterator_traitsISK_E10value_typeET2_T3_PNSL_ISQ_E10value_typeET4_jRbjT5_SW_jjP12ihipStream_tbEUlT_E_NS1_11comp_targetILNS1_3genE10ELNS1_11target_archE1201ELNS1_3gpuE5ELNS1_3repE0EEENS1_30default_config_static_selectorELNS0_4arch9wavefront6targetE0EEEvSK_.kd
    .uniform_work_group_size: 1
    .uses_dynamic_stack: false
    .vgpr_count:     0
    .vgpr_spill_count: 0
    .wavefront_size: 32
    .workgroup_processor_mode: 1
  - .args:
      - .offset:         0
        .size:           96
        .value_kind:     by_value
    .group_segment_fixed_size: 0
    .kernarg_segment_align: 8
    .kernarg_segment_size: 96
    .language:       OpenCL C
    .language_version:
      - 2
      - 0
    .max_flat_workgroup_size: 128
    .name:           _ZN7rocprim17ROCPRIM_400000_NS6detail17trampoline_kernelINS0_14default_configENS1_36segmented_radix_sort_config_selectorIslEEZNS1_25segmented_radix_sort_implIS3_Lb1EPKsPsPKlPlN2at6native12_GLOBAL__N_18offset_tEEE10hipError_tPvRmT1_PNSt15iterator_traitsISK_E10value_typeET2_T3_PNSL_ISQ_E10value_typeET4_jRbjT5_SW_jjP12ihipStream_tbEUlT_E_NS1_11comp_targetILNS1_3genE10ELNS1_11target_archE1200ELNS1_3gpuE4ELNS1_3repE0EEENS1_30default_config_static_selectorELNS0_4arch9wavefront6targetE0EEEvSK_
    .private_segment_fixed_size: 0
    .sgpr_count:     0
    .sgpr_spill_count: 0
    .symbol:         _ZN7rocprim17ROCPRIM_400000_NS6detail17trampoline_kernelINS0_14default_configENS1_36segmented_radix_sort_config_selectorIslEEZNS1_25segmented_radix_sort_implIS3_Lb1EPKsPsPKlPlN2at6native12_GLOBAL__N_18offset_tEEE10hipError_tPvRmT1_PNSt15iterator_traitsISK_E10value_typeET2_T3_PNSL_ISQ_E10value_typeET4_jRbjT5_SW_jjP12ihipStream_tbEUlT_E_NS1_11comp_targetILNS1_3genE10ELNS1_11target_archE1200ELNS1_3gpuE4ELNS1_3repE0EEENS1_30default_config_static_selectorELNS0_4arch9wavefront6targetE0EEEvSK_.kd
    .uniform_work_group_size: 1
    .uses_dynamic_stack: false
    .vgpr_count:     0
    .vgpr_spill_count: 0
    .wavefront_size: 32
    .workgroup_processor_mode: 1
  - .args:
      - .offset:         0
        .size:           96
        .value_kind:     by_value
    .group_segment_fixed_size: 0
    .kernarg_segment_align: 8
    .kernarg_segment_size: 96
    .language:       OpenCL C
    .language_version:
      - 2
      - 0
    .max_flat_workgroup_size: 256
    .name:           _ZN7rocprim17ROCPRIM_400000_NS6detail17trampoline_kernelINS0_14default_configENS1_36segmented_radix_sort_config_selectorIslEEZNS1_25segmented_radix_sort_implIS3_Lb1EPKsPsPKlPlN2at6native12_GLOBAL__N_18offset_tEEE10hipError_tPvRmT1_PNSt15iterator_traitsISK_E10value_typeET2_T3_PNSL_ISQ_E10value_typeET4_jRbjT5_SW_jjP12ihipStream_tbEUlT_E_NS1_11comp_targetILNS1_3genE9ELNS1_11target_archE1100ELNS1_3gpuE3ELNS1_3repE0EEENS1_30default_config_static_selectorELNS0_4arch9wavefront6targetE0EEEvSK_
    .private_segment_fixed_size: 0
    .sgpr_count:     0
    .sgpr_spill_count: 0
    .symbol:         _ZN7rocprim17ROCPRIM_400000_NS6detail17trampoline_kernelINS0_14default_configENS1_36segmented_radix_sort_config_selectorIslEEZNS1_25segmented_radix_sort_implIS3_Lb1EPKsPsPKlPlN2at6native12_GLOBAL__N_18offset_tEEE10hipError_tPvRmT1_PNSt15iterator_traitsISK_E10value_typeET2_T3_PNSL_ISQ_E10value_typeET4_jRbjT5_SW_jjP12ihipStream_tbEUlT_E_NS1_11comp_targetILNS1_3genE9ELNS1_11target_archE1100ELNS1_3gpuE3ELNS1_3repE0EEENS1_30default_config_static_selectorELNS0_4arch9wavefront6targetE0EEEvSK_.kd
    .uniform_work_group_size: 1
    .uses_dynamic_stack: false
    .vgpr_count:     0
    .vgpr_spill_count: 0
    .wavefront_size: 32
    .workgroup_processor_mode: 1
  - .args:
      - .offset:         0
        .size:           96
        .value_kind:     by_value
      - .offset:         96
        .size:           4
        .value_kind:     hidden_block_count_x
      - .offset:         100
        .size:           4
        .value_kind:     hidden_block_count_y
      - .offset:         104
        .size:           4
        .value_kind:     hidden_block_count_z
      - .offset:         108
        .size:           2
        .value_kind:     hidden_group_size_x
      - .offset:         110
        .size:           2
        .value_kind:     hidden_group_size_y
      - .offset:         112
        .size:           2
        .value_kind:     hidden_group_size_z
      - .offset:         114
        .size:           2
        .value_kind:     hidden_remainder_x
      - .offset:         116
        .size:           2
        .value_kind:     hidden_remainder_y
      - .offset:         118
        .size:           2
        .value_kind:     hidden_remainder_z
      - .offset:         136
        .size:           8
        .value_kind:     hidden_global_offset_x
      - .offset:         144
        .size:           8
        .value_kind:     hidden_global_offset_y
      - .offset:         152
        .size:           8
        .value_kind:     hidden_global_offset_z
      - .offset:         160
        .size:           2
        .value_kind:     hidden_grid_dims
    .group_segment_fixed_size: 35344
    .kernarg_segment_align: 8
    .kernarg_segment_size: 352
    .language:       OpenCL C
    .language_version:
      - 2
      - 0
    .max_flat_workgroup_size: 256
    .name:           _ZN7rocprim17ROCPRIM_400000_NS6detail17trampoline_kernelINS0_14default_configENS1_36segmented_radix_sort_config_selectorIslEEZNS1_25segmented_radix_sort_implIS3_Lb1EPKsPsPKlPlN2at6native12_GLOBAL__N_18offset_tEEE10hipError_tPvRmT1_PNSt15iterator_traitsISK_E10value_typeET2_T3_PNSL_ISQ_E10value_typeET4_jRbjT5_SW_jjP12ihipStream_tbEUlT_E_NS1_11comp_targetILNS1_3genE8ELNS1_11target_archE1030ELNS1_3gpuE2ELNS1_3repE0EEENS1_30default_config_static_selectorELNS0_4arch9wavefront6targetE0EEEvSK_
    .private_segment_fixed_size: 196
    .sgpr_count:     70
    .sgpr_spill_count: 0
    .symbol:         _ZN7rocprim17ROCPRIM_400000_NS6detail17trampoline_kernelINS0_14default_configENS1_36segmented_radix_sort_config_selectorIslEEZNS1_25segmented_radix_sort_implIS3_Lb1EPKsPsPKlPlN2at6native12_GLOBAL__N_18offset_tEEE10hipError_tPvRmT1_PNSt15iterator_traitsISK_E10value_typeET2_T3_PNSL_ISQ_E10value_typeET4_jRbjT5_SW_jjP12ihipStream_tbEUlT_E_NS1_11comp_targetILNS1_3genE8ELNS1_11target_archE1030ELNS1_3gpuE2ELNS1_3repE0EEENS1_30default_config_static_selectorELNS0_4arch9wavefront6targetE0EEEvSK_.kd
    .uniform_work_group_size: 1
    .uses_dynamic_stack: false
    .vgpr_count:     248
    .vgpr_spill_count: 0
    .wavefront_size: 32
    .workgroup_processor_mode: 1
  - .args:
      - .offset:         0
        .size:           88
        .value_kind:     by_value
    .group_segment_fixed_size: 0
    .kernarg_segment_align: 8
    .kernarg_segment_size: 88
    .language:       OpenCL C
    .language_version:
      - 2
      - 0
    .max_flat_workgroup_size: 256
    .name:           _ZN7rocprim17ROCPRIM_400000_NS6detail17trampoline_kernelINS0_14default_configENS1_36segmented_radix_sort_config_selectorIslEEZNS1_25segmented_radix_sort_implIS3_Lb1EPKsPsPKlPlN2at6native12_GLOBAL__N_18offset_tEEE10hipError_tPvRmT1_PNSt15iterator_traitsISK_E10value_typeET2_T3_PNSL_ISQ_E10value_typeET4_jRbjT5_SW_jjP12ihipStream_tbEUlT_E0_NS1_11comp_targetILNS1_3genE0ELNS1_11target_archE4294967295ELNS1_3gpuE0ELNS1_3repE0EEENS1_60segmented_radix_sort_warp_sort_medium_config_static_selectorELNS0_4arch9wavefront6targetE0EEEvSK_
    .private_segment_fixed_size: 0
    .sgpr_count:     0
    .sgpr_spill_count: 0
    .symbol:         _ZN7rocprim17ROCPRIM_400000_NS6detail17trampoline_kernelINS0_14default_configENS1_36segmented_radix_sort_config_selectorIslEEZNS1_25segmented_radix_sort_implIS3_Lb1EPKsPsPKlPlN2at6native12_GLOBAL__N_18offset_tEEE10hipError_tPvRmT1_PNSt15iterator_traitsISK_E10value_typeET2_T3_PNSL_ISQ_E10value_typeET4_jRbjT5_SW_jjP12ihipStream_tbEUlT_E0_NS1_11comp_targetILNS1_3genE0ELNS1_11target_archE4294967295ELNS1_3gpuE0ELNS1_3repE0EEENS1_60segmented_radix_sort_warp_sort_medium_config_static_selectorELNS0_4arch9wavefront6targetE0EEEvSK_.kd
    .uniform_work_group_size: 1
    .uses_dynamic_stack: false
    .vgpr_count:     0
    .vgpr_spill_count: 0
    .wavefront_size: 32
    .workgroup_processor_mode: 1
  - .args:
      - .offset:         0
        .size:           88
        .value_kind:     by_value
    .group_segment_fixed_size: 0
    .kernarg_segment_align: 8
    .kernarg_segment_size: 88
    .language:       OpenCL C
    .language_version:
      - 2
      - 0
    .max_flat_workgroup_size: 256
    .name:           _ZN7rocprim17ROCPRIM_400000_NS6detail17trampoline_kernelINS0_14default_configENS1_36segmented_radix_sort_config_selectorIslEEZNS1_25segmented_radix_sort_implIS3_Lb1EPKsPsPKlPlN2at6native12_GLOBAL__N_18offset_tEEE10hipError_tPvRmT1_PNSt15iterator_traitsISK_E10value_typeET2_T3_PNSL_ISQ_E10value_typeET4_jRbjT5_SW_jjP12ihipStream_tbEUlT_E0_NS1_11comp_targetILNS1_3genE5ELNS1_11target_archE942ELNS1_3gpuE9ELNS1_3repE0EEENS1_60segmented_radix_sort_warp_sort_medium_config_static_selectorELNS0_4arch9wavefront6targetE0EEEvSK_
    .private_segment_fixed_size: 0
    .sgpr_count:     0
    .sgpr_spill_count: 0
    .symbol:         _ZN7rocprim17ROCPRIM_400000_NS6detail17trampoline_kernelINS0_14default_configENS1_36segmented_radix_sort_config_selectorIslEEZNS1_25segmented_radix_sort_implIS3_Lb1EPKsPsPKlPlN2at6native12_GLOBAL__N_18offset_tEEE10hipError_tPvRmT1_PNSt15iterator_traitsISK_E10value_typeET2_T3_PNSL_ISQ_E10value_typeET4_jRbjT5_SW_jjP12ihipStream_tbEUlT_E0_NS1_11comp_targetILNS1_3genE5ELNS1_11target_archE942ELNS1_3gpuE9ELNS1_3repE0EEENS1_60segmented_radix_sort_warp_sort_medium_config_static_selectorELNS0_4arch9wavefront6targetE0EEEvSK_.kd
    .uniform_work_group_size: 1
    .uses_dynamic_stack: false
    .vgpr_count:     0
    .vgpr_spill_count: 0
    .wavefront_size: 32
    .workgroup_processor_mode: 1
  - .args:
      - .offset:         0
        .size:           88
        .value_kind:     by_value
    .group_segment_fixed_size: 0
    .kernarg_segment_align: 8
    .kernarg_segment_size: 88
    .language:       OpenCL C
    .language_version:
      - 2
      - 0
    .max_flat_workgroup_size: 256
    .name:           _ZN7rocprim17ROCPRIM_400000_NS6detail17trampoline_kernelINS0_14default_configENS1_36segmented_radix_sort_config_selectorIslEEZNS1_25segmented_radix_sort_implIS3_Lb1EPKsPsPKlPlN2at6native12_GLOBAL__N_18offset_tEEE10hipError_tPvRmT1_PNSt15iterator_traitsISK_E10value_typeET2_T3_PNSL_ISQ_E10value_typeET4_jRbjT5_SW_jjP12ihipStream_tbEUlT_E0_NS1_11comp_targetILNS1_3genE4ELNS1_11target_archE910ELNS1_3gpuE8ELNS1_3repE0EEENS1_60segmented_radix_sort_warp_sort_medium_config_static_selectorELNS0_4arch9wavefront6targetE0EEEvSK_
    .private_segment_fixed_size: 0
    .sgpr_count:     0
    .sgpr_spill_count: 0
    .symbol:         _ZN7rocprim17ROCPRIM_400000_NS6detail17trampoline_kernelINS0_14default_configENS1_36segmented_radix_sort_config_selectorIslEEZNS1_25segmented_radix_sort_implIS3_Lb1EPKsPsPKlPlN2at6native12_GLOBAL__N_18offset_tEEE10hipError_tPvRmT1_PNSt15iterator_traitsISK_E10value_typeET2_T3_PNSL_ISQ_E10value_typeET4_jRbjT5_SW_jjP12ihipStream_tbEUlT_E0_NS1_11comp_targetILNS1_3genE4ELNS1_11target_archE910ELNS1_3gpuE8ELNS1_3repE0EEENS1_60segmented_radix_sort_warp_sort_medium_config_static_selectorELNS0_4arch9wavefront6targetE0EEEvSK_.kd
    .uniform_work_group_size: 1
    .uses_dynamic_stack: false
    .vgpr_count:     0
    .vgpr_spill_count: 0
    .wavefront_size: 32
    .workgroup_processor_mode: 1
  - .args:
      - .offset:         0
        .size:           88
        .value_kind:     by_value
    .group_segment_fixed_size: 0
    .kernarg_segment_align: 8
    .kernarg_segment_size: 88
    .language:       OpenCL C
    .language_version:
      - 2
      - 0
    .max_flat_workgroup_size: 256
    .name:           _ZN7rocprim17ROCPRIM_400000_NS6detail17trampoline_kernelINS0_14default_configENS1_36segmented_radix_sort_config_selectorIslEEZNS1_25segmented_radix_sort_implIS3_Lb1EPKsPsPKlPlN2at6native12_GLOBAL__N_18offset_tEEE10hipError_tPvRmT1_PNSt15iterator_traitsISK_E10value_typeET2_T3_PNSL_ISQ_E10value_typeET4_jRbjT5_SW_jjP12ihipStream_tbEUlT_E0_NS1_11comp_targetILNS1_3genE3ELNS1_11target_archE908ELNS1_3gpuE7ELNS1_3repE0EEENS1_60segmented_radix_sort_warp_sort_medium_config_static_selectorELNS0_4arch9wavefront6targetE0EEEvSK_
    .private_segment_fixed_size: 0
    .sgpr_count:     0
    .sgpr_spill_count: 0
    .symbol:         _ZN7rocprim17ROCPRIM_400000_NS6detail17trampoline_kernelINS0_14default_configENS1_36segmented_radix_sort_config_selectorIslEEZNS1_25segmented_radix_sort_implIS3_Lb1EPKsPsPKlPlN2at6native12_GLOBAL__N_18offset_tEEE10hipError_tPvRmT1_PNSt15iterator_traitsISK_E10value_typeET2_T3_PNSL_ISQ_E10value_typeET4_jRbjT5_SW_jjP12ihipStream_tbEUlT_E0_NS1_11comp_targetILNS1_3genE3ELNS1_11target_archE908ELNS1_3gpuE7ELNS1_3repE0EEENS1_60segmented_radix_sort_warp_sort_medium_config_static_selectorELNS0_4arch9wavefront6targetE0EEEvSK_.kd
    .uniform_work_group_size: 1
    .uses_dynamic_stack: false
    .vgpr_count:     0
    .vgpr_spill_count: 0
    .wavefront_size: 32
    .workgroup_processor_mode: 1
  - .args:
      - .offset:         0
        .size:           88
        .value_kind:     by_value
    .group_segment_fixed_size: 0
    .kernarg_segment_align: 8
    .kernarg_segment_size: 88
    .language:       OpenCL C
    .language_version:
      - 2
      - 0
    .max_flat_workgroup_size: 256
    .name:           _ZN7rocprim17ROCPRIM_400000_NS6detail17trampoline_kernelINS0_14default_configENS1_36segmented_radix_sort_config_selectorIslEEZNS1_25segmented_radix_sort_implIS3_Lb1EPKsPsPKlPlN2at6native12_GLOBAL__N_18offset_tEEE10hipError_tPvRmT1_PNSt15iterator_traitsISK_E10value_typeET2_T3_PNSL_ISQ_E10value_typeET4_jRbjT5_SW_jjP12ihipStream_tbEUlT_E0_NS1_11comp_targetILNS1_3genE2ELNS1_11target_archE906ELNS1_3gpuE6ELNS1_3repE0EEENS1_60segmented_radix_sort_warp_sort_medium_config_static_selectorELNS0_4arch9wavefront6targetE0EEEvSK_
    .private_segment_fixed_size: 0
    .sgpr_count:     0
    .sgpr_spill_count: 0
    .symbol:         _ZN7rocprim17ROCPRIM_400000_NS6detail17trampoline_kernelINS0_14default_configENS1_36segmented_radix_sort_config_selectorIslEEZNS1_25segmented_radix_sort_implIS3_Lb1EPKsPsPKlPlN2at6native12_GLOBAL__N_18offset_tEEE10hipError_tPvRmT1_PNSt15iterator_traitsISK_E10value_typeET2_T3_PNSL_ISQ_E10value_typeET4_jRbjT5_SW_jjP12ihipStream_tbEUlT_E0_NS1_11comp_targetILNS1_3genE2ELNS1_11target_archE906ELNS1_3gpuE6ELNS1_3repE0EEENS1_60segmented_radix_sort_warp_sort_medium_config_static_selectorELNS0_4arch9wavefront6targetE0EEEvSK_.kd
    .uniform_work_group_size: 1
    .uses_dynamic_stack: false
    .vgpr_count:     0
    .vgpr_spill_count: 0
    .wavefront_size: 32
    .workgroup_processor_mode: 1
  - .args:
      - .offset:         0
        .size:           88
        .value_kind:     by_value
    .group_segment_fixed_size: 0
    .kernarg_segment_align: 8
    .kernarg_segment_size: 88
    .language:       OpenCL C
    .language_version:
      - 2
      - 0
    .max_flat_workgroup_size: 256
    .name:           _ZN7rocprim17ROCPRIM_400000_NS6detail17trampoline_kernelINS0_14default_configENS1_36segmented_radix_sort_config_selectorIslEEZNS1_25segmented_radix_sort_implIS3_Lb1EPKsPsPKlPlN2at6native12_GLOBAL__N_18offset_tEEE10hipError_tPvRmT1_PNSt15iterator_traitsISK_E10value_typeET2_T3_PNSL_ISQ_E10value_typeET4_jRbjT5_SW_jjP12ihipStream_tbEUlT_E0_NS1_11comp_targetILNS1_3genE10ELNS1_11target_archE1201ELNS1_3gpuE5ELNS1_3repE0EEENS1_60segmented_radix_sort_warp_sort_medium_config_static_selectorELNS0_4arch9wavefront6targetE0EEEvSK_
    .private_segment_fixed_size: 0
    .sgpr_count:     0
    .sgpr_spill_count: 0
    .symbol:         _ZN7rocprim17ROCPRIM_400000_NS6detail17trampoline_kernelINS0_14default_configENS1_36segmented_radix_sort_config_selectorIslEEZNS1_25segmented_radix_sort_implIS3_Lb1EPKsPsPKlPlN2at6native12_GLOBAL__N_18offset_tEEE10hipError_tPvRmT1_PNSt15iterator_traitsISK_E10value_typeET2_T3_PNSL_ISQ_E10value_typeET4_jRbjT5_SW_jjP12ihipStream_tbEUlT_E0_NS1_11comp_targetILNS1_3genE10ELNS1_11target_archE1201ELNS1_3gpuE5ELNS1_3repE0EEENS1_60segmented_radix_sort_warp_sort_medium_config_static_selectorELNS0_4arch9wavefront6targetE0EEEvSK_.kd
    .uniform_work_group_size: 1
    .uses_dynamic_stack: false
    .vgpr_count:     0
    .vgpr_spill_count: 0
    .wavefront_size: 32
    .workgroup_processor_mode: 1
  - .args:
      - .offset:         0
        .size:           88
        .value_kind:     by_value
    .group_segment_fixed_size: 0
    .kernarg_segment_align: 8
    .kernarg_segment_size: 88
    .language:       OpenCL C
    .language_version:
      - 2
      - 0
    .max_flat_workgroup_size: 256
    .name:           _ZN7rocprim17ROCPRIM_400000_NS6detail17trampoline_kernelINS0_14default_configENS1_36segmented_radix_sort_config_selectorIslEEZNS1_25segmented_radix_sort_implIS3_Lb1EPKsPsPKlPlN2at6native12_GLOBAL__N_18offset_tEEE10hipError_tPvRmT1_PNSt15iterator_traitsISK_E10value_typeET2_T3_PNSL_ISQ_E10value_typeET4_jRbjT5_SW_jjP12ihipStream_tbEUlT_E0_NS1_11comp_targetILNS1_3genE10ELNS1_11target_archE1200ELNS1_3gpuE4ELNS1_3repE0EEENS1_60segmented_radix_sort_warp_sort_medium_config_static_selectorELNS0_4arch9wavefront6targetE0EEEvSK_
    .private_segment_fixed_size: 0
    .sgpr_count:     0
    .sgpr_spill_count: 0
    .symbol:         _ZN7rocprim17ROCPRIM_400000_NS6detail17trampoline_kernelINS0_14default_configENS1_36segmented_radix_sort_config_selectorIslEEZNS1_25segmented_radix_sort_implIS3_Lb1EPKsPsPKlPlN2at6native12_GLOBAL__N_18offset_tEEE10hipError_tPvRmT1_PNSt15iterator_traitsISK_E10value_typeET2_T3_PNSL_ISQ_E10value_typeET4_jRbjT5_SW_jjP12ihipStream_tbEUlT_E0_NS1_11comp_targetILNS1_3genE10ELNS1_11target_archE1200ELNS1_3gpuE4ELNS1_3repE0EEENS1_60segmented_radix_sort_warp_sort_medium_config_static_selectorELNS0_4arch9wavefront6targetE0EEEvSK_.kd
    .uniform_work_group_size: 1
    .uses_dynamic_stack: false
    .vgpr_count:     0
    .vgpr_spill_count: 0
    .wavefront_size: 32
    .workgroup_processor_mode: 1
  - .args:
      - .offset:         0
        .size:           88
        .value_kind:     by_value
    .group_segment_fixed_size: 0
    .kernarg_segment_align: 8
    .kernarg_segment_size: 88
    .language:       OpenCL C
    .language_version:
      - 2
      - 0
    .max_flat_workgroup_size: 256
    .name:           _ZN7rocprim17ROCPRIM_400000_NS6detail17trampoline_kernelINS0_14default_configENS1_36segmented_radix_sort_config_selectorIslEEZNS1_25segmented_radix_sort_implIS3_Lb1EPKsPsPKlPlN2at6native12_GLOBAL__N_18offset_tEEE10hipError_tPvRmT1_PNSt15iterator_traitsISK_E10value_typeET2_T3_PNSL_ISQ_E10value_typeET4_jRbjT5_SW_jjP12ihipStream_tbEUlT_E0_NS1_11comp_targetILNS1_3genE9ELNS1_11target_archE1100ELNS1_3gpuE3ELNS1_3repE0EEENS1_60segmented_radix_sort_warp_sort_medium_config_static_selectorELNS0_4arch9wavefront6targetE0EEEvSK_
    .private_segment_fixed_size: 0
    .sgpr_count:     0
    .sgpr_spill_count: 0
    .symbol:         _ZN7rocprim17ROCPRIM_400000_NS6detail17trampoline_kernelINS0_14default_configENS1_36segmented_radix_sort_config_selectorIslEEZNS1_25segmented_radix_sort_implIS3_Lb1EPKsPsPKlPlN2at6native12_GLOBAL__N_18offset_tEEE10hipError_tPvRmT1_PNSt15iterator_traitsISK_E10value_typeET2_T3_PNSL_ISQ_E10value_typeET4_jRbjT5_SW_jjP12ihipStream_tbEUlT_E0_NS1_11comp_targetILNS1_3genE9ELNS1_11target_archE1100ELNS1_3gpuE3ELNS1_3repE0EEENS1_60segmented_radix_sort_warp_sort_medium_config_static_selectorELNS0_4arch9wavefront6targetE0EEEvSK_.kd
    .uniform_work_group_size: 1
    .uses_dynamic_stack: false
    .vgpr_count:     0
    .vgpr_spill_count: 0
    .wavefront_size: 32
    .workgroup_processor_mode: 1
  - .args:
      - .offset:         0
        .size:           88
        .value_kind:     by_value
      - .offset:         88
        .size:           4
        .value_kind:     hidden_block_count_x
      - .offset:         92
        .size:           4
        .value_kind:     hidden_block_count_y
      - .offset:         96
        .size:           4
        .value_kind:     hidden_block_count_z
      - .offset:         100
        .size:           2
        .value_kind:     hidden_group_size_x
      - .offset:         102
        .size:           2
        .value_kind:     hidden_group_size_y
      - .offset:         104
        .size:           2
        .value_kind:     hidden_group_size_z
      - .offset:         106
        .size:           2
        .value_kind:     hidden_remainder_x
      - .offset:         108
        .size:           2
        .value_kind:     hidden_remainder_y
      - .offset:         110
        .size:           2
        .value_kind:     hidden_remainder_z
      - .offset:         128
        .size:           8
        .value_kind:     hidden_global_offset_x
      - .offset:         136
        .size:           8
        .value_kind:     hidden_global_offset_y
      - .offset:         144
        .size:           8
        .value_kind:     hidden_global_offset_z
      - .offset:         152
        .size:           2
        .value_kind:     hidden_grid_dims
    .group_segment_fixed_size: 10240
    .kernarg_segment_align: 8
    .kernarg_segment_size: 344
    .language:       OpenCL C
    .language_version:
      - 2
      - 0
    .max_flat_workgroup_size: 256
    .name:           _ZN7rocprim17ROCPRIM_400000_NS6detail17trampoline_kernelINS0_14default_configENS1_36segmented_radix_sort_config_selectorIslEEZNS1_25segmented_radix_sort_implIS3_Lb1EPKsPsPKlPlN2at6native12_GLOBAL__N_18offset_tEEE10hipError_tPvRmT1_PNSt15iterator_traitsISK_E10value_typeET2_T3_PNSL_ISQ_E10value_typeET4_jRbjT5_SW_jjP12ihipStream_tbEUlT_E0_NS1_11comp_targetILNS1_3genE8ELNS1_11target_archE1030ELNS1_3gpuE2ELNS1_3repE0EEENS1_60segmented_radix_sort_warp_sort_medium_config_static_selectorELNS0_4arch9wavefront6targetE0EEEvSK_
    .private_segment_fixed_size: 0
    .sgpr_count:     42
    .sgpr_spill_count: 0
    .symbol:         _ZN7rocprim17ROCPRIM_400000_NS6detail17trampoline_kernelINS0_14default_configENS1_36segmented_radix_sort_config_selectorIslEEZNS1_25segmented_radix_sort_implIS3_Lb1EPKsPsPKlPlN2at6native12_GLOBAL__N_18offset_tEEE10hipError_tPvRmT1_PNSt15iterator_traitsISK_E10value_typeET2_T3_PNSL_ISQ_E10value_typeET4_jRbjT5_SW_jjP12ihipStream_tbEUlT_E0_NS1_11comp_targetILNS1_3genE8ELNS1_11target_archE1030ELNS1_3gpuE2ELNS1_3repE0EEENS1_60segmented_radix_sort_warp_sort_medium_config_static_selectorELNS0_4arch9wavefront6targetE0EEEvSK_.kd
    .uniform_work_group_size: 1
    .uses_dynamic_stack: false
    .vgpr_count:     54
    .vgpr_spill_count: 0
    .wavefront_size: 32
    .workgroup_processor_mode: 1
  - .args:
      - .offset:         0
        .size:           88
        .value_kind:     by_value
    .group_segment_fixed_size: 0
    .kernarg_segment_align: 8
    .kernarg_segment_size: 88
    .language:       OpenCL C
    .language_version:
      - 2
      - 0
    .max_flat_workgroup_size: 256
    .name:           _ZN7rocprim17ROCPRIM_400000_NS6detail17trampoline_kernelINS0_14default_configENS1_36segmented_radix_sort_config_selectorIslEEZNS1_25segmented_radix_sort_implIS3_Lb1EPKsPsPKlPlN2at6native12_GLOBAL__N_18offset_tEEE10hipError_tPvRmT1_PNSt15iterator_traitsISK_E10value_typeET2_T3_PNSL_ISQ_E10value_typeET4_jRbjT5_SW_jjP12ihipStream_tbEUlT_E1_NS1_11comp_targetILNS1_3genE0ELNS1_11target_archE4294967295ELNS1_3gpuE0ELNS1_3repE0EEENS1_59segmented_radix_sort_warp_sort_small_config_static_selectorELNS0_4arch9wavefront6targetE0EEEvSK_
    .private_segment_fixed_size: 0
    .sgpr_count:     0
    .sgpr_spill_count: 0
    .symbol:         _ZN7rocprim17ROCPRIM_400000_NS6detail17trampoline_kernelINS0_14default_configENS1_36segmented_radix_sort_config_selectorIslEEZNS1_25segmented_radix_sort_implIS3_Lb1EPKsPsPKlPlN2at6native12_GLOBAL__N_18offset_tEEE10hipError_tPvRmT1_PNSt15iterator_traitsISK_E10value_typeET2_T3_PNSL_ISQ_E10value_typeET4_jRbjT5_SW_jjP12ihipStream_tbEUlT_E1_NS1_11comp_targetILNS1_3genE0ELNS1_11target_archE4294967295ELNS1_3gpuE0ELNS1_3repE0EEENS1_59segmented_radix_sort_warp_sort_small_config_static_selectorELNS0_4arch9wavefront6targetE0EEEvSK_.kd
    .uniform_work_group_size: 1
    .uses_dynamic_stack: false
    .vgpr_count:     0
    .vgpr_spill_count: 0
    .wavefront_size: 32
    .workgroup_processor_mode: 1
  - .args:
      - .offset:         0
        .size:           88
        .value_kind:     by_value
    .group_segment_fixed_size: 0
    .kernarg_segment_align: 8
    .kernarg_segment_size: 88
    .language:       OpenCL C
    .language_version:
      - 2
      - 0
    .max_flat_workgroup_size: 256
    .name:           _ZN7rocprim17ROCPRIM_400000_NS6detail17trampoline_kernelINS0_14default_configENS1_36segmented_radix_sort_config_selectorIslEEZNS1_25segmented_radix_sort_implIS3_Lb1EPKsPsPKlPlN2at6native12_GLOBAL__N_18offset_tEEE10hipError_tPvRmT1_PNSt15iterator_traitsISK_E10value_typeET2_T3_PNSL_ISQ_E10value_typeET4_jRbjT5_SW_jjP12ihipStream_tbEUlT_E1_NS1_11comp_targetILNS1_3genE5ELNS1_11target_archE942ELNS1_3gpuE9ELNS1_3repE0EEENS1_59segmented_radix_sort_warp_sort_small_config_static_selectorELNS0_4arch9wavefront6targetE0EEEvSK_
    .private_segment_fixed_size: 0
    .sgpr_count:     0
    .sgpr_spill_count: 0
    .symbol:         _ZN7rocprim17ROCPRIM_400000_NS6detail17trampoline_kernelINS0_14default_configENS1_36segmented_radix_sort_config_selectorIslEEZNS1_25segmented_radix_sort_implIS3_Lb1EPKsPsPKlPlN2at6native12_GLOBAL__N_18offset_tEEE10hipError_tPvRmT1_PNSt15iterator_traitsISK_E10value_typeET2_T3_PNSL_ISQ_E10value_typeET4_jRbjT5_SW_jjP12ihipStream_tbEUlT_E1_NS1_11comp_targetILNS1_3genE5ELNS1_11target_archE942ELNS1_3gpuE9ELNS1_3repE0EEENS1_59segmented_radix_sort_warp_sort_small_config_static_selectorELNS0_4arch9wavefront6targetE0EEEvSK_.kd
    .uniform_work_group_size: 1
    .uses_dynamic_stack: false
    .vgpr_count:     0
    .vgpr_spill_count: 0
    .wavefront_size: 32
    .workgroup_processor_mode: 1
  - .args:
      - .offset:         0
        .size:           88
        .value_kind:     by_value
    .group_segment_fixed_size: 0
    .kernarg_segment_align: 8
    .kernarg_segment_size: 88
    .language:       OpenCL C
    .language_version:
      - 2
      - 0
    .max_flat_workgroup_size: 256
    .name:           _ZN7rocprim17ROCPRIM_400000_NS6detail17trampoline_kernelINS0_14default_configENS1_36segmented_radix_sort_config_selectorIslEEZNS1_25segmented_radix_sort_implIS3_Lb1EPKsPsPKlPlN2at6native12_GLOBAL__N_18offset_tEEE10hipError_tPvRmT1_PNSt15iterator_traitsISK_E10value_typeET2_T3_PNSL_ISQ_E10value_typeET4_jRbjT5_SW_jjP12ihipStream_tbEUlT_E1_NS1_11comp_targetILNS1_3genE4ELNS1_11target_archE910ELNS1_3gpuE8ELNS1_3repE0EEENS1_59segmented_radix_sort_warp_sort_small_config_static_selectorELNS0_4arch9wavefront6targetE0EEEvSK_
    .private_segment_fixed_size: 0
    .sgpr_count:     0
    .sgpr_spill_count: 0
    .symbol:         _ZN7rocprim17ROCPRIM_400000_NS6detail17trampoline_kernelINS0_14default_configENS1_36segmented_radix_sort_config_selectorIslEEZNS1_25segmented_radix_sort_implIS3_Lb1EPKsPsPKlPlN2at6native12_GLOBAL__N_18offset_tEEE10hipError_tPvRmT1_PNSt15iterator_traitsISK_E10value_typeET2_T3_PNSL_ISQ_E10value_typeET4_jRbjT5_SW_jjP12ihipStream_tbEUlT_E1_NS1_11comp_targetILNS1_3genE4ELNS1_11target_archE910ELNS1_3gpuE8ELNS1_3repE0EEENS1_59segmented_radix_sort_warp_sort_small_config_static_selectorELNS0_4arch9wavefront6targetE0EEEvSK_.kd
    .uniform_work_group_size: 1
    .uses_dynamic_stack: false
    .vgpr_count:     0
    .vgpr_spill_count: 0
    .wavefront_size: 32
    .workgroup_processor_mode: 1
  - .args:
      - .offset:         0
        .size:           88
        .value_kind:     by_value
    .group_segment_fixed_size: 0
    .kernarg_segment_align: 8
    .kernarg_segment_size: 88
    .language:       OpenCL C
    .language_version:
      - 2
      - 0
    .max_flat_workgroup_size: 256
    .name:           _ZN7rocprim17ROCPRIM_400000_NS6detail17trampoline_kernelINS0_14default_configENS1_36segmented_radix_sort_config_selectorIslEEZNS1_25segmented_radix_sort_implIS3_Lb1EPKsPsPKlPlN2at6native12_GLOBAL__N_18offset_tEEE10hipError_tPvRmT1_PNSt15iterator_traitsISK_E10value_typeET2_T3_PNSL_ISQ_E10value_typeET4_jRbjT5_SW_jjP12ihipStream_tbEUlT_E1_NS1_11comp_targetILNS1_3genE3ELNS1_11target_archE908ELNS1_3gpuE7ELNS1_3repE0EEENS1_59segmented_radix_sort_warp_sort_small_config_static_selectorELNS0_4arch9wavefront6targetE0EEEvSK_
    .private_segment_fixed_size: 0
    .sgpr_count:     0
    .sgpr_spill_count: 0
    .symbol:         _ZN7rocprim17ROCPRIM_400000_NS6detail17trampoline_kernelINS0_14default_configENS1_36segmented_radix_sort_config_selectorIslEEZNS1_25segmented_radix_sort_implIS3_Lb1EPKsPsPKlPlN2at6native12_GLOBAL__N_18offset_tEEE10hipError_tPvRmT1_PNSt15iterator_traitsISK_E10value_typeET2_T3_PNSL_ISQ_E10value_typeET4_jRbjT5_SW_jjP12ihipStream_tbEUlT_E1_NS1_11comp_targetILNS1_3genE3ELNS1_11target_archE908ELNS1_3gpuE7ELNS1_3repE0EEENS1_59segmented_radix_sort_warp_sort_small_config_static_selectorELNS0_4arch9wavefront6targetE0EEEvSK_.kd
    .uniform_work_group_size: 1
    .uses_dynamic_stack: false
    .vgpr_count:     0
    .vgpr_spill_count: 0
    .wavefront_size: 32
    .workgroup_processor_mode: 1
  - .args:
      - .offset:         0
        .size:           88
        .value_kind:     by_value
    .group_segment_fixed_size: 0
    .kernarg_segment_align: 8
    .kernarg_segment_size: 88
    .language:       OpenCL C
    .language_version:
      - 2
      - 0
    .max_flat_workgroup_size: 256
    .name:           _ZN7rocprim17ROCPRIM_400000_NS6detail17trampoline_kernelINS0_14default_configENS1_36segmented_radix_sort_config_selectorIslEEZNS1_25segmented_radix_sort_implIS3_Lb1EPKsPsPKlPlN2at6native12_GLOBAL__N_18offset_tEEE10hipError_tPvRmT1_PNSt15iterator_traitsISK_E10value_typeET2_T3_PNSL_ISQ_E10value_typeET4_jRbjT5_SW_jjP12ihipStream_tbEUlT_E1_NS1_11comp_targetILNS1_3genE2ELNS1_11target_archE906ELNS1_3gpuE6ELNS1_3repE0EEENS1_59segmented_radix_sort_warp_sort_small_config_static_selectorELNS0_4arch9wavefront6targetE0EEEvSK_
    .private_segment_fixed_size: 0
    .sgpr_count:     0
    .sgpr_spill_count: 0
    .symbol:         _ZN7rocprim17ROCPRIM_400000_NS6detail17trampoline_kernelINS0_14default_configENS1_36segmented_radix_sort_config_selectorIslEEZNS1_25segmented_radix_sort_implIS3_Lb1EPKsPsPKlPlN2at6native12_GLOBAL__N_18offset_tEEE10hipError_tPvRmT1_PNSt15iterator_traitsISK_E10value_typeET2_T3_PNSL_ISQ_E10value_typeET4_jRbjT5_SW_jjP12ihipStream_tbEUlT_E1_NS1_11comp_targetILNS1_3genE2ELNS1_11target_archE906ELNS1_3gpuE6ELNS1_3repE0EEENS1_59segmented_radix_sort_warp_sort_small_config_static_selectorELNS0_4arch9wavefront6targetE0EEEvSK_.kd
    .uniform_work_group_size: 1
    .uses_dynamic_stack: false
    .vgpr_count:     0
    .vgpr_spill_count: 0
    .wavefront_size: 32
    .workgroup_processor_mode: 1
  - .args:
      - .offset:         0
        .size:           88
        .value_kind:     by_value
    .group_segment_fixed_size: 0
    .kernarg_segment_align: 8
    .kernarg_segment_size: 88
    .language:       OpenCL C
    .language_version:
      - 2
      - 0
    .max_flat_workgroup_size: 256
    .name:           _ZN7rocprim17ROCPRIM_400000_NS6detail17trampoline_kernelINS0_14default_configENS1_36segmented_radix_sort_config_selectorIslEEZNS1_25segmented_radix_sort_implIS3_Lb1EPKsPsPKlPlN2at6native12_GLOBAL__N_18offset_tEEE10hipError_tPvRmT1_PNSt15iterator_traitsISK_E10value_typeET2_T3_PNSL_ISQ_E10value_typeET4_jRbjT5_SW_jjP12ihipStream_tbEUlT_E1_NS1_11comp_targetILNS1_3genE10ELNS1_11target_archE1201ELNS1_3gpuE5ELNS1_3repE0EEENS1_59segmented_radix_sort_warp_sort_small_config_static_selectorELNS0_4arch9wavefront6targetE0EEEvSK_
    .private_segment_fixed_size: 0
    .sgpr_count:     0
    .sgpr_spill_count: 0
    .symbol:         _ZN7rocprim17ROCPRIM_400000_NS6detail17trampoline_kernelINS0_14default_configENS1_36segmented_radix_sort_config_selectorIslEEZNS1_25segmented_radix_sort_implIS3_Lb1EPKsPsPKlPlN2at6native12_GLOBAL__N_18offset_tEEE10hipError_tPvRmT1_PNSt15iterator_traitsISK_E10value_typeET2_T3_PNSL_ISQ_E10value_typeET4_jRbjT5_SW_jjP12ihipStream_tbEUlT_E1_NS1_11comp_targetILNS1_3genE10ELNS1_11target_archE1201ELNS1_3gpuE5ELNS1_3repE0EEENS1_59segmented_radix_sort_warp_sort_small_config_static_selectorELNS0_4arch9wavefront6targetE0EEEvSK_.kd
    .uniform_work_group_size: 1
    .uses_dynamic_stack: false
    .vgpr_count:     0
    .vgpr_spill_count: 0
    .wavefront_size: 32
    .workgroup_processor_mode: 1
  - .args:
      - .offset:         0
        .size:           88
        .value_kind:     by_value
    .group_segment_fixed_size: 0
    .kernarg_segment_align: 8
    .kernarg_segment_size: 88
    .language:       OpenCL C
    .language_version:
      - 2
      - 0
    .max_flat_workgroup_size: 256
    .name:           _ZN7rocprim17ROCPRIM_400000_NS6detail17trampoline_kernelINS0_14default_configENS1_36segmented_radix_sort_config_selectorIslEEZNS1_25segmented_radix_sort_implIS3_Lb1EPKsPsPKlPlN2at6native12_GLOBAL__N_18offset_tEEE10hipError_tPvRmT1_PNSt15iterator_traitsISK_E10value_typeET2_T3_PNSL_ISQ_E10value_typeET4_jRbjT5_SW_jjP12ihipStream_tbEUlT_E1_NS1_11comp_targetILNS1_3genE10ELNS1_11target_archE1200ELNS1_3gpuE4ELNS1_3repE0EEENS1_59segmented_radix_sort_warp_sort_small_config_static_selectorELNS0_4arch9wavefront6targetE0EEEvSK_
    .private_segment_fixed_size: 0
    .sgpr_count:     0
    .sgpr_spill_count: 0
    .symbol:         _ZN7rocprim17ROCPRIM_400000_NS6detail17trampoline_kernelINS0_14default_configENS1_36segmented_radix_sort_config_selectorIslEEZNS1_25segmented_radix_sort_implIS3_Lb1EPKsPsPKlPlN2at6native12_GLOBAL__N_18offset_tEEE10hipError_tPvRmT1_PNSt15iterator_traitsISK_E10value_typeET2_T3_PNSL_ISQ_E10value_typeET4_jRbjT5_SW_jjP12ihipStream_tbEUlT_E1_NS1_11comp_targetILNS1_3genE10ELNS1_11target_archE1200ELNS1_3gpuE4ELNS1_3repE0EEENS1_59segmented_radix_sort_warp_sort_small_config_static_selectorELNS0_4arch9wavefront6targetE0EEEvSK_.kd
    .uniform_work_group_size: 1
    .uses_dynamic_stack: false
    .vgpr_count:     0
    .vgpr_spill_count: 0
    .wavefront_size: 32
    .workgroup_processor_mode: 1
  - .args:
      - .offset:         0
        .size:           88
        .value_kind:     by_value
    .group_segment_fixed_size: 0
    .kernarg_segment_align: 8
    .kernarg_segment_size: 88
    .language:       OpenCL C
    .language_version:
      - 2
      - 0
    .max_flat_workgroup_size: 256
    .name:           _ZN7rocprim17ROCPRIM_400000_NS6detail17trampoline_kernelINS0_14default_configENS1_36segmented_radix_sort_config_selectorIslEEZNS1_25segmented_radix_sort_implIS3_Lb1EPKsPsPKlPlN2at6native12_GLOBAL__N_18offset_tEEE10hipError_tPvRmT1_PNSt15iterator_traitsISK_E10value_typeET2_T3_PNSL_ISQ_E10value_typeET4_jRbjT5_SW_jjP12ihipStream_tbEUlT_E1_NS1_11comp_targetILNS1_3genE9ELNS1_11target_archE1100ELNS1_3gpuE3ELNS1_3repE0EEENS1_59segmented_radix_sort_warp_sort_small_config_static_selectorELNS0_4arch9wavefront6targetE0EEEvSK_
    .private_segment_fixed_size: 0
    .sgpr_count:     0
    .sgpr_spill_count: 0
    .symbol:         _ZN7rocprim17ROCPRIM_400000_NS6detail17trampoline_kernelINS0_14default_configENS1_36segmented_radix_sort_config_selectorIslEEZNS1_25segmented_radix_sort_implIS3_Lb1EPKsPsPKlPlN2at6native12_GLOBAL__N_18offset_tEEE10hipError_tPvRmT1_PNSt15iterator_traitsISK_E10value_typeET2_T3_PNSL_ISQ_E10value_typeET4_jRbjT5_SW_jjP12ihipStream_tbEUlT_E1_NS1_11comp_targetILNS1_3genE9ELNS1_11target_archE1100ELNS1_3gpuE3ELNS1_3repE0EEENS1_59segmented_radix_sort_warp_sort_small_config_static_selectorELNS0_4arch9wavefront6targetE0EEEvSK_.kd
    .uniform_work_group_size: 1
    .uses_dynamic_stack: false
    .vgpr_count:     0
    .vgpr_spill_count: 0
    .wavefront_size: 32
    .workgroup_processor_mode: 1
  - .args:
      - .offset:         0
        .size:           88
        .value_kind:     by_value
      - .offset:         88
        .size:           4
        .value_kind:     hidden_block_count_x
      - .offset:         92
        .size:           4
        .value_kind:     hidden_block_count_y
      - .offset:         96
        .size:           4
        .value_kind:     hidden_block_count_z
      - .offset:         100
        .size:           2
        .value_kind:     hidden_group_size_x
      - .offset:         102
        .size:           2
        .value_kind:     hidden_group_size_y
      - .offset:         104
        .size:           2
        .value_kind:     hidden_group_size_z
      - .offset:         106
        .size:           2
        .value_kind:     hidden_remainder_x
      - .offset:         108
        .size:           2
        .value_kind:     hidden_remainder_y
      - .offset:         110
        .size:           2
        .value_kind:     hidden_remainder_z
      - .offset:         128
        .size:           8
        .value_kind:     hidden_global_offset_x
      - .offset:         136
        .size:           8
        .value_kind:     hidden_global_offset_y
      - .offset:         144
        .size:           8
        .value_kind:     hidden_global_offset_z
      - .offset:         152
        .size:           2
        .value_kind:     hidden_grid_dims
    .group_segment_fixed_size: 10240
    .kernarg_segment_align: 8
    .kernarg_segment_size: 344
    .language:       OpenCL C
    .language_version:
      - 2
      - 0
    .max_flat_workgroup_size: 256
    .name:           _ZN7rocprim17ROCPRIM_400000_NS6detail17trampoline_kernelINS0_14default_configENS1_36segmented_radix_sort_config_selectorIslEEZNS1_25segmented_radix_sort_implIS3_Lb1EPKsPsPKlPlN2at6native12_GLOBAL__N_18offset_tEEE10hipError_tPvRmT1_PNSt15iterator_traitsISK_E10value_typeET2_T3_PNSL_ISQ_E10value_typeET4_jRbjT5_SW_jjP12ihipStream_tbEUlT_E1_NS1_11comp_targetILNS1_3genE8ELNS1_11target_archE1030ELNS1_3gpuE2ELNS1_3repE0EEENS1_59segmented_radix_sort_warp_sort_small_config_static_selectorELNS0_4arch9wavefront6targetE0EEEvSK_
    .private_segment_fixed_size: 0
    .sgpr_count:     42
    .sgpr_spill_count: 0
    .symbol:         _ZN7rocprim17ROCPRIM_400000_NS6detail17trampoline_kernelINS0_14default_configENS1_36segmented_radix_sort_config_selectorIslEEZNS1_25segmented_radix_sort_implIS3_Lb1EPKsPsPKlPlN2at6native12_GLOBAL__N_18offset_tEEE10hipError_tPvRmT1_PNSt15iterator_traitsISK_E10value_typeET2_T3_PNSL_ISQ_E10value_typeET4_jRbjT5_SW_jjP12ihipStream_tbEUlT_E1_NS1_11comp_targetILNS1_3genE8ELNS1_11target_archE1030ELNS1_3gpuE2ELNS1_3repE0EEENS1_59segmented_radix_sort_warp_sort_small_config_static_selectorELNS0_4arch9wavefront6targetE0EEEvSK_.kd
    .uniform_work_group_size: 1
    .uses_dynamic_stack: false
    .vgpr_count:     54
    .vgpr_spill_count: 0
    .wavefront_size: 32
    .workgroup_processor_mode: 1
  - .args:
      - .offset:         0
        .size:           80
        .value_kind:     by_value
    .group_segment_fixed_size: 0
    .kernarg_segment_align: 8
    .kernarg_segment_size: 80
    .language:       OpenCL C
    .language_version:
      - 2
      - 0
    .max_flat_workgroup_size: 256
    .name:           _ZN7rocprim17ROCPRIM_400000_NS6detail17trampoline_kernelINS0_14default_configENS1_36segmented_radix_sort_config_selectorIslEEZNS1_25segmented_radix_sort_implIS3_Lb1EPKsPsPKlPlN2at6native12_GLOBAL__N_18offset_tEEE10hipError_tPvRmT1_PNSt15iterator_traitsISK_E10value_typeET2_T3_PNSL_ISQ_E10value_typeET4_jRbjT5_SW_jjP12ihipStream_tbEUlT_E2_NS1_11comp_targetILNS1_3genE0ELNS1_11target_archE4294967295ELNS1_3gpuE0ELNS1_3repE0EEENS1_30default_config_static_selectorELNS0_4arch9wavefront6targetE0EEEvSK_
    .private_segment_fixed_size: 0
    .sgpr_count:     0
    .sgpr_spill_count: 0
    .symbol:         _ZN7rocprim17ROCPRIM_400000_NS6detail17trampoline_kernelINS0_14default_configENS1_36segmented_radix_sort_config_selectorIslEEZNS1_25segmented_radix_sort_implIS3_Lb1EPKsPsPKlPlN2at6native12_GLOBAL__N_18offset_tEEE10hipError_tPvRmT1_PNSt15iterator_traitsISK_E10value_typeET2_T3_PNSL_ISQ_E10value_typeET4_jRbjT5_SW_jjP12ihipStream_tbEUlT_E2_NS1_11comp_targetILNS1_3genE0ELNS1_11target_archE4294967295ELNS1_3gpuE0ELNS1_3repE0EEENS1_30default_config_static_selectorELNS0_4arch9wavefront6targetE0EEEvSK_.kd
    .uniform_work_group_size: 1
    .uses_dynamic_stack: false
    .vgpr_count:     0
    .vgpr_spill_count: 0
    .wavefront_size: 32
    .workgroup_processor_mode: 1
  - .args:
      - .offset:         0
        .size:           80
        .value_kind:     by_value
    .group_segment_fixed_size: 0
    .kernarg_segment_align: 8
    .kernarg_segment_size: 80
    .language:       OpenCL C
    .language_version:
      - 2
      - 0
    .max_flat_workgroup_size: 256
    .name:           _ZN7rocprim17ROCPRIM_400000_NS6detail17trampoline_kernelINS0_14default_configENS1_36segmented_radix_sort_config_selectorIslEEZNS1_25segmented_radix_sort_implIS3_Lb1EPKsPsPKlPlN2at6native12_GLOBAL__N_18offset_tEEE10hipError_tPvRmT1_PNSt15iterator_traitsISK_E10value_typeET2_T3_PNSL_ISQ_E10value_typeET4_jRbjT5_SW_jjP12ihipStream_tbEUlT_E2_NS1_11comp_targetILNS1_3genE5ELNS1_11target_archE942ELNS1_3gpuE9ELNS1_3repE0EEENS1_30default_config_static_selectorELNS0_4arch9wavefront6targetE0EEEvSK_
    .private_segment_fixed_size: 0
    .sgpr_count:     0
    .sgpr_spill_count: 0
    .symbol:         _ZN7rocprim17ROCPRIM_400000_NS6detail17trampoline_kernelINS0_14default_configENS1_36segmented_radix_sort_config_selectorIslEEZNS1_25segmented_radix_sort_implIS3_Lb1EPKsPsPKlPlN2at6native12_GLOBAL__N_18offset_tEEE10hipError_tPvRmT1_PNSt15iterator_traitsISK_E10value_typeET2_T3_PNSL_ISQ_E10value_typeET4_jRbjT5_SW_jjP12ihipStream_tbEUlT_E2_NS1_11comp_targetILNS1_3genE5ELNS1_11target_archE942ELNS1_3gpuE9ELNS1_3repE0EEENS1_30default_config_static_selectorELNS0_4arch9wavefront6targetE0EEEvSK_.kd
    .uniform_work_group_size: 1
    .uses_dynamic_stack: false
    .vgpr_count:     0
    .vgpr_spill_count: 0
    .wavefront_size: 32
    .workgroup_processor_mode: 1
  - .args:
      - .offset:         0
        .size:           80
        .value_kind:     by_value
    .group_segment_fixed_size: 0
    .kernarg_segment_align: 8
    .kernarg_segment_size: 80
    .language:       OpenCL C
    .language_version:
      - 2
      - 0
    .max_flat_workgroup_size: 256
    .name:           _ZN7rocprim17ROCPRIM_400000_NS6detail17trampoline_kernelINS0_14default_configENS1_36segmented_radix_sort_config_selectorIslEEZNS1_25segmented_radix_sort_implIS3_Lb1EPKsPsPKlPlN2at6native12_GLOBAL__N_18offset_tEEE10hipError_tPvRmT1_PNSt15iterator_traitsISK_E10value_typeET2_T3_PNSL_ISQ_E10value_typeET4_jRbjT5_SW_jjP12ihipStream_tbEUlT_E2_NS1_11comp_targetILNS1_3genE4ELNS1_11target_archE910ELNS1_3gpuE8ELNS1_3repE0EEENS1_30default_config_static_selectorELNS0_4arch9wavefront6targetE0EEEvSK_
    .private_segment_fixed_size: 0
    .sgpr_count:     0
    .sgpr_spill_count: 0
    .symbol:         _ZN7rocprim17ROCPRIM_400000_NS6detail17trampoline_kernelINS0_14default_configENS1_36segmented_radix_sort_config_selectorIslEEZNS1_25segmented_radix_sort_implIS3_Lb1EPKsPsPKlPlN2at6native12_GLOBAL__N_18offset_tEEE10hipError_tPvRmT1_PNSt15iterator_traitsISK_E10value_typeET2_T3_PNSL_ISQ_E10value_typeET4_jRbjT5_SW_jjP12ihipStream_tbEUlT_E2_NS1_11comp_targetILNS1_3genE4ELNS1_11target_archE910ELNS1_3gpuE8ELNS1_3repE0EEENS1_30default_config_static_selectorELNS0_4arch9wavefront6targetE0EEEvSK_.kd
    .uniform_work_group_size: 1
    .uses_dynamic_stack: false
    .vgpr_count:     0
    .vgpr_spill_count: 0
    .wavefront_size: 32
    .workgroup_processor_mode: 1
  - .args:
      - .offset:         0
        .size:           80
        .value_kind:     by_value
    .group_segment_fixed_size: 0
    .kernarg_segment_align: 8
    .kernarg_segment_size: 80
    .language:       OpenCL C
    .language_version:
      - 2
      - 0
    .max_flat_workgroup_size: 256
    .name:           _ZN7rocprim17ROCPRIM_400000_NS6detail17trampoline_kernelINS0_14default_configENS1_36segmented_radix_sort_config_selectorIslEEZNS1_25segmented_radix_sort_implIS3_Lb1EPKsPsPKlPlN2at6native12_GLOBAL__N_18offset_tEEE10hipError_tPvRmT1_PNSt15iterator_traitsISK_E10value_typeET2_T3_PNSL_ISQ_E10value_typeET4_jRbjT5_SW_jjP12ihipStream_tbEUlT_E2_NS1_11comp_targetILNS1_3genE3ELNS1_11target_archE908ELNS1_3gpuE7ELNS1_3repE0EEENS1_30default_config_static_selectorELNS0_4arch9wavefront6targetE0EEEvSK_
    .private_segment_fixed_size: 0
    .sgpr_count:     0
    .sgpr_spill_count: 0
    .symbol:         _ZN7rocprim17ROCPRIM_400000_NS6detail17trampoline_kernelINS0_14default_configENS1_36segmented_radix_sort_config_selectorIslEEZNS1_25segmented_radix_sort_implIS3_Lb1EPKsPsPKlPlN2at6native12_GLOBAL__N_18offset_tEEE10hipError_tPvRmT1_PNSt15iterator_traitsISK_E10value_typeET2_T3_PNSL_ISQ_E10value_typeET4_jRbjT5_SW_jjP12ihipStream_tbEUlT_E2_NS1_11comp_targetILNS1_3genE3ELNS1_11target_archE908ELNS1_3gpuE7ELNS1_3repE0EEENS1_30default_config_static_selectorELNS0_4arch9wavefront6targetE0EEEvSK_.kd
    .uniform_work_group_size: 1
    .uses_dynamic_stack: false
    .vgpr_count:     0
    .vgpr_spill_count: 0
    .wavefront_size: 32
    .workgroup_processor_mode: 1
  - .args:
      - .offset:         0
        .size:           80
        .value_kind:     by_value
    .group_segment_fixed_size: 0
    .kernarg_segment_align: 8
    .kernarg_segment_size: 80
    .language:       OpenCL C
    .language_version:
      - 2
      - 0
    .max_flat_workgroup_size: 256
    .name:           _ZN7rocprim17ROCPRIM_400000_NS6detail17trampoline_kernelINS0_14default_configENS1_36segmented_radix_sort_config_selectorIslEEZNS1_25segmented_radix_sort_implIS3_Lb1EPKsPsPKlPlN2at6native12_GLOBAL__N_18offset_tEEE10hipError_tPvRmT1_PNSt15iterator_traitsISK_E10value_typeET2_T3_PNSL_ISQ_E10value_typeET4_jRbjT5_SW_jjP12ihipStream_tbEUlT_E2_NS1_11comp_targetILNS1_3genE2ELNS1_11target_archE906ELNS1_3gpuE6ELNS1_3repE0EEENS1_30default_config_static_selectorELNS0_4arch9wavefront6targetE0EEEvSK_
    .private_segment_fixed_size: 0
    .sgpr_count:     0
    .sgpr_spill_count: 0
    .symbol:         _ZN7rocprim17ROCPRIM_400000_NS6detail17trampoline_kernelINS0_14default_configENS1_36segmented_radix_sort_config_selectorIslEEZNS1_25segmented_radix_sort_implIS3_Lb1EPKsPsPKlPlN2at6native12_GLOBAL__N_18offset_tEEE10hipError_tPvRmT1_PNSt15iterator_traitsISK_E10value_typeET2_T3_PNSL_ISQ_E10value_typeET4_jRbjT5_SW_jjP12ihipStream_tbEUlT_E2_NS1_11comp_targetILNS1_3genE2ELNS1_11target_archE906ELNS1_3gpuE6ELNS1_3repE0EEENS1_30default_config_static_selectorELNS0_4arch9wavefront6targetE0EEEvSK_.kd
    .uniform_work_group_size: 1
    .uses_dynamic_stack: false
    .vgpr_count:     0
    .vgpr_spill_count: 0
    .wavefront_size: 32
    .workgroup_processor_mode: 1
  - .args:
      - .offset:         0
        .size:           80
        .value_kind:     by_value
    .group_segment_fixed_size: 0
    .kernarg_segment_align: 8
    .kernarg_segment_size: 80
    .language:       OpenCL C
    .language_version:
      - 2
      - 0
    .max_flat_workgroup_size: 256
    .name:           _ZN7rocprim17ROCPRIM_400000_NS6detail17trampoline_kernelINS0_14default_configENS1_36segmented_radix_sort_config_selectorIslEEZNS1_25segmented_radix_sort_implIS3_Lb1EPKsPsPKlPlN2at6native12_GLOBAL__N_18offset_tEEE10hipError_tPvRmT1_PNSt15iterator_traitsISK_E10value_typeET2_T3_PNSL_ISQ_E10value_typeET4_jRbjT5_SW_jjP12ihipStream_tbEUlT_E2_NS1_11comp_targetILNS1_3genE10ELNS1_11target_archE1201ELNS1_3gpuE5ELNS1_3repE0EEENS1_30default_config_static_selectorELNS0_4arch9wavefront6targetE0EEEvSK_
    .private_segment_fixed_size: 0
    .sgpr_count:     0
    .sgpr_spill_count: 0
    .symbol:         _ZN7rocprim17ROCPRIM_400000_NS6detail17trampoline_kernelINS0_14default_configENS1_36segmented_radix_sort_config_selectorIslEEZNS1_25segmented_radix_sort_implIS3_Lb1EPKsPsPKlPlN2at6native12_GLOBAL__N_18offset_tEEE10hipError_tPvRmT1_PNSt15iterator_traitsISK_E10value_typeET2_T3_PNSL_ISQ_E10value_typeET4_jRbjT5_SW_jjP12ihipStream_tbEUlT_E2_NS1_11comp_targetILNS1_3genE10ELNS1_11target_archE1201ELNS1_3gpuE5ELNS1_3repE0EEENS1_30default_config_static_selectorELNS0_4arch9wavefront6targetE0EEEvSK_.kd
    .uniform_work_group_size: 1
    .uses_dynamic_stack: false
    .vgpr_count:     0
    .vgpr_spill_count: 0
    .wavefront_size: 32
    .workgroup_processor_mode: 1
  - .args:
      - .offset:         0
        .size:           80
        .value_kind:     by_value
    .group_segment_fixed_size: 0
    .kernarg_segment_align: 8
    .kernarg_segment_size: 80
    .language:       OpenCL C
    .language_version:
      - 2
      - 0
    .max_flat_workgroup_size: 128
    .name:           _ZN7rocprim17ROCPRIM_400000_NS6detail17trampoline_kernelINS0_14default_configENS1_36segmented_radix_sort_config_selectorIslEEZNS1_25segmented_radix_sort_implIS3_Lb1EPKsPsPKlPlN2at6native12_GLOBAL__N_18offset_tEEE10hipError_tPvRmT1_PNSt15iterator_traitsISK_E10value_typeET2_T3_PNSL_ISQ_E10value_typeET4_jRbjT5_SW_jjP12ihipStream_tbEUlT_E2_NS1_11comp_targetILNS1_3genE10ELNS1_11target_archE1200ELNS1_3gpuE4ELNS1_3repE0EEENS1_30default_config_static_selectorELNS0_4arch9wavefront6targetE0EEEvSK_
    .private_segment_fixed_size: 0
    .sgpr_count:     0
    .sgpr_spill_count: 0
    .symbol:         _ZN7rocprim17ROCPRIM_400000_NS6detail17trampoline_kernelINS0_14default_configENS1_36segmented_radix_sort_config_selectorIslEEZNS1_25segmented_radix_sort_implIS3_Lb1EPKsPsPKlPlN2at6native12_GLOBAL__N_18offset_tEEE10hipError_tPvRmT1_PNSt15iterator_traitsISK_E10value_typeET2_T3_PNSL_ISQ_E10value_typeET4_jRbjT5_SW_jjP12ihipStream_tbEUlT_E2_NS1_11comp_targetILNS1_3genE10ELNS1_11target_archE1200ELNS1_3gpuE4ELNS1_3repE0EEENS1_30default_config_static_selectorELNS0_4arch9wavefront6targetE0EEEvSK_.kd
    .uniform_work_group_size: 1
    .uses_dynamic_stack: false
    .vgpr_count:     0
    .vgpr_spill_count: 0
    .wavefront_size: 32
    .workgroup_processor_mode: 1
  - .args:
      - .offset:         0
        .size:           80
        .value_kind:     by_value
    .group_segment_fixed_size: 0
    .kernarg_segment_align: 8
    .kernarg_segment_size: 80
    .language:       OpenCL C
    .language_version:
      - 2
      - 0
    .max_flat_workgroup_size: 256
    .name:           _ZN7rocprim17ROCPRIM_400000_NS6detail17trampoline_kernelINS0_14default_configENS1_36segmented_radix_sort_config_selectorIslEEZNS1_25segmented_radix_sort_implIS3_Lb1EPKsPsPKlPlN2at6native12_GLOBAL__N_18offset_tEEE10hipError_tPvRmT1_PNSt15iterator_traitsISK_E10value_typeET2_T3_PNSL_ISQ_E10value_typeET4_jRbjT5_SW_jjP12ihipStream_tbEUlT_E2_NS1_11comp_targetILNS1_3genE9ELNS1_11target_archE1100ELNS1_3gpuE3ELNS1_3repE0EEENS1_30default_config_static_selectorELNS0_4arch9wavefront6targetE0EEEvSK_
    .private_segment_fixed_size: 0
    .sgpr_count:     0
    .sgpr_spill_count: 0
    .symbol:         _ZN7rocprim17ROCPRIM_400000_NS6detail17trampoline_kernelINS0_14default_configENS1_36segmented_radix_sort_config_selectorIslEEZNS1_25segmented_radix_sort_implIS3_Lb1EPKsPsPKlPlN2at6native12_GLOBAL__N_18offset_tEEE10hipError_tPvRmT1_PNSt15iterator_traitsISK_E10value_typeET2_T3_PNSL_ISQ_E10value_typeET4_jRbjT5_SW_jjP12ihipStream_tbEUlT_E2_NS1_11comp_targetILNS1_3genE9ELNS1_11target_archE1100ELNS1_3gpuE3ELNS1_3repE0EEENS1_30default_config_static_selectorELNS0_4arch9wavefront6targetE0EEEvSK_.kd
    .uniform_work_group_size: 1
    .uses_dynamic_stack: false
    .vgpr_count:     0
    .vgpr_spill_count: 0
    .wavefront_size: 32
    .workgroup_processor_mode: 1
  - .args:
      - .offset:         0
        .size:           80
        .value_kind:     by_value
      - .offset:         80
        .size:           4
        .value_kind:     hidden_block_count_x
      - .offset:         84
        .size:           4
        .value_kind:     hidden_block_count_y
      - .offset:         88
        .size:           4
        .value_kind:     hidden_block_count_z
      - .offset:         92
        .size:           2
        .value_kind:     hidden_group_size_x
      - .offset:         94
        .size:           2
        .value_kind:     hidden_group_size_y
      - .offset:         96
        .size:           2
        .value_kind:     hidden_group_size_z
      - .offset:         98
        .size:           2
        .value_kind:     hidden_remainder_x
      - .offset:         100
        .size:           2
        .value_kind:     hidden_remainder_y
      - .offset:         102
        .size:           2
        .value_kind:     hidden_remainder_z
      - .offset:         120
        .size:           8
        .value_kind:     hidden_global_offset_x
      - .offset:         128
        .size:           8
        .value_kind:     hidden_global_offset_y
      - .offset:         136
        .size:           8
        .value_kind:     hidden_global_offset_z
      - .offset:         144
        .size:           2
        .value_kind:     hidden_grid_dims
    .group_segment_fixed_size: 35344
    .kernarg_segment_align: 8
    .kernarg_segment_size: 336
    .language:       OpenCL C
    .language_version:
      - 2
      - 0
    .max_flat_workgroup_size: 256
    .name:           _ZN7rocprim17ROCPRIM_400000_NS6detail17trampoline_kernelINS0_14default_configENS1_36segmented_radix_sort_config_selectorIslEEZNS1_25segmented_radix_sort_implIS3_Lb1EPKsPsPKlPlN2at6native12_GLOBAL__N_18offset_tEEE10hipError_tPvRmT1_PNSt15iterator_traitsISK_E10value_typeET2_T3_PNSL_ISQ_E10value_typeET4_jRbjT5_SW_jjP12ihipStream_tbEUlT_E2_NS1_11comp_targetILNS1_3genE8ELNS1_11target_archE1030ELNS1_3gpuE2ELNS1_3repE0EEENS1_30default_config_static_selectorELNS0_4arch9wavefront6targetE0EEEvSK_
    .private_segment_fixed_size: 196
    .sgpr_count:     70
    .sgpr_spill_count: 0
    .symbol:         _ZN7rocprim17ROCPRIM_400000_NS6detail17trampoline_kernelINS0_14default_configENS1_36segmented_radix_sort_config_selectorIslEEZNS1_25segmented_radix_sort_implIS3_Lb1EPKsPsPKlPlN2at6native12_GLOBAL__N_18offset_tEEE10hipError_tPvRmT1_PNSt15iterator_traitsISK_E10value_typeET2_T3_PNSL_ISQ_E10value_typeET4_jRbjT5_SW_jjP12ihipStream_tbEUlT_E2_NS1_11comp_targetILNS1_3genE8ELNS1_11target_archE1030ELNS1_3gpuE2ELNS1_3repE0EEENS1_30default_config_static_selectorELNS0_4arch9wavefront6targetE0EEEvSK_.kd
    .uniform_work_group_size: 1
    .uses_dynamic_stack: false
    .vgpr_count:     248
    .vgpr_spill_count: 0
    .wavefront_size: 32
    .workgroup_processor_mode: 1
  - .args:
      - .offset:         0
        .size:           176
        .value_kind:     by_value
    .group_segment_fixed_size: 0
    .kernarg_segment_align: 8
    .kernarg_segment_size: 176
    .language:       OpenCL C
    .language_version:
      - 2
      - 0
    .max_flat_workgroup_size: 256
    .name:           _ZN7rocprim17ROCPRIM_400000_NS6detail17trampoline_kernelINS0_13select_configILj256ELj13ELNS0_17block_load_methodE3ELS4_3ELS4_3ELNS0_20block_scan_algorithmE0ELj4294967295EEENS1_25partition_config_selectorILNS1_17partition_subalgoE4EjNS0_10empty_typeEbEEZZNS1_14partition_implILS8_4ELb0ES6_15HIP_vector_typeIjLj2EENS0_17counting_iteratorIjlEEPS9_SG_NS0_5tupleIJPjSI_NS0_16reverse_iteratorISI_EEEEENSH_IJSG_SG_SG_EEES9_SI_JZNS1_25segmented_radix_sort_implINS0_14default_configELb0EPKsPsPKlPlN2at6native12_GLOBAL__N_18offset_tEEE10hipError_tPvRmT1_PNSt15iterator_traitsIS12_E10value_typeET2_T3_PNS13_IS18_E10value_typeET4_jRbjT5_S1E_jjP12ihipStream_tbEUljE_ZNSN_ISO_Lb0ESQ_SR_ST_SU_SY_EESZ_S10_S11_S12_S16_S17_S18_S1B_S1C_jS1D_jS1E_S1E_jjS1G_bEUljE0_EEESZ_S10_S11_S18_S1C_S1E_T6_T7_T9_mT8_S1G_bDpT10_ENKUlT_T0_E_clISt17integral_constantIbLb0EES1U_EEDaS1P_S1Q_EUlS1P_E_NS1_11comp_targetILNS1_3genE0ELNS1_11target_archE4294967295ELNS1_3gpuE0ELNS1_3repE0EEENS1_30default_config_static_selectorELNS0_4arch9wavefront6targetE0EEEvS12_
    .private_segment_fixed_size: 0
    .sgpr_count:     0
    .sgpr_spill_count: 0
    .symbol:         _ZN7rocprim17ROCPRIM_400000_NS6detail17trampoline_kernelINS0_13select_configILj256ELj13ELNS0_17block_load_methodE3ELS4_3ELS4_3ELNS0_20block_scan_algorithmE0ELj4294967295EEENS1_25partition_config_selectorILNS1_17partition_subalgoE4EjNS0_10empty_typeEbEEZZNS1_14partition_implILS8_4ELb0ES6_15HIP_vector_typeIjLj2EENS0_17counting_iteratorIjlEEPS9_SG_NS0_5tupleIJPjSI_NS0_16reverse_iteratorISI_EEEEENSH_IJSG_SG_SG_EEES9_SI_JZNS1_25segmented_radix_sort_implINS0_14default_configELb0EPKsPsPKlPlN2at6native12_GLOBAL__N_18offset_tEEE10hipError_tPvRmT1_PNSt15iterator_traitsIS12_E10value_typeET2_T3_PNS13_IS18_E10value_typeET4_jRbjT5_S1E_jjP12ihipStream_tbEUljE_ZNSN_ISO_Lb0ESQ_SR_ST_SU_SY_EESZ_S10_S11_S12_S16_S17_S18_S1B_S1C_jS1D_jS1E_S1E_jjS1G_bEUljE0_EEESZ_S10_S11_S18_S1C_S1E_T6_T7_T9_mT8_S1G_bDpT10_ENKUlT_T0_E_clISt17integral_constantIbLb0EES1U_EEDaS1P_S1Q_EUlS1P_E_NS1_11comp_targetILNS1_3genE0ELNS1_11target_archE4294967295ELNS1_3gpuE0ELNS1_3repE0EEENS1_30default_config_static_selectorELNS0_4arch9wavefront6targetE0EEEvS12_.kd
    .uniform_work_group_size: 1
    .uses_dynamic_stack: false
    .vgpr_count:     0
    .vgpr_spill_count: 0
    .wavefront_size: 32
    .workgroup_processor_mode: 1
  - .args:
      - .offset:         0
        .size:           176
        .value_kind:     by_value
    .group_segment_fixed_size: 0
    .kernarg_segment_align: 8
    .kernarg_segment_size: 176
    .language:       OpenCL C
    .language_version:
      - 2
      - 0
    .max_flat_workgroup_size: 256
    .name:           _ZN7rocprim17ROCPRIM_400000_NS6detail17trampoline_kernelINS0_13select_configILj256ELj13ELNS0_17block_load_methodE3ELS4_3ELS4_3ELNS0_20block_scan_algorithmE0ELj4294967295EEENS1_25partition_config_selectorILNS1_17partition_subalgoE4EjNS0_10empty_typeEbEEZZNS1_14partition_implILS8_4ELb0ES6_15HIP_vector_typeIjLj2EENS0_17counting_iteratorIjlEEPS9_SG_NS0_5tupleIJPjSI_NS0_16reverse_iteratorISI_EEEEENSH_IJSG_SG_SG_EEES9_SI_JZNS1_25segmented_radix_sort_implINS0_14default_configELb0EPKsPsPKlPlN2at6native12_GLOBAL__N_18offset_tEEE10hipError_tPvRmT1_PNSt15iterator_traitsIS12_E10value_typeET2_T3_PNS13_IS18_E10value_typeET4_jRbjT5_S1E_jjP12ihipStream_tbEUljE_ZNSN_ISO_Lb0ESQ_SR_ST_SU_SY_EESZ_S10_S11_S12_S16_S17_S18_S1B_S1C_jS1D_jS1E_S1E_jjS1G_bEUljE0_EEESZ_S10_S11_S18_S1C_S1E_T6_T7_T9_mT8_S1G_bDpT10_ENKUlT_T0_E_clISt17integral_constantIbLb0EES1U_EEDaS1P_S1Q_EUlS1P_E_NS1_11comp_targetILNS1_3genE5ELNS1_11target_archE942ELNS1_3gpuE9ELNS1_3repE0EEENS1_30default_config_static_selectorELNS0_4arch9wavefront6targetE0EEEvS12_
    .private_segment_fixed_size: 0
    .sgpr_count:     0
    .sgpr_spill_count: 0
    .symbol:         _ZN7rocprim17ROCPRIM_400000_NS6detail17trampoline_kernelINS0_13select_configILj256ELj13ELNS0_17block_load_methodE3ELS4_3ELS4_3ELNS0_20block_scan_algorithmE0ELj4294967295EEENS1_25partition_config_selectorILNS1_17partition_subalgoE4EjNS0_10empty_typeEbEEZZNS1_14partition_implILS8_4ELb0ES6_15HIP_vector_typeIjLj2EENS0_17counting_iteratorIjlEEPS9_SG_NS0_5tupleIJPjSI_NS0_16reverse_iteratorISI_EEEEENSH_IJSG_SG_SG_EEES9_SI_JZNS1_25segmented_radix_sort_implINS0_14default_configELb0EPKsPsPKlPlN2at6native12_GLOBAL__N_18offset_tEEE10hipError_tPvRmT1_PNSt15iterator_traitsIS12_E10value_typeET2_T3_PNS13_IS18_E10value_typeET4_jRbjT5_S1E_jjP12ihipStream_tbEUljE_ZNSN_ISO_Lb0ESQ_SR_ST_SU_SY_EESZ_S10_S11_S12_S16_S17_S18_S1B_S1C_jS1D_jS1E_S1E_jjS1G_bEUljE0_EEESZ_S10_S11_S18_S1C_S1E_T6_T7_T9_mT8_S1G_bDpT10_ENKUlT_T0_E_clISt17integral_constantIbLb0EES1U_EEDaS1P_S1Q_EUlS1P_E_NS1_11comp_targetILNS1_3genE5ELNS1_11target_archE942ELNS1_3gpuE9ELNS1_3repE0EEENS1_30default_config_static_selectorELNS0_4arch9wavefront6targetE0EEEvS12_.kd
    .uniform_work_group_size: 1
    .uses_dynamic_stack: false
    .vgpr_count:     0
    .vgpr_spill_count: 0
    .wavefront_size: 32
    .workgroup_processor_mode: 1
  - .args:
      - .offset:         0
        .size:           176
        .value_kind:     by_value
    .group_segment_fixed_size: 0
    .kernarg_segment_align: 8
    .kernarg_segment_size: 176
    .language:       OpenCL C
    .language_version:
      - 2
      - 0
    .max_flat_workgroup_size: 256
    .name:           _ZN7rocprim17ROCPRIM_400000_NS6detail17trampoline_kernelINS0_13select_configILj256ELj13ELNS0_17block_load_methodE3ELS4_3ELS4_3ELNS0_20block_scan_algorithmE0ELj4294967295EEENS1_25partition_config_selectorILNS1_17partition_subalgoE4EjNS0_10empty_typeEbEEZZNS1_14partition_implILS8_4ELb0ES6_15HIP_vector_typeIjLj2EENS0_17counting_iteratorIjlEEPS9_SG_NS0_5tupleIJPjSI_NS0_16reverse_iteratorISI_EEEEENSH_IJSG_SG_SG_EEES9_SI_JZNS1_25segmented_radix_sort_implINS0_14default_configELb0EPKsPsPKlPlN2at6native12_GLOBAL__N_18offset_tEEE10hipError_tPvRmT1_PNSt15iterator_traitsIS12_E10value_typeET2_T3_PNS13_IS18_E10value_typeET4_jRbjT5_S1E_jjP12ihipStream_tbEUljE_ZNSN_ISO_Lb0ESQ_SR_ST_SU_SY_EESZ_S10_S11_S12_S16_S17_S18_S1B_S1C_jS1D_jS1E_S1E_jjS1G_bEUljE0_EEESZ_S10_S11_S18_S1C_S1E_T6_T7_T9_mT8_S1G_bDpT10_ENKUlT_T0_E_clISt17integral_constantIbLb0EES1U_EEDaS1P_S1Q_EUlS1P_E_NS1_11comp_targetILNS1_3genE4ELNS1_11target_archE910ELNS1_3gpuE8ELNS1_3repE0EEENS1_30default_config_static_selectorELNS0_4arch9wavefront6targetE0EEEvS12_
    .private_segment_fixed_size: 0
    .sgpr_count:     0
    .sgpr_spill_count: 0
    .symbol:         _ZN7rocprim17ROCPRIM_400000_NS6detail17trampoline_kernelINS0_13select_configILj256ELj13ELNS0_17block_load_methodE3ELS4_3ELS4_3ELNS0_20block_scan_algorithmE0ELj4294967295EEENS1_25partition_config_selectorILNS1_17partition_subalgoE4EjNS0_10empty_typeEbEEZZNS1_14partition_implILS8_4ELb0ES6_15HIP_vector_typeIjLj2EENS0_17counting_iteratorIjlEEPS9_SG_NS0_5tupleIJPjSI_NS0_16reverse_iteratorISI_EEEEENSH_IJSG_SG_SG_EEES9_SI_JZNS1_25segmented_radix_sort_implINS0_14default_configELb0EPKsPsPKlPlN2at6native12_GLOBAL__N_18offset_tEEE10hipError_tPvRmT1_PNSt15iterator_traitsIS12_E10value_typeET2_T3_PNS13_IS18_E10value_typeET4_jRbjT5_S1E_jjP12ihipStream_tbEUljE_ZNSN_ISO_Lb0ESQ_SR_ST_SU_SY_EESZ_S10_S11_S12_S16_S17_S18_S1B_S1C_jS1D_jS1E_S1E_jjS1G_bEUljE0_EEESZ_S10_S11_S18_S1C_S1E_T6_T7_T9_mT8_S1G_bDpT10_ENKUlT_T0_E_clISt17integral_constantIbLb0EES1U_EEDaS1P_S1Q_EUlS1P_E_NS1_11comp_targetILNS1_3genE4ELNS1_11target_archE910ELNS1_3gpuE8ELNS1_3repE0EEENS1_30default_config_static_selectorELNS0_4arch9wavefront6targetE0EEEvS12_.kd
    .uniform_work_group_size: 1
    .uses_dynamic_stack: false
    .vgpr_count:     0
    .vgpr_spill_count: 0
    .wavefront_size: 32
    .workgroup_processor_mode: 1
  - .args:
      - .offset:         0
        .size:           176
        .value_kind:     by_value
    .group_segment_fixed_size: 0
    .kernarg_segment_align: 8
    .kernarg_segment_size: 176
    .language:       OpenCL C
    .language_version:
      - 2
      - 0
    .max_flat_workgroup_size: 256
    .name:           _ZN7rocprim17ROCPRIM_400000_NS6detail17trampoline_kernelINS0_13select_configILj256ELj13ELNS0_17block_load_methodE3ELS4_3ELS4_3ELNS0_20block_scan_algorithmE0ELj4294967295EEENS1_25partition_config_selectorILNS1_17partition_subalgoE4EjNS0_10empty_typeEbEEZZNS1_14partition_implILS8_4ELb0ES6_15HIP_vector_typeIjLj2EENS0_17counting_iteratorIjlEEPS9_SG_NS0_5tupleIJPjSI_NS0_16reverse_iteratorISI_EEEEENSH_IJSG_SG_SG_EEES9_SI_JZNS1_25segmented_radix_sort_implINS0_14default_configELb0EPKsPsPKlPlN2at6native12_GLOBAL__N_18offset_tEEE10hipError_tPvRmT1_PNSt15iterator_traitsIS12_E10value_typeET2_T3_PNS13_IS18_E10value_typeET4_jRbjT5_S1E_jjP12ihipStream_tbEUljE_ZNSN_ISO_Lb0ESQ_SR_ST_SU_SY_EESZ_S10_S11_S12_S16_S17_S18_S1B_S1C_jS1D_jS1E_S1E_jjS1G_bEUljE0_EEESZ_S10_S11_S18_S1C_S1E_T6_T7_T9_mT8_S1G_bDpT10_ENKUlT_T0_E_clISt17integral_constantIbLb0EES1U_EEDaS1P_S1Q_EUlS1P_E_NS1_11comp_targetILNS1_3genE3ELNS1_11target_archE908ELNS1_3gpuE7ELNS1_3repE0EEENS1_30default_config_static_selectorELNS0_4arch9wavefront6targetE0EEEvS12_
    .private_segment_fixed_size: 0
    .sgpr_count:     0
    .sgpr_spill_count: 0
    .symbol:         _ZN7rocprim17ROCPRIM_400000_NS6detail17trampoline_kernelINS0_13select_configILj256ELj13ELNS0_17block_load_methodE3ELS4_3ELS4_3ELNS0_20block_scan_algorithmE0ELj4294967295EEENS1_25partition_config_selectorILNS1_17partition_subalgoE4EjNS0_10empty_typeEbEEZZNS1_14partition_implILS8_4ELb0ES6_15HIP_vector_typeIjLj2EENS0_17counting_iteratorIjlEEPS9_SG_NS0_5tupleIJPjSI_NS0_16reverse_iteratorISI_EEEEENSH_IJSG_SG_SG_EEES9_SI_JZNS1_25segmented_radix_sort_implINS0_14default_configELb0EPKsPsPKlPlN2at6native12_GLOBAL__N_18offset_tEEE10hipError_tPvRmT1_PNSt15iterator_traitsIS12_E10value_typeET2_T3_PNS13_IS18_E10value_typeET4_jRbjT5_S1E_jjP12ihipStream_tbEUljE_ZNSN_ISO_Lb0ESQ_SR_ST_SU_SY_EESZ_S10_S11_S12_S16_S17_S18_S1B_S1C_jS1D_jS1E_S1E_jjS1G_bEUljE0_EEESZ_S10_S11_S18_S1C_S1E_T6_T7_T9_mT8_S1G_bDpT10_ENKUlT_T0_E_clISt17integral_constantIbLb0EES1U_EEDaS1P_S1Q_EUlS1P_E_NS1_11comp_targetILNS1_3genE3ELNS1_11target_archE908ELNS1_3gpuE7ELNS1_3repE0EEENS1_30default_config_static_selectorELNS0_4arch9wavefront6targetE0EEEvS12_.kd
    .uniform_work_group_size: 1
    .uses_dynamic_stack: false
    .vgpr_count:     0
    .vgpr_spill_count: 0
    .wavefront_size: 32
    .workgroup_processor_mode: 1
  - .args:
      - .offset:         0
        .size:           176
        .value_kind:     by_value
    .group_segment_fixed_size: 0
    .kernarg_segment_align: 8
    .kernarg_segment_size: 176
    .language:       OpenCL C
    .language_version:
      - 2
      - 0
    .max_flat_workgroup_size: 256
    .name:           _ZN7rocprim17ROCPRIM_400000_NS6detail17trampoline_kernelINS0_13select_configILj256ELj13ELNS0_17block_load_methodE3ELS4_3ELS4_3ELNS0_20block_scan_algorithmE0ELj4294967295EEENS1_25partition_config_selectorILNS1_17partition_subalgoE4EjNS0_10empty_typeEbEEZZNS1_14partition_implILS8_4ELb0ES6_15HIP_vector_typeIjLj2EENS0_17counting_iteratorIjlEEPS9_SG_NS0_5tupleIJPjSI_NS0_16reverse_iteratorISI_EEEEENSH_IJSG_SG_SG_EEES9_SI_JZNS1_25segmented_radix_sort_implINS0_14default_configELb0EPKsPsPKlPlN2at6native12_GLOBAL__N_18offset_tEEE10hipError_tPvRmT1_PNSt15iterator_traitsIS12_E10value_typeET2_T3_PNS13_IS18_E10value_typeET4_jRbjT5_S1E_jjP12ihipStream_tbEUljE_ZNSN_ISO_Lb0ESQ_SR_ST_SU_SY_EESZ_S10_S11_S12_S16_S17_S18_S1B_S1C_jS1D_jS1E_S1E_jjS1G_bEUljE0_EEESZ_S10_S11_S18_S1C_S1E_T6_T7_T9_mT8_S1G_bDpT10_ENKUlT_T0_E_clISt17integral_constantIbLb0EES1U_EEDaS1P_S1Q_EUlS1P_E_NS1_11comp_targetILNS1_3genE2ELNS1_11target_archE906ELNS1_3gpuE6ELNS1_3repE0EEENS1_30default_config_static_selectorELNS0_4arch9wavefront6targetE0EEEvS12_
    .private_segment_fixed_size: 0
    .sgpr_count:     0
    .sgpr_spill_count: 0
    .symbol:         _ZN7rocprim17ROCPRIM_400000_NS6detail17trampoline_kernelINS0_13select_configILj256ELj13ELNS0_17block_load_methodE3ELS4_3ELS4_3ELNS0_20block_scan_algorithmE0ELj4294967295EEENS1_25partition_config_selectorILNS1_17partition_subalgoE4EjNS0_10empty_typeEbEEZZNS1_14partition_implILS8_4ELb0ES6_15HIP_vector_typeIjLj2EENS0_17counting_iteratorIjlEEPS9_SG_NS0_5tupleIJPjSI_NS0_16reverse_iteratorISI_EEEEENSH_IJSG_SG_SG_EEES9_SI_JZNS1_25segmented_radix_sort_implINS0_14default_configELb0EPKsPsPKlPlN2at6native12_GLOBAL__N_18offset_tEEE10hipError_tPvRmT1_PNSt15iterator_traitsIS12_E10value_typeET2_T3_PNS13_IS18_E10value_typeET4_jRbjT5_S1E_jjP12ihipStream_tbEUljE_ZNSN_ISO_Lb0ESQ_SR_ST_SU_SY_EESZ_S10_S11_S12_S16_S17_S18_S1B_S1C_jS1D_jS1E_S1E_jjS1G_bEUljE0_EEESZ_S10_S11_S18_S1C_S1E_T6_T7_T9_mT8_S1G_bDpT10_ENKUlT_T0_E_clISt17integral_constantIbLb0EES1U_EEDaS1P_S1Q_EUlS1P_E_NS1_11comp_targetILNS1_3genE2ELNS1_11target_archE906ELNS1_3gpuE6ELNS1_3repE0EEENS1_30default_config_static_selectorELNS0_4arch9wavefront6targetE0EEEvS12_.kd
    .uniform_work_group_size: 1
    .uses_dynamic_stack: false
    .vgpr_count:     0
    .vgpr_spill_count: 0
    .wavefront_size: 32
    .workgroup_processor_mode: 1
  - .args:
      - .offset:         0
        .size:           176
        .value_kind:     by_value
    .group_segment_fixed_size: 0
    .kernarg_segment_align: 8
    .kernarg_segment_size: 176
    .language:       OpenCL C
    .language_version:
      - 2
      - 0
    .max_flat_workgroup_size: 256
    .name:           _ZN7rocprim17ROCPRIM_400000_NS6detail17trampoline_kernelINS0_13select_configILj256ELj13ELNS0_17block_load_methodE3ELS4_3ELS4_3ELNS0_20block_scan_algorithmE0ELj4294967295EEENS1_25partition_config_selectorILNS1_17partition_subalgoE4EjNS0_10empty_typeEbEEZZNS1_14partition_implILS8_4ELb0ES6_15HIP_vector_typeIjLj2EENS0_17counting_iteratorIjlEEPS9_SG_NS0_5tupleIJPjSI_NS0_16reverse_iteratorISI_EEEEENSH_IJSG_SG_SG_EEES9_SI_JZNS1_25segmented_radix_sort_implINS0_14default_configELb0EPKsPsPKlPlN2at6native12_GLOBAL__N_18offset_tEEE10hipError_tPvRmT1_PNSt15iterator_traitsIS12_E10value_typeET2_T3_PNS13_IS18_E10value_typeET4_jRbjT5_S1E_jjP12ihipStream_tbEUljE_ZNSN_ISO_Lb0ESQ_SR_ST_SU_SY_EESZ_S10_S11_S12_S16_S17_S18_S1B_S1C_jS1D_jS1E_S1E_jjS1G_bEUljE0_EEESZ_S10_S11_S18_S1C_S1E_T6_T7_T9_mT8_S1G_bDpT10_ENKUlT_T0_E_clISt17integral_constantIbLb0EES1U_EEDaS1P_S1Q_EUlS1P_E_NS1_11comp_targetILNS1_3genE10ELNS1_11target_archE1200ELNS1_3gpuE4ELNS1_3repE0EEENS1_30default_config_static_selectorELNS0_4arch9wavefront6targetE0EEEvS12_
    .private_segment_fixed_size: 0
    .sgpr_count:     0
    .sgpr_spill_count: 0
    .symbol:         _ZN7rocprim17ROCPRIM_400000_NS6detail17trampoline_kernelINS0_13select_configILj256ELj13ELNS0_17block_load_methodE3ELS4_3ELS4_3ELNS0_20block_scan_algorithmE0ELj4294967295EEENS1_25partition_config_selectorILNS1_17partition_subalgoE4EjNS0_10empty_typeEbEEZZNS1_14partition_implILS8_4ELb0ES6_15HIP_vector_typeIjLj2EENS0_17counting_iteratorIjlEEPS9_SG_NS0_5tupleIJPjSI_NS0_16reverse_iteratorISI_EEEEENSH_IJSG_SG_SG_EEES9_SI_JZNS1_25segmented_radix_sort_implINS0_14default_configELb0EPKsPsPKlPlN2at6native12_GLOBAL__N_18offset_tEEE10hipError_tPvRmT1_PNSt15iterator_traitsIS12_E10value_typeET2_T3_PNS13_IS18_E10value_typeET4_jRbjT5_S1E_jjP12ihipStream_tbEUljE_ZNSN_ISO_Lb0ESQ_SR_ST_SU_SY_EESZ_S10_S11_S12_S16_S17_S18_S1B_S1C_jS1D_jS1E_S1E_jjS1G_bEUljE0_EEESZ_S10_S11_S18_S1C_S1E_T6_T7_T9_mT8_S1G_bDpT10_ENKUlT_T0_E_clISt17integral_constantIbLb0EES1U_EEDaS1P_S1Q_EUlS1P_E_NS1_11comp_targetILNS1_3genE10ELNS1_11target_archE1200ELNS1_3gpuE4ELNS1_3repE0EEENS1_30default_config_static_selectorELNS0_4arch9wavefront6targetE0EEEvS12_.kd
    .uniform_work_group_size: 1
    .uses_dynamic_stack: false
    .vgpr_count:     0
    .vgpr_spill_count: 0
    .wavefront_size: 32
    .workgroup_processor_mode: 1
  - .args:
      - .offset:         0
        .size:           176
        .value_kind:     by_value
    .group_segment_fixed_size: 0
    .kernarg_segment_align: 8
    .kernarg_segment_size: 176
    .language:       OpenCL C
    .language_version:
      - 2
      - 0
    .max_flat_workgroup_size: 256
    .name:           _ZN7rocprim17ROCPRIM_400000_NS6detail17trampoline_kernelINS0_13select_configILj256ELj13ELNS0_17block_load_methodE3ELS4_3ELS4_3ELNS0_20block_scan_algorithmE0ELj4294967295EEENS1_25partition_config_selectorILNS1_17partition_subalgoE4EjNS0_10empty_typeEbEEZZNS1_14partition_implILS8_4ELb0ES6_15HIP_vector_typeIjLj2EENS0_17counting_iteratorIjlEEPS9_SG_NS0_5tupleIJPjSI_NS0_16reverse_iteratorISI_EEEEENSH_IJSG_SG_SG_EEES9_SI_JZNS1_25segmented_radix_sort_implINS0_14default_configELb0EPKsPsPKlPlN2at6native12_GLOBAL__N_18offset_tEEE10hipError_tPvRmT1_PNSt15iterator_traitsIS12_E10value_typeET2_T3_PNS13_IS18_E10value_typeET4_jRbjT5_S1E_jjP12ihipStream_tbEUljE_ZNSN_ISO_Lb0ESQ_SR_ST_SU_SY_EESZ_S10_S11_S12_S16_S17_S18_S1B_S1C_jS1D_jS1E_S1E_jjS1G_bEUljE0_EEESZ_S10_S11_S18_S1C_S1E_T6_T7_T9_mT8_S1G_bDpT10_ENKUlT_T0_E_clISt17integral_constantIbLb0EES1U_EEDaS1P_S1Q_EUlS1P_E_NS1_11comp_targetILNS1_3genE9ELNS1_11target_archE1100ELNS1_3gpuE3ELNS1_3repE0EEENS1_30default_config_static_selectorELNS0_4arch9wavefront6targetE0EEEvS12_
    .private_segment_fixed_size: 0
    .sgpr_count:     0
    .sgpr_spill_count: 0
    .symbol:         _ZN7rocprim17ROCPRIM_400000_NS6detail17trampoline_kernelINS0_13select_configILj256ELj13ELNS0_17block_load_methodE3ELS4_3ELS4_3ELNS0_20block_scan_algorithmE0ELj4294967295EEENS1_25partition_config_selectorILNS1_17partition_subalgoE4EjNS0_10empty_typeEbEEZZNS1_14partition_implILS8_4ELb0ES6_15HIP_vector_typeIjLj2EENS0_17counting_iteratorIjlEEPS9_SG_NS0_5tupleIJPjSI_NS0_16reverse_iteratorISI_EEEEENSH_IJSG_SG_SG_EEES9_SI_JZNS1_25segmented_radix_sort_implINS0_14default_configELb0EPKsPsPKlPlN2at6native12_GLOBAL__N_18offset_tEEE10hipError_tPvRmT1_PNSt15iterator_traitsIS12_E10value_typeET2_T3_PNS13_IS18_E10value_typeET4_jRbjT5_S1E_jjP12ihipStream_tbEUljE_ZNSN_ISO_Lb0ESQ_SR_ST_SU_SY_EESZ_S10_S11_S12_S16_S17_S18_S1B_S1C_jS1D_jS1E_S1E_jjS1G_bEUljE0_EEESZ_S10_S11_S18_S1C_S1E_T6_T7_T9_mT8_S1G_bDpT10_ENKUlT_T0_E_clISt17integral_constantIbLb0EES1U_EEDaS1P_S1Q_EUlS1P_E_NS1_11comp_targetILNS1_3genE9ELNS1_11target_archE1100ELNS1_3gpuE3ELNS1_3repE0EEENS1_30default_config_static_selectorELNS0_4arch9wavefront6targetE0EEEvS12_.kd
    .uniform_work_group_size: 1
    .uses_dynamic_stack: false
    .vgpr_count:     0
    .vgpr_spill_count: 0
    .wavefront_size: 32
    .workgroup_processor_mode: 1
  - .args:
      - .offset:         0
        .size:           176
        .value_kind:     by_value
    .group_segment_fixed_size: 13328
    .kernarg_segment_align: 8
    .kernarg_segment_size: 176
    .language:       OpenCL C
    .language_version:
      - 2
      - 0
    .max_flat_workgroup_size: 256
    .name:           _ZN7rocprim17ROCPRIM_400000_NS6detail17trampoline_kernelINS0_13select_configILj256ELj13ELNS0_17block_load_methodE3ELS4_3ELS4_3ELNS0_20block_scan_algorithmE0ELj4294967295EEENS1_25partition_config_selectorILNS1_17partition_subalgoE4EjNS0_10empty_typeEbEEZZNS1_14partition_implILS8_4ELb0ES6_15HIP_vector_typeIjLj2EENS0_17counting_iteratorIjlEEPS9_SG_NS0_5tupleIJPjSI_NS0_16reverse_iteratorISI_EEEEENSH_IJSG_SG_SG_EEES9_SI_JZNS1_25segmented_radix_sort_implINS0_14default_configELb0EPKsPsPKlPlN2at6native12_GLOBAL__N_18offset_tEEE10hipError_tPvRmT1_PNSt15iterator_traitsIS12_E10value_typeET2_T3_PNS13_IS18_E10value_typeET4_jRbjT5_S1E_jjP12ihipStream_tbEUljE_ZNSN_ISO_Lb0ESQ_SR_ST_SU_SY_EESZ_S10_S11_S12_S16_S17_S18_S1B_S1C_jS1D_jS1E_S1E_jjS1G_bEUljE0_EEESZ_S10_S11_S18_S1C_S1E_T6_T7_T9_mT8_S1G_bDpT10_ENKUlT_T0_E_clISt17integral_constantIbLb0EES1U_EEDaS1P_S1Q_EUlS1P_E_NS1_11comp_targetILNS1_3genE8ELNS1_11target_archE1030ELNS1_3gpuE2ELNS1_3repE0EEENS1_30default_config_static_selectorELNS0_4arch9wavefront6targetE0EEEvS12_
    .private_segment_fixed_size: 0
    .sgpr_count:     61
    .sgpr_spill_count: 0
    .symbol:         _ZN7rocprim17ROCPRIM_400000_NS6detail17trampoline_kernelINS0_13select_configILj256ELj13ELNS0_17block_load_methodE3ELS4_3ELS4_3ELNS0_20block_scan_algorithmE0ELj4294967295EEENS1_25partition_config_selectorILNS1_17partition_subalgoE4EjNS0_10empty_typeEbEEZZNS1_14partition_implILS8_4ELb0ES6_15HIP_vector_typeIjLj2EENS0_17counting_iteratorIjlEEPS9_SG_NS0_5tupleIJPjSI_NS0_16reverse_iteratorISI_EEEEENSH_IJSG_SG_SG_EEES9_SI_JZNS1_25segmented_radix_sort_implINS0_14default_configELb0EPKsPsPKlPlN2at6native12_GLOBAL__N_18offset_tEEE10hipError_tPvRmT1_PNSt15iterator_traitsIS12_E10value_typeET2_T3_PNS13_IS18_E10value_typeET4_jRbjT5_S1E_jjP12ihipStream_tbEUljE_ZNSN_ISO_Lb0ESQ_SR_ST_SU_SY_EESZ_S10_S11_S12_S16_S17_S18_S1B_S1C_jS1D_jS1E_S1E_jjS1G_bEUljE0_EEESZ_S10_S11_S18_S1C_S1E_T6_T7_T9_mT8_S1G_bDpT10_ENKUlT_T0_E_clISt17integral_constantIbLb0EES1U_EEDaS1P_S1Q_EUlS1P_E_NS1_11comp_targetILNS1_3genE8ELNS1_11target_archE1030ELNS1_3gpuE2ELNS1_3repE0EEENS1_30default_config_static_selectorELNS0_4arch9wavefront6targetE0EEEvS12_.kd
    .uniform_work_group_size: 1
    .uses_dynamic_stack: false
    .vgpr_count:     82
    .vgpr_spill_count: 0
    .wavefront_size: 32
    .workgroup_processor_mode: 1
  - .args:
      - .offset:         0
        .size:           184
        .value_kind:     by_value
    .group_segment_fixed_size: 0
    .kernarg_segment_align: 8
    .kernarg_segment_size: 184
    .language:       OpenCL C
    .language_version:
      - 2
      - 0
    .max_flat_workgroup_size: 256
    .name:           _ZN7rocprim17ROCPRIM_400000_NS6detail17trampoline_kernelINS0_13select_configILj256ELj13ELNS0_17block_load_methodE3ELS4_3ELS4_3ELNS0_20block_scan_algorithmE0ELj4294967295EEENS1_25partition_config_selectorILNS1_17partition_subalgoE4EjNS0_10empty_typeEbEEZZNS1_14partition_implILS8_4ELb0ES6_15HIP_vector_typeIjLj2EENS0_17counting_iteratorIjlEEPS9_SG_NS0_5tupleIJPjSI_NS0_16reverse_iteratorISI_EEEEENSH_IJSG_SG_SG_EEES9_SI_JZNS1_25segmented_radix_sort_implINS0_14default_configELb0EPKsPsPKlPlN2at6native12_GLOBAL__N_18offset_tEEE10hipError_tPvRmT1_PNSt15iterator_traitsIS12_E10value_typeET2_T3_PNS13_IS18_E10value_typeET4_jRbjT5_S1E_jjP12ihipStream_tbEUljE_ZNSN_ISO_Lb0ESQ_SR_ST_SU_SY_EESZ_S10_S11_S12_S16_S17_S18_S1B_S1C_jS1D_jS1E_S1E_jjS1G_bEUljE0_EEESZ_S10_S11_S18_S1C_S1E_T6_T7_T9_mT8_S1G_bDpT10_ENKUlT_T0_E_clISt17integral_constantIbLb1EES1U_EEDaS1P_S1Q_EUlS1P_E_NS1_11comp_targetILNS1_3genE0ELNS1_11target_archE4294967295ELNS1_3gpuE0ELNS1_3repE0EEENS1_30default_config_static_selectorELNS0_4arch9wavefront6targetE0EEEvS12_
    .private_segment_fixed_size: 0
    .sgpr_count:     0
    .sgpr_spill_count: 0
    .symbol:         _ZN7rocprim17ROCPRIM_400000_NS6detail17trampoline_kernelINS0_13select_configILj256ELj13ELNS0_17block_load_methodE3ELS4_3ELS4_3ELNS0_20block_scan_algorithmE0ELj4294967295EEENS1_25partition_config_selectorILNS1_17partition_subalgoE4EjNS0_10empty_typeEbEEZZNS1_14partition_implILS8_4ELb0ES6_15HIP_vector_typeIjLj2EENS0_17counting_iteratorIjlEEPS9_SG_NS0_5tupleIJPjSI_NS0_16reverse_iteratorISI_EEEEENSH_IJSG_SG_SG_EEES9_SI_JZNS1_25segmented_radix_sort_implINS0_14default_configELb0EPKsPsPKlPlN2at6native12_GLOBAL__N_18offset_tEEE10hipError_tPvRmT1_PNSt15iterator_traitsIS12_E10value_typeET2_T3_PNS13_IS18_E10value_typeET4_jRbjT5_S1E_jjP12ihipStream_tbEUljE_ZNSN_ISO_Lb0ESQ_SR_ST_SU_SY_EESZ_S10_S11_S12_S16_S17_S18_S1B_S1C_jS1D_jS1E_S1E_jjS1G_bEUljE0_EEESZ_S10_S11_S18_S1C_S1E_T6_T7_T9_mT8_S1G_bDpT10_ENKUlT_T0_E_clISt17integral_constantIbLb1EES1U_EEDaS1P_S1Q_EUlS1P_E_NS1_11comp_targetILNS1_3genE0ELNS1_11target_archE4294967295ELNS1_3gpuE0ELNS1_3repE0EEENS1_30default_config_static_selectorELNS0_4arch9wavefront6targetE0EEEvS12_.kd
    .uniform_work_group_size: 1
    .uses_dynamic_stack: false
    .vgpr_count:     0
    .vgpr_spill_count: 0
    .wavefront_size: 32
    .workgroup_processor_mode: 1
  - .args:
      - .offset:         0
        .size:           184
        .value_kind:     by_value
    .group_segment_fixed_size: 0
    .kernarg_segment_align: 8
    .kernarg_segment_size: 184
    .language:       OpenCL C
    .language_version:
      - 2
      - 0
    .max_flat_workgroup_size: 256
    .name:           _ZN7rocprim17ROCPRIM_400000_NS6detail17trampoline_kernelINS0_13select_configILj256ELj13ELNS0_17block_load_methodE3ELS4_3ELS4_3ELNS0_20block_scan_algorithmE0ELj4294967295EEENS1_25partition_config_selectorILNS1_17partition_subalgoE4EjNS0_10empty_typeEbEEZZNS1_14partition_implILS8_4ELb0ES6_15HIP_vector_typeIjLj2EENS0_17counting_iteratorIjlEEPS9_SG_NS0_5tupleIJPjSI_NS0_16reverse_iteratorISI_EEEEENSH_IJSG_SG_SG_EEES9_SI_JZNS1_25segmented_radix_sort_implINS0_14default_configELb0EPKsPsPKlPlN2at6native12_GLOBAL__N_18offset_tEEE10hipError_tPvRmT1_PNSt15iterator_traitsIS12_E10value_typeET2_T3_PNS13_IS18_E10value_typeET4_jRbjT5_S1E_jjP12ihipStream_tbEUljE_ZNSN_ISO_Lb0ESQ_SR_ST_SU_SY_EESZ_S10_S11_S12_S16_S17_S18_S1B_S1C_jS1D_jS1E_S1E_jjS1G_bEUljE0_EEESZ_S10_S11_S18_S1C_S1E_T6_T7_T9_mT8_S1G_bDpT10_ENKUlT_T0_E_clISt17integral_constantIbLb1EES1U_EEDaS1P_S1Q_EUlS1P_E_NS1_11comp_targetILNS1_3genE5ELNS1_11target_archE942ELNS1_3gpuE9ELNS1_3repE0EEENS1_30default_config_static_selectorELNS0_4arch9wavefront6targetE0EEEvS12_
    .private_segment_fixed_size: 0
    .sgpr_count:     0
    .sgpr_spill_count: 0
    .symbol:         _ZN7rocprim17ROCPRIM_400000_NS6detail17trampoline_kernelINS0_13select_configILj256ELj13ELNS0_17block_load_methodE3ELS4_3ELS4_3ELNS0_20block_scan_algorithmE0ELj4294967295EEENS1_25partition_config_selectorILNS1_17partition_subalgoE4EjNS0_10empty_typeEbEEZZNS1_14partition_implILS8_4ELb0ES6_15HIP_vector_typeIjLj2EENS0_17counting_iteratorIjlEEPS9_SG_NS0_5tupleIJPjSI_NS0_16reverse_iteratorISI_EEEEENSH_IJSG_SG_SG_EEES9_SI_JZNS1_25segmented_radix_sort_implINS0_14default_configELb0EPKsPsPKlPlN2at6native12_GLOBAL__N_18offset_tEEE10hipError_tPvRmT1_PNSt15iterator_traitsIS12_E10value_typeET2_T3_PNS13_IS18_E10value_typeET4_jRbjT5_S1E_jjP12ihipStream_tbEUljE_ZNSN_ISO_Lb0ESQ_SR_ST_SU_SY_EESZ_S10_S11_S12_S16_S17_S18_S1B_S1C_jS1D_jS1E_S1E_jjS1G_bEUljE0_EEESZ_S10_S11_S18_S1C_S1E_T6_T7_T9_mT8_S1G_bDpT10_ENKUlT_T0_E_clISt17integral_constantIbLb1EES1U_EEDaS1P_S1Q_EUlS1P_E_NS1_11comp_targetILNS1_3genE5ELNS1_11target_archE942ELNS1_3gpuE9ELNS1_3repE0EEENS1_30default_config_static_selectorELNS0_4arch9wavefront6targetE0EEEvS12_.kd
    .uniform_work_group_size: 1
    .uses_dynamic_stack: false
    .vgpr_count:     0
    .vgpr_spill_count: 0
    .wavefront_size: 32
    .workgroup_processor_mode: 1
  - .args:
      - .offset:         0
        .size:           184
        .value_kind:     by_value
    .group_segment_fixed_size: 0
    .kernarg_segment_align: 8
    .kernarg_segment_size: 184
    .language:       OpenCL C
    .language_version:
      - 2
      - 0
    .max_flat_workgroup_size: 256
    .name:           _ZN7rocprim17ROCPRIM_400000_NS6detail17trampoline_kernelINS0_13select_configILj256ELj13ELNS0_17block_load_methodE3ELS4_3ELS4_3ELNS0_20block_scan_algorithmE0ELj4294967295EEENS1_25partition_config_selectorILNS1_17partition_subalgoE4EjNS0_10empty_typeEbEEZZNS1_14partition_implILS8_4ELb0ES6_15HIP_vector_typeIjLj2EENS0_17counting_iteratorIjlEEPS9_SG_NS0_5tupleIJPjSI_NS0_16reverse_iteratorISI_EEEEENSH_IJSG_SG_SG_EEES9_SI_JZNS1_25segmented_radix_sort_implINS0_14default_configELb0EPKsPsPKlPlN2at6native12_GLOBAL__N_18offset_tEEE10hipError_tPvRmT1_PNSt15iterator_traitsIS12_E10value_typeET2_T3_PNS13_IS18_E10value_typeET4_jRbjT5_S1E_jjP12ihipStream_tbEUljE_ZNSN_ISO_Lb0ESQ_SR_ST_SU_SY_EESZ_S10_S11_S12_S16_S17_S18_S1B_S1C_jS1D_jS1E_S1E_jjS1G_bEUljE0_EEESZ_S10_S11_S18_S1C_S1E_T6_T7_T9_mT8_S1G_bDpT10_ENKUlT_T0_E_clISt17integral_constantIbLb1EES1U_EEDaS1P_S1Q_EUlS1P_E_NS1_11comp_targetILNS1_3genE4ELNS1_11target_archE910ELNS1_3gpuE8ELNS1_3repE0EEENS1_30default_config_static_selectorELNS0_4arch9wavefront6targetE0EEEvS12_
    .private_segment_fixed_size: 0
    .sgpr_count:     0
    .sgpr_spill_count: 0
    .symbol:         _ZN7rocprim17ROCPRIM_400000_NS6detail17trampoline_kernelINS0_13select_configILj256ELj13ELNS0_17block_load_methodE3ELS4_3ELS4_3ELNS0_20block_scan_algorithmE0ELj4294967295EEENS1_25partition_config_selectorILNS1_17partition_subalgoE4EjNS0_10empty_typeEbEEZZNS1_14partition_implILS8_4ELb0ES6_15HIP_vector_typeIjLj2EENS0_17counting_iteratorIjlEEPS9_SG_NS0_5tupleIJPjSI_NS0_16reverse_iteratorISI_EEEEENSH_IJSG_SG_SG_EEES9_SI_JZNS1_25segmented_radix_sort_implINS0_14default_configELb0EPKsPsPKlPlN2at6native12_GLOBAL__N_18offset_tEEE10hipError_tPvRmT1_PNSt15iterator_traitsIS12_E10value_typeET2_T3_PNS13_IS18_E10value_typeET4_jRbjT5_S1E_jjP12ihipStream_tbEUljE_ZNSN_ISO_Lb0ESQ_SR_ST_SU_SY_EESZ_S10_S11_S12_S16_S17_S18_S1B_S1C_jS1D_jS1E_S1E_jjS1G_bEUljE0_EEESZ_S10_S11_S18_S1C_S1E_T6_T7_T9_mT8_S1G_bDpT10_ENKUlT_T0_E_clISt17integral_constantIbLb1EES1U_EEDaS1P_S1Q_EUlS1P_E_NS1_11comp_targetILNS1_3genE4ELNS1_11target_archE910ELNS1_3gpuE8ELNS1_3repE0EEENS1_30default_config_static_selectorELNS0_4arch9wavefront6targetE0EEEvS12_.kd
    .uniform_work_group_size: 1
    .uses_dynamic_stack: false
    .vgpr_count:     0
    .vgpr_spill_count: 0
    .wavefront_size: 32
    .workgroup_processor_mode: 1
  - .args:
      - .offset:         0
        .size:           184
        .value_kind:     by_value
    .group_segment_fixed_size: 0
    .kernarg_segment_align: 8
    .kernarg_segment_size: 184
    .language:       OpenCL C
    .language_version:
      - 2
      - 0
    .max_flat_workgroup_size: 256
    .name:           _ZN7rocprim17ROCPRIM_400000_NS6detail17trampoline_kernelINS0_13select_configILj256ELj13ELNS0_17block_load_methodE3ELS4_3ELS4_3ELNS0_20block_scan_algorithmE0ELj4294967295EEENS1_25partition_config_selectorILNS1_17partition_subalgoE4EjNS0_10empty_typeEbEEZZNS1_14partition_implILS8_4ELb0ES6_15HIP_vector_typeIjLj2EENS0_17counting_iteratorIjlEEPS9_SG_NS0_5tupleIJPjSI_NS0_16reverse_iteratorISI_EEEEENSH_IJSG_SG_SG_EEES9_SI_JZNS1_25segmented_radix_sort_implINS0_14default_configELb0EPKsPsPKlPlN2at6native12_GLOBAL__N_18offset_tEEE10hipError_tPvRmT1_PNSt15iterator_traitsIS12_E10value_typeET2_T3_PNS13_IS18_E10value_typeET4_jRbjT5_S1E_jjP12ihipStream_tbEUljE_ZNSN_ISO_Lb0ESQ_SR_ST_SU_SY_EESZ_S10_S11_S12_S16_S17_S18_S1B_S1C_jS1D_jS1E_S1E_jjS1G_bEUljE0_EEESZ_S10_S11_S18_S1C_S1E_T6_T7_T9_mT8_S1G_bDpT10_ENKUlT_T0_E_clISt17integral_constantIbLb1EES1U_EEDaS1P_S1Q_EUlS1P_E_NS1_11comp_targetILNS1_3genE3ELNS1_11target_archE908ELNS1_3gpuE7ELNS1_3repE0EEENS1_30default_config_static_selectorELNS0_4arch9wavefront6targetE0EEEvS12_
    .private_segment_fixed_size: 0
    .sgpr_count:     0
    .sgpr_spill_count: 0
    .symbol:         _ZN7rocprim17ROCPRIM_400000_NS6detail17trampoline_kernelINS0_13select_configILj256ELj13ELNS0_17block_load_methodE3ELS4_3ELS4_3ELNS0_20block_scan_algorithmE0ELj4294967295EEENS1_25partition_config_selectorILNS1_17partition_subalgoE4EjNS0_10empty_typeEbEEZZNS1_14partition_implILS8_4ELb0ES6_15HIP_vector_typeIjLj2EENS0_17counting_iteratorIjlEEPS9_SG_NS0_5tupleIJPjSI_NS0_16reverse_iteratorISI_EEEEENSH_IJSG_SG_SG_EEES9_SI_JZNS1_25segmented_radix_sort_implINS0_14default_configELb0EPKsPsPKlPlN2at6native12_GLOBAL__N_18offset_tEEE10hipError_tPvRmT1_PNSt15iterator_traitsIS12_E10value_typeET2_T3_PNS13_IS18_E10value_typeET4_jRbjT5_S1E_jjP12ihipStream_tbEUljE_ZNSN_ISO_Lb0ESQ_SR_ST_SU_SY_EESZ_S10_S11_S12_S16_S17_S18_S1B_S1C_jS1D_jS1E_S1E_jjS1G_bEUljE0_EEESZ_S10_S11_S18_S1C_S1E_T6_T7_T9_mT8_S1G_bDpT10_ENKUlT_T0_E_clISt17integral_constantIbLb1EES1U_EEDaS1P_S1Q_EUlS1P_E_NS1_11comp_targetILNS1_3genE3ELNS1_11target_archE908ELNS1_3gpuE7ELNS1_3repE0EEENS1_30default_config_static_selectorELNS0_4arch9wavefront6targetE0EEEvS12_.kd
    .uniform_work_group_size: 1
    .uses_dynamic_stack: false
    .vgpr_count:     0
    .vgpr_spill_count: 0
    .wavefront_size: 32
    .workgroup_processor_mode: 1
  - .args:
      - .offset:         0
        .size:           184
        .value_kind:     by_value
    .group_segment_fixed_size: 0
    .kernarg_segment_align: 8
    .kernarg_segment_size: 184
    .language:       OpenCL C
    .language_version:
      - 2
      - 0
    .max_flat_workgroup_size: 256
    .name:           _ZN7rocprim17ROCPRIM_400000_NS6detail17trampoline_kernelINS0_13select_configILj256ELj13ELNS0_17block_load_methodE3ELS4_3ELS4_3ELNS0_20block_scan_algorithmE0ELj4294967295EEENS1_25partition_config_selectorILNS1_17partition_subalgoE4EjNS0_10empty_typeEbEEZZNS1_14partition_implILS8_4ELb0ES6_15HIP_vector_typeIjLj2EENS0_17counting_iteratorIjlEEPS9_SG_NS0_5tupleIJPjSI_NS0_16reverse_iteratorISI_EEEEENSH_IJSG_SG_SG_EEES9_SI_JZNS1_25segmented_radix_sort_implINS0_14default_configELb0EPKsPsPKlPlN2at6native12_GLOBAL__N_18offset_tEEE10hipError_tPvRmT1_PNSt15iterator_traitsIS12_E10value_typeET2_T3_PNS13_IS18_E10value_typeET4_jRbjT5_S1E_jjP12ihipStream_tbEUljE_ZNSN_ISO_Lb0ESQ_SR_ST_SU_SY_EESZ_S10_S11_S12_S16_S17_S18_S1B_S1C_jS1D_jS1E_S1E_jjS1G_bEUljE0_EEESZ_S10_S11_S18_S1C_S1E_T6_T7_T9_mT8_S1G_bDpT10_ENKUlT_T0_E_clISt17integral_constantIbLb1EES1U_EEDaS1P_S1Q_EUlS1P_E_NS1_11comp_targetILNS1_3genE2ELNS1_11target_archE906ELNS1_3gpuE6ELNS1_3repE0EEENS1_30default_config_static_selectorELNS0_4arch9wavefront6targetE0EEEvS12_
    .private_segment_fixed_size: 0
    .sgpr_count:     0
    .sgpr_spill_count: 0
    .symbol:         _ZN7rocprim17ROCPRIM_400000_NS6detail17trampoline_kernelINS0_13select_configILj256ELj13ELNS0_17block_load_methodE3ELS4_3ELS4_3ELNS0_20block_scan_algorithmE0ELj4294967295EEENS1_25partition_config_selectorILNS1_17partition_subalgoE4EjNS0_10empty_typeEbEEZZNS1_14partition_implILS8_4ELb0ES6_15HIP_vector_typeIjLj2EENS0_17counting_iteratorIjlEEPS9_SG_NS0_5tupleIJPjSI_NS0_16reverse_iteratorISI_EEEEENSH_IJSG_SG_SG_EEES9_SI_JZNS1_25segmented_radix_sort_implINS0_14default_configELb0EPKsPsPKlPlN2at6native12_GLOBAL__N_18offset_tEEE10hipError_tPvRmT1_PNSt15iterator_traitsIS12_E10value_typeET2_T3_PNS13_IS18_E10value_typeET4_jRbjT5_S1E_jjP12ihipStream_tbEUljE_ZNSN_ISO_Lb0ESQ_SR_ST_SU_SY_EESZ_S10_S11_S12_S16_S17_S18_S1B_S1C_jS1D_jS1E_S1E_jjS1G_bEUljE0_EEESZ_S10_S11_S18_S1C_S1E_T6_T7_T9_mT8_S1G_bDpT10_ENKUlT_T0_E_clISt17integral_constantIbLb1EES1U_EEDaS1P_S1Q_EUlS1P_E_NS1_11comp_targetILNS1_3genE2ELNS1_11target_archE906ELNS1_3gpuE6ELNS1_3repE0EEENS1_30default_config_static_selectorELNS0_4arch9wavefront6targetE0EEEvS12_.kd
    .uniform_work_group_size: 1
    .uses_dynamic_stack: false
    .vgpr_count:     0
    .vgpr_spill_count: 0
    .wavefront_size: 32
    .workgroup_processor_mode: 1
  - .args:
      - .offset:         0
        .size:           184
        .value_kind:     by_value
    .group_segment_fixed_size: 0
    .kernarg_segment_align: 8
    .kernarg_segment_size: 184
    .language:       OpenCL C
    .language_version:
      - 2
      - 0
    .max_flat_workgroup_size: 256
    .name:           _ZN7rocprim17ROCPRIM_400000_NS6detail17trampoline_kernelINS0_13select_configILj256ELj13ELNS0_17block_load_methodE3ELS4_3ELS4_3ELNS0_20block_scan_algorithmE0ELj4294967295EEENS1_25partition_config_selectorILNS1_17partition_subalgoE4EjNS0_10empty_typeEbEEZZNS1_14partition_implILS8_4ELb0ES6_15HIP_vector_typeIjLj2EENS0_17counting_iteratorIjlEEPS9_SG_NS0_5tupleIJPjSI_NS0_16reverse_iteratorISI_EEEEENSH_IJSG_SG_SG_EEES9_SI_JZNS1_25segmented_radix_sort_implINS0_14default_configELb0EPKsPsPKlPlN2at6native12_GLOBAL__N_18offset_tEEE10hipError_tPvRmT1_PNSt15iterator_traitsIS12_E10value_typeET2_T3_PNS13_IS18_E10value_typeET4_jRbjT5_S1E_jjP12ihipStream_tbEUljE_ZNSN_ISO_Lb0ESQ_SR_ST_SU_SY_EESZ_S10_S11_S12_S16_S17_S18_S1B_S1C_jS1D_jS1E_S1E_jjS1G_bEUljE0_EEESZ_S10_S11_S18_S1C_S1E_T6_T7_T9_mT8_S1G_bDpT10_ENKUlT_T0_E_clISt17integral_constantIbLb1EES1U_EEDaS1P_S1Q_EUlS1P_E_NS1_11comp_targetILNS1_3genE10ELNS1_11target_archE1200ELNS1_3gpuE4ELNS1_3repE0EEENS1_30default_config_static_selectorELNS0_4arch9wavefront6targetE0EEEvS12_
    .private_segment_fixed_size: 0
    .sgpr_count:     0
    .sgpr_spill_count: 0
    .symbol:         _ZN7rocprim17ROCPRIM_400000_NS6detail17trampoline_kernelINS0_13select_configILj256ELj13ELNS0_17block_load_methodE3ELS4_3ELS4_3ELNS0_20block_scan_algorithmE0ELj4294967295EEENS1_25partition_config_selectorILNS1_17partition_subalgoE4EjNS0_10empty_typeEbEEZZNS1_14partition_implILS8_4ELb0ES6_15HIP_vector_typeIjLj2EENS0_17counting_iteratorIjlEEPS9_SG_NS0_5tupleIJPjSI_NS0_16reverse_iteratorISI_EEEEENSH_IJSG_SG_SG_EEES9_SI_JZNS1_25segmented_radix_sort_implINS0_14default_configELb0EPKsPsPKlPlN2at6native12_GLOBAL__N_18offset_tEEE10hipError_tPvRmT1_PNSt15iterator_traitsIS12_E10value_typeET2_T3_PNS13_IS18_E10value_typeET4_jRbjT5_S1E_jjP12ihipStream_tbEUljE_ZNSN_ISO_Lb0ESQ_SR_ST_SU_SY_EESZ_S10_S11_S12_S16_S17_S18_S1B_S1C_jS1D_jS1E_S1E_jjS1G_bEUljE0_EEESZ_S10_S11_S18_S1C_S1E_T6_T7_T9_mT8_S1G_bDpT10_ENKUlT_T0_E_clISt17integral_constantIbLb1EES1U_EEDaS1P_S1Q_EUlS1P_E_NS1_11comp_targetILNS1_3genE10ELNS1_11target_archE1200ELNS1_3gpuE4ELNS1_3repE0EEENS1_30default_config_static_selectorELNS0_4arch9wavefront6targetE0EEEvS12_.kd
    .uniform_work_group_size: 1
    .uses_dynamic_stack: false
    .vgpr_count:     0
    .vgpr_spill_count: 0
    .wavefront_size: 32
    .workgroup_processor_mode: 1
  - .args:
      - .offset:         0
        .size:           184
        .value_kind:     by_value
    .group_segment_fixed_size: 0
    .kernarg_segment_align: 8
    .kernarg_segment_size: 184
    .language:       OpenCL C
    .language_version:
      - 2
      - 0
    .max_flat_workgroup_size: 256
    .name:           _ZN7rocprim17ROCPRIM_400000_NS6detail17trampoline_kernelINS0_13select_configILj256ELj13ELNS0_17block_load_methodE3ELS4_3ELS4_3ELNS0_20block_scan_algorithmE0ELj4294967295EEENS1_25partition_config_selectorILNS1_17partition_subalgoE4EjNS0_10empty_typeEbEEZZNS1_14partition_implILS8_4ELb0ES6_15HIP_vector_typeIjLj2EENS0_17counting_iteratorIjlEEPS9_SG_NS0_5tupleIJPjSI_NS0_16reverse_iteratorISI_EEEEENSH_IJSG_SG_SG_EEES9_SI_JZNS1_25segmented_radix_sort_implINS0_14default_configELb0EPKsPsPKlPlN2at6native12_GLOBAL__N_18offset_tEEE10hipError_tPvRmT1_PNSt15iterator_traitsIS12_E10value_typeET2_T3_PNS13_IS18_E10value_typeET4_jRbjT5_S1E_jjP12ihipStream_tbEUljE_ZNSN_ISO_Lb0ESQ_SR_ST_SU_SY_EESZ_S10_S11_S12_S16_S17_S18_S1B_S1C_jS1D_jS1E_S1E_jjS1G_bEUljE0_EEESZ_S10_S11_S18_S1C_S1E_T6_T7_T9_mT8_S1G_bDpT10_ENKUlT_T0_E_clISt17integral_constantIbLb1EES1U_EEDaS1P_S1Q_EUlS1P_E_NS1_11comp_targetILNS1_3genE9ELNS1_11target_archE1100ELNS1_3gpuE3ELNS1_3repE0EEENS1_30default_config_static_selectorELNS0_4arch9wavefront6targetE0EEEvS12_
    .private_segment_fixed_size: 0
    .sgpr_count:     0
    .sgpr_spill_count: 0
    .symbol:         _ZN7rocprim17ROCPRIM_400000_NS6detail17trampoline_kernelINS0_13select_configILj256ELj13ELNS0_17block_load_methodE3ELS4_3ELS4_3ELNS0_20block_scan_algorithmE0ELj4294967295EEENS1_25partition_config_selectorILNS1_17partition_subalgoE4EjNS0_10empty_typeEbEEZZNS1_14partition_implILS8_4ELb0ES6_15HIP_vector_typeIjLj2EENS0_17counting_iteratorIjlEEPS9_SG_NS0_5tupleIJPjSI_NS0_16reverse_iteratorISI_EEEEENSH_IJSG_SG_SG_EEES9_SI_JZNS1_25segmented_radix_sort_implINS0_14default_configELb0EPKsPsPKlPlN2at6native12_GLOBAL__N_18offset_tEEE10hipError_tPvRmT1_PNSt15iterator_traitsIS12_E10value_typeET2_T3_PNS13_IS18_E10value_typeET4_jRbjT5_S1E_jjP12ihipStream_tbEUljE_ZNSN_ISO_Lb0ESQ_SR_ST_SU_SY_EESZ_S10_S11_S12_S16_S17_S18_S1B_S1C_jS1D_jS1E_S1E_jjS1G_bEUljE0_EEESZ_S10_S11_S18_S1C_S1E_T6_T7_T9_mT8_S1G_bDpT10_ENKUlT_T0_E_clISt17integral_constantIbLb1EES1U_EEDaS1P_S1Q_EUlS1P_E_NS1_11comp_targetILNS1_3genE9ELNS1_11target_archE1100ELNS1_3gpuE3ELNS1_3repE0EEENS1_30default_config_static_selectorELNS0_4arch9wavefront6targetE0EEEvS12_.kd
    .uniform_work_group_size: 1
    .uses_dynamic_stack: false
    .vgpr_count:     0
    .vgpr_spill_count: 0
    .wavefront_size: 32
    .workgroup_processor_mode: 1
  - .args:
      - .offset:         0
        .size:           184
        .value_kind:     by_value
    .group_segment_fixed_size: 0
    .kernarg_segment_align: 8
    .kernarg_segment_size: 184
    .language:       OpenCL C
    .language_version:
      - 2
      - 0
    .max_flat_workgroup_size: 256
    .name:           _ZN7rocprim17ROCPRIM_400000_NS6detail17trampoline_kernelINS0_13select_configILj256ELj13ELNS0_17block_load_methodE3ELS4_3ELS4_3ELNS0_20block_scan_algorithmE0ELj4294967295EEENS1_25partition_config_selectorILNS1_17partition_subalgoE4EjNS0_10empty_typeEbEEZZNS1_14partition_implILS8_4ELb0ES6_15HIP_vector_typeIjLj2EENS0_17counting_iteratorIjlEEPS9_SG_NS0_5tupleIJPjSI_NS0_16reverse_iteratorISI_EEEEENSH_IJSG_SG_SG_EEES9_SI_JZNS1_25segmented_radix_sort_implINS0_14default_configELb0EPKsPsPKlPlN2at6native12_GLOBAL__N_18offset_tEEE10hipError_tPvRmT1_PNSt15iterator_traitsIS12_E10value_typeET2_T3_PNS13_IS18_E10value_typeET4_jRbjT5_S1E_jjP12ihipStream_tbEUljE_ZNSN_ISO_Lb0ESQ_SR_ST_SU_SY_EESZ_S10_S11_S12_S16_S17_S18_S1B_S1C_jS1D_jS1E_S1E_jjS1G_bEUljE0_EEESZ_S10_S11_S18_S1C_S1E_T6_T7_T9_mT8_S1G_bDpT10_ENKUlT_T0_E_clISt17integral_constantIbLb1EES1U_EEDaS1P_S1Q_EUlS1P_E_NS1_11comp_targetILNS1_3genE8ELNS1_11target_archE1030ELNS1_3gpuE2ELNS1_3repE0EEENS1_30default_config_static_selectorELNS0_4arch9wavefront6targetE0EEEvS12_
    .private_segment_fixed_size: 0
    .sgpr_count:     0
    .sgpr_spill_count: 0
    .symbol:         _ZN7rocprim17ROCPRIM_400000_NS6detail17trampoline_kernelINS0_13select_configILj256ELj13ELNS0_17block_load_methodE3ELS4_3ELS4_3ELNS0_20block_scan_algorithmE0ELj4294967295EEENS1_25partition_config_selectorILNS1_17partition_subalgoE4EjNS0_10empty_typeEbEEZZNS1_14partition_implILS8_4ELb0ES6_15HIP_vector_typeIjLj2EENS0_17counting_iteratorIjlEEPS9_SG_NS0_5tupleIJPjSI_NS0_16reverse_iteratorISI_EEEEENSH_IJSG_SG_SG_EEES9_SI_JZNS1_25segmented_radix_sort_implINS0_14default_configELb0EPKsPsPKlPlN2at6native12_GLOBAL__N_18offset_tEEE10hipError_tPvRmT1_PNSt15iterator_traitsIS12_E10value_typeET2_T3_PNS13_IS18_E10value_typeET4_jRbjT5_S1E_jjP12ihipStream_tbEUljE_ZNSN_ISO_Lb0ESQ_SR_ST_SU_SY_EESZ_S10_S11_S12_S16_S17_S18_S1B_S1C_jS1D_jS1E_S1E_jjS1G_bEUljE0_EEESZ_S10_S11_S18_S1C_S1E_T6_T7_T9_mT8_S1G_bDpT10_ENKUlT_T0_E_clISt17integral_constantIbLb1EES1U_EEDaS1P_S1Q_EUlS1P_E_NS1_11comp_targetILNS1_3genE8ELNS1_11target_archE1030ELNS1_3gpuE2ELNS1_3repE0EEENS1_30default_config_static_selectorELNS0_4arch9wavefront6targetE0EEEvS12_.kd
    .uniform_work_group_size: 1
    .uses_dynamic_stack: false
    .vgpr_count:     0
    .vgpr_spill_count: 0
    .wavefront_size: 32
    .workgroup_processor_mode: 1
  - .args:
      - .offset:         0
        .size:           176
        .value_kind:     by_value
    .group_segment_fixed_size: 0
    .kernarg_segment_align: 8
    .kernarg_segment_size: 176
    .language:       OpenCL C
    .language_version:
      - 2
      - 0
    .max_flat_workgroup_size: 256
    .name:           _ZN7rocprim17ROCPRIM_400000_NS6detail17trampoline_kernelINS0_13select_configILj256ELj13ELNS0_17block_load_methodE3ELS4_3ELS4_3ELNS0_20block_scan_algorithmE0ELj4294967295EEENS1_25partition_config_selectorILNS1_17partition_subalgoE4EjNS0_10empty_typeEbEEZZNS1_14partition_implILS8_4ELb0ES6_15HIP_vector_typeIjLj2EENS0_17counting_iteratorIjlEEPS9_SG_NS0_5tupleIJPjSI_NS0_16reverse_iteratorISI_EEEEENSH_IJSG_SG_SG_EEES9_SI_JZNS1_25segmented_radix_sort_implINS0_14default_configELb0EPKsPsPKlPlN2at6native12_GLOBAL__N_18offset_tEEE10hipError_tPvRmT1_PNSt15iterator_traitsIS12_E10value_typeET2_T3_PNS13_IS18_E10value_typeET4_jRbjT5_S1E_jjP12ihipStream_tbEUljE_ZNSN_ISO_Lb0ESQ_SR_ST_SU_SY_EESZ_S10_S11_S12_S16_S17_S18_S1B_S1C_jS1D_jS1E_S1E_jjS1G_bEUljE0_EEESZ_S10_S11_S18_S1C_S1E_T6_T7_T9_mT8_S1G_bDpT10_ENKUlT_T0_E_clISt17integral_constantIbLb1EES1T_IbLb0EEEEDaS1P_S1Q_EUlS1P_E_NS1_11comp_targetILNS1_3genE0ELNS1_11target_archE4294967295ELNS1_3gpuE0ELNS1_3repE0EEENS1_30default_config_static_selectorELNS0_4arch9wavefront6targetE0EEEvS12_
    .private_segment_fixed_size: 0
    .sgpr_count:     0
    .sgpr_spill_count: 0
    .symbol:         _ZN7rocprim17ROCPRIM_400000_NS6detail17trampoline_kernelINS0_13select_configILj256ELj13ELNS0_17block_load_methodE3ELS4_3ELS4_3ELNS0_20block_scan_algorithmE0ELj4294967295EEENS1_25partition_config_selectorILNS1_17partition_subalgoE4EjNS0_10empty_typeEbEEZZNS1_14partition_implILS8_4ELb0ES6_15HIP_vector_typeIjLj2EENS0_17counting_iteratorIjlEEPS9_SG_NS0_5tupleIJPjSI_NS0_16reverse_iteratorISI_EEEEENSH_IJSG_SG_SG_EEES9_SI_JZNS1_25segmented_radix_sort_implINS0_14default_configELb0EPKsPsPKlPlN2at6native12_GLOBAL__N_18offset_tEEE10hipError_tPvRmT1_PNSt15iterator_traitsIS12_E10value_typeET2_T3_PNS13_IS18_E10value_typeET4_jRbjT5_S1E_jjP12ihipStream_tbEUljE_ZNSN_ISO_Lb0ESQ_SR_ST_SU_SY_EESZ_S10_S11_S12_S16_S17_S18_S1B_S1C_jS1D_jS1E_S1E_jjS1G_bEUljE0_EEESZ_S10_S11_S18_S1C_S1E_T6_T7_T9_mT8_S1G_bDpT10_ENKUlT_T0_E_clISt17integral_constantIbLb1EES1T_IbLb0EEEEDaS1P_S1Q_EUlS1P_E_NS1_11comp_targetILNS1_3genE0ELNS1_11target_archE4294967295ELNS1_3gpuE0ELNS1_3repE0EEENS1_30default_config_static_selectorELNS0_4arch9wavefront6targetE0EEEvS12_.kd
    .uniform_work_group_size: 1
    .uses_dynamic_stack: false
    .vgpr_count:     0
    .vgpr_spill_count: 0
    .wavefront_size: 32
    .workgroup_processor_mode: 1
  - .args:
      - .offset:         0
        .size:           176
        .value_kind:     by_value
    .group_segment_fixed_size: 0
    .kernarg_segment_align: 8
    .kernarg_segment_size: 176
    .language:       OpenCL C
    .language_version:
      - 2
      - 0
    .max_flat_workgroup_size: 256
    .name:           _ZN7rocprim17ROCPRIM_400000_NS6detail17trampoline_kernelINS0_13select_configILj256ELj13ELNS0_17block_load_methodE3ELS4_3ELS4_3ELNS0_20block_scan_algorithmE0ELj4294967295EEENS1_25partition_config_selectorILNS1_17partition_subalgoE4EjNS0_10empty_typeEbEEZZNS1_14partition_implILS8_4ELb0ES6_15HIP_vector_typeIjLj2EENS0_17counting_iteratorIjlEEPS9_SG_NS0_5tupleIJPjSI_NS0_16reverse_iteratorISI_EEEEENSH_IJSG_SG_SG_EEES9_SI_JZNS1_25segmented_radix_sort_implINS0_14default_configELb0EPKsPsPKlPlN2at6native12_GLOBAL__N_18offset_tEEE10hipError_tPvRmT1_PNSt15iterator_traitsIS12_E10value_typeET2_T3_PNS13_IS18_E10value_typeET4_jRbjT5_S1E_jjP12ihipStream_tbEUljE_ZNSN_ISO_Lb0ESQ_SR_ST_SU_SY_EESZ_S10_S11_S12_S16_S17_S18_S1B_S1C_jS1D_jS1E_S1E_jjS1G_bEUljE0_EEESZ_S10_S11_S18_S1C_S1E_T6_T7_T9_mT8_S1G_bDpT10_ENKUlT_T0_E_clISt17integral_constantIbLb1EES1T_IbLb0EEEEDaS1P_S1Q_EUlS1P_E_NS1_11comp_targetILNS1_3genE5ELNS1_11target_archE942ELNS1_3gpuE9ELNS1_3repE0EEENS1_30default_config_static_selectorELNS0_4arch9wavefront6targetE0EEEvS12_
    .private_segment_fixed_size: 0
    .sgpr_count:     0
    .sgpr_spill_count: 0
    .symbol:         _ZN7rocprim17ROCPRIM_400000_NS6detail17trampoline_kernelINS0_13select_configILj256ELj13ELNS0_17block_load_methodE3ELS4_3ELS4_3ELNS0_20block_scan_algorithmE0ELj4294967295EEENS1_25partition_config_selectorILNS1_17partition_subalgoE4EjNS0_10empty_typeEbEEZZNS1_14partition_implILS8_4ELb0ES6_15HIP_vector_typeIjLj2EENS0_17counting_iteratorIjlEEPS9_SG_NS0_5tupleIJPjSI_NS0_16reverse_iteratorISI_EEEEENSH_IJSG_SG_SG_EEES9_SI_JZNS1_25segmented_radix_sort_implINS0_14default_configELb0EPKsPsPKlPlN2at6native12_GLOBAL__N_18offset_tEEE10hipError_tPvRmT1_PNSt15iterator_traitsIS12_E10value_typeET2_T3_PNS13_IS18_E10value_typeET4_jRbjT5_S1E_jjP12ihipStream_tbEUljE_ZNSN_ISO_Lb0ESQ_SR_ST_SU_SY_EESZ_S10_S11_S12_S16_S17_S18_S1B_S1C_jS1D_jS1E_S1E_jjS1G_bEUljE0_EEESZ_S10_S11_S18_S1C_S1E_T6_T7_T9_mT8_S1G_bDpT10_ENKUlT_T0_E_clISt17integral_constantIbLb1EES1T_IbLb0EEEEDaS1P_S1Q_EUlS1P_E_NS1_11comp_targetILNS1_3genE5ELNS1_11target_archE942ELNS1_3gpuE9ELNS1_3repE0EEENS1_30default_config_static_selectorELNS0_4arch9wavefront6targetE0EEEvS12_.kd
    .uniform_work_group_size: 1
    .uses_dynamic_stack: false
    .vgpr_count:     0
    .vgpr_spill_count: 0
    .wavefront_size: 32
    .workgroup_processor_mode: 1
  - .args:
      - .offset:         0
        .size:           176
        .value_kind:     by_value
    .group_segment_fixed_size: 0
    .kernarg_segment_align: 8
    .kernarg_segment_size: 176
    .language:       OpenCL C
    .language_version:
      - 2
      - 0
    .max_flat_workgroup_size: 256
    .name:           _ZN7rocprim17ROCPRIM_400000_NS6detail17trampoline_kernelINS0_13select_configILj256ELj13ELNS0_17block_load_methodE3ELS4_3ELS4_3ELNS0_20block_scan_algorithmE0ELj4294967295EEENS1_25partition_config_selectorILNS1_17partition_subalgoE4EjNS0_10empty_typeEbEEZZNS1_14partition_implILS8_4ELb0ES6_15HIP_vector_typeIjLj2EENS0_17counting_iteratorIjlEEPS9_SG_NS0_5tupleIJPjSI_NS0_16reverse_iteratorISI_EEEEENSH_IJSG_SG_SG_EEES9_SI_JZNS1_25segmented_radix_sort_implINS0_14default_configELb0EPKsPsPKlPlN2at6native12_GLOBAL__N_18offset_tEEE10hipError_tPvRmT1_PNSt15iterator_traitsIS12_E10value_typeET2_T3_PNS13_IS18_E10value_typeET4_jRbjT5_S1E_jjP12ihipStream_tbEUljE_ZNSN_ISO_Lb0ESQ_SR_ST_SU_SY_EESZ_S10_S11_S12_S16_S17_S18_S1B_S1C_jS1D_jS1E_S1E_jjS1G_bEUljE0_EEESZ_S10_S11_S18_S1C_S1E_T6_T7_T9_mT8_S1G_bDpT10_ENKUlT_T0_E_clISt17integral_constantIbLb1EES1T_IbLb0EEEEDaS1P_S1Q_EUlS1P_E_NS1_11comp_targetILNS1_3genE4ELNS1_11target_archE910ELNS1_3gpuE8ELNS1_3repE0EEENS1_30default_config_static_selectorELNS0_4arch9wavefront6targetE0EEEvS12_
    .private_segment_fixed_size: 0
    .sgpr_count:     0
    .sgpr_spill_count: 0
    .symbol:         _ZN7rocprim17ROCPRIM_400000_NS6detail17trampoline_kernelINS0_13select_configILj256ELj13ELNS0_17block_load_methodE3ELS4_3ELS4_3ELNS0_20block_scan_algorithmE0ELj4294967295EEENS1_25partition_config_selectorILNS1_17partition_subalgoE4EjNS0_10empty_typeEbEEZZNS1_14partition_implILS8_4ELb0ES6_15HIP_vector_typeIjLj2EENS0_17counting_iteratorIjlEEPS9_SG_NS0_5tupleIJPjSI_NS0_16reverse_iteratorISI_EEEEENSH_IJSG_SG_SG_EEES9_SI_JZNS1_25segmented_radix_sort_implINS0_14default_configELb0EPKsPsPKlPlN2at6native12_GLOBAL__N_18offset_tEEE10hipError_tPvRmT1_PNSt15iterator_traitsIS12_E10value_typeET2_T3_PNS13_IS18_E10value_typeET4_jRbjT5_S1E_jjP12ihipStream_tbEUljE_ZNSN_ISO_Lb0ESQ_SR_ST_SU_SY_EESZ_S10_S11_S12_S16_S17_S18_S1B_S1C_jS1D_jS1E_S1E_jjS1G_bEUljE0_EEESZ_S10_S11_S18_S1C_S1E_T6_T7_T9_mT8_S1G_bDpT10_ENKUlT_T0_E_clISt17integral_constantIbLb1EES1T_IbLb0EEEEDaS1P_S1Q_EUlS1P_E_NS1_11comp_targetILNS1_3genE4ELNS1_11target_archE910ELNS1_3gpuE8ELNS1_3repE0EEENS1_30default_config_static_selectorELNS0_4arch9wavefront6targetE0EEEvS12_.kd
    .uniform_work_group_size: 1
    .uses_dynamic_stack: false
    .vgpr_count:     0
    .vgpr_spill_count: 0
    .wavefront_size: 32
    .workgroup_processor_mode: 1
  - .args:
      - .offset:         0
        .size:           176
        .value_kind:     by_value
    .group_segment_fixed_size: 0
    .kernarg_segment_align: 8
    .kernarg_segment_size: 176
    .language:       OpenCL C
    .language_version:
      - 2
      - 0
    .max_flat_workgroup_size: 256
    .name:           _ZN7rocprim17ROCPRIM_400000_NS6detail17trampoline_kernelINS0_13select_configILj256ELj13ELNS0_17block_load_methodE3ELS4_3ELS4_3ELNS0_20block_scan_algorithmE0ELj4294967295EEENS1_25partition_config_selectorILNS1_17partition_subalgoE4EjNS0_10empty_typeEbEEZZNS1_14partition_implILS8_4ELb0ES6_15HIP_vector_typeIjLj2EENS0_17counting_iteratorIjlEEPS9_SG_NS0_5tupleIJPjSI_NS0_16reverse_iteratorISI_EEEEENSH_IJSG_SG_SG_EEES9_SI_JZNS1_25segmented_radix_sort_implINS0_14default_configELb0EPKsPsPKlPlN2at6native12_GLOBAL__N_18offset_tEEE10hipError_tPvRmT1_PNSt15iterator_traitsIS12_E10value_typeET2_T3_PNS13_IS18_E10value_typeET4_jRbjT5_S1E_jjP12ihipStream_tbEUljE_ZNSN_ISO_Lb0ESQ_SR_ST_SU_SY_EESZ_S10_S11_S12_S16_S17_S18_S1B_S1C_jS1D_jS1E_S1E_jjS1G_bEUljE0_EEESZ_S10_S11_S18_S1C_S1E_T6_T7_T9_mT8_S1G_bDpT10_ENKUlT_T0_E_clISt17integral_constantIbLb1EES1T_IbLb0EEEEDaS1P_S1Q_EUlS1P_E_NS1_11comp_targetILNS1_3genE3ELNS1_11target_archE908ELNS1_3gpuE7ELNS1_3repE0EEENS1_30default_config_static_selectorELNS0_4arch9wavefront6targetE0EEEvS12_
    .private_segment_fixed_size: 0
    .sgpr_count:     0
    .sgpr_spill_count: 0
    .symbol:         _ZN7rocprim17ROCPRIM_400000_NS6detail17trampoline_kernelINS0_13select_configILj256ELj13ELNS0_17block_load_methodE3ELS4_3ELS4_3ELNS0_20block_scan_algorithmE0ELj4294967295EEENS1_25partition_config_selectorILNS1_17partition_subalgoE4EjNS0_10empty_typeEbEEZZNS1_14partition_implILS8_4ELb0ES6_15HIP_vector_typeIjLj2EENS0_17counting_iteratorIjlEEPS9_SG_NS0_5tupleIJPjSI_NS0_16reverse_iteratorISI_EEEEENSH_IJSG_SG_SG_EEES9_SI_JZNS1_25segmented_radix_sort_implINS0_14default_configELb0EPKsPsPKlPlN2at6native12_GLOBAL__N_18offset_tEEE10hipError_tPvRmT1_PNSt15iterator_traitsIS12_E10value_typeET2_T3_PNS13_IS18_E10value_typeET4_jRbjT5_S1E_jjP12ihipStream_tbEUljE_ZNSN_ISO_Lb0ESQ_SR_ST_SU_SY_EESZ_S10_S11_S12_S16_S17_S18_S1B_S1C_jS1D_jS1E_S1E_jjS1G_bEUljE0_EEESZ_S10_S11_S18_S1C_S1E_T6_T7_T9_mT8_S1G_bDpT10_ENKUlT_T0_E_clISt17integral_constantIbLb1EES1T_IbLb0EEEEDaS1P_S1Q_EUlS1P_E_NS1_11comp_targetILNS1_3genE3ELNS1_11target_archE908ELNS1_3gpuE7ELNS1_3repE0EEENS1_30default_config_static_selectorELNS0_4arch9wavefront6targetE0EEEvS12_.kd
    .uniform_work_group_size: 1
    .uses_dynamic_stack: false
    .vgpr_count:     0
    .vgpr_spill_count: 0
    .wavefront_size: 32
    .workgroup_processor_mode: 1
  - .args:
      - .offset:         0
        .size:           176
        .value_kind:     by_value
    .group_segment_fixed_size: 0
    .kernarg_segment_align: 8
    .kernarg_segment_size: 176
    .language:       OpenCL C
    .language_version:
      - 2
      - 0
    .max_flat_workgroup_size: 256
    .name:           _ZN7rocprim17ROCPRIM_400000_NS6detail17trampoline_kernelINS0_13select_configILj256ELj13ELNS0_17block_load_methodE3ELS4_3ELS4_3ELNS0_20block_scan_algorithmE0ELj4294967295EEENS1_25partition_config_selectorILNS1_17partition_subalgoE4EjNS0_10empty_typeEbEEZZNS1_14partition_implILS8_4ELb0ES6_15HIP_vector_typeIjLj2EENS0_17counting_iteratorIjlEEPS9_SG_NS0_5tupleIJPjSI_NS0_16reverse_iteratorISI_EEEEENSH_IJSG_SG_SG_EEES9_SI_JZNS1_25segmented_radix_sort_implINS0_14default_configELb0EPKsPsPKlPlN2at6native12_GLOBAL__N_18offset_tEEE10hipError_tPvRmT1_PNSt15iterator_traitsIS12_E10value_typeET2_T3_PNS13_IS18_E10value_typeET4_jRbjT5_S1E_jjP12ihipStream_tbEUljE_ZNSN_ISO_Lb0ESQ_SR_ST_SU_SY_EESZ_S10_S11_S12_S16_S17_S18_S1B_S1C_jS1D_jS1E_S1E_jjS1G_bEUljE0_EEESZ_S10_S11_S18_S1C_S1E_T6_T7_T9_mT8_S1G_bDpT10_ENKUlT_T0_E_clISt17integral_constantIbLb1EES1T_IbLb0EEEEDaS1P_S1Q_EUlS1P_E_NS1_11comp_targetILNS1_3genE2ELNS1_11target_archE906ELNS1_3gpuE6ELNS1_3repE0EEENS1_30default_config_static_selectorELNS0_4arch9wavefront6targetE0EEEvS12_
    .private_segment_fixed_size: 0
    .sgpr_count:     0
    .sgpr_spill_count: 0
    .symbol:         _ZN7rocprim17ROCPRIM_400000_NS6detail17trampoline_kernelINS0_13select_configILj256ELj13ELNS0_17block_load_methodE3ELS4_3ELS4_3ELNS0_20block_scan_algorithmE0ELj4294967295EEENS1_25partition_config_selectorILNS1_17partition_subalgoE4EjNS0_10empty_typeEbEEZZNS1_14partition_implILS8_4ELb0ES6_15HIP_vector_typeIjLj2EENS0_17counting_iteratorIjlEEPS9_SG_NS0_5tupleIJPjSI_NS0_16reverse_iteratorISI_EEEEENSH_IJSG_SG_SG_EEES9_SI_JZNS1_25segmented_radix_sort_implINS0_14default_configELb0EPKsPsPKlPlN2at6native12_GLOBAL__N_18offset_tEEE10hipError_tPvRmT1_PNSt15iterator_traitsIS12_E10value_typeET2_T3_PNS13_IS18_E10value_typeET4_jRbjT5_S1E_jjP12ihipStream_tbEUljE_ZNSN_ISO_Lb0ESQ_SR_ST_SU_SY_EESZ_S10_S11_S12_S16_S17_S18_S1B_S1C_jS1D_jS1E_S1E_jjS1G_bEUljE0_EEESZ_S10_S11_S18_S1C_S1E_T6_T7_T9_mT8_S1G_bDpT10_ENKUlT_T0_E_clISt17integral_constantIbLb1EES1T_IbLb0EEEEDaS1P_S1Q_EUlS1P_E_NS1_11comp_targetILNS1_3genE2ELNS1_11target_archE906ELNS1_3gpuE6ELNS1_3repE0EEENS1_30default_config_static_selectorELNS0_4arch9wavefront6targetE0EEEvS12_.kd
    .uniform_work_group_size: 1
    .uses_dynamic_stack: false
    .vgpr_count:     0
    .vgpr_spill_count: 0
    .wavefront_size: 32
    .workgroup_processor_mode: 1
  - .args:
      - .offset:         0
        .size:           176
        .value_kind:     by_value
    .group_segment_fixed_size: 0
    .kernarg_segment_align: 8
    .kernarg_segment_size: 176
    .language:       OpenCL C
    .language_version:
      - 2
      - 0
    .max_flat_workgroup_size: 256
    .name:           _ZN7rocprim17ROCPRIM_400000_NS6detail17trampoline_kernelINS0_13select_configILj256ELj13ELNS0_17block_load_methodE3ELS4_3ELS4_3ELNS0_20block_scan_algorithmE0ELj4294967295EEENS1_25partition_config_selectorILNS1_17partition_subalgoE4EjNS0_10empty_typeEbEEZZNS1_14partition_implILS8_4ELb0ES6_15HIP_vector_typeIjLj2EENS0_17counting_iteratorIjlEEPS9_SG_NS0_5tupleIJPjSI_NS0_16reverse_iteratorISI_EEEEENSH_IJSG_SG_SG_EEES9_SI_JZNS1_25segmented_radix_sort_implINS0_14default_configELb0EPKsPsPKlPlN2at6native12_GLOBAL__N_18offset_tEEE10hipError_tPvRmT1_PNSt15iterator_traitsIS12_E10value_typeET2_T3_PNS13_IS18_E10value_typeET4_jRbjT5_S1E_jjP12ihipStream_tbEUljE_ZNSN_ISO_Lb0ESQ_SR_ST_SU_SY_EESZ_S10_S11_S12_S16_S17_S18_S1B_S1C_jS1D_jS1E_S1E_jjS1G_bEUljE0_EEESZ_S10_S11_S18_S1C_S1E_T6_T7_T9_mT8_S1G_bDpT10_ENKUlT_T0_E_clISt17integral_constantIbLb1EES1T_IbLb0EEEEDaS1P_S1Q_EUlS1P_E_NS1_11comp_targetILNS1_3genE10ELNS1_11target_archE1200ELNS1_3gpuE4ELNS1_3repE0EEENS1_30default_config_static_selectorELNS0_4arch9wavefront6targetE0EEEvS12_
    .private_segment_fixed_size: 0
    .sgpr_count:     0
    .sgpr_spill_count: 0
    .symbol:         _ZN7rocprim17ROCPRIM_400000_NS6detail17trampoline_kernelINS0_13select_configILj256ELj13ELNS0_17block_load_methodE3ELS4_3ELS4_3ELNS0_20block_scan_algorithmE0ELj4294967295EEENS1_25partition_config_selectorILNS1_17partition_subalgoE4EjNS0_10empty_typeEbEEZZNS1_14partition_implILS8_4ELb0ES6_15HIP_vector_typeIjLj2EENS0_17counting_iteratorIjlEEPS9_SG_NS0_5tupleIJPjSI_NS0_16reverse_iteratorISI_EEEEENSH_IJSG_SG_SG_EEES9_SI_JZNS1_25segmented_radix_sort_implINS0_14default_configELb0EPKsPsPKlPlN2at6native12_GLOBAL__N_18offset_tEEE10hipError_tPvRmT1_PNSt15iterator_traitsIS12_E10value_typeET2_T3_PNS13_IS18_E10value_typeET4_jRbjT5_S1E_jjP12ihipStream_tbEUljE_ZNSN_ISO_Lb0ESQ_SR_ST_SU_SY_EESZ_S10_S11_S12_S16_S17_S18_S1B_S1C_jS1D_jS1E_S1E_jjS1G_bEUljE0_EEESZ_S10_S11_S18_S1C_S1E_T6_T7_T9_mT8_S1G_bDpT10_ENKUlT_T0_E_clISt17integral_constantIbLb1EES1T_IbLb0EEEEDaS1P_S1Q_EUlS1P_E_NS1_11comp_targetILNS1_3genE10ELNS1_11target_archE1200ELNS1_3gpuE4ELNS1_3repE0EEENS1_30default_config_static_selectorELNS0_4arch9wavefront6targetE0EEEvS12_.kd
    .uniform_work_group_size: 1
    .uses_dynamic_stack: false
    .vgpr_count:     0
    .vgpr_spill_count: 0
    .wavefront_size: 32
    .workgroup_processor_mode: 1
  - .args:
      - .offset:         0
        .size:           176
        .value_kind:     by_value
    .group_segment_fixed_size: 0
    .kernarg_segment_align: 8
    .kernarg_segment_size: 176
    .language:       OpenCL C
    .language_version:
      - 2
      - 0
    .max_flat_workgroup_size: 256
    .name:           _ZN7rocprim17ROCPRIM_400000_NS6detail17trampoline_kernelINS0_13select_configILj256ELj13ELNS0_17block_load_methodE3ELS4_3ELS4_3ELNS0_20block_scan_algorithmE0ELj4294967295EEENS1_25partition_config_selectorILNS1_17partition_subalgoE4EjNS0_10empty_typeEbEEZZNS1_14partition_implILS8_4ELb0ES6_15HIP_vector_typeIjLj2EENS0_17counting_iteratorIjlEEPS9_SG_NS0_5tupleIJPjSI_NS0_16reverse_iteratorISI_EEEEENSH_IJSG_SG_SG_EEES9_SI_JZNS1_25segmented_radix_sort_implINS0_14default_configELb0EPKsPsPKlPlN2at6native12_GLOBAL__N_18offset_tEEE10hipError_tPvRmT1_PNSt15iterator_traitsIS12_E10value_typeET2_T3_PNS13_IS18_E10value_typeET4_jRbjT5_S1E_jjP12ihipStream_tbEUljE_ZNSN_ISO_Lb0ESQ_SR_ST_SU_SY_EESZ_S10_S11_S12_S16_S17_S18_S1B_S1C_jS1D_jS1E_S1E_jjS1G_bEUljE0_EEESZ_S10_S11_S18_S1C_S1E_T6_T7_T9_mT8_S1G_bDpT10_ENKUlT_T0_E_clISt17integral_constantIbLb1EES1T_IbLb0EEEEDaS1P_S1Q_EUlS1P_E_NS1_11comp_targetILNS1_3genE9ELNS1_11target_archE1100ELNS1_3gpuE3ELNS1_3repE0EEENS1_30default_config_static_selectorELNS0_4arch9wavefront6targetE0EEEvS12_
    .private_segment_fixed_size: 0
    .sgpr_count:     0
    .sgpr_spill_count: 0
    .symbol:         _ZN7rocprim17ROCPRIM_400000_NS6detail17trampoline_kernelINS0_13select_configILj256ELj13ELNS0_17block_load_methodE3ELS4_3ELS4_3ELNS0_20block_scan_algorithmE0ELj4294967295EEENS1_25partition_config_selectorILNS1_17partition_subalgoE4EjNS0_10empty_typeEbEEZZNS1_14partition_implILS8_4ELb0ES6_15HIP_vector_typeIjLj2EENS0_17counting_iteratorIjlEEPS9_SG_NS0_5tupleIJPjSI_NS0_16reverse_iteratorISI_EEEEENSH_IJSG_SG_SG_EEES9_SI_JZNS1_25segmented_radix_sort_implINS0_14default_configELb0EPKsPsPKlPlN2at6native12_GLOBAL__N_18offset_tEEE10hipError_tPvRmT1_PNSt15iterator_traitsIS12_E10value_typeET2_T3_PNS13_IS18_E10value_typeET4_jRbjT5_S1E_jjP12ihipStream_tbEUljE_ZNSN_ISO_Lb0ESQ_SR_ST_SU_SY_EESZ_S10_S11_S12_S16_S17_S18_S1B_S1C_jS1D_jS1E_S1E_jjS1G_bEUljE0_EEESZ_S10_S11_S18_S1C_S1E_T6_T7_T9_mT8_S1G_bDpT10_ENKUlT_T0_E_clISt17integral_constantIbLb1EES1T_IbLb0EEEEDaS1P_S1Q_EUlS1P_E_NS1_11comp_targetILNS1_3genE9ELNS1_11target_archE1100ELNS1_3gpuE3ELNS1_3repE0EEENS1_30default_config_static_selectorELNS0_4arch9wavefront6targetE0EEEvS12_.kd
    .uniform_work_group_size: 1
    .uses_dynamic_stack: false
    .vgpr_count:     0
    .vgpr_spill_count: 0
    .wavefront_size: 32
    .workgroup_processor_mode: 1
  - .args:
      - .offset:         0
        .size:           176
        .value_kind:     by_value
    .group_segment_fixed_size: 0
    .kernarg_segment_align: 8
    .kernarg_segment_size: 176
    .language:       OpenCL C
    .language_version:
      - 2
      - 0
    .max_flat_workgroup_size: 256
    .name:           _ZN7rocprim17ROCPRIM_400000_NS6detail17trampoline_kernelINS0_13select_configILj256ELj13ELNS0_17block_load_methodE3ELS4_3ELS4_3ELNS0_20block_scan_algorithmE0ELj4294967295EEENS1_25partition_config_selectorILNS1_17partition_subalgoE4EjNS0_10empty_typeEbEEZZNS1_14partition_implILS8_4ELb0ES6_15HIP_vector_typeIjLj2EENS0_17counting_iteratorIjlEEPS9_SG_NS0_5tupleIJPjSI_NS0_16reverse_iteratorISI_EEEEENSH_IJSG_SG_SG_EEES9_SI_JZNS1_25segmented_radix_sort_implINS0_14default_configELb0EPKsPsPKlPlN2at6native12_GLOBAL__N_18offset_tEEE10hipError_tPvRmT1_PNSt15iterator_traitsIS12_E10value_typeET2_T3_PNS13_IS18_E10value_typeET4_jRbjT5_S1E_jjP12ihipStream_tbEUljE_ZNSN_ISO_Lb0ESQ_SR_ST_SU_SY_EESZ_S10_S11_S12_S16_S17_S18_S1B_S1C_jS1D_jS1E_S1E_jjS1G_bEUljE0_EEESZ_S10_S11_S18_S1C_S1E_T6_T7_T9_mT8_S1G_bDpT10_ENKUlT_T0_E_clISt17integral_constantIbLb1EES1T_IbLb0EEEEDaS1P_S1Q_EUlS1P_E_NS1_11comp_targetILNS1_3genE8ELNS1_11target_archE1030ELNS1_3gpuE2ELNS1_3repE0EEENS1_30default_config_static_selectorELNS0_4arch9wavefront6targetE0EEEvS12_
    .private_segment_fixed_size: 0
    .sgpr_count:     0
    .sgpr_spill_count: 0
    .symbol:         _ZN7rocprim17ROCPRIM_400000_NS6detail17trampoline_kernelINS0_13select_configILj256ELj13ELNS0_17block_load_methodE3ELS4_3ELS4_3ELNS0_20block_scan_algorithmE0ELj4294967295EEENS1_25partition_config_selectorILNS1_17partition_subalgoE4EjNS0_10empty_typeEbEEZZNS1_14partition_implILS8_4ELb0ES6_15HIP_vector_typeIjLj2EENS0_17counting_iteratorIjlEEPS9_SG_NS0_5tupleIJPjSI_NS0_16reverse_iteratorISI_EEEEENSH_IJSG_SG_SG_EEES9_SI_JZNS1_25segmented_radix_sort_implINS0_14default_configELb0EPKsPsPKlPlN2at6native12_GLOBAL__N_18offset_tEEE10hipError_tPvRmT1_PNSt15iterator_traitsIS12_E10value_typeET2_T3_PNS13_IS18_E10value_typeET4_jRbjT5_S1E_jjP12ihipStream_tbEUljE_ZNSN_ISO_Lb0ESQ_SR_ST_SU_SY_EESZ_S10_S11_S12_S16_S17_S18_S1B_S1C_jS1D_jS1E_S1E_jjS1G_bEUljE0_EEESZ_S10_S11_S18_S1C_S1E_T6_T7_T9_mT8_S1G_bDpT10_ENKUlT_T0_E_clISt17integral_constantIbLb1EES1T_IbLb0EEEEDaS1P_S1Q_EUlS1P_E_NS1_11comp_targetILNS1_3genE8ELNS1_11target_archE1030ELNS1_3gpuE2ELNS1_3repE0EEENS1_30default_config_static_selectorELNS0_4arch9wavefront6targetE0EEEvS12_.kd
    .uniform_work_group_size: 1
    .uses_dynamic_stack: false
    .vgpr_count:     0
    .vgpr_spill_count: 0
    .wavefront_size: 32
    .workgroup_processor_mode: 1
  - .args:
      - .offset:         0
        .size:           184
        .value_kind:     by_value
    .group_segment_fixed_size: 0
    .kernarg_segment_align: 8
    .kernarg_segment_size: 184
    .language:       OpenCL C
    .language_version:
      - 2
      - 0
    .max_flat_workgroup_size: 256
    .name:           _ZN7rocprim17ROCPRIM_400000_NS6detail17trampoline_kernelINS0_13select_configILj256ELj13ELNS0_17block_load_methodE3ELS4_3ELS4_3ELNS0_20block_scan_algorithmE0ELj4294967295EEENS1_25partition_config_selectorILNS1_17partition_subalgoE4EjNS0_10empty_typeEbEEZZNS1_14partition_implILS8_4ELb0ES6_15HIP_vector_typeIjLj2EENS0_17counting_iteratorIjlEEPS9_SG_NS0_5tupleIJPjSI_NS0_16reverse_iteratorISI_EEEEENSH_IJSG_SG_SG_EEES9_SI_JZNS1_25segmented_radix_sort_implINS0_14default_configELb0EPKsPsPKlPlN2at6native12_GLOBAL__N_18offset_tEEE10hipError_tPvRmT1_PNSt15iterator_traitsIS12_E10value_typeET2_T3_PNS13_IS18_E10value_typeET4_jRbjT5_S1E_jjP12ihipStream_tbEUljE_ZNSN_ISO_Lb0ESQ_SR_ST_SU_SY_EESZ_S10_S11_S12_S16_S17_S18_S1B_S1C_jS1D_jS1E_S1E_jjS1G_bEUljE0_EEESZ_S10_S11_S18_S1C_S1E_T6_T7_T9_mT8_S1G_bDpT10_ENKUlT_T0_E_clISt17integral_constantIbLb0EES1T_IbLb1EEEEDaS1P_S1Q_EUlS1P_E_NS1_11comp_targetILNS1_3genE0ELNS1_11target_archE4294967295ELNS1_3gpuE0ELNS1_3repE0EEENS1_30default_config_static_selectorELNS0_4arch9wavefront6targetE0EEEvS12_
    .private_segment_fixed_size: 0
    .sgpr_count:     0
    .sgpr_spill_count: 0
    .symbol:         _ZN7rocprim17ROCPRIM_400000_NS6detail17trampoline_kernelINS0_13select_configILj256ELj13ELNS0_17block_load_methodE3ELS4_3ELS4_3ELNS0_20block_scan_algorithmE0ELj4294967295EEENS1_25partition_config_selectorILNS1_17partition_subalgoE4EjNS0_10empty_typeEbEEZZNS1_14partition_implILS8_4ELb0ES6_15HIP_vector_typeIjLj2EENS0_17counting_iteratorIjlEEPS9_SG_NS0_5tupleIJPjSI_NS0_16reverse_iteratorISI_EEEEENSH_IJSG_SG_SG_EEES9_SI_JZNS1_25segmented_radix_sort_implINS0_14default_configELb0EPKsPsPKlPlN2at6native12_GLOBAL__N_18offset_tEEE10hipError_tPvRmT1_PNSt15iterator_traitsIS12_E10value_typeET2_T3_PNS13_IS18_E10value_typeET4_jRbjT5_S1E_jjP12ihipStream_tbEUljE_ZNSN_ISO_Lb0ESQ_SR_ST_SU_SY_EESZ_S10_S11_S12_S16_S17_S18_S1B_S1C_jS1D_jS1E_S1E_jjS1G_bEUljE0_EEESZ_S10_S11_S18_S1C_S1E_T6_T7_T9_mT8_S1G_bDpT10_ENKUlT_T0_E_clISt17integral_constantIbLb0EES1T_IbLb1EEEEDaS1P_S1Q_EUlS1P_E_NS1_11comp_targetILNS1_3genE0ELNS1_11target_archE4294967295ELNS1_3gpuE0ELNS1_3repE0EEENS1_30default_config_static_selectorELNS0_4arch9wavefront6targetE0EEEvS12_.kd
    .uniform_work_group_size: 1
    .uses_dynamic_stack: false
    .vgpr_count:     0
    .vgpr_spill_count: 0
    .wavefront_size: 32
    .workgroup_processor_mode: 1
  - .args:
      - .offset:         0
        .size:           184
        .value_kind:     by_value
    .group_segment_fixed_size: 0
    .kernarg_segment_align: 8
    .kernarg_segment_size: 184
    .language:       OpenCL C
    .language_version:
      - 2
      - 0
    .max_flat_workgroup_size: 256
    .name:           _ZN7rocprim17ROCPRIM_400000_NS6detail17trampoline_kernelINS0_13select_configILj256ELj13ELNS0_17block_load_methodE3ELS4_3ELS4_3ELNS0_20block_scan_algorithmE0ELj4294967295EEENS1_25partition_config_selectorILNS1_17partition_subalgoE4EjNS0_10empty_typeEbEEZZNS1_14partition_implILS8_4ELb0ES6_15HIP_vector_typeIjLj2EENS0_17counting_iteratorIjlEEPS9_SG_NS0_5tupleIJPjSI_NS0_16reverse_iteratorISI_EEEEENSH_IJSG_SG_SG_EEES9_SI_JZNS1_25segmented_radix_sort_implINS0_14default_configELb0EPKsPsPKlPlN2at6native12_GLOBAL__N_18offset_tEEE10hipError_tPvRmT1_PNSt15iterator_traitsIS12_E10value_typeET2_T3_PNS13_IS18_E10value_typeET4_jRbjT5_S1E_jjP12ihipStream_tbEUljE_ZNSN_ISO_Lb0ESQ_SR_ST_SU_SY_EESZ_S10_S11_S12_S16_S17_S18_S1B_S1C_jS1D_jS1E_S1E_jjS1G_bEUljE0_EEESZ_S10_S11_S18_S1C_S1E_T6_T7_T9_mT8_S1G_bDpT10_ENKUlT_T0_E_clISt17integral_constantIbLb0EES1T_IbLb1EEEEDaS1P_S1Q_EUlS1P_E_NS1_11comp_targetILNS1_3genE5ELNS1_11target_archE942ELNS1_3gpuE9ELNS1_3repE0EEENS1_30default_config_static_selectorELNS0_4arch9wavefront6targetE0EEEvS12_
    .private_segment_fixed_size: 0
    .sgpr_count:     0
    .sgpr_spill_count: 0
    .symbol:         _ZN7rocprim17ROCPRIM_400000_NS6detail17trampoline_kernelINS0_13select_configILj256ELj13ELNS0_17block_load_methodE3ELS4_3ELS4_3ELNS0_20block_scan_algorithmE0ELj4294967295EEENS1_25partition_config_selectorILNS1_17partition_subalgoE4EjNS0_10empty_typeEbEEZZNS1_14partition_implILS8_4ELb0ES6_15HIP_vector_typeIjLj2EENS0_17counting_iteratorIjlEEPS9_SG_NS0_5tupleIJPjSI_NS0_16reverse_iteratorISI_EEEEENSH_IJSG_SG_SG_EEES9_SI_JZNS1_25segmented_radix_sort_implINS0_14default_configELb0EPKsPsPKlPlN2at6native12_GLOBAL__N_18offset_tEEE10hipError_tPvRmT1_PNSt15iterator_traitsIS12_E10value_typeET2_T3_PNS13_IS18_E10value_typeET4_jRbjT5_S1E_jjP12ihipStream_tbEUljE_ZNSN_ISO_Lb0ESQ_SR_ST_SU_SY_EESZ_S10_S11_S12_S16_S17_S18_S1B_S1C_jS1D_jS1E_S1E_jjS1G_bEUljE0_EEESZ_S10_S11_S18_S1C_S1E_T6_T7_T9_mT8_S1G_bDpT10_ENKUlT_T0_E_clISt17integral_constantIbLb0EES1T_IbLb1EEEEDaS1P_S1Q_EUlS1P_E_NS1_11comp_targetILNS1_3genE5ELNS1_11target_archE942ELNS1_3gpuE9ELNS1_3repE0EEENS1_30default_config_static_selectorELNS0_4arch9wavefront6targetE0EEEvS12_.kd
    .uniform_work_group_size: 1
    .uses_dynamic_stack: false
    .vgpr_count:     0
    .vgpr_spill_count: 0
    .wavefront_size: 32
    .workgroup_processor_mode: 1
  - .args:
      - .offset:         0
        .size:           184
        .value_kind:     by_value
    .group_segment_fixed_size: 0
    .kernarg_segment_align: 8
    .kernarg_segment_size: 184
    .language:       OpenCL C
    .language_version:
      - 2
      - 0
    .max_flat_workgroup_size: 256
    .name:           _ZN7rocprim17ROCPRIM_400000_NS6detail17trampoline_kernelINS0_13select_configILj256ELj13ELNS0_17block_load_methodE3ELS4_3ELS4_3ELNS0_20block_scan_algorithmE0ELj4294967295EEENS1_25partition_config_selectorILNS1_17partition_subalgoE4EjNS0_10empty_typeEbEEZZNS1_14partition_implILS8_4ELb0ES6_15HIP_vector_typeIjLj2EENS0_17counting_iteratorIjlEEPS9_SG_NS0_5tupleIJPjSI_NS0_16reverse_iteratorISI_EEEEENSH_IJSG_SG_SG_EEES9_SI_JZNS1_25segmented_radix_sort_implINS0_14default_configELb0EPKsPsPKlPlN2at6native12_GLOBAL__N_18offset_tEEE10hipError_tPvRmT1_PNSt15iterator_traitsIS12_E10value_typeET2_T3_PNS13_IS18_E10value_typeET4_jRbjT5_S1E_jjP12ihipStream_tbEUljE_ZNSN_ISO_Lb0ESQ_SR_ST_SU_SY_EESZ_S10_S11_S12_S16_S17_S18_S1B_S1C_jS1D_jS1E_S1E_jjS1G_bEUljE0_EEESZ_S10_S11_S18_S1C_S1E_T6_T7_T9_mT8_S1G_bDpT10_ENKUlT_T0_E_clISt17integral_constantIbLb0EES1T_IbLb1EEEEDaS1P_S1Q_EUlS1P_E_NS1_11comp_targetILNS1_3genE4ELNS1_11target_archE910ELNS1_3gpuE8ELNS1_3repE0EEENS1_30default_config_static_selectorELNS0_4arch9wavefront6targetE0EEEvS12_
    .private_segment_fixed_size: 0
    .sgpr_count:     0
    .sgpr_spill_count: 0
    .symbol:         _ZN7rocprim17ROCPRIM_400000_NS6detail17trampoline_kernelINS0_13select_configILj256ELj13ELNS0_17block_load_methodE3ELS4_3ELS4_3ELNS0_20block_scan_algorithmE0ELj4294967295EEENS1_25partition_config_selectorILNS1_17partition_subalgoE4EjNS0_10empty_typeEbEEZZNS1_14partition_implILS8_4ELb0ES6_15HIP_vector_typeIjLj2EENS0_17counting_iteratorIjlEEPS9_SG_NS0_5tupleIJPjSI_NS0_16reverse_iteratorISI_EEEEENSH_IJSG_SG_SG_EEES9_SI_JZNS1_25segmented_radix_sort_implINS0_14default_configELb0EPKsPsPKlPlN2at6native12_GLOBAL__N_18offset_tEEE10hipError_tPvRmT1_PNSt15iterator_traitsIS12_E10value_typeET2_T3_PNS13_IS18_E10value_typeET4_jRbjT5_S1E_jjP12ihipStream_tbEUljE_ZNSN_ISO_Lb0ESQ_SR_ST_SU_SY_EESZ_S10_S11_S12_S16_S17_S18_S1B_S1C_jS1D_jS1E_S1E_jjS1G_bEUljE0_EEESZ_S10_S11_S18_S1C_S1E_T6_T7_T9_mT8_S1G_bDpT10_ENKUlT_T0_E_clISt17integral_constantIbLb0EES1T_IbLb1EEEEDaS1P_S1Q_EUlS1P_E_NS1_11comp_targetILNS1_3genE4ELNS1_11target_archE910ELNS1_3gpuE8ELNS1_3repE0EEENS1_30default_config_static_selectorELNS0_4arch9wavefront6targetE0EEEvS12_.kd
    .uniform_work_group_size: 1
    .uses_dynamic_stack: false
    .vgpr_count:     0
    .vgpr_spill_count: 0
    .wavefront_size: 32
    .workgroup_processor_mode: 1
  - .args:
      - .offset:         0
        .size:           184
        .value_kind:     by_value
    .group_segment_fixed_size: 0
    .kernarg_segment_align: 8
    .kernarg_segment_size: 184
    .language:       OpenCL C
    .language_version:
      - 2
      - 0
    .max_flat_workgroup_size: 256
    .name:           _ZN7rocprim17ROCPRIM_400000_NS6detail17trampoline_kernelINS0_13select_configILj256ELj13ELNS0_17block_load_methodE3ELS4_3ELS4_3ELNS0_20block_scan_algorithmE0ELj4294967295EEENS1_25partition_config_selectorILNS1_17partition_subalgoE4EjNS0_10empty_typeEbEEZZNS1_14partition_implILS8_4ELb0ES6_15HIP_vector_typeIjLj2EENS0_17counting_iteratorIjlEEPS9_SG_NS0_5tupleIJPjSI_NS0_16reverse_iteratorISI_EEEEENSH_IJSG_SG_SG_EEES9_SI_JZNS1_25segmented_radix_sort_implINS0_14default_configELb0EPKsPsPKlPlN2at6native12_GLOBAL__N_18offset_tEEE10hipError_tPvRmT1_PNSt15iterator_traitsIS12_E10value_typeET2_T3_PNS13_IS18_E10value_typeET4_jRbjT5_S1E_jjP12ihipStream_tbEUljE_ZNSN_ISO_Lb0ESQ_SR_ST_SU_SY_EESZ_S10_S11_S12_S16_S17_S18_S1B_S1C_jS1D_jS1E_S1E_jjS1G_bEUljE0_EEESZ_S10_S11_S18_S1C_S1E_T6_T7_T9_mT8_S1G_bDpT10_ENKUlT_T0_E_clISt17integral_constantIbLb0EES1T_IbLb1EEEEDaS1P_S1Q_EUlS1P_E_NS1_11comp_targetILNS1_3genE3ELNS1_11target_archE908ELNS1_3gpuE7ELNS1_3repE0EEENS1_30default_config_static_selectorELNS0_4arch9wavefront6targetE0EEEvS12_
    .private_segment_fixed_size: 0
    .sgpr_count:     0
    .sgpr_spill_count: 0
    .symbol:         _ZN7rocprim17ROCPRIM_400000_NS6detail17trampoline_kernelINS0_13select_configILj256ELj13ELNS0_17block_load_methodE3ELS4_3ELS4_3ELNS0_20block_scan_algorithmE0ELj4294967295EEENS1_25partition_config_selectorILNS1_17partition_subalgoE4EjNS0_10empty_typeEbEEZZNS1_14partition_implILS8_4ELb0ES6_15HIP_vector_typeIjLj2EENS0_17counting_iteratorIjlEEPS9_SG_NS0_5tupleIJPjSI_NS0_16reverse_iteratorISI_EEEEENSH_IJSG_SG_SG_EEES9_SI_JZNS1_25segmented_radix_sort_implINS0_14default_configELb0EPKsPsPKlPlN2at6native12_GLOBAL__N_18offset_tEEE10hipError_tPvRmT1_PNSt15iterator_traitsIS12_E10value_typeET2_T3_PNS13_IS18_E10value_typeET4_jRbjT5_S1E_jjP12ihipStream_tbEUljE_ZNSN_ISO_Lb0ESQ_SR_ST_SU_SY_EESZ_S10_S11_S12_S16_S17_S18_S1B_S1C_jS1D_jS1E_S1E_jjS1G_bEUljE0_EEESZ_S10_S11_S18_S1C_S1E_T6_T7_T9_mT8_S1G_bDpT10_ENKUlT_T0_E_clISt17integral_constantIbLb0EES1T_IbLb1EEEEDaS1P_S1Q_EUlS1P_E_NS1_11comp_targetILNS1_3genE3ELNS1_11target_archE908ELNS1_3gpuE7ELNS1_3repE0EEENS1_30default_config_static_selectorELNS0_4arch9wavefront6targetE0EEEvS12_.kd
    .uniform_work_group_size: 1
    .uses_dynamic_stack: false
    .vgpr_count:     0
    .vgpr_spill_count: 0
    .wavefront_size: 32
    .workgroup_processor_mode: 1
  - .args:
      - .offset:         0
        .size:           184
        .value_kind:     by_value
    .group_segment_fixed_size: 0
    .kernarg_segment_align: 8
    .kernarg_segment_size: 184
    .language:       OpenCL C
    .language_version:
      - 2
      - 0
    .max_flat_workgroup_size: 256
    .name:           _ZN7rocprim17ROCPRIM_400000_NS6detail17trampoline_kernelINS0_13select_configILj256ELj13ELNS0_17block_load_methodE3ELS4_3ELS4_3ELNS0_20block_scan_algorithmE0ELj4294967295EEENS1_25partition_config_selectorILNS1_17partition_subalgoE4EjNS0_10empty_typeEbEEZZNS1_14partition_implILS8_4ELb0ES6_15HIP_vector_typeIjLj2EENS0_17counting_iteratorIjlEEPS9_SG_NS0_5tupleIJPjSI_NS0_16reverse_iteratorISI_EEEEENSH_IJSG_SG_SG_EEES9_SI_JZNS1_25segmented_radix_sort_implINS0_14default_configELb0EPKsPsPKlPlN2at6native12_GLOBAL__N_18offset_tEEE10hipError_tPvRmT1_PNSt15iterator_traitsIS12_E10value_typeET2_T3_PNS13_IS18_E10value_typeET4_jRbjT5_S1E_jjP12ihipStream_tbEUljE_ZNSN_ISO_Lb0ESQ_SR_ST_SU_SY_EESZ_S10_S11_S12_S16_S17_S18_S1B_S1C_jS1D_jS1E_S1E_jjS1G_bEUljE0_EEESZ_S10_S11_S18_S1C_S1E_T6_T7_T9_mT8_S1G_bDpT10_ENKUlT_T0_E_clISt17integral_constantIbLb0EES1T_IbLb1EEEEDaS1P_S1Q_EUlS1P_E_NS1_11comp_targetILNS1_3genE2ELNS1_11target_archE906ELNS1_3gpuE6ELNS1_3repE0EEENS1_30default_config_static_selectorELNS0_4arch9wavefront6targetE0EEEvS12_
    .private_segment_fixed_size: 0
    .sgpr_count:     0
    .sgpr_spill_count: 0
    .symbol:         _ZN7rocprim17ROCPRIM_400000_NS6detail17trampoline_kernelINS0_13select_configILj256ELj13ELNS0_17block_load_methodE3ELS4_3ELS4_3ELNS0_20block_scan_algorithmE0ELj4294967295EEENS1_25partition_config_selectorILNS1_17partition_subalgoE4EjNS0_10empty_typeEbEEZZNS1_14partition_implILS8_4ELb0ES6_15HIP_vector_typeIjLj2EENS0_17counting_iteratorIjlEEPS9_SG_NS0_5tupleIJPjSI_NS0_16reverse_iteratorISI_EEEEENSH_IJSG_SG_SG_EEES9_SI_JZNS1_25segmented_radix_sort_implINS0_14default_configELb0EPKsPsPKlPlN2at6native12_GLOBAL__N_18offset_tEEE10hipError_tPvRmT1_PNSt15iterator_traitsIS12_E10value_typeET2_T3_PNS13_IS18_E10value_typeET4_jRbjT5_S1E_jjP12ihipStream_tbEUljE_ZNSN_ISO_Lb0ESQ_SR_ST_SU_SY_EESZ_S10_S11_S12_S16_S17_S18_S1B_S1C_jS1D_jS1E_S1E_jjS1G_bEUljE0_EEESZ_S10_S11_S18_S1C_S1E_T6_T7_T9_mT8_S1G_bDpT10_ENKUlT_T0_E_clISt17integral_constantIbLb0EES1T_IbLb1EEEEDaS1P_S1Q_EUlS1P_E_NS1_11comp_targetILNS1_3genE2ELNS1_11target_archE906ELNS1_3gpuE6ELNS1_3repE0EEENS1_30default_config_static_selectorELNS0_4arch9wavefront6targetE0EEEvS12_.kd
    .uniform_work_group_size: 1
    .uses_dynamic_stack: false
    .vgpr_count:     0
    .vgpr_spill_count: 0
    .wavefront_size: 32
    .workgroup_processor_mode: 1
  - .args:
      - .offset:         0
        .size:           184
        .value_kind:     by_value
    .group_segment_fixed_size: 0
    .kernarg_segment_align: 8
    .kernarg_segment_size: 184
    .language:       OpenCL C
    .language_version:
      - 2
      - 0
    .max_flat_workgroup_size: 256
    .name:           _ZN7rocprim17ROCPRIM_400000_NS6detail17trampoline_kernelINS0_13select_configILj256ELj13ELNS0_17block_load_methodE3ELS4_3ELS4_3ELNS0_20block_scan_algorithmE0ELj4294967295EEENS1_25partition_config_selectorILNS1_17partition_subalgoE4EjNS0_10empty_typeEbEEZZNS1_14partition_implILS8_4ELb0ES6_15HIP_vector_typeIjLj2EENS0_17counting_iteratorIjlEEPS9_SG_NS0_5tupleIJPjSI_NS0_16reverse_iteratorISI_EEEEENSH_IJSG_SG_SG_EEES9_SI_JZNS1_25segmented_radix_sort_implINS0_14default_configELb0EPKsPsPKlPlN2at6native12_GLOBAL__N_18offset_tEEE10hipError_tPvRmT1_PNSt15iterator_traitsIS12_E10value_typeET2_T3_PNS13_IS18_E10value_typeET4_jRbjT5_S1E_jjP12ihipStream_tbEUljE_ZNSN_ISO_Lb0ESQ_SR_ST_SU_SY_EESZ_S10_S11_S12_S16_S17_S18_S1B_S1C_jS1D_jS1E_S1E_jjS1G_bEUljE0_EEESZ_S10_S11_S18_S1C_S1E_T6_T7_T9_mT8_S1G_bDpT10_ENKUlT_T0_E_clISt17integral_constantIbLb0EES1T_IbLb1EEEEDaS1P_S1Q_EUlS1P_E_NS1_11comp_targetILNS1_3genE10ELNS1_11target_archE1200ELNS1_3gpuE4ELNS1_3repE0EEENS1_30default_config_static_selectorELNS0_4arch9wavefront6targetE0EEEvS12_
    .private_segment_fixed_size: 0
    .sgpr_count:     0
    .sgpr_spill_count: 0
    .symbol:         _ZN7rocprim17ROCPRIM_400000_NS6detail17trampoline_kernelINS0_13select_configILj256ELj13ELNS0_17block_load_methodE3ELS4_3ELS4_3ELNS0_20block_scan_algorithmE0ELj4294967295EEENS1_25partition_config_selectorILNS1_17partition_subalgoE4EjNS0_10empty_typeEbEEZZNS1_14partition_implILS8_4ELb0ES6_15HIP_vector_typeIjLj2EENS0_17counting_iteratorIjlEEPS9_SG_NS0_5tupleIJPjSI_NS0_16reverse_iteratorISI_EEEEENSH_IJSG_SG_SG_EEES9_SI_JZNS1_25segmented_radix_sort_implINS0_14default_configELb0EPKsPsPKlPlN2at6native12_GLOBAL__N_18offset_tEEE10hipError_tPvRmT1_PNSt15iterator_traitsIS12_E10value_typeET2_T3_PNS13_IS18_E10value_typeET4_jRbjT5_S1E_jjP12ihipStream_tbEUljE_ZNSN_ISO_Lb0ESQ_SR_ST_SU_SY_EESZ_S10_S11_S12_S16_S17_S18_S1B_S1C_jS1D_jS1E_S1E_jjS1G_bEUljE0_EEESZ_S10_S11_S18_S1C_S1E_T6_T7_T9_mT8_S1G_bDpT10_ENKUlT_T0_E_clISt17integral_constantIbLb0EES1T_IbLb1EEEEDaS1P_S1Q_EUlS1P_E_NS1_11comp_targetILNS1_3genE10ELNS1_11target_archE1200ELNS1_3gpuE4ELNS1_3repE0EEENS1_30default_config_static_selectorELNS0_4arch9wavefront6targetE0EEEvS12_.kd
    .uniform_work_group_size: 1
    .uses_dynamic_stack: false
    .vgpr_count:     0
    .vgpr_spill_count: 0
    .wavefront_size: 32
    .workgroup_processor_mode: 1
  - .args:
      - .offset:         0
        .size:           184
        .value_kind:     by_value
    .group_segment_fixed_size: 0
    .kernarg_segment_align: 8
    .kernarg_segment_size: 184
    .language:       OpenCL C
    .language_version:
      - 2
      - 0
    .max_flat_workgroup_size: 256
    .name:           _ZN7rocprim17ROCPRIM_400000_NS6detail17trampoline_kernelINS0_13select_configILj256ELj13ELNS0_17block_load_methodE3ELS4_3ELS4_3ELNS0_20block_scan_algorithmE0ELj4294967295EEENS1_25partition_config_selectorILNS1_17partition_subalgoE4EjNS0_10empty_typeEbEEZZNS1_14partition_implILS8_4ELb0ES6_15HIP_vector_typeIjLj2EENS0_17counting_iteratorIjlEEPS9_SG_NS0_5tupleIJPjSI_NS0_16reverse_iteratorISI_EEEEENSH_IJSG_SG_SG_EEES9_SI_JZNS1_25segmented_radix_sort_implINS0_14default_configELb0EPKsPsPKlPlN2at6native12_GLOBAL__N_18offset_tEEE10hipError_tPvRmT1_PNSt15iterator_traitsIS12_E10value_typeET2_T3_PNS13_IS18_E10value_typeET4_jRbjT5_S1E_jjP12ihipStream_tbEUljE_ZNSN_ISO_Lb0ESQ_SR_ST_SU_SY_EESZ_S10_S11_S12_S16_S17_S18_S1B_S1C_jS1D_jS1E_S1E_jjS1G_bEUljE0_EEESZ_S10_S11_S18_S1C_S1E_T6_T7_T9_mT8_S1G_bDpT10_ENKUlT_T0_E_clISt17integral_constantIbLb0EES1T_IbLb1EEEEDaS1P_S1Q_EUlS1P_E_NS1_11comp_targetILNS1_3genE9ELNS1_11target_archE1100ELNS1_3gpuE3ELNS1_3repE0EEENS1_30default_config_static_selectorELNS0_4arch9wavefront6targetE0EEEvS12_
    .private_segment_fixed_size: 0
    .sgpr_count:     0
    .sgpr_spill_count: 0
    .symbol:         _ZN7rocprim17ROCPRIM_400000_NS6detail17trampoline_kernelINS0_13select_configILj256ELj13ELNS0_17block_load_methodE3ELS4_3ELS4_3ELNS0_20block_scan_algorithmE0ELj4294967295EEENS1_25partition_config_selectorILNS1_17partition_subalgoE4EjNS0_10empty_typeEbEEZZNS1_14partition_implILS8_4ELb0ES6_15HIP_vector_typeIjLj2EENS0_17counting_iteratorIjlEEPS9_SG_NS0_5tupleIJPjSI_NS0_16reverse_iteratorISI_EEEEENSH_IJSG_SG_SG_EEES9_SI_JZNS1_25segmented_radix_sort_implINS0_14default_configELb0EPKsPsPKlPlN2at6native12_GLOBAL__N_18offset_tEEE10hipError_tPvRmT1_PNSt15iterator_traitsIS12_E10value_typeET2_T3_PNS13_IS18_E10value_typeET4_jRbjT5_S1E_jjP12ihipStream_tbEUljE_ZNSN_ISO_Lb0ESQ_SR_ST_SU_SY_EESZ_S10_S11_S12_S16_S17_S18_S1B_S1C_jS1D_jS1E_S1E_jjS1G_bEUljE0_EEESZ_S10_S11_S18_S1C_S1E_T6_T7_T9_mT8_S1G_bDpT10_ENKUlT_T0_E_clISt17integral_constantIbLb0EES1T_IbLb1EEEEDaS1P_S1Q_EUlS1P_E_NS1_11comp_targetILNS1_3genE9ELNS1_11target_archE1100ELNS1_3gpuE3ELNS1_3repE0EEENS1_30default_config_static_selectorELNS0_4arch9wavefront6targetE0EEEvS12_.kd
    .uniform_work_group_size: 1
    .uses_dynamic_stack: false
    .vgpr_count:     0
    .vgpr_spill_count: 0
    .wavefront_size: 32
    .workgroup_processor_mode: 1
  - .args:
      - .offset:         0
        .size:           184
        .value_kind:     by_value
    .group_segment_fixed_size: 13328
    .kernarg_segment_align: 8
    .kernarg_segment_size: 184
    .language:       OpenCL C
    .language_version:
      - 2
      - 0
    .max_flat_workgroup_size: 256
    .name:           _ZN7rocprim17ROCPRIM_400000_NS6detail17trampoline_kernelINS0_13select_configILj256ELj13ELNS0_17block_load_methodE3ELS4_3ELS4_3ELNS0_20block_scan_algorithmE0ELj4294967295EEENS1_25partition_config_selectorILNS1_17partition_subalgoE4EjNS0_10empty_typeEbEEZZNS1_14partition_implILS8_4ELb0ES6_15HIP_vector_typeIjLj2EENS0_17counting_iteratorIjlEEPS9_SG_NS0_5tupleIJPjSI_NS0_16reverse_iteratorISI_EEEEENSH_IJSG_SG_SG_EEES9_SI_JZNS1_25segmented_radix_sort_implINS0_14default_configELb0EPKsPsPKlPlN2at6native12_GLOBAL__N_18offset_tEEE10hipError_tPvRmT1_PNSt15iterator_traitsIS12_E10value_typeET2_T3_PNS13_IS18_E10value_typeET4_jRbjT5_S1E_jjP12ihipStream_tbEUljE_ZNSN_ISO_Lb0ESQ_SR_ST_SU_SY_EESZ_S10_S11_S12_S16_S17_S18_S1B_S1C_jS1D_jS1E_S1E_jjS1G_bEUljE0_EEESZ_S10_S11_S18_S1C_S1E_T6_T7_T9_mT8_S1G_bDpT10_ENKUlT_T0_E_clISt17integral_constantIbLb0EES1T_IbLb1EEEEDaS1P_S1Q_EUlS1P_E_NS1_11comp_targetILNS1_3genE8ELNS1_11target_archE1030ELNS1_3gpuE2ELNS1_3repE0EEENS1_30default_config_static_selectorELNS0_4arch9wavefront6targetE0EEEvS12_
    .private_segment_fixed_size: 0
    .sgpr_count:     57
    .sgpr_spill_count: 0
    .symbol:         _ZN7rocprim17ROCPRIM_400000_NS6detail17trampoline_kernelINS0_13select_configILj256ELj13ELNS0_17block_load_methodE3ELS4_3ELS4_3ELNS0_20block_scan_algorithmE0ELj4294967295EEENS1_25partition_config_selectorILNS1_17partition_subalgoE4EjNS0_10empty_typeEbEEZZNS1_14partition_implILS8_4ELb0ES6_15HIP_vector_typeIjLj2EENS0_17counting_iteratorIjlEEPS9_SG_NS0_5tupleIJPjSI_NS0_16reverse_iteratorISI_EEEEENSH_IJSG_SG_SG_EEES9_SI_JZNS1_25segmented_radix_sort_implINS0_14default_configELb0EPKsPsPKlPlN2at6native12_GLOBAL__N_18offset_tEEE10hipError_tPvRmT1_PNSt15iterator_traitsIS12_E10value_typeET2_T3_PNS13_IS18_E10value_typeET4_jRbjT5_S1E_jjP12ihipStream_tbEUljE_ZNSN_ISO_Lb0ESQ_SR_ST_SU_SY_EESZ_S10_S11_S12_S16_S17_S18_S1B_S1C_jS1D_jS1E_S1E_jjS1G_bEUljE0_EEESZ_S10_S11_S18_S1C_S1E_T6_T7_T9_mT8_S1G_bDpT10_ENKUlT_T0_E_clISt17integral_constantIbLb0EES1T_IbLb1EEEEDaS1P_S1Q_EUlS1P_E_NS1_11comp_targetILNS1_3genE8ELNS1_11target_archE1030ELNS1_3gpuE2ELNS1_3repE0EEENS1_30default_config_static_selectorELNS0_4arch9wavefront6targetE0EEEvS12_.kd
    .uniform_work_group_size: 1
    .uses_dynamic_stack: false
    .vgpr_count:     87
    .vgpr_spill_count: 0
    .wavefront_size: 32
    .workgroup_processor_mode: 1
  - .args:
      - .offset:         0
        .size:           144
        .value_kind:     by_value
    .group_segment_fixed_size: 0
    .kernarg_segment_align: 8
    .kernarg_segment_size: 144
    .language:       OpenCL C
    .language_version:
      - 2
      - 0
    .max_flat_workgroup_size: 256
    .name:           _ZN7rocprim17ROCPRIM_400000_NS6detail17trampoline_kernelINS0_13select_configILj256ELj13ELNS0_17block_load_methodE3ELS4_3ELS4_3ELNS0_20block_scan_algorithmE0ELj4294967295EEENS1_25partition_config_selectorILNS1_17partition_subalgoE3EjNS0_10empty_typeEbEEZZNS1_14partition_implILS8_3ELb0ES6_jNS0_17counting_iteratorIjlEEPS9_SE_NS0_5tupleIJPjSE_EEENSF_IJSE_SE_EEES9_SG_JZNS1_25segmented_radix_sort_implINS0_14default_configELb0EPKsPsPKlPlN2at6native12_GLOBAL__N_18offset_tEEE10hipError_tPvRmT1_PNSt15iterator_traitsISY_E10value_typeET2_T3_PNSZ_IS14_E10value_typeET4_jRbjT5_S1A_jjP12ihipStream_tbEUljE_EEESV_SW_SX_S14_S18_S1A_T6_T7_T9_mT8_S1C_bDpT10_ENKUlT_T0_E_clISt17integral_constantIbLb0EES1P_EEDaS1K_S1L_EUlS1K_E_NS1_11comp_targetILNS1_3genE0ELNS1_11target_archE4294967295ELNS1_3gpuE0ELNS1_3repE0EEENS1_30default_config_static_selectorELNS0_4arch9wavefront6targetE0EEEvSY_
    .private_segment_fixed_size: 0
    .sgpr_count:     0
    .sgpr_spill_count: 0
    .symbol:         _ZN7rocprim17ROCPRIM_400000_NS6detail17trampoline_kernelINS0_13select_configILj256ELj13ELNS0_17block_load_methodE3ELS4_3ELS4_3ELNS0_20block_scan_algorithmE0ELj4294967295EEENS1_25partition_config_selectorILNS1_17partition_subalgoE3EjNS0_10empty_typeEbEEZZNS1_14partition_implILS8_3ELb0ES6_jNS0_17counting_iteratorIjlEEPS9_SE_NS0_5tupleIJPjSE_EEENSF_IJSE_SE_EEES9_SG_JZNS1_25segmented_radix_sort_implINS0_14default_configELb0EPKsPsPKlPlN2at6native12_GLOBAL__N_18offset_tEEE10hipError_tPvRmT1_PNSt15iterator_traitsISY_E10value_typeET2_T3_PNSZ_IS14_E10value_typeET4_jRbjT5_S1A_jjP12ihipStream_tbEUljE_EEESV_SW_SX_S14_S18_S1A_T6_T7_T9_mT8_S1C_bDpT10_ENKUlT_T0_E_clISt17integral_constantIbLb0EES1P_EEDaS1K_S1L_EUlS1K_E_NS1_11comp_targetILNS1_3genE0ELNS1_11target_archE4294967295ELNS1_3gpuE0ELNS1_3repE0EEENS1_30default_config_static_selectorELNS0_4arch9wavefront6targetE0EEEvSY_.kd
    .uniform_work_group_size: 1
    .uses_dynamic_stack: false
    .vgpr_count:     0
    .vgpr_spill_count: 0
    .wavefront_size: 32
    .workgroup_processor_mode: 1
  - .args:
      - .offset:         0
        .size:           144
        .value_kind:     by_value
    .group_segment_fixed_size: 0
    .kernarg_segment_align: 8
    .kernarg_segment_size: 144
    .language:       OpenCL C
    .language_version:
      - 2
      - 0
    .max_flat_workgroup_size: 256
    .name:           _ZN7rocprim17ROCPRIM_400000_NS6detail17trampoline_kernelINS0_13select_configILj256ELj13ELNS0_17block_load_methodE3ELS4_3ELS4_3ELNS0_20block_scan_algorithmE0ELj4294967295EEENS1_25partition_config_selectorILNS1_17partition_subalgoE3EjNS0_10empty_typeEbEEZZNS1_14partition_implILS8_3ELb0ES6_jNS0_17counting_iteratorIjlEEPS9_SE_NS0_5tupleIJPjSE_EEENSF_IJSE_SE_EEES9_SG_JZNS1_25segmented_radix_sort_implINS0_14default_configELb0EPKsPsPKlPlN2at6native12_GLOBAL__N_18offset_tEEE10hipError_tPvRmT1_PNSt15iterator_traitsISY_E10value_typeET2_T3_PNSZ_IS14_E10value_typeET4_jRbjT5_S1A_jjP12ihipStream_tbEUljE_EEESV_SW_SX_S14_S18_S1A_T6_T7_T9_mT8_S1C_bDpT10_ENKUlT_T0_E_clISt17integral_constantIbLb0EES1P_EEDaS1K_S1L_EUlS1K_E_NS1_11comp_targetILNS1_3genE5ELNS1_11target_archE942ELNS1_3gpuE9ELNS1_3repE0EEENS1_30default_config_static_selectorELNS0_4arch9wavefront6targetE0EEEvSY_
    .private_segment_fixed_size: 0
    .sgpr_count:     0
    .sgpr_spill_count: 0
    .symbol:         _ZN7rocprim17ROCPRIM_400000_NS6detail17trampoline_kernelINS0_13select_configILj256ELj13ELNS0_17block_load_methodE3ELS4_3ELS4_3ELNS0_20block_scan_algorithmE0ELj4294967295EEENS1_25partition_config_selectorILNS1_17partition_subalgoE3EjNS0_10empty_typeEbEEZZNS1_14partition_implILS8_3ELb0ES6_jNS0_17counting_iteratorIjlEEPS9_SE_NS0_5tupleIJPjSE_EEENSF_IJSE_SE_EEES9_SG_JZNS1_25segmented_radix_sort_implINS0_14default_configELb0EPKsPsPKlPlN2at6native12_GLOBAL__N_18offset_tEEE10hipError_tPvRmT1_PNSt15iterator_traitsISY_E10value_typeET2_T3_PNSZ_IS14_E10value_typeET4_jRbjT5_S1A_jjP12ihipStream_tbEUljE_EEESV_SW_SX_S14_S18_S1A_T6_T7_T9_mT8_S1C_bDpT10_ENKUlT_T0_E_clISt17integral_constantIbLb0EES1P_EEDaS1K_S1L_EUlS1K_E_NS1_11comp_targetILNS1_3genE5ELNS1_11target_archE942ELNS1_3gpuE9ELNS1_3repE0EEENS1_30default_config_static_selectorELNS0_4arch9wavefront6targetE0EEEvSY_.kd
    .uniform_work_group_size: 1
    .uses_dynamic_stack: false
    .vgpr_count:     0
    .vgpr_spill_count: 0
    .wavefront_size: 32
    .workgroup_processor_mode: 1
  - .args:
      - .offset:         0
        .size:           144
        .value_kind:     by_value
    .group_segment_fixed_size: 0
    .kernarg_segment_align: 8
    .kernarg_segment_size: 144
    .language:       OpenCL C
    .language_version:
      - 2
      - 0
    .max_flat_workgroup_size: 256
    .name:           _ZN7rocprim17ROCPRIM_400000_NS6detail17trampoline_kernelINS0_13select_configILj256ELj13ELNS0_17block_load_methodE3ELS4_3ELS4_3ELNS0_20block_scan_algorithmE0ELj4294967295EEENS1_25partition_config_selectorILNS1_17partition_subalgoE3EjNS0_10empty_typeEbEEZZNS1_14partition_implILS8_3ELb0ES6_jNS0_17counting_iteratorIjlEEPS9_SE_NS0_5tupleIJPjSE_EEENSF_IJSE_SE_EEES9_SG_JZNS1_25segmented_radix_sort_implINS0_14default_configELb0EPKsPsPKlPlN2at6native12_GLOBAL__N_18offset_tEEE10hipError_tPvRmT1_PNSt15iterator_traitsISY_E10value_typeET2_T3_PNSZ_IS14_E10value_typeET4_jRbjT5_S1A_jjP12ihipStream_tbEUljE_EEESV_SW_SX_S14_S18_S1A_T6_T7_T9_mT8_S1C_bDpT10_ENKUlT_T0_E_clISt17integral_constantIbLb0EES1P_EEDaS1K_S1L_EUlS1K_E_NS1_11comp_targetILNS1_3genE4ELNS1_11target_archE910ELNS1_3gpuE8ELNS1_3repE0EEENS1_30default_config_static_selectorELNS0_4arch9wavefront6targetE0EEEvSY_
    .private_segment_fixed_size: 0
    .sgpr_count:     0
    .sgpr_spill_count: 0
    .symbol:         _ZN7rocprim17ROCPRIM_400000_NS6detail17trampoline_kernelINS0_13select_configILj256ELj13ELNS0_17block_load_methodE3ELS4_3ELS4_3ELNS0_20block_scan_algorithmE0ELj4294967295EEENS1_25partition_config_selectorILNS1_17partition_subalgoE3EjNS0_10empty_typeEbEEZZNS1_14partition_implILS8_3ELb0ES6_jNS0_17counting_iteratorIjlEEPS9_SE_NS0_5tupleIJPjSE_EEENSF_IJSE_SE_EEES9_SG_JZNS1_25segmented_radix_sort_implINS0_14default_configELb0EPKsPsPKlPlN2at6native12_GLOBAL__N_18offset_tEEE10hipError_tPvRmT1_PNSt15iterator_traitsISY_E10value_typeET2_T3_PNSZ_IS14_E10value_typeET4_jRbjT5_S1A_jjP12ihipStream_tbEUljE_EEESV_SW_SX_S14_S18_S1A_T6_T7_T9_mT8_S1C_bDpT10_ENKUlT_T0_E_clISt17integral_constantIbLb0EES1P_EEDaS1K_S1L_EUlS1K_E_NS1_11comp_targetILNS1_3genE4ELNS1_11target_archE910ELNS1_3gpuE8ELNS1_3repE0EEENS1_30default_config_static_selectorELNS0_4arch9wavefront6targetE0EEEvSY_.kd
    .uniform_work_group_size: 1
    .uses_dynamic_stack: false
    .vgpr_count:     0
    .vgpr_spill_count: 0
    .wavefront_size: 32
    .workgroup_processor_mode: 1
  - .args:
      - .offset:         0
        .size:           144
        .value_kind:     by_value
    .group_segment_fixed_size: 0
    .kernarg_segment_align: 8
    .kernarg_segment_size: 144
    .language:       OpenCL C
    .language_version:
      - 2
      - 0
    .max_flat_workgroup_size: 256
    .name:           _ZN7rocprim17ROCPRIM_400000_NS6detail17trampoline_kernelINS0_13select_configILj256ELj13ELNS0_17block_load_methodE3ELS4_3ELS4_3ELNS0_20block_scan_algorithmE0ELj4294967295EEENS1_25partition_config_selectorILNS1_17partition_subalgoE3EjNS0_10empty_typeEbEEZZNS1_14partition_implILS8_3ELb0ES6_jNS0_17counting_iteratorIjlEEPS9_SE_NS0_5tupleIJPjSE_EEENSF_IJSE_SE_EEES9_SG_JZNS1_25segmented_radix_sort_implINS0_14default_configELb0EPKsPsPKlPlN2at6native12_GLOBAL__N_18offset_tEEE10hipError_tPvRmT1_PNSt15iterator_traitsISY_E10value_typeET2_T3_PNSZ_IS14_E10value_typeET4_jRbjT5_S1A_jjP12ihipStream_tbEUljE_EEESV_SW_SX_S14_S18_S1A_T6_T7_T9_mT8_S1C_bDpT10_ENKUlT_T0_E_clISt17integral_constantIbLb0EES1P_EEDaS1K_S1L_EUlS1K_E_NS1_11comp_targetILNS1_3genE3ELNS1_11target_archE908ELNS1_3gpuE7ELNS1_3repE0EEENS1_30default_config_static_selectorELNS0_4arch9wavefront6targetE0EEEvSY_
    .private_segment_fixed_size: 0
    .sgpr_count:     0
    .sgpr_spill_count: 0
    .symbol:         _ZN7rocprim17ROCPRIM_400000_NS6detail17trampoline_kernelINS0_13select_configILj256ELj13ELNS0_17block_load_methodE3ELS4_3ELS4_3ELNS0_20block_scan_algorithmE0ELj4294967295EEENS1_25partition_config_selectorILNS1_17partition_subalgoE3EjNS0_10empty_typeEbEEZZNS1_14partition_implILS8_3ELb0ES6_jNS0_17counting_iteratorIjlEEPS9_SE_NS0_5tupleIJPjSE_EEENSF_IJSE_SE_EEES9_SG_JZNS1_25segmented_radix_sort_implINS0_14default_configELb0EPKsPsPKlPlN2at6native12_GLOBAL__N_18offset_tEEE10hipError_tPvRmT1_PNSt15iterator_traitsISY_E10value_typeET2_T3_PNSZ_IS14_E10value_typeET4_jRbjT5_S1A_jjP12ihipStream_tbEUljE_EEESV_SW_SX_S14_S18_S1A_T6_T7_T9_mT8_S1C_bDpT10_ENKUlT_T0_E_clISt17integral_constantIbLb0EES1P_EEDaS1K_S1L_EUlS1K_E_NS1_11comp_targetILNS1_3genE3ELNS1_11target_archE908ELNS1_3gpuE7ELNS1_3repE0EEENS1_30default_config_static_selectorELNS0_4arch9wavefront6targetE0EEEvSY_.kd
    .uniform_work_group_size: 1
    .uses_dynamic_stack: false
    .vgpr_count:     0
    .vgpr_spill_count: 0
    .wavefront_size: 32
    .workgroup_processor_mode: 1
  - .args:
      - .offset:         0
        .size:           144
        .value_kind:     by_value
    .group_segment_fixed_size: 0
    .kernarg_segment_align: 8
    .kernarg_segment_size: 144
    .language:       OpenCL C
    .language_version:
      - 2
      - 0
    .max_flat_workgroup_size: 256
    .name:           _ZN7rocprim17ROCPRIM_400000_NS6detail17trampoline_kernelINS0_13select_configILj256ELj13ELNS0_17block_load_methodE3ELS4_3ELS4_3ELNS0_20block_scan_algorithmE0ELj4294967295EEENS1_25partition_config_selectorILNS1_17partition_subalgoE3EjNS0_10empty_typeEbEEZZNS1_14partition_implILS8_3ELb0ES6_jNS0_17counting_iteratorIjlEEPS9_SE_NS0_5tupleIJPjSE_EEENSF_IJSE_SE_EEES9_SG_JZNS1_25segmented_radix_sort_implINS0_14default_configELb0EPKsPsPKlPlN2at6native12_GLOBAL__N_18offset_tEEE10hipError_tPvRmT1_PNSt15iterator_traitsISY_E10value_typeET2_T3_PNSZ_IS14_E10value_typeET4_jRbjT5_S1A_jjP12ihipStream_tbEUljE_EEESV_SW_SX_S14_S18_S1A_T6_T7_T9_mT8_S1C_bDpT10_ENKUlT_T0_E_clISt17integral_constantIbLb0EES1P_EEDaS1K_S1L_EUlS1K_E_NS1_11comp_targetILNS1_3genE2ELNS1_11target_archE906ELNS1_3gpuE6ELNS1_3repE0EEENS1_30default_config_static_selectorELNS0_4arch9wavefront6targetE0EEEvSY_
    .private_segment_fixed_size: 0
    .sgpr_count:     0
    .sgpr_spill_count: 0
    .symbol:         _ZN7rocprim17ROCPRIM_400000_NS6detail17trampoline_kernelINS0_13select_configILj256ELj13ELNS0_17block_load_methodE3ELS4_3ELS4_3ELNS0_20block_scan_algorithmE0ELj4294967295EEENS1_25partition_config_selectorILNS1_17partition_subalgoE3EjNS0_10empty_typeEbEEZZNS1_14partition_implILS8_3ELb0ES6_jNS0_17counting_iteratorIjlEEPS9_SE_NS0_5tupleIJPjSE_EEENSF_IJSE_SE_EEES9_SG_JZNS1_25segmented_radix_sort_implINS0_14default_configELb0EPKsPsPKlPlN2at6native12_GLOBAL__N_18offset_tEEE10hipError_tPvRmT1_PNSt15iterator_traitsISY_E10value_typeET2_T3_PNSZ_IS14_E10value_typeET4_jRbjT5_S1A_jjP12ihipStream_tbEUljE_EEESV_SW_SX_S14_S18_S1A_T6_T7_T9_mT8_S1C_bDpT10_ENKUlT_T0_E_clISt17integral_constantIbLb0EES1P_EEDaS1K_S1L_EUlS1K_E_NS1_11comp_targetILNS1_3genE2ELNS1_11target_archE906ELNS1_3gpuE6ELNS1_3repE0EEENS1_30default_config_static_selectorELNS0_4arch9wavefront6targetE0EEEvSY_.kd
    .uniform_work_group_size: 1
    .uses_dynamic_stack: false
    .vgpr_count:     0
    .vgpr_spill_count: 0
    .wavefront_size: 32
    .workgroup_processor_mode: 1
  - .args:
      - .offset:         0
        .size:           144
        .value_kind:     by_value
    .group_segment_fixed_size: 0
    .kernarg_segment_align: 8
    .kernarg_segment_size: 144
    .language:       OpenCL C
    .language_version:
      - 2
      - 0
    .max_flat_workgroup_size: 256
    .name:           _ZN7rocprim17ROCPRIM_400000_NS6detail17trampoline_kernelINS0_13select_configILj256ELj13ELNS0_17block_load_methodE3ELS4_3ELS4_3ELNS0_20block_scan_algorithmE0ELj4294967295EEENS1_25partition_config_selectorILNS1_17partition_subalgoE3EjNS0_10empty_typeEbEEZZNS1_14partition_implILS8_3ELb0ES6_jNS0_17counting_iteratorIjlEEPS9_SE_NS0_5tupleIJPjSE_EEENSF_IJSE_SE_EEES9_SG_JZNS1_25segmented_radix_sort_implINS0_14default_configELb0EPKsPsPKlPlN2at6native12_GLOBAL__N_18offset_tEEE10hipError_tPvRmT1_PNSt15iterator_traitsISY_E10value_typeET2_T3_PNSZ_IS14_E10value_typeET4_jRbjT5_S1A_jjP12ihipStream_tbEUljE_EEESV_SW_SX_S14_S18_S1A_T6_T7_T9_mT8_S1C_bDpT10_ENKUlT_T0_E_clISt17integral_constantIbLb0EES1P_EEDaS1K_S1L_EUlS1K_E_NS1_11comp_targetILNS1_3genE10ELNS1_11target_archE1200ELNS1_3gpuE4ELNS1_3repE0EEENS1_30default_config_static_selectorELNS0_4arch9wavefront6targetE0EEEvSY_
    .private_segment_fixed_size: 0
    .sgpr_count:     0
    .sgpr_spill_count: 0
    .symbol:         _ZN7rocprim17ROCPRIM_400000_NS6detail17trampoline_kernelINS0_13select_configILj256ELj13ELNS0_17block_load_methodE3ELS4_3ELS4_3ELNS0_20block_scan_algorithmE0ELj4294967295EEENS1_25partition_config_selectorILNS1_17partition_subalgoE3EjNS0_10empty_typeEbEEZZNS1_14partition_implILS8_3ELb0ES6_jNS0_17counting_iteratorIjlEEPS9_SE_NS0_5tupleIJPjSE_EEENSF_IJSE_SE_EEES9_SG_JZNS1_25segmented_radix_sort_implINS0_14default_configELb0EPKsPsPKlPlN2at6native12_GLOBAL__N_18offset_tEEE10hipError_tPvRmT1_PNSt15iterator_traitsISY_E10value_typeET2_T3_PNSZ_IS14_E10value_typeET4_jRbjT5_S1A_jjP12ihipStream_tbEUljE_EEESV_SW_SX_S14_S18_S1A_T6_T7_T9_mT8_S1C_bDpT10_ENKUlT_T0_E_clISt17integral_constantIbLb0EES1P_EEDaS1K_S1L_EUlS1K_E_NS1_11comp_targetILNS1_3genE10ELNS1_11target_archE1200ELNS1_3gpuE4ELNS1_3repE0EEENS1_30default_config_static_selectorELNS0_4arch9wavefront6targetE0EEEvSY_.kd
    .uniform_work_group_size: 1
    .uses_dynamic_stack: false
    .vgpr_count:     0
    .vgpr_spill_count: 0
    .wavefront_size: 32
    .workgroup_processor_mode: 1
  - .args:
      - .offset:         0
        .size:           144
        .value_kind:     by_value
    .group_segment_fixed_size: 0
    .kernarg_segment_align: 8
    .kernarg_segment_size: 144
    .language:       OpenCL C
    .language_version:
      - 2
      - 0
    .max_flat_workgroup_size: 256
    .name:           _ZN7rocprim17ROCPRIM_400000_NS6detail17trampoline_kernelINS0_13select_configILj256ELj13ELNS0_17block_load_methodE3ELS4_3ELS4_3ELNS0_20block_scan_algorithmE0ELj4294967295EEENS1_25partition_config_selectorILNS1_17partition_subalgoE3EjNS0_10empty_typeEbEEZZNS1_14partition_implILS8_3ELb0ES6_jNS0_17counting_iteratorIjlEEPS9_SE_NS0_5tupleIJPjSE_EEENSF_IJSE_SE_EEES9_SG_JZNS1_25segmented_radix_sort_implINS0_14default_configELb0EPKsPsPKlPlN2at6native12_GLOBAL__N_18offset_tEEE10hipError_tPvRmT1_PNSt15iterator_traitsISY_E10value_typeET2_T3_PNSZ_IS14_E10value_typeET4_jRbjT5_S1A_jjP12ihipStream_tbEUljE_EEESV_SW_SX_S14_S18_S1A_T6_T7_T9_mT8_S1C_bDpT10_ENKUlT_T0_E_clISt17integral_constantIbLb0EES1P_EEDaS1K_S1L_EUlS1K_E_NS1_11comp_targetILNS1_3genE9ELNS1_11target_archE1100ELNS1_3gpuE3ELNS1_3repE0EEENS1_30default_config_static_selectorELNS0_4arch9wavefront6targetE0EEEvSY_
    .private_segment_fixed_size: 0
    .sgpr_count:     0
    .sgpr_spill_count: 0
    .symbol:         _ZN7rocprim17ROCPRIM_400000_NS6detail17trampoline_kernelINS0_13select_configILj256ELj13ELNS0_17block_load_methodE3ELS4_3ELS4_3ELNS0_20block_scan_algorithmE0ELj4294967295EEENS1_25partition_config_selectorILNS1_17partition_subalgoE3EjNS0_10empty_typeEbEEZZNS1_14partition_implILS8_3ELb0ES6_jNS0_17counting_iteratorIjlEEPS9_SE_NS0_5tupleIJPjSE_EEENSF_IJSE_SE_EEES9_SG_JZNS1_25segmented_radix_sort_implINS0_14default_configELb0EPKsPsPKlPlN2at6native12_GLOBAL__N_18offset_tEEE10hipError_tPvRmT1_PNSt15iterator_traitsISY_E10value_typeET2_T3_PNSZ_IS14_E10value_typeET4_jRbjT5_S1A_jjP12ihipStream_tbEUljE_EEESV_SW_SX_S14_S18_S1A_T6_T7_T9_mT8_S1C_bDpT10_ENKUlT_T0_E_clISt17integral_constantIbLb0EES1P_EEDaS1K_S1L_EUlS1K_E_NS1_11comp_targetILNS1_3genE9ELNS1_11target_archE1100ELNS1_3gpuE3ELNS1_3repE0EEENS1_30default_config_static_selectorELNS0_4arch9wavefront6targetE0EEEvSY_.kd
    .uniform_work_group_size: 1
    .uses_dynamic_stack: false
    .vgpr_count:     0
    .vgpr_spill_count: 0
    .wavefront_size: 32
    .workgroup_processor_mode: 1
  - .args:
      - .offset:         0
        .size:           144
        .value_kind:     by_value
    .group_segment_fixed_size: 13320
    .kernarg_segment_align: 8
    .kernarg_segment_size: 144
    .language:       OpenCL C
    .language_version:
      - 2
      - 0
    .max_flat_workgroup_size: 256
    .name:           _ZN7rocprim17ROCPRIM_400000_NS6detail17trampoline_kernelINS0_13select_configILj256ELj13ELNS0_17block_load_methodE3ELS4_3ELS4_3ELNS0_20block_scan_algorithmE0ELj4294967295EEENS1_25partition_config_selectorILNS1_17partition_subalgoE3EjNS0_10empty_typeEbEEZZNS1_14partition_implILS8_3ELb0ES6_jNS0_17counting_iteratorIjlEEPS9_SE_NS0_5tupleIJPjSE_EEENSF_IJSE_SE_EEES9_SG_JZNS1_25segmented_radix_sort_implINS0_14default_configELb0EPKsPsPKlPlN2at6native12_GLOBAL__N_18offset_tEEE10hipError_tPvRmT1_PNSt15iterator_traitsISY_E10value_typeET2_T3_PNSZ_IS14_E10value_typeET4_jRbjT5_S1A_jjP12ihipStream_tbEUljE_EEESV_SW_SX_S14_S18_S1A_T6_T7_T9_mT8_S1C_bDpT10_ENKUlT_T0_E_clISt17integral_constantIbLb0EES1P_EEDaS1K_S1L_EUlS1K_E_NS1_11comp_targetILNS1_3genE8ELNS1_11target_archE1030ELNS1_3gpuE2ELNS1_3repE0EEENS1_30default_config_static_selectorELNS0_4arch9wavefront6targetE0EEEvSY_
    .private_segment_fixed_size: 0
    .sgpr_count:     29
    .sgpr_spill_count: 0
    .symbol:         _ZN7rocprim17ROCPRIM_400000_NS6detail17trampoline_kernelINS0_13select_configILj256ELj13ELNS0_17block_load_methodE3ELS4_3ELS4_3ELNS0_20block_scan_algorithmE0ELj4294967295EEENS1_25partition_config_selectorILNS1_17partition_subalgoE3EjNS0_10empty_typeEbEEZZNS1_14partition_implILS8_3ELb0ES6_jNS0_17counting_iteratorIjlEEPS9_SE_NS0_5tupleIJPjSE_EEENSF_IJSE_SE_EEES9_SG_JZNS1_25segmented_radix_sort_implINS0_14default_configELb0EPKsPsPKlPlN2at6native12_GLOBAL__N_18offset_tEEE10hipError_tPvRmT1_PNSt15iterator_traitsISY_E10value_typeET2_T3_PNSZ_IS14_E10value_typeET4_jRbjT5_S1A_jjP12ihipStream_tbEUljE_EEESV_SW_SX_S14_S18_S1A_T6_T7_T9_mT8_S1C_bDpT10_ENKUlT_T0_E_clISt17integral_constantIbLb0EES1P_EEDaS1K_S1L_EUlS1K_E_NS1_11comp_targetILNS1_3genE8ELNS1_11target_archE1030ELNS1_3gpuE2ELNS1_3repE0EEENS1_30default_config_static_selectorELNS0_4arch9wavefront6targetE0EEEvSY_.kd
    .uniform_work_group_size: 1
    .uses_dynamic_stack: false
    .vgpr_count:     69
    .vgpr_spill_count: 0
    .wavefront_size: 32
    .workgroup_processor_mode: 1
  - .args:
      - .offset:         0
        .size:           152
        .value_kind:     by_value
    .group_segment_fixed_size: 0
    .kernarg_segment_align: 8
    .kernarg_segment_size: 152
    .language:       OpenCL C
    .language_version:
      - 2
      - 0
    .max_flat_workgroup_size: 256
    .name:           _ZN7rocprim17ROCPRIM_400000_NS6detail17trampoline_kernelINS0_13select_configILj256ELj13ELNS0_17block_load_methodE3ELS4_3ELS4_3ELNS0_20block_scan_algorithmE0ELj4294967295EEENS1_25partition_config_selectorILNS1_17partition_subalgoE3EjNS0_10empty_typeEbEEZZNS1_14partition_implILS8_3ELb0ES6_jNS0_17counting_iteratorIjlEEPS9_SE_NS0_5tupleIJPjSE_EEENSF_IJSE_SE_EEES9_SG_JZNS1_25segmented_radix_sort_implINS0_14default_configELb0EPKsPsPKlPlN2at6native12_GLOBAL__N_18offset_tEEE10hipError_tPvRmT1_PNSt15iterator_traitsISY_E10value_typeET2_T3_PNSZ_IS14_E10value_typeET4_jRbjT5_S1A_jjP12ihipStream_tbEUljE_EEESV_SW_SX_S14_S18_S1A_T6_T7_T9_mT8_S1C_bDpT10_ENKUlT_T0_E_clISt17integral_constantIbLb1EES1P_EEDaS1K_S1L_EUlS1K_E_NS1_11comp_targetILNS1_3genE0ELNS1_11target_archE4294967295ELNS1_3gpuE0ELNS1_3repE0EEENS1_30default_config_static_selectorELNS0_4arch9wavefront6targetE0EEEvSY_
    .private_segment_fixed_size: 0
    .sgpr_count:     0
    .sgpr_spill_count: 0
    .symbol:         _ZN7rocprim17ROCPRIM_400000_NS6detail17trampoline_kernelINS0_13select_configILj256ELj13ELNS0_17block_load_methodE3ELS4_3ELS4_3ELNS0_20block_scan_algorithmE0ELj4294967295EEENS1_25partition_config_selectorILNS1_17partition_subalgoE3EjNS0_10empty_typeEbEEZZNS1_14partition_implILS8_3ELb0ES6_jNS0_17counting_iteratorIjlEEPS9_SE_NS0_5tupleIJPjSE_EEENSF_IJSE_SE_EEES9_SG_JZNS1_25segmented_radix_sort_implINS0_14default_configELb0EPKsPsPKlPlN2at6native12_GLOBAL__N_18offset_tEEE10hipError_tPvRmT1_PNSt15iterator_traitsISY_E10value_typeET2_T3_PNSZ_IS14_E10value_typeET4_jRbjT5_S1A_jjP12ihipStream_tbEUljE_EEESV_SW_SX_S14_S18_S1A_T6_T7_T9_mT8_S1C_bDpT10_ENKUlT_T0_E_clISt17integral_constantIbLb1EES1P_EEDaS1K_S1L_EUlS1K_E_NS1_11comp_targetILNS1_3genE0ELNS1_11target_archE4294967295ELNS1_3gpuE0ELNS1_3repE0EEENS1_30default_config_static_selectorELNS0_4arch9wavefront6targetE0EEEvSY_.kd
    .uniform_work_group_size: 1
    .uses_dynamic_stack: false
    .vgpr_count:     0
    .vgpr_spill_count: 0
    .wavefront_size: 32
    .workgroup_processor_mode: 1
  - .args:
      - .offset:         0
        .size:           152
        .value_kind:     by_value
    .group_segment_fixed_size: 0
    .kernarg_segment_align: 8
    .kernarg_segment_size: 152
    .language:       OpenCL C
    .language_version:
      - 2
      - 0
    .max_flat_workgroup_size: 256
    .name:           _ZN7rocprim17ROCPRIM_400000_NS6detail17trampoline_kernelINS0_13select_configILj256ELj13ELNS0_17block_load_methodE3ELS4_3ELS4_3ELNS0_20block_scan_algorithmE0ELj4294967295EEENS1_25partition_config_selectorILNS1_17partition_subalgoE3EjNS0_10empty_typeEbEEZZNS1_14partition_implILS8_3ELb0ES6_jNS0_17counting_iteratorIjlEEPS9_SE_NS0_5tupleIJPjSE_EEENSF_IJSE_SE_EEES9_SG_JZNS1_25segmented_radix_sort_implINS0_14default_configELb0EPKsPsPKlPlN2at6native12_GLOBAL__N_18offset_tEEE10hipError_tPvRmT1_PNSt15iterator_traitsISY_E10value_typeET2_T3_PNSZ_IS14_E10value_typeET4_jRbjT5_S1A_jjP12ihipStream_tbEUljE_EEESV_SW_SX_S14_S18_S1A_T6_T7_T9_mT8_S1C_bDpT10_ENKUlT_T0_E_clISt17integral_constantIbLb1EES1P_EEDaS1K_S1L_EUlS1K_E_NS1_11comp_targetILNS1_3genE5ELNS1_11target_archE942ELNS1_3gpuE9ELNS1_3repE0EEENS1_30default_config_static_selectorELNS0_4arch9wavefront6targetE0EEEvSY_
    .private_segment_fixed_size: 0
    .sgpr_count:     0
    .sgpr_spill_count: 0
    .symbol:         _ZN7rocprim17ROCPRIM_400000_NS6detail17trampoline_kernelINS0_13select_configILj256ELj13ELNS0_17block_load_methodE3ELS4_3ELS4_3ELNS0_20block_scan_algorithmE0ELj4294967295EEENS1_25partition_config_selectorILNS1_17partition_subalgoE3EjNS0_10empty_typeEbEEZZNS1_14partition_implILS8_3ELb0ES6_jNS0_17counting_iteratorIjlEEPS9_SE_NS0_5tupleIJPjSE_EEENSF_IJSE_SE_EEES9_SG_JZNS1_25segmented_radix_sort_implINS0_14default_configELb0EPKsPsPKlPlN2at6native12_GLOBAL__N_18offset_tEEE10hipError_tPvRmT1_PNSt15iterator_traitsISY_E10value_typeET2_T3_PNSZ_IS14_E10value_typeET4_jRbjT5_S1A_jjP12ihipStream_tbEUljE_EEESV_SW_SX_S14_S18_S1A_T6_T7_T9_mT8_S1C_bDpT10_ENKUlT_T0_E_clISt17integral_constantIbLb1EES1P_EEDaS1K_S1L_EUlS1K_E_NS1_11comp_targetILNS1_3genE5ELNS1_11target_archE942ELNS1_3gpuE9ELNS1_3repE0EEENS1_30default_config_static_selectorELNS0_4arch9wavefront6targetE0EEEvSY_.kd
    .uniform_work_group_size: 1
    .uses_dynamic_stack: false
    .vgpr_count:     0
    .vgpr_spill_count: 0
    .wavefront_size: 32
    .workgroup_processor_mode: 1
  - .args:
      - .offset:         0
        .size:           152
        .value_kind:     by_value
    .group_segment_fixed_size: 0
    .kernarg_segment_align: 8
    .kernarg_segment_size: 152
    .language:       OpenCL C
    .language_version:
      - 2
      - 0
    .max_flat_workgroup_size: 256
    .name:           _ZN7rocprim17ROCPRIM_400000_NS6detail17trampoline_kernelINS0_13select_configILj256ELj13ELNS0_17block_load_methodE3ELS4_3ELS4_3ELNS0_20block_scan_algorithmE0ELj4294967295EEENS1_25partition_config_selectorILNS1_17partition_subalgoE3EjNS0_10empty_typeEbEEZZNS1_14partition_implILS8_3ELb0ES6_jNS0_17counting_iteratorIjlEEPS9_SE_NS0_5tupleIJPjSE_EEENSF_IJSE_SE_EEES9_SG_JZNS1_25segmented_radix_sort_implINS0_14default_configELb0EPKsPsPKlPlN2at6native12_GLOBAL__N_18offset_tEEE10hipError_tPvRmT1_PNSt15iterator_traitsISY_E10value_typeET2_T3_PNSZ_IS14_E10value_typeET4_jRbjT5_S1A_jjP12ihipStream_tbEUljE_EEESV_SW_SX_S14_S18_S1A_T6_T7_T9_mT8_S1C_bDpT10_ENKUlT_T0_E_clISt17integral_constantIbLb1EES1P_EEDaS1K_S1L_EUlS1K_E_NS1_11comp_targetILNS1_3genE4ELNS1_11target_archE910ELNS1_3gpuE8ELNS1_3repE0EEENS1_30default_config_static_selectorELNS0_4arch9wavefront6targetE0EEEvSY_
    .private_segment_fixed_size: 0
    .sgpr_count:     0
    .sgpr_spill_count: 0
    .symbol:         _ZN7rocprim17ROCPRIM_400000_NS6detail17trampoline_kernelINS0_13select_configILj256ELj13ELNS0_17block_load_methodE3ELS4_3ELS4_3ELNS0_20block_scan_algorithmE0ELj4294967295EEENS1_25partition_config_selectorILNS1_17partition_subalgoE3EjNS0_10empty_typeEbEEZZNS1_14partition_implILS8_3ELb0ES6_jNS0_17counting_iteratorIjlEEPS9_SE_NS0_5tupleIJPjSE_EEENSF_IJSE_SE_EEES9_SG_JZNS1_25segmented_radix_sort_implINS0_14default_configELb0EPKsPsPKlPlN2at6native12_GLOBAL__N_18offset_tEEE10hipError_tPvRmT1_PNSt15iterator_traitsISY_E10value_typeET2_T3_PNSZ_IS14_E10value_typeET4_jRbjT5_S1A_jjP12ihipStream_tbEUljE_EEESV_SW_SX_S14_S18_S1A_T6_T7_T9_mT8_S1C_bDpT10_ENKUlT_T0_E_clISt17integral_constantIbLb1EES1P_EEDaS1K_S1L_EUlS1K_E_NS1_11comp_targetILNS1_3genE4ELNS1_11target_archE910ELNS1_3gpuE8ELNS1_3repE0EEENS1_30default_config_static_selectorELNS0_4arch9wavefront6targetE0EEEvSY_.kd
    .uniform_work_group_size: 1
    .uses_dynamic_stack: false
    .vgpr_count:     0
    .vgpr_spill_count: 0
    .wavefront_size: 32
    .workgroup_processor_mode: 1
  - .args:
      - .offset:         0
        .size:           152
        .value_kind:     by_value
    .group_segment_fixed_size: 0
    .kernarg_segment_align: 8
    .kernarg_segment_size: 152
    .language:       OpenCL C
    .language_version:
      - 2
      - 0
    .max_flat_workgroup_size: 256
    .name:           _ZN7rocprim17ROCPRIM_400000_NS6detail17trampoline_kernelINS0_13select_configILj256ELj13ELNS0_17block_load_methodE3ELS4_3ELS4_3ELNS0_20block_scan_algorithmE0ELj4294967295EEENS1_25partition_config_selectorILNS1_17partition_subalgoE3EjNS0_10empty_typeEbEEZZNS1_14partition_implILS8_3ELb0ES6_jNS0_17counting_iteratorIjlEEPS9_SE_NS0_5tupleIJPjSE_EEENSF_IJSE_SE_EEES9_SG_JZNS1_25segmented_radix_sort_implINS0_14default_configELb0EPKsPsPKlPlN2at6native12_GLOBAL__N_18offset_tEEE10hipError_tPvRmT1_PNSt15iterator_traitsISY_E10value_typeET2_T3_PNSZ_IS14_E10value_typeET4_jRbjT5_S1A_jjP12ihipStream_tbEUljE_EEESV_SW_SX_S14_S18_S1A_T6_T7_T9_mT8_S1C_bDpT10_ENKUlT_T0_E_clISt17integral_constantIbLb1EES1P_EEDaS1K_S1L_EUlS1K_E_NS1_11comp_targetILNS1_3genE3ELNS1_11target_archE908ELNS1_3gpuE7ELNS1_3repE0EEENS1_30default_config_static_selectorELNS0_4arch9wavefront6targetE0EEEvSY_
    .private_segment_fixed_size: 0
    .sgpr_count:     0
    .sgpr_spill_count: 0
    .symbol:         _ZN7rocprim17ROCPRIM_400000_NS6detail17trampoline_kernelINS0_13select_configILj256ELj13ELNS0_17block_load_methodE3ELS4_3ELS4_3ELNS0_20block_scan_algorithmE0ELj4294967295EEENS1_25partition_config_selectorILNS1_17partition_subalgoE3EjNS0_10empty_typeEbEEZZNS1_14partition_implILS8_3ELb0ES6_jNS0_17counting_iteratorIjlEEPS9_SE_NS0_5tupleIJPjSE_EEENSF_IJSE_SE_EEES9_SG_JZNS1_25segmented_radix_sort_implINS0_14default_configELb0EPKsPsPKlPlN2at6native12_GLOBAL__N_18offset_tEEE10hipError_tPvRmT1_PNSt15iterator_traitsISY_E10value_typeET2_T3_PNSZ_IS14_E10value_typeET4_jRbjT5_S1A_jjP12ihipStream_tbEUljE_EEESV_SW_SX_S14_S18_S1A_T6_T7_T9_mT8_S1C_bDpT10_ENKUlT_T0_E_clISt17integral_constantIbLb1EES1P_EEDaS1K_S1L_EUlS1K_E_NS1_11comp_targetILNS1_3genE3ELNS1_11target_archE908ELNS1_3gpuE7ELNS1_3repE0EEENS1_30default_config_static_selectorELNS0_4arch9wavefront6targetE0EEEvSY_.kd
    .uniform_work_group_size: 1
    .uses_dynamic_stack: false
    .vgpr_count:     0
    .vgpr_spill_count: 0
    .wavefront_size: 32
    .workgroup_processor_mode: 1
  - .args:
      - .offset:         0
        .size:           152
        .value_kind:     by_value
    .group_segment_fixed_size: 0
    .kernarg_segment_align: 8
    .kernarg_segment_size: 152
    .language:       OpenCL C
    .language_version:
      - 2
      - 0
    .max_flat_workgroup_size: 256
    .name:           _ZN7rocprim17ROCPRIM_400000_NS6detail17trampoline_kernelINS0_13select_configILj256ELj13ELNS0_17block_load_methodE3ELS4_3ELS4_3ELNS0_20block_scan_algorithmE0ELj4294967295EEENS1_25partition_config_selectorILNS1_17partition_subalgoE3EjNS0_10empty_typeEbEEZZNS1_14partition_implILS8_3ELb0ES6_jNS0_17counting_iteratorIjlEEPS9_SE_NS0_5tupleIJPjSE_EEENSF_IJSE_SE_EEES9_SG_JZNS1_25segmented_radix_sort_implINS0_14default_configELb0EPKsPsPKlPlN2at6native12_GLOBAL__N_18offset_tEEE10hipError_tPvRmT1_PNSt15iterator_traitsISY_E10value_typeET2_T3_PNSZ_IS14_E10value_typeET4_jRbjT5_S1A_jjP12ihipStream_tbEUljE_EEESV_SW_SX_S14_S18_S1A_T6_T7_T9_mT8_S1C_bDpT10_ENKUlT_T0_E_clISt17integral_constantIbLb1EES1P_EEDaS1K_S1L_EUlS1K_E_NS1_11comp_targetILNS1_3genE2ELNS1_11target_archE906ELNS1_3gpuE6ELNS1_3repE0EEENS1_30default_config_static_selectorELNS0_4arch9wavefront6targetE0EEEvSY_
    .private_segment_fixed_size: 0
    .sgpr_count:     0
    .sgpr_spill_count: 0
    .symbol:         _ZN7rocprim17ROCPRIM_400000_NS6detail17trampoline_kernelINS0_13select_configILj256ELj13ELNS0_17block_load_methodE3ELS4_3ELS4_3ELNS0_20block_scan_algorithmE0ELj4294967295EEENS1_25partition_config_selectorILNS1_17partition_subalgoE3EjNS0_10empty_typeEbEEZZNS1_14partition_implILS8_3ELb0ES6_jNS0_17counting_iteratorIjlEEPS9_SE_NS0_5tupleIJPjSE_EEENSF_IJSE_SE_EEES9_SG_JZNS1_25segmented_radix_sort_implINS0_14default_configELb0EPKsPsPKlPlN2at6native12_GLOBAL__N_18offset_tEEE10hipError_tPvRmT1_PNSt15iterator_traitsISY_E10value_typeET2_T3_PNSZ_IS14_E10value_typeET4_jRbjT5_S1A_jjP12ihipStream_tbEUljE_EEESV_SW_SX_S14_S18_S1A_T6_T7_T9_mT8_S1C_bDpT10_ENKUlT_T0_E_clISt17integral_constantIbLb1EES1P_EEDaS1K_S1L_EUlS1K_E_NS1_11comp_targetILNS1_3genE2ELNS1_11target_archE906ELNS1_3gpuE6ELNS1_3repE0EEENS1_30default_config_static_selectorELNS0_4arch9wavefront6targetE0EEEvSY_.kd
    .uniform_work_group_size: 1
    .uses_dynamic_stack: false
    .vgpr_count:     0
    .vgpr_spill_count: 0
    .wavefront_size: 32
    .workgroup_processor_mode: 1
  - .args:
      - .offset:         0
        .size:           152
        .value_kind:     by_value
    .group_segment_fixed_size: 0
    .kernarg_segment_align: 8
    .kernarg_segment_size: 152
    .language:       OpenCL C
    .language_version:
      - 2
      - 0
    .max_flat_workgroup_size: 256
    .name:           _ZN7rocprim17ROCPRIM_400000_NS6detail17trampoline_kernelINS0_13select_configILj256ELj13ELNS0_17block_load_methodE3ELS4_3ELS4_3ELNS0_20block_scan_algorithmE0ELj4294967295EEENS1_25partition_config_selectorILNS1_17partition_subalgoE3EjNS0_10empty_typeEbEEZZNS1_14partition_implILS8_3ELb0ES6_jNS0_17counting_iteratorIjlEEPS9_SE_NS0_5tupleIJPjSE_EEENSF_IJSE_SE_EEES9_SG_JZNS1_25segmented_radix_sort_implINS0_14default_configELb0EPKsPsPKlPlN2at6native12_GLOBAL__N_18offset_tEEE10hipError_tPvRmT1_PNSt15iterator_traitsISY_E10value_typeET2_T3_PNSZ_IS14_E10value_typeET4_jRbjT5_S1A_jjP12ihipStream_tbEUljE_EEESV_SW_SX_S14_S18_S1A_T6_T7_T9_mT8_S1C_bDpT10_ENKUlT_T0_E_clISt17integral_constantIbLb1EES1P_EEDaS1K_S1L_EUlS1K_E_NS1_11comp_targetILNS1_3genE10ELNS1_11target_archE1200ELNS1_3gpuE4ELNS1_3repE0EEENS1_30default_config_static_selectorELNS0_4arch9wavefront6targetE0EEEvSY_
    .private_segment_fixed_size: 0
    .sgpr_count:     0
    .sgpr_spill_count: 0
    .symbol:         _ZN7rocprim17ROCPRIM_400000_NS6detail17trampoline_kernelINS0_13select_configILj256ELj13ELNS0_17block_load_methodE3ELS4_3ELS4_3ELNS0_20block_scan_algorithmE0ELj4294967295EEENS1_25partition_config_selectorILNS1_17partition_subalgoE3EjNS0_10empty_typeEbEEZZNS1_14partition_implILS8_3ELb0ES6_jNS0_17counting_iteratorIjlEEPS9_SE_NS0_5tupleIJPjSE_EEENSF_IJSE_SE_EEES9_SG_JZNS1_25segmented_radix_sort_implINS0_14default_configELb0EPKsPsPKlPlN2at6native12_GLOBAL__N_18offset_tEEE10hipError_tPvRmT1_PNSt15iterator_traitsISY_E10value_typeET2_T3_PNSZ_IS14_E10value_typeET4_jRbjT5_S1A_jjP12ihipStream_tbEUljE_EEESV_SW_SX_S14_S18_S1A_T6_T7_T9_mT8_S1C_bDpT10_ENKUlT_T0_E_clISt17integral_constantIbLb1EES1P_EEDaS1K_S1L_EUlS1K_E_NS1_11comp_targetILNS1_3genE10ELNS1_11target_archE1200ELNS1_3gpuE4ELNS1_3repE0EEENS1_30default_config_static_selectorELNS0_4arch9wavefront6targetE0EEEvSY_.kd
    .uniform_work_group_size: 1
    .uses_dynamic_stack: false
    .vgpr_count:     0
    .vgpr_spill_count: 0
    .wavefront_size: 32
    .workgroup_processor_mode: 1
  - .args:
      - .offset:         0
        .size:           152
        .value_kind:     by_value
    .group_segment_fixed_size: 0
    .kernarg_segment_align: 8
    .kernarg_segment_size: 152
    .language:       OpenCL C
    .language_version:
      - 2
      - 0
    .max_flat_workgroup_size: 256
    .name:           _ZN7rocprim17ROCPRIM_400000_NS6detail17trampoline_kernelINS0_13select_configILj256ELj13ELNS0_17block_load_methodE3ELS4_3ELS4_3ELNS0_20block_scan_algorithmE0ELj4294967295EEENS1_25partition_config_selectorILNS1_17partition_subalgoE3EjNS0_10empty_typeEbEEZZNS1_14partition_implILS8_3ELb0ES6_jNS0_17counting_iteratorIjlEEPS9_SE_NS0_5tupleIJPjSE_EEENSF_IJSE_SE_EEES9_SG_JZNS1_25segmented_radix_sort_implINS0_14default_configELb0EPKsPsPKlPlN2at6native12_GLOBAL__N_18offset_tEEE10hipError_tPvRmT1_PNSt15iterator_traitsISY_E10value_typeET2_T3_PNSZ_IS14_E10value_typeET4_jRbjT5_S1A_jjP12ihipStream_tbEUljE_EEESV_SW_SX_S14_S18_S1A_T6_T7_T9_mT8_S1C_bDpT10_ENKUlT_T0_E_clISt17integral_constantIbLb1EES1P_EEDaS1K_S1L_EUlS1K_E_NS1_11comp_targetILNS1_3genE9ELNS1_11target_archE1100ELNS1_3gpuE3ELNS1_3repE0EEENS1_30default_config_static_selectorELNS0_4arch9wavefront6targetE0EEEvSY_
    .private_segment_fixed_size: 0
    .sgpr_count:     0
    .sgpr_spill_count: 0
    .symbol:         _ZN7rocprim17ROCPRIM_400000_NS6detail17trampoline_kernelINS0_13select_configILj256ELj13ELNS0_17block_load_methodE3ELS4_3ELS4_3ELNS0_20block_scan_algorithmE0ELj4294967295EEENS1_25partition_config_selectorILNS1_17partition_subalgoE3EjNS0_10empty_typeEbEEZZNS1_14partition_implILS8_3ELb0ES6_jNS0_17counting_iteratorIjlEEPS9_SE_NS0_5tupleIJPjSE_EEENSF_IJSE_SE_EEES9_SG_JZNS1_25segmented_radix_sort_implINS0_14default_configELb0EPKsPsPKlPlN2at6native12_GLOBAL__N_18offset_tEEE10hipError_tPvRmT1_PNSt15iterator_traitsISY_E10value_typeET2_T3_PNSZ_IS14_E10value_typeET4_jRbjT5_S1A_jjP12ihipStream_tbEUljE_EEESV_SW_SX_S14_S18_S1A_T6_T7_T9_mT8_S1C_bDpT10_ENKUlT_T0_E_clISt17integral_constantIbLb1EES1P_EEDaS1K_S1L_EUlS1K_E_NS1_11comp_targetILNS1_3genE9ELNS1_11target_archE1100ELNS1_3gpuE3ELNS1_3repE0EEENS1_30default_config_static_selectorELNS0_4arch9wavefront6targetE0EEEvSY_.kd
    .uniform_work_group_size: 1
    .uses_dynamic_stack: false
    .vgpr_count:     0
    .vgpr_spill_count: 0
    .wavefront_size: 32
    .workgroup_processor_mode: 1
  - .args:
      - .offset:         0
        .size:           152
        .value_kind:     by_value
    .group_segment_fixed_size: 0
    .kernarg_segment_align: 8
    .kernarg_segment_size: 152
    .language:       OpenCL C
    .language_version:
      - 2
      - 0
    .max_flat_workgroup_size: 256
    .name:           _ZN7rocprim17ROCPRIM_400000_NS6detail17trampoline_kernelINS0_13select_configILj256ELj13ELNS0_17block_load_methodE3ELS4_3ELS4_3ELNS0_20block_scan_algorithmE0ELj4294967295EEENS1_25partition_config_selectorILNS1_17partition_subalgoE3EjNS0_10empty_typeEbEEZZNS1_14partition_implILS8_3ELb0ES6_jNS0_17counting_iteratorIjlEEPS9_SE_NS0_5tupleIJPjSE_EEENSF_IJSE_SE_EEES9_SG_JZNS1_25segmented_radix_sort_implINS0_14default_configELb0EPKsPsPKlPlN2at6native12_GLOBAL__N_18offset_tEEE10hipError_tPvRmT1_PNSt15iterator_traitsISY_E10value_typeET2_T3_PNSZ_IS14_E10value_typeET4_jRbjT5_S1A_jjP12ihipStream_tbEUljE_EEESV_SW_SX_S14_S18_S1A_T6_T7_T9_mT8_S1C_bDpT10_ENKUlT_T0_E_clISt17integral_constantIbLb1EES1P_EEDaS1K_S1L_EUlS1K_E_NS1_11comp_targetILNS1_3genE8ELNS1_11target_archE1030ELNS1_3gpuE2ELNS1_3repE0EEENS1_30default_config_static_selectorELNS0_4arch9wavefront6targetE0EEEvSY_
    .private_segment_fixed_size: 0
    .sgpr_count:     0
    .sgpr_spill_count: 0
    .symbol:         _ZN7rocprim17ROCPRIM_400000_NS6detail17trampoline_kernelINS0_13select_configILj256ELj13ELNS0_17block_load_methodE3ELS4_3ELS4_3ELNS0_20block_scan_algorithmE0ELj4294967295EEENS1_25partition_config_selectorILNS1_17partition_subalgoE3EjNS0_10empty_typeEbEEZZNS1_14partition_implILS8_3ELb0ES6_jNS0_17counting_iteratorIjlEEPS9_SE_NS0_5tupleIJPjSE_EEENSF_IJSE_SE_EEES9_SG_JZNS1_25segmented_radix_sort_implINS0_14default_configELb0EPKsPsPKlPlN2at6native12_GLOBAL__N_18offset_tEEE10hipError_tPvRmT1_PNSt15iterator_traitsISY_E10value_typeET2_T3_PNSZ_IS14_E10value_typeET4_jRbjT5_S1A_jjP12ihipStream_tbEUljE_EEESV_SW_SX_S14_S18_S1A_T6_T7_T9_mT8_S1C_bDpT10_ENKUlT_T0_E_clISt17integral_constantIbLb1EES1P_EEDaS1K_S1L_EUlS1K_E_NS1_11comp_targetILNS1_3genE8ELNS1_11target_archE1030ELNS1_3gpuE2ELNS1_3repE0EEENS1_30default_config_static_selectorELNS0_4arch9wavefront6targetE0EEEvSY_.kd
    .uniform_work_group_size: 1
    .uses_dynamic_stack: false
    .vgpr_count:     0
    .vgpr_spill_count: 0
    .wavefront_size: 32
    .workgroup_processor_mode: 1
  - .args:
      - .offset:         0
        .size:           144
        .value_kind:     by_value
    .group_segment_fixed_size: 0
    .kernarg_segment_align: 8
    .kernarg_segment_size: 144
    .language:       OpenCL C
    .language_version:
      - 2
      - 0
    .max_flat_workgroup_size: 256
    .name:           _ZN7rocprim17ROCPRIM_400000_NS6detail17trampoline_kernelINS0_13select_configILj256ELj13ELNS0_17block_load_methodE3ELS4_3ELS4_3ELNS0_20block_scan_algorithmE0ELj4294967295EEENS1_25partition_config_selectorILNS1_17partition_subalgoE3EjNS0_10empty_typeEbEEZZNS1_14partition_implILS8_3ELb0ES6_jNS0_17counting_iteratorIjlEEPS9_SE_NS0_5tupleIJPjSE_EEENSF_IJSE_SE_EEES9_SG_JZNS1_25segmented_radix_sort_implINS0_14default_configELb0EPKsPsPKlPlN2at6native12_GLOBAL__N_18offset_tEEE10hipError_tPvRmT1_PNSt15iterator_traitsISY_E10value_typeET2_T3_PNSZ_IS14_E10value_typeET4_jRbjT5_S1A_jjP12ihipStream_tbEUljE_EEESV_SW_SX_S14_S18_S1A_T6_T7_T9_mT8_S1C_bDpT10_ENKUlT_T0_E_clISt17integral_constantIbLb1EES1O_IbLb0EEEEDaS1K_S1L_EUlS1K_E_NS1_11comp_targetILNS1_3genE0ELNS1_11target_archE4294967295ELNS1_3gpuE0ELNS1_3repE0EEENS1_30default_config_static_selectorELNS0_4arch9wavefront6targetE0EEEvSY_
    .private_segment_fixed_size: 0
    .sgpr_count:     0
    .sgpr_spill_count: 0
    .symbol:         _ZN7rocprim17ROCPRIM_400000_NS6detail17trampoline_kernelINS0_13select_configILj256ELj13ELNS0_17block_load_methodE3ELS4_3ELS4_3ELNS0_20block_scan_algorithmE0ELj4294967295EEENS1_25partition_config_selectorILNS1_17partition_subalgoE3EjNS0_10empty_typeEbEEZZNS1_14partition_implILS8_3ELb0ES6_jNS0_17counting_iteratorIjlEEPS9_SE_NS0_5tupleIJPjSE_EEENSF_IJSE_SE_EEES9_SG_JZNS1_25segmented_radix_sort_implINS0_14default_configELb0EPKsPsPKlPlN2at6native12_GLOBAL__N_18offset_tEEE10hipError_tPvRmT1_PNSt15iterator_traitsISY_E10value_typeET2_T3_PNSZ_IS14_E10value_typeET4_jRbjT5_S1A_jjP12ihipStream_tbEUljE_EEESV_SW_SX_S14_S18_S1A_T6_T7_T9_mT8_S1C_bDpT10_ENKUlT_T0_E_clISt17integral_constantIbLb1EES1O_IbLb0EEEEDaS1K_S1L_EUlS1K_E_NS1_11comp_targetILNS1_3genE0ELNS1_11target_archE4294967295ELNS1_3gpuE0ELNS1_3repE0EEENS1_30default_config_static_selectorELNS0_4arch9wavefront6targetE0EEEvSY_.kd
    .uniform_work_group_size: 1
    .uses_dynamic_stack: false
    .vgpr_count:     0
    .vgpr_spill_count: 0
    .wavefront_size: 32
    .workgroup_processor_mode: 1
  - .args:
      - .offset:         0
        .size:           144
        .value_kind:     by_value
    .group_segment_fixed_size: 0
    .kernarg_segment_align: 8
    .kernarg_segment_size: 144
    .language:       OpenCL C
    .language_version:
      - 2
      - 0
    .max_flat_workgroup_size: 256
    .name:           _ZN7rocprim17ROCPRIM_400000_NS6detail17trampoline_kernelINS0_13select_configILj256ELj13ELNS0_17block_load_methodE3ELS4_3ELS4_3ELNS0_20block_scan_algorithmE0ELj4294967295EEENS1_25partition_config_selectorILNS1_17partition_subalgoE3EjNS0_10empty_typeEbEEZZNS1_14partition_implILS8_3ELb0ES6_jNS0_17counting_iteratorIjlEEPS9_SE_NS0_5tupleIJPjSE_EEENSF_IJSE_SE_EEES9_SG_JZNS1_25segmented_radix_sort_implINS0_14default_configELb0EPKsPsPKlPlN2at6native12_GLOBAL__N_18offset_tEEE10hipError_tPvRmT1_PNSt15iterator_traitsISY_E10value_typeET2_T3_PNSZ_IS14_E10value_typeET4_jRbjT5_S1A_jjP12ihipStream_tbEUljE_EEESV_SW_SX_S14_S18_S1A_T6_T7_T9_mT8_S1C_bDpT10_ENKUlT_T0_E_clISt17integral_constantIbLb1EES1O_IbLb0EEEEDaS1K_S1L_EUlS1K_E_NS1_11comp_targetILNS1_3genE5ELNS1_11target_archE942ELNS1_3gpuE9ELNS1_3repE0EEENS1_30default_config_static_selectorELNS0_4arch9wavefront6targetE0EEEvSY_
    .private_segment_fixed_size: 0
    .sgpr_count:     0
    .sgpr_spill_count: 0
    .symbol:         _ZN7rocprim17ROCPRIM_400000_NS6detail17trampoline_kernelINS0_13select_configILj256ELj13ELNS0_17block_load_methodE3ELS4_3ELS4_3ELNS0_20block_scan_algorithmE0ELj4294967295EEENS1_25partition_config_selectorILNS1_17partition_subalgoE3EjNS0_10empty_typeEbEEZZNS1_14partition_implILS8_3ELb0ES6_jNS0_17counting_iteratorIjlEEPS9_SE_NS0_5tupleIJPjSE_EEENSF_IJSE_SE_EEES9_SG_JZNS1_25segmented_radix_sort_implINS0_14default_configELb0EPKsPsPKlPlN2at6native12_GLOBAL__N_18offset_tEEE10hipError_tPvRmT1_PNSt15iterator_traitsISY_E10value_typeET2_T3_PNSZ_IS14_E10value_typeET4_jRbjT5_S1A_jjP12ihipStream_tbEUljE_EEESV_SW_SX_S14_S18_S1A_T6_T7_T9_mT8_S1C_bDpT10_ENKUlT_T0_E_clISt17integral_constantIbLb1EES1O_IbLb0EEEEDaS1K_S1L_EUlS1K_E_NS1_11comp_targetILNS1_3genE5ELNS1_11target_archE942ELNS1_3gpuE9ELNS1_3repE0EEENS1_30default_config_static_selectorELNS0_4arch9wavefront6targetE0EEEvSY_.kd
    .uniform_work_group_size: 1
    .uses_dynamic_stack: false
    .vgpr_count:     0
    .vgpr_spill_count: 0
    .wavefront_size: 32
    .workgroup_processor_mode: 1
  - .args:
      - .offset:         0
        .size:           144
        .value_kind:     by_value
    .group_segment_fixed_size: 0
    .kernarg_segment_align: 8
    .kernarg_segment_size: 144
    .language:       OpenCL C
    .language_version:
      - 2
      - 0
    .max_flat_workgroup_size: 256
    .name:           _ZN7rocprim17ROCPRIM_400000_NS6detail17trampoline_kernelINS0_13select_configILj256ELj13ELNS0_17block_load_methodE3ELS4_3ELS4_3ELNS0_20block_scan_algorithmE0ELj4294967295EEENS1_25partition_config_selectorILNS1_17partition_subalgoE3EjNS0_10empty_typeEbEEZZNS1_14partition_implILS8_3ELb0ES6_jNS0_17counting_iteratorIjlEEPS9_SE_NS0_5tupleIJPjSE_EEENSF_IJSE_SE_EEES9_SG_JZNS1_25segmented_radix_sort_implINS0_14default_configELb0EPKsPsPKlPlN2at6native12_GLOBAL__N_18offset_tEEE10hipError_tPvRmT1_PNSt15iterator_traitsISY_E10value_typeET2_T3_PNSZ_IS14_E10value_typeET4_jRbjT5_S1A_jjP12ihipStream_tbEUljE_EEESV_SW_SX_S14_S18_S1A_T6_T7_T9_mT8_S1C_bDpT10_ENKUlT_T0_E_clISt17integral_constantIbLb1EES1O_IbLb0EEEEDaS1K_S1L_EUlS1K_E_NS1_11comp_targetILNS1_3genE4ELNS1_11target_archE910ELNS1_3gpuE8ELNS1_3repE0EEENS1_30default_config_static_selectorELNS0_4arch9wavefront6targetE0EEEvSY_
    .private_segment_fixed_size: 0
    .sgpr_count:     0
    .sgpr_spill_count: 0
    .symbol:         _ZN7rocprim17ROCPRIM_400000_NS6detail17trampoline_kernelINS0_13select_configILj256ELj13ELNS0_17block_load_methodE3ELS4_3ELS4_3ELNS0_20block_scan_algorithmE0ELj4294967295EEENS1_25partition_config_selectorILNS1_17partition_subalgoE3EjNS0_10empty_typeEbEEZZNS1_14partition_implILS8_3ELb0ES6_jNS0_17counting_iteratorIjlEEPS9_SE_NS0_5tupleIJPjSE_EEENSF_IJSE_SE_EEES9_SG_JZNS1_25segmented_radix_sort_implINS0_14default_configELb0EPKsPsPKlPlN2at6native12_GLOBAL__N_18offset_tEEE10hipError_tPvRmT1_PNSt15iterator_traitsISY_E10value_typeET2_T3_PNSZ_IS14_E10value_typeET4_jRbjT5_S1A_jjP12ihipStream_tbEUljE_EEESV_SW_SX_S14_S18_S1A_T6_T7_T9_mT8_S1C_bDpT10_ENKUlT_T0_E_clISt17integral_constantIbLb1EES1O_IbLb0EEEEDaS1K_S1L_EUlS1K_E_NS1_11comp_targetILNS1_3genE4ELNS1_11target_archE910ELNS1_3gpuE8ELNS1_3repE0EEENS1_30default_config_static_selectorELNS0_4arch9wavefront6targetE0EEEvSY_.kd
    .uniform_work_group_size: 1
    .uses_dynamic_stack: false
    .vgpr_count:     0
    .vgpr_spill_count: 0
    .wavefront_size: 32
    .workgroup_processor_mode: 1
  - .args:
      - .offset:         0
        .size:           144
        .value_kind:     by_value
    .group_segment_fixed_size: 0
    .kernarg_segment_align: 8
    .kernarg_segment_size: 144
    .language:       OpenCL C
    .language_version:
      - 2
      - 0
    .max_flat_workgroup_size: 256
    .name:           _ZN7rocprim17ROCPRIM_400000_NS6detail17trampoline_kernelINS0_13select_configILj256ELj13ELNS0_17block_load_methodE3ELS4_3ELS4_3ELNS0_20block_scan_algorithmE0ELj4294967295EEENS1_25partition_config_selectorILNS1_17partition_subalgoE3EjNS0_10empty_typeEbEEZZNS1_14partition_implILS8_3ELb0ES6_jNS0_17counting_iteratorIjlEEPS9_SE_NS0_5tupleIJPjSE_EEENSF_IJSE_SE_EEES9_SG_JZNS1_25segmented_radix_sort_implINS0_14default_configELb0EPKsPsPKlPlN2at6native12_GLOBAL__N_18offset_tEEE10hipError_tPvRmT1_PNSt15iterator_traitsISY_E10value_typeET2_T3_PNSZ_IS14_E10value_typeET4_jRbjT5_S1A_jjP12ihipStream_tbEUljE_EEESV_SW_SX_S14_S18_S1A_T6_T7_T9_mT8_S1C_bDpT10_ENKUlT_T0_E_clISt17integral_constantIbLb1EES1O_IbLb0EEEEDaS1K_S1L_EUlS1K_E_NS1_11comp_targetILNS1_3genE3ELNS1_11target_archE908ELNS1_3gpuE7ELNS1_3repE0EEENS1_30default_config_static_selectorELNS0_4arch9wavefront6targetE0EEEvSY_
    .private_segment_fixed_size: 0
    .sgpr_count:     0
    .sgpr_spill_count: 0
    .symbol:         _ZN7rocprim17ROCPRIM_400000_NS6detail17trampoline_kernelINS0_13select_configILj256ELj13ELNS0_17block_load_methodE3ELS4_3ELS4_3ELNS0_20block_scan_algorithmE0ELj4294967295EEENS1_25partition_config_selectorILNS1_17partition_subalgoE3EjNS0_10empty_typeEbEEZZNS1_14partition_implILS8_3ELb0ES6_jNS0_17counting_iteratorIjlEEPS9_SE_NS0_5tupleIJPjSE_EEENSF_IJSE_SE_EEES9_SG_JZNS1_25segmented_radix_sort_implINS0_14default_configELb0EPKsPsPKlPlN2at6native12_GLOBAL__N_18offset_tEEE10hipError_tPvRmT1_PNSt15iterator_traitsISY_E10value_typeET2_T3_PNSZ_IS14_E10value_typeET4_jRbjT5_S1A_jjP12ihipStream_tbEUljE_EEESV_SW_SX_S14_S18_S1A_T6_T7_T9_mT8_S1C_bDpT10_ENKUlT_T0_E_clISt17integral_constantIbLb1EES1O_IbLb0EEEEDaS1K_S1L_EUlS1K_E_NS1_11comp_targetILNS1_3genE3ELNS1_11target_archE908ELNS1_3gpuE7ELNS1_3repE0EEENS1_30default_config_static_selectorELNS0_4arch9wavefront6targetE0EEEvSY_.kd
    .uniform_work_group_size: 1
    .uses_dynamic_stack: false
    .vgpr_count:     0
    .vgpr_spill_count: 0
    .wavefront_size: 32
    .workgroup_processor_mode: 1
  - .args:
      - .offset:         0
        .size:           144
        .value_kind:     by_value
    .group_segment_fixed_size: 0
    .kernarg_segment_align: 8
    .kernarg_segment_size: 144
    .language:       OpenCL C
    .language_version:
      - 2
      - 0
    .max_flat_workgroup_size: 256
    .name:           _ZN7rocprim17ROCPRIM_400000_NS6detail17trampoline_kernelINS0_13select_configILj256ELj13ELNS0_17block_load_methodE3ELS4_3ELS4_3ELNS0_20block_scan_algorithmE0ELj4294967295EEENS1_25partition_config_selectorILNS1_17partition_subalgoE3EjNS0_10empty_typeEbEEZZNS1_14partition_implILS8_3ELb0ES6_jNS0_17counting_iteratorIjlEEPS9_SE_NS0_5tupleIJPjSE_EEENSF_IJSE_SE_EEES9_SG_JZNS1_25segmented_radix_sort_implINS0_14default_configELb0EPKsPsPKlPlN2at6native12_GLOBAL__N_18offset_tEEE10hipError_tPvRmT1_PNSt15iterator_traitsISY_E10value_typeET2_T3_PNSZ_IS14_E10value_typeET4_jRbjT5_S1A_jjP12ihipStream_tbEUljE_EEESV_SW_SX_S14_S18_S1A_T6_T7_T9_mT8_S1C_bDpT10_ENKUlT_T0_E_clISt17integral_constantIbLb1EES1O_IbLb0EEEEDaS1K_S1L_EUlS1K_E_NS1_11comp_targetILNS1_3genE2ELNS1_11target_archE906ELNS1_3gpuE6ELNS1_3repE0EEENS1_30default_config_static_selectorELNS0_4arch9wavefront6targetE0EEEvSY_
    .private_segment_fixed_size: 0
    .sgpr_count:     0
    .sgpr_spill_count: 0
    .symbol:         _ZN7rocprim17ROCPRIM_400000_NS6detail17trampoline_kernelINS0_13select_configILj256ELj13ELNS0_17block_load_methodE3ELS4_3ELS4_3ELNS0_20block_scan_algorithmE0ELj4294967295EEENS1_25partition_config_selectorILNS1_17partition_subalgoE3EjNS0_10empty_typeEbEEZZNS1_14partition_implILS8_3ELb0ES6_jNS0_17counting_iteratorIjlEEPS9_SE_NS0_5tupleIJPjSE_EEENSF_IJSE_SE_EEES9_SG_JZNS1_25segmented_radix_sort_implINS0_14default_configELb0EPKsPsPKlPlN2at6native12_GLOBAL__N_18offset_tEEE10hipError_tPvRmT1_PNSt15iterator_traitsISY_E10value_typeET2_T3_PNSZ_IS14_E10value_typeET4_jRbjT5_S1A_jjP12ihipStream_tbEUljE_EEESV_SW_SX_S14_S18_S1A_T6_T7_T9_mT8_S1C_bDpT10_ENKUlT_T0_E_clISt17integral_constantIbLb1EES1O_IbLb0EEEEDaS1K_S1L_EUlS1K_E_NS1_11comp_targetILNS1_3genE2ELNS1_11target_archE906ELNS1_3gpuE6ELNS1_3repE0EEENS1_30default_config_static_selectorELNS0_4arch9wavefront6targetE0EEEvSY_.kd
    .uniform_work_group_size: 1
    .uses_dynamic_stack: false
    .vgpr_count:     0
    .vgpr_spill_count: 0
    .wavefront_size: 32
    .workgroup_processor_mode: 1
  - .args:
      - .offset:         0
        .size:           144
        .value_kind:     by_value
    .group_segment_fixed_size: 0
    .kernarg_segment_align: 8
    .kernarg_segment_size: 144
    .language:       OpenCL C
    .language_version:
      - 2
      - 0
    .max_flat_workgroup_size: 256
    .name:           _ZN7rocprim17ROCPRIM_400000_NS6detail17trampoline_kernelINS0_13select_configILj256ELj13ELNS0_17block_load_methodE3ELS4_3ELS4_3ELNS0_20block_scan_algorithmE0ELj4294967295EEENS1_25partition_config_selectorILNS1_17partition_subalgoE3EjNS0_10empty_typeEbEEZZNS1_14partition_implILS8_3ELb0ES6_jNS0_17counting_iteratorIjlEEPS9_SE_NS0_5tupleIJPjSE_EEENSF_IJSE_SE_EEES9_SG_JZNS1_25segmented_radix_sort_implINS0_14default_configELb0EPKsPsPKlPlN2at6native12_GLOBAL__N_18offset_tEEE10hipError_tPvRmT1_PNSt15iterator_traitsISY_E10value_typeET2_T3_PNSZ_IS14_E10value_typeET4_jRbjT5_S1A_jjP12ihipStream_tbEUljE_EEESV_SW_SX_S14_S18_S1A_T6_T7_T9_mT8_S1C_bDpT10_ENKUlT_T0_E_clISt17integral_constantIbLb1EES1O_IbLb0EEEEDaS1K_S1L_EUlS1K_E_NS1_11comp_targetILNS1_3genE10ELNS1_11target_archE1200ELNS1_3gpuE4ELNS1_3repE0EEENS1_30default_config_static_selectorELNS0_4arch9wavefront6targetE0EEEvSY_
    .private_segment_fixed_size: 0
    .sgpr_count:     0
    .sgpr_spill_count: 0
    .symbol:         _ZN7rocprim17ROCPRIM_400000_NS6detail17trampoline_kernelINS0_13select_configILj256ELj13ELNS0_17block_load_methodE3ELS4_3ELS4_3ELNS0_20block_scan_algorithmE0ELj4294967295EEENS1_25partition_config_selectorILNS1_17partition_subalgoE3EjNS0_10empty_typeEbEEZZNS1_14partition_implILS8_3ELb0ES6_jNS0_17counting_iteratorIjlEEPS9_SE_NS0_5tupleIJPjSE_EEENSF_IJSE_SE_EEES9_SG_JZNS1_25segmented_radix_sort_implINS0_14default_configELb0EPKsPsPKlPlN2at6native12_GLOBAL__N_18offset_tEEE10hipError_tPvRmT1_PNSt15iterator_traitsISY_E10value_typeET2_T3_PNSZ_IS14_E10value_typeET4_jRbjT5_S1A_jjP12ihipStream_tbEUljE_EEESV_SW_SX_S14_S18_S1A_T6_T7_T9_mT8_S1C_bDpT10_ENKUlT_T0_E_clISt17integral_constantIbLb1EES1O_IbLb0EEEEDaS1K_S1L_EUlS1K_E_NS1_11comp_targetILNS1_3genE10ELNS1_11target_archE1200ELNS1_3gpuE4ELNS1_3repE0EEENS1_30default_config_static_selectorELNS0_4arch9wavefront6targetE0EEEvSY_.kd
    .uniform_work_group_size: 1
    .uses_dynamic_stack: false
    .vgpr_count:     0
    .vgpr_spill_count: 0
    .wavefront_size: 32
    .workgroup_processor_mode: 1
  - .args:
      - .offset:         0
        .size:           144
        .value_kind:     by_value
    .group_segment_fixed_size: 0
    .kernarg_segment_align: 8
    .kernarg_segment_size: 144
    .language:       OpenCL C
    .language_version:
      - 2
      - 0
    .max_flat_workgroup_size: 256
    .name:           _ZN7rocprim17ROCPRIM_400000_NS6detail17trampoline_kernelINS0_13select_configILj256ELj13ELNS0_17block_load_methodE3ELS4_3ELS4_3ELNS0_20block_scan_algorithmE0ELj4294967295EEENS1_25partition_config_selectorILNS1_17partition_subalgoE3EjNS0_10empty_typeEbEEZZNS1_14partition_implILS8_3ELb0ES6_jNS0_17counting_iteratorIjlEEPS9_SE_NS0_5tupleIJPjSE_EEENSF_IJSE_SE_EEES9_SG_JZNS1_25segmented_radix_sort_implINS0_14default_configELb0EPKsPsPKlPlN2at6native12_GLOBAL__N_18offset_tEEE10hipError_tPvRmT1_PNSt15iterator_traitsISY_E10value_typeET2_T3_PNSZ_IS14_E10value_typeET4_jRbjT5_S1A_jjP12ihipStream_tbEUljE_EEESV_SW_SX_S14_S18_S1A_T6_T7_T9_mT8_S1C_bDpT10_ENKUlT_T0_E_clISt17integral_constantIbLb1EES1O_IbLb0EEEEDaS1K_S1L_EUlS1K_E_NS1_11comp_targetILNS1_3genE9ELNS1_11target_archE1100ELNS1_3gpuE3ELNS1_3repE0EEENS1_30default_config_static_selectorELNS0_4arch9wavefront6targetE0EEEvSY_
    .private_segment_fixed_size: 0
    .sgpr_count:     0
    .sgpr_spill_count: 0
    .symbol:         _ZN7rocprim17ROCPRIM_400000_NS6detail17trampoline_kernelINS0_13select_configILj256ELj13ELNS0_17block_load_methodE3ELS4_3ELS4_3ELNS0_20block_scan_algorithmE0ELj4294967295EEENS1_25partition_config_selectorILNS1_17partition_subalgoE3EjNS0_10empty_typeEbEEZZNS1_14partition_implILS8_3ELb0ES6_jNS0_17counting_iteratorIjlEEPS9_SE_NS0_5tupleIJPjSE_EEENSF_IJSE_SE_EEES9_SG_JZNS1_25segmented_radix_sort_implINS0_14default_configELb0EPKsPsPKlPlN2at6native12_GLOBAL__N_18offset_tEEE10hipError_tPvRmT1_PNSt15iterator_traitsISY_E10value_typeET2_T3_PNSZ_IS14_E10value_typeET4_jRbjT5_S1A_jjP12ihipStream_tbEUljE_EEESV_SW_SX_S14_S18_S1A_T6_T7_T9_mT8_S1C_bDpT10_ENKUlT_T0_E_clISt17integral_constantIbLb1EES1O_IbLb0EEEEDaS1K_S1L_EUlS1K_E_NS1_11comp_targetILNS1_3genE9ELNS1_11target_archE1100ELNS1_3gpuE3ELNS1_3repE0EEENS1_30default_config_static_selectorELNS0_4arch9wavefront6targetE0EEEvSY_.kd
    .uniform_work_group_size: 1
    .uses_dynamic_stack: false
    .vgpr_count:     0
    .vgpr_spill_count: 0
    .wavefront_size: 32
    .workgroup_processor_mode: 1
  - .args:
      - .offset:         0
        .size:           144
        .value_kind:     by_value
    .group_segment_fixed_size: 0
    .kernarg_segment_align: 8
    .kernarg_segment_size: 144
    .language:       OpenCL C
    .language_version:
      - 2
      - 0
    .max_flat_workgroup_size: 256
    .name:           _ZN7rocprim17ROCPRIM_400000_NS6detail17trampoline_kernelINS0_13select_configILj256ELj13ELNS0_17block_load_methodE3ELS4_3ELS4_3ELNS0_20block_scan_algorithmE0ELj4294967295EEENS1_25partition_config_selectorILNS1_17partition_subalgoE3EjNS0_10empty_typeEbEEZZNS1_14partition_implILS8_3ELb0ES6_jNS0_17counting_iteratorIjlEEPS9_SE_NS0_5tupleIJPjSE_EEENSF_IJSE_SE_EEES9_SG_JZNS1_25segmented_radix_sort_implINS0_14default_configELb0EPKsPsPKlPlN2at6native12_GLOBAL__N_18offset_tEEE10hipError_tPvRmT1_PNSt15iterator_traitsISY_E10value_typeET2_T3_PNSZ_IS14_E10value_typeET4_jRbjT5_S1A_jjP12ihipStream_tbEUljE_EEESV_SW_SX_S14_S18_S1A_T6_T7_T9_mT8_S1C_bDpT10_ENKUlT_T0_E_clISt17integral_constantIbLb1EES1O_IbLb0EEEEDaS1K_S1L_EUlS1K_E_NS1_11comp_targetILNS1_3genE8ELNS1_11target_archE1030ELNS1_3gpuE2ELNS1_3repE0EEENS1_30default_config_static_selectorELNS0_4arch9wavefront6targetE0EEEvSY_
    .private_segment_fixed_size: 0
    .sgpr_count:     0
    .sgpr_spill_count: 0
    .symbol:         _ZN7rocprim17ROCPRIM_400000_NS6detail17trampoline_kernelINS0_13select_configILj256ELj13ELNS0_17block_load_methodE3ELS4_3ELS4_3ELNS0_20block_scan_algorithmE0ELj4294967295EEENS1_25partition_config_selectorILNS1_17partition_subalgoE3EjNS0_10empty_typeEbEEZZNS1_14partition_implILS8_3ELb0ES6_jNS0_17counting_iteratorIjlEEPS9_SE_NS0_5tupleIJPjSE_EEENSF_IJSE_SE_EEES9_SG_JZNS1_25segmented_radix_sort_implINS0_14default_configELb0EPKsPsPKlPlN2at6native12_GLOBAL__N_18offset_tEEE10hipError_tPvRmT1_PNSt15iterator_traitsISY_E10value_typeET2_T3_PNSZ_IS14_E10value_typeET4_jRbjT5_S1A_jjP12ihipStream_tbEUljE_EEESV_SW_SX_S14_S18_S1A_T6_T7_T9_mT8_S1C_bDpT10_ENKUlT_T0_E_clISt17integral_constantIbLb1EES1O_IbLb0EEEEDaS1K_S1L_EUlS1K_E_NS1_11comp_targetILNS1_3genE8ELNS1_11target_archE1030ELNS1_3gpuE2ELNS1_3repE0EEENS1_30default_config_static_selectorELNS0_4arch9wavefront6targetE0EEEvSY_.kd
    .uniform_work_group_size: 1
    .uses_dynamic_stack: false
    .vgpr_count:     0
    .vgpr_spill_count: 0
    .wavefront_size: 32
    .workgroup_processor_mode: 1
  - .args:
      - .offset:         0
        .size:           152
        .value_kind:     by_value
    .group_segment_fixed_size: 0
    .kernarg_segment_align: 8
    .kernarg_segment_size: 152
    .language:       OpenCL C
    .language_version:
      - 2
      - 0
    .max_flat_workgroup_size: 256
    .name:           _ZN7rocprim17ROCPRIM_400000_NS6detail17trampoline_kernelINS0_13select_configILj256ELj13ELNS0_17block_load_methodE3ELS4_3ELS4_3ELNS0_20block_scan_algorithmE0ELj4294967295EEENS1_25partition_config_selectorILNS1_17partition_subalgoE3EjNS0_10empty_typeEbEEZZNS1_14partition_implILS8_3ELb0ES6_jNS0_17counting_iteratorIjlEEPS9_SE_NS0_5tupleIJPjSE_EEENSF_IJSE_SE_EEES9_SG_JZNS1_25segmented_radix_sort_implINS0_14default_configELb0EPKsPsPKlPlN2at6native12_GLOBAL__N_18offset_tEEE10hipError_tPvRmT1_PNSt15iterator_traitsISY_E10value_typeET2_T3_PNSZ_IS14_E10value_typeET4_jRbjT5_S1A_jjP12ihipStream_tbEUljE_EEESV_SW_SX_S14_S18_S1A_T6_T7_T9_mT8_S1C_bDpT10_ENKUlT_T0_E_clISt17integral_constantIbLb0EES1O_IbLb1EEEEDaS1K_S1L_EUlS1K_E_NS1_11comp_targetILNS1_3genE0ELNS1_11target_archE4294967295ELNS1_3gpuE0ELNS1_3repE0EEENS1_30default_config_static_selectorELNS0_4arch9wavefront6targetE0EEEvSY_
    .private_segment_fixed_size: 0
    .sgpr_count:     0
    .sgpr_spill_count: 0
    .symbol:         _ZN7rocprim17ROCPRIM_400000_NS6detail17trampoline_kernelINS0_13select_configILj256ELj13ELNS0_17block_load_methodE3ELS4_3ELS4_3ELNS0_20block_scan_algorithmE0ELj4294967295EEENS1_25partition_config_selectorILNS1_17partition_subalgoE3EjNS0_10empty_typeEbEEZZNS1_14partition_implILS8_3ELb0ES6_jNS0_17counting_iteratorIjlEEPS9_SE_NS0_5tupleIJPjSE_EEENSF_IJSE_SE_EEES9_SG_JZNS1_25segmented_radix_sort_implINS0_14default_configELb0EPKsPsPKlPlN2at6native12_GLOBAL__N_18offset_tEEE10hipError_tPvRmT1_PNSt15iterator_traitsISY_E10value_typeET2_T3_PNSZ_IS14_E10value_typeET4_jRbjT5_S1A_jjP12ihipStream_tbEUljE_EEESV_SW_SX_S14_S18_S1A_T6_T7_T9_mT8_S1C_bDpT10_ENKUlT_T0_E_clISt17integral_constantIbLb0EES1O_IbLb1EEEEDaS1K_S1L_EUlS1K_E_NS1_11comp_targetILNS1_3genE0ELNS1_11target_archE4294967295ELNS1_3gpuE0ELNS1_3repE0EEENS1_30default_config_static_selectorELNS0_4arch9wavefront6targetE0EEEvSY_.kd
    .uniform_work_group_size: 1
    .uses_dynamic_stack: false
    .vgpr_count:     0
    .vgpr_spill_count: 0
    .wavefront_size: 32
    .workgroup_processor_mode: 1
  - .args:
      - .offset:         0
        .size:           152
        .value_kind:     by_value
    .group_segment_fixed_size: 0
    .kernarg_segment_align: 8
    .kernarg_segment_size: 152
    .language:       OpenCL C
    .language_version:
      - 2
      - 0
    .max_flat_workgroup_size: 256
    .name:           _ZN7rocprim17ROCPRIM_400000_NS6detail17trampoline_kernelINS0_13select_configILj256ELj13ELNS0_17block_load_methodE3ELS4_3ELS4_3ELNS0_20block_scan_algorithmE0ELj4294967295EEENS1_25partition_config_selectorILNS1_17partition_subalgoE3EjNS0_10empty_typeEbEEZZNS1_14partition_implILS8_3ELb0ES6_jNS0_17counting_iteratorIjlEEPS9_SE_NS0_5tupleIJPjSE_EEENSF_IJSE_SE_EEES9_SG_JZNS1_25segmented_radix_sort_implINS0_14default_configELb0EPKsPsPKlPlN2at6native12_GLOBAL__N_18offset_tEEE10hipError_tPvRmT1_PNSt15iterator_traitsISY_E10value_typeET2_T3_PNSZ_IS14_E10value_typeET4_jRbjT5_S1A_jjP12ihipStream_tbEUljE_EEESV_SW_SX_S14_S18_S1A_T6_T7_T9_mT8_S1C_bDpT10_ENKUlT_T0_E_clISt17integral_constantIbLb0EES1O_IbLb1EEEEDaS1K_S1L_EUlS1K_E_NS1_11comp_targetILNS1_3genE5ELNS1_11target_archE942ELNS1_3gpuE9ELNS1_3repE0EEENS1_30default_config_static_selectorELNS0_4arch9wavefront6targetE0EEEvSY_
    .private_segment_fixed_size: 0
    .sgpr_count:     0
    .sgpr_spill_count: 0
    .symbol:         _ZN7rocprim17ROCPRIM_400000_NS6detail17trampoline_kernelINS0_13select_configILj256ELj13ELNS0_17block_load_methodE3ELS4_3ELS4_3ELNS0_20block_scan_algorithmE0ELj4294967295EEENS1_25partition_config_selectorILNS1_17partition_subalgoE3EjNS0_10empty_typeEbEEZZNS1_14partition_implILS8_3ELb0ES6_jNS0_17counting_iteratorIjlEEPS9_SE_NS0_5tupleIJPjSE_EEENSF_IJSE_SE_EEES9_SG_JZNS1_25segmented_radix_sort_implINS0_14default_configELb0EPKsPsPKlPlN2at6native12_GLOBAL__N_18offset_tEEE10hipError_tPvRmT1_PNSt15iterator_traitsISY_E10value_typeET2_T3_PNSZ_IS14_E10value_typeET4_jRbjT5_S1A_jjP12ihipStream_tbEUljE_EEESV_SW_SX_S14_S18_S1A_T6_T7_T9_mT8_S1C_bDpT10_ENKUlT_T0_E_clISt17integral_constantIbLb0EES1O_IbLb1EEEEDaS1K_S1L_EUlS1K_E_NS1_11comp_targetILNS1_3genE5ELNS1_11target_archE942ELNS1_3gpuE9ELNS1_3repE0EEENS1_30default_config_static_selectorELNS0_4arch9wavefront6targetE0EEEvSY_.kd
    .uniform_work_group_size: 1
    .uses_dynamic_stack: false
    .vgpr_count:     0
    .vgpr_spill_count: 0
    .wavefront_size: 32
    .workgroup_processor_mode: 1
  - .args:
      - .offset:         0
        .size:           152
        .value_kind:     by_value
    .group_segment_fixed_size: 0
    .kernarg_segment_align: 8
    .kernarg_segment_size: 152
    .language:       OpenCL C
    .language_version:
      - 2
      - 0
    .max_flat_workgroup_size: 256
    .name:           _ZN7rocprim17ROCPRIM_400000_NS6detail17trampoline_kernelINS0_13select_configILj256ELj13ELNS0_17block_load_methodE3ELS4_3ELS4_3ELNS0_20block_scan_algorithmE0ELj4294967295EEENS1_25partition_config_selectorILNS1_17partition_subalgoE3EjNS0_10empty_typeEbEEZZNS1_14partition_implILS8_3ELb0ES6_jNS0_17counting_iteratorIjlEEPS9_SE_NS0_5tupleIJPjSE_EEENSF_IJSE_SE_EEES9_SG_JZNS1_25segmented_radix_sort_implINS0_14default_configELb0EPKsPsPKlPlN2at6native12_GLOBAL__N_18offset_tEEE10hipError_tPvRmT1_PNSt15iterator_traitsISY_E10value_typeET2_T3_PNSZ_IS14_E10value_typeET4_jRbjT5_S1A_jjP12ihipStream_tbEUljE_EEESV_SW_SX_S14_S18_S1A_T6_T7_T9_mT8_S1C_bDpT10_ENKUlT_T0_E_clISt17integral_constantIbLb0EES1O_IbLb1EEEEDaS1K_S1L_EUlS1K_E_NS1_11comp_targetILNS1_3genE4ELNS1_11target_archE910ELNS1_3gpuE8ELNS1_3repE0EEENS1_30default_config_static_selectorELNS0_4arch9wavefront6targetE0EEEvSY_
    .private_segment_fixed_size: 0
    .sgpr_count:     0
    .sgpr_spill_count: 0
    .symbol:         _ZN7rocprim17ROCPRIM_400000_NS6detail17trampoline_kernelINS0_13select_configILj256ELj13ELNS0_17block_load_methodE3ELS4_3ELS4_3ELNS0_20block_scan_algorithmE0ELj4294967295EEENS1_25partition_config_selectorILNS1_17partition_subalgoE3EjNS0_10empty_typeEbEEZZNS1_14partition_implILS8_3ELb0ES6_jNS0_17counting_iteratorIjlEEPS9_SE_NS0_5tupleIJPjSE_EEENSF_IJSE_SE_EEES9_SG_JZNS1_25segmented_radix_sort_implINS0_14default_configELb0EPKsPsPKlPlN2at6native12_GLOBAL__N_18offset_tEEE10hipError_tPvRmT1_PNSt15iterator_traitsISY_E10value_typeET2_T3_PNSZ_IS14_E10value_typeET4_jRbjT5_S1A_jjP12ihipStream_tbEUljE_EEESV_SW_SX_S14_S18_S1A_T6_T7_T9_mT8_S1C_bDpT10_ENKUlT_T0_E_clISt17integral_constantIbLb0EES1O_IbLb1EEEEDaS1K_S1L_EUlS1K_E_NS1_11comp_targetILNS1_3genE4ELNS1_11target_archE910ELNS1_3gpuE8ELNS1_3repE0EEENS1_30default_config_static_selectorELNS0_4arch9wavefront6targetE0EEEvSY_.kd
    .uniform_work_group_size: 1
    .uses_dynamic_stack: false
    .vgpr_count:     0
    .vgpr_spill_count: 0
    .wavefront_size: 32
    .workgroup_processor_mode: 1
  - .args:
      - .offset:         0
        .size:           152
        .value_kind:     by_value
    .group_segment_fixed_size: 0
    .kernarg_segment_align: 8
    .kernarg_segment_size: 152
    .language:       OpenCL C
    .language_version:
      - 2
      - 0
    .max_flat_workgroup_size: 256
    .name:           _ZN7rocprim17ROCPRIM_400000_NS6detail17trampoline_kernelINS0_13select_configILj256ELj13ELNS0_17block_load_methodE3ELS4_3ELS4_3ELNS0_20block_scan_algorithmE0ELj4294967295EEENS1_25partition_config_selectorILNS1_17partition_subalgoE3EjNS0_10empty_typeEbEEZZNS1_14partition_implILS8_3ELb0ES6_jNS0_17counting_iteratorIjlEEPS9_SE_NS0_5tupleIJPjSE_EEENSF_IJSE_SE_EEES9_SG_JZNS1_25segmented_radix_sort_implINS0_14default_configELb0EPKsPsPKlPlN2at6native12_GLOBAL__N_18offset_tEEE10hipError_tPvRmT1_PNSt15iterator_traitsISY_E10value_typeET2_T3_PNSZ_IS14_E10value_typeET4_jRbjT5_S1A_jjP12ihipStream_tbEUljE_EEESV_SW_SX_S14_S18_S1A_T6_T7_T9_mT8_S1C_bDpT10_ENKUlT_T0_E_clISt17integral_constantIbLb0EES1O_IbLb1EEEEDaS1K_S1L_EUlS1K_E_NS1_11comp_targetILNS1_3genE3ELNS1_11target_archE908ELNS1_3gpuE7ELNS1_3repE0EEENS1_30default_config_static_selectorELNS0_4arch9wavefront6targetE0EEEvSY_
    .private_segment_fixed_size: 0
    .sgpr_count:     0
    .sgpr_spill_count: 0
    .symbol:         _ZN7rocprim17ROCPRIM_400000_NS6detail17trampoline_kernelINS0_13select_configILj256ELj13ELNS0_17block_load_methodE3ELS4_3ELS4_3ELNS0_20block_scan_algorithmE0ELj4294967295EEENS1_25partition_config_selectorILNS1_17partition_subalgoE3EjNS0_10empty_typeEbEEZZNS1_14partition_implILS8_3ELb0ES6_jNS0_17counting_iteratorIjlEEPS9_SE_NS0_5tupleIJPjSE_EEENSF_IJSE_SE_EEES9_SG_JZNS1_25segmented_radix_sort_implINS0_14default_configELb0EPKsPsPKlPlN2at6native12_GLOBAL__N_18offset_tEEE10hipError_tPvRmT1_PNSt15iterator_traitsISY_E10value_typeET2_T3_PNSZ_IS14_E10value_typeET4_jRbjT5_S1A_jjP12ihipStream_tbEUljE_EEESV_SW_SX_S14_S18_S1A_T6_T7_T9_mT8_S1C_bDpT10_ENKUlT_T0_E_clISt17integral_constantIbLb0EES1O_IbLb1EEEEDaS1K_S1L_EUlS1K_E_NS1_11comp_targetILNS1_3genE3ELNS1_11target_archE908ELNS1_3gpuE7ELNS1_3repE0EEENS1_30default_config_static_selectorELNS0_4arch9wavefront6targetE0EEEvSY_.kd
    .uniform_work_group_size: 1
    .uses_dynamic_stack: false
    .vgpr_count:     0
    .vgpr_spill_count: 0
    .wavefront_size: 32
    .workgroup_processor_mode: 1
  - .args:
      - .offset:         0
        .size:           152
        .value_kind:     by_value
    .group_segment_fixed_size: 0
    .kernarg_segment_align: 8
    .kernarg_segment_size: 152
    .language:       OpenCL C
    .language_version:
      - 2
      - 0
    .max_flat_workgroup_size: 256
    .name:           _ZN7rocprim17ROCPRIM_400000_NS6detail17trampoline_kernelINS0_13select_configILj256ELj13ELNS0_17block_load_methodE3ELS4_3ELS4_3ELNS0_20block_scan_algorithmE0ELj4294967295EEENS1_25partition_config_selectorILNS1_17partition_subalgoE3EjNS0_10empty_typeEbEEZZNS1_14partition_implILS8_3ELb0ES6_jNS0_17counting_iteratorIjlEEPS9_SE_NS0_5tupleIJPjSE_EEENSF_IJSE_SE_EEES9_SG_JZNS1_25segmented_radix_sort_implINS0_14default_configELb0EPKsPsPKlPlN2at6native12_GLOBAL__N_18offset_tEEE10hipError_tPvRmT1_PNSt15iterator_traitsISY_E10value_typeET2_T3_PNSZ_IS14_E10value_typeET4_jRbjT5_S1A_jjP12ihipStream_tbEUljE_EEESV_SW_SX_S14_S18_S1A_T6_T7_T9_mT8_S1C_bDpT10_ENKUlT_T0_E_clISt17integral_constantIbLb0EES1O_IbLb1EEEEDaS1K_S1L_EUlS1K_E_NS1_11comp_targetILNS1_3genE2ELNS1_11target_archE906ELNS1_3gpuE6ELNS1_3repE0EEENS1_30default_config_static_selectorELNS0_4arch9wavefront6targetE0EEEvSY_
    .private_segment_fixed_size: 0
    .sgpr_count:     0
    .sgpr_spill_count: 0
    .symbol:         _ZN7rocprim17ROCPRIM_400000_NS6detail17trampoline_kernelINS0_13select_configILj256ELj13ELNS0_17block_load_methodE3ELS4_3ELS4_3ELNS0_20block_scan_algorithmE0ELj4294967295EEENS1_25partition_config_selectorILNS1_17partition_subalgoE3EjNS0_10empty_typeEbEEZZNS1_14partition_implILS8_3ELb0ES6_jNS0_17counting_iteratorIjlEEPS9_SE_NS0_5tupleIJPjSE_EEENSF_IJSE_SE_EEES9_SG_JZNS1_25segmented_radix_sort_implINS0_14default_configELb0EPKsPsPKlPlN2at6native12_GLOBAL__N_18offset_tEEE10hipError_tPvRmT1_PNSt15iterator_traitsISY_E10value_typeET2_T3_PNSZ_IS14_E10value_typeET4_jRbjT5_S1A_jjP12ihipStream_tbEUljE_EEESV_SW_SX_S14_S18_S1A_T6_T7_T9_mT8_S1C_bDpT10_ENKUlT_T0_E_clISt17integral_constantIbLb0EES1O_IbLb1EEEEDaS1K_S1L_EUlS1K_E_NS1_11comp_targetILNS1_3genE2ELNS1_11target_archE906ELNS1_3gpuE6ELNS1_3repE0EEENS1_30default_config_static_selectorELNS0_4arch9wavefront6targetE0EEEvSY_.kd
    .uniform_work_group_size: 1
    .uses_dynamic_stack: false
    .vgpr_count:     0
    .vgpr_spill_count: 0
    .wavefront_size: 32
    .workgroup_processor_mode: 1
  - .args:
      - .offset:         0
        .size:           152
        .value_kind:     by_value
    .group_segment_fixed_size: 0
    .kernarg_segment_align: 8
    .kernarg_segment_size: 152
    .language:       OpenCL C
    .language_version:
      - 2
      - 0
    .max_flat_workgroup_size: 256
    .name:           _ZN7rocprim17ROCPRIM_400000_NS6detail17trampoline_kernelINS0_13select_configILj256ELj13ELNS0_17block_load_methodE3ELS4_3ELS4_3ELNS0_20block_scan_algorithmE0ELj4294967295EEENS1_25partition_config_selectorILNS1_17partition_subalgoE3EjNS0_10empty_typeEbEEZZNS1_14partition_implILS8_3ELb0ES6_jNS0_17counting_iteratorIjlEEPS9_SE_NS0_5tupleIJPjSE_EEENSF_IJSE_SE_EEES9_SG_JZNS1_25segmented_radix_sort_implINS0_14default_configELb0EPKsPsPKlPlN2at6native12_GLOBAL__N_18offset_tEEE10hipError_tPvRmT1_PNSt15iterator_traitsISY_E10value_typeET2_T3_PNSZ_IS14_E10value_typeET4_jRbjT5_S1A_jjP12ihipStream_tbEUljE_EEESV_SW_SX_S14_S18_S1A_T6_T7_T9_mT8_S1C_bDpT10_ENKUlT_T0_E_clISt17integral_constantIbLb0EES1O_IbLb1EEEEDaS1K_S1L_EUlS1K_E_NS1_11comp_targetILNS1_3genE10ELNS1_11target_archE1200ELNS1_3gpuE4ELNS1_3repE0EEENS1_30default_config_static_selectorELNS0_4arch9wavefront6targetE0EEEvSY_
    .private_segment_fixed_size: 0
    .sgpr_count:     0
    .sgpr_spill_count: 0
    .symbol:         _ZN7rocprim17ROCPRIM_400000_NS6detail17trampoline_kernelINS0_13select_configILj256ELj13ELNS0_17block_load_methodE3ELS4_3ELS4_3ELNS0_20block_scan_algorithmE0ELj4294967295EEENS1_25partition_config_selectorILNS1_17partition_subalgoE3EjNS0_10empty_typeEbEEZZNS1_14partition_implILS8_3ELb0ES6_jNS0_17counting_iteratorIjlEEPS9_SE_NS0_5tupleIJPjSE_EEENSF_IJSE_SE_EEES9_SG_JZNS1_25segmented_radix_sort_implINS0_14default_configELb0EPKsPsPKlPlN2at6native12_GLOBAL__N_18offset_tEEE10hipError_tPvRmT1_PNSt15iterator_traitsISY_E10value_typeET2_T3_PNSZ_IS14_E10value_typeET4_jRbjT5_S1A_jjP12ihipStream_tbEUljE_EEESV_SW_SX_S14_S18_S1A_T6_T7_T9_mT8_S1C_bDpT10_ENKUlT_T0_E_clISt17integral_constantIbLb0EES1O_IbLb1EEEEDaS1K_S1L_EUlS1K_E_NS1_11comp_targetILNS1_3genE10ELNS1_11target_archE1200ELNS1_3gpuE4ELNS1_3repE0EEENS1_30default_config_static_selectorELNS0_4arch9wavefront6targetE0EEEvSY_.kd
    .uniform_work_group_size: 1
    .uses_dynamic_stack: false
    .vgpr_count:     0
    .vgpr_spill_count: 0
    .wavefront_size: 32
    .workgroup_processor_mode: 1
  - .args:
      - .offset:         0
        .size:           152
        .value_kind:     by_value
    .group_segment_fixed_size: 0
    .kernarg_segment_align: 8
    .kernarg_segment_size: 152
    .language:       OpenCL C
    .language_version:
      - 2
      - 0
    .max_flat_workgroup_size: 256
    .name:           _ZN7rocprim17ROCPRIM_400000_NS6detail17trampoline_kernelINS0_13select_configILj256ELj13ELNS0_17block_load_methodE3ELS4_3ELS4_3ELNS0_20block_scan_algorithmE0ELj4294967295EEENS1_25partition_config_selectorILNS1_17partition_subalgoE3EjNS0_10empty_typeEbEEZZNS1_14partition_implILS8_3ELb0ES6_jNS0_17counting_iteratorIjlEEPS9_SE_NS0_5tupleIJPjSE_EEENSF_IJSE_SE_EEES9_SG_JZNS1_25segmented_radix_sort_implINS0_14default_configELb0EPKsPsPKlPlN2at6native12_GLOBAL__N_18offset_tEEE10hipError_tPvRmT1_PNSt15iterator_traitsISY_E10value_typeET2_T3_PNSZ_IS14_E10value_typeET4_jRbjT5_S1A_jjP12ihipStream_tbEUljE_EEESV_SW_SX_S14_S18_S1A_T6_T7_T9_mT8_S1C_bDpT10_ENKUlT_T0_E_clISt17integral_constantIbLb0EES1O_IbLb1EEEEDaS1K_S1L_EUlS1K_E_NS1_11comp_targetILNS1_3genE9ELNS1_11target_archE1100ELNS1_3gpuE3ELNS1_3repE0EEENS1_30default_config_static_selectorELNS0_4arch9wavefront6targetE0EEEvSY_
    .private_segment_fixed_size: 0
    .sgpr_count:     0
    .sgpr_spill_count: 0
    .symbol:         _ZN7rocprim17ROCPRIM_400000_NS6detail17trampoline_kernelINS0_13select_configILj256ELj13ELNS0_17block_load_methodE3ELS4_3ELS4_3ELNS0_20block_scan_algorithmE0ELj4294967295EEENS1_25partition_config_selectorILNS1_17partition_subalgoE3EjNS0_10empty_typeEbEEZZNS1_14partition_implILS8_3ELb0ES6_jNS0_17counting_iteratorIjlEEPS9_SE_NS0_5tupleIJPjSE_EEENSF_IJSE_SE_EEES9_SG_JZNS1_25segmented_radix_sort_implINS0_14default_configELb0EPKsPsPKlPlN2at6native12_GLOBAL__N_18offset_tEEE10hipError_tPvRmT1_PNSt15iterator_traitsISY_E10value_typeET2_T3_PNSZ_IS14_E10value_typeET4_jRbjT5_S1A_jjP12ihipStream_tbEUljE_EEESV_SW_SX_S14_S18_S1A_T6_T7_T9_mT8_S1C_bDpT10_ENKUlT_T0_E_clISt17integral_constantIbLb0EES1O_IbLb1EEEEDaS1K_S1L_EUlS1K_E_NS1_11comp_targetILNS1_3genE9ELNS1_11target_archE1100ELNS1_3gpuE3ELNS1_3repE0EEENS1_30default_config_static_selectorELNS0_4arch9wavefront6targetE0EEEvSY_.kd
    .uniform_work_group_size: 1
    .uses_dynamic_stack: false
    .vgpr_count:     0
    .vgpr_spill_count: 0
    .wavefront_size: 32
    .workgroup_processor_mode: 1
  - .args:
      - .offset:         0
        .size:           152
        .value_kind:     by_value
    .group_segment_fixed_size: 13320
    .kernarg_segment_align: 8
    .kernarg_segment_size: 152
    .language:       OpenCL C
    .language_version:
      - 2
      - 0
    .max_flat_workgroup_size: 256
    .name:           _ZN7rocprim17ROCPRIM_400000_NS6detail17trampoline_kernelINS0_13select_configILj256ELj13ELNS0_17block_load_methodE3ELS4_3ELS4_3ELNS0_20block_scan_algorithmE0ELj4294967295EEENS1_25partition_config_selectorILNS1_17partition_subalgoE3EjNS0_10empty_typeEbEEZZNS1_14partition_implILS8_3ELb0ES6_jNS0_17counting_iteratorIjlEEPS9_SE_NS0_5tupleIJPjSE_EEENSF_IJSE_SE_EEES9_SG_JZNS1_25segmented_radix_sort_implINS0_14default_configELb0EPKsPsPKlPlN2at6native12_GLOBAL__N_18offset_tEEE10hipError_tPvRmT1_PNSt15iterator_traitsISY_E10value_typeET2_T3_PNSZ_IS14_E10value_typeET4_jRbjT5_S1A_jjP12ihipStream_tbEUljE_EEESV_SW_SX_S14_S18_S1A_T6_T7_T9_mT8_S1C_bDpT10_ENKUlT_T0_E_clISt17integral_constantIbLb0EES1O_IbLb1EEEEDaS1K_S1L_EUlS1K_E_NS1_11comp_targetILNS1_3genE8ELNS1_11target_archE1030ELNS1_3gpuE2ELNS1_3repE0EEENS1_30default_config_static_selectorELNS0_4arch9wavefront6targetE0EEEvSY_
    .private_segment_fixed_size: 0
    .sgpr_count:     28
    .sgpr_spill_count: 0
    .symbol:         _ZN7rocprim17ROCPRIM_400000_NS6detail17trampoline_kernelINS0_13select_configILj256ELj13ELNS0_17block_load_methodE3ELS4_3ELS4_3ELNS0_20block_scan_algorithmE0ELj4294967295EEENS1_25partition_config_selectorILNS1_17partition_subalgoE3EjNS0_10empty_typeEbEEZZNS1_14partition_implILS8_3ELb0ES6_jNS0_17counting_iteratorIjlEEPS9_SE_NS0_5tupleIJPjSE_EEENSF_IJSE_SE_EEES9_SG_JZNS1_25segmented_radix_sort_implINS0_14default_configELb0EPKsPsPKlPlN2at6native12_GLOBAL__N_18offset_tEEE10hipError_tPvRmT1_PNSt15iterator_traitsISY_E10value_typeET2_T3_PNSZ_IS14_E10value_typeET4_jRbjT5_S1A_jjP12ihipStream_tbEUljE_EEESV_SW_SX_S14_S18_S1A_T6_T7_T9_mT8_S1C_bDpT10_ENKUlT_T0_E_clISt17integral_constantIbLb0EES1O_IbLb1EEEEDaS1K_S1L_EUlS1K_E_NS1_11comp_targetILNS1_3genE8ELNS1_11target_archE1030ELNS1_3gpuE2ELNS1_3repE0EEENS1_30default_config_static_selectorELNS0_4arch9wavefront6targetE0EEEvSY_.kd
    .uniform_work_group_size: 1
    .uses_dynamic_stack: false
    .vgpr_count:     71
    .vgpr_spill_count: 0
    .wavefront_size: 32
    .workgroup_processor_mode: 1
  - .args:
      - .offset:         0
        .size:           96
        .value_kind:     by_value
    .group_segment_fixed_size: 0
    .kernarg_segment_align: 8
    .kernarg_segment_size: 96
    .language:       OpenCL C
    .language_version:
      - 2
      - 0
    .max_flat_workgroup_size: 256
    .name:           _ZN7rocprim17ROCPRIM_400000_NS6detail17trampoline_kernelINS0_14default_configENS1_36segmented_radix_sort_config_selectorIslEEZNS1_25segmented_radix_sort_implIS3_Lb0EPKsPsPKlPlN2at6native12_GLOBAL__N_18offset_tEEE10hipError_tPvRmT1_PNSt15iterator_traitsISK_E10value_typeET2_T3_PNSL_ISQ_E10value_typeET4_jRbjT5_SW_jjP12ihipStream_tbEUlT_E_NS1_11comp_targetILNS1_3genE0ELNS1_11target_archE4294967295ELNS1_3gpuE0ELNS1_3repE0EEENS1_30default_config_static_selectorELNS0_4arch9wavefront6targetE0EEEvSK_
    .private_segment_fixed_size: 0
    .sgpr_count:     0
    .sgpr_spill_count: 0
    .symbol:         _ZN7rocprim17ROCPRIM_400000_NS6detail17trampoline_kernelINS0_14default_configENS1_36segmented_radix_sort_config_selectorIslEEZNS1_25segmented_radix_sort_implIS3_Lb0EPKsPsPKlPlN2at6native12_GLOBAL__N_18offset_tEEE10hipError_tPvRmT1_PNSt15iterator_traitsISK_E10value_typeET2_T3_PNSL_ISQ_E10value_typeET4_jRbjT5_SW_jjP12ihipStream_tbEUlT_E_NS1_11comp_targetILNS1_3genE0ELNS1_11target_archE4294967295ELNS1_3gpuE0ELNS1_3repE0EEENS1_30default_config_static_selectorELNS0_4arch9wavefront6targetE0EEEvSK_.kd
    .uniform_work_group_size: 1
    .uses_dynamic_stack: false
    .vgpr_count:     0
    .vgpr_spill_count: 0
    .wavefront_size: 32
    .workgroup_processor_mode: 1
  - .args:
      - .offset:         0
        .size:           96
        .value_kind:     by_value
    .group_segment_fixed_size: 0
    .kernarg_segment_align: 8
    .kernarg_segment_size: 96
    .language:       OpenCL C
    .language_version:
      - 2
      - 0
    .max_flat_workgroup_size: 256
    .name:           _ZN7rocprim17ROCPRIM_400000_NS6detail17trampoline_kernelINS0_14default_configENS1_36segmented_radix_sort_config_selectorIslEEZNS1_25segmented_radix_sort_implIS3_Lb0EPKsPsPKlPlN2at6native12_GLOBAL__N_18offset_tEEE10hipError_tPvRmT1_PNSt15iterator_traitsISK_E10value_typeET2_T3_PNSL_ISQ_E10value_typeET4_jRbjT5_SW_jjP12ihipStream_tbEUlT_E_NS1_11comp_targetILNS1_3genE5ELNS1_11target_archE942ELNS1_3gpuE9ELNS1_3repE0EEENS1_30default_config_static_selectorELNS0_4arch9wavefront6targetE0EEEvSK_
    .private_segment_fixed_size: 0
    .sgpr_count:     0
    .sgpr_spill_count: 0
    .symbol:         _ZN7rocprim17ROCPRIM_400000_NS6detail17trampoline_kernelINS0_14default_configENS1_36segmented_radix_sort_config_selectorIslEEZNS1_25segmented_radix_sort_implIS3_Lb0EPKsPsPKlPlN2at6native12_GLOBAL__N_18offset_tEEE10hipError_tPvRmT1_PNSt15iterator_traitsISK_E10value_typeET2_T3_PNSL_ISQ_E10value_typeET4_jRbjT5_SW_jjP12ihipStream_tbEUlT_E_NS1_11comp_targetILNS1_3genE5ELNS1_11target_archE942ELNS1_3gpuE9ELNS1_3repE0EEENS1_30default_config_static_selectorELNS0_4arch9wavefront6targetE0EEEvSK_.kd
    .uniform_work_group_size: 1
    .uses_dynamic_stack: false
    .vgpr_count:     0
    .vgpr_spill_count: 0
    .wavefront_size: 32
    .workgroup_processor_mode: 1
  - .args:
      - .offset:         0
        .size:           96
        .value_kind:     by_value
    .group_segment_fixed_size: 0
    .kernarg_segment_align: 8
    .kernarg_segment_size: 96
    .language:       OpenCL C
    .language_version:
      - 2
      - 0
    .max_flat_workgroup_size: 256
    .name:           _ZN7rocprim17ROCPRIM_400000_NS6detail17trampoline_kernelINS0_14default_configENS1_36segmented_radix_sort_config_selectorIslEEZNS1_25segmented_radix_sort_implIS3_Lb0EPKsPsPKlPlN2at6native12_GLOBAL__N_18offset_tEEE10hipError_tPvRmT1_PNSt15iterator_traitsISK_E10value_typeET2_T3_PNSL_ISQ_E10value_typeET4_jRbjT5_SW_jjP12ihipStream_tbEUlT_E_NS1_11comp_targetILNS1_3genE4ELNS1_11target_archE910ELNS1_3gpuE8ELNS1_3repE0EEENS1_30default_config_static_selectorELNS0_4arch9wavefront6targetE0EEEvSK_
    .private_segment_fixed_size: 0
    .sgpr_count:     0
    .sgpr_spill_count: 0
    .symbol:         _ZN7rocprim17ROCPRIM_400000_NS6detail17trampoline_kernelINS0_14default_configENS1_36segmented_radix_sort_config_selectorIslEEZNS1_25segmented_radix_sort_implIS3_Lb0EPKsPsPKlPlN2at6native12_GLOBAL__N_18offset_tEEE10hipError_tPvRmT1_PNSt15iterator_traitsISK_E10value_typeET2_T3_PNSL_ISQ_E10value_typeET4_jRbjT5_SW_jjP12ihipStream_tbEUlT_E_NS1_11comp_targetILNS1_3genE4ELNS1_11target_archE910ELNS1_3gpuE8ELNS1_3repE0EEENS1_30default_config_static_selectorELNS0_4arch9wavefront6targetE0EEEvSK_.kd
    .uniform_work_group_size: 1
    .uses_dynamic_stack: false
    .vgpr_count:     0
    .vgpr_spill_count: 0
    .wavefront_size: 32
    .workgroup_processor_mode: 1
  - .args:
      - .offset:         0
        .size:           96
        .value_kind:     by_value
    .group_segment_fixed_size: 0
    .kernarg_segment_align: 8
    .kernarg_segment_size: 96
    .language:       OpenCL C
    .language_version:
      - 2
      - 0
    .max_flat_workgroup_size: 256
    .name:           _ZN7rocprim17ROCPRIM_400000_NS6detail17trampoline_kernelINS0_14default_configENS1_36segmented_radix_sort_config_selectorIslEEZNS1_25segmented_radix_sort_implIS3_Lb0EPKsPsPKlPlN2at6native12_GLOBAL__N_18offset_tEEE10hipError_tPvRmT1_PNSt15iterator_traitsISK_E10value_typeET2_T3_PNSL_ISQ_E10value_typeET4_jRbjT5_SW_jjP12ihipStream_tbEUlT_E_NS1_11comp_targetILNS1_3genE3ELNS1_11target_archE908ELNS1_3gpuE7ELNS1_3repE0EEENS1_30default_config_static_selectorELNS0_4arch9wavefront6targetE0EEEvSK_
    .private_segment_fixed_size: 0
    .sgpr_count:     0
    .sgpr_spill_count: 0
    .symbol:         _ZN7rocprim17ROCPRIM_400000_NS6detail17trampoline_kernelINS0_14default_configENS1_36segmented_radix_sort_config_selectorIslEEZNS1_25segmented_radix_sort_implIS3_Lb0EPKsPsPKlPlN2at6native12_GLOBAL__N_18offset_tEEE10hipError_tPvRmT1_PNSt15iterator_traitsISK_E10value_typeET2_T3_PNSL_ISQ_E10value_typeET4_jRbjT5_SW_jjP12ihipStream_tbEUlT_E_NS1_11comp_targetILNS1_3genE3ELNS1_11target_archE908ELNS1_3gpuE7ELNS1_3repE0EEENS1_30default_config_static_selectorELNS0_4arch9wavefront6targetE0EEEvSK_.kd
    .uniform_work_group_size: 1
    .uses_dynamic_stack: false
    .vgpr_count:     0
    .vgpr_spill_count: 0
    .wavefront_size: 32
    .workgroup_processor_mode: 1
  - .args:
      - .offset:         0
        .size:           96
        .value_kind:     by_value
    .group_segment_fixed_size: 0
    .kernarg_segment_align: 8
    .kernarg_segment_size: 96
    .language:       OpenCL C
    .language_version:
      - 2
      - 0
    .max_flat_workgroup_size: 256
    .name:           _ZN7rocprim17ROCPRIM_400000_NS6detail17trampoline_kernelINS0_14default_configENS1_36segmented_radix_sort_config_selectorIslEEZNS1_25segmented_radix_sort_implIS3_Lb0EPKsPsPKlPlN2at6native12_GLOBAL__N_18offset_tEEE10hipError_tPvRmT1_PNSt15iterator_traitsISK_E10value_typeET2_T3_PNSL_ISQ_E10value_typeET4_jRbjT5_SW_jjP12ihipStream_tbEUlT_E_NS1_11comp_targetILNS1_3genE2ELNS1_11target_archE906ELNS1_3gpuE6ELNS1_3repE0EEENS1_30default_config_static_selectorELNS0_4arch9wavefront6targetE0EEEvSK_
    .private_segment_fixed_size: 0
    .sgpr_count:     0
    .sgpr_spill_count: 0
    .symbol:         _ZN7rocprim17ROCPRIM_400000_NS6detail17trampoline_kernelINS0_14default_configENS1_36segmented_radix_sort_config_selectorIslEEZNS1_25segmented_radix_sort_implIS3_Lb0EPKsPsPKlPlN2at6native12_GLOBAL__N_18offset_tEEE10hipError_tPvRmT1_PNSt15iterator_traitsISK_E10value_typeET2_T3_PNSL_ISQ_E10value_typeET4_jRbjT5_SW_jjP12ihipStream_tbEUlT_E_NS1_11comp_targetILNS1_3genE2ELNS1_11target_archE906ELNS1_3gpuE6ELNS1_3repE0EEENS1_30default_config_static_selectorELNS0_4arch9wavefront6targetE0EEEvSK_.kd
    .uniform_work_group_size: 1
    .uses_dynamic_stack: false
    .vgpr_count:     0
    .vgpr_spill_count: 0
    .wavefront_size: 32
    .workgroup_processor_mode: 1
  - .args:
      - .offset:         0
        .size:           96
        .value_kind:     by_value
    .group_segment_fixed_size: 0
    .kernarg_segment_align: 8
    .kernarg_segment_size: 96
    .language:       OpenCL C
    .language_version:
      - 2
      - 0
    .max_flat_workgroup_size: 256
    .name:           _ZN7rocprim17ROCPRIM_400000_NS6detail17trampoline_kernelINS0_14default_configENS1_36segmented_radix_sort_config_selectorIslEEZNS1_25segmented_radix_sort_implIS3_Lb0EPKsPsPKlPlN2at6native12_GLOBAL__N_18offset_tEEE10hipError_tPvRmT1_PNSt15iterator_traitsISK_E10value_typeET2_T3_PNSL_ISQ_E10value_typeET4_jRbjT5_SW_jjP12ihipStream_tbEUlT_E_NS1_11comp_targetILNS1_3genE10ELNS1_11target_archE1201ELNS1_3gpuE5ELNS1_3repE0EEENS1_30default_config_static_selectorELNS0_4arch9wavefront6targetE0EEEvSK_
    .private_segment_fixed_size: 0
    .sgpr_count:     0
    .sgpr_spill_count: 0
    .symbol:         _ZN7rocprim17ROCPRIM_400000_NS6detail17trampoline_kernelINS0_14default_configENS1_36segmented_radix_sort_config_selectorIslEEZNS1_25segmented_radix_sort_implIS3_Lb0EPKsPsPKlPlN2at6native12_GLOBAL__N_18offset_tEEE10hipError_tPvRmT1_PNSt15iterator_traitsISK_E10value_typeET2_T3_PNSL_ISQ_E10value_typeET4_jRbjT5_SW_jjP12ihipStream_tbEUlT_E_NS1_11comp_targetILNS1_3genE10ELNS1_11target_archE1201ELNS1_3gpuE5ELNS1_3repE0EEENS1_30default_config_static_selectorELNS0_4arch9wavefront6targetE0EEEvSK_.kd
    .uniform_work_group_size: 1
    .uses_dynamic_stack: false
    .vgpr_count:     0
    .vgpr_spill_count: 0
    .wavefront_size: 32
    .workgroup_processor_mode: 1
  - .args:
      - .offset:         0
        .size:           96
        .value_kind:     by_value
    .group_segment_fixed_size: 0
    .kernarg_segment_align: 8
    .kernarg_segment_size: 96
    .language:       OpenCL C
    .language_version:
      - 2
      - 0
    .max_flat_workgroup_size: 128
    .name:           _ZN7rocprim17ROCPRIM_400000_NS6detail17trampoline_kernelINS0_14default_configENS1_36segmented_radix_sort_config_selectorIslEEZNS1_25segmented_radix_sort_implIS3_Lb0EPKsPsPKlPlN2at6native12_GLOBAL__N_18offset_tEEE10hipError_tPvRmT1_PNSt15iterator_traitsISK_E10value_typeET2_T3_PNSL_ISQ_E10value_typeET4_jRbjT5_SW_jjP12ihipStream_tbEUlT_E_NS1_11comp_targetILNS1_3genE10ELNS1_11target_archE1200ELNS1_3gpuE4ELNS1_3repE0EEENS1_30default_config_static_selectorELNS0_4arch9wavefront6targetE0EEEvSK_
    .private_segment_fixed_size: 0
    .sgpr_count:     0
    .sgpr_spill_count: 0
    .symbol:         _ZN7rocprim17ROCPRIM_400000_NS6detail17trampoline_kernelINS0_14default_configENS1_36segmented_radix_sort_config_selectorIslEEZNS1_25segmented_radix_sort_implIS3_Lb0EPKsPsPKlPlN2at6native12_GLOBAL__N_18offset_tEEE10hipError_tPvRmT1_PNSt15iterator_traitsISK_E10value_typeET2_T3_PNSL_ISQ_E10value_typeET4_jRbjT5_SW_jjP12ihipStream_tbEUlT_E_NS1_11comp_targetILNS1_3genE10ELNS1_11target_archE1200ELNS1_3gpuE4ELNS1_3repE0EEENS1_30default_config_static_selectorELNS0_4arch9wavefront6targetE0EEEvSK_.kd
    .uniform_work_group_size: 1
    .uses_dynamic_stack: false
    .vgpr_count:     0
    .vgpr_spill_count: 0
    .wavefront_size: 32
    .workgroup_processor_mode: 1
  - .args:
      - .offset:         0
        .size:           96
        .value_kind:     by_value
    .group_segment_fixed_size: 0
    .kernarg_segment_align: 8
    .kernarg_segment_size: 96
    .language:       OpenCL C
    .language_version:
      - 2
      - 0
    .max_flat_workgroup_size: 256
    .name:           _ZN7rocprim17ROCPRIM_400000_NS6detail17trampoline_kernelINS0_14default_configENS1_36segmented_radix_sort_config_selectorIslEEZNS1_25segmented_radix_sort_implIS3_Lb0EPKsPsPKlPlN2at6native12_GLOBAL__N_18offset_tEEE10hipError_tPvRmT1_PNSt15iterator_traitsISK_E10value_typeET2_T3_PNSL_ISQ_E10value_typeET4_jRbjT5_SW_jjP12ihipStream_tbEUlT_E_NS1_11comp_targetILNS1_3genE9ELNS1_11target_archE1100ELNS1_3gpuE3ELNS1_3repE0EEENS1_30default_config_static_selectorELNS0_4arch9wavefront6targetE0EEEvSK_
    .private_segment_fixed_size: 0
    .sgpr_count:     0
    .sgpr_spill_count: 0
    .symbol:         _ZN7rocprim17ROCPRIM_400000_NS6detail17trampoline_kernelINS0_14default_configENS1_36segmented_radix_sort_config_selectorIslEEZNS1_25segmented_radix_sort_implIS3_Lb0EPKsPsPKlPlN2at6native12_GLOBAL__N_18offset_tEEE10hipError_tPvRmT1_PNSt15iterator_traitsISK_E10value_typeET2_T3_PNSL_ISQ_E10value_typeET4_jRbjT5_SW_jjP12ihipStream_tbEUlT_E_NS1_11comp_targetILNS1_3genE9ELNS1_11target_archE1100ELNS1_3gpuE3ELNS1_3repE0EEENS1_30default_config_static_selectorELNS0_4arch9wavefront6targetE0EEEvSK_.kd
    .uniform_work_group_size: 1
    .uses_dynamic_stack: false
    .vgpr_count:     0
    .vgpr_spill_count: 0
    .wavefront_size: 32
    .workgroup_processor_mode: 1
  - .args:
      - .offset:         0
        .size:           96
        .value_kind:     by_value
      - .offset:         96
        .size:           4
        .value_kind:     hidden_block_count_x
      - .offset:         100
        .size:           4
        .value_kind:     hidden_block_count_y
      - .offset:         104
        .size:           4
        .value_kind:     hidden_block_count_z
      - .offset:         108
        .size:           2
        .value_kind:     hidden_group_size_x
      - .offset:         110
        .size:           2
        .value_kind:     hidden_group_size_y
      - .offset:         112
        .size:           2
        .value_kind:     hidden_group_size_z
      - .offset:         114
        .size:           2
        .value_kind:     hidden_remainder_x
      - .offset:         116
        .size:           2
        .value_kind:     hidden_remainder_y
      - .offset:         118
        .size:           2
        .value_kind:     hidden_remainder_z
      - .offset:         136
        .size:           8
        .value_kind:     hidden_global_offset_x
      - .offset:         144
        .size:           8
        .value_kind:     hidden_global_offset_y
      - .offset:         152
        .size:           8
        .value_kind:     hidden_global_offset_z
      - .offset:         160
        .size:           2
        .value_kind:     hidden_grid_dims
    .group_segment_fixed_size: 35344
    .kernarg_segment_align: 8
    .kernarg_segment_size: 352
    .language:       OpenCL C
    .language_version:
      - 2
      - 0
    .max_flat_workgroup_size: 256
    .name:           _ZN7rocprim17ROCPRIM_400000_NS6detail17trampoline_kernelINS0_14default_configENS1_36segmented_radix_sort_config_selectorIslEEZNS1_25segmented_radix_sort_implIS3_Lb0EPKsPsPKlPlN2at6native12_GLOBAL__N_18offset_tEEE10hipError_tPvRmT1_PNSt15iterator_traitsISK_E10value_typeET2_T3_PNSL_ISQ_E10value_typeET4_jRbjT5_SW_jjP12ihipStream_tbEUlT_E_NS1_11comp_targetILNS1_3genE8ELNS1_11target_archE1030ELNS1_3gpuE2ELNS1_3repE0EEENS1_30default_config_static_selectorELNS0_4arch9wavefront6targetE0EEEvSK_
    .private_segment_fixed_size: 196
    .sgpr_count:     70
    .sgpr_spill_count: 0
    .symbol:         _ZN7rocprim17ROCPRIM_400000_NS6detail17trampoline_kernelINS0_14default_configENS1_36segmented_radix_sort_config_selectorIslEEZNS1_25segmented_radix_sort_implIS3_Lb0EPKsPsPKlPlN2at6native12_GLOBAL__N_18offset_tEEE10hipError_tPvRmT1_PNSt15iterator_traitsISK_E10value_typeET2_T3_PNSL_ISQ_E10value_typeET4_jRbjT5_SW_jjP12ihipStream_tbEUlT_E_NS1_11comp_targetILNS1_3genE8ELNS1_11target_archE1030ELNS1_3gpuE2ELNS1_3repE0EEENS1_30default_config_static_selectorELNS0_4arch9wavefront6targetE0EEEvSK_.kd
    .uniform_work_group_size: 1
    .uses_dynamic_stack: false
    .vgpr_count:     248
    .vgpr_spill_count: 0
    .wavefront_size: 32
    .workgroup_processor_mode: 1
  - .args:
      - .offset:         0
        .size:           88
        .value_kind:     by_value
    .group_segment_fixed_size: 0
    .kernarg_segment_align: 8
    .kernarg_segment_size: 88
    .language:       OpenCL C
    .language_version:
      - 2
      - 0
    .max_flat_workgroup_size: 256
    .name:           _ZN7rocprim17ROCPRIM_400000_NS6detail17trampoline_kernelINS0_14default_configENS1_36segmented_radix_sort_config_selectorIslEEZNS1_25segmented_radix_sort_implIS3_Lb0EPKsPsPKlPlN2at6native12_GLOBAL__N_18offset_tEEE10hipError_tPvRmT1_PNSt15iterator_traitsISK_E10value_typeET2_T3_PNSL_ISQ_E10value_typeET4_jRbjT5_SW_jjP12ihipStream_tbEUlT_E0_NS1_11comp_targetILNS1_3genE0ELNS1_11target_archE4294967295ELNS1_3gpuE0ELNS1_3repE0EEENS1_60segmented_radix_sort_warp_sort_medium_config_static_selectorELNS0_4arch9wavefront6targetE0EEEvSK_
    .private_segment_fixed_size: 0
    .sgpr_count:     0
    .sgpr_spill_count: 0
    .symbol:         _ZN7rocprim17ROCPRIM_400000_NS6detail17trampoline_kernelINS0_14default_configENS1_36segmented_radix_sort_config_selectorIslEEZNS1_25segmented_radix_sort_implIS3_Lb0EPKsPsPKlPlN2at6native12_GLOBAL__N_18offset_tEEE10hipError_tPvRmT1_PNSt15iterator_traitsISK_E10value_typeET2_T3_PNSL_ISQ_E10value_typeET4_jRbjT5_SW_jjP12ihipStream_tbEUlT_E0_NS1_11comp_targetILNS1_3genE0ELNS1_11target_archE4294967295ELNS1_3gpuE0ELNS1_3repE0EEENS1_60segmented_radix_sort_warp_sort_medium_config_static_selectorELNS0_4arch9wavefront6targetE0EEEvSK_.kd
    .uniform_work_group_size: 1
    .uses_dynamic_stack: false
    .vgpr_count:     0
    .vgpr_spill_count: 0
    .wavefront_size: 32
    .workgroup_processor_mode: 1
  - .args:
      - .offset:         0
        .size:           88
        .value_kind:     by_value
    .group_segment_fixed_size: 0
    .kernarg_segment_align: 8
    .kernarg_segment_size: 88
    .language:       OpenCL C
    .language_version:
      - 2
      - 0
    .max_flat_workgroup_size: 256
    .name:           _ZN7rocprim17ROCPRIM_400000_NS6detail17trampoline_kernelINS0_14default_configENS1_36segmented_radix_sort_config_selectorIslEEZNS1_25segmented_radix_sort_implIS3_Lb0EPKsPsPKlPlN2at6native12_GLOBAL__N_18offset_tEEE10hipError_tPvRmT1_PNSt15iterator_traitsISK_E10value_typeET2_T3_PNSL_ISQ_E10value_typeET4_jRbjT5_SW_jjP12ihipStream_tbEUlT_E0_NS1_11comp_targetILNS1_3genE5ELNS1_11target_archE942ELNS1_3gpuE9ELNS1_3repE0EEENS1_60segmented_radix_sort_warp_sort_medium_config_static_selectorELNS0_4arch9wavefront6targetE0EEEvSK_
    .private_segment_fixed_size: 0
    .sgpr_count:     0
    .sgpr_spill_count: 0
    .symbol:         _ZN7rocprim17ROCPRIM_400000_NS6detail17trampoline_kernelINS0_14default_configENS1_36segmented_radix_sort_config_selectorIslEEZNS1_25segmented_radix_sort_implIS3_Lb0EPKsPsPKlPlN2at6native12_GLOBAL__N_18offset_tEEE10hipError_tPvRmT1_PNSt15iterator_traitsISK_E10value_typeET2_T3_PNSL_ISQ_E10value_typeET4_jRbjT5_SW_jjP12ihipStream_tbEUlT_E0_NS1_11comp_targetILNS1_3genE5ELNS1_11target_archE942ELNS1_3gpuE9ELNS1_3repE0EEENS1_60segmented_radix_sort_warp_sort_medium_config_static_selectorELNS0_4arch9wavefront6targetE0EEEvSK_.kd
    .uniform_work_group_size: 1
    .uses_dynamic_stack: false
    .vgpr_count:     0
    .vgpr_spill_count: 0
    .wavefront_size: 32
    .workgroup_processor_mode: 1
  - .args:
      - .offset:         0
        .size:           88
        .value_kind:     by_value
    .group_segment_fixed_size: 0
    .kernarg_segment_align: 8
    .kernarg_segment_size: 88
    .language:       OpenCL C
    .language_version:
      - 2
      - 0
    .max_flat_workgroup_size: 256
    .name:           _ZN7rocprim17ROCPRIM_400000_NS6detail17trampoline_kernelINS0_14default_configENS1_36segmented_radix_sort_config_selectorIslEEZNS1_25segmented_radix_sort_implIS3_Lb0EPKsPsPKlPlN2at6native12_GLOBAL__N_18offset_tEEE10hipError_tPvRmT1_PNSt15iterator_traitsISK_E10value_typeET2_T3_PNSL_ISQ_E10value_typeET4_jRbjT5_SW_jjP12ihipStream_tbEUlT_E0_NS1_11comp_targetILNS1_3genE4ELNS1_11target_archE910ELNS1_3gpuE8ELNS1_3repE0EEENS1_60segmented_radix_sort_warp_sort_medium_config_static_selectorELNS0_4arch9wavefront6targetE0EEEvSK_
    .private_segment_fixed_size: 0
    .sgpr_count:     0
    .sgpr_spill_count: 0
    .symbol:         _ZN7rocprim17ROCPRIM_400000_NS6detail17trampoline_kernelINS0_14default_configENS1_36segmented_radix_sort_config_selectorIslEEZNS1_25segmented_radix_sort_implIS3_Lb0EPKsPsPKlPlN2at6native12_GLOBAL__N_18offset_tEEE10hipError_tPvRmT1_PNSt15iterator_traitsISK_E10value_typeET2_T3_PNSL_ISQ_E10value_typeET4_jRbjT5_SW_jjP12ihipStream_tbEUlT_E0_NS1_11comp_targetILNS1_3genE4ELNS1_11target_archE910ELNS1_3gpuE8ELNS1_3repE0EEENS1_60segmented_radix_sort_warp_sort_medium_config_static_selectorELNS0_4arch9wavefront6targetE0EEEvSK_.kd
    .uniform_work_group_size: 1
    .uses_dynamic_stack: false
    .vgpr_count:     0
    .vgpr_spill_count: 0
    .wavefront_size: 32
    .workgroup_processor_mode: 1
  - .args:
      - .offset:         0
        .size:           88
        .value_kind:     by_value
    .group_segment_fixed_size: 0
    .kernarg_segment_align: 8
    .kernarg_segment_size: 88
    .language:       OpenCL C
    .language_version:
      - 2
      - 0
    .max_flat_workgroup_size: 256
    .name:           _ZN7rocprim17ROCPRIM_400000_NS6detail17trampoline_kernelINS0_14default_configENS1_36segmented_radix_sort_config_selectorIslEEZNS1_25segmented_radix_sort_implIS3_Lb0EPKsPsPKlPlN2at6native12_GLOBAL__N_18offset_tEEE10hipError_tPvRmT1_PNSt15iterator_traitsISK_E10value_typeET2_T3_PNSL_ISQ_E10value_typeET4_jRbjT5_SW_jjP12ihipStream_tbEUlT_E0_NS1_11comp_targetILNS1_3genE3ELNS1_11target_archE908ELNS1_3gpuE7ELNS1_3repE0EEENS1_60segmented_radix_sort_warp_sort_medium_config_static_selectorELNS0_4arch9wavefront6targetE0EEEvSK_
    .private_segment_fixed_size: 0
    .sgpr_count:     0
    .sgpr_spill_count: 0
    .symbol:         _ZN7rocprim17ROCPRIM_400000_NS6detail17trampoline_kernelINS0_14default_configENS1_36segmented_radix_sort_config_selectorIslEEZNS1_25segmented_radix_sort_implIS3_Lb0EPKsPsPKlPlN2at6native12_GLOBAL__N_18offset_tEEE10hipError_tPvRmT1_PNSt15iterator_traitsISK_E10value_typeET2_T3_PNSL_ISQ_E10value_typeET4_jRbjT5_SW_jjP12ihipStream_tbEUlT_E0_NS1_11comp_targetILNS1_3genE3ELNS1_11target_archE908ELNS1_3gpuE7ELNS1_3repE0EEENS1_60segmented_radix_sort_warp_sort_medium_config_static_selectorELNS0_4arch9wavefront6targetE0EEEvSK_.kd
    .uniform_work_group_size: 1
    .uses_dynamic_stack: false
    .vgpr_count:     0
    .vgpr_spill_count: 0
    .wavefront_size: 32
    .workgroup_processor_mode: 1
  - .args:
      - .offset:         0
        .size:           88
        .value_kind:     by_value
    .group_segment_fixed_size: 0
    .kernarg_segment_align: 8
    .kernarg_segment_size: 88
    .language:       OpenCL C
    .language_version:
      - 2
      - 0
    .max_flat_workgroup_size: 256
    .name:           _ZN7rocprim17ROCPRIM_400000_NS6detail17trampoline_kernelINS0_14default_configENS1_36segmented_radix_sort_config_selectorIslEEZNS1_25segmented_radix_sort_implIS3_Lb0EPKsPsPKlPlN2at6native12_GLOBAL__N_18offset_tEEE10hipError_tPvRmT1_PNSt15iterator_traitsISK_E10value_typeET2_T3_PNSL_ISQ_E10value_typeET4_jRbjT5_SW_jjP12ihipStream_tbEUlT_E0_NS1_11comp_targetILNS1_3genE2ELNS1_11target_archE906ELNS1_3gpuE6ELNS1_3repE0EEENS1_60segmented_radix_sort_warp_sort_medium_config_static_selectorELNS0_4arch9wavefront6targetE0EEEvSK_
    .private_segment_fixed_size: 0
    .sgpr_count:     0
    .sgpr_spill_count: 0
    .symbol:         _ZN7rocprim17ROCPRIM_400000_NS6detail17trampoline_kernelINS0_14default_configENS1_36segmented_radix_sort_config_selectorIslEEZNS1_25segmented_radix_sort_implIS3_Lb0EPKsPsPKlPlN2at6native12_GLOBAL__N_18offset_tEEE10hipError_tPvRmT1_PNSt15iterator_traitsISK_E10value_typeET2_T3_PNSL_ISQ_E10value_typeET4_jRbjT5_SW_jjP12ihipStream_tbEUlT_E0_NS1_11comp_targetILNS1_3genE2ELNS1_11target_archE906ELNS1_3gpuE6ELNS1_3repE0EEENS1_60segmented_radix_sort_warp_sort_medium_config_static_selectorELNS0_4arch9wavefront6targetE0EEEvSK_.kd
    .uniform_work_group_size: 1
    .uses_dynamic_stack: false
    .vgpr_count:     0
    .vgpr_spill_count: 0
    .wavefront_size: 32
    .workgroup_processor_mode: 1
  - .args:
      - .offset:         0
        .size:           88
        .value_kind:     by_value
    .group_segment_fixed_size: 0
    .kernarg_segment_align: 8
    .kernarg_segment_size: 88
    .language:       OpenCL C
    .language_version:
      - 2
      - 0
    .max_flat_workgroup_size: 256
    .name:           _ZN7rocprim17ROCPRIM_400000_NS6detail17trampoline_kernelINS0_14default_configENS1_36segmented_radix_sort_config_selectorIslEEZNS1_25segmented_radix_sort_implIS3_Lb0EPKsPsPKlPlN2at6native12_GLOBAL__N_18offset_tEEE10hipError_tPvRmT1_PNSt15iterator_traitsISK_E10value_typeET2_T3_PNSL_ISQ_E10value_typeET4_jRbjT5_SW_jjP12ihipStream_tbEUlT_E0_NS1_11comp_targetILNS1_3genE10ELNS1_11target_archE1201ELNS1_3gpuE5ELNS1_3repE0EEENS1_60segmented_radix_sort_warp_sort_medium_config_static_selectorELNS0_4arch9wavefront6targetE0EEEvSK_
    .private_segment_fixed_size: 0
    .sgpr_count:     0
    .sgpr_spill_count: 0
    .symbol:         _ZN7rocprim17ROCPRIM_400000_NS6detail17trampoline_kernelINS0_14default_configENS1_36segmented_radix_sort_config_selectorIslEEZNS1_25segmented_radix_sort_implIS3_Lb0EPKsPsPKlPlN2at6native12_GLOBAL__N_18offset_tEEE10hipError_tPvRmT1_PNSt15iterator_traitsISK_E10value_typeET2_T3_PNSL_ISQ_E10value_typeET4_jRbjT5_SW_jjP12ihipStream_tbEUlT_E0_NS1_11comp_targetILNS1_3genE10ELNS1_11target_archE1201ELNS1_3gpuE5ELNS1_3repE0EEENS1_60segmented_radix_sort_warp_sort_medium_config_static_selectorELNS0_4arch9wavefront6targetE0EEEvSK_.kd
    .uniform_work_group_size: 1
    .uses_dynamic_stack: false
    .vgpr_count:     0
    .vgpr_spill_count: 0
    .wavefront_size: 32
    .workgroup_processor_mode: 1
  - .args:
      - .offset:         0
        .size:           88
        .value_kind:     by_value
    .group_segment_fixed_size: 0
    .kernarg_segment_align: 8
    .kernarg_segment_size: 88
    .language:       OpenCL C
    .language_version:
      - 2
      - 0
    .max_flat_workgroup_size: 256
    .name:           _ZN7rocprim17ROCPRIM_400000_NS6detail17trampoline_kernelINS0_14default_configENS1_36segmented_radix_sort_config_selectorIslEEZNS1_25segmented_radix_sort_implIS3_Lb0EPKsPsPKlPlN2at6native12_GLOBAL__N_18offset_tEEE10hipError_tPvRmT1_PNSt15iterator_traitsISK_E10value_typeET2_T3_PNSL_ISQ_E10value_typeET4_jRbjT5_SW_jjP12ihipStream_tbEUlT_E0_NS1_11comp_targetILNS1_3genE10ELNS1_11target_archE1200ELNS1_3gpuE4ELNS1_3repE0EEENS1_60segmented_radix_sort_warp_sort_medium_config_static_selectorELNS0_4arch9wavefront6targetE0EEEvSK_
    .private_segment_fixed_size: 0
    .sgpr_count:     0
    .sgpr_spill_count: 0
    .symbol:         _ZN7rocprim17ROCPRIM_400000_NS6detail17trampoline_kernelINS0_14default_configENS1_36segmented_radix_sort_config_selectorIslEEZNS1_25segmented_radix_sort_implIS3_Lb0EPKsPsPKlPlN2at6native12_GLOBAL__N_18offset_tEEE10hipError_tPvRmT1_PNSt15iterator_traitsISK_E10value_typeET2_T3_PNSL_ISQ_E10value_typeET4_jRbjT5_SW_jjP12ihipStream_tbEUlT_E0_NS1_11comp_targetILNS1_3genE10ELNS1_11target_archE1200ELNS1_3gpuE4ELNS1_3repE0EEENS1_60segmented_radix_sort_warp_sort_medium_config_static_selectorELNS0_4arch9wavefront6targetE0EEEvSK_.kd
    .uniform_work_group_size: 1
    .uses_dynamic_stack: false
    .vgpr_count:     0
    .vgpr_spill_count: 0
    .wavefront_size: 32
    .workgroup_processor_mode: 1
  - .args:
      - .offset:         0
        .size:           88
        .value_kind:     by_value
    .group_segment_fixed_size: 0
    .kernarg_segment_align: 8
    .kernarg_segment_size: 88
    .language:       OpenCL C
    .language_version:
      - 2
      - 0
    .max_flat_workgroup_size: 256
    .name:           _ZN7rocprim17ROCPRIM_400000_NS6detail17trampoline_kernelINS0_14default_configENS1_36segmented_radix_sort_config_selectorIslEEZNS1_25segmented_radix_sort_implIS3_Lb0EPKsPsPKlPlN2at6native12_GLOBAL__N_18offset_tEEE10hipError_tPvRmT1_PNSt15iterator_traitsISK_E10value_typeET2_T3_PNSL_ISQ_E10value_typeET4_jRbjT5_SW_jjP12ihipStream_tbEUlT_E0_NS1_11comp_targetILNS1_3genE9ELNS1_11target_archE1100ELNS1_3gpuE3ELNS1_3repE0EEENS1_60segmented_radix_sort_warp_sort_medium_config_static_selectorELNS0_4arch9wavefront6targetE0EEEvSK_
    .private_segment_fixed_size: 0
    .sgpr_count:     0
    .sgpr_spill_count: 0
    .symbol:         _ZN7rocprim17ROCPRIM_400000_NS6detail17trampoline_kernelINS0_14default_configENS1_36segmented_radix_sort_config_selectorIslEEZNS1_25segmented_radix_sort_implIS3_Lb0EPKsPsPKlPlN2at6native12_GLOBAL__N_18offset_tEEE10hipError_tPvRmT1_PNSt15iterator_traitsISK_E10value_typeET2_T3_PNSL_ISQ_E10value_typeET4_jRbjT5_SW_jjP12ihipStream_tbEUlT_E0_NS1_11comp_targetILNS1_3genE9ELNS1_11target_archE1100ELNS1_3gpuE3ELNS1_3repE0EEENS1_60segmented_radix_sort_warp_sort_medium_config_static_selectorELNS0_4arch9wavefront6targetE0EEEvSK_.kd
    .uniform_work_group_size: 1
    .uses_dynamic_stack: false
    .vgpr_count:     0
    .vgpr_spill_count: 0
    .wavefront_size: 32
    .workgroup_processor_mode: 1
  - .args:
      - .offset:         0
        .size:           88
        .value_kind:     by_value
      - .offset:         88
        .size:           4
        .value_kind:     hidden_block_count_x
      - .offset:         92
        .size:           4
        .value_kind:     hidden_block_count_y
      - .offset:         96
        .size:           4
        .value_kind:     hidden_block_count_z
      - .offset:         100
        .size:           2
        .value_kind:     hidden_group_size_x
      - .offset:         102
        .size:           2
        .value_kind:     hidden_group_size_y
      - .offset:         104
        .size:           2
        .value_kind:     hidden_group_size_z
      - .offset:         106
        .size:           2
        .value_kind:     hidden_remainder_x
      - .offset:         108
        .size:           2
        .value_kind:     hidden_remainder_y
      - .offset:         110
        .size:           2
        .value_kind:     hidden_remainder_z
      - .offset:         128
        .size:           8
        .value_kind:     hidden_global_offset_x
      - .offset:         136
        .size:           8
        .value_kind:     hidden_global_offset_y
      - .offset:         144
        .size:           8
        .value_kind:     hidden_global_offset_z
      - .offset:         152
        .size:           2
        .value_kind:     hidden_grid_dims
    .group_segment_fixed_size: 10240
    .kernarg_segment_align: 8
    .kernarg_segment_size: 344
    .language:       OpenCL C
    .language_version:
      - 2
      - 0
    .max_flat_workgroup_size: 256
    .name:           _ZN7rocprim17ROCPRIM_400000_NS6detail17trampoline_kernelINS0_14default_configENS1_36segmented_radix_sort_config_selectorIslEEZNS1_25segmented_radix_sort_implIS3_Lb0EPKsPsPKlPlN2at6native12_GLOBAL__N_18offset_tEEE10hipError_tPvRmT1_PNSt15iterator_traitsISK_E10value_typeET2_T3_PNSL_ISQ_E10value_typeET4_jRbjT5_SW_jjP12ihipStream_tbEUlT_E0_NS1_11comp_targetILNS1_3genE8ELNS1_11target_archE1030ELNS1_3gpuE2ELNS1_3repE0EEENS1_60segmented_radix_sort_warp_sort_medium_config_static_selectorELNS0_4arch9wavefront6targetE0EEEvSK_
    .private_segment_fixed_size: 0
    .sgpr_count:     42
    .sgpr_spill_count: 0
    .symbol:         _ZN7rocprim17ROCPRIM_400000_NS6detail17trampoline_kernelINS0_14default_configENS1_36segmented_radix_sort_config_selectorIslEEZNS1_25segmented_radix_sort_implIS3_Lb0EPKsPsPKlPlN2at6native12_GLOBAL__N_18offset_tEEE10hipError_tPvRmT1_PNSt15iterator_traitsISK_E10value_typeET2_T3_PNSL_ISQ_E10value_typeET4_jRbjT5_SW_jjP12ihipStream_tbEUlT_E0_NS1_11comp_targetILNS1_3genE8ELNS1_11target_archE1030ELNS1_3gpuE2ELNS1_3repE0EEENS1_60segmented_radix_sort_warp_sort_medium_config_static_selectorELNS0_4arch9wavefront6targetE0EEEvSK_.kd
    .uniform_work_group_size: 1
    .uses_dynamic_stack: false
    .vgpr_count:     54
    .vgpr_spill_count: 0
    .wavefront_size: 32
    .workgroup_processor_mode: 1
  - .args:
      - .offset:         0
        .size:           88
        .value_kind:     by_value
    .group_segment_fixed_size: 0
    .kernarg_segment_align: 8
    .kernarg_segment_size: 88
    .language:       OpenCL C
    .language_version:
      - 2
      - 0
    .max_flat_workgroup_size: 256
    .name:           _ZN7rocprim17ROCPRIM_400000_NS6detail17trampoline_kernelINS0_14default_configENS1_36segmented_radix_sort_config_selectorIslEEZNS1_25segmented_radix_sort_implIS3_Lb0EPKsPsPKlPlN2at6native12_GLOBAL__N_18offset_tEEE10hipError_tPvRmT1_PNSt15iterator_traitsISK_E10value_typeET2_T3_PNSL_ISQ_E10value_typeET4_jRbjT5_SW_jjP12ihipStream_tbEUlT_E1_NS1_11comp_targetILNS1_3genE0ELNS1_11target_archE4294967295ELNS1_3gpuE0ELNS1_3repE0EEENS1_59segmented_radix_sort_warp_sort_small_config_static_selectorELNS0_4arch9wavefront6targetE0EEEvSK_
    .private_segment_fixed_size: 0
    .sgpr_count:     0
    .sgpr_spill_count: 0
    .symbol:         _ZN7rocprim17ROCPRIM_400000_NS6detail17trampoline_kernelINS0_14default_configENS1_36segmented_radix_sort_config_selectorIslEEZNS1_25segmented_radix_sort_implIS3_Lb0EPKsPsPKlPlN2at6native12_GLOBAL__N_18offset_tEEE10hipError_tPvRmT1_PNSt15iterator_traitsISK_E10value_typeET2_T3_PNSL_ISQ_E10value_typeET4_jRbjT5_SW_jjP12ihipStream_tbEUlT_E1_NS1_11comp_targetILNS1_3genE0ELNS1_11target_archE4294967295ELNS1_3gpuE0ELNS1_3repE0EEENS1_59segmented_radix_sort_warp_sort_small_config_static_selectorELNS0_4arch9wavefront6targetE0EEEvSK_.kd
    .uniform_work_group_size: 1
    .uses_dynamic_stack: false
    .vgpr_count:     0
    .vgpr_spill_count: 0
    .wavefront_size: 32
    .workgroup_processor_mode: 1
  - .args:
      - .offset:         0
        .size:           88
        .value_kind:     by_value
    .group_segment_fixed_size: 0
    .kernarg_segment_align: 8
    .kernarg_segment_size: 88
    .language:       OpenCL C
    .language_version:
      - 2
      - 0
    .max_flat_workgroup_size: 256
    .name:           _ZN7rocprim17ROCPRIM_400000_NS6detail17trampoline_kernelINS0_14default_configENS1_36segmented_radix_sort_config_selectorIslEEZNS1_25segmented_radix_sort_implIS3_Lb0EPKsPsPKlPlN2at6native12_GLOBAL__N_18offset_tEEE10hipError_tPvRmT1_PNSt15iterator_traitsISK_E10value_typeET2_T3_PNSL_ISQ_E10value_typeET4_jRbjT5_SW_jjP12ihipStream_tbEUlT_E1_NS1_11comp_targetILNS1_3genE5ELNS1_11target_archE942ELNS1_3gpuE9ELNS1_3repE0EEENS1_59segmented_radix_sort_warp_sort_small_config_static_selectorELNS0_4arch9wavefront6targetE0EEEvSK_
    .private_segment_fixed_size: 0
    .sgpr_count:     0
    .sgpr_spill_count: 0
    .symbol:         _ZN7rocprim17ROCPRIM_400000_NS6detail17trampoline_kernelINS0_14default_configENS1_36segmented_radix_sort_config_selectorIslEEZNS1_25segmented_radix_sort_implIS3_Lb0EPKsPsPKlPlN2at6native12_GLOBAL__N_18offset_tEEE10hipError_tPvRmT1_PNSt15iterator_traitsISK_E10value_typeET2_T3_PNSL_ISQ_E10value_typeET4_jRbjT5_SW_jjP12ihipStream_tbEUlT_E1_NS1_11comp_targetILNS1_3genE5ELNS1_11target_archE942ELNS1_3gpuE9ELNS1_3repE0EEENS1_59segmented_radix_sort_warp_sort_small_config_static_selectorELNS0_4arch9wavefront6targetE0EEEvSK_.kd
    .uniform_work_group_size: 1
    .uses_dynamic_stack: false
    .vgpr_count:     0
    .vgpr_spill_count: 0
    .wavefront_size: 32
    .workgroup_processor_mode: 1
  - .args:
      - .offset:         0
        .size:           88
        .value_kind:     by_value
    .group_segment_fixed_size: 0
    .kernarg_segment_align: 8
    .kernarg_segment_size: 88
    .language:       OpenCL C
    .language_version:
      - 2
      - 0
    .max_flat_workgroup_size: 256
    .name:           _ZN7rocprim17ROCPRIM_400000_NS6detail17trampoline_kernelINS0_14default_configENS1_36segmented_radix_sort_config_selectorIslEEZNS1_25segmented_radix_sort_implIS3_Lb0EPKsPsPKlPlN2at6native12_GLOBAL__N_18offset_tEEE10hipError_tPvRmT1_PNSt15iterator_traitsISK_E10value_typeET2_T3_PNSL_ISQ_E10value_typeET4_jRbjT5_SW_jjP12ihipStream_tbEUlT_E1_NS1_11comp_targetILNS1_3genE4ELNS1_11target_archE910ELNS1_3gpuE8ELNS1_3repE0EEENS1_59segmented_radix_sort_warp_sort_small_config_static_selectorELNS0_4arch9wavefront6targetE0EEEvSK_
    .private_segment_fixed_size: 0
    .sgpr_count:     0
    .sgpr_spill_count: 0
    .symbol:         _ZN7rocprim17ROCPRIM_400000_NS6detail17trampoline_kernelINS0_14default_configENS1_36segmented_radix_sort_config_selectorIslEEZNS1_25segmented_radix_sort_implIS3_Lb0EPKsPsPKlPlN2at6native12_GLOBAL__N_18offset_tEEE10hipError_tPvRmT1_PNSt15iterator_traitsISK_E10value_typeET2_T3_PNSL_ISQ_E10value_typeET4_jRbjT5_SW_jjP12ihipStream_tbEUlT_E1_NS1_11comp_targetILNS1_3genE4ELNS1_11target_archE910ELNS1_3gpuE8ELNS1_3repE0EEENS1_59segmented_radix_sort_warp_sort_small_config_static_selectorELNS0_4arch9wavefront6targetE0EEEvSK_.kd
    .uniform_work_group_size: 1
    .uses_dynamic_stack: false
    .vgpr_count:     0
    .vgpr_spill_count: 0
    .wavefront_size: 32
    .workgroup_processor_mode: 1
  - .args:
      - .offset:         0
        .size:           88
        .value_kind:     by_value
    .group_segment_fixed_size: 0
    .kernarg_segment_align: 8
    .kernarg_segment_size: 88
    .language:       OpenCL C
    .language_version:
      - 2
      - 0
    .max_flat_workgroup_size: 256
    .name:           _ZN7rocprim17ROCPRIM_400000_NS6detail17trampoline_kernelINS0_14default_configENS1_36segmented_radix_sort_config_selectorIslEEZNS1_25segmented_radix_sort_implIS3_Lb0EPKsPsPKlPlN2at6native12_GLOBAL__N_18offset_tEEE10hipError_tPvRmT1_PNSt15iterator_traitsISK_E10value_typeET2_T3_PNSL_ISQ_E10value_typeET4_jRbjT5_SW_jjP12ihipStream_tbEUlT_E1_NS1_11comp_targetILNS1_3genE3ELNS1_11target_archE908ELNS1_3gpuE7ELNS1_3repE0EEENS1_59segmented_radix_sort_warp_sort_small_config_static_selectorELNS0_4arch9wavefront6targetE0EEEvSK_
    .private_segment_fixed_size: 0
    .sgpr_count:     0
    .sgpr_spill_count: 0
    .symbol:         _ZN7rocprim17ROCPRIM_400000_NS6detail17trampoline_kernelINS0_14default_configENS1_36segmented_radix_sort_config_selectorIslEEZNS1_25segmented_radix_sort_implIS3_Lb0EPKsPsPKlPlN2at6native12_GLOBAL__N_18offset_tEEE10hipError_tPvRmT1_PNSt15iterator_traitsISK_E10value_typeET2_T3_PNSL_ISQ_E10value_typeET4_jRbjT5_SW_jjP12ihipStream_tbEUlT_E1_NS1_11comp_targetILNS1_3genE3ELNS1_11target_archE908ELNS1_3gpuE7ELNS1_3repE0EEENS1_59segmented_radix_sort_warp_sort_small_config_static_selectorELNS0_4arch9wavefront6targetE0EEEvSK_.kd
    .uniform_work_group_size: 1
    .uses_dynamic_stack: false
    .vgpr_count:     0
    .vgpr_spill_count: 0
    .wavefront_size: 32
    .workgroup_processor_mode: 1
  - .args:
      - .offset:         0
        .size:           88
        .value_kind:     by_value
    .group_segment_fixed_size: 0
    .kernarg_segment_align: 8
    .kernarg_segment_size: 88
    .language:       OpenCL C
    .language_version:
      - 2
      - 0
    .max_flat_workgroup_size: 256
    .name:           _ZN7rocprim17ROCPRIM_400000_NS6detail17trampoline_kernelINS0_14default_configENS1_36segmented_radix_sort_config_selectorIslEEZNS1_25segmented_radix_sort_implIS3_Lb0EPKsPsPKlPlN2at6native12_GLOBAL__N_18offset_tEEE10hipError_tPvRmT1_PNSt15iterator_traitsISK_E10value_typeET2_T3_PNSL_ISQ_E10value_typeET4_jRbjT5_SW_jjP12ihipStream_tbEUlT_E1_NS1_11comp_targetILNS1_3genE2ELNS1_11target_archE906ELNS1_3gpuE6ELNS1_3repE0EEENS1_59segmented_radix_sort_warp_sort_small_config_static_selectorELNS0_4arch9wavefront6targetE0EEEvSK_
    .private_segment_fixed_size: 0
    .sgpr_count:     0
    .sgpr_spill_count: 0
    .symbol:         _ZN7rocprim17ROCPRIM_400000_NS6detail17trampoline_kernelINS0_14default_configENS1_36segmented_radix_sort_config_selectorIslEEZNS1_25segmented_radix_sort_implIS3_Lb0EPKsPsPKlPlN2at6native12_GLOBAL__N_18offset_tEEE10hipError_tPvRmT1_PNSt15iterator_traitsISK_E10value_typeET2_T3_PNSL_ISQ_E10value_typeET4_jRbjT5_SW_jjP12ihipStream_tbEUlT_E1_NS1_11comp_targetILNS1_3genE2ELNS1_11target_archE906ELNS1_3gpuE6ELNS1_3repE0EEENS1_59segmented_radix_sort_warp_sort_small_config_static_selectorELNS0_4arch9wavefront6targetE0EEEvSK_.kd
    .uniform_work_group_size: 1
    .uses_dynamic_stack: false
    .vgpr_count:     0
    .vgpr_spill_count: 0
    .wavefront_size: 32
    .workgroup_processor_mode: 1
  - .args:
      - .offset:         0
        .size:           88
        .value_kind:     by_value
    .group_segment_fixed_size: 0
    .kernarg_segment_align: 8
    .kernarg_segment_size: 88
    .language:       OpenCL C
    .language_version:
      - 2
      - 0
    .max_flat_workgroup_size: 256
    .name:           _ZN7rocprim17ROCPRIM_400000_NS6detail17trampoline_kernelINS0_14default_configENS1_36segmented_radix_sort_config_selectorIslEEZNS1_25segmented_radix_sort_implIS3_Lb0EPKsPsPKlPlN2at6native12_GLOBAL__N_18offset_tEEE10hipError_tPvRmT1_PNSt15iterator_traitsISK_E10value_typeET2_T3_PNSL_ISQ_E10value_typeET4_jRbjT5_SW_jjP12ihipStream_tbEUlT_E1_NS1_11comp_targetILNS1_3genE10ELNS1_11target_archE1201ELNS1_3gpuE5ELNS1_3repE0EEENS1_59segmented_radix_sort_warp_sort_small_config_static_selectorELNS0_4arch9wavefront6targetE0EEEvSK_
    .private_segment_fixed_size: 0
    .sgpr_count:     0
    .sgpr_spill_count: 0
    .symbol:         _ZN7rocprim17ROCPRIM_400000_NS6detail17trampoline_kernelINS0_14default_configENS1_36segmented_radix_sort_config_selectorIslEEZNS1_25segmented_radix_sort_implIS3_Lb0EPKsPsPKlPlN2at6native12_GLOBAL__N_18offset_tEEE10hipError_tPvRmT1_PNSt15iterator_traitsISK_E10value_typeET2_T3_PNSL_ISQ_E10value_typeET4_jRbjT5_SW_jjP12ihipStream_tbEUlT_E1_NS1_11comp_targetILNS1_3genE10ELNS1_11target_archE1201ELNS1_3gpuE5ELNS1_3repE0EEENS1_59segmented_radix_sort_warp_sort_small_config_static_selectorELNS0_4arch9wavefront6targetE0EEEvSK_.kd
    .uniform_work_group_size: 1
    .uses_dynamic_stack: false
    .vgpr_count:     0
    .vgpr_spill_count: 0
    .wavefront_size: 32
    .workgroup_processor_mode: 1
  - .args:
      - .offset:         0
        .size:           88
        .value_kind:     by_value
    .group_segment_fixed_size: 0
    .kernarg_segment_align: 8
    .kernarg_segment_size: 88
    .language:       OpenCL C
    .language_version:
      - 2
      - 0
    .max_flat_workgroup_size: 256
    .name:           _ZN7rocprim17ROCPRIM_400000_NS6detail17trampoline_kernelINS0_14default_configENS1_36segmented_radix_sort_config_selectorIslEEZNS1_25segmented_radix_sort_implIS3_Lb0EPKsPsPKlPlN2at6native12_GLOBAL__N_18offset_tEEE10hipError_tPvRmT1_PNSt15iterator_traitsISK_E10value_typeET2_T3_PNSL_ISQ_E10value_typeET4_jRbjT5_SW_jjP12ihipStream_tbEUlT_E1_NS1_11comp_targetILNS1_3genE10ELNS1_11target_archE1200ELNS1_3gpuE4ELNS1_3repE0EEENS1_59segmented_radix_sort_warp_sort_small_config_static_selectorELNS0_4arch9wavefront6targetE0EEEvSK_
    .private_segment_fixed_size: 0
    .sgpr_count:     0
    .sgpr_spill_count: 0
    .symbol:         _ZN7rocprim17ROCPRIM_400000_NS6detail17trampoline_kernelINS0_14default_configENS1_36segmented_radix_sort_config_selectorIslEEZNS1_25segmented_radix_sort_implIS3_Lb0EPKsPsPKlPlN2at6native12_GLOBAL__N_18offset_tEEE10hipError_tPvRmT1_PNSt15iterator_traitsISK_E10value_typeET2_T3_PNSL_ISQ_E10value_typeET4_jRbjT5_SW_jjP12ihipStream_tbEUlT_E1_NS1_11comp_targetILNS1_3genE10ELNS1_11target_archE1200ELNS1_3gpuE4ELNS1_3repE0EEENS1_59segmented_radix_sort_warp_sort_small_config_static_selectorELNS0_4arch9wavefront6targetE0EEEvSK_.kd
    .uniform_work_group_size: 1
    .uses_dynamic_stack: false
    .vgpr_count:     0
    .vgpr_spill_count: 0
    .wavefront_size: 32
    .workgroup_processor_mode: 1
  - .args:
      - .offset:         0
        .size:           88
        .value_kind:     by_value
    .group_segment_fixed_size: 0
    .kernarg_segment_align: 8
    .kernarg_segment_size: 88
    .language:       OpenCL C
    .language_version:
      - 2
      - 0
    .max_flat_workgroup_size: 256
    .name:           _ZN7rocprim17ROCPRIM_400000_NS6detail17trampoline_kernelINS0_14default_configENS1_36segmented_radix_sort_config_selectorIslEEZNS1_25segmented_radix_sort_implIS3_Lb0EPKsPsPKlPlN2at6native12_GLOBAL__N_18offset_tEEE10hipError_tPvRmT1_PNSt15iterator_traitsISK_E10value_typeET2_T3_PNSL_ISQ_E10value_typeET4_jRbjT5_SW_jjP12ihipStream_tbEUlT_E1_NS1_11comp_targetILNS1_3genE9ELNS1_11target_archE1100ELNS1_3gpuE3ELNS1_3repE0EEENS1_59segmented_radix_sort_warp_sort_small_config_static_selectorELNS0_4arch9wavefront6targetE0EEEvSK_
    .private_segment_fixed_size: 0
    .sgpr_count:     0
    .sgpr_spill_count: 0
    .symbol:         _ZN7rocprim17ROCPRIM_400000_NS6detail17trampoline_kernelINS0_14default_configENS1_36segmented_radix_sort_config_selectorIslEEZNS1_25segmented_radix_sort_implIS3_Lb0EPKsPsPKlPlN2at6native12_GLOBAL__N_18offset_tEEE10hipError_tPvRmT1_PNSt15iterator_traitsISK_E10value_typeET2_T3_PNSL_ISQ_E10value_typeET4_jRbjT5_SW_jjP12ihipStream_tbEUlT_E1_NS1_11comp_targetILNS1_3genE9ELNS1_11target_archE1100ELNS1_3gpuE3ELNS1_3repE0EEENS1_59segmented_radix_sort_warp_sort_small_config_static_selectorELNS0_4arch9wavefront6targetE0EEEvSK_.kd
    .uniform_work_group_size: 1
    .uses_dynamic_stack: false
    .vgpr_count:     0
    .vgpr_spill_count: 0
    .wavefront_size: 32
    .workgroup_processor_mode: 1
  - .args:
      - .offset:         0
        .size:           88
        .value_kind:     by_value
      - .offset:         88
        .size:           4
        .value_kind:     hidden_block_count_x
      - .offset:         92
        .size:           4
        .value_kind:     hidden_block_count_y
      - .offset:         96
        .size:           4
        .value_kind:     hidden_block_count_z
      - .offset:         100
        .size:           2
        .value_kind:     hidden_group_size_x
      - .offset:         102
        .size:           2
        .value_kind:     hidden_group_size_y
      - .offset:         104
        .size:           2
        .value_kind:     hidden_group_size_z
      - .offset:         106
        .size:           2
        .value_kind:     hidden_remainder_x
      - .offset:         108
        .size:           2
        .value_kind:     hidden_remainder_y
      - .offset:         110
        .size:           2
        .value_kind:     hidden_remainder_z
      - .offset:         128
        .size:           8
        .value_kind:     hidden_global_offset_x
      - .offset:         136
        .size:           8
        .value_kind:     hidden_global_offset_y
      - .offset:         144
        .size:           8
        .value_kind:     hidden_global_offset_z
      - .offset:         152
        .size:           2
        .value_kind:     hidden_grid_dims
    .group_segment_fixed_size: 10240
    .kernarg_segment_align: 8
    .kernarg_segment_size: 344
    .language:       OpenCL C
    .language_version:
      - 2
      - 0
    .max_flat_workgroup_size: 256
    .name:           _ZN7rocprim17ROCPRIM_400000_NS6detail17trampoline_kernelINS0_14default_configENS1_36segmented_radix_sort_config_selectorIslEEZNS1_25segmented_radix_sort_implIS3_Lb0EPKsPsPKlPlN2at6native12_GLOBAL__N_18offset_tEEE10hipError_tPvRmT1_PNSt15iterator_traitsISK_E10value_typeET2_T3_PNSL_ISQ_E10value_typeET4_jRbjT5_SW_jjP12ihipStream_tbEUlT_E1_NS1_11comp_targetILNS1_3genE8ELNS1_11target_archE1030ELNS1_3gpuE2ELNS1_3repE0EEENS1_59segmented_radix_sort_warp_sort_small_config_static_selectorELNS0_4arch9wavefront6targetE0EEEvSK_
    .private_segment_fixed_size: 0
    .sgpr_count:     42
    .sgpr_spill_count: 0
    .symbol:         _ZN7rocprim17ROCPRIM_400000_NS6detail17trampoline_kernelINS0_14default_configENS1_36segmented_radix_sort_config_selectorIslEEZNS1_25segmented_radix_sort_implIS3_Lb0EPKsPsPKlPlN2at6native12_GLOBAL__N_18offset_tEEE10hipError_tPvRmT1_PNSt15iterator_traitsISK_E10value_typeET2_T3_PNSL_ISQ_E10value_typeET4_jRbjT5_SW_jjP12ihipStream_tbEUlT_E1_NS1_11comp_targetILNS1_3genE8ELNS1_11target_archE1030ELNS1_3gpuE2ELNS1_3repE0EEENS1_59segmented_radix_sort_warp_sort_small_config_static_selectorELNS0_4arch9wavefront6targetE0EEEvSK_.kd
    .uniform_work_group_size: 1
    .uses_dynamic_stack: false
    .vgpr_count:     54
    .vgpr_spill_count: 0
    .wavefront_size: 32
    .workgroup_processor_mode: 1
  - .args:
      - .offset:         0
        .size:           80
        .value_kind:     by_value
    .group_segment_fixed_size: 0
    .kernarg_segment_align: 8
    .kernarg_segment_size: 80
    .language:       OpenCL C
    .language_version:
      - 2
      - 0
    .max_flat_workgroup_size: 256
    .name:           _ZN7rocprim17ROCPRIM_400000_NS6detail17trampoline_kernelINS0_14default_configENS1_36segmented_radix_sort_config_selectorIslEEZNS1_25segmented_radix_sort_implIS3_Lb0EPKsPsPKlPlN2at6native12_GLOBAL__N_18offset_tEEE10hipError_tPvRmT1_PNSt15iterator_traitsISK_E10value_typeET2_T3_PNSL_ISQ_E10value_typeET4_jRbjT5_SW_jjP12ihipStream_tbEUlT_E2_NS1_11comp_targetILNS1_3genE0ELNS1_11target_archE4294967295ELNS1_3gpuE0ELNS1_3repE0EEENS1_30default_config_static_selectorELNS0_4arch9wavefront6targetE0EEEvSK_
    .private_segment_fixed_size: 0
    .sgpr_count:     0
    .sgpr_spill_count: 0
    .symbol:         _ZN7rocprim17ROCPRIM_400000_NS6detail17trampoline_kernelINS0_14default_configENS1_36segmented_radix_sort_config_selectorIslEEZNS1_25segmented_radix_sort_implIS3_Lb0EPKsPsPKlPlN2at6native12_GLOBAL__N_18offset_tEEE10hipError_tPvRmT1_PNSt15iterator_traitsISK_E10value_typeET2_T3_PNSL_ISQ_E10value_typeET4_jRbjT5_SW_jjP12ihipStream_tbEUlT_E2_NS1_11comp_targetILNS1_3genE0ELNS1_11target_archE4294967295ELNS1_3gpuE0ELNS1_3repE0EEENS1_30default_config_static_selectorELNS0_4arch9wavefront6targetE0EEEvSK_.kd
    .uniform_work_group_size: 1
    .uses_dynamic_stack: false
    .vgpr_count:     0
    .vgpr_spill_count: 0
    .wavefront_size: 32
    .workgroup_processor_mode: 1
  - .args:
      - .offset:         0
        .size:           80
        .value_kind:     by_value
    .group_segment_fixed_size: 0
    .kernarg_segment_align: 8
    .kernarg_segment_size: 80
    .language:       OpenCL C
    .language_version:
      - 2
      - 0
    .max_flat_workgroup_size: 256
    .name:           _ZN7rocprim17ROCPRIM_400000_NS6detail17trampoline_kernelINS0_14default_configENS1_36segmented_radix_sort_config_selectorIslEEZNS1_25segmented_radix_sort_implIS3_Lb0EPKsPsPKlPlN2at6native12_GLOBAL__N_18offset_tEEE10hipError_tPvRmT1_PNSt15iterator_traitsISK_E10value_typeET2_T3_PNSL_ISQ_E10value_typeET4_jRbjT5_SW_jjP12ihipStream_tbEUlT_E2_NS1_11comp_targetILNS1_3genE5ELNS1_11target_archE942ELNS1_3gpuE9ELNS1_3repE0EEENS1_30default_config_static_selectorELNS0_4arch9wavefront6targetE0EEEvSK_
    .private_segment_fixed_size: 0
    .sgpr_count:     0
    .sgpr_spill_count: 0
    .symbol:         _ZN7rocprim17ROCPRIM_400000_NS6detail17trampoline_kernelINS0_14default_configENS1_36segmented_radix_sort_config_selectorIslEEZNS1_25segmented_radix_sort_implIS3_Lb0EPKsPsPKlPlN2at6native12_GLOBAL__N_18offset_tEEE10hipError_tPvRmT1_PNSt15iterator_traitsISK_E10value_typeET2_T3_PNSL_ISQ_E10value_typeET4_jRbjT5_SW_jjP12ihipStream_tbEUlT_E2_NS1_11comp_targetILNS1_3genE5ELNS1_11target_archE942ELNS1_3gpuE9ELNS1_3repE0EEENS1_30default_config_static_selectorELNS0_4arch9wavefront6targetE0EEEvSK_.kd
    .uniform_work_group_size: 1
    .uses_dynamic_stack: false
    .vgpr_count:     0
    .vgpr_spill_count: 0
    .wavefront_size: 32
    .workgroup_processor_mode: 1
  - .args:
      - .offset:         0
        .size:           80
        .value_kind:     by_value
    .group_segment_fixed_size: 0
    .kernarg_segment_align: 8
    .kernarg_segment_size: 80
    .language:       OpenCL C
    .language_version:
      - 2
      - 0
    .max_flat_workgroup_size: 256
    .name:           _ZN7rocprim17ROCPRIM_400000_NS6detail17trampoline_kernelINS0_14default_configENS1_36segmented_radix_sort_config_selectorIslEEZNS1_25segmented_radix_sort_implIS3_Lb0EPKsPsPKlPlN2at6native12_GLOBAL__N_18offset_tEEE10hipError_tPvRmT1_PNSt15iterator_traitsISK_E10value_typeET2_T3_PNSL_ISQ_E10value_typeET4_jRbjT5_SW_jjP12ihipStream_tbEUlT_E2_NS1_11comp_targetILNS1_3genE4ELNS1_11target_archE910ELNS1_3gpuE8ELNS1_3repE0EEENS1_30default_config_static_selectorELNS0_4arch9wavefront6targetE0EEEvSK_
    .private_segment_fixed_size: 0
    .sgpr_count:     0
    .sgpr_spill_count: 0
    .symbol:         _ZN7rocprim17ROCPRIM_400000_NS6detail17trampoline_kernelINS0_14default_configENS1_36segmented_radix_sort_config_selectorIslEEZNS1_25segmented_radix_sort_implIS3_Lb0EPKsPsPKlPlN2at6native12_GLOBAL__N_18offset_tEEE10hipError_tPvRmT1_PNSt15iterator_traitsISK_E10value_typeET2_T3_PNSL_ISQ_E10value_typeET4_jRbjT5_SW_jjP12ihipStream_tbEUlT_E2_NS1_11comp_targetILNS1_3genE4ELNS1_11target_archE910ELNS1_3gpuE8ELNS1_3repE0EEENS1_30default_config_static_selectorELNS0_4arch9wavefront6targetE0EEEvSK_.kd
    .uniform_work_group_size: 1
    .uses_dynamic_stack: false
    .vgpr_count:     0
    .vgpr_spill_count: 0
    .wavefront_size: 32
    .workgroup_processor_mode: 1
  - .args:
      - .offset:         0
        .size:           80
        .value_kind:     by_value
    .group_segment_fixed_size: 0
    .kernarg_segment_align: 8
    .kernarg_segment_size: 80
    .language:       OpenCL C
    .language_version:
      - 2
      - 0
    .max_flat_workgroup_size: 256
    .name:           _ZN7rocprim17ROCPRIM_400000_NS6detail17trampoline_kernelINS0_14default_configENS1_36segmented_radix_sort_config_selectorIslEEZNS1_25segmented_radix_sort_implIS3_Lb0EPKsPsPKlPlN2at6native12_GLOBAL__N_18offset_tEEE10hipError_tPvRmT1_PNSt15iterator_traitsISK_E10value_typeET2_T3_PNSL_ISQ_E10value_typeET4_jRbjT5_SW_jjP12ihipStream_tbEUlT_E2_NS1_11comp_targetILNS1_3genE3ELNS1_11target_archE908ELNS1_3gpuE7ELNS1_3repE0EEENS1_30default_config_static_selectorELNS0_4arch9wavefront6targetE0EEEvSK_
    .private_segment_fixed_size: 0
    .sgpr_count:     0
    .sgpr_spill_count: 0
    .symbol:         _ZN7rocprim17ROCPRIM_400000_NS6detail17trampoline_kernelINS0_14default_configENS1_36segmented_radix_sort_config_selectorIslEEZNS1_25segmented_radix_sort_implIS3_Lb0EPKsPsPKlPlN2at6native12_GLOBAL__N_18offset_tEEE10hipError_tPvRmT1_PNSt15iterator_traitsISK_E10value_typeET2_T3_PNSL_ISQ_E10value_typeET4_jRbjT5_SW_jjP12ihipStream_tbEUlT_E2_NS1_11comp_targetILNS1_3genE3ELNS1_11target_archE908ELNS1_3gpuE7ELNS1_3repE0EEENS1_30default_config_static_selectorELNS0_4arch9wavefront6targetE0EEEvSK_.kd
    .uniform_work_group_size: 1
    .uses_dynamic_stack: false
    .vgpr_count:     0
    .vgpr_spill_count: 0
    .wavefront_size: 32
    .workgroup_processor_mode: 1
  - .args:
      - .offset:         0
        .size:           80
        .value_kind:     by_value
    .group_segment_fixed_size: 0
    .kernarg_segment_align: 8
    .kernarg_segment_size: 80
    .language:       OpenCL C
    .language_version:
      - 2
      - 0
    .max_flat_workgroup_size: 256
    .name:           _ZN7rocprim17ROCPRIM_400000_NS6detail17trampoline_kernelINS0_14default_configENS1_36segmented_radix_sort_config_selectorIslEEZNS1_25segmented_radix_sort_implIS3_Lb0EPKsPsPKlPlN2at6native12_GLOBAL__N_18offset_tEEE10hipError_tPvRmT1_PNSt15iterator_traitsISK_E10value_typeET2_T3_PNSL_ISQ_E10value_typeET4_jRbjT5_SW_jjP12ihipStream_tbEUlT_E2_NS1_11comp_targetILNS1_3genE2ELNS1_11target_archE906ELNS1_3gpuE6ELNS1_3repE0EEENS1_30default_config_static_selectorELNS0_4arch9wavefront6targetE0EEEvSK_
    .private_segment_fixed_size: 0
    .sgpr_count:     0
    .sgpr_spill_count: 0
    .symbol:         _ZN7rocprim17ROCPRIM_400000_NS6detail17trampoline_kernelINS0_14default_configENS1_36segmented_radix_sort_config_selectorIslEEZNS1_25segmented_radix_sort_implIS3_Lb0EPKsPsPKlPlN2at6native12_GLOBAL__N_18offset_tEEE10hipError_tPvRmT1_PNSt15iterator_traitsISK_E10value_typeET2_T3_PNSL_ISQ_E10value_typeET4_jRbjT5_SW_jjP12ihipStream_tbEUlT_E2_NS1_11comp_targetILNS1_3genE2ELNS1_11target_archE906ELNS1_3gpuE6ELNS1_3repE0EEENS1_30default_config_static_selectorELNS0_4arch9wavefront6targetE0EEEvSK_.kd
    .uniform_work_group_size: 1
    .uses_dynamic_stack: false
    .vgpr_count:     0
    .vgpr_spill_count: 0
    .wavefront_size: 32
    .workgroup_processor_mode: 1
  - .args:
      - .offset:         0
        .size:           80
        .value_kind:     by_value
    .group_segment_fixed_size: 0
    .kernarg_segment_align: 8
    .kernarg_segment_size: 80
    .language:       OpenCL C
    .language_version:
      - 2
      - 0
    .max_flat_workgroup_size: 256
    .name:           _ZN7rocprim17ROCPRIM_400000_NS6detail17trampoline_kernelINS0_14default_configENS1_36segmented_radix_sort_config_selectorIslEEZNS1_25segmented_radix_sort_implIS3_Lb0EPKsPsPKlPlN2at6native12_GLOBAL__N_18offset_tEEE10hipError_tPvRmT1_PNSt15iterator_traitsISK_E10value_typeET2_T3_PNSL_ISQ_E10value_typeET4_jRbjT5_SW_jjP12ihipStream_tbEUlT_E2_NS1_11comp_targetILNS1_3genE10ELNS1_11target_archE1201ELNS1_3gpuE5ELNS1_3repE0EEENS1_30default_config_static_selectorELNS0_4arch9wavefront6targetE0EEEvSK_
    .private_segment_fixed_size: 0
    .sgpr_count:     0
    .sgpr_spill_count: 0
    .symbol:         _ZN7rocprim17ROCPRIM_400000_NS6detail17trampoline_kernelINS0_14default_configENS1_36segmented_radix_sort_config_selectorIslEEZNS1_25segmented_radix_sort_implIS3_Lb0EPKsPsPKlPlN2at6native12_GLOBAL__N_18offset_tEEE10hipError_tPvRmT1_PNSt15iterator_traitsISK_E10value_typeET2_T3_PNSL_ISQ_E10value_typeET4_jRbjT5_SW_jjP12ihipStream_tbEUlT_E2_NS1_11comp_targetILNS1_3genE10ELNS1_11target_archE1201ELNS1_3gpuE5ELNS1_3repE0EEENS1_30default_config_static_selectorELNS0_4arch9wavefront6targetE0EEEvSK_.kd
    .uniform_work_group_size: 1
    .uses_dynamic_stack: false
    .vgpr_count:     0
    .vgpr_spill_count: 0
    .wavefront_size: 32
    .workgroup_processor_mode: 1
  - .args:
      - .offset:         0
        .size:           80
        .value_kind:     by_value
    .group_segment_fixed_size: 0
    .kernarg_segment_align: 8
    .kernarg_segment_size: 80
    .language:       OpenCL C
    .language_version:
      - 2
      - 0
    .max_flat_workgroup_size: 128
    .name:           _ZN7rocprim17ROCPRIM_400000_NS6detail17trampoline_kernelINS0_14default_configENS1_36segmented_radix_sort_config_selectorIslEEZNS1_25segmented_radix_sort_implIS3_Lb0EPKsPsPKlPlN2at6native12_GLOBAL__N_18offset_tEEE10hipError_tPvRmT1_PNSt15iterator_traitsISK_E10value_typeET2_T3_PNSL_ISQ_E10value_typeET4_jRbjT5_SW_jjP12ihipStream_tbEUlT_E2_NS1_11comp_targetILNS1_3genE10ELNS1_11target_archE1200ELNS1_3gpuE4ELNS1_3repE0EEENS1_30default_config_static_selectorELNS0_4arch9wavefront6targetE0EEEvSK_
    .private_segment_fixed_size: 0
    .sgpr_count:     0
    .sgpr_spill_count: 0
    .symbol:         _ZN7rocprim17ROCPRIM_400000_NS6detail17trampoline_kernelINS0_14default_configENS1_36segmented_radix_sort_config_selectorIslEEZNS1_25segmented_radix_sort_implIS3_Lb0EPKsPsPKlPlN2at6native12_GLOBAL__N_18offset_tEEE10hipError_tPvRmT1_PNSt15iterator_traitsISK_E10value_typeET2_T3_PNSL_ISQ_E10value_typeET4_jRbjT5_SW_jjP12ihipStream_tbEUlT_E2_NS1_11comp_targetILNS1_3genE10ELNS1_11target_archE1200ELNS1_3gpuE4ELNS1_3repE0EEENS1_30default_config_static_selectorELNS0_4arch9wavefront6targetE0EEEvSK_.kd
    .uniform_work_group_size: 1
    .uses_dynamic_stack: false
    .vgpr_count:     0
    .vgpr_spill_count: 0
    .wavefront_size: 32
    .workgroup_processor_mode: 1
  - .args:
      - .offset:         0
        .size:           80
        .value_kind:     by_value
    .group_segment_fixed_size: 0
    .kernarg_segment_align: 8
    .kernarg_segment_size: 80
    .language:       OpenCL C
    .language_version:
      - 2
      - 0
    .max_flat_workgroup_size: 256
    .name:           _ZN7rocprim17ROCPRIM_400000_NS6detail17trampoline_kernelINS0_14default_configENS1_36segmented_radix_sort_config_selectorIslEEZNS1_25segmented_radix_sort_implIS3_Lb0EPKsPsPKlPlN2at6native12_GLOBAL__N_18offset_tEEE10hipError_tPvRmT1_PNSt15iterator_traitsISK_E10value_typeET2_T3_PNSL_ISQ_E10value_typeET4_jRbjT5_SW_jjP12ihipStream_tbEUlT_E2_NS1_11comp_targetILNS1_3genE9ELNS1_11target_archE1100ELNS1_3gpuE3ELNS1_3repE0EEENS1_30default_config_static_selectorELNS0_4arch9wavefront6targetE0EEEvSK_
    .private_segment_fixed_size: 0
    .sgpr_count:     0
    .sgpr_spill_count: 0
    .symbol:         _ZN7rocprim17ROCPRIM_400000_NS6detail17trampoline_kernelINS0_14default_configENS1_36segmented_radix_sort_config_selectorIslEEZNS1_25segmented_radix_sort_implIS3_Lb0EPKsPsPKlPlN2at6native12_GLOBAL__N_18offset_tEEE10hipError_tPvRmT1_PNSt15iterator_traitsISK_E10value_typeET2_T3_PNSL_ISQ_E10value_typeET4_jRbjT5_SW_jjP12ihipStream_tbEUlT_E2_NS1_11comp_targetILNS1_3genE9ELNS1_11target_archE1100ELNS1_3gpuE3ELNS1_3repE0EEENS1_30default_config_static_selectorELNS0_4arch9wavefront6targetE0EEEvSK_.kd
    .uniform_work_group_size: 1
    .uses_dynamic_stack: false
    .vgpr_count:     0
    .vgpr_spill_count: 0
    .wavefront_size: 32
    .workgroup_processor_mode: 1
  - .args:
      - .offset:         0
        .size:           80
        .value_kind:     by_value
      - .offset:         80
        .size:           4
        .value_kind:     hidden_block_count_x
      - .offset:         84
        .size:           4
        .value_kind:     hidden_block_count_y
      - .offset:         88
        .size:           4
        .value_kind:     hidden_block_count_z
      - .offset:         92
        .size:           2
        .value_kind:     hidden_group_size_x
      - .offset:         94
        .size:           2
        .value_kind:     hidden_group_size_y
      - .offset:         96
        .size:           2
        .value_kind:     hidden_group_size_z
      - .offset:         98
        .size:           2
        .value_kind:     hidden_remainder_x
      - .offset:         100
        .size:           2
        .value_kind:     hidden_remainder_y
      - .offset:         102
        .size:           2
        .value_kind:     hidden_remainder_z
      - .offset:         120
        .size:           8
        .value_kind:     hidden_global_offset_x
      - .offset:         128
        .size:           8
        .value_kind:     hidden_global_offset_y
      - .offset:         136
        .size:           8
        .value_kind:     hidden_global_offset_z
      - .offset:         144
        .size:           2
        .value_kind:     hidden_grid_dims
    .group_segment_fixed_size: 35344
    .kernarg_segment_align: 8
    .kernarg_segment_size: 336
    .language:       OpenCL C
    .language_version:
      - 2
      - 0
    .max_flat_workgroup_size: 256
    .name:           _ZN7rocprim17ROCPRIM_400000_NS6detail17trampoline_kernelINS0_14default_configENS1_36segmented_radix_sort_config_selectorIslEEZNS1_25segmented_radix_sort_implIS3_Lb0EPKsPsPKlPlN2at6native12_GLOBAL__N_18offset_tEEE10hipError_tPvRmT1_PNSt15iterator_traitsISK_E10value_typeET2_T3_PNSL_ISQ_E10value_typeET4_jRbjT5_SW_jjP12ihipStream_tbEUlT_E2_NS1_11comp_targetILNS1_3genE8ELNS1_11target_archE1030ELNS1_3gpuE2ELNS1_3repE0EEENS1_30default_config_static_selectorELNS0_4arch9wavefront6targetE0EEEvSK_
    .private_segment_fixed_size: 196
    .sgpr_count:     70
    .sgpr_spill_count: 0
    .symbol:         _ZN7rocprim17ROCPRIM_400000_NS6detail17trampoline_kernelINS0_14default_configENS1_36segmented_radix_sort_config_selectorIslEEZNS1_25segmented_radix_sort_implIS3_Lb0EPKsPsPKlPlN2at6native12_GLOBAL__N_18offset_tEEE10hipError_tPvRmT1_PNSt15iterator_traitsISK_E10value_typeET2_T3_PNSL_ISQ_E10value_typeET4_jRbjT5_SW_jjP12ihipStream_tbEUlT_E2_NS1_11comp_targetILNS1_3genE8ELNS1_11target_archE1030ELNS1_3gpuE2ELNS1_3repE0EEENS1_30default_config_static_selectorELNS0_4arch9wavefront6targetE0EEEvSK_.kd
    .uniform_work_group_size: 1
    .uses_dynamic_stack: false
    .vgpr_count:     248
    .vgpr_spill_count: 0
    .wavefront_size: 32
    .workgroup_processor_mode: 1
  - .args:
      - .address_space:  global
        .offset:         0
        .size:           8
        .value_kind:     global_buffer
      - .address_space:  global
        .offset:         8
        .size:           8
        .value_kind:     global_buffer
      - .address_space:  global
        .offset:         16
        .size:           8
        .value_kind:     global_buffer
      - .address_space:  global
        .offset:         24
        .size:           8
        .value_kind:     global_buffer
      - .offset:         32
        .size:           4
        .value_kind:     by_value
      - .offset:         36
        .size:           4
        .value_kind:     by_value
      - .offset:         40
        .size:           4
        .value_kind:     hidden_block_count_x
      - .offset:         44
        .size:           4
        .value_kind:     hidden_block_count_y
      - .offset:         48
        .size:           4
        .value_kind:     hidden_block_count_z
      - .offset:         52
        .size:           2
        .value_kind:     hidden_group_size_x
      - .offset:         54
        .size:           2
        .value_kind:     hidden_group_size_y
      - .offset:         56
        .size:           2
        .value_kind:     hidden_group_size_z
      - .offset:         58
        .size:           2
        .value_kind:     hidden_remainder_x
      - .offset:         60
        .size:           2
        .value_kind:     hidden_remainder_y
      - .offset:         62
        .size:           2
        .value_kind:     hidden_remainder_z
      - .offset:         80
        .size:           8
        .value_kind:     hidden_global_offset_x
      - .offset:         88
        .size:           8
        .value_kind:     hidden_global_offset_y
      - .offset:         96
        .size:           8
        .value_kind:     hidden_global_offset_z
      - .offset:         104
        .size:           2
        .value_kind:     hidden_grid_dims
    .group_segment_fixed_size: 0
    .kernarg_segment_align: 8
    .kernarg_segment_size: 296
    .language:       OpenCL C
    .language_version:
      - 2
      - 0
    .max_flat_workgroup_size: 1024
    .name:           _ZN2at6native12_GLOBAL__N_123sort_postprocess_kernelIdEEvPKT_PS3_PlPK15HIP_vector_typeIiLj2EEii
    .private_segment_fixed_size: 0
    .sgpr_count:     18
    .sgpr_spill_count: 0
    .symbol:         _ZN2at6native12_GLOBAL__N_123sort_postprocess_kernelIdEEvPKT_PS3_PlPK15HIP_vector_typeIiLj2EEii.kd
    .uniform_work_group_size: 1
    .uses_dynamic_stack: false
    .vgpr_count:     15
    .vgpr_spill_count: 0
    .wavefront_size: 32
    .workgroup_processor_mode: 1
  - .args:
      - .offset:         0
        .size:           176
        .value_kind:     by_value
    .group_segment_fixed_size: 0
    .kernarg_segment_align: 8
    .kernarg_segment_size: 176
    .language:       OpenCL C
    .language_version:
      - 2
      - 0
    .max_flat_workgroup_size: 256
    .name:           _ZN7rocprim17ROCPRIM_400000_NS6detail17trampoline_kernelINS0_13select_configILj256ELj13ELNS0_17block_load_methodE3ELS4_3ELS4_3ELNS0_20block_scan_algorithmE0ELj4294967295EEENS1_25partition_config_selectorILNS1_17partition_subalgoE4EjNS0_10empty_typeEbEEZZNS1_14partition_implILS8_4ELb0ES6_15HIP_vector_typeIjLj2EENS0_17counting_iteratorIjlEEPS9_SG_NS0_5tupleIJPjSI_NS0_16reverse_iteratorISI_EEEEENSH_IJSG_SG_SG_EEES9_SI_JZNS1_25segmented_radix_sort_implINS0_14default_configELb1EPKdPdPKlPlN2at6native12_GLOBAL__N_18offset_tEEE10hipError_tPvRmT1_PNSt15iterator_traitsIS12_E10value_typeET2_T3_PNS13_IS18_E10value_typeET4_jRbjT5_S1E_jjP12ihipStream_tbEUljE_ZNSN_ISO_Lb1ESQ_SR_ST_SU_SY_EESZ_S10_S11_S12_S16_S17_S18_S1B_S1C_jS1D_jS1E_S1E_jjS1G_bEUljE0_EEESZ_S10_S11_S18_S1C_S1E_T6_T7_T9_mT8_S1G_bDpT10_ENKUlT_T0_E_clISt17integral_constantIbLb0EES1U_EEDaS1P_S1Q_EUlS1P_E_NS1_11comp_targetILNS1_3genE0ELNS1_11target_archE4294967295ELNS1_3gpuE0ELNS1_3repE0EEENS1_30default_config_static_selectorELNS0_4arch9wavefront6targetE0EEEvS12_
    .private_segment_fixed_size: 0
    .sgpr_count:     0
    .sgpr_spill_count: 0
    .symbol:         _ZN7rocprim17ROCPRIM_400000_NS6detail17trampoline_kernelINS0_13select_configILj256ELj13ELNS0_17block_load_methodE3ELS4_3ELS4_3ELNS0_20block_scan_algorithmE0ELj4294967295EEENS1_25partition_config_selectorILNS1_17partition_subalgoE4EjNS0_10empty_typeEbEEZZNS1_14partition_implILS8_4ELb0ES6_15HIP_vector_typeIjLj2EENS0_17counting_iteratorIjlEEPS9_SG_NS0_5tupleIJPjSI_NS0_16reverse_iteratorISI_EEEEENSH_IJSG_SG_SG_EEES9_SI_JZNS1_25segmented_radix_sort_implINS0_14default_configELb1EPKdPdPKlPlN2at6native12_GLOBAL__N_18offset_tEEE10hipError_tPvRmT1_PNSt15iterator_traitsIS12_E10value_typeET2_T3_PNS13_IS18_E10value_typeET4_jRbjT5_S1E_jjP12ihipStream_tbEUljE_ZNSN_ISO_Lb1ESQ_SR_ST_SU_SY_EESZ_S10_S11_S12_S16_S17_S18_S1B_S1C_jS1D_jS1E_S1E_jjS1G_bEUljE0_EEESZ_S10_S11_S18_S1C_S1E_T6_T7_T9_mT8_S1G_bDpT10_ENKUlT_T0_E_clISt17integral_constantIbLb0EES1U_EEDaS1P_S1Q_EUlS1P_E_NS1_11comp_targetILNS1_3genE0ELNS1_11target_archE4294967295ELNS1_3gpuE0ELNS1_3repE0EEENS1_30default_config_static_selectorELNS0_4arch9wavefront6targetE0EEEvS12_.kd
    .uniform_work_group_size: 1
    .uses_dynamic_stack: false
    .vgpr_count:     0
    .vgpr_spill_count: 0
    .wavefront_size: 32
    .workgroup_processor_mode: 1
  - .args:
      - .offset:         0
        .size:           176
        .value_kind:     by_value
    .group_segment_fixed_size: 0
    .kernarg_segment_align: 8
    .kernarg_segment_size: 176
    .language:       OpenCL C
    .language_version:
      - 2
      - 0
    .max_flat_workgroup_size: 256
    .name:           _ZN7rocprim17ROCPRIM_400000_NS6detail17trampoline_kernelINS0_13select_configILj256ELj13ELNS0_17block_load_methodE3ELS4_3ELS4_3ELNS0_20block_scan_algorithmE0ELj4294967295EEENS1_25partition_config_selectorILNS1_17partition_subalgoE4EjNS0_10empty_typeEbEEZZNS1_14partition_implILS8_4ELb0ES6_15HIP_vector_typeIjLj2EENS0_17counting_iteratorIjlEEPS9_SG_NS0_5tupleIJPjSI_NS0_16reverse_iteratorISI_EEEEENSH_IJSG_SG_SG_EEES9_SI_JZNS1_25segmented_radix_sort_implINS0_14default_configELb1EPKdPdPKlPlN2at6native12_GLOBAL__N_18offset_tEEE10hipError_tPvRmT1_PNSt15iterator_traitsIS12_E10value_typeET2_T3_PNS13_IS18_E10value_typeET4_jRbjT5_S1E_jjP12ihipStream_tbEUljE_ZNSN_ISO_Lb1ESQ_SR_ST_SU_SY_EESZ_S10_S11_S12_S16_S17_S18_S1B_S1C_jS1D_jS1E_S1E_jjS1G_bEUljE0_EEESZ_S10_S11_S18_S1C_S1E_T6_T7_T9_mT8_S1G_bDpT10_ENKUlT_T0_E_clISt17integral_constantIbLb0EES1U_EEDaS1P_S1Q_EUlS1P_E_NS1_11comp_targetILNS1_3genE5ELNS1_11target_archE942ELNS1_3gpuE9ELNS1_3repE0EEENS1_30default_config_static_selectorELNS0_4arch9wavefront6targetE0EEEvS12_
    .private_segment_fixed_size: 0
    .sgpr_count:     0
    .sgpr_spill_count: 0
    .symbol:         _ZN7rocprim17ROCPRIM_400000_NS6detail17trampoline_kernelINS0_13select_configILj256ELj13ELNS0_17block_load_methodE3ELS4_3ELS4_3ELNS0_20block_scan_algorithmE0ELj4294967295EEENS1_25partition_config_selectorILNS1_17partition_subalgoE4EjNS0_10empty_typeEbEEZZNS1_14partition_implILS8_4ELb0ES6_15HIP_vector_typeIjLj2EENS0_17counting_iteratorIjlEEPS9_SG_NS0_5tupleIJPjSI_NS0_16reverse_iteratorISI_EEEEENSH_IJSG_SG_SG_EEES9_SI_JZNS1_25segmented_radix_sort_implINS0_14default_configELb1EPKdPdPKlPlN2at6native12_GLOBAL__N_18offset_tEEE10hipError_tPvRmT1_PNSt15iterator_traitsIS12_E10value_typeET2_T3_PNS13_IS18_E10value_typeET4_jRbjT5_S1E_jjP12ihipStream_tbEUljE_ZNSN_ISO_Lb1ESQ_SR_ST_SU_SY_EESZ_S10_S11_S12_S16_S17_S18_S1B_S1C_jS1D_jS1E_S1E_jjS1G_bEUljE0_EEESZ_S10_S11_S18_S1C_S1E_T6_T7_T9_mT8_S1G_bDpT10_ENKUlT_T0_E_clISt17integral_constantIbLb0EES1U_EEDaS1P_S1Q_EUlS1P_E_NS1_11comp_targetILNS1_3genE5ELNS1_11target_archE942ELNS1_3gpuE9ELNS1_3repE0EEENS1_30default_config_static_selectorELNS0_4arch9wavefront6targetE0EEEvS12_.kd
    .uniform_work_group_size: 1
    .uses_dynamic_stack: false
    .vgpr_count:     0
    .vgpr_spill_count: 0
    .wavefront_size: 32
    .workgroup_processor_mode: 1
  - .args:
      - .offset:         0
        .size:           176
        .value_kind:     by_value
    .group_segment_fixed_size: 0
    .kernarg_segment_align: 8
    .kernarg_segment_size: 176
    .language:       OpenCL C
    .language_version:
      - 2
      - 0
    .max_flat_workgroup_size: 256
    .name:           _ZN7rocprim17ROCPRIM_400000_NS6detail17trampoline_kernelINS0_13select_configILj256ELj13ELNS0_17block_load_methodE3ELS4_3ELS4_3ELNS0_20block_scan_algorithmE0ELj4294967295EEENS1_25partition_config_selectorILNS1_17partition_subalgoE4EjNS0_10empty_typeEbEEZZNS1_14partition_implILS8_4ELb0ES6_15HIP_vector_typeIjLj2EENS0_17counting_iteratorIjlEEPS9_SG_NS0_5tupleIJPjSI_NS0_16reverse_iteratorISI_EEEEENSH_IJSG_SG_SG_EEES9_SI_JZNS1_25segmented_radix_sort_implINS0_14default_configELb1EPKdPdPKlPlN2at6native12_GLOBAL__N_18offset_tEEE10hipError_tPvRmT1_PNSt15iterator_traitsIS12_E10value_typeET2_T3_PNS13_IS18_E10value_typeET4_jRbjT5_S1E_jjP12ihipStream_tbEUljE_ZNSN_ISO_Lb1ESQ_SR_ST_SU_SY_EESZ_S10_S11_S12_S16_S17_S18_S1B_S1C_jS1D_jS1E_S1E_jjS1G_bEUljE0_EEESZ_S10_S11_S18_S1C_S1E_T6_T7_T9_mT8_S1G_bDpT10_ENKUlT_T0_E_clISt17integral_constantIbLb0EES1U_EEDaS1P_S1Q_EUlS1P_E_NS1_11comp_targetILNS1_3genE4ELNS1_11target_archE910ELNS1_3gpuE8ELNS1_3repE0EEENS1_30default_config_static_selectorELNS0_4arch9wavefront6targetE0EEEvS12_
    .private_segment_fixed_size: 0
    .sgpr_count:     0
    .sgpr_spill_count: 0
    .symbol:         _ZN7rocprim17ROCPRIM_400000_NS6detail17trampoline_kernelINS0_13select_configILj256ELj13ELNS0_17block_load_methodE3ELS4_3ELS4_3ELNS0_20block_scan_algorithmE0ELj4294967295EEENS1_25partition_config_selectorILNS1_17partition_subalgoE4EjNS0_10empty_typeEbEEZZNS1_14partition_implILS8_4ELb0ES6_15HIP_vector_typeIjLj2EENS0_17counting_iteratorIjlEEPS9_SG_NS0_5tupleIJPjSI_NS0_16reverse_iteratorISI_EEEEENSH_IJSG_SG_SG_EEES9_SI_JZNS1_25segmented_radix_sort_implINS0_14default_configELb1EPKdPdPKlPlN2at6native12_GLOBAL__N_18offset_tEEE10hipError_tPvRmT1_PNSt15iterator_traitsIS12_E10value_typeET2_T3_PNS13_IS18_E10value_typeET4_jRbjT5_S1E_jjP12ihipStream_tbEUljE_ZNSN_ISO_Lb1ESQ_SR_ST_SU_SY_EESZ_S10_S11_S12_S16_S17_S18_S1B_S1C_jS1D_jS1E_S1E_jjS1G_bEUljE0_EEESZ_S10_S11_S18_S1C_S1E_T6_T7_T9_mT8_S1G_bDpT10_ENKUlT_T0_E_clISt17integral_constantIbLb0EES1U_EEDaS1P_S1Q_EUlS1P_E_NS1_11comp_targetILNS1_3genE4ELNS1_11target_archE910ELNS1_3gpuE8ELNS1_3repE0EEENS1_30default_config_static_selectorELNS0_4arch9wavefront6targetE0EEEvS12_.kd
    .uniform_work_group_size: 1
    .uses_dynamic_stack: false
    .vgpr_count:     0
    .vgpr_spill_count: 0
    .wavefront_size: 32
    .workgroup_processor_mode: 1
  - .args:
      - .offset:         0
        .size:           176
        .value_kind:     by_value
    .group_segment_fixed_size: 0
    .kernarg_segment_align: 8
    .kernarg_segment_size: 176
    .language:       OpenCL C
    .language_version:
      - 2
      - 0
    .max_flat_workgroup_size: 256
    .name:           _ZN7rocprim17ROCPRIM_400000_NS6detail17trampoline_kernelINS0_13select_configILj256ELj13ELNS0_17block_load_methodE3ELS4_3ELS4_3ELNS0_20block_scan_algorithmE0ELj4294967295EEENS1_25partition_config_selectorILNS1_17partition_subalgoE4EjNS0_10empty_typeEbEEZZNS1_14partition_implILS8_4ELb0ES6_15HIP_vector_typeIjLj2EENS0_17counting_iteratorIjlEEPS9_SG_NS0_5tupleIJPjSI_NS0_16reverse_iteratorISI_EEEEENSH_IJSG_SG_SG_EEES9_SI_JZNS1_25segmented_radix_sort_implINS0_14default_configELb1EPKdPdPKlPlN2at6native12_GLOBAL__N_18offset_tEEE10hipError_tPvRmT1_PNSt15iterator_traitsIS12_E10value_typeET2_T3_PNS13_IS18_E10value_typeET4_jRbjT5_S1E_jjP12ihipStream_tbEUljE_ZNSN_ISO_Lb1ESQ_SR_ST_SU_SY_EESZ_S10_S11_S12_S16_S17_S18_S1B_S1C_jS1D_jS1E_S1E_jjS1G_bEUljE0_EEESZ_S10_S11_S18_S1C_S1E_T6_T7_T9_mT8_S1G_bDpT10_ENKUlT_T0_E_clISt17integral_constantIbLb0EES1U_EEDaS1P_S1Q_EUlS1P_E_NS1_11comp_targetILNS1_3genE3ELNS1_11target_archE908ELNS1_3gpuE7ELNS1_3repE0EEENS1_30default_config_static_selectorELNS0_4arch9wavefront6targetE0EEEvS12_
    .private_segment_fixed_size: 0
    .sgpr_count:     0
    .sgpr_spill_count: 0
    .symbol:         _ZN7rocprim17ROCPRIM_400000_NS6detail17trampoline_kernelINS0_13select_configILj256ELj13ELNS0_17block_load_methodE3ELS4_3ELS4_3ELNS0_20block_scan_algorithmE0ELj4294967295EEENS1_25partition_config_selectorILNS1_17partition_subalgoE4EjNS0_10empty_typeEbEEZZNS1_14partition_implILS8_4ELb0ES6_15HIP_vector_typeIjLj2EENS0_17counting_iteratorIjlEEPS9_SG_NS0_5tupleIJPjSI_NS0_16reverse_iteratorISI_EEEEENSH_IJSG_SG_SG_EEES9_SI_JZNS1_25segmented_radix_sort_implINS0_14default_configELb1EPKdPdPKlPlN2at6native12_GLOBAL__N_18offset_tEEE10hipError_tPvRmT1_PNSt15iterator_traitsIS12_E10value_typeET2_T3_PNS13_IS18_E10value_typeET4_jRbjT5_S1E_jjP12ihipStream_tbEUljE_ZNSN_ISO_Lb1ESQ_SR_ST_SU_SY_EESZ_S10_S11_S12_S16_S17_S18_S1B_S1C_jS1D_jS1E_S1E_jjS1G_bEUljE0_EEESZ_S10_S11_S18_S1C_S1E_T6_T7_T9_mT8_S1G_bDpT10_ENKUlT_T0_E_clISt17integral_constantIbLb0EES1U_EEDaS1P_S1Q_EUlS1P_E_NS1_11comp_targetILNS1_3genE3ELNS1_11target_archE908ELNS1_3gpuE7ELNS1_3repE0EEENS1_30default_config_static_selectorELNS0_4arch9wavefront6targetE0EEEvS12_.kd
    .uniform_work_group_size: 1
    .uses_dynamic_stack: false
    .vgpr_count:     0
    .vgpr_spill_count: 0
    .wavefront_size: 32
    .workgroup_processor_mode: 1
  - .args:
      - .offset:         0
        .size:           176
        .value_kind:     by_value
    .group_segment_fixed_size: 0
    .kernarg_segment_align: 8
    .kernarg_segment_size: 176
    .language:       OpenCL C
    .language_version:
      - 2
      - 0
    .max_flat_workgroup_size: 256
    .name:           _ZN7rocprim17ROCPRIM_400000_NS6detail17trampoline_kernelINS0_13select_configILj256ELj13ELNS0_17block_load_methodE3ELS4_3ELS4_3ELNS0_20block_scan_algorithmE0ELj4294967295EEENS1_25partition_config_selectorILNS1_17partition_subalgoE4EjNS0_10empty_typeEbEEZZNS1_14partition_implILS8_4ELb0ES6_15HIP_vector_typeIjLj2EENS0_17counting_iteratorIjlEEPS9_SG_NS0_5tupleIJPjSI_NS0_16reverse_iteratorISI_EEEEENSH_IJSG_SG_SG_EEES9_SI_JZNS1_25segmented_radix_sort_implINS0_14default_configELb1EPKdPdPKlPlN2at6native12_GLOBAL__N_18offset_tEEE10hipError_tPvRmT1_PNSt15iterator_traitsIS12_E10value_typeET2_T3_PNS13_IS18_E10value_typeET4_jRbjT5_S1E_jjP12ihipStream_tbEUljE_ZNSN_ISO_Lb1ESQ_SR_ST_SU_SY_EESZ_S10_S11_S12_S16_S17_S18_S1B_S1C_jS1D_jS1E_S1E_jjS1G_bEUljE0_EEESZ_S10_S11_S18_S1C_S1E_T6_T7_T9_mT8_S1G_bDpT10_ENKUlT_T0_E_clISt17integral_constantIbLb0EES1U_EEDaS1P_S1Q_EUlS1P_E_NS1_11comp_targetILNS1_3genE2ELNS1_11target_archE906ELNS1_3gpuE6ELNS1_3repE0EEENS1_30default_config_static_selectorELNS0_4arch9wavefront6targetE0EEEvS12_
    .private_segment_fixed_size: 0
    .sgpr_count:     0
    .sgpr_spill_count: 0
    .symbol:         _ZN7rocprim17ROCPRIM_400000_NS6detail17trampoline_kernelINS0_13select_configILj256ELj13ELNS0_17block_load_methodE3ELS4_3ELS4_3ELNS0_20block_scan_algorithmE0ELj4294967295EEENS1_25partition_config_selectorILNS1_17partition_subalgoE4EjNS0_10empty_typeEbEEZZNS1_14partition_implILS8_4ELb0ES6_15HIP_vector_typeIjLj2EENS0_17counting_iteratorIjlEEPS9_SG_NS0_5tupleIJPjSI_NS0_16reverse_iteratorISI_EEEEENSH_IJSG_SG_SG_EEES9_SI_JZNS1_25segmented_radix_sort_implINS0_14default_configELb1EPKdPdPKlPlN2at6native12_GLOBAL__N_18offset_tEEE10hipError_tPvRmT1_PNSt15iterator_traitsIS12_E10value_typeET2_T3_PNS13_IS18_E10value_typeET4_jRbjT5_S1E_jjP12ihipStream_tbEUljE_ZNSN_ISO_Lb1ESQ_SR_ST_SU_SY_EESZ_S10_S11_S12_S16_S17_S18_S1B_S1C_jS1D_jS1E_S1E_jjS1G_bEUljE0_EEESZ_S10_S11_S18_S1C_S1E_T6_T7_T9_mT8_S1G_bDpT10_ENKUlT_T0_E_clISt17integral_constantIbLb0EES1U_EEDaS1P_S1Q_EUlS1P_E_NS1_11comp_targetILNS1_3genE2ELNS1_11target_archE906ELNS1_3gpuE6ELNS1_3repE0EEENS1_30default_config_static_selectorELNS0_4arch9wavefront6targetE0EEEvS12_.kd
    .uniform_work_group_size: 1
    .uses_dynamic_stack: false
    .vgpr_count:     0
    .vgpr_spill_count: 0
    .wavefront_size: 32
    .workgroup_processor_mode: 1
  - .args:
      - .offset:         0
        .size:           176
        .value_kind:     by_value
    .group_segment_fixed_size: 0
    .kernarg_segment_align: 8
    .kernarg_segment_size: 176
    .language:       OpenCL C
    .language_version:
      - 2
      - 0
    .max_flat_workgroup_size: 256
    .name:           _ZN7rocprim17ROCPRIM_400000_NS6detail17trampoline_kernelINS0_13select_configILj256ELj13ELNS0_17block_load_methodE3ELS4_3ELS4_3ELNS0_20block_scan_algorithmE0ELj4294967295EEENS1_25partition_config_selectorILNS1_17partition_subalgoE4EjNS0_10empty_typeEbEEZZNS1_14partition_implILS8_4ELb0ES6_15HIP_vector_typeIjLj2EENS0_17counting_iteratorIjlEEPS9_SG_NS0_5tupleIJPjSI_NS0_16reverse_iteratorISI_EEEEENSH_IJSG_SG_SG_EEES9_SI_JZNS1_25segmented_radix_sort_implINS0_14default_configELb1EPKdPdPKlPlN2at6native12_GLOBAL__N_18offset_tEEE10hipError_tPvRmT1_PNSt15iterator_traitsIS12_E10value_typeET2_T3_PNS13_IS18_E10value_typeET4_jRbjT5_S1E_jjP12ihipStream_tbEUljE_ZNSN_ISO_Lb1ESQ_SR_ST_SU_SY_EESZ_S10_S11_S12_S16_S17_S18_S1B_S1C_jS1D_jS1E_S1E_jjS1G_bEUljE0_EEESZ_S10_S11_S18_S1C_S1E_T6_T7_T9_mT8_S1G_bDpT10_ENKUlT_T0_E_clISt17integral_constantIbLb0EES1U_EEDaS1P_S1Q_EUlS1P_E_NS1_11comp_targetILNS1_3genE10ELNS1_11target_archE1200ELNS1_3gpuE4ELNS1_3repE0EEENS1_30default_config_static_selectorELNS0_4arch9wavefront6targetE0EEEvS12_
    .private_segment_fixed_size: 0
    .sgpr_count:     0
    .sgpr_spill_count: 0
    .symbol:         _ZN7rocprim17ROCPRIM_400000_NS6detail17trampoline_kernelINS0_13select_configILj256ELj13ELNS0_17block_load_methodE3ELS4_3ELS4_3ELNS0_20block_scan_algorithmE0ELj4294967295EEENS1_25partition_config_selectorILNS1_17partition_subalgoE4EjNS0_10empty_typeEbEEZZNS1_14partition_implILS8_4ELb0ES6_15HIP_vector_typeIjLj2EENS0_17counting_iteratorIjlEEPS9_SG_NS0_5tupleIJPjSI_NS0_16reverse_iteratorISI_EEEEENSH_IJSG_SG_SG_EEES9_SI_JZNS1_25segmented_radix_sort_implINS0_14default_configELb1EPKdPdPKlPlN2at6native12_GLOBAL__N_18offset_tEEE10hipError_tPvRmT1_PNSt15iterator_traitsIS12_E10value_typeET2_T3_PNS13_IS18_E10value_typeET4_jRbjT5_S1E_jjP12ihipStream_tbEUljE_ZNSN_ISO_Lb1ESQ_SR_ST_SU_SY_EESZ_S10_S11_S12_S16_S17_S18_S1B_S1C_jS1D_jS1E_S1E_jjS1G_bEUljE0_EEESZ_S10_S11_S18_S1C_S1E_T6_T7_T9_mT8_S1G_bDpT10_ENKUlT_T0_E_clISt17integral_constantIbLb0EES1U_EEDaS1P_S1Q_EUlS1P_E_NS1_11comp_targetILNS1_3genE10ELNS1_11target_archE1200ELNS1_3gpuE4ELNS1_3repE0EEENS1_30default_config_static_selectorELNS0_4arch9wavefront6targetE0EEEvS12_.kd
    .uniform_work_group_size: 1
    .uses_dynamic_stack: false
    .vgpr_count:     0
    .vgpr_spill_count: 0
    .wavefront_size: 32
    .workgroup_processor_mode: 1
  - .args:
      - .offset:         0
        .size:           176
        .value_kind:     by_value
    .group_segment_fixed_size: 0
    .kernarg_segment_align: 8
    .kernarg_segment_size: 176
    .language:       OpenCL C
    .language_version:
      - 2
      - 0
    .max_flat_workgroup_size: 256
    .name:           _ZN7rocprim17ROCPRIM_400000_NS6detail17trampoline_kernelINS0_13select_configILj256ELj13ELNS0_17block_load_methodE3ELS4_3ELS4_3ELNS0_20block_scan_algorithmE0ELj4294967295EEENS1_25partition_config_selectorILNS1_17partition_subalgoE4EjNS0_10empty_typeEbEEZZNS1_14partition_implILS8_4ELb0ES6_15HIP_vector_typeIjLj2EENS0_17counting_iteratorIjlEEPS9_SG_NS0_5tupleIJPjSI_NS0_16reverse_iteratorISI_EEEEENSH_IJSG_SG_SG_EEES9_SI_JZNS1_25segmented_radix_sort_implINS0_14default_configELb1EPKdPdPKlPlN2at6native12_GLOBAL__N_18offset_tEEE10hipError_tPvRmT1_PNSt15iterator_traitsIS12_E10value_typeET2_T3_PNS13_IS18_E10value_typeET4_jRbjT5_S1E_jjP12ihipStream_tbEUljE_ZNSN_ISO_Lb1ESQ_SR_ST_SU_SY_EESZ_S10_S11_S12_S16_S17_S18_S1B_S1C_jS1D_jS1E_S1E_jjS1G_bEUljE0_EEESZ_S10_S11_S18_S1C_S1E_T6_T7_T9_mT8_S1G_bDpT10_ENKUlT_T0_E_clISt17integral_constantIbLb0EES1U_EEDaS1P_S1Q_EUlS1P_E_NS1_11comp_targetILNS1_3genE9ELNS1_11target_archE1100ELNS1_3gpuE3ELNS1_3repE0EEENS1_30default_config_static_selectorELNS0_4arch9wavefront6targetE0EEEvS12_
    .private_segment_fixed_size: 0
    .sgpr_count:     0
    .sgpr_spill_count: 0
    .symbol:         _ZN7rocprim17ROCPRIM_400000_NS6detail17trampoline_kernelINS0_13select_configILj256ELj13ELNS0_17block_load_methodE3ELS4_3ELS4_3ELNS0_20block_scan_algorithmE0ELj4294967295EEENS1_25partition_config_selectorILNS1_17partition_subalgoE4EjNS0_10empty_typeEbEEZZNS1_14partition_implILS8_4ELb0ES6_15HIP_vector_typeIjLj2EENS0_17counting_iteratorIjlEEPS9_SG_NS0_5tupleIJPjSI_NS0_16reverse_iteratorISI_EEEEENSH_IJSG_SG_SG_EEES9_SI_JZNS1_25segmented_radix_sort_implINS0_14default_configELb1EPKdPdPKlPlN2at6native12_GLOBAL__N_18offset_tEEE10hipError_tPvRmT1_PNSt15iterator_traitsIS12_E10value_typeET2_T3_PNS13_IS18_E10value_typeET4_jRbjT5_S1E_jjP12ihipStream_tbEUljE_ZNSN_ISO_Lb1ESQ_SR_ST_SU_SY_EESZ_S10_S11_S12_S16_S17_S18_S1B_S1C_jS1D_jS1E_S1E_jjS1G_bEUljE0_EEESZ_S10_S11_S18_S1C_S1E_T6_T7_T9_mT8_S1G_bDpT10_ENKUlT_T0_E_clISt17integral_constantIbLb0EES1U_EEDaS1P_S1Q_EUlS1P_E_NS1_11comp_targetILNS1_3genE9ELNS1_11target_archE1100ELNS1_3gpuE3ELNS1_3repE0EEENS1_30default_config_static_selectorELNS0_4arch9wavefront6targetE0EEEvS12_.kd
    .uniform_work_group_size: 1
    .uses_dynamic_stack: false
    .vgpr_count:     0
    .vgpr_spill_count: 0
    .wavefront_size: 32
    .workgroup_processor_mode: 1
  - .args:
      - .offset:         0
        .size:           176
        .value_kind:     by_value
    .group_segment_fixed_size: 13328
    .kernarg_segment_align: 8
    .kernarg_segment_size: 176
    .language:       OpenCL C
    .language_version:
      - 2
      - 0
    .max_flat_workgroup_size: 256
    .name:           _ZN7rocprim17ROCPRIM_400000_NS6detail17trampoline_kernelINS0_13select_configILj256ELj13ELNS0_17block_load_methodE3ELS4_3ELS4_3ELNS0_20block_scan_algorithmE0ELj4294967295EEENS1_25partition_config_selectorILNS1_17partition_subalgoE4EjNS0_10empty_typeEbEEZZNS1_14partition_implILS8_4ELb0ES6_15HIP_vector_typeIjLj2EENS0_17counting_iteratorIjlEEPS9_SG_NS0_5tupleIJPjSI_NS0_16reverse_iteratorISI_EEEEENSH_IJSG_SG_SG_EEES9_SI_JZNS1_25segmented_radix_sort_implINS0_14default_configELb1EPKdPdPKlPlN2at6native12_GLOBAL__N_18offset_tEEE10hipError_tPvRmT1_PNSt15iterator_traitsIS12_E10value_typeET2_T3_PNS13_IS18_E10value_typeET4_jRbjT5_S1E_jjP12ihipStream_tbEUljE_ZNSN_ISO_Lb1ESQ_SR_ST_SU_SY_EESZ_S10_S11_S12_S16_S17_S18_S1B_S1C_jS1D_jS1E_S1E_jjS1G_bEUljE0_EEESZ_S10_S11_S18_S1C_S1E_T6_T7_T9_mT8_S1G_bDpT10_ENKUlT_T0_E_clISt17integral_constantIbLb0EES1U_EEDaS1P_S1Q_EUlS1P_E_NS1_11comp_targetILNS1_3genE8ELNS1_11target_archE1030ELNS1_3gpuE2ELNS1_3repE0EEENS1_30default_config_static_selectorELNS0_4arch9wavefront6targetE0EEEvS12_
    .private_segment_fixed_size: 0
    .sgpr_count:     61
    .sgpr_spill_count: 0
    .symbol:         _ZN7rocprim17ROCPRIM_400000_NS6detail17trampoline_kernelINS0_13select_configILj256ELj13ELNS0_17block_load_methodE3ELS4_3ELS4_3ELNS0_20block_scan_algorithmE0ELj4294967295EEENS1_25partition_config_selectorILNS1_17partition_subalgoE4EjNS0_10empty_typeEbEEZZNS1_14partition_implILS8_4ELb0ES6_15HIP_vector_typeIjLj2EENS0_17counting_iteratorIjlEEPS9_SG_NS0_5tupleIJPjSI_NS0_16reverse_iteratorISI_EEEEENSH_IJSG_SG_SG_EEES9_SI_JZNS1_25segmented_radix_sort_implINS0_14default_configELb1EPKdPdPKlPlN2at6native12_GLOBAL__N_18offset_tEEE10hipError_tPvRmT1_PNSt15iterator_traitsIS12_E10value_typeET2_T3_PNS13_IS18_E10value_typeET4_jRbjT5_S1E_jjP12ihipStream_tbEUljE_ZNSN_ISO_Lb1ESQ_SR_ST_SU_SY_EESZ_S10_S11_S12_S16_S17_S18_S1B_S1C_jS1D_jS1E_S1E_jjS1G_bEUljE0_EEESZ_S10_S11_S18_S1C_S1E_T6_T7_T9_mT8_S1G_bDpT10_ENKUlT_T0_E_clISt17integral_constantIbLb0EES1U_EEDaS1P_S1Q_EUlS1P_E_NS1_11comp_targetILNS1_3genE8ELNS1_11target_archE1030ELNS1_3gpuE2ELNS1_3repE0EEENS1_30default_config_static_selectorELNS0_4arch9wavefront6targetE0EEEvS12_.kd
    .uniform_work_group_size: 1
    .uses_dynamic_stack: false
    .vgpr_count:     82
    .vgpr_spill_count: 0
    .wavefront_size: 32
    .workgroup_processor_mode: 1
  - .args:
      - .offset:         0
        .size:           184
        .value_kind:     by_value
    .group_segment_fixed_size: 0
    .kernarg_segment_align: 8
    .kernarg_segment_size: 184
    .language:       OpenCL C
    .language_version:
      - 2
      - 0
    .max_flat_workgroup_size: 256
    .name:           _ZN7rocprim17ROCPRIM_400000_NS6detail17trampoline_kernelINS0_13select_configILj256ELj13ELNS0_17block_load_methodE3ELS4_3ELS4_3ELNS0_20block_scan_algorithmE0ELj4294967295EEENS1_25partition_config_selectorILNS1_17partition_subalgoE4EjNS0_10empty_typeEbEEZZNS1_14partition_implILS8_4ELb0ES6_15HIP_vector_typeIjLj2EENS0_17counting_iteratorIjlEEPS9_SG_NS0_5tupleIJPjSI_NS0_16reverse_iteratorISI_EEEEENSH_IJSG_SG_SG_EEES9_SI_JZNS1_25segmented_radix_sort_implINS0_14default_configELb1EPKdPdPKlPlN2at6native12_GLOBAL__N_18offset_tEEE10hipError_tPvRmT1_PNSt15iterator_traitsIS12_E10value_typeET2_T3_PNS13_IS18_E10value_typeET4_jRbjT5_S1E_jjP12ihipStream_tbEUljE_ZNSN_ISO_Lb1ESQ_SR_ST_SU_SY_EESZ_S10_S11_S12_S16_S17_S18_S1B_S1C_jS1D_jS1E_S1E_jjS1G_bEUljE0_EEESZ_S10_S11_S18_S1C_S1E_T6_T7_T9_mT8_S1G_bDpT10_ENKUlT_T0_E_clISt17integral_constantIbLb1EES1U_EEDaS1P_S1Q_EUlS1P_E_NS1_11comp_targetILNS1_3genE0ELNS1_11target_archE4294967295ELNS1_3gpuE0ELNS1_3repE0EEENS1_30default_config_static_selectorELNS0_4arch9wavefront6targetE0EEEvS12_
    .private_segment_fixed_size: 0
    .sgpr_count:     0
    .sgpr_spill_count: 0
    .symbol:         _ZN7rocprim17ROCPRIM_400000_NS6detail17trampoline_kernelINS0_13select_configILj256ELj13ELNS0_17block_load_methodE3ELS4_3ELS4_3ELNS0_20block_scan_algorithmE0ELj4294967295EEENS1_25partition_config_selectorILNS1_17partition_subalgoE4EjNS0_10empty_typeEbEEZZNS1_14partition_implILS8_4ELb0ES6_15HIP_vector_typeIjLj2EENS0_17counting_iteratorIjlEEPS9_SG_NS0_5tupleIJPjSI_NS0_16reverse_iteratorISI_EEEEENSH_IJSG_SG_SG_EEES9_SI_JZNS1_25segmented_radix_sort_implINS0_14default_configELb1EPKdPdPKlPlN2at6native12_GLOBAL__N_18offset_tEEE10hipError_tPvRmT1_PNSt15iterator_traitsIS12_E10value_typeET2_T3_PNS13_IS18_E10value_typeET4_jRbjT5_S1E_jjP12ihipStream_tbEUljE_ZNSN_ISO_Lb1ESQ_SR_ST_SU_SY_EESZ_S10_S11_S12_S16_S17_S18_S1B_S1C_jS1D_jS1E_S1E_jjS1G_bEUljE0_EEESZ_S10_S11_S18_S1C_S1E_T6_T7_T9_mT8_S1G_bDpT10_ENKUlT_T0_E_clISt17integral_constantIbLb1EES1U_EEDaS1P_S1Q_EUlS1P_E_NS1_11comp_targetILNS1_3genE0ELNS1_11target_archE4294967295ELNS1_3gpuE0ELNS1_3repE0EEENS1_30default_config_static_selectorELNS0_4arch9wavefront6targetE0EEEvS12_.kd
    .uniform_work_group_size: 1
    .uses_dynamic_stack: false
    .vgpr_count:     0
    .vgpr_spill_count: 0
    .wavefront_size: 32
    .workgroup_processor_mode: 1
  - .args:
      - .offset:         0
        .size:           184
        .value_kind:     by_value
    .group_segment_fixed_size: 0
    .kernarg_segment_align: 8
    .kernarg_segment_size: 184
    .language:       OpenCL C
    .language_version:
      - 2
      - 0
    .max_flat_workgroup_size: 256
    .name:           _ZN7rocprim17ROCPRIM_400000_NS6detail17trampoline_kernelINS0_13select_configILj256ELj13ELNS0_17block_load_methodE3ELS4_3ELS4_3ELNS0_20block_scan_algorithmE0ELj4294967295EEENS1_25partition_config_selectorILNS1_17partition_subalgoE4EjNS0_10empty_typeEbEEZZNS1_14partition_implILS8_4ELb0ES6_15HIP_vector_typeIjLj2EENS0_17counting_iteratorIjlEEPS9_SG_NS0_5tupleIJPjSI_NS0_16reverse_iteratorISI_EEEEENSH_IJSG_SG_SG_EEES9_SI_JZNS1_25segmented_radix_sort_implINS0_14default_configELb1EPKdPdPKlPlN2at6native12_GLOBAL__N_18offset_tEEE10hipError_tPvRmT1_PNSt15iterator_traitsIS12_E10value_typeET2_T3_PNS13_IS18_E10value_typeET4_jRbjT5_S1E_jjP12ihipStream_tbEUljE_ZNSN_ISO_Lb1ESQ_SR_ST_SU_SY_EESZ_S10_S11_S12_S16_S17_S18_S1B_S1C_jS1D_jS1E_S1E_jjS1G_bEUljE0_EEESZ_S10_S11_S18_S1C_S1E_T6_T7_T9_mT8_S1G_bDpT10_ENKUlT_T0_E_clISt17integral_constantIbLb1EES1U_EEDaS1P_S1Q_EUlS1P_E_NS1_11comp_targetILNS1_3genE5ELNS1_11target_archE942ELNS1_3gpuE9ELNS1_3repE0EEENS1_30default_config_static_selectorELNS0_4arch9wavefront6targetE0EEEvS12_
    .private_segment_fixed_size: 0
    .sgpr_count:     0
    .sgpr_spill_count: 0
    .symbol:         _ZN7rocprim17ROCPRIM_400000_NS6detail17trampoline_kernelINS0_13select_configILj256ELj13ELNS0_17block_load_methodE3ELS4_3ELS4_3ELNS0_20block_scan_algorithmE0ELj4294967295EEENS1_25partition_config_selectorILNS1_17partition_subalgoE4EjNS0_10empty_typeEbEEZZNS1_14partition_implILS8_4ELb0ES6_15HIP_vector_typeIjLj2EENS0_17counting_iteratorIjlEEPS9_SG_NS0_5tupleIJPjSI_NS0_16reverse_iteratorISI_EEEEENSH_IJSG_SG_SG_EEES9_SI_JZNS1_25segmented_radix_sort_implINS0_14default_configELb1EPKdPdPKlPlN2at6native12_GLOBAL__N_18offset_tEEE10hipError_tPvRmT1_PNSt15iterator_traitsIS12_E10value_typeET2_T3_PNS13_IS18_E10value_typeET4_jRbjT5_S1E_jjP12ihipStream_tbEUljE_ZNSN_ISO_Lb1ESQ_SR_ST_SU_SY_EESZ_S10_S11_S12_S16_S17_S18_S1B_S1C_jS1D_jS1E_S1E_jjS1G_bEUljE0_EEESZ_S10_S11_S18_S1C_S1E_T6_T7_T9_mT8_S1G_bDpT10_ENKUlT_T0_E_clISt17integral_constantIbLb1EES1U_EEDaS1P_S1Q_EUlS1P_E_NS1_11comp_targetILNS1_3genE5ELNS1_11target_archE942ELNS1_3gpuE9ELNS1_3repE0EEENS1_30default_config_static_selectorELNS0_4arch9wavefront6targetE0EEEvS12_.kd
    .uniform_work_group_size: 1
    .uses_dynamic_stack: false
    .vgpr_count:     0
    .vgpr_spill_count: 0
    .wavefront_size: 32
    .workgroup_processor_mode: 1
  - .args:
      - .offset:         0
        .size:           184
        .value_kind:     by_value
    .group_segment_fixed_size: 0
    .kernarg_segment_align: 8
    .kernarg_segment_size: 184
    .language:       OpenCL C
    .language_version:
      - 2
      - 0
    .max_flat_workgroup_size: 256
    .name:           _ZN7rocprim17ROCPRIM_400000_NS6detail17trampoline_kernelINS0_13select_configILj256ELj13ELNS0_17block_load_methodE3ELS4_3ELS4_3ELNS0_20block_scan_algorithmE0ELj4294967295EEENS1_25partition_config_selectorILNS1_17partition_subalgoE4EjNS0_10empty_typeEbEEZZNS1_14partition_implILS8_4ELb0ES6_15HIP_vector_typeIjLj2EENS0_17counting_iteratorIjlEEPS9_SG_NS0_5tupleIJPjSI_NS0_16reverse_iteratorISI_EEEEENSH_IJSG_SG_SG_EEES9_SI_JZNS1_25segmented_radix_sort_implINS0_14default_configELb1EPKdPdPKlPlN2at6native12_GLOBAL__N_18offset_tEEE10hipError_tPvRmT1_PNSt15iterator_traitsIS12_E10value_typeET2_T3_PNS13_IS18_E10value_typeET4_jRbjT5_S1E_jjP12ihipStream_tbEUljE_ZNSN_ISO_Lb1ESQ_SR_ST_SU_SY_EESZ_S10_S11_S12_S16_S17_S18_S1B_S1C_jS1D_jS1E_S1E_jjS1G_bEUljE0_EEESZ_S10_S11_S18_S1C_S1E_T6_T7_T9_mT8_S1G_bDpT10_ENKUlT_T0_E_clISt17integral_constantIbLb1EES1U_EEDaS1P_S1Q_EUlS1P_E_NS1_11comp_targetILNS1_3genE4ELNS1_11target_archE910ELNS1_3gpuE8ELNS1_3repE0EEENS1_30default_config_static_selectorELNS0_4arch9wavefront6targetE0EEEvS12_
    .private_segment_fixed_size: 0
    .sgpr_count:     0
    .sgpr_spill_count: 0
    .symbol:         _ZN7rocprim17ROCPRIM_400000_NS6detail17trampoline_kernelINS0_13select_configILj256ELj13ELNS0_17block_load_methodE3ELS4_3ELS4_3ELNS0_20block_scan_algorithmE0ELj4294967295EEENS1_25partition_config_selectorILNS1_17partition_subalgoE4EjNS0_10empty_typeEbEEZZNS1_14partition_implILS8_4ELb0ES6_15HIP_vector_typeIjLj2EENS0_17counting_iteratorIjlEEPS9_SG_NS0_5tupleIJPjSI_NS0_16reverse_iteratorISI_EEEEENSH_IJSG_SG_SG_EEES9_SI_JZNS1_25segmented_radix_sort_implINS0_14default_configELb1EPKdPdPKlPlN2at6native12_GLOBAL__N_18offset_tEEE10hipError_tPvRmT1_PNSt15iterator_traitsIS12_E10value_typeET2_T3_PNS13_IS18_E10value_typeET4_jRbjT5_S1E_jjP12ihipStream_tbEUljE_ZNSN_ISO_Lb1ESQ_SR_ST_SU_SY_EESZ_S10_S11_S12_S16_S17_S18_S1B_S1C_jS1D_jS1E_S1E_jjS1G_bEUljE0_EEESZ_S10_S11_S18_S1C_S1E_T6_T7_T9_mT8_S1G_bDpT10_ENKUlT_T0_E_clISt17integral_constantIbLb1EES1U_EEDaS1P_S1Q_EUlS1P_E_NS1_11comp_targetILNS1_3genE4ELNS1_11target_archE910ELNS1_3gpuE8ELNS1_3repE0EEENS1_30default_config_static_selectorELNS0_4arch9wavefront6targetE0EEEvS12_.kd
    .uniform_work_group_size: 1
    .uses_dynamic_stack: false
    .vgpr_count:     0
    .vgpr_spill_count: 0
    .wavefront_size: 32
    .workgroup_processor_mode: 1
  - .args:
      - .offset:         0
        .size:           184
        .value_kind:     by_value
    .group_segment_fixed_size: 0
    .kernarg_segment_align: 8
    .kernarg_segment_size: 184
    .language:       OpenCL C
    .language_version:
      - 2
      - 0
    .max_flat_workgroup_size: 256
    .name:           _ZN7rocprim17ROCPRIM_400000_NS6detail17trampoline_kernelINS0_13select_configILj256ELj13ELNS0_17block_load_methodE3ELS4_3ELS4_3ELNS0_20block_scan_algorithmE0ELj4294967295EEENS1_25partition_config_selectorILNS1_17partition_subalgoE4EjNS0_10empty_typeEbEEZZNS1_14partition_implILS8_4ELb0ES6_15HIP_vector_typeIjLj2EENS0_17counting_iteratorIjlEEPS9_SG_NS0_5tupleIJPjSI_NS0_16reverse_iteratorISI_EEEEENSH_IJSG_SG_SG_EEES9_SI_JZNS1_25segmented_radix_sort_implINS0_14default_configELb1EPKdPdPKlPlN2at6native12_GLOBAL__N_18offset_tEEE10hipError_tPvRmT1_PNSt15iterator_traitsIS12_E10value_typeET2_T3_PNS13_IS18_E10value_typeET4_jRbjT5_S1E_jjP12ihipStream_tbEUljE_ZNSN_ISO_Lb1ESQ_SR_ST_SU_SY_EESZ_S10_S11_S12_S16_S17_S18_S1B_S1C_jS1D_jS1E_S1E_jjS1G_bEUljE0_EEESZ_S10_S11_S18_S1C_S1E_T6_T7_T9_mT8_S1G_bDpT10_ENKUlT_T0_E_clISt17integral_constantIbLb1EES1U_EEDaS1P_S1Q_EUlS1P_E_NS1_11comp_targetILNS1_3genE3ELNS1_11target_archE908ELNS1_3gpuE7ELNS1_3repE0EEENS1_30default_config_static_selectorELNS0_4arch9wavefront6targetE0EEEvS12_
    .private_segment_fixed_size: 0
    .sgpr_count:     0
    .sgpr_spill_count: 0
    .symbol:         _ZN7rocprim17ROCPRIM_400000_NS6detail17trampoline_kernelINS0_13select_configILj256ELj13ELNS0_17block_load_methodE3ELS4_3ELS4_3ELNS0_20block_scan_algorithmE0ELj4294967295EEENS1_25partition_config_selectorILNS1_17partition_subalgoE4EjNS0_10empty_typeEbEEZZNS1_14partition_implILS8_4ELb0ES6_15HIP_vector_typeIjLj2EENS0_17counting_iteratorIjlEEPS9_SG_NS0_5tupleIJPjSI_NS0_16reverse_iteratorISI_EEEEENSH_IJSG_SG_SG_EEES9_SI_JZNS1_25segmented_radix_sort_implINS0_14default_configELb1EPKdPdPKlPlN2at6native12_GLOBAL__N_18offset_tEEE10hipError_tPvRmT1_PNSt15iterator_traitsIS12_E10value_typeET2_T3_PNS13_IS18_E10value_typeET4_jRbjT5_S1E_jjP12ihipStream_tbEUljE_ZNSN_ISO_Lb1ESQ_SR_ST_SU_SY_EESZ_S10_S11_S12_S16_S17_S18_S1B_S1C_jS1D_jS1E_S1E_jjS1G_bEUljE0_EEESZ_S10_S11_S18_S1C_S1E_T6_T7_T9_mT8_S1G_bDpT10_ENKUlT_T0_E_clISt17integral_constantIbLb1EES1U_EEDaS1P_S1Q_EUlS1P_E_NS1_11comp_targetILNS1_3genE3ELNS1_11target_archE908ELNS1_3gpuE7ELNS1_3repE0EEENS1_30default_config_static_selectorELNS0_4arch9wavefront6targetE0EEEvS12_.kd
    .uniform_work_group_size: 1
    .uses_dynamic_stack: false
    .vgpr_count:     0
    .vgpr_spill_count: 0
    .wavefront_size: 32
    .workgroup_processor_mode: 1
  - .args:
      - .offset:         0
        .size:           184
        .value_kind:     by_value
    .group_segment_fixed_size: 0
    .kernarg_segment_align: 8
    .kernarg_segment_size: 184
    .language:       OpenCL C
    .language_version:
      - 2
      - 0
    .max_flat_workgroup_size: 256
    .name:           _ZN7rocprim17ROCPRIM_400000_NS6detail17trampoline_kernelINS0_13select_configILj256ELj13ELNS0_17block_load_methodE3ELS4_3ELS4_3ELNS0_20block_scan_algorithmE0ELj4294967295EEENS1_25partition_config_selectorILNS1_17partition_subalgoE4EjNS0_10empty_typeEbEEZZNS1_14partition_implILS8_4ELb0ES6_15HIP_vector_typeIjLj2EENS0_17counting_iteratorIjlEEPS9_SG_NS0_5tupleIJPjSI_NS0_16reverse_iteratorISI_EEEEENSH_IJSG_SG_SG_EEES9_SI_JZNS1_25segmented_radix_sort_implINS0_14default_configELb1EPKdPdPKlPlN2at6native12_GLOBAL__N_18offset_tEEE10hipError_tPvRmT1_PNSt15iterator_traitsIS12_E10value_typeET2_T3_PNS13_IS18_E10value_typeET4_jRbjT5_S1E_jjP12ihipStream_tbEUljE_ZNSN_ISO_Lb1ESQ_SR_ST_SU_SY_EESZ_S10_S11_S12_S16_S17_S18_S1B_S1C_jS1D_jS1E_S1E_jjS1G_bEUljE0_EEESZ_S10_S11_S18_S1C_S1E_T6_T7_T9_mT8_S1G_bDpT10_ENKUlT_T0_E_clISt17integral_constantIbLb1EES1U_EEDaS1P_S1Q_EUlS1P_E_NS1_11comp_targetILNS1_3genE2ELNS1_11target_archE906ELNS1_3gpuE6ELNS1_3repE0EEENS1_30default_config_static_selectorELNS0_4arch9wavefront6targetE0EEEvS12_
    .private_segment_fixed_size: 0
    .sgpr_count:     0
    .sgpr_spill_count: 0
    .symbol:         _ZN7rocprim17ROCPRIM_400000_NS6detail17trampoline_kernelINS0_13select_configILj256ELj13ELNS0_17block_load_methodE3ELS4_3ELS4_3ELNS0_20block_scan_algorithmE0ELj4294967295EEENS1_25partition_config_selectorILNS1_17partition_subalgoE4EjNS0_10empty_typeEbEEZZNS1_14partition_implILS8_4ELb0ES6_15HIP_vector_typeIjLj2EENS0_17counting_iteratorIjlEEPS9_SG_NS0_5tupleIJPjSI_NS0_16reverse_iteratorISI_EEEEENSH_IJSG_SG_SG_EEES9_SI_JZNS1_25segmented_radix_sort_implINS0_14default_configELb1EPKdPdPKlPlN2at6native12_GLOBAL__N_18offset_tEEE10hipError_tPvRmT1_PNSt15iterator_traitsIS12_E10value_typeET2_T3_PNS13_IS18_E10value_typeET4_jRbjT5_S1E_jjP12ihipStream_tbEUljE_ZNSN_ISO_Lb1ESQ_SR_ST_SU_SY_EESZ_S10_S11_S12_S16_S17_S18_S1B_S1C_jS1D_jS1E_S1E_jjS1G_bEUljE0_EEESZ_S10_S11_S18_S1C_S1E_T6_T7_T9_mT8_S1G_bDpT10_ENKUlT_T0_E_clISt17integral_constantIbLb1EES1U_EEDaS1P_S1Q_EUlS1P_E_NS1_11comp_targetILNS1_3genE2ELNS1_11target_archE906ELNS1_3gpuE6ELNS1_3repE0EEENS1_30default_config_static_selectorELNS0_4arch9wavefront6targetE0EEEvS12_.kd
    .uniform_work_group_size: 1
    .uses_dynamic_stack: false
    .vgpr_count:     0
    .vgpr_spill_count: 0
    .wavefront_size: 32
    .workgroup_processor_mode: 1
  - .args:
      - .offset:         0
        .size:           184
        .value_kind:     by_value
    .group_segment_fixed_size: 0
    .kernarg_segment_align: 8
    .kernarg_segment_size: 184
    .language:       OpenCL C
    .language_version:
      - 2
      - 0
    .max_flat_workgroup_size: 256
    .name:           _ZN7rocprim17ROCPRIM_400000_NS6detail17trampoline_kernelINS0_13select_configILj256ELj13ELNS0_17block_load_methodE3ELS4_3ELS4_3ELNS0_20block_scan_algorithmE0ELj4294967295EEENS1_25partition_config_selectorILNS1_17partition_subalgoE4EjNS0_10empty_typeEbEEZZNS1_14partition_implILS8_4ELb0ES6_15HIP_vector_typeIjLj2EENS0_17counting_iteratorIjlEEPS9_SG_NS0_5tupleIJPjSI_NS0_16reverse_iteratorISI_EEEEENSH_IJSG_SG_SG_EEES9_SI_JZNS1_25segmented_radix_sort_implINS0_14default_configELb1EPKdPdPKlPlN2at6native12_GLOBAL__N_18offset_tEEE10hipError_tPvRmT1_PNSt15iterator_traitsIS12_E10value_typeET2_T3_PNS13_IS18_E10value_typeET4_jRbjT5_S1E_jjP12ihipStream_tbEUljE_ZNSN_ISO_Lb1ESQ_SR_ST_SU_SY_EESZ_S10_S11_S12_S16_S17_S18_S1B_S1C_jS1D_jS1E_S1E_jjS1G_bEUljE0_EEESZ_S10_S11_S18_S1C_S1E_T6_T7_T9_mT8_S1G_bDpT10_ENKUlT_T0_E_clISt17integral_constantIbLb1EES1U_EEDaS1P_S1Q_EUlS1P_E_NS1_11comp_targetILNS1_3genE10ELNS1_11target_archE1200ELNS1_3gpuE4ELNS1_3repE0EEENS1_30default_config_static_selectorELNS0_4arch9wavefront6targetE0EEEvS12_
    .private_segment_fixed_size: 0
    .sgpr_count:     0
    .sgpr_spill_count: 0
    .symbol:         _ZN7rocprim17ROCPRIM_400000_NS6detail17trampoline_kernelINS0_13select_configILj256ELj13ELNS0_17block_load_methodE3ELS4_3ELS4_3ELNS0_20block_scan_algorithmE0ELj4294967295EEENS1_25partition_config_selectorILNS1_17partition_subalgoE4EjNS0_10empty_typeEbEEZZNS1_14partition_implILS8_4ELb0ES6_15HIP_vector_typeIjLj2EENS0_17counting_iteratorIjlEEPS9_SG_NS0_5tupleIJPjSI_NS0_16reverse_iteratorISI_EEEEENSH_IJSG_SG_SG_EEES9_SI_JZNS1_25segmented_radix_sort_implINS0_14default_configELb1EPKdPdPKlPlN2at6native12_GLOBAL__N_18offset_tEEE10hipError_tPvRmT1_PNSt15iterator_traitsIS12_E10value_typeET2_T3_PNS13_IS18_E10value_typeET4_jRbjT5_S1E_jjP12ihipStream_tbEUljE_ZNSN_ISO_Lb1ESQ_SR_ST_SU_SY_EESZ_S10_S11_S12_S16_S17_S18_S1B_S1C_jS1D_jS1E_S1E_jjS1G_bEUljE0_EEESZ_S10_S11_S18_S1C_S1E_T6_T7_T9_mT8_S1G_bDpT10_ENKUlT_T0_E_clISt17integral_constantIbLb1EES1U_EEDaS1P_S1Q_EUlS1P_E_NS1_11comp_targetILNS1_3genE10ELNS1_11target_archE1200ELNS1_3gpuE4ELNS1_3repE0EEENS1_30default_config_static_selectorELNS0_4arch9wavefront6targetE0EEEvS12_.kd
    .uniform_work_group_size: 1
    .uses_dynamic_stack: false
    .vgpr_count:     0
    .vgpr_spill_count: 0
    .wavefront_size: 32
    .workgroup_processor_mode: 1
  - .args:
      - .offset:         0
        .size:           184
        .value_kind:     by_value
    .group_segment_fixed_size: 0
    .kernarg_segment_align: 8
    .kernarg_segment_size: 184
    .language:       OpenCL C
    .language_version:
      - 2
      - 0
    .max_flat_workgroup_size: 256
    .name:           _ZN7rocprim17ROCPRIM_400000_NS6detail17trampoline_kernelINS0_13select_configILj256ELj13ELNS0_17block_load_methodE3ELS4_3ELS4_3ELNS0_20block_scan_algorithmE0ELj4294967295EEENS1_25partition_config_selectorILNS1_17partition_subalgoE4EjNS0_10empty_typeEbEEZZNS1_14partition_implILS8_4ELb0ES6_15HIP_vector_typeIjLj2EENS0_17counting_iteratorIjlEEPS9_SG_NS0_5tupleIJPjSI_NS0_16reverse_iteratorISI_EEEEENSH_IJSG_SG_SG_EEES9_SI_JZNS1_25segmented_radix_sort_implINS0_14default_configELb1EPKdPdPKlPlN2at6native12_GLOBAL__N_18offset_tEEE10hipError_tPvRmT1_PNSt15iterator_traitsIS12_E10value_typeET2_T3_PNS13_IS18_E10value_typeET4_jRbjT5_S1E_jjP12ihipStream_tbEUljE_ZNSN_ISO_Lb1ESQ_SR_ST_SU_SY_EESZ_S10_S11_S12_S16_S17_S18_S1B_S1C_jS1D_jS1E_S1E_jjS1G_bEUljE0_EEESZ_S10_S11_S18_S1C_S1E_T6_T7_T9_mT8_S1G_bDpT10_ENKUlT_T0_E_clISt17integral_constantIbLb1EES1U_EEDaS1P_S1Q_EUlS1P_E_NS1_11comp_targetILNS1_3genE9ELNS1_11target_archE1100ELNS1_3gpuE3ELNS1_3repE0EEENS1_30default_config_static_selectorELNS0_4arch9wavefront6targetE0EEEvS12_
    .private_segment_fixed_size: 0
    .sgpr_count:     0
    .sgpr_spill_count: 0
    .symbol:         _ZN7rocprim17ROCPRIM_400000_NS6detail17trampoline_kernelINS0_13select_configILj256ELj13ELNS0_17block_load_methodE3ELS4_3ELS4_3ELNS0_20block_scan_algorithmE0ELj4294967295EEENS1_25partition_config_selectorILNS1_17partition_subalgoE4EjNS0_10empty_typeEbEEZZNS1_14partition_implILS8_4ELb0ES6_15HIP_vector_typeIjLj2EENS0_17counting_iteratorIjlEEPS9_SG_NS0_5tupleIJPjSI_NS0_16reverse_iteratorISI_EEEEENSH_IJSG_SG_SG_EEES9_SI_JZNS1_25segmented_radix_sort_implINS0_14default_configELb1EPKdPdPKlPlN2at6native12_GLOBAL__N_18offset_tEEE10hipError_tPvRmT1_PNSt15iterator_traitsIS12_E10value_typeET2_T3_PNS13_IS18_E10value_typeET4_jRbjT5_S1E_jjP12ihipStream_tbEUljE_ZNSN_ISO_Lb1ESQ_SR_ST_SU_SY_EESZ_S10_S11_S12_S16_S17_S18_S1B_S1C_jS1D_jS1E_S1E_jjS1G_bEUljE0_EEESZ_S10_S11_S18_S1C_S1E_T6_T7_T9_mT8_S1G_bDpT10_ENKUlT_T0_E_clISt17integral_constantIbLb1EES1U_EEDaS1P_S1Q_EUlS1P_E_NS1_11comp_targetILNS1_3genE9ELNS1_11target_archE1100ELNS1_3gpuE3ELNS1_3repE0EEENS1_30default_config_static_selectorELNS0_4arch9wavefront6targetE0EEEvS12_.kd
    .uniform_work_group_size: 1
    .uses_dynamic_stack: false
    .vgpr_count:     0
    .vgpr_spill_count: 0
    .wavefront_size: 32
    .workgroup_processor_mode: 1
  - .args:
      - .offset:         0
        .size:           184
        .value_kind:     by_value
    .group_segment_fixed_size: 0
    .kernarg_segment_align: 8
    .kernarg_segment_size: 184
    .language:       OpenCL C
    .language_version:
      - 2
      - 0
    .max_flat_workgroup_size: 256
    .name:           _ZN7rocprim17ROCPRIM_400000_NS6detail17trampoline_kernelINS0_13select_configILj256ELj13ELNS0_17block_load_methodE3ELS4_3ELS4_3ELNS0_20block_scan_algorithmE0ELj4294967295EEENS1_25partition_config_selectorILNS1_17partition_subalgoE4EjNS0_10empty_typeEbEEZZNS1_14partition_implILS8_4ELb0ES6_15HIP_vector_typeIjLj2EENS0_17counting_iteratorIjlEEPS9_SG_NS0_5tupleIJPjSI_NS0_16reverse_iteratorISI_EEEEENSH_IJSG_SG_SG_EEES9_SI_JZNS1_25segmented_radix_sort_implINS0_14default_configELb1EPKdPdPKlPlN2at6native12_GLOBAL__N_18offset_tEEE10hipError_tPvRmT1_PNSt15iterator_traitsIS12_E10value_typeET2_T3_PNS13_IS18_E10value_typeET4_jRbjT5_S1E_jjP12ihipStream_tbEUljE_ZNSN_ISO_Lb1ESQ_SR_ST_SU_SY_EESZ_S10_S11_S12_S16_S17_S18_S1B_S1C_jS1D_jS1E_S1E_jjS1G_bEUljE0_EEESZ_S10_S11_S18_S1C_S1E_T6_T7_T9_mT8_S1G_bDpT10_ENKUlT_T0_E_clISt17integral_constantIbLb1EES1U_EEDaS1P_S1Q_EUlS1P_E_NS1_11comp_targetILNS1_3genE8ELNS1_11target_archE1030ELNS1_3gpuE2ELNS1_3repE0EEENS1_30default_config_static_selectorELNS0_4arch9wavefront6targetE0EEEvS12_
    .private_segment_fixed_size: 0
    .sgpr_count:     0
    .sgpr_spill_count: 0
    .symbol:         _ZN7rocprim17ROCPRIM_400000_NS6detail17trampoline_kernelINS0_13select_configILj256ELj13ELNS0_17block_load_methodE3ELS4_3ELS4_3ELNS0_20block_scan_algorithmE0ELj4294967295EEENS1_25partition_config_selectorILNS1_17partition_subalgoE4EjNS0_10empty_typeEbEEZZNS1_14partition_implILS8_4ELb0ES6_15HIP_vector_typeIjLj2EENS0_17counting_iteratorIjlEEPS9_SG_NS0_5tupleIJPjSI_NS0_16reverse_iteratorISI_EEEEENSH_IJSG_SG_SG_EEES9_SI_JZNS1_25segmented_radix_sort_implINS0_14default_configELb1EPKdPdPKlPlN2at6native12_GLOBAL__N_18offset_tEEE10hipError_tPvRmT1_PNSt15iterator_traitsIS12_E10value_typeET2_T3_PNS13_IS18_E10value_typeET4_jRbjT5_S1E_jjP12ihipStream_tbEUljE_ZNSN_ISO_Lb1ESQ_SR_ST_SU_SY_EESZ_S10_S11_S12_S16_S17_S18_S1B_S1C_jS1D_jS1E_S1E_jjS1G_bEUljE0_EEESZ_S10_S11_S18_S1C_S1E_T6_T7_T9_mT8_S1G_bDpT10_ENKUlT_T0_E_clISt17integral_constantIbLb1EES1U_EEDaS1P_S1Q_EUlS1P_E_NS1_11comp_targetILNS1_3genE8ELNS1_11target_archE1030ELNS1_3gpuE2ELNS1_3repE0EEENS1_30default_config_static_selectorELNS0_4arch9wavefront6targetE0EEEvS12_.kd
    .uniform_work_group_size: 1
    .uses_dynamic_stack: false
    .vgpr_count:     0
    .vgpr_spill_count: 0
    .wavefront_size: 32
    .workgroup_processor_mode: 1
  - .args:
      - .offset:         0
        .size:           176
        .value_kind:     by_value
    .group_segment_fixed_size: 0
    .kernarg_segment_align: 8
    .kernarg_segment_size: 176
    .language:       OpenCL C
    .language_version:
      - 2
      - 0
    .max_flat_workgroup_size: 256
    .name:           _ZN7rocprim17ROCPRIM_400000_NS6detail17trampoline_kernelINS0_13select_configILj256ELj13ELNS0_17block_load_methodE3ELS4_3ELS4_3ELNS0_20block_scan_algorithmE0ELj4294967295EEENS1_25partition_config_selectorILNS1_17partition_subalgoE4EjNS0_10empty_typeEbEEZZNS1_14partition_implILS8_4ELb0ES6_15HIP_vector_typeIjLj2EENS0_17counting_iteratorIjlEEPS9_SG_NS0_5tupleIJPjSI_NS0_16reverse_iteratorISI_EEEEENSH_IJSG_SG_SG_EEES9_SI_JZNS1_25segmented_radix_sort_implINS0_14default_configELb1EPKdPdPKlPlN2at6native12_GLOBAL__N_18offset_tEEE10hipError_tPvRmT1_PNSt15iterator_traitsIS12_E10value_typeET2_T3_PNS13_IS18_E10value_typeET4_jRbjT5_S1E_jjP12ihipStream_tbEUljE_ZNSN_ISO_Lb1ESQ_SR_ST_SU_SY_EESZ_S10_S11_S12_S16_S17_S18_S1B_S1C_jS1D_jS1E_S1E_jjS1G_bEUljE0_EEESZ_S10_S11_S18_S1C_S1E_T6_T7_T9_mT8_S1G_bDpT10_ENKUlT_T0_E_clISt17integral_constantIbLb1EES1T_IbLb0EEEEDaS1P_S1Q_EUlS1P_E_NS1_11comp_targetILNS1_3genE0ELNS1_11target_archE4294967295ELNS1_3gpuE0ELNS1_3repE0EEENS1_30default_config_static_selectorELNS0_4arch9wavefront6targetE0EEEvS12_
    .private_segment_fixed_size: 0
    .sgpr_count:     0
    .sgpr_spill_count: 0
    .symbol:         _ZN7rocprim17ROCPRIM_400000_NS6detail17trampoline_kernelINS0_13select_configILj256ELj13ELNS0_17block_load_methodE3ELS4_3ELS4_3ELNS0_20block_scan_algorithmE0ELj4294967295EEENS1_25partition_config_selectorILNS1_17partition_subalgoE4EjNS0_10empty_typeEbEEZZNS1_14partition_implILS8_4ELb0ES6_15HIP_vector_typeIjLj2EENS0_17counting_iteratorIjlEEPS9_SG_NS0_5tupleIJPjSI_NS0_16reverse_iteratorISI_EEEEENSH_IJSG_SG_SG_EEES9_SI_JZNS1_25segmented_radix_sort_implINS0_14default_configELb1EPKdPdPKlPlN2at6native12_GLOBAL__N_18offset_tEEE10hipError_tPvRmT1_PNSt15iterator_traitsIS12_E10value_typeET2_T3_PNS13_IS18_E10value_typeET4_jRbjT5_S1E_jjP12ihipStream_tbEUljE_ZNSN_ISO_Lb1ESQ_SR_ST_SU_SY_EESZ_S10_S11_S12_S16_S17_S18_S1B_S1C_jS1D_jS1E_S1E_jjS1G_bEUljE0_EEESZ_S10_S11_S18_S1C_S1E_T6_T7_T9_mT8_S1G_bDpT10_ENKUlT_T0_E_clISt17integral_constantIbLb1EES1T_IbLb0EEEEDaS1P_S1Q_EUlS1P_E_NS1_11comp_targetILNS1_3genE0ELNS1_11target_archE4294967295ELNS1_3gpuE0ELNS1_3repE0EEENS1_30default_config_static_selectorELNS0_4arch9wavefront6targetE0EEEvS12_.kd
    .uniform_work_group_size: 1
    .uses_dynamic_stack: false
    .vgpr_count:     0
    .vgpr_spill_count: 0
    .wavefront_size: 32
    .workgroup_processor_mode: 1
  - .args:
      - .offset:         0
        .size:           176
        .value_kind:     by_value
    .group_segment_fixed_size: 0
    .kernarg_segment_align: 8
    .kernarg_segment_size: 176
    .language:       OpenCL C
    .language_version:
      - 2
      - 0
    .max_flat_workgroup_size: 256
    .name:           _ZN7rocprim17ROCPRIM_400000_NS6detail17trampoline_kernelINS0_13select_configILj256ELj13ELNS0_17block_load_methodE3ELS4_3ELS4_3ELNS0_20block_scan_algorithmE0ELj4294967295EEENS1_25partition_config_selectorILNS1_17partition_subalgoE4EjNS0_10empty_typeEbEEZZNS1_14partition_implILS8_4ELb0ES6_15HIP_vector_typeIjLj2EENS0_17counting_iteratorIjlEEPS9_SG_NS0_5tupleIJPjSI_NS0_16reverse_iteratorISI_EEEEENSH_IJSG_SG_SG_EEES9_SI_JZNS1_25segmented_radix_sort_implINS0_14default_configELb1EPKdPdPKlPlN2at6native12_GLOBAL__N_18offset_tEEE10hipError_tPvRmT1_PNSt15iterator_traitsIS12_E10value_typeET2_T3_PNS13_IS18_E10value_typeET4_jRbjT5_S1E_jjP12ihipStream_tbEUljE_ZNSN_ISO_Lb1ESQ_SR_ST_SU_SY_EESZ_S10_S11_S12_S16_S17_S18_S1B_S1C_jS1D_jS1E_S1E_jjS1G_bEUljE0_EEESZ_S10_S11_S18_S1C_S1E_T6_T7_T9_mT8_S1G_bDpT10_ENKUlT_T0_E_clISt17integral_constantIbLb1EES1T_IbLb0EEEEDaS1P_S1Q_EUlS1P_E_NS1_11comp_targetILNS1_3genE5ELNS1_11target_archE942ELNS1_3gpuE9ELNS1_3repE0EEENS1_30default_config_static_selectorELNS0_4arch9wavefront6targetE0EEEvS12_
    .private_segment_fixed_size: 0
    .sgpr_count:     0
    .sgpr_spill_count: 0
    .symbol:         _ZN7rocprim17ROCPRIM_400000_NS6detail17trampoline_kernelINS0_13select_configILj256ELj13ELNS0_17block_load_methodE3ELS4_3ELS4_3ELNS0_20block_scan_algorithmE0ELj4294967295EEENS1_25partition_config_selectorILNS1_17partition_subalgoE4EjNS0_10empty_typeEbEEZZNS1_14partition_implILS8_4ELb0ES6_15HIP_vector_typeIjLj2EENS0_17counting_iteratorIjlEEPS9_SG_NS0_5tupleIJPjSI_NS0_16reverse_iteratorISI_EEEEENSH_IJSG_SG_SG_EEES9_SI_JZNS1_25segmented_radix_sort_implINS0_14default_configELb1EPKdPdPKlPlN2at6native12_GLOBAL__N_18offset_tEEE10hipError_tPvRmT1_PNSt15iterator_traitsIS12_E10value_typeET2_T3_PNS13_IS18_E10value_typeET4_jRbjT5_S1E_jjP12ihipStream_tbEUljE_ZNSN_ISO_Lb1ESQ_SR_ST_SU_SY_EESZ_S10_S11_S12_S16_S17_S18_S1B_S1C_jS1D_jS1E_S1E_jjS1G_bEUljE0_EEESZ_S10_S11_S18_S1C_S1E_T6_T7_T9_mT8_S1G_bDpT10_ENKUlT_T0_E_clISt17integral_constantIbLb1EES1T_IbLb0EEEEDaS1P_S1Q_EUlS1P_E_NS1_11comp_targetILNS1_3genE5ELNS1_11target_archE942ELNS1_3gpuE9ELNS1_3repE0EEENS1_30default_config_static_selectorELNS0_4arch9wavefront6targetE0EEEvS12_.kd
    .uniform_work_group_size: 1
    .uses_dynamic_stack: false
    .vgpr_count:     0
    .vgpr_spill_count: 0
    .wavefront_size: 32
    .workgroup_processor_mode: 1
  - .args:
      - .offset:         0
        .size:           176
        .value_kind:     by_value
    .group_segment_fixed_size: 0
    .kernarg_segment_align: 8
    .kernarg_segment_size: 176
    .language:       OpenCL C
    .language_version:
      - 2
      - 0
    .max_flat_workgroup_size: 256
    .name:           _ZN7rocprim17ROCPRIM_400000_NS6detail17trampoline_kernelINS0_13select_configILj256ELj13ELNS0_17block_load_methodE3ELS4_3ELS4_3ELNS0_20block_scan_algorithmE0ELj4294967295EEENS1_25partition_config_selectorILNS1_17partition_subalgoE4EjNS0_10empty_typeEbEEZZNS1_14partition_implILS8_4ELb0ES6_15HIP_vector_typeIjLj2EENS0_17counting_iteratorIjlEEPS9_SG_NS0_5tupleIJPjSI_NS0_16reverse_iteratorISI_EEEEENSH_IJSG_SG_SG_EEES9_SI_JZNS1_25segmented_radix_sort_implINS0_14default_configELb1EPKdPdPKlPlN2at6native12_GLOBAL__N_18offset_tEEE10hipError_tPvRmT1_PNSt15iterator_traitsIS12_E10value_typeET2_T3_PNS13_IS18_E10value_typeET4_jRbjT5_S1E_jjP12ihipStream_tbEUljE_ZNSN_ISO_Lb1ESQ_SR_ST_SU_SY_EESZ_S10_S11_S12_S16_S17_S18_S1B_S1C_jS1D_jS1E_S1E_jjS1G_bEUljE0_EEESZ_S10_S11_S18_S1C_S1E_T6_T7_T9_mT8_S1G_bDpT10_ENKUlT_T0_E_clISt17integral_constantIbLb1EES1T_IbLb0EEEEDaS1P_S1Q_EUlS1P_E_NS1_11comp_targetILNS1_3genE4ELNS1_11target_archE910ELNS1_3gpuE8ELNS1_3repE0EEENS1_30default_config_static_selectorELNS0_4arch9wavefront6targetE0EEEvS12_
    .private_segment_fixed_size: 0
    .sgpr_count:     0
    .sgpr_spill_count: 0
    .symbol:         _ZN7rocprim17ROCPRIM_400000_NS6detail17trampoline_kernelINS0_13select_configILj256ELj13ELNS0_17block_load_methodE3ELS4_3ELS4_3ELNS0_20block_scan_algorithmE0ELj4294967295EEENS1_25partition_config_selectorILNS1_17partition_subalgoE4EjNS0_10empty_typeEbEEZZNS1_14partition_implILS8_4ELb0ES6_15HIP_vector_typeIjLj2EENS0_17counting_iteratorIjlEEPS9_SG_NS0_5tupleIJPjSI_NS0_16reverse_iteratorISI_EEEEENSH_IJSG_SG_SG_EEES9_SI_JZNS1_25segmented_radix_sort_implINS0_14default_configELb1EPKdPdPKlPlN2at6native12_GLOBAL__N_18offset_tEEE10hipError_tPvRmT1_PNSt15iterator_traitsIS12_E10value_typeET2_T3_PNS13_IS18_E10value_typeET4_jRbjT5_S1E_jjP12ihipStream_tbEUljE_ZNSN_ISO_Lb1ESQ_SR_ST_SU_SY_EESZ_S10_S11_S12_S16_S17_S18_S1B_S1C_jS1D_jS1E_S1E_jjS1G_bEUljE0_EEESZ_S10_S11_S18_S1C_S1E_T6_T7_T9_mT8_S1G_bDpT10_ENKUlT_T0_E_clISt17integral_constantIbLb1EES1T_IbLb0EEEEDaS1P_S1Q_EUlS1P_E_NS1_11comp_targetILNS1_3genE4ELNS1_11target_archE910ELNS1_3gpuE8ELNS1_3repE0EEENS1_30default_config_static_selectorELNS0_4arch9wavefront6targetE0EEEvS12_.kd
    .uniform_work_group_size: 1
    .uses_dynamic_stack: false
    .vgpr_count:     0
    .vgpr_spill_count: 0
    .wavefront_size: 32
    .workgroup_processor_mode: 1
  - .args:
      - .offset:         0
        .size:           176
        .value_kind:     by_value
    .group_segment_fixed_size: 0
    .kernarg_segment_align: 8
    .kernarg_segment_size: 176
    .language:       OpenCL C
    .language_version:
      - 2
      - 0
    .max_flat_workgroup_size: 256
    .name:           _ZN7rocprim17ROCPRIM_400000_NS6detail17trampoline_kernelINS0_13select_configILj256ELj13ELNS0_17block_load_methodE3ELS4_3ELS4_3ELNS0_20block_scan_algorithmE0ELj4294967295EEENS1_25partition_config_selectorILNS1_17partition_subalgoE4EjNS0_10empty_typeEbEEZZNS1_14partition_implILS8_4ELb0ES6_15HIP_vector_typeIjLj2EENS0_17counting_iteratorIjlEEPS9_SG_NS0_5tupleIJPjSI_NS0_16reverse_iteratorISI_EEEEENSH_IJSG_SG_SG_EEES9_SI_JZNS1_25segmented_radix_sort_implINS0_14default_configELb1EPKdPdPKlPlN2at6native12_GLOBAL__N_18offset_tEEE10hipError_tPvRmT1_PNSt15iterator_traitsIS12_E10value_typeET2_T3_PNS13_IS18_E10value_typeET4_jRbjT5_S1E_jjP12ihipStream_tbEUljE_ZNSN_ISO_Lb1ESQ_SR_ST_SU_SY_EESZ_S10_S11_S12_S16_S17_S18_S1B_S1C_jS1D_jS1E_S1E_jjS1G_bEUljE0_EEESZ_S10_S11_S18_S1C_S1E_T6_T7_T9_mT8_S1G_bDpT10_ENKUlT_T0_E_clISt17integral_constantIbLb1EES1T_IbLb0EEEEDaS1P_S1Q_EUlS1P_E_NS1_11comp_targetILNS1_3genE3ELNS1_11target_archE908ELNS1_3gpuE7ELNS1_3repE0EEENS1_30default_config_static_selectorELNS0_4arch9wavefront6targetE0EEEvS12_
    .private_segment_fixed_size: 0
    .sgpr_count:     0
    .sgpr_spill_count: 0
    .symbol:         _ZN7rocprim17ROCPRIM_400000_NS6detail17trampoline_kernelINS0_13select_configILj256ELj13ELNS0_17block_load_methodE3ELS4_3ELS4_3ELNS0_20block_scan_algorithmE0ELj4294967295EEENS1_25partition_config_selectorILNS1_17partition_subalgoE4EjNS0_10empty_typeEbEEZZNS1_14partition_implILS8_4ELb0ES6_15HIP_vector_typeIjLj2EENS0_17counting_iteratorIjlEEPS9_SG_NS0_5tupleIJPjSI_NS0_16reverse_iteratorISI_EEEEENSH_IJSG_SG_SG_EEES9_SI_JZNS1_25segmented_radix_sort_implINS0_14default_configELb1EPKdPdPKlPlN2at6native12_GLOBAL__N_18offset_tEEE10hipError_tPvRmT1_PNSt15iterator_traitsIS12_E10value_typeET2_T3_PNS13_IS18_E10value_typeET4_jRbjT5_S1E_jjP12ihipStream_tbEUljE_ZNSN_ISO_Lb1ESQ_SR_ST_SU_SY_EESZ_S10_S11_S12_S16_S17_S18_S1B_S1C_jS1D_jS1E_S1E_jjS1G_bEUljE0_EEESZ_S10_S11_S18_S1C_S1E_T6_T7_T9_mT8_S1G_bDpT10_ENKUlT_T0_E_clISt17integral_constantIbLb1EES1T_IbLb0EEEEDaS1P_S1Q_EUlS1P_E_NS1_11comp_targetILNS1_3genE3ELNS1_11target_archE908ELNS1_3gpuE7ELNS1_3repE0EEENS1_30default_config_static_selectorELNS0_4arch9wavefront6targetE0EEEvS12_.kd
    .uniform_work_group_size: 1
    .uses_dynamic_stack: false
    .vgpr_count:     0
    .vgpr_spill_count: 0
    .wavefront_size: 32
    .workgroup_processor_mode: 1
  - .args:
      - .offset:         0
        .size:           176
        .value_kind:     by_value
    .group_segment_fixed_size: 0
    .kernarg_segment_align: 8
    .kernarg_segment_size: 176
    .language:       OpenCL C
    .language_version:
      - 2
      - 0
    .max_flat_workgroup_size: 256
    .name:           _ZN7rocprim17ROCPRIM_400000_NS6detail17trampoline_kernelINS0_13select_configILj256ELj13ELNS0_17block_load_methodE3ELS4_3ELS4_3ELNS0_20block_scan_algorithmE0ELj4294967295EEENS1_25partition_config_selectorILNS1_17partition_subalgoE4EjNS0_10empty_typeEbEEZZNS1_14partition_implILS8_4ELb0ES6_15HIP_vector_typeIjLj2EENS0_17counting_iteratorIjlEEPS9_SG_NS0_5tupleIJPjSI_NS0_16reverse_iteratorISI_EEEEENSH_IJSG_SG_SG_EEES9_SI_JZNS1_25segmented_radix_sort_implINS0_14default_configELb1EPKdPdPKlPlN2at6native12_GLOBAL__N_18offset_tEEE10hipError_tPvRmT1_PNSt15iterator_traitsIS12_E10value_typeET2_T3_PNS13_IS18_E10value_typeET4_jRbjT5_S1E_jjP12ihipStream_tbEUljE_ZNSN_ISO_Lb1ESQ_SR_ST_SU_SY_EESZ_S10_S11_S12_S16_S17_S18_S1B_S1C_jS1D_jS1E_S1E_jjS1G_bEUljE0_EEESZ_S10_S11_S18_S1C_S1E_T6_T7_T9_mT8_S1G_bDpT10_ENKUlT_T0_E_clISt17integral_constantIbLb1EES1T_IbLb0EEEEDaS1P_S1Q_EUlS1P_E_NS1_11comp_targetILNS1_3genE2ELNS1_11target_archE906ELNS1_3gpuE6ELNS1_3repE0EEENS1_30default_config_static_selectorELNS0_4arch9wavefront6targetE0EEEvS12_
    .private_segment_fixed_size: 0
    .sgpr_count:     0
    .sgpr_spill_count: 0
    .symbol:         _ZN7rocprim17ROCPRIM_400000_NS6detail17trampoline_kernelINS0_13select_configILj256ELj13ELNS0_17block_load_methodE3ELS4_3ELS4_3ELNS0_20block_scan_algorithmE0ELj4294967295EEENS1_25partition_config_selectorILNS1_17partition_subalgoE4EjNS0_10empty_typeEbEEZZNS1_14partition_implILS8_4ELb0ES6_15HIP_vector_typeIjLj2EENS0_17counting_iteratorIjlEEPS9_SG_NS0_5tupleIJPjSI_NS0_16reverse_iteratorISI_EEEEENSH_IJSG_SG_SG_EEES9_SI_JZNS1_25segmented_radix_sort_implINS0_14default_configELb1EPKdPdPKlPlN2at6native12_GLOBAL__N_18offset_tEEE10hipError_tPvRmT1_PNSt15iterator_traitsIS12_E10value_typeET2_T3_PNS13_IS18_E10value_typeET4_jRbjT5_S1E_jjP12ihipStream_tbEUljE_ZNSN_ISO_Lb1ESQ_SR_ST_SU_SY_EESZ_S10_S11_S12_S16_S17_S18_S1B_S1C_jS1D_jS1E_S1E_jjS1G_bEUljE0_EEESZ_S10_S11_S18_S1C_S1E_T6_T7_T9_mT8_S1G_bDpT10_ENKUlT_T0_E_clISt17integral_constantIbLb1EES1T_IbLb0EEEEDaS1P_S1Q_EUlS1P_E_NS1_11comp_targetILNS1_3genE2ELNS1_11target_archE906ELNS1_3gpuE6ELNS1_3repE0EEENS1_30default_config_static_selectorELNS0_4arch9wavefront6targetE0EEEvS12_.kd
    .uniform_work_group_size: 1
    .uses_dynamic_stack: false
    .vgpr_count:     0
    .vgpr_spill_count: 0
    .wavefront_size: 32
    .workgroup_processor_mode: 1
  - .args:
      - .offset:         0
        .size:           176
        .value_kind:     by_value
    .group_segment_fixed_size: 0
    .kernarg_segment_align: 8
    .kernarg_segment_size: 176
    .language:       OpenCL C
    .language_version:
      - 2
      - 0
    .max_flat_workgroup_size: 256
    .name:           _ZN7rocprim17ROCPRIM_400000_NS6detail17trampoline_kernelINS0_13select_configILj256ELj13ELNS0_17block_load_methodE3ELS4_3ELS4_3ELNS0_20block_scan_algorithmE0ELj4294967295EEENS1_25partition_config_selectorILNS1_17partition_subalgoE4EjNS0_10empty_typeEbEEZZNS1_14partition_implILS8_4ELb0ES6_15HIP_vector_typeIjLj2EENS0_17counting_iteratorIjlEEPS9_SG_NS0_5tupleIJPjSI_NS0_16reverse_iteratorISI_EEEEENSH_IJSG_SG_SG_EEES9_SI_JZNS1_25segmented_radix_sort_implINS0_14default_configELb1EPKdPdPKlPlN2at6native12_GLOBAL__N_18offset_tEEE10hipError_tPvRmT1_PNSt15iterator_traitsIS12_E10value_typeET2_T3_PNS13_IS18_E10value_typeET4_jRbjT5_S1E_jjP12ihipStream_tbEUljE_ZNSN_ISO_Lb1ESQ_SR_ST_SU_SY_EESZ_S10_S11_S12_S16_S17_S18_S1B_S1C_jS1D_jS1E_S1E_jjS1G_bEUljE0_EEESZ_S10_S11_S18_S1C_S1E_T6_T7_T9_mT8_S1G_bDpT10_ENKUlT_T0_E_clISt17integral_constantIbLb1EES1T_IbLb0EEEEDaS1P_S1Q_EUlS1P_E_NS1_11comp_targetILNS1_3genE10ELNS1_11target_archE1200ELNS1_3gpuE4ELNS1_3repE0EEENS1_30default_config_static_selectorELNS0_4arch9wavefront6targetE0EEEvS12_
    .private_segment_fixed_size: 0
    .sgpr_count:     0
    .sgpr_spill_count: 0
    .symbol:         _ZN7rocprim17ROCPRIM_400000_NS6detail17trampoline_kernelINS0_13select_configILj256ELj13ELNS0_17block_load_methodE3ELS4_3ELS4_3ELNS0_20block_scan_algorithmE0ELj4294967295EEENS1_25partition_config_selectorILNS1_17partition_subalgoE4EjNS0_10empty_typeEbEEZZNS1_14partition_implILS8_4ELb0ES6_15HIP_vector_typeIjLj2EENS0_17counting_iteratorIjlEEPS9_SG_NS0_5tupleIJPjSI_NS0_16reverse_iteratorISI_EEEEENSH_IJSG_SG_SG_EEES9_SI_JZNS1_25segmented_radix_sort_implINS0_14default_configELb1EPKdPdPKlPlN2at6native12_GLOBAL__N_18offset_tEEE10hipError_tPvRmT1_PNSt15iterator_traitsIS12_E10value_typeET2_T3_PNS13_IS18_E10value_typeET4_jRbjT5_S1E_jjP12ihipStream_tbEUljE_ZNSN_ISO_Lb1ESQ_SR_ST_SU_SY_EESZ_S10_S11_S12_S16_S17_S18_S1B_S1C_jS1D_jS1E_S1E_jjS1G_bEUljE0_EEESZ_S10_S11_S18_S1C_S1E_T6_T7_T9_mT8_S1G_bDpT10_ENKUlT_T0_E_clISt17integral_constantIbLb1EES1T_IbLb0EEEEDaS1P_S1Q_EUlS1P_E_NS1_11comp_targetILNS1_3genE10ELNS1_11target_archE1200ELNS1_3gpuE4ELNS1_3repE0EEENS1_30default_config_static_selectorELNS0_4arch9wavefront6targetE0EEEvS12_.kd
    .uniform_work_group_size: 1
    .uses_dynamic_stack: false
    .vgpr_count:     0
    .vgpr_spill_count: 0
    .wavefront_size: 32
    .workgroup_processor_mode: 1
  - .args:
      - .offset:         0
        .size:           176
        .value_kind:     by_value
    .group_segment_fixed_size: 0
    .kernarg_segment_align: 8
    .kernarg_segment_size: 176
    .language:       OpenCL C
    .language_version:
      - 2
      - 0
    .max_flat_workgroup_size: 256
    .name:           _ZN7rocprim17ROCPRIM_400000_NS6detail17trampoline_kernelINS0_13select_configILj256ELj13ELNS0_17block_load_methodE3ELS4_3ELS4_3ELNS0_20block_scan_algorithmE0ELj4294967295EEENS1_25partition_config_selectorILNS1_17partition_subalgoE4EjNS0_10empty_typeEbEEZZNS1_14partition_implILS8_4ELb0ES6_15HIP_vector_typeIjLj2EENS0_17counting_iteratorIjlEEPS9_SG_NS0_5tupleIJPjSI_NS0_16reverse_iteratorISI_EEEEENSH_IJSG_SG_SG_EEES9_SI_JZNS1_25segmented_radix_sort_implINS0_14default_configELb1EPKdPdPKlPlN2at6native12_GLOBAL__N_18offset_tEEE10hipError_tPvRmT1_PNSt15iterator_traitsIS12_E10value_typeET2_T3_PNS13_IS18_E10value_typeET4_jRbjT5_S1E_jjP12ihipStream_tbEUljE_ZNSN_ISO_Lb1ESQ_SR_ST_SU_SY_EESZ_S10_S11_S12_S16_S17_S18_S1B_S1C_jS1D_jS1E_S1E_jjS1G_bEUljE0_EEESZ_S10_S11_S18_S1C_S1E_T6_T7_T9_mT8_S1G_bDpT10_ENKUlT_T0_E_clISt17integral_constantIbLb1EES1T_IbLb0EEEEDaS1P_S1Q_EUlS1P_E_NS1_11comp_targetILNS1_3genE9ELNS1_11target_archE1100ELNS1_3gpuE3ELNS1_3repE0EEENS1_30default_config_static_selectorELNS0_4arch9wavefront6targetE0EEEvS12_
    .private_segment_fixed_size: 0
    .sgpr_count:     0
    .sgpr_spill_count: 0
    .symbol:         _ZN7rocprim17ROCPRIM_400000_NS6detail17trampoline_kernelINS0_13select_configILj256ELj13ELNS0_17block_load_methodE3ELS4_3ELS4_3ELNS0_20block_scan_algorithmE0ELj4294967295EEENS1_25partition_config_selectorILNS1_17partition_subalgoE4EjNS0_10empty_typeEbEEZZNS1_14partition_implILS8_4ELb0ES6_15HIP_vector_typeIjLj2EENS0_17counting_iteratorIjlEEPS9_SG_NS0_5tupleIJPjSI_NS0_16reverse_iteratorISI_EEEEENSH_IJSG_SG_SG_EEES9_SI_JZNS1_25segmented_radix_sort_implINS0_14default_configELb1EPKdPdPKlPlN2at6native12_GLOBAL__N_18offset_tEEE10hipError_tPvRmT1_PNSt15iterator_traitsIS12_E10value_typeET2_T3_PNS13_IS18_E10value_typeET4_jRbjT5_S1E_jjP12ihipStream_tbEUljE_ZNSN_ISO_Lb1ESQ_SR_ST_SU_SY_EESZ_S10_S11_S12_S16_S17_S18_S1B_S1C_jS1D_jS1E_S1E_jjS1G_bEUljE0_EEESZ_S10_S11_S18_S1C_S1E_T6_T7_T9_mT8_S1G_bDpT10_ENKUlT_T0_E_clISt17integral_constantIbLb1EES1T_IbLb0EEEEDaS1P_S1Q_EUlS1P_E_NS1_11comp_targetILNS1_3genE9ELNS1_11target_archE1100ELNS1_3gpuE3ELNS1_3repE0EEENS1_30default_config_static_selectorELNS0_4arch9wavefront6targetE0EEEvS12_.kd
    .uniform_work_group_size: 1
    .uses_dynamic_stack: false
    .vgpr_count:     0
    .vgpr_spill_count: 0
    .wavefront_size: 32
    .workgroup_processor_mode: 1
  - .args:
      - .offset:         0
        .size:           176
        .value_kind:     by_value
    .group_segment_fixed_size: 0
    .kernarg_segment_align: 8
    .kernarg_segment_size: 176
    .language:       OpenCL C
    .language_version:
      - 2
      - 0
    .max_flat_workgroup_size: 256
    .name:           _ZN7rocprim17ROCPRIM_400000_NS6detail17trampoline_kernelINS0_13select_configILj256ELj13ELNS0_17block_load_methodE3ELS4_3ELS4_3ELNS0_20block_scan_algorithmE0ELj4294967295EEENS1_25partition_config_selectorILNS1_17partition_subalgoE4EjNS0_10empty_typeEbEEZZNS1_14partition_implILS8_4ELb0ES6_15HIP_vector_typeIjLj2EENS0_17counting_iteratorIjlEEPS9_SG_NS0_5tupleIJPjSI_NS0_16reverse_iteratorISI_EEEEENSH_IJSG_SG_SG_EEES9_SI_JZNS1_25segmented_radix_sort_implINS0_14default_configELb1EPKdPdPKlPlN2at6native12_GLOBAL__N_18offset_tEEE10hipError_tPvRmT1_PNSt15iterator_traitsIS12_E10value_typeET2_T3_PNS13_IS18_E10value_typeET4_jRbjT5_S1E_jjP12ihipStream_tbEUljE_ZNSN_ISO_Lb1ESQ_SR_ST_SU_SY_EESZ_S10_S11_S12_S16_S17_S18_S1B_S1C_jS1D_jS1E_S1E_jjS1G_bEUljE0_EEESZ_S10_S11_S18_S1C_S1E_T6_T7_T9_mT8_S1G_bDpT10_ENKUlT_T0_E_clISt17integral_constantIbLb1EES1T_IbLb0EEEEDaS1P_S1Q_EUlS1P_E_NS1_11comp_targetILNS1_3genE8ELNS1_11target_archE1030ELNS1_3gpuE2ELNS1_3repE0EEENS1_30default_config_static_selectorELNS0_4arch9wavefront6targetE0EEEvS12_
    .private_segment_fixed_size: 0
    .sgpr_count:     0
    .sgpr_spill_count: 0
    .symbol:         _ZN7rocprim17ROCPRIM_400000_NS6detail17trampoline_kernelINS0_13select_configILj256ELj13ELNS0_17block_load_methodE3ELS4_3ELS4_3ELNS0_20block_scan_algorithmE0ELj4294967295EEENS1_25partition_config_selectorILNS1_17partition_subalgoE4EjNS0_10empty_typeEbEEZZNS1_14partition_implILS8_4ELb0ES6_15HIP_vector_typeIjLj2EENS0_17counting_iteratorIjlEEPS9_SG_NS0_5tupleIJPjSI_NS0_16reverse_iteratorISI_EEEEENSH_IJSG_SG_SG_EEES9_SI_JZNS1_25segmented_radix_sort_implINS0_14default_configELb1EPKdPdPKlPlN2at6native12_GLOBAL__N_18offset_tEEE10hipError_tPvRmT1_PNSt15iterator_traitsIS12_E10value_typeET2_T3_PNS13_IS18_E10value_typeET4_jRbjT5_S1E_jjP12ihipStream_tbEUljE_ZNSN_ISO_Lb1ESQ_SR_ST_SU_SY_EESZ_S10_S11_S12_S16_S17_S18_S1B_S1C_jS1D_jS1E_S1E_jjS1G_bEUljE0_EEESZ_S10_S11_S18_S1C_S1E_T6_T7_T9_mT8_S1G_bDpT10_ENKUlT_T0_E_clISt17integral_constantIbLb1EES1T_IbLb0EEEEDaS1P_S1Q_EUlS1P_E_NS1_11comp_targetILNS1_3genE8ELNS1_11target_archE1030ELNS1_3gpuE2ELNS1_3repE0EEENS1_30default_config_static_selectorELNS0_4arch9wavefront6targetE0EEEvS12_.kd
    .uniform_work_group_size: 1
    .uses_dynamic_stack: false
    .vgpr_count:     0
    .vgpr_spill_count: 0
    .wavefront_size: 32
    .workgroup_processor_mode: 1
  - .args:
      - .offset:         0
        .size:           184
        .value_kind:     by_value
    .group_segment_fixed_size: 0
    .kernarg_segment_align: 8
    .kernarg_segment_size: 184
    .language:       OpenCL C
    .language_version:
      - 2
      - 0
    .max_flat_workgroup_size: 256
    .name:           _ZN7rocprim17ROCPRIM_400000_NS6detail17trampoline_kernelINS0_13select_configILj256ELj13ELNS0_17block_load_methodE3ELS4_3ELS4_3ELNS0_20block_scan_algorithmE0ELj4294967295EEENS1_25partition_config_selectorILNS1_17partition_subalgoE4EjNS0_10empty_typeEbEEZZNS1_14partition_implILS8_4ELb0ES6_15HIP_vector_typeIjLj2EENS0_17counting_iteratorIjlEEPS9_SG_NS0_5tupleIJPjSI_NS0_16reverse_iteratorISI_EEEEENSH_IJSG_SG_SG_EEES9_SI_JZNS1_25segmented_radix_sort_implINS0_14default_configELb1EPKdPdPKlPlN2at6native12_GLOBAL__N_18offset_tEEE10hipError_tPvRmT1_PNSt15iterator_traitsIS12_E10value_typeET2_T3_PNS13_IS18_E10value_typeET4_jRbjT5_S1E_jjP12ihipStream_tbEUljE_ZNSN_ISO_Lb1ESQ_SR_ST_SU_SY_EESZ_S10_S11_S12_S16_S17_S18_S1B_S1C_jS1D_jS1E_S1E_jjS1G_bEUljE0_EEESZ_S10_S11_S18_S1C_S1E_T6_T7_T9_mT8_S1G_bDpT10_ENKUlT_T0_E_clISt17integral_constantIbLb0EES1T_IbLb1EEEEDaS1P_S1Q_EUlS1P_E_NS1_11comp_targetILNS1_3genE0ELNS1_11target_archE4294967295ELNS1_3gpuE0ELNS1_3repE0EEENS1_30default_config_static_selectorELNS0_4arch9wavefront6targetE0EEEvS12_
    .private_segment_fixed_size: 0
    .sgpr_count:     0
    .sgpr_spill_count: 0
    .symbol:         _ZN7rocprim17ROCPRIM_400000_NS6detail17trampoline_kernelINS0_13select_configILj256ELj13ELNS0_17block_load_methodE3ELS4_3ELS4_3ELNS0_20block_scan_algorithmE0ELj4294967295EEENS1_25partition_config_selectorILNS1_17partition_subalgoE4EjNS0_10empty_typeEbEEZZNS1_14partition_implILS8_4ELb0ES6_15HIP_vector_typeIjLj2EENS0_17counting_iteratorIjlEEPS9_SG_NS0_5tupleIJPjSI_NS0_16reverse_iteratorISI_EEEEENSH_IJSG_SG_SG_EEES9_SI_JZNS1_25segmented_radix_sort_implINS0_14default_configELb1EPKdPdPKlPlN2at6native12_GLOBAL__N_18offset_tEEE10hipError_tPvRmT1_PNSt15iterator_traitsIS12_E10value_typeET2_T3_PNS13_IS18_E10value_typeET4_jRbjT5_S1E_jjP12ihipStream_tbEUljE_ZNSN_ISO_Lb1ESQ_SR_ST_SU_SY_EESZ_S10_S11_S12_S16_S17_S18_S1B_S1C_jS1D_jS1E_S1E_jjS1G_bEUljE0_EEESZ_S10_S11_S18_S1C_S1E_T6_T7_T9_mT8_S1G_bDpT10_ENKUlT_T0_E_clISt17integral_constantIbLb0EES1T_IbLb1EEEEDaS1P_S1Q_EUlS1P_E_NS1_11comp_targetILNS1_3genE0ELNS1_11target_archE4294967295ELNS1_3gpuE0ELNS1_3repE0EEENS1_30default_config_static_selectorELNS0_4arch9wavefront6targetE0EEEvS12_.kd
    .uniform_work_group_size: 1
    .uses_dynamic_stack: false
    .vgpr_count:     0
    .vgpr_spill_count: 0
    .wavefront_size: 32
    .workgroup_processor_mode: 1
  - .args:
      - .offset:         0
        .size:           184
        .value_kind:     by_value
    .group_segment_fixed_size: 0
    .kernarg_segment_align: 8
    .kernarg_segment_size: 184
    .language:       OpenCL C
    .language_version:
      - 2
      - 0
    .max_flat_workgroup_size: 256
    .name:           _ZN7rocprim17ROCPRIM_400000_NS6detail17trampoline_kernelINS0_13select_configILj256ELj13ELNS0_17block_load_methodE3ELS4_3ELS4_3ELNS0_20block_scan_algorithmE0ELj4294967295EEENS1_25partition_config_selectorILNS1_17partition_subalgoE4EjNS0_10empty_typeEbEEZZNS1_14partition_implILS8_4ELb0ES6_15HIP_vector_typeIjLj2EENS0_17counting_iteratorIjlEEPS9_SG_NS0_5tupleIJPjSI_NS0_16reverse_iteratorISI_EEEEENSH_IJSG_SG_SG_EEES9_SI_JZNS1_25segmented_radix_sort_implINS0_14default_configELb1EPKdPdPKlPlN2at6native12_GLOBAL__N_18offset_tEEE10hipError_tPvRmT1_PNSt15iterator_traitsIS12_E10value_typeET2_T3_PNS13_IS18_E10value_typeET4_jRbjT5_S1E_jjP12ihipStream_tbEUljE_ZNSN_ISO_Lb1ESQ_SR_ST_SU_SY_EESZ_S10_S11_S12_S16_S17_S18_S1B_S1C_jS1D_jS1E_S1E_jjS1G_bEUljE0_EEESZ_S10_S11_S18_S1C_S1E_T6_T7_T9_mT8_S1G_bDpT10_ENKUlT_T0_E_clISt17integral_constantIbLb0EES1T_IbLb1EEEEDaS1P_S1Q_EUlS1P_E_NS1_11comp_targetILNS1_3genE5ELNS1_11target_archE942ELNS1_3gpuE9ELNS1_3repE0EEENS1_30default_config_static_selectorELNS0_4arch9wavefront6targetE0EEEvS12_
    .private_segment_fixed_size: 0
    .sgpr_count:     0
    .sgpr_spill_count: 0
    .symbol:         _ZN7rocprim17ROCPRIM_400000_NS6detail17trampoline_kernelINS0_13select_configILj256ELj13ELNS0_17block_load_methodE3ELS4_3ELS4_3ELNS0_20block_scan_algorithmE0ELj4294967295EEENS1_25partition_config_selectorILNS1_17partition_subalgoE4EjNS0_10empty_typeEbEEZZNS1_14partition_implILS8_4ELb0ES6_15HIP_vector_typeIjLj2EENS0_17counting_iteratorIjlEEPS9_SG_NS0_5tupleIJPjSI_NS0_16reverse_iteratorISI_EEEEENSH_IJSG_SG_SG_EEES9_SI_JZNS1_25segmented_radix_sort_implINS0_14default_configELb1EPKdPdPKlPlN2at6native12_GLOBAL__N_18offset_tEEE10hipError_tPvRmT1_PNSt15iterator_traitsIS12_E10value_typeET2_T3_PNS13_IS18_E10value_typeET4_jRbjT5_S1E_jjP12ihipStream_tbEUljE_ZNSN_ISO_Lb1ESQ_SR_ST_SU_SY_EESZ_S10_S11_S12_S16_S17_S18_S1B_S1C_jS1D_jS1E_S1E_jjS1G_bEUljE0_EEESZ_S10_S11_S18_S1C_S1E_T6_T7_T9_mT8_S1G_bDpT10_ENKUlT_T0_E_clISt17integral_constantIbLb0EES1T_IbLb1EEEEDaS1P_S1Q_EUlS1P_E_NS1_11comp_targetILNS1_3genE5ELNS1_11target_archE942ELNS1_3gpuE9ELNS1_3repE0EEENS1_30default_config_static_selectorELNS0_4arch9wavefront6targetE0EEEvS12_.kd
    .uniform_work_group_size: 1
    .uses_dynamic_stack: false
    .vgpr_count:     0
    .vgpr_spill_count: 0
    .wavefront_size: 32
    .workgroup_processor_mode: 1
  - .args:
      - .offset:         0
        .size:           184
        .value_kind:     by_value
    .group_segment_fixed_size: 0
    .kernarg_segment_align: 8
    .kernarg_segment_size: 184
    .language:       OpenCL C
    .language_version:
      - 2
      - 0
    .max_flat_workgroup_size: 256
    .name:           _ZN7rocprim17ROCPRIM_400000_NS6detail17trampoline_kernelINS0_13select_configILj256ELj13ELNS0_17block_load_methodE3ELS4_3ELS4_3ELNS0_20block_scan_algorithmE0ELj4294967295EEENS1_25partition_config_selectorILNS1_17partition_subalgoE4EjNS0_10empty_typeEbEEZZNS1_14partition_implILS8_4ELb0ES6_15HIP_vector_typeIjLj2EENS0_17counting_iteratorIjlEEPS9_SG_NS0_5tupleIJPjSI_NS0_16reverse_iteratorISI_EEEEENSH_IJSG_SG_SG_EEES9_SI_JZNS1_25segmented_radix_sort_implINS0_14default_configELb1EPKdPdPKlPlN2at6native12_GLOBAL__N_18offset_tEEE10hipError_tPvRmT1_PNSt15iterator_traitsIS12_E10value_typeET2_T3_PNS13_IS18_E10value_typeET4_jRbjT5_S1E_jjP12ihipStream_tbEUljE_ZNSN_ISO_Lb1ESQ_SR_ST_SU_SY_EESZ_S10_S11_S12_S16_S17_S18_S1B_S1C_jS1D_jS1E_S1E_jjS1G_bEUljE0_EEESZ_S10_S11_S18_S1C_S1E_T6_T7_T9_mT8_S1G_bDpT10_ENKUlT_T0_E_clISt17integral_constantIbLb0EES1T_IbLb1EEEEDaS1P_S1Q_EUlS1P_E_NS1_11comp_targetILNS1_3genE4ELNS1_11target_archE910ELNS1_3gpuE8ELNS1_3repE0EEENS1_30default_config_static_selectorELNS0_4arch9wavefront6targetE0EEEvS12_
    .private_segment_fixed_size: 0
    .sgpr_count:     0
    .sgpr_spill_count: 0
    .symbol:         _ZN7rocprim17ROCPRIM_400000_NS6detail17trampoline_kernelINS0_13select_configILj256ELj13ELNS0_17block_load_methodE3ELS4_3ELS4_3ELNS0_20block_scan_algorithmE0ELj4294967295EEENS1_25partition_config_selectorILNS1_17partition_subalgoE4EjNS0_10empty_typeEbEEZZNS1_14partition_implILS8_4ELb0ES6_15HIP_vector_typeIjLj2EENS0_17counting_iteratorIjlEEPS9_SG_NS0_5tupleIJPjSI_NS0_16reverse_iteratorISI_EEEEENSH_IJSG_SG_SG_EEES9_SI_JZNS1_25segmented_radix_sort_implINS0_14default_configELb1EPKdPdPKlPlN2at6native12_GLOBAL__N_18offset_tEEE10hipError_tPvRmT1_PNSt15iterator_traitsIS12_E10value_typeET2_T3_PNS13_IS18_E10value_typeET4_jRbjT5_S1E_jjP12ihipStream_tbEUljE_ZNSN_ISO_Lb1ESQ_SR_ST_SU_SY_EESZ_S10_S11_S12_S16_S17_S18_S1B_S1C_jS1D_jS1E_S1E_jjS1G_bEUljE0_EEESZ_S10_S11_S18_S1C_S1E_T6_T7_T9_mT8_S1G_bDpT10_ENKUlT_T0_E_clISt17integral_constantIbLb0EES1T_IbLb1EEEEDaS1P_S1Q_EUlS1P_E_NS1_11comp_targetILNS1_3genE4ELNS1_11target_archE910ELNS1_3gpuE8ELNS1_3repE0EEENS1_30default_config_static_selectorELNS0_4arch9wavefront6targetE0EEEvS12_.kd
    .uniform_work_group_size: 1
    .uses_dynamic_stack: false
    .vgpr_count:     0
    .vgpr_spill_count: 0
    .wavefront_size: 32
    .workgroup_processor_mode: 1
  - .args:
      - .offset:         0
        .size:           184
        .value_kind:     by_value
    .group_segment_fixed_size: 0
    .kernarg_segment_align: 8
    .kernarg_segment_size: 184
    .language:       OpenCL C
    .language_version:
      - 2
      - 0
    .max_flat_workgroup_size: 256
    .name:           _ZN7rocprim17ROCPRIM_400000_NS6detail17trampoline_kernelINS0_13select_configILj256ELj13ELNS0_17block_load_methodE3ELS4_3ELS4_3ELNS0_20block_scan_algorithmE0ELj4294967295EEENS1_25partition_config_selectorILNS1_17partition_subalgoE4EjNS0_10empty_typeEbEEZZNS1_14partition_implILS8_4ELb0ES6_15HIP_vector_typeIjLj2EENS0_17counting_iteratorIjlEEPS9_SG_NS0_5tupleIJPjSI_NS0_16reverse_iteratorISI_EEEEENSH_IJSG_SG_SG_EEES9_SI_JZNS1_25segmented_radix_sort_implINS0_14default_configELb1EPKdPdPKlPlN2at6native12_GLOBAL__N_18offset_tEEE10hipError_tPvRmT1_PNSt15iterator_traitsIS12_E10value_typeET2_T3_PNS13_IS18_E10value_typeET4_jRbjT5_S1E_jjP12ihipStream_tbEUljE_ZNSN_ISO_Lb1ESQ_SR_ST_SU_SY_EESZ_S10_S11_S12_S16_S17_S18_S1B_S1C_jS1D_jS1E_S1E_jjS1G_bEUljE0_EEESZ_S10_S11_S18_S1C_S1E_T6_T7_T9_mT8_S1G_bDpT10_ENKUlT_T0_E_clISt17integral_constantIbLb0EES1T_IbLb1EEEEDaS1P_S1Q_EUlS1P_E_NS1_11comp_targetILNS1_3genE3ELNS1_11target_archE908ELNS1_3gpuE7ELNS1_3repE0EEENS1_30default_config_static_selectorELNS0_4arch9wavefront6targetE0EEEvS12_
    .private_segment_fixed_size: 0
    .sgpr_count:     0
    .sgpr_spill_count: 0
    .symbol:         _ZN7rocprim17ROCPRIM_400000_NS6detail17trampoline_kernelINS0_13select_configILj256ELj13ELNS0_17block_load_methodE3ELS4_3ELS4_3ELNS0_20block_scan_algorithmE0ELj4294967295EEENS1_25partition_config_selectorILNS1_17partition_subalgoE4EjNS0_10empty_typeEbEEZZNS1_14partition_implILS8_4ELb0ES6_15HIP_vector_typeIjLj2EENS0_17counting_iteratorIjlEEPS9_SG_NS0_5tupleIJPjSI_NS0_16reverse_iteratorISI_EEEEENSH_IJSG_SG_SG_EEES9_SI_JZNS1_25segmented_radix_sort_implINS0_14default_configELb1EPKdPdPKlPlN2at6native12_GLOBAL__N_18offset_tEEE10hipError_tPvRmT1_PNSt15iterator_traitsIS12_E10value_typeET2_T3_PNS13_IS18_E10value_typeET4_jRbjT5_S1E_jjP12ihipStream_tbEUljE_ZNSN_ISO_Lb1ESQ_SR_ST_SU_SY_EESZ_S10_S11_S12_S16_S17_S18_S1B_S1C_jS1D_jS1E_S1E_jjS1G_bEUljE0_EEESZ_S10_S11_S18_S1C_S1E_T6_T7_T9_mT8_S1G_bDpT10_ENKUlT_T0_E_clISt17integral_constantIbLb0EES1T_IbLb1EEEEDaS1P_S1Q_EUlS1P_E_NS1_11comp_targetILNS1_3genE3ELNS1_11target_archE908ELNS1_3gpuE7ELNS1_3repE0EEENS1_30default_config_static_selectorELNS0_4arch9wavefront6targetE0EEEvS12_.kd
    .uniform_work_group_size: 1
    .uses_dynamic_stack: false
    .vgpr_count:     0
    .vgpr_spill_count: 0
    .wavefront_size: 32
    .workgroup_processor_mode: 1
  - .args:
      - .offset:         0
        .size:           184
        .value_kind:     by_value
    .group_segment_fixed_size: 0
    .kernarg_segment_align: 8
    .kernarg_segment_size: 184
    .language:       OpenCL C
    .language_version:
      - 2
      - 0
    .max_flat_workgroup_size: 256
    .name:           _ZN7rocprim17ROCPRIM_400000_NS6detail17trampoline_kernelINS0_13select_configILj256ELj13ELNS0_17block_load_methodE3ELS4_3ELS4_3ELNS0_20block_scan_algorithmE0ELj4294967295EEENS1_25partition_config_selectorILNS1_17partition_subalgoE4EjNS0_10empty_typeEbEEZZNS1_14partition_implILS8_4ELb0ES6_15HIP_vector_typeIjLj2EENS0_17counting_iteratorIjlEEPS9_SG_NS0_5tupleIJPjSI_NS0_16reverse_iteratorISI_EEEEENSH_IJSG_SG_SG_EEES9_SI_JZNS1_25segmented_radix_sort_implINS0_14default_configELb1EPKdPdPKlPlN2at6native12_GLOBAL__N_18offset_tEEE10hipError_tPvRmT1_PNSt15iterator_traitsIS12_E10value_typeET2_T3_PNS13_IS18_E10value_typeET4_jRbjT5_S1E_jjP12ihipStream_tbEUljE_ZNSN_ISO_Lb1ESQ_SR_ST_SU_SY_EESZ_S10_S11_S12_S16_S17_S18_S1B_S1C_jS1D_jS1E_S1E_jjS1G_bEUljE0_EEESZ_S10_S11_S18_S1C_S1E_T6_T7_T9_mT8_S1G_bDpT10_ENKUlT_T0_E_clISt17integral_constantIbLb0EES1T_IbLb1EEEEDaS1P_S1Q_EUlS1P_E_NS1_11comp_targetILNS1_3genE2ELNS1_11target_archE906ELNS1_3gpuE6ELNS1_3repE0EEENS1_30default_config_static_selectorELNS0_4arch9wavefront6targetE0EEEvS12_
    .private_segment_fixed_size: 0
    .sgpr_count:     0
    .sgpr_spill_count: 0
    .symbol:         _ZN7rocprim17ROCPRIM_400000_NS6detail17trampoline_kernelINS0_13select_configILj256ELj13ELNS0_17block_load_methodE3ELS4_3ELS4_3ELNS0_20block_scan_algorithmE0ELj4294967295EEENS1_25partition_config_selectorILNS1_17partition_subalgoE4EjNS0_10empty_typeEbEEZZNS1_14partition_implILS8_4ELb0ES6_15HIP_vector_typeIjLj2EENS0_17counting_iteratorIjlEEPS9_SG_NS0_5tupleIJPjSI_NS0_16reverse_iteratorISI_EEEEENSH_IJSG_SG_SG_EEES9_SI_JZNS1_25segmented_radix_sort_implINS0_14default_configELb1EPKdPdPKlPlN2at6native12_GLOBAL__N_18offset_tEEE10hipError_tPvRmT1_PNSt15iterator_traitsIS12_E10value_typeET2_T3_PNS13_IS18_E10value_typeET4_jRbjT5_S1E_jjP12ihipStream_tbEUljE_ZNSN_ISO_Lb1ESQ_SR_ST_SU_SY_EESZ_S10_S11_S12_S16_S17_S18_S1B_S1C_jS1D_jS1E_S1E_jjS1G_bEUljE0_EEESZ_S10_S11_S18_S1C_S1E_T6_T7_T9_mT8_S1G_bDpT10_ENKUlT_T0_E_clISt17integral_constantIbLb0EES1T_IbLb1EEEEDaS1P_S1Q_EUlS1P_E_NS1_11comp_targetILNS1_3genE2ELNS1_11target_archE906ELNS1_3gpuE6ELNS1_3repE0EEENS1_30default_config_static_selectorELNS0_4arch9wavefront6targetE0EEEvS12_.kd
    .uniform_work_group_size: 1
    .uses_dynamic_stack: false
    .vgpr_count:     0
    .vgpr_spill_count: 0
    .wavefront_size: 32
    .workgroup_processor_mode: 1
  - .args:
      - .offset:         0
        .size:           184
        .value_kind:     by_value
    .group_segment_fixed_size: 0
    .kernarg_segment_align: 8
    .kernarg_segment_size: 184
    .language:       OpenCL C
    .language_version:
      - 2
      - 0
    .max_flat_workgroup_size: 256
    .name:           _ZN7rocprim17ROCPRIM_400000_NS6detail17trampoline_kernelINS0_13select_configILj256ELj13ELNS0_17block_load_methodE3ELS4_3ELS4_3ELNS0_20block_scan_algorithmE0ELj4294967295EEENS1_25partition_config_selectorILNS1_17partition_subalgoE4EjNS0_10empty_typeEbEEZZNS1_14partition_implILS8_4ELb0ES6_15HIP_vector_typeIjLj2EENS0_17counting_iteratorIjlEEPS9_SG_NS0_5tupleIJPjSI_NS0_16reverse_iteratorISI_EEEEENSH_IJSG_SG_SG_EEES9_SI_JZNS1_25segmented_radix_sort_implINS0_14default_configELb1EPKdPdPKlPlN2at6native12_GLOBAL__N_18offset_tEEE10hipError_tPvRmT1_PNSt15iterator_traitsIS12_E10value_typeET2_T3_PNS13_IS18_E10value_typeET4_jRbjT5_S1E_jjP12ihipStream_tbEUljE_ZNSN_ISO_Lb1ESQ_SR_ST_SU_SY_EESZ_S10_S11_S12_S16_S17_S18_S1B_S1C_jS1D_jS1E_S1E_jjS1G_bEUljE0_EEESZ_S10_S11_S18_S1C_S1E_T6_T7_T9_mT8_S1G_bDpT10_ENKUlT_T0_E_clISt17integral_constantIbLb0EES1T_IbLb1EEEEDaS1P_S1Q_EUlS1P_E_NS1_11comp_targetILNS1_3genE10ELNS1_11target_archE1200ELNS1_3gpuE4ELNS1_3repE0EEENS1_30default_config_static_selectorELNS0_4arch9wavefront6targetE0EEEvS12_
    .private_segment_fixed_size: 0
    .sgpr_count:     0
    .sgpr_spill_count: 0
    .symbol:         _ZN7rocprim17ROCPRIM_400000_NS6detail17trampoline_kernelINS0_13select_configILj256ELj13ELNS0_17block_load_methodE3ELS4_3ELS4_3ELNS0_20block_scan_algorithmE0ELj4294967295EEENS1_25partition_config_selectorILNS1_17partition_subalgoE4EjNS0_10empty_typeEbEEZZNS1_14partition_implILS8_4ELb0ES6_15HIP_vector_typeIjLj2EENS0_17counting_iteratorIjlEEPS9_SG_NS0_5tupleIJPjSI_NS0_16reverse_iteratorISI_EEEEENSH_IJSG_SG_SG_EEES9_SI_JZNS1_25segmented_radix_sort_implINS0_14default_configELb1EPKdPdPKlPlN2at6native12_GLOBAL__N_18offset_tEEE10hipError_tPvRmT1_PNSt15iterator_traitsIS12_E10value_typeET2_T3_PNS13_IS18_E10value_typeET4_jRbjT5_S1E_jjP12ihipStream_tbEUljE_ZNSN_ISO_Lb1ESQ_SR_ST_SU_SY_EESZ_S10_S11_S12_S16_S17_S18_S1B_S1C_jS1D_jS1E_S1E_jjS1G_bEUljE0_EEESZ_S10_S11_S18_S1C_S1E_T6_T7_T9_mT8_S1G_bDpT10_ENKUlT_T0_E_clISt17integral_constantIbLb0EES1T_IbLb1EEEEDaS1P_S1Q_EUlS1P_E_NS1_11comp_targetILNS1_3genE10ELNS1_11target_archE1200ELNS1_3gpuE4ELNS1_3repE0EEENS1_30default_config_static_selectorELNS0_4arch9wavefront6targetE0EEEvS12_.kd
    .uniform_work_group_size: 1
    .uses_dynamic_stack: false
    .vgpr_count:     0
    .vgpr_spill_count: 0
    .wavefront_size: 32
    .workgroup_processor_mode: 1
  - .args:
      - .offset:         0
        .size:           184
        .value_kind:     by_value
    .group_segment_fixed_size: 0
    .kernarg_segment_align: 8
    .kernarg_segment_size: 184
    .language:       OpenCL C
    .language_version:
      - 2
      - 0
    .max_flat_workgroup_size: 256
    .name:           _ZN7rocprim17ROCPRIM_400000_NS6detail17trampoline_kernelINS0_13select_configILj256ELj13ELNS0_17block_load_methodE3ELS4_3ELS4_3ELNS0_20block_scan_algorithmE0ELj4294967295EEENS1_25partition_config_selectorILNS1_17partition_subalgoE4EjNS0_10empty_typeEbEEZZNS1_14partition_implILS8_4ELb0ES6_15HIP_vector_typeIjLj2EENS0_17counting_iteratorIjlEEPS9_SG_NS0_5tupleIJPjSI_NS0_16reverse_iteratorISI_EEEEENSH_IJSG_SG_SG_EEES9_SI_JZNS1_25segmented_radix_sort_implINS0_14default_configELb1EPKdPdPKlPlN2at6native12_GLOBAL__N_18offset_tEEE10hipError_tPvRmT1_PNSt15iterator_traitsIS12_E10value_typeET2_T3_PNS13_IS18_E10value_typeET4_jRbjT5_S1E_jjP12ihipStream_tbEUljE_ZNSN_ISO_Lb1ESQ_SR_ST_SU_SY_EESZ_S10_S11_S12_S16_S17_S18_S1B_S1C_jS1D_jS1E_S1E_jjS1G_bEUljE0_EEESZ_S10_S11_S18_S1C_S1E_T6_T7_T9_mT8_S1G_bDpT10_ENKUlT_T0_E_clISt17integral_constantIbLb0EES1T_IbLb1EEEEDaS1P_S1Q_EUlS1P_E_NS1_11comp_targetILNS1_3genE9ELNS1_11target_archE1100ELNS1_3gpuE3ELNS1_3repE0EEENS1_30default_config_static_selectorELNS0_4arch9wavefront6targetE0EEEvS12_
    .private_segment_fixed_size: 0
    .sgpr_count:     0
    .sgpr_spill_count: 0
    .symbol:         _ZN7rocprim17ROCPRIM_400000_NS6detail17trampoline_kernelINS0_13select_configILj256ELj13ELNS0_17block_load_methodE3ELS4_3ELS4_3ELNS0_20block_scan_algorithmE0ELj4294967295EEENS1_25partition_config_selectorILNS1_17partition_subalgoE4EjNS0_10empty_typeEbEEZZNS1_14partition_implILS8_4ELb0ES6_15HIP_vector_typeIjLj2EENS0_17counting_iteratorIjlEEPS9_SG_NS0_5tupleIJPjSI_NS0_16reverse_iteratorISI_EEEEENSH_IJSG_SG_SG_EEES9_SI_JZNS1_25segmented_radix_sort_implINS0_14default_configELb1EPKdPdPKlPlN2at6native12_GLOBAL__N_18offset_tEEE10hipError_tPvRmT1_PNSt15iterator_traitsIS12_E10value_typeET2_T3_PNS13_IS18_E10value_typeET4_jRbjT5_S1E_jjP12ihipStream_tbEUljE_ZNSN_ISO_Lb1ESQ_SR_ST_SU_SY_EESZ_S10_S11_S12_S16_S17_S18_S1B_S1C_jS1D_jS1E_S1E_jjS1G_bEUljE0_EEESZ_S10_S11_S18_S1C_S1E_T6_T7_T9_mT8_S1G_bDpT10_ENKUlT_T0_E_clISt17integral_constantIbLb0EES1T_IbLb1EEEEDaS1P_S1Q_EUlS1P_E_NS1_11comp_targetILNS1_3genE9ELNS1_11target_archE1100ELNS1_3gpuE3ELNS1_3repE0EEENS1_30default_config_static_selectorELNS0_4arch9wavefront6targetE0EEEvS12_.kd
    .uniform_work_group_size: 1
    .uses_dynamic_stack: false
    .vgpr_count:     0
    .vgpr_spill_count: 0
    .wavefront_size: 32
    .workgroup_processor_mode: 1
  - .args:
      - .offset:         0
        .size:           184
        .value_kind:     by_value
    .group_segment_fixed_size: 13328
    .kernarg_segment_align: 8
    .kernarg_segment_size: 184
    .language:       OpenCL C
    .language_version:
      - 2
      - 0
    .max_flat_workgroup_size: 256
    .name:           _ZN7rocprim17ROCPRIM_400000_NS6detail17trampoline_kernelINS0_13select_configILj256ELj13ELNS0_17block_load_methodE3ELS4_3ELS4_3ELNS0_20block_scan_algorithmE0ELj4294967295EEENS1_25partition_config_selectorILNS1_17partition_subalgoE4EjNS0_10empty_typeEbEEZZNS1_14partition_implILS8_4ELb0ES6_15HIP_vector_typeIjLj2EENS0_17counting_iteratorIjlEEPS9_SG_NS0_5tupleIJPjSI_NS0_16reverse_iteratorISI_EEEEENSH_IJSG_SG_SG_EEES9_SI_JZNS1_25segmented_radix_sort_implINS0_14default_configELb1EPKdPdPKlPlN2at6native12_GLOBAL__N_18offset_tEEE10hipError_tPvRmT1_PNSt15iterator_traitsIS12_E10value_typeET2_T3_PNS13_IS18_E10value_typeET4_jRbjT5_S1E_jjP12ihipStream_tbEUljE_ZNSN_ISO_Lb1ESQ_SR_ST_SU_SY_EESZ_S10_S11_S12_S16_S17_S18_S1B_S1C_jS1D_jS1E_S1E_jjS1G_bEUljE0_EEESZ_S10_S11_S18_S1C_S1E_T6_T7_T9_mT8_S1G_bDpT10_ENKUlT_T0_E_clISt17integral_constantIbLb0EES1T_IbLb1EEEEDaS1P_S1Q_EUlS1P_E_NS1_11comp_targetILNS1_3genE8ELNS1_11target_archE1030ELNS1_3gpuE2ELNS1_3repE0EEENS1_30default_config_static_selectorELNS0_4arch9wavefront6targetE0EEEvS12_
    .private_segment_fixed_size: 0
    .sgpr_count:     57
    .sgpr_spill_count: 0
    .symbol:         _ZN7rocprim17ROCPRIM_400000_NS6detail17trampoline_kernelINS0_13select_configILj256ELj13ELNS0_17block_load_methodE3ELS4_3ELS4_3ELNS0_20block_scan_algorithmE0ELj4294967295EEENS1_25partition_config_selectorILNS1_17partition_subalgoE4EjNS0_10empty_typeEbEEZZNS1_14partition_implILS8_4ELb0ES6_15HIP_vector_typeIjLj2EENS0_17counting_iteratorIjlEEPS9_SG_NS0_5tupleIJPjSI_NS0_16reverse_iteratorISI_EEEEENSH_IJSG_SG_SG_EEES9_SI_JZNS1_25segmented_radix_sort_implINS0_14default_configELb1EPKdPdPKlPlN2at6native12_GLOBAL__N_18offset_tEEE10hipError_tPvRmT1_PNSt15iterator_traitsIS12_E10value_typeET2_T3_PNS13_IS18_E10value_typeET4_jRbjT5_S1E_jjP12ihipStream_tbEUljE_ZNSN_ISO_Lb1ESQ_SR_ST_SU_SY_EESZ_S10_S11_S12_S16_S17_S18_S1B_S1C_jS1D_jS1E_S1E_jjS1G_bEUljE0_EEESZ_S10_S11_S18_S1C_S1E_T6_T7_T9_mT8_S1G_bDpT10_ENKUlT_T0_E_clISt17integral_constantIbLb0EES1T_IbLb1EEEEDaS1P_S1Q_EUlS1P_E_NS1_11comp_targetILNS1_3genE8ELNS1_11target_archE1030ELNS1_3gpuE2ELNS1_3repE0EEENS1_30default_config_static_selectorELNS0_4arch9wavefront6targetE0EEEvS12_.kd
    .uniform_work_group_size: 1
    .uses_dynamic_stack: false
    .vgpr_count:     87
    .vgpr_spill_count: 0
    .wavefront_size: 32
    .workgroup_processor_mode: 1
  - .args:
      - .offset:         0
        .size:           144
        .value_kind:     by_value
    .group_segment_fixed_size: 0
    .kernarg_segment_align: 8
    .kernarg_segment_size: 144
    .language:       OpenCL C
    .language_version:
      - 2
      - 0
    .max_flat_workgroup_size: 256
    .name:           _ZN7rocprim17ROCPRIM_400000_NS6detail17trampoline_kernelINS0_13select_configILj256ELj13ELNS0_17block_load_methodE3ELS4_3ELS4_3ELNS0_20block_scan_algorithmE0ELj4294967295EEENS1_25partition_config_selectorILNS1_17partition_subalgoE3EjNS0_10empty_typeEbEEZZNS1_14partition_implILS8_3ELb0ES6_jNS0_17counting_iteratorIjlEEPS9_SE_NS0_5tupleIJPjSE_EEENSF_IJSE_SE_EEES9_SG_JZNS1_25segmented_radix_sort_implINS0_14default_configELb1EPKdPdPKlPlN2at6native12_GLOBAL__N_18offset_tEEE10hipError_tPvRmT1_PNSt15iterator_traitsISY_E10value_typeET2_T3_PNSZ_IS14_E10value_typeET4_jRbjT5_S1A_jjP12ihipStream_tbEUljE_EEESV_SW_SX_S14_S18_S1A_T6_T7_T9_mT8_S1C_bDpT10_ENKUlT_T0_E_clISt17integral_constantIbLb0EES1P_EEDaS1K_S1L_EUlS1K_E_NS1_11comp_targetILNS1_3genE0ELNS1_11target_archE4294967295ELNS1_3gpuE0ELNS1_3repE0EEENS1_30default_config_static_selectorELNS0_4arch9wavefront6targetE0EEEvSY_
    .private_segment_fixed_size: 0
    .sgpr_count:     0
    .sgpr_spill_count: 0
    .symbol:         _ZN7rocprim17ROCPRIM_400000_NS6detail17trampoline_kernelINS0_13select_configILj256ELj13ELNS0_17block_load_methodE3ELS4_3ELS4_3ELNS0_20block_scan_algorithmE0ELj4294967295EEENS1_25partition_config_selectorILNS1_17partition_subalgoE3EjNS0_10empty_typeEbEEZZNS1_14partition_implILS8_3ELb0ES6_jNS0_17counting_iteratorIjlEEPS9_SE_NS0_5tupleIJPjSE_EEENSF_IJSE_SE_EEES9_SG_JZNS1_25segmented_radix_sort_implINS0_14default_configELb1EPKdPdPKlPlN2at6native12_GLOBAL__N_18offset_tEEE10hipError_tPvRmT1_PNSt15iterator_traitsISY_E10value_typeET2_T3_PNSZ_IS14_E10value_typeET4_jRbjT5_S1A_jjP12ihipStream_tbEUljE_EEESV_SW_SX_S14_S18_S1A_T6_T7_T9_mT8_S1C_bDpT10_ENKUlT_T0_E_clISt17integral_constantIbLb0EES1P_EEDaS1K_S1L_EUlS1K_E_NS1_11comp_targetILNS1_3genE0ELNS1_11target_archE4294967295ELNS1_3gpuE0ELNS1_3repE0EEENS1_30default_config_static_selectorELNS0_4arch9wavefront6targetE0EEEvSY_.kd
    .uniform_work_group_size: 1
    .uses_dynamic_stack: false
    .vgpr_count:     0
    .vgpr_spill_count: 0
    .wavefront_size: 32
    .workgroup_processor_mode: 1
  - .args:
      - .offset:         0
        .size:           144
        .value_kind:     by_value
    .group_segment_fixed_size: 0
    .kernarg_segment_align: 8
    .kernarg_segment_size: 144
    .language:       OpenCL C
    .language_version:
      - 2
      - 0
    .max_flat_workgroup_size: 256
    .name:           _ZN7rocprim17ROCPRIM_400000_NS6detail17trampoline_kernelINS0_13select_configILj256ELj13ELNS0_17block_load_methodE3ELS4_3ELS4_3ELNS0_20block_scan_algorithmE0ELj4294967295EEENS1_25partition_config_selectorILNS1_17partition_subalgoE3EjNS0_10empty_typeEbEEZZNS1_14partition_implILS8_3ELb0ES6_jNS0_17counting_iteratorIjlEEPS9_SE_NS0_5tupleIJPjSE_EEENSF_IJSE_SE_EEES9_SG_JZNS1_25segmented_radix_sort_implINS0_14default_configELb1EPKdPdPKlPlN2at6native12_GLOBAL__N_18offset_tEEE10hipError_tPvRmT1_PNSt15iterator_traitsISY_E10value_typeET2_T3_PNSZ_IS14_E10value_typeET4_jRbjT5_S1A_jjP12ihipStream_tbEUljE_EEESV_SW_SX_S14_S18_S1A_T6_T7_T9_mT8_S1C_bDpT10_ENKUlT_T0_E_clISt17integral_constantIbLb0EES1P_EEDaS1K_S1L_EUlS1K_E_NS1_11comp_targetILNS1_3genE5ELNS1_11target_archE942ELNS1_3gpuE9ELNS1_3repE0EEENS1_30default_config_static_selectorELNS0_4arch9wavefront6targetE0EEEvSY_
    .private_segment_fixed_size: 0
    .sgpr_count:     0
    .sgpr_spill_count: 0
    .symbol:         _ZN7rocprim17ROCPRIM_400000_NS6detail17trampoline_kernelINS0_13select_configILj256ELj13ELNS0_17block_load_methodE3ELS4_3ELS4_3ELNS0_20block_scan_algorithmE0ELj4294967295EEENS1_25partition_config_selectorILNS1_17partition_subalgoE3EjNS0_10empty_typeEbEEZZNS1_14partition_implILS8_3ELb0ES6_jNS0_17counting_iteratorIjlEEPS9_SE_NS0_5tupleIJPjSE_EEENSF_IJSE_SE_EEES9_SG_JZNS1_25segmented_radix_sort_implINS0_14default_configELb1EPKdPdPKlPlN2at6native12_GLOBAL__N_18offset_tEEE10hipError_tPvRmT1_PNSt15iterator_traitsISY_E10value_typeET2_T3_PNSZ_IS14_E10value_typeET4_jRbjT5_S1A_jjP12ihipStream_tbEUljE_EEESV_SW_SX_S14_S18_S1A_T6_T7_T9_mT8_S1C_bDpT10_ENKUlT_T0_E_clISt17integral_constantIbLb0EES1P_EEDaS1K_S1L_EUlS1K_E_NS1_11comp_targetILNS1_3genE5ELNS1_11target_archE942ELNS1_3gpuE9ELNS1_3repE0EEENS1_30default_config_static_selectorELNS0_4arch9wavefront6targetE0EEEvSY_.kd
    .uniform_work_group_size: 1
    .uses_dynamic_stack: false
    .vgpr_count:     0
    .vgpr_spill_count: 0
    .wavefront_size: 32
    .workgroup_processor_mode: 1
  - .args:
      - .offset:         0
        .size:           144
        .value_kind:     by_value
    .group_segment_fixed_size: 0
    .kernarg_segment_align: 8
    .kernarg_segment_size: 144
    .language:       OpenCL C
    .language_version:
      - 2
      - 0
    .max_flat_workgroup_size: 256
    .name:           _ZN7rocprim17ROCPRIM_400000_NS6detail17trampoline_kernelINS0_13select_configILj256ELj13ELNS0_17block_load_methodE3ELS4_3ELS4_3ELNS0_20block_scan_algorithmE0ELj4294967295EEENS1_25partition_config_selectorILNS1_17partition_subalgoE3EjNS0_10empty_typeEbEEZZNS1_14partition_implILS8_3ELb0ES6_jNS0_17counting_iteratorIjlEEPS9_SE_NS0_5tupleIJPjSE_EEENSF_IJSE_SE_EEES9_SG_JZNS1_25segmented_radix_sort_implINS0_14default_configELb1EPKdPdPKlPlN2at6native12_GLOBAL__N_18offset_tEEE10hipError_tPvRmT1_PNSt15iterator_traitsISY_E10value_typeET2_T3_PNSZ_IS14_E10value_typeET4_jRbjT5_S1A_jjP12ihipStream_tbEUljE_EEESV_SW_SX_S14_S18_S1A_T6_T7_T9_mT8_S1C_bDpT10_ENKUlT_T0_E_clISt17integral_constantIbLb0EES1P_EEDaS1K_S1L_EUlS1K_E_NS1_11comp_targetILNS1_3genE4ELNS1_11target_archE910ELNS1_3gpuE8ELNS1_3repE0EEENS1_30default_config_static_selectorELNS0_4arch9wavefront6targetE0EEEvSY_
    .private_segment_fixed_size: 0
    .sgpr_count:     0
    .sgpr_spill_count: 0
    .symbol:         _ZN7rocprim17ROCPRIM_400000_NS6detail17trampoline_kernelINS0_13select_configILj256ELj13ELNS0_17block_load_methodE3ELS4_3ELS4_3ELNS0_20block_scan_algorithmE0ELj4294967295EEENS1_25partition_config_selectorILNS1_17partition_subalgoE3EjNS0_10empty_typeEbEEZZNS1_14partition_implILS8_3ELb0ES6_jNS0_17counting_iteratorIjlEEPS9_SE_NS0_5tupleIJPjSE_EEENSF_IJSE_SE_EEES9_SG_JZNS1_25segmented_radix_sort_implINS0_14default_configELb1EPKdPdPKlPlN2at6native12_GLOBAL__N_18offset_tEEE10hipError_tPvRmT1_PNSt15iterator_traitsISY_E10value_typeET2_T3_PNSZ_IS14_E10value_typeET4_jRbjT5_S1A_jjP12ihipStream_tbEUljE_EEESV_SW_SX_S14_S18_S1A_T6_T7_T9_mT8_S1C_bDpT10_ENKUlT_T0_E_clISt17integral_constantIbLb0EES1P_EEDaS1K_S1L_EUlS1K_E_NS1_11comp_targetILNS1_3genE4ELNS1_11target_archE910ELNS1_3gpuE8ELNS1_3repE0EEENS1_30default_config_static_selectorELNS0_4arch9wavefront6targetE0EEEvSY_.kd
    .uniform_work_group_size: 1
    .uses_dynamic_stack: false
    .vgpr_count:     0
    .vgpr_spill_count: 0
    .wavefront_size: 32
    .workgroup_processor_mode: 1
  - .args:
      - .offset:         0
        .size:           144
        .value_kind:     by_value
    .group_segment_fixed_size: 0
    .kernarg_segment_align: 8
    .kernarg_segment_size: 144
    .language:       OpenCL C
    .language_version:
      - 2
      - 0
    .max_flat_workgroup_size: 256
    .name:           _ZN7rocprim17ROCPRIM_400000_NS6detail17trampoline_kernelINS0_13select_configILj256ELj13ELNS0_17block_load_methodE3ELS4_3ELS4_3ELNS0_20block_scan_algorithmE0ELj4294967295EEENS1_25partition_config_selectorILNS1_17partition_subalgoE3EjNS0_10empty_typeEbEEZZNS1_14partition_implILS8_3ELb0ES6_jNS0_17counting_iteratorIjlEEPS9_SE_NS0_5tupleIJPjSE_EEENSF_IJSE_SE_EEES9_SG_JZNS1_25segmented_radix_sort_implINS0_14default_configELb1EPKdPdPKlPlN2at6native12_GLOBAL__N_18offset_tEEE10hipError_tPvRmT1_PNSt15iterator_traitsISY_E10value_typeET2_T3_PNSZ_IS14_E10value_typeET4_jRbjT5_S1A_jjP12ihipStream_tbEUljE_EEESV_SW_SX_S14_S18_S1A_T6_T7_T9_mT8_S1C_bDpT10_ENKUlT_T0_E_clISt17integral_constantIbLb0EES1P_EEDaS1K_S1L_EUlS1K_E_NS1_11comp_targetILNS1_3genE3ELNS1_11target_archE908ELNS1_3gpuE7ELNS1_3repE0EEENS1_30default_config_static_selectorELNS0_4arch9wavefront6targetE0EEEvSY_
    .private_segment_fixed_size: 0
    .sgpr_count:     0
    .sgpr_spill_count: 0
    .symbol:         _ZN7rocprim17ROCPRIM_400000_NS6detail17trampoline_kernelINS0_13select_configILj256ELj13ELNS0_17block_load_methodE3ELS4_3ELS4_3ELNS0_20block_scan_algorithmE0ELj4294967295EEENS1_25partition_config_selectorILNS1_17partition_subalgoE3EjNS0_10empty_typeEbEEZZNS1_14partition_implILS8_3ELb0ES6_jNS0_17counting_iteratorIjlEEPS9_SE_NS0_5tupleIJPjSE_EEENSF_IJSE_SE_EEES9_SG_JZNS1_25segmented_radix_sort_implINS0_14default_configELb1EPKdPdPKlPlN2at6native12_GLOBAL__N_18offset_tEEE10hipError_tPvRmT1_PNSt15iterator_traitsISY_E10value_typeET2_T3_PNSZ_IS14_E10value_typeET4_jRbjT5_S1A_jjP12ihipStream_tbEUljE_EEESV_SW_SX_S14_S18_S1A_T6_T7_T9_mT8_S1C_bDpT10_ENKUlT_T0_E_clISt17integral_constantIbLb0EES1P_EEDaS1K_S1L_EUlS1K_E_NS1_11comp_targetILNS1_3genE3ELNS1_11target_archE908ELNS1_3gpuE7ELNS1_3repE0EEENS1_30default_config_static_selectorELNS0_4arch9wavefront6targetE0EEEvSY_.kd
    .uniform_work_group_size: 1
    .uses_dynamic_stack: false
    .vgpr_count:     0
    .vgpr_spill_count: 0
    .wavefront_size: 32
    .workgroup_processor_mode: 1
  - .args:
      - .offset:         0
        .size:           144
        .value_kind:     by_value
    .group_segment_fixed_size: 0
    .kernarg_segment_align: 8
    .kernarg_segment_size: 144
    .language:       OpenCL C
    .language_version:
      - 2
      - 0
    .max_flat_workgroup_size: 256
    .name:           _ZN7rocprim17ROCPRIM_400000_NS6detail17trampoline_kernelINS0_13select_configILj256ELj13ELNS0_17block_load_methodE3ELS4_3ELS4_3ELNS0_20block_scan_algorithmE0ELj4294967295EEENS1_25partition_config_selectorILNS1_17partition_subalgoE3EjNS0_10empty_typeEbEEZZNS1_14partition_implILS8_3ELb0ES6_jNS0_17counting_iteratorIjlEEPS9_SE_NS0_5tupleIJPjSE_EEENSF_IJSE_SE_EEES9_SG_JZNS1_25segmented_radix_sort_implINS0_14default_configELb1EPKdPdPKlPlN2at6native12_GLOBAL__N_18offset_tEEE10hipError_tPvRmT1_PNSt15iterator_traitsISY_E10value_typeET2_T3_PNSZ_IS14_E10value_typeET4_jRbjT5_S1A_jjP12ihipStream_tbEUljE_EEESV_SW_SX_S14_S18_S1A_T6_T7_T9_mT8_S1C_bDpT10_ENKUlT_T0_E_clISt17integral_constantIbLb0EES1P_EEDaS1K_S1L_EUlS1K_E_NS1_11comp_targetILNS1_3genE2ELNS1_11target_archE906ELNS1_3gpuE6ELNS1_3repE0EEENS1_30default_config_static_selectorELNS0_4arch9wavefront6targetE0EEEvSY_
    .private_segment_fixed_size: 0
    .sgpr_count:     0
    .sgpr_spill_count: 0
    .symbol:         _ZN7rocprim17ROCPRIM_400000_NS6detail17trampoline_kernelINS0_13select_configILj256ELj13ELNS0_17block_load_methodE3ELS4_3ELS4_3ELNS0_20block_scan_algorithmE0ELj4294967295EEENS1_25partition_config_selectorILNS1_17partition_subalgoE3EjNS0_10empty_typeEbEEZZNS1_14partition_implILS8_3ELb0ES6_jNS0_17counting_iteratorIjlEEPS9_SE_NS0_5tupleIJPjSE_EEENSF_IJSE_SE_EEES9_SG_JZNS1_25segmented_radix_sort_implINS0_14default_configELb1EPKdPdPKlPlN2at6native12_GLOBAL__N_18offset_tEEE10hipError_tPvRmT1_PNSt15iterator_traitsISY_E10value_typeET2_T3_PNSZ_IS14_E10value_typeET4_jRbjT5_S1A_jjP12ihipStream_tbEUljE_EEESV_SW_SX_S14_S18_S1A_T6_T7_T9_mT8_S1C_bDpT10_ENKUlT_T0_E_clISt17integral_constantIbLb0EES1P_EEDaS1K_S1L_EUlS1K_E_NS1_11comp_targetILNS1_3genE2ELNS1_11target_archE906ELNS1_3gpuE6ELNS1_3repE0EEENS1_30default_config_static_selectorELNS0_4arch9wavefront6targetE0EEEvSY_.kd
    .uniform_work_group_size: 1
    .uses_dynamic_stack: false
    .vgpr_count:     0
    .vgpr_spill_count: 0
    .wavefront_size: 32
    .workgroup_processor_mode: 1
  - .args:
      - .offset:         0
        .size:           144
        .value_kind:     by_value
    .group_segment_fixed_size: 0
    .kernarg_segment_align: 8
    .kernarg_segment_size: 144
    .language:       OpenCL C
    .language_version:
      - 2
      - 0
    .max_flat_workgroup_size: 256
    .name:           _ZN7rocprim17ROCPRIM_400000_NS6detail17trampoline_kernelINS0_13select_configILj256ELj13ELNS0_17block_load_methodE3ELS4_3ELS4_3ELNS0_20block_scan_algorithmE0ELj4294967295EEENS1_25partition_config_selectorILNS1_17partition_subalgoE3EjNS0_10empty_typeEbEEZZNS1_14partition_implILS8_3ELb0ES6_jNS0_17counting_iteratorIjlEEPS9_SE_NS0_5tupleIJPjSE_EEENSF_IJSE_SE_EEES9_SG_JZNS1_25segmented_radix_sort_implINS0_14default_configELb1EPKdPdPKlPlN2at6native12_GLOBAL__N_18offset_tEEE10hipError_tPvRmT1_PNSt15iterator_traitsISY_E10value_typeET2_T3_PNSZ_IS14_E10value_typeET4_jRbjT5_S1A_jjP12ihipStream_tbEUljE_EEESV_SW_SX_S14_S18_S1A_T6_T7_T9_mT8_S1C_bDpT10_ENKUlT_T0_E_clISt17integral_constantIbLb0EES1P_EEDaS1K_S1L_EUlS1K_E_NS1_11comp_targetILNS1_3genE10ELNS1_11target_archE1200ELNS1_3gpuE4ELNS1_3repE0EEENS1_30default_config_static_selectorELNS0_4arch9wavefront6targetE0EEEvSY_
    .private_segment_fixed_size: 0
    .sgpr_count:     0
    .sgpr_spill_count: 0
    .symbol:         _ZN7rocprim17ROCPRIM_400000_NS6detail17trampoline_kernelINS0_13select_configILj256ELj13ELNS0_17block_load_methodE3ELS4_3ELS4_3ELNS0_20block_scan_algorithmE0ELj4294967295EEENS1_25partition_config_selectorILNS1_17partition_subalgoE3EjNS0_10empty_typeEbEEZZNS1_14partition_implILS8_3ELb0ES6_jNS0_17counting_iteratorIjlEEPS9_SE_NS0_5tupleIJPjSE_EEENSF_IJSE_SE_EEES9_SG_JZNS1_25segmented_radix_sort_implINS0_14default_configELb1EPKdPdPKlPlN2at6native12_GLOBAL__N_18offset_tEEE10hipError_tPvRmT1_PNSt15iterator_traitsISY_E10value_typeET2_T3_PNSZ_IS14_E10value_typeET4_jRbjT5_S1A_jjP12ihipStream_tbEUljE_EEESV_SW_SX_S14_S18_S1A_T6_T7_T9_mT8_S1C_bDpT10_ENKUlT_T0_E_clISt17integral_constantIbLb0EES1P_EEDaS1K_S1L_EUlS1K_E_NS1_11comp_targetILNS1_3genE10ELNS1_11target_archE1200ELNS1_3gpuE4ELNS1_3repE0EEENS1_30default_config_static_selectorELNS0_4arch9wavefront6targetE0EEEvSY_.kd
    .uniform_work_group_size: 1
    .uses_dynamic_stack: false
    .vgpr_count:     0
    .vgpr_spill_count: 0
    .wavefront_size: 32
    .workgroup_processor_mode: 1
  - .args:
      - .offset:         0
        .size:           144
        .value_kind:     by_value
    .group_segment_fixed_size: 0
    .kernarg_segment_align: 8
    .kernarg_segment_size: 144
    .language:       OpenCL C
    .language_version:
      - 2
      - 0
    .max_flat_workgroup_size: 256
    .name:           _ZN7rocprim17ROCPRIM_400000_NS6detail17trampoline_kernelINS0_13select_configILj256ELj13ELNS0_17block_load_methodE3ELS4_3ELS4_3ELNS0_20block_scan_algorithmE0ELj4294967295EEENS1_25partition_config_selectorILNS1_17partition_subalgoE3EjNS0_10empty_typeEbEEZZNS1_14partition_implILS8_3ELb0ES6_jNS0_17counting_iteratorIjlEEPS9_SE_NS0_5tupleIJPjSE_EEENSF_IJSE_SE_EEES9_SG_JZNS1_25segmented_radix_sort_implINS0_14default_configELb1EPKdPdPKlPlN2at6native12_GLOBAL__N_18offset_tEEE10hipError_tPvRmT1_PNSt15iterator_traitsISY_E10value_typeET2_T3_PNSZ_IS14_E10value_typeET4_jRbjT5_S1A_jjP12ihipStream_tbEUljE_EEESV_SW_SX_S14_S18_S1A_T6_T7_T9_mT8_S1C_bDpT10_ENKUlT_T0_E_clISt17integral_constantIbLb0EES1P_EEDaS1K_S1L_EUlS1K_E_NS1_11comp_targetILNS1_3genE9ELNS1_11target_archE1100ELNS1_3gpuE3ELNS1_3repE0EEENS1_30default_config_static_selectorELNS0_4arch9wavefront6targetE0EEEvSY_
    .private_segment_fixed_size: 0
    .sgpr_count:     0
    .sgpr_spill_count: 0
    .symbol:         _ZN7rocprim17ROCPRIM_400000_NS6detail17trampoline_kernelINS0_13select_configILj256ELj13ELNS0_17block_load_methodE3ELS4_3ELS4_3ELNS0_20block_scan_algorithmE0ELj4294967295EEENS1_25partition_config_selectorILNS1_17partition_subalgoE3EjNS0_10empty_typeEbEEZZNS1_14partition_implILS8_3ELb0ES6_jNS0_17counting_iteratorIjlEEPS9_SE_NS0_5tupleIJPjSE_EEENSF_IJSE_SE_EEES9_SG_JZNS1_25segmented_radix_sort_implINS0_14default_configELb1EPKdPdPKlPlN2at6native12_GLOBAL__N_18offset_tEEE10hipError_tPvRmT1_PNSt15iterator_traitsISY_E10value_typeET2_T3_PNSZ_IS14_E10value_typeET4_jRbjT5_S1A_jjP12ihipStream_tbEUljE_EEESV_SW_SX_S14_S18_S1A_T6_T7_T9_mT8_S1C_bDpT10_ENKUlT_T0_E_clISt17integral_constantIbLb0EES1P_EEDaS1K_S1L_EUlS1K_E_NS1_11comp_targetILNS1_3genE9ELNS1_11target_archE1100ELNS1_3gpuE3ELNS1_3repE0EEENS1_30default_config_static_selectorELNS0_4arch9wavefront6targetE0EEEvSY_.kd
    .uniform_work_group_size: 1
    .uses_dynamic_stack: false
    .vgpr_count:     0
    .vgpr_spill_count: 0
    .wavefront_size: 32
    .workgroup_processor_mode: 1
  - .args:
      - .offset:         0
        .size:           144
        .value_kind:     by_value
    .group_segment_fixed_size: 13320
    .kernarg_segment_align: 8
    .kernarg_segment_size: 144
    .language:       OpenCL C
    .language_version:
      - 2
      - 0
    .max_flat_workgroup_size: 256
    .name:           _ZN7rocprim17ROCPRIM_400000_NS6detail17trampoline_kernelINS0_13select_configILj256ELj13ELNS0_17block_load_methodE3ELS4_3ELS4_3ELNS0_20block_scan_algorithmE0ELj4294967295EEENS1_25partition_config_selectorILNS1_17partition_subalgoE3EjNS0_10empty_typeEbEEZZNS1_14partition_implILS8_3ELb0ES6_jNS0_17counting_iteratorIjlEEPS9_SE_NS0_5tupleIJPjSE_EEENSF_IJSE_SE_EEES9_SG_JZNS1_25segmented_radix_sort_implINS0_14default_configELb1EPKdPdPKlPlN2at6native12_GLOBAL__N_18offset_tEEE10hipError_tPvRmT1_PNSt15iterator_traitsISY_E10value_typeET2_T3_PNSZ_IS14_E10value_typeET4_jRbjT5_S1A_jjP12ihipStream_tbEUljE_EEESV_SW_SX_S14_S18_S1A_T6_T7_T9_mT8_S1C_bDpT10_ENKUlT_T0_E_clISt17integral_constantIbLb0EES1P_EEDaS1K_S1L_EUlS1K_E_NS1_11comp_targetILNS1_3genE8ELNS1_11target_archE1030ELNS1_3gpuE2ELNS1_3repE0EEENS1_30default_config_static_selectorELNS0_4arch9wavefront6targetE0EEEvSY_
    .private_segment_fixed_size: 0
    .sgpr_count:     29
    .sgpr_spill_count: 0
    .symbol:         _ZN7rocprim17ROCPRIM_400000_NS6detail17trampoline_kernelINS0_13select_configILj256ELj13ELNS0_17block_load_methodE3ELS4_3ELS4_3ELNS0_20block_scan_algorithmE0ELj4294967295EEENS1_25partition_config_selectorILNS1_17partition_subalgoE3EjNS0_10empty_typeEbEEZZNS1_14partition_implILS8_3ELb0ES6_jNS0_17counting_iteratorIjlEEPS9_SE_NS0_5tupleIJPjSE_EEENSF_IJSE_SE_EEES9_SG_JZNS1_25segmented_radix_sort_implINS0_14default_configELb1EPKdPdPKlPlN2at6native12_GLOBAL__N_18offset_tEEE10hipError_tPvRmT1_PNSt15iterator_traitsISY_E10value_typeET2_T3_PNSZ_IS14_E10value_typeET4_jRbjT5_S1A_jjP12ihipStream_tbEUljE_EEESV_SW_SX_S14_S18_S1A_T6_T7_T9_mT8_S1C_bDpT10_ENKUlT_T0_E_clISt17integral_constantIbLb0EES1P_EEDaS1K_S1L_EUlS1K_E_NS1_11comp_targetILNS1_3genE8ELNS1_11target_archE1030ELNS1_3gpuE2ELNS1_3repE0EEENS1_30default_config_static_selectorELNS0_4arch9wavefront6targetE0EEEvSY_.kd
    .uniform_work_group_size: 1
    .uses_dynamic_stack: false
    .vgpr_count:     69
    .vgpr_spill_count: 0
    .wavefront_size: 32
    .workgroup_processor_mode: 1
  - .args:
      - .offset:         0
        .size:           152
        .value_kind:     by_value
    .group_segment_fixed_size: 0
    .kernarg_segment_align: 8
    .kernarg_segment_size: 152
    .language:       OpenCL C
    .language_version:
      - 2
      - 0
    .max_flat_workgroup_size: 256
    .name:           _ZN7rocprim17ROCPRIM_400000_NS6detail17trampoline_kernelINS0_13select_configILj256ELj13ELNS0_17block_load_methodE3ELS4_3ELS4_3ELNS0_20block_scan_algorithmE0ELj4294967295EEENS1_25partition_config_selectorILNS1_17partition_subalgoE3EjNS0_10empty_typeEbEEZZNS1_14partition_implILS8_3ELb0ES6_jNS0_17counting_iteratorIjlEEPS9_SE_NS0_5tupleIJPjSE_EEENSF_IJSE_SE_EEES9_SG_JZNS1_25segmented_radix_sort_implINS0_14default_configELb1EPKdPdPKlPlN2at6native12_GLOBAL__N_18offset_tEEE10hipError_tPvRmT1_PNSt15iterator_traitsISY_E10value_typeET2_T3_PNSZ_IS14_E10value_typeET4_jRbjT5_S1A_jjP12ihipStream_tbEUljE_EEESV_SW_SX_S14_S18_S1A_T6_T7_T9_mT8_S1C_bDpT10_ENKUlT_T0_E_clISt17integral_constantIbLb1EES1P_EEDaS1K_S1L_EUlS1K_E_NS1_11comp_targetILNS1_3genE0ELNS1_11target_archE4294967295ELNS1_3gpuE0ELNS1_3repE0EEENS1_30default_config_static_selectorELNS0_4arch9wavefront6targetE0EEEvSY_
    .private_segment_fixed_size: 0
    .sgpr_count:     0
    .sgpr_spill_count: 0
    .symbol:         _ZN7rocprim17ROCPRIM_400000_NS6detail17trampoline_kernelINS0_13select_configILj256ELj13ELNS0_17block_load_methodE3ELS4_3ELS4_3ELNS0_20block_scan_algorithmE0ELj4294967295EEENS1_25partition_config_selectorILNS1_17partition_subalgoE3EjNS0_10empty_typeEbEEZZNS1_14partition_implILS8_3ELb0ES6_jNS0_17counting_iteratorIjlEEPS9_SE_NS0_5tupleIJPjSE_EEENSF_IJSE_SE_EEES9_SG_JZNS1_25segmented_radix_sort_implINS0_14default_configELb1EPKdPdPKlPlN2at6native12_GLOBAL__N_18offset_tEEE10hipError_tPvRmT1_PNSt15iterator_traitsISY_E10value_typeET2_T3_PNSZ_IS14_E10value_typeET4_jRbjT5_S1A_jjP12ihipStream_tbEUljE_EEESV_SW_SX_S14_S18_S1A_T6_T7_T9_mT8_S1C_bDpT10_ENKUlT_T0_E_clISt17integral_constantIbLb1EES1P_EEDaS1K_S1L_EUlS1K_E_NS1_11comp_targetILNS1_3genE0ELNS1_11target_archE4294967295ELNS1_3gpuE0ELNS1_3repE0EEENS1_30default_config_static_selectorELNS0_4arch9wavefront6targetE0EEEvSY_.kd
    .uniform_work_group_size: 1
    .uses_dynamic_stack: false
    .vgpr_count:     0
    .vgpr_spill_count: 0
    .wavefront_size: 32
    .workgroup_processor_mode: 1
  - .args:
      - .offset:         0
        .size:           152
        .value_kind:     by_value
    .group_segment_fixed_size: 0
    .kernarg_segment_align: 8
    .kernarg_segment_size: 152
    .language:       OpenCL C
    .language_version:
      - 2
      - 0
    .max_flat_workgroup_size: 256
    .name:           _ZN7rocprim17ROCPRIM_400000_NS6detail17trampoline_kernelINS0_13select_configILj256ELj13ELNS0_17block_load_methodE3ELS4_3ELS4_3ELNS0_20block_scan_algorithmE0ELj4294967295EEENS1_25partition_config_selectorILNS1_17partition_subalgoE3EjNS0_10empty_typeEbEEZZNS1_14partition_implILS8_3ELb0ES6_jNS0_17counting_iteratorIjlEEPS9_SE_NS0_5tupleIJPjSE_EEENSF_IJSE_SE_EEES9_SG_JZNS1_25segmented_radix_sort_implINS0_14default_configELb1EPKdPdPKlPlN2at6native12_GLOBAL__N_18offset_tEEE10hipError_tPvRmT1_PNSt15iterator_traitsISY_E10value_typeET2_T3_PNSZ_IS14_E10value_typeET4_jRbjT5_S1A_jjP12ihipStream_tbEUljE_EEESV_SW_SX_S14_S18_S1A_T6_T7_T9_mT8_S1C_bDpT10_ENKUlT_T0_E_clISt17integral_constantIbLb1EES1P_EEDaS1K_S1L_EUlS1K_E_NS1_11comp_targetILNS1_3genE5ELNS1_11target_archE942ELNS1_3gpuE9ELNS1_3repE0EEENS1_30default_config_static_selectorELNS0_4arch9wavefront6targetE0EEEvSY_
    .private_segment_fixed_size: 0
    .sgpr_count:     0
    .sgpr_spill_count: 0
    .symbol:         _ZN7rocprim17ROCPRIM_400000_NS6detail17trampoline_kernelINS0_13select_configILj256ELj13ELNS0_17block_load_methodE3ELS4_3ELS4_3ELNS0_20block_scan_algorithmE0ELj4294967295EEENS1_25partition_config_selectorILNS1_17partition_subalgoE3EjNS0_10empty_typeEbEEZZNS1_14partition_implILS8_3ELb0ES6_jNS0_17counting_iteratorIjlEEPS9_SE_NS0_5tupleIJPjSE_EEENSF_IJSE_SE_EEES9_SG_JZNS1_25segmented_radix_sort_implINS0_14default_configELb1EPKdPdPKlPlN2at6native12_GLOBAL__N_18offset_tEEE10hipError_tPvRmT1_PNSt15iterator_traitsISY_E10value_typeET2_T3_PNSZ_IS14_E10value_typeET4_jRbjT5_S1A_jjP12ihipStream_tbEUljE_EEESV_SW_SX_S14_S18_S1A_T6_T7_T9_mT8_S1C_bDpT10_ENKUlT_T0_E_clISt17integral_constantIbLb1EES1P_EEDaS1K_S1L_EUlS1K_E_NS1_11comp_targetILNS1_3genE5ELNS1_11target_archE942ELNS1_3gpuE9ELNS1_3repE0EEENS1_30default_config_static_selectorELNS0_4arch9wavefront6targetE0EEEvSY_.kd
    .uniform_work_group_size: 1
    .uses_dynamic_stack: false
    .vgpr_count:     0
    .vgpr_spill_count: 0
    .wavefront_size: 32
    .workgroup_processor_mode: 1
  - .args:
      - .offset:         0
        .size:           152
        .value_kind:     by_value
    .group_segment_fixed_size: 0
    .kernarg_segment_align: 8
    .kernarg_segment_size: 152
    .language:       OpenCL C
    .language_version:
      - 2
      - 0
    .max_flat_workgroup_size: 256
    .name:           _ZN7rocprim17ROCPRIM_400000_NS6detail17trampoline_kernelINS0_13select_configILj256ELj13ELNS0_17block_load_methodE3ELS4_3ELS4_3ELNS0_20block_scan_algorithmE0ELj4294967295EEENS1_25partition_config_selectorILNS1_17partition_subalgoE3EjNS0_10empty_typeEbEEZZNS1_14partition_implILS8_3ELb0ES6_jNS0_17counting_iteratorIjlEEPS9_SE_NS0_5tupleIJPjSE_EEENSF_IJSE_SE_EEES9_SG_JZNS1_25segmented_radix_sort_implINS0_14default_configELb1EPKdPdPKlPlN2at6native12_GLOBAL__N_18offset_tEEE10hipError_tPvRmT1_PNSt15iterator_traitsISY_E10value_typeET2_T3_PNSZ_IS14_E10value_typeET4_jRbjT5_S1A_jjP12ihipStream_tbEUljE_EEESV_SW_SX_S14_S18_S1A_T6_T7_T9_mT8_S1C_bDpT10_ENKUlT_T0_E_clISt17integral_constantIbLb1EES1P_EEDaS1K_S1L_EUlS1K_E_NS1_11comp_targetILNS1_3genE4ELNS1_11target_archE910ELNS1_3gpuE8ELNS1_3repE0EEENS1_30default_config_static_selectorELNS0_4arch9wavefront6targetE0EEEvSY_
    .private_segment_fixed_size: 0
    .sgpr_count:     0
    .sgpr_spill_count: 0
    .symbol:         _ZN7rocprim17ROCPRIM_400000_NS6detail17trampoline_kernelINS0_13select_configILj256ELj13ELNS0_17block_load_methodE3ELS4_3ELS4_3ELNS0_20block_scan_algorithmE0ELj4294967295EEENS1_25partition_config_selectorILNS1_17partition_subalgoE3EjNS0_10empty_typeEbEEZZNS1_14partition_implILS8_3ELb0ES6_jNS0_17counting_iteratorIjlEEPS9_SE_NS0_5tupleIJPjSE_EEENSF_IJSE_SE_EEES9_SG_JZNS1_25segmented_radix_sort_implINS0_14default_configELb1EPKdPdPKlPlN2at6native12_GLOBAL__N_18offset_tEEE10hipError_tPvRmT1_PNSt15iterator_traitsISY_E10value_typeET2_T3_PNSZ_IS14_E10value_typeET4_jRbjT5_S1A_jjP12ihipStream_tbEUljE_EEESV_SW_SX_S14_S18_S1A_T6_T7_T9_mT8_S1C_bDpT10_ENKUlT_T0_E_clISt17integral_constantIbLb1EES1P_EEDaS1K_S1L_EUlS1K_E_NS1_11comp_targetILNS1_3genE4ELNS1_11target_archE910ELNS1_3gpuE8ELNS1_3repE0EEENS1_30default_config_static_selectorELNS0_4arch9wavefront6targetE0EEEvSY_.kd
    .uniform_work_group_size: 1
    .uses_dynamic_stack: false
    .vgpr_count:     0
    .vgpr_spill_count: 0
    .wavefront_size: 32
    .workgroup_processor_mode: 1
  - .args:
      - .offset:         0
        .size:           152
        .value_kind:     by_value
    .group_segment_fixed_size: 0
    .kernarg_segment_align: 8
    .kernarg_segment_size: 152
    .language:       OpenCL C
    .language_version:
      - 2
      - 0
    .max_flat_workgroup_size: 256
    .name:           _ZN7rocprim17ROCPRIM_400000_NS6detail17trampoline_kernelINS0_13select_configILj256ELj13ELNS0_17block_load_methodE3ELS4_3ELS4_3ELNS0_20block_scan_algorithmE0ELj4294967295EEENS1_25partition_config_selectorILNS1_17partition_subalgoE3EjNS0_10empty_typeEbEEZZNS1_14partition_implILS8_3ELb0ES6_jNS0_17counting_iteratorIjlEEPS9_SE_NS0_5tupleIJPjSE_EEENSF_IJSE_SE_EEES9_SG_JZNS1_25segmented_radix_sort_implINS0_14default_configELb1EPKdPdPKlPlN2at6native12_GLOBAL__N_18offset_tEEE10hipError_tPvRmT1_PNSt15iterator_traitsISY_E10value_typeET2_T3_PNSZ_IS14_E10value_typeET4_jRbjT5_S1A_jjP12ihipStream_tbEUljE_EEESV_SW_SX_S14_S18_S1A_T6_T7_T9_mT8_S1C_bDpT10_ENKUlT_T0_E_clISt17integral_constantIbLb1EES1P_EEDaS1K_S1L_EUlS1K_E_NS1_11comp_targetILNS1_3genE3ELNS1_11target_archE908ELNS1_3gpuE7ELNS1_3repE0EEENS1_30default_config_static_selectorELNS0_4arch9wavefront6targetE0EEEvSY_
    .private_segment_fixed_size: 0
    .sgpr_count:     0
    .sgpr_spill_count: 0
    .symbol:         _ZN7rocprim17ROCPRIM_400000_NS6detail17trampoline_kernelINS0_13select_configILj256ELj13ELNS0_17block_load_methodE3ELS4_3ELS4_3ELNS0_20block_scan_algorithmE0ELj4294967295EEENS1_25partition_config_selectorILNS1_17partition_subalgoE3EjNS0_10empty_typeEbEEZZNS1_14partition_implILS8_3ELb0ES6_jNS0_17counting_iteratorIjlEEPS9_SE_NS0_5tupleIJPjSE_EEENSF_IJSE_SE_EEES9_SG_JZNS1_25segmented_radix_sort_implINS0_14default_configELb1EPKdPdPKlPlN2at6native12_GLOBAL__N_18offset_tEEE10hipError_tPvRmT1_PNSt15iterator_traitsISY_E10value_typeET2_T3_PNSZ_IS14_E10value_typeET4_jRbjT5_S1A_jjP12ihipStream_tbEUljE_EEESV_SW_SX_S14_S18_S1A_T6_T7_T9_mT8_S1C_bDpT10_ENKUlT_T0_E_clISt17integral_constantIbLb1EES1P_EEDaS1K_S1L_EUlS1K_E_NS1_11comp_targetILNS1_3genE3ELNS1_11target_archE908ELNS1_3gpuE7ELNS1_3repE0EEENS1_30default_config_static_selectorELNS0_4arch9wavefront6targetE0EEEvSY_.kd
    .uniform_work_group_size: 1
    .uses_dynamic_stack: false
    .vgpr_count:     0
    .vgpr_spill_count: 0
    .wavefront_size: 32
    .workgroup_processor_mode: 1
  - .args:
      - .offset:         0
        .size:           152
        .value_kind:     by_value
    .group_segment_fixed_size: 0
    .kernarg_segment_align: 8
    .kernarg_segment_size: 152
    .language:       OpenCL C
    .language_version:
      - 2
      - 0
    .max_flat_workgroup_size: 256
    .name:           _ZN7rocprim17ROCPRIM_400000_NS6detail17trampoline_kernelINS0_13select_configILj256ELj13ELNS0_17block_load_methodE3ELS4_3ELS4_3ELNS0_20block_scan_algorithmE0ELj4294967295EEENS1_25partition_config_selectorILNS1_17partition_subalgoE3EjNS0_10empty_typeEbEEZZNS1_14partition_implILS8_3ELb0ES6_jNS0_17counting_iteratorIjlEEPS9_SE_NS0_5tupleIJPjSE_EEENSF_IJSE_SE_EEES9_SG_JZNS1_25segmented_radix_sort_implINS0_14default_configELb1EPKdPdPKlPlN2at6native12_GLOBAL__N_18offset_tEEE10hipError_tPvRmT1_PNSt15iterator_traitsISY_E10value_typeET2_T3_PNSZ_IS14_E10value_typeET4_jRbjT5_S1A_jjP12ihipStream_tbEUljE_EEESV_SW_SX_S14_S18_S1A_T6_T7_T9_mT8_S1C_bDpT10_ENKUlT_T0_E_clISt17integral_constantIbLb1EES1P_EEDaS1K_S1L_EUlS1K_E_NS1_11comp_targetILNS1_3genE2ELNS1_11target_archE906ELNS1_3gpuE6ELNS1_3repE0EEENS1_30default_config_static_selectorELNS0_4arch9wavefront6targetE0EEEvSY_
    .private_segment_fixed_size: 0
    .sgpr_count:     0
    .sgpr_spill_count: 0
    .symbol:         _ZN7rocprim17ROCPRIM_400000_NS6detail17trampoline_kernelINS0_13select_configILj256ELj13ELNS0_17block_load_methodE3ELS4_3ELS4_3ELNS0_20block_scan_algorithmE0ELj4294967295EEENS1_25partition_config_selectorILNS1_17partition_subalgoE3EjNS0_10empty_typeEbEEZZNS1_14partition_implILS8_3ELb0ES6_jNS0_17counting_iteratorIjlEEPS9_SE_NS0_5tupleIJPjSE_EEENSF_IJSE_SE_EEES9_SG_JZNS1_25segmented_radix_sort_implINS0_14default_configELb1EPKdPdPKlPlN2at6native12_GLOBAL__N_18offset_tEEE10hipError_tPvRmT1_PNSt15iterator_traitsISY_E10value_typeET2_T3_PNSZ_IS14_E10value_typeET4_jRbjT5_S1A_jjP12ihipStream_tbEUljE_EEESV_SW_SX_S14_S18_S1A_T6_T7_T9_mT8_S1C_bDpT10_ENKUlT_T0_E_clISt17integral_constantIbLb1EES1P_EEDaS1K_S1L_EUlS1K_E_NS1_11comp_targetILNS1_3genE2ELNS1_11target_archE906ELNS1_3gpuE6ELNS1_3repE0EEENS1_30default_config_static_selectorELNS0_4arch9wavefront6targetE0EEEvSY_.kd
    .uniform_work_group_size: 1
    .uses_dynamic_stack: false
    .vgpr_count:     0
    .vgpr_spill_count: 0
    .wavefront_size: 32
    .workgroup_processor_mode: 1
  - .args:
      - .offset:         0
        .size:           152
        .value_kind:     by_value
    .group_segment_fixed_size: 0
    .kernarg_segment_align: 8
    .kernarg_segment_size: 152
    .language:       OpenCL C
    .language_version:
      - 2
      - 0
    .max_flat_workgroup_size: 256
    .name:           _ZN7rocprim17ROCPRIM_400000_NS6detail17trampoline_kernelINS0_13select_configILj256ELj13ELNS0_17block_load_methodE3ELS4_3ELS4_3ELNS0_20block_scan_algorithmE0ELj4294967295EEENS1_25partition_config_selectorILNS1_17partition_subalgoE3EjNS0_10empty_typeEbEEZZNS1_14partition_implILS8_3ELb0ES6_jNS0_17counting_iteratorIjlEEPS9_SE_NS0_5tupleIJPjSE_EEENSF_IJSE_SE_EEES9_SG_JZNS1_25segmented_radix_sort_implINS0_14default_configELb1EPKdPdPKlPlN2at6native12_GLOBAL__N_18offset_tEEE10hipError_tPvRmT1_PNSt15iterator_traitsISY_E10value_typeET2_T3_PNSZ_IS14_E10value_typeET4_jRbjT5_S1A_jjP12ihipStream_tbEUljE_EEESV_SW_SX_S14_S18_S1A_T6_T7_T9_mT8_S1C_bDpT10_ENKUlT_T0_E_clISt17integral_constantIbLb1EES1P_EEDaS1K_S1L_EUlS1K_E_NS1_11comp_targetILNS1_3genE10ELNS1_11target_archE1200ELNS1_3gpuE4ELNS1_3repE0EEENS1_30default_config_static_selectorELNS0_4arch9wavefront6targetE0EEEvSY_
    .private_segment_fixed_size: 0
    .sgpr_count:     0
    .sgpr_spill_count: 0
    .symbol:         _ZN7rocprim17ROCPRIM_400000_NS6detail17trampoline_kernelINS0_13select_configILj256ELj13ELNS0_17block_load_methodE3ELS4_3ELS4_3ELNS0_20block_scan_algorithmE0ELj4294967295EEENS1_25partition_config_selectorILNS1_17partition_subalgoE3EjNS0_10empty_typeEbEEZZNS1_14partition_implILS8_3ELb0ES6_jNS0_17counting_iteratorIjlEEPS9_SE_NS0_5tupleIJPjSE_EEENSF_IJSE_SE_EEES9_SG_JZNS1_25segmented_radix_sort_implINS0_14default_configELb1EPKdPdPKlPlN2at6native12_GLOBAL__N_18offset_tEEE10hipError_tPvRmT1_PNSt15iterator_traitsISY_E10value_typeET2_T3_PNSZ_IS14_E10value_typeET4_jRbjT5_S1A_jjP12ihipStream_tbEUljE_EEESV_SW_SX_S14_S18_S1A_T6_T7_T9_mT8_S1C_bDpT10_ENKUlT_T0_E_clISt17integral_constantIbLb1EES1P_EEDaS1K_S1L_EUlS1K_E_NS1_11comp_targetILNS1_3genE10ELNS1_11target_archE1200ELNS1_3gpuE4ELNS1_3repE0EEENS1_30default_config_static_selectorELNS0_4arch9wavefront6targetE0EEEvSY_.kd
    .uniform_work_group_size: 1
    .uses_dynamic_stack: false
    .vgpr_count:     0
    .vgpr_spill_count: 0
    .wavefront_size: 32
    .workgroup_processor_mode: 1
  - .args:
      - .offset:         0
        .size:           152
        .value_kind:     by_value
    .group_segment_fixed_size: 0
    .kernarg_segment_align: 8
    .kernarg_segment_size: 152
    .language:       OpenCL C
    .language_version:
      - 2
      - 0
    .max_flat_workgroup_size: 256
    .name:           _ZN7rocprim17ROCPRIM_400000_NS6detail17trampoline_kernelINS0_13select_configILj256ELj13ELNS0_17block_load_methodE3ELS4_3ELS4_3ELNS0_20block_scan_algorithmE0ELj4294967295EEENS1_25partition_config_selectorILNS1_17partition_subalgoE3EjNS0_10empty_typeEbEEZZNS1_14partition_implILS8_3ELb0ES6_jNS0_17counting_iteratorIjlEEPS9_SE_NS0_5tupleIJPjSE_EEENSF_IJSE_SE_EEES9_SG_JZNS1_25segmented_radix_sort_implINS0_14default_configELb1EPKdPdPKlPlN2at6native12_GLOBAL__N_18offset_tEEE10hipError_tPvRmT1_PNSt15iterator_traitsISY_E10value_typeET2_T3_PNSZ_IS14_E10value_typeET4_jRbjT5_S1A_jjP12ihipStream_tbEUljE_EEESV_SW_SX_S14_S18_S1A_T6_T7_T9_mT8_S1C_bDpT10_ENKUlT_T0_E_clISt17integral_constantIbLb1EES1P_EEDaS1K_S1L_EUlS1K_E_NS1_11comp_targetILNS1_3genE9ELNS1_11target_archE1100ELNS1_3gpuE3ELNS1_3repE0EEENS1_30default_config_static_selectorELNS0_4arch9wavefront6targetE0EEEvSY_
    .private_segment_fixed_size: 0
    .sgpr_count:     0
    .sgpr_spill_count: 0
    .symbol:         _ZN7rocprim17ROCPRIM_400000_NS6detail17trampoline_kernelINS0_13select_configILj256ELj13ELNS0_17block_load_methodE3ELS4_3ELS4_3ELNS0_20block_scan_algorithmE0ELj4294967295EEENS1_25partition_config_selectorILNS1_17partition_subalgoE3EjNS0_10empty_typeEbEEZZNS1_14partition_implILS8_3ELb0ES6_jNS0_17counting_iteratorIjlEEPS9_SE_NS0_5tupleIJPjSE_EEENSF_IJSE_SE_EEES9_SG_JZNS1_25segmented_radix_sort_implINS0_14default_configELb1EPKdPdPKlPlN2at6native12_GLOBAL__N_18offset_tEEE10hipError_tPvRmT1_PNSt15iterator_traitsISY_E10value_typeET2_T3_PNSZ_IS14_E10value_typeET4_jRbjT5_S1A_jjP12ihipStream_tbEUljE_EEESV_SW_SX_S14_S18_S1A_T6_T7_T9_mT8_S1C_bDpT10_ENKUlT_T0_E_clISt17integral_constantIbLb1EES1P_EEDaS1K_S1L_EUlS1K_E_NS1_11comp_targetILNS1_3genE9ELNS1_11target_archE1100ELNS1_3gpuE3ELNS1_3repE0EEENS1_30default_config_static_selectorELNS0_4arch9wavefront6targetE0EEEvSY_.kd
    .uniform_work_group_size: 1
    .uses_dynamic_stack: false
    .vgpr_count:     0
    .vgpr_spill_count: 0
    .wavefront_size: 32
    .workgroup_processor_mode: 1
  - .args:
      - .offset:         0
        .size:           152
        .value_kind:     by_value
    .group_segment_fixed_size: 0
    .kernarg_segment_align: 8
    .kernarg_segment_size: 152
    .language:       OpenCL C
    .language_version:
      - 2
      - 0
    .max_flat_workgroup_size: 256
    .name:           _ZN7rocprim17ROCPRIM_400000_NS6detail17trampoline_kernelINS0_13select_configILj256ELj13ELNS0_17block_load_methodE3ELS4_3ELS4_3ELNS0_20block_scan_algorithmE0ELj4294967295EEENS1_25partition_config_selectorILNS1_17partition_subalgoE3EjNS0_10empty_typeEbEEZZNS1_14partition_implILS8_3ELb0ES6_jNS0_17counting_iteratorIjlEEPS9_SE_NS0_5tupleIJPjSE_EEENSF_IJSE_SE_EEES9_SG_JZNS1_25segmented_radix_sort_implINS0_14default_configELb1EPKdPdPKlPlN2at6native12_GLOBAL__N_18offset_tEEE10hipError_tPvRmT1_PNSt15iterator_traitsISY_E10value_typeET2_T3_PNSZ_IS14_E10value_typeET4_jRbjT5_S1A_jjP12ihipStream_tbEUljE_EEESV_SW_SX_S14_S18_S1A_T6_T7_T9_mT8_S1C_bDpT10_ENKUlT_T0_E_clISt17integral_constantIbLb1EES1P_EEDaS1K_S1L_EUlS1K_E_NS1_11comp_targetILNS1_3genE8ELNS1_11target_archE1030ELNS1_3gpuE2ELNS1_3repE0EEENS1_30default_config_static_selectorELNS0_4arch9wavefront6targetE0EEEvSY_
    .private_segment_fixed_size: 0
    .sgpr_count:     0
    .sgpr_spill_count: 0
    .symbol:         _ZN7rocprim17ROCPRIM_400000_NS6detail17trampoline_kernelINS0_13select_configILj256ELj13ELNS0_17block_load_methodE3ELS4_3ELS4_3ELNS0_20block_scan_algorithmE0ELj4294967295EEENS1_25partition_config_selectorILNS1_17partition_subalgoE3EjNS0_10empty_typeEbEEZZNS1_14partition_implILS8_3ELb0ES6_jNS0_17counting_iteratorIjlEEPS9_SE_NS0_5tupleIJPjSE_EEENSF_IJSE_SE_EEES9_SG_JZNS1_25segmented_radix_sort_implINS0_14default_configELb1EPKdPdPKlPlN2at6native12_GLOBAL__N_18offset_tEEE10hipError_tPvRmT1_PNSt15iterator_traitsISY_E10value_typeET2_T3_PNSZ_IS14_E10value_typeET4_jRbjT5_S1A_jjP12ihipStream_tbEUljE_EEESV_SW_SX_S14_S18_S1A_T6_T7_T9_mT8_S1C_bDpT10_ENKUlT_T0_E_clISt17integral_constantIbLb1EES1P_EEDaS1K_S1L_EUlS1K_E_NS1_11comp_targetILNS1_3genE8ELNS1_11target_archE1030ELNS1_3gpuE2ELNS1_3repE0EEENS1_30default_config_static_selectorELNS0_4arch9wavefront6targetE0EEEvSY_.kd
    .uniform_work_group_size: 1
    .uses_dynamic_stack: false
    .vgpr_count:     0
    .vgpr_spill_count: 0
    .wavefront_size: 32
    .workgroup_processor_mode: 1
  - .args:
      - .offset:         0
        .size:           144
        .value_kind:     by_value
    .group_segment_fixed_size: 0
    .kernarg_segment_align: 8
    .kernarg_segment_size: 144
    .language:       OpenCL C
    .language_version:
      - 2
      - 0
    .max_flat_workgroup_size: 256
    .name:           _ZN7rocprim17ROCPRIM_400000_NS6detail17trampoline_kernelINS0_13select_configILj256ELj13ELNS0_17block_load_methodE3ELS4_3ELS4_3ELNS0_20block_scan_algorithmE0ELj4294967295EEENS1_25partition_config_selectorILNS1_17partition_subalgoE3EjNS0_10empty_typeEbEEZZNS1_14partition_implILS8_3ELb0ES6_jNS0_17counting_iteratorIjlEEPS9_SE_NS0_5tupleIJPjSE_EEENSF_IJSE_SE_EEES9_SG_JZNS1_25segmented_radix_sort_implINS0_14default_configELb1EPKdPdPKlPlN2at6native12_GLOBAL__N_18offset_tEEE10hipError_tPvRmT1_PNSt15iterator_traitsISY_E10value_typeET2_T3_PNSZ_IS14_E10value_typeET4_jRbjT5_S1A_jjP12ihipStream_tbEUljE_EEESV_SW_SX_S14_S18_S1A_T6_T7_T9_mT8_S1C_bDpT10_ENKUlT_T0_E_clISt17integral_constantIbLb1EES1O_IbLb0EEEEDaS1K_S1L_EUlS1K_E_NS1_11comp_targetILNS1_3genE0ELNS1_11target_archE4294967295ELNS1_3gpuE0ELNS1_3repE0EEENS1_30default_config_static_selectorELNS0_4arch9wavefront6targetE0EEEvSY_
    .private_segment_fixed_size: 0
    .sgpr_count:     0
    .sgpr_spill_count: 0
    .symbol:         _ZN7rocprim17ROCPRIM_400000_NS6detail17trampoline_kernelINS0_13select_configILj256ELj13ELNS0_17block_load_methodE3ELS4_3ELS4_3ELNS0_20block_scan_algorithmE0ELj4294967295EEENS1_25partition_config_selectorILNS1_17partition_subalgoE3EjNS0_10empty_typeEbEEZZNS1_14partition_implILS8_3ELb0ES6_jNS0_17counting_iteratorIjlEEPS9_SE_NS0_5tupleIJPjSE_EEENSF_IJSE_SE_EEES9_SG_JZNS1_25segmented_radix_sort_implINS0_14default_configELb1EPKdPdPKlPlN2at6native12_GLOBAL__N_18offset_tEEE10hipError_tPvRmT1_PNSt15iterator_traitsISY_E10value_typeET2_T3_PNSZ_IS14_E10value_typeET4_jRbjT5_S1A_jjP12ihipStream_tbEUljE_EEESV_SW_SX_S14_S18_S1A_T6_T7_T9_mT8_S1C_bDpT10_ENKUlT_T0_E_clISt17integral_constantIbLb1EES1O_IbLb0EEEEDaS1K_S1L_EUlS1K_E_NS1_11comp_targetILNS1_3genE0ELNS1_11target_archE4294967295ELNS1_3gpuE0ELNS1_3repE0EEENS1_30default_config_static_selectorELNS0_4arch9wavefront6targetE0EEEvSY_.kd
    .uniform_work_group_size: 1
    .uses_dynamic_stack: false
    .vgpr_count:     0
    .vgpr_spill_count: 0
    .wavefront_size: 32
    .workgroup_processor_mode: 1
  - .args:
      - .offset:         0
        .size:           144
        .value_kind:     by_value
    .group_segment_fixed_size: 0
    .kernarg_segment_align: 8
    .kernarg_segment_size: 144
    .language:       OpenCL C
    .language_version:
      - 2
      - 0
    .max_flat_workgroup_size: 256
    .name:           _ZN7rocprim17ROCPRIM_400000_NS6detail17trampoline_kernelINS0_13select_configILj256ELj13ELNS0_17block_load_methodE3ELS4_3ELS4_3ELNS0_20block_scan_algorithmE0ELj4294967295EEENS1_25partition_config_selectorILNS1_17partition_subalgoE3EjNS0_10empty_typeEbEEZZNS1_14partition_implILS8_3ELb0ES6_jNS0_17counting_iteratorIjlEEPS9_SE_NS0_5tupleIJPjSE_EEENSF_IJSE_SE_EEES9_SG_JZNS1_25segmented_radix_sort_implINS0_14default_configELb1EPKdPdPKlPlN2at6native12_GLOBAL__N_18offset_tEEE10hipError_tPvRmT1_PNSt15iterator_traitsISY_E10value_typeET2_T3_PNSZ_IS14_E10value_typeET4_jRbjT5_S1A_jjP12ihipStream_tbEUljE_EEESV_SW_SX_S14_S18_S1A_T6_T7_T9_mT8_S1C_bDpT10_ENKUlT_T0_E_clISt17integral_constantIbLb1EES1O_IbLb0EEEEDaS1K_S1L_EUlS1K_E_NS1_11comp_targetILNS1_3genE5ELNS1_11target_archE942ELNS1_3gpuE9ELNS1_3repE0EEENS1_30default_config_static_selectorELNS0_4arch9wavefront6targetE0EEEvSY_
    .private_segment_fixed_size: 0
    .sgpr_count:     0
    .sgpr_spill_count: 0
    .symbol:         _ZN7rocprim17ROCPRIM_400000_NS6detail17trampoline_kernelINS0_13select_configILj256ELj13ELNS0_17block_load_methodE3ELS4_3ELS4_3ELNS0_20block_scan_algorithmE0ELj4294967295EEENS1_25partition_config_selectorILNS1_17partition_subalgoE3EjNS0_10empty_typeEbEEZZNS1_14partition_implILS8_3ELb0ES6_jNS0_17counting_iteratorIjlEEPS9_SE_NS0_5tupleIJPjSE_EEENSF_IJSE_SE_EEES9_SG_JZNS1_25segmented_radix_sort_implINS0_14default_configELb1EPKdPdPKlPlN2at6native12_GLOBAL__N_18offset_tEEE10hipError_tPvRmT1_PNSt15iterator_traitsISY_E10value_typeET2_T3_PNSZ_IS14_E10value_typeET4_jRbjT5_S1A_jjP12ihipStream_tbEUljE_EEESV_SW_SX_S14_S18_S1A_T6_T7_T9_mT8_S1C_bDpT10_ENKUlT_T0_E_clISt17integral_constantIbLb1EES1O_IbLb0EEEEDaS1K_S1L_EUlS1K_E_NS1_11comp_targetILNS1_3genE5ELNS1_11target_archE942ELNS1_3gpuE9ELNS1_3repE0EEENS1_30default_config_static_selectorELNS0_4arch9wavefront6targetE0EEEvSY_.kd
    .uniform_work_group_size: 1
    .uses_dynamic_stack: false
    .vgpr_count:     0
    .vgpr_spill_count: 0
    .wavefront_size: 32
    .workgroup_processor_mode: 1
  - .args:
      - .offset:         0
        .size:           144
        .value_kind:     by_value
    .group_segment_fixed_size: 0
    .kernarg_segment_align: 8
    .kernarg_segment_size: 144
    .language:       OpenCL C
    .language_version:
      - 2
      - 0
    .max_flat_workgroup_size: 256
    .name:           _ZN7rocprim17ROCPRIM_400000_NS6detail17trampoline_kernelINS0_13select_configILj256ELj13ELNS0_17block_load_methodE3ELS4_3ELS4_3ELNS0_20block_scan_algorithmE0ELj4294967295EEENS1_25partition_config_selectorILNS1_17partition_subalgoE3EjNS0_10empty_typeEbEEZZNS1_14partition_implILS8_3ELb0ES6_jNS0_17counting_iteratorIjlEEPS9_SE_NS0_5tupleIJPjSE_EEENSF_IJSE_SE_EEES9_SG_JZNS1_25segmented_radix_sort_implINS0_14default_configELb1EPKdPdPKlPlN2at6native12_GLOBAL__N_18offset_tEEE10hipError_tPvRmT1_PNSt15iterator_traitsISY_E10value_typeET2_T3_PNSZ_IS14_E10value_typeET4_jRbjT5_S1A_jjP12ihipStream_tbEUljE_EEESV_SW_SX_S14_S18_S1A_T6_T7_T9_mT8_S1C_bDpT10_ENKUlT_T0_E_clISt17integral_constantIbLb1EES1O_IbLb0EEEEDaS1K_S1L_EUlS1K_E_NS1_11comp_targetILNS1_3genE4ELNS1_11target_archE910ELNS1_3gpuE8ELNS1_3repE0EEENS1_30default_config_static_selectorELNS0_4arch9wavefront6targetE0EEEvSY_
    .private_segment_fixed_size: 0
    .sgpr_count:     0
    .sgpr_spill_count: 0
    .symbol:         _ZN7rocprim17ROCPRIM_400000_NS6detail17trampoline_kernelINS0_13select_configILj256ELj13ELNS0_17block_load_methodE3ELS4_3ELS4_3ELNS0_20block_scan_algorithmE0ELj4294967295EEENS1_25partition_config_selectorILNS1_17partition_subalgoE3EjNS0_10empty_typeEbEEZZNS1_14partition_implILS8_3ELb0ES6_jNS0_17counting_iteratorIjlEEPS9_SE_NS0_5tupleIJPjSE_EEENSF_IJSE_SE_EEES9_SG_JZNS1_25segmented_radix_sort_implINS0_14default_configELb1EPKdPdPKlPlN2at6native12_GLOBAL__N_18offset_tEEE10hipError_tPvRmT1_PNSt15iterator_traitsISY_E10value_typeET2_T3_PNSZ_IS14_E10value_typeET4_jRbjT5_S1A_jjP12ihipStream_tbEUljE_EEESV_SW_SX_S14_S18_S1A_T6_T7_T9_mT8_S1C_bDpT10_ENKUlT_T0_E_clISt17integral_constantIbLb1EES1O_IbLb0EEEEDaS1K_S1L_EUlS1K_E_NS1_11comp_targetILNS1_3genE4ELNS1_11target_archE910ELNS1_3gpuE8ELNS1_3repE0EEENS1_30default_config_static_selectorELNS0_4arch9wavefront6targetE0EEEvSY_.kd
    .uniform_work_group_size: 1
    .uses_dynamic_stack: false
    .vgpr_count:     0
    .vgpr_spill_count: 0
    .wavefront_size: 32
    .workgroup_processor_mode: 1
  - .args:
      - .offset:         0
        .size:           144
        .value_kind:     by_value
    .group_segment_fixed_size: 0
    .kernarg_segment_align: 8
    .kernarg_segment_size: 144
    .language:       OpenCL C
    .language_version:
      - 2
      - 0
    .max_flat_workgroup_size: 256
    .name:           _ZN7rocprim17ROCPRIM_400000_NS6detail17trampoline_kernelINS0_13select_configILj256ELj13ELNS0_17block_load_methodE3ELS4_3ELS4_3ELNS0_20block_scan_algorithmE0ELj4294967295EEENS1_25partition_config_selectorILNS1_17partition_subalgoE3EjNS0_10empty_typeEbEEZZNS1_14partition_implILS8_3ELb0ES6_jNS0_17counting_iteratorIjlEEPS9_SE_NS0_5tupleIJPjSE_EEENSF_IJSE_SE_EEES9_SG_JZNS1_25segmented_radix_sort_implINS0_14default_configELb1EPKdPdPKlPlN2at6native12_GLOBAL__N_18offset_tEEE10hipError_tPvRmT1_PNSt15iterator_traitsISY_E10value_typeET2_T3_PNSZ_IS14_E10value_typeET4_jRbjT5_S1A_jjP12ihipStream_tbEUljE_EEESV_SW_SX_S14_S18_S1A_T6_T7_T9_mT8_S1C_bDpT10_ENKUlT_T0_E_clISt17integral_constantIbLb1EES1O_IbLb0EEEEDaS1K_S1L_EUlS1K_E_NS1_11comp_targetILNS1_3genE3ELNS1_11target_archE908ELNS1_3gpuE7ELNS1_3repE0EEENS1_30default_config_static_selectorELNS0_4arch9wavefront6targetE0EEEvSY_
    .private_segment_fixed_size: 0
    .sgpr_count:     0
    .sgpr_spill_count: 0
    .symbol:         _ZN7rocprim17ROCPRIM_400000_NS6detail17trampoline_kernelINS0_13select_configILj256ELj13ELNS0_17block_load_methodE3ELS4_3ELS4_3ELNS0_20block_scan_algorithmE0ELj4294967295EEENS1_25partition_config_selectorILNS1_17partition_subalgoE3EjNS0_10empty_typeEbEEZZNS1_14partition_implILS8_3ELb0ES6_jNS0_17counting_iteratorIjlEEPS9_SE_NS0_5tupleIJPjSE_EEENSF_IJSE_SE_EEES9_SG_JZNS1_25segmented_radix_sort_implINS0_14default_configELb1EPKdPdPKlPlN2at6native12_GLOBAL__N_18offset_tEEE10hipError_tPvRmT1_PNSt15iterator_traitsISY_E10value_typeET2_T3_PNSZ_IS14_E10value_typeET4_jRbjT5_S1A_jjP12ihipStream_tbEUljE_EEESV_SW_SX_S14_S18_S1A_T6_T7_T9_mT8_S1C_bDpT10_ENKUlT_T0_E_clISt17integral_constantIbLb1EES1O_IbLb0EEEEDaS1K_S1L_EUlS1K_E_NS1_11comp_targetILNS1_3genE3ELNS1_11target_archE908ELNS1_3gpuE7ELNS1_3repE0EEENS1_30default_config_static_selectorELNS0_4arch9wavefront6targetE0EEEvSY_.kd
    .uniform_work_group_size: 1
    .uses_dynamic_stack: false
    .vgpr_count:     0
    .vgpr_spill_count: 0
    .wavefront_size: 32
    .workgroup_processor_mode: 1
  - .args:
      - .offset:         0
        .size:           144
        .value_kind:     by_value
    .group_segment_fixed_size: 0
    .kernarg_segment_align: 8
    .kernarg_segment_size: 144
    .language:       OpenCL C
    .language_version:
      - 2
      - 0
    .max_flat_workgroup_size: 256
    .name:           _ZN7rocprim17ROCPRIM_400000_NS6detail17trampoline_kernelINS0_13select_configILj256ELj13ELNS0_17block_load_methodE3ELS4_3ELS4_3ELNS0_20block_scan_algorithmE0ELj4294967295EEENS1_25partition_config_selectorILNS1_17partition_subalgoE3EjNS0_10empty_typeEbEEZZNS1_14partition_implILS8_3ELb0ES6_jNS0_17counting_iteratorIjlEEPS9_SE_NS0_5tupleIJPjSE_EEENSF_IJSE_SE_EEES9_SG_JZNS1_25segmented_radix_sort_implINS0_14default_configELb1EPKdPdPKlPlN2at6native12_GLOBAL__N_18offset_tEEE10hipError_tPvRmT1_PNSt15iterator_traitsISY_E10value_typeET2_T3_PNSZ_IS14_E10value_typeET4_jRbjT5_S1A_jjP12ihipStream_tbEUljE_EEESV_SW_SX_S14_S18_S1A_T6_T7_T9_mT8_S1C_bDpT10_ENKUlT_T0_E_clISt17integral_constantIbLb1EES1O_IbLb0EEEEDaS1K_S1L_EUlS1K_E_NS1_11comp_targetILNS1_3genE2ELNS1_11target_archE906ELNS1_3gpuE6ELNS1_3repE0EEENS1_30default_config_static_selectorELNS0_4arch9wavefront6targetE0EEEvSY_
    .private_segment_fixed_size: 0
    .sgpr_count:     0
    .sgpr_spill_count: 0
    .symbol:         _ZN7rocprim17ROCPRIM_400000_NS6detail17trampoline_kernelINS0_13select_configILj256ELj13ELNS0_17block_load_methodE3ELS4_3ELS4_3ELNS0_20block_scan_algorithmE0ELj4294967295EEENS1_25partition_config_selectorILNS1_17partition_subalgoE3EjNS0_10empty_typeEbEEZZNS1_14partition_implILS8_3ELb0ES6_jNS0_17counting_iteratorIjlEEPS9_SE_NS0_5tupleIJPjSE_EEENSF_IJSE_SE_EEES9_SG_JZNS1_25segmented_radix_sort_implINS0_14default_configELb1EPKdPdPKlPlN2at6native12_GLOBAL__N_18offset_tEEE10hipError_tPvRmT1_PNSt15iterator_traitsISY_E10value_typeET2_T3_PNSZ_IS14_E10value_typeET4_jRbjT5_S1A_jjP12ihipStream_tbEUljE_EEESV_SW_SX_S14_S18_S1A_T6_T7_T9_mT8_S1C_bDpT10_ENKUlT_T0_E_clISt17integral_constantIbLb1EES1O_IbLb0EEEEDaS1K_S1L_EUlS1K_E_NS1_11comp_targetILNS1_3genE2ELNS1_11target_archE906ELNS1_3gpuE6ELNS1_3repE0EEENS1_30default_config_static_selectorELNS0_4arch9wavefront6targetE0EEEvSY_.kd
    .uniform_work_group_size: 1
    .uses_dynamic_stack: false
    .vgpr_count:     0
    .vgpr_spill_count: 0
    .wavefront_size: 32
    .workgroup_processor_mode: 1
  - .args:
      - .offset:         0
        .size:           144
        .value_kind:     by_value
    .group_segment_fixed_size: 0
    .kernarg_segment_align: 8
    .kernarg_segment_size: 144
    .language:       OpenCL C
    .language_version:
      - 2
      - 0
    .max_flat_workgroup_size: 256
    .name:           _ZN7rocprim17ROCPRIM_400000_NS6detail17trampoline_kernelINS0_13select_configILj256ELj13ELNS0_17block_load_methodE3ELS4_3ELS4_3ELNS0_20block_scan_algorithmE0ELj4294967295EEENS1_25partition_config_selectorILNS1_17partition_subalgoE3EjNS0_10empty_typeEbEEZZNS1_14partition_implILS8_3ELb0ES6_jNS0_17counting_iteratorIjlEEPS9_SE_NS0_5tupleIJPjSE_EEENSF_IJSE_SE_EEES9_SG_JZNS1_25segmented_radix_sort_implINS0_14default_configELb1EPKdPdPKlPlN2at6native12_GLOBAL__N_18offset_tEEE10hipError_tPvRmT1_PNSt15iterator_traitsISY_E10value_typeET2_T3_PNSZ_IS14_E10value_typeET4_jRbjT5_S1A_jjP12ihipStream_tbEUljE_EEESV_SW_SX_S14_S18_S1A_T6_T7_T9_mT8_S1C_bDpT10_ENKUlT_T0_E_clISt17integral_constantIbLb1EES1O_IbLb0EEEEDaS1K_S1L_EUlS1K_E_NS1_11comp_targetILNS1_3genE10ELNS1_11target_archE1200ELNS1_3gpuE4ELNS1_3repE0EEENS1_30default_config_static_selectorELNS0_4arch9wavefront6targetE0EEEvSY_
    .private_segment_fixed_size: 0
    .sgpr_count:     0
    .sgpr_spill_count: 0
    .symbol:         _ZN7rocprim17ROCPRIM_400000_NS6detail17trampoline_kernelINS0_13select_configILj256ELj13ELNS0_17block_load_methodE3ELS4_3ELS4_3ELNS0_20block_scan_algorithmE0ELj4294967295EEENS1_25partition_config_selectorILNS1_17partition_subalgoE3EjNS0_10empty_typeEbEEZZNS1_14partition_implILS8_3ELb0ES6_jNS0_17counting_iteratorIjlEEPS9_SE_NS0_5tupleIJPjSE_EEENSF_IJSE_SE_EEES9_SG_JZNS1_25segmented_radix_sort_implINS0_14default_configELb1EPKdPdPKlPlN2at6native12_GLOBAL__N_18offset_tEEE10hipError_tPvRmT1_PNSt15iterator_traitsISY_E10value_typeET2_T3_PNSZ_IS14_E10value_typeET4_jRbjT5_S1A_jjP12ihipStream_tbEUljE_EEESV_SW_SX_S14_S18_S1A_T6_T7_T9_mT8_S1C_bDpT10_ENKUlT_T0_E_clISt17integral_constantIbLb1EES1O_IbLb0EEEEDaS1K_S1L_EUlS1K_E_NS1_11comp_targetILNS1_3genE10ELNS1_11target_archE1200ELNS1_3gpuE4ELNS1_3repE0EEENS1_30default_config_static_selectorELNS0_4arch9wavefront6targetE0EEEvSY_.kd
    .uniform_work_group_size: 1
    .uses_dynamic_stack: false
    .vgpr_count:     0
    .vgpr_spill_count: 0
    .wavefront_size: 32
    .workgroup_processor_mode: 1
  - .args:
      - .offset:         0
        .size:           144
        .value_kind:     by_value
    .group_segment_fixed_size: 0
    .kernarg_segment_align: 8
    .kernarg_segment_size: 144
    .language:       OpenCL C
    .language_version:
      - 2
      - 0
    .max_flat_workgroup_size: 256
    .name:           _ZN7rocprim17ROCPRIM_400000_NS6detail17trampoline_kernelINS0_13select_configILj256ELj13ELNS0_17block_load_methodE3ELS4_3ELS4_3ELNS0_20block_scan_algorithmE0ELj4294967295EEENS1_25partition_config_selectorILNS1_17partition_subalgoE3EjNS0_10empty_typeEbEEZZNS1_14partition_implILS8_3ELb0ES6_jNS0_17counting_iteratorIjlEEPS9_SE_NS0_5tupleIJPjSE_EEENSF_IJSE_SE_EEES9_SG_JZNS1_25segmented_radix_sort_implINS0_14default_configELb1EPKdPdPKlPlN2at6native12_GLOBAL__N_18offset_tEEE10hipError_tPvRmT1_PNSt15iterator_traitsISY_E10value_typeET2_T3_PNSZ_IS14_E10value_typeET4_jRbjT5_S1A_jjP12ihipStream_tbEUljE_EEESV_SW_SX_S14_S18_S1A_T6_T7_T9_mT8_S1C_bDpT10_ENKUlT_T0_E_clISt17integral_constantIbLb1EES1O_IbLb0EEEEDaS1K_S1L_EUlS1K_E_NS1_11comp_targetILNS1_3genE9ELNS1_11target_archE1100ELNS1_3gpuE3ELNS1_3repE0EEENS1_30default_config_static_selectorELNS0_4arch9wavefront6targetE0EEEvSY_
    .private_segment_fixed_size: 0
    .sgpr_count:     0
    .sgpr_spill_count: 0
    .symbol:         _ZN7rocprim17ROCPRIM_400000_NS6detail17trampoline_kernelINS0_13select_configILj256ELj13ELNS0_17block_load_methodE3ELS4_3ELS4_3ELNS0_20block_scan_algorithmE0ELj4294967295EEENS1_25partition_config_selectorILNS1_17partition_subalgoE3EjNS0_10empty_typeEbEEZZNS1_14partition_implILS8_3ELb0ES6_jNS0_17counting_iteratorIjlEEPS9_SE_NS0_5tupleIJPjSE_EEENSF_IJSE_SE_EEES9_SG_JZNS1_25segmented_radix_sort_implINS0_14default_configELb1EPKdPdPKlPlN2at6native12_GLOBAL__N_18offset_tEEE10hipError_tPvRmT1_PNSt15iterator_traitsISY_E10value_typeET2_T3_PNSZ_IS14_E10value_typeET4_jRbjT5_S1A_jjP12ihipStream_tbEUljE_EEESV_SW_SX_S14_S18_S1A_T6_T7_T9_mT8_S1C_bDpT10_ENKUlT_T0_E_clISt17integral_constantIbLb1EES1O_IbLb0EEEEDaS1K_S1L_EUlS1K_E_NS1_11comp_targetILNS1_3genE9ELNS1_11target_archE1100ELNS1_3gpuE3ELNS1_3repE0EEENS1_30default_config_static_selectorELNS0_4arch9wavefront6targetE0EEEvSY_.kd
    .uniform_work_group_size: 1
    .uses_dynamic_stack: false
    .vgpr_count:     0
    .vgpr_spill_count: 0
    .wavefront_size: 32
    .workgroup_processor_mode: 1
  - .args:
      - .offset:         0
        .size:           144
        .value_kind:     by_value
    .group_segment_fixed_size: 0
    .kernarg_segment_align: 8
    .kernarg_segment_size: 144
    .language:       OpenCL C
    .language_version:
      - 2
      - 0
    .max_flat_workgroup_size: 256
    .name:           _ZN7rocprim17ROCPRIM_400000_NS6detail17trampoline_kernelINS0_13select_configILj256ELj13ELNS0_17block_load_methodE3ELS4_3ELS4_3ELNS0_20block_scan_algorithmE0ELj4294967295EEENS1_25partition_config_selectorILNS1_17partition_subalgoE3EjNS0_10empty_typeEbEEZZNS1_14partition_implILS8_3ELb0ES6_jNS0_17counting_iteratorIjlEEPS9_SE_NS0_5tupleIJPjSE_EEENSF_IJSE_SE_EEES9_SG_JZNS1_25segmented_radix_sort_implINS0_14default_configELb1EPKdPdPKlPlN2at6native12_GLOBAL__N_18offset_tEEE10hipError_tPvRmT1_PNSt15iterator_traitsISY_E10value_typeET2_T3_PNSZ_IS14_E10value_typeET4_jRbjT5_S1A_jjP12ihipStream_tbEUljE_EEESV_SW_SX_S14_S18_S1A_T6_T7_T9_mT8_S1C_bDpT10_ENKUlT_T0_E_clISt17integral_constantIbLb1EES1O_IbLb0EEEEDaS1K_S1L_EUlS1K_E_NS1_11comp_targetILNS1_3genE8ELNS1_11target_archE1030ELNS1_3gpuE2ELNS1_3repE0EEENS1_30default_config_static_selectorELNS0_4arch9wavefront6targetE0EEEvSY_
    .private_segment_fixed_size: 0
    .sgpr_count:     0
    .sgpr_spill_count: 0
    .symbol:         _ZN7rocprim17ROCPRIM_400000_NS6detail17trampoline_kernelINS0_13select_configILj256ELj13ELNS0_17block_load_methodE3ELS4_3ELS4_3ELNS0_20block_scan_algorithmE0ELj4294967295EEENS1_25partition_config_selectorILNS1_17partition_subalgoE3EjNS0_10empty_typeEbEEZZNS1_14partition_implILS8_3ELb0ES6_jNS0_17counting_iteratorIjlEEPS9_SE_NS0_5tupleIJPjSE_EEENSF_IJSE_SE_EEES9_SG_JZNS1_25segmented_radix_sort_implINS0_14default_configELb1EPKdPdPKlPlN2at6native12_GLOBAL__N_18offset_tEEE10hipError_tPvRmT1_PNSt15iterator_traitsISY_E10value_typeET2_T3_PNSZ_IS14_E10value_typeET4_jRbjT5_S1A_jjP12ihipStream_tbEUljE_EEESV_SW_SX_S14_S18_S1A_T6_T7_T9_mT8_S1C_bDpT10_ENKUlT_T0_E_clISt17integral_constantIbLb1EES1O_IbLb0EEEEDaS1K_S1L_EUlS1K_E_NS1_11comp_targetILNS1_3genE8ELNS1_11target_archE1030ELNS1_3gpuE2ELNS1_3repE0EEENS1_30default_config_static_selectorELNS0_4arch9wavefront6targetE0EEEvSY_.kd
    .uniform_work_group_size: 1
    .uses_dynamic_stack: false
    .vgpr_count:     0
    .vgpr_spill_count: 0
    .wavefront_size: 32
    .workgroup_processor_mode: 1
  - .args:
      - .offset:         0
        .size:           152
        .value_kind:     by_value
    .group_segment_fixed_size: 0
    .kernarg_segment_align: 8
    .kernarg_segment_size: 152
    .language:       OpenCL C
    .language_version:
      - 2
      - 0
    .max_flat_workgroup_size: 256
    .name:           _ZN7rocprim17ROCPRIM_400000_NS6detail17trampoline_kernelINS0_13select_configILj256ELj13ELNS0_17block_load_methodE3ELS4_3ELS4_3ELNS0_20block_scan_algorithmE0ELj4294967295EEENS1_25partition_config_selectorILNS1_17partition_subalgoE3EjNS0_10empty_typeEbEEZZNS1_14partition_implILS8_3ELb0ES6_jNS0_17counting_iteratorIjlEEPS9_SE_NS0_5tupleIJPjSE_EEENSF_IJSE_SE_EEES9_SG_JZNS1_25segmented_radix_sort_implINS0_14default_configELb1EPKdPdPKlPlN2at6native12_GLOBAL__N_18offset_tEEE10hipError_tPvRmT1_PNSt15iterator_traitsISY_E10value_typeET2_T3_PNSZ_IS14_E10value_typeET4_jRbjT5_S1A_jjP12ihipStream_tbEUljE_EEESV_SW_SX_S14_S18_S1A_T6_T7_T9_mT8_S1C_bDpT10_ENKUlT_T0_E_clISt17integral_constantIbLb0EES1O_IbLb1EEEEDaS1K_S1L_EUlS1K_E_NS1_11comp_targetILNS1_3genE0ELNS1_11target_archE4294967295ELNS1_3gpuE0ELNS1_3repE0EEENS1_30default_config_static_selectorELNS0_4arch9wavefront6targetE0EEEvSY_
    .private_segment_fixed_size: 0
    .sgpr_count:     0
    .sgpr_spill_count: 0
    .symbol:         _ZN7rocprim17ROCPRIM_400000_NS6detail17trampoline_kernelINS0_13select_configILj256ELj13ELNS0_17block_load_methodE3ELS4_3ELS4_3ELNS0_20block_scan_algorithmE0ELj4294967295EEENS1_25partition_config_selectorILNS1_17partition_subalgoE3EjNS0_10empty_typeEbEEZZNS1_14partition_implILS8_3ELb0ES6_jNS0_17counting_iteratorIjlEEPS9_SE_NS0_5tupleIJPjSE_EEENSF_IJSE_SE_EEES9_SG_JZNS1_25segmented_radix_sort_implINS0_14default_configELb1EPKdPdPKlPlN2at6native12_GLOBAL__N_18offset_tEEE10hipError_tPvRmT1_PNSt15iterator_traitsISY_E10value_typeET2_T3_PNSZ_IS14_E10value_typeET4_jRbjT5_S1A_jjP12ihipStream_tbEUljE_EEESV_SW_SX_S14_S18_S1A_T6_T7_T9_mT8_S1C_bDpT10_ENKUlT_T0_E_clISt17integral_constantIbLb0EES1O_IbLb1EEEEDaS1K_S1L_EUlS1K_E_NS1_11comp_targetILNS1_3genE0ELNS1_11target_archE4294967295ELNS1_3gpuE0ELNS1_3repE0EEENS1_30default_config_static_selectorELNS0_4arch9wavefront6targetE0EEEvSY_.kd
    .uniform_work_group_size: 1
    .uses_dynamic_stack: false
    .vgpr_count:     0
    .vgpr_spill_count: 0
    .wavefront_size: 32
    .workgroup_processor_mode: 1
  - .args:
      - .offset:         0
        .size:           152
        .value_kind:     by_value
    .group_segment_fixed_size: 0
    .kernarg_segment_align: 8
    .kernarg_segment_size: 152
    .language:       OpenCL C
    .language_version:
      - 2
      - 0
    .max_flat_workgroup_size: 256
    .name:           _ZN7rocprim17ROCPRIM_400000_NS6detail17trampoline_kernelINS0_13select_configILj256ELj13ELNS0_17block_load_methodE3ELS4_3ELS4_3ELNS0_20block_scan_algorithmE0ELj4294967295EEENS1_25partition_config_selectorILNS1_17partition_subalgoE3EjNS0_10empty_typeEbEEZZNS1_14partition_implILS8_3ELb0ES6_jNS0_17counting_iteratorIjlEEPS9_SE_NS0_5tupleIJPjSE_EEENSF_IJSE_SE_EEES9_SG_JZNS1_25segmented_radix_sort_implINS0_14default_configELb1EPKdPdPKlPlN2at6native12_GLOBAL__N_18offset_tEEE10hipError_tPvRmT1_PNSt15iterator_traitsISY_E10value_typeET2_T3_PNSZ_IS14_E10value_typeET4_jRbjT5_S1A_jjP12ihipStream_tbEUljE_EEESV_SW_SX_S14_S18_S1A_T6_T7_T9_mT8_S1C_bDpT10_ENKUlT_T0_E_clISt17integral_constantIbLb0EES1O_IbLb1EEEEDaS1K_S1L_EUlS1K_E_NS1_11comp_targetILNS1_3genE5ELNS1_11target_archE942ELNS1_3gpuE9ELNS1_3repE0EEENS1_30default_config_static_selectorELNS0_4arch9wavefront6targetE0EEEvSY_
    .private_segment_fixed_size: 0
    .sgpr_count:     0
    .sgpr_spill_count: 0
    .symbol:         _ZN7rocprim17ROCPRIM_400000_NS6detail17trampoline_kernelINS0_13select_configILj256ELj13ELNS0_17block_load_methodE3ELS4_3ELS4_3ELNS0_20block_scan_algorithmE0ELj4294967295EEENS1_25partition_config_selectorILNS1_17partition_subalgoE3EjNS0_10empty_typeEbEEZZNS1_14partition_implILS8_3ELb0ES6_jNS0_17counting_iteratorIjlEEPS9_SE_NS0_5tupleIJPjSE_EEENSF_IJSE_SE_EEES9_SG_JZNS1_25segmented_radix_sort_implINS0_14default_configELb1EPKdPdPKlPlN2at6native12_GLOBAL__N_18offset_tEEE10hipError_tPvRmT1_PNSt15iterator_traitsISY_E10value_typeET2_T3_PNSZ_IS14_E10value_typeET4_jRbjT5_S1A_jjP12ihipStream_tbEUljE_EEESV_SW_SX_S14_S18_S1A_T6_T7_T9_mT8_S1C_bDpT10_ENKUlT_T0_E_clISt17integral_constantIbLb0EES1O_IbLb1EEEEDaS1K_S1L_EUlS1K_E_NS1_11comp_targetILNS1_3genE5ELNS1_11target_archE942ELNS1_3gpuE9ELNS1_3repE0EEENS1_30default_config_static_selectorELNS0_4arch9wavefront6targetE0EEEvSY_.kd
    .uniform_work_group_size: 1
    .uses_dynamic_stack: false
    .vgpr_count:     0
    .vgpr_spill_count: 0
    .wavefront_size: 32
    .workgroup_processor_mode: 1
  - .args:
      - .offset:         0
        .size:           152
        .value_kind:     by_value
    .group_segment_fixed_size: 0
    .kernarg_segment_align: 8
    .kernarg_segment_size: 152
    .language:       OpenCL C
    .language_version:
      - 2
      - 0
    .max_flat_workgroup_size: 256
    .name:           _ZN7rocprim17ROCPRIM_400000_NS6detail17trampoline_kernelINS0_13select_configILj256ELj13ELNS0_17block_load_methodE3ELS4_3ELS4_3ELNS0_20block_scan_algorithmE0ELj4294967295EEENS1_25partition_config_selectorILNS1_17partition_subalgoE3EjNS0_10empty_typeEbEEZZNS1_14partition_implILS8_3ELb0ES6_jNS0_17counting_iteratorIjlEEPS9_SE_NS0_5tupleIJPjSE_EEENSF_IJSE_SE_EEES9_SG_JZNS1_25segmented_radix_sort_implINS0_14default_configELb1EPKdPdPKlPlN2at6native12_GLOBAL__N_18offset_tEEE10hipError_tPvRmT1_PNSt15iterator_traitsISY_E10value_typeET2_T3_PNSZ_IS14_E10value_typeET4_jRbjT5_S1A_jjP12ihipStream_tbEUljE_EEESV_SW_SX_S14_S18_S1A_T6_T7_T9_mT8_S1C_bDpT10_ENKUlT_T0_E_clISt17integral_constantIbLb0EES1O_IbLb1EEEEDaS1K_S1L_EUlS1K_E_NS1_11comp_targetILNS1_3genE4ELNS1_11target_archE910ELNS1_3gpuE8ELNS1_3repE0EEENS1_30default_config_static_selectorELNS0_4arch9wavefront6targetE0EEEvSY_
    .private_segment_fixed_size: 0
    .sgpr_count:     0
    .sgpr_spill_count: 0
    .symbol:         _ZN7rocprim17ROCPRIM_400000_NS6detail17trampoline_kernelINS0_13select_configILj256ELj13ELNS0_17block_load_methodE3ELS4_3ELS4_3ELNS0_20block_scan_algorithmE0ELj4294967295EEENS1_25partition_config_selectorILNS1_17partition_subalgoE3EjNS0_10empty_typeEbEEZZNS1_14partition_implILS8_3ELb0ES6_jNS0_17counting_iteratorIjlEEPS9_SE_NS0_5tupleIJPjSE_EEENSF_IJSE_SE_EEES9_SG_JZNS1_25segmented_radix_sort_implINS0_14default_configELb1EPKdPdPKlPlN2at6native12_GLOBAL__N_18offset_tEEE10hipError_tPvRmT1_PNSt15iterator_traitsISY_E10value_typeET2_T3_PNSZ_IS14_E10value_typeET4_jRbjT5_S1A_jjP12ihipStream_tbEUljE_EEESV_SW_SX_S14_S18_S1A_T6_T7_T9_mT8_S1C_bDpT10_ENKUlT_T0_E_clISt17integral_constantIbLb0EES1O_IbLb1EEEEDaS1K_S1L_EUlS1K_E_NS1_11comp_targetILNS1_3genE4ELNS1_11target_archE910ELNS1_3gpuE8ELNS1_3repE0EEENS1_30default_config_static_selectorELNS0_4arch9wavefront6targetE0EEEvSY_.kd
    .uniform_work_group_size: 1
    .uses_dynamic_stack: false
    .vgpr_count:     0
    .vgpr_spill_count: 0
    .wavefront_size: 32
    .workgroup_processor_mode: 1
  - .args:
      - .offset:         0
        .size:           152
        .value_kind:     by_value
    .group_segment_fixed_size: 0
    .kernarg_segment_align: 8
    .kernarg_segment_size: 152
    .language:       OpenCL C
    .language_version:
      - 2
      - 0
    .max_flat_workgroup_size: 256
    .name:           _ZN7rocprim17ROCPRIM_400000_NS6detail17trampoline_kernelINS0_13select_configILj256ELj13ELNS0_17block_load_methodE3ELS4_3ELS4_3ELNS0_20block_scan_algorithmE0ELj4294967295EEENS1_25partition_config_selectorILNS1_17partition_subalgoE3EjNS0_10empty_typeEbEEZZNS1_14partition_implILS8_3ELb0ES6_jNS0_17counting_iteratorIjlEEPS9_SE_NS0_5tupleIJPjSE_EEENSF_IJSE_SE_EEES9_SG_JZNS1_25segmented_radix_sort_implINS0_14default_configELb1EPKdPdPKlPlN2at6native12_GLOBAL__N_18offset_tEEE10hipError_tPvRmT1_PNSt15iterator_traitsISY_E10value_typeET2_T3_PNSZ_IS14_E10value_typeET4_jRbjT5_S1A_jjP12ihipStream_tbEUljE_EEESV_SW_SX_S14_S18_S1A_T6_T7_T9_mT8_S1C_bDpT10_ENKUlT_T0_E_clISt17integral_constantIbLb0EES1O_IbLb1EEEEDaS1K_S1L_EUlS1K_E_NS1_11comp_targetILNS1_3genE3ELNS1_11target_archE908ELNS1_3gpuE7ELNS1_3repE0EEENS1_30default_config_static_selectorELNS0_4arch9wavefront6targetE0EEEvSY_
    .private_segment_fixed_size: 0
    .sgpr_count:     0
    .sgpr_spill_count: 0
    .symbol:         _ZN7rocprim17ROCPRIM_400000_NS6detail17trampoline_kernelINS0_13select_configILj256ELj13ELNS0_17block_load_methodE3ELS4_3ELS4_3ELNS0_20block_scan_algorithmE0ELj4294967295EEENS1_25partition_config_selectorILNS1_17partition_subalgoE3EjNS0_10empty_typeEbEEZZNS1_14partition_implILS8_3ELb0ES6_jNS0_17counting_iteratorIjlEEPS9_SE_NS0_5tupleIJPjSE_EEENSF_IJSE_SE_EEES9_SG_JZNS1_25segmented_radix_sort_implINS0_14default_configELb1EPKdPdPKlPlN2at6native12_GLOBAL__N_18offset_tEEE10hipError_tPvRmT1_PNSt15iterator_traitsISY_E10value_typeET2_T3_PNSZ_IS14_E10value_typeET4_jRbjT5_S1A_jjP12ihipStream_tbEUljE_EEESV_SW_SX_S14_S18_S1A_T6_T7_T9_mT8_S1C_bDpT10_ENKUlT_T0_E_clISt17integral_constantIbLb0EES1O_IbLb1EEEEDaS1K_S1L_EUlS1K_E_NS1_11comp_targetILNS1_3genE3ELNS1_11target_archE908ELNS1_3gpuE7ELNS1_3repE0EEENS1_30default_config_static_selectorELNS0_4arch9wavefront6targetE0EEEvSY_.kd
    .uniform_work_group_size: 1
    .uses_dynamic_stack: false
    .vgpr_count:     0
    .vgpr_spill_count: 0
    .wavefront_size: 32
    .workgroup_processor_mode: 1
  - .args:
      - .offset:         0
        .size:           152
        .value_kind:     by_value
    .group_segment_fixed_size: 0
    .kernarg_segment_align: 8
    .kernarg_segment_size: 152
    .language:       OpenCL C
    .language_version:
      - 2
      - 0
    .max_flat_workgroup_size: 256
    .name:           _ZN7rocprim17ROCPRIM_400000_NS6detail17trampoline_kernelINS0_13select_configILj256ELj13ELNS0_17block_load_methodE3ELS4_3ELS4_3ELNS0_20block_scan_algorithmE0ELj4294967295EEENS1_25partition_config_selectorILNS1_17partition_subalgoE3EjNS0_10empty_typeEbEEZZNS1_14partition_implILS8_3ELb0ES6_jNS0_17counting_iteratorIjlEEPS9_SE_NS0_5tupleIJPjSE_EEENSF_IJSE_SE_EEES9_SG_JZNS1_25segmented_radix_sort_implINS0_14default_configELb1EPKdPdPKlPlN2at6native12_GLOBAL__N_18offset_tEEE10hipError_tPvRmT1_PNSt15iterator_traitsISY_E10value_typeET2_T3_PNSZ_IS14_E10value_typeET4_jRbjT5_S1A_jjP12ihipStream_tbEUljE_EEESV_SW_SX_S14_S18_S1A_T6_T7_T9_mT8_S1C_bDpT10_ENKUlT_T0_E_clISt17integral_constantIbLb0EES1O_IbLb1EEEEDaS1K_S1L_EUlS1K_E_NS1_11comp_targetILNS1_3genE2ELNS1_11target_archE906ELNS1_3gpuE6ELNS1_3repE0EEENS1_30default_config_static_selectorELNS0_4arch9wavefront6targetE0EEEvSY_
    .private_segment_fixed_size: 0
    .sgpr_count:     0
    .sgpr_spill_count: 0
    .symbol:         _ZN7rocprim17ROCPRIM_400000_NS6detail17trampoline_kernelINS0_13select_configILj256ELj13ELNS0_17block_load_methodE3ELS4_3ELS4_3ELNS0_20block_scan_algorithmE0ELj4294967295EEENS1_25partition_config_selectorILNS1_17partition_subalgoE3EjNS0_10empty_typeEbEEZZNS1_14partition_implILS8_3ELb0ES6_jNS0_17counting_iteratorIjlEEPS9_SE_NS0_5tupleIJPjSE_EEENSF_IJSE_SE_EEES9_SG_JZNS1_25segmented_radix_sort_implINS0_14default_configELb1EPKdPdPKlPlN2at6native12_GLOBAL__N_18offset_tEEE10hipError_tPvRmT1_PNSt15iterator_traitsISY_E10value_typeET2_T3_PNSZ_IS14_E10value_typeET4_jRbjT5_S1A_jjP12ihipStream_tbEUljE_EEESV_SW_SX_S14_S18_S1A_T6_T7_T9_mT8_S1C_bDpT10_ENKUlT_T0_E_clISt17integral_constantIbLb0EES1O_IbLb1EEEEDaS1K_S1L_EUlS1K_E_NS1_11comp_targetILNS1_3genE2ELNS1_11target_archE906ELNS1_3gpuE6ELNS1_3repE0EEENS1_30default_config_static_selectorELNS0_4arch9wavefront6targetE0EEEvSY_.kd
    .uniform_work_group_size: 1
    .uses_dynamic_stack: false
    .vgpr_count:     0
    .vgpr_spill_count: 0
    .wavefront_size: 32
    .workgroup_processor_mode: 1
  - .args:
      - .offset:         0
        .size:           152
        .value_kind:     by_value
    .group_segment_fixed_size: 0
    .kernarg_segment_align: 8
    .kernarg_segment_size: 152
    .language:       OpenCL C
    .language_version:
      - 2
      - 0
    .max_flat_workgroup_size: 256
    .name:           _ZN7rocprim17ROCPRIM_400000_NS6detail17trampoline_kernelINS0_13select_configILj256ELj13ELNS0_17block_load_methodE3ELS4_3ELS4_3ELNS0_20block_scan_algorithmE0ELj4294967295EEENS1_25partition_config_selectorILNS1_17partition_subalgoE3EjNS0_10empty_typeEbEEZZNS1_14partition_implILS8_3ELb0ES6_jNS0_17counting_iteratorIjlEEPS9_SE_NS0_5tupleIJPjSE_EEENSF_IJSE_SE_EEES9_SG_JZNS1_25segmented_radix_sort_implINS0_14default_configELb1EPKdPdPKlPlN2at6native12_GLOBAL__N_18offset_tEEE10hipError_tPvRmT1_PNSt15iterator_traitsISY_E10value_typeET2_T3_PNSZ_IS14_E10value_typeET4_jRbjT5_S1A_jjP12ihipStream_tbEUljE_EEESV_SW_SX_S14_S18_S1A_T6_T7_T9_mT8_S1C_bDpT10_ENKUlT_T0_E_clISt17integral_constantIbLb0EES1O_IbLb1EEEEDaS1K_S1L_EUlS1K_E_NS1_11comp_targetILNS1_3genE10ELNS1_11target_archE1200ELNS1_3gpuE4ELNS1_3repE0EEENS1_30default_config_static_selectorELNS0_4arch9wavefront6targetE0EEEvSY_
    .private_segment_fixed_size: 0
    .sgpr_count:     0
    .sgpr_spill_count: 0
    .symbol:         _ZN7rocprim17ROCPRIM_400000_NS6detail17trampoline_kernelINS0_13select_configILj256ELj13ELNS0_17block_load_methodE3ELS4_3ELS4_3ELNS0_20block_scan_algorithmE0ELj4294967295EEENS1_25partition_config_selectorILNS1_17partition_subalgoE3EjNS0_10empty_typeEbEEZZNS1_14partition_implILS8_3ELb0ES6_jNS0_17counting_iteratorIjlEEPS9_SE_NS0_5tupleIJPjSE_EEENSF_IJSE_SE_EEES9_SG_JZNS1_25segmented_radix_sort_implINS0_14default_configELb1EPKdPdPKlPlN2at6native12_GLOBAL__N_18offset_tEEE10hipError_tPvRmT1_PNSt15iterator_traitsISY_E10value_typeET2_T3_PNSZ_IS14_E10value_typeET4_jRbjT5_S1A_jjP12ihipStream_tbEUljE_EEESV_SW_SX_S14_S18_S1A_T6_T7_T9_mT8_S1C_bDpT10_ENKUlT_T0_E_clISt17integral_constantIbLb0EES1O_IbLb1EEEEDaS1K_S1L_EUlS1K_E_NS1_11comp_targetILNS1_3genE10ELNS1_11target_archE1200ELNS1_3gpuE4ELNS1_3repE0EEENS1_30default_config_static_selectorELNS0_4arch9wavefront6targetE0EEEvSY_.kd
    .uniform_work_group_size: 1
    .uses_dynamic_stack: false
    .vgpr_count:     0
    .vgpr_spill_count: 0
    .wavefront_size: 32
    .workgroup_processor_mode: 1
  - .args:
      - .offset:         0
        .size:           152
        .value_kind:     by_value
    .group_segment_fixed_size: 0
    .kernarg_segment_align: 8
    .kernarg_segment_size: 152
    .language:       OpenCL C
    .language_version:
      - 2
      - 0
    .max_flat_workgroup_size: 256
    .name:           _ZN7rocprim17ROCPRIM_400000_NS6detail17trampoline_kernelINS0_13select_configILj256ELj13ELNS0_17block_load_methodE3ELS4_3ELS4_3ELNS0_20block_scan_algorithmE0ELj4294967295EEENS1_25partition_config_selectorILNS1_17partition_subalgoE3EjNS0_10empty_typeEbEEZZNS1_14partition_implILS8_3ELb0ES6_jNS0_17counting_iteratorIjlEEPS9_SE_NS0_5tupleIJPjSE_EEENSF_IJSE_SE_EEES9_SG_JZNS1_25segmented_radix_sort_implINS0_14default_configELb1EPKdPdPKlPlN2at6native12_GLOBAL__N_18offset_tEEE10hipError_tPvRmT1_PNSt15iterator_traitsISY_E10value_typeET2_T3_PNSZ_IS14_E10value_typeET4_jRbjT5_S1A_jjP12ihipStream_tbEUljE_EEESV_SW_SX_S14_S18_S1A_T6_T7_T9_mT8_S1C_bDpT10_ENKUlT_T0_E_clISt17integral_constantIbLb0EES1O_IbLb1EEEEDaS1K_S1L_EUlS1K_E_NS1_11comp_targetILNS1_3genE9ELNS1_11target_archE1100ELNS1_3gpuE3ELNS1_3repE0EEENS1_30default_config_static_selectorELNS0_4arch9wavefront6targetE0EEEvSY_
    .private_segment_fixed_size: 0
    .sgpr_count:     0
    .sgpr_spill_count: 0
    .symbol:         _ZN7rocprim17ROCPRIM_400000_NS6detail17trampoline_kernelINS0_13select_configILj256ELj13ELNS0_17block_load_methodE3ELS4_3ELS4_3ELNS0_20block_scan_algorithmE0ELj4294967295EEENS1_25partition_config_selectorILNS1_17partition_subalgoE3EjNS0_10empty_typeEbEEZZNS1_14partition_implILS8_3ELb0ES6_jNS0_17counting_iteratorIjlEEPS9_SE_NS0_5tupleIJPjSE_EEENSF_IJSE_SE_EEES9_SG_JZNS1_25segmented_radix_sort_implINS0_14default_configELb1EPKdPdPKlPlN2at6native12_GLOBAL__N_18offset_tEEE10hipError_tPvRmT1_PNSt15iterator_traitsISY_E10value_typeET2_T3_PNSZ_IS14_E10value_typeET4_jRbjT5_S1A_jjP12ihipStream_tbEUljE_EEESV_SW_SX_S14_S18_S1A_T6_T7_T9_mT8_S1C_bDpT10_ENKUlT_T0_E_clISt17integral_constantIbLb0EES1O_IbLb1EEEEDaS1K_S1L_EUlS1K_E_NS1_11comp_targetILNS1_3genE9ELNS1_11target_archE1100ELNS1_3gpuE3ELNS1_3repE0EEENS1_30default_config_static_selectorELNS0_4arch9wavefront6targetE0EEEvSY_.kd
    .uniform_work_group_size: 1
    .uses_dynamic_stack: false
    .vgpr_count:     0
    .vgpr_spill_count: 0
    .wavefront_size: 32
    .workgroup_processor_mode: 1
  - .args:
      - .offset:         0
        .size:           152
        .value_kind:     by_value
    .group_segment_fixed_size: 13320
    .kernarg_segment_align: 8
    .kernarg_segment_size: 152
    .language:       OpenCL C
    .language_version:
      - 2
      - 0
    .max_flat_workgroup_size: 256
    .name:           _ZN7rocprim17ROCPRIM_400000_NS6detail17trampoline_kernelINS0_13select_configILj256ELj13ELNS0_17block_load_methodE3ELS4_3ELS4_3ELNS0_20block_scan_algorithmE0ELj4294967295EEENS1_25partition_config_selectorILNS1_17partition_subalgoE3EjNS0_10empty_typeEbEEZZNS1_14partition_implILS8_3ELb0ES6_jNS0_17counting_iteratorIjlEEPS9_SE_NS0_5tupleIJPjSE_EEENSF_IJSE_SE_EEES9_SG_JZNS1_25segmented_radix_sort_implINS0_14default_configELb1EPKdPdPKlPlN2at6native12_GLOBAL__N_18offset_tEEE10hipError_tPvRmT1_PNSt15iterator_traitsISY_E10value_typeET2_T3_PNSZ_IS14_E10value_typeET4_jRbjT5_S1A_jjP12ihipStream_tbEUljE_EEESV_SW_SX_S14_S18_S1A_T6_T7_T9_mT8_S1C_bDpT10_ENKUlT_T0_E_clISt17integral_constantIbLb0EES1O_IbLb1EEEEDaS1K_S1L_EUlS1K_E_NS1_11comp_targetILNS1_3genE8ELNS1_11target_archE1030ELNS1_3gpuE2ELNS1_3repE0EEENS1_30default_config_static_selectorELNS0_4arch9wavefront6targetE0EEEvSY_
    .private_segment_fixed_size: 0
    .sgpr_count:     28
    .sgpr_spill_count: 0
    .symbol:         _ZN7rocprim17ROCPRIM_400000_NS6detail17trampoline_kernelINS0_13select_configILj256ELj13ELNS0_17block_load_methodE3ELS4_3ELS4_3ELNS0_20block_scan_algorithmE0ELj4294967295EEENS1_25partition_config_selectorILNS1_17partition_subalgoE3EjNS0_10empty_typeEbEEZZNS1_14partition_implILS8_3ELb0ES6_jNS0_17counting_iteratorIjlEEPS9_SE_NS0_5tupleIJPjSE_EEENSF_IJSE_SE_EEES9_SG_JZNS1_25segmented_radix_sort_implINS0_14default_configELb1EPKdPdPKlPlN2at6native12_GLOBAL__N_18offset_tEEE10hipError_tPvRmT1_PNSt15iterator_traitsISY_E10value_typeET2_T3_PNSZ_IS14_E10value_typeET4_jRbjT5_S1A_jjP12ihipStream_tbEUljE_EEESV_SW_SX_S14_S18_S1A_T6_T7_T9_mT8_S1C_bDpT10_ENKUlT_T0_E_clISt17integral_constantIbLb0EES1O_IbLb1EEEEDaS1K_S1L_EUlS1K_E_NS1_11comp_targetILNS1_3genE8ELNS1_11target_archE1030ELNS1_3gpuE2ELNS1_3repE0EEENS1_30default_config_static_selectorELNS0_4arch9wavefront6targetE0EEEvSY_.kd
    .uniform_work_group_size: 1
    .uses_dynamic_stack: false
    .vgpr_count:     71
    .vgpr_spill_count: 0
    .wavefront_size: 32
    .workgroup_processor_mode: 1
  - .args:
      - .offset:         0
        .size:           96
        .value_kind:     by_value
    .group_segment_fixed_size: 0
    .kernarg_segment_align: 8
    .kernarg_segment_size: 96
    .language:       OpenCL C
    .language_version:
      - 2
      - 0
    .max_flat_workgroup_size: 256
    .name:           _ZN7rocprim17ROCPRIM_400000_NS6detail17trampoline_kernelINS0_14default_configENS1_36segmented_radix_sort_config_selectorIdlEEZNS1_25segmented_radix_sort_implIS3_Lb1EPKdPdPKlPlN2at6native12_GLOBAL__N_18offset_tEEE10hipError_tPvRmT1_PNSt15iterator_traitsISK_E10value_typeET2_T3_PNSL_ISQ_E10value_typeET4_jRbjT5_SW_jjP12ihipStream_tbEUlT_E_NS1_11comp_targetILNS1_3genE0ELNS1_11target_archE4294967295ELNS1_3gpuE0ELNS1_3repE0EEENS1_30default_config_static_selectorELNS0_4arch9wavefront6targetE0EEEvSK_
    .private_segment_fixed_size: 0
    .sgpr_count:     0
    .sgpr_spill_count: 0
    .symbol:         _ZN7rocprim17ROCPRIM_400000_NS6detail17trampoline_kernelINS0_14default_configENS1_36segmented_radix_sort_config_selectorIdlEEZNS1_25segmented_radix_sort_implIS3_Lb1EPKdPdPKlPlN2at6native12_GLOBAL__N_18offset_tEEE10hipError_tPvRmT1_PNSt15iterator_traitsISK_E10value_typeET2_T3_PNSL_ISQ_E10value_typeET4_jRbjT5_SW_jjP12ihipStream_tbEUlT_E_NS1_11comp_targetILNS1_3genE0ELNS1_11target_archE4294967295ELNS1_3gpuE0ELNS1_3repE0EEENS1_30default_config_static_selectorELNS0_4arch9wavefront6targetE0EEEvSK_.kd
    .uniform_work_group_size: 1
    .uses_dynamic_stack: false
    .vgpr_count:     0
    .vgpr_spill_count: 0
    .wavefront_size: 32
    .workgroup_processor_mode: 1
  - .args:
      - .offset:         0
        .size:           96
        .value_kind:     by_value
    .group_segment_fixed_size: 0
    .kernarg_segment_align: 8
    .kernarg_segment_size: 96
    .language:       OpenCL C
    .language_version:
      - 2
      - 0
    .max_flat_workgroup_size: 256
    .name:           _ZN7rocprim17ROCPRIM_400000_NS6detail17trampoline_kernelINS0_14default_configENS1_36segmented_radix_sort_config_selectorIdlEEZNS1_25segmented_radix_sort_implIS3_Lb1EPKdPdPKlPlN2at6native12_GLOBAL__N_18offset_tEEE10hipError_tPvRmT1_PNSt15iterator_traitsISK_E10value_typeET2_T3_PNSL_ISQ_E10value_typeET4_jRbjT5_SW_jjP12ihipStream_tbEUlT_E_NS1_11comp_targetILNS1_3genE5ELNS1_11target_archE942ELNS1_3gpuE9ELNS1_3repE0EEENS1_30default_config_static_selectorELNS0_4arch9wavefront6targetE0EEEvSK_
    .private_segment_fixed_size: 0
    .sgpr_count:     0
    .sgpr_spill_count: 0
    .symbol:         _ZN7rocprim17ROCPRIM_400000_NS6detail17trampoline_kernelINS0_14default_configENS1_36segmented_radix_sort_config_selectorIdlEEZNS1_25segmented_radix_sort_implIS3_Lb1EPKdPdPKlPlN2at6native12_GLOBAL__N_18offset_tEEE10hipError_tPvRmT1_PNSt15iterator_traitsISK_E10value_typeET2_T3_PNSL_ISQ_E10value_typeET4_jRbjT5_SW_jjP12ihipStream_tbEUlT_E_NS1_11comp_targetILNS1_3genE5ELNS1_11target_archE942ELNS1_3gpuE9ELNS1_3repE0EEENS1_30default_config_static_selectorELNS0_4arch9wavefront6targetE0EEEvSK_.kd
    .uniform_work_group_size: 1
    .uses_dynamic_stack: false
    .vgpr_count:     0
    .vgpr_spill_count: 0
    .wavefront_size: 32
    .workgroup_processor_mode: 1
  - .args:
      - .offset:         0
        .size:           96
        .value_kind:     by_value
    .group_segment_fixed_size: 0
    .kernarg_segment_align: 8
    .kernarg_segment_size: 96
    .language:       OpenCL C
    .language_version:
      - 2
      - 0
    .max_flat_workgroup_size: 256
    .name:           _ZN7rocprim17ROCPRIM_400000_NS6detail17trampoline_kernelINS0_14default_configENS1_36segmented_radix_sort_config_selectorIdlEEZNS1_25segmented_radix_sort_implIS3_Lb1EPKdPdPKlPlN2at6native12_GLOBAL__N_18offset_tEEE10hipError_tPvRmT1_PNSt15iterator_traitsISK_E10value_typeET2_T3_PNSL_ISQ_E10value_typeET4_jRbjT5_SW_jjP12ihipStream_tbEUlT_E_NS1_11comp_targetILNS1_3genE4ELNS1_11target_archE910ELNS1_3gpuE8ELNS1_3repE0EEENS1_30default_config_static_selectorELNS0_4arch9wavefront6targetE0EEEvSK_
    .private_segment_fixed_size: 0
    .sgpr_count:     0
    .sgpr_spill_count: 0
    .symbol:         _ZN7rocprim17ROCPRIM_400000_NS6detail17trampoline_kernelINS0_14default_configENS1_36segmented_radix_sort_config_selectorIdlEEZNS1_25segmented_radix_sort_implIS3_Lb1EPKdPdPKlPlN2at6native12_GLOBAL__N_18offset_tEEE10hipError_tPvRmT1_PNSt15iterator_traitsISK_E10value_typeET2_T3_PNSL_ISQ_E10value_typeET4_jRbjT5_SW_jjP12ihipStream_tbEUlT_E_NS1_11comp_targetILNS1_3genE4ELNS1_11target_archE910ELNS1_3gpuE8ELNS1_3repE0EEENS1_30default_config_static_selectorELNS0_4arch9wavefront6targetE0EEEvSK_.kd
    .uniform_work_group_size: 1
    .uses_dynamic_stack: false
    .vgpr_count:     0
    .vgpr_spill_count: 0
    .wavefront_size: 32
    .workgroup_processor_mode: 1
  - .args:
      - .offset:         0
        .size:           96
        .value_kind:     by_value
    .group_segment_fixed_size: 0
    .kernarg_segment_align: 8
    .kernarg_segment_size: 96
    .language:       OpenCL C
    .language_version:
      - 2
      - 0
    .max_flat_workgroup_size: 256
    .name:           _ZN7rocprim17ROCPRIM_400000_NS6detail17trampoline_kernelINS0_14default_configENS1_36segmented_radix_sort_config_selectorIdlEEZNS1_25segmented_radix_sort_implIS3_Lb1EPKdPdPKlPlN2at6native12_GLOBAL__N_18offset_tEEE10hipError_tPvRmT1_PNSt15iterator_traitsISK_E10value_typeET2_T3_PNSL_ISQ_E10value_typeET4_jRbjT5_SW_jjP12ihipStream_tbEUlT_E_NS1_11comp_targetILNS1_3genE3ELNS1_11target_archE908ELNS1_3gpuE7ELNS1_3repE0EEENS1_30default_config_static_selectorELNS0_4arch9wavefront6targetE0EEEvSK_
    .private_segment_fixed_size: 0
    .sgpr_count:     0
    .sgpr_spill_count: 0
    .symbol:         _ZN7rocprim17ROCPRIM_400000_NS6detail17trampoline_kernelINS0_14default_configENS1_36segmented_radix_sort_config_selectorIdlEEZNS1_25segmented_radix_sort_implIS3_Lb1EPKdPdPKlPlN2at6native12_GLOBAL__N_18offset_tEEE10hipError_tPvRmT1_PNSt15iterator_traitsISK_E10value_typeET2_T3_PNSL_ISQ_E10value_typeET4_jRbjT5_SW_jjP12ihipStream_tbEUlT_E_NS1_11comp_targetILNS1_3genE3ELNS1_11target_archE908ELNS1_3gpuE7ELNS1_3repE0EEENS1_30default_config_static_selectorELNS0_4arch9wavefront6targetE0EEEvSK_.kd
    .uniform_work_group_size: 1
    .uses_dynamic_stack: false
    .vgpr_count:     0
    .vgpr_spill_count: 0
    .wavefront_size: 32
    .workgroup_processor_mode: 1
  - .args:
      - .offset:         0
        .size:           96
        .value_kind:     by_value
    .group_segment_fixed_size: 0
    .kernarg_segment_align: 8
    .kernarg_segment_size: 96
    .language:       OpenCL C
    .language_version:
      - 2
      - 0
    .max_flat_workgroup_size: 256
    .name:           _ZN7rocprim17ROCPRIM_400000_NS6detail17trampoline_kernelINS0_14default_configENS1_36segmented_radix_sort_config_selectorIdlEEZNS1_25segmented_radix_sort_implIS3_Lb1EPKdPdPKlPlN2at6native12_GLOBAL__N_18offset_tEEE10hipError_tPvRmT1_PNSt15iterator_traitsISK_E10value_typeET2_T3_PNSL_ISQ_E10value_typeET4_jRbjT5_SW_jjP12ihipStream_tbEUlT_E_NS1_11comp_targetILNS1_3genE2ELNS1_11target_archE906ELNS1_3gpuE6ELNS1_3repE0EEENS1_30default_config_static_selectorELNS0_4arch9wavefront6targetE0EEEvSK_
    .private_segment_fixed_size: 0
    .sgpr_count:     0
    .sgpr_spill_count: 0
    .symbol:         _ZN7rocprim17ROCPRIM_400000_NS6detail17trampoline_kernelINS0_14default_configENS1_36segmented_radix_sort_config_selectorIdlEEZNS1_25segmented_radix_sort_implIS3_Lb1EPKdPdPKlPlN2at6native12_GLOBAL__N_18offset_tEEE10hipError_tPvRmT1_PNSt15iterator_traitsISK_E10value_typeET2_T3_PNSL_ISQ_E10value_typeET4_jRbjT5_SW_jjP12ihipStream_tbEUlT_E_NS1_11comp_targetILNS1_3genE2ELNS1_11target_archE906ELNS1_3gpuE6ELNS1_3repE0EEENS1_30default_config_static_selectorELNS0_4arch9wavefront6targetE0EEEvSK_.kd
    .uniform_work_group_size: 1
    .uses_dynamic_stack: false
    .vgpr_count:     0
    .vgpr_spill_count: 0
    .wavefront_size: 32
    .workgroup_processor_mode: 1
  - .args:
      - .offset:         0
        .size:           96
        .value_kind:     by_value
    .group_segment_fixed_size: 0
    .kernarg_segment_align: 8
    .kernarg_segment_size: 96
    .language:       OpenCL C
    .language_version:
      - 2
      - 0
    .max_flat_workgroup_size: 256
    .name:           _ZN7rocprim17ROCPRIM_400000_NS6detail17trampoline_kernelINS0_14default_configENS1_36segmented_radix_sort_config_selectorIdlEEZNS1_25segmented_radix_sort_implIS3_Lb1EPKdPdPKlPlN2at6native12_GLOBAL__N_18offset_tEEE10hipError_tPvRmT1_PNSt15iterator_traitsISK_E10value_typeET2_T3_PNSL_ISQ_E10value_typeET4_jRbjT5_SW_jjP12ihipStream_tbEUlT_E_NS1_11comp_targetILNS1_3genE10ELNS1_11target_archE1201ELNS1_3gpuE5ELNS1_3repE0EEENS1_30default_config_static_selectorELNS0_4arch9wavefront6targetE0EEEvSK_
    .private_segment_fixed_size: 0
    .sgpr_count:     0
    .sgpr_spill_count: 0
    .symbol:         _ZN7rocprim17ROCPRIM_400000_NS6detail17trampoline_kernelINS0_14default_configENS1_36segmented_radix_sort_config_selectorIdlEEZNS1_25segmented_radix_sort_implIS3_Lb1EPKdPdPKlPlN2at6native12_GLOBAL__N_18offset_tEEE10hipError_tPvRmT1_PNSt15iterator_traitsISK_E10value_typeET2_T3_PNSL_ISQ_E10value_typeET4_jRbjT5_SW_jjP12ihipStream_tbEUlT_E_NS1_11comp_targetILNS1_3genE10ELNS1_11target_archE1201ELNS1_3gpuE5ELNS1_3repE0EEENS1_30default_config_static_selectorELNS0_4arch9wavefront6targetE0EEEvSK_.kd
    .uniform_work_group_size: 1
    .uses_dynamic_stack: false
    .vgpr_count:     0
    .vgpr_spill_count: 0
    .wavefront_size: 32
    .workgroup_processor_mode: 1
  - .args:
      - .offset:         0
        .size:           96
        .value_kind:     by_value
    .group_segment_fixed_size: 0
    .kernarg_segment_align: 8
    .kernarg_segment_size: 96
    .language:       OpenCL C
    .language_version:
      - 2
      - 0
    .max_flat_workgroup_size: 128
    .name:           _ZN7rocprim17ROCPRIM_400000_NS6detail17trampoline_kernelINS0_14default_configENS1_36segmented_radix_sort_config_selectorIdlEEZNS1_25segmented_radix_sort_implIS3_Lb1EPKdPdPKlPlN2at6native12_GLOBAL__N_18offset_tEEE10hipError_tPvRmT1_PNSt15iterator_traitsISK_E10value_typeET2_T3_PNSL_ISQ_E10value_typeET4_jRbjT5_SW_jjP12ihipStream_tbEUlT_E_NS1_11comp_targetILNS1_3genE10ELNS1_11target_archE1200ELNS1_3gpuE4ELNS1_3repE0EEENS1_30default_config_static_selectorELNS0_4arch9wavefront6targetE0EEEvSK_
    .private_segment_fixed_size: 0
    .sgpr_count:     0
    .sgpr_spill_count: 0
    .symbol:         _ZN7rocprim17ROCPRIM_400000_NS6detail17trampoline_kernelINS0_14default_configENS1_36segmented_radix_sort_config_selectorIdlEEZNS1_25segmented_radix_sort_implIS3_Lb1EPKdPdPKlPlN2at6native12_GLOBAL__N_18offset_tEEE10hipError_tPvRmT1_PNSt15iterator_traitsISK_E10value_typeET2_T3_PNSL_ISQ_E10value_typeET4_jRbjT5_SW_jjP12ihipStream_tbEUlT_E_NS1_11comp_targetILNS1_3genE10ELNS1_11target_archE1200ELNS1_3gpuE4ELNS1_3repE0EEENS1_30default_config_static_selectorELNS0_4arch9wavefront6targetE0EEEvSK_.kd
    .uniform_work_group_size: 1
    .uses_dynamic_stack: false
    .vgpr_count:     0
    .vgpr_spill_count: 0
    .wavefront_size: 32
    .workgroup_processor_mode: 1
  - .args:
      - .offset:         0
        .size:           96
        .value_kind:     by_value
    .group_segment_fixed_size: 0
    .kernarg_segment_align: 8
    .kernarg_segment_size: 96
    .language:       OpenCL C
    .language_version:
      - 2
      - 0
    .max_flat_workgroup_size: 256
    .name:           _ZN7rocprim17ROCPRIM_400000_NS6detail17trampoline_kernelINS0_14default_configENS1_36segmented_radix_sort_config_selectorIdlEEZNS1_25segmented_radix_sort_implIS3_Lb1EPKdPdPKlPlN2at6native12_GLOBAL__N_18offset_tEEE10hipError_tPvRmT1_PNSt15iterator_traitsISK_E10value_typeET2_T3_PNSL_ISQ_E10value_typeET4_jRbjT5_SW_jjP12ihipStream_tbEUlT_E_NS1_11comp_targetILNS1_3genE9ELNS1_11target_archE1100ELNS1_3gpuE3ELNS1_3repE0EEENS1_30default_config_static_selectorELNS0_4arch9wavefront6targetE0EEEvSK_
    .private_segment_fixed_size: 0
    .sgpr_count:     0
    .sgpr_spill_count: 0
    .symbol:         _ZN7rocprim17ROCPRIM_400000_NS6detail17trampoline_kernelINS0_14default_configENS1_36segmented_radix_sort_config_selectorIdlEEZNS1_25segmented_radix_sort_implIS3_Lb1EPKdPdPKlPlN2at6native12_GLOBAL__N_18offset_tEEE10hipError_tPvRmT1_PNSt15iterator_traitsISK_E10value_typeET2_T3_PNSL_ISQ_E10value_typeET4_jRbjT5_SW_jjP12ihipStream_tbEUlT_E_NS1_11comp_targetILNS1_3genE9ELNS1_11target_archE1100ELNS1_3gpuE3ELNS1_3repE0EEENS1_30default_config_static_selectorELNS0_4arch9wavefront6targetE0EEEvSK_.kd
    .uniform_work_group_size: 1
    .uses_dynamic_stack: false
    .vgpr_count:     0
    .vgpr_spill_count: 0
    .wavefront_size: 32
    .workgroup_processor_mode: 1
  - .args:
      - .offset:         0
        .size:           96
        .value_kind:     by_value
      - .offset:         96
        .size:           4
        .value_kind:     hidden_block_count_x
      - .offset:         100
        .size:           4
        .value_kind:     hidden_block_count_y
      - .offset:         104
        .size:           4
        .value_kind:     hidden_block_count_z
      - .offset:         108
        .size:           2
        .value_kind:     hidden_group_size_x
      - .offset:         110
        .size:           2
        .value_kind:     hidden_group_size_y
      - .offset:         112
        .size:           2
        .value_kind:     hidden_group_size_z
      - .offset:         114
        .size:           2
        .value_kind:     hidden_remainder_x
      - .offset:         116
        .size:           2
        .value_kind:     hidden_remainder_y
      - .offset:         118
        .size:           2
        .value_kind:     hidden_remainder_z
      - .offset:         136
        .size:           8
        .value_kind:     hidden_global_offset_x
      - .offset:         144
        .size:           8
        .value_kind:     hidden_global_offset_y
      - .offset:         152
        .size:           8
        .value_kind:     hidden_global_offset_z
      - .offset:         160
        .size:           2
        .value_kind:     hidden_grid_dims
    .group_segment_fixed_size: 33296
    .kernarg_segment_align: 8
    .kernarg_segment_size: 352
    .language:       OpenCL C
    .language_version:
      - 2
      - 0
    .max_flat_workgroup_size: 256
    .name:           _ZN7rocprim17ROCPRIM_400000_NS6detail17trampoline_kernelINS0_14default_configENS1_36segmented_radix_sort_config_selectorIdlEEZNS1_25segmented_radix_sort_implIS3_Lb1EPKdPdPKlPlN2at6native12_GLOBAL__N_18offset_tEEE10hipError_tPvRmT1_PNSt15iterator_traitsISK_E10value_typeET2_T3_PNSL_ISQ_E10value_typeET4_jRbjT5_SW_jjP12ihipStream_tbEUlT_E_NS1_11comp_targetILNS1_3genE8ELNS1_11target_archE1030ELNS1_3gpuE2ELNS1_3repE0EEENS1_30default_config_static_selectorELNS0_4arch9wavefront6targetE0EEEvSK_
    .private_segment_fixed_size: 176
    .sgpr_count:     70
    .sgpr_spill_count: 0
    .symbol:         _ZN7rocprim17ROCPRIM_400000_NS6detail17trampoline_kernelINS0_14default_configENS1_36segmented_radix_sort_config_selectorIdlEEZNS1_25segmented_radix_sort_implIS3_Lb1EPKdPdPKlPlN2at6native12_GLOBAL__N_18offset_tEEE10hipError_tPvRmT1_PNSt15iterator_traitsISK_E10value_typeET2_T3_PNSL_ISQ_E10value_typeET4_jRbjT5_SW_jjP12ihipStream_tbEUlT_E_NS1_11comp_targetILNS1_3genE8ELNS1_11target_archE1030ELNS1_3gpuE2ELNS1_3repE0EEENS1_30default_config_static_selectorELNS0_4arch9wavefront6targetE0EEEvSK_.kd
    .uniform_work_group_size: 1
    .uses_dynamic_stack: false
    .vgpr_count:     248
    .vgpr_spill_count: 0
    .wavefront_size: 32
    .workgroup_processor_mode: 1
  - .args:
      - .offset:         0
        .size:           88
        .value_kind:     by_value
    .group_segment_fixed_size: 0
    .kernarg_segment_align: 8
    .kernarg_segment_size: 88
    .language:       OpenCL C
    .language_version:
      - 2
      - 0
    .max_flat_workgroup_size: 256
    .name:           _ZN7rocprim17ROCPRIM_400000_NS6detail17trampoline_kernelINS0_14default_configENS1_36segmented_radix_sort_config_selectorIdlEEZNS1_25segmented_radix_sort_implIS3_Lb1EPKdPdPKlPlN2at6native12_GLOBAL__N_18offset_tEEE10hipError_tPvRmT1_PNSt15iterator_traitsISK_E10value_typeET2_T3_PNSL_ISQ_E10value_typeET4_jRbjT5_SW_jjP12ihipStream_tbEUlT_E0_NS1_11comp_targetILNS1_3genE0ELNS1_11target_archE4294967295ELNS1_3gpuE0ELNS1_3repE0EEENS1_60segmented_radix_sort_warp_sort_medium_config_static_selectorELNS0_4arch9wavefront6targetE0EEEvSK_
    .private_segment_fixed_size: 0
    .sgpr_count:     0
    .sgpr_spill_count: 0
    .symbol:         _ZN7rocprim17ROCPRIM_400000_NS6detail17trampoline_kernelINS0_14default_configENS1_36segmented_radix_sort_config_selectorIdlEEZNS1_25segmented_radix_sort_implIS3_Lb1EPKdPdPKlPlN2at6native12_GLOBAL__N_18offset_tEEE10hipError_tPvRmT1_PNSt15iterator_traitsISK_E10value_typeET2_T3_PNSL_ISQ_E10value_typeET4_jRbjT5_SW_jjP12ihipStream_tbEUlT_E0_NS1_11comp_targetILNS1_3genE0ELNS1_11target_archE4294967295ELNS1_3gpuE0ELNS1_3repE0EEENS1_60segmented_radix_sort_warp_sort_medium_config_static_selectorELNS0_4arch9wavefront6targetE0EEEvSK_.kd
    .uniform_work_group_size: 1
    .uses_dynamic_stack: false
    .vgpr_count:     0
    .vgpr_spill_count: 0
    .wavefront_size: 32
    .workgroup_processor_mode: 1
  - .args:
      - .offset:         0
        .size:           88
        .value_kind:     by_value
    .group_segment_fixed_size: 0
    .kernarg_segment_align: 8
    .kernarg_segment_size: 88
    .language:       OpenCL C
    .language_version:
      - 2
      - 0
    .max_flat_workgroup_size: 256
    .name:           _ZN7rocprim17ROCPRIM_400000_NS6detail17trampoline_kernelINS0_14default_configENS1_36segmented_radix_sort_config_selectorIdlEEZNS1_25segmented_radix_sort_implIS3_Lb1EPKdPdPKlPlN2at6native12_GLOBAL__N_18offset_tEEE10hipError_tPvRmT1_PNSt15iterator_traitsISK_E10value_typeET2_T3_PNSL_ISQ_E10value_typeET4_jRbjT5_SW_jjP12ihipStream_tbEUlT_E0_NS1_11comp_targetILNS1_3genE5ELNS1_11target_archE942ELNS1_3gpuE9ELNS1_3repE0EEENS1_60segmented_radix_sort_warp_sort_medium_config_static_selectorELNS0_4arch9wavefront6targetE0EEEvSK_
    .private_segment_fixed_size: 0
    .sgpr_count:     0
    .sgpr_spill_count: 0
    .symbol:         _ZN7rocprim17ROCPRIM_400000_NS6detail17trampoline_kernelINS0_14default_configENS1_36segmented_radix_sort_config_selectorIdlEEZNS1_25segmented_radix_sort_implIS3_Lb1EPKdPdPKlPlN2at6native12_GLOBAL__N_18offset_tEEE10hipError_tPvRmT1_PNSt15iterator_traitsISK_E10value_typeET2_T3_PNSL_ISQ_E10value_typeET4_jRbjT5_SW_jjP12ihipStream_tbEUlT_E0_NS1_11comp_targetILNS1_3genE5ELNS1_11target_archE942ELNS1_3gpuE9ELNS1_3repE0EEENS1_60segmented_radix_sort_warp_sort_medium_config_static_selectorELNS0_4arch9wavefront6targetE0EEEvSK_.kd
    .uniform_work_group_size: 1
    .uses_dynamic_stack: false
    .vgpr_count:     0
    .vgpr_spill_count: 0
    .wavefront_size: 32
    .workgroup_processor_mode: 1
  - .args:
      - .offset:         0
        .size:           88
        .value_kind:     by_value
    .group_segment_fixed_size: 0
    .kernarg_segment_align: 8
    .kernarg_segment_size: 88
    .language:       OpenCL C
    .language_version:
      - 2
      - 0
    .max_flat_workgroup_size: 256
    .name:           _ZN7rocprim17ROCPRIM_400000_NS6detail17trampoline_kernelINS0_14default_configENS1_36segmented_radix_sort_config_selectorIdlEEZNS1_25segmented_radix_sort_implIS3_Lb1EPKdPdPKlPlN2at6native12_GLOBAL__N_18offset_tEEE10hipError_tPvRmT1_PNSt15iterator_traitsISK_E10value_typeET2_T3_PNSL_ISQ_E10value_typeET4_jRbjT5_SW_jjP12ihipStream_tbEUlT_E0_NS1_11comp_targetILNS1_3genE4ELNS1_11target_archE910ELNS1_3gpuE8ELNS1_3repE0EEENS1_60segmented_radix_sort_warp_sort_medium_config_static_selectorELNS0_4arch9wavefront6targetE0EEEvSK_
    .private_segment_fixed_size: 0
    .sgpr_count:     0
    .sgpr_spill_count: 0
    .symbol:         _ZN7rocprim17ROCPRIM_400000_NS6detail17trampoline_kernelINS0_14default_configENS1_36segmented_radix_sort_config_selectorIdlEEZNS1_25segmented_radix_sort_implIS3_Lb1EPKdPdPKlPlN2at6native12_GLOBAL__N_18offset_tEEE10hipError_tPvRmT1_PNSt15iterator_traitsISK_E10value_typeET2_T3_PNSL_ISQ_E10value_typeET4_jRbjT5_SW_jjP12ihipStream_tbEUlT_E0_NS1_11comp_targetILNS1_3genE4ELNS1_11target_archE910ELNS1_3gpuE8ELNS1_3repE0EEENS1_60segmented_radix_sort_warp_sort_medium_config_static_selectorELNS0_4arch9wavefront6targetE0EEEvSK_.kd
    .uniform_work_group_size: 1
    .uses_dynamic_stack: false
    .vgpr_count:     0
    .vgpr_spill_count: 0
    .wavefront_size: 32
    .workgroup_processor_mode: 1
  - .args:
      - .offset:         0
        .size:           88
        .value_kind:     by_value
    .group_segment_fixed_size: 0
    .kernarg_segment_align: 8
    .kernarg_segment_size: 88
    .language:       OpenCL C
    .language_version:
      - 2
      - 0
    .max_flat_workgroup_size: 256
    .name:           _ZN7rocprim17ROCPRIM_400000_NS6detail17trampoline_kernelINS0_14default_configENS1_36segmented_radix_sort_config_selectorIdlEEZNS1_25segmented_radix_sort_implIS3_Lb1EPKdPdPKlPlN2at6native12_GLOBAL__N_18offset_tEEE10hipError_tPvRmT1_PNSt15iterator_traitsISK_E10value_typeET2_T3_PNSL_ISQ_E10value_typeET4_jRbjT5_SW_jjP12ihipStream_tbEUlT_E0_NS1_11comp_targetILNS1_3genE3ELNS1_11target_archE908ELNS1_3gpuE7ELNS1_3repE0EEENS1_60segmented_radix_sort_warp_sort_medium_config_static_selectorELNS0_4arch9wavefront6targetE0EEEvSK_
    .private_segment_fixed_size: 0
    .sgpr_count:     0
    .sgpr_spill_count: 0
    .symbol:         _ZN7rocprim17ROCPRIM_400000_NS6detail17trampoline_kernelINS0_14default_configENS1_36segmented_radix_sort_config_selectorIdlEEZNS1_25segmented_radix_sort_implIS3_Lb1EPKdPdPKlPlN2at6native12_GLOBAL__N_18offset_tEEE10hipError_tPvRmT1_PNSt15iterator_traitsISK_E10value_typeET2_T3_PNSL_ISQ_E10value_typeET4_jRbjT5_SW_jjP12ihipStream_tbEUlT_E0_NS1_11comp_targetILNS1_3genE3ELNS1_11target_archE908ELNS1_3gpuE7ELNS1_3repE0EEENS1_60segmented_radix_sort_warp_sort_medium_config_static_selectorELNS0_4arch9wavefront6targetE0EEEvSK_.kd
    .uniform_work_group_size: 1
    .uses_dynamic_stack: false
    .vgpr_count:     0
    .vgpr_spill_count: 0
    .wavefront_size: 32
    .workgroup_processor_mode: 1
  - .args:
      - .offset:         0
        .size:           88
        .value_kind:     by_value
    .group_segment_fixed_size: 0
    .kernarg_segment_align: 8
    .kernarg_segment_size: 88
    .language:       OpenCL C
    .language_version:
      - 2
      - 0
    .max_flat_workgroup_size: 256
    .name:           _ZN7rocprim17ROCPRIM_400000_NS6detail17trampoline_kernelINS0_14default_configENS1_36segmented_radix_sort_config_selectorIdlEEZNS1_25segmented_radix_sort_implIS3_Lb1EPKdPdPKlPlN2at6native12_GLOBAL__N_18offset_tEEE10hipError_tPvRmT1_PNSt15iterator_traitsISK_E10value_typeET2_T3_PNSL_ISQ_E10value_typeET4_jRbjT5_SW_jjP12ihipStream_tbEUlT_E0_NS1_11comp_targetILNS1_3genE2ELNS1_11target_archE906ELNS1_3gpuE6ELNS1_3repE0EEENS1_60segmented_radix_sort_warp_sort_medium_config_static_selectorELNS0_4arch9wavefront6targetE0EEEvSK_
    .private_segment_fixed_size: 0
    .sgpr_count:     0
    .sgpr_spill_count: 0
    .symbol:         _ZN7rocprim17ROCPRIM_400000_NS6detail17trampoline_kernelINS0_14default_configENS1_36segmented_radix_sort_config_selectorIdlEEZNS1_25segmented_radix_sort_implIS3_Lb1EPKdPdPKlPlN2at6native12_GLOBAL__N_18offset_tEEE10hipError_tPvRmT1_PNSt15iterator_traitsISK_E10value_typeET2_T3_PNSL_ISQ_E10value_typeET4_jRbjT5_SW_jjP12ihipStream_tbEUlT_E0_NS1_11comp_targetILNS1_3genE2ELNS1_11target_archE906ELNS1_3gpuE6ELNS1_3repE0EEENS1_60segmented_radix_sort_warp_sort_medium_config_static_selectorELNS0_4arch9wavefront6targetE0EEEvSK_.kd
    .uniform_work_group_size: 1
    .uses_dynamic_stack: false
    .vgpr_count:     0
    .vgpr_spill_count: 0
    .wavefront_size: 32
    .workgroup_processor_mode: 1
  - .args:
      - .offset:         0
        .size:           88
        .value_kind:     by_value
    .group_segment_fixed_size: 0
    .kernarg_segment_align: 8
    .kernarg_segment_size: 88
    .language:       OpenCL C
    .language_version:
      - 2
      - 0
    .max_flat_workgroup_size: 256
    .name:           _ZN7rocprim17ROCPRIM_400000_NS6detail17trampoline_kernelINS0_14default_configENS1_36segmented_radix_sort_config_selectorIdlEEZNS1_25segmented_radix_sort_implIS3_Lb1EPKdPdPKlPlN2at6native12_GLOBAL__N_18offset_tEEE10hipError_tPvRmT1_PNSt15iterator_traitsISK_E10value_typeET2_T3_PNSL_ISQ_E10value_typeET4_jRbjT5_SW_jjP12ihipStream_tbEUlT_E0_NS1_11comp_targetILNS1_3genE10ELNS1_11target_archE1201ELNS1_3gpuE5ELNS1_3repE0EEENS1_60segmented_radix_sort_warp_sort_medium_config_static_selectorELNS0_4arch9wavefront6targetE0EEEvSK_
    .private_segment_fixed_size: 0
    .sgpr_count:     0
    .sgpr_spill_count: 0
    .symbol:         _ZN7rocprim17ROCPRIM_400000_NS6detail17trampoline_kernelINS0_14default_configENS1_36segmented_radix_sort_config_selectorIdlEEZNS1_25segmented_radix_sort_implIS3_Lb1EPKdPdPKlPlN2at6native12_GLOBAL__N_18offset_tEEE10hipError_tPvRmT1_PNSt15iterator_traitsISK_E10value_typeET2_T3_PNSL_ISQ_E10value_typeET4_jRbjT5_SW_jjP12ihipStream_tbEUlT_E0_NS1_11comp_targetILNS1_3genE10ELNS1_11target_archE1201ELNS1_3gpuE5ELNS1_3repE0EEENS1_60segmented_radix_sort_warp_sort_medium_config_static_selectorELNS0_4arch9wavefront6targetE0EEEvSK_.kd
    .uniform_work_group_size: 1
    .uses_dynamic_stack: false
    .vgpr_count:     0
    .vgpr_spill_count: 0
    .wavefront_size: 32
    .workgroup_processor_mode: 1
  - .args:
      - .offset:         0
        .size:           88
        .value_kind:     by_value
    .group_segment_fixed_size: 0
    .kernarg_segment_align: 8
    .kernarg_segment_size: 88
    .language:       OpenCL C
    .language_version:
      - 2
      - 0
    .max_flat_workgroup_size: 256
    .name:           _ZN7rocprim17ROCPRIM_400000_NS6detail17trampoline_kernelINS0_14default_configENS1_36segmented_radix_sort_config_selectorIdlEEZNS1_25segmented_radix_sort_implIS3_Lb1EPKdPdPKlPlN2at6native12_GLOBAL__N_18offset_tEEE10hipError_tPvRmT1_PNSt15iterator_traitsISK_E10value_typeET2_T3_PNSL_ISQ_E10value_typeET4_jRbjT5_SW_jjP12ihipStream_tbEUlT_E0_NS1_11comp_targetILNS1_3genE10ELNS1_11target_archE1200ELNS1_3gpuE4ELNS1_3repE0EEENS1_60segmented_radix_sort_warp_sort_medium_config_static_selectorELNS0_4arch9wavefront6targetE0EEEvSK_
    .private_segment_fixed_size: 0
    .sgpr_count:     0
    .sgpr_spill_count: 0
    .symbol:         _ZN7rocprim17ROCPRIM_400000_NS6detail17trampoline_kernelINS0_14default_configENS1_36segmented_radix_sort_config_selectorIdlEEZNS1_25segmented_radix_sort_implIS3_Lb1EPKdPdPKlPlN2at6native12_GLOBAL__N_18offset_tEEE10hipError_tPvRmT1_PNSt15iterator_traitsISK_E10value_typeET2_T3_PNSL_ISQ_E10value_typeET4_jRbjT5_SW_jjP12ihipStream_tbEUlT_E0_NS1_11comp_targetILNS1_3genE10ELNS1_11target_archE1200ELNS1_3gpuE4ELNS1_3repE0EEENS1_60segmented_radix_sort_warp_sort_medium_config_static_selectorELNS0_4arch9wavefront6targetE0EEEvSK_.kd
    .uniform_work_group_size: 1
    .uses_dynamic_stack: false
    .vgpr_count:     0
    .vgpr_spill_count: 0
    .wavefront_size: 32
    .workgroup_processor_mode: 1
  - .args:
      - .offset:         0
        .size:           88
        .value_kind:     by_value
    .group_segment_fixed_size: 0
    .kernarg_segment_align: 8
    .kernarg_segment_size: 88
    .language:       OpenCL C
    .language_version:
      - 2
      - 0
    .max_flat_workgroup_size: 256
    .name:           _ZN7rocprim17ROCPRIM_400000_NS6detail17trampoline_kernelINS0_14default_configENS1_36segmented_radix_sort_config_selectorIdlEEZNS1_25segmented_radix_sort_implIS3_Lb1EPKdPdPKlPlN2at6native12_GLOBAL__N_18offset_tEEE10hipError_tPvRmT1_PNSt15iterator_traitsISK_E10value_typeET2_T3_PNSL_ISQ_E10value_typeET4_jRbjT5_SW_jjP12ihipStream_tbEUlT_E0_NS1_11comp_targetILNS1_3genE9ELNS1_11target_archE1100ELNS1_3gpuE3ELNS1_3repE0EEENS1_60segmented_radix_sort_warp_sort_medium_config_static_selectorELNS0_4arch9wavefront6targetE0EEEvSK_
    .private_segment_fixed_size: 0
    .sgpr_count:     0
    .sgpr_spill_count: 0
    .symbol:         _ZN7rocprim17ROCPRIM_400000_NS6detail17trampoline_kernelINS0_14default_configENS1_36segmented_radix_sort_config_selectorIdlEEZNS1_25segmented_radix_sort_implIS3_Lb1EPKdPdPKlPlN2at6native12_GLOBAL__N_18offset_tEEE10hipError_tPvRmT1_PNSt15iterator_traitsISK_E10value_typeET2_T3_PNSL_ISQ_E10value_typeET4_jRbjT5_SW_jjP12ihipStream_tbEUlT_E0_NS1_11comp_targetILNS1_3genE9ELNS1_11target_archE1100ELNS1_3gpuE3ELNS1_3repE0EEENS1_60segmented_radix_sort_warp_sort_medium_config_static_selectorELNS0_4arch9wavefront6targetE0EEEvSK_.kd
    .uniform_work_group_size: 1
    .uses_dynamic_stack: false
    .vgpr_count:     0
    .vgpr_spill_count: 0
    .wavefront_size: 32
    .workgroup_processor_mode: 1
  - .args:
      - .offset:         0
        .size:           88
        .value_kind:     by_value
      - .offset:         88
        .size:           4
        .value_kind:     hidden_block_count_x
      - .offset:         92
        .size:           4
        .value_kind:     hidden_block_count_y
      - .offset:         96
        .size:           4
        .value_kind:     hidden_block_count_z
      - .offset:         100
        .size:           2
        .value_kind:     hidden_group_size_x
      - .offset:         102
        .size:           2
        .value_kind:     hidden_group_size_y
      - .offset:         104
        .size:           2
        .value_kind:     hidden_group_size_z
      - .offset:         106
        .size:           2
        .value_kind:     hidden_remainder_x
      - .offset:         108
        .size:           2
        .value_kind:     hidden_remainder_y
      - .offset:         110
        .size:           2
        .value_kind:     hidden_remainder_z
      - .offset:         128
        .size:           8
        .value_kind:     hidden_global_offset_x
      - .offset:         136
        .size:           8
        .value_kind:     hidden_global_offset_y
      - .offset:         144
        .size:           8
        .value_kind:     hidden_global_offset_z
      - .offset:         152
        .size:           2
        .value_kind:     hidden_grid_dims
    .group_segment_fixed_size: 65536
    .kernarg_segment_align: 8
    .kernarg_segment_size: 344
    .language:       OpenCL C
    .language_version:
      - 2
      - 0
    .max_flat_workgroup_size: 256
    .name:           _ZN7rocprim17ROCPRIM_400000_NS6detail17trampoline_kernelINS0_14default_configENS1_36segmented_radix_sort_config_selectorIdlEEZNS1_25segmented_radix_sort_implIS3_Lb1EPKdPdPKlPlN2at6native12_GLOBAL__N_18offset_tEEE10hipError_tPvRmT1_PNSt15iterator_traitsISK_E10value_typeET2_T3_PNSL_ISQ_E10value_typeET4_jRbjT5_SW_jjP12ihipStream_tbEUlT_E0_NS1_11comp_targetILNS1_3genE8ELNS1_11target_archE1030ELNS1_3gpuE2ELNS1_3repE0EEENS1_60segmented_radix_sort_warp_sort_medium_config_static_selectorELNS0_4arch9wavefront6targetE0EEEvSK_
    .private_segment_fixed_size: 0
    .sgpr_count:     59
    .sgpr_spill_count: 0
    .symbol:         _ZN7rocprim17ROCPRIM_400000_NS6detail17trampoline_kernelINS0_14default_configENS1_36segmented_radix_sort_config_selectorIdlEEZNS1_25segmented_radix_sort_implIS3_Lb1EPKdPdPKlPlN2at6native12_GLOBAL__N_18offset_tEEE10hipError_tPvRmT1_PNSt15iterator_traitsISK_E10value_typeET2_T3_PNSL_ISQ_E10value_typeET4_jRbjT5_SW_jjP12ihipStream_tbEUlT_E0_NS1_11comp_targetILNS1_3genE8ELNS1_11target_archE1030ELNS1_3gpuE2ELNS1_3repE0EEENS1_60segmented_radix_sort_warp_sort_medium_config_static_selectorELNS0_4arch9wavefront6targetE0EEEvSK_.kd
    .uniform_work_group_size: 1
    .uses_dynamic_stack: false
    .vgpr_count:     212
    .vgpr_spill_count: 0
    .wavefront_size: 32
    .workgroup_processor_mode: 1
  - .args:
      - .offset:         0
        .size:           88
        .value_kind:     by_value
    .group_segment_fixed_size: 0
    .kernarg_segment_align: 8
    .kernarg_segment_size: 88
    .language:       OpenCL C
    .language_version:
      - 2
      - 0
    .max_flat_workgroup_size: 256
    .name:           _ZN7rocprim17ROCPRIM_400000_NS6detail17trampoline_kernelINS0_14default_configENS1_36segmented_radix_sort_config_selectorIdlEEZNS1_25segmented_radix_sort_implIS3_Lb1EPKdPdPKlPlN2at6native12_GLOBAL__N_18offset_tEEE10hipError_tPvRmT1_PNSt15iterator_traitsISK_E10value_typeET2_T3_PNSL_ISQ_E10value_typeET4_jRbjT5_SW_jjP12ihipStream_tbEUlT_E1_NS1_11comp_targetILNS1_3genE0ELNS1_11target_archE4294967295ELNS1_3gpuE0ELNS1_3repE0EEENS1_59segmented_radix_sort_warp_sort_small_config_static_selectorELNS0_4arch9wavefront6targetE0EEEvSK_
    .private_segment_fixed_size: 0
    .sgpr_count:     0
    .sgpr_spill_count: 0
    .symbol:         _ZN7rocprim17ROCPRIM_400000_NS6detail17trampoline_kernelINS0_14default_configENS1_36segmented_radix_sort_config_selectorIdlEEZNS1_25segmented_radix_sort_implIS3_Lb1EPKdPdPKlPlN2at6native12_GLOBAL__N_18offset_tEEE10hipError_tPvRmT1_PNSt15iterator_traitsISK_E10value_typeET2_T3_PNSL_ISQ_E10value_typeET4_jRbjT5_SW_jjP12ihipStream_tbEUlT_E1_NS1_11comp_targetILNS1_3genE0ELNS1_11target_archE4294967295ELNS1_3gpuE0ELNS1_3repE0EEENS1_59segmented_radix_sort_warp_sort_small_config_static_selectorELNS0_4arch9wavefront6targetE0EEEvSK_.kd
    .uniform_work_group_size: 1
    .uses_dynamic_stack: false
    .vgpr_count:     0
    .vgpr_spill_count: 0
    .wavefront_size: 32
    .workgroup_processor_mode: 1
  - .args:
      - .offset:         0
        .size:           88
        .value_kind:     by_value
    .group_segment_fixed_size: 0
    .kernarg_segment_align: 8
    .kernarg_segment_size: 88
    .language:       OpenCL C
    .language_version:
      - 2
      - 0
    .max_flat_workgroup_size: 256
    .name:           _ZN7rocprim17ROCPRIM_400000_NS6detail17trampoline_kernelINS0_14default_configENS1_36segmented_radix_sort_config_selectorIdlEEZNS1_25segmented_radix_sort_implIS3_Lb1EPKdPdPKlPlN2at6native12_GLOBAL__N_18offset_tEEE10hipError_tPvRmT1_PNSt15iterator_traitsISK_E10value_typeET2_T3_PNSL_ISQ_E10value_typeET4_jRbjT5_SW_jjP12ihipStream_tbEUlT_E1_NS1_11comp_targetILNS1_3genE5ELNS1_11target_archE942ELNS1_3gpuE9ELNS1_3repE0EEENS1_59segmented_radix_sort_warp_sort_small_config_static_selectorELNS0_4arch9wavefront6targetE0EEEvSK_
    .private_segment_fixed_size: 0
    .sgpr_count:     0
    .sgpr_spill_count: 0
    .symbol:         _ZN7rocprim17ROCPRIM_400000_NS6detail17trampoline_kernelINS0_14default_configENS1_36segmented_radix_sort_config_selectorIdlEEZNS1_25segmented_radix_sort_implIS3_Lb1EPKdPdPKlPlN2at6native12_GLOBAL__N_18offset_tEEE10hipError_tPvRmT1_PNSt15iterator_traitsISK_E10value_typeET2_T3_PNSL_ISQ_E10value_typeET4_jRbjT5_SW_jjP12ihipStream_tbEUlT_E1_NS1_11comp_targetILNS1_3genE5ELNS1_11target_archE942ELNS1_3gpuE9ELNS1_3repE0EEENS1_59segmented_radix_sort_warp_sort_small_config_static_selectorELNS0_4arch9wavefront6targetE0EEEvSK_.kd
    .uniform_work_group_size: 1
    .uses_dynamic_stack: false
    .vgpr_count:     0
    .vgpr_spill_count: 0
    .wavefront_size: 32
    .workgroup_processor_mode: 1
  - .args:
      - .offset:         0
        .size:           88
        .value_kind:     by_value
    .group_segment_fixed_size: 0
    .kernarg_segment_align: 8
    .kernarg_segment_size: 88
    .language:       OpenCL C
    .language_version:
      - 2
      - 0
    .max_flat_workgroup_size: 256
    .name:           _ZN7rocprim17ROCPRIM_400000_NS6detail17trampoline_kernelINS0_14default_configENS1_36segmented_radix_sort_config_selectorIdlEEZNS1_25segmented_radix_sort_implIS3_Lb1EPKdPdPKlPlN2at6native12_GLOBAL__N_18offset_tEEE10hipError_tPvRmT1_PNSt15iterator_traitsISK_E10value_typeET2_T3_PNSL_ISQ_E10value_typeET4_jRbjT5_SW_jjP12ihipStream_tbEUlT_E1_NS1_11comp_targetILNS1_3genE4ELNS1_11target_archE910ELNS1_3gpuE8ELNS1_3repE0EEENS1_59segmented_radix_sort_warp_sort_small_config_static_selectorELNS0_4arch9wavefront6targetE0EEEvSK_
    .private_segment_fixed_size: 0
    .sgpr_count:     0
    .sgpr_spill_count: 0
    .symbol:         _ZN7rocprim17ROCPRIM_400000_NS6detail17trampoline_kernelINS0_14default_configENS1_36segmented_radix_sort_config_selectorIdlEEZNS1_25segmented_radix_sort_implIS3_Lb1EPKdPdPKlPlN2at6native12_GLOBAL__N_18offset_tEEE10hipError_tPvRmT1_PNSt15iterator_traitsISK_E10value_typeET2_T3_PNSL_ISQ_E10value_typeET4_jRbjT5_SW_jjP12ihipStream_tbEUlT_E1_NS1_11comp_targetILNS1_3genE4ELNS1_11target_archE910ELNS1_3gpuE8ELNS1_3repE0EEENS1_59segmented_radix_sort_warp_sort_small_config_static_selectorELNS0_4arch9wavefront6targetE0EEEvSK_.kd
    .uniform_work_group_size: 1
    .uses_dynamic_stack: false
    .vgpr_count:     0
    .vgpr_spill_count: 0
    .wavefront_size: 32
    .workgroup_processor_mode: 1
  - .args:
      - .offset:         0
        .size:           88
        .value_kind:     by_value
    .group_segment_fixed_size: 0
    .kernarg_segment_align: 8
    .kernarg_segment_size: 88
    .language:       OpenCL C
    .language_version:
      - 2
      - 0
    .max_flat_workgroup_size: 256
    .name:           _ZN7rocprim17ROCPRIM_400000_NS6detail17trampoline_kernelINS0_14default_configENS1_36segmented_radix_sort_config_selectorIdlEEZNS1_25segmented_radix_sort_implIS3_Lb1EPKdPdPKlPlN2at6native12_GLOBAL__N_18offset_tEEE10hipError_tPvRmT1_PNSt15iterator_traitsISK_E10value_typeET2_T3_PNSL_ISQ_E10value_typeET4_jRbjT5_SW_jjP12ihipStream_tbEUlT_E1_NS1_11comp_targetILNS1_3genE3ELNS1_11target_archE908ELNS1_3gpuE7ELNS1_3repE0EEENS1_59segmented_radix_sort_warp_sort_small_config_static_selectorELNS0_4arch9wavefront6targetE0EEEvSK_
    .private_segment_fixed_size: 0
    .sgpr_count:     0
    .sgpr_spill_count: 0
    .symbol:         _ZN7rocprim17ROCPRIM_400000_NS6detail17trampoline_kernelINS0_14default_configENS1_36segmented_radix_sort_config_selectorIdlEEZNS1_25segmented_radix_sort_implIS3_Lb1EPKdPdPKlPlN2at6native12_GLOBAL__N_18offset_tEEE10hipError_tPvRmT1_PNSt15iterator_traitsISK_E10value_typeET2_T3_PNSL_ISQ_E10value_typeET4_jRbjT5_SW_jjP12ihipStream_tbEUlT_E1_NS1_11comp_targetILNS1_3genE3ELNS1_11target_archE908ELNS1_3gpuE7ELNS1_3repE0EEENS1_59segmented_radix_sort_warp_sort_small_config_static_selectorELNS0_4arch9wavefront6targetE0EEEvSK_.kd
    .uniform_work_group_size: 1
    .uses_dynamic_stack: false
    .vgpr_count:     0
    .vgpr_spill_count: 0
    .wavefront_size: 32
    .workgroup_processor_mode: 1
  - .args:
      - .offset:         0
        .size:           88
        .value_kind:     by_value
    .group_segment_fixed_size: 0
    .kernarg_segment_align: 8
    .kernarg_segment_size: 88
    .language:       OpenCL C
    .language_version:
      - 2
      - 0
    .max_flat_workgroup_size: 256
    .name:           _ZN7rocprim17ROCPRIM_400000_NS6detail17trampoline_kernelINS0_14default_configENS1_36segmented_radix_sort_config_selectorIdlEEZNS1_25segmented_radix_sort_implIS3_Lb1EPKdPdPKlPlN2at6native12_GLOBAL__N_18offset_tEEE10hipError_tPvRmT1_PNSt15iterator_traitsISK_E10value_typeET2_T3_PNSL_ISQ_E10value_typeET4_jRbjT5_SW_jjP12ihipStream_tbEUlT_E1_NS1_11comp_targetILNS1_3genE2ELNS1_11target_archE906ELNS1_3gpuE6ELNS1_3repE0EEENS1_59segmented_radix_sort_warp_sort_small_config_static_selectorELNS0_4arch9wavefront6targetE0EEEvSK_
    .private_segment_fixed_size: 0
    .sgpr_count:     0
    .sgpr_spill_count: 0
    .symbol:         _ZN7rocprim17ROCPRIM_400000_NS6detail17trampoline_kernelINS0_14default_configENS1_36segmented_radix_sort_config_selectorIdlEEZNS1_25segmented_radix_sort_implIS3_Lb1EPKdPdPKlPlN2at6native12_GLOBAL__N_18offset_tEEE10hipError_tPvRmT1_PNSt15iterator_traitsISK_E10value_typeET2_T3_PNSL_ISQ_E10value_typeET4_jRbjT5_SW_jjP12ihipStream_tbEUlT_E1_NS1_11comp_targetILNS1_3genE2ELNS1_11target_archE906ELNS1_3gpuE6ELNS1_3repE0EEENS1_59segmented_radix_sort_warp_sort_small_config_static_selectorELNS0_4arch9wavefront6targetE0EEEvSK_.kd
    .uniform_work_group_size: 1
    .uses_dynamic_stack: false
    .vgpr_count:     0
    .vgpr_spill_count: 0
    .wavefront_size: 32
    .workgroup_processor_mode: 1
  - .args:
      - .offset:         0
        .size:           88
        .value_kind:     by_value
    .group_segment_fixed_size: 0
    .kernarg_segment_align: 8
    .kernarg_segment_size: 88
    .language:       OpenCL C
    .language_version:
      - 2
      - 0
    .max_flat_workgroup_size: 256
    .name:           _ZN7rocprim17ROCPRIM_400000_NS6detail17trampoline_kernelINS0_14default_configENS1_36segmented_radix_sort_config_selectorIdlEEZNS1_25segmented_radix_sort_implIS3_Lb1EPKdPdPKlPlN2at6native12_GLOBAL__N_18offset_tEEE10hipError_tPvRmT1_PNSt15iterator_traitsISK_E10value_typeET2_T3_PNSL_ISQ_E10value_typeET4_jRbjT5_SW_jjP12ihipStream_tbEUlT_E1_NS1_11comp_targetILNS1_3genE10ELNS1_11target_archE1201ELNS1_3gpuE5ELNS1_3repE0EEENS1_59segmented_radix_sort_warp_sort_small_config_static_selectorELNS0_4arch9wavefront6targetE0EEEvSK_
    .private_segment_fixed_size: 0
    .sgpr_count:     0
    .sgpr_spill_count: 0
    .symbol:         _ZN7rocprim17ROCPRIM_400000_NS6detail17trampoline_kernelINS0_14default_configENS1_36segmented_radix_sort_config_selectorIdlEEZNS1_25segmented_radix_sort_implIS3_Lb1EPKdPdPKlPlN2at6native12_GLOBAL__N_18offset_tEEE10hipError_tPvRmT1_PNSt15iterator_traitsISK_E10value_typeET2_T3_PNSL_ISQ_E10value_typeET4_jRbjT5_SW_jjP12ihipStream_tbEUlT_E1_NS1_11comp_targetILNS1_3genE10ELNS1_11target_archE1201ELNS1_3gpuE5ELNS1_3repE0EEENS1_59segmented_radix_sort_warp_sort_small_config_static_selectorELNS0_4arch9wavefront6targetE0EEEvSK_.kd
    .uniform_work_group_size: 1
    .uses_dynamic_stack: false
    .vgpr_count:     0
    .vgpr_spill_count: 0
    .wavefront_size: 32
    .workgroup_processor_mode: 1
  - .args:
      - .offset:         0
        .size:           88
        .value_kind:     by_value
    .group_segment_fixed_size: 0
    .kernarg_segment_align: 8
    .kernarg_segment_size: 88
    .language:       OpenCL C
    .language_version:
      - 2
      - 0
    .max_flat_workgroup_size: 256
    .name:           _ZN7rocprim17ROCPRIM_400000_NS6detail17trampoline_kernelINS0_14default_configENS1_36segmented_radix_sort_config_selectorIdlEEZNS1_25segmented_radix_sort_implIS3_Lb1EPKdPdPKlPlN2at6native12_GLOBAL__N_18offset_tEEE10hipError_tPvRmT1_PNSt15iterator_traitsISK_E10value_typeET2_T3_PNSL_ISQ_E10value_typeET4_jRbjT5_SW_jjP12ihipStream_tbEUlT_E1_NS1_11comp_targetILNS1_3genE10ELNS1_11target_archE1200ELNS1_3gpuE4ELNS1_3repE0EEENS1_59segmented_radix_sort_warp_sort_small_config_static_selectorELNS0_4arch9wavefront6targetE0EEEvSK_
    .private_segment_fixed_size: 0
    .sgpr_count:     0
    .sgpr_spill_count: 0
    .symbol:         _ZN7rocprim17ROCPRIM_400000_NS6detail17trampoline_kernelINS0_14default_configENS1_36segmented_radix_sort_config_selectorIdlEEZNS1_25segmented_radix_sort_implIS3_Lb1EPKdPdPKlPlN2at6native12_GLOBAL__N_18offset_tEEE10hipError_tPvRmT1_PNSt15iterator_traitsISK_E10value_typeET2_T3_PNSL_ISQ_E10value_typeET4_jRbjT5_SW_jjP12ihipStream_tbEUlT_E1_NS1_11comp_targetILNS1_3genE10ELNS1_11target_archE1200ELNS1_3gpuE4ELNS1_3repE0EEENS1_59segmented_radix_sort_warp_sort_small_config_static_selectorELNS0_4arch9wavefront6targetE0EEEvSK_.kd
    .uniform_work_group_size: 1
    .uses_dynamic_stack: false
    .vgpr_count:     0
    .vgpr_spill_count: 0
    .wavefront_size: 32
    .workgroup_processor_mode: 1
  - .args:
      - .offset:         0
        .size:           88
        .value_kind:     by_value
    .group_segment_fixed_size: 0
    .kernarg_segment_align: 8
    .kernarg_segment_size: 88
    .language:       OpenCL C
    .language_version:
      - 2
      - 0
    .max_flat_workgroup_size: 256
    .name:           _ZN7rocprim17ROCPRIM_400000_NS6detail17trampoline_kernelINS0_14default_configENS1_36segmented_radix_sort_config_selectorIdlEEZNS1_25segmented_radix_sort_implIS3_Lb1EPKdPdPKlPlN2at6native12_GLOBAL__N_18offset_tEEE10hipError_tPvRmT1_PNSt15iterator_traitsISK_E10value_typeET2_T3_PNSL_ISQ_E10value_typeET4_jRbjT5_SW_jjP12ihipStream_tbEUlT_E1_NS1_11comp_targetILNS1_3genE9ELNS1_11target_archE1100ELNS1_3gpuE3ELNS1_3repE0EEENS1_59segmented_radix_sort_warp_sort_small_config_static_selectorELNS0_4arch9wavefront6targetE0EEEvSK_
    .private_segment_fixed_size: 0
    .sgpr_count:     0
    .sgpr_spill_count: 0
    .symbol:         _ZN7rocprim17ROCPRIM_400000_NS6detail17trampoline_kernelINS0_14default_configENS1_36segmented_radix_sort_config_selectorIdlEEZNS1_25segmented_radix_sort_implIS3_Lb1EPKdPdPKlPlN2at6native12_GLOBAL__N_18offset_tEEE10hipError_tPvRmT1_PNSt15iterator_traitsISK_E10value_typeET2_T3_PNSL_ISQ_E10value_typeET4_jRbjT5_SW_jjP12ihipStream_tbEUlT_E1_NS1_11comp_targetILNS1_3genE9ELNS1_11target_archE1100ELNS1_3gpuE3ELNS1_3repE0EEENS1_59segmented_radix_sort_warp_sort_small_config_static_selectorELNS0_4arch9wavefront6targetE0EEEvSK_.kd
    .uniform_work_group_size: 1
    .uses_dynamic_stack: false
    .vgpr_count:     0
    .vgpr_spill_count: 0
    .wavefront_size: 32
    .workgroup_processor_mode: 1
  - .args:
      - .offset:         0
        .size:           88
        .value_kind:     by_value
      - .offset:         88
        .size:           4
        .value_kind:     hidden_block_count_x
      - .offset:         92
        .size:           4
        .value_kind:     hidden_block_count_y
      - .offset:         96
        .size:           4
        .value_kind:     hidden_block_count_z
      - .offset:         100
        .size:           2
        .value_kind:     hidden_group_size_x
      - .offset:         102
        .size:           2
        .value_kind:     hidden_group_size_y
      - .offset:         104
        .size:           2
        .value_kind:     hidden_group_size_z
      - .offset:         106
        .size:           2
        .value_kind:     hidden_remainder_x
      - .offset:         108
        .size:           2
        .value_kind:     hidden_remainder_y
      - .offset:         110
        .size:           2
        .value_kind:     hidden_remainder_z
      - .offset:         128
        .size:           8
        .value_kind:     hidden_global_offset_x
      - .offset:         136
        .size:           8
        .value_kind:     hidden_global_offset_y
      - .offset:         144
        .size:           8
        .value_kind:     hidden_global_offset_z
      - .offset:         152
        .size:           2
        .value_kind:     hidden_grid_dims
    .group_segment_fixed_size: 32768
    .kernarg_segment_align: 8
    .kernarg_segment_size: 344
    .language:       OpenCL C
    .language_version:
      - 2
      - 0
    .max_flat_workgroup_size: 256
    .name:           _ZN7rocprim17ROCPRIM_400000_NS6detail17trampoline_kernelINS0_14default_configENS1_36segmented_radix_sort_config_selectorIdlEEZNS1_25segmented_radix_sort_implIS3_Lb1EPKdPdPKlPlN2at6native12_GLOBAL__N_18offset_tEEE10hipError_tPvRmT1_PNSt15iterator_traitsISK_E10value_typeET2_T3_PNSL_ISQ_E10value_typeET4_jRbjT5_SW_jjP12ihipStream_tbEUlT_E1_NS1_11comp_targetILNS1_3genE8ELNS1_11target_archE1030ELNS1_3gpuE2ELNS1_3repE0EEENS1_59segmented_radix_sort_warp_sort_small_config_static_selectorELNS0_4arch9wavefront6targetE0EEEvSK_
    .private_segment_fixed_size: 0
    .sgpr_count:     46
    .sgpr_spill_count: 0
    .symbol:         _ZN7rocprim17ROCPRIM_400000_NS6detail17trampoline_kernelINS0_14default_configENS1_36segmented_radix_sort_config_selectorIdlEEZNS1_25segmented_radix_sort_implIS3_Lb1EPKdPdPKlPlN2at6native12_GLOBAL__N_18offset_tEEE10hipError_tPvRmT1_PNSt15iterator_traitsISK_E10value_typeET2_T3_PNSL_ISQ_E10value_typeET4_jRbjT5_SW_jjP12ihipStream_tbEUlT_E1_NS1_11comp_targetILNS1_3genE8ELNS1_11target_archE1030ELNS1_3gpuE2ELNS1_3repE0EEENS1_59segmented_radix_sort_warp_sort_small_config_static_selectorELNS0_4arch9wavefront6targetE0EEEvSK_.kd
    .uniform_work_group_size: 1
    .uses_dynamic_stack: false
    .vgpr_count:     132
    .vgpr_spill_count: 0
    .wavefront_size: 32
    .workgroup_processor_mode: 1
  - .args:
      - .offset:         0
        .size:           80
        .value_kind:     by_value
    .group_segment_fixed_size: 0
    .kernarg_segment_align: 8
    .kernarg_segment_size: 80
    .language:       OpenCL C
    .language_version:
      - 2
      - 0
    .max_flat_workgroup_size: 256
    .name:           _ZN7rocprim17ROCPRIM_400000_NS6detail17trampoline_kernelINS0_14default_configENS1_36segmented_radix_sort_config_selectorIdlEEZNS1_25segmented_radix_sort_implIS3_Lb1EPKdPdPKlPlN2at6native12_GLOBAL__N_18offset_tEEE10hipError_tPvRmT1_PNSt15iterator_traitsISK_E10value_typeET2_T3_PNSL_ISQ_E10value_typeET4_jRbjT5_SW_jjP12ihipStream_tbEUlT_E2_NS1_11comp_targetILNS1_3genE0ELNS1_11target_archE4294967295ELNS1_3gpuE0ELNS1_3repE0EEENS1_30default_config_static_selectorELNS0_4arch9wavefront6targetE0EEEvSK_
    .private_segment_fixed_size: 0
    .sgpr_count:     0
    .sgpr_spill_count: 0
    .symbol:         _ZN7rocprim17ROCPRIM_400000_NS6detail17trampoline_kernelINS0_14default_configENS1_36segmented_radix_sort_config_selectorIdlEEZNS1_25segmented_radix_sort_implIS3_Lb1EPKdPdPKlPlN2at6native12_GLOBAL__N_18offset_tEEE10hipError_tPvRmT1_PNSt15iterator_traitsISK_E10value_typeET2_T3_PNSL_ISQ_E10value_typeET4_jRbjT5_SW_jjP12ihipStream_tbEUlT_E2_NS1_11comp_targetILNS1_3genE0ELNS1_11target_archE4294967295ELNS1_3gpuE0ELNS1_3repE0EEENS1_30default_config_static_selectorELNS0_4arch9wavefront6targetE0EEEvSK_.kd
    .uniform_work_group_size: 1
    .uses_dynamic_stack: false
    .vgpr_count:     0
    .vgpr_spill_count: 0
    .wavefront_size: 32
    .workgroup_processor_mode: 1
  - .args:
      - .offset:         0
        .size:           80
        .value_kind:     by_value
    .group_segment_fixed_size: 0
    .kernarg_segment_align: 8
    .kernarg_segment_size: 80
    .language:       OpenCL C
    .language_version:
      - 2
      - 0
    .max_flat_workgroup_size: 256
    .name:           _ZN7rocprim17ROCPRIM_400000_NS6detail17trampoline_kernelINS0_14default_configENS1_36segmented_radix_sort_config_selectorIdlEEZNS1_25segmented_radix_sort_implIS3_Lb1EPKdPdPKlPlN2at6native12_GLOBAL__N_18offset_tEEE10hipError_tPvRmT1_PNSt15iterator_traitsISK_E10value_typeET2_T3_PNSL_ISQ_E10value_typeET4_jRbjT5_SW_jjP12ihipStream_tbEUlT_E2_NS1_11comp_targetILNS1_3genE5ELNS1_11target_archE942ELNS1_3gpuE9ELNS1_3repE0EEENS1_30default_config_static_selectorELNS0_4arch9wavefront6targetE0EEEvSK_
    .private_segment_fixed_size: 0
    .sgpr_count:     0
    .sgpr_spill_count: 0
    .symbol:         _ZN7rocprim17ROCPRIM_400000_NS6detail17trampoline_kernelINS0_14default_configENS1_36segmented_radix_sort_config_selectorIdlEEZNS1_25segmented_radix_sort_implIS3_Lb1EPKdPdPKlPlN2at6native12_GLOBAL__N_18offset_tEEE10hipError_tPvRmT1_PNSt15iterator_traitsISK_E10value_typeET2_T3_PNSL_ISQ_E10value_typeET4_jRbjT5_SW_jjP12ihipStream_tbEUlT_E2_NS1_11comp_targetILNS1_3genE5ELNS1_11target_archE942ELNS1_3gpuE9ELNS1_3repE0EEENS1_30default_config_static_selectorELNS0_4arch9wavefront6targetE0EEEvSK_.kd
    .uniform_work_group_size: 1
    .uses_dynamic_stack: false
    .vgpr_count:     0
    .vgpr_spill_count: 0
    .wavefront_size: 32
    .workgroup_processor_mode: 1
  - .args:
      - .offset:         0
        .size:           80
        .value_kind:     by_value
    .group_segment_fixed_size: 0
    .kernarg_segment_align: 8
    .kernarg_segment_size: 80
    .language:       OpenCL C
    .language_version:
      - 2
      - 0
    .max_flat_workgroup_size: 256
    .name:           _ZN7rocprim17ROCPRIM_400000_NS6detail17trampoline_kernelINS0_14default_configENS1_36segmented_radix_sort_config_selectorIdlEEZNS1_25segmented_radix_sort_implIS3_Lb1EPKdPdPKlPlN2at6native12_GLOBAL__N_18offset_tEEE10hipError_tPvRmT1_PNSt15iterator_traitsISK_E10value_typeET2_T3_PNSL_ISQ_E10value_typeET4_jRbjT5_SW_jjP12ihipStream_tbEUlT_E2_NS1_11comp_targetILNS1_3genE4ELNS1_11target_archE910ELNS1_3gpuE8ELNS1_3repE0EEENS1_30default_config_static_selectorELNS0_4arch9wavefront6targetE0EEEvSK_
    .private_segment_fixed_size: 0
    .sgpr_count:     0
    .sgpr_spill_count: 0
    .symbol:         _ZN7rocprim17ROCPRIM_400000_NS6detail17trampoline_kernelINS0_14default_configENS1_36segmented_radix_sort_config_selectorIdlEEZNS1_25segmented_radix_sort_implIS3_Lb1EPKdPdPKlPlN2at6native12_GLOBAL__N_18offset_tEEE10hipError_tPvRmT1_PNSt15iterator_traitsISK_E10value_typeET2_T3_PNSL_ISQ_E10value_typeET4_jRbjT5_SW_jjP12ihipStream_tbEUlT_E2_NS1_11comp_targetILNS1_3genE4ELNS1_11target_archE910ELNS1_3gpuE8ELNS1_3repE0EEENS1_30default_config_static_selectorELNS0_4arch9wavefront6targetE0EEEvSK_.kd
    .uniform_work_group_size: 1
    .uses_dynamic_stack: false
    .vgpr_count:     0
    .vgpr_spill_count: 0
    .wavefront_size: 32
    .workgroup_processor_mode: 1
  - .args:
      - .offset:         0
        .size:           80
        .value_kind:     by_value
    .group_segment_fixed_size: 0
    .kernarg_segment_align: 8
    .kernarg_segment_size: 80
    .language:       OpenCL C
    .language_version:
      - 2
      - 0
    .max_flat_workgroup_size: 256
    .name:           _ZN7rocprim17ROCPRIM_400000_NS6detail17trampoline_kernelINS0_14default_configENS1_36segmented_radix_sort_config_selectorIdlEEZNS1_25segmented_radix_sort_implIS3_Lb1EPKdPdPKlPlN2at6native12_GLOBAL__N_18offset_tEEE10hipError_tPvRmT1_PNSt15iterator_traitsISK_E10value_typeET2_T3_PNSL_ISQ_E10value_typeET4_jRbjT5_SW_jjP12ihipStream_tbEUlT_E2_NS1_11comp_targetILNS1_3genE3ELNS1_11target_archE908ELNS1_3gpuE7ELNS1_3repE0EEENS1_30default_config_static_selectorELNS0_4arch9wavefront6targetE0EEEvSK_
    .private_segment_fixed_size: 0
    .sgpr_count:     0
    .sgpr_spill_count: 0
    .symbol:         _ZN7rocprim17ROCPRIM_400000_NS6detail17trampoline_kernelINS0_14default_configENS1_36segmented_radix_sort_config_selectorIdlEEZNS1_25segmented_radix_sort_implIS3_Lb1EPKdPdPKlPlN2at6native12_GLOBAL__N_18offset_tEEE10hipError_tPvRmT1_PNSt15iterator_traitsISK_E10value_typeET2_T3_PNSL_ISQ_E10value_typeET4_jRbjT5_SW_jjP12ihipStream_tbEUlT_E2_NS1_11comp_targetILNS1_3genE3ELNS1_11target_archE908ELNS1_3gpuE7ELNS1_3repE0EEENS1_30default_config_static_selectorELNS0_4arch9wavefront6targetE0EEEvSK_.kd
    .uniform_work_group_size: 1
    .uses_dynamic_stack: false
    .vgpr_count:     0
    .vgpr_spill_count: 0
    .wavefront_size: 32
    .workgroup_processor_mode: 1
  - .args:
      - .offset:         0
        .size:           80
        .value_kind:     by_value
    .group_segment_fixed_size: 0
    .kernarg_segment_align: 8
    .kernarg_segment_size: 80
    .language:       OpenCL C
    .language_version:
      - 2
      - 0
    .max_flat_workgroup_size: 256
    .name:           _ZN7rocprim17ROCPRIM_400000_NS6detail17trampoline_kernelINS0_14default_configENS1_36segmented_radix_sort_config_selectorIdlEEZNS1_25segmented_radix_sort_implIS3_Lb1EPKdPdPKlPlN2at6native12_GLOBAL__N_18offset_tEEE10hipError_tPvRmT1_PNSt15iterator_traitsISK_E10value_typeET2_T3_PNSL_ISQ_E10value_typeET4_jRbjT5_SW_jjP12ihipStream_tbEUlT_E2_NS1_11comp_targetILNS1_3genE2ELNS1_11target_archE906ELNS1_3gpuE6ELNS1_3repE0EEENS1_30default_config_static_selectorELNS0_4arch9wavefront6targetE0EEEvSK_
    .private_segment_fixed_size: 0
    .sgpr_count:     0
    .sgpr_spill_count: 0
    .symbol:         _ZN7rocprim17ROCPRIM_400000_NS6detail17trampoline_kernelINS0_14default_configENS1_36segmented_radix_sort_config_selectorIdlEEZNS1_25segmented_radix_sort_implIS3_Lb1EPKdPdPKlPlN2at6native12_GLOBAL__N_18offset_tEEE10hipError_tPvRmT1_PNSt15iterator_traitsISK_E10value_typeET2_T3_PNSL_ISQ_E10value_typeET4_jRbjT5_SW_jjP12ihipStream_tbEUlT_E2_NS1_11comp_targetILNS1_3genE2ELNS1_11target_archE906ELNS1_3gpuE6ELNS1_3repE0EEENS1_30default_config_static_selectorELNS0_4arch9wavefront6targetE0EEEvSK_.kd
    .uniform_work_group_size: 1
    .uses_dynamic_stack: false
    .vgpr_count:     0
    .vgpr_spill_count: 0
    .wavefront_size: 32
    .workgroup_processor_mode: 1
  - .args:
      - .offset:         0
        .size:           80
        .value_kind:     by_value
    .group_segment_fixed_size: 0
    .kernarg_segment_align: 8
    .kernarg_segment_size: 80
    .language:       OpenCL C
    .language_version:
      - 2
      - 0
    .max_flat_workgroup_size: 256
    .name:           _ZN7rocprim17ROCPRIM_400000_NS6detail17trampoline_kernelINS0_14default_configENS1_36segmented_radix_sort_config_selectorIdlEEZNS1_25segmented_radix_sort_implIS3_Lb1EPKdPdPKlPlN2at6native12_GLOBAL__N_18offset_tEEE10hipError_tPvRmT1_PNSt15iterator_traitsISK_E10value_typeET2_T3_PNSL_ISQ_E10value_typeET4_jRbjT5_SW_jjP12ihipStream_tbEUlT_E2_NS1_11comp_targetILNS1_3genE10ELNS1_11target_archE1201ELNS1_3gpuE5ELNS1_3repE0EEENS1_30default_config_static_selectorELNS0_4arch9wavefront6targetE0EEEvSK_
    .private_segment_fixed_size: 0
    .sgpr_count:     0
    .sgpr_spill_count: 0
    .symbol:         _ZN7rocprim17ROCPRIM_400000_NS6detail17trampoline_kernelINS0_14default_configENS1_36segmented_radix_sort_config_selectorIdlEEZNS1_25segmented_radix_sort_implIS3_Lb1EPKdPdPKlPlN2at6native12_GLOBAL__N_18offset_tEEE10hipError_tPvRmT1_PNSt15iterator_traitsISK_E10value_typeET2_T3_PNSL_ISQ_E10value_typeET4_jRbjT5_SW_jjP12ihipStream_tbEUlT_E2_NS1_11comp_targetILNS1_3genE10ELNS1_11target_archE1201ELNS1_3gpuE5ELNS1_3repE0EEENS1_30default_config_static_selectorELNS0_4arch9wavefront6targetE0EEEvSK_.kd
    .uniform_work_group_size: 1
    .uses_dynamic_stack: false
    .vgpr_count:     0
    .vgpr_spill_count: 0
    .wavefront_size: 32
    .workgroup_processor_mode: 1
  - .args:
      - .offset:         0
        .size:           80
        .value_kind:     by_value
    .group_segment_fixed_size: 0
    .kernarg_segment_align: 8
    .kernarg_segment_size: 80
    .language:       OpenCL C
    .language_version:
      - 2
      - 0
    .max_flat_workgroup_size: 128
    .name:           _ZN7rocprim17ROCPRIM_400000_NS6detail17trampoline_kernelINS0_14default_configENS1_36segmented_radix_sort_config_selectorIdlEEZNS1_25segmented_radix_sort_implIS3_Lb1EPKdPdPKlPlN2at6native12_GLOBAL__N_18offset_tEEE10hipError_tPvRmT1_PNSt15iterator_traitsISK_E10value_typeET2_T3_PNSL_ISQ_E10value_typeET4_jRbjT5_SW_jjP12ihipStream_tbEUlT_E2_NS1_11comp_targetILNS1_3genE10ELNS1_11target_archE1200ELNS1_3gpuE4ELNS1_3repE0EEENS1_30default_config_static_selectorELNS0_4arch9wavefront6targetE0EEEvSK_
    .private_segment_fixed_size: 0
    .sgpr_count:     0
    .sgpr_spill_count: 0
    .symbol:         _ZN7rocprim17ROCPRIM_400000_NS6detail17trampoline_kernelINS0_14default_configENS1_36segmented_radix_sort_config_selectorIdlEEZNS1_25segmented_radix_sort_implIS3_Lb1EPKdPdPKlPlN2at6native12_GLOBAL__N_18offset_tEEE10hipError_tPvRmT1_PNSt15iterator_traitsISK_E10value_typeET2_T3_PNSL_ISQ_E10value_typeET4_jRbjT5_SW_jjP12ihipStream_tbEUlT_E2_NS1_11comp_targetILNS1_3genE10ELNS1_11target_archE1200ELNS1_3gpuE4ELNS1_3repE0EEENS1_30default_config_static_selectorELNS0_4arch9wavefront6targetE0EEEvSK_.kd
    .uniform_work_group_size: 1
    .uses_dynamic_stack: false
    .vgpr_count:     0
    .vgpr_spill_count: 0
    .wavefront_size: 32
    .workgroup_processor_mode: 1
  - .args:
      - .offset:         0
        .size:           80
        .value_kind:     by_value
    .group_segment_fixed_size: 0
    .kernarg_segment_align: 8
    .kernarg_segment_size: 80
    .language:       OpenCL C
    .language_version:
      - 2
      - 0
    .max_flat_workgroup_size: 256
    .name:           _ZN7rocprim17ROCPRIM_400000_NS6detail17trampoline_kernelINS0_14default_configENS1_36segmented_radix_sort_config_selectorIdlEEZNS1_25segmented_radix_sort_implIS3_Lb1EPKdPdPKlPlN2at6native12_GLOBAL__N_18offset_tEEE10hipError_tPvRmT1_PNSt15iterator_traitsISK_E10value_typeET2_T3_PNSL_ISQ_E10value_typeET4_jRbjT5_SW_jjP12ihipStream_tbEUlT_E2_NS1_11comp_targetILNS1_3genE9ELNS1_11target_archE1100ELNS1_3gpuE3ELNS1_3repE0EEENS1_30default_config_static_selectorELNS0_4arch9wavefront6targetE0EEEvSK_
    .private_segment_fixed_size: 0
    .sgpr_count:     0
    .sgpr_spill_count: 0
    .symbol:         _ZN7rocprim17ROCPRIM_400000_NS6detail17trampoline_kernelINS0_14default_configENS1_36segmented_radix_sort_config_selectorIdlEEZNS1_25segmented_radix_sort_implIS3_Lb1EPKdPdPKlPlN2at6native12_GLOBAL__N_18offset_tEEE10hipError_tPvRmT1_PNSt15iterator_traitsISK_E10value_typeET2_T3_PNSL_ISQ_E10value_typeET4_jRbjT5_SW_jjP12ihipStream_tbEUlT_E2_NS1_11comp_targetILNS1_3genE9ELNS1_11target_archE1100ELNS1_3gpuE3ELNS1_3repE0EEENS1_30default_config_static_selectorELNS0_4arch9wavefront6targetE0EEEvSK_.kd
    .uniform_work_group_size: 1
    .uses_dynamic_stack: false
    .vgpr_count:     0
    .vgpr_spill_count: 0
    .wavefront_size: 32
    .workgroup_processor_mode: 1
  - .args:
      - .offset:         0
        .size:           80
        .value_kind:     by_value
      - .offset:         80
        .size:           4
        .value_kind:     hidden_block_count_x
      - .offset:         84
        .size:           4
        .value_kind:     hidden_block_count_y
      - .offset:         88
        .size:           4
        .value_kind:     hidden_block_count_z
      - .offset:         92
        .size:           2
        .value_kind:     hidden_group_size_x
      - .offset:         94
        .size:           2
        .value_kind:     hidden_group_size_y
      - .offset:         96
        .size:           2
        .value_kind:     hidden_group_size_z
      - .offset:         98
        .size:           2
        .value_kind:     hidden_remainder_x
      - .offset:         100
        .size:           2
        .value_kind:     hidden_remainder_y
      - .offset:         102
        .size:           2
        .value_kind:     hidden_remainder_z
      - .offset:         120
        .size:           8
        .value_kind:     hidden_global_offset_x
      - .offset:         128
        .size:           8
        .value_kind:     hidden_global_offset_y
      - .offset:         136
        .size:           8
        .value_kind:     hidden_global_offset_z
      - .offset:         144
        .size:           2
        .value_kind:     hidden_grid_dims
    .group_segment_fixed_size: 33296
    .kernarg_segment_align: 8
    .kernarg_segment_size: 336
    .language:       OpenCL C
    .language_version:
      - 2
      - 0
    .max_flat_workgroup_size: 256
    .name:           _ZN7rocprim17ROCPRIM_400000_NS6detail17trampoline_kernelINS0_14default_configENS1_36segmented_radix_sort_config_selectorIdlEEZNS1_25segmented_radix_sort_implIS3_Lb1EPKdPdPKlPlN2at6native12_GLOBAL__N_18offset_tEEE10hipError_tPvRmT1_PNSt15iterator_traitsISK_E10value_typeET2_T3_PNSL_ISQ_E10value_typeET4_jRbjT5_SW_jjP12ihipStream_tbEUlT_E2_NS1_11comp_targetILNS1_3genE8ELNS1_11target_archE1030ELNS1_3gpuE2ELNS1_3repE0EEENS1_30default_config_static_selectorELNS0_4arch9wavefront6targetE0EEEvSK_
    .private_segment_fixed_size: 176
    .sgpr_count:     70
    .sgpr_spill_count: 0
    .symbol:         _ZN7rocprim17ROCPRIM_400000_NS6detail17trampoline_kernelINS0_14default_configENS1_36segmented_radix_sort_config_selectorIdlEEZNS1_25segmented_radix_sort_implIS3_Lb1EPKdPdPKlPlN2at6native12_GLOBAL__N_18offset_tEEE10hipError_tPvRmT1_PNSt15iterator_traitsISK_E10value_typeET2_T3_PNSL_ISQ_E10value_typeET4_jRbjT5_SW_jjP12ihipStream_tbEUlT_E2_NS1_11comp_targetILNS1_3genE8ELNS1_11target_archE1030ELNS1_3gpuE2ELNS1_3repE0EEENS1_30default_config_static_selectorELNS0_4arch9wavefront6targetE0EEEvSK_.kd
    .uniform_work_group_size: 1
    .uses_dynamic_stack: false
    .vgpr_count:     248
    .vgpr_spill_count: 0
    .wavefront_size: 32
    .workgroup_processor_mode: 1
  - .args:
      - .offset:         0
        .size:           176
        .value_kind:     by_value
    .group_segment_fixed_size: 0
    .kernarg_segment_align: 8
    .kernarg_segment_size: 176
    .language:       OpenCL C
    .language_version:
      - 2
      - 0
    .max_flat_workgroup_size: 256
    .name:           _ZN7rocprim17ROCPRIM_400000_NS6detail17trampoline_kernelINS0_13select_configILj256ELj13ELNS0_17block_load_methodE3ELS4_3ELS4_3ELNS0_20block_scan_algorithmE0ELj4294967295EEENS1_25partition_config_selectorILNS1_17partition_subalgoE4EjNS0_10empty_typeEbEEZZNS1_14partition_implILS8_4ELb0ES6_15HIP_vector_typeIjLj2EENS0_17counting_iteratorIjlEEPS9_SG_NS0_5tupleIJPjSI_NS0_16reverse_iteratorISI_EEEEENSH_IJSG_SG_SG_EEES9_SI_JZNS1_25segmented_radix_sort_implINS0_14default_configELb0EPKdPdPKlPlN2at6native12_GLOBAL__N_18offset_tEEE10hipError_tPvRmT1_PNSt15iterator_traitsIS12_E10value_typeET2_T3_PNS13_IS18_E10value_typeET4_jRbjT5_S1E_jjP12ihipStream_tbEUljE_ZNSN_ISO_Lb0ESQ_SR_ST_SU_SY_EESZ_S10_S11_S12_S16_S17_S18_S1B_S1C_jS1D_jS1E_S1E_jjS1G_bEUljE0_EEESZ_S10_S11_S18_S1C_S1E_T6_T7_T9_mT8_S1G_bDpT10_ENKUlT_T0_E_clISt17integral_constantIbLb0EES1U_EEDaS1P_S1Q_EUlS1P_E_NS1_11comp_targetILNS1_3genE0ELNS1_11target_archE4294967295ELNS1_3gpuE0ELNS1_3repE0EEENS1_30default_config_static_selectorELNS0_4arch9wavefront6targetE0EEEvS12_
    .private_segment_fixed_size: 0
    .sgpr_count:     0
    .sgpr_spill_count: 0
    .symbol:         _ZN7rocprim17ROCPRIM_400000_NS6detail17trampoline_kernelINS0_13select_configILj256ELj13ELNS0_17block_load_methodE3ELS4_3ELS4_3ELNS0_20block_scan_algorithmE0ELj4294967295EEENS1_25partition_config_selectorILNS1_17partition_subalgoE4EjNS0_10empty_typeEbEEZZNS1_14partition_implILS8_4ELb0ES6_15HIP_vector_typeIjLj2EENS0_17counting_iteratorIjlEEPS9_SG_NS0_5tupleIJPjSI_NS0_16reverse_iteratorISI_EEEEENSH_IJSG_SG_SG_EEES9_SI_JZNS1_25segmented_radix_sort_implINS0_14default_configELb0EPKdPdPKlPlN2at6native12_GLOBAL__N_18offset_tEEE10hipError_tPvRmT1_PNSt15iterator_traitsIS12_E10value_typeET2_T3_PNS13_IS18_E10value_typeET4_jRbjT5_S1E_jjP12ihipStream_tbEUljE_ZNSN_ISO_Lb0ESQ_SR_ST_SU_SY_EESZ_S10_S11_S12_S16_S17_S18_S1B_S1C_jS1D_jS1E_S1E_jjS1G_bEUljE0_EEESZ_S10_S11_S18_S1C_S1E_T6_T7_T9_mT8_S1G_bDpT10_ENKUlT_T0_E_clISt17integral_constantIbLb0EES1U_EEDaS1P_S1Q_EUlS1P_E_NS1_11comp_targetILNS1_3genE0ELNS1_11target_archE4294967295ELNS1_3gpuE0ELNS1_3repE0EEENS1_30default_config_static_selectorELNS0_4arch9wavefront6targetE0EEEvS12_.kd
    .uniform_work_group_size: 1
    .uses_dynamic_stack: false
    .vgpr_count:     0
    .vgpr_spill_count: 0
    .wavefront_size: 32
    .workgroup_processor_mode: 1
  - .args:
      - .offset:         0
        .size:           176
        .value_kind:     by_value
    .group_segment_fixed_size: 0
    .kernarg_segment_align: 8
    .kernarg_segment_size: 176
    .language:       OpenCL C
    .language_version:
      - 2
      - 0
    .max_flat_workgroup_size: 256
    .name:           _ZN7rocprim17ROCPRIM_400000_NS6detail17trampoline_kernelINS0_13select_configILj256ELj13ELNS0_17block_load_methodE3ELS4_3ELS4_3ELNS0_20block_scan_algorithmE0ELj4294967295EEENS1_25partition_config_selectorILNS1_17partition_subalgoE4EjNS0_10empty_typeEbEEZZNS1_14partition_implILS8_4ELb0ES6_15HIP_vector_typeIjLj2EENS0_17counting_iteratorIjlEEPS9_SG_NS0_5tupleIJPjSI_NS0_16reverse_iteratorISI_EEEEENSH_IJSG_SG_SG_EEES9_SI_JZNS1_25segmented_radix_sort_implINS0_14default_configELb0EPKdPdPKlPlN2at6native12_GLOBAL__N_18offset_tEEE10hipError_tPvRmT1_PNSt15iterator_traitsIS12_E10value_typeET2_T3_PNS13_IS18_E10value_typeET4_jRbjT5_S1E_jjP12ihipStream_tbEUljE_ZNSN_ISO_Lb0ESQ_SR_ST_SU_SY_EESZ_S10_S11_S12_S16_S17_S18_S1B_S1C_jS1D_jS1E_S1E_jjS1G_bEUljE0_EEESZ_S10_S11_S18_S1C_S1E_T6_T7_T9_mT8_S1G_bDpT10_ENKUlT_T0_E_clISt17integral_constantIbLb0EES1U_EEDaS1P_S1Q_EUlS1P_E_NS1_11comp_targetILNS1_3genE5ELNS1_11target_archE942ELNS1_3gpuE9ELNS1_3repE0EEENS1_30default_config_static_selectorELNS0_4arch9wavefront6targetE0EEEvS12_
    .private_segment_fixed_size: 0
    .sgpr_count:     0
    .sgpr_spill_count: 0
    .symbol:         _ZN7rocprim17ROCPRIM_400000_NS6detail17trampoline_kernelINS0_13select_configILj256ELj13ELNS0_17block_load_methodE3ELS4_3ELS4_3ELNS0_20block_scan_algorithmE0ELj4294967295EEENS1_25partition_config_selectorILNS1_17partition_subalgoE4EjNS0_10empty_typeEbEEZZNS1_14partition_implILS8_4ELb0ES6_15HIP_vector_typeIjLj2EENS0_17counting_iteratorIjlEEPS9_SG_NS0_5tupleIJPjSI_NS0_16reverse_iteratorISI_EEEEENSH_IJSG_SG_SG_EEES9_SI_JZNS1_25segmented_radix_sort_implINS0_14default_configELb0EPKdPdPKlPlN2at6native12_GLOBAL__N_18offset_tEEE10hipError_tPvRmT1_PNSt15iterator_traitsIS12_E10value_typeET2_T3_PNS13_IS18_E10value_typeET4_jRbjT5_S1E_jjP12ihipStream_tbEUljE_ZNSN_ISO_Lb0ESQ_SR_ST_SU_SY_EESZ_S10_S11_S12_S16_S17_S18_S1B_S1C_jS1D_jS1E_S1E_jjS1G_bEUljE0_EEESZ_S10_S11_S18_S1C_S1E_T6_T7_T9_mT8_S1G_bDpT10_ENKUlT_T0_E_clISt17integral_constantIbLb0EES1U_EEDaS1P_S1Q_EUlS1P_E_NS1_11comp_targetILNS1_3genE5ELNS1_11target_archE942ELNS1_3gpuE9ELNS1_3repE0EEENS1_30default_config_static_selectorELNS0_4arch9wavefront6targetE0EEEvS12_.kd
    .uniform_work_group_size: 1
    .uses_dynamic_stack: false
    .vgpr_count:     0
    .vgpr_spill_count: 0
    .wavefront_size: 32
    .workgroup_processor_mode: 1
  - .args:
      - .offset:         0
        .size:           176
        .value_kind:     by_value
    .group_segment_fixed_size: 0
    .kernarg_segment_align: 8
    .kernarg_segment_size: 176
    .language:       OpenCL C
    .language_version:
      - 2
      - 0
    .max_flat_workgroup_size: 256
    .name:           _ZN7rocprim17ROCPRIM_400000_NS6detail17trampoline_kernelINS0_13select_configILj256ELj13ELNS0_17block_load_methodE3ELS4_3ELS4_3ELNS0_20block_scan_algorithmE0ELj4294967295EEENS1_25partition_config_selectorILNS1_17partition_subalgoE4EjNS0_10empty_typeEbEEZZNS1_14partition_implILS8_4ELb0ES6_15HIP_vector_typeIjLj2EENS0_17counting_iteratorIjlEEPS9_SG_NS0_5tupleIJPjSI_NS0_16reverse_iteratorISI_EEEEENSH_IJSG_SG_SG_EEES9_SI_JZNS1_25segmented_radix_sort_implINS0_14default_configELb0EPKdPdPKlPlN2at6native12_GLOBAL__N_18offset_tEEE10hipError_tPvRmT1_PNSt15iterator_traitsIS12_E10value_typeET2_T3_PNS13_IS18_E10value_typeET4_jRbjT5_S1E_jjP12ihipStream_tbEUljE_ZNSN_ISO_Lb0ESQ_SR_ST_SU_SY_EESZ_S10_S11_S12_S16_S17_S18_S1B_S1C_jS1D_jS1E_S1E_jjS1G_bEUljE0_EEESZ_S10_S11_S18_S1C_S1E_T6_T7_T9_mT8_S1G_bDpT10_ENKUlT_T0_E_clISt17integral_constantIbLb0EES1U_EEDaS1P_S1Q_EUlS1P_E_NS1_11comp_targetILNS1_3genE4ELNS1_11target_archE910ELNS1_3gpuE8ELNS1_3repE0EEENS1_30default_config_static_selectorELNS0_4arch9wavefront6targetE0EEEvS12_
    .private_segment_fixed_size: 0
    .sgpr_count:     0
    .sgpr_spill_count: 0
    .symbol:         _ZN7rocprim17ROCPRIM_400000_NS6detail17trampoline_kernelINS0_13select_configILj256ELj13ELNS0_17block_load_methodE3ELS4_3ELS4_3ELNS0_20block_scan_algorithmE0ELj4294967295EEENS1_25partition_config_selectorILNS1_17partition_subalgoE4EjNS0_10empty_typeEbEEZZNS1_14partition_implILS8_4ELb0ES6_15HIP_vector_typeIjLj2EENS0_17counting_iteratorIjlEEPS9_SG_NS0_5tupleIJPjSI_NS0_16reverse_iteratorISI_EEEEENSH_IJSG_SG_SG_EEES9_SI_JZNS1_25segmented_radix_sort_implINS0_14default_configELb0EPKdPdPKlPlN2at6native12_GLOBAL__N_18offset_tEEE10hipError_tPvRmT1_PNSt15iterator_traitsIS12_E10value_typeET2_T3_PNS13_IS18_E10value_typeET4_jRbjT5_S1E_jjP12ihipStream_tbEUljE_ZNSN_ISO_Lb0ESQ_SR_ST_SU_SY_EESZ_S10_S11_S12_S16_S17_S18_S1B_S1C_jS1D_jS1E_S1E_jjS1G_bEUljE0_EEESZ_S10_S11_S18_S1C_S1E_T6_T7_T9_mT8_S1G_bDpT10_ENKUlT_T0_E_clISt17integral_constantIbLb0EES1U_EEDaS1P_S1Q_EUlS1P_E_NS1_11comp_targetILNS1_3genE4ELNS1_11target_archE910ELNS1_3gpuE8ELNS1_3repE0EEENS1_30default_config_static_selectorELNS0_4arch9wavefront6targetE0EEEvS12_.kd
    .uniform_work_group_size: 1
    .uses_dynamic_stack: false
    .vgpr_count:     0
    .vgpr_spill_count: 0
    .wavefront_size: 32
    .workgroup_processor_mode: 1
  - .args:
      - .offset:         0
        .size:           176
        .value_kind:     by_value
    .group_segment_fixed_size: 0
    .kernarg_segment_align: 8
    .kernarg_segment_size: 176
    .language:       OpenCL C
    .language_version:
      - 2
      - 0
    .max_flat_workgroup_size: 256
    .name:           _ZN7rocprim17ROCPRIM_400000_NS6detail17trampoline_kernelINS0_13select_configILj256ELj13ELNS0_17block_load_methodE3ELS4_3ELS4_3ELNS0_20block_scan_algorithmE0ELj4294967295EEENS1_25partition_config_selectorILNS1_17partition_subalgoE4EjNS0_10empty_typeEbEEZZNS1_14partition_implILS8_4ELb0ES6_15HIP_vector_typeIjLj2EENS0_17counting_iteratorIjlEEPS9_SG_NS0_5tupleIJPjSI_NS0_16reverse_iteratorISI_EEEEENSH_IJSG_SG_SG_EEES9_SI_JZNS1_25segmented_radix_sort_implINS0_14default_configELb0EPKdPdPKlPlN2at6native12_GLOBAL__N_18offset_tEEE10hipError_tPvRmT1_PNSt15iterator_traitsIS12_E10value_typeET2_T3_PNS13_IS18_E10value_typeET4_jRbjT5_S1E_jjP12ihipStream_tbEUljE_ZNSN_ISO_Lb0ESQ_SR_ST_SU_SY_EESZ_S10_S11_S12_S16_S17_S18_S1B_S1C_jS1D_jS1E_S1E_jjS1G_bEUljE0_EEESZ_S10_S11_S18_S1C_S1E_T6_T7_T9_mT8_S1G_bDpT10_ENKUlT_T0_E_clISt17integral_constantIbLb0EES1U_EEDaS1P_S1Q_EUlS1P_E_NS1_11comp_targetILNS1_3genE3ELNS1_11target_archE908ELNS1_3gpuE7ELNS1_3repE0EEENS1_30default_config_static_selectorELNS0_4arch9wavefront6targetE0EEEvS12_
    .private_segment_fixed_size: 0
    .sgpr_count:     0
    .sgpr_spill_count: 0
    .symbol:         _ZN7rocprim17ROCPRIM_400000_NS6detail17trampoline_kernelINS0_13select_configILj256ELj13ELNS0_17block_load_methodE3ELS4_3ELS4_3ELNS0_20block_scan_algorithmE0ELj4294967295EEENS1_25partition_config_selectorILNS1_17partition_subalgoE4EjNS0_10empty_typeEbEEZZNS1_14partition_implILS8_4ELb0ES6_15HIP_vector_typeIjLj2EENS0_17counting_iteratorIjlEEPS9_SG_NS0_5tupleIJPjSI_NS0_16reverse_iteratorISI_EEEEENSH_IJSG_SG_SG_EEES9_SI_JZNS1_25segmented_radix_sort_implINS0_14default_configELb0EPKdPdPKlPlN2at6native12_GLOBAL__N_18offset_tEEE10hipError_tPvRmT1_PNSt15iterator_traitsIS12_E10value_typeET2_T3_PNS13_IS18_E10value_typeET4_jRbjT5_S1E_jjP12ihipStream_tbEUljE_ZNSN_ISO_Lb0ESQ_SR_ST_SU_SY_EESZ_S10_S11_S12_S16_S17_S18_S1B_S1C_jS1D_jS1E_S1E_jjS1G_bEUljE0_EEESZ_S10_S11_S18_S1C_S1E_T6_T7_T9_mT8_S1G_bDpT10_ENKUlT_T0_E_clISt17integral_constantIbLb0EES1U_EEDaS1P_S1Q_EUlS1P_E_NS1_11comp_targetILNS1_3genE3ELNS1_11target_archE908ELNS1_3gpuE7ELNS1_3repE0EEENS1_30default_config_static_selectorELNS0_4arch9wavefront6targetE0EEEvS12_.kd
    .uniform_work_group_size: 1
    .uses_dynamic_stack: false
    .vgpr_count:     0
    .vgpr_spill_count: 0
    .wavefront_size: 32
    .workgroup_processor_mode: 1
  - .args:
      - .offset:         0
        .size:           176
        .value_kind:     by_value
    .group_segment_fixed_size: 0
    .kernarg_segment_align: 8
    .kernarg_segment_size: 176
    .language:       OpenCL C
    .language_version:
      - 2
      - 0
    .max_flat_workgroup_size: 256
    .name:           _ZN7rocprim17ROCPRIM_400000_NS6detail17trampoline_kernelINS0_13select_configILj256ELj13ELNS0_17block_load_methodE3ELS4_3ELS4_3ELNS0_20block_scan_algorithmE0ELj4294967295EEENS1_25partition_config_selectorILNS1_17partition_subalgoE4EjNS0_10empty_typeEbEEZZNS1_14partition_implILS8_4ELb0ES6_15HIP_vector_typeIjLj2EENS0_17counting_iteratorIjlEEPS9_SG_NS0_5tupleIJPjSI_NS0_16reverse_iteratorISI_EEEEENSH_IJSG_SG_SG_EEES9_SI_JZNS1_25segmented_radix_sort_implINS0_14default_configELb0EPKdPdPKlPlN2at6native12_GLOBAL__N_18offset_tEEE10hipError_tPvRmT1_PNSt15iterator_traitsIS12_E10value_typeET2_T3_PNS13_IS18_E10value_typeET4_jRbjT5_S1E_jjP12ihipStream_tbEUljE_ZNSN_ISO_Lb0ESQ_SR_ST_SU_SY_EESZ_S10_S11_S12_S16_S17_S18_S1B_S1C_jS1D_jS1E_S1E_jjS1G_bEUljE0_EEESZ_S10_S11_S18_S1C_S1E_T6_T7_T9_mT8_S1G_bDpT10_ENKUlT_T0_E_clISt17integral_constantIbLb0EES1U_EEDaS1P_S1Q_EUlS1P_E_NS1_11comp_targetILNS1_3genE2ELNS1_11target_archE906ELNS1_3gpuE6ELNS1_3repE0EEENS1_30default_config_static_selectorELNS0_4arch9wavefront6targetE0EEEvS12_
    .private_segment_fixed_size: 0
    .sgpr_count:     0
    .sgpr_spill_count: 0
    .symbol:         _ZN7rocprim17ROCPRIM_400000_NS6detail17trampoline_kernelINS0_13select_configILj256ELj13ELNS0_17block_load_methodE3ELS4_3ELS4_3ELNS0_20block_scan_algorithmE0ELj4294967295EEENS1_25partition_config_selectorILNS1_17partition_subalgoE4EjNS0_10empty_typeEbEEZZNS1_14partition_implILS8_4ELb0ES6_15HIP_vector_typeIjLj2EENS0_17counting_iteratorIjlEEPS9_SG_NS0_5tupleIJPjSI_NS0_16reverse_iteratorISI_EEEEENSH_IJSG_SG_SG_EEES9_SI_JZNS1_25segmented_radix_sort_implINS0_14default_configELb0EPKdPdPKlPlN2at6native12_GLOBAL__N_18offset_tEEE10hipError_tPvRmT1_PNSt15iterator_traitsIS12_E10value_typeET2_T3_PNS13_IS18_E10value_typeET4_jRbjT5_S1E_jjP12ihipStream_tbEUljE_ZNSN_ISO_Lb0ESQ_SR_ST_SU_SY_EESZ_S10_S11_S12_S16_S17_S18_S1B_S1C_jS1D_jS1E_S1E_jjS1G_bEUljE0_EEESZ_S10_S11_S18_S1C_S1E_T6_T7_T9_mT8_S1G_bDpT10_ENKUlT_T0_E_clISt17integral_constantIbLb0EES1U_EEDaS1P_S1Q_EUlS1P_E_NS1_11comp_targetILNS1_3genE2ELNS1_11target_archE906ELNS1_3gpuE6ELNS1_3repE0EEENS1_30default_config_static_selectorELNS0_4arch9wavefront6targetE0EEEvS12_.kd
    .uniform_work_group_size: 1
    .uses_dynamic_stack: false
    .vgpr_count:     0
    .vgpr_spill_count: 0
    .wavefront_size: 32
    .workgroup_processor_mode: 1
  - .args:
      - .offset:         0
        .size:           176
        .value_kind:     by_value
    .group_segment_fixed_size: 0
    .kernarg_segment_align: 8
    .kernarg_segment_size: 176
    .language:       OpenCL C
    .language_version:
      - 2
      - 0
    .max_flat_workgroup_size: 256
    .name:           _ZN7rocprim17ROCPRIM_400000_NS6detail17trampoline_kernelINS0_13select_configILj256ELj13ELNS0_17block_load_methodE3ELS4_3ELS4_3ELNS0_20block_scan_algorithmE0ELj4294967295EEENS1_25partition_config_selectorILNS1_17partition_subalgoE4EjNS0_10empty_typeEbEEZZNS1_14partition_implILS8_4ELb0ES6_15HIP_vector_typeIjLj2EENS0_17counting_iteratorIjlEEPS9_SG_NS0_5tupleIJPjSI_NS0_16reverse_iteratorISI_EEEEENSH_IJSG_SG_SG_EEES9_SI_JZNS1_25segmented_radix_sort_implINS0_14default_configELb0EPKdPdPKlPlN2at6native12_GLOBAL__N_18offset_tEEE10hipError_tPvRmT1_PNSt15iterator_traitsIS12_E10value_typeET2_T3_PNS13_IS18_E10value_typeET4_jRbjT5_S1E_jjP12ihipStream_tbEUljE_ZNSN_ISO_Lb0ESQ_SR_ST_SU_SY_EESZ_S10_S11_S12_S16_S17_S18_S1B_S1C_jS1D_jS1E_S1E_jjS1G_bEUljE0_EEESZ_S10_S11_S18_S1C_S1E_T6_T7_T9_mT8_S1G_bDpT10_ENKUlT_T0_E_clISt17integral_constantIbLb0EES1U_EEDaS1P_S1Q_EUlS1P_E_NS1_11comp_targetILNS1_3genE10ELNS1_11target_archE1200ELNS1_3gpuE4ELNS1_3repE0EEENS1_30default_config_static_selectorELNS0_4arch9wavefront6targetE0EEEvS12_
    .private_segment_fixed_size: 0
    .sgpr_count:     0
    .sgpr_spill_count: 0
    .symbol:         _ZN7rocprim17ROCPRIM_400000_NS6detail17trampoline_kernelINS0_13select_configILj256ELj13ELNS0_17block_load_methodE3ELS4_3ELS4_3ELNS0_20block_scan_algorithmE0ELj4294967295EEENS1_25partition_config_selectorILNS1_17partition_subalgoE4EjNS0_10empty_typeEbEEZZNS1_14partition_implILS8_4ELb0ES6_15HIP_vector_typeIjLj2EENS0_17counting_iteratorIjlEEPS9_SG_NS0_5tupleIJPjSI_NS0_16reverse_iteratorISI_EEEEENSH_IJSG_SG_SG_EEES9_SI_JZNS1_25segmented_radix_sort_implINS0_14default_configELb0EPKdPdPKlPlN2at6native12_GLOBAL__N_18offset_tEEE10hipError_tPvRmT1_PNSt15iterator_traitsIS12_E10value_typeET2_T3_PNS13_IS18_E10value_typeET4_jRbjT5_S1E_jjP12ihipStream_tbEUljE_ZNSN_ISO_Lb0ESQ_SR_ST_SU_SY_EESZ_S10_S11_S12_S16_S17_S18_S1B_S1C_jS1D_jS1E_S1E_jjS1G_bEUljE0_EEESZ_S10_S11_S18_S1C_S1E_T6_T7_T9_mT8_S1G_bDpT10_ENKUlT_T0_E_clISt17integral_constantIbLb0EES1U_EEDaS1P_S1Q_EUlS1P_E_NS1_11comp_targetILNS1_3genE10ELNS1_11target_archE1200ELNS1_3gpuE4ELNS1_3repE0EEENS1_30default_config_static_selectorELNS0_4arch9wavefront6targetE0EEEvS12_.kd
    .uniform_work_group_size: 1
    .uses_dynamic_stack: false
    .vgpr_count:     0
    .vgpr_spill_count: 0
    .wavefront_size: 32
    .workgroup_processor_mode: 1
  - .args:
      - .offset:         0
        .size:           176
        .value_kind:     by_value
    .group_segment_fixed_size: 0
    .kernarg_segment_align: 8
    .kernarg_segment_size: 176
    .language:       OpenCL C
    .language_version:
      - 2
      - 0
    .max_flat_workgroup_size: 256
    .name:           _ZN7rocprim17ROCPRIM_400000_NS6detail17trampoline_kernelINS0_13select_configILj256ELj13ELNS0_17block_load_methodE3ELS4_3ELS4_3ELNS0_20block_scan_algorithmE0ELj4294967295EEENS1_25partition_config_selectorILNS1_17partition_subalgoE4EjNS0_10empty_typeEbEEZZNS1_14partition_implILS8_4ELb0ES6_15HIP_vector_typeIjLj2EENS0_17counting_iteratorIjlEEPS9_SG_NS0_5tupleIJPjSI_NS0_16reverse_iteratorISI_EEEEENSH_IJSG_SG_SG_EEES9_SI_JZNS1_25segmented_radix_sort_implINS0_14default_configELb0EPKdPdPKlPlN2at6native12_GLOBAL__N_18offset_tEEE10hipError_tPvRmT1_PNSt15iterator_traitsIS12_E10value_typeET2_T3_PNS13_IS18_E10value_typeET4_jRbjT5_S1E_jjP12ihipStream_tbEUljE_ZNSN_ISO_Lb0ESQ_SR_ST_SU_SY_EESZ_S10_S11_S12_S16_S17_S18_S1B_S1C_jS1D_jS1E_S1E_jjS1G_bEUljE0_EEESZ_S10_S11_S18_S1C_S1E_T6_T7_T9_mT8_S1G_bDpT10_ENKUlT_T0_E_clISt17integral_constantIbLb0EES1U_EEDaS1P_S1Q_EUlS1P_E_NS1_11comp_targetILNS1_3genE9ELNS1_11target_archE1100ELNS1_3gpuE3ELNS1_3repE0EEENS1_30default_config_static_selectorELNS0_4arch9wavefront6targetE0EEEvS12_
    .private_segment_fixed_size: 0
    .sgpr_count:     0
    .sgpr_spill_count: 0
    .symbol:         _ZN7rocprim17ROCPRIM_400000_NS6detail17trampoline_kernelINS0_13select_configILj256ELj13ELNS0_17block_load_methodE3ELS4_3ELS4_3ELNS0_20block_scan_algorithmE0ELj4294967295EEENS1_25partition_config_selectorILNS1_17partition_subalgoE4EjNS0_10empty_typeEbEEZZNS1_14partition_implILS8_4ELb0ES6_15HIP_vector_typeIjLj2EENS0_17counting_iteratorIjlEEPS9_SG_NS0_5tupleIJPjSI_NS0_16reverse_iteratorISI_EEEEENSH_IJSG_SG_SG_EEES9_SI_JZNS1_25segmented_radix_sort_implINS0_14default_configELb0EPKdPdPKlPlN2at6native12_GLOBAL__N_18offset_tEEE10hipError_tPvRmT1_PNSt15iterator_traitsIS12_E10value_typeET2_T3_PNS13_IS18_E10value_typeET4_jRbjT5_S1E_jjP12ihipStream_tbEUljE_ZNSN_ISO_Lb0ESQ_SR_ST_SU_SY_EESZ_S10_S11_S12_S16_S17_S18_S1B_S1C_jS1D_jS1E_S1E_jjS1G_bEUljE0_EEESZ_S10_S11_S18_S1C_S1E_T6_T7_T9_mT8_S1G_bDpT10_ENKUlT_T0_E_clISt17integral_constantIbLb0EES1U_EEDaS1P_S1Q_EUlS1P_E_NS1_11comp_targetILNS1_3genE9ELNS1_11target_archE1100ELNS1_3gpuE3ELNS1_3repE0EEENS1_30default_config_static_selectorELNS0_4arch9wavefront6targetE0EEEvS12_.kd
    .uniform_work_group_size: 1
    .uses_dynamic_stack: false
    .vgpr_count:     0
    .vgpr_spill_count: 0
    .wavefront_size: 32
    .workgroup_processor_mode: 1
  - .args:
      - .offset:         0
        .size:           176
        .value_kind:     by_value
    .group_segment_fixed_size: 13328
    .kernarg_segment_align: 8
    .kernarg_segment_size: 176
    .language:       OpenCL C
    .language_version:
      - 2
      - 0
    .max_flat_workgroup_size: 256
    .name:           _ZN7rocprim17ROCPRIM_400000_NS6detail17trampoline_kernelINS0_13select_configILj256ELj13ELNS0_17block_load_methodE3ELS4_3ELS4_3ELNS0_20block_scan_algorithmE0ELj4294967295EEENS1_25partition_config_selectorILNS1_17partition_subalgoE4EjNS0_10empty_typeEbEEZZNS1_14partition_implILS8_4ELb0ES6_15HIP_vector_typeIjLj2EENS0_17counting_iteratorIjlEEPS9_SG_NS0_5tupleIJPjSI_NS0_16reverse_iteratorISI_EEEEENSH_IJSG_SG_SG_EEES9_SI_JZNS1_25segmented_radix_sort_implINS0_14default_configELb0EPKdPdPKlPlN2at6native12_GLOBAL__N_18offset_tEEE10hipError_tPvRmT1_PNSt15iterator_traitsIS12_E10value_typeET2_T3_PNS13_IS18_E10value_typeET4_jRbjT5_S1E_jjP12ihipStream_tbEUljE_ZNSN_ISO_Lb0ESQ_SR_ST_SU_SY_EESZ_S10_S11_S12_S16_S17_S18_S1B_S1C_jS1D_jS1E_S1E_jjS1G_bEUljE0_EEESZ_S10_S11_S18_S1C_S1E_T6_T7_T9_mT8_S1G_bDpT10_ENKUlT_T0_E_clISt17integral_constantIbLb0EES1U_EEDaS1P_S1Q_EUlS1P_E_NS1_11comp_targetILNS1_3genE8ELNS1_11target_archE1030ELNS1_3gpuE2ELNS1_3repE0EEENS1_30default_config_static_selectorELNS0_4arch9wavefront6targetE0EEEvS12_
    .private_segment_fixed_size: 0
    .sgpr_count:     61
    .sgpr_spill_count: 0
    .symbol:         _ZN7rocprim17ROCPRIM_400000_NS6detail17trampoline_kernelINS0_13select_configILj256ELj13ELNS0_17block_load_methodE3ELS4_3ELS4_3ELNS0_20block_scan_algorithmE0ELj4294967295EEENS1_25partition_config_selectorILNS1_17partition_subalgoE4EjNS0_10empty_typeEbEEZZNS1_14partition_implILS8_4ELb0ES6_15HIP_vector_typeIjLj2EENS0_17counting_iteratorIjlEEPS9_SG_NS0_5tupleIJPjSI_NS0_16reverse_iteratorISI_EEEEENSH_IJSG_SG_SG_EEES9_SI_JZNS1_25segmented_radix_sort_implINS0_14default_configELb0EPKdPdPKlPlN2at6native12_GLOBAL__N_18offset_tEEE10hipError_tPvRmT1_PNSt15iterator_traitsIS12_E10value_typeET2_T3_PNS13_IS18_E10value_typeET4_jRbjT5_S1E_jjP12ihipStream_tbEUljE_ZNSN_ISO_Lb0ESQ_SR_ST_SU_SY_EESZ_S10_S11_S12_S16_S17_S18_S1B_S1C_jS1D_jS1E_S1E_jjS1G_bEUljE0_EEESZ_S10_S11_S18_S1C_S1E_T6_T7_T9_mT8_S1G_bDpT10_ENKUlT_T0_E_clISt17integral_constantIbLb0EES1U_EEDaS1P_S1Q_EUlS1P_E_NS1_11comp_targetILNS1_3genE8ELNS1_11target_archE1030ELNS1_3gpuE2ELNS1_3repE0EEENS1_30default_config_static_selectorELNS0_4arch9wavefront6targetE0EEEvS12_.kd
    .uniform_work_group_size: 1
    .uses_dynamic_stack: false
    .vgpr_count:     82
    .vgpr_spill_count: 0
    .wavefront_size: 32
    .workgroup_processor_mode: 1
  - .args:
      - .offset:         0
        .size:           184
        .value_kind:     by_value
    .group_segment_fixed_size: 0
    .kernarg_segment_align: 8
    .kernarg_segment_size: 184
    .language:       OpenCL C
    .language_version:
      - 2
      - 0
    .max_flat_workgroup_size: 256
    .name:           _ZN7rocprim17ROCPRIM_400000_NS6detail17trampoline_kernelINS0_13select_configILj256ELj13ELNS0_17block_load_methodE3ELS4_3ELS4_3ELNS0_20block_scan_algorithmE0ELj4294967295EEENS1_25partition_config_selectorILNS1_17partition_subalgoE4EjNS0_10empty_typeEbEEZZNS1_14partition_implILS8_4ELb0ES6_15HIP_vector_typeIjLj2EENS0_17counting_iteratorIjlEEPS9_SG_NS0_5tupleIJPjSI_NS0_16reverse_iteratorISI_EEEEENSH_IJSG_SG_SG_EEES9_SI_JZNS1_25segmented_radix_sort_implINS0_14default_configELb0EPKdPdPKlPlN2at6native12_GLOBAL__N_18offset_tEEE10hipError_tPvRmT1_PNSt15iterator_traitsIS12_E10value_typeET2_T3_PNS13_IS18_E10value_typeET4_jRbjT5_S1E_jjP12ihipStream_tbEUljE_ZNSN_ISO_Lb0ESQ_SR_ST_SU_SY_EESZ_S10_S11_S12_S16_S17_S18_S1B_S1C_jS1D_jS1E_S1E_jjS1G_bEUljE0_EEESZ_S10_S11_S18_S1C_S1E_T6_T7_T9_mT8_S1G_bDpT10_ENKUlT_T0_E_clISt17integral_constantIbLb1EES1U_EEDaS1P_S1Q_EUlS1P_E_NS1_11comp_targetILNS1_3genE0ELNS1_11target_archE4294967295ELNS1_3gpuE0ELNS1_3repE0EEENS1_30default_config_static_selectorELNS0_4arch9wavefront6targetE0EEEvS12_
    .private_segment_fixed_size: 0
    .sgpr_count:     0
    .sgpr_spill_count: 0
    .symbol:         _ZN7rocprim17ROCPRIM_400000_NS6detail17trampoline_kernelINS0_13select_configILj256ELj13ELNS0_17block_load_methodE3ELS4_3ELS4_3ELNS0_20block_scan_algorithmE0ELj4294967295EEENS1_25partition_config_selectorILNS1_17partition_subalgoE4EjNS0_10empty_typeEbEEZZNS1_14partition_implILS8_4ELb0ES6_15HIP_vector_typeIjLj2EENS0_17counting_iteratorIjlEEPS9_SG_NS0_5tupleIJPjSI_NS0_16reverse_iteratorISI_EEEEENSH_IJSG_SG_SG_EEES9_SI_JZNS1_25segmented_radix_sort_implINS0_14default_configELb0EPKdPdPKlPlN2at6native12_GLOBAL__N_18offset_tEEE10hipError_tPvRmT1_PNSt15iterator_traitsIS12_E10value_typeET2_T3_PNS13_IS18_E10value_typeET4_jRbjT5_S1E_jjP12ihipStream_tbEUljE_ZNSN_ISO_Lb0ESQ_SR_ST_SU_SY_EESZ_S10_S11_S12_S16_S17_S18_S1B_S1C_jS1D_jS1E_S1E_jjS1G_bEUljE0_EEESZ_S10_S11_S18_S1C_S1E_T6_T7_T9_mT8_S1G_bDpT10_ENKUlT_T0_E_clISt17integral_constantIbLb1EES1U_EEDaS1P_S1Q_EUlS1P_E_NS1_11comp_targetILNS1_3genE0ELNS1_11target_archE4294967295ELNS1_3gpuE0ELNS1_3repE0EEENS1_30default_config_static_selectorELNS0_4arch9wavefront6targetE0EEEvS12_.kd
    .uniform_work_group_size: 1
    .uses_dynamic_stack: false
    .vgpr_count:     0
    .vgpr_spill_count: 0
    .wavefront_size: 32
    .workgroup_processor_mode: 1
  - .args:
      - .offset:         0
        .size:           184
        .value_kind:     by_value
    .group_segment_fixed_size: 0
    .kernarg_segment_align: 8
    .kernarg_segment_size: 184
    .language:       OpenCL C
    .language_version:
      - 2
      - 0
    .max_flat_workgroup_size: 256
    .name:           _ZN7rocprim17ROCPRIM_400000_NS6detail17trampoline_kernelINS0_13select_configILj256ELj13ELNS0_17block_load_methodE3ELS4_3ELS4_3ELNS0_20block_scan_algorithmE0ELj4294967295EEENS1_25partition_config_selectorILNS1_17partition_subalgoE4EjNS0_10empty_typeEbEEZZNS1_14partition_implILS8_4ELb0ES6_15HIP_vector_typeIjLj2EENS0_17counting_iteratorIjlEEPS9_SG_NS0_5tupleIJPjSI_NS0_16reverse_iteratorISI_EEEEENSH_IJSG_SG_SG_EEES9_SI_JZNS1_25segmented_radix_sort_implINS0_14default_configELb0EPKdPdPKlPlN2at6native12_GLOBAL__N_18offset_tEEE10hipError_tPvRmT1_PNSt15iterator_traitsIS12_E10value_typeET2_T3_PNS13_IS18_E10value_typeET4_jRbjT5_S1E_jjP12ihipStream_tbEUljE_ZNSN_ISO_Lb0ESQ_SR_ST_SU_SY_EESZ_S10_S11_S12_S16_S17_S18_S1B_S1C_jS1D_jS1E_S1E_jjS1G_bEUljE0_EEESZ_S10_S11_S18_S1C_S1E_T6_T7_T9_mT8_S1G_bDpT10_ENKUlT_T0_E_clISt17integral_constantIbLb1EES1U_EEDaS1P_S1Q_EUlS1P_E_NS1_11comp_targetILNS1_3genE5ELNS1_11target_archE942ELNS1_3gpuE9ELNS1_3repE0EEENS1_30default_config_static_selectorELNS0_4arch9wavefront6targetE0EEEvS12_
    .private_segment_fixed_size: 0
    .sgpr_count:     0
    .sgpr_spill_count: 0
    .symbol:         _ZN7rocprim17ROCPRIM_400000_NS6detail17trampoline_kernelINS0_13select_configILj256ELj13ELNS0_17block_load_methodE3ELS4_3ELS4_3ELNS0_20block_scan_algorithmE0ELj4294967295EEENS1_25partition_config_selectorILNS1_17partition_subalgoE4EjNS0_10empty_typeEbEEZZNS1_14partition_implILS8_4ELb0ES6_15HIP_vector_typeIjLj2EENS0_17counting_iteratorIjlEEPS9_SG_NS0_5tupleIJPjSI_NS0_16reverse_iteratorISI_EEEEENSH_IJSG_SG_SG_EEES9_SI_JZNS1_25segmented_radix_sort_implINS0_14default_configELb0EPKdPdPKlPlN2at6native12_GLOBAL__N_18offset_tEEE10hipError_tPvRmT1_PNSt15iterator_traitsIS12_E10value_typeET2_T3_PNS13_IS18_E10value_typeET4_jRbjT5_S1E_jjP12ihipStream_tbEUljE_ZNSN_ISO_Lb0ESQ_SR_ST_SU_SY_EESZ_S10_S11_S12_S16_S17_S18_S1B_S1C_jS1D_jS1E_S1E_jjS1G_bEUljE0_EEESZ_S10_S11_S18_S1C_S1E_T6_T7_T9_mT8_S1G_bDpT10_ENKUlT_T0_E_clISt17integral_constantIbLb1EES1U_EEDaS1P_S1Q_EUlS1P_E_NS1_11comp_targetILNS1_3genE5ELNS1_11target_archE942ELNS1_3gpuE9ELNS1_3repE0EEENS1_30default_config_static_selectorELNS0_4arch9wavefront6targetE0EEEvS12_.kd
    .uniform_work_group_size: 1
    .uses_dynamic_stack: false
    .vgpr_count:     0
    .vgpr_spill_count: 0
    .wavefront_size: 32
    .workgroup_processor_mode: 1
  - .args:
      - .offset:         0
        .size:           184
        .value_kind:     by_value
    .group_segment_fixed_size: 0
    .kernarg_segment_align: 8
    .kernarg_segment_size: 184
    .language:       OpenCL C
    .language_version:
      - 2
      - 0
    .max_flat_workgroup_size: 256
    .name:           _ZN7rocprim17ROCPRIM_400000_NS6detail17trampoline_kernelINS0_13select_configILj256ELj13ELNS0_17block_load_methodE3ELS4_3ELS4_3ELNS0_20block_scan_algorithmE0ELj4294967295EEENS1_25partition_config_selectorILNS1_17partition_subalgoE4EjNS0_10empty_typeEbEEZZNS1_14partition_implILS8_4ELb0ES6_15HIP_vector_typeIjLj2EENS0_17counting_iteratorIjlEEPS9_SG_NS0_5tupleIJPjSI_NS0_16reverse_iteratorISI_EEEEENSH_IJSG_SG_SG_EEES9_SI_JZNS1_25segmented_radix_sort_implINS0_14default_configELb0EPKdPdPKlPlN2at6native12_GLOBAL__N_18offset_tEEE10hipError_tPvRmT1_PNSt15iterator_traitsIS12_E10value_typeET2_T3_PNS13_IS18_E10value_typeET4_jRbjT5_S1E_jjP12ihipStream_tbEUljE_ZNSN_ISO_Lb0ESQ_SR_ST_SU_SY_EESZ_S10_S11_S12_S16_S17_S18_S1B_S1C_jS1D_jS1E_S1E_jjS1G_bEUljE0_EEESZ_S10_S11_S18_S1C_S1E_T6_T7_T9_mT8_S1G_bDpT10_ENKUlT_T0_E_clISt17integral_constantIbLb1EES1U_EEDaS1P_S1Q_EUlS1P_E_NS1_11comp_targetILNS1_3genE4ELNS1_11target_archE910ELNS1_3gpuE8ELNS1_3repE0EEENS1_30default_config_static_selectorELNS0_4arch9wavefront6targetE0EEEvS12_
    .private_segment_fixed_size: 0
    .sgpr_count:     0
    .sgpr_spill_count: 0
    .symbol:         _ZN7rocprim17ROCPRIM_400000_NS6detail17trampoline_kernelINS0_13select_configILj256ELj13ELNS0_17block_load_methodE3ELS4_3ELS4_3ELNS0_20block_scan_algorithmE0ELj4294967295EEENS1_25partition_config_selectorILNS1_17partition_subalgoE4EjNS0_10empty_typeEbEEZZNS1_14partition_implILS8_4ELb0ES6_15HIP_vector_typeIjLj2EENS0_17counting_iteratorIjlEEPS9_SG_NS0_5tupleIJPjSI_NS0_16reverse_iteratorISI_EEEEENSH_IJSG_SG_SG_EEES9_SI_JZNS1_25segmented_radix_sort_implINS0_14default_configELb0EPKdPdPKlPlN2at6native12_GLOBAL__N_18offset_tEEE10hipError_tPvRmT1_PNSt15iterator_traitsIS12_E10value_typeET2_T3_PNS13_IS18_E10value_typeET4_jRbjT5_S1E_jjP12ihipStream_tbEUljE_ZNSN_ISO_Lb0ESQ_SR_ST_SU_SY_EESZ_S10_S11_S12_S16_S17_S18_S1B_S1C_jS1D_jS1E_S1E_jjS1G_bEUljE0_EEESZ_S10_S11_S18_S1C_S1E_T6_T7_T9_mT8_S1G_bDpT10_ENKUlT_T0_E_clISt17integral_constantIbLb1EES1U_EEDaS1P_S1Q_EUlS1P_E_NS1_11comp_targetILNS1_3genE4ELNS1_11target_archE910ELNS1_3gpuE8ELNS1_3repE0EEENS1_30default_config_static_selectorELNS0_4arch9wavefront6targetE0EEEvS12_.kd
    .uniform_work_group_size: 1
    .uses_dynamic_stack: false
    .vgpr_count:     0
    .vgpr_spill_count: 0
    .wavefront_size: 32
    .workgroup_processor_mode: 1
  - .args:
      - .offset:         0
        .size:           184
        .value_kind:     by_value
    .group_segment_fixed_size: 0
    .kernarg_segment_align: 8
    .kernarg_segment_size: 184
    .language:       OpenCL C
    .language_version:
      - 2
      - 0
    .max_flat_workgroup_size: 256
    .name:           _ZN7rocprim17ROCPRIM_400000_NS6detail17trampoline_kernelINS0_13select_configILj256ELj13ELNS0_17block_load_methodE3ELS4_3ELS4_3ELNS0_20block_scan_algorithmE0ELj4294967295EEENS1_25partition_config_selectorILNS1_17partition_subalgoE4EjNS0_10empty_typeEbEEZZNS1_14partition_implILS8_4ELb0ES6_15HIP_vector_typeIjLj2EENS0_17counting_iteratorIjlEEPS9_SG_NS0_5tupleIJPjSI_NS0_16reverse_iteratorISI_EEEEENSH_IJSG_SG_SG_EEES9_SI_JZNS1_25segmented_radix_sort_implINS0_14default_configELb0EPKdPdPKlPlN2at6native12_GLOBAL__N_18offset_tEEE10hipError_tPvRmT1_PNSt15iterator_traitsIS12_E10value_typeET2_T3_PNS13_IS18_E10value_typeET4_jRbjT5_S1E_jjP12ihipStream_tbEUljE_ZNSN_ISO_Lb0ESQ_SR_ST_SU_SY_EESZ_S10_S11_S12_S16_S17_S18_S1B_S1C_jS1D_jS1E_S1E_jjS1G_bEUljE0_EEESZ_S10_S11_S18_S1C_S1E_T6_T7_T9_mT8_S1G_bDpT10_ENKUlT_T0_E_clISt17integral_constantIbLb1EES1U_EEDaS1P_S1Q_EUlS1P_E_NS1_11comp_targetILNS1_3genE3ELNS1_11target_archE908ELNS1_3gpuE7ELNS1_3repE0EEENS1_30default_config_static_selectorELNS0_4arch9wavefront6targetE0EEEvS12_
    .private_segment_fixed_size: 0
    .sgpr_count:     0
    .sgpr_spill_count: 0
    .symbol:         _ZN7rocprim17ROCPRIM_400000_NS6detail17trampoline_kernelINS0_13select_configILj256ELj13ELNS0_17block_load_methodE3ELS4_3ELS4_3ELNS0_20block_scan_algorithmE0ELj4294967295EEENS1_25partition_config_selectorILNS1_17partition_subalgoE4EjNS0_10empty_typeEbEEZZNS1_14partition_implILS8_4ELb0ES6_15HIP_vector_typeIjLj2EENS0_17counting_iteratorIjlEEPS9_SG_NS0_5tupleIJPjSI_NS0_16reverse_iteratorISI_EEEEENSH_IJSG_SG_SG_EEES9_SI_JZNS1_25segmented_radix_sort_implINS0_14default_configELb0EPKdPdPKlPlN2at6native12_GLOBAL__N_18offset_tEEE10hipError_tPvRmT1_PNSt15iterator_traitsIS12_E10value_typeET2_T3_PNS13_IS18_E10value_typeET4_jRbjT5_S1E_jjP12ihipStream_tbEUljE_ZNSN_ISO_Lb0ESQ_SR_ST_SU_SY_EESZ_S10_S11_S12_S16_S17_S18_S1B_S1C_jS1D_jS1E_S1E_jjS1G_bEUljE0_EEESZ_S10_S11_S18_S1C_S1E_T6_T7_T9_mT8_S1G_bDpT10_ENKUlT_T0_E_clISt17integral_constantIbLb1EES1U_EEDaS1P_S1Q_EUlS1P_E_NS1_11comp_targetILNS1_3genE3ELNS1_11target_archE908ELNS1_3gpuE7ELNS1_3repE0EEENS1_30default_config_static_selectorELNS0_4arch9wavefront6targetE0EEEvS12_.kd
    .uniform_work_group_size: 1
    .uses_dynamic_stack: false
    .vgpr_count:     0
    .vgpr_spill_count: 0
    .wavefront_size: 32
    .workgroup_processor_mode: 1
  - .args:
      - .offset:         0
        .size:           184
        .value_kind:     by_value
    .group_segment_fixed_size: 0
    .kernarg_segment_align: 8
    .kernarg_segment_size: 184
    .language:       OpenCL C
    .language_version:
      - 2
      - 0
    .max_flat_workgroup_size: 256
    .name:           _ZN7rocprim17ROCPRIM_400000_NS6detail17trampoline_kernelINS0_13select_configILj256ELj13ELNS0_17block_load_methodE3ELS4_3ELS4_3ELNS0_20block_scan_algorithmE0ELj4294967295EEENS1_25partition_config_selectorILNS1_17partition_subalgoE4EjNS0_10empty_typeEbEEZZNS1_14partition_implILS8_4ELb0ES6_15HIP_vector_typeIjLj2EENS0_17counting_iteratorIjlEEPS9_SG_NS0_5tupleIJPjSI_NS0_16reverse_iteratorISI_EEEEENSH_IJSG_SG_SG_EEES9_SI_JZNS1_25segmented_radix_sort_implINS0_14default_configELb0EPKdPdPKlPlN2at6native12_GLOBAL__N_18offset_tEEE10hipError_tPvRmT1_PNSt15iterator_traitsIS12_E10value_typeET2_T3_PNS13_IS18_E10value_typeET4_jRbjT5_S1E_jjP12ihipStream_tbEUljE_ZNSN_ISO_Lb0ESQ_SR_ST_SU_SY_EESZ_S10_S11_S12_S16_S17_S18_S1B_S1C_jS1D_jS1E_S1E_jjS1G_bEUljE0_EEESZ_S10_S11_S18_S1C_S1E_T6_T7_T9_mT8_S1G_bDpT10_ENKUlT_T0_E_clISt17integral_constantIbLb1EES1U_EEDaS1P_S1Q_EUlS1P_E_NS1_11comp_targetILNS1_3genE2ELNS1_11target_archE906ELNS1_3gpuE6ELNS1_3repE0EEENS1_30default_config_static_selectorELNS0_4arch9wavefront6targetE0EEEvS12_
    .private_segment_fixed_size: 0
    .sgpr_count:     0
    .sgpr_spill_count: 0
    .symbol:         _ZN7rocprim17ROCPRIM_400000_NS6detail17trampoline_kernelINS0_13select_configILj256ELj13ELNS0_17block_load_methodE3ELS4_3ELS4_3ELNS0_20block_scan_algorithmE0ELj4294967295EEENS1_25partition_config_selectorILNS1_17partition_subalgoE4EjNS0_10empty_typeEbEEZZNS1_14partition_implILS8_4ELb0ES6_15HIP_vector_typeIjLj2EENS0_17counting_iteratorIjlEEPS9_SG_NS0_5tupleIJPjSI_NS0_16reverse_iteratorISI_EEEEENSH_IJSG_SG_SG_EEES9_SI_JZNS1_25segmented_radix_sort_implINS0_14default_configELb0EPKdPdPKlPlN2at6native12_GLOBAL__N_18offset_tEEE10hipError_tPvRmT1_PNSt15iterator_traitsIS12_E10value_typeET2_T3_PNS13_IS18_E10value_typeET4_jRbjT5_S1E_jjP12ihipStream_tbEUljE_ZNSN_ISO_Lb0ESQ_SR_ST_SU_SY_EESZ_S10_S11_S12_S16_S17_S18_S1B_S1C_jS1D_jS1E_S1E_jjS1G_bEUljE0_EEESZ_S10_S11_S18_S1C_S1E_T6_T7_T9_mT8_S1G_bDpT10_ENKUlT_T0_E_clISt17integral_constantIbLb1EES1U_EEDaS1P_S1Q_EUlS1P_E_NS1_11comp_targetILNS1_3genE2ELNS1_11target_archE906ELNS1_3gpuE6ELNS1_3repE0EEENS1_30default_config_static_selectorELNS0_4arch9wavefront6targetE0EEEvS12_.kd
    .uniform_work_group_size: 1
    .uses_dynamic_stack: false
    .vgpr_count:     0
    .vgpr_spill_count: 0
    .wavefront_size: 32
    .workgroup_processor_mode: 1
  - .args:
      - .offset:         0
        .size:           184
        .value_kind:     by_value
    .group_segment_fixed_size: 0
    .kernarg_segment_align: 8
    .kernarg_segment_size: 184
    .language:       OpenCL C
    .language_version:
      - 2
      - 0
    .max_flat_workgroup_size: 256
    .name:           _ZN7rocprim17ROCPRIM_400000_NS6detail17trampoline_kernelINS0_13select_configILj256ELj13ELNS0_17block_load_methodE3ELS4_3ELS4_3ELNS0_20block_scan_algorithmE0ELj4294967295EEENS1_25partition_config_selectorILNS1_17partition_subalgoE4EjNS0_10empty_typeEbEEZZNS1_14partition_implILS8_4ELb0ES6_15HIP_vector_typeIjLj2EENS0_17counting_iteratorIjlEEPS9_SG_NS0_5tupleIJPjSI_NS0_16reverse_iteratorISI_EEEEENSH_IJSG_SG_SG_EEES9_SI_JZNS1_25segmented_radix_sort_implINS0_14default_configELb0EPKdPdPKlPlN2at6native12_GLOBAL__N_18offset_tEEE10hipError_tPvRmT1_PNSt15iterator_traitsIS12_E10value_typeET2_T3_PNS13_IS18_E10value_typeET4_jRbjT5_S1E_jjP12ihipStream_tbEUljE_ZNSN_ISO_Lb0ESQ_SR_ST_SU_SY_EESZ_S10_S11_S12_S16_S17_S18_S1B_S1C_jS1D_jS1E_S1E_jjS1G_bEUljE0_EEESZ_S10_S11_S18_S1C_S1E_T6_T7_T9_mT8_S1G_bDpT10_ENKUlT_T0_E_clISt17integral_constantIbLb1EES1U_EEDaS1P_S1Q_EUlS1P_E_NS1_11comp_targetILNS1_3genE10ELNS1_11target_archE1200ELNS1_3gpuE4ELNS1_3repE0EEENS1_30default_config_static_selectorELNS0_4arch9wavefront6targetE0EEEvS12_
    .private_segment_fixed_size: 0
    .sgpr_count:     0
    .sgpr_spill_count: 0
    .symbol:         _ZN7rocprim17ROCPRIM_400000_NS6detail17trampoline_kernelINS0_13select_configILj256ELj13ELNS0_17block_load_methodE3ELS4_3ELS4_3ELNS0_20block_scan_algorithmE0ELj4294967295EEENS1_25partition_config_selectorILNS1_17partition_subalgoE4EjNS0_10empty_typeEbEEZZNS1_14partition_implILS8_4ELb0ES6_15HIP_vector_typeIjLj2EENS0_17counting_iteratorIjlEEPS9_SG_NS0_5tupleIJPjSI_NS0_16reverse_iteratorISI_EEEEENSH_IJSG_SG_SG_EEES9_SI_JZNS1_25segmented_radix_sort_implINS0_14default_configELb0EPKdPdPKlPlN2at6native12_GLOBAL__N_18offset_tEEE10hipError_tPvRmT1_PNSt15iterator_traitsIS12_E10value_typeET2_T3_PNS13_IS18_E10value_typeET4_jRbjT5_S1E_jjP12ihipStream_tbEUljE_ZNSN_ISO_Lb0ESQ_SR_ST_SU_SY_EESZ_S10_S11_S12_S16_S17_S18_S1B_S1C_jS1D_jS1E_S1E_jjS1G_bEUljE0_EEESZ_S10_S11_S18_S1C_S1E_T6_T7_T9_mT8_S1G_bDpT10_ENKUlT_T0_E_clISt17integral_constantIbLb1EES1U_EEDaS1P_S1Q_EUlS1P_E_NS1_11comp_targetILNS1_3genE10ELNS1_11target_archE1200ELNS1_3gpuE4ELNS1_3repE0EEENS1_30default_config_static_selectorELNS0_4arch9wavefront6targetE0EEEvS12_.kd
    .uniform_work_group_size: 1
    .uses_dynamic_stack: false
    .vgpr_count:     0
    .vgpr_spill_count: 0
    .wavefront_size: 32
    .workgroup_processor_mode: 1
  - .args:
      - .offset:         0
        .size:           184
        .value_kind:     by_value
    .group_segment_fixed_size: 0
    .kernarg_segment_align: 8
    .kernarg_segment_size: 184
    .language:       OpenCL C
    .language_version:
      - 2
      - 0
    .max_flat_workgroup_size: 256
    .name:           _ZN7rocprim17ROCPRIM_400000_NS6detail17trampoline_kernelINS0_13select_configILj256ELj13ELNS0_17block_load_methodE3ELS4_3ELS4_3ELNS0_20block_scan_algorithmE0ELj4294967295EEENS1_25partition_config_selectorILNS1_17partition_subalgoE4EjNS0_10empty_typeEbEEZZNS1_14partition_implILS8_4ELb0ES6_15HIP_vector_typeIjLj2EENS0_17counting_iteratorIjlEEPS9_SG_NS0_5tupleIJPjSI_NS0_16reverse_iteratorISI_EEEEENSH_IJSG_SG_SG_EEES9_SI_JZNS1_25segmented_radix_sort_implINS0_14default_configELb0EPKdPdPKlPlN2at6native12_GLOBAL__N_18offset_tEEE10hipError_tPvRmT1_PNSt15iterator_traitsIS12_E10value_typeET2_T3_PNS13_IS18_E10value_typeET4_jRbjT5_S1E_jjP12ihipStream_tbEUljE_ZNSN_ISO_Lb0ESQ_SR_ST_SU_SY_EESZ_S10_S11_S12_S16_S17_S18_S1B_S1C_jS1D_jS1E_S1E_jjS1G_bEUljE0_EEESZ_S10_S11_S18_S1C_S1E_T6_T7_T9_mT8_S1G_bDpT10_ENKUlT_T0_E_clISt17integral_constantIbLb1EES1U_EEDaS1P_S1Q_EUlS1P_E_NS1_11comp_targetILNS1_3genE9ELNS1_11target_archE1100ELNS1_3gpuE3ELNS1_3repE0EEENS1_30default_config_static_selectorELNS0_4arch9wavefront6targetE0EEEvS12_
    .private_segment_fixed_size: 0
    .sgpr_count:     0
    .sgpr_spill_count: 0
    .symbol:         _ZN7rocprim17ROCPRIM_400000_NS6detail17trampoline_kernelINS0_13select_configILj256ELj13ELNS0_17block_load_methodE3ELS4_3ELS4_3ELNS0_20block_scan_algorithmE0ELj4294967295EEENS1_25partition_config_selectorILNS1_17partition_subalgoE4EjNS0_10empty_typeEbEEZZNS1_14partition_implILS8_4ELb0ES6_15HIP_vector_typeIjLj2EENS0_17counting_iteratorIjlEEPS9_SG_NS0_5tupleIJPjSI_NS0_16reverse_iteratorISI_EEEEENSH_IJSG_SG_SG_EEES9_SI_JZNS1_25segmented_radix_sort_implINS0_14default_configELb0EPKdPdPKlPlN2at6native12_GLOBAL__N_18offset_tEEE10hipError_tPvRmT1_PNSt15iterator_traitsIS12_E10value_typeET2_T3_PNS13_IS18_E10value_typeET4_jRbjT5_S1E_jjP12ihipStream_tbEUljE_ZNSN_ISO_Lb0ESQ_SR_ST_SU_SY_EESZ_S10_S11_S12_S16_S17_S18_S1B_S1C_jS1D_jS1E_S1E_jjS1G_bEUljE0_EEESZ_S10_S11_S18_S1C_S1E_T6_T7_T9_mT8_S1G_bDpT10_ENKUlT_T0_E_clISt17integral_constantIbLb1EES1U_EEDaS1P_S1Q_EUlS1P_E_NS1_11comp_targetILNS1_3genE9ELNS1_11target_archE1100ELNS1_3gpuE3ELNS1_3repE0EEENS1_30default_config_static_selectorELNS0_4arch9wavefront6targetE0EEEvS12_.kd
    .uniform_work_group_size: 1
    .uses_dynamic_stack: false
    .vgpr_count:     0
    .vgpr_spill_count: 0
    .wavefront_size: 32
    .workgroup_processor_mode: 1
  - .args:
      - .offset:         0
        .size:           184
        .value_kind:     by_value
    .group_segment_fixed_size: 0
    .kernarg_segment_align: 8
    .kernarg_segment_size: 184
    .language:       OpenCL C
    .language_version:
      - 2
      - 0
    .max_flat_workgroup_size: 256
    .name:           _ZN7rocprim17ROCPRIM_400000_NS6detail17trampoline_kernelINS0_13select_configILj256ELj13ELNS0_17block_load_methodE3ELS4_3ELS4_3ELNS0_20block_scan_algorithmE0ELj4294967295EEENS1_25partition_config_selectorILNS1_17partition_subalgoE4EjNS0_10empty_typeEbEEZZNS1_14partition_implILS8_4ELb0ES6_15HIP_vector_typeIjLj2EENS0_17counting_iteratorIjlEEPS9_SG_NS0_5tupleIJPjSI_NS0_16reverse_iteratorISI_EEEEENSH_IJSG_SG_SG_EEES9_SI_JZNS1_25segmented_radix_sort_implINS0_14default_configELb0EPKdPdPKlPlN2at6native12_GLOBAL__N_18offset_tEEE10hipError_tPvRmT1_PNSt15iterator_traitsIS12_E10value_typeET2_T3_PNS13_IS18_E10value_typeET4_jRbjT5_S1E_jjP12ihipStream_tbEUljE_ZNSN_ISO_Lb0ESQ_SR_ST_SU_SY_EESZ_S10_S11_S12_S16_S17_S18_S1B_S1C_jS1D_jS1E_S1E_jjS1G_bEUljE0_EEESZ_S10_S11_S18_S1C_S1E_T6_T7_T9_mT8_S1G_bDpT10_ENKUlT_T0_E_clISt17integral_constantIbLb1EES1U_EEDaS1P_S1Q_EUlS1P_E_NS1_11comp_targetILNS1_3genE8ELNS1_11target_archE1030ELNS1_3gpuE2ELNS1_3repE0EEENS1_30default_config_static_selectorELNS0_4arch9wavefront6targetE0EEEvS12_
    .private_segment_fixed_size: 0
    .sgpr_count:     0
    .sgpr_spill_count: 0
    .symbol:         _ZN7rocprim17ROCPRIM_400000_NS6detail17trampoline_kernelINS0_13select_configILj256ELj13ELNS0_17block_load_methodE3ELS4_3ELS4_3ELNS0_20block_scan_algorithmE0ELj4294967295EEENS1_25partition_config_selectorILNS1_17partition_subalgoE4EjNS0_10empty_typeEbEEZZNS1_14partition_implILS8_4ELb0ES6_15HIP_vector_typeIjLj2EENS0_17counting_iteratorIjlEEPS9_SG_NS0_5tupleIJPjSI_NS0_16reverse_iteratorISI_EEEEENSH_IJSG_SG_SG_EEES9_SI_JZNS1_25segmented_radix_sort_implINS0_14default_configELb0EPKdPdPKlPlN2at6native12_GLOBAL__N_18offset_tEEE10hipError_tPvRmT1_PNSt15iterator_traitsIS12_E10value_typeET2_T3_PNS13_IS18_E10value_typeET4_jRbjT5_S1E_jjP12ihipStream_tbEUljE_ZNSN_ISO_Lb0ESQ_SR_ST_SU_SY_EESZ_S10_S11_S12_S16_S17_S18_S1B_S1C_jS1D_jS1E_S1E_jjS1G_bEUljE0_EEESZ_S10_S11_S18_S1C_S1E_T6_T7_T9_mT8_S1G_bDpT10_ENKUlT_T0_E_clISt17integral_constantIbLb1EES1U_EEDaS1P_S1Q_EUlS1P_E_NS1_11comp_targetILNS1_3genE8ELNS1_11target_archE1030ELNS1_3gpuE2ELNS1_3repE0EEENS1_30default_config_static_selectorELNS0_4arch9wavefront6targetE0EEEvS12_.kd
    .uniform_work_group_size: 1
    .uses_dynamic_stack: false
    .vgpr_count:     0
    .vgpr_spill_count: 0
    .wavefront_size: 32
    .workgroup_processor_mode: 1
  - .args:
      - .offset:         0
        .size:           176
        .value_kind:     by_value
    .group_segment_fixed_size: 0
    .kernarg_segment_align: 8
    .kernarg_segment_size: 176
    .language:       OpenCL C
    .language_version:
      - 2
      - 0
    .max_flat_workgroup_size: 256
    .name:           _ZN7rocprim17ROCPRIM_400000_NS6detail17trampoline_kernelINS0_13select_configILj256ELj13ELNS0_17block_load_methodE3ELS4_3ELS4_3ELNS0_20block_scan_algorithmE0ELj4294967295EEENS1_25partition_config_selectorILNS1_17partition_subalgoE4EjNS0_10empty_typeEbEEZZNS1_14partition_implILS8_4ELb0ES6_15HIP_vector_typeIjLj2EENS0_17counting_iteratorIjlEEPS9_SG_NS0_5tupleIJPjSI_NS0_16reverse_iteratorISI_EEEEENSH_IJSG_SG_SG_EEES9_SI_JZNS1_25segmented_radix_sort_implINS0_14default_configELb0EPKdPdPKlPlN2at6native12_GLOBAL__N_18offset_tEEE10hipError_tPvRmT1_PNSt15iterator_traitsIS12_E10value_typeET2_T3_PNS13_IS18_E10value_typeET4_jRbjT5_S1E_jjP12ihipStream_tbEUljE_ZNSN_ISO_Lb0ESQ_SR_ST_SU_SY_EESZ_S10_S11_S12_S16_S17_S18_S1B_S1C_jS1D_jS1E_S1E_jjS1G_bEUljE0_EEESZ_S10_S11_S18_S1C_S1E_T6_T7_T9_mT8_S1G_bDpT10_ENKUlT_T0_E_clISt17integral_constantIbLb1EES1T_IbLb0EEEEDaS1P_S1Q_EUlS1P_E_NS1_11comp_targetILNS1_3genE0ELNS1_11target_archE4294967295ELNS1_3gpuE0ELNS1_3repE0EEENS1_30default_config_static_selectorELNS0_4arch9wavefront6targetE0EEEvS12_
    .private_segment_fixed_size: 0
    .sgpr_count:     0
    .sgpr_spill_count: 0
    .symbol:         _ZN7rocprim17ROCPRIM_400000_NS6detail17trampoline_kernelINS0_13select_configILj256ELj13ELNS0_17block_load_methodE3ELS4_3ELS4_3ELNS0_20block_scan_algorithmE0ELj4294967295EEENS1_25partition_config_selectorILNS1_17partition_subalgoE4EjNS0_10empty_typeEbEEZZNS1_14partition_implILS8_4ELb0ES6_15HIP_vector_typeIjLj2EENS0_17counting_iteratorIjlEEPS9_SG_NS0_5tupleIJPjSI_NS0_16reverse_iteratorISI_EEEEENSH_IJSG_SG_SG_EEES9_SI_JZNS1_25segmented_radix_sort_implINS0_14default_configELb0EPKdPdPKlPlN2at6native12_GLOBAL__N_18offset_tEEE10hipError_tPvRmT1_PNSt15iterator_traitsIS12_E10value_typeET2_T3_PNS13_IS18_E10value_typeET4_jRbjT5_S1E_jjP12ihipStream_tbEUljE_ZNSN_ISO_Lb0ESQ_SR_ST_SU_SY_EESZ_S10_S11_S12_S16_S17_S18_S1B_S1C_jS1D_jS1E_S1E_jjS1G_bEUljE0_EEESZ_S10_S11_S18_S1C_S1E_T6_T7_T9_mT8_S1G_bDpT10_ENKUlT_T0_E_clISt17integral_constantIbLb1EES1T_IbLb0EEEEDaS1P_S1Q_EUlS1P_E_NS1_11comp_targetILNS1_3genE0ELNS1_11target_archE4294967295ELNS1_3gpuE0ELNS1_3repE0EEENS1_30default_config_static_selectorELNS0_4arch9wavefront6targetE0EEEvS12_.kd
    .uniform_work_group_size: 1
    .uses_dynamic_stack: false
    .vgpr_count:     0
    .vgpr_spill_count: 0
    .wavefront_size: 32
    .workgroup_processor_mode: 1
  - .args:
      - .offset:         0
        .size:           176
        .value_kind:     by_value
    .group_segment_fixed_size: 0
    .kernarg_segment_align: 8
    .kernarg_segment_size: 176
    .language:       OpenCL C
    .language_version:
      - 2
      - 0
    .max_flat_workgroup_size: 256
    .name:           _ZN7rocprim17ROCPRIM_400000_NS6detail17trampoline_kernelINS0_13select_configILj256ELj13ELNS0_17block_load_methodE3ELS4_3ELS4_3ELNS0_20block_scan_algorithmE0ELj4294967295EEENS1_25partition_config_selectorILNS1_17partition_subalgoE4EjNS0_10empty_typeEbEEZZNS1_14partition_implILS8_4ELb0ES6_15HIP_vector_typeIjLj2EENS0_17counting_iteratorIjlEEPS9_SG_NS0_5tupleIJPjSI_NS0_16reverse_iteratorISI_EEEEENSH_IJSG_SG_SG_EEES9_SI_JZNS1_25segmented_radix_sort_implINS0_14default_configELb0EPKdPdPKlPlN2at6native12_GLOBAL__N_18offset_tEEE10hipError_tPvRmT1_PNSt15iterator_traitsIS12_E10value_typeET2_T3_PNS13_IS18_E10value_typeET4_jRbjT5_S1E_jjP12ihipStream_tbEUljE_ZNSN_ISO_Lb0ESQ_SR_ST_SU_SY_EESZ_S10_S11_S12_S16_S17_S18_S1B_S1C_jS1D_jS1E_S1E_jjS1G_bEUljE0_EEESZ_S10_S11_S18_S1C_S1E_T6_T7_T9_mT8_S1G_bDpT10_ENKUlT_T0_E_clISt17integral_constantIbLb1EES1T_IbLb0EEEEDaS1P_S1Q_EUlS1P_E_NS1_11comp_targetILNS1_3genE5ELNS1_11target_archE942ELNS1_3gpuE9ELNS1_3repE0EEENS1_30default_config_static_selectorELNS0_4arch9wavefront6targetE0EEEvS12_
    .private_segment_fixed_size: 0
    .sgpr_count:     0
    .sgpr_spill_count: 0
    .symbol:         _ZN7rocprim17ROCPRIM_400000_NS6detail17trampoline_kernelINS0_13select_configILj256ELj13ELNS0_17block_load_methodE3ELS4_3ELS4_3ELNS0_20block_scan_algorithmE0ELj4294967295EEENS1_25partition_config_selectorILNS1_17partition_subalgoE4EjNS0_10empty_typeEbEEZZNS1_14partition_implILS8_4ELb0ES6_15HIP_vector_typeIjLj2EENS0_17counting_iteratorIjlEEPS9_SG_NS0_5tupleIJPjSI_NS0_16reverse_iteratorISI_EEEEENSH_IJSG_SG_SG_EEES9_SI_JZNS1_25segmented_radix_sort_implINS0_14default_configELb0EPKdPdPKlPlN2at6native12_GLOBAL__N_18offset_tEEE10hipError_tPvRmT1_PNSt15iterator_traitsIS12_E10value_typeET2_T3_PNS13_IS18_E10value_typeET4_jRbjT5_S1E_jjP12ihipStream_tbEUljE_ZNSN_ISO_Lb0ESQ_SR_ST_SU_SY_EESZ_S10_S11_S12_S16_S17_S18_S1B_S1C_jS1D_jS1E_S1E_jjS1G_bEUljE0_EEESZ_S10_S11_S18_S1C_S1E_T6_T7_T9_mT8_S1G_bDpT10_ENKUlT_T0_E_clISt17integral_constantIbLb1EES1T_IbLb0EEEEDaS1P_S1Q_EUlS1P_E_NS1_11comp_targetILNS1_3genE5ELNS1_11target_archE942ELNS1_3gpuE9ELNS1_3repE0EEENS1_30default_config_static_selectorELNS0_4arch9wavefront6targetE0EEEvS12_.kd
    .uniform_work_group_size: 1
    .uses_dynamic_stack: false
    .vgpr_count:     0
    .vgpr_spill_count: 0
    .wavefront_size: 32
    .workgroup_processor_mode: 1
  - .args:
      - .offset:         0
        .size:           176
        .value_kind:     by_value
    .group_segment_fixed_size: 0
    .kernarg_segment_align: 8
    .kernarg_segment_size: 176
    .language:       OpenCL C
    .language_version:
      - 2
      - 0
    .max_flat_workgroup_size: 256
    .name:           _ZN7rocprim17ROCPRIM_400000_NS6detail17trampoline_kernelINS0_13select_configILj256ELj13ELNS0_17block_load_methodE3ELS4_3ELS4_3ELNS0_20block_scan_algorithmE0ELj4294967295EEENS1_25partition_config_selectorILNS1_17partition_subalgoE4EjNS0_10empty_typeEbEEZZNS1_14partition_implILS8_4ELb0ES6_15HIP_vector_typeIjLj2EENS0_17counting_iteratorIjlEEPS9_SG_NS0_5tupleIJPjSI_NS0_16reverse_iteratorISI_EEEEENSH_IJSG_SG_SG_EEES9_SI_JZNS1_25segmented_radix_sort_implINS0_14default_configELb0EPKdPdPKlPlN2at6native12_GLOBAL__N_18offset_tEEE10hipError_tPvRmT1_PNSt15iterator_traitsIS12_E10value_typeET2_T3_PNS13_IS18_E10value_typeET4_jRbjT5_S1E_jjP12ihipStream_tbEUljE_ZNSN_ISO_Lb0ESQ_SR_ST_SU_SY_EESZ_S10_S11_S12_S16_S17_S18_S1B_S1C_jS1D_jS1E_S1E_jjS1G_bEUljE0_EEESZ_S10_S11_S18_S1C_S1E_T6_T7_T9_mT8_S1G_bDpT10_ENKUlT_T0_E_clISt17integral_constantIbLb1EES1T_IbLb0EEEEDaS1P_S1Q_EUlS1P_E_NS1_11comp_targetILNS1_3genE4ELNS1_11target_archE910ELNS1_3gpuE8ELNS1_3repE0EEENS1_30default_config_static_selectorELNS0_4arch9wavefront6targetE0EEEvS12_
    .private_segment_fixed_size: 0
    .sgpr_count:     0
    .sgpr_spill_count: 0
    .symbol:         _ZN7rocprim17ROCPRIM_400000_NS6detail17trampoline_kernelINS0_13select_configILj256ELj13ELNS0_17block_load_methodE3ELS4_3ELS4_3ELNS0_20block_scan_algorithmE0ELj4294967295EEENS1_25partition_config_selectorILNS1_17partition_subalgoE4EjNS0_10empty_typeEbEEZZNS1_14partition_implILS8_4ELb0ES6_15HIP_vector_typeIjLj2EENS0_17counting_iteratorIjlEEPS9_SG_NS0_5tupleIJPjSI_NS0_16reverse_iteratorISI_EEEEENSH_IJSG_SG_SG_EEES9_SI_JZNS1_25segmented_radix_sort_implINS0_14default_configELb0EPKdPdPKlPlN2at6native12_GLOBAL__N_18offset_tEEE10hipError_tPvRmT1_PNSt15iterator_traitsIS12_E10value_typeET2_T3_PNS13_IS18_E10value_typeET4_jRbjT5_S1E_jjP12ihipStream_tbEUljE_ZNSN_ISO_Lb0ESQ_SR_ST_SU_SY_EESZ_S10_S11_S12_S16_S17_S18_S1B_S1C_jS1D_jS1E_S1E_jjS1G_bEUljE0_EEESZ_S10_S11_S18_S1C_S1E_T6_T7_T9_mT8_S1G_bDpT10_ENKUlT_T0_E_clISt17integral_constantIbLb1EES1T_IbLb0EEEEDaS1P_S1Q_EUlS1P_E_NS1_11comp_targetILNS1_3genE4ELNS1_11target_archE910ELNS1_3gpuE8ELNS1_3repE0EEENS1_30default_config_static_selectorELNS0_4arch9wavefront6targetE0EEEvS12_.kd
    .uniform_work_group_size: 1
    .uses_dynamic_stack: false
    .vgpr_count:     0
    .vgpr_spill_count: 0
    .wavefront_size: 32
    .workgroup_processor_mode: 1
  - .args:
      - .offset:         0
        .size:           176
        .value_kind:     by_value
    .group_segment_fixed_size: 0
    .kernarg_segment_align: 8
    .kernarg_segment_size: 176
    .language:       OpenCL C
    .language_version:
      - 2
      - 0
    .max_flat_workgroup_size: 256
    .name:           _ZN7rocprim17ROCPRIM_400000_NS6detail17trampoline_kernelINS0_13select_configILj256ELj13ELNS0_17block_load_methodE3ELS4_3ELS4_3ELNS0_20block_scan_algorithmE0ELj4294967295EEENS1_25partition_config_selectorILNS1_17partition_subalgoE4EjNS0_10empty_typeEbEEZZNS1_14partition_implILS8_4ELb0ES6_15HIP_vector_typeIjLj2EENS0_17counting_iteratorIjlEEPS9_SG_NS0_5tupleIJPjSI_NS0_16reverse_iteratorISI_EEEEENSH_IJSG_SG_SG_EEES9_SI_JZNS1_25segmented_radix_sort_implINS0_14default_configELb0EPKdPdPKlPlN2at6native12_GLOBAL__N_18offset_tEEE10hipError_tPvRmT1_PNSt15iterator_traitsIS12_E10value_typeET2_T3_PNS13_IS18_E10value_typeET4_jRbjT5_S1E_jjP12ihipStream_tbEUljE_ZNSN_ISO_Lb0ESQ_SR_ST_SU_SY_EESZ_S10_S11_S12_S16_S17_S18_S1B_S1C_jS1D_jS1E_S1E_jjS1G_bEUljE0_EEESZ_S10_S11_S18_S1C_S1E_T6_T7_T9_mT8_S1G_bDpT10_ENKUlT_T0_E_clISt17integral_constantIbLb1EES1T_IbLb0EEEEDaS1P_S1Q_EUlS1P_E_NS1_11comp_targetILNS1_3genE3ELNS1_11target_archE908ELNS1_3gpuE7ELNS1_3repE0EEENS1_30default_config_static_selectorELNS0_4arch9wavefront6targetE0EEEvS12_
    .private_segment_fixed_size: 0
    .sgpr_count:     0
    .sgpr_spill_count: 0
    .symbol:         _ZN7rocprim17ROCPRIM_400000_NS6detail17trampoline_kernelINS0_13select_configILj256ELj13ELNS0_17block_load_methodE3ELS4_3ELS4_3ELNS0_20block_scan_algorithmE0ELj4294967295EEENS1_25partition_config_selectorILNS1_17partition_subalgoE4EjNS0_10empty_typeEbEEZZNS1_14partition_implILS8_4ELb0ES6_15HIP_vector_typeIjLj2EENS0_17counting_iteratorIjlEEPS9_SG_NS0_5tupleIJPjSI_NS0_16reverse_iteratorISI_EEEEENSH_IJSG_SG_SG_EEES9_SI_JZNS1_25segmented_radix_sort_implINS0_14default_configELb0EPKdPdPKlPlN2at6native12_GLOBAL__N_18offset_tEEE10hipError_tPvRmT1_PNSt15iterator_traitsIS12_E10value_typeET2_T3_PNS13_IS18_E10value_typeET4_jRbjT5_S1E_jjP12ihipStream_tbEUljE_ZNSN_ISO_Lb0ESQ_SR_ST_SU_SY_EESZ_S10_S11_S12_S16_S17_S18_S1B_S1C_jS1D_jS1E_S1E_jjS1G_bEUljE0_EEESZ_S10_S11_S18_S1C_S1E_T6_T7_T9_mT8_S1G_bDpT10_ENKUlT_T0_E_clISt17integral_constantIbLb1EES1T_IbLb0EEEEDaS1P_S1Q_EUlS1P_E_NS1_11comp_targetILNS1_3genE3ELNS1_11target_archE908ELNS1_3gpuE7ELNS1_3repE0EEENS1_30default_config_static_selectorELNS0_4arch9wavefront6targetE0EEEvS12_.kd
    .uniform_work_group_size: 1
    .uses_dynamic_stack: false
    .vgpr_count:     0
    .vgpr_spill_count: 0
    .wavefront_size: 32
    .workgroup_processor_mode: 1
  - .args:
      - .offset:         0
        .size:           176
        .value_kind:     by_value
    .group_segment_fixed_size: 0
    .kernarg_segment_align: 8
    .kernarg_segment_size: 176
    .language:       OpenCL C
    .language_version:
      - 2
      - 0
    .max_flat_workgroup_size: 256
    .name:           _ZN7rocprim17ROCPRIM_400000_NS6detail17trampoline_kernelINS0_13select_configILj256ELj13ELNS0_17block_load_methodE3ELS4_3ELS4_3ELNS0_20block_scan_algorithmE0ELj4294967295EEENS1_25partition_config_selectorILNS1_17partition_subalgoE4EjNS0_10empty_typeEbEEZZNS1_14partition_implILS8_4ELb0ES6_15HIP_vector_typeIjLj2EENS0_17counting_iteratorIjlEEPS9_SG_NS0_5tupleIJPjSI_NS0_16reverse_iteratorISI_EEEEENSH_IJSG_SG_SG_EEES9_SI_JZNS1_25segmented_radix_sort_implINS0_14default_configELb0EPKdPdPKlPlN2at6native12_GLOBAL__N_18offset_tEEE10hipError_tPvRmT1_PNSt15iterator_traitsIS12_E10value_typeET2_T3_PNS13_IS18_E10value_typeET4_jRbjT5_S1E_jjP12ihipStream_tbEUljE_ZNSN_ISO_Lb0ESQ_SR_ST_SU_SY_EESZ_S10_S11_S12_S16_S17_S18_S1B_S1C_jS1D_jS1E_S1E_jjS1G_bEUljE0_EEESZ_S10_S11_S18_S1C_S1E_T6_T7_T9_mT8_S1G_bDpT10_ENKUlT_T0_E_clISt17integral_constantIbLb1EES1T_IbLb0EEEEDaS1P_S1Q_EUlS1P_E_NS1_11comp_targetILNS1_3genE2ELNS1_11target_archE906ELNS1_3gpuE6ELNS1_3repE0EEENS1_30default_config_static_selectorELNS0_4arch9wavefront6targetE0EEEvS12_
    .private_segment_fixed_size: 0
    .sgpr_count:     0
    .sgpr_spill_count: 0
    .symbol:         _ZN7rocprim17ROCPRIM_400000_NS6detail17trampoline_kernelINS0_13select_configILj256ELj13ELNS0_17block_load_methodE3ELS4_3ELS4_3ELNS0_20block_scan_algorithmE0ELj4294967295EEENS1_25partition_config_selectorILNS1_17partition_subalgoE4EjNS0_10empty_typeEbEEZZNS1_14partition_implILS8_4ELb0ES6_15HIP_vector_typeIjLj2EENS0_17counting_iteratorIjlEEPS9_SG_NS0_5tupleIJPjSI_NS0_16reverse_iteratorISI_EEEEENSH_IJSG_SG_SG_EEES9_SI_JZNS1_25segmented_radix_sort_implINS0_14default_configELb0EPKdPdPKlPlN2at6native12_GLOBAL__N_18offset_tEEE10hipError_tPvRmT1_PNSt15iterator_traitsIS12_E10value_typeET2_T3_PNS13_IS18_E10value_typeET4_jRbjT5_S1E_jjP12ihipStream_tbEUljE_ZNSN_ISO_Lb0ESQ_SR_ST_SU_SY_EESZ_S10_S11_S12_S16_S17_S18_S1B_S1C_jS1D_jS1E_S1E_jjS1G_bEUljE0_EEESZ_S10_S11_S18_S1C_S1E_T6_T7_T9_mT8_S1G_bDpT10_ENKUlT_T0_E_clISt17integral_constantIbLb1EES1T_IbLb0EEEEDaS1P_S1Q_EUlS1P_E_NS1_11comp_targetILNS1_3genE2ELNS1_11target_archE906ELNS1_3gpuE6ELNS1_3repE0EEENS1_30default_config_static_selectorELNS0_4arch9wavefront6targetE0EEEvS12_.kd
    .uniform_work_group_size: 1
    .uses_dynamic_stack: false
    .vgpr_count:     0
    .vgpr_spill_count: 0
    .wavefront_size: 32
    .workgroup_processor_mode: 1
  - .args:
      - .offset:         0
        .size:           176
        .value_kind:     by_value
    .group_segment_fixed_size: 0
    .kernarg_segment_align: 8
    .kernarg_segment_size: 176
    .language:       OpenCL C
    .language_version:
      - 2
      - 0
    .max_flat_workgroup_size: 256
    .name:           _ZN7rocprim17ROCPRIM_400000_NS6detail17trampoline_kernelINS0_13select_configILj256ELj13ELNS0_17block_load_methodE3ELS4_3ELS4_3ELNS0_20block_scan_algorithmE0ELj4294967295EEENS1_25partition_config_selectorILNS1_17partition_subalgoE4EjNS0_10empty_typeEbEEZZNS1_14partition_implILS8_4ELb0ES6_15HIP_vector_typeIjLj2EENS0_17counting_iteratorIjlEEPS9_SG_NS0_5tupleIJPjSI_NS0_16reverse_iteratorISI_EEEEENSH_IJSG_SG_SG_EEES9_SI_JZNS1_25segmented_radix_sort_implINS0_14default_configELb0EPKdPdPKlPlN2at6native12_GLOBAL__N_18offset_tEEE10hipError_tPvRmT1_PNSt15iterator_traitsIS12_E10value_typeET2_T3_PNS13_IS18_E10value_typeET4_jRbjT5_S1E_jjP12ihipStream_tbEUljE_ZNSN_ISO_Lb0ESQ_SR_ST_SU_SY_EESZ_S10_S11_S12_S16_S17_S18_S1B_S1C_jS1D_jS1E_S1E_jjS1G_bEUljE0_EEESZ_S10_S11_S18_S1C_S1E_T6_T7_T9_mT8_S1G_bDpT10_ENKUlT_T0_E_clISt17integral_constantIbLb1EES1T_IbLb0EEEEDaS1P_S1Q_EUlS1P_E_NS1_11comp_targetILNS1_3genE10ELNS1_11target_archE1200ELNS1_3gpuE4ELNS1_3repE0EEENS1_30default_config_static_selectorELNS0_4arch9wavefront6targetE0EEEvS12_
    .private_segment_fixed_size: 0
    .sgpr_count:     0
    .sgpr_spill_count: 0
    .symbol:         _ZN7rocprim17ROCPRIM_400000_NS6detail17trampoline_kernelINS0_13select_configILj256ELj13ELNS0_17block_load_methodE3ELS4_3ELS4_3ELNS0_20block_scan_algorithmE0ELj4294967295EEENS1_25partition_config_selectorILNS1_17partition_subalgoE4EjNS0_10empty_typeEbEEZZNS1_14partition_implILS8_4ELb0ES6_15HIP_vector_typeIjLj2EENS0_17counting_iteratorIjlEEPS9_SG_NS0_5tupleIJPjSI_NS0_16reverse_iteratorISI_EEEEENSH_IJSG_SG_SG_EEES9_SI_JZNS1_25segmented_radix_sort_implINS0_14default_configELb0EPKdPdPKlPlN2at6native12_GLOBAL__N_18offset_tEEE10hipError_tPvRmT1_PNSt15iterator_traitsIS12_E10value_typeET2_T3_PNS13_IS18_E10value_typeET4_jRbjT5_S1E_jjP12ihipStream_tbEUljE_ZNSN_ISO_Lb0ESQ_SR_ST_SU_SY_EESZ_S10_S11_S12_S16_S17_S18_S1B_S1C_jS1D_jS1E_S1E_jjS1G_bEUljE0_EEESZ_S10_S11_S18_S1C_S1E_T6_T7_T9_mT8_S1G_bDpT10_ENKUlT_T0_E_clISt17integral_constantIbLb1EES1T_IbLb0EEEEDaS1P_S1Q_EUlS1P_E_NS1_11comp_targetILNS1_3genE10ELNS1_11target_archE1200ELNS1_3gpuE4ELNS1_3repE0EEENS1_30default_config_static_selectorELNS0_4arch9wavefront6targetE0EEEvS12_.kd
    .uniform_work_group_size: 1
    .uses_dynamic_stack: false
    .vgpr_count:     0
    .vgpr_spill_count: 0
    .wavefront_size: 32
    .workgroup_processor_mode: 1
  - .args:
      - .offset:         0
        .size:           176
        .value_kind:     by_value
    .group_segment_fixed_size: 0
    .kernarg_segment_align: 8
    .kernarg_segment_size: 176
    .language:       OpenCL C
    .language_version:
      - 2
      - 0
    .max_flat_workgroup_size: 256
    .name:           _ZN7rocprim17ROCPRIM_400000_NS6detail17trampoline_kernelINS0_13select_configILj256ELj13ELNS0_17block_load_methodE3ELS4_3ELS4_3ELNS0_20block_scan_algorithmE0ELj4294967295EEENS1_25partition_config_selectorILNS1_17partition_subalgoE4EjNS0_10empty_typeEbEEZZNS1_14partition_implILS8_4ELb0ES6_15HIP_vector_typeIjLj2EENS0_17counting_iteratorIjlEEPS9_SG_NS0_5tupleIJPjSI_NS0_16reverse_iteratorISI_EEEEENSH_IJSG_SG_SG_EEES9_SI_JZNS1_25segmented_radix_sort_implINS0_14default_configELb0EPKdPdPKlPlN2at6native12_GLOBAL__N_18offset_tEEE10hipError_tPvRmT1_PNSt15iterator_traitsIS12_E10value_typeET2_T3_PNS13_IS18_E10value_typeET4_jRbjT5_S1E_jjP12ihipStream_tbEUljE_ZNSN_ISO_Lb0ESQ_SR_ST_SU_SY_EESZ_S10_S11_S12_S16_S17_S18_S1B_S1C_jS1D_jS1E_S1E_jjS1G_bEUljE0_EEESZ_S10_S11_S18_S1C_S1E_T6_T7_T9_mT8_S1G_bDpT10_ENKUlT_T0_E_clISt17integral_constantIbLb1EES1T_IbLb0EEEEDaS1P_S1Q_EUlS1P_E_NS1_11comp_targetILNS1_3genE9ELNS1_11target_archE1100ELNS1_3gpuE3ELNS1_3repE0EEENS1_30default_config_static_selectorELNS0_4arch9wavefront6targetE0EEEvS12_
    .private_segment_fixed_size: 0
    .sgpr_count:     0
    .sgpr_spill_count: 0
    .symbol:         _ZN7rocprim17ROCPRIM_400000_NS6detail17trampoline_kernelINS0_13select_configILj256ELj13ELNS0_17block_load_methodE3ELS4_3ELS4_3ELNS0_20block_scan_algorithmE0ELj4294967295EEENS1_25partition_config_selectorILNS1_17partition_subalgoE4EjNS0_10empty_typeEbEEZZNS1_14partition_implILS8_4ELb0ES6_15HIP_vector_typeIjLj2EENS0_17counting_iteratorIjlEEPS9_SG_NS0_5tupleIJPjSI_NS0_16reverse_iteratorISI_EEEEENSH_IJSG_SG_SG_EEES9_SI_JZNS1_25segmented_radix_sort_implINS0_14default_configELb0EPKdPdPKlPlN2at6native12_GLOBAL__N_18offset_tEEE10hipError_tPvRmT1_PNSt15iterator_traitsIS12_E10value_typeET2_T3_PNS13_IS18_E10value_typeET4_jRbjT5_S1E_jjP12ihipStream_tbEUljE_ZNSN_ISO_Lb0ESQ_SR_ST_SU_SY_EESZ_S10_S11_S12_S16_S17_S18_S1B_S1C_jS1D_jS1E_S1E_jjS1G_bEUljE0_EEESZ_S10_S11_S18_S1C_S1E_T6_T7_T9_mT8_S1G_bDpT10_ENKUlT_T0_E_clISt17integral_constantIbLb1EES1T_IbLb0EEEEDaS1P_S1Q_EUlS1P_E_NS1_11comp_targetILNS1_3genE9ELNS1_11target_archE1100ELNS1_3gpuE3ELNS1_3repE0EEENS1_30default_config_static_selectorELNS0_4arch9wavefront6targetE0EEEvS12_.kd
    .uniform_work_group_size: 1
    .uses_dynamic_stack: false
    .vgpr_count:     0
    .vgpr_spill_count: 0
    .wavefront_size: 32
    .workgroup_processor_mode: 1
  - .args:
      - .offset:         0
        .size:           176
        .value_kind:     by_value
    .group_segment_fixed_size: 0
    .kernarg_segment_align: 8
    .kernarg_segment_size: 176
    .language:       OpenCL C
    .language_version:
      - 2
      - 0
    .max_flat_workgroup_size: 256
    .name:           _ZN7rocprim17ROCPRIM_400000_NS6detail17trampoline_kernelINS0_13select_configILj256ELj13ELNS0_17block_load_methodE3ELS4_3ELS4_3ELNS0_20block_scan_algorithmE0ELj4294967295EEENS1_25partition_config_selectorILNS1_17partition_subalgoE4EjNS0_10empty_typeEbEEZZNS1_14partition_implILS8_4ELb0ES6_15HIP_vector_typeIjLj2EENS0_17counting_iteratorIjlEEPS9_SG_NS0_5tupleIJPjSI_NS0_16reverse_iteratorISI_EEEEENSH_IJSG_SG_SG_EEES9_SI_JZNS1_25segmented_radix_sort_implINS0_14default_configELb0EPKdPdPKlPlN2at6native12_GLOBAL__N_18offset_tEEE10hipError_tPvRmT1_PNSt15iterator_traitsIS12_E10value_typeET2_T3_PNS13_IS18_E10value_typeET4_jRbjT5_S1E_jjP12ihipStream_tbEUljE_ZNSN_ISO_Lb0ESQ_SR_ST_SU_SY_EESZ_S10_S11_S12_S16_S17_S18_S1B_S1C_jS1D_jS1E_S1E_jjS1G_bEUljE0_EEESZ_S10_S11_S18_S1C_S1E_T6_T7_T9_mT8_S1G_bDpT10_ENKUlT_T0_E_clISt17integral_constantIbLb1EES1T_IbLb0EEEEDaS1P_S1Q_EUlS1P_E_NS1_11comp_targetILNS1_3genE8ELNS1_11target_archE1030ELNS1_3gpuE2ELNS1_3repE0EEENS1_30default_config_static_selectorELNS0_4arch9wavefront6targetE0EEEvS12_
    .private_segment_fixed_size: 0
    .sgpr_count:     0
    .sgpr_spill_count: 0
    .symbol:         _ZN7rocprim17ROCPRIM_400000_NS6detail17trampoline_kernelINS0_13select_configILj256ELj13ELNS0_17block_load_methodE3ELS4_3ELS4_3ELNS0_20block_scan_algorithmE0ELj4294967295EEENS1_25partition_config_selectorILNS1_17partition_subalgoE4EjNS0_10empty_typeEbEEZZNS1_14partition_implILS8_4ELb0ES6_15HIP_vector_typeIjLj2EENS0_17counting_iteratorIjlEEPS9_SG_NS0_5tupleIJPjSI_NS0_16reverse_iteratorISI_EEEEENSH_IJSG_SG_SG_EEES9_SI_JZNS1_25segmented_radix_sort_implINS0_14default_configELb0EPKdPdPKlPlN2at6native12_GLOBAL__N_18offset_tEEE10hipError_tPvRmT1_PNSt15iterator_traitsIS12_E10value_typeET2_T3_PNS13_IS18_E10value_typeET4_jRbjT5_S1E_jjP12ihipStream_tbEUljE_ZNSN_ISO_Lb0ESQ_SR_ST_SU_SY_EESZ_S10_S11_S12_S16_S17_S18_S1B_S1C_jS1D_jS1E_S1E_jjS1G_bEUljE0_EEESZ_S10_S11_S18_S1C_S1E_T6_T7_T9_mT8_S1G_bDpT10_ENKUlT_T0_E_clISt17integral_constantIbLb1EES1T_IbLb0EEEEDaS1P_S1Q_EUlS1P_E_NS1_11comp_targetILNS1_3genE8ELNS1_11target_archE1030ELNS1_3gpuE2ELNS1_3repE0EEENS1_30default_config_static_selectorELNS0_4arch9wavefront6targetE0EEEvS12_.kd
    .uniform_work_group_size: 1
    .uses_dynamic_stack: false
    .vgpr_count:     0
    .vgpr_spill_count: 0
    .wavefront_size: 32
    .workgroup_processor_mode: 1
  - .args:
      - .offset:         0
        .size:           184
        .value_kind:     by_value
    .group_segment_fixed_size: 0
    .kernarg_segment_align: 8
    .kernarg_segment_size: 184
    .language:       OpenCL C
    .language_version:
      - 2
      - 0
    .max_flat_workgroup_size: 256
    .name:           _ZN7rocprim17ROCPRIM_400000_NS6detail17trampoline_kernelINS0_13select_configILj256ELj13ELNS0_17block_load_methodE3ELS4_3ELS4_3ELNS0_20block_scan_algorithmE0ELj4294967295EEENS1_25partition_config_selectorILNS1_17partition_subalgoE4EjNS0_10empty_typeEbEEZZNS1_14partition_implILS8_4ELb0ES6_15HIP_vector_typeIjLj2EENS0_17counting_iteratorIjlEEPS9_SG_NS0_5tupleIJPjSI_NS0_16reverse_iteratorISI_EEEEENSH_IJSG_SG_SG_EEES9_SI_JZNS1_25segmented_radix_sort_implINS0_14default_configELb0EPKdPdPKlPlN2at6native12_GLOBAL__N_18offset_tEEE10hipError_tPvRmT1_PNSt15iterator_traitsIS12_E10value_typeET2_T3_PNS13_IS18_E10value_typeET4_jRbjT5_S1E_jjP12ihipStream_tbEUljE_ZNSN_ISO_Lb0ESQ_SR_ST_SU_SY_EESZ_S10_S11_S12_S16_S17_S18_S1B_S1C_jS1D_jS1E_S1E_jjS1G_bEUljE0_EEESZ_S10_S11_S18_S1C_S1E_T6_T7_T9_mT8_S1G_bDpT10_ENKUlT_T0_E_clISt17integral_constantIbLb0EES1T_IbLb1EEEEDaS1P_S1Q_EUlS1P_E_NS1_11comp_targetILNS1_3genE0ELNS1_11target_archE4294967295ELNS1_3gpuE0ELNS1_3repE0EEENS1_30default_config_static_selectorELNS0_4arch9wavefront6targetE0EEEvS12_
    .private_segment_fixed_size: 0
    .sgpr_count:     0
    .sgpr_spill_count: 0
    .symbol:         _ZN7rocprim17ROCPRIM_400000_NS6detail17trampoline_kernelINS0_13select_configILj256ELj13ELNS0_17block_load_methodE3ELS4_3ELS4_3ELNS0_20block_scan_algorithmE0ELj4294967295EEENS1_25partition_config_selectorILNS1_17partition_subalgoE4EjNS0_10empty_typeEbEEZZNS1_14partition_implILS8_4ELb0ES6_15HIP_vector_typeIjLj2EENS0_17counting_iteratorIjlEEPS9_SG_NS0_5tupleIJPjSI_NS0_16reverse_iteratorISI_EEEEENSH_IJSG_SG_SG_EEES9_SI_JZNS1_25segmented_radix_sort_implINS0_14default_configELb0EPKdPdPKlPlN2at6native12_GLOBAL__N_18offset_tEEE10hipError_tPvRmT1_PNSt15iterator_traitsIS12_E10value_typeET2_T3_PNS13_IS18_E10value_typeET4_jRbjT5_S1E_jjP12ihipStream_tbEUljE_ZNSN_ISO_Lb0ESQ_SR_ST_SU_SY_EESZ_S10_S11_S12_S16_S17_S18_S1B_S1C_jS1D_jS1E_S1E_jjS1G_bEUljE0_EEESZ_S10_S11_S18_S1C_S1E_T6_T7_T9_mT8_S1G_bDpT10_ENKUlT_T0_E_clISt17integral_constantIbLb0EES1T_IbLb1EEEEDaS1P_S1Q_EUlS1P_E_NS1_11comp_targetILNS1_3genE0ELNS1_11target_archE4294967295ELNS1_3gpuE0ELNS1_3repE0EEENS1_30default_config_static_selectorELNS0_4arch9wavefront6targetE0EEEvS12_.kd
    .uniform_work_group_size: 1
    .uses_dynamic_stack: false
    .vgpr_count:     0
    .vgpr_spill_count: 0
    .wavefront_size: 32
    .workgroup_processor_mode: 1
  - .args:
      - .offset:         0
        .size:           184
        .value_kind:     by_value
    .group_segment_fixed_size: 0
    .kernarg_segment_align: 8
    .kernarg_segment_size: 184
    .language:       OpenCL C
    .language_version:
      - 2
      - 0
    .max_flat_workgroup_size: 256
    .name:           _ZN7rocprim17ROCPRIM_400000_NS6detail17trampoline_kernelINS0_13select_configILj256ELj13ELNS0_17block_load_methodE3ELS4_3ELS4_3ELNS0_20block_scan_algorithmE0ELj4294967295EEENS1_25partition_config_selectorILNS1_17partition_subalgoE4EjNS0_10empty_typeEbEEZZNS1_14partition_implILS8_4ELb0ES6_15HIP_vector_typeIjLj2EENS0_17counting_iteratorIjlEEPS9_SG_NS0_5tupleIJPjSI_NS0_16reverse_iteratorISI_EEEEENSH_IJSG_SG_SG_EEES9_SI_JZNS1_25segmented_radix_sort_implINS0_14default_configELb0EPKdPdPKlPlN2at6native12_GLOBAL__N_18offset_tEEE10hipError_tPvRmT1_PNSt15iterator_traitsIS12_E10value_typeET2_T3_PNS13_IS18_E10value_typeET4_jRbjT5_S1E_jjP12ihipStream_tbEUljE_ZNSN_ISO_Lb0ESQ_SR_ST_SU_SY_EESZ_S10_S11_S12_S16_S17_S18_S1B_S1C_jS1D_jS1E_S1E_jjS1G_bEUljE0_EEESZ_S10_S11_S18_S1C_S1E_T6_T7_T9_mT8_S1G_bDpT10_ENKUlT_T0_E_clISt17integral_constantIbLb0EES1T_IbLb1EEEEDaS1P_S1Q_EUlS1P_E_NS1_11comp_targetILNS1_3genE5ELNS1_11target_archE942ELNS1_3gpuE9ELNS1_3repE0EEENS1_30default_config_static_selectorELNS0_4arch9wavefront6targetE0EEEvS12_
    .private_segment_fixed_size: 0
    .sgpr_count:     0
    .sgpr_spill_count: 0
    .symbol:         _ZN7rocprim17ROCPRIM_400000_NS6detail17trampoline_kernelINS0_13select_configILj256ELj13ELNS0_17block_load_methodE3ELS4_3ELS4_3ELNS0_20block_scan_algorithmE0ELj4294967295EEENS1_25partition_config_selectorILNS1_17partition_subalgoE4EjNS0_10empty_typeEbEEZZNS1_14partition_implILS8_4ELb0ES6_15HIP_vector_typeIjLj2EENS0_17counting_iteratorIjlEEPS9_SG_NS0_5tupleIJPjSI_NS0_16reverse_iteratorISI_EEEEENSH_IJSG_SG_SG_EEES9_SI_JZNS1_25segmented_radix_sort_implINS0_14default_configELb0EPKdPdPKlPlN2at6native12_GLOBAL__N_18offset_tEEE10hipError_tPvRmT1_PNSt15iterator_traitsIS12_E10value_typeET2_T3_PNS13_IS18_E10value_typeET4_jRbjT5_S1E_jjP12ihipStream_tbEUljE_ZNSN_ISO_Lb0ESQ_SR_ST_SU_SY_EESZ_S10_S11_S12_S16_S17_S18_S1B_S1C_jS1D_jS1E_S1E_jjS1G_bEUljE0_EEESZ_S10_S11_S18_S1C_S1E_T6_T7_T9_mT8_S1G_bDpT10_ENKUlT_T0_E_clISt17integral_constantIbLb0EES1T_IbLb1EEEEDaS1P_S1Q_EUlS1P_E_NS1_11comp_targetILNS1_3genE5ELNS1_11target_archE942ELNS1_3gpuE9ELNS1_3repE0EEENS1_30default_config_static_selectorELNS0_4arch9wavefront6targetE0EEEvS12_.kd
    .uniform_work_group_size: 1
    .uses_dynamic_stack: false
    .vgpr_count:     0
    .vgpr_spill_count: 0
    .wavefront_size: 32
    .workgroup_processor_mode: 1
  - .args:
      - .offset:         0
        .size:           184
        .value_kind:     by_value
    .group_segment_fixed_size: 0
    .kernarg_segment_align: 8
    .kernarg_segment_size: 184
    .language:       OpenCL C
    .language_version:
      - 2
      - 0
    .max_flat_workgroup_size: 256
    .name:           _ZN7rocprim17ROCPRIM_400000_NS6detail17trampoline_kernelINS0_13select_configILj256ELj13ELNS0_17block_load_methodE3ELS4_3ELS4_3ELNS0_20block_scan_algorithmE0ELj4294967295EEENS1_25partition_config_selectorILNS1_17partition_subalgoE4EjNS0_10empty_typeEbEEZZNS1_14partition_implILS8_4ELb0ES6_15HIP_vector_typeIjLj2EENS0_17counting_iteratorIjlEEPS9_SG_NS0_5tupleIJPjSI_NS0_16reverse_iteratorISI_EEEEENSH_IJSG_SG_SG_EEES9_SI_JZNS1_25segmented_radix_sort_implINS0_14default_configELb0EPKdPdPKlPlN2at6native12_GLOBAL__N_18offset_tEEE10hipError_tPvRmT1_PNSt15iterator_traitsIS12_E10value_typeET2_T3_PNS13_IS18_E10value_typeET4_jRbjT5_S1E_jjP12ihipStream_tbEUljE_ZNSN_ISO_Lb0ESQ_SR_ST_SU_SY_EESZ_S10_S11_S12_S16_S17_S18_S1B_S1C_jS1D_jS1E_S1E_jjS1G_bEUljE0_EEESZ_S10_S11_S18_S1C_S1E_T6_T7_T9_mT8_S1G_bDpT10_ENKUlT_T0_E_clISt17integral_constantIbLb0EES1T_IbLb1EEEEDaS1P_S1Q_EUlS1P_E_NS1_11comp_targetILNS1_3genE4ELNS1_11target_archE910ELNS1_3gpuE8ELNS1_3repE0EEENS1_30default_config_static_selectorELNS0_4arch9wavefront6targetE0EEEvS12_
    .private_segment_fixed_size: 0
    .sgpr_count:     0
    .sgpr_spill_count: 0
    .symbol:         _ZN7rocprim17ROCPRIM_400000_NS6detail17trampoline_kernelINS0_13select_configILj256ELj13ELNS0_17block_load_methodE3ELS4_3ELS4_3ELNS0_20block_scan_algorithmE0ELj4294967295EEENS1_25partition_config_selectorILNS1_17partition_subalgoE4EjNS0_10empty_typeEbEEZZNS1_14partition_implILS8_4ELb0ES6_15HIP_vector_typeIjLj2EENS0_17counting_iteratorIjlEEPS9_SG_NS0_5tupleIJPjSI_NS0_16reverse_iteratorISI_EEEEENSH_IJSG_SG_SG_EEES9_SI_JZNS1_25segmented_radix_sort_implINS0_14default_configELb0EPKdPdPKlPlN2at6native12_GLOBAL__N_18offset_tEEE10hipError_tPvRmT1_PNSt15iterator_traitsIS12_E10value_typeET2_T3_PNS13_IS18_E10value_typeET4_jRbjT5_S1E_jjP12ihipStream_tbEUljE_ZNSN_ISO_Lb0ESQ_SR_ST_SU_SY_EESZ_S10_S11_S12_S16_S17_S18_S1B_S1C_jS1D_jS1E_S1E_jjS1G_bEUljE0_EEESZ_S10_S11_S18_S1C_S1E_T6_T7_T9_mT8_S1G_bDpT10_ENKUlT_T0_E_clISt17integral_constantIbLb0EES1T_IbLb1EEEEDaS1P_S1Q_EUlS1P_E_NS1_11comp_targetILNS1_3genE4ELNS1_11target_archE910ELNS1_3gpuE8ELNS1_3repE0EEENS1_30default_config_static_selectorELNS0_4arch9wavefront6targetE0EEEvS12_.kd
    .uniform_work_group_size: 1
    .uses_dynamic_stack: false
    .vgpr_count:     0
    .vgpr_spill_count: 0
    .wavefront_size: 32
    .workgroup_processor_mode: 1
  - .args:
      - .offset:         0
        .size:           184
        .value_kind:     by_value
    .group_segment_fixed_size: 0
    .kernarg_segment_align: 8
    .kernarg_segment_size: 184
    .language:       OpenCL C
    .language_version:
      - 2
      - 0
    .max_flat_workgroup_size: 256
    .name:           _ZN7rocprim17ROCPRIM_400000_NS6detail17trampoline_kernelINS0_13select_configILj256ELj13ELNS0_17block_load_methodE3ELS4_3ELS4_3ELNS0_20block_scan_algorithmE0ELj4294967295EEENS1_25partition_config_selectorILNS1_17partition_subalgoE4EjNS0_10empty_typeEbEEZZNS1_14partition_implILS8_4ELb0ES6_15HIP_vector_typeIjLj2EENS0_17counting_iteratorIjlEEPS9_SG_NS0_5tupleIJPjSI_NS0_16reverse_iteratorISI_EEEEENSH_IJSG_SG_SG_EEES9_SI_JZNS1_25segmented_radix_sort_implINS0_14default_configELb0EPKdPdPKlPlN2at6native12_GLOBAL__N_18offset_tEEE10hipError_tPvRmT1_PNSt15iterator_traitsIS12_E10value_typeET2_T3_PNS13_IS18_E10value_typeET4_jRbjT5_S1E_jjP12ihipStream_tbEUljE_ZNSN_ISO_Lb0ESQ_SR_ST_SU_SY_EESZ_S10_S11_S12_S16_S17_S18_S1B_S1C_jS1D_jS1E_S1E_jjS1G_bEUljE0_EEESZ_S10_S11_S18_S1C_S1E_T6_T7_T9_mT8_S1G_bDpT10_ENKUlT_T0_E_clISt17integral_constantIbLb0EES1T_IbLb1EEEEDaS1P_S1Q_EUlS1P_E_NS1_11comp_targetILNS1_3genE3ELNS1_11target_archE908ELNS1_3gpuE7ELNS1_3repE0EEENS1_30default_config_static_selectorELNS0_4arch9wavefront6targetE0EEEvS12_
    .private_segment_fixed_size: 0
    .sgpr_count:     0
    .sgpr_spill_count: 0
    .symbol:         _ZN7rocprim17ROCPRIM_400000_NS6detail17trampoline_kernelINS0_13select_configILj256ELj13ELNS0_17block_load_methodE3ELS4_3ELS4_3ELNS0_20block_scan_algorithmE0ELj4294967295EEENS1_25partition_config_selectorILNS1_17partition_subalgoE4EjNS0_10empty_typeEbEEZZNS1_14partition_implILS8_4ELb0ES6_15HIP_vector_typeIjLj2EENS0_17counting_iteratorIjlEEPS9_SG_NS0_5tupleIJPjSI_NS0_16reverse_iteratorISI_EEEEENSH_IJSG_SG_SG_EEES9_SI_JZNS1_25segmented_radix_sort_implINS0_14default_configELb0EPKdPdPKlPlN2at6native12_GLOBAL__N_18offset_tEEE10hipError_tPvRmT1_PNSt15iterator_traitsIS12_E10value_typeET2_T3_PNS13_IS18_E10value_typeET4_jRbjT5_S1E_jjP12ihipStream_tbEUljE_ZNSN_ISO_Lb0ESQ_SR_ST_SU_SY_EESZ_S10_S11_S12_S16_S17_S18_S1B_S1C_jS1D_jS1E_S1E_jjS1G_bEUljE0_EEESZ_S10_S11_S18_S1C_S1E_T6_T7_T9_mT8_S1G_bDpT10_ENKUlT_T0_E_clISt17integral_constantIbLb0EES1T_IbLb1EEEEDaS1P_S1Q_EUlS1P_E_NS1_11comp_targetILNS1_3genE3ELNS1_11target_archE908ELNS1_3gpuE7ELNS1_3repE0EEENS1_30default_config_static_selectorELNS0_4arch9wavefront6targetE0EEEvS12_.kd
    .uniform_work_group_size: 1
    .uses_dynamic_stack: false
    .vgpr_count:     0
    .vgpr_spill_count: 0
    .wavefront_size: 32
    .workgroup_processor_mode: 1
  - .args:
      - .offset:         0
        .size:           184
        .value_kind:     by_value
    .group_segment_fixed_size: 0
    .kernarg_segment_align: 8
    .kernarg_segment_size: 184
    .language:       OpenCL C
    .language_version:
      - 2
      - 0
    .max_flat_workgroup_size: 256
    .name:           _ZN7rocprim17ROCPRIM_400000_NS6detail17trampoline_kernelINS0_13select_configILj256ELj13ELNS0_17block_load_methodE3ELS4_3ELS4_3ELNS0_20block_scan_algorithmE0ELj4294967295EEENS1_25partition_config_selectorILNS1_17partition_subalgoE4EjNS0_10empty_typeEbEEZZNS1_14partition_implILS8_4ELb0ES6_15HIP_vector_typeIjLj2EENS0_17counting_iteratorIjlEEPS9_SG_NS0_5tupleIJPjSI_NS0_16reverse_iteratorISI_EEEEENSH_IJSG_SG_SG_EEES9_SI_JZNS1_25segmented_radix_sort_implINS0_14default_configELb0EPKdPdPKlPlN2at6native12_GLOBAL__N_18offset_tEEE10hipError_tPvRmT1_PNSt15iterator_traitsIS12_E10value_typeET2_T3_PNS13_IS18_E10value_typeET4_jRbjT5_S1E_jjP12ihipStream_tbEUljE_ZNSN_ISO_Lb0ESQ_SR_ST_SU_SY_EESZ_S10_S11_S12_S16_S17_S18_S1B_S1C_jS1D_jS1E_S1E_jjS1G_bEUljE0_EEESZ_S10_S11_S18_S1C_S1E_T6_T7_T9_mT8_S1G_bDpT10_ENKUlT_T0_E_clISt17integral_constantIbLb0EES1T_IbLb1EEEEDaS1P_S1Q_EUlS1P_E_NS1_11comp_targetILNS1_3genE2ELNS1_11target_archE906ELNS1_3gpuE6ELNS1_3repE0EEENS1_30default_config_static_selectorELNS0_4arch9wavefront6targetE0EEEvS12_
    .private_segment_fixed_size: 0
    .sgpr_count:     0
    .sgpr_spill_count: 0
    .symbol:         _ZN7rocprim17ROCPRIM_400000_NS6detail17trampoline_kernelINS0_13select_configILj256ELj13ELNS0_17block_load_methodE3ELS4_3ELS4_3ELNS0_20block_scan_algorithmE0ELj4294967295EEENS1_25partition_config_selectorILNS1_17partition_subalgoE4EjNS0_10empty_typeEbEEZZNS1_14partition_implILS8_4ELb0ES6_15HIP_vector_typeIjLj2EENS0_17counting_iteratorIjlEEPS9_SG_NS0_5tupleIJPjSI_NS0_16reverse_iteratorISI_EEEEENSH_IJSG_SG_SG_EEES9_SI_JZNS1_25segmented_radix_sort_implINS0_14default_configELb0EPKdPdPKlPlN2at6native12_GLOBAL__N_18offset_tEEE10hipError_tPvRmT1_PNSt15iterator_traitsIS12_E10value_typeET2_T3_PNS13_IS18_E10value_typeET4_jRbjT5_S1E_jjP12ihipStream_tbEUljE_ZNSN_ISO_Lb0ESQ_SR_ST_SU_SY_EESZ_S10_S11_S12_S16_S17_S18_S1B_S1C_jS1D_jS1E_S1E_jjS1G_bEUljE0_EEESZ_S10_S11_S18_S1C_S1E_T6_T7_T9_mT8_S1G_bDpT10_ENKUlT_T0_E_clISt17integral_constantIbLb0EES1T_IbLb1EEEEDaS1P_S1Q_EUlS1P_E_NS1_11comp_targetILNS1_3genE2ELNS1_11target_archE906ELNS1_3gpuE6ELNS1_3repE0EEENS1_30default_config_static_selectorELNS0_4arch9wavefront6targetE0EEEvS12_.kd
    .uniform_work_group_size: 1
    .uses_dynamic_stack: false
    .vgpr_count:     0
    .vgpr_spill_count: 0
    .wavefront_size: 32
    .workgroup_processor_mode: 1
  - .args:
      - .offset:         0
        .size:           184
        .value_kind:     by_value
    .group_segment_fixed_size: 0
    .kernarg_segment_align: 8
    .kernarg_segment_size: 184
    .language:       OpenCL C
    .language_version:
      - 2
      - 0
    .max_flat_workgroup_size: 256
    .name:           _ZN7rocprim17ROCPRIM_400000_NS6detail17trampoline_kernelINS0_13select_configILj256ELj13ELNS0_17block_load_methodE3ELS4_3ELS4_3ELNS0_20block_scan_algorithmE0ELj4294967295EEENS1_25partition_config_selectorILNS1_17partition_subalgoE4EjNS0_10empty_typeEbEEZZNS1_14partition_implILS8_4ELb0ES6_15HIP_vector_typeIjLj2EENS0_17counting_iteratorIjlEEPS9_SG_NS0_5tupleIJPjSI_NS0_16reverse_iteratorISI_EEEEENSH_IJSG_SG_SG_EEES9_SI_JZNS1_25segmented_radix_sort_implINS0_14default_configELb0EPKdPdPKlPlN2at6native12_GLOBAL__N_18offset_tEEE10hipError_tPvRmT1_PNSt15iterator_traitsIS12_E10value_typeET2_T3_PNS13_IS18_E10value_typeET4_jRbjT5_S1E_jjP12ihipStream_tbEUljE_ZNSN_ISO_Lb0ESQ_SR_ST_SU_SY_EESZ_S10_S11_S12_S16_S17_S18_S1B_S1C_jS1D_jS1E_S1E_jjS1G_bEUljE0_EEESZ_S10_S11_S18_S1C_S1E_T6_T7_T9_mT8_S1G_bDpT10_ENKUlT_T0_E_clISt17integral_constantIbLb0EES1T_IbLb1EEEEDaS1P_S1Q_EUlS1P_E_NS1_11comp_targetILNS1_3genE10ELNS1_11target_archE1200ELNS1_3gpuE4ELNS1_3repE0EEENS1_30default_config_static_selectorELNS0_4arch9wavefront6targetE0EEEvS12_
    .private_segment_fixed_size: 0
    .sgpr_count:     0
    .sgpr_spill_count: 0
    .symbol:         _ZN7rocprim17ROCPRIM_400000_NS6detail17trampoline_kernelINS0_13select_configILj256ELj13ELNS0_17block_load_methodE3ELS4_3ELS4_3ELNS0_20block_scan_algorithmE0ELj4294967295EEENS1_25partition_config_selectorILNS1_17partition_subalgoE4EjNS0_10empty_typeEbEEZZNS1_14partition_implILS8_4ELb0ES6_15HIP_vector_typeIjLj2EENS0_17counting_iteratorIjlEEPS9_SG_NS0_5tupleIJPjSI_NS0_16reverse_iteratorISI_EEEEENSH_IJSG_SG_SG_EEES9_SI_JZNS1_25segmented_radix_sort_implINS0_14default_configELb0EPKdPdPKlPlN2at6native12_GLOBAL__N_18offset_tEEE10hipError_tPvRmT1_PNSt15iterator_traitsIS12_E10value_typeET2_T3_PNS13_IS18_E10value_typeET4_jRbjT5_S1E_jjP12ihipStream_tbEUljE_ZNSN_ISO_Lb0ESQ_SR_ST_SU_SY_EESZ_S10_S11_S12_S16_S17_S18_S1B_S1C_jS1D_jS1E_S1E_jjS1G_bEUljE0_EEESZ_S10_S11_S18_S1C_S1E_T6_T7_T9_mT8_S1G_bDpT10_ENKUlT_T0_E_clISt17integral_constantIbLb0EES1T_IbLb1EEEEDaS1P_S1Q_EUlS1P_E_NS1_11comp_targetILNS1_3genE10ELNS1_11target_archE1200ELNS1_3gpuE4ELNS1_3repE0EEENS1_30default_config_static_selectorELNS0_4arch9wavefront6targetE0EEEvS12_.kd
    .uniform_work_group_size: 1
    .uses_dynamic_stack: false
    .vgpr_count:     0
    .vgpr_spill_count: 0
    .wavefront_size: 32
    .workgroup_processor_mode: 1
  - .args:
      - .offset:         0
        .size:           184
        .value_kind:     by_value
    .group_segment_fixed_size: 0
    .kernarg_segment_align: 8
    .kernarg_segment_size: 184
    .language:       OpenCL C
    .language_version:
      - 2
      - 0
    .max_flat_workgroup_size: 256
    .name:           _ZN7rocprim17ROCPRIM_400000_NS6detail17trampoline_kernelINS0_13select_configILj256ELj13ELNS0_17block_load_methodE3ELS4_3ELS4_3ELNS0_20block_scan_algorithmE0ELj4294967295EEENS1_25partition_config_selectorILNS1_17partition_subalgoE4EjNS0_10empty_typeEbEEZZNS1_14partition_implILS8_4ELb0ES6_15HIP_vector_typeIjLj2EENS0_17counting_iteratorIjlEEPS9_SG_NS0_5tupleIJPjSI_NS0_16reverse_iteratorISI_EEEEENSH_IJSG_SG_SG_EEES9_SI_JZNS1_25segmented_radix_sort_implINS0_14default_configELb0EPKdPdPKlPlN2at6native12_GLOBAL__N_18offset_tEEE10hipError_tPvRmT1_PNSt15iterator_traitsIS12_E10value_typeET2_T3_PNS13_IS18_E10value_typeET4_jRbjT5_S1E_jjP12ihipStream_tbEUljE_ZNSN_ISO_Lb0ESQ_SR_ST_SU_SY_EESZ_S10_S11_S12_S16_S17_S18_S1B_S1C_jS1D_jS1E_S1E_jjS1G_bEUljE0_EEESZ_S10_S11_S18_S1C_S1E_T6_T7_T9_mT8_S1G_bDpT10_ENKUlT_T0_E_clISt17integral_constantIbLb0EES1T_IbLb1EEEEDaS1P_S1Q_EUlS1P_E_NS1_11comp_targetILNS1_3genE9ELNS1_11target_archE1100ELNS1_3gpuE3ELNS1_3repE0EEENS1_30default_config_static_selectorELNS0_4arch9wavefront6targetE0EEEvS12_
    .private_segment_fixed_size: 0
    .sgpr_count:     0
    .sgpr_spill_count: 0
    .symbol:         _ZN7rocprim17ROCPRIM_400000_NS6detail17trampoline_kernelINS0_13select_configILj256ELj13ELNS0_17block_load_methodE3ELS4_3ELS4_3ELNS0_20block_scan_algorithmE0ELj4294967295EEENS1_25partition_config_selectorILNS1_17partition_subalgoE4EjNS0_10empty_typeEbEEZZNS1_14partition_implILS8_4ELb0ES6_15HIP_vector_typeIjLj2EENS0_17counting_iteratorIjlEEPS9_SG_NS0_5tupleIJPjSI_NS0_16reverse_iteratorISI_EEEEENSH_IJSG_SG_SG_EEES9_SI_JZNS1_25segmented_radix_sort_implINS0_14default_configELb0EPKdPdPKlPlN2at6native12_GLOBAL__N_18offset_tEEE10hipError_tPvRmT1_PNSt15iterator_traitsIS12_E10value_typeET2_T3_PNS13_IS18_E10value_typeET4_jRbjT5_S1E_jjP12ihipStream_tbEUljE_ZNSN_ISO_Lb0ESQ_SR_ST_SU_SY_EESZ_S10_S11_S12_S16_S17_S18_S1B_S1C_jS1D_jS1E_S1E_jjS1G_bEUljE0_EEESZ_S10_S11_S18_S1C_S1E_T6_T7_T9_mT8_S1G_bDpT10_ENKUlT_T0_E_clISt17integral_constantIbLb0EES1T_IbLb1EEEEDaS1P_S1Q_EUlS1P_E_NS1_11comp_targetILNS1_3genE9ELNS1_11target_archE1100ELNS1_3gpuE3ELNS1_3repE0EEENS1_30default_config_static_selectorELNS0_4arch9wavefront6targetE0EEEvS12_.kd
    .uniform_work_group_size: 1
    .uses_dynamic_stack: false
    .vgpr_count:     0
    .vgpr_spill_count: 0
    .wavefront_size: 32
    .workgroup_processor_mode: 1
  - .args:
      - .offset:         0
        .size:           184
        .value_kind:     by_value
    .group_segment_fixed_size: 13328
    .kernarg_segment_align: 8
    .kernarg_segment_size: 184
    .language:       OpenCL C
    .language_version:
      - 2
      - 0
    .max_flat_workgroup_size: 256
    .name:           _ZN7rocprim17ROCPRIM_400000_NS6detail17trampoline_kernelINS0_13select_configILj256ELj13ELNS0_17block_load_methodE3ELS4_3ELS4_3ELNS0_20block_scan_algorithmE0ELj4294967295EEENS1_25partition_config_selectorILNS1_17partition_subalgoE4EjNS0_10empty_typeEbEEZZNS1_14partition_implILS8_4ELb0ES6_15HIP_vector_typeIjLj2EENS0_17counting_iteratorIjlEEPS9_SG_NS0_5tupleIJPjSI_NS0_16reverse_iteratorISI_EEEEENSH_IJSG_SG_SG_EEES9_SI_JZNS1_25segmented_radix_sort_implINS0_14default_configELb0EPKdPdPKlPlN2at6native12_GLOBAL__N_18offset_tEEE10hipError_tPvRmT1_PNSt15iterator_traitsIS12_E10value_typeET2_T3_PNS13_IS18_E10value_typeET4_jRbjT5_S1E_jjP12ihipStream_tbEUljE_ZNSN_ISO_Lb0ESQ_SR_ST_SU_SY_EESZ_S10_S11_S12_S16_S17_S18_S1B_S1C_jS1D_jS1E_S1E_jjS1G_bEUljE0_EEESZ_S10_S11_S18_S1C_S1E_T6_T7_T9_mT8_S1G_bDpT10_ENKUlT_T0_E_clISt17integral_constantIbLb0EES1T_IbLb1EEEEDaS1P_S1Q_EUlS1P_E_NS1_11comp_targetILNS1_3genE8ELNS1_11target_archE1030ELNS1_3gpuE2ELNS1_3repE0EEENS1_30default_config_static_selectorELNS0_4arch9wavefront6targetE0EEEvS12_
    .private_segment_fixed_size: 0
    .sgpr_count:     57
    .sgpr_spill_count: 0
    .symbol:         _ZN7rocprim17ROCPRIM_400000_NS6detail17trampoline_kernelINS0_13select_configILj256ELj13ELNS0_17block_load_methodE3ELS4_3ELS4_3ELNS0_20block_scan_algorithmE0ELj4294967295EEENS1_25partition_config_selectorILNS1_17partition_subalgoE4EjNS0_10empty_typeEbEEZZNS1_14partition_implILS8_4ELb0ES6_15HIP_vector_typeIjLj2EENS0_17counting_iteratorIjlEEPS9_SG_NS0_5tupleIJPjSI_NS0_16reverse_iteratorISI_EEEEENSH_IJSG_SG_SG_EEES9_SI_JZNS1_25segmented_radix_sort_implINS0_14default_configELb0EPKdPdPKlPlN2at6native12_GLOBAL__N_18offset_tEEE10hipError_tPvRmT1_PNSt15iterator_traitsIS12_E10value_typeET2_T3_PNS13_IS18_E10value_typeET4_jRbjT5_S1E_jjP12ihipStream_tbEUljE_ZNSN_ISO_Lb0ESQ_SR_ST_SU_SY_EESZ_S10_S11_S12_S16_S17_S18_S1B_S1C_jS1D_jS1E_S1E_jjS1G_bEUljE0_EEESZ_S10_S11_S18_S1C_S1E_T6_T7_T9_mT8_S1G_bDpT10_ENKUlT_T0_E_clISt17integral_constantIbLb0EES1T_IbLb1EEEEDaS1P_S1Q_EUlS1P_E_NS1_11comp_targetILNS1_3genE8ELNS1_11target_archE1030ELNS1_3gpuE2ELNS1_3repE0EEENS1_30default_config_static_selectorELNS0_4arch9wavefront6targetE0EEEvS12_.kd
    .uniform_work_group_size: 1
    .uses_dynamic_stack: false
    .vgpr_count:     87
    .vgpr_spill_count: 0
    .wavefront_size: 32
    .workgroup_processor_mode: 1
  - .args:
      - .offset:         0
        .size:           144
        .value_kind:     by_value
    .group_segment_fixed_size: 0
    .kernarg_segment_align: 8
    .kernarg_segment_size: 144
    .language:       OpenCL C
    .language_version:
      - 2
      - 0
    .max_flat_workgroup_size: 256
    .name:           _ZN7rocprim17ROCPRIM_400000_NS6detail17trampoline_kernelINS0_13select_configILj256ELj13ELNS0_17block_load_methodE3ELS4_3ELS4_3ELNS0_20block_scan_algorithmE0ELj4294967295EEENS1_25partition_config_selectorILNS1_17partition_subalgoE3EjNS0_10empty_typeEbEEZZNS1_14partition_implILS8_3ELb0ES6_jNS0_17counting_iteratorIjlEEPS9_SE_NS0_5tupleIJPjSE_EEENSF_IJSE_SE_EEES9_SG_JZNS1_25segmented_radix_sort_implINS0_14default_configELb0EPKdPdPKlPlN2at6native12_GLOBAL__N_18offset_tEEE10hipError_tPvRmT1_PNSt15iterator_traitsISY_E10value_typeET2_T3_PNSZ_IS14_E10value_typeET4_jRbjT5_S1A_jjP12ihipStream_tbEUljE_EEESV_SW_SX_S14_S18_S1A_T6_T7_T9_mT8_S1C_bDpT10_ENKUlT_T0_E_clISt17integral_constantIbLb0EES1P_EEDaS1K_S1L_EUlS1K_E_NS1_11comp_targetILNS1_3genE0ELNS1_11target_archE4294967295ELNS1_3gpuE0ELNS1_3repE0EEENS1_30default_config_static_selectorELNS0_4arch9wavefront6targetE0EEEvSY_
    .private_segment_fixed_size: 0
    .sgpr_count:     0
    .sgpr_spill_count: 0
    .symbol:         _ZN7rocprim17ROCPRIM_400000_NS6detail17trampoline_kernelINS0_13select_configILj256ELj13ELNS0_17block_load_methodE3ELS4_3ELS4_3ELNS0_20block_scan_algorithmE0ELj4294967295EEENS1_25partition_config_selectorILNS1_17partition_subalgoE3EjNS0_10empty_typeEbEEZZNS1_14partition_implILS8_3ELb0ES6_jNS0_17counting_iteratorIjlEEPS9_SE_NS0_5tupleIJPjSE_EEENSF_IJSE_SE_EEES9_SG_JZNS1_25segmented_radix_sort_implINS0_14default_configELb0EPKdPdPKlPlN2at6native12_GLOBAL__N_18offset_tEEE10hipError_tPvRmT1_PNSt15iterator_traitsISY_E10value_typeET2_T3_PNSZ_IS14_E10value_typeET4_jRbjT5_S1A_jjP12ihipStream_tbEUljE_EEESV_SW_SX_S14_S18_S1A_T6_T7_T9_mT8_S1C_bDpT10_ENKUlT_T0_E_clISt17integral_constantIbLb0EES1P_EEDaS1K_S1L_EUlS1K_E_NS1_11comp_targetILNS1_3genE0ELNS1_11target_archE4294967295ELNS1_3gpuE0ELNS1_3repE0EEENS1_30default_config_static_selectorELNS0_4arch9wavefront6targetE0EEEvSY_.kd
    .uniform_work_group_size: 1
    .uses_dynamic_stack: false
    .vgpr_count:     0
    .vgpr_spill_count: 0
    .wavefront_size: 32
    .workgroup_processor_mode: 1
  - .args:
      - .offset:         0
        .size:           144
        .value_kind:     by_value
    .group_segment_fixed_size: 0
    .kernarg_segment_align: 8
    .kernarg_segment_size: 144
    .language:       OpenCL C
    .language_version:
      - 2
      - 0
    .max_flat_workgroup_size: 256
    .name:           _ZN7rocprim17ROCPRIM_400000_NS6detail17trampoline_kernelINS0_13select_configILj256ELj13ELNS0_17block_load_methodE3ELS4_3ELS4_3ELNS0_20block_scan_algorithmE0ELj4294967295EEENS1_25partition_config_selectorILNS1_17partition_subalgoE3EjNS0_10empty_typeEbEEZZNS1_14partition_implILS8_3ELb0ES6_jNS0_17counting_iteratorIjlEEPS9_SE_NS0_5tupleIJPjSE_EEENSF_IJSE_SE_EEES9_SG_JZNS1_25segmented_radix_sort_implINS0_14default_configELb0EPKdPdPKlPlN2at6native12_GLOBAL__N_18offset_tEEE10hipError_tPvRmT1_PNSt15iterator_traitsISY_E10value_typeET2_T3_PNSZ_IS14_E10value_typeET4_jRbjT5_S1A_jjP12ihipStream_tbEUljE_EEESV_SW_SX_S14_S18_S1A_T6_T7_T9_mT8_S1C_bDpT10_ENKUlT_T0_E_clISt17integral_constantIbLb0EES1P_EEDaS1K_S1L_EUlS1K_E_NS1_11comp_targetILNS1_3genE5ELNS1_11target_archE942ELNS1_3gpuE9ELNS1_3repE0EEENS1_30default_config_static_selectorELNS0_4arch9wavefront6targetE0EEEvSY_
    .private_segment_fixed_size: 0
    .sgpr_count:     0
    .sgpr_spill_count: 0
    .symbol:         _ZN7rocprim17ROCPRIM_400000_NS6detail17trampoline_kernelINS0_13select_configILj256ELj13ELNS0_17block_load_methodE3ELS4_3ELS4_3ELNS0_20block_scan_algorithmE0ELj4294967295EEENS1_25partition_config_selectorILNS1_17partition_subalgoE3EjNS0_10empty_typeEbEEZZNS1_14partition_implILS8_3ELb0ES6_jNS0_17counting_iteratorIjlEEPS9_SE_NS0_5tupleIJPjSE_EEENSF_IJSE_SE_EEES9_SG_JZNS1_25segmented_radix_sort_implINS0_14default_configELb0EPKdPdPKlPlN2at6native12_GLOBAL__N_18offset_tEEE10hipError_tPvRmT1_PNSt15iterator_traitsISY_E10value_typeET2_T3_PNSZ_IS14_E10value_typeET4_jRbjT5_S1A_jjP12ihipStream_tbEUljE_EEESV_SW_SX_S14_S18_S1A_T6_T7_T9_mT8_S1C_bDpT10_ENKUlT_T0_E_clISt17integral_constantIbLb0EES1P_EEDaS1K_S1L_EUlS1K_E_NS1_11comp_targetILNS1_3genE5ELNS1_11target_archE942ELNS1_3gpuE9ELNS1_3repE0EEENS1_30default_config_static_selectorELNS0_4arch9wavefront6targetE0EEEvSY_.kd
    .uniform_work_group_size: 1
    .uses_dynamic_stack: false
    .vgpr_count:     0
    .vgpr_spill_count: 0
    .wavefront_size: 32
    .workgroup_processor_mode: 1
  - .args:
      - .offset:         0
        .size:           144
        .value_kind:     by_value
    .group_segment_fixed_size: 0
    .kernarg_segment_align: 8
    .kernarg_segment_size: 144
    .language:       OpenCL C
    .language_version:
      - 2
      - 0
    .max_flat_workgroup_size: 256
    .name:           _ZN7rocprim17ROCPRIM_400000_NS6detail17trampoline_kernelINS0_13select_configILj256ELj13ELNS0_17block_load_methodE3ELS4_3ELS4_3ELNS0_20block_scan_algorithmE0ELj4294967295EEENS1_25partition_config_selectorILNS1_17partition_subalgoE3EjNS0_10empty_typeEbEEZZNS1_14partition_implILS8_3ELb0ES6_jNS0_17counting_iteratorIjlEEPS9_SE_NS0_5tupleIJPjSE_EEENSF_IJSE_SE_EEES9_SG_JZNS1_25segmented_radix_sort_implINS0_14default_configELb0EPKdPdPKlPlN2at6native12_GLOBAL__N_18offset_tEEE10hipError_tPvRmT1_PNSt15iterator_traitsISY_E10value_typeET2_T3_PNSZ_IS14_E10value_typeET4_jRbjT5_S1A_jjP12ihipStream_tbEUljE_EEESV_SW_SX_S14_S18_S1A_T6_T7_T9_mT8_S1C_bDpT10_ENKUlT_T0_E_clISt17integral_constantIbLb0EES1P_EEDaS1K_S1L_EUlS1K_E_NS1_11comp_targetILNS1_3genE4ELNS1_11target_archE910ELNS1_3gpuE8ELNS1_3repE0EEENS1_30default_config_static_selectorELNS0_4arch9wavefront6targetE0EEEvSY_
    .private_segment_fixed_size: 0
    .sgpr_count:     0
    .sgpr_spill_count: 0
    .symbol:         _ZN7rocprim17ROCPRIM_400000_NS6detail17trampoline_kernelINS0_13select_configILj256ELj13ELNS0_17block_load_methodE3ELS4_3ELS4_3ELNS0_20block_scan_algorithmE0ELj4294967295EEENS1_25partition_config_selectorILNS1_17partition_subalgoE3EjNS0_10empty_typeEbEEZZNS1_14partition_implILS8_3ELb0ES6_jNS0_17counting_iteratorIjlEEPS9_SE_NS0_5tupleIJPjSE_EEENSF_IJSE_SE_EEES9_SG_JZNS1_25segmented_radix_sort_implINS0_14default_configELb0EPKdPdPKlPlN2at6native12_GLOBAL__N_18offset_tEEE10hipError_tPvRmT1_PNSt15iterator_traitsISY_E10value_typeET2_T3_PNSZ_IS14_E10value_typeET4_jRbjT5_S1A_jjP12ihipStream_tbEUljE_EEESV_SW_SX_S14_S18_S1A_T6_T7_T9_mT8_S1C_bDpT10_ENKUlT_T0_E_clISt17integral_constantIbLb0EES1P_EEDaS1K_S1L_EUlS1K_E_NS1_11comp_targetILNS1_3genE4ELNS1_11target_archE910ELNS1_3gpuE8ELNS1_3repE0EEENS1_30default_config_static_selectorELNS0_4arch9wavefront6targetE0EEEvSY_.kd
    .uniform_work_group_size: 1
    .uses_dynamic_stack: false
    .vgpr_count:     0
    .vgpr_spill_count: 0
    .wavefront_size: 32
    .workgroup_processor_mode: 1
  - .args:
      - .offset:         0
        .size:           144
        .value_kind:     by_value
    .group_segment_fixed_size: 0
    .kernarg_segment_align: 8
    .kernarg_segment_size: 144
    .language:       OpenCL C
    .language_version:
      - 2
      - 0
    .max_flat_workgroup_size: 256
    .name:           _ZN7rocprim17ROCPRIM_400000_NS6detail17trampoline_kernelINS0_13select_configILj256ELj13ELNS0_17block_load_methodE3ELS4_3ELS4_3ELNS0_20block_scan_algorithmE0ELj4294967295EEENS1_25partition_config_selectorILNS1_17partition_subalgoE3EjNS0_10empty_typeEbEEZZNS1_14partition_implILS8_3ELb0ES6_jNS0_17counting_iteratorIjlEEPS9_SE_NS0_5tupleIJPjSE_EEENSF_IJSE_SE_EEES9_SG_JZNS1_25segmented_radix_sort_implINS0_14default_configELb0EPKdPdPKlPlN2at6native12_GLOBAL__N_18offset_tEEE10hipError_tPvRmT1_PNSt15iterator_traitsISY_E10value_typeET2_T3_PNSZ_IS14_E10value_typeET4_jRbjT5_S1A_jjP12ihipStream_tbEUljE_EEESV_SW_SX_S14_S18_S1A_T6_T7_T9_mT8_S1C_bDpT10_ENKUlT_T0_E_clISt17integral_constantIbLb0EES1P_EEDaS1K_S1L_EUlS1K_E_NS1_11comp_targetILNS1_3genE3ELNS1_11target_archE908ELNS1_3gpuE7ELNS1_3repE0EEENS1_30default_config_static_selectorELNS0_4arch9wavefront6targetE0EEEvSY_
    .private_segment_fixed_size: 0
    .sgpr_count:     0
    .sgpr_spill_count: 0
    .symbol:         _ZN7rocprim17ROCPRIM_400000_NS6detail17trampoline_kernelINS0_13select_configILj256ELj13ELNS0_17block_load_methodE3ELS4_3ELS4_3ELNS0_20block_scan_algorithmE0ELj4294967295EEENS1_25partition_config_selectorILNS1_17partition_subalgoE3EjNS0_10empty_typeEbEEZZNS1_14partition_implILS8_3ELb0ES6_jNS0_17counting_iteratorIjlEEPS9_SE_NS0_5tupleIJPjSE_EEENSF_IJSE_SE_EEES9_SG_JZNS1_25segmented_radix_sort_implINS0_14default_configELb0EPKdPdPKlPlN2at6native12_GLOBAL__N_18offset_tEEE10hipError_tPvRmT1_PNSt15iterator_traitsISY_E10value_typeET2_T3_PNSZ_IS14_E10value_typeET4_jRbjT5_S1A_jjP12ihipStream_tbEUljE_EEESV_SW_SX_S14_S18_S1A_T6_T7_T9_mT8_S1C_bDpT10_ENKUlT_T0_E_clISt17integral_constantIbLb0EES1P_EEDaS1K_S1L_EUlS1K_E_NS1_11comp_targetILNS1_3genE3ELNS1_11target_archE908ELNS1_3gpuE7ELNS1_3repE0EEENS1_30default_config_static_selectorELNS0_4arch9wavefront6targetE0EEEvSY_.kd
    .uniform_work_group_size: 1
    .uses_dynamic_stack: false
    .vgpr_count:     0
    .vgpr_spill_count: 0
    .wavefront_size: 32
    .workgroup_processor_mode: 1
  - .args:
      - .offset:         0
        .size:           144
        .value_kind:     by_value
    .group_segment_fixed_size: 0
    .kernarg_segment_align: 8
    .kernarg_segment_size: 144
    .language:       OpenCL C
    .language_version:
      - 2
      - 0
    .max_flat_workgroup_size: 256
    .name:           _ZN7rocprim17ROCPRIM_400000_NS6detail17trampoline_kernelINS0_13select_configILj256ELj13ELNS0_17block_load_methodE3ELS4_3ELS4_3ELNS0_20block_scan_algorithmE0ELj4294967295EEENS1_25partition_config_selectorILNS1_17partition_subalgoE3EjNS0_10empty_typeEbEEZZNS1_14partition_implILS8_3ELb0ES6_jNS0_17counting_iteratorIjlEEPS9_SE_NS0_5tupleIJPjSE_EEENSF_IJSE_SE_EEES9_SG_JZNS1_25segmented_radix_sort_implINS0_14default_configELb0EPKdPdPKlPlN2at6native12_GLOBAL__N_18offset_tEEE10hipError_tPvRmT1_PNSt15iterator_traitsISY_E10value_typeET2_T3_PNSZ_IS14_E10value_typeET4_jRbjT5_S1A_jjP12ihipStream_tbEUljE_EEESV_SW_SX_S14_S18_S1A_T6_T7_T9_mT8_S1C_bDpT10_ENKUlT_T0_E_clISt17integral_constantIbLb0EES1P_EEDaS1K_S1L_EUlS1K_E_NS1_11comp_targetILNS1_3genE2ELNS1_11target_archE906ELNS1_3gpuE6ELNS1_3repE0EEENS1_30default_config_static_selectorELNS0_4arch9wavefront6targetE0EEEvSY_
    .private_segment_fixed_size: 0
    .sgpr_count:     0
    .sgpr_spill_count: 0
    .symbol:         _ZN7rocprim17ROCPRIM_400000_NS6detail17trampoline_kernelINS0_13select_configILj256ELj13ELNS0_17block_load_methodE3ELS4_3ELS4_3ELNS0_20block_scan_algorithmE0ELj4294967295EEENS1_25partition_config_selectorILNS1_17partition_subalgoE3EjNS0_10empty_typeEbEEZZNS1_14partition_implILS8_3ELb0ES6_jNS0_17counting_iteratorIjlEEPS9_SE_NS0_5tupleIJPjSE_EEENSF_IJSE_SE_EEES9_SG_JZNS1_25segmented_radix_sort_implINS0_14default_configELb0EPKdPdPKlPlN2at6native12_GLOBAL__N_18offset_tEEE10hipError_tPvRmT1_PNSt15iterator_traitsISY_E10value_typeET2_T3_PNSZ_IS14_E10value_typeET4_jRbjT5_S1A_jjP12ihipStream_tbEUljE_EEESV_SW_SX_S14_S18_S1A_T6_T7_T9_mT8_S1C_bDpT10_ENKUlT_T0_E_clISt17integral_constantIbLb0EES1P_EEDaS1K_S1L_EUlS1K_E_NS1_11comp_targetILNS1_3genE2ELNS1_11target_archE906ELNS1_3gpuE6ELNS1_3repE0EEENS1_30default_config_static_selectorELNS0_4arch9wavefront6targetE0EEEvSY_.kd
    .uniform_work_group_size: 1
    .uses_dynamic_stack: false
    .vgpr_count:     0
    .vgpr_spill_count: 0
    .wavefront_size: 32
    .workgroup_processor_mode: 1
  - .args:
      - .offset:         0
        .size:           144
        .value_kind:     by_value
    .group_segment_fixed_size: 0
    .kernarg_segment_align: 8
    .kernarg_segment_size: 144
    .language:       OpenCL C
    .language_version:
      - 2
      - 0
    .max_flat_workgroup_size: 256
    .name:           _ZN7rocprim17ROCPRIM_400000_NS6detail17trampoline_kernelINS0_13select_configILj256ELj13ELNS0_17block_load_methodE3ELS4_3ELS4_3ELNS0_20block_scan_algorithmE0ELj4294967295EEENS1_25partition_config_selectorILNS1_17partition_subalgoE3EjNS0_10empty_typeEbEEZZNS1_14partition_implILS8_3ELb0ES6_jNS0_17counting_iteratorIjlEEPS9_SE_NS0_5tupleIJPjSE_EEENSF_IJSE_SE_EEES9_SG_JZNS1_25segmented_radix_sort_implINS0_14default_configELb0EPKdPdPKlPlN2at6native12_GLOBAL__N_18offset_tEEE10hipError_tPvRmT1_PNSt15iterator_traitsISY_E10value_typeET2_T3_PNSZ_IS14_E10value_typeET4_jRbjT5_S1A_jjP12ihipStream_tbEUljE_EEESV_SW_SX_S14_S18_S1A_T6_T7_T9_mT8_S1C_bDpT10_ENKUlT_T0_E_clISt17integral_constantIbLb0EES1P_EEDaS1K_S1L_EUlS1K_E_NS1_11comp_targetILNS1_3genE10ELNS1_11target_archE1200ELNS1_3gpuE4ELNS1_3repE0EEENS1_30default_config_static_selectorELNS0_4arch9wavefront6targetE0EEEvSY_
    .private_segment_fixed_size: 0
    .sgpr_count:     0
    .sgpr_spill_count: 0
    .symbol:         _ZN7rocprim17ROCPRIM_400000_NS6detail17trampoline_kernelINS0_13select_configILj256ELj13ELNS0_17block_load_methodE3ELS4_3ELS4_3ELNS0_20block_scan_algorithmE0ELj4294967295EEENS1_25partition_config_selectorILNS1_17partition_subalgoE3EjNS0_10empty_typeEbEEZZNS1_14partition_implILS8_3ELb0ES6_jNS0_17counting_iteratorIjlEEPS9_SE_NS0_5tupleIJPjSE_EEENSF_IJSE_SE_EEES9_SG_JZNS1_25segmented_radix_sort_implINS0_14default_configELb0EPKdPdPKlPlN2at6native12_GLOBAL__N_18offset_tEEE10hipError_tPvRmT1_PNSt15iterator_traitsISY_E10value_typeET2_T3_PNSZ_IS14_E10value_typeET4_jRbjT5_S1A_jjP12ihipStream_tbEUljE_EEESV_SW_SX_S14_S18_S1A_T6_T7_T9_mT8_S1C_bDpT10_ENKUlT_T0_E_clISt17integral_constantIbLb0EES1P_EEDaS1K_S1L_EUlS1K_E_NS1_11comp_targetILNS1_3genE10ELNS1_11target_archE1200ELNS1_3gpuE4ELNS1_3repE0EEENS1_30default_config_static_selectorELNS0_4arch9wavefront6targetE0EEEvSY_.kd
    .uniform_work_group_size: 1
    .uses_dynamic_stack: false
    .vgpr_count:     0
    .vgpr_spill_count: 0
    .wavefront_size: 32
    .workgroup_processor_mode: 1
  - .args:
      - .offset:         0
        .size:           144
        .value_kind:     by_value
    .group_segment_fixed_size: 0
    .kernarg_segment_align: 8
    .kernarg_segment_size: 144
    .language:       OpenCL C
    .language_version:
      - 2
      - 0
    .max_flat_workgroup_size: 256
    .name:           _ZN7rocprim17ROCPRIM_400000_NS6detail17trampoline_kernelINS0_13select_configILj256ELj13ELNS0_17block_load_methodE3ELS4_3ELS4_3ELNS0_20block_scan_algorithmE0ELj4294967295EEENS1_25partition_config_selectorILNS1_17partition_subalgoE3EjNS0_10empty_typeEbEEZZNS1_14partition_implILS8_3ELb0ES6_jNS0_17counting_iteratorIjlEEPS9_SE_NS0_5tupleIJPjSE_EEENSF_IJSE_SE_EEES9_SG_JZNS1_25segmented_radix_sort_implINS0_14default_configELb0EPKdPdPKlPlN2at6native12_GLOBAL__N_18offset_tEEE10hipError_tPvRmT1_PNSt15iterator_traitsISY_E10value_typeET2_T3_PNSZ_IS14_E10value_typeET4_jRbjT5_S1A_jjP12ihipStream_tbEUljE_EEESV_SW_SX_S14_S18_S1A_T6_T7_T9_mT8_S1C_bDpT10_ENKUlT_T0_E_clISt17integral_constantIbLb0EES1P_EEDaS1K_S1L_EUlS1K_E_NS1_11comp_targetILNS1_3genE9ELNS1_11target_archE1100ELNS1_3gpuE3ELNS1_3repE0EEENS1_30default_config_static_selectorELNS0_4arch9wavefront6targetE0EEEvSY_
    .private_segment_fixed_size: 0
    .sgpr_count:     0
    .sgpr_spill_count: 0
    .symbol:         _ZN7rocprim17ROCPRIM_400000_NS6detail17trampoline_kernelINS0_13select_configILj256ELj13ELNS0_17block_load_methodE3ELS4_3ELS4_3ELNS0_20block_scan_algorithmE0ELj4294967295EEENS1_25partition_config_selectorILNS1_17partition_subalgoE3EjNS0_10empty_typeEbEEZZNS1_14partition_implILS8_3ELb0ES6_jNS0_17counting_iteratorIjlEEPS9_SE_NS0_5tupleIJPjSE_EEENSF_IJSE_SE_EEES9_SG_JZNS1_25segmented_radix_sort_implINS0_14default_configELb0EPKdPdPKlPlN2at6native12_GLOBAL__N_18offset_tEEE10hipError_tPvRmT1_PNSt15iterator_traitsISY_E10value_typeET2_T3_PNSZ_IS14_E10value_typeET4_jRbjT5_S1A_jjP12ihipStream_tbEUljE_EEESV_SW_SX_S14_S18_S1A_T6_T7_T9_mT8_S1C_bDpT10_ENKUlT_T0_E_clISt17integral_constantIbLb0EES1P_EEDaS1K_S1L_EUlS1K_E_NS1_11comp_targetILNS1_3genE9ELNS1_11target_archE1100ELNS1_3gpuE3ELNS1_3repE0EEENS1_30default_config_static_selectorELNS0_4arch9wavefront6targetE0EEEvSY_.kd
    .uniform_work_group_size: 1
    .uses_dynamic_stack: false
    .vgpr_count:     0
    .vgpr_spill_count: 0
    .wavefront_size: 32
    .workgroup_processor_mode: 1
  - .args:
      - .offset:         0
        .size:           144
        .value_kind:     by_value
    .group_segment_fixed_size: 13320
    .kernarg_segment_align: 8
    .kernarg_segment_size: 144
    .language:       OpenCL C
    .language_version:
      - 2
      - 0
    .max_flat_workgroup_size: 256
    .name:           _ZN7rocprim17ROCPRIM_400000_NS6detail17trampoline_kernelINS0_13select_configILj256ELj13ELNS0_17block_load_methodE3ELS4_3ELS4_3ELNS0_20block_scan_algorithmE0ELj4294967295EEENS1_25partition_config_selectorILNS1_17partition_subalgoE3EjNS0_10empty_typeEbEEZZNS1_14partition_implILS8_3ELb0ES6_jNS0_17counting_iteratorIjlEEPS9_SE_NS0_5tupleIJPjSE_EEENSF_IJSE_SE_EEES9_SG_JZNS1_25segmented_radix_sort_implINS0_14default_configELb0EPKdPdPKlPlN2at6native12_GLOBAL__N_18offset_tEEE10hipError_tPvRmT1_PNSt15iterator_traitsISY_E10value_typeET2_T3_PNSZ_IS14_E10value_typeET4_jRbjT5_S1A_jjP12ihipStream_tbEUljE_EEESV_SW_SX_S14_S18_S1A_T6_T7_T9_mT8_S1C_bDpT10_ENKUlT_T0_E_clISt17integral_constantIbLb0EES1P_EEDaS1K_S1L_EUlS1K_E_NS1_11comp_targetILNS1_3genE8ELNS1_11target_archE1030ELNS1_3gpuE2ELNS1_3repE0EEENS1_30default_config_static_selectorELNS0_4arch9wavefront6targetE0EEEvSY_
    .private_segment_fixed_size: 0
    .sgpr_count:     29
    .sgpr_spill_count: 0
    .symbol:         _ZN7rocprim17ROCPRIM_400000_NS6detail17trampoline_kernelINS0_13select_configILj256ELj13ELNS0_17block_load_methodE3ELS4_3ELS4_3ELNS0_20block_scan_algorithmE0ELj4294967295EEENS1_25partition_config_selectorILNS1_17partition_subalgoE3EjNS0_10empty_typeEbEEZZNS1_14partition_implILS8_3ELb0ES6_jNS0_17counting_iteratorIjlEEPS9_SE_NS0_5tupleIJPjSE_EEENSF_IJSE_SE_EEES9_SG_JZNS1_25segmented_radix_sort_implINS0_14default_configELb0EPKdPdPKlPlN2at6native12_GLOBAL__N_18offset_tEEE10hipError_tPvRmT1_PNSt15iterator_traitsISY_E10value_typeET2_T3_PNSZ_IS14_E10value_typeET4_jRbjT5_S1A_jjP12ihipStream_tbEUljE_EEESV_SW_SX_S14_S18_S1A_T6_T7_T9_mT8_S1C_bDpT10_ENKUlT_T0_E_clISt17integral_constantIbLb0EES1P_EEDaS1K_S1L_EUlS1K_E_NS1_11comp_targetILNS1_3genE8ELNS1_11target_archE1030ELNS1_3gpuE2ELNS1_3repE0EEENS1_30default_config_static_selectorELNS0_4arch9wavefront6targetE0EEEvSY_.kd
    .uniform_work_group_size: 1
    .uses_dynamic_stack: false
    .vgpr_count:     69
    .vgpr_spill_count: 0
    .wavefront_size: 32
    .workgroup_processor_mode: 1
  - .args:
      - .offset:         0
        .size:           152
        .value_kind:     by_value
    .group_segment_fixed_size: 0
    .kernarg_segment_align: 8
    .kernarg_segment_size: 152
    .language:       OpenCL C
    .language_version:
      - 2
      - 0
    .max_flat_workgroup_size: 256
    .name:           _ZN7rocprim17ROCPRIM_400000_NS6detail17trampoline_kernelINS0_13select_configILj256ELj13ELNS0_17block_load_methodE3ELS4_3ELS4_3ELNS0_20block_scan_algorithmE0ELj4294967295EEENS1_25partition_config_selectorILNS1_17partition_subalgoE3EjNS0_10empty_typeEbEEZZNS1_14partition_implILS8_3ELb0ES6_jNS0_17counting_iteratorIjlEEPS9_SE_NS0_5tupleIJPjSE_EEENSF_IJSE_SE_EEES9_SG_JZNS1_25segmented_radix_sort_implINS0_14default_configELb0EPKdPdPKlPlN2at6native12_GLOBAL__N_18offset_tEEE10hipError_tPvRmT1_PNSt15iterator_traitsISY_E10value_typeET2_T3_PNSZ_IS14_E10value_typeET4_jRbjT5_S1A_jjP12ihipStream_tbEUljE_EEESV_SW_SX_S14_S18_S1A_T6_T7_T9_mT8_S1C_bDpT10_ENKUlT_T0_E_clISt17integral_constantIbLb1EES1P_EEDaS1K_S1L_EUlS1K_E_NS1_11comp_targetILNS1_3genE0ELNS1_11target_archE4294967295ELNS1_3gpuE0ELNS1_3repE0EEENS1_30default_config_static_selectorELNS0_4arch9wavefront6targetE0EEEvSY_
    .private_segment_fixed_size: 0
    .sgpr_count:     0
    .sgpr_spill_count: 0
    .symbol:         _ZN7rocprim17ROCPRIM_400000_NS6detail17trampoline_kernelINS0_13select_configILj256ELj13ELNS0_17block_load_methodE3ELS4_3ELS4_3ELNS0_20block_scan_algorithmE0ELj4294967295EEENS1_25partition_config_selectorILNS1_17partition_subalgoE3EjNS0_10empty_typeEbEEZZNS1_14partition_implILS8_3ELb0ES6_jNS0_17counting_iteratorIjlEEPS9_SE_NS0_5tupleIJPjSE_EEENSF_IJSE_SE_EEES9_SG_JZNS1_25segmented_radix_sort_implINS0_14default_configELb0EPKdPdPKlPlN2at6native12_GLOBAL__N_18offset_tEEE10hipError_tPvRmT1_PNSt15iterator_traitsISY_E10value_typeET2_T3_PNSZ_IS14_E10value_typeET4_jRbjT5_S1A_jjP12ihipStream_tbEUljE_EEESV_SW_SX_S14_S18_S1A_T6_T7_T9_mT8_S1C_bDpT10_ENKUlT_T0_E_clISt17integral_constantIbLb1EES1P_EEDaS1K_S1L_EUlS1K_E_NS1_11comp_targetILNS1_3genE0ELNS1_11target_archE4294967295ELNS1_3gpuE0ELNS1_3repE0EEENS1_30default_config_static_selectorELNS0_4arch9wavefront6targetE0EEEvSY_.kd
    .uniform_work_group_size: 1
    .uses_dynamic_stack: false
    .vgpr_count:     0
    .vgpr_spill_count: 0
    .wavefront_size: 32
    .workgroup_processor_mode: 1
  - .args:
      - .offset:         0
        .size:           152
        .value_kind:     by_value
    .group_segment_fixed_size: 0
    .kernarg_segment_align: 8
    .kernarg_segment_size: 152
    .language:       OpenCL C
    .language_version:
      - 2
      - 0
    .max_flat_workgroup_size: 256
    .name:           _ZN7rocprim17ROCPRIM_400000_NS6detail17trampoline_kernelINS0_13select_configILj256ELj13ELNS0_17block_load_methodE3ELS4_3ELS4_3ELNS0_20block_scan_algorithmE0ELj4294967295EEENS1_25partition_config_selectorILNS1_17partition_subalgoE3EjNS0_10empty_typeEbEEZZNS1_14partition_implILS8_3ELb0ES6_jNS0_17counting_iteratorIjlEEPS9_SE_NS0_5tupleIJPjSE_EEENSF_IJSE_SE_EEES9_SG_JZNS1_25segmented_radix_sort_implINS0_14default_configELb0EPKdPdPKlPlN2at6native12_GLOBAL__N_18offset_tEEE10hipError_tPvRmT1_PNSt15iterator_traitsISY_E10value_typeET2_T3_PNSZ_IS14_E10value_typeET4_jRbjT5_S1A_jjP12ihipStream_tbEUljE_EEESV_SW_SX_S14_S18_S1A_T6_T7_T9_mT8_S1C_bDpT10_ENKUlT_T0_E_clISt17integral_constantIbLb1EES1P_EEDaS1K_S1L_EUlS1K_E_NS1_11comp_targetILNS1_3genE5ELNS1_11target_archE942ELNS1_3gpuE9ELNS1_3repE0EEENS1_30default_config_static_selectorELNS0_4arch9wavefront6targetE0EEEvSY_
    .private_segment_fixed_size: 0
    .sgpr_count:     0
    .sgpr_spill_count: 0
    .symbol:         _ZN7rocprim17ROCPRIM_400000_NS6detail17trampoline_kernelINS0_13select_configILj256ELj13ELNS0_17block_load_methodE3ELS4_3ELS4_3ELNS0_20block_scan_algorithmE0ELj4294967295EEENS1_25partition_config_selectorILNS1_17partition_subalgoE3EjNS0_10empty_typeEbEEZZNS1_14partition_implILS8_3ELb0ES6_jNS0_17counting_iteratorIjlEEPS9_SE_NS0_5tupleIJPjSE_EEENSF_IJSE_SE_EEES9_SG_JZNS1_25segmented_radix_sort_implINS0_14default_configELb0EPKdPdPKlPlN2at6native12_GLOBAL__N_18offset_tEEE10hipError_tPvRmT1_PNSt15iterator_traitsISY_E10value_typeET2_T3_PNSZ_IS14_E10value_typeET4_jRbjT5_S1A_jjP12ihipStream_tbEUljE_EEESV_SW_SX_S14_S18_S1A_T6_T7_T9_mT8_S1C_bDpT10_ENKUlT_T0_E_clISt17integral_constantIbLb1EES1P_EEDaS1K_S1L_EUlS1K_E_NS1_11comp_targetILNS1_3genE5ELNS1_11target_archE942ELNS1_3gpuE9ELNS1_3repE0EEENS1_30default_config_static_selectorELNS0_4arch9wavefront6targetE0EEEvSY_.kd
    .uniform_work_group_size: 1
    .uses_dynamic_stack: false
    .vgpr_count:     0
    .vgpr_spill_count: 0
    .wavefront_size: 32
    .workgroup_processor_mode: 1
  - .args:
      - .offset:         0
        .size:           152
        .value_kind:     by_value
    .group_segment_fixed_size: 0
    .kernarg_segment_align: 8
    .kernarg_segment_size: 152
    .language:       OpenCL C
    .language_version:
      - 2
      - 0
    .max_flat_workgroup_size: 256
    .name:           _ZN7rocprim17ROCPRIM_400000_NS6detail17trampoline_kernelINS0_13select_configILj256ELj13ELNS0_17block_load_methodE3ELS4_3ELS4_3ELNS0_20block_scan_algorithmE0ELj4294967295EEENS1_25partition_config_selectorILNS1_17partition_subalgoE3EjNS0_10empty_typeEbEEZZNS1_14partition_implILS8_3ELb0ES6_jNS0_17counting_iteratorIjlEEPS9_SE_NS0_5tupleIJPjSE_EEENSF_IJSE_SE_EEES9_SG_JZNS1_25segmented_radix_sort_implINS0_14default_configELb0EPKdPdPKlPlN2at6native12_GLOBAL__N_18offset_tEEE10hipError_tPvRmT1_PNSt15iterator_traitsISY_E10value_typeET2_T3_PNSZ_IS14_E10value_typeET4_jRbjT5_S1A_jjP12ihipStream_tbEUljE_EEESV_SW_SX_S14_S18_S1A_T6_T7_T9_mT8_S1C_bDpT10_ENKUlT_T0_E_clISt17integral_constantIbLb1EES1P_EEDaS1K_S1L_EUlS1K_E_NS1_11comp_targetILNS1_3genE4ELNS1_11target_archE910ELNS1_3gpuE8ELNS1_3repE0EEENS1_30default_config_static_selectorELNS0_4arch9wavefront6targetE0EEEvSY_
    .private_segment_fixed_size: 0
    .sgpr_count:     0
    .sgpr_spill_count: 0
    .symbol:         _ZN7rocprim17ROCPRIM_400000_NS6detail17trampoline_kernelINS0_13select_configILj256ELj13ELNS0_17block_load_methodE3ELS4_3ELS4_3ELNS0_20block_scan_algorithmE0ELj4294967295EEENS1_25partition_config_selectorILNS1_17partition_subalgoE3EjNS0_10empty_typeEbEEZZNS1_14partition_implILS8_3ELb0ES6_jNS0_17counting_iteratorIjlEEPS9_SE_NS0_5tupleIJPjSE_EEENSF_IJSE_SE_EEES9_SG_JZNS1_25segmented_radix_sort_implINS0_14default_configELb0EPKdPdPKlPlN2at6native12_GLOBAL__N_18offset_tEEE10hipError_tPvRmT1_PNSt15iterator_traitsISY_E10value_typeET2_T3_PNSZ_IS14_E10value_typeET4_jRbjT5_S1A_jjP12ihipStream_tbEUljE_EEESV_SW_SX_S14_S18_S1A_T6_T7_T9_mT8_S1C_bDpT10_ENKUlT_T0_E_clISt17integral_constantIbLb1EES1P_EEDaS1K_S1L_EUlS1K_E_NS1_11comp_targetILNS1_3genE4ELNS1_11target_archE910ELNS1_3gpuE8ELNS1_3repE0EEENS1_30default_config_static_selectorELNS0_4arch9wavefront6targetE0EEEvSY_.kd
    .uniform_work_group_size: 1
    .uses_dynamic_stack: false
    .vgpr_count:     0
    .vgpr_spill_count: 0
    .wavefront_size: 32
    .workgroup_processor_mode: 1
  - .args:
      - .offset:         0
        .size:           152
        .value_kind:     by_value
    .group_segment_fixed_size: 0
    .kernarg_segment_align: 8
    .kernarg_segment_size: 152
    .language:       OpenCL C
    .language_version:
      - 2
      - 0
    .max_flat_workgroup_size: 256
    .name:           _ZN7rocprim17ROCPRIM_400000_NS6detail17trampoline_kernelINS0_13select_configILj256ELj13ELNS0_17block_load_methodE3ELS4_3ELS4_3ELNS0_20block_scan_algorithmE0ELj4294967295EEENS1_25partition_config_selectorILNS1_17partition_subalgoE3EjNS0_10empty_typeEbEEZZNS1_14partition_implILS8_3ELb0ES6_jNS0_17counting_iteratorIjlEEPS9_SE_NS0_5tupleIJPjSE_EEENSF_IJSE_SE_EEES9_SG_JZNS1_25segmented_radix_sort_implINS0_14default_configELb0EPKdPdPKlPlN2at6native12_GLOBAL__N_18offset_tEEE10hipError_tPvRmT1_PNSt15iterator_traitsISY_E10value_typeET2_T3_PNSZ_IS14_E10value_typeET4_jRbjT5_S1A_jjP12ihipStream_tbEUljE_EEESV_SW_SX_S14_S18_S1A_T6_T7_T9_mT8_S1C_bDpT10_ENKUlT_T0_E_clISt17integral_constantIbLb1EES1P_EEDaS1K_S1L_EUlS1K_E_NS1_11comp_targetILNS1_3genE3ELNS1_11target_archE908ELNS1_3gpuE7ELNS1_3repE0EEENS1_30default_config_static_selectorELNS0_4arch9wavefront6targetE0EEEvSY_
    .private_segment_fixed_size: 0
    .sgpr_count:     0
    .sgpr_spill_count: 0
    .symbol:         _ZN7rocprim17ROCPRIM_400000_NS6detail17trampoline_kernelINS0_13select_configILj256ELj13ELNS0_17block_load_methodE3ELS4_3ELS4_3ELNS0_20block_scan_algorithmE0ELj4294967295EEENS1_25partition_config_selectorILNS1_17partition_subalgoE3EjNS0_10empty_typeEbEEZZNS1_14partition_implILS8_3ELb0ES6_jNS0_17counting_iteratorIjlEEPS9_SE_NS0_5tupleIJPjSE_EEENSF_IJSE_SE_EEES9_SG_JZNS1_25segmented_radix_sort_implINS0_14default_configELb0EPKdPdPKlPlN2at6native12_GLOBAL__N_18offset_tEEE10hipError_tPvRmT1_PNSt15iterator_traitsISY_E10value_typeET2_T3_PNSZ_IS14_E10value_typeET4_jRbjT5_S1A_jjP12ihipStream_tbEUljE_EEESV_SW_SX_S14_S18_S1A_T6_T7_T9_mT8_S1C_bDpT10_ENKUlT_T0_E_clISt17integral_constantIbLb1EES1P_EEDaS1K_S1L_EUlS1K_E_NS1_11comp_targetILNS1_3genE3ELNS1_11target_archE908ELNS1_3gpuE7ELNS1_3repE0EEENS1_30default_config_static_selectorELNS0_4arch9wavefront6targetE0EEEvSY_.kd
    .uniform_work_group_size: 1
    .uses_dynamic_stack: false
    .vgpr_count:     0
    .vgpr_spill_count: 0
    .wavefront_size: 32
    .workgroup_processor_mode: 1
  - .args:
      - .offset:         0
        .size:           152
        .value_kind:     by_value
    .group_segment_fixed_size: 0
    .kernarg_segment_align: 8
    .kernarg_segment_size: 152
    .language:       OpenCL C
    .language_version:
      - 2
      - 0
    .max_flat_workgroup_size: 256
    .name:           _ZN7rocprim17ROCPRIM_400000_NS6detail17trampoline_kernelINS0_13select_configILj256ELj13ELNS0_17block_load_methodE3ELS4_3ELS4_3ELNS0_20block_scan_algorithmE0ELj4294967295EEENS1_25partition_config_selectorILNS1_17partition_subalgoE3EjNS0_10empty_typeEbEEZZNS1_14partition_implILS8_3ELb0ES6_jNS0_17counting_iteratorIjlEEPS9_SE_NS0_5tupleIJPjSE_EEENSF_IJSE_SE_EEES9_SG_JZNS1_25segmented_radix_sort_implINS0_14default_configELb0EPKdPdPKlPlN2at6native12_GLOBAL__N_18offset_tEEE10hipError_tPvRmT1_PNSt15iterator_traitsISY_E10value_typeET2_T3_PNSZ_IS14_E10value_typeET4_jRbjT5_S1A_jjP12ihipStream_tbEUljE_EEESV_SW_SX_S14_S18_S1A_T6_T7_T9_mT8_S1C_bDpT10_ENKUlT_T0_E_clISt17integral_constantIbLb1EES1P_EEDaS1K_S1L_EUlS1K_E_NS1_11comp_targetILNS1_3genE2ELNS1_11target_archE906ELNS1_3gpuE6ELNS1_3repE0EEENS1_30default_config_static_selectorELNS0_4arch9wavefront6targetE0EEEvSY_
    .private_segment_fixed_size: 0
    .sgpr_count:     0
    .sgpr_spill_count: 0
    .symbol:         _ZN7rocprim17ROCPRIM_400000_NS6detail17trampoline_kernelINS0_13select_configILj256ELj13ELNS0_17block_load_methodE3ELS4_3ELS4_3ELNS0_20block_scan_algorithmE0ELj4294967295EEENS1_25partition_config_selectorILNS1_17partition_subalgoE3EjNS0_10empty_typeEbEEZZNS1_14partition_implILS8_3ELb0ES6_jNS0_17counting_iteratorIjlEEPS9_SE_NS0_5tupleIJPjSE_EEENSF_IJSE_SE_EEES9_SG_JZNS1_25segmented_radix_sort_implINS0_14default_configELb0EPKdPdPKlPlN2at6native12_GLOBAL__N_18offset_tEEE10hipError_tPvRmT1_PNSt15iterator_traitsISY_E10value_typeET2_T3_PNSZ_IS14_E10value_typeET4_jRbjT5_S1A_jjP12ihipStream_tbEUljE_EEESV_SW_SX_S14_S18_S1A_T6_T7_T9_mT8_S1C_bDpT10_ENKUlT_T0_E_clISt17integral_constantIbLb1EES1P_EEDaS1K_S1L_EUlS1K_E_NS1_11comp_targetILNS1_3genE2ELNS1_11target_archE906ELNS1_3gpuE6ELNS1_3repE0EEENS1_30default_config_static_selectorELNS0_4arch9wavefront6targetE0EEEvSY_.kd
    .uniform_work_group_size: 1
    .uses_dynamic_stack: false
    .vgpr_count:     0
    .vgpr_spill_count: 0
    .wavefront_size: 32
    .workgroup_processor_mode: 1
  - .args:
      - .offset:         0
        .size:           152
        .value_kind:     by_value
    .group_segment_fixed_size: 0
    .kernarg_segment_align: 8
    .kernarg_segment_size: 152
    .language:       OpenCL C
    .language_version:
      - 2
      - 0
    .max_flat_workgroup_size: 256
    .name:           _ZN7rocprim17ROCPRIM_400000_NS6detail17trampoline_kernelINS0_13select_configILj256ELj13ELNS0_17block_load_methodE3ELS4_3ELS4_3ELNS0_20block_scan_algorithmE0ELj4294967295EEENS1_25partition_config_selectorILNS1_17partition_subalgoE3EjNS0_10empty_typeEbEEZZNS1_14partition_implILS8_3ELb0ES6_jNS0_17counting_iteratorIjlEEPS9_SE_NS0_5tupleIJPjSE_EEENSF_IJSE_SE_EEES9_SG_JZNS1_25segmented_radix_sort_implINS0_14default_configELb0EPKdPdPKlPlN2at6native12_GLOBAL__N_18offset_tEEE10hipError_tPvRmT1_PNSt15iterator_traitsISY_E10value_typeET2_T3_PNSZ_IS14_E10value_typeET4_jRbjT5_S1A_jjP12ihipStream_tbEUljE_EEESV_SW_SX_S14_S18_S1A_T6_T7_T9_mT8_S1C_bDpT10_ENKUlT_T0_E_clISt17integral_constantIbLb1EES1P_EEDaS1K_S1L_EUlS1K_E_NS1_11comp_targetILNS1_3genE10ELNS1_11target_archE1200ELNS1_3gpuE4ELNS1_3repE0EEENS1_30default_config_static_selectorELNS0_4arch9wavefront6targetE0EEEvSY_
    .private_segment_fixed_size: 0
    .sgpr_count:     0
    .sgpr_spill_count: 0
    .symbol:         _ZN7rocprim17ROCPRIM_400000_NS6detail17trampoline_kernelINS0_13select_configILj256ELj13ELNS0_17block_load_methodE3ELS4_3ELS4_3ELNS0_20block_scan_algorithmE0ELj4294967295EEENS1_25partition_config_selectorILNS1_17partition_subalgoE3EjNS0_10empty_typeEbEEZZNS1_14partition_implILS8_3ELb0ES6_jNS0_17counting_iteratorIjlEEPS9_SE_NS0_5tupleIJPjSE_EEENSF_IJSE_SE_EEES9_SG_JZNS1_25segmented_radix_sort_implINS0_14default_configELb0EPKdPdPKlPlN2at6native12_GLOBAL__N_18offset_tEEE10hipError_tPvRmT1_PNSt15iterator_traitsISY_E10value_typeET2_T3_PNSZ_IS14_E10value_typeET4_jRbjT5_S1A_jjP12ihipStream_tbEUljE_EEESV_SW_SX_S14_S18_S1A_T6_T7_T9_mT8_S1C_bDpT10_ENKUlT_T0_E_clISt17integral_constantIbLb1EES1P_EEDaS1K_S1L_EUlS1K_E_NS1_11comp_targetILNS1_3genE10ELNS1_11target_archE1200ELNS1_3gpuE4ELNS1_3repE0EEENS1_30default_config_static_selectorELNS0_4arch9wavefront6targetE0EEEvSY_.kd
    .uniform_work_group_size: 1
    .uses_dynamic_stack: false
    .vgpr_count:     0
    .vgpr_spill_count: 0
    .wavefront_size: 32
    .workgroup_processor_mode: 1
  - .args:
      - .offset:         0
        .size:           152
        .value_kind:     by_value
    .group_segment_fixed_size: 0
    .kernarg_segment_align: 8
    .kernarg_segment_size: 152
    .language:       OpenCL C
    .language_version:
      - 2
      - 0
    .max_flat_workgroup_size: 256
    .name:           _ZN7rocprim17ROCPRIM_400000_NS6detail17trampoline_kernelINS0_13select_configILj256ELj13ELNS0_17block_load_methodE3ELS4_3ELS4_3ELNS0_20block_scan_algorithmE0ELj4294967295EEENS1_25partition_config_selectorILNS1_17partition_subalgoE3EjNS0_10empty_typeEbEEZZNS1_14partition_implILS8_3ELb0ES6_jNS0_17counting_iteratorIjlEEPS9_SE_NS0_5tupleIJPjSE_EEENSF_IJSE_SE_EEES9_SG_JZNS1_25segmented_radix_sort_implINS0_14default_configELb0EPKdPdPKlPlN2at6native12_GLOBAL__N_18offset_tEEE10hipError_tPvRmT1_PNSt15iterator_traitsISY_E10value_typeET2_T3_PNSZ_IS14_E10value_typeET4_jRbjT5_S1A_jjP12ihipStream_tbEUljE_EEESV_SW_SX_S14_S18_S1A_T6_T7_T9_mT8_S1C_bDpT10_ENKUlT_T0_E_clISt17integral_constantIbLb1EES1P_EEDaS1K_S1L_EUlS1K_E_NS1_11comp_targetILNS1_3genE9ELNS1_11target_archE1100ELNS1_3gpuE3ELNS1_3repE0EEENS1_30default_config_static_selectorELNS0_4arch9wavefront6targetE0EEEvSY_
    .private_segment_fixed_size: 0
    .sgpr_count:     0
    .sgpr_spill_count: 0
    .symbol:         _ZN7rocprim17ROCPRIM_400000_NS6detail17trampoline_kernelINS0_13select_configILj256ELj13ELNS0_17block_load_methodE3ELS4_3ELS4_3ELNS0_20block_scan_algorithmE0ELj4294967295EEENS1_25partition_config_selectorILNS1_17partition_subalgoE3EjNS0_10empty_typeEbEEZZNS1_14partition_implILS8_3ELb0ES6_jNS0_17counting_iteratorIjlEEPS9_SE_NS0_5tupleIJPjSE_EEENSF_IJSE_SE_EEES9_SG_JZNS1_25segmented_radix_sort_implINS0_14default_configELb0EPKdPdPKlPlN2at6native12_GLOBAL__N_18offset_tEEE10hipError_tPvRmT1_PNSt15iterator_traitsISY_E10value_typeET2_T3_PNSZ_IS14_E10value_typeET4_jRbjT5_S1A_jjP12ihipStream_tbEUljE_EEESV_SW_SX_S14_S18_S1A_T6_T7_T9_mT8_S1C_bDpT10_ENKUlT_T0_E_clISt17integral_constantIbLb1EES1P_EEDaS1K_S1L_EUlS1K_E_NS1_11comp_targetILNS1_3genE9ELNS1_11target_archE1100ELNS1_3gpuE3ELNS1_3repE0EEENS1_30default_config_static_selectorELNS0_4arch9wavefront6targetE0EEEvSY_.kd
    .uniform_work_group_size: 1
    .uses_dynamic_stack: false
    .vgpr_count:     0
    .vgpr_spill_count: 0
    .wavefront_size: 32
    .workgroup_processor_mode: 1
  - .args:
      - .offset:         0
        .size:           152
        .value_kind:     by_value
    .group_segment_fixed_size: 0
    .kernarg_segment_align: 8
    .kernarg_segment_size: 152
    .language:       OpenCL C
    .language_version:
      - 2
      - 0
    .max_flat_workgroup_size: 256
    .name:           _ZN7rocprim17ROCPRIM_400000_NS6detail17trampoline_kernelINS0_13select_configILj256ELj13ELNS0_17block_load_methodE3ELS4_3ELS4_3ELNS0_20block_scan_algorithmE0ELj4294967295EEENS1_25partition_config_selectorILNS1_17partition_subalgoE3EjNS0_10empty_typeEbEEZZNS1_14partition_implILS8_3ELb0ES6_jNS0_17counting_iteratorIjlEEPS9_SE_NS0_5tupleIJPjSE_EEENSF_IJSE_SE_EEES9_SG_JZNS1_25segmented_radix_sort_implINS0_14default_configELb0EPKdPdPKlPlN2at6native12_GLOBAL__N_18offset_tEEE10hipError_tPvRmT1_PNSt15iterator_traitsISY_E10value_typeET2_T3_PNSZ_IS14_E10value_typeET4_jRbjT5_S1A_jjP12ihipStream_tbEUljE_EEESV_SW_SX_S14_S18_S1A_T6_T7_T9_mT8_S1C_bDpT10_ENKUlT_T0_E_clISt17integral_constantIbLb1EES1P_EEDaS1K_S1L_EUlS1K_E_NS1_11comp_targetILNS1_3genE8ELNS1_11target_archE1030ELNS1_3gpuE2ELNS1_3repE0EEENS1_30default_config_static_selectorELNS0_4arch9wavefront6targetE0EEEvSY_
    .private_segment_fixed_size: 0
    .sgpr_count:     0
    .sgpr_spill_count: 0
    .symbol:         _ZN7rocprim17ROCPRIM_400000_NS6detail17trampoline_kernelINS0_13select_configILj256ELj13ELNS0_17block_load_methodE3ELS4_3ELS4_3ELNS0_20block_scan_algorithmE0ELj4294967295EEENS1_25partition_config_selectorILNS1_17partition_subalgoE3EjNS0_10empty_typeEbEEZZNS1_14partition_implILS8_3ELb0ES6_jNS0_17counting_iteratorIjlEEPS9_SE_NS0_5tupleIJPjSE_EEENSF_IJSE_SE_EEES9_SG_JZNS1_25segmented_radix_sort_implINS0_14default_configELb0EPKdPdPKlPlN2at6native12_GLOBAL__N_18offset_tEEE10hipError_tPvRmT1_PNSt15iterator_traitsISY_E10value_typeET2_T3_PNSZ_IS14_E10value_typeET4_jRbjT5_S1A_jjP12ihipStream_tbEUljE_EEESV_SW_SX_S14_S18_S1A_T6_T7_T9_mT8_S1C_bDpT10_ENKUlT_T0_E_clISt17integral_constantIbLb1EES1P_EEDaS1K_S1L_EUlS1K_E_NS1_11comp_targetILNS1_3genE8ELNS1_11target_archE1030ELNS1_3gpuE2ELNS1_3repE0EEENS1_30default_config_static_selectorELNS0_4arch9wavefront6targetE0EEEvSY_.kd
    .uniform_work_group_size: 1
    .uses_dynamic_stack: false
    .vgpr_count:     0
    .vgpr_spill_count: 0
    .wavefront_size: 32
    .workgroup_processor_mode: 1
  - .args:
      - .offset:         0
        .size:           144
        .value_kind:     by_value
    .group_segment_fixed_size: 0
    .kernarg_segment_align: 8
    .kernarg_segment_size: 144
    .language:       OpenCL C
    .language_version:
      - 2
      - 0
    .max_flat_workgroup_size: 256
    .name:           _ZN7rocprim17ROCPRIM_400000_NS6detail17trampoline_kernelINS0_13select_configILj256ELj13ELNS0_17block_load_methodE3ELS4_3ELS4_3ELNS0_20block_scan_algorithmE0ELj4294967295EEENS1_25partition_config_selectorILNS1_17partition_subalgoE3EjNS0_10empty_typeEbEEZZNS1_14partition_implILS8_3ELb0ES6_jNS0_17counting_iteratorIjlEEPS9_SE_NS0_5tupleIJPjSE_EEENSF_IJSE_SE_EEES9_SG_JZNS1_25segmented_radix_sort_implINS0_14default_configELb0EPKdPdPKlPlN2at6native12_GLOBAL__N_18offset_tEEE10hipError_tPvRmT1_PNSt15iterator_traitsISY_E10value_typeET2_T3_PNSZ_IS14_E10value_typeET4_jRbjT5_S1A_jjP12ihipStream_tbEUljE_EEESV_SW_SX_S14_S18_S1A_T6_T7_T9_mT8_S1C_bDpT10_ENKUlT_T0_E_clISt17integral_constantIbLb1EES1O_IbLb0EEEEDaS1K_S1L_EUlS1K_E_NS1_11comp_targetILNS1_3genE0ELNS1_11target_archE4294967295ELNS1_3gpuE0ELNS1_3repE0EEENS1_30default_config_static_selectorELNS0_4arch9wavefront6targetE0EEEvSY_
    .private_segment_fixed_size: 0
    .sgpr_count:     0
    .sgpr_spill_count: 0
    .symbol:         _ZN7rocprim17ROCPRIM_400000_NS6detail17trampoline_kernelINS0_13select_configILj256ELj13ELNS0_17block_load_methodE3ELS4_3ELS4_3ELNS0_20block_scan_algorithmE0ELj4294967295EEENS1_25partition_config_selectorILNS1_17partition_subalgoE3EjNS0_10empty_typeEbEEZZNS1_14partition_implILS8_3ELb0ES6_jNS0_17counting_iteratorIjlEEPS9_SE_NS0_5tupleIJPjSE_EEENSF_IJSE_SE_EEES9_SG_JZNS1_25segmented_radix_sort_implINS0_14default_configELb0EPKdPdPKlPlN2at6native12_GLOBAL__N_18offset_tEEE10hipError_tPvRmT1_PNSt15iterator_traitsISY_E10value_typeET2_T3_PNSZ_IS14_E10value_typeET4_jRbjT5_S1A_jjP12ihipStream_tbEUljE_EEESV_SW_SX_S14_S18_S1A_T6_T7_T9_mT8_S1C_bDpT10_ENKUlT_T0_E_clISt17integral_constantIbLb1EES1O_IbLb0EEEEDaS1K_S1L_EUlS1K_E_NS1_11comp_targetILNS1_3genE0ELNS1_11target_archE4294967295ELNS1_3gpuE0ELNS1_3repE0EEENS1_30default_config_static_selectorELNS0_4arch9wavefront6targetE0EEEvSY_.kd
    .uniform_work_group_size: 1
    .uses_dynamic_stack: false
    .vgpr_count:     0
    .vgpr_spill_count: 0
    .wavefront_size: 32
    .workgroup_processor_mode: 1
  - .args:
      - .offset:         0
        .size:           144
        .value_kind:     by_value
    .group_segment_fixed_size: 0
    .kernarg_segment_align: 8
    .kernarg_segment_size: 144
    .language:       OpenCL C
    .language_version:
      - 2
      - 0
    .max_flat_workgroup_size: 256
    .name:           _ZN7rocprim17ROCPRIM_400000_NS6detail17trampoline_kernelINS0_13select_configILj256ELj13ELNS0_17block_load_methodE3ELS4_3ELS4_3ELNS0_20block_scan_algorithmE0ELj4294967295EEENS1_25partition_config_selectorILNS1_17partition_subalgoE3EjNS0_10empty_typeEbEEZZNS1_14partition_implILS8_3ELb0ES6_jNS0_17counting_iteratorIjlEEPS9_SE_NS0_5tupleIJPjSE_EEENSF_IJSE_SE_EEES9_SG_JZNS1_25segmented_radix_sort_implINS0_14default_configELb0EPKdPdPKlPlN2at6native12_GLOBAL__N_18offset_tEEE10hipError_tPvRmT1_PNSt15iterator_traitsISY_E10value_typeET2_T3_PNSZ_IS14_E10value_typeET4_jRbjT5_S1A_jjP12ihipStream_tbEUljE_EEESV_SW_SX_S14_S18_S1A_T6_T7_T9_mT8_S1C_bDpT10_ENKUlT_T0_E_clISt17integral_constantIbLb1EES1O_IbLb0EEEEDaS1K_S1L_EUlS1K_E_NS1_11comp_targetILNS1_3genE5ELNS1_11target_archE942ELNS1_3gpuE9ELNS1_3repE0EEENS1_30default_config_static_selectorELNS0_4arch9wavefront6targetE0EEEvSY_
    .private_segment_fixed_size: 0
    .sgpr_count:     0
    .sgpr_spill_count: 0
    .symbol:         _ZN7rocprim17ROCPRIM_400000_NS6detail17trampoline_kernelINS0_13select_configILj256ELj13ELNS0_17block_load_methodE3ELS4_3ELS4_3ELNS0_20block_scan_algorithmE0ELj4294967295EEENS1_25partition_config_selectorILNS1_17partition_subalgoE3EjNS0_10empty_typeEbEEZZNS1_14partition_implILS8_3ELb0ES6_jNS0_17counting_iteratorIjlEEPS9_SE_NS0_5tupleIJPjSE_EEENSF_IJSE_SE_EEES9_SG_JZNS1_25segmented_radix_sort_implINS0_14default_configELb0EPKdPdPKlPlN2at6native12_GLOBAL__N_18offset_tEEE10hipError_tPvRmT1_PNSt15iterator_traitsISY_E10value_typeET2_T3_PNSZ_IS14_E10value_typeET4_jRbjT5_S1A_jjP12ihipStream_tbEUljE_EEESV_SW_SX_S14_S18_S1A_T6_T7_T9_mT8_S1C_bDpT10_ENKUlT_T0_E_clISt17integral_constantIbLb1EES1O_IbLb0EEEEDaS1K_S1L_EUlS1K_E_NS1_11comp_targetILNS1_3genE5ELNS1_11target_archE942ELNS1_3gpuE9ELNS1_3repE0EEENS1_30default_config_static_selectorELNS0_4arch9wavefront6targetE0EEEvSY_.kd
    .uniform_work_group_size: 1
    .uses_dynamic_stack: false
    .vgpr_count:     0
    .vgpr_spill_count: 0
    .wavefront_size: 32
    .workgroup_processor_mode: 1
  - .args:
      - .offset:         0
        .size:           144
        .value_kind:     by_value
    .group_segment_fixed_size: 0
    .kernarg_segment_align: 8
    .kernarg_segment_size: 144
    .language:       OpenCL C
    .language_version:
      - 2
      - 0
    .max_flat_workgroup_size: 256
    .name:           _ZN7rocprim17ROCPRIM_400000_NS6detail17trampoline_kernelINS0_13select_configILj256ELj13ELNS0_17block_load_methodE3ELS4_3ELS4_3ELNS0_20block_scan_algorithmE0ELj4294967295EEENS1_25partition_config_selectorILNS1_17partition_subalgoE3EjNS0_10empty_typeEbEEZZNS1_14partition_implILS8_3ELb0ES6_jNS0_17counting_iteratorIjlEEPS9_SE_NS0_5tupleIJPjSE_EEENSF_IJSE_SE_EEES9_SG_JZNS1_25segmented_radix_sort_implINS0_14default_configELb0EPKdPdPKlPlN2at6native12_GLOBAL__N_18offset_tEEE10hipError_tPvRmT1_PNSt15iterator_traitsISY_E10value_typeET2_T3_PNSZ_IS14_E10value_typeET4_jRbjT5_S1A_jjP12ihipStream_tbEUljE_EEESV_SW_SX_S14_S18_S1A_T6_T7_T9_mT8_S1C_bDpT10_ENKUlT_T0_E_clISt17integral_constantIbLb1EES1O_IbLb0EEEEDaS1K_S1L_EUlS1K_E_NS1_11comp_targetILNS1_3genE4ELNS1_11target_archE910ELNS1_3gpuE8ELNS1_3repE0EEENS1_30default_config_static_selectorELNS0_4arch9wavefront6targetE0EEEvSY_
    .private_segment_fixed_size: 0
    .sgpr_count:     0
    .sgpr_spill_count: 0
    .symbol:         _ZN7rocprim17ROCPRIM_400000_NS6detail17trampoline_kernelINS0_13select_configILj256ELj13ELNS0_17block_load_methodE3ELS4_3ELS4_3ELNS0_20block_scan_algorithmE0ELj4294967295EEENS1_25partition_config_selectorILNS1_17partition_subalgoE3EjNS0_10empty_typeEbEEZZNS1_14partition_implILS8_3ELb0ES6_jNS0_17counting_iteratorIjlEEPS9_SE_NS0_5tupleIJPjSE_EEENSF_IJSE_SE_EEES9_SG_JZNS1_25segmented_radix_sort_implINS0_14default_configELb0EPKdPdPKlPlN2at6native12_GLOBAL__N_18offset_tEEE10hipError_tPvRmT1_PNSt15iterator_traitsISY_E10value_typeET2_T3_PNSZ_IS14_E10value_typeET4_jRbjT5_S1A_jjP12ihipStream_tbEUljE_EEESV_SW_SX_S14_S18_S1A_T6_T7_T9_mT8_S1C_bDpT10_ENKUlT_T0_E_clISt17integral_constantIbLb1EES1O_IbLb0EEEEDaS1K_S1L_EUlS1K_E_NS1_11comp_targetILNS1_3genE4ELNS1_11target_archE910ELNS1_3gpuE8ELNS1_3repE0EEENS1_30default_config_static_selectorELNS0_4arch9wavefront6targetE0EEEvSY_.kd
    .uniform_work_group_size: 1
    .uses_dynamic_stack: false
    .vgpr_count:     0
    .vgpr_spill_count: 0
    .wavefront_size: 32
    .workgroup_processor_mode: 1
  - .args:
      - .offset:         0
        .size:           144
        .value_kind:     by_value
    .group_segment_fixed_size: 0
    .kernarg_segment_align: 8
    .kernarg_segment_size: 144
    .language:       OpenCL C
    .language_version:
      - 2
      - 0
    .max_flat_workgroup_size: 256
    .name:           _ZN7rocprim17ROCPRIM_400000_NS6detail17trampoline_kernelINS0_13select_configILj256ELj13ELNS0_17block_load_methodE3ELS4_3ELS4_3ELNS0_20block_scan_algorithmE0ELj4294967295EEENS1_25partition_config_selectorILNS1_17partition_subalgoE3EjNS0_10empty_typeEbEEZZNS1_14partition_implILS8_3ELb0ES6_jNS0_17counting_iteratorIjlEEPS9_SE_NS0_5tupleIJPjSE_EEENSF_IJSE_SE_EEES9_SG_JZNS1_25segmented_radix_sort_implINS0_14default_configELb0EPKdPdPKlPlN2at6native12_GLOBAL__N_18offset_tEEE10hipError_tPvRmT1_PNSt15iterator_traitsISY_E10value_typeET2_T3_PNSZ_IS14_E10value_typeET4_jRbjT5_S1A_jjP12ihipStream_tbEUljE_EEESV_SW_SX_S14_S18_S1A_T6_T7_T9_mT8_S1C_bDpT10_ENKUlT_T0_E_clISt17integral_constantIbLb1EES1O_IbLb0EEEEDaS1K_S1L_EUlS1K_E_NS1_11comp_targetILNS1_3genE3ELNS1_11target_archE908ELNS1_3gpuE7ELNS1_3repE0EEENS1_30default_config_static_selectorELNS0_4arch9wavefront6targetE0EEEvSY_
    .private_segment_fixed_size: 0
    .sgpr_count:     0
    .sgpr_spill_count: 0
    .symbol:         _ZN7rocprim17ROCPRIM_400000_NS6detail17trampoline_kernelINS0_13select_configILj256ELj13ELNS0_17block_load_methodE3ELS4_3ELS4_3ELNS0_20block_scan_algorithmE0ELj4294967295EEENS1_25partition_config_selectorILNS1_17partition_subalgoE3EjNS0_10empty_typeEbEEZZNS1_14partition_implILS8_3ELb0ES6_jNS0_17counting_iteratorIjlEEPS9_SE_NS0_5tupleIJPjSE_EEENSF_IJSE_SE_EEES9_SG_JZNS1_25segmented_radix_sort_implINS0_14default_configELb0EPKdPdPKlPlN2at6native12_GLOBAL__N_18offset_tEEE10hipError_tPvRmT1_PNSt15iterator_traitsISY_E10value_typeET2_T3_PNSZ_IS14_E10value_typeET4_jRbjT5_S1A_jjP12ihipStream_tbEUljE_EEESV_SW_SX_S14_S18_S1A_T6_T7_T9_mT8_S1C_bDpT10_ENKUlT_T0_E_clISt17integral_constantIbLb1EES1O_IbLb0EEEEDaS1K_S1L_EUlS1K_E_NS1_11comp_targetILNS1_3genE3ELNS1_11target_archE908ELNS1_3gpuE7ELNS1_3repE0EEENS1_30default_config_static_selectorELNS0_4arch9wavefront6targetE0EEEvSY_.kd
    .uniform_work_group_size: 1
    .uses_dynamic_stack: false
    .vgpr_count:     0
    .vgpr_spill_count: 0
    .wavefront_size: 32
    .workgroup_processor_mode: 1
  - .args:
      - .offset:         0
        .size:           144
        .value_kind:     by_value
    .group_segment_fixed_size: 0
    .kernarg_segment_align: 8
    .kernarg_segment_size: 144
    .language:       OpenCL C
    .language_version:
      - 2
      - 0
    .max_flat_workgroup_size: 256
    .name:           _ZN7rocprim17ROCPRIM_400000_NS6detail17trampoline_kernelINS0_13select_configILj256ELj13ELNS0_17block_load_methodE3ELS4_3ELS4_3ELNS0_20block_scan_algorithmE0ELj4294967295EEENS1_25partition_config_selectorILNS1_17partition_subalgoE3EjNS0_10empty_typeEbEEZZNS1_14partition_implILS8_3ELb0ES6_jNS0_17counting_iteratorIjlEEPS9_SE_NS0_5tupleIJPjSE_EEENSF_IJSE_SE_EEES9_SG_JZNS1_25segmented_radix_sort_implINS0_14default_configELb0EPKdPdPKlPlN2at6native12_GLOBAL__N_18offset_tEEE10hipError_tPvRmT1_PNSt15iterator_traitsISY_E10value_typeET2_T3_PNSZ_IS14_E10value_typeET4_jRbjT5_S1A_jjP12ihipStream_tbEUljE_EEESV_SW_SX_S14_S18_S1A_T6_T7_T9_mT8_S1C_bDpT10_ENKUlT_T0_E_clISt17integral_constantIbLb1EES1O_IbLb0EEEEDaS1K_S1L_EUlS1K_E_NS1_11comp_targetILNS1_3genE2ELNS1_11target_archE906ELNS1_3gpuE6ELNS1_3repE0EEENS1_30default_config_static_selectorELNS0_4arch9wavefront6targetE0EEEvSY_
    .private_segment_fixed_size: 0
    .sgpr_count:     0
    .sgpr_spill_count: 0
    .symbol:         _ZN7rocprim17ROCPRIM_400000_NS6detail17trampoline_kernelINS0_13select_configILj256ELj13ELNS0_17block_load_methodE3ELS4_3ELS4_3ELNS0_20block_scan_algorithmE0ELj4294967295EEENS1_25partition_config_selectorILNS1_17partition_subalgoE3EjNS0_10empty_typeEbEEZZNS1_14partition_implILS8_3ELb0ES6_jNS0_17counting_iteratorIjlEEPS9_SE_NS0_5tupleIJPjSE_EEENSF_IJSE_SE_EEES9_SG_JZNS1_25segmented_radix_sort_implINS0_14default_configELb0EPKdPdPKlPlN2at6native12_GLOBAL__N_18offset_tEEE10hipError_tPvRmT1_PNSt15iterator_traitsISY_E10value_typeET2_T3_PNSZ_IS14_E10value_typeET4_jRbjT5_S1A_jjP12ihipStream_tbEUljE_EEESV_SW_SX_S14_S18_S1A_T6_T7_T9_mT8_S1C_bDpT10_ENKUlT_T0_E_clISt17integral_constantIbLb1EES1O_IbLb0EEEEDaS1K_S1L_EUlS1K_E_NS1_11comp_targetILNS1_3genE2ELNS1_11target_archE906ELNS1_3gpuE6ELNS1_3repE0EEENS1_30default_config_static_selectorELNS0_4arch9wavefront6targetE0EEEvSY_.kd
    .uniform_work_group_size: 1
    .uses_dynamic_stack: false
    .vgpr_count:     0
    .vgpr_spill_count: 0
    .wavefront_size: 32
    .workgroup_processor_mode: 1
  - .args:
      - .offset:         0
        .size:           144
        .value_kind:     by_value
    .group_segment_fixed_size: 0
    .kernarg_segment_align: 8
    .kernarg_segment_size: 144
    .language:       OpenCL C
    .language_version:
      - 2
      - 0
    .max_flat_workgroup_size: 256
    .name:           _ZN7rocprim17ROCPRIM_400000_NS6detail17trampoline_kernelINS0_13select_configILj256ELj13ELNS0_17block_load_methodE3ELS4_3ELS4_3ELNS0_20block_scan_algorithmE0ELj4294967295EEENS1_25partition_config_selectorILNS1_17partition_subalgoE3EjNS0_10empty_typeEbEEZZNS1_14partition_implILS8_3ELb0ES6_jNS0_17counting_iteratorIjlEEPS9_SE_NS0_5tupleIJPjSE_EEENSF_IJSE_SE_EEES9_SG_JZNS1_25segmented_radix_sort_implINS0_14default_configELb0EPKdPdPKlPlN2at6native12_GLOBAL__N_18offset_tEEE10hipError_tPvRmT1_PNSt15iterator_traitsISY_E10value_typeET2_T3_PNSZ_IS14_E10value_typeET4_jRbjT5_S1A_jjP12ihipStream_tbEUljE_EEESV_SW_SX_S14_S18_S1A_T6_T7_T9_mT8_S1C_bDpT10_ENKUlT_T0_E_clISt17integral_constantIbLb1EES1O_IbLb0EEEEDaS1K_S1L_EUlS1K_E_NS1_11comp_targetILNS1_3genE10ELNS1_11target_archE1200ELNS1_3gpuE4ELNS1_3repE0EEENS1_30default_config_static_selectorELNS0_4arch9wavefront6targetE0EEEvSY_
    .private_segment_fixed_size: 0
    .sgpr_count:     0
    .sgpr_spill_count: 0
    .symbol:         _ZN7rocprim17ROCPRIM_400000_NS6detail17trampoline_kernelINS0_13select_configILj256ELj13ELNS0_17block_load_methodE3ELS4_3ELS4_3ELNS0_20block_scan_algorithmE0ELj4294967295EEENS1_25partition_config_selectorILNS1_17partition_subalgoE3EjNS0_10empty_typeEbEEZZNS1_14partition_implILS8_3ELb0ES6_jNS0_17counting_iteratorIjlEEPS9_SE_NS0_5tupleIJPjSE_EEENSF_IJSE_SE_EEES9_SG_JZNS1_25segmented_radix_sort_implINS0_14default_configELb0EPKdPdPKlPlN2at6native12_GLOBAL__N_18offset_tEEE10hipError_tPvRmT1_PNSt15iterator_traitsISY_E10value_typeET2_T3_PNSZ_IS14_E10value_typeET4_jRbjT5_S1A_jjP12ihipStream_tbEUljE_EEESV_SW_SX_S14_S18_S1A_T6_T7_T9_mT8_S1C_bDpT10_ENKUlT_T0_E_clISt17integral_constantIbLb1EES1O_IbLb0EEEEDaS1K_S1L_EUlS1K_E_NS1_11comp_targetILNS1_3genE10ELNS1_11target_archE1200ELNS1_3gpuE4ELNS1_3repE0EEENS1_30default_config_static_selectorELNS0_4arch9wavefront6targetE0EEEvSY_.kd
    .uniform_work_group_size: 1
    .uses_dynamic_stack: false
    .vgpr_count:     0
    .vgpr_spill_count: 0
    .wavefront_size: 32
    .workgroup_processor_mode: 1
  - .args:
      - .offset:         0
        .size:           144
        .value_kind:     by_value
    .group_segment_fixed_size: 0
    .kernarg_segment_align: 8
    .kernarg_segment_size: 144
    .language:       OpenCL C
    .language_version:
      - 2
      - 0
    .max_flat_workgroup_size: 256
    .name:           _ZN7rocprim17ROCPRIM_400000_NS6detail17trampoline_kernelINS0_13select_configILj256ELj13ELNS0_17block_load_methodE3ELS4_3ELS4_3ELNS0_20block_scan_algorithmE0ELj4294967295EEENS1_25partition_config_selectorILNS1_17partition_subalgoE3EjNS0_10empty_typeEbEEZZNS1_14partition_implILS8_3ELb0ES6_jNS0_17counting_iteratorIjlEEPS9_SE_NS0_5tupleIJPjSE_EEENSF_IJSE_SE_EEES9_SG_JZNS1_25segmented_radix_sort_implINS0_14default_configELb0EPKdPdPKlPlN2at6native12_GLOBAL__N_18offset_tEEE10hipError_tPvRmT1_PNSt15iterator_traitsISY_E10value_typeET2_T3_PNSZ_IS14_E10value_typeET4_jRbjT5_S1A_jjP12ihipStream_tbEUljE_EEESV_SW_SX_S14_S18_S1A_T6_T7_T9_mT8_S1C_bDpT10_ENKUlT_T0_E_clISt17integral_constantIbLb1EES1O_IbLb0EEEEDaS1K_S1L_EUlS1K_E_NS1_11comp_targetILNS1_3genE9ELNS1_11target_archE1100ELNS1_3gpuE3ELNS1_3repE0EEENS1_30default_config_static_selectorELNS0_4arch9wavefront6targetE0EEEvSY_
    .private_segment_fixed_size: 0
    .sgpr_count:     0
    .sgpr_spill_count: 0
    .symbol:         _ZN7rocprim17ROCPRIM_400000_NS6detail17trampoline_kernelINS0_13select_configILj256ELj13ELNS0_17block_load_methodE3ELS4_3ELS4_3ELNS0_20block_scan_algorithmE0ELj4294967295EEENS1_25partition_config_selectorILNS1_17partition_subalgoE3EjNS0_10empty_typeEbEEZZNS1_14partition_implILS8_3ELb0ES6_jNS0_17counting_iteratorIjlEEPS9_SE_NS0_5tupleIJPjSE_EEENSF_IJSE_SE_EEES9_SG_JZNS1_25segmented_radix_sort_implINS0_14default_configELb0EPKdPdPKlPlN2at6native12_GLOBAL__N_18offset_tEEE10hipError_tPvRmT1_PNSt15iterator_traitsISY_E10value_typeET2_T3_PNSZ_IS14_E10value_typeET4_jRbjT5_S1A_jjP12ihipStream_tbEUljE_EEESV_SW_SX_S14_S18_S1A_T6_T7_T9_mT8_S1C_bDpT10_ENKUlT_T0_E_clISt17integral_constantIbLb1EES1O_IbLb0EEEEDaS1K_S1L_EUlS1K_E_NS1_11comp_targetILNS1_3genE9ELNS1_11target_archE1100ELNS1_3gpuE3ELNS1_3repE0EEENS1_30default_config_static_selectorELNS0_4arch9wavefront6targetE0EEEvSY_.kd
    .uniform_work_group_size: 1
    .uses_dynamic_stack: false
    .vgpr_count:     0
    .vgpr_spill_count: 0
    .wavefront_size: 32
    .workgroup_processor_mode: 1
  - .args:
      - .offset:         0
        .size:           144
        .value_kind:     by_value
    .group_segment_fixed_size: 0
    .kernarg_segment_align: 8
    .kernarg_segment_size: 144
    .language:       OpenCL C
    .language_version:
      - 2
      - 0
    .max_flat_workgroup_size: 256
    .name:           _ZN7rocprim17ROCPRIM_400000_NS6detail17trampoline_kernelINS0_13select_configILj256ELj13ELNS0_17block_load_methodE3ELS4_3ELS4_3ELNS0_20block_scan_algorithmE0ELj4294967295EEENS1_25partition_config_selectorILNS1_17partition_subalgoE3EjNS0_10empty_typeEbEEZZNS1_14partition_implILS8_3ELb0ES6_jNS0_17counting_iteratorIjlEEPS9_SE_NS0_5tupleIJPjSE_EEENSF_IJSE_SE_EEES9_SG_JZNS1_25segmented_radix_sort_implINS0_14default_configELb0EPKdPdPKlPlN2at6native12_GLOBAL__N_18offset_tEEE10hipError_tPvRmT1_PNSt15iterator_traitsISY_E10value_typeET2_T3_PNSZ_IS14_E10value_typeET4_jRbjT5_S1A_jjP12ihipStream_tbEUljE_EEESV_SW_SX_S14_S18_S1A_T6_T7_T9_mT8_S1C_bDpT10_ENKUlT_T0_E_clISt17integral_constantIbLb1EES1O_IbLb0EEEEDaS1K_S1L_EUlS1K_E_NS1_11comp_targetILNS1_3genE8ELNS1_11target_archE1030ELNS1_3gpuE2ELNS1_3repE0EEENS1_30default_config_static_selectorELNS0_4arch9wavefront6targetE0EEEvSY_
    .private_segment_fixed_size: 0
    .sgpr_count:     0
    .sgpr_spill_count: 0
    .symbol:         _ZN7rocprim17ROCPRIM_400000_NS6detail17trampoline_kernelINS0_13select_configILj256ELj13ELNS0_17block_load_methodE3ELS4_3ELS4_3ELNS0_20block_scan_algorithmE0ELj4294967295EEENS1_25partition_config_selectorILNS1_17partition_subalgoE3EjNS0_10empty_typeEbEEZZNS1_14partition_implILS8_3ELb0ES6_jNS0_17counting_iteratorIjlEEPS9_SE_NS0_5tupleIJPjSE_EEENSF_IJSE_SE_EEES9_SG_JZNS1_25segmented_radix_sort_implINS0_14default_configELb0EPKdPdPKlPlN2at6native12_GLOBAL__N_18offset_tEEE10hipError_tPvRmT1_PNSt15iterator_traitsISY_E10value_typeET2_T3_PNSZ_IS14_E10value_typeET4_jRbjT5_S1A_jjP12ihipStream_tbEUljE_EEESV_SW_SX_S14_S18_S1A_T6_T7_T9_mT8_S1C_bDpT10_ENKUlT_T0_E_clISt17integral_constantIbLb1EES1O_IbLb0EEEEDaS1K_S1L_EUlS1K_E_NS1_11comp_targetILNS1_3genE8ELNS1_11target_archE1030ELNS1_3gpuE2ELNS1_3repE0EEENS1_30default_config_static_selectorELNS0_4arch9wavefront6targetE0EEEvSY_.kd
    .uniform_work_group_size: 1
    .uses_dynamic_stack: false
    .vgpr_count:     0
    .vgpr_spill_count: 0
    .wavefront_size: 32
    .workgroup_processor_mode: 1
  - .args:
      - .offset:         0
        .size:           152
        .value_kind:     by_value
    .group_segment_fixed_size: 0
    .kernarg_segment_align: 8
    .kernarg_segment_size: 152
    .language:       OpenCL C
    .language_version:
      - 2
      - 0
    .max_flat_workgroup_size: 256
    .name:           _ZN7rocprim17ROCPRIM_400000_NS6detail17trampoline_kernelINS0_13select_configILj256ELj13ELNS0_17block_load_methodE3ELS4_3ELS4_3ELNS0_20block_scan_algorithmE0ELj4294967295EEENS1_25partition_config_selectorILNS1_17partition_subalgoE3EjNS0_10empty_typeEbEEZZNS1_14partition_implILS8_3ELb0ES6_jNS0_17counting_iteratorIjlEEPS9_SE_NS0_5tupleIJPjSE_EEENSF_IJSE_SE_EEES9_SG_JZNS1_25segmented_radix_sort_implINS0_14default_configELb0EPKdPdPKlPlN2at6native12_GLOBAL__N_18offset_tEEE10hipError_tPvRmT1_PNSt15iterator_traitsISY_E10value_typeET2_T3_PNSZ_IS14_E10value_typeET4_jRbjT5_S1A_jjP12ihipStream_tbEUljE_EEESV_SW_SX_S14_S18_S1A_T6_T7_T9_mT8_S1C_bDpT10_ENKUlT_T0_E_clISt17integral_constantIbLb0EES1O_IbLb1EEEEDaS1K_S1L_EUlS1K_E_NS1_11comp_targetILNS1_3genE0ELNS1_11target_archE4294967295ELNS1_3gpuE0ELNS1_3repE0EEENS1_30default_config_static_selectorELNS0_4arch9wavefront6targetE0EEEvSY_
    .private_segment_fixed_size: 0
    .sgpr_count:     0
    .sgpr_spill_count: 0
    .symbol:         _ZN7rocprim17ROCPRIM_400000_NS6detail17trampoline_kernelINS0_13select_configILj256ELj13ELNS0_17block_load_methodE3ELS4_3ELS4_3ELNS0_20block_scan_algorithmE0ELj4294967295EEENS1_25partition_config_selectorILNS1_17partition_subalgoE3EjNS0_10empty_typeEbEEZZNS1_14partition_implILS8_3ELb0ES6_jNS0_17counting_iteratorIjlEEPS9_SE_NS0_5tupleIJPjSE_EEENSF_IJSE_SE_EEES9_SG_JZNS1_25segmented_radix_sort_implINS0_14default_configELb0EPKdPdPKlPlN2at6native12_GLOBAL__N_18offset_tEEE10hipError_tPvRmT1_PNSt15iterator_traitsISY_E10value_typeET2_T3_PNSZ_IS14_E10value_typeET4_jRbjT5_S1A_jjP12ihipStream_tbEUljE_EEESV_SW_SX_S14_S18_S1A_T6_T7_T9_mT8_S1C_bDpT10_ENKUlT_T0_E_clISt17integral_constantIbLb0EES1O_IbLb1EEEEDaS1K_S1L_EUlS1K_E_NS1_11comp_targetILNS1_3genE0ELNS1_11target_archE4294967295ELNS1_3gpuE0ELNS1_3repE0EEENS1_30default_config_static_selectorELNS0_4arch9wavefront6targetE0EEEvSY_.kd
    .uniform_work_group_size: 1
    .uses_dynamic_stack: false
    .vgpr_count:     0
    .vgpr_spill_count: 0
    .wavefront_size: 32
    .workgroup_processor_mode: 1
  - .args:
      - .offset:         0
        .size:           152
        .value_kind:     by_value
    .group_segment_fixed_size: 0
    .kernarg_segment_align: 8
    .kernarg_segment_size: 152
    .language:       OpenCL C
    .language_version:
      - 2
      - 0
    .max_flat_workgroup_size: 256
    .name:           _ZN7rocprim17ROCPRIM_400000_NS6detail17trampoline_kernelINS0_13select_configILj256ELj13ELNS0_17block_load_methodE3ELS4_3ELS4_3ELNS0_20block_scan_algorithmE0ELj4294967295EEENS1_25partition_config_selectorILNS1_17partition_subalgoE3EjNS0_10empty_typeEbEEZZNS1_14partition_implILS8_3ELb0ES6_jNS0_17counting_iteratorIjlEEPS9_SE_NS0_5tupleIJPjSE_EEENSF_IJSE_SE_EEES9_SG_JZNS1_25segmented_radix_sort_implINS0_14default_configELb0EPKdPdPKlPlN2at6native12_GLOBAL__N_18offset_tEEE10hipError_tPvRmT1_PNSt15iterator_traitsISY_E10value_typeET2_T3_PNSZ_IS14_E10value_typeET4_jRbjT5_S1A_jjP12ihipStream_tbEUljE_EEESV_SW_SX_S14_S18_S1A_T6_T7_T9_mT8_S1C_bDpT10_ENKUlT_T0_E_clISt17integral_constantIbLb0EES1O_IbLb1EEEEDaS1K_S1L_EUlS1K_E_NS1_11comp_targetILNS1_3genE5ELNS1_11target_archE942ELNS1_3gpuE9ELNS1_3repE0EEENS1_30default_config_static_selectorELNS0_4arch9wavefront6targetE0EEEvSY_
    .private_segment_fixed_size: 0
    .sgpr_count:     0
    .sgpr_spill_count: 0
    .symbol:         _ZN7rocprim17ROCPRIM_400000_NS6detail17trampoline_kernelINS0_13select_configILj256ELj13ELNS0_17block_load_methodE3ELS4_3ELS4_3ELNS0_20block_scan_algorithmE0ELj4294967295EEENS1_25partition_config_selectorILNS1_17partition_subalgoE3EjNS0_10empty_typeEbEEZZNS1_14partition_implILS8_3ELb0ES6_jNS0_17counting_iteratorIjlEEPS9_SE_NS0_5tupleIJPjSE_EEENSF_IJSE_SE_EEES9_SG_JZNS1_25segmented_radix_sort_implINS0_14default_configELb0EPKdPdPKlPlN2at6native12_GLOBAL__N_18offset_tEEE10hipError_tPvRmT1_PNSt15iterator_traitsISY_E10value_typeET2_T3_PNSZ_IS14_E10value_typeET4_jRbjT5_S1A_jjP12ihipStream_tbEUljE_EEESV_SW_SX_S14_S18_S1A_T6_T7_T9_mT8_S1C_bDpT10_ENKUlT_T0_E_clISt17integral_constantIbLb0EES1O_IbLb1EEEEDaS1K_S1L_EUlS1K_E_NS1_11comp_targetILNS1_3genE5ELNS1_11target_archE942ELNS1_3gpuE9ELNS1_3repE0EEENS1_30default_config_static_selectorELNS0_4arch9wavefront6targetE0EEEvSY_.kd
    .uniform_work_group_size: 1
    .uses_dynamic_stack: false
    .vgpr_count:     0
    .vgpr_spill_count: 0
    .wavefront_size: 32
    .workgroup_processor_mode: 1
  - .args:
      - .offset:         0
        .size:           152
        .value_kind:     by_value
    .group_segment_fixed_size: 0
    .kernarg_segment_align: 8
    .kernarg_segment_size: 152
    .language:       OpenCL C
    .language_version:
      - 2
      - 0
    .max_flat_workgroup_size: 256
    .name:           _ZN7rocprim17ROCPRIM_400000_NS6detail17trampoline_kernelINS0_13select_configILj256ELj13ELNS0_17block_load_methodE3ELS4_3ELS4_3ELNS0_20block_scan_algorithmE0ELj4294967295EEENS1_25partition_config_selectorILNS1_17partition_subalgoE3EjNS0_10empty_typeEbEEZZNS1_14partition_implILS8_3ELb0ES6_jNS0_17counting_iteratorIjlEEPS9_SE_NS0_5tupleIJPjSE_EEENSF_IJSE_SE_EEES9_SG_JZNS1_25segmented_radix_sort_implINS0_14default_configELb0EPKdPdPKlPlN2at6native12_GLOBAL__N_18offset_tEEE10hipError_tPvRmT1_PNSt15iterator_traitsISY_E10value_typeET2_T3_PNSZ_IS14_E10value_typeET4_jRbjT5_S1A_jjP12ihipStream_tbEUljE_EEESV_SW_SX_S14_S18_S1A_T6_T7_T9_mT8_S1C_bDpT10_ENKUlT_T0_E_clISt17integral_constantIbLb0EES1O_IbLb1EEEEDaS1K_S1L_EUlS1K_E_NS1_11comp_targetILNS1_3genE4ELNS1_11target_archE910ELNS1_3gpuE8ELNS1_3repE0EEENS1_30default_config_static_selectorELNS0_4arch9wavefront6targetE0EEEvSY_
    .private_segment_fixed_size: 0
    .sgpr_count:     0
    .sgpr_spill_count: 0
    .symbol:         _ZN7rocprim17ROCPRIM_400000_NS6detail17trampoline_kernelINS0_13select_configILj256ELj13ELNS0_17block_load_methodE3ELS4_3ELS4_3ELNS0_20block_scan_algorithmE0ELj4294967295EEENS1_25partition_config_selectorILNS1_17partition_subalgoE3EjNS0_10empty_typeEbEEZZNS1_14partition_implILS8_3ELb0ES6_jNS0_17counting_iteratorIjlEEPS9_SE_NS0_5tupleIJPjSE_EEENSF_IJSE_SE_EEES9_SG_JZNS1_25segmented_radix_sort_implINS0_14default_configELb0EPKdPdPKlPlN2at6native12_GLOBAL__N_18offset_tEEE10hipError_tPvRmT1_PNSt15iterator_traitsISY_E10value_typeET2_T3_PNSZ_IS14_E10value_typeET4_jRbjT5_S1A_jjP12ihipStream_tbEUljE_EEESV_SW_SX_S14_S18_S1A_T6_T7_T9_mT8_S1C_bDpT10_ENKUlT_T0_E_clISt17integral_constantIbLb0EES1O_IbLb1EEEEDaS1K_S1L_EUlS1K_E_NS1_11comp_targetILNS1_3genE4ELNS1_11target_archE910ELNS1_3gpuE8ELNS1_3repE0EEENS1_30default_config_static_selectorELNS0_4arch9wavefront6targetE0EEEvSY_.kd
    .uniform_work_group_size: 1
    .uses_dynamic_stack: false
    .vgpr_count:     0
    .vgpr_spill_count: 0
    .wavefront_size: 32
    .workgroup_processor_mode: 1
  - .args:
      - .offset:         0
        .size:           152
        .value_kind:     by_value
    .group_segment_fixed_size: 0
    .kernarg_segment_align: 8
    .kernarg_segment_size: 152
    .language:       OpenCL C
    .language_version:
      - 2
      - 0
    .max_flat_workgroup_size: 256
    .name:           _ZN7rocprim17ROCPRIM_400000_NS6detail17trampoline_kernelINS0_13select_configILj256ELj13ELNS0_17block_load_methodE3ELS4_3ELS4_3ELNS0_20block_scan_algorithmE0ELj4294967295EEENS1_25partition_config_selectorILNS1_17partition_subalgoE3EjNS0_10empty_typeEbEEZZNS1_14partition_implILS8_3ELb0ES6_jNS0_17counting_iteratorIjlEEPS9_SE_NS0_5tupleIJPjSE_EEENSF_IJSE_SE_EEES9_SG_JZNS1_25segmented_radix_sort_implINS0_14default_configELb0EPKdPdPKlPlN2at6native12_GLOBAL__N_18offset_tEEE10hipError_tPvRmT1_PNSt15iterator_traitsISY_E10value_typeET2_T3_PNSZ_IS14_E10value_typeET4_jRbjT5_S1A_jjP12ihipStream_tbEUljE_EEESV_SW_SX_S14_S18_S1A_T6_T7_T9_mT8_S1C_bDpT10_ENKUlT_T0_E_clISt17integral_constantIbLb0EES1O_IbLb1EEEEDaS1K_S1L_EUlS1K_E_NS1_11comp_targetILNS1_3genE3ELNS1_11target_archE908ELNS1_3gpuE7ELNS1_3repE0EEENS1_30default_config_static_selectorELNS0_4arch9wavefront6targetE0EEEvSY_
    .private_segment_fixed_size: 0
    .sgpr_count:     0
    .sgpr_spill_count: 0
    .symbol:         _ZN7rocprim17ROCPRIM_400000_NS6detail17trampoline_kernelINS0_13select_configILj256ELj13ELNS0_17block_load_methodE3ELS4_3ELS4_3ELNS0_20block_scan_algorithmE0ELj4294967295EEENS1_25partition_config_selectorILNS1_17partition_subalgoE3EjNS0_10empty_typeEbEEZZNS1_14partition_implILS8_3ELb0ES6_jNS0_17counting_iteratorIjlEEPS9_SE_NS0_5tupleIJPjSE_EEENSF_IJSE_SE_EEES9_SG_JZNS1_25segmented_radix_sort_implINS0_14default_configELb0EPKdPdPKlPlN2at6native12_GLOBAL__N_18offset_tEEE10hipError_tPvRmT1_PNSt15iterator_traitsISY_E10value_typeET2_T3_PNSZ_IS14_E10value_typeET4_jRbjT5_S1A_jjP12ihipStream_tbEUljE_EEESV_SW_SX_S14_S18_S1A_T6_T7_T9_mT8_S1C_bDpT10_ENKUlT_T0_E_clISt17integral_constantIbLb0EES1O_IbLb1EEEEDaS1K_S1L_EUlS1K_E_NS1_11comp_targetILNS1_3genE3ELNS1_11target_archE908ELNS1_3gpuE7ELNS1_3repE0EEENS1_30default_config_static_selectorELNS0_4arch9wavefront6targetE0EEEvSY_.kd
    .uniform_work_group_size: 1
    .uses_dynamic_stack: false
    .vgpr_count:     0
    .vgpr_spill_count: 0
    .wavefront_size: 32
    .workgroup_processor_mode: 1
  - .args:
      - .offset:         0
        .size:           152
        .value_kind:     by_value
    .group_segment_fixed_size: 0
    .kernarg_segment_align: 8
    .kernarg_segment_size: 152
    .language:       OpenCL C
    .language_version:
      - 2
      - 0
    .max_flat_workgroup_size: 256
    .name:           _ZN7rocprim17ROCPRIM_400000_NS6detail17trampoline_kernelINS0_13select_configILj256ELj13ELNS0_17block_load_methodE3ELS4_3ELS4_3ELNS0_20block_scan_algorithmE0ELj4294967295EEENS1_25partition_config_selectorILNS1_17partition_subalgoE3EjNS0_10empty_typeEbEEZZNS1_14partition_implILS8_3ELb0ES6_jNS0_17counting_iteratorIjlEEPS9_SE_NS0_5tupleIJPjSE_EEENSF_IJSE_SE_EEES9_SG_JZNS1_25segmented_radix_sort_implINS0_14default_configELb0EPKdPdPKlPlN2at6native12_GLOBAL__N_18offset_tEEE10hipError_tPvRmT1_PNSt15iterator_traitsISY_E10value_typeET2_T3_PNSZ_IS14_E10value_typeET4_jRbjT5_S1A_jjP12ihipStream_tbEUljE_EEESV_SW_SX_S14_S18_S1A_T6_T7_T9_mT8_S1C_bDpT10_ENKUlT_T0_E_clISt17integral_constantIbLb0EES1O_IbLb1EEEEDaS1K_S1L_EUlS1K_E_NS1_11comp_targetILNS1_3genE2ELNS1_11target_archE906ELNS1_3gpuE6ELNS1_3repE0EEENS1_30default_config_static_selectorELNS0_4arch9wavefront6targetE0EEEvSY_
    .private_segment_fixed_size: 0
    .sgpr_count:     0
    .sgpr_spill_count: 0
    .symbol:         _ZN7rocprim17ROCPRIM_400000_NS6detail17trampoline_kernelINS0_13select_configILj256ELj13ELNS0_17block_load_methodE3ELS4_3ELS4_3ELNS0_20block_scan_algorithmE0ELj4294967295EEENS1_25partition_config_selectorILNS1_17partition_subalgoE3EjNS0_10empty_typeEbEEZZNS1_14partition_implILS8_3ELb0ES6_jNS0_17counting_iteratorIjlEEPS9_SE_NS0_5tupleIJPjSE_EEENSF_IJSE_SE_EEES9_SG_JZNS1_25segmented_radix_sort_implINS0_14default_configELb0EPKdPdPKlPlN2at6native12_GLOBAL__N_18offset_tEEE10hipError_tPvRmT1_PNSt15iterator_traitsISY_E10value_typeET2_T3_PNSZ_IS14_E10value_typeET4_jRbjT5_S1A_jjP12ihipStream_tbEUljE_EEESV_SW_SX_S14_S18_S1A_T6_T7_T9_mT8_S1C_bDpT10_ENKUlT_T0_E_clISt17integral_constantIbLb0EES1O_IbLb1EEEEDaS1K_S1L_EUlS1K_E_NS1_11comp_targetILNS1_3genE2ELNS1_11target_archE906ELNS1_3gpuE6ELNS1_3repE0EEENS1_30default_config_static_selectorELNS0_4arch9wavefront6targetE0EEEvSY_.kd
    .uniform_work_group_size: 1
    .uses_dynamic_stack: false
    .vgpr_count:     0
    .vgpr_spill_count: 0
    .wavefront_size: 32
    .workgroup_processor_mode: 1
  - .args:
      - .offset:         0
        .size:           152
        .value_kind:     by_value
    .group_segment_fixed_size: 0
    .kernarg_segment_align: 8
    .kernarg_segment_size: 152
    .language:       OpenCL C
    .language_version:
      - 2
      - 0
    .max_flat_workgroup_size: 256
    .name:           _ZN7rocprim17ROCPRIM_400000_NS6detail17trampoline_kernelINS0_13select_configILj256ELj13ELNS0_17block_load_methodE3ELS4_3ELS4_3ELNS0_20block_scan_algorithmE0ELj4294967295EEENS1_25partition_config_selectorILNS1_17partition_subalgoE3EjNS0_10empty_typeEbEEZZNS1_14partition_implILS8_3ELb0ES6_jNS0_17counting_iteratorIjlEEPS9_SE_NS0_5tupleIJPjSE_EEENSF_IJSE_SE_EEES9_SG_JZNS1_25segmented_radix_sort_implINS0_14default_configELb0EPKdPdPKlPlN2at6native12_GLOBAL__N_18offset_tEEE10hipError_tPvRmT1_PNSt15iterator_traitsISY_E10value_typeET2_T3_PNSZ_IS14_E10value_typeET4_jRbjT5_S1A_jjP12ihipStream_tbEUljE_EEESV_SW_SX_S14_S18_S1A_T6_T7_T9_mT8_S1C_bDpT10_ENKUlT_T0_E_clISt17integral_constantIbLb0EES1O_IbLb1EEEEDaS1K_S1L_EUlS1K_E_NS1_11comp_targetILNS1_3genE10ELNS1_11target_archE1200ELNS1_3gpuE4ELNS1_3repE0EEENS1_30default_config_static_selectorELNS0_4arch9wavefront6targetE0EEEvSY_
    .private_segment_fixed_size: 0
    .sgpr_count:     0
    .sgpr_spill_count: 0
    .symbol:         _ZN7rocprim17ROCPRIM_400000_NS6detail17trampoline_kernelINS0_13select_configILj256ELj13ELNS0_17block_load_methodE3ELS4_3ELS4_3ELNS0_20block_scan_algorithmE0ELj4294967295EEENS1_25partition_config_selectorILNS1_17partition_subalgoE3EjNS0_10empty_typeEbEEZZNS1_14partition_implILS8_3ELb0ES6_jNS0_17counting_iteratorIjlEEPS9_SE_NS0_5tupleIJPjSE_EEENSF_IJSE_SE_EEES9_SG_JZNS1_25segmented_radix_sort_implINS0_14default_configELb0EPKdPdPKlPlN2at6native12_GLOBAL__N_18offset_tEEE10hipError_tPvRmT1_PNSt15iterator_traitsISY_E10value_typeET2_T3_PNSZ_IS14_E10value_typeET4_jRbjT5_S1A_jjP12ihipStream_tbEUljE_EEESV_SW_SX_S14_S18_S1A_T6_T7_T9_mT8_S1C_bDpT10_ENKUlT_T0_E_clISt17integral_constantIbLb0EES1O_IbLb1EEEEDaS1K_S1L_EUlS1K_E_NS1_11comp_targetILNS1_3genE10ELNS1_11target_archE1200ELNS1_3gpuE4ELNS1_3repE0EEENS1_30default_config_static_selectorELNS0_4arch9wavefront6targetE0EEEvSY_.kd
    .uniform_work_group_size: 1
    .uses_dynamic_stack: false
    .vgpr_count:     0
    .vgpr_spill_count: 0
    .wavefront_size: 32
    .workgroup_processor_mode: 1
  - .args:
      - .offset:         0
        .size:           152
        .value_kind:     by_value
    .group_segment_fixed_size: 0
    .kernarg_segment_align: 8
    .kernarg_segment_size: 152
    .language:       OpenCL C
    .language_version:
      - 2
      - 0
    .max_flat_workgroup_size: 256
    .name:           _ZN7rocprim17ROCPRIM_400000_NS6detail17trampoline_kernelINS0_13select_configILj256ELj13ELNS0_17block_load_methodE3ELS4_3ELS4_3ELNS0_20block_scan_algorithmE0ELj4294967295EEENS1_25partition_config_selectorILNS1_17partition_subalgoE3EjNS0_10empty_typeEbEEZZNS1_14partition_implILS8_3ELb0ES6_jNS0_17counting_iteratorIjlEEPS9_SE_NS0_5tupleIJPjSE_EEENSF_IJSE_SE_EEES9_SG_JZNS1_25segmented_radix_sort_implINS0_14default_configELb0EPKdPdPKlPlN2at6native12_GLOBAL__N_18offset_tEEE10hipError_tPvRmT1_PNSt15iterator_traitsISY_E10value_typeET2_T3_PNSZ_IS14_E10value_typeET4_jRbjT5_S1A_jjP12ihipStream_tbEUljE_EEESV_SW_SX_S14_S18_S1A_T6_T7_T9_mT8_S1C_bDpT10_ENKUlT_T0_E_clISt17integral_constantIbLb0EES1O_IbLb1EEEEDaS1K_S1L_EUlS1K_E_NS1_11comp_targetILNS1_3genE9ELNS1_11target_archE1100ELNS1_3gpuE3ELNS1_3repE0EEENS1_30default_config_static_selectorELNS0_4arch9wavefront6targetE0EEEvSY_
    .private_segment_fixed_size: 0
    .sgpr_count:     0
    .sgpr_spill_count: 0
    .symbol:         _ZN7rocprim17ROCPRIM_400000_NS6detail17trampoline_kernelINS0_13select_configILj256ELj13ELNS0_17block_load_methodE3ELS4_3ELS4_3ELNS0_20block_scan_algorithmE0ELj4294967295EEENS1_25partition_config_selectorILNS1_17partition_subalgoE3EjNS0_10empty_typeEbEEZZNS1_14partition_implILS8_3ELb0ES6_jNS0_17counting_iteratorIjlEEPS9_SE_NS0_5tupleIJPjSE_EEENSF_IJSE_SE_EEES9_SG_JZNS1_25segmented_radix_sort_implINS0_14default_configELb0EPKdPdPKlPlN2at6native12_GLOBAL__N_18offset_tEEE10hipError_tPvRmT1_PNSt15iterator_traitsISY_E10value_typeET2_T3_PNSZ_IS14_E10value_typeET4_jRbjT5_S1A_jjP12ihipStream_tbEUljE_EEESV_SW_SX_S14_S18_S1A_T6_T7_T9_mT8_S1C_bDpT10_ENKUlT_T0_E_clISt17integral_constantIbLb0EES1O_IbLb1EEEEDaS1K_S1L_EUlS1K_E_NS1_11comp_targetILNS1_3genE9ELNS1_11target_archE1100ELNS1_3gpuE3ELNS1_3repE0EEENS1_30default_config_static_selectorELNS0_4arch9wavefront6targetE0EEEvSY_.kd
    .uniform_work_group_size: 1
    .uses_dynamic_stack: false
    .vgpr_count:     0
    .vgpr_spill_count: 0
    .wavefront_size: 32
    .workgroup_processor_mode: 1
  - .args:
      - .offset:         0
        .size:           152
        .value_kind:     by_value
    .group_segment_fixed_size: 13320
    .kernarg_segment_align: 8
    .kernarg_segment_size: 152
    .language:       OpenCL C
    .language_version:
      - 2
      - 0
    .max_flat_workgroup_size: 256
    .name:           _ZN7rocprim17ROCPRIM_400000_NS6detail17trampoline_kernelINS0_13select_configILj256ELj13ELNS0_17block_load_methodE3ELS4_3ELS4_3ELNS0_20block_scan_algorithmE0ELj4294967295EEENS1_25partition_config_selectorILNS1_17partition_subalgoE3EjNS0_10empty_typeEbEEZZNS1_14partition_implILS8_3ELb0ES6_jNS0_17counting_iteratorIjlEEPS9_SE_NS0_5tupleIJPjSE_EEENSF_IJSE_SE_EEES9_SG_JZNS1_25segmented_radix_sort_implINS0_14default_configELb0EPKdPdPKlPlN2at6native12_GLOBAL__N_18offset_tEEE10hipError_tPvRmT1_PNSt15iterator_traitsISY_E10value_typeET2_T3_PNSZ_IS14_E10value_typeET4_jRbjT5_S1A_jjP12ihipStream_tbEUljE_EEESV_SW_SX_S14_S18_S1A_T6_T7_T9_mT8_S1C_bDpT10_ENKUlT_T0_E_clISt17integral_constantIbLb0EES1O_IbLb1EEEEDaS1K_S1L_EUlS1K_E_NS1_11comp_targetILNS1_3genE8ELNS1_11target_archE1030ELNS1_3gpuE2ELNS1_3repE0EEENS1_30default_config_static_selectorELNS0_4arch9wavefront6targetE0EEEvSY_
    .private_segment_fixed_size: 0
    .sgpr_count:     28
    .sgpr_spill_count: 0
    .symbol:         _ZN7rocprim17ROCPRIM_400000_NS6detail17trampoline_kernelINS0_13select_configILj256ELj13ELNS0_17block_load_methodE3ELS4_3ELS4_3ELNS0_20block_scan_algorithmE0ELj4294967295EEENS1_25partition_config_selectorILNS1_17partition_subalgoE3EjNS0_10empty_typeEbEEZZNS1_14partition_implILS8_3ELb0ES6_jNS0_17counting_iteratorIjlEEPS9_SE_NS0_5tupleIJPjSE_EEENSF_IJSE_SE_EEES9_SG_JZNS1_25segmented_radix_sort_implINS0_14default_configELb0EPKdPdPKlPlN2at6native12_GLOBAL__N_18offset_tEEE10hipError_tPvRmT1_PNSt15iterator_traitsISY_E10value_typeET2_T3_PNSZ_IS14_E10value_typeET4_jRbjT5_S1A_jjP12ihipStream_tbEUljE_EEESV_SW_SX_S14_S18_S1A_T6_T7_T9_mT8_S1C_bDpT10_ENKUlT_T0_E_clISt17integral_constantIbLb0EES1O_IbLb1EEEEDaS1K_S1L_EUlS1K_E_NS1_11comp_targetILNS1_3genE8ELNS1_11target_archE1030ELNS1_3gpuE2ELNS1_3repE0EEENS1_30default_config_static_selectorELNS0_4arch9wavefront6targetE0EEEvSY_.kd
    .uniform_work_group_size: 1
    .uses_dynamic_stack: false
    .vgpr_count:     71
    .vgpr_spill_count: 0
    .wavefront_size: 32
    .workgroup_processor_mode: 1
  - .args:
      - .offset:         0
        .size:           96
        .value_kind:     by_value
    .group_segment_fixed_size: 0
    .kernarg_segment_align: 8
    .kernarg_segment_size: 96
    .language:       OpenCL C
    .language_version:
      - 2
      - 0
    .max_flat_workgroup_size: 256
    .name:           _ZN7rocprim17ROCPRIM_400000_NS6detail17trampoline_kernelINS0_14default_configENS1_36segmented_radix_sort_config_selectorIdlEEZNS1_25segmented_radix_sort_implIS3_Lb0EPKdPdPKlPlN2at6native12_GLOBAL__N_18offset_tEEE10hipError_tPvRmT1_PNSt15iterator_traitsISK_E10value_typeET2_T3_PNSL_ISQ_E10value_typeET4_jRbjT5_SW_jjP12ihipStream_tbEUlT_E_NS1_11comp_targetILNS1_3genE0ELNS1_11target_archE4294967295ELNS1_3gpuE0ELNS1_3repE0EEENS1_30default_config_static_selectorELNS0_4arch9wavefront6targetE0EEEvSK_
    .private_segment_fixed_size: 0
    .sgpr_count:     0
    .sgpr_spill_count: 0
    .symbol:         _ZN7rocprim17ROCPRIM_400000_NS6detail17trampoline_kernelINS0_14default_configENS1_36segmented_radix_sort_config_selectorIdlEEZNS1_25segmented_radix_sort_implIS3_Lb0EPKdPdPKlPlN2at6native12_GLOBAL__N_18offset_tEEE10hipError_tPvRmT1_PNSt15iterator_traitsISK_E10value_typeET2_T3_PNSL_ISQ_E10value_typeET4_jRbjT5_SW_jjP12ihipStream_tbEUlT_E_NS1_11comp_targetILNS1_3genE0ELNS1_11target_archE4294967295ELNS1_3gpuE0ELNS1_3repE0EEENS1_30default_config_static_selectorELNS0_4arch9wavefront6targetE0EEEvSK_.kd
    .uniform_work_group_size: 1
    .uses_dynamic_stack: false
    .vgpr_count:     0
    .vgpr_spill_count: 0
    .wavefront_size: 32
    .workgroup_processor_mode: 1
  - .args:
      - .offset:         0
        .size:           96
        .value_kind:     by_value
    .group_segment_fixed_size: 0
    .kernarg_segment_align: 8
    .kernarg_segment_size: 96
    .language:       OpenCL C
    .language_version:
      - 2
      - 0
    .max_flat_workgroup_size: 256
    .name:           _ZN7rocprim17ROCPRIM_400000_NS6detail17trampoline_kernelINS0_14default_configENS1_36segmented_radix_sort_config_selectorIdlEEZNS1_25segmented_radix_sort_implIS3_Lb0EPKdPdPKlPlN2at6native12_GLOBAL__N_18offset_tEEE10hipError_tPvRmT1_PNSt15iterator_traitsISK_E10value_typeET2_T3_PNSL_ISQ_E10value_typeET4_jRbjT5_SW_jjP12ihipStream_tbEUlT_E_NS1_11comp_targetILNS1_3genE5ELNS1_11target_archE942ELNS1_3gpuE9ELNS1_3repE0EEENS1_30default_config_static_selectorELNS0_4arch9wavefront6targetE0EEEvSK_
    .private_segment_fixed_size: 0
    .sgpr_count:     0
    .sgpr_spill_count: 0
    .symbol:         _ZN7rocprim17ROCPRIM_400000_NS6detail17trampoline_kernelINS0_14default_configENS1_36segmented_radix_sort_config_selectorIdlEEZNS1_25segmented_radix_sort_implIS3_Lb0EPKdPdPKlPlN2at6native12_GLOBAL__N_18offset_tEEE10hipError_tPvRmT1_PNSt15iterator_traitsISK_E10value_typeET2_T3_PNSL_ISQ_E10value_typeET4_jRbjT5_SW_jjP12ihipStream_tbEUlT_E_NS1_11comp_targetILNS1_3genE5ELNS1_11target_archE942ELNS1_3gpuE9ELNS1_3repE0EEENS1_30default_config_static_selectorELNS0_4arch9wavefront6targetE0EEEvSK_.kd
    .uniform_work_group_size: 1
    .uses_dynamic_stack: false
    .vgpr_count:     0
    .vgpr_spill_count: 0
    .wavefront_size: 32
    .workgroup_processor_mode: 1
  - .args:
      - .offset:         0
        .size:           96
        .value_kind:     by_value
    .group_segment_fixed_size: 0
    .kernarg_segment_align: 8
    .kernarg_segment_size: 96
    .language:       OpenCL C
    .language_version:
      - 2
      - 0
    .max_flat_workgroup_size: 256
    .name:           _ZN7rocprim17ROCPRIM_400000_NS6detail17trampoline_kernelINS0_14default_configENS1_36segmented_radix_sort_config_selectorIdlEEZNS1_25segmented_radix_sort_implIS3_Lb0EPKdPdPKlPlN2at6native12_GLOBAL__N_18offset_tEEE10hipError_tPvRmT1_PNSt15iterator_traitsISK_E10value_typeET2_T3_PNSL_ISQ_E10value_typeET4_jRbjT5_SW_jjP12ihipStream_tbEUlT_E_NS1_11comp_targetILNS1_3genE4ELNS1_11target_archE910ELNS1_3gpuE8ELNS1_3repE0EEENS1_30default_config_static_selectorELNS0_4arch9wavefront6targetE0EEEvSK_
    .private_segment_fixed_size: 0
    .sgpr_count:     0
    .sgpr_spill_count: 0
    .symbol:         _ZN7rocprim17ROCPRIM_400000_NS6detail17trampoline_kernelINS0_14default_configENS1_36segmented_radix_sort_config_selectorIdlEEZNS1_25segmented_radix_sort_implIS3_Lb0EPKdPdPKlPlN2at6native12_GLOBAL__N_18offset_tEEE10hipError_tPvRmT1_PNSt15iterator_traitsISK_E10value_typeET2_T3_PNSL_ISQ_E10value_typeET4_jRbjT5_SW_jjP12ihipStream_tbEUlT_E_NS1_11comp_targetILNS1_3genE4ELNS1_11target_archE910ELNS1_3gpuE8ELNS1_3repE0EEENS1_30default_config_static_selectorELNS0_4arch9wavefront6targetE0EEEvSK_.kd
    .uniform_work_group_size: 1
    .uses_dynamic_stack: false
    .vgpr_count:     0
    .vgpr_spill_count: 0
    .wavefront_size: 32
    .workgroup_processor_mode: 1
  - .args:
      - .offset:         0
        .size:           96
        .value_kind:     by_value
    .group_segment_fixed_size: 0
    .kernarg_segment_align: 8
    .kernarg_segment_size: 96
    .language:       OpenCL C
    .language_version:
      - 2
      - 0
    .max_flat_workgroup_size: 256
    .name:           _ZN7rocprim17ROCPRIM_400000_NS6detail17trampoline_kernelINS0_14default_configENS1_36segmented_radix_sort_config_selectorIdlEEZNS1_25segmented_radix_sort_implIS3_Lb0EPKdPdPKlPlN2at6native12_GLOBAL__N_18offset_tEEE10hipError_tPvRmT1_PNSt15iterator_traitsISK_E10value_typeET2_T3_PNSL_ISQ_E10value_typeET4_jRbjT5_SW_jjP12ihipStream_tbEUlT_E_NS1_11comp_targetILNS1_3genE3ELNS1_11target_archE908ELNS1_3gpuE7ELNS1_3repE0EEENS1_30default_config_static_selectorELNS0_4arch9wavefront6targetE0EEEvSK_
    .private_segment_fixed_size: 0
    .sgpr_count:     0
    .sgpr_spill_count: 0
    .symbol:         _ZN7rocprim17ROCPRIM_400000_NS6detail17trampoline_kernelINS0_14default_configENS1_36segmented_radix_sort_config_selectorIdlEEZNS1_25segmented_radix_sort_implIS3_Lb0EPKdPdPKlPlN2at6native12_GLOBAL__N_18offset_tEEE10hipError_tPvRmT1_PNSt15iterator_traitsISK_E10value_typeET2_T3_PNSL_ISQ_E10value_typeET4_jRbjT5_SW_jjP12ihipStream_tbEUlT_E_NS1_11comp_targetILNS1_3genE3ELNS1_11target_archE908ELNS1_3gpuE7ELNS1_3repE0EEENS1_30default_config_static_selectorELNS0_4arch9wavefront6targetE0EEEvSK_.kd
    .uniform_work_group_size: 1
    .uses_dynamic_stack: false
    .vgpr_count:     0
    .vgpr_spill_count: 0
    .wavefront_size: 32
    .workgroup_processor_mode: 1
  - .args:
      - .offset:         0
        .size:           96
        .value_kind:     by_value
    .group_segment_fixed_size: 0
    .kernarg_segment_align: 8
    .kernarg_segment_size: 96
    .language:       OpenCL C
    .language_version:
      - 2
      - 0
    .max_flat_workgroup_size: 256
    .name:           _ZN7rocprim17ROCPRIM_400000_NS6detail17trampoline_kernelINS0_14default_configENS1_36segmented_radix_sort_config_selectorIdlEEZNS1_25segmented_radix_sort_implIS3_Lb0EPKdPdPKlPlN2at6native12_GLOBAL__N_18offset_tEEE10hipError_tPvRmT1_PNSt15iterator_traitsISK_E10value_typeET2_T3_PNSL_ISQ_E10value_typeET4_jRbjT5_SW_jjP12ihipStream_tbEUlT_E_NS1_11comp_targetILNS1_3genE2ELNS1_11target_archE906ELNS1_3gpuE6ELNS1_3repE0EEENS1_30default_config_static_selectorELNS0_4arch9wavefront6targetE0EEEvSK_
    .private_segment_fixed_size: 0
    .sgpr_count:     0
    .sgpr_spill_count: 0
    .symbol:         _ZN7rocprim17ROCPRIM_400000_NS6detail17trampoline_kernelINS0_14default_configENS1_36segmented_radix_sort_config_selectorIdlEEZNS1_25segmented_radix_sort_implIS3_Lb0EPKdPdPKlPlN2at6native12_GLOBAL__N_18offset_tEEE10hipError_tPvRmT1_PNSt15iterator_traitsISK_E10value_typeET2_T3_PNSL_ISQ_E10value_typeET4_jRbjT5_SW_jjP12ihipStream_tbEUlT_E_NS1_11comp_targetILNS1_3genE2ELNS1_11target_archE906ELNS1_3gpuE6ELNS1_3repE0EEENS1_30default_config_static_selectorELNS0_4arch9wavefront6targetE0EEEvSK_.kd
    .uniform_work_group_size: 1
    .uses_dynamic_stack: false
    .vgpr_count:     0
    .vgpr_spill_count: 0
    .wavefront_size: 32
    .workgroup_processor_mode: 1
  - .args:
      - .offset:         0
        .size:           96
        .value_kind:     by_value
    .group_segment_fixed_size: 0
    .kernarg_segment_align: 8
    .kernarg_segment_size: 96
    .language:       OpenCL C
    .language_version:
      - 2
      - 0
    .max_flat_workgroup_size: 256
    .name:           _ZN7rocprim17ROCPRIM_400000_NS6detail17trampoline_kernelINS0_14default_configENS1_36segmented_radix_sort_config_selectorIdlEEZNS1_25segmented_radix_sort_implIS3_Lb0EPKdPdPKlPlN2at6native12_GLOBAL__N_18offset_tEEE10hipError_tPvRmT1_PNSt15iterator_traitsISK_E10value_typeET2_T3_PNSL_ISQ_E10value_typeET4_jRbjT5_SW_jjP12ihipStream_tbEUlT_E_NS1_11comp_targetILNS1_3genE10ELNS1_11target_archE1201ELNS1_3gpuE5ELNS1_3repE0EEENS1_30default_config_static_selectorELNS0_4arch9wavefront6targetE0EEEvSK_
    .private_segment_fixed_size: 0
    .sgpr_count:     0
    .sgpr_spill_count: 0
    .symbol:         _ZN7rocprim17ROCPRIM_400000_NS6detail17trampoline_kernelINS0_14default_configENS1_36segmented_radix_sort_config_selectorIdlEEZNS1_25segmented_radix_sort_implIS3_Lb0EPKdPdPKlPlN2at6native12_GLOBAL__N_18offset_tEEE10hipError_tPvRmT1_PNSt15iterator_traitsISK_E10value_typeET2_T3_PNSL_ISQ_E10value_typeET4_jRbjT5_SW_jjP12ihipStream_tbEUlT_E_NS1_11comp_targetILNS1_3genE10ELNS1_11target_archE1201ELNS1_3gpuE5ELNS1_3repE0EEENS1_30default_config_static_selectorELNS0_4arch9wavefront6targetE0EEEvSK_.kd
    .uniform_work_group_size: 1
    .uses_dynamic_stack: false
    .vgpr_count:     0
    .vgpr_spill_count: 0
    .wavefront_size: 32
    .workgroup_processor_mode: 1
  - .args:
      - .offset:         0
        .size:           96
        .value_kind:     by_value
    .group_segment_fixed_size: 0
    .kernarg_segment_align: 8
    .kernarg_segment_size: 96
    .language:       OpenCL C
    .language_version:
      - 2
      - 0
    .max_flat_workgroup_size: 128
    .name:           _ZN7rocprim17ROCPRIM_400000_NS6detail17trampoline_kernelINS0_14default_configENS1_36segmented_radix_sort_config_selectorIdlEEZNS1_25segmented_radix_sort_implIS3_Lb0EPKdPdPKlPlN2at6native12_GLOBAL__N_18offset_tEEE10hipError_tPvRmT1_PNSt15iterator_traitsISK_E10value_typeET2_T3_PNSL_ISQ_E10value_typeET4_jRbjT5_SW_jjP12ihipStream_tbEUlT_E_NS1_11comp_targetILNS1_3genE10ELNS1_11target_archE1200ELNS1_3gpuE4ELNS1_3repE0EEENS1_30default_config_static_selectorELNS0_4arch9wavefront6targetE0EEEvSK_
    .private_segment_fixed_size: 0
    .sgpr_count:     0
    .sgpr_spill_count: 0
    .symbol:         _ZN7rocprim17ROCPRIM_400000_NS6detail17trampoline_kernelINS0_14default_configENS1_36segmented_radix_sort_config_selectorIdlEEZNS1_25segmented_radix_sort_implIS3_Lb0EPKdPdPKlPlN2at6native12_GLOBAL__N_18offset_tEEE10hipError_tPvRmT1_PNSt15iterator_traitsISK_E10value_typeET2_T3_PNSL_ISQ_E10value_typeET4_jRbjT5_SW_jjP12ihipStream_tbEUlT_E_NS1_11comp_targetILNS1_3genE10ELNS1_11target_archE1200ELNS1_3gpuE4ELNS1_3repE0EEENS1_30default_config_static_selectorELNS0_4arch9wavefront6targetE0EEEvSK_.kd
    .uniform_work_group_size: 1
    .uses_dynamic_stack: false
    .vgpr_count:     0
    .vgpr_spill_count: 0
    .wavefront_size: 32
    .workgroup_processor_mode: 1
  - .args:
      - .offset:         0
        .size:           96
        .value_kind:     by_value
    .group_segment_fixed_size: 0
    .kernarg_segment_align: 8
    .kernarg_segment_size: 96
    .language:       OpenCL C
    .language_version:
      - 2
      - 0
    .max_flat_workgroup_size: 256
    .name:           _ZN7rocprim17ROCPRIM_400000_NS6detail17trampoline_kernelINS0_14default_configENS1_36segmented_radix_sort_config_selectorIdlEEZNS1_25segmented_radix_sort_implIS3_Lb0EPKdPdPKlPlN2at6native12_GLOBAL__N_18offset_tEEE10hipError_tPvRmT1_PNSt15iterator_traitsISK_E10value_typeET2_T3_PNSL_ISQ_E10value_typeET4_jRbjT5_SW_jjP12ihipStream_tbEUlT_E_NS1_11comp_targetILNS1_3genE9ELNS1_11target_archE1100ELNS1_3gpuE3ELNS1_3repE0EEENS1_30default_config_static_selectorELNS0_4arch9wavefront6targetE0EEEvSK_
    .private_segment_fixed_size: 0
    .sgpr_count:     0
    .sgpr_spill_count: 0
    .symbol:         _ZN7rocprim17ROCPRIM_400000_NS6detail17trampoline_kernelINS0_14default_configENS1_36segmented_radix_sort_config_selectorIdlEEZNS1_25segmented_radix_sort_implIS3_Lb0EPKdPdPKlPlN2at6native12_GLOBAL__N_18offset_tEEE10hipError_tPvRmT1_PNSt15iterator_traitsISK_E10value_typeET2_T3_PNSL_ISQ_E10value_typeET4_jRbjT5_SW_jjP12ihipStream_tbEUlT_E_NS1_11comp_targetILNS1_3genE9ELNS1_11target_archE1100ELNS1_3gpuE3ELNS1_3repE0EEENS1_30default_config_static_selectorELNS0_4arch9wavefront6targetE0EEEvSK_.kd
    .uniform_work_group_size: 1
    .uses_dynamic_stack: false
    .vgpr_count:     0
    .vgpr_spill_count: 0
    .wavefront_size: 32
    .workgroup_processor_mode: 1
  - .args:
      - .offset:         0
        .size:           96
        .value_kind:     by_value
      - .offset:         96
        .size:           4
        .value_kind:     hidden_block_count_x
      - .offset:         100
        .size:           4
        .value_kind:     hidden_block_count_y
      - .offset:         104
        .size:           4
        .value_kind:     hidden_block_count_z
      - .offset:         108
        .size:           2
        .value_kind:     hidden_group_size_x
      - .offset:         110
        .size:           2
        .value_kind:     hidden_group_size_y
      - .offset:         112
        .size:           2
        .value_kind:     hidden_group_size_z
      - .offset:         114
        .size:           2
        .value_kind:     hidden_remainder_x
      - .offset:         116
        .size:           2
        .value_kind:     hidden_remainder_y
      - .offset:         118
        .size:           2
        .value_kind:     hidden_remainder_z
      - .offset:         136
        .size:           8
        .value_kind:     hidden_global_offset_x
      - .offset:         144
        .size:           8
        .value_kind:     hidden_global_offset_y
      - .offset:         152
        .size:           8
        .value_kind:     hidden_global_offset_z
      - .offset:         160
        .size:           2
        .value_kind:     hidden_grid_dims
    .group_segment_fixed_size: 33296
    .kernarg_segment_align: 8
    .kernarg_segment_size: 352
    .language:       OpenCL C
    .language_version:
      - 2
      - 0
    .max_flat_workgroup_size: 256
    .name:           _ZN7rocprim17ROCPRIM_400000_NS6detail17trampoline_kernelINS0_14default_configENS1_36segmented_radix_sort_config_selectorIdlEEZNS1_25segmented_radix_sort_implIS3_Lb0EPKdPdPKlPlN2at6native12_GLOBAL__N_18offset_tEEE10hipError_tPvRmT1_PNSt15iterator_traitsISK_E10value_typeET2_T3_PNSL_ISQ_E10value_typeET4_jRbjT5_SW_jjP12ihipStream_tbEUlT_E_NS1_11comp_targetILNS1_3genE8ELNS1_11target_archE1030ELNS1_3gpuE2ELNS1_3repE0EEENS1_30default_config_static_selectorELNS0_4arch9wavefront6targetE0EEEvSK_
    .private_segment_fixed_size: 176
    .sgpr_count:     72
    .sgpr_spill_count: 0
    .symbol:         _ZN7rocprim17ROCPRIM_400000_NS6detail17trampoline_kernelINS0_14default_configENS1_36segmented_radix_sort_config_selectorIdlEEZNS1_25segmented_radix_sort_implIS3_Lb0EPKdPdPKlPlN2at6native12_GLOBAL__N_18offset_tEEE10hipError_tPvRmT1_PNSt15iterator_traitsISK_E10value_typeET2_T3_PNSL_ISQ_E10value_typeET4_jRbjT5_SW_jjP12ihipStream_tbEUlT_E_NS1_11comp_targetILNS1_3genE8ELNS1_11target_archE1030ELNS1_3gpuE2ELNS1_3repE0EEENS1_30default_config_static_selectorELNS0_4arch9wavefront6targetE0EEEvSK_.kd
    .uniform_work_group_size: 1
    .uses_dynamic_stack: false
    .vgpr_count:     248
    .vgpr_spill_count: 0
    .wavefront_size: 32
    .workgroup_processor_mode: 1
  - .args:
      - .offset:         0
        .size:           88
        .value_kind:     by_value
    .group_segment_fixed_size: 0
    .kernarg_segment_align: 8
    .kernarg_segment_size: 88
    .language:       OpenCL C
    .language_version:
      - 2
      - 0
    .max_flat_workgroup_size: 256
    .name:           _ZN7rocprim17ROCPRIM_400000_NS6detail17trampoline_kernelINS0_14default_configENS1_36segmented_radix_sort_config_selectorIdlEEZNS1_25segmented_radix_sort_implIS3_Lb0EPKdPdPKlPlN2at6native12_GLOBAL__N_18offset_tEEE10hipError_tPvRmT1_PNSt15iterator_traitsISK_E10value_typeET2_T3_PNSL_ISQ_E10value_typeET4_jRbjT5_SW_jjP12ihipStream_tbEUlT_E0_NS1_11comp_targetILNS1_3genE0ELNS1_11target_archE4294967295ELNS1_3gpuE0ELNS1_3repE0EEENS1_60segmented_radix_sort_warp_sort_medium_config_static_selectorELNS0_4arch9wavefront6targetE0EEEvSK_
    .private_segment_fixed_size: 0
    .sgpr_count:     0
    .sgpr_spill_count: 0
    .symbol:         _ZN7rocprim17ROCPRIM_400000_NS6detail17trampoline_kernelINS0_14default_configENS1_36segmented_radix_sort_config_selectorIdlEEZNS1_25segmented_radix_sort_implIS3_Lb0EPKdPdPKlPlN2at6native12_GLOBAL__N_18offset_tEEE10hipError_tPvRmT1_PNSt15iterator_traitsISK_E10value_typeET2_T3_PNSL_ISQ_E10value_typeET4_jRbjT5_SW_jjP12ihipStream_tbEUlT_E0_NS1_11comp_targetILNS1_3genE0ELNS1_11target_archE4294967295ELNS1_3gpuE0ELNS1_3repE0EEENS1_60segmented_radix_sort_warp_sort_medium_config_static_selectorELNS0_4arch9wavefront6targetE0EEEvSK_.kd
    .uniform_work_group_size: 1
    .uses_dynamic_stack: false
    .vgpr_count:     0
    .vgpr_spill_count: 0
    .wavefront_size: 32
    .workgroup_processor_mode: 1
  - .args:
      - .offset:         0
        .size:           88
        .value_kind:     by_value
    .group_segment_fixed_size: 0
    .kernarg_segment_align: 8
    .kernarg_segment_size: 88
    .language:       OpenCL C
    .language_version:
      - 2
      - 0
    .max_flat_workgroup_size: 256
    .name:           _ZN7rocprim17ROCPRIM_400000_NS6detail17trampoline_kernelINS0_14default_configENS1_36segmented_radix_sort_config_selectorIdlEEZNS1_25segmented_radix_sort_implIS3_Lb0EPKdPdPKlPlN2at6native12_GLOBAL__N_18offset_tEEE10hipError_tPvRmT1_PNSt15iterator_traitsISK_E10value_typeET2_T3_PNSL_ISQ_E10value_typeET4_jRbjT5_SW_jjP12ihipStream_tbEUlT_E0_NS1_11comp_targetILNS1_3genE5ELNS1_11target_archE942ELNS1_3gpuE9ELNS1_3repE0EEENS1_60segmented_radix_sort_warp_sort_medium_config_static_selectorELNS0_4arch9wavefront6targetE0EEEvSK_
    .private_segment_fixed_size: 0
    .sgpr_count:     0
    .sgpr_spill_count: 0
    .symbol:         _ZN7rocprim17ROCPRIM_400000_NS6detail17trampoline_kernelINS0_14default_configENS1_36segmented_radix_sort_config_selectorIdlEEZNS1_25segmented_radix_sort_implIS3_Lb0EPKdPdPKlPlN2at6native12_GLOBAL__N_18offset_tEEE10hipError_tPvRmT1_PNSt15iterator_traitsISK_E10value_typeET2_T3_PNSL_ISQ_E10value_typeET4_jRbjT5_SW_jjP12ihipStream_tbEUlT_E0_NS1_11comp_targetILNS1_3genE5ELNS1_11target_archE942ELNS1_3gpuE9ELNS1_3repE0EEENS1_60segmented_radix_sort_warp_sort_medium_config_static_selectorELNS0_4arch9wavefront6targetE0EEEvSK_.kd
    .uniform_work_group_size: 1
    .uses_dynamic_stack: false
    .vgpr_count:     0
    .vgpr_spill_count: 0
    .wavefront_size: 32
    .workgroup_processor_mode: 1
  - .args:
      - .offset:         0
        .size:           88
        .value_kind:     by_value
    .group_segment_fixed_size: 0
    .kernarg_segment_align: 8
    .kernarg_segment_size: 88
    .language:       OpenCL C
    .language_version:
      - 2
      - 0
    .max_flat_workgroup_size: 256
    .name:           _ZN7rocprim17ROCPRIM_400000_NS6detail17trampoline_kernelINS0_14default_configENS1_36segmented_radix_sort_config_selectorIdlEEZNS1_25segmented_radix_sort_implIS3_Lb0EPKdPdPKlPlN2at6native12_GLOBAL__N_18offset_tEEE10hipError_tPvRmT1_PNSt15iterator_traitsISK_E10value_typeET2_T3_PNSL_ISQ_E10value_typeET4_jRbjT5_SW_jjP12ihipStream_tbEUlT_E0_NS1_11comp_targetILNS1_3genE4ELNS1_11target_archE910ELNS1_3gpuE8ELNS1_3repE0EEENS1_60segmented_radix_sort_warp_sort_medium_config_static_selectorELNS0_4arch9wavefront6targetE0EEEvSK_
    .private_segment_fixed_size: 0
    .sgpr_count:     0
    .sgpr_spill_count: 0
    .symbol:         _ZN7rocprim17ROCPRIM_400000_NS6detail17trampoline_kernelINS0_14default_configENS1_36segmented_radix_sort_config_selectorIdlEEZNS1_25segmented_radix_sort_implIS3_Lb0EPKdPdPKlPlN2at6native12_GLOBAL__N_18offset_tEEE10hipError_tPvRmT1_PNSt15iterator_traitsISK_E10value_typeET2_T3_PNSL_ISQ_E10value_typeET4_jRbjT5_SW_jjP12ihipStream_tbEUlT_E0_NS1_11comp_targetILNS1_3genE4ELNS1_11target_archE910ELNS1_3gpuE8ELNS1_3repE0EEENS1_60segmented_radix_sort_warp_sort_medium_config_static_selectorELNS0_4arch9wavefront6targetE0EEEvSK_.kd
    .uniform_work_group_size: 1
    .uses_dynamic_stack: false
    .vgpr_count:     0
    .vgpr_spill_count: 0
    .wavefront_size: 32
    .workgroup_processor_mode: 1
  - .args:
      - .offset:         0
        .size:           88
        .value_kind:     by_value
    .group_segment_fixed_size: 0
    .kernarg_segment_align: 8
    .kernarg_segment_size: 88
    .language:       OpenCL C
    .language_version:
      - 2
      - 0
    .max_flat_workgroup_size: 256
    .name:           _ZN7rocprim17ROCPRIM_400000_NS6detail17trampoline_kernelINS0_14default_configENS1_36segmented_radix_sort_config_selectorIdlEEZNS1_25segmented_radix_sort_implIS3_Lb0EPKdPdPKlPlN2at6native12_GLOBAL__N_18offset_tEEE10hipError_tPvRmT1_PNSt15iterator_traitsISK_E10value_typeET2_T3_PNSL_ISQ_E10value_typeET4_jRbjT5_SW_jjP12ihipStream_tbEUlT_E0_NS1_11comp_targetILNS1_3genE3ELNS1_11target_archE908ELNS1_3gpuE7ELNS1_3repE0EEENS1_60segmented_radix_sort_warp_sort_medium_config_static_selectorELNS0_4arch9wavefront6targetE0EEEvSK_
    .private_segment_fixed_size: 0
    .sgpr_count:     0
    .sgpr_spill_count: 0
    .symbol:         _ZN7rocprim17ROCPRIM_400000_NS6detail17trampoline_kernelINS0_14default_configENS1_36segmented_radix_sort_config_selectorIdlEEZNS1_25segmented_radix_sort_implIS3_Lb0EPKdPdPKlPlN2at6native12_GLOBAL__N_18offset_tEEE10hipError_tPvRmT1_PNSt15iterator_traitsISK_E10value_typeET2_T3_PNSL_ISQ_E10value_typeET4_jRbjT5_SW_jjP12ihipStream_tbEUlT_E0_NS1_11comp_targetILNS1_3genE3ELNS1_11target_archE908ELNS1_3gpuE7ELNS1_3repE0EEENS1_60segmented_radix_sort_warp_sort_medium_config_static_selectorELNS0_4arch9wavefront6targetE0EEEvSK_.kd
    .uniform_work_group_size: 1
    .uses_dynamic_stack: false
    .vgpr_count:     0
    .vgpr_spill_count: 0
    .wavefront_size: 32
    .workgroup_processor_mode: 1
  - .args:
      - .offset:         0
        .size:           88
        .value_kind:     by_value
    .group_segment_fixed_size: 0
    .kernarg_segment_align: 8
    .kernarg_segment_size: 88
    .language:       OpenCL C
    .language_version:
      - 2
      - 0
    .max_flat_workgroup_size: 256
    .name:           _ZN7rocprim17ROCPRIM_400000_NS6detail17trampoline_kernelINS0_14default_configENS1_36segmented_radix_sort_config_selectorIdlEEZNS1_25segmented_radix_sort_implIS3_Lb0EPKdPdPKlPlN2at6native12_GLOBAL__N_18offset_tEEE10hipError_tPvRmT1_PNSt15iterator_traitsISK_E10value_typeET2_T3_PNSL_ISQ_E10value_typeET4_jRbjT5_SW_jjP12ihipStream_tbEUlT_E0_NS1_11comp_targetILNS1_3genE2ELNS1_11target_archE906ELNS1_3gpuE6ELNS1_3repE0EEENS1_60segmented_radix_sort_warp_sort_medium_config_static_selectorELNS0_4arch9wavefront6targetE0EEEvSK_
    .private_segment_fixed_size: 0
    .sgpr_count:     0
    .sgpr_spill_count: 0
    .symbol:         _ZN7rocprim17ROCPRIM_400000_NS6detail17trampoline_kernelINS0_14default_configENS1_36segmented_radix_sort_config_selectorIdlEEZNS1_25segmented_radix_sort_implIS3_Lb0EPKdPdPKlPlN2at6native12_GLOBAL__N_18offset_tEEE10hipError_tPvRmT1_PNSt15iterator_traitsISK_E10value_typeET2_T3_PNSL_ISQ_E10value_typeET4_jRbjT5_SW_jjP12ihipStream_tbEUlT_E0_NS1_11comp_targetILNS1_3genE2ELNS1_11target_archE906ELNS1_3gpuE6ELNS1_3repE0EEENS1_60segmented_radix_sort_warp_sort_medium_config_static_selectorELNS0_4arch9wavefront6targetE0EEEvSK_.kd
    .uniform_work_group_size: 1
    .uses_dynamic_stack: false
    .vgpr_count:     0
    .vgpr_spill_count: 0
    .wavefront_size: 32
    .workgroup_processor_mode: 1
  - .args:
      - .offset:         0
        .size:           88
        .value_kind:     by_value
    .group_segment_fixed_size: 0
    .kernarg_segment_align: 8
    .kernarg_segment_size: 88
    .language:       OpenCL C
    .language_version:
      - 2
      - 0
    .max_flat_workgroup_size: 256
    .name:           _ZN7rocprim17ROCPRIM_400000_NS6detail17trampoline_kernelINS0_14default_configENS1_36segmented_radix_sort_config_selectorIdlEEZNS1_25segmented_radix_sort_implIS3_Lb0EPKdPdPKlPlN2at6native12_GLOBAL__N_18offset_tEEE10hipError_tPvRmT1_PNSt15iterator_traitsISK_E10value_typeET2_T3_PNSL_ISQ_E10value_typeET4_jRbjT5_SW_jjP12ihipStream_tbEUlT_E0_NS1_11comp_targetILNS1_3genE10ELNS1_11target_archE1201ELNS1_3gpuE5ELNS1_3repE0EEENS1_60segmented_radix_sort_warp_sort_medium_config_static_selectorELNS0_4arch9wavefront6targetE0EEEvSK_
    .private_segment_fixed_size: 0
    .sgpr_count:     0
    .sgpr_spill_count: 0
    .symbol:         _ZN7rocprim17ROCPRIM_400000_NS6detail17trampoline_kernelINS0_14default_configENS1_36segmented_radix_sort_config_selectorIdlEEZNS1_25segmented_radix_sort_implIS3_Lb0EPKdPdPKlPlN2at6native12_GLOBAL__N_18offset_tEEE10hipError_tPvRmT1_PNSt15iterator_traitsISK_E10value_typeET2_T3_PNSL_ISQ_E10value_typeET4_jRbjT5_SW_jjP12ihipStream_tbEUlT_E0_NS1_11comp_targetILNS1_3genE10ELNS1_11target_archE1201ELNS1_3gpuE5ELNS1_3repE0EEENS1_60segmented_radix_sort_warp_sort_medium_config_static_selectorELNS0_4arch9wavefront6targetE0EEEvSK_.kd
    .uniform_work_group_size: 1
    .uses_dynamic_stack: false
    .vgpr_count:     0
    .vgpr_spill_count: 0
    .wavefront_size: 32
    .workgroup_processor_mode: 1
  - .args:
      - .offset:         0
        .size:           88
        .value_kind:     by_value
    .group_segment_fixed_size: 0
    .kernarg_segment_align: 8
    .kernarg_segment_size: 88
    .language:       OpenCL C
    .language_version:
      - 2
      - 0
    .max_flat_workgroup_size: 256
    .name:           _ZN7rocprim17ROCPRIM_400000_NS6detail17trampoline_kernelINS0_14default_configENS1_36segmented_radix_sort_config_selectorIdlEEZNS1_25segmented_radix_sort_implIS3_Lb0EPKdPdPKlPlN2at6native12_GLOBAL__N_18offset_tEEE10hipError_tPvRmT1_PNSt15iterator_traitsISK_E10value_typeET2_T3_PNSL_ISQ_E10value_typeET4_jRbjT5_SW_jjP12ihipStream_tbEUlT_E0_NS1_11comp_targetILNS1_3genE10ELNS1_11target_archE1200ELNS1_3gpuE4ELNS1_3repE0EEENS1_60segmented_radix_sort_warp_sort_medium_config_static_selectorELNS0_4arch9wavefront6targetE0EEEvSK_
    .private_segment_fixed_size: 0
    .sgpr_count:     0
    .sgpr_spill_count: 0
    .symbol:         _ZN7rocprim17ROCPRIM_400000_NS6detail17trampoline_kernelINS0_14default_configENS1_36segmented_radix_sort_config_selectorIdlEEZNS1_25segmented_radix_sort_implIS3_Lb0EPKdPdPKlPlN2at6native12_GLOBAL__N_18offset_tEEE10hipError_tPvRmT1_PNSt15iterator_traitsISK_E10value_typeET2_T3_PNSL_ISQ_E10value_typeET4_jRbjT5_SW_jjP12ihipStream_tbEUlT_E0_NS1_11comp_targetILNS1_3genE10ELNS1_11target_archE1200ELNS1_3gpuE4ELNS1_3repE0EEENS1_60segmented_radix_sort_warp_sort_medium_config_static_selectorELNS0_4arch9wavefront6targetE0EEEvSK_.kd
    .uniform_work_group_size: 1
    .uses_dynamic_stack: false
    .vgpr_count:     0
    .vgpr_spill_count: 0
    .wavefront_size: 32
    .workgroup_processor_mode: 1
  - .args:
      - .offset:         0
        .size:           88
        .value_kind:     by_value
    .group_segment_fixed_size: 0
    .kernarg_segment_align: 8
    .kernarg_segment_size: 88
    .language:       OpenCL C
    .language_version:
      - 2
      - 0
    .max_flat_workgroup_size: 256
    .name:           _ZN7rocprim17ROCPRIM_400000_NS6detail17trampoline_kernelINS0_14default_configENS1_36segmented_radix_sort_config_selectorIdlEEZNS1_25segmented_radix_sort_implIS3_Lb0EPKdPdPKlPlN2at6native12_GLOBAL__N_18offset_tEEE10hipError_tPvRmT1_PNSt15iterator_traitsISK_E10value_typeET2_T3_PNSL_ISQ_E10value_typeET4_jRbjT5_SW_jjP12ihipStream_tbEUlT_E0_NS1_11comp_targetILNS1_3genE9ELNS1_11target_archE1100ELNS1_3gpuE3ELNS1_3repE0EEENS1_60segmented_radix_sort_warp_sort_medium_config_static_selectorELNS0_4arch9wavefront6targetE0EEEvSK_
    .private_segment_fixed_size: 0
    .sgpr_count:     0
    .sgpr_spill_count: 0
    .symbol:         _ZN7rocprim17ROCPRIM_400000_NS6detail17trampoline_kernelINS0_14default_configENS1_36segmented_radix_sort_config_selectorIdlEEZNS1_25segmented_radix_sort_implIS3_Lb0EPKdPdPKlPlN2at6native12_GLOBAL__N_18offset_tEEE10hipError_tPvRmT1_PNSt15iterator_traitsISK_E10value_typeET2_T3_PNSL_ISQ_E10value_typeET4_jRbjT5_SW_jjP12ihipStream_tbEUlT_E0_NS1_11comp_targetILNS1_3genE9ELNS1_11target_archE1100ELNS1_3gpuE3ELNS1_3repE0EEENS1_60segmented_radix_sort_warp_sort_medium_config_static_selectorELNS0_4arch9wavefront6targetE0EEEvSK_.kd
    .uniform_work_group_size: 1
    .uses_dynamic_stack: false
    .vgpr_count:     0
    .vgpr_spill_count: 0
    .wavefront_size: 32
    .workgroup_processor_mode: 1
  - .args:
      - .offset:         0
        .size:           88
        .value_kind:     by_value
      - .offset:         88
        .size:           4
        .value_kind:     hidden_block_count_x
      - .offset:         92
        .size:           4
        .value_kind:     hidden_block_count_y
      - .offset:         96
        .size:           4
        .value_kind:     hidden_block_count_z
      - .offset:         100
        .size:           2
        .value_kind:     hidden_group_size_x
      - .offset:         102
        .size:           2
        .value_kind:     hidden_group_size_y
      - .offset:         104
        .size:           2
        .value_kind:     hidden_group_size_z
      - .offset:         106
        .size:           2
        .value_kind:     hidden_remainder_x
      - .offset:         108
        .size:           2
        .value_kind:     hidden_remainder_y
      - .offset:         110
        .size:           2
        .value_kind:     hidden_remainder_z
      - .offset:         128
        .size:           8
        .value_kind:     hidden_global_offset_x
      - .offset:         136
        .size:           8
        .value_kind:     hidden_global_offset_y
      - .offset:         144
        .size:           8
        .value_kind:     hidden_global_offset_z
      - .offset:         152
        .size:           2
        .value_kind:     hidden_grid_dims
    .group_segment_fixed_size: 65536
    .kernarg_segment_align: 8
    .kernarg_segment_size: 344
    .language:       OpenCL C
    .language_version:
      - 2
      - 0
    .max_flat_workgroup_size: 256
    .name:           _ZN7rocprim17ROCPRIM_400000_NS6detail17trampoline_kernelINS0_14default_configENS1_36segmented_radix_sort_config_selectorIdlEEZNS1_25segmented_radix_sort_implIS3_Lb0EPKdPdPKlPlN2at6native12_GLOBAL__N_18offset_tEEE10hipError_tPvRmT1_PNSt15iterator_traitsISK_E10value_typeET2_T3_PNSL_ISQ_E10value_typeET4_jRbjT5_SW_jjP12ihipStream_tbEUlT_E0_NS1_11comp_targetILNS1_3genE8ELNS1_11target_archE1030ELNS1_3gpuE2ELNS1_3repE0EEENS1_60segmented_radix_sort_warp_sort_medium_config_static_selectorELNS0_4arch9wavefront6targetE0EEEvSK_
    .private_segment_fixed_size: 0
    .sgpr_count:     59
    .sgpr_spill_count: 0
    .symbol:         _ZN7rocprim17ROCPRIM_400000_NS6detail17trampoline_kernelINS0_14default_configENS1_36segmented_radix_sort_config_selectorIdlEEZNS1_25segmented_radix_sort_implIS3_Lb0EPKdPdPKlPlN2at6native12_GLOBAL__N_18offset_tEEE10hipError_tPvRmT1_PNSt15iterator_traitsISK_E10value_typeET2_T3_PNSL_ISQ_E10value_typeET4_jRbjT5_SW_jjP12ihipStream_tbEUlT_E0_NS1_11comp_targetILNS1_3genE8ELNS1_11target_archE1030ELNS1_3gpuE2ELNS1_3repE0EEENS1_60segmented_radix_sort_warp_sort_medium_config_static_selectorELNS0_4arch9wavefront6targetE0EEEvSK_.kd
    .uniform_work_group_size: 1
    .uses_dynamic_stack: false
    .vgpr_count:     212
    .vgpr_spill_count: 0
    .wavefront_size: 32
    .workgroup_processor_mode: 1
  - .args:
      - .offset:         0
        .size:           88
        .value_kind:     by_value
    .group_segment_fixed_size: 0
    .kernarg_segment_align: 8
    .kernarg_segment_size: 88
    .language:       OpenCL C
    .language_version:
      - 2
      - 0
    .max_flat_workgroup_size: 256
    .name:           _ZN7rocprim17ROCPRIM_400000_NS6detail17trampoline_kernelINS0_14default_configENS1_36segmented_radix_sort_config_selectorIdlEEZNS1_25segmented_radix_sort_implIS3_Lb0EPKdPdPKlPlN2at6native12_GLOBAL__N_18offset_tEEE10hipError_tPvRmT1_PNSt15iterator_traitsISK_E10value_typeET2_T3_PNSL_ISQ_E10value_typeET4_jRbjT5_SW_jjP12ihipStream_tbEUlT_E1_NS1_11comp_targetILNS1_3genE0ELNS1_11target_archE4294967295ELNS1_3gpuE0ELNS1_3repE0EEENS1_59segmented_radix_sort_warp_sort_small_config_static_selectorELNS0_4arch9wavefront6targetE0EEEvSK_
    .private_segment_fixed_size: 0
    .sgpr_count:     0
    .sgpr_spill_count: 0
    .symbol:         _ZN7rocprim17ROCPRIM_400000_NS6detail17trampoline_kernelINS0_14default_configENS1_36segmented_radix_sort_config_selectorIdlEEZNS1_25segmented_radix_sort_implIS3_Lb0EPKdPdPKlPlN2at6native12_GLOBAL__N_18offset_tEEE10hipError_tPvRmT1_PNSt15iterator_traitsISK_E10value_typeET2_T3_PNSL_ISQ_E10value_typeET4_jRbjT5_SW_jjP12ihipStream_tbEUlT_E1_NS1_11comp_targetILNS1_3genE0ELNS1_11target_archE4294967295ELNS1_3gpuE0ELNS1_3repE0EEENS1_59segmented_radix_sort_warp_sort_small_config_static_selectorELNS0_4arch9wavefront6targetE0EEEvSK_.kd
    .uniform_work_group_size: 1
    .uses_dynamic_stack: false
    .vgpr_count:     0
    .vgpr_spill_count: 0
    .wavefront_size: 32
    .workgroup_processor_mode: 1
  - .args:
      - .offset:         0
        .size:           88
        .value_kind:     by_value
    .group_segment_fixed_size: 0
    .kernarg_segment_align: 8
    .kernarg_segment_size: 88
    .language:       OpenCL C
    .language_version:
      - 2
      - 0
    .max_flat_workgroup_size: 256
    .name:           _ZN7rocprim17ROCPRIM_400000_NS6detail17trampoline_kernelINS0_14default_configENS1_36segmented_radix_sort_config_selectorIdlEEZNS1_25segmented_radix_sort_implIS3_Lb0EPKdPdPKlPlN2at6native12_GLOBAL__N_18offset_tEEE10hipError_tPvRmT1_PNSt15iterator_traitsISK_E10value_typeET2_T3_PNSL_ISQ_E10value_typeET4_jRbjT5_SW_jjP12ihipStream_tbEUlT_E1_NS1_11comp_targetILNS1_3genE5ELNS1_11target_archE942ELNS1_3gpuE9ELNS1_3repE0EEENS1_59segmented_radix_sort_warp_sort_small_config_static_selectorELNS0_4arch9wavefront6targetE0EEEvSK_
    .private_segment_fixed_size: 0
    .sgpr_count:     0
    .sgpr_spill_count: 0
    .symbol:         _ZN7rocprim17ROCPRIM_400000_NS6detail17trampoline_kernelINS0_14default_configENS1_36segmented_radix_sort_config_selectorIdlEEZNS1_25segmented_radix_sort_implIS3_Lb0EPKdPdPKlPlN2at6native12_GLOBAL__N_18offset_tEEE10hipError_tPvRmT1_PNSt15iterator_traitsISK_E10value_typeET2_T3_PNSL_ISQ_E10value_typeET4_jRbjT5_SW_jjP12ihipStream_tbEUlT_E1_NS1_11comp_targetILNS1_3genE5ELNS1_11target_archE942ELNS1_3gpuE9ELNS1_3repE0EEENS1_59segmented_radix_sort_warp_sort_small_config_static_selectorELNS0_4arch9wavefront6targetE0EEEvSK_.kd
    .uniform_work_group_size: 1
    .uses_dynamic_stack: false
    .vgpr_count:     0
    .vgpr_spill_count: 0
    .wavefront_size: 32
    .workgroup_processor_mode: 1
  - .args:
      - .offset:         0
        .size:           88
        .value_kind:     by_value
    .group_segment_fixed_size: 0
    .kernarg_segment_align: 8
    .kernarg_segment_size: 88
    .language:       OpenCL C
    .language_version:
      - 2
      - 0
    .max_flat_workgroup_size: 256
    .name:           _ZN7rocprim17ROCPRIM_400000_NS6detail17trampoline_kernelINS0_14default_configENS1_36segmented_radix_sort_config_selectorIdlEEZNS1_25segmented_radix_sort_implIS3_Lb0EPKdPdPKlPlN2at6native12_GLOBAL__N_18offset_tEEE10hipError_tPvRmT1_PNSt15iterator_traitsISK_E10value_typeET2_T3_PNSL_ISQ_E10value_typeET4_jRbjT5_SW_jjP12ihipStream_tbEUlT_E1_NS1_11comp_targetILNS1_3genE4ELNS1_11target_archE910ELNS1_3gpuE8ELNS1_3repE0EEENS1_59segmented_radix_sort_warp_sort_small_config_static_selectorELNS0_4arch9wavefront6targetE0EEEvSK_
    .private_segment_fixed_size: 0
    .sgpr_count:     0
    .sgpr_spill_count: 0
    .symbol:         _ZN7rocprim17ROCPRIM_400000_NS6detail17trampoline_kernelINS0_14default_configENS1_36segmented_radix_sort_config_selectorIdlEEZNS1_25segmented_radix_sort_implIS3_Lb0EPKdPdPKlPlN2at6native12_GLOBAL__N_18offset_tEEE10hipError_tPvRmT1_PNSt15iterator_traitsISK_E10value_typeET2_T3_PNSL_ISQ_E10value_typeET4_jRbjT5_SW_jjP12ihipStream_tbEUlT_E1_NS1_11comp_targetILNS1_3genE4ELNS1_11target_archE910ELNS1_3gpuE8ELNS1_3repE0EEENS1_59segmented_radix_sort_warp_sort_small_config_static_selectorELNS0_4arch9wavefront6targetE0EEEvSK_.kd
    .uniform_work_group_size: 1
    .uses_dynamic_stack: false
    .vgpr_count:     0
    .vgpr_spill_count: 0
    .wavefront_size: 32
    .workgroup_processor_mode: 1
  - .args:
      - .offset:         0
        .size:           88
        .value_kind:     by_value
    .group_segment_fixed_size: 0
    .kernarg_segment_align: 8
    .kernarg_segment_size: 88
    .language:       OpenCL C
    .language_version:
      - 2
      - 0
    .max_flat_workgroup_size: 256
    .name:           _ZN7rocprim17ROCPRIM_400000_NS6detail17trampoline_kernelINS0_14default_configENS1_36segmented_radix_sort_config_selectorIdlEEZNS1_25segmented_radix_sort_implIS3_Lb0EPKdPdPKlPlN2at6native12_GLOBAL__N_18offset_tEEE10hipError_tPvRmT1_PNSt15iterator_traitsISK_E10value_typeET2_T3_PNSL_ISQ_E10value_typeET4_jRbjT5_SW_jjP12ihipStream_tbEUlT_E1_NS1_11comp_targetILNS1_3genE3ELNS1_11target_archE908ELNS1_3gpuE7ELNS1_3repE0EEENS1_59segmented_radix_sort_warp_sort_small_config_static_selectorELNS0_4arch9wavefront6targetE0EEEvSK_
    .private_segment_fixed_size: 0
    .sgpr_count:     0
    .sgpr_spill_count: 0
    .symbol:         _ZN7rocprim17ROCPRIM_400000_NS6detail17trampoline_kernelINS0_14default_configENS1_36segmented_radix_sort_config_selectorIdlEEZNS1_25segmented_radix_sort_implIS3_Lb0EPKdPdPKlPlN2at6native12_GLOBAL__N_18offset_tEEE10hipError_tPvRmT1_PNSt15iterator_traitsISK_E10value_typeET2_T3_PNSL_ISQ_E10value_typeET4_jRbjT5_SW_jjP12ihipStream_tbEUlT_E1_NS1_11comp_targetILNS1_3genE3ELNS1_11target_archE908ELNS1_3gpuE7ELNS1_3repE0EEENS1_59segmented_radix_sort_warp_sort_small_config_static_selectorELNS0_4arch9wavefront6targetE0EEEvSK_.kd
    .uniform_work_group_size: 1
    .uses_dynamic_stack: false
    .vgpr_count:     0
    .vgpr_spill_count: 0
    .wavefront_size: 32
    .workgroup_processor_mode: 1
  - .args:
      - .offset:         0
        .size:           88
        .value_kind:     by_value
    .group_segment_fixed_size: 0
    .kernarg_segment_align: 8
    .kernarg_segment_size: 88
    .language:       OpenCL C
    .language_version:
      - 2
      - 0
    .max_flat_workgroup_size: 256
    .name:           _ZN7rocprim17ROCPRIM_400000_NS6detail17trampoline_kernelINS0_14default_configENS1_36segmented_radix_sort_config_selectorIdlEEZNS1_25segmented_radix_sort_implIS3_Lb0EPKdPdPKlPlN2at6native12_GLOBAL__N_18offset_tEEE10hipError_tPvRmT1_PNSt15iterator_traitsISK_E10value_typeET2_T3_PNSL_ISQ_E10value_typeET4_jRbjT5_SW_jjP12ihipStream_tbEUlT_E1_NS1_11comp_targetILNS1_3genE2ELNS1_11target_archE906ELNS1_3gpuE6ELNS1_3repE0EEENS1_59segmented_radix_sort_warp_sort_small_config_static_selectorELNS0_4arch9wavefront6targetE0EEEvSK_
    .private_segment_fixed_size: 0
    .sgpr_count:     0
    .sgpr_spill_count: 0
    .symbol:         _ZN7rocprim17ROCPRIM_400000_NS6detail17trampoline_kernelINS0_14default_configENS1_36segmented_radix_sort_config_selectorIdlEEZNS1_25segmented_radix_sort_implIS3_Lb0EPKdPdPKlPlN2at6native12_GLOBAL__N_18offset_tEEE10hipError_tPvRmT1_PNSt15iterator_traitsISK_E10value_typeET2_T3_PNSL_ISQ_E10value_typeET4_jRbjT5_SW_jjP12ihipStream_tbEUlT_E1_NS1_11comp_targetILNS1_3genE2ELNS1_11target_archE906ELNS1_3gpuE6ELNS1_3repE0EEENS1_59segmented_radix_sort_warp_sort_small_config_static_selectorELNS0_4arch9wavefront6targetE0EEEvSK_.kd
    .uniform_work_group_size: 1
    .uses_dynamic_stack: false
    .vgpr_count:     0
    .vgpr_spill_count: 0
    .wavefront_size: 32
    .workgroup_processor_mode: 1
  - .args:
      - .offset:         0
        .size:           88
        .value_kind:     by_value
    .group_segment_fixed_size: 0
    .kernarg_segment_align: 8
    .kernarg_segment_size: 88
    .language:       OpenCL C
    .language_version:
      - 2
      - 0
    .max_flat_workgroup_size: 256
    .name:           _ZN7rocprim17ROCPRIM_400000_NS6detail17trampoline_kernelINS0_14default_configENS1_36segmented_radix_sort_config_selectorIdlEEZNS1_25segmented_radix_sort_implIS3_Lb0EPKdPdPKlPlN2at6native12_GLOBAL__N_18offset_tEEE10hipError_tPvRmT1_PNSt15iterator_traitsISK_E10value_typeET2_T3_PNSL_ISQ_E10value_typeET4_jRbjT5_SW_jjP12ihipStream_tbEUlT_E1_NS1_11comp_targetILNS1_3genE10ELNS1_11target_archE1201ELNS1_3gpuE5ELNS1_3repE0EEENS1_59segmented_radix_sort_warp_sort_small_config_static_selectorELNS0_4arch9wavefront6targetE0EEEvSK_
    .private_segment_fixed_size: 0
    .sgpr_count:     0
    .sgpr_spill_count: 0
    .symbol:         _ZN7rocprim17ROCPRIM_400000_NS6detail17trampoline_kernelINS0_14default_configENS1_36segmented_radix_sort_config_selectorIdlEEZNS1_25segmented_radix_sort_implIS3_Lb0EPKdPdPKlPlN2at6native12_GLOBAL__N_18offset_tEEE10hipError_tPvRmT1_PNSt15iterator_traitsISK_E10value_typeET2_T3_PNSL_ISQ_E10value_typeET4_jRbjT5_SW_jjP12ihipStream_tbEUlT_E1_NS1_11comp_targetILNS1_3genE10ELNS1_11target_archE1201ELNS1_3gpuE5ELNS1_3repE0EEENS1_59segmented_radix_sort_warp_sort_small_config_static_selectorELNS0_4arch9wavefront6targetE0EEEvSK_.kd
    .uniform_work_group_size: 1
    .uses_dynamic_stack: false
    .vgpr_count:     0
    .vgpr_spill_count: 0
    .wavefront_size: 32
    .workgroup_processor_mode: 1
  - .args:
      - .offset:         0
        .size:           88
        .value_kind:     by_value
    .group_segment_fixed_size: 0
    .kernarg_segment_align: 8
    .kernarg_segment_size: 88
    .language:       OpenCL C
    .language_version:
      - 2
      - 0
    .max_flat_workgroup_size: 256
    .name:           _ZN7rocprim17ROCPRIM_400000_NS6detail17trampoline_kernelINS0_14default_configENS1_36segmented_radix_sort_config_selectorIdlEEZNS1_25segmented_radix_sort_implIS3_Lb0EPKdPdPKlPlN2at6native12_GLOBAL__N_18offset_tEEE10hipError_tPvRmT1_PNSt15iterator_traitsISK_E10value_typeET2_T3_PNSL_ISQ_E10value_typeET4_jRbjT5_SW_jjP12ihipStream_tbEUlT_E1_NS1_11comp_targetILNS1_3genE10ELNS1_11target_archE1200ELNS1_3gpuE4ELNS1_3repE0EEENS1_59segmented_radix_sort_warp_sort_small_config_static_selectorELNS0_4arch9wavefront6targetE0EEEvSK_
    .private_segment_fixed_size: 0
    .sgpr_count:     0
    .sgpr_spill_count: 0
    .symbol:         _ZN7rocprim17ROCPRIM_400000_NS6detail17trampoline_kernelINS0_14default_configENS1_36segmented_radix_sort_config_selectorIdlEEZNS1_25segmented_radix_sort_implIS3_Lb0EPKdPdPKlPlN2at6native12_GLOBAL__N_18offset_tEEE10hipError_tPvRmT1_PNSt15iterator_traitsISK_E10value_typeET2_T3_PNSL_ISQ_E10value_typeET4_jRbjT5_SW_jjP12ihipStream_tbEUlT_E1_NS1_11comp_targetILNS1_3genE10ELNS1_11target_archE1200ELNS1_3gpuE4ELNS1_3repE0EEENS1_59segmented_radix_sort_warp_sort_small_config_static_selectorELNS0_4arch9wavefront6targetE0EEEvSK_.kd
    .uniform_work_group_size: 1
    .uses_dynamic_stack: false
    .vgpr_count:     0
    .vgpr_spill_count: 0
    .wavefront_size: 32
    .workgroup_processor_mode: 1
  - .args:
      - .offset:         0
        .size:           88
        .value_kind:     by_value
    .group_segment_fixed_size: 0
    .kernarg_segment_align: 8
    .kernarg_segment_size: 88
    .language:       OpenCL C
    .language_version:
      - 2
      - 0
    .max_flat_workgroup_size: 256
    .name:           _ZN7rocprim17ROCPRIM_400000_NS6detail17trampoline_kernelINS0_14default_configENS1_36segmented_radix_sort_config_selectorIdlEEZNS1_25segmented_radix_sort_implIS3_Lb0EPKdPdPKlPlN2at6native12_GLOBAL__N_18offset_tEEE10hipError_tPvRmT1_PNSt15iterator_traitsISK_E10value_typeET2_T3_PNSL_ISQ_E10value_typeET4_jRbjT5_SW_jjP12ihipStream_tbEUlT_E1_NS1_11comp_targetILNS1_3genE9ELNS1_11target_archE1100ELNS1_3gpuE3ELNS1_3repE0EEENS1_59segmented_radix_sort_warp_sort_small_config_static_selectorELNS0_4arch9wavefront6targetE0EEEvSK_
    .private_segment_fixed_size: 0
    .sgpr_count:     0
    .sgpr_spill_count: 0
    .symbol:         _ZN7rocprim17ROCPRIM_400000_NS6detail17trampoline_kernelINS0_14default_configENS1_36segmented_radix_sort_config_selectorIdlEEZNS1_25segmented_radix_sort_implIS3_Lb0EPKdPdPKlPlN2at6native12_GLOBAL__N_18offset_tEEE10hipError_tPvRmT1_PNSt15iterator_traitsISK_E10value_typeET2_T3_PNSL_ISQ_E10value_typeET4_jRbjT5_SW_jjP12ihipStream_tbEUlT_E1_NS1_11comp_targetILNS1_3genE9ELNS1_11target_archE1100ELNS1_3gpuE3ELNS1_3repE0EEENS1_59segmented_radix_sort_warp_sort_small_config_static_selectorELNS0_4arch9wavefront6targetE0EEEvSK_.kd
    .uniform_work_group_size: 1
    .uses_dynamic_stack: false
    .vgpr_count:     0
    .vgpr_spill_count: 0
    .wavefront_size: 32
    .workgroup_processor_mode: 1
  - .args:
      - .offset:         0
        .size:           88
        .value_kind:     by_value
      - .offset:         88
        .size:           4
        .value_kind:     hidden_block_count_x
      - .offset:         92
        .size:           4
        .value_kind:     hidden_block_count_y
      - .offset:         96
        .size:           4
        .value_kind:     hidden_block_count_z
      - .offset:         100
        .size:           2
        .value_kind:     hidden_group_size_x
      - .offset:         102
        .size:           2
        .value_kind:     hidden_group_size_y
      - .offset:         104
        .size:           2
        .value_kind:     hidden_group_size_z
      - .offset:         106
        .size:           2
        .value_kind:     hidden_remainder_x
      - .offset:         108
        .size:           2
        .value_kind:     hidden_remainder_y
      - .offset:         110
        .size:           2
        .value_kind:     hidden_remainder_z
      - .offset:         128
        .size:           8
        .value_kind:     hidden_global_offset_x
      - .offset:         136
        .size:           8
        .value_kind:     hidden_global_offset_y
      - .offset:         144
        .size:           8
        .value_kind:     hidden_global_offset_z
      - .offset:         152
        .size:           2
        .value_kind:     hidden_grid_dims
    .group_segment_fixed_size: 32768
    .kernarg_segment_align: 8
    .kernarg_segment_size: 344
    .language:       OpenCL C
    .language_version:
      - 2
      - 0
    .max_flat_workgroup_size: 256
    .name:           _ZN7rocprim17ROCPRIM_400000_NS6detail17trampoline_kernelINS0_14default_configENS1_36segmented_radix_sort_config_selectorIdlEEZNS1_25segmented_radix_sort_implIS3_Lb0EPKdPdPKlPlN2at6native12_GLOBAL__N_18offset_tEEE10hipError_tPvRmT1_PNSt15iterator_traitsISK_E10value_typeET2_T3_PNSL_ISQ_E10value_typeET4_jRbjT5_SW_jjP12ihipStream_tbEUlT_E1_NS1_11comp_targetILNS1_3genE8ELNS1_11target_archE1030ELNS1_3gpuE2ELNS1_3repE0EEENS1_59segmented_radix_sort_warp_sort_small_config_static_selectorELNS0_4arch9wavefront6targetE0EEEvSK_
    .private_segment_fixed_size: 0
    .sgpr_count:     46
    .sgpr_spill_count: 0
    .symbol:         _ZN7rocprim17ROCPRIM_400000_NS6detail17trampoline_kernelINS0_14default_configENS1_36segmented_radix_sort_config_selectorIdlEEZNS1_25segmented_radix_sort_implIS3_Lb0EPKdPdPKlPlN2at6native12_GLOBAL__N_18offset_tEEE10hipError_tPvRmT1_PNSt15iterator_traitsISK_E10value_typeET2_T3_PNSL_ISQ_E10value_typeET4_jRbjT5_SW_jjP12ihipStream_tbEUlT_E1_NS1_11comp_targetILNS1_3genE8ELNS1_11target_archE1030ELNS1_3gpuE2ELNS1_3repE0EEENS1_59segmented_radix_sort_warp_sort_small_config_static_selectorELNS0_4arch9wavefront6targetE0EEEvSK_.kd
    .uniform_work_group_size: 1
    .uses_dynamic_stack: false
    .vgpr_count:     132
    .vgpr_spill_count: 0
    .wavefront_size: 32
    .workgroup_processor_mode: 1
  - .args:
      - .offset:         0
        .size:           80
        .value_kind:     by_value
    .group_segment_fixed_size: 0
    .kernarg_segment_align: 8
    .kernarg_segment_size: 80
    .language:       OpenCL C
    .language_version:
      - 2
      - 0
    .max_flat_workgroup_size: 256
    .name:           _ZN7rocprim17ROCPRIM_400000_NS6detail17trampoline_kernelINS0_14default_configENS1_36segmented_radix_sort_config_selectorIdlEEZNS1_25segmented_radix_sort_implIS3_Lb0EPKdPdPKlPlN2at6native12_GLOBAL__N_18offset_tEEE10hipError_tPvRmT1_PNSt15iterator_traitsISK_E10value_typeET2_T3_PNSL_ISQ_E10value_typeET4_jRbjT5_SW_jjP12ihipStream_tbEUlT_E2_NS1_11comp_targetILNS1_3genE0ELNS1_11target_archE4294967295ELNS1_3gpuE0ELNS1_3repE0EEENS1_30default_config_static_selectorELNS0_4arch9wavefront6targetE0EEEvSK_
    .private_segment_fixed_size: 0
    .sgpr_count:     0
    .sgpr_spill_count: 0
    .symbol:         _ZN7rocprim17ROCPRIM_400000_NS6detail17trampoline_kernelINS0_14default_configENS1_36segmented_radix_sort_config_selectorIdlEEZNS1_25segmented_radix_sort_implIS3_Lb0EPKdPdPKlPlN2at6native12_GLOBAL__N_18offset_tEEE10hipError_tPvRmT1_PNSt15iterator_traitsISK_E10value_typeET2_T3_PNSL_ISQ_E10value_typeET4_jRbjT5_SW_jjP12ihipStream_tbEUlT_E2_NS1_11comp_targetILNS1_3genE0ELNS1_11target_archE4294967295ELNS1_3gpuE0ELNS1_3repE0EEENS1_30default_config_static_selectorELNS0_4arch9wavefront6targetE0EEEvSK_.kd
    .uniform_work_group_size: 1
    .uses_dynamic_stack: false
    .vgpr_count:     0
    .vgpr_spill_count: 0
    .wavefront_size: 32
    .workgroup_processor_mode: 1
  - .args:
      - .offset:         0
        .size:           80
        .value_kind:     by_value
    .group_segment_fixed_size: 0
    .kernarg_segment_align: 8
    .kernarg_segment_size: 80
    .language:       OpenCL C
    .language_version:
      - 2
      - 0
    .max_flat_workgroup_size: 256
    .name:           _ZN7rocprim17ROCPRIM_400000_NS6detail17trampoline_kernelINS0_14default_configENS1_36segmented_radix_sort_config_selectorIdlEEZNS1_25segmented_radix_sort_implIS3_Lb0EPKdPdPKlPlN2at6native12_GLOBAL__N_18offset_tEEE10hipError_tPvRmT1_PNSt15iterator_traitsISK_E10value_typeET2_T3_PNSL_ISQ_E10value_typeET4_jRbjT5_SW_jjP12ihipStream_tbEUlT_E2_NS1_11comp_targetILNS1_3genE5ELNS1_11target_archE942ELNS1_3gpuE9ELNS1_3repE0EEENS1_30default_config_static_selectorELNS0_4arch9wavefront6targetE0EEEvSK_
    .private_segment_fixed_size: 0
    .sgpr_count:     0
    .sgpr_spill_count: 0
    .symbol:         _ZN7rocprim17ROCPRIM_400000_NS6detail17trampoline_kernelINS0_14default_configENS1_36segmented_radix_sort_config_selectorIdlEEZNS1_25segmented_radix_sort_implIS3_Lb0EPKdPdPKlPlN2at6native12_GLOBAL__N_18offset_tEEE10hipError_tPvRmT1_PNSt15iterator_traitsISK_E10value_typeET2_T3_PNSL_ISQ_E10value_typeET4_jRbjT5_SW_jjP12ihipStream_tbEUlT_E2_NS1_11comp_targetILNS1_3genE5ELNS1_11target_archE942ELNS1_3gpuE9ELNS1_3repE0EEENS1_30default_config_static_selectorELNS0_4arch9wavefront6targetE0EEEvSK_.kd
    .uniform_work_group_size: 1
    .uses_dynamic_stack: false
    .vgpr_count:     0
    .vgpr_spill_count: 0
    .wavefront_size: 32
    .workgroup_processor_mode: 1
  - .args:
      - .offset:         0
        .size:           80
        .value_kind:     by_value
    .group_segment_fixed_size: 0
    .kernarg_segment_align: 8
    .kernarg_segment_size: 80
    .language:       OpenCL C
    .language_version:
      - 2
      - 0
    .max_flat_workgroup_size: 256
    .name:           _ZN7rocprim17ROCPRIM_400000_NS6detail17trampoline_kernelINS0_14default_configENS1_36segmented_radix_sort_config_selectorIdlEEZNS1_25segmented_radix_sort_implIS3_Lb0EPKdPdPKlPlN2at6native12_GLOBAL__N_18offset_tEEE10hipError_tPvRmT1_PNSt15iterator_traitsISK_E10value_typeET2_T3_PNSL_ISQ_E10value_typeET4_jRbjT5_SW_jjP12ihipStream_tbEUlT_E2_NS1_11comp_targetILNS1_3genE4ELNS1_11target_archE910ELNS1_3gpuE8ELNS1_3repE0EEENS1_30default_config_static_selectorELNS0_4arch9wavefront6targetE0EEEvSK_
    .private_segment_fixed_size: 0
    .sgpr_count:     0
    .sgpr_spill_count: 0
    .symbol:         _ZN7rocprim17ROCPRIM_400000_NS6detail17trampoline_kernelINS0_14default_configENS1_36segmented_radix_sort_config_selectorIdlEEZNS1_25segmented_radix_sort_implIS3_Lb0EPKdPdPKlPlN2at6native12_GLOBAL__N_18offset_tEEE10hipError_tPvRmT1_PNSt15iterator_traitsISK_E10value_typeET2_T3_PNSL_ISQ_E10value_typeET4_jRbjT5_SW_jjP12ihipStream_tbEUlT_E2_NS1_11comp_targetILNS1_3genE4ELNS1_11target_archE910ELNS1_3gpuE8ELNS1_3repE0EEENS1_30default_config_static_selectorELNS0_4arch9wavefront6targetE0EEEvSK_.kd
    .uniform_work_group_size: 1
    .uses_dynamic_stack: false
    .vgpr_count:     0
    .vgpr_spill_count: 0
    .wavefront_size: 32
    .workgroup_processor_mode: 1
  - .args:
      - .offset:         0
        .size:           80
        .value_kind:     by_value
    .group_segment_fixed_size: 0
    .kernarg_segment_align: 8
    .kernarg_segment_size: 80
    .language:       OpenCL C
    .language_version:
      - 2
      - 0
    .max_flat_workgroup_size: 256
    .name:           _ZN7rocprim17ROCPRIM_400000_NS6detail17trampoline_kernelINS0_14default_configENS1_36segmented_radix_sort_config_selectorIdlEEZNS1_25segmented_radix_sort_implIS3_Lb0EPKdPdPKlPlN2at6native12_GLOBAL__N_18offset_tEEE10hipError_tPvRmT1_PNSt15iterator_traitsISK_E10value_typeET2_T3_PNSL_ISQ_E10value_typeET4_jRbjT5_SW_jjP12ihipStream_tbEUlT_E2_NS1_11comp_targetILNS1_3genE3ELNS1_11target_archE908ELNS1_3gpuE7ELNS1_3repE0EEENS1_30default_config_static_selectorELNS0_4arch9wavefront6targetE0EEEvSK_
    .private_segment_fixed_size: 0
    .sgpr_count:     0
    .sgpr_spill_count: 0
    .symbol:         _ZN7rocprim17ROCPRIM_400000_NS6detail17trampoline_kernelINS0_14default_configENS1_36segmented_radix_sort_config_selectorIdlEEZNS1_25segmented_radix_sort_implIS3_Lb0EPKdPdPKlPlN2at6native12_GLOBAL__N_18offset_tEEE10hipError_tPvRmT1_PNSt15iterator_traitsISK_E10value_typeET2_T3_PNSL_ISQ_E10value_typeET4_jRbjT5_SW_jjP12ihipStream_tbEUlT_E2_NS1_11comp_targetILNS1_3genE3ELNS1_11target_archE908ELNS1_3gpuE7ELNS1_3repE0EEENS1_30default_config_static_selectorELNS0_4arch9wavefront6targetE0EEEvSK_.kd
    .uniform_work_group_size: 1
    .uses_dynamic_stack: false
    .vgpr_count:     0
    .vgpr_spill_count: 0
    .wavefront_size: 32
    .workgroup_processor_mode: 1
  - .args:
      - .offset:         0
        .size:           80
        .value_kind:     by_value
    .group_segment_fixed_size: 0
    .kernarg_segment_align: 8
    .kernarg_segment_size: 80
    .language:       OpenCL C
    .language_version:
      - 2
      - 0
    .max_flat_workgroup_size: 256
    .name:           _ZN7rocprim17ROCPRIM_400000_NS6detail17trampoline_kernelINS0_14default_configENS1_36segmented_radix_sort_config_selectorIdlEEZNS1_25segmented_radix_sort_implIS3_Lb0EPKdPdPKlPlN2at6native12_GLOBAL__N_18offset_tEEE10hipError_tPvRmT1_PNSt15iterator_traitsISK_E10value_typeET2_T3_PNSL_ISQ_E10value_typeET4_jRbjT5_SW_jjP12ihipStream_tbEUlT_E2_NS1_11comp_targetILNS1_3genE2ELNS1_11target_archE906ELNS1_3gpuE6ELNS1_3repE0EEENS1_30default_config_static_selectorELNS0_4arch9wavefront6targetE0EEEvSK_
    .private_segment_fixed_size: 0
    .sgpr_count:     0
    .sgpr_spill_count: 0
    .symbol:         _ZN7rocprim17ROCPRIM_400000_NS6detail17trampoline_kernelINS0_14default_configENS1_36segmented_radix_sort_config_selectorIdlEEZNS1_25segmented_radix_sort_implIS3_Lb0EPKdPdPKlPlN2at6native12_GLOBAL__N_18offset_tEEE10hipError_tPvRmT1_PNSt15iterator_traitsISK_E10value_typeET2_T3_PNSL_ISQ_E10value_typeET4_jRbjT5_SW_jjP12ihipStream_tbEUlT_E2_NS1_11comp_targetILNS1_3genE2ELNS1_11target_archE906ELNS1_3gpuE6ELNS1_3repE0EEENS1_30default_config_static_selectorELNS0_4arch9wavefront6targetE0EEEvSK_.kd
    .uniform_work_group_size: 1
    .uses_dynamic_stack: false
    .vgpr_count:     0
    .vgpr_spill_count: 0
    .wavefront_size: 32
    .workgroup_processor_mode: 1
  - .args:
      - .offset:         0
        .size:           80
        .value_kind:     by_value
    .group_segment_fixed_size: 0
    .kernarg_segment_align: 8
    .kernarg_segment_size: 80
    .language:       OpenCL C
    .language_version:
      - 2
      - 0
    .max_flat_workgroup_size: 256
    .name:           _ZN7rocprim17ROCPRIM_400000_NS6detail17trampoline_kernelINS0_14default_configENS1_36segmented_radix_sort_config_selectorIdlEEZNS1_25segmented_radix_sort_implIS3_Lb0EPKdPdPKlPlN2at6native12_GLOBAL__N_18offset_tEEE10hipError_tPvRmT1_PNSt15iterator_traitsISK_E10value_typeET2_T3_PNSL_ISQ_E10value_typeET4_jRbjT5_SW_jjP12ihipStream_tbEUlT_E2_NS1_11comp_targetILNS1_3genE10ELNS1_11target_archE1201ELNS1_3gpuE5ELNS1_3repE0EEENS1_30default_config_static_selectorELNS0_4arch9wavefront6targetE0EEEvSK_
    .private_segment_fixed_size: 0
    .sgpr_count:     0
    .sgpr_spill_count: 0
    .symbol:         _ZN7rocprim17ROCPRIM_400000_NS6detail17trampoline_kernelINS0_14default_configENS1_36segmented_radix_sort_config_selectorIdlEEZNS1_25segmented_radix_sort_implIS3_Lb0EPKdPdPKlPlN2at6native12_GLOBAL__N_18offset_tEEE10hipError_tPvRmT1_PNSt15iterator_traitsISK_E10value_typeET2_T3_PNSL_ISQ_E10value_typeET4_jRbjT5_SW_jjP12ihipStream_tbEUlT_E2_NS1_11comp_targetILNS1_3genE10ELNS1_11target_archE1201ELNS1_3gpuE5ELNS1_3repE0EEENS1_30default_config_static_selectorELNS0_4arch9wavefront6targetE0EEEvSK_.kd
    .uniform_work_group_size: 1
    .uses_dynamic_stack: false
    .vgpr_count:     0
    .vgpr_spill_count: 0
    .wavefront_size: 32
    .workgroup_processor_mode: 1
  - .args:
      - .offset:         0
        .size:           80
        .value_kind:     by_value
    .group_segment_fixed_size: 0
    .kernarg_segment_align: 8
    .kernarg_segment_size: 80
    .language:       OpenCL C
    .language_version:
      - 2
      - 0
    .max_flat_workgroup_size: 128
    .name:           _ZN7rocprim17ROCPRIM_400000_NS6detail17trampoline_kernelINS0_14default_configENS1_36segmented_radix_sort_config_selectorIdlEEZNS1_25segmented_radix_sort_implIS3_Lb0EPKdPdPKlPlN2at6native12_GLOBAL__N_18offset_tEEE10hipError_tPvRmT1_PNSt15iterator_traitsISK_E10value_typeET2_T3_PNSL_ISQ_E10value_typeET4_jRbjT5_SW_jjP12ihipStream_tbEUlT_E2_NS1_11comp_targetILNS1_3genE10ELNS1_11target_archE1200ELNS1_3gpuE4ELNS1_3repE0EEENS1_30default_config_static_selectorELNS0_4arch9wavefront6targetE0EEEvSK_
    .private_segment_fixed_size: 0
    .sgpr_count:     0
    .sgpr_spill_count: 0
    .symbol:         _ZN7rocprim17ROCPRIM_400000_NS6detail17trampoline_kernelINS0_14default_configENS1_36segmented_radix_sort_config_selectorIdlEEZNS1_25segmented_radix_sort_implIS3_Lb0EPKdPdPKlPlN2at6native12_GLOBAL__N_18offset_tEEE10hipError_tPvRmT1_PNSt15iterator_traitsISK_E10value_typeET2_T3_PNSL_ISQ_E10value_typeET4_jRbjT5_SW_jjP12ihipStream_tbEUlT_E2_NS1_11comp_targetILNS1_3genE10ELNS1_11target_archE1200ELNS1_3gpuE4ELNS1_3repE0EEENS1_30default_config_static_selectorELNS0_4arch9wavefront6targetE0EEEvSK_.kd
    .uniform_work_group_size: 1
    .uses_dynamic_stack: false
    .vgpr_count:     0
    .vgpr_spill_count: 0
    .wavefront_size: 32
    .workgroup_processor_mode: 1
  - .args:
      - .offset:         0
        .size:           80
        .value_kind:     by_value
    .group_segment_fixed_size: 0
    .kernarg_segment_align: 8
    .kernarg_segment_size: 80
    .language:       OpenCL C
    .language_version:
      - 2
      - 0
    .max_flat_workgroup_size: 256
    .name:           _ZN7rocprim17ROCPRIM_400000_NS6detail17trampoline_kernelINS0_14default_configENS1_36segmented_radix_sort_config_selectorIdlEEZNS1_25segmented_radix_sort_implIS3_Lb0EPKdPdPKlPlN2at6native12_GLOBAL__N_18offset_tEEE10hipError_tPvRmT1_PNSt15iterator_traitsISK_E10value_typeET2_T3_PNSL_ISQ_E10value_typeET4_jRbjT5_SW_jjP12ihipStream_tbEUlT_E2_NS1_11comp_targetILNS1_3genE9ELNS1_11target_archE1100ELNS1_3gpuE3ELNS1_3repE0EEENS1_30default_config_static_selectorELNS0_4arch9wavefront6targetE0EEEvSK_
    .private_segment_fixed_size: 0
    .sgpr_count:     0
    .sgpr_spill_count: 0
    .symbol:         _ZN7rocprim17ROCPRIM_400000_NS6detail17trampoline_kernelINS0_14default_configENS1_36segmented_radix_sort_config_selectorIdlEEZNS1_25segmented_radix_sort_implIS3_Lb0EPKdPdPKlPlN2at6native12_GLOBAL__N_18offset_tEEE10hipError_tPvRmT1_PNSt15iterator_traitsISK_E10value_typeET2_T3_PNSL_ISQ_E10value_typeET4_jRbjT5_SW_jjP12ihipStream_tbEUlT_E2_NS1_11comp_targetILNS1_3genE9ELNS1_11target_archE1100ELNS1_3gpuE3ELNS1_3repE0EEENS1_30default_config_static_selectorELNS0_4arch9wavefront6targetE0EEEvSK_.kd
    .uniform_work_group_size: 1
    .uses_dynamic_stack: false
    .vgpr_count:     0
    .vgpr_spill_count: 0
    .wavefront_size: 32
    .workgroup_processor_mode: 1
  - .args:
      - .offset:         0
        .size:           80
        .value_kind:     by_value
      - .offset:         80
        .size:           4
        .value_kind:     hidden_block_count_x
      - .offset:         84
        .size:           4
        .value_kind:     hidden_block_count_y
      - .offset:         88
        .size:           4
        .value_kind:     hidden_block_count_z
      - .offset:         92
        .size:           2
        .value_kind:     hidden_group_size_x
      - .offset:         94
        .size:           2
        .value_kind:     hidden_group_size_y
      - .offset:         96
        .size:           2
        .value_kind:     hidden_group_size_z
      - .offset:         98
        .size:           2
        .value_kind:     hidden_remainder_x
      - .offset:         100
        .size:           2
        .value_kind:     hidden_remainder_y
      - .offset:         102
        .size:           2
        .value_kind:     hidden_remainder_z
      - .offset:         120
        .size:           8
        .value_kind:     hidden_global_offset_x
      - .offset:         128
        .size:           8
        .value_kind:     hidden_global_offset_y
      - .offset:         136
        .size:           8
        .value_kind:     hidden_global_offset_z
      - .offset:         144
        .size:           2
        .value_kind:     hidden_grid_dims
    .group_segment_fixed_size: 33296
    .kernarg_segment_align: 8
    .kernarg_segment_size: 336
    .language:       OpenCL C
    .language_version:
      - 2
      - 0
    .max_flat_workgroup_size: 256
    .name:           _ZN7rocprim17ROCPRIM_400000_NS6detail17trampoline_kernelINS0_14default_configENS1_36segmented_radix_sort_config_selectorIdlEEZNS1_25segmented_radix_sort_implIS3_Lb0EPKdPdPKlPlN2at6native12_GLOBAL__N_18offset_tEEE10hipError_tPvRmT1_PNSt15iterator_traitsISK_E10value_typeET2_T3_PNSL_ISQ_E10value_typeET4_jRbjT5_SW_jjP12ihipStream_tbEUlT_E2_NS1_11comp_targetILNS1_3genE8ELNS1_11target_archE1030ELNS1_3gpuE2ELNS1_3repE0EEENS1_30default_config_static_selectorELNS0_4arch9wavefront6targetE0EEEvSK_
    .private_segment_fixed_size: 176
    .sgpr_count:     72
    .sgpr_spill_count: 0
    .symbol:         _ZN7rocprim17ROCPRIM_400000_NS6detail17trampoline_kernelINS0_14default_configENS1_36segmented_radix_sort_config_selectorIdlEEZNS1_25segmented_radix_sort_implIS3_Lb0EPKdPdPKlPlN2at6native12_GLOBAL__N_18offset_tEEE10hipError_tPvRmT1_PNSt15iterator_traitsISK_E10value_typeET2_T3_PNSL_ISQ_E10value_typeET4_jRbjT5_SW_jjP12ihipStream_tbEUlT_E2_NS1_11comp_targetILNS1_3genE8ELNS1_11target_archE1030ELNS1_3gpuE2ELNS1_3repE0EEENS1_30default_config_static_selectorELNS0_4arch9wavefront6targetE0EEEvSK_.kd
    .uniform_work_group_size: 1
    .uses_dynamic_stack: false
    .vgpr_count:     248
    .vgpr_spill_count: 0
    .wavefront_size: 32
    .workgroup_processor_mode: 1
  - .args:
      - .address_space:  global
        .offset:         0
        .size:           8
        .value_kind:     global_buffer
      - .address_space:  global
        .offset:         8
        .size:           8
        .value_kind:     global_buffer
      - .address_space:  global
        .offset:         16
        .size:           8
        .value_kind:     global_buffer
      - .address_space:  global
        .offset:         24
        .size:           8
        .value_kind:     global_buffer
      - .offset:         32
        .size:           4
        .value_kind:     by_value
      - .offset:         36
        .size:           4
        .value_kind:     by_value
      - .offset:         40
        .size:           4
        .value_kind:     hidden_block_count_x
      - .offset:         44
        .size:           4
        .value_kind:     hidden_block_count_y
      - .offset:         48
        .size:           4
        .value_kind:     hidden_block_count_z
      - .offset:         52
        .size:           2
        .value_kind:     hidden_group_size_x
      - .offset:         54
        .size:           2
        .value_kind:     hidden_group_size_y
      - .offset:         56
        .size:           2
        .value_kind:     hidden_group_size_z
      - .offset:         58
        .size:           2
        .value_kind:     hidden_remainder_x
      - .offset:         60
        .size:           2
        .value_kind:     hidden_remainder_y
      - .offset:         62
        .size:           2
        .value_kind:     hidden_remainder_z
      - .offset:         80
        .size:           8
        .value_kind:     hidden_global_offset_x
      - .offset:         88
        .size:           8
        .value_kind:     hidden_global_offset_y
      - .offset:         96
        .size:           8
        .value_kind:     hidden_global_offset_z
      - .offset:         104
        .size:           2
        .value_kind:     hidden_grid_dims
    .group_segment_fixed_size: 0
    .kernarg_segment_align: 8
    .kernarg_segment_size: 296
    .language:       OpenCL C
    .language_version:
      - 2
      - 0
    .max_flat_workgroup_size: 1024
    .name:           _ZN2at6native12_GLOBAL__N_123sort_postprocess_kernelIfEEvPKT_PS3_PlPK15HIP_vector_typeIiLj2EEii
    .private_segment_fixed_size: 0
    .sgpr_count:     18
    .sgpr_spill_count: 0
    .symbol:         _ZN2at6native12_GLOBAL__N_123sort_postprocess_kernelIfEEvPKT_PS3_PlPK15HIP_vector_typeIiLj2EEii.kd
    .uniform_work_group_size: 1
    .uses_dynamic_stack: false
    .vgpr_count:     17
    .vgpr_spill_count: 0
    .wavefront_size: 32
    .workgroup_processor_mode: 1
  - .args:
      - .offset:         0
        .size:           176
        .value_kind:     by_value
    .group_segment_fixed_size: 0
    .kernarg_segment_align: 8
    .kernarg_segment_size: 176
    .language:       OpenCL C
    .language_version:
      - 2
      - 0
    .max_flat_workgroup_size: 256
    .name:           _ZN7rocprim17ROCPRIM_400000_NS6detail17trampoline_kernelINS0_13select_configILj256ELj13ELNS0_17block_load_methodE3ELS4_3ELS4_3ELNS0_20block_scan_algorithmE0ELj4294967295EEENS1_25partition_config_selectorILNS1_17partition_subalgoE4EjNS0_10empty_typeEbEEZZNS1_14partition_implILS8_4ELb0ES6_15HIP_vector_typeIjLj2EENS0_17counting_iteratorIjlEEPS9_SG_NS0_5tupleIJPjSI_NS0_16reverse_iteratorISI_EEEEENSH_IJSG_SG_SG_EEES9_SI_JZNS1_25segmented_radix_sort_implINS0_14default_configELb1EPKfPfPKlPlN2at6native12_GLOBAL__N_18offset_tEEE10hipError_tPvRmT1_PNSt15iterator_traitsIS12_E10value_typeET2_T3_PNS13_IS18_E10value_typeET4_jRbjT5_S1E_jjP12ihipStream_tbEUljE_ZNSN_ISO_Lb1ESQ_SR_ST_SU_SY_EESZ_S10_S11_S12_S16_S17_S18_S1B_S1C_jS1D_jS1E_S1E_jjS1G_bEUljE0_EEESZ_S10_S11_S18_S1C_S1E_T6_T7_T9_mT8_S1G_bDpT10_ENKUlT_T0_E_clISt17integral_constantIbLb0EES1U_EEDaS1P_S1Q_EUlS1P_E_NS1_11comp_targetILNS1_3genE0ELNS1_11target_archE4294967295ELNS1_3gpuE0ELNS1_3repE0EEENS1_30default_config_static_selectorELNS0_4arch9wavefront6targetE0EEEvS12_
    .private_segment_fixed_size: 0
    .sgpr_count:     0
    .sgpr_spill_count: 0
    .symbol:         _ZN7rocprim17ROCPRIM_400000_NS6detail17trampoline_kernelINS0_13select_configILj256ELj13ELNS0_17block_load_methodE3ELS4_3ELS4_3ELNS0_20block_scan_algorithmE0ELj4294967295EEENS1_25partition_config_selectorILNS1_17partition_subalgoE4EjNS0_10empty_typeEbEEZZNS1_14partition_implILS8_4ELb0ES6_15HIP_vector_typeIjLj2EENS0_17counting_iteratorIjlEEPS9_SG_NS0_5tupleIJPjSI_NS0_16reverse_iteratorISI_EEEEENSH_IJSG_SG_SG_EEES9_SI_JZNS1_25segmented_radix_sort_implINS0_14default_configELb1EPKfPfPKlPlN2at6native12_GLOBAL__N_18offset_tEEE10hipError_tPvRmT1_PNSt15iterator_traitsIS12_E10value_typeET2_T3_PNS13_IS18_E10value_typeET4_jRbjT5_S1E_jjP12ihipStream_tbEUljE_ZNSN_ISO_Lb1ESQ_SR_ST_SU_SY_EESZ_S10_S11_S12_S16_S17_S18_S1B_S1C_jS1D_jS1E_S1E_jjS1G_bEUljE0_EEESZ_S10_S11_S18_S1C_S1E_T6_T7_T9_mT8_S1G_bDpT10_ENKUlT_T0_E_clISt17integral_constantIbLb0EES1U_EEDaS1P_S1Q_EUlS1P_E_NS1_11comp_targetILNS1_3genE0ELNS1_11target_archE4294967295ELNS1_3gpuE0ELNS1_3repE0EEENS1_30default_config_static_selectorELNS0_4arch9wavefront6targetE0EEEvS12_.kd
    .uniform_work_group_size: 1
    .uses_dynamic_stack: false
    .vgpr_count:     0
    .vgpr_spill_count: 0
    .wavefront_size: 32
    .workgroup_processor_mode: 1
  - .args:
      - .offset:         0
        .size:           176
        .value_kind:     by_value
    .group_segment_fixed_size: 0
    .kernarg_segment_align: 8
    .kernarg_segment_size: 176
    .language:       OpenCL C
    .language_version:
      - 2
      - 0
    .max_flat_workgroup_size: 256
    .name:           _ZN7rocprim17ROCPRIM_400000_NS6detail17trampoline_kernelINS0_13select_configILj256ELj13ELNS0_17block_load_methodE3ELS4_3ELS4_3ELNS0_20block_scan_algorithmE0ELj4294967295EEENS1_25partition_config_selectorILNS1_17partition_subalgoE4EjNS0_10empty_typeEbEEZZNS1_14partition_implILS8_4ELb0ES6_15HIP_vector_typeIjLj2EENS0_17counting_iteratorIjlEEPS9_SG_NS0_5tupleIJPjSI_NS0_16reverse_iteratorISI_EEEEENSH_IJSG_SG_SG_EEES9_SI_JZNS1_25segmented_radix_sort_implINS0_14default_configELb1EPKfPfPKlPlN2at6native12_GLOBAL__N_18offset_tEEE10hipError_tPvRmT1_PNSt15iterator_traitsIS12_E10value_typeET2_T3_PNS13_IS18_E10value_typeET4_jRbjT5_S1E_jjP12ihipStream_tbEUljE_ZNSN_ISO_Lb1ESQ_SR_ST_SU_SY_EESZ_S10_S11_S12_S16_S17_S18_S1B_S1C_jS1D_jS1E_S1E_jjS1G_bEUljE0_EEESZ_S10_S11_S18_S1C_S1E_T6_T7_T9_mT8_S1G_bDpT10_ENKUlT_T0_E_clISt17integral_constantIbLb0EES1U_EEDaS1P_S1Q_EUlS1P_E_NS1_11comp_targetILNS1_3genE5ELNS1_11target_archE942ELNS1_3gpuE9ELNS1_3repE0EEENS1_30default_config_static_selectorELNS0_4arch9wavefront6targetE0EEEvS12_
    .private_segment_fixed_size: 0
    .sgpr_count:     0
    .sgpr_spill_count: 0
    .symbol:         _ZN7rocprim17ROCPRIM_400000_NS6detail17trampoline_kernelINS0_13select_configILj256ELj13ELNS0_17block_load_methodE3ELS4_3ELS4_3ELNS0_20block_scan_algorithmE0ELj4294967295EEENS1_25partition_config_selectorILNS1_17partition_subalgoE4EjNS0_10empty_typeEbEEZZNS1_14partition_implILS8_4ELb0ES6_15HIP_vector_typeIjLj2EENS0_17counting_iteratorIjlEEPS9_SG_NS0_5tupleIJPjSI_NS0_16reverse_iteratorISI_EEEEENSH_IJSG_SG_SG_EEES9_SI_JZNS1_25segmented_radix_sort_implINS0_14default_configELb1EPKfPfPKlPlN2at6native12_GLOBAL__N_18offset_tEEE10hipError_tPvRmT1_PNSt15iterator_traitsIS12_E10value_typeET2_T3_PNS13_IS18_E10value_typeET4_jRbjT5_S1E_jjP12ihipStream_tbEUljE_ZNSN_ISO_Lb1ESQ_SR_ST_SU_SY_EESZ_S10_S11_S12_S16_S17_S18_S1B_S1C_jS1D_jS1E_S1E_jjS1G_bEUljE0_EEESZ_S10_S11_S18_S1C_S1E_T6_T7_T9_mT8_S1G_bDpT10_ENKUlT_T0_E_clISt17integral_constantIbLb0EES1U_EEDaS1P_S1Q_EUlS1P_E_NS1_11comp_targetILNS1_3genE5ELNS1_11target_archE942ELNS1_3gpuE9ELNS1_3repE0EEENS1_30default_config_static_selectorELNS0_4arch9wavefront6targetE0EEEvS12_.kd
    .uniform_work_group_size: 1
    .uses_dynamic_stack: false
    .vgpr_count:     0
    .vgpr_spill_count: 0
    .wavefront_size: 32
    .workgroup_processor_mode: 1
  - .args:
      - .offset:         0
        .size:           176
        .value_kind:     by_value
    .group_segment_fixed_size: 0
    .kernarg_segment_align: 8
    .kernarg_segment_size: 176
    .language:       OpenCL C
    .language_version:
      - 2
      - 0
    .max_flat_workgroup_size: 256
    .name:           _ZN7rocprim17ROCPRIM_400000_NS6detail17trampoline_kernelINS0_13select_configILj256ELj13ELNS0_17block_load_methodE3ELS4_3ELS4_3ELNS0_20block_scan_algorithmE0ELj4294967295EEENS1_25partition_config_selectorILNS1_17partition_subalgoE4EjNS0_10empty_typeEbEEZZNS1_14partition_implILS8_4ELb0ES6_15HIP_vector_typeIjLj2EENS0_17counting_iteratorIjlEEPS9_SG_NS0_5tupleIJPjSI_NS0_16reverse_iteratorISI_EEEEENSH_IJSG_SG_SG_EEES9_SI_JZNS1_25segmented_radix_sort_implINS0_14default_configELb1EPKfPfPKlPlN2at6native12_GLOBAL__N_18offset_tEEE10hipError_tPvRmT1_PNSt15iterator_traitsIS12_E10value_typeET2_T3_PNS13_IS18_E10value_typeET4_jRbjT5_S1E_jjP12ihipStream_tbEUljE_ZNSN_ISO_Lb1ESQ_SR_ST_SU_SY_EESZ_S10_S11_S12_S16_S17_S18_S1B_S1C_jS1D_jS1E_S1E_jjS1G_bEUljE0_EEESZ_S10_S11_S18_S1C_S1E_T6_T7_T9_mT8_S1G_bDpT10_ENKUlT_T0_E_clISt17integral_constantIbLb0EES1U_EEDaS1P_S1Q_EUlS1P_E_NS1_11comp_targetILNS1_3genE4ELNS1_11target_archE910ELNS1_3gpuE8ELNS1_3repE0EEENS1_30default_config_static_selectorELNS0_4arch9wavefront6targetE0EEEvS12_
    .private_segment_fixed_size: 0
    .sgpr_count:     0
    .sgpr_spill_count: 0
    .symbol:         _ZN7rocprim17ROCPRIM_400000_NS6detail17trampoline_kernelINS0_13select_configILj256ELj13ELNS0_17block_load_methodE3ELS4_3ELS4_3ELNS0_20block_scan_algorithmE0ELj4294967295EEENS1_25partition_config_selectorILNS1_17partition_subalgoE4EjNS0_10empty_typeEbEEZZNS1_14partition_implILS8_4ELb0ES6_15HIP_vector_typeIjLj2EENS0_17counting_iteratorIjlEEPS9_SG_NS0_5tupleIJPjSI_NS0_16reverse_iteratorISI_EEEEENSH_IJSG_SG_SG_EEES9_SI_JZNS1_25segmented_radix_sort_implINS0_14default_configELb1EPKfPfPKlPlN2at6native12_GLOBAL__N_18offset_tEEE10hipError_tPvRmT1_PNSt15iterator_traitsIS12_E10value_typeET2_T3_PNS13_IS18_E10value_typeET4_jRbjT5_S1E_jjP12ihipStream_tbEUljE_ZNSN_ISO_Lb1ESQ_SR_ST_SU_SY_EESZ_S10_S11_S12_S16_S17_S18_S1B_S1C_jS1D_jS1E_S1E_jjS1G_bEUljE0_EEESZ_S10_S11_S18_S1C_S1E_T6_T7_T9_mT8_S1G_bDpT10_ENKUlT_T0_E_clISt17integral_constantIbLb0EES1U_EEDaS1P_S1Q_EUlS1P_E_NS1_11comp_targetILNS1_3genE4ELNS1_11target_archE910ELNS1_3gpuE8ELNS1_3repE0EEENS1_30default_config_static_selectorELNS0_4arch9wavefront6targetE0EEEvS12_.kd
    .uniform_work_group_size: 1
    .uses_dynamic_stack: false
    .vgpr_count:     0
    .vgpr_spill_count: 0
    .wavefront_size: 32
    .workgroup_processor_mode: 1
  - .args:
      - .offset:         0
        .size:           176
        .value_kind:     by_value
    .group_segment_fixed_size: 0
    .kernarg_segment_align: 8
    .kernarg_segment_size: 176
    .language:       OpenCL C
    .language_version:
      - 2
      - 0
    .max_flat_workgroup_size: 256
    .name:           _ZN7rocprim17ROCPRIM_400000_NS6detail17trampoline_kernelINS0_13select_configILj256ELj13ELNS0_17block_load_methodE3ELS4_3ELS4_3ELNS0_20block_scan_algorithmE0ELj4294967295EEENS1_25partition_config_selectorILNS1_17partition_subalgoE4EjNS0_10empty_typeEbEEZZNS1_14partition_implILS8_4ELb0ES6_15HIP_vector_typeIjLj2EENS0_17counting_iteratorIjlEEPS9_SG_NS0_5tupleIJPjSI_NS0_16reverse_iteratorISI_EEEEENSH_IJSG_SG_SG_EEES9_SI_JZNS1_25segmented_radix_sort_implINS0_14default_configELb1EPKfPfPKlPlN2at6native12_GLOBAL__N_18offset_tEEE10hipError_tPvRmT1_PNSt15iterator_traitsIS12_E10value_typeET2_T3_PNS13_IS18_E10value_typeET4_jRbjT5_S1E_jjP12ihipStream_tbEUljE_ZNSN_ISO_Lb1ESQ_SR_ST_SU_SY_EESZ_S10_S11_S12_S16_S17_S18_S1B_S1C_jS1D_jS1E_S1E_jjS1G_bEUljE0_EEESZ_S10_S11_S18_S1C_S1E_T6_T7_T9_mT8_S1G_bDpT10_ENKUlT_T0_E_clISt17integral_constantIbLb0EES1U_EEDaS1P_S1Q_EUlS1P_E_NS1_11comp_targetILNS1_3genE3ELNS1_11target_archE908ELNS1_3gpuE7ELNS1_3repE0EEENS1_30default_config_static_selectorELNS0_4arch9wavefront6targetE0EEEvS12_
    .private_segment_fixed_size: 0
    .sgpr_count:     0
    .sgpr_spill_count: 0
    .symbol:         _ZN7rocprim17ROCPRIM_400000_NS6detail17trampoline_kernelINS0_13select_configILj256ELj13ELNS0_17block_load_methodE3ELS4_3ELS4_3ELNS0_20block_scan_algorithmE0ELj4294967295EEENS1_25partition_config_selectorILNS1_17partition_subalgoE4EjNS0_10empty_typeEbEEZZNS1_14partition_implILS8_4ELb0ES6_15HIP_vector_typeIjLj2EENS0_17counting_iteratorIjlEEPS9_SG_NS0_5tupleIJPjSI_NS0_16reverse_iteratorISI_EEEEENSH_IJSG_SG_SG_EEES9_SI_JZNS1_25segmented_radix_sort_implINS0_14default_configELb1EPKfPfPKlPlN2at6native12_GLOBAL__N_18offset_tEEE10hipError_tPvRmT1_PNSt15iterator_traitsIS12_E10value_typeET2_T3_PNS13_IS18_E10value_typeET4_jRbjT5_S1E_jjP12ihipStream_tbEUljE_ZNSN_ISO_Lb1ESQ_SR_ST_SU_SY_EESZ_S10_S11_S12_S16_S17_S18_S1B_S1C_jS1D_jS1E_S1E_jjS1G_bEUljE0_EEESZ_S10_S11_S18_S1C_S1E_T6_T7_T9_mT8_S1G_bDpT10_ENKUlT_T0_E_clISt17integral_constantIbLb0EES1U_EEDaS1P_S1Q_EUlS1P_E_NS1_11comp_targetILNS1_3genE3ELNS1_11target_archE908ELNS1_3gpuE7ELNS1_3repE0EEENS1_30default_config_static_selectorELNS0_4arch9wavefront6targetE0EEEvS12_.kd
    .uniform_work_group_size: 1
    .uses_dynamic_stack: false
    .vgpr_count:     0
    .vgpr_spill_count: 0
    .wavefront_size: 32
    .workgroup_processor_mode: 1
  - .args:
      - .offset:         0
        .size:           176
        .value_kind:     by_value
    .group_segment_fixed_size: 0
    .kernarg_segment_align: 8
    .kernarg_segment_size: 176
    .language:       OpenCL C
    .language_version:
      - 2
      - 0
    .max_flat_workgroup_size: 256
    .name:           _ZN7rocprim17ROCPRIM_400000_NS6detail17trampoline_kernelINS0_13select_configILj256ELj13ELNS0_17block_load_methodE3ELS4_3ELS4_3ELNS0_20block_scan_algorithmE0ELj4294967295EEENS1_25partition_config_selectorILNS1_17partition_subalgoE4EjNS0_10empty_typeEbEEZZNS1_14partition_implILS8_4ELb0ES6_15HIP_vector_typeIjLj2EENS0_17counting_iteratorIjlEEPS9_SG_NS0_5tupleIJPjSI_NS0_16reverse_iteratorISI_EEEEENSH_IJSG_SG_SG_EEES9_SI_JZNS1_25segmented_radix_sort_implINS0_14default_configELb1EPKfPfPKlPlN2at6native12_GLOBAL__N_18offset_tEEE10hipError_tPvRmT1_PNSt15iterator_traitsIS12_E10value_typeET2_T3_PNS13_IS18_E10value_typeET4_jRbjT5_S1E_jjP12ihipStream_tbEUljE_ZNSN_ISO_Lb1ESQ_SR_ST_SU_SY_EESZ_S10_S11_S12_S16_S17_S18_S1B_S1C_jS1D_jS1E_S1E_jjS1G_bEUljE0_EEESZ_S10_S11_S18_S1C_S1E_T6_T7_T9_mT8_S1G_bDpT10_ENKUlT_T0_E_clISt17integral_constantIbLb0EES1U_EEDaS1P_S1Q_EUlS1P_E_NS1_11comp_targetILNS1_3genE2ELNS1_11target_archE906ELNS1_3gpuE6ELNS1_3repE0EEENS1_30default_config_static_selectorELNS0_4arch9wavefront6targetE0EEEvS12_
    .private_segment_fixed_size: 0
    .sgpr_count:     0
    .sgpr_spill_count: 0
    .symbol:         _ZN7rocprim17ROCPRIM_400000_NS6detail17trampoline_kernelINS0_13select_configILj256ELj13ELNS0_17block_load_methodE3ELS4_3ELS4_3ELNS0_20block_scan_algorithmE0ELj4294967295EEENS1_25partition_config_selectorILNS1_17partition_subalgoE4EjNS0_10empty_typeEbEEZZNS1_14partition_implILS8_4ELb0ES6_15HIP_vector_typeIjLj2EENS0_17counting_iteratorIjlEEPS9_SG_NS0_5tupleIJPjSI_NS0_16reverse_iteratorISI_EEEEENSH_IJSG_SG_SG_EEES9_SI_JZNS1_25segmented_radix_sort_implINS0_14default_configELb1EPKfPfPKlPlN2at6native12_GLOBAL__N_18offset_tEEE10hipError_tPvRmT1_PNSt15iterator_traitsIS12_E10value_typeET2_T3_PNS13_IS18_E10value_typeET4_jRbjT5_S1E_jjP12ihipStream_tbEUljE_ZNSN_ISO_Lb1ESQ_SR_ST_SU_SY_EESZ_S10_S11_S12_S16_S17_S18_S1B_S1C_jS1D_jS1E_S1E_jjS1G_bEUljE0_EEESZ_S10_S11_S18_S1C_S1E_T6_T7_T9_mT8_S1G_bDpT10_ENKUlT_T0_E_clISt17integral_constantIbLb0EES1U_EEDaS1P_S1Q_EUlS1P_E_NS1_11comp_targetILNS1_3genE2ELNS1_11target_archE906ELNS1_3gpuE6ELNS1_3repE0EEENS1_30default_config_static_selectorELNS0_4arch9wavefront6targetE0EEEvS12_.kd
    .uniform_work_group_size: 1
    .uses_dynamic_stack: false
    .vgpr_count:     0
    .vgpr_spill_count: 0
    .wavefront_size: 32
    .workgroup_processor_mode: 1
  - .args:
      - .offset:         0
        .size:           176
        .value_kind:     by_value
    .group_segment_fixed_size: 0
    .kernarg_segment_align: 8
    .kernarg_segment_size: 176
    .language:       OpenCL C
    .language_version:
      - 2
      - 0
    .max_flat_workgroup_size: 256
    .name:           _ZN7rocprim17ROCPRIM_400000_NS6detail17trampoline_kernelINS0_13select_configILj256ELj13ELNS0_17block_load_methodE3ELS4_3ELS4_3ELNS0_20block_scan_algorithmE0ELj4294967295EEENS1_25partition_config_selectorILNS1_17partition_subalgoE4EjNS0_10empty_typeEbEEZZNS1_14partition_implILS8_4ELb0ES6_15HIP_vector_typeIjLj2EENS0_17counting_iteratorIjlEEPS9_SG_NS0_5tupleIJPjSI_NS0_16reverse_iteratorISI_EEEEENSH_IJSG_SG_SG_EEES9_SI_JZNS1_25segmented_radix_sort_implINS0_14default_configELb1EPKfPfPKlPlN2at6native12_GLOBAL__N_18offset_tEEE10hipError_tPvRmT1_PNSt15iterator_traitsIS12_E10value_typeET2_T3_PNS13_IS18_E10value_typeET4_jRbjT5_S1E_jjP12ihipStream_tbEUljE_ZNSN_ISO_Lb1ESQ_SR_ST_SU_SY_EESZ_S10_S11_S12_S16_S17_S18_S1B_S1C_jS1D_jS1E_S1E_jjS1G_bEUljE0_EEESZ_S10_S11_S18_S1C_S1E_T6_T7_T9_mT8_S1G_bDpT10_ENKUlT_T0_E_clISt17integral_constantIbLb0EES1U_EEDaS1P_S1Q_EUlS1P_E_NS1_11comp_targetILNS1_3genE10ELNS1_11target_archE1200ELNS1_3gpuE4ELNS1_3repE0EEENS1_30default_config_static_selectorELNS0_4arch9wavefront6targetE0EEEvS12_
    .private_segment_fixed_size: 0
    .sgpr_count:     0
    .sgpr_spill_count: 0
    .symbol:         _ZN7rocprim17ROCPRIM_400000_NS6detail17trampoline_kernelINS0_13select_configILj256ELj13ELNS0_17block_load_methodE3ELS4_3ELS4_3ELNS0_20block_scan_algorithmE0ELj4294967295EEENS1_25partition_config_selectorILNS1_17partition_subalgoE4EjNS0_10empty_typeEbEEZZNS1_14partition_implILS8_4ELb0ES6_15HIP_vector_typeIjLj2EENS0_17counting_iteratorIjlEEPS9_SG_NS0_5tupleIJPjSI_NS0_16reverse_iteratorISI_EEEEENSH_IJSG_SG_SG_EEES9_SI_JZNS1_25segmented_radix_sort_implINS0_14default_configELb1EPKfPfPKlPlN2at6native12_GLOBAL__N_18offset_tEEE10hipError_tPvRmT1_PNSt15iterator_traitsIS12_E10value_typeET2_T3_PNS13_IS18_E10value_typeET4_jRbjT5_S1E_jjP12ihipStream_tbEUljE_ZNSN_ISO_Lb1ESQ_SR_ST_SU_SY_EESZ_S10_S11_S12_S16_S17_S18_S1B_S1C_jS1D_jS1E_S1E_jjS1G_bEUljE0_EEESZ_S10_S11_S18_S1C_S1E_T6_T7_T9_mT8_S1G_bDpT10_ENKUlT_T0_E_clISt17integral_constantIbLb0EES1U_EEDaS1P_S1Q_EUlS1P_E_NS1_11comp_targetILNS1_3genE10ELNS1_11target_archE1200ELNS1_3gpuE4ELNS1_3repE0EEENS1_30default_config_static_selectorELNS0_4arch9wavefront6targetE0EEEvS12_.kd
    .uniform_work_group_size: 1
    .uses_dynamic_stack: false
    .vgpr_count:     0
    .vgpr_spill_count: 0
    .wavefront_size: 32
    .workgroup_processor_mode: 1
  - .args:
      - .offset:         0
        .size:           176
        .value_kind:     by_value
    .group_segment_fixed_size: 0
    .kernarg_segment_align: 8
    .kernarg_segment_size: 176
    .language:       OpenCL C
    .language_version:
      - 2
      - 0
    .max_flat_workgroup_size: 256
    .name:           _ZN7rocprim17ROCPRIM_400000_NS6detail17trampoline_kernelINS0_13select_configILj256ELj13ELNS0_17block_load_methodE3ELS4_3ELS4_3ELNS0_20block_scan_algorithmE0ELj4294967295EEENS1_25partition_config_selectorILNS1_17partition_subalgoE4EjNS0_10empty_typeEbEEZZNS1_14partition_implILS8_4ELb0ES6_15HIP_vector_typeIjLj2EENS0_17counting_iteratorIjlEEPS9_SG_NS0_5tupleIJPjSI_NS0_16reverse_iteratorISI_EEEEENSH_IJSG_SG_SG_EEES9_SI_JZNS1_25segmented_radix_sort_implINS0_14default_configELb1EPKfPfPKlPlN2at6native12_GLOBAL__N_18offset_tEEE10hipError_tPvRmT1_PNSt15iterator_traitsIS12_E10value_typeET2_T3_PNS13_IS18_E10value_typeET4_jRbjT5_S1E_jjP12ihipStream_tbEUljE_ZNSN_ISO_Lb1ESQ_SR_ST_SU_SY_EESZ_S10_S11_S12_S16_S17_S18_S1B_S1C_jS1D_jS1E_S1E_jjS1G_bEUljE0_EEESZ_S10_S11_S18_S1C_S1E_T6_T7_T9_mT8_S1G_bDpT10_ENKUlT_T0_E_clISt17integral_constantIbLb0EES1U_EEDaS1P_S1Q_EUlS1P_E_NS1_11comp_targetILNS1_3genE9ELNS1_11target_archE1100ELNS1_3gpuE3ELNS1_3repE0EEENS1_30default_config_static_selectorELNS0_4arch9wavefront6targetE0EEEvS12_
    .private_segment_fixed_size: 0
    .sgpr_count:     0
    .sgpr_spill_count: 0
    .symbol:         _ZN7rocprim17ROCPRIM_400000_NS6detail17trampoline_kernelINS0_13select_configILj256ELj13ELNS0_17block_load_methodE3ELS4_3ELS4_3ELNS0_20block_scan_algorithmE0ELj4294967295EEENS1_25partition_config_selectorILNS1_17partition_subalgoE4EjNS0_10empty_typeEbEEZZNS1_14partition_implILS8_4ELb0ES6_15HIP_vector_typeIjLj2EENS0_17counting_iteratorIjlEEPS9_SG_NS0_5tupleIJPjSI_NS0_16reverse_iteratorISI_EEEEENSH_IJSG_SG_SG_EEES9_SI_JZNS1_25segmented_radix_sort_implINS0_14default_configELb1EPKfPfPKlPlN2at6native12_GLOBAL__N_18offset_tEEE10hipError_tPvRmT1_PNSt15iterator_traitsIS12_E10value_typeET2_T3_PNS13_IS18_E10value_typeET4_jRbjT5_S1E_jjP12ihipStream_tbEUljE_ZNSN_ISO_Lb1ESQ_SR_ST_SU_SY_EESZ_S10_S11_S12_S16_S17_S18_S1B_S1C_jS1D_jS1E_S1E_jjS1G_bEUljE0_EEESZ_S10_S11_S18_S1C_S1E_T6_T7_T9_mT8_S1G_bDpT10_ENKUlT_T0_E_clISt17integral_constantIbLb0EES1U_EEDaS1P_S1Q_EUlS1P_E_NS1_11comp_targetILNS1_3genE9ELNS1_11target_archE1100ELNS1_3gpuE3ELNS1_3repE0EEENS1_30default_config_static_selectorELNS0_4arch9wavefront6targetE0EEEvS12_.kd
    .uniform_work_group_size: 1
    .uses_dynamic_stack: false
    .vgpr_count:     0
    .vgpr_spill_count: 0
    .wavefront_size: 32
    .workgroup_processor_mode: 1
  - .args:
      - .offset:         0
        .size:           176
        .value_kind:     by_value
    .group_segment_fixed_size: 13328
    .kernarg_segment_align: 8
    .kernarg_segment_size: 176
    .language:       OpenCL C
    .language_version:
      - 2
      - 0
    .max_flat_workgroup_size: 256
    .name:           _ZN7rocprim17ROCPRIM_400000_NS6detail17trampoline_kernelINS0_13select_configILj256ELj13ELNS0_17block_load_methodE3ELS4_3ELS4_3ELNS0_20block_scan_algorithmE0ELj4294967295EEENS1_25partition_config_selectorILNS1_17partition_subalgoE4EjNS0_10empty_typeEbEEZZNS1_14partition_implILS8_4ELb0ES6_15HIP_vector_typeIjLj2EENS0_17counting_iteratorIjlEEPS9_SG_NS0_5tupleIJPjSI_NS0_16reverse_iteratorISI_EEEEENSH_IJSG_SG_SG_EEES9_SI_JZNS1_25segmented_radix_sort_implINS0_14default_configELb1EPKfPfPKlPlN2at6native12_GLOBAL__N_18offset_tEEE10hipError_tPvRmT1_PNSt15iterator_traitsIS12_E10value_typeET2_T3_PNS13_IS18_E10value_typeET4_jRbjT5_S1E_jjP12ihipStream_tbEUljE_ZNSN_ISO_Lb1ESQ_SR_ST_SU_SY_EESZ_S10_S11_S12_S16_S17_S18_S1B_S1C_jS1D_jS1E_S1E_jjS1G_bEUljE0_EEESZ_S10_S11_S18_S1C_S1E_T6_T7_T9_mT8_S1G_bDpT10_ENKUlT_T0_E_clISt17integral_constantIbLb0EES1U_EEDaS1P_S1Q_EUlS1P_E_NS1_11comp_targetILNS1_3genE8ELNS1_11target_archE1030ELNS1_3gpuE2ELNS1_3repE0EEENS1_30default_config_static_selectorELNS0_4arch9wavefront6targetE0EEEvS12_
    .private_segment_fixed_size: 0
    .sgpr_count:     61
    .sgpr_spill_count: 0
    .symbol:         _ZN7rocprim17ROCPRIM_400000_NS6detail17trampoline_kernelINS0_13select_configILj256ELj13ELNS0_17block_load_methodE3ELS4_3ELS4_3ELNS0_20block_scan_algorithmE0ELj4294967295EEENS1_25partition_config_selectorILNS1_17partition_subalgoE4EjNS0_10empty_typeEbEEZZNS1_14partition_implILS8_4ELb0ES6_15HIP_vector_typeIjLj2EENS0_17counting_iteratorIjlEEPS9_SG_NS0_5tupleIJPjSI_NS0_16reverse_iteratorISI_EEEEENSH_IJSG_SG_SG_EEES9_SI_JZNS1_25segmented_radix_sort_implINS0_14default_configELb1EPKfPfPKlPlN2at6native12_GLOBAL__N_18offset_tEEE10hipError_tPvRmT1_PNSt15iterator_traitsIS12_E10value_typeET2_T3_PNS13_IS18_E10value_typeET4_jRbjT5_S1E_jjP12ihipStream_tbEUljE_ZNSN_ISO_Lb1ESQ_SR_ST_SU_SY_EESZ_S10_S11_S12_S16_S17_S18_S1B_S1C_jS1D_jS1E_S1E_jjS1G_bEUljE0_EEESZ_S10_S11_S18_S1C_S1E_T6_T7_T9_mT8_S1G_bDpT10_ENKUlT_T0_E_clISt17integral_constantIbLb0EES1U_EEDaS1P_S1Q_EUlS1P_E_NS1_11comp_targetILNS1_3genE8ELNS1_11target_archE1030ELNS1_3gpuE2ELNS1_3repE0EEENS1_30default_config_static_selectorELNS0_4arch9wavefront6targetE0EEEvS12_.kd
    .uniform_work_group_size: 1
    .uses_dynamic_stack: false
    .vgpr_count:     82
    .vgpr_spill_count: 0
    .wavefront_size: 32
    .workgroup_processor_mode: 1
  - .args:
      - .offset:         0
        .size:           184
        .value_kind:     by_value
    .group_segment_fixed_size: 0
    .kernarg_segment_align: 8
    .kernarg_segment_size: 184
    .language:       OpenCL C
    .language_version:
      - 2
      - 0
    .max_flat_workgroup_size: 256
    .name:           _ZN7rocprim17ROCPRIM_400000_NS6detail17trampoline_kernelINS0_13select_configILj256ELj13ELNS0_17block_load_methodE3ELS4_3ELS4_3ELNS0_20block_scan_algorithmE0ELj4294967295EEENS1_25partition_config_selectorILNS1_17partition_subalgoE4EjNS0_10empty_typeEbEEZZNS1_14partition_implILS8_4ELb0ES6_15HIP_vector_typeIjLj2EENS0_17counting_iteratorIjlEEPS9_SG_NS0_5tupleIJPjSI_NS0_16reverse_iteratorISI_EEEEENSH_IJSG_SG_SG_EEES9_SI_JZNS1_25segmented_radix_sort_implINS0_14default_configELb1EPKfPfPKlPlN2at6native12_GLOBAL__N_18offset_tEEE10hipError_tPvRmT1_PNSt15iterator_traitsIS12_E10value_typeET2_T3_PNS13_IS18_E10value_typeET4_jRbjT5_S1E_jjP12ihipStream_tbEUljE_ZNSN_ISO_Lb1ESQ_SR_ST_SU_SY_EESZ_S10_S11_S12_S16_S17_S18_S1B_S1C_jS1D_jS1E_S1E_jjS1G_bEUljE0_EEESZ_S10_S11_S18_S1C_S1E_T6_T7_T9_mT8_S1G_bDpT10_ENKUlT_T0_E_clISt17integral_constantIbLb1EES1U_EEDaS1P_S1Q_EUlS1P_E_NS1_11comp_targetILNS1_3genE0ELNS1_11target_archE4294967295ELNS1_3gpuE0ELNS1_3repE0EEENS1_30default_config_static_selectorELNS0_4arch9wavefront6targetE0EEEvS12_
    .private_segment_fixed_size: 0
    .sgpr_count:     0
    .sgpr_spill_count: 0
    .symbol:         _ZN7rocprim17ROCPRIM_400000_NS6detail17trampoline_kernelINS0_13select_configILj256ELj13ELNS0_17block_load_methodE3ELS4_3ELS4_3ELNS0_20block_scan_algorithmE0ELj4294967295EEENS1_25partition_config_selectorILNS1_17partition_subalgoE4EjNS0_10empty_typeEbEEZZNS1_14partition_implILS8_4ELb0ES6_15HIP_vector_typeIjLj2EENS0_17counting_iteratorIjlEEPS9_SG_NS0_5tupleIJPjSI_NS0_16reverse_iteratorISI_EEEEENSH_IJSG_SG_SG_EEES9_SI_JZNS1_25segmented_radix_sort_implINS0_14default_configELb1EPKfPfPKlPlN2at6native12_GLOBAL__N_18offset_tEEE10hipError_tPvRmT1_PNSt15iterator_traitsIS12_E10value_typeET2_T3_PNS13_IS18_E10value_typeET4_jRbjT5_S1E_jjP12ihipStream_tbEUljE_ZNSN_ISO_Lb1ESQ_SR_ST_SU_SY_EESZ_S10_S11_S12_S16_S17_S18_S1B_S1C_jS1D_jS1E_S1E_jjS1G_bEUljE0_EEESZ_S10_S11_S18_S1C_S1E_T6_T7_T9_mT8_S1G_bDpT10_ENKUlT_T0_E_clISt17integral_constantIbLb1EES1U_EEDaS1P_S1Q_EUlS1P_E_NS1_11comp_targetILNS1_3genE0ELNS1_11target_archE4294967295ELNS1_3gpuE0ELNS1_3repE0EEENS1_30default_config_static_selectorELNS0_4arch9wavefront6targetE0EEEvS12_.kd
    .uniform_work_group_size: 1
    .uses_dynamic_stack: false
    .vgpr_count:     0
    .vgpr_spill_count: 0
    .wavefront_size: 32
    .workgroup_processor_mode: 1
  - .args:
      - .offset:         0
        .size:           184
        .value_kind:     by_value
    .group_segment_fixed_size: 0
    .kernarg_segment_align: 8
    .kernarg_segment_size: 184
    .language:       OpenCL C
    .language_version:
      - 2
      - 0
    .max_flat_workgroup_size: 256
    .name:           _ZN7rocprim17ROCPRIM_400000_NS6detail17trampoline_kernelINS0_13select_configILj256ELj13ELNS0_17block_load_methodE3ELS4_3ELS4_3ELNS0_20block_scan_algorithmE0ELj4294967295EEENS1_25partition_config_selectorILNS1_17partition_subalgoE4EjNS0_10empty_typeEbEEZZNS1_14partition_implILS8_4ELb0ES6_15HIP_vector_typeIjLj2EENS0_17counting_iteratorIjlEEPS9_SG_NS0_5tupleIJPjSI_NS0_16reverse_iteratorISI_EEEEENSH_IJSG_SG_SG_EEES9_SI_JZNS1_25segmented_radix_sort_implINS0_14default_configELb1EPKfPfPKlPlN2at6native12_GLOBAL__N_18offset_tEEE10hipError_tPvRmT1_PNSt15iterator_traitsIS12_E10value_typeET2_T3_PNS13_IS18_E10value_typeET4_jRbjT5_S1E_jjP12ihipStream_tbEUljE_ZNSN_ISO_Lb1ESQ_SR_ST_SU_SY_EESZ_S10_S11_S12_S16_S17_S18_S1B_S1C_jS1D_jS1E_S1E_jjS1G_bEUljE0_EEESZ_S10_S11_S18_S1C_S1E_T6_T7_T9_mT8_S1G_bDpT10_ENKUlT_T0_E_clISt17integral_constantIbLb1EES1U_EEDaS1P_S1Q_EUlS1P_E_NS1_11comp_targetILNS1_3genE5ELNS1_11target_archE942ELNS1_3gpuE9ELNS1_3repE0EEENS1_30default_config_static_selectorELNS0_4arch9wavefront6targetE0EEEvS12_
    .private_segment_fixed_size: 0
    .sgpr_count:     0
    .sgpr_spill_count: 0
    .symbol:         _ZN7rocprim17ROCPRIM_400000_NS6detail17trampoline_kernelINS0_13select_configILj256ELj13ELNS0_17block_load_methodE3ELS4_3ELS4_3ELNS0_20block_scan_algorithmE0ELj4294967295EEENS1_25partition_config_selectorILNS1_17partition_subalgoE4EjNS0_10empty_typeEbEEZZNS1_14partition_implILS8_4ELb0ES6_15HIP_vector_typeIjLj2EENS0_17counting_iteratorIjlEEPS9_SG_NS0_5tupleIJPjSI_NS0_16reverse_iteratorISI_EEEEENSH_IJSG_SG_SG_EEES9_SI_JZNS1_25segmented_radix_sort_implINS0_14default_configELb1EPKfPfPKlPlN2at6native12_GLOBAL__N_18offset_tEEE10hipError_tPvRmT1_PNSt15iterator_traitsIS12_E10value_typeET2_T3_PNS13_IS18_E10value_typeET4_jRbjT5_S1E_jjP12ihipStream_tbEUljE_ZNSN_ISO_Lb1ESQ_SR_ST_SU_SY_EESZ_S10_S11_S12_S16_S17_S18_S1B_S1C_jS1D_jS1E_S1E_jjS1G_bEUljE0_EEESZ_S10_S11_S18_S1C_S1E_T6_T7_T9_mT8_S1G_bDpT10_ENKUlT_T0_E_clISt17integral_constantIbLb1EES1U_EEDaS1P_S1Q_EUlS1P_E_NS1_11comp_targetILNS1_3genE5ELNS1_11target_archE942ELNS1_3gpuE9ELNS1_3repE0EEENS1_30default_config_static_selectorELNS0_4arch9wavefront6targetE0EEEvS12_.kd
    .uniform_work_group_size: 1
    .uses_dynamic_stack: false
    .vgpr_count:     0
    .vgpr_spill_count: 0
    .wavefront_size: 32
    .workgroup_processor_mode: 1
  - .args:
      - .offset:         0
        .size:           184
        .value_kind:     by_value
    .group_segment_fixed_size: 0
    .kernarg_segment_align: 8
    .kernarg_segment_size: 184
    .language:       OpenCL C
    .language_version:
      - 2
      - 0
    .max_flat_workgroup_size: 256
    .name:           _ZN7rocprim17ROCPRIM_400000_NS6detail17trampoline_kernelINS0_13select_configILj256ELj13ELNS0_17block_load_methodE3ELS4_3ELS4_3ELNS0_20block_scan_algorithmE0ELj4294967295EEENS1_25partition_config_selectorILNS1_17partition_subalgoE4EjNS0_10empty_typeEbEEZZNS1_14partition_implILS8_4ELb0ES6_15HIP_vector_typeIjLj2EENS0_17counting_iteratorIjlEEPS9_SG_NS0_5tupleIJPjSI_NS0_16reverse_iteratorISI_EEEEENSH_IJSG_SG_SG_EEES9_SI_JZNS1_25segmented_radix_sort_implINS0_14default_configELb1EPKfPfPKlPlN2at6native12_GLOBAL__N_18offset_tEEE10hipError_tPvRmT1_PNSt15iterator_traitsIS12_E10value_typeET2_T3_PNS13_IS18_E10value_typeET4_jRbjT5_S1E_jjP12ihipStream_tbEUljE_ZNSN_ISO_Lb1ESQ_SR_ST_SU_SY_EESZ_S10_S11_S12_S16_S17_S18_S1B_S1C_jS1D_jS1E_S1E_jjS1G_bEUljE0_EEESZ_S10_S11_S18_S1C_S1E_T6_T7_T9_mT8_S1G_bDpT10_ENKUlT_T0_E_clISt17integral_constantIbLb1EES1U_EEDaS1P_S1Q_EUlS1P_E_NS1_11comp_targetILNS1_3genE4ELNS1_11target_archE910ELNS1_3gpuE8ELNS1_3repE0EEENS1_30default_config_static_selectorELNS0_4arch9wavefront6targetE0EEEvS12_
    .private_segment_fixed_size: 0
    .sgpr_count:     0
    .sgpr_spill_count: 0
    .symbol:         _ZN7rocprim17ROCPRIM_400000_NS6detail17trampoline_kernelINS0_13select_configILj256ELj13ELNS0_17block_load_methodE3ELS4_3ELS4_3ELNS0_20block_scan_algorithmE0ELj4294967295EEENS1_25partition_config_selectorILNS1_17partition_subalgoE4EjNS0_10empty_typeEbEEZZNS1_14partition_implILS8_4ELb0ES6_15HIP_vector_typeIjLj2EENS0_17counting_iteratorIjlEEPS9_SG_NS0_5tupleIJPjSI_NS0_16reverse_iteratorISI_EEEEENSH_IJSG_SG_SG_EEES9_SI_JZNS1_25segmented_radix_sort_implINS0_14default_configELb1EPKfPfPKlPlN2at6native12_GLOBAL__N_18offset_tEEE10hipError_tPvRmT1_PNSt15iterator_traitsIS12_E10value_typeET2_T3_PNS13_IS18_E10value_typeET4_jRbjT5_S1E_jjP12ihipStream_tbEUljE_ZNSN_ISO_Lb1ESQ_SR_ST_SU_SY_EESZ_S10_S11_S12_S16_S17_S18_S1B_S1C_jS1D_jS1E_S1E_jjS1G_bEUljE0_EEESZ_S10_S11_S18_S1C_S1E_T6_T7_T9_mT8_S1G_bDpT10_ENKUlT_T0_E_clISt17integral_constantIbLb1EES1U_EEDaS1P_S1Q_EUlS1P_E_NS1_11comp_targetILNS1_3genE4ELNS1_11target_archE910ELNS1_3gpuE8ELNS1_3repE0EEENS1_30default_config_static_selectorELNS0_4arch9wavefront6targetE0EEEvS12_.kd
    .uniform_work_group_size: 1
    .uses_dynamic_stack: false
    .vgpr_count:     0
    .vgpr_spill_count: 0
    .wavefront_size: 32
    .workgroup_processor_mode: 1
  - .args:
      - .offset:         0
        .size:           184
        .value_kind:     by_value
    .group_segment_fixed_size: 0
    .kernarg_segment_align: 8
    .kernarg_segment_size: 184
    .language:       OpenCL C
    .language_version:
      - 2
      - 0
    .max_flat_workgroup_size: 256
    .name:           _ZN7rocprim17ROCPRIM_400000_NS6detail17trampoline_kernelINS0_13select_configILj256ELj13ELNS0_17block_load_methodE3ELS4_3ELS4_3ELNS0_20block_scan_algorithmE0ELj4294967295EEENS1_25partition_config_selectorILNS1_17partition_subalgoE4EjNS0_10empty_typeEbEEZZNS1_14partition_implILS8_4ELb0ES6_15HIP_vector_typeIjLj2EENS0_17counting_iteratorIjlEEPS9_SG_NS0_5tupleIJPjSI_NS0_16reverse_iteratorISI_EEEEENSH_IJSG_SG_SG_EEES9_SI_JZNS1_25segmented_radix_sort_implINS0_14default_configELb1EPKfPfPKlPlN2at6native12_GLOBAL__N_18offset_tEEE10hipError_tPvRmT1_PNSt15iterator_traitsIS12_E10value_typeET2_T3_PNS13_IS18_E10value_typeET4_jRbjT5_S1E_jjP12ihipStream_tbEUljE_ZNSN_ISO_Lb1ESQ_SR_ST_SU_SY_EESZ_S10_S11_S12_S16_S17_S18_S1B_S1C_jS1D_jS1E_S1E_jjS1G_bEUljE0_EEESZ_S10_S11_S18_S1C_S1E_T6_T7_T9_mT8_S1G_bDpT10_ENKUlT_T0_E_clISt17integral_constantIbLb1EES1U_EEDaS1P_S1Q_EUlS1P_E_NS1_11comp_targetILNS1_3genE3ELNS1_11target_archE908ELNS1_3gpuE7ELNS1_3repE0EEENS1_30default_config_static_selectorELNS0_4arch9wavefront6targetE0EEEvS12_
    .private_segment_fixed_size: 0
    .sgpr_count:     0
    .sgpr_spill_count: 0
    .symbol:         _ZN7rocprim17ROCPRIM_400000_NS6detail17trampoline_kernelINS0_13select_configILj256ELj13ELNS0_17block_load_methodE3ELS4_3ELS4_3ELNS0_20block_scan_algorithmE0ELj4294967295EEENS1_25partition_config_selectorILNS1_17partition_subalgoE4EjNS0_10empty_typeEbEEZZNS1_14partition_implILS8_4ELb0ES6_15HIP_vector_typeIjLj2EENS0_17counting_iteratorIjlEEPS9_SG_NS0_5tupleIJPjSI_NS0_16reverse_iteratorISI_EEEEENSH_IJSG_SG_SG_EEES9_SI_JZNS1_25segmented_radix_sort_implINS0_14default_configELb1EPKfPfPKlPlN2at6native12_GLOBAL__N_18offset_tEEE10hipError_tPvRmT1_PNSt15iterator_traitsIS12_E10value_typeET2_T3_PNS13_IS18_E10value_typeET4_jRbjT5_S1E_jjP12ihipStream_tbEUljE_ZNSN_ISO_Lb1ESQ_SR_ST_SU_SY_EESZ_S10_S11_S12_S16_S17_S18_S1B_S1C_jS1D_jS1E_S1E_jjS1G_bEUljE0_EEESZ_S10_S11_S18_S1C_S1E_T6_T7_T9_mT8_S1G_bDpT10_ENKUlT_T0_E_clISt17integral_constantIbLb1EES1U_EEDaS1P_S1Q_EUlS1P_E_NS1_11comp_targetILNS1_3genE3ELNS1_11target_archE908ELNS1_3gpuE7ELNS1_3repE0EEENS1_30default_config_static_selectorELNS0_4arch9wavefront6targetE0EEEvS12_.kd
    .uniform_work_group_size: 1
    .uses_dynamic_stack: false
    .vgpr_count:     0
    .vgpr_spill_count: 0
    .wavefront_size: 32
    .workgroup_processor_mode: 1
  - .args:
      - .offset:         0
        .size:           184
        .value_kind:     by_value
    .group_segment_fixed_size: 0
    .kernarg_segment_align: 8
    .kernarg_segment_size: 184
    .language:       OpenCL C
    .language_version:
      - 2
      - 0
    .max_flat_workgroup_size: 256
    .name:           _ZN7rocprim17ROCPRIM_400000_NS6detail17trampoline_kernelINS0_13select_configILj256ELj13ELNS0_17block_load_methodE3ELS4_3ELS4_3ELNS0_20block_scan_algorithmE0ELj4294967295EEENS1_25partition_config_selectorILNS1_17partition_subalgoE4EjNS0_10empty_typeEbEEZZNS1_14partition_implILS8_4ELb0ES6_15HIP_vector_typeIjLj2EENS0_17counting_iteratorIjlEEPS9_SG_NS0_5tupleIJPjSI_NS0_16reverse_iteratorISI_EEEEENSH_IJSG_SG_SG_EEES9_SI_JZNS1_25segmented_radix_sort_implINS0_14default_configELb1EPKfPfPKlPlN2at6native12_GLOBAL__N_18offset_tEEE10hipError_tPvRmT1_PNSt15iterator_traitsIS12_E10value_typeET2_T3_PNS13_IS18_E10value_typeET4_jRbjT5_S1E_jjP12ihipStream_tbEUljE_ZNSN_ISO_Lb1ESQ_SR_ST_SU_SY_EESZ_S10_S11_S12_S16_S17_S18_S1B_S1C_jS1D_jS1E_S1E_jjS1G_bEUljE0_EEESZ_S10_S11_S18_S1C_S1E_T6_T7_T9_mT8_S1G_bDpT10_ENKUlT_T0_E_clISt17integral_constantIbLb1EES1U_EEDaS1P_S1Q_EUlS1P_E_NS1_11comp_targetILNS1_3genE2ELNS1_11target_archE906ELNS1_3gpuE6ELNS1_3repE0EEENS1_30default_config_static_selectorELNS0_4arch9wavefront6targetE0EEEvS12_
    .private_segment_fixed_size: 0
    .sgpr_count:     0
    .sgpr_spill_count: 0
    .symbol:         _ZN7rocprim17ROCPRIM_400000_NS6detail17trampoline_kernelINS0_13select_configILj256ELj13ELNS0_17block_load_methodE3ELS4_3ELS4_3ELNS0_20block_scan_algorithmE0ELj4294967295EEENS1_25partition_config_selectorILNS1_17partition_subalgoE4EjNS0_10empty_typeEbEEZZNS1_14partition_implILS8_4ELb0ES6_15HIP_vector_typeIjLj2EENS0_17counting_iteratorIjlEEPS9_SG_NS0_5tupleIJPjSI_NS0_16reverse_iteratorISI_EEEEENSH_IJSG_SG_SG_EEES9_SI_JZNS1_25segmented_radix_sort_implINS0_14default_configELb1EPKfPfPKlPlN2at6native12_GLOBAL__N_18offset_tEEE10hipError_tPvRmT1_PNSt15iterator_traitsIS12_E10value_typeET2_T3_PNS13_IS18_E10value_typeET4_jRbjT5_S1E_jjP12ihipStream_tbEUljE_ZNSN_ISO_Lb1ESQ_SR_ST_SU_SY_EESZ_S10_S11_S12_S16_S17_S18_S1B_S1C_jS1D_jS1E_S1E_jjS1G_bEUljE0_EEESZ_S10_S11_S18_S1C_S1E_T6_T7_T9_mT8_S1G_bDpT10_ENKUlT_T0_E_clISt17integral_constantIbLb1EES1U_EEDaS1P_S1Q_EUlS1P_E_NS1_11comp_targetILNS1_3genE2ELNS1_11target_archE906ELNS1_3gpuE6ELNS1_3repE0EEENS1_30default_config_static_selectorELNS0_4arch9wavefront6targetE0EEEvS12_.kd
    .uniform_work_group_size: 1
    .uses_dynamic_stack: false
    .vgpr_count:     0
    .vgpr_spill_count: 0
    .wavefront_size: 32
    .workgroup_processor_mode: 1
  - .args:
      - .offset:         0
        .size:           184
        .value_kind:     by_value
    .group_segment_fixed_size: 0
    .kernarg_segment_align: 8
    .kernarg_segment_size: 184
    .language:       OpenCL C
    .language_version:
      - 2
      - 0
    .max_flat_workgroup_size: 256
    .name:           _ZN7rocprim17ROCPRIM_400000_NS6detail17trampoline_kernelINS0_13select_configILj256ELj13ELNS0_17block_load_methodE3ELS4_3ELS4_3ELNS0_20block_scan_algorithmE0ELj4294967295EEENS1_25partition_config_selectorILNS1_17partition_subalgoE4EjNS0_10empty_typeEbEEZZNS1_14partition_implILS8_4ELb0ES6_15HIP_vector_typeIjLj2EENS0_17counting_iteratorIjlEEPS9_SG_NS0_5tupleIJPjSI_NS0_16reverse_iteratorISI_EEEEENSH_IJSG_SG_SG_EEES9_SI_JZNS1_25segmented_radix_sort_implINS0_14default_configELb1EPKfPfPKlPlN2at6native12_GLOBAL__N_18offset_tEEE10hipError_tPvRmT1_PNSt15iterator_traitsIS12_E10value_typeET2_T3_PNS13_IS18_E10value_typeET4_jRbjT5_S1E_jjP12ihipStream_tbEUljE_ZNSN_ISO_Lb1ESQ_SR_ST_SU_SY_EESZ_S10_S11_S12_S16_S17_S18_S1B_S1C_jS1D_jS1E_S1E_jjS1G_bEUljE0_EEESZ_S10_S11_S18_S1C_S1E_T6_T7_T9_mT8_S1G_bDpT10_ENKUlT_T0_E_clISt17integral_constantIbLb1EES1U_EEDaS1P_S1Q_EUlS1P_E_NS1_11comp_targetILNS1_3genE10ELNS1_11target_archE1200ELNS1_3gpuE4ELNS1_3repE0EEENS1_30default_config_static_selectorELNS0_4arch9wavefront6targetE0EEEvS12_
    .private_segment_fixed_size: 0
    .sgpr_count:     0
    .sgpr_spill_count: 0
    .symbol:         _ZN7rocprim17ROCPRIM_400000_NS6detail17trampoline_kernelINS0_13select_configILj256ELj13ELNS0_17block_load_methodE3ELS4_3ELS4_3ELNS0_20block_scan_algorithmE0ELj4294967295EEENS1_25partition_config_selectorILNS1_17partition_subalgoE4EjNS0_10empty_typeEbEEZZNS1_14partition_implILS8_4ELb0ES6_15HIP_vector_typeIjLj2EENS0_17counting_iteratorIjlEEPS9_SG_NS0_5tupleIJPjSI_NS0_16reverse_iteratorISI_EEEEENSH_IJSG_SG_SG_EEES9_SI_JZNS1_25segmented_radix_sort_implINS0_14default_configELb1EPKfPfPKlPlN2at6native12_GLOBAL__N_18offset_tEEE10hipError_tPvRmT1_PNSt15iterator_traitsIS12_E10value_typeET2_T3_PNS13_IS18_E10value_typeET4_jRbjT5_S1E_jjP12ihipStream_tbEUljE_ZNSN_ISO_Lb1ESQ_SR_ST_SU_SY_EESZ_S10_S11_S12_S16_S17_S18_S1B_S1C_jS1D_jS1E_S1E_jjS1G_bEUljE0_EEESZ_S10_S11_S18_S1C_S1E_T6_T7_T9_mT8_S1G_bDpT10_ENKUlT_T0_E_clISt17integral_constantIbLb1EES1U_EEDaS1P_S1Q_EUlS1P_E_NS1_11comp_targetILNS1_3genE10ELNS1_11target_archE1200ELNS1_3gpuE4ELNS1_3repE0EEENS1_30default_config_static_selectorELNS0_4arch9wavefront6targetE0EEEvS12_.kd
    .uniform_work_group_size: 1
    .uses_dynamic_stack: false
    .vgpr_count:     0
    .vgpr_spill_count: 0
    .wavefront_size: 32
    .workgroup_processor_mode: 1
  - .args:
      - .offset:         0
        .size:           184
        .value_kind:     by_value
    .group_segment_fixed_size: 0
    .kernarg_segment_align: 8
    .kernarg_segment_size: 184
    .language:       OpenCL C
    .language_version:
      - 2
      - 0
    .max_flat_workgroup_size: 256
    .name:           _ZN7rocprim17ROCPRIM_400000_NS6detail17trampoline_kernelINS0_13select_configILj256ELj13ELNS0_17block_load_methodE3ELS4_3ELS4_3ELNS0_20block_scan_algorithmE0ELj4294967295EEENS1_25partition_config_selectorILNS1_17partition_subalgoE4EjNS0_10empty_typeEbEEZZNS1_14partition_implILS8_4ELb0ES6_15HIP_vector_typeIjLj2EENS0_17counting_iteratorIjlEEPS9_SG_NS0_5tupleIJPjSI_NS0_16reverse_iteratorISI_EEEEENSH_IJSG_SG_SG_EEES9_SI_JZNS1_25segmented_radix_sort_implINS0_14default_configELb1EPKfPfPKlPlN2at6native12_GLOBAL__N_18offset_tEEE10hipError_tPvRmT1_PNSt15iterator_traitsIS12_E10value_typeET2_T3_PNS13_IS18_E10value_typeET4_jRbjT5_S1E_jjP12ihipStream_tbEUljE_ZNSN_ISO_Lb1ESQ_SR_ST_SU_SY_EESZ_S10_S11_S12_S16_S17_S18_S1B_S1C_jS1D_jS1E_S1E_jjS1G_bEUljE0_EEESZ_S10_S11_S18_S1C_S1E_T6_T7_T9_mT8_S1G_bDpT10_ENKUlT_T0_E_clISt17integral_constantIbLb1EES1U_EEDaS1P_S1Q_EUlS1P_E_NS1_11comp_targetILNS1_3genE9ELNS1_11target_archE1100ELNS1_3gpuE3ELNS1_3repE0EEENS1_30default_config_static_selectorELNS0_4arch9wavefront6targetE0EEEvS12_
    .private_segment_fixed_size: 0
    .sgpr_count:     0
    .sgpr_spill_count: 0
    .symbol:         _ZN7rocprim17ROCPRIM_400000_NS6detail17trampoline_kernelINS0_13select_configILj256ELj13ELNS0_17block_load_methodE3ELS4_3ELS4_3ELNS0_20block_scan_algorithmE0ELj4294967295EEENS1_25partition_config_selectorILNS1_17partition_subalgoE4EjNS0_10empty_typeEbEEZZNS1_14partition_implILS8_4ELb0ES6_15HIP_vector_typeIjLj2EENS0_17counting_iteratorIjlEEPS9_SG_NS0_5tupleIJPjSI_NS0_16reverse_iteratorISI_EEEEENSH_IJSG_SG_SG_EEES9_SI_JZNS1_25segmented_radix_sort_implINS0_14default_configELb1EPKfPfPKlPlN2at6native12_GLOBAL__N_18offset_tEEE10hipError_tPvRmT1_PNSt15iterator_traitsIS12_E10value_typeET2_T3_PNS13_IS18_E10value_typeET4_jRbjT5_S1E_jjP12ihipStream_tbEUljE_ZNSN_ISO_Lb1ESQ_SR_ST_SU_SY_EESZ_S10_S11_S12_S16_S17_S18_S1B_S1C_jS1D_jS1E_S1E_jjS1G_bEUljE0_EEESZ_S10_S11_S18_S1C_S1E_T6_T7_T9_mT8_S1G_bDpT10_ENKUlT_T0_E_clISt17integral_constantIbLb1EES1U_EEDaS1P_S1Q_EUlS1P_E_NS1_11comp_targetILNS1_3genE9ELNS1_11target_archE1100ELNS1_3gpuE3ELNS1_3repE0EEENS1_30default_config_static_selectorELNS0_4arch9wavefront6targetE0EEEvS12_.kd
    .uniform_work_group_size: 1
    .uses_dynamic_stack: false
    .vgpr_count:     0
    .vgpr_spill_count: 0
    .wavefront_size: 32
    .workgroup_processor_mode: 1
  - .args:
      - .offset:         0
        .size:           184
        .value_kind:     by_value
    .group_segment_fixed_size: 0
    .kernarg_segment_align: 8
    .kernarg_segment_size: 184
    .language:       OpenCL C
    .language_version:
      - 2
      - 0
    .max_flat_workgroup_size: 256
    .name:           _ZN7rocprim17ROCPRIM_400000_NS6detail17trampoline_kernelINS0_13select_configILj256ELj13ELNS0_17block_load_methodE3ELS4_3ELS4_3ELNS0_20block_scan_algorithmE0ELj4294967295EEENS1_25partition_config_selectorILNS1_17partition_subalgoE4EjNS0_10empty_typeEbEEZZNS1_14partition_implILS8_4ELb0ES6_15HIP_vector_typeIjLj2EENS0_17counting_iteratorIjlEEPS9_SG_NS0_5tupleIJPjSI_NS0_16reverse_iteratorISI_EEEEENSH_IJSG_SG_SG_EEES9_SI_JZNS1_25segmented_radix_sort_implINS0_14default_configELb1EPKfPfPKlPlN2at6native12_GLOBAL__N_18offset_tEEE10hipError_tPvRmT1_PNSt15iterator_traitsIS12_E10value_typeET2_T3_PNS13_IS18_E10value_typeET4_jRbjT5_S1E_jjP12ihipStream_tbEUljE_ZNSN_ISO_Lb1ESQ_SR_ST_SU_SY_EESZ_S10_S11_S12_S16_S17_S18_S1B_S1C_jS1D_jS1E_S1E_jjS1G_bEUljE0_EEESZ_S10_S11_S18_S1C_S1E_T6_T7_T9_mT8_S1G_bDpT10_ENKUlT_T0_E_clISt17integral_constantIbLb1EES1U_EEDaS1P_S1Q_EUlS1P_E_NS1_11comp_targetILNS1_3genE8ELNS1_11target_archE1030ELNS1_3gpuE2ELNS1_3repE0EEENS1_30default_config_static_selectorELNS0_4arch9wavefront6targetE0EEEvS12_
    .private_segment_fixed_size: 0
    .sgpr_count:     0
    .sgpr_spill_count: 0
    .symbol:         _ZN7rocprim17ROCPRIM_400000_NS6detail17trampoline_kernelINS0_13select_configILj256ELj13ELNS0_17block_load_methodE3ELS4_3ELS4_3ELNS0_20block_scan_algorithmE0ELj4294967295EEENS1_25partition_config_selectorILNS1_17partition_subalgoE4EjNS0_10empty_typeEbEEZZNS1_14partition_implILS8_4ELb0ES6_15HIP_vector_typeIjLj2EENS0_17counting_iteratorIjlEEPS9_SG_NS0_5tupleIJPjSI_NS0_16reverse_iteratorISI_EEEEENSH_IJSG_SG_SG_EEES9_SI_JZNS1_25segmented_radix_sort_implINS0_14default_configELb1EPKfPfPKlPlN2at6native12_GLOBAL__N_18offset_tEEE10hipError_tPvRmT1_PNSt15iterator_traitsIS12_E10value_typeET2_T3_PNS13_IS18_E10value_typeET4_jRbjT5_S1E_jjP12ihipStream_tbEUljE_ZNSN_ISO_Lb1ESQ_SR_ST_SU_SY_EESZ_S10_S11_S12_S16_S17_S18_S1B_S1C_jS1D_jS1E_S1E_jjS1G_bEUljE0_EEESZ_S10_S11_S18_S1C_S1E_T6_T7_T9_mT8_S1G_bDpT10_ENKUlT_T0_E_clISt17integral_constantIbLb1EES1U_EEDaS1P_S1Q_EUlS1P_E_NS1_11comp_targetILNS1_3genE8ELNS1_11target_archE1030ELNS1_3gpuE2ELNS1_3repE0EEENS1_30default_config_static_selectorELNS0_4arch9wavefront6targetE0EEEvS12_.kd
    .uniform_work_group_size: 1
    .uses_dynamic_stack: false
    .vgpr_count:     0
    .vgpr_spill_count: 0
    .wavefront_size: 32
    .workgroup_processor_mode: 1
  - .args:
      - .offset:         0
        .size:           176
        .value_kind:     by_value
    .group_segment_fixed_size: 0
    .kernarg_segment_align: 8
    .kernarg_segment_size: 176
    .language:       OpenCL C
    .language_version:
      - 2
      - 0
    .max_flat_workgroup_size: 256
    .name:           _ZN7rocprim17ROCPRIM_400000_NS6detail17trampoline_kernelINS0_13select_configILj256ELj13ELNS0_17block_load_methodE3ELS4_3ELS4_3ELNS0_20block_scan_algorithmE0ELj4294967295EEENS1_25partition_config_selectorILNS1_17partition_subalgoE4EjNS0_10empty_typeEbEEZZNS1_14partition_implILS8_4ELb0ES6_15HIP_vector_typeIjLj2EENS0_17counting_iteratorIjlEEPS9_SG_NS0_5tupleIJPjSI_NS0_16reverse_iteratorISI_EEEEENSH_IJSG_SG_SG_EEES9_SI_JZNS1_25segmented_radix_sort_implINS0_14default_configELb1EPKfPfPKlPlN2at6native12_GLOBAL__N_18offset_tEEE10hipError_tPvRmT1_PNSt15iterator_traitsIS12_E10value_typeET2_T3_PNS13_IS18_E10value_typeET4_jRbjT5_S1E_jjP12ihipStream_tbEUljE_ZNSN_ISO_Lb1ESQ_SR_ST_SU_SY_EESZ_S10_S11_S12_S16_S17_S18_S1B_S1C_jS1D_jS1E_S1E_jjS1G_bEUljE0_EEESZ_S10_S11_S18_S1C_S1E_T6_T7_T9_mT8_S1G_bDpT10_ENKUlT_T0_E_clISt17integral_constantIbLb1EES1T_IbLb0EEEEDaS1P_S1Q_EUlS1P_E_NS1_11comp_targetILNS1_3genE0ELNS1_11target_archE4294967295ELNS1_3gpuE0ELNS1_3repE0EEENS1_30default_config_static_selectorELNS0_4arch9wavefront6targetE0EEEvS12_
    .private_segment_fixed_size: 0
    .sgpr_count:     0
    .sgpr_spill_count: 0
    .symbol:         _ZN7rocprim17ROCPRIM_400000_NS6detail17trampoline_kernelINS0_13select_configILj256ELj13ELNS0_17block_load_methodE3ELS4_3ELS4_3ELNS0_20block_scan_algorithmE0ELj4294967295EEENS1_25partition_config_selectorILNS1_17partition_subalgoE4EjNS0_10empty_typeEbEEZZNS1_14partition_implILS8_4ELb0ES6_15HIP_vector_typeIjLj2EENS0_17counting_iteratorIjlEEPS9_SG_NS0_5tupleIJPjSI_NS0_16reverse_iteratorISI_EEEEENSH_IJSG_SG_SG_EEES9_SI_JZNS1_25segmented_radix_sort_implINS0_14default_configELb1EPKfPfPKlPlN2at6native12_GLOBAL__N_18offset_tEEE10hipError_tPvRmT1_PNSt15iterator_traitsIS12_E10value_typeET2_T3_PNS13_IS18_E10value_typeET4_jRbjT5_S1E_jjP12ihipStream_tbEUljE_ZNSN_ISO_Lb1ESQ_SR_ST_SU_SY_EESZ_S10_S11_S12_S16_S17_S18_S1B_S1C_jS1D_jS1E_S1E_jjS1G_bEUljE0_EEESZ_S10_S11_S18_S1C_S1E_T6_T7_T9_mT8_S1G_bDpT10_ENKUlT_T0_E_clISt17integral_constantIbLb1EES1T_IbLb0EEEEDaS1P_S1Q_EUlS1P_E_NS1_11comp_targetILNS1_3genE0ELNS1_11target_archE4294967295ELNS1_3gpuE0ELNS1_3repE0EEENS1_30default_config_static_selectorELNS0_4arch9wavefront6targetE0EEEvS12_.kd
    .uniform_work_group_size: 1
    .uses_dynamic_stack: false
    .vgpr_count:     0
    .vgpr_spill_count: 0
    .wavefront_size: 32
    .workgroup_processor_mode: 1
  - .args:
      - .offset:         0
        .size:           176
        .value_kind:     by_value
    .group_segment_fixed_size: 0
    .kernarg_segment_align: 8
    .kernarg_segment_size: 176
    .language:       OpenCL C
    .language_version:
      - 2
      - 0
    .max_flat_workgroup_size: 256
    .name:           _ZN7rocprim17ROCPRIM_400000_NS6detail17trampoline_kernelINS0_13select_configILj256ELj13ELNS0_17block_load_methodE3ELS4_3ELS4_3ELNS0_20block_scan_algorithmE0ELj4294967295EEENS1_25partition_config_selectorILNS1_17partition_subalgoE4EjNS0_10empty_typeEbEEZZNS1_14partition_implILS8_4ELb0ES6_15HIP_vector_typeIjLj2EENS0_17counting_iteratorIjlEEPS9_SG_NS0_5tupleIJPjSI_NS0_16reverse_iteratorISI_EEEEENSH_IJSG_SG_SG_EEES9_SI_JZNS1_25segmented_radix_sort_implINS0_14default_configELb1EPKfPfPKlPlN2at6native12_GLOBAL__N_18offset_tEEE10hipError_tPvRmT1_PNSt15iterator_traitsIS12_E10value_typeET2_T3_PNS13_IS18_E10value_typeET4_jRbjT5_S1E_jjP12ihipStream_tbEUljE_ZNSN_ISO_Lb1ESQ_SR_ST_SU_SY_EESZ_S10_S11_S12_S16_S17_S18_S1B_S1C_jS1D_jS1E_S1E_jjS1G_bEUljE0_EEESZ_S10_S11_S18_S1C_S1E_T6_T7_T9_mT8_S1G_bDpT10_ENKUlT_T0_E_clISt17integral_constantIbLb1EES1T_IbLb0EEEEDaS1P_S1Q_EUlS1P_E_NS1_11comp_targetILNS1_3genE5ELNS1_11target_archE942ELNS1_3gpuE9ELNS1_3repE0EEENS1_30default_config_static_selectorELNS0_4arch9wavefront6targetE0EEEvS12_
    .private_segment_fixed_size: 0
    .sgpr_count:     0
    .sgpr_spill_count: 0
    .symbol:         _ZN7rocprim17ROCPRIM_400000_NS6detail17trampoline_kernelINS0_13select_configILj256ELj13ELNS0_17block_load_methodE3ELS4_3ELS4_3ELNS0_20block_scan_algorithmE0ELj4294967295EEENS1_25partition_config_selectorILNS1_17partition_subalgoE4EjNS0_10empty_typeEbEEZZNS1_14partition_implILS8_4ELb0ES6_15HIP_vector_typeIjLj2EENS0_17counting_iteratorIjlEEPS9_SG_NS0_5tupleIJPjSI_NS0_16reverse_iteratorISI_EEEEENSH_IJSG_SG_SG_EEES9_SI_JZNS1_25segmented_radix_sort_implINS0_14default_configELb1EPKfPfPKlPlN2at6native12_GLOBAL__N_18offset_tEEE10hipError_tPvRmT1_PNSt15iterator_traitsIS12_E10value_typeET2_T3_PNS13_IS18_E10value_typeET4_jRbjT5_S1E_jjP12ihipStream_tbEUljE_ZNSN_ISO_Lb1ESQ_SR_ST_SU_SY_EESZ_S10_S11_S12_S16_S17_S18_S1B_S1C_jS1D_jS1E_S1E_jjS1G_bEUljE0_EEESZ_S10_S11_S18_S1C_S1E_T6_T7_T9_mT8_S1G_bDpT10_ENKUlT_T0_E_clISt17integral_constantIbLb1EES1T_IbLb0EEEEDaS1P_S1Q_EUlS1P_E_NS1_11comp_targetILNS1_3genE5ELNS1_11target_archE942ELNS1_3gpuE9ELNS1_3repE0EEENS1_30default_config_static_selectorELNS0_4arch9wavefront6targetE0EEEvS12_.kd
    .uniform_work_group_size: 1
    .uses_dynamic_stack: false
    .vgpr_count:     0
    .vgpr_spill_count: 0
    .wavefront_size: 32
    .workgroup_processor_mode: 1
  - .args:
      - .offset:         0
        .size:           176
        .value_kind:     by_value
    .group_segment_fixed_size: 0
    .kernarg_segment_align: 8
    .kernarg_segment_size: 176
    .language:       OpenCL C
    .language_version:
      - 2
      - 0
    .max_flat_workgroup_size: 256
    .name:           _ZN7rocprim17ROCPRIM_400000_NS6detail17trampoline_kernelINS0_13select_configILj256ELj13ELNS0_17block_load_methodE3ELS4_3ELS4_3ELNS0_20block_scan_algorithmE0ELj4294967295EEENS1_25partition_config_selectorILNS1_17partition_subalgoE4EjNS0_10empty_typeEbEEZZNS1_14partition_implILS8_4ELb0ES6_15HIP_vector_typeIjLj2EENS0_17counting_iteratorIjlEEPS9_SG_NS0_5tupleIJPjSI_NS0_16reverse_iteratorISI_EEEEENSH_IJSG_SG_SG_EEES9_SI_JZNS1_25segmented_radix_sort_implINS0_14default_configELb1EPKfPfPKlPlN2at6native12_GLOBAL__N_18offset_tEEE10hipError_tPvRmT1_PNSt15iterator_traitsIS12_E10value_typeET2_T3_PNS13_IS18_E10value_typeET4_jRbjT5_S1E_jjP12ihipStream_tbEUljE_ZNSN_ISO_Lb1ESQ_SR_ST_SU_SY_EESZ_S10_S11_S12_S16_S17_S18_S1B_S1C_jS1D_jS1E_S1E_jjS1G_bEUljE0_EEESZ_S10_S11_S18_S1C_S1E_T6_T7_T9_mT8_S1G_bDpT10_ENKUlT_T0_E_clISt17integral_constantIbLb1EES1T_IbLb0EEEEDaS1P_S1Q_EUlS1P_E_NS1_11comp_targetILNS1_3genE4ELNS1_11target_archE910ELNS1_3gpuE8ELNS1_3repE0EEENS1_30default_config_static_selectorELNS0_4arch9wavefront6targetE0EEEvS12_
    .private_segment_fixed_size: 0
    .sgpr_count:     0
    .sgpr_spill_count: 0
    .symbol:         _ZN7rocprim17ROCPRIM_400000_NS6detail17trampoline_kernelINS0_13select_configILj256ELj13ELNS0_17block_load_methodE3ELS4_3ELS4_3ELNS0_20block_scan_algorithmE0ELj4294967295EEENS1_25partition_config_selectorILNS1_17partition_subalgoE4EjNS0_10empty_typeEbEEZZNS1_14partition_implILS8_4ELb0ES6_15HIP_vector_typeIjLj2EENS0_17counting_iteratorIjlEEPS9_SG_NS0_5tupleIJPjSI_NS0_16reverse_iteratorISI_EEEEENSH_IJSG_SG_SG_EEES9_SI_JZNS1_25segmented_radix_sort_implINS0_14default_configELb1EPKfPfPKlPlN2at6native12_GLOBAL__N_18offset_tEEE10hipError_tPvRmT1_PNSt15iterator_traitsIS12_E10value_typeET2_T3_PNS13_IS18_E10value_typeET4_jRbjT5_S1E_jjP12ihipStream_tbEUljE_ZNSN_ISO_Lb1ESQ_SR_ST_SU_SY_EESZ_S10_S11_S12_S16_S17_S18_S1B_S1C_jS1D_jS1E_S1E_jjS1G_bEUljE0_EEESZ_S10_S11_S18_S1C_S1E_T6_T7_T9_mT8_S1G_bDpT10_ENKUlT_T0_E_clISt17integral_constantIbLb1EES1T_IbLb0EEEEDaS1P_S1Q_EUlS1P_E_NS1_11comp_targetILNS1_3genE4ELNS1_11target_archE910ELNS1_3gpuE8ELNS1_3repE0EEENS1_30default_config_static_selectorELNS0_4arch9wavefront6targetE0EEEvS12_.kd
    .uniform_work_group_size: 1
    .uses_dynamic_stack: false
    .vgpr_count:     0
    .vgpr_spill_count: 0
    .wavefront_size: 32
    .workgroup_processor_mode: 1
  - .args:
      - .offset:         0
        .size:           176
        .value_kind:     by_value
    .group_segment_fixed_size: 0
    .kernarg_segment_align: 8
    .kernarg_segment_size: 176
    .language:       OpenCL C
    .language_version:
      - 2
      - 0
    .max_flat_workgroup_size: 256
    .name:           _ZN7rocprim17ROCPRIM_400000_NS6detail17trampoline_kernelINS0_13select_configILj256ELj13ELNS0_17block_load_methodE3ELS4_3ELS4_3ELNS0_20block_scan_algorithmE0ELj4294967295EEENS1_25partition_config_selectorILNS1_17partition_subalgoE4EjNS0_10empty_typeEbEEZZNS1_14partition_implILS8_4ELb0ES6_15HIP_vector_typeIjLj2EENS0_17counting_iteratorIjlEEPS9_SG_NS0_5tupleIJPjSI_NS0_16reverse_iteratorISI_EEEEENSH_IJSG_SG_SG_EEES9_SI_JZNS1_25segmented_radix_sort_implINS0_14default_configELb1EPKfPfPKlPlN2at6native12_GLOBAL__N_18offset_tEEE10hipError_tPvRmT1_PNSt15iterator_traitsIS12_E10value_typeET2_T3_PNS13_IS18_E10value_typeET4_jRbjT5_S1E_jjP12ihipStream_tbEUljE_ZNSN_ISO_Lb1ESQ_SR_ST_SU_SY_EESZ_S10_S11_S12_S16_S17_S18_S1B_S1C_jS1D_jS1E_S1E_jjS1G_bEUljE0_EEESZ_S10_S11_S18_S1C_S1E_T6_T7_T9_mT8_S1G_bDpT10_ENKUlT_T0_E_clISt17integral_constantIbLb1EES1T_IbLb0EEEEDaS1P_S1Q_EUlS1P_E_NS1_11comp_targetILNS1_3genE3ELNS1_11target_archE908ELNS1_3gpuE7ELNS1_3repE0EEENS1_30default_config_static_selectorELNS0_4arch9wavefront6targetE0EEEvS12_
    .private_segment_fixed_size: 0
    .sgpr_count:     0
    .sgpr_spill_count: 0
    .symbol:         _ZN7rocprim17ROCPRIM_400000_NS6detail17trampoline_kernelINS0_13select_configILj256ELj13ELNS0_17block_load_methodE3ELS4_3ELS4_3ELNS0_20block_scan_algorithmE0ELj4294967295EEENS1_25partition_config_selectorILNS1_17partition_subalgoE4EjNS0_10empty_typeEbEEZZNS1_14partition_implILS8_4ELb0ES6_15HIP_vector_typeIjLj2EENS0_17counting_iteratorIjlEEPS9_SG_NS0_5tupleIJPjSI_NS0_16reverse_iteratorISI_EEEEENSH_IJSG_SG_SG_EEES9_SI_JZNS1_25segmented_radix_sort_implINS0_14default_configELb1EPKfPfPKlPlN2at6native12_GLOBAL__N_18offset_tEEE10hipError_tPvRmT1_PNSt15iterator_traitsIS12_E10value_typeET2_T3_PNS13_IS18_E10value_typeET4_jRbjT5_S1E_jjP12ihipStream_tbEUljE_ZNSN_ISO_Lb1ESQ_SR_ST_SU_SY_EESZ_S10_S11_S12_S16_S17_S18_S1B_S1C_jS1D_jS1E_S1E_jjS1G_bEUljE0_EEESZ_S10_S11_S18_S1C_S1E_T6_T7_T9_mT8_S1G_bDpT10_ENKUlT_T0_E_clISt17integral_constantIbLb1EES1T_IbLb0EEEEDaS1P_S1Q_EUlS1P_E_NS1_11comp_targetILNS1_3genE3ELNS1_11target_archE908ELNS1_3gpuE7ELNS1_3repE0EEENS1_30default_config_static_selectorELNS0_4arch9wavefront6targetE0EEEvS12_.kd
    .uniform_work_group_size: 1
    .uses_dynamic_stack: false
    .vgpr_count:     0
    .vgpr_spill_count: 0
    .wavefront_size: 32
    .workgroup_processor_mode: 1
  - .args:
      - .offset:         0
        .size:           176
        .value_kind:     by_value
    .group_segment_fixed_size: 0
    .kernarg_segment_align: 8
    .kernarg_segment_size: 176
    .language:       OpenCL C
    .language_version:
      - 2
      - 0
    .max_flat_workgroup_size: 256
    .name:           _ZN7rocprim17ROCPRIM_400000_NS6detail17trampoline_kernelINS0_13select_configILj256ELj13ELNS0_17block_load_methodE3ELS4_3ELS4_3ELNS0_20block_scan_algorithmE0ELj4294967295EEENS1_25partition_config_selectorILNS1_17partition_subalgoE4EjNS0_10empty_typeEbEEZZNS1_14partition_implILS8_4ELb0ES6_15HIP_vector_typeIjLj2EENS0_17counting_iteratorIjlEEPS9_SG_NS0_5tupleIJPjSI_NS0_16reverse_iteratorISI_EEEEENSH_IJSG_SG_SG_EEES9_SI_JZNS1_25segmented_radix_sort_implINS0_14default_configELb1EPKfPfPKlPlN2at6native12_GLOBAL__N_18offset_tEEE10hipError_tPvRmT1_PNSt15iterator_traitsIS12_E10value_typeET2_T3_PNS13_IS18_E10value_typeET4_jRbjT5_S1E_jjP12ihipStream_tbEUljE_ZNSN_ISO_Lb1ESQ_SR_ST_SU_SY_EESZ_S10_S11_S12_S16_S17_S18_S1B_S1C_jS1D_jS1E_S1E_jjS1G_bEUljE0_EEESZ_S10_S11_S18_S1C_S1E_T6_T7_T9_mT8_S1G_bDpT10_ENKUlT_T0_E_clISt17integral_constantIbLb1EES1T_IbLb0EEEEDaS1P_S1Q_EUlS1P_E_NS1_11comp_targetILNS1_3genE2ELNS1_11target_archE906ELNS1_3gpuE6ELNS1_3repE0EEENS1_30default_config_static_selectorELNS0_4arch9wavefront6targetE0EEEvS12_
    .private_segment_fixed_size: 0
    .sgpr_count:     0
    .sgpr_spill_count: 0
    .symbol:         _ZN7rocprim17ROCPRIM_400000_NS6detail17trampoline_kernelINS0_13select_configILj256ELj13ELNS0_17block_load_methodE3ELS4_3ELS4_3ELNS0_20block_scan_algorithmE0ELj4294967295EEENS1_25partition_config_selectorILNS1_17partition_subalgoE4EjNS0_10empty_typeEbEEZZNS1_14partition_implILS8_4ELb0ES6_15HIP_vector_typeIjLj2EENS0_17counting_iteratorIjlEEPS9_SG_NS0_5tupleIJPjSI_NS0_16reverse_iteratorISI_EEEEENSH_IJSG_SG_SG_EEES9_SI_JZNS1_25segmented_radix_sort_implINS0_14default_configELb1EPKfPfPKlPlN2at6native12_GLOBAL__N_18offset_tEEE10hipError_tPvRmT1_PNSt15iterator_traitsIS12_E10value_typeET2_T3_PNS13_IS18_E10value_typeET4_jRbjT5_S1E_jjP12ihipStream_tbEUljE_ZNSN_ISO_Lb1ESQ_SR_ST_SU_SY_EESZ_S10_S11_S12_S16_S17_S18_S1B_S1C_jS1D_jS1E_S1E_jjS1G_bEUljE0_EEESZ_S10_S11_S18_S1C_S1E_T6_T7_T9_mT8_S1G_bDpT10_ENKUlT_T0_E_clISt17integral_constantIbLb1EES1T_IbLb0EEEEDaS1P_S1Q_EUlS1P_E_NS1_11comp_targetILNS1_3genE2ELNS1_11target_archE906ELNS1_3gpuE6ELNS1_3repE0EEENS1_30default_config_static_selectorELNS0_4arch9wavefront6targetE0EEEvS12_.kd
    .uniform_work_group_size: 1
    .uses_dynamic_stack: false
    .vgpr_count:     0
    .vgpr_spill_count: 0
    .wavefront_size: 32
    .workgroup_processor_mode: 1
  - .args:
      - .offset:         0
        .size:           176
        .value_kind:     by_value
    .group_segment_fixed_size: 0
    .kernarg_segment_align: 8
    .kernarg_segment_size: 176
    .language:       OpenCL C
    .language_version:
      - 2
      - 0
    .max_flat_workgroup_size: 256
    .name:           _ZN7rocprim17ROCPRIM_400000_NS6detail17trampoline_kernelINS0_13select_configILj256ELj13ELNS0_17block_load_methodE3ELS4_3ELS4_3ELNS0_20block_scan_algorithmE0ELj4294967295EEENS1_25partition_config_selectorILNS1_17partition_subalgoE4EjNS0_10empty_typeEbEEZZNS1_14partition_implILS8_4ELb0ES6_15HIP_vector_typeIjLj2EENS0_17counting_iteratorIjlEEPS9_SG_NS0_5tupleIJPjSI_NS0_16reverse_iteratorISI_EEEEENSH_IJSG_SG_SG_EEES9_SI_JZNS1_25segmented_radix_sort_implINS0_14default_configELb1EPKfPfPKlPlN2at6native12_GLOBAL__N_18offset_tEEE10hipError_tPvRmT1_PNSt15iterator_traitsIS12_E10value_typeET2_T3_PNS13_IS18_E10value_typeET4_jRbjT5_S1E_jjP12ihipStream_tbEUljE_ZNSN_ISO_Lb1ESQ_SR_ST_SU_SY_EESZ_S10_S11_S12_S16_S17_S18_S1B_S1C_jS1D_jS1E_S1E_jjS1G_bEUljE0_EEESZ_S10_S11_S18_S1C_S1E_T6_T7_T9_mT8_S1G_bDpT10_ENKUlT_T0_E_clISt17integral_constantIbLb1EES1T_IbLb0EEEEDaS1P_S1Q_EUlS1P_E_NS1_11comp_targetILNS1_3genE10ELNS1_11target_archE1200ELNS1_3gpuE4ELNS1_3repE0EEENS1_30default_config_static_selectorELNS0_4arch9wavefront6targetE0EEEvS12_
    .private_segment_fixed_size: 0
    .sgpr_count:     0
    .sgpr_spill_count: 0
    .symbol:         _ZN7rocprim17ROCPRIM_400000_NS6detail17trampoline_kernelINS0_13select_configILj256ELj13ELNS0_17block_load_methodE3ELS4_3ELS4_3ELNS0_20block_scan_algorithmE0ELj4294967295EEENS1_25partition_config_selectorILNS1_17partition_subalgoE4EjNS0_10empty_typeEbEEZZNS1_14partition_implILS8_4ELb0ES6_15HIP_vector_typeIjLj2EENS0_17counting_iteratorIjlEEPS9_SG_NS0_5tupleIJPjSI_NS0_16reverse_iteratorISI_EEEEENSH_IJSG_SG_SG_EEES9_SI_JZNS1_25segmented_radix_sort_implINS0_14default_configELb1EPKfPfPKlPlN2at6native12_GLOBAL__N_18offset_tEEE10hipError_tPvRmT1_PNSt15iterator_traitsIS12_E10value_typeET2_T3_PNS13_IS18_E10value_typeET4_jRbjT5_S1E_jjP12ihipStream_tbEUljE_ZNSN_ISO_Lb1ESQ_SR_ST_SU_SY_EESZ_S10_S11_S12_S16_S17_S18_S1B_S1C_jS1D_jS1E_S1E_jjS1G_bEUljE0_EEESZ_S10_S11_S18_S1C_S1E_T6_T7_T9_mT8_S1G_bDpT10_ENKUlT_T0_E_clISt17integral_constantIbLb1EES1T_IbLb0EEEEDaS1P_S1Q_EUlS1P_E_NS1_11comp_targetILNS1_3genE10ELNS1_11target_archE1200ELNS1_3gpuE4ELNS1_3repE0EEENS1_30default_config_static_selectorELNS0_4arch9wavefront6targetE0EEEvS12_.kd
    .uniform_work_group_size: 1
    .uses_dynamic_stack: false
    .vgpr_count:     0
    .vgpr_spill_count: 0
    .wavefront_size: 32
    .workgroup_processor_mode: 1
  - .args:
      - .offset:         0
        .size:           176
        .value_kind:     by_value
    .group_segment_fixed_size: 0
    .kernarg_segment_align: 8
    .kernarg_segment_size: 176
    .language:       OpenCL C
    .language_version:
      - 2
      - 0
    .max_flat_workgroup_size: 256
    .name:           _ZN7rocprim17ROCPRIM_400000_NS6detail17trampoline_kernelINS0_13select_configILj256ELj13ELNS0_17block_load_methodE3ELS4_3ELS4_3ELNS0_20block_scan_algorithmE0ELj4294967295EEENS1_25partition_config_selectorILNS1_17partition_subalgoE4EjNS0_10empty_typeEbEEZZNS1_14partition_implILS8_4ELb0ES6_15HIP_vector_typeIjLj2EENS0_17counting_iteratorIjlEEPS9_SG_NS0_5tupleIJPjSI_NS0_16reverse_iteratorISI_EEEEENSH_IJSG_SG_SG_EEES9_SI_JZNS1_25segmented_radix_sort_implINS0_14default_configELb1EPKfPfPKlPlN2at6native12_GLOBAL__N_18offset_tEEE10hipError_tPvRmT1_PNSt15iterator_traitsIS12_E10value_typeET2_T3_PNS13_IS18_E10value_typeET4_jRbjT5_S1E_jjP12ihipStream_tbEUljE_ZNSN_ISO_Lb1ESQ_SR_ST_SU_SY_EESZ_S10_S11_S12_S16_S17_S18_S1B_S1C_jS1D_jS1E_S1E_jjS1G_bEUljE0_EEESZ_S10_S11_S18_S1C_S1E_T6_T7_T9_mT8_S1G_bDpT10_ENKUlT_T0_E_clISt17integral_constantIbLb1EES1T_IbLb0EEEEDaS1P_S1Q_EUlS1P_E_NS1_11comp_targetILNS1_3genE9ELNS1_11target_archE1100ELNS1_3gpuE3ELNS1_3repE0EEENS1_30default_config_static_selectorELNS0_4arch9wavefront6targetE0EEEvS12_
    .private_segment_fixed_size: 0
    .sgpr_count:     0
    .sgpr_spill_count: 0
    .symbol:         _ZN7rocprim17ROCPRIM_400000_NS6detail17trampoline_kernelINS0_13select_configILj256ELj13ELNS0_17block_load_methodE3ELS4_3ELS4_3ELNS0_20block_scan_algorithmE0ELj4294967295EEENS1_25partition_config_selectorILNS1_17partition_subalgoE4EjNS0_10empty_typeEbEEZZNS1_14partition_implILS8_4ELb0ES6_15HIP_vector_typeIjLj2EENS0_17counting_iteratorIjlEEPS9_SG_NS0_5tupleIJPjSI_NS0_16reverse_iteratorISI_EEEEENSH_IJSG_SG_SG_EEES9_SI_JZNS1_25segmented_radix_sort_implINS0_14default_configELb1EPKfPfPKlPlN2at6native12_GLOBAL__N_18offset_tEEE10hipError_tPvRmT1_PNSt15iterator_traitsIS12_E10value_typeET2_T3_PNS13_IS18_E10value_typeET4_jRbjT5_S1E_jjP12ihipStream_tbEUljE_ZNSN_ISO_Lb1ESQ_SR_ST_SU_SY_EESZ_S10_S11_S12_S16_S17_S18_S1B_S1C_jS1D_jS1E_S1E_jjS1G_bEUljE0_EEESZ_S10_S11_S18_S1C_S1E_T6_T7_T9_mT8_S1G_bDpT10_ENKUlT_T0_E_clISt17integral_constantIbLb1EES1T_IbLb0EEEEDaS1P_S1Q_EUlS1P_E_NS1_11comp_targetILNS1_3genE9ELNS1_11target_archE1100ELNS1_3gpuE3ELNS1_3repE0EEENS1_30default_config_static_selectorELNS0_4arch9wavefront6targetE0EEEvS12_.kd
    .uniform_work_group_size: 1
    .uses_dynamic_stack: false
    .vgpr_count:     0
    .vgpr_spill_count: 0
    .wavefront_size: 32
    .workgroup_processor_mode: 1
  - .args:
      - .offset:         0
        .size:           176
        .value_kind:     by_value
    .group_segment_fixed_size: 0
    .kernarg_segment_align: 8
    .kernarg_segment_size: 176
    .language:       OpenCL C
    .language_version:
      - 2
      - 0
    .max_flat_workgroup_size: 256
    .name:           _ZN7rocprim17ROCPRIM_400000_NS6detail17trampoline_kernelINS0_13select_configILj256ELj13ELNS0_17block_load_methodE3ELS4_3ELS4_3ELNS0_20block_scan_algorithmE0ELj4294967295EEENS1_25partition_config_selectorILNS1_17partition_subalgoE4EjNS0_10empty_typeEbEEZZNS1_14partition_implILS8_4ELb0ES6_15HIP_vector_typeIjLj2EENS0_17counting_iteratorIjlEEPS9_SG_NS0_5tupleIJPjSI_NS0_16reverse_iteratorISI_EEEEENSH_IJSG_SG_SG_EEES9_SI_JZNS1_25segmented_radix_sort_implINS0_14default_configELb1EPKfPfPKlPlN2at6native12_GLOBAL__N_18offset_tEEE10hipError_tPvRmT1_PNSt15iterator_traitsIS12_E10value_typeET2_T3_PNS13_IS18_E10value_typeET4_jRbjT5_S1E_jjP12ihipStream_tbEUljE_ZNSN_ISO_Lb1ESQ_SR_ST_SU_SY_EESZ_S10_S11_S12_S16_S17_S18_S1B_S1C_jS1D_jS1E_S1E_jjS1G_bEUljE0_EEESZ_S10_S11_S18_S1C_S1E_T6_T7_T9_mT8_S1G_bDpT10_ENKUlT_T0_E_clISt17integral_constantIbLb1EES1T_IbLb0EEEEDaS1P_S1Q_EUlS1P_E_NS1_11comp_targetILNS1_3genE8ELNS1_11target_archE1030ELNS1_3gpuE2ELNS1_3repE0EEENS1_30default_config_static_selectorELNS0_4arch9wavefront6targetE0EEEvS12_
    .private_segment_fixed_size: 0
    .sgpr_count:     0
    .sgpr_spill_count: 0
    .symbol:         _ZN7rocprim17ROCPRIM_400000_NS6detail17trampoline_kernelINS0_13select_configILj256ELj13ELNS0_17block_load_methodE3ELS4_3ELS4_3ELNS0_20block_scan_algorithmE0ELj4294967295EEENS1_25partition_config_selectorILNS1_17partition_subalgoE4EjNS0_10empty_typeEbEEZZNS1_14partition_implILS8_4ELb0ES6_15HIP_vector_typeIjLj2EENS0_17counting_iteratorIjlEEPS9_SG_NS0_5tupleIJPjSI_NS0_16reverse_iteratorISI_EEEEENSH_IJSG_SG_SG_EEES9_SI_JZNS1_25segmented_radix_sort_implINS0_14default_configELb1EPKfPfPKlPlN2at6native12_GLOBAL__N_18offset_tEEE10hipError_tPvRmT1_PNSt15iterator_traitsIS12_E10value_typeET2_T3_PNS13_IS18_E10value_typeET4_jRbjT5_S1E_jjP12ihipStream_tbEUljE_ZNSN_ISO_Lb1ESQ_SR_ST_SU_SY_EESZ_S10_S11_S12_S16_S17_S18_S1B_S1C_jS1D_jS1E_S1E_jjS1G_bEUljE0_EEESZ_S10_S11_S18_S1C_S1E_T6_T7_T9_mT8_S1G_bDpT10_ENKUlT_T0_E_clISt17integral_constantIbLb1EES1T_IbLb0EEEEDaS1P_S1Q_EUlS1P_E_NS1_11comp_targetILNS1_3genE8ELNS1_11target_archE1030ELNS1_3gpuE2ELNS1_3repE0EEENS1_30default_config_static_selectorELNS0_4arch9wavefront6targetE0EEEvS12_.kd
    .uniform_work_group_size: 1
    .uses_dynamic_stack: false
    .vgpr_count:     0
    .vgpr_spill_count: 0
    .wavefront_size: 32
    .workgroup_processor_mode: 1
  - .args:
      - .offset:         0
        .size:           184
        .value_kind:     by_value
    .group_segment_fixed_size: 0
    .kernarg_segment_align: 8
    .kernarg_segment_size: 184
    .language:       OpenCL C
    .language_version:
      - 2
      - 0
    .max_flat_workgroup_size: 256
    .name:           _ZN7rocprim17ROCPRIM_400000_NS6detail17trampoline_kernelINS0_13select_configILj256ELj13ELNS0_17block_load_methodE3ELS4_3ELS4_3ELNS0_20block_scan_algorithmE0ELj4294967295EEENS1_25partition_config_selectorILNS1_17partition_subalgoE4EjNS0_10empty_typeEbEEZZNS1_14partition_implILS8_4ELb0ES6_15HIP_vector_typeIjLj2EENS0_17counting_iteratorIjlEEPS9_SG_NS0_5tupleIJPjSI_NS0_16reverse_iteratorISI_EEEEENSH_IJSG_SG_SG_EEES9_SI_JZNS1_25segmented_radix_sort_implINS0_14default_configELb1EPKfPfPKlPlN2at6native12_GLOBAL__N_18offset_tEEE10hipError_tPvRmT1_PNSt15iterator_traitsIS12_E10value_typeET2_T3_PNS13_IS18_E10value_typeET4_jRbjT5_S1E_jjP12ihipStream_tbEUljE_ZNSN_ISO_Lb1ESQ_SR_ST_SU_SY_EESZ_S10_S11_S12_S16_S17_S18_S1B_S1C_jS1D_jS1E_S1E_jjS1G_bEUljE0_EEESZ_S10_S11_S18_S1C_S1E_T6_T7_T9_mT8_S1G_bDpT10_ENKUlT_T0_E_clISt17integral_constantIbLb0EES1T_IbLb1EEEEDaS1P_S1Q_EUlS1P_E_NS1_11comp_targetILNS1_3genE0ELNS1_11target_archE4294967295ELNS1_3gpuE0ELNS1_3repE0EEENS1_30default_config_static_selectorELNS0_4arch9wavefront6targetE0EEEvS12_
    .private_segment_fixed_size: 0
    .sgpr_count:     0
    .sgpr_spill_count: 0
    .symbol:         _ZN7rocprim17ROCPRIM_400000_NS6detail17trampoline_kernelINS0_13select_configILj256ELj13ELNS0_17block_load_methodE3ELS4_3ELS4_3ELNS0_20block_scan_algorithmE0ELj4294967295EEENS1_25partition_config_selectorILNS1_17partition_subalgoE4EjNS0_10empty_typeEbEEZZNS1_14partition_implILS8_4ELb0ES6_15HIP_vector_typeIjLj2EENS0_17counting_iteratorIjlEEPS9_SG_NS0_5tupleIJPjSI_NS0_16reverse_iteratorISI_EEEEENSH_IJSG_SG_SG_EEES9_SI_JZNS1_25segmented_radix_sort_implINS0_14default_configELb1EPKfPfPKlPlN2at6native12_GLOBAL__N_18offset_tEEE10hipError_tPvRmT1_PNSt15iterator_traitsIS12_E10value_typeET2_T3_PNS13_IS18_E10value_typeET4_jRbjT5_S1E_jjP12ihipStream_tbEUljE_ZNSN_ISO_Lb1ESQ_SR_ST_SU_SY_EESZ_S10_S11_S12_S16_S17_S18_S1B_S1C_jS1D_jS1E_S1E_jjS1G_bEUljE0_EEESZ_S10_S11_S18_S1C_S1E_T6_T7_T9_mT8_S1G_bDpT10_ENKUlT_T0_E_clISt17integral_constantIbLb0EES1T_IbLb1EEEEDaS1P_S1Q_EUlS1P_E_NS1_11comp_targetILNS1_3genE0ELNS1_11target_archE4294967295ELNS1_3gpuE0ELNS1_3repE0EEENS1_30default_config_static_selectorELNS0_4arch9wavefront6targetE0EEEvS12_.kd
    .uniform_work_group_size: 1
    .uses_dynamic_stack: false
    .vgpr_count:     0
    .vgpr_spill_count: 0
    .wavefront_size: 32
    .workgroup_processor_mode: 1
  - .args:
      - .offset:         0
        .size:           184
        .value_kind:     by_value
    .group_segment_fixed_size: 0
    .kernarg_segment_align: 8
    .kernarg_segment_size: 184
    .language:       OpenCL C
    .language_version:
      - 2
      - 0
    .max_flat_workgroup_size: 256
    .name:           _ZN7rocprim17ROCPRIM_400000_NS6detail17trampoline_kernelINS0_13select_configILj256ELj13ELNS0_17block_load_methodE3ELS4_3ELS4_3ELNS0_20block_scan_algorithmE0ELj4294967295EEENS1_25partition_config_selectorILNS1_17partition_subalgoE4EjNS0_10empty_typeEbEEZZNS1_14partition_implILS8_4ELb0ES6_15HIP_vector_typeIjLj2EENS0_17counting_iteratorIjlEEPS9_SG_NS0_5tupleIJPjSI_NS0_16reverse_iteratorISI_EEEEENSH_IJSG_SG_SG_EEES9_SI_JZNS1_25segmented_radix_sort_implINS0_14default_configELb1EPKfPfPKlPlN2at6native12_GLOBAL__N_18offset_tEEE10hipError_tPvRmT1_PNSt15iterator_traitsIS12_E10value_typeET2_T3_PNS13_IS18_E10value_typeET4_jRbjT5_S1E_jjP12ihipStream_tbEUljE_ZNSN_ISO_Lb1ESQ_SR_ST_SU_SY_EESZ_S10_S11_S12_S16_S17_S18_S1B_S1C_jS1D_jS1E_S1E_jjS1G_bEUljE0_EEESZ_S10_S11_S18_S1C_S1E_T6_T7_T9_mT8_S1G_bDpT10_ENKUlT_T0_E_clISt17integral_constantIbLb0EES1T_IbLb1EEEEDaS1P_S1Q_EUlS1P_E_NS1_11comp_targetILNS1_3genE5ELNS1_11target_archE942ELNS1_3gpuE9ELNS1_3repE0EEENS1_30default_config_static_selectorELNS0_4arch9wavefront6targetE0EEEvS12_
    .private_segment_fixed_size: 0
    .sgpr_count:     0
    .sgpr_spill_count: 0
    .symbol:         _ZN7rocprim17ROCPRIM_400000_NS6detail17trampoline_kernelINS0_13select_configILj256ELj13ELNS0_17block_load_methodE3ELS4_3ELS4_3ELNS0_20block_scan_algorithmE0ELj4294967295EEENS1_25partition_config_selectorILNS1_17partition_subalgoE4EjNS0_10empty_typeEbEEZZNS1_14partition_implILS8_4ELb0ES6_15HIP_vector_typeIjLj2EENS0_17counting_iteratorIjlEEPS9_SG_NS0_5tupleIJPjSI_NS0_16reverse_iteratorISI_EEEEENSH_IJSG_SG_SG_EEES9_SI_JZNS1_25segmented_radix_sort_implINS0_14default_configELb1EPKfPfPKlPlN2at6native12_GLOBAL__N_18offset_tEEE10hipError_tPvRmT1_PNSt15iterator_traitsIS12_E10value_typeET2_T3_PNS13_IS18_E10value_typeET4_jRbjT5_S1E_jjP12ihipStream_tbEUljE_ZNSN_ISO_Lb1ESQ_SR_ST_SU_SY_EESZ_S10_S11_S12_S16_S17_S18_S1B_S1C_jS1D_jS1E_S1E_jjS1G_bEUljE0_EEESZ_S10_S11_S18_S1C_S1E_T6_T7_T9_mT8_S1G_bDpT10_ENKUlT_T0_E_clISt17integral_constantIbLb0EES1T_IbLb1EEEEDaS1P_S1Q_EUlS1P_E_NS1_11comp_targetILNS1_3genE5ELNS1_11target_archE942ELNS1_3gpuE9ELNS1_3repE0EEENS1_30default_config_static_selectorELNS0_4arch9wavefront6targetE0EEEvS12_.kd
    .uniform_work_group_size: 1
    .uses_dynamic_stack: false
    .vgpr_count:     0
    .vgpr_spill_count: 0
    .wavefront_size: 32
    .workgroup_processor_mode: 1
  - .args:
      - .offset:         0
        .size:           184
        .value_kind:     by_value
    .group_segment_fixed_size: 0
    .kernarg_segment_align: 8
    .kernarg_segment_size: 184
    .language:       OpenCL C
    .language_version:
      - 2
      - 0
    .max_flat_workgroup_size: 256
    .name:           _ZN7rocprim17ROCPRIM_400000_NS6detail17trampoline_kernelINS0_13select_configILj256ELj13ELNS0_17block_load_methodE3ELS4_3ELS4_3ELNS0_20block_scan_algorithmE0ELj4294967295EEENS1_25partition_config_selectorILNS1_17partition_subalgoE4EjNS0_10empty_typeEbEEZZNS1_14partition_implILS8_4ELb0ES6_15HIP_vector_typeIjLj2EENS0_17counting_iteratorIjlEEPS9_SG_NS0_5tupleIJPjSI_NS0_16reverse_iteratorISI_EEEEENSH_IJSG_SG_SG_EEES9_SI_JZNS1_25segmented_radix_sort_implINS0_14default_configELb1EPKfPfPKlPlN2at6native12_GLOBAL__N_18offset_tEEE10hipError_tPvRmT1_PNSt15iterator_traitsIS12_E10value_typeET2_T3_PNS13_IS18_E10value_typeET4_jRbjT5_S1E_jjP12ihipStream_tbEUljE_ZNSN_ISO_Lb1ESQ_SR_ST_SU_SY_EESZ_S10_S11_S12_S16_S17_S18_S1B_S1C_jS1D_jS1E_S1E_jjS1G_bEUljE0_EEESZ_S10_S11_S18_S1C_S1E_T6_T7_T9_mT8_S1G_bDpT10_ENKUlT_T0_E_clISt17integral_constantIbLb0EES1T_IbLb1EEEEDaS1P_S1Q_EUlS1P_E_NS1_11comp_targetILNS1_3genE4ELNS1_11target_archE910ELNS1_3gpuE8ELNS1_3repE0EEENS1_30default_config_static_selectorELNS0_4arch9wavefront6targetE0EEEvS12_
    .private_segment_fixed_size: 0
    .sgpr_count:     0
    .sgpr_spill_count: 0
    .symbol:         _ZN7rocprim17ROCPRIM_400000_NS6detail17trampoline_kernelINS0_13select_configILj256ELj13ELNS0_17block_load_methodE3ELS4_3ELS4_3ELNS0_20block_scan_algorithmE0ELj4294967295EEENS1_25partition_config_selectorILNS1_17partition_subalgoE4EjNS0_10empty_typeEbEEZZNS1_14partition_implILS8_4ELb0ES6_15HIP_vector_typeIjLj2EENS0_17counting_iteratorIjlEEPS9_SG_NS0_5tupleIJPjSI_NS0_16reverse_iteratorISI_EEEEENSH_IJSG_SG_SG_EEES9_SI_JZNS1_25segmented_radix_sort_implINS0_14default_configELb1EPKfPfPKlPlN2at6native12_GLOBAL__N_18offset_tEEE10hipError_tPvRmT1_PNSt15iterator_traitsIS12_E10value_typeET2_T3_PNS13_IS18_E10value_typeET4_jRbjT5_S1E_jjP12ihipStream_tbEUljE_ZNSN_ISO_Lb1ESQ_SR_ST_SU_SY_EESZ_S10_S11_S12_S16_S17_S18_S1B_S1C_jS1D_jS1E_S1E_jjS1G_bEUljE0_EEESZ_S10_S11_S18_S1C_S1E_T6_T7_T9_mT8_S1G_bDpT10_ENKUlT_T0_E_clISt17integral_constantIbLb0EES1T_IbLb1EEEEDaS1P_S1Q_EUlS1P_E_NS1_11comp_targetILNS1_3genE4ELNS1_11target_archE910ELNS1_3gpuE8ELNS1_3repE0EEENS1_30default_config_static_selectorELNS0_4arch9wavefront6targetE0EEEvS12_.kd
    .uniform_work_group_size: 1
    .uses_dynamic_stack: false
    .vgpr_count:     0
    .vgpr_spill_count: 0
    .wavefront_size: 32
    .workgroup_processor_mode: 1
  - .args:
      - .offset:         0
        .size:           184
        .value_kind:     by_value
    .group_segment_fixed_size: 0
    .kernarg_segment_align: 8
    .kernarg_segment_size: 184
    .language:       OpenCL C
    .language_version:
      - 2
      - 0
    .max_flat_workgroup_size: 256
    .name:           _ZN7rocprim17ROCPRIM_400000_NS6detail17trampoline_kernelINS0_13select_configILj256ELj13ELNS0_17block_load_methodE3ELS4_3ELS4_3ELNS0_20block_scan_algorithmE0ELj4294967295EEENS1_25partition_config_selectorILNS1_17partition_subalgoE4EjNS0_10empty_typeEbEEZZNS1_14partition_implILS8_4ELb0ES6_15HIP_vector_typeIjLj2EENS0_17counting_iteratorIjlEEPS9_SG_NS0_5tupleIJPjSI_NS0_16reverse_iteratorISI_EEEEENSH_IJSG_SG_SG_EEES9_SI_JZNS1_25segmented_radix_sort_implINS0_14default_configELb1EPKfPfPKlPlN2at6native12_GLOBAL__N_18offset_tEEE10hipError_tPvRmT1_PNSt15iterator_traitsIS12_E10value_typeET2_T3_PNS13_IS18_E10value_typeET4_jRbjT5_S1E_jjP12ihipStream_tbEUljE_ZNSN_ISO_Lb1ESQ_SR_ST_SU_SY_EESZ_S10_S11_S12_S16_S17_S18_S1B_S1C_jS1D_jS1E_S1E_jjS1G_bEUljE0_EEESZ_S10_S11_S18_S1C_S1E_T6_T7_T9_mT8_S1G_bDpT10_ENKUlT_T0_E_clISt17integral_constantIbLb0EES1T_IbLb1EEEEDaS1P_S1Q_EUlS1P_E_NS1_11comp_targetILNS1_3genE3ELNS1_11target_archE908ELNS1_3gpuE7ELNS1_3repE0EEENS1_30default_config_static_selectorELNS0_4arch9wavefront6targetE0EEEvS12_
    .private_segment_fixed_size: 0
    .sgpr_count:     0
    .sgpr_spill_count: 0
    .symbol:         _ZN7rocprim17ROCPRIM_400000_NS6detail17trampoline_kernelINS0_13select_configILj256ELj13ELNS0_17block_load_methodE3ELS4_3ELS4_3ELNS0_20block_scan_algorithmE0ELj4294967295EEENS1_25partition_config_selectorILNS1_17partition_subalgoE4EjNS0_10empty_typeEbEEZZNS1_14partition_implILS8_4ELb0ES6_15HIP_vector_typeIjLj2EENS0_17counting_iteratorIjlEEPS9_SG_NS0_5tupleIJPjSI_NS0_16reverse_iteratorISI_EEEEENSH_IJSG_SG_SG_EEES9_SI_JZNS1_25segmented_radix_sort_implINS0_14default_configELb1EPKfPfPKlPlN2at6native12_GLOBAL__N_18offset_tEEE10hipError_tPvRmT1_PNSt15iterator_traitsIS12_E10value_typeET2_T3_PNS13_IS18_E10value_typeET4_jRbjT5_S1E_jjP12ihipStream_tbEUljE_ZNSN_ISO_Lb1ESQ_SR_ST_SU_SY_EESZ_S10_S11_S12_S16_S17_S18_S1B_S1C_jS1D_jS1E_S1E_jjS1G_bEUljE0_EEESZ_S10_S11_S18_S1C_S1E_T6_T7_T9_mT8_S1G_bDpT10_ENKUlT_T0_E_clISt17integral_constantIbLb0EES1T_IbLb1EEEEDaS1P_S1Q_EUlS1P_E_NS1_11comp_targetILNS1_3genE3ELNS1_11target_archE908ELNS1_3gpuE7ELNS1_3repE0EEENS1_30default_config_static_selectorELNS0_4arch9wavefront6targetE0EEEvS12_.kd
    .uniform_work_group_size: 1
    .uses_dynamic_stack: false
    .vgpr_count:     0
    .vgpr_spill_count: 0
    .wavefront_size: 32
    .workgroup_processor_mode: 1
  - .args:
      - .offset:         0
        .size:           184
        .value_kind:     by_value
    .group_segment_fixed_size: 0
    .kernarg_segment_align: 8
    .kernarg_segment_size: 184
    .language:       OpenCL C
    .language_version:
      - 2
      - 0
    .max_flat_workgroup_size: 256
    .name:           _ZN7rocprim17ROCPRIM_400000_NS6detail17trampoline_kernelINS0_13select_configILj256ELj13ELNS0_17block_load_methodE3ELS4_3ELS4_3ELNS0_20block_scan_algorithmE0ELj4294967295EEENS1_25partition_config_selectorILNS1_17partition_subalgoE4EjNS0_10empty_typeEbEEZZNS1_14partition_implILS8_4ELb0ES6_15HIP_vector_typeIjLj2EENS0_17counting_iteratorIjlEEPS9_SG_NS0_5tupleIJPjSI_NS0_16reverse_iteratorISI_EEEEENSH_IJSG_SG_SG_EEES9_SI_JZNS1_25segmented_radix_sort_implINS0_14default_configELb1EPKfPfPKlPlN2at6native12_GLOBAL__N_18offset_tEEE10hipError_tPvRmT1_PNSt15iterator_traitsIS12_E10value_typeET2_T3_PNS13_IS18_E10value_typeET4_jRbjT5_S1E_jjP12ihipStream_tbEUljE_ZNSN_ISO_Lb1ESQ_SR_ST_SU_SY_EESZ_S10_S11_S12_S16_S17_S18_S1B_S1C_jS1D_jS1E_S1E_jjS1G_bEUljE0_EEESZ_S10_S11_S18_S1C_S1E_T6_T7_T9_mT8_S1G_bDpT10_ENKUlT_T0_E_clISt17integral_constantIbLb0EES1T_IbLb1EEEEDaS1P_S1Q_EUlS1P_E_NS1_11comp_targetILNS1_3genE2ELNS1_11target_archE906ELNS1_3gpuE6ELNS1_3repE0EEENS1_30default_config_static_selectorELNS0_4arch9wavefront6targetE0EEEvS12_
    .private_segment_fixed_size: 0
    .sgpr_count:     0
    .sgpr_spill_count: 0
    .symbol:         _ZN7rocprim17ROCPRIM_400000_NS6detail17trampoline_kernelINS0_13select_configILj256ELj13ELNS0_17block_load_methodE3ELS4_3ELS4_3ELNS0_20block_scan_algorithmE0ELj4294967295EEENS1_25partition_config_selectorILNS1_17partition_subalgoE4EjNS0_10empty_typeEbEEZZNS1_14partition_implILS8_4ELb0ES6_15HIP_vector_typeIjLj2EENS0_17counting_iteratorIjlEEPS9_SG_NS0_5tupleIJPjSI_NS0_16reverse_iteratorISI_EEEEENSH_IJSG_SG_SG_EEES9_SI_JZNS1_25segmented_radix_sort_implINS0_14default_configELb1EPKfPfPKlPlN2at6native12_GLOBAL__N_18offset_tEEE10hipError_tPvRmT1_PNSt15iterator_traitsIS12_E10value_typeET2_T3_PNS13_IS18_E10value_typeET4_jRbjT5_S1E_jjP12ihipStream_tbEUljE_ZNSN_ISO_Lb1ESQ_SR_ST_SU_SY_EESZ_S10_S11_S12_S16_S17_S18_S1B_S1C_jS1D_jS1E_S1E_jjS1G_bEUljE0_EEESZ_S10_S11_S18_S1C_S1E_T6_T7_T9_mT8_S1G_bDpT10_ENKUlT_T0_E_clISt17integral_constantIbLb0EES1T_IbLb1EEEEDaS1P_S1Q_EUlS1P_E_NS1_11comp_targetILNS1_3genE2ELNS1_11target_archE906ELNS1_3gpuE6ELNS1_3repE0EEENS1_30default_config_static_selectorELNS0_4arch9wavefront6targetE0EEEvS12_.kd
    .uniform_work_group_size: 1
    .uses_dynamic_stack: false
    .vgpr_count:     0
    .vgpr_spill_count: 0
    .wavefront_size: 32
    .workgroup_processor_mode: 1
  - .args:
      - .offset:         0
        .size:           184
        .value_kind:     by_value
    .group_segment_fixed_size: 0
    .kernarg_segment_align: 8
    .kernarg_segment_size: 184
    .language:       OpenCL C
    .language_version:
      - 2
      - 0
    .max_flat_workgroup_size: 256
    .name:           _ZN7rocprim17ROCPRIM_400000_NS6detail17trampoline_kernelINS0_13select_configILj256ELj13ELNS0_17block_load_methodE3ELS4_3ELS4_3ELNS0_20block_scan_algorithmE0ELj4294967295EEENS1_25partition_config_selectorILNS1_17partition_subalgoE4EjNS0_10empty_typeEbEEZZNS1_14partition_implILS8_4ELb0ES6_15HIP_vector_typeIjLj2EENS0_17counting_iteratorIjlEEPS9_SG_NS0_5tupleIJPjSI_NS0_16reverse_iteratorISI_EEEEENSH_IJSG_SG_SG_EEES9_SI_JZNS1_25segmented_radix_sort_implINS0_14default_configELb1EPKfPfPKlPlN2at6native12_GLOBAL__N_18offset_tEEE10hipError_tPvRmT1_PNSt15iterator_traitsIS12_E10value_typeET2_T3_PNS13_IS18_E10value_typeET4_jRbjT5_S1E_jjP12ihipStream_tbEUljE_ZNSN_ISO_Lb1ESQ_SR_ST_SU_SY_EESZ_S10_S11_S12_S16_S17_S18_S1B_S1C_jS1D_jS1E_S1E_jjS1G_bEUljE0_EEESZ_S10_S11_S18_S1C_S1E_T6_T7_T9_mT8_S1G_bDpT10_ENKUlT_T0_E_clISt17integral_constantIbLb0EES1T_IbLb1EEEEDaS1P_S1Q_EUlS1P_E_NS1_11comp_targetILNS1_3genE10ELNS1_11target_archE1200ELNS1_3gpuE4ELNS1_3repE0EEENS1_30default_config_static_selectorELNS0_4arch9wavefront6targetE0EEEvS12_
    .private_segment_fixed_size: 0
    .sgpr_count:     0
    .sgpr_spill_count: 0
    .symbol:         _ZN7rocprim17ROCPRIM_400000_NS6detail17trampoline_kernelINS0_13select_configILj256ELj13ELNS0_17block_load_methodE3ELS4_3ELS4_3ELNS0_20block_scan_algorithmE0ELj4294967295EEENS1_25partition_config_selectorILNS1_17partition_subalgoE4EjNS0_10empty_typeEbEEZZNS1_14partition_implILS8_4ELb0ES6_15HIP_vector_typeIjLj2EENS0_17counting_iteratorIjlEEPS9_SG_NS0_5tupleIJPjSI_NS0_16reverse_iteratorISI_EEEEENSH_IJSG_SG_SG_EEES9_SI_JZNS1_25segmented_radix_sort_implINS0_14default_configELb1EPKfPfPKlPlN2at6native12_GLOBAL__N_18offset_tEEE10hipError_tPvRmT1_PNSt15iterator_traitsIS12_E10value_typeET2_T3_PNS13_IS18_E10value_typeET4_jRbjT5_S1E_jjP12ihipStream_tbEUljE_ZNSN_ISO_Lb1ESQ_SR_ST_SU_SY_EESZ_S10_S11_S12_S16_S17_S18_S1B_S1C_jS1D_jS1E_S1E_jjS1G_bEUljE0_EEESZ_S10_S11_S18_S1C_S1E_T6_T7_T9_mT8_S1G_bDpT10_ENKUlT_T0_E_clISt17integral_constantIbLb0EES1T_IbLb1EEEEDaS1P_S1Q_EUlS1P_E_NS1_11comp_targetILNS1_3genE10ELNS1_11target_archE1200ELNS1_3gpuE4ELNS1_3repE0EEENS1_30default_config_static_selectorELNS0_4arch9wavefront6targetE0EEEvS12_.kd
    .uniform_work_group_size: 1
    .uses_dynamic_stack: false
    .vgpr_count:     0
    .vgpr_spill_count: 0
    .wavefront_size: 32
    .workgroup_processor_mode: 1
  - .args:
      - .offset:         0
        .size:           184
        .value_kind:     by_value
    .group_segment_fixed_size: 0
    .kernarg_segment_align: 8
    .kernarg_segment_size: 184
    .language:       OpenCL C
    .language_version:
      - 2
      - 0
    .max_flat_workgroup_size: 256
    .name:           _ZN7rocprim17ROCPRIM_400000_NS6detail17trampoline_kernelINS0_13select_configILj256ELj13ELNS0_17block_load_methodE3ELS4_3ELS4_3ELNS0_20block_scan_algorithmE0ELj4294967295EEENS1_25partition_config_selectorILNS1_17partition_subalgoE4EjNS0_10empty_typeEbEEZZNS1_14partition_implILS8_4ELb0ES6_15HIP_vector_typeIjLj2EENS0_17counting_iteratorIjlEEPS9_SG_NS0_5tupleIJPjSI_NS0_16reverse_iteratorISI_EEEEENSH_IJSG_SG_SG_EEES9_SI_JZNS1_25segmented_radix_sort_implINS0_14default_configELb1EPKfPfPKlPlN2at6native12_GLOBAL__N_18offset_tEEE10hipError_tPvRmT1_PNSt15iterator_traitsIS12_E10value_typeET2_T3_PNS13_IS18_E10value_typeET4_jRbjT5_S1E_jjP12ihipStream_tbEUljE_ZNSN_ISO_Lb1ESQ_SR_ST_SU_SY_EESZ_S10_S11_S12_S16_S17_S18_S1B_S1C_jS1D_jS1E_S1E_jjS1G_bEUljE0_EEESZ_S10_S11_S18_S1C_S1E_T6_T7_T9_mT8_S1G_bDpT10_ENKUlT_T0_E_clISt17integral_constantIbLb0EES1T_IbLb1EEEEDaS1P_S1Q_EUlS1P_E_NS1_11comp_targetILNS1_3genE9ELNS1_11target_archE1100ELNS1_3gpuE3ELNS1_3repE0EEENS1_30default_config_static_selectorELNS0_4arch9wavefront6targetE0EEEvS12_
    .private_segment_fixed_size: 0
    .sgpr_count:     0
    .sgpr_spill_count: 0
    .symbol:         _ZN7rocprim17ROCPRIM_400000_NS6detail17trampoline_kernelINS0_13select_configILj256ELj13ELNS0_17block_load_methodE3ELS4_3ELS4_3ELNS0_20block_scan_algorithmE0ELj4294967295EEENS1_25partition_config_selectorILNS1_17partition_subalgoE4EjNS0_10empty_typeEbEEZZNS1_14partition_implILS8_4ELb0ES6_15HIP_vector_typeIjLj2EENS0_17counting_iteratorIjlEEPS9_SG_NS0_5tupleIJPjSI_NS0_16reverse_iteratorISI_EEEEENSH_IJSG_SG_SG_EEES9_SI_JZNS1_25segmented_radix_sort_implINS0_14default_configELb1EPKfPfPKlPlN2at6native12_GLOBAL__N_18offset_tEEE10hipError_tPvRmT1_PNSt15iterator_traitsIS12_E10value_typeET2_T3_PNS13_IS18_E10value_typeET4_jRbjT5_S1E_jjP12ihipStream_tbEUljE_ZNSN_ISO_Lb1ESQ_SR_ST_SU_SY_EESZ_S10_S11_S12_S16_S17_S18_S1B_S1C_jS1D_jS1E_S1E_jjS1G_bEUljE0_EEESZ_S10_S11_S18_S1C_S1E_T6_T7_T9_mT8_S1G_bDpT10_ENKUlT_T0_E_clISt17integral_constantIbLb0EES1T_IbLb1EEEEDaS1P_S1Q_EUlS1P_E_NS1_11comp_targetILNS1_3genE9ELNS1_11target_archE1100ELNS1_3gpuE3ELNS1_3repE0EEENS1_30default_config_static_selectorELNS0_4arch9wavefront6targetE0EEEvS12_.kd
    .uniform_work_group_size: 1
    .uses_dynamic_stack: false
    .vgpr_count:     0
    .vgpr_spill_count: 0
    .wavefront_size: 32
    .workgroup_processor_mode: 1
  - .args:
      - .offset:         0
        .size:           184
        .value_kind:     by_value
    .group_segment_fixed_size: 13328
    .kernarg_segment_align: 8
    .kernarg_segment_size: 184
    .language:       OpenCL C
    .language_version:
      - 2
      - 0
    .max_flat_workgroup_size: 256
    .name:           _ZN7rocprim17ROCPRIM_400000_NS6detail17trampoline_kernelINS0_13select_configILj256ELj13ELNS0_17block_load_methodE3ELS4_3ELS4_3ELNS0_20block_scan_algorithmE0ELj4294967295EEENS1_25partition_config_selectorILNS1_17partition_subalgoE4EjNS0_10empty_typeEbEEZZNS1_14partition_implILS8_4ELb0ES6_15HIP_vector_typeIjLj2EENS0_17counting_iteratorIjlEEPS9_SG_NS0_5tupleIJPjSI_NS0_16reverse_iteratorISI_EEEEENSH_IJSG_SG_SG_EEES9_SI_JZNS1_25segmented_radix_sort_implINS0_14default_configELb1EPKfPfPKlPlN2at6native12_GLOBAL__N_18offset_tEEE10hipError_tPvRmT1_PNSt15iterator_traitsIS12_E10value_typeET2_T3_PNS13_IS18_E10value_typeET4_jRbjT5_S1E_jjP12ihipStream_tbEUljE_ZNSN_ISO_Lb1ESQ_SR_ST_SU_SY_EESZ_S10_S11_S12_S16_S17_S18_S1B_S1C_jS1D_jS1E_S1E_jjS1G_bEUljE0_EEESZ_S10_S11_S18_S1C_S1E_T6_T7_T9_mT8_S1G_bDpT10_ENKUlT_T0_E_clISt17integral_constantIbLb0EES1T_IbLb1EEEEDaS1P_S1Q_EUlS1P_E_NS1_11comp_targetILNS1_3genE8ELNS1_11target_archE1030ELNS1_3gpuE2ELNS1_3repE0EEENS1_30default_config_static_selectorELNS0_4arch9wavefront6targetE0EEEvS12_
    .private_segment_fixed_size: 0
    .sgpr_count:     57
    .sgpr_spill_count: 0
    .symbol:         _ZN7rocprim17ROCPRIM_400000_NS6detail17trampoline_kernelINS0_13select_configILj256ELj13ELNS0_17block_load_methodE3ELS4_3ELS4_3ELNS0_20block_scan_algorithmE0ELj4294967295EEENS1_25partition_config_selectorILNS1_17partition_subalgoE4EjNS0_10empty_typeEbEEZZNS1_14partition_implILS8_4ELb0ES6_15HIP_vector_typeIjLj2EENS0_17counting_iteratorIjlEEPS9_SG_NS0_5tupleIJPjSI_NS0_16reverse_iteratorISI_EEEEENSH_IJSG_SG_SG_EEES9_SI_JZNS1_25segmented_radix_sort_implINS0_14default_configELb1EPKfPfPKlPlN2at6native12_GLOBAL__N_18offset_tEEE10hipError_tPvRmT1_PNSt15iterator_traitsIS12_E10value_typeET2_T3_PNS13_IS18_E10value_typeET4_jRbjT5_S1E_jjP12ihipStream_tbEUljE_ZNSN_ISO_Lb1ESQ_SR_ST_SU_SY_EESZ_S10_S11_S12_S16_S17_S18_S1B_S1C_jS1D_jS1E_S1E_jjS1G_bEUljE0_EEESZ_S10_S11_S18_S1C_S1E_T6_T7_T9_mT8_S1G_bDpT10_ENKUlT_T0_E_clISt17integral_constantIbLb0EES1T_IbLb1EEEEDaS1P_S1Q_EUlS1P_E_NS1_11comp_targetILNS1_3genE8ELNS1_11target_archE1030ELNS1_3gpuE2ELNS1_3repE0EEENS1_30default_config_static_selectorELNS0_4arch9wavefront6targetE0EEEvS12_.kd
    .uniform_work_group_size: 1
    .uses_dynamic_stack: false
    .vgpr_count:     87
    .vgpr_spill_count: 0
    .wavefront_size: 32
    .workgroup_processor_mode: 1
  - .args:
      - .offset:         0
        .size:           144
        .value_kind:     by_value
    .group_segment_fixed_size: 0
    .kernarg_segment_align: 8
    .kernarg_segment_size: 144
    .language:       OpenCL C
    .language_version:
      - 2
      - 0
    .max_flat_workgroup_size: 256
    .name:           _ZN7rocprim17ROCPRIM_400000_NS6detail17trampoline_kernelINS0_13select_configILj256ELj13ELNS0_17block_load_methodE3ELS4_3ELS4_3ELNS0_20block_scan_algorithmE0ELj4294967295EEENS1_25partition_config_selectorILNS1_17partition_subalgoE3EjNS0_10empty_typeEbEEZZNS1_14partition_implILS8_3ELb0ES6_jNS0_17counting_iteratorIjlEEPS9_SE_NS0_5tupleIJPjSE_EEENSF_IJSE_SE_EEES9_SG_JZNS1_25segmented_radix_sort_implINS0_14default_configELb1EPKfPfPKlPlN2at6native12_GLOBAL__N_18offset_tEEE10hipError_tPvRmT1_PNSt15iterator_traitsISY_E10value_typeET2_T3_PNSZ_IS14_E10value_typeET4_jRbjT5_S1A_jjP12ihipStream_tbEUljE_EEESV_SW_SX_S14_S18_S1A_T6_T7_T9_mT8_S1C_bDpT10_ENKUlT_T0_E_clISt17integral_constantIbLb0EES1P_EEDaS1K_S1L_EUlS1K_E_NS1_11comp_targetILNS1_3genE0ELNS1_11target_archE4294967295ELNS1_3gpuE0ELNS1_3repE0EEENS1_30default_config_static_selectorELNS0_4arch9wavefront6targetE0EEEvSY_
    .private_segment_fixed_size: 0
    .sgpr_count:     0
    .sgpr_spill_count: 0
    .symbol:         _ZN7rocprim17ROCPRIM_400000_NS6detail17trampoline_kernelINS0_13select_configILj256ELj13ELNS0_17block_load_methodE3ELS4_3ELS4_3ELNS0_20block_scan_algorithmE0ELj4294967295EEENS1_25partition_config_selectorILNS1_17partition_subalgoE3EjNS0_10empty_typeEbEEZZNS1_14partition_implILS8_3ELb0ES6_jNS0_17counting_iteratorIjlEEPS9_SE_NS0_5tupleIJPjSE_EEENSF_IJSE_SE_EEES9_SG_JZNS1_25segmented_radix_sort_implINS0_14default_configELb1EPKfPfPKlPlN2at6native12_GLOBAL__N_18offset_tEEE10hipError_tPvRmT1_PNSt15iterator_traitsISY_E10value_typeET2_T3_PNSZ_IS14_E10value_typeET4_jRbjT5_S1A_jjP12ihipStream_tbEUljE_EEESV_SW_SX_S14_S18_S1A_T6_T7_T9_mT8_S1C_bDpT10_ENKUlT_T0_E_clISt17integral_constantIbLb0EES1P_EEDaS1K_S1L_EUlS1K_E_NS1_11comp_targetILNS1_3genE0ELNS1_11target_archE4294967295ELNS1_3gpuE0ELNS1_3repE0EEENS1_30default_config_static_selectorELNS0_4arch9wavefront6targetE0EEEvSY_.kd
    .uniform_work_group_size: 1
    .uses_dynamic_stack: false
    .vgpr_count:     0
    .vgpr_spill_count: 0
    .wavefront_size: 32
    .workgroup_processor_mode: 1
  - .args:
      - .offset:         0
        .size:           144
        .value_kind:     by_value
    .group_segment_fixed_size: 0
    .kernarg_segment_align: 8
    .kernarg_segment_size: 144
    .language:       OpenCL C
    .language_version:
      - 2
      - 0
    .max_flat_workgroup_size: 256
    .name:           _ZN7rocprim17ROCPRIM_400000_NS6detail17trampoline_kernelINS0_13select_configILj256ELj13ELNS0_17block_load_methodE3ELS4_3ELS4_3ELNS0_20block_scan_algorithmE0ELj4294967295EEENS1_25partition_config_selectorILNS1_17partition_subalgoE3EjNS0_10empty_typeEbEEZZNS1_14partition_implILS8_3ELb0ES6_jNS0_17counting_iteratorIjlEEPS9_SE_NS0_5tupleIJPjSE_EEENSF_IJSE_SE_EEES9_SG_JZNS1_25segmented_radix_sort_implINS0_14default_configELb1EPKfPfPKlPlN2at6native12_GLOBAL__N_18offset_tEEE10hipError_tPvRmT1_PNSt15iterator_traitsISY_E10value_typeET2_T3_PNSZ_IS14_E10value_typeET4_jRbjT5_S1A_jjP12ihipStream_tbEUljE_EEESV_SW_SX_S14_S18_S1A_T6_T7_T9_mT8_S1C_bDpT10_ENKUlT_T0_E_clISt17integral_constantIbLb0EES1P_EEDaS1K_S1L_EUlS1K_E_NS1_11comp_targetILNS1_3genE5ELNS1_11target_archE942ELNS1_3gpuE9ELNS1_3repE0EEENS1_30default_config_static_selectorELNS0_4arch9wavefront6targetE0EEEvSY_
    .private_segment_fixed_size: 0
    .sgpr_count:     0
    .sgpr_spill_count: 0
    .symbol:         _ZN7rocprim17ROCPRIM_400000_NS6detail17trampoline_kernelINS0_13select_configILj256ELj13ELNS0_17block_load_methodE3ELS4_3ELS4_3ELNS0_20block_scan_algorithmE0ELj4294967295EEENS1_25partition_config_selectorILNS1_17partition_subalgoE3EjNS0_10empty_typeEbEEZZNS1_14partition_implILS8_3ELb0ES6_jNS0_17counting_iteratorIjlEEPS9_SE_NS0_5tupleIJPjSE_EEENSF_IJSE_SE_EEES9_SG_JZNS1_25segmented_radix_sort_implINS0_14default_configELb1EPKfPfPKlPlN2at6native12_GLOBAL__N_18offset_tEEE10hipError_tPvRmT1_PNSt15iterator_traitsISY_E10value_typeET2_T3_PNSZ_IS14_E10value_typeET4_jRbjT5_S1A_jjP12ihipStream_tbEUljE_EEESV_SW_SX_S14_S18_S1A_T6_T7_T9_mT8_S1C_bDpT10_ENKUlT_T0_E_clISt17integral_constantIbLb0EES1P_EEDaS1K_S1L_EUlS1K_E_NS1_11comp_targetILNS1_3genE5ELNS1_11target_archE942ELNS1_3gpuE9ELNS1_3repE0EEENS1_30default_config_static_selectorELNS0_4arch9wavefront6targetE0EEEvSY_.kd
    .uniform_work_group_size: 1
    .uses_dynamic_stack: false
    .vgpr_count:     0
    .vgpr_spill_count: 0
    .wavefront_size: 32
    .workgroup_processor_mode: 1
  - .args:
      - .offset:         0
        .size:           144
        .value_kind:     by_value
    .group_segment_fixed_size: 0
    .kernarg_segment_align: 8
    .kernarg_segment_size: 144
    .language:       OpenCL C
    .language_version:
      - 2
      - 0
    .max_flat_workgroup_size: 256
    .name:           _ZN7rocprim17ROCPRIM_400000_NS6detail17trampoline_kernelINS0_13select_configILj256ELj13ELNS0_17block_load_methodE3ELS4_3ELS4_3ELNS0_20block_scan_algorithmE0ELj4294967295EEENS1_25partition_config_selectorILNS1_17partition_subalgoE3EjNS0_10empty_typeEbEEZZNS1_14partition_implILS8_3ELb0ES6_jNS0_17counting_iteratorIjlEEPS9_SE_NS0_5tupleIJPjSE_EEENSF_IJSE_SE_EEES9_SG_JZNS1_25segmented_radix_sort_implINS0_14default_configELb1EPKfPfPKlPlN2at6native12_GLOBAL__N_18offset_tEEE10hipError_tPvRmT1_PNSt15iterator_traitsISY_E10value_typeET2_T3_PNSZ_IS14_E10value_typeET4_jRbjT5_S1A_jjP12ihipStream_tbEUljE_EEESV_SW_SX_S14_S18_S1A_T6_T7_T9_mT8_S1C_bDpT10_ENKUlT_T0_E_clISt17integral_constantIbLb0EES1P_EEDaS1K_S1L_EUlS1K_E_NS1_11comp_targetILNS1_3genE4ELNS1_11target_archE910ELNS1_3gpuE8ELNS1_3repE0EEENS1_30default_config_static_selectorELNS0_4arch9wavefront6targetE0EEEvSY_
    .private_segment_fixed_size: 0
    .sgpr_count:     0
    .sgpr_spill_count: 0
    .symbol:         _ZN7rocprim17ROCPRIM_400000_NS6detail17trampoline_kernelINS0_13select_configILj256ELj13ELNS0_17block_load_methodE3ELS4_3ELS4_3ELNS0_20block_scan_algorithmE0ELj4294967295EEENS1_25partition_config_selectorILNS1_17partition_subalgoE3EjNS0_10empty_typeEbEEZZNS1_14partition_implILS8_3ELb0ES6_jNS0_17counting_iteratorIjlEEPS9_SE_NS0_5tupleIJPjSE_EEENSF_IJSE_SE_EEES9_SG_JZNS1_25segmented_radix_sort_implINS0_14default_configELb1EPKfPfPKlPlN2at6native12_GLOBAL__N_18offset_tEEE10hipError_tPvRmT1_PNSt15iterator_traitsISY_E10value_typeET2_T3_PNSZ_IS14_E10value_typeET4_jRbjT5_S1A_jjP12ihipStream_tbEUljE_EEESV_SW_SX_S14_S18_S1A_T6_T7_T9_mT8_S1C_bDpT10_ENKUlT_T0_E_clISt17integral_constantIbLb0EES1P_EEDaS1K_S1L_EUlS1K_E_NS1_11comp_targetILNS1_3genE4ELNS1_11target_archE910ELNS1_3gpuE8ELNS1_3repE0EEENS1_30default_config_static_selectorELNS0_4arch9wavefront6targetE0EEEvSY_.kd
    .uniform_work_group_size: 1
    .uses_dynamic_stack: false
    .vgpr_count:     0
    .vgpr_spill_count: 0
    .wavefront_size: 32
    .workgroup_processor_mode: 1
  - .args:
      - .offset:         0
        .size:           144
        .value_kind:     by_value
    .group_segment_fixed_size: 0
    .kernarg_segment_align: 8
    .kernarg_segment_size: 144
    .language:       OpenCL C
    .language_version:
      - 2
      - 0
    .max_flat_workgroup_size: 256
    .name:           _ZN7rocprim17ROCPRIM_400000_NS6detail17trampoline_kernelINS0_13select_configILj256ELj13ELNS0_17block_load_methodE3ELS4_3ELS4_3ELNS0_20block_scan_algorithmE0ELj4294967295EEENS1_25partition_config_selectorILNS1_17partition_subalgoE3EjNS0_10empty_typeEbEEZZNS1_14partition_implILS8_3ELb0ES6_jNS0_17counting_iteratorIjlEEPS9_SE_NS0_5tupleIJPjSE_EEENSF_IJSE_SE_EEES9_SG_JZNS1_25segmented_radix_sort_implINS0_14default_configELb1EPKfPfPKlPlN2at6native12_GLOBAL__N_18offset_tEEE10hipError_tPvRmT1_PNSt15iterator_traitsISY_E10value_typeET2_T3_PNSZ_IS14_E10value_typeET4_jRbjT5_S1A_jjP12ihipStream_tbEUljE_EEESV_SW_SX_S14_S18_S1A_T6_T7_T9_mT8_S1C_bDpT10_ENKUlT_T0_E_clISt17integral_constantIbLb0EES1P_EEDaS1K_S1L_EUlS1K_E_NS1_11comp_targetILNS1_3genE3ELNS1_11target_archE908ELNS1_3gpuE7ELNS1_3repE0EEENS1_30default_config_static_selectorELNS0_4arch9wavefront6targetE0EEEvSY_
    .private_segment_fixed_size: 0
    .sgpr_count:     0
    .sgpr_spill_count: 0
    .symbol:         _ZN7rocprim17ROCPRIM_400000_NS6detail17trampoline_kernelINS0_13select_configILj256ELj13ELNS0_17block_load_methodE3ELS4_3ELS4_3ELNS0_20block_scan_algorithmE0ELj4294967295EEENS1_25partition_config_selectorILNS1_17partition_subalgoE3EjNS0_10empty_typeEbEEZZNS1_14partition_implILS8_3ELb0ES6_jNS0_17counting_iteratorIjlEEPS9_SE_NS0_5tupleIJPjSE_EEENSF_IJSE_SE_EEES9_SG_JZNS1_25segmented_radix_sort_implINS0_14default_configELb1EPKfPfPKlPlN2at6native12_GLOBAL__N_18offset_tEEE10hipError_tPvRmT1_PNSt15iterator_traitsISY_E10value_typeET2_T3_PNSZ_IS14_E10value_typeET4_jRbjT5_S1A_jjP12ihipStream_tbEUljE_EEESV_SW_SX_S14_S18_S1A_T6_T7_T9_mT8_S1C_bDpT10_ENKUlT_T0_E_clISt17integral_constantIbLb0EES1P_EEDaS1K_S1L_EUlS1K_E_NS1_11comp_targetILNS1_3genE3ELNS1_11target_archE908ELNS1_3gpuE7ELNS1_3repE0EEENS1_30default_config_static_selectorELNS0_4arch9wavefront6targetE0EEEvSY_.kd
    .uniform_work_group_size: 1
    .uses_dynamic_stack: false
    .vgpr_count:     0
    .vgpr_spill_count: 0
    .wavefront_size: 32
    .workgroup_processor_mode: 1
  - .args:
      - .offset:         0
        .size:           144
        .value_kind:     by_value
    .group_segment_fixed_size: 0
    .kernarg_segment_align: 8
    .kernarg_segment_size: 144
    .language:       OpenCL C
    .language_version:
      - 2
      - 0
    .max_flat_workgroup_size: 256
    .name:           _ZN7rocprim17ROCPRIM_400000_NS6detail17trampoline_kernelINS0_13select_configILj256ELj13ELNS0_17block_load_methodE3ELS4_3ELS4_3ELNS0_20block_scan_algorithmE0ELj4294967295EEENS1_25partition_config_selectorILNS1_17partition_subalgoE3EjNS0_10empty_typeEbEEZZNS1_14partition_implILS8_3ELb0ES6_jNS0_17counting_iteratorIjlEEPS9_SE_NS0_5tupleIJPjSE_EEENSF_IJSE_SE_EEES9_SG_JZNS1_25segmented_radix_sort_implINS0_14default_configELb1EPKfPfPKlPlN2at6native12_GLOBAL__N_18offset_tEEE10hipError_tPvRmT1_PNSt15iterator_traitsISY_E10value_typeET2_T3_PNSZ_IS14_E10value_typeET4_jRbjT5_S1A_jjP12ihipStream_tbEUljE_EEESV_SW_SX_S14_S18_S1A_T6_T7_T9_mT8_S1C_bDpT10_ENKUlT_T0_E_clISt17integral_constantIbLb0EES1P_EEDaS1K_S1L_EUlS1K_E_NS1_11comp_targetILNS1_3genE2ELNS1_11target_archE906ELNS1_3gpuE6ELNS1_3repE0EEENS1_30default_config_static_selectorELNS0_4arch9wavefront6targetE0EEEvSY_
    .private_segment_fixed_size: 0
    .sgpr_count:     0
    .sgpr_spill_count: 0
    .symbol:         _ZN7rocprim17ROCPRIM_400000_NS6detail17trampoline_kernelINS0_13select_configILj256ELj13ELNS0_17block_load_methodE3ELS4_3ELS4_3ELNS0_20block_scan_algorithmE0ELj4294967295EEENS1_25partition_config_selectorILNS1_17partition_subalgoE3EjNS0_10empty_typeEbEEZZNS1_14partition_implILS8_3ELb0ES6_jNS0_17counting_iteratorIjlEEPS9_SE_NS0_5tupleIJPjSE_EEENSF_IJSE_SE_EEES9_SG_JZNS1_25segmented_radix_sort_implINS0_14default_configELb1EPKfPfPKlPlN2at6native12_GLOBAL__N_18offset_tEEE10hipError_tPvRmT1_PNSt15iterator_traitsISY_E10value_typeET2_T3_PNSZ_IS14_E10value_typeET4_jRbjT5_S1A_jjP12ihipStream_tbEUljE_EEESV_SW_SX_S14_S18_S1A_T6_T7_T9_mT8_S1C_bDpT10_ENKUlT_T0_E_clISt17integral_constantIbLb0EES1P_EEDaS1K_S1L_EUlS1K_E_NS1_11comp_targetILNS1_3genE2ELNS1_11target_archE906ELNS1_3gpuE6ELNS1_3repE0EEENS1_30default_config_static_selectorELNS0_4arch9wavefront6targetE0EEEvSY_.kd
    .uniform_work_group_size: 1
    .uses_dynamic_stack: false
    .vgpr_count:     0
    .vgpr_spill_count: 0
    .wavefront_size: 32
    .workgroup_processor_mode: 1
  - .args:
      - .offset:         0
        .size:           144
        .value_kind:     by_value
    .group_segment_fixed_size: 0
    .kernarg_segment_align: 8
    .kernarg_segment_size: 144
    .language:       OpenCL C
    .language_version:
      - 2
      - 0
    .max_flat_workgroup_size: 256
    .name:           _ZN7rocprim17ROCPRIM_400000_NS6detail17trampoline_kernelINS0_13select_configILj256ELj13ELNS0_17block_load_methodE3ELS4_3ELS4_3ELNS0_20block_scan_algorithmE0ELj4294967295EEENS1_25partition_config_selectorILNS1_17partition_subalgoE3EjNS0_10empty_typeEbEEZZNS1_14partition_implILS8_3ELb0ES6_jNS0_17counting_iteratorIjlEEPS9_SE_NS0_5tupleIJPjSE_EEENSF_IJSE_SE_EEES9_SG_JZNS1_25segmented_radix_sort_implINS0_14default_configELb1EPKfPfPKlPlN2at6native12_GLOBAL__N_18offset_tEEE10hipError_tPvRmT1_PNSt15iterator_traitsISY_E10value_typeET2_T3_PNSZ_IS14_E10value_typeET4_jRbjT5_S1A_jjP12ihipStream_tbEUljE_EEESV_SW_SX_S14_S18_S1A_T6_T7_T9_mT8_S1C_bDpT10_ENKUlT_T0_E_clISt17integral_constantIbLb0EES1P_EEDaS1K_S1L_EUlS1K_E_NS1_11comp_targetILNS1_3genE10ELNS1_11target_archE1200ELNS1_3gpuE4ELNS1_3repE0EEENS1_30default_config_static_selectorELNS0_4arch9wavefront6targetE0EEEvSY_
    .private_segment_fixed_size: 0
    .sgpr_count:     0
    .sgpr_spill_count: 0
    .symbol:         _ZN7rocprim17ROCPRIM_400000_NS6detail17trampoline_kernelINS0_13select_configILj256ELj13ELNS0_17block_load_methodE3ELS4_3ELS4_3ELNS0_20block_scan_algorithmE0ELj4294967295EEENS1_25partition_config_selectorILNS1_17partition_subalgoE3EjNS0_10empty_typeEbEEZZNS1_14partition_implILS8_3ELb0ES6_jNS0_17counting_iteratorIjlEEPS9_SE_NS0_5tupleIJPjSE_EEENSF_IJSE_SE_EEES9_SG_JZNS1_25segmented_radix_sort_implINS0_14default_configELb1EPKfPfPKlPlN2at6native12_GLOBAL__N_18offset_tEEE10hipError_tPvRmT1_PNSt15iterator_traitsISY_E10value_typeET2_T3_PNSZ_IS14_E10value_typeET4_jRbjT5_S1A_jjP12ihipStream_tbEUljE_EEESV_SW_SX_S14_S18_S1A_T6_T7_T9_mT8_S1C_bDpT10_ENKUlT_T0_E_clISt17integral_constantIbLb0EES1P_EEDaS1K_S1L_EUlS1K_E_NS1_11comp_targetILNS1_3genE10ELNS1_11target_archE1200ELNS1_3gpuE4ELNS1_3repE0EEENS1_30default_config_static_selectorELNS0_4arch9wavefront6targetE0EEEvSY_.kd
    .uniform_work_group_size: 1
    .uses_dynamic_stack: false
    .vgpr_count:     0
    .vgpr_spill_count: 0
    .wavefront_size: 32
    .workgroup_processor_mode: 1
  - .args:
      - .offset:         0
        .size:           144
        .value_kind:     by_value
    .group_segment_fixed_size: 0
    .kernarg_segment_align: 8
    .kernarg_segment_size: 144
    .language:       OpenCL C
    .language_version:
      - 2
      - 0
    .max_flat_workgroup_size: 256
    .name:           _ZN7rocprim17ROCPRIM_400000_NS6detail17trampoline_kernelINS0_13select_configILj256ELj13ELNS0_17block_load_methodE3ELS4_3ELS4_3ELNS0_20block_scan_algorithmE0ELj4294967295EEENS1_25partition_config_selectorILNS1_17partition_subalgoE3EjNS0_10empty_typeEbEEZZNS1_14partition_implILS8_3ELb0ES6_jNS0_17counting_iteratorIjlEEPS9_SE_NS0_5tupleIJPjSE_EEENSF_IJSE_SE_EEES9_SG_JZNS1_25segmented_radix_sort_implINS0_14default_configELb1EPKfPfPKlPlN2at6native12_GLOBAL__N_18offset_tEEE10hipError_tPvRmT1_PNSt15iterator_traitsISY_E10value_typeET2_T3_PNSZ_IS14_E10value_typeET4_jRbjT5_S1A_jjP12ihipStream_tbEUljE_EEESV_SW_SX_S14_S18_S1A_T6_T7_T9_mT8_S1C_bDpT10_ENKUlT_T0_E_clISt17integral_constantIbLb0EES1P_EEDaS1K_S1L_EUlS1K_E_NS1_11comp_targetILNS1_3genE9ELNS1_11target_archE1100ELNS1_3gpuE3ELNS1_3repE0EEENS1_30default_config_static_selectorELNS0_4arch9wavefront6targetE0EEEvSY_
    .private_segment_fixed_size: 0
    .sgpr_count:     0
    .sgpr_spill_count: 0
    .symbol:         _ZN7rocprim17ROCPRIM_400000_NS6detail17trampoline_kernelINS0_13select_configILj256ELj13ELNS0_17block_load_methodE3ELS4_3ELS4_3ELNS0_20block_scan_algorithmE0ELj4294967295EEENS1_25partition_config_selectorILNS1_17partition_subalgoE3EjNS0_10empty_typeEbEEZZNS1_14partition_implILS8_3ELb0ES6_jNS0_17counting_iteratorIjlEEPS9_SE_NS0_5tupleIJPjSE_EEENSF_IJSE_SE_EEES9_SG_JZNS1_25segmented_radix_sort_implINS0_14default_configELb1EPKfPfPKlPlN2at6native12_GLOBAL__N_18offset_tEEE10hipError_tPvRmT1_PNSt15iterator_traitsISY_E10value_typeET2_T3_PNSZ_IS14_E10value_typeET4_jRbjT5_S1A_jjP12ihipStream_tbEUljE_EEESV_SW_SX_S14_S18_S1A_T6_T7_T9_mT8_S1C_bDpT10_ENKUlT_T0_E_clISt17integral_constantIbLb0EES1P_EEDaS1K_S1L_EUlS1K_E_NS1_11comp_targetILNS1_3genE9ELNS1_11target_archE1100ELNS1_3gpuE3ELNS1_3repE0EEENS1_30default_config_static_selectorELNS0_4arch9wavefront6targetE0EEEvSY_.kd
    .uniform_work_group_size: 1
    .uses_dynamic_stack: false
    .vgpr_count:     0
    .vgpr_spill_count: 0
    .wavefront_size: 32
    .workgroup_processor_mode: 1
  - .args:
      - .offset:         0
        .size:           144
        .value_kind:     by_value
    .group_segment_fixed_size: 13320
    .kernarg_segment_align: 8
    .kernarg_segment_size: 144
    .language:       OpenCL C
    .language_version:
      - 2
      - 0
    .max_flat_workgroup_size: 256
    .name:           _ZN7rocprim17ROCPRIM_400000_NS6detail17trampoline_kernelINS0_13select_configILj256ELj13ELNS0_17block_load_methodE3ELS4_3ELS4_3ELNS0_20block_scan_algorithmE0ELj4294967295EEENS1_25partition_config_selectorILNS1_17partition_subalgoE3EjNS0_10empty_typeEbEEZZNS1_14partition_implILS8_3ELb0ES6_jNS0_17counting_iteratorIjlEEPS9_SE_NS0_5tupleIJPjSE_EEENSF_IJSE_SE_EEES9_SG_JZNS1_25segmented_radix_sort_implINS0_14default_configELb1EPKfPfPKlPlN2at6native12_GLOBAL__N_18offset_tEEE10hipError_tPvRmT1_PNSt15iterator_traitsISY_E10value_typeET2_T3_PNSZ_IS14_E10value_typeET4_jRbjT5_S1A_jjP12ihipStream_tbEUljE_EEESV_SW_SX_S14_S18_S1A_T6_T7_T9_mT8_S1C_bDpT10_ENKUlT_T0_E_clISt17integral_constantIbLb0EES1P_EEDaS1K_S1L_EUlS1K_E_NS1_11comp_targetILNS1_3genE8ELNS1_11target_archE1030ELNS1_3gpuE2ELNS1_3repE0EEENS1_30default_config_static_selectorELNS0_4arch9wavefront6targetE0EEEvSY_
    .private_segment_fixed_size: 0
    .sgpr_count:     29
    .sgpr_spill_count: 0
    .symbol:         _ZN7rocprim17ROCPRIM_400000_NS6detail17trampoline_kernelINS0_13select_configILj256ELj13ELNS0_17block_load_methodE3ELS4_3ELS4_3ELNS0_20block_scan_algorithmE0ELj4294967295EEENS1_25partition_config_selectorILNS1_17partition_subalgoE3EjNS0_10empty_typeEbEEZZNS1_14partition_implILS8_3ELb0ES6_jNS0_17counting_iteratorIjlEEPS9_SE_NS0_5tupleIJPjSE_EEENSF_IJSE_SE_EEES9_SG_JZNS1_25segmented_radix_sort_implINS0_14default_configELb1EPKfPfPKlPlN2at6native12_GLOBAL__N_18offset_tEEE10hipError_tPvRmT1_PNSt15iterator_traitsISY_E10value_typeET2_T3_PNSZ_IS14_E10value_typeET4_jRbjT5_S1A_jjP12ihipStream_tbEUljE_EEESV_SW_SX_S14_S18_S1A_T6_T7_T9_mT8_S1C_bDpT10_ENKUlT_T0_E_clISt17integral_constantIbLb0EES1P_EEDaS1K_S1L_EUlS1K_E_NS1_11comp_targetILNS1_3genE8ELNS1_11target_archE1030ELNS1_3gpuE2ELNS1_3repE0EEENS1_30default_config_static_selectorELNS0_4arch9wavefront6targetE0EEEvSY_.kd
    .uniform_work_group_size: 1
    .uses_dynamic_stack: false
    .vgpr_count:     69
    .vgpr_spill_count: 0
    .wavefront_size: 32
    .workgroup_processor_mode: 1
  - .args:
      - .offset:         0
        .size:           152
        .value_kind:     by_value
    .group_segment_fixed_size: 0
    .kernarg_segment_align: 8
    .kernarg_segment_size: 152
    .language:       OpenCL C
    .language_version:
      - 2
      - 0
    .max_flat_workgroup_size: 256
    .name:           _ZN7rocprim17ROCPRIM_400000_NS6detail17trampoline_kernelINS0_13select_configILj256ELj13ELNS0_17block_load_methodE3ELS4_3ELS4_3ELNS0_20block_scan_algorithmE0ELj4294967295EEENS1_25partition_config_selectorILNS1_17partition_subalgoE3EjNS0_10empty_typeEbEEZZNS1_14partition_implILS8_3ELb0ES6_jNS0_17counting_iteratorIjlEEPS9_SE_NS0_5tupleIJPjSE_EEENSF_IJSE_SE_EEES9_SG_JZNS1_25segmented_radix_sort_implINS0_14default_configELb1EPKfPfPKlPlN2at6native12_GLOBAL__N_18offset_tEEE10hipError_tPvRmT1_PNSt15iterator_traitsISY_E10value_typeET2_T3_PNSZ_IS14_E10value_typeET4_jRbjT5_S1A_jjP12ihipStream_tbEUljE_EEESV_SW_SX_S14_S18_S1A_T6_T7_T9_mT8_S1C_bDpT10_ENKUlT_T0_E_clISt17integral_constantIbLb1EES1P_EEDaS1K_S1L_EUlS1K_E_NS1_11comp_targetILNS1_3genE0ELNS1_11target_archE4294967295ELNS1_3gpuE0ELNS1_3repE0EEENS1_30default_config_static_selectorELNS0_4arch9wavefront6targetE0EEEvSY_
    .private_segment_fixed_size: 0
    .sgpr_count:     0
    .sgpr_spill_count: 0
    .symbol:         _ZN7rocprim17ROCPRIM_400000_NS6detail17trampoline_kernelINS0_13select_configILj256ELj13ELNS0_17block_load_methodE3ELS4_3ELS4_3ELNS0_20block_scan_algorithmE0ELj4294967295EEENS1_25partition_config_selectorILNS1_17partition_subalgoE3EjNS0_10empty_typeEbEEZZNS1_14partition_implILS8_3ELb0ES6_jNS0_17counting_iteratorIjlEEPS9_SE_NS0_5tupleIJPjSE_EEENSF_IJSE_SE_EEES9_SG_JZNS1_25segmented_radix_sort_implINS0_14default_configELb1EPKfPfPKlPlN2at6native12_GLOBAL__N_18offset_tEEE10hipError_tPvRmT1_PNSt15iterator_traitsISY_E10value_typeET2_T3_PNSZ_IS14_E10value_typeET4_jRbjT5_S1A_jjP12ihipStream_tbEUljE_EEESV_SW_SX_S14_S18_S1A_T6_T7_T9_mT8_S1C_bDpT10_ENKUlT_T0_E_clISt17integral_constantIbLb1EES1P_EEDaS1K_S1L_EUlS1K_E_NS1_11comp_targetILNS1_3genE0ELNS1_11target_archE4294967295ELNS1_3gpuE0ELNS1_3repE0EEENS1_30default_config_static_selectorELNS0_4arch9wavefront6targetE0EEEvSY_.kd
    .uniform_work_group_size: 1
    .uses_dynamic_stack: false
    .vgpr_count:     0
    .vgpr_spill_count: 0
    .wavefront_size: 32
    .workgroup_processor_mode: 1
  - .args:
      - .offset:         0
        .size:           152
        .value_kind:     by_value
    .group_segment_fixed_size: 0
    .kernarg_segment_align: 8
    .kernarg_segment_size: 152
    .language:       OpenCL C
    .language_version:
      - 2
      - 0
    .max_flat_workgroup_size: 256
    .name:           _ZN7rocprim17ROCPRIM_400000_NS6detail17trampoline_kernelINS0_13select_configILj256ELj13ELNS0_17block_load_methodE3ELS4_3ELS4_3ELNS0_20block_scan_algorithmE0ELj4294967295EEENS1_25partition_config_selectorILNS1_17partition_subalgoE3EjNS0_10empty_typeEbEEZZNS1_14partition_implILS8_3ELb0ES6_jNS0_17counting_iteratorIjlEEPS9_SE_NS0_5tupleIJPjSE_EEENSF_IJSE_SE_EEES9_SG_JZNS1_25segmented_radix_sort_implINS0_14default_configELb1EPKfPfPKlPlN2at6native12_GLOBAL__N_18offset_tEEE10hipError_tPvRmT1_PNSt15iterator_traitsISY_E10value_typeET2_T3_PNSZ_IS14_E10value_typeET4_jRbjT5_S1A_jjP12ihipStream_tbEUljE_EEESV_SW_SX_S14_S18_S1A_T6_T7_T9_mT8_S1C_bDpT10_ENKUlT_T0_E_clISt17integral_constantIbLb1EES1P_EEDaS1K_S1L_EUlS1K_E_NS1_11comp_targetILNS1_3genE5ELNS1_11target_archE942ELNS1_3gpuE9ELNS1_3repE0EEENS1_30default_config_static_selectorELNS0_4arch9wavefront6targetE0EEEvSY_
    .private_segment_fixed_size: 0
    .sgpr_count:     0
    .sgpr_spill_count: 0
    .symbol:         _ZN7rocprim17ROCPRIM_400000_NS6detail17trampoline_kernelINS0_13select_configILj256ELj13ELNS0_17block_load_methodE3ELS4_3ELS4_3ELNS0_20block_scan_algorithmE0ELj4294967295EEENS1_25partition_config_selectorILNS1_17partition_subalgoE3EjNS0_10empty_typeEbEEZZNS1_14partition_implILS8_3ELb0ES6_jNS0_17counting_iteratorIjlEEPS9_SE_NS0_5tupleIJPjSE_EEENSF_IJSE_SE_EEES9_SG_JZNS1_25segmented_radix_sort_implINS0_14default_configELb1EPKfPfPKlPlN2at6native12_GLOBAL__N_18offset_tEEE10hipError_tPvRmT1_PNSt15iterator_traitsISY_E10value_typeET2_T3_PNSZ_IS14_E10value_typeET4_jRbjT5_S1A_jjP12ihipStream_tbEUljE_EEESV_SW_SX_S14_S18_S1A_T6_T7_T9_mT8_S1C_bDpT10_ENKUlT_T0_E_clISt17integral_constantIbLb1EES1P_EEDaS1K_S1L_EUlS1K_E_NS1_11comp_targetILNS1_3genE5ELNS1_11target_archE942ELNS1_3gpuE9ELNS1_3repE0EEENS1_30default_config_static_selectorELNS0_4arch9wavefront6targetE0EEEvSY_.kd
    .uniform_work_group_size: 1
    .uses_dynamic_stack: false
    .vgpr_count:     0
    .vgpr_spill_count: 0
    .wavefront_size: 32
    .workgroup_processor_mode: 1
  - .args:
      - .offset:         0
        .size:           152
        .value_kind:     by_value
    .group_segment_fixed_size: 0
    .kernarg_segment_align: 8
    .kernarg_segment_size: 152
    .language:       OpenCL C
    .language_version:
      - 2
      - 0
    .max_flat_workgroup_size: 256
    .name:           _ZN7rocprim17ROCPRIM_400000_NS6detail17trampoline_kernelINS0_13select_configILj256ELj13ELNS0_17block_load_methodE3ELS4_3ELS4_3ELNS0_20block_scan_algorithmE0ELj4294967295EEENS1_25partition_config_selectorILNS1_17partition_subalgoE3EjNS0_10empty_typeEbEEZZNS1_14partition_implILS8_3ELb0ES6_jNS0_17counting_iteratorIjlEEPS9_SE_NS0_5tupleIJPjSE_EEENSF_IJSE_SE_EEES9_SG_JZNS1_25segmented_radix_sort_implINS0_14default_configELb1EPKfPfPKlPlN2at6native12_GLOBAL__N_18offset_tEEE10hipError_tPvRmT1_PNSt15iterator_traitsISY_E10value_typeET2_T3_PNSZ_IS14_E10value_typeET4_jRbjT5_S1A_jjP12ihipStream_tbEUljE_EEESV_SW_SX_S14_S18_S1A_T6_T7_T9_mT8_S1C_bDpT10_ENKUlT_T0_E_clISt17integral_constantIbLb1EES1P_EEDaS1K_S1L_EUlS1K_E_NS1_11comp_targetILNS1_3genE4ELNS1_11target_archE910ELNS1_3gpuE8ELNS1_3repE0EEENS1_30default_config_static_selectorELNS0_4arch9wavefront6targetE0EEEvSY_
    .private_segment_fixed_size: 0
    .sgpr_count:     0
    .sgpr_spill_count: 0
    .symbol:         _ZN7rocprim17ROCPRIM_400000_NS6detail17trampoline_kernelINS0_13select_configILj256ELj13ELNS0_17block_load_methodE3ELS4_3ELS4_3ELNS0_20block_scan_algorithmE0ELj4294967295EEENS1_25partition_config_selectorILNS1_17partition_subalgoE3EjNS0_10empty_typeEbEEZZNS1_14partition_implILS8_3ELb0ES6_jNS0_17counting_iteratorIjlEEPS9_SE_NS0_5tupleIJPjSE_EEENSF_IJSE_SE_EEES9_SG_JZNS1_25segmented_radix_sort_implINS0_14default_configELb1EPKfPfPKlPlN2at6native12_GLOBAL__N_18offset_tEEE10hipError_tPvRmT1_PNSt15iterator_traitsISY_E10value_typeET2_T3_PNSZ_IS14_E10value_typeET4_jRbjT5_S1A_jjP12ihipStream_tbEUljE_EEESV_SW_SX_S14_S18_S1A_T6_T7_T9_mT8_S1C_bDpT10_ENKUlT_T0_E_clISt17integral_constantIbLb1EES1P_EEDaS1K_S1L_EUlS1K_E_NS1_11comp_targetILNS1_3genE4ELNS1_11target_archE910ELNS1_3gpuE8ELNS1_3repE0EEENS1_30default_config_static_selectorELNS0_4arch9wavefront6targetE0EEEvSY_.kd
    .uniform_work_group_size: 1
    .uses_dynamic_stack: false
    .vgpr_count:     0
    .vgpr_spill_count: 0
    .wavefront_size: 32
    .workgroup_processor_mode: 1
  - .args:
      - .offset:         0
        .size:           152
        .value_kind:     by_value
    .group_segment_fixed_size: 0
    .kernarg_segment_align: 8
    .kernarg_segment_size: 152
    .language:       OpenCL C
    .language_version:
      - 2
      - 0
    .max_flat_workgroup_size: 256
    .name:           _ZN7rocprim17ROCPRIM_400000_NS6detail17trampoline_kernelINS0_13select_configILj256ELj13ELNS0_17block_load_methodE3ELS4_3ELS4_3ELNS0_20block_scan_algorithmE0ELj4294967295EEENS1_25partition_config_selectorILNS1_17partition_subalgoE3EjNS0_10empty_typeEbEEZZNS1_14partition_implILS8_3ELb0ES6_jNS0_17counting_iteratorIjlEEPS9_SE_NS0_5tupleIJPjSE_EEENSF_IJSE_SE_EEES9_SG_JZNS1_25segmented_radix_sort_implINS0_14default_configELb1EPKfPfPKlPlN2at6native12_GLOBAL__N_18offset_tEEE10hipError_tPvRmT1_PNSt15iterator_traitsISY_E10value_typeET2_T3_PNSZ_IS14_E10value_typeET4_jRbjT5_S1A_jjP12ihipStream_tbEUljE_EEESV_SW_SX_S14_S18_S1A_T6_T7_T9_mT8_S1C_bDpT10_ENKUlT_T0_E_clISt17integral_constantIbLb1EES1P_EEDaS1K_S1L_EUlS1K_E_NS1_11comp_targetILNS1_3genE3ELNS1_11target_archE908ELNS1_3gpuE7ELNS1_3repE0EEENS1_30default_config_static_selectorELNS0_4arch9wavefront6targetE0EEEvSY_
    .private_segment_fixed_size: 0
    .sgpr_count:     0
    .sgpr_spill_count: 0
    .symbol:         _ZN7rocprim17ROCPRIM_400000_NS6detail17trampoline_kernelINS0_13select_configILj256ELj13ELNS0_17block_load_methodE3ELS4_3ELS4_3ELNS0_20block_scan_algorithmE0ELj4294967295EEENS1_25partition_config_selectorILNS1_17partition_subalgoE3EjNS0_10empty_typeEbEEZZNS1_14partition_implILS8_3ELb0ES6_jNS0_17counting_iteratorIjlEEPS9_SE_NS0_5tupleIJPjSE_EEENSF_IJSE_SE_EEES9_SG_JZNS1_25segmented_radix_sort_implINS0_14default_configELb1EPKfPfPKlPlN2at6native12_GLOBAL__N_18offset_tEEE10hipError_tPvRmT1_PNSt15iterator_traitsISY_E10value_typeET2_T3_PNSZ_IS14_E10value_typeET4_jRbjT5_S1A_jjP12ihipStream_tbEUljE_EEESV_SW_SX_S14_S18_S1A_T6_T7_T9_mT8_S1C_bDpT10_ENKUlT_T0_E_clISt17integral_constantIbLb1EES1P_EEDaS1K_S1L_EUlS1K_E_NS1_11comp_targetILNS1_3genE3ELNS1_11target_archE908ELNS1_3gpuE7ELNS1_3repE0EEENS1_30default_config_static_selectorELNS0_4arch9wavefront6targetE0EEEvSY_.kd
    .uniform_work_group_size: 1
    .uses_dynamic_stack: false
    .vgpr_count:     0
    .vgpr_spill_count: 0
    .wavefront_size: 32
    .workgroup_processor_mode: 1
  - .args:
      - .offset:         0
        .size:           152
        .value_kind:     by_value
    .group_segment_fixed_size: 0
    .kernarg_segment_align: 8
    .kernarg_segment_size: 152
    .language:       OpenCL C
    .language_version:
      - 2
      - 0
    .max_flat_workgroup_size: 256
    .name:           _ZN7rocprim17ROCPRIM_400000_NS6detail17trampoline_kernelINS0_13select_configILj256ELj13ELNS0_17block_load_methodE3ELS4_3ELS4_3ELNS0_20block_scan_algorithmE0ELj4294967295EEENS1_25partition_config_selectorILNS1_17partition_subalgoE3EjNS0_10empty_typeEbEEZZNS1_14partition_implILS8_3ELb0ES6_jNS0_17counting_iteratorIjlEEPS9_SE_NS0_5tupleIJPjSE_EEENSF_IJSE_SE_EEES9_SG_JZNS1_25segmented_radix_sort_implINS0_14default_configELb1EPKfPfPKlPlN2at6native12_GLOBAL__N_18offset_tEEE10hipError_tPvRmT1_PNSt15iterator_traitsISY_E10value_typeET2_T3_PNSZ_IS14_E10value_typeET4_jRbjT5_S1A_jjP12ihipStream_tbEUljE_EEESV_SW_SX_S14_S18_S1A_T6_T7_T9_mT8_S1C_bDpT10_ENKUlT_T0_E_clISt17integral_constantIbLb1EES1P_EEDaS1K_S1L_EUlS1K_E_NS1_11comp_targetILNS1_3genE2ELNS1_11target_archE906ELNS1_3gpuE6ELNS1_3repE0EEENS1_30default_config_static_selectorELNS0_4arch9wavefront6targetE0EEEvSY_
    .private_segment_fixed_size: 0
    .sgpr_count:     0
    .sgpr_spill_count: 0
    .symbol:         _ZN7rocprim17ROCPRIM_400000_NS6detail17trampoline_kernelINS0_13select_configILj256ELj13ELNS0_17block_load_methodE3ELS4_3ELS4_3ELNS0_20block_scan_algorithmE0ELj4294967295EEENS1_25partition_config_selectorILNS1_17partition_subalgoE3EjNS0_10empty_typeEbEEZZNS1_14partition_implILS8_3ELb0ES6_jNS0_17counting_iteratorIjlEEPS9_SE_NS0_5tupleIJPjSE_EEENSF_IJSE_SE_EEES9_SG_JZNS1_25segmented_radix_sort_implINS0_14default_configELb1EPKfPfPKlPlN2at6native12_GLOBAL__N_18offset_tEEE10hipError_tPvRmT1_PNSt15iterator_traitsISY_E10value_typeET2_T3_PNSZ_IS14_E10value_typeET4_jRbjT5_S1A_jjP12ihipStream_tbEUljE_EEESV_SW_SX_S14_S18_S1A_T6_T7_T9_mT8_S1C_bDpT10_ENKUlT_T0_E_clISt17integral_constantIbLb1EES1P_EEDaS1K_S1L_EUlS1K_E_NS1_11comp_targetILNS1_3genE2ELNS1_11target_archE906ELNS1_3gpuE6ELNS1_3repE0EEENS1_30default_config_static_selectorELNS0_4arch9wavefront6targetE0EEEvSY_.kd
    .uniform_work_group_size: 1
    .uses_dynamic_stack: false
    .vgpr_count:     0
    .vgpr_spill_count: 0
    .wavefront_size: 32
    .workgroup_processor_mode: 1
  - .args:
      - .offset:         0
        .size:           152
        .value_kind:     by_value
    .group_segment_fixed_size: 0
    .kernarg_segment_align: 8
    .kernarg_segment_size: 152
    .language:       OpenCL C
    .language_version:
      - 2
      - 0
    .max_flat_workgroup_size: 256
    .name:           _ZN7rocprim17ROCPRIM_400000_NS6detail17trampoline_kernelINS0_13select_configILj256ELj13ELNS0_17block_load_methodE3ELS4_3ELS4_3ELNS0_20block_scan_algorithmE0ELj4294967295EEENS1_25partition_config_selectorILNS1_17partition_subalgoE3EjNS0_10empty_typeEbEEZZNS1_14partition_implILS8_3ELb0ES6_jNS0_17counting_iteratorIjlEEPS9_SE_NS0_5tupleIJPjSE_EEENSF_IJSE_SE_EEES9_SG_JZNS1_25segmented_radix_sort_implINS0_14default_configELb1EPKfPfPKlPlN2at6native12_GLOBAL__N_18offset_tEEE10hipError_tPvRmT1_PNSt15iterator_traitsISY_E10value_typeET2_T3_PNSZ_IS14_E10value_typeET4_jRbjT5_S1A_jjP12ihipStream_tbEUljE_EEESV_SW_SX_S14_S18_S1A_T6_T7_T9_mT8_S1C_bDpT10_ENKUlT_T0_E_clISt17integral_constantIbLb1EES1P_EEDaS1K_S1L_EUlS1K_E_NS1_11comp_targetILNS1_3genE10ELNS1_11target_archE1200ELNS1_3gpuE4ELNS1_3repE0EEENS1_30default_config_static_selectorELNS0_4arch9wavefront6targetE0EEEvSY_
    .private_segment_fixed_size: 0
    .sgpr_count:     0
    .sgpr_spill_count: 0
    .symbol:         _ZN7rocprim17ROCPRIM_400000_NS6detail17trampoline_kernelINS0_13select_configILj256ELj13ELNS0_17block_load_methodE3ELS4_3ELS4_3ELNS0_20block_scan_algorithmE0ELj4294967295EEENS1_25partition_config_selectorILNS1_17partition_subalgoE3EjNS0_10empty_typeEbEEZZNS1_14partition_implILS8_3ELb0ES6_jNS0_17counting_iteratorIjlEEPS9_SE_NS0_5tupleIJPjSE_EEENSF_IJSE_SE_EEES9_SG_JZNS1_25segmented_radix_sort_implINS0_14default_configELb1EPKfPfPKlPlN2at6native12_GLOBAL__N_18offset_tEEE10hipError_tPvRmT1_PNSt15iterator_traitsISY_E10value_typeET2_T3_PNSZ_IS14_E10value_typeET4_jRbjT5_S1A_jjP12ihipStream_tbEUljE_EEESV_SW_SX_S14_S18_S1A_T6_T7_T9_mT8_S1C_bDpT10_ENKUlT_T0_E_clISt17integral_constantIbLb1EES1P_EEDaS1K_S1L_EUlS1K_E_NS1_11comp_targetILNS1_3genE10ELNS1_11target_archE1200ELNS1_3gpuE4ELNS1_3repE0EEENS1_30default_config_static_selectorELNS0_4arch9wavefront6targetE0EEEvSY_.kd
    .uniform_work_group_size: 1
    .uses_dynamic_stack: false
    .vgpr_count:     0
    .vgpr_spill_count: 0
    .wavefront_size: 32
    .workgroup_processor_mode: 1
  - .args:
      - .offset:         0
        .size:           152
        .value_kind:     by_value
    .group_segment_fixed_size: 0
    .kernarg_segment_align: 8
    .kernarg_segment_size: 152
    .language:       OpenCL C
    .language_version:
      - 2
      - 0
    .max_flat_workgroup_size: 256
    .name:           _ZN7rocprim17ROCPRIM_400000_NS6detail17trampoline_kernelINS0_13select_configILj256ELj13ELNS0_17block_load_methodE3ELS4_3ELS4_3ELNS0_20block_scan_algorithmE0ELj4294967295EEENS1_25partition_config_selectorILNS1_17partition_subalgoE3EjNS0_10empty_typeEbEEZZNS1_14partition_implILS8_3ELb0ES6_jNS0_17counting_iteratorIjlEEPS9_SE_NS0_5tupleIJPjSE_EEENSF_IJSE_SE_EEES9_SG_JZNS1_25segmented_radix_sort_implINS0_14default_configELb1EPKfPfPKlPlN2at6native12_GLOBAL__N_18offset_tEEE10hipError_tPvRmT1_PNSt15iterator_traitsISY_E10value_typeET2_T3_PNSZ_IS14_E10value_typeET4_jRbjT5_S1A_jjP12ihipStream_tbEUljE_EEESV_SW_SX_S14_S18_S1A_T6_T7_T9_mT8_S1C_bDpT10_ENKUlT_T0_E_clISt17integral_constantIbLb1EES1P_EEDaS1K_S1L_EUlS1K_E_NS1_11comp_targetILNS1_3genE9ELNS1_11target_archE1100ELNS1_3gpuE3ELNS1_3repE0EEENS1_30default_config_static_selectorELNS0_4arch9wavefront6targetE0EEEvSY_
    .private_segment_fixed_size: 0
    .sgpr_count:     0
    .sgpr_spill_count: 0
    .symbol:         _ZN7rocprim17ROCPRIM_400000_NS6detail17trampoline_kernelINS0_13select_configILj256ELj13ELNS0_17block_load_methodE3ELS4_3ELS4_3ELNS0_20block_scan_algorithmE0ELj4294967295EEENS1_25partition_config_selectorILNS1_17partition_subalgoE3EjNS0_10empty_typeEbEEZZNS1_14partition_implILS8_3ELb0ES6_jNS0_17counting_iteratorIjlEEPS9_SE_NS0_5tupleIJPjSE_EEENSF_IJSE_SE_EEES9_SG_JZNS1_25segmented_radix_sort_implINS0_14default_configELb1EPKfPfPKlPlN2at6native12_GLOBAL__N_18offset_tEEE10hipError_tPvRmT1_PNSt15iterator_traitsISY_E10value_typeET2_T3_PNSZ_IS14_E10value_typeET4_jRbjT5_S1A_jjP12ihipStream_tbEUljE_EEESV_SW_SX_S14_S18_S1A_T6_T7_T9_mT8_S1C_bDpT10_ENKUlT_T0_E_clISt17integral_constantIbLb1EES1P_EEDaS1K_S1L_EUlS1K_E_NS1_11comp_targetILNS1_3genE9ELNS1_11target_archE1100ELNS1_3gpuE3ELNS1_3repE0EEENS1_30default_config_static_selectorELNS0_4arch9wavefront6targetE0EEEvSY_.kd
    .uniform_work_group_size: 1
    .uses_dynamic_stack: false
    .vgpr_count:     0
    .vgpr_spill_count: 0
    .wavefront_size: 32
    .workgroup_processor_mode: 1
  - .args:
      - .offset:         0
        .size:           152
        .value_kind:     by_value
    .group_segment_fixed_size: 0
    .kernarg_segment_align: 8
    .kernarg_segment_size: 152
    .language:       OpenCL C
    .language_version:
      - 2
      - 0
    .max_flat_workgroup_size: 256
    .name:           _ZN7rocprim17ROCPRIM_400000_NS6detail17trampoline_kernelINS0_13select_configILj256ELj13ELNS0_17block_load_methodE3ELS4_3ELS4_3ELNS0_20block_scan_algorithmE0ELj4294967295EEENS1_25partition_config_selectorILNS1_17partition_subalgoE3EjNS0_10empty_typeEbEEZZNS1_14partition_implILS8_3ELb0ES6_jNS0_17counting_iteratorIjlEEPS9_SE_NS0_5tupleIJPjSE_EEENSF_IJSE_SE_EEES9_SG_JZNS1_25segmented_radix_sort_implINS0_14default_configELb1EPKfPfPKlPlN2at6native12_GLOBAL__N_18offset_tEEE10hipError_tPvRmT1_PNSt15iterator_traitsISY_E10value_typeET2_T3_PNSZ_IS14_E10value_typeET4_jRbjT5_S1A_jjP12ihipStream_tbEUljE_EEESV_SW_SX_S14_S18_S1A_T6_T7_T9_mT8_S1C_bDpT10_ENKUlT_T0_E_clISt17integral_constantIbLb1EES1P_EEDaS1K_S1L_EUlS1K_E_NS1_11comp_targetILNS1_3genE8ELNS1_11target_archE1030ELNS1_3gpuE2ELNS1_3repE0EEENS1_30default_config_static_selectorELNS0_4arch9wavefront6targetE0EEEvSY_
    .private_segment_fixed_size: 0
    .sgpr_count:     0
    .sgpr_spill_count: 0
    .symbol:         _ZN7rocprim17ROCPRIM_400000_NS6detail17trampoline_kernelINS0_13select_configILj256ELj13ELNS0_17block_load_methodE3ELS4_3ELS4_3ELNS0_20block_scan_algorithmE0ELj4294967295EEENS1_25partition_config_selectorILNS1_17partition_subalgoE3EjNS0_10empty_typeEbEEZZNS1_14partition_implILS8_3ELb0ES6_jNS0_17counting_iteratorIjlEEPS9_SE_NS0_5tupleIJPjSE_EEENSF_IJSE_SE_EEES9_SG_JZNS1_25segmented_radix_sort_implINS0_14default_configELb1EPKfPfPKlPlN2at6native12_GLOBAL__N_18offset_tEEE10hipError_tPvRmT1_PNSt15iterator_traitsISY_E10value_typeET2_T3_PNSZ_IS14_E10value_typeET4_jRbjT5_S1A_jjP12ihipStream_tbEUljE_EEESV_SW_SX_S14_S18_S1A_T6_T7_T9_mT8_S1C_bDpT10_ENKUlT_T0_E_clISt17integral_constantIbLb1EES1P_EEDaS1K_S1L_EUlS1K_E_NS1_11comp_targetILNS1_3genE8ELNS1_11target_archE1030ELNS1_3gpuE2ELNS1_3repE0EEENS1_30default_config_static_selectorELNS0_4arch9wavefront6targetE0EEEvSY_.kd
    .uniform_work_group_size: 1
    .uses_dynamic_stack: false
    .vgpr_count:     0
    .vgpr_spill_count: 0
    .wavefront_size: 32
    .workgroup_processor_mode: 1
  - .args:
      - .offset:         0
        .size:           144
        .value_kind:     by_value
    .group_segment_fixed_size: 0
    .kernarg_segment_align: 8
    .kernarg_segment_size: 144
    .language:       OpenCL C
    .language_version:
      - 2
      - 0
    .max_flat_workgroup_size: 256
    .name:           _ZN7rocprim17ROCPRIM_400000_NS6detail17trampoline_kernelINS0_13select_configILj256ELj13ELNS0_17block_load_methodE3ELS4_3ELS4_3ELNS0_20block_scan_algorithmE0ELj4294967295EEENS1_25partition_config_selectorILNS1_17partition_subalgoE3EjNS0_10empty_typeEbEEZZNS1_14partition_implILS8_3ELb0ES6_jNS0_17counting_iteratorIjlEEPS9_SE_NS0_5tupleIJPjSE_EEENSF_IJSE_SE_EEES9_SG_JZNS1_25segmented_radix_sort_implINS0_14default_configELb1EPKfPfPKlPlN2at6native12_GLOBAL__N_18offset_tEEE10hipError_tPvRmT1_PNSt15iterator_traitsISY_E10value_typeET2_T3_PNSZ_IS14_E10value_typeET4_jRbjT5_S1A_jjP12ihipStream_tbEUljE_EEESV_SW_SX_S14_S18_S1A_T6_T7_T9_mT8_S1C_bDpT10_ENKUlT_T0_E_clISt17integral_constantIbLb1EES1O_IbLb0EEEEDaS1K_S1L_EUlS1K_E_NS1_11comp_targetILNS1_3genE0ELNS1_11target_archE4294967295ELNS1_3gpuE0ELNS1_3repE0EEENS1_30default_config_static_selectorELNS0_4arch9wavefront6targetE0EEEvSY_
    .private_segment_fixed_size: 0
    .sgpr_count:     0
    .sgpr_spill_count: 0
    .symbol:         _ZN7rocprim17ROCPRIM_400000_NS6detail17trampoline_kernelINS0_13select_configILj256ELj13ELNS0_17block_load_methodE3ELS4_3ELS4_3ELNS0_20block_scan_algorithmE0ELj4294967295EEENS1_25partition_config_selectorILNS1_17partition_subalgoE3EjNS0_10empty_typeEbEEZZNS1_14partition_implILS8_3ELb0ES6_jNS0_17counting_iteratorIjlEEPS9_SE_NS0_5tupleIJPjSE_EEENSF_IJSE_SE_EEES9_SG_JZNS1_25segmented_radix_sort_implINS0_14default_configELb1EPKfPfPKlPlN2at6native12_GLOBAL__N_18offset_tEEE10hipError_tPvRmT1_PNSt15iterator_traitsISY_E10value_typeET2_T3_PNSZ_IS14_E10value_typeET4_jRbjT5_S1A_jjP12ihipStream_tbEUljE_EEESV_SW_SX_S14_S18_S1A_T6_T7_T9_mT8_S1C_bDpT10_ENKUlT_T0_E_clISt17integral_constantIbLb1EES1O_IbLb0EEEEDaS1K_S1L_EUlS1K_E_NS1_11comp_targetILNS1_3genE0ELNS1_11target_archE4294967295ELNS1_3gpuE0ELNS1_3repE0EEENS1_30default_config_static_selectorELNS0_4arch9wavefront6targetE0EEEvSY_.kd
    .uniform_work_group_size: 1
    .uses_dynamic_stack: false
    .vgpr_count:     0
    .vgpr_spill_count: 0
    .wavefront_size: 32
    .workgroup_processor_mode: 1
  - .args:
      - .offset:         0
        .size:           144
        .value_kind:     by_value
    .group_segment_fixed_size: 0
    .kernarg_segment_align: 8
    .kernarg_segment_size: 144
    .language:       OpenCL C
    .language_version:
      - 2
      - 0
    .max_flat_workgroup_size: 256
    .name:           _ZN7rocprim17ROCPRIM_400000_NS6detail17trampoline_kernelINS0_13select_configILj256ELj13ELNS0_17block_load_methodE3ELS4_3ELS4_3ELNS0_20block_scan_algorithmE0ELj4294967295EEENS1_25partition_config_selectorILNS1_17partition_subalgoE3EjNS0_10empty_typeEbEEZZNS1_14partition_implILS8_3ELb0ES6_jNS0_17counting_iteratorIjlEEPS9_SE_NS0_5tupleIJPjSE_EEENSF_IJSE_SE_EEES9_SG_JZNS1_25segmented_radix_sort_implINS0_14default_configELb1EPKfPfPKlPlN2at6native12_GLOBAL__N_18offset_tEEE10hipError_tPvRmT1_PNSt15iterator_traitsISY_E10value_typeET2_T3_PNSZ_IS14_E10value_typeET4_jRbjT5_S1A_jjP12ihipStream_tbEUljE_EEESV_SW_SX_S14_S18_S1A_T6_T7_T9_mT8_S1C_bDpT10_ENKUlT_T0_E_clISt17integral_constantIbLb1EES1O_IbLb0EEEEDaS1K_S1L_EUlS1K_E_NS1_11comp_targetILNS1_3genE5ELNS1_11target_archE942ELNS1_3gpuE9ELNS1_3repE0EEENS1_30default_config_static_selectorELNS0_4arch9wavefront6targetE0EEEvSY_
    .private_segment_fixed_size: 0
    .sgpr_count:     0
    .sgpr_spill_count: 0
    .symbol:         _ZN7rocprim17ROCPRIM_400000_NS6detail17trampoline_kernelINS0_13select_configILj256ELj13ELNS0_17block_load_methodE3ELS4_3ELS4_3ELNS0_20block_scan_algorithmE0ELj4294967295EEENS1_25partition_config_selectorILNS1_17partition_subalgoE3EjNS0_10empty_typeEbEEZZNS1_14partition_implILS8_3ELb0ES6_jNS0_17counting_iteratorIjlEEPS9_SE_NS0_5tupleIJPjSE_EEENSF_IJSE_SE_EEES9_SG_JZNS1_25segmented_radix_sort_implINS0_14default_configELb1EPKfPfPKlPlN2at6native12_GLOBAL__N_18offset_tEEE10hipError_tPvRmT1_PNSt15iterator_traitsISY_E10value_typeET2_T3_PNSZ_IS14_E10value_typeET4_jRbjT5_S1A_jjP12ihipStream_tbEUljE_EEESV_SW_SX_S14_S18_S1A_T6_T7_T9_mT8_S1C_bDpT10_ENKUlT_T0_E_clISt17integral_constantIbLb1EES1O_IbLb0EEEEDaS1K_S1L_EUlS1K_E_NS1_11comp_targetILNS1_3genE5ELNS1_11target_archE942ELNS1_3gpuE9ELNS1_3repE0EEENS1_30default_config_static_selectorELNS0_4arch9wavefront6targetE0EEEvSY_.kd
    .uniform_work_group_size: 1
    .uses_dynamic_stack: false
    .vgpr_count:     0
    .vgpr_spill_count: 0
    .wavefront_size: 32
    .workgroup_processor_mode: 1
  - .args:
      - .offset:         0
        .size:           144
        .value_kind:     by_value
    .group_segment_fixed_size: 0
    .kernarg_segment_align: 8
    .kernarg_segment_size: 144
    .language:       OpenCL C
    .language_version:
      - 2
      - 0
    .max_flat_workgroup_size: 256
    .name:           _ZN7rocprim17ROCPRIM_400000_NS6detail17trampoline_kernelINS0_13select_configILj256ELj13ELNS0_17block_load_methodE3ELS4_3ELS4_3ELNS0_20block_scan_algorithmE0ELj4294967295EEENS1_25partition_config_selectorILNS1_17partition_subalgoE3EjNS0_10empty_typeEbEEZZNS1_14partition_implILS8_3ELb0ES6_jNS0_17counting_iteratorIjlEEPS9_SE_NS0_5tupleIJPjSE_EEENSF_IJSE_SE_EEES9_SG_JZNS1_25segmented_radix_sort_implINS0_14default_configELb1EPKfPfPKlPlN2at6native12_GLOBAL__N_18offset_tEEE10hipError_tPvRmT1_PNSt15iterator_traitsISY_E10value_typeET2_T3_PNSZ_IS14_E10value_typeET4_jRbjT5_S1A_jjP12ihipStream_tbEUljE_EEESV_SW_SX_S14_S18_S1A_T6_T7_T9_mT8_S1C_bDpT10_ENKUlT_T0_E_clISt17integral_constantIbLb1EES1O_IbLb0EEEEDaS1K_S1L_EUlS1K_E_NS1_11comp_targetILNS1_3genE4ELNS1_11target_archE910ELNS1_3gpuE8ELNS1_3repE0EEENS1_30default_config_static_selectorELNS0_4arch9wavefront6targetE0EEEvSY_
    .private_segment_fixed_size: 0
    .sgpr_count:     0
    .sgpr_spill_count: 0
    .symbol:         _ZN7rocprim17ROCPRIM_400000_NS6detail17trampoline_kernelINS0_13select_configILj256ELj13ELNS0_17block_load_methodE3ELS4_3ELS4_3ELNS0_20block_scan_algorithmE0ELj4294967295EEENS1_25partition_config_selectorILNS1_17partition_subalgoE3EjNS0_10empty_typeEbEEZZNS1_14partition_implILS8_3ELb0ES6_jNS0_17counting_iteratorIjlEEPS9_SE_NS0_5tupleIJPjSE_EEENSF_IJSE_SE_EEES9_SG_JZNS1_25segmented_radix_sort_implINS0_14default_configELb1EPKfPfPKlPlN2at6native12_GLOBAL__N_18offset_tEEE10hipError_tPvRmT1_PNSt15iterator_traitsISY_E10value_typeET2_T3_PNSZ_IS14_E10value_typeET4_jRbjT5_S1A_jjP12ihipStream_tbEUljE_EEESV_SW_SX_S14_S18_S1A_T6_T7_T9_mT8_S1C_bDpT10_ENKUlT_T0_E_clISt17integral_constantIbLb1EES1O_IbLb0EEEEDaS1K_S1L_EUlS1K_E_NS1_11comp_targetILNS1_3genE4ELNS1_11target_archE910ELNS1_3gpuE8ELNS1_3repE0EEENS1_30default_config_static_selectorELNS0_4arch9wavefront6targetE0EEEvSY_.kd
    .uniform_work_group_size: 1
    .uses_dynamic_stack: false
    .vgpr_count:     0
    .vgpr_spill_count: 0
    .wavefront_size: 32
    .workgroup_processor_mode: 1
  - .args:
      - .offset:         0
        .size:           144
        .value_kind:     by_value
    .group_segment_fixed_size: 0
    .kernarg_segment_align: 8
    .kernarg_segment_size: 144
    .language:       OpenCL C
    .language_version:
      - 2
      - 0
    .max_flat_workgroup_size: 256
    .name:           _ZN7rocprim17ROCPRIM_400000_NS6detail17trampoline_kernelINS0_13select_configILj256ELj13ELNS0_17block_load_methodE3ELS4_3ELS4_3ELNS0_20block_scan_algorithmE0ELj4294967295EEENS1_25partition_config_selectorILNS1_17partition_subalgoE3EjNS0_10empty_typeEbEEZZNS1_14partition_implILS8_3ELb0ES6_jNS0_17counting_iteratorIjlEEPS9_SE_NS0_5tupleIJPjSE_EEENSF_IJSE_SE_EEES9_SG_JZNS1_25segmented_radix_sort_implINS0_14default_configELb1EPKfPfPKlPlN2at6native12_GLOBAL__N_18offset_tEEE10hipError_tPvRmT1_PNSt15iterator_traitsISY_E10value_typeET2_T3_PNSZ_IS14_E10value_typeET4_jRbjT5_S1A_jjP12ihipStream_tbEUljE_EEESV_SW_SX_S14_S18_S1A_T6_T7_T9_mT8_S1C_bDpT10_ENKUlT_T0_E_clISt17integral_constantIbLb1EES1O_IbLb0EEEEDaS1K_S1L_EUlS1K_E_NS1_11comp_targetILNS1_3genE3ELNS1_11target_archE908ELNS1_3gpuE7ELNS1_3repE0EEENS1_30default_config_static_selectorELNS0_4arch9wavefront6targetE0EEEvSY_
    .private_segment_fixed_size: 0
    .sgpr_count:     0
    .sgpr_spill_count: 0
    .symbol:         _ZN7rocprim17ROCPRIM_400000_NS6detail17trampoline_kernelINS0_13select_configILj256ELj13ELNS0_17block_load_methodE3ELS4_3ELS4_3ELNS0_20block_scan_algorithmE0ELj4294967295EEENS1_25partition_config_selectorILNS1_17partition_subalgoE3EjNS0_10empty_typeEbEEZZNS1_14partition_implILS8_3ELb0ES6_jNS0_17counting_iteratorIjlEEPS9_SE_NS0_5tupleIJPjSE_EEENSF_IJSE_SE_EEES9_SG_JZNS1_25segmented_radix_sort_implINS0_14default_configELb1EPKfPfPKlPlN2at6native12_GLOBAL__N_18offset_tEEE10hipError_tPvRmT1_PNSt15iterator_traitsISY_E10value_typeET2_T3_PNSZ_IS14_E10value_typeET4_jRbjT5_S1A_jjP12ihipStream_tbEUljE_EEESV_SW_SX_S14_S18_S1A_T6_T7_T9_mT8_S1C_bDpT10_ENKUlT_T0_E_clISt17integral_constantIbLb1EES1O_IbLb0EEEEDaS1K_S1L_EUlS1K_E_NS1_11comp_targetILNS1_3genE3ELNS1_11target_archE908ELNS1_3gpuE7ELNS1_3repE0EEENS1_30default_config_static_selectorELNS0_4arch9wavefront6targetE0EEEvSY_.kd
    .uniform_work_group_size: 1
    .uses_dynamic_stack: false
    .vgpr_count:     0
    .vgpr_spill_count: 0
    .wavefront_size: 32
    .workgroup_processor_mode: 1
  - .args:
      - .offset:         0
        .size:           144
        .value_kind:     by_value
    .group_segment_fixed_size: 0
    .kernarg_segment_align: 8
    .kernarg_segment_size: 144
    .language:       OpenCL C
    .language_version:
      - 2
      - 0
    .max_flat_workgroup_size: 256
    .name:           _ZN7rocprim17ROCPRIM_400000_NS6detail17trampoline_kernelINS0_13select_configILj256ELj13ELNS0_17block_load_methodE3ELS4_3ELS4_3ELNS0_20block_scan_algorithmE0ELj4294967295EEENS1_25partition_config_selectorILNS1_17partition_subalgoE3EjNS0_10empty_typeEbEEZZNS1_14partition_implILS8_3ELb0ES6_jNS0_17counting_iteratorIjlEEPS9_SE_NS0_5tupleIJPjSE_EEENSF_IJSE_SE_EEES9_SG_JZNS1_25segmented_radix_sort_implINS0_14default_configELb1EPKfPfPKlPlN2at6native12_GLOBAL__N_18offset_tEEE10hipError_tPvRmT1_PNSt15iterator_traitsISY_E10value_typeET2_T3_PNSZ_IS14_E10value_typeET4_jRbjT5_S1A_jjP12ihipStream_tbEUljE_EEESV_SW_SX_S14_S18_S1A_T6_T7_T9_mT8_S1C_bDpT10_ENKUlT_T0_E_clISt17integral_constantIbLb1EES1O_IbLb0EEEEDaS1K_S1L_EUlS1K_E_NS1_11comp_targetILNS1_3genE2ELNS1_11target_archE906ELNS1_3gpuE6ELNS1_3repE0EEENS1_30default_config_static_selectorELNS0_4arch9wavefront6targetE0EEEvSY_
    .private_segment_fixed_size: 0
    .sgpr_count:     0
    .sgpr_spill_count: 0
    .symbol:         _ZN7rocprim17ROCPRIM_400000_NS6detail17trampoline_kernelINS0_13select_configILj256ELj13ELNS0_17block_load_methodE3ELS4_3ELS4_3ELNS0_20block_scan_algorithmE0ELj4294967295EEENS1_25partition_config_selectorILNS1_17partition_subalgoE3EjNS0_10empty_typeEbEEZZNS1_14partition_implILS8_3ELb0ES6_jNS0_17counting_iteratorIjlEEPS9_SE_NS0_5tupleIJPjSE_EEENSF_IJSE_SE_EEES9_SG_JZNS1_25segmented_radix_sort_implINS0_14default_configELb1EPKfPfPKlPlN2at6native12_GLOBAL__N_18offset_tEEE10hipError_tPvRmT1_PNSt15iterator_traitsISY_E10value_typeET2_T3_PNSZ_IS14_E10value_typeET4_jRbjT5_S1A_jjP12ihipStream_tbEUljE_EEESV_SW_SX_S14_S18_S1A_T6_T7_T9_mT8_S1C_bDpT10_ENKUlT_T0_E_clISt17integral_constantIbLb1EES1O_IbLb0EEEEDaS1K_S1L_EUlS1K_E_NS1_11comp_targetILNS1_3genE2ELNS1_11target_archE906ELNS1_3gpuE6ELNS1_3repE0EEENS1_30default_config_static_selectorELNS0_4arch9wavefront6targetE0EEEvSY_.kd
    .uniform_work_group_size: 1
    .uses_dynamic_stack: false
    .vgpr_count:     0
    .vgpr_spill_count: 0
    .wavefront_size: 32
    .workgroup_processor_mode: 1
  - .args:
      - .offset:         0
        .size:           144
        .value_kind:     by_value
    .group_segment_fixed_size: 0
    .kernarg_segment_align: 8
    .kernarg_segment_size: 144
    .language:       OpenCL C
    .language_version:
      - 2
      - 0
    .max_flat_workgroup_size: 256
    .name:           _ZN7rocprim17ROCPRIM_400000_NS6detail17trampoline_kernelINS0_13select_configILj256ELj13ELNS0_17block_load_methodE3ELS4_3ELS4_3ELNS0_20block_scan_algorithmE0ELj4294967295EEENS1_25partition_config_selectorILNS1_17partition_subalgoE3EjNS0_10empty_typeEbEEZZNS1_14partition_implILS8_3ELb0ES6_jNS0_17counting_iteratorIjlEEPS9_SE_NS0_5tupleIJPjSE_EEENSF_IJSE_SE_EEES9_SG_JZNS1_25segmented_radix_sort_implINS0_14default_configELb1EPKfPfPKlPlN2at6native12_GLOBAL__N_18offset_tEEE10hipError_tPvRmT1_PNSt15iterator_traitsISY_E10value_typeET2_T3_PNSZ_IS14_E10value_typeET4_jRbjT5_S1A_jjP12ihipStream_tbEUljE_EEESV_SW_SX_S14_S18_S1A_T6_T7_T9_mT8_S1C_bDpT10_ENKUlT_T0_E_clISt17integral_constantIbLb1EES1O_IbLb0EEEEDaS1K_S1L_EUlS1K_E_NS1_11comp_targetILNS1_3genE10ELNS1_11target_archE1200ELNS1_3gpuE4ELNS1_3repE0EEENS1_30default_config_static_selectorELNS0_4arch9wavefront6targetE0EEEvSY_
    .private_segment_fixed_size: 0
    .sgpr_count:     0
    .sgpr_spill_count: 0
    .symbol:         _ZN7rocprim17ROCPRIM_400000_NS6detail17trampoline_kernelINS0_13select_configILj256ELj13ELNS0_17block_load_methodE3ELS4_3ELS4_3ELNS0_20block_scan_algorithmE0ELj4294967295EEENS1_25partition_config_selectorILNS1_17partition_subalgoE3EjNS0_10empty_typeEbEEZZNS1_14partition_implILS8_3ELb0ES6_jNS0_17counting_iteratorIjlEEPS9_SE_NS0_5tupleIJPjSE_EEENSF_IJSE_SE_EEES9_SG_JZNS1_25segmented_radix_sort_implINS0_14default_configELb1EPKfPfPKlPlN2at6native12_GLOBAL__N_18offset_tEEE10hipError_tPvRmT1_PNSt15iterator_traitsISY_E10value_typeET2_T3_PNSZ_IS14_E10value_typeET4_jRbjT5_S1A_jjP12ihipStream_tbEUljE_EEESV_SW_SX_S14_S18_S1A_T6_T7_T9_mT8_S1C_bDpT10_ENKUlT_T0_E_clISt17integral_constantIbLb1EES1O_IbLb0EEEEDaS1K_S1L_EUlS1K_E_NS1_11comp_targetILNS1_3genE10ELNS1_11target_archE1200ELNS1_3gpuE4ELNS1_3repE0EEENS1_30default_config_static_selectorELNS0_4arch9wavefront6targetE0EEEvSY_.kd
    .uniform_work_group_size: 1
    .uses_dynamic_stack: false
    .vgpr_count:     0
    .vgpr_spill_count: 0
    .wavefront_size: 32
    .workgroup_processor_mode: 1
  - .args:
      - .offset:         0
        .size:           144
        .value_kind:     by_value
    .group_segment_fixed_size: 0
    .kernarg_segment_align: 8
    .kernarg_segment_size: 144
    .language:       OpenCL C
    .language_version:
      - 2
      - 0
    .max_flat_workgroup_size: 256
    .name:           _ZN7rocprim17ROCPRIM_400000_NS6detail17trampoline_kernelINS0_13select_configILj256ELj13ELNS0_17block_load_methodE3ELS4_3ELS4_3ELNS0_20block_scan_algorithmE0ELj4294967295EEENS1_25partition_config_selectorILNS1_17partition_subalgoE3EjNS0_10empty_typeEbEEZZNS1_14partition_implILS8_3ELb0ES6_jNS0_17counting_iteratorIjlEEPS9_SE_NS0_5tupleIJPjSE_EEENSF_IJSE_SE_EEES9_SG_JZNS1_25segmented_radix_sort_implINS0_14default_configELb1EPKfPfPKlPlN2at6native12_GLOBAL__N_18offset_tEEE10hipError_tPvRmT1_PNSt15iterator_traitsISY_E10value_typeET2_T3_PNSZ_IS14_E10value_typeET4_jRbjT5_S1A_jjP12ihipStream_tbEUljE_EEESV_SW_SX_S14_S18_S1A_T6_T7_T9_mT8_S1C_bDpT10_ENKUlT_T0_E_clISt17integral_constantIbLb1EES1O_IbLb0EEEEDaS1K_S1L_EUlS1K_E_NS1_11comp_targetILNS1_3genE9ELNS1_11target_archE1100ELNS1_3gpuE3ELNS1_3repE0EEENS1_30default_config_static_selectorELNS0_4arch9wavefront6targetE0EEEvSY_
    .private_segment_fixed_size: 0
    .sgpr_count:     0
    .sgpr_spill_count: 0
    .symbol:         _ZN7rocprim17ROCPRIM_400000_NS6detail17trampoline_kernelINS0_13select_configILj256ELj13ELNS0_17block_load_methodE3ELS4_3ELS4_3ELNS0_20block_scan_algorithmE0ELj4294967295EEENS1_25partition_config_selectorILNS1_17partition_subalgoE3EjNS0_10empty_typeEbEEZZNS1_14partition_implILS8_3ELb0ES6_jNS0_17counting_iteratorIjlEEPS9_SE_NS0_5tupleIJPjSE_EEENSF_IJSE_SE_EEES9_SG_JZNS1_25segmented_radix_sort_implINS0_14default_configELb1EPKfPfPKlPlN2at6native12_GLOBAL__N_18offset_tEEE10hipError_tPvRmT1_PNSt15iterator_traitsISY_E10value_typeET2_T3_PNSZ_IS14_E10value_typeET4_jRbjT5_S1A_jjP12ihipStream_tbEUljE_EEESV_SW_SX_S14_S18_S1A_T6_T7_T9_mT8_S1C_bDpT10_ENKUlT_T0_E_clISt17integral_constantIbLb1EES1O_IbLb0EEEEDaS1K_S1L_EUlS1K_E_NS1_11comp_targetILNS1_3genE9ELNS1_11target_archE1100ELNS1_3gpuE3ELNS1_3repE0EEENS1_30default_config_static_selectorELNS0_4arch9wavefront6targetE0EEEvSY_.kd
    .uniform_work_group_size: 1
    .uses_dynamic_stack: false
    .vgpr_count:     0
    .vgpr_spill_count: 0
    .wavefront_size: 32
    .workgroup_processor_mode: 1
  - .args:
      - .offset:         0
        .size:           144
        .value_kind:     by_value
    .group_segment_fixed_size: 0
    .kernarg_segment_align: 8
    .kernarg_segment_size: 144
    .language:       OpenCL C
    .language_version:
      - 2
      - 0
    .max_flat_workgroup_size: 256
    .name:           _ZN7rocprim17ROCPRIM_400000_NS6detail17trampoline_kernelINS0_13select_configILj256ELj13ELNS0_17block_load_methodE3ELS4_3ELS4_3ELNS0_20block_scan_algorithmE0ELj4294967295EEENS1_25partition_config_selectorILNS1_17partition_subalgoE3EjNS0_10empty_typeEbEEZZNS1_14partition_implILS8_3ELb0ES6_jNS0_17counting_iteratorIjlEEPS9_SE_NS0_5tupleIJPjSE_EEENSF_IJSE_SE_EEES9_SG_JZNS1_25segmented_radix_sort_implINS0_14default_configELb1EPKfPfPKlPlN2at6native12_GLOBAL__N_18offset_tEEE10hipError_tPvRmT1_PNSt15iterator_traitsISY_E10value_typeET2_T3_PNSZ_IS14_E10value_typeET4_jRbjT5_S1A_jjP12ihipStream_tbEUljE_EEESV_SW_SX_S14_S18_S1A_T6_T7_T9_mT8_S1C_bDpT10_ENKUlT_T0_E_clISt17integral_constantIbLb1EES1O_IbLb0EEEEDaS1K_S1L_EUlS1K_E_NS1_11comp_targetILNS1_3genE8ELNS1_11target_archE1030ELNS1_3gpuE2ELNS1_3repE0EEENS1_30default_config_static_selectorELNS0_4arch9wavefront6targetE0EEEvSY_
    .private_segment_fixed_size: 0
    .sgpr_count:     0
    .sgpr_spill_count: 0
    .symbol:         _ZN7rocprim17ROCPRIM_400000_NS6detail17trampoline_kernelINS0_13select_configILj256ELj13ELNS0_17block_load_methodE3ELS4_3ELS4_3ELNS0_20block_scan_algorithmE0ELj4294967295EEENS1_25partition_config_selectorILNS1_17partition_subalgoE3EjNS0_10empty_typeEbEEZZNS1_14partition_implILS8_3ELb0ES6_jNS0_17counting_iteratorIjlEEPS9_SE_NS0_5tupleIJPjSE_EEENSF_IJSE_SE_EEES9_SG_JZNS1_25segmented_radix_sort_implINS0_14default_configELb1EPKfPfPKlPlN2at6native12_GLOBAL__N_18offset_tEEE10hipError_tPvRmT1_PNSt15iterator_traitsISY_E10value_typeET2_T3_PNSZ_IS14_E10value_typeET4_jRbjT5_S1A_jjP12ihipStream_tbEUljE_EEESV_SW_SX_S14_S18_S1A_T6_T7_T9_mT8_S1C_bDpT10_ENKUlT_T0_E_clISt17integral_constantIbLb1EES1O_IbLb0EEEEDaS1K_S1L_EUlS1K_E_NS1_11comp_targetILNS1_3genE8ELNS1_11target_archE1030ELNS1_3gpuE2ELNS1_3repE0EEENS1_30default_config_static_selectorELNS0_4arch9wavefront6targetE0EEEvSY_.kd
    .uniform_work_group_size: 1
    .uses_dynamic_stack: false
    .vgpr_count:     0
    .vgpr_spill_count: 0
    .wavefront_size: 32
    .workgroup_processor_mode: 1
  - .args:
      - .offset:         0
        .size:           152
        .value_kind:     by_value
    .group_segment_fixed_size: 0
    .kernarg_segment_align: 8
    .kernarg_segment_size: 152
    .language:       OpenCL C
    .language_version:
      - 2
      - 0
    .max_flat_workgroup_size: 256
    .name:           _ZN7rocprim17ROCPRIM_400000_NS6detail17trampoline_kernelINS0_13select_configILj256ELj13ELNS0_17block_load_methodE3ELS4_3ELS4_3ELNS0_20block_scan_algorithmE0ELj4294967295EEENS1_25partition_config_selectorILNS1_17partition_subalgoE3EjNS0_10empty_typeEbEEZZNS1_14partition_implILS8_3ELb0ES6_jNS0_17counting_iteratorIjlEEPS9_SE_NS0_5tupleIJPjSE_EEENSF_IJSE_SE_EEES9_SG_JZNS1_25segmented_radix_sort_implINS0_14default_configELb1EPKfPfPKlPlN2at6native12_GLOBAL__N_18offset_tEEE10hipError_tPvRmT1_PNSt15iterator_traitsISY_E10value_typeET2_T3_PNSZ_IS14_E10value_typeET4_jRbjT5_S1A_jjP12ihipStream_tbEUljE_EEESV_SW_SX_S14_S18_S1A_T6_T7_T9_mT8_S1C_bDpT10_ENKUlT_T0_E_clISt17integral_constantIbLb0EES1O_IbLb1EEEEDaS1K_S1L_EUlS1K_E_NS1_11comp_targetILNS1_3genE0ELNS1_11target_archE4294967295ELNS1_3gpuE0ELNS1_3repE0EEENS1_30default_config_static_selectorELNS0_4arch9wavefront6targetE0EEEvSY_
    .private_segment_fixed_size: 0
    .sgpr_count:     0
    .sgpr_spill_count: 0
    .symbol:         _ZN7rocprim17ROCPRIM_400000_NS6detail17trampoline_kernelINS0_13select_configILj256ELj13ELNS0_17block_load_methodE3ELS4_3ELS4_3ELNS0_20block_scan_algorithmE0ELj4294967295EEENS1_25partition_config_selectorILNS1_17partition_subalgoE3EjNS0_10empty_typeEbEEZZNS1_14partition_implILS8_3ELb0ES6_jNS0_17counting_iteratorIjlEEPS9_SE_NS0_5tupleIJPjSE_EEENSF_IJSE_SE_EEES9_SG_JZNS1_25segmented_radix_sort_implINS0_14default_configELb1EPKfPfPKlPlN2at6native12_GLOBAL__N_18offset_tEEE10hipError_tPvRmT1_PNSt15iterator_traitsISY_E10value_typeET2_T3_PNSZ_IS14_E10value_typeET4_jRbjT5_S1A_jjP12ihipStream_tbEUljE_EEESV_SW_SX_S14_S18_S1A_T6_T7_T9_mT8_S1C_bDpT10_ENKUlT_T0_E_clISt17integral_constantIbLb0EES1O_IbLb1EEEEDaS1K_S1L_EUlS1K_E_NS1_11comp_targetILNS1_3genE0ELNS1_11target_archE4294967295ELNS1_3gpuE0ELNS1_3repE0EEENS1_30default_config_static_selectorELNS0_4arch9wavefront6targetE0EEEvSY_.kd
    .uniform_work_group_size: 1
    .uses_dynamic_stack: false
    .vgpr_count:     0
    .vgpr_spill_count: 0
    .wavefront_size: 32
    .workgroup_processor_mode: 1
  - .args:
      - .offset:         0
        .size:           152
        .value_kind:     by_value
    .group_segment_fixed_size: 0
    .kernarg_segment_align: 8
    .kernarg_segment_size: 152
    .language:       OpenCL C
    .language_version:
      - 2
      - 0
    .max_flat_workgroup_size: 256
    .name:           _ZN7rocprim17ROCPRIM_400000_NS6detail17trampoline_kernelINS0_13select_configILj256ELj13ELNS0_17block_load_methodE3ELS4_3ELS4_3ELNS0_20block_scan_algorithmE0ELj4294967295EEENS1_25partition_config_selectorILNS1_17partition_subalgoE3EjNS0_10empty_typeEbEEZZNS1_14partition_implILS8_3ELb0ES6_jNS0_17counting_iteratorIjlEEPS9_SE_NS0_5tupleIJPjSE_EEENSF_IJSE_SE_EEES9_SG_JZNS1_25segmented_radix_sort_implINS0_14default_configELb1EPKfPfPKlPlN2at6native12_GLOBAL__N_18offset_tEEE10hipError_tPvRmT1_PNSt15iterator_traitsISY_E10value_typeET2_T3_PNSZ_IS14_E10value_typeET4_jRbjT5_S1A_jjP12ihipStream_tbEUljE_EEESV_SW_SX_S14_S18_S1A_T6_T7_T9_mT8_S1C_bDpT10_ENKUlT_T0_E_clISt17integral_constantIbLb0EES1O_IbLb1EEEEDaS1K_S1L_EUlS1K_E_NS1_11comp_targetILNS1_3genE5ELNS1_11target_archE942ELNS1_3gpuE9ELNS1_3repE0EEENS1_30default_config_static_selectorELNS0_4arch9wavefront6targetE0EEEvSY_
    .private_segment_fixed_size: 0
    .sgpr_count:     0
    .sgpr_spill_count: 0
    .symbol:         _ZN7rocprim17ROCPRIM_400000_NS6detail17trampoline_kernelINS0_13select_configILj256ELj13ELNS0_17block_load_methodE3ELS4_3ELS4_3ELNS0_20block_scan_algorithmE0ELj4294967295EEENS1_25partition_config_selectorILNS1_17partition_subalgoE3EjNS0_10empty_typeEbEEZZNS1_14partition_implILS8_3ELb0ES6_jNS0_17counting_iteratorIjlEEPS9_SE_NS0_5tupleIJPjSE_EEENSF_IJSE_SE_EEES9_SG_JZNS1_25segmented_radix_sort_implINS0_14default_configELb1EPKfPfPKlPlN2at6native12_GLOBAL__N_18offset_tEEE10hipError_tPvRmT1_PNSt15iterator_traitsISY_E10value_typeET2_T3_PNSZ_IS14_E10value_typeET4_jRbjT5_S1A_jjP12ihipStream_tbEUljE_EEESV_SW_SX_S14_S18_S1A_T6_T7_T9_mT8_S1C_bDpT10_ENKUlT_T0_E_clISt17integral_constantIbLb0EES1O_IbLb1EEEEDaS1K_S1L_EUlS1K_E_NS1_11comp_targetILNS1_3genE5ELNS1_11target_archE942ELNS1_3gpuE9ELNS1_3repE0EEENS1_30default_config_static_selectorELNS0_4arch9wavefront6targetE0EEEvSY_.kd
    .uniform_work_group_size: 1
    .uses_dynamic_stack: false
    .vgpr_count:     0
    .vgpr_spill_count: 0
    .wavefront_size: 32
    .workgroup_processor_mode: 1
  - .args:
      - .offset:         0
        .size:           152
        .value_kind:     by_value
    .group_segment_fixed_size: 0
    .kernarg_segment_align: 8
    .kernarg_segment_size: 152
    .language:       OpenCL C
    .language_version:
      - 2
      - 0
    .max_flat_workgroup_size: 256
    .name:           _ZN7rocprim17ROCPRIM_400000_NS6detail17trampoline_kernelINS0_13select_configILj256ELj13ELNS0_17block_load_methodE3ELS4_3ELS4_3ELNS0_20block_scan_algorithmE0ELj4294967295EEENS1_25partition_config_selectorILNS1_17partition_subalgoE3EjNS0_10empty_typeEbEEZZNS1_14partition_implILS8_3ELb0ES6_jNS0_17counting_iteratorIjlEEPS9_SE_NS0_5tupleIJPjSE_EEENSF_IJSE_SE_EEES9_SG_JZNS1_25segmented_radix_sort_implINS0_14default_configELb1EPKfPfPKlPlN2at6native12_GLOBAL__N_18offset_tEEE10hipError_tPvRmT1_PNSt15iterator_traitsISY_E10value_typeET2_T3_PNSZ_IS14_E10value_typeET4_jRbjT5_S1A_jjP12ihipStream_tbEUljE_EEESV_SW_SX_S14_S18_S1A_T6_T7_T9_mT8_S1C_bDpT10_ENKUlT_T0_E_clISt17integral_constantIbLb0EES1O_IbLb1EEEEDaS1K_S1L_EUlS1K_E_NS1_11comp_targetILNS1_3genE4ELNS1_11target_archE910ELNS1_3gpuE8ELNS1_3repE0EEENS1_30default_config_static_selectorELNS0_4arch9wavefront6targetE0EEEvSY_
    .private_segment_fixed_size: 0
    .sgpr_count:     0
    .sgpr_spill_count: 0
    .symbol:         _ZN7rocprim17ROCPRIM_400000_NS6detail17trampoline_kernelINS0_13select_configILj256ELj13ELNS0_17block_load_methodE3ELS4_3ELS4_3ELNS0_20block_scan_algorithmE0ELj4294967295EEENS1_25partition_config_selectorILNS1_17partition_subalgoE3EjNS0_10empty_typeEbEEZZNS1_14partition_implILS8_3ELb0ES6_jNS0_17counting_iteratorIjlEEPS9_SE_NS0_5tupleIJPjSE_EEENSF_IJSE_SE_EEES9_SG_JZNS1_25segmented_radix_sort_implINS0_14default_configELb1EPKfPfPKlPlN2at6native12_GLOBAL__N_18offset_tEEE10hipError_tPvRmT1_PNSt15iterator_traitsISY_E10value_typeET2_T3_PNSZ_IS14_E10value_typeET4_jRbjT5_S1A_jjP12ihipStream_tbEUljE_EEESV_SW_SX_S14_S18_S1A_T6_T7_T9_mT8_S1C_bDpT10_ENKUlT_T0_E_clISt17integral_constantIbLb0EES1O_IbLb1EEEEDaS1K_S1L_EUlS1K_E_NS1_11comp_targetILNS1_3genE4ELNS1_11target_archE910ELNS1_3gpuE8ELNS1_3repE0EEENS1_30default_config_static_selectorELNS0_4arch9wavefront6targetE0EEEvSY_.kd
    .uniform_work_group_size: 1
    .uses_dynamic_stack: false
    .vgpr_count:     0
    .vgpr_spill_count: 0
    .wavefront_size: 32
    .workgroup_processor_mode: 1
  - .args:
      - .offset:         0
        .size:           152
        .value_kind:     by_value
    .group_segment_fixed_size: 0
    .kernarg_segment_align: 8
    .kernarg_segment_size: 152
    .language:       OpenCL C
    .language_version:
      - 2
      - 0
    .max_flat_workgroup_size: 256
    .name:           _ZN7rocprim17ROCPRIM_400000_NS6detail17trampoline_kernelINS0_13select_configILj256ELj13ELNS0_17block_load_methodE3ELS4_3ELS4_3ELNS0_20block_scan_algorithmE0ELj4294967295EEENS1_25partition_config_selectorILNS1_17partition_subalgoE3EjNS0_10empty_typeEbEEZZNS1_14partition_implILS8_3ELb0ES6_jNS0_17counting_iteratorIjlEEPS9_SE_NS0_5tupleIJPjSE_EEENSF_IJSE_SE_EEES9_SG_JZNS1_25segmented_radix_sort_implINS0_14default_configELb1EPKfPfPKlPlN2at6native12_GLOBAL__N_18offset_tEEE10hipError_tPvRmT1_PNSt15iterator_traitsISY_E10value_typeET2_T3_PNSZ_IS14_E10value_typeET4_jRbjT5_S1A_jjP12ihipStream_tbEUljE_EEESV_SW_SX_S14_S18_S1A_T6_T7_T9_mT8_S1C_bDpT10_ENKUlT_T0_E_clISt17integral_constantIbLb0EES1O_IbLb1EEEEDaS1K_S1L_EUlS1K_E_NS1_11comp_targetILNS1_3genE3ELNS1_11target_archE908ELNS1_3gpuE7ELNS1_3repE0EEENS1_30default_config_static_selectorELNS0_4arch9wavefront6targetE0EEEvSY_
    .private_segment_fixed_size: 0
    .sgpr_count:     0
    .sgpr_spill_count: 0
    .symbol:         _ZN7rocprim17ROCPRIM_400000_NS6detail17trampoline_kernelINS0_13select_configILj256ELj13ELNS0_17block_load_methodE3ELS4_3ELS4_3ELNS0_20block_scan_algorithmE0ELj4294967295EEENS1_25partition_config_selectorILNS1_17partition_subalgoE3EjNS0_10empty_typeEbEEZZNS1_14partition_implILS8_3ELb0ES6_jNS0_17counting_iteratorIjlEEPS9_SE_NS0_5tupleIJPjSE_EEENSF_IJSE_SE_EEES9_SG_JZNS1_25segmented_radix_sort_implINS0_14default_configELb1EPKfPfPKlPlN2at6native12_GLOBAL__N_18offset_tEEE10hipError_tPvRmT1_PNSt15iterator_traitsISY_E10value_typeET2_T3_PNSZ_IS14_E10value_typeET4_jRbjT5_S1A_jjP12ihipStream_tbEUljE_EEESV_SW_SX_S14_S18_S1A_T6_T7_T9_mT8_S1C_bDpT10_ENKUlT_T0_E_clISt17integral_constantIbLb0EES1O_IbLb1EEEEDaS1K_S1L_EUlS1K_E_NS1_11comp_targetILNS1_3genE3ELNS1_11target_archE908ELNS1_3gpuE7ELNS1_3repE0EEENS1_30default_config_static_selectorELNS0_4arch9wavefront6targetE0EEEvSY_.kd
    .uniform_work_group_size: 1
    .uses_dynamic_stack: false
    .vgpr_count:     0
    .vgpr_spill_count: 0
    .wavefront_size: 32
    .workgroup_processor_mode: 1
  - .args:
      - .offset:         0
        .size:           152
        .value_kind:     by_value
    .group_segment_fixed_size: 0
    .kernarg_segment_align: 8
    .kernarg_segment_size: 152
    .language:       OpenCL C
    .language_version:
      - 2
      - 0
    .max_flat_workgroup_size: 256
    .name:           _ZN7rocprim17ROCPRIM_400000_NS6detail17trampoline_kernelINS0_13select_configILj256ELj13ELNS0_17block_load_methodE3ELS4_3ELS4_3ELNS0_20block_scan_algorithmE0ELj4294967295EEENS1_25partition_config_selectorILNS1_17partition_subalgoE3EjNS0_10empty_typeEbEEZZNS1_14partition_implILS8_3ELb0ES6_jNS0_17counting_iteratorIjlEEPS9_SE_NS0_5tupleIJPjSE_EEENSF_IJSE_SE_EEES9_SG_JZNS1_25segmented_radix_sort_implINS0_14default_configELb1EPKfPfPKlPlN2at6native12_GLOBAL__N_18offset_tEEE10hipError_tPvRmT1_PNSt15iterator_traitsISY_E10value_typeET2_T3_PNSZ_IS14_E10value_typeET4_jRbjT5_S1A_jjP12ihipStream_tbEUljE_EEESV_SW_SX_S14_S18_S1A_T6_T7_T9_mT8_S1C_bDpT10_ENKUlT_T0_E_clISt17integral_constantIbLb0EES1O_IbLb1EEEEDaS1K_S1L_EUlS1K_E_NS1_11comp_targetILNS1_3genE2ELNS1_11target_archE906ELNS1_3gpuE6ELNS1_3repE0EEENS1_30default_config_static_selectorELNS0_4arch9wavefront6targetE0EEEvSY_
    .private_segment_fixed_size: 0
    .sgpr_count:     0
    .sgpr_spill_count: 0
    .symbol:         _ZN7rocprim17ROCPRIM_400000_NS6detail17trampoline_kernelINS0_13select_configILj256ELj13ELNS0_17block_load_methodE3ELS4_3ELS4_3ELNS0_20block_scan_algorithmE0ELj4294967295EEENS1_25partition_config_selectorILNS1_17partition_subalgoE3EjNS0_10empty_typeEbEEZZNS1_14partition_implILS8_3ELb0ES6_jNS0_17counting_iteratorIjlEEPS9_SE_NS0_5tupleIJPjSE_EEENSF_IJSE_SE_EEES9_SG_JZNS1_25segmented_radix_sort_implINS0_14default_configELb1EPKfPfPKlPlN2at6native12_GLOBAL__N_18offset_tEEE10hipError_tPvRmT1_PNSt15iterator_traitsISY_E10value_typeET2_T3_PNSZ_IS14_E10value_typeET4_jRbjT5_S1A_jjP12ihipStream_tbEUljE_EEESV_SW_SX_S14_S18_S1A_T6_T7_T9_mT8_S1C_bDpT10_ENKUlT_T0_E_clISt17integral_constantIbLb0EES1O_IbLb1EEEEDaS1K_S1L_EUlS1K_E_NS1_11comp_targetILNS1_3genE2ELNS1_11target_archE906ELNS1_3gpuE6ELNS1_3repE0EEENS1_30default_config_static_selectorELNS0_4arch9wavefront6targetE0EEEvSY_.kd
    .uniform_work_group_size: 1
    .uses_dynamic_stack: false
    .vgpr_count:     0
    .vgpr_spill_count: 0
    .wavefront_size: 32
    .workgroup_processor_mode: 1
  - .args:
      - .offset:         0
        .size:           152
        .value_kind:     by_value
    .group_segment_fixed_size: 0
    .kernarg_segment_align: 8
    .kernarg_segment_size: 152
    .language:       OpenCL C
    .language_version:
      - 2
      - 0
    .max_flat_workgroup_size: 256
    .name:           _ZN7rocprim17ROCPRIM_400000_NS6detail17trampoline_kernelINS0_13select_configILj256ELj13ELNS0_17block_load_methodE3ELS4_3ELS4_3ELNS0_20block_scan_algorithmE0ELj4294967295EEENS1_25partition_config_selectorILNS1_17partition_subalgoE3EjNS0_10empty_typeEbEEZZNS1_14partition_implILS8_3ELb0ES6_jNS0_17counting_iteratorIjlEEPS9_SE_NS0_5tupleIJPjSE_EEENSF_IJSE_SE_EEES9_SG_JZNS1_25segmented_radix_sort_implINS0_14default_configELb1EPKfPfPKlPlN2at6native12_GLOBAL__N_18offset_tEEE10hipError_tPvRmT1_PNSt15iterator_traitsISY_E10value_typeET2_T3_PNSZ_IS14_E10value_typeET4_jRbjT5_S1A_jjP12ihipStream_tbEUljE_EEESV_SW_SX_S14_S18_S1A_T6_T7_T9_mT8_S1C_bDpT10_ENKUlT_T0_E_clISt17integral_constantIbLb0EES1O_IbLb1EEEEDaS1K_S1L_EUlS1K_E_NS1_11comp_targetILNS1_3genE10ELNS1_11target_archE1200ELNS1_3gpuE4ELNS1_3repE0EEENS1_30default_config_static_selectorELNS0_4arch9wavefront6targetE0EEEvSY_
    .private_segment_fixed_size: 0
    .sgpr_count:     0
    .sgpr_spill_count: 0
    .symbol:         _ZN7rocprim17ROCPRIM_400000_NS6detail17trampoline_kernelINS0_13select_configILj256ELj13ELNS0_17block_load_methodE3ELS4_3ELS4_3ELNS0_20block_scan_algorithmE0ELj4294967295EEENS1_25partition_config_selectorILNS1_17partition_subalgoE3EjNS0_10empty_typeEbEEZZNS1_14partition_implILS8_3ELb0ES6_jNS0_17counting_iteratorIjlEEPS9_SE_NS0_5tupleIJPjSE_EEENSF_IJSE_SE_EEES9_SG_JZNS1_25segmented_radix_sort_implINS0_14default_configELb1EPKfPfPKlPlN2at6native12_GLOBAL__N_18offset_tEEE10hipError_tPvRmT1_PNSt15iterator_traitsISY_E10value_typeET2_T3_PNSZ_IS14_E10value_typeET4_jRbjT5_S1A_jjP12ihipStream_tbEUljE_EEESV_SW_SX_S14_S18_S1A_T6_T7_T9_mT8_S1C_bDpT10_ENKUlT_T0_E_clISt17integral_constantIbLb0EES1O_IbLb1EEEEDaS1K_S1L_EUlS1K_E_NS1_11comp_targetILNS1_3genE10ELNS1_11target_archE1200ELNS1_3gpuE4ELNS1_3repE0EEENS1_30default_config_static_selectorELNS0_4arch9wavefront6targetE0EEEvSY_.kd
    .uniform_work_group_size: 1
    .uses_dynamic_stack: false
    .vgpr_count:     0
    .vgpr_spill_count: 0
    .wavefront_size: 32
    .workgroup_processor_mode: 1
  - .args:
      - .offset:         0
        .size:           152
        .value_kind:     by_value
    .group_segment_fixed_size: 0
    .kernarg_segment_align: 8
    .kernarg_segment_size: 152
    .language:       OpenCL C
    .language_version:
      - 2
      - 0
    .max_flat_workgroup_size: 256
    .name:           _ZN7rocprim17ROCPRIM_400000_NS6detail17trampoline_kernelINS0_13select_configILj256ELj13ELNS0_17block_load_methodE3ELS4_3ELS4_3ELNS0_20block_scan_algorithmE0ELj4294967295EEENS1_25partition_config_selectorILNS1_17partition_subalgoE3EjNS0_10empty_typeEbEEZZNS1_14partition_implILS8_3ELb0ES6_jNS0_17counting_iteratorIjlEEPS9_SE_NS0_5tupleIJPjSE_EEENSF_IJSE_SE_EEES9_SG_JZNS1_25segmented_radix_sort_implINS0_14default_configELb1EPKfPfPKlPlN2at6native12_GLOBAL__N_18offset_tEEE10hipError_tPvRmT1_PNSt15iterator_traitsISY_E10value_typeET2_T3_PNSZ_IS14_E10value_typeET4_jRbjT5_S1A_jjP12ihipStream_tbEUljE_EEESV_SW_SX_S14_S18_S1A_T6_T7_T9_mT8_S1C_bDpT10_ENKUlT_T0_E_clISt17integral_constantIbLb0EES1O_IbLb1EEEEDaS1K_S1L_EUlS1K_E_NS1_11comp_targetILNS1_3genE9ELNS1_11target_archE1100ELNS1_3gpuE3ELNS1_3repE0EEENS1_30default_config_static_selectorELNS0_4arch9wavefront6targetE0EEEvSY_
    .private_segment_fixed_size: 0
    .sgpr_count:     0
    .sgpr_spill_count: 0
    .symbol:         _ZN7rocprim17ROCPRIM_400000_NS6detail17trampoline_kernelINS0_13select_configILj256ELj13ELNS0_17block_load_methodE3ELS4_3ELS4_3ELNS0_20block_scan_algorithmE0ELj4294967295EEENS1_25partition_config_selectorILNS1_17partition_subalgoE3EjNS0_10empty_typeEbEEZZNS1_14partition_implILS8_3ELb0ES6_jNS0_17counting_iteratorIjlEEPS9_SE_NS0_5tupleIJPjSE_EEENSF_IJSE_SE_EEES9_SG_JZNS1_25segmented_radix_sort_implINS0_14default_configELb1EPKfPfPKlPlN2at6native12_GLOBAL__N_18offset_tEEE10hipError_tPvRmT1_PNSt15iterator_traitsISY_E10value_typeET2_T3_PNSZ_IS14_E10value_typeET4_jRbjT5_S1A_jjP12ihipStream_tbEUljE_EEESV_SW_SX_S14_S18_S1A_T6_T7_T9_mT8_S1C_bDpT10_ENKUlT_T0_E_clISt17integral_constantIbLb0EES1O_IbLb1EEEEDaS1K_S1L_EUlS1K_E_NS1_11comp_targetILNS1_3genE9ELNS1_11target_archE1100ELNS1_3gpuE3ELNS1_3repE0EEENS1_30default_config_static_selectorELNS0_4arch9wavefront6targetE0EEEvSY_.kd
    .uniform_work_group_size: 1
    .uses_dynamic_stack: false
    .vgpr_count:     0
    .vgpr_spill_count: 0
    .wavefront_size: 32
    .workgroup_processor_mode: 1
  - .args:
      - .offset:         0
        .size:           152
        .value_kind:     by_value
    .group_segment_fixed_size: 13320
    .kernarg_segment_align: 8
    .kernarg_segment_size: 152
    .language:       OpenCL C
    .language_version:
      - 2
      - 0
    .max_flat_workgroup_size: 256
    .name:           _ZN7rocprim17ROCPRIM_400000_NS6detail17trampoline_kernelINS0_13select_configILj256ELj13ELNS0_17block_load_methodE3ELS4_3ELS4_3ELNS0_20block_scan_algorithmE0ELj4294967295EEENS1_25partition_config_selectorILNS1_17partition_subalgoE3EjNS0_10empty_typeEbEEZZNS1_14partition_implILS8_3ELb0ES6_jNS0_17counting_iteratorIjlEEPS9_SE_NS0_5tupleIJPjSE_EEENSF_IJSE_SE_EEES9_SG_JZNS1_25segmented_radix_sort_implINS0_14default_configELb1EPKfPfPKlPlN2at6native12_GLOBAL__N_18offset_tEEE10hipError_tPvRmT1_PNSt15iterator_traitsISY_E10value_typeET2_T3_PNSZ_IS14_E10value_typeET4_jRbjT5_S1A_jjP12ihipStream_tbEUljE_EEESV_SW_SX_S14_S18_S1A_T6_T7_T9_mT8_S1C_bDpT10_ENKUlT_T0_E_clISt17integral_constantIbLb0EES1O_IbLb1EEEEDaS1K_S1L_EUlS1K_E_NS1_11comp_targetILNS1_3genE8ELNS1_11target_archE1030ELNS1_3gpuE2ELNS1_3repE0EEENS1_30default_config_static_selectorELNS0_4arch9wavefront6targetE0EEEvSY_
    .private_segment_fixed_size: 0
    .sgpr_count:     28
    .sgpr_spill_count: 0
    .symbol:         _ZN7rocprim17ROCPRIM_400000_NS6detail17trampoline_kernelINS0_13select_configILj256ELj13ELNS0_17block_load_methodE3ELS4_3ELS4_3ELNS0_20block_scan_algorithmE0ELj4294967295EEENS1_25partition_config_selectorILNS1_17partition_subalgoE3EjNS0_10empty_typeEbEEZZNS1_14partition_implILS8_3ELb0ES6_jNS0_17counting_iteratorIjlEEPS9_SE_NS0_5tupleIJPjSE_EEENSF_IJSE_SE_EEES9_SG_JZNS1_25segmented_radix_sort_implINS0_14default_configELb1EPKfPfPKlPlN2at6native12_GLOBAL__N_18offset_tEEE10hipError_tPvRmT1_PNSt15iterator_traitsISY_E10value_typeET2_T3_PNSZ_IS14_E10value_typeET4_jRbjT5_S1A_jjP12ihipStream_tbEUljE_EEESV_SW_SX_S14_S18_S1A_T6_T7_T9_mT8_S1C_bDpT10_ENKUlT_T0_E_clISt17integral_constantIbLb0EES1O_IbLb1EEEEDaS1K_S1L_EUlS1K_E_NS1_11comp_targetILNS1_3genE8ELNS1_11target_archE1030ELNS1_3gpuE2ELNS1_3repE0EEENS1_30default_config_static_selectorELNS0_4arch9wavefront6targetE0EEEvSY_.kd
    .uniform_work_group_size: 1
    .uses_dynamic_stack: false
    .vgpr_count:     71
    .vgpr_spill_count: 0
    .wavefront_size: 32
    .workgroup_processor_mode: 1
  - .args:
      - .offset:         0
        .size:           96
        .value_kind:     by_value
    .group_segment_fixed_size: 0
    .kernarg_segment_align: 8
    .kernarg_segment_size: 96
    .language:       OpenCL C
    .language_version:
      - 2
      - 0
    .max_flat_workgroup_size: 256
    .name:           _ZN7rocprim17ROCPRIM_400000_NS6detail17trampoline_kernelINS0_14default_configENS1_36segmented_radix_sort_config_selectorIflEEZNS1_25segmented_radix_sort_implIS3_Lb1EPKfPfPKlPlN2at6native12_GLOBAL__N_18offset_tEEE10hipError_tPvRmT1_PNSt15iterator_traitsISK_E10value_typeET2_T3_PNSL_ISQ_E10value_typeET4_jRbjT5_SW_jjP12ihipStream_tbEUlT_E_NS1_11comp_targetILNS1_3genE0ELNS1_11target_archE4294967295ELNS1_3gpuE0ELNS1_3repE0EEENS1_30default_config_static_selectorELNS0_4arch9wavefront6targetE0EEEvSK_
    .private_segment_fixed_size: 0
    .sgpr_count:     0
    .sgpr_spill_count: 0
    .symbol:         _ZN7rocprim17ROCPRIM_400000_NS6detail17trampoline_kernelINS0_14default_configENS1_36segmented_radix_sort_config_selectorIflEEZNS1_25segmented_radix_sort_implIS3_Lb1EPKfPfPKlPlN2at6native12_GLOBAL__N_18offset_tEEE10hipError_tPvRmT1_PNSt15iterator_traitsISK_E10value_typeET2_T3_PNSL_ISQ_E10value_typeET4_jRbjT5_SW_jjP12ihipStream_tbEUlT_E_NS1_11comp_targetILNS1_3genE0ELNS1_11target_archE4294967295ELNS1_3gpuE0ELNS1_3repE0EEENS1_30default_config_static_selectorELNS0_4arch9wavefront6targetE0EEEvSK_.kd
    .uniform_work_group_size: 1
    .uses_dynamic_stack: false
    .vgpr_count:     0
    .vgpr_spill_count: 0
    .wavefront_size: 32
    .workgroup_processor_mode: 1
  - .args:
      - .offset:         0
        .size:           96
        .value_kind:     by_value
    .group_segment_fixed_size: 0
    .kernarg_segment_align: 8
    .kernarg_segment_size: 96
    .language:       OpenCL C
    .language_version:
      - 2
      - 0
    .max_flat_workgroup_size: 256
    .name:           _ZN7rocprim17ROCPRIM_400000_NS6detail17trampoline_kernelINS0_14default_configENS1_36segmented_radix_sort_config_selectorIflEEZNS1_25segmented_radix_sort_implIS3_Lb1EPKfPfPKlPlN2at6native12_GLOBAL__N_18offset_tEEE10hipError_tPvRmT1_PNSt15iterator_traitsISK_E10value_typeET2_T3_PNSL_ISQ_E10value_typeET4_jRbjT5_SW_jjP12ihipStream_tbEUlT_E_NS1_11comp_targetILNS1_3genE5ELNS1_11target_archE942ELNS1_3gpuE9ELNS1_3repE0EEENS1_30default_config_static_selectorELNS0_4arch9wavefront6targetE0EEEvSK_
    .private_segment_fixed_size: 0
    .sgpr_count:     0
    .sgpr_spill_count: 0
    .symbol:         _ZN7rocprim17ROCPRIM_400000_NS6detail17trampoline_kernelINS0_14default_configENS1_36segmented_radix_sort_config_selectorIflEEZNS1_25segmented_radix_sort_implIS3_Lb1EPKfPfPKlPlN2at6native12_GLOBAL__N_18offset_tEEE10hipError_tPvRmT1_PNSt15iterator_traitsISK_E10value_typeET2_T3_PNSL_ISQ_E10value_typeET4_jRbjT5_SW_jjP12ihipStream_tbEUlT_E_NS1_11comp_targetILNS1_3genE5ELNS1_11target_archE942ELNS1_3gpuE9ELNS1_3repE0EEENS1_30default_config_static_selectorELNS0_4arch9wavefront6targetE0EEEvSK_.kd
    .uniform_work_group_size: 1
    .uses_dynamic_stack: false
    .vgpr_count:     0
    .vgpr_spill_count: 0
    .wavefront_size: 32
    .workgroup_processor_mode: 1
  - .args:
      - .offset:         0
        .size:           96
        .value_kind:     by_value
    .group_segment_fixed_size: 0
    .kernarg_segment_align: 8
    .kernarg_segment_size: 96
    .language:       OpenCL C
    .language_version:
      - 2
      - 0
    .max_flat_workgroup_size: 256
    .name:           _ZN7rocprim17ROCPRIM_400000_NS6detail17trampoline_kernelINS0_14default_configENS1_36segmented_radix_sort_config_selectorIflEEZNS1_25segmented_radix_sort_implIS3_Lb1EPKfPfPKlPlN2at6native12_GLOBAL__N_18offset_tEEE10hipError_tPvRmT1_PNSt15iterator_traitsISK_E10value_typeET2_T3_PNSL_ISQ_E10value_typeET4_jRbjT5_SW_jjP12ihipStream_tbEUlT_E_NS1_11comp_targetILNS1_3genE4ELNS1_11target_archE910ELNS1_3gpuE8ELNS1_3repE0EEENS1_30default_config_static_selectorELNS0_4arch9wavefront6targetE0EEEvSK_
    .private_segment_fixed_size: 0
    .sgpr_count:     0
    .sgpr_spill_count: 0
    .symbol:         _ZN7rocprim17ROCPRIM_400000_NS6detail17trampoline_kernelINS0_14default_configENS1_36segmented_radix_sort_config_selectorIflEEZNS1_25segmented_radix_sort_implIS3_Lb1EPKfPfPKlPlN2at6native12_GLOBAL__N_18offset_tEEE10hipError_tPvRmT1_PNSt15iterator_traitsISK_E10value_typeET2_T3_PNSL_ISQ_E10value_typeET4_jRbjT5_SW_jjP12ihipStream_tbEUlT_E_NS1_11comp_targetILNS1_3genE4ELNS1_11target_archE910ELNS1_3gpuE8ELNS1_3repE0EEENS1_30default_config_static_selectorELNS0_4arch9wavefront6targetE0EEEvSK_.kd
    .uniform_work_group_size: 1
    .uses_dynamic_stack: false
    .vgpr_count:     0
    .vgpr_spill_count: 0
    .wavefront_size: 32
    .workgroup_processor_mode: 1
  - .args:
      - .offset:         0
        .size:           96
        .value_kind:     by_value
    .group_segment_fixed_size: 0
    .kernarg_segment_align: 8
    .kernarg_segment_size: 96
    .language:       OpenCL C
    .language_version:
      - 2
      - 0
    .max_flat_workgroup_size: 256
    .name:           _ZN7rocprim17ROCPRIM_400000_NS6detail17trampoline_kernelINS0_14default_configENS1_36segmented_radix_sort_config_selectorIflEEZNS1_25segmented_radix_sort_implIS3_Lb1EPKfPfPKlPlN2at6native12_GLOBAL__N_18offset_tEEE10hipError_tPvRmT1_PNSt15iterator_traitsISK_E10value_typeET2_T3_PNSL_ISQ_E10value_typeET4_jRbjT5_SW_jjP12ihipStream_tbEUlT_E_NS1_11comp_targetILNS1_3genE3ELNS1_11target_archE908ELNS1_3gpuE7ELNS1_3repE0EEENS1_30default_config_static_selectorELNS0_4arch9wavefront6targetE0EEEvSK_
    .private_segment_fixed_size: 0
    .sgpr_count:     0
    .sgpr_spill_count: 0
    .symbol:         _ZN7rocprim17ROCPRIM_400000_NS6detail17trampoline_kernelINS0_14default_configENS1_36segmented_radix_sort_config_selectorIflEEZNS1_25segmented_radix_sort_implIS3_Lb1EPKfPfPKlPlN2at6native12_GLOBAL__N_18offset_tEEE10hipError_tPvRmT1_PNSt15iterator_traitsISK_E10value_typeET2_T3_PNSL_ISQ_E10value_typeET4_jRbjT5_SW_jjP12ihipStream_tbEUlT_E_NS1_11comp_targetILNS1_3genE3ELNS1_11target_archE908ELNS1_3gpuE7ELNS1_3repE0EEENS1_30default_config_static_selectorELNS0_4arch9wavefront6targetE0EEEvSK_.kd
    .uniform_work_group_size: 1
    .uses_dynamic_stack: false
    .vgpr_count:     0
    .vgpr_spill_count: 0
    .wavefront_size: 32
    .workgroup_processor_mode: 1
  - .args:
      - .offset:         0
        .size:           96
        .value_kind:     by_value
    .group_segment_fixed_size: 0
    .kernarg_segment_align: 8
    .kernarg_segment_size: 96
    .language:       OpenCL C
    .language_version:
      - 2
      - 0
    .max_flat_workgroup_size: 256
    .name:           _ZN7rocprim17ROCPRIM_400000_NS6detail17trampoline_kernelINS0_14default_configENS1_36segmented_radix_sort_config_selectorIflEEZNS1_25segmented_radix_sort_implIS3_Lb1EPKfPfPKlPlN2at6native12_GLOBAL__N_18offset_tEEE10hipError_tPvRmT1_PNSt15iterator_traitsISK_E10value_typeET2_T3_PNSL_ISQ_E10value_typeET4_jRbjT5_SW_jjP12ihipStream_tbEUlT_E_NS1_11comp_targetILNS1_3genE2ELNS1_11target_archE906ELNS1_3gpuE6ELNS1_3repE0EEENS1_30default_config_static_selectorELNS0_4arch9wavefront6targetE0EEEvSK_
    .private_segment_fixed_size: 0
    .sgpr_count:     0
    .sgpr_spill_count: 0
    .symbol:         _ZN7rocprim17ROCPRIM_400000_NS6detail17trampoline_kernelINS0_14default_configENS1_36segmented_radix_sort_config_selectorIflEEZNS1_25segmented_radix_sort_implIS3_Lb1EPKfPfPKlPlN2at6native12_GLOBAL__N_18offset_tEEE10hipError_tPvRmT1_PNSt15iterator_traitsISK_E10value_typeET2_T3_PNSL_ISQ_E10value_typeET4_jRbjT5_SW_jjP12ihipStream_tbEUlT_E_NS1_11comp_targetILNS1_3genE2ELNS1_11target_archE906ELNS1_3gpuE6ELNS1_3repE0EEENS1_30default_config_static_selectorELNS0_4arch9wavefront6targetE0EEEvSK_.kd
    .uniform_work_group_size: 1
    .uses_dynamic_stack: false
    .vgpr_count:     0
    .vgpr_spill_count: 0
    .wavefront_size: 32
    .workgroup_processor_mode: 1
  - .args:
      - .offset:         0
        .size:           96
        .value_kind:     by_value
    .group_segment_fixed_size: 0
    .kernarg_segment_align: 8
    .kernarg_segment_size: 96
    .language:       OpenCL C
    .language_version:
      - 2
      - 0
    .max_flat_workgroup_size: 256
    .name:           _ZN7rocprim17ROCPRIM_400000_NS6detail17trampoline_kernelINS0_14default_configENS1_36segmented_radix_sort_config_selectorIflEEZNS1_25segmented_radix_sort_implIS3_Lb1EPKfPfPKlPlN2at6native12_GLOBAL__N_18offset_tEEE10hipError_tPvRmT1_PNSt15iterator_traitsISK_E10value_typeET2_T3_PNSL_ISQ_E10value_typeET4_jRbjT5_SW_jjP12ihipStream_tbEUlT_E_NS1_11comp_targetILNS1_3genE10ELNS1_11target_archE1201ELNS1_3gpuE5ELNS1_3repE0EEENS1_30default_config_static_selectorELNS0_4arch9wavefront6targetE0EEEvSK_
    .private_segment_fixed_size: 0
    .sgpr_count:     0
    .sgpr_spill_count: 0
    .symbol:         _ZN7rocprim17ROCPRIM_400000_NS6detail17trampoline_kernelINS0_14default_configENS1_36segmented_radix_sort_config_selectorIflEEZNS1_25segmented_radix_sort_implIS3_Lb1EPKfPfPKlPlN2at6native12_GLOBAL__N_18offset_tEEE10hipError_tPvRmT1_PNSt15iterator_traitsISK_E10value_typeET2_T3_PNSL_ISQ_E10value_typeET4_jRbjT5_SW_jjP12ihipStream_tbEUlT_E_NS1_11comp_targetILNS1_3genE10ELNS1_11target_archE1201ELNS1_3gpuE5ELNS1_3repE0EEENS1_30default_config_static_selectorELNS0_4arch9wavefront6targetE0EEEvSK_.kd
    .uniform_work_group_size: 1
    .uses_dynamic_stack: false
    .vgpr_count:     0
    .vgpr_spill_count: 0
    .wavefront_size: 32
    .workgroup_processor_mode: 1
  - .args:
      - .offset:         0
        .size:           96
        .value_kind:     by_value
    .group_segment_fixed_size: 0
    .kernarg_segment_align: 8
    .kernarg_segment_size: 96
    .language:       OpenCL C
    .language_version:
      - 2
      - 0
    .max_flat_workgroup_size: 128
    .name:           _ZN7rocprim17ROCPRIM_400000_NS6detail17trampoline_kernelINS0_14default_configENS1_36segmented_radix_sort_config_selectorIflEEZNS1_25segmented_radix_sort_implIS3_Lb1EPKfPfPKlPlN2at6native12_GLOBAL__N_18offset_tEEE10hipError_tPvRmT1_PNSt15iterator_traitsISK_E10value_typeET2_T3_PNSL_ISQ_E10value_typeET4_jRbjT5_SW_jjP12ihipStream_tbEUlT_E_NS1_11comp_targetILNS1_3genE10ELNS1_11target_archE1200ELNS1_3gpuE4ELNS1_3repE0EEENS1_30default_config_static_selectorELNS0_4arch9wavefront6targetE0EEEvSK_
    .private_segment_fixed_size: 0
    .sgpr_count:     0
    .sgpr_spill_count: 0
    .symbol:         _ZN7rocprim17ROCPRIM_400000_NS6detail17trampoline_kernelINS0_14default_configENS1_36segmented_radix_sort_config_selectorIflEEZNS1_25segmented_radix_sort_implIS3_Lb1EPKfPfPKlPlN2at6native12_GLOBAL__N_18offset_tEEE10hipError_tPvRmT1_PNSt15iterator_traitsISK_E10value_typeET2_T3_PNSL_ISQ_E10value_typeET4_jRbjT5_SW_jjP12ihipStream_tbEUlT_E_NS1_11comp_targetILNS1_3genE10ELNS1_11target_archE1200ELNS1_3gpuE4ELNS1_3repE0EEENS1_30default_config_static_selectorELNS0_4arch9wavefront6targetE0EEEvSK_.kd
    .uniform_work_group_size: 1
    .uses_dynamic_stack: false
    .vgpr_count:     0
    .vgpr_spill_count: 0
    .wavefront_size: 32
    .workgroup_processor_mode: 1
  - .args:
      - .offset:         0
        .size:           96
        .value_kind:     by_value
    .group_segment_fixed_size: 0
    .kernarg_segment_align: 8
    .kernarg_segment_size: 96
    .language:       OpenCL C
    .language_version:
      - 2
      - 0
    .max_flat_workgroup_size: 256
    .name:           _ZN7rocprim17ROCPRIM_400000_NS6detail17trampoline_kernelINS0_14default_configENS1_36segmented_radix_sort_config_selectorIflEEZNS1_25segmented_radix_sort_implIS3_Lb1EPKfPfPKlPlN2at6native12_GLOBAL__N_18offset_tEEE10hipError_tPvRmT1_PNSt15iterator_traitsISK_E10value_typeET2_T3_PNSL_ISQ_E10value_typeET4_jRbjT5_SW_jjP12ihipStream_tbEUlT_E_NS1_11comp_targetILNS1_3genE9ELNS1_11target_archE1100ELNS1_3gpuE3ELNS1_3repE0EEENS1_30default_config_static_selectorELNS0_4arch9wavefront6targetE0EEEvSK_
    .private_segment_fixed_size: 0
    .sgpr_count:     0
    .sgpr_spill_count: 0
    .symbol:         _ZN7rocprim17ROCPRIM_400000_NS6detail17trampoline_kernelINS0_14default_configENS1_36segmented_radix_sort_config_selectorIflEEZNS1_25segmented_radix_sort_implIS3_Lb1EPKfPfPKlPlN2at6native12_GLOBAL__N_18offset_tEEE10hipError_tPvRmT1_PNSt15iterator_traitsISK_E10value_typeET2_T3_PNSL_ISQ_E10value_typeET4_jRbjT5_SW_jjP12ihipStream_tbEUlT_E_NS1_11comp_targetILNS1_3genE9ELNS1_11target_archE1100ELNS1_3gpuE3ELNS1_3repE0EEENS1_30default_config_static_selectorELNS0_4arch9wavefront6targetE0EEEvSK_.kd
    .uniform_work_group_size: 1
    .uses_dynamic_stack: false
    .vgpr_count:     0
    .vgpr_spill_count: 0
    .wavefront_size: 32
    .workgroup_processor_mode: 1
  - .args:
      - .offset:         0
        .size:           96
        .value_kind:     by_value
      - .offset:         96
        .size:           4
        .value_kind:     hidden_block_count_x
      - .offset:         100
        .size:           4
        .value_kind:     hidden_block_count_y
      - .offset:         104
        .size:           4
        .value_kind:     hidden_block_count_z
      - .offset:         108
        .size:           2
        .value_kind:     hidden_group_size_x
      - .offset:         110
        .size:           2
        .value_kind:     hidden_group_size_y
      - .offset:         112
        .size:           2
        .value_kind:     hidden_group_size_z
      - .offset:         114
        .size:           2
        .value_kind:     hidden_remainder_x
      - .offset:         116
        .size:           2
        .value_kind:     hidden_remainder_y
      - .offset:         118
        .size:           2
        .value_kind:     hidden_remainder_z
      - .offset:         136
        .size:           8
        .value_kind:     hidden_global_offset_x
      - .offset:         144
        .size:           8
        .value_kind:     hidden_global_offset_y
      - .offset:         152
        .size:           8
        .value_kind:     hidden_global_offset_z
      - .offset:         160
        .size:           2
        .value_kind:     hidden_grid_dims
    .group_segment_fixed_size: 33296
    .kernarg_segment_align: 8
    .kernarg_segment_size: 352
    .language:       OpenCL C
    .language_version:
      - 2
      - 0
    .max_flat_workgroup_size: 256
    .name:           _ZN7rocprim17ROCPRIM_400000_NS6detail17trampoline_kernelINS0_14default_configENS1_36segmented_radix_sort_config_selectorIflEEZNS1_25segmented_radix_sort_implIS3_Lb1EPKfPfPKlPlN2at6native12_GLOBAL__N_18offset_tEEE10hipError_tPvRmT1_PNSt15iterator_traitsISK_E10value_typeET2_T3_PNSL_ISQ_E10value_typeET4_jRbjT5_SW_jjP12ihipStream_tbEUlT_E_NS1_11comp_targetILNS1_3genE8ELNS1_11target_archE1030ELNS1_3gpuE2ELNS1_3repE0EEENS1_30default_config_static_selectorELNS0_4arch9wavefront6targetE0EEEvSK_
    .private_segment_fixed_size: 68
    .sgpr_count:     68
    .sgpr_spill_count: 0
    .symbol:         _ZN7rocprim17ROCPRIM_400000_NS6detail17trampoline_kernelINS0_14default_configENS1_36segmented_radix_sort_config_selectorIflEEZNS1_25segmented_radix_sort_implIS3_Lb1EPKfPfPKlPlN2at6native12_GLOBAL__N_18offset_tEEE10hipError_tPvRmT1_PNSt15iterator_traitsISK_E10value_typeET2_T3_PNSL_ISQ_E10value_typeET4_jRbjT5_SW_jjP12ihipStream_tbEUlT_E_NS1_11comp_targetILNS1_3genE8ELNS1_11target_archE1030ELNS1_3gpuE2ELNS1_3repE0EEENS1_30default_config_static_selectorELNS0_4arch9wavefront6targetE0EEEvSK_.kd
    .uniform_work_group_size: 1
    .uses_dynamic_stack: false
    .vgpr_count:     248
    .vgpr_spill_count: 0
    .wavefront_size: 32
    .workgroup_processor_mode: 1
  - .args:
      - .offset:         0
        .size:           88
        .value_kind:     by_value
    .group_segment_fixed_size: 0
    .kernarg_segment_align: 8
    .kernarg_segment_size: 88
    .language:       OpenCL C
    .language_version:
      - 2
      - 0
    .max_flat_workgroup_size: 256
    .name:           _ZN7rocprim17ROCPRIM_400000_NS6detail17trampoline_kernelINS0_14default_configENS1_36segmented_radix_sort_config_selectorIflEEZNS1_25segmented_radix_sort_implIS3_Lb1EPKfPfPKlPlN2at6native12_GLOBAL__N_18offset_tEEE10hipError_tPvRmT1_PNSt15iterator_traitsISK_E10value_typeET2_T3_PNSL_ISQ_E10value_typeET4_jRbjT5_SW_jjP12ihipStream_tbEUlT_E0_NS1_11comp_targetILNS1_3genE0ELNS1_11target_archE4294967295ELNS1_3gpuE0ELNS1_3repE0EEENS1_60segmented_radix_sort_warp_sort_medium_config_static_selectorELNS0_4arch9wavefront6targetE0EEEvSK_
    .private_segment_fixed_size: 0
    .sgpr_count:     0
    .sgpr_spill_count: 0
    .symbol:         _ZN7rocprim17ROCPRIM_400000_NS6detail17trampoline_kernelINS0_14default_configENS1_36segmented_radix_sort_config_selectorIflEEZNS1_25segmented_radix_sort_implIS3_Lb1EPKfPfPKlPlN2at6native12_GLOBAL__N_18offset_tEEE10hipError_tPvRmT1_PNSt15iterator_traitsISK_E10value_typeET2_T3_PNSL_ISQ_E10value_typeET4_jRbjT5_SW_jjP12ihipStream_tbEUlT_E0_NS1_11comp_targetILNS1_3genE0ELNS1_11target_archE4294967295ELNS1_3gpuE0ELNS1_3repE0EEENS1_60segmented_radix_sort_warp_sort_medium_config_static_selectorELNS0_4arch9wavefront6targetE0EEEvSK_.kd
    .uniform_work_group_size: 1
    .uses_dynamic_stack: false
    .vgpr_count:     0
    .vgpr_spill_count: 0
    .wavefront_size: 32
    .workgroup_processor_mode: 1
  - .args:
      - .offset:         0
        .size:           88
        .value_kind:     by_value
    .group_segment_fixed_size: 0
    .kernarg_segment_align: 8
    .kernarg_segment_size: 88
    .language:       OpenCL C
    .language_version:
      - 2
      - 0
    .max_flat_workgroup_size: 256
    .name:           _ZN7rocprim17ROCPRIM_400000_NS6detail17trampoline_kernelINS0_14default_configENS1_36segmented_radix_sort_config_selectorIflEEZNS1_25segmented_radix_sort_implIS3_Lb1EPKfPfPKlPlN2at6native12_GLOBAL__N_18offset_tEEE10hipError_tPvRmT1_PNSt15iterator_traitsISK_E10value_typeET2_T3_PNSL_ISQ_E10value_typeET4_jRbjT5_SW_jjP12ihipStream_tbEUlT_E0_NS1_11comp_targetILNS1_3genE5ELNS1_11target_archE942ELNS1_3gpuE9ELNS1_3repE0EEENS1_60segmented_radix_sort_warp_sort_medium_config_static_selectorELNS0_4arch9wavefront6targetE0EEEvSK_
    .private_segment_fixed_size: 0
    .sgpr_count:     0
    .sgpr_spill_count: 0
    .symbol:         _ZN7rocprim17ROCPRIM_400000_NS6detail17trampoline_kernelINS0_14default_configENS1_36segmented_radix_sort_config_selectorIflEEZNS1_25segmented_radix_sort_implIS3_Lb1EPKfPfPKlPlN2at6native12_GLOBAL__N_18offset_tEEE10hipError_tPvRmT1_PNSt15iterator_traitsISK_E10value_typeET2_T3_PNSL_ISQ_E10value_typeET4_jRbjT5_SW_jjP12ihipStream_tbEUlT_E0_NS1_11comp_targetILNS1_3genE5ELNS1_11target_archE942ELNS1_3gpuE9ELNS1_3repE0EEENS1_60segmented_radix_sort_warp_sort_medium_config_static_selectorELNS0_4arch9wavefront6targetE0EEEvSK_.kd
    .uniform_work_group_size: 1
    .uses_dynamic_stack: false
    .vgpr_count:     0
    .vgpr_spill_count: 0
    .wavefront_size: 32
    .workgroup_processor_mode: 1
  - .args:
      - .offset:         0
        .size:           88
        .value_kind:     by_value
    .group_segment_fixed_size: 0
    .kernarg_segment_align: 8
    .kernarg_segment_size: 88
    .language:       OpenCL C
    .language_version:
      - 2
      - 0
    .max_flat_workgroup_size: 256
    .name:           _ZN7rocprim17ROCPRIM_400000_NS6detail17trampoline_kernelINS0_14default_configENS1_36segmented_radix_sort_config_selectorIflEEZNS1_25segmented_radix_sort_implIS3_Lb1EPKfPfPKlPlN2at6native12_GLOBAL__N_18offset_tEEE10hipError_tPvRmT1_PNSt15iterator_traitsISK_E10value_typeET2_T3_PNSL_ISQ_E10value_typeET4_jRbjT5_SW_jjP12ihipStream_tbEUlT_E0_NS1_11comp_targetILNS1_3genE4ELNS1_11target_archE910ELNS1_3gpuE8ELNS1_3repE0EEENS1_60segmented_radix_sort_warp_sort_medium_config_static_selectorELNS0_4arch9wavefront6targetE0EEEvSK_
    .private_segment_fixed_size: 0
    .sgpr_count:     0
    .sgpr_spill_count: 0
    .symbol:         _ZN7rocprim17ROCPRIM_400000_NS6detail17trampoline_kernelINS0_14default_configENS1_36segmented_radix_sort_config_selectorIflEEZNS1_25segmented_radix_sort_implIS3_Lb1EPKfPfPKlPlN2at6native12_GLOBAL__N_18offset_tEEE10hipError_tPvRmT1_PNSt15iterator_traitsISK_E10value_typeET2_T3_PNSL_ISQ_E10value_typeET4_jRbjT5_SW_jjP12ihipStream_tbEUlT_E0_NS1_11comp_targetILNS1_3genE4ELNS1_11target_archE910ELNS1_3gpuE8ELNS1_3repE0EEENS1_60segmented_radix_sort_warp_sort_medium_config_static_selectorELNS0_4arch9wavefront6targetE0EEEvSK_.kd
    .uniform_work_group_size: 1
    .uses_dynamic_stack: false
    .vgpr_count:     0
    .vgpr_spill_count: 0
    .wavefront_size: 32
    .workgroup_processor_mode: 1
  - .args:
      - .offset:         0
        .size:           88
        .value_kind:     by_value
    .group_segment_fixed_size: 0
    .kernarg_segment_align: 8
    .kernarg_segment_size: 88
    .language:       OpenCL C
    .language_version:
      - 2
      - 0
    .max_flat_workgroup_size: 256
    .name:           _ZN7rocprim17ROCPRIM_400000_NS6detail17trampoline_kernelINS0_14default_configENS1_36segmented_radix_sort_config_selectorIflEEZNS1_25segmented_radix_sort_implIS3_Lb1EPKfPfPKlPlN2at6native12_GLOBAL__N_18offset_tEEE10hipError_tPvRmT1_PNSt15iterator_traitsISK_E10value_typeET2_T3_PNSL_ISQ_E10value_typeET4_jRbjT5_SW_jjP12ihipStream_tbEUlT_E0_NS1_11comp_targetILNS1_3genE3ELNS1_11target_archE908ELNS1_3gpuE7ELNS1_3repE0EEENS1_60segmented_radix_sort_warp_sort_medium_config_static_selectorELNS0_4arch9wavefront6targetE0EEEvSK_
    .private_segment_fixed_size: 0
    .sgpr_count:     0
    .sgpr_spill_count: 0
    .symbol:         _ZN7rocprim17ROCPRIM_400000_NS6detail17trampoline_kernelINS0_14default_configENS1_36segmented_radix_sort_config_selectorIflEEZNS1_25segmented_radix_sort_implIS3_Lb1EPKfPfPKlPlN2at6native12_GLOBAL__N_18offset_tEEE10hipError_tPvRmT1_PNSt15iterator_traitsISK_E10value_typeET2_T3_PNSL_ISQ_E10value_typeET4_jRbjT5_SW_jjP12ihipStream_tbEUlT_E0_NS1_11comp_targetILNS1_3genE3ELNS1_11target_archE908ELNS1_3gpuE7ELNS1_3repE0EEENS1_60segmented_radix_sort_warp_sort_medium_config_static_selectorELNS0_4arch9wavefront6targetE0EEEvSK_.kd
    .uniform_work_group_size: 1
    .uses_dynamic_stack: false
    .vgpr_count:     0
    .vgpr_spill_count: 0
    .wavefront_size: 32
    .workgroup_processor_mode: 1
  - .args:
      - .offset:         0
        .size:           88
        .value_kind:     by_value
    .group_segment_fixed_size: 0
    .kernarg_segment_align: 8
    .kernarg_segment_size: 88
    .language:       OpenCL C
    .language_version:
      - 2
      - 0
    .max_flat_workgroup_size: 256
    .name:           _ZN7rocprim17ROCPRIM_400000_NS6detail17trampoline_kernelINS0_14default_configENS1_36segmented_radix_sort_config_selectorIflEEZNS1_25segmented_radix_sort_implIS3_Lb1EPKfPfPKlPlN2at6native12_GLOBAL__N_18offset_tEEE10hipError_tPvRmT1_PNSt15iterator_traitsISK_E10value_typeET2_T3_PNSL_ISQ_E10value_typeET4_jRbjT5_SW_jjP12ihipStream_tbEUlT_E0_NS1_11comp_targetILNS1_3genE2ELNS1_11target_archE906ELNS1_3gpuE6ELNS1_3repE0EEENS1_60segmented_radix_sort_warp_sort_medium_config_static_selectorELNS0_4arch9wavefront6targetE0EEEvSK_
    .private_segment_fixed_size: 0
    .sgpr_count:     0
    .sgpr_spill_count: 0
    .symbol:         _ZN7rocprim17ROCPRIM_400000_NS6detail17trampoline_kernelINS0_14default_configENS1_36segmented_radix_sort_config_selectorIflEEZNS1_25segmented_radix_sort_implIS3_Lb1EPKfPfPKlPlN2at6native12_GLOBAL__N_18offset_tEEE10hipError_tPvRmT1_PNSt15iterator_traitsISK_E10value_typeET2_T3_PNSL_ISQ_E10value_typeET4_jRbjT5_SW_jjP12ihipStream_tbEUlT_E0_NS1_11comp_targetILNS1_3genE2ELNS1_11target_archE906ELNS1_3gpuE6ELNS1_3repE0EEENS1_60segmented_radix_sort_warp_sort_medium_config_static_selectorELNS0_4arch9wavefront6targetE0EEEvSK_.kd
    .uniform_work_group_size: 1
    .uses_dynamic_stack: false
    .vgpr_count:     0
    .vgpr_spill_count: 0
    .wavefront_size: 32
    .workgroup_processor_mode: 1
  - .args:
      - .offset:         0
        .size:           88
        .value_kind:     by_value
    .group_segment_fixed_size: 0
    .kernarg_segment_align: 8
    .kernarg_segment_size: 88
    .language:       OpenCL C
    .language_version:
      - 2
      - 0
    .max_flat_workgroup_size: 256
    .name:           _ZN7rocprim17ROCPRIM_400000_NS6detail17trampoline_kernelINS0_14default_configENS1_36segmented_radix_sort_config_selectorIflEEZNS1_25segmented_radix_sort_implIS3_Lb1EPKfPfPKlPlN2at6native12_GLOBAL__N_18offset_tEEE10hipError_tPvRmT1_PNSt15iterator_traitsISK_E10value_typeET2_T3_PNSL_ISQ_E10value_typeET4_jRbjT5_SW_jjP12ihipStream_tbEUlT_E0_NS1_11comp_targetILNS1_3genE10ELNS1_11target_archE1201ELNS1_3gpuE5ELNS1_3repE0EEENS1_60segmented_radix_sort_warp_sort_medium_config_static_selectorELNS0_4arch9wavefront6targetE0EEEvSK_
    .private_segment_fixed_size: 0
    .sgpr_count:     0
    .sgpr_spill_count: 0
    .symbol:         _ZN7rocprim17ROCPRIM_400000_NS6detail17trampoline_kernelINS0_14default_configENS1_36segmented_radix_sort_config_selectorIflEEZNS1_25segmented_radix_sort_implIS3_Lb1EPKfPfPKlPlN2at6native12_GLOBAL__N_18offset_tEEE10hipError_tPvRmT1_PNSt15iterator_traitsISK_E10value_typeET2_T3_PNSL_ISQ_E10value_typeET4_jRbjT5_SW_jjP12ihipStream_tbEUlT_E0_NS1_11comp_targetILNS1_3genE10ELNS1_11target_archE1201ELNS1_3gpuE5ELNS1_3repE0EEENS1_60segmented_radix_sort_warp_sort_medium_config_static_selectorELNS0_4arch9wavefront6targetE0EEEvSK_.kd
    .uniform_work_group_size: 1
    .uses_dynamic_stack: false
    .vgpr_count:     0
    .vgpr_spill_count: 0
    .wavefront_size: 32
    .workgroup_processor_mode: 1
  - .args:
      - .offset:         0
        .size:           88
        .value_kind:     by_value
    .group_segment_fixed_size: 0
    .kernarg_segment_align: 8
    .kernarg_segment_size: 88
    .language:       OpenCL C
    .language_version:
      - 2
      - 0
    .max_flat_workgroup_size: 256
    .name:           _ZN7rocprim17ROCPRIM_400000_NS6detail17trampoline_kernelINS0_14default_configENS1_36segmented_radix_sort_config_selectorIflEEZNS1_25segmented_radix_sort_implIS3_Lb1EPKfPfPKlPlN2at6native12_GLOBAL__N_18offset_tEEE10hipError_tPvRmT1_PNSt15iterator_traitsISK_E10value_typeET2_T3_PNSL_ISQ_E10value_typeET4_jRbjT5_SW_jjP12ihipStream_tbEUlT_E0_NS1_11comp_targetILNS1_3genE10ELNS1_11target_archE1200ELNS1_3gpuE4ELNS1_3repE0EEENS1_60segmented_radix_sort_warp_sort_medium_config_static_selectorELNS0_4arch9wavefront6targetE0EEEvSK_
    .private_segment_fixed_size: 0
    .sgpr_count:     0
    .sgpr_spill_count: 0
    .symbol:         _ZN7rocprim17ROCPRIM_400000_NS6detail17trampoline_kernelINS0_14default_configENS1_36segmented_radix_sort_config_selectorIflEEZNS1_25segmented_radix_sort_implIS3_Lb1EPKfPfPKlPlN2at6native12_GLOBAL__N_18offset_tEEE10hipError_tPvRmT1_PNSt15iterator_traitsISK_E10value_typeET2_T3_PNSL_ISQ_E10value_typeET4_jRbjT5_SW_jjP12ihipStream_tbEUlT_E0_NS1_11comp_targetILNS1_3genE10ELNS1_11target_archE1200ELNS1_3gpuE4ELNS1_3repE0EEENS1_60segmented_radix_sort_warp_sort_medium_config_static_selectorELNS0_4arch9wavefront6targetE0EEEvSK_.kd
    .uniform_work_group_size: 1
    .uses_dynamic_stack: false
    .vgpr_count:     0
    .vgpr_spill_count: 0
    .wavefront_size: 32
    .workgroup_processor_mode: 1
  - .args:
      - .offset:         0
        .size:           88
        .value_kind:     by_value
    .group_segment_fixed_size: 0
    .kernarg_segment_align: 8
    .kernarg_segment_size: 88
    .language:       OpenCL C
    .language_version:
      - 2
      - 0
    .max_flat_workgroup_size: 256
    .name:           _ZN7rocprim17ROCPRIM_400000_NS6detail17trampoline_kernelINS0_14default_configENS1_36segmented_radix_sort_config_selectorIflEEZNS1_25segmented_radix_sort_implIS3_Lb1EPKfPfPKlPlN2at6native12_GLOBAL__N_18offset_tEEE10hipError_tPvRmT1_PNSt15iterator_traitsISK_E10value_typeET2_T3_PNSL_ISQ_E10value_typeET4_jRbjT5_SW_jjP12ihipStream_tbEUlT_E0_NS1_11comp_targetILNS1_3genE9ELNS1_11target_archE1100ELNS1_3gpuE3ELNS1_3repE0EEENS1_60segmented_radix_sort_warp_sort_medium_config_static_selectorELNS0_4arch9wavefront6targetE0EEEvSK_
    .private_segment_fixed_size: 0
    .sgpr_count:     0
    .sgpr_spill_count: 0
    .symbol:         _ZN7rocprim17ROCPRIM_400000_NS6detail17trampoline_kernelINS0_14default_configENS1_36segmented_radix_sort_config_selectorIflEEZNS1_25segmented_radix_sort_implIS3_Lb1EPKfPfPKlPlN2at6native12_GLOBAL__N_18offset_tEEE10hipError_tPvRmT1_PNSt15iterator_traitsISK_E10value_typeET2_T3_PNSL_ISQ_E10value_typeET4_jRbjT5_SW_jjP12ihipStream_tbEUlT_E0_NS1_11comp_targetILNS1_3genE9ELNS1_11target_archE1100ELNS1_3gpuE3ELNS1_3repE0EEENS1_60segmented_radix_sort_warp_sort_medium_config_static_selectorELNS0_4arch9wavefront6targetE0EEEvSK_.kd
    .uniform_work_group_size: 1
    .uses_dynamic_stack: false
    .vgpr_count:     0
    .vgpr_spill_count: 0
    .wavefront_size: 32
    .workgroup_processor_mode: 1
  - .args:
      - .offset:         0
        .size:           88
        .value_kind:     by_value
      - .offset:         88
        .size:           4
        .value_kind:     hidden_block_count_x
      - .offset:         92
        .size:           4
        .value_kind:     hidden_block_count_y
      - .offset:         96
        .size:           4
        .value_kind:     hidden_block_count_z
      - .offset:         100
        .size:           2
        .value_kind:     hidden_group_size_x
      - .offset:         102
        .size:           2
        .value_kind:     hidden_group_size_y
      - .offset:         104
        .size:           2
        .value_kind:     hidden_group_size_z
      - .offset:         106
        .size:           2
        .value_kind:     hidden_remainder_x
      - .offset:         108
        .size:           2
        .value_kind:     hidden_remainder_y
      - .offset:         110
        .size:           2
        .value_kind:     hidden_remainder_z
      - .offset:         128
        .size:           8
        .value_kind:     hidden_global_offset_x
      - .offset:         136
        .size:           8
        .value_kind:     hidden_global_offset_y
      - .offset:         144
        .size:           8
        .value_kind:     hidden_global_offset_z
      - .offset:         152
        .size:           2
        .value_kind:     hidden_grid_dims
    .group_segment_fixed_size: 49152
    .kernarg_segment_align: 8
    .kernarg_segment_size: 344
    .language:       OpenCL C
    .language_version:
      - 2
      - 0
    .max_flat_workgroup_size: 256
    .name:           _ZN7rocprim17ROCPRIM_400000_NS6detail17trampoline_kernelINS0_14default_configENS1_36segmented_radix_sort_config_selectorIflEEZNS1_25segmented_radix_sort_implIS3_Lb1EPKfPfPKlPlN2at6native12_GLOBAL__N_18offset_tEEE10hipError_tPvRmT1_PNSt15iterator_traitsISK_E10value_typeET2_T3_PNSL_ISQ_E10value_typeET4_jRbjT5_SW_jjP12ihipStream_tbEUlT_E0_NS1_11comp_targetILNS1_3genE8ELNS1_11target_archE1030ELNS1_3gpuE2ELNS1_3repE0EEENS1_60segmented_radix_sort_warp_sort_medium_config_static_selectorELNS0_4arch9wavefront6targetE0EEEvSK_
    .private_segment_fixed_size: 0
    .sgpr_count:     59
    .sgpr_spill_count: 0
    .symbol:         _ZN7rocprim17ROCPRIM_400000_NS6detail17trampoline_kernelINS0_14default_configENS1_36segmented_radix_sort_config_selectorIflEEZNS1_25segmented_radix_sort_implIS3_Lb1EPKfPfPKlPlN2at6native12_GLOBAL__N_18offset_tEEE10hipError_tPvRmT1_PNSt15iterator_traitsISK_E10value_typeET2_T3_PNSL_ISQ_E10value_typeET4_jRbjT5_SW_jjP12ihipStream_tbEUlT_E0_NS1_11comp_targetILNS1_3genE8ELNS1_11target_archE1030ELNS1_3gpuE2ELNS1_3repE0EEENS1_60segmented_radix_sort_warp_sort_medium_config_static_selectorELNS0_4arch9wavefront6targetE0EEEvSK_.kd
    .uniform_work_group_size: 1
    .uses_dynamic_stack: false
    .vgpr_count:     148
    .vgpr_spill_count: 0
    .wavefront_size: 32
    .workgroup_processor_mode: 1
  - .args:
      - .offset:         0
        .size:           88
        .value_kind:     by_value
    .group_segment_fixed_size: 0
    .kernarg_segment_align: 8
    .kernarg_segment_size: 88
    .language:       OpenCL C
    .language_version:
      - 2
      - 0
    .max_flat_workgroup_size: 256
    .name:           _ZN7rocprim17ROCPRIM_400000_NS6detail17trampoline_kernelINS0_14default_configENS1_36segmented_radix_sort_config_selectorIflEEZNS1_25segmented_radix_sort_implIS3_Lb1EPKfPfPKlPlN2at6native12_GLOBAL__N_18offset_tEEE10hipError_tPvRmT1_PNSt15iterator_traitsISK_E10value_typeET2_T3_PNSL_ISQ_E10value_typeET4_jRbjT5_SW_jjP12ihipStream_tbEUlT_E1_NS1_11comp_targetILNS1_3genE0ELNS1_11target_archE4294967295ELNS1_3gpuE0ELNS1_3repE0EEENS1_59segmented_radix_sort_warp_sort_small_config_static_selectorELNS0_4arch9wavefront6targetE0EEEvSK_
    .private_segment_fixed_size: 0
    .sgpr_count:     0
    .sgpr_spill_count: 0
    .symbol:         _ZN7rocprim17ROCPRIM_400000_NS6detail17trampoline_kernelINS0_14default_configENS1_36segmented_radix_sort_config_selectorIflEEZNS1_25segmented_radix_sort_implIS3_Lb1EPKfPfPKlPlN2at6native12_GLOBAL__N_18offset_tEEE10hipError_tPvRmT1_PNSt15iterator_traitsISK_E10value_typeET2_T3_PNSL_ISQ_E10value_typeET4_jRbjT5_SW_jjP12ihipStream_tbEUlT_E1_NS1_11comp_targetILNS1_3genE0ELNS1_11target_archE4294967295ELNS1_3gpuE0ELNS1_3repE0EEENS1_59segmented_radix_sort_warp_sort_small_config_static_selectorELNS0_4arch9wavefront6targetE0EEEvSK_.kd
    .uniform_work_group_size: 1
    .uses_dynamic_stack: false
    .vgpr_count:     0
    .vgpr_spill_count: 0
    .wavefront_size: 32
    .workgroup_processor_mode: 1
  - .args:
      - .offset:         0
        .size:           88
        .value_kind:     by_value
    .group_segment_fixed_size: 0
    .kernarg_segment_align: 8
    .kernarg_segment_size: 88
    .language:       OpenCL C
    .language_version:
      - 2
      - 0
    .max_flat_workgroup_size: 256
    .name:           _ZN7rocprim17ROCPRIM_400000_NS6detail17trampoline_kernelINS0_14default_configENS1_36segmented_radix_sort_config_selectorIflEEZNS1_25segmented_radix_sort_implIS3_Lb1EPKfPfPKlPlN2at6native12_GLOBAL__N_18offset_tEEE10hipError_tPvRmT1_PNSt15iterator_traitsISK_E10value_typeET2_T3_PNSL_ISQ_E10value_typeET4_jRbjT5_SW_jjP12ihipStream_tbEUlT_E1_NS1_11comp_targetILNS1_3genE5ELNS1_11target_archE942ELNS1_3gpuE9ELNS1_3repE0EEENS1_59segmented_radix_sort_warp_sort_small_config_static_selectorELNS0_4arch9wavefront6targetE0EEEvSK_
    .private_segment_fixed_size: 0
    .sgpr_count:     0
    .sgpr_spill_count: 0
    .symbol:         _ZN7rocprim17ROCPRIM_400000_NS6detail17trampoline_kernelINS0_14default_configENS1_36segmented_radix_sort_config_selectorIflEEZNS1_25segmented_radix_sort_implIS3_Lb1EPKfPfPKlPlN2at6native12_GLOBAL__N_18offset_tEEE10hipError_tPvRmT1_PNSt15iterator_traitsISK_E10value_typeET2_T3_PNSL_ISQ_E10value_typeET4_jRbjT5_SW_jjP12ihipStream_tbEUlT_E1_NS1_11comp_targetILNS1_3genE5ELNS1_11target_archE942ELNS1_3gpuE9ELNS1_3repE0EEENS1_59segmented_radix_sort_warp_sort_small_config_static_selectorELNS0_4arch9wavefront6targetE0EEEvSK_.kd
    .uniform_work_group_size: 1
    .uses_dynamic_stack: false
    .vgpr_count:     0
    .vgpr_spill_count: 0
    .wavefront_size: 32
    .workgroup_processor_mode: 1
  - .args:
      - .offset:         0
        .size:           88
        .value_kind:     by_value
    .group_segment_fixed_size: 0
    .kernarg_segment_align: 8
    .kernarg_segment_size: 88
    .language:       OpenCL C
    .language_version:
      - 2
      - 0
    .max_flat_workgroup_size: 256
    .name:           _ZN7rocprim17ROCPRIM_400000_NS6detail17trampoline_kernelINS0_14default_configENS1_36segmented_radix_sort_config_selectorIflEEZNS1_25segmented_radix_sort_implIS3_Lb1EPKfPfPKlPlN2at6native12_GLOBAL__N_18offset_tEEE10hipError_tPvRmT1_PNSt15iterator_traitsISK_E10value_typeET2_T3_PNSL_ISQ_E10value_typeET4_jRbjT5_SW_jjP12ihipStream_tbEUlT_E1_NS1_11comp_targetILNS1_3genE4ELNS1_11target_archE910ELNS1_3gpuE8ELNS1_3repE0EEENS1_59segmented_radix_sort_warp_sort_small_config_static_selectorELNS0_4arch9wavefront6targetE0EEEvSK_
    .private_segment_fixed_size: 0
    .sgpr_count:     0
    .sgpr_spill_count: 0
    .symbol:         _ZN7rocprim17ROCPRIM_400000_NS6detail17trampoline_kernelINS0_14default_configENS1_36segmented_radix_sort_config_selectorIflEEZNS1_25segmented_radix_sort_implIS3_Lb1EPKfPfPKlPlN2at6native12_GLOBAL__N_18offset_tEEE10hipError_tPvRmT1_PNSt15iterator_traitsISK_E10value_typeET2_T3_PNSL_ISQ_E10value_typeET4_jRbjT5_SW_jjP12ihipStream_tbEUlT_E1_NS1_11comp_targetILNS1_3genE4ELNS1_11target_archE910ELNS1_3gpuE8ELNS1_3repE0EEENS1_59segmented_radix_sort_warp_sort_small_config_static_selectorELNS0_4arch9wavefront6targetE0EEEvSK_.kd
    .uniform_work_group_size: 1
    .uses_dynamic_stack: false
    .vgpr_count:     0
    .vgpr_spill_count: 0
    .wavefront_size: 32
    .workgroup_processor_mode: 1
  - .args:
      - .offset:         0
        .size:           88
        .value_kind:     by_value
    .group_segment_fixed_size: 0
    .kernarg_segment_align: 8
    .kernarg_segment_size: 88
    .language:       OpenCL C
    .language_version:
      - 2
      - 0
    .max_flat_workgroup_size: 256
    .name:           _ZN7rocprim17ROCPRIM_400000_NS6detail17trampoline_kernelINS0_14default_configENS1_36segmented_radix_sort_config_selectorIflEEZNS1_25segmented_radix_sort_implIS3_Lb1EPKfPfPKlPlN2at6native12_GLOBAL__N_18offset_tEEE10hipError_tPvRmT1_PNSt15iterator_traitsISK_E10value_typeET2_T3_PNSL_ISQ_E10value_typeET4_jRbjT5_SW_jjP12ihipStream_tbEUlT_E1_NS1_11comp_targetILNS1_3genE3ELNS1_11target_archE908ELNS1_3gpuE7ELNS1_3repE0EEENS1_59segmented_radix_sort_warp_sort_small_config_static_selectorELNS0_4arch9wavefront6targetE0EEEvSK_
    .private_segment_fixed_size: 0
    .sgpr_count:     0
    .sgpr_spill_count: 0
    .symbol:         _ZN7rocprim17ROCPRIM_400000_NS6detail17trampoline_kernelINS0_14default_configENS1_36segmented_radix_sort_config_selectorIflEEZNS1_25segmented_radix_sort_implIS3_Lb1EPKfPfPKlPlN2at6native12_GLOBAL__N_18offset_tEEE10hipError_tPvRmT1_PNSt15iterator_traitsISK_E10value_typeET2_T3_PNSL_ISQ_E10value_typeET4_jRbjT5_SW_jjP12ihipStream_tbEUlT_E1_NS1_11comp_targetILNS1_3genE3ELNS1_11target_archE908ELNS1_3gpuE7ELNS1_3repE0EEENS1_59segmented_radix_sort_warp_sort_small_config_static_selectorELNS0_4arch9wavefront6targetE0EEEvSK_.kd
    .uniform_work_group_size: 1
    .uses_dynamic_stack: false
    .vgpr_count:     0
    .vgpr_spill_count: 0
    .wavefront_size: 32
    .workgroup_processor_mode: 1
  - .args:
      - .offset:         0
        .size:           88
        .value_kind:     by_value
    .group_segment_fixed_size: 0
    .kernarg_segment_align: 8
    .kernarg_segment_size: 88
    .language:       OpenCL C
    .language_version:
      - 2
      - 0
    .max_flat_workgroup_size: 256
    .name:           _ZN7rocprim17ROCPRIM_400000_NS6detail17trampoline_kernelINS0_14default_configENS1_36segmented_radix_sort_config_selectorIflEEZNS1_25segmented_radix_sort_implIS3_Lb1EPKfPfPKlPlN2at6native12_GLOBAL__N_18offset_tEEE10hipError_tPvRmT1_PNSt15iterator_traitsISK_E10value_typeET2_T3_PNSL_ISQ_E10value_typeET4_jRbjT5_SW_jjP12ihipStream_tbEUlT_E1_NS1_11comp_targetILNS1_3genE2ELNS1_11target_archE906ELNS1_3gpuE6ELNS1_3repE0EEENS1_59segmented_radix_sort_warp_sort_small_config_static_selectorELNS0_4arch9wavefront6targetE0EEEvSK_
    .private_segment_fixed_size: 0
    .sgpr_count:     0
    .sgpr_spill_count: 0
    .symbol:         _ZN7rocprim17ROCPRIM_400000_NS6detail17trampoline_kernelINS0_14default_configENS1_36segmented_radix_sort_config_selectorIflEEZNS1_25segmented_radix_sort_implIS3_Lb1EPKfPfPKlPlN2at6native12_GLOBAL__N_18offset_tEEE10hipError_tPvRmT1_PNSt15iterator_traitsISK_E10value_typeET2_T3_PNSL_ISQ_E10value_typeET4_jRbjT5_SW_jjP12ihipStream_tbEUlT_E1_NS1_11comp_targetILNS1_3genE2ELNS1_11target_archE906ELNS1_3gpuE6ELNS1_3repE0EEENS1_59segmented_radix_sort_warp_sort_small_config_static_selectorELNS0_4arch9wavefront6targetE0EEEvSK_.kd
    .uniform_work_group_size: 1
    .uses_dynamic_stack: false
    .vgpr_count:     0
    .vgpr_spill_count: 0
    .wavefront_size: 32
    .workgroup_processor_mode: 1
  - .args:
      - .offset:         0
        .size:           88
        .value_kind:     by_value
    .group_segment_fixed_size: 0
    .kernarg_segment_align: 8
    .kernarg_segment_size: 88
    .language:       OpenCL C
    .language_version:
      - 2
      - 0
    .max_flat_workgroup_size: 256
    .name:           _ZN7rocprim17ROCPRIM_400000_NS6detail17trampoline_kernelINS0_14default_configENS1_36segmented_radix_sort_config_selectorIflEEZNS1_25segmented_radix_sort_implIS3_Lb1EPKfPfPKlPlN2at6native12_GLOBAL__N_18offset_tEEE10hipError_tPvRmT1_PNSt15iterator_traitsISK_E10value_typeET2_T3_PNSL_ISQ_E10value_typeET4_jRbjT5_SW_jjP12ihipStream_tbEUlT_E1_NS1_11comp_targetILNS1_3genE10ELNS1_11target_archE1201ELNS1_3gpuE5ELNS1_3repE0EEENS1_59segmented_radix_sort_warp_sort_small_config_static_selectorELNS0_4arch9wavefront6targetE0EEEvSK_
    .private_segment_fixed_size: 0
    .sgpr_count:     0
    .sgpr_spill_count: 0
    .symbol:         _ZN7rocprim17ROCPRIM_400000_NS6detail17trampoline_kernelINS0_14default_configENS1_36segmented_radix_sort_config_selectorIflEEZNS1_25segmented_radix_sort_implIS3_Lb1EPKfPfPKlPlN2at6native12_GLOBAL__N_18offset_tEEE10hipError_tPvRmT1_PNSt15iterator_traitsISK_E10value_typeET2_T3_PNSL_ISQ_E10value_typeET4_jRbjT5_SW_jjP12ihipStream_tbEUlT_E1_NS1_11comp_targetILNS1_3genE10ELNS1_11target_archE1201ELNS1_3gpuE5ELNS1_3repE0EEENS1_59segmented_radix_sort_warp_sort_small_config_static_selectorELNS0_4arch9wavefront6targetE0EEEvSK_.kd
    .uniform_work_group_size: 1
    .uses_dynamic_stack: false
    .vgpr_count:     0
    .vgpr_spill_count: 0
    .wavefront_size: 32
    .workgroup_processor_mode: 1
  - .args:
      - .offset:         0
        .size:           88
        .value_kind:     by_value
    .group_segment_fixed_size: 0
    .kernarg_segment_align: 8
    .kernarg_segment_size: 88
    .language:       OpenCL C
    .language_version:
      - 2
      - 0
    .max_flat_workgroup_size: 256
    .name:           _ZN7rocprim17ROCPRIM_400000_NS6detail17trampoline_kernelINS0_14default_configENS1_36segmented_radix_sort_config_selectorIflEEZNS1_25segmented_radix_sort_implIS3_Lb1EPKfPfPKlPlN2at6native12_GLOBAL__N_18offset_tEEE10hipError_tPvRmT1_PNSt15iterator_traitsISK_E10value_typeET2_T3_PNSL_ISQ_E10value_typeET4_jRbjT5_SW_jjP12ihipStream_tbEUlT_E1_NS1_11comp_targetILNS1_3genE10ELNS1_11target_archE1200ELNS1_3gpuE4ELNS1_3repE0EEENS1_59segmented_radix_sort_warp_sort_small_config_static_selectorELNS0_4arch9wavefront6targetE0EEEvSK_
    .private_segment_fixed_size: 0
    .sgpr_count:     0
    .sgpr_spill_count: 0
    .symbol:         _ZN7rocprim17ROCPRIM_400000_NS6detail17trampoline_kernelINS0_14default_configENS1_36segmented_radix_sort_config_selectorIflEEZNS1_25segmented_radix_sort_implIS3_Lb1EPKfPfPKlPlN2at6native12_GLOBAL__N_18offset_tEEE10hipError_tPvRmT1_PNSt15iterator_traitsISK_E10value_typeET2_T3_PNSL_ISQ_E10value_typeET4_jRbjT5_SW_jjP12ihipStream_tbEUlT_E1_NS1_11comp_targetILNS1_3genE10ELNS1_11target_archE1200ELNS1_3gpuE4ELNS1_3repE0EEENS1_59segmented_radix_sort_warp_sort_small_config_static_selectorELNS0_4arch9wavefront6targetE0EEEvSK_.kd
    .uniform_work_group_size: 1
    .uses_dynamic_stack: false
    .vgpr_count:     0
    .vgpr_spill_count: 0
    .wavefront_size: 32
    .workgroup_processor_mode: 1
  - .args:
      - .offset:         0
        .size:           88
        .value_kind:     by_value
    .group_segment_fixed_size: 0
    .kernarg_segment_align: 8
    .kernarg_segment_size: 88
    .language:       OpenCL C
    .language_version:
      - 2
      - 0
    .max_flat_workgroup_size: 256
    .name:           _ZN7rocprim17ROCPRIM_400000_NS6detail17trampoline_kernelINS0_14default_configENS1_36segmented_radix_sort_config_selectorIflEEZNS1_25segmented_radix_sort_implIS3_Lb1EPKfPfPKlPlN2at6native12_GLOBAL__N_18offset_tEEE10hipError_tPvRmT1_PNSt15iterator_traitsISK_E10value_typeET2_T3_PNSL_ISQ_E10value_typeET4_jRbjT5_SW_jjP12ihipStream_tbEUlT_E1_NS1_11comp_targetILNS1_3genE9ELNS1_11target_archE1100ELNS1_3gpuE3ELNS1_3repE0EEENS1_59segmented_radix_sort_warp_sort_small_config_static_selectorELNS0_4arch9wavefront6targetE0EEEvSK_
    .private_segment_fixed_size: 0
    .sgpr_count:     0
    .sgpr_spill_count: 0
    .symbol:         _ZN7rocprim17ROCPRIM_400000_NS6detail17trampoline_kernelINS0_14default_configENS1_36segmented_radix_sort_config_selectorIflEEZNS1_25segmented_radix_sort_implIS3_Lb1EPKfPfPKlPlN2at6native12_GLOBAL__N_18offset_tEEE10hipError_tPvRmT1_PNSt15iterator_traitsISK_E10value_typeET2_T3_PNSL_ISQ_E10value_typeET4_jRbjT5_SW_jjP12ihipStream_tbEUlT_E1_NS1_11comp_targetILNS1_3genE9ELNS1_11target_archE1100ELNS1_3gpuE3ELNS1_3repE0EEENS1_59segmented_radix_sort_warp_sort_small_config_static_selectorELNS0_4arch9wavefront6targetE0EEEvSK_.kd
    .uniform_work_group_size: 1
    .uses_dynamic_stack: false
    .vgpr_count:     0
    .vgpr_spill_count: 0
    .wavefront_size: 32
    .workgroup_processor_mode: 1
  - .args:
      - .offset:         0
        .size:           88
        .value_kind:     by_value
      - .offset:         88
        .size:           4
        .value_kind:     hidden_block_count_x
      - .offset:         92
        .size:           4
        .value_kind:     hidden_block_count_y
      - .offset:         96
        .size:           4
        .value_kind:     hidden_block_count_z
      - .offset:         100
        .size:           2
        .value_kind:     hidden_group_size_x
      - .offset:         102
        .size:           2
        .value_kind:     hidden_group_size_y
      - .offset:         104
        .size:           2
        .value_kind:     hidden_group_size_z
      - .offset:         106
        .size:           2
        .value_kind:     hidden_remainder_x
      - .offset:         108
        .size:           2
        .value_kind:     hidden_remainder_y
      - .offset:         110
        .size:           2
        .value_kind:     hidden_remainder_z
      - .offset:         128
        .size:           8
        .value_kind:     hidden_global_offset_x
      - .offset:         136
        .size:           8
        .value_kind:     hidden_global_offset_y
      - .offset:         144
        .size:           8
        .value_kind:     hidden_global_offset_z
      - .offset:         152
        .size:           2
        .value_kind:     hidden_grid_dims
    .group_segment_fixed_size: 24576
    .kernarg_segment_align: 8
    .kernarg_segment_size: 344
    .language:       OpenCL C
    .language_version:
      - 2
      - 0
    .max_flat_workgroup_size: 256
    .name:           _ZN7rocprim17ROCPRIM_400000_NS6detail17trampoline_kernelINS0_14default_configENS1_36segmented_radix_sort_config_selectorIflEEZNS1_25segmented_radix_sort_implIS3_Lb1EPKfPfPKlPlN2at6native12_GLOBAL__N_18offset_tEEE10hipError_tPvRmT1_PNSt15iterator_traitsISK_E10value_typeET2_T3_PNSL_ISQ_E10value_typeET4_jRbjT5_SW_jjP12ihipStream_tbEUlT_E1_NS1_11comp_targetILNS1_3genE8ELNS1_11target_archE1030ELNS1_3gpuE2ELNS1_3repE0EEENS1_59segmented_radix_sort_warp_sort_small_config_static_selectorELNS0_4arch9wavefront6targetE0EEEvSK_
    .private_segment_fixed_size: 0
    .sgpr_count:     46
    .sgpr_spill_count: 0
    .symbol:         _ZN7rocprim17ROCPRIM_400000_NS6detail17trampoline_kernelINS0_14default_configENS1_36segmented_radix_sort_config_selectorIflEEZNS1_25segmented_radix_sort_implIS3_Lb1EPKfPfPKlPlN2at6native12_GLOBAL__N_18offset_tEEE10hipError_tPvRmT1_PNSt15iterator_traitsISK_E10value_typeET2_T3_PNSL_ISQ_E10value_typeET4_jRbjT5_SW_jjP12ihipStream_tbEUlT_E1_NS1_11comp_targetILNS1_3genE8ELNS1_11target_archE1030ELNS1_3gpuE2ELNS1_3repE0EEENS1_59segmented_radix_sort_warp_sort_small_config_static_selectorELNS0_4arch9wavefront6targetE0EEEvSK_.kd
    .uniform_work_group_size: 1
    .uses_dynamic_stack: false
    .vgpr_count:     100
    .vgpr_spill_count: 0
    .wavefront_size: 32
    .workgroup_processor_mode: 1
  - .args:
      - .offset:         0
        .size:           80
        .value_kind:     by_value
    .group_segment_fixed_size: 0
    .kernarg_segment_align: 8
    .kernarg_segment_size: 80
    .language:       OpenCL C
    .language_version:
      - 2
      - 0
    .max_flat_workgroup_size: 256
    .name:           _ZN7rocprim17ROCPRIM_400000_NS6detail17trampoline_kernelINS0_14default_configENS1_36segmented_radix_sort_config_selectorIflEEZNS1_25segmented_radix_sort_implIS3_Lb1EPKfPfPKlPlN2at6native12_GLOBAL__N_18offset_tEEE10hipError_tPvRmT1_PNSt15iterator_traitsISK_E10value_typeET2_T3_PNSL_ISQ_E10value_typeET4_jRbjT5_SW_jjP12ihipStream_tbEUlT_E2_NS1_11comp_targetILNS1_3genE0ELNS1_11target_archE4294967295ELNS1_3gpuE0ELNS1_3repE0EEENS1_30default_config_static_selectorELNS0_4arch9wavefront6targetE0EEEvSK_
    .private_segment_fixed_size: 0
    .sgpr_count:     0
    .sgpr_spill_count: 0
    .symbol:         _ZN7rocprim17ROCPRIM_400000_NS6detail17trampoline_kernelINS0_14default_configENS1_36segmented_radix_sort_config_selectorIflEEZNS1_25segmented_radix_sort_implIS3_Lb1EPKfPfPKlPlN2at6native12_GLOBAL__N_18offset_tEEE10hipError_tPvRmT1_PNSt15iterator_traitsISK_E10value_typeET2_T3_PNSL_ISQ_E10value_typeET4_jRbjT5_SW_jjP12ihipStream_tbEUlT_E2_NS1_11comp_targetILNS1_3genE0ELNS1_11target_archE4294967295ELNS1_3gpuE0ELNS1_3repE0EEENS1_30default_config_static_selectorELNS0_4arch9wavefront6targetE0EEEvSK_.kd
    .uniform_work_group_size: 1
    .uses_dynamic_stack: false
    .vgpr_count:     0
    .vgpr_spill_count: 0
    .wavefront_size: 32
    .workgroup_processor_mode: 1
  - .args:
      - .offset:         0
        .size:           80
        .value_kind:     by_value
    .group_segment_fixed_size: 0
    .kernarg_segment_align: 8
    .kernarg_segment_size: 80
    .language:       OpenCL C
    .language_version:
      - 2
      - 0
    .max_flat_workgroup_size: 256
    .name:           _ZN7rocprim17ROCPRIM_400000_NS6detail17trampoline_kernelINS0_14default_configENS1_36segmented_radix_sort_config_selectorIflEEZNS1_25segmented_radix_sort_implIS3_Lb1EPKfPfPKlPlN2at6native12_GLOBAL__N_18offset_tEEE10hipError_tPvRmT1_PNSt15iterator_traitsISK_E10value_typeET2_T3_PNSL_ISQ_E10value_typeET4_jRbjT5_SW_jjP12ihipStream_tbEUlT_E2_NS1_11comp_targetILNS1_3genE5ELNS1_11target_archE942ELNS1_3gpuE9ELNS1_3repE0EEENS1_30default_config_static_selectorELNS0_4arch9wavefront6targetE0EEEvSK_
    .private_segment_fixed_size: 0
    .sgpr_count:     0
    .sgpr_spill_count: 0
    .symbol:         _ZN7rocprim17ROCPRIM_400000_NS6detail17trampoline_kernelINS0_14default_configENS1_36segmented_radix_sort_config_selectorIflEEZNS1_25segmented_radix_sort_implIS3_Lb1EPKfPfPKlPlN2at6native12_GLOBAL__N_18offset_tEEE10hipError_tPvRmT1_PNSt15iterator_traitsISK_E10value_typeET2_T3_PNSL_ISQ_E10value_typeET4_jRbjT5_SW_jjP12ihipStream_tbEUlT_E2_NS1_11comp_targetILNS1_3genE5ELNS1_11target_archE942ELNS1_3gpuE9ELNS1_3repE0EEENS1_30default_config_static_selectorELNS0_4arch9wavefront6targetE0EEEvSK_.kd
    .uniform_work_group_size: 1
    .uses_dynamic_stack: false
    .vgpr_count:     0
    .vgpr_spill_count: 0
    .wavefront_size: 32
    .workgroup_processor_mode: 1
  - .args:
      - .offset:         0
        .size:           80
        .value_kind:     by_value
    .group_segment_fixed_size: 0
    .kernarg_segment_align: 8
    .kernarg_segment_size: 80
    .language:       OpenCL C
    .language_version:
      - 2
      - 0
    .max_flat_workgroup_size: 256
    .name:           _ZN7rocprim17ROCPRIM_400000_NS6detail17trampoline_kernelINS0_14default_configENS1_36segmented_radix_sort_config_selectorIflEEZNS1_25segmented_radix_sort_implIS3_Lb1EPKfPfPKlPlN2at6native12_GLOBAL__N_18offset_tEEE10hipError_tPvRmT1_PNSt15iterator_traitsISK_E10value_typeET2_T3_PNSL_ISQ_E10value_typeET4_jRbjT5_SW_jjP12ihipStream_tbEUlT_E2_NS1_11comp_targetILNS1_3genE4ELNS1_11target_archE910ELNS1_3gpuE8ELNS1_3repE0EEENS1_30default_config_static_selectorELNS0_4arch9wavefront6targetE0EEEvSK_
    .private_segment_fixed_size: 0
    .sgpr_count:     0
    .sgpr_spill_count: 0
    .symbol:         _ZN7rocprim17ROCPRIM_400000_NS6detail17trampoline_kernelINS0_14default_configENS1_36segmented_radix_sort_config_selectorIflEEZNS1_25segmented_radix_sort_implIS3_Lb1EPKfPfPKlPlN2at6native12_GLOBAL__N_18offset_tEEE10hipError_tPvRmT1_PNSt15iterator_traitsISK_E10value_typeET2_T3_PNSL_ISQ_E10value_typeET4_jRbjT5_SW_jjP12ihipStream_tbEUlT_E2_NS1_11comp_targetILNS1_3genE4ELNS1_11target_archE910ELNS1_3gpuE8ELNS1_3repE0EEENS1_30default_config_static_selectorELNS0_4arch9wavefront6targetE0EEEvSK_.kd
    .uniform_work_group_size: 1
    .uses_dynamic_stack: false
    .vgpr_count:     0
    .vgpr_spill_count: 0
    .wavefront_size: 32
    .workgroup_processor_mode: 1
  - .args:
      - .offset:         0
        .size:           80
        .value_kind:     by_value
    .group_segment_fixed_size: 0
    .kernarg_segment_align: 8
    .kernarg_segment_size: 80
    .language:       OpenCL C
    .language_version:
      - 2
      - 0
    .max_flat_workgroup_size: 256
    .name:           _ZN7rocprim17ROCPRIM_400000_NS6detail17trampoline_kernelINS0_14default_configENS1_36segmented_radix_sort_config_selectorIflEEZNS1_25segmented_radix_sort_implIS3_Lb1EPKfPfPKlPlN2at6native12_GLOBAL__N_18offset_tEEE10hipError_tPvRmT1_PNSt15iterator_traitsISK_E10value_typeET2_T3_PNSL_ISQ_E10value_typeET4_jRbjT5_SW_jjP12ihipStream_tbEUlT_E2_NS1_11comp_targetILNS1_3genE3ELNS1_11target_archE908ELNS1_3gpuE7ELNS1_3repE0EEENS1_30default_config_static_selectorELNS0_4arch9wavefront6targetE0EEEvSK_
    .private_segment_fixed_size: 0
    .sgpr_count:     0
    .sgpr_spill_count: 0
    .symbol:         _ZN7rocprim17ROCPRIM_400000_NS6detail17trampoline_kernelINS0_14default_configENS1_36segmented_radix_sort_config_selectorIflEEZNS1_25segmented_radix_sort_implIS3_Lb1EPKfPfPKlPlN2at6native12_GLOBAL__N_18offset_tEEE10hipError_tPvRmT1_PNSt15iterator_traitsISK_E10value_typeET2_T3_PNSL_ISQ_E10value_typeET4_jRbjT5_SW_jjP12ihipStream_tbEUlT_E2_NS1_11comp_targetILNS1_3genE3ELNS1_11target_archE908ELNS1_3gpuE7ELNS1_3repE0EEENS1_30default_config_static_selectorELNS0_4arch9wavefront6targetE0EEEvSK_.kd
    .uniform_work_group_size: 1
    .uses_dynamic_stack: false
    .vgpr_count:     0
    .vgpr_spill_count: 0
    .wavefront_size: 32
    .workgroup_processor_mode: 1
  - .args:
      - .offset:         0
        .size:           80
        .value_kind:     by_value
    .group_segment_fixed_size: 0
    .kernarg_segment_align: 8
    .kernarg_segment_size: 80
    .language:       OpenCL C
    .language_version:
      - 2
      - 0
    .max_flat_workgroup_size: 256
    .name:           _ZN7rocprim17ROCPRIM_400000_NS6detail17trampoline_kernelINS0_14default_configENS1_36segmented_radix_sort_config_selectorIflEEZNS1_25segmented_radix_sort_implIS3_Lb1EPKfPfPKlPlN2at6native12_GLOBAL__N_18offset_tEEE10hipError_tPvRmT1_PNSt15iterator_traitsISK_E10value_typeET2_T3_PNSL_ISQ_E10value_typeET4_jRbjT5_SW_jjP12ihipStream_tbEUlT_E2_NS1_11comp_targetILNS1_3genE2ELNS1_11target_archE906ELNS1_3gpuE6ELNS1_3repE0EEENS1_30default_config_static_selectorELNS0_4arch9wavefront6targetE0EEEvSK_
    .private_segment_fixed_size: 0
    .sgpr_count:     0
    .sgpr_spill_count: 0
    .symbol:         _ZN7rocprim17ROCPRIM_400000_NS6detail17trampoline_kernelINS0_14default_configENS1_36segmented_radix_sort_config_selectorIflEEZNS1_25segmented_radix_sort_implIS3_Lb1EPKfPfPKlPlN2at6native12_GLOBAL__N_18offset_tEEE10hipError_tPvRmT1_PNSt15iterator_traitsISK_E10value_typeET2_T3_PNSL_ISQ_E10value_typeET4_jRbjT5_SW_jjP12ihipStream_tbEUlT_E2_NS1_11comp_targetILNS1_3genE2ELNS1_11target_archE906ELNS1_3gpuE6ELNS1_3repE0EEENS1_30default_config_static_selectorELNS0_4arch9wavefront6targetE0EEEvSK_.kd
    .uniform_work_group_size: 1
    .uses_dynamic_stack: false
    .vgpr_count:     0
    .vgpr_spill_count: 0
    .wavefront_size: 32
    .workgroup_processor_mode: 1
  - .args:
      - .offset:         0
        .size:           80
        .value_kind:     by_value
    .group_segment_fixed_size: 0
    .kernarg_segment_align: 8
    .kernarg_segment_size: 80
    .language:       OpenCL C
    .language_version:
      - 2
      - 0
    .max_flat_workgroup_size: 256
    .name:           _ZN7rocprim17ROCPRIM_400000_NS6detail17trampoline_kernelINS0_14default_configENS1_36segmented_radix_sort_config_selectorIflEEZNS1_25segmented_radix_sort_implIS3_Lb1EPKfPfPKlPlN2at6native12_GLOBAL__N_18offset_tEEE10hipError_tPvRmT1_PNSt15iterator_traitsISK_E10value_typeET2_T3_PNSL_ISQ_E10value_typeET4_jRbjT5_SW_jjP12ihipStream_tbEUlT_E2_NS1_11comp_targetILNS1_3genE10ELNS1_11target_archE1201ELNS1_3gpuE5ELNS1_3repE0EEENS1_30default_config_static_selectorELNS0_4arch9wavefront6targetE0EEEvSK_
    .private_segment_fixed_size: 0
    .sgpr_count:     0
    .sgpr_spill_count: 0
    .symbol:         _ZN7rocprim17ROCPRIM_400000_NS6detail17trampoline_kernelINS0_14default_configENS1_36segmented_radix_sort_config_selectorIflEEZNS1_25segmented_radix_sort_implIS3_Lb1EPKfPfPKlPlN2at6native12_GLOBAL__N_18offset_tEEE10hipError_tPvRmT1_PNSt15iterator_traitsISK_E10value_typeET2_T3_PNSL_ISQ_E10value_typeET4_jRbjT5_SW_jjP12ihipStream_tbEUlT_E2_NS1_11comp_targetILNS1_3genE10ELNS1_11target_archE1201ELNS1_3gpuE5ELNS1_3repE0EEENS1_30default_config_static_selectorELNS0_4arch9wavefront6targetE0EEEvSK_.kd
    .uniform_work_group_size: 1
    .uses_dynamic_stack: false
    .vgpr_count:     0
    .vgpr_spill_count: 0
    .wavefront_size: 32
    .workgroup_processor_mode: 1
  - .args:
      - .offset:         0
        .size:           80
        .value_kind:     by_value
    .group_segment_fixed_size: 0
    .kernarg_segment_align: 8
    .kernarg_segment_size: 80
    .language:       OpenCL C
    .language_version:
      - 2
      - 0
    .max_flat_workgroup_size: 128
    .name:           _ZN7rocprim17ROCPRIM_400000_NS6detail17trampoline_kernelINS0_14default_configENS1_36segmented_radix_sort_config_selectorIflEEZNS1_25segmented_radix_sort_implIS3_Lb1EPKfPfPKlPlN2at6native12_GLOBAL__N_18offset_tEEE10hipError_tPvRmT1_PNSt15iterator_traitsISK_E10value_typeET2_T3_PNSL_ISQ_E10value_typeET4_jRbjT5_SW_jjP12ihipStream_tbEUlT_E2_NS1_11comp_targetILNS1_3genE10ELNS1_11target_archE1200ELNS1_3gpuE4ELNS1_3repE0EEENS1_30default_config_static_selectorELNS0_4arch9wavefront6targetE0EEEvSK_
    .private_segment_fixed_size: 0
    .sgpr_count:     0
    .sgpr_spill_count: 0
    .symbol:         _ZN7rocprim17ROCPRIM_400000_NS6detail17trampoline_kernelINS0_14default_configENS1_36segmented_radix_sort_config_selectorIflEEZNS1_25segmented_radix_sort_implIS3_Lb1EPKfPfPKlPlN2at6native12_GLOBAL__N_18offset_tEEE10hipError_tPvRmT1_PNSt15iterator_traitsISK_E10value_typeET2_T3_PNSL_ISQ_E10value_typeET4_jRbjT5_SW_jjP12ihipStream_tbEUlT_E2_NS1_11comp_targetILNS1_3genE10ELNS1_11target_archE1200ELNS1_3gpuE4ELNS1_3repE0EEENS1_30default_config_static_selectorELNS0_4arch9wavefront6targetE0EEEvSK_.kd
    .uniform_work_group_size: 1
    .uses_dynamic_stack: false
    .vgpr_count:     0
    .vgpr_spill_count: 0
    .wavefront_size: 32
    .workgroup_processor_mode: 1
  - .args:
      - .offset:         0
        .size:           80
        .value_kind:     by_value
    .group_segment_fixed_size: 0
    .kernarg_segment_align: 8
    .kernarg_segment_size: 80
    .language:       OpenCL C
    .language_version:
      - 2
      - 0
    .max_flat_workgroup_size: 256
    .name:           _ZN7rocprim17ROCPRIM_400000_NS6detail17trampoline_kernelINS0_14default_configENS1_36segmented_radix_sort_config_selectorIflEEZNS1_25segmented_radix_sort_implIS3_Lb1EPKfPfPKlPlN2at6native12_GLOBAL__N_18offset_tEEE10hipError_tPvRmT1_PNSt15iterator_traitsISK_E10value_typeET2_T3_PNSL_ISQ_E10value_typeET4_jRbjT5_SW_jjP12ihipStream_tbEUlT_E2_NS1_11comp_targetILNS1_3genE9ELNS1_11target_archE1100ELNS1_3gpuE3ELNS1_3repE0EEENS1_30default_config_static_selectorELNS0_4arch9wavefront6targetE0EEEvSK_
    .private_segment_fixed_size: 0
    .sgpr_count:     0
    .sgpr_spill_count: 0
    .symbol:         _ZN7rocprim17ROCPRIM_400000_NS6detail17trampoline_kernelINS0_14default_configENS1_36segmented_radix_sort_config_selectorIflEEZNS1_25segmented_radix_sort_implIS3_Lb1EPKfPfPKlPlN2at6native12_GLOBAL__N_18offset_tEEE10hipError_tPvRmT1_PNSt15iterator_traitsISK_E10value_typeET2_T3_PNSL_ISQ_E10value_typeET4_jRbjT5_SW_jjP12ihipStream_tbEUlT_E2_NS1_11comp_targetILNS1_3genE9ELNS1_11target_archE1100ELNS1_3gpuE3ELNS1_3repE0EEENS1_30default_config_static_selectorELNS0_4arch9wavefront6targetE0EEEvSK_.kd
    .uniform_work_group_size: 1
    .uses_dynamic_stack: false
    .vgpr_count:     0
    .vgpr_spill_count: 0
    .wavefront_size: 32
    .workgroup_processor_mode: 1
  - .args:
      - .offset:         0
        .size:           80
        .value_kind:     by_value
      - .offset:         80
        .size:           4
        .value_kind:     hidden_block_count_x
      - .offset:         84
        .size:           4
        .value_kind:     hidden_block_count_y
      - .offset:         88
        .size:           4
        .value_kind:     hidden_block_count_z
      - .offset:         92
        .size:           2
        .value_kind:     hidden_group_size_x
      - .offset:         94
        .size:           2
        .value_kind:     hidden_group_size_y
      - .offset:         96
        .size:           2
        .value_kind:     hidden_group_size_z
      - .offset:         98
        .size:           2
        .value_kind:     hidden_remainder_x
      - .offset:         100
        .size:           2
        .value_kind:     hidden_remainder_y
      - .offset:         102
        .size:           2
        .value_kind:     hidden_remainder_z
      - .offset:         120
        .size:           8
        .value_kind:     hidden_global_offset_x
      - .offset:         128
        .size:           8
        .value_kind:     hidden_global_offset_y
      - .offset:         136
        .size:           8
        .value_kind:     hidden_global_offset_z
      - .offset:         144
        .size:           2
        .value_kind:     hidden_grid_dims
    .group_segment_fixed_size: 33296
    .kernarg_segment_align: 8
    .kernarg_segment_size: 336
    .language:       OpenCL C
    .language_version:
      - 2
      - 0
    .max_flat_workgroup_size: 256
    .name:           _ZN7rocprim17ROCPRIM_400000_NS6detail17trampoline_kernelINS0_14default_configENS1_36segmented_radix_sort_config_selectorIflEEZNS1_25segmented_radix_sort_implIS3_Lb1EPKfPfPKlPlN2at6native12_GLOBAL__N_18offset_tEEE10hipError_tPvRmT1_PNSt15iterator_traitsISK_E10value_typeET2_T3_PNSL_ISQ_E10value_typeET4_jRbjT5_SW_jjP12ihipStream_tbEUlT_E2_NS1_11comp_targetILNS1_3genE8ELNS1_11target_archE1030ELNS1_3gpuE2ELNS1_3repE0EEENS1_30default_config_static_selectorELNS0_4arch9wavefront6targetE0EEEvSK_
    .private_segment_fixed_size: 68
    .sgpr_count:     68
    .sgpr_spill_count: 0
    .symbol:         _ZN7rocprim17ROCPRIM_400000_NS6detail17trampoline_kernelINS0_14default_configENS1_36segmented_radix_sort_config_selectorIflEEZNS1_25segmented_radix_sort_implIS3_Lb1EPKfPfPKlPlN2at6native12_GLOBAL__N_18offset_tEEE10hipError_tPvRmT1_PNSt15iterator_traitsISK_E10value_typeET2_T3_PNSL_ISQ_E10value_typeET4_jRbjT5_SW_jjP12ihipStream_tbEUlT_E2_NS1_11comp_targetILNS1_3genE8ELNS1_11target_archE1030ELNS1_3gpuE2ELNS1_3repE0EEENS1_30default_config_static_selectorELNS0_4arch9wavefront6targetE0EEEvSK_.kd
    .uniform_work_group_size: 1
    .uses_dynamic_stack: false
    .vgpr_count:     248
    .vgpr_spill_count: 0
    .wavefront_size: 32
    .workgroup_processor_mode: 1
  - .args:
      - .offset:         0
        .size:           176
        .value_kind:     by_value
    .group_segment_fixed_size: 0
    .kernarg_segment_align: 8
    .kernarg_segment_size: 176
    .language:       OpenCL C
    .language_version:
      - 2
      - 0
    .max_flat_workgroup_size: 256
    .name:           _ZN7rocprim17ROCPRIM_400000_NS6detail17trampoline_kernelINS0_13select_configILj256ELj13ELNS0_17block_load_methodE3ELS4_3ELS4_3ELNS0_20block_scan_algorithmE0ELj4294967295EEENS1_25partition_config_selectorILNS1_17partition_subalgoE4EjNS0_10empty_typeEbEEZZNS1_14partition_implILS8_4ELb0ES6_15HIP_vector_typeIjLj2EENS0_17counting_iteratorIjlEEPS9_SG_NS0_5tupleIJPjSI_NS0_16reverse_iteratorISI_EEEEENSH_IJSG_SG_SG_EEES9_SI_JZNS1_25segmented_radix_sort_implINS0_14default_configELb0EPKfPfPKlPlN2at6native12_GLOBAL__N_18offset_tEEE10hipError_tPvRmT1_PNSt15iterator_traitsIS12_E10value_typeET2_T3_PNS13_IS18_E10value_typeET4_jRbjT5_S1E_jjP12ihipStream_tbEUljE_ZNSN_ISO_Lb0ESQ_SR_ST_SU_SY_EESZ_S10_S11_S12_S16_S17_S18_S1B_S1C_jS1D_jS1E_S1E_jjS1G_bEUljE0_EEESZ_S10_S11_S18_S1C_S1E_T6_T7_T9_mT8_S1G_bDpT10_ENKUlT_T0_E_clISt17integral_constantIbLb0EES1U_EEDaS1P_S1Q_EUlS1P_E_NS1_11comp_targetILNS1_3genE0ELNS1_11target_archE4294967295ELNS1_3gpuE0ELNS1_3repE0EEENS1_30default_config_static_selectorELNS0_4arch9wavefront6targetE0EEEvS12_
    .private_segment_fixed_size: 0
    .sgpr_count:     0
    .sgpr_spill_count: 0
    .symbol:         _ZN7rocprim17ROCPRIM_400000_NS6detail17trampoline_kernelINS0_13select_configILj256ELj13ELNS0_17block_load_methodE3ELS4_3ELS4_3ELNS0_20block_scan_algorithmE0ELj4294967295EEENS1_25partition_config_selectorILNS1_17partition_subalgoE4EjNS0_10empty_typeEbEEZZNS1_14partition_implILS8_4ELb0ES6_15HIP_vector_typeIjLj2EENS0_17counting_iteratorIjlEEPS9_SG_NS0_5tupleIJPjSI_NS0_16reverse_iteratorISI_EEEEENSH_IJSG_SG_SG_EEES9_SI_JZNS1_25segmented_radix_sort_implINS0_14default_configELb0EPKfPfPKlPlN2at6native12_GLOBAL__N_18offset_tEEE10hipError_tPvRmT1_PNSt15iterator_traitsIS12_E10value_typeET2_T3_PNS13_IS18_E10value_typeET4_jRbjT5_S1E_jjP12ihipStream_tbEUljE_ZNSN_ISO_Lb0ESQ_SR_ST_SU_SY_EESZ_S10_S11_S12_S16_S17_S18_S1B_S1C_jS1D_jS1E_S1E_jjS1G_bEUljE0_EEESZ_S10_S11_S18_S1C_S1E_T6_T7_T9_mT8_S1G_bDpT10_ENKUlT_T0_E_clISt17integral_constantIbLb0EES1U_EEDaS1P_S1Q_EUlS1P_E_NS1_11comp_targetILNS1_3genE0ELNS1_11target_archE4294967295ELNS1_3gpuE0ELNS1_3repE0EEENS1_30default_config_static_selectorELNS0_4arch9wavefront6targetE0EEEvS12_.kd
    .uniform_work_group_size: 1
    .uses_dynamic_stack: false
    .vgpr_count:     0
    .vgpr_spill_count: 0
    .wavefront_size: 32
    .workgroup_processor_mode: 1
  - .args:
      - .offset:         0
        .size:           176
        .value_kind:     by_value
    .group_segment_fixed_size: 0
    .kernarg_segment_align: 8
    .kernarg_segment_size: 176
    .language:       OpenCL C
    .language_version:
      - 2
      - 0
    .max_flat_workgroup_size: 256
    .name:           _ZN7rocprim17ROCPRIM_400000_NS6detail17trampoline_kernelINS0_13select_configILj256ELj13ELNS0_17block_load_methodE3ELS4_3ELS4_3ELNS0_20block_scan_algorithmE0ELj4294967295EEENS1_25partition_config_selectorILNS1_17partition_subalgoE4EjNS0_10empty_typeEbEEZZNS1_14partition_implILS8_4ELb0ES6_15HIP_vector_typeIjLj2EENS0_17counting_iteratorIjlEEPS9_SG_NS0_5tupleIJPjSI_NS0_16reverse_iteratorISI_EEEEENSH_IJSG_SG_SG_EEES9_SI_JZNS1_25segmented_radix_sort_implINS0_14default_configELb0EPKfPfPKlPlN2at6native12_GLOBAL__N_18offset_tEEE10hipError_tPvRmT1_PNSt15iterator_traitsIS12_E10value_typeET2_T3_PNS13_IS18_E10value_typeET4_jRbjT5_S1E_jjP12ihipStream_tbEUljE_ZNSN_ISO_Lb0ESQ_SR_ST_SU_SY_EESZ_S10_S11_S12_S16_S17_S18_S1B_S1C_jS1D_jS1E_S1E_jjS1G_bEUljE0_EEESZ_S10_S11_S18_S1C_S1E_T6_T7_T9_mT8_S1G_bDpT10_ENKUlT_T0_E_clISt17integral_constantIbLb0EES1U_EEDaS1P_S1Q_EUlS1P_E_NS1_11comp_targetILNS1_3genE5ELNS1_11target_archE942ELNS1_3gpuE9ELNS1_3repE0EEENS1_30default_config_static_selectorELNS0_4arch9wavefront6targetE0EEEvS12_
    .private_segment_fixed_size: 0
    .sgpr_count:     0
    .sgpr_spill_count: 0
    .symbol:         _ZN7rocprim17ROCPRIM_400000_NS6detail17trampoline_kernelINS0_13select_configILj256ELj13ELNS0_17block_load_methodE3ELS4_3ELS4_3ELNS0_20block_scan_algorithmE0ELj4294967295EEENS1_25partition_config_selectorILNS1_17partition_subalgoE4EjNS0_10empty_typeEbEEZZNS1_14partition_implILS8_4ELb0ES6_15HIP_vector_typeIjLj2EENS0_17counting_iteratorIjlEEPS9_SG_NS0_5tupleIJPjSI_NS0_16reverse_iteratorISI_EEEEENSH_IJSG_SG_SG_EEES9_SI_JZNS1_25segmented_radix_sort_implINS0_14default_configELb0EPKfPfPKlPlN2at6native12_GLOBAL__N_18offset_tEEE10hipError_tPvRmT1_PNSt15iterator_traitsIS12_E10value_typeET2_T3_PNS13_IS18_E10value_typeET4_jRbjT5_S1E_jjP12ihipStream_tbEUljE_ZNSN_ISO_Lb0ESQ_SR_ST_SU_SY_EESZ_S10_S11_S12_S16_S17_S18_S1B_S1C_jS1D_jS1E_S1E_jjS1G_bEUljE0_EEESZ_S10_S11_S18_S1C_S1E_T6_T7_T9_mT8_S1G_bDpT10_ENKUlT_T0_E_clISt17integral_constantIbLb0EES1U_EEDaS1P_S1Q_EUlS1P_E_NS1_11comp_targetILNS1_3genE5ELNS1_11target_archE942ELNS1_3gpuE9ELNS1_3repE0EEENS1_30default_config_static_selectorELNS0_4arch9wavefront6targetE0EEEvS12_.kd
    .uniform_work_group_size: 1
    .uses_dynamic_stack: false
    .vgpr_count:     0
    .vgpr_spill_count: 0
    .wavefront_size: 32
    .workgroup_processor_mode: 1
  - .args:
      - .offset:         0
        .size:           176
        .value_kind:     by_value
    .group_segment_fixed_size: 0
    .kernarg_segment_align: 8
    .kernarg_segment_size: 176
    .language:       OpenCL C
    .language_version:
      - 2
      - 0
    .max_flat_workgroup_size: 256
    .name:           _ZN7rocprim17ROCPRIM_400000_NS6detail17trampoline_kernelINS0_13select_configILj256ELj13ELNS0_17block_load_methodE3ELS4_3ELS4_3ELNS0_20block_scan_algorithmE0ELj4294967295EEENS1_25partition_config_selectorILNS1_17partition_subalgoE4EjNS0_10empty_typeEbEEZZNS1_14partition_implILS8_4ELb0ES6_15HIP_vector_typeIjLj2EENS0_17counting_iteratorIjlEEPS9_SG_NS0_5tupleIJPjSI_NS0_16reverse_iteratorISI_EEEEENSH_IJSG_SG_SG_EEES9_SI_JZNS1_25segmented_radix_sort_implINS0_14default_configELb0EPKfPfPKlPlN2at6native12_GLOBAL__N_18offset_tEEE10hipError_tPvRmT1_PNSt15iterator_traitsIS12_E10value_typeET2_T3_PNS13_IS18_E10value_typeET4_jRbjT5_S1E_jjP12ihipStream_tbEUljE_ZNSN_ISO_Lb0ESQ_SR_ST_SU_SY_EESZ_S10_S11_S12_S16_S17_S18_S1B_S1C_jS1D_jS1E_S1E_jjS1G_bEUljE0_EEESZ_S10_S11_S18_S1C_S1E_T6_T7_T9_mT8_S1G_bDpT10_ENKUlT_T0_E_clISt17integral_constantIbLb0EES1U_EEDaS1P_S1Q_EUlS1P_E_NS1_11comp_targetILNS1_3genE4ELNS1_11target_archE910ELNS1_3gpuE8ELNS1_3repE0EEENS1_30default_config_static_selectorELNS0_4arch9wavefront6targetE0EEEvS12_
    .private_segment_fixed_size: 0
    .sgpr_count:     0
    .sgpr_spill_count: 0
    .symbol:         _ZN7rocprim17ROCPRIM_400000_NS6detail17trampoline_kernelINS0_13select_configILj256ELj13ELNS0_17block_load_methodE3ELS4_3ELS4_3ELNS0_20block_scan_algorithmE0ELj4294967295EEENS1_25partition_config_selectorILNS1_17partition_subalgoE4EjNS0_10empty_typeEbEEZZNS1_14partition_implILS8_4ELb0ES6_15HIP_vector_typeIjLj2EENS0_17counting_iteratorIjlEEPS9_SG_NS0_5tupleIJPjSI_NS0_16reverse_iteratorISI_EEEEENSH_IJSG_SG_SG_EEES9_SI_JZNS1_25segmented_radix_sort_implINS0_14default_configELb0EPKfPfPKlPlN2at6native12_GLOBAL__N_18offset_tEEE10hipError_tPvRmT1_PNSt15iterator_traitsIS12_E10value_typeET2_T3_PNS13_IS18_E10value_typeET4_jRbjT5_S1E_jjP12ihipStream_tbEUljE_ZNSN_ISO_Lb0ESQ_SR_ST_SU_SY_EESZ_S10_S11_S12_S16_S17_S18_S1B_S1C_jS1D_jS1E_S1E_jjS1G_bEUljE0_EEESZ_S10_S11_S18_S1C_S1E_T6_T7_T9_mT8_S1G_bDpT10_ENKUlT_T0_E_clISt17integral_constantIbLb0EES1U_EEDaS1P_S1Q_EUlS1P_E_NS1_11comp_targetILNS1_3genE4ELNS1_11target_archE910ELNS1_3gpuE8ELNS1_3repE0EEENS1_30default_config_static_selectorELNS0_4arch9wavefront6targetE0EEEvS12_.kd
    .uniform_work_group_size: 1
    .uses_dynamic_stack: false
    .vgpr_count:     0
    .vgpr_spill_count: 0
    .wavefront_size: 32
    .workgroup_processor_mode: 1
  - .args:
      - .offset:         0
        .size:           176
        .value_kind:     by_value
    .group_segment_fixed_size: 0
    .kernarg_segment_align: 8
    .kernarg_segment_size: 176
    .language:       OpenCL C
    .language_version:
      - 2
      - 0
    .max_flat_workgroup_size: 256
    .name:           _ZN7rocprim17ROCPRIM_400000_NS6detail17trampoline_kernelINS0_13select_configILj256ELj13ELNS0_17block_load_methodE3ELS4_3ELS4_3ELNS0_20block_scan_algorithmE0ELj4294967295EEENS1_25partition_config_selectorILNS1_17partition_subalgoE4EjNS0_10empty_typeEbEEZZNS1_14partition_implILS8_4ELb0ES6_15HIP_vector_typeIjLj2EENS0_17counting_iteratorIjlEEPS9_SG_NS0_5tupleIJPjSI_NS0_16reverse_iteratorISI_EEEEENSH_IJSG_SG_SG_EEES9_SI_JZNS1_25segmented_radix_sort_implINS0_14default_configELb0EPKfPfPKlPlN2at6native12_GLOBAL__N_18offset_tEEE10hipError_tPvRmT1_PNSt15iterator_traitsIS12_E10value_typeET2_T3_PNS13_IS18_E10value_typeET4_jRbjT5_S1E_jjP12ihipStream_tbEUljE_ZNSN_ISO_Lb0ESQ_SR_ST_SU_SY_EESZ_S10_S11_S12_S16_S17_S18_S1B_S1C_jS1D_jS1E_S1E_jjS1G_bEUljE0_EEESZ_S10_S11_S18_S1C_S1E_T6_T7_T9_mT8_S1G_bDpT10_ENKUlT_T0_E_clISt17integral_constantIbLb0EES1U_EEDaS1P_S1Q_EUlS1P_E_NS1_11comp_targetILNS1_3genE3ELNS1_11target_archE908ELNS1_3gpuE7ELNS1_3repE0EEENS1_30default_config_static_selectorELNS0_4arch9wavefront6targetE0EEEvS12_
    .private_segment_fixed_size: 0
    .sgpr_count:     0
    .sgpr_spill_count: 0
    .symbol:         _ZN7rocprim17ROCPRIM_400000_NS6detail17trampoline_kernelINS0_13select_configILj256ELj13ELNS0_17block_load_methodE3ELS4_3ELS4_3ELNS0_20block_scan_algorithmE0ELj4294967295EEENS1_25partition_config_selectorILNS1_17partition_subalgoE4EjNS0_10empty_typeEbEEZZNS1_14partition_implILS8_4ELb0ES6_15HIP_vector_typeIjLj2EENS0_17counting_iteratorIjlEEPS9_SG_NS0_5tupleIJPjSI_NS0_16reverse_iteratorISI_EEEEENSH_IJSG_SG_SG_EEES9_SI_JZNS1_25segmented_radix_sort_implINS0_14default_configELb0EPKfPfPKlPlN2at6native12_GLOBAL__N_18offset_tEEE10hipError_tPvRmT1_PNSt15iterator_traitsIS12_E10value_typeET2_T3_PNS13_IS18_E10value_typeET4_jRbjT5_S1E_jjP12ihipStream_tbEUljE_ZNSN_ISO_Lb0ESQ_SR_ST_SU_SY_EESZ_S10_S11_S12_S16_S17_S18_S1B_S1C_jS1D_jS1E_S1E_jjS1G_bEUljE0_EEESZ_S10_S11_S18_S1C_S1E_T6_T7_T9_mT8_S1G_bDpT10_ENKUlT_T0_E_clISt17integral_constantIbLb0EES1U_EEDaS1P_S1Q_EUlS1P_E_NS1_11comp_targetILNS1_3genE3ELNS1_11target_archE908ELNS1_3gpuE7ELNS1_3repE0EEENS1_30default_config_static_selectorELNS0_4arch9wavefront6targetE0EEEvS12_.kd
    .uniform_work_group_size: 1
    .uses_dynamic_stack: false
    .vgpr_count:     0
    .vgpr_spill_count: 0
    .wavefront_size: 32
    .workgroup_processor_mode: 1
  - .args:
      - .offset:         0
        .size:           176
        .value_kind:     by_value
    .group_segment_fixed_size: 0
    .kernarg_segment_align: 8
    .kernarg_segment_size: 176
    .language:       OpenCL C
    .language_version:
      - 2
      - 0
    .max_flat_workgroup_size: 256
    .name:           _ZN7rocprim17ROCPRIM_400000_NS6detail17trampoline_kernelINS0_13select_configILj256ELj13ELNS0_17block_load_methodE3ELS4_3ELS4_3ELNS0_20block_scan_algorithmE0ELj4294967295EEENS1_25partition_config_selectorILNS1_17partition_subalgoE4EjNS0_10empty_typeEbEEZZNS1_14partition_implILS8_4ELb0ES6_15HIP_vector_typeIjLj2EENS0_17counting_iteratorIjlEEPS9_SG_NS0_5tupleIJPjSI_NS0_16reverse_iteratorISI_EEEEENSH_IJSG_SG_SG_EEES9_SI_JZNS1_25segmented_radix_sort_implINS0_14default_configELb0EPKfPfPKlPlN2at6native12_GLOBAL__N_18offset_tEEE10hipError_tPvRmT1_PNSt15iterator_traitsIS12_E10value_typeET2_T3_PNS13_IS18_E10value_typeET4_jRbjT5_S1E_jjP12ihipStream_tbEUljE_ZNSN_ISO_Lb0ESQ_SR_ST_SU_SY_EESZ_S10_S11_S12_S16_S17_S18_S1B_S1C_jS1D_jS1E_S1E_jjS1G_bEUljE0_EEESZ_S10_S11_S18_S1C_S1E_T6_T7_T9_mT8_S1G_bDpT10_ENKUlT_T0_E_clISt17integral_constantIbLb0EES1U_EEDaS1P_S1Q_EUlS1P_E_NS1_11comp_targetILNS1_3genE2ELNS1_11target_archE906ELNS1_3gpuE6ELNS1_3repE0EEENS1_30default_config_static_selectorELNS0_4arch9wavefront6targetE0EEEvS12_
    .private_segment_fixed_size: 0
    .sgpr_count:     0
    .sgpr_spill_count: 0
    .symbol:         _ZN7rocprim17ROCPRIM_400000_NS6detail17trampoline_kernelINS0_13select_configILj256ELj13ELNS0_17block_load_methodE3ELS4_3ELS4_3ELNS0_20block_scan_algorithmE0ELj4294967295EEENS1_25partition_config_selectorILNS1_17partition_subalgoE4EjNS0_10empty_typeEbEEZZNS1_14partition_implILS8_4ELb0ES6_15HIP_vector_typeIjLj2EENS0_17counting_iteratorIjlEEPS9_SG_NS0_5tupleIJPjSI_NS0_16reverse_iteratorISI_EEEEENSH_IJSG_SG_SG_EEES9_SI_JZNS1_25segmented_radix_sort_implINS0_14default_configELb0EPKfPfPKlPlN2at6native12_GLOBAL__N_18offset_tEEE10hipError_tPvRmT1_PNSt15iterator_traitsIS12_E10value_typeET2_T3_PNS13_IS18_E10value_typeET4_jRbjT5_S1E_jjP12ihipStream_tbEUljE_ZNSN_ISO_Lb0ESQ_SR_ST_SU_SY_EESZ_S10_S11_S12_S16_S17_S18_S1B_S1C_jS1D_jS1E_S1E_jjS1G_bEUljE0_EEESZ_S10_S11_S18_S1C_S1E_T6_T7_T9_mT8_S1G_bDpT10_ENKUlT_T0_E_clISt17integral_constantIbLb0EES1U_EEDaS1P_S1Q_EUlS1P_E_NS1_11comp_targetILNS1_3genE2ELNS1_11target_archE906ELNS1_3gpuE6ELNS1_3repE0EEENS1_30default_config_static_selectorELNS0_4arch9wavefront6targetE0EEEvS12_.kd
    .uniform_work_group_size: 1
    .uses_dynamic_stack: false
    .vgpr_count:     0
    .vgpr_spill_count: 0
    .wavefront_size: 32
    .workgroup_processor_mode: 1
  - .args:
      - .offset:         0
        .size:           176
        .value_kind:     by_value
    .group_segment_fixed_size: 0
    .kernarg_segment_align: 8
    .kernarg_segment_size: 176
    .language:       OpenCL C
    .language_version:
      - 2
      - 0
    .max_flat_workgroup_size: 256
    .name:           _ZN7rocprim17ROCPRIM_400000_NS6detail17trampoline_kernelINS0_13select_configILj256ELj13ELNS0_17block_load_methodE3ELS4_3ELS4_3ELNS0_20block_scan_algorithmE0ELj4294967295EEENS1_25partition_config_selectorILNS1_17partition_subalgoE4EjNS0_10empty_typeEbEEZZNS1_14partition_implILS8_4ELb0ES6_15HIP_vector_typeIjLj2EENS0_17counting_iteratorIjlEEPS9_SG_NS0_5tupleIJPjSI_NS0_16reverse_iteratorISI_EEEEENSH_IJSG_SG_SG_EEES9_SI_JZNS1_25segmented_radix_sort_implINS0_14default_configELb0EPKfPfPKlPlN2at6native12_GLOBAL__N_18offset_tEEE10hipError_tPvRmT1_PNSt15iterator_traitsIS12_E10value_typeET2_T3_PNS13_IS18_E10value_typeET4_jRbjT5_S1E_jjP12ihipStream_tbEUljE_ZNSN_ISO_Lb0ESQ_SR_ST_SU_SY_EESZ_S10_S11_S12_S16_S17_S18_S1B_S1C_jS1D_jS1E_S1E_jjS1G_bEUljE0_EEESZ_S10_S11_S18_S1C_S1E_T6_T7_T9_mT8_S1G_bDpT10_ENKUlT_T0_E_clISt17integral_constantIbLb0EES1U_EEDaS1P_S1Q_EUlS1P_E_NS1_11comp_targetILNS1_3genE10ELNS1_11target_archE1200ELNS1_3gpuE4ELNS1_3repE0EEENS1_30default_config_static_selectorELNS0_4arch9wavefront6targetE0EEEvS12_
    .private_segment_fixed_size: 0
    .sgpr_count:     0
    .sgpr_spill_count: 0
    .symbol:         _ZN7rocprim17ROCPRIM_400000_NS6detail17trampoline_kernelINS0_13select_configILj256ELj13ELNS0_17block_load_methodE3ELS4_3ELS4_3ELNS0_20block_scan_algorithmE0ELj4294967295EEENS1_25partition_config_selectorILNS1_17partition_subalgoE4EjNS0_10empty_typeEbEEZZNS1_14partition_implILS8_4ELb0ES6_15HIP_vector_typeIjLj2EENS0_17counting_iteratorIjlEEPS9_SG_NS0_5tupleIJPjSI_NS0_16reverse_iteratorISI_EEEEENSH_IJSG_SG_SG_EEES9_SI_JZNS1_25segmented_radix_sort_implINS0_14default_configELb0EPKfPfPKlPlN2at6native12_GLOBAL__N_18offset_tEEE10hipError_tPvRmT1_PNSt15iterator_traitsIS12_E10value_typeET2_T3_PNS13_IS18_E10value_typeET4_jRbjT5_S1E_jjP12ihipStream_tbEUljE_ZNSN_ISO_Lb0ESQ_SR_ST_SU_SY_EESZ_S10_S11_S12_S16_S17_S18_S1B_S1C_jS1D_jS1E_S1E_jjS1G_bEUljE0_EEESZ_S10_S11_S18_S1C_S1E_T6_T7_T9_mT8_S1G_bDpT10_ENKUlT_T0_E_clISt17integral_constantIbLb0EES1U_EEDaS1P_S1Q_EUlS1P_E_NS1_11comp_targetILNS1_3genE10ELNS1_11target_archE1200ELNS1_3gpuE4ELNS1_3repE0EEENS1_30default_config_static_selectorELNS0_4arch9wavefront6targetE0EEEvS12_.kd
    .uniform_work_group_size: 1
    .uses_dynamic_stack: false
    .vgpr_count:     0
    .vgpr_spill_count: 0
    .wavefront_size: 32
    .workgroup_processor_mode: 1
  - .args:
      - .offset:         0
        .size:           176
        .value_kind:     by_value
    .group_segment_fixed_size: 0
    .kernarg_segment_align: 8
    .kernarg_segment_size: 176
    .language:       OpenCL C
    .language_version:
      - 2
      - 0
    .max_flat_workgroup_size: 256
    .name:           _ZN7rocprim17ROCPRIM_400000_NS6detail17trampoline_kernelINS0_13select_configILj256ELj13ELNS0_17block_load_methodE3ELS4_3ELS4_3ELNS0_20block_scan_algorithmE0ELj4294967295EEENS1_25partition_config_selectorILNS1_17partition_subalgoE4EjNS0_10empty_typeEbEEZZNS1_14partition_implILS8_4ELb0ES6_15HIP_vector_typeIjLj2EENS0_17counting_iteratorIjlEEPS9_SG_NS0_5tupleIJPjSI_NS0_16reverse_iteratorISI_EEEEENSH_IJSG_SG_SG_EEES9_SI_JZNS1_25segmented_radix_sort_implINS0_14default_configELb0EPKfPfPKlPlN2at6native12_GLOBAL__N_18offset_tEEE10hipError_tPvRmT1_PNSt15iterator_traitsIS12_E10value_typeET2_T3_PNS13_IS18_E10value_typeET4_jRbjT5_S1E_jjP12ihipStream_tbEUljE_ZNSN_ISO_Lb0ESQ_SR_ST_SU_SY_EESZ_S10_S11_S12_S16_S17_S18_S1B_S1C_jS1D_jS1E_S1E_jjS1G_bEUljE0_EEESZ_S10_S11_S18_S1C_S1E_T6_T7_T9_mT8_S1G_bDpT10_ENKUlT_T0_E_clISt17integral_constantIbLb0EES1U_EEDaS1P_S1Q_EUlS1P_E_NS1_11comp_targetILNS1_3genE9ELNS1_11target_archE1100ELNS1_3gpuE3ELNS1_3repE0EEENS1_30default_config_static_selectorELNS0_4arch9wavefront6targetE0EEEvS12_
    .private_segment_fixed_size: 0
    .sgpr_count:     0
    .sgpr_spill_count: 0
    .symbol:         _ZN7rocprim17ROCPRIM_400000_NS6detail17trampoline_kernelINS0_13select_configILj256ELj13ELNS0_17block_load_methodE3ELS4_3ELS4_3ELNS0_20block_scan_algorithmE0ELj4294967295EEENS1_25partition_config_selectorILNS1_17partition_subalgoE4EjNS0_10empty_typeEbEEZZNS1_14partition_implILS8_4ELb0ES6_15HIP_vector_typeIjLj2EENS0_17counting_iteratorIjlEEPS9_SG_NS0_5tupleIJPjSI_NS0_16reverse_iteratorISI_EEEEENSH_IJSG_SG_SG_EEES9_SI_JZNS1_25segmented_radix_sort_implINS0_14default_configELb0EPKfPfPKlPlN2at6native12_GLOBAL__N_18offset_tEEE10hipError_tPvRmT1_PNSt15iterator_traitsIS12_E10value_typeET2_T3_PNS13_IS18_E10value_typeET4_jRbjT5_S1E_jjP12ihipStream_tbEUljE_ZNSN_ISO_Lb0ESQ_SR_ST_SU_SY_EESZ_S10_S11_S12_S16_S17_S18_S1B_S1C_jS1D_jS1E_S1E_jjS1G_bEUljE0_EEESZ_S10_S11_S18_S1C_S1E_T6_T7_T9_mT8_S1G_bDpT10_ENKUlT_T0_E_clISt17integral_constantIbLb0EES1U_EEDaS1P_S1Q_EUlS1P_E_NS1_11comp_targetILNS1_3genE9ELNS1_11target_archE1100ELNS1_3gpuE3ELNS1_3repE0EEENS1_30default_config_static_selectorELNS0_4arch9wavefront6targetE0EEEvS12_.kd
    .uniform_work_group_size: 1
    .uses_dynamic_stack: false
    .vgpr_count:     0
    .vgpr_spill_count: 0
    .wavefront_size: 32
    .workgroup_processor_mode: 1
  - .args:
      - .offset:         0
        .size:           176
        .value_kind:     by_value
    .group_segment_fixed_size: 13328
    .kernarg_segment_align: 8
    .kernarg_segment_size: 176
    .language:       OpenCL C
    .language_version:
      - 2
      - 0
    .max_flat_workgroup_size: 256
    .name:           _ZN7rocprim17ROCPRIM_400000_NS6detail17trampoline_kernelINS0_13select_configILj256ELj13ELNS0_17block_load_methodE3ELS4_3ELS4_3ELNS0_20block_scan_algorithmE0ELj4294967295EEENS1_25partition_config_selectorILNS1_17partition_subalgoE4EjNS0_10empty_typeEbEEZZNS1_14partition_implILS8_4ELb0ES6_15HIP_vector_typeIjLj2EENS0_17counting_iteratorIjlEEPS9_SG_NS0_5tupleIJPjSI_NS0_16reverse_iteratorISI_EEEEENSH_IJSG_SG_SG_EEES9_SI_JZNS1_25segmented_radix_sort_implINS0_14default_configELb0EPKfPfPKlPlN2at6native12_GLOBAL__N_18offset_tEEE10hipError_tPvRmT1_PNSt15iterator_traitsIS12_E10value_typeET2_T3_PNS13_IS18_E10value_typeET4_jRbjT5_S1E_jjP12ihipStream_tbEUljE_ZNSN_ISO_Lb0ESQ_SR_ST_SU_SY_EESZ_S10_S11_S12_S16_S17_S18_S1B_S1C_jS1D_jS1E_S1E_jjS1G_bEUljE0_EEESZ_S10_S11_S18_S1C_S1E_T6_T7_T9_mT8_S1G_bDpT10_ENKUlT_T0_E_clISt17integral_constantIbLb0EES1U_EEDaS1P_S1Q_EUlS1P_E_NS1_11comp_targetILNS1_3genE8ELNS1_11target_archE1030ELNS1_3gpuE2ELNS1_3repE0EEENS1_30default_config_static_selectorELNS0_4arch9wavefront6targetE0EEEvS12_
    .private_segment_fixed_size: 0
    .sgpr_count:     61
    .sgpr_spill_count: 0
    .symbol:         _ZN7rocprim17ROCPRIM_400000_NS6detail17trampoline_kernelINS0_13select_configILj256ELj13ELNS0_17block_load_methodE3ELS4_3ELS4_3ELNS0_20block_scan_algorithmE0ELj4294967295EEENS1_25partition_config_selectorILNS1_17partition_subalgoE4EjNS0_10empty_typeEbEEZZNS1_14partition_implILS8_4ELb0ES6_15HIP_vector_typeIjLj2EENS0_17counting_iteratorIjlEEPS9_SG_NS0_5tupleIJPjSI_NS0_16reverse_iteratorISI_EEEEENSH_IJSG_SG_SG_EEES9_SI_JZNS1_25segmented_radix_sort_implINS0_14default_configELb0EPKfPfPKlPlN2at6native12_GLOBAL__N_18offset_tEEE10hipError_tPvRmT1_PNSt15iterator_traitsIS12_E10value_typeET2_T3_PNS13_IS18_E10value_typeET4_jRbjT5_S1E_jjP12ihipStream_tbEUljE_ZNSN_ISO_Lb0ESQ_SR_ST_SU_SY_EESZ_S10_S11_S12_S16_S17_S18_S1B_S1C_jS1D_jS1E_S1E_jjS1G_bEUljE0_EEESZ_S10_S11_S18_S1C_S1E_T6_T7_T9_mT8_S1G_bDpT10_ENKUlT_T0_E_clISt17integral_constantIbLb0EES1U_EEDaS1P_S1Q_EUlS1P_E_NS1_11comp_targetILNS1_3genE8ELNS1_11target_archE1030ELNS1_3gpuE2ELNS1_3repE0EEENS1_30default_config_static_selectorELNS0_4arch9wavefront6targetE0EEEvS12_.kd
    .uniform_work_group_size: 1
    .uses_dynamic_stack: false
    .vgpr_count:     82
    .vgpr_spill_count: 0
    .wavefront_size: 32
    .workgroup_processor_mode: 1
  - .args:
      - .offset:         0
        .size:           184
        .value_kind:     by_value
    .group_segment_fixed_size: 0
    .kernarg_segment_align: 8
    .kernarg_segment_size: 184
    .language:       OpenCL C
    .language_version:
      - 2
      - 0
    .max_flat_workgroup_size: 256
    .name:           _ZN7rocprim17ROCPRIM_400000_NS6detail17trampoline_kernelINS0_13select_configILj256ELj13ELNS0_17block_load_methodE3ELS4_3ELS4_3ELNS0_20block_scan_algorithmE0ELj4294967295EEENS1_25partition_config_selectorILNS1_17partition_subalgoE4EjNS0_10empty_typeEbEEZZNS1_14partition_implILS8_4ELb0ES6_15HIP_vector_typeIjLj2EENS0_17counting_iteratorIjlEEPS9_SG_NS0_5tupleIJPjSI_NS0_16reverse_iteratorISI_EEEEENSH_IJSG_SG_SG_EEES9_SI_JZNS1_25segmented_radix_sort_implINS0_14default_configELb0EPKfPfPKlPlN2at6native12_GLOBAL__N_18offset_tEEE10hipError_tPvRmT1_PNSt15iterator_traitsIS12_E10value_typeET2_T3_PNS13_IS18_E10value_typeET4_jRbjT5_S1E_jjP12ihipStream_tbEUljE_ZNSN_ISO_Lb0ESQ_SR_ST_SU_SY_EESZ_S10_S11_S12_S16_S17_S18_S1B_S1C_jS1D_jS1E_S1E_jjS1G_bEUljE0_EEESZ_S10_S11_S18_S1C_S1E_T6_T7_T9_mT8_S1G_bDpT10_ENKUlT_T0_E_clISt17integral_constantIbLb1EES1U_EEDaS1P_S1Q_EUlS1P_E_NS1_11comp_targetILNS1_3genE0ELNS1_11target_archE4294967295ELNS1_3gpuE0ELNS1_3repE0EEENS1_30default_config_static_selectorELNS0_4arch9wavefront6targetE0EEEvS12_
    .private_segment_fixed_size: 0
    .sgpr_count:     0
    .sgpr_spill_count: 0
    .symbol:         _ZN7rocprim17ROCPRIM_400000_NS6detail17trampoline_kernelINS0_13select_configILj256ELj13ELNS0_17block_load_methodE3ELS4_3ELS4_3ELNS0_20block_scan_algorithmE0ELj4294967295EEENS1_25partition_config_selectorILNS1_17partition_subalgoE4EjNS0_10empty_typeEbEEZZNS1_14partition_implILS8_4ELb0ES6_15HIP_vector_typeIjLj2EENS0_17counting_iteratorIjlEEPS9_SG_NS0_5tupleIJPjSI_NS0_16reverse_iteratorISI_EEEEENSH_IJSG_SG_SG_EEES9_SI_JZNS1_25segmented_radix_sort_implINS0_14default_configELb0EPKfPfPKlPlN2at6native12_GLOBAL__N_18offset_tEEE10hipError_tPvRmT1_PNSt15iterator_traitsIS12_E10value_typeET2_T3_PNS13_IS18_E10value_typeET4_jRbjT5_S1E_jjP12ihipStream_tbEUljE_ZNSN_ISO_Lb0ESQ_SR_ST_SU_SY_EESZ_S10_S11_S12_S16_S17_S18_S1B_S1C_jS1D_jS1E_S1E_jjS1G_bEUljE0_EEESZ_S10_S11_S18_S1C_S1E_T6_T7_T9_mT8_S1G_bDpT10_ENKUlT_T0_E_clISt17integral_constantIbLb1EES1U_EEDaS1P_S1Q_EUlS1P_E_NS1_11comp_targetILNS1_3genE0ELNS1_11target_archE4294967295ELNS1_3gpuE0ELNS1_3repE0EEENS1_30default_config_static_selectorELNS0_4arch9wavefront6targetE0EEEvS12_.kd
    .uniform_work_group_size: 1
    .uses_dynamic_stack: false
    .vgpr_count:     0
    .vgpr_spill_count: 0
    .wavefront_size: 32
    .workgroup_processor_mode: 1
  - .args:
      - .offset:         0
        .size:           184
        .value_kind:     by_value
    .group_segment_fixed_size: 0
    .kernarg_segment_align: 8
    .kernarg_segment_size: 184
    .language:       OpenCL C
    .language_version:
      - 2
      - 0
    .max_flat_workgroup_size: 256
    .name:           _ZN7rocprim17ROCPRIM_400000_NS6detail17trampoline_kernelINS0_13select_configILj256ELj13ELNS0_17block_load_methodE3ELS4_3ELS4_3ELNS0_20block_scan_algorithmE0ELj4294967295EEENS1_25partition_config_selectorILNS1_17partition_subalgoE4EjNS0_10empty_typeEbEEZZNS1_14partition_implILS8_4ELb0ES6_15HIP_vector_typeIjLj2EENS0_17counting_iteratorIjlEEPS9_SG_NS0_5tupleIJPjSI_NS0_16reverse_iteratorISI_EEEEENSH_IJSG_SG_SG_EEES9_SI_JZNS1_25segmented_radix_sort_implINS0_14default_configELb0EPKfPfPKlPlN2at6native12_GLOBAL__N_18offset_tEEE10hipError_tPvRmT1_PNSt15iterator_traitsIS12_E10value_typeET2_T3_PNS13_IS18_E10value_typeET4_jRbjT5_S1E_jjP12ihipStream_tbEUljE_ZNSN_ISO_Lb0ESQ_SR_ST_SU_SY_EESZ_S10_S11_S12_S16_S17_S18_S1B_S1C_jS1D_jS1E_S1E_jjS1G_bEUljE0_EEESZ_S10_S11_S18_S1C_S1E_T6_T7_T9_mT8_S1G_bDpT10_ENKUlT_T0_E_clISt17integral_constantIbLb1EES1U_EEDaS1P_S1Q_EUlS1P_E_NS1_11comp_targetILNS1_3genE5ELNS1_11target_archE942ELNS1_3gpuE9ELNS1_3repE0EEENS1_30default_config_static_selectorELNS0_4arch9wavefront6targetE0EEEvS12_
    .private_segment_fixed_size: 0
    .sgpr_count:     0
    .sgpr_spill_count: 0
    .symbol:         _ZN7rocprim17ROCPRIM_400000_NS6detail17trampoline_kernelINS0_13select_configILj256ELj13ELNS0_17block_load_methodE3ELS4_3ELS4_3ELNS0_20block_scan_algorithmE0ELj4294967295EEENS1_25partition_config_selectorILNS1_17partition_subalgoE4EjNS0_10empty_typeEbEEZZNS1_14partition_implILS8_4ELb0ES6_15HIP_vector_typeIjLj2EENS0_17counting_iteratorIjlEEPS9_SG_NS0_5tupleIJPjSI_NS0_16reverse_iteratorISI_EEEEENSH_IJSG_SG_SG_EEES9_SI_JZNS1_25segmented_radix_sort_implINS0_14default_configELb0EPKfPfPKlPlN2at6native12_GLOBAL__N_18offset_tEEE10hipError_tPvRmT1_PNSt15iterator_traitsIS12_E10value_typeET2_T3_PNS13_IS18_E10value_typeET4_jRbjT5_S1E_jjP12ihipStream_tbEUljE_ZNSN_ISO_Lb0ESQ_SR_ST_SU_SY_EESZ_S10_S11_S12_S16_S17_S18_S1B_S1C_jS1D_jS1E_S1E_jjS1G_bEUljE0_EEESZ_S10_S11_S18_S1C_S1E_T6_T7_T9_mT8_S1G_bDpT10_ENKUlT_T0_E_clISt17integral_constantIbLb1EES1U_EEDaS1P_S1Q_EUlS1P_E_NS1_11comp_targetILNS1_3genE5ELNS1_11target_archE942ELNS1_3gpuE9ELNS1_3repE0EEENS1_30default_config_static_selectorELNS0_4arch9wavefront6targetE0EEEvS12_.kd
    .uniform_work_group_size: 1
    .uses_dynamic_stack: false
    .vgpr_count:     0
    .vgpr_spill_count: 0
    .wavefront_size: 32
    .workgroup_processor_mode: 1
  - .args:
      - .offset:         0
        .size:           184
        .value_kind:     by_value
    .group_segment_fixed_size: 0
    .kernarg_segment_align: 8
    .kernarg_segment_size: 184
    .language:       OpenCL C
    .language_version:
      - 2
      - 0
    .max_flat_workgroup_size: 256
    .name:           _ZN7rocprim17ROCPRIM_400000_NS6detail17trampoline_kernelINS0_13select_configILj256ELj13ELNS0_17block_load_methodE3ELS4_3ELS4_3ELNS0_20block_scan_algorithmE0ELj4294967295EEENS1_25partition_config_selectorILNS1_17partition_subalgoE4EjNS0_10empty_typeEbEEZZNS1_14partition_implILS8_4ELb0ES6_15HIP_vector_typeIjLj2EENS0_17counting_iteratorIjlEEPS9_SG_NS0_5tupleIJPjSI_NS0_16reverse_iteratorISI_EEEEENSH_IJSG_SG_SG_EEES9_SI_JZNS1_25segmented_radix_sort_implINS0_14default_configELb0EPKfPfPKlPlN2at6native12_GLOBAL__N_18offset_tEEE10hipError_tPvRmT1_PNSt15iterator_traitsIS12_E10value_typeET2_T3_PNS13_IS18_E10value_typeET4_jRbjT5_S1E_jjP12ihipStream_tbEUljE_ZNSN_ISO_Lb0ESQ_SR_ST_SU_SY_EESZ_S10_S11_S12_S16_S17_S18_S1B_S1C_jS1D_jS1E_S1E_jjS1G_bEUljE0_EEESZ_S10_S11_S18_S1C_S1E_T6_T7_T9_mT8_S1G_bDpT10_ENKUlT_T0_E_clISt17integral_constantIbLb1EES1U_EEDaS1P_S1Q_EUlS1P_E_NS1_11comp_targetILNS1_3genE4ELNS1_11target_archE910ELNS1_3gpuE8ELNS1_3repE0EEENS1_30default_config_static_selectorELNS0_4arch9wavefront6targetE0EEEvS12_
    .private_segment_fixed_size: 0
    .sgpr_count:     0
    .sgpr_spill_count: 0
    .symbol:         _ZN7rocprim17ROCPRIM_400000_NS6detail17trampoline_kernelINS0_13select_configILj256ELj13ELNS0_17block_load_methodE3ELS4_3ELS4_3ELNS0_20block_scan_algorithmE0ELj4294967295EEENS1_25partition_config_selectorILNS1_17partition_subalgoE4EjNS0_10empty_typeEbEEZZNS1_14partition_implILS8_4ELb0ES6_15HIP_vector_typeIjLj2EENS0_17counting_iteratorIjlEEPS9_SG_NS0_5tupleIJPjSI_NS0_16reverse_iteratorISI_EEEEENSH_IJSG_SG_SG_EEES9_SI_JZNS1_25segmented_radix_sort_implINS0_14default_configELb0EPKfPfPKlPlN2at6native12_GLOBAL__N_18offset_tEEE10hipError_tPvRmT1_PNSt15iterator_traitsIS12_E10value_typeET2_T3_PNS13_IS18_E10value_typeET4_jRbjT5_S1E_jjP12ihipStream_tbEUljE_ZNSN_ISO_Lb0ESQ_SR_ST_SU_SY_EESZ_S10_S11_S12_S16_S17_S18_S1B_S1C_jS1D_jS1E_S1E_jjS1G_bEUljE0_EEESZ_S10_S11_S18_S1C_S1E_T6_T7_T9_mT8_S1G_bDpT10_ENKUlT_T0_E_clISt17integral_constantIbLb1EES1U_EEDaS1P_S1Q_EUlS1P_E_NS1_11comp_targetILNS1_3genE4ELNS1_11target_archE910ELNS1_3gpuE8ELNS1_3repE0EEENS1_30default_config_static_selectorELNS0_4arch9wavefront6targetE0EEEvS12_.kd
    .uniform_work_group_size: 1
    .uses_dynamic_stack: false
    .vgpr_count:     0
    .vgpr_spill_count: 0
    .wavefront_size: 32
    .workgroup_processor_mode: 1
  - .args:
      - .offset:         0
        .size:           184
        .value_kind:     by_value
    .group_segment_fixed_size: 0
    .kernarg_segment_align: 8
    .kernarg_segment_size: 184
    .language:       OpenCL C
    .language_version:
      - 2
      - 0
    .max_flat_workgroup_size: 256
    .name:           _ZN7rocprim17ROCPRIM_400000_NS6detail17trampoline_kernelINS0_13select_configILj256ELj13ELNS0_17block_load_methodE3ELS4_3ELS4_3ELNS0_20block_scan_algorithmE0ELj4294967295EEENS1_25partition_config_selectorILNS1_17partition_subalgoE4EjNS0_10empty_typeEbEEZZNS1_14partition_implILS8_4ELb0ES6_15HIP_vector_typeIjLj2EENS0_17counting_iteratorIjlEEPS9_SG_NS0_5tupleIJPjSI_NS0_16reverse_iteratorISI_EEEEENSH_IJSG_SG_SG_EEES9_SI_JZNS1_25segmented_radix_sort_implINS0_14default_configELb0EPKfPfPKlPlN2at6native12_GLOBAL__N_18offset_tEEE10hipError_tPvRmT1_PNSt15iterator_traitsIS12_E10value_typeET2_T3_PNS13_IS18_E10value_typeET4_jRbjT5_S1E_jjP12ihipStream_tbEUljE_ZNSN_ISO_Lb0ESQ_SR_ST_SU_SY_EESZ_S10_S11_S12_S16_S17_S18_S1B_S1C_jS1D_jS1E_S1E_jjS1G_bEUljE0_EEESZ_S10_S11_S18_S1C_S1E_T6_T7_T9_mT8_S1G_bDpT10_ENKUlT_T0_E_clISt17integral_constantIbLb1EES1U_EEDaS1P_S1Q_EUlS1P_E_NS1_11comp_targetILNS1_3genE3ELNS1_11target_archE908ELNS1_3gpuE7ELNS1_3repE0EEENS1_30default_config_static_selectorELNS0_4arch9wavefront6targetE0EEEvS12_
    .private_segment_fixed_size: 0
    .sgpr_count:     0
    .sgpr_spill_count: 0
    .symbol:         _ZN7rocprim17ROCPRIM_400000_NS6detail17trampoline_kernelINS0_13select_configILj256ELj13ELNS0_17block_load_methodE3ELS4_3ELS4_3ELNS0_20block_scan_algorithmE0ELj4294967295EEENS1_25partition_config_selectorILNS1_17partition_subalgoE4EjNS0_10empty_typeEbEEZZNS1_14partition_implILS8_4ELb0ES6_15HIP_vector_typeIjLj2EENS0_17counting_iteratorIjlEEPS9_SG_NS0_5tupleIJPjSI_NS0_16reverse_iteratorISI_EEEEENSH_IJSG_SG_SG_EEES9_SI_JZNS1_25segmented_radix_sort_implINS0_14default_configELb0EPKfPfPKlPlN2at6native12_GLOBAL__N_18offset_tEEE10hipError_tPvRmT1_PNSt15iterator_traitsIS12_E10value_typeET2_T3_PNS13_IS18_E10value_typeET4_jRbjT5_S1E_jjP12ihipStream_tbEUljE_ZNSN_ISO_Lb0ESQ_SR_ST_SU_SY_EESZ_S10_S11_S12_S16_S17_S18_S1B_S1C_jS1D_jS1E_S1E_jjS1G_bEUljE0_EEESZ_S10_S11_S18_S1C_S1E_T6_T7_T9_mT8_S1G_bDpT10_ENKUlT_T0_E_clISt17integral_constantIbLb1EES1U_EEDaS1P_S1Q_EUlS1P_E_NS1_11comp_targetILNS1_3genE3ELNS1_11target_archE908ELNS1_3gpuE7ELNS1_3repE0EEENS1_30default_config_static_selectorELNS0_4arch9wavefront6targetE0EEEvS12_.kd
    .uniform_work_group_size: 1
    .uses_dynamic_stack: false
    .vgpr_count:     0
    .vgpr_spill_count: 0
    .wavefront_size: 32
    .workgroup_processor_mode: 1
  - .args:
      - .offset:         0
        .size:           184
        .value_kind:     by_value
    .group_segment_fixed_size: 0
    .kernarg_segment_align: 8
    .kernarg_segment_size: 184
    .language:       OpenCL C
    .language_version:
      - 2
      - 0
    .max_flat_workgroup_size: 256
    .name:           _ZN7rocprim17ROCPRIM_400000_NS6detail17trampoline_kernelINS0_13select_configILj256ELj13ELNS0_17block_load_methodE3ELS4_3ELS4_3ELNS0_20block_scan_algorithmE0ELj4294967295EEENS1_25partition_config_selectorILNS1_17partition_subalgoE4EjNS0_10empty_typeEbEEZZNS1_14partition_implILS8_4ELb0ES6_15HIP_vector_typeIjLj2EENS0_17counting_iteratorIjlEEPS9_SG_NS0_5tupleIJPjSI_NS0_16reverse_iteratorISI_EEEEENSH_IJSG_SG_SG_EEES9_SI_JZNS1_25segmented_radix_sort_implINS0_14default_configELb0EPKfPfPKlPlN2at6native12_GLOBAL__N_18offset_tEEE10hipError_tPvRmT1_PNSt15iterator_traitsIS12_E10value_typeET2_T3_PNS13_IS18_E10value_typeET4_jRbjT5_S1E_jjP12ihipStream_tbEUljE_ZNSN_ISO_Lb0ESQ_SR_ST_SU_SY_EESZ_S10_S11_S12_S16_S17_S18_S1B_S1C_jS1D_jS1E_S1E_jjS1G_bEUljE0_EEESZ_S10_S11_S18_S1C_S1E_T6_T7_T9_mT8_S1G_bDpT10_ENKUlT_T0_E_clISt17integral_constantIbLb1EES1U_EEDaS1P_S1Q_EUlS1P_E_NS1_11comp_targetILNS1_3genE2ELNS1_11target_archE906ELNS1_3gpuE6ELNS1_3repE0EEENS1_30default_config_static_selectorELNS0_4arch9wavefront6targetE0EEEvS12_
    .private_segment_fixed_size: 0
    .sgpr_count:     0
    .sgpr_spill_count: 0
    .symbol:         _ZN7rocprim17ROCPRIM_400000_NS6detail17trampoline_kernelINS0_13select_configILj256ELj13ELNS0_17block_load_methodE3ELS4_3ELS4_3ELNS0_20block_scan_algorithmE0ELj4294967295EEENS1_25partition_config_selectorILNS1_17partition_subalgoE4EjNS0_10empty_typeEbEEZZNS1_14partition_implILS8_4ELb0ES6_15HIP_vector_typeIjLj2EENS0_17counting_iteratorIjlEEPS9_SG_NS0_5tupleIJPjSI_NS0_16reverse_iteratorISI_EEEEENSH_IJSG_SG_SG_EEES9_SI_JZNS1_25segmented_radix_sort_implINS0_14default_configELb0EPKfPfPKlPlN2at6native12_GLOBAL__N_18offset_tEEE10hipError_tPvRmT1_PNSt15iterator_traitsIS12_E10value_typeET2_T3_PNS13_IS18_E10value_typeET4_jRbjT5_S1E_jjP12ihipStream_tbEUljE_ZNSN_ISO_Lb0ESQ_SR_ST_SU_SY_EESZ_S10_S11_S12_S16_S17_S18_S1B_S1C_jS1D_jS1E_S1E_jjS1G_bEUljE0_EEESZ_S10_S11_S18_S1C_S1E_T6_T7_T9_mT8_S1G_bDpT10_ENKUlT_T0_E_clISt17integral_constantIbLb1EES1U_EEDaS1P_S1Q_EUlS1P_E_NS1_11comp_targetILNS1_3genE2ELNS1_11target_archE906ELNS1_3gpuE6ELNS1_3repE0EEENS1_30default_config_static_selectorELNS0_4arch9wavefront6targetE0EEEvS12_.kd
    .uniform_work_group_size: 1
    .uses_dynamic_stack: false
    .vgpr_count:     0
    .vgpr_spill_count: 0
    .wavefront_size: 32
    .workgroup_processor_mode: 1
  - .args:
      - .offset:         0
        .size:           184
        .value_kind:     by_value
    .group_segment_fixed_size: 0
    .kernarg_segment_align: 8
    .kernarg_segment_size: 184
    .language:       OpenCL C
    .language_version:
      - 2
      - 0
    .max_flat_workgroup_size: 256
    .name:           _ZN7rocprim17ROCPRIM_400000_NS6detail17trampoline_kernelINS0_13select_configILj256ELj13ELNS0_17block_load_methodE3ELS4_3ELS4_3ELNS0_20block_scan_algorithmE0ELj4294967295EEENS1_25partition_config_selectorILNS1_17partition_subalgoE4EjNS0_10empty_typeEbEEZZNS1_14partition_implILS8_4ELb0ES6_15HIP_vector_typeIjLj2EENS0_17counting_iteratorIjlEEPS9_SG_NS0_5tupleIJPjSI_NS0_16reverse_iteratorISI_EEEEENSH_IJSG_SG_SG_EEES9_SI_JZNS1_25segmented_radix_sort_implINS0_14default_configELb0EPKfPfPKlPlN2at6native12_GLOBAL__N_18offset_tEEE10hipError_tPvRmT1_PNSt15iterator_traitsIS12_E10value_typeET2_T3_PNS13_IS18_E10value_typeET4_jRbjT5_S1E_jjP12ihipStream_tbEUljE_ZNSN_ISO_Lb0ESQ_SR_ST_SU_SY_EESZ_S10_S11_S12_S16_S17_S18_S1B_S1C_jS1D_jS1E_S1E_jjS1G_bEUljE0_EEESZ_S10_S11_S18_S1C_S1E_T6_T7_T9_mT8_S1G_bDpT10_ENKUlT_T0_E_clISt17integral_constantIbLb1EES1U_EEDaS1P_S1Q_EUlS1P_E_NS1_11comp_targetILNS1_3genE10ELNS1_11target_archE1200ELNS1_3gpuE4ELNS1_3repE0EEENS1_30default_config_static_selectorELNS0_4arch9wavefront6targetE0EEEvS12_
    .private_segment_fixed_size: 0
    .sgpr_count:     0
    .sgpr_spill_count: 0
    .symbol:         _ZN7rocprim17ROCPRIM_400000_NS6detail17trampoline_kernelINS0_13select_configILj256ELj13ELNS0_17block_load_methodE3ELS4_3ELS4_3ELNS0_20block_scan_algorithmE0ELj4294967295EEENS1_25partition_config_selectorILNS1_17partition_subalgoE4EjNS0_10empty_typeEbEEZZNS1_14partition_implILS8_4ELb0ES6_15HIP_vector_typeIjLj2EENS0_17counting_iteratorIjlEEPS9_SG_NS0_5tupleIJPjSI_NS0_16reverse_iteratorISI_EEEEENSH_IJSG_SG_SG_EEES9_SI_JZNS1_25segmented_radix_sort_implINS0_14default_configELb0EPKfPfPKlPlN2at6native12_GLOBAL__N_18offset_tEEE10hipError_tPvRmT1_PNSt15iterator_traitsIS12_E10value_typeET2_T3_PNS13_IS18_E10value_typeET4_jRbjT5_S1E_jjP12ihipStream_tbEUljE_ZNSN_ISO_Lb0ESQ_SR_ST_SU_SY_EESZ_S10_S11_S12_S16_S17_S18_S1B_S1C_jS1D_jS1E_S1E_jjS1G_bEUljE0_EEESZ_S10_S11_S18_S1C_S1E_T6_T7_T9_mT8_S1G_bDpT10_ENKUlT_T0_E_clISt17integral_constantIbLb1EES1U_EEDaS1P_S1Q_EUlS1P_E_NS1_11comp_targetILNS1_3genE10ELNS1_11target_archE1200ELNS1_3gpuE4ELNS1_3repE0EEENS1_30default_config_static_selectorELNS0_4arch9wavefront6targetE0EEEvS12_.kd
    .uniform_work_group_size: 1
    .uses_dynamic_stack: false
    .vgpr_count:     0
    .vgpr_spill_count: 0
    .wavefront_size: 32
    .workgroup_processor_mode: 1
  - .args:
      - .offset:         0
        .size:           184
        .value_kind:     by_value
    .group_segment_fixed_size: 0
    .kernarg_segment_align: 8
    .kernarg_segment_size: 184
    .language:       OpenCL C
    .language_version:
      - 2
      - 0
    .max_flat_workgroup_size: 256
    .name:           _ZN7rocprim17ROCPRIM_400000_NS6detail17trampoline_kernelINS0_13select_configILj256ELj13ELNS0_17block_load_methodE3ELS4_3ELS4_3ELNS0_20block_scan_algorithmE0ELj4294967295EEENS1_25partition_config_selectorILNS1_17partition_subalgoE4EjNS0_10empty_typeEbEEZZNS1_14partition_implILS8_4ELb0ES6_15HIP_vector_typeIjLj2EENS0_17counting_iteratorIjlEEPS9_SG_NS0_5tupleIJPjSI_NS0_16reverse_iteratorISI_EEEEENSH_IJSG_SG_SG_EEES9_SI_JZNS1_25segmented_radix_sort_implINS0_14default_configELb0EPKfPfPKlPlN2at6native12_GLOBAL__N_18offset_tEEE10hipError_tPvRmT1_PNSt15iterator_traitsIS12_E10value_typeET2_T3_PNS13_IS18_E10value_typeET4_jRbjT5_S1E_jjP12ihipStream_tbEUljE_ZNSN_ISO_Lb0ESQ_SR_ST_SU_SY_EESZ_S10_S11_S12_S16_S17_S18_S1B_S1C_jS1D_jS1E_S1E_jjS1G_bEUljE0_EEESZ_S10_S11_S18_S1C_S1E_T6_T7_T9_mT8_S1G_bDpT10_ENKUlT_T0_E_clISt17integral_constantIbLb1EES1U_EEDaS1P_S1Q_EUlS1P_E_NS1_11comp_targetILNS1_3genE9ELNS1_11target_archE1100ELNS1_3gpuE3ELNS1_3repE0EEENS1_30default_config_static_selectorELNS0_4arch9wavefront6targetE0EEEvS12_
    .private_segment_fixed_size: 0
    .sgpr_count:     0
    .sgpr_spill_count: 0
    .symbol:         _ZN7rocprim17ROCPRIM_400000_NS6detail17trampoline_kernelINS0_13select_configILj256ELj13ELNS0_17block_load_methodE3ELS4_3ELS4_3ELNS0_20block_scan_algorithmE0ELj4294967295EEENS1_25partition_config_selectorILNS1_17partition_subalgoE4EjNS0_10empty_typeEbEEZZNS1_14partition_implILS8_4ELb0ES6_15HIP_vector_typeIjLj2EENS0_17counting_iteratorIjlEEPS9_SG_NS0_5tupleIJPjSI_NS0_16reverse_iteratorISI_EEEEENSH_IJSG_SG_SG_EEES9_SI_JZNS1_25segmented_radix_sort_implINS0_14default_configELb0EPKfPfPKlPlN2at6native12_GLOBAL__N_18offset_tEEE10hipError_tPvRmT1_PNSt15iterator_traitsIS12_E10value_typeET2_T3_PNS13_IS18_E10value_typeET4_jRbjT5_S1E_jjP12ihipStream_tbEUljE_ZNSN_ISO_Lb0ESQ_SR_ST_SU_SY_EESZ_S10_S11_S12_S16_S17_S18_S1B_S1C_jS1D_jS1E_S1E_jjS1G_bEUljE0_EEESZ_S10_S11_S18_S1C_S1E_T6_T7_T9_mT8_S1G_bDpT10_ENKUlT_T0_E_clISt17integral_constantIbLb1EES1U_EEDaS1P_S1Q_EUlS1P_E_NS1_11comp_targetILNS1_3genE9ELNS1_11target_archE1100ELNS1_3gpuE3ELNS1_3repE0EEENS1_30default_config_static_selectorELNS0_4arch9wavefront6targetE0EEEvS12_.kd
    .uniform_work_group_size: 1
    .uses_dynamic_stack: false
    .vgpr_count:     0
    .vgpr_spill_count: 0
    .wavefront_size: 32
    .workgroup_processor_mode: 1
  - .args:
      - .offset:         0
        .size:           184
        .value_kind:     by_value
    .group_segment_fixed_size: 0
    .kernarg_segment_align: 8
    .kernarg_segment_size: 184
    .language:       OpenCL C
    .language_version:
      - 2
      - 0
    .max_flat_workgroup_size: 256
    .name:           _ZN7rocprim17ROCPRIM_400000_NS6detail17trampoline_kernelINS0_13select_configILj256ELj13ELNS0_17block_load_methodE3ELS4_3ELS4_3ELNS0_20block_scan_algorithmE0ELj4294967295EEENS1_25partition_config_selectorILNS1_17partition_subalgoE4EjNS0_10empty_typeEbEEZZNS1_14partition_implILS8_4ELb0ES6_15HIP_vector_typeIjLj2EENS0_17counting_iteratorIjlEEPS9_SG_NS0_5tupleIJPjSI_NS0_16reverse_iteratorISI_EEEEENSH_IJSG_SG_SG_EEES9_SI_JZNS1_25segmented_radix_sort_implINS0_14default_configELb0EPKfPfPKlPlN2at6native12_GLOBAL__N_18offset_tEEE10hipError_tPvRmT1_PNSt15iterator_traitsIS12_E10value_typeET2_T3_PNS13_IS18_E10value_typeET4_jRbjT5_S1E_jjP12ihipStream_tbEUljE_ZNSN_ISO_Lb0ESQ_SR_ST_SU_SY_EESZ_S10_S11_S12_S16_S17_S18_S1B_S1C_jS1D_jS1E_S1E_jjS1G_bEUljE0_EEESZ_S10_S11_S18_S1C_S1E_T6_T7_T9_mT8_S1G_bDpT10_ENKUlT_T0_E_clISt17integral_constantIbLb1EES1U_EEDaS1P_S1Q_EUlS1P_E_NS1_11comp_targetILNS1_3genE8ELNS1_11target_archE1030ELNS1_3gpuE2ELNS1_3repE0EEENS1_30default_config_static_selectorELNS0_4arch9wavefront6targetE0EEEvS12_
    .private_segment_fixed_size: 0
    .sgpr_count:     0
    .sgpr_spill_count: 0
    .symbol:         _ZN7rocprim17ROCPRIM_400000_NS6detail17trampoline_kernelINS0_13select_configILj256ELj13ELNS0_17block_load_methodE3ELS4_3ELS4_3ELNS0_20block_scan_algorithmE0ELj4294967295EEENS1_25partition_config_selectorILNS1_17partition_subalgoE4EjNS0_10empty_typeEbEEZZNS1_14partition_implILS8_4ELb0ES6_15HIP_vector_typeIjLj2EENS0_17counting_iteratorIjlEEPS9_SG_NS0_5tupleIJPjSI_NS0_16reverse_iteratorISI_EEEEENSH_IJSG_SG_SG_EEES9_SI_JZNS1_25segmented_radix_sort_implINS0_14default_configELb0EPKfPfPKlPlN2at6native12_GLOBAL__N_18offset_tEEE10hipError_tPvRmT1_PNSt15iterator_traitsIS12_E10value_typeET2_T3_PNS13_IS18_E10value_typeET4_jRbjT5_S1E_jjP12ihipStream_tbEUljE_ZNSN_ISO_Lb0ESQ_SR_ST_SU_SY_EESZ_S10_S11_S12_S16_S17_S18_S1B_S1C_jS1D_jS1E_S1E_jjS1G_bEUljE0_EEESZ_S10_S11_S18_S1C_S1E_T6_T7_T9_mT8_S1G_bDpT10_ENKUlT_T0_E_clISt17integral_constantIbLb1EES1U_EEDaS1P_S1Q_EUlS1P_E_NS1_11comp_targetILNS1_3genE8ELNS1_11target_archE1030ELNS1_3gpuE2ELNS1_3repE0EEENS1_30default_config_static_selectorELNS0_4arch9wavefront6targetE0EEEvS12_.kd
    .uniform_work_group_size: 1
    .uses_dynamic_stack: false
    .vgpr_count:     0
    .vgpr_spill_count: 0
    .wavefront_size: 32
    .workgroup_processor_mode: 1
  - .args:
      - .offset:         0
        .size:           176
        .value_kind:     by_value
    .group_segment_fixed_size: 0
    .kernarg_segment_align: 8
    .kernarg_segment_size: 176
    .language:       OpenCL C
    .language_version:
      - 2
      - 0
    .max_flat_workgroup_size: 256
    .name:           _ZN7rocprim17ROCPRIM_400000_NS6detail17trampoline_kernelINS0_13select_configILj256ELj13ELNS0_17block_load_methodE3ELS4_3ELS4_3ELNS0_20block_scan_algorithmE0ELj4294967295EEENS1_25partition_config_selectorILNS1_17partition_subalgoE4EjNS0_10empty_typeEbEEZZNS1_14partition_implILS8_4ELb0ES6_15HIP_vector_typeIjLj2EENS0_17counting_iteratorIjlEEPS9_SG_NS0_5tupleIJPjSI_NS0_16reverse_iteratorISI_EEEEENSH_IJSG_SG_SG_EEES9_SI_JZNS1_25segmented_radix_sort_implINS0_14default_configELb0EPKfPfPKlPlN2at6native12_GLOBAL__N_18offset_tEEE10hipError_tPvRmT1_PNSt15iterator_traitsIS12_E10value_typeET2_T3_PNS13_IS18_E10value_typeET4_jRbjT5_S1E_jjP12ihipStream_tbEUljE_ZNSN_ISO_Lb0ESQ_SR_ST_SU_SY_EESZ_S10_S11_S12_S16_S17_S18_S1B_S1C_jS1D_jS1E_S1E_jjS1G_bEUljE0_EEESZ_S10_S11_S18_S1C_S1E_T6_T7_T9_mT8_S1G_bDpT10_ENKUlT_T0_E_clISt17integral_constantIbLb1EES1T_IbLb0EEEEDaS1P_S1Q_EUlS1P_E_NS1_11comp_targetILNS1_3genE0ELNS1_11target_archE4294967295ELNS1_3gpuE0ELNS1_3repE0EEENS1_30default_config_static_selectorELNS0_4arch9wavefront6targetE0EEEvS12_
    .private_segment_fixed_size: 0
    .sgpr_count:     0
    .sgpr_spill_count: 0
    .symbol:         _ZN7rocprim17ROCPRIM_400000_NS6detail17trampoline_kernelINS0_13select_configILj256ELj13ELNS0_17block_load_methodE3ELS4_3ELS4_3ELNS0_20block_scan_algorithmE0ELj4294967295EEENS1_25partition_config_selectorILNS1_17partition_subalgoE4EjNS0_10empty_typeEbEEZZNS1_14partition_implILS8_4ELb0ES6_15HIP_vector_typeIjLj2EENS0_17counting_iteratorIjlEEPS9_SG_NS0_5tupleIJPjSI_NS0_16reverse_iteratorISI_EEEEENSH_IJSG_SG_SG_EEES9_SI_JZNS1_25segmented_radix_sort_implINS0_14default_configELb0EPKfPfPKlPlN2at6native12_GLOBAL__N_18offset_tEEE10hipError_tPvRmT1_PNSt15iterator_traitsIS12_E10value_typeET2_T3_PNS13_IS18_E10value_typeET4_jRbjT5_S1E_jjP12ihipStream_tbEUljE_ZNSN_ISO_Lb0ESQ_SR_ST_SU_SY_EESZ_S10_S11_S12_S16_S17_S18_S1B_S1C_jS1D_jS1E_S1E_jjS1G_bEUljE0_EEESZ_S10_S11_S18_S1C_S1E_T6_T7_T9_mT8_S1G_bDpT10_ENKUlT_T0_E_clISt17integral_constantIbLb1EES1T_IbLb0EEEEDaS1P_S1Q_EUlS1P_E_NS1_11comp_targetILNS1_3genE0ELNS1_11target_archE4294967295ELNS1_3gpuE0ELNS1_3repE0EEENS1_30default_config_static_selectorELNS0_4arch9wavefront6targetE0EEEvS12_.kd
    .uniform_work_group_size: 1
    .uses_dynamic_stack: false
    .vgpr_count:     0
    .vgpr_spill_count: 0
    .wavefront_size: 32
    .workgroup_processor_mode: 1
  - .args:
      - .offset:         0
        .size:           176
        .value_kind:     by_value
    .group_segment_fixed_size: 0
    .kernarg_segment_align: 8
    .kernarg_segment_size: 176
    .language:       OpenCL C
    .language_version:
      - 2
      - 0
    .max_flat_workgroup_size: 256
    .name:           _ZN7rocprim17ROCPRIM_400000_NS6detail17trampoline_kernelINS0_13select_configILj256ELj13ELNS0_17block_load_methodE3ELS4_3ELS4_3ELNS0_20block_scan_algorithmE0ELj4294967295EEENS1_25partition_config_selectorILNS1_17partition_subalgoE4EjNS0_10empty_typeEbEEZZNS1_14partition_implILS8_4ELb0ES6_15HIP_vector_typeIjLj2EENS0_17counting_iteratorIjlEEPS9_SG_NS0_5tupleIJPjSI_NS0_16reverse_iteratorISI_EEEEENSH_IJSG_SG_SG_EEES9_SI_JZNS1_25segmented_radix_sort_implINS0_14default_configELb0EPKfPfPKlPlN2at6native12_GLOBAL__N_18offset_tEEE10hipError_tPvRmT1_PNSt15iterator_traitsIS12_E10value_typeET2_T3_PNS13_IS18_E10value_typeET4_jRbjT5_S1E_jjP12ihipStream_tbEUljE_ZNSN_ISO_Lb0ESQ_SR_ST_SU_SY_EESZ_S10_S11_S12_S16_S17_S18_S1B_S1C_jS1D_jS1E_S1E_jjS1G_bEUljE0_EEESZ_S10_S11_S18_S1C_S1E_T6_T7_T9_mT8_S1G_bDpT10_ENKUlT_T0_E_clISt17integral_constantIbLb1EES1T_IbLb0EEEEDaS1P_S1Q_EUlS1P_E_NS1_11comp_targetILNS1_3genE5ELNS1_11target_archE942ELNS1_3gpuE9ELNS1_3repE0EEENS1_30default_config_static_selectorELNS0_4arch9wavefront6targetE0EEEvS12_
    .private_segment_fixed_size: 0
    .sgpr_count:     0
    .sgpr_spill_count: 0
    .symbol:         _ZN7rocprim17ROCPRIM_400000_NS6detail17trampoline_kernelINS0_13select_configILj256ELj13ELNS0_17block_load_methodE3ELS4_3ELS4_3ELNS0_20block_scan_algorithmE0ELj4294967295EEENS1_25partition_config_selectorILNS1_17partition_subalgoE4EjNS0_10empty_typeEbEEZZNS1_14partition_implILS8_4ELb0ES6_15HIP_vector_typeIjLj2EENS0_17counting_iteratorIjlEEPS9_SG_NS0_5tupleIJPjSI_NS0_16reverse_iteratorISI_EEEEENSH_IJSG_SG_SG_EEES9_SI_JZNS1_25segmented_radix_sort_implINS0_14default_configELb0EPKfPfPKlPlN2at6native12_GLOBAL__N_18offset_tEEE10hipError_tPvRmT1_PNSt15iterator_traitsIS12_E10value_typeET2_T3_PNS13_IS18_E10value_typeET4_jRbjT5_S1E_jjP12ihipStream_tbEUljE_ZNSN_ISO_Lb0ESQ_SR_ST_SU_SY_EESZ_S10_S11_S12_S16_S17_S18_S1B_S1C_jS1D_jS1E_S1E_jjS1G_bEUljE0_EEESZ_S10_S11_S18_S1C_S1E_T6_T7_T9_mT8_S1G_bDpT10_ENKUlT_T0_E_clISt17integral_constantIbLb1EES1T_IbLb0EEEEDaS1P_S1Q_EUlS1P_E_NS1_11comp_targetILNS1_3genE5ELNS1_11target_archE942ELNS1_3gpuE9ELNS1_3repE0EEENS1_30default_config_static_selectorELNS0_4arch9wavefront6targetE0EEEvS12_.kd
    .uniform_work_group_size: 1
    .uses_dynamic_stack: false
    .vgpr_count:     0
    .vgpr_spill_count: 0
    .wavefront_size: 32
    .workgroup_processor_mode: 1
  - .args:
      - .offset:         0
        .size:           176
        .value_kind:     by_value
    .group_segment_fixed_size: 0
    .kernarg_segment_align: 8
    .kernarg_segment_size: 176
    .language:       OpenCL C
    .language_version:
      - 2
      - 0
    .max_flat_workgroup_size: 256
    .name:           _ZN7rocprim17ROCPRIM_400000_NS6detail17trampoline_kernelINS0_13select_configILj256ELj13ELNS0_17block_load_methodE3ELS4_3ELS4_3ELNS0_20block_scan_algorithmE0ELj4294967295EEENS1_25partition_config_selectorILNS1_17partition_subalgoE4EjNS0_10empty_typeEbEEZZNS1_14partition_implILS8_4ELb0ES6_15HIP_vector_typeIjLj2EENS0_17counting_iteratorIjlEEPS9_SG_NS0_5tupleIJPjSI_NS0_16reverse_iteratorISI_EEEEENSH_IJSG_SG_SG_EEES9_SI_JZNS1_25segmented_radix_sort_implINS0_14default_configELb0EPKfPfPKlPlN2at6native12_GLOBAL__N_18offset_tEEE10hipError_tPvRmT1_PNSt15iterator_traitsIS12_E10value_typeET2_T3_PNS13_IS18_E10value_typeET4_jRbjT5_S1E_jjP12ihipStream_tbEUljE_ZNSN_ISO_Lb0ESQ_SR_ST_SU_SY_EESZ_S10_S11_S12_S16_S17_S18_S1B_S1C_jS1D_jS1E_S1E_jjS1G_bEUljE0_EEESZ_S10_S11_S18_S1C_S1E_T6_T7_T9_mT8_S1G_bDpT10_ENKUlT_T0_E_clISt17integral_constantIbLb1EES1T_IbLb0EEEEDaS1P_S1Q_EUlS1P_E_NS1_11comp_targetILNS1_3genE4ELNS1_11target_archE910ELNS1_3gpuE8ELNS1_3repE0EEENS1_30default_config_static_selectorELNS0_4arch9wavefront6targetE0EEEvS12_
    .private_segment_fixed_size: 0
    .sgpr_count:     0
    .sgpr_spill_count: 0
    .symbol:         _ZN7rocprim17ROCPRIM_400000_NS6detail17trampoline_kernelINS0_13select_configILj256ELj13ELNS0_17block_load_methodE3ELS4_3ELS4_3ELNS0_20block_scan_algorithmE0ELj4294967295EEENS1_25partition_config_selectorILNS1_17partition_subalgoE4EjNS0_10empty_typeEbEEZZNS1_14partition_implILS8_4ELb0ES6_15HIP_vector_typeIjLj2EENS0_17counting_iteratorIjlEEPS9_SG_NS0_5tupleIJPjSI_NS0_16reverse_iteratorISI_EEEEENSH_IJSG_SG_SG_EEES9_SI_JZNS1_25segmented_radix_sort_implINS0_14default_configELb0EPKfPfPKlPlN2at6native12_GLOBAL__N_18offset_tEEE10hipError_tPvRmT1_PNSt15iterator_traitsIS12_E10value_typeET2_T3_PNS13_IS18_E10value_typeET4_jRbjT5_S1E_jjP12ihipStream_tbEUljE_ZNSN_ISO_Lb0ESQ_SR_ST_SU_SY_EESZ_S10_S11_S12_S16_S17_S18_S1B_S1C_jS1D_jS1E_S1E_jjS1G_bEUljE0_EEESZ_S10_S11_S18_S1C_S1E_T6_T7_T9_mT8_S1G_bDpT10_ENKUlT_T0_E_clISt17integral_constantIbLb1EES1T_IbLb0EEEEDaS1P_S1Q_EUlS1P_E_NS1_11comp_targetILNS1_3genE4ELNS1_11target_archE910ELNS1_3gpuE8ELNS1_3repE0EEENS1_30default_config_static_selectorELNS0_4arch9wavefront6targetE0EEEvS12_.kd
    .uniform_work_group_size: 1
    .uses_dynamic_stack: false
    .vgpr_count:     0
    .vgpr_spill_count: 0
    .wavefront_size: 32
    .workgroup_processor_mode: 1
  - .args:
      - .offset:         0
        .size:           176
        .value_kind:     by_value
    .group_segment_fixed_size: 0
    .kernarg_segment_align: 8
    .kernarg_segment_size: 176
    .language:       OpenCL C
    .language_version:
      - 2
      - 0
    .max_flat_workgroup_size: 256
    .name:           _ZN7rocprim17ROCPRIM_400000_NS6detail17trampoline_kernelINS0_13select_configILj256ELj13ELNS0_17block_load_methodE3ELS4_3ELS4_3ELNS0_20block_scan_algorithmE0ELj4294967295EEENS1_25partition_config_selectorILNS1_17partition_subalgoE4EjNS0_10empty_typeEbEEZZNS1_14partition_implILS8_4ELb0ES6_15HIP_vector_typeIjLj2EENS0_17counting_iteratorIjlEEPS9_SG_NS0_5tupleIJPjSI_NS0_16reverse_iteratorISI_EEEEENSH_IJSG_SG_SG_EEES9_SI_JZNS1_25segmented_radix_sort_implINS0_14default_configELb0EPKfPfPKlPlN2at6native12_GLOBAL__N_18offset_tEEE10hipError_tPvRmT1_PNSt15iterator_traitsIS12_E10value_typeET2_T3_PNS13_IS18_E10value_typeET4_jRbjT5_S1E_jjP12ihipStream_tbEUljE_ZNSN_ISO_Lb0ESQ_SR_ST_SU_SY_EESZ_S10_S11_S12_S16_S17_S18_S1B_S1C_jS1D_jS1E_S1E_jjS1G_bEUljE0_EEESZ_S10_S11_S18_S1C_S1E_T6_T7_T9_mT8_S1G_bDpT10_ENKUlT_T0_E_clISt17integral_constantIbLb1EES1T_IbLb0EEEEDaS1P_S1Q_EUlS1P_E_NS1_11comp_targetILNS1_3genE3ELNS1_11target_archE908ELNS1_3gpuE7ELNS1_3repE0EEENS1_30default_config_static_selectorELNS0_4arch9wavefront6targetE0EEEvS12_
    .private_segment_fixed_size: 0
    .sgpr_count:     0
    .sgpr_spill_count: 0
    .symbol:         _ZN7rocprim17ROCPRIM_400000_NS6detail17trampoline_kernelINS0_13select_configILj256ELj13ELNS0_17block_load_methodE3ELS4_3ELS4_3ELNS0_20block_scan_algorithmE0ELj4294967295EEENS1_25partition_config_selectorILNS1_17partition_subalgoE4EjNS0_10empty_typeEbEEZZNS1_14partition_implILS8_4ELb0ES6_15HIP_vector_typeIjLj2EENS0_17counting_iteratorIjlEEPS9_SG_NS0_5tupleIJPjSI_NS0_16reverse_iteratorISI_EEEEENSH_IJSG_SG_SG_EEES9_SI_JZNS1_25segmented_radix_sort_implINS0_14default_configELb0EPKfPfPKlPlN2at6native12_GLOBAL__N_18offset_tEEE10hipError_tPvRmT1_PNSt15iterator_traitsIS12_E10value_typeET2_T3_PNS13_IS18_E10value_typeET4_jRbjT5_S1E_jjP12ihipStream_tbEUljE_ZNSN_ISO_Lb0ESQ_SR_ST_SU_SY_EESZ_S10_S11_S12_S16_S17_S18_S1B_S1C_jS1D_jS1E_S1E_jjS1G_bEUljE0_EEESZ_S10_S11_S18_S1C_S1E_T6_T7_T9_mT8_S1G_bDpT10_ENKUlT_T0_E_clISt17integral_constantIbLb1EES1T_IbLb0EEEEDaS1P_S1Q_EUlS1P_E_NS1_11comp_targetILNS1_3genE3ELNS1_11target_archE908ELNS1_3gpuE7ELNS1_3repE0EEENS1_30default_config_static_selectorELNS0_4arch9wavefront6targetE0EEEvS12_.kd
    .uniform_work_group_size: 1
    .uses_dynamic_stack: false
    .vgpr_count:     0
    .vgpr_spill_count: 0
    .wavefront_size: 32
    .workgroup_processor_mode: 1
  - .args:
      - .offset:         0
        .size:           176
        .value_kind:     by_value
    .group_segment_fixed_size: 0
    .kernarg_segment_align: 8
    .kernarg_segment_size: 176
    .language:       OpenCL C
    .language_version:
      - 2
      - 0
    .max_flat_workgroup_size: 256
    .name:           _ZN7rocprim17ROCPRIM_400000_NS6detail17trampoline_kernelINS0_13select_configILj256ELj13ELNS0_17block_load_methodE3ELS4_3ELS4_3ELNS0_20block_scan_algorithmE0ELj4294967295EEENS1_25partition_config_selectorILNS1_17partition_subalgoE4EjNS0_10empty_typeEbEEZZNS1_14partition_implILS8_4ELb0ES6_15HIP_vector_typeIjLj2EENS0_17counting_iteratorIjlEEPS9_SG_NS0_5tupleIJPjSI_NS0_16reverse_iteratorISI_EEEEENSH_IJSG_SG_SG_EEES9_SI_JZNS1_25segmented_radix_sort_implINS0_14default_configELb0EPKfPfPKlPlN2at6native12_GLOBAL__N_18offset_tEEE10hipError_tPvRmT1_PNSt15iterator_traitsIS12_E10value_typeET2_T3_PNS13_IS18_E10value_typeET4_jRbjT5_S1E_jjP12ihipStream_tbEUljE_ZNSN_ISO_Lb0ESQ_SR_ST_SU_SY_EESZ_S10_S11_S12_S16_S17_S18_S1B_S1C_jS1D_jS1E_S1E_jjS1G_bEUljE0_EEESZ_S10_S11_S18_S1C_S1E_T6_T7_T9_mT8_S1G_bDpT10_ENKUlT_T0_E_clISt17integral_constantIbLb1EES1T_IbLb0EEEEDaS1P_S1Q_EUlS1P_E_NS1_11comp_targetILNS1_3genE2ELNS1_11target_archE906ELNS1_3gpuE6ELNS1_3repE0EEENS1_30default_config_static_selectorELNS0_4arch9wavefront6targetE0EEEvS12_
    .private_segment_fixed_size: 0
    .sgpr_count:     0
    .sgpr_spill_count: 0
    .symbol:         _ZN7rocprim17ROCPRIM_400000_NS6detail17trampoline_kernelINS0_13select_configILj256ELj13ELNS0_17block_load_methodE3ELS4_3ELS4_3ELNS0_20block_scan_algorithmE0ELj4294967295EEENS1_25partition_config_selectorILNS1_17partition_subalgoE4EjNS0_10empty_typeEbEEZZNS1_14partition_implILS8_4ELb0ES6_15HIP_vector_typeIjLj2EENS0_17counting_iteratorIjlEEPS9_SG_NS0_5tupleIJPjSI_NS0_16reverse_iteratorISI_EEEEENSH_IJSG_SG_SG_EEES9_SI_JZNS1_25segmented_radix_sort_implINS0_14default_configELb0EPKfPfPKlPlN2at6native12_GLOBAL__N_18offset_tEEE10hipError_tPvRmT1_PNSt15iterator_traitsIS12_E10value_typeET2_T3_PNS13_IS18_E10value_typeET4_jRbjT5_S1E_jjP12ihipStream_tbEUljE_ZNSN_ISO_Lb0ESQ_SR_ST_SU_SY_EESZ_S10_S11_S12_S16_S17_S18_S1B_S1C_jS1D_jS1E_S1E_jjS1G_bEUljE0_EEESZ_S10_S11_S18_S1C_S1E_T6_T7_T9_mT8_S1G_bDpT10_ENKUlT_T0_E_clISt17integral_constantIbLb1EES1T_IbLb0EEEEDaS1P_S1Q_EUlS1P_E_NS1_11comp_targetILNS1_3genE2ELNS1_11target_archE906ELNS1_3gpuE6ELNS1_3repE0EEENS1_30default_config_static_selectorELNS0_4arch9wavefront6targetE0EEEvS12_.kd
    .uniform_work_group_size: 1
    .uses_dynamic_stack: false
    .vgpr_count:     0
    .vgpr_spill_count: 0
    .wavefront_size: 32
    .workgroup_processor_mode: 1
  - .args:
      - .offset:         0
        .size:           176
        .value_kind:     by_value
    .group_segment_fixed_size: 0
    .kernarg_segment_align: 8
    .kernarg_segment_size: 176
    .language:       OpenCL C
    .language_version:
      - 2
      - 0
    .max_flat_workgroup_size: 256
    .name:           _ZN7rocprim17ROCPRIM_400000_NS6detail17trampoline_kernelINS0_13select_configILj256ELj13ELNS0_17block_load_methodE3ELS4_3ELS4_3ELNS0_20block_scan_algorithmE0ELj4294967295EEENS1_25partition_config_selectorILNS1_17partition_subalgoE4EjNS0_10empty_typeEbEEZZNS1_14partition_implILS8_4ELb0ES6_15HIP_vector_typeIjLj2EENS0_17counting_iteratorIjlEEPS9_SG_NS0_5tupleIJPjSI_NS0_16reverse_iteratorISI_EEEEENSH_IJSG_SG_SG_EEES9_SI_JZNS1_25segmented_radix_sort_implINS0_14default_configELb0EPKfPfPKlPlN2at6native12_GLOBAL__N_18offset_tEEE10hipError_tPvRmT1_PNSt15iterator_traitsIS12_E10value_typeET2_T3_PNS13_IS18_E10value_typeET4_jRbjT5_S1E_jjP12ihipStream_tbEUljE_ZNSN_ISO_Lb0ESQ_SR_ST_SU_SY_EESZ_S10_S11_S12_S16_S17_S18_S1B_S1C_jS1D_jS1E_S1E_jjS1G_bEUljE0_EEESZ_S10_S11_S18_S1C_S1E_T6_T7_T9_mT8_S1G_bDpT10_ENKUlT_T0_E_clISt17integral_constantIbLb1EES1T_IbLb0EEEEDaS1P_S1Q_EUlS1P_E_NS1_11comp_targetILNS1_3genE10ELNS1_11target_archE1200ELNS1_3gpuE4ELNS1_3repE0EEENS1_30default_config_static_selectorELNS0_4arch9wavefront6targetE0EEEvS12_
    .private_segment_fixed_size: 0
    .sgpr_count:     0
    .sgpr_spill_count: 0
    .symbol:         _ZN7rocprim17ROCPRIM_400000_NS6detail17trampoline_kernelINS0_13select_configILj256ELj13ELNS0_17block_load_methodE3ELS4_3ELS4_3ELNS0_20block_scan_algorithmE0ELj4294967295EEENS1_25partition_config_selectorILNS1_17partition_subalgoE4EjNS0_10empty_typeEbEEZZNS1_14partition_implILS8_4ELb0ES6_15HIP_vector_typeIjLj2EENS0_17counting_iteratorIjlEEPS9_SG_NS0_5tupleIJPjSI_NS0_16reverse_iteratorISI_EEEEENSH_IJSG_SG_SG_EEES9_SI_JZNS1_25segmented_radix_sort_implINS0_14default_configELb0EPKfPfPKlPlN2at6native12_GLOBAL__N_18offset_tEEE10hipError_tPvRmT1_PNSt15iterator_traitsIS12_E10value_typeET2_T3_PNS13_IS18_E10value_typeET4_jRbjT5_S1E_jjP12ihipStream_tbEUljE_ZNSN_ISO_Lb0ESQ_SR_ST_SU_SY_EESZ_S10_S11_S12_S16_S17_S18_S1B_S1C_jS1D_jS1E_S1E_jjS1G_bEUljE0_EEESZ_S10_S11_S18_S1C_S1E_T6_T7_T9_mT8_S1G_bDpT10_ENKUlT_T0_E_clISt17integral_constantIbLb1EES1T_IbLb0EEEEDaS1P_S1Q_EUlS1P_E_NS1_11comp_targetILNS1_3genE10ELNS1_11target_archE1200ELNS1_3gpuE4ELNS1_3repE0EEENS1_30default_config_static_selectorELNS0_4arch9wavefront6targetE0EEEvS12_.kd
    .uniform_work_group_size: 1
    .uses_dynamic_stack: false
    .vgpr_count:     0
    .vgpr_spill_count: 0
    .wavefront_size: 32
    .workgroup_processor_mode: 1
  - .args:
      - .offset:         0
        .size:           176
        .value_kind:     by_value
    .group_segment_fixed_size: 0
    .kernarg_segment_align: 8
    .kernarg_segment_size: 176
    .language:       OpenCL C
    .language_version:
      - 2
      - 0
    .max_flat_workgroup_size: 256
    .name:           _ZN7rocprim17ROCPRIM_400000_NS6detail17trampoline_kernelINS0_13select_configILj256ELj13ELNS0_17block_load_methodE3ELS4_3ELS4_3ELNS0_20block_scan_algorithmE0ELj4294967295EEENS1_25partition_config_selectorILNS1_17partition_subalgoE4EjNS0_10empty_typeEbEEZZNS1_14partition_implILS8_4ELb0ES6_15HIP_vector_typeIjLj2EENS0_17counting_iteratorIjlEEPS9_SG_NS0_5tupleIJPjSI_NS0_16reverse_iteratorISI_EEEEENSH_IJSG_SG_SG_EEES9_SI_JZNS1_25segmented_radix_sort_implINS0_14default_configELb0EPKfPfPKlPlN2at6native12_GLOBAL__N_18offset_tEEE10hipError_tPvRmT1_PNSt15iterator_traitsIS12_E10value_typeET2_T3_PNS13_IS18_E10value_typeET4_jRbjT5_S1E_jjP12ihipStream_tbEUljE_ZNSN_ISO_Lb0ESQ_SR_ST_SU_SY_EESZ_S10_S11_S12_S16_S17_S18_S1B_S1C_jS1D_jS1E_S1E_jjS1G_bEUljE0_EEESZ_S10_S11_S18_S1C_S1E_T6_T7_T9_mT8_S1G_bDpT10_ENKUlT_T0_E_clISt17integral_constantIbLb1EES1T_IbLb0EEEEDaS1P_S1Q_EUlS1P_E_NS1_11comp_targetILNS1_3genE9ELNS1_11target_archE1100ELNS1_3gpuE3ELNS1_3repE0EEENS1_30default_config_static_selectorELNS0_4arch9wavefront6targetE0EEEvS12_
    .private_segment_fixed_size: 0
    .sgpr_count:     0
    .sgpr_spill_count: 0
    .symbol:         _ZN7rocprim17ROCPRIM_400000_NS6detail17trampoline_kernelINS0_13select_configILj256ELj13ELNS0_17block_load_methodE3ELS4_3ELS4_3ELNS0_20block_scan_algorithmE0ELj4294967295EEENS1_25partition_config_selectorILNS1_17partition_subalgoE4EjNS0_10empty_typeEbEEZZNS1_14partition_implILS8_4ELb0ES6_15HIP_vector_typeIjLj2EENS0_17counting_iteratorIjlEEPS9_SG_NS0_5tupleIJPjSI_NS0_16reverse_iteratorISI_EEEEENSH_IJSG_SG_SG_EEES9_SI_JZNS1_25segmented_radix_sort_implINS0_14default_configELb0EPKfPfPKlPlN2at6native12_GLOBAL__N_18offset_tEEE10hipError_tPvRmT1_PNSt15iterator_traitsIS12_E10value_typeET2_T3_PNS13_IS18_E10value_typeET4_jRbjT5_S1E_jjP12ihipStream_tbEUljE_ZNSN_ISO_Lb0ESQ_SR_ST_SU_SY_EESZ_S10_S11_S12_S16_S17_S18_S1B_S1C_jS1D_jS1E_S1E_jjS1G_bEUljE0_EEESZ_S10_S11_S18_S1C_S1E_T6_T7_T9_mT8_S1G_bDpT10_ENKUlT_T0_E_clISt17integral_constantIbLb1EES1T_IbLb0EEEEDaS1P_S1Q_EUlS1P_E_NS1_11comp_targetILNS1_3genE9ELNS1_11target_archE1100ELNS1_3gpuE3ELNS1_3repE0EEENS1_30default_config_static_selectorELNS0_4arch9wavefront6targetE0EEEvS12_.kd
    .uniform_work_group_size: 1
    .uses_dynamic_stack: false
    .vgpr_count:     0
    .vgpr_spill_count: 0
    .wavefront_size: 32
    .workgroup_processor_mode: 1
  - .args:
      - .offset:         0
        .size:           176
        .value_kind:     by_value
    .group_segment_fixed_size: 0
    .kernarg_segment_align: 8
    .kernarg_segment_size: 176
    .language:       OpenCL C
    .language_version:
      - 2
      - 0
    .max_flat_workgroup_size: 256
    .name:           _ZN7rocprim17ROCPRIM_400000_NS6detail17trampoline_kernelINS0_13select_configILj256ELj13ELNS0_17block_load_methodE3ELS4_3ELS4_3ELNS0_20block_scan_algorithmE0ELj4294967295EEENS1_25partition_config_selectorILNS1_17partition_subalgoE4EjNS0_10empty_typeEbEEZZNS1_14partition_implILS8_4ELb0ES6_15HIP_vector_typeIjLj2EENS0_17counting_iteratorIjlEEPS9_SG_NS0_5tupleIJPjSI_NS0_16reverse_iteratorISI_EEEEENSH_IJSG_SG_SG_EEES9_SI_JZNS1_25segmented_radix_sort_implINS0_14default_configELb0EPKfPfPKlPlN2at6native12_GLOBAL__N_18offset_tEEE10hipError_tPvRmT1_PNSt15iterator_traitsIS12_E10value_typeET2_T3_PNS13_IS18_E10value_typeET4_jRbjT5_S1E_jjP12ihipStream_tbEUljE_ZNSN_ISO_Lb0ESQ_SR_ST_SU_SY_EESZ_S10_S11_S12_S16_S17_S18_S1B_S1C_jS1D_jS1E_S1E_jjS1G_bEUljE0_EEESZ_S10_S11_S18_S1C_S1E_T6_T7_T9_mT8_S1G_bDpT10_ENKUlT_T0_E_clISt17integral_constantIbLb1EES1T_IbLb0EEEEDaS1P_S1Q_EUlS1P_E_NS1_11comp_targetILNS1_3genE8ELNS1_11target_archE1030ELNS1_3gpuE2ELNS1_3repE0EEENS1_30default_config_static_selectorELNS0_4arch9wavefront6targetE0EEEvS12_
    .private_segment_fixed_size: 0
    .sgpr_count:     0
    .sgpr_spill_count: 0
    .symbol:         _ZN7rocprim17ROCPRIM_400000_NS6detail17trampoline_kernelINS0_13select_configILj256ELj13ELNS0_17block_load_methodE3ELS4_3ELS4_3ELNS0_20block_scan_algorithmE0ELj4294967295EEENS1_25partition_config_selectorILNS1_17partition_subalgoE4EjNS0_10empty_typeEbEEZZNS1_14partition_implILS8_4ELb0ES6_15HIP_vector_typeIjLj2EENS0_17counting_iteratorIjlEEPS9_SG_NS0_5tupleIJPjSI_NS0_16reverse_iteratorISI_EEEEENSH_IJSG_SG_SG_EEES9_SI_JZNS1_25segmented_radix_sort_implINS0_14default_configELb0EPKfPfPKlPlN2at6native12_GLOBAL__N_18offset_tEEE10hipError_tPvRmT1_PNSt15iterator_traitsIS12_E10value_typeET2_T3_PNS13_IS18_E10value_typeET4_jRbjT5_S1E_jjP12ihipStream_tbEUljE_ZNSN_ISO_Lb0ESQ_SR_ST_SU_SY_EESZ_S10_S11_S12_S16_S17_S18_S1B_S1C_jS1D_jS1E_S1E_jjS1G_bEUljE0_EEESZ_S10_S11_S18_S1C_S1E_T6_T7_T9_mT8_S1G_bDpT10_ENKUlT_T0_E_clISt17integral_constantIbLb1EES1T_IbLb0EEEEDaS1P_S1Q_EUlS1P_E_NS1_11comp_targetILNS1_3genE8ELNS1_11target_archE1030ELNS1_3gpuE2ELNS1_3repE0EEENS1_30default_config_static_selectorELNS0_4arch9wavefront6targetE0EEEvS12_.kd
    .uniform_work_group_size: 1
    .uses_dynamic_stack: false
    .vgpr_count:     0
    .vgpr_spill_count: 0
    .wavefront_size: 32
    .workgroup_processor_mode: 1
  - .args:
      - .offset:         0
        .size:           184
        .value_kind:     by_value
    .group_segment_fixed_size: 0
    .kernarg_segment_align: 8
    .kernarg_segment_size: 184
    .language:       OpenCL C
    .language_version:
      - 2
      - 0
    .max_flat_workgroup_size: 256
    .name:           _ZN7rocprim17ROCPRIM_400000_NS6detail17trampoline_kernelINS0_13select_configILj256ELj13ELNS0_17block_load_methodE3ELS4_3ELS4_3ELNS0_20block_scan_algorithmE0ELj4294967295EEENS1_25partition_config_selectorILNS1_17partition_subalgoE4EjNS0_10empty_typeEbEEZZNS1_14partition_implILS8_4ELb0ES6_15HIP_vector_typeIjLj2EENS0_17counting_iteratorIjlEEPS9_SG_NS0_5tupleIJPjSI_NS0_16reverse_iteratorISI_EEEEENSH_IJSG_SG_SG_EEES9_SI_JZNS1_25segmented_radix_sort_implINS0_14default_configELb0EPKfPfPKlPlN2at6native12_GLOBAL__N_18offset_tEEE10hipError_tPvRmT1_PNSt15iterator_traitsIS12_E10value_typeET2_T3_PNS13_IS18_E10value_typeET4_jRbjT5_S1E_jjP12ihipStream_tbEUljE_ZNSN_ISO_Lb0ESQ_SR_ST_SU_SY_EESZ_S10_S11_S12_S16_S17_S18_S1B_S1C_jS1D_jS1E_S1E_jjS1G_bEUljE0_EEESZ_S10_S11_S18_S1C_S1E_T6_T7_T9_mT8_S1G_bDpT10_ENKUlT_T0_E_clISt17integral_constantIbLb0EES1T_IbLb1EEEEDaS1P_S1Q_EUlS1P_E_NS1_11comp_targetILNS1_3genE0ELNS1_11target_archE4294967295ELNS1_3gpuE0ELNS1_3repE0EEENS1_30default_config_static_selectorELNS0_4arch9wavefront6targetE0EEEvS12_
    .private_segment_fixed_size: 0
    .sgpr_count:     0
    .sgpr_spill_count: 0
    .symbol:         _ZN7rocprim17ROCPRIM_400000_NS6detail17trampoline_kernelINS0_13select_configILj256ELj13ELNS0_17block_load_methodE3ELS4_3ELS4_3ELNS0_20block_scan_algorithmE0ELj4294967295EEENS1_25partition_config_selectorILNS1_17partition_subalgoE4EjNS0_10empty_typeEbEEZZNS1_14partition_implILS8_4ELb0ES6_15HIP_vector_typeIjLj2EENS0_17counting_iteratorIjlEEPS9_SG_NS0_5tupleIJPjSI_NS0_16reverse_iteratorISI_EEEEENSH_IJSG_SG_SG_EEES9_SI_JZNS1_25segmented_radix_sort_implINS0_14default_configELb0EPKfPfPKlPlN2at6native12_GLOBAL__N_18offset_tEEE10hipError_tPvRmT1_PNSt15iterator_traitsIS12_E10value_typeET2_T3_PNS13_IS18_E10value_typeET4_jRbjT5_S1E_jjP12ihipStream_tbEUljE_ZNSN_ISO_Lb0ESQ_SR_ST_SU_SY_EESZ_S10_S11_S12_S16_S17_S18_S1B_S1C_jS1D_jS1E_S1E_jjS1G_bEUljE0_EEESZ_S10_S11_S18_S1C_S1E_T6_T7_T9_mT8_S1G_bDpT10_ENKUlT_T0_E_clISt17integral_constantIbLb0EES1T_IbLb1EEEEDaS1P_S1Q_EUlS1P_E_NS1_11comp_targetILNS1_3genE0ELNS1_11target_archE4294967295ELNS1_3gpuE0ELNS1_3repE0EEENS1_30default_config_static_selectorELNS0_4arch9wavefront6targetE0EEEvS12_.kd
    .uniform_work_group_size: 1
    .uses_dynamic_stack: false
    .vgpr_count:     0
    .vgpr_spill_count: 0
    .wavefront_size: 32
    .workgroup_processor_mode: 1
  - .args:
      - .offset:         0
        .size:           184
        .value_kind:     by_value
    .group_segment_fixed_size: 0
    .kernarg_segment_align: 8
    .kernarg_segment_size: 184
    .language:       OpenCL C
    .language_version:
      - 2
      - 0
    .max_flat_workgroup_size: 256
    .name:           _ZN7rocprim17ROCPRIM_400000_NS6detail17trampoline_kernelINS0_13select_configILj256ELj13ELNS0_17block_load_methodE3ELS4_3ELS4_3ELNS0_20block_scan_algorithmE0ELj4294967295EEENS1_25partition_config_selectorILNS1_17partition_subalgoE4EjNS0_10empty_typeEbEEZZNS1_14partition_implILS8_4ELb0ES6_15HIP_vector_typeIjLj2EENS0_17counting_iteratorIjlEEPS9_SG_NS0_5tupleIJPjSI_NS0_16reverse_iteratorISI_EEEEENSH_IJSG_SG_SG_EEES9_SI_JZNS1_25segmented_radix_sort_implINS0_14default_configELb0EPKfPfPKlPlN2at6native12_GLOBAL__N_18offset_tEEE10hipError_tPvRmT1_PNSt15iterator_traitsIS12_E10value_typeET2_T3_PNS13_IS18_E10value_typeET4_jRbjT5_S1E_jjP12ihipStream_tbEUljE_ZNSN_ISO_Lb0ESQ_SR_ST_SU_SY_EESZ_S10_S11_S12_S16_S17_S18_S1B_S1C_jS1D_jS1E_S1E_jjS1G_bEUljE0_EEESZ_S10_S11_S18_S1C_S1E_T6_T7_T9_mT8_S1G_bDpT10_ENKUlT_T0_E_clISt17integral_constantIbLb0EES1T_IbLb1EEEEDaS1P_S1Q_EUlS1P_E_NS1_11comp_targetILNS1_3genE5ELNS1_11target_archE942ELNS1_3gpuE9ELNS1_3repE0EEENS1_30default_config_static_selectorELNS0_4arch9wavefront6targetE0EEEvS12_
    .private_segment_fixed_size: 0
    .sgpr_count:     0
    .sgpr_spill_count: 0
    .symbol:         _ZN7rocprim17ROCPRIM_400000_NS6detail17trampoline_kernelINS0_13select_configILj256ELj13ELNS0_17block_load_methodE3ELS4_3ELS4_3ELNS0_20block_scan_algorithmE0ELj4294967295EEENS1_25partition_config_selectorILNS1_17partition_subalgoE4EjNS0_10empty_typeEbEEZZNS1_14partition_implILS8_4ELb0ES6_15HIP_vector_typeIjLj2EENS0_17counting_iteratorIjlEEPS9_SG_NS0_5tupleIJPjSI_NS0_16reverse_iteratorISI_EEEEENSH_IJSG_SG_SG_EEES9_SI_JZNS1_25segmented_radix_sort_implINS0_14default_configELb0EPKfPfPKlPlN2at6native12_GLOBAL__N_18offset_tEEE10hipError_tPvRmT1_PNSt15iterator_traitsIS12_E10value_typeET2_T3_PNS13_IS18_E10value_typeET4_jRbjT5_S1E_jjP12ihipStream_tbEUljE_ZNSN_ISO_Lb0ESQ_SR_ST_SU_SY_EESZ_S10_S11_S12_S16_S17_S18_S1B_S1C_jS1D_jS1E_S1E_jjS1G_bEUljE0_EEESZ_S10_S11_S18_S1C_S1E_T6_T7_T9_mT8_S1G_bDpT10_ENKUlT_T0_E_clISt17integral_constantIbLb0EES1T_IbLb1EEEEDaS1P_S1Q_EUlS1P_E_NS1_11comp_targetILNS1_3genE5ELNS1_11target_archE942ELNS1_3gpuE9ELNS1_3repE0EEENS1_30default_config_static_selectorELNS0_4arch9wavefront6targetE0EEEvS12_.kd
    .uniform_work_group_size: 1
    .uses_dynamic_stack: false
    .vgpr_count:     0
    .vgpr_spill_count: 0
    .wavefront_size: 32
    .workgroup_processor_mode: 1
  - .args:
      - .offset:         0
        .size:           184
        .value_kind:     by_value
    .group_segment_fixed_size: 0
    .kernarg_segment_align: 8
    .kernarg_segment_size: 184
    .language:       OpenCL C
    .language_version:
      - 2
      - 0
    .max_flat_workgroup_size: 256
    .name:           _ZN7rocprim17ROCPRIM_400000_NS6detail17trampoline_kernelINS0_13select_configILj256ELj13ELNS0_17block_load_methodE3ELS4_3ELS4_3ELNS0_20block_scan_algorithmE0ELj4294967295EEENS1_25partition_config_selectorILNS1_17partition_subalgoE4EjNS0_10empty_typeEbEEZZNS1_14partition_implILS8_4ELb0ES6_15HIP_vector_typeIjLj2EENS0_17counting_iteratorIjlEEPS9_SG_NS0_5tupleIJPjSI_NS0_16reverse_iteratorISI_EEEEENSH_IJSG_SG_SG_EEES9_SI_JZNS1_25segmented_radix_sort_implINS0_14default_configELb0EPKfPfPKlPlN2at6native12_GLOBAL__N_18offset_tEEE10hipError_tPvRmT1_PNSt15iterator_traitsIS12_E10value_typeET2_T3_PNS13_IS18_E10value_typeET4_jRbjT5_S1E_jjP12ihipStream_tbEUljE_ZNSN_ISO_Lb0ESQ_SR_ST_SU_SY_EESZ_S10_S11_S12_S16_S17_S18_S1B_S1C_jS1D_jS1E_S1E_jjS1G_bEUljE0_EEESZ_S10_S11_S18_S1C_S1E_T6_T7_T9_mT8_S1G_bDpT10_ENKUlT_T0_E_clISt17integral_constantIbLb0EES1T_IbLb1EEEEDaS1P_S1Q_EUlS1P_E_NS1_11comp_targetILNS1_3genE4ELNS1_11target_archE910ELNS1_3gpuE8ELNS1_3repE0EEENS1_30default_config_static_selectorELNS0_4arch9wavefront6targetE0EEEvS12_
    .private_segment_fixed_size: 0
    .sgpr_count:     0
    .sgpr_spill_count: 0
    .symbol:         _ZN7rocprim17ROCPRIM_400000_NS6detail17trampoline_kernelINS0_13select_configILj256ELj13ELNS0_17block_load_methodE3ELS4_3ELS4_3ELNS0_20block_scan_algorithmE0ELj4294967295EEENS1_25partition_config_selectorILNS1_17partition_subalgoE4EjNS0_10empty_typeEbEEZZNS1_14partition_implILS8_4ELb0ES6_15HIP_vector_typeIjLj2EENS0_17counting_iteratorIjlEEPS9_SG_NS0_5tupleIJPjSI_NS0_16reverse_iteratorISI_EEEEENSH_IJSG_SG_SG_EEES9_SI_JZNS1_25segmented_radix_sort_implINS0_14default_configELb0EPKfPfPKlPlN2at6native12_GLOBAL__N_18offset_tEEE10hipError_tPvRmT1_PNSt15iterator_traitsIS12_E10value_typeET2_T3_PNS13_IS18_E10value_typeET4_jRbjT5_S1E_jjP12ihipStream_tbEUljE_ZNSN_ISO_Lb0ESQ_SR_ST_SU_SY_EESZ_S10_S11_S12_S16_S17_S18_S1B_S1C_jS1D_jS1E_S1E_jjS1G_bEUljE0_EEESZ_S10_S11_S18_S1C_S1E_T6_T7_T9_mT8_S1G_bDpT10_ENKUlT_T0_E_clISt17integral_constantIbLb0EES1T_IbLb1EEEEDaS1P_S1Q_EUlS1P_E_NS1_11comp_targetILNS1_3genE4ELNS1_11target_archE910ELNS1_3gpuE8ELNS1_3repE0EEENS1_30default_config_static_selectorELNS0_4arch9wavefront6targetE0EEEvS12_.kd
    .uniform_work_group_size: 1
    .uses_dynamic_stack: false
    .vgpr_count:     0
    .vgpr_spill_count: 0
    .wavefront_size: 32
    .workgroup_processor_mode: 1
  - .args:
      - .offset:         0
        .size:           184
        .value_kind:     by_value
    .group_segment_fixed_size: 0
    .kernarg_segment_align: 8
    .kernarg_segment_size: 184
    .language:       OpenCL C
    .language_version:
      - 2
      - 0
    .max_flat_workgroup_size: 256
    .name:           _ZN7rocprim17ROCPRIM_400000_NS6detail17trampoline_kernelINS0_13select_configILj256ELj13ELNS0_17block_load_methodE3ELS4_3ELS4_3ELNS0_20block_scan_algorithmE0ELj4294967295EEENS1_25partition_config_selectorILNS1_17partition_subalgoE4EjNS0_10empty_typeEbEEZZNS1_14partition_implILS8_4ELb0ES6_15HIP_vector_typeIjLj2EENS0_17counting_iteratorIjlEEPS9_SG_NS0_5tupleIJPjSI_NS0_16reverse_iteratorISI_EEEEENSH_IJSG_SG_SG_EEES9_SI_JZNS1_25segmented_radix_sort_implINS0_14default_configELb0EPKfPfPKlPlN2at6native12_GLOBAL__N_18offset_tEEE10hipError_tPvRmT1_PNSt15iterator_traitsIS12_E10value_typeET2_T3_PNS13_IS18_E10value_typeET4_jRbjT5_S1E_jjP12ihipStream_tbEUljE_ZNSN_ISO_Lb0ESQ_SR_ST_SU_SY_EESZ_S10_S11_S12_S16_S17_S18_S1B_S1C_jS1D_jS1E_S1E_jjS1G_bEUljE0_EEESZ_S10_S11_S18_S1C_S1E_T6_T7_T9_mT8_S1G_bDpT10_ENKUlT_T0_E_clISt17integral_constantIbLb0EES1T_IbLb1EEEEDaS1P_S1Q_EUlS1P_E_NS1_11comp_targetILNS1_3genE3ELNS1_11target_archE908ELNS1_3gpuE7ELNS1_3repE0EEENS1_30default_config_static_selectorELNS0_4arch9wavefront6targetE0EEEvS12_
    .private_segment_fixed_size: 0
    .sgpr_count:     0
    .sgpr_spill_count: 0
    .symbol:         _ZN7rocprim17ROCPRIM_400000_NS6detail17trampoline_kernelINS0_13select_configILj256ELj13ELNS0_17block_load_methodE3ELS4_3ELS4_3ELNS0_20block_scan_algorithmE0ELj4294967295EEENS1_25partition_config_selectorILNS1_17partition_subalgoE4EjNS0_10empty_typeEbEEZZNS1_14partition_implILS8_4ELb0ES6_15HIP_vector_typeIjLj2EENS0_17counting_iteratorIjlEEPS9_SG_NS0_5tupleIJPjSI_NS0_16reverse_iteratorISI_EEEEENSH_IJSG_SG_SG_EEES9_SI_JZNS1_25segmented_radix_sort_implINS0_14default_configELb0EPKfPfPKlPlN2at6native12_GLOBAL__N_18offset_tEEE10hipError_tPvRmT1_PNSt15iterator_traitsIS12_E10value_typeET2_T3_PNS13_IS18_E10value_typeET4_jRbjT5_S1E_jjP12ihipStream_tbEUljE_ZNSN_ISO_Lb0ESQ_SR_ST_SU_SY_EESZ_S10_S11_S12_S16_S17_S18_S1B_S1C_jS1D_jS1E_S1E_jjS1G_bEUljE0_EEESZ_S10_S11_S18_S1C_S1E_T6_T7_T9_mT8_S1G_bDpT10_ENKUlT_T0_E_clISt17integral_constantIbLb0EES1T_IbLb1EEEEDaS1P_S1Q_EUlS1P_E_NS1_11comp_targetILNS1_3genE3ELNS1_11target_archE908ELNS1_3gpuE7ELNS1_3repE0EEENS1_30default_config_static_selectorELNS0_4arch9wavefront6targetE0EEEvS12_.kd
    .uniform_work_group_size: 1
    .uses_dynamic_stack: false
    .vgpr_count:     0
    .vgpr_spill_count: 0
    .wavefront_size: 32
    .workgroup_processor_mode: 1
  - .args:
      - .offset:         0
        .size:           184
        .value_kind:     by_value
    .group_segment_fixed_size: 0
    .kernarg_segment_align: 8
    .kernarg_segment_size: 184
    .language:       OpenCL C
    .language_version:
      - 2
      - 0
    .max_flat_workgroup_size: 256
    .name:           _ZN7rocprim17ROCPRIM_400000_NS6detail17trampoline_kernelINS0_13select_configILj256ELj13ELNS0_17block_load_methodE3ELS4_3ELS4_3ELNS0_20block_scan_algorithmE0ELj4294967295EEENS1_25partition_config_selectorILNS1_17partition_subalgoE4EjNS0_10empty_typeEbEEZZNS1_14partition_implILS8_4ELb0ES6_15HIP_vector_typeIjLj2EENS0_17counting_iteratorIjlEEPS9_SG_NS0_5tupleIJPjSI_NS0_16reverse_iteratorISI_EEEEENSH_IJSG_SG_SG_EEES9_SI_JZNS1_25segmented_radix_sort_implINS0_14default_configELb0EPKfPfPKlPlN2at6native12_GLOBAL__N_18offset_tEEE10hipError_tPvRmT1_PNSt15iterator_traitsIS12_E10value_typeET2_T3_PNS13_IS18_E10value_typeET4_jRbjT5_S1E_jjP12ihipStream_tbEUljE_ZNSN_ISO_Lb0ESQ_SR_ST_SU_SY_EESZ_S10_S11_S12_S16_S17_S18_S1B_S1C_jS1D_jS1E_S1E_jjS1G_bEUljE0_EEESZ_S10_S11_S18_S1C_S1E_T6_T7_T9_mT8_S1G_bDpT10_ENKUlT_T0_E_clISt17integral_constantIbLb0EES1T_IbLb1EEEEDaS1P_S1Q_EUlS1P_E_NS1_11comp_targetILNS1_3genE2ELNS1_11target_archE906ELNS1_3gpuE6ELNS1_3repE0EEENS1_30default_config_static_selectorELNS0_4arch9wavefront6targetE0EEEvS12_
    .private_segment_fixed_size: 0
    .sgpr_count:     0
    .sgpr_spill_count: 0
    .symbol:         _ZN7rocprim17ROCPRIM_400000_NS6detail17trampoline_kernelINS0_13select_configILj256ELj13ELNS0_17block_load_methodE3ELS4_3ELS4_3ELNS0_20block_scan_algorithmE0ELj4294967295EEENS1_25partition_config_selectorILNS1_17partition_subalgoE4EjNS0_10empty_typeEbEEZZNS1_14partition_implILS8_4ELb0ES6_15HIP_vector_typeIjLj2EENS0_17counting_iteratorIjlEEPS9_SG_NS0_5tupleIJPjSI_NS0_16reverse_iteratorISI_EEEEENSH_IJSG_SG_SG_EEES9_SI_JZNS1_25segmented_radix_sort_implINS0_14default_configELb0EPKfPfPKlPlN2at6native12_GLOBAL__N_18offset_tEEE10hipError_tPvRmT1_PNSt15iterator_traitsIS12_E10value_typeET2_T3_PNS13_IS18_E10value_typeET4_jRbjT5_S1E_jjP12ihipStream_tbEUljE_ZNSN_ISO_Lb0ESQ_SR_ST_SU_SY_EESZ_S10_S11_S12_S16_S17_S18_S1B_S1C_jS1D_jS1E_S1E_jjS1G_bEUljE0_EEESZ_S10_S11_S18_S1C_S1E_T6_T7_T9_mT8_S1G_bDpT10_ENKUlT_T0_E_clISt17integral_constantIbLb0EES1T_IbLb1EEEEDaS1P_S1Q_EUlS1P_E_NS1_11comp_targetILNS1_3genE2ELNS1_11target_archE906ELNS1_3gpuE6ELNS1_3repE0EEENS1_30default_config_static_selectorELNS0_4arch9wavefront6targetE0EEEvS12_.kd
    .uniform_work_group_size: 1
    .uses_dynamic_stack: false
    .vgpr_count:     0
    .vgpr_spill_count: 0
    .wavefront_size: 32
    .workgroup_processor_mode: 1
  - .args:
      - .offset:         0
        .size:           184
        .value_kind:     by_value
    .group_segment_fixed_size: 0
    .kernarg_segment_align: 8
    .kernarg_segment_size: 184
    .language:       OpenCL C
    .language_version:
      - 2
      - 0
    .max_flat_workgroup_size: 256
    .name:           _ZN7rocprim17ROCPRIM_400000_NS6detail17trampoline_kernelINS0_13select_configILj256ELj13ELNS0_17block_load_methodE3ELS4_3ELS4_3ELNS0_20block_scan_algorithmE0ELj4294967295EEENS1_25partition_config_selectorILNS1_17partition_subalgoE4EjNS0_10empty_typeEbEEZZNS1_14partition_implILS8_4ELb0ES6_15HIP_vector_typeIjLj2EENS0_17counting_iteratorIjlEEPS9_SG_NS0_5tupleIJPjSI_NS0_16reverse_iteratorISI_EEEEENSH_IJSG_SG_SG_EEES9_SI_JZNS1_25segmented_radix_sort_implINS0_14default_configELb0EPKfPfPKlPlN2at6native12_GLOBAL__N_18offset_tEEE10hipError_tPvRmT1_PNSt15iterator_traitsIS12_E10value_typeET2_T3_PNS13_IS18_E10value_typeET4_jRbjT5_S1E_jjP12ihipStream_tbEUljE_ZNSN_ISO_Lb0ESQ_SR_ST_SU_SY_EESZ_S10_S11_S12_S16_S17_S18_S1B_S1C_jS1D_jS1E_S1E_jjS1G_bEUljE0_EEESZ_S10_S11_S18_S1C_S1E_T6_T7_T9_mT8_S1G_bDpT10_ENKUlT_T0_E_clISt17integral_constantIbLb0EES1T_IbLb1EEEEDaS1P_S1Q_EUlS1P_E_NS1_11comp_targetILNS1_3genE10ELNS1_11target_archE1200ELNS1_3gpuE4ELNS1_3repE0EEENS1_30default_config_static_selectorELNS0_4arch9wavefront6targetE0EEEvS12_
    .private_segment_fixed_size: 0
    .sgpr_count:     0
    .sgpr_spill_count: 0
    .symbol:         _ZN7rocprim17ROCPRIM_400000_NS6detail17trampoline_kernelINS0_13select_configILj256ELj13ELNS0_17block_load_methodE3ELS4_3ELS4_3ELNS0_20block_scan_algorithmE0ELj4294967295EEENS1_25partition_config_selectorILNS1_17partition_subalgoE4EjNS0_10empty_typeEbEEZZNS1_14partition_implILS8_4ELb0ES6_15HIP_vector_typeIjLj2EENS0_17counting_iteratorIjlEEPS9_SG_NS0_5tupleIJPjSI_NS0_16reverse_iteratorISI_EEEEENSH_IJSG_SG_SG_EEES9_SI_JZNS1_25segmented_radix_sort_implINS0_14default_configELb0EPKfPfPKlPlN2at6native12_GLOBAL__N_18offset_tEEE10hipError_tPvRmT1_PNSt15iterator_traitsIS12_E10value_typeET2_T3_PNS13_IS18_E10value_typeET4_jRbjT5_S1E_jjP12ihipStream_tbEUljE_ZNSN_ISO_Lb0ESQ_SR_ST_SU_SY_EESZ_S10_S11_S12_S16_S17_S18_S1B_S1C_jS1D_jS1E_S1E_jjS1G_bEUljE0_EEESZ_S10_S11_S18_S1C_S1E_T6_T7_T9_mT8_S1G_bDpT10_ENKUlT_T0_E_clISt17integral_constantIbLb0EES1T_IbLb1EEEEDaS1P_S1Q_EUlS1P_E_NS1_11comp_targetILNS1_3genE10ELNS1_11target_archE1200ELNS1_3gpuE4ELNS1_3repE0EEENS1_30default_config_static_selectorELNS0_4arch9wavefront6targetE0EEEvS12_.kd
    .uniform_work_group_size: 1
    .uses_dynamic_stack: false
    .vgpr_count:     0
    .vgpr_spill_count: 0
    .wavefront_size: 32
    .workgroup_processor_mode: 1
  - .args:
      - .offset:         0
        .size:           184
        .value_kind:     by_value
    .group_segment_fixed_size: 0
    .kernarg_segment_align: 8
    .kernarg_segment_size: 184
    .language:       OpenCL C
    .language_version:
      - 2
      - 0
    .max_flat_workgroup_size: 256
    .name:           _ZN7rocprim17ROCPRIM_400000_NS6detail17trampoline_kernelINS0_13select_configILj256ELj13ELNS0_17block_load_methodE3ELS4_3ELS4_3ELNS0_20block_scan_algorithmE0ELj4294967295EEENS1_25partition_config_selectorILNS1_17partition_subalgoE4EjNS0_10empty_typeEbEEZZNS1_14partition_implILS8_4ELb0ES6_15HIP_vector_typeIjLj2EENS0_17counting_iteratorIjlEEPS9_SG_NS0_5tupleIJPjSI_NS0_16reverse_iteratorISI_EEEEENSH_IJSG_SG_SG_EEES9_SI_JZNS1_25segmented_radix_sort_implINS0_14default_configELb0EPKfPfPKlPlN2at6native12_GLOBAL__N_18offset_tEEE10hipError_tPvRmT1_PNSt15iterator_traitsIS12_E10value_typeET2_T3_PNS13_IS18_E10value_typeET4_jRbjT5_S1E_jjP12ihipStream_tbEUljE_ZNSN_ISO_Lb0ESQ_SR_ST_SU_SY_EESZ_S10_S11_S12_S16_S17_S18_S1B_S1C_jS1D_jS1E_S1E_jjS1G_bEUljE0_EEESZ_S10_S11_S18_S1C_S1E_T6_T7_T9_mT8_S1G_bDpT10_ENKUlT_T0_E_clISt17integral_constantIbLb0EES1T_IbLb1EEEEDaS1P_S1Q_EUlS1P_E_NS1_11comp_targetILNS1_3genE9ELNS1_11target_archE1100ELNS1_3gpuE3ELNS1_3repE0EEENS1_30default_config_static_selectorELNS0_4arch9wavefront6targetE0EEEvS12_
    .private_segment_fixed_size: 0
    .sgpr_count:     0
    .sgpr_spill_count: 0
    .symbol:         _ZN7rocprim17ROCPRIM_400000_NS6detail17trampoline_kernelINS0_13select_configILj256ELj13ELNS0_17block_load_methodE3ELS4_3ELS4_3ELNS0_20block_scan_algorithmE0ELj4294967295EEENS1_25partition_config_selectorILNS1_17partition_subalgoE4EjNS0_10empty_typeEbEEZZNS1_14partition_implILS8_4ELb0ES6_15HIP_vector_typeIjLj2EENS0_17counting_iteratorIjlEEPS9_SG_NS0_5tupleIJPjSI_NS0_16reverse_iteratorISI_EEEEENSH_IJSG_SG_SG_EEES9_SI_JZNS1_25segmented_radix_sort_implINS0_14default_configELb0EPKfPfPKlPlN2at6native12_GLOBAL__N_18offset_tEEE10hipError_tPvRmT1_PNSt15iterator_traitsIS12_E10value_typeET2_T3_PNS13_IS18_E10value_typeET4_jRbjT5_S1E_jjP12ihipStream_tbEUljE_ZNSN_ISO_Lb0ESQ_SR_ST_SU_SY_EESZ_S10_S11_S12_S16_S17_S18_S1B_S1C_jS1D_jS1E_S1E_jjS1G_bEUljE0_EEESZ_S10_S11_S18_S1C_S1E_T6_T7_T9_mT8_S1G_bDpT10_ENKUlT_T0_E_clISt17integral_constantIbLb0EES1T_IbLb1EEEEDaS1P_S1Q_EUlS1P_E_NS1_11comp_targetILNS1_3genE9ELNS1_11target_archE1100ELNS1_3gpuE3ELNS1_3repE0EEENS1_30default_config_static_selectorELNS0_4arch9wavefront6targetE0EEEvS12_.kd
    .uniform_work_group_size: 1
    .uses_dynamic_stack: false
    .vgpr_count:     0
    .vgpr_spill_count: 0
    .wavefront_size: 32
    .workgroup_processor_mode: 1
  - .args:
      - .offset:         0
        .size:           184
        .value_kind:     by_value
    .group_segment_fixed_size: 13328
    .kernarg_segment_align: 8
    .kernarg_segment_size: 184
    .language:       OpenCL C
    .language_version:
      - 2
      - 0
    .max_flat_workgroup_size: 256
    .name:           _ZN7rocprim17ROCPRIM_400000_NS6detail17trampoline_kernelINS0_13select_configILj256ELj13ELNS0_17block_load_methodE3ELS4_3ELS4_3ELNS0_20block_scan_algorithmE0ELj4294967295EEENS1_25partition_config_selectorILNS1_17partition_subalgoE4EjNS0_10empty_typeEbEEZZNS1_14partition_implILS8_4ELb0ES6_15HIP_vector_typeIjLj2EENS0_17counting_iteratorIjlEEPS9_SG_NS0_5tupleIJPjSI_NS0_16reverse_iteratorISI_EEEEENSH_IJSG_SG_SG_EEES9_SI_JZNS1_25segmented_radix_sort_implINS0_14default_configELb0EPKfPfPKlPlN2at6native12_GLOBAL__N_18offset_tEEE10hipError_tPvRmT1_PNSt15iterator_traitsIS12_E10value_typeET2_T3_PNS13_IS18_E10value_typeET4_jRbjT5_S1E_jjP12ihipStream_tbEUljE_ZNSN_ISO_Lb0ESQ_SR_ST_SU_SY_EESZ_S10_S11_S12_S16_S17_S18_S1B_S1C_jS1D_jS1E_S1E_jjS1G_bEUljE0_EEESZ_S10_S11_S18_S1C_S1E_T6_T7_T9_mT8_S1G_bDpT10_ENKUlT_T0_E_clISt17integral_constantIbLb0EES1T_IbLb1EEEEDaS1P_S1Q_EUlS1P_E_NS1_11comp_targetILNS1_3genE8ELNS1_11target_archE1030ELNS1_3gpuE2ELNS1_3repE0EEENS1_30default_config_static_selectorELNS0_4arch9wavefront6targetE0EEEvS12_
    .private_segment_fixed_size: 0
    .sgpr_count:     57
    .sgpr_spill_count: 0
    .symbol:         _ZN7rocprim17ROCPRIM_400000_NS6detail17trampoline_kernelINS0_13select_configILj256ELj13ELNS0_17block_load_methodE3ELS4_3ELS4_3ELNS0_20block_scan_algorithmE0ELj4294967295EEENS1_25partition_config_selectorILNS1_17partition_subalgoE4EjNS0_10empty_typeEbEEZZNS1_14partition_implILS8_4ELb0ES6_15HIP_vector_typeIjLj2EENS0_17counting_iteratorIjlEEPS9_SG_NS0_5tupleIJPjSI_NS0_16reverse_iteratorISI_EEEEENSH_IJSG_SG_SG_EEES9_SI_JZNS1_25segmented_radix_sort_implINS0_14default_configELb0EPKfPfPKlPlN2at6native12_GLOBAL__N_18offset_tEEE10hipError_tPvRmT1_PNSt15iterator_traitsIS12_E10value_typeET2_T3_PNS13_IS18_E10value_typeET4_jRbjT5_S1E_jjP12ihipStream_tbEUljE_ZNSN_ISO_Lb0ESQ_SR_ST_SU_SY_EESZ_S10_S11_S12_S16_S17_S18_S1B_S1C_jS1D_jS1E_S1E_jjS1G_bEUljE0_EEESZ_S10_S11_S18_S1C_S1E_T6_T7_T9_mT8_S1G_bDpT10_ENKUlT_T0_E_clISt17integral_constantIbLb0EES1T_IbLb1EEEEDaS1P_S1Q_EUlS1P_E_NS1_11comp_targetILNS1_3genE8ELNS1_11target_archE1030ELNS1_3gpuE2ELNS1_3repE0EEENS1_30default_config_static_selectorELNS0_4arch9wavefront6targetE0EEEvS12_.kd
    .uniform_work_group_size: 1
    .uses_dynamic_stack: false
    .vgpr_count:     87
    .vgpr_spill_count: 0
    .wavefront_size: 32
    .workgroup_processor_mode: 1
  - .args:
      - .offset:         0
        .size:           144
        .value_kind:     by_value
    .group_segment_fixed_size: 0
    .kernarg_segment_align: 8
    .kernarg_segment_size: 144
    .language:       OpenCL C
    .language_version:
      - 2
      - 0
    .max_flat_workgroup_size: 256
    .name:           _ZN7rocprim17ROCPRIM_400000_NS6detail17trampoline_kernelINS0_13select_configILj256ELj13ELNS0_17block_load_methodE3ELS4_3ELS4_3ELNS0_20block_scan_algorithmE0ELj4294967295EEENS1_25partition_config_selectorILNS1_17partition_subalgoE3EjNS0_10empty_typeEbEEZZNS1_14partition_implILS8_3ELb0ES6_jNS0_17counting_iteratorIjlEEPS9_SE_NS0_5tupleIJPjSE_EEENSF_IJSE_SE_EEES9_SG_JZNS1_25segmented_radix_sort_implINS0_14default_configELb0EPKfPfPKlPlN2at6native12_GLOBAL__N_18offset_tEEE10hipError_tPvRmT1_PNSt15iterator_traitsISY_E10value_typeET2_T3_PNSZ_IS14_E10value_typeET4_jRbjT5_S1A_jjP12ihipStream_tbEUljE_EEESV_SW_SX_S14_S18_S1A_T6_T7_T9_mT8_S1C_bDpT10_ENKUlT_T0_E_clISt17integral_constantIbLb0EES1P_EEDaS1K_S1L_EUlS1K_E_NS1_11comp_targetILNS1_3genE0ELNS1_11target_archE4294967295ELNS1_3gpuE0ELNS1_3repE0EEENS1_30default_config_static_selectorELNS0_4arch9wavefront6targetE0EEEvSY_
    .private_segment_fixed_size: 0
    .sgpr_count:     0
    .sgpr_spill_count: 0
    .symbol:         _ZN7rocprim17ROCPRIM_400000_NS6detail17trampoline_kernelINS0_13select_configILj256ELj13ELNS0_17block_load_methodE3ELS4_3ELS4_3ELNS0_20block_scan_algorithmE0ELj4294967295EEENS1_25partition_config_selectorILNS1_17partition_subalgoE3EjNS0_10empty_typeEbEEZZNS1_14partition_implILS8_3ELb0ES6_jNS0_17counting_iteratorIjlEEPS9_SE_NS0_5tupleIJPjSE_EEENSF_IJSE_SE_EEES9_SG_JZNS1_25segmented_radix_sort_implINS0_14default_configELb0EPKfPfPKlPlN2at6native12_GLOBAL__N_18offset_tEEE10hipError_tPvRmT1_PNSt15iterator_traitsISY_E10value_typeET2_T3_PNSZ_IS14_E10value_typeET4_jRbjT5_S1A_jjP12ihipStream_tbEUljE_EEESV_SW_SX_S14_S18_S1A_T6_T7_T9_mT8_S1C_bDpT10_ENKUlT_T0_E_clISt17integral_constantIbLb0EES1P_EEDaS1K_S1L_EUlS1K_E_NS1_11comp_targetILNS1_3genE0ELNS1_11target_archE4294967295ELNS1_3gpuE0ELNS1_3repE0EEENS1_30default_config_static_selectorELNS0_4arch9wavefront6targetE0EEEvSY_.kd
    .uniform_work_group_size: 1
    .uses_dynamic_stack: false
    .vgpr_count:     0
    .vgpr_spill_count: 0
    .wavefront_size: 32
    .workgroup_processor_mode: 1
  - .args:
      - .offset:         0
        .size:           144
        .value_kind:     by_value
    .group_segment_fixed_size: 0
    .kernarg_segment_align: 8
    .kernarg_segment_size: 144
    .language:       OpenCL C
    .language_version:
      - 2
      - 0
    .max_flat_workgroup_size: 256
    .name:           _ZN7rocprim17ROCPRIM_400000_NS6detail17trampoline_kernelINS0_13select_configILj256ELj13ELNS0_17block_load_methodE3ELS4_3ELS4_3ELNS0_20block_scan_algorithmE0ELj4294967295EEENS1_25partition_config_selectorILNS1_17partition_subalgoE3EjNS0_10empty_typeEbEEZZNS1_14partition_implILS8_3ELb0ES6_jNS0_17counting_iteratorIjlEEPS9_SE_NS0_5tupleIJPjSE_EEENSF_IJSE_SE_EEES9_SG_JZNS1_25segmented_radix_sort_implINS0_14default_configELb0EPKfPfPKlPlN2at6native12_GLOBAL__N_18offset_tEEE10hipError_tPvRmT1_PNSt15iterator_traitsISY_E10value_typeET2_T3_PNSZ_IS14_E10value_typeET4_jRbjT5_S1A_jjP12ihipStream_tbEUljE_EEESV_SW_SX_S14_S18_S1A_T6_T7_T9_mT8_S1C_bDpT10_ENKUlT_T0_E_clISt17integral_constantIbLb0EES1P_EEDaS1K_S1L_EUlS1K_E_NS1_11comp_targetILNS1_3genE5ELNS1_11target_archE942ELNS1_3gpuE9ELNS1_3repE0EEENS1_30default_config_static_selectorELNS0_4arch9wavefront6targetE0EEEvSY_
    .private_segment_fixed_size: 0
    .sgpr_count:     0
    .sgpr_spill_count: 0
    .symbol:         _ZN7rocprim17ROCPRIM_400000_NS6detail17trampoline_kernelINS0_13select_configILj256ELj13ELNS0_17block_load_methodE3ELS4_3ELS4_3ELNS0_20block_scan_algorithmE0ELj4294967295EEENS1_25partition_config_selectorILNS1_17partition_subalgoE3EjNS0_10empty_typeEbEEZZNS1_14partition_implILS8_3ELb0ES6_jNS0_17counting_iteratorIjlEEPS9_SE_NS0_5tupleIJPjSE_EEENSF_IJSE_SE_EEES9_SG_JZNS1_25segmented_radix_sort_implINS0_14default_configELb0EPKfPfPKlPlN2at6native12_GLOBAL__N_18offset_tEEE10hipError_tPvRmT1_PNSt15iterator_traitsISY_E10value_typeET2_T3_PNSZ_IS14_E10value_typeET4_jRbjT5_S1A_jjP12ihipStream_tbEUljE_EEESV_SW_SX_S14_S18_S1A_T6_T7_T9_mT8_S1C_bDpT10_ENKUlT_T0_E_clISt17integral_constantIbLb0EES1P_EEDaS1K_S1L_EUlS1K_E_NS1_11comp_targetILNS1_3genE5ELNS1_11target_archE942ELNS1_3gpuE9ELNS1_3repE0EEENS1_30default_config_static_selectorELNS0_4arch9wavefront6targetE0EEEvSY_.kd
    .uniform_work_group_size: 1
    .uses_dynamic_stack: false
    .vgpr_count:     0
    .vgpr_spill_count: 0
    .wavefront_size: 32
    .workgroup_processor_mode: 1
  - .args:
      - .offset:         0
        .size:           144
        .value_kind:     by_value
    .group_segment_fixed_size: 0
    .kernarg_segment_align: 8
    .kernarg_segment_size: 144
    .language:       OpenCL C
    .language_version:
      - 2
      - 0
    .max_flat_workgroup_size: 256
    .name:           _ZN7rocprim17ROCPRIM_400000_NS6detail17trampoline_kernelINS0_13select_configILj256ELj13ELNS0_17block_load_methodE3ELS4_3ELS4_3ELNS0_20block_scan_algorithmE0ELj4294967295EEENS1_25partition_config_selectorILNS1_17partition_subalgoE3EjNS0_10empty_typeEbEEZZNS1_14partition_implILS8_3ELb0ES6_jNS0_17counting_iteratorIjlEEPS9_SE_NS0_5tupleIJPjSE_EEENSF_IJSE_SE_EEES9_SG_JZNS1_25segmented_radix_sort_implINS0_14default_configELb0EPKfPfPKlPlN2at6native12_GLOBAL__N_18offset_tEEE10hipError_tPvRmT1_PNSt15iterator_traitsISY_E10value_typeET2_T3_PNSZ_IS14_E10value_typeET4_jRbjT5_S1A_jjP12ihipStream_tbEUljE_EEESV_SW_SX_S14_S18_S1A_T6_T7_T9_mT8_S1C_bDpT10_ENKUlT_T0_E_clISt17integral_constantIbLb0EES1P_EEDaS1K_S1L_EUlS1K_E_NS1_11comp_targetILNS1_3genE4ELNS1_11target_archE910ELNS1_3gpuE8ELNS1_3repE0EEENS1_30default_config_static_selectorELNS0_4arch9wavefront6targetE0EEEvSY_
    .private_segment_fixed_size: 0
    .sgpr_count:     0
    .sgpr_spill_count: 0
    .symbol:         _ZN7rocprim17ROCPRIM_400000_NS6detail17trampoline_kernelINS0_13select_configILj256ELj13ELNS0_17block_load_methodE3ELS4_3ELS4_3ELNS0_20block_scan_algorithmE0ELj4294967295EEENS1_25partition_config_selectorILNS1_17partition_subalgoE3EjNS0_10empty_typeEbEEZZNS1_14partition_implILS8_3ELb0ES6_jNS0_17counting_iteratorIjlEEPS9_SE_NS0_5tupleIJPjSE_EEENSF_IJSE_SE_EEES9_SG_JZNS1_25segmented_radix_sort_implINS0_14default_configELb0EPKfPfPKlPlN2at6native12_GLOBAL__N_18offset_tEEE10hipError_tPvRmT1_PNSt15iterator_traitsISY_E10value_typeET2_T3_PNSZ_IS14_E10value_typeET4_jRbjT5_S1A_jjP12ihipStream_tbEUljE_EEESV_SW_SX_S14_S18_S1A_T6_T7_T9_mT8_S1C_bDpT10_ENKUlT_T0_E_clISt17integral_constantIbLb0EES1P_EEDaS1K_S1L_EUlS1K_E_NS1_11comp_targetILNS1_3genE4ELNS1_11target_archE910ELNS1_3gpuE8ELNS1_3repE0EEENS1_30default_config_static_selectorELNS0_4arch9wavefront6targetE0EEEvSY_.kd
    .uniform_work_group_size: 1
    .uses_dynamic_stack: false
    .vgpr_count:     0
    .vgpr_spill_count: 0
    .wavefront_size: 32
    .workgroup_processor_mode: 1
  - .args:
      - .offset:         0
        .size:           144
        .value_kind:     by_value
    .group_segment_fixed_size: 0
    .kernarg_segment_align: 8
    .kernarg_segment_size: 144
    .language:       OpenCL C
    .language_version:
      - 2
      - 0
    .max_flat_workgroup_size: 256
    .name:           _ZN7rocprim17ROCPRIM_400000_NS6detail17trampoline_kernelINS0_13select_configILj256ELj13ELNS0_17block_load_methodE3ELS4_3ELS4_3ELNS0_20block_scan_algorithmE0ELj4294967295EEENS1_25partition_config_selectorILNS1_17partition_subalgoE3EjNS0_10empty_typeEbEEZZNS1_14partition_implILS8_3ELb0ES6_jNS0_17counting_iteratorIjlEEPS9_SE_NS0_5tupleIJPjSE_EEENSF_IJSE_SE_EEES9_SG_JZNS1_25segmented_radix_sort_implINS0_14default_configELb0EPKfPfPKlPlN2at6native12_GLOBAL__N_18offset_tEEE10hipError_tPvRmT1_PNSt15iterator_traitsISY_E10value_typeET2_T3_PNSZ_IS14_E10value_typeET4_jRbjT5_S1A_jjP12ihipStream_tbEUljE_EEESV_SW_SX_S14_S18_S1A_T6_T7_T9_mT8_S1C_bDpT10_ENKUlT_T0_E_clISt17integral_constantIbLb0EES1P_EEDaS1K_S1L_EUlS1K_E_NS1_11comp_targetILNS1_3genE3ELNS1_11target_archE908ELNS1_3gpuE7ELNS1_3repE0EEENS1_30default_config_static_selectorELNS0_4arch9wavefront6targetE0EEEvSY_
    .private_segment_fixed_size: 0
    .sgpr_count:     0
    .sgpr_spill_count: 0
    .symbol:         _ZN7rocprim17ROCPRIM_400000_NS6detail17trampoline_kernelINS0_13select_configILj256ELj13ELNS0_17block_load_methodE3ELS4_3ELS4_3ELNS0_20block_scan_algorithmE0ELj4294967295EEENS1_25partition_config_selectorILNS1_17partition_subalgoE3EjNS0_10empty_typeEbEEZZNS1_14partition_implILS8_3ELb0ES6_jNS0_17counting_iteratorIjlEEPS9_SE_NS0_5tupleIJPjSE_EEENSF_IJSE_SE_EEES9_SG_JZNS1_25segmented_radix_sort_implINS0_14default_configELb0EPKfPfPKlPlN2at6native12_GLOBAL__N_18offset_tEEE10hipError_tPvRmT1_PNSt15iterator_traitsISY_E10value_typeET2_T3_PNSZ_IS14_E10value_typeET4_jRbjT5_S1A_jjP12ihipStream_tbEUljE_EEESV_SW_SX_S14_S18_S1A_T6_T7_T9_mT8_S1C_bDpT10_ENKUlT_T0_E_clISt17integral_constantIbLb0EES1P_EEDaS1K_S1L_EUlS1K_E_NS1_11comp_targetILNS1_3genE3ELNS1_11target_archE908ELNS1_3gpuE7ELNS1_3repE0EEENS1_30default_config_static_selectorELNS0_4arch9wavefront6targetE0EEEvSY_.kd
    .uniform_work_group_size: 1
    .uses_dynamic_stack: false
    .vgpr_count:     0
    .vgpr_spill_count: 0
    .wavefront_size: 32
    .workgroup_processor_mode: 1
  - .args:
      - .offset:         0
        .size:           144
        .value_kind:     by_value
    .group_segment_fixed_size: 0
    .kernarg_segment_align: 8
    .kernarg_segment_size: 144
    .language:       OpenCL C
    .language_version:
      - 2
      - 0
    .max_flat_workgroup_size: 256
    .name:           _ZN7rocprim17ROCPRIM_400000_NS6detail17trampoline_kernelINS0_13select_configILj256ELj13ELNS0_17block_load_methodE3ELS4_3ELS4_3ELNS0_20block_scan_algorithmE0ELj4294967295EEENS1_25partition_config_selectorILNS1_17partition_subalgoE3EjNS0_10empty_typeEbEEZZNS1_14partition_implILS8_3ELb0ES6_jNS0_17counting_iteratorIjlEEPS9_SE_NS0_5tupleIJPjSE_EEENSF_IJSE_SE_EEES9_SG_JZNS1_25segmented_radix_sort_implINS0_14default_configELb0EPKfPfPKlPlN2at6native12_GLOBAL__N_18offset_tEEE10hipError_tPvRmT1_PNSt15iterator_traitsISY_E10value_typeET2_T3_PNSZ_IS14_E10value_typeET4_jRbjT5_S1A_jjP12ihipStream_tbEUljE_EEESV_SW_SX_S14_S18_S1A_T6_T7_T9_mT8_S1C_bDpT10_ENKUlT_T0_E_clISt17integral_constantIbLb0EES1P_EEDaS1K_S1L_EUlS1K_E_NS1_11comp_targetILNS1_3genE2ELNS1_11target_archE906ELNS1_3gpuE6ELNS1_3repE0EEENS1_30default_config_static_selectorELNS0_4arch9wavefront6targetE0EEEvSY_
    .private_segment_fixed_size: 0
    .sgpr_count:     0
    .sgpr_spill_count: 0
    .symbol:         _ZN7rocprim17ROCPRIM_400000_NS6detail17trampoline_kernelINS0_13select_configILj256ELj13ELNS0_17block_load_methodE3ELS4_3ELS4_3ELNS0_20block_scan_algorithmE0ELj4294967295EEENS1_25partition_config_selectorILNS1_17partition_subalgoE3EjNS0_10empty_typeEbEEZZNS1_14partition_implILS8_3ELb0ES6_jNS0_17counting_iteratorIjlEEPS9_SE_NS0_5tupleIJPjSE_EEENSF_IJSE_SE_EEES9_SG_JZNS1_25segmented_radix_sort_implINS0_14default_configELb0EPKfPfPKlPlN2at6native12_GLOBAL__N_18offset_tEEE10hipError_tPvRmT1_PNSt15iterator_traitsISY_E10value_typeET2_T3_PNSZ_IS14_E10value_typeET4_jRbjT5_S1A_jjP12ihipStream_tbEUljE_EEESV_SW_SX_S14_S18_S1A_T6_T7_T9_mT8_S1C_bDpT10_ENKUlT_T0_E_clISt17integral_constantIbLb0EES1P_EEDaS1K_S1L_EUlS1K_E_NS1_11comp_targetILNS1_3genE2ELNS1_11target_archE906ELNS1_3gpuE6ELNS1_3repE0EEENS1_30default_config_static_selectorELNS0_4arch9wavefront6targetE0EEEvSY_.kd
    .uniform_work_group_size: 1
    .uses_dynamic_stack: false
    .vgpr_count:     0
    .vgpr_spill_count: 0
    .wavefront_size: 32
    .workgroup_processor_mode: 1
  - .args:
      - .offset:         0
        .size:           144
        .value_kind:     by_value
    .group_segment_fixed_size: 0
    .kernarg_segment_align: 8
    .kernarg_segment_size: 144
    .language:       OpenCL C
    .language_version:
      - 2
      - 0
    .max_flat_workgroup_size: 256
    .name:           _ZN7rocprim17ROCPRIM_400000_NS6detail17trampoline_kernelINS0_13select_configILj256ELj13ELNS0_17block_load_methodE3ELS4_3ELS4_3ELNS0_20block_scan_algorithmE0ELj4294967295EEENS1_25partition_config_selectorILNS1_17partition_subalgoE3EjNS0_10empty_typeEbEEZZNS1_14partition_implILS8_3ELb0ES6_jNS0_17counting_iteratorIjlEEPS9_SE_NS0_5tupleIJPjSE_EEENSF_IJSE_SE_EEES9_SG_JZNS1_25segmented_radix_sort_implINS0_14default_configELb0EPKfPfPKlPlN2at6native12_GLOBAL__N_18offset_tEEE10hipError_tPvRmT1_PNSt15iterator_traitsISY_E10value_typeET2_T3_PNSZ_IS14_E10value_typeET4_jRbjT5_S1A_jjP12ihipStream_tbEUljE_EEESV_SW_SX_S14_S18_S1A_T6_T7_T9_mT8_S1C_bDpT10_ENKUlT_T0_E_clISt17integral_constantIbLb0EES1P_EEDaS1K_S1L_EUlS1K_E_NS1_11comp_targetILNS1_3genE10ELNS1_11target_archE1200ELNS1_3gpuE4ELNS1_3repE0EEENS1_30default_config_static_selectorELNS0_4arch9wavefront6targetE0EEEvSY_
    .private_segment_fixed_size: 0
    .sgpr_count:     0
    .sgpr_spill_count: 0
    .symbol:         _ZN7rocprim17ROCPRIM_400000_NS6detail17trampoline_kernelINS0_13select_configILj256ELj13ELNS0_17block_load_methodE3ELS4_3ELS4_3ELNS0_20block_scan_algorithmE0ELj4294967295EEENS1_25partition_config_selectorILNS1_17partition_subalgoE3EjNS0_10empty_typeEbEEZZNS1_14partition_implILS8_3ELb0ES6_jNS0_17counting_iteratorIjlEEPS9_SE_NS0_5tupleIJPjSE_EEENSF_IJSE_SE_EEES9_SG_JZNS1_25segmented_radix_sort_implINS0_14default_configELb0EPKfPfPKlPlN2at6native12_GLOBAL__N_18offset_tEEE10hipError_tPvRmT1_PNSt15iterator_traitsISY_E10value_typeET2_T3_PNSZ_IS14_E10value_typeET4_jRbjT5_S1A_jjP12ihipStream_tbEUljE_EEESV_SW_SX_S14_S18_S1A_T6_T7_T9_mT8_S1C_bDpT10_ENKUlT_T0_E_clISt17integral_constantIbLb0EES1P_EEDaS1K_S1L_EUlS1K_E_NS1_11comp_targetILNS1_3genE10ELNS1_11target_archE1200ELNS1_3gpuE4ELNS1_3repE0EEENS1_30default_config_static_selectorELNS0_4arch9wavefront6targetE0EEEvSY_.kd
    .uniform_work_group_size: 1
    .uses_dynamic_stack: false
    .vgpr_count:     0
    .vgpr_spill_count: 0
    .wavefront_size: 32
    .workgroup_processor_mode: 1
  - .args:
      - .offset:         0
        .size:           144
        .value_kind:     by_value
    .group_segment_fixed_size: 0
    .kernarg_segment_align: 8
    .kernarg_segment_size: 144
    .language:       OpenCL C
    .language_version:
      - 2
      - 0
    .max_flat_workgroup_size: 256
    .name:           _ZN7rocprim17ROCPRIM_400000_NS6detail17trampoline_kernelINS0_13select_configILj256ELj13ELNS0_17block_load_methodE3ELS4_3ELS4_3ELNS0_20block_scan_algorithmE0ELj4294967295EEENS1_25partition_config_selectorILNS1_17partition_subalgoE3EjNS0_10empty_typeEbEEZZNS1_14partition_implILS8_3ELb0ES6_jNS0_17counting_iteratorIjlEEPS9_SE_NS0_5tupleIJPjSE_EEENSF_IJSE_SE_EEES9_SG_JZNS1_25segmented_radix_sort_implINS0_14default_configELb0EPKfPfPKlPlN2at6native12_GLOBAL__N_18offset_tEEE10hipError_tPvRmT1_PNSt15iterator_traitsISY_E10value_typeET2_T3_PNSZ_IS14_E10value_typeET4_jRbjT5_S1A_jjP12ihipStream_tbEUljE_EEESV_SW_SX_S14_S18_S1A_T6_T7_T9_mT8_S1C_bDpT10_ENKUlT_T0_E_clISt17integral_constantIbLb0EES1P_EEDaS1K_S1L_EUlS1K_E_NS1_11comp_targetILNS1_3genE9ELNS1_11target_archE1100ELNS1_3gpuE3ELNS1_3repE0EEENS1_30default_config_static_selectorELNS0_4arch9wavefront6targetE0EEEvSY_
    .private_segment_fixed_size: 0
    .sgpr_count:     0
    .sgpr_spill_count: 0
    .symbol:         _ZN7rocprim17ROCPRIM_400000_NS6detail17trampoline_kernelINS0_13select_configILj256ELj13ELNS0_17block_load_methodE3ELS4_3ELS4_3ELNS0_20block_scan_algorithmE0ELj4294967295EEENS1_25partition_config_selectorILNS1_17partition_subalgoE3EjNS0_10empty_typeEbEEZZNS1_14partition_implILS8_3ELb0ES6_jNS0_17counting_iteratorIjlEEPS9_SE_NS0_5tupleIJPjSE_EEENSF_IJSE_SE_EEES9_SG_JZNS1_25segmented_radix_sort_implINS0_14default_configELb0EPKfPfPKlPlN2at6native12_GLOBAL__N_18offset_tEEE10hipError_tPvRmT1_PNSt15iterator_traitsISY_E10value_typeET2_T3_PNSZ_IS14_E10value_typeET4_jRbjT5_S1A_jjP12ihipStream_tbEUljE_EEESV_SW_SX_S14_S18_S1A_T6_T7_T9_mT8_S1C_bDpT10_ENKUlT_T0_E_clISt17integral_constantIbLb0EES1P_EEDaS1K_S1L_EUlS1K_E_NS1_11comp_targetILNS1_3genE9ELNS1_11target_archE1100ELNS1_3gpuE3ELNS1_3repE0EEENS1_30default_config_static_selectorELNS0_4arch9wavefront6targetE0EEEvSY_.kd
    .uniform_work_group_size: 1
    .uses_dynamic_stack: false
    .vgpr_count:     0
    .vgpr_spill_count: 0
    .wavefront_size: 32
    .workgroup_processor_mode: 1
  - .args:
      - .offset:         0
        .size:           144
        .value_kind:     by_value
    .group_segment_fixed_size: 13320
    .kernarg_segment_align: 8
    .kernarg_segment_size: 144
    .language:       OpenCL C
    .language_version:
      - 2
      - 0
    .max_flat_workgroup_size: 256
    .name:           _ZN7rocprim17ROCPRIM_400000_NS6detail17trampoline_kernelINS0_13select_configILj256ELj13ELNS0_17block_load_methodE3ELS4_3ELS4_3ELNS0_20block_scan_algorithmE0ELj4294967295EEENS1_25partition_config_selectorILNS1_17partition_subalgoE3EjNS0_10empty_typeEbEEZZNS1_14partition_implILS8_3ELb0ES6_jNS0_17counting_iteratorIjlEEPS9_SE_NS0_5tupleIJPjSE_EEENSF_IJSE_SE_EEES9_SG_JZNS1_25segmented_radix_sort_implINS0_14default_configELb0EPKfPfPKlPlN2at6native12_GLOBAL__N_18offset_tEEE10hipError_tPvRmT1_PNSt15iterator_traitsISY_E10value_typeET2_T3_PNSZ_IS14_E10value_typeET4_jRbjT5_S1A_jjP12ihipStream_tbEUljE_EEESV_SW_SX_S14_S18_S1A_T6_T7_T9_mT8_S1C_bDpT10_ENKUlT_T0_E_clISt17integral_constantIbLb0EES1P_EEDaS1K_S1L_EUlS1K_E_NS1_11comp_targetILNS1_3genE8ELNS1_11target_archE1030ELNS1_3gpuE2ELNS1_3repE0EEENS1_30default_config_static_selectorELNS0_4arch9wavefront6targetE0EEEvSY_
    .private_segment_fixed_size: 0
    .sgpr_count:     29
    .sgpr_spill_count: 0
    .symbol:         _ZN7rocprim17ROCPRIM_400000_NS6detail17trampoline_kernelINS0_13select_configILj256ELj13ELNS0_17block_load_methodE3ELS4_3ELS4_3ELNS0_20block_scan_algorithmE0ELj4294967295EEENS1_25partition_config_selectorILNS1_17partition_subalgoE3EjNS0_10empty_typeEbEEZZNS1_14partition_implILS8_3ELb0ES6_jNS0_17counting_iteratorIjlEEPS9_SE_NS0_5tupleIJPjSE_EEENSF_IJSE_SE_EEES9_SG_JZNS1_25segmented_radix_sort_implINS0_14default_configELb0EPKfPfPKlPlN2at6native12_GLOBAL__N_18offset_tEEE10hipError_tPvRmT1_PNSt15iterator_traitsISY_E10value_typeET2_T3_PNSZ_IS14_E10value_typeET4_jRbjT5_S1A_jjP12ihipStream_tbEUljE_EEESV_SW_SX_S14_S18_S1A_T6_T7_T9_mT8_S1C_bDpT10_ENKUlT_T0_E_clISt17integral_constantIbLb0EES1P_EEDaS1K_S1L_EUlS1K_E_NS1_11comp_targetILNS1_3genE8ELNS1_11target_archE1030ELNS1_3gpuE2ELNS1_3repE0EEENS1_30default_config_static_selectorELNS0_4arch9wavefront6targetE0EEEvSY_.kd
    .uniform_work_group_size: 1
    .uses_dynamic_stack: false
    .vgpr_count:     69
    .vgpr_spill_count: 0
    .wavefront_size: 32
    .workgroup_processor_mode: 1
  - .args:
      - .offset:         0
        .size:           152
        .value_kind:     by_value
    .group_segment_fixed_size: 0
    .kernarg_segment_align: 8
    .kernarg_segment_size: 152
    .language:       OpenCL C
    .language_version:
      - 2
      - 0
    .max_flat_workgroup_size: 256
    .name:           _ZN7rocprim17ROCPRIM_400000_NS6detail17trampoline_kernelINS0_13select_configILj256ELj13ELNS0_17block_load_methodE3ELS4_3ELS4_3ELNS0_20block_scan_algorithmE0ELj4294967295EEENS1_25partition_config_selectorILNS1_17partition_subalgoE3EjNS0_10empty_typeEbEEZZNS1_14partition_implILS8_3ELb0ES6_jNS0_17counting_iteratorIjlEEPS9_SE_NS0_5tupleIJPjSE_EEENSF_IJSE_SE_EEES9_SG_JZNS1_25segmented_radix_sort_implINS0_14default_configELb0EPKfPfPKlPlN2at6native12_GLOBAL__N_18offset_tEEE10hipError_tPvRmT1_PNSt15iterator_traitsISY_E10value_typeET2_T3_PNSZ_IS14_E10value_typeET4_jRbjT5_S1A_jjP12ihipStream_tbEUljE_EEESV_SW_SX_S14_S18_S1A_T6_T7_T9_mT8_S1C_bDpT10_ENKUlT_T0_E_clISt17integral_constantIbLb1EES1P_EEDaS1K_S1L_EUlS1K_E_NS1_11comp_targetILNS1_3genE0ELNS1_11target_archE4294967295ELNS1_3gpuE0ELNS1_3repE0EEENS1_30default_config_static_selectorELNS0_4arch9wavefront6targetE0EEEvSY_
    .private_segment_fixed_size: 0
    .sgpr_count:     0
    .sgpr_spill_count: 0
    .symbol:         _ZN7rocprim17ROCPRIM_400000_NS6detail17trampoline_kernelINS0_13select_configILj256ELj13ELNS0_17block_load_methodE3ELS4_3ELS4_3ELNS0_20block_scan_algorithmE0ELj4294967295EEENS1_25partition_config_selectorILNS1_17partition_subalgoE3EjNS0_10empty_typeEbEEZZNS1_14partition_implILS8_3ELb0ES6_jNS0_17counting_iteratorIjlEEPS9_SE_NS0_5tupleIJPjSE_EEENSF_IJSE_SE_EEES9_SG_JZNS1_25segmented_radix_sort_implINS0_14default_configELb0EPKfPfPKlPlN2at6native12_GLOBAL__N_18offset_tEEE10hipError_tPvRmT1_PNSt15iterator_traitsISY_E10value_typeET2_T3_PNSZ_IS14_E10value_typeET4_jRbjT5_S1A_jjP12ihipStream_tbEUljE_EEESV_SW_SX_S14_S18_S1A_T6_T7_T9_mT8_S1C_bDpT10_ENKUlT_T0_E_clISt17integral_constantIbLb1EES1P_EEDaS1K_S1L_EUlS1K_E_NS1_11comp_targetILNS1_3genE0ELNS1_11target_archE4294967295ELNS1_3gpuE0ELNS1_3repE0EEENS1_30default_config_static_selectorELNS0_4arch9wavefront6targetE0EEEvSY_.kd
    .uniform_work_group_size: 1
    .uses_dynamic_stack: false
    .vgpr_count:     0
    .vgpr_spill_count: 0
    .wavefront_size: 32
    .workgroup_processor_mode: 1
  - .args:
      - .offset:         0
        .size:           152
        .value_kind:     by_value
    .group_segment_fixed_size: 0
    .kernarg_segment_align: 8
    .kernarg_segment_size: 152
    .language:       OpenCL C
    .language_version:
      - 2
      - 0
    .max_flat_workgroup_size: 256
    .name:           _ZN7rocprim17ROCPRIM_400000_NS6detail17trampoline_kernelINS0_13select_configILj256ELj13ELNS0_17block_load_methodE3ELS4_3ELS4_3ELNS0_20block_scan_algorithmE0ELj4294967295EEENS1_25partition_config_selectorILNS1_17partition_subalgoE3EjNS0_10empty_typeEbEEZZNS1_14partition_implILS8_3ELb0ES6_jNS0_17counting_iteratorIjlEEPS9_SE_NS0_5tupleIJPjSE_EEENSF_IJSE_SE_EEES9_SG_JZNS1_25segmented_radix_sort_implINS0_14default_configELb0EPKfPfPKlPlN2at6native12_GLOBAL__N_18offset_tEEE10hipError_tPvRmT1_PNSt15iterator_traitsISY_E10value_typeET2_T3_PNSZ_IS14_E10value_typeET4_jRbjT5_S1A_jjP12ihipStream_tbEUljE_EEESV_SW_SX_S14_S18_S1A_T6_T7_T9_mT8_S1C_bDpT10_ENKUlT_T0_E_clISt17integral_constantIbLb1EES1P_EEDaS1K_S1L_EUlS1K_E_NS1_11comp_targetILNS1_3genE5ELNS1_11target_archE942ELNS1_3gpuE9ELNS1_3repE0EEENS1_30default_config_static_selectorELNS0_4arch9wavefront6targetE0EEEvSY_
    .private_segment_fixed_size: 0
    .sgpr_count:     0
    .sgpr_spill_count: 0
    .symbol:         _ZN7rocprim17ROCPRIM_400000_NS6detail17trampoline_kernelINS0_13select_configILj256ELj13ELNS0_17block_load_methodE3ELS4_3ELS4_3ELNS0_20block_scan_algorithmE0ELj4294967295EEENS1_25partition_config_selectorILNS1_17partition_subalgoE3EjNS0_10empty_typeEbEEZZNS1_14partition_implILS8_3ELb0ES6_jNS0_17counting_iteratorIjlEEPS9_SE_NS0_5tupleIJPjSE_EEENSF_IJSE_SE_EEES9_SG_JZNS1_25segmented_radix_sort_implINS0_14default_configELb0EPKfPfPKlPlN2at6native12_GLOBAL__N_18offset_tEEE10hipError_tPvRmT1_PNSt15iterator_traitsISY_E10value_typeET2_T3_PNSZ_IS14_E10value_typeET4_jRbjT5_S1A_jjP12ihipStream_tbEUljE_EEESV_SW_SX_S14_S18_S1A_T6_T7_T9_mT8_S1C_bDpT10_ENKUlT_T0_E_clISt17integral_constantIbLb1EES1P_EEDaS1K_S1L_EUlS1K_E_NS1_11comp_targetILNS1_3genE5ELNS1_11target_archE942ELNS1_3gpuE9ELNS1_3repE0EEENS1_30default_config_static_selectorELNS0_4arch9wavefront6targetE0EEEvSY_.kd
    .uniform_work_group_size: 1
    .uses_dynamic_stack: false
    .vgpr_count:     0
    .vgpr_spill_count: 0
    .wavefront_size: 32
    .workgroup_processor_mode: 1
  - .args:
      - .offset:         0
        .size:           152
        .value_kind:     by_value
    .group_segment_fixed_size: 0
    .kernarg_segment_align: 8
    .kernarg_segment_size: 152
    .language:       OpenCL C
    .language_version:
      - 2
      - 0
    .max_flat_workgroup_size: 256
    .name:           _ZN7rocprim17ROCPRIM_400000_NS6detail17trampoline_kernelINS0_13select_configILj256ELj13ELNS0_17block_load_methodE3ELS4_3ELS4_3ELNS0_20block_scan_algorithmE0ELj4294967295EEENS1_25partition_config_selectorILNS1_17partition_subalgoE3EjNS0_10empty_typeEbEEZZNS1_14partition_implILS8_3ELb0ES6_jNS0_17counting_iteratorIjlEEPS9_SE_NS0_5tupleIJPjSE_EEENSF_IJSE_SE_EEES9_SG_JZNS1_25segmented_radix_sort_implINS0_14default_configELb0EPKfPfPKlPlN2at6native12_GLOBAL__N_18offset_tEEE10hipError_tPvRmT1_PNSt15iterator_traitsISY_E10value_typeET2_T3_PNSZ_IS14_E10value_typeET4_jRbjT5_S1A_jjP12ihipStream_tbEUljE_EEESV_SW_SX_S14_S18_S1A_T6_T7_T9_mT8_S1C_bDpT10_ENKUlT_T0_E_clISt17integral_constantIbLb1EES1P_EEDaS1K_S1L_EUlS1K_E_NS1_11comp_targetILNS1_3genE4ELNS1_11target_archE910ELNS1_3gpuE8ELNS1_3repE0EEENS1_30default_config_static_selectorELNS0_4arch9wavefront6targetE0EEEvSY_
    .private_segment_fixed_size: 0
    .sgpr_count:     0
    .sgpr_spill_count: 0
    .symbol:         _ZN7rocprim17ROCPRIM_400000_NS6detail17trampoline_kernelINS0_13select_configILj256ELj13ELNS0_17block_load_methodE3ELS4_3ELS4_3ELNS0_20block_scan_algorithmE0ELj4294967295EEENS1_25partition_config_selectorILNS1_17partition_subalgoE3EjNS0_10empty_typeEbEEZZNS1_14partition_implILS8_3ELb0ES6_jNS0_17counting_iteratorIjlEEPS9_SE_NS0_5tupleIJPjSE_EEENSF_IJSE_SE_EEES9_SG_JZNS1_25segmented_radix_sort_implINS0_14default_configELb0EPKfPfPKlPlN2at6native12_GLOBAL__N_18offset_tEEE10hipError_tPvRmT1_PNSt15iterator_traitsISY_E10value_typeET2_T3_PNSZ_IS14_E10value_typeET4_jRbjT5_S1A_jjP12ihipStream_tbEUljE_EEESV_SW_SX_S14_S18_S1A_T6_T7_T9_mT8_S1C_bDpT10_ENKUlT_T0_E_clISt17integral_constantIbLb1EES1P_EEDaS1K_S1L_EUlS1K_E_NS1_11comp_targetILNS1_3genE4ELNS1_11target_archE910ELNS1_3gpuE8ELNS1_3repE0EEENS1_30default_config_static_selectorELNS0_4arch9wavefront6targetE0EEEvSY_.kd
    .uniform_work_group_size: 1
    .uses_dynamic_stack: false
    .vgpr_count:     0
    .vgpr_spill_count: 0
    .wavefront_size: 32
    .workgroup_processor_mode: 1
  - .args:
      - .offset:         0
        .size:           152
        .value_kind:     by_value
    .group_segment_fixed_size: 0
    .kernarg_segment_align: 8
    .kernarg_segment_size: 152
    .language:       OpenCL C
    .language_version:
      - 2
      - 0
    .max_flat_workgroup_size: 256
    .name:           _ZN7rocprim17ROCPRIM_400000_NS6detail17trampoline_kernelINS0_13select_configILj256ELj13ELNS0_17block_load_methodE3ELS4_3ELS4_3ELNS0_20block_scan_algorithmE0ELj4294967295EEENS1_25partition_config_selectorILNS1_17partition_subalgoE3EjNS0_10empty_typeEbEEZZNS1_14partition_implILS8_3ELb0ES6_jNS0_17counting_iteratorIjlEEPS9_SE_NS0_5tupleIJPjSE_EEENSF_IJSE_SE_EEES9_SG_JZNS1_25segmented_radix_sort_implINS0_14default_configELb0EPKfPfPKlPlN2at6native12_GLOBAL__N_18offset_tEEE10hipError_tPvRmT1_PNSt15iterator_traitsISY_E10value_typeET2_T3_PNSZ_IS14_E10value_typeET4_jRbjT5_S1A_jjP12ihipStream_tbEUljE_EEESV_SW_SX_S14_S18_S1A_T6_T7_T9_mT8_S1C_bDpT10_ENKUlT_T0_E_clISt17integral_constantIbLb1EES1P_EEDaS1K_S1L_EUlS1K_E_NS1_11comp_targetILNS1_3genE3ELNS1_11target_archE908ELNS1_3gpuE7ELNS1_3repE0EEENS1_30default_config_static_selectorELNS0_4arch9wavefront6targetE0EEEvSY_
    .private_segment_fixed_size: 0
    .sgpr_count:     0
    .sgpr_spill_count: 0
    .symbol:         _ZN7rocprim17ROCPRIM_400000_NS6detail17trampoline_kernelINS0_13select_configILj256ELj13ELNS0_17block_load_methodE3ELS4_3ELS4_3ELNS0_20block_scan_algorithmE0ELj4294967295EEENS1_25partition_config_selectorILNS1_17partition_subalgoE3EjNS0_10empty_typeEbEEZZNS1_14partition_implILS8_3ELb0ES6_jNS0_17counting_iteratorIjlEEPS9_SE_NS0_5tupleIJPjSE_EEENSF_IJSE_SE_EEES9_SG_JZNS1_25segmented_radix_sort_implINS0_14default_configELb0EPKfPfPKlPlN2at6native12_GLOBAL__N_18offset_tEEE10hipError_tPvRmT1_PNSt15iterator_traitsISY_E10value_typeET2_T3_PNSZ_IS14_E10value_typeET4_jRbjT5_S1A_jjP12ihipStream_tbEUljE_EEESV_SW_SX_S14_S18_S1A_T6_T7_T9_mT8_S1C_bDpT10_ENKUlT_T0_E_clISt17integral_constantIbLb1EES1P_EEDaS1K_S1L_EUlS1K_E_NS1_11comp_targetILNS1_3genE3ELNS1_11target_archE908ELNS1_3gpuE7ELNS1_3repE0EEENS1_30default_config_static_selectorELNS0_4arch9wavefront6targetE0EEEvSY_.kd
    .uniform_work_group_size: 1
    .uses_dynamic_stack: false
    .vgpr_count:     0
    .vgpr_spill_count: 0
    .wavefront_size: 32
    .workgroup_processor_mode: 1
  - .args:
      - .offset:         0
        .size:           152
        .value_kind:     by_value
    .group_segment_fixed_size: 0
    .kernarg_segment_align: 8
    .kernarg_segment_size: 152
    .language:       OpenCL C
    .language_version:
      - 2
      - 0
    .max_flat_workgroup_size: 256
    .name:           _ZN7rocprim17ROCPRIM_400000_NS6detail17trampoline_kernelINS0_13select_configILj256ELj13ELNS0_17block_load_methodE3ELS4_3ELS4_3ELNS0_20block_scan_algorithmE0ELj4294967295EEENS1_25partition_config_selectorILNS1_17partition_subalgoE3EjNS0_10empty_typeEbEEZZNS1_14partition_implILS8_3ELb0ES6_jNS0_17counting_iteratorIjlEEPS9_SE_NS0_5tupleIJPjSE_EEENSF_IJSE_SE_EEES9_SG_JZNS1_25segmented_radix_sort_implINS0_14default_configELb0EPKfPfPKlPlN2at6native12_GLOBAL__N_18offset_tEEE10hipError_tPvRmT1_PNSt15iterator_traitsISY_E10value_typeET2_T3_PNSZ_IS14_E10value_typeET4_jRbjT5_S1A_jjP12ihipStream_tbEUljE_EEESV_SW_SX_S14_S18_S1A_T6_T7_T9_mT8_S1C_bDpT10_ENKUlT_T0_E_clISt17integral_constantIbLb1EES1P_EEDaS1K_S1L_EUlS1K_E_NS1_11comp_targetILNS1_3genE2ELNS1_11target_archE906ELNS1_3gpuE6ELNS1_3repE0EEENS1_30default_config_static_selectorELNS0_4arch9wavefront6targetE0EEEvSY_
    .private_segment_fixed_size: 0
    .sgpr_count:     0
    .sgpr_spill_count: 0
    .symbol:         _ZN7rocprim17ROCPRIM_400000_NS6detail17trampoline_kernelINS0_13select_configILj256ELj13ELNS0_17block_load_methodE3ELS4_3ELS4_3ELNS0_20block_scan_algorithmE0ELj4294967295EEENS1_25partition_config_selectorILNS1_17partition_subalgoE3EjNS0_10empty_typeEbEEZZNS1_14partition_implILS8_3ELb0ES6_jNS0_17counting_iteratorIjlEEPS9_SE_NS0_5tupleIJPjSE_EEENSF_IJSE_SE_EEES9_SG_JZNS1_25segmented_radix_sort_implINS0_14default_configELb0EPKfPfPKlPlN2at6native12_GLOBAL__N_18offset_tEEE10hipError_tPvRmT1_PNSt15iterator_traitsISY_E10value_typeET2_T3_PNSZ_IS14_E10value_typeET4_jRbjT5_S1A_jjP12ihipStream_tbEUljE_EEESV_SW_SX_S14_S18_S1A_T6_T7_T9_mT8_S1C_bDpT10_ENKUlT_T0_E_clISt17integral_constantIbLb1EES1P_EEDaS1K_S1L_EUlS1K_E_NS1_11comp_targetILNS1_3genE2ELNS1_11target_archE906ELNS1_3gpuE6ELNS1_3repE0EEENS1_30default_config_static_selectorELNS0_4arch9wavefront6targetE0EEEvSY_.kd
    .uniform_work_group_size: 1
    .uses_dynamic_stack: false
    .vgpr_count:     0
    .vgpr_spill_count: 0
    .wavefront_size: 32
    .workgroup_processor_mode: 1
  - .args:
      - .offset:         0
        .size:           152
        .value_kind:     by_value
    .group_segment_fixed_size: 0
    .kernarg_segment_align: 8
    .kernarg_segment_size: 152
    .language:       OpenCL C
    .language_version:
      - 2
      - 0
    .max_flat_workgroup_size: 256
    .name:           _ZN7rocprim17ROCPRIM_400000_NS6detail17trampoline_kernelINS0_13select_configILj256ELj13ELNS0_17block_load_methodE3ELS4_3ELS4_3ELNS0_20block_scan_algorithmE0ELj4294967295EEENS1_25partition_config_selectorILNS1_17partition_subalgoE3EjNS0_10empty_typeEbEEZZNS1_14partition_implILS8_3ELb0ES6_jNS0_17counting_iteratorIjlEEPS9_SE_NS0_5tupleIJPjSE_EEENSF_IJSE_SE_EEES9_SG_JZNS1_25segmented_radix_sort_implINS0_14default_configELb0EPKfPfPKlPlN2at6native12_GLOBAL__N_18offset_tEEE10hipError_tPvRmT1_PNSt15iterator_traitsISY_E10value_typeET2_T3_PNSZ_IS14_E10value_typeET4_jRbjT5_S1A_jjP12ihipStream_tbEUljE_EEESV_SW_SX_S14_S18_S1A_T6_T7_T9_mT8_S1C_bDpT10_ENKUlT_T0_E_clISt17integral_constantIbLb1EES1P_EEDaS1K_S1L_EUlS1K_E_NS1_11comp_targetILNS1_3genE10ELNS1_11target_archE1200ELNS1_3gpuE4ELNS1_3repE0EEENS1_30default_config_static_selectorELNS0_4arch9wavefront6targetE0EEEvSY_
    .private_segment_fixed_size: 0
    .sgpr_count:     0
    .sgpr_spill_count: 0
    .symbol:         _ZN7rocprim17ROCPRIM_400000_NS6detail17trampoline_kernelINS0_13select_configILj256ELj13ELNS0_17block_load_methodE3ELS4_3ELS4_3ELNS0_20block_scan_algorithmE0ELj4294967295EEENS1_25partition_config_selectorILNS1_17partition_subalgoE3EjNS0_10empty_typeEbEEZZNS1_14partition_implILS8_3ELb0ES6_jNS0_17counting_iteratorIjlEEPS9_SE_NS0_5tupleIJPjSE_EEENSF_IJSE_SE_EEES9_SG_JZNS1_25segmented_radix_sort_implINS0_14default_configELb0EPKfPfPKlPlN2at6native12_GLOBAL__N_18offset_tEEE10hipError_tPvRmT1_PNSt15iterator_traitsISY_E10value_typeET2_T3_PNSZ_IS14_E10value_typeET4_jRbjT5_S1A_jjP12ihipStream_tbEUljE_EEESV_SW_SX_S14_S18_S1A_T6_T7_T9_mT8_S1C_bDpT10_ENKUlT_T0_E_clISt17integral_constantIbLb1EES1P_EEDaS1K_S1L_EUlS1K_E_NS1_11comp_targetILNS1_3genE10ELNS1_11target_archE1200ELNS1_3gpuE4ELNS1_3repE0EEENS1_30default_config_static_selectorELNS0_4arch9wavefront6targetE0EEEvSY_.kd
    .uniform_work_group_size: 1
    .uses_dynamic_stack: false
    .vgpr_count:     0
    .vgpr_spill_count: 0
    .wavefront_size: 32
    .workgroup_processor_mode: 1
  - .args:
      - .offset:         0
        .size:           152
        .value_kind:     by_value
    .group_segment_fixed_size: 0
    .kernarg_segment_align: 8
    .kernarg_segment_size: 152
    .language:       OpenCL C
    .language_version:
      - 2
      - 0
    .max_flat_workgroup_size: 256
    .name:           _ZN7rocprim17ROCPRIM_400000_NS6detail17trampoline_kernelINS0_13select_configILj256ELj13ELNS0_17block_load_methodE3ELS4_3ELS4_3ELNS0_20block_scan_algorithmE0ELj4294967295EEENS1_25partition_config_selectorILNS1_17partition_subalgoE3EjNS0_10empty_typeEbEEZZNS1_14partition_implILS8_3ELb0ES6_jNS0_17counting_iteratorIjlEEPS9_SE_NS0_5tupleIJPjSE_EEENSF_IJSE_SE_EEES9_SG_JZNS1_25segmented_radix_sort_implINS0_14default_configELb0EPKfPfPKlPlN2at6native12_GLOBAL__N_18offset_tEEE10hipError_tPvRmT1_PNSt15iterator_traitsISY_E10value_typeET2_T3_PNSZ_IS14_E10value_typeET4_jRbjT5_S1A_jjP12ihipStream_tbEUljE_EEESV_SW_SX_S14_S18_S1A_T6_T7_T9_mT8_S1C_bDpT10_ENKUlT_T0_E_clISt17integral_constantIbLb1EES1P_EEDaS1K_S1L_EUlS1K_E_NS1_11comp_targetILNS1_3genE9ELNS1_11target_archE1100ELNS1_3gpuE3ELNS1_3repE0EEENS1_30default_config_static_selectorELNS0_4arch9wavefront6targetE0EEEvSY_
    .private_segment_fixed_size: 0
    .sgpr_count:     0
    .sgpr_spill_count: 0
    .symbol:         _ZN7rocprim17ROCPRIM_400000_NS6detail17trampoline_kernelINS0_13select_configILj256ELj13ELNS0_17block_load_methodE3ELS4_3ELS4_3ELNS0_20block_scan_algorithmE0ELj4294967295EEENS1_25partition_config_selectorILNS1_17partition_subalgoE3EjNS0_10empty_typeEbEEZZNS1_14partition_implILS8_3ELb0ES6_jNS0_17counting_iteratorIjlEEPS9_SE_NS0_5tupleIJPjSE_EEENSF_IJSE_SE_EEES9_SG_JZNS1_25segmented_radix_sort_implINS0_14default_configELb0EPKfPfPKlPlN2at6native12_GLOBAL__N_18offset_tEEE10hipError_tPvRmT1_PNSt15iterator_traitsISY_E10value_typeET2_T3_PNSZ_IS14_E10value_typeET4_jRbjT5_S1A_jjP12ihipStream_tbEUljE_EEESV_SW_SX_S14_S18_S1A_T6_T7_T9_mT8_S1C_bDpT10_ENKUlT_T0_E_clISt17integral_constantIbLb1EES1P_EEDaS1K_S1L_EUlS1K_E_NS1_11comp_targetILNS1_3genE9ELNS1_11target_archE1100ELNS1_3gpuE3ELNS1_3repE0EEENS1_30default_config_static_selectorELNS0_4arch9wavefront6targetE0EEEvSY_.kd
    .uniform_work_group_size: 1
    .uses_dynamic_stack: false
    .vgpr_count:     0
    .vgpr_spill_count: 0
    .wavefront_size: 32
    .workgroup_processor_mode: 1
  - .args:
      - .offset:         0
        .size:           152
        .value_kind:     by_value
    .group_segment_fixed_size: 0
    .kernarg_segment_align: 8
    .kernarg_segment_size: 152
    .language:       OpenCL C
    .language_version:
      - 2
      - 0
    .max_flat_workgroup_size: 256
    .name:           _ZN7rocprim17ROCPRIM_400000_NS6detail17trampoline_kernelINS0_13select_configILj256ELj13ELNS0_17block_load_methodE3ELS4_3ELS4_3ELNS0_20block_scan_algorithmE0ELj4294967295EEENS1_25partition_config_selectorILNS1_17partition_subalgoE3EjNS0_10empty_typeEbEEZZNS1_14partition_implILS8_3ELb0ES6_jNS0_17counting_iteratorIjlEEPS9_SE_NS0_5tupleIJPjSE_EEENSF_IJSE_SE_EEES9_SG_JZNS1_25segmented_radix_sort_implINS0_14default_configELb0EPKfPfPKlPlN2at6native12_GLOBAL__N_18offset_tEEE10hipError_tPvRmT1_PNSt15iterator_traitsISY_E10value_typeET2_T3_PNSZ_IS14_E10value_typeET4_jRbjT5_S1A_jjP12ihipStream_tbEUljE_EEESV_SW_SX_S14_S18_S1A_T6_T7_T9_mT8_S1C_bDpT10_ENKUlT_T0_E_clISt17integral_constantIbLb1EES1P_EEDaS1K_S1L_EUlS1K_E_NS1_11comp_targetILNS1_3genE8ELNS1_11target_archE1030ELNS1_3gpuE2ELNS1_3repE0EEENS1_30default_config_static_selectorELNS0_4arch9wavefront6targetE0EEEvSY_
    .private_segment_fixed_size: 0
    .sgpr_count:     0
    .sgpr_spill_count: 0
    .symbol:         _ZN7rocprim17ROCPRIM_400000_NS6detail17trampoline_kernelINS0_13select_configILj256ELj13ELNS0_17block_load_methodE3ELS4_3ELS4_3ELNS0_20block_scan_algorithmE0ELj4294967295EEENS1_25partition_config_selectorILNS1_17partition_subalgoE3EjNS0_10empty_typeEbEEZZNS1_14partition_implILS8_3ELb0ES6_jNS0_17counting_iteratorIjlEEPS9_SE_NS0_5tupleIJPjSE_EEENSF_IJSE_SE_EEES9_SG_JZNS1_25segmented_radix_sort_implINS0_14default_configELb0EPKfPfPKlPlN2at6native12_GLOBAL__N_18offset_tEEE10hipError_tPvRmT1_PNSt15iterator_traitsISY_E10value_typeET2_T3_PNSZ_IS14_E10value_typeET4_jRbjT5_S1A_jjP12ihipStream_tbEUljE_EEESV_SW_SX_S14_S18_S1A_T6_T7_T9_mT8_S1C_bDpT10_ENKUlT_T0_E_clISt17integral_constantIbLb1EES1P_EEDaS1K_S1L_EUlS1K_E_NS1_11comp_targetILNS1_3genE8ELNS1_11target_archE1030ELNS1_3gpuE2ELNS1_3repE0EEENS1_30default_config_static_selectorELNS0_4arch9wavefront6targetE0EEEvSY_.kd
    .uniform_work_group_size: 1
    .uses_dynamic_stack: false
    .vgpr_count:     0
    .vgpr_spill_count: 0
    .wavefront_size: 32
    .workgroup_processor_mode: 1
  - .args:
      - .offset:         0
        .size:           144
        .value_kind:     by_value
    .group_segment_fixed_size: 0
    .kernarg_segment_align: 8
    .kernarg_segment_size: 144
    .language:       OpenCL C
    .language_version:
      - 2
      - 0
    .max_flat_workgroup_size: 256
    .name:           _ZN7rocprim17ROCPRIM_400000_NS6detail17trampoline_kernelINS0_13select_configILj256ELj13ELNS0_17block_load_methodE3ELS4_3ELS4_3ELNS0_20block_scan_algorithmE0ELj4294967295EEENS1_25partition_config_selectorILNS1_17partition_subalgoE3EjNS0_10empty_typeEbEEZZNS1_14partition_implILS8_3ELb0ES6_jNS0_17counting_iteratorIjlEEPS9_SE_NS0_5tupleIJPjSE_EEENSF_IJSE_SE_EEES9_SG_JZNS1_25segmented_radix_sort_implINS0_14default_configELb0EPKfPfPKlPlN2at6native12_GLOBAL__N_18offset_tEEE10hipError_tPvRmT1_PNSt15iterator_traitsISY_E10value_typeET2_T3_PNSZ_IS14_E10value_typeET4_jRbjT5_S1A_jjP12ihipStream_tbEUljE_EEESV_SW_SX_S14_S18_S1A_T6_T7_T9_mT8_S1C_bDpT10_ENKUlT_T0_E_clISt17integral_constantIbLb1EES1O_IbLb0EEEEDaS1K_S1L_EUlS1K_E_NS1_11comp_targetILNS1_3genE0ELNS1_11target_archE4294967295ELNS1_3gpuE0ELNS1_3repE0EEENS1_30default_config_static_selectorELNS0_4arch9wavefront6targetE0EEEvSY_
    .private_segment_fixed_size: 0
    .sgpr_count:     0
    .sgpr_spill_count: 0
    .symbol:         _ZN7rocprim17ROCPRIM_400000_NS6detail17trampoline_kernelINS0_13select_configILj256ELj13ELNS0_17block_load_methodE3ELS4_3ELS4_3ELNS0_20block_scan_algorithmE0ELj4294967295EEENS1_25partition_config_selectorILNS1_17partition_subalgoE3EjNS0_10empty_typeEbEEZZNS1_14partition_implILS8_3ELb0ES6_jNS0_17counting_iteratorIjlEEPS9_SE_NS0_5tupleIJPjSE_EEENSF_IJSE_SE_EEES9_SG_JZNS1_25segmented_radix_sort_implINS0_14default_configELb0EPKfPfPKlPlN2at6native12_GLOBAL__N_18offset_tEEE10hipError_tPvRmT1_PNSt15iterator_traitsISY_E10value_typeET2_T3_PNSZ_IS14_E10value_typeET4_jRbjT5_S1A_jjP12ihipStream_tbEUljE_EEESV_SW_SX_S14_S18_S1A_T6_T7_T9_mT8_S1C_bDpT10_ENKUlT_T0_E_clISt17integral_constantIbLb1EES1O_IbLb0EEEEDaS1K_S1L_EUlS1K_E_NS1_11comp_targetILNS1_3genE0ELNS1_11target_archE4294967295ELNS1_3gpuE0ELNS1_3repE0EEENS1_30default_config_static_selectorELNS0_4arch9wavefront6targetE0EEEvSY_.kd
    .uniform_work_group_size: 1
    .uses_dynamic_stack: false
    .vgpr_count:     0
    .vgpr_spill_count: 0
    .wavefront_size: 32
    .workgroup_processor_mode: 1
  - .args:
      - .offset:         0
        .size:           144
        .value_kind:     by_value
    .group_segment_fixed_size: 0
    .kernarg_segment_align: 8
    .kernarg_segment_size: 144
    .language:       OpenCL C
    .language_version:
      - 2
      - 0
    .max_flat_workgroup_size: 256
    .name:           _ZN7rocprim17ROCPRIM_400000_NS6detail17trampoline_kernelINS0_13select_configILj256ELj13ELNS0_17block_load_methodE3ELS4_3ELS4_3ELNS0_20block_scan_algorithmE0ELj4294967295EEENS1_25partition_config_selectorILNS1_17partition_subalgoE3EjNS0_10empty_typeEbEEZZNS1_14partition_implILS8_3ELb0ES6_jNS0_17counting_iteratorIjlEEPS9_SE_NS0_5tupleIJPjSE_EEENSF_IJSE_SE_EEES9_SG_JZNS1_25segmented_radix_sort_implINS0_14default_configELb0EPKfPfPKlPlN2at6native12_GLOBAL__N_18offset_tEEE10hipError_tPvRmT1_PNSt15iterator_traitsISY_E10value_typeET2_T3_PNSZ_IS14_E10value_typeET4_jRbjT5_S1A_jjP12ihipStream_tbEUljE_EEESV_SW_SX_S14_S18_S1A_T6_T7_T9_mT8_S1C_bDpT10_ENKUlT_T0_E_clISt17integral_constantIbLb1EES1O_IbLb0EEEEDaS1K_S1L_EUlS1K_E_NS1_11comp_targetILNS1_3genE5ELNS1_11target_archE942ELNS1_3gpuE9ELNS1_3repE0EEENS1_30default_config_static_selectorELNS0_4arch9wavefront6targetE0EEEvSY_
    .private_segment_fixed_size: 0
    .sgpr_count:     0
    .sgpr_spill_count: 0
    .symbol:         _ZN7rocprim17ROCPRIM_400000_NS6detail17trampoline_kernelINS0_13select_configILj256ELj13ELNS0_17block_load_methodE3ELS4_3ELS4_3ELNS0_20block_scan_algorithmE0ELj4294967295EEENS1_25partition_config_selectorILNS1_17partition_subalgoE3EjNS0_10empty_typeEbEEZZNS1_14partition_implILS8_3ELb0ES6_jNS0_17counting_iteratorIjlEEPS9_SE_NS0_5tupleIJPjSE_EEENSF_IJSE_SE_EEES9_SG_JZNS1_25segmented_radix_sort_implINS0_14default_configELb0EPKfPfPKlPlN2at6native12_GLOBAL__N_18offset_tEEE10hipError_tPvRmT1_PNSt15iterator_traitsISY_E10value_typeET2_T3_PNSZ_IS14_E10value_typeET4_jRbjT5_S1A_jjP12ihipStream_tbEUljE_EEESV_SW_SX_S14_S18_S1A_T6_T7_T9_mT8_S1C_bDpT10_ENKUlT_T0_E_clISt17integral_constantIbLb1EES1O_IbLb0EEEEDaS1K_S1L_EUlS1K_E_NS1_11comp_targetILNS1_3genE5ELNS1_11target_archE942ELNS1_3gpuE9ELNS1_3repE0EEENS1_30default_config_static_selectorELNS0_4arch9wavefront6targetE0EEEvSY_.kd
    .uniform_work_group_size: 1
    .uses_dynamic_stack: false
    .vgpr_count:     0
    .vgpr_spill_count: 0
    .wavefront_size: 32
    .workgroup_processor_mode: 1
  - .args:
      - .offset:         0
        .size:           144
        .value_kind:     by_value
    .group_segment_fixed_size: 0
    .kernarg_segment_align: 8
    .kernarg_segment_size: 144
    .language:       OpenCL C
    .language_version:
      - 2
      - 0
    .max_flat_workgroup_size: 256
    .name:           _ZN7rocprim17ROCPRIM_400000_NS6detail17trampoline_kernelINS0_13select_configILj256ELj13ELNS0_17block_load_methodE3ELS4_3ELS4_3ELNS0_20block_scan_algorithmE0ELj4294967295EEENS1_25partition_config_selectorILNS1_17partition_subalgoE3EjNS0_10empty_typeEbEEZZNS1_14partition_implILS8_3ELb0ES6_jNS0_17counting_iteratorIjlEEPS9_SE_NS0_5tupleIJPjSE_EEENSF_IJSE_SE_EEES9_SG_JZNS1_25segmented_radix_sort_implINS0_14default_configELb0EPKfPfPKlPlN2at6native12_GLOBAL__N_18offset_tEEE10hipError_tPvRmT1_PNSt15iterator_traitsISY_E10value_typeET2_T3_PNSZ_IS14_E10value_typeET4_jRbjT5_S1A_jjP12ihipStream_tbEUljE_EEESV_SW_SX_S14_S18_S1A_T6_T7_T9_mT8_S1C_bDpT10_ENKUlT_T0_E_clISt17integral_constantIbLb1EES1O_IbLb0EEEEDaS1K_S1L_EUlS1K_E_NS1_11comp_targetILNS1_3genE4ELNS1_11target_archE910ELNS1_3gpuE8ELNS1_3repE0EEENS1_30default_config_static_selectorELNS0_4arch9wavefront6targetE0EEEvSY_
    .private_segment_fixed_size: 0
    .sgpr_count:     0
    .sgpr_spill_count: 0
    .symbol:         _ZN7rocprim17ROCPRIM_400000_NS6detail17trampoline_kernelINS0_13select_configILj256ELj13ELNS0_17block_load_methodE3ELS4_3ELS4_3ELNS0_20block_scan_algorithmE0ELj4294967295EEENS1_25partition_config_selectorILNS1_17partition_subalgoE3EjNS0_10empty_typeEbEEZZNS1_14partition_implILS8_3ELb0ES6_jNS0_17counting_iteratorIjlEEPS9_SE_NS0_5tupleIJPjSE_EEENSF_IJSE_SE_EEES9_SG_JZNS1_25segmented_radix_sort_implINS0_14default_configELb0EPKfPfPKlPlN2at6native12_GLOBAL__N_18offset_tEEE10hipError_tPvRmT1_PNSt15iterator_traitsISY_E10value_typeET2_T3_PNSZ_IS14_E10value_typeET4_jRbjT5_S1A_jjP12ihipStream_tbEUljE_EEESV_SW_SX_S14_S18_S1A_T6_T7_T9_mT8_S1C_bDpT10_ENKUlT_T0_E_clISt17integral_constantIbLb1EES1O_IbLb0EEEEDaS1K_S1L_EUlS1K_E_NS1_11comp_targetILNS1_3genE4ELNS1_11target_archE910ELNS1_3gpuE8ELNS1_3repE0EEENS1_30default_config_static_selectorELNS0_4arch9wavefront6targetE0EEEvSY_.kd
    .uniform_work_group_size: 1
    .uses_dynamic_stack: false
    .vgpr_count:     0
    .vgpr_spill_count: 0
    .wavefront_size: 32
    .workgroup_processor_mode: 1
  - .args:
      - .offset:         0
        .size:           144
        .value_kind:     by_value
    .group_segment_fixed_size: 0
    .kernarg_segment_align: 8
    .kernarg_segment_size: 144
    .language:       OpenCL C
    .language_version:
      - 2
      - 0
    .max_flat_workgroup_size: 256
    .name:           _ZN7rocprim17ROCPRIM_400000_NS6detail17trampoline_kernelINS0_13select_configILj256ELj13ELNS0_17block_load_methodE3ELS4_3ELS4_3ELNS0_20block_scan_algorithmE0ELj4294967295EEENS1_25partition_config_selectorILNS1_17partition_subalgoE3EjNS0_10empty_typeEbEEZZNS1_14partition_implILS8_3ELb0ES6_jNS0_17counting_iteratorIjlEEPS9_SE_NS0_5tupleIJPjSE_EEENSF_IJSE_SE_EEES9_SG_JZNS1_25segmented_radix_sort_implINS0_14default_configELb0EPKfPfPKlPlN2at6native12_GLOBAL__N_18offset_tEEE10hipError_tPvRmT1_PNSt15iterator_traitsISY_E10value_typeET2_T3_PNSZ_IS14_E10value_typeET4_jRbjT5_S1A_jjP12ihipStream_tbEUljE_EEESV_SW_SX_S14_S18_S1A_T6_T7_T9_mT8_S1C_bDpT10_ENKUlT_T0_E_clISt17integral_constantIbLb1EES1O_IbLb0EEEEDaS1K_S1L_EUlS1K_E_NS1_11comp_targetILNS1_3genE3ELNS1_11target_archE908ELNS1_3gpuE7ELNS1_3repE0EEENS1_30default_config_static_selectorELNS0_4arch9wavefront6targetE0EEEvSY_
    .private_segment_fixed_size: 0
    .sgpr_count:     0
    .sgpr_spill_count: 0
    .symbol:         _ZN7rocprim17ROCPRIM_400000_NS6detail17trampoline_kernelINS0_13select_configILj256ELj13ELNS0_17block_load_methodE3ELS4_3ELS4_3ELNS0_20block_scan_algorithmE0ELj4294967295EEENS1_25partition_config_selectorILNS1_17partition_subalgoE3EjNS0_10empty_typeEbEEZZNS1_14partition_implILS8_3ELb0ES6_jNS0_17counting_iteratorIjlEEPS9_SE_NS0_5tupleIJPjSE_EEENSF_IJSE_SE_EEES9_SG_JZNS1_25segmented_radix_sort_implINS0_14default_configELb0EPKfPfPKlPlN2at6native12_GLOBAL__N_18offset_tEEE10hipError_tPvRmT1_PNSt15iterator_traitsISY_E10value_typeET2_T3_PNSZ_IS14_E10value_typeET4_jRbjT5_S1A_jjP12ihipStream_tbEUljE_EEESV_SW_SX_S14_S18_S1A_T6_T7_T9_mT8_S1C_bDpT10_ENKUlT_T0_E_clISt17integral_constantIbLb1EES1O_IbLb0EEEEDaS1K_S1L_EUlS1K_E_NS1_11comp_targetILNS1_3genE3ELNS1_11target_archE908ELNS1_3gpuE7ELNS1_3repE0EEENS1_30default_config_static_selectorELNS0_4arch9wavefront6targetE0EEEvSY_.kd
    .uniform_work_group_size: 1
    .uses_dynamic_stack: false
    .vgpr_count:     0
    .vgpr_spill_count: 0
    .wavefront_size: 32
    .workgroup_processor_mode: 1
  - .args:
      - .offset:         0
        .size:           144
        .value_kind:     by_value
    .group_segment_fixed_size: 0
    .kernarg_segment_align: 8
    .kernarg_segment_size: 144
    .language:       OpenCL C
    .language_version:
      - 2
      - 0
    .max_flat_workgroup_size: 256
    .name:           _ZN7rocprim17ROCPRIM_400000_NS6detail17trampoline_kernelINS0_13select_configILj256ELj13ELNS0_17block_load_methodE3ELS4_3ELS4_3ELNS0_20block_scan_algorithmE0ELj4294967295EEENS1_25partition_config_selectorILNS1_17partition_subalgoE3EjNS0_10empty_typeEbEEZZNS1_14partition_implILS8_3ELb0ES6_jNS0_17counting_iteratorIjlEEPS9_SE_NS0_5tupleIJPjSE_EEENSF_IJSE_SE_EEES9_SG_JZNS1_25segmented_radix_sort_implINS0_14default_configELb0EPKfPfPKlPlN2at6native12_GLOBAL__N_18offset_tEEE10hipError_tPvRmT1_PNSt15iterator_traitsISY_E10value_typeET2_T3_PNSZ_IS14_E10value_typeET4_jRbjT5_S1A_jjP12ihipStream_tbEUljE_EEESV_SW_SX_S14_S18_S1A_T6_T7_T9_mT8_S1C_bDpT10_ENKUlT_T0_E_clISt17integral_constantIbLb1EES1O_IbLb0EEEEDaS1K_S1L_EUlS1K_E_NS1_11comp_targetILNS1_3genE2ELNS1_11target_archE906ELNS1_3gpuE6ELNS1_3repE0EEENS1_30default_config_static_selectorELNS0_4arch9wavefront6targetE0EEEvSY_
    .private_segment_fixed_size: 0
    .sgpr_count:     0
    .sgpr_spill_count: 0
    .symbol:         _ZN7rocprim17ROCPRIM_400000_NS6detail17trampoline_kernelINS0_13select_configILj256ELj13ELNS0_17block_load_methodE3ELS4_3ELS4_3ELNS0_20block_scan_algorithmE0ELj4294967295EEENS1_25partition_config_selectorILNS1_17partition_subalgoE3EjNS0_10empty_typeEbEEZZNS1_14partition_implILS8_3ELb0ES6_jNS0_17counting_iteratorIjlEEPS9_SE_NS0_5tupleIJPjSE_EEENSF_IJSE_SE_EEES9_SG_JZNS1_25segmented_radix_sort_implINS0_14default_configELb0EPKfPfPKlPlN2at6native12_GLOBAL__N_18offset_tEEE10hipError_tPvRmT1_PNSt15iterator_traitsISY_E10value_typeET2_T3_PNSZ_IS14_E10value_typeET4_jRbjT5_S1A_jjP12ihipStream_tbEUljE_EEESV_SW_SX_S14_S18_S1A_T6_T7_T9_mT8_S1C_bDpT10_ENKUlT_T0_E_clISt17integral_constantIbLb1EES1O_IbLb0EEEEDaS1K_S1L_EUlS1K_E_NS1_11comp_targetILNS1_3genE2ELNS1_11target_archE906ELNS1_3gpuE6ELNS1_3repE0EEENS1_30default_config_static_selectorELNS0_4arch9wavefront6targetE0EEEvSY_.kd
    .uniform_work_group_size: 1
    .uses_dynamic_stack: false
    .vgpr_count:     0
    .vgpr_spill_count: 0
    .wavefront_size: 32
    .workgroup_processor_mode: 1
  - .args:
      - .offset:         0
        .size:           144
        .value_kind:     by_value
    .group_segment_fixed_size: 0
    .kernarg_segment_align: 8
    .kernarg_segment_size: 144
    .language:       OpenCL C
    .language_version:
      - 2
      - 0
    .max_flat_workgroup_size: 256
    .name:           _ZN7rocprim17ROCPRIM_400000_NS6detail17trampoline_kernelINS0_13select_configILj256ELj13ELNS0_17block_load_methodE3ELS4_3ELS4_3ELNS0_20block_scan_algorithmE0ELj4294967295EEENS1_25partition_config_selectorILNS1_17partition_subalgoE3EjNS0_10empty_typeEbEEZZNS1_14partition_implILS8_3ELb0ES6_jNS0_17counting_iteratorIjlEEPS9_SE_NS0_5tupleIJPjSE_EEENSF_IJSE_SE_EEES9_SG_JZNS1_25segmented_radix_sort_implINS0_14default_configELb0EPKfPfPKlPlN2at6native12_GLOBAL__N_18offset_tEEE10hipError_tPvRmT1_PNSt15iterator_traitsISY_E10value_typeET2_T3_PNSZ_IS14_E10value_typeET4_jRbjT5_S1A_jjP12ihipStream_tbEUljE_EEESV_SW_SX_S14_S18_S1A_T6_T7_T9_mT8_S1C_bDpT10_ENKUlT_T0_E_clISt17integral_constantIbLb1EES1O_IbLb0EEEEDaS1K_S1L_EUlS1K_E_NS1_11comp_targetILNS1_3genE10ELNS1_11target_archE1200ELNS1_3gpuE4ELNS1_3repE0EEENS1_30default_config_static_selectorELNS0_4arch9wavefront6targetE0EEEvSY_
    .private_segment_fixed_size: 0
    .sgpr_count:     0
    .sgpr_spill_count: 0
    .symbol:         _ZN7rocprim17ROCPRIM_400000_NS6detail17trampoline_kernelINS0_13select_configILj256ELj13ELNS0_17block_load_methodE3ELS4_3ELS4_3ELNS0_20block_scan_algorithmE0ELj4294967295EEENS1_25partition_config_selectorILNS1_17partition_subalgoE3EjNS0_10empty_typeEbEEZZNS1_14partition_implILS8_3ELb0ES6_jNS0_17counting_iteratorIjlEEPS9_SE_NS0_5tupleIJPjSE_EEENSF_IJSE_SE_EEES9_SG_JZNS1_25segmented_radix_sort_implINS0_14default_configELb0EPKfPfPKlPlN2at6native12_GLOBAL__N_18offset_tEEE10hipError_tPvRmT1_PNSt15iterator_traitsISY_E10value_typeET2_T3_PNSZ_IS14_E10value_typeET4_jRbjT5_S1A_jjP12ihipStream_tbEUljE_EEESV_SW_SX_S14_S18_S1A_T6_T7_T9_mT8_S1C_bDpT10_ENKUlT_T0_E_clISt17integral_constantIbLb1EES1O_IbLb0EEEEDaS1K_S1L_EUlS1K_E_NS1_11comp_targetILNS1_3genE10ELNS1_11target_archE1200ELNS1_3gpuE4ELNS1_3repE0EEENS1_30default_config_static_selectorELNS0_4arch9wavefront6targetE0EEEvSY_.kd
    .uniform_work_group_size: 1
    .uses_dynamic_stack: false
    .vgpr_count:     0
    .vgpr_spill_count: 0
    .wavefront_size: 32
    .workgroup_processor_mode: 1
  - .args:
      - .offset:         0
        .size:           144
        .value_kind:     by_value
    .group_segment_fixed_size: 0
    .kernarg_segment_align: 8
    .kernarg_segment_size: 144
    .language:       OpenCL C
    .language_version:
      - 2
      - 0
    .max_flat_workgroup_size: 256
    .name:           _ZN7rocprim17ROCPRIM_400000_NS6detail17trampoline_kernelINS0_13select_configILj256ELj13ELNS0_17block_load_methodE3ELS4_3ELS4_3ELNS0_20block_scan_algorithmE0ELj4294967295EEENS1_25partition_config_selectorILNS1_17partition_subalgoE3EjNS0_10empty_typeEbEEZZNS1_14partition_implILS8_3ELb0ES6_jNS0_17counting_iteratorIjlEEPS9_SE_NS0_5tupleIJPjSE_EEENSF_IJSE_SE_EEES9_SG_JZNS1_25segmented_radix_sort_implINS0_14default_configELb0EPKfPfPKlPlN2at6native12_GLOBAL__N_18offset_tEEE10hipError_tPvRmT1_PNSt15iterator_traitsISY_E10value_typeET2_T3_PNSZ_IS14_E10value_typeET4_jRbjT5_S1A_jjP12ihipStream_tbEUljE_EEESV_SW_SX_S14_S18_S1A_T6_T7_T9_mT8_S1C_bDpT10_ENKUlT_T0_E_clISt17integral_constantIbLb1EES1O_IbLb0EEEEDaS1K_S1L_EUlS1K_E_NS1_11comp_targetILNS1_3genE9ELNS1_11target_archE1100ELNS1_3gpuE3ELNS1_3repE0EEENS1_30default_config_static_selectorELNS0_4arch9wavefront6targetE0EEEvSY_
    .private_segment_fixed_size: 0
    .sgpr_count:     0
    .sgpr_spill_count: 0
    .symbol:         _ZN7rocprim17ROCPRIM_400000_NS6detail17trampoline_kernelINS0_13select_configILj256ELj13ELNS0_17block_load_methodE3ELS4_3ELS4_3ELNS0_20block_scan_algorithmE0ELj4294967295EEENS1_25partition_config_selectorILNS1_17partition_subalgoE3EjNS0_10empty_typeEbEEZZNS1_14partition_implILS8_3ELb0ES6_jNS0_17counting_iteratorIjlEEPS9_SE_NS0_5tupleIJPjSE_EEENSF_IJSE_SE_EEES9_SG_JZNS1_25segmented_radix_sort_implINS0_14default_configELb0EPKfPfPKlPlN2at6native12_GLOBAL__N_18offset_tEEE10hipError_tPvRmT1_PNSt15iterator_traitsISY_E10value_typeET2_T3_PNSZ_IS14_E10value_typeET4_jRbjT5_S1A_jjP12ihipStream_tbEUljE_EEESV_SW_SX_S14_S18_S1A_T6_T7_T9_mT8_S1C_bDpT10_ENKUlT_T0_E_clISt17integral_constantIbLb1EES1O_IbLb0EEEEDaS1K_S1L_EUlS1K_E_NS1_11comp_targetILNS1_3genE9ELNS1_11target_archE1100ELNS1_3gpuE3ELNS1_3repE0EEENS1_30default_config_static_selectorELNS0_4arch9wavefront6targetE0EEEvSY_.kd
    .uniform_work_group_size: 1
    .uses_dynamic_stack: false
    .vgpr_count:     0
    .vgpr_spill_count: 0
    .wavefront_size: 32
    .workgroup_processor_mode: 1
  - .args:
      - .offset:         0
        .size:           144
        .value_kind:     by_value
    .group_segment_fixed_size: 0
    .kernarg_segment_align: 8
    .kernarg_segment_size: 144
    .language:       OpenCL C
    .language_version:
      - 2
      - 0
    .max_flat_workgroup_size: 256
    .name:           _ZN7rocprim17ROCPRIM_400000_NS6detail17trampoline_kernelINS0_13select_configILj256ELj13ELNS0_17block_load_methodE3ELS4_3ELS4_3ELNS0_20block_scan_algorithmE0ELj4294967295EEENS1_25partition_config_selectorILNS1_17partition_subalgoE3EjNS0_10empty_typeEbEEZZNS1_14partition_implILS8_3ELb0ES6_jNS0_17counting_iteratorIjlEEPS9_SE_NS0_5tupleIJPjSE_EEENSF_IJSE_SE_EEES9_SG_JZNS1_25segmented_radix_sort_implINS0_14default_configELb0EPKfPfPKlPlN2at6native12_GLOBAL__N_18offset_tEEE10hipError_tPvRmT1_PNSt15iterator_traitsISY_E10value_typeET2_T3_PNSZ_IS14_E10value_typeET4_jRbjT5_S1A_jjP12ihipStream_tbEUljE_EEESV_SW_SX_S14_S18_S1A_T6_T7_T9_mT8_S1C_bDpT10_ENKUlT_T0_E_clISt17integral_constantIbLb1EES1O_IbLb0EEEEDaS1K_S1L_EUlS1K_E_NS1_11comp_targetILNS1_3genE8ELNS1_11target_archE1030ELNS1_3gpuE2ELNS1_3repE0EEENS1_30default_config_static_selectorELNS0_4arch9wavefront6targetE0EEEvSY_
    .private_segment_fixed_size: 0
    .sgpr_count:     0
    .sgpr_spill_count: 0
    .symbol:         _ZN7rocprim17ROCPRIM_400000_NS6detail17trampoline_kernelINS0_13select_configILj256ELj13ELNS0_17block_load_methodE3ELS4_3ELS4_3ELNS0_20block_scan_algorithmE0ELj4294967295EEENS1_25partition_config_selectorILNS1_17partition_subalgoE3EjNS0_10empty_typeEbEEZZNS1_14partition_implILS8_3ELb0ES6_jNS0_17counting_iteratorIjlEEPS9_SE_NS0_5tupleIJPjSE_EEENSF_IJSE_SE_EEES9_SG_JZNS1_25segmented_radix_sort_implINS0_14default_configELb0EPKfPfPKlPlN2at6native12_GLOBAL__N_18offset_tEEE10hipError_tPvRmT1_PNSt15iterator_traitsISY_E10value_typeET2_T3_PNSZ_IS14_E10value_typeET4_jRbjT5_S1A_jjP12ihipStream_tbEUljE_EEESV_SW_SX_S14_S18_S1A_T6_T7_T9_mT8_S1C_bDpT10_ENKUlT_T0_E_clISt17integral_constantIbLb1EES1O_IbLb0EEEEDaS1K_S1L_EUlS1K_E_NS1_11comp_targetILNS1_3genE8ELNS1_11target_archE1030ELNS1_3gpuE2ELNS1_3repE0EEENS1_30default_config_static_selectorELNS0_4arch9wavefront6targetE0EEEvSY_.kd
    .uniform_work_group_size: 1
    .uses_dynamic_stack: false
    .vgpr_count:     0
    .vgpr_spill_count: 0
    .wavefront_size: 32
    .workgroup_processor_mode: 1
  - .args:
      - .offset:         0
        .size:           152
        .value_kind:     by_value
    .group_segment_fixed_size: 0
    .kernarg_segment_align: 8
    .kernarg_segment_size: 152
    .language:       OpenCL C
    .language_version:
      - 2
      - 0
    .max_flat_workgroup_size: 256
    .name:           _ZN7rocprim17ROCPRIM_400000_NS6detail17trampoline_kernelINS0_13select_configILj256ELj13ELNS0_17block_load_methodE3ELS4_3ELS4_3ELNS0_20block_scan_algorithmE0ELj4294967295EEENS1_25partition_config_selectorILNS1_17partition_subalgoE3EjNS0_10empty_typeEbEEZZNS1_14partition_implILS8_3ELb0ES6_jNS0_17counting_iteratorIjlEEPS9_SE_NS0_5tupleIJPjSE_EEENSF_IJSE_SE_EEES9_SG_JZNS1_25segmented_radix_sort_implINS0_14default_configELb0EPKfPfPKlPlN2at6native12_GLOBAL__N_18offset_tEEE10hipError_tPvRmT1_PNSt15iterator_traitsISY_E10value_typeET2_T3_PNSZ_IS14_E10value_typeET4_jRbjT5_S1A_jjP12ihipStream_tbEUljE_EEESV_SW_SX_S14_S18_S1A_T6_T7_T9_mT8_S1C_bDpT10_ENKUlT_T0_E_clISt17integral_constantIbLb0EES1O_IbLb1EEEEDaS1K_S1L_EUlS1K_E_NS1_11comp_targetILNS1_3genE0ELNS1_11target_archE4294967295ELNS1_3gpuE0ELNS1_3repE0EEENS1_30default_config_static_selectorELNS0_4arch9wavefront6targetE0EEEvSY_
    .private_segment_fixed_size: 0
    .sgpr_count:     0
    .sgpr_spill_count: 0
    .symbol:         _ZN7rocprim17ROCPRIM_400000_NS6detail17trampoline_kernelINS0_13select_configILj256ELj13ELNS0_17block_load_methodE3ELS4_3ELS4_3ELNS0_20block_scan_algorithmE0ELj4294967295EEENS1_25partition_config_selectorILNS1_17partition_subalgoE3EjNS0_10empty_typeEbEEZZNS1_14partition_implILS8_3ELb0ES6_jNS0_17counting_iteratorIjlEEPS9_SE_NS0_5tupleIJPjSE_EEENSF_IJSE_SE_EEES9_SG_JZNS1_25segmented_radix_sort_implINS0_14default_configELb0EPKfPfPKlPlN2at6native12_GLOBAL__N_18offset_tEEE10hipError_tPvRmT1_PNSt15iterator_traitsISY_E10value_typeET2_T3_PNSZ_IS14_E10value_typeET4_jRbjT5_S1A_jjP12ihipStream_tbEUljE_EEESV_SW_SX_S14_S18_S1A_T6_T7_T9_mT8_S1C_bDpT10_ENKUlT_T0_E_clISt17integral_constantIbLb0EES1O_IbLb1EEEEDaS1K_S1L_EUlS1K_E_NS1_11comp_targetILNS1_3genE0ELNS1_11target_archE4294967295ELNS1_3gpuE0ELNS1_3repE0EEENS1_30default_config_static_selectorELNS0_4arch9wavefront6targetE0EEEvSY_.kd
    .uniform_work_group_size: 1
    .uses_dynamic_stack: false
    .vgpr_count:     0
    .vgpr_spill_count: 0
    .wavefront_size: 32
    .workgroup_processor_mode: 1
  - .args:
      - .offset:         0
        .size:           152
        .value_kind:     by_value
    .group_segment_fixed_size: 0
    .kernarg_segment_align: 8
    .kernarg_segment_size: 152
    .language:       OpenCL C
    .language_version:
      - 2
      - 0
    .max_flat_workgroup_size: 256
    .name:           _ZN7rocprim17ROCPRIM_400000_NS6detail17trampoline_kernelINS0_13select_configILj256ELj13ELNS0_17block_load_methodE3ELS4_3ELS4_3ELNS0_20block_scan_algorithmE0ELj4294967295EEENS1_25partition_config_selectorILNS1_17partition_subalgoE3EjNS0_10empty_typeEbEEZZNS1_14partition_implILS8_3ELb0ES6_jNS0_17counting_iteratorIjlEEPS9_SE_NS0_5tupleIJPjSE_EEENSF_IJSE_SE_EEES9_SG_JZNS1_25segmented_radix_sort_implINS0_14default_configELb0EPKfPfPKlPlN2at6native12_GLOBAL__N_18offset_tEEE10hipError_tPvRmT1_PNSt15iterator_traitsISY_E10value_typeET2_T3_PNSZ_IS14_E10value_typeET4_jRbjT5_S1A_jjP12ihipStream_tbEUljE_EEESV_SW_SX_S14_S18_S1A_T6_T7_T9_mT8_S1C_bDpT10_ENKUlT_T0_E_clISt17integral_constantIbLb0EES1O_IbLb1EEEEDaS1K_S1L_EUlS1K_E_NS1_11comp_targetILNS1_3genE5ELNS1_11target_archE942ELNS1_3gpuE9ELNS1_3repE0EEENS1_30default_config_static_selectorELNS0_4arch9wavefront6targetE0EEEvSY_
    .private_segment_fixed_size: 0
    .sgpr_count:     0
    .sgpr_spill_count: 0
    .symbol:         _ZN7rocprim17ROCPRIM_400000_NS6detail17trampoline_kernelINS0_13select_configILj256ELj13ELNS0_17block_load_methodE3ELS4_3ELS4_3ELNS0_20block_scan_algorithmE0ELj4294967295EEENS1_25partition_config_selectorILNS1_17partition_subalgoE3EjNS0_10empty_typeEbEEZZNS1_14partition_implILS8_3ELb0ES6_jNS0_17counting_iteratorIjlEEPS9_SE_NS0_5tupleIJPjSE_EEENSF_IJSE_SE_EEES9_SG_JZNS1_25segmented_radix_sort_implINS0_14default_configELb0EPKfPfPKlPlN2at6native12_GLOBAL__N_18offset_tEEE10hipError_tPvRmT1_PNSt15iterator_traitsISY_E10value_typeET2_T3_PNSZ_IS14_E10value_typeET4_jRbjT5_S1A_jjP12ihipStream_tbEUljE_EEESV_SW_SX_S14_S18_S1A_T6_T7_T9_mT8_S1C_bDpT10_ENKUlT_T0_E_clISt17integral_constantIbLb0EES1O_IbLb1EEEEDaS1K_S1L_EUlS1K_E_NS1_11comp_targetILNS1_3genE5ELNS1_11target_archE942ELNS1_3gpuE9ELNS1_3repE0EEENS1_30default_config_static_selectorELNS0_4arch9wavefront6targetE0EEEvSY_.kd
    .uniform_work_group_size: 1
    .uses_dynamic_stack: false
    .vgpr_count:     0
    .vgpr_spill_count: 0
    .wavefront_size: 32
    .workgroup_processor_mode: 1
  - .args:
      - .offset:         0
        .size:           152
        .value_kind:     by_value
    .group_segment_fixed_size: 0
    .kernarg_segment_align: 8
    .kernarg_segment_size: 152
    .language:       OpenCL C
    .language_version:
      - 2
      - 0
    .max_flat_workgroup_size: 256
    .name:           _ZN7rocprim17ROCPRIM_400000_NS6detail17trampoline_kernelINS0_13select_configILj256ELj13ELNS0_17block_load_methodE3ELS4_3ELS4_3ELNS0_20block_scan_algorithmE0ELj4294967295EEENS1_25partition_config_selectorILNS1_17partition_subalgoE3EjNS0_10empty_typeEbEEZZNS1_14partition_implILS8_3ELb0ES6_jNS0_17counting_iteratorIjlEEPS9_SE_NS0_5tupleIJPjSE_EEENSF_IJSE_SE_EEES9_SG_JZNS1_25segmented_radix_sort_implINS0_14default_configELb0EPKfPfPKlPlN2at6native12_GLOBAL__N_18offset_tEEE10hipError_tPvRmT1_PNSt15iterator_traitsISY_E10value_typeET2_T3_PNSZ_IS14_E10value_typeET4_jRbjT5_S1A_jjP12ihipStream_tbEUljE_EEESV_SW_SX_S14_S18_S1A_T6_T7_T9_mT8_S1C_bDpT10_ENKUlT_T0_E_clISt17integral_constantIbLb0EES1O_IbLb1EEEEDaS1K_S1L_EUlS1K_E_NS1_11comp_targetILNS1_3genE4ELNS1_11target_archE910ELNS1_3gpuE8ELNS1_3repE0EEENS1_30default_config_static_selectorELNS0_4arch9wavefront6targetE0EEEvSY_
    .private_segment_fixed_size: 0
    .sgpr_count:     0
    .sgpr_spill_count: 0
    .symbol:         _ZN7rocprim17ROCPRIM_400000_NS6detail17trampoline_kernelINS0_13select_configILj256ELj13ELNS0_17block_load_methodE3ELS4_3ELS4_3ELNS0_20block_scan_algorithmE0ELj4294967295EEENS1_25partition_config_selectorILNS1_17partition_subalgoE3EjNS0_10empty_typeEbEEZZNS1_14partition_implILS8_3ELb0ES6_jNS0_17counting_iteratorIjlEEPS9_SE_NS0_5tupleIJPjSE_EEENSF_IJSE_SE_EEES9_SG_JZNS1_25segmented_radix_sort_implINS0_14default_configELb0EPKfPfPKlPlN2at6native12_GLOBAL__N_18offset_tEEE10hipError_tPvRmT1_PNSt15iterator_traitsISY_E10value_typeET2_T3_PNSZ_IS14_E10value_typeET4_jRbjT5_S1A_jjP12ihipStream_tbEUljE_EEESV_SW_SX_S14_S18_S1A_T6_T7_T9_mT8_S1C_bDpT10_ENKUlT_T0_E_clISt17integral_constantIbLb0EES1O_IbLb1EEEEDaS1K_S1L_EUlS1K_E_NS1_11comp_targetILNS1_3genE4ELNS1_11target_archE910ELNS1_3gpuE8ELNS1_3repE0EEENS1_30default_config_static_selectorELNS0_4arch9wavefront6targetE0EEEvSY_.kd
    .uniform_work_group_size: 1
    .uses_dynamic_stack: false
    .vgpr_count:     0
    .vgpr_spill_count: 0
    .wavefront_size: 32
    .workgroup_processor_mode: 1
  - .args:
      - .offset:         0
        .size:           152
        .value_kind:     by_value
    .group_segment_fixed_size: 0
    .kernarg_segment_align: 8
    .kernarg_segment_size: 152
    .language:       OpenCL C
    .language_version:
      - 2
      - 0
    .max_flat_workgroup_size: 256
    .name:           _ZN7rocprim17ROCPRIM_400000_NS6detail17trampoline_kernelINS0_13select_configILj256ELj13ELNS0_17block_load_methodE3ELS4_3ELS4_3ELNS0_20block_scan_algorithmE0ELj4294967295EEENS1_25partition_config_selectorILNS1_17partition_subalgoE3EjNS0_10empty_typeEbEEZZNS1_14partition_implILS8_3ELb0ES6_jNS0_17counting_iteratorIjlEEPS9_SE_NS0_5tupleIJPjSE_EEENSF_IJSE_SE_EEES9_SG_JZNS1_25segmented_radix_sort_implINS0_14default_configELb0EPKfPfPKlPlN2at6native12_GLOBAL__N_18offset_tEEE10hipError_tPvRmT1_PNSt15iterator_traitsISY_E10value_typeET2_T3_PNSZ_IS14_E10value_typeET4_jRbjT5_S1A_jjP12ihipStream_tbEUljE_EEESV_SW_SX_S14_S18_S1A_T6_T7_T9_mT8_S1C_bDpT10_ENKUlT_T0_E_clISt17integral_constantIbLb0EES1O_IbLb1EEEEDaS1K_S1L_EUlS1K_E_NS1_11comp_targetILNS1_3genE3ELNS1_11target_archE908ELNS1_3gpuE7ELNS1_3repE0EEENS1_30default_config_static_selectorELNS0_4arch9wavefront6targetE0EEEvSY_
    .private_segment_fixed_size: 0
    .sgpr_count:     0
    .sgpr_spill_count: 0
    .symbol:         _ZN7rocprim17ROCPRIM_400000_NS6detail17trampoline_kernelINS0_13select_configILj256ELj13ELNS0_17block_load_methodE3ELS4_3ELS4_3ELNS0_20block_scan_algorithmE0ELj4294967295EEENS1_25partition_config_selectorILNS1_17partition_subalgoE3EjNS0_10empty_typeEbEEZZNS1_14partition_implILS8_3ELb0ES6_jNS0_17counting_iteratorIjlEEPS9_SE_NS0_5tupleIJPjSE_EEENSF_IJSE_SE_EEES9_SG_JZNS1_25segmented_radix_sort_implINS0_14default_configELb0EPKfPfPKlPlN2at6native12_GLOBAL__N_18offset_tEEE10hipError_tPvRmT1_PNSt15iterator_traitsISY_E10value_typeET2_T3_PNSZ_IS14_E10value_typeET4_jRbjT5_S1A_jjP12ihipStream_tbEUljE_EEESV_SW_SX_S14_S18_S1A_T6_T7_T9_mT8_S1C_bDpT10_ENKUlT_T0_E_clISt17integral_constantIbLb0EES1O_IbLb1EEEEDaS1K_S1L_EUlS1K_E_NS1_11comp_targetILNS1_3genE3ELNS1_11target_archE908ELNS1_3gpuE7ELNS1_3repE0EEENS1_30default_config_static_selectorELNS0_4arch9wavefront6targetE0EEEvSY_.kd
    .uniform_work_group_size: 1
    .uses_dynamic_stack: false
    .vgpr_count:     0
    .vgpr_spill_count: 0
    .wavefront_size: 32
    .workgroup_processor_mode: 1
  - .args:
      - .offset:         0
        .size:           152
        .value_kind:     by_value
    .group_segment_fixed_size: 0
    .kernarg_segment_align: 8
    .kernarg_segment_size: 152
    .language:       OpenCL C
    .language_version:
      - 2
      - 0
    .max_flat_workgroup_size: 256
    .name:           _ZN7rocprim17ROCPRIM_400000_NS6detail17trampoline_kernelINS0_13select_configILj256ELj13ELNS0_17block_load_methodE3ELS4_3ELS4_3ELNS0_20block_scan_algorithmE0ELj4294967295EEENS1_25partition_config_selectorILNS1_17partition_subalgoE3EjNS0_10empty_typeEbEEZZNS1_14partition_implILS8_3ELb0ES6_jNS0_17counting_iteratorIjlEEPS9_SE_NS0_5tupleIJPjSE_EEENSF_IJSE_SE_EEES9_SG_JZNS1_25segmented_radix_sort_implINS0_14default_configELb0EPKfPfPKlPlN2at6native12_GLOBAL__N_18offset_tEEE10hipError_tPvRmT1_PNSt15iterator_traitsISY_E10value_typeET2_T3_PNSZ_IS14_E10value_typeET4_jRbjT5_S1A_jjP12ihipStream_tbEUljE_EEESV_SW_SX_S14_S18_S1A_T6_T7_T9_mT8_S1C_bDpT10_ENKUlT_T0_E_clISt17integral_constantIbLb0EES1O_IbLb1EEEEDaS1K_S1L_EUlS1K_E_NS1_11comp_targetILNS1_3genE2ELNS1_11target_archE906ELNS1_3gpuE6ELNS1_3repE0EEENS1_30default_config_static_selectorELNS0_4arch9wavefront6targetE0EEEvSY_
    .private_segment_fixed_size: 0
    .sgpr_count:     0
    .sgpr_spill_count: 0
    .symbol:         _ZN7rocprim17ROCPRIM_400000_NS6detail17trampoline_kernelINS0_13select_configILj256ELj13ELNS0_17block_load_methodE3ELS4_3ELS4_3ELNS0_20block_scan_algorithmE0ELj4294967295EEENS1_25partition_config_selectorILNS1_17partition_subalgoE3EjNS0_10empty_typeEbEEZZNS1_14partition_implILS8_3ELb0ES6_jNS0_17counting_iteratorIjlEEPS9_SE_NS0_5tupleIJPjSE_EEENSF_IJSE_SE_EEES9_SG_JZNS1_25segmented_radix_sort_implINS0_14default_configELb0EPKfPfPKlPlN2at6native12_GLOBAL__N_18offset_tEEE10hipError_tPvRmT1_PNSt15iterator_traitsISY_E10value_typeET2_T3_PNSZ_IS14_E10value_typeET4_jRbjT5_S1A_jjP12ihipStream_tbEUljE_EEESV_SW_SX_S14_S18_S1A_T6_T7_T9_mT8_S1C_bDpT10_ENKUlT_T0_E_clISt17integral_constantIbLb0EES1O_IbLb1EEEEDaS1K_S1L_EUlS1K_E_NS1_11comp_targetILNS1_3genE2ELNS1_11target_archE906ELNS1_3gpuE6ELNS1_3repE0EEENS1_30default_config_static_selectorELNS0_4arch9wavefront6targetE0EEEvSY_.kd
    .uniform_work_group_size: 1
    .uses_dynamic_stack: false
    .vgpr_count:     0
    .vgpr_spill_count: 0
    .wavefront_size: 32
    .workgroup_processor_mode: 1
  - .args:
      - .offset:         0
        .size:           152
        .value_kind:     by_value
    .group_segment_fixed_size: 0
    .kernarg_segment_align: 8
    .kernarg_segment_size: 152
    .language:       OpenCL C
    .language_version:
      - 2
      - 0
    .max_flat_workgroup_size: 256
    .name:           _ZN7rocprim17ROCPRIM_400000_NS6detail17trampoline_kernelINS0_13select_configILj256ELj13ELNS0_17block_load_methodE3ELS4_3ELS4_3ELNS0_20block_scan_algorithmE0ELj4294967295EEENS1_25partition_config_selectorILNS1_17partition_subalgoE3EjNS0_10empty_typeEbEEZZNS1_14partition_implILS8_3ELb0ES6_jNS0_17counting_iteratorIjlEEPS9_SE_NS0_5tupleIJPjSE_EEENSF_IJSE_SE_EEES9_SG_JZNS1_25segmented_radix_sort_implINS0_14default_configELb0EPKfPfPKlPlN2at6native12_GLOBAL__N_18offset_tEEE10hipError_tPvRmT1_PNSt15iterator_traitsISY_E10value_typeET2_T3_PNSZ_IS14_E10value_typeET4_jRbjT5_S1A_jjP12ihipStream_tbEUljE_EEESV_SW_SX_S14_S18_S1A_T6_T7_T9_mT8_S1C_bDpT10_ENKUlT_T0_E_clISt17integral_constantIbLb0EES1O_IbLb1EEEEDaS1K_S1L_EUlS1K_E_NS1_11comp_targetILNS1_3genE10ELNS1_11target_archE1200ELNS1_3gpuE4ELNS1_3repE0EEENS1_30default_config_static_selectorELNS0_4arch9wavefront6targetE0EEEvSY_
    .private_segment_fixed_size: 0
    .sgpr_count:     0
    .sgpr_spill_count: 0
    .symbol:         _ZN7rocprim17ROCPRIM_400000_NS6detail17trampoline_kernelINS0_13select_configILj256ELj13ELNS0_17block_load_methodE3ELS4_3ELS4_3ELNS0_20block_scan_algorithmE0ELj4294967295EEENS1_25partition_config_selectorILNS1_17partition_subalgoE3EjNS0_10empty_typeEbEEZZNS1_14partition_implILS8_3ELb0ES6_jNS0_17counting_iteratorIjlEEPS9_SE_NS0_5tupleIJPjSE_EEENSF_IJSE_SE_EEES9_SG_JZNS1_25segmented_radix_sort_implINS0_14default_configELb0EPKfPfPKlPlN2at6native12_GLOBAL__N_18offset_tEEE10hipError_tPvRmT1_PNSt15iterator_traitsISY_E10value_typeET2_T3_PNSZ_IS14_E10value_typeET4_jRbjT5_S1A_jjP12ihipStream_tbEUljE_EEESV_SW_SX_S14_S18_S1A_T6_T7_T9_mT8_S1C_bDpT10_ENKUlT_T0_E_clISt17integral_constantIbLb0EES1O_IbLb1EEEEDaS1K_S1L_EUlS1K_E_NS1_11comp_targetILNS1_3genE10ELNS1_11target_archE1200ELNS1_3gpuE4ELNS1_3repE0EEENS1_30default_config_static_selectorELNS0_4arch9wavefront6targetE0EEEvSY_.kd
    .uniform_work_group_size: 1
    .uses_dynamic_stack: false
    .vgpr_count:     0
    .vgpr_spill_count: 0
    .wavefront_size: 32
    .workgroup_processor_mode: 1
  - .args:
      - .offset:         0
        .size:           152
        .value_kind:     by_value
    .group_segment_fixed_size: 0
    .kernarg_segment_align: 8
    .kernarg_segment_size: 152
    .language:       OpenCL C
    .language_version:
      - 2
      - 0
    .max_flat_workgroup_size: 256
    .name:           _ZN7rocprim17ROCPRIM_400000_NS6detail17trampoline_kernelINS0_13select_configILj256ELj13ELNS0_17block_load_methodE3ELS4_3ELS4_3ELNS0_20block_scan_algorithmE0ELj4294967295EEENS1_25partition_config_selectorILNS1_17partition_subalgoE3EjNS0_10empty_typeEbEEZZNS1_14partition_implILS8_3ELb0ES6_jNS0_17counting_iteratorIjlEEPS9_SE_NS0_5tupleIJPjSE_EEENSF_IJSE_SE_EEES9_SG_JZNS1_25segmented_radix_sort_implINS0_14default_configELb0EPKfPfPKlPlN2at6native12_GLOBAL__N_18offset_tEEE10hipError_tPvRmT1_PNSt15iterator_traitsISY_E10value_typeET2_T3_PNSZ_IS14_E10value_typeET4_jRbjT5_S1A_jjP12ihipStream_tbEUljE_EEESV_SW_SX_S14_S18_S1A_T6_T7_T9_mT8_S1C_bDpT10_ENKUlT_T0_E_clISt17integral_constantIbLb0EES1O_IbLb1EEEEDaS1K_S1L_EUlS1K_E_NS1_11comp_targetILNS1_3genE9ELNS1_11target_archE1100ELNS1_3gpuE3ELNS1_3repE0EEENS1_30default_config_static_selectorELNS0_4arch9wavefront6targetE0EEEvSY_
    .private_segment_fixed_size: 0
    .sgpr_count:     0
    .sgpr_spill_count: 0
    .symbol:         _ZN7rocprim17ROCPRIM_400000_NS6detail17trampoline_kernelINS0_13select_configILj256ELj13ELNS0_17block_load_methodE3ELS4_3ELS4_3ELNS0_20block_scan_algorithmE0ELj4294967295EEENS1_25partition_config_selectorILNS1_17partition_subalgoE3EjNS0_10empty_typeEbEEZZNS1_14partition_implILS8_3ELb0ES6_jNS0_17counting_iteratorIjlEEPS9_SE_NS0_5tupleIJPjSE_EEENSF_IJSE_SE_EEES9_SG_JZNS1_25segmented_radix_sort_implINS0_14default_configELb0EPKfPfPKlPlN2at6native12_GLOBAL__N_18offset_tEEE10hipError_tPvRmT1_PNSt15iterator_traitsISY_E10value_typeET2_T3_PNSZ_IS14_E10value_typeET4_jRbjT5_S1A_jjP12ihipStream_tbEUljE_EEESV_SW_SX_S14_S18_S1A_T6_T7_T9_mT8_S1C_bDpT10_ENKUlT_T0_E_clISt17integral_constantIbLb0EES1O_IbLb1EEEEDaS1K_S1L_EUlS1K_E_NS1_11comp_targetILNS1_3genE9ELNS1_11target_archE1100ELNS1_3gpuE3ELNS1_3repE0EEENS1_30default_config_static_selectorELNS0_4arch9wavefront6targetE0EEEvSY_.kd
    .uniform_work_group_size: 1
    .uses_dynamic_stack: false
    .vgpr_count:     0
    .vgpr_spill_count: 0
    .wavefront_size: 32
    .workgroup_processor_mode: 1
  - .args:
      - .offset:         0
        .size:           152
        .value_kind:     by_value
    .group_segment_fixed_size: 13320
    .kernarg_segment_align: 8
    .kernarg_segment_size: 152
    .language:       OpenCL C
    .language_version:
      - 2
      - 0
    .max_flat_workgroup_size: 256
    .name:           _ZN7rocprim17ROCPRIM_400000_NS6detail17trampoline_kernelINS0_13select_configILj256ELj13ELNS0_17block_load_methodE3ELS4_3ELS4_3ELNS0_20block_scan_algorithmE0ELj4294967295EEENS1_25partition_config_selectorILNS1_17partition_subalgoE3EjNS0_10empty_typeEbEEZZNS1_14partition_implILS8_3ELb0ES6_jNS0_17counting_iteratorIjlEEPS9_SE_NS0_5tupleIJPjSE_EEENSF_IJSE_SE_EEES9_SG_JZNS1_25segmented_radix_sort_implINS0_14default_configELb0EPKfPfPKlPlN2at6native12_GLOBAL__N_18offset_tEEE10hipError_tPvRmT1_PNSt15iterator_traitsISY_E10value_typeET2_T3_PNSZ_IS14_E10value_typeET4_jRbjT5_S1A_jjP12ihipStream_tbEUljE_EEESV_SW_SX_S14_S18_S1A_T6_T7_T9_mT8_S1C_bDpT10_ENKUlT_T0_E_clISt17integral_constantIbLb0EES1O_IbLb1EEEEDaS1K_S1L_EUlS1K_E_NS1_11comp_targetILNS1_3genE8ELNS1_11target_archE1030ELNS1_3gpuE2ELNS1_3repE0EEENS1_30default_config_static_selectorELNS0_4arch9wavefront6targetE0EEEvSY_
    .private_segment_fixed_size: 0
    .sgpr_count:     28
    .sgpr_spill_count: 0
    .symbol:         _ZN7rocprim17ROCPRIM_400000_NS6detail17trampoline_kernelINS0_13select_configILj256ELj13ELNS0_17block_load_methodE3ELS4_3ELS4_3ELNS0_20block_scan_algorithmE0ELj4294967295EEENS1_25partition_config_selectorILNS1_17partition_subalgoE3EjNS0_10empty_typeEbEEZZNS1_14partition_implILS8_3ELb0ES6_jNS0_17counting_iteratorIjlEEPS9_SE_NS0_5tupleIJPjSE_EEENSF_IJSE_SE_EEES9_SG_JZNS1_25segmented_radix_sort_implINS0_14default_configELb0EPKfPfPKlPlN2at6native12_GLOBAL__N_18offset_tEEE10hipError_tPvRmT1_PNSt15iterator_traitsISY_E10value_typeET2_T3_PNSZ_IS14_E10value_typeET4_jRbjT5_S1A_jjP12ihipStream_tbEUljE_EEESV_SW_SX_S14_S18_S1A_T6_T7_T9_mT8_S1C_bDpT10_ENKUlT_T0_E_clISt17integral_constantIbLb0EES1O_IbLb1EEEEDaS1K_S1L_EUlS1K_E_NS1_11comp_targetILNS1_3genE8ELNS1_11target_archE1030ELNS1_3gpuE2ELNS1_3repE0EEENS1_30default_config_static_selectorELNS0_4arch9wavefront6targetE0EEEvSY_.kd
    .uniform_work_group_size: 1
    .uses_dynamic_stack: false
    .vgpr_count:     71
    .vgpr_spill_count: 0
    .wavefront_size: 32
    .workgroup_processor_mode: 1
  - .args:
      - .offset:         0
        .size:           96
        .value_kind:     by_value
    .group_segment_fixed_size: 0
    .kernarg_segment_align: 8
    .kernarg_segment_size: 96
    .language:       OpenCL C
    .language_version:
      - 2
      - 0
    .max_flat_workgroup_size: 256
    .name:           _ZN7rocprim17ROCPRIM_400000_NS6detail17trampoline_kernelINS0_14default_configENS1_36segmented_radix_sort_config_selectorIflEEZNS1_25segmented_radix_sort_implIS3_Lb0EPKfPfPKlPlN2at6native12_GLOBAL__N_18offset_tEEE10hipError_tPvRmT1_PNSt15iterator_traitsISK_E10value_typeET2_T3_PNSL_ISQ_E10value_typeET4_jRbjT5_SW_jjP12ihipStream_tbEUlT_E_NS1_11comp_targetILNS1_3genE0ELNS1_11target_archE4294967295ELNS1_3gpuE0ELNS1_3repE0EEENS1_30default_config_static_selectorELNS0_4arch9wavefront6targetE0EEEvSK_
    .private_segment_fixed_size: 0
    .sgpr_count:     0
    .sgpr_spill_count: 0
    .symbol:         _ZN7rocprim17ROCPRIM_400000_NS6detail17trampoline_kernelINS0_14default_configENS1_36segmented_radix_sort_config_selectorIflEEZNS1_25segmented_radix_sort_implIS3_Lb0EPKfPfPKlPlN2at6native12_GLOBAL__N_18offset_tEEE10hipError_tPvRmT1_PNSt15iterator_traitsISK_E10value_typeET2_T3_PNSL_ISQ_E10value_typeET4_jRbjT5_SW_jjP12ihipStream_tbEUlT_E_NS1_11comp_targetILNS1_3genE0ELNS1_11target_archE4294967295ELNS1_3gpuE0ELNS1_3repE0EEENS1_30default_config_static_selectorELNS0_4arch9wavefront6targetE0EEEvSK_.kd
    .uniform_work_group_size: 1
    .uses_dynamic_stack: false
    .vgpr_count:     0
    .vgpr_spill_count: 0
    .wavefront_size: 32
    .workgroup_processor_mode: 1
  - .args:
      - .offset:         0
        .size:           96
        .value_kind:     by_value
    .group_segment_fixed_size: 0
    .kernarg_segment_align: 8
    .kernarg_segment_size: 96
    .language:       OpenCL C
    .language_version:
      - 2
      - 0
    .max_flat_workgroup_size: 256
    .name:           _ZN7rocprim17ROCPRIM_400000_NS6detail17trampoline_kernelINS0_14default_configENS1_36segmented_radix_sort_config_selectorIflEEZNS1_25segmented_radix_sort_implIS3_Lb0EPKfPfPKlPlN2at6native12_GLOBAL__N_18offset_tEEE10hipError_tPvRmT1_PNSt15iterator_traitsISK_E10value_typeET2_T3_PNSL_ISQ_E10value_typeET4_jRbjT5_SW_jjP12ihipStream_tbEUlT_E_NS1_11comp_targetILNS1_3genE5ELNS1_11target_archE942ELNS1_3gpuE9ELNS1_3repE0EEENS1_30default_config_static_selectorELNS0_4arch9wavefront6targetE0EEEvSK_
    .private_segment_fixed_size: 0
    .sgpr_count:     0
    .sgpr_spill_count: 0
    .symbol:         _ZN7rocprim17ROCPRIM_400000_NS6detail17trampoline_kernelINS0_14default_configENS1_36segmented_radix_sort_config_selectorIflEEZNS1_25segmented_radix_sort_implIS3_Lb0EPKfPfPKlPlN2at6native12_GLOBAL__N_18offset_tEEE10hipError_tPvRmT1_PNSt15iterator_traitsISK_E10value_typeET2_T3_PNSL_ISQ_E10value_typeET4_jRbjT5_SW_jjP12ihipStream_tbEUlT_E_NS1_11comp_targetILNS1_3genE5ELNS1_11target_archE942ELNS1_3gpuE9ELNS1_3repE0EEENS1_30default_config_static_selectorELNS0_4arch9wavefront6targetE0EEEvSK_.kd
    .uniform_work_group_size: 1
    .uses_dynamic_stack: false
    .vgpr_count:     0
    .vgpr_spill_count: 0
    .wavefront_size: 32
    .workgroup_processor_mode: 1
  - .args:
      - .offset:         0
        .size:           96
        .value_kind:     by_value
    .group_segment_fixed_size: 0
    .kernarg_segment_align: 8
    .kernarg_segment_size: 96
    .language:       OpenCL C
    .language_version:
      - 2
      - 0
    .max_flat_workgroup_size: 256
    .name:           _ZN7rocprim17ROCPRIM_400000_NS6detail17trampoline_kernelINS0_14default_configENS1_36segmented_radix_sort_config_selectorIflEEZNS1_25segmented_radix_sort_implIS3_Lb0EPKfPfPKlPlN2at6native12_GLOBAL__N_18offset_tEEE10hipError_tPvRmT1_PNSt15iterator_traitsISK_E10value_typeET2_T3_PNSL_ISQ_E10value_typeET4_jRbjT5_SW_jjP12ihipStream_tbEUlT_E_NS1_11comp_targetILNS1_3genE4ELNS1_11target_archE910ELNS1_3gpuE8ELNS1_3repE0EEENS1_30default_config_static_selectorELNS0_4arch9wavefront6targetE0EEEvSK_
    .private_segment_fixed_size: 0
    .sgpr_count:     0
    .sgpr_spill_count: 0
    .symbol:         _ZN7rocprim17ROCPRIM_400000_NS6detail17trampoline_kernelINS0_14default_configENS1_36segmented_radix_sort_config_selectorIflEEZNS1_25segmented_radix_sort_implIS3_Lb0EPKfPfPKlPlN2at6native12_GLOBAL__N_18offset_tEEE10hipError_tPvRmT1_PNSt15iterator_traitsISK_E10value_typeET2_T3_PNSL_ISQ_E10value_typeET4_jRbjT5_SW_jjP12ihipStream_tbEUlT_E_NS1_11comp_targetILNS1_3genE4ELNS1_11target_archE910ELNS1_3gpuE8ELNS1_3repE0EEENS1_30default_config_static_selectorELNS0_4arch9wavefront6targetE0EEEvSK_.kd
    .uniform_work_group_size: 1
    .uses_dynamic_stack: false
    .vgpr_count:     0
    .vgpr_spill_count: 0
    .wavefront_size: 32
    .workgroup_processor_mode: 1
  - .args:
      - .offset:         0
        .size:           96
        .value_kind:     by_value
    .group_segment_fixed_size: 0
    .kernarg_segment_align: 8
    .kernarg_segment_size: 96
    .language:       OpenCL C
    .language_version:
      - 2
      - 0
    .max_flat_workgroup_size: 256
    .name:           _ZN7rocprim17ROCPRIM_400000_NS6detail17trampoline_kernelINS0_14default_configENS1_36segmented_radix_sort_config_selectorIflEEZNS1_25segmented_radix_sort_implIS3_Lb0EPKfPfPKlPlN2at6native12_GLOBAL__N_18offset_tEEE10hipError_tPvRmT1_PNSt15iterator_traitsISK_E10value_typeET2_T3_PNSL_ISQ_E10value_typeET4_jRbjT5_SW_jjP12ihipStream_tbEUlT_E_NS1_11comp_targetILNS1_3genE3ELNS1_11target_archE908ELNS1_3gpuE7ELNS1_3repE0EEENS1_30default_config_static_selectorELNS0_4arch9wavefront6targetE0EEEvSK_
    .private_segment_fixed_size: 0
    .sgpr_count:     0
    .sgpr_spill_count: 0
    .symbol:         _ZN7rocprim17ROCPRIM_400000_NS6detail17trampoline_kernelINS0_14default_configENS1_36segmented_radix_sort_config_selectorIflEEZNS1_25segmented_radix_sort_implIS3_Lb0EPKfPfPKlPlN2at6native12_GLOBAL__N_18offset_tEEE10hipError_tPvRmT1_PNSt15iterator_traitsISK_E10value_typeET2_T3_PNSL_ISQ_E10value_typeET4_jRbjT5_SW_jjP12ihipStream_tbEUlT_E_NS1_11comp_targetILNS1_3genE3ELNS1_11target_archE908ELNS1_3gpuE7ELNS1_3repE0EEENS1_30default_config_static_selectorELNS0_4arch9wavefront6targetE0EEEvSK_.kd
    .uniform_work_group_size: 1
    .uses_dynamic_stack: false
    .vgpr_count:     0
    .vgpr_spill_count: 0
    .wavefront_size: 32
    .workgroup_processor_mode: 1
  - .args:
      - .offset:         0
        .size:           96
        .value_kind:     by_value
    .group_segment_fixed_size: 0
    .kernarg_segment_align: 8
    .kernarg_segment_size: 96
    .language:       OpenCL C
    .language_version:
      - 2
      - 0
    .max_flat_workgroup_size: 256
    .name:           _ZN7rocprim17ROCPRIM_400000_NS6detail17trampoline_kernelINS0_14default_configENS1_36segmented_radix_sort_config_selectorIflEEZNS1_25segmented_radix_sort_implIS3_Lb0EPKfPfPKlPlN2at6native12_GLOBAL__N_18offset_tEEE10hipError_tPvRmT1_PNSt15iterator_traitsISK_E10value_typeET2_T3_PNSL_ISQ_E10value_typeET4_jRbjT5_SW_jjP12ihipStream_tbEUlT_E_NS1_11comp_targetILNS1_3genE2ELNS1_11target_archE906ELNS1_3gpuE6ELNS1_3repE0EEENS1_30default_config_static_selectorELNS0_4arch9wavefront6targetE0EEEvSK_
    .private_segment_fixed_size: 0
    .sgpr_count:     0
    .sgpr_spill_count: 0
    .symbol:         _ZN7rocprim17ROCPRIM_400000_NS6detail17trampoline_kernelINS0_14default_configENS1_36segmented_radix_sort_config_selectorIflEEZNS1_25segmented_radix_sort_implIS3_Lb0EPKfPfPKlPlN2at6native12_GLOBAL__N_18offset_tEEE10hipError_tPvRmT1_PNSt15iterator_traitsISK_E10value_typeET2_T3_PNSL_ISQ_E10value_typeET4_jRbjT5_SW_jjP12ihipStream_tbEUlT_E_NS1_11comp_targetILNS1_3genE2ELNS1_11target_archE906ELNS1_3gpuE6ELNS1_3repE0EEENS1_30default_config_static_selectorELNS0_4arch9wavefront6targetE0EEEvSK_.kd
    .uniform_work_group_size: 1
    .uses_dynamic_stack: false
    .vgpr_count:     0
    .vgpr_spill_count: 0
    .wavefront_size: 32
    .workgroup_processor_mode: 1
  - .args:
      - .offset:         0
        .size:           96
        .value_kind:     by_value
    .group_segment_fixed_size: 0
    .kernarg_segment_align: 8
    .kernarg_segment_size: 96
    .language:       OpenCL C
    .language_version:
      - 2
      - 0
    .max_flat_workgroup_size: 256
    .name:           _ZN7rocprim17ROCPRIM_400000_NS6detail17trampoline_kernelINS0_14default_configENS1_36segmented_radix_sort_config_selectorIflEEZNS1_25segmented_radix_sort_implIS3_Lb0EPKfPfPKlPlN2at6native12_GLOBAL__N_18offset_tEEE10hipError_tPvRmT1_PNSt15iterator_traitsISK_E10value_typeET2_T3_PNSL_ISQ_E10value_typeET4_jRbjT5_SW_jjP12ihipStream_tbEUlT_E_NS1_11comp_targetILNS1_3genE10ELNS1_11target_archE1201ELNS1_3gpuE5ELNS1_3repE0EEENS1_30default_config_static_selectorELNS0_4arch9wavefront6targetE0EEEvSK_
    .private_segment_fixed_size: 0
    .sgpr_count:     0
    .sgpr_spill_count: 0
    .symbol:         _ZN7rocprim17ROCPRIM_400000_NS6detail17trampoline_kernelINS0_14default_configENS1_36segmented_radix_sort_config_selectorIflEEZNS1_25segmented_radix_sort_implIS3_Lb0EPKfPfPKlPlN2at6native12_GLOBAL__N_18offset_tEEE10hipError_tPvRmT1_PNSt15iterator_traitsISK_E10value_typeET2_T3_PNSL_ISQ_E10value_typeET4_jRbjT5_SW_jjP12ihipStream_tbEUlT_E_NS1_11comp_targetILNS1_3genE10ELNS1_11target_archE1201ELNS1_3gpuE5ELNS1_3repE0EEENS1_30default_config_static_selectorELNS0_4arch9wavefront6targetE0EEEvSK_.kd
    .uniform_work_group_size: 1
    .uses_dynamic_stack: false
    .vgpr_count:     0
    .vgpr_spill_count: 0
    .wavefront_size: 32
    .workgroup_processor_mode: 1
  - .args:
      - .offset:         0
        .size:           96
        .value_kind:     by_value
    .group_segment_fixed_size: 0
    .kernarg_segment_align: 8
    .kernarg_segment_size: 96
    .language:       OpenCL C
    .language_version:
      - 2
      - 0
    .max_flat_workgroup_size: 128
    .name:           _ZN7rocprim17ROCPRIM_400000_NS6detail17trampoline_kernelINS0_14default_configENS1_36segmented_radix_sort_config_selectorIflEEZNS1_25segmented_radix_sort_implIS3_Lb0EPKfPfPKlPlN2at6native12_GLOBAL__N_18offset_tEEE10hipError_tPvRmT1_PNSt15iterator_traitsISK_E10value_typeET2_T3_PNSL_ISQ_E10value_typeET4_jRbjT5_SW_jjP12ihipStream_tbEUlT_E_NS1_11comp_targetILNS1_3genE10ELNS1_11target_archE1200ELNS1_3gpuE4ELNS1_3repE0EEENS1_30default_config_static_selectorELNS0_4arch9wavefront6targetE0EEEvSK_
    .private_segment_fixed_size: 0
    .sgpr_count:     0
    .sgpr_spill_count: 0
    .symbol:         _ZN7rocprim17ROCPRIM_400000_NS6detail17trampoline_kernelINS0_14default_configENS1_36segmented_radix_sort_config_selectorIflEEZNS1_25segmented_radix_sort_implIS3_Lb0EPKfPfPKlPlN2at6native12_GLOBAL__N_18offset_tEEE10hipError_tPvRmT1_PNSt15iterator_traitsISK_E10value_typeET2_T3_PNSL_ISQ_E10value_typeET4_jRbjT5_SW_jjP12ihipStream_tbEUlT_E_NS1_11comp_targetILNS1_3genE10ELNS1_11target_archE1200ELNS1_3gpuE4ELNS1_3repE0EEENS1_30default_config_static_selectorELNS0_4arch9wavefront6targetE0EEEvSK_.kd
    .uniform_work_group_size: 1
    .uses_dynamic_stack: false
    .vgpr_count:     0
    .vgpr_spill_count: 0
    .wavefront_size: 32
    .workgroup_processor_mode: 1
  - .args:
      - .offset:         0
        .size:           96
        .value_kind:     by_value
    .group_segment_fixed_size: 0
    .kernarg_segment_align: 8
    .kernarg_segment_size: 96
    .language:       OpenCL C
    .language_version:
      - 2
      - 0
    .max_flat_workgroup_size: 256
    .name:           _ZN7rocprim17ROCPRIM_400000_NS6detail17trampoline_kernelINS0_14default_configENS1_36segmented_radix_sort_config_selectorIflEEZNS1_25segmented_radix_sort_implIS3_Lb0EPKfPfPKlPlN2at6native12_GLOBAL__N_18offset_tEEE10hipError_tPvRmT1_PNSt15iterator_traitsISK_E10value_typeET2_T3_PNSL_ISQ_E10value_typeET4_jRbjT5_SW_jjP12ihipStream_tbEUlT_E_NS1_11comp_targetILNS1_3genE9ELNS1_11target_archE1100ELNS1_3gpuE3ELNS1_3repE0EEENS1_30default_config_static_selectorELNS0_4arch9wavefront6targetE0EEEvSK_
    .private_segment_fixed_size: 0
    .sgpr_count:     0
    .sgpr_spill_count: 0
    .symbol:         _ZN7rocprim17ROCPRIM_400000_NS6detail17trampoline_kernelINS0_14default_configENS1_36segmented_radix_sort_config_selectorIflEEZNS1_25segmented_radix_sort_implIS3_Lb0EPKfPfPKlPlN2at6native12_GLOBAL__N_18offset_tEEE10hipError_tPvRmT1_PNSt15iterator_traitsISK_E10value_typeET2_T3_PNSL_ISQ_E10value_typeET4_jRbjT5_SW_jjP12ihipStream_tbEUlT_E_NS1_11comp_targetILNS1_3genE9ELNS1_11target_archE1100ELNS1_3gpuE3ELNS1_3repE0EEENS1_30default_config_static_selectorELNS0_4arch9wavefront6targetE0EEEvSK_.kd
    .uniform_work_group_size: 1
    .uses_dynamic_stack: false
    .vgpr_count:     0
    .vgpr_spill_count: 0
    .wavefront_size: 32
    .workgroup_processor_mode: 1
  - .args:
      - .offset:         0
        .size:           96
        .value_kind:     by_value
      - .offset:         96
        .size:           4
        .value_kind:     hidden_block_count_x
      - .offset:         100
        .size:           4
        .value_kind:     hidden_block_count_y
      - .offset:         104
        .size:           4
        .value_kind:     hidden_block_count_z
      - .offset:         108
        .size:           2
        .value_kind:     hidden_group_size_x
      - .offset:         110
        .size:           2
        .value_kind:     hidden_group_size_y
      - .offset:         112
        .size:           2
        .value_kind:     hidden_group_size_z
      - .offset:         114
        .size:           2
        .value_kind:     hidden_remainder_x
      - .offset:         116
        .size:           2
        .value_kind:     hidden_remainder_y
      - .offset:         118
        .size:           2
        .value_kind:     hidden_remainder_z
      - .offset:         136
        .size:           8
        .value_kind:     hidden_global_offset_x
      - .offset:         144
        .size:           8
        .value_kind:     hidden_global_offset_y
      - .offset:         152
        .size:           8
        .value_kind:     hidden_global_offset_z
      - .offset:         160
        .size:           2
        .value_kind:     hidden_grid_dims
    .group_segment_fixed_size: 33296
    .kernarg_segment_align: 8
    .kernarg_segment_size: 352
    .language:       OpenCL C
    .language_version:
      - 2
      - 0
    .max_flat_workgroup_size: 256
    .name:           _ZN7rocprim17ROCPRIM_400000_NS6detail17trampoline_kernelINS0_14default_configENS1_36segmented_radix_sort_config_selectorIflEEZNS1_25segmented_radix_sort_implIS3_Lb0EPKfPfPKlPlN2at6native12_GLOBAL__N_18offset_tEEE10hipError_tPvRmT1_PNSt15iterator_traitsISK_E10value_typeET2_T3_PNSL_ISQ_E10value_typeET4_jRbjT5_SW_jjP12ihipStream_tbEUlT_E_NS1_11comp_targetILNS1_3genE8ELNS1_11target_archE1030ELNS1_3gpuE2ELNS1_3repE0EEENS1_30default_config_static_selectorELNS0_4arch9wavefront6targetE0EEEvSK_
    .private_segment_fixed_size: 68
    .sgpr_count:     68
    .sgpr_spill_count: 0
    .symbol:         _ZN7rocprim17ROCPRIM_400000_NS6detail17trampoline_kernelINS0_14default_configENS1_36segmented_radix_sort_config_selectorIflEEZNS1_25segmented_radix_sort_implIS3_Lb0EPKfPfPKlPlN2at6native12_GLOBAL__N_18offset_tEEE10hipError_tPvRmT1_PNSt15iterator_traitsISK_E10value_typeET2_T3_PNSL_ISQ_E10value_typeET4_jRbjT5_SW_jjP12ihipStream_tbEUlT_E_NS1_11comp_targetILNS1_3genE8ELNS1_11target_archE1030ELNS1_3gpuE2ELNS1_3repE0EEENS1_30default_config_static_selectorELNS0_4arch9wavefront6targetE0EEEvSK_.kd
    .uniform_work_group_size: 1
    .uses_dynamic_stack: false
    .vgpr_count:     248
    .vgpr_spill_count: 0
    .wavefront_size: 32
    .workgroup_processor_mode: 1
  - .args:
      - .offset:         0
        .size:           88
        .value_kind:     by_value
    .group_segment_fixed_size: 0
    .kernarg_segment_align: 8
    .kernarg_segment_size: 88
    .language:       OpenCL C
    .language_version:
      - 2
      - 0
    .max_flat_workgroup_size: 256
    .name:           _ZN7rocprim17ROCPRIM_400000_NS6detail17trampoline_kernelINS0_14default_configENS1_36segmented_radix_sort_config_selectorIflEEZNS1_25segmented_radix_sort_implIS3_Lb0EPKfPfPKlPlN2at6native12_GLOBAL__N_18offset_tEEE10hipError_tPvRmT1_PNSt15iterator_traitsISK_E10value_typeET2_T3_PNSL_ISQ_E10value_typeET4_jRbjT5_SW_jjP12ihipStream_tbEUlT_E0_NS1_11comp_targetILNS1_3genE0ELNS1_11target_archE4294967295ELNS1_3gpuE0ELNS1_3repE0EEENS1_60segmented_radix_sort_warp_sort_medium_config_static_selectorELNS0_4arch9wavefront6targetE0EEEvSK_
    .private_segment_fixed_size: 0
    .sgpr_count:     0
    .sgpr_spill_count: 0
    .symbol:         _ZN7rocprim17ROCPRIM_400000_NS6detail17trampoline_kernelINS0_14default_configENS1_36segmented_radix_sort_config_selectorIflEEZNS1_25segmented_radix_sort_implIS3_Lb0EPKfPfPKlPlN2at6native12_GLOBAL__N_18offset_tEEE10hipError_tPvRmT1_PNSt15iterator_traitsISK_E10value_typeET2_T3_PNSL_ISQ_E10value_typeET4_jRbjT5_SW_jjP12ihipStream_tbEUlT_E0_NS1_11comp_targetILNS1_3genE0ELNS1_11target_archE4294967295ELNS1_3gpuE0ELNS1_3repE0EEENS1_60segmented_radix_sort_warp_sort_medium_config_static_selectorELNS0_4arch9wavefront6targetE0EEEvSK_.kd
    .uniform_work_group_size: 1
    .uses_dynamic_stack: false
    .vgpr_count:     0
    .vgpr_spill_count: 0
    .wavefront_size: 32
    .workgroup_processor_mode: 1
  - .args:
      - .offset:         0
        .size:           88
        .value_kind:     by_value
    .group_segment_fixed_size: 0
    .kernarg_segment_align: 8
    .kernarg_segment_size: 88
    .language:       OpenCL C
    .language_version:
      - 2
      - 0
    .max_flat_workgroup_size: 256
    .name:           _ZN7rocprim17ROCPRIM_400000_NS6detail17trampoline_kernelINS0_14default_configENS1_36segmented_radix_sort_config_selectorIflEEZNS1_25segmented_radix_sort_implIS3_Lb0EPKfPfPKlPlN2at6native12_GLOBAL__N_18offset_tEEE10hipError_tPvRmT1_PNSt15iterator_traitsISK_E10value_typeET2_T3_PNSL_ISQ_E10value_typeET4_jRbjT5_SW_jjP12ihipStream_tbEUlT_E0_NS1_11comp_targetILNS1_3genE5ELNS1_11target_archE942ELNS1_3gpuE9ELNS1_3repE0EEENS1_60segmented_radix_sort_warp_sort_medium_config_static_selectorELNS0_4arch9wavefront6targetE0EEEvSK_
    .private_segment_fixed_size: 0
    .sgpr_count:     0
    .sgpr_spill_count: 0
    .symbol:         _ZN7rocprim17ROCPRIM_400000_NS6detail17trampoline_kernelINS0_14default_configENS1_36segmented_radix_sort_config_selectorIflEEZNS1_25segmented_radix_sort_implIS3_Lb0EPKfPfPKlPlN2at6native12_GLOBAL__N_18offset_tEEE10hipError_tPvRmT1_PNSt15iterator_traitsISK_E10value_typeET2_T3_PNSL_ISQ_E10value_typeET4_jRbjT5_SW_jjP12ihipStream_tbEUlT_E0_NS1_11comp_targetILNS1_3genE5ELNS1_11target_archE942ELNS1_3gpuE9ELNS1_3repE0EEENS1_60segmented_radix_sort_warp_sort_medium_config_static_selectorELNS0_4arch9wavefront6targetE0EEEvSK_.kd
    .uniform_work_group_size: 1
    .uses_dynamic_stack: false
    .vgpr_count:     0
    .vgpr_spill_count: 0
    .wavefront_size: 32
    .workgroup_processor_mode: 1
  - .args:
      - .offset:         0
        .size:           88
        .value_kind:     by_value
    .group_segment_fixed_size: 0
    .kernarg_segment_align: 8
    .kernarg_segment_size: 88
    .language:       OpenCL C
    .language_version:
      - 2
      - 0
    .max_flat_workgroup_size: 256
    .name:           _ZN7rocprim17ROCPRIM_400000_NS6detail17trampoline_kernelINS0_14default_configENS1_36segmented_radix_sort_config_selectorIflEEZNS1_25segmented_radix_sort_implIS3_Lb0EPKfPfPKlPlN2at6native12_GLOBAL__N_18offset_tEEE10hipError_tPvRmT1_PNSt15iterator_traitsISK_E10value_typeET2_T3_PNSL_ISQ_E10value_typeET4_jRbjT5_SW_jjP12ihipStream_tbEUlT_E0_NS1_11comp_targetILNS1_3genE4ELNS1_11target_archE910ELNS1_3gpuE8ELNS1_3repE0EEENS1_60segmented_radix_sort_warp_sort_medium_config_static_selectorELNS0_4arch9wavefront6targetE0EEEvSK_
    .private_segment_fixed_size: 0
    .sgpr_count:     0
    .sgpr_spill_count: 0
    .symbol:         _ZN7rocprim17ROCPRIM_400000_NS6detail17trampoline_kernelINS0_14default_configENS1_36segmented_radix_sort_config_selectorIflEEZNS1_25segmented_radix_sort_implIS3_Lb0EPKfPfPKlPlN2at6native12_GLOBAL__N_18offset_tEEE10hipError_tPvRmT1_PNSt15iterator_traitsISK_E10value_typeET2_T3_PNSL_ISQ_E10value_typeET4_jRbjT5_SW_jjP12ihipStream_tbEUlT_E0_NS1_11comp_targetILNS1_3genE4ELNS1_11target_archE910ELNS1_3gpuE8ELNS1_3repE0EEENS1_60segmented_radix_sort_warp_sort_medium_config_static_selectorELNS0_4arch9wavefront6targetE0EEEvSK_.kd
    .uniform_work_group_size: 1
    .uses_dynamic_stack: false
    .vgpr_count:     0
    .vgpr_spill_count: 0
    .wavefront_size: 32
    .workgroup_processor_mode: 1
  - .args:
      - .offset:         0
        .size:           88
        .value_kind:     by_value
    .group_segment_fixed_size: 0
    .kernarg_segment_align: 8
    .kernarg_segment_size: 88
    .language:       OpenCL C
    .language_version:
      - 2
      - 0
    .max_flat_workgroup_size: 256
    .name:           _ZN7rocprim17ROCPRIM_400000_NS6detail17trampoline_kernelINS0_14default_configENS1_36segmented_radix_sort_config_selectorIflEEZNS1_25segmented_radix_sort_implIS3_Lb0EPKfPfPKlPlN2at6native12_GLOBAL__N_18offset_tEEE10hipError_tPvRmT1_PNSt15iterator_traitsISK_E10value_typeET2_T3_PNSL_ISQ_E10value_typeET4_jRbjT5_SW_jjP12ihipStream_tbEUlT_E0_NS1_11comp_targetILNS1_3genE3ELNS1_11target_archE908ELNS1_3gpuE7ELNS1_3repE0EEENS1_60segmented_radix_sort_warp_sort_medium_config_static_selectorELNS0_4arch9wavefront6targetE0EEEvSK_
    .private_segment_fixed_size: 0
    .sgpr_count:     0
    .sgpr_spill_count: 0
    .symbol:         _ZN7rocprim17ROCPRIM_400000_NS6detail17trampoline_kernelINS0_14default_configENS1_36segmented_radix_sort_config_selectorIflEEZNS1_25segmented_radix_sort_implIS3_Lb0EPKfPfPKlPlN2at6native12_GLOBAL__N_18offset_tEEE10hipError_tPvRmT1_PNSt15iterator_traitsISK_E10value_typeET2_T3_PNSL_ISQ_E10value_typeET4_jRbjT5_SW_jjP12ihipStream_tbEUlT_E0_NS1_11comp_targetILNS1_3genE3ELNS1_11target_archE908ELNS1_3gpuE7ELNS1_3repE0EEENS1_60segmented_radix_sort_warp_sort_medium_config_static_selectorELNS0_4arch9wavefront6targetE0EEEvSK_.kd
    .uniform_work_group_size: 1
    .uses_dynamic_stack: false
    .vgpr_count:     0
    .vgpr_spill_count: 0
    .wavefront_size: 32
    .workgroup_processor_mode: 1
  - .args:
      - .offset:         0
        .size:           88
        .value_kind:     by_value
    .group_segment_fixed_size: 0
    .kernarg_segment_align: 8
    .kernarg_segment_size: 88
    .language:       OpenCL C
    .language_version:
      - 2
      - 0
    .max_flat_workgroup_size: 256
    .name:           _ZN7rocprim17ROCPRIM_400000_NS6detail17trampoline_kernelINS0_14default_configENS1_36segmented_radix_sort_config_selectorIflEEZNS1_25segmented_radix_sort_implIS3_Lb0EPKfPfPKlPlN2at6native12_GLOBAL__N_18offset_tEEE10hipError_tPvRmT1_PNSt15iterator_traitsISK_E10value_typeET2_T3_PNSL_ISQ_E10value_typeET4_jRbjT5_SW_jjP12ihipStream_tbEUlT_E0_NS1_11comp_targetILNS1_3genE2ELNS1_11target_archE906ELNS1_3gpuE6ELNS1_3repE0EEENS1_60segmented_radix_sort_warp_sort_medium_config_static_selectorELNS0_4arch9wavefront6targetE0EEEvSK_
    .private_segment_fixed_size: 0
    .sgpr_count:     0
    .sgpr_spill_count: 0
    .symbol:         _ZN7rocprim17ROCPRIM_400000_NS6detail17trampoline_kernelINS0_14default_configENS1_36segmented_radix_sort_config_selectorIflEEZNS1_25segmented_radix_sort_implIS3_Lb0EPKfPfPKlPlN2at6native12_GLOBAL__N_18offset_tEEE10hipError_tPvRmT1_PNSt15iterator_traitsISK_E10value_typeET2_T3_PNSL_ISQ_E10value_typeET4_jRbjT5_SW_jjP12ihipStream_tbEUlT_E0_NS1_11comp_targetILNS1_3genE2ELNS1_11target_archE906ELNS1_3gpuE6ELNS1_3repE0EEENS1_60segmented_radix_sort_warp_sort_medium_config_static_selectorELNS0_4arch9wavefront6targetE0EEEvSK_.kd
    .uniform_work_group_size: 1
    .uses_dynamic_stack: false
    .vgpr_count:     0
    .vgpr_spill_count: 0
    .wavefront_size: 32
    .workgroup_processor_mode: 1
  - .args:
      - .offset:         0
        .size:           88
        .value_kind:     by_value
    .group_segment_fixed_size: 0
    .kernarg_segment_align: 8
    .kernarg_segment_size: 88
    .language:       OpenCL C
    .language_version:
      - 2
      - 0
    .max_flat_workgroup_size: 256
    .name:           _ZN7rocprim17ROCPRIM_400000_NS6detail17trampoline_kernelINS0_14default_configENS1_36segmented_radix_sort_config_selectorIflEEZNS1_25segmented_radix_sort_implIS3_Lb0EPKfPfPKlPlN2at6native12_GLOBAL__N_18offset_tEEE10hipError_tPvRmT1_PNSt15iterator_traitsISK_E10value_typeET2_T3_PNSL_ISQ_E10value_typeET4_jRbjT5_SW_jjP12ihipStream_tbEUlT_E0_NS1_11comp_targetILNS1_3genE10ELNS1_11target_archE1201ELNS1_3gpuE5ELNS1_3repE0EEENS1_60segmented_radix_sort_warp_sort_medium_config_static_selectorELNS0_4arch9wavefront6targetE0EEEvSK_
    .private_segment_fixed_size: 0
    .sgpr_count:     0
    .sgpr_spill_count: 0
    .symbol:         _ZN7rocprim17ROCPRIM_400000_NS6detail17trampoline_kernelINS0_14default_configENS1_36segmented_radix_sort_config_selectorIflEEZNS1_25segmented_radix_sort_implIS3_Lb0EPKfPfPKlPlN2at6native12_GLOBAL__N_18offset_tEEE10hipError_tPvRmT1_PNSt15iterator_traitsISK_E10value_typeET2_T3_PNSL_ISQ_E10value_typeET4_jRbjT5_SW_jjP12ihipStream_tbEUlT_E0_NS1_11comp_targetILNS1_3genE10ELNS1_11target_archE1201ELNS1_3gpuE5ELNS1_3repE0EEENS1_60segmented_radix_sort_warp_sort_medium_config_static_selectorELNS0_4arch9wavefront6targetE0EEEvSK_.kd
    .uniform_work_group_size: 1
    .uses_dynamic_stack: false
    .vgpr_count:     0
    .vgpr_spill_count: 0
    .wavefront_size: 32
    .workgroup_processor_mode: 1
  - .args:
      - .offset:         0
        .size:           88
        .value_kind:     by_value
    .group_segment_fixed_size: 0
    .kernarg_segment_align: 8
    .kernarg_segment_size: 88
    .language:       OpenCL C
    .language_version:
      - 2
      - 0
    .max_flat_workgroup_size: 256
    .name:           _ZN7rocprim17ROCPRIM_400000_NS6detail17trampoline_kernelINS0_14default_configENS1_36segmented_radix_sort_config_selectorIflEEZNS1_25segmented_radix_sort_implIS3_Lb0EPKfPfPKlPlN2at6native12_GLOBAL__N_18offset_tEEE10hipError_tPvRmT1_PNSt15iterator_traitsISK_E10value_typeET2_T3_PNSL_ISQ_E10value_typeET4_jRbjT5_SW_jjP12ihipStream_tbEUlT_E0_NS1_11comp_targetILNS1_3genE10ELNS1_11target_archE1200ELNS1_3gpuE4ELNS1_3repE0EEENS1_60segmented_radix_sort_warp_sort_medium_config_static_selectorELNS0_4arch9wavefront6targetE0EEEvSK_
    .private_segment_fixed_size: 0
    .sgpr_count:     0
    .sgpr_spill_count: 0
    .symbol:         _ZN7rocprim17ROCPRIM_400000_NS6detail17trampoline_kernelINS0_14default_configENS1_36segmented_radix_sort_config_selectorIflEEZNS1_25segmented_radix_sort_implIS3_Lb0EPKfPfPKlPlN2at6native12_GLOBAL__N_18offset_tEEE10hipError_tPvRmT1_PNSt15iterator_traitsISK_E10value_typeET2_T3_PNSL_ISQ_E10value_typeET4_jRbjT5_SW_jjP12ihipStream_tbEUlT_E0_NS1_11comp_targetILNS1_3genE10ELNS1_11target_archE1200ELNS1_3gpuE4ELNS1_3repE0EEENS1_60segmented_radix_sort_warp_sort_medium_config_static_selectorELNS0_4arch9wavefront6targetE0EEEvSK_.kd
    .uniform_work_group_size: 1
    .uses_dynamic_stack: false
    .vgpr_count:     0
    .vgpr_spill_count: 0
    .wavefront_size: 32
    .workgroup_processor_mode: 1
  - .args:
      - .offset:         0
        .size:           88
        .value_kind:     by_value
    .group_segment_fixed_size: 0
    .kernarg_segment_align: 8
    .kernarg_segment_size: 88
    .language:       OpenCL C
    .language_version:
      - 2
      - 0
    .max_flat_workgroup_size: 256
    .name:           _ZN7rocprim17ROCPRIM_400000_NS6detail17trampoline_kernelINS0_14default_configENS1_36segmented_radix_sort_config_selectorIflEEZNS1_25segmented_radix_sort_implIS3_Lb0EPKfPfPKlPlN2at6native12_GLOBAL__N_18offset_tEEE10hipError_tPvRmT1_PNSt15iterator_traitsISK_E10value_typeET2_T3_PNSL_ISQ_E10value_typeET4_jRbjT5_SW_jjP12ihipStream_tbEUlT_E0_NS1_11comp_targetILNS1_3genE9ELNS1_11target_archE1100ELNS1_3gpuE3ELNS1_3repE0EEENS1_60segmented_radix_sort_warp_sort_medium_config_static_selectorELNS0_4arch9wavefront6targetE0EEEvSK_
    .private_segment_fixed_size: 0
    .sgpr_count:     0
    .sgpr_spill_count: 0
    .symbol:         _ZN7rocprim17ROCPRIM_400000_NS6detail17trampoline_kernelINS0_14default_configENS1_36segmented_radix_sort_config_selectorIflEEZNS1_25segmented_radix_sort_implIS3_Lb0EPKfPfPKlPlN2at6native12_GLOBAL__N_18offset_tEEE10hipError_tPvRmT1_PNSt15iterator_traitsISK_E10value_typeET2_T3_PNSL_ISQ_E10value_typeET4_jRbjT5_SW_jjP12ihipStream_tbEUlT_E0_NS1_11comp_targetILNS1_3genE9ELNS1_11target_archE1100ELNS1_3gpuE3ELNS1_3repE0EEENS1_60segmented_radix_sort_warp_sort_medium_config_static_selectorELNS0_4arch9wavefront6targetE0EEEvSK_.kd
    .uniform_work_group_size: 1
    .uses_dynamic_stack: false
    .vgpr_count:     0
    .vgpr_spill_count: 0
    .wavefront_size: 32
    .workgroup_processor_mode: 1
  - .args:
      - .offset:         0
        .size:           88
        .value_kind:     by_value
      - .offset:         88
        .size:           4
        .value_kind:     hidden_block_count_x
      - .offset:         92
        .size:           4
        .value_kind:     hidden_block_count_y
      - .offset:         96
        .size:           4
        .value_kind:     hidden_block_count_z
      - .offset:         100
        .size:           2
        .value_kind:     hidden_group_size_x
      - .offset:         102
        .size:           2
        .value_kind:     hidden_group_size_y
      - .offset:         104
        .size:           2
        .value_kind:     hidden_group_size_z
      - .offset:         106
        .size:           2
        .value_kind:     hidden_remainder_x
      - .offset:         108
        .size:           2
        .value_kind:     hidden_remainder_y
      - .offset:         110
        .size:           2
        .value_kind:     hidden_remainder_z
      - .offset:         128
        .size:           8
        .value_kind:     hidden_global_offset_x
      - .offset:         136
        .size:           8
        .value_kind:     hidden_global_offset_y
      - .offset:         144
        .size:           8
        .value_kind:     hidden_global_offset_z
      - .offset:         152
        .size:           2
        .value_kind:     hidden_grid_dims
    .group_segment_fixed_size: 49152
    .kernarg_segment_align: 8
    .kernarg_segment_size: 344
    .language:       OpenCL C
    .language_version:
      - 2
      - 0
    .max_flat_workgroup_size: 256
    .name:           _ZN7rocprim17ROCPRIM_400000_NS6detail17trampoline_kernelINS0_14default_configENS1_36segmented_radix_sort_config_selectorIflEEZNS1_25segmented_radix_sort_implIS3_Lb0EPKfPfPKlPlN2at6native12_GLOBAL__N_18offset_tEEE10hipError_tPvRmT1_PNSt15iterator_traitsISK_E10value_typeET2_T3_PNSL_ISQ_E10value_typeET4_jRbjT5_SW_jjP12ihipStream_tbEUlT_E0_NS1_11comp_targetILNS1_3genE8ELNS1_11target_archE1030ELNS1_3gpuE2ELNS1_3repE0EEENS1_60segmented_radix_sort_warp_sort_medium_config_static_selectorELNS0_4arch9wavefront6targetE0EEEvSK_
    .private_segment_fixed_size: 0
    .sgpr_count:     59
    .sgpr_spill_count: 0
    .symbol:         _ZN7rocprim17ROCPRIM_400000_NS6detail17trampoline_kernelINS0_14default_configENS1_36segmented_radix_sort_config_selectorIflEEZNS1_25segmented_radix_sort_implIS3_Lb0EPKfPfPKlPlN2at6native12_GLOBAL__N_18offset_tEEE10hipError_tPvRmT1_PNSt15iterator_traitsISK_E10value_typeET2_T3_PNSL_ISQ_E10value_typeET4_jRbjT5_SW_jjP12ihipStream_tbEUlT_E0_NS1_11comp_targetILNS1_3genE8ELNS1_11target_archE1030ELNS1_3gpuE2ELNS1_3repE0EEENS1_60segmented_radix_sort_warp_sort_medium_config_static_selectorELNS0_4arch9wavefront6targetE0EEEvSK_.kd
    .uniform_work_group_size: 1
    .uses_dynamic_stack: false
    .vgpr_count:     148
    .vgpr_spill_count: 0
    .wavefront_size: 32
    .workgroup_processor_mode: 1
  - .args:
      - .offset:         0
        .size:           88
        .value_kind:     by_value
    .group_segment_fixed_size: 0
    .kernarg_segment_align: 8
    .kernarg_segment_size: 88
    .language:       OpenCL C
    .language_version:
      - 2
      - 0
    .max_flat_workgroup_size: 256
    .name:           _ZN7rocprim17ROCPRIM_400000_NS6detail17trampoline_kernelINS0_14default_configENS1_36segmented_radix_sort_config_selectorIflEEZNS1_25segmented_radix_sort_implIS3_Lb0EPKfPfPKlPlN2at6native12_GLOBAL__N_18offset_tEEE10hipError_tPvRmT1_PNSt15iterator_traitsISK_E10value_typeET2_T3_PNSL_ISQ_E10value_typeET4_jRbjT5_SW_jjP12ihipStream_tbEUlT_E1_NS1_11comp_targetILNS1_3genE0ELNS1_11target_archE4294967295ELNS1_3gpuE0ELNS1_3repE0EEENS1_59segmented_radix_sort_warp_sort_small_config_static_selectorELNS0_4arch9wavefront6targetE0EEEvSK_
    .private_segment_fixed_size: 0
    .sgpr_count:     0
    .sgpr_spill_count: 0
    .symbol:         _ZN7rocprim17ROCPRIM_400000_NS6detail17trampoline_kernelINS0_14default_configENS1_36segmented_radix_sort_config_selectorIflEEZNS1_25segmented_radix_sort_implIS3_Lb0EPKfPfPKlPlN2at6native12_GLOBAL__N_18offset_tEEE10hipError_tPvRmT1_PNSt15iterator_traitsISK_E10value_typeET2_T3_PNSL_ISQ_E10value_typeET4_jRbjT5_SW_jjP12ihipStream_tbEUlT_E1_NS1_11comp_targetILNS1_3genE0ELNS1_11target_archE4294967295ELNS1_3gpuE0ELNS1_3repE0EEENS1_59segmented_radix_sort_warp_sort_small_config_static_selectorELNS0_4arch9wavefront6targetE0EEEvSK_.kd
    .uniform_work_group_size: 1
    .uses_dynamic_stack: false
    .vgpr_count:     0
    .vgpr_spill_count: 0
    .wavefront_size: 32
    .workgroup_processor_mode: 1
  - .args:
      - .offset:         0
        .size:           88
        .value_kind:     by_value
    .group_segment_fixed_size: 0
    .kernarg_segment_align: 8
    .kernarg_segment_size: 88
    .language:       OpenCL C
    .language_version:
      - 2
      - 0
    .max_flat_workgroup_size: 256
    .name:           _ZN7rocprim17ROCPRIM_400000_NS6detail17trampoline_kernelINS0_14default_configENS1_36segmented_radix_sort_config_selectorIflEEZNS1_25segmented_radix_sort_implIS3_Lb0EPKfPfPKlPlN2at6native12_GLOBAL__N_18offset_tEEE10hipError_tPvRmT1_PNSt15iterator_traitsISK_E10value_typeET2_T3_PNSL_ISQ_E10value_typeET4_jRbjT5_SW_jjP12ihipStream_tbEUlT_E1_NS1_11comp_targetILNS1_3genE5ELNS1_11target_archE942ELNS1_3gpuE9ELNS1_3repE0EEENS1_59segmented_radix_sort_warp_sort_small_config_static_selectorELNS0_4arch9wavefront6targetE0EEEvSK_
    .private_segment_fixed_size: 0
    .sgpr_count:     0
    .sgpr_spill_count: 0
    .symbol:         _ZN7rocprim17ROCPRIM_400000_NS6detail17trampoline_kernelINS0_14default_configENS1_36segmented_radix_sort_config_selectorIflEEZNS1_25segmented_radix_sort_implIS3_Lb0EPKfPfPKlPlN2at6native12_GLOBAL__N_18offset_tEEE10hipError_tPvRmT1_PNSt15iterator_traitsISK_E10value_typeET2_T3_PNSL_ISQ_E10value_typeET4_jRbjT5_SW_jjP12ihipStream_tbEUlT_E1_NS1_11comp_targetILNS1_3genE5ELNS1_11target_archE942ELNS1_3gpuE9ELNS1_3repE0EEENS1_59segmented_radix_sort_warp_sort_small_config_static_selectorELNS0_4arch9wavefront6targetE0EEEvSK_.kd
    .uniform_work_group_size: 1
    .uses_dynamic_stack: false
    .vgpr_count:     0
    .vgpr_spill_count: 0
    .wavefront_size: 32
    .workgroup_processor_mode: 1
  - .args:
      - .offset:         0
        .size:           88
        .value_kind:     by_value
    .group_segment_fixed_size: 0
    .kernarg_segment_align: 8
    .kernarg_segment_size: 88
    .language:       OpenCL C
    .language_version:
      - 2
      - 0
    .max_flat_workgroup_size: 256
    .name:           _ZN7rocprim17ROCPRIM_400000_NS6detail17trampoline_kernelINS0_14default_configENS1_36segmented_radix_sort_config_selectorIflEEZNS1_25segmented_radix_sort_implIS3_Lb0EPKfPfPKlPlN2at6native12_GLOBAL__N_18offset_tEEE10hipError_tPvRmT1_PNSt15iterator_traitsISK_E10value_typeET2_T3_PNSL_ISQ_E10value_typeET4_jRbjT5_SW_jjP12ihipStream_tbEUlT_E1_NS1_11comp_targetILNS1_3genE4ELNS1_11target_archE910ELNS1_3gpuE8ELNS1_3repE0EEENS1_59segmented_radix_sort_warp_sort_small_config_static_selectorELNS0_4arch9wavefront6targetE0EEEvSK_
    .private_segment_fixed_size: 0
    .sgpr_count:     0
    .sgpr_spill_count: 0
    .symbol:         _ZN7rocprim17ROCPRIM_400000_NS6detail17trampoline_kernelINS0_14default_configENS1_36segmented_radix_sort_config_selectorIflEEZNS1_25segmented_radix_sort_implIS3_Lb0EPKfPfPKlPlN2at6native12_GLOBAL__N_18offset_tEEE10hipError_tPvRmT1_PNSt15iterator_traitsISK_E10value_typeET2_T3_PNSL_ISQ_E10value_typeET4_jRbjT5_SW_jjP12ihipStream_tbEUlT_E1_NS1_11comp_targetILNS1_3genE4ELNS1_11target_archE910ELNS1_3gpuE8ELNS1_3repE0EEENS1_59segmented_radix_sort_warp_sort_small_config_static_selectorELNS0_4arch9wavefront6targetE0EEEvSK_.kd
    .uniform_work_group_size: 1
    .uses_dynamic_stack: false
    .vgpr_count:     0
    .vgpr_spill_count: 0
    .wavefront_size: 32
    .workgroup_processor_mode: 1
  - .args:
      - .offset:         0
        .size:           88
        .value_kind:     by_value
    .group_segment_fixed_size: 0
    .kernarg_segment_align: 8
    .kernarg_segment_size: 88
    .language:       OpenCL C
    .language_version:
      - 2
      - 0
    .max_flat_workgroup_size: 256
    .name:           _ZN7rocprim17ROCPRIM_400000_NS6detail17trampoline_kernelINS0_14default_configENS1_36segmented_radix_sort_config_selectorIflEEZNS1_25segmented_radix_sort_implIS3_Lb0EPKfPfPKlPlN2at6native12_GLOBAL__N_18offset_tEEE10hipError_tPvRmT1_PNSt15iterator_traitsISK_E10value_typeET2_T3_PNSL_ISQ_E10value_typeET4_jRbjT5_SW_jjP12ihipStream_tbEUlT_E1_NS1_11comp_targetILNS1_3genE3ELNS1_11target_archE908ELNS1_3gpuE7ELNS1_3repE0EEENS1_59segmented_radix_sort_warp_sort_small_config_static_selectorELNS0_4arch9wavefront6targetE0EEEvSK_
    .private_segment_fixed_size: 0
    .sgpr_count:     0
    .sgpr_spill_count: 0
    .symbol:         _ZN7rocprim17ROCPRIM_400000_NS6detail17trampoline_kernelINS0_14default_configENS1_36segmented_radix_sort_config_selectorIflEEZNS1_25segmented_radix_sort_implIS3_Lb0EPKfPfPKlPlN2at6native12_GLOBAL__N_18offset_tEEE10hipError_tPvRmT1_PNSt15iterator_traitsISK_E10value_typeET2_T3_PNSL_ISQ_E10value_typeET4_jRbjT5_SW_jjP12ihipStream_tbEUlT_E1_NS1_11comp_targetILNS1_3genE3ELNS1_11target_archE908ELNS1_3gpuE7ELNS1_3repE0EEENS1_59segmented_radix_sort_warp_sort_small_config_static_selectorELNS0_4arch9wavefront6targetE0EEEvSK_.kd
    .uniform_work_group_size: 1
    .uses_dynamic_stack: false
    .vgpr_count:     0
    .vgpr_spill_count: 0
    .wavefront_size: 32
    .workgroup_processor_mode: 1
  - .args:
      - .offset:         0
        .size:           88
        .value_kind:     by_value
    .group_segment_fixed_size: 0
    .kernarg_segment_align: 8
    .kernarg_segment_size: 88
    .language:       OpenCL C
    .language_version:
      - 2
      - 0
    .max_flat_workgroup_size: 256
    .name:           _ZN7rocprim17ROCPRIM_400000_NS6detail17trampoline_kernelINS0_14default_configENS1_36segmented_radix_sort_config_selectorIflEEZNS1_25segmented_radix_sort_implIS3_Lb0EPKfPfPKlPlN2at6native12_GLOBAL__N_18offset_tEEE10hipError_tPvRmT1_PNSt15iterator_traitsISK_E10value_typeET2_T3_PNSL_ISQ_E10value_typeET4_jRbjT5_SW_jjP12ihipStream_tbEUlT_E1_NS1_11comp_targetILNS1_3genE2ELNS1_11target_archE906ELNS1_3gpuE6ELNS1_3repE0EEENS1_59segmented_radix_sort_warp_sort_small_config_static_selectorELNS0_4arch9wavefront6targetE0EEEvSK_
    .private_segment_fixed_size: 0
    .sgpr_count:     0
    .sgpr_spill_count: 0
    .symbol:         _ZN7rocprim17ROCPRIM_400000_NS6detail17trampoline_kernelINS0_14default_configENS1_36segmented_radix_sort_config_selectorIflEEZNS1_25segmented_radix_sort_implIS3_Lb0EPKfPfPKlPlN2at6native12_GLOBAL__N_18offset_tEEE10hipError_tPvRmT1_PNSt15iterator_traitsISK_E10value_typeET2_T3_PNSL_ISQ_E10value_typeET4_jRbjT5_SW_jjP12ihipStream_tbEUlT_E1_NS1_11comp_targetILNS1_3genE2ELNS1_11target_archE906ELNS1_3gpuE6ELNS1_3repE0EEENS1_59segmented_radix_sort_warp_sort_small_config_static_selectorELNS0_4arch9wavefront6targetE0EEEvSK_.kd
    .uniform_work_group_size: 1
    .uses_dynamic_stack: false
    .vgpr_count:     0
    .vgpr_spill_count: 0
    .wavefront_size: 32
    .workgroup_processor_mode: 1
  - .args:
      - .offset:         0
        .size:           88
        .value_kind:     by_value
    .group_segment_fixed_size: 0
    .kernarg_segment_align: 8
    .kernarg_segment_size: 88
    .language:       OpenCL C
    .language_version:
      - 2
      - 0
    .max_flat_workgroup_size: 256
    .name:           _ZN7rocprim17ROCPRIM_400000_NS6detail17trampoline_kernelINS0_14default_configENS1_36segmented_radix_sort_config_selectorIflEEZNS1_25segmented_radix_sort_implIS3_Lb0EPKfPfPKlPlN2at6native12_GLOBAL__N_18offset_tEEE10hipError_tPvRmT1_PNSt15iterator_traitsISK_E10value_typeET2_T3_PNSL_ISQ_E10value_typeET4_jRbjT5_SW_jjP12ihipStream_tbEUlT_E1_NS1_11comp_targetILNS1_3genE10ELNS1_11target_archE1201ELNS1_3gpuE5ELNS1_3repE0EEENS1_59segmented_radix_sort_warp_sort_small_config_static_selectorELNS0_4arch9wavefront6targetE0EEEvSK_
    .private_segment_fixed_size: 0
    .sgpr_count:     0
    .sgpr_spill_count: 0
    .symbol:         _ZN7rocprim17ROCPRIM_400000_NS6detail17trampoline_kernelINS0_14default_configENS1_36segmented_radix_sort_config_selectorIflEEZNS1_25segmented_radix_sort_implIS3_Lb0EPKfPfPKlPlN2at6native12_GLOBAL__N_18offset_tEEE10hipError_tPvRmT1_PNSt15iterator_traitsISK_E10value_typeET2_T3_PNSL_ISQ_E10value_typeET4_jRbjT5_SW_jjP12ihipStream_tbEUlT_E1_NS1_11comp_targetILNS1_3genE10ELNS1_11target_archE1201ELNS1_3gpuE5ELNS1_3repE0EEENS1_59segmented_radix_sort_warp_sort_small_config_static_selectorELNS0_4arch9wavefront6targetE0EEEvSK_.kd
    .uniform_work_group_size: 1
    .uses_dynamic_stack: false
    .vgpr_count:     0
    .vgpr_spill_count: 0
    .wavefront_size: 32
    .workgroup_processor_mode: 1
  - .args:
      - .offset:         0
        .size:           88
        .value_kind:     by_value
    .group_segment_fixed_size: 0
    .kernarg_segment_align: 8
    .kernarg_segment_size: 88
    .language:       OpenCL C
    .language_version:
      - 2
      - 0
    .max_flat_workgroup_size: 256
    .name:           _ZN7rocprim17ROCPRIM_400000_NS6detail17trampoline_kernelINS0_14default_configENS1_36segmented_radix_sort_config_selectorIflEEZNS1_25segmented_radix_sort_implIS3_Lb0EPKfPfPKlPlN2at6native12_GLOBAL__N_18offset_tEEE10hipError_tPvRmT1_PNSt15iterator_traitsISK_E10value_typeET2_T3_PNSL_ISQ_E10value_typeET4_jRbjT5_SW_jjP12ihipStream_tbEUlT_E1_NS1_11comp_targetILNS1_3genE10ELNS1_11target_archE1200ELNS1_3gpuE4ELNS1_3repE0EEENS1_59segmented_radix_sort_warp_sort_small_config_static_selectorELNS0_4arch9wavefront6targetE0EEEvSK_
    .private_segment_fixed_size: 0
    .sgpr_count:     0
    .sgpr_spill_count: 0
    .symbol:         _ZN7rocprim17ROCPRIM_400000_NS6detail17trampoline_kernelINS0_14default_configENS1_36segmented_radix_sort_config_selectorIflEEZNS1_25segmented_radix_sort_implIS3_Lb0EPKfPfPKlPlN2at6native12_GLOBAL__N_18offset_tEEE10hipError_tPvRmT1_PNSt15iterator_traitsISK_E10value_typeET2_T3_PNSL_ISQ_E10value_typeET4_jRbjT5_SW_jjP12ihipStream_tbEUlT_E1_NS1_11comp_targetILNS1_3genE10ELNS1_11target_archE1200ELNS1_3gpuE4ELNS1_3repE0EEENS1_59segmented_radix_sort_warp_sort_small_config_static_selectorELNS0_4arch9wavefront6targetE0EEEvSK_.kd
    .uniform_work_group_size: 1
    .uses_dynamic_stack: false
    .vgpr_count:     0
    .vgpr_spill_count: 0
    .wavefront_size: 32
    .workgroup_processor_mode: 1
  - .args:
      - .offset:         0
        .size:           88
        .value_kind:     by_value
    .group_segment_fixed_size: 0
    .kernarg_segment_align: 8
    .kernarg_segment_size: 88
    .language:       OpenCL C
    .language_version:
      - 2
      - 0
    .max_flat_workgroup_size: 256
    .name:           _ZN7rocprim17ROCPRIM_400000_NS6detail17trampoline_kernelINS0_14default_configENS1_36segmented_radix_sort_config_selectorIflEEZNS1_25segmented_radix_sort_implIS3_Lb0EPKfPfPKlPlN2at6native12_GLOBAL__N_18offset_tEEE10hipError_tPvRmT1_PNSt15iterator_traitsISK_E10value_typeET2_T3_PNSL_ISQ_E10value_typeET4_jRbjT5_SW_jjP12ihipStream_tbEUlT_E1_NS1_11comp_targetILNS1_3genE9ELNS1_11target_archE1100ELNS1_3gpuE3ELNS1_3repE0EEENS1_59segmented_radix_sort_warp_sort_small_config_static_selectorELNS0_4arch9wavefront6targetE0EEEvSK_
    .private_segment_fixed_size: 0
    .sgpr_count:     0
    .sgpr_spill_count: 0
    .symbol:         _ZN7rocprim17ROCPRIM_400000_NS6detail17trampoline_kernelINS0_14default_configENS1_36segmented_radix_sort_config_selectorIflEEZNS1_25segmented_radix_sort_implIS3_Lb0EPKfPfPKlPlN2at6native12_GLOBAL__N_18offset_tEEE10hipError_tPvRmT1_PNSt15iterator_traitsISK_E10value_typeET2_T3_PNSL_ISQ_E10value_typeET4_jRbjT5_SW_jjP12ihipStream_tbEUlT_E1_NS1_11comp_targetILNS1_3genE9ELNS1_11target_archE1100ELNS1_3gpuE3ELNS1_3repE0EEENS1_59segmented_radix_sort_warp_sort_small_config_static_selectorELNS0_4arch9wavefront6targetE0EEEvSK_.kd
    .uniform_work_group_size: 1
    .uses_dynamic_stack: false
    .vgpr_count:     0
    .vgpr_spill_count: 0
    .wavefront_size: 32
    .workgroup_processor_mode: 1
  - .args:
      - .offset:         0
        .size:           88
        .value_kind:     by_value
      - .offset:         88
        .size:           4
        .value_kind:     hidden_block_count_x
      - .offset:         92
        .size:           4
        .value_kind:     hidden_block_count_y
      - .offset:         96
        .size:           4
        .value_kind:     hidden_block_count_z
      - .offset:         100
        .size:           2
        .value_kind:     hidden_group_size_x
      - .offset:         102
        .size:           2
        .value_kind:     hidden_group_size_y
      - .offset:         104
        .size:           2
        .value_kind:     hidden_group_size_z
      - .offset:         106
        .size:           2
        .value_kind:     hidden_remainder_x
      - .offset:         108
        .size:           2
        .value_kind:     hidden_remainder_y
      - .offset:         110
        .size:           2
        .value_kind:     hidden_remainder_z
      - .offset:         128
        .size:           8
        .value_kind:     hidden_global_offset_x
      - .offset:         136
        .size:           8
        .value_kind:     hidden_global_offset_y
      - .offset:         144
        .size:           8
        .value_kind:     hidden_global_offset_z
      - .offset:         152
        .size:           2
        .value_kind:     hidden_grid_dims
    .group_segment_fixed_size: 24576
    .kernarg_segment_align: 8
    .kernarg_segment_size: 344
    .language:       OpenCL C
    .language_version:
      - 2
      - 0
    .max_flat_workgroup_size: 256
    .name:           _ZN7rocprim17ROCPRIM_400000_NS6detail17trampoline_kernelINS0_14default_configENS1_36segmented_radix_sort_config_selectorIflEEZNS1_25segmented_radix_sort_implIS3_Lb0EPKfPfPKlPlN2at6native12_GLOBAL__N_18offset_tEEE10hipError_tPvRmT1_PNSt15iterator_traitsISK_E10value_typeET2_T3_PNSL_ISQ_E10value_typeET4_jRbjT5_SW_jjP12ihipStream_tbEUlT_E1_NS1_11comp_targetILNS1_3genE8ELNS1_11target_archE1030ELNS1_3gpuE2ELNS1_3repE0EEENS1_59segmented_radix_sort_warp_sort_small_config_static_selectorELNS0_4arch9wavefront6targetE0EEEvSK_
    .private_segment_fixed_size: 0
    .sgpr_count:     46
    .sgpr_spill_count: 0
    .symbol:         _ZN7rocprim17ROCPRIM_400000_NS6detail17trampoline_kernelINS0_14default_configENS1_36segmented_radix_sort_config_selectorIflEEZNS1_25segmented_radix_sort_implIS3_Lb0EPKfPfPKlPlN2at6native12_GLOBAL__N_18offset_tEEE10hipError_tPvRmT1_PNSt15iterator_traitsISK_E10value_typeET2_T3_PNSL_ISQ_E10value_typeET4_jRbjT5_SW_jjP12ihipStream_tbEUlT_E1_NS1_11comp_targetILNS1_3genE8ELNS1_11target_archE1030ELNS1_3gpuE2ELNS1_3repE0EEENS1_59segmented_radix_sort_warp_sort_small_config_static_selectorELNS0_4arch9wavefront6targetE0EEEvSK_.kd
    .uniform_work_group_size: 1
    .uses_dynamic_stack: false
    .vgpr_count:     100
    .vgpr_spill_count: 0
    .wavefront_size: 32
    .workgroup_processor_mode: 1
  - .args:
      - .offset:         0
        .size:           80
        .value_kind:     by_value
    .group_segment_fixed_size: 0
    .kernarg_segment_align: 8
    .kernarg_segment_size: 80
    .language:       OpenCL C
    .language_version:
      - 2
      - 0
    .max_flat_workgroup_size: 256
    .name:           _ZN7rocprim17ROCPRIM_400000_NS6detail17trampoline_kernelINS0_14default_configENS1_36segmented_radix_sort_config_selectorIflEEZNS1_25segmented_radix_sort_implIS3_Lb0EPKfPfPKlPlN2at6native12_GLOBAL__N_18offset_tEEE10hipError_tPvRmT1_PNSt15iterator_traitsISK_E10value_typeET2_T3_PNSL_ISQ_E10value_typeET4_jRbjT5_SW_jjP12ihipStream_tbEUlT_E2_NS1_11comp_targetILNS1_3genE0ELNS1_11target_archE4294967295ELNS1_3gpuE0ELNS1_3repE0EEENS1_30default_config_static_selectorELNS0_4arch9wavefront6targetE0EEEvSK_
    .private_segment_fixed_size: 0
    .sgpr_count:     0
    .sgpr_spill_count: 0
    .symbol:         _ZN7rocprim17ROCPRIM_400000_NS6detail17trampoline_kernelINS0_14default_configENS1_36segmented_radix_sort_config_selectorIflEEZNS1_25segmented_radix_sort_implIS3_Lb0EPKfPfPKlPlN2at6native12_GLOBAL__N_18offset_tEEE10hipError_tPvRmT1_PNSt15iterator_traitsISK_E10value_typeET2_T3_PNSL_ISQ_E10value_typeET4_jRbjT5_SW_jjP12ihipStream_tbEUlT_E2_NS1_11comp_targetILNS1_3genE0ELNS1_11target_archE4294967295ELNS1_3gpuE0ELNS1_3repE0EEENS1_30default_config_static_selectorELNS0_4arch9wavefront6targetE0EEEvSK_.kd
    .uniform_work_group_size: 1
    .uses_dynamic_stack: false
    .vgpr_count:     0
    .vgpr_spill_count: 0
    .wavefront_size: 32
    .workgroup_processor_mode: 1
  - .args:
      - .offset:         0
        .size:           80
        .value_kind:     by_value
    .group_segment_fixed_size: 0
    .kernarg_segment_align: 8
    .kernarg_segment_size: 80
    .language:       OpenCL C
    .language_version:
      - 2
      - 0
    .max_flat_workgroup_size: 256
    .name:           _ZN7rocprim17ROCPRIM_400000_NS6detail17trampoline_kernelINS0_14default_configENS1_36segmented_radix_sort_config_selectorIflEEZNS1_25segmented_radix_sort_implIS3_Lb0EPKfPfPKlPlN2at6native12_GLOBAL__N_18offset_tEEE10hipError_tPvRmT1_PNSt15iterator_traitsISK_E10value_typeET2_T3_PNSL_ISQ_E10value_typeET4_jRbjT5_SW_jjP12ihipStream_tbEUlT_E2_NS1_11comp_targetILNS1_3genE5ELNS1_11target_archE942ELNS1_3gpuE9ELNS1_3repE0EEENS1_30default_config_static_selectorELNS0_4arch9wavefront6targetE0EEEvSK_
    .private_segment_fixed_size: 0
    .sgpr_count:     0
    .sgpr_spill_count: 0
    .symbol:         _ZN7rocprim17ROCPRIM_400000_NS6detail17trampoline_kernelINS0_14default_configENS1_36segmented_radix_sort_config_selectorIflEEZNS1_25segmented_radix_sort_implIS3_Lb0EPKfPfPKlPlN2at6native12_GLOBAL__N_18offset_tEEE10hipError_tPvRmT1_PNSt15iterator_traitsISK_E10value_typeET2_T3_PNSL_ISQ_E10value_typeET4_jRbjT5_SW_jjP12ihipStream_tbEUlT_E2_NS1_11comp_targetILNS1_3genE5ELNS1_11target_archE942ELNS1_3gpuE9ELNS1_3repE0EEENS1_30default_config_static_selectorELNS0_4arch9wavefront6targetE0EEEvSK_.kd
    .uniform_work_group_size: 1
    .uses_dynamic_stack: false
    .vgpr_count:     0
    .vgpr_spill_count: 0
    .wavefront_size: 32
    .workgroup_processor_mode: 1
  - .args:
      - .offset:         0
        .size:           80
        .value_kind:     by_value
    .group_segment_fixed_size: 0
    .kernarg_segment_align: 8
    .kernarg_segment_size: 80
    .language:       OpenCL C
    .language_version:
      - 2
      - 0
    .max_flat_workgroup_size: 256
    .name:           _ZN7rocprim17ROCPRIM_400000_NS6detail17trampoline_kernelINS0_14default_configENS1_36segmented_radix_sort_config_selectorIflEEZNS1_25segmented_radix_sort_implIS3_Lb0EPKfPfPKlPlN2at6native12_GLOBAL__N_18offset_tEEE10hipError_tPvRmT1_PNSt15iterator_traitsISK_E10value_typeET2_T3_PNSL_ISQ_E10value_typeET4_jRbjT5_SW_jjP12ihipStream_tbEUlT_E2_NS1_11comp_targetILNS1_3genE4ELNS1_11target_archE910ELNS1_3gpuE8ELNS1_3repE0EEENS1_30default_config_static_selectorELNS0_4arch9wavefront6targetE0EEEvSK_
    .private_segment_fixed_size: 0
    .sgpr_count:     0
    .sgpr_spill_count: 0
    .symbol:         _ZN7rocprim17ROCPRIM_400000_NS6detail17trampoline_kernelINS0_14default_configENS1_36segmented_radix_sort_config_selectorIflEEZNS1_25segmented_radix_sort_implIS3_Lb0EPKfPfPKlPlN2at6native12_GLOBAL__N_18offset_tEEE10hipError_tPvRmT1_PNSt15iterator_traitsISK_E10value_typeET2_T3_PNSL_ISQ_E10value_typeET4_jRbjT5_SW_jjP12ihipStream_tbEUlT_E2_NS1_11comp_targetILNS1_3genE4ELNS1_11target_archE910ELNS1_3gpuE8ELNS1_3repE0EEENS1_30default_config_static_selectorELNS0_4arch9wavefront6targetE0EEEvSK_.kd
    .uniform_work_group_size: 1
    .uses_dynamic_stack: false
    .vgpr_count:     0
    .vgpr_spill_count: 0
    .wavefront_size: 32
    .workgroup_processor_mode: 1
  - .args:
      - .offset:         0
        .size:           80
        .value_kind:     by_value
    .group_segment_fixed_size: 0
    .kernarg_segment_align: 8
    .kernarg_segment_size: 80
    .language:       OpenCL C
    .language_version:
      - 2
      - 0
    .max_flat_workgroup_size: 256
    .name:           _ZN7rocprim17ROCPRIM_400000_NS6detail17trampoline_kernelINS0_14default_configENS1_36segmented_radix_sort_config_selectorIflEEZNS1_25segmented_radix_sort_implIS3_Lb0EPKfPfPKlPlN2at6native12_GLOBAL__N_18offset_tEEE10hipError_tPvRmT1_PNSt15iterator_traitsISK_E10value_typeET2_T3_PNSL_ISQ_E10value_typeET4_jRbjT5_SW_jjP12ihipStream_tbEUlT_E2_NS1_11comp_targetILNS1_3genE3ELNS1_11target_archE908ELNS1_3gpuE7ELNS1_3repE0EEENS1_30default_config_static_selectorELNS0_4arch9wavefront6targetE0EEEvSK_
    .private_segment_fixed_size: 0
    .sgpr_count:     0
    .sgpr_spill_count: 0
    .symbol:         _ZN7rocprim17ROCPRIM_400000_NS6detail17trampoline_kernelINS0_14default_configENS1_36segmented_radix_sort_config_selectorIflEEZNS1_25segmented_radix_sort_implIS3_Lb0EPKfPfPKlPlN2at6native12_GLOBAL__N_18offset_tEEE10hipError_tPvRmT1_PNSt15iterator_traitsISK_E10value_typeET2_T3_PNSL_ISQ_E10value_typeET4_jRbjT5_SW_jjP12ihipStream_tbEUlT_E2_NS1_11comp_targetILNS1_3genE3ELNS1_11target_archE908ELNS1_3gpuE7ELNS1_3repE0EEENS1_30default_config_static_selectorELNS0_4arch9wavefront6targetE0EEEvSK_.kd
    .uniform_work_group_size: 1
    .uses_dynamic_stack: false
    .vgpr_count:     0
    .vgpr_spill_count: 0
    .wavefront_size: 32
    .workgroup_processor_mode: 1
  - .args:
      - .offset:         0
        .size:           80
        .value_kind:     by_value
    .group_segment_fixed_size: 0
    .kernarg_segment_align: 8
    .kernarg_segment_size: 80
    .language:       OpenCL C
    .language_version:
      - 2
      - 0
    .max_flat_workgroup_size: 256
    .name:           _ZN7rocprim17ROCPRIM_400000_NS6detail17trampoline_kernelINS0_14default_configENS1_36segmented_radix_sort_config_selectorIflEEZNS1_25segmented_radix_sort_implIS3_Lb0EPKfPfPKlPlN2at6native12_GLOBAL__N_18offset_tEEE10hipError_tPvRmT1_PNSt15iterator_traitsISK_E10value_typeET2_T3_PNSL_ISQ_E10value_typeET4_jRbjT5_SW_jjP12ihipStream_tbEUlT_E2_NS1_11comp_targetILNS1_3genE2ELNS1_11target_archE906ELNS1_3gpuE6ELNS1_3repE0EEENS1_30default_config_static_selectorELNS0_4arch9wavefront6targetE0EEEvSK_
    .private_segment_fixed_size: 0
    .sgpr_count:     0
    .sgpr_spill_count: 0
    .symbol:         _ZN7rocprim17ROCPRIM_400000_NS6detail17trampoline_kernelINS0_14default_configENS1_36segmented_radix_sort_config_selectorIflEEZNS1_25segmented_radix_sort_implIS3_Lb0EPKfPfPKlPlN2at6native12_GLOBAL__N_18offset_tEEE10hipError_tPvRmT1_PNSt15iterator_traitsISK_E10value_typeET2_T3_PNSL_ISQ_E10value_typeET4_jRbjT5_SW_jjP12ihipStream_tbEUlT_E2_NS1_11comp_targetILNS1_3genE2ELNS1_11target_archE906ELNS1_3gpuE6ELNS1_3repE0EEENS1_30default_config_static_selectorELNS0_4arch9wavefront6targetE0EEEvSK_.kd
    .uniform_work_group_size: 1
    .uses_dynamic_stack: false
    .vgpr_count:     0
    .vgpr_spill_count: 0
    .wavefront_size: 32
    .workgroup_processor_mode: 1
  - .args:
      - .offset:         0
        .size:           80
        .value_kind:     by_value
    .group_segment_fixed_size: 0
    .kernarg_segment_align: 8
    .kernarg_segment_size: 80
    .language:       OpenCL C
    .language_version:
      - 2
      - 0
    .max_flat_workgroup_size: 256
    .name:           _ZN7rocprim17ROCPRIM_400000_NS6detail17trampoline_kernelINS0_14default_configENS1_36segmented_radix_sort_config_selectorIflEEZNS1_25segmented_radix_sort_implIS3_Lb0EPKfPfPKlPlN2at6native12_GLOBAL__N_18offset_tEEE10hipError_tPvRmT1_PNSt15iterator_traitsISK_E10value_typeET2_T3_PNSL_ISQ_E10value_typeET4_jRbjT5_SW_jjP12ihipStream_tbEUlT_E2_NS1_11comp_targetILNS1_3genE10ELNS1_11target_archE1201ELNS1_3gpuE5ELNS1_3repE0EEENS1_30default_config_static_selectorELNS0_4arch9wavefront6targetE0EEEvSK_
    .private_segment_fixed_size: 0
    .sgpr_count:     0
    .sgpr_spill_count: 0
    .symbol:         _ZN7rocprim17ROCPRIM_400000_NS6detail17trampoline_kernelINS0_14default_configENS1_36segmented_radix_sort_config_selectorIflEEZNS1_25segmented_radix_sort_implIS3_Lb0EPKfPfPKlPlN2at6native12_GLOBAL__N_18offset_tEEE10hipError_tPvRmT1_PNSt15iterator_traitsISK_E10value_typeET2_T3_PNSL_ISQ_E10value_typeET4_jRbjT5_SW_jjP12ihipStream_tbEUlT_E2_NS1_11comp_targetILNS1_3genE10ELNS1_11target_archE1201ELNS1_3gpuE5ELNS1_3repE0EEENS1_30default_config_static_selectorELNS0_4arch9wavefront6targetE0EEEvSK_.kd
    .uniform_work_group_size: 1
    .uses_dynamic_stack: false
    .vgpr_count:     0
    .vgpr_spill_count: 0
    .wavefront_size: 32
    .workgroup_processor_mode: 1
  - .args:
      - .offset:         0
        .size:           80
        .value_kind:     by_value
    .group_segment_fixed_size: 0
    .kernarg_segment_align: 8
    .kernarg_segment_size: 80
    .language:       OpenCL C
    .language_version:
      - 2
      - 0
    .max_flat_workgroup_size: 128
    .name:           _ZN7rocprim17ROCPRIM_400000_NS6detail17trampoline_kernelINS0_14default_configENS1_36segmented_radix_sort_config_selectorIflEEZNS1_25segmented_radix_sort_implIS3_Lb0EPKfPfPKlPlN2at6native12_GLOBAL__N_18offset_tEEE10hipError_tPvRmT1_PNSt15iterator_traitsISK_E10value_typeET2_T3_PNSL_ISQ_E10value_typeET4_jRbjT5_SW_jjP12ihipStream_tbEUlT_E2_NS1_11comp_targetILNS1_3genE10ELNS1_11target_archE1200ELNS1_3gpuE4ELNS1_3repE0EEENS1_30default_config_static_selectorELNS0_4arch9wavefront6targetE0EEEvSK_
    .private_segment_fixed_size: 0
    .sgpr_count:     0
    .sgpr_spill_count: 0
    .symbol:         _ZN7rocprim17ROCPRIM_400000_NS6detail17trampoline_kernelINS0_14default_configENS1_36segmented_radix_sort_config_selectorIflEEZNS1_25segmented_radix_sort_implIS3_Lb0EPKfPfPKlPlN2at6native12_GLOBAL__N_18offset_tEEE10hipError_tPvRmT1_PNSt15iterator_traitsISK_E10value_typeET2_T3_PNSL_ISQ_E10value_typeET4_jRbjT5_SW_jjP12ihipStream_tbEUlT_E2_NS1_11comp_targetILNS1_3genE10ELNS1_11target_archE1200ELNS1_3gpuE4ELNS1_3repE0EEENS1_30default_config_static_selectorELNS0_4arch9wavefront6targetE0EEEvSK_.kd
    .uniform_work_group_size: 1
    .uses_dynamic_stack: false
    .vgpr_count:     0
    .vgpr_spill_count: 0
    .wavefront_size: 32
    .workgroup_processor_mode: 1
  - .args:
      - .offset:         0
        .size:           80
        .value_kind:     by_value
    .group_segment_fixed_size: 0
    .kernarg_segment_align: 8
    .kernarg_segment_size: 80
    .language:       OpenCL C
    .language_version:
      - 2
      - 0
    .max_flat_workgroup_size: 256
    .name:           _ZN7rocprim17ROCPRIM_400000_NS6detail17trampoline_kernelINS0_14default_configENS1_36segmented_radix_sort_config_selectorIflEEZNS1_25segmented_radix_sort_implIS3_Lb0EPKfPfPKlPlN2at6native12_GLOBAL__N_18offset_tEEE10hipError_tPvRmT1_PNSt15iterator_traitsISK_E10value_typeET2_T3_PNSL_ISQ_E10value_typeET4_jRbjT5_SW_jjP12ihipStream_tbEUlT_E2_NS1_11comp_targetILNS1_3genE9ELNS1_11target_archE1100ELNS1_3gpuE3ELNS1_3repE0EEENS1_30default_config_static_selectorELNS0_4arch9wavefront6targetE0EEEvSK_
    .private_segment_fixed_size: 0
    .sgpr_count:     0
    .sgpr_spill_count: 0
    .symbol:         _ZN7rocprim17ROCPRIM_400000_NS6detail17trampoline_kernelINS0_14default_configENS1_36segmented_radix_sort_config_selectorIflEEZNS1_25segmented_radix_sort_implIS3_Lb0EPKfPfPKlPlN2at6native12_GLOBAL__N_18offset_tEEE10hipError_tPvRmT1_PNSt15iterator_traitsISK_E10value_typeET2_T3_PNSL_ISQ_E10value_typeET4_jRbjT5_SW_jjP12ihipStream_tbEUlT_E2_NS1_11comp_targetILNS1_3genE9ELNS1_11target_archE1100ELNS1_3gpuE3ELNS1_3repE0EEENS1_30default_config_static_selectorELNS0_4arch9wavefront6targetE0EEEvSK_.kd
    .uniform_work_group_size: 1
    .uses_dynamic_stack: false
    .vgpr_count:     0
    .vgpr_spill_count: 0
    .wavefront_size: 32
    .workgroup_processor_mode: 1
  - .args:
      - .offset:         0
        .size:           80
        .value_kind:     by_value
      - .offset:         80
        .size:           4
        .value_kind:     hidden_block_count_x
      - .offset:         84
        .size:           4
        .value_kind:     hidden_block_count_y
      - .offset:         88
        .size:           4
        .value_kind:     hidden_block_count_z
      - .offset:         92
        .size:           2
        .value_kind:     hidden_group_size_x
      - .offset:         94
        .size:           2
        .value_kind:     hidden_group_size_y
      - .offset:         96
        .size:           2
        .value_kind:     hidden_group_size_z
      - .offset:         98
        .size:           2
        .value_kind:     hidden_remainder_x
      - .offset:         100
        .size:           2
        .value_kind:     hidden_remainder_y
      - .offset:         102
        .size:           2
        .value_kind:     hidden_remainder_z
      - .offset:         120
        .size:           8
        .value_kind:     hidden_global_offset_x
      - .offset:         128
        .size:           8
        .value_kind:     hidden_global_offset_y
      - .offset:         136
        .size:           8
        .value_kind:     hidden_global_offset_z
      - .offset:         144
        .size:           2
        .value_kind:     hidden_grid_dims
    .group_segment_fixed_size: 33296
    .kernarg_segment_align: 8
    .kernarg_segment_size: 336
    .language:       OpenCL C
    .language_version:
      - 2
      - 0
    .max_flat_workgroup_size: 256
    .name:           _ZN7rocprim17ROCPRIM_400000_NS6detail17trampoline_kernelINS0_14default_configENS1_36segmented_radix_sort_config_selectorIflEEZNS1_25segmented_radix_sort_implIS3_Lb0EPKfPfPKlPlN2at6native12_GLOBAL__N_18offset_tEEE10hipError_tPvRmT1_PNSt15iterator_traitsISK_E10value_typeET2_T3_PNSL_ISQ_E10value_typeET4_jRbjT5_SW_jjP12ihipStream_tbEUlT_E2_NS1_11comp_targetILNS1_3genE8ELNS1_11target_archE1030ELNS1_3gpuE2ELNS1_3repE0EEENS1_30default_config_static_selectorELNS0_4arch9wavefront6targetE0EEEvSK_
    .private_segment_fixed_size: 68
    .sgpr_count:     68
    .sgpr_spill_count: 0
    .symbol:         _ZN7rocprim17ROCPRIM_400000_NS6detail17trampoline_kernelINS0_14default_configENS1_36segmented_radix_sort_config_selectorIflEEZNS1_25segmented_radix_sort_implIS3_Lb0EPKfPfPKlPlN2at6native12_GLOBAL__N_18offset_tEEE10hipError_tPvRmT1_PNSt15iterator_traitsISK_E10value_typeET2_T3_PNSL_ISQ_E10value_typeET4_jRbjT5_SW_jjP12ihipStream_tbEUlT_E2_NS1_11comp_targetILNS1_3genE8ELNS1_11target_archE1030ELNS1_3gpuE2ELNS1_3repE0EEENS1_30default_config_static_selectorELNS0_4arch9wavefront6targetE0EEEvSK_.kd
    .uniform_work_group_size: 1
    .uses_dynamic_stack: false
    .vgpr_count:     248
    .vgpr_spill_count: 0
    .wavefront_size: 32
    .workgroup_processor_mode: 1
  - .args:
      - .address_space:  global
        .offset:         0
        .size:           8
        .value_kind:     global_buffer
      - .address_space:  global
        .offset:         8
        .size:           8
        .value_kind:     global_buffer
      - .address_space:  global
        .offset:         16
        .size:           8
        .value_kind:     global_buffer
      - .address_space:  global
        .offset:         24
        .size:           8
        .value_kind:     global_buffer
      - .offset:         32
        .size:           4
        .value_kind:     by_value
      - .offset:         36
        .size:           4
        .value_kind:     by_value
      - .offset:         40
        .size:           4
        .value_kind:     hidden_block_count_x
      - .offset:         44
        .size:           4
        .value_kind:     hidden_block_count_y
      - .offset:         48
        .size:           4
        .value_kind:     hidden_block_count_z
      - .offset:         52
        .size:           2
        .value_kind:     hidden_group_size_x
      - .offset:         54
        .size:           2
        .value_kind:     hidden_group_size_y
      - .offset:         56
        .size:           2
        .value_kind:     hidden_group_size_z
      - .offset:         58
        .size:           2
        .value_kind:     hidden_remainder_x
      - .offset:         60
        .size:           2
        .value_kind:     hidden_remainder_y
      - .offset:         62
        .size:           2
        .value_kind:     hidden_remainder_z
      - .offset:         80
        .size:           8
        .value_kind:     hidden_global_offset_x
      - .offset:         88
        .size:           8
        .value_kind:     hidden_global_offset_y
      - .offset:         96
        .size:           8
        .value_kind:     hidden_global_offset_z
      - .offset:         104
        .size:           2
        .value_kind:     hidden_grid_dims
    .group_segment_fixed_size: 0
    .kernarg_segment_align: 8
    .kernarg_segment_size: 296
    .language:       OpenCL C
    .language_version:
      - 2
      - 0
    .max_flat_workgroup_size: 1024
    .name:           _ZN2at6native12_GLOBAL__N_123sort_postprocess_kernelIbEEvPKT_PS3_PlPK15HIP_vector_typeIiLj2EEii
    .private_segment_fixed_size: 0
    .sgpr_count:     18
    .sgpr_spill_count: 0
    .symbol:         _ZN2at6native12_GLOBAL__N_123sort_postprocess_kernelIbEEvPKT_PS3_PlPK15HIP_vector_typeIiLj2EEii.kd
    .uniform_work_group_size: 1
    .uses_dynamic_stack: false
    .vgpr_count:     16
    .vgpr_spill_count: 0
    .wavefront_size: 32
    .workgroup_processor_mode: 1
  - .args:
      - .offset:         0
        .size:           176
        .value_kind:     by_value
    .group_segment_fixed_size: 0
    .kernarg_segment_align: 8
    .kernarg_segment_size: 176
    .language:       OpenCL C
    .language_version:
      - 2
      - 0
    .max_flat_workgroup_size: 256
    .name:           _ZN7rocprim17ROCPRIM_400000_NS6detail17trampoline_kernelINS0_13select_configILj256ELj13ELNS0_17block_load_methodE3ELS4_3ELS4_3ELNS0_20block_scan_algorithmE0ELj4294967295EEENS1_25partition_config_selectorILNS1_17partition_subalgoE4EjNS0_10empty_typeEbEEZZNS1_14partition_implILS8_4ELb0ES6_15HIP_vector_typeIjLj2EENS0_17counting_iteratorIjlEEPS9_SG_NS0_5tupleIJPjSI_NS0_16reverse_iteratorISI_EEEEENSH_IJSG_SG_SG_EEES9_SI_JZNS1_25segmented_radix_sort_implINS0_14default_configELb1EPKbPbPKlPlN2at6native12_GLOBAL__N_18offset_tEEE10hipError_tPvRmT1_PNSt15iterator_traitsIS12_E10value_typeET2_T3_PNS13_IS18_E10value_typeET4_jRbjT5_S1E_jjP12ihipStream_tbEUljE_ZNSN_ISO_Lb1ESQ_SR_ST_SU_SY_EESZ_S10_S11_S12_S16_S17_S18_S1B_S1C_jS1D_jS1E_S1E_jjS1G_bEUljE0_EEESZ_S10_S11_S18_S1C_S1E_T6_T7_T9_mT8_S1G_bDpT10_ENKUlT_T0_E_clISt17integral_constantIbLb0EES1U_EEDaS1P_S1Q_EUlS1P_E_NS1_11comp_targetILNS1_3genE0ELNS1_11target_archE4294967295ELNS1_3gpuE0ELNS1_3repE0EEENS1_30default_config_static_selectorELNS0_4arch9wavefront6targetE0EEEvS12_
    .private_segment_fixed_size: 0
    .sgpr_count:     0
    .sgpr_spill_count: 0
    .symbol:         _ZN7rocprim17ROCPRIM_400000_NS6detail17trampoline_kernelINS0_13select_configILj256ELj13ELNS0_17block_load_methodE3ELS4_3ELS4_3ELNS0_20block_scan_algorithmE0ELj4294967295EEENS1_25partition_config_selectorILNS1_17partition_subalgoE4EjNS0_10empty_typeEbEEZZNS1_14partition_implILS8_4ELb0ES6_15HIP_vector_typeIjLj2EENS0_17counting_iteratorIjlEEPS9_SG_NS0_5tupleIJPjSI_NS0_16reverse_iteratorISI_EEEEENSH_IJSG_SG_SG_EEES9_SI_JZNS1_25segmented_radix_sort_implINS0_14default_configELb1EPKbPbPKlPlN2at6native12_GLOBAL__N_18offset_tEEE10hipError_tPvRmT1_PNSt15iterator_traitsIS12_E10value_typeET2_T3_PNS13_IS18_E10value_typeET4_jRbjT5_S1E_jjP12ihipStream_tbEUljE_ZNSN_ISO_Lb1ESQ_SR_ST_SU_SY_EESZ_S10_S11_S12_S16_S17_S18_S1B_S1C_jS1D_jS1E_S1E_jjS1G_bEUljE0_EEESZ_S10_S11_S18_S1C_S1E_T6_T7_T9_mT8_S1G_bDpT10_ENKUlT_T0_E_clISt17integral_constantIbLb0EES1U_EEDaS1P_S1Q_EUlS1P_E_NS1_11comp_targetILNS1_3genE0ELNS1_11target_archE4294967295ELNS1_3gpuE0ELNS1_3repE0EEENS1_30default_config_static_selectorELNS0_4arch9wavefront6targetE0EEEvS12_.kd
    .uniform_work_group_size: 1
    .uses_dynamic_stack: false
    .vgpr_count:     0
    .vgpr_spill_count: 0
    .wavefront_size: 32
    .workgroup_processor_mode: 1
  - .args:
      - .offset:         0
        .size:           176
        .value_kind:     by_value
    .group_segment_fixed_size: 0
    .kernarg_segment_align: 8
    .kernarg_segment_size: 176
    .language:       OpenCL C
    .language_version:
      - 2
      - 0
    .max_flat_workgroup_size: 256
    .name:           _ZN7rocprim17ROCPRIM_400000_NS6detail17trampoline_kernelINS0_13select_configILj256ELj13ELNS0_17block_load_methodE3ELS4_3ELS4_3ELNS0_20block_scan_algorithmE0ELj4294967295EEENS1_25partition_config_selectorILNS1_17partition_subalgoE4EjNS0_10empty_typeEbEEZZNS1_14partition_implILS8_4ELb0ES6_15HIP_vector_typeIjLj2EENS0_17counting_iteratorIjlEEPS9_SG_NS0_5tupleIJPjSI_NS0_16reverse_iteratorISI_EEEEENSH_IJSG_SG_SG_EEES9_SI_JZNS1_25segmented_radix_sort_implINS0_14default_configELb1EPKbPbPKlPlN2at6native12_GLOBAL__N_18offset_tEEE10hipError_tPvRmT1_PNSt15iterator_traitsIS12_E10value_typeET2_T3_PNS13_IS18_E10value_typeET4_jRbjT5_S1E_jjP12ihipStream_tbEUljE_ZNSN_ISO_Lb1ESQ_SR_ST_SU_SY_EESZ_S10_S11_S12_S16_S17_S18_S1B_S1C_jS1D_jS1E_S1E_jjS1G_bEUljE0_EEESZ_S10_S11_S18_S1C_S1E_T6_T7_T9_mT8_S1G_bDpT10_ENKUlT_T0_E_clISt17integral_constantIbLb0EES1U_EEDaS1P_S1Q_EUlS1P_E_NS1_11comp_targetILNS1_3genE5ELNS1_11target_archE942ELNS1_3gpuE9ELNS1_3repE0EEENS1_30default_config_static_selectorELNS0_4arch9wavefront6targetE0EEEvS12_
    .private_segment_fixed_size: 0
    .sgpr_count:     0
    .sgpr_spill_count: 0
    .symbol:         _ZN7rocprim17ROCPRIM_400000_NS6detail17trampoline_kernelINS0_13select_configILj256ELj13ELNS0_17block_load_methodE3ELS4_3ELS4_3ELNS0_20block_scan_algorithmE0ELj4294967295EEENS1_25partition_config_selectorILNS1_17partition_subalgoE4EjNS0_10empty_typeEbEEZZNS1_14partition_implILS8_4ELb0ES6_15HIP_vector_typeIjLj2EENS0_17counting_iteratorIjlEEPS9_SG_NS0_5tupleIJPjSI_NS0_16reverse_iteratorISI_EEEEENSH_IJSG_SG_SG_EEES9_SI_JZNS1_25segmented_radix_sort_implINS0_14default_configELb1EPKbPbPKlPlN2at6native12_GLOBAL__N_18offset_tEEE10hipError_tPvRmT1_PNSt15iterator_traitsIS12_E10value_typeET2_T3_PNS13_IS18_E10value_typeET4_jRbjT5_S1E_jjP12ihipStream_tbEUljE_ZNSN_ISO_Lb1ESQ_SR_ST_SU_SY_EESZ_S10_S11_S12_S16_S17_S18_S1B_S1C_jS1D_jS1E_S1E_jjS1G_bEUljE0_EEESZ_S10_S11_S18_S1C_S1E_T6_T7_T9_mT8_S1G_bDpT10_ENKUlT_T0_E_clISt17integral_constantIbLb0EES1U_EEDaS1P_S1Q_EUlS1P_E_NS1_11comp_targetILNS1_3genE5ELNS1_11target_archE942ELNS1_3gpuE9ELNS1_3repE0EEENS1_30default_config_static_selectorELNS0_4arch9wavefront6targetE0EEEvS12_.kd
    .uniform_work_group_size: 1
    .uses_dynamic_stack: false
    .vgpr_count:     0
    .vgpr_spill_count: 0
    .wavefront_size: 32
    .workgroup_processor_mode: 1
  - .args:
      - .offset:         0
        .size:           176
        .value_kind:     by_value
    .group_segment_fixed_size: 0
    .kernarg_segment_align: 8
    .kernarg_segment_size: 176
    .language:       OpenCL C
    .language_version:
      - 2
      - 0
    .max_flat_workgroup_size: 256
    .name:           _ZN7rocprim17ROCPRIM_400000_NS6detail17trampoline_kernelINS0_13select_configILj256ELj13ELNS0_17block_load_methodE3ELS4_3ELS4_3ELNS0_20block_scan_algorithmE0ELj4294967295EEENS1_25partition_config_selectorILNS1_17partition_subalgoE4EjNS0_10empty_typeEbEEZZNS1_14partition_implILS8_4ELb0ES6_15HIP_vector_typeIjLj2EENS0_17counting_iteratorIjlEEPS9_SG_NS0_5tupleIJPjSI_NS0_16reverse_iteratorISI_EEEEENSH_IJSG_SG_SG_EEES9_SI_JZNS1_25segmented_radix_sort_implINS0_14default_configELb1EPKbPbPKlPlN2at6native12_GLOBAL__N_18offset_tEEE10hipError_tPvRmT1_PNSt15iterator_traitsIS12_E10value_typeET2_T3_PNS13_IS18_E10value_typeET4_jRbjT5_S1E_jjP12ihipStream_tbEUljE_ZNSN_ISO_Lb1ESQ_SR_ST_SU_SY_EESZ_S10_S11_S12_S16_S17_S18_S1B_S1C_jS1D_jS1E_S1E_jjS1G_bEUljE0_EEESZ_S10_S11_S18_S1C_S1E_T6_T7_T9_mT8_S1G_bDpT10_ENKUlT_T0_E_clISt17integral_constantIbLb0EES1U_EEDaS1P_S1Q_EUlS1P_E_NS1_11comp_targetILNS1_3genE4ELNS1_11target_archE910ELNS1_3gpuE8ELNS1_3repE0EEENS1_30default_config_static_selectorELNS0_4arch9wavefront6targetE0EEEvS12_
    .private_segment_fixed_size: 0
    .sgpr_count:     0
    .sgpr_spill_count: 0
    .symbol:         _ZN7rocprim17ROCPRIM_400000_NS6detail17trampoline_kernelINS0_13select_configILj256ELj13ELNS0_17block_load_methodE3ELS4_3ELS4_3ELNS0_20block_scan_algorithmE0ELj4294967295EEENS1_25partition_config_selectorILNS1_17partition_subalgoE4EjNS0_10empty_typeEbEEZZNS1_14partition_implILS8_4ELb0ES6_15HIP_vector_typeIjLj2EENS0_17counting_iteratorIjlEEPS9_SG_NS0_5tupleIJPjSI_NS0_16reverse_iteratorISI_EEEEENSH_IJSG_SG_SG_EEES9_SI_JZNS1_25segmented_radix_sort_implINS0_14default_configELb1EPKbPbPKlPlN2at6native12_GLOBAL__N_18offset_tEEE10hipError_tPvRmT1_PNSt15iterator_traitsIS12_E10value_typeET2_T3_PNS13_IS18_E10value_typeET4_jRbjT5_S1E_jjP12ihipStream_tbEUljE_ZNSN_ISO_Lb1ESQ_SR_ST_SU_SY_EESZ_S10_S11_S12_S16_S17_S18_S1B_S1C_jS1D_jS1E_S1E_jjS1G_bEUljE0_EEESZ_S10_S11_S18_S1C_S1E_T6_T7_T9_mT8_S1G_bDpT10_ENKUlT_T0_E_clISt17integral_constantIbLb0EES1U_EEDaS1P_S1Q_EUlS1P_E_NS1_11comp_targetILNS1_3genE4ELNS1_11target_archE910ELNS1_3gpuE8ELNS1_3repE0EEENS1_30default_config_static_selectorELNS0_4arch9wavefront6targetE0EEEvS12_.kd
    .uniform_work_group_size: 1
    .uses_dynamic_stack: false
    .vgpr_count:     0
    .vgpr_spill_count: 0
    .wavefront_size: 32
    .workgroup_processor_mode: 1
  - .args:
      - .offset:         0
        .size:           176
        .value_kind:     by_value
    .group_segment_fixed_size: 0
    .kernarg_segment_align: 8
    .kernarg_segment_size: 176
    .language:       OpenCL C
    .language_version:
      - 2
      - 0
    .max_flat_workgroup_size: 256
    .name:           _ZN7rocprim17ROCPRIM_400000_NS6detail17trampoline_kernelINS0_13select_configILj256ELj13ELNS0_17block_load_methodE3ELS4_3ELS4_3ELNS0_20block_scan_algorithmE0ELj4294967295EEENS1_25partition_config_selectorILNS1_17partition_subalgoE4EjNS0_10empty_typeEbEEZZNS1_14partition_implILS8_4ELb0ES6_15HIP_vector_typeIjLj2EENS0_17counting_iteratorIjlEEPS9_SG_NS0_5tupleIJPjSI_NS0_16reverse_iteratorISI_EEEEENSH_IJSG_SG_SG_EEES9_SI_JZNS1_25segmented_radix_sort_implINS0_14default_configELb1EPKbPbPKlPlN2at6native12_GLOBAL__N_18offset_tEEE10hipError_tPvRmT1_PNSt15iterator_traitsIS12_E10value_typeET2_T3_PNS13_IS18_E10value_typeET4_jRbjT5_S1E_jjP12ihipStream_tbEUljE_ZNSN_ISO_Lb1ESQ_SR_ST_SU_SY_EESZ_S10_S11_S12_S16_S17_S18_S1B_S1C_jS1D_jS1E_S1E_jjS1G_bEUljE0_EEESZ_S10_S11_S18_S1C_S1E_T6_T7_T9_mT8_S1G_bDpT10_ENKUlT_T0_E_clISt17integral_constantIbLb0EES1U_EEDaS1P_S1Q_EUlS1P_E_NS1_11comp_targetILNS1_3genE3ELNS1_11target_archE908ELNS1_3gpuE7ELNS1_3repE0EEENS1_30default_config_static_selectorELNS0_4arch9wavefront6targetE0EEEvS12_
    .private_segment_fixed_size: 0
    .sgpr_count:     0
    .sgpr_spill_count: 0
    .symbol:         _ZN7rocprim17ROCPRIM_400000_NS6detail17trampoline_kernelINS0_13select_configILj256ELj13ELNS0_17block_load_methodE3ELS4_3ELS4_3ELNS0_20block_scan_algorithmE0ELj4294967295EEENS1_25partition_config_selectorILNS1_17partition_subalgoE4EjNS0_10empty_typeEbEEZZNS1_14partition_implILS8_4ELb0ES6_15HIP_vector_typeIjLj2EENS0_17counting_iteratorIjlEEPS9_SG_NS0_5tupleIJPjSI_NS0_16reverse_iteratorISI_EEEEENSH_IJSG_SG_SG_EEES9_SI_JZNS1_25segmented_radix_sort_implINS0_14default_configELb1EPKbPbPKlPlN2at6native12_GLOBAL__N_18offset_tEEE10hipError_tPvRmT1_PNSt15iterator_traitsIS12_E10value_typeET2_T3_PNS13_IS18_E10value_typeET4_jRbjT5_S1E_jjP12ihipStream_tbEUljE_ZNSN_ISO_Lb1ESQ_SR_ST_SU_SY_EESZ_S10_S11_S12_S16_S17_S18_S1B_S1C_jS1D_jS1E_S1E_jjS1G_bEUljE0_EEESZ_S10_S11_S18_S1C_S1E_T6_T7_T9_mT8_S1G_bDpT10_ENKUlT_T0_E_clISt17integral_constantIbLb0EES1U_EEDaS1P_S1Q_EUlS1P_E_NS1_11comp_targetILNS1_3genE3ELNS1_11target_archE908ELNS1_3gpuE7ELNS1_3repE0EEENS1_30default_config_static_selectorELNS0_4arch9wavefront6targetE0EEEvS12_.kd
    .uniform_work_group_size: 1
    .uses_dynamic_stack: false
    .vgpr_count:     0
    .vgpr_spill_count: 0
    .wavefront_size: 32
    .workgroup_processor_mode: 1
  - .args:
      - .offset:         0
        .size:           176
        .value_kind:     by_value
    .group_segment_fixed_size: 0
    .kernarg_segment_align: 8
    .kernarg_segment_size: 176
    .language:       OpenCL C
    .language_version:
      - 2
      - 0
    .max_flat_workgroup_size: 256
    .name:           _ZN7rocprim17ROCPRIM_400000_NS6detail17trampoline_kernelINS0_13select_configILj256ELj13ELNS0_17block_load_methodE3ELS4_3ELS4_3ELNS0_20block_scan_algorithmE0ELj4294967295EEENS1_25partition_config_selectorILNS1_17partition_subalgoE4EjNS0_10empty_typeEbEEZZNS1_14partition_implILS8_4ELb0ES6_15HIP_vector_typeIjLj2EENS0_17counting_iteratorIjlEEPS9_SG_NS0_5tupleIJPjSI_NS0_16reverse_iteratorISI_EEEEENSH_IJSG_SG_SG_EEES9_SI_JZNS1_25segmented_radix_sort_implINS0_14default_configELb1EPKbPbPKlPlN2at6native12_GLOBAL__N_18offset_tEEE10hipError_tPvRmT1_PNSt15iterator_traitsIS12_E10value_typeET2_T3_PNS13_IS18_E10value_typeET4_jRbjT5_S1E_jjP12ihipStream_tbEUljE_ZNSN_ISO_Lb1ESQ_SR_ST_SU_SY_EESZ_S10_S11_S12_S16_S17_S18_S1B_S1C_jS1D_jS1E_S1E_jjS1G_bEUljE0_EEESZ_S10_S11_S18_S1C_S1E_T6_T7_T9_mT8_S1G_bDpT10_ENKUlT_T0_E_clISt17integral_constantIbLb0EES1U_EEDaS1P_S1Q_EUlS1P_E_NS1_11comp_targetILNS1_3genE2ELNS1_11target_archE906ELNS1_3gpuE6ELNS1_3repE0EEENS1_30default_config_static_selectorELNS0_4arch9wavefront6targetE0EEEvS12_
    .private_segment_fixed_size: 0
    .sgpr_count:     0
    .sgpr_spill_count: 0
    .symbol:         _ZN7rocprim17ROCPRIM_400000_NS6detail17trampoline_kernelINS0_13select_configILj256ELj13ELNS0_17block_load_methodE3ELS4_3ELS4_3ELNS0_20block_scan_algorithmE0ELj4294967295EEENS1_25partition_config_selectorILNS1_17partition_subalgoE4EjNS0_10empty_typeEbEEZZNS1_14partition_implILS8_4ELb0ES6_15HIP_vector_typeIjLj2EENS0_17counting_iteratorIjlEEPS9_SG_NS0_5tupleIJPjSI_NS0_16reverse_iteratorISI_EEEEENSH_IJSG_SG_SG_EEES9_SI_JZNS1_25segmented_radix_sort_implINS0_14default_configELb1EPKbPbPKlPlN2at6native12_GLOBAL__N_18offset_tEEE10hipError_tPvRmT1_PNSt15iterator_traitsIS12_E10value_typeET2_T3_PNS13_IS18_E10value_typeET4_jRbjT5_S1E_jjP12ihipStream_tbEUljE_ZNSN_ISO_Lb1ESQ_SR_ST_SU_SY_EESZ_S10_S11_S12_S16_S17_S18_S1B_S1C_jS1D_jS1E_S1E_jjS1G_bEUljE0_EEESZ_S10_S11_S18_S1C_S1E_T6_T7_T9_mT8_S1G_bDpT10_ENKUlT_T0_E_clISt17integral_constantIbLb0EES1U_EEDaS1P_S1Q_EUlS1P_E_NS1_11comp_targetILNS1_3genE2ELNS1_11target_archE906ELNS1_3gpuE6ELNS1_3repE0EEENS1_30default_config_static_selectorELNS0_4arch9wavefront6targetE0EEEvS12_.kd
    .uniform_work_group_size: 1
    .uses_dynamic_stack: false
    .vgpr_count:     0
    .vgpr_spill_count: 0
    .wavefront_size: 32
    .workgroup_processor_mode: 1
  - .args:
      - .offset:         0
        .size:           176
        .value_kind:     by_value
    .group_segment_fixed_size: 0
    .kernarg_segment_align: 8
    .kernarg_segment_size: 176
    .language:       OpenCL C
    .language_version:
      - 2
      - 0
    .max_flat_workgroup_size: 256
    .name:           _ZN7rocprim17ROCPRIM_400000_NS6detail17trampoline_kernelINS0_13select_configILj256ELj13ELNS0_17block_load_methodE3ELS4_3ELS4_3ELNS0_20block_scan_algorithmE0ELj4294967295EEENS1_25partition_config_selectorILNS1_17partition_subalgoE4EjNS0_10empty_typeEbEEZZNS1_14partition_implILS8_4ELb0ES6_15HIP_vector_typeIjLj2EENS0_17counting_iteratorIjlEEPS9_SG_NS0_5tupleIJPjSI_NS0_16reverse_iteratorISI_EEEEENSH_IJSG_SG_SG_EEES9_SI_JZNS1_25segmented_radix_sort_implINS0_14default_configELb1EPKbPbPKlPlN2at6native12_GLOBAL__N_18offset_tEEE10hipError_tPvRmT1_PNSt15iterator_traitsIS12_E10value_typeET2_T3_PNS13_IS18_E10value_typeET4_jRbjT5_S1E_jjP12ihipStream_tbEUljE_ZNSN_ISO_Lb1ESQ_SR_ST_SU_SY_EESZ_S10_S11_S12_S16_S17_S18_S1B_S1C_jS1D_jS1E_S1E_jjS1G_bEUljE0_EEESZ_S10_S11_S18_S1C_S1E_T6_T7_T9_mT8_S1G_bDpT10_ENKUlT_T0_E_clISt17integral_constantIbLb0EES1U_EEDaS1P_S1Q_EUlS1P_E_NS1_11comp_targetILNS1_3genE10ELNS1_11target_archE1200ELNS1_3gpuE4ELNS1_3repE0EEENS1_30default_config_static_selectorELNS0_4arch9wavefront6targetE0EEEvS12_
    .private_segment_fixed_size: 0
    .sgpr_count:     0
    .sgpr_spill_count: 0
    .symbol:         _ZN7rocprim17ROCPRIM_400000_NS6detail17trampoline_kernelINS0_13select_configILj256ELj13ELNS0_17block_load_methodE3ELS4_3ELS4_3ELNS0_20block_scan_algorithmE0ELj4294967295EEENS1_25partition_config_selectorILNS1_17partition_subalgoE4EjNS0_10empty_typeEbEEZZNS1_14partition_implILS8_4ELb0ES6_15HIP_vector_typeIjLj2EENS0_17counting_iteratorIjlEEPS9_SG_NS0_5tupleIJPjSI_NS0_16reverse_iteratorISI_EEEEENSH_IJSG_SG_SG_EEES9_SI_JZNS1_25segmented_radix_sort_implINS0_14default_configELb1EPKbPbPKlPlN2at6native12_GLOBAL__N_18offset_tEEE10hipError_tPvRmT1_PNSt15iterator_traitsIS12_E10value_typeET2_T3_PNS13_IS18_E10value_typeET4_jRbjT5_S1E_jjP12ihipStream_tbEUljE_ZNSN_ISO_Lb1ESQ_SR_ST_SU_SY_EESZ_S10_S11_S12_S16_S17_S18_S1B_S1C_jS1D_jS1E_S1E_jjS1G_bEUljE0_EEESZ_S10_S11_S18_S1C_S1E_T6_T7_T9_mT8_S1G_bDpT10_ENKUlT_T0_E_clISt17integral_constantIbLb0EES1U_EEDaS1P_S1Q_EUlS1P_E_NS1_11comp_targetILNS1_3genE10ELNS1_11target_archE1200ELNS1_3gpuE4ELNS1_3repE0EEENS1_30default_config_static_selectorELNS0_4arch9wavefront6targetE0EEEvS12_.kd
    .uniform_work_group_size: 1
    .uses_dynamic_stack: false
    .vgpr_count:     0
    .vgpr_spill_count: 0
    .wavefront_size: 32
    .workgroup_processor_mode: 1
  - .args:
      - .offset:         0
        .size:           176
        .value_kind:     by_value
    .group_segment_fixed_size: 0
    .kernarg_segment_align: 8
    .kernarg_segment_size: 176
    .language:       OpenCL C
    .language_version:
      - 2
      - 0
    .max_flat_workgroup_size: 256
    .name:           _ZN7rocprim17ROCPRIM_400000_NS6detail17trampoline_kernelINS0_13select_configILj256ELj13ELNS0_17block_load_methodE3ELS4_3ELS4_3ELNS0_20block_scan_algorithmE0ELj4294967295EEENS1_25partition_config_selectorILNS1_17partition_subalgoE4EjNS0_10empty_typeEbEEZZNS1_14partition_implILS8_4ELb0ES6_15HIP_vector_typeIjLj2EENS0_17counting_iteratorIjlEEPS9_SG_NS0_5tupleIJPjSI_NS0_16reverse_iteratorISI_EEEEENSH_IJSG_SG_SG_EEES9_SI_JZNS1_25segmented_radix_sort_implINS0_14default_configELb1EPKbPbPKlPlN2at6native12_GLOBAL__N_18offset_tEEE10hipError_tPvRmT1_PNSt15iterator_traitsIS12_E10value_typeET2_T3_PNS13_IS18_E10value_typeET4_jRbjT5_S1E_jjP12ihipStream_tbEUljE_ZNSN_ISO_Lb1ESQ_SR_ST_SU_SY_EESZ_S10_S11_S12_S16_S17_S18_S1B_S1C_jS1D_jS1E_S1E_jjS1G_bEUljE0_EEESZ_S10_S11_S18_S1C_S1E_T6_T7_T9_mT8_S1G_bDpT10_ENKUlT_T0_E_clISt17integral_constantIbLb0EES1U_EEDaS1P_S1Q_EUlS1P_E_NS1_11comp_targetILNS1_3genE9ELNS1_11target_archE1100ELNS1_3gpuE3ELNS1_3repE0EEENS1_30default_config_static_selectorELNS0_4arch9wavefront6targetE0EEEvS12_
    .private_segment_fixed_size: 0
    .sgpr_count:     0
    .sgpr_spill_count: 0
    .symbol:         _ZN7rocprim17ROCPRIM_400000_NS6detail17trampoline_kernelINS0_13select_configILj256ELj13ELNS0_17block_load_methodE3ELS4_3ELS4_3ELNS0_20block_scan_algorithmE0ELj4294967295EEENS1_25partition_config_selectorILNS1_17partition_subalgoE4EjNS0_10empty_typeEbEEZZNS1_14partition_implILS8_4ELb0ES6_15HIP_vector_typeIjLj2EENS0_17counting_iteratorIjlEEPS9_SG_NS0_5tupleIJPjSI_NS0_16reverse_iteratorISI_EEEEENSH_IJSG_SG_SG_EEES9_SI_JZNS1_25segmented_radix_sort_implINS0_14default_configELb1EPKbPbPKlPlN2at6native12_GLOBAL__N_18offset_tEEE10hipError_tPvRmT1_PNSt15iterator_traitsIS12_E10value_typeET2_T3_PNS13_IS18_E10value_typeET4_jRbjT5_S1E_jjP12ihipStream_tbEUljE_ZNSN_ISO_Lb1ESQ_SR_ST_SU_SY_EESZ_S10_S11_S12_S16_S17_S18_S1B_S1C_jS1D_jS1E_S1E_jjS1G_bEUljE0_EEESZ_S10_S11_S18_S1C_S1E_T6_T7_T9_mT8_S1G_bDpT10_ENKUlT_T0_E_clISt17integral_constantIbLb0EES1U_EEDaS1P_S1Q_EUlS1P_E_NS1_11comp_targetILNS1_3genE9ELNS1_11target_archE1100ELNS1_3gpuE3ELNS1_3repE0EEENS1_30default_config_static_selectorELNS0_4arch9wavefront6targetE0EEEvS12_.kd
    .uniform_work_group_size: 1
    .uses_dynamic_stack: false
    .vgpr_count:     0
    .vgpr_spill_count: 0
    .wavefront_size: 32
    .workgroup_processor_mode: 1
  - .args:
      - .offset:         0
        .size:           176
        .value_kind:     by_value
    .group_segment_fixed_size: 13328
    .kernarg_segment_align: 8
    .kernarg_segment_size: 176
    .language:       OpenCL C
    .language_version:
      - 2
      - 0
    .max_flat_workgroup_size: 256
    .name:           _ZN7rocprim17ROCPRIM_400000_NS6detail17trampoline_kernelINS0_13select_configILj256ELj13ELNS0_17block_load_methodE3ELS4_3ELS4_3ELNS0_20block_scan_algorithmE0ELj4294967295EEENS1_25partition_config_selectorILNS1_17partition_subalgoE4EjNS0_10empty_typeEbEEZZNS1_14partition_implILS8_4ELb0ES6_15HIP_vector_typeIjLj2EENS0_17counting_iteratorIjlEEPS9_SG_NS0_5tupleIJPjSI_NS0_16reverse_iteratorISI_EEEEENSH_IJSG_SG_SG_EEES9_SI_JZNS1_25segmented_radix_sort_implINS0_14default_configELb1EPKbPbPKlPlN2at6native12_GLOBAL__N_18offset_tEEE10hipError_tPvRmT1_PNSt15iterator_traitsIS12_E10value_typeET2_T3_PNS13_IS18_E10value_typeET4_jRbjT5_S1E_jjP12ihipStream_tbEUljE_ZNSN_ISO_Lb1ESQ_SR_ST_SU_SY_EESZ_S10_S11_S12_S16_S17_S18_S1B_S1C_jS1D_jS1E_S1E_jjS1G_bEUljE0_EEESZ_S10_S11_S18_S1C_S1E_T6_T7_T9_mT8_S1G_bDpT10_ENKUlT_T0_E_clISt17integral_constantIbLb0EES1U_EEDaS1P_S1Q_EUlS1P_E_NS1_11comp_targetILNS1_3genE8ELNS1_11target_archE1030ELNS1_3gpuE2ELNS1_3repE0EEENS1_30default_config_static_selectorELNS0_4arch9wavefront6targetE0EEEvS12_
    .private_segment_fixed_size: 0
    .sgpr_count:     61
    .sgpr_spill_count: 0
    .symbol:         _ZN7rocprim17ROCPRIM_400000_NS6detail17trampoline_kernelINS0_13select_configILj256ELj13ELNS0_17block_load_methodE3ELS4_3ELS4_3ELNS0_20block_scan_algorithmE0ELj4294967295EEENS1_25partition_config_selectorILNS1_17partition_subalgoE4EjNS0_10empty_typeEbEEZZNS1_14partition_implILS8_4ELb0ES6_15HIP_vector_typeIjLj2EENS0_17counting_iteratorIjlEEPS9_SG_NS0_5tupleIJPjSI_NS0_16reverse_iteratorISI_EEEEENSH_IJSG_SG_SG_EEES9_SI_JZNS1_25segmented_radix_sort_implINS0_14default_configELb1EPKbPbPKlPlN2at6native12_GLOBAL__N_18offset_tEEE10hipError_tPvRmT1_PNSt15iterator_traitsIS12_E10value_typeET2_T3_PNS13_IS18_E10value_typeET4_jRbjT5_S1E_jjP12ihipStream_tbEUljE_ZNSN_ISO_Lb1ESQ_SR_ST_SU_SY_EESZ_S10_S11_S12_S16_S17_S18_S1B_S1C_jS1D_jS1E_S1E_jjS1G_bEUljE0_EEESZ_S10_S11_S18_S1C_S1E_T6_T7_T9_mT8_S1G_bDpT10_ENKUlT_T0_E_clISt17integral_constantIbLb0EES1U_EEDaS1P_S1Q_EUlS1P_E_NS1_11comp_targetILNS1_3genE8ELNS1_11target_archE1030ELNS1_3gpuE2ELNS1_3repE0EEENS1_30default_config_static_selectorELNS0_4arch9wavefront6targetE0EEEvS12_.kd
    .uniform_work_group_size: 1
    .uses_dynamic_stack: false
    .vgpr_count:     82
    .vgpr_spill_count: 0
    .wavefront_size: 32
    .workgroup_processor_mode: 1
  - .args:
      - .offset:         0
        .size:           184
        .value_kind:     by_value
    .group_segment_fixed_size: 0
    .kernarg_segment_align: 8
    .kernarg_segment_size: 184
    .language:       OpenCL C
    .language_version:
      - 2
      - 0
    .max_flat_workgroup_size: 256
    .name:           _ZN7rocprim17ROCPRIM_400000_NS6detail17trampoline_kernelINS0_13select_configILj256ELj13ELNS0_17block_load_methodE3ELS4_3ELS4_3ELNS0_20block_scan_algorithmE0ELj4294967295EEENS1_25partition_config_selectorILNS1_17partition_subalgoE4EjNS0_10empty_typeEbEEZZNS1_14partition_implILS8_4ELb0ES6_15HIP_vector_typeIjLj2EENS0_17counting_iteratorIjlEEPS9_SG_NS0_5tupleIJPjSI_NS0_16reverse_iteratorISI_EEEEENSH_IJSG_SG_SG_EEES9_SI_JZNS1_25segmented_radix_sort_implINS0_14default_configELb1EPKbPbPKlPlN2at6native12_GLOBAL__N_18offset_tEEE10hipError_tPvRmT1_PNSt15iterator_traitsIS12_E10value_typeET2_T3_PNS13_IS18_E10value_typeET4_jRbjT5_S1E_jjP12ihipStream_tbEUljE_ZNSN_ISO_Lb1ESQ_SR_ST_SU_SY_EESZ_S10_S11_S12_S16_S17_S18_S1B_S1C_jS1D_jS1E_S1E_jjS1G_bEUljE0_EEESZ_S10_S11_S18_S1C_S1E_T6_T7_T9_mT8_S1G_bDpT10_ENKUlT_T0_E_clISt17integral_constantIbLb1EES1U_EEDaS1P_S1Q_EUlS1P_E_NS1_11comp_targetILNS1_3genE0ELNS1_11target_archE4294967295ELNS1_3gpuE0ELNS1_3repE0EEENS1_30default_config_static_selectorELNS0_4arch9wavefront6targetE0EEEvS12_
    .private_segment_fixed_size: 0
    .sgpr_count:     0
    .sgpr_spill_count: 0
    .symbol:         _ZN7rocprim17ROCPRIM_400000_NS6detail17trampoline_kernelINS0_13select_configILj256ELj13ELNS0_17block_load_methodE3ELS4_3ELS4_3ELNS0_20block_scan_algorithmE0ELj4294967295EEENS1_25partition_config_selectorILNS1_17partition_subalgoE4EjNS0_10empty_typeEbEEZZNS1_14partition_implILS8_4ELb0ES6_15HIP_vector_typeIjLj2EENS0_17counting_iteratorIjlEEPS9_SG_NS0_5tupleIJPjSI_NS0_16reverse_iteratorISI_EEEEENSH_IJSG_SG_SG_EEES9_SI_JZNS1_25segmented_radix_sort_implINS0_14default_configELb1EPKbPbPKlPlN2at6native12_GLOBAL__N_18offset_tEEE10hipError_tPvRmT1_PNSt15iterator_traitsIS12_E10value_typeET2_T3_PNS13_IS18_E10value_typeET4_jRbjT5_S1E_jjP12ihipStream_tbEUljE_ZNSN_ISO_Lb1ESQ_SR_ST_SU_SY_EESZ_S10_S11_S12_S16_S17_S18_S1B_S1C_jS1D_jS1E_S1E_jjS1G_bEUljE0_EEESZ_S10_S11_S18_S1C_S1E_T6_T7_T9_mT8_S1G_bDpT10_ENKUlT_T0_E_clISt17integral_constantIbLb1EES1U_EEDaS1P_S1Q_EUlS1P_E_NS1_11comp_targetILNS1_3genE0ELNS1_11target_archE4294967295ELNS1_3gpuE0ELNS1_3repE0EEENS1_30default_config_static_selectorELNS0_4arch9wavefront6targetE0EEEvS12_.kd
    .uniform_work_group_size: 1
    .uses_dynamic_stack: false
    .vgpr_count:     0
    .vgpr_spill_count: 0
    .wavefront_size: 32
    .workgroup_processor_mode: 1
  - .args:
      - .offset:         0
        .size:           184
        .value_kind:     by_value
    .group_segment_fixed_size: 0
    .kernarg_segment_align: 8
    .kernarg_segment_size: 184
    .language:       OpenCL C
    .language_version:
      - 2
      - 0
    .max_flat_workgroup_size: 256
    .name:           _ZN7rocprim17ROCPRIM_400000_NS6detail17trampoline_kernelINS0_13select_configILj256ELj13ELNS0_17block_load_methodE3ELS4_3ELS4_3ELNS0_20block_scan_algorithmE0ELj4294967295EEENS1_25partition_config_selectorILNS1_17partition_subalgoE4EjNS0_10empty_typeEbEEZZNS1_14partition_implILS8_4ELb0ES6_15HIP_vector_typeIjLj2EENS0_17counting_iteratorIjlEEPS9_SG_NS0_5tupleIJPjSI_NS0_16reverse_iteratorISI_EEEEENSH_IJSG_SG_SG_EEES9_SI_JZNS1_25segmented_radix_sort_implINS0_14default_configELb1EPKbPbPKlPlN2at6native12_GLOBAL__N_18offset_tEEE10hipError_tPvRmT1_PNSt15iterator_traitsIS12_E10value_typeET2_T3_PNS13_IS18_E10value_typeET4_jRbjT5_S1E_jjP12ihipStream_tbEUljE_ZNSN_ISO_Lb1ESQ_SR_ST_SU_SY_EESZ_S10_S11_S12_S16_S17_S18_S1B_S1C_jS1D_jS1E_S1E_jjS1G_bEUljE0_EEESZ_S10_S11_S18_S1C_S1E_T6_T7_T9_mT8_S1G_bDpT10_ENKUlT_T0_E_clISt17integral_constantIbLb1EES1U_EEDaS1P_S1Q_EUlS1P_E_NS1_11comp_targetILNS1_3genE5ELNS1_11target_archE942ELNS1_3gpuE9ELNS1_3repE0EEENS1_30default_config_static_selectorELNS0_4arch9wavefront6targetE0EEEvS12_
    .private_segment_fixed_size: 0
    .sgpr_count:     0
    .sgpr_spill_count: 0
    .symbol:         _ZN7rocprim17ROCPRIM_400000_NS6detail17trampoline_kernelINS0_13select_configILj256ELj13ELNS0_17block_load_methodE3ELS4_3ELS4_3ELNS0_20block_scan_algorithmE0ELj4294967295EEENS1_25partition_config_selectorILNS1_17partition_subalgoE4EjNS0_10empty_typeEbEEZZNS1_14partition_implILS8_4ELb0ES6_15HIP_vector_typeIjLj2EENS0_17counting_iteratorIjlEEPS9_SG_NS0_5tupleIJPjSI_NS0_16reverse_iteratorISI_EEEEENSH_IJSG_SG_SG_EEES9_SI_JZNS1_25segmented_radix_sort_implINS0_14default_configELb1EPKbPbPKlPlN2at6native12_GLOBAL__N_18offset_tEEE10hipError_tPvRmT1_PNSt15iterator_traitsIS12_E10value_typeET2_T3_PNS13_IS18_E10value_typeET4_jRbjT5_S1E_jjP12ihipStream_tbEUljE_ZNSN_ISO_Lb1ESQ_SR_ST_SU_SY_EESZ_S10_S11_S12_S16_S17_S18_S1B_S1C_jS1D_jS1E_S1E_jjS1G_bEUljE0_EEESZ_S10_S11_S18_S1C_S1E_T6_T7_T9_mT8_S1G_bDpT10_ENKUlT_T0_E_clISt17integral_constantIbLb1EES1U_EEDaS1P_S1Q_EUlS1P_E_NS1_11comp_targetILNS1_3genE5ELNS1_11target_archE942ELNS1_3gpuE9ELNS1_3repE0EEENS1_30default_config_static_selectorELNS0_4arch9wavefront6targetE0EEEvS12_.kd
    .uniform_work_group_size: 1
    .uses_dynamic_stack: false
    .vgpr_count:     0
    .vgpr_spill_count: 0
    .wavefront_size: 32
    .workgroup_processor_mode: 1
  - .args:
      - .offset:         0
        .size:           184
        .value_kind:     by_value
    .group_segment_fixed_size: 0
    .kernarg_segment_align: 8
    .kernarg_segment_size: 184
    .language:       OpenCL C
    .language_version:
      - 2
      - 0
    .max_flat_workgroup_size: 256
    .name:           _ZN7rocprim17ROCPRIM_400000_NS6detail17trampoline_kernelINS0_13select_configILj256ELj13ELNS0_17block_load_methodE3ELS4_3ELS4_3ELNS0_20block_scan_algorithmE0ELj4294967295EEENS1_25partition_config_selectorILNS1_17partition_subalgoE4EjNS0_10empty_typeEbEEZZNS1_14partition_implILS8_4ELb0ES6_15HIP_vector_typeIjLj2EENS0_17counting_iteratorIjlEEPS9_SG_NS0_5tupleIJPjSI_NS0_16reverse_iteratorISI_EEEEENSH_IJSG_SG_SG_EEES9_SI_JZNS1_25segmented_radix_sort_implINS0_14default_configELb1EPKbPbPKlPlN2at6native12_GLOBAL__N_18offset_tEEE10hipError_tPvRmT1_PNSt15iterator_traitsIS12_E10value_typeET2_T3_PNS13_IS18_E10value_typeET4_jRbjT5_S1E_jjP12ihipStream_tbEUljE_ZNSN_ISO_Lb1ESQ_SR_ST_SU_SY_EESZ_S10_S11_S12_S16_S17_S18_S1B_S1C_jS1D_jS1E_S1E_jjS1G_bEUljE0_EEESZ_S10_S11_S18_S1C_S1E_T6_T7_T9_mT8_S1G_bDpT10_ENKUlT_T0_E_clISt17integral_constantIbLb1EES1U_EEDaS1P_S1Q_EUlS1P_E_NS1_11comp_targetILNS1_3genE4ELNS1_11target_archE910ELNS1_3gpuE8ELNS1_3repE0EEENS1_30default_config_static_selectorELNS0_4arch9wavefront6targetE0EEEvS12_
    .private_segment_fixed_size: 0
    .sgpr_count:     0
    .sgpr_spill_count: 0
    .symbol:         _ZN7rocprim17ROCPRIM_400000_NS6detail17trampoline_kernelINS0_13select_configILj256ELj13ELNS0_17block_load_methodE3ELS4_3ELS4_3ELNS0_20block_scan_algorithmE0ELj4294967295EEENS1_25partition_config_selectorILNS1_17partition_subalgoE4EjNS0_10empty_typeEbEEZZNS1_14partition_implILS8_4ELb0ES6_15HIP_vector_typeIjLj2EENS0_17counting_iteratorIjlEEPS9_SG_NS0_5tupleIJPjSI_NS0_16reverse_iteratorISI_EEEEENSH_IJSG_SG_SG_EEES9_SI_JZNS1_25segmented_radix_sort_implINS0_14default_configELb1EPKbPbPKlPlN2at6native12_GLOBAL__N_18offset_tEEE10hipError_tPvRmT1_PNSt15iterator_traitsIS12_E10value_typeET2_T3_PNS13_IS18_E10value_typeET4_jRbjT5_S1E_jjP12ihipStream_tbEUljE_ZNSN_ISO_Lb1ESQ_SR_ST_SU_SY_EESZ_S10_S11_S12_S16_S17_S18_S1B_S1C_jS1D_jS1E_S1E_jjS1G_bEUljE0_EEESZ_S10_S11_S18_S1C_S1E_T6_T7_T9_mT8_S1G_bDpT10_ENKUlT_T0_E_clISt17integral_constantIbLb1EES1U_EEDaS1P_S1Q_EUlS1P_E_NS1_11comp_targetILNS1_3genE4ELNS1_11target_archE910ELNS1_3gpuE8ELNS1_3repE0EEENS1_30default_config_static_selectorELNS0_4arch9wavefront6targetE0EEEvS12_.kd
    .uniform_work_group_size: 1
    .uses_dynamic_stack: false
    .vgpr_count:     0
    .vgpr_spill_count: 0
    .wavefront_size: 32
    .workgroup_processor_mode: 1
  - .args:
      - .offset:         0
        .size:           184
        .value_kind:     by_value
    .group_segment_fixed_size: 0
    .kernarg_segment_align: 8
    .kernarg_segment_size: 184
    .language:       OpenCL C
    .language_version:
      - 2
      - 0
    .max_flat_workgroup_size: 256
    .name:           _ZN7rocprim17ROCPRIM_400000_NS6detail17trampoline_kernelINS0_13select_configILj256ELj13ELNS0_17block_load_methodE3ELS4_3ELS4_3ELNS0_20block_scan_algorithmE0ELj4294967295EEENS1_25partition_config_selectorILNS1_17partition_subalgoE4EjNS0_10empty_typeEbEEZZNS1_14partition_implILS8_4ELb0ES6_15HIP_vector_typeIjLj2EENS0_17counting_iteratorIjlEEPS9_SG_NS0_5tupleIJPjSI_NS0_16reverse_iteratorISI_EEEEENSH_IJSG_SG_SG_EEES9_SI_JZNS1_25segmented_radix_sort_implINS0_14default_configELb1EPKbPbPKlPlN2at6native12_GLOBAL__N_18offset_tEEE10hipError_tPvRmT1_PNSt15iterator_traitsIS12_E10value_typeET2_T3_PNS13_IS18_E10value_typeET4_jRbjT5_S1E_jjP12ihipStream_tbEUljE_ZNSN_ISO_Lb1ESQ_SR_ST_SU_SY_EESZ_S10_S11_S12_S16_S17_S18_S1B_S1C_jS1D_jS1E_S1E_jjS1G_bEUljE0_EEESZ_S10_S11_S18_S1C_S1E_T6_T7_T9_mT8_S1G_bDpT10_ENKUlT_T0_E_clISt17integral_constantIbLb1EES1U_EEDaS1P_S1Q_EUlS1P_E_NS1_11comp_targetILNS1_3genE3ELNS1_11target_archE908ELNS1_3gpuE7ELNS1_3repE0EEENS1_30default_config_static_selectorELNS0_4arch9wavefront6targetE0EEEvS12_
    .private_segment_fixed_size: 0
    .sgpr_count:     0
    .sgpr_spill_count: 0
    .symbol:         _ZN7rocprim17ROCPRIM_400000_NS6detail17trampoline_kernelINS0_13select_configILj256ELj13ELNS0_17block_load_methodE3ELS4_3ELS4_3ELNS0_20block_scan_algorithmE0ELj4294967295EEENS1_25partition_config_selectorILNS1_17partition_subalgoE4EjNS0_10empty_typeEbEEZZNS1_14partition_implILS8_4ELb0ES6_15HIP_vector_typeIjLj2EENS0_17counting_iteratorIjlEEPS9_SG_NS0_5tupleIJPjSI_NS0_16reverse_iteratorISI_EEEEENSH_IJSG_SG_SG_EEES9_SI_JZNS1_25segmented_radix_sort_implINS0_14default_configELb1EPKbPbPKlPlN2at6native12_GLOBAL__N_18offset_tEEE10hipError_tPvRmT1_PNSt15iterator_traitsIS12_E10value_typeET2_T3_PNS13_IS18_E10value_typeET4_jRbjT5_S1E_jjP12ihipStream_tbEUljE_ZNSN_ISO_Lb1ESQ_SR_ST_SU_SY_EESZ_S10_S11_S12_S16_S17_S18_S1B_S1C_jS1D_jS1E_S1E_jjS1G_bEUljE0_EEESZ_S10_S11_S18_S1C_S1E_T6_T7_T9_mT8_S1G_bDpT10_ENKUlT_T0_E_clISt17integral_constantIbLb1EES1U_EEDaS1P_S1Q_EUlS1P_E_NS1_11comp_targetILNS1_3genE3ELNS1_11target_archE908ELNS1_3gpuE7ELNS1_3repE0EEENS1_30default_config_static_selectorELNS0_4arch9wavefront6targetE0EEEvS12_.kd
    .uniform_work_group_size: 1
    .uses_dynamic_stack: false
    .vgpr_count:     0
    .vgpr_spill_count: 0
    .wavefront_size: 32
    .workgroup_processor_mode: 1
  - .args:
      - .offset:         0
        .size:           184
        .value_kind:     by_value
    .group_segment_fixed_size: 0
    .kernarg_segment_align: 8
    .kernarg_segment_size: 184
    .language:       OpenCL C
    .language_version:
      - 2
      - 0
    .max_flat_workgroup_size: 256
    .name:           _ZN7rocprim17ROCPRIM_400000_NS6detail17trampoline_kernelINS0_13select_configILj256ELj13ELNS0_17block_load_methodE3ELS4_3ELS4_3ELNS0_20block_scan_algorithmE0ELj4294967295EEENS1_25partition_config_selectorILNS1_17partition_subalgoE4EjNS0_10empty_typeEbEEZZNS1_14partition_implILS8_4ELb0ES6_15HIP_vector_typeIjLj2EENS0_17counting_iteratorIjlEEPS9_SG_NS0_5tupleIJPjSI_NS0_16reverse_iteratorISI_EEEEENSH_IJSG_SG_SG_EEES9_SI_JZNS1_25segmented_radix_sort_implINS0_14default_configELb1EPKbPbPKlPlN2at6native12_GLOBAL__N_18offset_tEEE10hipError_tPvRmT1_PNSt15iterator_traitsIS12_E10value_typeET2_T3_PNS13_IS18_E10value_typeET4_jRbjT5_S1E_jjP12ihipStream_tbEUljE_ZNSN_ISO_Lb1ESQ_SR_ST_SU_SY_EESZ_S10_S11_S12_S16_S17_S18_S1B_S1C_jS1D_jS1E_S1E_jjS1G_bEUljE0_EEESZ_S10_S11_S18_S1C_S1E_T6_T7_T9_mT8_S1G_bDpT10_ENKUlT_T0_E_clISt17integral_constantIbLb1EES1U_EEDaS1P_S1Q_EUlS1P_E_NS1_11comp_targetILNS1_3genE2ELNS1_11target_archE906ELNS1_3gpuE6ELNS1_3repE0EEENS1_30default_config_static_selectorELNS0_4arch9wavefront6targetE0EEEvS12_
    .private_segment_fixed_size: 0
    .sgpr_count:     0
    .sgpr_spill_count: 0
    .symbol:         _ZN7rocprim17ROCPRIM_400000_NS6detail17trampoline_kernelINS0_13select_configILj256ELj13ELNS0_17block_load_methodE3ELS4_3ELS4_3ELNS0_20block_scan_algorithmE0ELj4294967295EEENS1_25partition_config_selectorILNS1_17partition_subalgoE4EjNS0_10empty_typeEbEEZZNS1_14partition_implILS8_4ELb0ES6_15HIP_vector_typeIjLj2EENS0_17counting_iteratorIjlEEPS9_SG_NS0_5tupleIJPjSI_NS0_16reverse_iteratorISI_EEEEENSH_IJSG_SG_SG_EEES9_SI_JZNS1_25segmented_radix_sort_implINS0_14default_configELb1EPKbPbPKlPlN2at6native12_GLOBAL__N_18offset_tEEE10hipError_tPvRmT1_PNSt15iterator_traitsIS12_E10value_typeET2_T3_PNS13_IS18_E10value_typeET4_jRbjT5_S1E_jjP12ihipStream_tbEUljE_ZNSN_ISO_Lb1ESQ_SR_ST_SU_SY_EESZ_S10_S11_S12_S16_S17_S18_S1B_S1C_jS1D_jS1E_S1E_jjS1G_bEUljE0_EEESZ_S10_S11_S18_S1C_S1E_T6_T7_T9_mT8_S1G_bDpT10_ENKUlT_T0_E_clISt17integral_constantIbLb1EES1U_EEDaS1P_S1Q_EUlS1P_E_NS1_11comp_targetILNS1_3genE2ELNS1_11target_archE906ELNS1_3gpuE6ELNS1_3repE0EEENS1_30default_config_static_selectorELNS0_4arch9wavefront6targetE0EEEvS12_.kd
    .uniform_work_group_size: 1
    .uses_dynamic_stack: false
    .vgpr_count:     0
    .vgpr_spill_count: 0
    .wavefront_size: 32
    .workgroup_processor_mode: 1
  - .args:
      - .offset:         0
        .size:           184
        .value_kind:     by_value
    .group_segment_fixed_size: 0
    .kernarg_segment_align: 8
    .kernarg_segment_size: 184
    .language:       OpenCL C
    .language_version:
      - 2
      - 0
    .max_flat_workgroup_size: 256
    .name:           _ZN7rocprim17ROCPRIM_400000_NS6detail17trampoline_kernelINS0_13select_configILj256ELj13ELNS0_17block_load_methodE3ELS4_3ELS4_3ELNS0_20block_scan_algorithmE0ELj4294967295EEENS1_25partition_config_selectorILNS1_17partition_subalgoE4EjNS0_10empty_typeEbEEZZNS1_14partition_implILS8_4ELb0ES6_15HIP_vector_typeIjLj2EENS0_17counting_iteratorIjlEEPS9_SG_NS0_5tupleIJPjSI_NS0_16reverse_iteratorISI_EEEEENSH_IJSG_SG_SG_EEES9_SI_JZNS1_25segmented_radix_sort_implINS0_14default_configELb1EPKbPbPKlPlN2at6native12_GLOBAL__N_18offset_tEEE10hipError_tPvRmT1_PNSt15iterator_traitsIS12_E10value_typeET2_T3_PNS13_IS18_E10value_typeET4_jRbjT5_S1E_jjP12ihipStream_tbEUljE_ZNSN_ISO_Lb1ESQ_SR_ST_SU_SY_EESZ_S10_S11_S12_S16_S17_S18_S1B_S1C_jS1D_jS1E_S1E_jjS1G_bEUljE0_EEESZ_S10_S11_S18_S1C_S1E_T6_T7_T9_mT8_S1G_bDpT10_ENKUlT_T0_E_clISt17integral_constantIbLb1EES1U_EEDaS1P_S1Q_EUlS1P_E_NS1_11comp_targetILNS1_3genE10ELNS1_11target_archE1200ELNS1_3gpuE4ELNS1_3repE0EEENS1_30default_config_static_selectorELNS0_4arch9wavefront6targetE0EEEvS12_
    .private_segment_fixed_size: 0
    .sgpr_count:     0
    .sgpr_spill_count: 0
    .symbol:         _ZN7rocprim17ROCPRIM_400000_NS6detail17trampoline_kernelINS0_13select_configILj256ELj13ELNS0_17block_load_methodE3ELS4_3ELS4_3ELNS0_20block_scan_algorithmE0ELj4294967295EEENS1_25partition_config_selectorILNS1_17partition_subalgoE4EjNS0_10empty_typeEbEEZZNS1_14partition_implILS8_4ELb0ES6_15HIP_vector_typeIjLj2EENS0_17counting_iteratorIjlEEPS9_SG_NS0_5tupleIJPjSI_NS0_16reverse_iteratorISI_EEEEENSH_IJSG_SG_SG_EEES9_SI_JZNS1_25segmented_radix_sort_implINS0_14default_configELb1EPKbPbPKlPlN2at6native12_GLOBAL__N_18offset_tEEE10hipError_tPvRmT1_PNSt15iterator_traitsIS12_E10value_typeET2_T3_PNS13_IS18_E10value_typeET4_jRbjT5_S1E_jjP12ihipStream_tbEUljE_ZNSN_ISO_Lb1ESQ_SR_ST_SU_SY_EESZ_S10_S11_S12_S16_S17_S18_S1B_S1C_jS1D_jS1E_S1E_jjS1G_bEUljE0_EEESZ_S10_S11_S18_S1C_S1E_T6_T7_T9_mT8_S1G_bDpT10_ENKUlT_T0_E_clISt17integral_constantIbLb1EES1U_EEDaS1P_S1Q_EUlS1P_E_NS1_11comp_targetILNS1_3genE10ELNS1_11target_archE1200ELNS1_3gpuE4ELNS1_3repE0EEENS1_30default_config_static_selectorELNS0_4arch9wavefront6targetE0EEEvS12_.kd
    .uniform_work_group_size: 1
    .uses_dynamic_stack: false
    .vgpr_count:     0
    .vgpr_spill_count: 0
    .wavefront_size: 32
    .workgroup_processor_mode: 1
  - .args:
      - .offset:         0
        .size:           184
        .value_kind:     by_value
    .group_segment_fixed_size: 0
    .kernarg_segment_align: 8
    .kernarg_segment_size: 184
    .language:       OpenCL C
    .language_version:
      - 2
      - 0
    .max_flat_workgroup_size: 256
    .name:           _ZN7rocprim17ROCPRIM_400000_NS6detail17trampoline_kernelINS0_13select_configILj256ELj13ELNS0_17block_load_methodE3ELS4_3ELS4_3ELNS0_20block_scan_algorithmE0ELj4294967295EEENS1_25partition_config_selectorILNS1_17partition_subalgoE4EjNS0_10empty_typeEbEEZZNS1_14partition_implILS8_4ELb0ES6_15HIP_vector_typeIjLj2EENS0_17counting_iteratorIjlEEPS9_SG_NS0_5tupleIJPjSI_NS0_16reverse_iteratorISI_EEEEENSH_IJSG_SG_SG_EEES9_SI_JZNS1_25segmented_radix_sort_implINS0_14default_configELb1EPKbPbPKlPlN2at6native12_GLOBAL__N_18offset_tEEE10hipError_tPvRmT1_PNSt15iterator_traitsIS12_E10value_typeET2_T3_PNS13_IS18_E10value_typeET4_jRbjT5_S1E_jjP12ihipStream_tbEUljE_ZNSN_ISO_Lb1ESQ_SR_ST_SU_SY_EESZ_S10_S11_S12_S16_S17_S18_S1B_S1C_jS1D_jS1E_S1E_jjS1G_bEUljE0_EEESZ_S10_S11_S18_S1C_S1E_T6_T7_T9_mT8_S1G_bDpT10_ENKUlT_T0_E_clISt17integral_constantIbLb1EES1U_EEDaS1P_S1Q_EUlS1P_E_NS1_11comp_targetILNS1_3genE9ELNS1_11target_archE1100ELNS1_3gpuE3ELNS1_3repE0EEENS1_30default_config_static_selectorELNS0_4arch9wavefront6targetE0EEEvS12_
    .private_segment_fixed_size: 0
    .sgpr_count:     0
    .sgpr_spill_count: 0
    .symbol:         _ZN7rocprim17ROCPRIM_400000_NS6detail17trampoline_kernelINS0_13select_configILj256ELj13ELNS0_17block_load_methodE3ELS4_3ELS4_3ELNS0_20block_scan_algorithmE0ELj4294967295EEENS1_25partition_config_selectorILNS1_17partition_subalgoE4EjNS0_10empty_typeEbEEZZNS1_14partition_implILS8_4ELb0ES6_15HIP_vector_typeIjLj2EENS0_17counting_iteratorIjlEEPS9_SG_NS0_5tupleIJPjSI_NS0_16reverse_iteratorISI_EEEEENSH_IJSG_SG_SG_EEES9_SI_JZNS1_25segmented_radix_sort_implINS0_14default_configELb1EPKbPbPKlPlN2at6native12_GLOBAL__N_18offset_tEEE10hipError_tPvRmT1_PNSt15iterator_traitsIS12_E10value_typeET2_T3_PNS13_IS18_E10value_typeET4_jRbjT5_S1E_jjP12ihipStream_tbEUljE_ZNSN_ISO_Lb1ESQ_SR_ST_SU_SY_EESZ_S10_S11_S12_S16_S17_S18_S1B_S1C_jS1D_jS1E_S1E_jjS1G_bEUljE0_EEESZ_S10_S11_S18_S1C_S1E_T6_T7_T9_mT8_S1G_bDpT10_ENKUlT_T0_E_clISt17integral_constantIbLb1EES1U_EEDaS1P_S1Q_EUlS1P_E_NS1_11comp_targetILNS1_3genE9ELNS1_11target_archE1100ELNS1_3gpuE3ELNS1_3repE0EEENS1_30default_config_static_selectorELNS0_4arch9wavefront6targetE0EEEvS12_.kd
    .uniform_work_group_size: 1
    .uses_dynamic_stack: false
    .vgpr_count:     0
    .vgpr_spill_count: 0
    .wavefront_size: 32
    .workgroup_processor_mode: 1
  - .args:
      - .offset:         0
        .size:           184
        .value_kind:     by_value
    .group_segment_fixed_size: 0
    .kernarg_segment_align: 8
    .kernarg_segment_size: 184
    .language:       OpenCL C
    .language_version:
      - 2
      - 0
    .max_flat_workgroup_size: 256
    .name:           _ZN7rocprim17ROCPRIM_400000_NS6detail17trampoline_kernelINS0_13select_configILj256ELj13ELNS0_17block_load_methodE3ELS4_3ELS4_3ELNS0_20block_scan_algorithmE0ELj4294967295EEENS1_25partition_config_selectorILNS1_17partition_subalgoE4EjNS0_10empty_typeEbEEZZNS1_14partition_implILS8_4ELb0ES6_15HIP_vector_typeIjLj2EENS0_17counting_iteratorIjlEEPS9_SG_NS0_5tupleIJPjSI_NS0_16reverse_iteratorISI_EEEEENSH_IJSG_SG_SG_EEES9_SI_JZNS1_25segmented_radix_sort_implINS0_14default_configELb1EPKbPbPKlPlN2at6native12_GLOBAL__N_18offset_tEEE10hipError_tPvRmT1_PNSt15iterator_traitsIS12_E10value_typeET2_T3_PNS13_IS18_E10value_typeET4_jRbjT5_S1E_jjP12ihipStream_tbEUljE_ZNSN_ISO_Lb1ESQ_SR_ST_SU_SY_EESZ_S10_S11_S12_S16_S17_S18_S1B_S1C_jS1D_jS1E_S1E_jjS1G_bEUljE0_EEESZ_S10_S11_S18_S1C_S1E_T6_T7_T9_mT8_S1G_bDpT10_ENKUlT_T0_E_clISt17integral_constantIbLb1EES1U_EEDaS1P_S1Q_EUlS1P_E_NS1_11comp_targetILNS1_3genE8ELNS1_11target_archE1030ELNS1_3gpuE2ELNS1_3repE0EEENS1_30default_config_static_selectorELNS0_4arch9wavefront6targetE0EEEvS12_
    .private_segment_fixed_size: 0
    .sgpr_count:     0
    .sgpr_spill_count: 0
    .symbol:         _ZN7rocprim17ROCPRIM_400000_NS6detail17trampoline_kernelINS0_13select_configILj256ELj13ELNS0_17block_load_methodE3ELS4_3ELS4_3ELNS0_20block_scan_algorithmE0ELj4294967295EEENS1_25partition_config_selectorILNS1_17partition_subalgoE4EjNS0_10empty_typeEbEEZZNS1_14partition_implILS8_4ELb0ES6_15HIP_vector_typeIjLj2EENS0_17counting_iteratorIjlEEPS9_SG_NS0_5tupleIJPjSI_NS0_16reverse_iteratorISI_EEEEENSH_IJSG_SG_SG_EEES9_SI_JZNS1_25segmented_radix_sort_implINS0_14default_configELb1EPKbPbPKlPlN2at6native12_GLOBAL__N_18offset_tEEE10hipError_tPvRmT1_PNSt15iterator_traitsIS12_E10value_typeET2_T3_PNS13_IS18_E10value_typeET4_jRbjT5_S1E_jjP12ihipStream_tbEUljE_ZNSN_ISO_Lb1ESQ_SR_ST_SU_SY_EESZ_S10_S11_S12_S16_S17_S18_S1B_S1C_jS1D_jS1E_S1E_jjS1G_bEUljE0_EEESZ_S10_S11_S18_S1C_S1E_T6_T7_T9_mT8_S1G_bDpT10_ENKUlT_T0_E_clISt17integral_constantIbLb1EES1U_EEDaS1P_S1Q_EUlS1P_E_NS1_11comp_targetILNS1_3genE8ELNS1_11target_archE1030ELNS1_3gpuE2ELNS1_3repE0EEENS1_30default_config_static_selectorELNS0_4arch9wavefront6targetE0EEEvS12_.kd
    .uniform_work_group_size: 1
    .uses_dynamic_stack: false
    .vgpr_count:     0
    .vgpr_spill_count: 0
    .wavefront_size: 32
    .workgroup_processor_mode: 1
  - .args:
      - .offset:         0
        .size:           176
        .value_kind:     by_value
    .group_segment_fixed_size: 0
    .kernarg_segment_align: 8
    .kernarg_segment_size: 176
    .language:       OpenCL C
    .language_version:
      - 2
      - 0
    .max_flat_workgroup_size: 256
    .name:           _ZN7rocprim17ROCPRIM_400000_NS6detail17trampoline_kernelINS0_13select_configILj256ELj13ELNS0_17block_load_methodE3ELS4_3ELS4_3ELNS0_20block_scan_algorithmE0ELj4294967295EEENS1_25partition_config_selectorILNS1_17partition_subalgoE4EjNS0_10empty_typeEbEEZZNS1_14partition_implILS8_4ELb0ES6_15HIP_vector_typeIjLj2EENS0_17counting_iteratorIjlEEPS9_SG_NS0_5tupleIJPjSI_NS0_16reverse_iteratorISI_EEEEENSH_IJSG_SG_SG_EEES9_SI_JZNS1_25segmented_radix_sort_implINS0_14default_configELb1EPKbPbPKlPlN2at6native12_GLOBAL__N_18offset_tEEE10hipError_tPvRmT1_PNSt15iterator_traitsIS12_E10value_typeET2_T3_PNS13_IS18_E10value_typeET4_jRbjT5_S1E_jjP12ihipStream_tbEUljE_ZNSN_ISO_Lb1ESQ_SR_ST_SU_SY_EESZ_S10_S11_S12_S16_S17_S18_S1B_S1C_jS1D_jS1E_S1E_jjS1G_bEUljE0_EEESZ_S10_S11_S18_S1C_S1E_T6_T7_T9_mT8_S1G_bDpT10_ENKUlT_T0_E_clISt17integral_constantIbLb1EES1T_IbLb0EEEEDaS1P_S1Q_EUlS1P_E_NS1_11comp_targetILNS1_3genE0ELNS1_11target_archE4294967295ELNS1_3gpuE0ELNS1_3repE0EEENS1_30default_config_static_selectorELNS0_4arch9wavefront6targetE0EEEvS12_
    .private_segment_fixed_size: 0
    .sgpr_count:     0
    .sgpr_spill_count: 0
    .symbol:         _ZN7rocprim17ROCPRIM_400000_NS6detail17trampoline_kernelINS0_13select_configILj256ELj13ELNS0_17block_load_methodE3ELS4_3ELS4_3ELNS0_20block_scan_algorithmE0ELj4294967295EEENS1_25partition_config_selectorILNS1_17partition_subalgoE4EjNS0_10empty_typeEbEEZZNS1_14partition_implILS8_4ELb0ES6_15HIP_vector_typeIjLj2EENS0_17counting_iteratorIjlEEPS9_SG_NS0_5tupleIJPjSI_NS0_16reverse_iteratorISI_EEEEENSH_IJSG_SG_SG_EEES9_SI_JZNS1_25segmented_radix_sort_implINS0_14default_configELb1EPKbPbPKlPlN2at6native12_GLOBAL__N_18offset_tEEE10hipError_tPvRmT1_PNSt15iterator_traitsIS12_E10value_typeET2_T3_PNS13_IS18_E10value_typeET4_jRbjT5_S1E_jjP12ihipStream_tbEUljE_ZNSN_ISO_Lb1ESQ_SR_ST_SU_SY_EESZ_S10_S11_S12_S16_S17_S18_S1B_S1C_jS1D_jS1E_S1E_jjS1G_bEUljE0_EEESZ_S10_S11_S18_S1C_S1E_T6_T7_T9_mT8_S1G_bDpT10_ENKUlT_T0_E_clISt17integral_constantIbLb1EES1T_IbLb0EEEEDaS1P_S1Q_EUlS1P_E_NS1_11comp_targetILNS1_3genE0ELNS1_11target_archE4294967295ELNS1_3gpuE0ELNS1_3repE0EEENS1_30default_config_static_selectorELNS0_4arch9wavefront6targetE0EEEvS12_.kd
    .uniform_work_group_size: 1
    .uses_dynamic_stack: false
    .vgpr_count:     0
    .vgpr_spill_count: 0
    .wavefront_size: 32
    .workgroup_processor_mode: 1
  - .args:
      - .offset:         0
        .size:           176
        .value_kind:     by_value
    .group_segment_fixed_size: 0
    .kernarg_segment_align: 8
    .kernarg_segment_size: 176
    .language:       OpenCL C
    .language_version:
      - 2
      - 0
    .max_flat_workgroup_size: 256
    .name:           _ZN7rocprim17ROCPRIM_400000_NS6detail17trampoline_kernelINS0_13select_configILj256ELj13ELNS0_17block_load_methodE3ELS4_3ELS4_3ELNS0_20block_scan_algorithmE0ELj4294967295EEENS1_25partition_config_selectorILNS1_17partition_subalgoE4EjNS0_10empty_typeEbEEZZNS1_14partition_implILS8_4ELb0ES6_15HIP_vector_typeIjLj2EENS0_17counting_iteratorIjlEEPS9_SG_NS0_5tupleIJPjSI_NS0_16reverse_iteratorISI_EEEEENSH_IJSG_SG_SG_EEES9_SI_JZNS1_25segmented_radix_sort_implINS0_14default_configELb1EPKbPbPKlPlN2at6native12_GLOBAL__N_18offset_tEEE10hipError_tPvRmT1_PNSt15iterator_traitsIS12_E10value_typeET2_T3_PNS13_IS18_E10value_typeET4_jRbjT5_S1E_jjP12ihipStream_tbEUljE_ZNSN_ISO_Lb1ESQ_SR_ST_SU_SY_EESZ_S10_S11_S12_S16_S17_S18_S1B_S1C_jS1D_jS1E_S1E_jjS1G_bEUljE0_EEESZ_S10_S11_S18_S1C_S1E_T6_T7_T9_mT8_S1G_bDpT10_ENKUlT_T0_E_clISt17integral_constantIbLb1EES1T_IbLb0EEEEDaS1P_S1Q_EUlS1P_E_NS1_11comp_targetILNS1_3genE5ELNS1_11target_archE942ELNS1_3gpuE9ELNS1_3repE0EEENS1_30default_config_static_selectorELNS0_4arch9wavefront6targetE0EEEvS12_
    .private_segment_fixed_size: 0
    .sgpr_count:     0
    .sgpr_spill_count: 0
    .symbol:         _ZN7rocprim17ROCPRIM_400000_NS6detail17trampoline_kernelINS0_13select_configILj256ELj13ELNS0_17block_load_methodE3ELS4_3ELS4_3ELNS0_20block_scan_algorithmE0ELj4294967295EEENS1_25partition_config_selectorILNS1_17partition_subalgoE4EjNS0_10empty_typeEbEEZZNS1_14partition_implILS8_4ELb0ES6_15HIP_vector_typeIjLj2EENS0_17counting_iteratorIjlEEPS9_SG_NS0_5tupleIJPjSI_NS0_16reverse_iteratorISI_EEEEENSH_IJSG_SG_SG_EEES9_SI_JZNS1_25segmented_radix_sort_implINS0_14default_configELb1EPKbPbPKlPlN2at6native12_GLOBAL__N_18offset_tEEE10hipError_tPvRmT1_PNSt15iterator_traitsIS12_E10value_typeET2_T3_PNS13_IS18_E10value_typeET4_jRbjT5_S1E_jjP12ihipStream_tbEUljE_ZNSN_ISO_Lb1ESQ_SR_ST_SU_SY_EESZ_S10_S11_S12_S16_S17_S18_S1B_S1C_jS1D_jS1E_S1E_jjS1G_bEUljE0_EEESZ_S10_S11_S18_S1C_S1E_T6_T7_T9_mT8_S1G_bDpT10_ENKUlT_T0_E_clISt17integral_constantIbLb1EES1T_IbLb0EEEEDaS1P_S1Q_EUlS1P_E_NS1_11comp_targetILNS1_3genE5ELNS1_11target_archE942ELNS1_3gpuE9ELNS1_3repE0EEENS1_30default_config_static_selectorELNS0_4arch9wavefront6targetE0EEEvS12_.kd
    .uniform_work_group_size: 1
    .uses_dynamic_stack: false
    .vgpr_count:     0
    .vgpr_spill_count: 0
    .wavefront_size: 32
    .workgroup_processor_mode: 1
  - .args:
      - .offset:         0
        .size:           176
        .value_kind:     by_value
    .group_segment_fixed_size: 0
    .kernarg_segment_align: 8
    .kernarg_segment_size: 176
    .language:       OpenCL C
    .language_version:
      - 2
      - 0
    .max_flat_workgroup_size: 256
    .name:           _ZN7rocprim17ROCPRIM_400000_NS6detail17trampoline_kernelINS0_13select_configILj256ELj13ELNS0_17block_load_methodE3ELS4_3ELS4_3ELNS0_20block_scan_algorithmE0ELj4294967295EEENS1_25partition_config_selectorILNS1_17partition_subalgoE4EjNS0_10empty_typeEbEEZZNS1_14partition_implILS8_4ELb0ES6_15HIP_vector_typeIjLj2EENS0_17counting_iteratorIjlEEPS9_SG_NS0_5tupleIJPjSI_NS0_16reverse_iteratorISI_EEEEENSH_IJSG_SG_SG_EEES9_SI_JZNS1_25segmented_radix_sort_implINS0_14default_configELb1EPKbPbPKlPlN2at6native12_GLOBAL__N_18offset_tEEE10hipError_tPvRmT1_PNSt15iterator_traitsIS12_E10value_typeET2_T3_PNS13_IS18_E10value_typeET4_jRbjT5_S1E_jjP12ihipStream_tbEUljE_ZNSN_ISO_Lb1ESQ_SR_ST_SU_SY_EESZ_S10_S11_S12_S16_S17_S18_S1B_S1C_jS1D_jS1E_S1E_jjS1G_bEUljE0_EEESZ_S10_S11_S18_S1C_S1E_T6_T7_T9_mT8_S1G_bDpT10_ENKUlT_T0_E_clISt17integral_constantIbLb1EES1T_IbLb0EEEEDaS1P_S1Q_EUlS1P_E_NS1_11comp_targetILNS1_3genE4ELNS1_11target_archE910ELNS1_3gpuE8ELNS1_3repE0EEENS1_30default_config_static_selectorELNS0_4arch9wavefront6targetE0EEEvS12_
    .private_segment_fixed_size: 0
    .sgpr_count:     0
    .sgpr_spill_count: 0
    .symbol:         _ZN7rocprim17ROCPRIM_400000_NS6detail17trampoline_kernelINS0_13select_configILj256ELj13ELNS0_17block_load_methodE3ELS4_3ELS4_3ELNS0_20block_scan_algorithmE0ELj4294967295EEENS1_25partition_config_selectorILNS1_17partition_subalgoE4EjNS0_10empty_typeEbEEZZNS1_14partition_implILS8_4ELb0ES6_15HIP_vector_typeIjLj2EENS0_17counting_iteratorIjlEEPS9_SG_NS0_5tupleIJPjSI_NS0_16reverse_iteratorISI_EEEEENSH_IJSG_SG_SG_EEES9_SI_JZNS1_25segmented_radix_sort_implINS0_14default_configELb1EPKbPbPKlPlN2at6native12_GLOBAL__N_18offset_tEEE10hipError_tPvRmT1_PNSt15iterator_traitsIS12_E10value_typeET2_T3_PNS13_IS18_E10value_typeET4_jRbjT5_S1E_jjP12ihipStream_tbEUljE_ZNSN_ISO_Lb1ESQ_SR_ST_SU_SY_EESZ_S10_S11_S12_S16_S17_S18_S1B_S1C_jS1D_jS1E_S1E_jjS1G_bEUljE0_EEESZ_S10_S11_S18_S1C_S1E_T6_T7_T9_mT8_S1G_bDpT10_ENKUlT_T0_E_clISt17integral_constantIbLb1EES1T_IbLb0EEEEDaS1P_S1Q_EUlS1P_E_NS1_11comp_targetILNS1_3genE4ELNS1_11target_archE910ELNS1_3gpuE8ELNS1_3repE0EEENS1_30default_config_static_selectorELNS0_4arch9wavefront6targetE0EEEvS12_.kd
    .uniform_work_group_size: 1
    .uses_dynamic_stack: false
    .vgpr_count:     0
    .vgpr_spill_count: 0
    .wavefront_size: 32
    .workgroup_processor_mode: 1
  - .args:
      - .offset:         0
        .size:           176
        .value_kind:     by_value
    .group_segment_fixed_size: 0
    .kernarg_segment_align: 8
    .kernarg_segment_size: 176
    .language:       OpenCL C
    .language_version:
      - 2
      - 0
    .max_flat_workgroup_size: 256
    .name:           _ZN7rocprim17ROCPRIM_400000_NS6detail17trampoline_kernelINS0_13select_configILj256ELj13ELNS0_17block_load_methodE3ELS4_3ELS4_3ELNS0_20block_scan_algorithmE0ELj4294967295EEENS1_25partition_config_selectorILNS1_17partition_subalgoE4EjNS0_10empty_typeEbEEZZNS1_14partition_implILS8_4ELb0ES6_15HIP_vector_typeIjLj2EENS0_17counting_iteratorIjlEEPS9_SG_NS0_5tupleIJPjSI_NS0_16reverse_iteratorISI_EEEEENSH_IJSG_SG_SG_EEES9_SI_JZNS1_25segmented_radix_sort_implINS0_14default_configELb1EPKbPbPKlPlN2at6native12_GLOBAL__N_18offset_tEEE10hipError_tPvRmT1_PNSt15iterator_traitsIS12_E10value_typeET2_T3_PNS13_IS18_E10value_typeET4_jRbjT5_S1E_jjP12ihipStream_tbEUljE_ZNSN_ISO_Lb1ESQ_SR_ST_SU_SY_EESZ_S10_S11_S12_S16_S17_S18_S1B_S1C_jS1D_jS1E_S1E_jjS1G_bEUljE0_EEESZ_S10_S11_S18_S1C_S1E_T6_T7_T9_mT8_S1G_bDpT10_ENKUlT_T0_E_clISt17integral_constantIbLb1EES1T_IbLb0EEEEDaS1P_S1Q_EUlS1P_E_NS1_11comp_targetILNS1_3genE3ELNS1_11target_archE908ELNS1_3gpuE7ELNS1_3repE0EEENS1_30default_config_static_selectorELNS0_4arch9wavefront6targetE0EEEvS12_
    .private_segment_fixed_size: 0
    .sgpr_count:     0
    .sgpr_spill_count: 0
    .symbol:         _ZN7rocprim17ROCPRIM_400000_NS6detail17trampoline_kernelINS0_13select_configILj256ELj13ELNS0_17block_load_methodE3ELS4_3ELS4_3ELNS0_20block_scan_algorithmE0ELj4294967295EEENS1_25partition_config_selectorILNS1_17partition_subalgoE4EjNS0_10empty_typeEbEEZZNS1_14partition_implILS8_4ELb0ES6_15HIP_vector_typeIjLj2EENS0_17counting_iteratorIjlEEPS9_SG_NS0_5tupleIJPjSI_NS0_16reverse_iteratorISI_EEEEENSH_IJSG_SG_SG_EEES9_SI_JZNS1_25segmented_radix_sort_implINS0_14default_configELb1EPKbPbPKlPlN2at6native12_GLOBAL__N_18offset_tEEE10hipError_tPvRmT1_PNSt15iterator_traitsIS12_E10value_typeET2_T3_PNS13_IS18_E10value_typeET4_jRbjT5_S1E_jjP12ihipStream_tbEUljE_ZNSN_ISO_Lb1ESQ_SR_ST_SU_SY_EESZ_S10_S11_S12_S16_S17_S18_S1B_S1C_jS1D_jS1E_S1E_jjS1G_bEUljE0_EEESZ_S10_S11_S18_S1C_S1E_T6_T7_T9_mT8_S1G_bDpT10_ENKUlT_T0_E_clISt17integral_constantIbLb1EES1T_IbLb0EEEEDaS1P_S1Q_EUlS1P_E_NS1_11comp_targetILNS1_3genE3ELNS1_11target_archE908ELNS1_3gpuE7ELNS1_3repE0EEENS1_30default_config_static_selectorELNS0_4arch9wavefront6targetE0EEEvS12_.kd
    .uniform_work_group_size: 1
    .uses_dynamic_stack: false
    .vgpr_count:     0
    .vgpr_spill_count: 0
    .wavefront_size: 32
    .workgroup_processor_mode: 1
  - .args:
      - .offset:         0
        .size:           176
        .value_kind:     by_value
    .group_segment_fixed_size: 0
    .kernarg_segment_align: 8
    .kernarg_segment_size: 176
    .language:       OpenCL C
    .language_version:
      - 2
      - 0
    .max_flat_workgroup_size: 256
    .name:           _ZN7rocprim17ROCPRIM_400000_NS6detail17trampoline_kernelINS0_13select_configILj256ELj13ELNS0_17block_load_methodE3ELS4_3ELS4_3ELNS0_20block_scan_algorithmE0ELj4294967295EEENS1_25partition_config_selectorILNS1_17partition_subalgoE4EjNS0_10empty_typeEbEEZZNS1_14partition_implILS8_4ELb0ES6_15HIP_vector_typeIjLj2EENS0_17counting_iteratorIjlEEPS9_SG_NS0_5tupleIJPjSI_NS0_16reverse_iteratorISI_EEEEENSH_IJSG_SG_SG_EEES9_SI_JZNS1_25segmented_radix_sort_implINS0_14default_configELb1EPKbPbPKlPlN2at6native12_GLOBAL__N_18offset_tEEE10hipError_tPvRmT1_PNSt15iterator_traitsIS12_E10value_typeET2_T3_PNS13_IS18_E10value_typeET4_jRbjT5_S1E_jjP12ihipStream_tbEUljE_ZNSN_ISO_Lb1ESQ_SR_ST_SU_SY_EESZ_S10_S11_S12_S16_S17_S18_S1B_S1C_jS1D_jS1E_S1E_jjS1G_bEUljE0_EEESZ_S10_S11_S18_S1C_S1E_T6_T7_T9_mT8_S1G_bDpT10_ENKUlT_T0_E_clISt17integral_constantIbLb1EES1T_IbLb0EEEEDaS1P_S1Q_EUlS1P_E_NS1_11comp_targetILNS1_3genE2ELNS1_11target_archE906ELNS1_3gpuE6ELNS1_3repE0EEENS1_30default_config_static_selectorELNS0_4arch9wavefront6targetE0EEEvS12_
    .private_segment_fixed_size: 0
    .sgpr_count:     0
    .sgpr_spill_count: 0
    .symbol:         _ZN7rocprim17ROCPRIM_400000_NS6detail17trampoline_kernelINS0_13select_configILj256ELj13ELNS0_17block_load_methodE3ELS4_3ELS4_3ELNS0_20block_scan_algorithmE0ELj4294967295EEENS1_25partition_config_selectorILNS1_17partition_subalgoE4EjNS0_10empty_typeEbEEZZNS1_14partition_implILS8_4ELb0ES6_15HIP_vector_typeIjLj2EENS0_17counting_iteratorIjlEEPS9_SG_NS0_5tupleIJPjSI_NS0_16reverse_iteratorISI_EEEEENSH_IJSG_SG_SG_EEES9_SI_JZNS1_25segmented_radix_sort_implINS0_14default_configELb1EPKbPbPKlPlN2at6native12_GLOBAL__N_18offset_tEEE10hipError_tPvRmT1_PNSt15iterator_traitsIS12_E10value_typeET2_T3_PNS13_IS18_E10value_typeET4_jRbjT5_S1E_jjP12ihipStream_tbEUljE_ZNSN_ISO_Lb1ESQ_SR_ST_SU_SY_EESZ_S10_S11_S12_S16_S17_S18_S1B_S1C_jS1D_jS1E_S1E_jjS1G_bEUljE0_EEESZ_S10_S11_S18_S1C_S1E_T6_T7_T9_mT8_S1G_bDpT10_ENKUlT_T0_E_clISt17integral_constantIbLb1EES1T_IbLb0EEEEDaS1P_S1Q_EUlS1P_E_NS1_11comp_targetILNS1_3genE2ELNS1_11target_archE906ELNS1_3gpuE6ELNS1_3repE0EEENS1_30default_config_static_selectorELNS0_4arch9wavefront6targetE0EEEvS12_.kd
    .uniform_work_group_size: 1
    .uses_dynamic_stack: false
    .vgpr_count:     0
    .vgpr_spill_count: 0
    .wavefront_size: 32
    .workgroup_processor_mode: 1
  - .args:
      - .offset:         0
        .size:           176
        .value_kind:     by_value
    .group_segment_fixed_size: 0
    .kernarg_segment_align: 8
    .kernarg_segment_size: 176
    .language:       OpenCL C
    .language_version:
      - 2
      - 0
    .max_flat_workgroup_size: 256
    .name:           _ZN7rocprim17ROCPRIM_400000_NS6detail17trampoline_kernelINS0_13select_configILj256ELj13ELNS0_17block_load_methodE3ELS4_3ELS4_3ELNS0_20block_scan_algorithmE0ELj4294967295EEENS1_25partition_config_selectorILNS1_17partition_subalgoE4EjNS0_10empty_typeEbEEZZNS1_14partition_implILS8_4ELb0ES6_15HIP_vector_typeIjLj2EENS0_17counting_iteratorIjlEEPS9_SG_NS0_5tupleIJPjSI_NS0_16reverse_iteratorISI_EEEEENSH_IJSG_SG_SG_EEES9_SI_JZNS1_25segmented_radix_sort_implINS0_14default_configELb1EPKbPbPKlPlN2at6native12_GLOBAL__N_18offset_tEEE10hipError_tPvRmT1_PNSt15iterator_traitsIS12_E10value_typeET2_T3_PNS13_IS18_E10value_typeET4_jRbjT5_S1E_jjP12ihipStream_tbEUljE_ZNSN_ISO_Lb1ESQ_SR_ST_SU_SY_EESZ_S10_S11_S12_S16_S17_S18_S1B_S1C_jS1D_jS1E_S1E_jjS1G_bEUljE0_EEESZ_S10_S11_S18_S1C_S1E_T6_T7_T9_mT8_S1G_bDpT10_ENKUlT_T0_E_clISt17integral_constantIbLb1EES1T_IbLb0EEEEDaS1P_S1Q_EUlS1P_E_NS1_11comp_targetILNS1_3genE10ELNS1_11target_archE1200ELNS1_3gpuE4ELNS1_3repE0EEENS1_30default_config_static_selectorELNS0_4arch9wavefront6targetE0EEEvS12_
    .private_segment_fixed_size: 0
    .sgpr_count:     0
    .sgpr_spill_count: 0
    .symbol:         _ZN7rocprim17ROCPRIM_400000_NS6detail17trampoline_kernelINS0_13select_configILj256ELj13ELNS0_17block_load_methodE3ELS4_3ELS4_3ELNS0_20block_scan_algorithmE0ELj4294967295EEENS1_25partition_config_selectorILNS1_17partition_subalgoE4EjNS0_10empty_typeEbEEZZNS1_14partition_implILS8_4ELb0ES6_15HIP_vector_typeIjLj2EENS0_17counting_iteratorIjlEEPS9_SG_NS0_5tupleIJPjSI_NS0_16reverse_iteratorISI_EEEEENSH_IJSG_SG_SG_EEES9_SI_JZNS1_25segmented_radix_sort_implINS0_14default_configELb1EPKbPbPKlPlN2at6native12_GLOBAL__N_18offset_tEEE10hipError_tPvRmT1_PNSt15iterator_traitsIS12_E10value_typeET2_T3_PNS13_IS18_E10value_typeET4_jRbjT5_S1E_jjP12ihipStream_tbEUljE_ZNSN_ISO_Lb1ESQ_SR_ST_SU_SY_EESZ_S10_S11_S12_S16_S17_S18_S1B_S1C_jS1D_jS1E_S1E_jjS1G_bEUljE0_EEESZ_S10_S11_S18_S1C_S1E_T6_T7_T9_mT8_S1G_bDpT10_ENKUlT_T0_E_clISt17integral_constantIbLb1EES1T_IbLb0EEEEDaS1P_S1Q_EUlS1P_E_NS1_11comp_targetILNS1_3genE10ELNS1_11target_archE1200ELNS1_3gpuE4ELNS1_3repE0EEENS1_30default_config_static_selectorELNS0_4arch9wavefront6targetE0EEEvS12_.kd
    .uniform_work_group_size: 1
    .uses_dynamic_stack: false
    .vgpr_count:     0
    .vgpr_spill_count: 0
    .wavefront_size: 32
    .workgroup_processor_mode: 1
  - .args:
      - .offset:         0
        .size:           176
        .value_kind:     by_value
    .group_segment_fixed_size: 0
    .kernarg_segment_align: 8
    .kernarg_segment_size: 176
    .language:       OpenCL C
    .language_version:
      - 2
      - 0
    .max_flat_workgroup_size: 256
    .name:           _ZN7rocprim17ROCPRIM_400000_NS6detail17trampoline_kernelINS0_13select_configILj256ELj13ELNS0_17block_load_methodE3ELS4_3ELS4_3ELNS0_20block_scan_algorithmE0ELj4294967295EEENS1_25partition_config_selectorILNS1_17partition_subalgoE4EjNS0_10empty_typeEbEEZZNS1_14partition_implILS8_4ELb0ES6_15HIP_vector_typeIjLj2EENS0_17counting_iteratorIjlEEPS9_SG_NS0_5tupleIJPjSI_NS0_16reverse_iteratorISI_EEEEENSH_IJSG_SG_SG_EEES9_SI_JZNS1_25segmented_radix_sort_implINS0_14default_configELb1EPKbPbPKlPlN2at6native12_GLOBAL__N_18offset_tEEE10hipError_tPvRmT1_PNSt15iterator_traitsIS12_E10value_typeET2_T3_PNS13_IS18_E10value_typeET4_jRbjT5_S1E_jjP12ihipStream_tbEUljE_ZNSN_ISO_Lb1ESQ_SR_ST_SU_SY_EESZ_S10_S11_S12_S16_S17_S18_S1B_S1C_jS1D_jS1E_S1E_jjS1G_bEUljE0_EEESZ_S10_S11_S18_S1C_S1E_T6_T7_T9_mT8_S1G_bDpT10_ENKUlT_T0_E_clISt17integral_constantIbLb1EES1T_IbLb0EEEEDaS1P_S1Q_EUlS1P_E_NS1_11comp_targetILNS1_3genE9ELNS1_11target_archE1100ELNS1_3gpuE3ELNS1_3repE0EEENS1_30default_config_static_selectorELNS0_4arch9wavefront6targetE0EEEvS12_
    .private_segment_fixed_size: 0
    .sgpr_count:     0
    .sgpr_spill_count: 0
    .symbol:         _ZN7rocprim17ROCPRIM_400000_NS6detail17trampoline_kernelINS0_13select_configILj256ELj13ELNS0_17block_load_methodE3ELS4_3ELS4_3ELNS0_20block_scan_algorithmE0ELj4294967295EEENS1_25partition_config_selectorILNS1_17partition_subalgoE4EjNS0_10empty_typeEbEEZZNS1_14partition_implILS8_4ELb0ES6_15HIP_vector_typeIjLj2EENS0_17counting_iteratorIjlEEPS9_SG_NS0_5tupleIJPjSI_NS0_16reverse_iteratorISI_EEEEENSH_IJSG_SG_SG_EEES9_SI_JZNS1_25segmented_radix_sort_implINS0_14default_configELb1EPKbPbPKlPlN2at6native12_GLOBAL__N_18offset_tEEE10hipError_tPvRmT1_PNSt15iterator_traitsIS12_E10value_typeET2_T3_PNS13_IS18_E10value_typeET4_jRbjT5_S1E_jjP12ihipStream_tbEUljE_ZNSN_ISO_Lb1ESQ_SR_ST_SU_SY_EESZ_S10_S11_S12_S16_S17_S18_S1B_S1C_jS1D_jS1E_S1E_jjS1G_bEUljE0_EEESZ_S10_S11_S18_S1C_S1E_T6_T7_T9_mT8_S1G_bDpT10_ENKUlT_T0_E_clISt17integral_constantIbLb1EES1T_IbLb0EEEEDaS1P_S1Q_EUlS1P_E_NS1_11comp_targetILNS1_3genE9ELNS1_11target_archE1100ELNS1_3gpuE3ELNS1_3repE0EEENS1_30default_config_static_selectorELNS0_4arch9wavefront6targetE0EEEvS12_.kd
    .uniform_work_group_size: 1
    .uses_dynamic_stack: false
    .vgpr_count:     0
    .vgpr_spill_count: 0
    .wavefront_size: 32
    .workgroup_processor_mode: 1
  - .args:
      - .offset:         0
        .size:           176
        .value_kind:     by_value
    .group_segment_fixed_size: 0
    .kernarg_segment_align: 8
    .kernarg_segment_size: 176
    .language:       OpenCL C
    .language_version:
      - 2
      - 0
    .max_flat_workgroup_size: 256
    .name:           _ZN7rocprim17ROCPRIM_400000_NS6detail17trampoline_kernelINS0_13select_configILj256ELj13ELNS0_17block_load_methodE3ELS4_3ELS4_3ELNS0_20block_scan_algorithmE0ELj4294967295EEENS1_25partition_config_selectorILNS1_17partition_subalgoE4EjNS0_10empty_typeEbEEZZNS1_14partition_implILS8_4ELb0ES6_15HIP_vector_typeIjLj2EENS0_17counting_iteratorIjlEEPS9_SG_NS0_5tupleIJPjSI_NS0_16reverse_iteratorISI_EEEEENSH_IJSG_SG_SG_EEES9_SI_JZNS1_25segmented_radix_sort_implINS0_14default_configELb1EPKbPbPKlPlN2at6native12_GLOBAL__N_18offset_tEEE10hipError_tPvRmT1_PNSt15iterator_traitsIS12_E10value_typeET2_T3_PNS13_IS18_E10value_typeET4_jRbjT5_S1E_jjP12ihipStream_tbEUljE_ZNSN_ISO_Lb1ESQ_SR_ST_SU_SY_EESZ_S10_S11_S12_S16_S17_S18_S1B_S1C_jS1D_jS1E_S1E_jjS1G_bEUljE0_EEESZ_S10_S11_S18_S1C_S1E_T6_T7_T9_mT8_S1G_bDpT10_ENKUlT_T0_E_clISt17integral_constantIbLb1EES1T_IbLb0EEEEDaS1P_S1Q_EUlS1P_E_NS1_11comp_targetILNS1_3genE8ELNS1_11target_archE1030ELNS1_3gpuE2ELNS1_3repE0EEENS1_30default_config_static_selectorELNS0_4arch9wavefront6targetE0EEEvS12_
    .private_segment_fixed_size: 0
    .sgpr_count:     0
    .sgpr_spill_count: 0
    .symbol:         _ZN7rocprim17ROCPRIM_400000_NS6detail17trampoline_kernelINS0_13select_configILj256ELj13ELNS0_17block_load_methodE3ELS4_3ELS4_3ELNS0_20block_scan_algorithmE0ELj4294967295EEENS1_25partition_config_selectorILNS1_17partition_subalgoE4EjNS0_10empty_typeEbEEZZNS1_14partition_implILS8_4ELb0ES6_15HIP_vector_typeIjLj2EENS0_17counting_iteratorIjlEEPS9_SG_NS0_5tupleIJPjSI_NS0_16reverse_iteratorISI_EEEEENSH_IJSG_SG_SG_EEES9_SI_JZNS1_25segmented_radix_sort_implINS0_14default_configELb1EPKbPbPKlPlN2at6native12_GLOBAL__N_18offset_tEEE10hipError_tPvRmT1_PNSt15iterator_traitsIS12_E10value_typeET2_T3_PNS13_IS18_E10value_typeET4_jRbjT5_S1E_jjP12ihipStream_tbEUljE_ZNSN_ISO_Lb1ESQ_SR_ST_SU_SY_EESZ_S10_S11_S12_S16_S17_S18_S1B_S1C_jS1D_jS1E_S1E_jjS1G_bEUljE0_EEESZ_S10_S11_S18_S1C_S1E_T6_T7_T9_mT8_S1G_bDpT10_ENKUlT_T0_E_clISt17integral_constantIbLb1EES1T_IbLb0EEEEDaS1P_S1Q_EUlS1P_E_NS1_11comp_targetILNS1_3genE8ELNS1_11target_archE1030ELNS1_3gpuE2ELNS1_3repE0EEENS1_30default_config_static_selectorELNS0_4arch9wavefront6targetE0EEEvS12_.kd
    .uniform_work_group_size: 1
    .uses_dynamic_stack: false
    .vgpr_count:     0
    .vgpr_spill_count: 0
    .wavefront_size: 32
    .workgroup_processor_mode: 1
  - .args:
      - .offset:         0
        .size:           184
        .value_kind:     by_value
    .group_segment_fixed_size: 0
    .kernarg_segment_align: 8
    .kernarg_segment_size: 184
    .language:       OpenCL C
    .language_version:
      - 2
      - 0
    .max_flat_workgroup_size: 256
    .name:           _ZN7rocprim17ROCPRIM_400000_NS6detail17trampoline_kernelINS0_13select_configILj256ELj13ELNS0_17block_load_methodE3ELS4_3ELS4_3ELNS0_20block_scan_algorithmE0ELj4294967295EEENS1_25partition_config_selectorILNS1_17partition_subalgoE4EjNS0_10empty_typeEbEEZZNS1_14partition_implILS8_4ELb0ES6_15HIP_vector_typeIjLj2EENS0_17counting_iteratorIjlEEPS9_SG_NS0_5tupleIJPjSI_NS0_16reverse_iteratorISI_EEEEENSH_IJSG_SG_SG_EEES9_SI_JZNS1_25segmented_radix_sort_implINS0_14default_configELb1EPKbPbPKlPlN2at6native12_GLOBAL__N_18offset_tEEE10hipError_tPvRmT1_PNSt15iterator_traitsIS12_E10value_typeET2_T3_PNS13_IS18_E10value_typeET4_jRbjT5_S1E_jjP12ihipStream_tbEUljE_ZNSN_ISO_Lb1ESQ_SR_ST_SU_SY_EESZ_S10_S11_S12_S16_S17_S18_S1B_S1C_jS1D_jS1E_S1E_jjS1G_bEUljE0_EEESZ_S10_S11_S18_S1C_S1E_T6_T7_T9_mT8_S1G_bDpT10_ENKUlT_T0_E_clISt17integral_constantIbLb0EES1T_IbLb1EEEEDaS1P_S1Q_EUlS1P_E_NS1_11comp_targetILNS1_3genE0ELNS1_11target_archE4294967295ELNS1_3gpuE0ELNS1_3repE0EEENS1_30default_config_static_selectorELNS0_4arch9wavefront6targetE0EEEvS12_
    .private_segment_fixed_size: 0
    .sgpr_count:     0
    .sgpr_spill_count: 0
    .symbol:         _ZN7rocprim17ROCPRIM_400000_NS6detail17trampoline_kernelINS0_13select_configILj256ELj13ELNS0_17block_load_methodE3ELS4_3ELS4_3ELNS0_20block_scan_algorithmE0ELj4294967295EEENS1_25partition_config_selectorILNS1_17partition_subalgoE4EjNS0_10empty_typeEbEEZZNS1_14partition_implILS8_4ELb0ES6_15HIP_vector_typeIjLj2EENS0_17counting_iteratorIjlEEPS9_SG_NS0_5tupleIJPjSI_NS0_16reverse_iteratorISI_EEEEENSH_IJSG_SG_SG_EEES9_SI_JZNS1_25segmented_radix_sort_implINS0_14default_configELb1EPKbPbPKlPlN2at6native12_GLOBAL__N_18offset_tEEE10hipError_tPvRmT1_PNSt15iterator_traitsIS12_E10value_typeET2_T3_PNS13_IS18_E10value_typeET4_jRbjT5_S1E_jjP12ihipStream_tbEUljE_ZNSN_ISO_Lb1ESQ_SR_ST_SU_SY_EESZ_S10_S11_S12_S16_S17_S18_S1B_S1C_jS1D_jS1E_S1E_jjS1G_bEUljE0_EEESZ_S10_S11_S18_S1C_S1E_T6_T7_T9_mT8_S1G_bDpT10_ENKUlT_T0_E_clISt17integral_constantIbLb0EES1T_IbLb1EEEEDaS1P_S1Q_EUlS1P_E_NS1_11comp_targetILNS1_3genE0ELNS1_11target_archE4294967295ELNS1_3gpuE0ELNS1_3repE0EEENS1_30default_config_static_selectorELNS0_4arch9wavefront6targetE0EEEvS12_.kd
    .uniform_work_group_size: 1
    .uses_dynamic_stack: false
    .vgpr_count:     0
    .vgpr_spill_count: 0
    .wavefront_size: 32
    .workgroup_processor_mode: 1
  - .args:
      - .offset:         0
        .size:           184
        .value_kind:     by_value
    .group_segment_fixed_size: 0
    .kernarg_segment_align: 8
    .kernarg_segment_size: 184
    .language:       OpenCL C
    .language_version:
      - 2
      - 0
    .max_flat_workgroup_size: 256
    .name:           _ZN7rocprim17ROCPRIM_400000_NS6detail17trampoline_kernelINS0_13select_configILj256ELj13ELNS0_17block_load_methodE3ELS4_3ELS4_3ELNS0_20block_scan_algorithmE0ELj4294967295EEENS1_25partition_config_selectorILNS1_17partition_subalgoE4EjNS0_10empty_typeEbEEZZNS1_14partition_implILS8_4ELb0ES6_15HIP_vector_typeIjLj2EENS0_17counting_iteratorIjlEEPS9_SG_NS0_5tupleIJPjSI_NS0_16reverse_iteratorISI_EEEEENSH_IJSG_SG_SG_EEES9_SI_JZNS1_25segmented_radix_sort_implINS0_14default_configELb1EPKbPbPKlPlN2at6native12_GLOBAL__N_18offset_tEEE10hipError_tPvRmT1_PNSt15iterator_traitsIS12_E10value_typeET2_T3_PNS13_IS18_E10value_typeET4_jRbjT5_S1E_jjP12ihipStream_tbEUljE_ZNSN_ISO_Lb1ESQ_SR_ST_SU_SY_EESZ_S10_S11_S12_S16_S17_S18_S1B_S1C_jS1D_jS1E_S1E_jjS1G_bEUljE0_EEESZ_S10_S11_S18_S1C_S1E_T6_T7_T9_mT8_S1G_bDpT10_ENKUlT_T0_E_clISt17integral_constantIbLb0EES1T_IbLb1EEEEDaS1P_S1Q_EUlS1P_E_NS1_11comp_targetILNS1_3genE5ELNS1_11target_archE942ELNS1_3gpuE9ELNS1_3repE0EEENS1_30default_config_static_selectorELNS0_4arch9wavefront6targetE0EEEvS12_
    .private_segment_fixed_size: 0
    .sgpr_count:     0
    .sgpr_spill_count: 0
    .symbol:         _ZN7rocprim17ROCPRIM_400000_NS6detail17trampoline_kernelINS0_13select_configILj256ELj13ELNS0_17block_load_methodE3ELS4_3ELS4_3ELNS0_20block_scan_algorithmE0ELj4294967295EEENS1_25partition_config_selectorILNS1_17partition_subalgoE4EjNS0_10empty_typeEbEEZZNS1_14partition_implILS8_4ELb0ES6_15HIP_vector_typeIjLj2EENS0_17counting_iteratorIjlEEPS9_SG_NS0_5tupleIJPjSI_NS0_16reverse_iteratorISI_EEEEENSH_IJSG_SG_SG_EEES9_SI_JZNS1_25segmented_radix_sort_implINS0_14default_configELb1EPKbPbPKlPlN2at6native12_GLOBAL__N_18offset_tEEE10hipError_tPvRmT1_PNSt15iterator_traitsIS12_E10value_typeET2_T3_PNS13_IS18_E10value_typeET4_jRbjT5_S1E_jjP12ihipStream_tbEUljE_ZNSN_ISO_Lb1ESQ_SR_ST_SU_SY_EESZ_S10_S11_S12_S16_S17_S18_S1B_S1C_jS1D_jS1E_S1E_jjS1G_bEUljE0_EEESZ_S10_S11_S18_S1C_S1E_T6_T7_T9_mT8_S1G_bDpT10_ENKUlT_T0_E_clISt17integral_constantIbLb0EES1T_IbLb1EEEEDaS1P_S1Q_EUlS1P_E_NS1_11comp_targetILNS1_3genE5ELNS1_11target_archE942ELNS1_3gpuE9ELNS1_3repE0EEENS1_30default_config_static_selectorELNS0_4arch9wavefront6targetE0EEEvS12_.kd
    .uniform_work_group_size: 1
    .uses_dynamic_stack: false
    .vgpr_count:     0
    .vgpr_spill_count: 0
    .wavefront_size: 32
    .workgroup_processor_mode: 1
  - .args:
      - .offset:         0
        .size:           184
        .value_kind:     by_value
    .group_segment_fixed_size: 0
    .kernarg_segment_align: 8
    .kernarg_segment_size: 184
    .language:       OpenCL C
    .language_version:
      - 2
      - 0
    .max_flat_workgroup_size: 256
    .name:           _ZN7rocprim17ROCPRIM_400000_NS6detail17trampoline_kernelINS0_13select_configILj256ELj13ELNS0_17block_load_methodE3ELS4_3ELS4_3ELNS0_20block_scan_algorithmE0ELj4294967295EEENS1_25partition_config_selectorILNS1_17partition_subalgoE4EjNS0_10empty_typeEbEEZZNS1_14partition_implILS8_4ELb0ES6_15HIP_vector_typeIjLj2EENS0_17counting_iteratorIjlEEPS9_SG_NS0_5tupleIJPjSI_NS0_16reverse_iteratorISI_EEEEENSH_IJSG_SG_SG_EEES9_SI_JZNS1_25segmented_radix_sort_implINS0_14default_configELb1EPKbPbPKlPlN2at6native12_GLOBAL__N_18offset_tEEE10hipError_tPvRmT1_PNSt15iterator_traitsIS12_E10value_typeET2_T3_PNS13_IS18_E10value_typeET4_jRbjT5_S1E_jjP12ihipStream_tbEUljE_ZNSN_ISO_Lb1ESQ_SR_ST_SU_SY_EESZ_S10_S11_S12_S16_S17_S18_S1B_S1C_jS1D_jS1E_S1E_jjS1G_bEUljE0_EEESZ_S10_S11_S18_S1C_S1E_T6_T7_T9_mT8_S1G_bDpT10_ENKUlT_T0_E_clISt17integral_constantIbLb0EES1T_IbLb1EEEEDaS1P_S1Q_EUlS1P_E_NS1_11comp_targetILNS1_3genE4ELNS1_11target_archE910ELNS1_3gpuE8ELNS1_3repE0EEENS1_30default_config_static_selectorELNS0_4arch9wavefront6targetE0EEEvS12_
    .private_segment_fixed_size: 0
    .sgpr_count:     0
    .sgpr_spill_count: 0
    .symbol:         _ZN7rocprim17ROCPRIM_400000_NS6detail17trampoline_kernelINS0_13select_configILj256ELj13ELNS0_17block_load_methodE3ELS4_3ELS4_3ELNS0_20block_scan_algorithmE0ELj4294967295EEENS1_25partition_config_selectorILNS1_17partition_subalgoE4EjNS0_10empty_typeEbEEZZNS1_14partition_implILS8_4ELb0ES6_15HIP_vector_typeIjLj2EENS0_17counting_iteratorIjlEEPS9_SG_NS0_5tupleIJPjSI_NS0_16reverse_iteratorISI_EEEEENSH_IJSG_SG_SG_EEES9_SI_JZNS1_25segmented_radix_sort_implINS0_14default_configELb1EPKbPbPKlPlN2at6native12_GLOBAL__N_18offset_tEEE10hipError_tPvRmT1_PNSt15iterator_traitsIS12_E10value_typeET2_T3_PNS13_IS18_E10value_typeET4_jRbjT5_S1E_jjP12ihipStream_tbEUljE_ZNSN_ISO_Lb1ESQ_SR_ST_SU_SY_EESZ_S10_S11_S12_S16_S17_S18_S1B_S1C_jS1D_jS1E_S1E_jjS1G_bEUljE0_EEESZ_S10_S11_S18_S1C_S1E_T6_T7_T9_mT8_S1G_bDpT10_ENKUlT_T0_E_clISt17integral_constantIbLb0EES1T_IbLb1EEEEDaS1P_S1Q_EUlS1P_E_NS1_11comp_targetILNS1_3genE4ELNS1_11target_archE910ELNS1_3gpuE8ELNS1_3repE0EEENS1_30default_config_static_selectorELNS0_4arch9wavefront6targetE0EEEvS12_.kd
    .uniform_work_group_size: 1
    .uses_dynamic_stack: false
    .vgpr_count:     0
    .vgpr_spill_count: 0
    .wavefront_size: 32
    .workgroup_processor_mode: 1
  - .args:
      - .offset:         0
        .size:           184
        .value_kind:     by_value
    .group_segment_fixed_size: 0
    .kernarg_segment_align: 8
    .kernarg_segment_size: 184
    .language:       OpenCL C
    .language_version:
      - 2
      - 0
    .max_flat_workgroup_size: 256
    .name:           _ZN7rocprim17ROCPRIM_400000_NS6detail17trampoline_kernelINS0_13select_configILj256ELj13ELNS0_17block_load_methodE3ELS4_3ELS4_3ELNS0_20block_scan_algorithmE0ELj4294967295EEENS1_25partition_config_selectorILNS1_17partition_subalgoE4EjNS0_10empty_typeEbEEZZNS1_14partition_implILS8_4ELb0ES6_15HIP_vector_typeIjLj2EENS0_17counting_iteratorIjlEEPS9_SG_NS0_5tupleIJPjSI_NS0_16reverse_iteratorISI_EEEEENSH_IJSG_SG_SG_EEES9_SI_JZNS1_25segmented_radix_sort_implINS0_14default_configELb1EPKbPbPKlPlN2at6native12_GLOBAL__N_18offset_tEEE10hipError_tPvRmT1_PNSt15iterator_traitsIS12_E10value_typeET2_T3_PNS13_IS18_E10value_typeET4_jRbjT5_S1E_jjP12ihipStream_tbEUljE_ZNSN_ISO_Lb1ESQ_SR_ST_SU_SY_EESZ_S10_S11_S12_S16_S17_S18_S1B_S1C_jS1D_jS1E_S1E_jjS1G_bEUljE0_EEESZ_S10_S11_S18_S1C_S1E_T6_T7_T9_mT8_S1G_bDpT10_ENKUlT_T0_E_clISt17integral_constantIbLb0EES1T_IbLb1EEEEDaS1P_S1Q_EUlS1P_E_NS1_11comp_targetILNS1_3genE3ELNS1_11target_archE908ELNS1_3gpuE7ELNS1_3repE0EEENS1_30default_config_static_selectorELNS0_4arch9wavefront6targetE0EEEvS12_
    .private_segment_fixed_size: 0
    .sgpr_count:     0
    .sgpr_spill_count: 0
    .symbol:         _ZN7rocprim17ROCPRIM_400000_NS6detail17trampoline_kernelINS0_13select_configILj256ELj13ELNS0_17block_load_methodE3ELS4_3ELS4_3ELNS0_20block_scan_algorithmE0ELj4294967295EEENS1_25partition_config_selectorILNS1_17partition_subalgoE4EjNS0_10empty_typeEbEEZZNS1_14partition_implILS8_4ELb0ES6_15HIP_vector_typeIjLj2EENS0_17counting_iteratorIjlEEPS9_SG_NS0_5tupleIJPjSI_NS0_16reverse_iteratorISI_EEEEENSH_IJSG_SG_SG_EEES9_SI_JZNS1_25segmented_radix_sort_implINS0_14default_configELb1EPKbPbPKlPlN2at6native12_GLOBAL__N_18offset_tEEE10hipError_tPvRmT1_PNSt15iterator_traitsIS12_E10value_typeET2_T3_PNS13_IS18_E10value_typeET4_jRbjT5_S1E_jjP12ihipStream_tbEUljE_ZNSN_ISO_Lb1ESQ_SR_ST_SU_SY_EESZ_S10_S11_S12_S16_S17_S18_S1B_S1C_jS1D_jS1E_S1E_jjS1G_bEUljE0_EEESZ_S10_S11_S18_S1C_S1E_T6_T7_T9_mT8_S1G_bDpT10_ENKUlT_T0_E_clISt17integral_constantIbLb0EES1T_IbLb1EEEEDaS1P_S1Q_EUlS1P_E_NS1_11comp_targetILNS1_3genE3ELNS1_11target_archE908ELNS1_3gpuE7ELNS1_3repE0EEENS1_30default_config_static_selectorELNS0_4arch9wavefront6targetE0EEEvS12_.kd
    .uniform_work_group_size: 1
    .uses_dynamic_stack: false
    .vgpr_count:     0
    .vgpr_spill_count: 0
    .wavefront_size: 32
    .workgroup_processor_mode: 1
  - .args:
      - .offset:         0
        .size:           184
        .value_kind:     by_value
    .group_segment_fixed_size: 0
    .kernarg_segment_align: 8
    .kernarg_segment_size: 184
    .language:       OpenCL C
    .language_version:
      - 2
      - 0
    .max_flat_workgroup_size: 256
    .name:           _ZN7rocprim17ROCPRIM_400000_NS6detail17trampoline_kernelINS0_13select_configILj256ELj13ELNS0_17block_load_methodE3ELS4_3ELS4_3ELNS0_20block_scan_algorithmE0ELj4294967295EEENS1_25partition_config_selectorILNS1_17partition_subalgoE4EjNS0_10empty_typeEbEEZZNS1_14partition_implILS8_4ELb0ES6_15HIP_vector_typeIjLj2EENS0_17counting_iteratorIjlEEPS9_SG_NS0_5tupleIJPjSI_NS0_16reverse_iteratorISI_EEEEENSH_IJSG_SG_SG_EEES9_SI_JZNS1_25segmented_radix_sort_implINS0_14default_configELb1EPKbPbPKlPlN2at6native12_GLOBAL__N_18offset_tEEE10hipError_tPvRmT1_PNSt15iterator_traitsIS12_E10value_typeET2_T3_PNS13_IS18_E10value_typeET4_jRbjT5_S1E_jjP12ihipStream_tbEUljE_ZNSN_ISO_Lb1ESQ_SR_ST_SU_SY_EESZ_S10_S11_S12_S16_S17_S18_S1B_S1C_jS1D_jS1E_S1E_jjS1G_bEUljE0_EEESZ_S10_S11_S18_S1C_S1E_T6_T7_T9_mT8_S1G_bDpT10_ENKUlT_T0_E_clISt17integral_constantIbLb0EES1T_IbLb1EEEEDaS1P_S1Q_EUlS1P_E_NS1_11comp_targetILNS1_3genE2ELNS1_11target_archE906ELNS1_3gpuE6ELNS1_3repE0EEENS1_30default_config_static_selectorELNS0_4arch9wavefront6targetE0EEEvS12_
    .private_segment_fixed_size: 0
    .sgpr_count:     0
    .sgpr_spill_count: 0
    .symbol:         _ZN7rocprim17ROCPRIM_400000_NS6detail17trampoline_kernelINS0_13select_configILj256ELj13ELNS0_17block_load_methodE3ELS4_3ELS4_3ELNS0_20block_scan_algorithmE0ELj4294967295EEENS1_25partition_config_selectorILNS1_17partition_subalgoE4EjNS0_10empty_typeEbEEZZNS1_14partition_implILS8_4ELb0ES6_15HIP_vector_typeIjLj2EENS0_17counting_iteratorIjlEEPS9_SG_NS0_5tupleIJPjSI_NS0_16reverse_iteratorISI_EEEEENSH_IJSG_SG_SG_EEES9_SI_JZNS1_25segmented_radix_sort_implINS0_14default_configELb1EPKbPbPKlPlN2at6native12_GLOBAL__N_18offset_tEEE10hipError_tPvRmT1_PNSt15iterator_traitsIS12_E10value_typeET2_T3_PNS13_IS18_E10value_typeET4_jRbjT5_S1E_jjP12ihipStream_tbEUljE_ZNSN_ISO_Lb1ESQ_SR_ST_SU_SY_EESZ_S10_S11_S12_S16_S17_S18_S1B_S1C_jS1D_jS1E_S1E_jjS1G_bEUljE0_EEESZ_S10_S11_S18_S1C_S1E_T6_T7_T9_mT8_S1G_bDpT10_ENKUlT_T0_E_clISt17integral_constantIbLb0EES1T_IbLb1EEEEDaS1P_S1Q_EUlS1P_E_NS1_11comp_targetILNS1_3genE2ELNS1_11target_archE906ELNS1_3gpuE6ELNS1_3repE0EEENS1_30default_config_static_selectorELNS0_4arch9wavefront6targetE0EEEvS12_.kd
    .uniform_work_group_size: 1
    .uses_dynamic_stack: false
    .vgpr_count:     0
    .vgpr_spill_count: 0
    .wavefront_size: 32
    .workgroup_processor_mode: 1
  - .args:
      - .offset:         0
        .size:           184
        .value_kind:     by_value
    .group_segment_fixed_size: 0
    .kernarg_segment_align: 8
    .kernarg_segment_size: 184
    .language:       OpenCL C
    .language_version:
      - 2
      - 0
    .max_flat_workgroup_size: 256
    .name:           _ZN7rocprim17ROCPRIM_400000_NS6detail17trampoline_kernelINS0_13select_configILj256ELj13ELNS0_17block_load_methodE3ELS4_3ELS4_3ELNS0_20block_scan_algorithmE0ELj4294967295EEENS1_25partition_config_selectorILNS1_17partition_subalgoE4EjNS0_10empty_typeEbEEZZNS1_14partition_implILS8_4ELb0ES6_15HIP_vector_typeIjLj2EENS0_17counting_iteratorIjlEEPS9_SG_NS0_5tupleIJPjSI_NS0_16reverse_iteratorISI_EEEEENSH_IJSG_SG_SG_EEES9_SI_JZNS1_25segmented_radix_sort_implINS0_14default_configELb1EPKbPbPKlPlN2at6native12_GLOBAL__N_18offset_tEEE10hipError_tPvRmT1_PNSt15iterator_traitsIS12_E10value_typeET2_T3_PNS13_IS18_E10value_typeET4_jRbjT5_S1E_jjP12ihipStream_tbEUljE_ZNSN_ISO_Lb1ESQ_SR_ST_SU_SY_EESZ_S10_S11_S12_S16_S17_S18_S1B_S1C_jS1D_jS1E_S1E_jjS1G_bEUljE0_EEESZ_S10_S11_S18_S1C_S1E_T6_T7_T9_mT8_S1G_bDpT10_ENKUlT_T0_E_clISt17integral_constantIbLb0EES1T_IbLb1EEEEDaS1P_S1Q_EUlS1P_E_NS1_11comp_targetILNS1_3genE10ELNS1_11target_archE1200ELNS1_3gpuE4ELNS1_3repE0EEENS1_30default_config_static_selectorELNS0_4arch9wavefront6targetE0EEEvS12_
    .private_segment_fixed_size: 0
    .sgpr_count:     0
    .sgpr_spill_count: 0
    .symbol:         _ZN7rocprim17ROCPRIM_400000_NS6detail17trampoline_kernelINS0_13select_configILj256ELj13ELNS0_17block_load_methodE3ELS4_3ELS4_3ELNS0_20block_scan_algorithmE0ELj4294967295EEENS1_25partition_config_selectorILNS1_17partition_subalgoE4EjNS0_10empty_typeEbEEZZNS1_14partition_implILS8_4ELb0ES6_15HIP_vector_typeIjLj2EENS0_17counting_iteratorIjlEEPS9_SG_NS0_5tupleIJPjSI_NS0_16reverse_iteratorISI_EEEEENSH_IJSG_SG_SG_EEES9_SI_JZNS1_25segmented_radix_sort_implINS0_14default_configELb1EPKbPbPKlPlN2at6native12_GLOBAL__N_18offset_tEEE10hipError_tPvRmT1_PNSt15iterator_traitsIS12_E10value_typeET2_T3_PNS13_IS18_E10value_typeET4_jRbjT5_S1E_jjP12ihipStream_tbEUljE_ZNSN_ISO_Lb1ESQ_SR_ST_SU_SY_EESZ_S10_S11_S12_S16_S17_S18_S1B_S1C_jS1D_jS1E_S1E_jjS1G_bEUljE0_EEESZ_S10_S11_S18_S1C_S1E_T6_T7_T9_mT8_S1G_bDpT10_ENKUlT_T0_E_clISt17integral_constantIbLb0EES1T_IbLb1EEEEDaS1P_S1Q_EUlS1P_E_NS1_11comp_targetILNS1_3genE10ELNS1_11target_archE1200ELNS1_3gpuE4ELNS1_3repE0EEENS1_30default_config_static_selectorELNS0_4arch9wavefront6targetE0EEEvS12_.kd
    .uniform_work_group_size: 1
    .uses_dynamic_stack: false
    .vgpr_count:     0
    .vgpr_spill_count: 0
    .wavefront_size: 32
    .workgroup_processor_mode: 1
  - .args:
      - .offset:         0
        .size:           184
        .value_kind:     by_value
    .group_segment_fixed_size: 0
    .kernarg_segment_align: 8
    .kernarg_segment_size: 184
    .language:       OpenCL C
    .language_version:
      - 2
      - 0
    .max_flat_workgroup_size: 256
    .name:           _ZN7rocprim17ROCPRIM_400000_NS6detail17trampoline_kernelINS0_13select_configILj256ELj13ELNS0_17block_load_methodE3ELS4_3ELS4_3ELNS0_20block_scan_algorithmE0ELj4294967295EEENS1_25partition_config_selectorILNS1_17partition_subalgoE4EjNS0_10empty_typeEbEEZZNS1_14partition_implILS8_4ELb0ES6_15HIP_vector_typeIjLj2EENS0_17counting_iteratorIjlEEPS9_SG_NS0_5tupleIJPjSI_NS0_16reverse_iteratorISI_EEEEENSH_IJSG_SG_SG_EEES9_SI_JZNS1_25segmented_radix_sort_implINS0_14default_configELb1EPKbPbPKlPlN2at6native12_GLOBAL__N_18offset_tEEE10hipError_tPvRmT1_PNSt15iterator_traitsIS12_E10value_typeET2_T3_PNS13_IS18_E10value_typeET4_jRbjT5_S1E_jjP12ihipStream_tbEUljE_ZNSN_ISO_Lb1ESQ_SR_ST_SU_SY_EESZ_S10_S11_S12_S16_S17_S18_S1B_S1C_jS1D_jS1E_S1E_jjS1G_bEUljE0_EEESZ_S10_S11_S18_S1C_S1E_T6_T7_T9_mT8_S1G_bDpT10_ENKUlT_T0_E_clISt17integral_constantIbLb0EES1T_IbLb1EEEEDaS1P_S1Q_EUlS1P_E_NS1_11comp_targetILNS1_3genE9ELNS1_11target_archE1100ELNS1_3gpuE3ELNS1_3repE0EEENS1_30default_config_static_selectorELNS0_4arch9wavefront6targetE0EEEvS12_
    .private_segment_fixed_size: 0
    .sgpr_count:     0
    .sgpr_spill_count: 0
    .symbol:         _ZN7rocprim17ROCPRIM_400000_NS6detail17trampoline_kernelINS0_13select_configILj256ELj13ELNS0_17block_load_methodE3ELS4_3ELS4_3ELNS0_20block_scan_algorithmE0ELj4294967295EEENS1_25partition_config_selectorILNS1_17partition_subalgoE4EjNS0_10empty_typeEbEEZZNS1_14partition_implILS8_4ELb0ES6_15HIP_vector_typeIjLj2EENS0_17counting_iteratorIjlEEPS9_SG_NS0_5tupleIJPjSI_NS0_16reverse_iteratorISI_EEEEENSH_IJSG_SG_SG_EEES9_SI_JZNS1_25segmented_radix_sort_implINS0_14default_configELb1EPKbPbPKlPlN2at6native12_GLOBAL__N_18offset_tEEE10hipError_tPvRmT1_PNSt15iterator_traitsIS12_E10value_typeET2_T3_PNS13_IS18_E10value_typeET4_jRbjT5_S1E_jjP12ihipStream_tbEUljE_ZNSN_ISO_Lb1ESQ_SR_ST_SU_SY_EESZ_S10_S11_S12_S16_S17_S18_S1B_S1C_jS1D_jS1E_S1E_jjS1G_bEUljE0_EEESZ_S10_S11_S18_S1C_S1E_T6_T7_T9_mT8_S1G_bDpT10_ENKUlT_T0_E_clISt17integral_constantIbLb0EES1T_IbLb1EEEEDaS1P_S1Q_EUlS1P_E_NS1_11comp_targetILNS1_3genE9ELNS1_11target_archE1100ELNS1_3gpuE3ELNS1_3repE0EEENS1_30default_config_static_selectorELNS0_4arch9wavefront6targetE0EEEvS12_.kd
    .uniform_work_group_size: 1
    .uses_dynamic_stack: false
    .vgpr_count:     0
    .vgpr_spill_count: 0
    .wavefront_size: 32
    .workgroup_processor_mode: 1
  - .args:
      - .offset:         0
        .size:           184
        .value_kind:     by_value
    .group_segment_fixed_size: 13328
    .kernarg_segment_align: 8
    .kernarg_segment_size: 184
    .language:       OpenCL C
    .language_version:
      - 2
      - 0
    .max_flat_workgroup_size: 256
    .name:           _ZN7rocprim17ROCPRIM_400000_NS6detail17trampoline_kernelINS0_13select_configILj256ELj13ELNS0_17block_load_methodE3ELS4_3ELS4_3ELNS0_20block_scan_algorithmE0ELj4294967295EEENS1_25partition_config_selectorILNS1_17partition_subalgoE4EjNS0_10empty_typeEbEEZZNS1_14partition_implILS8_4ELb0ES6_15HIP_vector_typeIjLj2EENS0_17counting_iteratorIjlEEPS9_SG_NS0_5tupleIJPjSI_NS0_16reverse_iteratorISI_EEEEENSH_IJSG_SG_SG_EEES9_SI_JZNS1_25segmented_radix_sort_implINS0_14default_configELb1EPKbPbPKlPlN2at6native12_GLOBAL__N_18offset_tEEE10hipError_tPvRmT1_PNSt15iterator_traitsIS12_E10value_typeET2_T3_PNS13_IS18_E10value_typeET4_jRbjT5_S1E_jjP12ihipStream_tbEUljE_ZNSN_ISO_Lb1ESQ_SR_ST_SU_SY_EESZ_S10_S11_S12_S16_S17_S18_S1B_S1C_jS1D_jS1E_S1E_jjS1G_bEUljE0_EEESZ_S10_S11_S18_S1C_S1E_T6_T7_T9_mT8_S1G_bDpT10_ENKUlT_T0_E_clISt17integral_constantIbLb0EES1T_IbLb1EEEEDaS1P_S1Q_EUlS1P_E_NS1_11comp_targetILNS1_3genE8ELNS1_11target_archE1030ELNS1_3gpuE2ELNS1_3repE0EEENS1_30default_config_static_selectorELNS0_4arch9wavefront6targetE0EEEvS12_
    .private_segment_fixed_size: 0
    .sgpr_count:     57
    .sgpr_spill_count: 0
    .symbol:         _ZN7rocprim17ROCPRIM_400000_NS6detail17trampoline_kernelINS0_13select_configILj256ELj13ELNS0_17block_load_methodE3ELS4_3ELS4_3ELNS0_20block_scan_algorithmE0ELj4294967295EEENS1_25partition_config_selectorILNS1_17partition_subalgoE4EjNS0_10empty_typeEbEEZZNS1_14partition_implILS8_4ELb0ES6_15HIP_vector_typeIjLj2EENS0_17counting_iteratorIjlEEPS9_SG_NS0_5tupleIJPjSI_NS0_16reverse_iteratorISI_EEEEENSH_IJSG_SG_SG_EEES9_SI_JZNS1_25segmented_radix_sort_implINS0_14default_configELb1EPKbPbPKlPlN2at6native12_GLOBAL__N_18offset_tEEE10hipError_tPvRmT1_PNSt15iterator_traitsIS12_E10value_typeET2_T3_PNS13_IS18_E10value_typeET4_jRbjT5_S1E_jjP12ihipStream_tbEUljE_ZNSN_ISO_Lb1ESQ_SR_ST_SU_SY_EESZ_S10_S11_S12_S16_S17_S18_S1B_S1C_jS1D_jS1E_S1E_jjS1G_bEUljE0_EEESZ_S10_S11_S18_S1C_S1E_T6_T7_T9_mT8_S1G_bDpT10_ENKUlT_T0_E_clISt17integral_constantIbLb0EES1T_IbLb1EEEEDaS1P_S1Q_EUlS1P_E_NS1_11comp_targetILNS1_3genE8ELNS1_11target_archE1030ELNS1_3gpuE2ELNS1_3repE0EEENS1_30default_config_static_selectorELNS0_4arch9wavefront6targetE0EEEvS12_.kd
    .uniform_work_group_size: 1
    .uses_dynamic_stack: false
    .vgpr_count:     87
    .vgpr_spill_count: 0
    .wavefront_size: 32
    .workgroup_processor_mode: 1
  - .args:
      - .offset:         0
        .size:           144
        .value_kind:     by_value
    .group_segment_fixed_size: 0
    .kernarg_segment_align: 8
    .kernarg_segment_size: 144
    .language:       OpenCL C
    .language_version:
      - 2
      - 0
    .max_flat_workgroup_size: 256
    .name:           _ZN7rocprim17ROCPRIM_400000_NS6detail17trampoline_kernelINS0_13select_configILj256ELj13ELNS0_17block_load_methodE3ELS4_3ELS4_3ELNS0_20block_scan_algorithmE0ELj4294967295EEENS1_25partition_config_selectorILNS1_17partition_subalgoE3EjNS0_10empty_typeEbEEZZNS1_14partition_implILS8_3ELb0ES6_jNS0_17counting_iteratorIjlEEPS9_SE_NS0_5tupleIJPjSE_EEENSF_IJSE_SE_EEES9_SG_JZNS1_25segmented_radix_sort_implINS0_14default_configELb1EPKbPbPKlPlN2at6native12_GLOBAL__N_18offset_tEEE10hipError_tPvRmT1_PNSt15iterator_traitsISY_E10value_typeET2_T3_PNSZ_IS14_E10value_typeET4_jRbjT5_S1A_jjP12ihipStream_tbEUljE_EEESV_SW_SX_S14_S18_S1A_T6_T7_T9_mT8_S1C_bDpT10_ENKUlT_T0_E_clISt17integral_constantIbLb0EES1P_EEDaS1K_S1L_EUlS1K_E_NS1_11comp_targetILNS1_3genE0ELNS1_11target_archE4294967295ELNS1_3gpuE0ELNS1_3repE0EEENS1_30default_config_static_selectorELNS0_4arch9wavefront6targetE0EEEvSY_
    .private_segment_fixed_size: 0
    .sgpr_count:     0
    .sgpr_spill_count: 0
    .symbol:         _ZN7rocprim17ROCPRIM_400000_NS6detail17trampoline_kernelINS0_13select_configILj256ELj13ELNS0_17block_load_methodE3ELS4_3ELS4_3ELNS0_20block_scan_algorithmE0ELj4294967295EEENS1_25partition_config_selectorILNS1_17partition_subalgoE3EjNS0_10empty_typeEbEEZZNS1_14partition_implILS8_3ELb0ES6_jNS0_17counting_iteratorIjlEEPS9_SE_NS0_5tupleIJPjSE_EEENSF_IJSE_SE_EEES9_SG_JZNS1_25segmented_radix_sort_implINS0_14default_configELb1EPKbPbPKlPlN2at6native12_GLOBAL__N_18offset_tEEE10hipError_tPvRmT1_PNSt15iterator_traitsISY_E10value_typeET2_T3_PNSZ_IS14_E10value_typeET4_jRbjT5_S1A_jjP12ihipStream_tbEUljE_EEESV_SW_SX_S14_S18_S1A_T6_T7_T9_mT8_S1C_bDpT10_ENKUlT_T0_E_clISt17integral_constantIbLb0EES1P_EEDaS1K_S1L_EUlS1K_E_NS1_11comp_targetILNS1_3genE0ELNS1_11target_archE4294967295ELNS1_3gpuE0ELNS1_3repE0EEENS1_30default_config_static_selectorELNS0_4arch9wavefront6targetE0EEEvSY_.kd
    .uniform_work_group_size: 1
    .uses_dynamic_stack: false
    .vgpr_count:     0
    .vgpr_spill_count: 0
    .wavefront_size: 32
    .workgroup_processor_mode: 1
  - .args:
      - .offset:         0
        .size:           144
        .value_kind:     by_value
    .group_segment_fixed_size: 0
    .kernarg_segment_align: 8
    .kernarg_segment_size: 144
    .language:       OpenCL C
    .language_version:
      - 2
      - 0
    .max_flat_workgroup_size: 256
    .name:           _ZN7rocprim17ROCPRIM_400000_NS6detail17trampoline_kernelINS0_13select_configILj256ELj13ELNS0_17block_load_methodE3ELS4_3ELS4_3ELNS0_20block_scan_algorithmE0ELj4294967295EEENS1_25partition_config_selectorILNS1_17partition_subalgoE3EjNS0_10empty_typeEbEEZZNS1_14partition_implILS8_3ELb0ES6_jNS0_17counting_iteratorIjlEEPS9_SE_NS0_5tupleIJPjSE_EEENSF_IJSE_SE_EEES9_SG_JZNS1_25segmented_radix_sort_implINS0_14default_configELb1EPKbPbPKlPlN2at6native12_GLOBAL__N_18offset_tEEE10hipError_tPvRmT1_PNSt15iterator_traitsISY_E10value_typeET2_T3_PNSZ_IS14_E10value_typeET4_jRbjT5_S1A_jjP12ihipStream_tbEUljE_EEESV_SW_SX_S14_S18_S1A_T6_T7_T9_mT8_S1C_bDpT10_ENKUlT_T0_E_clISt17integral_constantIbLb0EES1P_EEDaS1K_S1L_EUlS1K_E_NS1_11comp_targetILNS1_3genE5ELNS1_11target_archE942ELNS1_3gpuE9ELNS1_3repE0EEENS1_30default_config_static_selectorELNS0_4arch9wavefront6targetE0EEEvSY_
    .private_segment_fixed_size: 0
    .sgpr_count:     0
    .sgpr_spill_count: 0
    .symbol:         _ZN7rocprim17ROCPRIM_400000_NS6detail17trampoline_kernelINS0_13select_configILj256ELj13ELNS0_17block_load_methodE3ELS4_3ELS4_3ELNS0_20block_scan_algorithmE0ELj4294967295EEENS1_25partition_config_selectorILNS1_17partition_subalgoE3EjNS0_10empty_typeEbEEZZNS1_14partition_implILS8_3ELb0ES6_jNS0_17counting_iteratorIjlEEPS9_SE_NS0_5tupleIJPjSE_EEENSF_IJSE_SE_EEES9_SG_JZNS1_25segmented_radix_sort_implINS0_14default_configELb1EPKbPbPKlPlN2at6native12_GLOBAL__N_18offset_tEEE10hipError_tPvRmT1_PNSt15iterator_traitsISY_E10value_typeET2_T3_PNSZ_IS14_E10value_typeET4_jRbjT5_S1A_jjP12ihipStream_tbEUljE_EEESV_SW_SX_S14_S18_S1A_T6_T7_T9_mT8_S1C_bDpT10_ENKUlT_T0_E_clISt17integral_constantIbLb0EES1P_EEDaS1K_S1L_EUlS1K_E_NS1_11comp_targetILNS1_3genE5ELNS1_11target_archE942ELNS1_3gpuE9ELNS1_3repE0EEENS1_30default_config_static_selectorELNS0_4arch9wavefront6targetE0EEEvSY_.kd
    .uniform_work_group_size: 1
    .uses_dynamic_stack: false
    .vgpr_count:     0
    .vgpr_spill_count: 0
    .wavefront_size: 32
    .workgroup_processor_mode: 1
  - .args:
      - .offset:         0
        .size:           144
        .value_kind:     by_value
    .group_segment_fixed_size: 0
    .kernarg_segment_align: 8
    .kernarg_segment_size: 144
    .language:       OpenCL C
    .language_version:
      - 2
      - 0
    .max_flat_workgroup_size: 256
    .name:           _ZN7rocprim17ROCPRIM_400000_NS6detail17trampoline_kernelINS0_13select_configILj256ELj13ELNS0_17block_load_methodE3ELS4_3ELS4_3ELNS0_20block_scan_algorithmE0ELj4294967295EEENS1_25partition_config_selectorILNS1_17partition_subalgoE3EjNS0_10empty_typeEbEEZZNS1_14partition_implILS8_3ELb0ES6_jNS0_17counting_iteratorIjlEEPS9_SE_NS0_5tupleIJPjSE_EEENSF_IJSE_SE_EEES9_SG_JZNS1_25segmented_radix_sort_implINS0_14default_configELb1EPKbPbPKlPlN2at6native12_GLOBAL__N_18offset_tEEE10hipError_tPvRmT1_PNSt15iterator_traitsISY_E10value_typeET2_T3_PNSZ_IS14_E10value_typeET4_jRbjT5_S1A_jjP12ihipStream_tbEUljE_EEESV_SW_SX_S14_S18_S1A_T6_T7_T9_mT8_S1C_bDpT10_ENKUlT_T0_E_clISt17integral_constantIbLb0EES1P_EEDaS1K_S1L_EUlS1K_E_NS1_11comp_targetILNS1_3genE4ELNS1_11target_archE910ELNS1_3gpuE8ELNS1_3repE0EEENS1_30default_config_static_selectorELNS0_4arch9wavefront6targetE0EEEvSY_
    .private_segment_fixed_size: 0
    .sgpr_count:     0
    .sgpr_spill_count: 0
    .symbol:         _ZN7rocprim17ROCPRIM_400000_NS6detail17trampoline_kernelINS0_13select_configILj256ELj13ELNS0_17block_load_methodE3ELS4_3ELS4_3ELNS0_20block_scan_algorithmE0ELj4294967295EEENS1_25partition_config_selectorILNS1_17partition_subalgoE3EjNS0_10empty_typeEbEEZZNS1_14partition_implILS8_3ELb0ES6_jNS0_17counting_iteratorIjlEEPS9_SE_NS0_5tupleIJPjSE_EEENSF_IJSE_SE_EEES9_SG_JZNS1_25segmented_radix_sort_implINS0_14default_configELb1EPKbPbPKlPlN2at6native12_GLOBAL__N_18offset_tEEE10hipError_tPvRmT1_PNSt15iterator_traitsISY_E10value_typeET2_T3_PNSZ_IS14_E10value_typeET4_jRbjT5_S1A_jjP12ihipStream_tbEUljE_EEESV_SW_SX_S14_S18_S1A_T6_T7_T9_mT8_S1C_bDpT10_ENKUlT_T0_E_clISt17integral_constantIbLb0EES1P_EEDaS1K_S1L_EUlS1K_E_NS1_11comp_targetILNS1_3genE4ELNS1_11target_archE910ELNS1_3gpuE8ELNS1_3repE0EEENS1_30default_config_static_selectorELNS0_4arch9wavefront6targetE0EEEvSY_.kd
    .uniform_work_group_size: 1
    .uses_dynamic_stack: false
    .vgpr_count:     0
    .vgpr_spill_count: 0
    .wavefront_size: 32
    .workgroup_processor_mode: 1
  - .args:
      - .offset:         0
        .size:           144
        .value_kind:     by_value
    .group_segment_fixed_size: 0
    .kernarg_segment_align: 8
    .kernarg_segment_size: 144
    .language:       OpenCL C
    .language_version:
      - 2
      - 0
    .max_flat_workgroup_size: 256
    .name:           _ZN7rocprim17ROCPRIM_400000_NS6detail17trampoline_kernelINS0_13select_configILj256ELj13ELNS0_17block_load_methodE3ELS4_3ELS4_3ELNS0_20block_scan_algorithmE0ELj4294967295EEENS1_25partition_config_selectorILNS1_17partition_subalgoE3EjNS0_10empty_typeEbEEZZNS1_14partition_implILS8_3ELb0ES6_jNS0_17counting_iteratorIjlEEPS9_SE_NS0_5tupleIJPjSE_EEENSF_IJSE_SE_EEES9_SG_JZNS1_25segmented_radix_sort_implINS0_14default_configELb1EPKbPbPKlPlN2at6native12_GLOBAL__N_18offset_tEEE10hipError_tPvRmT1_PNSt15iterator_traitsISY_E10value_typeET2_T3_PNSZ_IS14_E10value_typeET4_jRbjT5_S1A_jjP12ihipStream_tbEUljE_EEESV_SW_SX_S14_S18_S1A_T6_T7_T9_mT8_S1C_bDpT10_ENKUlT_T0_E_clISt17integral_constantIbLb0EES1P_EEDaS1K_S1L_EUlS1K_E_NS1_11comp_targetILNS1_3genE3ELNS1_11target_archE908ELNS1_3gpuE7ELNS1_3repE0EEENS1_30default_config_static_selectorELNS0_4arch9wavefront6targetE0EEEvSY_
    .private_segment_fixed_size: 0
    .sgpr_count:     0
    .sgpr_spill_count: 0
    .symbol:         _ZN7rocprim17ROCPRIM_400000_NS6detail17trampoline_kernelINS0_13select_configILj256ELj13ELNS0_17block_load_methodE3ELS4_3ELS4_3ELNS0_20block_scan_algorithmE0ELj4294967295EEENS1_25partition_config_selectorILNS1_17partition_subalgoE3EjNS0_10empty_typeEbEEZZNS1_14partition_implILS8_3ELb0ES6_jNS0_17counting_iteratorIjlEEPS9_SE_NS0_5tupleIJPjSE_EEENSF_IJSE_SE_EEES9_SG_JZNS1_25segmented_radix_sort_implINS0_14default_configELb1EPKbPbPKlPlN2at6native12_GLOBAL__N_18offset_tEEE10hipError_tPvRmT1_PNSt15iterator_traitsISY_E10value_typeET2_T3_PNSZ_IS14_E10value_typeET4_jRbjT5_S1A_jjP12ihipStream_tbEUljE_EEESV_SW_SX_S14_S18_S1A_T6_T7_T9_mT8_S1C_bDpT10_ENKUlT_T0_E_clISt17integral_constantIbLb0EES1P_EEDaS1K_S1L_EUlS1K_E_NS1_11comp_targetILNS1_3genE3ELNS1_11target_archE908ELNS1_3gpuE7ELNS1_3repE0EEENS1_30default_config_static_selectorELNS0_4arch9wavefront6targetE0EEEvSY_.kd
    .uniform_work_group_size: 1
    .uses_dynamic_stack: false
    .vgpr_count:     0
    .vgpr_spill_count: 0
    .wavefront_size: 32
    .workgroup_processor_mode: 1
  - .args:
      - .offset:         0
        .size:           144
        .value_kind:     by_value
    .group_segment_fixed_size: 0
    .kernarg_segment_align: 8
    .kernarg_segment_size: 144
    .language:       OpenCL C
    .language_version:
      - 2
      - 0
    .max_flat_workgroup_size: 256
    .name:           _ZN7rocprim17ROCPRIM_400000_NS6detail17trampoline_kernelINS0_13select_configILj256ELj13ELNS0_17block_load_methodE3ELS4_3ELS4_3ELNS0_20block_scan_algorithmE0ELj4294967295EEENS1_25partition_config_selectorILNS1_17partition_subalgoE3EjNS0_10empty_typeEbEEZZNS1_14partition_implILS8_3ELb0ES6_jNS0_17counting_iteratorIjlEEPS9_SE_NS0_5tupleIJPjSE_EEENSF_IJSE_SE_EEES9_SG_JZNS1_25segmented_radix_sort_implINS0_14default_configELb1EPKbPbPKlPlN2at6native12_GLOBAL__N_18offset_tEEE10hipError_tPvRmT1_PNSt15iterator_traitsISY_E10value_typeET2_T3_PNSZ_IS14_E10value_typeET4_jRbjT5_S1A_jjP12ihipStream_tbEUljE_EEESV_SW_SX_S14_S18_S1A_T6_T7_T9_mT8_S1C_bDpT10_ENKUlT_T0_E_clISt17integral_constantIbLb0EES1P_EEDaS1K_S1L_EUlS1K_E_NS1_11comp_targetILNS1_3genE2ELNS1_11target_archE906ELNS1_3gpuE6ELNS1_3repE0EEENS1_30default_config_static_selectorELNS0_4arch9wavefront6targetE0EEEvSY_
    .private_segment_fixed_size: 0
    .sgpr_count:     0
    .sgpr_spill_count: 0
    .symbol:         _ZN7rocprim17ROCPRIM_400000_NS6detail17trampoline_kernelINS0_13select_configILj256ELj13ELNS0_17block_load_methodE3ELS4_3ELS4_3ELNS0_20block_scan_algorithmE0ELj4294967295EEENS1_25partition_config_selectorILNS1_17partition_subalgoE3EjNS0_10empty_typeEbEEZZNS1_14partition_implILS8_3ELb0ES6_jNS0_17counting_iteratorIjlEEPS9_SE_NS0_5tupleIJPjSE_EEENSF_IJSE_SE_EEES9_SG_JZNS1_25segmented_radix_sort_implINS0_14default_configELb1EPKbPbPKlPlN2at6native12_GLOBAL__N_18offset_tEEE10hipError_tPvRmT1_PNSt15iterator_traitsISY_E10value_typeET2_T3_PNSZ_IS14_E10value_typeET4_jRbjT5_S1A_jjP12ihipStream_tbEUljE_EEESV_SW_SX_S14_S18_S1A_T6_T7_T9_mT8_S1C_bDpT10_ENKUlT_T0_E_clISt17integral_constantIbLb0EES1P_EEDaS1K_S1L_EUlS1K_E_NS1_11comp_targetILNS1_3genE2ELNS1_11target_archE906ELNS1_3gpuE6ELNS1_3repE0EEENS1_30default_config_static_selectorELNS0_4arch9wavefront6targetE0EEEvSY_.kd
    .uniform_work_group_size: 1
    .uses_dynamic_stack: false
    .vgpr_count:     0
    .vgpr_spill_count: 0
    .wavefront_size: 32
    .workgroup_processor_mode: 1
  - .args:
      - .offset:         0
        .size:           144
        .value_kind:     by_value
    .group_segment_fixed_size: 0
    .kernarg_segment_align: 8
    .kernarg_segment_size: 144
    .language:       OpenCL C
    .language_version:
      - 2
      - 0
    .max_flat_workgroup_size: 256
    .name:           _ZN7rocprim17ROCPRIM_400000_NS6detail17trampoline_kernelINS0_13select_configILj256ELj13ELNS0_17block_load_methodE3ELS4_3ELS4_3ELNS0_20block_scan_algorithmE0ELj4294967295EEENS1_25partition_config_selectorILNS1_17partition_subalgoE3EjNS0_10empty_typeEbEEZZNS1_14partition_implILS8_3ELb0ES6_jNS0_17counting_iteratorIjlEEPS9_SE_NS0_5tupleIJPjSE_EEENSF_IJSE_SE_EEES9_SG_JZNS1_25segmented_radix_sort_implINS0_14default_configELb1EPKbPbPKlPlN2at6native12_GLOBAL__N_18offset_tEEE10hipError_tPvRmT1_PNSt15iterator_traitsISY_E10value_typeET2_T3_PNSZ_IS14_E10value_typeET4_jRbjT5_S1A_jjP12ihipStream_tbEUljE_EEESV_SW_SX_S14_S18_S1A_T6_T7_T9_mT8_S1C_bDpT10_ENKUlT_T0_E_clISt17integral_constantIbLb0EES1P_EEDaS1K_S1L_EUlS1K_E_NS1_11comp_targetILNS1_3genE10ELNS1_11target_archE1200ELNS1_3gpuE4ELNS1_3repE0EEENS1_30default_config_static_selectorELNS0_4arch9wavefront6targetE0EEEvSY_
    .private_segment_fixed_size: 0
    .sgpr_count:     0
    .sgpr_spill_count: 0
    .symbol:         _ZN7rocprim17ROCPRIM_400000_NS6detail17trampoline_kernelINS0_13select_configILj256ELj13ELNS0_17block_load_methodE3ELS4_3ELS4_3ELNS0_20block_scan_algorithmE0ELj4294967295EEENS1_25partition_config_selectorILNS1_17partition_subalgoE3EjNS0_10empty_typeEbEEZZNS1_14partition_implILS8_3ELb0ES6_jNS0_17counting_iteratorIjlEEPS9_SE_NS0_5tupleIJPjSE_EEENSF_IJSE_SE_EEES9_SG_JZNS1_25segmented_radix_sort_implINS0_14default_configELb1EPKbPbPKlPlN2at6native12_GLOBAL__N_18offset_tEEE10hipError_tPvRmT1_PNSt15iterator_traitsISY_E10value_typeET2_T3_PNSZ_IS14_E10value_typeET4_jRbjT5_S1A_jjP12ihipStream_tbEUljE_EEESV_SW_SX_S14_S18_S1A_T6_T7_T9_mT8_S1C_bDpT10_ENKUlT_T0_E_clISt17integral_constantIbLb0EES1P_EEDaS1K_S1L_EUlS1K_E_NS1_11comp_targetILNS1_3genE10ELNS1_11target_archE1200ELNS1_3gpuE4ELNS1_3repE0EEENS1_30default_config_static_selectorELNS0_4arch9wavefront6targetE0EEEvSY_.kd
    .uniform_work_group_size: 1
    .uses_dynamic_stack: false
    .vgpr_count:     0
    .vgpr_spill_count: 0
    .wavefront_size: 32
    .workgroup_processor_mode: 1
  - .args:
      - .offset:         0
        .size:           144
        .value_kind:     by_value
    .group_segment_fixed_size: 0
    .kernarg_segment_align: 8
    .kernarg_segment_size: 144
    .language:       OpenCL C
    .language_version:
      - 2
      - 0
    .max_flat_workgroup_size: 256
    .name:           _ZN7rocprim17ROCPRIM_400000_NS6detail17trampoline_kernelINS0_13select_configILj256ELj13ELNS0_17block_load_methodE3ELS4_3ELS4_3ELNS0_20block_scan_algorithmE0ELj4294967295EEENS1_25partition_config_selectorILNS1_17partition_subalgoE3EjNS0_10empty_typeEbEEZZNS1_14partition_implILS8_3ELb0ES6_jNS0_17counting_iteratorIjlEEPS9_SE_NS0_5tupleIJPjSE_EEENSF_IJSE_SE_EEES9_SG_JZNS1_25segmented_radix_sort_implINS0_14default_configELb1EPKbPbPKlPlN2at6native12_GLOBAL__N_18offset_tEEE10hipError_tPvRmT1_PNSt15iterator_traitsISY_E10value_typeET2_T3_PNSZ_IS14_E10value_typeET4_jRbjT5_S1A_jjP12ihipStream_tbEUljE_EEESV_SW_SX_S14_S18_S1A_T6_T7_T9_mT8_S1C_bDpT10_ENKUlT_T0_E_clISt17integral_constantIbLb0EES1P_EEDaS1K_S1L_EUlS1K_E_NS1_11comp_targetILNS1_3genE9ELNS1_11target_archE1100ELNS1_3gpuE3ELNS1_3repE0EEENS1_30default_config_static_selectorELNS0_4arch9wavefront6targetE0EEEvSY_
    .private_segment_fixed_size: 0
    .sgpr_count:     0
    .sgpr_spill_count: 0
    .symbol:         _ZN7rocprim17ROCPRIM_400000_NS6detail17trampoline_kernelINS0_13select_configILj256ELj13ELNS0_17block_load_methodE3ELS4_3ELS4_3ELNS0_20block_scan_algorithmE0ELj4294967295EEENS1_25partition_config_selectorILNS1_17partition_subalgoE3EjNS0_10empty_typeEbEEZZNS1_14partition_implILS8_3ELb0ES6_jNS0_17counting_iteratorIjlEEPS9_SE_NS0_5tupleIJPjSE_EEENSF_IJSE_SE_EEES9_SG_JZNS1_25segmented_radix_sort_implINS0_14default_configELb1EPKbPbPKlPlN2at6native12_GLOBAL__N_18offset_tEEE10hipError_tPvRmT1_PNSt15iterator_traitsISY_E10value_typeET2_T3_PNSZ_IS14_E10value_typeET4_jRbjT5_S1A_jjP12ihipStream_tbEUljE_EEESV_SW_SX_S14_S18_S1A_T6_T7_T9_mT8_S1C_bDpT10_ENKUlT_T0_E_clISt17integral_constantIbLb0EES1P_EEDaS1K_S1L_EUlS1K_E_NS1_11comp_targetILNS1_3genE9ELNS1_11target_archE1100ELNS1_3gpuE3ELNS1_3repE0EEENS1_30default_config_static_selectorELNS0_4arch9wavefront6targetE0EEEvSY_.kd
    .uniform_work_group_size: 1
    .uses_dynamic_stack: false
    .vgpr_count:     0
    .vgpr_spill_count: 0
    .wavefront_size: 32
    .workgroup_processor_mode: 1
  - .args:
      - .offset:         0
        .size:           144
        .value_kind:     by_value
    .group_segment_fixed_size: 13320
    .kernarg_segment_align: 8
    .kernarg_segment_size: 144
    .language:       OpenCL C
    .language_version:
      - 2
      - 0
    .max_flat_workgroup_size: 256
    .name:           _ZN7rocprim17ROCPRIM_400000_NS6detail17trampoline_kernelINS0_13select_configILj256ELj13ELNS0_17block_load_methodE3ELS4_3ELS4_3ELNS0_20block_scan_algorithmE0ELj4294967295EEENS1_25partition_config_selectorILNS1_17partition_subalgoE3EjNS0_10empty_typeEbEEZZNS1_14partition_implILS8_3ELb0ES6_jNS0_17counting_iteratorIjlEEPS9_SE_NS0_5tupleIJPjSE_EEENSF_IJSE_SE_EEES9_SG_JZNS1_25segmented_radix_sort_implINS0_14default_configELb1EPKbPbPKlPlN2at6native12_GLOBAL__N_18offset_tEEE10hipError_tPvRmT1_PNSt15iterator_traitsISY_E10value_typeET2_T3_PNSZ_IS14_E10value_typeET4_jRbjT5_S1A_jjP12ihipStream_tbEUljE_EEESV_SW_SX_S14_S18_S1A_T6_T7_T9_mT8_S1C_bDpT10_ENKUlT_T0_E_clISt17integral_constantIbLb0EES1P_EEDaS1K_S1L_EUlS1K_E_NS1_11comp_targetILNS1_3genE8ELNS1_11target_archE1030ELNS1_3gpuE2ELNS1_3repE0EEENS1_30default_config_static_selectorELNS0_4arch9wavefront6targetE0EEEvSY_
    .private_segment_fixed_size: 0
    .sgpr_count:     29
    .sgpr_spill_count: 0
    .symbol:         _ZN7rocprim17ROCPRIM_400000_NS6detail17trampoline_kernelINS0_13select_configILj256ELj13ELNS0_17block_load_methodE3ELS4_3ELS4_3ELNS0_20block_scan_algorithmE0ELj4294967295EEENS1_25partition_config_selectorILNS1_17partition_subalgoE3EjNS0_10empty_typeEbEEZZNS1_14partition_implILS8_3ELb0ES6_jNS0_17counting_iteratorIjlEEPS9_SE_NS0_5tupleIJPjSE_EEENSF_IJSE_SE_EEES9_SG_JZNS1_25segmented_radix_sort_implINS0_14default_configELb1EPKbPbPKlPlN2at6native12_GLOBAL__N_18offset_tEEE10hipError_tPvRmT1_PNSt15iterator_traitsISY_E10value_typeET2_T3_PNSZ_IS14_E10value_typeET4_jRbjT5_S1A_jjP12ihipStream_tbEUljE_EEESV_SW_SX_S14_S18_S1A_T6_T7_T9_mT8_S1C_bDpT10_ENKUlT_T0_E_clISt17integral_constantIbLb0EES1P_EEDaS1K_S1L_EUlS1K_E_NS1_11comp_targetILNS1_3genE8ELNS1_11target_archE1030ELNS1_3gpuE2ELNS1_3repE0EEENS1_30default_config_static_selectorELNS0_4arch9wavefront6targetE0EEEvSY_.kd
    .uniform_work_group_size: 1
    .uses_dynamic_stack: false
    .vgpr_count:     69
    .vgpr_spill_count: 0
    .wavefront_size: 32
    .workgroup_processor_mode: 1
  - .args:
      - .offset:         0
        .size:           152
        .value_kind:     by_value
    .group_segment_fixed_size: 0
    .kernarg_segment_align: 8
    .kernarg_segment_size: 152
    .language:       OpenCL C
    .language_version:
      - 2
      - 0
    .max_flat_workgroup_size: 256
    .name:           _ZN7rocprim17ROCPRIM_400000_NS6detail17trampoline_kernelINS0_13select_configILj256ELj13ELNS0_17block_load_methodE3ELS4_3ELS4_3ELNS0_20block_scan_algorithmE0ELj4294967295EEENS1_25partition_config_selectorILNS1_17partition_subalgoE3EjNS0_10empty_typeEbEEZZNS1_14partition_implILS8_3ELb0ES6_jNS0_17counting_iteratorIjlEEPS9_SE_NS0_5tupleIJPjSE_EEENSF_IJSE_SE_EEES9_SG_JZNS1_25segmented_radix_sort_implINS0_14default_configELb1EPKbPbPKlPlN2at6native12_GLOBAL__N_18offset_tEEE10hipError_tPvRmT1_PNSt15iterator_traitsISY_E10value_typeET2_T3_PNSZ_IS14_E10value_typeET4_jRbjT5_S1A_jjP12ihipStream_tbEUljE_EEESV_SW_SX_S14_S18_S1A_T6_T7_T9_mT8_S1C_bDpT10_ENKUlT_T0_E_clISt17integral_constantIbLb1EES1P_EEDaS1K_S1L_EUlS1K_E_NS1_11comp_targetILNS1_3genE0ELNS1_11target_archE4294967295ELNS1_3gpuE0ELNS1_3repE0EEENS1_30default_config_static_selectorELNS0_4arch9wavefront6targetE0EEEvSY_
    .private_segment_fixed_size: 0
    .sgpr_count:     0
    .sgpr_spill_count: 0
    .symbol:         _ZN7rocprim17ROCPRIM_400000_NS6detail17trampoline_kernelINS0_13select_configILj256ELj13ELNS0_17block_load_methodE3ELS4_3ELS4_3ELNS0_20block_scan_algorithmE0ELj4294967295EEENS1_25partition_config_selectorILNS1_17partition_subalgoE3EjNS0_10empty_typeEbEEZZNS1_14partition_implILS8_3ELb0ES6_jNS0_17counting_iteratorIjlEEPS9_SE_NS0_5tupleIJPjSE_EEENSF_IJSE_SE_EEES9_SG_JZNS1_25segmented_radix_sort_implINS0_14default_configELb1EPKbPbPKlPlN2at6native12_GLOBAL__N_18offset_tEEE10hipError_tPvRmT1_PNSt15iterator_traitsISY_E10value_typeET2_T3_PNSZ_IS14_E10value_typeET4_jRbjT5_S1A_jjP12ihipStream_tbEUljE_EEESV_SW_SX_S14_S18_S1A_T6_T7_T9_mT8_S1C_bDpT10_ENKUlT_T0_E_clISt17integral_constantIbLb1EES1P_EEDaS1K_S1L_EUlS1K_E_NS1_11comp_targetILNS1_3genE0ELNS1_11target_archE4294967295ELNS1_3gpuE0ELNS1_3repE0EEENS1_30default_config_static_selectorELNS0_4arch9wavefront6targetE0EEEvSY_.kd
    .uniform_work_group_size: 1
    .uses_dynamic_stack: false
    .vgpr_count:     0
    .vgpr_spill_count: 0
    .wavefront_size: 32
    .workgroup_processor_mode: 1
  - .args:
      - .offset:         0
        .size:           152
        .value_kind:     by_value
    .group_segment_fixed_size: 0
    .kernarg_segment_align: 8
    .kernarg_segment_size: 152
    .language:       OpenCL C
    .language_version:
      - 2
      - 0
    .max_flat_workgroup_size: 256
    .name:           _ZN7rocprim17ROCPRIM_400000_NS6detail17trampoline_kernelINS0_13select_configILj256ELj13ELNS0_17block_load_methodE3ELS4_3ELS4_3ELNS0_20block_scan_algorithmE0ELj4294967295EEENS1_25partition_config_selectorILNS1_17partition_subalgoE3EjNS0_10empty_typeEbEEZZNS1_14partition_implILS8_3ELb0ES6_jNS0_17counting_iteratorIjlEEPS9_SE_NS0_5tupleIJPjSE_EEENSF_IJSE_SE_EEES9_SG_JZNS1_25segmented_radix_sort_implINS0_14default_configELb1EPKbPbPKlPlN2at6native12_GLOBAL__N_18offset_tEEE10hipError_tPvRmT1_PNSt15iterator_traitsISY_E10value_typeET2_T3_PNSZ_IS14_E10value_typeET4_jRbjT5_S1A_jjP12ihipStream_tbEUljE_EEESV_SW_SX_S14_S18_S1A_T6_T7_T9_mT8_S1C_bDpT10_ENKUlT_T0_E_clISt17integral_constantIbLb1EES1P_EEDaS1K_S1L_EUlS1K_E_NS1_11comp_targetILNS1_3genE5ELNS1_11target_archE942ELNS1_3gpuE9ELNS1_3repE0EEENS1_30default_config_static_selectorELNS0_4arch9wavefront6targetE0EEEvSY_
    .private_segment_fixed_size: 0
    .sgpr_count:     0
    .sgpr_spill_count: 0
    .symbol:         _ZN7rocprim17ROCPRIM_400000_NS6detail17trampoline_kernelINS0_13select_configILj256ELj13ELNS0_17block_load_methodE3ELS4_3ELS4_3ELNS0_20block_scan_algorithmE0ELj4294967295EEENS1_25partition_config_selectorILNS1_17partition_subalgoE3EjNS0_10empty_typeEbEEZZNS1_14partition_implILS8_3ELb0ES6_jNS0_17counting_iteratorIjlEEPS9_SE_NS0_5tupleIJPjSE_EEENSF_IJSE_SE_EEES9_SG_JZNS1_25segmented_radix_sort_implINS0_14default_configELb1EPKbPbPKlPlN2at6native12_GLOBAL__N_18offset_tEEE10hipError_tPvRmT1_PNSt15iterator_traitsISY_E10value_typeET2_T3_PNSZ_IS14_E10value_typeET4_jRbjT5_S1A_jjP12ihipStream_tbEUljE_EEESV_SW_SX_S14_S18_S1A_T6_T7_T9_mT8_S1C_bDpT10_ENKUlT_T0_E_clISt17integral_constantIbLb1EES1P_EEDaS1K_S1L_EUlS1K_E_NS1_11comp_targetILNS1_3genE5ELNS1_11target_archE942ELNS1_3gpuE9ELNS1_3repE0EEENS1_30default_config_static_selectorELNS0_4arch9wavefront6targetE0EEEvSY_.kd
    .uniform_work_group_size: 1
    .uses_dynamic_stack: false
    .vgpr_count:     0
    .vgpr_spill_count: 0
    .wavefront_size: 32
    .workgroup_processor_mode: 1
  - .args:
      - .offset:         0
        .size:           152
        .value_kind:     by_value
    .group_segment_fixed_size: 0
    .kernarg_segment_align: 8
    .kernarg_segment_size: 152
    .language:       OpenCL C
    .language_version:
      - 2
      - 0
    .max_flat_workgroup_size: 256
    .name:           _ZN7rocprim17ROCPRIM_400000_NS6detail17trampoline_kernelINS0_13select_configILj256ELj13ELNS0_17block_load_methodE3ELS4_3ELS4_3ELNS0_20block_scan_algorithmE0ELj4294967295EEENS1_25partition_config_selectorILNS1_17partition_subalgoE3EjNS0_10empty_typeEbEEZZNS1_14partition_implILS8_3ELb0ES6_jNS0_17counting_iteratorIjlEEPS9_SE_NS0_5tupleIJPjSE_EEENSF_IJSE_SE_EEES9_SG_JZNS1_25segmented_radix_sort_implINS0_14default_configELb1EPKbPbPKlPlN2at6native12_GLOBAL__N_18offset_tEEE10hipError_tPvRmT1_PNSt15iterator_traitsISY_E10value_typeET2_T3_PNSZ_IS14_E10value_typeET4_jRbjT5_S1A_jjP12ihipStream_tbEUljE_EEESV_SW_SX_S14_S18_S1A_T6_T7_T9_mT8_S1C_bDpT10_ENKUlT_T0_E_clISt17integral_constantIbLb1EES1P_EEDaS1K_S1L_EUlS1K_E_NS1_11comp_targetILNS1_3genE4ELNS1_11target_archE910ELNS1_3gpuE8ELNS1_3repE0EEENS1_30default_config_static_selectorELNS0_4arch9wavefront6targetE0EEEvSY_
    .private_segment_fixed_size: 0
    .sgpr_count:     0
    .sgpr_spill_count: 0
    .symbol:         _ZN7rocprim17ROCPRIM_400000_NS6detail17trampoline_kernelINS0_13select_configILj256ELj13ELNS0_17block_load_methodE3ELS4_3ELS4_3ELNS0_20block_scan_algorithmE0ELj4294967295EEENS1_25partition_config_selectorILNS1_17partition_subalgoE3EjNS0_10empty_typeEbEEZZNS1_14partition_implILS8_3ELb0ES6_jNS0_17counting_iteratorIjlEEPS9_SE_NS0_5tupleIJPjSE_EEENSF_IJSE_SE_EEES9_SG_JZNS1_25segmented_radix_sort_implINS0_14default_configELb1EPKbPbPKlPlN2at6native12_GLOBAL__N_18offset_tEEE10hipError_tPvRmT1_PNSt15iterator_traitsISY_E10value_typeET2_T3_PNSZ_IS14_E10value_typeET4_jRbjT5_S1A_jjP12ihipStream_tbEUljE_EEESV_SW_SX_S14_S18_S1A_T6_T7_T9_mT8_S1C_bDpT10_ENKUlT_T0_E_clISt17integral_constantIbLb1EES1P_EEDaS1K_S1L_EUlS1K_E_NS1_11comp_targetILNS1_3genE4ELNS1_11target_archE910ELNS1_3gpuE8ELNS1_3repE0EEENS1_30default_config_static_selectorELNS0_4arch9wavefront6targetE0EEEvSY_.kd
    .uniform_work_group_size: 1
    .uses_dynamic_stack: false
    .vgpr_count:     0
    .vgpr_spill_count: 0
    .wavefront_size: 32
    .workgroup_processor_mode: 1
  - .args:
      - .offset:         0
        .size:           152
        .value_kind:     by_value
    .group_segment_fixed_size: 0
    .kernarg_segment_align: 8
    .kernarg_segment_size: 152
    .language:       OpenCL C
    .language_version:
      - 2
      - 0
    .max_flat_workgroup_size: 256
    .name:           _ZN7rocprim17ROCPRIM_400000_NS6detail17trampoline_kernelINS0_13select_configILj256ELj13ELNS0_17block_load_methodE3ELS4_3ELS4_3ELNS0_20block_scan_algorithmE0ELj4294967295EEENS1_25partition_config_selectorILNS1_17partition_subalgoE3EjNS0_10empty_typeEbEEZZNS1_14partition_implILS8_3ELb0ES6_jNS0_17counting_iteratorIjlEEPS9_SE_NS0_5tupleIJPjSE_EEENSF_IJSE_SE_EEES9_SG_JZNS1_25segmented_radix_sort_implINS0_14default_configELb1EPKbPbPKlPlN2at6native12_GLOBAL__N_18offset_tEEE10hipError_tPvRmT1_PNSt15iterator_traitsISY_E10value_typeET2_T3_PNSZ_IS14_E10value_typeET4_jRbjT5_S1A_jjP12ihipStream_tbEUljE_EEESV_SW_SX_S14_S18_S1A_T6_T7_T9_mT8_S1C_bDpT10_ENKUlT_T0_E_clISt17integral_constantIbLb1EES1P_EEDaS1K_S1L_EUlS1K_E_NS1_11comp_targetILNS1_3genE3ELNS1_11target_archE908ELNS1_3gpuE7ELNS1_3repE0EEENS1_30default_config_static_selectorELNS0_4arch9wavefront6targetE0EEEvSY_
    .private_segment_fixed_size: 0
    .sgpr_count:     0
    .sgpr_spill_count: 0
    .symbol:         _ZN7rocprim17ROCPRIM_400000_NS6detail17trampoline_kernelINS0_13select_configILj256ELj13ELNS0_17block_load_methodE3ELS4_3ELS4_3ELNS0_20block_scan_algorithmE0ELj4294967295EEENS1_25partition_config_selectorILNS1_17partition_subalgoE3EjNS0_10empty_typeEbEEZZNS1_14partition_implILS8_3ELb0ES6_jNS0_17counting_iteratorIjlEEPS9_SE_NS0_5tupleIJPjSE_EEENSF_IJSE_SE_EEES9_SG_JZNS1_25segmented_radix_sort_implINS0_14default_configELb1EPKbPbPKlPlN2at6native12_GLOBAL__N_18offset_tEEE10hipError_tPvRmT1_PNSt15iterator_traitsISY_E10value_typeET2_T3_PNSZ_IS14_E10value_typeET4_jRbjT5_S1A_jjP12ihipStream_tbEUljE_EEESV_SW_SX_S14_S18_S1A_T6_T7_T9_mT8_S1C_bDpT10_ENKUlT_T0_E_clISt17integral_constantIbLb1EES1P_EEDaS1K_S1L_EUlS1K_E_NS1_11comp_targetILNS1_3genE3ELNS1_11target_archE908ELNS1_3gpuE7ELNS1_3repE0EEENS1_30default_config_static_selectorELNS0_4arch9wavefront6targetE0EEEvSY_.kd
    .uniform_work_group_size: 1
    .uses_dynamic_stack: false
    .vgpr_count:     0
    .vgpr_spill_count: 0
    .wavefront_size: 32
    .workgroup_processor_mode: 1
  - .args:
      - .offset:         0
        .size:           152
        .value_kind:     by_value
    .group_segment_fixed_size: 0
    .kernarg_segment_align: 8
    .kernarg_segment_size: 152
    .language:       OpenCL C
    .language_version:
      - 2
      - 0
    .max_flat_workgroup_size: 256
    .name:           _ZN7rocprim17ROCPRIM_400000_NS6detail17trampoline_kernelINS0_13select_configILj256ELj13ELNS0_17block_load_methodE3ELS4_3ELS4_3ELNS0_20block_scan_algorithmE0ELj4294967295EEENS1_25partition_config_selectorILNS1_17partition_subalgoE3EjNS0_10empty_typeEbEEZZNS1_14partition_implILS8_3ELb0ES6_jNS0_17counting_iteratorIjlEEPS9_SE_NS0_5tupleIJPjSE_EEENSF_IJSE_SE_EEES9_SG_JZNS1_25segmented_radix_sort_implINS0_14default_configELb1EPKbPbPKlPlN2at6native12_GLOBAL__N_18offset_tEEE10hipError_tPvRmT1_PNSt15iterator_traitsISY_E10value_typeET2_T3_PNSZ_IS14_E10value_typeET4_jRbjT5_S1A_jjP12ihipStream_tbEUljE_EEESV_SW_SX_S14_S18_S1A_T6_T7_T9_mT8_S1C_bDpT10_ENKUlT_T0_E_clISt17integral_constantIbLb1EES1P_EEDaS1K_S1L_EUlS1K_E_NS1_11comp_targetILNS1_3genE2ELNS1_11target_archE906ELNS1_3gpuE6ELNS1_3repE0EEENS1_30default_config_static_selectorELNS0_4arch9wavefront6targetE0EEEvSY_
    .private_segment_fixed_size: 0
    .sgpr_count:     0
    .sgpr_spill_count: 0
    .symbol:         _ZN7rocprim17ROCPRIM_400000_NS6detail17trampoline_kernelINS0_13select_configILj256ELj13ELNS0_17block_load_methodE3ELS4_3ELS4_3ELNS0_20block_scan_algorithmE0ELj4294967295EEENS1_25partition_config_selectorILNS1_17partition_subalgoE3EjNS0_10empty_typeEbEEZZNS1_14partition_implILS8_3ELb0ES6_jNS0_17counting_iteratorIjlEEPS9_SE_NS0_5tupleIJPjSE_EEENSF_IJSE_SE_EEES9_SG_JZNS1_25segmented_radix_sort_implINS0_14default_configELb1EPKbPbPKlPlN2at6native12_GLOBAL__N_18offset_tEEE10hipError_tPvRmT1_PNSt15iterator_traitsISY_E10value_typeET2_T3_PNSZ_IS14_E10value_typeET4_jRbjT5_S1A_jjP12ihipStream_tbEUljE_EEESV_SW_SX_S14_S18_S1A_T6_T7_T9_mT8_S1C_bDpT10_ENKUlT_T0_E_clISt17integral_constantIbLb1EES1P_EEDaS1K_S1L_EUlS1K_E_NS1_11comp_targetILNS1_3genE2ELNS1_11target_archE906ELNS1_3gpuE6ELNS1_3repE0EEENS1_30default_config_static_selectorELNS0_4arch9wavefront6targetE0EEEvSY_.kd
    .uniform_work_group_size: 1
    .uses_dynamic_stack: false
    .vgpr_count:     0
    .vgpr_spill_count: 0
    .wavefront_size: 32
    .workgroup_processor_mode: 1
  - .args:
      - .offset:         0
        .size:           152
        .value_kind:     by_value
    .group_segment_fixed_size: 0
    .kernarg_segment_align: 8
    .kernarg_segment_size: 152
    .language:       OpenCL C
    .language_version:
      - 2
      - 0
    .max_flat_workgroup_size: 256
    .name:           _ZN7rocprim17ROCPRIM_400000_NS6detail17trampoline_kernelINS0_13select_configILj256ELj13ELNS0_17block_load_methodE3ELS4_3ELS4_3ELNS0_20block_scan_algorithmE0ELj4294967295EEENS1_25partition_config_selectorILNS1_17partition_subalgoE3EjNS0_10empty_typeEbEEZZNS1_14partition_implILS8_3ELb0ES6_jNS0_17counting_iteratorIjlEEPS9_SE_NS0_5tupleIJPjSE_EEENSF_IJSE_SE_EEES9_SG_JZNS1_25segmented_radix_sort_implINS0_14default_configELb1EPKbPbPKlPlN2at6native12_GLOBAL__N_18offset_tEEE10hipError_tPvRmT1_PNSt15iterator_traitsISY_E10value_typeET2_T3_PNSZ_IS14_E10value_typeET4_jRbjT5_S1A_jjP12ihipStream_tbEUljE_EEESV_SW_SX_S14_S18_S1A_T6_T7_T9_mT8_S1C_bDpT10_ENKUlT_T0_E_clISt17integral_constantIbLb1EES1P_EEDaS1K_S1L_EUlS1K_E_NS1_11comp_targetILNS1_3genE10ELNS1_11target_archE1200ELNS1_3gpuE4ELNS1_3repE0EEENS1_30default_config_static_selectorELNS0_4arch9wavefront6targetE0EEEvSY_
    .private_segment_fixed_size: 0
    .sgpr_count:     0
    .sgpr_spill_count: 0
    .symbol:         _ZN7rocprim17ROCPRIM_400000_NS6detail17trampoline_kernelINS0_13select_configILj256ELj13ELNS0_17block_load_methodE3ELS4_3ELS4_3ELNS0_20block_scan_algorithmE0ELj4294967295EEENS1_25partition_config_selectorILNS1_17partition_subalgoE3EjNS0_10empty_typeEbEEZZNS1_14partition_implILS8_3ELb0ES6_jNS0_17counting_iteratorIjlEEPS9_SE_NS0_5tupleIJPjSE_EEENSF_IJSE_SE_EEES9_SG_JZNS1_25segmented_radix_sort_implINS0_14default_configELb1EPKbPbPKlPlN2at6native12_GLOBAL__N_18offset_tEEE10hipError_tPvRmT1_PNSt15iterator_traitsISY_E10value_typeET2_T3_PNSZ_IS14_E10value_typeET4_jRbjT5_S1A_jjP12ihipStream_tbEUljE_EEESV_SW_SX_S14_S18_S1A_T6_T7_T9_mT8_S1C_bDpT10_ENKUlT_T0_E_clISt17integral_constantIbLb1EES1P_EEDaS1K_S1L_EUlS1K_E_NS1_11comp_targetILNS1_3genE10ELNS1_11target_archE1200ELNS1_3gpuE4ELNS1_3repE0EEENS1_30default_config_static_selectorELNS0_4arch9wavefront6targetE0EEEvSY_.kd
    .uniform_work_group_size: 1
    .uses_dynamic_stack: false
    .vgpr_count:     0
    .vgpr_spill_count: 0
    .wavefront_size: 32
    .workgroup_processor_mode: 1
  - .args:
      - .offset:         0
        .size:           152
        .value_kind:     by_value
    .group_segment_fixed_size: 0
    .kernarg_segment_align: 8
    .kernarg_segment_size: 152
    .language:       OpenCL C
    .language_version:
      - 2
      - 0
    .max_flat_workgroup_size: 256
    .name:           _ZN7rocprim17ROCPRIM_400000_NS6detail17trampoline_kernelINS0_13select_configILj256ELj13ELNS0_17block_load_methodE3ELS4_3ELS4_3ELNS0_20block_scan_algorithmE0ELj4294967295EEENS1_25partition_config_selectorILNS1_17partition_subalgoE3EjNS0_10empty_typeEbEEZZNS1_14partition_implILS8_3ELb0ES6_jNS0_17counting_iteratorIjlEEPS9_SE_NS0_5tupleIJPjSE_EEENSF_IJSE_SE_EEES9_SG_JZNS1_25segmented_radix_sort_implINS0_14default_configELb1EPKbPbPKlPlN2at6native12_GLOBAL__N_18offset_tEEE10hipError_tPvRmT1_PNSt15iterator_traitsISY_E10value_typeET2_T3_PNSZ_IS14_E10value_typeET4_jRbjT5_S1A_jjP12ihipStream_tbEUljE_EEESV_SW_SX_S14_S18_S1A_T6_T7_T9_mT8_S1C_bDpT10_ENKUlT_T0_E_clISt17integral_constantIbLb1EES1P_EEDaS1K_S1L_EUlS1K_E_NS1_11comp_targetILNS1_3genE9ELNS1_11target_archE1100ELNS1_3gpuE3ELNS1_3repE0EEENS1_30default_config_static_selectorELNS0_4arch9wavefront6targetE0EEEvSY_
    .private_segment_fixed_size: 0
    .sgpr_count:     0
    .sgpr_spill_count: 0
    .symbol:         _ZN7rocprim17ROCPRIM_400000_NS6detail17trampoline_kernelINS0_13select_configILj256ELj13ELNS0_17block_load_methodE3ELS4_3ELS4_3ELNS0_20block_scan_algorithmE0ELj4294967295EEENS1_25partition_config_selectorILNS1_17partition_subalgoE3EjNS0_10empty_typeEbEEZZNS1_14partition_implILS8_3ELb0ES6_jNS0_17counting_iteratorIjlEEPS9_SE_NS0_5tupleIJPjSE_EEENSF_IJSE_SE_EEES9_SG_JZNS1_25segmented_radix_sort_implINS0_14default_configELb1EPKbPbPKlPlN2at6native12_GLOBAL__N_18offset_tEEE10hipError_tPvRmT1_PNSt15iterator_traitsISY_E10value_typeET2_T3_PNSZ_IS14_E10value_typeET4_jRbjT5_S1A_jjP12ihipStream_tbEUljE_EEESV_SW_SX_S14_S18_S1A_T6_T7_T9_mT8_S1C_bDpT10_ENKUlT_T0_E_clISt17integral_constantIbLb1EES1P_EEDaS1K_S1L_EUlS1K_E_NS1_11comp_targetILNS1_3genE9ELNS1_11target_archE1100ELNS1_3gpuE3ELNS1_3repE0EEENS1_30default_config_static_selectorELNS0_4arch9wavefront6targetE0EEEvSY_.kd
    .uniform_work_group_size: 1
    .uses_dynamic_stack: false
    .vgpr_count:     0
    .vgpr_spill_count: 0
    .wavefront_size: 32
    .workgroup_processor_mode: 1
  - .args:
      - .offset:         0
        .size:           152
        .value_kind:     by_value
    .group_segment_fixed_size: 0
    .kernarg_segment_align: 8
    .kernarg_segment_size: 152
    .language:       OpenCL C
    .language_version:
      - 2
      - 0
    .max_flat_workgroup_size: 256
    .name:           _ZN7rocprim17ROCPRIM_400000_NS6detail17trampoline_kernelINS0_13select_configILj256ELj13ELNS0_17block_load_methodE3ELS4_3ELS4_3ELNS0_20block_scan_algorithmE0ELj4294967295EEENS1_25partition_config_selectorILNS1_17partition_subalgoE3EjNS0_10empty_typeEbEEZZNS1_14partition_implILS8_3ELb0ES6_jNS0_17counting_iteratorIjlEEPS9_SE_NS0_5tupleIJPjSE_EEENSF_IJSE_SE_EEES9_SG_JZNS1_25segmented_radix_sort_implINS0_14default_configELb1EPKbPbPKlPlN2at6native12_GLOBAL__N_18offset_tEEE10hipError_tPvRmT1_PNSt15iterator_traitsISY_E10value_typeET2_T3_PNSZ_IS14_E10value_typeET4_jRbjT5_S1A_jjP12ihipStream_tbEUljE_EEESV_SW_SX_S14_S18_S1A_T6_T7_T9_mT8_S1C_bDpT10_ENKUlT_T0_E_clISt17integral_constantIbLb1EES1P_EEDaS1K_S1L_EUlS1K_E_NS1_11comp_targetILNS1_3genE8ELNS1_11target_archE1030ELNS1_3gpuE2ELNS1_3repE0EEENS1_30default_config_static_selectorELNS0_4arch9wavefront6targetE0EEEvSY_
    .private_segment_fixed_size: 0
    .sgpr_count:     0
    .sgpr_spill_count: 0
    .symbol:         _ZN7rocprim17ROCPRIM_400000_NS6detail17trampoline_kernelINS0_13select_configILj256ELj13ELNS0_17block_load_methodE3ELS4_3ELS4_3ELNS0_20block_scan_algorithmE0ELj4294967295EEENS1_25partition_config_selectorILNS1_17partition_subalgoE3EjNS0_10empty_typeEbEEZZNS1_14partition_implILS8_3ELb0ES6_jNS0_17counting_iteratorIjlEEPS9_SE_NS0_5tupleIJPjSE_EEENSF_IJSE_SE_EEES9_SG_JZNS1_25segmented_radix_sort_implINS0_14default_configELb1EPKbPbPKlPlN2at6native12_GLOBAL__N_18offset_tEEE10hipError_tPvRmT1_PNSt15iterator_traitsISY_E10value_typeET2_T3_PNSZ_IS14_E10value_typeET4_jRbjT5_S1A_jjP12ihipStream_tbEUljE_EEESV_SW_SX_S14_S18_S1A_T6_T7_T9_mT8_S1C_bDpT10_ENKUlT_T0_E_clISt17integral_constantIbLb1EES1P_EEDaS1K_S1L_EUlS1K_E_NS1_11comp_targetILNS1_3genE8ELNS1_11target_archE1030ELNS1_3gpuE2ELNS1_3repE0EEENS1_30default_config_static_selectorELNS0_4arch9wavefront6targetE0EEEvSY_.kd
    .uniform_work_group_size: 1
    .uses_dynamic_stack: false
    .vgpr_count:     0
    .vgpr_spill_count: 0
    .wavefront_size: 32
    .workgroup_processor_mode: 1
  - .args:
      - .offset:         0
        .size:           144
        .value_kind:     by_value
    .group_segment_fixed_size: 0
    .kernarg_segment_align: 8
    .kernarg_segment_size: 144
    .language:       OpenCL C
    .language_version:
      - 2
      - 0
    .max_flat_workgroup_size: 256
    .name:           _ZN7rocprim17ROCPRIM_400000_NS6detail17trampoline_kernelINS0_13select_configILj256ELj13ELNS0_17block_load_methodE3ELS4_3ELS4_3ELNS0_20block_scan_algorithmE0ELj4294967295EEENS1_25partition_config_selectorILNS1_17partition_subalgoE3EjNS0_10empty_typeEbEEZZNS1_14partition_implILS8_3ELb0ES6_jNS0_17counting_iteratorIjlEEPS9_SE_NS0_5tupleIJPjSE_EEENSF_IJSE_SE_EEES9_SG_JZNS1_25segmented_radix_sort_implINS0_14default_configELb1EPKbPbPKlPlN2at6native12_GLOBAL__N_18offset_tEEE10hipError_tPvRmT1_PNSt15iterator_traitsISY_E10value_typeET2_T3_PNSZ_IS14_E10value_typeET4_jRbjT5_S1A_jjP12ihipStream_tbEUljE_EEESV_SW_SX_S14_S18_S1A_T6_T7_T9_mT8_S1C_bDpT10_ENKUlT_T0_E_clISt17integral_constantIbLb1EES1O_IbLb0EEEEDaS1K_S1L_EUlS1K_E_NS1_11comp_targetILNS1_3genE0ELNS1_11target_archE4294967295ELNS1_3gpuE0ELNS1_3repE0EEENS1_30default_config_static_selectorELNS0_4arch9wavefront6targetE0EEEvSY_
    .private_segment_fixed_size: 0
    .sgpr_count:     0
    .sgpr_spill_count: 0
    .symbol:         _ZN7rocprim17ROCPRIM_400000_NS6detail17trampoline_kernelINS0_13select_configILj256ELj13ELNS0_17block_load_methodE3ELS4_3ELS4_3ELNS0_20block_scan_algorithmE0ELj4294967295EEENS1_25partition_config_selectorILNS1_17partition_subalgoE3EjNS0_10empty_typeEbEEZZNS1_14partition_implILS8_3ELb0ES6_jNS0_17counting_iteratorIjlEEPS9_SE_NS0_5tupleIJPjSE_EEENSF_IJSE_SE_EEES9_SG_JZNS1_25segmented_radix_sort_implINS0_14default_configELb1EPKbPbPKlPlN2at6native12_GLOBAL__N_18offset_tEEE10hipError_tPvRmT1_PNSt15iterator_traitsISY_E10value_typeET2_T3_PNSZ_IS14_E10value_typeET4_jRbjT5_S1A_jjP12ihipStream_tbEUljE_EEESV_SW_SX_S14_S18_S1A_T6_T7_T9_mT8_S1C_bDpT10_ENKUlT_T0_E_clISt17integral_constantIbLb1EES1O_IbLb0EEEEDaS1K_S1L_EUlS1K_E_NS1_11comp_targetILNS1_3genE0ELNS1_11target_archE4294967295ELNS1_3gpuE0ELNS1_3repE0EEENS1_30default_config_static_selectorELNS0_4arch9wavefront6targetE0EEEvSY_.kd
    .uniform_work_group_size: 1
    .uses_dynamic_stack: false
    .vgpr_count:     0
    .vgpr_spill_count: 0
    .wavefront_size: 32
    .workgroup_processor_mode: 1
  - .args:
      - .offset:         0
        .size:           144
        .value_kind:     by_value
    .group_segment_fixed_size: 0
    .kernarg_segment_align: 8
    .kernarg_segment_size: 144
    .language:       OpenCL C
    .language_version:
      - 2
      - 0
    .max_flat_workgroup_size: 256
    .name:           _ZN7rocprim17ROCPRIM_400000_NS6detail17trampoline_kernelINS0_13select_configILj256ELj13ELNS0_17block_load_methodE3ELS4_3ELS4_3ELNS0_20block_scan_algorithmE0ELj4294967295EEENS1_25partition_config_selectorILNS1_17partition_subalgoE3EjNS0_10empty_typeEbEEZZNS1_14partition_implILS8_3ELb0ES6_jNS0_17counting_iteratorIjlEEPS9_SE_NS0_5tupleIJPjSE_EEENSF_IJSE_SE_EEES9_SG_JZNS1_25segmented_radix_sort_implINS0_14default_configELb1EPKbPbPKlPlN2at6native12_GLOBAL__N_18offset_tEEE10hipError_tPvRmT1_PNSt15iterator_traitsISY_E10value_typeET2_T3_PNSZ_IS14_E10value_typeET4_jRbjT5_S1A_jjP12ihipStream_tbEUljE_EEESV_SW_SX_S14_S18_S1A_T6_T7_T9_mT8_S1C_bDpT10_ENKUlT_T0_E_clISt17integral_constantIbLb1EES1O_IbLb0EEEEDaS1K_S1L_EUlS1K_E_NS1_11comp_targetILNS1_3genE5ELNS1_11target_archE942ELNS1_3gpuE9ELNS1_3repE0EEENS1_30default_config_static_selectorELNS0_4arch9wavefront6targetE0EEEvSY_
    .private_segment_fixed_size: 0
    .sgpr_count:     0
    .sgpr_spill_count: 0
    .symbol:         _ZN7rocprim17ROCPRIM_400000_NS6detail17trampoline_kernelINS0_13select_configILj256ELj13ELNS0_17block_load_methodE3ELS4_3ELS4_3ELNS0_20block_scan_algorithmE0ELj4294967295EEENS1_25partition_config_selectorILNS1_17partition_subalgoE3EjNS0_10empty_typeEbEEZZNS1_14partition_implILS8_3ELb0ES6_jNS0_17counting_iteratorIjlEEPS9_SE_NS0_5tupleIJPjSE_EEENSF_IJSE_SE_EEES9_SG_JZNS1_25segmented_radix_sort_implINS0_14default_configELb1EPKbPbPKlPlN2at6native12_GLOBAL__N_18offset_tEEE10hipError_tPvRmT1_PNSt15iterator_traitsISY_E10value_typeET2_T3_PNSZ_IS14_E10value_typeET4_jRbjT5_S1A_jjP12ihipStream_tbEUljE_EEESV_SW_SX_S14_S18_S1A_T6_T7_T9_mT8_S1C_bDpT10_ENKUlT_T0_E_clISt17integral_constantIbLb1EES1O_IbLb0EEEEDaS1K_S1L_EUlS1K_E_NS1_11comp_targetILNS1_3genE5ELNS1_11target_archE942ELNS1_3gpuE9ELNS1_3repE0EEENS1_30default_config_static_selectorELNS0_4arch9wavefront6targetE0EEEvSY_.kd
    .uniform_work_group_size: 1
    .uses_dynamic_stack: false
    .vgpr_count:     0
    .vgpr_spill_count: 0
    .wavefront_size: 32
    .workgroup_processor_mode: 1
  - .args:
      - .offset:         0
        .size:           144
        .value_kind:     by_value
    .group_segment_fixed_size: 0
    .kernarg_segment_align: 8
    .kernarg_segment_size: 144
    .language:       OpenCL C
    .language_version:
      - 2
      - 0
    .max_flat_workgroup_size: 256
    .name:           _ZN7rocprim17ROCPRIM_400000_NS6detail17trampoline_kernelINS0_13select_configILj256ELj13ELNS0_17block_load_methodE3ELS4_3ELS4_3ELNS0_20block_scan_algorithmE0ELj4294967295EEENS1_25partition_config_selectorILNS1_17partition_subalgoE3EjNS0_10empty_typeEbEEZZNS1_14partition_implILS8_3ELb0ES6_jNS0_17counting_iteratorIjlEEPS9_SE_NS0_5tupleIJPjSE_EEENSF_IJSE_SE_EEES9_SG_JZNS1_25segmented_radix_sort_implINS0_14default_configELb1EPKbPbPKlPlN2at6native12_GLOBAL__N_18offset_tEEE10hipError_tPvRmT1_PNSt15iterator_traitsISY_E10value_typeET2_T3_PNSZ_IS14_E10value_typeET4_jRbjT5_S1A_jjP12ihipStream_tbEUljE_EEESV_SW_SX_S14_S18_S1A_T6_T7_T9_mT8_S1C_bDpT10_ENKUlT_T0_E_clISt17integral_constantIbLb1EES1O_IbLb0EEEEDaS1K_S1L_EUlS1K_E_NS1_11comp_targetILNS1_3genE4ELNS1_11target_archE910ELNS1_3gpuE8ELNS1_3repE0EEENS1_30default_config_static_selectorELNS0_4arch9wavefront6targetE0EEEvSY_
    .private_segment_fixed_size: 0
    .sgpr_count:     0
    .sgpr_spill_count: 0
    .symbol:         _ZN7rocprim17ROCPRIM_400000_NS6detail17trampoline_kernelINS0_13select_configILj256ELj13ELNS0_17block_load_methodE3ELS4_3ELS4_3ELNS0_20block_scan_algorithmE0ELj4294967295EEENS1_25partition_config_selectorILNS1_17partition_subalgoE3EjNS0_10empty_typeEbEEZZNS1_14partition_implILS8_3ELb0ES6_jNS0_17counting_iteratorIjlEEPS9_SE_NS0_5tupleIJPjSE_EEENSF_IJSE_SE_EEES9_SG_JZNS1_25segmented_radix_sort_implINS0_14default_configELb1EPKbPbPKlPlN2at6native12_GLOBAL__N_18offset_tEEE10hipError_tPvRmT1_PNSt15iterator_traitsISY_E10value_typeET2_T3_PNSZ_IS14_E10value_typeET4_jRbjT5_S1A_jjP12ihipStream_tbEUljE_EEESV_SW_SX_S14_S18_S1A_T6_T7_T9_mT8_S1C_bDpT10_ENKUlT_T0_E_clISt17integral_constantIbLb1EES1O_IbLb0EEEEDaS1K_S1L_EUlS1K_E_NS1_11comp_targetILNS1_3genE4ELNS1_11target_archE910ELNS1_3gpuE8ELNS1_3repE0EEENS1_30default_config_static_selectorELNS0_4arch9wavefront6targetE0EEEvSY_.kd
    .uniform_work_group_size: 1
    .uses_dynamic_stack: false
    .vgpr_count:     0
    .vgpr_spill_count: 0
    .wavefront_size: 32
    .workgroup_processor_mode: 1
  - .args:
      - .offset:         0
        .size:           144
        .value_kind:     by_value
    .group_segment_fixed_size: 0
    .kernarg_segment_align: 8
    .kernarg_segment_size: 144
    .language:       OpenCL C
    .language_version:
      - 2
      - 0
    .max_flat_workgroup_size: 256
    .name:           _ZN7rocprim17ROCPRIM_400000_NS6detail17trampoline_kernelINS0_13select_configILj256ELj13ELNS0_17block_load_methodE3ELS4_3ELS4_3ELNS0_20block_scan_algorithmE0ELj4294967295EEENS1_25partition_config_selectorILNS1_17partition_subalgoE3EjNS0_10empty_typeEbEEZZNS1_14partition_implILS8_3ELb0ES6_jNS0_17counting_iteratorIjlEEPS9_SE_NS0_5tupleIJPjSE_EEENSF_IJSE_SE_EEES9_SG_JZNS1_25segmented_radix_sort_implINS0_14default_configELb1EPKbPbPKlPlN2at6native12_GLOBAL__N_18offset_tEEE10hipError_tPvRmT1_PNSt15iterator_traitsISY_E10value_typeET2_T3_PNSZ_IS14_E10value_typeET4_jRbjT5_S1A_jjP12ihipStream_tbEUljE_EEESV_SW_SX_S14_S18_S1A_T6_T7_T9_mT8_S1C_bDpT10_ENKUlT_T0_E_clISt17integral_constantIbLb1EES1O_IbLb0EEEEDaS1K_S1L_EUlS1K_E_NS1_11comp_targetILNS1_3genE3ELNS1_11target_archE908ELNS1_3gpuE7ELNS1_3repE0EEENS1_30default_config_static_selectorELNS0_4arch9wavefront6targetE0EEEvSY_
    .private_segment_fixed_size: 0
    .sgpr_count:     0
    .sgpr_spill_count: 0
    .symbol:         _ZN7rocprim17ROCPRIM_400000_NS6detail17trampoline_kernelINS0_13select_configILj256ELj13ELNS0_17block_load_methodE3ELS4_3ELS4_3ELNS0_20block_scan_algorithmE0ELj4294967295EEENS1_25partition_config_selectorILNS1_17partition_subalgoE3EjNS0_10empty_typeEbEEZZNS1_14partition_implILS8_3ELb0ES6_jNS0_17counting_iteratorIjlEEPS9_SE_NS0_5tupleIJPjSE_EEENSF_IJSE_SE_EEES9_SG_JZNS1_25segmented_radix_sort_implINS0_14default_configELb1EPKbPbPKlPlN2at6native12_GLOBAL__N_18offset_tEEE10hipError_tPvRmT1_PNSt15iterator_traitsISY_E10value_typeET2_T3_PNSZ_IS14_E10value_typeET4_jRbjT5_S1A_jjP12ihipStream_tbEUljE_EEESV_SW_SX_S14_S18_S1A_T6_T7_T9_mT8_S1C_bDpT10_ENKUlT_T0_E_clISt17integral_constantIbLb1EES1O_IbLb0EEEEDaS1K_S1L_EUlS1K_E_NS1_11comp_targetILNS1_3genE3ELNS1_11target_archE908ELNS1_3gpuE7ELNS1_3repE0EEENS1_30default_config_static_selectorELNS0_4arch9wavefront6targetE0EEEvSY_.kd
    .uniform_work_group_size: 1
    .uses_dynamic_stack: false
    .vgpr_count:     0
    .vgpr_spill_count: 0
    .wavefront_size: 32
    .workgroup_processor_mode: 1
  - .args:
      - .offset:         0
        .size:           144
        .value_kind:     by_value
    .group_segment_fixed_size: 0
    .kernarg_segment_align: 8
    .kernarg_segment_size: 144
    .language:       OpenCL C
    .language_version:
      - 2
      - 0
    .max_flat_workgroup_size: 256
    .name:           _ZN7rocprim17ROCPRIM_400000_NS6detail17trampoline_kernelINS0_13select_configILj256ELj13ELNS0_17block_load_methodE3ELS4_3ELS4_3ELNS0_20block_scan_algorithmE0ELj4294967295EEENS1_25partition_config_selectorILNS1_17partition_subalgoE3EjNS0_10empty_typeEbEEZZNS1_14partition_implILS8_3ELb0ES6_jNS0_17counting_iteratorIjlEEPS9_SE_NS0_5tupleIJPjSE_EEENSF_IJSE_SE_EEES9_SG_JZNS1_25segmented_radix_sort_implINS0_14default_configELb1EPKbPbPKlPlN2at6native12_GLOBAL__N_18offset_tEEE10hipError_tPvRmT1_PNSt15iterator_traitsISY_E10value_typeET2_T3_PNSZ_IS14_E10value_typeET4_jRbjT5_S1A_jjP12ihipStream_tbEUljE_EEESV_SW_SX_S14_S18_S1A_T6_T7_T9_mT8_S1C_bDpT10_ENKUlT_T0_E_clISt17integral_constantIbLb1EES1O_IbLb0EEEEDaS1K_S1L_EUlS1K_E_NS1_11comp_targetILNS1_3genE2ELNS1_11target_archE906ELNS1_3gpuE6ELNS1_3repE0EEENS1_30default_config_static_selectorELNS0_4arch9wavefront6targetE0EEEvSY_
    .private_segment_fixed_size: 0
    .sgpr_count:     0
    .sgpr_spill_count: 0
    .symbol:         _ZN7rocprim17ROCPRIM_400000_NS6detail17trampoline_kernelINS0_13select_configILj256ELj13ELNS0_17block_load_methodE3ELS4_3ELS4_3ELNS0_20block_scan_algorithmE0ELj4294967295EEENS1_25partition_config_selectorILNS1_17partition_subalgoE3EjNS0_10empty_typeEbEEZZNS1_14partition_implILS8_3ELb0ES6_jNS0_17counting_iteratorIjlEEPS9_SE_NS0_5tupleIJPjSE_EEENSF_IJSE_SE_EEES9_SG_JZNS1_25segmented_radix_sort_implINS0_14default_configELb1EPKbPbPKlPlN2at6native12_GLOBAL__N_18offset_tEEE10hipError_tPvRmT1_PNSt15iterator_traitsISY_E10value_typeET2_T3_PNSZ_IS14_E10value_typeET4_jRbjT5_S1A_jjP12ihipStream_tbEUljE_EEESV_SW_SX_S14_S18_S1A_T6_T7_T9_mT8_S1C_bDpT10_ENKUlT_T0_E_clISt17integral_constantIbLb1EES1O_IbLb0EEEEDaS1K_S1L_EUlS1K_E_NS1_11comp_targetILNS1_3genE2ELNS1_11target_archE906ELNS1_3gpuE6ELNS1_3repE0EEENS1_30default_config_static_selectorELNS0_4arch9wavefront6targetE0EEEvSY_.kd
    .uniform_work_group_size: 1
    .uses_dynamic_stack: false
    .vgpr_count:     0
    .vgpr_spill_count: 0
    .wavefront_size: 32
    .workgroup_processor_mode: 1
  - .args:
      - .offset:         0
        .size:           144
        .value_kind:     by_value
    .group_segment_fixed_size: 0
    .kernarg_segment_align: 8
    .kernarg_segment_size: 144
    .language:       OpenCL C
    .language_version:
      - 2
      - 0
    .max_flat_workgroup_size: 256
    .name:           _ZN7rocprim17ROCPRIM_400000_NS6detail17trampoline_kernelINS0_13select_configILj256ELj13ELNS0_17block_load_methodE3ELS4_3ELS4_3ELNS0_20block_scan_algorithmE0ELj4294967295EEENS1_25partition_config_selectorILNS1_17partition_subalgoE3EjNS0_10empty_typeEbEEZZNS1_14partition_implILS8_3ELb0ES6_jNS0_17counting_iteratorIjlEEPS9_SE_NS0_5tupleIJPjSE_EEENSF_IJSE_SE_EEES9_SG_JZNS1_25segmented_radix_sort_implINS0_14default_configELb1EPKbPbPKlPlN2at6native12_GLOBAL__N_18offset_tEEE10hipError_tPvRmT1_PNSt15iterator_traitsISY_E10value_typeET2_T3_PNSZ_IS14_E10value_typeET4_jRbjT5_S1A_jjP12ihipStream_tbEUljE_EEESV_SW_SX_S14_S18_S1A_T6_T7_T9_mT8_S1C_bDpT10_ENKUlT_T0_E_clISt17integral_constantIbLb1EES1O_IbLb0EEEEDaS1K_S1L_EUlS1K_E_NS1_11comp_targetILNS1_3genE10ELNS1_11target_archE1200ELNS1_3gpuE4ELNS1_3repE0EEENS1_30default_config_static_selectorELNS0_4arch9wavefront6targetE0EEEvSY_
    .private_segment_fixed_size: 0
    .sgpr_count:     0
    .sgpr_spill_count: 0
    .symbol:         _ZN7rocprim17ROCPRIM_400000_NS6detail17trampoline_kernelINS0_13select_configILj256ELj13ELNS0_17block_load_methodE3ELS4_3ELS4_3ELNS0_20block_scan_algorithmE0ELj4294967295EEENS1_25partition_config_selectorILNS1_17partition_subalgoE3EjNS0_10empty_typeEbEEZZNS1_14partition_implILS8_3ELb0ES6_jNS0_17counting_iteratorIjlEEPS9_SE_NS0_5tupleIJPjSE_EEENSF_IJSE_SE_EEES9_SG_JZNS1_25segmented_radix_sort_implINS0_14default_configELb1EPKbPbPKlPlN2at6native12_GLOBAL__N_18offset_tEEE10hipError_tPvRmT1_PNSt15iterator_traitsISY_E10value_typeET2_T3_PNSZ_IS14_E10value_typeET4_jRbjT5_S1A_jjP12ihipStream_tbEUljE_EEESV_SW_SX_S14_S18_S1A_T6_T7_T9_mT8_S1C_bDpT10_ENKUlT_T0_E_clISt17integral_constantIbLb1EES1O_IbLb0EEEEDaS1K_S1L_EUlS1K_E_NS1_11comp_targetILNS1_3genE10ELNS1_11target_archE1200ELNS1_3gpuE4ELNS1_3repE0EEENS1_30default_config_static_selectorELNS0_4arch9wavefront6targetE0EEEvSY_.kd
    .uniform_work_group_size: 1
    .uses_dynamic_stack: false
    .vgpr_count:     0
    .vgpr_spill_count: 0
    .wavefront_size: 32
    .workgroup_processor_mode: 1
  - .args:
      - .offset:         0
        .size:           144
        .value_kind:     by_value
    .group_segment_fixed_size: 0
    .kernarg_segment_align: 8
    .kernarg_segment_size: 144
    .language:       OpenCL C
    .language_version:
      - 2
      - 0
    .max_flat_workgroup_size: 256
    .name:           _ZN7rocprim17ROCPRIM_400000_NS6detail17trampoline_kernelINS0_13select_configILj256ELj13ELNS0_17block_load_methodE3ELS4_3ELS4_3ELNS0_20block_scan_algorithmE0ELj4294967295EEENS1_25partition_config_selectorILNS1_17partition_subalgoE3EjNS0_10empty_typeEbEEZZNS1_14partition_implILS8_3ELb0ES6_jNS0_17counting_iteratorIjlEEPS9_SE_NS0_5tupleIJPjSE_EEENSF_IJSE_SE_EEES9_SG_JZNS1_25segmented_radix_sort_implINS0_14default_configELb1EPKbPbPKlPlN2at6native12_GLOBAL__N_18offset_tEEE10hipError_tPvRmT1_PNSt15iterator_traitsISY_E10value_typeET2_T3_PNSZ_IS14_E10value_typeET4_jRbjT5_S1A_jjP12ihipStream_tbEUljE_EEESV_SW_SX_S14_S18_S1A_T6_T7_T9_mT8_S1C_bDpT10_ENKUlT_T0_E_clISt17integral_constantIbLb1EES1O_IbLb0EEEEDaS1K_S1L_EUlS1K_E_NS1_11comp_targetILNS1_3genE9ELNS1_11target_archE1100ELNS1_3gpuE3ELNS1_3repE0EEENS1_30default_config_static_selectorELNS0_4arch9wavefront6targetE0EEEvSY_
    .private_segment_fixed_size: 0
    .sgpr_count:     0
    .sgpr_spill_count: 0
    .symbol:         _ZN7rocprim17ROCPRIM_400000_NS6detail17trampoline_kernelINS0_13select_configILj256ELj13ELNS0_17block_load_methodE3ELS4_3ELS4_3ELNS0_20block_scan_algorithmE0ELj4294967295EEENS1_25partition_config_selectorILNS1_17partition_subalgoE3EjNS0_10empty_typeEbEEZZNS1_14partition_implILS8_3ELb0ES6_jNS0_17counting_iteratorIjlEEPS9_SE_NS0_5tupleIJPjSE_EEENSF_IJSE_SE_EEES9_SG_JZNS1_25segmented_radix_sort_implINS0_14default_configELb1EPKbPbPKlPlN2at6native12_GLOBAL__N_18offset_tEEE10hipError_tPvRmT1_PNSt15iterator_traitsISY_E10value_typeET2_T3_PNSZ_IS14_E10value_typeET4_jRbjT5_S1A_jjP12ihipStream_tbEUljE_EEESV_SW_SX_S14_S18_S1A_T6_T7_T9_mT8_S1C_bDpT10_ENKUlT_T0_E_clISt17integral_constantIbLb1EES1O_IbLb0EEEEDaS1K_S1L_EUlS1K_E_NS1_11comp_targetILNS1_3genE9ELNS1_11target_archE1100ELNS1_3gpuE3ELNS1_3repE0EEENS1_30default_config_static_selectorELNS0_4arch9wavefront6targetE0EEEvSY_.kd
    .uniform_work_group_size: 1
    .uses_dynamic_stack: false
    .vgpr_count:     0
    .vgpr_spill_count: 0
    .wavefront_size: 32
    .workgroup_processor_mode: 1
  - .args:
      - .offset:         0
        .size:           144
        .value_kind:     by_value
    .group_segment_fixed_size: 0
    .kernarg_segment_align: 8
    .kernarg_segment_size: 144
    .language:       OpenCL C
    .language_version:
      - 2
      - 0
    .max_flat_workgroup_size: 256
    .name:           _ZN7rocprim17ROCPRIM_400000_NS6detail17trampoline_kernelINS0_13select_configILj256ELj13ELNS0_17block_load_methodE3ELS4_3ELS4_3ELNS0_20block_scan_algorithmE0ELj4294967295EEENS1_25partition_config_selectorILNS1_17partition_subalgoE3EjNS0_10empty_typeEbEEZZNS1_14partition_implILS8_3ELb0ES6_jNS0_17counting_iteratorIjlEEPS9_SE_NS0_5tupleIJPjSE_EEENSF_IJSE_SE_EEES9_SG_JZNS1_25segmented_radix_sort_implINS0_14default_configELb1EPKbPbPKlPlN2at6native12_GLOBAL__N_18offset_tEEE10hipError_tPvRmT1_PNSt15iterator_traitsISY_E10value_typeET2_T3_PNSZ_IS14_E10value_typeET4_jRbjT5_S1A_jjP12ihipStream_tbEUljE_EEESV_SW_SX_S14_S18_S1A_T6_T7_T9_mT8_S1C_bDpT10_ENKUlT_T0_E_clISt17integral_constantIbLb1EES1O_IbLb0EEEEDaS1K_S1L_EUlS1K_E_NS1_11comp_targetILNS1_3genE8ELNS1_11target_archE1030ELNS1_3gpuE2ELNS1_3repE0EEENS1_30default_config_static_selectorELNS0_4arch9wavefront6targetE0EEEvSY_
    .private_segment_fixed_size: 0
    .sgpr_count:     0
    .sgpr_spill_count: 0
    .symbol:         _ZN7rocprim17ROCPRIM_400000_NS6detail17trampoline_kernelINS0_13select_configILj256ELj13ELNS0_17block_load_methodE3ELS4_3ELS4_3ELNS0_20block_scan_algorithmE0ELj4294967295EEENS1_25partition_config_selectorILNS1_17partition_subalgoE3EjNS0_10empty_typeEbEEZZNS1_14partition_implILS8_3ELb0ES6_jNS0_17counting_iteratorIjlEEPS9_SE_NS0_5tupleIJPjSE_EEENSF_IJSE_SE_EEES9_SG_JZNS1_25segmented_radix_sort_implINS0_14default_configELb1EPKbPbPKlPlN2at6native12_GLOBAL__N_18offset_tEEE10hipError_tPvRmT1_PNSt15iterator_traitsISY_E10value_typeET2_T3_PNSZ_IS14_E10value_typeET4_jRbjT5_S1A_jjP12ihipStream_tbEUljE_EEESV_SW_SX_S14_S18_S1A_T6_T7_T9_mT8_S1C_bDpT10_ENKUlT_T0_E_clISt17integral_constantIbLb1EES1O_IbLb0EEEEDaS1K_S1L_EUlS1K_E_NS1_11comp_targetILNS1_3genE8ELNS1_11target_archE1030ELNS1_3gpuE2ELNS1_3repE0EEENS1_30default_config_static_selectorELNS0_4arch9wavefront6targetE0EEEvSY_.kd
    .uniform_work_group_size: 1
    .uses_dynamic_stack: false
    .vgpr_count:     0
    .vgpr_spill_count: 0
    .wavefront_size: 32
    .workgroup_processor_mode: 1
  - .args:
      - .offset:         0
        .size:           152
        .value_kind:     by_value
    .group_segment_fixed_size: 0
    .kernarg_segment_align: 8
    .kernarg_segment_size: 152
    .language:       OpenCL C
    .language_version:
      - 2
      - 0
    .max_flat_workgroup_size: 256
    .name:           _ZN7rocprim17ROCPRIM_400000_NS6detail17trampoline_kernelINS0_13select_configILj256ELj13ELNS0_17block_load_methodE3ELS4_3ELS4_3ELNS0_20block_scan_algorithmE0ELj4294967295EEENS1_25partition_config_selectorILNS1_17partition_subalgoE3EjNS0_10empty_typeEbEEZZNS1_14partition_implILS8_3ELb0ES6_jNS0_17counting_iteratorIjlEEPS9_SE_NS0_5tupleIJPjSE_EEENSF_IJSE_SE_EEES9_SG_JZNS1_25segmented_radix_sort_implINS0_14default_configELb1EPKbPbPKlPlN2at6native12_GLOBAL__N_18offset_tEEE10hipError_tPvRmT1_PNSt15iterator_traitsISY_E10value_typeET2_T3_PNSZ_IS14_E10value_typeET4_jRbjT5_S1A_jjP12ihipStream_tbEUljE_EEESV_SW_SX_S14_S18_S1A_T6_T7_T9_mT8_S1C_bDpT10_ENKUlT_T0_E_clISt17integral_constantIbLb0EES1O_IbLb1EEEEDaS1K_S1L_EUlS1K_E_NS1_11comp_targetILNS1_3genE0ELNS1_11target_archE4294967295ELNS1_3gpuE0ELNS1_3repE0EEENS1_30default_config_static_selectorELNS0_4arch9wavefront6targetE0EEEvSY_
    .private_segment_fixed_size: 0
    .sgpr_count:     0
    .sgpr_spill_count: 0
    .symbol:         _ZN7rocprim17ROCPRIM_400000_NS6detail17trampoline_kernelINS0_13select_configILj256ELj13ELNS0_17block_load_methodE3ELS4_3ELS4_3ELNS0_20block_scan_algorithmE0ELj4294967295EEENS1_25partition_config_selectorILNS1_17partition_subalgoE3EjNS0_10empty_typeEbEEZZNS1_14partition_implILS8_3ELb0ES6_jNS0_17counting_iteratorIjlEEPS9_SE_NS0_5tupleIJPjSE_EEENSF_IJSE_SE_EEES9_SG_JZNS1_25segmented_radix_sort_implINS0_14default_configELb1EPKbPbPKlPlN2at6native12_GLOBAL__N_18offset_tEEE10hipError_tPvRmT1_PNSt15iterator_traitsISY_E10value_typeET2_T3_PNSZ_IS14_E10value_typeET4_jRbjT5_S1A_jjP12ihipStream_tbEUljE_EEESV_SW_SX_S14_S18_S1A_T6_T7_T9_mT8_S1C_bDpT10_ENKUlT_T0_E_clISt17integral_constantIbLb0EES1O_IbLb1EEEEDaS1K_S1L_EUlS1K_E_NS1_11comp_targetILNS1_3genE0ELNS1_11target_archE4294967295ELNS1_3gpuE0ELNS1_3repE0EEENS1_30default_config_static_selectorELNS0_4arch9wavefront6targetE0EEEvSY_.kd
    .uniform_work_group_size: 1
    .uses_dynamic_stack: false
    .vgpr_count:     0
    .vgpr_spill_count: 0
    .wavefront_size: 32
    .workgroup_processor_mode: 1
  - .args:
      - .offset:         0
        .size:           152
        .value_kind:     by_value
    .group_segment_fixed_size: 0
    .kernarg_segment_align: 8
    .kernarg_segment_size: 152
    .language:       OpenCL C
    .language_version:
      - 2
      - 0
    .max_flat_workgroup_size: 256
    .name:           _ZN7rocprim17ROCPRIM_400000_NS6detail17trampoline_kernelINS0_13select_configILj256ELj13ELNS0_17block_load_methodE3ELS4_3ELS4_3ELNS0_20block_scan_algorithmE0ELj4294967295EEENS1_25partition_config_selectorILNS1_17partition_subalgoE3EjNS0_10empty_typeEbEEZZNS1_14partition_implILS8_3ELb0ES6_jNS0_17counting_iteratorIjlEEPS9_SE_NS0_5tupleIJPjSE_EEENSF_IJSE_SE_EEES9_SG_JZNS1_25segmented_radix_sort_implINS0_14default_configELb1EPKbPbPKlPlN2at6native12_GLOBAL__N_18offset_tEEE10hipError_tPvRmT1_PNSt15iterator_traitsISY_E10value_typeET2_T3_PNSZ_IS14_E10value_typeET4_jRbjT5_S1A_jjP12ihipStream_tbEUljE_EEESV_SW_SX_S14_S18_S1A_T6_T7_T9_mT8_S1C_bDpT10_ENKUlT_T0_E_clISt17integral_constantIbLb0EES1O_IbLb1EEEEDaS1K_S1L_EUlS1K_E_NS1_11comp_targetILNS1_3genE5ELNS1_11target_archE942ELNS1_3gpuE9ELNS1_3repE0EEENS1_30default_config_static_selectorELNS0_4arch9wavefront6targetE0EEEvSY_
    .private_segment_fixed_size: 0
    .sgpr_count:     0
    .sgpr_spill_count: 0
    .symbol:         _ZN7rocprim17ROCPRIM_400000_NS6detail17trampoline_kernelINS0_13select_configILj256ELj13ELNS0_17block_load_methodE3ELS4_3ELS4_3ELNS0_20block_scan_algorithmE0ELj4294967295EEENS1_25partition_config_selectorILNS1_17partition_subalgoE3EjNS0_10empty_typeEbEEZZNS1_14partition_implILS8_3ELb0ES6_jNS0_17counting_iteratorIjlEEPS9_SE_NS0_5tupleIJPjSE_EEENSF_IJSE_SE_EEES9_SG_JZNS1_25segmented_radix_sort_implINS0_14default_configELb1EPKbPbPKlPlN2at6native12_GLOBAL__N_18offset_tEEE10hipError_tPvRmT1_PNSt15iterator_traitsISY_E10value_typeET2_T3_PNSZ_IS14_E10value_typeET4_jRbjT5_S1A_jjP12ihipStream_tbEUljE_EEESV_SW_SX_S14_S18_S1A_T6_T7_T9_mT8_S1C_bDpT10_ENKUlT_T0_E_clISt17integral_constantIbLb0EES1O_IbLb1EEEEDaS1K_S1L_EUlS1K_E_NS1_11comp_targetILNS1_3genE5ELNS1_11target_archE942ELNS1_3gpuE9ELNS1_3repE0EEENS1_30default_config_static_selectorELNS0_4arch9wavefront6targetE0EEEvSY_.kd
    .uniform_work_group_size: 1
    .uses_dynamic_stack: false
    .vgpr_count:     0
    .vgpr_spill_count: 0
    .wavefront_size: 32
    .workgroup_processor_mode: 1
  - .args:
      - .offset:         0
        .size:           152
        .value_kind:     by_value
    .group_segment_fixed_size: 0
    .kernarg_segment_align: 8
    .kernarg_segment_size: 152
    .language:       OpenCL C
    .language_version:
      - 2
      - 0
    .max_flat_workgroup_size: 256
    .name:           _ZN7rocprim17ROCPRIM_400000_NS6detail17trampoline_kernelINS0_13select_configILj256ELj13ELNS0_17block_load_methodE3ELS4_3ELS4_3ELNS0_20block_scan_algorithmE0ELj4294967295EEENS1_25partition_config_selectorILNS1_17partition_subalgoE3EjNS0_10empty_typeEbEEZZNS1_14partition_implILS8_3ELb0ES6_jNS0_17counting_iteratorIjlEEPS9_SE_NS0_5tupleIJPjSE_EEENSF_IJSE_SE_EEES9_SG_JZNS1_25segmented_radix_sort_implINS0_14default_configELb1EPKbPbPKlPlN2at6native12_GLOBAL__N_18offset_tEEE10hipError_tPvRmT1_PNSt15iterator_traitsISY_E10value_typeET2_T3_PNSZ_IS14_E10value_typeET4_jRbjT5_S1A_jjP12ihipStream_tbEUljE_EEESV_SW_SX_S14_S18_S1A_T6_T7_T9_mT8_S1C_bDpT10_ENKUlT_T0_E_clISt17integral_constantIbLb0EES1O_IbLb1EEEEDaS1K_S1L_EUlS1K_E_NS1_11comp_targetILNS1_3genE4ELNS1_11target_archE910ELNS1_3gpuE8ELNS1_3repE0EEENS1_30default_config_static_selectorELNS0_4arch9wavefront6targetE0EEEvSY_
    .private_segment_fixed_size: 0
    .sgpr_count:     0
    .sgpr_spill_count: 0
    .symbol:         _ZN7rocprim17ROCPRIM_400000_NS6detail17trampoline_kernelINS0_13select_configILj256ELj13ELNS0_17block_load_methodE3ELS4_3ELS4_3ELNS0_20block_scan_algorithmE0ELj4294967295EEENS1_25partition_config_selectorILNS1_17partition_subalgoE3EjNS0_10empty_typeEbEEZZNS1_14partition_implILS8_3ELb0ES6_jNS0_17counting_iteratorIjlEEPS9_SE_NS0_5tupleIJPjSE_EEENSF_IJSE_SE_EEES9_SG_JZNS1_25segmented_radix_sort_implINS0_14default_configELb1EPKbPbPKlPlN2at6native12_GLOBAL__N_18offset_tEEE10hipError_tPvRmT1_PNSt15iterator_traitsISY_E10value_typeET2_T3_PNSZ_IS14_E10value_typeET4_jRbjT5_S1A_jjP12ihipStream_tbEUljE_EEESV_SW_SX_S14_S18_S1A_T6_T7_T9_mT8_S1C_bDpT10_ENKUlT_T0_E_clISt17integral_constantIbLb0EES1O_IbLb1EEEEDaS1K_S1L_EUlS1K_E_NS1_11comp_targetILNS1_3genE4ELNS1_11target_archE910ELNS1_3gpuE8ELNS1_3repE0EEENS1_30default_config_static_selectorELNS0_4arch9wavefront6targetE0EEEvSY_.kd
    .uniform_work_group_size: 1
    .uses_dynamic_stack: false
    .vgpr_count:     0
    .vgpr_spill_count: 0
    .wavefront_size: 32
    .workgroup_processor_mode: 1
  - .args:
      - .offset:         0
        .size:           152
        .value_kind:     by_value
    .group_segment_fixed_size: 0
    .kernarg_segment_align: 8
    .kernarg_segment_size: 152
    .language:       OpenCL C
    .language_version:
      - 2
      - 0
    .max_flat_workgroup_size: 256
    .name:           _ZN7rocprim17ROCPRIM_400000_NS6detail17trampoline_kernelINS0_13select_configILj256ELj13ELNS0_17block_load_methodE3ELS4_3ELS4_3ELNS0_20block_scan_algorithmE0ELj4294967295EEENS1_25partition_config_selectorILNS1_17partition_subalgoE3EjNS0_10empty_typeEbEEZZNS1_14partition_implILS8_3ELb0ES6_jNS0_17counting_iteratorIjlEEPS9_SE_NS0_5tupleIJPjSE_EEENSF_IJSE_SE_EEES9_SG_JZNS1_25segmented_radix_sort_implINS0_14default_configELb1EPKbPbPKlPlN2at6native12_GLOBAL__N_18offset_tEEE10hipError_tPvRmT1_PNSt15iterator_traitsISY_E10value_typeET2_T3_PNSZ_IS14_E10value_typeET4_jRbjT5_S1A_jjP12ihipStream_tbEUljE_EEESV_SW_SX_S14_S18_S1A_T6_T7_T9_mT8_S1C_bDpT10_ENKUlT_T0_E_clISt17integral_constantIbLb0EES1O_IbLb1EEEEDaS1K_S1L_EUlS1K_E_NS1_11comp_targetILNS1_3genE3ELNS1_11target_archE908ELNS1_3gpuE7ELNS1_3repE0EEENS1_30default_config_static_selectorELNS0_4arch9wavefront6targetE0EEEvSY_
    .private_segment_fixed_size: 0
    .sgpr_count:     0
    .sgpr_spill_count: 0
    .symbol:         _ZN7rocprim17ROCPRIM_400000_NS6detail17trampoline_kernelINS0_13select_configILj256ELj13ELNS0_17block_load_methodE3ELS4_3ELS4_3ELNS0_20block_scan_algorithmE0ELj4294967295EEENS1_25partition_config_selectorILNS1_17partition_subalgoE3EjNS0_10empty_typeEbEEZZNS1_14partition_implILS8_3ELb0ES6_jNS0_17counting_iteratorIjlEEPS9_SE_NS0_5tupleIJPjSE_EEENSF_IJSE_SE_EEES9_SG_JZNS1_25segmented_radix_sort_implINS0_14default_configELb1EPKbPbPKlPlN2at6native12_GLOBAL__N_18offset_tEEE10hipError_tPvRmT1_PNSt15iterator_traitsISY_E10value_typeET2_T3_PNSZ_IS14_E10value_typeET4_jRbjT5_S1A_jjP12ihipStream_tbEUljE_EEESV_SW_SX_S14_S18_S1A_T6_T7_T9_mT8_S1C_bDpT10_ENKUlT_T0_E_clISt17integral_constantIbLb0EES1O_IbLb1EEEEDaS1K_S1L_EUlS1K_E_NS1_11comp_targetILNS1_3genE3ELNS1_11target_archE908ELNS1_3gpuE7ELNS1_3repE0EEENS1_30default_config_static_selectorELNS0_4arch9wavefront6targetE0EEEvSY_.kd
    .uniform_work_group_size: 1
    .uses_dynamic_stack: false
    .vgpr_count:     0
    .vgpr_spill_count: 0
    .wavefront_size: 32
    .workgroup_processor_mode: 1
  - .args:
      - .offset:         0
        .size:           152
        .value_kind:     by_value
    .group_segment_fixed_size: 0
    .kernarg_segment_align: 8
    .kernarg_segment_size: 152
    .language:       OpenCL C
    .language_version:
      - 2
      - 0
    .max_flat_workgroup_size: 256
    .name:           _ZN7rocprim17ROCPRIM_400000_NS6detail17trampoline_kernelINS0_13select_configILj256ELj13ELNS0_17block_load_methodE3ELS4_3ELS4_3ELNS0_20block_scan_algorithmE0ELj4294967295EEENS1_25partition_config_selectorILNS1_17partition_subalgoE3EjNS0_10empty_typeEbEEZZNS1_14partition_implILS8_3ELb0ES6_jNS0_17counting_iteratorIjlEEPS9_SE_NS0_5tupleIJPjSE_EEENSF_IJSE_SE_EEES9_SG_JZNS1_25segmented_radix_sort_implINS0_14default_configELb1EPKbPbPKlPlN2at6native12_GLOBAL__N_18offset_tEEE10hipError_tPvRmT1_PNSt15iterator_traitsISY_E10value_typeET2_T3_PNSZ_IS14_E10value_typeET4_jRbjT5_S1A_jjP12ihipStream_tbEUljE_EEESV_SW_SX_S14_S18_S1A_T6_T7_T9_mT8_S1C_bDpT10_ENKUlT_T0_E_clISt17integral_constantIbLb0EES1O_IbLb1EEEEDaS1K_S1L_EUlS1K_E_NS1_11comp_targetILNS1_3genE2ELNS1_11target_archE906ELNS1_3gpuE6ELNS1_3repE0EEENS1_30default_config_static_selectorELNS0_4arch9wavefront6targetE0EEEvSY_
    .private_segment_fixed_size: 0
    .sgpr_count:     0
    .sgpr_spill_count: 0
    .symbol:         _ZN7rocprim17ROCPRIM_400000_NS6detail17trampoline_kernelINS0_13select_configILj256ELj13ELNS0_17block_load_methodE3ELS4_3ELS4_3ELNS0_20block_scan_algorithmE0ELj4294967295EEENS1_25partition_config_selectorILNS1_17partition_subalgoE3EjNS0_10empty_typeEbEEZZNS1_14partition_implILS8_3ELb0ES6_jNS0_17counting_iteratorIjlEEPS9_SE_NS0_5tupleIJPjSE_EEENSF_IJSE_SE_EEES9_SG_JZNS1_25segmented_radix_sort_implINS0_14default_configELb1EPKbPbPKlPlN2at6native12_GLOBAL__N_18offset_tEEE10hipError_tPvRmT1_PNSt15iterator_traitsISY_E10value_typeET2_T3_PNSZ_IS14_E10value_typeET4_jRbjT5_S1A_jjP12ihipStream_tbEUljE_EEESV_SW_SX_S14_S18_S1A_T6_T7_T9_mT8_S1C_bDpT10_ENKUlT_T0_E_clISt17integral_constantIbLb0EES1O_IbLb1EEEEDaS1K_S1L_EUlS1K_E_NS1_11comp_targetILNS1_3genE2ELNS1_11target_archE906ELNS1_3gpuE6ELNS1_3repE0EEENS1_30default_config_static_selectorELNS0_4arch9wavefront6targetE0EEEvSY_.kd
    .uniform_work_group_size: 1
    .uses_dynamic_stack: false
    .vgpr_count:     0
    .vgpr_spill_count: 0
    .wavefront_size: 32
    .workgroup_processor_mode: 1
  - .args:
      - .offset:         0
        .size:           152
        .value_kind:     by_value
    .group_segment_fixed_size: 0
    .kernarg_segment_align: 8
    .kernarg_segment_size: 152
    .language:       OpenCL C
    .language_version:
      - 2
      - 0
    .max_flat_workgroup_size: 256
    .name:           _ZN7rocprim17ROCPRIM_400000_NS6detail17trampoline_kernelINS0_13select_configILj256ELj13ELNS0_17block_load_methodE3ELS4_3ELS4_3ELNS0_20block_scan_algorithmE0ELj4294967295EEENS1_25partition_config_selectorILNS1_17partition_subalgoE3EjNS0_10empty_typeEbEEZZNS1_14partition_implILS8_3ELb0ES6_jNS0_17counting_iteratorIjlEEPS9_SE_NS0_5tupleIJPjSE_EEENSF_IJSE_SE_EEES9_SG_JZNS1_25segmented_radix_sort_implINS0_14default_configELb1EPKbPbPKlPlN2at6native12_GLOBAL__N_18offset_tEEE10hipError_tPvRmT1_PNSt15iterator_traitsISY_E10value_typeET2_T3_PNSZ_IS14_E10value_typeET4_jRbjT5_S1A_jjP12ihipStream_tbEUljE_EEESV_SW_SX_S14_S18_S1A_T6_T7_T9_mT8_S1C_bDpT10_ENKUlT_T0_E_clISt17integral_constantIbLb0EES1O_IbLb1EEEEDaS1K_S1L_EUlS1K_E_NS1_11comp_targetILNS1_3genE10ELNS1_11target_archE1200ELNS1_3gpuE4ELNS1_3repE0EEENS1_30default_config_static_selectorELNS0_4arch9wavefront6targetE0EEEvSY_
    .private_segment_fixed_size: 0
    .sgpr_count:     0
    .sgpr_spill_count: 0
    .symbol:         _ZN7rocprim17ROCPRIM_400000_NS6detail17trampoline_kernelINS0_13select_configILj256ELj13ELNS0_17block_load_methodE3ELS4_3ELS4_3ELNS0_20block_scan_algorithmE0ELj4294967295EEENS1_25partition_config_selectorILNS1_17partition_subalgoE3EjNS0_10empty_typeEbEEZZNS1_14partition_implILS8_3ELb0ES6_jNS0_17counting_iteratorIjlEEPS9_SE_NS0_5tupleIJPjSE_EEENSF_IJSE_SE_EEES9_SG_JZNS1_25segmented_radix_sort_implINS0_14default_configELb1EPKbPbPKlPlN2at6native12_GLOBAL__N_18offset_tEEE10hipError_tPvRmT1_PNSt15iterator_traitsISY_E10value_typeET2_T3_PNSZ_IS14_E10value_typeET4_jRbjT5_S1A_jjP12ihipStream_tbEUljE_EEESV_SW_SX_S14_S18_S1A_T6_T7_T9_mT8_S1C_bDpT10_ENKUlT_T0_E_clISt17integral_constantIbLb0EES1O_IbLb1EEEEDaS1K_S1L_EUlS1K_E_NS1_11comp_targetILNS1_3genE10ELNS1_11target_archE1200ELNS1_3gpuE4ELNS1_3repE0EEENS1_30default_config_static_selectorELNS0_4arch9wavefront6targetE0EEEvSY_.kd
    .uniform_work_group_size: 1
    .uses_dynamic_stack: false
    .vgpr_count:     0
    .vgpr_spill_count: 0
    .wavefront_size: 32
    .workgroup_processor_mode: 1
  - .args:
      - .offset:         0
        .size:           152
        .value_kind:     by_value
    .group_segment_fixed_size: 0
    .kernarg_segment_align: 8
    .kernarg_segment_size: 152
    .language:       OpenCL C
    .language_version:
      - 2
      - 0
    .max_flat_workgroup_size: 256
    .name:           _ZN7rocprim17ROCPRIM_400000_NS6detail17trampoline_kernelINS0_13select_configILj256ELj13ELNS0_17block_load_methodE3ELS4_3ELS4_3ELNS0_20block_scan_algorithmE0ELj4294967295EEENS1_25partition_config_selectorILNS1_17partition_subalgoE3EjNS0_10empty_typeEbEEZZNS1_14partition_implILS8_3ELb0ES6_jNS0_17counting_iteratorIjlEEPS9_SE_NS0_5tupleIJPjSE_EEENSF_IJSE_SE_EEES9_SG_JZNS1_25segmented_radix_sort_implINS0_14default_configELb1EPKbPbPKlPlN2at6native12_GLOBAL__N_18offset_tEEE10hipError_tPvRmT1_PNSt15iterator_traitsISY_E10value_typeET2_T3_PNSZ_IS14_E10value_typeET4_jRbjT5_S1A_jjP12ihipStream_tbEUljE_EEESV_SW_SX_S14_S18_S1A_T6_T7_T9_mT8_S1C_bDpT10_ENKUlT_T0_E_clISt17integral_constantIbLb0EES1O_IbLb1EEEEDaS1K_S1L_EUlS1K_E_NS1_11comp_targetILNS1_3genE9ELNS1_11target_archE1100ELNS1_3gpuE3ELNS1_3repE0EEENS1_30default_config_static_selectorELNS0_4arch9wavefront6targetE0EEEvSY_
    .private_segment_fixed_size: 0
    .sgpr_count:     0
    .sgpr_spill_count: 0
    .symbol:         _ZN7rocprim17ROCPRIM_400000_NS6detail17trampoline_kernelINS0_13select_configILj256ELj13ELNS0_17block_load_methodE3ELS4_3ELS4_3ELNS0_20block_scan_algorithmE0ELj4294967295EEENS1_25partition_config_selectorILNS1_17partition_subalgoE3EjNS0_10empty_typeEbEEZZNS1_14partition_implILS8_3ELb0ES6_jNS0_17counting_iteratorIjlEEPS9_SE_NS0_5tupleIJPjSE_EEENSF_IJSE_SE_EEES9_SG_JZNS1_25segmented_radix_sort_implINS0_14default_configELb1EPKbPbPKlPlN2at6native12_GLOBAL__N_18offset_tEEE10hipError_tPvRmT1_PNSt15iterator_traitsISY_E10value_typeET2_T3_PNSZ_IS14_E10value_typeET4_jRbjT5_S1A_jjP12ihipStream_tbEUljE_EEESV_SW_SX_S14_S18_S1A_T6_T7_T9_mT8_S1C_bDpT10_ENKUlT_T0_E_clISt17integral_constantIbLb0EES1O_IbLb1EEEEDaS1K_S1L_EUlS1K_E_NS1_11comp_targetILNS1_3genE9ELNS1_11target_archE1100ELNS1_3gpuE3ELNS1_3repE0EEENS1_30default_config_static_selectorELNS0_4arch9wavefront6targetE0EEEvSY_.kd
    .uniform_work_group_size: 1
    .uses_dynamic_stack: false
    .vgpr_count:     0
    .vgpr_spill_count: 0
    .wavefront_size: 32
    .workgroup_processor_mode: 1
  - .args:
      - .offset:         0
        .size:           152
        .value_kind:     by_value
    .group_segment_fixed_size: 13320
    .kernarg_segment_align: 8
    .kernarg_segment_size: 152
    .language:       OpenCL C
    .language_version:
      - 2
      - 0
    .max_flat_workgroup_size: 256
    .name:           _ZN7rocprim17ROCPRIM_400000_NS6detail17trampoline_kernelINS0_13select_configILj256ELj13ELNS0_17block_load_methodE3ELS4_3ELS4_3ELNS0_20block_scan_algorithmE0ELj4294967295EEENS1_25partition_config_selectorILNS1_17partition_subalgoE3EjNS0_10empty_typeEbEEZZNS1_14partition_implILS8_3ELb0ES6_jNS0_17counting_iteratorIjlEEPS9_SE_NS0_5tupleIJPjSE_EEENSF_IJSE_SE_EEES9_SG_JZNS1_25segmented_radix_sort_implINS0_14default_configELb1EPKbPbPKlPlN2at6native12_GLOBAL__N_18offset_tEEE10hipError_tPvRmT1_PNSt15iterator_traitsISY_E10value_typeET2_T3_PNSZ_IS14_E10value_typeET4_jRbjT5_S1A_jjP12ihipStream_tbEUljE_EEESV_SW_SX_S14_S18_S1A_T6_T7_T9_mT8_S1C_bDpT10_ENKUlT_T0_E_clISt17integral_constantIbLb0EES1O_IbLb1EEEEDaS1K_S1L_EUlS1K_E_NS1_11comp_targetILNS1_3genE8ELNS1_11target_archE1030ELNS1_3gpuE2ELNS1_3repE0EEENS1_30default_config_static_selectorELNS0_4arch9wavefront6targetE0EEEvSY_
    .private_segment_fixed_size: 0
    .sgpr_count:     28
    .sgpr_spill_count: 0
    .symbol:         _ZN7rocprim17ROCPRIM_400000_NS6detail17trampoline_kernelINS0_13select_configILj256ELj13ELNS0_17block_load_methodE3ELS4_3ELS4_3ELNS0_20block_scan_algorithmE0ELj4294967295EEENS1_25partition_config_selectorILNS1_17partition_subalgoE3EjNS0_10empty_typeEbEEZZNS1_14partition_implILS8_3ELb0ES6_jNS0_17counting_iteratorIjlEEPS9_SE_NS0_5tupleIJPjSE_EEENSF_IJSE_SE_EEES9_SG_JZNS1_25segmented_radix_sort_implINS0_14default_configELb1EPKbPbPKlPlN2at6native12_GLOBAL__N_18offset_tEEE10hipError_tPvRmT1_PNSt15iterator_traitsISY_E10value_typeET2_T3_PNSZ_IS14_E10value_typeET4_jRbjT5_S1A_jjP12ihipStream_tbEUljE_EEESV_SW_SX_S14_S18_S1A_T6_T7_T9_mT8_S1C_bDpT10_ENKUlT_T0_E_clISt17integral_constantIbLb0EES1O_IbLb1EEEEDaS1K_S1L_EUlS1K_E_NS1_11comp_targetILNS1_3genE8ELNS1_11target_archE1030ELNS1_3gpuE2ELNS1_3repE0EEENS1_30default_config_static_selectorELNS0_4arch9wavefront6targetE0EEEvSY_.kd
    .uniform_work_group_size: 1
    .uses_dynamic_stack: false
    .vgpr_count:     71
    .vgpr_spill_count: 0
    .wavefront_size: 32
    .workgroup_processor_mode: 1
  - .args:
      - .offset:         0
        .size:           96
        .value_kind:     by_value
    .group_segment_fixed_size: 0
    .kernarg_segment_align: 8
    .kernarg_segment_size: 96
    .language:       OpenCL C
    .language_version:
      - 2
      - 0
    .max_flat_workgroup_size: 256
    .name:           _ZN7rocprim17ROCPRIM_400000_NS6detail17trampoline_kernelINS0_14default_configENS1_36segmented_radix_sort_config_selectorIblEEZNS1_25segmented_radix_sort_implIS3_Lb1EPKbPbPKlPlN2at6native12_GLOBAL__N_18offset_tEEE10hipError_tPvRmT1_PNSt15iterator_traitsISK_E10value_typeET2_T3_PNSL_ISQ_E10value_typeET4_jRbjT5_SW_jjP12ihipStream_tbEUlT_E_NS1_11comp_targetILNS1_3genE0ELNS1_11target_archE4294967295ELNS1_3gpuE0ELNS1_3repE0EEENS1_30default_config_static_selectorELNS0_4arch9wavefront6targetE0EEEvSK_
    .private_segment_fixed_size: 0
    .sgpr_count:     0
    .sgpr_spill_count: 0
    .symbol:         _ZN7rocprim17ROCPRIM_400000_NS6detail17trampoline_kernelINS0_14default_configENS1_36segmented_radix_sort_config_selectorIblEEZNS1_25segmented_radix_sort_implIS3_Lb1EPKbPbPKlPlN2at6native12_GLOBAL__N_18offset_tEEE10hipError_tPvRmT1_PNSt15iterator_traitsISK_E10value_typeET2_T3_PNSL_ISQ_E10value_typeET4_jRbjT5_SW_jjP12ihipStream_tbEUlT_E_NS1_11comp_targetILNS1_3genE0ELNS1_11target_archE4294967295ELNS1_3gpuE0ELNS1_3repE0EEENS1_30default_config_static_selectorELNS0_4arch9wavefront6targetE0EEEvSK_.kd
    .uniform_work_group_size: 1
    .uses_dynamic_stack: false
    .vgpr_count:     0
    .vgpr_spill_count: 0
    .wavefront_size: 32
    .workgroup_processor_mode: 1
  - .args:
      - .offset:         0
        .size:           96
        .value_kind:     by_value
    .group_segment_fixed_size: 0
    .kernarg_segment_align: 8
    .kernarg_segment_size: 96
    .language:       OpenCL C
    .language_version:
      - 2
      - 0
    .max_flat_workgroup_size: 256
    .name:           _ZN7rocprim17ROCPRIM_400000_NS6detail17trampoline_kernelINS0_14default_configENS1_36segmented_radix_sort_config_selectorIblEEZNS1_25segmented_radix_sort_implIS3_Lb1EPKbPbPKlPlN2at6native12_GLOBAL__N_18offset_tEEE10hipError_tPvRmT1_PNSt15iterator_traitsISK_E10value_typeET2_T3_PNSL_ISQ_E10value_typeET4_jRbjT5_SW_jjP12ihipStream_tbEUlT_E_NS1_11comp_targetILNS1_3genE5ELNS1_11target_archE942ELNS1_3gpuE9ELNS1_3repE0EEENS1_30default_config_static_selectorELNS0_4arch9wavefront6targetE0EEEvSK_
    .private_segment_fixed_size: 0
    .sgpr_count:     0
    .sgpr_spill_count: 0
    .symbol:         _ZN7rocprim17ROCPRIM_400000_NS6detail17trampoline_kernelINS0_14default_configENS1_36segmented_radix_sort_config_selectorIblEEZNS1_25segmented_radix_sort_implIS3_Lb1EPKbPbPKlPlN2at6native12_GLOBAL__N_18offset_tEEE10hipError_tPvRmT1_PNSt15iterator_traitsISK_E10value_typeET2_T3_PNSL_ISQ_E10value_typeET4_jRbjT5_SW_jjP12ihipStream_tbEUlT_E_NS1_11comp_targetILNS1_3genE5ELNS1_11target_archE942ELNS1_3gpuE9ELNS1_3repE0EEENS1_30default_config_static_selectorELNS0_4arch9wavefront6targetE0EEEvSK_.kd
    .uniform_work_group_size: 1
    .uses_dynamic_stack: false
    .vgpr_count:     0
    .vgpr_spill_count: 0
    .wavefront_size: 32
    .workgroup_processor_mode: 1
  - .args:
      - .offset:         0
        .size:           96
        .value_kind:     by_value
    .group_segment_fixed_size: 0
    .kernarg_segment_align: 8
    .kernarg_segment_size: 96
    .language:       OpenCL C
    .language_version:
      - 2
      - 0
    .max_flat_workgroup_size: 256
    .name:           _ZN7rocprim17ROCPRIM_400000_NS6detail17trampoline_kernelINS0_14default_configENS1_36segmented_radix_sort_config_selectorIblEEZNS1_25segmented_radix_sort_implIS3_Lb1EPKbPbPKlPlN2at6native12_GLOBAL__N_18offset_tEEE10hipError_tPvRmT1_PNSt15iterator_traitsISK_E10value_typeET2_T3_PNSL_ISQ_E10value_typeET4_jRbjT5_SW_jjP12ihipStream_tbEUlT_E_NS1_11comp_targetILNS1_3genE4ELNS1_11target_archE910ELNS1_3gpuE8ELNS1_3repE0EEENS1_30default_config_static_selectorELNS0_4arch9wavefront6targetE0EEEvSK_
    .private_segment_fixed_size: 0
    .sgpr_count:     0
    .sgpr_spill_count: 0
    .symbol:         _ZN7rocprim17ROCPRIM_400000_NS6detail17trampoline_kernelINS0_14default_configENS1_36segmented_radix_sort_config_selectorIblEEZNS1_25segmented_radix_sort_implIS3_Lb1EPKbPbPKlPlN2at6native12_GLOBAL__N_18offset_tEEE10hipError_tPvRmT1_PNSt15iterator_traitsISK_E10value_typeET2_T3_PNSL_ISQ_E10value_typeET4_jRbjT5_SW_jjP12ihipStream_tbEUlT_E_NS1_11comp_targetILNS1_3genE4ELNS1_11target_archE910ELNS1_3gpuE8ELNS1_3repE0EEENS1_30default_config_static_selectorELNS0_4arch9wavefront6targetE0EEEvSK_.kd
    .uniform_work_group_size: 1
    .uses_dynamic_stack: false
    .vgpr_count:     0
    .vgpr_spill_count: 0
    .wavefront_size: 32
    .workgroup_processor_mode: 1
  - .args:
      - .offset:         0
        .size:           96
        .value_kind:     by_value
    .group_segment_fixed_size: 0
    .kernarg_segment_align: 8
    .kernarg_segment_size: 96
    .language:       OpenCL C
    .language_version:
      - 2
      - 0
    .max_flat_workgroup_size: 256
    .name:           _ZN7rocprim17ROCPRIM_400000_NS6detail17trampoline_kernelINS0_14default_configENS1_36segmented_radix_sort_config_selectorIblEEZNS1_25segmented_radix_sort_implIS3_Lb1EPKbPbPKlPlN2at6native12_GLOBAL__N_18offset_tEEE10hipError_tPvRmT1_PNSt15iterator_traitsISK_E10value_typeET2_T3_PNSL_ISQ_E10value_typeET4_jRbjT5_SW_jjP12ihipStream_tbEUlT_E_NS1_11comp_targetILNS1_3genE3ELNS1_11target_archE908ELNS1_3gpuE7ELNS1_3repE0EEENS1_30default_config_static_selectorELNS0_4arch9wavefront6targetE0EEEvSK_
    .private_segment_fixed_size: 0
    .sgpr_count:     0
    .sgpr_spill_count: 0
    .symbol:         _ZN7rocprim17ROCPRIM_400000_NS6detail17trampoline_kernelINS0_14default_configENS1_36segmented_radix_sort_config_selectorIblEEZNS1_25segmented_radix_sort_implIS3_Lb1EPKbPbPKlPlN2at6native12_GLOBAL__N_18offset_tEEE10hipError_tPvRmT1_PNSt15iterator_traitsISK_E10value_typeET2_T3_PNSL_ISQ_E10value_typeET4_jRbjT5_SW_jjP12ihipStream_tbEUlT_E_NS1_11comp_targetILNS1_3genE3ELNS1_11target_archE908ELNS1_3gpuE7ELNS1_3repE0EEENS1_30default_config_static_selectorELNS0_4arch9wavefront6targetE0EEEvSK_.kd
    .uniform_work_group_size: 1
    .uses_dynamic_stack: false
    .vgpr_count:     0
    .vgpr_spill_count: 0
    .wavefront_size: 32
    .workgroup_processor_mode: 1
  - .args:
      - .offset:         0
        .size:           96
        .value_kind:     by_value
    .group_segment_fixed_size: 0
    .kernarg_segment_align: 8
    .kernarg_segment_size: 96
    .language:       OpenCL C
    .language_version:
      - 2
      - 0
    .max_flat_workgroup_size: 256
    .name:           _ZN7rocprim17ROCPRIM_400000_NS6detail17trampoline_kernelINS0_14default_configENS1_36segmented_radix_sort_config_selectorIblEEZNS1_25segmented_radix_sort_implIS3_Lb1EPKbPbPKlPlN2at6native12_GLOBAL__N_18offset_tEEE10hipError_tPvRmT1_PNSt15iterator_traitsISK_E10value_typeET2_T3_PNSL_ISQ_E10value_typeET4_jRbjT5_SW_jjP12ihipStream_tbEUlT_E_NS1_11comp_targetILNS1_3genE2ELNS1_11target_archE906ELNS1_3gpuE6ELNS1_3repE0EEENS1_30default_config_static_selectorELNS0_4arch9wavefront6targetE0EEEvSK_
    .private_segment_fixed_size: 0
    .sgpr_count:     0
    .sgpr_spill_count: 0
    .symbol:         _ZN7rocprim17ROCPRIM_400000_NS6detail17trampoline_kernelINS0_14default_configENS1_36segmented_radix_sort_config_selectorIblEEZNS1_25segmented_radix_sort_implIS3_Lb1EPKbPbPKlPlN2at6native12_GLOBAL__N_18offset_tEEE10hipError_tPvRmT1_PNSt15iterator_traitsISK_E10value_typeET2_T3_PNSL_ISQ_E10value_typeET4_jRbjT5_SW_jjP12ihipStream_tbEUlT_E_NS1_11comp_targetILNS1_3genE2ELNS1_11target_archE906ELNS1_3gpuE6ELNS1_3repE0EEENS1_30default_config_static_selectorELNS0_4arch9wavefront6targetE0EEEvSK_.kd
    .uniform_work_group_size: 1
    .uses_dynamic_stack: false
    .vgpr_count:     0
    .vgpr_spill_count: 0
    .wavefront_size: 32
    .workgroup_processor_mode: 1
  - .args:
      - .offset:         0
        .size:           96
        .value_kind:     by_value
    .group_segment_fixed_size: 0
    .kernarg_segment_align: 8
    .kernarg_segment_size: 96
    .language:       OpenCL C
    .language_version:
      - 2
      - 0
    .max_flat_workgroup_size: 256
    .name:           _ZN7rocprim17ROCPRIM_400000_NS6detail17trampoline_kernelINS0_14default_configENS1_36segmented_radix_sort_config_selectorIblEEZNS1_25segmented_radix_sort_implIS3_Lb1EPKbPbPKlPlN2at6native12_GLOBAL__N_18offset_tEEE10hipError_tPvRmT1_PNSt15iterator_traitsISK_E10value_typeET2_T3_PNSL_ISQ_E10value_typeET4_jRbjT5_SW_jjP12ihipStream_tbEUlT_E_NS1_11comp_targetILNS1_3genE10ELNS1_11target_archE1201ELNS1_3gpuE5ELNS1_3repE0EEENS1_30default_config_static_selectorELNS0_4arch9wavefront6targetE0EEEvSK_
    .private_segment_fixed_size: 0
    .sgpr_count:     0
    .sgpr_spill_count: 0
    .symbol:         _ZN7rocprim17ROCPRIM_400000_NS6detail17trampoline_kernelINS0_14default_configENS1_36segmented_radix_sort_config_selectorIblEEZNS1_25segmented_radix_sort_implIS3_Lb1EPKbPbPKlPlN2at6native12_GLOBAL__N_18offset_tEEE10hipError_tPvRmT1_PNSt15iterator_traitsISK_E10value_typeET2_T3_PNSL_ISQ_E10value_typeET4_jRbjT5_SW_jjP12ihipStream_tbEUlT_E_NS1_11comp_targetILNS1_3genE10ELNS1_11target_archE1201ELNS1_3gpuE5ELNS1_3repE0EEENS1_30default_config_static_selectorELNS0_4arch9wavefront6targetE0EEEvSK_.kd
    .uniform_work_group_size: 1
    .uses_dynamic_stack: false
    .vgpr_count:     0
    .vgpr_spill_count: 0
    .wavefront_size: 32
    .workgroup_processor_mode: 1
  - .args:
      - .offset:         0
        .size:           96
        .value_kind:     by_value
    .group_segment_fixed_size: 0
    .kernarg_segment_align: 8
    .kernarg_segment_size: 96
    .language:       OpenCL C
    .language_version:
      - 2
      - 0
    .max_flat_workgroup_size: 128
    .name:           _ZN7rocprim17ROCPRIM_400000_NS6detail17trampoline_kernelINS0_14default_configENS1_36segmented_radix_sort_config_selectorIblEEZNS1_25segmented_radix_sort_implIS3_Lb1EPKbPbPKlPlN2at6native12_GLOBAL__N_18offset_tEEE10hipError_tPvRmT1_PNSt15iterator_traitsISK_E10value_typeET2_T3_PNSL_ISQ_E10value_typeET4_jRbjT5_SW_jjP12ihipStream_tbEUlT_E_NS1_11comp_targetILNS1_3genE10ELNS1_11target_archE1200ELNS1_3gpuE4ELNS1_3repE0EEENS1_30default_config_static_selectorELNS0_4arch9wavefront6targetE0EEEvSK_
    .private_segment_fixed_size: 0
    .sgpr_count:     0
    .sgpr_spill_count: 0
    .symbol:         _ZN7rocprim17ROCPRIM_400000_NS6detail17trampoline_kernelINS0_14default_configENS1_36segmented_radix_sort_config_selectorIblEEZNS1_25segmented_radix_sort_implIS3_Lb1EPKbPbPKlPlN2at6native12_GLOBAL__N_18offset_tEEE10hipError_tPvRmT1_PNSt15iterator_traitsISK_E10value_typeET2_T3_PNSL_ISQ_E10value_typeET4_jRbjT5_SW_jjP12ihipStream_tbEUlT_E_NS1_11comp_targetILNS1_3genE10ELNS1_11target_archE1200ELNS1_3gpuE4ELNS1_3repE0EEENS1_30default_config_static_selectorELNS0_4arch9wavefront6targetE0EEEvSK_.kd
    .uniform_work_group_size: 1
    .uses_dynamic_stack: false
    .vgpr_count:     0
    .vgpr_spill_count: 0
    .wavefront_size: 32
    .workgroup_processor_mode: 1
  - .args:
      - .offset:         0
        .size:           96
        .value_kind:     by_value
    .group_segment_fixed_size: 0
    .kernarg_segment_align: 8
    .kernarg_segment_size: 96
    .language:       OpenCL C
    .language_version:
      - 2
      - 0
    .max_flat_workgroup_size: 256
    .name:           _ZN7rocprim17ROCPRIM_400000_NS6detail17trampoline_kernelINS0_14default_configENS1_36segmented_radix_sort_config_selectorIblEEZNS1_25segmented_radix_sort_implIS3_Lb1EPKbPbPKlPlN2at6native12_GLOBAL__N_18offset_tEEE10hipError_tPvRmT1_PNSt15iterator_traitsISK_E10value_typeET2_T3_PNSL_ISQ_E10value_typeET4_jRbjT5_SW_jjP12ihipStream_tbEUlT_E_NS1_11comp_targetILNS1_3genE9ELNS1_11target_archE1100ELNS1_3gpuE3ELNS1_3repE0EEENS1_30default_config_static_selectorELNS0_4arch9wavefront6targetE0EEEvSK_
    .private_segment_fixed_size: 0
    .sgpr_count:     0
    .sgpr_spill_count: 0
    .symbol:         _ZN7rocprim17ROCPRIM_400000_NS6detail17trampoline_kernelINS0_14default_configENS1_36segmented_radix_sort_config_selectorIblEEZNS1_25segmented_radix_sort_implIS3_Lb1EPKbPbPKlPlN2at6native12_GLOBAL__N_18offset_tEEE10hipError_tPvRmT1_PNSt15iterator_traitsISK_E10value_typeET2_T3_PNSL_ISQ_E10value_typeET4_jRbjT5_SW_jjP12ihipStream_tbEUlT_E_NS1_11comp_targetILNS1_3genE9ELNS1_11target_archE1100ELNS1_3gpuE3ELNS1_3repE0EEENS1_30default_config_static_selectorELNS0_4arch9wavefront6targetE0EEEvSK_.kd
    .uniform_work_group_size: 1
    .uses_dynamic_stack: false
    .vgpr_count:     0
    .vgpr_spill_count: 0
    .wavefront_size: 32
    .workgroup_processor_mode: 1
  - .args:
      - .offset:         0
        .size:           96
        .value_kind:     by_value
      - .offset:         96
        .size:           4
        .value_kind:     hidden_block_count_x
      - .offset:         100
        .size:           4
        .value_kind:     hidden_block_count_y
      - .offset:         104
        .size:           4
        .value_kind:     hidden_block_count_z
      - .offset:         108
        .size:           2
        .value_kind:     hidden_group_size_x
      - .offset:         110
        .size:           2
        .value_kind:     hidden_group_size_y
      - .offset:         112
        .size:           2
        .value_kind:     hidden_group_size_z
      - .offset:         114
        .size:           2
        .value_kind:     hidden_remainder_x
      - .offset:         116
        .size:           2
        .value_kind:     hidden_remainder_y
      - .offset:         118
        .size:           2
        .value_kind:     hidden_remainder_z
      - .offset:         136
        .size:           8
        .value_kind:     hidden_global_offset_x
      - .offset:         144
        .size:           8
        .value_kind:     hidden_global_offset_y
      - .offset:         152
        .size:           8
        .value_kind:     hidden_global_offset_z
      - .offset:         160
        .size:           2
        .value_kind:     hidden_grid_dims
    .group_segment_fixed_size: 35344
    .kernarg_segment_align: 8
    .kernarg_segment_size: 352
    .language:       OpenCL C
    .language_version:
      - 2
      - 0
    .max_flat_workgroup_size: 256
    .name:           _ZN7rocprim17ROCPRIM_400000_NS6detail17trampoline_kernelINS0_14default_configENS1_36segmented_radix_sort_config_selectorIblEEZNS1_25segmented_radix_sort_implIS3_Lb1EPKbPbPKlPlN2at6native12_GLOBAL__N_18offset_tEEE10hipError_tPvRmT1_PNSt15iterator_traitsISK_E10value_typeET2_T3_PNSL_ISQ_E10value_typeET4_jRbjT5_SW_jjP12ihipStream_tbEUlT_E_NS1_11comp_targetILNS1_3genE8ELNS1_11target_archE1030ELNS1_3gpuE2ELNS1_3repE0EEENS1_30default_config_static_selectorELNS0_4arch9wavefront6targetE0EEEvSK_
    .private_segment_fixed_size: 256
    .sgpr_count:     70
    .sgpr_spill_count: 0
    .symbol:         _ZN7rocprim17ROCPRIM_400000_NS6detail17trampoline_kernelINS0_14default_configENS1_36segmented_radix_sort_config_selectorIblEEZNS1_25segmented_radix_sort_implIS3_Lb1EPKbPbPKlPlN2at6native12_GLOBAL__N_18offset_tEEE10hipError_tPvRmT1_PNSt15iterator_traitsISK_E10value_typeET2_T3_PNSL_ISQ_E10value_typeET4_jRbjT5_SW_jjP12ihipStream_tbEUlT_E_NS1_11comp_targetILNS1_3genE8ELNS1_11target_archE1030ELNS1_3gpuE2ELNS1_3repE0EEENS1_30default_config_static_selectorELNS0_4arch9wavefront6targetE0EEEvSK_.kd
    .uniform_work_group_size: 1
    .uses_dynamic_stack: false
    .vgpr_count:     248
    .vgpr_spill_count: 0
    .wavefront_size: 32
    .workgroup_processor_mode: 1
  - .args:
      - .offset:         0
        .size:           88
        .value_kind:     by_value
    .group_segment_fixed_size: 0
    .kernarg_segment_align: 8
    .kernarg_segment_size: 88
    .language:       OpenCL C
    .language_version:
      - 2
      - 0
    .max_flat_workgroup_size: 256
    .name:           _ZN7rocprim17ROCPRIM_400000_NS6detail17trampoline_kernelINS0_14default_configENS1_36segmented_radix_sort_config_selectorIblEEZNS1_25segmented_radix_sort_implIS3_Lb1EPKbPbPKlPlN2at6native12_GLOBAL__N_18offset_tEEE10hipError_tPvRmT1_PNSt15iterator_traitsISK_E10value_typeET2_T3_PNSL_ISQ_E10value_typeET4_jRbjT5_SW_jjP12ihipStream_tbEUlT_E0_NS1_11comp_targetILNS1_3genE0ELNS1_11target_archE4294967295ELNS1_3gpuE0ELNS1_3repE0EEENS1_60segmented_radix_sort_warp_sort_medium_config_static_selectorELNS0_4arch9wavefront6targetE0EEEvSK_
    .private_segment_fixed_size: 0
    .sgpr_count:     0
    .sgpr_spill_count: 0
    .symbol:         _ZN7rocprim17ROCPRIM_400000_NS6detail17trampoline_kernelINS0_14default_configENS1_36segmented_radix_sort_config_selectorIblEEZNS1_25segmented_radix_sort_implIS3_Lb1EPKbPbPKlPlN2at6native12_GLOBAL__N_18offset_tEEE10hipError_tPvRmT1_PNSt15iterator_traitsISK_E10value_typeET2_T3_PNSL_ISQ_E10value_typeET4_jRbjT5_SW_jjP12ihipStream_tbEUlT_E0_NS1_11comp_targetILNS1_3genE0ELNS1_11target_archE4294967295ELNS1_3gpuE0ELNS1_3repE0EEENS1_60segmented_radix_sort_warp_sort_medium_config_static_selectorELNS0_4arch9wavefront6targetE0EEEvSK_.kd
    .uniform_work_group_size: 1
    .uses_dynamic_stack: false
    .vgpr_count:     0
    .vgpr_spill_count: 0
    .wavefront_size: 32
    .workgroup_processor_mode: 1
  - .args:
      - .offset:         0
        .size:           88
        .value_kind:     by_value
    .group_segment_fixed_size: 0
    .kernarg_segment_align: 8
    .kernarg_segment_size: 88
    .language:       OpenCL C
    .language_version:
      - 2
      - 0
    .max_flat_workgroup_size: 256
    .name:           _ZN7rocprim17ROCPRIM_400000_NS6detail17trampoline_kernelINS0_14default_configENS1_36segmented_radix_sort_config_selectorIblEEZNS1_25segmented_radix_sort_implIS3_Lb1EPKbPbPKlPlN2at6native12_GLOBAL__N_18offset_tEEE10hipError_tPvRmT1_PNSt15iterator_traitsISK_E10value_typeET2_T3_PNSL_ISQ_E10value_typeET4_jRbjT5_SW_jjP12ihipStream_tbEUlT_E0_NS1_11comp_targetILNS1_3genE5ELNS1_11target_archE942ELNS1_3gpuE9ELNS1_3repE0EEENS1_60segmented_radix_sort_warp_sort_medium_config_static_selectorELNS0_4arch9wavefront6targetE0EEEvSK_
    .private_segment_fixed_size: 0
    .sgpr_count:     0
    .sgpr_spill_count: 0
    .symbol:         _ZN7rocprim17ROCPRIM_400000_NS6detail17trampoline_kernelINS0_14default_configENS1_36segmented_radix_sort_config_selectorIblEEZNS1_25segmented_radix_sort_implIS3_Lb1EPKbPbPKlPlN2at6native12_GLOBAL__N_18offset_tEEE10hipError_tPvRmT1_PNSt15iterator_traitsISK_E10value_typeET2_T3_PNSL_ISQ_E10value_typeET4_jRbjT5_SW_jjP12ihipStream_tbEUlT_E0_NS1_11comp_targetILNS1_3genE5ELNS1_11target_archE942ELNS1_3gpuE9ELNS1_3repE0EEENS1_60segmented_radix_sort_warp_sort_medium_config_static_selectorELNS0_4arch9wavefront6targetE0EEEvSK_.kd
    .uniform_work_group_size: 1
    .uses_dynamic_stack: false
    .vgpr_count:     0
    .vgpr_spill_count: 0
    .wavefront_size: 32
    .workgroup_processor_mode: 1
  - .args:
      - .offset:         0
        .size:           88
        .value_kind:     by_value
    .group_segment_fixed_size: 0
    .kernarg_segment_align: 8
    .kernarg_segment_size: 88
    .language:       OpenCL C
    .language_version:
      - 2
      - 0
    .max_flat_workgroup_size: 256
    .name:           _ZN7rocprim17ROCPRIM_400000_NS6detail17trampoline_kernelINS0_14default_configENS1_36segmented_radix_sort_config_selectorIblEEZNS1_25segmented_radix_sort_implIS3_Lb1EPKbPbPKlPlN2at6native12_GLOBAL__N_18offset_tEEE10hipError_tPvRmT1_PNSt15iterator_traitsISK_E10value_typeET2_T3_PNSL_ISQ_E10value_typeET4_jRbjT5_SW_jjP12ihipStream_tbEUlT_E0_NS1_11comp_targetILNS1_3genE4ELNS1_11target_archE910ELNS1_3gpuE8ELNS1_3repE0EEENS1_60segmented_radix_sort_warp_sort_medium_config_static_selectorELNS0_4arch9wavefront6targetE0EEEvSK_
    .private_segment_fixed_size: 0
    .sgpr_count:     0
    .sgpr_spill_count: 0
    .symbol:         _ZN7rocprim17ROCPRIM_400000_NS6detail17trampoline_kernelINS0_14default_configENS1_36segmented_radix_sort_config_selectorIblEEZNS1_25segmented_radix_sort_implIS3_Lb1EPKbPbPKlPlN2at6native12_GLOBAL__N_18offset_tEEE10hipError_tPvRmT1_PNSt15iterator_traitsISK_E10value_typeET2_T3_PNSL_ISQ_E10value_typeET4_jRbjT5_SW_jjP12ihipStream_tbEUlT_E0_NS1_11comp_targetILNS1_3genE4ELNS1_11target_archE910ELNS1_3gpuE8ELNS1_3repE0EEENS1_60segmented_radix_sort_warp_sort_medium_config_static_selectorELNS0_4arch9wavefront6targetE0EEEvSK_.kd
    .uniform_work_group_size: 1
    .uses_dynamic_stack: false
    .vgpr_count:     0
    .vgpr_spill_count: 0
    .wavefront_size: 32
    .workgroup_processor_mode: 1
  - .args:
      - .offset:         0
        .size:           88
        .value_kind:     by_value
    .group_segment_fixed_size: 0
    .kernarg_segment_align: 8
    .kernarg_segment_size: 88
    .language:       OpenCL C
    .language_version:
      - 2
      - 0
    .max_flat_workgroup_size: 256
    .name:           _ZN7rocprim17ROCPRIM_400000_NS6detail17trampoline_kernelINS0_14default_configENS1_36segmented_radix_sort_config_selectorIblEEZNS1_25segmented_radix_sort_implIS3_Lb1EPKbPbPKlPlN2at6native12_GLOBAL__N_18offset_tEEE10hipError_tPvRmT1_PNSt15iterator_traitsISK_E10value_typeET2_T3_PNSL_ISQ_E10value_typeET4_jRbjT5_SW_jjP12ihipStream_tbEUlT_E0_NS1_11comp_targetILNS1_3genE3ELNS1_11target_archE908ELNS1_3gpuE7ELNS1_3repE0EEENS1_60segmented_radix_sort_warp_sort_medium_config_static_selectorELNS0_4arch9wavefront6targetE0EEEvSK_
    .private_segment_fixed_size: 0
    .sgpr_count:     0
    .sgpr_spill_count: 0
    .symbol:         _ZN7rocprim17ROCPRIM_400000_NS6detail17trampoline_kernelINS0_14default_configENS1_36segmented_radix_sort_config_selectorIblEEZNS1_25segmented_radix_sort_implIS3_Lb1EPKbPbPKlPlN2at6native12_GLOBAL__N_18offset_tEEE10hipError_tPvRmT1_PNSt15iterator_traitsISK_E10value_typeET2_T3_PNSL_ISQ_E10value_typeET4_jRbjT5_SW_jjP12ihipStream_tbEUlT_E0_NS1_11comp_targetILNS1_3genE3ELNS1_11target_archE908ELNS1_3gpuE7ELNS1_3repE0EEENS1_60segmented_radix_sort_warp_sort_medium_config_static_selectorELNS0_4arch9wavefront6targetE0EEEvSK_.kd
    .uniform_work_group_size: 1
    .uses_dynamic_stack: false
    .vgpr_count:     0
    .vgpr_spill_count: 0
    .wavefront_size: 32
    .workgroup_processor_mode: 1
  - .args:
      - .offset:         0
        .size:           88
        .value_kind:     by_value
    .group_segment_fixed_size: 0
    .kernarg_segment_align: 8
    .kernarg_segment_size: 88
    .language:       OpenCL C
    .language_version:
      - 2
      - 0
    .max_flat_workgroup_size: 256
    .name:           _ZN7rocprim17ROCPRIM_400000_NS6detail17trampoline_kernelINS0_14default_configENS1_36segmented_radix_sort_config_selectorIblEEZNS1_25segmented_radix_sort_implIS3_Lb1EPKbPbPKlPlN2at6native12_GLOBAL__N_18offset_tEEE10hipError_tPvRmT1_PNSt15iterator_traitsISK_E10value_typeET2_T3_PNSL_ISQ_E10value_typeET4_jRbjT5_SW_jjP12ihipStream_tbEUlT_E0_NS1_11comp_targetILNS1_3genE2ELNS1_11target_archE906ELNS1_3gpuE6ELNS1_3repE0EEENS1_60segmented_radix_sort_warp_sort_medium_config_static_selectorELNS0_4arch9wavefront6targetE0EEEvSK_
    .private_segment_fixed_size: 0
    .sgpr_count:     0
    .sgpr_spill_count: 0
    .symbol:         _ZN7rocprim17ROCPRIM_400000_NS6detail17trampoline_kernelINS0_14default_configENS1_36segmented_radix_sort_config_selectorIblEEZNS1_25segmented_radix_sort_implIS3_Lb1EPKbPbPKlPlN2at6native12_GLOBAL__N_18offset_tEEE10hipError_tPvRmT1_PNSt15iterator_traitsISK_E10value_typeET2_T3_PNSL_ISQ_E10value_typeET4_jRbjT5_SW_jjP12ihipStream_tbEUlT_E0_NS1_11comp_targetILNS1_3genE2ELNS1_11target_archE906ELNS1_3gpuE6ELNS1_3repE0EEENS1_60segmented_radix_sort_warp_sort_medium_config_static_selectorELNS0_4arch9wavefront6targetE0EEEvSK_.kd
    .uniform_work_group_size: 1
    .uses_dynamic_stack: false
    .vgpr_count:     0
    .vgpr_spill_count: 0
    .wavefront_size: 32
    .workgroup_processor_mode: 1
  - .args:
      - .offset:         0
        .size:           88
        .value_kind:     by_value
    .group_segment_fixed_size: 0
    .kernarg_segment_align: 8
    .kernarg_segment_size: 88
    .language:       OpenCL C
    .language_version:
      - 2
      - 0
    .max_flat_workgroup_size: 256
    .name:           _ZN7rocprim17ROCPRIM_400000_NS6detail17trampoline_kernelINS0_14default_configENS1_36segmented_radix_sort_config_selectorIblEEZNS1_25segmented_radix_sort_implIS3_Lb1EPKbPbPKlPlN2at6native12_GLOBAL__N_18offset_tEEE10hipError_tPvRmT1_PNSt15iterator_traitsISK_E10value_typeET2_T3_PNSL_ISQ_E10value_typeET4_jRbjT5_SW_jjP12ihipStream_tbEUlT_E0_NS1_11comp_targetILNS1_3genE10ELNS1_11target_archE1201ELNS1_3gpuE5ELNS1_3repE0EEENS1_60segmented_radix_sort_warp_sort_medium_config_static_selectorELNS0_4arch9wavefront6targetE0EEEvSK_
    .private_segment_fixed_size: 0
    .sgpr_count:     0
    .sgpr_spill_count: 0
    .symbol:         _ZN7rocprim17ROCPRIM_400000_NS6detail17trampoline_kernelINS0_14default_configENS1_36segmented_radix_sort_config_selectorIblEEZNS1_25segmented_radix_sort_implIS3_Lb1EPKbPbPKlPlN2at6native12_GLOBAL__N_18offset_tEEE10hipError_tPvRmT1_PNSt15iterator_traitsISK_E10value_typeET2_T3_PNSL_ISQ_E10value_typeET4_jRbjT5_SW_jjP12ihipStream_tbEUlT_E0_NS1_11comp_targetILNS1_3genE10ELNS1_11target_archE1201ELNS1_3gpuE5ELNS1_3repE0EEENS1_60segmented_radix_sort_warp_sort_medium_config_static_selectorELNS0_4arch9wavefront6targetE0EEEvSK_.kd
    .uniform_work_group_size: 1
    .uses_dynamic_stack: false
    .vgpr_count:     0
    .vgpr_spill_count: 0
    .wavefront_size: 32
    .workgroup_processor_mode: 1
  - .args:
      - .offset:         0
        .size:           88
        .value_kind:     by_value
    .group_segment_fixed_size: 0
    .kernarg_segment_align: 8
    .kernarg_segment_size: 88
    .language:       OpenCL C
    .language_version:
      - 2
      - 0
    .max_flat_workgroup_size: 256
    .name:           _ZN7rocprim17ROCPRIM_400000_NS6detail17trampoline_kernelINS0_14default_configENS1_36segmented_radix_sort_config_selectorIblEEZNS1_25segmented_radix_sort_implIS3_Lb1EPKbPbPKlPlN2at6native12_GLOBAL__N_18offset_tEEE10hipError_tPvRmT1_PNSt15iterator_traitsISK_E10value_typeET2_T3_PNSL_ISQ_E10value_typeET4_jRbjT5_SW_jjP12ihipStream_tbEUlT_E0_NS1_11comp_targetILNS1_3genE10ELNS1_11target_archE1200ELNS1_3gpuE4ELNS1_3repE0EEENS1_60segmented_radix_sort_warp_sort_medium_config_static_selectorELNS0_4arch9wavefront6targetE0EEEvSK_
    .private_segment_fixed_size: 0
    .sgpr_count:     0
    .sgpr_spill_count: 0
    .symbol:         _ZN7rocprim17ROCPRIM_400000_NS6detail17trampoline_kernelINS0_14default_configENS1_36segmented_radix_sort_config_selectorIblEEZNS1_25segmented_radix_sort_implIS3_Lb1EPKbPbPKlPlN2at6native12_GLOBAL__N_18offset_tEEE10hipError_tPvRmT1_PNSt15iterator_traitsISK_E10value_typeET2_T3_PNSL_ISQ_E10value_typeET4_jRbjT5_SW_jjP12ihipStream_tbEUlT_E0_NS1_11comp_targetILNS1_3genE10ELNS1_11target_archE1200ELNS1_3gpuE4ELNS1_3repE0EEENS1_60segmented_radix_sort_warp_sort_medium_config_static_selectorELNS0_4arch9wavefront6targetE0EEEvSK_.kd
    .uniform_work_group_size: 1
    .uses_dynamic_stack: false
    .vgpr_count:     0
    .vgpr_spill_count: 0
    .wavefront_size: 32
    .workgroup_processor_mode: 1
  - .args:
      - .offset:         0
        .size:           88
        .value_kind:     by_value
    .group_segment_fixed_size: 0
    .kernarg_segment_align: 8
    .kernarg_segment_size: 88
    .language:       OpenCL C
    .language_version:
      - 2
      - 0
    .max_flat_workgroup_size: 256
    .name:           _ZN7rocprim17ROCPRIM_400000_NS6detail17trampoline_kernelINS0_14default_configENS1_36segmented_radix_sort_config_selectorIblEEZNS1_25segmented_radix_sort_implIS3_Lb1EPKbPbPKlPlN2at6native12_GLOBAL__N_18offset_tEEE10hipError_tPvRmT1_PNSt15iterator_traitsISK_E10value_typeET2_T3_PNSL_ISQ_E10value_typeET4_jRbjT5_SW_jjP12ihipStream_tbEUlT_E0_NS1_11comp_targetILNS1_3genE9ELNS1_11target_archE1100ELNS1_3gpuE3ELNS1_3repE0EEENS1_60segmented_radix_sort_warp_sort_medium_config_static_selectorELNS0_4arch9wavefront6targetE0EEEvSK_
    .private_segment_fixed_size: 0
    .sgpr_count:     0
    .sgpr_spill_count: 0
    .symbol:         _ZN7rocprim17ROCPRIM_400000_NS6detail17trampoline_kernelINS0_14default_configENS1_36segmented_radix_sort_config_selectorIblEEZNS1_25segmented_radix_sort_implIS3_Lb1EPKbPbPKlPlN2at6native12_GLOBAL__N_18offset_tEEE10hipError_tPvRmT1_PNSt15iterator_traitsISK_E10value_typeET2_T3_PNSL_ISQ_E10value_typeET4_jRbjT5_SW_jjP12ihipStream_tbEUlT_E0_NS1_11comp_targetILNS1_3genE9ELNS1_11target_archE1100ELNS1_3gpuE3ELNS1_3repE0EEENS1_60segmented_radix_sort_warp_sort_medium_config_static_selectorELNS0_4arch9wavefront6targetE0EEEvSK_.kd
    .uniform_work_group_size: 1
    .uses_dynamic_stack: false
    .vgpr_count:     0
    .vgpr_spill_count: 0
    .wavefront_size: 32
    .workgroup_processor_mode: 1
  - .args:
      - .offset:         0
        .size:           88
        .value_kind:     by_value
      - .offset:         88
        .size:           4
        .value_kind:     hidden_block_count_x
      - .offset:         92
        .size:           4
        .value_kind:     hidden_block_count_y
      - .offset:         96
        .size:           4
        .value_kind:     hidden_block_count_z
      - .offset:         100
        .size:           2
        .value_kind:     hidden_group_size_x
      - .offset:         102
        .size:           2
        .value_kind:     hidden_group_size_y
      - .offset:         104
        .size:           2
        .value_kind:     hidden_group_size_z
      - .offset:         106
        .size:           2
        .value_kind:     hidden_remainder_x
      - .offset:         108
        .size:           2
        .value_kind:     hidden_remainder_y
      - .offset:         110
        .size:           2
        .value_kind:     hidden_remainder_z
      - .offset:         128
        .size:           8
        .value_kind:     hidden_global_offset_x
      - .offset:         136
        .size:           8
        .value_kind:     hidden_global_offset_y
      - .offset:         144
        .size:           8
        .value_kind:     hidden_global_offset_z
      - .offset:         152
        .size:           2
        .value_kind:     hidden_grid_dims
    .group_segment_fixed_size: 9216
    .kernarg_segment_align: 8
    .kernarg_segment_size: 344
    .language:       OpenCL C
    .language_version:
      - 2
      - 0
    .max_flat_workgroup_size: 256
    .name:           _ZN7rocprim17ROCPRIM_400000_NS6detail17trampoline_kernelINS0_14default_configENS1_36segmented_radix_sort_config_selectorIblEEZNS1_25segmented_radix_sort_implIS3_Lb1EPKbPbPKlPlN2at6native12_GLOBAL__N_18offset_tEEE10hipError_tPvRmT1_PNSt15iterator_traitsISK_E10value_typeET2_T3_PNSL_ISQ_E10value_typeET4_jRbjT5_SW_jjP12ihipStream_tbEUlT_E0_NS1_11comp_targetILNS1_3genE8ELNS1_11target_archE1030ELNS1_3gpuE2ELNS1_3repE0EEENS1_60segmented_radix_sort_warp_sort_medium_config_static_selectorELNS0_4arch9wavefront6targetE0EEEvSK_
    .private_segment_fixed_size: 12
    .sgpr_count:     42
    .sgpr_spill_count: 0
    .symbol:         _ZN7rocprim17ROCPRIM_400000_NS6detail17trampoline_kernelINS0_14default_configENS1_36segmented_radix_sort_config_selectorIblEEZNS1_25segmented_radix_sort_implIS3_Lb1EPKbPbPKlPlN2at6native12_GLOBAL__N_18offset_tEEE10hipError_tPvRmT1_PNSt15iterator_traitsISK_E10value_typeET2_T3_PNSL_ISQ_E10value_typeET4_jRbjT5_SW_jjP12ihipStream_tbEUlT_E0_NS1_11comp_targetILNS1_3genE8ELNS1_11target_archE1030ELNS1_3gpuE2ELNS1_3repE0EEENS1_60segmented_radix_sort_warp_sort_medium_config_static_selectorELNS0_4arch9wavefront6targetE0EEEvSK_.kd
    .uniform_work_group_size: 1
    .uses_dynamic_stack: false
    .vgpr_count:     53
    .vgpr_spill_count: 0
    .wavefront_size: 32
    .workgroup_processor_mode: 1
  - .args:
      - .offset:         0
        .size:           88
        .value_kind:     by_value
    .group_segment_fixed_size: 0
    .kernarg_segment_align: 8
    .kernarg_segment_size: 88
    .language:       OpenCL C
    .language_version:
      - 2
      - 0
    .max_flat_workgroup_size: 256
    .name:           _ZN7rocprim17ROCPRIM_400000_NS6detail17trampoline_kernelINS0_14default_configENS1_36segmented_radix_sort_config_selectorIblEEZNS1_25segmented_radix_sort_implIS3_Lb1EPKbPbPKlPlN2at6native12_GLOBAL__N_18offset_tEEE10hipError_tPvRmT1_PNSt15iterator_traitsISK_E10value_typeET2_T3_PNSL_ISQ_E10value_typeET4_jRbjT5_SW_jjP12ihipStream_tbEUlT_E1_NS1_11comp_targetILNS1_3genE0ELNS1_11target_archE4294967295ELNS1_3gpuE0ELNS1_3repE0EEENS1_59segmented_radix_sort_warp_sort_small_config_static_selectorELNS0_4arch9wavefront6targetE0EEEvSK_
    .private_segment_fixed_size: 0
    .sgpr_count:     0
    .sgpr_spill_count: 0
    .symbol:         _ZN7rocprim17ROCPRIM_400000_NS6detail17trampoline_kernelINS0_14default_configENS1_36segmented_radix_sort_config_selectorIblEEZNS1_25segmented_radix_sort_implIS3_Lb1EPKbPbPKlPlN2at6native12_GLOBAL__N_18offset_tEEE10hipError_tPvRmT1_PNSt15iterator_traitsISK_E10value_typeET2_T3_PNSL_ISQ_E10value_typeET4_jRbjT5_SW_jjP12ihipStream_tbEUlT_E1_NS1_11comp_targetILNS1_3genE0ELNS1_11target_archE4294967295ELNS1_3gpuE0ELNS1_3repE0EEENS1_59segmented_radix_sort_warp_sort_small_config_static_selectorELNS0_4arch9wavefront6targetE0EEEvSK_.kd
    .uniform_work_group_size: 1
    .uses_dynamic_stack: false
    .vgpr_count:     0
    .vgpr_spill_count: 0
    .wavefront_size: 32
    .workgroup_processor_mode: 1
  - .args:
      - .offset:         0
        .size:           88
        .value_kind:     by_value
    .group_segment_fixed_size: 0
    .kernarg_segment_align: 8
    .kernarg_segment_size: 88
    .language:       OpenCL C
    .language_version:
      - 2
      - 0
    .max_flat_workgroup_size: 256
    .name:           _ZN7rocprim17ROCPRIM_400000_NS6detail17trampoline_kernelINS0_14default_configENS1_36segmented_radix_sort_config_selectorIblEEZNS1_25segmented_radix_sort_implIS3_Lb1EPKbPbPKlPlN2at6native12_GLOBAL__N_18offset_tEEE10hipError_tPvRmT1_PNSt15iterator_traitsISK_E10value_typeET2_T3_PNSL_ISQ_E10value_typeET4_jRbjT5_SW_jjP12ihipStream_tbEUlT_E1_NS1_11comp_targetILNS1_3genE5ELNS1_11target_archE942ELNS1_3gpuE9ELNS1_3repE0EEENS1_59segmented_radix_sort_warp_sort_small_config_static_selectorELNS0_4arch9wavefront6targetE0EEEvSK_
    .private_segment_fixed_size: 0
    .sgpr_count:     0
    .sgpr_spill_count: 0
    .symbol:         _ZN7rocprim17ROCPRIM_400000_NS6detail17trampoline_kernelINS0_14default_configENS1_36segmented_radix_sort_config_selectorIblEEZNS1_25segmented_radix_sort_implIS3_Lb1EPKbPbPKlPlN2at6native12_GLOBAL__N_18offset_tEEE10hipError_tPvRmT1_PNSt15iterator_traitsISK_E10value_typeET2_T3_PNSL_ISQ_E10value_typeET4_jRbjT5_SW_jjP12ihipStream_tbEUlT_E1_NS1_11comp_targetILNS1_3genE5ELNS1_11target_archE942ELNS1_3gpuE9ELNS1_3repE0EEENS1_59segmented_radix_sort_warp_sort_small_config_static_selectorELNS0_4arch9wavefront6targetE0EEEvSK_.kd
    .uniform_work_group_size: 1
    .uses_dynamic_stack: false
    .vgpr_count:     0
    .vgpr_spill_count: 0
    .wavefront_size: 32
    .workgroup_processor_mode: 1
  - .args:
      - .offset:         0
        .size:           88
        .value_kind:     by_value
    .group_segment_fixed_size: 0
    .kernarg_segment_align: 8
    .kernarg_segment_size: 88
    .language:       OpenCL C
    .language_version:
      - 2
      - 0
    .max_flat_workgroup_size: 256
    .name:           _ZN7rocprim17ROCPRIM_400000_NS6detail17trampoline_kernelINS0_14default_configENS1_36segmented_radix_sort_config_selectorIblEEZNS1_25segmented_radix_sort_implIS3_Lb1EPKbPbPKlPlN2at6native12_GLOBAL__N_18offset_tEEE10hipError_tPvRmT1_PNSt15iterator_traitsISK_E10value_typeET2_T3_PNSL_ISQ_E10value_typeET4_jRbjT5_SW_jjP12ihipStream_tbEUlT_E1_NS1_11comp_targetILNS1_3genE4ELNS1_11target_archE910ELNS1_3gpuE8ELNS1_3repE0EEENS1_59segmented_radix_sort_warp_sort_small_config_static_selectorELNS0_4arch9wavefront6targetE0EEEvSK_
    .private_segment_fixed_size: 0
    .sgpr_count:     0
    .sgpr_spill_count: 0
    .symbol:         _ZN7rocprim17ROCPRIM_400000_NS6detail17trampoline_kernelINS0_14default_configENS1_36segmented_radix_sort_config_selectorIblEEZNS1_25segmented_radix_sort_implIS3_Lb1EPKbPbPKlPlN2at6native12_GLOBAL__N_18offset_tEEE10hipError_tPvRmT1_PNSt15iterator_traitsISK_E10value_typeET2_T3_PNSL_ISQ_E10value_typeET4_jRbjT5_SW_jjP12ihipStream_tbEUlT_E1_NS1_11comp_targetILNS1_3genE4ELNS1_11target_archE910ELNS1_3gpuE8ELNS1_3repE0EEENS1_59segmented_radix_sort_warp_sort_small_config_static_selectorELNS0_4arch9wavefront6targetE0EEEvSK_.kd
    .uniform_work_group_size: 1
    .uses_dynamic_stack: false
    .vgpr_count:     0
    .vgpr_spill_count: 0
    .wavefront_size: 32
    .workgroup_processor_mode: 1
  - .args:
      - .offset:         0
        .size:           88
        .value_kind:     by_value
    .group_segment_fixed_size: 0
    .kernarg_segment_align: 8
    .kernarg_segment_size: 88
    .language:       OpenCL C
    .language_version:
      - 2
      - 0
    .max_flat_workgroup_size: 256
    .name:           _ZN7rocprim17ROCPRIM_400000_NS6detail17trampoline_kernelINS0_14default_configENS1_36segmented_radix_sort_config_selectorIblEEZNS1_25segmented_radix_sort_implIS3_Lb1EPKbPbPKlPlN2at6native12_GLOBAL__N_18offset_tEEE10hipError_tPvRmT1_PNSt15iterator_traitsISK_E10value_typeET2_T3_PNSL_ISQ_E10value_typeET4_jRbjT5_SW_jjP12ihipStream_tbEUlT_E1_NS1_11comp_targetILNS1_3genE3ELNS1_11target_archE908ELNS1_3gpuE7ELNS1_3repE0EEENS1_59segmented_radix_sort_warp_sort_small_config_static_selectorELNS0_4arch9wavefront6targetE0EEEvSK_
    .private_segment_fixed_size: 0
    .sgpr_count:     0
    .sgpr_spill_count: 0
    .symbol:         _ZN7rocprim17ROCPRIM_400000_NS6detail17trampoline_kernelINS0_14default_configENS1_36segmented_radix_sort_config_selectorIblEEZNS1_25segmented_radix_sort_implIS3_Lb1EPKbPbPKlPlN2at6native12_GLOBAL__N_18offset_tEEE10hipError_tPvRmT1_PNSt15iterator_traitsISK_E10value_typeET2_T3_PNSL_ISQ_E10value_typeET4_jRbjT5_SW_jjP12ihipStream_tbEUlT_E1_NS1_11comp_targetILNS1_3genE3ELNS1_11target_archE908ELNS1_3gpuE7ELNS1_3repE0EEENS1_59segmented_radix_sort_warp_sort_small_config_static_selectorELNS0_4arch9wavefront6targetE0EEEvSK_.kd
    .uniform_work_group_size: 1
    .uses_dynamic_stack: false
    .vgpr_count:     0
    .vgpr_spill_count: 0
    .wavefront_size: 32
    .workgroup_processor_mode: 1
  - .args:
      - .offset:         0
        .size:           88
        .value_kind:     by_value
    .group_segment_fixed_size: 0
    .kernarg_segment_align: 8
    .kernarg_segment_size: 88
    .language:       OpenCL C
    .language_version:
      - 2
      - 0
    .max_flat_workgroup_size: 256
    .name:           _ZN7rocprim17ROCPRIM_400000_NS6detail17trampoline_kernelINS0_14default_configENS1_36segmented_radix_sort_config_selectorIblEEZNS1_25segmented_radix_sort_implIS3_Lb1EPKbPbPKlPlN2at6native12_GLOBAL__N_18offset_tEEE10hipError_tPvRmT1_PNSt15iterator_traitsISK_E10value_typeET2_T3_PNSL_ISQ_E10value_typeET4_jRbjT5_SW_jjP12ihipStream_tbEUlT_E1_NS1_11comp_targetILNS1_3genE2ELNS1_11target_archE906ELNS1_3gpuE6ELNS1_3repE0EEENS1_59segmented_radix_sort_warp_sort_small_config_static_selectorELNS0_4arch9wavefront6targetE0EEEvSK_
    .private_segment_fixed_size: 0
    .sgpr_count:     0
    .sgpr_spill_count: 0
    .symbol:         _ZN7rocprim17ROCPRIM_400000_NS6detail17trampoline_kernelINS0_14default_configENS1_36segmented_radix_sort_config_selectorIblEEZNS1_25segmented_radix_sort_implIS3_Lb1EPKbPbPKlPlN2at6native12_GLOBAL__N_18offset_tEEE10hipError_tPvRmT1_PNSt15iterator_traitsISK_E10value_typeET2_T3_PNSL_ISQ_E10value_typeET4_jRbjT5_SW_jjP12ihipStream_tbEUlT_E1_NS1_11comp_targetILNS1_3genE2ELNS1_11target_archE906ELNS1_3gpuE6ELNS1_3repE0EEENS1_59segmented_radix_sort_warp_sort_small_config_static_selectorELNS0_4arch9wavefront6targetE0EEEvSK_.kd
    .uniform_work_group_size: 1
    .uses_dynamic_stack: false
    .vgpr_count:     0
    .vgpr_spill_count: 0
    .wavefront_size: 32
    .workgroup_processor_mode: 1
  - .args:
      - .offset:         0
        .size:           88
        .value_kind:     by_value
    .group_segment_fixed_size: 0
    .kernarg_segment_align: 8
    .kernarg_segment_size: 88
    .language:       OpenCL C
    .language_version:
      - 2
      - 0
    .max_flat_workgroup_size: 256
    .name:           _ZN7rocprim17ROCPRIM_400000_NS6detail17trampoline_kernelINS0_14default_configENS1_36segmented_radix_sort_config_selectorIblEEZNS1_25segmented_radix_sort_implIS3_Lb1EPKbPbPKlPlN2at6native12_GLOBAL__N_18offset_tEEE10hipError_tPvRmT1_PNSt15iterator_traitsISK_E10value_typeET2_T3_PNSL_ISQ_E10value_typeET4_jRbjT5_SW_jjP12ihipStream_tbEUlT_E1_NS1_11comp_targetILNS1_3genE10ELNS1_11target_archE1201ELNS1_3gpuE5ELNS1_3repE0EEENS1_59segmented_radix_sort_warp_sort_small_config_static_selectorELNS0_4arch9wavefront6targetE0EEEvSK_
    .private_segment_fixed_size: 0
    .sgpr_count:     0
    .sgpr_spill_count: 0
    .symbol:         _ZN7rocprim17ROCPRIM_400000_NS6detail17trampoline_kernelINS0_14default_configENS1_36segmented_radix_sort_config_selectorIblEEZNS1_25segmented_radix_sort_implIS3_Lb1EPKbPbPKlPlN2at6native12_GLOBAL__N_18offset_tEEE10hipError_tPvRmT1_PNSt15iterator_traitsISK_E10value_typeET2_T3_PNSL_ISQ_E10value_typeET4_jRbjT5_SW_jjP12ihipStream_tbEUlT_E1_NS1_11comp_targetILNS1_3genE10ELNS1_11target_archE1201ELNS1_3gpuE5ELNS1_3repE0EEENS1_59segmented_radix_sort_warp_sort_small_config_static_selectorELNS0_4arch9wavefront6targetE0EEEvSK_.kd
    .uniform_work_group_size: 1
    .uses_dynamic_stack: false
    .vgpr_count:     0
    .vgpr_spill_count: 0
    .wavefront_size: 32
    .workgroup_processor_mode: 1
  - .args:
      - .offset:         0
        .size:           88
        .value_kind:     by_value
    .group_segment_fixed_size: 0
    .kernarg_segment_align: 8
    .kernarg_segment_size: 88
    .language:       OpenCL C
    .language_version:
      - 2
      - 0
    .max_flat_workgroup_size: 256
    .name:           _ZN7rocprim17ROCPRIM_400000_NS6detail17trampoline_kernelINS0_14default_configENS1_36segmented_radix_sort_config_selectorIblEEZNS1_25segmented_radix_sort_implIS3_Lb1EPKbPbPKlPlN2at6native12_GLOBAL__N_18offset_tEEE10hipError_tPvRmT1_PNSt15iterator_traitsISK_E10value_typeET2_T3_PNSL_ISQ_E10value_typeET4_jRbjT5_SW_jjP12ihipStream_tbEUlT_E1_NS1_11comp_targetILNS1_3genE10ELNS1_11target_archE1200ELNS1_3gpuE4ELNS1_3repE0EEENS1_59segmented_radix_sort_warp_sort_small_config_static_selectorELNS0_4arch9wavefront6targetE0EEEvSK_
    .private_segment_fixed_size: 0
    .sgpr_count:     0
    .sgpr_spill_count: 0
    .symbol:         _ZN7rocprim17ROCPRIM_400000_NS6detail17trampoline_kernelINS0_14default_configENS1_36segmented_radix_sort_config_selectorIblEEZNS1_25segmented_radix_sort_implIS3_Lb1EPKbPbPKlPlN2at6native12_GLOBAL__N_18offset_tEEE10hipError_tPvRmT1_PNSt15iterator_traitsISK_E10value_typeET2_T3_PNSL_ISQ_E10value_typeET4_jRbjT5_SW_jjP12ihipStream_tbEUlT_E1_NS1_11comp_targetILNS1_3genE10ELNS1_11target_archE1200ELNS1_3gpuE4ELNS1_3repE0EEENS1_59segmented_radix_sort_warp_sort_small_config_static_selectorELNS0_4arch9wavefront6targetE0EEEvSK_.kd
    .uniform_work_group_size: 1
    .uses_dynamic_stack: false
    .vgpr_count:     0
    .vgpr_spill_count: 0
    .wavefront_size: 32
    .workgroup_processor_mode: 1
  - .args:
      - .offset:         0
        .size:           88
        .value_kind:     by_value
    .group_segment_fixed_size: 0
    .kernarg_segment_align: 8
    .kernarg_segment_size: 88
    .language:       OpenCL C
    .language_version:
      - 2
      - 0
    .max_flat_workgroup_size: 256
    .name:           _ZN7rocprim17ROCPRIM_400000_NS6detail17trampoline_kernelINS0_14default_configENS1_36segmented_radix_sort_config_selectorIblEEZNS1_25segmented_radix_sort_implIS3_Lb1EPKbPbPKlPlN2at6native12_GLOBAL__N_18offset_tEEE10hipError_tPvRmT1_PNSt15iterator_traitsISK_E10value_typeET2_T3_PNSL_ISQ_E10value_typeET4_jRbjT5_SW_jjP12ihipStream_tbEUlT_E1_NS1_11comp_targetILNS1_3genE9ELNS1_11target_archE1100ELNS1_3gpuE3ELNS1_3repE0EEENS1_59segmented_radix_sort_warp_sort_small_config_static_selectorELNS0_4arch9wavefront6targetE0EEEvSK_
    .private_segment_fixed_size: 0
    .sgpr_count:     0
    .sgpr_spill_count: 0
    .symbol:         _ZN7rocprim17ROCPRIM_400000_NS6detail17trampoline_kernelINS0_14default_configENS1_36segmented_radix_sort_config_selectorIblEEZNS1_25segmented_radix_sort_implIS3_Lb1EPKbPbPKlPlN2at6native12_GLOBAL__N_18offset_tEEE10hipError_tPvRmT1_PNSt15iterator_traitsISK_E10value_typeET2_T3_PNSL_ISQ_E10value_typeET4_jRbjT5_SW_jjP12ihipStream_tbEUlT_E1_NS1_11comp_targetILNS1_3genE9ELNS1_11target_archE1100ELNS1_3gpuE3ELNS1_3repE0EEENS1_59segmented_radix_sort_warp_sort_small_config_static_selectorELNS0_4arch9wavefront6targetE0EEEvSK_.kd
    .uniform_work_group_size: 1
    .uses_dynamic_stack: false
    .vgpr_count:     0
    .vgpr_spill_count: 0
    .wavefront_size: 32
    .workgroup_processor_mode: 1
  - .args:
      - .offset:         0
        .size:           88
        .value_kind:     by_value
      - .offset:         88
        .size:           4
        .value_kind:     hidden_block_count_x
      - .offset:         92
        .size:           4
        .value_kind:     hidden_block_count_y
      - .offset:         96
        .size:           4
        .value_kind:     hidden_block_count_z
      - .offset:         100
        .size:           2
        .value_kind:     hidden_group_size_x
      - .offset:         102
        .size:           2
        .value_kind:     hidden_group_size_y
      - .offset:         104
        .size:           2
        .value_kind:     hidden_group_size_z
      - .offset:         106
        .size:           2
        .value_kind:     hidden_remainder_x
      - .offset:         108
        .size:           2
        .value_kind:     hidden_remainder_y
      - .offset:         110
        .size:           2
        .value_kind:     hidden_remainder_z
      - .offset:         128
        .size:           8
        .value_kind:     hidden_global_offset_x
      - .offset:         136
        .size:           8
        .value_kind:     hidden_global_offset_y
      - .offset:         144
        .size:           8
        .value_kind:     hidden_global_offset_z
      - .offset:         152
        .size:           2
        .value_kind:     hidden_grid_dims
    .group_segment_fixed_size: 9216
    .kernarg_segment_align: 8
    .kernarg_segment_size: 344
    .language:       OpenCL C
    .language_version:
      - 2
      - 0
    .max_flat_workgroup_size: 256
    .name:           _ZN7rocprim17ROCPRIM_400000_NS6detail17trampoline_kernelINS0_14default_configENS1_36segmented_radix_sort_config_selectorIblEEZNS1_25segmented_radix_sort_implIS3_Lb1EPKbPbPKlPlN2at6native12_GLOBAL__N_18offset_tEEE10hipError_tPvRmT1_PNSt15iterator_traitsISK_E10value_typeET2_T3_PNSL_ISQ_E10value_typeET4_jRbjT5_SW_jjP12ihipStream_tbEUlT_E1_NS1_11comp_targetILNS1_3genE8ELNS1_11target_archE1030ELNS1_3gpuE2ELNS1_3repE0EEENS1_59segmented_radix_sort_warp_sort_small_config_static_selectorELNS0_4arch9wavefront6targetE0EEEvSK_
    .private_segment_fixed_size: 12
    .sgpr_count:     42
    .sgpr_spill_count: 0
    .symbol:         _ZN7rocprim17ROCPRIM_400000_NS6detail17trampoline_kernelINS0_14default_configENS1_36segmented_radix_sort_config_selectorIblEEZNS1_25segmented_radix_sort_implIS3_Lb1EPKbPbPKlPlN2at6native12_GLOBAL__N_18offset_tEEE10hipError_tPvRmT1_PNSt15iterator_traitsISK_E10value_typeET2_T3_PNSL_ISQ_E10value_typeET4_jRbjT5_SW_jjP12ihipStream_tbEUlT_E1_NS1_11comp_targetILNS1_3genE8ELNS1_11target_archE1030ELNS1_3gpuE2ELNS1_3repE0EEENS1_59segmented_radix_sort_warp_sort_small_config_static_selectorELNS0_4arch9wavefront6targetE0EEEvSK_.kd
    .uniform_work_group_size: 1
    .uses_dynamic_stack: false
    .vgpr_count:     53
    .vgpr_spill_count: 0
    .wavefront_size: 32
    .workgroup_processor_mode: 1
  - .args:
      - .offset:         0
        .size:           80
        .value_kind:     by_value
    .group_segment_fixed_size: 0
    .kernarg_segment_align: 8
    .kernarg_segment_size: 80
    .language:       OpenCL C
    .language_version:
      - 2
      - 0
    .max_flat_workgroup_size: 256
    .name:           _ZN7rocprim17ROCPRIM_400000_NS6detail17trampoline_kernelINS0_14default_configENS1_36segmented_radix_sort_config_selectorIblEEZNS1_25segmented_radix_sort_implIS3_Lb1EPKbPbPKlPlN2at6native12_GLOBAL__N_18offset_tEEE10hipError_tPvRmT1_PNSt15iterator_traitsISK_E10value_typeET2_T3_PNSL_ISQ_E10value_typeET4_jRbjT5_SW_jjP12ihipStream_tbEUlT_E2_NS1_11comp_targetILNS1_3genE0ELNS1_11target_archE4294967295ELNS1_3gpuE0ELNS1_3repE0EEENS1_30default_config_static_selectorELNS0_4arch9wavefront6targetE0EEEvSK_
    .private_segment_fixed_size: 0
    .sgpr_count:     0
    .sgpr_spill_count: 0
    .symbol:         _ZN7rocprim17ROCPRIM_400000_NS6detail17trampoline_kernelINS0_14default_configENS1_36segmented_radix_sort_config_selectorIblEEZNS1_25segmented_radix_sort_implIS3_Lb1EPKbPbPKlPlN2at6native12_GLOBAL__N_18offset_tEEE10hipError_tPvRmT1_PNSt15iterator_traitsISK_E10value_typeET2_T3_PNSL_ISQ_E10value_typeET4_jRbjT5_SW_jjP12ihipStream_tbEUlT_E2_NS1_11comp_targetILNS1_3genE0ELNS1_11target_archE4294967295ELNS1_3gpuE0ELNS1_3repE0EEENS1_30default_config_static_selectorELNS0_4arch9wavefront6targetE0EEEvSK_.kd
    .uniform_work_group_size: 1
    .uses_dynamic_stack: false
    .vgpr_count:     0
    .vgpr_spill_count: 0
    .wavefront_size: 32
    .workgroup_processor_mode: 1
  - .args:
      - .offset:         0
        .size:           80
        .value_kind:     by_value
    .group_segment_fixed_size: 0
    .kernarg_segment_align: 8
    .kernarg_segment_size: 80
    .language:       OpenCL C
    .language_version:
      - 2
      - 0
    .max_flat_workgroup_size: 256
    .name:           _ZN7rocprim17ROCPRIM_400000_NS6detail17trampoline_kernelINS0_14default_configENS1_36segmented_radix_sort_config_selectorIblEEZNS1_25segmented_radix_sort_implIS3_Lb1EPKbPbPKlPlN2at6native12_GLOBAL__N_18offset_tEEE10hipError_tPvRmT1_PNSt15iterator_traitsISK_E10value_typeET2_T3_PNSL_ISQ_E10value_typeET4_jRbjT5_SW_jjP12ihipStream_tbEUlT_E2_NS1_11comp_targetILNS1_3genE5ELNS1_11target_archE942ELNS1_3gpuE9ELNS1_3repE0EEENS1_30default_config_static_selectorELNS0_4arch9wavefront6targetE0EEEvSK_
    .private_segment_fixed_size: 0
    .sgpr_count:     0
    .sgpr_spill_count: 0
    .symbol:         _ZN7rocprim17ROCPRIM_400000_NS6detail17trampoline_kernelINS0_14default_configENS1_36segmented_radix_sort_config_selectorIblEEZNS1_25segmented_radix_sort_implIS3_Lb1EPKbPbPKlPlN2at6native12_GLOBAL__N_18offset_tEEE10hipError_tPvRmT1_PNSt15iterator_traitsISK_E10value_typeET2_T3_PNSL_ISQ_E10value_typeET4_jRbjT5_SW_jjP12ihipStream_tbEUlT_E2_NS1_11comp_targetILNS1_3genE5ELNS1_11target_archE942ELNS1_3gpuE9ELNS1_3repE0EEENS1_30default_config_static_selectorELNS0_4arch9wavefront6targetE0EEEvSK_.kd
    .uniform_work_group_size: 1
    .uses_dynamic_stack: false
    .vgpr_count:     0
    .vgpr_spill_count: 0
    .wavefront_size: 32
    .workgroup_processor_mode: 1
  - .args:
      - .offset:         0
        .size:           80
        .value_kind:     by_value
    .group_segment_fixed_size: 0
    .kernarg_segment_align: 8
    .kernarg_segment_size: 80
    .language:       OpenCL C
    .language_version:
      - 2
      - 0
    .max_flat_workgroup_size: 256
    .name:           _ZN7rocprim17ROCPRIM_400000_NS6detail17trampoline_kernelINS0_14default_configENS1_36segmented_radix_sort_config_selectorIblEEZNS1_25segmented_radix_sort_implIS3_Lb1EPKbPbPKlPlN2at6native12_GLOBAL__N_18offset_tEEE10hipError_tPvRmT1_PNSt15iterator_traitsISK_E10value_typeET2_T3_PNSL_ISQ_E10value_typeET4_jRbjT5_SW_jjP12ihipStream_tbEUlT_E2_NS1_11comp_targetILNS1_3genE4ELNS1_11target_archE910ELNS1_3gpuE8ELNS1_3repE0EEENS1_30default_config_static_selectorELNS0_4arch9wavefront6targetE0EEEvSK_
    .private_segment_fixed_size: 0
    .sgpr_count:     0
    .sgpr_spill_count: 0
    .symbol:         _ZN7rocprim17ROCPRIM_400000_NS6detail17trampoline_kernelINS0_14default_configENS1_36segmented_radix_sort_config_selectorIblEEZNS1_25segmented_radix_sort_implIS3_Lb1EPKbPbPKlPlN2at6native12_GLOBAL__N_18offset_tEEE10hipError_tPvRmT1_PNSt15iterator_traitsISK_E10value_typeET2_T3_PNSL_ISQ_E10value_typeET4_jRbjT5_SW_jjP12ihipStream_tbEUlT_E2_NS1_11comp_targetILNS1_3genE4ELNS1_11target_archE910ELNS1_3gpuE8ELNS1_3repE0EEENS1_30default_config_static_selectorELNS0_4arch9wavefront6targetE0EEEvSK_.kd
    .uniform_work_group_size: 1
    .uses_dynamic_stack: false
    .vgpr_count:     0
    .vgpr_spill_count: 0
    .wavefront_size: 32
    .workgroup_processor_mode: 1
  - .args:
      - .offset:         0
        .size:           80
        .value_kind:     by_value
    .group_segment_fixed_size: 0
    .kernarg_segment_align: 8
    .kernarg_segment_size: 80
    .language:       OpenCL C
    .language_version:
      - 2
      - 0
    .max_flat_workgroup_size: 256
    .name:           _ZN7rocprim17ROCPRIM_400000_NS6detail17trampoline_kernelINS0_14default_configENS1_36segmented_radix_sort_config_selectorIblEEZNS1_25segmented_radix_sort_implIS3_Lb1EPKbPbPKlPlN2at6native12_GLOBAL__N_18offset_tEEE10hipError_tPvRmT1_PNSt15iterator_traitsISK_E10value_typeET2_T3_PNSL_ISQ_E10value_typeET4_jRbjT5_SW_jjP12ihipStream_tbEUlT_E2_NS1_11comp_targetILNS1_3genE3ELNS1_11target_archE908ELNS1_3gpuE7ELNS1_3repE0EEENS1_30default_config_static_selectorELNS0_4arch9wavefront6targetE0EEEvSK_
    .private_segment_fixed_size: 0
    .sgpr_count:     0
    .sgpr_spill_count: 0
    .symbol:         _ZN7rocprim17ROCPRIM_400000_NS6detail17trampoline_kernelINS0_14default_configENS1_36segmented_radix_sort_config_selectorIblEEZNS1_25segmented_radix_sort_implIS3_Lb1EPKbPbPKlPlN2at6native12_GLOBAL__N_18offset_tEEE10hipError_tPvRmT1_PNSt15iterator_traitsISK_E10value_typeET2_T3_PNSL_ISQ_E10value_typeET4_jRbjT5_SW_jjP12ihipStream_tbEUlT_E2_NS1_11comp_targetILNS1_3genE3ELNS1_11target_archE908ELNS1_3gpuE7ELNS1_3repE0EEENS1_30default_config_static_selectorELNS0_4arch9wavefront6targetE0EEEvSK_.kd
    .uniform_work_group_size: 1
    .uses_dynamic_stack: false
    .vgpr_count:     0
    .vgpr_spill_count: 0
    .wavefront_size: 32
    .workgroup_processor_mode: 1
  - .args:
      - .offset:         0
        .size:           80
        .value_kind:     by_value
    .group_segment_fixed_size: 0
    .kernarg_segment_align: 8
    .kernarg_segment_size: 80
    .language:       OpenCL C
    .language_version:
      - 2
      - 0
    .max_flat_workgroup_size: 256
    .name:           _ZN7rocprim17ROCPRIM_400000_NS6detail17trampoline_kernelINS0_14default_configENS1_36segmented_radix_sort_config_selectorIblEEZNS1_25segmented_radix_sort_implIS3_Lb1EPKbPbPKlPlN2at6native12_GLOBAL__N_18offset_tEEE10hipError_tPvRmT1_PNSt15iterator_traitsISK_E10value_typeET2_T3_PNSL_ISQ_E10value_typeET4_jRbjT5_SW_jjP12ihipStream_tbEUlT_E2_NS1_11comp_targetILNS1_3genE2ELNS1_11target_archE906ELNS1_3gpuE6ELNS1_3repE0EEENS1_30default_config_static_selectorELNS0_4arch9wavefront6targetE0EEEvSK_
    .private_segment_fixed_size: 0
    .sgpr_count:     0
    .sgpr_spill_count: 0
    .symbol:         _ZN7rocprim17ROCPRIM_400000_NS6detail17trampoline_kernelINS0_14default_configENS1_36segmented_radix_sort_config_selectorIblEEZNS1_25segmented_radix_sort_implIS3_Lb1EPKbPbPKlPlN2at6native12_GLOBAL__N_18offset_tEEE10hipError_tPvRmT1_PNSt15iterator_traitsISK_E10value_typeET2_T3_PNSL_ISQ_E10value_typeET4_jRbjT5_SW_jjP12ihipStream_tbEUlT_E2_NS1_11comp_targetILNS1_3genE2ELNS1_11target_archE906ELNS1_3gpuE6ELNS1_3repE0EEENS1_30default_config_static_selectorELNS0_4arch9wavefront6targetE0EEEvSK_.kd
    .uniform_work_group_size: 1
    .uses_dynamic_stack: false
    .vgpr_count:     0
    .vgpr_spill_count: 0
    .wavefront_size: 32
    .workgroup_processor_mode: 1
  - .args:
      - .offset:         0
        .size:           80
        .value_kind:     by_value
    .group_segment_fixed_size: 0
    .kernarg_segment_align: 8
    .kernarg_segment_size: 80
    .language:       OpenCL C
    .language_version:
      - 2
      - 0
    .max_flat_workgroup_size: 256
    .name:           _ZN7rocprim17ROCPRIM_400000_NS6detail17trampoline_kernelINS0_14default_configENS1_36segmented_radix_sort_config_selectorIblEEZNS1_25segmented_radix_sort_implIS3_Lb1EPKbPbPKlPlN2at6native12_GLOBAL__N_18offset_tEEE10hipError_tPvRmT1_PNSt15iterator_traitsISK_E10value_typeET2_T3_PNSL_ISQ_E10value_typeET4_jRbjT5_SW_jjP12ihipStream_tbEUlT_E2_NS1_11comp_targetILNS1_3genE10ELNS1_11target_archE1201ELNS1_3gpuE5ELNS1_3repE0EEENS1_30default_config_static_selectorELNS0_4arch9wavefront6targetE0EEEvSK_
    .private_segment_fixed_size: 0
    .sgpr_count:     0
    .sgpr_spill_count: 0
    .symbol:         _ZN7rocprim17ROCPRIM_400000_NS6detail17trampoline_kernelINS0_14default_configENS1_36segmented_radix_sort_config_selectorIblEEZNS1_25segmented_radix_sort_implIS3_Lb1EPKbPbPKlPlN2at6native12_GLOBAL__N_18offset_tEEE10hipError_tPvRmT1_PNSt15iterator_traitsISK_E10value_typeET2_T3_PNSL_ISQ_E10value_typeET4_jRbjT5_SW_jjP12ihipStream_tbEUlT_E2_NS1_11comp_targetILNS1_3genE10ELNS1_11target_archE1201ELNS1_3gpuE5ELNS1_3repE0EEENS1_30default_config_static_selectorELNS0_4arch9wavefront6targetE0EEEvSK_.kd
    .uniform_work_group_size: 1
    .uses_dynamic_stack: false
    .vgpr_count:     0
    .vgpr_spill_count: 0
    .wavefront_size: 32
    .workgroup_processor_mode: 1
  - .args:
      - .offset:         0
        .size:           80
        .value_kind:     by_value
    .group_segment_fixed_size: 0
    .kernarg_segment_align: 8
    .kernarg_segment_size: 80
    .language:       OpenCL C
    .language_version:
      - 2
      - 0
    .max_flat_workgroup_size: 128
    .name:           _ZN7rocprim17ROCPRIM_400000_NS6detail17trampoline_kernelINS0_14default_configENS1_36segmented_radix_sort_config_selectorIblEEZNS1_25segmented_radix_sort_implIS3_Lb1EPKbPbPKlPlN2at6native12_GLOBAL__N_18offset_tEEE10hipError_tPvRmT1_PNSt15iterator_traitsISK_E10value_typeET2_T3_PNSL_ISQ_E10value_typeET4_jRbjT5_SW_jjP12ihipStream_tbEUlT_E2_NS1_11comp_targetILNS1_3genE10ELNS1_11target_archE1200ELNS1_3gpuE4ELNS1_3repE0EEENS1_30default_config_static_selectorELNS0_4arch9wavefront6targetE0EEEvSK_
    .private_segment_fixed_size: 0
    .sgpr_count:     0
    .sgpr_spill_count: 0
    .symbol:         _ZN7rocprim17ROCPRIM_400000_NS6detail17trampoline_kernelINS0_14default_configENS1_36segmented_radix_sort_config_selectorIblEEZNS1_25segmented_radix_sort_implIS3_Lb1EPKbPbPKlPlN2at6native12_GLOBAL__N_18offset_tEEE10hipError_tPvRmT1_PNSt15iterator_traitsISK_E10value_typeET2_T3_PNSL_ISQ_E10value_typeET4_jRbjT5_SW_jjP12ihipStream_tbEUlT_E2_NS1_11comp_targetILNS1_3genE10ELNS1_11target_archE1200ELNS1_3gpuE4ELNS1_3repE0EEENS1_30default_config_static_selectorELNS0_4arch9wavefront6targetE0EEEvSK_.kd
    .uniform_work_group_size: 1
    .uses_dynamic_stack: false
    .vgpr_count:     0
    .vgpr_spill_count: 0
    .wavefront_size: 32
    .workgroup_processor_mode: 1
  - .args:
      - .offset:         0
        .size:           80
        .value_kind:     by_value
    .group_segment_fixed_size: 0
    .kernarg_segment_align: 8
    .kernarg_segment_size: 80
    .language:       OpenCL C
    .language_version:
      - 2
      - 0
    .max_flat_workgroup_size: 256
    .name:           _ZN7rocprim17ROCPRIM_400000_NS6detail17trampoline_kernelINS0_14default_configENS1_36segmented_radix_sort_config_selectorIblEEZNS1_25segmented_radix_sort_implIS3_Lb1EPKbPbPKlPlN2at6native12_GLOBAL__N_18offset_tEEE10hipError_tPvRmT1_PNSt15iterator_traitsISK_E10value_typeET2_T3_PNSL_ISQ_E10value_typeET4_jRbjT5_SW_jjP12ihipStream_tbEUlT_E2_NS1_11comp_targetILNS1_3genE9ELNS1_11target_archE1100ELNS1_3gpuE3ELNS1_3repE0EEENS1_30default_config_static_selectorELNS0_4arch9wavefront6targetE0EEEvSK_
    .private_segment_fixed_size: 0
    .sgpr_count:     0
    .sgpr_spill_count: 0
    .symbol:         _ZN7rocprim17ROCPRIM_400000_NS6detail17trampoline_kernelINS0_14default_configENS1_36segmented_radix_sort_config_selectorIblEEZNS1_25segmented_radix_sort_implIS3_Lb1EPKbPbPKlPlN2at6native12_GLOBAL__N_18offset_tEEE10hipError_tPvRmT1_PNSt15iterator_traitsISK_E10value_typeET2_T3_PNSL_ISQ_E10value_typeET4_jRbjT5_SW_jjP12ihipStream_tbEUlT_E2_NS1_11comp_targetILNS1_3genE9ELNS1_11target_archE1100ELNS1_3gpuE3ELNS1_3repE0EEENS1_30default_config_static_selectorELNS0_4arch9wavefront6targetE0EEEvSK_.kd
    .uniform_work_group_size: 1
    .uses_dynamic_stack: false
    .vgpr_count:     0
    .vgpr_spill_count: 0
    .wavefront_size: 32
    .workgroup_processor_mode: 1
  - .args:
      - .offset:         0
        .size:           80
        .value_kind:     by_value
      - .offset:         80
        .size:           4
        .value_kind:     hidden_block_count_x
      - .offset:         84
        .size:           4
        .value_kind:     hidden_block_count_y
      - .offset:         88
        .size:           4
        .value_kind:     hidden_block_count_z
      - .offset:         92
        .size:           2
        .value_kind:     hidden_group_size_x
      - .offset:         94
        .size:           2
        .value_kind:     hidden_group_size_y
      - .offset:         96
        .size:           2
        .value_kind:     hidden_group_size_z
      - .offset:         98
        .size:           2
        .value_kind:     hidden_remainder_x
      - .offset:         100
        .size:           2
        .value_kind:     hidden_remainder_y
      - .offset:         102
        .size:           2
        .value_kind:     hidden_remainder_z
      - .offset:         120
        .size:           8
        .value_kind:     hidden_global_offset_x
      - .offset:         128
        .size:           8
        .value_kind:     hidden_global_offset_y
      - .offset:         136
        .size:           8
        .value_kind:     hidden_global_offset_z
      - .offset:         144
        .size:           2
        .value_kind:     hidden_grid_dims
    .group_segment_fixed_size: 35344
    .kernarg_segment_align: 8
    .kernarg_segment_size: 336
    .language:       OpenCL C
    .language_version:
      - 2
      - 0
    .max_flat_workgroup_size: 256
    .name:           _ZN7rocprim17ROCPRIM_400000_NS6detail17trampoline_kernelINS0_14default_configENS1_36segmented_radix_sort_config_selectorIblEEZNS1_25segmented_radix_sort_implIS3_Lb1EPKbPbPKlPlN2at6native12_GLOBAL__N_18offset_tEEE10hipError_tPvRmT1_PNSt15iterator_traitsISK_E10value_typeET2_T3_PNSL_ISQ_E10value_typeET4_jRbjT5_SW_jjP12ihipStream_tbEUlT_E2_NS1_11comp_targetILNS1_3genE8ELNS1_11target_archE1030ELNS1_3gpuE2ELNS1_3repE0EEENS1_30default_config_static_selectorELNS0_4arch9wavefront6targetE0EEEvSK_
    .private_segment_fixed_size: 256
    .sgpr_count:     70
    .sgpr_spill_count: 0
    .symbol:         _ZN7rocprim17ROCPRIM_400000_NS6detail17trampoline_kernelINS0_14default_configENS1_36segmented_radix_sort_config_selectorIblEEZNS1_25segmented_radix_sort_implIS3_Lb1EPKbPbPKlPlN2at6native12_GLOBAL__N_18offset_tEEE10hipError_tPvRmT1_PNSt15iterator_traitsISK_E10value_typeET2_T3_PNSL_ISQ_E10value_typeET4_jRbjT5_SW_jjP12ihipStream_tbEUlT_E2_NS1_11comp_targetILNS1_3genE8ELNS1_11target_archE1030ELNS1_3gpuE2ELNS1_3repE0EEENS1_30default_config_static_selectorELNS0_4arch9wavefront6targetE0EEEvSK_.kd
    .uniform_work_group_size: 1
    .uses_dynamic_stack: false
    .vgpr_count:     248
    .vgpr_spill_count: 0
    .wavefront_size: 32
    .workgroup_processor_mode: 1
  - .args:
      - .offset:         0
        .size:           176
        .value_kind:     by_value
    .group_segment_fixed_size: 0
    .kernarg_segment_align: 8
    .kernarg_segment_size: 176
    .language:       OpenCL C
    .language_version:
      - 2
      - 0
    .max_flat_workgroup_size: 256
    .name:           _ZN7rocprim17ROCPRIM_400000_NS6detail17trampoline_kernelINS0_13select_configILj256ELj13ELNS0_17block_load_methodE3ELS4_3ELS4_3ELNS0_20block_scan_algorithmE0ELj4294967295EEENS1_25partition_config_selectorILNS1_17partition_subalgoE4EjNS0_10empty_typeEbEEZZNS1_14partition_implILS8_4ELb0ES6_15HIP_vector_typeIjLj2EENS0_17counting_iteratorIjlEEPS9_SG_NS0_5tupleIJPjSI_NS0_16reverse_iteratorISI_EEEEENSH_IJSG_SG_SG_EEES9_SI_JZNS1_25segmented_radix_sort_implINS0_14default_configELb0EPKbPbPKlPlN2at6native12_GLOBAL__N_18offset_tEEE10hipError_tPvRmT1_PNSt15iterator_traitsIS12_E10value_typeET2_T3_PNS13_IS18_E10value_typeET4_jRbjT5_S1E_jjP12ihipStream_tbEUljE_ZNSN_ISO_Lb0ESQ_SR_ST_SU_SY_EESZ_S10_S11_S12_S16_S17_S18_S1B_S1C_jS1D_jS1E_S1E_jjS1G_bEUljE0_EEESZ_S10_S11_S18_S1C_S1E_T6_T7_T9_mT8_S1G_bDpT10_ENKUlT_T0_E_clISt17integral_constantIbLb0EES1U_EEDaS1P_S1Q_EUlS1P_E_NS1_11comp_targetILNS1_3genE0ELNS1_11target_archE4294967295ELNS1_3gpuE0ELNS1_3repE0EEENS1_30default_config_static_selectorELNS0_4arch9wavefront6targetE0EEEvS12_
    .private_segment_fixed_size: 0
    .sgpr_count:     0
    .sgpr_spill_count: 0
    .symbol:         _ZN7rocprim17ROCPRIM_400000_NS6detail17trampoline_kernelINS0_13select_configILj256ELj13ELNS0_17block_load_methodE3ELS4_3ELS4_3ELNS0_20block_scan_algorithmE0ELj4294967295EEENS1_25partition_config_selectorILNS1_17partition_subalgoE4EjNS0_10empty_typeEbEEZZNS1_14partition_implILS8_4ELb0ES6_15HIP_vector_typeIjLj2EENS0_17counting_iteratorIjlEEPS9_SG_NS0_5tupleIJPjSI_NS0_16reverse_iteratorISI_EEEEENSH_IJSG_SG_SG_EEES9_SI_JZNS1_25segmented_radix_sort_implINS0_14default_configELb0EPKbPbPKlPlN2at6native12_GLOBAL__N_18offset_tEEE10hipError_tPvRmT1_PNSt15iterator_traitsIS12_E10value_typeET2_T3_PNS13_IS18_E10value_typeET4_jRbjT5_S1E_jjP12ihipStream_tbEUljE_ZNSN_ISO_Lb0ESQ_SR_ST_SU_SY_EESZ_S10_S11_S12_S16_S17_S18_S1B_S1C_jS1D_jS1E_S1E_jjS1G_bEUljE0_EEESZ_S10_S11_S18_S1C_S1E_T6_T7_T9_mT8_S1G_bDpT10_ENKUlT_T0_E_clISt17integral_constantIbLb0EES1U_EEDaS1P_S1Q_EUlS1P_E_NS1_11comp_targetILNS1_3genE0ELNS1_11target_archE4294967295ELNS1_3gpuE0ELNS1_3repE0EEENS1_30default_config_static_selectorELNS0_4arch9wavefront6targetE0EEEvS12_.kd
    .uniform_work_group_size: 1
    .uses_dynamic_stack: false
    .vgpr_count:     0
    .vgpr_spill_count: 0
    .wavefront_size: 32
    .workgroup_processor_mode: 1
  - .args:
      - .offset:         0
        .size:           176
        .value_kind:     by_value
    .group_segment_fixed_size: 0
    .kernarg_segment_align: 8
    .kernarg_segment_size: 176
    .language:       OpenCL C
    .language_version:
      - 2
      - 0
    .max_flat_workgroup_size: 256
    .name:           _ZN7rocprim17ROCPRIM_400000_NS6detail17trampoline_kernelINS0_13select_configILj256ELj13ELNS0_17block_load_methodE3ELS4_3ELS4_3ELNS0_20block_scan_algorithmE0ELj4294967295EEENS1_25partition_config_selectorILNS1_17partition_subalgoE4EjNS0_10empty_typeEbEEZZNS1_14partition_implILS8_4ELb0ES6_15HIP_vector_typeIjLj2EENS0_17counting_iteratorIjlEEPS9_SG_NS0_5tupleIJPjSI_NS0_16reverse_iteratorISI_EEEEENSH_IJSG_SG_SG_EEES9_SI_JZNS1_25segmented_radix_sort_implINS0_14default_configELb0EPKbPbPKlPlN2at6native12_GLOBAL__N_18offset_tEEE10hipError_tPvRmT1_PNSt15iterator_traitsIS12_E10value_typeET2_T3_PNS13_IS18_E10value_typeET4_jRbjT5_S1E_jjP12ihipStream_tbEUljE_ZNSN_ISO_Lb0ESQ_SR_ST_SU_SY_EESZ_S10_S11_S12_S16_S17_S18_S1B_S1C_jS1D_jS1E_S1E_jjS1G_bEUljE0_EEESZ_S10_S11_S18_S1C_S1E_T6_T7_T9_mT8_S1G_bDpT10_ENKUlT_T0_E_clISt17integral_constantIbLb0EES1U_EEDaS1P_S1Q_EUlS1P_E_NS1_11comp_targetILNS1_3genE5ELNS1_11target_archE942ELNS1_3gpuE9ELNS1_3repE0EEENS1_30default_config_static_selectorELNS0_4arch9wavefront6targetE0EEEvS12_
    .private_segment_fixed_size: 0
    .sgpr_count:     0
    .sgpr_spill_count: 0
    .symbol:         _ZN7rocprim17ROCPRIM_400000_NS6detail17trampoline_kernelINS0_13select_configILj256ELj13ELNS0_17block_load_methodE3ELS4_3ELS4_3ELNS0_20block_scan_algorithmE0ELj4294967295EEENS1_25partition_config_selectorILNS1_17partition_subalgoE4EjNS0_10empty_typeEbEEZZNS1_14partition_implILS8_4ELb0ES6_15HIP_vector_typeIjLj2EENS0_17counting_iteratorIjlEEPS9_SG_NS0_5tupleIJPjSI_NS0_16reverse_iteratorISI_EEEEENSH_IJSG_SG_SG_EEES9_SI_JZNS1_25segmented_radix_sort_implINS0_14default_configELb0EPKbPbPKlPlN2at6native12_GLOBAL__N_18offset_tEEE10hipError_tPvRmT1_PNSt15iterator_traitsIS12_E10value_typeET2_T3_PNS13_IS18_E10value_typeET4_jRbjT5_S1E_jjP12ihipStream_tbEUljE_ZNSN_ISO_Lb0ESQ_SR_ST_SU_SY_EESZ_S10_S11_S12_S16_S17_S18_S1B_S1C_jS1D_jS1E_S1E_jjS1G_bEUljE0_EEESZ_S10_S11_S18_S1C_S1E_T6_T7_T9_mT8_S1G_bDpT10_ENKUlT_T0_E_clISt17integral_constantIbLb0EES1U_EEDaS1P_S1Q_EUlS1P_E_NS1_11comp_targetILNS1_3genE5ELNS1_11target_archE942ELNS1_3gpuE9ELNS1_3repE0EEENS1_30default_config_static_selectorELNS0_4arch9wavefront6targetE0EEEvS12_.kd
    .uniform_work_group_size: 1
    .uses_dynamic_stack: false
    .vgpr_count:     0
    .vgpr_spill_count: 0
    .wavefront_size: 32
    .workgroup_processor_mode: 1
  - .args:
      - .offset:         0
        .size:           176
        .value_kind:     by_value
    .group_segment_fixed_size: 0
    .kernarg_segment_align: 8
    .kernarg_segment_size: 176
    .language:       OpenCL C
    .language_version:
      - 2
      - 0
    .max_flat_workgroup_size: 256
    .name:           _ZN7rocprim17ROCPRIM_400000_NS6detail17trampoline_kernelINS0_13select_configILj256ELj13ELNS0_17block_load_methodE3ELS4_3ELS4_3ELNS0_20block_scan_algorithmE0ELj4294967295EEENS1_25partition_config_selectorILNS1_17partition_subalgoE4EjNS0_10empty_typeEbEEZZNS1_14partition_implILS8_4ELb0ES6_15HIP_vector_typeIjLj2EENS0_17counting_iteratorIjlEEPS9_SG_NS0_5tupleIJPjSI_NS0_16reverse_iteratorISI_EEEEENSH_IJSG_SG_SG_EEES9_SI_JZNS1_25segmented_radix_sort_implINS0_14default_configELb0EPKbPbPKlPlN2at6native12_GLOBAL__N_18offset_tEEE10hipError_tPvRmT1_PNSt15iterator_traitsIS12_E10value_typeET2_T3_PNS13_IS18_E10value_typeET4_jRbjT5_S1E_jjP12ihipStream_tbEUljE_ZNSN_ISO_Lb0ESQ_SR_ST_SU_SY_EESZ_S10_S11_S12_S16_S17_S18_S1B_S1C_jS1D_jS1E_S1E_jjS1G_bEUljE0_EEESZ_S10_S11_S18_S1C_S1E_T6_T7_T9_mT8_S1G_bDpT10_ENKUlT_T0_E_clISt17integral_constantIbLb0EES1U_EEDaS1P_S1Q_EUlS1P_E_NS1_11comp_targetILNS1_3genE4ELNS1_11target_archE910ELNS1_3gpuE8ELNS1_3repE0EEENS1_30default_config_static_selectorELNS0_4arch9wavefront6targetE0EEEvS12_
    .private_segment_fixed_size: 0
    .sgpr_count:     0
    .sgpr_spill_count: 0
    .symbol:         _ZN7rocprim17ROCPRIM_400000_NS6detail17trampoline_kernelINS0_13select_configILj256ELj13ELNS0_17block_load_methodE3ELS4_3ELS4_3ELNS0_20block_scan_algorithmE0ELj4294967295EEENS1_25partition_config_selectorILNS1_17partition_subalgoE4EjNS0_10empty_typeEbEEZZNS1_14partition_implILS8_4ELb0ES6_15HIP_vector_typeIjLj2EENS0_17counting_iteratorIjlEEPS9_SG_NS0_5tupleIJPjSI_NS0_16reverse_iteratorISI_EEEEENSH_IJSG_SG_SG_EEES9_SI_JZNS1_25segmented_radix_sort_implINS0_14default_configELb0EPKbPbPKlPlN2at6native12_GLOBAL__N_18offset_tEEE10hipError_tPvRmT1_PNSt15iterator_traitsIS12_E10value_typeET2_T3_PNS13_IS18_E10value_typeET4_jRbjT5_S1E_jjP12ihipStream_tbEUljE_ZNSN_ISO_Lb0ESQ_SR_ST_SU_SY_EESZ_S10_S11_S12_S16_S17_S18_S1B_S1C_jS1D_jS1E_S1E_jjS1G_bEUljE0_EEESZ_S10_S11_S18_S1C_S1E_T6_T7_T9_mT8_S1G_bDpT10_ENKUlT_T0_E_clISt17integral_constantIbLb0EES1U_EEDaS1P_S1Q_EUlS1P_E_NS1_11comp_targetILNS1_3genE4ELNS1_11target_archE910ELNS1_3gpuE8ELNS1_3repE0EEENS1_30default_config_static_selectorELNS0_4arch9wavefront6targetE0EEEvS12_.kd
    .uniform_work_group_size: 1
    .uses_dynamic_stack: false
    .vgpr_count:     0
    .vgpr_spill_count: 0
    .wavefront_size: 32
    .workgroup_processor_mode: 1
  - .args:
      - .offset:         0
        .size:           176
        .value_kind:     by_value
    .group_segment_fixed_size: 0
    .kernarg_segment_align: 8
    .kernarg_segment_size: 176
    .language:       OpenCL C
    .language_version:
      - 2
      - 0
    .max_flat_workgroup_size: 256
    .name:           _ZN7rocprim17ROCPRIM_400000_NS6detail17trampoline_kernelINS0_13select_configILj256ELj13ELNS0_17block_load_methodE3ELS4_3ELS4_3ELNS0_20block_scan_algorithmE0ELj4294967295EEENS1_25partition_config_selectorILNS1_17partition_subalgoE4EjNS0_10empty_typeEbEEZZNS1_14partition_implILS8_4ELb0ES6_15HIP_vector_typeIjLj2EENS0_17counting_iteratorIjlEEPS9_SG_NS0_5tupleIJPjSI_NS0_16reverse_iteratorISI_EEEEENSH_IJSG_SG_SG_EEES9_SI_JZNS1_25segmented_radix_sort_implINS0_14default_configELb0EPKbPbPKlPlN2at6native12_GLOBAL__N_18offset_tEEE10hipError_tPvRmT1_PNSt15iterator_traitsIS12_E10value_typeET2_T3_PNS13_IS18_E10value_typeET4_jRbjT5_S1E_jjP12ihipStream_tbEUljE_ZNSN_ISO_Lb0ESQ_SR_ST_SU_SY_EESZ_S10_S11_S12_S16_S17_S18_S1B_S1C_jS1D_jS1E_S1E_jjS1G_bEUljE0_EEESZ_S10_S11_S18_S1C_S1E_T6_T7_T9_mT8_S1G_bDpT10_ENKUlT_T0_E_clISt17integral_constantIbLb0EES1U_EEDaS1P_S1Q_EUlS1P_E_NS1_11comp_targetILNS1_3genE3ELNS1_11target_archE908ELNS1_3gpuE7ELNS1_3repE0EEENS1_30default_config_static_selectorELNS0_4arch9wavefront6targetE0EEEvS12_
    .private_segment_fixed_size: 0
    .sgpr_count:     0
    .sgpr_spill_count: 0
    .symbol:         _ZN7rocprim17ROCPRIM_400000_NS6detail17trampoline_kernelINS0_13select_configILj256ELj13ELNS0_17block_load_methodE3ELS4_3ELS4_3ELNS0_20block_scan_algorithmE0ELj4294967295EEENS1_25partition_config_selectorILNS1_17partition_subalgoE4EjNS0_10empty_typeEbEEZZNS1_14partition_implILS8_4ELb0ES6_15HIP_vector_typeIjLj2EENS0_17counting_iteratorIjlEEPS9_SG_NS0_5tupleIJPjSI_NS0_16reverse_iteratorISI_EEEEENSH_IJSG_SG_SG_EEES9_SI_JZNS1_25segmented_radix_sort_implINS0_14default_configELb0EPKbPbPKlPlN2at6native12_GLOBAL__N_18offset_tEEE10hipError_tPvRmT1_PNSt15iterator_traitsIS12_E10value_typeET2_T3_PNS13_IS18_E10value_typeET4_jRbjT5_S1E_jjP12ihipStream_tbEUljE_ZNSN_ISO_Lb0ESQ_SR_ST_SU_SY_EESZ_S10_S11_S12_S16_S17_S18_S1B_S1C_jS1D_jS1E_S1E_jjS1G_bEUljE0_EEESZ_S10_S11_S18_S1C_S1E_T6_T7_T9_mT8_S1G_bDpT10_ENKUlT_T0_E_clISt17integral_constantIbLb0EES1U_EEDaS1P_S1Q_EUlS1P_E_NS1_11comp_targetILNS1_3genE3ELNS1_11target_archE908ELNS1_3gpuE7ELNS1_3repE0EEENS1_30default_config_static_selectorELNS0_4arch9wavefront6targetE0EEEvS12_.kd
    .uniform_work_group_size: 1
    .uses_dynamic_stack: false
    .vgpr_count:     0
    .vgpr_spill_count: 0
    .wavefront_size: 32
    .workgroup_processor_mode: 1
  - .args:
      - .offset:         0
        .size:           176
        .value_kind:     by_value
    .group_segment_fixed_size: 0
    .kernarg_segment_align: 8
    .kernarg_segment_size: 176
    .language:       OpenCL C
    .language_version:
      - 2
      - 0
    .max_flat_workgroup_size: 256
    .name:           _ZN7rocprim17ROCPRIM_400000_NS6detail17trampoline_kernelINS0_13select_configILj256ELj13ELNS0_17block_load_methodE3ELS4_3ELS4_3ELNS0_20block_scan_algorithmE0ELj4294967295EEENS1_25partition_config_selectorILNS1_17partition_subalgoE4EjNS0_10empty_typeEbEEZZNS1_14partition_implILS8_4ELb0ES6_15HIP_vector_typeIjLj2EENS0_17counting_iteratorIjlEEPS9_SG_NS0_5tupleIJPjSI_NS0_16reverse_iteratorISI_EEEEENSH_IJSG_SG_SG_EEES9_SI_JZNS1_25segmented_radix_sort_implINS0_14default_configELb0EPKbPbPKlPlN2at6native12_GLOBAL__N_18offset_tEEE10hipError_tPvRmT1_PNSt15iterator_traitsIS12_E10value_typeET2_T3_PNS13_IS18_E10value_typeET4_jRbjT5_S1E_jjP12ihipStream_tbEUljE_ZNSN_ISO_Lb0ESQ_SR_ST_SU_SY_EESZ_S10_S11_S12_S16_S17_S18_S1B_S1C_jS1D_jS1E_S1E_jjS1G_bEUljE0_EEESZ_S10_S11_S18_S1C_S1E_T6_T7_T9_mT8_S1G_bDpT10_ENKUlT_T0_E_clISt17integral_constantIbLb0EES1U_EEDaS1P_S1Q_EUlS1P_E_NS1_11comp_targetILNS1_3genE2ELNS1_11target_archE906ELNS1_3gpuE6ELNS1_3repE0EEENS1_30default_config_static_selectorELNS0_4arch9wavefront6targetE0EEEvS12_
    .private_segment_fixed_size: 0
    .sgpr_count:     0
    .sgpr_spill_count: 0
    .symbol:         _ZN7rocprim17ROCPRIM_400000_NS6detail17trampoline_kernelINS0_13select_configILj256ELj13ELNS0_17block_load_methodE3ELS4_3ELS4_3ELNS0_20block_scan_algorithmE0ELj4294967295EEENS1_25partition_config_selectorILNS1_17partition_subalgoE4EjNS0_10empty_typeEbEEZZNS1_14partition_implILS8_4ELb0ES6_15HIP_vector_typeIjLj2EENS0_17counting_iteratorIjlEEPS9_SG_NS0_5tupleIJPjSI_NS0_16reverse_iteratorISI_EEEEENSH_IJSG_SG_SG_EEES9_SI_JZNS1_25segmented_radix_sort_implINS0_14default_configELb0EPKbPbPKlPlN2at6native12_GLOBAL__N_18offset_tEEE10hipError_tPvRmT1_PNSt15iterator_traitsIS12_E10value_typeET2_T3_PNS13_IS18_E10value_typeET4_jRbjT5_S1E_jjP12ihipStream_tbEUljE_ZNSN_ISO_Lb0ESQ_SR_ST_SU_SY_EESZ_S10_S11_S12_S16_S17_S18_S1B_S1C_jS1D_jS1E_S1E_jjS1G_bEUljE0_EEESZ_S10_S11_S18_S1C_S1E_T6_T7_T9_mT8_S1G_bDpT10_ENKUlT_T0_E_clISt17integral_constantIbLb0EES1U_EEDaS1P_S1Q_EUlS1P_E_NS1_11comp_targetILNS1_3genE2ELNS1_11target_archE906ELNS1_3gpuE6ELNS1_3repE0EEENS1_30default_config_static_selectorELNS0_4arch9wavefront6targetE0EEEvS12_.kd
    .uniform_work_group_size: 1
    .uses_dynamic_stack: false
    .vgpr_count:     0
    .vgpr_spill_count: 0
    .wavefront_size: 32
    .workgroup_processor_mode: 1
  - .args:
      - .offset:         0
        .size:           176
        .value_kind:     by_value
    .group_segment_fixed_size: 0
    .kernarg_segment_align: 8
    .kernarg_segment_size: 176
    .language:       OpenCL C
    .language_version:
      - 2
      - 0
    .max_flat_workgroup_size: 256
    .name:           _ZN7rocprim17ROCPRIM_400000_NS6detail17trampoline_kernelINS0_13select_configILj256ELj13ELNS0_17block_load_methodE3ELS4_3ELS4_3ELNS0_20block_scan_algorithmE0ELj4294967295EEENS1_25partition_config_selectorILNS1_17partition_subalgoE4EjNS0_10empty_typeEbEEZZNS1_14partition_implILS8_4ELb0ES6_15HIP_vector_typeIjLj2EENS0_17counting_iteratorIjlEEPS9_SG_NS0_5tupleIJPjSI_NS0_16reverse_iteratorISI_EEEEENSH_IJSG_SG_SG_EEES9_SI_JZNS1_25segmented_radix_sort_implINS0_14default_configELb0EPKbPbPKlPlN2at6native12_GLOBAL__N_18offset_tEEE10hipError_tPvRmT1_PNSt15iterator_traitsIS12_E10value_typeET2_T3_PNS13_IS18_E10value_typeET4_jRbjT5_S1E_jjP12ihipStream_tbEUljE_ZNSN_ISO_Lb0ESQ_SR_ST_SU_SY_EESZ_S10_S11_S12_S16_S17_S18_S1B_S1C_jS1D_jS1E_S1E_jjS1G_bEUljE0_EEESZ_S10_S11_S18_S1C_S1E_T6_T7_T9_mT8_S1G_bDpT10_ENKUlT_T0_E_clISt17integral_constantIbLb0EES1U_EEDaS1P_S1Q_EUlS1P_E_NS1_11comp_targetILNS1_3genE10ELNS1_11target_archE1200ELNS1_3gpuE4ELNS1_3repE0EEENS1_30default_config_static_selectorELNS0_4arch9wavefront6targetE0EEEvS12_
    .private_segment_fixed_size: 0
    .sgpr_count:     0
    .sgpr_spill_count: 0
    .symbol:         _ZN7rocprim17ROCPRIM_400000_NS6detail17trampoline_kernelINS0_13select_configILj256ELj13ELNS0_17block_load_methodE3ELS4_3ELS4_3ELNS0_20block_scan_algorithmE0ELj4294967295EEENS1_25partition_config_selectorILNS1_17partition_subalgoE4EjNS0_10empty_typeEbEEZZNS1_14partition_implILS8_4ELb0ES6_15HIP_vector_typeIjLj2EENS0_17counting_iteratorIjlEEPS9_SG_NS0_5tupleIJPjSI_NS0_16reverse_iteratorISI_EEEEENSH_IJSG_SG_SG_EEES9_SI_JZNS1_25segmented_radix_sort_implINS0_14default_configELb0EPKbPbPKlPlN2at6native12_GLOBAL__N_18offset_tEEE10hipError_tPvRmT1_PNSt15iterator_traitsIS12_E10value_typeET2_T3_PNS13_IS18_E10value_typeET4_jRbjT5_S1E_jjP12ihipStream_tbEUljE_ZNSN_ISO_Lb0ESQ_SR_ST_SU_SY_EESZ_S10_S11_S12_S16_S17_S18_S1B_S1C_jS1D_jS1E_S1E_jjS1G_bEUljE0_EEESZ_S10_S11_S18_S1C_S1E_T6_T7_T9_mT8_S1G_bDpT10_ENKUlT_T0_E_clISt17integral_constantIbLb0EES1U_EEDaS1P_S1Q_EUlS1P_E_NS1_11comp_targetILNS1_3genE10ELNS1_11target_archE1200ELNS1_3gpuE4ELNS1_3repE0EEENS1_30default_config_static_selectorELNS0_4arch9wavefront6targetE0EEEvS12_.kd
    .uniform_work_group_size: 1
    .uses_dynamic_stack: false
    .vgpr_count:     0
    .vgpr_spill_count: 0
    .wavefront_size: 32
    .workgroup_processor_mode: 1
  - .args:
      - .offset:         0
        .size:           176
        .value_kind:     by_value
    .group_segment_fixed_size: 0
    .kernarg_segment_align: 8
    .kernarg_segment_size: 176
    .language:       OpenCL C
    .language_version:
      - 2
      - 0
    .max_flat_workgroup_size: 256
    .name:           _ZN7rocprim17ROCPRIM_400000_NS6detail17trampoline_kernelINS0_13select_configILj256ELj13ELNS0_17block_load_methodE3ELS4_3ELS4_3ELNS0_20block_scan_algorithmE0ELj4294967295EEENS1_25partition_config_selectorILNS1_17partition_subalgoE4EjNS0_10empty_typeEbEEZZNS1_14partition_implILS8_4ELb0ES6_15HIP_vector_typeIjLj2EENS0_17counting_iteratorIjlEEPS9_SG_NS0_5tupleIJPjSI_NS0_16reverse_iteratorISI_EEEEENSH_IJSG_SG_SG_EEES9_SI_JZNS1_25segmented_radix_sort_implINS0_14default_configELb0EPKbPbPKlPlN2at6native12_GLOBAL__N_18offset_tEEE10hipError_tPvRmT1_PNSt15iterator_traitsIS12_E10value_typeET2_T3_PNS13_IS18_E10value_typeET4_jRbjT5_S1E_jjP12ihipStream_tbEUljE_ZNSN_ISO_Lb0ESQ_SR_ST_SU_SY_EESZ_S10_S11_S12_S16_S17_S18_S1B_S1C_jS1D_jS1E_S1E_jjS1G_bEUljE0_EEESZ_S10_S11_S18_S1C_S1E_T6_T7_T9_mT8_S1G_bDpT10_ENKUlT_T0_E_clISt17integral_constantIbLb0EES1U_EEDaS1P_S1Q_EUlS1P_E_NS1_11comp_targetILNS1_3genE9ELNS1_11target_archE1100ELNS1_3gpuE3ELNS1_3repE0EEENS1_30default_config_static_selectorELNS0_4arch9wavefront6targetE0EEEvS12_
    .private_segment_fixed_size: 0
    .sgpr_count:     0
    .sgpr_spill_count: 0
    .symbol:         _ZN7rocprim17ROCPRIM_400000_NS6detail17trampoline_kernelINS0_13select_configILj256ELj13ELNS0_17block_load_methodE3ELS4_3ELS4_3ELNS0_20block_scan_algorithmE0ELj4294967295EEENS1_25partition_config_selectorILNS1_17partition_subalgoE4EjNS0_10empty_typeEbEEZZNS1_14partition_implILS8_4ELb0ES6_15HIP_vector_typeIjLj2EENS0_17counting_iteratorIjlEEPS9_SG_NS0_5tupleIJPjSI_NS0_16reverse_iteratorISI_EEEEENSH_IJSG_SG_SG_EEES9_SI_JZNS1_25segmented_radix_sort_implINS0_14default_configELb0EPKbPbPKlPlN2at6native12_GLOBAL__N_18offset_tEEE10hipError_tPvRmT1_PNSt15iterator_traitsIS12_E10value_typeET2_T3_PNS13_IS18_E10value_typeET4_jRbjT5_S1E_jjP12ihipStream_tbEUljE_ZNSN_ISO_Lb0ESQ_SR_ST_SU_SY_EESZ_S10_S11_S12_S16_S17_S18_S1B_S1C_jS1D_jS1E_S1E_jjS1G_bEUljE0_EEESZ_S10_S11_S18_S1C_S1E_T6_T7_T9_mT8_S1G_bDpT10_ENKUlT_T0_E_clISt17integral_constantIbLb0EES1U_EEDaS1P_S1Q_EUlS1P_E_NS1_11comp_targetILNS1_3genE9ELNS1_11target_archE1100ELNS1_3gpuE3ELNS1_3repE0EEENS1_30default_config_static_selectorELNS0_4arch9wavefront6targetE0EEEvS12_.kd
    .uniform_work_group_size: 1
    .uses_dynamic_stack: false
    .vgpr_count:     0
    .vgpr_spill_count: 0
    .wavefront_size: 32
    .workgroup_processor_mode: 1
  - .args:
      - .offset:         0
        .size:           176
        .value_kind:     by_value
    .group_segment_fixed_size: 13328
    .kernarg_segment_align: 8
    .kernarg_segment_size: 176
    .language:       OpenCL C
    .language_version:
      - 2
      - 0
    .max_flat_workgroup_size: 256
    .name:           _ZN7rocprim17ROCPRIM_400000_NS6detail17trampoline_kernelINS0_13select_configILj256ELj13ELNS0_17block_load_methodE3ELS4_3ELS4_3ELNS0_20block_scan_algorithmE0ELj4294967295EEENS1_25partition_config_selectorILNS1_17partition_subalgoE4EjNS0_10empty_typeEbEEZZNS1_14partition_implILS8_4ELb0ES6_15HIP_vector_typeIjLj2EENS0_17counting_iteratorIjlEEPS9_SG_NS0_5tupleIJPjSI_NS0_16reverse_iteratorISI_EEEEENSH_IJSG_SG_SG_EEES9_SI_JZNS1_25segmented_radix_sort_implINS0_14default_configELb0EPKbPbPKlPlN2at6native12_GLOBAL__N_18offset_tEEE10hipError_tPvRmT1_PNSt15iterator_traitsIS12_E10value_typeET2_T3_PNS13_IS18_E10value_typeET4_jRbjT5_S1E_jjP12ihipStream_tbEUljE_ZNSN_ISO_Lb0ESQ_SR_ST_SU_SY_EESZ_S10_S11_S12_S16_S17_S18_S1B_S1C_jS1D_jS1E_S1E_jjS1G_bEUljE0_EEESZ_S10_S11_S18_S1C_S1E_T6_T7_T9_mT8_S1G_bDpT10_ENKUlT_T0_E_clISt17integral_constantIbLb0EES1U_EEDaS1P_S1Q_EUlS1P_E_NS1_11comp_targetILNS1_3genE8ELNS1_11target_archE1030ELNS1_3gpuE2ELNS1_3repE0EEENS1_30default_config_static_selectorELNS0_4arch9wavefront6targetE0EEEvS12_
    .private_segment_fixed_size: 0
    .sgpr_count:     61
    .sgpr_spill_count: 0
    .symbol:         _ZN7rocprim17ROCPRIM_400000_NS6detail17trampoline_kernelINS0_13select_configILj256ELj13ELNS0_17block_load_methodE3ELS4_3ELS4_3ELNS0_20block_scan_algorithmE0ELj4294967295EEENS1_25partition_config_selectorILNS1_17partition_subalgoE4EjNS0_10empty_typeEbEEZZNS1_14partition_implILS8_4ELb0ES6_15HIP_vector_typeIjLj2EENS0_17counting_iteratorIjlEEPS9_SG_NS0_5tupleIJPjSI_NS0_16reverse_iteratorISI_EEEEENSH_IJSG_SG_SG_EEES9_SI_JZNS1_25segmented_radix_sort_implINS0_14default_configELb0EPKbPbPKlPlN2at6native12_GLOBAL__N_18offset_tEEE10hipError_tPvRmT1_PNSt15iterator_traitsIS12_E10value_typeET2_T3_PNS13_IS18_E10value_typeET4_jRbjT5_S1E_jjP12ihipStream_tbEUljE_ZNSN_ISO_Lb0ESQ_SR_ST_SU_SY_EESZ_S10_S11_S12_S16_S17_S18_S1B_S1C_jS1D_jS1E_S1E_jjS1G_bEUljE0_EEESZ_S10_S11_S18_S1C_S1E_T6_T7_T9_mT8_S1G_bDpT10_ENKUlT_T0_E_clISt17integral_constantIbLb0EES1U_EEDaS1P_S1Q_EUlS1P_E_NS1_11comp_targetILNS1_3genE8ELNS1_11target_archE1030ELNS1_3gpuE2ELNS1_3repE0EEENS1_30default_config_static_selectorELNS0_4arch9wavefront6targetE0EEEvS12_.kd
    .uniform_work_group_size: 1
    .uses_dynamic_stack: false
    .vgpr_count:     82
    .vgpr_spill_count: 0
    .wavefront_size: 32
    .workgroup_processor_mode: 1
  - .args:
      - .offset:         0
        .size:           184
        .value_kind:     by_value
    .group_segment_fixed_size: 0
    .kernarg_segment_align: 8
    .kernarg_segment_size: 184
    .language:       OpenCL C
    .language_version:
      - 2
      - 0
    .max_flat_workgroup_size: 256
    .name:           _ZN7rocprim17ROCPRIM_400000_NS6detail17trampoline_kernelINS0_13select_configILj256ELj13ELNS0_17block_load_methodE3ELS4_3ELS4_3ELNS0_20block_scan_algorithmE0ELj4294967295EEENS1_25partition_config_selectorILNS1_17partition_subalgoE4EjNS0_10empty_typeEbEEZZNS1_14partition_implILS8_4ELb0ES6_15HIP_vector_typeIjLj2EENS0_17counting_iteratorIjlEEPS9_SG_NS0_5tupleIJPjSI_NS0_16reverse_iteratorISI_EEEEENSH_IJSG_SG_SG_EEES9_SI_JZNS1_25segmented_radix_sort_implINS0_14default_configELb0EPKbPbPKlPlN2at6native12_GLOBAL__N_18offset_tEEE10hipError_tPvRmT1_PNSt15iterator_traitsIS12_E10value_typeET2_T3_PNS13_IS18_E10value_typeET4_jRbjT5_S1E_jjP12ihipStream_tbEUljE_ZNSN_ISO_Lb0ESQ_SR_ST_SU_SY_EESZ_S10_S11_S12_S16_S17_S18_S1B_S1C_jS1D_jS1E_S1E_jjS1G_bEUljE0_EEESZ_S10_S11_S18_S1C_S1E_T6_T7_T9_mT8_S1G_bDpT10_ENKUlT_T0_E_clISt17integral_constantIbLb1EES1U_EEDaS1P_S1Q_EUlS1P_E_NS1_11comp_targetILNS1_3genE0ELNS1_11target_archE4294967295ELNS1_3gpuE0ELNS1_3repE0EEENS1_30default_config_static_selectorELNS0_4arch9wavefront6targetE0EEEvS12_
    .private_segment_fixed_size: 0
    .sgpr_count:     0
    .sgpr_spill_count: 0
    .symbol:         _ZN7rocprim17ROCPRIM_400000_NS6detail17trampoline_kernelINS0_13select_configILj256ELj13ELNS0_17block_load_methodE3ELS4_3ELS4_3ELNS0_20block_scan_algorithmE0ELj4294967295EEENS1_25partition_config_selectorILNS1_17partition_subalgoE4EjNS0_10empty_typeEbEEZZNS1_14partition_implILS8_4ELb0ES6_15HIP_vector_typeIjLj2EENS0_17counting_iteratorIjlEEPS9_SG_NS0_5tupleIJPjSI_NS0_16reverse_iteratorISI_EEEEENSH_IJSG_SG_SG_EEES9_SI_JZNS1_25segmented_radix_sort_implINS0_14default_configELb0EPKbPbPKlPlN2at6native12_GLOBAL__N_18offset_tEEE10hipError_tPvRmT1_PNSt15iterator_traitsIS12_E10value_typeET2_T3_PNS13_IS18_E10value_typeET4_jRbjT5_S1E_jjP12ihipStream_tbEUljE_ZNSN_ISO_Lb0ESQ_SR_ST_SU_SY_EESZ_S10_S11_S12_S16_S17_S18_S1B_S1C_jS1D_jS1E_S1E_jjS1G_bEUljE0_EEESZ_S10_S11_S18_S1C_S1E_T6_T7_T9_mT8_S1G_bDpT10_ENKUlT_T0_E_clISt17integral_constantIbLb1EES1U_EEDaS1P_S1Q_EUlS1P_E_NS1_11comp_targetILNS1_3genE0ELNS1_11target_archE4294967295ELNS1_3gpuE0ELNS1_3repE0EEENS1_30default_config_static_selectorELNS0_4arch9wavefront6targetE0EEEvS12_.kd
    .uniform_work_group_size: 1
    .uses_dynamic_stack: false
    .vgpr_count:     0
    .vgpr_spill_count: 0
    .wavefront_size: 32
    .workgroup_processor_mode: 1
  - .args:
      - .offset:         0
        .size:           184
        .value_kind:     by_value
    .group_segment_fixed_size: 0
    .kernarg_segment_align: 8
    .kernarg_segment_size: 184
    .language:       OpenCL C
    .language_version:
      - 2
      - 0
    .max_flat_workgroup_size: 256
    .name:           _ZN7rocprim17ROCPRIM_400000_NS6detail17trampoline_kernelINS0_13select_configILj256ELj13ELNS0_17block_load_methodE3ELS4_3ELS4_3ELNS0_20block_scan_algorithmE0ELj4294967295EEENS1_25partition_config_selectorILNS1_17partition_subalgoE4EjNS0_10empty_typeEbEEZZNS1_14partition_implILS8_4ELb0ES6_15HIP_vector_typeIjLj2EENS0_17counting_iteratorIjlEEPS9_SG_NS0_5tupleIJPjSI_NS0_16reverse_iteratorISI_EEEEENSH_IJSG_SG_SG_EEES9_SI_JZNS1_25segmented_radix_sort_implINS0_14default_configELb0EPKbPbPKlPlN2at6native12_GLOBAL__N_18offset_tEEE10hipError_tPvRmT1_PNSt15iterator_traitsIS12_E10value_typeET2_T3_PNS13_IS18_E10value_typeET4_jRbjT5_S1E_jjP12ihipStream_tbEUljE_ZNSN_ISO_Lb0ESQ_SR_ST_SU_SY_EESZ_S10_S11_S12_S16_S17_S18_S1B_S1C_jS1D_jS1E_S1E_jjS1G_bEUljE0_EEESZ_S10_S11_S18_S1C_S1E_T6_T7_T9_mT8_S1G_bDpT10_ENKUlT_T0_E_clISt17integral_constantIbLb1EES1U_EEDaS1P_S1Q_EUlS1P_E_NS1_11comp_targetILNS1_3genE5ELNS1_11target_archE942ELNS1_3gpuE9ELNS1_3repE0EEENS1_30default_config_static_selectorELNS0_4arch9wavefront6targetE0EEEvS12_
    .private_segment_fixed_size: 0
    .sgpr_count:     0
    .sgpr_spill_count: 0
    .symbol:         _ZN7rocprim17ROCPRIM_400000_NS6detail17trampoline_kernelINS0_13select_configILj256ELj13ELNS0_17block_load_methodE3ELS4_3ELS4_3ELNS0_20block_scan_algorithmE0ELj4294967295EEENS1_25partition_config_selectorILNS1_17partition_subalgoE4EjNS0_10empty_typeEbEEZZNS1_14partition_implILS8_4ELb0ES6_15HIP_vector_typeIjLj2EENS0_17counting_iteratorIjlEEPS9_SG_NS0_5tupleIJPjSI_NS0_16reverse_iteratorISI_EEEEENSH_IJSG_SG_SG_EEES9_SI_JZNS1_25segmented_radix_sort_implINS0_14default_configELb0EPKbPbPKlPlN2at6native12_GLOBAL__N_18offset_tEEE10hipError_tPvRmT1_PNSt15iterator_traitsIS12_E10value_typeET2_T3_PNS13_IS18_E10value_typeET4_jRbjT5_S1E_jjP12ihipStream_tbEUljE_ZNSN_ISO_Lb0ESQ_SR_ST_SU_SY_EESZ_S10_S11_S12_S16_S17_S18_S1B_S1C_jS1D_jS1E_S1E_jjS1G_bEUljE0_EEESZ_S10_S11_S18_S1C_S1E_T6_T7_T9_mT8_S1G_bDpT10_ENKUlT_T0_E_clISt17integral_constantIbLb1EES1U_EEDaS1P_S1Q_EUlS1P_E_NS1_11comp_targetILNS1_3genE5ELNS1_11target_archE942ELNS1_3gpuE9ELNS1_3repE0EEENS1_30default_config_static_selectorELNS0_4arch9wavefront6targetE0EEEvS12_.kd
    .uniform_work_group_size: 1
    .uses_dynamic_stack: false
    .vgpr_count:     0
    .vgpr_spill_count: 0
    .wavefront_size: 32
    .workgroup_processor_mode: 1
  - .args:
      - .offset:         0
        .size:           184
        .value_kind:     by_value
    .group_segment_fixed_size: 0
    .kernarg_segment_align: 8
    .kernarg_segment_size: 184
    .language:       OpenCL C
    .language_version:
      - 2
      - 0
    .max_flat_workgroup_size: 256
    .name:           _ZN7rocprim17ROCPRIM_400000_NS6detail17trampoline_kernelINS0_13select_configILj256ELj13ELNS0_17block_load_methodE3ELS4_3ELS4_3ELNS0_20block_scan_algorithmE0ELj4294967295EEENS1_25partition_config_selectorILNS1_17partition_subalgoE4EjNS0_10empty_typeEbEEZZNS1_14partition_implILS8_4ELb0ES6_15HIP_vector_typeIjLj2EENS0_17counting_iteratorIjlEEPS9_SG_NS0_5tupleIJPjSI_NS0_16reverse_iteratorISI_EEEEENSH_IJSG_SG_SG_EEES9_SI_JZNS1_25segmented_radix_sort_implINS0_14default_configELb0EPKbPbPKlPlN2at6native12_GLOBAL__N_18offset_tEEE10hipError_tPvRmT1_PNSt15iterator_traitsIS12_E10value_typeET2_T3_PNS13_IS18_E10value_typeET4_jRbjT5_S1E_jjP12ihipStream_tbEUljE_ZNSN_ISO_Lb0ESQ_SR_ST_SU_SY_EESZ_S10_S11_S12_S16_S17_S18_S1B_S1C_jS1D_jS1E_S1E_jjS1G_bEUljE0_EEESZ_S10_S11_S18_S1C_S1E_T6_T7_T9_mT8_S1G_bDpT10_ENKUlT_T0_E_clISt17integral_constantIbLb1EES1U_EEDaS1P_S1Q_EUlS1P_E_NS1_11comp_targetILNS1_3genE4ELNS1_11target_archE910ELNS1_3gpuE8ELNS1_3repE0EEENS1_30default_config_static_selectorELNS0_4arch9wavefront6targetE0EEEvS12_
    .private_segment_fixed_size: 0
    .sgpr_count:     0
    .sgpr_spill_count: 0
    .symbol:         _ZN7rocprim17ROCPRIM_400000_NS6detail17trampoline_kernelINS0_13select_configILj256ELj13ELNS0_17block_load_methodE3ELS4_3ELS4_3ELNS0_20block_scan_algorithmE0ELj4294967295EEENS1_25partition_config_selectorILNS1_17partition_subalgoE4EjNS0_10empty_typeEbEEZZNS1_14partition_implILS8_4ELb0ES6_15HIP_vector_typeIjLj2EENS0_17counting_iteratorIjlEEPS9_SG_NS0_5tupleIJPjSI_NS0_16reverse_iteratorISI_EEEEENSH_IJSG_SG_SG_EEES9_SI_JZNS1_25segmented_radix_sort_implINS0_14default_configELb0EPKbPbPKlPlN2at6native12_GLOBAL__N_18offset_tEEE10hipError_tPvRmT1_PNSt15iterator_traitsIS12_E10value_typeET2_T3_PNS13_IS18_E10value_typeET4_jRbjT5_S1E_jjP12ihipStream_tbEUljE_ZNSN_ISO_Lb0ESQ_SR_ST_SU_SY_EESZ_S10_S11_S12_S16_S17_S18_S1B_S1C_jS1D_jS1E_S1E_jjS1G_bEUljE0_EEESZ_S10_S11_S18_S1C_S1E_T6_T7_T9_mT8_S1G_bDpT10_ENKUlT_T0_E_clISt17integral_constantIbLb1EES1U_EEDaS1P_S1Q_EUlS1P_E_NS1_11comp_targetILNS1_3genE4ELNS1_11target_archE910ELNS1_3gpuE8ELNS1_3repE0EEENS1_30default_config_static_selectorELNS0_4arch9wavefront6targetE0EEEvS12_.kd
    .uniform_work_group_size: 1
    .uses_dynamic_stack: false
    .vgpr_count:     0
    .vgpr_spill_count: 0
    .wavefront_size: 32
    .workgroup_processor_mode: 1
  - .args:
      - .offset:         0
        .size:           184
        .value_kind:     by_value
    .group_segment_fixed_size: 0
    .kernarg_segment_align: 8
    .kernarg_segment_size: 184
    .language:       OpenCL C
    .language_version:
      - 2
      - 0
    .max_flat_workgroup_size: 256
    .name:           _ZN7rocprim17ROCPRIM_400000_NS6detail17trampoline_kernelINS0_13select_configILj256ELj13ELNS0_17block_load_methodE3ELS4_3ELS4_3ELNS0_20block_scan_algorithmE0ELj4294967295EEENS1_25partition_config_selectorILNS1_17partition_subalgoE4EjNS0_10empty_typeEbEEZZNS1_14partition_implILS8_4ELb0ES6_15HIP_vector_typeIjLj2EENS0_17counting_iteratorIjlEEPS9_SG_NS0_5tupleIJPjSI_NS0_16reverse_iteratorISI_EEEEENSH_IJSG_SG_SG_EEES9_SI_JZNS1_25segmented_radix_sort_implINS0_14default_configELb0EPKbPbPKlPlN2at6native12_GLOBAL__N_18offset_tEEE10hipError_tPvRmT1_PNSt15iterator_traitsIS12_E10value_typeET2_T3_PNS13_IS18_E10value_typeET4_jRbjT5_S1E_jjP12ihipStream_tbEUljE_ZNSN_ISO_Lb0ESQ_SR_ST_SU_SY_EESZ_S10_S11_S12_S16_S17_S18_S1B_S1C_jS1D_jS1E_S1E_jjS1G_bEUljE0_EEESZ_S10_S11_S18_S1C_S1E_T6_T7_T9_mT8_S1G_bDpT10_ENKUlT_T0_E_clISt17integral_constantIbLb1EES1U_EEDaS1P_S1Q_EUlS1P_E_NS1_11comp_targetILNS1_3genE3ELNS1_11target_archE908ELNS1_3gpuE7ELNS1_3repE0EEENS1_30default_config_static_selectorELNS0_4arch9wavefront6targetE0EEEvS12_
    .private_segment_fixed_size: 0
    .sgpr_count:     0
    .sgpr_spill_count: 0
    .symbol:         _ZN7rocprim17ROCPRIM_400000_NS6detail17trampoline_kernelINS0_13select_configILj256ELj13ELNS0_17block_load_methodE3ELS4_3ELS4_3ELNS0_20block_scan_algorithmE0ELj4294967295EEENS1_25partition_config_selectorILNS1_17partition_subalgoE4EjNS0_10empty_typeEbEEZZNS1_14partition_implILS8_4ELb0ES6_15HIP_vector_typeIjLj2EENS0_17counting_iteratorIjlEEPS9_SG_NS0_5tupleIJPjSI_NS0_16reverse_iteratorISI_EEEEENSH_IJSG_SG_SG_EEES9_SI_JZNS1_25segmented_radix_sort_implINS0_14default_configELb0EPKbPbPKlPlN2at6native12_GLOBAL__N_18offset_tEEE10hipError_tPvRmT1_PNSt15iterator_traitsIS12_E10value_typeET2_T3_PNS13_IS18_E10value_typeET4_jRbjT5_S1E_jjP12ihipStream_tbEUljE_ZNSN_ISO_Lb0ESQ_SR_ST_SU_SY_EESZ_S10_S11_S12_S16_S17_S18_S1B_S1C_jS1D_jS1E_S1E_jjS1G_bEUljE0_EEESZ_S10_S11_S18_S1C_S1E_T6_T7_T9_mT8_S1G_bDpT10_ENKUlT_T0_E_clISt17integral_constantIbLb1EES1U_EEDaS1P_S1Q_EUlS1P_E_NS1_11comp_targetILNS1_3genE3ELNS1_11target_archE908ELNS1_3gpuE7ELNS1_3repE0EEENS1_30default_config_static_selectorELNS0_4arch9wavefront6targetE0EEEvS12_.kd
    .uniform_work_group_size: 1
    .uses_dynamic_stack: false
    .vgpr_count:     0
    .vgpr_spill_count: 0
    .wavefront_size: 32
    .workgroup_processor_mode: 1
  - .args:
      - .offset:         0
        .size:           184
        .value_kind:     by_value
    .group_segment_fixed_size: 0
    .kernarg_segment_align: 8
    .kernarg_segment_size: 184
    .language:       OpenCL C
    .language_version:
      - 2
      - 0
    .max_flat_workgroup_size: 256
    .name:           _ZN7rocprim17ROCPRIM_400000_NS6detail17trampoline_kernelINS0_13select_configILj256ELj13ELNS0_17block_load_methodE3ELS4_3ELS4_3ELNS0_20block_scan_algorithmE0ELj4294967295EEENS1_25partition_config_selectorILNS1_17partition_subalgoE4EjNS0_10empty_typeEbEEZZNS1_14partition_implILS8_4ELb0ES6_15HIP_vector_typeIjLj2EENS0_17counting_iteratorIjlEEPS9_SG_NS0_5tupleIJPjSI_NS0_16reverse_iteratorISI_EEEEENSH_IJSG_SG_SG_EEES9_SI_JZNS1_25segmented_radix_sort_implINS0_14default_configELb0EPKbPbPKlPlN2at6native12_GLOBAL__N_18offset_tEEE10hipError_tPvRmT1_PNSt15iterator_traitsIS12_E10value_typeET2_T3_PNS13_IS18_E10value_typeET4_jRbjT5_S1E_jjP12ihipStream_tbEUljE_ZNSN_ISO_Lb0ESQ_SR_ST_SU_SY_EESZ_S10_S11_S12_S16_S17_S18_S1B_S1C_jS1D_jS1E_S1E_jjS1G_bEUljE0_EEESZ_S10_S11_S18_S1C_S1E_T6_T7_T9_mT8_S1G_bDpT10_ENKUlT_T0_E_clISt17integral_constantIbLb1EES1U_EEDaS1P_S1Q_EUlS1P_E_NS1_11comp_targetILNS1_3genE2ELNS1_11target_archE906ELNS1_3gpuE6ELNS1_3repE0EEENS1_30default_config_static_selectorELNS0_4arch9wavefront6targetE0EEEvS12_
    .private_segment_fixed_size: 0
    .sgpr_count:     0
    .sgpr_spill_count: 0
    .symbol:         _ZN7rocprim17ROCPRIM_400000_NS6detail17trampoline_kernelINS0_13select_configILj256ELj13ELNS0_17block_load_methodE3ELS4_3ELS4_3ELNS0_20block_scan_algorithmE0ELj4294967295EEENS1_25partition_config_selectorILNS1_17partition_subalgoE4EjNS0_10empty_typeEbEEZZNS1_14partition_implILS8_4ELb0ES6_15HIP_vector_typeIjLj2EENS0_17counting_iteratorIjlEEPS9_SG_NS0_5tupleIJPjSI_NS0_16reverse_iteratorISI_EEEEENSH_IJSG_SG_SG_EEES9_SI_JZNS1_25segmented_radix_sort_implINS0_14default_configELb0EPKbPbPKlPlN2at6native12_GLOBAL__N_18offset_tEEE10hipError_tPvRmT1_PNSt15iterator_traitsIS12_E10value_typeET2_T3_PNS13_IS18_E10value_typeET4_jRbjT5_S1E_jjP12ihipStream_tbEUljE_ZNSN_ISO_Lb0ESQ_SR_ST_SU_SY_EESZ_S10_S11_S12_S16_S17_S18_S1B_S1C_jS1D_jS1E_S1E_jjS1G_bEUljE0_EEESZ_S10_S11_S18_S1C_S1E_T6_T7_T9_mT8_S1G_bDpT10_ENKUlT_T0_E_clISt17integral_constantIbLb1EES1U_EEDaS1P_S1Q_EUlS1P_E_NS1_11comp_targetILNS1_3genE2ELNS1_11target_archE906ELNS1_3gpuE6ELNS1_3repE0EEENS1_30default_config_static_selectorELNS0_4arch9wavefront6targetE0EEEvS12_.kd
    .uniform_work_group_size: 1
    .uses_dynamic_stack: false
    .vgpr_count:     0
    .vgpr_spill_count: 0
    .wavefront_size: 32
    .workgroup_processor_mode: 1
  - .args:
      - .offset:         0
        .size:           184
        .value_kind:     by_value
    .group_segment_fixed_size: 0
    .kernarg_segment_align: 8
    .kernarg_segment_size: 184
    .language:       OpenCL C
    .language_version:
      - 2
      - 0
    .max_flat_workgroup_size: 256
    .name:           _ZN7rocprim17ROCPRIM_400000_NS6detail17trampoline_kernelINS0_13select_configILj256ELj13ELNS0_17block_load_methodE3ELS4_3ELS4_3ELNS0_20block_scan_algorithmE0ELj4294967295EEENS1_25partition_config_selectorILNS1_17partition_subalgoE4EjNS0_10empty_typeEbEEZZNS1_14partition_implILS8_4ELb0ES6_15HIP_vector_typeIjLj2EENS0_17counting_iteratorIjlEEPS9_SG_NS0_5tupleIJPjSI_NS0_16reverse_iteratorISI_EEEEENSH_IJSG_SG_SG_EEES9_SI_JZNS1_25segmented_radix_sort_implINS0_14default_configELb0EPKbPbPKlPlN2at6native12_GLOBAL__N_18offset_tEEE10hipError_tPvRmT1_PNSt15iterator_traitsIS12_E10value_typeET2_T3_PNS13_IS18_E10value_typeET4_jRbjT5_S1E_jjP12ihipStream_tbEUljE_ZNSN_ISO_Lb0ESQ_SR_ST_SU_SY_EESZ_S10_S11_S12_S16_S17_S18_S1B_S1C_jS1D_jS1E_S1E_jjS1G_bEUljE0_EEESZ_S10_S11_S18_S1C_S1E_T6_T7_T9_mT8_S1G_bDpT10_ENKUlT_T0_E_clISt17integral_constantIbLb1EES1U_EEDaS1P_S1Q_EUlS1P_E_NS1_11comp_targetILNS1_3genE10ELNS1_11target_archE1200ELNS1_3gpuE4ELNS1_3repE0EEENS1_30default_config_static_selectorELNS0_4arch9wavefront6targetE0EEEvS12_
    .private_segment_fixed_size: 0
    .sgpr_count:     0
    .sgpr_spill_count: 0
    .symbol:         _ZN7rocprim17ROCPRIM_400000_NS6detail17trampoline_kernelINS0_13select_configILj256ELj13ELNS0_17block_load_methodE3ELS4_3ELS4_3ELNS0_20block_scan_algorithmE0ELj4294967295EEENS1_25partition_config_selectorILNS1_17partition_subalgoE4EjNS0_10empty_typeEbEEZZNS1_14partition_implILS8_4ELb0ES6_15HIP_vector_typeIjLj2EENS0_17counting_iteratorIjlEEPS9_SG_NS0_5tupleIJPjSI_NS0_16reverse_iteratorISI_EEEEENSH_IJSG_SG_SG_EEES9_SI_JZNS1_25segmented_radix_sort_implINS0_14default_configELb0EPKbPbPKlPlN2at6native12_GLOBAL__N_18offset_tEEE10hipError_tPvRmT1_PNSt15iterator_traitsIS12_E10value_typeET2_T3_PNS13_IS18_E10value_typeET4_jRbjT5_S1E_jjP12ihipStream_tbEUljE_ZNSN_ISO_Lb0ESQ_SR_ST_SU_SY_EESZ_S10_S11_S12_S16_S17_S18_S1B_S1C_jS1D_jS1E_S1E_jjS1G_bEUljE0_EEESZ_S10_S11_S18_S1C_S1E_T6_T7_T9_mT8_S1G_bDpT10_ENKUlT_T0_E_clISt17integral_constantIbLb1EES1U_EEDaS1P_S1Q_EUlS1P_E_NS1_11comp_targetILNS1_3genE10ELNS1_11target_archE1200ELNS1_3gpuE4ELNS1_3repE0EEENS1_30default_config_static_selectorELNS0_4arch9wavefront6targetE0EEEvS12_.kd
    .uniform_work_group_size: 1
    .uses_dynamic_stack: false
    .vgpr_count:     0
    .vgpr_spill_count: 0
    .wavefront_size: 32
    .workgroup_processor_mode: 1
  - .args:
      - .offset:         0
        .size:           184
        .value_kind:     by_value
    .group_segment_fixed_size: 0
    .kernarg_segment_align: 8
    .kernarg_segment_size: 184
    .language:       OpenCL C
    .language_version:
      - 2
      - 0
    .max_flat_workgroup_size: 256
    .name:           _ZN7rocprim17ROCPRIM_400000_NS6detail17trampoline_kernelINS0_13select_configILj256ELj13ELNS0_17block_load_methodE3ELS4_3ELS4_3ELNS0_20block_scan_algorithmE0ELj4294967295EEENS1_25partition_config_selectorILNS1_17partition_subalgoE4EjNS0_10empty_typeEbEEZZNS1_14partition_implILS8_4ELb0ES6_15HIP_vector_typeIjLj2EENS0_17counting_iteratorIjlEEPS9_SG_NS0_5tupleIJPjSI_NS0_16reverse_iteratorISI_EEEEENSH_IJSG_SG_SG_EEES9_SI_JZNS1_25segmented_radix_sort_implINS0_14default_configELb0EPKbPbPKlPlN2at6native12_GLOBAL__N_18offset_tEEE10hipError_tPvRmT1_PNSt15iterator_traitsIS12_E10value_typeET2_T3_PNS13_IS18_E10value_typeET4_jRbjT5_S1E_jjP12ihipStream_tbEUljE_ZNSN_ISO_Lb0ESQ_SR_ST_SU_SY_EESZ_S10_S11_S12_S16_S17_S18_S1B_S1C_jS1D_jS1E_S1E_jjS1G_bEUljE0_EEESZ_S10_S11_S18_S1C_S1E_T6_T7_T9_mT8_S1G_bDpT10_ENKUlT_T0_E_clISt17integral_constantIbLb1EES1U_EEDaS1P_S1Q_EUlS1P_E_NS1_11comp_targetILNS1_3genE9ELNS1_11target_archE1100ELNS1_3gpuE3ELNS1_3repE0EEENS1_30default_config_static_selectorELNS0_4arch9wavefront6targetE0EEEvS12_
    .private_segment_fixed_size: 0
    .sgpr_count:     0
    .sgpr_spill_count: 0
    .symbol:         _ZN7rocprim17ROCPRIM_400000_NS6detail17trampoline_kernelINS0_13select_configILj256ELj13ELNS0_17block_load_methodE3ELS4_3ELS4_3ELNS0_20block_scan_algorithmE0ELj4294967295EEENS1_25partition_config_selectorILNS1_17partition_subalgoE4EjNS0_10empty_typeEbEEZZNS1_14partition_implILS8_4ELb0ES6_15HIP_vector_typeIjLj2EENS0_17counting_iteratorIjlEEPS9_SG_NS0_5tupleIJPjSI_NS0_16reverse_iteratorISI_EEEEENSH_IJSG_SG_SG_EEES9_SI_JZNS1_25segmented_radix_sort_implINS0_14default_configELb0EPKbPbPKlPlN2at6native12_GLOBAL__N_18offset_tEEE10hipError_tPvRmT1_PNSt15iterator_traitsIS12_E10value_typeET2_T3_PNS13_IS18_E10value_typeET4_jRbjT5_S1E_jjP12ihipStream_tbEUljE_ZNSN_ISO_Lb0ESQ_SR_ST_SU_SY_EESZ_S10_S11_S12_S16_S17_S18_S1B_S1C_jS1D_jS1E_S1E_jjS1G_bEUljE0_EEESZ_S10_S11_S18_S1C_S1E_T6_T7_T9_mT8_S1G_bDpT10_ENKUlT_T0_E_clISt17integral_constantIbLb1EES1U_EEDaS1P_S1Q_EUlS1P_E_NS1_11comp_targetILNS1_3genE9ELNS1_11target_archE1100ELNS1_3gpuE3ELNS1_3repE0EEENS1_30default_config_static_selectorELNS0_4arch9wavefront6targetE0EEEvS12_.kd
    .uniform_work_group_size: 1
    .uses_dynamic_stack: false
    .vgpr_count:     0
    .vgpr_spill_count: 0
    .wavefront_size: 32
    .workgroup_processor_mode: 1
  - .args:
      - .offset:         0
        .size:           184
        .value_kind:     by_value
    .group_segment_fixed_size: 0
    .kernarg_segment_align: 8
    .kernarg_segment_size: 184
    .language:       OpenCL C
    .language_version:
      - 2
      - 0
    .max_flat_workgroup_size: 256
    .name:           _ZN7rocprim17ROCPRIM_400000_NS6detail17trampoline_kernelINS0_13select_configILj256ELj13ELNS0_17block_load_methodE3ELS4_3ELS4_3ELNS0_20block_scan_algorithmE0ELj4294967295EEENS1_25partition_config_selectorILNS1_17partition_subalgoE4EjNS0_10empty_typeEbEEZZNS1_14partition_implILS8_4ELb0ES6_15HIP_vector_typeIjLj2EENS0_17counting_iteratorIjlEEPS9_SG_NS0_5tupleIJPjSI_NS0_16reverse_iteratorISI_EEEEENSH_IJSG_SG_SG_EEES9_SI_JZNS1_25segmented_radix_sort_implINS0_14default_configELb0EPKbPbPKlPlN2at6native12_GLOBAL__N_18offset_tEEE10hipError_tPvRmT1_PNSt15iterator_traitsIS12_E10value_typeET2_T3_PNS13_IS18_E10value_typeET4_jRbjT5_S1E_jjP12ihipStream_tbEUljE_ZNSN_ISO_Lb0ESQ_SR_ST_SU_SY_EESZ_S10_S11_S12_S16_S17_S18_S1B_S1C_jS1D_jS1E_S1E_jjS1G_bEUljE0_EEESZ_S10_S11_S18_S1C_S1E_T6_T7_T9_mT8_S1G_bDpT10_ENKUlT_T0_E_clISt17integral_constantIbLb1EES1U_EEDaS1P_S1Q_EUlS1P_E_NS1_11comp_targetILNS1_3genE8ELNS1_11target_archE1030ELNS1_3gpuE2ELNS1_3repE0EEENS1_30default_config_static_selectorELNS0_4arch9wavefront6targetE0EEEvS12_
    .private_segment_fixed_size: 0
    .sgpr_count:     0
    .sgpr_spill_count: 0
    .symbol:         _ZN7rocprim17ROCPRIM_400000_NS6detail17trampoline_kernelINS0_13select_configILj256ELj13ELNS0_17block_load_methodE3ELS4_3ELS4_3ELNS0_20block_scan_algorithmE0ELj4294967295EEENS1_25partition_config_selectorILNS1_17partition_subalgoE4EjNS0_10empty_typeEbEEZZNS1_14partition_implILS8_4ELb0ES6_15HIP_vector_typeIjLj2EENS0_17counting_iteratorIjlEEPS9_SG_NS0_5tupleIJPjSI_NS0_16reverse_iteratorISI_EEEEENSH_IJSG_SG_SG_EEES9_SI_JZNS1_25segmented_radix_sort_implINS0_14default_configELb0EPKbPbPKlPlN2at6native12_GLOBAL__N_18offset_tEEE10hipError_tPvRmT1_PNSt15iterator_traitsIS12_E10value_typeET2_T3_PNS13_IS18_E10value_typeET4_jRbjT5_S1E_jjP12ihipStream_tbEUljE_ZNSN_ISO_Lb0ESQ_SR_ST_SU_SY_EESZ_S10_S11_S12_S16_S17_S18_S1B_S1C_jS1D_jS1E_S1E_jjS1G_bEUljE0_EEESZ_S10_S11_S18_S1C_S1E_T6_T7_T9_mT8_S1G_bDpT10_ENKUlT_T0_E_clISt17integral_constantIbLb1EES1U_EEDaS1P_S1Q_EUlS1P_E_NS1_11comp_targetILNS1_3genE8ELNS1_11target_archE1030ELNS1_3gpuE2ELNS1_3repE0EEENS1_30default_config_static_selectorELNS0_4arch9wavefront6targetE0EEEvS12_.kd
    .uniform_work_group_size: 1
    .uses_dynamic_stack: false
    .vgpr_count:     0
    .vgpr_spill_count: 0
    .wavefront_size: 32
    .workgroup_processor_mode: 1
  - .args:
      - .offset:         0
        .size:           176
        .value_kind:     by_value
    .group_segment_fixed_size: 0
    .kernarg_segment_align: 8
    .kernarg_segment_size: 176
    .language:       OpenCL C
    .language_version:
      - 2
      - 0
    .max_flat_workgroup_size: 256
    .name:           _ZN7rocprim17ROCPRIM_400000_NS6detail17trampoline_kernelINS0_13select_configILj256ELj13ELNS0_17block_load_methodE3ELS4_3ELS4_3ELNS0_20block_scan_algorithmE0ELj4294967295EEENS1_25partition_config_selectorILNS1_17partition_subalgoE4EjNS0_10empty_typeEbEEZZNS1_14partition_implILS8_4ELb0ES6_15HIP_vector_typeIjLj2EENS0_17counting_iteratorIjlEEPS9_SG_NS0_5tupleIJPjSI_NS0_16reverse_iteratorISI_EEEEENSH_IJSG_SG_SG_EEES9_SI_JZNS1_25segmented_radix_sort_implINS0_14default_configELb0EPKbPbPKlPlN2at6native12_GLOBAL__N_18offset_tEEE10hipError_tPvRmT1_PNSt15iterator_traitsIS12_E10value_typeET2_T3_PNS13_IS18_E10value_typeET4_jRbjT5_S1E_jjP12ihipStream_tbEUljE_ZNSN_ISO_Lb0ESQ_SR_ST_SU_SY_EESZ_S10_S11_S12_S16_S17_S18_S1B_S1C_jS1D_jS1E_S1E_jjS1G_bEUljE0_EEESZ_S10_S11_S18_S1C_S1E_T6_T7_T9_mT8_S1G_bDpT10_ENKUlT_T0_E_clISt17integral_constantIbLb1EES1T_IbLb0EEEEDaS1P_S1Q_EUlS1P_E_NS1_11comp_targetILNS1_3genE0ELNS1_11target_archE4294967295ELNS1_3gpuE0ELNS1_3repE0EEENS1_30default_config_static_selectorELNS0_4arch9wavefront6targetE0EEEvS12_
    .private_segment_fixed_size: 0
    .sgpr_count:     0
    .sgpr_spill_count: 0
    .symbol:         _ZN7rocprim17ROCPRIM_400000_NS6detail17trampoline_kernelINS0_13select_configILj256ELj13ELNS0_17block_load_methodE3ELS4_3ELS4_3ELNS0_20block_scan_algorithmE0ELj4294967295EEENS1_25partition_config_selectorILNS1_17partition_subalgoE4EjNS0_10empty_typeEbEEZZNS1_14partition_implILS8_4ELb0ES6_15HIP_vector_typeIjLj2EENS0_17counting_iteratorIjlEEPS9_SG_NS0_5tupleIJPjSI_NS0_16reverse_iteratorISI_EEEEENSH_IJSG_SG_SG_EEES9_SI_JZNS1_25segmented_radix_sort_implINS0_14default_configELb0EPKbPbPKlPlN2at6native12_GLOBAL__N_18offset_tEEE10hipError_tPvRmT1_PNSt15iterator_traitsIS12_E10value_typeET2_T3_PNS13_IS18_E10value_typeET4_jRbjT5_S1E_jjP12ihipStream_tbEUljE_ZNSN_ISO_Lb0ESQ_SR_ST_SU_SY_EESZ_S10_S11_S12_S16_S17_S18_S1B_S1C_jS1D_jS1E_S1E_jjS1G_bEUljE0_EEESZ_S10_S11_S18_S1C_S1E_T6_T7_T9_mT8_S1G_bDpT10_ENKUlT_T0_E_clISt17integral_constantIbLb1EES1T_IbLb0EEEEDaS1P_S1Q_EUlS1P_E_NS1_11comp_targetILNS1_3genE0ELNS1_11target_archE4294967295ELNS1_3gpuE0ELNS1_3repE0EEENS1_30default_config_static_selectorELNS0_4arch9wavefront6targetE0EEEvS12_.kd
    .uniform_work_group_size: 1
    .uses_dynamic_stack: false
    .vgpr_count:     0
    .vgpr_spill_count: 0
    .wavefront_size: 32
    .workgroup_processor_mode: 1
  - .args:
      - .offset:         0
        .size:           176
        .value_kind:     by_value
    .group_segment_fixed_size: 0
    .kernarg_segment_align: 8
    .kernarg_segment_size: 176
    .language:       OpenCL C
    .language_version:
      - 2
      - 0
    .max_flat_workgroup_size: 256
    .name:           _ZN7rocprim17ROCPRIM_400000_NS6detail17trampoline_kernelINS0_13select_configILj256ELj13ELNS0_17block_load_methodE3ELS4_3ELS4_3ELNS0_20block_scan_algorithmE0ELj4294967295EEENS1_25partition_config_selectorILNS1_17partition_subalgoE4EjNS0_10empty_typeEbEEZZNS1_14partition_implILS8_4ELb0ES6_15HIP_vector_typeIjLj2EENS0_17counting_iteratorIjlEEPS9_SG_NS0_5tupleIJPjSI_NS0_16reverse_iteratorISI_EEEEENSH_IJSG_SG_SG_EEES9_SI_JZNS1_25segmented_radix_sort_implINS0_14default_configELb0EPKbPbPKlPlN2at6native12_GLOBAL__N_18offset_tEEE10hipError_tPvRmT1_PNSt15iterator_traitsIS12_E10value_typeET2_T3_PNS13_IS18_E10value_typeET4_jRbjT5_S1E_jjP12ihipStream_tbEUljE_ZNSN_ISO_Lb0ESQ_SR_ST_SU_SY_EESZ_S10_S11_S12_S16_S17_S18_S1B_S1C_jS1D_jS1E_S1E_jjS1G_bEUljE0_EEESZ_S10_S11_S18_S1C_S1E_T6_T7_T9_mT8_S1G_bDpT10_ENKUlT_T0_E_clISt17integral_constantIbLb1EES1T_IbLb0EEEEDaS1P_S1Q_EUlS1P_E_NS1_11comp_targetILNS1_3genE5ELNS1_11target_archE942ELNS1_3gpuE9ELNS1_3repE0EEENS1_30default_config_static_selectorELNS0_4arch9wavefront6targetE0EEEvS12_
    .private_segment_fixed_size: 0
    .sgpr_count:     0
    .sgpr_spill_count: 0
    .symbol:         _ZN7rocprim17ROCPRIM_400000_NS6detail17trampoline_kernelINS0_13select_configILj256ELj13ELNS0_17block_load_methodE3ELS4_3ELS4_3ELNS0_20block_scan_algorithmE0ELj4294967295EEENS1_25partition_config_selectorILNS1_17partition_subalgoE4EjNS0_10empty_typeEbEEZZNS1_14partition_implILS8_4ELb0ES6_15HIP_vector_typeIjLj2EENS0_17counting_iteratorIjlEEPS9_SG_NS0_5tupleIJPjSI_NS0_16reverse_iteratorISI_EEEEENSH_IJSG_SG_SG_EEES9_SI_JZNS1_25segmented_radix_sort_implINS0_14default_configELb0EPKbPbPKlPlN2at6native12_GLOBAL__N_18offset_tEEE10hipError_tPvRmT1_PNSt15iterator_traitsIS12_E10value_typeET2_T3_PNS13_IS18_E10value_typeET4_jRbjT5_S1E_jjP12ihipStream_tbEUljE_ZNSN_ISO_Lb0ESQ_SR_ST_SU_SY_EESZ_S10_S11_S12_S16_S17_S18_S1B_S1C_jS1D_jS1E_S1E_jjS1G_bEUljE0_EEESZ_S10_S11_S18_S1C_S1E_T6_T7_T9_mT8_S1G_bDpT10_ENKUlT_T0_E_clISt17integral_constantIbLb1EES1T_IbLb0EEEEDaS1P_S1Q_EUlS1P_E_NS1_11comp_targetILNS1_3genE5ELNS1_11target_archE942ELNS1_3gpuE9ELNS1_3repE0EEENS1_30default_config_static_selectorELNS0_4arch9wavefront6targetE0EEEvS12_.kd
    .uniform_work_group_size: 1
    .uses_dynamic_stack: false
    .vgpr_count:     0
    .vgpr_spill_count: 0
    .wavefront_size: 32
    .workgroup_processor_mode: 1
  - .args:
      - .offset:         0
        .size:           176
        .value_kind:     by_value
    .group_segment_fixed_size: 0
    .kernarg_segment_align: 8
    .kernarg_segment_size: 176
    .language:       OpenCL C
    .language_version:
      - 2
      - 0
    .max_flat_workgroup_size: 256
    .name:           _ZN7rocprim17ROCPRIM_400000_NS6detail17trampoline_kernelINS0_13select_configILj256ELj13ELNS0_17block_load_methodE3ELS4_3ELS4_3ELNS0_20block_scan_algorithmE0ELj4294967295EEENS1_25partition_config_selectorILNS1_17partition_subalgoE4EjNS0_10empty_typeEbEEZZNS1_14partition_implILS8_4ELb0ES6_15HIP_vector_typeIjLj2EENS0_17counting_iteratorIjlEEPS9_SG_NS0_5tupleIJPjSI_NS0_16reverse_iteratorISI_EEEEENSH_IJSG_SG_SG_EEES9_SI_JZNS1_25segmented_radix_sort_implINS0_14default_configELb0EPKbPbPKlPlN2at6native12_GLOBAL__N_18offset_tEEE10hipError_tPvRmT1_PNSt15iterator_traitsIS12_E10value_typeET2_T3_PNS13_IS18_E10value_typeET4_jRbjT5_S1E_jjP12ihipStream_tbEUljE_ZNSN_ISO_Lb0ESQ_SR_ST_SU_SY_EESZ_S10_S11_S12_S16_S17_S18_S1B_S1C_jS1D_jS1E_S1E_jjS1G_bEUljE0_EEESZ_S10_S11_S18_S1C_S1E_T6_T7_T9_mT8_S1G_bDpT10_ENKUlT_T0_E_clISt17integral_constantIbLb1EES1T_IbLb0EEEEDaS1P_S1Q_EUlS1P_E_NS1_11comp_targetILNS1_3genE4ELNS1_11target_archE910ELNS1_3gpuE8ELNS1_3repE0EEENS1_30default_config_static_selectorELNS0_4arch9wavefront6targetE0EEEvS12_
    .private_segment_fixed_size: 0
    .sgpr_count:     0
    .sgpr_spill_count: 0
    .symbol:         _ZN7rocprim17ROCPRIM_400000_NS6detail17trampoline_kernelINS0_13select_configILj256ELj13ELNS0_17block_load_methodE3ELS4_3ELS4_3ELNS0_20block_scan_algorithmE0ELj4294967295EEENS1_25partition_config_selectorILNS1_17partition_subalgoE4EjNS0_10empty_typeEbEEZZNS1_14partition_implILS8_4ELb0ES6_15HIP_vector_typeIjLj2EENS0_17counting_iteratorIjlEEPS9_SG_NS0_5tupleIJPjSI_NS0_16reverse_iteratorISI_EEEEENSH_IJSG_SG_SG_EEES9_SI_JZNS1_25segmented_radix_sort_implINS0_14default_configELb0EPKbPbPKlPlN2at6native12_GLOBAL__N_18offset_tEEE10hipError_tPvRmT1_PNSt15iterator_traitsIS12_E10value_typeET2_T3_PNS13_IS18_E10value_typeET4_jRbjT5_S1E_jjP12ihipStream_tbEUljE_ZNSN_ISO_Lb0ESQ_SR_ST_SU_SY_EESZ_S10_S11_S12_S16_S17_S18_S1B_S1C_jS1D_jS1E_S1E_jjS1G_bEUljE0_EEESZ_S10_S11_S18_S1C_S1E_T6_T7_T9_mT8_S1G_bDpT10_ENKUlT_T0_E_clISt17integral_constantIbLb1EES1T_IbLb0EEEEDaS1P_S1Q_EUlS1P_E_NS1_11comp_targetILNS1_3genE4ELNS1_11target_archE910ELNS1_3gpuE8ELNS1_3repE0EEENS1_30default_config_static_selectorELNS0_4arch9wavefront6targetE0EEEvS12_.kd
    .uniform_work_group_size: 1
    .uses_dynamic_stack: false
    .vgpr_count:     0
    .vgpr_spill_count: 0
    .wavefront_size: 32
    .workgroup_processor_mode: 1
  - .args:
      - .offset:         0
        .size:           176
        .value_kind:     by_value
    .group_segment_fixed_size: 0
    .kernarg_segment_align: 8
    .kernarg_segment_size: 176
    .language:       OpenCL C
    .language_version:
      - 2
      - 0
    .max_flat_workgroup_size: 256
    .name:           _ZN7rocprim17ROCPRIM_400000_NS6detail17trampoline_kernelINS0_13select_configILj256ELj13ELNS0_17block_load_methodE3ELS4_3ELS4_3ELNS0_20block_scan_algorithmE0ELj4294967295EEENS1_25partition_config_selectorILNS1_17partition_subalgoE4EjNS0_10empty_typeEbEEZZNS1_14partition_implILS8_4ELb0ES6_15HIP_vector_typeIjLj2EENS0_17counting_iteratorIjlEEPS9_SG_NS0_5tupleIJPjSI_NS0_16reverse_iteratorISI_EEEEENSH_IJSG_SG_SG_EEES9_SI_JZNS1_25segmented_radix_sort_implINS0_14default_configELb0EPKbPbPKlPlN2at6native12_GLOBAL__N_18offset_tEEE10hipError_tPvRmT1_PNSt15iterator_traitsIS12_E10value_typeET2_T3_PNS13_IS18_E10value_typeET4_jRbjT5_S1E_jjP12ihipStream_tbEUljE_ZNSN_ISO_Lb0ESQ_SR_ST_SU_SY_EESZ_S10_S11_S12_S16_S17_S18_S1B_S1C_jS1D_jS1E_S1E_jjS1G_bEUljE0_EEESZ_S10_S11_S18_S1C_S1E_T6_T7_T9_mT8_S1G_bDpT10_ENKUlT_T0_E_clISt17integral_constantIbLb1EES1T_IbLb0EEEEDaS1P_S1Q_EUlS1P_E_NS1_11comp_targetILNS1_3genE3ELNS1_11target_archE908ELNS1_3gpuE7ELNS1_3repE0EEENS1_30default_config_static_selectorELNS0_4arch9wavefront6targetE0EEEvS12_
    .private_segment_fixed_size: 0
    .sgpr_count:     0
    .sgpr_spill_count: 0
    .symbol:         _ZN7rocprim17ROCPRIM_400000_NS6detail17trampoline_kernelINS0_13select_configILj256ELj13ELNS0_17block_load_methodE3ELS4_3ELS4_3ELNS0_20block_scan_algorithmE0ELj4294967295EEENS1_25partition_config_selectorILNS1_17partition_subalgoE4EjNS0_10empty_typeEbEEZZNS1_14partition_implILS8_4ELb0ES6_15HIP_vector_typeIjLj2EENS0_17counting_iteratorIjlEEPS9_SG_NS0_5tupleIJPjSI_NS0_16reverse_iteratorISI_EEEEENSH_IJSG_SG_SG_EEES9_SI_JZNS1_25segmented_radix_sort_implINS0_14default_configELb0EPKbPbPKlPlN2at6native12_GLOBAL__N_18offset_tEEE10hipError_tPvRmT1_PNSt15iterator_traitsIS12_E10value_typeET2_T3_PNS13_IS18_E10value_typeET4_jRbjT5_S1E_jjP12ihipStream_tbEUljE_ZNSN_ISO_Lb0ESQ_SR_ST_SU_SY_EESZ_S10_S11_S12_S16_S17_S18_S1B_S1C_jS1D_jS1E_S1E_jjS1G_bEUljE0_EEESZ_S10_S11_S18_S1C_S1E_T6_T7_T9_mT8_S1G_bDpT10_ENKUlT_T0_E_clISt17integral_constantIbLb1EES1T_IbLb0EEEEDaS1P_S1Q_EUlS1P_E_NS1_11comp_targetILNS1_3genE3ELNS1_11target_archE908ELNS1_3gpuE7ELNS1_3repE0EEENS1_30default_config_static_selectorELNS0_4arch9wavefront6targetE0EEEvS12_.kd
    .uniform_work_group_size: 1
    .uses_dynamic_stack: false
    .vgpr_count:     0
    .vgpr_spill_count: 0
    .wavefront_size: 32
    .workgroup_processor_mode: 1
  - .args:
      - .offset:         0
        .size:           176
        .value_kind:     by_value
    .group_segment_fixed_size: 0
    .kernarg_segment_align: 8
    .kernarg_segment_size: 176
    .language:       OpenCL C
    .language_version:
      - 2
      - 0
    .max_flat_workgroup_size: 256
    .name:           _ZN7rocprim17ROCPRIM_400000_NS6detail17trampoline_kernelINS0_13select_configILj256ELj13ELNS0_17block_load_methodE3ELS4_3ELS4_3ELNS0_20block_scan_algorithmE0ELj4294967295EEENS1_25partition_config_selectorILNS1_17partition_subalgoE4EjNS0_10empty_typeEbEEZZNS1_14partition_implILS8_4ELb0ES6_15HIP_vector_typeIjLj2EENS0_17counting_iteratorIjlEEPS9_SG_NS0_5tupleIJPjSI_NS0_16reverse_iteratorISI_EEEEENSH_IJSG_SG_SG_EEES9_SI_JZNS1_25segmented_radix_sort_implINS0_14default_configELb0EPKbPbPKlPlN2at6native12_GLOBAL__N_18offset_tEEE10hipError_tPvRmT1_PNSt15iterator_traitsIS12_E10value_typeET2_T3_PNS13_IS18_E10value_typeET4_jRbjT5_S1E_jjP12ihipStream_tbEUljE_ZNSN_ISO_Lb0ESQ_SR_ST_SU_SY_EESZ_S10_S11_S12_S16_S17_S18_S1B_S1C_jS1D_jS1E_S1E_jjS1G_bEUljE0_EEESZ_S10_S11_S18_S1C_S1E_T6_T7_T9_mT8_S1G_bDpT10_ENKUlT_T0_E_clISt17integral_constantIbLb1EES1T_IbLb0EEEEDaS1P_S1Q_EUlS1P_E_NS1_11comp_targetILNS1_3genE2ELNS1_11target_archE906ELNS1_3gpuE6ELNS1_3repE0EEENS1_30default_config_static_selectorELNS0_4arch9wavefront6targetE0EEEvS12_
    .private_segment_fixed_size: 0
    .sgpr_count:     0
    .sgpr_spill_count: 0
    .symbol:         _ZN7rocprim17ROCPRIM_400000_NS6detail17trampoline_kernelINS0_13select_configILj256ELj13ELNS0_17block_load_methodE3ELS4_3ELS4_3ELNS0_20block_scan_algorithmE0ELj4294967295EEENS1_25partition_config_selectorILNS1_17partition_subalgoE4EjNS0_10empty_typeEbEEZZNS1_14partition_implILS8_4ELb0ES6_15HIP_vector_typeIjLj2EENS0_17counting_iteratorIjlEEPS9_SG_NS0_5tupleIJPjSI_NS0_16reverse_iteratorISI_EEEEENSH_IJSG_SG_SG_EEES9_SI_JZNS1_25segmented_radix_sort_implINS0_14default_configELb0EPKbPbPKlPlN2at6native12_GLOBAL__N_18offset_tEEE10hipError_tPvRmT1_PNSt15iterator_traitsIS12_E10value_typeET2_T3_PNS13_IS18_E10value_typeET4_jRbjT5_S1E_jjP12ihipStream_tbEUljE_ZNSN_ISO_Lb0ESQ_SR_ST_SU_SY_EESZ_S10_S11_S12_S16_S17_S18_S1B_S1C_jS1D_jS1E_S1E_jjS1G_bEUljE0_EEESZ_S10_S11_S18_S1C_S1E_T6_T7_T9_mT8_S1G_bDpT10_ENKUlT_T0_E_clISt17integral_constantIbLb1EES1T_IbLb0EEEEDaS1P_S1Q_EUlS1P_E_NS1_11comp_targetILNS1_3genE2ELNS1_11target_archE906ELNS1_3gpuE6ELNS1_3repE0EEENS1_30default_config_static_selectorELNS0_4arch9wavefront6targetE0EEEvS12_.kd
    .uniform_work_group_size: 1
    .uses_dynamic_stack: false
    .vgpr_count:     0
    .vgpr_spill_count: 0
    .wavefront_size: 32
    .workgroup_processor_mode: 1
  - .args:
      - .offset:         0
        .size:           176
        .value_kind:     by_value
    .group_segment_fixed_size: 0
    .kernarg_segment_align: 8
    .kernarg_segment_size: 176
    .language:       OpenCL C
    .language_version:
      - 2
      - 0
    .max_flat_workgroup_size: 256
    .name:           _ZN7rocprim17ROCPRIM_400000_NS6detail17trampoline_kernelINS0_13select_configILj256ELj13ELNS0_17block_load_methodE3ELS4_3ELS4_3ELNS0_20block_scan_algorithmE0ELj4294967295EEENS1_25partition_config_selectorILNS1_17partition_subalgoE4EjNS0_10empty_typeEbEEZZNS1_14partition_implILS8_4ELb0ES6_15HIP_vector_typeIjLj2EENS0_17counting_iteratorIjlEEPS9_SG_NS0_5tupleIJPjSI_NS0_16reverse_iteratorISI_EEEEENSH_IJSG_SG_SG_EEES9_SI_JZNS1_25segmented_radix_sort_implINS0_14default_configELb0EPKbPbPKlPlN2at6native12_GLOBAL__N_18offset_tEEE10hipError_tPvRmT1_PNSt15iterator_traitsIS12_E10value_typeET2_T3_PNS13_IS18_E10value_typeET4_jRbjT5_S1E_jjP12ihipStream_tbEUljE_ZNSN_ISO_Lb0ESQ_SR_ST_SU_SY_EESZ_S10_S11_S12_S16_S17_S18_S1B_S1C_jS1D_jS1E_S1E_jjS1G_bEUljE0_EEESZ_S10_S11_S18_S1C_S1E_T6_T7_T9_mT8_S1G_bDpT10_ENKUlT_T0_E_clISt17integral_constantIbLb1EES1T_IbLb0EEEEDaS1P_S1Q_EUlS1P_E_NS1_11comp_targetILNS1_3genE10ELNS1_11target_archE1200ELNS1_3gpuE4ELNS1_3repE0EEENS1_30default_config_static_selectorELNS0_4arch9wavefront6targetE0EEEvS12_
    .private_segment_fixed_size: 0
    .sgpr_count:     0
    .sgpr_spill_count: 0
    .symbol:         _ZN7rocprim17ROCPRIM_400000_NS6detail17trampoline_kernelINS0_13select_configILj256ELj13ELNS0_17block_load_methodE3ELS4_3ELS4_3ELNS0_20block_scan_algorithmE0ELj4294967295EEENS1_25partition_config_selectorILNS1_17partition_subalgoE4EjNS0_10empty_typeEbEEZZNS1_14partition_implILS8_4ELb0ES6_15HIP_vector_typeIjLj2EENS0_17counting_iteratorIjlEEPS9_SG_NS0_5tupleIJPjSI_NS0_16reverse_iteratorISI_EEEEENSH_IJSG_SG_SG_EEES9_SI_JZNS1_25segmented_radix_sort_implINS0_14default_configELb0EPKbPbPKlPlN2at6native12_GLOBAL__N_18offset_tEEE10hipError_tPvRmT1_PNSt15iterator_traitsIS12_E10value_typeET2_T3_PNS13_IS18_E10value_typeET4_jRbjT5_S1E_jjP12ihipStream_tbEUljE_ZNSN_ISO_Lb0ESQ_SR_ST_SU_SY_EESZ_S10_S11_S12_S16_S17_S18_S1B_S1C_jS1D_jS1E_S1E_jjS1G_bEUljE0_EEESZ_S10_S11_S18_S1C_S1E_T6_T7_T9_mT8_S1G_bDpT10_ENKUlT_T0_E_clISt17integral_constantIbLb1EES1T_IbLb0EEEEDaS1P_S1Q_EUlS1P_E_NS1_11comp_targetILNS1_3genE10ELNS1_11target_archE1200ELNS1_3gpuE4ELNS1_3repE0EEENS1_30default_config_static_selectorELNS0_4arch9wavefront6targetE0EEEvS12_.kd
    .uniform_work_group_size: 1
    .uses_dynamic_stack: false
    .vgpr_count:     0
    .vgpr_spill_count: 0
    .wavefront_size: 32
    .workgroup_processor_mode: 1
  - .args:
      - .offset:         0
        .size:           176
        .value_kind:     by_value
    .group_segment_fixed_size: 0
    .kernarg_segment_align: 8
    .kernarg_segment_size: 176
    .language:       OpenCL C
    .language_version:
      - 2
      - 0
    .max_flat_workgroup_size: 256
    .name:           _ZN7rocprim17ROCPRIM_400000_NS6detail17trampoline_kernelINS0_13select_configILj256ELj13ELNS0_17block_load_methodE3ELS4_3ELS4_3ELNS0_20block_scan_algorithmE0ELj4294967295EEENS1_25partition_config_selectorILNS1_17partition_subalgoE4EjNS0_10empty_typeEbEEZZNS1_14partition_implILS8_4ELb0ES6_15HIP_vector_typeIjLj2EENS0_17counting_iteratorIjlEEPS9_SG_NS0_5tupleIJPjSI_NS0_16reverse_iteratorISI_EEEEENSH_IJSG_SG_SG_EEES9_SI_JZNS1_25segmented_radix_sort_implINS0_14default_configELb0EPKbPbPKlPlN2at6native12_GLOBAL__N_18offset_tEEE10hipError_tPvRmT1_PNSt15iterator_traitsIS12_E10value_typeET2_T3_PNS13_IS18_E10value_typeET4_jRbjT5_S1E_jjP12ihipStream_tbEUljE_ZNSN_ISO_Lb0ESQ_SR_ST_SU_SY_EESZ_S10_S11_S12_S16_S17_S18_S1B_S1C_jS1D_jS1E_S1E_jjS1G_bEUljE0_EEESZ_S10_S11_S18_S1C_S1E_T6_T7_T9_mT8_S1G_bDpT10_ENKUlT_T0_E_clISt17integral_constantIbLb1EES1T_IbLb0EEEEDaS1P_S1Q_EUlS1P_E_NS1_11comp_targetILNS1_3genE9ELNS1_11target_archE1100ELNS1_3gpuE3ELNS1_3repE0EEENS1_30default_config_static_selectorELNS0_4arch9wavefront6targetE0EEEvS12_
    .private_segment_fixed_size: 0
    .sgpr_count:     0
    .sgpr_spill_count: 0
    .symbol:         _ZN7rocprim17ROCPRIM_400000_NS6detail17trampoline_kernelINS0_13select_configILj256ELj13ELNS0_17block_load_methodE3ELS4_3ELS4_3ELNS0_20block_scan_algorithmE0ELj4294967295EEENS1_25partition_config_selectorILNS1_17partition_subalgoE4EjNS0_10empty_typeEbEEZZNS1_14partition_implILS8_4ELb0ES6_15HIP_vector_typeIjLj2EENS0_17counting_iteratorIjlEEPS9_SG_NS0_5tupleIJPjSI_NS0_16reverse_iteratorISI_EEEEENSH_IJSG_SG_SG_EEES9_SI_JZNS1_25segmented_radix_sort_implINS0_14default_configELb0EPKbPbPKlPlN2at6native12_GLOBAL__N_18offset_tEEE10hipError_tPvRmT1_PNSt15iterator_traitsIS12_E10value_typeET2_T3_PNS13_IS18_E10value_typeET4_jRbjT5_S1E_jjP12ihipStream_tbEUljE_ZNSN_ISO_Lb0ESQ_SR_ST_SU_SY_EESZ_S10_S11_S12_S16_S17_S18_S1B_S1C_jS1D_jS1E_S1E_jjS1G_bEUljE0_EEESZ_S10_S11_S18_S1C_S1E_T6_T7_T9_mT8_S1G_bDpT10_ENKUlT_T0_E_clISt17integral_constantIbLb1EES1T_IbLb0EEEEDaS1P_S1Q_EUlS1P_E_NS1_11comp_targetILNS1_3genE9ELNS1_11target_archE1100ELNS1_3gpuE3ELNS1_3repE0EEENS1_30default_config_static_selectorELNS0_4arch9wavefront6targetE0EEEvS12_.kd
    .uniform_work_group_size: 1
    .uses_dynamic_stack: false
    .vgpr_count:     0
    .vgpr_spill_count: 0
    .wavefront_size: 32
    .workgroup_processor_mode: 1
  - .args:
      - .offset:         0
        .size:           176
        .value_kind:     by_value
    .group_segment_fixed_size: 0
    .kernarg_segment_align: 8
    .kernarg_segment_size: 176
    .language:       OpenCL C
    .language_version:
      - 2
      - 0
    .max_flat_workgroup_size: 256
    .name:           _ZN7rocprim17ROCPRIM_400000_NS6detail17trampoline_kernelINS0_13select_configILj256ELj13ELNS0_17block_load_methodE3ELS4_3ELS4_3ELNS0_20block_scan_algorithmE0ELj4294967295EEENS1_25partition_config_selectorILNS1_17partition_subalgoE4EjNS0_10empty_typeEbEEZZNS1_14partition_implILS8_4ELb0ES6_15HIP_vector_typeIjLj2EENS0_17counting_iteratorIjlEEPS9_SG_NS0_5tupleIJPjSI_NS0_16reverse_iteratorISI_EEEEENSH_IJSG_SG_SG_EEES9_SI_JZNS1_25segmented_radix_sort_implINS0_14default_configELb0EPKbPbPKlPlN2at6native12_GLOBAL__N_18offset_tEEE10hipError_tPvRmT1_PNSt15iterator_traitsIS12_E10value_typeET2_T3_PNS13_IS18_E10value_typeET4_jRbjT5_S1E_jjP12ihipStream_tbEUljE_ZNSN_ISO_Lb0ESQ_SR_ST_SU_SY_EESZ_S10_S11_S12_S16_S17_S18_S1B_S1C_jS1D_jS1E_S1E_jjS1G_bEUljE0_EEESZ_S10_S11_S18_S1C_S1E_T6_T7_T9_mT8_S1G_bDpT10_ENKUlT_T0_E_clISt17integral_constantIbLb1EES1T_IbLb0EEEEDaS1P_S1Q_EUlS1P_E_NS1_11comp_targetILNS1_3genE8ELNS1_11target_archE1030ELNS1_3gpuE2ELNS1_3repE0EEENS1_30default_config_static_selectorELNS0_4arch9wavefront6targetE0EEEvS12_
    .private_segment_fixed_size: 0
    .sgpr_count:     0
    .sgpr_spill_count: 0
    .symbol:         _ZN7rocprim17ROCPRIM_400000_NS6detail17trampoline_kernelINS0_13select_configILj256ELj13ELNS0_17block_load_methodE3ELS4_3ELS4_3ELNS0_20block_scan_algorithmE0ELj4294967295EEENS1_25partition_config_selectorILNS1_17partition_subalgoE4EjNS0_10empty_typeEbEEZZNS1_14partition_implILS8_4ELb0ES6_15HIP_vector_typeIjLj2EENS0_17counting_iteratorIjlEEPS9_SG_NS0_5tupleIJPjSI_NS0_16reverse_iteratorISI_EEEEENSH_IJSG_SG_SG_EEES9_SI_JZNS1_25segmented_radix_sort_implINS0_14default_configELb0EPKbPbPKlPlN2at6native12_GLOBAL__N_18offset_tEEE10hipError_tPvRmT1_PNSt15iterator_traitsIS12_E10value_typeET2_T3_PNS13_IS18_E10value_typeET4_jRbjT5_S1E_jjP12ihipStream_tbEUljE_ZNSN_ISO_Lb0ESQ_SR_ST_SU_SY_EESZ_S10_S11_S12_S16_S17_S18_S1B_S1C_jS1D_jS1E_S1E_jjS1G_bEUljE0_EEESZ_S10_S11_S18_S1C_S1E_T6_T7_T9_mT8_S1G_bDpT10_ENKUlT_T0_E_clISt17integral_constantIbLb1EES1T_IbLb0EEEEDaS1P_S1Q_EUlS1P_E_NS1_11comp_targetILNS1_3genE8ELNS1_11target_archE1030ELNS1_3gpuE2ELNS1_3repE0EEENS1_30default_config_static_selectorELNS0_4arch9wavefront6targetE0EEEvS12_.kd
    .uniform_work_group_size: 1
    .uses_dynamic_stack: false
    .vgpr_count:     0
    .vgpr_spill_count: 0
    .wavefront_size: 32
    .workgroup_processor_mode: 1
  - .args:
      - .offset:         0
        .size:           184
        .value_kind:     by_value
    .group_segment_fixed_size: 0
    .kernarg_segment_align: 8
    .kernarg_segment_size: 184
    .language:       OpenCL C
    .language_version:
      - 2
      - 0
    .max_flat_workgroup_size: 256
    .name:           _ZN7rocprim17ROCPRIM_400000_NS6detail17trampoline_kernelINS0_13select_configILj256ELj13ELNS0_17block_load_methodE3ELS4_3ELS4_3ELNS0_20block_scan_algorithmE0ELj4294967295EEENS1_25partition_config_selectorILNS1_17partition_subalgoE4EjNS0_10empty_typeEbEEZZNS1_14partition_implILS8_4ELb0ES6_15HIP_vector_typeIjLj2EENS0_17counting_iteratorIjlEEPS9_SG_NS0_5tupleIJPjSI_NS0_16reverse_iteratorISI_EEEEENSH_IJSG_SG_SG_EEES9_SI_JZNS1_25segmented_radix_sort_implINS0_14default_configELb0EPKbPbPKlPlN2at6native12_GLOBAL__N_18offset_tEEE10hipError_tPvRmT1_PNSt15iterator_traitsIS12_E10value_typeET2_T3_PNS13_IS18_E10value_typeET4_jRbjT5_S1E_jjP12ihipStream_tbEUljE_ZNSN_ISO_Lb0ESQ_SR_ST_SU_SY_EESZ_S10_S11_S12_S16_S17_S18_S1B_S1C_jS1D_jS1E_S1E_jjS1G_bEUljE0_EEESZ_S10_S11_S18_S1C_S1E_T6_T7_T9_mT8_S1G_bDpT10_ENKUlT_T0_E_clISt17integral_constantIbLb0EES1T_IbLb1EEEEDaS1P_S1Q_EUlS1P_E_NS1_11comp_targetILNS1_3genE0ELNS1_11target_archE4294967295ELNS1_3gpuE0ELNS1_3repE0EEENS1_30default_config_static_selectorELNS0_4arch9wavefront6targetE0EEEvS12_
    .private_segment_fixed_size: 0
    .sgpr_count:     0
    .sgpr_spill_count: 0
    .symbol:         _ZN7rocprim17ROCPRIM_400000_NS6detail17trampoline_kernelINS0_13select_configILj256ELj13ELNS0_17block_load_methodE3ELS4_3ELS4_3ELNS0_20block_scan_algorithmE0ELj4294967295EEENS1_25partition_config_selectorILNS1_17partition_subalgoE4EjNS0_10empty_typeEbEEZZNS1_14partition_implILS8_4ELb0ES6_15HIP_vector_typeIjLj2EENS0_17counting_iteratorIjlEEPS9_SG_NS0_5tupleIJPjSI_NS0_16reverse_iteratorISI_EEEEENSH_IJSG_SG_SG_EEES9_SI_JZNS1_25segmented_radix_sort_implINS0_14default_configELb0EPKbPbPKlPlN2at6native12_GLOBAL__N_18offset_tEEE10hipError_tPvRmT1_PNSt15iterator_traitsIS12_E10value_typeET2_T3_PNS13_IS18_E10value_typeET4_jRbjT5_S1E_jjP12ihipStream_tbEUljE_ZNSN_ISO_Lb0ESQ_SR_ST_SU_SY_EESZ_S10_S11_S12_S16_S17_S18_S1B_S1C_jS1D_jS1E_S1E_jjS1G_bEUljE0_EEESZ_S10_S11_S18_S1C_S1E_T6_T7_T9_mT8_S1G_bDpT10_ENKUlT_T0_E_clISt17integral_constantIbLb0EES1T_IbLb1EEEEDaS1P_S1Q_EUlS1P_E_NS1_11comp_targetILNS1_3genE0ELNS1_11target_archE4294967295ELNS1_3gpuE0ELNS1_3repE0EEENS1_30default_config_static_selectorELNS0_4arch9wavefront6targetE0EEEvS12_.kd
    .uniform_work_group_size: 1
    .uses_dynamic_stack: false
    .vgpr_count:     0
    .vgpr_spill_count: 0
    .wavefront_size: 32
    .workgroup_processor_mode: 1
  - .args:
      - .offset:         0
        .size:           184
        .value_kind:     by_value
    .group_segment_fixed_size: 0
    .kernarg_segment_align: 8
    .kernarg_segment_size: 184
    .language:       OpenCL C
    .language_version:
      - 2
      - 0
    .max_flat_workgroup_size: 256
    .name:           _ZN7rocprim17ROCPRIM_400000_NS6detail17trampoline_kernelINS0_13select_configILj256ELj13ELNS0_17block_load_methodE3ELS4_3ELS4_3ELNS0_20block_scan_algorithmE0ELj4294967295EEENS1_25partition_config_selectorILNS1_17partition_subalgoE4EjNS0_10empty_typeEbEEZZNS1_14partition_implILS8_4ELb0ES6_15HIP_vector_typeIjLj2EENS0_17counting_iteratorIjlEEPS9_SG_NS0_5tupleIJPjSI_NS0_16reverse_iteratorISI_EEEEENSH_IJSG_SG_SG_EEES9_SI_JZNS1_25segmented_radix_sort_implINS0_14default_configELb0EPKbPbPKlPlN2at6native12_GLOBAL__N_18offset_tEEE10hipError_tPvRmT1_PNSt15iterator_traitsIS12_E10value_typeET2_T3_PNS13_IS18_E10value_typeET4_jRbjT5_S1E_jjP12ihipStream_tbEUljE_ZNSN_ISO_Lb0ESQ_SR_ST_SU_SY_EESZ_S10_S11_S12_S16_S17_S18_S1B_S1C_jS1D_jS1E_S1E_jjS1G_bEUljE0_EEESZ_S10_S11_S18_S1C_S1E_T6_T7_T9_mT8_S1G_bDpT10_ENKUlT_T0_E_clISt17integral_constantIbLb0EES1T_IbLb1EEEEDaS1P_S1Q_EUlS1P_E_NS1_11comp_targetILNS1_3genE5ELNS1_11target_archE942ELNS1_3gpuE9ELNS1_3repE0EEENS1_30default_config_static_selectorELNS0_4arch9wavefront6targetE0EEEvS12_
    .private_segment_fixed_size: 0
    .sgpr_count:     0
    .sgpr_spill_count: 0
    .symbol:         _ZN7rocprim17ROCPRIM_400000_NS6detail17trampoline_kernelINS0_13select_configILj256ELj13ELNS0_17block_load_methodE3ELS4_3ELS4_3ELNS0_20block_scan_algorithmE0ELj4294967295EEENS1_25partition_config_selectorILNS1_17partition_subalgoE4EjNS0_10empty_typeEbEEZZNS1_14partition_implILS8_4ELb0ES6_15HIP_vector_typeIjLj2EENS0_17counting_iteratorIjlEEPS9_SG_NS0_5tupleIJPjSI_NS0_16reverse_iteratorISI_EEEEENSH_IJSG_SG_SG_EEES9_SI_JZNS1_25segmented_radix_sort_implINS0_14default_configELb0EPKbPbPKlPlN2at6native12_GLOBAL__N_18offset_tEEE10hipError_tPvRmT1_PNSt15iterator_traitsIS12_E10value_typeET2_T3_PNS13_IS18_E10value_typeET4_jRbjT5_S1E_jjP12ihipStream_tbEUljE_ZNSN_ISO_Lb0ESQ_SR_ST_SU_SY_EESZ_S10_S11_S12_S16_S17_S18_S1B_S1C_jS1D_jS1E_S1E_jjS1G_bEUljE0_EEESZ_S10_S11_S18_S1C_S1E_T6_T7_T9_mT8_S1G_bDpT10_ENKUlT_T0_E_clISt17integral_constantIbLb0EES1T_IbLb1EEEEDaS1P_S1Q_EUlS1P_E_NS1_11comp_targetILNS1_3genE5ELNS1_11target_archE942ELNS1_3gpuE9ELNS1_3repE0EEENS1_30default_config_static_selectorELNS0_4arch9wavefront6targetE0EEEvS12_.kd
    .uniform_work_group_size: 1
    .uses_dynamic_stack: false
    .vgpr_count:     0
    .vgpr_spill_count: 0
    .wavefront_size: 32
    .workgroup_processor_mode: 1
  - .args:
      - .offset:         0
        .size:           184
        .value_kind:     by_value
    .group_segment_fixed_size: 0
    .kernarg_segment_align: 8
    .kernarg_segment_size: 184
    .language:       OpenCL C
    .language_version:
      - 2
      - 0
    .max_flat_workgroup_size: 256
    .name:           _ZN7rocprim17ROCPRIM_400000_NS6detail17trampoline_kernelINS0_13select_configILj256ELj13ELNS0_17block_load_methodE3ELS4_3ELS4_3ELNS0_20block_scan_algorithmE0ELj4294967295EEENS1_25partition_config_selectorILNS1_17partition_subalgoE4EjNS0_10empty_typeEbEEZZNS1_14partition_implILS8_4ELb0ES6_15HIP_vector_typeIjLj2EENS0_17counting_iteratorIjlEEPS9_SG_NS0_5tupleIJPjSI_NS0_16reverse_iteratorISI_EEEEENSH_IJSG_SG_SG_EEES9_SI_JZNS1_25segmented_radix_sort_implINS0_14default_configELb0EPKbPbPKlPlN2at6native12_GLOBAL__N_18offset_tEEE10hipError_tPvRmT1_PNSt15iterator_traitsIS12_E10value_typeET2_T3_PNS13_IS18_E10value_typeET4_jRbjT5_S1E_jjP12ihipStream_tbEUljE_ZNSN_ISO_Lb0ESQ_SR_ST_SU_SY_EESZ_S10_S11_S12_S16_S17_S18_S1B_S1C_jS1D_jS1E_S1E_jjS1G_bEUljE0_EEESZ_S10_S11_S18_S1C_S1E_T6_T7_T9_mT8_S1G_bDpT10_ENKUlT_T0_E_clISt17integral_constantIbLb0EES1T_IbLb1EEEEDaS1P_S1Q_EUlS1P_E_NS1_11comp_targetILNS1_3genE4ELNS1_11target_archE910ELNS1_3gpuE8ELNS1_3repE0EEENS1_30default_config_static_selectorELNS0_4arch9wavefront6targetE0EEEvS12_
    .private_segment_fixed_size: 0
    .sgpr_count:     0
    .sgpr_spill_count: 0
    .symbol:         _ZN7rocprim17ROCPRIM_400000_NS6detail17trampoline_kernelINS0_13select_configILj256ELj13ELNS0_17block_load_methodE3ELS4_3ELS4_3ELNS0_20block_scan_algorithmE0ELj4294967295EEENS1_25partition_config_selectorILNS1_17partition_subalgoE4EjNS0_10empty_typeEbEEZZNS1_14partition_implILS8_4ELb0ES6_15HIP_vector_typeIjLj2EENS0_17counting_iteratorIjlEEPS9_SG_NS0_5tupleIJPjSI_NS0_16reverse_iteratorISI_EEEEENSH_IJSG_SG_SG_EEES9_SI_JZNS1_25segmented_radix_sort_implINS0_14default_configELb0EPKbPbPKlPlN2at6native12_GLOBAL__N_18offset_tEEE10hipError_tPvRmT1_PNSt15iterator_traitsIS12_E10value_typeET2_T3_PNS13_IS18_E10value_typeET4_jRbjT5_S1E_jjP12ihipStream_tbEUljE_ZNSN_ISO_Lb0ESQ_SR_ST_SU_SY_EESZ_S10_S11_S12_S16_S17_S18_S1B_S1C_jS1D_jS1E_S1E_jjS1G_bEUljE0_EEESZ_S10_S11_S18_S1C_S1E_T6_T7_T9_mT8_S1G_bDpT10_ENKUlT_T0_E_clISt17integral_constantIbLb0EES1T_IbLb1EEEEDaS1P_S1Q_EUlS1P_E_NS1_11comp_targetILNS1_3genE4ELNS1_11target_archE910ELNS1_3gpuE8ELNS1_3repE0EEENS1_30default_config_static_selectorELNS0_4arch9wavefront6targetE0EEEvS12_.kd
    .uniform_work_group_size: 1
    .uses_dynamic_stack: false
    .vgpr_count:     0
    .vgpr_spill_count: 0
    .wavefront_size: 32
    .workgroup_processor_mode: 1
  - .args:
      - .offset:         0
        .size:           184
        .value_kind:     by_value
    .group_segment_fixed_size: 0
    .kernarg_segment_align: 8
    .kernarg_segment_size: 184
    .language:       OpenCL C
    .language_version:
      - 2
      - 0
    .max_flat_workgroup_size: 256
    .name:           _ZN7rocprim17ROCPRIM_400000_NS6detail17trampoline_kernelINS0_13select_configILj256ELj13ELNS0_17block_load_methodE3ELS4_3ELS4_3ELNS0_20block_scan_algorithmE0ELj4294967295EEENS1_25partition_config_selectorILNS1_17partition_subalgoE4EjNS0_10empty_typeEbEEZZNS1_14partition_implILS8_4ELb0ES6_15HIP_vector_typeIjLj2EENS0_17counting_iteratorIjlEEPS9_SG_NS0_5tupleIJPjSI_NS0_16reverse_iteratorISI_EEEEENSH_IJSG_SG_SG_EEES9_SI_JZNS1_25segmented_radix_sort_implINS0_14default_configELb0EPKbPbPKlPlN2at6native12_GLOBAL__N_18offset_tEEE10hipError_tPvRmT1_PNSt15iterator_traitsIS12_E10value_typeET2_T3_PNS13_IS18_E10value_typeET4_jRbjT5_S1E_jjP12ihipStream_tbEUljE_ZNSN_ISO_Lb0ESQ_SR_ST_SU_SY_EESZ_S10_S11_S12_S16_S17_S18_S1B_S1C_jS1D_jS1E_S1E_jjS1G_bEUljE0_EEESZ_S10_S11_S18_S1C_S1E_T6_T7_T9_mT8_S1G_bDpT10_ENKUlT_T0_E_clISt17integral_constantIbLb0EES1T_IbLb1EEEEDaS1P_S1Q_EUlS1P_E_NS1_11comp_targetILNS1_3genE3ELNS1_11target_archE908ELNS1_3gpuE7ELNS1_3repE0EEENS1_30default_config_static_selectorELNS0_4arch9wavefront6targetE0EEEvS12_
    .private_segment_fixed_size: 0
    .sgpr_count:     0
    .sgpr_spill_count: 0
    .symbol:         _ZN7rocprim17ROCPRIM_400000_NS6detail17trampoline_kernelINS0_13select_configILj256ELj13ELNS0_17block_load_methodE3ELS4_3ELS4_3ELNS0_20block_scan_algorithmE0ELj4294967295EEENS1_25partition_config_selectorILNS1_17partition_subalgoE4EjNS0_10empty_typeEbEEZZNS1_14partition_implILS8_4ELb0ES6_15HIP_vector_typeIjLj2EENS0_17counting_iteratorIjlEEPS9_SG_NS0_5tupleIJPjSI_NS0_16reverse_iteratorISI_EEEEENSH_IJSG_SG_SG_EEES9_SI_JZNS1_25segmented_radix_sort_implINS0_14default_configELb0EPKbPbPKlPlN2at6native12_GLOBAL__N_18offset_tEEE10hipError_tPvRmT1_PNSt15iterator_traitsIS12_E10value_typeET2_T3_PNS13_IS18_E10value_typeET4_jRbjT5_S1E_jjP12ihipStream_tbEUljE_ZNSN_ISO_Lb0ESQ_SR_ST_SU_SY_EESZ_S10_S11_S12_S16_S17_S18_S1B_S1C_jS1D_jS1E_S1E_jjS1G_bEUljE0_EEESZ_S10_S11_S18_S1C_S1E_T6_T7_T9_mT8_S1G_bDpT10_ENKUlT_T0_E_clISt17integral_constantIbLb0EES1T_IbLb1EEEEDaS1P_S1Q_EUlS1P_E_NS1_11comp_targetILNS1_3genE3ELNS1_11target_archE908ELNS1_3gpuE7ELNS1_3repE0EEENS1_30default_config_static_selectorELNS0_4arch9wavefront6targetE0EEEvS12_.kd
    .uniform_work_group_size: 1
    .uses_dynamic_stack: false
    .vgpr_count:     0
    .vgpr_spill_count: 0
    .wavefront_size: 32
    .workgroup_processor_mode: 1
  - .args:
      - .offset:         0
        .size:           184
        .value_kind:     by_value
    .group_segment_fixed_size: 0
    .kernarg_segment_align: 8
    .kernarg_segment_size: 184
    .language:       OpenCL C
    .language_version:
      - 2
      - 0
    .max_flat_workgroup_size: 256
    .name:           _ZN7rocprim17ROCPRIM_400000_NS6detail17trampoline_kernelINS0_13select_configILj256ELj13ELNS0_17block_load_methodE3ELS4_3ELS4_3ELNS0_20block_scan_algorithmE0ELj4294967295EEENS1_25partition_config_selectorILNS1_17partition_subalgoE4EjNS0_10empty_typeEbEEZZNS1_14partition_implILS8_4ELb0ES6_15HIP_vector_typeIjLj2EENS0_17counting_iteratorIjlEEPS9_SG_NS0_5tupleIJPjSI_NS0_16reverse_iteratorISI_EEEEENSH_IJSG_SG_SG_EEES9_SI_JZNS1_25segmented_radix_sort_implINS0_14default_configELb0EPKbPbPKlPlN2at6native12_GLOBAL__N_18offset_tEEE10hipError_tPvRmT1_PNSt15iterator_traitsIS12_E10value_typeET2_T3_PNS13_IS18_E10value_typeET4_jRbjT5_S1E_jjP12ihipStream_tbEUljE_ZNSN_ISO_Lb0ESQ_SR_ST_SU_SY_EESZ_S10_S11_S12_S16_S17_S18_S1B_S1C_jS1D_jS1E_S1E_jjS1G_bEUljE0_EEESZ_S10_S11_S18_S1C_S1E_T6_T7_T9_mT8_S1G_bDpT10_ENKUlT_T0_E_clISt17integral_constantIbLb0EES1T_IbLb1EEEEDaS1P_S1Q_EUlS1P_E_NS1_11comp_targetILNS1_3genE2ELNS1_11target_archE906ELNS1_3gpuE6ELNS1_3repE0EEENS1_30default_config_static_selectorELNS0_4arch9wavefront6targetE0EEEvS12_
    .private_segment_fixed_size: 0
    .sgpr_count:     0
    .sgpr_spill_count: 0
    .symbol:         _ZN7rocprim17ROCPRIM_400000_NS6detail17trampoline_kernelINS0_13select_configILj256ELj13ELNS0_17block_load_methodE3ELS4_3ELS4_3ELNS0_20block_scan_algorithmE0ELj4294967295EEENS1_25partition_config_selectorILNS1_17partition_subalgoE4EjNS0_10empty_typeEbEEZZNS1_14partition_implILS8_4ELb0ES6_15HIP_vector_typeIjLj2EENS0_17counting_iteratorIjlEEPS9_SG_NS0_5tupleIJPjSI_NS0_16reverse_iteratorISI_EEEEENSH_IJSG_SG_SG_EEES9_SI_JZNS1_25segmented_radix_sort_implINS0_14default_configELb0EPKbPbPKlPlN2at6native12_GLOBAL__N_18offset_tEEE10hipError_tPvRmT1_PNSt15iterator_traitsIS12_E10value_typeET2_T3_PNS13_IS18_E10value_typeET4_jRbjT5_S1E_jjP12ihipStream_tbEUljE_ZNSN_ISO_Lb0ESQ_SR_ST_SU_SY_EESZ_S10_S11_S12_S16_S17_S18_S1B_S1C_jS1D_jS1E_S1E_jjS1G_bEUljE0_EEESZ_S10_S11_S18_S1C_S1E_T6_T7_T9_mT8_S1G_bDpT10_ENKUlT_T0_E_clISt17integral_constantIbLb0EES1T_IbLb1EEEEDaS1P_S1Q_EUlS1P_E_NS1_11comp_targetILNS1_3genE2ELNS1_11target_archE906ELNS1_3gpuE6ELNS1_3repE0EEENS1_30default_config_static_selectorELNS0_4arch9wavefront6targetE0EEEvS12_.kd
    .uniform_work_group_size: 1
    .uses_dynamic_stack: false
    .vgpr_count:     0
    .vgpr_spill_count: 0
    .wavefront_size: 32
    .workgroup_processor_mode: 1
  - .args:
      - .offset:         0
        .size:           184
        .value_kind:     by_value
    .group_segment_fixed_size: 0
    .kernarg_segment_align: 8
    .kernarg_segment_size: 184
    .language:       OpenCL C
    .language_version:
      - 2
      - 0
    .max_flat_workgroup_size: 256
    .name:           _ZN7rocprim17ROCPRIM_400000_NS6detail17trampoline_kernelINS0_13select_configILj256ELj13ELNS0_17block_load_methodE3ELS4_3ELS4_3ELNS0_20block_scan_algorithmE0ELj4294967295EEENS1_25partition_config_selectorILNS1_17partition_subalgoE4EjNS0_10empty_typeEbEEZZNS1_14partition_implILS8_4ELb0ES6_15HIP_vector_typeIjLj2EENS0_17counting_iteratorIjlEEPS9_SG_NS0_5tupleIJPjSI_NS0_16reverse_iteratorISI_EEEEENSH_IJSG_SG_SG_EEES9_SI_JZNS1_25segmented_radix_sort_implINS0_14default_configELb0EPKbPbPKlPlN2at6native12_GLOBAL__N_18offset_tEEE10hipError_tPvRmT1_PNSt15iterator_traitsIS12_E10value_typeET2_T3_PNS13_IS18_E10value_typeET4_jRbjT5_S1E_jjP12ihipStream_tbEUljE_ZNSN_ISO_Lb0ESQ_SR_ST_SU_SY_EESZ_S10_S11_S12_S16_S17_S18_S1B_S1C_jS1D_jS1E_S1E_jjS1G_bEUljE0_EEESZ_S10_S11_S18_S1C_S1E_T6_T7_T9_mT8_S1G_bDpT10_ENKUlT_T0_E_clISt17integral_constantIbLb0EES1T_IbLb1EEEEDaS1P_S1Q_EUlS1P_E_NS1_11comp_targetILNS1_3genE10ELNS1_11target_archE1200ELNS1_3gpuE4ELNS1_3repE0EEENS1_30default_config_static_selectorELNS0_4arch9wavefront6targetE0EEEvS12_
    .private_segment_fixed_size: 0
    .sgpr_count:     0
    .sgpr_spill_count: 0
    .symbol:         _ZN7rocprim17ROCPRIM_400000_NS6detail17trampoline_kernelINS0_13select_configILj256ELj13ELNS0_17block_load_methodE3ELS4_3ELS4_3ELNS0_20block_scan_algorithmE0ELj4294967295EEENS1_25partition_config_selectorILNS1_17partition_subalgoE4EjNS0_10empty_typeEbEEZZNS1_14partition_implILS8_4ELb0ES6_15HIP_vector_typeIjLj2EENS0_17counting_iteratorIjlEEPS9_SG_NS0_5tupleIJPjSI_NS0_16reverse_iteratorISI_EEEEENSH_IJSG_SG_SG_EEES9_SI_JZNS1_25segmented_radix_sort_implINS0_14default_configELb0EPKbPbPKlPlN2at6native12_GLOBAL__N_18offset_tEEE10hipError_tPvRmT1_PNSt15iterator_traitsIS12_E10value_typeET2_T3_PNS13_IS18_E10value_typeET4_jRbjT5_S1E_jjP12ihipStream_tbEUljE_ZNSN_ISO_Lb0ESQ_SR_ST_SU_SY_EESZ_S10_S11_S12_S16_S17_S18_S1B_S1C_jS1D_jS1E_S1E_jjS1G_bEUljE0_EEESZ_S10_S11_S18_S1C_S1E_T6_T7_T9_mT8_S1G_bDpT10_ENKUlT_T0_E_clISt17integral_constantIbLb0EES1T_IbLb1EEEEDaS1P_S1Q_EUlS1P_E_NS1_11comp_targetILNS1_3genE10ELNS1_11target_archE1200ELNS1_3gpuE4ELNS1_3repE0EEENS1_30default_config_static_selectorELNS0_4arch9wavefront6targetE0EEEvS12_.kd
    .uniform_work_group_size: 1
    .uses_dynamic_stack: false
    .vgpr_count:     0
    .vgpr_spill_count: 0
    .wavefront_size: 32
    .workgroup_processor_mode: 1
  - .args:
      - .offset:         0
        .size:           184
        .value_kind:     by_value
    .group_segment_fixed_size: 0
    .kernarg_segment_align: 8
    .kernarg_segment_size: 184
    .language:       OpenCL C
    .language_version:
      - 2
      - 0
    .max_flat_workgroup_size: 256
    .name:           _ZN7rocprim17ROCPRIM_400000_NS6detail17trampoline_kernelINS0_13select_configILj256ELj13ELNS0_17block_load_methodE3ELS4_3ELS4_3ELNS0_20block_scan_algorithmE0ELj4294967295EEENS1_25partition_config_selectorILNS1_17partition_subalgoE4EjNS0_10empty_typeEbEEZZNS1_14partition_implILS8_4ELb0ES6_15HIP_vector_typeIjLj2EENS0_17counting_iteratorIjlEEPS9_SG_NS0_5tupleIJPjSI_NS0_16reverse_iteratorISI_EEEEENSH_IJSG_SG_SG_EEES9_SI_JZNS1_25segmented_radix_sort_implINS0_14default_configELb0EPKbPbPKlPlN2at6native12_GLOBAL__N_18offset_tEEE10hipError_tPvRmT1_PNSt15iterator_traitsIS12_E10value_typeET2_T3_PNS13_IS18_E10value_typeET4_jRbjT5_S1E_jjP12ihipStream_tbEUljE_ZNSN_ISO_Lb0ESQ_SR_ST_SU_SY_EESZ_S10_S11_S12_S16_S17_S18_S1B_S1C_jS1D_jS1E_S1E_jjS1G_bEUljE0_EEESZ_S10_S11_S18_S1C_S1E_T6_T7_T9_mT8_S1G_bDpT10_ENKUlT_T0_E_clISt17integral_constantIbLb0EES1T_IbLb1EEEEDaS1P_S1Q_EUlS1P_E_NS1_11comp_targetILNS1_3genE9ELNS1_11target_archE1100ELNS1_3gpuE3ELNS1_3repE0EEENS1_30default_config_static_selectorELNS0_4arch9wavefront6targetE0EEEvS12_
    .private_segment_fixed_size: 0
    .sgpr_count:     0
    .sgpr_spill_count: 0
    .symbol:         _ZN7rocprim17ROCPRIM_400000_NS6detail17trampoline_kernelINS0_13select_configILj256ELj13ELNS0_17block_load_methodE3ELS4_3ELS4_3ELNS0_20block_scan_algorithmE0ELj4294967295EEENS1_25partition_config_selectorILNS1_17partition_subalgoE4EjNS0_10empty_typeEbEEZZNS1_14partition_implILS8_4ELb0ES6_15HIP_vector_typeIjLj2EENS0_17counting_iteratorIjlEEPS9_SG_NS0_5tupleIJPjSI_NS0_16reverse_iteratorISI_EEEEENSH_IJSG_SG_SG_EEES9_SI_JZNS1_25segmented_radix_sort_implINS0_14default_configELb0EPKbPbPKlPlN2at6native12_GLOBAL__N_18offset_tEEE10hipError_tPvRmT1_PNSt15iterator_traitsIS12_E10value_typeET2_T3_PNS13_IS18_E10value_typeET4_jRbjT5_S1E_jjP12ihipStream_tbEUljE_ZNSN_ISO_Lb0ESQ_SR_ST_SU_SY_EESZ_S10_S11_S12_S16_S17_S18_S1B_S1C_jS1D_jS1E_S1E_jjS1G_bEUljE0_EEESZ_S10_S11_S18_S1C_S1E_T6_T7_T9_mT8_S1G_bDpT10_ENKUlT_T0_E_clISt17integral_constantIbLb0EES1T_IbLb1EEEEDaS1P_S1Q_EUlS1P_E_NS1_11comp_targetILNS1_3genE9ELNS1_11target_archE1100ELNS1_3gpuE3ELNS1_3repE0EEENS1_30default_config_static_selectorELNS0_4arch9wavefront6targetE0EEEvS12_.kd
    .uniform_work_group_size: 1
    .uses_dynamic_stack: false
    .vgpr_count:     0
    .vgpr_spill_count: 0
    .wavefront_size: 32
    .workgroup_processor_mode: 1
  - .args:
      - .offset:         0
        .size:           184
        .value_kind:     by_value
    .group_segment_fixed_size: 13328
    .kernarg_segment_align: 8
    .kernarg_segment_size: 184
    .language:       OpenCL C
    .language_version:
      - 2
      - 0
    .max_flat_workgroup_size: 256
    .name:           _ZN7rocprim17ROCPRIM_400000_NS6detail17trampoline_kernelINS0_13select_configILj256ELj13ELNS0_17block_load_methodE3ELS4_3ELS4_3ELNS0_20block_scan_algorithmE0ELj4294967295EEENS1_25partition_config_selectorILNS1_17partition_subalgoE4EjNS0_10empty_typeEbEEZZNS1_14partition_implILS8_4ELb0ES6_15HIP_vector_typeIjLj2EENS0_17counting_iteratorIjlEEPS9_SG_NS0_5tupleIJPjSI_NS0_16reverse_iteratorISI_EEEEENSH_IJSG_SG_SG_EEES9_SI_JZNS1_25segmented_radix_sort_implINS0_14default_configELb0EPKbPbPKlPlN2at6native12_GLOBAL__N_18offset_tEEE10hipError_tPvRmT1_PNSt15iterator_traitsIS12_E10value_typeET2_T3_PNS13_IS18_E10value_typeET4_jRbjT5_S1E_jjP12ihipStream_tbEUljE_ZNSN_ISO_Lb0ESQ_SR_ST_SU_SY_EESZ_S10_S11_S12_S16_S17_S18_S1B_S1C_jS1D_jS1E_S1E_jjS1G_bEUljE0_EEESZ_S10_S11_S18_S1C_S1E_T6_T7_T9_mT8_S1G_bDpT10_ENKUlT_T0_E_clISt17integral_constantIbLb0EES1T_IbLb1EEEEDaS1P_S1Q_EUlS1P_E_NS1_11comp_targetILNS1_3genE8ELNS1_11target_archE1030ELNS1_3gpuE2ELNS1_3repE0EEENS1_30default_config_static_selectorELNS0_4arch9wavefront6targetE0EEEvS12_
    .private_segment_fixed_size: 0
    .sgpr_count:     57
    .sgpr_spill_count: 0
    .symbol:         _ZN7rocprim17ROCPRIM_400000_NS6detail17trampoline_kernelINS0_13select_configILj256ELj13ELNS0_17block_load_methodE3ELS4_3ELS4_3ELNS0_20block_scan_algorithmE0ELj4294967295EEENS1_25partition_config_selectorILNS1_17partition_subalgoE4EjNS0_10empty_typeEbEEZZNS1_14partition_implILS8_4ELb0ES6_15HIP_vector_typeIjLj2EENS0_17counting_iteratorIjlEEPS9_SG_NS0_5tupleIJPjSI_NS0_16reverse_iteratorISI_EEEEENSH_IJSG_SG_SG_EEES9_SI_JZNS1_25segmented_radix_sort_implINS0_14default_configELb0EPKbPbPKlPlN2at6native12_GLOBAL__N_18offset_tEEE10hipError_tPvRmT1_PNSt15iterator_traitsIS12_E10value_typeET2_T3_PNS13_IS18_E10value_typeET4_jRbjT5_S1E_jjP12ihipStream_tbEUljE_ZNSN_ISO_Lb0ESQ_SR_ST_SU_SY_EESZ_S10_S11_S12_S16_S17_S18_S1B_S1C_jS1D_jS1E_S1E_jjS1G_bEUljE0_EEESZ_S10_S11_S18_S1C_S1E_T6_T7_T9_mT8_S1G_bDpT10_ENKUlT_T0_E_clISt17integral_constantIbLb0EES1T_IbLb1EEEEDaS1P_S1Q_EUlS1P_E_NS1_11comp_targetILNS1_3genE8ELNS1_11target_archE1030ELNS1_3gpuE2ELNS1_3repE0EEENS1_30default_config_static_selectorELNS0_4arch9wavefront6targetE0EEEvS12_.kd
    .uniform_work_group_size: 1
    .uses_dynamic_stack: false
    .vgpr_count:     87
    .vgpr_spill_count: 0
    .wavefront_size: 32
    .workgroup_processor_mode: 1
  - .args:
      - .offset:         0
        .size:           144
        .value_kind:     by_value
    .group_segment_fixed_size: 0
    .kernarg_segment_align: 8
    .kernarg_segment_size: 144
    .language:       OpenCL C
    .language_version:
      - 2
      - 0
    .max_flat_workgroup_size: 256
    .name:           _ZN7rocprim17ROCPRIM_400000_NS6detail17trampoline_kernelINS0_13select_configILj256ELj13ELNS0_17block_load_methodE3ELS4_3ELS4_3ELNS0_20block_scan_algorithmE0ELj4294967295EEENS1_25partition_config_selectorILNS1_17partition_subalgoE3EjNS0_10empty_typeEbEEZZNS1_14partition_implILS8_3ELb0ES6_jNS0_17counting_iteratorIjlEEPS9_SE_NS0_5tupleIJPjSE_EEENSF_IJSE_SE_EEES9_SG_JZNS1_25segmented_radix_sort_implINS0_14default_configELb0EPKbPbPKlPlN2at6native12_GLOBAL__N_18offset_tEEE10hipError_tPvRmT1_PNSt15iterator_traitsISY_E10value_typeET2_T3_PNSZ_IS14_E10value_typeET4_jRbjT5_S1A_jjP12ihipStream_tbEUljE_EEESV_SW_SX_S14_S18_S1A_T6_T7_T9_mT8_S1C_bDpT10_ENKUlT_T0_E_clISt17integral_constantIbLb0EES1P_EEDaS1K_S1L_EUlS1K_E_NS1_11comp_targetILNS1_3genE0ELNS1_11target_archE4294967295ELNS1_3gpuE0ELNS1_3repE0EEENS1_30default_config_static_selectorELNS0_4arch9wavefront6targetE0EEEvSY_
    .private_segment_fixed_size: 0
    .sgpr_count:     0
    .sgpr_spill_count: 0
    .symbol:         _ZN7rocprim17ROCPRIM_400000_NS6detail17trampoline_kernelINS0_13select_configILj256ELj13ELNS0_17block_load_methodE3ELS4_3ELS4_3ELNS0_20block_scan_algorithmE0ELj4294967295EEENS1_25partition_config_selectorILNS1_17partition_subalgoE3EjNS0_10empty_typeEbEEZZNS1_14partition_implILS8_3ELb0ES6_jNS0_17counting_iteratorIjlEEPS9_SE_NS0_5tupleIJPjSE_EEENSF_IJSE_SE_EEES9_SG_JZNS1_25segmented_radix_sort_implINS0_14default_configELb0EPKbPbPKlPlN2at6native12_GLOBAL__N_18offset_tEEE10hipError_tPvRmT1_PNSt15iterator_traitsISY_E10value_typeET2_T3_PNSZ_IS14_E10value_typeET4_jRbjT5_S1A_jjP12ihipStream_tbEUljE_EEESV_SW_SX_S14_S18_S1A_T6_T7_T9_mT8_S1C_bDpT10_ENKUlT_T0_E_clISt17integral_constantIbLb0EES1P_EEDaS1K_S1L_EUlS1K_E_NS1_11comp_targetILNS1_3genE0ELNS1_11target_archE4294967295ELNS1_3gpuE0ELNS1_3repE0EEENS1_30default_config_static_selectorELNS0_4arch9wavefront6targetE0EEEvSY_.kd
    .uniform_work_group_size: 1
    .uses_dynamic_stack: false
    .vgpr_count:     0
    .vgpr_spill_count: 0
    .wavefront_size: 32
    .workgroup_processor_mode: 1
  - .args:
      - .offset:         0
        .size:           144
        .value_kind:     by_value
    .group_segment_fixed_size: 0
    .kernarg_segment_align: 8
    .kernarg_segment_size: 144
    .language:       OpenCL C
    .language_version:
      - 2
      - 0
    .max_flat_workgroup_size: 256
    .name:           _ZN7rocprim17ROCPRIM_400000_NS6detail17trampoline_kernelINS0_13select_configILj256ELj13ELNS0_17block_load_methodE3ELS4_3ELS4_3ELNS0_20block_scan_algorithmE0ELj4294967295EEENS1_25partition_config_selectorILNS1_17partition_subalgoE3EjNS0_10empty_typeEbEEZZNS1_14partition_implILS8_3ELb0ES6_jNS0_17counting_iteratorIjlEEPS9_SE_NS0_5tupleIJPjSE_EEENSF_IJSE_SE_EEES9_SG_JZNS1_25segmented_radix_sort_implINS0_14default_configELb0EPKbPbPKlPlN2at6native12_GLOBAL__N_18offset_tEEE10hipError_tPvRmT1_PNSt15iterator_traitsISY_E10value_typeET2_T3_PNSZ_IS14_E10value_typeET4_jRbjT5_S1A_jjP12ihipStream_tbEUljE_EEESV_SW_SX_S14_S18_S1A_T6_T7_T9_mT8_S1C_bDpT10_ENKUlT_T0_E_clISt17integral_constantIbLb0EES1P_EEDaS1K_S1L_EUlS1K_E_NS1_11comp_targetILNS1_3genE5ELNS1_11target_archE942ELNS1_3gpuE9ELNS1_3repE0EEENS1_30default_config_static_selectorELNS0_4arch9wavefront6targetE0EEEvSY_
    .private_segment_fixed_size: 0
    .sgpr_count:     0
    .sgpr_spill_count: 0
    .symbol:         _ZN7rocprim17ROCPRIM_400000_NS6detail17trampoline_kernelINS0_13select_configILj256ELj13ELNS0_17block_load_methodE3ELS4_3ELS4_3ELNS0_20block_scan_algorithmE0ELj4294967295EEENS1_25partition_config_selectorILNS1_17partition_subalgoE3EjNS0_10empty_typeEbEEZZNS1_14partition_implILS8_3ELb0ES6_jNS0_17counting_iteratorIjlEEPS9_SE_NS0_5tupleIJPjSE_EEENSF_IJSE_SE_EEES9_SG_JZNS1_25segmented_radix_sort_implINS0_14default_configELb0EPKbPbPKlPlN2at6native12_GLOBAL__N_18offset_tEEE10hipError_tPvRmT1_PNSt15iterator_traitsISY_E10value_typeET2_T3_PNSZ_IS14_E10value_typeET4_jRbjT5_S1A_jjP12ihipStream_tbEUljE_EEESV_SW_SX_S14_S18_S1A_T6_T7_T9_mT8_S1C_bDpT10_ENKUlT_T0_E_clISt17integral_constantIbLb0EES1P_EEDaS1K_S1L_EUlS1K_E_NS1_11comp_targetILNS1_3genE5ELNS1_11target_archE942ELNS1_3gpuE9ELNS1_3repE0EEENS1_30default_config_static_selectorELNS0_4arch9wavefront6targetE0EEEvSY_.kd
    .uniform_work_group_size: 1
    .uses_dynamic_stack: false
    .vgpr_count:     0
    .vgpr_spill_count: 0
    .wavefront_size: 32
    .workgroup_processor_mode: 1
  - .args:
      - .offset:         0
        .size:           144
        .value_kind:     by_value
    .group_segment_fixed_size: 0
    .kernarg_segment_align: 8
    .kernarg_segment_size: 144
    .language:       OpenCL C
    .language_version:
      - 2
      - 0
    .max_flat_workgroup_size: 256
    .name:           _ZN7rocprim17ROCPRIM_400000_NS6detail17trampoline_kernelINS0_13select_configILj256ELj13ELNS0_17block_load_methodE3ELS4_3ELS4_3ELNS0_20block_scan_algorithmE0ELj4294967295EEENS1_25partition_config_selectorILNS1_17partition_subalgoE3EjNS0_10empty_typeEbEEZZNS1_14partition_implILS8_3ELb0ES6_jNS0_17counting_iteratorIjlEEPS9_SE_NS0_5tupleIJPjSE_EEENSF_IJSE_SE_EEES9_SG_JZNS1_25segmented_radix_sort_implINS0_14default_configELb0EPKbPbPKlPlN2at6native12_GLOBAL__N_18offset_tEEE10hipError_tPvRmT1_PNSt15iterator_traitsISY_E10value_typeET2_T3_PNSZ_IS14_E10value_typeET4_jRbjT5_S1A_jjP12ihipStream_tbEUljE_EEESV_SW_SX_S14_S18_S1A_T6_T7_T9_mT8_S1C_bDpT10_ENKUlT_T0_E_clISt17integral_constantIbLb0EES1P_EEDaS1K_S1L_EUlS1K_E_NS1_11comp_targetILNS1_3genE4ELNS1_11target_archE910ELNS1_3gpuE8ELNS1_3repE0EEENS1_30default_config_static_selectorELNS0_4arch9wavefront6targetE0EEEvSY_
    .private_segment_fixed_size: 0
    .sgpr_count:     0
    .sgpr_spill_count: 0
    .symbol:         _ZN7rocprim17ROCPRIM_400000_NS6detail17trampoline_kernelINS0_13select_configILj256ELj13ELNS0_17block_load_methodE3ELS4_3ELS4_3ELNS0_20block_scan_algorithmE0ELj4294967295EEENS1_25partition_config_selectorILNS1_17partition_subalgoE3EjNS0_10empty_typeEbEEZZNS1_14partition_implILS8_3ELb0ES6_jNS0_17counting_iteratorIjlEEPS9_SE_NS0_5tupleIJPjSE_EEENSF_IJSE_SE_EEES9_SG_JZNS1_25segmented_radix_sort_implINS0_14default_configELb0EPKbPbPKlPlN2at6native12_GLOBAL__N_18offset_tEEE10hipError_tPvRmT1_PNSt15iterator_traitsISY_E10value_typeET2_T3_PNSZ_IS14_E10value_typeET4_jRbjT5_S1A_jjP12ihipStream_tbEUljE_EEESV_SW_SX_S14_S18_S1A_T6_T7_T9_mT8_S1C_bDpT10_ENKUlT_T0_E_clISt17integral_constantIbLb0EES1P_EEDaS1K_S1L_EUlS1K_E_NS1_11comp_targetILNS1_3genE4ELNS1_11target_archE910ELNS1_3gpuE8ELNS1_3repE0EEENS1_30default_config_static_selectorELNS0_4arch9wavefront6targetE0EEEvSY_.kd
    .uniform_work_group_size: 1
    .uses_dynamic_stack: false
    .vgpr_count:     0
    .vgpr_spill_count: 0
    .wavefront_size: 32
    .workgroup_processor_mode: 1
  - .args:
      - .offset:         0
        .size:           144
        .value_kind:     by_value
    .group_segment_fixed_size: 0
    .kernarg_segment_align: 8
    .kernarg_segment_size: 144
    .language:       OpenCL C
    .language_version:
      - 2
      - 0
    .max_flat_workgroup_size: 256
    .name:           _ZN7rocprim17ROCPRIM_400000_NS6detail17trampoline_kernelINS0_13select_configILj256ELj13ELNS0_17block_load_methodE3ELS4_3ELS4_3ELNS0_20block_scan_algorithmE0ELj4294967295EEENS1_25partition_config_selectorILNS1_17partition_subalgoE3EjNS0_10empty_typeEbEEZZNS1_14partition_implILS8_3ELb0ES6_jNS0_17counting_iteratorIjlEEPS9_SE_NS0_5tupleIJPjSE_EEENSF_IJSE_SE_EEES9_SG_JZNS1_25segmented_radix_sort_implINS0_14default_configELb0EPKbPbPKlPlN2at6native12_GLOBAL__N_18offset_tEEE10hipError_tPvRmT1_PNSt15iterator_traitsISY_E10value_typeET2_T3_PNSZ_IS14_E10value_typeET4_jRbjT5_S1A_jjP12ihipStream_tbEUljE_EEESV_SW_SX_S14_S18_S1A_T6_T7_T9_mT8_S1C_bDpT10_ENKUlT_T0_E_clISt17integral_constantIbLb0EES1P_EEDaS1K_S1L_EUlS1K_E_NS1_11comp_targetILNS1_3genE3ELNS1_11target_archE908ELNS1_3gpuE7ELNS1_3repE0EEENS1_30default_config_static_selectorELNS0_4arch9wavefront6targetE0EEEvSY_
    .private_segment_fixed_size: 0
    .sgpr_count:     0
    .sgpr_spill_count: 0
    .symbol:         _ZN7rocprim17ROCPRIM_400000_NS6detail17trampoline_kernelINS0_13select_configILj256ELj13ELNS0_17block_load_methodE3ELS4_3ELS4_3ELNS0_20block_scan_algorithmE0ELj4294967295EEENS1_25partition_config_selectorILNS1_17partition_subalgoE3EjNS0_10empty_typeEbEEZZNS1_14partition_implILS8_3ELb0ES6_jNS0_17counting_iteratorIjlEEPS9_SE_NS0_5tupleIJPjSE_EEENSF_IJSE_SE_EEES9_SG_JZNS1_25segmented_radix_sort_implINS0_14default_configELb0EPKbPbPKlPlN2at6native12_GLOBAL__N_18offset_tEEE10hipError_tPvRmT1_PNSt15iterator_traitsISY_E10value_typeET2_T3_PNSZ_IS14_E10value_typeET4_jRbjT5_S1A_jjP12ihipStream_tbEUljE_EEESV_SW_SX_S14_S18_S1A_T6_T7_T9_mT8_S1C_bDpT10_ENKUlT_T0_E_clISt17integral_constantIbLb0EES1P_EEDaS1K_S1L_EUlS1K_E_NS1_11comp_targetILNS1_3genE3ELNS1_11target_archE908ELNS1_3gpuE7ELNS1_3repE0EEENS1_30default_config_static_selectorELNS0_4arch9wavefront6targetE0EEEvSY_.kd
    .uniform_work_group_size: 1
    .uses_dynamic_stack: false
    .vgpr_count:     0
    .vgpr_spill_count: 0
    .wavefront_size: 32
    .workgroup_processor_mode: 1
  - .args:
      - .offset:         0
        .size:           144
        .value_kind:     by_value
    .group_segment_fixed_size: 0
    .kernarg_segment_align: 8
    .kernarg_segment_size: 144
    .language:       OpenCL C
    .language_version:
      - 2
      - 0
    .max_flat_workgroup_size: 256
    .name:           _ZN7rocprim17ROCPRIM_400000_NS6detail17trampoline_kernelINS0_13select_configILj256ELj13ELNS0_17block_load_methodE3ELS4_3ELS4_3ELNS0_20block_scan_algorithmE0ELj4294967295EEENS1_25partition_config_selectorILNS1_17partition_subalgoE3EjNS0_10empty_typeEbEEZZNS1_14partition_implILS8_3ELb0ES6_jNS0_17counting_iteratorIjlEEPS9_SE_NS0_5tupleIJPjSE_EEENSF_IJSE_SE_EEES9_SG_JZNS1_25segmented_radix_sort_implINS0_14default_configELb0EPKbPbPKlPlN2at6native12_GLOBAL__N_18offset_tEEE10hipError_tPvRmT1_PNSt15iterator_traitsISY_E10value_typeET2_T3_PNSZ_IS14_E10value_typeET4_jRbjT5_S1A_jjP12ihipStream_tbEUljE_EEESV_SW_SX_S14_S18_S1A_T6_T7_T9_mT8_S1C_bDpT10_ENKUlT_T0_E_clISt17integral_constantIbLb0EES1P_EEDaS1K_S1L_EUlS1K_E_NS1_11comp_targetILNS1_3genE2ELNS1_11target_archE906ELNS1_3gpuE6ELNS1_3repE0EEENS1_30default_config_static_selectorELNS0_4arch9wavefront6targetE0EEEvSY_
    .private_segment_fixed_size: 0
    .sgpr_count:     0
    .sgpr_spill_count: 0
    .symbol:         _ZN7rocprim17ROCPRIM_400000_NS6detail17trampoline_kernelINS0_13select_configILj256ELj13ELNS0_17block_load_methodE3ELS4_3ELS4_3ELNS0_20block_scan_algorithmE0ELj4294967295EEENS1_25partition_config_selectorILNS1_17partition_subalgoE3EjNS0_10empty_typeEbEEZZNS1_14partition_implILS8_3ELb0ES6_jNS0_17counting_iteratorIjlEEPS9_SE_NS0_5tupleIJPjSE_EEENSF_IJSE_SE_EEES9_SG_JZNS1_25segmented_radix_sort_implINS0_14default_configELb0EPKbPbPKlPlN2at6native12_GLOBAL__N_18offset_tEEE10hipError_tPvRmT1_PNSt15iterator_traitsISY_E10value_typeET2_T3_PNSZ_IS14_E10value_typeET4_jRbjT5_S1A_jjP12ihipStream_tbEUljE_EEESV_SW_SX_S14_S18_S1A_T6_T7_T9_mT8_S1C_bDpT10_ENKUlT_T0_E_clISt17integral_constantIbLb0EES1P_EEDaS1K_S1L_EUlS1K_E_NS1_11comp_targetILNS1_3genE2ELNS1_11target_archE906ELNS1_3gpuE6ELNS1_3repE0EEENS1_30default_config_static_selectorELNS0_4arch9wavefront6targetE0EEEvSY_.kd
    .uniform_work_group_size: 1
    .uses_dynamic_stack: false
    .vgpr_count:     0
    .vgpr_spill_count: 0
    .wavefront_size: 32
    .workgroup_processor_mode: 1
  - .args:
      - .offset:         0
        .size:           144
        .value_kind:     by_value
    .group_segment_fixed_size: 0
    .kernarg_segment_align: 8
    .kernarg_segment_size: 144
    .language:       OpenCL C
    .language_version:
      - 2
      - 0
    .max_flat_workgroup_size: 256
    .name:           _ZN7rocprim17ROCPRIM_400000_NS6detail17trampoline_kernelINS0_13select_configILj256ELj13ELNS0_17block_load_methodE3ELS4_3ELS4_3ELNS0_20block_scan_algorithmE0ELj4294967295EEENS1_25partition_config_selectorILNS1_17partition_subalgoE3EjNS0_10empty_typeEbEEZZNS1_14partition_implILS8_3ELb0ES6_jNS0_17counting_iteratorIjlEEPS9_SE_NS0_5tupleIJPjSE_EEENSF_IJSE_SE_EEES9_SG_JZNS1_25segmented_radix_sort_implINS0_14default_configELb0EPKbPbPKlPlN2at6native12_GLOBAL__N_18offset_tEEE10hipError_tPvRmT1_PNSt15iterator_traitsISY_E10value_typeET2_T3_PNSZ_IS14_E10value_typeET4_jRbjT5_S1A_jjP12ihipStream_tbEUljE_EEESV_SW_SX_S14_S18_S1A_T6_T7_T9_mT8_S1C_bDpT10_ENKUlT_T0_E_clISt17integral_constantIbLb0EES1P_EEDaS1K_S1L_EUlS1K_E_NS1_11comp_targetILNS1_3genE10ELNS1_11target_archE1200ELNS1_3gpuE4ELNS1_3repE0EEENS1_30default_config_static_selectorELNS0_4arch9wavefront6targetE0EEEvSY_
    .private_segment_fixed_size: 0
    .sgpr_count:     0
    .sgpr_spill_count: 0
    .symbol:         _ZN7rocprim17ROCPRIM_400000_NS6detail17trampoline_kernelINS0_13select_configILj256ELj13ELNS0_17block_load_methodE3ELS4_3ELS4_3ELNS0_20block_scan_algorithmE0ELj4294967295EEENS1_25partition_config_selectorILNS1_17partition_subalgoE3EjNS0_10empty_typeEbEEZZNS1_14partition_implILS8_3ELb0ES6_jNS0_17counting_iteratorIjlEEPS9_SE_NS0_5tupleIJPjSE_EEENSF_IJSE_SE_EEES9_SG_JZNS1_25segmented_radix_sort_implINS0_14default_configELb0EPKbPbPKlPlN2at6native12_GLOBAL__N_18offset_tEEE10hipError_tPvRmT1_PNSt15iterator_traitsISY_E10value_typeET2_T3_PNSZ_IS14_E10value_typeET4_jRbjT5_S1A_jjP12ihipStream_tbEUljE_EEESV_SW_SX_S14_S18_S1A_T6_T7_T9_mT8_S1C_bDpT10_ENKUlT_T0_E_clISt17integral_constantIbLb0EES1P_EEDaS1K_S1L_EUlS1K_E_NS1_11comp_targetILNS1_3genE10ELNS1_11target_archE1200ELNS1_3gpuE4ELNS1_3repE0EEENS1_30default_config_static_selectorELNS0_4arch9wavefront6targetE0EEEvSY_.kd
    .uniform_work_group_size: 1
    .uses_dynamic_stack: false
    .vgpr_count:     0
    .vgpr_spill_count: 0
    .wavefront_size: 32
    .workgroup_processor_mode: 1
  - .args:
      - .offset:         0
        .size:           144
        .value_kind:     by_value
    .group_segment_fixed_size: 0
    .kernarg_segment_align: 8
    .kernarg_segment_size: 144
    .language:       OpenCL C
    .language_version:
      - 2
      - 0
    .max_flat_workgroup_size: 256
    .name:           _ZN7rocprim17ROCPRIM_400000_NS6detail17trampoline_kernelINS0_13select_configILj256ELj13ELNS0_17block_load_methodE3ELS4_3ELS4_3ELNS0_20block_scan_algorithmE0ELj4294967295EEENS1_25partition_config_selectorILNS1_17partition_subalgoE3EjNS0_10empty_typeEbEEZZNS1_14partition_implILS8_3ELb0ES6_jNS0_17counting_iteratorIjlEEPS9_SE_NS0_5tupleIJPjSE_EEENSF_IJSE_SE_EEES9_SG_JZNS1_25segmented_radix_sort_implINS0_14default_configELb0EPKbPbPKlPlN2at6native12_GLOBAL__N_18offset_tEEE10hipError_tPvRmT1_PNSt15iterator_traitsISY_E10value_typeET2_T3_PNSZ_IS14_E10value_typeET4_jRbjT5_S1A_jjP12ihipStream_tbEUljE_EEESV_SW_SX_S14_S18_S1A_T6_T7_T9_mT8_S1C_bDpT10_ENKUlT_T0_E_clISt17integral_constantIbLb0EES1P_EEDaS1K_S1L_EUlS1K_E_NS1_11comp_targetILNS1_3genE9ELNS1_11target_archE1100ELNS1_3gpuE3ELNS1_3repE0EEENS1_30default_config_static_selectorELNS0_4arch9wavefront6targetE0EEEvSY_
    .private_segment_fixed_size: 0
    .sgpr_count:     0
    .sgpr_spill_count: 0
    .symbol:         _ZN7rocprim17ROCPRIM_400000_NS6detail17trampoline_kernelINS0_13select_configILj256ELj13ELNS0_17block_load_methodE3ELS4_3ELS4_3ELNS0_20block_scan_algorithmE0ELj4294967295EEENS1_25partition_config_selectorILNS1_17partition_subalgoE3EjNS0_10empty_typeEbEEZZNS1_14partition_implILS8_3ELb0ES6_jNS0_17counting_iteratorIjlEEPS9_SE_NS0_5tupleIJPjSE_EEENSF_IJSE_SE_EEES9_SG_JZNS1_25segmented_radix_sort_implINS0_14default_configELb0EPKbPbPKlPlN2at6native12_GLOBAL__N_18offset_tEEE10hipError_tPvRmT1_PNSt15iterator_traitsISY_E10value_typeET2_T3_PNSZ_IS14_E10value_typeET4_jRbjT5_S1A_jjP12ihipStream_tbEUljE_EEESV_SW_SX_S14_S18_S1A_T6_T7_T9_mT8_S1C_bDpT10_ENKUlT_T0_E_clISt17integral_constantIbLb0EES1P_EEDaS1K_S1L_EUlS1K_E_NS1_11comp_targetILNS1_3genE9ELNS1_11target_archE1100ELNS1_3gpuE3ELNS1_3repE0EEENS1_30default_config_static_selectorELNS0_4arch9wavefront6targetE0EEEvSY_.kd
    .uniform_work_group_size: 1
    .uses_dynamic_stack: false
    .vgpr_count:     0
    .vgpr_spill_count: 0
    .wavefront_size: 32
    .workgroup_processor_mode: 1
  - .args:
      - .offset:         0
        .size:           144
        .value_kind:     by_value
    .group_segment_fixed_size: 13320
    .kernarg_segment_align: 8
    .kernarg_segment_size: 144
    .language:       OpenCL C
    .language_version:
      - 2
      - 0
    .max_flat_workgroup_size: 256
    .name:           _ZN7rocprim17ROCPRIM_400000_NS6detail17trampoline_kernelINS0_13select_configILj256ELj13ELNS0_17block_load_methodE3ELS4_3ELS4_3ELNS0_20block_scan_algorithmE0ELj4294967295EEENS1_25partition_config_selectorILNS1_17partition_subalgoE3EjNS0_10empty_typeEbEEZZNS1_14partition_implILS8_3ELb0ES6_jNS0_17counting_iteratorIjlEEPS9_SE_NS0_5tupleIJPjSE_EEENSF_IJSE_SE_EEES9_SG_JZNS1_25segmented_radix_sort_implINS0_14default_configELb0EPKbPbPKlPlN2at6native12_GLOBAL__N_18offset_tEEE10hipError_tPvRmT1_PNSt15iterator_traitsISY_E10value_typeET2_T3_PNSZ_IS14_E10value_typeET4_jRbjT5_S1A_jjP12ihipStream_tbEUljE_EEESV_SW_SX_S14_S18_S1A_T6_T7_T9_mT8_S1C_bDpT10_ENKUlT_T0_E_clISt17integral_constantIbLb0EES1P_EEDaS1K_S1L_EUlS1K_E_NS1_11comp_targetILNS1_3genE8ELNS1_11target_archE1030ELNS1_3gpuE2ELNS1_3repE0EEENS1_30default_config_static_selectorELNS0_4arch9wavefront6targetE0EEEvSY_
    .private_segment_fixed_size: 0
    .sgpr_count:     29
    .sgpr_spill_count: 0
    .symbol:         _ZN7rocprim17ROCPRIM_400000_NS6detail17trampoline_kernelINS0_13select_configILj256ELj13ELNS0_17block_load_methodE3ELS4_3ELS4_3ELNS0_20block_scan_algorithmE0ELj4294967295EEENS1_25partition_config_selectorILNS1_17partition_subalgoE3EjNS0_10empty_typeEbEEZZNS1_14partition_implILS8_3ELb0ES6_jNS0_17counting_iteratorIjlEEPS9_SE_NS0_5tupleIJPjSE_EEENSF_IJSE_SE_EEES9_SG_JZNS1_25segmented_radix_sort_implINS0_14default_configELb0EPKbPbPKlPlN2at6native12_GLOBAL__N_18offset_tEEE10hipError_tPvRmT1_PNSt15iterator_traitsISY_E10value_typeET2_T3_PNSZ_IS14_E10value_typeET4_jRbjT5_S1A_jjP12ihipStream_tbEUljE_EEESV_SW_SX_S14_S18_S1A_T6_T7_T9_mT8_S1C_bDpT10_ENKUlT_T0_E_clISt17integral_constantIbLb0EES1P_EEDaS1K_S1L_EUlS1K_E_NS1_11comp_targetILNS1_3genE8ELNS1_11target_archE1030ELNS1_3gpuE2ELNS1_3repE0EEENS1_30default_config_static_selectorELNS0_4arch9wavefront6targetE0EEEvSY_.kd
    .uniform_work_group_size: 1
    .uses_dynamic_stack: false
    .vgpr_count:     69
    .vgpr_spill_count: 0
    .wavefront_size: 32
    .workgroup_processor_mode: 1
  - .args:
      - .offset:         0
        .size:           152
        .value_kind:     by_value
    .group_segment_fixed_size: 0
    .kernarg_segment_align: 8
    .kernarg_segment_size: 152
    .language:       OpenCL C
    .language_version:
      - 2
      - 0
    .max_flat_workgroup_size: 256
    .name:           _ZN7rocprim17ROCPRIM_400000_NS6detail17trampoline_kernelINS0_13select_configILj256ELj13ELNS0_17block_load_methodE3ELS4_3ELS4_3ELNS0_20block_scan_algorithmE0ELj4294967295EEENS1_25partition_config_selectorILNS1_17partition_subalgoE3EjNS0_10empty_typeEbEEZZNS1_14partition_implILS8_3ELb0ES6_jNS0_17counting_iteratorIjlEEPS9_SE_NS0_5tupleIJPjSE_EEENSF_IJSE_SE_EEES9_SG_JZNS1_25segmented_radix_sort_implINS0_14default_configELb0EPKbPbPKlPlN2at6native12_GLOBAL__N_18offset_tEEE10hipError_tPvRmT1_PNSt15iterator_traitsISY_E10value_typeET2_T3_PNSZ_IS14_E10value_typeET4_jRbjT5_S1A_jjP12ihipStream_tbEUljE_EEESV_SW_SX_S14_S18_S1A_T6_T7_T9_mT8_S1C_bDpT10_ENKUlT_T0_E_clISt17integral_constantIbLb1EES1P_EEDaS1K_S1L_EUlS1K_E_NS1_11comp_targetILNS1_3genE0ELNS1_11target_archE4294967295ELNS1_3gpuE0ELNS1_3repE0EEENS1_30default_config_static_selectorELNS0_4arch9wavefront6targetE0EEEvSY_
    .private_segment_fixed_size: 0
    .sgpr_count:     0
    .sgpr_spill_count: 0
    .symbol:         _ZN7rocprim17ROCPRIM_400000_NS6detail17trampoline_kernelINS0_13select_configILj256ELj13ELNS0_17block_load_methodE3ELS4_3ELS4_3ELNS0_20block_scan_algorithmE0ELj4294967295EEENS1_25partition_config_selectorILNS1_17partition_subalgoE3EjNS0_10empty_typeEbEEZZNS1_14partition_implILS8_3ELb0ES6_jNS0_17counting_iteratorIjlEEPS9_SE_NS0_5tupleIJPjSE_EEENSF_IJSE_SE_EEES9_SG_JZNS1_25segmented_radix_sort_implINS0_14default_configELb0EPKbPbPKlPlN2at6native12_GLOBAL__N_18offset_tEEE10hipError_tPvRmT1_PNSt15iterator_traitsISY_E10value_typeET2_T3_PNSZ_IS14_E10value_typeET4_jRbjT5_S1A_jjP12ihipStream_tbEUljE_EEESV_SW_SX_S14_S18_S1A_T6_T7_T9_mT8_S1C_bDpT10_ENKUlT_T0_E_clISt17integral_constantIbLb1EES1P_EEDaS1K_S1L_EUlS1K_E_NS1_11comp_targetILNS1_3genE0ELNS1_11target_archE4294967295ELNS1_3gpuE0ELNS1_3repE0EEENS1_30default_config_static_selectorELNS0_4arch9wavefront6targetE0EEEvSY_.kd
    .uniform_work_group_size: 1
    .uses_dynamic_stack: false
    .vgpr_count:     0
    .vgpr_spill_count: 0
    .wavefront_size: 32
    .workgroup_processor_mode: 1
  - .args:
      - .offset:         0
        .size:           152
        .value_kind:     by_value
    .group_segment_fixed_size: 0
    .kernarg_segment_align: 8
    .kernarg_segment_size: 152
    .language:       OpenCL C
    .language_version:
      - 2
      - 0
    .max_flat_workgroup_size: 256
    .name:           _ZN7rocprim17ROCPRIM_400000_NS6detail17trampoline_kernelINS0_13select_configILj256ELj13ELNS0_17block_load_methodE3ELS4_3ELS4_3ELNS0_20block_scan_algorithmE0ELj4294967295EEENS1_25partition_config_selectorILNS1_17partition_subalgoE3EjNS0_10empty_typeEbEEZZNS1_14partition_implILS8_3ELb0ES6_jNS0_17counting_iteratorIjlEEPS9_SE_NS0_5tupleIJPjSE_EEENSF_IJSE_SE_EEES9_SG_JZNS1_25segmented_radix_sort_implINS0_14default_configELb0EPKbPbPKlPlN2at6native12_GLOBAL__N_18offset_tEEE10hipError_tPvRmT1_PNSt15iterator_traitsISY_E10value_typeET2_T3_PNSZ_IS14_E10value_typeET4_jRbjT5_S1A_jjP12ihipStream_tbEUljE_EEESV_SW_SX_S14_S18_S1A_T6_T7_T9_mT8_S1C_bDpT10_ENKUlT_T0_E_clISt17integral_constantIbLb1EES1P_EEDaS1K_S1L_EUlS1K_E_NS1_11comp_targetILNS1_3genE5ELNS1_11target_archE942ELNS1_3gpuE9ELNS1_3repE0EEENS1_30default_config_static_selectorELNS0_4arch9wavefront6targetE0EEEvSY_
    .private_segment_fixed_size: 0
    .sgpr_count:     0
    .sgpr_spill_count: 0
    .symbol:         _ZN7rocprim17ROCPRIM_400000_NS6detail17trampoline_kernelINS0_13select_configILj256ELj13ELNS0_17block_load_methodE3ELS4_3ELS4_3ELNS0_20block_scan_algorithmE0ELj4294967295EEENS1_25partition_config_selectorILNS1_17partition_subalgoE3EjNS0_10empty_typeEbEEZZNS1_14partition_implILS8_3ELb0ES6_jNS0_17counting_iteratorIjlEEPS9_SE_NS0_5tupleIJPjSE_EEENSF_IJSE_SE_EEES9_SG_JZNS1_25segmented_radix_sort_implINS0_14default_configELb0EPKbPbPKlPlN2at6native12_GLOBAL__N_18offset_tEEE10hipError_tPvRmT1_PNSt15iterator_traitsISY_E10value_typeET2_T3_PNSZ_IS14_E10value_typeET4_jRbjT5_S1A_jjP12ihipStream_tbEUljE_EEESV_SW_SX_S14_S18_S1A_T6_T7_T9_mT8_S1C_bDpT10_ENKUlT_T0_E_clISt17integral_constantIbLb1EES1P_EEDaS1K_S1L_EUlS1K_E_NS1_11comp_targetILNS1_3genE5ELNS1_11target_archE942ELNS1_3gpuE9ELNS1_3repE0EEENS1_30default_config_static_selectorELNS0_4arch9wavefront6targetE0EEEvSY_.kd
    .uniform_work_group_size: 1
    .uses_dynamic_stack: false
    .vgpr_count:     0
    .vgpr_spill_count: 0
    .wavefront_size: 32
    .workgroup_processor_mode: 1
  - .args:
      - .offset:         0
        .size:           152
        .value_kind:     by_value
    .group_segment_fixed_size: 0
    .kernarg_segment_align: 8
    .kernarg_segment_size: 152
    .language:       OpenCL C
    .language_version:
      - 2
      - 0
    .max_flat_workgroup_size: 256
    .name:           _ZN7rocprim17ROCPRIM_400000_NS6detail17trampoline_kernelINS0_13select_configILj256ELj13ELNS0_17block_load_methodE3ELS4_3ELS4_3ELNS0_20block_scan_algorithmE0ELj4294967295EEENS1_25partition_config_selectorILNS1_17partition_subalgoE3EjNS0_10empty_typeEbEEZZNS1_14partition_implILS8_3ELb0ES6_jNS0_17counting_iteratorIjlEEPS9_SE_NS0_5tupleIJPjSE_EEENSF_IJSE_SE_EEES9_SG_JZNS1_25segmented_radix_sort_implINS0_14default_configELb0EPKbPbPKlPlN2at6native12_GLOBAL__N_18offset_tEEE10hipError_tPvRmT1_PNSt15iterator_traitsISY_E10value_typeET2_T3_PNSZ_IS14_E10value_typeET4_jRbjT5_S1A_jjP12ihipStream_tbEUljE_EEESV_SW_SX_S14_S18_S1A_T6_T7_T9_mT8_S1C_bDpT10_ENKUlT_T0_E_clISt17integral_constantIbLb1EES1P_EEDaS1K_S1L_EUlS1K_E_NS1_11comp_targetILNS1_3genE4ELNS1_11target_archE910ELNS1_3gpuE8ELNS1_3repE0EEENS1_30default_config_static_selectorELNS0_4arch9wavefront6targetE0EEEvSY_
    .private_segment_fixed_size: 0
    .sgpr_count:     0
    .sgpr_spill_count: 0
    .symbol:         _ZN7rocprim17ROCPRIM_400000_NS6detail17trampoline_kernelINS0_13select_configILj256ELj13ELNS0_17block_load_methodE3ELS4_3ELS4_3ELNS0_20block_scan_algorithmE0ELj4294967295EEENS1_25partition_config_selectorILNS1_17partition_subalgoE3EjNS0_10empty_typeEbEEZZNS1_14partition_implILS8_3ELb0ES6_jNS0_17counting_iteratorIjlEEPS9_SE_NS0_5tupleIJPjSE_EEENSF_IJSE_SE_EEES9_SG_JZNS1_25segmented_radix_sort_implINS0_14default_configELb0EPKbPbPKlPlN2at6native12_GLOBAL__N_18offset_tEEE10hipError_tPvRmT1_PNSt15iterator_traitsISY_E10value_typeET2_T3_PNSZ_IS14_E10value_typeET4_jRbjT5_S1A_jjP12ihipStream_tbEUljE_EEESV_SW_SX_S14_S18_S1A_T6_T7_T9_mT8_S1C_bDpT10_ENKUlT_T0_E_clISt17integral_constantIbLb1EES1P_EEDaS1K_S1L_EUlS1K_E_NS1_11comp_targetILNS1_3genE4ELNS1_11target_archE910ELNS1_3gpuE8ELNS1_3repE0EEENS1_30default_config_static_selectorELNS0_4arch9wavefront6targetE0EEEvSY_.kd
    .uniform_work_group_size: 1
    .uses_dynamic_stack: false
    .vgpr_count:     0
    .vgpr_spill_count: 0
    .wavefront_size: 32
    .workgroup_processor_mode: 1
  - .args:
      - .offset:         0
        .size:           152
        .value_kind:     by_value
    .group_segment_fixed_size: 0
    .kernarg_segment_align: 8
    .kernarg_segment_size: 152
    .language:       OpenCL C
    .language_version:
      - 2
      - 0
    .max_flat_workgroup_size: 256
    .name:           _ZN7rocprim17ROCPRIM_400000_NS6detail17trampoline_kernelINS0_13select_configILj256ELj13ELNS0_17block_load_methodE3ELS4_3ELS4_3ELNS0_20block_scan_algorithmE0ELj4294967295EEENS1_25partition_config_selectorILNS1_17partition_subalgoE3EjNS0_10empty_typeEbEEZZNS1_14partition_implILS8_3ELb0ES6_jNS0_17counting_iteratorIjlEEPS9_SE_NS0_5tupleIJPjSE_EEENSF_IJSE_SE_EEES9_SG_JZNS1_25segmented_radix_sort_implINS0_14default_configELb0EPKbPbPKlPlN2at6native12_GLOBAL__N_18offset_tEEE10hipError_tPvRmT1_PNSt15iterator_traitsISY_E10value_typeET2_T3_PNSZ_IS14_E10value_typeET4_jRbjT5_S1A_jjP12ihipStream_tbEUljE_EEESV_SW_SX_S14_S18_S1A_T6_T7_T9_mT8_S1C_bDpT10_ENKUlT_T0_E_clISt17integral_constantIbLb1EES1P_EEDaS1K_S1L_EUlS1K_E_NS1_11comp_targetILNS1_3genE3ELNS1_11target_archE908ELNS1_3gpuE7ELNS1_3repE0EEENS1_30default_config_static_selectorELNS0_4arch9wavefront6targetE0EEEvSY_
    .private_segment_fixed_size: 0
    .sgpr_count:     0
    .sgpr_spill_count: 0
    .symbol:         _ZN7rocprim17ROCPRIM_400000_NS6detail17trampoline_kernelINS0_13select_configILj256ELj13ELNS0_17block_load_methodE3ELS4_3ELS4_3ELNS0_20block_scan_algorithmE0ELj4294967295EEENS1_25partition_config_selectorILNS1_17partition_subalgoE3EjNS0_10empty_typeEbEEZZNS1_14partition_implILS8_3ELb0ES6_jNS0_17counting_iteratorIjlEEPS9_SE_NS0_5tupleIJPjSE_EEENSF_IJSE_SE_EEES9_SG_JZNS1_25segmented_radix_sort_implINS0_14default_configELb0EPKbPbPKlPlN2at6native12_GLOBAL__N_18offset_tEEE10hipError_tPvRmT1_PNSt15iterator_traitsISY_E10value_typeET2_T3_PNSZ_IS14_E10value_typeET4_jRbjT5_S1A_jjP12ihipStream_tbEUljE_EEESV_SW_SX_S14_S18_S1A_T6_T7_T9_mT8_S1C_bDpT10_ENKUlT_T0_E_clISt17integral_constantIbLb1EES1P_EEDaS1K_S1L_EUlS1K_E_NS1_11comp_targetILNS1_3genE3ELNS1_11target_archE908ELNS1_3gpuE7ELNS1_3repE0EEENS1_30default_config_static_selectorELNS0_4arch9wavefront6targetE0EEEvSY_.kd
    .uniform_work_group_size: 1
    .uses_dynamic_stack: false
    .vgpr_count:     0
    .vgpr_spill_count: 0
    .wavefront_size: 32
    .workgroup_processor_mode: 1
  - .args:
      - .offset:         0
        .size:           152
        .value_kind:     by_value
    .group_segment_fixed_size: 0
    .kernarg_segment_align: 8
    .kernarg_segment_size: 152
    .language:       OpenCL C
    .language_version:
      - 2
      - 0
    .max_flat_workgroup_size: 256
    .name:           _ZN7rocprim17ROCPRIM_400000_NS6detail17trampoline_kernelINS0_13select_configILj256ELj13ELNS0_17block_load_methodE3ELS4_3ELS4_3ELNS0_20block_scan_algorithmE0ELj4294967295EEENS1_25partition_config_selectorILNS1_17partition_subalgoE3EjNS0_10empty_typeEbEEZZNS1_14partition_implILS8_3ELb0ES6_jNS0_17counting_iteratorIjlEEPS9_SE_NS0_5tupleIJPjSE_EEENSF_IJSE_SE_EEES9_SG_JZNS1_25segmented_radix_sort_implINS0_14default_configELb0EPKbPbPKlPlN2at6native12_GLOBAL__N_18offset_tEEE10hipError_tPvRmT1_PNSt15iterator_traitsISY_E10value_typeET2_T3_PNSZ_IS14_E10value_typeET4_jRbjT5_S1A_jjP12ihipStream_tbEUljE_EEESV_SW_SX_S14_S18_S1A_T6_T7_T9_mT8_S1C_bDpT10_ENKUlT_T0_E_clISt17integral_constantIbLb1EES1P_EEDaS1K_S1L_EUlS1K_E_NS1_11comp_targetILNS1_3genE2ELNS1_11target_archE906ELNS1_3gpuE6ELNS1_3repE0EEENS1_30default_config_static_selectorELNS0_4arch9wavefront6targetE0EEEvSY_
    .private_segment_fixed_size: 0
    .sgpr_count:     0
    .sgpr_spill_count: 0
    .symbol:         _ZN7rocprim17ROCPRIM_400000_NS6detail17trampoline_kernelINS0_13select_configILj256ELj13ELNS0_17block_load_methodE3ELS4_3ELS4_3ELNS0_20block_scan_algorithmE0ELj4294967295EEENS1_25partition_config_selectorILNS1_17partition_subalgoE3EjNS0_10empty_typeEbEEZZNS1_14partition_implILS8_3ELb0ES6_jNS0_17counting_iteratorIjlEEPS9_SE_NS0_5tupleIJPjSE_EEENSF_IJSE_SE_EEES9_SG_JZNS1_25segmented_radix_sort_implINS0_14default_configELb0EPKbPbPKlPlN2at6native12_GLOBAL__N_18offset_tEEE10hipError_tPvRmT1_PNSt15iterator_traitsISY_E10value_typeET2_T3_PNSZ_IS14_E10value_typeET4_jRbjT5_S1A_jjP12ihipStream_tbEUljE_EEESV_SW_SX_S14_S18_S1A_T6_T7_T9_mT8_S1C_bDpT10_ENKUlT_T0_E_clISt17integral_constantIbLb1EES1P_EEDaS1K_S1L_EUlS1K_E_NS1_11comp_targetILNS1_3genE2ELNS1_11target_archE906ELNS1_3gpuE6ELNS1_3repE0EEENS1_30default_config_static_selectorELNS0_4arch9wavefront6targetE0EEEvSY_.kd
    .uniform_work_group_size: 1
    .uses_dynamic_stack: false
    .vgpr_count:     0
    .vgpr_spill_count: 0
    .wavefront_size: 32
    .workgroup_processor_mode: 1
  - .args:
      - .offset:         0
        .size:           152
        .value_kind:     by_value
    .group_segment_fixed_size: 0
    .kernarg_segment_align: 8
    .kernarg_segment_size: 152
    .language:       OpenCL C
    .language_version:
      - 2
      - 0
    .max_flat_workgroup_size: 256
    .name:           _ZN7rocprim17ROCPRIM_400000_NS6detail17trampoline_kernelINS0_13select_configILj256ELj13ELNS0_17block_load_methodE3ELS4_3ELS4_3ELNS0_20block_scan_algorithmE0ELj4294967295EEENS1_25partition_config_selectorILNS1_17partition_subalgoE3EjNS0_10empty_typeEbEEZZNS1_14partition_implILS8_3ELb0ES6_jNS0_17counting_iteratorIjlEEPS9_SE_NS0_5tupleIJPjSE_EEENSF_IJSE_SE_EEES9_SG_JZNS1_25segmented_radix_sort_implINS0_14default_configELb0EPKbPbPKlPlN2at6native12_GLOBAL__N_18offset_tEEE10hipError_tPvRmT1_PNSt15iterator_traitsISY_E10value_typeET2_T3_PNSZ_IS14_E10value_typeET4_jRbjT5_S1A_jjP12ihipStream_tbEUljE_EEESV_SW_SX_S14_S18_S1A_T6_T7_T9_mT8_S1C_bDpT10_ENKUlT_T0_E_clISt17integral_constantIbLb1EES1P_EEDaS1K_S1L_EUlS1K_E_NS1_11comp_targetILNS1_3genE10ELNS1_11target_archE1200ELNS1_3gpuE4ELNS1_3repE0EEENS1_30default_config_static_selectorELNS0_4arch9wavefront6targetE0EEEvSY_
    .private_segment_fixed_size: 0
    .sgpr_count:     0
    .sgpr_spill_count: 0
    .symbol:         _ZN7rocprim17ROCPRIM_400000_NS6detail17trampoline_kernelINS0_13select_configILj256ELj13ELNS0_17block_load_methodE3ELS4_3ELS4_3ELNS0_20block_scan_algorithmE0ELj4294967295EEENS1_25partition_config_selectorILNS1_17partition_subalgoE3EjNS0_10empty_typeEbEEZZNS1_14partition_implILS8_3ELb0ES6_jNS0_17counting_iteratorIjlEEPS9_SE_NS0_5tupleIJPjSE_EEENSF_IJSE_SE_EEES9_SG_JZNS1_25segmented_radix_sort_implINS0_14default_configELb0EPKbPbPKlPlN2at6native12_GLOBAL__N_18offset_tEEE10hipError_tPvRmT1_PNSt15iterator_traitsISY_E10value_typeET2_T3_PNSZ_IS14_E10value_typeET4_jRbjT5_S1A_jjP12ihipStream_tbEUljE_EEESV_SW_SX_S14_S18_S1A_T6_T7_T9_mT8_S1C_bDpT10_ENKUlT_T0_E_clISt17integral_constantIbLb1EES1P_EEDaS1K_S1L_EUlS1K_E_NS1_11comp_targetILNS1_3genE10ELNS1_11target_archE1200ELNS1_3gpuE4ELNS1_3repE0EEENS1_30default_config_static_selectorELNS0_4arch9wavefront6targetE0EEEvSY_.kd
    .uniform_work_group_size: 1
    .uses_dynamic_stack: false
    .vgpr_count:     0
    .vgpr_spill_count: 0
    .wavefront_size: 32
    .workgroup_processor_mode: 1
  - .args:
      - .offset:         0
        .size:           152
        .value_kind:     by_value
    .group_segment_fixed_size: 0
    .kernarg_segment_align: 8
    .kernarg_segment_size: 152
    .language:       OpenCL C
    .language_version:
      - 2
      - 0
    .max_flat_workgroup_size: 256
    .name:           _ZN7rocprim17ROCPRIM_400000_NS6detail17trampoline_kernelINS0_13select_configILj256ELj13ELNS0_17block_load_methodE3ELS4_3ELS4_3ELNS0_20block_scan_algorithmE0ELj4294967295EEENS1_25partition_config_selectorILNS1_17partition_subalgoE3EjNS0_10empty_typeEbEEZZNS1_14partition_implILS8_3ELb0ES6_jNS0_17counting_iteratorIjlEEPS9_SE_NS0_5tupleIJPjSE_EEENSF_IJSE_SE_EEES9_SG_JZNS1_25segmented_radix_sort_implINS0_14default_configELb0EPKbPbPKlPlN2at6native12_GLOBAL__N_18offset_tEEE10hipError_tPvRmT1_PNSt15iterator_traitsISY_E10value_typeET2_T3_PNSZ_IS14_E10value_typeET4_jRbjT5_S1A_jjP12ihipStream_tbEUljE_EEESV_SW_SX_S14_S18_S1A_T6_T7_T9_mT8_S1C_bDpT10_ENKUlT_T0_E_clISt17integral_constantIbLb1EES1P_EEDaS1K_S1L_EUlS1K_E_NS1_11comp_targetILNS1_3genE9ELNS1_11target_archE1100ELNS1_3gpuE3ELNS1_3repE0EEENS1_30default_config_static_selectorELNS0_4arch9wavefront6targetE0EEEvSY_
    .private_segment_fixed_size: 0
    .sgpr_count:     0
    .sgpr_spill_count: 0
    .symbol:         _ZN7rocprim17ROCPRIM_400000_NS6detail17trampoline_kernelINS0_13select_configILj256ELj13ELNS0_17block_load_methodE3ELS4_3ELS4_3ELNS0_20block_scan_algorithmE0ELj4294967295EEENS1_25partition_config_selectorILNS1_17partition_subalgoE3EjNS0_10empty_typeEbEEZZNS1_14partition_implILS8_3ELb0ES6_jNS0_17counting_iteratorIjlEEPS9_SE_NS0_5tupleIJPjSE_EEENSF_IJSE_SE_EEES9_SG_JZNS1_25segmented_radix_sort_implINS0_14default_configELb0EPKbPbPKlPlN2at6native12_GLOBAL__N_18offset_tEEE10hipError_tPvRmT1_PNSt15iterator_traitsISY_E10value_typeET2_T3_PNSZ_IS14_E10value_typeET4_jRbjT5_S1A_jjP12ihipStream_tbEUljE_EEESV_SW_SX_S14_S18_S1A_T6_T7_T9_mT8_S1C_bDpT10_ENKUlT_T0_E_clISt17integral_constantIbLb1EES1P_EEDaS1K_S1L_EUlS1K_E_NS1_11comp_targetILNS1_3genE9ELNS1_11target_archE1100ELNS1_3gpuE3ELNS1_3repE0EEENS1_30default_config_static_selectorELNS0_4arch9wavefront6targetE0EEEvSY_.kd
    .uniform_work_group_size: 1
    .uses_dynamic_stack: false
    .vgpr_count:     0
    .vgpr_spill_count: 0
    .wavefront_size: 32
    .workgroup_processor_mode: 1
  - .args:
      - .offset:         0
        .size:           152
        .value_kind:     by_value
    .group_segment_fixed_size: 0
    .kernarg_segment_align: 8
    .kernarg_segment_size: 152
    .language:       OpenCL C
    .language_version:
      - 2
      - 0
    .max_flat_workgroup_size: 256
    .name:           _ZN7rocprim17ROCPRIM_400000_NS6detail17trampoline_kernelINS0_13select_configILj256ELj13ELNS0_17block_load_methodE3ELS4_3ELS4_3ELNS0_20block_scan_algorithmE0ELj4294967295EEENS1_25partition_config_selectorILNS1_17partition_subalgoE3EjNS0_10empty_typeEbEEZZNS1_14partition_implILS8_3ELb0ES6_jNS0_17counting_iteratorIjlEEPS9_SE_NS0_5tupleIJPjSE_EEENSF_IJSE_SE_EEES9_SG_JZNS1_25segmented_radix_sort_implINS0_14default_configELb0EPKbPbPKlPlN2at6native12_GLOBAL__N_18offset_tEEE10hipError_tPvRmT1_PNSt15iterator_traitsISY_E10value_typeET2_T3_PNSZ_IS14_E10value_typeET4_jRbjT5_S1A_jjP12ihipStream_tbEUljE_EEESV_SW_SX_S14_S18_S1A_T6_T7_T9_mT8_S1C_bDpT10_ENKUlT_T0_E_clISt17integral_constantIbLb1EES1P_EEDaS1K_S1L_EUlS1K_E_NS1_11comp_targetILNS1_3genE8ELNS1_11target_archE1030ELNS1_3gpuE2ELNS1_3repE0EEENS1_30default_config_static_selectorELNS0_4arch9wavefront6targetE0EEEvSY_
    .private_segment_fixed_size: 0
    .sgpr_count:     0
    .sgpr_spill_count: 0
    .symbol:         _ZN7rocprim17ROCPRIM_400000_NS6detail17trampoline_kernelINS0_13select_configILj256ELj13ELNS0_17block_load_methodE3ELS4_3ELS4_3ELNS0_20block_scan_algorithmE0ELj4294967295EEENS1_25partition_config_selectorILNS1_17partition_subalgoE3EjNS0_10empty_typeEbEEZZNS1_14partition_implILS8_3ELb0ES6_jNS0_17counting_iteratorIjlEEPS9_SE_NS0_5tupleIJPjSE_EEENSF_IJSE_SE_EEES9_SG_JZNS1_25segmented_radix_sort_implINS0_14default_configELb0EPKbPbPKlPlN2at6native12_GLOBAL__N_18offset_tEEE10hipError_tPvRmT1_PNSt15iterator_traitsISY_E10value_typeET2_T3_PNSZ_IS14_E10value_typeET4_jRbjT5_S1A_jjP12ihipStream_tbEUljE_EEESV_SW_SX_S14_S18_S1A_T6_T7_T9_mT8_S1C_bDpT10_ENKUlT_T0_E_clISt17integral_constantIbLb1EES1P_EEDaS1K_S1L_EUlS1K_E_NS1_11comp_targetILNS1_3genE8ELNS1_11target_archE1030ELNS1_3gpuE2ELNS1_3repE0EEENS1_30default_config_static_selectorELNS0_4arch9wavefront6targetE0EEEvSY_.kd
    .uniform_work_group_size: 1
    .uses_dynamic_stack: false
    .vgpr_count:     0
    .vgpr_spill_count: 0
    .wavefront_size: 32
    .workgroup_processor_mode: 1
  - .args:
      - .offset:         0
        .size:           144
        .value_kind:     by_value
    .group_segment_fixed_size: 0
    .kernarg_segment_align: 8
    .kernarg_segment_size: 144
    .language:       OpenCL C
    .language_version:
      - 2
      - 0
    .max_flat_workgroup_size: 256
    .name:           _ZN7rocprim17ROCPRIM_400000_NS6detail17trampoline_kernelINS0_13select_configILj256ELj13ELNS0_17block_load_methodE3ELS4_3ELS4_3ELNS0_20block_scan_algorithmE0ELj4294967295EEENS1_25partition_config_selectorILNS1_17partition_subalgoE3EjNS0_10empty_typeEbEEZZNS1_14partition_implILS8_3ELb0ES6_jNS0_17counting_iteratorIjlEEPS9_SE_NS0_5tupleIJPjSE_EEENSF_IJSE_SE_EEES9_SG_JZNS1_25segmented_radix_sort_implINS0_14default_configELb0EPKbPbPKlPlN2at6native12_GLOBAL__N_18offset_tEEE10hipError_tPvRmT1_PNSt15iterator_traitsISY_E10value_typeET2_T3_PNSZ_IS14_E10value_typeET4_jRbjT5_S1A_jjP12ihipStream_tbEUljE_EEESV_SW_SX_S14_S18_S1A_T6_T7_T9_mT8_S1C_bDpT10_ENKUlT_T0_E_clISt17integral_constantIbLb1EES1O_IbLb0EEEEDaS1K_S1L_EUlS1K_E_NS1_11comp_targetILNS1_3genE0ELNS1_11target_archE4294967295ELNS1_3gpuE0ELNS1_3repE0EEENS1_30default_config_static_selectorELNS0_4arch9wavefront6targetE0EEEvSY_
    .private_segment_fixed_size: 0
    .sgpr_count:     0
    .sgpr_spill_count: 0
    .symbol:         _ZN7rocprim17ROCPRIM_400000_NS6detail17trampoline_kernelINS0_13select_configILj256ELj13ELNS0_17block_load_methodE3ELS4_3ELS4_3ELNS0_20block_scan_algorithmE0ELj4294967295EEENS1_25partition_config_selectorILNS1_17partition_subalgoE3EjNS0_10empty_typeEbEEZZNS1_14partition_implILS8_3ELb0ES6_jNS0_17counting_iteratorIjlEEPS9_SE_NS0_5tupleIJPjSE_EEENSF_IJSE_SE_EEES9_SG_JZNS1_25segmented_radix_sort_implINS0_14default_configELb0EPKbPbPKlPlN2at6native12_GLOBAL__N_18offset_tEEE10hipError_tPvRmT1_PNSt15iterator_traitsISY_E10value_typeET2_T3_PNSZ_IS14_E10value_typeET4_jRbjT5_S1A_jjP12ihipStream_tbEUljE_EEESV_SW_SX_S14_S18_S1A_T6_T7_T9_mT8_S1C_bDpT10_ENKUlT_T0_E_clISt17integral_constantIbLb1EES1O_IbLb0EEEEDaS1K_S1L_EUlS1K_E_NS1_11comp_targetILNS1_3genE0ELNS1_11target_archE4294967295ELNS1_3gpuE0ELNS1_3repE0EEENS1_30default_config_static_selectorELNS0_4arch9wavefront6targetE0EEEvSY_.kd
    .uniform_work_group_size: 1
    .uses_dynamic_stack: false
    .vgpr_count:     0
    .vgpr_spill_count: 0
    .wavefront_size: 32
    .workgroup_processor_mode: 1
  - .args:
      - .offset:         0
        .size:           144
        .value_kind:     by_value
    .group_segment_fixed_size: 0
    .kernarg_segment_align: 8
    .kernarg_segment_size: 144
    .language:       OpenCL C
    .language_version:
      - 2
      - 0
    .max_flat_workgroup_size: 256
    .name:           _ZN7rocprim17ROCPRIM_400000_NS6detail17trampoline_kernelINS0_13select_configILj256ELj13ELNS0_17block_load_methodE3ELS4_3ELS4_3ELNS0_20block_scan_algorithmE0ELj4294967295EEENS1_25partition_config_selectorILNS1_17partition_subalgoE3EjNS0_10empty_typeEbEEZZNS1_14partition_implILS8_3ELb0ES6_jNS0_17counting_iteratorIjlEEPS9_SE_NS0_5tupleIJPjSE_EEENSF_IJSE_SE_EEES9_SG_JZNS1_25segmented_radix_sort_implINS0_14default_configELb0EPKbPbPKlPlN2at6native12_GLOBAL__N_18offset_tEEE10hipError_tPvRmT1_PNSt15iterator_traitsISY_E10value_typeET2_T3_PNSZ_IS14_E10value_typeET4_jRbjT5_S1A_jjP12ihipStream_tbEUljE_EEESV_SW_SX_S14_S18_S1A_T6_T7_T9_mT8_S1C_bDpT10_ENKUlT_T0_E_clISt17integral_constantIbLb1EES1O_IbLb0EEEEDaS1K_S1L_EUlS1K_E_NS1_11comp_targetILNS1_3genE5ELNS1_11target_archE942ELNS1_3gpuE9ELNS1_3repE0EEENS1_30default_config_static_selectorELNS0_4arch9wavefront6targetE0EEEvSY_
    .private_segment_fixed_size: 0
    .sgpr_count:     0
    .sgpr_spill_count: 0
    .symbol:         _ZN7rocprim17ROCPRIM_400000_NS6detail17trampoline_kernelINS0_13select_configILj256ELj13ELNS0_17block_load_methodE3ELS4_3ELS4_3ELNS0_20block_scan_algorithmE0ELj4294967295EEENS1_25partition_config_selectorILNS1_17partition_subalgoE3EjNS0_10empty_typeEbEEZZNS1_14partition_implILS8_3ELb0ES6_jNS0_17counting_iteratorIjlEEPS9_SE_NS0_5tupleIJPjSE_EEENSF_IJSE_SE_EEES9_SG_JZNS1_25segmented_radix_sort_implINS0_14default_configELb0EPKbPbPKlPlN2at6native12_GLOBAL__N_18offset_tEEE10hipError_tPvRmT1_PNSt15iterator_traitsISY_E10value_typeET2_T3_PNSZ_IS14_E10value_typeET4_jRbjT5_S1A_jjP12ihipStream_tbEUljE_EEESV_SW_SX_S14_S18_S1A_T6_T7_T9_mT8_S1C_bDpT10_ENKUlT_T0_E_clISt17integral_constantIbLb1EES1O_IbLb0EEEEDaS1K_S1L_EUlS1K_E_NS1_11comp_targetILNS1_3genE5ELNS1_11target_archE942ELNS1_3gpuE9ELNS1_3repE0EEENS1_30default_config_static_selectorELNS0_4arch9wavefront6targetE0EEEvSY_.kd
    .uniform_work_group_size: 1
    .uses_dynamic_stack: false
    .vgpr_count:     0
    .vgpr_spill_count: 0
    .wavefront_size: 32
    .workgroup_processor_mode: 1
  - .args:
      - .offset:         0
        .size:           144
        .value_kind:     by_value
    .group_segment_fixed_size: 0
    .kernarg_segment_align: 8
    .kernarg_segment_size: 144
    .language:       OpenCL C
    .language_version:
      - 2
      - 0
    .max_flat_workgroup_size: 256
    .name:           _ZN7rocprim17ROCPRIM_400000_NS6detail17trampoline_kernelINS0_13select_configILj256ELj13ELNS0_17block_load_methodE3ELS4_3ELS4_3ELNS0_20block_scan_algorithmE0ELj4294967295EEENS1_25partition_config_selectorILNS1_17partition_subalgoE3EjNS0_10empty_typeEbEEZZNS1_14partition_implILS8_3ELb0ES6_jNS0_17counting_iteratorIjlEEPS9_SE_NS0_5tupleIJPjSE_EEENSF_IJSE_SE_EEES9_SG_JZNS1_25segmented_radix_sort_implINS0_14default_configELb0EPKbPbPKlPlN2at6native12_GLOBAL__N_18offset_tEEE10hipError_tPvRmT1_PNSt15iterator_traitsISY_E10value_typeET2_T3_PNSZ_IS14_E10value_typeET4_jRbjT5_S1A_jjP12ihipStream_tbEUljE_EEESV_SW_SX_S14_S18_S1A_T6_T7_T9_mT8_S1C_bDpT10_ENKUlT_T0_E_clISt17integral_constantIbLb1EES1O_IbLb0EEEEDaS1K_S1L_EUlS1K_E_NS1_11comp_targetILNS1_3genE4ELNS1_11target_archE910ELNS1_3gpuE8ELNS1_3repE0EEENS1_30default_config_static_selectorELNS0_4arch9wavefront6targetE0EEEvSY_
    .private_segment_fixed_size: 0
    .sgpr_count:     0
    .sgpr_spill_count: 0
    .symbol:         _ZN7rocprim17ROCPRIM_400000_NS6detail17trampoline_kernelINS0_13select_configILj256ELj13ELNS0_17block_load_methodE3ELS4_3ELS4_3ELNS0_20block_scan_algorithmE0ELj4294967295EEENS1_25partition_config_selectorILNS1_17partition_subalgoE3EjNS0_10empty_typeEbEEZZNS1_14partition_implILS8_3ELb0ES6_jNS0_17counting_iteratorIjlEEPS9_SE_NS0_5tupleIJPjSE_EEENSF_IJSE_SE_EEES9_SG_JZNS1_25segmented_radix_sort_implINS0_14default_configELb0EPKbPbPKlPlN2at6native12_GLOBAL__N_18offset_tEEE10hipError_tPvRmT1_PNSt15iterator_traitsISY_E10value_typeET2_T3_PNSZ_IS14_E10value_typeET4_jRbjT5_S1A_jjP12ihipStream_tbEUljE_EEESV_SW_SX_S14_S18_S1A_T6_T7_T9_mT8_S1C_bDpT10_ENKUlT_T0_E_clISt17integral_constantIbLb1EES1O_IbLb0EEEEDaS1K_S1L_EUlS1K_E_NS1_11comp_targetILNS1_3genE4ELNS1_11target_archE910ELNS1_3gpuE8ELNS1_3repE0EEENS1_30default_config_static_selectorELNS0_4arch9wavefront6targetE0EEEvSY_.kd
    .uniform_work_group_size: 1
    .uses_dynamic_stack: false
    .vgpr_count:     0
    .vgpr_spill_count: 0
    .wavefront_size: 32
    .workgroup_processor_mode: 1
  - .args:
      - .offset:         0
        .size:           144
        .value_kind:     by_value
    .group_segment_fixed_size: 0
    .kernarg_segment_align: 8
    .kernarg_segment_size: 144
    .language:       OpenCL C
    .language_version:
      - 2
      - 0
    .max_flat_workgroup_size: 256
    .name:           _ZN7rocprim17ROCPRIM_400000_NS6detail17trampoline_kernelINS0_13select_configILj256ELj13ELNS0_17block_load_methodE3ELS4_3ELS4_3ELNS0_20block_scan_algorithmE0ELj4294967295EEENS1_25partition_config_selectorILNS1_17partition_subalgoE3EjNS0_10empty_typeEbEEZZNS1_14partition_implILS8_3ELb0ES6_jNS0_17counting_iteratorIjlEEPS9_SE_NS0_5tupleIJPjSE_EEENSF_IJSE_SE_EEES9_SG_JZNS1_25segmented_radix_sort_implINS0_14default_configELb0EPKbPbPKlPlN2at6native12_GLOBAL__N_18offset_tEEE10hipError_tPvRmT1_PNSt15iterator_traitsISY_E10value_typeET2_T3_PNSZ_IS14_E10value_typeET4_jRbjT5_S1A_jjP12ihipStream_tbEUljE_EEESV_SW_SX_S14_S18_S1A_T6_T7_T9_mT8_S1C_bDpT10_ENKUlT_T0_E_clISt17integral_constantIbLb1EES1O_IbLb0EEEEDaS1K_S1L_EUlS1K_E_NS1_11comp_targetILNS1_3genE3ELNS1_11target_archE908ELNS1_3gpuE7ELNS1_3repE0EEENS1_30default_config_static_selectorELNS0_4arch9wavefront6targetE0EEEvSY_
    .private_segment_fixed_size: 0
    .sgpr_count:     0
    .sgpr_spill_count: 0
    .symbol:         _ZN7rocprim17ROCPRIM_400000_NS6detail17trampoline_kernelINS0_13select_configILj256ELj13ELNS0_17block_load_methodE3ELS4_3ELS4_3ELNS0_20block_scan_algorithmE0ELj4294967295EEENS1_25partition_config_selectorILNS1_17partition_subalgoE3EjNS0_10empty_typeEbEEZZNS1_14partition_implILS8_3ELb0ES6_jNS0_17counting_iteratorIjlEEPS9_SE_NS0_5tupleIJPjSE_EEENSF_IJSE_SE_EEES9_SG_JZNS1_25segmented_radix_sort_implINS0_14default_configELb0EPKbPbPKlPlN2at6native12_GLOBAL__N_18offset_tEEE10hipError_tPvRmT1_PNSt15iterator_traitsISY_E10value_typeET2_T3_PNSZ_IS14_E10value_typeET4_jRbjT5_S1A_jjP12ihipStream_tbEUljE_EEESV_SW_SX_S14_S18_S1A_T6_T7_T9_mT8_S1C_bDpT10_ENKUlT_T0_E_clISt17integral_constantIbLb1EES1O_IbLb0EEEEDaS1K_S1L_EUlS1K_E_NS1_11comp_targetILNS1_3genE3ELNS1_11target_archE908ELNS1_3gpuE7ELNS1_3repE0EEENS1_30default_config_static_selectorELNS0_4arch9wavefront6targetE0EEEvSY_.kd
    .uniform_work_group_size: 1
    .uses_dynamic_stack: false
    .vgpr_count:     0
    .vgpr_spill_count: 0
    .wavefront_size: 32
    .workgroup_processor_mode: 1
  - .args:
      - .offset:         0
        .size:           144
        .value_kind:     by_value
    .group_segment_fixed_size: 0
    .kernarg_segment_align: 8
    .kernarg_segment_size: 144
    .language:       OpenCL C
    .language_version:
      - 2
      - 0
    .max_flat_workgroup_size: 256
    .name:           _ZN7rocprim17ROCPRIM_400000_NS6detail17trampoline_kernelINS0_13select_configILj256ELj13ELNS0_17block_load_methodE3ELS4_3ELS4_3ELNS0_20block_scan_algorithmE0ELj4294967295EEENS1_25partition_config_selectorILNS1_17partition_subalgoE3EjNS0_10empty_typeEbEEZZNS1_14partition_implILS8_3ELb0ES6_jNS0_17counting_iteratorIjlEEPS9_SE_NS0_5tupleIJPjSE_EEENSF_IJSE_SE_EEES9_SG_JZNS1_25segmented_radix_sort_implINS0_14default_configELb0EPKbPbPKlPlN2at6native12_GLOBAL__N_18offset_tEEE10hipError_tPvRmT1_PNSt15iterator_traitsISY_E10value_typeET2_T3_PNSZ_IS14_E10value_typeET4_jRbjT5_S1A_jjP12ihipStream_tbEUljE_EEESV_SW_SX_S14_S18_S1A_T6_T7_T9_mT8_S1C_bDpT10_ENKUlT_T0_E_clISt17integral_constantIbLb1EES1O_IbLb0EEEEDaS1K_S1L_EUlS1K_E_NS1_11comp_targetILNS1_3genE2ELNS1_11target_archE906ELNS1_3gpuE6ELNS1_3repE0EEENS1_30default_config_static_selectorELNS0_4arch9wavefront6targetE0EEEvSY_
    .private_segment_fixed_size: 0
    .sgpr_count:     0
    .sgpr_spill_count: 0
    .symbol:         _ZN7rocprim17ROCPRIM_400000_NS6detail17trampoline_kernelINS0_13select_configILj256ELj13ELNS0_17block_load_methodE3ELS4_3ELS4_3ELNS0_20block_scan_algorithmE0ELj4294967295EEENS1_25partition_config_selectorILNS1_17partition_subalgoE3EjNS0_10empty_typeEbEEZZNS1_14partition_implILS8_3ELb0ES6_jNS0_17counting_iteratorIjlEEPS9_SE_NS0_5tupleIJPjSE_EEENSF_IJSE_SE_EEES9_SG_JZNS1_25segmented_radix_sort_implINS0_14default_configELb0EPKbPbPKlPlN2at6native12_GLOBAL__N_18offset_tEEE10hipError_tPvRmT1_PNSt15iterator_traitsISY_E10value_typeET2_T3_PNSZ_IS14_E10value_typeET4_jRbjT5_S1A_jjP12ihipStream_tbEUljE_EEESV_SW_SX_S14_S18_S1A_T6_T7_T9_mT8_S1C_bDpT10_ENKUlT_T0_E_clISt17integral_constantIbLb1EES1O_IbLb0EEEEDaS1K_S1L_EUlS1K_E_NS1_11comp_targetILNS1_3genE2ELNS1_11target_archE906ELNS1_3gpuE6ELNS1_3repE0EEENS1_30default_config_static_selectorELNS0_4arch9wavefront6targetE0EEEvSY_.kd
    .uniform_work_group_size: 1
    .uses_dynamic_stack: false
    .vgpr_count:     0
    .vgpr_spill_count: 0
    .wavefront_size: 32
    .workgroup_processor_mode: 1
  - .args:
      - .offset:         0
        .size:           144
        .value_kind:     by_value
    .group_segment_fixed_size: 0
    .kernarg_segment_align: 8
    .kernarg_segment_size: 144
    .language:       OpenCL C
    .language_version:
      - 2
      - 0
    .max_flat_workgroup_size: 256
    .name:           _ZN7rocprim17ROCPRIM_400000_NS6detail17trampoline_kernelINS0_13select_configILj256ELj13ELNS0_17block_load_methodE3ELS4_3ELS4_3ELNS0_20block_scan_algorithmE0ELj4294967295EEENS1_25partition_config_selectorILNS1_17partition_subalgoE3EjNS0_10empty_typeEbEEZZNS1_14partition_implILS8_3ELb0ES6_jNS0_17counting_iteratorIjlEEPS9_SE_NS0_5tupleIJPjSE_EEENSF_IJSE_SE_EEES9_SG_JZNS1_25segmented_radix_sort_implINS0_14default_configELb0EPKbPbPKlPlN2at6native12_GLOBAL__N_18offset_tEEE10hipError_tPvRmT1_PNSt15iterator_traitsISY_E10value_typeET2_T3_PNSZ_IS14_E10value_typeET4_jRbjT5_S1A_jjP12ihipStream_tbEUljE_EEESV_SW_SX_S14_S18_S1A_T6_T7_T9_mT8_S1C_bDpT10_ENKUlT_T0_E_clISt17integral_constantIbLb1EES1O_IbLb0EEEEDaS1K_S1L_EUlS1K_E_NS1_11comp_targetILNS1_3genE10ELNS1_11target_archE1200ELNS1_3gpuE4ELNS1_3repE0EEENS1_30default_config_static_selectorELNS0_4arch9wavefront6targetE0EEEvSY_
    .private_segment_fixed_size: 0
    .sgpr_count:     0
    .sgpr_spill_count: 0
    .symbol:         _ZN7rocprim17ROCPRIM_400000_NS6detail17trampoline_kernelINS0_13select_configILj256ELj13ELNS0_17block_load_methodE3ELS4_3ELS4_3ELNS0_20block_scan_algorithmE0ELj4294967295EEENS1_25partition_config_selectorILNS1_17partition_subalgoE3EjNS0_10empty_typeEbEEZZNS1_14partition_implILS8_3ELb0ES6_jNS0_17counting_iteratorIjlEEPS9_SE_NS0_5tupleIJPjSE_EEENSF_IJSE_SE_EEES9_SG_JZNS1_25segmented_radix_sort_implINS0_14default_configELb0EPKbPbPKlPlN2at6native12_GLOBAL__N_18offset_tEEE10hipError_tPvRmT1_PNSt15iterator_traitsISY_E10value_typeET2_T3_PNSZ_IS14_E10value_typeET4_jRbjT5_S1A_jjP12ihipStream_tbEUljE_EEESV_SW_SX_S14_S18_S1A_T6_T7_T9_mT8_S1C_bDpT10_ENKUlT_T0_E_clISt17integral_constantIbLb1EES1O_IbLb0EEEEDaS1K_S1L_EUlS1K_E_NS1_11comp_targetILNS1_3genE10ELNS1_11target_archE1200ELNS1_3gpuE4ELNS1_3repE0EEENS1_30default_config_static_selectorELNS0_4arch9wavefront6targetE0EEEvSY_.kd
    .uniform_work_group_size: 1
    .uses_dynamic_stack: false
    .vgpr_count:     0
    .vgpr_spill_count: 0
    .wavefront_size: 32
    .workgroup_processor_mode: 1
  - .args:
      - .offset:         0
        .size:           144
        .value_kind:     by_value
    .group_segment_fixed_size: 0
    .kernarg_segment_align: 8
    .kernarg_segment_size: 144
    .language:       OpenCL C
    .language_version:
      - 2
      - 0
    .max_flat_workgroup_size: 256
    .name:           _ZN7rocprim17ROCPRIM_400000_NS6detail17trampoline_kernelINS0_13select_configILj256ELj13ELNS0_17block_load_methodE3ELS4_3ELS4_3ELNS0_20block_scan_algorithmE0ELj4294967295EEENS1_25partition_config_selectorILNS1_17partition_subalgoE3EjNS0_10empty_typeEbEEZZNS1_14partition_implILS8_3ELb0ES6_jNS0_17counting_iteratorIjlEEPS9_SE_NS0_5tupleIJPjSE_EEENSF_IJSE_SE_EEES9_SG_JZNS1_25segmented_radix_sort_implINS0_14default_configELb0EPKbPbPKlPlN2at6native12_GLOBAL__N_18offset_tEEE10hipError_tPvRmT1_PNSt15iterator_traitsISY_E10value_typeET2_T3_PNSZ_IS14_E10value_typeET4_jRbjT5_S1A_jjP12ihipStream_tbEUljE_EEESV_SW_SX_S14_S18_S1A_T6_T7_T9_mT8_S1C_bDpT10_ENKUlT_T0_E_clISt17integral_constantIbLb1EES1O_IbLb0EEEEDaS1K_S1L_EUlS1K_E_NS1_11comp_targetILNS1_3genE9ELNS1_11target_archE1100ELNS1_3gpuE3ELNS1_3repE0EEENS1_30default_config_static_selectorELNS0_4arch9wavefront6targetE0EEEvSY_
    .private_segment_fixed_size: 0
    .sgpr_count:     0
    .sgpr_spill_count: 0
    .symbol:         _ZN7rocprim17ROCPRIM_400000_NS6detail17trampoline_kernelINS0_13select_configILj256ELj13ELNS0_17block_load_methodE3ELS4_3ELS4_3ELNS0_20block_scan_algorithmE0ELj4294967295EEENS1_25partition_config_selectorILNS1_17partition_subalgoE3EjNS0_10empty_typeEbEEZZNS1_14partition_implILS8_3ELb0ES6_jNS0_17counting_iteratorIjlEEPS9_SE_NS0_5tupleIJPjSE_EEENSF_IJSE_SE_EEES9_SG_JZNS1_25segmented_radix_sort_implINS0_14default_configELb0EPKbPbPKlPlN2at6native12_GLOBAL__N_18offset_tEEE10hipError_tPvRmT1_PNSt15iterator_traitsISY_E10value_typeET2_T3_PNSZ_IS14_E10value_typeET4_jRbjT5_S1A_jjP12ihipStream_tbEUljE_EEESV_SW_SX_S14_S18_S1A_T6_T7_T9_mT8_S1C_bDpT10_ENKUlT_T0_E_clISt17integral_constantIbLb1EES1O_IbLb0EEEEDaS1K_S1L_EUlS1K_E_NS1_11comp_targetILNS1_3genE9ELNS1_11target_archE1100ELNS1_3gpuE3ELNS1_3repE0EEENS1_30default_config_static_selectorELNS0_4arch9wavefront6targetE0EEEvSY_.kd
    .uniform_work_group_size: 1
    .uses_dynamic_stack: false
    .vgpr_count:     0
    .vgpr_spill_count: 0
    .wavefront_size: 32
    .workgroup_processor_mode: 1
  - .args:
      - .offset:         0
        .size:           144
        .value_kind:     by_value
    .group_segment_fixed_size: 0
    .kernarg_segment_align: 8
    .kernarg_segment_size: 144
    .language:       OpenCL C
    .language_version:
      - 2
      - 0
    .max_flat_workgroup_size: 256
    .name:           _ZN7rocprim17ROCPRIM_400000_NS6detail17trampoline_kernelINS0_13select_configILj256ELj13ELNS0_17block_load_methodE3ELS4_3ELS4_3ELNS0_20block_scan_algorithmE0ELj4294967295EEENS1_25partition_config_selectorILNS1_17partition_subalgoE3EjNS0_10empty_typeEbEEZZNS1_14partition_implILS8_3ELb0ES6_jNS0_17counting_iteratorIjlEEPS9_SE_NS0_5tupleIJPjSE_EEENSF_IJSE_SE_EEES9_SG_JZNS1_25segmented_radix_sort_implINS0_14default_configELb0EPKbPbPKlPlN2at6native12_GLOBAL__N_18offset_tEEE10hipError_tPvRmT1_PNSt15iterator_traitsISY_E10value_typeET2_T3_PNSZ_IS14_E10value_typeET4_jRbjT5_S1A_jjP12ihipStream_tbEUljE_EEESV_SW_SX_S14_S18_S1A_T6_T7_T9_mT8_S1C_bDpT10_ENKUlT_T0_E_clISt17integral_constantIbLb1EES1O_IbLb0EEEEDaS1K_S1L_EUlS1K_E_NS1_11comp_targetILNS1_3genE8ELNS1_11target_archE1030ELNS1_3gpuE2ELNS1_3repE0EEENS1_30default_config_static_selectorELNS0_4arch9wavefront6targetE0EEEvSY_
    .private_segment_fixed_size: 0
    .sgpr_count:     0
    .sgpr_spill_count: 0
    .symbol:         _ZN7rocprim17ROCPRIM_400000_NS6detail17trampoline_kernelINS0_13select_configILj256ELj13ELNS0_17block_load_methodE3ELS4_3ELS4_3ELNS0_20block_scan_algorithmE0ELj4294967295EEENS1_25partition_config_selectorILNS1_17partition_subalgoE3EjNS0_10empty_typeEbEEZZNS1_14partition_implILS8_3ELb0ES6_jNS0_17counting_iteratorIjlEEPS9_SE_NS0_5tupleIJPjSE_EEENSF_IJSE_SE_EEES9_SG_JZNS1_25segmented_radix_sort_implINS0_14default_configELb0EPKbPbPKlPlN2at6native12_GLOBAL__N_18offset_tEEE10hipError_tPvRmT1_PNSt15iterator_traitsISY_E10value_typeET2_T3_PNSZ_IS14_E10value_typeET4_jRbjT5_S1A_jjP12ihipStream_tbEUljE_EEESV_SW_SX_S14_S18_S1A_T6_T7_T9_mT8_S1C_bDpT10_ENKUlT_T0_E_clISt17integral_constantIbLb1EES1O_IbLb0EEEEDaS1K_S1L_EUlS1K_E_NS1_11comp_targetILNS1_3genE8ELNS1_11target_archE1030ELNS1_3gpuE2ELNS1_3repE0EEENS1_30default_config_static_selectorELNS0_4arch9wavefront6targetE0EEEvSY_.kd
    .uniform_work_group_size: 1
    .uses_dynamic_stack: false
    .vgpr_count:     0
    .vgpr_spill_count: 0
    .wavefront_size: 32
    .workgroup_processor_mode: 1
  - .args:
      - .offset:         0
        .size:           152
        .value_kind:     by_value
    .group_segment_fixed_size: 0
    .kernarg_segment_align: 8
    .kernarg_segment_size: 152
    .language:       OpenCL C
    .language_version:
      - 2
      - 0
    .max_flat_workgroup_size: 256
    .name:           _ZN7rocprim17ROCPRIM_400000_NS6detail17trampoline_kernelINS0_13select_configILj256ELj13ELNS0_17block_load_methodE3ELS4_3ELS4_3ELNS0_20block_scan_algorithmE0ELj4294967295EEENS1_25partition_config_selectorILNS1_17partition_subalgoE3EjNS0_10empty_typeEbEEZZNS1_14partition_implILS8_3ELb0ES6_jNS0_17counting_iteratorIjlEEPS9_SE_NS0_5tupleIJPjSE_EEENSF_IJSE_SE_EEES9_SG_JZNS1_25segmented_radix_sort_implINS0_14default_configELb0EPKbPbPKlPlN2at6native12_GLOBAL__N_18offset_tEEE10hipError_tPvRmT1_PNSt15iterator_traitsISY_E10value_typeET2_T3_PNSZ_IS14_E10value_typeET4_jRbjT5_S1A_jjP12ihipStream_tbEUljE_EEESV_SW_SX_S14_S18_S1A_T6_T7_T9_mT8_S1C_bDpT10_ENKUlT_T0_E_clISt17integral_constantIbLb0EES1O_IbLb1EEEEDaS1K_S1L_EUlS1K_E_NS1_11comp_targetILNS1_3genE0ELNS1_11target_archE4294967295ELNS1_3gpuE0ELNS1_3repE0EEENS1_30default_config_static_selectorELNS0_4arch9wavefront6targetE0EEEvSY_
    .private_segment_fixed_size: 0
    .sgpr_count:     0
    .sgpr_spill_count: 0
    .symbol:         _ZN7rocprim17ROCPRIM_400000_NS6detail17trampoline_kernelINS0_13select_configILj256ELj13ELNS0_17block_load_methodE3ELS4_3ELS4_3ELNS0_20block_scan_algorithmE0ELj4294967295EEENS1_25partition_config_selectorILNS1_17partition_subalgoE3EjNS0_10empty_typeEbEEZZNS1_14partition_implILS8_3ELb0ES6_jNS0_17counting_iteratorIjlEEPS9_SE_NS0_5tupleIJPjSE_EEENSF_IJSE_SE_EEES9_SG_JZNS1_25segmented_radix_sort_implINS0_14default_configELb0EPKbPbPKlPlN2at6native12_GLOBAL__N_18offset_tEEE10hipError_tPvRmT1_PNSt15iterator_traitsISY_E10value_typeET2_T3_PNSZ_IS14_E10value_typeET4_jRbjT5_S1A_jjP12ihipStream_tbEUljE_EEESV_SW_SX_S14_S18_S1A_T6_T7_T9_mT8_S1C_bDpT10_ENKUlT_T0_E_clISt17integral_constantIbLb0EES1O_IbLb1EEEEDaS1K_S1L_EUlS1K_E_NS1_11comp_targetILNS1_3genE0ELNS1_11target_archE4294967295ELNS1_3gpuE0ELNS1_3repE0EEENS1_30default_config_static_selectorELNS0_4arch9wavefront6targetE0EEEvSY_.kd
    .uniform_work_group_size: 1
    .uses_dynamic_stack: false
    .vgpr_count:     0
    .vgpr_spill_count: 0
    .wavefront_size: 32
    .workgroup_processor_mode: 1
  - .args:
      - .offset:         0
        .size:           152
        .value_kind:     by_value
    .group_segment_fixed_size: 0
    .kernarg_segment_align: 8
    .kernarg_segment_size: 152
    .language:       OpenCL C
    .language_version:
      - 2
      - 0
    .max_flat_workgroup_size: 256
    .name:           _ZN7rocprim17ROCPRIM_400000_NS6detail17trampoline_kernelINS0_13select_configILj256ELj13ELNS0_17block_load_methodE3ELS4_3ELS4_3ELNS0_20block_scan_algorithmE0ELj4294967295EEENS1_25partition_config_selectorILNS1_17partition_subalgoE3EjNS0_10empty_typeEbEEZZNS1_14partition_implILS8_3ELb0ES6_jNS0_17counting_iteratorIjlEEPS9_SE_NS0_5tupleIJPjSE_EEENSF_IJSE_SE_EEES9_SG_JZNS1_25segmented_radix_sort_implINS0_14default_configELb0EPKbPbPKlPlN2at6native12_GLOBAL__N_18offset_tEEE10hipError_tPvRmT1_PNSt15iterator_traitsISY_E10value_typeET2_T3_PNSZ_IS14_E10value_typeET4_jRbjT5_S1A_jjP12ihipStream_tbEUljE_EEESV_SW_SX_S14_S18_S1A_T6_T7_T9_mT8_S1C_bDpT10_ENKUlT_T0_E_clISt17integral_constantIbLb0EES1O_IbLb1EEEEDaS1K_S1L_EUlS1K_E_NS1_11comp_targetILNS1_3genE5ELNS1_11target_archE942ELNS1_3gpuE9ELNS1_3repE0EEENS1_30default_config_static_selectorELNS0_4arch9wavefront6targetE0EEEvSY_
    .private_segment_fixed_size: 0
    .sgpr_count:     0
    .sgpr_spill_count: 0
    .symbol:         _ZN7rocprim17ROCPRIM_400000_NS6detail17trampoline_kernelINS0_13select_configILj256ELj13ELNS0_17block_load_methodE3ELS4_3ELS4_3ELNS0_20block_scan_algorithmE0ELj4294967295EEENS1_25partition_config_selectorILNS1_17partition_subalgoE3EjNS0_10empty_typeEbEEZZNS1_14partition_implILS8_3ELb0ES6_jNS0_17counting_iteratorIjlEEPS9_SE_NS0_5tupleIJPjSE_EEENSF_IJSE_SE_EEES9_SG_JZNS1_25segmented_radix_sort_implINS0_14default_configELb0EPKbPbPKlPlN2at6native12_GLOBAL__N_18offset_tEEE10hipError_tPvRmT1_PNSt15iterator_traitsISY_E10value_typeET2_T3_PNSZ_IS14_E10value_typeET4_jRbjT5_S1A_jjP12ihipStream_tbEUljE_EEESV_SW_SX_S14_S18_S1A_T6_T7_T9_mT8_S1C_bDpT10_ENKUlT_T0_E_clISt17integral_constantIbLb0EES1O_IbLb1EEEEDaS1K_S1L_EUlS1K_E_NS1_11comp_targetILNS1_3genE5ELNS1_11target_archE942ELNS1_3gpuE9ELNS1_3repE0EEENS1_30default_config_static_selectorELNS0_4arch9wavefront6targetE0EEEvSY_.kd
    .uniform_work_group_size: 1
    .uses_dynamic_stack: false
    .vgpr_count:     0
    .vgpr_spill_count: 0
    .wavefront_size: 32
    .workgroup_processor_mode: 1
  - .args:
      - .offset:         0
        .size:           152
        .value_kind:     by_value
    .group_segment_fixed_size: 0
    .kernarg_segment_align: 8
    .kernarg_segment_size: 152
    .language:       OpenCL C
    .language_version:
      - 2
      - 0
    .max_flat_workgroup_size: 256
    .name:           _ZN7rocprim17ROCPRIM_400000_NS6detail17trampoline_kernelINS0_13select_configILj256ELj13ELNS0_17block_load_methodE3ELS4_3ELS4_3ELNS0_20block_scan_algorithmE0ELj4294967295EEENS1_25partition_config_selectorILNS1_17partition_subalgoE3EjNS0_10empty_typeEbEEZZNS1_14partition_implILS8_3ELb0ES6_jNS0_17counting_iteratorIjlEEPS9_SE_NS0_5tupleIJPjSE_EEENSF_IJSE_SE_EEES9_SG_JZNS1_25segmented_radix_sort_implINS0_14default_configELb0EPKbPbPKlPlN2at6native12_GLOBAL__N_18offset_tEEE10hipError_tPvRmT1_PNSt15iterator_traitsISY_E10value_typeET2_T3_PNSZ_IS14_E10value_typeET4_jRbjT5_S1A_jjP12ihipStream_tbEUljE_EEESV_SW_SX_S14_S18_S1A_T6_T7_T9_mT8_S1C_bDpT10_ENKUlT_T0_E_clISt17integral_constantIbLb0EES1O_IbLb1EEEEDaS1K_S1L_EUlS1K_E_NS1_11comp_targetILNS1_3genE4ELNS1_11target_archE910ELNS1_3gpuE8ELNS1_3repE0EEENS1_30default_config_static_selectorELNS0_4arch9wavefront6targetE0EEEvSY_
    .private_segment_fixed_size: 0
    .sgpr_count:     0
    .sgpr_spill_count: 0
    .symbol:         _ZN7rocprim17ROCPRIM_400000_NS6detail17trampoline_kernelINS0_13select_configILj256ELj13ELNS0_17block_load_methodE3ELS4_3ELS4_3ELNS0_20block_scan_algorithmE0ELj4294967295EEENS1_25partition_config_selectorILNS1_17partition_subalgoE3EjNS0_10empty_typeEbEEZZNS1_14partition_implILS8_3ELb0ES6_jNS0_17counting_iteratorIjlEEPS9_SE_NS0_5tupleIJPjSE_EEENSF_IJSE_SE_EEES9_SG_JZNS1_25segmented_radix_sort_implINS0_14default_configELb0EPKbPbPKlPlN2at6native12_GLOBAL__N_18offset_tEEE10hipError_tPvRmT1_PNSt15iterator_traitsISY_E10value_typeET2_T3_PNSZ_IS14_E10value_typeET4_jRbjT5_S1A_jjP12ihipStream_tbEUljE_EEESV_SW_SX_S14_S18_S1A_T6_T7_T9_mT8_S1C_bDpT10_ENKUlT_T0_E_clISt17integral_constantIbLb0EES1O_IbLb1EEEEDaS1K_S1L_EUlS1K_E_NS1_11comp_targetILNS1_3genE4ELNS1_11target_archE910ELNS1_3gpuE8ELNS1_3repE0EEENS1_30default_config_static_selectorELNS0_4arch9wavefront6targetE0EEEvSY_.kd
    .uniform_work_group_size: 1
    .uses_dynamic_stack: false
    .vgpr_count:     0
    .vgpr_spill_count: 0
    .wavefront_size: 32
    .workgroup_processor_mode: 1
  - .args:
      - .offset:         0
        .size:           152
        .value_kind:     by_value
    .group_segment_fixed_size: 0
    .kernarg_segment_align: 8
    .kernarg_segment_size: 152
    .language:       OpenCL C
    .language_version:
      - 2
      - 0
    .max_flat_workgroup_size: 256
    .name:           _ZN7rocprim17ROCPRIM_400000_NS6detail17trampoline_kernelINS0_13select_configILj256ELj13ELNS0_17block_load_methodE3ELS4_3ELS4_3ELNS0_20block_scan_algorithmE0ELj4294967295EEENS1_25partition_config_selectorILNS1_17partition_subalgoE3EjNS0_10empty_typeEbEEZZNS1_14partition_implILS8_3ELb0ES6_jNS0_17counting_iteratorIjlEEPS9_SE_NS0_5tupleIJPjSE_EEENSF_IJSE_SE_EEES9_SG_JZNS1_25segmented_radix_sort_implINS0_14default_configELb0EPKbPbPKlPlN2at6native12_GLOBAL__N_18offset_tEEE10hipError_tPvRmT1_PNSt15iterator_traitsISY_E10value_typeET2_T3_PNSZ_IS14_E10value_typeET4_jRbjT5_S1A_jjP12ihipStream_tbEUljE_EEESV_SW_SX_S14_S18_S1A_T6_T7_T9_mT8_S1C_bDpT10_ENKUlT_T0_E_clISt17integral_constantIbLb0EES1O_IbLb1EEEEDaS1K_S1L_EUlS1K_E_NS1_11comp_targetILNS1_3genE3ELNS1_11target_archE908ELNS1_3gpuE7ELNS1_3repE0EEENS1_30default_config_static_selectorELNS0_4arch9wavefront6targetE0EEEvSY_
    .private_segment_fixed_size: 0
    .sgpr_count:     0
    .sgpr_spill_count: 0
    .symbol:         _ZN7rocprim17ROCPRIM_400000_NS6detail17trampoline_kernelINS0_13select_configILj256ELj13ELNS0_17block_load_methodE3ELS4_3ELS4_3ELNS0_20block_scan_algorithmE0ELj4294967295EEENS1_25partition_config_selectorILNS1_17partition_subalgoE3EjNS0_10empty_typeEbEEZZNS1_14partition_implILS8_3ELb0ES6_jNS0_17counting_iteratorIjlEEPS9_SE_NS0_5tupleIJPjSE_EEENSF_IJSE_SE_EEES9_SG_JZNS1_25segmented_radix_sort_implINS0_14default_configELb0EPKbPbPKlPlN2at6native12_GLOBAL__N_18offset_tEEE10hipError_tPvRmT1_PNSt15iterator_traitsISY_E10value_typeET2_T3_PNSZ_IS14_E10value_typeET4_jRbjT5_S1A_jjP12ihipStream_tbEUljE_EEESV_SW_SX_S14_S18_S1A_T6_T7_T9_mT8_S1C_bDpT10_ENKUlT_T0_E_clISt17integral_constantIbLb0EES1O_IbLb1EEEEDaS1K_S1L_EUlS1K_E_NS1_11comp_targetILNS1_3genE3ELNS1_11target_archE908ELNS1_3gpuE7ELNS1_3repE0EEENS1_30default_config_static_selectorELNS0_4arch9wavefront6targetE0EEEvSY_.kd
    .uniform_work_group_size: 1
    .uses_dynamic_stack: false
    .vgpr_count:     0
    .vgpr_spill_count: 0
    .wavefront_size: 32
    .workgroup_processor_mode: 1
  - .args:
      - .offset:         0
        .size:           152
        .value_kind:     by_value
    .group_segment_fixed_size: 0
    .kernarg_segment_align: 8
    .kernarg_segment_size: 152
    .language:       OpenCL C
    .language_version:
      - 2
      - 0
    .max_flat_workgroup_size: 256
    .name:           _ZN7rocprim17ROCPRIM_400000_NS6detail17trampoline_kernelINS0_13select_configILj256ELj13ELNS0_17block_load_methodE3ELS4_3ELS4_3ELNS0_20block_scan_algorithmE0ELj4294967295EEENS1_25partition_config_selectorILNS1_17partition_subalgoE3EjNS0_10empty_typeEbEEZZNS1_14partition_implILS8_3ELb0ES6_jNS0_17counting_iteratorIjlEEPS9_SE_NS0_5tupleIJPjSE_EEENSF_IJSE_SE_EEES9_SG_JZNS1_25segmented_radix_sort_implINS0_14default_configELb0EPKbPbPKlPlN2at6native12_GLOBAL__N_18offset_tEEE10hipError_tPvRmT1_PNSt15iterator_traitsISY_E10value_typeET2_T3_PNSZ_IS14_E10value_typeET4_jRbjT5_S1A_jjP12ihipStream_tbEUljE_EEESV_SW_SX_S14_S18_S1A_T6_T7_T9_mT8_S1C_bDpT10_ENKUlT_T0_E_clISt17integral_constantIbLb0EES1O_IbLb1EEEEDaS1K_S1L_EUlS1K_E_NS1_11comp_targetILNS1_3genE2ELNS1_11target_archE906ELNS1_3gpuE6ELNS1_3repE0EEENS1_30default_config_static_selectorELNS0_4arch9wavefront6targetE0EEEvSY_
    .private_segment_fixed_size: 0
    .sgpr_count:     0
    .sgpr_spill_count: 0
    .symbol:         _ZN7rocprim17ROCPRIM_400000_NS6detail17trampoline_kernelINS0_13select_configILj256ELj13ELNS0_17block_load_methodE3ELS4_3ELS4_3ELNS0_20block_scan_algorithmE0ELj4294967295EEENS1_25partition_config_selectorILNS1_17partition_subalgoE3EjNS0_10empty_typeEbEEZZNS1_14partition_implILS8_3ELb0ES6_jNS0_17counting_iteratorIjlEEPS9_SE_NS0_5tupleIJPjSE_EEENSF_IJSE_SE_EEES9_SG_JZNS1_25segmented_radix_sort_implINS0_14default_configELb0EPKbPbPKlPlN2at6native12_GLOBAL__N_18offset_tEEE10hipError_tPvRmT1_PNSt15iterator_traitsISY_E10value_typeET2_T3_PNSZ_IS14_E10value_typeET4_jRbjT5_S1A_jjP12ihipStream_tbEUljE_EEESV_SW_SX_S14_S18_S1A_T6_T7_T9_mT8_S1C_bDpT10_ENKUlT_T0_E_clISt17integral_constantIbLb0EES1O_IbLb1EEEEDaS1K_S1L_EUlS1K_E_NS1_11comp_targetILNS1_3genE2ELNS1_11target_archE906ELNS1_3gpuE6ELNS1_3repE0EEENS1_30default_config_static_selectorELNS0_4arch9wavefront6targetE0EEEvSY_.kd
    .uniform_work_group_size: 1
    .uses_dynamic_stack: false
    .vgpr_count:     0
    .vgpr_spill_count: 0
    .wavefront_size: 32
    .workgroup_processor_mode: 1
  - .args:
      - .offset:         0
        .size:           152
        .value_kind:     by_value
    .group_segment_fixed_size: 0
    .kernarg_segment_align: 8
    .kernarg_segment_size: 152
    .language:       OpenCL C
    .language_version:
      - 2
      - 0
    .max_flat_workgroup_size: 256
    .name:           _ZN7rocprim17ROCPRIM_400000_NS6detail17trampoline_kernelINS0_13select_configILj256ELj13ELNS0_17block_load_methodE3ELS4_3ELS4_3ELNS0_20block_scan_algorithmE0ELj4294967295EEENS1_25partition_config_selectorILNS1_17partition_subalgoE3EjNS0_10empty_typeEbEEZZNS1_14partition_implILS8_3ELb0ES6_jNS0_17counting_iteratorIjlEEPS9_SE_NS0_5tupleIJPjSE_EEENSF_IJSE_SE_EEES9_SG_JZNS1_25segmented_radix_sort_implINS0_14default_configELb0EPKbPbPKlPlN2at6native12_GLOBAL__N_18offset_tEEE10hipError_tPvRmT1_PNSt15iterator_traitsISY_E10value_typeET2_T3_PNSZ_IS14_E10value_typeET4_jRbjT5_S1A_jjP12ihipStream_tbEUljE_EEESV_SW_SX_S14_S18_S1A_T6_T7_T9_mT8_S1C_bDpT10_ENKUlT_T0_E_clISt17integral_constantIbLb0EES1O_IbLb1EEEEDaS1K_S1L_EUlS1K_E_NS1_11comp_targetILNS1_3genE10ELNS1_11target_archE1200ELNS1_3gpuE4ELNS1_3repE0EEENS1_30default_config_static_selectorELNS0_4arch9wavefront6targetE0EEEvSY_
    .private_segment_fixed_size: 0
    .sgpr_count:     0
    .sgpr_spill_count: 0
    .symbol:         _ZN7rocprim17ROCPRIM_400000_NS6detail17trampoline_kernelINS0_13select_configILj256ELj13ELNS0_17block_load_methodE3ELS4_3ELS4_3ELNS0_20block_scan_algorithmE0ELj4294967295EEENS1_25partition_config_selectorILNS1_17partition_subalgoE3EjNS0_10empty_typeEbEEZZNS1_14partition_implILS8_3ELb0ES6_jNS0_17counting_iteratorIjlEEPS9_SE_NS0_5tupleIJPjSE_EEENSF_IJSE_SE_EEES9_SG_JZNS1_25segmented_radix_sort_implINS0_14default_configELb0EPKbPbPKlPlN2at6native12_GLOBAL__N_18offset_tEEE10hipError_tPvRmT1_PNSt15iterator_traitsISY_E10value_typeET2_T3_PNSZ_IS14_E10value_typeET4_jRbjT5_S1A_jjP12ihipStream_tbEUljE_EEESV_SW_SX_S14_S18_S1A_T6_T7_T9_mT8_S1C_bDpT10_ENKUlT_T0_E_clISt17integral_constantIbLb0EES1O_IbLb1EEEEDaS1K_S1L_EUlS1K_E_NS1_11comp_targetILNS1_3genE10ELNS1_11target_archE1200ELNS1_3gpuE4ELNS1_3repE0EEENS1_30default_config_static_selectorELNS0_4arch9wavefront6targetE0EEEvSY_.kd
    .uniform_work_group_size: 1
    .uses_dynamic_stack: false
    .vgpr_count:     0
    .vgpr_spill_count: 0
    .wavefront_size: 32
    .workgroup_processor_mode: 1
  - .args:
      - .offset:         0
        .size:           152
        .value_kind:     by_value
    .group_segment_fixed_size: 0
    .kernarg_segment_align: 8
    .kernarg_segment_size: 152
    .language:       OpenCL C
    .language_version:
      - 2
      - 0
    .max_flat_workgroup_size: 256
    .name:           _ZN7rocprim17ROCPRIM_400000_NS6detail17trampoline_kernelINS0_13select_configILj256ELj13ELNS0_17block_load_methodE3ELS4_3ELS4_3ELNS0_20block_scan_algorithmE0ELj4294967295EEENS1_25partition_config_selectorILNS1_17partition_subalgoE3EjNS0_10empty_typeEbEEZZNS1_14partition_implILS8_3ELb0ES6_jNS0_17counting_iteratorIjlEEPS9_SE_NS0_5tupleIJPjSE_EEENSF_IJSE_SE_EEES9_SG_JZNS1_25segmented_radix_sort_implINS0_14default_configELb0EPKbPbPKlPlN2at6native12_GLOBAL__N_18offset_tEEE10hipError_tPvRmT1_PNSt15iterator_traitsISY_E10value_typeET2_T3_PNSZ_IS14_E10value_typeET4_jRbjT5_S1A_jjP12ihipStream_tbEUljE_EEESV_SW_SX_S14_S18_S1A_T6_T7_T9_mT8_S1C_bDpT10_ENKUlT_T0_E_clISt17integral_constantIbLb0EES1O_IbLb1EEEEDaS1K_S1L_EUlS1K_E_NS1_11comp_targetILNS1_3genE9ELNS1_11target_archE1100ELNS1_3gpuE3ELNS1_3repE0EEENS1_30default_config_static_selectorELNS0_4arch9wavefront6targetE0EEEvSY_
    .private_segment_fixed_size: 0
    .sgpr_count:     0
    .sgpr_spill_count: 0
    .symbol:         _ZN7rocprim17ROCPRIM_400000_NS6detail17trampoline_kernelINS0_13select_configILj256ELj13ELNS0_17block_load_methodE3ELS4_3ELS4_3ELNS0_20block_scan_algorithmE0ELj4294967295EEENS1_25partition_config_selectorILNS1_17partition_subalgoE3EjNS0_10empty_typeEbEEZZNS1_14partition_implILS8_3ELb0ES6_jNS0_17counting_iteratorIjlEEPS9_SE_NS0_5tupleIJPjSE_EEENSF_IJSE_SE_EEES9_SG_JZNS1_25segmented_radix_sort_implINS0_14default_configELb0EPKbPbPKlPlN2at6native12_GLOBAL__N_18offset_tEEE10hipError_tPvRmT1_PNSt15iterator_traitsISY_E10value_typeET2_T3_PNSZ_IS14_E10value_typeET4_jRbjT5_S1A_jjP12ihipStream_tbEUljE_EEESV_SW_SX_S14_S18_S1A_T6_T7_T9_mT8_S1C_bDpT10_ENKUlT_T0_E_clISt17integral_constantIbLb0EES1O_IbLb1EEEEDaS1K_S1L_EUlS1K_E_NS1_11comp_targetILNS1_3genE9ELNS1_11target_archE1100ELNS1_3gpuE3ELNS1_3repE0EEENS1_30default_config_static_selectorELNS0_4arch9wavefront6targetE0EEEvSY_.kd
    .uniform_work_group_size: 1
    .uses_dynamic_stack: false
    .vgpr_count:     0
    .vgpr_spill_count: 0
    .wavefront_size: 32
    .workgroup_processor_mode: 1
  - .args:
      - .offset:         0
        .size:           152
        .value_kind:     by_value
    .group_segment_fixed_size: 13320
    .kernarg_segment_align: 8
    .kernarg_segment_size: 152
    .language:       OpenCL C
    .language_version:
      - 2
      - 0
    .max_flat_workgroup_size: 256
    .name:           _ZN7rocprim17ROCPRIM_400000_NS6detail17trampoline_kernelINS0_13select_configILj256ELj13ELNS0_17block_load_methodE3ELS4_3ELS4_3ELNS0_20block_scan_algorithmE0ELj4294967295EEENS1_25partition_config_selectorILNS1_17partition_subalgoE3EjNS0_10empty_typeEbEEZZNS1_14partition_implILS8_3ELb0ES6_jNS0_17counting_iteratorIjlEEPS9_SE_NS0_5tupleIJPjSE_EEENSF_IJSE_SE_EEES9_SG_JZNS1_25segmented_radix_sort_implINS0_14default_configELb0EPKbPbPKlPlN2at6native12_GLOBAL__N_18offset_tEEE10hipError_tPvRmT1_PNSt15iterator_traitsISY_E10value_typeET2_T3_PNSZ_IS14_E10value_typeET4_jRbjT5_S1A_jjP12ihipStream_tbEUljE_EEESV_SW_SX_S14_S18_S1A_T6_T7_T9_mT8_S1C_bDpT10_ENKUlT_T0_E_clISt17integral_constantIbLb0EES1O_IbLb1EEEEDaS1K_S1L_EUlS1K_E_NS1_11comp_targetILNS1_3genE8ELNS1_11target_archE1030ELNS1_3gpuE2ELNS1_3repE0EEENS1_30default_config_static_selectorELNS0_4arch9wavefront6targetE0EEEvSY_
    .private_segment_fixed_size: 0
    .sgpr_count:     28
    .sgpr_spill_count: 0
    .symbol:         _ZN7rocprim17ROCPRIM_400000_NS6detail17trampoline_kernelINS0_13select_configILj256ELj13ELNS0_17block_load_methodE3ELS4_3ELS4_3ELNS0_20block_scan_algorithmE0ELj4294967295EEENS1_25partition_config_selectorILNS1_17partition_subalgoE3EjNS0_10empty_typeEbEEZZNS1_14partition_implILS8_3ELb0ES6_jNS0_17counting_iteratorIjlEEPS9_SE_NS0_5tupleIJPjSE_EEENSF_IJSE_SE_EEES9_SG_JZNS1_25segmented_radix_sort_implINS0_14default_configELb0EPKbPbPKlPlN2at6native12_GLOBAL__N_18offset_tEEE10hipError_tPvRmT1_PNSt15iterator_traitsISY_E10value_typeET2_T3_PNSZ_IS14_E10value_typeET4_jRbjT5_S1A_jjP12ihipStream_tbEUljE_EEESV_SW_SX_S14_S18_S1A_T6_T7_T9_mT8_S1C_bDpT10_ENKUlT_T0_E_clISt17integral_constantIbLb0EES1O_IbLb1EEEEDaS1K_S1L_EUlS1K_E_NS1_11comp_targetILNS1_3genE8ELNS1_11target_archE1030ELNS1_3gpuE2ELNS1_3repE0EEENS1_30default_config_static_selectorELNS0_4arch9wavefront6targetE0EEEvSY_.kd
    .uniform_work_group_size: 1
    .uses_dynamic_stack: false
    .vgpr_count:     71
    .vgpr_spill_count: 0
    .wavefront_size: 32
    .workgroup_processor_mode: 1
  - .args:
      - .offset:         0
        .size:           96
        .value_kind:     by_value
    .group_segment_fixed_size: 0
    .kernarg_segment_align: 8
    .kernarg_segment_size: 96
    .language:       OpenCL C
    .language_version:
      - 2
      - 0
    .max_flat_workgroup_size: 256
    .name:           _ZN7rocprim17ROCPRIM_400000_NS6detail17trampoline_kernelINS0_14default_configENS1_36segmented_radix_sort_config_selectorIblEEZNS1_25segmented_radix_sort_implIS3_Lb0EPKbPbPKlPlN2at6native12_GLOBAL__N_18offset_tEEE10hipError_tPvRmT1_PNSt15iterator_traitsISK_E10value_typeET2_T3_PNSL_ISQ_E10value_typeET4_jRbjT5_SW_jjP12ihipStream_tbEUlT_E_NS1_11comp_targetILNS1_3genE0ELNS1_11target_archE4294967295ELNS1_3gpuE0ELNS1_3repE0EEENS1_30default_config_static_selectorELNS0_4arch9wavefront6targetE0EEEvSK_
    .private_segment_fixed_size: 0
    .sgpr_count:     0
    .sgpr_spill_count: 0
    .symbol:         _ZN7rocprim17ROCPRIM_400000_NS6detail17trampoline_kernelINS0_14default_configENS1_36segmented_radix_sort_config_selectorIblEEZNS1_25segmented_radix_sort_implIS3_Lb0EPKbPbPKlPlN2at6native12_GLOBAL__N_18offset_tEEE10hipError_tPvRmT1_PNSt15iterator_traitsISK_E10value_typeET2_T3_PNSL_ISQ_E10value_typeET4_jRbjT5_SW_jjP12ihipStream_tbEUlT_E_NS1_11comp_targetILNS1_3genE0ELNS1_11target_archE4294967295ELNS1_3gpuE0ELNS1_3repE0EEENS1_30default_config_static_selectorELNS0_4arch9wavefront6targetE0EEEvSK_.kd
    .uniform_work_group_size: 1
    .uses_dynamic_stack: false
    .vgpr_count:     0
    .vgpr_spill_count: 0
    .wavefront_size: 32
    .workgroup_processor_mode: 1
  - .args:
      - .offset:         0
        .size:           96
        .value_kind:     by_value
    .group_segment_fixed_size: 0
    .kernarg_segment_align: 8
    .kernarg_segment_size: 96
    .language:       OpenCL C
    .language_version:
      - 2
      - 0
    .max_flat_workgroup_size: 256
    .name:           _ZN7rocprim17ROCPRIM_400000_NS6detail17trampoline_kernelINS0_14default_configENS1_36segmented_radix_sort_config_selectorIblEEZNS1_25segmented_radix_sort_implIS3_Lb0EPKbPbPKlPlN2at6native12_GLOBAL__N_18offset_tEEE10hipError_tPvRmT1_PNSt15iterator_traitsISK_E10value_typeET2_T3_PNSL_ISQ_E10value_typeET4_jRbjT5_SW_jjP12ihipStream_tbEUlT_E_NS1_11comp_targetILNS1_3genE5ELNS1_11target_archE942ELNS1_3gpuE9ELNS1_3repE0EEENS1_30default_config_static_selectorELNS0_4arch9wavefront6targetE0EEEvSK_
    .private_segment_fixed_size: 0
    .sgpr_count:     0
    .sgpr_spill_count: 0
    .symbol:         _ZN7rocprim17ROCPRIM_400000_NS6detail17trampoline_kernelINS0_14default_configENS1_36segmented_radix_sort_config_selectorIblEEZNS1_25segmented_radix_sort_implIS3_Lb0EPKbPbPKlPlN2at6native12_GLOBAL__N_18offset_tEEE10hipError_tPvRmT1_PNSt15iterator_traitsISK_E10value_typeET2_T3_PNSL_ISQ_E10value_typeET4_jRbjT5_SW_jjP12ihipStream_tbEUlT_E_NS1_11comp_targetILNS1_3genE5ELNS1_11target_archE942ELNS1_3gpuE9ELNS1_3repE0EEENS1_30default_config_static_selectorELNS0_4arch9wavefront6targetE0EEEvSK_.kd
    .uniform_work_group_size: 1
    .uses_dynamic_stack: false
    .vgpr_count:     0
    .vgpr_spill_count: 0
    .wavefront_size: 32
    .workgroup_processor_mode: 1
  - .args:
      - .offset:         0
        .size:           96
        .value_kind:     by_value
    .group_segment_fixed_size: 0
    .kernarg_segment_align: 8
    .kernarg_segment_size: 96
    .language:       OpenCL C
    .language_version:
      - 2
      - 0
    .max_flat_workgroup_size: 256
    .name:           _ZN7rocprim17ROCPRIM_400000_NS6detail17trampoline_kernelINS0_14default_configENS1_36segmented_radix_sort_config_selectorIblEEZNS1_25segmented_radix_sort_implIS3_Lb0EPKbPbPKlPlN2at6native12_GLOBAL__N_18offset_tEEE10hipError_tPvRmT1_PNSt15iterator_traitsISK_E10value_typeET2_T3_PNSL_ISQ_E10value_typeET4_jRbjT5_SW_jjP12ihipStream_tbEUlT_E_NS1_11comp_targetILNS1_3genE4ELNS1_11target_archE910ELNS1_3gpuE8ELNS1_3repE0EEENS1_30default_config_static_selectorELNS0_4arch9wavefront6targetE0EEEvSK_
    .private_segment_fixed_size: 0
    .sgpr_count:     0
    .sgpr_spill_count: 0
    .symbol:         _ZN7rocprim17ROCPRIM_400000_NS6detail17trampoline_kernelINS0_14default_configENS1_36segmented_radix_sort_config_selectorIblEEZNS1_25segmented_radix_sort_implIS3_Lb0EPKbPbPKlPlN2at6native12_GLOBAL__N_18offset_tEEE10hipError_tPvRmT1_PNSt15iterator_traitsISK_E10value_typeET2_T3_PNSL_ISQ_E10value_typeET4_jRbjT5_SW_jjP12ihipStream_tbEUlT_E_NS1_11comp_targetILNS1_3genE4ELNS1_11target_archE910ELNS1_3gpuE8ELNS1_3repE0EEENS1_30default_config_static_selectorELNS0_4arch9wavefront6targetE0EEEvSK_.kd
    .uniform_work_group_size: 1
    .uses_dynamic_stack: false
    .vgpr_count:     0
    .vgpr_spill_count: 0
    .wavefront_size: 32
    .workgroup_processor_mode: 1
  - .args:
      - .offset:         0
        .size:           96
        .value_kind:     by_value
    .group_segment_fixed_size: 0
    .kernarg_segment_align: 8
    .kernarg_segment_size: 96
    .language:       OpenCL C
    .language_version:
      - 2
      - 0
    .max_flat_workgroup_size: 256
    .name:           _ZN7rocprim17ROCPRIM_400000_NS6detail17trampoline_kernelINS0_14default_configENS1_36segmented_radix_sort_config_selectorIblEEZNS1_25segmented_radix_sort_implIS3_Lb0EPKbPbPKlPlN2at6native12_GLOBAL__N_18offset_tEEE10hipError_tPvRmT1_PNSt15iterator_traitsISK_E10value_typeET2_T3_PNSL_ISQ_E10value_typeET4_jRbjT5_SW_jjP12ihipStream_tbEUlT_E_NS1_11comp_targetILNS1_3genE3ELNS1_11target_archE908ELNS1_3gpuE7ELNS1_3repE0EEENS1_30default_config_static_selectorELNS0_4arch9wavefront6targetE0EEEvSK_
    .private_segment_fixed_size: 0
    .sgpr_count:     0
    .sgpr_spill_count: 0
    .symbol:         _ZN7rocprim17ROCPRIM_400000_NS6detail17trampoline_kernelINS0_14default_configENS1_36segmented_radix_sort_config_selectorIblEEZNS1_25segmented_radix_sort_implIS3_Lb0EPKbPbPKlPlN2at6native12_GLOBAL__N_18offset_tEEE10hipError_tPvRmT1_PNSt15iterator_traitsISK_E10value_typeET2_T3_PNSL_ISQ_E10value_typeET4_jRbjT5_SW_jjP12ihipStream_tbEUlT_E_NS1_11comp_targetILNS1_3genE3ELNS1_11target_archE908ELNS1_3gpuE7ELNS1_3repE0EEENS1_30default_config_static_selectorELNS0_4arch9wavefront6targetE0EEEvSK_.kd
    .uniform_work_group_size: 1
    .uses_dynamic_stack: false
    .vgpr_count:     0
    .vgpr_spill_count: 0
    .wavefront_size: 32
    .workgroup_processor_mode: 1
  - .args:
      - .offset:         0
        .size:           96
        .value_kind:     by_value
    .group_segment_fixed_size: 0
    .kernarg_segment_align: 8
    .kernarg_segment_size: 96
    .language:       OpenCL C
    .language_version:
      - 2
      - 0
    .max_flat_workgroup_size: 256
    .name:           _ZN7rocprim17ROCPRIM_400000_NS6detail17trampoline_kernelINS0_14default_configENS1_36segmented_radix_sort_config_selectorIblEEZNS1_25segmented_radix_sort_implIS3_Lb0EPKbPbPKlPlN2at6native12_GLOBAL__N_18offset_tEEE10hipError_tPvRmT1_PNSt15iterator_traitsISK_E10value_typeET2_T3_PNSL_ISQ_E10value_typeET4_jRbjT5_SW_jjP12ihipStream_tbEUlT_E_NS1_11comp_targetILNS1_3genE2ELNS1_11target_archE906ELNS1_3gpuE6ELNS1_3repE0EEENS1_30default_config_static_selectorELNS0_4arch9wavefront6targetE0EEEvSK_
    .private_segment_fixed_size: 0
    .sgpr_count:     0
    .sgpr_spill_count: 0
    .symbol:         _ZN7rocprim17ROCPRIM_400000_NS6detail17trampoline_kernelINS0_14default_configENS1_36segmented_radix_sort_config_selectorIblEEZNS1_25segmented_radix_sort_implIS3_Lb0EPKbPbPKlPlN2at6native12_GLOBAL__N_18offset_tEEE10hipError_tPvRmT1_PNSt15iterator_traitsISK_E10value_typeET2_T3_PNSL_ISQ_E10value_typeET4_jRbjT5_SW_jjP12ihipStream_tbEUlT_E_NS1_11comp_targetILNS1_3genE2ELNS1_11target_archE906ELNS1_3gpuE6ELNS1_3repE0EEENS1_30default_config_static_selectorELNS0_4arch9wavefront6targetE0EEEvSK_.kd
    .uniform_work_group_size: 1
    .uses_dynamic_stack: false
    .vgpr_count:     0
    .vgpr_spill_count: 0
    .wavefront_size: 32
    .workgroup_processor_mode: 1
  - .args:
      - .offset:         0
        .size:           96
        .value_kind:     by_value
    .group_segment_fixed_size: 0
    .kernarg_segment_align: 8
    .kernarg_segment_size: 96
    .language:       OpenCL C
    .language_version:
      - 2
      - 0
    .max_flat_workgroup_size: 256
    .name:           _ZN7rocprim17ROCPRIM_400000_NS6detail17trampoline_kernelINS0_14default_configENS1_36segmented_radix_sort_config_selectorIblEEZNS1_25segmented_radix_sort_implIS3_Lb0EPKbPbPKlPlN2at6native12_GLOBAL__N_18offset_tEEE10hipError_tPvRmT1_PNSt15iterator_traitsISK_E10value_typeET2_T3_PNSL_ISQ_E10value_typeET4_jRbjT5_SW_jjP12ihipStream_tbEUlT_E_NS1_11comp_targetILNS1_3genE10ELNS1_11target_archE1201ELNS1_3gpuE5ELNS1_3repE0EEENS1_30default_config_static_selectorELNS0_4arch9wavefront6targetE0EEEvSK_
    .private_segment_fixed_size: 0
    .sgpr_count:     0
    .sgpr_spill_count: 0
    .symbol:         _ZN7rocprim17ROCPRIM_400000_NS6detail17trampoline_kernelINS0_14default_configENS1_36segmented_radix_sort_config_selectorIblEEZNS1_25segmented_radix_sort_implIS3_Lb0EPKbPbPKlPlN2at6native12_GLOBAL__N_18offset_tEEE10hipError_tPvRmT1_PNSt15iterator_traitsISK_E10value_typeET2_T3_PNSL_ISQ_E10value_typeET4_jRbjT5_SW_jjP12ihipStream_tbEUlT_E_NS1_11comp_targetILNS1_3genE10ELNS1_11target_archE1201ELNS1_3gpuE5ELNS1_3repE0EEENS1_30default_config_static_selectorELNS0_4arch9wavefront6targetE0EEEvSK_.kd
    .uniform_work_group_size: 1
    .uses_dynamic_stack: false
    .vgpr_count:     0
    .vgpr_spill_count: 0
    .wavefront_size: 32
    .workgroup_processor_mode: 1
  - .args:
      - .offset:         0
        .size:           96
        .value_kind:     by_value
    .group_segment_fixed_size: 0
    .kernarg_segment_align: 8
    .kernarg_segment_size: 96
    .language:       OpenCL C
    .language_version:
      - 2
      - 0
    .max_flat_workgroup_size: 128
    .name:           _ZN7rocprim17ROCPRIM_400000_NS6detail17trampoline_kernelINS0_14default_configENS1_36segmented_radix_sort_config_selectorIblEEZNS1_25segmented_radix_sort_implIS3_Lb0EPKbPbPKlPlN2at6native12_GLOBAL__N_18offset_tEEE10hipError_tPvRmT1_PNSt15iterator_traitsISK_E10value_typeET2_T3_PNSL_ISQ_E10value_typeET4_jRbjT5_SW_jjP12ihipStream_tbEUlT_E_NS1_11comp_targetILNS1_3genE10ELNS1_11target_archE1200ELNS1_3gpuE4ELNS1_3repE0EEENS1_30default_config_static_selectorELNS0_4arch9wavefront6targetE0EEEvSK_
    .private_segment_fixed_size: 0
    .sgpr_count:     0
    .sgpr_spill_count: 0
    .symbol:         _ZN7rocprim17ROCPRIM_400000_NS6detail17trampoline_kernelINS0_14default_configENS1_36segmented_radix_sort_config_selectorIblEEZNS1_25segmented_radix_sort_implIS3_Lb0EPKbPbPKlPlN2at6native12_GLOBAL__N_18offset_tEEE10hipError_tPvRmT1_PNSt15iterator_traitsISK_E10value_typeET2_T3_PNSL_ISQ_E10value_typeET4_jRbjT5_SW_jjP12ihipStream_tbEUlT_E_NS1_11comp_targetILNS1_3genE10ELNS1_11target_archE1200ELNS1_3gpuE4ELNS1_3repE0EEENS1_30default_config_static_selectorELNS0_4arch9wavefront6targetE0EEEvSK_.kd
    .uniform_work_group_size: 1
    .uses_dynamic_stack: false
    .vgpr_count:     0
    .vgpr_spill_count: 0
    .wavefront_size: 32
    .workgroup_processor_mode: 1
  - .args:
      - .offset:         0
        .size:           96
        .value_kind:     by_value
    .group_segment_fixed_size: 0
    .kernarg_segment_align: 8
    .kernarg_segment_size: 96
    .language:       OpenCL C
    .language_version:
      - 2
      - 0
    .max_flat_workgroup_size: 256
    .name:           _ZN7rocprim17ROCPRIM_400000_NS6detail17trampoline_kernelINS0_14default_configENS1_36segmented_radix_sort_config_selectorIblEEZNS1_25segmented_radix_sort_implIS3_Lb0EPKbPbPKlPlN2at6native12_GLOBAL__N_18offset_tEEE10hipError_tPvRmT1_PNSt15iterator_traitsISK_E10value_typeET2_T3_PNSL_ISQ_E10value_typeET4_jRbjT5_SW_jjP12ihipStream_tbEUlT_E_NS1_11comp_targetILNS1_3genE9ELNS1_11target_archE1100ELNS1_3gpuE3ELNS1_3repE0EEENS1_30default_config_static_selectorELNS0_4arch9wavefront6targetE0EEEvSK_
    .private_segment_fixed_size: 0
    .sgpr_count:     0
    .sgpr_spill_count: 0
    .symbol:         _ZN7rocprim17ROCPRIM_400000_NS6detail17trampoline_kernelINS0_14default_configENS1_36segmented_radix_sort_config_selectorIblEEZNS1_25segmented_radix_sort_implIS3_Lb0EPKbPbPKlPlN2at6native12_GLOBAL__N_18offset_tEEE10hipError_tPvRmT1_PNSt15iterator_traitsISK_E10value_typeET2_T3_PNSL_ISQ_E10value_typeET4_jRbjT5_SW_jjP12ihipStream_tbEUlT_E_NS1_11comp_targetILNS1_3genE9ELNS1_11target_archE1100ELNS1_3gpuE3ELNS1_3repE0EEENS1_30default_config_static_selectorELNS0_4arch9wavefront6targetE0EEEvSK_.kd
    .uniform_work_group_size: 1
    .uses_dynamic_stack: false
    .vgpr_count:     0
    .vgpr_spill_count: 0
    .wavefront_size: 32
    .workgroup_processor_mode: 1
  - .args:
      - .offset:         0
        .size:           96
        .value_kind:     by_value
      - .offset:         96
        .size:           4
        .value_kind:     hidden_block_count_x
      - .offset:         100
        .size:           4
        .value_kind:     hidden_block_count_y
      - .offset:         104
        .size:           4
        .value_kind:     hidden_block_count_z
      - .offset:         108
        .size:           2
        .value_kind:     hidden_group_size_x
      - .offset:         110
        .size:           2
        .value_kind:     hidden_group_size_y
      - .offset:         112
        .size:           2
        .value_kind:     hidden_group_size_z
      - .offset:         114
        .size:           2
        .value_kind:     hidden_remainder_x
      - .offset:         116
        .size:           2
        .value_kind:     hidden_remainder_y
      - .offset:         118
        .size:           2
        .value_kind:     hidden_remainder_z
      - .offset:         136
        .size:           8
        .value_kind:     hidden_global_offset_x
      - .offset:         144
        .size:           8
        .value_kind:     hidden_global_offset_y
      - .offset:         152
        .size:           8
        .value_kind:     hidden_global_offset_z
      - .offset:         160
        .size:           2
        .value_kind:     hidden_grid_dims
    .group_segment_fixed_size: 35344
    .kernarg_segment_align: 8
    .kernarg_segment_size: 352
    .language:       OpenCL C
    .language_version:
      - 2
      - 0
    .max_flat_workgroup_size: 256
    .name:           _ZN7rocprim17ROCPRIM_400000_NS6detail17trampoline_kernelINS0_14default_configENS1_36segmented_radix_sort_config_selectorIblEEZNS1_25segmented_radix_sort_implIS3_Lb0EPKbPbPKlPlN2at6native12_GLOBAL__N_18offset_tEEE10hipError_tPvRmT1_PNSt15iterator_traitsISK_E10value_typeET2_T3_PNSL_ISQ_E10value_typeET4_jRbjT5_SW_jjP12ihipStream_tbEUlT_E_NS1_11comp_targetILNS1_3genE8ELNS1_11target_archE1030ELNS1_3gpuE2ELNS1_3repE0EEENS1_30default_config_static_selectorELNS0_4arch9wavefront6targetE0EEEvSK_
    .private_segment_fixed_size: 196
    .sgpr_count:     70
    .sgpr_spill_count: 0
    .symbol:         _ZN7rocprim17ROCPRIM_400000_NS6detail17trampoline_kernelINS0_14default_configENS1_36segmented_radix_sort_config_selectorIblEEZNS1_25segmented_radix_sort_implIS3_Lb0EPKbPbPKlPlN2at6native12_GLOBAL__N_18offset_tEEE10hipError_tPvRmT1_PNSt15iterator_traitsISK_E10value_typeET2_T3_PNSL_ISQ_E10value_typeET4_jRbjT5_SW_jjP12ihipStream_tbEUlT_E_NS1_11comp_targetILNS1_3genE8ELNS1_11target_archE1030ELNS1_3gpuE2ELNS1_3repE0EEENS1_30default_config_static_selectorELNS0_4arch9wavefront6targetE0EEEvSK_.kd
    .uniform_work_group_size: 1
    .uses_dynamic_stack: false
    .vgpr_count:     248
    .vgpr_spill_count: 0
    .wavefront_size: 32
    .workgroup_processor_mode: 1
  - .args:
      - .offset:         0
        .size:           88
        .value_kind:     by_value
    .group_segment_fixed_size: 0
    .kernarg_segment_align: 8
    .kernarg_segment_size: 88
    .language:       OpenCL C
    .language_version:
      - 2
      - 0
    .max_flat_workgroup_size: 256
    .name:           _ZN7rocprim17ROCPRIM_400000_NS6detail17trampoline_kernelINS0_14default_configENS1_36segmented_radix_sort_config_selectorIblEEZNS1_25segmented_radix_sort_implIS3_Lb0EPKbPbPKlPlN2at6native12_GLOBAL__N_18offset_tEEE10hipError_tPvRmT1_PNSt15iterator_traitsISK_E10value_typeET2_T3_PNSL_ISQ_E10value_typeET4_jRbjT5_SW_jjP12ihipStream_tbEUlT_E0_NS1_11comp_targetILNS1_3genE0ELNS1_11target_archE4294967295ELNS1_3gpuE0ELNS1_3repE0EEENS1_60segmented_radix_sort_warp_sort_medium_config_static_selectorELNS0_4arch9wavefront6targetE0EEEvSK_
    .private_segment_fixed_size: 0
    .sgpr_count:     0
    .sgpr_spill_count: 0
    .symbol:         _ZN7rocprim17ROCPRIM_400000_NS6detail17trampoline_kernelINS0_14default_configENS1_36segmented_radix_sort_config_selectorIblEEZNS1_25segmented_radix_sort_implIS3_Lb0EPKbPbPKlPlN2at6native12_GLOBAL__N_18offset_tEEE10hipError_tPvRmT1_PNSt15iterator_traitsISK_E10value_typeET2_T3_PNSL_ISQ_E10value_typeET4_jRbjT5_SW_jjP12ihipStream_tbEUlT_E0_NS1_11comp_targetILNS1_3genE0ELNS1_11target_archE4294967295ELNS1_3gpuE0ELNS1_3repE0EEENS1_60segmented_radix_sort_warp_sort_medium_config_static_selectorELNS0_4arch9wavefront6targetE0EEEvSK_.kd
    .uniform_work_group_size: 1
    .uses_dynamic_stack: false
    .vgpr_count:     0
    .vgpr_spill_count: 0
    .wavefront_size: 32
    .workgroup_processor_mode: 1
  - .args:
      - .offset:         0
        .size:           88
        .value_kind:     by_value
    .group_segment_fixed_size: 0
    .kernarg_segment_align: 8
    .kernarg_segment_size: 88
    .language:       OpenCL C
    .language_version:
      - 2
      - 0
    .max_flat_workgroup_size: 256
    .name:           _ZN7rocprim17ROCPRIM_400000_NS6detail17trampoline_kernelINS0_14default_configENS1_36segmented_radix_sort_config_selectorIblEEZNS1_25segmented_radix_sort_implIS3_Lb0EPKbPbPKlPlN2at6native12_GLOBAL__N_18offset_tEEE10hipError_tPvRmT1_PNSt15iterator_traitsISK_E10value_typeET2_T3_PNSL_ISQ_E10value_typeET4_jRbjT5_SW_jjP12ihipStream_tbEUlT_E0_NS1_11comp_targetILNS1_3genE5ELNS1_11target_archE942ELNS1_3gpuE9ELNS1_3repE0EEENS1_60segmented_radix_sort_warp_sort_medium_config_static_selectorELNS0_4arch9wavefront6targetE0EEEvSK_
    .private_segment_fixed_size: 0
    .sgpr_count:     0
    .sgpr_spill_count: 0
    .symbol:         _ZN7rocprim17ROCPRIM_400000_NS6detail17trampoline_kernelINS0_14default_configENS1_36segmented_radix_sort_config_selectorIblEEZNS1_25segmented_radix_sort_implIS3_Lb0EPKbPbPKlPlN2at6native12_GLOBAL__N_18offset_tEEE10hipError_tPvRmT1_PNSt15iterator_traitsISK_E10value_typeET2_T3_PNSL_ISQ_E10value_typeET4_jRbjT5_SW_jjP12ihipStream_tbEUlT_E0_NS1_11comp_targetILNS1_3genE5ELNS1_11target_archE942ELNS1_3gpuE9ELNS1_3repE0EEENS1_60segmented_radix_sort_warp_sort_medium_config_static_selectorELNS0_4arch9wavefront6targetE0EEEvSK_.kd
    .uniform_work_group_size: 1
    .uses_dynamic_stack: false
    .vgpr_count:     0
    .vgpr_spill_count: 0
    .wavefront_size: 32
    .workgroup_processor_mode: 1
  - .args:
      - .offset:         0
        .size:           88
        .value_kind:     by_value
    .group_segment_fixed_size: 0
    .kernarg_segment_align: 8
    .kernarg_segment_size: 88
    .language:       OpenCL C
    .language_version:
      - 2
      - 0
    .max_flat_workgroup_size: 256
    .name:           _ZN7rocprim17ROCPRIM_400000_NS6detail17trampoline_kernelINS0_14default_configENS1_36segmented_radix_sort_config_selectorIblEEZNS1_25segmented_radix_sort_implIS3_Lb0EPKbPbPKlPlN2at6native12_GLOBAL__N_18offset_tEEE10hipError_tPvRmT1_PNSt15iterator_traitsISK_E10value_typeET2_T3_PNSL_ISQ_E10value_typeET4_jRbjT5_SW_jjP12ihipStream_tbEUlT_E0_NS1_11comp_targetILNS1_3genE4ELNS1_11target_archE910ELNS1_3gpuE8ELNS1_3repE0EEENS1_60segmented_radix_sort_warp_sort_medium_config_static_selectorELNS0_4arch9wavefront6targetE0EEEvSK_
    .private_segment_fixed_size: 0
    .sgpr_count:     0
    .sgpr_spill_count: 0
    .symbol:         _ZN7rocprim17ROCPRIM_400000_NS6detail17trampoline_kernelINS0_14default_configENS1_36segmented_radix_sort_config_selectorIblEEZNS1_25segmented_radix_sort_implIS3_Lb0EPKbPbPKlPlN2at6native12_GLOBAL__N_18offset_tEEE10hipError_tPvRmT1_PNSt15iterator_traitsISK_E10value_typeET2_T3_PNSL_ISQ_E10value_typeET4_jRbjT5_SW_jjP12ihipStream_tbEUlT_E0_NS1_11comp_targetILNS1_3genE4ELNS1_11target_archE910ELNS1_3gpuE8ELNS1_3repE0EEENS1_60segmented_radix_sort_warp_sort_medium_config_static_selectorELNS0_4arch9wavefront6targetE0EEEvSK_.kd
    .uniform_work_group_size: 1
    .uses_dynamic_stack: false
    .vgpr_count:     0
    .vgpr_spill_count: 0
    .wavefront_size: 32
    .workgroup_processor_mode: 1
  - .args:
      - .offset:         0
        .size:           88
        .value_kind:     by_value
    .group_segment_fixed_size: 0
    .kernarg_segment_align: 8
    .kernarg_segment_size: 88
    .language:       OpenCL C
    .language_version:
      - 2
      - 0
    .max_flat_workgroup_size: 256
    .name:           _ZN7rocprim17ROCPRIM_400000_NS6detail17trampoline_kernelINS0_14default_configENS1_36segmented_radix_sort_config_selectorIblEEZNS1_25segmented_radix_sort_implIS3_Lb0EPKbPbPKlPlN2at6native12_GLOBAL__N_18offset_tEEE10hipError_tPvRmT1_PNSt15iterator_traitsISK_E10value_typeET2_T3_PNSL_ISQ_E10value_typeET4_jRbjT5_SW_jjP12ihipStream_tbEUlT_E0_NS1_11comp_targetILNS1_3genE3ELNS1_11target_archE908ELNS1_3gpuE7ELNS1_3repE0EEENS1_60segmented_radix_sort_warp_sort_medium_config_static_selectorELNS0_4arch9wavefront6targetE0EEEvSK_
    .private_segment_fixed_size: 0
    .sgpr_count:     0
    .sgpr_spill_count: 0
    .symbol:         _ZN7rocprim17ROCPRIM_400000_NS6detail17trampoline_kernelINS0_14default_configENS1_36segmented_radix_sort_config_selectorIblEEZNS1_25segmented_radix_sort_implIS3_Lb0EPKbPbPKlPlN2at6native12_GLOBAL__N_18offset_tEEE10hipError_tPvRmT1_PNSt15iterator_traitsISK_E10value_typeET2_T3_PNSL_ISQ_E10value_typeET4_jRbjT5_SW_jjP12ihipStream_tbEUlT_E0_NS1_11comp_targetILNS1_3genE3ELNS1_11target_archE908ELNS1_3gpuE7ELNS1_3repE0EEENS1_60segmented_radix_sort_warp_sort_medium_config_static_selectorELNS0_4arch9wavefront6targetE0EEEvSK_.kd
    .uniform_work_group_size: 1
    .uses_dynamic_stack: false
    .vgpr_count:     0
    .vgpr_spill_count: 0
    .wavefront_size: 32
    .workgroup_processor_mode: 1
  - .args:
      - .offset:         0
        .size:           88
        .value_kind:     by_value
    .group_segment_fixed_size: 0
    .kernarg_segment_align: 8
    .kernarg_segment_size: 88
    .language:       OpenCL C
    .language_version:
      - 2
      - 0
    .max_flat_workgroup_size: 256
    .name:           _ZN7rocprim17ROCPRIM_400000_NS6detail17trampoline_kernelINS0_14default_configENS1_36segmented_radix_sort_config_selectorIblEEZNS1_25segmented_radix_sort_implIS3_Lb0EPKbPbPKlPlN2at6native12_GLOBAL__N_18offset_tEEE10hipError_tPvRmT1_PNSt15iterator_traitsISK_E10value_typeET2_T3_PNSL_ISQ_E10value_typeET4_jRbjT5_SW_jjP12ihipStream_tbEUlT_E0_NS1_11comp_targetILNS1_3genE2ELNS1_11target_archE906ELNS1_3gpuE6ELNS1_3repE0EEENS1_60segmented_radix_sort_warp_sort_medium_config_static_selectorELNS0_4arch9wavefront6targetE0EEEvSK_
    .private_segment_fixed_size: 0
    .sgpr_count:     0
    .sgpr_spill_count: 0
    .symbol:         _ZN7rocprim17ROCPRIM_400000_NS6detail17trampoline_kernelINS0_14default_configENS1_36segmented_radix_sort_config_selectorIblEEZNS1_25segmented_radix_sort_implIS3_Lb0EPKbPbPKlPlN2at6native12_GLOBAL__N_18offset_tEEE10hipError_tPvRmT1_PNSt15iterator_traitsISK_E10value_typeET2_T3_PNSL_ISQ_E10value_typeET4_jRbjT5_SW_jjP12ihipStream_tbEUlT_E0_NS1_11comp_targetILNS1_3genE2ELNS1_11target_archE906ELNS1_3gpuE6ELNS1_3repE0EEENS1_60segmented_radix_sort_warp_sort_medium_config_static_selectorELNS0_4arch9wavefront6targetE0EEEvSK_.kd
    .uniform_work_group_size: 1
    .uses_dynamic_stack: false
    .vgpr_count:     0
    .vgpr_spill_count: 0
    .wavefront_size: 32
    .workgroup_processor_mode: 1
  - .args:
      - .offset:         0
        .size:           88
        .value_kind:     by_value
    .group_segment_fixed_size: 0
    .kernarg_segment_align: 8
    .kernarg_segment_size: 88
    .language:       OpenCL C
    .language_version:
      - 2
      - 0
    .max_flat_workgroup_size: 256
    .name:           _ZN7rocprim17ROCPRIM_400000_NS6detail17trampoline_kernelINS0_14default_configENS1_36segmented_radix_sort_config_selectorIblEEZNS1_25segmented_radix_sort_implIS3_Lb0EPKbPbPKlPlN2at6native12_GLOBAL__N_18offset_tEEE10hipError_tPvRmT1_PNSt15iterator_traitsISK_E10value_typeET2_T3_PNSL_ISQ_E10value_typeET4_jRbjT5_SW_jjP12ihipStream_tbEUlT_E0_NS1_11comp_targetILNS1_3genE10ELNS1_11target_archE1201ELNS1_3gpuE5ELNS1_3repE0EEENS1_60segmented_radix_sort_warp_sort_medium_config_static_selectorELNS0_4arch9wavefront6targetE0EEEvSK_
    .private_segment_fixed_size: 0
    .sgpr_count:     0
    .sgpr_spill_count: 0
    .symbol:         _ZN7rocprim17ROCPRIM_400000_NS6detail17trampoline_kernelINS0_14default_configENS1_36segmented_radix_sort_config_selectorIblEEZNS1_25segmented_radix_sort_implIS3_Lb0EPKbPbPKlPlN2at6native12_GLOBAL__N_18offset_tEEE10hipError_tPvRmT1_PNSt15iterator_traitsISK_E10value_typeET2_T3_PNSL_ISQ_E10value_typeET4_jRbjT5_SW_jjP12ihipStream_tbEUlT_E0_NS1_11comp_targetILNS1_3genE10ELNS1_11target_archE1201ELNS1_3gpuE5ELNS1_3repE0EEENS1_60segmented_radix_sort_warp_sort_medium_config_static_selectorELNS0_4arch9wavefront6targetE0EEEvSK_.kd
    .uniform_work_group_size: 1
    .uses_dynamic_stack: false
    .vgpr_count:     0
    .vgpr_spill_count: 0
    .wavefront_size: 32
    .workgroup_processor_mode: 1
  - .args:
      - .offset:         0
        .size:           88
        .value_kind:     by_value
    .group_segment_fixed_size: 0
    .kernarg_segment_align: 8
    .kernarg_segment_size: 88
    .language:       OpenCL C
    .language_version:
      - 2
      - 0
    .max_flat_workgroup_size: 256
    .name:           _ZN7rocprim17ROCPRIM_400000_NS6detail17trampoline_kernelINS0_14default_configENS1_36segmented_radix_sort_config_selectorIblEEZNS1_25segmented_radix_sort_implIS3_Lb0EPKbPbPKlPlN2at6native12_GLOBAL__N_18offset_tEEE10hipError_tPvRmT1_PNSt15iterator_traitsISK_E10value_typeET2_T3_PNSL_ISQ_E10value_typeET4_jRbjT5_SW_jjP12ihipStream_tbEUlT_E0_NS1_11comp_targetILNS1_3genE10ELNS1_11target_archE1200ELNS1_3gpuE4ELNS1_3repE0EEENS1_60segmented_radix_sort_warp_sort_medium_config_static_selectorELNS0_4arch9wavefront6targetE0EEEvSK_
    .private_segment_fixed_size: 0
    .sgpr_count:     0
    .sgpr_spill_count: 0
    .symbol:         _ZN7rocprim17ROCPRIM_400000_NS6detail17trampoline_kernelINS0_14default_configENS1_36segmented_radix_sort_config_selectorIblEEZNS1_25segmented_radix_sort_implIS3_Lb0EPKbPbPKlPlN2at6native12_GLOBAL__N_18offset_tEEE10hipError_tPvRmT1_PNSt15iterator_traitsISK_E10value_typeET2_T3_PNSL_ISQ_E10value_typeET4_jRbjT5_SW_jjP12ihipStream_tbEUlT_E0_NS1_11comp_targetILNS1_3genE10ELNS1_11target_archE1200ELNS1_3gpuE4ELNS1_3repE0EEENS1_60segmented_radix_sort_warp_sort_medium_config_static_selectorELNS0_4arch9wavefront6targetE0EEEvSK_.kd
    .uniform_work_group_size: 1
    .uses_dynamic_stack: false
    .vgpr_count:     0
    .vgpr_spill_count: 0
    .wavefront_size: 32
    .workgroup_processor_mode: 1
  - .args:
      - .offset:         0
        .size:           88
        .value_kind:     by_value
    .group_segment_fixed_size: 0
    .kernarg_segment_align: 8
    .kernarg_segment_size: 88
    .language:       OpenCL C
    .language_version:
      - 2
      - 0
    .max_flat_workgroup_size: 256
    .name:           _ZN7rocprim17ROCPRIM_400000_NS6detail17trampoline_kernelINS0_14default_configENS1_36segmented_radix_sort_config_selectorIblEEZNS1_25segmented_radix_sort_implIS3_Lb0EPKbPbPKlPlN2at6native12_GLOBAL__N_18offset_tEEE10hipError_tPvRmT1_PNSt15iterator_traitsISK_E10value_typeET2_T3_PNSL_ISQ_E10value_typeET4_jRbjT5_SW_jjP12ihipStream_tbEUlT_E0_NS1_11comp_targetILNS1_3genE9ELNS1_11target_archE1100ELNS1_3gpuE3ELNS1_3repE0EEENS1_60segmented_radix_sort_warp_sort_medium_config_static_selectorELNS0_4arch9wavefront6targetE0EEEvSK_
    .private_segment_fixed_size: 0
    .sgpr_count:     0
    .sgpr_spill_count: 0
    .symbol:         _ZN7rocprim17ROCPRIM_400000_NS6detail17trampoline_kernelINS0_14default_configENS1_36segmented_radix_sort_config_selectorIblEEZNS1_25segmented_radix_sort_implIS3_Lb0EPKbPbPKlPlN2at6native12_GLOBAL__N_18offset_tEEE10hipError_tPvRmT1_PNSt15iterator_traitsISK_E10value_typeET2_T3_PNSL_ISQ_E10value_typeET4_jRbjT5_SW_jjP12ihipStream_tbEUlT_E0_NS1_11comp_targetILNS1_3genE9ELNS1_11target_archE1100ELNS1_3gpuE3ELNS1_3repE0EEENS1_60segmented_radix_sort_warp_sort_medium_config_static_selectorELNS0_4arch9wavefront6targetE0EEEvSK_.kd
    .uniform_work_group_size: 1
    .uses_dynamic_stack: false
    .vgpr_count:     0
    .vgpr_spill_count: 0
    .wavefront_size: 32
    .workgroup_processor_mode: 1
  - .args:
      - .offset:         0
        .size:           88
        .value_kind:     by_value
      - .offset:         88
        .size:           4
        .value_kind:     hidden_block_count_x
      - .offset:         92
        .size:           4
        .value_kind:     hidden_block_count_y
      - .offset:         96
        .size:           4
        .value_kind:     hidden_block_count_z
      - .offset:         100
        .size:           2
        .value_kind:     hidden_group_size_x
      - .offset:         102
        .size:           2
        .value_kind:     hidden_group_size_y
      - .offset:         104
        .size:           2
        .value_kind:     hidden_group_size_z
      - .offset:         106
        .size:           2
        .value_kind:     hidden_remainder_x
      - .offset:         108
        .size:           2
        .value_kind:     hidden_remainder_y
      - .offset:         110
        .size:           2
        .value_kind:     hidden_remainder_z
      - .offset:         128
        .size:           8
        .value_kind:     hidden_global_offset_x
      - .offset:         136
        .size:           8
        .value_kind:     hidden_global_offset_y
      - .offset:         144
        .size:           8
        .value_kind:     hidden_global_offset_z
      - .offset:         152
        .size:           2
        .value_kind:     hidden_grid_dims
    .group_segment_fixed_size: 9216
    .kernarg_segment_align: 8
    .kernarg_segment_size: 344
    .language:       OpenCL C
    .language_version:
      - 2
      - 0
    .max_flat_workgroup_size: 256
    .name:           _ZN7rocprim17ROCPRIM_400000_NS6detail17trampoline_kernelINS0_14default_configENS1_36segmented_radix_sort_config_selectorIblEEZNS1_25segmented_radix_sort_implIS3_Lb0EPKbPbPKlPlN2at6native12_GLOBAL__N_18offset_tEEE10hipError_tPvRmT1_PNSt15iterator_traitsISK_E10value_typeET2_T3_PNSL_ISQ_E10value_typeET4_jRbjT5_SW_jjP12ihipStream_tbEUlT_E0_NS1_11comp_targetILNS1_3genE8ELNS1_11target_archE1030ELNS1_3gpuE2ELNS1_3repE0EEENS1_60segmented_radix_sort_warp_sort_medium_config_static_selectorELNS0_4arch9wavefront6targetE0EEEvSK_
    .private_segment_fixed_size: 12
    .sgpr_count:     42
    .sgpr_spill_count: 0
    .symbol:         _ZN7rocprim17ROCPRIM_400000_NS6detail17trampoline_kernelINS0_14default_configENS1_36segmented_radix_sort_config_selectorIblEEZNS1_25segmented_radix_sort_implIS3_Lb0EPKbPbPKlPlN2at6native12_GLOBAL__N_18offset_tEEE10hipError_tPvRmT1_PNSt15iterator_traitsISK_E10value_typeET2_T3_PNSL_ISQ_E10value_typeET4_jRbjT5_SW_jjP12ihipStream_tbEUlT_E0_NS1_11comp_targetILNS1_3genE8ELNS1_11target_archE1030ELNS1_3gpuE2ELNS1_3repE0EEENS1_60segmented_radix_sort_warp_sort_medium_config_static_selectorELNS0_4arch9wavefront6targetE0EEEvSK_.kd
    .uniform_work_group_size: 1
    .uses_dynamic_stack: false
    .vgpr_count:     53
    .vgpr_spill_count: 0
    .wavefront_size: 32
    .workgroup_processor_mode: 1
  - .args:
      - .offset:         0
        .size:           88
        .value_kind:     by_value
    .group_segment_fixed_size: 0
    .kernarg_segment_align: 8
    .kernarg_segment_size: 88
    .language:       OpenCL C
    .language_version:
      - 2
      - 0
    .max_flat_workgroup_size: 256
    .name:           _ZN7rocprim17ROCPRIM_400000_NS6detail17trampoline_kernelINS0_14default_configENS1_36segmented_radix_sort_config_selectorIblEEZNS1_25segmented_radix_sort_implIS3_Lb0EPKbPbPKlPlN2at6native12_GLOBAL__N_18offset_tEEE10hipError_tPvRmT1_PNSt15iterator_traitsISK_E10value_typeET2_T3_PNSL_ISQ_E10value_typeET4_jRbjT5_SW_jjP12ihipStream_tbEUlT_E1_NS1_11comp_targetILNS1_3genE0ELNS1_11target_archE4294967295ELNS1_3gpuE0ELNS1_3repE0EEENS1_59segmented_radix_sort_warp_sort_small_config_static_selectorELNS0_4arch9wavefront6targetE0EEEvSK_
    .private_segment_fixed_size: 0
    .sgpr_count:     0
    .sgpr_spill_count: 0
    .symbol:         _ZN7rocprim17ROCPRIM_400000_NS6detail17trampoline_kernelINS0_14default_configENS1_36segmented_radix_sort_config_selectorIblEEZNS1_25segmented_radix_sort_implIS3_Lb0EPKbPbPKlPlN2at6native12_GLOBAL__N_18offset_tEEE10hipError_tPvRmT1_PNSt15iterator_traitsISK_E10value_typeET2_T3_PNSL_ISQ_E10value_typeET4_jRbjT5_SW_jjP12ihipStream_tbEUlT_E1_NS1_11comp_targetILNS1_3genE0ELNS1_11target_archE4294967295ELNS1_3gpuE0ELNS1_3repE0EEENS1_59segmented_radix_sort_warp_sort_small_config_static_selectorELNS0_4arch9wavefront6targetE0EEEvSK_.kd
    .uniform_work_group_size: 1
    .uses_dynamic_stack: false
    .vgpr_count:     0
    .vgpr_spill_count: 0
    .wavefront_size: 32
    .workgroup_processor_mode: 1
  - .args:
      - .offset:         0
        .size:           88
        .value_kind:     by_value
    .group_segment_fixed_size: 0
    .kernarg_segment_align: 8
    .kernarg_segment_size: 88
    .language:       OpenCL C
    .language_version:
      - 2
      - 0
    .max_flat_workgroup_size: 256
    .name:           _ZN7rocprim17ROCPRIM_400000_NS6detail17trampoline_kernelINS0_14default_configENS1_36segmented_radix_sort_config_selectorIblEEZNS1_25segmented_radix_sort_implIS3_Lb0EPKbPbPKlPlN2at6native12_GLOBAL__N_18offset_tEEE10hipError_tPvRmT1_PNSt15iterator_traitsISK_E10value_typeET2_T3_PNSL_ISQ_E10value_typeET4_jRbjT5_SW_jjP12ihipStream_tbEUlT_E1_NS1_11comp_targetILNS1_3genE5ELNS1_11target_archE942ELNS1_3gpuE9ELNS1_3repE0EEENS1_59segmented_radix_sort_warp_sort_small_config_static_selectorELNS0_4arch9wavefront6targetE0EEEvSK_
    .private_segment_fixed_size: 0
    .sgpr_count:     0
    .sgpr_spill_count: 0
    .symbol:         _ZN7rocprim17ROCPRIM_400000_NS6detail17trampoline_kernelINS0_14default_configENS1_36segmented_radix_sort_config_selectorIblEEZNS1_25segmented_radix_sort_implIS3_Lb0EPKbPbPKlPlN2at6native12_GLOBAL__N_18offset_tEEE10hipError_tPvRmT1_PNSt15iterator_traitsISK_E10value_typeET2_T3_PNSL_ISQ_E10value_typeET4_jRbjT5_SW_jjP12ihipStream_tbEUlT_E1_NS1_11comp_targetILNS1_3genE5ELNS1_11target_archE942ELNS1_3gpuE9ELNS1_3repE0EEENS1_59segmented_radix_sort_warp_sort_small_config_static_selectorELNS0_4arch9wavefront6targetE0EEEvSK_.kd
    .uniform_work_group_size: 1
    .uses_dynamic_stack: false
    .vgpr_count:     0
    .vgpr_spill_count: 0
    .wavefront_size: 32
    .workgroup_processor_mode: 1
  - .args:
      - .offset:         0
        .size:           88
        .value_kind:     by_value
    .group_segment_fixed_size: 0
    .kernarg_segment_align: 8
    .kernarg_segment_size: 88
    .language:       OpenCL C
    .language_version:
      - 2
      - 0
    .max_flat_workgroup_size: 256
    .name:           _ZN7rocprim17ROCPRIM_400000_NS6detail17trampoline_kernelINS0_14default_configENS1_36segmented_radix_sort_config_selectorIblEEZNS1_25segmented_radix_sort_implIS3_Lb0EPKbPbPKlPlN2at6native12_GLOBAL__N_18offset_tEEE10hipError_tPvRmT1_PNSt15iterator_traitsISK_E10value_typeET2_T3_PNSL_ISQ_E10value_typeET4_jRbjT5_SW_jjP12ihipStream_tbEUlT_E1_NS1_11comp_targetILNS1_3genE4ELNS1_11target_archE910ELNS1_3gpuE8ELNS1_3repE0EEENS1_59segmented_radix_sort_warp_sort_small_config_static_selectorELNS0_4arch9wavefront6targetE0EEEvSK_
    .private_segment_fixed_size: 0
    .sgpr_count:     0
    .sgpr_spill_count: 0
    .symbol:         _ZN7rocprim17ROCPRIM_400000_NS6detail17trampoline_kernelINS0_14default_configENS1_36segmented_radix_sort_config_selectorIblEEZNS1_25segmented_radix_sort_implIS3_Lb0EPKbPbPKlPlN2at6native12_GLOBAL__N_18offset_tEEE10hipError_tPvRmT1_PNSt15iterator_traitsISK_E10value_typeET2_T3_PNSL_ISQ_E10value_typeET4_jRbjT5_SW_jjP12ihipStream_tbEUlT_E1_NS1_11comp_targetILNS1_3genE4ELNS1_11target_archE910ELNS1_3gpuE8ELNS1_3repE0EEENS1_59segmented_radix_sort_warp_sort_small_config_static_selectorELNS0_4arch9wavefront6targetE0EEEvSK_.kd
    .uniform_work_group_size: 1
    .uses_dynamic_stack: false
    .vgpr_count:     0
    .vgpr_spill_count: 0
    .wavefront_size: 32
    .workgroup_processor_mode: 1
  - .args:
      - .offset:         0
        .size:           88
        .value_kind:     by_value
    .group_segment_fixed_size: 0
    .kernarg_segment_align: 8
    .kernarg_segment_size: 88
    .language:       OpenCL C
    .language_version:
      - 2
      - 0
    .max_flat_workgroup_size: 256
    .name:           _ZN7rocprim17ROCPRIM_400000_NS6detail17trampoline_kernelINS0_14default_configENS1_36segmented_radix_sort_config_selectorIblEEZNS1_25segmented_radix_sort_implIS3_Lb0EPKbPbPKlPlN2at6native12_GLOBAL__N_18offset_tEEE10hipError_tPvRmT1_PNSt15iterator_traitsISK_E10value_typeET2_T3_PNSL_ISQ_E10value_typeET4_jRbjT5_SW_jjP12ihipStream_tbEUlT_E1_NS1_11comp_targetILNS1_3genE3ELNS1_11target_archE908ELNS1_3gpuE7ELNS1_3repE0EEENS1_59segmented_radix_sort_warp_sort_small_config_static_selectorELNS0_4arch9wavefront6targetE0EEEvSK_
    .private_segment_fixed_size: 0
    .sgpr_count:     0
    .sgpr_spill_count: 0
    .symbol:         _ZN7rocprim17ROCPRIM_400000_NS6detail17trampoline_kernelINS0_14default_configENS1_36segmented_radix_sort_config_selectorIblEEZNS1_25segmented_radix_sort_implIS3_Lb0EPKbPbPKlPlN2at6native12_GLOBAL__N_18offset_tEEE10hipError_tPvRmT1_PNSt15iterator_traitsISK_E10value_typeET2_T3_PNSL_ISQ_E10value_typeET4_jRbjT5_SW_jjP12ihipStream_tbEUlT_E1_NS1_11comp_targetILNS1_3genE3ELNS1_11target_archE908ELNS1_3gpuE7ELNS1_3repE0EEENS1_59segmented_radix_sort_warp_sort_small_config_static_selectorELNS0_4arch9wavefront6targetE0EEEvSK_.kd
    .uniform_work_group_size: 1
    .uses_dynamic_stack: false
    .vgpr_count:     0
    .vgpr_spill_count: 0
    .wavefront_size: 32
    .workgroup_processor_mode: 1
  - .args:
      - .offset:         0
        .size:           88
        .value_kind:     by_value
    .group_segment_fixed_size: 0
    .kernarg_segment_align: 8
    .kernarg_segment_size: 88
    .language:       OpenCL C
    .language_version:
      - 2
      - 0
    .max_flat_workgroup_size: 256
    .name:           _ZN7rocprim17ROCPRIM_400000_NS6detail17trampoline_kernelINS0_14default_configENS1_36segmented_radix_sort_config_selectorIblEEZNS1_25segmented_radix_sort_implIS3_Lb0EPKbPbPKlPlN2at6native12_GLOBAL__N_18offset_tEEE10hipError_tPvRmT1_PNSt15iterator_traitsISK_E10value_typeET2_T3_PNSL_ISQ_E10value_typeET4_jRbjT5_SW_jjP12ihipStream_tbEUlT_E1_NS1_11comp_targetILNS1_3genE2ELNS1_11target_archE906ELNS1_3gpuE6ELNS1_3repE0EEENS1_59segmented_radix_sort_warp_sort_small_config_static_selectorELNS0_4arch9wavefront6targetE0EEEvSK_
    .private_segment_fixed_size: 0
    .sgpr_count:     0
    .sgpr_spill_count: 0
    .symbol:         _ZN7rocprim17ROCPRIM_400000_NS6detail17trampoline_kernelINS0_14default_configENS1_36segmented_radix_sort_config_selectorIblEEZNS1_25segmented_radix_sort_implIS3_Lb0EPKbPbPKlPlN2at6native12_GLOBAL__N_18offset_tEEE10hipError_tPvRmT1_PNSt15iterator_traitsISK_E10value_typeET2_T3_PNSL_ISQ_E10value_typeET4_jRbjT5_SW_jjP12ihipStream_tbEUlT_E1_NS1_11comp_targetILNS1_3genE2ELNS1_11target_archE906ELNS1_3gpuE6ELNS1_3repE0EEENS1_59segmented_radix_sort_warp_sort_small_config_static_selectorELNS0_4arch9wavefront6targetE0EEEvSK_.kd
    .uniform_work_group_size: 1
    .uses_dynamic_stack: false
    .vgpr_count:     0
    .vgpr_spill_count: 0
    .wavefront_size: 32
    .workgroup_processor_mode: 1
  - .args:
      - .offset:         0
        .size:           88
        .value_kind:     by_value
    .group_segment_fixed_size: 0
    .kernarg_segment_align: 8
    .kernarg_segment_size: 88
    .language:       OpenCL C
    .language_version:
      - 2
      - 0
    .max_flat_workgroup_size: 256
    .name:           _ZN7rocprim17ROCPRIM_400000_NS6detail17trampoline_kernelINS0_14default_configENS1_36segmented_radix_sort_config_selectorIblEEZNS1_25segmented_radix_sort_implIS3_Lb0EPKbPbPKlPlN2at6native12_GLOBAL__N_18offset_tEEE10hipError_tPvRmT1_PNSt15iterator_traitsISK_E10value_typeET2_T3_PNSL_ISQ_E10value_typeET4_jRbjT5_SW_jjP12ihipStream_tbEUlT_E1_NS1_11comp_targetILNS1_3genE10ELNS1_11target_archE1201ELNS1_3gpuE5ELNS1_3repE0EEENS1_59segmented_radix_sort_warp_sort_small_config_static_selectorELNS0_4arch9wavefront6targetE0EEEvSK_
    .private_segment_fixed_size: 0
    .sgpr_count:     0
    .sgpr_spill_count: 0
    .symbol:         _ZN7rocprim17ROCPRIM_400000_NS6detail17trampoline_kernelINS0_14default_configENS1_36segmented_radix_sort_config_selectorIblEEZNS1_25segmented_radix_sort_implIS3_Lb0EPKbPbPKlPlN2at6native12_GLOBAL__N_18offset_tEEE10hipError_tPvRmT1_PNSt15iterator_traitsISK_E10value_typeET2_T3_PNSL_ISQ_E10value_typeET4_jRbjT5_SW_jjP12ihipStream_tbEUlT_E1_NS1_11comp_targetILNS1_3genE10ELNS1_11target_archE1201ELNS1_3gpuE5ELNS1_3repE0EEENS1_59segmented_radix_sort_warp_sort_small_config_static_selectorELNS0_4arch9wavefront6targetE0EEEvSK_.kd
    .uniform_work_group_size: 1
    .uses_dynamic_stack: false
    .vgpr_count:     0
    .vgpr_spill_count: 0
    .wavefront_size: 32
    .workgroup_processor_mode: 1
  - .args:
      - .offset:         0
        .size:           88
        .value_kind:     by_value
    .group_segment_fixed_size: 0
    .kernarg_segment_align: 8
    .kernarg_segment_size: 88
    .language:       OpenCL C
    .language_version:
      - 2
      - 0
    .max_flat_workgroup_size: 256
    .name:           _ZN7rocprim17ROCPRIM_400000_NS6detail17trampoline_kernelINS0_14default_configENS1_36segmented_radix_sort_config_selectorIblEEZNS1_25segmented_radix_sort_implIS3_Lb0EPKbPbPKlPlN2at6native12_GLOBAL__N_18offset_tEEE10hipError_tPvRmT1_PNSt15iterator_traitsISK_E10value_typeET2_T3_PNSL_ISQ_E10value_typeET4_jRbjT5_SW_jjP12ihipStream_tbEUlT_E1_NS1_11comp_targetILNS1_3genE10ELNS1_11target_archE1200ELNS1_3gpuE4ELNS1_3repE0EEENS1_59segmented_radix_sort_warp_sort_small_config_static_selectorELNS0_4arch9wavefront6targetE0EEEvSK_
    .private_segment_fixed_size: 0
    .sgpr_count:     0
    .sgpr_spill_count: 0
    .symbol:         _ZN7rocprim17ROCPRIM_400000_NS6detail17trampoline_kernelINS0_14default_configENS1_36segmented_radix_sort_config_selectorIblEEZNS1_25segmented_radix_sort_implIS3_Lb0EPKbPbPKlPlN2at6native12_GLOBAL__N_18offset_tEEE10hipError_tPvRmT1_PNSt15iterator_traitsISK_E10value_typeET2_T3_PNSL_ISQ_E10value_typeET4_jRbjT5_SW_jjP12ihipStream_tbEUlT_E1_NS1_11comp_targetILNS1_3genE10ELNS1_11target_archE1200ELNS1_3gpuE4ELNS1_3repE0EEENS1_59segmented_radix_sort_warp_sort_small_config_static_selectorELNS0_4arch9wavefront6targetE0EEEvSK_.kd
    .uniform_work_group_size: 1
    .uses_dynamic_stack: false
    .vgpr_count:     0
    .vgpr_spill_count: 0
    .wavefront_size: 32
    .workgroup_processor_mode: 1
  - .args:
      - .offset:         0
        .size:           88
        .value_kind:     by_value
    .group_segment_fixed_size: 0
    .kernarg_segment_align: 8
    .kernarg_segment_size: 88
    .language:       OpenCL C
    .language_version:
      - 2
      - 0
    .max_flat_workgroup_size: 256
    .name:           _ZN7rocprim17ROCPRIM_400000_NS6detail17trampoline_kernelINS0_14default_configENS1_36segmented_radix_sort_config_selectorIblEEZNS1_25segmented_radix_sort_implIS3_Lb0EPKbPbPKlPlN2at6native12_GLOBAL__N_18offset_tEEE10hipError_tPvRmT1_PNSt15iterator_traitsISK_E10value_typeET2_T3_PNSL_ISQ_E10value_typeET4_jRbjT5_SW_jjP12ihipStream_tbEUlT_E1_NS1_11comp_targetILNS1_3genE9ELNS1_11target_archE1100ELNS1_3gpuE3ELNS1_3repE0EEENS1_59segmented_radix_sort_warp_sort_small_config_static_selectorELNS0_4arch9wavefront6targetE0EEEvSK_
    .private_segment_fixed_size: 0
    .sgpr_count:     0
    .sgpr_spill_count: 0
    .symbol:         _ZN7rocprim17ROCPRIM_400000_NS6detail17trampoline_kernelINS0_14default_configENS1_36segmented_radix_sort_config_selectorIblEEZNS1_25segmented_radix_sort_implIS3_Lb0EPKbPbPKlPlN2at6native12_GLOBAL__N_18offset_tEEE10hipError_tPvRmT1_PNSt15iterator_traitsISK_E10value_typeET2_T3_PNSL_ISQ_E10value_typeET4_jRbjT5_SW_jjP12ihipStream_tbEUlT_E1_NS1_11comp_targetILNS1_3genE9ELNS1_11target_archE1100ELNS1_3gpuE3ELNS1_3repE0EEENS1_59segmented_radix_sort_warp_sort_small_config_static_selectorELNS0_4arch9wavefront6targetE0EEEvSK_.kd
    .uniform_work_group_size: 1
    .uses_dynamic_stack: false
    .vgpr_count:     0
    .vgpr_spill_count: 0
    .wavefront_size: 32
    .workgroup_processor_mode: 1
  - .args:
      - .offset:         0
        .size:           88
        .value_kind:     by_value
      - .offset:         88
        .size:           4
        .value_kind:     hidden_block_count_x
      - .offset:         92
        .size:           4
        .value_kind:     hidden_block_count_y
      - .offset:         96
        .size:           4
        .value_kind:     hidden_block_count_z
      - .offset:         100
        .size:           2
        .value_kind:     hidden_group_size_x
      - .offset:         102
        .size:           2
        .value_kind:     hidden_group_size_y
      - .offset:         104
        .size:           2
        .value_kind:     hidden_group_size_z
      - .offset:         106
        .size:           2
        .value_kind:     hidden_remainder_x
      - .offset:         108
        .size:           2
        .value_kind:     hidden_remainder_y
      - .offset:         110
        .size:           2
        .value_kind:     hidden_remainder_z
      - .offset:         128
        .size:           8
        .value_kind:     hidden_global_offset_x
      - .offset:         136
        .size:           8
        .value_kind:     hidden_global_offset_y
      - .offset:         144
        .size:           8
        .value_kind:     hidden_global_offset_z
      - .offset:         152
        .size:           2
        .value_kind:     hidden_grid_dims
    .group_segment_fixed_size: 9216
    .kernarg_segment_align: 8
    .kernarg_segment_size: 344
    .language:       OpenCL C
    .language_version:
      - 2
      - 0
    .max_flat_workgroup_size: 256
    .name:           _ZN7rocprim17ROCPRIM_400000_NS6detail17trampoline_kernelINS0_14default_configENS1_36segmented_radix_sort_config_selectorIblEEZNS1_25segmented_radix_sort_implIS3_Lb0EPKbPbPKlPlN2at6native12_GLOBAL__N_18offset_tEEE10hipError_tPvRmT1_PNSt15iterator_traitsISK_E10value_typeET2_T3_PNSL_ISQ_E10value_typeET4_jRbjT5_SW_jjP12ihipStream_tbEUlT_E1_NS1_11comp_targetILNS1_3genE8ELNS1_11target_archE1030ELNS1_3gpuE2ELNS1_3repE0EEENS1_59segmented_radix_sort_warp_sort_small_config_static_selectorELNS0_4arch9wavefront6targetE0EEEvSK_
    .private_segment_fixed_size: 12
    .sgpr_count:     42
    .sgpr_spill_count: 0
    .symbol:         _ZN7rocprim17ROCPRIM_400000_NS6detail17trampoline_kernelINS0_14default_configENS1_36segmented_radix_sort_config_selectorIblEEZNS1_25segmented_radix_sort_implIS3_Lb0EPKbPbPKlPlN2at6native12_GLOBAL__N_18offset_tEEE10hipError_tPvRmT1_PNSt15iterator_traitsISK_E10value_typeET2_T3_PNSL_ISQ_E10value_typeET4_jRbjT5_SW_jjP12ihipStream_tbEUlT_E1_NS1_11comp_targetILNS1_3genE8ELNS1_11target_archE1030ELNS1_3gpuE2ELNS1_3repE0EEENS1_59segmented_radix_sort_warp_sort_small_config_static_selectorELNS0_4arch9wavefront6targetE0EEEvSK_.kd
    .uniform_work_group_size: 1
    .uses_dynamic_stack: false
    .vgpr_count:     53
    .vgpr_spill_count: 0
    .wavefront_size: 32
    .workgroup_processor_mode: 1
  - .args:
      - .offset:         0
        .size:           80
        .value_kind:     by_value
    .group_segment_fixed_size: 0
    .kernarg_segment_align: 8
    .kernarg_segment_size: 80
    .language:       OpenCL C
    .language_version:
      - 2
      - 0
    .max_flat_workgroup_size: 256
    .name:           _ZN7rocprim17ROCPRIM_400000_NS6detail17trampoline_kernelINS0_14default_configENS1_36segmented_radix_sort_config_selectorIblEEZNS1_25segmented_radix_sort_implIS3_Lb0EPKbPbPKlPlN2at6native12_GLOBAL__N_18offset_tEEE10hipError_tPvRmT1_PNSt15iterator_traitsISK_E10value_typeET2_T3_PNSL_ISQ_E10value_typeET4_jRbjT5_SW_jjP12ihipStream_tbEUlT_E2_NS1_11comp_targetILNS1_3genE0ELNS1_11target_archE4294967295ELNS1_3gpuE0ELNS1_3repE0EEENS1_30default_config_static_selectorELNS0_4arch9wavefront6targetE0EEEvSK_
    .private_segment_fixed_size: 0
    .sgpr_count:     0
    .sgpr_spill_count: 0
    .symbol:         _ZN7rocprim17ROCPRIM_400000_NS6detail17trampoline_kernelINS0_14default_configENS1_36segmented_radix_sort_config_selectorIblEEZNS1_25segmented_radix_sort_implIS3_Lb0EPKbPbPKlPlN2at6native12_GLOBAL__N_18offset_tEEE10hipError_tPvRmT1_PNSt15iterator_traitsISK_E10value_typeET2_T3_PNSL_ISQ_E10value_typeET4_jRbjT5_SW_jjP12ihipStream_tbEUlT_E2_NS1_11comp_targetILNS1_3genE0ELNS1_11target_archE4294967295ELNS1_3gpuE0ELNS1_3repE0EEENS1_30default_config_static_selectorELNS0_4arch9wavefront6targetE0EEEvSK_.kd
    .uniform_work_group_size: 1
    .uses_dynamic_stack: false
    .vgpr_count:     0
    .vgpr_spill_count: 0
    .wavefront_size: 32
    .workgroup_processor_mode: 1
  - .args:
      - .offset:         0
        .size:           80
        .value_kind:     by_value
    .group_segment_fixed_size: 0
    .kernarg_segment_align: 8
    .kernarg_segment_size: 80
    .language:       OpenCL C
    .language_version:
      - 2
      - 0
    .max_flat_workgroup_size: 256
    .name:           _ZN7rocprim17ROCPRIM_400000_NS6detail17trampoline_kernelINS0_14default_configENS1_36segmented_radix_sort_config_selectorIblEEZNS1_25segmented_radix_sort_implIS3_Lb0EPKbPbPKlPlN2at6native12_GLOBAL__N_18offset_tEEE10hipError_tPvRmT1_PNSt15iterator_traitsISK_E10value_typeET2_T3_PNSL_ISQ_E10value_typeET4_jRbjT5_SW_jjP12ihipStream_tbEUlT_E2_NS1_11comp_targetILNS1_3genE5ELNS1_11target_archE942ELNS1_3gpuE9ELNS1_3repE0EEENS1_30default_config_static_selectorELNS0_4arch9wavefront6targetE0EEEvSK_
    .private_segment_fixed_size: 0
    .sgpr_count:     0
    .sgpr_spill_count: 0
    .symbol:         _ZN7rocprim17ROCPRIM_400000_NS6detail17trampoline_kernelINS0_14default_configENS1_36segmented_radix_sort_config_selectorIblEEZNS1_25segmented_radix_sort_implIS3_Lb0EPKbPbPKlPlN2at6native12_GLOBAL__N_18offset_tEEE10hipError_tPvRmT1_PNSt15iterator_traitsISK_E10value_typeET2_T3_PNSL_ISQ_E10value_typeET4_jRbjT5_SW_jjP12ihipStream_tbEUlT_E2_NS1_11comp_targetILNS1_3genE5ELNS1_11target_archE942ELNS1_3gpuE9ELNS1_3repE0EEENS1_30default_config_static_selectorELNS0_4arch9wavefront6targetE0EEEvSK_.kd
    .uniform_work_group_size: 1
    .uses_dynamic_stack: false
    .vgpr_count:     0
    .vgpr_spill_count: 0
    .wavefront_size: 32
    .workgroup_processor_mode: 1
  - .args:
      - .offset:         0
        .size:           80
        .value_kind:     by_value
    .group_segment_fixed_size: 0
    .kernarg_segment_align: 8
    .kernarg_segment_size: 80
    .language:       OpenCL C
    .language_version:
      - 2
      - 0
    .max_flat_workgroup_size: 256
    .name:           _ZN7rocprim17ROCPRIM_400000_NS6detail17trampoline_kernelINS0_14default_configENS1_36segmented_radix_sort_config_selectorIblEEZNS1_25segmented_radix_sort_implIS3_Lb0EPKbPbPKlPlN2at6native12_GLOBAL__N_18offset_tEEE10hipError_tPvRmT1_PNSt15iterator_traitsISK_E10value_typeET2_T3_PNSL_ISQ_E10value_typeET4_jRbjT5_SW_jjP12ihipStream_tbEUlT_E2_NS1_11comp_targetILNS1_3genE4ELNS1_11target_archE910ELNS1_3gpuE8ELNS1_3repE0EEENS1_30default_config_static_selectorELNS0_4arch9wavefront6targetE0EEEvSK_
    .private_segment_fixed_size: 0
    .sgpr_count:     0
    .sgpr_spill_count: 0
    .symbol:         _ZN7rocprim17ROCPRIM_400000_NS6detail17trampoline_kernelINS0_14default_configENS1_36segmented_radix_sort_config_selectorIblEEZNS1_25segmented_radix_sort_implIS3_Lb0EPKbPbPKlPlN2at6native12_GLOBAL__N_18offset_tEEE10hipError_tPvRmT1_PNSt15iterator_traitsISK_E10value_typeET2_T3_PNSL_ISQ_E10value_typeET4_jRbjT5_SW_jjP12ihipStream_tbEUlT_E2_NS1_11comp_targetILNS1_3genE4ELNS1_11target_archE910ELNS1_3gpuE8ELNS1_3repE0EEENS1_30default_config_static_selectorELNS0_4arch9wavefront6targetE0EEEvSK_.kd
    .uniform_work_group_size: 1
    .uses_dynamic_stack: false
    .vgpr_count:     0
    .vgpr_spill_count: 0
    .wavefront_size: 32
    .workgroup_processor_mode: 1
  - .args:
      - .offset:         0
        .size:           80
        .value_kind:     by_value
    .group_segment_fixed_size: 0
    .kernarg_segment_align: 8
    .kernarg_segment_size: 80
    .language:       OpenCL C
    .language_version:
      - 2
      - 0
    .max_flat_workgroup_size: 256
    .name:           _ZN7rocprim17ROCPRIM_400000_NS6detail17trampoline_kernelINS0_14default_configENS1_36segmented_radix_sort_config_selectorIblEEZNS1_25segmented_radix_sort_implIS3_Lb0EPKbPbPKlPlN2at6native12_GLOBAL__N_18offset_tEEE10hipError_tPvRmT1_PNSt15iterator_traitsISK_E10value_typeET2_T3_PNSL_ISQ_E10value_typeET4_jRbjT5_SW_jjP12ihipStream_tbEUlT_E2_NS1_11comp_targetILNS1_3genE3ELNS1_11target_archE908ELNS1_3gpuE7ELNS1_3repE0EEENS1_30default_config_static_selectorELNS0_4arch9wavefront6targetE0EEEvSK_
    .private_segment_fixed_size: 0
    .sgpr_count:     0
    .sgpr_spill_count: 0
    .symbol:         _ZN7rocprim17ROCPRIM_400000_NS6detail17trampoline_kernelINS0_14default_configENS1_36segmented_radix_sort_config_selectorIblEEZNS1_25segmented_radix_sort_implIS3_Lb0EPKbPbPKlPlN2at6native12_GLOBAL__N_18offset_tEEE10hipError_tPvRmT1_PNSt15iterator_traitsISK_E10value_typeET2_T3_PNSL_ISQ_E10value_typeET4_jRbjT5_SW_jjP12ihipStream_tbEUlT_E2_NS1_11comp_targetILNS1_3genE3ELNS1_11target_archE908ELNS1_3gpuE7ELNS1_3repE0EEENS1_30default_config_static_selectorELNS0_4arch9wavefront6targetE0EEEvSK_.kd
    .uniform_work_group_size: 1
    .uses_dynamic_stack: false
    .vgpr_count:     0
    .vgpr_spill_count: 0
    .wavefront_size: 32
    .workgroup_processor_mode: 1
  - .args:
      - .offset:         0
        .size:           80
        .value_kind:     by_value
    .group_segment_fixed_size: 0
    .kernarg_segment_align: 8
    .kernarg_segment_size: 80
    .language:       OpenCL C
    .language_version:
      - 2
      - 0
    .max_flat_workgroup_size: 256
    .name:           _ZN7rocprim17ROCPRIM_400000_NS6detail17trampoline_kernelINS0_14default_configENS1_36segmented_radix_sort_config_selectorIblEEZNS1_25segmented_radix_sort_implIS3_Lb0EPKbPbPKlPlN2at6native12_GLOBAL__N_18offset_tEEE10hipError_tPvRmT1_PNSt15iterator_traitsISK_E10value_typeET2_T3_PNSL_ISQ_E10value_typeET4_jRbjT5_SW_jjP12ihipStream_tbEUlT_E2_NS1_11comp_targetILNS1_3genE2ELNS1_11target_archE906ELNS1_3gpuE6ELNS1_3repE0EEENS1_30default_config_static_selectorELNS0_4arch9wavefront6targetE0EEEvSK_
    .private_segment_fixed_size: 0
    .sgpr_count:     0
    .sgpr_spill_count: 0
    .symbol:         _ZN7rocprim17ROCPRIM_400000_NS6detail17trampoline_kernelINS0_14default_configENS1_36segmented_radix_sort_config_selectorIblEEZNS1_25segmented_radix_sort_implIS3_Lb0EPKbPbPKlPlN2at6native12_GLOBAL__N_18offset_tEEE10hipError_tPvRmT1_PNSt15iterator_traitsISK_E10value_typeET2_T3_PNSL_ISQ_E10value_typeET4_jRbjT5_SW_jjP12ihipStream_tbEUlT_E2_NS1_11comp_targetILNS1_3genE2ELNS1_11target_archE906ELNS1_3gpuE6ELNS1_3repE0EEENS1_30default_config_static_selectorELNS0_4arch9wavefront6targetE0EEEvSK_.kd
    .uniform_work_group_size: 1
    .uses_dynamic_stack: false
    .vgpr_count:     0
    .vgpr_spill_count: 0
    .wavefront_size: 32
    .workgroup_processor_mode: 1
  - .args:
      - .offset:         0
        .size:           80
        .value_kind:     by_value
    .group_segment_fixed_size: 0
    .kernarg_segment_align: 8
    .kernarg_segment_size: 80
    .language:       OpenCL C
    .language_version:
      - 2
      - 0
    .max_flat_workgroup_size: 256
    .name:           _ZN7rocprim17ROCPRIM_400000_NS6detail17trampoline_kernelINS0_14default_configENS1_36segmented_radix_sort_config_selectorIblEEZNS1_25segmented_radix_sort_implIS3_Lb0EPKbPbPKlPlN2at6native12_GLOBAL__N_18offset_tEEE10hipError_tPvRmT1_PNSt15iterator_traitsISK_E10value_typeET2_T3_PNSL_ISQ_E10value_typeET4_jRbjT5_SW_jjP12ihipStream_tbEUlT_E2_NS1_11comp_targetILNS1_3genE10ELNS1_11target_archE1201ELNS1_3gpuE5ELNS1_3repE0EEENS1_30default_config_static_selectorELNS0_4arch9wavefront6targetE0EEEvSK_
    .private_segment_fixed_size: 0
    .sgpr_count:     0
    .sgpr_spill_count: 0
    .symbol:         _ZN7rocprim17ROCPRIM_400000_NS6detail17trampoline_kernelINS0_14default_configENS1_36segmented_radix_sort_config_selectorIblEEZNS1_25segmented_radix_sort_implIS3_Lb0EPKbPbPKlPlN2at6native12_GLOBAL__N_18offset_tEEE10hipError_tPvRmT1_PNSt15iterator_traitsISK_E10value_typeET2_T3_PNSL_ISQ_E10value_typeET4_jRbjT5_SW_jjP12ihipStream_tbEUlT_E2_NS1_11comp_targetILNS1_3genE10ELNS1_11target_archE1201ELNS1_3gpuE5ELNS1_3repE0EEENS1_30default_config_static_selectorELNS0_4arch9wavefront6targetE0EEEvSK_.kd
    .uniform_work_group_size: 1
    .uses_dynamic_stack: false
    .vgpr_count:     0
    .vgpr_spill_count: 0
    .wavefront_size: 32
    .workgroup_processor_mode: 1
  - .args:
      - .offset:         0
        .size:           80
        .value_kind:     by_value
    .group_segment_fixed_size: 0
    .kernarg_segment_align: 8
    .kernarg_segment_size: 80
    .language:       OpenCL C
    .language_version:
      - 2
      - 0
    .max_flat_workgroup_size: 128
    .name:           _ZN7rocprim17ROCPRIM_400000_NS6detail17trampoline_kernelINS0_14default_configENS1_36segmented_radix_sort_config_selectorIblEEZNS1_25segmented_radix_sort_implIS3_Lb0EPKbPbPKlPlN2at6native12_GLOBAL__N_18offset_tEEE10hipError_tPvRmT1_PNSt15iterator_traitsISK_E10value_typeET2_T3_PNSL_ISQ_E10value_typeET4_jRbjT5_SW_jjP12ihipStream_tbEUlT_E2_NS1_11comp_targetILNS1_3genE10ELNS1_11target_archE1200ELNS1_3gpuE4ELNS1_3repE0EEENS1_30default_config_static_selectorELNS0_4arch9wavefront6targetE0EEEvSK_
    .private_segment_fixed_size: 0
    .sgpr_count:     0
    .sgpr_spill_count: 0
    .symbol:         _ZN7rocprim17ROCPRIM_400000_NS6detail17trampoline_kernelINS0_14default_configENS1_36segmented_radix_sort_config_selectorIblEEZNS1_25segmented_radix_sort_implIS3_Lb0EPKbPbPKlPlN2at6native12_GLOBAL__N_18offset_tEEE10hipError_tPvRmT1_PNSt15iterator_traitsISK_E10value_typeET2_T3_PNSL_ISQ_E10value_typeET4_jRbjT5_SW_jjP12ihipStream_tbEUlT_E2_NS1_11comp_targetILNS1_3genE10ELNS1_11target_archE1200ELNS1_3gpuE4ELNS1_3repE0EEENS1_30default_config_static_selectorELNS0_4arch9wavefront6targetE0EEEvSK_.kd
    .uniform_work_group_size: 1
    .uses_dynamic_stack: false
    .vgpr_count:     0
    .vgpr_spill_count: 0
    .wavefront_size: 32
    .workgroup_processor_mode: 1
  - .args:
      - .offset:         0
        .size:           80
        .value_kind:     by_value
    .group_segment_fixed_size: 0
    .kernarg_segment_align: 8
    .kernarg_segment_size: 80
    .language:       OpenCL C
    .language_version:
      - 2
      - 0
    .max_flat_workgroup_size: 256
    .name:           _ZN7rocprim17ROCPRIM_400000_NS6detail17trampoline_kernelINS0_14default_configENS1_36segmented_radix_sort_config_selectorIblEEZNS1_25segmented_radix_sort_implIS3_Lb0EPKbPbPKlPlN2at6native12_GLOBAL__N_18offset_tEEE10hipError_tPvRmT1_PNSt15iterator_traitsISK_E10value_typeET2_T3_PNSL_ISQ_E10value_typeET4_jRbjT5_SW_jjP12ihipStream_tbEUlT_E2_NS1_11comp_targetILNS1_3genE9ELNS1_11target_archE1100ELNS1_3gpuE3ELNS1_3repE0EEENS1_30default_config_static_selectorELNS0_4arch9wavefront6targetE0EEEvSK_
    .private_segment_fixed_size: 0
    .sgpr_count:     0
    .sgpr_spill_count: 0
    .symbol:         _ZN7rocprim17ROCPRIM_400000_NS6detail17trampoline_kernelINS0_14default_configENS1_36segmented_radix_sort_config_selectorIblEEZNS1_25segmented_radix_sort_implIS3_Lb0EPKbPbPKlPlN2at6native12_GLOBAL__N_18offset_tEEE10hipError_tPvRmT1_PNSt15iterator_traitsISK_E10value_typeET2_T3_PNSL_ISQ_E10value_typeET4_jRbjT5_SW_jjP12ihipStream_tbEUlT_E2_NS1_11comp_targetILNS1_3genE9ELNS1_11target_archE1100ELNS1_3gpuE3ELNS1_3repE0EEENS1_30default_config_static_selectorELNS0_4arch9wavefront6targetE0EEEvSK_.kd
    .uniform_work_group_size: 1
    .uses_dynamic_stack: false
    .vgpr_count:     0
    .vgpr_spill_count: 0
    .wavefront_size: 32
    .workgroup_processor_mode: 1
  - .args:
      - .offset:         0
        .size:           80
        .value_kind:     by_value
      - .offset:         80
        .size:           4
        .value_kind:     hidden_block_count_x
      - .offset:         84
        .size:           4
        .value_kind:     hidden_block_count_y
      - .offset:         88
        .size:           4
        .value_kind:     hidden_block_count_z
      - .offset:         92
        .size:           2
        .value_kind:     hidden_group_size_x
      - .offset:         94
        .size:           2
        .value_kind:     hidden_group_size_y
      - .offset:         96
        .size:           2
        .value_kind:     hidden_group_size_z
      - .offset:         98
        .size:           2
        .value_kind:     hidden_remainder_x
      - .offset:         100
        .size:           2
        .value_kind:     hidden_remainder_y
      - .offset:         102
        .size:           2
        .value_kind:     hidden_remainder_z
      - .offset:         120
        .size:           8
        .value_kind:     hidden_global_offset_x
      - .offset:         128
        .size:           8
        .value_kind:     hidden_global_offset_y
      - .offset:         136
        .size:           8
        .value_kind:     hidden_global_offset_z
      - .offset:         144
        .size:           2
        .value_kind:     hidden_grid_dims
    .group_segment_fixed_size: 35344
    .kernarg_segment_align: 8
    .kernarg_segment_size: 336
    .language:       OpenCL C
    .language_version:
      - 2
      - 0
    .max_flat_workgroup_size: 256
    .name:           _ZN7rocprim17ROCPRIM_400000_NS6detail17trampoline_kernelINS0_14default_configENS1_36segmented_radix_sort_config_selectorIblEEZNS1_25segmented_radix_sort_implIS3_Lb0EPKbPbPKlPlN2at6native12_GLOBAL__N_18offset_tEEE10hipError_tPvRmT1_PNSt15iterator_traitsISK_E10value_typeET2_T3_PNSL_ISQ_E10value_typeET4_jRbjT5_SW_jjP12ihipStream_tbEUlT_E2_NS1_11comp_targetILNS1_3genE8ELNS1_11target_archE1030ELNS1_3gpuE2ELNS1_3repE0EEENS1_30default_config_static_selectorELNS0_4arch9wavefront6targetE0EEEvSK_
    .private_segment_fixed_size: 196
    .sgpr_count:     70
    .sgpr_spill_count: 0
    .symbol:         _ZN7rocprim17ROCPRIM_400000_NS6detail17trampoline_kernelINS0_14default_configENS1_36segmented_radix_sort_config_selectorIblEEZNS1_25segmented_radix_sort_implIS3_Lb0EPKbPbPKlPlN2at6native12_GLOBAL__N_18offset_tEEE10hipError_tPvRmT1_PNSt15iterator_traitsISK_E10value_typeET2_T3_PNSL_ISQ_E10value_typeET4_jRbjT5_SW_jjP12ihipStream_tbEUlT_E2_NS1_11comp_targetILNS1_3genE8ELNS1_11target_archE1030ELNS1_3gpuE2ELNS1_3repE0EEENS1_30default_config_static_selectorELNS0_4arch9wavefront6targetE0EEEvSK_.kd
    .uniform_work_group_size: 1
    .uses_dynamic_stack: false
    .vgpr_count:     248
    .vgpr_spill_count: 0
    .wavefront_size: 32
    .workgroup_processor_mode: 1
  - .args:
      - .address_space:  global
        .offset:         0
        .size:           8
        .value_kind:     global_buffer
      - .address_space:  global
        .offset:         8
        .size:           8
        .value_kind:     global_buffer
      - .address_space:  global
        .offset:         16
        .size:           8
        .value_kind:     global_buffer
      - .address_space:  global
        .offset:         24
        .size:           8
        .value_kind:     global_buffer
      - .offset:         32
        .size:           4
        .value_kind:     by_value
      - .offset:         36
        .size:           4
        .value_kind:     by_value
      - .offset:         40
        .size:           4
        .value_kind:     hidden_block_count_x
      - .offset:         44
        .size:           4
        .value_kind:     hidden_block_count_y
      - .offset:         48
        .size:           4
        .value_kind:     hidden_block_count_z
      - .offset:         52
        .size:           2
        .value_kind:     hidden_group_size_x
      - .offset:         54
        .size:           2
        .value_kind:     hidden_group_size_y
      - .offset:         56
        .size:           2
        .value_kind:     hidden_group_size_z
      - .offset:         58
        .size:           2
        .value_kind:     hidden_remainder_x
      - .offset:         60
        .size:           2
        .value_kind:     hidden_remainder_y
      - .offset:         62
        .size:           2
        .value_kind:     hidden_remainder_z
      - .offset:         80
        .size:           8
        .value_kind:     hidden_global_offset_x
      - .offset:         88
        .size:           8
        .value_kind:     hidden_global_offset_y
      - .offset:         96
        .size:           8
        .value_kind:     hidden_global_offset_z
      - .offset:         104
        .size:           2
        .value_kind:     hidden_grid_dims
    .group_segment_fixed_size: 0
    .kernarg_segment_align: 8
    .kernarg_segment_size: 296
    .language:       OpenCL C
    .language_version:
      - 2
      - 0
    .max_flat_workgroup_size: 1024
    .name:           _ZN2at6native12_GLOBAL__N_123sort_postprocess_kernelIN3c104HalfEEEvPKT_PS5_PlPK15HIP_vector_typeIiLj2EEii
    .private_segment_fixed_size: 0
    .sgpr_count:     18
    .sgpr_spill_count: 0
    .symbol:         _ZN2at6native12_GLOBAL__N_123sort_postprocess_kernelIN3c104HalfEEEvPKT_PS5_PlPK15HIP_vector_typeIiLj2EEii.kd
    .uniform_work_group_size: 1
    .uses_dynamic_stack: false
    .vgpr_count:     17
    .vgpr_spill_count: 0
    .wavefront_size: 32
    .workgroup_processor_mode: 1
  - .args:
      - .offset:         0
        .size:           176
        .value_kind:     by_value
    .group_segment_fixed_size: 0
    .kernarg_segment_align: 8
    .kernarg_segment_size: 176
    .language:       OpenCL C
    .language_version:
      - 2
      - 0
    .max_flat_workgroup_size: 256
    .name:           _ZN7rocprim17ROCPRIM_400000_NS6detail17trampoline_kernelINS0_13select_configILj256ELj13ELNS0_17block_load_methodE3ELS4_3ELS4_3ELNS0_20block_scan_algorithmE0ELj4294967295EEENS1_25partition_config_selectorILNS1_17partition_subalgoE4EjNS0_10empty_typeEbEEZZNS1_14partition_implILS8_4ELb0ES6_15HIP_vector_typeIjLj2EENS0_17counting_iteratorIjlEEPS9_SG_NS0_5tupleIJPjSI_NS0_16reverse_iteratorISI_EEEEENSH_IJSG_SG_SG_EEES9_SI_JZNS1_25segmented_radix_sort_implINS0_14default_configELb1EPK6__halfPSP_PKlPlN2at6native12_GLOBAL__N_18offset_tEEE10hipError_tPvRmT1_PNSt15iterator_traitsIS13_E10value_typeET2_T3_PNS14_IS19_E10value_typeET4_jRbjT5_S1F_jjP12ihipStream_tbEUljE_ZNSN_ISO_Lb1ESR_SS_SU_SV_SZ_EES10_S11_S12_S13_S17_S18_S19_S1C_S1D_jS1E_jS1F_S1F_jjS1H_bEUljE0_EEES10_S11_S12_S19_S1D_S1F_T6_T7_T9_mT8_S1H_bDpT10_ENKUlT_T0_E_clISt17integral_constantIbLb0EES1V_EEDaS1Q_S1R_EUlS1Q_E_NS1_11comp_targetILNS1_3genE0ELNS1_11target_archE4294967295ELNS1_3gpuE0ELNS1_3repE0EEENS1_30default_config_static_selectorELNS0_4arch9wavefront6targetE0EEEvS13_
    .private_segment_fixed_size: 0
    .sgpr_count:     0
    .sgpr_spill_count: 0
    .symbol:         _ZN7rocprim17ROCPRIM_400000_NS6detail17trampoline_kernelINS0_13select_configILj256ELj13ELNS0_17block_load_methodE3ELS4_3ELS4_3ELNS0_20block_scan_algorithmE0ELj4294967295EEENS1_25partition_config_selectorILNS1_17partition_subalgoE4EjNS0_10empty_typeEbEEZZNS1_14partition_implILS8_4ELb0ES6_15HIP_vector_typeIjLj2EENS0_17counting_iteratorIjlEEPS9_SG_NS0_5tupleIJPjSI_NS0_16reverse_iteratorISI_EEEEENSH_IJSG_SG_SG_EEES9_SI_JZNS1_25segmented_radix_sort_implINS0_14default_configELb1EPK6__halfPSP_PKlPlN2at6native12_GLOBAL__N_18offset_tEEE10hipError_tPvRmT1_PNSt15iterator_traitsIS13_E10value_typeET2_T3_PNS14_IS19_E10value_typeET4_jRbjT5_S1F_jjP12ihipStream_tbEUljE_ZNSN_ISO_Lb1ESR_SS_SU_SV_SZ_EES10_S11_S12_S13_S17_S18_S19_S1C_S1D_jS1E_jS1F_S1F_jjS1H_bEUljE0_EEES10_S11_S12_S19_S1D_S1F_T6_T7_T9_mT8_S1H_bDpT10_ENKUlT_T0_E_clISt17integral_constantIbLb0EES1V_EEDaS1Q_S1R_EUlS1Q_E_NS1_11comp_targetILNS1_3genE0ELNS1_11target_archE4294967295ELNS1_3gpuE0ELNS1_3repE0EEENS1_30default_config_static_selectorELNS0_4arch9wavefront6targetE0EEEvS13_.kd
    .uniform_work_group_size: 1
    .uses_dynamic_stack: false
    .vgpr_count:     0
    .vgpr_spill_count: 0
    .wavefront_size: 32
    .workgroup_processor_mode: 1
  - .args:
      - .offset:         0
        .size:           176
        .value_kind:     by_value
    .group_segment_fixed_size: 0
    .kernarg_segment_align: 8
    .kernarg_segment_size: 176
    .language:       OpenCL C
    .language_version:
      - 2
      - 0
    .max_flat_workgroup_size: 256
    .name:           _ZN7rocprim17ROCPRIM_400000_NS6detail17trampoline_kernelINS0_13select_configILj256ELj13ELNS0_17block_load_methodE3ELS4_3ELS4_3ELNS0_20block_scan_algorithmE0ELj4294967295EEENS1_25partition_config_selectorILNS1_17partition_subalgoE4EjNS0_10empty_typeEbEEZZNS1_14partition_implILS8_4ELb0ES6_15HIP_vector_typeIjLj2EENS0_17counting_iteratorIjlEEPS9_SG_NS0_5tupleIJPjSI_NS0_16reverse_iteratorISI_EEEEENSH_IJSG_SG_SG_EEES9_SI_JZNS1_25segmented_radix_sort_implINS0_14default_configELb1EPK6__halfPSP_PKlPlN2at6native12_GLOBAL__N_18offset_tEEE10hipError_tPvRmT1_PNSt15iterator_traitsIS13_E10value_typeET2_T3_PNS14_IS19_E10value_typeET4_jRbjT5_S1F_jjP12ihipStream_tbEUljE_ZNSN_ISO_Lb1ESR_SS_SU_SV_SZ_EES10_S11_S12_S13_S17_S18_S19_S1C_S1D_jS1E_jS1F_S1F_jjS1H_bEUljE0_EEES10_S11_S12_S19_S1D_S1F_T6_T7_T9_mT8_S1H_bDpT10_ENKUlT_T0_E_clISt17integral_constantIbLb0EES1V_EEDaS1Q_S1R_EUlS1Q_E_NS1_11comp_targetILNS1_3genE5ELNS1_11target_archE942ELNS1_3gpuE9ELNS1_3repE0EEENS1_30default_config_static_selectorELNS0_4arch9wavefront6targetE0EEEvS13_
    .private_segment_fixed_size: 0
    .sgpr_count:     0
    .sgpr_spill_count: 0
    .symbol:         _ZN7rocprim17ROCPRIM_400000_NS6detail17trampoline_kernelINS0_13select_configILj256ELj13ELNS0_17block_load_methodE3ELS4_3ELS4_3ELNS0_20block_scan_algorithmE0ELj4294967295EEENS1_25partition_config_selectorILNS1_17partition_subalgoE4EjNS0_10empty_typeEbEEZZNS1_14partition_implILS8_4ELb0ES6_15HIP_vector_typeIjLj2EENS0_17counting_iteratorIjlEEPS9_SG_NS0_5tupleIJPjSI_NS0_16reverse_iteratorISI_EEEEENSH_IJSG_SG_SG_EEES9_SI_JZNS1_25segmented_radix_sort_implINS0_14default_configELb1EPK6__halfPSP_PKlPlN2at6native12_GLOBAL__N_18offset_tEEE10hipError_tPvRmT1_PNSt15iterator_traitsIS13_E10value_typeET2_T3_PNS14_IS19_E10value_typeET4_jRbjT5_S1F_jjP12ihipStream_tbEUljE_ZNSN_ISO_Lb1ESR_SS_SU_SV_SZ_EES10_S11_S12_S13_S17_S18_S19_S1C_S1D_jS1E_jS1F_S1F_jjS1H_bEUljE0_EEES10_S11_S12_S19_S1D_S1F_T6_T7_T9_mT8_S1H_bDpT10_ENKUlT_T0_E_clISt17integral_constantIbLb0EES1V_EEDaS1Q_S1R_EUlS1Q_E_NS1_11comp_targetILNS1_3genE5ELNS1_11target_archE942ELNS1_3gpuE9ELNS1_3repE0EEENS1_30default_config_static_selectorELNS0_4arch9wavefront6targetE0EEEvS13_.kd
    .uniform_work_group_size: 1
    .uses_dynamic_stack: false
    .vgpr_count:     0
    .vgpr_spill_count: 0
    .wavefront_size: 32
    .workgroup_processor_mode: 1
  - .args:
      - .offset:         0
        .size:           176
        .value_kind:     by_value
    .group_segment_fixed_size: 0
    .kernarg_segment_align: 8
    .kernarg_segment_size: 176
    .language:       OpenCL C
    .language_version:
      - 2
      - 0
    .max_flat_workgroup_size: 256
    .name:           _ZN7rocprim17ROCPRIM_400000_NS6detail17trampoline_kernelINS0_13select_configILj256ELj13ELNS0_17block_load_methodE3ELS4_3ELS4_3ELNS0_20block_scan_algorithmE0ELj4294967295EEENS1_25partition_config_selectorILNS1_17partition_subalgoE4EjNS0_10empty_typeEbEEZZNS1_14partition_implILS8_4ELb0ES6_15HIP_vector_typeIjLj2EENS0_17counting_iteratorIjlEEPS9_SG_NS0_5tupleIJPjSI_NS0_16reverse_iteratorISI_EEEEENSH_IJSG_SG_SG_EEES9_SI_JZNS1_25segmented_radix_sort_implINS0_14default_configELb1EPK6__halfPSP_PKlPlN2at6native12_GLOBAL__N_18offset_tEEE10hipError_tPvRmT1_PNSt15iterator_traitsIS13_E10value_typeET2_T3_PNS14_IS19_E10value_typeET4_jRbjT5_S1F_jjP12ihipStream_tbEUljE_ZNSN_ISO_Lb1ESR_SS_SU_SV_SZ_EES10_S11_S12_S13_S17_S18_S19_S1C_S1D_jS1E_jS1F_S1F_jjS1H_bEUljE0_EEES10_S11_S12_S19_S1D_S1F_T6_T7_T9_mT8_S1H_bDpT10_ENKUlT_T0_E_clISt17integral_constantIbLb0EES1V_EEDaS1Q_S1R_EUlS1Q_E_NS1_11comp_targetILNS1_3genE4ELNS1_11target_archE910ELNS1_3gpuE8ELNS1_3repE0EEENS1_30default_config_static_selectorELNS0_4arch9wavefront6targetE0EEEvS13_
    .private_segment_fixed_size: 0
    .sgpr_count:     0
    .sgpr_spill_count: 0
    .symbol:         _ZN7rocprim17ROCPRIM_400000_NS6detail17trampoline_kernelINS0_13select_configILj256ELj13ELNS0_17block_load_methodE3ELS4_3ELS4_3ELNS0_20block_scan_algorithmE0ELj4294967295EEENS1_25partition_config_selectorILNS1_17partition_subalgoE4EjNS0_10empty_typeEbEEZZNS1_14partition_implILS8_4ELb0ES6_15HIP_vector_typeIjLj2EENS0_17counting_iteratorIjlEEPS9_SG_NS0_5tupleIJPjSI_NS0_16reverse_iteratorISI_EEEEENSH_IJSG_SG_SG_EEES9_SI_JZNS1_25segmented_radix_sort_implINS0_14default_configELb1EPK6__halfPSP_PKlPlN2at6native12_GLOBAL__N_18offset_tEEE10hipError_tPvRmT1_PNSt15iterator_traitsIS13_E10value_typeET2_T3_PNS14_IS19_E10value_typeET4_jRbjT5_S1F_jjP12ihipStream_tbEUljE_ZNSN_ISO_Lb1ESR_SS_SU_SV_SZ_EES10_S11_S12_S13_S17_S18_S19_S1C_S1D_jS1E_jS1F_S1F_jjS1H_bEUljE0_EEES10_S11_S12_S19_S1D_S1F_T6_T7_T9_mT8_S1H_bDpT10_ENKUlT_T0_E_clISt17integral_constantIbLb0EES1V_EEDaS1Q_S1R_EUlS1Q_E_NS1_11comp_targetILNS1_3genE4ELNS1_11target_archE910ELNS1_3gpuE8ELNS1_3repE0EEENS1_30default_config_static_selectorELNS0_4arch9wavefront6targetE0EEEvS13_.kd
    .uniform_work_group_size: 1
    .uses_dynamic_stack: false
    .vgpr_count:     0
    .vgpr_spill_count: 0
    .wavefront_size: 32
    .workgroup_processor_mode: 1
  - .args:
      - .offset:         0
        .size:           176
        .value_kind:     by_value
    .group_segment_fixed_size: 0
    .kernarg_segment_align: 8
    .kernarg_segment_size: 176
    .language:       OpenCL C
    .language_version:
      - 2
      - 0
    .max_flat_workgroup_size: 256
    .name:           _ZN7rocprim17ROCPRIM_400000_NS6detail17trampoline_kernelINS0_13select_configILj256ELj13ELNS0_17block_load_methodE3ELS4_3ELS4_3ELNS0_20block_scan_algorithmE0ELj4294967295EEENS1_25partition_config_selectorILNS1_17partition_subalgoE4EjNS0_10empty_typeEbEEZZNS1_14partition_implILS8_4ELb0ES6_15HIP_vector_typeIjLj2EENS0_17counting_iteratorIjlEEPS9_SG_NS0_5tupleIJPjSI_NS0_16reverse_iteratorISI_EEEEENSH_IJSG_SG_SG_EEES9_SI_JZNS1_25segmented_radix_sort_implINS0_14default_configELb1EPK6__halfPSP_PKlPlN2at6native12_GLOBAL__N_18offset_tEEE10hipError_tPvRmT1_PNSt15iterator_traitsIS13_E10value_typeET2_T3_PNS14_IS19_E10value_typeET4_jRbjT5_S1F_jjP12ihipStream_tbEUljE_ZNSN_ISO_Lb1ESR_SS_SU_SV_SZ_EES10_S11_S12_S13_S17_S18_S19_S1C_S1D_jS1E_jS1F_S1F_jjS1H_bEUljE0_EEES10_S11_S12_S19_S1D_S1F_T6_T7_T9_mT8_S1H_bDpT10_ENKUlT_T0_E_clISt17integral_constantIbLb0EES1V_EEDaS1Q_S1R_EUlS1Q_E_NS1_11comp_targetILNS1_3genE3ELNS1_11target_archE908ELNS1_3gpuE7ELNS1_3repE0EEENS1_30default_config_static_selectorELNS0_4arch9wavefront6targetE0EEEvS13_
    .private_segment_fixed_size: 0
    .sgpr_count:     0
    .sgpr_spill_count: 0
    .symbol:         _ZN7rocprim17ROCPRIM_400000_NS6detail17trampoline_kernelINS0_13select_configILj256ELj13ELNS0_17block_load_methodE3ELS4_3ELS4_3ELNS0_20block_scan_algorithmE0ELj4294967295EEENS1_25partition_config_selectorILNS1_17partition_subalgoE4EjNS0_10empty_typeEbEEZZNS1_14partition_implILS8_4ELb0ES6_15HIP_vector_typeIjLj2EENS0_17counting_iteratorIjlEEPS9_SG_NS0_5tupleIJPjSI_NS0_16reverse_iteratorISI_EEEEENSH_IJSG_SG_SG_EEES9_SI_JZNS1_25segmented_radix_sort_implINS0_14default_configELb1EPK6__halfPSP_PKlPlN2at6native12_GLOBAL__N_18offset_tEEE10hipError_tPvRmT1_PNSt15iterator_traitsIS13_E10value_typeET2_T3_PNS14_IS19_E10value_typeET4_jRbjT5_S1F_jjP12ihipStream_tbEUljE_ZNSN_ISO_Lb1ESR_SS_SU_SV_SZ_EES10_S11_S12_S13_S17_S18_S19_S1C_S1D_jS1E_jS1F_S1F_jjS1H_bEUljE0_EEES10_S11_S12_S19_S1D_S1F_T6_T7_T9_mT8_S1H_bDpT10_ENKUlT_T0_E_clISt17integral_constantIbLb0EES1V_EEDaS1Q_S1R_EUlS1Q_E_NS1_11comp_targetILNS1_3genE3ELNS1_11target_archE908ELNS1_3gpuE7ELNS1_3repE0EEENS1_30default_config_static_selectorELNS0_4arch9wavefront6targetE0EEEvS13_.kd
    .uniform_work_group_size: 1
    .uses_dynamic_stack: false
    .vgpr_count:     0
    .vgpr_spill_count: 0
    .wavefront_size: 32
    .workgroup_processor_mode: 1
  - .args:
      - .offset:         0
        .size:           176
        .value_kind:     by_value
    .group_segment_fixed_size: 0
    .kernarg_segment_align: 8
    .kernarg_segment_size: 176
    .language:       OpenCL C
    .language_version:
      - 2
      - 0
    .max_flat_workgroup_size: 256
    .name:           _ZN7rocprim17ROCPRIM_400000_NS6detail17trampoline_kernelINS0_13select_configILj256ELj13ELNS0_17block_load_methodE3ELS4_3ELS4_3ELNS0_20block_scan_algorithmE0ELj4294967295EEENS1_25partition_config_selectorILNS1_17partition_subalgoE4EjNS0_10empty_typeEbEEZZNS1_14partition_implILS8_4ELb0ES6_15HIP_vector_typeIjLj2EENS0_17counting_iteratorIjlEEPS9_SG_NS0_5tupleIJPjSI_NS0_16reverse_iteratorISI_EEEEENSH_IJSG_SG_SG_EEES9_SI_JZNS1_25segmented_radix_sort_implINS0_14default_configELb1EPK6__halfPSP_PKlPlN2at6native12_GLOBAL__N_18offset_tEEE10hipError_tPvRmT1_PNSt15iterator_traitsIS13_E10value_typeET2_T3_PNS14_IS19_E10value_typeET4_jRbjT5_S1F_jjP12ihipStream_tbEUljE_ZNSN_ISO_Lb1ESR_SS_SU_SV_SZ_EES10_S11_S12_S13_S17_S18_S19_S1C_S1D_jS1E_jS1F_S1F_jjS1H_bEUljE0_EEES10_S11_S12_S19_S1D_S1F_T6_T7_T9_mT8_S1H_bDpT10_ENKUlT_T0_E_clISt17integral_constantIbLb0EES1V_EEDaS1Q_S1R_EUlS1Q_E_NS1_11comp_targetILNS1_3genE2ELNS1_11target_archE906ELNS1_3gpuE6ELNS1_3repE0EEENS1_30default_config_static_selectorELNS0_4arch9wavefront6targetE0EEEvS13_
    .private_segment_fixed_size: 0
    .sgpr_count:     0
    .sgpr_spill_count: 0
    .symbol:         _ZN7rocprim17ROCPRIM_400000_NS6detail17trampoline_kernelINS0_13select_configILj256ELj13ELNS0_17block_load_methodE3ELS4_3ELS4_3ELNS0_20block_scan_algorithmE0ELj4294967295EEENS1_25partition_config_selectorILNS1_17partition_subalgoE4EjNS0_10empty_typeEbEEZZNS1_14partition_implILS8_4ELb0ES6_15HIP_vector_typeIjLj2EENS0_17counting_iteratorIjlEEPS9_SG_NS0_5tupleIJPjSI_NS0_16reverse_iteratorISI_EEEEENSH_IJSG_SG_SG_EEES9_SI_JZNS1_25segmented_radix_sort_implINS0_14default_configELb1EPK6__halfPSP_PKlPlN2at6native12_GLOBAL__N_18offset_tEEE10hipError_tPvRmT1_PNSt15iterator_traitsIS13_E10value_typeET2_T3_PNS14_IS19_E10value_typeET4_jRbjT5_S1F_jjP12ihipStream_tbEUljE_ZNSN_ISO_Lb1ESR_SS_SU_SV_SZ_EES10_S11_S12_S13_S17_S18_S19_S1C_S1D_jS1E_jS1F_S1F_jjS1H_bEUljE0_EEES10_S11_S12_S19_S1D_S1F_T6_T7_T9_mT8_S1H_bDpT10_ENKUlT_T0_E_clISt17integral_constantIbLb0EES1V_EEDaS1Q_S1R_EUlS1Q_E_NS1_11comp_targetILNS1_3genE2ELNS1_11target_archE906ELNS1_3gpuE6ELNS1_3repE0EEENS1_30default_config_static_selectorELNS0_4arch9wavefront6targetE0EEEvS13_.kd
    .uniform_work_group_size: 1
    .uses_dynamic_stack: false
    .vgpr_count:     0
    .vgpr_spill_count: 0
    .wavefront_size: 32
    .workgroup_processor_mode: 1
  - .args:
      - .offset:         0
        .size:           176
        .value_kind:     by_value
    .group_segment_fixed_size: 0
    .kernarg_segment_align: 8
    .kernarg_segment_size: 176
    .language:       OpenCL C
    .language_version:
      - 2
      - 0
    .max_flat_workgroup_size: 256
    .name:           _ZN7rocprim17ROCPRIM_400000_NS6detail17trampoline_kernelINS0_13select_configILj256ELj13ELNS0_17block_load_methodE3ELS4_3ELS4_3ELNS0_20block_scan_algorithmE0ELj4294967295EEENS1_25partition_config_selectorILNS1_17partition_subalgoE4EjNS0_10empty_typeEbEEZZNS1_14partition_implILS8_4ELb0ES6_15HIP_vector_typeIjLj2EENS0_17counting_iteratorIjlEEPS9_SG_NS0_5tupleIJPjSI_NS0_16reverse_iteratorISI_EEEEENSH_IJSG_SG_SG_EEES9_SI_JZNS1_25segmented_radix_sort_implINS0_14default_configELb1EPK6__halfPSP_PKlPlN2at6native12_GLOBAL__N_18offset_tEEE10hipError_tPvRmT1_PNSt15iterator_traitsIS13_E10value_typeET2_T3_PNS14_IS19_E10value_typeET4_jRbjT5_S1F_jjP12ihipStream_tbEUljE_ZNSN_ISO_Lb1ESR_SS_SU_SV_SZ_EES10_S11_S12_S13_S17_S18_S19_S1C_S1D_jS1E_jS1F_S1F_jjS1H_bEUljE0_EEES10_S11_S12_S19_S1D_S1F_T6_T7_T9_mT8_S1H_bDpT10_ENKUlT_T0_E_clISt17integral_constantIbLb0EES1V_EEDaS1Q_S1R_EUlS1Q_E_NS1_11comp_targetILNS1_3genE10ELNS1_11target_archE1200ELNS1_3gpuE4ELNS1_3repE0EEENS1_30default_config_static_selectorELNS0_4arch9wavefront6targetE0EEEvS13_
    .private_segment_fixed_size: 0
    .sgpr_count:     0
    .sgpr_spill_count: 0
    .symbol:         _ZN7rocprim17ROCPRIM_400000_NS6detail17trampoline_kernelINS0_13select_configILj256ELj13ELNS0_17block_load_methodE3ELS4_3ELS4_3ELNS0_20block_scan_algorithmE0ELj4294967295EEENS1_25partition_config_selectorILNS1_17partition_subalgoE4EjNS0_10empty_typeEbEEZZNS1_14partition_implILS8_4ELb0ES6_15HIP_vector_typeIjLj2EENS0_17counting_iteratorIjlEEPS9_SG_NS0_5tupleIJPjSI_NS0_16reverse_iteratorISI_EEEEENSH_IJSG_SG_SG_EEES9_SI_JZNS1_25segmented_radix_sort_implINS0_14default_configELb1EPK6__halfPSP_PKlPlN2at6native12_GLOBAL__N_18offset_tEEE10hipError_tPvRmT1_PNSt15iterator_traitsIS13_E10value_typeET2_T3_PNS14_IS19_E10value_typeET4_jRbjT5_S1F_jjP12ihipStream_tbEUljE_ZNSN_ISO_Lb1ESR_SS_SU_SV_SZ_EES10_S11_S12_S13_S17_S18_S19_S1C_S1D_jS1E_jS1F_S1F_jjS1H_bEUljE0_EEES10_S11_S12_S19_S1D_S1F_T6_T7_T9_mT8_S1H_bDpT10_ENKUlT_T0_E_clISt17integral_constantIbLb0EES1V_EEDaS1Q_S1R_EUlS1Q_E_NS1_11comp_targetILNS1_3genE10ELNS1_11target_archE1200ELNS1_3gpuE4ELNS1_3repE0EEENS1_30default_config_static_selectorELNS0_4arch9wavefront6targetE0EEEvS13_.kd
    .uniform_work_group_size: 1
    .uses_dynamic_stack: false
    .vgpr_count:     0
    .vgpr_spill_count: 0
    .wavefront_size: 32
    .workgroup_processor_mode: 1
  - .args:
      - .offset:         0
        .size:           176
        .value_kind:     by_value
    .group_segment_fixed_size: 0
    .kernarg_segment_align: 8
    .kernarg_segment_size: 176
    .language:       OpenCL C
    .language_version:
      - 2
      - 0
    .max_flat_workgroup_size: 256
    .name:           _ZN7rocprim17ROCPRIM_400000_NS6detail17trampoline_kernelINS0_13select_configILj256ELj13ELNS0_17block_load_methodE3ELS4_3ELS4_3ELNS0_20block_scan_algorithmE0ELj4294967295EEENS1_25partition_config_selectorILNS1_17partition_subalgoE4EjNS0_10empty_typeEbEEZZNS1_14partition_implILS8_4ELb0ES6_15HIP_vector_typeIjLj2EENS0_17counting_iteratorIjlEEPS9_SG_NS0_5tupleIJPjSI_NS0_16reverse_iteratorISI_EEEEENSH_IJSG_SG_SG_EEES9_SI_JZNS1_25segmented_radix_sort_implINS0_14default_configELb1EPK6__halfPSP_PKlPlN2at6native12_GLOBAL__N_18offset_tEEE10hipError_tPvRmT1_PNSt15iterator_traitsIS13_E10value_typeET2_T3_PNS14_IS19_E10value_typeET4_jRbjT5_S1F_jjP12ihipStream_tbEUljE_ZNSN_ISO_Lb1ESR_SS_SU_SV_SZ_EES10_S11_S12_S13_S17_S18_S19_S1C_S1D_jS1E_jS1F_S1F_jjS1H_bEUljE0_EEES10_S11_S12_S19_S1D_S1F_T6_T7_T9_mT8_S1H_bDpT10_ENKUlT_T0_E_clISt17integral_constantIbLb0EES1V_EEDaS1Q_S1R_EUlS1Q_E_NS1_11comp_targetILNS1_3genE9ELNS1_11target_archE1100ELNS1_3gpuE3ELNS1_3repE0EEENS1_30default_config_static_selectorELNS0_4arch9wavefront6targetE0EEEvS13_
    .private_segment_fixed_size: 0
    .sgpr_count:     0
    .sgpr_spill_count: 0
    .symbol:         _ZN7rocprim17ROCPRIM_400000_NS6detail17trampoline_kernelINS0_13select_configILj256ELj13ELNS0_17block_load_methodE3ELS4_3ELS4_3ELNS0_20block_scan_algorithmE0ELj4294967295EEENS1_25partition_config_selectorILNS1_17partition_subalgoE4EjNS0_10empty_typeEbEEZZNS1_14partition_implILS8_4ELb0ES6_15HIP_vector_typeIjLj2EENS0_17counting_iteratorIjlEEPS9_SG_NS0_5tupleIJPjSI_NS0_16reverse_iteratorISI_EEEEENSH_IJSG_SG_SG_EEES9_SI_JZNS1_25segmented_radix_sort_implINS0_14default_configELb1EPK6__halfPSP_PKlPlN2at6native12_GLOBAL__N_18offset_tEEE10hipError_tPvRmT1_PNSt15iterator_traitsIS13_E10value_typeET2_T3_PNS14_IS19_E10value_typeET4_jRbjT5_S1F_jjP12ihipStream_tbEUljE_ZNSN_ISO_Lb1ESR_SS_SU_SV_SZ_EES10_S11_S12_S13_S17_S18_S19_S1C_S1D_jS1E_jS1F_S1F_jjS1H_bEUljE0_EEES10_S11_S12_S19_S1D_S1F_T6_T7_T9_mT8_S1H_bDpT10_ENKUlT_T0_E_clISt17integral_constantIbLb0EES1V_EEDaS1Q_S1R_EUlS1Q_E_NS1_11comp_targetILNS1_3genE9ELNS1_11target_archE1100ELNS1_3gpuE3ELNS1_3repE0EEENS1_30default_config_static_selectorELNS0_4arch9wavefront6targetE0EEEvS13_.kd
    .uniform_work_group_size: 1
    .uses_dynamic_stack: false
    .vgpr_count:     0
    .vgpr_spill_count: 0
    .wavefront_size: 32
    .workgroup_processor_mode: 1
  - .args:
      - .offset:         0
        .size:           176
        .value_kind:     by_value
    .group_segment_fixed_size: 13328
    .kernarg_segment_align: 8
    .kernarg_segment_size: 176
    .language:       OpenCL C
    .language_version:
      - 2
      - 0
    .max_flat_workgroup_size: 256
    .name:           _ZN7rocprim17ROCPRIM_400000_NS6detail17trampoline_kernelINS0_13select_configILj256ELj13ELNS0_17block_load_methodE3ELS4_3ELS4_3ELNS0_20block_scan_algorithmE0ELj4294967295EEENS1_25partition_config_selectorILNS1_17partition_subalgoE4EjNS0_10empty_typeEbEEZZNS1_14partition_implILS8_4ELb0ES6_15HIP_vector_typeIjLj2EENS0_17counting_iteratorIjlEEPS9_SG_NS0_5tupleIJPjSI_NS0_16reverse_iteratorISI_EEEEENSH_IJSG_SG_SG_EEES9_SI_JZNS1_25segmented_radix_sort_implINS0_14default_configELb1EPK6__halfPSP_PKlPlN2at6native12_GLOBAL__N_18offset_tEEE10hipError_tPvRmT1_PNSt15iterator_traitsIS13_E10value_typeET2_T3_PNS14_IS19_E10value_typeET4_jRbjT5_S1F_jjP12ihipStream_tbEUljE_ZNSN_ISO_Lb1ESR_SS_SU_SV_SZ_EES10_S11_S12_S13_S17_S18_S19_S1C_S1D_jS1E_jS1F_S1F_jjS1H_bEUljE0_EEES10_S11_S12_S19_S1D_S1F_T6_T7_T9_mT8_S1H_bDpT10_ENKUlT_T0_E_clISt17integral_constantIbLb0EES1V_EEDaS1Q_S1R_EUlS1Q_E_NS1_11comp_targetILNS1_3genE8ELNS1_11target_archE1030ELNS1_3gpuE2ELNS1_3repE0EEENS1_30default_config_static_selectorELNS0_4arch9wavefront6targetE0EEEvS13_
    .private_segment_fixed_size: 0
    .sgpr_count:     61
    .sgpr_spill_count: 0
    .symbol:         _ZN7rocprim17ROCPRIM_400000_NS6detail17trampoline_kernelINS0_13select_configILj256ELj13ELNS0_17block_load_methodE3ELS4_3ELS4_3ELNS0_20block_scan_algorithmE0ELj4294967295EEENS1_25partition_config_selectorILNS1_17partition_subalgoE4EjNS0_10empty_typeEbEEZZNS1_14partition_implILS8_4ELb0ES6_15HIP_vector_typeIjLj2EENS0_17counting_iteratorIjlEEPS9_SG_NS0_5tupleIJPjSI_NS0_16reverse_iteratorISI_EEEEENSH_IJSG_SG_SG_EEES9_SI_JZNS1_25segmented_radix_sort_implINS0_14default_configELb1EPK6__halfPSP_PKlPlN2at6native12_GLOBAL__N_18offset_tEEE10hipError_tPvRmT1_PNSt15iterator_traitsIS13_E10value_typeET2_T3_PNS14_IS19_E10value_typeET4_jRbjT5_S1F_jjP12ihipStream_tbEUljE_ZNSN_ISO_Lb1ESR_SS_SU_SV_SZ_EES10_S11_S12_S13_S17_S18_S19_S1C_S1D_jS1E_jS1F_S1F_jjS1H_bEUljE0_EEES10_S11_S12_S19_S1D_S1F_T6_T7_T9_mT8_S1H_bDpT10_ENKUlT_T0_E_clISt17integral_constantIbLb0EES1V_EEDaS1Q_S1R_EUlS1Q_E_NS1_11comp_targetILNS1_3genE8ELNS1_11target_archE1030ELNS1_3gpuE2ELNS1_3repE0EEENS1_30default_config_static_selectorELNS0_4arch9wavefront6targetE0EEEvS13_.kd
    .uniform_work_group_size: 1
    .uses_dynamic_stack: false
    .vgpr_count:     82
    .vgpr_spill_count: 0
    .wavefront_size: 32
    .workgroup_processor_mode: 1
  - .args:
      - .offset:         0
        .size:           184
        .value_kind:     by_value
    .group_segment_fixed_size: 0
    .kernarg_segment_align: 8
    .kernarg_segment_size: 184
    .language:       OpenCL C
    .language_version:
      - 2
      - 0
    .max_flat_workgroup_size: 256
    .name:           _ZN7rocprim17ROCPRIM_400000_NS6detail17trampoline_kernelINS0_13select_configILj256ELj13ELNS0_17block_load_methodE3ELS4_3ELS4_3ELNS0_20block_scan_algorithmE0ELj4294967295EEENS1_25partition_config_selectorILNS1_17partition_subalgoE4EjNS0_10empty_typeEbEEZZNS1_14partition_implILS8_4ELb0ES6_15HIP_vector_typeIjLj2EENS0_17counting_iteratorIjlEEPS9_SG_NS0_5tupleIJPjSI_NS0_16reverse_iteratorISI_EEEEENSH_IJSG_SG_SG_EEES9_SI_JZNS1_25segmented_radix_sort_implINS0_14default_configELb1EPK6__halfPSP_PKlPlN2at6native12_GLOBAL__N_18offset_tEEE10hipError_tPvRmT1_PNSt15iterator_traitsIS13_E10value_typeET2_T3_PNS14_IS19_E10value_typeET4_jRbjT5_S1F_jjP12ihipStream_tbEUljE_ZNSN_ISO_Lb1ESR_SS_SU_SV_SZ_EES10_S11_S12_S13_S17_S18_S19_S1C_S1D_jS1E_jS1F_S1F_jjS1H_bEUljE0_EEES10_S11_S12_S19_S1D_S1F_T6_T7_T9_mT8_S1H_bDpT10_ENKUlT_T0_E_clISt17integral_constantIbLb1EES1V_EEDaS1Q_S1R_EUlS1Q_E_NS1_11comp_targetILNS1_3genE0ELNS1_11target_archE4294967295ELNS1_3gpuE0ELNS1_3repE0EEENS1_30default_config_static_selectorELNS0_4arch9wavefront6targetE0EEEvS13_
    .private_segment_fixed_size: 0
    .sgpr_count:     0
    .sgpr_spill_count: 0
    .symbol:         _ZN7rocprim17ROCPRIM_400000_NS6detail17trampoline_kernelINS0_13select_configILj256ELj13ELNS0_17block_load_methodE3ELS4_3ELS4_3ELNS0_20block_scan_algorithmE0ELj4294967295EEENS1_25partition_config_selectorILNS1_17partition_subalgoE4EjNS0_10empty_typeEbEEZZNS1_14partition_implILS8_4ELb0ES6_15HIP_vector_typeIjLj2EENS0_17counting_iteratorIjlEEPS9_SG_NS0_5tupleIJPjSI_NS0_16reverse_iteratorISI_EEEEENSH_IJSG_SG_SG_EEES9_SI_JZNS1_25segmented_radix_sort_implINS0_14default_configELb1EPK6__halfPSP_PKlPlN2at6native12_GLOBAL__N_18offset_tEEE10hipError_tPvRmT1_PNSt15iterator_traitsIS13_E10value_typeET2_T3_PNS14_IS19_E10value_typeET4_jRbjT5_S1F_jjP12ihipStream_tbEUljE_ZNSN_ISO_Lb1ESR_SS_SU_SV_SZ_EES10_S11_S12_S13_S17_S18_S19_S1C_S1D_jS1E_jS1F_S1F_jjS1H_bEUljE0_EEES10_S11_S12_S19_S1D_S1F_T6_T7_T9_mT8_S1H_bDpT10_ENKUlT_T0_E_clISt17integral_constantIbLb1EES1V_EEDaS1Q_S1R_EUlS1Q_E_NS1_11comp_targetILNS1_3genE0ELNS1_11target_archE4294967295ELNS1_3gpuE0ELNS1_3repE0EEENS1_30default_config_static_selectorELNS0_4arch9wavefront6targetE0EEEvS13_.kd
    .uniform_work_group_size: 1
    .uses_dynamic_stack: false
    .vgpr_count:     0
    .vgpr_spill_count: 0
    .wavefront_size: 32
    .workgroup_processor_mode: 1
  - .args:
      - .offset:         0
        .size:           184
        .value_kind:     by_value
    .group_segment_fixed_size: 0
    .kernarg_segment_align: 8
    .kernarg_segment_size: 184
    .language:       OpenCL C
    .language_version:
      - 2
      - 0
    .max_flat_workgroup_size: 256
    .name:           _ZN7rocprim17ROCPRIM_400000_NS6detail17trampoline_kernelINS0_13select_configILj256ELj13ELNS0_17block_load_methodE3ELS4_3ELS4_3ELNS0_20block_scan_algorithmE0ELj4294967295EEENS1_25partition_config_selectorILNS1_17partition_subalgoE4EjNS0_10empty_typeEbEEZZNS1_14partition_implILS8_4ELb0ES6_15HIP_vector_typeIjLj2EENS0_17counting_iteratorIjlEEPS9_SG_NS0_5tupleIJPjSI_NS0_16reverse_iteratorISI_EEEEENSH_IJSG_SG_SG_EEES9_SI_JZNS1_25segmented_radix_sort_implINS0_14default_configELb1EPK6__halfPSP_PKlPlN2at6native12_GLOBAL__N_18offset_tEEE10hipError_tPvRmT1_PNSt15iterator_traitsIS13_E10value_typeET2_T3_PNS14_IS19_E10value_typeET4_jRbjT5_S1F_jjP12ihipStream_tbEUljE_ZNSN_ISO_Lb1ESR_SS_SU_SV_SZ_EES10_S11_S12_S13_S17_S18_S19_S1C_S1D_jS1E_jS1F_S1F_jjS1H_bEUljE0_EEES10_S11_S12_S19_S1D_S1F_T6_T7_T9_mT8_S1H_bDpT10_ENKUlT_T0_E_clISt17integral_constantIbLb1EES1V_EEDaS1Q_S1R_EUlS1Q_E_NS1_11comp_targetILNS1_3genE5ELNS1_11target_archE942ELNS1_3gpuE9ELNS1_3repE0EEENS1_30default_config_static_selectorELNS0_4arch9wavefront6targetE0EEEvS13_
    .private_segment_fixed_size: 0
    .sgpr_count:     0
    .sgpr_spill_count: 0
    .symbol:         _ZN7rocprim17ROCPRIM_400000_NS6detail17trampoline_kernelINS0_13select_configILj256ELj13ELNS0_17block_load_methodE3ELS4_3ELS4_3ELNS0_20block_scan_algorithmE0ELj4294967295EEENS1_25partition_config_selectorILNS1_17partition_subalgoE4EjNS0_10empty_typeEbEEZZNS1_14partition_implILS8_4ELb0ES6_15HIP_vector_typeIjLj2EENS0_17counting_iteratorIjlEEPS9_SG_NS0_5tupleIJPjSI_NS0_16reverse_iteratorISI_EEEEENSH_IJSG_SG_SG_EEES9_SI_JZNS1_25segmented_radix_sort_implINS0_14default_configELb1EPK6__halfPSP_PKlPlN2at6native12_GLOBAL__N_18offset_tEEE10hipError_tPvRmT1_PNSt15iterator_traitsIS13_E10value_typeET2_T3_PNS14_IS19_E10value_typeET4_jRbjT5_S1F_jjP12ihipStream_tbEUljE_ZNSN_ISO_Lb1ESR_SS_SU_SV_SZ_EES10_S11_S12_S13_S17_S18_S19_S1C_S1D_jS1E_jS1F_S1F_jjS1H_bEUljE0_EEES10_S11_S12_S19_S1D_S1F_T6_T7_T9_mT8_S1H_bDpT10_ENKUlT_T0_E_clISt17integral_constantIbLb1EES1V_EEDaS1Q_S1R_EUlS1Q_E_NS1_11comp_targetILNS1_3genE5ELNS1_11target_archE942ELNS1_3gpuE9ELNS1_3repE0EEENS1_30default_config_static_selectorELNS0_4arch9wavefront6targetE0EEEvS13_.kd
    .uniform_work_group_size: 1
    .uses_dynamic_stack: false
    .vgpr_count:     0
    .vgpr_spill_count: 0
    .wavefront_size: 32
    .workgroup_processor_mode: 1
  - .args:
      - .offset:         0
        .size:           184
        .value_kind:     by_value
    .group_segment_fixed_size: 0
    .kernarg_segment_align: 8
    .kernarg_segment_size: 184
    .language:       OpenCL C
    .language_version:
      - 2
      - 0
    .max_flat_workgroup_size: 256
    .name:           _ZN7rocprim17ROCPRIM_400000_NS6detail17trampoline_kernelINS0_13select_configILj256ELj13ELNS0_17block_load_methodE3ELS4_3ELS4_3ELNS0_20block_scan_algorithmE0ELj4294967295EEENS1_25partition_config_selectorILNS1_17partition_subalgoE4EjNS0_10empty_typeEbEEZZNS1_14partition_implILS8_4ELb0ES6_15HIP_vector_typeIjLj2EENS0_17counting_iteratorIjlEEPS9_SG_NS0_5tupleIJPjSI_NS0_16reverse_iteratorISI_EEEEENSH_IJSG_SG_SG_EEES9_SI_JZNS1_25segmented_radix_sort_implINS0_14default_configELb1EPK6__halfPSP_PKlPlN2at6native12_GLOBAL__N_18offset_tEEE10hipError_tPvRmT1_PNSt15iterator_traitsIS13_E10value_typeET2_T3_PNS14_IS19_E10value_typeET4_jRbjT5_S1F_jjP12ihipStream_tbEUljE_ZNSN_ISO_Lb1ESR_SS_SU_SV_SZ_EES10_S11_S12_S13_S17_S18_S19_S1C_S1D_jS1E_jS1F_S1F_jjS1H_bEUljE0_EEES10_S11_S12_S19_S1D_S1F_T6_T7_T9_mT8_S1H_bDpT10_ENKUlT_T0_E_clISt17integral_constantIbLb1EES1V_EEDaS1Q_S1R_EUlS1Q_E_NS1_11comp_targetILNS1_3genE4ELNS1_11target_archE910ELNS1_3gpuE8ELNS1_3repE0EEENS1_30default_config_static_selectorELNS0_4arch9wavefront6targetE0EEEvS13_
    .private_segment_fixed_size: 0
    .sgpr_count:     0
    .sgpr_spill_count: 0
    .symbol:         _ZN7rocprim17ROCPRIM_400000_NS6detail17trampoline_kernelINS0_13select_configILj256ELj13ELNS0_17block_load_methodE3ELS4_3ELS4_3ELNS0_20block_scan_algorithmE0ELj4294967295EEENS1_25partition_config_selectorILNS1_17partition_subalgoE4EjNS0_10empty_typeEbEEZZNS1_14partition_implILS8_4ELb0ES6_15HIP_vector_typeIjLj2EENS0_17counting_iteratorIjlEEPS9_SG_NS0_5tupleIJPjSI_NS0_16reverse_iteratorISI_EEEEENSH_IJSG_SG_SG_EEES9_SI_JZNS1_25segmented_radix_sort_implINS0_14default_configELb1EPK6__halfPSP_PKlPlN2at6native12_GLOBAL__N_18offset_tEEE10hipError_tPvRmT1_PNSt15iterator_traitsIS13_E10value_typeET2_T3_PNS14_IS19_E10value_typeET4_jRbjT5_S1F_jjP12ihipStream_tbEUljE_ZNSN_ISO_Lb1ESR_SS_SU_SV_SZ_EES10_S11_S12_S13_S17_S18_S19_S1C_S1D_jS1E_jS1F_S1F_jjS1H_bEUljE0_EEES10_S11_S12_S19_S1D_S1F_T6_T7_T9_mT8_S1H_bDpT10_ENKUlT_T0_E_clISt17integral_constantIbLb1EES1V_EEDaS1Q_S1R_EUlS1Q_E_NS1_11comp_targetILNS1_3genE4ELNS1_11target_archE910ELNS1_3gpuE8ELNS1_3repE0EEENS1_30default_config_static_selectorELNS0_4arch9wavefront6targetE0EEEvS13_.kd
    .uniform_work_group_size: 1
    .uses_dynamic_stack: false
    .vgpr_count:     0
    .vgpr_spill_count: 0
    .wavefront_size: 32
    .workgroup_processor_mode: 1
  - .args:
      - .offset:         0
        .size:           184
        .value_kind:     by_value
    .group_segment_fixed_size: 0
    .kernarg_segment_align: 8
    .kernarg_segment_size: 184
    .language:       OpenCL C
    .language_version:
      - 2
      - 0
    .max_flat_workgroup_size: 256
    .name:           _ZN7rocprim17ROCPRIM_400000_NS6detail17trampoline_kernelINS0_13select_configILj256ELj13ELNS0_17block_load_methodE3ELS4_3ELS4_3ELNS0_20block_scan_algorithmE0ELj4294967295EEENS1_25partition_config_selectorILNS1_17partition_subalgoE4EjNS0_10empty_typeEbEEZZNS1_14partition_implILS8_4ELb0ES6_15HIP_vector_typeIjLj2EENS0_17counting_iteratorIjlEEPS9_SG_NS0_5tupleIJPjSI_NS0_16reverse_iteratorISI_EEEEENSH_IJSG_SG_SG_EEES9_SI_JZNS1_25segmented_radix_sort_implINS0_14default_configELb1EPK6__halfPSP_PKlPlN2at6native12_GLOBAL__N_18offset_tEEE10hipError_tPvRmT1_PNSt15iterator_traitsIS13_E10value_typeET2_T3_PNS14_IS19_E10value_typeET4_jRbjT5_S1F_jjP12ihipStream_tbEUljE_ZNSN_ISO_Lb1ESR_SS_SU_SV_SZ_EES10_S11_S12_S13_S17_S18_S19_S1C_S1D_jS1E_jS1F_S1F_jjS1H_bEUljE0_EEES10_S11_S12_S19_S1D_S1F_T6_T7_T9_mT8_S1H_bDpT10_ENKUlT_T0_E_clISt17integral_constantIbLb1EES1V_EEDaS1Q_S1R_EUlS1Q_E_NS1_11comp_targetILNS1_3genE3ELNS1_11target_archE908ELNS1_3gpuE7ELNS1_3repE0EEENS1_30default_config_static_selectorELNS0_4arch9wavefront6targetE0EEEvS13_
    .private_segment_fixed_size: 0
    .sgpr_count:     0
    .sgpr_spill_count: 0
    .symbol:         _ZN7rocprim17ROCPRIM_400000_NS6detail17trampoline_kernelINS0_13select_configILj256ELj13ELNS0_17block_load_methodE3ELS4_3ELS4_3ELNS0_20block_scan_algorithmE0ELj4294967295EEENS1_25partition_config_selectorILNS1_17partition_subalgoE4EjNS0_10empty_typeEbEEZZNS1_14partition_implILS8_4ELb0ES6_15HIP_vector_typeIjLj2EENS0_17counting_iteratorIjlEEPS9_SG_NS0_5tupleIJPjSI_NS0_16reverse_iteratorISI_EEEEENSH_IJSG_SG_SG_EEES9_SI_JZNS1_25segmented_radix_sort_implINS0_14default_configELb1EPK6__halfPSP_PKlPlN2at6native12_GLOBAL__N_18offset_tEEE10hipError_tPvRmT1_PNSt15iterator_traitsIS13_E10value_typeET2_T3_PNS14_IS19_E10value_typeET4_jRbjT5_S1F_jjP12ihipStream_tbEUljE_ZNSN_ISO_Lb1ESR_SS_SU_SV_SZ_EES10_S11_S12_S13_S17_S18_S19_S1C_S1D_jS1E_jS1F_S1F_jjS1H_bEUljE0_EEES10_S11_S12_S19_S1D_S1F_T6_T7_T9_mT8_S1H_bDpT10_ENKUlT_T0_E_clISt17integral_constantIbLb1EES1V_EEDaS1Q_S1R_EUlS1Q_E_NS1_11comp_targetILNS1_3genE3ELNS1_11target_archE908ELNS1_3gpuE7ELNS1_3repE0EEENS1_30default_config_static_selectorELNS0_4arch9wavefront6targetE0EEEvS13_.kd
    .uniform_work_group_size: 1
    .uses_dynamic_stack: false
    .vgpr_count:     0
    .vgpr_spill_count: 0
    .wavefront_size: 32
    .workgroup_processor_mode: 1
  - .args:
      - .offset:         0
        .size:           184
        .value_kind:     by_value
    .group_segment_fixed_size: 0
    .kernarg_segment_align: 8
    .kernarg_segment_size: 184
    .language:       OpenCL C
    .language_version:
      - 2
      - 0
    .max_flat_workgroup_size: 256
    .name:           _ZN7rocprim17ROCPRIM_400000_NS6detail17trampoline_kernelINS0_13select_configILj256ELj13ELNS0_17block_load_methodE3ELS4_3ELS4_3ELNS0_20block_scan_algorithmE0ELj4294967295EEENS1_25partition_config_selectorILNS1_17partition_subalgoE4EjNS0_10empty_typeEbEEZZNS1_14partition_implILS8_4ELb0ES6_15HIP_vector_typeIjLj2EENS0_17counting_iteratorIjlEEPS9_SG_NS0_5tupleIJPjSI_NS0_16reverse_iteratorISI_EEEEENSH_IJSG_SG_SG_EEES9_SI_JZNS1_25segmented_radix_sort_implINS0_14default_configELb1EPK6__halfPSP_PKlPlN2at6native12_GLOBAL__N_18offset_tEEE10hipError_tPvRmT1_PNSt15iterator_traitsIS13_E10value_typeET2_T3_PNS14_IS19_E10value_typeET4_jRbjT5_S1F_jjP12ihipStream_tbEUljE_ZNSN_ISO_Lb1ESR_SS_SU_SV_SZ_EES10_S11_S12_S13_S17_S18_S19_S1C_S1D_jS1E_jS1F_S1F_jjS1H_bEUljE0_EEES10_S11_S12_S19_S1D_S1F_T6_T7_T9_mT8_S1H_bDpT10_ENKUlT_T0_E_clISt17integral_constantIbLb1EES1V_EEDaS1Q_S1R_EUlS1Q_E_NS1_11comp_targetILNS1_3genE2ELNS1_11target_archE906ELNS1_3gpuE6ELNS1_3repE0EEENS1_30default_config_static_selectorELNS0_4arch9wavefront6targetE0EEEvS13_
    .private_segment_fixed_size: 0
    .sgpr_count:     0
    .sgpr_spill_count: 0
    .symbol:         _ZN7rocprim17ROCPRIM_400000_NS6detail17trampoline_kernelINS0_13select_configILj256ELj13ELNS0_17block_load_methodE3ELS4_3ELS4_3ELNS0_20block_scan_algorithmE0ELj4294967295EEENS1_25partition_config_selectorILNS1_17partition_subalgoE4EjNS0_10empty_typeEbEEZZNS1_14partition_implILS8_4ELb0ES6_15HIP_vector_typeIjLj2EENS0_17counting_iteratorIjlEEPS9_SG_NS0_5tupleIJPjSI_NS0_16reverse_iteratorISI_EEEEENSH_IJSG_SG_SG_EEES9_SI_JZNS1_25segmented_radix_sort_implINS0_14default_configELb1EPK6__halfPSP_PKlPlN2at6native12_GLOBAL__N_18offset_tEEE10hipError_tPvRmT1_PNSt15iterator_traitsIS13_E10value_typeET2_T3_PNS14_IS19_E10value_typeET4_jRbjT5_S1F_jjP12ihipStream_tbEUljE_ZNSN_ISO_Lb1ESR_SS_SU_SV_SZ_EES10_S11_S12_S13_S17_S18_S19_S1C_S1D_jS1E_jS1F_S1F_jjS1H_bEUljE0_EEES10_S11_S12_S19_S1D_S1F_T6_T7_T9_mT8_S1H_bDpT10_ENKUlT_T0_E_clISt17integral_constantIbLb1EES1V_EEDaS1Q_S1R_EUlS1Q_E_NS1_11comp_targetILNS1_3genE2ELNS1_11target_archE906ELNS1_3gpuE6ELNS1_3repE0EEENS1_30default_config_static_selectorELNS0_4arch9wavefront6targetE0EEEvS13_.kd
    .uniform_work_group_size: 1
    .uses_dynamic_stack: false
    .vgpr_count:     0
    .vgpr_spill_count: 0
    .wavefront_size: 32
    .workgroup_processor_mode: 1
  - .args:
      - .offset:         0
        .size:           184
        .value_kind:     by_value
    .group_segment_fixed_size: 0
    .kernarg_segment_align: 8
    .kernarg_segment_size: 184
    .language:       OpenCL C
    .language_version:
      - 2
      - 0
    .max_flat_workgroup_size: 256
    .name:           _ZN7rocprim17ROCPRIM_400000_NS6detail17trampoline_kernelINS0_13select_configILj256ELj13ELNS0_17block_load_methodE3ELS4_3ELS4_3ELNS0_20block_scan_algorithmE0ELj4294967295EEENS1_25partition_config_selectorILNS1_17partition_subalgoE4EjNS0_10empty_typeEbEEZZNS1_14partition_implILS8_4ELb0ES6_15HIP_vector_typeIjLj2EENS0_17counting_iteratorIjlEEPS9_SG_NS0_5tupleIJPjSI_NS0_16reverse_iteratorISI_EEEEENSH_IJSG_SG_SG_EEES9_SI_JZNS1_25segmented_radix_sort_implINS0_14default_configELb1EPK6__halfPSP_PKlPlN2at6native12_GLOBAL__N_18offset_tEEE10hipError_tPvRmT1_PNSt15iterator_traitsIS13_E10value_typeET2_T3_PNS14_IS19_E10value_typeET4_jRbjT5_S1F_jjP12ihipStream_tbEUljE_ZNSN_ISO_Lb1ESR_SS_SU_SV_SZ_EES10_S11_S12_S13_S17_S18_S19_S1C_S1D_jS1E_jS1F_S1F_jjS1H_bEUljE0_EEES10_S11_S12_S19_S1D_S1F_T6_T7_T9_mT8_S1H_bDpT10_ENKUlT_T0_E_clISt17integral_constantIbLb1EES1V_EEDaS1Q_S1R_EUlS1Q_E_NS1_11comp_targetILNS1_3genE10ELNS1_11target_archE1200ELNS1_3gpuE4ELNS1_3repE0EEENS1_30default_config_static_selectorELNS0_4arch9wavefront6targetE0EEEvS13_
    .private_segment_fixed_size: 0
    .sgpr_count:     0
    .sgpr_spill_count: 0
    .symbol:         _ZN7rocprim17ROCPRIM_400000_NS6detail17trampoline_kernelINS0_13select_configILj256ELj13ELNS0_17block_load_methodE3ELS4_3ELS4_3ELNS0_20block_scan_algorithmE0ELj4294967295EEENS1_25partition_config_selectorILNS1_17partition_subalgoE4EjNS0_10empty_typeEbEEZZNS1_14partition_implILS8_4ELb0ES6_15HIP_vector_typeIjLj2EENS0_17counting_iteratorIjlEEPS9_SG_NS0_5tupleIJPjSI_NS0_16reverse_iteratorISI_EEEEENSH_IJSG_SG_SG_EEES9_SI_JZNS1_25segmented_radix_sort_implINS0_14default_configELb1EPK6__halfPSP_PKlPlN2at6native12_GLOBAL__N_18offset_tEEE10hipError_tPvRmT1_PNSt15iterator_traitsIS13_E10value_typeET2_T3_PNS14_IS19_E10value_typeET4_jRbjT5_S1F_jjP12ihipStream_tbEUljE_ZNSN_ISO_Lb1ESR_SS_SU_SV_SZ_EES10_S11_S12_S13_S17_S18_S19_S1C_S1D_jS1E_jS1F_S1F_jjS1H_bEUljE0_EEES10_S11_S12_S19_S1D_S1F_T6_T7_T9_mT8_S1H_bDpT10_ENKUlT_T0_E_clISt17integral_constantIbLb1EES1V_EEDaS1Q_S1R_EUlS1Q_E_NS1_11comp_targetILNS1_3genE10ELNS1_11target_archE1200ELNS1_3gpuE4ELNS1_3repE0EEENS1_30default_config_static_selectorELNS0_4arch9wavefront6targetE0EEEvS13_.kd
    .uniform_work_group_size: 1
    .uses_dynamic_stack: false
    .vgpr_count:     0
    .vgpr_spill_count: 0
    .wavefront_size: 32
    .workgroup_processor_mode: 1
  - .args:
      - .offset:         0
        .size:           184
        .value_kind:     by_value
    .group_segment_fixed_size: 0
    .kernarg_segment_align: 8
    .kernarg_segment_size: 184
    .language:       OpenCL C
    .language_version:
      - 2
      - 0
    .max_flat_workgroup_size: 256
    .name:           _ZN7rocprim17ROCPRIM_400000_NS6detail17trampoline_kernelINS0_13select_configILj256ELj13ELNS0_17block_load_methodE3ELS4_3ELS4_3ELNS0_20block_scan_algorithmE0ELj4294967295EEENS1_25partition_config_selectorILNS1_17partition_subalgoE4EjNS0_10empty_typeEbEEZZNS1_14partition_implILS8_4ELb0ES6_15HIP_vector_typeIjLj2EENS0_17counting_iteratorIjlEEPS9_SG_NS0_5tupleIJPjSI_NS0_16reverse_iteratorISI_EEEEENSH_IJSG_SG_SG_EEES9_SI_JZNS1_25segmented_radix_sort_implINS0_14default_configELb1EPK6__halfPSP_PKlPlN2at6native12_GLOBAL__N_18offset_tEEE10hipError_tPvRmT1_PNSt15iterator_traitsIS13_E10value_typeET2_T3_PNS14_IS19_E10value_typeET4_jRbjT5_S1F_jjP12ihipStream_tbEUljE_ZNSN_ISO_Lb1ESR_SS_SU_SV_SZ_EES10_S11_S12_S13_S17_S18_S19_S1C_S1D_jS1E_jS1F_S1F_jjS1H_bEUljE0_EEES10_S11_S12_S19_S1D_S1F_T6_T7_T9_mT8_S1H_bDpT10_ENKUlT_T0_E_clISt17integral_constantIbLb1EES1V_EEDaS1Q_S1R_EUlS1Q_E_NS1_11comp_targetILNS1_3genE9ELNS1_11target_archE1100ELNS1_3gpuE3ELNS1_3repE0EEENS1_30default_config_static_selectorELNS0_4arch9wavefront6targetE0EEEvS13_
    .private_segment_fixed_size: 0
    .sgpr_count:     0
    .sgpr_spill_count: 0
    .symbol:         _ZN7rocprim17ROCPRIM_400000_NS6detail17trampoline_kernelINS0_13select_configILj256ELj13ELNS0_17block_load_methodE3ELS4_3ELS4_3ELNS0_20block_scan_algorithmE0ELj4294967295EEENS1_25partition_config_selectorILNS1_17partition_subalgoE4EjNS0_10empty_typeEbEEZZNS1_14partition_implILS8_4ELb0ES6_15HIP_vector_typeIjLj2EENS0_17counting_iteratorIjlEEPS9_SG_NS0_5tupleIJPjSI_NS0_16reverse_iteratorISI_EEEEENSH_IJSG_SG_SG_EEES9_SI_JZNS1_25segmented_radix_sort_implINS0_14default_configELb1EPK6__halfPSP_PKlPlN2at6native12_GLOBAL__N_18offset_tEEE10hipError_tPvRmT1_PNSt15iterator_traitsIS13_E10value_typeET2_T3_PNS14_IS19_E10value_typeET4_jRbjT5_S1F_jjP12ihipStream_tbEUljE_ZNSN_ISO_Lb1ESR_SS_SU_SV_SZ_EES10_S11_S12_S13_S17_S18_S19_S1C_S1D_jS1E_jS1F_S1F_jjS1H_bEUljE0_EEES10_S11_S12_S19_S1D_S1F_T6_T7_T9_mT8_S1H_bDpT10_ENKUlT_T0_E_clISt17integral_constantIbLb1EES1V_EEDaS1Q_S1R_EUlS1Q_E_NS1_11comp_targetILNS1_3genE9ELNS1_11target_archE1100ELNS1_3gpuE3ELNS1_3repE0EEENS1_30default_config_static_selectorELNS0_4arch9wavefront6targetE0EEEvS13_.kd
    .uniform_work_group_size: 1
    .uses_dynamic_stack: false
    .vgpr_count:     0
    .vgpr_spill_count: 0
    .wavefront_size: 32
    .workgroup_processor_mode: 1
  - .args:
      - .offset:         0
        .size:           184
        .value_kind:     by_value
    .group_segment_fixed_size: 0
    .kernarg_segment_align: 8
    .kernarg_segment_size: 184
    .language:       OpenCL C
    .language_version:
      - 2
      - 0
    .max_flat_workgroup_size: 256
    .name:           _ZN7rocprim17ROCPRIM_400000_NS6detail17trampoline_kernelINS0_13select_configILj256ELj13ELNS0_17block_load_methodE3ELS4_3ELS4_3ELNS0_20block_scan_algorithmE0ELj4294967295EEENS1_25partition_config_selectorILNS1_17partition_subalgoE4EjNS0_10empty_typeEbEEZZNS1_14partition_implILS8_4ELb0ES6_15HIP_vector_typeIjLj2EENS0_17counting_iteratorIjlEEPS9_SG_NS0_5tupleIJPjSI_NS0_16reverse_iteratorISI_EEEEENSH_IJSG_SG_SG_EEES9_SI_JZNS1_25segmented_radix_sort_implINS0_14default_configELb1EPK6__halfPSP_PKlPlN2at6native12_GLOBAL__N_18offset_tEEE10hipError_tPvRmT1_PNSt15iterator_traitsIS13_E10value_typeET2_T3_PNS14_IS19_E10value_typeET4_jRbjT5_S1F_jjP12ihipStream_tbEUljE_ZNSN_ISO_Lb1ESR_SS_SU_SV_SZ_EES10_S11_S12_S13_S17_S18_S19_S1C_S1D_jS1E_jS1F_S1F_jjS1H_bEUljE0_EEES10_S11_S12_S19_S1D_S1F_T6_T7_T9_mT8_S1H_bDpT10_ENKUlT_T0_E_clISt17integral_constantIbLb1EES1V_EEDaS1Q_S1R_EUlS1Q_E_NS1_11comp_targetILNS1_3genE8ELNS1_11target_archE1030ELNS1_3gpuE2ELNS1_3repE0EEENS1_30default_config_static_selectorELNS0_4arch9wavefront6targetE0EEEvS13_
    .private_segment_fixed_size: 0
    .sgpr_count:     0
    .sgpr_spill_count: 0
    .symbol:         _ZN7rocprim17ROCPRIM_400000_NS6detail17trampoline_kernelINS0_13select_configILj256ELj13ELNS0_17block_load_methodE3ELS4_3ELS4_3ELNS0_20block_scan_algorithmE0ELj4294967295EEENS1_25partition_config_selectorILNS1_17partition_subalgoE4EjNS0_10empty_typeEbEEZZNS1_14partition_implILS8_4ELb0ES6_15HIP_vector_typeIjLj2EENS0_17counting_iteratorIjlEEPS9_SG_NS0_5tupleIJPjSI_NS0_16reverse_iteratorISI_EEEEENSH_IJSG_SG_SG_EEES9_SI_JZNS1_25segmented_radix_sort_implINS0_14default_configELb1EPK6__halfPSP_PKlPlN2at6native12_GLOBAL__N_18offset_tEEE10hipError_tPvRmT1_PNSt15iterator_traitsIS13_E10value_typeET2_T3_PNS14_IS19_E10value_typeET4_jRbjT5_S1F_jjP12ihipStream_tbEUljE_ZNSN_ISO_Lb1ESR_SS_SU_SV_SZ_EES10_S11_S12_S13_S17_S18_S19_S1C_S1D_jS1E_jS1F_S1F_jjS1H_bEUljE0_EEES10_S11_S12_S19_S1D_S1F_T6_T7_T9_mT8_S1H_bDpT10_ENKUlT_T0_E_clISt17integral_constantIbLb1EES1V_EEDaS1Q_S1R_EUlS1Q_E_NS1_11comp_targetILNS1_3genE8ELNS1_11target_archE1030ELNS1_3gpuE2ELNS1_3repE0EEENS1_30default_config_static_selectorELNS0_4arch9wavefront6targetE0EEEvS13_.kd
    .uniform_work_group_size: 1
    .uses_dynamic_stack: false
    .vgpr_count:     0
    .vgpr_spill_count: 0
    .wavefront_size: 32
    .workgroup_processor_mode: 1
  - .args:
      - .offset:         0
        .size:           176
        .value_kind:     by_value
    .group_segment_fixed_size: 0
    .kernarg_segment_align: 8
    .kernarg_segment_size: 176
    .language:       OpenCL C
    .language_version:
      - 2
      - 0
    .max_flat_workgroup_size: 256
    .name:           _ZN7rocprim17ROCPRIM_400000_NS6detail17trampoline_kernelINS0_13select_configILj256ELj13ELNS0_17block_load_methodE3ELS4_3ELS4_3ELNS0_20block_scan_algorithmE0ELj4294967295EEENS1_25partition_config_selectorILNS1_17partition_subalgoE4EjNS0_10empty_typeEbEEZZNS1_14partition_implILS8_4ELb0ES6_15HIP_vector_typeIjLj2EENS0_17counting_iteratorIjlEEPS9_SG_NS0_5tupleIJPjSI_NS0_16reverse_iteratorISI_EEEEENSH_IJSG_SG_SG_EEES9_SI_JZNS1_25segmented_radix_sort_implINS0_14default_configELb1EPK6__halfPSP_PKlPlN2at6native12_GLOBAL__N_18offset_tEEE10hipError_tPvRmT1_PNSt15iterator_traitsIS13_E10value_typeET2_T3_PNS14_IS19_E10value_typeET4_jRbjT5_S1F_jjP12ihipStream_tbEUljE_ZNSN_ISO_Lb1ESR_SS_SU_SV_SZ_EES10_S11_S12_S13_S17_S18_S19_S1C_S1D_jS1E_jS1F_S1F_jjS1H_bEUljE0_EEES10_S11_S12_S19_S1D_S1F_T6_T7_T9_mT8_S1H_bDpT10_ENKUlT_T0_E_clISt17integral_constantIbLb1EES1U_IbLb0EEEEDaS1Q_S1R_EUlS1Q_E_NS1_11comp_targetILNS1_3genE0ELNS1_11target_archE4294967295ELNS1_3gpuE0ELNS1_3repE0EEENS1_30default_config_static_selectorELNS0_4arch9wavefront6targetE0EEEvS13_
    .private_segment_fixed_size: 0
    .sgpr_count:     0
    .sgpr_spill_count: 0
    .symbol:         _ZN7rocprim17ROCPRIM_400000_NS6detail17trampoline_kernelINS0_13select_configILj256ELj13ELNS0_17block_load_methodE3ELS4_3ELS4_3ELNS0_20block_scan_algorithmE0ELj4294967295EEENS1_25partition_config_selectorILNS1_17partition_subalgoE4EjNS0_10empty_typeEbEEZZNS1_14partition_implILS8_4ELb0ES6_15HIP_vector_typeIjLj2EENS0_17counting_iteratorIjlEEPS9_SG_NS0_5tupleIJPjSI_NS0_16reverse_iteratorISI_EEEEENSH_IJSG_SG_SG_EEES9_SI_JZNS1_25segmented_radix_sort_implINS0_14default_configELb1EPK6__halfPSP_PKlPlN2at6native12_GLOBAL__N_18offset_tEEE10hipError_tPvRmT1_PNSt15iterator_traitsIS13_E10value_typeET2_T3_PNS14_IS19_E10value_typeET4_jRbjT5_S1F_jjP12ihipStream_tbEUljE_ZNSN_ISO_Lb1ESR_SS_SU_SV_SZ_EES10_S11_S12_S13_S17_S18_S19_S1C_S1D_jS1E_jS1F_S1F_jjS1H_bEUljE0_EEES10_S11_S12_S19_S1D_S1F_T6_T7_T9_mT8_S1H_bDpT10_ENKUlT_T0_E_clISt17integral_constantIbLb1EES1U_IbLb0EEEEDaS1Q_S1R_EUlS1Q_E_NS1_11comp_targetILNS1_3genE0ELNS1_11target_archE4294967295ELNS1_3gpuE0ELNS1_3repE0EEENS1_30default_config_static_selectorELNS0_4arch9wavefront6targetE0EEEvS13_.kd
    .uniform_work_group_size: 1
    .uses_dynamic_stack: false
    .vgpr_count:     0
    .vgpr_spill_count: 0
    .wavefront_size: 32
    .workgroup_processor_mode: 1
  - .args:
      - .offset:         0
        .size:           176
        .value_kind:     by_value
    .group_segment_fixed_size: 0
    .kernarg_segment_align: 8
    .kernarg_segment_size: 176
    .language:       OpenCL C
    .language_version:
      - 2
      - 0
    .max_flat_workgroup_size: 256
    .name:           _ZN7rocprim17ROCPRIM_400000_NS6detail17trampoline_kernelINS0_13select_configILj256ELj13ELNS0_17block_load_methodE3ELS4_3ELS4_3ELNS0_20block_scan_algorithmE0ELj4294967295EEENS1_25partition_config_selectorILNS1_17partition_subalgoE4EjNS0_10empty_typeEbEEZZNS1_14partition_implILS8_4ELb0ES6_15HIP_vector_typeIjLj2EENS0_17counting_iteratorIjlEEPS9_SG_NS0_5tupleIJPjSI_NS0_16reverse_iteratorISI_EEEEENSH_IJSG_SG_SG_EEES9_SI_JZNS1_25segmented_radix_sort_implINS0_14default_configELb1EPK6__halfPSP_PKlPlN2at6native12_GLOBAL__N_18offset_tEEE10hipError_tPvRmT1_PNSt15iterator_traitsIS13_E10value_typeET2_T3_PNS14_IS19_E10value_typeET4_jRbjT5_S1F_jjP12ihipStream_tbEUljE_ZNSN_ISO_Lb1ESR_SS_SU_SV_SZ_EES10_S11_S12_S13_S17_S18_S19_S1C_S1D_jS1E_jS1F_S1F_jjS1H_bEUljE0_EEES10_S11_S12_S19_S1D_S1F_T6_T7_T9_mT8_S1H_bDpT10_ENKUlT_T0_E_clISt17integral_constantIbLb1EES1U_IbLb0EEEEDaS1Q_S1R_EUlS1Q_E_NS1_11comp_targetILNS1_3genE5ELNS1_11target_archE942ELNS1_3gpuE9ELNS1_3repE0EEENS1_30default_config_static_selectorELNS0_4arch9wavefront6targetE0EEEvS13_
    .private_segment_fixed_size: 0
    .sgpr_count:     0
    .sgpr_spill_count: 0
    .symbol:         _ZN7rocprim17ROCPRIM_400000_NS6detail17trampoline_kernelINS0_13select_configILj256ELj13ELNS0_17block_load_methodE3ELS4_3ELS4_3ELNS0_20block_scan_algorithmE0ELj4294967295EEENS1_25partition_config_selectorILNS1_17partition_subalgoE4EjNS0_10empty_typeEbEEZZNS1_14partition_implILS8_4ELb0ES6_15HIP_vector_typeIjLj2EENS0_17counting_iteratorIjlEEPS9_SG_NS0_5tupleIJPjSI_NS0_16reverse_iteratorISI_EEEEENSH_IJSG_SG_SG_EEES9_SI_JZNS1_25segmented_radix_sort_implINS0_14default_configELb1EPK6__halfPSP_PKlPlN2at6native12_GLOBAL__N_18offset_tEEE10hipError_tPvRmT1_PNSt15iterator_traitsIS13_E10value_typeET2_T3_PNS14_IS19_E10value_typeET4_jRbjT5_S1F_jjP12ihipStream_tbEUljE_ZNSN_ISO_Lb1ESR_SS_SU_SV_SZ_EES10_S11_S12_S13_S17_S18_S19_S1C_S1D_jS1E_jS1F_S1F_jjS1H_bEUljE0_EEES10_S11_S12_S19_S1D_S1F_T6_T7_T9_mT8_S1H_bDpT10_ENKUlT_T0_E_clISt17integral_constantIbLb1EES1U_IbLb0EEEEDaS1Q_S1R_EUlS1Q_E_NS1_11comp_targetILNS1_3genE5ELNS1_11target_archE942ELNS1_3gpuE9ELNS1_3repE0EEENS1_30default_config_static_selectorELNS0_4arch9wavefront6targetE0EEEvS13_.kd
    .uniform_work_group_size: 1
    .uses_dynamic_stack: false
    .vgpr_count:     0
    .vgpr_spill_count: 0
    .wavefront_size: 32
    .workgroup_processor_mode: 1
  - .args:
      - .offset:         0
        .size:           176
        .value_kind:     by_value
    .group_segment_fixed_size: 0
    .kernarg_segment_align: 8
    .kernarg_segment_size: 176
    .language:       OpenCL C
    .language_version:
      - 2
      - 0
    .max_flat_workgroup_size: 256
    .name:           _ZN7rocprim17ROCPRIM_400000_NS6detail17trampoline_kernelINS0_13select_configILj256ELj13ELNS0_17block_load_methodE3ELS4_3ELS4_3ELNS0_20block_scan_algorithmE0ELj4294967295EEENS1_25partition_config_selectorILNS1_17partition_subalgoE4EjNS0_10empty_typeEbEEZZNS1_14partition_implILS8_4ELb0ES6_15HIP_vector_typeIjLj2EENS0_17counting_iteratorIjlEEPS9_SG_NS0_5tupleIJPjSI_NS0_16reverse_iteratorISI_EEEEENSH_IJSG_SG_SG_EEES9_SI_JZNS1_25segmented_radix_sort_implINS0_14default_configELb1EPK6__halfPSP_PKlPlN2at6native12_GLOBAL__N_18offset_tEEE10hipError_tPvRmT1_PNSt15iterator_traitsIS13_E10value_typeET2_T3_PNS14_IS19_E10value_typeET4_jRbjT5_S1F_jjP12ihipStream_tbEUljE_ZNSN_ISO_Lb1ESR_SS_SU_SV_SZ_EES10_S11_S12_S13_S17_S18_S19_S1C_S1D_jS1E_jS1F_S1F_jjS1H_bEUljE0_EEES10_S11_S12_S19_S1D_S1F_T6_T7_T9_mT8_S1H_bDpT10_ENKUlT_T0_E_clISt17integral_constantIbLb1EES1U_IbLb0EEEEDaS1Q_S1R_EUlS1Q_E_NS1_11comp_targetILNS1_3genE4ELNS1_11target_archE910ELNS1_3gpuE8ELNS1_3repE0EEENS1_30default_config_static_selectorELNS0_4arch9wavefront6targetE0EEEvS13_
    .private_segment_fixed_size: 0
    .sgpr_count:     0
    .sgpr_spill_count: 0
    .symbol:         _ZN7rocprim17ROCPRIM_400000_NS6detail17trampoline_kernelINS0_13select_configILj256ELj13ELNS0_17block_load_methodE3ELS4_3ELS4_3ELNS0_20block_scan_algorithmE0ELj4294967295EEENS1_25partition_config_selectorILNS1_17partition_subalgoE4EjNS0_10empty_typeEbEEZZNS1_14partition_implILS8_4ELb0ES6_15HIP_vector_typeIjLj2EENS0_17counting_iteratorIjlEEPS9_SG_NS0_5tupleIJPjSI_NS0_16reverse_iteratorISI_EEEEENSH_IJSG_SG_SG_EEES9_SI_JZNS1_25segmented_radix_sort_implINS0_14default_configELb1EPK6__halfPSP_PKlPlN2at6native12_GLOBAL__N_18offset_tEEE10hipError_tPvRmT1_PNSt15iterator_traitsIS13_E10value_typeET2_T3_PNS14_IS19_E10value_typeET4_jRbjT5_S1F_jjP12ihipStream_tbEUljE_ZNSN_ISO_Lb1ESR_SS_SU_SV_SZ_EES10_S11_S12_S13_S17_S18_S19_S1C_S1D_jS1E_jS1F_S1F_jjS1H_bEUljE0_EEES10_S11_S12_S19_S1D_S1F_T6_T7_T9_mT8_S1H_bDpT10_ENKUlT_T0_E_clISt17integral_constantIbLb1EES1U_IbLb0EEEEDaS1Q_S1R_EUlS1Q_E_NS1_11comp_targetILNS1_3genE4ELNS1_11target_archE910ELNS1_3gpuE8ELNS1_3repE0EEENS1_30default_config_static_selectorELNS0_4arch9wavefront6targetE0EEEvS13_.kd
    .uniform_work_group_size: 1
    .uses_dynamic_stack: false
    .vgpr_count:     0
    .vgpr_spill_count: 0
    .wavefront_size: 32
    .workgroup_processor_mode: 1
  - .args:
      - .offset:         0
        .size:           176
        .value_kind:     by_value
    .group_segment_fixed_size: 0
    .kernarg_segment_align: 8
    .kernarg_segment_size: 176
    .language:       OpenCL C
    .language_version:
      - 2
      - 0
    .max_flat_workgroup_size: 256
    .name:           _ZN7rocprim17ROCPRIM_400000_NS6detail17trampoline_kernelINS0_13select_configILj256ELj13ELNS0_17block_load_methodE3ELS4_3ELS4_3ELNS0_20block_scan_algorithmE0ELj4294967295EEENS1_25partition_config_selectorILNS1_17partition_subalgoE4EjNS0_10empty_typeEbEEZZNS1_14partition_implILS8_4ELb0ES6_15HIP_vector_typeIjLj2EENS0_17counting_iteratorIjlEEPS9_SG_NS0_5tupleIJPjSI_NS0_16reverse_iteratorISI_EEEEENSH_IJSG_SG_SG_EEES9_SI_JZNS1_25segmented_radix_sort_implINS0_14default_configELb1EPK6__halfPSP_PKlPlN2at6native12_GLOBAL__N_18offset_tEEE10hipError_tPvRmT1_PNSt15iterator_traitsIS13_E10value_typeET2_T3_PNS14_IS19_E10value_typeET4_jRbjT5_S1F_jjP12ihipStream_tbEUljE_ZNSN_ISO_Lb1ESR_SS_SU_SV_SZ_EES10_S11_S12_S13_S17_S18_S19_S1C_S1D_jS1E_jS1F_S1F_jjS1H_bEUljE0_EEES10_S11_S12_S19_S1D_S1F_T6_T7_T9_mT8_S1H_bDpT10_ENKUlT_T0_E_clISt17integral_constantIbLb1EES1U_IbLb0EEEEDaS1Q_S1R_EUlS1Q_E_NS1_11comp_targetILNS1_3genE3ELNS1_11target_archE908ELNS1_3gpuE7ELNS1_3repE0EEENS1_30default_config_static_selectorELNS0_4arch9wavefront6targetE0EEEvS13_
    .private_segment_fixed_size: 0
    .sgpr_count:     0
    .sgpr_spill_count: 0
    .symbol:         _ZN7rocprim17ROCPRIM_400000_NS6detail17trampoline_kernelINS0_13select_configILj256ELj13ELNS0_17block_load_methodE3ELS4_3ELS4_3ELNS0_20block_scan_algorithmE0ELj4294967295EEENS1_25partition_config_selectorILNS1_17partition_subalgoE4EjNS0_10empty_typeEbEEZZNS1_14partition_implILS8_4ELb0ES6_15HIP_vector_typeIjLj2EENS0_17counting_iteratorIjlEEPS9_SG_NS0_5tupleIJPjSI_NS0_16reverse_iteratorISI_EEEEENSH_IJSG_SG_SG_EEES9_SI_JZNS1_25segmented_radix_sort_implINS0_14default_configELb1EPK6__halfPSP_PKlPlN2at6native12_GLOBAL__N_18offset_tEEE10hipError_tPvRmT1_PNSt15iterator_traitsIS13_E10value_typeET2_T3_PNS14_IS19_E10value_typeET4_jRbjT5_S1F_jjP12ihipStream_tbEUljE_ZNSN_ISO_Lb1ESR_SS_SU_SV_SZ_EES10_S11_S12_S13_S17_S18_S19_S1C_S1D_jS1E_jS1F_S1F_jjS1H_bEUljE0_EEES10_S11_S12_S19_S1D_S1F_T6_T7_T9_mT8_S1H_bDpT10_ENKUlT_T0_E_clISt17integral_constantIbLb1EES1U_IbLb0EEEEDaS1Q_S1R_EUlS1Q_E_NS1_11comp_targetILNS1_3genE3ELNS1_11target_archE908ELNS1_3gpuE7ELNS1_3repE0EEENS1_30default_config_static_selectorELNS0_4arch9wavefront6targetE0EEEvS13_.kd
    .uniform_work_group_size: 1
    .uses_dynamic_stack: false
    .vgpr_count:     0
    .vgpr_spill_count: 0
    .wavefront_size: 32
    .workgroup_processor_mode: 1
  - .args:
      - .offset:         0
        .size:           176
        .value_kind:     by_value
    .group_segment_fixed_size: 0
    .kernarg_segment_align: 8
    .kernarg_segment_size: 176
    .language:       OpenCL C
    .language_version:
      - 2
      - 0
    .max_flat_workgroup_size: 256
    .name:           _ZN7rocprim17ROCPRIM_400000_NS6detail17trampoline_kernelINS0_13select_configILj256ELj13ELNS0_17block_load_methodE3ELS4_3ELS4_3ELNS0_20block_scan_algorithmE0ELj4294967295EEENS1_25partition_config_selectorILNS1_17partition_subalgoE4EjNS0_10empty_typeEbEEZZNS1_14partition_implILS8_4ELb0ES6_15HIP_vector_typeIjLj2EENS0_17counting_iteratorIjlEEPS9_SG_NS0_5tupleIJPjSI_NS0_16reverse_iteratorISI_EEEEENSH_IJSG_SG_SG_EEES9_SI_JZNS1_25segmented_radix_sort_implINS0_14default_configELb1EPK6__halfPSP_PKlPlN2at6native12_GLOBAL__N_18offset_tEEE10hipError_tPvRmT1_PNSt15iterator_traitsIS13_E10value_typeET2_T3_PNS14_IS19_E10value_typeET4_jRbjT5_S1F_jjP12ihipStream_tbEUljE_ZNSN_ISO_Lb1ESR_SS_SU_SV_SZ_EES10_S11_S12_S13_S17_S18_S19_S1C_S1D_jS1E_jS1F_S1F_jjS1H_bEUljE0_EEES10_S11_S12_S19_S1D_S1F_T6_T7_T9_mT8_S1H_bDpT10_ENKUlT_T0_E_clISt17integral_constantIbLb1EES1U_IbLb0EEEEDaS1Q_S1R_EUlS1Q_E_NS1_11comp_targetILNS1_3genE2ELNS1_11target_archE906ELNS1_3gpuE6ELNS1_3repE0EEENS1_30default_config_static_selectorELNS0_4arch9wavefront6targetE0EEEvS13_
    .private_segment_fixed_size: 0
    .sgpr_count:     0
    .sgpr_spill_count: 0
    .symbol:         _ZN7rocprim17ROCPRIM_400000_NS6detail17trampoline_kernelINS0_13select_configILj256ELj13ELNS0_17block_load_methodE3ELS4_3ELS4_3ELNS0_20block_scan_algorithmE0ELj4294967295EEENS1_25partition_config_selectorILNS1_17partition_subalgoE4EjNS0_10empty_typeEbEEZZNS1_14partition_implILS8_4ELb0ES6_15HIP_vector_typeIjLj2EENS0_17counting_iteratorIjlEEPS9_SG_NS0_5tupleIJPjSI_NS0_16reverse_iteratorISI_EEEEENSH_IJSG_SG_SG_EEES9_SI_JZNS1_25segmented_radix_sort_implINS0_14default_configELb1EPK6__halfPSP_PKlPlN2at6native12_GLOBAL__N_18offset_tEEE10hipError_tPvRmT1_PNSt15iterator_traitsIS13_E10value_typeET2_T3_PNS14_IS19_E10value_typeET4_jRbjT5_S1F_jjP12ihipStream_tbEUljE_ZNSN_ISO_Lb1ESR_SS_SU_SV_SZ_EES10_S11_S12_S13_S17_S18_S19_S1C_S1D_jS1E_jS1F_S1F_jjS1H_bEUljE0_EEES10_S11_S12_S19_S1D_S1F_T6_T7_T9_mT8_S1H_bDpT10_ENKUlT_T0_E_clISt17integral_constantIbLb1EES1U_IbLb0EEEEDaS1Q_S1R_EUlS1Q_E_NS1_11comp_targetILNS1_3genE2ELNS1_11target_archE906ELNS1_3gpuE6ELNS1_3repE0EEENS1_30default_config_static_selectorELNS0_4arch9wavefront6targetE0EEEvS13_.kd
    .uniform_work_group_size: 1
    .uses_dynamic_stack: false
    .vgpr_count:     0
    .vgpr_spill_count: 0
    .wavefront_size: 32
    .workgroup_processor_mode: 1
  - .args:
      - .offset:         0
        .size:           176
        .value_kind:     by_value
    .group_segment_fixed_size: 0
    .kernarg_segment_align: 8
    .kernarg_segment_size: 176
    .language:       OpenCL C
    .language_version:
      - 2
      - 0
    .max_flat_workgroup_size: 256
    .name:           _ZN7rocprim17ROCPRIM_400000_NS6detail17trampoline_kernelINS0_13select_configILj256ELj13ELNS0_17block_load_methodE3ELS4_3ELS4_3ELNS0_20block_scan_algorithmE0ELj4294967295EEENS1_25partition_config_selectorILNS1_17partition_subalgoE4EjNS0_10empty_typeEbEEZZNS1_14partition_implILS8_4ELb0ES6_15HIP_vector_typeIjLj2EENS0_17counting_iteratorIjlEEPS9_SG_NS0_5tupleIJPjSI_NS0_16reverse_iteratorISI_EEEEENSH_IJSG_SG_SG_EEES9_SI_JZNS1_25segmented_radix_sort_implINS0_14default_configELb1EPK6__halfPSP_PKlPlN2at6native12_GLOBAL__N_18offset_tEEE10hipError_tPvRmT1_PNSt15iterator_traitsIS13_E10value_typeET2_T3_PNS14_IS19_E10value_typeET4_jRbjT5_S1F_jjP12ihipStream_tbEUljE_ZNSN_ISO_Lb1ESR_SS_SU_SV_SZ_EES10_S11_S12_S13_S17_S18_S19_S1C_S1D_jS1E_jS1F_S1F_jjS1H_bEUljE0_EEES10_S11_S12_S19_S1D_S1F_T6_T7_T9_mT8_S1H_bDpT10_ENKUlT_T0_E_clISt17integral_constantIbLb1EES1U_IbLb0EEEEDaS1Q_S1R_EUlS1Q_E_NS1_11comp_targetILNS1_3genE10ELNS1_11target_archE1200ELNS1_3gpuE4ELNS1_3repE0EEENS1_30default_config_static_selectorELNS0_4arch9wavefront6targetE0EEEvS13_
    .private_segment_fixed_size: 0
    .sgpr_count:     0
    .sgpr_spill_count: 0
    .symbol:         _ZN7rocprim17ROCPRIM_400000_NS6detail17trampoline_kernelINS0_13select_configILj256ELj13ELNS0_17block_load_methodE3ELS4_3ELS4_3ELNS0_20block_scan_algorithmE0ELj4294967295EEENS1_25partition_config_selectorILNS1_17partition_subalgoE4EjNS0_10empty_typeEbEEZZNS1_14partition_implILS8_4ELb0ES6_15HIP_vector_typeIjLj2EENS0_17counting_iteratorIjlEEPS9_SG_NS0_5tupleIJPjSI_NS0_16reverse_iteratorISI_EEEEENSH_IJSG_SG_SG_EEES9_SI_JZNS1_25segmented_radix_sort_implINS0_14default_configELb1EPK6__halfPSP_PKlPlN2at6native12_GLOBAL__N_18offset_tEEE10hipError_tPvRmT1_PNSt15iterator_traitsIS13_E10value_typeET2_T3_PNS14_IS19_E10value_typeET4_jRbjT5_S1F_jjP12ihipStream_tbEUljE_ZNSN_ISO_Lb1ESR_SS_SU_SV_SZ_EES10_S11_S12_S13_S17_S18_S19_S1C_S1D_jS1E_jS1F_S1F_jjS1H_bEUljE0_EEES10_S11_S12_S19_S1D_S1F_T6_T7_T9_mT8_S1H_bDpT10_ENKUlT_T0_E_clISt17integral_constantIbLb1EES1U_IbLb0EEEEDaS1Q_S1R_EUlS1Q_E_NS1_11comp_targetILNS1_3genE10ELNS1_11target_archE1200ELNS1_3gpuE4ELNS1_3repE0EEENS1_30default_config_static_selectorELNS0_4arch9wavefront6targetE0EEEvS13_.kd
    .uniform_work_group_size: 1
    .uses_dynamic_stack: false
    .vgpr_count:     0
    .vgpr_spill_count: 0
    .wavefront_size: 32
    .workgroup_processor_mode: 1
  - .args:
      - .offset:         0
        .size:           176
        .value_kind:     by_value
    .group_segment_fixed_size: 0
    .kernarg_segment_align: 8
    .kernarg_segment_size: 176
    .language:       OpenCL C
    .language_version:
      - 2
      - 0
    .max_flat_workgroup_size: 256
    .name:           _ZN7rocprim17ROCPRIM_400000_NS6detail17trampoline_kernelINS0_13select_configILj256ELj13ELNS0_17block_load_methodE3ELS4_3ELS4_3ELNS0_20block_scan_algorithmE0ELj4294967295EEENS1_25partition_config_selectorILNS1_17partition_subalgoE4EjNS0_10empty_typeEbEEZZNS1_14partition_implILS8_4ELb0ES6_15HIP_vector_typeIjLj2EENS0_17counting_iteratorIjlEEPS9_SG_NS0_5tupleIJPjSI_NS0_16reverse_iteratorISI_EEEEENSH_IJSG_SG_SG_EEES9_SI_JZNS1_25segmented_radix_sort_implINS0_14default_configELb1EPK6__halfPSP_PKlPlN2at6native12_GLOBAL__N_18offset_tEEE10hipError_tPvRmT1_PNSt15iterator_traitsIS13_E10value_typeET2_T3_PNS14_IS19_E10value_typeET4_jRbjT5_S1F_jjP12ihipStream_tbEUljE_ZNSN_ISO_Lb1ESR_SS_SU_SV_SZ_EES10_S11_S12_S13_S17_S18_S19_S1C_S1D_jS1E_jS1F_S1F_jjS1H_bEUljE0_EEES10_S11_S12_S19_S1D_S1F_T6_T7_T9_mT8_S1H_bDpT10_ENKUlT_T0_E_clISt17integral_constantIbLb1EES1U_IbLb0EEEEDaS1Q_S1R_EUlS1Q_E_NS1_11comp_targetILNS1_3genE9ELNS1_11target_archE1100ELNS1_3gpuE3ELNS1_3repE0EEENS1_30default_config_static_selectorELNS0_4arch9wavefront6targetE0EEEvS13_
    .private_segment_fixed_size: 0
    .sgpr_count:     0
    .sgpr_spill_count: 0
    .symbol:         _ZN7rocprim17ROCPRIM_400000_NS6detail17trampoline_kernelINS0_13select_configILj256ELj13ELNS0_17block_load_methodE3ELS4_3ELS4_3ELNS0_20block_scan_algorithmE0ELj4294967295EEENS1_25partition_config_selectorILNS1_17partition_subalgoE4EjNS0_10empty_typeEbEEZZNS1_14partition_implILS8_4ELb0ES6_15HIP_vector_typeIjLj2EENS0_17counting_iteratorIjlEEPS9_SG_NS0_5tupleIJPjSI_NS0_16reverse_iteratorISI_EEEEENSH_IJSG_SG_SG_EEES9_SI_JZNS1_25segmented_radix_sort_implINS0_14default_configELb1EPK6__halfPSP_PKlPlN2at6native12_GLOBAL__N_18offset_tEEE10hipError_tPvRmT1_PNSt15iterator_traitsIS13_E10value_typeET2_T3_PNS14_IS19_E10value_typeET4_jRbjT5_S1F_jjP12ihipStream_tbEUljE_ZNSN_ISO_Lb1ESR_SS_SU_SV_SZ_EES10_S11_S12_S13_S17_S18_S19_S1C_S1D_jS1E_jS1F_S1F_jjS1H_bEUljE0_EEES10_S11_S12_S19_S1D_S1F_T6_T7_T9_mT8_S1H_bDpT10_ENKUlT_T0_E_clISt17integral_constantIbLb1EES1U_IbLb0EEEEDaS1Q_S1R_EUlS1Q_E_NS1_11comp_targetILNS1_3genE9ELNS1_11target_archE1100ELNS1_3gpuE3ELNS1_3repE0EEENS1_30default_config_static_selectorELNS0_4arch9wavefront6targetE0EEEvS13_.kd
    .uniform_work_group_size: 1
    .uses_dynamic_stack: false
    .vgpr_count:     0
    .vgpr_spill_count: 0
    .wavefront_size: 32
    .workgroup_processor_mode: 1
  - .args:
      - .offset:         0
        .size:           176
        .value_kind:     by_value
    .group_segment_fixed_size: 0
    .kernarg_segment_align: 8
    .kernarg_segment_size: 176
    .language:       OpenCL C
    .language_version:
      - 2
      - 0
    .max_flat_workgroup_size: 256
    .name:           _ZN7rocprim17ROCPRIM_400000_NS6detail17trampoline_kernelINS0_13select_configILj256ELj13ELNS0_17block_load_methodE3ELS4_3ELS4_3ELNS0_20block_scan_algorithmE0ELj4294967295EEENS1_25partition_config_selectorILNS1_17partition_subalgoE4EjNS0_10empty_typeEbEEZZNS1_14partition_implILS8_4ELb0ES6_15HIP_vector_typeIjLj2EENS0_17counting_iteratorIjlEEPS9_SG_NS0_5tupleIJPjSI_NS0_16reverse_iteratorISI_EEEEENSH_IJSG_SG_SG_EEES9_SI_JZNS1_25segmented_radix_sort_implINS0_14default_configELb1EPK6__halfPSP_PKlPlN2at6native12_GLOBAL__N_18offset_tEEE10hipError_tPvRmT1_PNSt15iterator_traitsIS13_E10value_typeET2_T3_PNS14_IS19_E10value_typeET4_jRbjT5_S1F_jjP12ihipStream_tbEUljE_ZNSN_ISO_Lb1ESR_SS_SU_SV_SZ_EES10_S11_S12_S13_S17_S18_S19_S1C_S1D_jS1E_jS1F_S1F_jjS1H_bEUljE0_EEES10_S11_S12_S19_S1D_S1F_T6_T7_T9_mT8_S1H_bDpT10_ENKUlT_T0_E_clISt17integral_constantIbLb1EES1U_IbLb0EEEEDaS1Q_S1R_EUlS1Q_E_NS1_11comp_targetILNS1_3genE8ELNS1_11target_archE1030ELNS1_3gpuE2ELNS1_3repE0EEENS1_30default_config_static_selectorELNS0_4arch9wavefront6targetE0EEEvS13_
    .private_segment_fixed_size: 0
    .sgpr_count:     0
    .sgpr_spill_count: 0
    .symbol:         _ZN7rocprim17ROCPRIM_400000_NS6detail17trampoline_kernelINS0_13select_configILj256ELj13ELNS0_17block_load_methodE3ELS4_3ELS4_3ELNS0_20block_scan_algorithmE0ELj4294967295EEENS1_25partition_config_selectorILNS1_17partition_subalgoE4EjNS0_10empty_typeEbEEZZNS1_14partition_implILS8_4ELb0ES6_15HIP_vector_typeIjLj2EENS0_17counting_iteratorIjlEEPS9_SG_NS0_5tupleIJPjSI_NS0_16reverse_iteratorISI_EEEEENSH_IJSG_SG_SG_EEES9_SI_JZNS1_25segmented_radix_sort_implINS0_14default_configELb1EPK6__halfPSP_PKlPlN2at6native12_GLOBAL__N_18offset_tEEE10hipError_tPvRmT1_PNSt15iterator_traitsIS13_E10value_typeET2_T3_PNS14_IS19_E10value_typeET4_jRbjT5_S1F_jjP12ihipStream_tbEUljE_ZNSN_ISO_Lb1ESR_SS_SU_SV_SZ_EES10_S11_S12_S13_S17_S18_S19_S1C_S1D_jS1E_jS1F_S1F_jjS1H_bEUljE0_EEES10_S11_S12_S19_S1D_S1F_T6_T7_T9_mT8_S1H_bDpT10_ENKUlT_T0_E_clISt17integral_constantIbLb1EES1U_IbLb0EEEEDaS1Q_S1R_EUlS1Q_E_NS1_11comp_targetILNS1_3genE8ELNS1_11target_archE1030ELNS1_3gpuE2ELNS1_3repE0EEENS1_30default_config_static_selectorELNS0_4arch9wavefront6targetE0EEEvS13_.kd
    .uniform_work_group_size: 1
    .uses_dynamic_stack: false
    .vgpr_count:     0
    .vgpr_spill_count: 0
    .wavefront_size: 32
    .workgroup_processor_mode: 1
  - .args:
      - .offset:         0
        .size:           184
        .value_kind:     by_value
    .group_segment_fixed_size: 0
    .kernarg_segment_align: 8
    .kernarg_segment_size: 184
    .language:       OpenCL C
    .language_version:
      - 2
      - 0
    .max_flat_workgroup_size: 256
    .name:           _ZN7rocprim17ROCPRIM_400000_NS6detail17trampoline_kernelINS0_13select_configILj256ELj13ELNS0_17block_load_methodE3ELS4_3ELS4_3ELNS0_20block_scan_algorithmE0ELj4294967295EEENS1_25partition_config_selectorILNS1_17partition_subalgoE4EjNS0_10empty_typeEbEEZZNS1_14partition_implILS8_4ELb0ES6_15HIP_vector_typeIjLj2EENS0_17counting_iteratorIjlEEPS9_SG_NS0_5tupleIJPjSI_NS0_16reverse_iteratorISI_EEEEENSH_IJSG_SG_SG_EEES9_SI_JZNS1_25segmented_radix_sort_implINS0_14default_configELb1EPK6__halfPSP_PKlPlN2at6native12_GLOBAL__N_18offset_tEEE10hipError_tPvRmT1_PNSt15iterator_traitsIS13_E10value_typeET2_T3_PNS14_IS19_E10value_typeET4_jRbjT5_S1F_jjP12ihipStream_tbEUljE_ZNSN_ISO_Lb1ESR_SS_SU_SV_SZ_EES10_S11_S12_S13_S17_S18_S19_S1C_S1D_jS1E_jS1F_S1F_jjS1H_bEUljE0_EEES10_S11_S12_S19_S1D_S1F_T6_T7_T9_mT8_S1H_bDpT10_ENKUlT_T0_E_clISt17integral_constantIbLb0EES1U_IbLb1EEEEDaS1Q_S1R_EUlS1Q_E_NS1_11comp_targetILNS1_3genE0ELNS1_11target_archE4294967295ELNS1_3gpuE0ELNS1_3repE0EEENS1_30default_config_static_selectorELNS0_4arch9wavefront6targetE0EEEvS13_
    .private_segment_fixed_size: 0
    .sgpr_count:     0
    .sgpr_spill_count: 0
    .symbol:         _ZN7rocprim17ROCPRIM_400000_NS6detail17trampoline_kernelINS0_13select_configILj256ELj13ELNS0_17block_load_methodE3ELS4_3ELS4_3ELNS0_20block_scan_algorithmE0ELj4294967295EEENS1_25partition_config_selectorILNS1_17partition_subalgoE4EjNS0_10empty_typeEbEEZZNS1_14partition_implILS8_4ELb0ES6_15HIP_vector_typeIjLj2EENS0_17counting_iteratorIjlEEPS9_SG_NS0_5tupleIJPjSI_NS0_16reverse_iteratorISI_EEEEENSH_IJSG_SG_SG_EEES9_SI_JZNS1_25segmented_radix_sort_implINS0_14default_configELb1EPK6__halfPSP_PKlPlN2at6native12_GLOBAL__N_18offset_tEEE10hipError_tPvRmT1_PNSt15iterator_traitsIS13_E10value_typeET2_T3_PNS14_IS19_E10value_typeET4_jRbjT5_S1F_jjP12ihipStream_tbEUljE_ZNSN_ISO_Lb1ESR_SS_SU_SV_SZ_EES10_S11_S12_S13_S17_S18_S19_S1C_S1D_jS1E_jS1F_S1F_jjS1H_bEUljE0_EEES10_S11_S12_S19_S1D_S1F_T6_T7_T9_mT8_S1H_bDpT10_ENKUlT_T0_E_clISt17integral_constantIbLb0EES1U_IbLb1EEEEDaS1Q_S1R_EUlS1Q_E_NS1_11comp_targetILNS1_3genE0ELNS1_11target_archE4294967295ELNS1_3gpuE0ELNS1_3repE0EEENS1_30default_config_static_selectorELNS0_4arch9wavefront6targetE0EEEvS13_.kd
    .uniform_work_group_size: 1
    .uses_dynamic_stack: false
    .vgpr_count:     0
    .vgpr_spill_count: 0
    .wavefront_size: 32
    .workgroup_processor_mode: 1
  - .args:
      - .offset:         0
        .size:           184
        .value_kind:     by_value
    .group_segment_fixed_size: 0
    .kernarg_segment_align: 8
    .kernarg_segment_size: 184
    .language:       OpenCL C
    .language_version:
      - 2
      - 0
    .max_flat_workgroup_size: 256
    .name:           _ZN7rocprim17ROCPRIM_400000_NS6detail17trampoline_kernelINS0_13select_configILj256ELj13ELNS0_17block_load_methodE3ELS4_3ELS4_3ELNS0_20block_scan_algorithmE0ELj4294967295EEENS1_25partition_config_selectorILNS1_17partition_subalgoE4EjNS0_10empty_typeEbEEZZNS1_14partition_implILS8_4ELb0ES6_15HIP_vector_typeIjLj2EENS0_17counting_iteratorIjlEEPS9_SG_NS0_5tupleIJPjSI_NS0_16reverse_iteratorISI_EEEEENSH_IJSG_SG_SG_EEES9_SI_JZNS1_25segmented_radix_sort_implINS0_14default_configELb1EPK6__halfPSP_PKlPlN2at6native12_GLOBAL__N_18offset_tEEE10hipError_tPvRmT1_PNSt15iterator_traitsIS13_E10value_typeET2_T3_PNS14_IS19_E10value_typeET4_jRbjT5_S1F_jjP12ihipStream_tbEUljE_ZNSN_ISO_Lb1ESR_SS_SU_SV_SZ_EES10_S11_S12_S13_S17_S18_S19_S1C_S1D_jS1E_jS1F_S1F_jjS1H_bEUljE0_EEES10_S11_S12_S19_S1D_S1F_T6_T7_T9_mT8_S1H_bDpT10_ENKUlT_T0_E_clISt17integral_constantIbLb0EES1U_IbLb1EEEEDaS1Q_S1R_EUlS1Q_E_NS1_11comp_targetILNS1_3genE5ELNS1_11target_archE942ELNS1_3gpuE9ELNS1_3repE0EEENS1_30default_config_static_selectorELNS0_4arch9wavefront6targetE0EEEvS13_
    .private_segment_fixed_size: 0
    .sgpr_count:     0
    .sgpr_spill_count: 0
    .symbol:         _ZN7rocprim17ROCPRIM_400000_NS6detail17trampoline_kernelINS0_13select_configILj256ELj13ELNS0_17block_load_methodE3ELS4_3ELS4_3ELNS0_20block_scan_algorithmE0ELj4294967295EEENS1_25partition_config_selectorILNS1_17partition_subalgoE4EjNS0_10empty_typeEbEEZZNS1_14partition_implILS8_4ELb0ES6_15HIP_vector_typeIjLj2EENS0_17counting_iteratorIjlEEPS9_SG_NS0_5tupleIJPjSI_NS0_16reverse_iteratorISI_EEEEENSH_IJSG_SG_SG_EEES9_SI_JZNS1_25segmented_radix_sort_implINS0_14default_configELb1EPK6__halfPSP_PKlPlN2at6native12_GLOBAL__N_18offset_tEEE10hipError_tPvRmT1_PNSt15iterator_traitsIS13_E10value_typeET2_T3_PNS14_IS19_E10value_typeET4_jRbjT5_S1F_jjP12ihipStream_tbEUljE_ZNSN_ISO_Lb1ESR_SS_SU_SV_SZ_EES10_S11_S12_S13_S17_S18_S19_S1C_S1D_jS1E_jS1F_S1F_jjS1H_bEUljE0_EEES10_S11_S12_S19_S1D_S1F_T6_T7_T9_mT8_S1H_bDpT10_ENKUlT_T0_E_clISt17integral_constantIbLb0EES1U_IbLb1EEEEDaS1Q_S1R_EUlS1Q_E_NS1_11comp_targetILNS1_3genE5ELNS1_11target_archE942ELNS1_3gpuE9ELNS1_3repE0EEENS1_30default_config_static_selectorELNS0_4arch9wavefront6targetE0EEEvS13_.kd
    .uniform_work_group_size: 1
    .uses_dynamic_stack: false
    .vgpr_count:     0
    .vgpr_spill_count: 0
    .wavefront_size: 32
    .workgroup_processor_mode: 1
  - .args:
      - .offset:         0
        .size:           184
        .value_kind:     by_value
    .group_segment_fixed_size: 0
    .kernarg_segment_align: 8
    .kernarg_segment_size: 184
    .language:       OpenCL C
    .language_version:
      - 2
      - 0
    .max_flat_workgroup_size: 256
    .name:           _ZN7rocprim17ROCPRIM_400000_NS6detail17trampoline_kernelINS0_13select_configILj256ELj13ELNS0_17block_load_methodE3ELS4_3ELS4_3ELNS0_20block_scan_algorithmE0ELj4294967295EEENS1_25partition_config_selectorILNS1_17partition_subalgoE4EjNS0_10empty_typeEbEEZZNS1_14partition_implILS8_4ELb0ES6_15HIP_vector_typeIjLj2EENS0_17counting_iteratorIjlEEPS9_SG_NS0_5tupleIJPjSI_NS0_16reverse_iteratorISI_EEEEENSH_IJSG_SG_SG_EEES9_SI_JZNS1_25segmented_radix_sort_implINS0_14default_configELb1EPK6__halfPSP_PKlPlN2at6native12_GLOBAL__N_18offset_tEEE10hipError_tPvRmT1_PNSt15iterator_traitsIS13_E10value_typeET2_T3_PNS14_IS19_E10value_typeET4_jRbjT5_S1F_jjP12ihipStream_tbEUljE_ZNSN_ISO_Lb1ESR_SS_SU_SV_SZ_EES10_S11_S12_S13_S17_S18_S19_S1C_S1D_jS1E_jS1F_S1F_jjS1H_bEUljE0_EEES10_S11_S12_S19_S1D_S1F_T6_T7_T9_mT8_S1H_bDpT10_ENKUlT_T0_E_clISt17integral_constantIbLb0EES1U_IbLb1EEEEDaS1Q_S1R_EUlS1Q_E_NS1_11comp_targetILNS1_3genE4ELNS1_11target_archE910ELNS1_3gpuE8ELNS1_3repE0EEENS1_30default_config_static_selectorELNS0_4arch9wavefront6targetE0EEEvS13_
    .private_segment_fixed_size: 0
    .sgpr_count:     0
    .sgpr_spill_count: 0
    .symbol:         _ZN7rocprim17ROCPRIM_400000_NS6detail17trampoline_kernelINS0_13select_configILj256ELj13ELNS0_17block_load_methodE3ELS4_3ELS4_3ELNS0_20block_scan_algorithmE0ELj4294967295EEENS1_25partition_config_selectorILNS1_17partition_subalgoE4EjNS0_10empty_typeEbEEZZNS1_14partition_implILS8_4ELb0ES6_15HIP_vector_typeIjLj2EENS0_17counting_iteratorIjlEEPS9_SG_NS0_5tupleIJPjSI_NS0_16reverse_iteratorISI_EEEEENSH_IJSG_SG_SG_EEES9_SI_JZNS1_25segmented_radix_sort_implINS0_14default_configELb1EPK6__halfPSP_PKlPlN2at6native12_GLOBAL__N_18offset_tEEE10hipError_tPvRmT1_PNSt15iterator_traitsIS13_E10value_typeET2_T3_PNS14_IS19_E10value_typeET4_jRbjT5_S1F_jjP12ihipStream_tbEUljE_ZNSN_ISO_Lb1ESR_SS_SU_SV_SZ_EES10_S11_S12_S13_S17_S18_S19_S1C_S1D_jS1E_jS1F_S1F_jjS1H_bEUljE0_EEES10_S11_S12_S19_S1D_S1F_T6_T7_T9_mT8_S1H_bDpT10_ENKUlT_T0_E_clISt17integral_constantIbLb0EES1U_IbLb1EEEEDaS1Q_S1R_EUlS1Q_E_NS1_11comp_targetILNS1_3genE4ELNS1_11target_archE910ELNS1_3gpuE8ELNS1_3repE0EEENS1_30default_config_static_selectorELNS0_4arch9wavefront6targetE0EEEvS13_.kd
    .uniform_work_group_size: 1
    .uses_dynamic_stack: false
    .vgpr_count:     0
    .vgpr_spill_count: 0
    .wavefront_size: 32
    .workgroup_processor_mode: 1
  - .args:
      - .offset:         0
        .size:           184
        .value_kind:     by_value
    .group_segment_fixed_size: 0
    .kernarg_segment_align: 8
    .kernarg_segment_size: 184
    .language:       OpenCL C
    .language_version:
      - 2
      - 0
    .max_flat_workgroup_size: 256
    .name:           _ZN7rocprim17ROCPRIM_400000_NS6detail17trampoline_kernelINS0_13select_configILj256ELj13ELNS0_17block_load_methodE3ELS4_3ELS4_3ELNS0_20block_scan_algorithmE0ELj4294967295EEENS1_25partition_config_selectorILNS1_17partition_subalgoE4EjNS0_10empty_typeEbEEZZNS1_14partition_implILS8_4ELb0ES6_15HIP_vector_typeIjLj2EENS0_17counting_iteratorIjlEEPS9_SG_NS0_5tupleIJPjSI_NS0_16reverse_iteratorISI_EEEEENSH_IJSG_SG_SG_EEES9_SI_JZNS1_25segmented_radix_sort_implINS0_14default_configELb1EPK6__halfPSP_PKlPlN2at6native12_GLOBAL__N_18offset_tEEE10hipError_tPvRmT1_PNSt15iterator_traitsIS13_E10value_typeET2_T3_PNS14_IS19_E10value_typeET4_jRbjT5_S1F_jjP12ihipStream_tbEUljE_ZNSN_ISO_Lb1ESR_SS_SU_SV_SZ_EES10_S11_S12_S13_S17_S18_S19_S1C_S1D_jS1E_jS1F_S1F_jjS1H_bEUljE0_EEES10_S11_S12_S19_S1D_S1F_T6_T7_T9_mT8_S1H_bDpT10_ENKUlT_T0_E_clISt17integral_constantIbLb0EES1U_IbLb1EEEEDaS1Q_S1R_EUlS1Q_E_NS1_11comp_targetILNS1_3genE3ELNS1_11target_archE908ELNS1_3gpuE7ELNS1_3repE0EEENS1_30default_config_static_selectorELNS0_4arch9wavefront6targetE0EEEvS13_
    .private_segment_fixed_size: 0
    .sgpr_count:     0
    .sgpr_spill_count: 0
    .symbol:         _ZN7rocprim17ROCPRIM_400000_NS6detail17trampoline_kernelINS0_13select_configILj256ELj13ELNS0_17block_load_methodE3ELS4_3ELS4_3ELNS0_20block_scan_algorithmE0ELj4294967295EEENS1_25partition_config_selectorILNS1_17partition_subalgoE4EjNS0_10empty_typeEbEEZZNS1_14partition_implILS8_4ELb0ES6_15HIP_vector_typeIjLj2EENS0_17counting_iteratorIjlEEPS9_SG_NS0_5tupleIJPjSI_NS0_16reverse_iteratorISI_EEEEENSH_IJSG_SG_SG_EEES9_SI_JZNS1_25segmented_radix_sort_implINS0_14default_configELb1EPK6__halfPSP_PKlPlN2at6native12_GLOBAL__N_18offset_tEEE10hipError_tPvRmT1_PNSt15iterator_traitsIS13_E10value_typeET2_T3_PNS14_IS19_E10value_typeET4_jRbjT5_S1F_jjP12ihipStream_tbEUljE_ZNSN_ISO_Lb1ESR_SS_SU_SV_SZ_EES10_S11_S12_S13_S17_S18_S19_S1C_S1D_jS1E_jS1F_S1F_jjS1H_bEUljE0_EEES10_S11_S12_S19_S1D_S1F_T6_T7_T9_mT8_S1H_bDpT10_ENKUlT_T0_E_clISt17integral_constantIbLb0EES1U_IbLb1EEEEDaS1Q_S1R_EUlS1Q_E_NS1_11comp_targetILNS1_3genE3ELNS1_11target_archE908ELNS1_3gpuE7ELNS1_3repE0EEENS1_30default_config_static_selectorELNS0_4arch9wavefront6targetE0EEEvS13_.kd
    .uniform_work_group_size: 1
    .uses_dynamic_stack: false
    .vgpr_count:     0
    .vgpr_spill_count: 0
    .wavefront_size: 32
    .workgroup_processor_mode: 1
  - .args:
      - .offset:         0
        .size:           184
        .value_kind:     by_value
    .group_segment_fixed_size: 0
    .kernarg_segment_align: 8
    .kernarg_segment_size: 184
    .language:       OpenCL C
    .language_version:
      - 2
      - 0
    .max_flat_workgroup_size: 256
    .name:           _ZN7rocprim17ROCPRIM_400000_NS6detail17trampoline_kernelINS0_13select_configILj256ELj13ELNS0_17block_load_methodE3ELS4_3ELS4_3ELNS0_20block_scan_algorithmE0ELj4294967295EEENS1_25partition_config_selectorILNS1_17partition_subalgoE4EjNS0_10empty_typeEbEEZZNS1_14partition_implILS8_4ELb0ES6_15HIP_vector_typeIjLj2EENS0_17counting_iteratorIjlEEPS9_SG_NS0_5tupleIJPjSI_NS0_16reverse_iteratorISI_EEEEENSH_IJSG_SG_SG_EEES9_SI_JZNS1_25segmented_radix_sort_implINS0_14default_configELb1EPK6__halfPSP_PKlPlN2at6native12_GLOBAL__N_18offset_tEEE10hipError_tPvRmT1_PNSt15iterator_traitsIS13_E10value_typeET2_T3_PNS14_IS19_E10value_typeET4_jRbjT5_S1F_jjP12ihipStream_tbEUljE_ZNSN_ISO_Lb1ESR_SS_SU_SV_SZ_EES10_S11_S12_S13_S17_S18_S19_S1C_S1D_jS1E_jS1F_S1F_jjS1H_bEUljE0_EEES10_S11_S12_S19_S1D_S1F_T6_T7_T9_mT8_S1H_bDpT10_ENKUlT_T0_E_clISt17integral_constantIbLb0EES1U_IbLb1EEEEDaS1Q_S1R_EUlS1Q_E_NS1_11comp_targetILNS1_3genE2ELNS1_11target_archE906ELNS1_3gpuE6ELNS1_3repE0EEENS1_30default_config_static_selectorELNS0_4arch9wavefront6targetE0EEEvS13_
    .private_segment_fixed_size: 0
    .sgpr_count:     0
    .sgpr_spill_count: 0
    .symbol:         _ZN7rocprim17ROCPRIM_400000_NS6detail17trampoline_kernelINS0_13select_configILj256ELj13ELNS0_17block_load_methodE3ELS4_3ELS4_3ELNS0_20block_scan_algorithmE0ELj4294967295EEENS1_25partition_config_selectorILNS1_17partition_subalgoE4EjNS0_10empty_typeEbEEZZNS1_14partition_implILS8_4ELb0ES6_15HIP_vector_typeIjLj2EENS0_17counting_iteratorIjlEEPS9_SG_NS0_5tupleIJPjSI_NS0_16reverse_iteratorISI_EEEEENSH_IJSG_SG_SG_EEES9_SI_JZNS1_25segmented_radix_sort_implINS0_14default_configELb1EPK6__halfPSP_PKlPlN2at6native12_GLOBAL__N_18offset_tEEE10hipError_tPvRmT1_PNSt15iterator_traitsIS13_E10value_typeET2_T3_PNS14_IS19_E10value_typeET4_jRbjT5_S1F_jjP12ihipStream_tbEUljE_ZNSN_ISO_Lb1ESR_SS_SU_SV_SZ_EES10_S11_S12_S13_S17_S18_S19_S1C_S1D_jS1E_jS1F_S1F_jjS1H_bEUljE0_EEES10_S11_S12_S19_S1D_S1F_T6_T7_T9_mT8_S1H_bDpT10_ENKUlT_T0_E_clISt17integral_constantIbLb0EES1U_IbLb1EEEEDaS1Q_S1R_EUlS1Q_E_NS1_11comp_targetILNS1_3genE2ELNS1_11target_archE906ELNS1_3gpuE6ELNS1_3repE0EEENS1_30default_config_static_selectorELNS0_4arch9wavefront6targetE0EEEvS13_.kd
    .uniform_work_group_size: 1
    .uses_dynamic_stack: false
    .vgpr_count:     0
    .vgpr_spill_count: 0
    .wavefront_size: 32
    .workgroup_processor_mode: 1
  - .args:
      - .offset:         0
        .size:           184
        .value_kind:     by_value
    .group_segment_fixed_size: 0
    .kernarg_segment_align: 8
    .kernarg_segment_size: 184
    .language:       OpenCL C
    .language_version:
      - 2
      - 0
    .max_flat_workgroup_size: 256
    .name:           _ZN7rocprim17ROCPRIM_400000_NS6detail17trampoline_kernelINS0_13select_configILj256ELj13ELNS0_17block_load_methodE3ELS4_3ELS4_3ELNS0_20block_scan_algorithmE0ELj4294967295EEENS1_25partition_config_selectorILNS1_17partition_subalgoE4EjNS0_10empty_typeEbEEZZNS1_14partition_implILS8_4ELb0ES6_15HIP_vector_typeIjLj2EENS0_17counting_iteratorIjlEEPS9_SG_NS0_5tupleIJPjSI_NS0_16reverse_iteratorISI_EEEEENSH_IJSG_SG_SG_EEES9_SI_JZNS1_25segmented_radix_sort_implINS0_14default_configELb1EPK6__halfPSP_PKlPlN2at6native12_GLOBAL__N_18offset_tEEE10hipError_tPvRmT1_PNSt15iterator_traitsIS13_E10value_typeET2_T3_PNS14_IS19_E10value_typeET4_jRbjT5_S1F_jjP12ihipStream_tbEUljE_ZNSN_ISO_Lb1ESR_SS_SU_SV_SZ_EES10_S11_S12_S13_S17_S18_S19_S1C_S1D_jS1E_jS1F_S1F_jjS1H_bEUljE0_EEES10_S11_S12_S19_S1D_S1F_T6_T7_T9_mT8_S1H_bDpT10_ENKUlT_T0_E_clISt17integral_constantIbLb0EES1U_IbLb1EEEEDaS1Q_S1R_EUlS1Q_E_NS1_11comp_targetILNS1_3genE10ELNS1_11target_archE1200ELNS1_3gpuE4ELNS1_3repE0EEENS1_30default_config_static_selectorELNS0_4arch9wavefront6targetE0EEEvS13_
    .private_segment_fixed_size: 0
    .sgpr_count:     0
    .sgpr_spill_count: 0
    .symbol:         _ZN7rocprim17ROCPRIM_400000_NS6detail17trampoline_kernelINS0_13select_configILj256ELj13ELNS0_17block_load_methodE3ELS4_3ELS4_3ELNS0_20block_scan_algorithmE0ELj4294967295EEENS1_25partition_config_selectorILNS1_17partition_subalgoE4EjNS0_10empty_typeEbEEZZNS1_14partition_implILS8_4ELb0ES6_15HIP_vector_typeIjLj2EENS0_17counting_iteratorIjlEEPS9_SG_NS0_5tupleIJPjSI_NS0_16reverse_iteratorISI_EEEEENSH_IJSG_SG_SG_EEES9_SI_JZNS1_25segmented_radix_sort_implINS0_14default_configELb1EPK6__halfPSP_PKlPlN2at6native12_GLOBAL__N_18offset_tEEE10hipError_tPvRmT1_PNSt15iterator_traitsIS13_E10value_typeET2_T3_PNS14_IS19_E10value_typeET4_jRbjT5_S1F_jjP12ihipStream_tbEUljE_ZNSN_ISO_Lb1ESR_SS_SU_SV_SZ_EES10_S11_S12_S13_S17_S18_S19_S1C_S1D_jS1E_jS1F_S1F_jjS1H_bEUljE0_EEES10_S11_S12_S19_S1D_S1F_T6_T7_T9_mT8_S1H_bDpT10_ENKUlT_T0_E_clISt17integral_constantIbLb0EES1U_IbLb1EEEEDaS1Q_S1R_EUlS1Q_E_NS1_11comp_targetILNS1_3genE10ELNS1_11target_archE1200ELNS1_3gpuE4ELNS1_3repE0EEENS1_30default_config_static_selectorELNS0_4arch9wavefront6targetE0EEEvS13_.kd
    .uniform_work_group_size: 1
    .uses_dynamic_stack: false
    .vgpr_count:     0
    .vgpr_spill_count: 0
    .wavefront_size: 32
    .workgroup_processor_mode: 1
  - .args:
      - .offset:         0
        .size:           184
        .value_kind:     by_value
    .group_segment_fixed_size: 0
    .kernarg_segment_align: 8
    .kernarg_segment_size: 184
    .language:       OpenCL C
    .language_version:
      - 2
      - 0
    .max_flat_workgroup_size: 256
    .name:           _ZN7rocprim17ROCPRIM_400000_NS6detail17trampoline_kernelINS0_13select_configILj256ELj13ELNS0_17block_load_methodE3ELS4_3ELS4_3ELNS0_20block_scan_algorithmE0ELj4294967295EEENS1_25partition_config_selectorILNS1_17partition_subalgoE4EjNS0_10empty_typeEbEEZZNS1_14partition_implILS8_4ELb0ES6_15HIP_vector_typeIjLj2EENS0_17counting_iteratorIjlEEPS9_SG_NS0_5tupleIJPjSI_NS0_16reverse_iteratorISI_EEEEENSH_IJSG_SG_SG_EEES9_SI_JZNS1_25segmented_radix_sort_implINS0_14default_configELb1EPK6__halfPSP_PKlPlN2at6native12_GLOBAL__N_18offset_tEEE10hipError_tPvRmT1_PNSt15iterator_traitsIS13_E10value_typeET2_T3_PNS14_IS19_E10value_typeET4_jRbjT5_S1F_jjP12ihipStream_tbEUljE_ZNSN_ISO_Lb1ESR_SS_SU_SV_SZ_EES10_S11_S12_S13_S17_S18_S19_S1C_S1D_jS1E_jS1F_S1F_jjS1H_bEUljE0_EEES10_S11_S12_S19_S1D_S1F_T6_T7_T9_mT8_S1H_bDpT10_ENKUlT_T0_E_clISt17integral_constantIbLb0EES1U_IbLb1EEEEDaS1Q_S1R_EUlS1Q_E_NS1_11comp_targetILNS1_3genE9ELNS1_11target_archE1100ELNS1_3gpuE3ELNS1_3repE0EEENS1_30default_config_static_selectorELNS0_4arch9wavefront6targetE0EEEvS13_
    .private_segment_fixed_size: 0
    .sgpr_count:     0
    .sgpr_spill_count: 0
    .symbol:         _ZN7rocprim17ROCPRIM_400000_NS6detail17trampoline_kernelINS0_13select_configILj256ELj13ELNS0_17block_load_methodE3ELS4_3ELS4_3ELNS0_20block_scan_algorithmE0ELj4294967295EEENS1_25partition_config_selectorILNS1_17partition_subalgoE4EjNS0_10empty_typeEbEEZZNS1_14partition_implILS8_4ELb0ES6_15HIP_vector_typeIjLj2EENS0_17counting_iteratorIjlEEPS9_SG_NS0_5tupleIJPjSI_NS0_16reverse_iteratorISI_EEEEENSH_IJSG_SG_SG_EEES9_SI_JZNS1_25segmented_radix_sort_implINS0_14default_configELb1EPK6__halfPSP_PKlPlN2at6native12_GLOBAL__N_18offset_tEEE10hipError_tPvRmT1_PNSt15iterator_traitsIS13_E10value_typeET2_T3_PNS14_IS19_E10value_typeET4_jRbjT5_S1F_jjP12ihipStream_tbEUljE_ZNSN_ISO_Lb1ESR_SS_SU_SV_SZ_EES10_S11_S12_S13_S17_S18_S19_S1C_S1D_jS1E_jS1F_S1F_jjS1H_bEUljE0_EEES10_S11_S12_S19_S1D_S1F_T6_T7_T9_mT8_S1H_bDpT10_ENKUlT_T0_E_clISt17integral_constantIbLb0EES1U_IbLb1EEEEDaS1Q_S1R_EUlS1Q_E_NS1_11comp_targetILNS1_3genE9ELNS1_11target_archE1100ELNS1_3gpuE3ELNS1_3repE0EEENS1_30default_config_static_selectorELNS0_4arch9wavefront6targetE0EEEvS13_.kd
    .uniform_work_group_size: 1
    .uses_dynamic_stack: false
    .vgpr_count:     0
    .vgpr_spill_count: 0
    .wavefront_size: 32
    .workgroup_processor_mode: 1
  - .args:
      - .offset:         0
        .size:           184
        .value_kind:     by_value
    .group_segment_fixed_size: 13328
    .kernarg_segment_align: 8
    .kernarg_segment_size: 184
    .language:       OpenCL C
    .language_version:
      - 2
      - 0
    .max_flat_workgroup_size: 256
    .name:           _ZN7rocprim17ROCPRIM_400000_NS6detail17trampoline_kernelINS0_13select_configILj256ELj13ELNS0_17block_load_methodE3ELS4_3ELS4_3ELNS0_20block_scan_algorithmE0ELj4294967295EEENS1_25partition_config_selectorILNS1_17partition_subalgoE4EjNS0_10empty_typeEbEEZZNS1_14partition_implILS8_4ELb0ES6_15HIP_vector_typeIjLj2EENS0_17counting_iteratorIjlEEPS9_SG_NS0_5tupleIJPjSI_NS0_16reverse_iteratorISI_EEEEENSH_IJSG_SG_SG_EEES9_SI_JZNS1_25segmented_radix_sort_implINS0_14default_configELb1EPK6__halfPSP_PKlPlN2at6native12_GLOBAL__N_18offset_tEEE10hipError_tPvRmT1_PNSt15iterator_traitsIS13_E10value_typeET2_T3_PNS14_IS19_E10value_typeET4_jRbjT5_S1F_jjP12ihipStream_tbEUljE_ZNSN_ISO_Lb1ESR_SS_SU_SV_SZ_EES10_S11_S12_S13_S17_S18_S19_S1C_S1D_jS1E_jS1F_S1F_jjS1H_bEUljE0_EEES10_S11_S12_S19_S1D_S1F_T6_T7_T9_mT8_S1H_bDpT10_ENKUlT_T0_E_clISt17integral_constantIbLb0EES1U_IbLb1EEEEDaS1Q_S1R_EUlS1Q_E_NS1_11comp_targetILNS1_3genE8ELNS1_11target_archE1030ELNS1_3gpuE2ELNS1_3repE0EEENS1_30default_config_static_selectorELNS0_4arch9wavefront6targetE0EEEvS13_
    .private_segment_fixed_size: 0
    .sgpr_count:     57
    .sgpr_spill_count: 0
    .symbol:         _ZN7rocprim17ROCPRIM_400000_NS6detail17trampoline_kernelINS0_13select_configILj256ELj13ELNS0_17block_load_methodE3ELS4_3ELS4_3ELNS0_20block_scan_algorithmE0ELj4294967295EEENS1_25partition_config_selectorILNS1_17partition_subalgoE4EjNS0_10empty_typeEbEEZZNS1_14partition_implILS8_4ELb0ES6_15HIP_vector_typeIjLj2EENS0_17counting_iteratorIjlEEPS9_SG_NS0_5tupleIJPjSI_NS0_16reverse_iteratorISI_EEEEENSH_IJSG_SG_SG_EEES9_SI_JZNS1_25segmented_radix_sort_implINS0_14default_configELb1EPK6__halfPSP_PKlPlN2at6native12_GLOBAL__N_18offset_tEEE10hipError_tPvRmT1_PNSt15iterator_traitsIS13_E10value_typeET2_T3_PNS14_IS19_E10value_typeET4_jRbjT5_S1F_jjP12ihipStream_tbEUljE_ZNSN_ISO_Lb1ESR_SS_SU_SV_SZ_EES10_S11_S12_S13_S17_S18_S19_S1C_S1D_jS1E_jS1F_S1F_jjS1H_bEUljE0_EEES10_S11_S12_S19_S1D_S1F_T6_T7_T9_mT8_S1H_bDpT10_ENKUlT_T0_E_clISt17integral_constantIbLb0EES1U_IbLb1EEEEDaS1Q_S1R_EUlS1Q_E_NS1_11comp_targetILNS1_3genE8ELNS1_11target_archE1030ELNS1_3gpuE2ELNS1_3repE0EEENS1_30default_config_static_selectorELNS0_4arch9wavefront6targetE0EEEvS13_.kd
    .uniform_work_group_size: 1
    .uses_dynamic_stack: false
    .vgpr_count:     87
    .vgpr_spill_count: 0
    .wavefront_size: 32
    .workgroup_processor_mode: 1
  - .args:
      - .offset:         0
        .size:           144
        .value_kind:     by_value
    .group_segment_fixed_size: 0
    .kernarg_segment_align: 8
    .kernarg_segment_size: 144
    .language:       OpenCL C
    .language_version:
      - 2
      - 0
    .max_flat_workgroup_size: 256
    .name:           _ZN7rocprim17ROCPRIM_400000_NS6detail17trampoline_kernelINS0_13select_configILj256ELj13ELNS0_17block_load_methodE3ELS4_3ELS4_3ELNS0_20block_scan_algorithmE0ELj4294967295EEENS1_25partition_config_selectorILNS1_17partition_subalgoE3EjNS0_10empty_typeEbEEZZNS1_14partition_implILS8_3ELb0ES6_jNS0_17counting_iteratorIjlEEPS9_SE_NS0_5tupleIJPjSE_EEENSF_IJSE_SE_EEES9_SG_JZNS1_25segmented_radix_sort_implINS0_14default_configELb1EPK6__halfPSL_PKlPlN2at6native12_GLOBAL__N_18offset_tEEE10hipError_tPvRmT1_PNSt15iterator_traitsISZ_E10value_typeET2_T3_PNS10_IS15_E10value_typeET4_jRbjT5_S1B_jjP12ihipStream_tbEUljE_EEESW_SX_SY_S15_S19_S1B_T6_T7_T9_mT8_S1D_bDpT10_ENKUlT_T0_E_clISt17integral_constantIbLb0EES1Q_EEDaS1L_S1M_EUlS1L_E_NS1_11comp_targetILNS1_3genE0ELNS1_11target_archE4294967295ELNS1_3gpuE0ELNS1_3repE0EEENS1_30default_config_static_selectorELNS0_4arch9wavefront6targetE0EEEvSZ_
    .private_segment_fixed_size: 0
    .sgpr_count:     0
    .sgpr_spill_count: 0
    .symbol:         _ZN7rocprim17ROCPRIM_400000_NS6detail17trampoline_kernelINS0_13select_configILj256ELj13ELNS0_17block_load_methodE3ELS4_3ELS4_3ELNS0_20block_scan_algorithmE0ELj4294967295EEENS1_25partition_config_selectorILNS1_17partition_subalgoE3EjNS0_10empty_typeEbEEZZNS1_14partition_implILS8_3ELb0ES6_jNS0_17counting_iteratorIjlEEPS9_SE_NS0_5tupleIJPjSE_EEENSF_IJSE_SE_EEES9_SG_JZNS1_25segmented_radix_sort_implINS0_14default_configELb1EPK6__halfPSL_PKlPlN2at6native12_GLOBAL__N_18offset_tEEE10hipError_tPvRmT1_PNSt15iterator_traitsISZ_E10value_typeET2_T3_PNS10_IS15_E10value_typeET4_jRbjT5_S1B_jjP12ihipStream_tbEUljE_EEESW_SX_SY_S15_S19_S1B_T6_T7_T9_mT8_S1D_bDpT10_ENKUlT_T0_E_clISt17integral_constantIbLb0EES1Q_EEDaS1L_S1M_EUlS1L_E_NS1_11comp_targetILNS1_3genE0ELNS1_11target_archE4294967295ELNS1_3gpuE0ELNS1_3repE0EEENS1_30default_config_static_selectorELNS0_4arch9wavefront6targetE0EEEvSZ_.kd
    .uniform_work_group_size: 1
    .uses_dynamic_stack: false
    .vgpr_count:     0
    .vgpr_spill_count: 0
    .wavefront_size: 32
    .workgroup_processor_mode: 1
  - .args:
      - .offset:         0
        .size:           144
        .value_kind:     by_value
    .group_segment_fixed_size: 0
    .kernarg_segment_align: 8
    .kernarg_segment_size: 144
    .language:       OpenCL C
    .language_version:
      - 2
      - 0
    .max_flat_workgroup_size: 256
    .name:           _ZN7rocprim17ROCPRIM_400000_NS6detail17trampoline_kernelINS0_13select_configILj256ELj13ELNS0_17block_load_methodE3ELS4_3ELS4_3ELNS0_20block_scan_algorithmE0ELj4294967295EEENS1_25partition_config_selectorILNS1_17partition_subalgoE3EjNS0_10empty_typeEbEEZZNS1_14partition_implILS8_3ELb0ES6_jNS0_17counting_iteratorIjlEEPS9_SE_NS0_5tupleIJPjSE_EEENSF_IJSE_SE_EEES9_SG_JZNS1_25segmented_radix_sort_implINS0_14default_configELb1EPK6__halfPSL_PKlPlN2at6native12_GLOBAL__N_18offset_tEEE10hipError_tPvRmT1_PNSt15iterator_traitsISZ_E10value_typeET2_T3_PNS10_IS15_E10value_typeET4_jRbjT5_S1B_jjP12ihipStream_tbEUljE_EEESW_SX_SY_S15_S19_S1B_T6_T7_T9_mT8_S1D_bDpT10_ENKUlT_T0_E_clISt17integral_constantIbLb0EES1Q_EEDaS1L_S1M_EUlS1L_E_NS1_11comp_targetILNS1_3genE5ELNS1_11target_archE942ELNS1_3gpuE9ELNS1_3repE0EEENS1_30default_config_static_selectorELNS0_4arch9wavefront6targetE0EEEvSZ_
    .private_segment_fixed_size: 0
    .sgpr_count:     0
    .sgpr_spill_count: 0
    .symbol:         _ZN7rocprim17ROCPRIM_400000_NS6detail17trampoline_kernelINS0_13select_configILj256ELj13ELNS0_17block_load_methodE3ELS4_3ELS4_3ELNS0_20block_scan_algorithmE0ELj4294967295EEENS1_25partition_config_selectorILNS1_17partition_subalgoE3EjNS0_10empty_typeEbEEZZNS1_14partition_implILS8_3ELb0ES6_jNS0_17counting_iteratorIjlEEPS9_SE_NS0_5tupleIJPjSE_EEENSF_IJSE_SE_EEES9_SG_JZNS1_25segmented_radix_sort_implINS0_14default_configELb1EPK6__halfPSL_PKlPlN2at6native12_GLOBAL__N_18offset_tEEE10hipError_tPvRmT1_PNSt15iterator_traitsISZ_E10value_typeET2_T3_PNS10_IS15_E10value_typeET4_jRbjT5_S1B_jjP12ihipStream_tbEUljE_EEESW_SX_SY_S15_S19_S1B_T6_T7_T9_mT8_S1D_bDpT10_ENKUlT_T0_E_clISt17integral_constantIbLb0EES1Q_EEDaS1L_S1M_EUlS1L_E_NS1_11comp_targetILNS1_3genE5ELNS1_11target_archE942ELNS1_3gpuE9ELNS1_3repE0EEENS1_30default_config_static_selectorELNS0_4arch9wavefront6targetE0EEEvSZ_.kd
    .uniform_work_group_size: 1
    .uses_dynamic_stack: false
    .vgpr_count:     0
    .vgpr_spill_count: 0
    .wavefront_size: 32
    .workgroup_processor_mode: 1
  - .args:
      - .offset:         0
        .size:           144
        .value_kind:     by_value
    .group_segment_fixed_size: 0
    .kernarg_segment_align: 8
    .kernarg_segment_size: 144
    .language:       OpenCL C
    .language_version:
      - 2
      - 0
    .max_flat_workgroup_size: 256
    .name:           _ZN7rocprim17ROCPRIM_400000_NS6detail17trampoline_kernelINS0_13select_configILj256ELj13ELNS0_17block_load_methodE3ELS4_3ELS4_3ELNS0_20block_scan_algorithmE0ELj4294967295EEENS1_25partition_config_selectorILNS1_17partition_subalgoE3EjNS0_10empty_typeEbEEZZNS1_14partition_implILS8_3ELb0ES6_jNS0_17counting_iteratorIjlEEPS9_SE_NS0_5tupleIJPjSE_EEENSF_IJSE_SE_EEES9_SG_JZNS1_25segmented_radix_sort_implINS0_14default_configELb1EPK6__halfPSL_PKlPlN2at6native12_GLOBAL__N_18offset_tEEE10hipError_tPvRmT1_PNSt15iterator_traitsISZ_E10value_typeET2_T3_PNS10_IS15_E10value_typeET4_jRbjT5_S1B_jjP12ihipStream_tbEUljE_EEESW_SX_SY_S15_S19_S1B_T6_T7_T9_mT8_S1D_bDpT10_ENKUlT_T0_E_clISt17integral_constantIbLb0EES1Q_EEDaS1L_S1M_EUlS1L_E_NS1_11comp_targetILNS1_3genE4ELNS1_11target_archE910ELNS1_3gpuE8ELNS1_3repE0EEENS1_30default_config_static_selectorELNS0_4arch9wavefront6targetE0EEEvSZ_
    .private_segment_fixed_size: 0
    .sgpr_count:     0
    .sgpr_spill_count: 0
    .symbol:         _ZN7rocprim17ROCPRIM_400000_NS6detail17trampoline_kernelINS0_13select_configILj256ELj13ELNS0_17block_load_methodE3ELS4_3ELS4_3ELNS0_20block_scan_algorithmE0ELj4294967295EEENS1_25partition_config_selectorILNS1_17partition_subalgoE3EjNS0_10empty_typeEbEEZZNS1_14partition_implILS8_3ELb0ES6_jNS0_17counting_iteratorIjlEEPS9_SE_NS0_5tupleIJPjSE_EEENSF_IJSE_SE_EEES9_SG_JZNS1_25segmented_radix_sort_implINS0_14default_configELb1EPK6__halfPSL_PKlPlN2at6native12_GLOBAL__N_18offset_tEEE10hipError_tPvRmT1_PNSt15iterator_traitsISZ_E10value_typeET2_T3_PNS10_IS15_E10value_typeET4_jRbjT5_S1B_jjP12ihipStream_tbEUljE_EEESW_SX_SY_S15_S19_S1B_T6_T7_T9_mT8_S1D_bDpT10_ENKUlT_T0_E_clISt17integral_constantIbLb0EES1Q_EEDaS1L_S1M_EUlS1L_E_NS1_11comp_targetILNS1_3genE4ELNS1_11target_archE910ELNS1_3gpuE8ELNS1_3repE0EEENS1_30default_config_static_selectorELNS0_4arch9wavefront6targetE0EEEvSZ_.kd
    .uniform_work_group_size: 1
    .uses_dynamic_stack: false
    .vgpr_count:     0
    .vgpr_spill_count: 0
    .wavefront_size: 32
    .workgroup_processor_mode: 1
  - .args:
      - .offset:         0
        .size:           144
        .value_kind:     by_value
    .group_segment_fixed_size: 0
    .kernarg_segment_align: 8
    .kernarg_segment_size: 144
    .language:       OpenCL C
    .language_version:
      - 2
      - 0
    .max_flat_workgroup_size: 256
    .name:           _ZN7rocprim17ROCPRIM_400000_NS6detail17trampoline_kernelINS0_13select_configILj256ELj13ELNS0_17block_load_methodE3ELS4_3ELS4_3ELNS0_20block_scan_algorithmE0ELj4294967295EEENS1_25partition_config_selectorILNS1_17partition_subalgoE3EjNS0_10empty_typeEbEEZZNS1_14partition_implILS8_3ELb0ES6_jNS0_17counting_iteratorIjlEEPS9_SE_NS0_5tupleIJPjSE_EEENSF_IJSE_SE_EEES9_SG_JZNS1_25segmented_radix_sort_implINS0_14default_configELb1EPK6__halfPSL_PKlPlN2at6native12_GLOBAL__N_18offset_tEEE10hipError_tPvRmT1_PNSt15iterator_traitsISZ_E10value_typeET2_T3_PNS10_IS15_E10value_typeET4_jRbjT5_S1B_jjP12ihipStream_tbEUljE_EEESW_SX_SY_S15_S19_S1B_T6_T7_T9_mT8_S1D_bDpT10_ENKUlT_T0_E_clISt17integral_constantIbLb0EES1Q_EEDaS1L_S1M_EUlS1L_E_NS1_11comp_targetILNS1_3genE3ELNS1_11target_archE908ELNS1_3gpuE7ELNS1_3repE0EEENS1_30default_config_static_selectorELNS0_4arch9wavefront6targetE0EEEvSZ_
    .private_segment_fixed_size: 0
    .sgpr_count:     0
    .sgpr_spill_count: 0
    .symbol:         _ZN7rocprim17ROCPRIM_400000_NS6detail17trampoline_kernelINS0_13select_configILj256ELj13ELNS0_17block_load_methodE3ELS4_3ELS4_3ELNS0_20block_scan_algorithmE0ELj4294967295EEENS1_25partition_config_selectorILNS1_17partition_subalgoE3EjNS0_10empty_typeEbEEZZNS1_14partition_implILS8_3ELb0ES6_jNS0_17counting_iteratorIjlEEPS9_SE_NS0_5tupleIJPjSE_EEENSF_IJSE_SE_EEES9_SG_JZNS1_25segmented_radix_sort_implINS0_14default_configELb1EPK6__halfPSL_PKlPlN2at6native12_GLOBAL__N_18offset_tEEE10hipError_tPvRmT1_PNSt15iterator_traitsISZ_E10value_typeET2_T3_PNS10_IS15_E10value_typeET4_jRbjT5_S1B_jjP12ihipStream_tbEUljE_EEESW_SX_SY_S15_S19_S1B_T6_T7_T9_mT8_S1D_bDpT10_ENKUlT_T0_E_clISt17integral_constantIbLb0EES1Q_EEDaS1L_S1M_EUlS1L_E_NS1_11comp_targetILNS1_3genE3ELNS1_11target_archE908ELNS1_3gpuE7ELNS1_3repE0EEENS1_30default_config_static_selectorELNS0_4arch9wavefront6targetE0EEEvSZ_.kd
    .uniform_work_group_size: 1
    .uses_dynamic_stack: false
    .vgpr_count:     0
    .vgpr_spill_count: 0
    .wavefront_size: 32
    .workgroup_processor_mode: 1
  - .args:
      - .offset:         0
        .size:           144
        .value_kind:     by_value
    .group_segment_fixed_size: 0
    .kernarg_segment_align: 8
    .kernarg_segment_size: 144
    .language:       OpenCL C
    .language_version:
      - 2
      - 0
    .max_flat_workgroup_size: 256
    .name:           _ZN7rocprim17ROCPRIM_400000_NS6detail17trampoline_kernelINS0_13select_configILj256ELj13ELNS0_17block_load_methodE3ELS4_3ELS4_3ELNS0_20block_scan_algorithmE0ELj4294967295EEENS1_25partition_config_selectorILNS1_17partition_subalgoE3EjNS0_10empty_typeEbEEZZNS1_14partition_implILS8_3ELb0ES6_jNS0_17counting_iteratorIjlEEPS9_SE_NS0_5tupleIJPjSE_EEENSF_IJSE_SE_EEES9_SG_JZNS1_25segmented_radix_sort_implINS0_14default_configELb1EPK6__halfPSL_PKlPlN2at6native12_GLOBAL__N_18offset_tEEE10hipError_tPvRmT1_PNSt15iterator_traitsISZ_E10value_typeET2_T3_PNS10_IS15_E10value_typeET4_jRbjT5_S1B_jjP12ihipStream_tbEUljE_EEESW_SX_SY_S15_S19_S1B_T6_T7_T9_mT8_S1D_bDpT10_ENKUlT_T0_E_clISt17integral_constantIbLb0EES1Q_EEDaS1L_S1M_EUlS1L_E_NS1_11comp_targetILNS1_3genE2ELNS1_11target_archE906ELNS1_3gpuE6ELNS1_3repE0EEENS1_30default_config_static_selectorELNS0_4arch9wavefront6targetE0EEEvSZ_
    .private_segment_fixed_size: 0
    .sgpr_count:     0
    .sgpr_spill_count: 0
    .symbol:         _ZN7rocprim17ROCPRIM_400000_NS6detail17trampoline_kernelINS0_13select_configILj256ELj13ELNS0_17block_load_methodE3ELS4_3ELS4_3ELNS0_20block_scan_algorithmE0ELj4294967295EEENS1_25partition_config_selectorILNS1_17partition_subalgoE3EjNS0_10empty_typeEbEEZZNS1_14partition_implILS8_3ELb0ES6_jNS0_17counting_iteratorIjlEEPS9_SE_NS0_5tupleIJPjSE_EEENSF_IJSE_SE_EEES9_SG_JZNS1_25segmented_radix_sort_implINS0_14default_configELb1EPK6__halfPSL_PKlPlN2at6native12_GLOBAL__N_18offset_tEEE10hipError_tPvRmT1_PNSt15iterator_traitsISZ_E10value_typeET2_T3_PNS10_IS15_E10value_typeET4_jRbjT5_S1B_jjP12ihipStream_tbEUljE_EEESW_SX_SY_S15_S19_S1B_T6_T7_T9_mT8_S1D_bDpT10_ENKUlT_T0_E_clISt17integral_constantIbLb0EES1Q_EEDaS1L_S1M_EUlS1L_E_NS1_11comp_targetILNS1_3genE2ELNS1_11target_archE906ELNS1_3gpuE6ELNS1_3repE0EEENS1_30default_config_static_selectorELNS0_4arch9wavefront6targetE0EEEvSZ_.kd
    .uniform_work_group_size: 1
    .uses_dynamic_stack: false
    .vgpr_count:     0
    .vgpr_spill_count: 0
    .wavefront_size: 32
    .workgroup_processor_mode: 1
  - .args:
      - .offset:         0
        .size:           144
        .value_kind:     by_value
    .group_segment_fixed_size: 0
    .kernarg_segment_align: 8
    .kernarg_segment_size: 144
    .language:       OpenCL C
    .language_version:
      - 2
      - 0
    .max_flat_workgroup_size: 256
    .name:           _ZN7rocprim17ROCPRIM_400000_NS6detail17trampoline_kernelINS0_13select_configILj256ELj13ELNS0_17block_load_methodE3ELS4_3ELS4_3ELNS0_20block_scan_algorithmE0ELj4294967295EEENS1_25partition_config_selectorILNS1_17partition_subalgoE3EjNS0_10empty_typeEbEEZZNS1_14partition_implILS8_3ELb0ES6_jNS0_17counting_iteratorIjlEEPS9_SE_NS0_5tupleIJPjSE_EEENSF_IJSE_SE_EEES9_SG_JZNS1_25segmented_radix_sort_implINS0_14default_configELb1EPK6__halfPSL_PKlPlN2at6native12_GLOBAL__N_18offset_tEEE10hipError_tPvRmT1_PNSt15iterator_traitsISZ_E10value_typeET2_T3_PNS10_IS15_E10value_typeET4_jRbjT5_S1B_jjP12ihipStream_tbEUljE_EEESW_SX_SY_S15_S19_S1B_T6_T7_T9_mT8_S1D_bDpT10_ENKUlT_T0_E_clISt17integral_constantIbLb0EES1Q_EEDaS1L_S1M_EUlS1L_E_NS1_11comp_targetILNS1_3genE10ELNS1_11target_archE1200ELNS1_3gpuE4ELNS1_3repE0EEENS1_30default_config_static_selectorELNS0_4arch9wavefront6targetE0EEEvSZ_
    .private_segment_fixed_size: 0
    .sgpr_count:     0
    .sgpr_spill_count: 0
    .symbol:         _ZN7rocprim17ROCPRIM_400000_NS6detail17trampoline_kernelINS0_13select_configILj256ELj13ELNS0_17block_load_methodE3ELS4_3ELS4_3ELNS0_20block_scan_algorithmE0ELj4294967295EEENS1_25partition_config_selectorILNS1_17partition_subalgoE3EjNS0_10empty_typeEbEEZZNS1_14partition_implILS8_3ELb0ES6_jNS0_17counting_iteratorIjlEEPS9_SE_NS0_5tupleIJPjSE_EEENSF_IJSE_SE_EEES9_SG_JZNS1_25segmented_radix_sort_implINS0_14default_configELb1EPK6__halfPSL_PKlPlN2at6native12_GLOBAL__N_18offset_tEEE10hipError_tPvRmT1_PNSt15iterator_traitsISZ_E10value_typeET2_T3_PNS10_IS15_E10value_typeET4_jRbjT5_S1B_jjP12ihipStream_tbEUljE_EEESW_SX_SY_S15_S19_S1B_T6_T7_T9_mT8_S1D_bDpT10_ENKUlT_T0_E_clISt17integral_constantIbLb0EES1Q_EEDaS1L_S1M_EUlS1L_E_NS1_11comp_targetILNS1_3genE10ELNS1_11target_archE1200ELNS1_3gpuE4ELNS1_3repE0EEENS1_30default_config_static_selectorELNS0_4arch9wavefront6targetE0EEEvSZ_.kd
    .uniform_work_group_size: 1
    .uses_dynamic_stack: false
    .vgpr_count:     0
    .vgpr_spill_count: 0
    .wavefront_size: 32
    .workgroup_processor_mode: 1
  - .args:
      - .offset:         0
        .size:           144
        .value_kind:     by_value
    .group_segment_fixed_size: 0
    .kernarg_segment_align: 8
    .kernarg_segment_size: 144
    .language:       OpenCL C
    .language_version:
      - 2
      - 0
    .max_flat_workgroup_size: 256
    .name:           _ZN7rocprim17ROCPRIM_400000_NS6detail17trampoline_kernelINS0_13select_configILj256ELj13ELNS0_17block_load_methodE3ELS4_3ELS4_3ELNS0_20block_scan_algorithmE0ELj4294967295EEENS1_25partition_config_selectorILNS1_17partition_subalgoE3EjNS0_10empty_typeEbEEZZNS1_14partition_implILS8_3ELb0ES6_jNS0_17counting_iteratorIjlEEPS9_SE_NS0_5tupleIJPjSE_EEENSF_IJSE_SE_EEES9_SG_JZNS1_25segmented_radix_sort_implINS0_14default_configELb1EPK6__halfPSL_PKlPlN2at6native12_GLOBAL__N_18offset_tEEE10hipError_tPvRmT1_PNSt15iterator_traitsISZ_E10value_typeET2_T3_PNS10_IS15_E10value_typeET4_jRbjT5_S1B_jjP12ihipStream_tbEUljE_EEESW_SX_SY_S15_S19_S1B_T6_T7_T9_mT8_S1D_bDpT10_ENKUlT_T0_E_clISt17integral_constantIbLb0EES1Q_EEDaS1L_S1M_EUlS1L_E_NS1_11comp_targetILNS1_3genE9ELNS1_11target_archE1100ELNS1_3gpuE3ELNS1_3repE0EEENS1_30default_config_static_selectorELNS0_4arch9wavefront6targetE0EEEvSZ_
    .private_segment_fixed_size: 0
    .sgpr_count:     0
    .sgpr_spill_count: 0
    .symbol:         _ZN7rocprim17ROCPRIM_400000_NS6detail17trampoline_kernelINS0_13select_configILj256ELj13ELNS0_17block_load_methodE3ELS4_3ELS4_3ELNS0_20block_scan_algorithmE0ELj4294967295EEENS1_25partition_config_selectorILNS1_17partition_subalgoE3EjNS0_10empty_typeEbEEZZNS1_14partition_implILS8_3ELb0ES6_jNS0_17counting_iteratorIjlEEPS9_SE_NS0_5tupleIJPjSE_EEENSF_IJSE_SE_EEES9_SG_JZNS1_25segmented_radix_sort_implINS0_14default_configELb1EPK6__halfPSL_PKlPlN2at6native12_GLOBAL__N_18offset_tEEE10hipError_tPvRmT1_PNSt15iterator_traitsISZ_E10value_typeET2_T3_PNS10_IS15_E10value_typeET4_jRbjT5_S1B_jjP12ihipStream_tbEUljE_EEESW_SX_SY_S15_S19_S1B_T6_T7_T9_mT8_S1D_bDpT10_ENKUlT_T0_E_clISt17integral_constantIbLb0EES1Q_EEDaS1L_S1M_EUlS1L_E_NS1_11comp_targetILNS1_3genE9ELNS1_11target_archE1100ELNS1_3gpuE3ELNS1_3repE0EEENS1_30default_config_static_selectorELNS0_4arch9wavefront6targetE0EEEvSZ_.kd
    .uniform_work_group_size: 1
    .uses_dynamic_stack: false
    .vgpr_count:     0
    .vgpr_spill_count: 0
    .wavefront_size: 32
    .workgroup_processor_mode: 1
  - .args:
      - .offset:         0
        .size:           144
        .value_kind:     by_value
    .group_segment_fixed_size: 13320
    .kernarg_segment_align: 8
    .kernarg_segment_size: 144
    .language:       OpenCL C
    .language_version:
      - 2
      - 0
    .max_flat_workgroup_size: 256
    .name:           _ZN7rocprim17ROCPRIM_400000_NS6detail17trampoline_kernelINS0_13select_configILj256ELj13ELNS0_17block_load_methodE3ELS4_3ELS4_3ELNS0_20block_scan_algorithmE0ELj4294967295EEENS1_25partition_config_selectorILNS1_17partition_subalgoE3EjNS0_10empty_typeEbEEZZNS1_14partition_implILS8_3ELb0ES6_jNS0_17counting_iteratorIjlEEPS9_SE_NS0_5tupleIJPjSE_EEENSF_IJSE_SE_EEES9_SG_JZNS1_25segmented_radix_sort_implINS0_14default_configELb1EPK6__halfPSL_PKlPlN2at6native12_GLOBAL__N_18offset_tEEE10hipError_tPvRmT1_PNSt15iterator_traitsISZ_E10value_typeET2_T3_PNS10_IS15_E10value_typeET4_jRbjT5_S1B_jjP12ihipStream_tbEUljE_EEESW_SX_SY_S15_S19_S1B_T6_T7_T9_mT8_S1D_bDpT10_ENKUlT_T0_E_clISt17integral_constantIbLb0EES1Q_EEDaS1L_S1M_EUlS1L_E_NS1_11comp_targetILNS1_3genE8ELNS1_11target_archE1030ELNS1_3gpuE2ELNS1_3repE0EEENS1_30default_config_static_selectorELNS0_4arch9wavefront6targetE0EEEvSZ_
    .private_segment_fixed_size: 0
    .sgpr_count:     29
    .sgpr_spill_count: 0
    .symbol:         _ZN7rocprim17ROCPRIM_400000_NS6detail17trampoline_kernelINS0_13select_configILj256ELj13ELNS0_17block_load_methodE3ELS4_3ELS4_3ELNS0_20block_scan_algorithmE0ELj4294967295EEENS1_25partition_config_selectorILNS1_17partition_subalgoE3EjNS0_10empty_typeEbEEZZNS1_14partition_implILS8_3ELb0ES6_jNS0_17counting_iteratorIjlEEPS9_SE_NS0_5tupleIJPjSE_EEENSF_IJSE_SE_EEES9_SG_JZNS1_25segmented_radix_sort_implINS0_14default_configELb1EPK6__halfPSL_PKlPlN2at6native12_GLOBAL__N_18offset_tEEE10hipError_tPvRmT1_PNSt15iterator_traitsISZ_E10value_typeET2_T3_PNS10_IS15_E10value_typeET4_jRbjT5_S1B_jjP12ihipStream_tbEUljE_EEESW_SX_SY_S15_S19_S1B_T6_T7_T9_mT8_S1D_bDpT10_ENKUlT_T0_E_clISt17integral_constantIbLb0EES1Q_EEDaS1L_S1M_EUlS1L_E_NS1_11comp_targetILNS1_3genE8ELNS1_11target_archE1030ELNS1_3gpuE2ELNS1_3repE0EEENS1_30default_config_static_selectorELNS0_4arch9wavefront6targetE0EEEvSZ_.kd
    .uniform_work_group_size: 1
    .uses_dynamic_stack: false
    .vgpr_count:     69
    .vgpr_spill_count: 0
    .wavefront_size: 32
    .workgroup_processor_mode: 1
  - .args:
      - .offset:         0
        .size:           152
        .value_kind:     by_value
    .group_segment_fixed_size: 0
    .kernarg_segment_align: 8
    .kernarg_segment_size: 152
    .language:       OpenCL C
    .language_version:
      - 2
      - 0
    .max_flat_workgroup_size: 256
    .name:           _ZN7rocprim17ROCPRIM_400000_NS6detail17trampoline_kernelINS0_13select_configILj256ELj13ELNS0_17block_load_methodE3ELS4_3ELS4_3ELNS0_20block_scan_algorithmE0ELj4294967295EEENS1_25partition_config_selectorILNS1_17partition_subalgoE3EjNS0_10empty_typeEbEEZZNS1_14partition_implILS8_3ELb0ES6_jNS0_17counting_iteratorIjlEEPS9_SE_NS0_5tupleIJPjSE_EEENSF_IJSE_SE_EEES9_SG_JZNS1_25segmented_radix_sort_implINS0_14default_configELb1EPK6__halfPSL_PKlPlN2at6native12_GLOBAL__N_18offset_tEEE10hipError_tPvRmT1_PNSt15iterator_traitsISZ_E10value_typeET2_T3_PNS10_IS15_E10value_typeET4_jRbjT5_S1B_jjP12ihipStream_tbEUljE_EEESW_SX_SY_S15_S19_S1B_T6_T7_T9_mT8_S1D_bDpT10_ENKUlT_T0_E_clISt17integral_constantIbLb1EES1Q_EEDaS1L_S1M_EUlS1L_E_NS1_11comp_targetILNS1_3genE0ELNS1_11target_archE4294967295ELNS1_3gpuE0ELNS1_3repE0EEENS1_30default_config_static_selectorELNS0_4arch9wavefront6targetE0EEEvSZ_
    .private_segment_fixed_size: 0
    .sgpr_count:     0
    .sgpr_spill_count: 0
    .symbol:         _ZN7rocprim17ROCPRIM_400000_NS6detail17trampoline_kernelINS0_13select_configILj256ELj13ELNS0_17block_load_methodE3ELS4_3ELS4_3ELNS0_20block_scan_algorithmE0ELj4294967295EEENS1_25partition_config_selectorILNS1_17partition_subalgoE3EjNS0_10empty_typeEbEEZZNS1_14partition_implILS8_3ELb0ES6_jNS0_17counting_iteratorIjlEEPS9_SE_NS0_5tupleIJPjSE_EEENSF_IJSE_SE_EEES9_SG_JZNS1_25segmented_radix_sort_implINS0_14default_configELb1EPK6__halfPSL_PKlPlN2at6native12_GLOBAL__N_18offset_tEEE10hipError_tPvRmT1_PNSt15iterator_traitsISZ_E10value_typeET2_T3_PNS10_IS15_E10value_typeET4_jRbjT5_S1B_jjP12ihipStream_tbEUljE_EEESW_SX_SY_S15_S19_S1B_T6_T7_T9_mT8_S1D_bDpT10_ENKUlT_T0_E_clISt17integral_constantIbLb1EES1Q_EEDaS1L_S1M_EUlS1L_E_NS1_11comp_targetILNS1_3genE0ELNS1_11target_archE4294967295ELNS1_3gpuE0ELNS1_3repE0EEENS1_30default_config_static_selectorELNS0_4arch9wavefront6targetE0EEEvSZ_.kd
    .uniform_work_group_size: 1
    .uses_dynamic_stack: false
    .vgpr_count:     0
    .vgpr_spill_count: 0
    .wavefront_size: 32
    .workgroup_processor_mode: 1
  - .args:
      - .offset:         0
        .size:           152
        .value_kind:     by_value
    .group_segment_fixed_size: 0
    .kernarg_segment_align: 8
    .kernarg_segment_size: 152
    .language:       OpenCL C
    .language_version:
      - 2
      - 0
    .max_flat_workgroup_size: 256
    .name:           _ZN7rocprim17ROCPRIM_400000_NS6detail17trampoline_kernelINS0_13select_configILj256ELj13ELNS0_17block_load_methodE3ELS4_3ELS4_3ELNS0_20block_scan_algorithmE0ELj4294967295EEENS1_25partition_config_selectorILNS1_17partition_subalgoE3EjNS0_10empty_typeEbEEZZNS1_14partition_implILS8_3ELb0ES6_jNS0_17counting_iteratorIjlEEPS9_SE_NS0_5tupleIJPjSE_EEENSF_IJSE_SE_EEES9_SG_JZNS1_25segmented_radix_sort_implINS0_14default_configELb1EPK6__halfPSL_PKlPlN2at6native12_GLOBAL__N_18offset_tEEE10hipError_tPvRmT1_PNSt15iterator_traitsISZ_E10value_typeET2_T3_PNS10_IS15_E10value_typeET4_jRbjT5_S1B_jjP12ihipStream_tbEUljE_EEESW_SX_SY_S15_S19_S1B_T6_T7_T9_mT8_S1D_bDpT10_ENKUlT_T0_E_clISt17integral_constantIbLb1EES1Q_EEDaS1L_S1M_EUlS1L_E_NS1_11comp_targetILNS1_3genE5ELNS1_11target_archE942ELNS1_3gpuE9ELNS1_3repE0EEENS1_30default_config_static_selectorELNS0_4arch9wavefront6targetE0EEEvSZ_
    .private_segment_fixed_size: 0
    .sgpr_count:     0
    .sgpr_spill_count: 0
    .symbol:         _ZN7rocprim17ROCPRIM_400000_NS6detail17trampoline_kernelINS0_13select_configILj256ELj13ELNS0_17block_load_methodE3ELS4_3ELS4_3ELNS0_20block_scan_algorithmE0ELj4294967295EEENS1_25partition_config_selectorILNS1_17partition_subalgoE3EjNS0_10empty_typeEbEEZZNS1_14partition_implILS8_3ELb0ES6_jNS0_17counting_iteratorIjlEEPS9_SE_NS0_5tupleIJPjSE_EEENSF_IJSE_SE_EEES9_SG_JZNS1_25segmented_radix_sort_implINS0_14default_configELb1EPK6__halfPSL_PKlPlN2at6native12_GLOBAL__N_18offset_tEEE10hipError_tPvRmT1_PNSt15iterator_traitsISZ_E10value_typeET2_T3_PNS10_IS15_E10value_typeET4_jRbjT5_S1B_jjP12ihipStream_tbEUljE_EEESW_SX_SY_S15_S19_S1B_T6_T7_T9_mT8_S1D_bDpT10_ENKUlT_T0_E_clISt17integral_constantIbLb1EES1Q_EEDaS1L_S1M_EUlS1L_E_NS1_11comp_targetILNS1_3genE5ELNS1_11target_archE942ELNS1_3gpuE9ELNS1_3repE0EEENS1_30default_config_static_selectorELNS0_4arch9wavefront6targetE0EEEvSZ_.kd
    .uniform_work_group_size: 1
    .uses_dynamic_stack: false
    .vgpr_count:     0
    .vgpr_spill_count: 0
    .wavefront_size: 32
    .workgroup_processor_mode: 1
  - .args:
      - .offset:         0
        .size:           152
        .value_kind:     by_value
    .group_segment_fixed_size: 0
    .kernarg_segment_align: 8
    .kernarg_segment_size: 152
    .language:       OpenCL C
    .language_version:
      - 2
      - 0
    .max_flat_workgroup_size: 256
    .name:           _ZN7rocprim17ROCPRIM_400000_NS6detail17trampoline_kernelINS0_13select_configILj256ELj13ELNS0_17block_load_methodE3ELS4_3ELS4_3ELNS0_20block_scan_algorithmE0ELj4294967295EEENS1_25partition_config_selectorILNS1_17partition_subalgoE3EjNS0_10empty_typeEbEEZZNS1_14partition_implILS8_3ELb0ES6_jNS0_17counting_iteratorIjlEEPS9_SE_NS0_5tupleIJPjSE_EEENSF_IJSE_SE_EEES9_SG_JZNS1_25segmented_radix_sort_implINS0_14default_configELb1EPK6__halfPSL_PKlPlN2at6native12_GLOBAL__N_18offset_tEEE10hipError_tPvRmT1_PNSt15iterator_traitsISZ_E10value_typeET2_T3_PNS10_IS15_E10value_typeET4_jRbjT5_S1B_jjP12ihipStream_tbEUljE_EEESW_SX_SY_S15_S19_S1B_T6_T7_T9_mT8_S1D_bDpT10_ENKUlT_T0_E_clISt17integral_constantIbLb1EES1Q_EEDaS1L_S1M_EUlS1L_E_NS1_11comp_targetILNS1_3genE4ELNS1_11target_archE910ELNS1_3gpuE8ELNS1_3repE0EEENS1_30default_config_static_selectorELNS0_4arch9wavefront6targetE0EEEvSZ_
    .private_segment_fixed_size: 0
    .sgpr_count:     0
    .sgpr_spill_count: 0
    .symbol:         _ZN7rocprim17ROCPRIM_400000_NS6detail17trampoline_kernelINS0_13select_configILj256ELj13ELNS0_17block_load_methodE3ELS4_3ELS4_3ELNS0_20block_scan_algorithmE0ELj4294967295EEENS1_25partition_config_selectorILNS1_17partition_subalgoE3EjNS0_10empty_typeEbEEZZNS1_14partition_implILS8_3ELb0ES6_jNS0_17counting_iteratorIjlEEPS9_SE_NS0_5tupleIJPjSE_EEENSF_IJSE_SE_EEES9_SG_JZNS1_25segmented_radix_sort_implINS0_14default_configELb1EPK6__halfPSL_PKlPlN2at6native12_GLOBAL__N_18offset_tEEE10hipError_tPvRmT1_PNSt15iterator_traitsISZ_E10value_typeET2_T3_PNS10_IS15_E10value_typeET4_jRbjT5_S1B_jjP12ihipStream_tbEUljE_EEESW_SX_SY_S15_S19_S1B_T6_T7_T9_mT8_S1D_bDpT10_ENKUlT_T0_E_clISt17integral_constantIbLb1EES1Q_EEDaS1L_S1M_EUlS1L_E_NS1_11comp_targetILNS1_3genE4ELNS1_11target_archE910ELNS1_3gpuE8ELNS1_3repE0EEENS1_30default_config_static_selectorELNS0_4arch9wavefront6targetE0EEEvSZ_.kd
    .uniform_work_group_size: 1
    .uses_dynamic_stack: false
    .vgpr_count:     0
    .vgpr_spill_count: 0
    .wavefront_size: 32
    .workgroup_processor_mode: 1
  - .args:
      - .offset:         0
        .size:           152
        .value_kind:     by_value
    .group_segment_fixed_size: 0
    .kernarg_segment_align: 8
    .kernarg_segment_size: 152
    .language:       OpenCL C
    .language_version:
      - 2
      - 0
    .max_flat_workgroup_size: 256
    .name:           _ZN7rocprim17ROCPRIM_400000_NS6detail17trampoline_kernelINS0_13select_configILj256ELj13ELNS0_17block_load_methodE3ELS4_3ELS4_3ELNS0_20block_scan_algorithmE0ELj4294967295EEENS1_25partition_config_selectorILNS1_17partition_subalgoE3EjNS0_10empty_typeEbEEZZNS1_14partition_implILS8_3ELb0ES6_jNS0_17counting_iteratorIjlEEPS9_SE_NS0_5tupleIJPjSE_EEENSF_IJSE_SE_EEES9_SG_JZNS1_25segmented_radix_sort_implINS0_14default_configELb1EPK6__halfPSL_PKlPlN2at6native12_GLOBAL__N_18offset_tEEE10hipError_tPvRmT1_PNSt15iterator_traitsISZ_E10value_typeET2_T3_PNS10_IS15_E10value_typeET4_jRbjT5_S1B_jjP12ihipStream_tbEUljE_EEESW_SX_SY_S15_S19_S1B_T6_T7_T9_mT8_S1D_bDpT10_ENKUlT_T0_E_clISt17integral_constantIbLb1EES1Q_EEDaS1L_S1M_EUlS1L_E_NS1_11comp_targetILNS1_3genE3ELNS1_11target_archE908ELNS1_3gpuE7ELNS1_3repE0EEENS1_30default_config_static_selectorELNS0_4arch9wavefront6targetE0EEEvSZ_
    .private_segment_fixed_size: 0
    .sgpr_count:     0
    .sgpr_spill_count: 0
    .symbol:         _ZN7rocprim17ROCPRIM_400000_NS6detail17trampoline_kernelINS0_13select_configILj256ELj13ELNS0_17block_load_methodE3ELS4_3ELS4_3ELNS0_20block_scan_algorithmE0ELj4294967295EEENS1_25partition_config_selectorILNS1_17partition_subalgoE3EjNS0_10empty_typeEbEEZZNS1_14partition_implILS8_3ELb0ES6_jNS0_17counting_iteratorIjlEEPS9_SE_NS0_5tupleIJPjSE_EEENSF_IJSE_SE_EEES9_SG_JZNS1_25segmented_radix_sort_implINS0_14default_configELb1EPK6__halfPSL_PKlPlN2at6native12_GLOBAL__N_18offset_tEEE10hipError_tPvRmT1_PNSt15iterator_traitsISZ_E10value_typeET2_T3_PNS10_IS15_E10value_typeET4_jRbjT5_S1B_jjP12ihipStream_tbEUljE_EEESW_SX_SY_S15_S19_S1B_T6_T7_T9_mT8_S1D_bDpT10_ENKUlT_T0_E_clISt17integral_constantIbLb1EES1Q_EEDaS1L_S1M_EUlS1L_E_NS1_11comp_targetILNS1_3genE3ELNS1_11target_archE908ELNS1_3gpuE7ELNS1_3repE0EEENS1_30default_config_static_selectorELNS0_4arch9wavefront6targetE0EEEvSZ_.kd
    .uniform_work_group_size: 1
    .uses_dynamic_stack: false
    .vgpr_count:     0
    .vgpr_spill_count: 0
    .wavefront_size: 32
    .workgroup_processor_mode: 1
  - .args:
      - .offset:         0
        .size:           152
        .value_kind:     by_value
    .group_segment_fixed_size: 0
    .kernarg_segment_align: 8
    .kernarg_segment_size: 152
    .language:       OpenCL C
    .language_version:
      - 2
      - 0
    .max_flat_workgroup_size: 256
    .name:           _ZN7rocprim17ROCPRIM_400000_NS6detail17trampoline_kernelINS0_13select_configILj256ELj13ELNS0_17block_load_methodE3ELS4_3ELS4_3ELNS0_20block_scan_algorithmE0ELj4294967295EEENS1_25partition_config_selectorILNS1_17partition_subalgoE3EjNS0_10empty_typeEbEEZZNS1_14partition_implILS8_3ELb0ES6_jNS0_17counting_iteratorIjlEEPS9_SE_NS0_5tupleIJPjSE_EEENSF_IJSE_SE_EEES9_SG_JZNS1_25segmented_radix_sort_implINS0_14default_configELb1EPK6__halfPSL_PKlPlN2at6native12_GLOBAL__N_18offset_tEEE10hipError_tPvRmT1_PNSt15iterator_traitsISZ_E10value_typeET2_T3_PNS10_IS15_E10value_typeET4_jRbjT5_S1B_jjP12ihipStream_tbEUljE_EEESW_SX_SY_S15_S19_S1B_T6_T7_T9_mT8_S1D_bDpT10_ENKUlT_T0_E_clISt17integral_constantIbLb1EES1Q_EEDaS1L_S1M_EUlS1L_E_NS1_11comp_targetILNS1_3genE2ELNS1_11target_archE906ELNS1_3gpuE6ELNS1_3repE0EEENS1_30default_config_static_selectorELNS0_4arch9wavefront6targetE0EEEvSZ_
    .private_segment_fixed_size: 0
    .sgpr_count:     0
    .sgpr_spill_count: 0
    .symbol:         _ZN7rocprim17ROCPRIM_400000_NS6detail17trampoline_kernelINS0_13select_configILj256ELj13ELNS0_17block_load_methodE3ELS4_3ELS4_3ELNS0_20block_scan_algorithmE0ELj4294967295EEENS1_25partition_config_selectorILNS1_17partition_subalgoE3EjNS0_10empty_typeEbEEZZNS1_14partition_implILS8_3ELb0ES6_jNS0_17counting_iteratorIjlEEPS9_SE_NS0_5tupleIJPjSE_EEENSF_IJSE_SE_EEES9_SG_JZNS1_25segmented_radix_sort_implINS0_14default_configELb1EPK6__halfPSL_PKlPlN2at6native12_GLOBAL__N_18offset_tEEE10hipError_tPvRmT1_PNSt15iterator_traitsISZ_E10value_typeET2_T3_PNS10_IS15_E10value_typeET4_jRbjT5_S1B_jjP12ihipStream_tbEUljE_EEESW_SX_SY_S15_S19_S1B_T6_T7_T9_mT8_S1D_bDpT10_ENKUlT_T0_E_clISt17integral_constantIbLb1EES1Q_EEDaS1L_S1M_EUlS1L_E_NS1_11comp_targetILNS1_3genE2ELNS1_11target_archE906ELNS1_3gpuE6ELNS1_3repE0EEENS1_30default_config_static_selectorELNS0_4arch9wavefront6targetE0EEEvSZ_.kd
    .uniform_work_group_size: 1
    .uses_dynamic_stack: false
    .vgpr_count:     0
    .vgpr_spill_count: 0
    .wavefront_size: 32
    .workgroup_processor_mode: 1
  - .args:
      - .offset:         0
        .size:           152
        .value_kind:     by_value
    .group_segment_fixed_size: 0
    .kernarg_segment_align: 8
    .kernarg_segment_size: 152
    .language:       OpenCL C
    .language_version:
      - 2
      - 0
    .max_flat_workgroup_size: 256
    .name:           _ZN7rocprim17ROCPRIM_400000_NS6detail17trampoline_kernelINS0_13select_configILj256ELj13ELNS0_17block_load_methodE3ELS4_3ELS4_3ELNS0_20block_scan_algorithmE0ELj4294967295EEENS1_25partition_config_selectorILNS1_17partition_subalgoE3EjNS0_10empty_typeEbEEZZNS1_14partition_implILS8_3ELb0ES6_jNS0_17counting_iteratorIjlEEPS9_SE_NS0_5tupleIJPjSE_EEENSF_IJSE_SE_EEES9_SG_JZNS1_25segmented_radix_sort_implINS0_14default_configELb1EPK6__halfPSL_PKlPlN2at6native12_GLOBAL__N_18offset_tEEE10hipError_tPvRmT1_PNSt15iterator_traitsISZ_E10value_typeET2_T3_PNS10_IS15_E10value_typeET4_jRbjT5_S1B_jjP12ihipStream_tbEUljE_EEESW_SX_SY_S15_S19_S1B_T6_T7_T9_mT8_S1D_bDpT10_ENKUlT_T0_E_clISt17integral_constantIbLb1EES1Q_EEDaS1L_S1M_EUlS1L_E_NS1_11comp_targetILNS1_3genE10ELNS1_11target_archE1200ELNS1_3gpuE4ELNS1_3repE0EEENS1_30default_config_static_selectorELNS0_4arch9wavefront6targetE0EEEvSZ_
    .private_segment_fixed_size: 0
    .sgpr_count:     0
    .sgpr_spill_count: 0
    .symbol:         _ZN7rocprim17ROCPRIM_400000_NS6detail17trampoline_kernelINS0_13select_configILj256ELj13ELNS0_17block_load_methodE3ELS4_3ELS4_3ELNS0_20block_scan_algorithmE0ELj4294967295EEENS1_25partition_config_selectorILNS1_17partition_subalgoE3EjNS0_10empty_typeEbEEZZNS1_14partition_implILS8_3ELb0ES6_jNS0_17counting_iteratorIjlEEPS9_SE_NS0_5tupleIJPjSE_EEENSF_IJSE_SE_EEES9_SG_JZNS1_25segmented_radix_sort_implINS0_14default_configELb1EPK6__halfPSL_PKlPlN2at6native12_GLOBAL__N_18offset_tEEE10hipError_tPvRmT1_PNSt15iterator_traitsISZ_E10value_typeET2_T3_PNS10_IS15_E10value_typeET4_jRbjT5_S1B_jjP12ihipStream_tbEUljE_EEESW_SX_SY_S15_S19_S1B_T6_T7_T9_mT8_S1D_bDpT10_ENKUlT_T0_E_clISt17integral_constantIbLb1EES1Q_EEDaS1L_S1M_EUlS1L_E_NS1_11comp_targetILNS1_3genE10ELNS1_11target_archE1200ELNS1_3gpuE4ELNS1_3repE0EEENS1_30default_config_static_selectorELNS0_4arch9wavefront6targetE0EEEvSZ_.kd
    .uniform_work_group_size: 1
    .uses_dynamic_stack: false
    .vgpr_count:     0
    .vgpr_spill_count: 0
    .wavefront_size: 32
    .workgroup_processor_mode: 1
  - .args:
      - .offset:         0
        .size:           152
        .value_kind:     by_value
    .group_segment_fixed_size: 0
    .kernarg_segment_align: 8
    .kernarg_segment_size: 152
    .language:       OpenCL C
    .language_version:
      - 2
      - 0
    .max_flat_workgroup_size: 256
    .name:           _ZN7rocprim17ROCPRIM_400000_NS6detail17trampoline_kernelINS0_13select_configILj256ELj13ELNS0_17block_load_methodE3ELS4_3ELS4_3ELNS0_20block_scan_algorithmE0ELj4294967295EEENS1_25partition_config_selectorILNS1_17partition_subalgoE3EjNS0_10empty_typeEbEEZZNS1_14partition_implILS8_3ELb0ES6_jNS0_17counting_iteratorIjlEEPS9_SE_NS0_5tupleIJPjSE_EEENSF_IJSE_SE_EEES9_SG_JZNS1_25segmented_radix_sort_implINS0_14default_configELb1EPK6__halfPSL_PKlPlN2at6native12_GLOBAL__N_18offset_tEEE10hipError_tPvRmT1_PNSt15iterator_traitsISZ_E10value_typeET2_T3_PNS10_IS15_E10value_typeET4_jRbjT5_S1B_jjP12ihipStream_tbEUljE_EEESW_SX_SY_S15_S19_S1B_T6_T7_T9_mT8_S1D_bDpT10_ENKUlT_T0_E_clISt17integral_constantIbLb1EES1Q_EEDaS1L_S1M_EUlS1L_E_NS1_11comp_targetILNS1_3genE9ELNS1_11target_archE1100ELNS1_3gpuE3ELNS1_3repE0EEENS1_30default_config_static_selectorELNS0_4arch9wavefront6targetE0EEEvSZ_
    .private_segment_fixed_size: 0
    .sgpr_count:     0
    .sgpr_spill_count: 0
    .symbol:         _ZN7rocprim17ROCPRIM_400000_NS6detail17trampoline_kernelINS0_13select_configILj256ELj13ELNS0_17block_load_methodE3ELS4_3ELS4_3ELNS0_20block_scan_algorithmE0ELj4294967295EEENS1_25partition_config_selectorILNS1_17partition_subalgoE3EjNS0_10empty_typeEbEEZZNS1_14partition_implILS8_3ELb0ES6_jNS0_17counting_iteratorIjlEEPS9_SE_NS0_5tupleIJPjSE_EEENSF_IJSE_SE_EEES9_SG_JZNS1_25segmented_radix_sort_implINS0_14default_configELb1EPK6__halfPSL_PKlPlN2at6native12_GLOBAL__N_18offset_tEEE10hipError_tPvRmT1_PNSt15iterator_traitsISZ_E10value_typeET2_T3_PNS10_IS15_E10value_typeET4_jRbjT5_S1B_jjP12ihipStream_tbEUljE_EEESW_SX_SY_S15_S19_S1B_T6_T7_T9_mT8_S1D_bDpT10_ENKUlT_T0_E_clISt17integral_constantIbLb1EES1Q_EEDaS1L_S1M_EUlS1L_E_NS1_11comp_targetILNS1_3genE9ELNS1_11target_archE1100ELNS1_3gpuE3ELNS1_3repE0EEENS1_30default_config_static_selectorELNS0_4arch9wavefront6targetE0EEEvSZ_.kd
    .uniform_work_group_size: 1
    .uses_dynamic_stack: false
    .vgpr_count:     0
    .vgpr_spill_count: 0
    .wavefront_size: 32
    .workgroup_processor_mode: 1
  - .args:
      - .offset:         0
        .size:           152
        .value_kind:     by_value
    .group_segment_fixed_size: 0
    .kernarg_segment_align: 8
    .kernarg_segment_size: 152
    .language:       OpenCL C
    .language_version:
      - 2
      - 0
    .max_flat_workgroup_size: 256
    .name:           _ZN7rocprim17ROCPRIM_400000_NS6detail17trampoline_kernelINS0_13select_configILj256ELj13ELNS0_17block_load_methodE3ELS4_3ELS4_3ELNS0_20block_scan_algorithmE0ELj4294967295EEENS1_25partition_config_selectorILNS1_17partition_subalgoE3EjNS0_10empty_typeEbEEZZNS1_14partition_implILS8_3ELb0ES6_jNS0_17counting_iteratorIjlEEPS9_SE_NS0_5tupleIJPjSE_EEENSF_IJSE_SE_EEES9_SG_JZNS1_25segmented_radix_sort_implINS0_14default_configELb1EPK6__halfPSL_PKlPlN2at6native12_GLOBAL__N_18offset_tEEE10hipError_tPvRmT1_PNSt15iterator_traitsISZ_E10value_typeET2_T3_PNS10_IS15_E10value_typeET4_jRbjT5_S1B_jjP12ihipStream_tbEUljE_EEESW_SX_SY_S15_S19_S1B_T6_T7_T9_mT8_S1D_bDpT10_ENKUlT_T0_E_clISt17integral_constantIbLb1EES1Q_EEDaS1L_S1M_EUlS1L_E_NS1_11comp_targetILNS1_3genE8ELNS1_11target_archE1030ELNS1_3gpuE2ELNS1_3repE0EEENS1_30default_config_static_selectorELNS0_4arch9wavefront6targetE0EEEvSZ_
    .private_segment_fixed_size: 0
    .sgpr_count:     0
    .sgpr_spill_count: 0
    .symbol:         _ZN7rocprim17ROCPRIM_400000_NS6detail17trampoline_kernelINS0_13select_configILj256ELj13ELNS0_17block_load_methodE3ELS4_3ELS4_3ELNS0_20block_scan_algorithmE0ELj4294967295EEENS1_25partition_config_selectorILNS1_17partition_subalgoE3EjNS0_10empty_typeEbEEZZNS1_14partition_implILS8_3ELb0ES6_jNS0_17counting_iteratorIjlEEPS9_SE_NS0_5tupleIJPjSE_EEENSF_IJSE_SE_EEES9_SG_JZNS1_25segmented_radix_sort_implINS0_14default_configELb1EPK6__halfPSL_PKlPlN2at6native12_GLOBAL__N_18offset_tEEE10hipError_tPvRmT1_PNSt15iterator_traitsISZ_E10value_typeET2_T3_PNS10_IS15_E10value_typeET4_jRbjT5_S1B_jjP12ihipStream_tbEUljE_EEESW_SX_SY_S15_S19_S1B_T6_T7_T9_mT8_S1D_bDpT10_ENKUlT_T0_E_clISt17integral_constantIbLb1EES1Q_EEDaS1L_S1M_EUlS1L_E_NS1_11comp_targetILNS1_3genE8ELNS1_11target_archE1030ELNS1_3gpuE2ELNS1_3repE0EEENS1_30default_config_static_selectorELNS0_4arch9wavefront6targetE0EEEvSZ_.kd
    .uniform_work_group_size: 1
    .uses_dynamic_stack: false
    .vgpr_count:     0
    .vgpr_spill_count: 0
    .wavefront_size: 32
    .workgroup_processor_mode: 1
  - .args:
      - .offset:         0
        .size:           144
        .value_kind:     by_value
    .group_segment_fixed_size: 0
    .kernarg_segment_align: 8
    .kernarg_segment_size: 144
    .language:       OpenCL C
    .language_version:
      - 2
      - 0
    .max_flat_workgroup_size: 256
    .name:           _ZN7rocprim17ROCPRIM_400000_NS6detail17trampoline_kernelINS0_13select_configILj256ELj13ELNS0_17block_load_methodE3ELS4_3ELS4_3ELNS0_20block_scan_algorithmE0ELj4294967295EEENS1_25partition_config_selectorILNS1_17partition_subalgoE3EjNS0_10empty_typeEbEEZZNS1_14partition_implILS8_3ELb0ES6_jNS0_17counting_iteratorIjlEEPS9_SE_NS0_5tupleIJPjSE_EEENSF_IJSE_SE_EEES9_SG_JZNS1_25segmented_radix_sort_implINS0_14default_configELb1EPK6__halfPSL_PKlPlN2at6native12_GLOBAL__N_18offset_tEEE10hipError_tPvRmT1_PNSt15iterator_traitsISZ_E10value_typeET2_T3_PNS10_IS15_E10value_typeET4_jRbjT5_S1B_jjP12ihipStream_tbEUljE_EEESW_SX_SY_S15_S19_S1B_T6_T7_T9_mT8_S1D_bDpT10_ENKUlT_T0_E_clISt17integral_constantIbLb1EES1P_IbLb0EEEEDaS1L_S1M_EUlS1L_E_NS1_11comp_targetILNS1_3genE0ELNS1_11target_archE4294967295ELNS1_3gpuE0ELNS1_3repE0EEENS1_30default_config_static_selectorELNS0_4arch9wavefront6targetE0EEEvSZ_
    .private_segment_fixed_size: 0
    .sgpr_count:     0
    .sgpr_spill_count: 0
    .symbol:         _ZN7rocprim17ROCPRIM_400000_NS6detail17trampoline_kernelINS0_13select_configILj256ELj13ELNS0_17block_load_methodE3ELS4_3ELS4_3ELNS0_20block_scan_algorithmE0ELj4294967295EEENS1_25partition_config_selectorILNS1_17partition_subalgoE3EjNS0_10empty_typeEbEEZZNS1_14partition_implILS8_3ELb0ES6_jNS0_17counting_iteratorIjlEEPS9_SE_NS0_5tupleIJPjSE_EEENSF_IJSE_SE_EEES9_SG_JZNS1_25segmented_radix_sort_implINS0_14default_configELb1EPK6__halfPSL_PKlPlN2at6native12_GLOBAL__N_18offset_tEEE10hipError_tPvRmT1_PNSt15iterator_traitsISZ_E10value_typeET2_T3_PNS10_IS15_E10value_typeET4_jRbjT5_S1B_jjP12ihipStream_tbEUljE_EEESW_SX_SY_S15_S19_S1B_T6_T7_T9_mT8_S1D_bDpT10_ENKUlT_T0_E_clISt17integral_constantIbLb1EES1P_IbLb0EEEEDaS1L_S1M_EUlS1L_E_NS1_11comp_targetILNS1_3genE0ELNS1_11target_archE4294967295ELNS1_3gpuE0ELNS1_3repE0EEENS1_30default_config_static_selectorELNS0_4arch9wavefront6targetE0EEEvSZ_.kd
    .uniform_work_group_size: 1
    .uses_dynamic_stack: false
    .vgpr_count:     0
    .vgpr_spill_count: 0
    .wavefront_size: 32
    .workgroup_processor_mode: 1
  - .args:
      - .offset:         0
        .size:           144
        .value_kind:     by_value
    .group_segment_fixed_size: 0
    .kernarg_segment_align: 8
    .kernarg_segment_size: 144
    .language:       OpenCL C
    .language_version:
      - 2
      - 0
    .max_flat_workgroup_size: 256
    .name:           _ZN7rocprim17ROCPRIM_400000_NS6detail17trampoline_kernelINS0_13select_configILj256ELj13ELNS0_17block_load_methodE3ELS4_3ELS4_3ELNS0_20block_scan_algorithmE0ELj4294967295EEENS1_25partition_config_selectorILNS1_17partition_subalgoE3EjNS0_10empty_typeEbEEZZNS1_14partition_implILS8_3ELb0ES6_jNS0_17counting_iteratorIjlEEPS9_SE_NS0_5tupleIJPjSE_EEENSF_IJSE_SE_EEES9_SG_JZNS1_25segmented_radix_sort_implINS0_14default_configELb1EPK6__halfPSL_PKlPlN2at6native12_GLOBAL__N_18offset_tEEE10hipError_tPvRmT1_PNSt15iterator_traitsISZ_E10value_typeET2_T3_PNS10_IS15_E10value_typeET4_jRbjT5_S1B_jjP12ihipStream_tbEUljE_EEESW_SX_SY_S15_S19_S1B_T6_T7_T9_mT8_S1D_bDpT10_ENKUlT_T0_E_clISt17integral_constantIbLb1EES1P_IbLb0EEEEDaS1L_S1M_EUlS1L_E_NS1_11comp_targetILNS1_3genE5ELNS1_11target_archE942ELNS1_3gpuE9ELNS1_3repE0EEENS1_30default_config_static_selectorELNS0_4arch9wavefront6targetE0EEEvSZ_
    .private_segment_fixed_size: 0
    .sgpr_count:     0
    .sgpr_spill_count: 0
    .symbol:         _ZN7rocprim17ROCPRIM_400000_NS6detail17trampoline_kernelINS0_13select_configILj256ELj13ELNS0_17block_load_methodE3ELS4_3ELS4_3ELNS0_20block_scan_algorithmE0ELj4294967295EEENS1_25partition_config_selectorILNS1_17partition_subalgoE3EjNS0_10empty_typeEbEEZZNS1_14partition_implILS8_3ELb0ES6_jNS0_17counting_iteratorIjlEEPS9_SE_NS0_5tupleIJPjSE_EEENSF_IJSE_SE_EEES9_SG_JZNS1_25segmented_radix_sort_implINS0_14default_configELb1EPK6__halfPSL_PKlPlN2at6native12_GLOBAL__N_18offset_tEEE10hipError_tPvRmT1_PNSt15iterator_traitsISZ_E10value_typeET2_T3_PNS10_IS15_E10value_typeET4_jRbjT5_S1B_jjP12ihipStream_tbEUljE_EEESW_SX_SY_S15_S19_S1B_T6_T7_T9_mT8_S1D_bDpT10_ENKUlT_T0_E_clISt17integral_constantIbLb1EES1P_IbLb0EEEEDaS1L_S1M_EUlS1L_E_NS1_11comp_targetILNS1_3genE5ELNS1_11target_archE942ELNS1_3gpuE9ELNS1_3repE0EEENS1_30default_config_static_selectorELNS0_4arch9wavefront6targetE0EEEvSZ_.kd
    .uniform_work_group_size: 1
    .uses_dynamic_stack: false
    .vgpr_count:     0
    .vgpr_spill_count: 0
    .wavefront_size: 32
    .workgroup_processor_mode: 1
  - .args:
      - .offset:         0
        .size:           144
        .value_kind:     by_value
    .group_segment_fixed_size: 0
    .kernarg_segment_align: 8
    .kernarg_segment_size: 144
    .language:       OpenCL C
    .language_version:
      - 2
      - 0
    .max_flat_workgroup_size: 256
    .name:           _ZN7rocprim17ROCPRIM_400000_NS6detail17trampoline_kernelINS0_13select_configILj256ELj13ELNS0_17block_load_methodE3ELS4_3ELS4_3ELNS0_20block_scan_algorithmE0ELj4294967295EEENS1_25partition_config_selectorILNS1_17partition_subalgoE3EjNS0_10empty_typeEbEEZZNS1_14partition_implILS8_3ELb0ES6_jNS0_17counting_iteratorIjlEEPS9_SE_NS0_5tupleIJPjSE_EEENSF_IJSE_SE_EEES9_SG_JZNS1_25segmented_radix_sort_implINS0_14default_configELb1EPK6__halfPSL_PKlPlN2at6native12_GLOBAL__N_18offset_tEEE10hipError_tPvRmT1_PNSt15iterator_traitsISZ_E10value_typeET2_T3_PNS10_IS15_E10value_typeET4_jRbjT5_S1B_jjP12ihipStream_tbEUljE_EEESW_SX_SY_S15_S19_S1B_T6_T7_T9_mT8_S1D_bDpT10_ENKUlT_T0_E_clISt17integral_constantIbLb1EES1P_IbLb0EEEEDaS1L_S1M_EUlS1L_E_NS1_11comp_targetILNS1_3genE4ELNS1_11target_archE910ELNS1_3gpuE8ELNS1_3repE0EEENS1_30default_config_static_selectorELNS0_4arch9wavefront6targetE0EEEvSZ_
    .private_segment_fixed_size: 0
    .sgpr_count:     0
    .sgpr_spill_count: 0
    .symbol:         _ZN7rocprim17ROCPRIM_400000_NS6detail17trampoline_kernelINS0_13select_configILj256ELj13ELNS0_17block_load_methodE3ELS4_3ELS4_3ELNS0_20block_scan_algorithmE0ELj4294967295EEENS1_25partition_config_selectorILNS1_17partition_subalgoE3EjNS0_10empty_typeEbEEZZNS1_14partition_implILS8_3ELb0ES6_jNS0_17counting_iteratorIjlEEPS9_SE_NS0_5tupleIJPjSE_EEENSF_IJSE_SE_EEES9_SG_JZNS1_25segmented_radix_sort_implINS0_14default_configELb1EPK6__halfPSL_PKlPlN2at6native12_GLOBAL__N_18offset_tEEE10hipError_tPvRmT1_PNSt15iterator_traitsISZ_E10value_typeET2_T3_PNS10_IS15_E10value_typeET4_jRbjT5_S1B_jjP12ihipStream_tbEUljE_EEESW_SX_SY_S15_S19_S1B_T6_T7_T9_mT8_S1D_bDpT10_ENKUlT_T0_E_clISt17integral_constantIbLb1EES1P_IbLb0EEEEDaS1L_S1M_EUlS1L_E_NS1_11comp_targetILNS1_3genE4ELNS1_11target_archE910ELNS1_3gpuE8ELNS1_3repE0EEENS1_30default_config_static_selectorELNS0_4arch9wavefront6targetE0EEEvSZ_.kd
    .uniform_work_group_size: 1
    .uses_dynamic_stack: false
    .vgpr_count:     0
    .vgpr_spill_count: 0
    .wavefront_size: 32
    .workgroup_processor_mode: 1
  - .args:
      - .offset:         0
        .size:           144
        .value_kind:     by_value
    .group_segment_fixed_size: 0
    .kernarg_segment_align: 8
    .kernarg_segment_size: 144
    .language:       OpenCL C
    .language_version:
      - 2
      - 0
    .max_flat_workgroup_size: 256
    .name:           _ZN7rocprim17ROCPRIM_400000_NS6detail17trampoline_kernelINS0_13select_configILj256ELj13ELNS0_17block_load_methodE3ELS4_3ELS4_3ELNS0_20block_scan_algorithmE0ELj4294967295EEENS1_25partition_config_selectorILNS1_17partition_subalgoE3EjNS0_10empty_typeEbEEZZNS1_14partition_implILS8_3ELb0ES6_jNS0_17counting_iteratorIjlEEPS9_SE_NS0_5tupleIJPjSE_EEENSF_IJSE_SE_EEES9_SG_JZNS1_25segmented_radix_sort_implINS0_14default_configELb1EPK6__halfPSL_PKlPlN2at6native12_GLOBAL__N_18offset_tEEE10hipError_tPvRmT1_PNSt15iterator_traitsISZ_E10value_typeET2_T3_PNS10_IS15_E10value_typeET4_jRbjT5_S1B_jjP12ihipStream_tbEUljE_EEESW_SX_SY_S15_S19_S1B_T6_T7_T9_mT8_S1D_bDpT10_ENKUlT_T0_E_clISt17integral_constantIbLb1EES1P_IbLb0EEEEDaS1L_S1M_EUlS1L_E_NS1_11comp_targetILNS1_3genE3ELNS1_11target_archE908ELNS1_3gpuE7ELNS1_3repE0EEENS1_30default_config_static_selectorELNS0_4arch9wavefront6targetE0EEEvSZ_
    .private_segment_fixed_size: 0
    .sgpr_count:     0
    .sgpr_spill_count: 0
    .symbol:         _ZN7rocprim17ROCPRIM_400000_NS6detail17trampoline_kernelINS0_13select_configILj256ELj13ELNS0_17block_load_methodE3ELS4_3ELS4_3ELNS0_20block_scan_algorithmE0ELj4294967295EEENS1_25partition_config_selectorILNS1_17partition_subalgoE3EjNS0_10empty_typeEbEEZZNS1_14partition_implILS8_3ELb0ES6_jNS0_17counting_iteratorIjlEEPS9_SE_NS0_5tupleIJPjSE_EEENSF_IJSE_SE_EEES9_SG_JZNS1_25segmented_radix_sort_implINS0_14default_configELb1EPK6__halfPSL_PKlPlN2at6native12_GLOBAL__N_18offset_tEEE10hipError_tPvRmT1_PNSt15iterator_traitsISZ_E10value_typeET2_T3_PNS10_IS15_E10value_typeET4_jRbjT5_S1B_jjP12ihipStream_tbEUljE_EEESW_SX_SY_S15_S19_S1B_T6_T7_T9_mT8_S1D_bDpT10_ENKUlT_T0_E_clISt17integral_constantIbLb1EES1P_IbLb0EEEEDaS1L_S1M_EUlS1L_E_NS1_11comp_targetILNS1_3genE3ELNS1_11target_archE908ELNS1_3gpuE7ELNS1_3repE0EEENS1_30default_config_static_selectorELNS0_4arch9wavefront6targetE0EEEvSZ_.kd
    .uniform_work_group_size: 1
    .uses_dynamic_stack: false
    .vgpr_count:     0
    .vgpr_spill_count: 0
    .wavefront_size: 32
    .workgroup_processor_mode: 1
  - .args:
      - .offset:         0
        .size:           144
        .value_kind:     by_value
    .group_segment_fixed_size: 0
    .kernarg_segment_align: 8
    .kernarg_segment_size: 144
    .language:       OpenCL C
    .language_version:
      - 2
      - 0
    .max_flat_workgroup_size: 256
    .name:           _ZN7rocprim17ROCPRIM_400000_NS6detail17trampoline_kernelINS0_13select_configILj256ELj13ELNS0_17block_load_methodE3ELS4_3ELS4_3ELNS0_20block_scan_algorithmE0ELj4294967295EEENS1_25partition_config_selectorILNS1_17partition_subalgoE3EjNS0_10empty_typeEbEEZZNS1_14partition_implILS8_3ELb0ES6_jNS0_17counting_iteratorIjlEEPS9_SE_NS0_5tupleIJPjSE_EEENSF_IJSE_SE_EEES9_SG_JZNS1_25segmented_radix_sort_implINS0_14default_configELb1EPK6__halfPSL_PKlPlN2at6native12_GLOBAL__N_18offset_tEEE10hipError_tPvRmT1_PNSt15iterator_traitsISZ_E10value_typeET2_T3_PNS10_IS15_E10value_typeET4_jRbjT5_S1B_jjP12ihipStream_tbEUljE_EEESW_SX_SY_S15_S19_S1B_T6_T7_T9_mT8_S1D_bDpT10_ENKUlT_T0_E_clISt17integral_constantIbLb1EES1P_IbLb0EEEEDaS1L_S1M_EUlS1L_E_NS1_11comp_targetILNS1_3genE2ELNS1_11target_archE906ELNS1_3gpuE6ELNS1_3repE0EEENS1_30default_config_static_selectorELNS0_4arch9wavefront6targetE0EEEvSZ_
    .private_segment_fixed_size: 0
    .sgpr_count:     0
    .sgpr_spill_count: 0
    .symbol:         _ZN7rocprim17ROCPRIM_400000_NS6detail17trampoline_kernelINS0_13select_configILj256ELj13ELNS0_17block_load_methodE3ELS4_3ELS4_3ELNS0_20block_scan_algorithmE0ELj4294967295EEENS1_25partition_config_selectorILNS1_17partition_subalgoE3EjNS0_10empty_typeEbEEZZNS1_14partition_implILS8_3ELb0ES6_jNS0_17counting_iteratorIjlEEPS9_SE_NS0_5tupleIJPjSE_EEENSF_IJSE_SE_EEES9_SG_JZNS1_25segmented_radix_sort_implINS0_14default_configELb1EPK6__halfPSL_PKlPlN2at6native12_GLOBAL__N_18offset_tEEE10hipError_tPvRmT1_PNSt15iterator_traitsISZ_E10value_typeET2_T3_PNS10_IS15_E10value_typeET4_jRbjT5_S1B_jjP12ihipStream_tbEUljE_EEESW_SX_SY_S15_S19_S1B_T6_T7_T9_mT8_S1D_bDpT10_ENKUlT_T0_E_clISt17integral_constantIbLb1EES1P_IbLb0EEEEDaS1L_S1M_EUlS1L_E_NS1_11comp_targetILNS1_3genE2ELNS1_11target_archE906ELNS1_3gpuE6ELNS1_3repE0EEENS1_30default_config_static_selectorELNS0_4arch9wavefront6targetE0EEEvSZ_.kd
    .uniform_work_group_size: 1
    .uses_dynamic_stack: false
    .vgpr_count:     0
    .vgpr_spill_count: 0
    .wavefront_size: 32
    .workgroup_processor_mode: 1
  - .args:
      - .offset:         0
        .size:           144
        .value_kind:     by_value
    .group_segment_fixed_size: 0
    .kernarg_segment_align: 8
    .kernarg_segment_size: 144
    .language:       OpenCL C
    .language_version:
      - 2
      - 0
    .max_flat_workgroup_size: 256
    .name:           _ZN7rocprim17ROCPRIM_400000_NS6detail17trampoline_kernelINS0_13select_configILj256ELj13ELNS0_17block_load_methodE3ELS4_3ELS4_3ELNS0_20block_scan_algorithmE0ELj4294967295EEENS1_25partition_config_selectorILNS1_17partition_subalgoE3EjNS0_10empty_typeEbEEZZNS1_14partition_implILS8_3ELb0ES6_jNS0_17counting_iteratorIjlEEPS9_SE_NS0_5tupleIJPjSE_EEENSF_IJSE_SE_EEES9_SG_JZNS1_25segmented_radix_sort_implINS0_14default_configELb1EPK6__halfPSL_PKlPlN2at6native12_GLOBAL__N_18offset_tEEE10hipError_tPvRmT1_PNSt15iterator_traitsISZ_E10value_typeET2_T3_PNS10_IS15_E10value_typeET4_jRbjT5_S1B_jjP12ihipStream_tbEUljE_EEESW_SX_SY_S15_S19_S1B_T6_T7_T9_mT8_S1D_bDpT10_ENKUlT_T0_E_clISt17integral_constantIbLb1EES1P_IbLb0EEEEDaS1L_S1M_EUlS1L_E_NS1_11comp_targetILNS1_3genE10ELNS1_11target_archE1200ELNS1_3gpuE4ELNS1_3repE0EEENS1_30default_config_static_selectorELNS0_4arch9wavefront6targetE0EEEvSZ_
    .private_segment_fixed_size: 0
    .sgpr_count:     0
    .sgpr_spill_count: 0
    .symbol:         _ZN7rocprim17ROCPRIM_400000_NS6detail17trampoline_kernelINS0_13select_configILj256ELj13ELNS0_17block_load_methodE3ELS4_3ELS4_3ELNS0_20block_scan_algorithmE0ELj4294967295EEENS1_25partition_config_selectorILNS1_17partition_subalgoE3EjNS0_10empty_typeEbEEZZNS1_14partition_implILS8_3ELb0ES6_jNS0_17counting_iteratorIjlEEPS9_SE_NS0_5tupleIJPjSE_EEENSF_IJSE_SE_EEES9_SG_JZNS1_25segmented_radix_sort_implINS0_14default_configELb1EPK6__halfPSL_PKlPlN2at6native12_GLOBAL__N_18offset_tEEE10hipError_tPvRmT1_PNSt15iterator_traitsISZ_E10value_typeET2_T3_PNS10_IS15_E10value_typeET4_jRbjT5_S1B_jjP12ihipStream_tbEUljE_EEESW_SX_SY_S15_S19_S1B_T6_T7_T9_mT8_S1D_bDpT10_ENKUlT_T0_E_clISt17integral_constantIbLb1EES1P_IbLb0EEEEDaS1L_S1M_EUlS1L_E_NS1_11comp_targetILNS1_3genE10ELNS1_11target_archE1200ELNS1_3gpuE4ELNS1_3repE0EEENS1_30default_config_static_selectorELNS0_4arch9wavefront6targetE0EEEvSZ_.kd
    .uniform_work_group_size: 1
    .uses_dynamic_stack: false
    .vgpr_count:     0
    .vgpr_spill_count: 0
    .wavefront_size: 32
    .workgroup_processor_mode: 1
  - .args:
      - .offset:         0
        .size:           144
        .value_kind:     by_value
    .group_segment_fixed_size: 0
    .kernarg_segment_align: 8
    .kernarg_segment_size: 144
    .language:       OpenCL C
    .language_version:
      - 2
      - 0
    .max_flat_workgroup_size: 256
    .name:           _ZN7rocprim17ROCPRIM_400000_NS6detail17trampoline_kernelINS0_13select_configILj256ELj13ELNS0_17block_load_methodE3ELS4_3ELS4_3ELNS0_20block_scan_algorithmE0ELj4294967295EEENS1_25partition_config_selectorILNS1_17partition_subalgoE3EjNS0_10empty_typeEbEEZZNS1_14partition_implILS8_3ELb0ES6_jNS0_17counting_iteratorIjlEEPS9_SE_NS0_5tupleIJPjSE_EEENSF_IJSE_SE_EEES9_SG_JZNS1_25segmented_radix_sort_implINS0_14default_configELb1EPK6__halfPSL_PKlPlN2at6native12_GLOBAL__N_18offset_tEEE10hipError_tPvRmT1_PNSt15iterator_traitsISZ_E10value_typeET2_T3_PNS10_IS15_E10value_typeET4_jRbjT5_S1B_jjP12ihipStream_tbEUljE_EEESW_SX_SY_S15_S19_S1B_T6_T7_T9_mT8_S1D_bDpT10_ENKUlT_T0_E_clISt17integral_constantIbLb1EES1P_IbLb0EEEEDaS1L_S1M_EUlS1L_E_NS1_11comp_targetILNS1_3genE9ELNS1_11target_archE1100ELNS1_3gpuE3ELNS1_3repE0EEENS1_30default_config_static_selectorELNS0_4arch9wavefront6targetE0EEEvSZ_
    .private_segment_fixed_size: 0
    .sgpr_count:     0
    .sgpr_spill_count: 0
    .symbol:         _ZN7rocprim17ROCPRIM_400000_NS6detail17trampoline_kernelINS0_13select_configILj256ELj13ELNS0_17block_load_methodE3ELS4_3ELS4_3ELNS0_20block_scan_algorithmE0ELj4294967295EEENS1_25partition_config_selectorILNS1_17partition_subalgoE3EjNS0_10empty_typeEbEEZZNS1_14partition_implILS8_3ELb0ES6_jNS0_17counting_iteratorIjlEEPS9_SE_NS0_5tupleIJPjSE_EEENSF_IJSE_SE_EEES9_SG_JZNS1_25segmented_radix_sort_implINS0_14default_configELb1EPK6__halfPSL_PKlPlN2at6native12_GLOBAL__N_18offset_tEEE10hipError_tPvRmT1_PNSt15iterator_traitsISZ_E10value_typeET2_T3_PNS10_IS15_E10value_typeET4_jRbjT5_S1B_jjP12ihipStream_tbEUljE_EEESW_SX_SY_S15_S19_S1B_T6_T7_T9_mT8_S1D_bDpT10_ENKUlT_T0_E_clISt17integral_constantIbLb1EES1P_IbLb0EEEEDaS1L_S1M_EUlS1L_E_NS1_11comp_targetILNS1_3genE9ELNS1_11target_archE1100ELNS1_3gpuE3ELNS1_3repE0EEENS1_30default_config_static_selectorELNS0_4arch9wavefront6targetE0EEEvSZ_.kd
    .uniform_work_group_size: 1
    .uses_dynamic_stack: false
    .vgpr_count:     0
    .vgpr_spill_count: 0
    .wavefront_size: 32
    .workgroup_processor_mode: 1
  - .args:
      - .offset:         0
        .size:           144
        .value_kind:     by_value
    .group_segment_fixed_size: 0
    .kernarg_segment_align: 8
    .kernarg_segment_size: 144
    .language:       OpenCL C
    .language_version:
      - 2
      - 0
    .max_flat_workgroup_size: 256
    .name:           _ZN7rocprim17ROCPRIM_400000_NS6detail17trampoline_kernelINS0_13select_configILj256ELj13ELNS0_17block_load_methodE3ELS4_3ELS4_3ELNS0_20block_scan_algorithmE0ELj4294967295EEENS1_25partition_config_selectorILNS1_17partition_subalgoE3EjNS0_10empty_typeEbEEZZNS1_14partition_implILS8_3ELb0ES6_jNS0_17counting_iteratorIjlEEPS9_SE_NS0_5tupleIJPjSE_EEENSF_IJSE_SE_EEES9_SG_JZNS1_25segmented_radix_sort_implINS0_14default_configELb1EPK6__halfPSL_PKlPlN2at6native12_GLOBAL__N_18offset_tEEE10hipError_tPvRmT1_PNSt15iterator_traitsISZ_E10value_typeET2_T3_PNS10_IS15_E10value_typeET4_jRbjT5_S1B_jjP12ihipStream_tbEUljE_EEESW_SX_SY_S15_S19_S1B_T6_T7_T9_mT8_S1D_bDpT10_ENKUlT_T0_E_clISt17integral_constantIbLb1EES1P_IbLb0EEEEDaS1L_S1M_EUlS1L_E_NS1_11comp_targetILNS1_3genE8ELNS1_11target_archE1030ELNS1_3gpuE2ELNS1_3repE0EEENS1_30default_config_static_selectorELNS0_4arch9wavefront6targetE0EEEvSZ_
    .private_segment_fixed_size: 0
    .sgpr_count:     0
    .sgpr_spill_count: 0
    .symbol:         _ZN7rocprim17ROCPRIM_400000_NS6detail17trampoline_kernelINS0_13select_configILj256ELj13ELNS0_17block_load_methodE3ELS4_3ELS4_3ELNS0_20block_scan_algorithmE0ELj4294967295EEENS1_25partition_config_selectorILNS1_17partition_subalgoE3EjNS0_10empty_typeEbEEZZNS1_14partition_implILS8_3ELb0ES6_jNS0_17counting_iteratorIjlEEPS9_SE_NS0_5tupleIJPjSE_EEENSF_IJSE_SE_EEES9_SG_JZNS1_25segmented_radix_sort_implINS0_14default_configELb1EPK6__halfPSL_PKlPlN2at6native12_GLOBAL__N_18offset_tEEE10hipError_tPvRmT1_PNSt15iterator_traitsISZ_E10value_typeET2_T3_PNS10_IS15_E10value_typeET4_jRbjT5_S1B_jjP12ihipStream_tbEUljE_EEESW_SX_SY_S15_S19_S1B_T6_T7_T9_mT8_S1D_bDpT10_ENKUlT_T0_E_clISt17integral_constantIbLb1EES1P_IbLb0EEEEDaS1L_S1M_EUlS1L_E_NS1_11comp_targetILNS1_3genE8ELNS1_11target_archE1030ELNS1_3gpuE2ELNS1_3repE0EEENS1_30default_config_static_selectorELNS0_4arch9wavefront6targetE0EEEvSZ_.kd
    .uniform_work_group_size: 1
    .uses_dynamic_stack: false
    .vgpr_count:     0
    .vgpr_spill_count: 0
    .wavefront_size: 32
    .workgroup_processor_mode: 1
  - .args:
      - .offset:         0
        .size:           152
        .value_kind:     by_value
    .group_segment_fixed_size: 0
    .kernarg_segment_align: 8
    .kernarg_segment_size: 152
    .language:       OpenCL C
    .language_version:
      - 2
      - 0
    .max_flat_workgroup_size: 256
    .name:           _ZN7rocprim17ROCPRIM_400000_NS6detail17trampoline_kernelINS0_13select_configILj256ELj13ELNS0_17block_load_methodE3ELS4_3ELS4_3ELNS0_20block_scan_algorithmE0ELj4294967295EEENS1_25partition_config_selectorILNS1_17partition_subalgoE3EjNS0_10empty_typeEbEEZZNS1_14partition_implILS8_3ELb0ES6_jNS0_17counting_iteratorIjlEEPS9_SE_NS0_5tupleIJPjSE_EEENSF_IJSE_SE_EEES9_SG_JZNS1_25segmented_radix_sort_implINS0_14default_configELb1EPK6__halfPSL_PKlPlN2at6native12_GLOBAL__N_18offset_tEEE10hipError_tPvRmT1_PNSt15iterator_traitsISZ_E10value_typeET2_T3_PNS10_IS15_E10value_typeET4_jRbjT5_S1B_jjP12ihipStream_tbEUljE_EEESW_SX_SY_S15_S19_S1B_T6_T7_T9_mT8_S1D_bDpT10_ENKUlT_T0_E_clISt17integral_constantIbLb0EES1P_IbLb1EEEEDaS1L_S1M_EUlS1L_E_NS1_11comp_targetILNS1_3genE0ELNS1_11target_archE4294967295ELNS1_3gpuE0ELNS1_3repE0EEENS1_30default_config_static_selectorELNS0_4arch9wavefront6targetE0EEEvSZ_
    .private_segment_fixed_size: 0
    .sgpr_count:     0
    .sgpr_spill_count: 0
    .symbol:         _ZN7rocprim17ROCPRIM_400000_NS6detail17trampoline_kernelINS0_13select_configILj256ELj13ELNS0_17block_load_methodE3ELS4_3ELS4_3ELNS0_20block_scan_algorithmE0ELj4294967295EEENS1_25partition_config_selectorILNS1_17partition_subalgoE3EjNS0_10empty_typeEbEEZZNS1_14partition_implILS8_3ELb0ES6_jNS0_17counting_iteratorIjlEEPS9_SE_NS0_5tupleIJPjSE_EEENSF_IJSE_SE_EEES9_SG_JZNS1_25segmented_radix_sort_implINS0_14default_configELb1EPK6__halfPSL_PKlPlN2at6native12_GLOBAL__N_18offset_tEEE10hipError_tPvRmT1_PNSt15iterator_traitsISZ_E10value_typeET2_T3_PNS10_IS15_E10value_typeET4_jRbjT5_S1B_jjP12ihipStream_tbEUljE_EEESW_SX_SY_S15_S19_S1B_T6_T7_T9_mT8_S1D_bDpT10_ENKUlT_T0_E_clISt17integral_constantIbLb0EES1P_IbLb1EEEEDaS1L_S1M_EUlS1L_E_NS1_11comp_targetILNS1_3genE0ELNS1_11target_archE4294967295ELNS1_3gpuE0ELNS1_3repE0EEENS1_30default_config_static_selectorELNS0_4arch9wavefront6targetE0EEEvSZ_.kd
    .uniform_work_group_size: 1
    .uses_dynamic_stack: false
    .vgpr_count:     0
    .vgpr_spill_count: 0
    .wavefront_size: 32
    .workgroup_processor_mode: 1
  - .args:
      - .offset:         0
        .size:           152
        .value_kind:     by_value
    .group_segment_fixed_size: 0
    .kernarg_segment_align: 8
    .kernarg_segment_size: 152
    .language:       OpenCL C
    .language_version:
      - 2
      - 0
    .max_flat_workgroup_size: 256
    .name:           _ZN7rocprim17ROCPRIM_400000_NS6detail17trampoline_kernelINS0_13select_configILj256ELj13ELNS0_17block_load_methodE3ELS4_3ELS4_3ELNS0_20block_scan_algorithmE0ELj4294967295EEENS1_25partition_config_selectorILNS1_17partition_subalgoE3EjNS0_10empty_typeEbEEZZNS1_14partition_implILS8_3ELb0ES6_jNS0_17counting_iteratorIjlEEPS9_SE_NS0_5tupleIJPjSE_EEENSF_IJSE_SE_EEES9_SG_JZNS1_25segmented_radix_sort_implINS0_14default_configELb1EPK6__halfPSL_PKlPlN2at6native12_GLOBAL__N_18offset_tEEE10hipError_tPvRmT1_PNSt15iterator_traitsISZ_E10value_typeET2_T3_PNS10_IS15_E10value_typeET4_jRbjT5_S1B_jjP12ihipStream_tbEUljE_EEESW_SX_SY_S15_S19_S1B_T6_T7_T9_mT8_S1D_bDpT10_ENKUlT_T0_E_clISt17integral_constantIbLb0EES1P_IbLb1EEEEDaS1L_S1M_EUlS1L_E_NS1_11comp_targetILNS1_3genE5ELNS1_11target_archE942ELNS1_3gpuE9ELNS1_3repE0EEENS1_30default_config_static_selectorELNS0_4arch9wavefront6targetE0EEEvSZ_
    .private_segment_fixed_size: 0
    .sgpr_count:     0
    .sgpr_spill_count: 0
    .symbol:         _ZN7rocprim17ROCPRIM_400000_NS6detail17trampoline_kernelINS0_13select_configILj256ELj13ELNS0_17block_load_methodE3ELS4_3ELS4_3ELNS0_20block_scan_algorithmE0ELj4294967295EEENS1_25partition_config_selectorILNS1_17partition_subalgoE3EjNS0_10empty_typeEbEEZZNS1_14partition_implILS8_3ELb0ES6_jNS0_17counting_iteratorIjlEEPS9_SE_NS0_5tupleIJPjSE_EEENSF_IJSE_SE_EEES9_SG_JZNS1_25segmented_radix_sort_implINS0_14default_configELb1EPK6__halfPSL_PKlPlN2at6native12_GLOBAL__N_18offset_tEEE10hipError_tPvRmT1_PNSt15iterator_traitsISZ_E10value_typeET2_T3_PNS10_IS15_E10value_typeET4_jRbjT5_S1B_jjP12ihipStream_tbEUljE_EEESW_SX_SY_S15_S19_S1B_T6_T7_T9_mT8_S1D_bDpT10_ENKUlT_T0_E_clISt17integral_constantIbLb0EES1P_IbLb1EEEEDaS1L_S1M_EUlS1L_E_NS1_11comp_targetILNS1_3genE5ELNS1_11target_archE942ELNS1_3gpuE9ELNS1_3repE0EEENS1_30default_config_static_selectorELNS0_4arch9wavefront6targetE0EEEvSZ_.kd
    .uniform_work_group_size: 1
    .uses_dynamic_stack: false
    .vgpr_count:     0
    .vgpr_spill_count: 0
    .wavefront_size: 32
    .workgroup_processor_mode: 1
  - .args:
      - .offset:         0
        .size:           152
        .value_kind:     by_value
    .group_segment_fixed_size: 0
    .kernarg_segment_align: 8
    .kernarg_segment_size: 152
    .language:       OpenCL C
    .language_version:
      - 2
      - 0
    .max_flat_workgroup_size: 256
    .name:           _ZN7rocprim17ROCPRIM_400000_NS6detail17trampoline_kernelINS0_13select_configILj256ELj13ELNS0_17block_load_methodE3ELS4_3ELS4_3ELNS0_20block_scan_algorithmE0ELj4294967295EEENS1_25partition_config_selectorILNS1_17partition_subalgoE3EjNS0_10empty_typeEbEEZZNS1_14partition_implILS8_3ELb0ES6_jNS0_17counting_iteratorIjlEEPS9_SE_NS0_5tupleIJPjSE_EEENSF_IJSE_SE_EEES9_SG_JZNS1_25segmented_radix_sort_implINS0_14default_configELb1EPK6__halfPSL_PKlPlN2at6native12_GLOBAL__N_18offset_tEEE10hipError_tPvRmT1_PNSt15iterator_traitsISZ_E10value_typeET2_T3_PNS10_IS15_E10value_typeET4_jRbjT5_S1B_jjP12ihipStream_tbEUljE_EEESW_SX_SY_S15_S19_S1B_T6_T7_T9_mT8_S1D_bDpT10_ENKUlT_T0_E_clISt17integral_constantIbLb0EES1P_IbLb1EEEEDaS1L_S1M_EUlS1L_E_NS1_11comp_targetILNS1_3genE4ELNS1_11target_archE910ELNS1_3gpuE8ELNS1_3repE0EEENS1_30default_config_static_selectorELNS0_4arch9wavefront6targetE0EEEvSZ_
    .private_segment_fixed_size: 0
    .sgpr_count:     0
    .sgpr_spill_count: 0
    .symbol:         _ZN7rocprim17ROCPRIM_400000_NS6detail17trampoline_kernelINS0_13select_configILj256ELj13ELNS0_17block_load_methodE3ELS4_3ELS4_3ELNS0_20block_scan_algorithmE0ELj4294967295EEENS1_25partition_config_selectorILNS1_17partition_subalgoE3EjNS0_10empty_typeEbEEZZNS1_14partition_implILS8_3ELb0ES6_jNS0_17counting_iteratorIjlEEPS9_SE_NS0_5tupleIJPjSE_EEENSF_IJSE_SE_EEES9_SG_JZNS1_25segmented_radix_sort_implINS0_14default_configELb1EPK6__halfPSL_PKlPlN2at6native12_GLOBAL__N_18offset_tEEE10hipError_tPvRmT1_PNSt15iterator_traitsISZ_E10value_typeET2_T3_PNS10_IS15_E10value_typeET4_jRbjT5_S1B_jjP12ihipStream_tbEUljE_EEESW_SX_SY_S15_S19_S1B_T6_T7_T9_mT8_S1D_bDpT10_ENKUlT_T0_E_clISt17integral_constantIbLb0EES1P_IbLb1EEEEDaS1L_S1M_EUlS1L_E_NS1_11comp_targetILNS1_3genE4ELNS1_11target_archE910ELNS1_3gpuE8ELNS1_3repE0EEENS1_30default_config_static_selectorELNS0_4arch9wavefront6targetE0EEEvSZ_.kd
    .uniform_work_group_size: 1
    .uses_dynamic_stack: false
    .vgpr_count:     0
    .vgpr_spill_count: 0
    .wavefront_size: 32
    .workgroup_processor_mode: 1
  - .args:
      - .offset:         0
        .size:           152
        .value_kind:     by_value
    .group_segment_fixed_size: 0
    .kernarg_segment_align: 8
    .kernarg_segment_size: 152
    .language:       OpenCL C
    .language_version:
      - 2
      - 0
    .max_flat_workgroup_size: 256
    .name:           _ZN7rocprim17ROCPRIM_400000_NS6detail17trampoline_kernelINS0_13select_configILj256ELj13ELNS0_17block_load_methodE3ELS4_3ELS4_3ELNS0_20block_scan_algorithmE0ELj4294967295EEENS1_25partition_config_selectorILNS1_17partition_subalgoE3EjNS0_10empty_typeEbEEZZNS1_14partition_implILS8_3ELb0ES6_jNS0_17counting_iteratorIjlEEPS9_SE_NS0_5tupleIJPjSE_EEENSF_IJSE_SE_EEES9_SG_JZNS1_25segmented_radix_sort_implINS0_14default_configELb1EPK6__halfPSL_PKlPlN2at6native12_GLOBAL__N_18offset_tEEE10hipError_tPvRmT1_PNSt15iterator_traitsISZ_E10value_typeET2_T3_PNS10_IS15_E10value_typeET4_jRbjT5_S1B_jjP12ihipStream_tbEUljE_EEESW_SX_SY_S15_S19_S1B_T6_T7_T9_mT8_S1D_bDpT10_ENKUlT_T0_E_clISt17integral_constantIbLb0EES1P_IbLb1EEEEDaS1L_S1M_EUlS1L_E_NS1_11comp_targetILNS1_3genE3ELNS1_11target_archE908ELNS1_3gpuE7ELNS1_3repE0EEENS1_30default_config_static_selectorELNS0_4arch9wavefront6targetE0EEEvSZ_
    .private_segment_fixed_size: 0
    .sgpr_count:     0
    .sgpr_spill_count: 0
    .symbol:         _ZN7rocprim17ROCPRIM_400000_NS6detail17trampoline_kernelINS0_13select_configILj256ELj13ELNS0_17block_load_methodE3ELS4_3ELS4_3ELNS0_20block_scan_algorithmE0ELj4294967295EEENS1_25partition_config_selectorILNS1_17partition_subalgoE3EjNS0_10empty_typeEbEEZZNS1_14partition_implILS8_3ELb0ES6_jNS0_17counting_iteratorIjlEEPS9_SE_NS0_5tupleIJPjSE_EEENSF_IJSE_SE_EEES9_SG_JZNS1_25segmented_radix_sort_implINS0_14default_configELb1EPK6__halfPSL_PKlPlN2at6native12_GLOBAL__N_18offset_tEEE10hipError_tPvRmT1_PNSt15iterator_traitsISZ_E10value_typeET2_T3_PNS10_IS15_E10value_typeET4_jRbjT5_S1B_jjP12ihipStream_tbEUljE_EEESW_SX_SY_S15_S19_S1B_T6_T7_T9_mT8_S1D_bDpT10_ENKUlT_T0_E_clISt17integral_constantIbLb0EES1P_IbLb1EEEEDaS1L_S1M_EUlS1L_E_NS1_11comp_targetILNS1_3genE3ELNS1_11target_archE908ELNS1_3gpuE7ELNS1_3repE0EEENS1_30default_config_static_selectorELNS0_4arch9wavefront6targetE0EEEvSZ_.kd
    .uniform_work_group_size: 1
    .uses_dynamic_stack: false
    .vgpr_count:     0
    .vgpr_spill_count: 0
    .wavefront_size: 32
    .workgroup_processor_mode: 1
  - .args:
      - .offset:         0
        .size:           152
        .value_kind:     by_value
    .group_segment_fixed_size: 0
    .kernarg_segment_align: 8
    .kernarg_segment_size: 152
    .language:       OpenCL C
    .language_version:
      - 2
      - 0
    .max_flat_workgroup_size: 256
    .name:           _ZN7rocprim17ROCPRIM_400000_NS6detail17trampoline_kernelINS0_13select_configILj256ELj13ELNS0_17block_load_methodE3ELS4_3ELS4_3ELNS0_20block_scan_algorithmE0ELj4294967295EEENS1_25partition_config_selectorILNS1_17partition_subalgoE3EjNS0_10empty_typeEbEEZZNS1_14partition_implILS8_3ELb0ES6_jNS0_17counting_iteratorIjlEEPS9_SE_NS0_5tupleIJPjSE_EEENSF_IJSE_SE_EEES9_SG_JZNS1_25segmented_radix_sort_implINS0_14default_configELb1EPK6__halfPSL_PKlPlN2at6native12_GLOBAL__N_18offset_tEEE10hipError_tPvRmT1_PNSt15iterator_traitsISZ_E10value_typeET2_T3_PNS10_IS15_E10value_typeET4_jRbjT5_S1B_jjP12ihipStream_tbEUljE_EEESW_SX_SY_S15_S19_S1B_T6_T7_T9_mT8_S1D_bDpT10_ENKUlT_T0_E_clISt17integral_constantIbLb0EES1P_IbLb1EEEEDaS1L_S1M_EUlS1L_E_NS1_11comp_targetILNS1_3genE2ELNS1_11target_archE906ELNS1_3gpuE6ELNS1_3repE0EEENS1_30default_config_static_selectorELNS0_4arch9wavefront6targetE0EEEvSZ_
    .private_segment_fixed_size: 0
    .sgpr_count:     0
    .sgpr_spill_count: 0
    .symbol:         _ZN7rocprim17ROCPRIM_400000_NS6detail17trampoline_kernelINS0_13select_configILj256ELj13ELNS0_17block_load_methodE3ELS4_3ELS4_3ELNS0_20block_scan_algorithmE0ELj4294967295EEENS1_25partition_config_selectorILNS1_17partition_subalgoE3EjNS0_10empty_typeEbEEZZNS1_14partition_implILS8_3ELb0ES6_jNS0_17counting_iteratorIjlEEPS9_SE_NS0_5tupleIJPjSE_EEENSF_IJSE_SE_EEES9_SG_JZNS1_25segmented_radix_sort_implINS0_14default_configELb1EPK6__halfPSL_PKlPlN2at6native12_GLOBAL__N_18offset_tEEE10hipError_tPvRmT1_PNSt15iterator_traitsISZ_E10value_typeET2_T3_PNS10_IS15_E10value_typeET4_jRbjT5_S1B_jjP12ihipStream_tbEUljE_EEESW_SX_SY_S15_S19_S1B_T6_T7_T9_mT8_S1D_bDpT10_ENKUlT_T0_E_clISt17integral_constantIbLb0EES1P_IbLb1EEEEDaS1L_S1M_EUlS1L_E_NS1_11comp_targetILNS1_3genE2ELNS1_11target_archE906ELNS1_3gpuE6ELNS1_3repE0EEENS1_30default_config_static_selectorELNS0_4arch9wavefront6targetE0EEEvSZ_.kd
    .uniform_work_group_size: 1
    .uses_dynamic_stack: false
    .vgpr_count:     0
    .vgpr_spill_count: 0
    .wavefront_size: 32
    .workgroup_processor_mode: 1
  - .args:
      - .offset:         0
        .size:           152
        .value_kind:     by_value
    .group_segment_fixed_size: 0
    .kernarg_segment_align: 8
    .kernarg_segment_size: 152
    .language:       OpenCL C
    .language_version:
      - 2
      - 0
    .max_flat_workgroup_size: 256
    .name:           _ZN7rocprim17ROCPRIM_400000_NS6detail17trampoline_kernelINS0_13select_configILj256ELj13ELNS0_17block_load_methodE3ELS4_3ELS4_3ELNS0_20block_scan_algorithmE0ELj4294967295EEENS1_25partition_config_selectorILNS1_17partition_subalgoE3EjNS0_10empty_typeEbEEZZNS1_14partition_implILS8_3ELb0ES6_jNS0_17counting_iteratorIjlEEPS9_SE_NS0_5tupleIJPjSE_EEENSF_IJSE_SE_EEES9_SG_JZNS1_25segmented_radix_sort_implINS0_14default_configELb1EPK6__halfPSL_PKlPlN2at6native12_GLOBAL__N_18offset_tEEE10hipError_tPvRmT1_PNSt15iterator_traitsISZ_E10value_typeET2_T3_PNS10_IS15_E10value_typeET4_jRbjT5_S1B_jjP12ihipStream_tbEUljE_EEESW_SX_SY_S15_S19_S1B_T6_T7_T9_mT8_S1D_bDpT10_ENKUlT_T0_E_clISt17integral_constantIbLb0EES1P_IbLb1EEEEDaS1L_S1M_EUlS1L_E_NS1_11comp_targetILNS1_3genE10ELNS1_11target_archE1200ELNS1_3gpuE4ELNS1_3repE0EEENS1_30default_config_static_selectorELNS0_4arch9wavefront6targetE0EEEvSZ_
    .private_segment_fixed_size: 0
    .sgpr_count:     0
    .sgpr_spill_count: 0
    .symbol:         _ZN7rocprim17ROCPRIM_400000_NS6detail17trampoline_kernelINS0_13select_configILj256ELj13ELNS0_17block_load_methodE3ELS4_3ELS4_3ELNS0_20block_scan_algorithmE0ELj4294967295EEENS1_25partition_config_selectorILNS1_17partition_subalgoE3EjNS0_10empty_typeEbEEZZNS1_14partition_implILS8_3ELb0ES6_jNS0_17counting_iteratorIjlEEPS9_SE_NS0_5tupleIJPjSE_EEENSF_IJSE_SE_EEES9_SG_JZNS1_25segmented_radix_sort_implINS0_14default_configELb1EPK6__halfPSL_PKlPlN2at6native12_GLOBAL__N_18offset_tEEE10hipError_tPvRmT1_PNSt15iterator_traitsISZ_E10value_typeET2_T3_PNS10_IS15_E10value_typeET4_jRbjT5_S1B_jjP12ihipStream_tbEUljE_EEESW_SX_SY_S15_S19_S1B_T6_T7_T9_mT8_S1D_bDpT10_ENKUlT_T0_E_clISt17integral_constantIbLb0EES1P_IbLb1EEEEDaS1L_S1M_EUlS1L_E_NS1_11comp_targetILNS1_3genE10ELNS1_11target_archE1200ELNS1_3gpuE4ELNS1_3repE0EEENS1_30default_config_static_selectorELNS0_4arch9wavefront6targetE0EEEvSZ_.kd
    .uniform_work_group_size: 1
    .uses_dynamic_stack: false
    .vgpr_count:     0
    .vgpr_spill_count: 0
    .wavefront_size: 32
    .workgroup_processor_mode: 1
  - .args:
      - .offset:         0
        .size:           152
        .value_kind:     by_value
    .group_segment_fixed_size: 0
    .kernarg_segment_align: 8
    .kernarg_segment_size: 152
    .language:       OpenCL C
    .language_version:
      - 2
      - 0
    .max_flat_workgroup_size: 256
    .name:           _ZN7rocprim17ROCPRIM_400000_NS6detail17trampoline_kernelINS0_13select_configILj256ELj13ELNS0_17block_load_methodE3ELS4_3ELS4_3ELNS0_20block_scan_algorithmE0ELj4294967295EEENS1_25partition_config_selectorILNS1_17partition_subalgoE3EjNS0_10empty_typeEbEEZZNS1_14partition_implILS8_3ELb0ES6_jNS0_17counting_iteratorIjlEEPS9_SE_NS0_5tupleIJPjSE_EEENSF_IJSE_SE_EEES9_SG_JZNS1_25segmented_radix_sort_implINS0_14default_configELb1EPK6__halfPSL_PKlPlN2at6native12_GLOBAL__N_18offset_tEEE10hipError_tPvRmT1_PNSt15iterator_traitsISZ_E10value_typeET2_T3_PNS10_IS15_E10value_typeET4_jRbjT5_S1B_jjP12ihipStream_tbEUljE_EEESW_SX_SY_S15_S19_S1B_T6_T7_T9_mT8_S1D_bDpT10_ENKUlT_T0_E_clISt17integral_constantIbLb0EES1P_IbLb1EEEEDaS1L_S1M_EUlS1L_E_NS1_11comp_targetILNS1_3genE9ELNS1_11target_archE1100ELNS1_3gpuE3ELNS1_3repE0EEENS1_30default_config_static_selectorELNS0_4arch9wavefront6targetE0EEEvSZ_
    .private_segment_fixed_size: 0
    .sgpr_count:     0
    .sgpr_spill_count: 0
    .symbol:         _ZN7rocprim17ROCPRIM_400000_NS6detail17trampoline_kernelINS0_13select_configILj256ELj13ELNS0_17block_load_methodE3ELS4_3ELS4_3ELNS0_20block_scan_algorithmE0ELj4294967295EEENS1_25partition_config_selectorILNS1_17partition_subalgoE3EjNS0_10empty_typeEbEEZZNS1_14partition_implILS8_3ELb0ES6_jNS0_17counting_iteratorIjlEEPS9_SE_NS0_5tupleIJPjSE_EEENSF_IJSE_SE_EEES9_SG_JZNS1_25segmented_radix_sort_implINS0_14default_configELb1EPK6__halfPSL_PKlPlN2at6native12_GLOBAL__N_18offset_tEEE10hipError_tPvRmT1_PNSt15iterator_traitsISZ_E10value_typeET2_T3_PNS10_IS15_E10value_typeET4_jRbjT5_S1B_jjP12ihipStream_tbEUljE_EEESW_SX_SY_S15_S19_S1B_T6_T7_T9_mT8_S1D_bDpT10_ENKUlT_T0_E_clISt17integral_constantIbLb0EES1P_IbLb1EEEEDaS1L_S1M_EUlS1L_E_NS1_11comp_targetILNS1_3genE9ELNS1_11target_archE1100ELNS1_3gpuE3ELNS1_3repE0EEENS1_30default_config_static_selectorELNS0_4arch9wavefront6targetE0EEEvSZ_.kd
    .uniform_work_group_size: 1
    .uses_dynamic_stack: false
    .vgpr_count:     0
    .vgpr_spill_count: 0
    .wavefront_size: 32
    .workgroup_processor_mode: 1
  - .args:
      - .offset:         0
        .size:           152
        .value_kind:     by_value
    .group_segment_fixed_size: 13320
    .kernarg_segment_align: 8
    .kernarg_segment_size: 152
    .language:       OpenCL C
    .language_version:
      - 2
      - 0
    .max_flat_workgroup_size: 256
    .name:           _ZN7rocprim17ROCPRIM_400000_NS6detail17trampoline_kernelINS0_13select_configILj256ELj13ELNS0_17block_load_methodE3ELS4_3ELS4_3ELNS0_20block_scan_algorithmE0ELj4294967295EEENS1_25partition_config_selectorILNS1_17partition_subalgoE3EjNS0_10empty_typeEbEEZZNS1_14partition_implILS8_3ELb0ES6_jNS0_17counting_iteratorIjlEEPS9_SE_NS0_5tupleIJPjSE_EEENSF_IJSE_SE_EEES9_SG_JZNS1_25segmented_radix_sort_implINS0_14default_configELb1EPK6__halfPSL_PKlPlN2at6native12_GLOBAL__N_18offset_tEEE10hipError_tPvRmT1_PNSt15iterator_traitsISZ_E10value_typeET2_T3_PNS10_IS15_E10value_typeET4_jRbjT5_S1B_jjP12ihipStream_tbEUljE_EEESW_SX_SY_S15_S19_S1B_T6_T7_T9_mT8_S1D_bDpT10_ENKUlT_T0_E_clISt17integral_constantIbLb0EES1P_IbLb1EEEEDaS1L_S1M_EUlS1L_E_NS1_11comp_targetILNS1_3genE8ELNS1_11target_archE1030ELNS1_3gpuE2ELNS1_3repE0EEENS1_30default_config_static_selectorELNS0_4arch9wavefront6targetE0EEEvSZ_
    .private_segment_fixed_size: 0
    .sgpr_count:     28
    .sgpr_spill_count: 0
    .symbol:         _ZN7rocprim17ROCPRIM_400000_NS6detail17trampoline_kernelINS0_13select_configILj256ELj13ELNS0_17block_load_methodE3ELS4_3ELS4_3ELNS0_20block_scan_algorithmE0ELj4294967295EEENS1_25partition_config_selectorILNS1_17partition_subalgoE3EjNS0_10empty_typeEbEEZZNS1_14partition_implILS8_3ELb0ES6_jNS0_17counting_iteratorIjlEEPS9_SE_NS0_5tupleIJPjSE_EEENSF_IJSE_SE_EEES9_SG_JZNS1_25segmented_radix_sort_implINS0_14default_configELb1EPK6__halfPSL_PKlPlN2at6native12_GLOBAL__N_18offset_tEEE10hipError_tPvRmT1_PNSt15iterator_traitsISZ_E10value_typeET2_T3_PNS10_IS15_E10value_typeET4_jRbjT5_S1B_jjP12ihipStream_tbEUljE_EEESW_SX_SY_S15_S19_S1B_T6_T7_T9_mT8_S1D_bDpT10_ENKUlT_T0_E_clISt17integral_constantIbLb0EES1P_IbLb1EEEEDaS1L_S1M_EUlS1L_E_NS1_11comp_targetILNS1_3genE8ELNS1_11target_archE1030ELNS1_3gpuE2ELNS1_3repE0EEENS1_30default_config_static_selectorELNS0_4arch9wavefront6targetE0EEEvSZ_.kd
    .uniform_work_group_size: 1
    .uses_dynamic_stack: false
    .vgpr_count:     71
    .vgpr_spill_count: 0
    .wavefront_size: 32
    .workgroup_processor_mode: 1
  - .args:
      - .offset:         0
        .size:           96
        .value_kind:     by_value
    .group_segment_fixed_size: 0
    .kernarg_segment_align: 8
    .kernarg_segment_size: 96
    .language:       OpenCL C
    .language_version:
      - 2
      - 0
    .max_flat_workgroup_size: 256
    .name:           _ZN7rocprim17ROCPRIM_400000_NS6detail17trampoline_kernelINS0_14default_configENS1_36segmented_radix_sort_config_selectorI6__halflEEZNS1_25segmented_radix_sort_implIS3_Lb1EPKS5_PS5_PKlPlN2at6native12_GLOBAL__N_18offset_tEEE10hipError_tPvRmT1_PNSt15iterator_traitsISL_E10value_typeET2_T3_PNSM_ISR_E10value_typeET4_jRbjT5_SX_jjP12ihipStream_tbEUlT_E_NS1_11comp_targetILNS1_3genE0ELNS1_11target_archE4294967295ELNS1_3gpuE0ELNS1_3repE0EEENS1_30default_config_static_selectorELNS0_4arch9wavefront6targetE0EEEvSL_
    .private_segment_fixed_size: 0
    .sgpr_count:     0
    .sgpr_spill_count: 0
    .symbol:         _ZN7rocprim17ROCPRIM_400000_NS6detail17trampoline_kernelINS0_14default_configENS1_36segmented_radix_sort_config_selectorI6__halflEEZNS1_25segmented_radix_sort_implIS3_Lb1EPKS5_PS5_PKlPlN2at6native12_GLOBAL__N_18offset_tEEE10hipError_tPvRmT1_PNSt15iterator_traitsISL_E10value_typeET2_T3_PNSM_ISR_E10value_typeET4_jRbjT5_SX_jjP12ihipStream_tbEUlT_E_NS1_11comp_targetILNS1_3genE0ELNS1_11target_archE4294967295ELNS1_3gpuE0ELNS1_3repE0EEENS1_30default_config_static_selectorELNS0_4arch9wavefront6targetE0EEEvSL_.kd
    .uniform_work_group_size: 1
    .uses_dynamic_stack: false
    .vgpr_count:     0
    .vgpr_spill_count: 0
    .wavefront_size: 32
    .workgroup_processor_mode: 1
  - .args:
      - .offset:         0
        .size:           96
        .value_kind:     by_value
    .group_segment_fixed_size: 0
    .kernarg_segment_align: 8
    .kernarg_segment_size: 96
    .language:       OpenCL C
    .language_version:
      - 2
      - 0
    .max_flat_workgroup_size: 256
    .name:           _ZN7rocprim17ROCPRIM_400000_NS6detail17trampoline_kernelINS0_14default_configENS1_36segmented_radix_sort_config_selectorI6__halflEEZNS1_25segmented_radix_sort_implIS3_Lb1EPKS5_PS5_PKlPlN2at6native12_GLOBAL__N_18offset_tEEE10hipError_tPvRmT1_PNSt15iterator_traitsISL_E10value_typeET2_T3_PNSM_ISR_E10value_typeET4_jRbjT5_SX_jjP12ihipStream_tbEUlT_E_NS1_11comp_targetILNS1_3genE5ELNS1_11target_archE942ELNS1_3gpuE9ELNS1_3repE0EEENS1_30default_config_static_selectorELNS0_4arch9wavefront6targetE0EEEvSL_
    .private_segment_fixed_size: 0
    .sgpr_count:     0
    .sgpr_spill_count: 0
    .symbol:         _ZN7rocprim17ROCPRIM_400000_NS6detail17trampoline_kernelINS0_14default_configENS1_36segmented_radix_sort_config_selectorI6__halflEEZNS1_25segmented_radix_sort_implIS3_Lb1EPKS5_PS5_PKlPlN2at6native12_GLOBAL__N_18offset_tEEE10hipError_tPvRmT1_PNSt15iterator_traitsISL_E10value_typeET2_T3_PNSM_ISR_E10value_typeET4_jRbjT5_SX_jjP12ihipStream_tbEUlT_E_NS1_11comp_targetILNS1_3genE5ELNS1_11target_archE942ELNS1_3gpuE9ELNS1_3repE0EEENS1_30default_config_static_selectorELNS0_4arch9wavefront6targetE0EEEvSL_.kd
    .uniform_work_group_size: 1
    .uses_dynamic_stack: false
    .vgpr_count:     0
    .vgpr_spill_count: 0
    .wavefront_size: 32
    .workgroup_processor_mode: 1
  - .args:
      - .offset:         0
        .size:           96
        .value_kind:     by_value
    .group_segment_fixed_size: 0
    .kernarg_segment_align: 8
    .kernarg_segment_size: 96
    .language:       OpenCL C
    .language_version:
      - 2
      - 0
    .max_flat_workgroup_size: 256
    .name:           _ZN7rocprim17ROCPRIM_400000_NS6detail17trampoline_kernelINS0_14default_configENS1_36segmented_radix_sort_config_selectorI6__halflEEZNS1_25segmented_radix_sort_implIS3_Lb1EPKS5_PS5_PKlPlN2at6native12_GLOBAL__N_18offset_tEEE10hipError_tPvRmT1_PNSt15iterator_traitsISL_E10value_typeET2_T3_PNSM_ISR_E10value_typeET4_jRbjT5_SX_jjP12ihipStream_tbEUlT_E_NS1_11comp_targetILNS1_3genE4ELNS1_11target_archE910ELNS1_3gpuE8ELNS1_3repE0EEENS1_30default_config_static_selectorELNS0_4arch9wavefront6targetE0EEEvSL_
    .private_segment_fixed_size: 0
    .sgpr_count:     0
    .sgpr_spill_count: 0
    .symbol:         _ZN7rocprim17ROCPRIM_400000_NS6detail17trampoline_kernelINS0_14default_configENS1_36segmented_radix_sort_config_selectorI6__halflEEZNS1_25segmented_radix_sort_implIS3_Lb1EPKS5_PS5_PKlPlN2at6native12_GLOBAL__N_18offset_tEEE10hipError_tPvRmT1_PNSt15iterator_traitsISL_E10value_typeET2_T3_PNSM_ISR_E10value_typeET4_jRbjT5_SX_jjP12ihipStream_tbEUlT_E_NS1_11comp_targetILNS1_3genE4ELNS1_11target_archE910ELNS1_3gpuE8ELNS1_3repE0EEENS1_30default_config_static_selectorELNS0_4arch9wavefront6targetE0EEEvSL_.kd
    .uniform_work_group_size: 1
    .uses_dynamic_stack: false
    .vgpr_count:     0
    .vgpr_spill_count: 0
    .wavefront_size: 32
    .workgroup_processor_mode: 1
  - .args:
      - .offset:         0
        .size:           96
        .value_kind:     by_value
    .group_segment_fixed_size: 0
    .kernarg_segment_align: 8
    .kernarg_segment_size: 96
    .language:       OpenCL C
    .language_version:
      - 2
      - 0
    .max_flat_workgroup_size: 256
    .name:           _ZN7rocprim17ROCPRIM_400000_NS6detail17trampoline_kernelINS0_14default_configENS1_36segmented_radix_sort_config_selectorI6__halflEEZNS1_25segmented_radix_sort_implIS3_Lb1EPKS5_PS5_PKlPlN2at6native12_GLOBAL__N_18offset_tEEE10hipError_tPvRmT1_PNSt15iterator_traitsISL_E10value_typeET2_T3_PNSM_ISR_E10value_typeET4_jRbjT5_SX_jjP12ihipStream_tbEUlT_E_NS1_11comp_targetILNS1_3genE3ELNS1_11target_archE908ELNS1_3gpuE7ELNS1_3repE0EEENS1_30default_config_static_selectorELNS0_4arch9wavefront6targetE0EEEvSL_
    .private_segment_fixed_size: 0
    .sgpr_count:     0
    .sgpr_spill_count: 0
    .symbol:         _ZN7rocprim17ROCPRIM_400000_NS6detail17trampoline_kernelINS0_14default_configENS1_36segmented_radix_sort_config_selectorI6__halflEEZNS1_25segmented_radix_sort_implIS3_Lb1EPKS5_PS5_PKlPlN2at6native12_GLOBAL__N_18offset_tEEE10hipError_tPvRmT1_PNSt15iterator_traitsISL_E10value_typeET2_T3_PNSM_ISR_E10value_typeET4_jRbjT5_SX_jjP12ihipStream_tbEUlT_E_NS1_11comp_targetILNS1_3genE3ELNS1_11target_archE908ELNS1_3gpuE7ELNS1_3repE0EEENS1_30default_config_static_selectorELNS0_4arch9wavefront6targetE0EEEvSL_.kd
    .uniform_work_group_size: 1
    .uses_dynamic_stack: false
    .vgpr_count:     0
    .vgpr_spill_count: 0
    .wavefront_size: 32
    .workgroup_processor_mode: 1
  - .args:
      - .offset:         0
        .size:           96
        .value_kind:     by_value
    .group_segment_fixed_size: 0
    .kernarg_segment_align: 8
    .kernarg_segment_size: 96
    .language:       OpenCL C
    .language_version:
      - 2
      - 0
    .max_flat_workgroup_size: 256
    .name:           _ZN7rocprim17ROCPRIM_400000_NS6detail17trampoline_kernelINS0_14default_configENS1_36segmented_radix_sort_config_selectorI6__halflEEZNS1_25segmented_radix_sort_implIS3_Lb1EPKS5_PS5_PKlPlN2at6native12_GLOBAL__N_18offset_tEEE10hipError_tPvRmT1_PNSt15iterator_traitsISL_E10value_typeET2_T3_PNSM_ISR_E10value_typeET4_jRbjT5_SX_jjP12ihipStream_tbEUlT_E_NS1_11comp_targetILNS1_3genE2ELNS1_11target_archE906ELNS1_3gpuE6ELNS1_3repE0EEENS1_30default_config_static_selectorELNS0_4arch9wavefront6targetE0EEEvSL_
    .private_segment_fixed_size: 0
    .sgpr_count:     0
    .sgpr_spill_count: 0
    .symbol:         _ZN7rocprim17ROCPRIM_400000_NS6detail17trampoline_kernelINS0_14default_configENS1_36segmented_radix_sort_config_selectorI6__halflEEZNS1_25segmented_radix_sort_implIS3_Lb1EPKS5_PS5_PKlPlN2at6native12_GLOBAL__N_18offset_tEEE10hipError_tPvRmT1_PNSt15iterator_traitsISL_E10value_typeET2_T3_PNSM_ISR_E10value_typeET4_jRbjT5_SX_jjP12ihipStream_tbEUlT_E_NS1_11comp_targetILNS1_3genE2ELNS1_11target_archE906ELNS1_3gpuE6ELNS1_3repE0EEENS1_30default_config_static_selectorELNS0_4arch9wavefront6targetE0EEEvSL_.kd
    .uniform_work_group_size: 1
    .uses_dynamic_stack: false
    .vgpr_count:     0
    .vgpr_spill_count: 0
    .wavefront_size: 32
    .workgroup_processor_mode: 1
  - .args:
      - .offset:         0
        .size:           96
        .value_kind:     by_value
    .group_segment_fixed_size: 0
    .kernarg_segment_align: 8
    .kernarg_segment_size: 96
    .language:       OpenCL C
    .language_version:
      - 2
      - 0
    .max_flat_workgroup_size: 256
    .name:           _ZN7rocprim17ROCPRIM_400000_NS6detail17trampoline_kernelINS0_14default_configENS1_36segmented_radix_sort_config_selectorI6__halflEEZNS1_25segmented_radix_sort_implIS3_Lb1EPKS5_PS5_PKlPlN2at6native12_GLOBAL__N_18offset_tEEE10hipError_tPvRmT1_PNSt15iterator_traitsISL_E10value_typeET2_T3_PNSM_ISR_E10value_typeET4_jRbjT5_SX_jjP12ihipStream_tbEUlT_E_NS1_11comp_targetILNS1_3genE10ELNS1_11target_archE1201ELNS1_3gpuE5ELNS1_3repE0EEENS1_30default_config_static_selectorELNS0_4arch9wavefront6targetE0EEEvSL_
    .private_segment_fixed_size: 0
    .sgpr_count:     0
    .sgpr_spill_count: 0
    .symbol:         _ZN7rocprim17ROCPRIM_400000_NS6detail17trampoline_kernelINS0_14default_configENS1_36segmented_radix_sort_config_selectorI6__halflEEZNS1_25segmented_radix_sort_implIS3_Lb1EPKS5_PS5_PKlPlN2at6native12_GLOBAL__N_18offset_tEEE10hipError_tPvRmT1_PNSt15iterator_traitsISL_E10value_typeET2_T3_PNSM_ISR_E10value_typeET4_jRbjT5_SX_jjP12ihipStream_tbEUlT_E_NS1_11comp_targetILNS1_3genE10ELNS1_11target_archE1201ELNS1_3gpuE5ELNS1_3repE0EEENS1_30default_config_static_selectorELNS0_4arch9wavefront6targetE0EEEvSL_.kd
    .uniform_work_group_size: 1
    .uses_dynamic_stack: false
    .vgpr_count:     0
    .vgpr_spill_count: 0
    .wavefront_size: 32
    .workgroup_processor_mode: 1
  - .args:
      - .offset:         0
        .size:           96
        .value_kind:     by_value
    .group_segment_fixed_size: 0
    .kernarg_segment_align: 8
    .kernarg_segment_size: 96
    .language:       OpenCL C
    .language_version:
      - 2
      - 0
    .max_flat_workgroup_size: 128
    .name:           _ZN7rocprim17ROCPRIM_400000_NS6detail17trampoline_kernelINS0_14default_configENS1_36segmented_radix_sort_config_selectorI6__halflEEZNS1_25segmented_radix_sort_implIS3_Lb1EPKS5_PS5_PKlPlN2at6native12_GLOBAL__N_18offset_tEEE10hipError_tPvRmT1_PNSt15iterator_traitsISL_E10value_typeET2_T3_PNSM_ISR_E10value_typeET4_jRbjT5_SX_jjP12ihipStream_tbEUlT_E_NS1_11comp_targetILNS1_3genE10ELNS1_11target_archE1200ELNS1_3gpuE4ELNS1_3repE0EEENS1_30default_config_static_selectorELNS0_4arch9wavefront6targetE0EEEvSL_
    .private_segment_fixed_size: 0
    .sgpr_count:     0
    .sgpr_spill_count: 0
    .symbol:         _ZN7rocprim17ROCPRIM_400000_NS6detail17trampoline_kernelINS0_14default_configENS1_36segmented_radix_sort_config_selectorI6__halflEEZNS1_25segmented_radix_sort_implIS3_Lb1EPKS5_PS5_PKlPlN2at6native12_GLOBAL__N_18offset_tEEE10hipError_tPvRmT1_PNSt15iterator_traitsISL_E10value_typeET2_T3_PNSM_ISR_E10value_typeET4_jRbjT5_SX_jjP12ihipStream_tbEUlT_E_NS1_11comp_targetILNS1_3genE10ELNS1_11target_archE1200ELNS1_3gpuE4ELNS1_3repE0EEENS1_30default_config_static_selectorELNS0_4arch9wavefront6targetE0EEEvSL_.kd
    .uniform_work_group_size: 1
    .uses_dynamic_stack: false
    .vgpr_count:     0
    .vgpr_spill_count: 0
    .wavefront_size: 32
    .workgroup_processor_mode: 1
  - .args:
      - .offset:         0
        .size:           96
        .value_kind:     by_value
    .group_segment_fixed_size: 0
    .kernarg_segment_align: 8
    .kernarg_segment_size: 96
    .language:       OpenCL C
    .language_version:
      - 2
      - 0
    .max_flat_workgroup_size: 256
    .name:           _ZN7rocprim17ROCPRIM_400000_NS6detail17trampoline_kernelINS0_14default_configENS1_36segmented_radix_sort_config_selectorI6__halflEEZNS1_25segmented_radix_sort_implIS3_Lb1EPKS5_PS5_PKlPlN2at6native12_GLOBAL__N_18offset_tEEE10hipError_tPvRmT1_PNSt15iterator_traitsISL_E10value_typeET2_T3_PNSM_ISR_E10value_typeET4_jRbjT5_SX_jjP12ihipStream_tbEUlT_E_NS1_11comp_targetILNS1_3genE9ELNS1_11target_archE1100ELNS1_3gpuE3ELNS1_3repE0EEENS1_30default_config_static_selectorELNS0_4arch9wavefront6targetE0EEEvSL_
    .private_segment_fixed_size: 0
    .sgpr_count:     0
    .sgpr_spill_count: 0
    .symbol:         _ZN7rocprim17ROCPRIM_400000_NS6detail17trampoline_kernelINS0_14default_configENS1_36segmented_radix_sort_config_selectorI6__halflEEZNS1_25segmented_radix_sort_implIS3_Lb1EPKS5_PS5_PKlPlN2at6native12_GLOBAL__N_18offset_tEEE10hipError_tPvRmT1_PNSt15iterator_traitsISL_E10value_typeET2_T3_PNSM_ISR_E10value_typeET4_jRbjT5_SX_jjP12ihipStream_tbEUlT_E_NS1_11comp_targetILNS1_3genE9ELNS1_11target_archE1100ELNS1_3gpuE3ELNS1_3repE0EEENS1_30default_config_static_selectorELNS0_4arch9wavefront6targetE0EEEvSL_.kd
    .uniform_work_group_size: 1
    .uses_dynamic_stack: false
    .vgpr_count:     0
    .vgpr_spill_count: 0
    .wavefront_size: 32
    .workgroup_processor_mode: 1
  - .args:
      - .offset:         0
        .size:           96
        .value_kind:     by_value
      - .offset:         96
        .size:           4
        .value_kind:     hidden_block_count_x
      - .offset:         100
        .size:           4
        .value_kind:     hidden_block_count_y
      - .offset:         104
        .size:           4
        .value_kind:     hidden_block_count_z
      - .offset:         108
        .size:           2
        .value_kind:     hidden_group_size_x
      - .offset:         110
        .size:           2
        .value_kind:     hidden_group_size_y
      - .offset:         112
        .size:           2
        .value_kind:     hidden_group_size_z
      - .offset:         114
        .size:           2
        .value_kind:     hidden_remainder_x
      - .offset:         116
        .size:           2
        .value_kind:     hidden_remainder_y
      - .offset:         118
        .size:           2
        .value_kind:     hidden_remainder_z
      - .offset:         136
        .size:           8
        .value_kind:     hidden_global_offset_x
      - .offset:         144
        .size:           8
        .value_kind:     hidden_global_offset_y
      - .offset:         152
        .size:           8
        .value_kind:     hidden_global_offset_z
      - .offset:         160
        .size:           2
        .value_kind:     hidden_grid_dims
    .group_segment_fixed_size: 17440
    .kernarg_segment_align: 8
    .kernarg_segment_size: 352
    .language:       OpenCL C
    .language_version:
      - 2
      - 0
    .max_flat_workgroup_size: 256
    .name:           _ZN7rocprim17ROCPRIM_400000_NS6detail17trampoline_kernelINS0_14default_configENS1_36segmented_radix_sort_config_selectorI6__halflEEZNS1_25segmented_radix_sort_implIS3_Lb1EPKS5_PS5_PKlPlN2at6native12_GLOBAL__N_18offset_tEEE10hipError_tPvRmT1_PNSt15iterator_traitsISL_E10value_typeET2_T3_PNSM_ISR_E10value_typeET4_jRbjT5_SX_jjP12ihipStream_tbEUlT_E_NS1_11comp_targetILNS1_3genE8ELNS1_11target_archE1030ELNS1_3gpuE2ELNS1_3repE0EEENS1_30default_config_static_selectorELNS0_4arch9wavefront6targetE0EEEvSL_
    .private_segment_fixed_size: 0
    .sgpr_count:     58
    .sgpr_spill_count: 0
    .symbol:         _ZN7rocprim17ROCPRIM_400000_NS6detail17trampoline_kernelINS0_14default_configENS1_36segmented_radix_sort_config_selectorI6__halflEEZNS1_25segmented_radix_sort_implIS3_Lb1EPKS5_PS5_PKlPlN2at6native12_GLOBAL__N_18offset_tEEE10hipError_tPvRmT1_PNSt15iterator_traitsISL_E10value_typeET2_T3_PNSM_ISR_E10value_typeET4_jRbjT5_SX_jjP12ihipStream_tbEUlT_E_NS1_11comp_targetILNS1_3genE8ELNS1_11target_archE1030ELNS1_3gpuE2ELNS1_3repE0EEENS1_30default_config_static_selectorELNS0_4arch9wavefront6targetE0EEEvSL_.kd
    .uniform_work_group_size: 1
    .uses_dynamic_stack: false
    .vgpr_count:     184
    .vgpr_spill_count: 0
    .wavefront_size: 32
    .workgroup_processor_mode: 1
  - .args:
      - .offset:         0
        .size:           88
        .value_kind:     by_value
    .group_segment_fixed_size: 0
    .kernarg_segment_align: 8
    .kernarg_segment_size: 88
    .language:       OpenCL C
    .language_version:
      - 2
      - 0
    .max_flat_workgroup_size: 256
    .name:           _ZN7rocprim17ROCPRIM_400000_NS6detail17trampoline_kernelINS0_14default_configENS1_36segmented_radix_sort_config_selectorI6__halflEEZNS1_25segmented_radix_sort_implIS3_Lb1EPKS5_PS5_PKlPlN2at6native12_GLOBAL__N_18offset_tEEE10hipError_tPvRmT1_PNSt15iterator_traitsISL_E10value_typeET2_T3_PNSM_ISR_E10value_typeET4_jRbjT5_SX_jjP12ihipStream_tbEUlT_E0_NS1_11comp_targetILNS1_3genE0ELNS1_11target_archE4294967295ELNS1_3gpuE0ELNS1_3repE0EEENS1_60segmented_radix_sort_warp_sort_medium_config_static_selectorELNS0_4arch9wavefront6targetE0EEEvSL_
    .private_segment_fixed_size: 0
    .sgpr_count:     0
    .sgpr_spill_count: 0
    .symbol:         _ZN7rocprim17ROCPRIM_400000_NS6detail17trampoline_kernelINS0_14default_configENS1_36segmented_radix_sort_config_selectorI6__halflEEZNS1_25segmented_radix_sort_implIS3_Lb1EPKS5_PS5_PKlPlN2at6native12_GLOBAL__N_18offset_tEEE10hipError_tPvRmT1_PNSt15iterator_traitsISL_E10value_typeET2_T3_PNSM_ISR_E10value_typeET4_jRbjT5_SX_jjP12ihipStream_tbEUlT_E0_NS1_11comp_targetILNS1_3genE0ELNS1_11target_archE4294967295ELNS1_3gpuE0ELNS1_3repE0EEENS1_60segmented_radix_sort_warp_sort_medium_config_static_selectorELNS0_4arch9wavefront6targetE0EEEvSL_.kd
    .uniform_work_group_size: 1
    .uses_dynamic_stack: false
    .vgpr_count:     0
    .vgpr_spill_count: 0
    .wavefront_size: 32
    .workgroup_processor_mode: 1
  - .args:
      - .offset:         0
        .size:           88
        .value_kind:     by_value
    .group_segment_fixed_size: 0
    .kernarg_segment_align: 8
    .kernarg_segment_size: 88
    .language:       OpenCL C
    .language_version:
      - 2
      - 0
    .max_flat_workgroup_size: 256
    .name:           _ZN7rocprim17ROCPRIM_400000_NS6detail17trampoline_kernelINS0_14default_configENS1_36segmented_radix_sort_config_selectorI6__halflEEZNS1_25segmented_radix_sort_implIS3_Lb1EPKS5_PS5_PKlPlN2at6native12_GLOBAL__N_18offset_tEEE10hipError_tPvRmT1_PNSt15iterator_traitsISL_E10value_typeET2_T3_PNSM_ISR_E10value_typeET4_jRbjT5_SX_jjP12ihipStream_tbEUlT_E0_NS1_11comp_targetILNS1_3genE5ELNS1_11target_archE942ELNS1_3gpuE9ELNS1_3repE0EEENS1_60segmented_radix_sort_warp_sort_medium_config_static_selectorELNS0_4arch9wavefront6targetE0EEEvSL_
    .private_segment_fixed_size: 0
    .sgpr_count:     0
    .sgpr_spill_count: 0
    .symbol:         _ZN7rocprim17ROCPRIM_400000_NS6detail17trampoline_kernelINS0_14default_configENS1_36segmented_radix_sort_config_selectorI6__halflEEZNS1_25segmented_radix_sort_implIS3_Lb1EPKS5_PS5_PKlPlN2at6native12_GLOBAL__N_18offset_tEEE10hipError_tPvRmT1_PNSt15iterator_traitsISL_E10value_typeET2_T3_PNSM_ISR_E10value_typeET4_jRbjT5_SX_jjP12ihipStream_tbEUlT_E0_NS1_11comp_targetILNS1_3genE5ELNS1_11target_archE942ELNS1_3gpuE9ELNS1_3repE0EEENS1_60segmented_radix_sort_warp_sort_medium_config_static_selectorELNS0_4arch9wavefront6targetE0EEEvSL_.kd
    .uniform_work_group_size: 1
    .uses_dynamic_stack: false
    .vgpr_count:     0
    .vgpr_spill_count: 0
    .wavefront_size: 32
    .workgroup_processor_mode: 1
  - .args:
      - .offset:         0
        .size:           88
        .value_kind:     by_value
    .group_segment_fixed_size: 0
    .kernarg_segment_align: 8
    .kernarg_segment_size: 88
    .language:       OpenCL C
    .language_version:
      - 2
      - 0
    .max_flat_workgroup_size: 256
    .name:           _ZN7rocprim17ROCPRIM_400000_NS6detail17trampoline_kernelINS0_14default_configENS1_36segmented_radix_sort_config_selectorI6__halflEEZNS1_25segmented_radix_sort_implIS3_Lb1EPKS5_PS5_PKlPlN2at6native12_GLOBAL__N_18offset_tEEE10hipError_tPvRmT1_PNSt15iterator_traitsISL_E10value_typeET2_T3_PNSM_ISR_E10value_typeET4_jRbjT5_SX_jjP12ihipStream_tbEUlT_E0_NS1_11comp_targetILNS1_3genE4ELNS1_11target_archE910ELNS1_3gpuE8ELNS1_3repE0EEENS1_60segmented_radix_sort_warp_sort_medium_config_static_selectorELNS0_4arch9wavefront6targetE0EEEvSL_
    .private_segment_fixed_size: 0
    .sgpr_count:     0
    .sgpr_spill_count: 0
    .symbol:         _ZN7rocprim17ROCPRIM_400000_NS6detail17trampoline_kernelINS0_14default_configENS1_36segmented_radix_sort_config_selectorI6__halflEEZNS1_25segmented_radix_sort_implIS3_Lb1EPKS5_PS5_PKlPlN2at6native12_GLOBAL__N_18offset_tEEE10hipError_tPvRmT1_PNSt15iterator_traitsISL_E10value_typeET2_T3_PNSM_ISR_E10value_typeET4_jRbjT5_SX_jjP12ihipStream_tbEUlT_E0_NS1_11comp_targetILNS1_3genE4ELNS1_11target_archE910ELNS1_3gpuE8ELNS1_3repE0EEENS1_60segmented_radix_sort_warp_sort_medium_config_static_selectorELNS0_4arch9wavefront6targetE0EEEvSL_.kd
    .uniform_work_group_size: 1
    .uses_dynamic_stack: false
    .vgpr_count:     0
    .vgpr_spill_count: 0
    .wavefront_size: 32
    .workgroup_processor_mode: 1
  - .args:
      - .offset:         0
        .size:           88
        .value_kind:     by_value
    .group_segment_fixed_size: 0
    .kernarg_segment_align: 8
    .kernarg_segment_size: 88
    .language:       OpenCL C
    .language_version:
      - 2
      - 0
    .max_flat_workgroup_size: 256
    .name:           _ZN7rocprim17ROCPRIM_400000_NS6detail17trampoline_kernelINS0_14default_configENS1_36segmented_radix_sort_config_selectorI6__halflEEZNS1_25segmented_radix_sort_implIS3_Lb1EPKS5_PS5_PKlPlN2at6native12_GLOBAL__N_18offset_tEEE10hipError_tPvRmT1_PNSt15iterator_traitsISL_E10value_typeET2_T3_PNSM_ISR_E10value_typeET4_jRbjT5_SX_jjP12ihipStream_tbEUlT_E0_NS1_11comp_targetILNS1_3genE3ELNS1_11target_archE908ELNS1_3gpuE7ELNS1_3repE0EEENS1_60segmented_radix_sort_warp_sort_medium_config_static_selectorELNS0_4arch9wavefront6targetE0EEEvSL_
    .private_segment_fixed_size: 0
    .sgpr_count:     0
    .sgpr_spill_count: 0
    .symbol:         _ZN7rocprim17ROCPRIM_400000_NS6detail17trampoline_kernelINS0_14default_configENS1_36segmented_radix_sort_config_selectorI6__halflEEZNS1_25segmented_radix_sort_implIS3_Lb1EPKS5_PS5_PKlPlN2at6native12_GLOBAL__N_18offset_tEEE10hipError_tPvRmT1_PNSt15iterator_traitsISL_E10value_typeET2_T3_PNSM_ISR_E10value_typeET4_jRbjT5_SX_jjP12ihipStream_tbEUlT_E0_NS1_11comp_targetILNS1_3genE3ELNS1_11target_archE908ELNS1_3gpuE7ELNS1_3repE0EEENS1_60segmented_radix_sort_warp_sort_medium_config_static_selectorELNS0_4arch9wavefront6targetE0EEEvSL_.kd
    .uniform_work_group_size: 1
    .uses_dynamic_stack: false
    .vgpr_count:     0
    .vgpr_spill_count: 0
    .wavefront_size: 32
    .workgroup_processor_mode: 1
  - .args:
      - .offset:         0
        .size:           88
        .value_kind:     by_value
    .group_segment_fixed_size: 0
    .kernarg_segment_align: 8
    .kernarg_segment_size: 88
    .language:       OpenCL C
    .language_version:
      - 2
      - 0
    .max_flat_workgroup_size: 256
    .name:           _ZN7rocprim17ROCPRIM_400000_NS6detail17trampoline_kernelINS0_14default_configENS1_36segmented_radix_sort_config_selectorI6__halflEEZNS1_25segmented_radix_sort_implIS3_Lb1EPKS5_PS5_PKlPlN2at6native12_GLOBAL__N_18offset_tEEE10hipError_tPvRmT1_PNSt15iterator_traitsISL_E10value_typeET2_T3_PNSM_ISR_E10value_typeET4_jRbjT5_SX_jjP12ihipStream_tbEUlT_E0_NS1_11comp_targetILNS1_3genE2ELNS1_11target_archE906ELNS1_3gpuE6ELNS1_3repE0EEENS1_60segmented_radix_sort_warp_sort_medium_config_static_selectorELNS0_4arch9wavefront6targetE0EEEvSL_
    .private_segment_fixed_size: 0
    .sgpr_count:     0
    .sgpr_spill_count: 0
    .symbol:         _ZN7rocprim17ROCPRIM_400000_NS6detail17trampoline_kernelINS0_14default_configENS1_36segmented_radix_sort_config_selectorI6__halflEEZNS1_25segmented_radix_sort_implIS3_Lb1EPKS5_PS5_PKlPlN2at6native12_GLOBAL__N_18offset_tEEE10hipError_tPvRmT1_PNSt15iterator_traitsISL_E10value_typeET2_T3_PNSM_ISR_E10value_typeET4_jRbjT5_SX_jjP12ihipStream_tbEUlT_E0_NS1_11comp_targetILNS1_3genE2ELNS1_11target_archE906ELNS1_3gpuE6ELNS1_3repE0EEENS1_60segmented_radix_sort_warp_sort_medium_config_static_selectorELNS0_4arch9wavefront6targetE0EEEvSL_.kd
    .uniform_work_group_size: 1
    .uses_dynamic_stack: false
    .vgpr_count:     0
    .vgpr_spill_count: 0
    .wavefront_size: 32
    .workgroup_processor_mode: 1
  - .args:
      - .offset:         0
        .size:           88
        .value_kind:     by_value
    .group_segment_fixed_size: 0
    .kernarg_segment_align: 8
    .kernarg_segment_size: 88
    .language:       OpenCL C
    .language_version:
      - 2
      - 0
    .max_flat_workgroup_size: 256
    .name:           _ZN7rocprim17ROCPRIM_400000_NS6detail17trampoline_kernelINS0_14default_configENS1_36segmented_radix_sort_config_selectorI6__halflEEZNS1_25segmented_radix_sort_implIS3_Lb1EPKS5_PS5_PKlPlN2at6native12_GLOBAL__N_18offset_tEEE10hipError_tPvRmT1_PNSt15iterator_traitsISL_E10value_typeET2_T3_PNSM_ISR_E10value_typeET4_jRbjT5_SX_jjP12ihipStream_tbEUlT_E0_NS1_11comp_targetILNS1_3genE10ELNS1_11target_archE1201ELNS1_3gpuE5ELNS1_3repE0EEENS1_60segmented_radix_sort_warp_sort_medium_config_static_selectorELNS0_4arch9wavefront6targetE0EEEvSL_
    .private_segment_fixed_size: 0
    .sgpr_count:     0
    .sgpr_spill_count: 0
    .symbol:         _ZN7rocprim17ROCPRIM_400000_NS6detail17trampoline_kernelINS0_14default_configENS1_36segmented_radix_sort_config_selectorI6__halflEEZNS1_25segmented_radix_sort_implIS3_Lb1EPKS5_PS5_PKlPlN2at6native12_GLOBAL__N_18offset_tEEE10hipError_tPvRmT1_PNSt15iterator_traitsISL_E10value_typeET2_T3_PNSM_ISR_E10value_typeET4_jRbjT5_SX_jjP12ihipStream_tbEUlT_E0_NS1_11comp_targetILNS1_3genE10ELNS1_11target_archE1201ELNS1_3gpuE5ELNS1_3repE0EEENS1_60segmented_radix_sort_warp_sort_medium_config_static_selectorELNS0_4arch9wavefront6targetE0EEEvSL_.kd
    .uniform_work_group_size: 1
    .uses_dynamic_stack: false
    .vgpr_count:     0
    .vgpr_spill_count: 0
    .wavefront_size: 32
    .workgroup_processor_mode: 1
  - .args:
      - .offset:         0
        .size:           88
        .value_kind:     by_value
    .group_segment_fixed_size: 0
    .kernarg_segment_align: 8
    .kernarg_segment_size: 88
    .language:       OpenCL C
    .language_version:
      - 2
      - 0
    .max_flat_workgroup_size: 256
    .name:           _ZN7rocprim17ROCPRIM_400000_NS6detail17trampoline_kernelINS0_14default_configENS1_36segmented_radix_sort_config_selectorI6__halflEEZNS1_25segmented_radix_sort_implIS3_Lb1EPKS5_PS5_PKlPlN2at6native12_GLOBAL__N_18offset_tEEE10hipError_tPvRmT1_PNSt15iterator_traitsISL_E10value_typeET2_T3_PNSM_ISR_E10value_typeET4_jRbjT5_SX_jjP12ihipStream_tbEUlT_E0_NS1_11comp_targetILNS1_3genE10ELNS1_11target_archE1200ELNS1_3gpuE4ELNS1_3repE0EEENS1_60segmented_radix_sort_warp_sort_medium_config_static_selectorELNS0_4arch9wavefront6targetE0EEEvSL_
    .private_segment_fixed_size: 0
    .sgpr_count:     0
    .sgpr_spill_count: 0
    .symbol:         _ZN7rocprim17ROCPRIM_400000_NS6detail17trampoline_kernelINS0_14default_configENS1_36segmented_radix_sort_config_selectorI6__halflEEZNS1_25segmented_radix_sort_implIS3_Lb1EPKS5_PS5_PKlPlN2at6native12_GLOBAL__N_18offset_tEEE10hipError_tPvRmT1_PNSt15iterator_traitsISL_E10value_typeET2_T3_PNSM_ISR_E10value_typeET4_jRbjT5_SX_jjP12ihipStream_tbEUlT_E0_NS1_11comp_targetILNS1_3genE10ELNS1_11target_archE1200ELNS1_3gpuE4ELNS1_3repE0EEENS1_60segmented_radix_sort_warp_sort_medium_config_static_selectorELNS0_4arch9wavefront6targetE0EEEvSL_.kd
    .uniform_work_group_size: 1
    .uses_dynamic_stack: false
    .vgpr_count:     0
    .vgpr_spill_count: 0
    .wavefront_size: 32
    .workgroup_processor_mode: 1
  - .args:
      - .offset:         0
        .size:           88
        .value_kind:     by_value
    .group_segment_fixed_size: 0
    .kernarg_segment_align: 8
    .kernarg_segment_size: 88
    .language:       OpenCL C
    .language_version:
      - 2
      - 0
    .max_flat_workgroup_size: 256
    .name:           _ZN7rocprim17ROCPRIM_400000_NS6detail17trampoline_kernelINS0_14default_configENS1_36segmented_radix_sort_config_selectorI6__halflEEZNS1_25segmented_radix_sort_implIS3_Lb1EPKS5_PS5_PKlPlN2at6native12_GLOBAL__N_18offset_tEEE10hipError_tPvRmT1_PNSt15iterator_traitsISL_E10value_typeET2_T3_PNSM_ISR_E10value_typeET4_jRbjT5_SX_jjP12ihipStream_tbEUlT_E0_NS1_11comp_targetILNS1_3genE9ELNS1_11target_archE1100ELNS1_3gpuE3ELNS1_3repE0EEENS1_60segmented_radix_sort_warp_sort_medium_config_static_selectorELNS0_4arch9wavefront6targetE0EEEvSL_
    .private_segment_fixed_size: 0
    .sgpr_count:     0
    .sgpr_spill_count: 0
    .symbol:         _ZN7rocprim17ROCPRIM_400000_NS6detail17trampoline_kernelINS0_14default_configENS1_36segmented_radix_sort_config_selectorI6__halflEEZNS1_25segmented_radix_sort_implIS3_Lb1EPKS5_PS5_PKlPlN2at6native12_GLOBAL__N_18offset_tEEE10hipError_tPvRmT1_PNSt15iterator_traitsISL_E10value_typeET2_T3_PNSM_ISR_E10value_typeET4_jRbjT5_SX_jjP12ihipStream_tbEUlT_E0_NS1_11comp_targetILNS1_3genE9ELNS1_11target_archE1100ELNS1_3gpuE3ELNS1_3repE0EEENS1_60segmented_radix_sort_warp_sort_medium_config_static_selectorELNS0_4arch9wavefront6targetE0EEEvSL_.kd
    .uniform_work_group_size: 1
    .uses_dynamic_stack: false
    .vgpr_count:     0
    .vgpr_spill_count: 0
    .wavefront_size: 32
    .workgroup_processor_mode: 1
  - .args:
      - .offset:         0
        .size:           88
        .value_kind:     by_value
      - .offset:         88
        .size:           4
        .value_kind:     hidden_block_count_x
      - .offset:         92
        .size:           4
        .value_kind:     hidden_block_count_y
      - .offset:         96
        .size:           4
        .value_kind:     hidden_block_count_z
      - .offset:         100
        .size:           2
        .value_kind:     hidden_group_size_x
      - .offset:         102
        .size:           2
        .value_kind:     hidden_group_size_y
      - .offset:         104
        .size:           2
        .value_kind:     hidden_group_size_z
      - .offset:         106
        .size:           2
        .value_kind:     hidden_remainder_x
      - .offset:         108
        .size:           2
        .value_kind:     hidden_remainder_y
      - .offset:         110
        .size:           2
        .value_kind:     hidden_remainder_z
      - .offset:         128
        .size:           8
        .value_kind:     hidden_global_offset_x
      - .offset:         136
        .size:           8
        .value_kind:     hidden_global_offset_y
      - .offset:         144
        .size:           8
        .value_kind:     hidden_global_offset_z
      - .offset:         152
        .size:           2
        .value_kind:     hidden_grid_dims
    .group_segment_fixed_size: 20480
    .kernarg_segment_align: 8
    .kernarg_segment_size: 344
    .language:       OpenCL C
    .language_version:
      - 2
      - 0
    .max_flat_workgroup_size: 256
    .name:           _ZN7rocprim17ROCPRIM_400000_NS6detail17trampoline_kernelINS0_14default_configENS1_36segmented_radix_sort_config_selectorI6__halflEEZNS1_25segmented_radix_sort_implIS3_Lb1EPKS5_PS5_PKlPlN2at6native12_GLOBAL__N_18offset_tEEE10hipError_tPvRmT1_PNSt15iterator_traitsISL_E10value_typeET2_T3_PNSM_ISR_E10value_typeET4_jRbjT5_SX_jjP12ihipStream_tbEUlT_E0_NS1_11comp_targetILNS1_3genE8ELNS1_11target_archE1030ELNS1_3gpuE2ELNS1_3repE0EEENS1_60segmented_radix_sort_warp_sort_medium_config_static_selectorELNS0_4arch9wavefront6targetE0EEEvSL_
    .private_segment_fixed_size: 0
    .sgpr_count:     46
    .sgpr_spill_count: 0
    .symbol:         _ZN7rocprim17ROCPRIM_400000_NS6detail17trampoline_kernelINS0_14default_configENS1_36segmented_radix_sort_config_selectorI6__halflEEZNS1_25segmented_radix_sort_implIS3_Lb1EPKS5_PS5_PKlPlN2at6native12_GLOBAL__N_18offset_tEEE10hipError_tPvRmT1_PNSt15iterator_traitsISL_E10value_typeET2_T3_PNSM_ISR_E10value_typeET4_jRbjT5_SX_jjP12ihipStream_tbEUlT_E0_NS1_11comp_targetILNS1_3genE8ELNS1_11target_archE1030ELNS1_3gpuE2ELNS1_3repE0EEENS1_60segmented_radix_sort_warp_sort_medium_config_static_selectorELNS0_4arch9wavefront6targetE0EEEvSL_.kd
    .uniform_work_group_size: 1
    .uses_dynamic_stack: false
    .vgpr_count:     70
    .vgpr_spill_count: 0
    .wavefront_size: 32
    .workgroup_processor_mode: 1
  - .args:
      - .offset:         0
        .size:           88
        .value_kind:     by_value
    .group_segment_fixed_size: 0
    .kernarg_segment_align: 8
    .kernarg_segment_size: 88
    .language:       OpenCL C
    .language_version:
      - 2
      - 0
    .max_flat_workgroup_size: 256
    .name:           _ZN7rocprim17ROCPRIM_400000_NS6detail17trampoline_kernelINS0_14default_configENS1_36segmented_radix_sort_config_selectorI6__halflEEZNS1_25segmented_radix_sort_implIS3_Lb1EPKS5_PS5_PKlPlN2at6native12_GLOBAL__N_18offset_tEEE10hipError_tPvRmT1_PNSt15iterator_traitsISL_E10value_typeET2_T3_PNSM_ISR_E10value_typeET4_jRbjT5_SX_jjP12ihipStream_tbEUlT_E1_NS1_11comp_targetILNS1_3genE0ELNS1_11target_archE4294967295ELNS1_3gpuE0ELNS1_3repE0EEENS1_59segmented_radix_sort_warp_sort_small_config_static_selectorELNS0_4arch9wavefront6targetE0EEEvSL_
    .private_segment_fixed_size: 0
    .sgpr_count:     0
    .sgpr_spill_count: 0
    .symbol:         _ZN7rocprim17ROCPRIM_400000_NS6detail17trampoline_kernelINS0_14default_configENS1_36segmented_radix_sort_config_selectorI6__halflEEZNS1_25segmented_radix_sort_implIS3_Lb1EPKS5_PS5_PKlPlN2at6native12_GLOBAL__N_18offset_tEEE10hipError_tPvRmT1_PNSt15iterator_traitsISL_E10value_typeET2_T3_PNSM_ISR_E10value_typeET4_jRbjT5_SX_jjP12ihipStream_tbEUlT_E1_NS1_11comp_targetILNS1_3genE0ELNS1_11target_archE4294967295ELNS1_3gpuE0ELNS1_3repE0EEENS1_59segmented_radix_sort_warp_sort_small_config_static_selectorELNS0_4arch9wavefront6targetE0EEEvSL_.kd
    .uniform_work_group_size: 1
    .uses_dynamic_stack: false
    .vgpr_count:     0
    .vgpr_spill_count: 0
    .wavefront_size: 32
    .workgroup_processor_mode: 1
  - .args:
      - .offset:         0
        .size:           88
        .value_kind:     by_value
    .group_segment_fixed_size: 0
    .kernarg_segment_align: 8
    .kernarg_segment_size: 88
    .language:       OpenCL C
    .language_version:
      - 2
      - 0
    .max_flat_workgroup_size: 256
    .name:           _ZN7rocprim17ROCPRIM_400000_NS6detail17trampoline_kernelINS0_14default_configENS1_36segmented_radix_sort_config_selectorI6__halflEEZNS1_25segmented_radix_sort_implIS3_Lb1EPKS5_PS5_PKlPlN2at6native12_GLOBAL__N_18offset_tEEE10hipError_tPvRmT1_PNSt15iterator_traitsISL_E10value_typeET2_T3_PNSM_ISR_E10value_typeET4_jRbjT5_SX_jjP12ihipStream_tbEUlT_E1_NS1_11comp_targetILNS1_3genE5ELNS1_11target_archE942ELNS1_3gpuE9ELNS1_3repE0EEENS1_59segmented_radix_sort_warp_sort_small_config_static_selectorELNS0_4arch9wavefront6targetE0EEEvSL_
    .private_segment_fixed_size: 0
    .sgpr_count:     0
    .sgpr_spill_count: 0
    .symbol:         _ZN7rocprim17ROCPRIM_400000_NS6detail17trampoline_kernelINS0_14default_configENS1_36segmented_radix_sort_config_selectorI6__halflEEZNS1_25segmented_radix_sort_implIS3_Lb1EPKS5_PS5_PKlPlN2at6native12_GLOBAL__N_18offset_tEEE10hipError_tPvRmT1_PNSt15iterator_traitsISL_E10value_typeET2_T3_PNSM_ISR_E10value_typeET4_jRbjT5_SX_jjP12ihipStream_tbEUlT_E1_NS1_11comp_targetILNS1_3genE5ELNS1_11target_archE942ELNS1_3gpuE9ELNS1_3repE0EEENS1_59segmented_radix_sort_warp_sort_small_config_static_selectorELNS0_4arch9wavefront6targetE0EEEvSL_.kd
    .uniform_work_group_size: 1
    .uses_dynamic_stack: false
    .vgpr_count:     0
    .vgpr_spill_count: 0
    .wavefront_size: 32
    .workgroup_processor_mode: 1
  - .args:
      - .offset:         0
        .size:           88
        .value_kind:     by_value
    .group_segment_fixed_size: 0
    .kernarg_segment_align: 8
    .kernarg_segment_size: 88
    .language:       OpenCL C
    .language_version:
      - 2
      - 0
    .max_flat_workgroup_size: 256
    .name:           _ZN7rocprim17ROCPRIM_400000_NS6detail17trampoline_kernelINS0_14default_configENS1_36segmented_radix_sort_config_selectorI6__halflEEZNS1_25segmented_radix_sort_implIS3_Lb1EPKS5_PS5_PKlPlN2at6native12_GLOBAL__N_18offset_tEEE10hipError_tPvRmT1_PNSt15iterator_traitsISL_E10value_typeET2_T3_PNSM_ISR_E10value_typeET4_jRbjT5_SX_jjP12ihipStream_tbEUlT_E1_NS1_11comp_targetILNS1_3genE4ELNS1_11target_archE910ELNS1_3gpuE8ELNS1_3repE0EEENS1_59segmented_radix_sort_warp_sort_small_config_static_selectorELNS0_4arch9wavefront6targetE0EEEvSL_
    .private_segment_fixed_size: 0
    .sgpr_count:     0
    .sgpr_spill_count: 0
    .symbol:         _ZN7rocprim17ROCPRIM_400000_NS6detail17trampoline_kernelINS0_14default_configENS1_36segmented_radix_sort_config_selectorI6__halflEEZNS1_25segmented_radix_sort_implIS3_Lb1EPKS5_PS5_PKlPlN2at6native12_GLOBAL__N_18offset_tEEE10hipError_tPvRmT1_PNSt15iterator_traitsISL_E10value_typeET2_T3_PNSM_ISR_E10value_typeET4_jRbjT5_SX_jjP12ihipStream_tbEUlT_E1_NS1_11comp_targetILNS1_3genE4ELNS1_11target_archE910ELNS1_3gpuE8ELNS1_3repE0EEENS1_59segmented_radix_sort_warp_sort_small_config_static_selectorELNS0_4arch9wavefront6targetE0EEEvSL_.kd
    .uniform_work_group_size: 1
    .uses_dynamic_stack: false
    .vgpr_count:     0
    .vgpr_spill_count: 0
    .wavefront_size: 32
    .workgroup_processor_mode: 1
  - .args:
      - .offset:         0
        .size:           88
        .value_kind:     by_value
    .group_segment_fixed_size: 0
    .kernarg_segment_align: 8
    .kernarg_segment_size: 88
    .language:       OpenCL C
    .language_version:
      - 2
      - 0
    .max_flat_workgroup_size: 256
    .name:           _ZN7rocprim17ROCPRIM_400000_NS6detail17trampoline_kernelINS0_14default_configENS1_36segmented_radix_sort_config_selectorI6__halflEEZNS1_25segmented_radix_sort_implIS3_Lb1EPKS5_PS5_PKlPlN2at6native12_GLOBAL__N_18offset_tEEE10hipError_tPvRmT1_PNSt15iterator_traitsISL_E10value_typeET2_T3_PNSM_ISR_E10value_typeET4_jRbjT5_SX_jjP12ihipStream_tbEUlT_E1_NS1_11comp_targetILNS1_3genE3ELNS1_11target_archE908ELNS1_3gpuE7ELNS1_3repE0EEENS1_59segmented_radix_sort_warp_sort_small_config_static_selectorELNS0_4arch9wavefront6targetE0EEEvSL_
    .private_segment_fixed_size: 0
    .sgpr_count:     0
    .sgpr_spill_count: 0
    .symbol:         _ZN7rocprim17ROCPRIM_400000_NS6detail17trampoline_kernelINS0_14default_configENS1_36segmented_radix_sort_config_selectorI6__halflEEZNS1_25segmented_radix_sort_implIS3_Lb1EPKS5_PS5_PKlPlN2at6native12_GLOBAL__N_18offset_tEEE10hipError_tPvRmT1_PNSt15iterator_traitsISL_E10value_typeET2_T3_PNSM_ISR_E10value_typeET4_jRbjT5_SX_jjP12ihipStream_tbEUlT_E1_NS1_11comp_targetILNS1_3genE3ELNS1_11target_archE908ELNS1_3gpuE7ELNS1_3repE0EEENS1_59segmented_radix_sort_warp_sort_small_config_static_selectorELNS0_4arch9wavefront6targetE0EEEvSL_.kd
    .uniform_work_group_size: 1
    .uses_dynamic_stack: false
    .vgpr_count:     0
    .vgpr_spill_count: 0
    .wavefront_size: 32
    .workgroup_processor_mode: 1
  - .args:
      - .offset:         0
        .size:           88
        .value_kind:     by_value
    .group_segment_fixed_size: 0
    .kernarg_segment_align: 8
    .kernarg_segment_size: 88
    .language:       OpenCL C
    .language_version:
      - 2
      - 0
    .max_flat_workgroup_size: 256
    .name:           _ZN7rocprim17ROCPRIM_400000_NS6detail17trampoline_kernelINS0_14default_configENS1_36segmented_radix_sort_config_selectorI6__halflEEZNS1_25segmented_radix_sort_implIS3_Lb1EPKS5_PS5_PKlPlN2at6native12_GLOBAL__N_18offset_tEEE10hipError_tPvRmT1_PNSt15iterator_traitsISL_E10value_typeET2_T3_PNSM_ISR_E10value_typeET4_jRbjT5_SX_jjP12ihipStream_tbEUlT_E1_NS1_11comp_targetILNS1_3genE2ELNS1_11target_archE906ELNS1_3gpuE6ELNS1_3repE0EEENS1_59segmented_radix_sort_warp_sort_small_config_static_selectorELNS0_4arch9wavefront6targetE0EEEvSL_
    .private_segment_fixed_size: 0
    .sgpr_count:     0
    .sgpr_spill_count: 0
    .symbol:         _ZN7rocprim17ROCPRIM_400000_NS6detail17trampoline_kernelINS0_14default_configENS1_36segmented_radix_sort_config_selectorI6__halflEEZNS1_25segmented_radix_sort_implIS3_Lb1EPKS5_PS5_PKlPlN2at6native12_GLOBAL__N_18offset_tEEE10hipError_tPvRmT1_PNSt15iterator_traitsISL_E10value_typeET2_T3_PNSM_ISR_E10value_typeET4_jRbjT5_SX_jjP12ihipStream_tbEUlT_E1_NS1_11comp_targetILNS1_3genE2ELNS1_11target_archE906ELNS1_3gpuE6ELNS1_3repE0EEENS1_59segmented_radix_sort_warp_sort_small_config_static_selectorELNS0_4arch9wavefront6targetE0EEEvSL_.kd
    .uniform_work_group_size: 1
    .uses_dynamic_stack: false
    .vgpr_count:     0
    .vgpr_spill_count: 0
    .wavefront_size: 32
    .workgroup_processor_mode: 1
  - .args:
      - .offset:         0
        .size:           88
        .value_kind:     by_value
    .group_segment_fixed_size: 0
    .kernarg_segment_align: 8
    .kernarg_segment_size: 88
    .language:       OpenCL C
    .language_version:
      - 2
      - 0
    .max_flat_workgroup_size: 256
    .name:           _ZN7rocprim17ROCPRIM_400000_NS6detail17trampoline_kernelINS0_14default_configENS1_36segmented_radix_sort_config_selectorI6__halflEEZNS1_25segmented_radix_sort_implIS3_Lb1EPKS5_PS5_PKlPlN2at6native12_GLOBAL__N_18offset_tEEE10hipError_tPvRmT1_PNSt15iterator_traitsISL_E10value_typeET2_T3_PNSM_ISR_E10value_typeET4_jRbjT5_SX_jjP12ihipStream_tbEUlT_E1_NS1_11comp_targetILNS1_3genE10ELNS1_11target_archE1201ELNS1_3gpuE5ELNS1_3repE0EEENS1_59segmented_radix_sort_warp_sort_small_config_static_selectorELNS0_4arch9wavefront6targetE0EEEvSL_
    .private_segment_fixed_size: 0
    .sgpr_count:     0
    .sgpr_spill_count: 0
    .symbol:         _ZN7rocprim17ROCPRIM_400000_NS6detail17trampoline_kernelINS0_14default_configENS1_36segmented_radix_sort_config_selectorI6__halflEEZNS1_25segmented_radix_sort_implIS3_Lb1EPKS5_PS5_PKlPlN2at6native12_GLOBAL__N_18offset_tEEE10hipError_tPvRmT1_PNSt15iterator_traitsISL_E10value_typeET2_T3_PNSM_ISR_E10value_typeET4_jRbjT5_SX_jjP12ihipStream_tbEUlT_E1_NS1_11comp_targetILNS1_3genE10ELNS1_11target_archE1201ELNS1_3gpuE5ELNS1_3repE0EEENS1_59segmented_radix_sort_warp_sort_small_config_static_selectorELNS0_4arch9wavefront6targetE0EEEvSL_.kd
    .uniform_work_group_size: 1
    .uses_dynamic_stack: false
    .vgpr_count:     0
    .vgpr_spill_count: 0
    .wavefront_size: 32
    .workgroup_processor_mode: 1
  - .args:
      - .offset:         0
        .size:           88
        .value_kind:     by_value
    .group_segment_fixed_size: 0
    .kernarg_segment_align: 8
    .kernarg_segment_size: 88
    .language:       OpenCL C
    .language_version:
      - 2
      - 0
    .max_flat_workgroup_size: 256
    .name:           _ZN7rocprim17ROCPRIM_400000_NS6detail17trampoline_kernelINS0_14default_configENS1_36segmented_radix_sort_config_selectorI6__halflEEZNS1_25segmented_radix_sort_implIS3_Lb1EPKS5_PS5_PKlPlN2at6native12_GLOBAL__N_18offset_tEEE10hipError_tPvRmT1_PNSt15iterator_traitsISL_E10value_typeET2_T3_PNSM_ISR_E10value_typeET4_jRbjT5_SX_jjP12ihipStream_tbEUlT_E1_NS1_11comp_targetILNS1_3genE10ELNS1_11target_archE1200ELNS1_3gpuE4ELNS1_3repE0EEENS1_59segmented_radix_sort_warp_sort_small_config_static_selectorELNS0_4arch9wavefront6targetE0EEEvSL_
    .private_segment_fixed_size: 0
    .sgpr_count:     0
    .sgpr_spill_count: 0
    .symbol:         _ZN7rocprim17ROCPRIM_400000_NS6detail17trampoline_kernelINS0_14default_configENS1_36segmented_radix_sort_config_selectorI6__halflEEZNS1_25segmented_radix_sort_implIS3_Lb1EPKS5_PS5_PKlPlN2at6native12_GLOBAL__N_18offset_tEEE10hipError_tPvRmT1_PNSt15iterator_traitsISL_E10value_typeET2_T3_PNSM_ISR_E10value_typeET4_jRbjT5_SX_jjP12ihipStream_tbEUlT_E1_NS1_11comp_targetILNS1_3genE10ELNS1_11target_archE1200ELNS1_3gpuE4ELNS1_3repE0EEENS1_59segmented_radix_sort_warp_sort_small_config_static_selectorELNS0_4arch9wavefront6targetE0EEEvSL_.kd
    .uniform_work_group_size: 1
    .uses_dynamic_stack: false
    .vgpr_count:     0
    .vgpr_spill_count: 0
    .wavefront_size: 32
    .workgroup_processor_mode: 1
  - .args:
      - .offset:         0
        .size:           88
        .value_kind:     by_value
    .group_segment_fixed_size: 0
    .kernarg_segment_align: 8
    .kernarg_segment_size: 88
    .language:       OpenCL C
    .language_version:
      - 2
      - 0
    .max_flat_workgroup_size: 256
    .name:           _ZN7rocprim17ROCPRIM_400000_NS6detail17trampoline_kernelINS0_14default_configENS1_36segmented_radix_sort_config_selectorI6__halflEEZNS1_25segmented_radix_sort_implIS3_Lb1EPKS5_PS5_PKlPlN2at6native12_GLOBAL__N_18offset_tEEE10hipError_tPvRmT1_PNSt15iterator_traitsISL_E10value_typeET2_T3_PNSM_ISR_E10value_typeET4_jRbjT5_SX_jjP12ihipStream_tbEUlT_E1_NS1_11comp_targetILNS1_3genE9ELNS1_11target_archE1100ELNS1_3gpuE3ELNS1_3repE0EEENS1_59segmented_radix_sort_warp_sort_small_config_static_selectorELNS0_4arch9wavefront6targetE0EEEvSL_
    .private_segment_fixed_size: 0
    .sgpr_count:     0
    .sgpr_spill_count: 0
    .symbol:         _ZN7rocprim17ROCPRIM_400000_NS6detail17trampoline_kernelINS0_14default_configENS1_36segmented_radix_sort_config_selectorI6__halflEEZNS1_25segmented_radix_sort_implIS3_Lb1EPKS5_PS5_PKlPlN2at6native12_GLOBAL__N_18offset_tEEE10hipError_tPvRmT1_PNSt15iterator_traitsISL_E10value_typeET2_T3_PNSM_ISR_E10value_typeET4_jRbjT5_SX_jjP12ihipStream_tbEUlT_E1_NS1_11comp_targetILNS1_3genE9ELNS1_11target_archE1100ELNS1_3gpuE3ELNS1_3repE0EEENS1_59segmented_radix_sort_warp_sort_small_config_static_selectorELNS0_4arch9wavefront6targetE0EEEvSL_.kd
    .uniform_work_group_size: 1
    .uses_dynamic_stack: false
    .vgpr_count:     0
    .vgpr_spill_count: 0
    .wavefront_size: 32
    .workgroup_processor_mode: 1
  - .args:
      - .offset:         0
        .size:           88
        .value_kind:     by_value
      - .offset:         88
        .size:           4
        .value_kind:     hidden_block_count_x
      - .offset:         92
        .size:           4
        .value_kind:     hidden_block_count_y
      - .offset:         96
        .size:           4
        .value_kind:     hidden_block_count_z
      - .offset:         100
        .size:           2
        .value_kind:     hidden_group_size_x
      - .offset:         102
        .size:           2
        .value_kind:     hidden_group_size_y
      - .offset:         104
        .size:           2
        .value_kind:     hidden_group_size_z
      - .offset:         106
        .size:           2
        .value_kind:     hidden_remainder_x
      - .offset:         108
        .size:           2
        .value_kind:     hidden_remainder_y
      - .offset:         110
        .size:           2
        .value_kind:     hidden_remainder_z
      - .offset:         128
        .size:           8
        .value_kind:     hidden_global_offset_x
      - .offset:         136
        .size:           8
        .value_kind:     hidden_global_offset_y
      - .offset:         144
        .size:           8
        .value_kind:     hidden_global_offset_z
      - .offset:         152
        .size:           2
        .value_kind:     hidden_grid_dims
    .group_segment_fixed_size: 10240
    .kernarg_segment_align: 8
    .kernarg_segment_size: 344
    .language:       OpenCL C
    .language_version:
      - 2
      - 0
    .max_flat_workgroup_size: 256
    .name:           _ZN7rocprim17ROCPRIM_400000_NS6detail17trampoline_kernelINS0_14default_configENS1_36segmented_radix_sort_config_selectorI6__halflEEZNS1_25segmented_radix_sort_implIS3_Lb1EPKS5_PS5_PKlPlN2at6native12_GLOBAL__N_18offset_tEEE10hipError_tPvRmT1_PNSt15iterator_traitsISL_E10value_typeET2_T3_PNSM_ISR_E10value_typeET4_jRbjT5_SX_jjP12ihipStream_tbEUlT_E1_NS1_11comp_targetILNS1_3genE8ELNS1_11target_archE1030ELNS1_3gpuE2ELNS1_3repE0EEENS1_59segmented_radix_sort_warp_sort_small_config_static_selectorELNS0_4arch9wavefront6targetE0EEEvSL_
    .private_segment_fixed_size: 0
    .sgpr_count:     35
    .sgpr_spill_count: 0
    .symbol:         _ZN7rocprim17ROCPRIM_400000_NS6detail17trampoline_kernelINS0_14default_configENS1_36segmented_radix_sort_config_selectorI6__halflEEZNS1_25segmented_radix_sort_implIS3_Lb1EPKS5_PS5_PKlPlN2at6native12_GLOBAL__N_18offset_tEEE10hipError_tPvRmT1_PNSt15iterator_traitsISL_E10value_typeET2_T3_PNSM_ISR_E10value_typeET4_jRbjT5_SX_jjP12ihipStream_tbEUlT_E1_NS1_11comp_targetILNS1_3genE8ELNS1_11target_archE1030ELNS1_3gpuE2ELNS1_3repE0EEENS1_59segmented_radix_sort_warp_sort_small_config_static_selectorELNS0_4arch9wavefront6targetE0EEEvSL_.kd
    .uniform_work_group_size: 1
    .uses_dynamic_stack: false
    .vgpr_count:     66
    .vgpr_spill_count: 0
    .wavefront_size: 32
    .workgroup_processor_mode: 1
  - .args:
      - .offset:         0
        .size:           80
        .value_kind:     by_value
    .group_segment_fixed_size: 0
    .kernarg_segment_align: 8
    .kernarg_segment_size: 80
    .language:       OpenCL C
    .language_version:
      - 2
      - 0
    .max_flat_workgroup_size: 256
    .name:           _ZN7rocprim17ROCPRIM_400000_NS6detail17trampoline_kernelINS0_14default_configENS1_36segmented_radix_sort_config_selectorI6__halflEEZNS1_25segmented_radix_sort_implIS3_Lb1EPKS5_PS5_PKlPlN2at6native12_GLOBAL__N_18offset_tEEE10hipError_tPvRmT1_PNSt15iterator_traitsISL_E10value_typeET2_T3_PNSM_ISR_E10value_typeET4_jRbjT5_SX_jjP12ihipStream_tbEUlT_E2_NS1_11comp_targetILNS1_3genE0ELNS1_11target_archE4294967295ELNS1_3gpuE0ELNS1_3repE0EEENS1_30default_config_static_selectorELNS0_4arch9wavefront6targetE0EEEvSL_
    .private_segment_fixed_size: 0
    .sgpr_count:     0
    .sgpr_spill_count: 0
    .symbol:         _ZN7rocprim17ROCPRIM_400000_NS6detail17trampoline_kernelINS0_14default_configENS1_36segmented_radix_sort_config_selectorI6__halflEEZNS1_25segmented_radix_sort_implIS3_Lb1EPKS5_PS5_PKlPlN2at6native12_GLOBAL__N_18offset_tEEE10hipError_tPvRmT1_PNSt15iterator_traitsISL_E10value_typeET2_T3_PNSM_ISR_E10value_typeET4_jRbjT5_SX_jjP12ihipStream_tbEUlT_E2_NS1_11comp_targetILNS1_3genE0ELNS1_11target_archE4294967295ELNS1_3gpuE0ELNS1_3repE0EEENS1_30default_config_static_selectorELNS0_4arch9wavefront6targetE0EEEvSL_.kd
    .uniform_work_group_size: 1
    .uses_dynamic_stack: false
    .vgpr_count:     0
    .vgpr_spill_count: 0
    .wavefront_size: 32
    .workgroup_processor_mode: 1
  - .args:
      - .offset:         0
        .size:           80
        .value_kind:     by_value
    .group_segment_fixed_size: 0
    .kernarg_segment_align: 8
    .kernarg_segment_size: 80
    .language:       OpenCL C
    .language_version:
      - 2
      - 0
    .max_flat_workgroup_size: 256
    .name:           _ZN7rocprim17ROCPRIM_400000_NS6detail17trampoline_kernelINS0_14default_configENS1_36segmented_radix_sort_config_selectorI6__halflEEZNS1_25segmented_radix_sort_implIS3_Lb1EPKS5_PS5_PKlPlN2at6native12_GLOBAL__N_18offset_tEEE10hipError_tPvRmT1_PNSt15iterator_traitsISL_E10value_typeET2_T3_PNSM_ISR_E10value_typeET4_jRbjT5_SX_jjP12ihipStream_tbEUlT_E2_NS1_11comp_targetILNS1_3genE5ELNS1_11target_archE942ELNS1_3gpuE9ELNS1_3repE0EEENS1_30default_config_static_selectorELNS0_4arch9wavefront6targetE0EEEvSL_
    .private_segment_fixed_size: 0
    .sgpr_count:     0
    .sgpr_spill_count: 0
    .symbol:         _ZN7rocprim17ROCPRIM_400000_NS6detail17trampoline_kernelINS0_14default_configENS1_36segmented_radix_sort_config_selectorI6__halflEEZNS1_25segmented_radix_sort_implIS3_Lb1EPKS5_PS5_PKlPlN2at6native12_GLOBAL__N_18offset_tEEE10hipError_tPvRmT1_PNSt15iterator_traitsISL_E10value_typeET2_T3_PNSM_ISR_E10value_typeET4_jRbjT5_SX_jjP12ihipStream_tbEUlT_E2_NS1_11comp_targetILNS1_3genE5ELNS1_11target_archE942ELNS1_3gpuE9ELNS1_3repE0EEENS1_30default_config_static_selectorELNS0_4arch9wavefront6targetE0EEEvSL_.kd
    .uniform_work_group_size: 1
    .uses_dynamic_stack: false
    .vgpr_count:     0
    .vgpr_spill_count: 0
    .wavefront_size: 32
    .workgroup_processor_mode: 1
  - .args:
      - .offset:         0
        .size:           80
        .value_kind:     by_value
    .group_segment_fixed_size: 0
    .kernarg_segment_align: 8
    .kernarg_segment_size: 80
    .language:       OpenCL C
    .language_version:
      - 2
      - 0
    .max_flat_workgroup_size: 256
    .name:           _ZN7rocprim17ROCPRIM_400000_NS6detail17trampoline_kernelINS0_14default_configENS1_36segmented_radix_sort_config_selectorI6__halflEEZNS1_25segmented_radix_sort_implIS3_Lb1EPKS5_PS5_PKlPlN2at6native12_GLOBAL__N_18offset_tEEE10hipError_tPvRmT1_PNSt15iterator_traitsISL_E10value_typeET2_T3_PNSM_ISR_E10value_typeET4_jRbjT5_SX_jjP12ihipStream_tbEUlT_E2_NS1_11comp_targetILNS1_3genE4ELNS1_11target_archE910ELNS1_3gpuE8ELNS1_3repE0EEENS1_30default_config_static_selectorELNS0_4arch9wavefront6targetE0EEEvSL_
    .private_segment_fixed_size: 0
    .sgpr_count:     0
    .sgpr_spill_count: 0
    .symbol:         _ZN7rocprim17ROCPRIM_400000_NS6detail17trampoline_kernelINS0_14default_configENS1_36segmented_radix_sort_config_selectorI6__halflEEZNS1_25segmented_radix_sort_implIS3_Lb1EPKS5_PS5_PKlPlN2at6native12_GLOBAL__N_18offset_tEEE10hipError_tPvRmT1_PNSt15iterator_traitsISL_E10value_typeET2_T3_PNSM_ISR_E10value_typeET4_jRbjT5_SX_jjP12ihipStream_tbEUlT_E2_NS1_11comp_targetILNS1_3genE4ELNS1_11target_archE910ELNS1_3gpuE8ELNS1_3repE0EEENS1_30default_config_static_selectorELNS0_4arch9wavefront6targetE0EEEvSL_.kd
    .uniform_work_group_size: 1
    .uses_dynamic_stack: false
    .vgpr_count:     0
    .vgpr_spill_count: 0
    .wavefront_size: 32
    .workgroup_processor_mode: 1
  - .args:
      - .offset:         0
        .size:           80
        .value_kind:     by_value
    .group_segment_fixed_size: 0
    .kernarg_segment_align: 8
    .kernarg_segment_size: 80
    .language:       OpenCL C
    .language_version:
      - 2
      - 0
    .max_flat_workgroup_size: 256
    .name:           _ZN7rocprim17ROCPRIM_400000_NS6detail17trampoline_kernelINS0_14default_configENS1_36segmented_radix_sort_config_selectorI6__halflEEZNS1_25segmented_radix_sort_implIS3_Lb1EPKS5_PS5_PKlPlN2at6native12_GLOBAL__N_18offset_tEEE10hipError_tPvRmT1_PNSt15iterator_traitsISL_E10value_typeET2_T3_PNSM_ISR_E10value_typeET4_jRbjT5_SX_jjP12ihipStream_tbEUlT_E2_NS1_11comp_targetILNS1_3genE3ELNS1_11target_archE908ELNS1_3gpuE7ELNS1_3repE0EEENS1_30default_config_static_selectorELNS0_4arch9wavefront6targetE0EEEvSL_
    .private_segment_fixed_size: 0
    .sgpr_count:     0
    .sgpr_spill_count: 0
    .symbol:         _ZN7rocprim17ROCPRIM_400000_NS6detail17trampoline_kernelINS0_14default_configENS1_36segmented_radix_sort_config_selectorI6__halflEEZNS1_25segmented_radix_sort_implIS3_Lb1EPKS5_PS5_PKlPlN2at6native12_GLOBAL__N_18offset_tEEE10hipError_tPvRmT1_PNSt15iterator_traitsISL_E10value_typeET2_T3_PNSM_ISR_E10value_typeET4_jRbjT5_SX_jjP12ihipStream_tbEUlT_E2_NS1_11comp_targetILNS1_3genE3ELNS1_11target_archE908ELNS1_3gpuE7ELNS1_3repE0EEENS1_30default_config_static_selectorELNS0_4arch9wavefront6targetE0EEEvSL_.kd
    .uniform_work_group_size: 1
    .uses_dynamic_stack: false
    .vgpr_count:     0
    .vgpr_spill_count: 0
    .wavefront_size: 32
    .workgroup_processor_mode: 1
  - .args:
      - .offset:         0
        .size:           80
        .value_kind:     by_value
    .group_segment_fixed_size: 0
    .kernarg_segment_align: 8
    .kernarg_segment_size: 80
    .language:       OpenCL C
    .language_version:
      - 2
      - 0
    .max_flat_workgroup_size: 256
    .name:           _ZN7rocprim17ROCPRIM_400000_NS6detail17trampoline_kernelINS0_14default_configENS1_36segmented_radix_sort_config_selectorI6__halflEEZNS1_25segmented_radix_sort_implIS3_Lb1EPKS5_PS5_PKlPlN2at6native12_GLOBAL__N_18offset_tEEE10hipError_tPvRmT1_PNSt15iterator_traitsISL_E10value_typeET2_T3_PNSM_ISR_E10value_typeET4_jRbjT5_SX_jjP12ihipStream_tbEUlT_E2_NS1_11comp_targetILNS1_3genE2ELNS1_11target_archE906ELNS1_3gpuE6ELNS1_3repE0EEENS1_30default_config_static_selectorELNS0_4arch9wavefront6targetE0EEEvSL_
    .private_segment_fixed_size: 0
    .sgpr_count:     0
    .sgpr_spill_count: 0
    .symbol:         _ZN7rocprim17ROCPRIM_400000_NS6detail17trampoline_kernelINS0_14default_configENS1_36segmented_radix_sort_config_selectorI6__halflEEZNS1_25segmented_radix_sort_implIS3_Lb1EPKS5_PS5_PKlPlN2at6native12_GLOBAL__N_18offset_tEEE10hipError_tPvRmT1_PNSt15iterator_traitsISL_E10value_typeET2_T3_PNSM_ISR_E10value_typeET4_jRbjT5_SX_jjP12ihipStream_tbEUlT_E2_NS1_11comp_targetILNS1_3genE2ELNS1_11target_archE906ELNS1_3gpuE6ELNS1_3repE0EEENS1_30default_config_static_selectorELNS0_4arch9wavefront6targetE0EEEvSL_.kd
    .uniform_work_group_size: 1
    .uses_dynamic_stack: false
    .vgpr_count:     0
    .vgpr_spill_count: 0
    .wavefront_size: 32
    .workgroup_processor_mode: 1
  - .args:
      - .offset:         0
        .size:           80
        .value_kind:     by_value
    .group_segment_fixed_size: 0
    .kernarg_segment_align: 8
    .kernarg_segment_size: 80
    .language:       OpenCL C
    .language_version:
      - 2
      - 0
    .max_flat_workgroup_size: 256
    .name:           _ZN7rocprim17ROCPRIM_400000_NS6detail17trampoline_kernelINS0_14default_configENS1_36segmented_radix_sort_config_selectorI6__halflEEZNS1_25segmented_radix_sort_implIS3_Lb1EPKS5_PS5_PKlPlN2at6native12_GLOBAL__N_18offset_tEEE10hipError_tPvRmT1_PNSt15iterator_traitsISL_E10value_typeET2_T3_PNSM_ISR_E10value_typeET4_jRbjT5_SX_jjP12ihipStream_tbEUlT_E2_NS1_11comp_targetILNS1_3genE10ELNS1_11target_archE1201ELNS1_3gpuE5ELNS1_3repE0EEENS1_30default_config_static_selectorELNS0_4arch9wavefront6targetE0EEEvSL_
    .private_segment_fixed_size: 0
    .sgpr_count:     0
    .sgpr_spill_count: 0
    .symbol:         _ZN7rocprim17ROCPRIM_400000_NS6detail17trampoline_kernelINS0_14default_configENS1_36segmented_radix_sort_config_selectorI6__halflEEZNS1_25segmented_radix_sort_implIS3_Lb1EPKS5_PS5_PKlPlN2at6native12_GLOBAL__N_18offset_tEEE10hipError_tPvRmT1_PNSt15iterator_traitsISL_E10value_typeET2_T3_PNSM_ISR_E10value_typeET4_jRbjT5_SX_jjP12ihipStream_tbEUlT_E2_NS1_11comp_targetILNS1_3genE10ELNS1_11target_archE1201ELNS1_3gpuE5ELNS1_3repE0EEENS1_30default_config_static_selectorELNS0_4arch9wavefront6targetE0EEEvSL_.kd
    .uniform_work_group_size: 1
    .uses_dynamic_stack: false
    .vgpr_count:     0
    .vgpr_spill_count: 0
    .wavefront_size: 32
    .workgroup_processor_mode: 1
  - .args:
      - .offset:         0
        .size:           80
        .value_kind:     by_value
    .group_segment_fixed_size: 0
    .kernarg_segment_align: 8
    .kernarg_segment_size: 80
    .language:       OpenCL C
    .language_version:
      - 2
      - 0
    .max_flat_workgroup_size: 128
    .name:           _ZN7rocprim17ROCPRIM_400000_NS6detail17trampoline_kernelINS0_14default_configENS1_36segmented_radix_sort_config_selectorI6__halflEEZNS1_25segmented_radix_sort_implIS3_Lb1EPKS5_PS5_PKlPlN2at6native12_GLOBAL__N_18offset_tEEE10hipError_tPvRmT1_PNSt15iterator_traitsISL_E10value_typeET2_T3_PNSM_ISR_E10value_typeET4_jRbjT5_SX_jjP12ihipStream_tbEUlT_E2_NS1_11comp_targetILNS1_3genE10ELNS1_11target_archE1200ELNS1_3gpuE4ELNS1_3repE0EEENS1_30default_config_static_selectorELNS0_4arch9wavefront6targetE0EEEvSL_
    .private_segment_fixed_size: 0
    .sgpr_count:     0
    .sgpr_spill_count: 0
    .symbol:         _ZN7rocprim17ROCPRIM_400000_NS6detail17trampoline_kernelINS0_14default_configENS1_36segmented_radix_sort_config_selectorI6__halflEEZNS1_25segmented_radix_sort_implIS3_Lb1EPKS5_PS5_PKlPlN2at6native12_GLOBAL__N_18offset_tEEE10hipError_tPvRmT1_PNSt15iterator_traitsISL_E10value_typeET2_T3_PNSM_ISR_E10value_typeET4_jRbjT5_SX_jjP12ihipStream_tbEUlT_E2_NS1_11comp_targetILNS1_3genE10ELNS1_11target_archE1200ELNS1_3gpuE4ELNS1_3repE0EEENS1_30default_config_static_selectorELNS0_4arch9wavefront6targetE0EEEvSL_.kd
    .uniform_work_group_size: 1
    .uses_dynamic_stack: false
    .vgpr_count:     0
    .vgpr_spill_count: 0
    .wavefront_size: 32
    .workgroup_processor_mode: 1
  - .args:
      - .offset:         0
        .size:           80
        .value_kind:     by_value
    .group_segment_fixed_size: 0
    .kernarg_segment_align: 8
    .kernarg_segment_size: 80
    .language:       OpenCL C
    .language_version:
      - 2
      - 0
    .max_flat_workgroup_size: 256
    .name:           _ZN7rocprim17ROCPRIM_400000_NS6detail17trampoline_kernelINS0_14default_configENS1_36segmented_radix_sort_config_selectorI6__halflEEZNS1_25segmented_radix_sort_implIS3_Lb1EPKS5_PS5_PKlPlN2at6native12_GLOBAL__N_18offset_tEEE10hipError_tPvRmT1_PNSt15iterator_traitsISL_E10value_typeET2_T3_PNSM_ISR_E10value_typeET4_jRbjT5_SX_jjP12ihipStream_tbEUlT_E2_NS1_11comp_targetILNS1_3genE9ELNS1_11target_archE1100ELNS1_3gpuE3ELNS1_3repE0EEENS1_30default_config_static_selectorELNS0_4arch9wavefront6targetE0EEEvSL_
    .private_segment_fixed_size: 0
    .sgpr_count:     0
    .sgpr_spill_count: 0
    .symbol:         _ZN7rocprim17ROCPRIM_400000_NS6detail17trampoline_kernelINS0_14default_configENS1_36segmented_radix_sort_config_selectorI6__halflEEZNS1_25segmented_radix_sort_implIS3_Lb1EPKS5_PS5_PKlPlN2at6native12_GLOBAL__N_18offset_tEEE10hipError_tPvRmT1_PNSt15iterator_traitsISL_E10value_typeET2_T3_PNSM_ISR_E10value_typeET4_jRbjT5_SX_jjP12ihipStream_tbEUlT_E2_NS1_11comp_targetILNS1_3genE9ELNS1_11target_archE1100ELNS1_3gpuE3ELNS1_3repE0EEENS1_30default_config_static_selectorELNS0_4arch9wavefront6targetE0EEEvSL_.kd
    .uniform_work_group_size: 1
    .uses_dynamic_stack: false
    .vgpr_count:     0
    .vgpr_spill_count: 0
    .wavefront_size: 32
    .workgroup_processor_mode: 1
  - .args:
      - .offset:         0
        .size:           80
        .value_kind:     by_value
      - .offset:         80
        .size:           4
        .value_kind:     hidden_block_count_x
      - .offset:         84
        .size:           4
        .value_kind:     hidden_block_count_y
      - .offset:         88
        .size:           4
        .value_kind:     hidden_block_count_z
      - .offset:         92
        .size:           2
        .value_kind:     hidden_group_size_x
      - .offset:         94
        .size:           2
        .value_kind:     hidden_group_size_y
      - .offset:         96
        .size:           2
        .value_kind:     hidden_group_size_z
      - .offset:         98
        .size:           2
        .value_kind:     hidden_remainder_x
      - .offset:         100
        .size:           2
        .value_kind:     hidden_remainder_y
      - .offset:         102
        .size:           2
        .value_kind:     hidden_remainder_z
      - .offset:         120
        .size:           8
        .value_kind:     hidden_global_offset_x
      - .offset:         128
        .size:           8
        .value_kind:     hidden_global_offset_y
      - .offset:         136
        .size:           8
        .value_kind:     hidden_global_offset_z
      - .offset:         144
        .size:           2
        .value_kind:     hidden_grid_dims
    .group_segment_fixed_size: 17440
    .kernarg_segment_align: 8
    .kernarg_segment_size: 336
    .language:       OpenCL C
    .language_version:
      - 2
      - 0
    .max_flat_workgroup_size: 256
    .name:           _ZN7rocprim17ROCPRIM_400000_NS6detail17trampoline_kernelINS0_14default_configENS1_36segmented_radix_sort_config_selectorI6__halflEEZNS1_25segmented_radix_sort_implIS3_Lb1EPKS5_PS5_PKlPlN2at6native12_GLOBAL__N_18offset_tEEE10hipError_tPvRmT1_PNSt15iterator_traitsISL_E10value_typeET2_T3_PNSM_ISR_E10value_typeET4_jRbjT5_SX_jjP12ihipStream_tbEUlT_E2_NS1_11comp_targetILNS1_3genE8ELNS1_11target_archE1030ELNS1_3gpuE2ELNS1_3repE0EEENS1_30default_config_static_selectorELNS0_4arch9wavefront6targetE0EEEvSL_
    .private_segment_fixed_size: 0
    .sgpr_count:     58
    .sgpr_spill_count: 0
    .symbol:         _ZN7rocprim17ROCPRIM_400000_NS6detail17trampoline_kernelINS0_14default_configENS1_36segmented_radix_sort_config_selectorI6__halflEEZNS1_25segmented_radix_sort_implIS3_Lb1EPKS5_PS5_PKlPlN2at6native12_GLOBAL__N_18offset_tEEE10hipError_tPvRmT1_PNSt15iterator_traitsISL_E10value_typeET2_T3_PNSM_ISR_E10value_typeET4_jRbjT5_SX_jjP12ihipStream_tbEUlT_E2_NS1_11comp_targetILNS1_3genE8ELNS1_11target_archE1030ELNS1_3gpuE2ELNS1_3repE0EEENS1_30default_config_static_selectorELNS0_4arch9wavefront6targetE0EEEvSL_.kd
    .uniform_work_group_size: 1
    .uses_dynamic_stack: false
    .vgpr_count:     184
    .vgpr_spill_count: 0
    .wavefront_size: 32
    .workgroup_processor_mode: 1
  - .args:
      - .offset:         0
        .size:           176
        .value_kind:     by_value
    .group_segment_fixed_size: 0
    .kernarg_segment_align: 8
    .kernarg_segment_size: 176
    .language:       OpenCL C
    .language_version:
      - 2
      - 0
    .max_flat_workgroup_size: 256
    .name:           _ZN7rocprim17ROCPRIM_400000_NS6detail17trampoline_kernelINS0_13select_configILj256ELj13ELNS0_17block_load_methodE3ELS4_3ELS4_3ELNS0_20block_scan_algorithmE0ELj4294967295EEENS1_25partition_config_selectorILNS1_17partition_subalgoE4EjNS0_10empty_typeEbEEZZNS1_14partition_implILS8_4ELb0ES6_15HIP_vector_typeIjLj2EENS0_17counting_iteratorIjlEEPS9_SG_NS0_5tupleIJPjSI_NS0_16reverse_iteratorISI_EEEEENSH_IJSG_SG_SG_EEES9_SI_JZNS1_25segmented_radix_sort_implINS0_14default_configELb0EPK6__halfPSP_PKlPlN2at6native12_GLOBAL__N_18offset_tEEE10hipError_tPvRmT1_PNSt15iterator_traitsIS13_E10value_typeET2_T3_PNS14_IS19_E10value_typeET4_jRbjT5_S1F_jjP12ihipStream_tbEUljE_ZNSN_ISO_Lb0ESR_SS_SU_SV_SZ_EES10_S11_S12_S13_S17_S18_S19_S1C_S1D_jS1E_jS1F_S1F_jjS1H_bEUljE0_EEES10_S11_S12_S19_S1D_S1F_T6_T7_T9_mT8_S1H_bDpT10_ENKUlT_T0_E_clISt17integral_constantIbLb0EES1V_EEDaS1Q_S1R_EUlS1Q_E_NS1_11comp_targetILNS1_3genE0ELNS1_11target_archE4294967295ELNS1_3gpuE0ELNS1_3repE0EEENS1_30default_config_static_selectorELNS0_4arch9wavefront6targetE0EEEvS13_
    .private_segment_fixed_size: 0
    .sgpr_count:     0
    .sgpr_spill_count: 0
    .symbol:         _ZN7rocprim17ROCPRIM_400000_NS6detail17trampoline_kernelINS0_13select_configILj256ELj13ELNS0_17block_load_methodE3ELS4_3ELS4_3ELNS0_20block_scan_algorithmE0ELj4294967295EEENS1_25partition_config_selectorILNS1_17partition_subalgoE4EjNS0_10empty_typeEbEEZZNS1_14partition_implILS8_4ELb0ES6_15HIP_vector_typeIjLj2EENS0_17counting_iteratorIjlEEPS9_SG_NS0_5tupleIJPjSI_NS0_16reverse_iteratorISI_EEEEENSH_IJSG_SG_SG_EEES9_SI_JZNS1_25segmented_radix_sort_implINS0_14default_configELb0EPK6__halfPSP_PKlPlN2at6native12_GLOBAL__N_18offset_tEEE10hipError_tPvRmT1_PNSt15iterator_traitsIS13_E10value_typeET2_T3_PNS14_IS19_E10value_typeET4_jRbjT5_S1F_jjP12ihipStream_tbEUljE_ZNSN_ISO_Lb0ESR_SS_SU_SV_SZ_EES10_S11_S12_S13_S17_S18_S19_S1C_S1D_jS1E_jS1F_S1F_jjS1H_bEUljE0_EEES10_S11_S12_S19_S1D_S1F_T6_T7_T9_mT8_S1H_bDpT10_ENKUlT_T0_E_clISt17integral_constantIbLb0EES1V_EEDaS1Q_S1R_EUlS1Q_E_NS1_11comp_targetILNS1_3genE0ELNS1_11target_archE4294967295ELNS1_3gpuE0ELNS1_3repE0EEENS1_30default_config_static_selectorELNS0_4arch9wavefront6targetE0EEEvS13_.kd
    .uniform_work_group_size: 1
    .uses_dynamic_stack: false
    .vgpr_count:     0
    .vgpr_spill_count: 0
    .wavefront_size: 32
    .workgroup_processor_mode: 1
  - .args:
      - .offset:         0
        .size:           176
        .value_kind:     by_value
    .group_segment_fixed_size: 0
    .kernarg_segment_align: 8
    .kernarg_segment_size: 176
    .language:       OpenCL C
    .language_version:
      - 2
      - 0
    .max_flat_workgroup_size: 256
    .name:           _ZN7rocprim17ROCPRIM_400000_NS6detail17trampoline_kernelINS0_13select_configILj256ELj13ELNS0_17block_load_methodE3ELS4_3ELS4_3ELNS0_20block_scan_algorithmE0ELj4294967295EEENS1_25partition_config_selectorILNS1_17partition_subalgoE4EjNS0_10empty_typeEbEEZZNS1_14partition_implILS8_4ELb0ES6_15HIP_vector_typeIjLj2EENS0_17counting_iteratorIjlEEPS9_SG_NS0_5tupleIJPjSI_NS0_16reverse_iteratorISI_EEEEENSH_IJSG_SG_SG_EEES9_SI_JZNS1_25segmented_radix_sort_implINS0_14default_configELb0EPK6__halfPSP_PKlPlN2at6native12_GLOBAL__N_18offset_tEEE10hipError_tPvRmT1_PNSt15iterator_traitsIS13_E10value_typeET2_T3_PNS14_IS19_E10value_typeET4_jRbjT5_S1F_jjP12ihipStream_tbEUljE_ZNSN_ISO_Lb0ESR_SS_SU_SV_SZ_EES10_S11_S12_S13_S17_S18_S19_S1C_S1D_jS1E_jS1F_S1F_jjS1H_bEUljE0_EEES10_S11_S12_S19_S1D_S1F_T6_T7_T9_mT8_S1H_bDpT10_ENKUlT_T0_E_clISt17integral_constantIbLb0EES1V_EEDaS1Q_S1R_EUlS1Q_E_NS1_11comp_targetILNS1_3genE5ELNS1_11target_archE942ELNS1_3gpuE9ELNS1_3repE0EEENS1_30default_config_static_selectorELNS0_4arch9wavefront6targetE0EEEvS13_
    .private_segment_fixed_size: 0
    .sgpr_count:     0
    .sgpr_spill_count: 0
    .symbol:         _ZN7rocprim17ROCPRIM_400000_NS6detail17trampoline_kernelINS0_13select_configILj256ELj13ELNS0_17block_load_methodE3ELS4_3ELS4_3ELNS0_20block_scan_algorithmE0ELj4294967295EEENS1_25partition_config_selectorILNS1_17partition_subalgoE4EjNS0_10empty_typeEbEEZZNS1_14partition_implILS8_4ELb0ES6_15HIP_vector_typeIjLj2EENS0_17counting_iteratorIjlEEPS9_SG_NS0_5tupleIJPjSI_NS0_16reverse_iteratorISI_EEEEENSH_IJSG_SG_SG_EEES9_SI_JZNS1_25segmented_radix_sort_implINS0_14default_configELb0EPK6__halfPSP_PKlPlN2at6native12_GLOBAL__N_18offset_tEEE10hipError_tPvRmT1_PNSt15iterator_traitsIS13_E10value_typeET2_T3_PNS14_IS19_E10value_typeET4_jRbjT5_S1F_jjP12ihipStream_tbEUljE_ZNSN_ISO_Lb0ESR_SS_SU_SV_SZ_EES10_S11_S12_S13_S17_S18_S19_S1C_S1D_jS1E_jS1F_S1F_jjS1H_bEUljE0_EEES10_S11_S12_S19_S1D_S1F_T6_T7_T9_mT8_S1H_bDpT10_ENKUlT_T0_E_clISt17integral_constantIbLb0EES1V_EEDaS1Q_S1R_EUlS1Q_E_NS1_11comp_targetILNS1_3genE5ELNS1_11target_archE942ELNS1_3gpuE9ELNS1_3repE0EEENS1_30default_config_static_selectorELNS0_4arch9wavefront6targetE0EEEvS13_.kd
    .uniform_work_group_size: 1
    .uses_dynamic_stack: false
    .vgpr_count:     0
    .vgpr_spill_count: 0
    .wavefront_size: 32
    .workgroup_processor_mode: 1
  - .args:
      - .offset:         0
        .size:           176
        .value_kind:     by_value
    .group_segment_fixed_size: 0
    .kernarg_segment_align: 8
    .kernarg_segment_size: 176
    .language:       OpenCL C
    .language_version:
      - 2
      - 0
    .max_flat_workgroup_size: 256
    .name:           _ZN7rocprim17ROCPRIM_400000_NS6detail17trampoline_kernelINS0_13select_configILj256ELj13ELNS0_17block_load_methodE3ELS4_3ELS4_3ELNS0_20block_scan_algorithmE0ELj4294967295EEENS1_25partition_config_selectorILNS1_17partition_subalgoE4EjNS0_10empty_typeEbEEZZNS1_14partition_implILS8_4ELb0ES6_15HIP_vector_typeIjLj2EENS0_17counting_iteratorIjlEEPS9_SG_NS0_5tupleIJPjSI_NS0_16reverse_iteratorISI_EEEEENSH_IJSG_SG_SG_EEES9_SI_JZNS1_25segmented_radix_sort_implINS0_14default_configELb0EPK6__halfPSP_PKlPlN2at6native12_GLOBAL__N_18offset_tEEE10hipError_tPvRmT1_PNSt15iterator_traitsIS13_E10value_typeET2_T3_PNS14_IS19_E10value_typeET4_jRbjT5_S1F_jjP12ihipStream_tbEUljE_ZNSN_ISO_Lb0ESR_SS_SU_SV_SZ_EES10_S11_S12_S13_S17_S18_S19_S1C_S1D_jS1E_jS1F_S1F_jjS1H_bEUljE0_EEES10_S11_S12_S19_S1D_S1F_T6_T7_T9_mT8_S1H_bDpT10_ENKUlT_T0_E_clISt17integral_constantIbLb0EES1V_EEDaS1Q_S1R_EUlS1Q_E_NS1_11comp_targetILNS1_3genE4ELNS1_11target_archE910ELNS1_3gpuE8ELNS1_3repE0EEENS1_30default_config_static_selectorELNS0_4arch9wavefront6targetE0EEEvS13_
    .private_segment_fixed_size: 0
    .sgpr_count:     0
    .sgpr_spill_count: 0
    .symbol:         _ZN7rocprim17ROCPRIM_400000_NS6detail17trampoline_kernelINS0_13select_configILj256ELj13ELNS0_17block_load_methodE3ELS4_3ELS4_3ELNS0_20block_scan_algorithmE0ELj4294967295EEENS1_25partition_config_selectorILNS1_17partition_subalgoE4EjNS0_10empty_typeEbEEZZNS1_14partition_implILS8_4ELb0ES6_15HIP_vector_typeIjLj2EENS0_17counting_iteratorIjlEEPS9_SG_NS0_5tupleIJPjSI_NS0_16reverse_iteratorISI_EEEEENSH_IJSG_SG_SG_EEES9_SI_JZNS1_25segmented_radix_sort_implINS0_14default_configELb0EPK6__halfPSP_PKlPlN2at6native12_GLOBAL__N_18offset_tEEE10hipError_tPvRmT1_PNSt15iterator_traitsIS13_E10value_typeET2_T3_PNS14_IS19_E10value_typeET4_jRbjT5_S1F_jjP12ihipStream_tbEUljE_ZNSN_ISO_Lb0ESR_SS_SU_SV_SZ_EES10_S11_S12_S13_S17_S18_S19_S1C_S1D_jS1E_jS1F_S1F_jjS1H_bEUljE0_EEES10_S11_S12_S19_S1D_S1F_T6_T7_T9_mT8_S1H_bDpT10_ENKUlT_T0_E_clISt17integral_constantIbLb0EES1V_EEDaS1Q_S1R_EUlS1Q_E_NS1_11comp_targetILNS1_3genE4ELNS1_11target_archE910ELNS1_3gpuE8ELNS1_3repE0EEENS1_30default_config_static_selectorELNS0_4arch9wavefront6targetE0EEEvS13_.kd
    .uniform_work_group_size: 1
    .uses_dynamic_stack: false
    .vgpr_count:     0
    .vgpr_spill_count: 0
    .wavefront_size: 32
    .workgroup_processor_mode: 1
  - .args:
      - .offset:         0
        .size:           176
        .value_kind:     by_value
    .group_segment_fixed_size: 0
    .kernarg_segment_align: 8
    .kernarg_segment_size: 176
    .language:       OpenCL C
    .language_version:
      - 2
      - 0
    .max_flat_workgroup_size: 256
    .name:           _ZN7rocprim17ROCPRIM_400000_NS6detail17trampoline_kernelINS0_13select_configILj256ELj13ELNS0_17block_load_methodE3ELS4_3ELS4_3ELNS0_20block_scan_algorithmE0ELj4294967295EEENS1_25partition_config_selectorILNS1_17partition_subalgoE4EjNS0_10empty_typeEbEEZZNS1_14partition_implILS8_4ELb0ES6_15HIP_vector_typeIjLj2EENS0_17counting_iteratorIjlEEPS9_SG_NS0_5tupleIJPjSI_NS0_16reverse_iteratorISI_EEEEENSH_IJSG_SG_SG_EEES9_SI_JZNS1_25segmented_radix_sort_implINS0_14default_configELb0EPK6__halfPSP_PKlPlN2at6native12_GLOBAL__N_18offset_tEEE10hipError_tPvRmT1_PNSt15iterator_traitsIS13_E10value_typeET2_T3_PNS14_IS19_E10value_typeET4_jRbjT5_S1F_jjP12ihipStream_tbEUljE_ZNSN_ISO_Lb0ESR_SS_SU_SV_SZ_EES10_S11_S12_S13_S17_S18_S19_S1C_S1D_jS1E_jS1F_S1F_jjS1H_bEUljE0_EEES10_S11_S12_S19_S1D_S1F_T6_T7_T9_mT8_S1H_bDpT10_ENKUlT_T0_E_clISt17integral_constantIbLb0EES1V_EEDaS1Q_S1R_EUlS1Q_E_NS1_11comp_targetILNS1_3genE3ELNS1_11target_archE908ELNS1_3gpuE7ELNS1_3repE0EEENS1_30default_config_static_selectorELNS0_4arch9wavefront6targetE0EEEvS13_
    .private_segment_fixed_size: 0
    .sgpr_count:     0
    .sgpr_spill_count: 0
    .symbol:         _ZN7rocprim17ROCPRIM_400000_NS6detail17trampoline_kernelINS0_13select_configILj256ELj13ELNS0_17block_load_methodE3ELS4_3ELS4_3ELNS0_20block_scan_algorithmE0ELj4294967295EEENS1_25partition_config_selectorILNS1_17partition_subalgoE4EjNS0_10empty_typeEbEEZZNS1_14partition_implILS8_4ELb0ES6_15HIP_vector_typeIjLj2EENS0_17counting_iteratorIjlEEPS9_SG_NS0_5tupleIJPjSI_NS0_16reverse_iteratorISI_EEEEENSH_IJSG_SG_SG_EEES9_SI_JZNS1_25segmented_radix_sort_implINS0_14default_configELb0EPK6__halfPSP_PKlPlN2at6native12_GLOBAL__N_18offset_tEEE10hipError_tPvRmT1_PNSt15iterator_traitsIS13_E10value_typeET2_T3_PNS14_IS19_E10value_typeET4_jRbjT5_S1F_jjP12ihipStream_tbEUljE_ZNSN_ISO_Lb0ESR_SS_SU_SV_SZ_EES10_S11_S12_S13_S17_S18_S19_S1C_S1D_jS1E_jS1F_S1F_jjS1H_bEUljE0_EEES10_S11_S12_S19_S1D_S1F_T6_T7_T9_mT8_S1H_bDpT10_ENKUlT_T0_E_clISt17integral_constantIbLb0EES1V_EEDaS1Q_S1R_EUlS1Q_E_NS1_11comp_targetILNS1_3genE3ELNS1_11target_archE908ELNS1_3gpuE7ELNS1_3repE0EEENS1_30default_config_static_selectorELNS0_4arch9wavefront6targetE0EEEvS13_.kd
    .uniform_work_group_size: 1
    .uses_dynamic_stack: false
    .vgpr_count:     0
    .vgpr_spill_count: 0
    .wavefront_size: 32
    .workgroup_processor_mode: 1
  - .args:
      - .offset:         0
        .size:           176
        .value_kind:     by_value
    .group_segment_fixed_size: 0
    .kernarg_segment_align: 8
    .kernarg_segment_size: 176
    .language:       OpenCL C
    .language_version:
      - 2
      - 0
    .max_flat_workgroup_size: 256
    .name:           _ZN7rocprim17ROCPRIM_400000_NS6detail17trampoline_kernelINS0_13select_configILj256ELj13ELNS0_17block_load_methodE3ELS4_3ELS4_3ELNS0_20block_scan_algorithmE0ELj4294967295EEENS1_25partition_config_selectorILNS1_17partition_subalgoE4EjNS0_10empty_typeEbEEZZNS1_14partition_implILS8_4ELb0ES6_15HIP_vector_typeIjLj2EENS0_17counting_iteratorIjlEEPS9_SG_NS0_5tupleIJPjSI_NS0_16reverse_iteratorISI_EEEEENSH_IJSG_SG_SG_EEES9_SI_JZNS1_25segmented_radix_sort_implINS0_14default_configELb0EPK6__halfPSP_PKlPlN2at6native12_GLOBAL__N_18offset_tEEE10hipError_tPvRmT1_PNSt15iterator_traitsIS13_E10value_typeET2_T3_PNS14_IS19_E10value_typeET4_jRbjT5_S1F_jjP12ihipStream_tbEUljE_ZNSN_ISO_Lb0ESR_SS_SU_SV_SZ_EES10_S11_S12_S13_S17_S18_S19_S1C_S1D_jS1E_jS1F_S1F_jjS1H_bEUljE0_EEES10_S11_S12_S19_S1D_S1F_T6_T7_T9_mT8_S1H_bDpT10_ENKUlT_T0_E_clISt17integral_constantIbLb0EES1V_EEDaS1Q_S1R_EUlS1Q_E_NS1_11comp_targetILNS1_3genE2ELNS1_11target_archE906ELNS1_3gpuE6ELNS1_3repE0EEENS1_30default_config_static_selectorELNS0_4arch9wavefront6targetE0EEEvS13_
    .private_segment_fixed_size: 0
    .sgpr_count:     0
    .sgpr_spill_count: 0
    .symbol:         _ZN7rocprim17ROCPRIM_400000_NS6detail17trampoline_kernelINS0_13select_configILj256ELj13ELNS0_17block_load_methodE3ELS4_3ELS4_3ELNS0_20block_scan_algorithmE0ELj4294967295EEENS1_25partition_config_selectorILNS1_17partition_subalgoE4EjNS0_10empty_typeEbEEZZNS1_14partition_implILS8_4ELb0ES6_15HIP_vector_typeIjLj2EENS0_17counting_iteratorIjlEEPS9_SG_NS0_5tupleIJPjSI_NS0_16reverse_iteratorISI_EEEEENSH_IJSG_SG_SG_EEES9_SI_JZNS1_25segmented_radix_sort_implINS0_14default_configELb0EPK6__halfPSP_PKlPlN2at6native12_GLOBAL__N_18offset_tEEE10hipError_tPvRmT1_PNSt15iterator_traitsIS13_E10value_typeET2_T3_PNS14_IS19_E10value_typeET4_jRbjT5_S1F_jjP12ihipStream_tbEUljE_ZNSN_ISO_Lb0ESR_SS_SU_SV_SZ_EES10_S11_S12_S13_S17_S18_S19_S1C_S1D_jS1E_jS1F_S1F_jjS1H_bEUljE0_EEES10_S11_S12_S19_S1D_S1F_T6_T7_T9_mT8_S1H_bDpT10_ENKUlT_T0_E_clISt17integral_constantIbLb0EES1V_EEDaS1Q_S1R_EUlS1Q_E_NS1_11comp_targetILNS1_3genE2ELNS1_11target_archE906ELNS1_3gpuE6ELNS1_3repE0EEENS1_30default_config_static_selectorELNS0_4arch9wavefront6targetE0EEEvS13_.kd
    .uniform_work_group_size: 1
    .uses_dynamic_stack: false
    .vgpr_count:     0
    .vgpr_spill_count: 0
    .wavefront_size: 32
    .workgroup_processor_mode: 1
  - .args:
      - .offset:         0
        .size:           176
        .value_kind:     by_value
    .group_segment_fixed_size: 0
    .kernarg_segment_align: 8
    .kernarg_segment_size: 176
    .language:       OpenCL C
    .language_version:
      - 2
      - 0
    .max_flat_workgroup_size: 256
    .name:           _ZN7rocprim17ROCPRIM_400000_NS6detail17trampoline_kernelINS0_13select_configILj256ELj13ELNS0_17block_load_methodE3ELS4_3ELS4_3ELNS0_20block_scan_algorithmE0ELj4294967295EEENS1_25partition_config_selectorILNS1_17partition_subalgoE4EjNS0_10empty_typeEbEEZZNS1_14partition_implILS8_4ELb0ES6_15HIP_vector_typeIjLj2EENS0_17counting_iteratorIjlEEPS9_SG_NS0_5tupleIJPjSI_NS0_16reverse_iteratorISI_EEEEENSH_IJSG_SG_SG_EEES9_SI_JZNS1_25segmented_radix_sort_implINS0_14default_configELb0EPK6__halfPSP_PKlPlN2at6native12_GLOBAL__N_18offset_tEEE10hipError_tPvRmT1_PNSt15iterator_traitsIS13_E10value_typeET2_T3_PNS14_IS19_E10value_typeET4_jRbjT5_S1F_jjP12ihipStream_tbEUljE_ZNSN_ISO_Lb0ESR_SS_SU_SV_SZ_EES10_S11_S12_S13_S17_S18_S19_S1C_S1D_jS1E_jS1F_S1F_jjS1H_bEUljE0_EEES10_S11_S12_S19_S1D_S1F_T6_T7_T9_mT8_S1H_bDpT10_ENKUlT_T0_E_clISt17integral_constantIbLb0EES1V_EEDaS1Q_S1R_EUlS1Q_E_NS1_11comp_targetILNS1_3genE10ELNS1_11target_archE1200ELNS1_3gpuE4ELNS1_3repE0EEENS1_30default_config_static_selectorELNS0_4arch9wavefront6targetE0EEEvS13_
    .private_segment_fixed_size: 0
    .sgpr_count:     0
    .sgpr_spill_count: 0
    .symbol:         _ZN7rocprim17ROCPRIM_400000_NS6detail17trampoline_kernelINS0_13select_configILj256ELj13ELNS0_17block_load_methodE3ELS4_3ELS4_3ELNS0_20block_scan_algorithmE0ELj4294967295EEENS1_25partition_config_selectorILNS1_17partition_subalgoE4EjNS0_10empty_typeEbEEZZNS1_14partition_implILS8_4ELb0ES6_15HIP_vector_typeIjLj2EENS0_17counting_iteratorIjlEEPS9_SG_NS0_5tupleIJPjSI_NS0_16reverse_iteratorISI_EEEEENSH_IJSG_SG_SG_EEES9_SI_JZNS1_25segmented_radix_sort_implINS0_14default_configELb0EPK6__halfPSP_PKlPlN2at6native12_GLOBAL__N_18offset_tEEE10hipError_tPvRmT1_PNSt15iterator_traitsIS13_E10value_typeET2_T3_PNS14_IS19_E10value_typeET4_jRbjT5_S1F_jjP12ihipStream_tbEUljE_ZNSN_ISO_Lb0ESR_SS_SU_SV_SZ_EES10_S11_S12_S13_S17_S18_S19_S1C_S1D_jS1E_jS1F_S1F_jjS1H_bEUljE0_EEES10_S11_S12_S19_S1D_S1F_T6_T7_T9_mT8_S1H_bDpT10_ENKUlT_T0_E_clISt17integral_constantIbLb0EES1V_EEDaS1Q_S1R_EUlS1Q_E_NS1_11comp_targetILNS1_3genE10ELNS1_11target_archE1200ELNS1_3gpuE4ELNS1_3repE0EEENS1_30default_config_static_selectorELNS0_4arch9wavefront6targetE0EEEvS13_.kd
    .uniform_work_group_size: 1
    .uses_dynamic_stack: false
    .vgpr_count:     0
    .vgpr_spill_count: 0
    .wavefront_size: 32
    .workgroup_processor_mode: 1
  - .args:
      - .offset:         0
        .size:           176
        .value_kind:     by_value
    .group_segment_fixed_size: 0
    .kernarg_segment_align: 8
    .kernarg_segment_size: 176
    .language:       OpenCL C
    .language_version:
      - 2
      - 0
    .max_flat_workgroup_size: 256
    .name:           _ZN7rocprim17ROCPRIM_400000_NS6detail17trampoline_kernelINS0_13select_configILj256ELj13ELNS0_17block_load_methodE3ELS4_3ELS4_3ELNS0_20block_scan_algorithmE0ELj4294967295EEENS1_25partition_config_selectorILNS1_17partition_subalgoE4EjNS0_10empty_typeEbEEZZNS1_14partition_implILS8_4ELb0ES6_15HIP_vector_typeIjLj2EENS0_17counting_iteratorIjlEEPS9_SG_NS0_5tupleIJPjSI_NS0_16reverse_iteratorISI_EEEEENSH_IJSG_SG_SG_EEES9_SI_JZNS1_25segmented_radix_sort_implINS0_14default_configELb0EPK6__halfPSP_PKlPlN2at6native12_GLOBAL__N_18offset_tEEE10hipError_tPvRmT1_PNSt15iterator_traitsIS13_E10value_typeET2_T3_PNS14_IS19_E10value_typeET4_jRbjT5_S1F_jjP12ihipStream_tbEUljE_ZNSN_ISO_Lb0ESR_SS_SU_SV_SZ_EES10_S11_S12_S13_S17_S18_S19_S1C_S1D_jS1E_jS1F_S1F_jjS1H_bEUljE0_EEES10_S11_S12_S19_S1D_S1F_T6_T7_T9_mT8_S1H_bDpT10_ENKUlT_T0_E_clISt17integral_constantIbLb0EES1V_EEDaS1Q_S1R_EUlS1Q_E_NS1_11comp_targetILNS1_3genE9ELNS1_11target_archE1100ELNS1_3gpuE3ELNS1_3repE0EEENS1_30default_config_static_selectorELNS0_4arch9wavefront6targetE0EEEvS13_
    .private_segment_fixed_size: 0
    .sgpr_count:     0
    .sgpr_spill_count: 0
    .symbol:         _ZN7rocprim17ROCPRIM_400000_NS6detail17trampoline_kernelINS0_13select_configILj256ELj13ELNS0_17block_load_methodE3ELS4_3ELS4_3ELNS0_20block_scan_algorithmE0ELj4294967295EEENS1_25partition_config_selectorILNS1_17partition_subalgoE4EjNS0_10empty_typeEbEEZZNS1_14partition_implILS8_4ELb0ES6_15HIP_vector_typeIjLj2EENS0_17counting_iteratorIjlEEPS9_SG_NS0_5tupleIJPjSI_NS0_16reverse_iteratorISI_EEEEENSH_IJSG_SG_SG_EEES9_SI_JZNS1_25segmented_radix_sort_implINS0_14default_configELb0EPK6__halfPSP_PKlPlN2at6native12_GLOBAL__N_18offset_tEEE10hipError_tPvRmT1_PNSt15iterator_traitsIS13_E10value_typeET2_T3_PNS14_IS19_E10value_typeET4_jRbjT5_S1F_jjP12ihipStream_tbEUljE_ZNSN_ISO_Lb0ESR_SS_SU_SV_SZ_EES10_S11_S12_S13_S17_S18_S19_S1C_S1D_jS1E_jS1F_S1F_jjS1H_bEUljE0_EEES10_S11_S12_S19_S1D_S1F_T6_T7_T9_mT8_S1H_bDpT10_ENKUlT_T0_E_clISt17integral_constantIbLb0EES1V_EEDaS1Q_S1R_EUlS1Q_E_NS1_11comp_targetILNS1_3genE9ELNS1_11target_archE1100ELNS1_3gpuE3ELNS1_3repE0EEENS1_30default_config_static_selectorELNS0_4arch9wavefront6targetE0EEEvS13_.kd
    .uniform_work_group_size: 1
    .uses_dynamic_stack: false
    .vgpr_count:     0
    .vgpr_spill_count: 0
    .wavefront_size: 32
    .workgroup_processor_mode: 1
  - .args:
      - .offset:         0
        .size:           176
        .value_kind:     by_value
    .group_segment_fixed_size: 13328
    .kernarg_segment_align: 8
    .kernarg_segment_size: 176
    .language:       OpenCL C
    .language_version:
      - 2
      - 0
    .max_flat_workgroup_size: 256
    .name:           _ZN7rocprim17ROCPRIM_400000_NS6detail17trampoline_kernelINS0_13select_configILj256ELj13ELNS0_17block_load_methodE3ELS4_3ELS4_3ELNS0_20block_scan_algorithmE0ELj4294967295EEENS1_25partition_config_selectorILNS1_17partition_subalgoE4EjNS0_10empty_typeEbEEZZNS1_14partition_implILS8_4ELb0ES6_15HIP_vector_typeIjLj2EENS0_17counting_iteratorIjlEEPS9_SG_NS0_5tupleIJPjSI_NS0_16reverse_iteratorISI_EEEEENSH_IJSG_SG_SG_EEES9_SI_JZNS1_25segmented_radix_sort_implINS0_14default_configELb0EPK6__halfPSP_PKlPlN2at6native12_GLOBAL__N_18offset_tEEE10hipError_tPvRmT1_PNSt15iterator_traitsIS13_E10value_typeET2_T3_PNS14_IS19_E10value_typeET4_jRbjT5_S1F_jjP12ihipStream_tbEUljE_ZNSN_ISO_Lb0ESR_SS_SU_SV_SZ_EES10_S11_S12_S13_S17_S18_S19_S1C_S1D_jS1E_jS1F_S1F_jjS1H_bEUljE0_EEES10_S11_S12_S19_S1D_S1F_T6_T7_T9_mT8_S1H_bDpT10_ENKUlT_T0_E_clISt17integral_constantIbLb0EES1V_EEDaS1Q_S1R_EUlS1Q_E_NS1_11comp_targetILNS1_3genE8ELNS1_11target_archE1030ELNS1_3gpuE2ELNS1_3repE0EEENS1_30default_config_static_selectorELNS0_4arch9wavefront6targetE0EEEvS13_
    .private_segment_fixed_size: 0
    .sgpr_count:     61
    .sgpr_spill_count: 0
    .symbol:         _ZN7rocprim17ROCPRIM_400000_NS6detail17trampoline_kernelINS0_13select_configILj256ELj13ELNS0_17block_load_methodE3ELS4_3ELS4_3ELNS0_20block_scan_algorithmE0ELj4294967295EEENS1_25partition_config_selectorILNS1_17partition_subalgoE4EjNS0_10empty_typeEbEEZZNS1_14partition_implILS8_4ELb0ES6_15HIP_vector_typeIjLj2EENS0_17counting_iteratorIjlEEPS9_SG_NS0_5tupleIJPjSI_NS0_16reverse_iteratorISI_EEEEENSH_IJSG_SG_SG_EEES9_SI_JZNS1_25segmented_radix_sort_implINS0_14default_configELb0EPK6__halfPSP_PKlPlN2at6native12_GLOBAL__N_18offset_tEEE10hipError_tPvRmT1_PNSt15iterator_traitsIS13_E10value_typeET2_T3_PNS14_IS19_E10value_typeET4_jRbjT5_S1F_jjP12ihipStream_tbEUljE_ZNSN_ISO_Lb0ESR_SS_SU_SV_SZ_EES10_S11_S12_S13_S17_S18_S19_S1C_S1D_jS1E_jS1F_S1F_jjS1H_bEUljE0_EEES10_S11_S12_S19_S1D_S1F_T6_T7_T9_mT8_S1H_bDpT10_ENKUlT_T0_E_clISt17integral_constantIbLb0EES1V_EEDaS1Q_S1R_EUlS1Q_E_NS1_11comp_targetILNS1_3genE8ELNS1_11target_archE1030ELNS1_3gpuE2ELNS1_3repE0EEENS1_30default_config_static_selectorELNS0_4arch9wavefront6targetE0EEEvS13_.kd
    .uniform_work_group_size: 1
    .uses_dynamic_stack: false
    .vgpr_count:     82
    .vgpr_spill_count: 0
    .wavefront_size: 32
    .workgroup_processor_mode: 1
  - .args:
      - .offset:         0
        .size:           184
        .value_kind:     by_value
    .group_segment_fixed_size: 0
    .kernarg_segment_align: 8
    .kernarg_segment_size: 184
    .language:       OpenCL C
    .language_version:
      - 2
      - 0
    .max_flat_workgroup_size: 256
    .name:           _ZN7rocprim17ROCPRIM_400000_NS6detail17trampoline_kernelINS0_13select_configILj256ELj13ELNS0_17block_load_methodE3ELS4_3ELS4_3ELNS0_20block_scan_algorithmE0ELj4294967295EEENS1_25partition_config_selectorILNS1_17partition_subalgoE4EjNS0_10empty_typeEbEEZZNS1_14partition_implILS8_4ELb0ES6_15HIP_vector_typeIjLj2EENS0_17counting_iteratorIjlEEPS9_SG_NS0_5tupleIJPjSI_NS0_16reverse_iteratorISI_EEEEENSH_IJSG_SG_SG_EEES9_SI_JZNS1_25segmented_radix_sort_implINS0_14default_configELb0EPK6__halfPSP_PKlPlN2at6native12_GLOBAL__N_18offset_tEEE10hipError_tPvRmT1_PNSt15iterator_traitsIS13_E10value_typeET2_T3_PNS14_IS19_E10value_typeET4_jRbjT5_S1F_jjP12ihipStream_tbEUljE_ZNSN_ISO_Lb0ESR_SS_SU_SV_SZ_EES10_S11_S12_S13_S17_S18_S19_S1C_S1D_jS1E_jS1F_S1F_jjS1H_bEUljE0_EEES10_S11_S12_S19_S1D_S1F_T6_T7_T9_mT8_S1H_bDpT10_ENKUlT_T0_E_clISt17integral_constantIbLb1EES1V_EEDaS1Q_S1R_EUlS1Q_E_NS1_11comp_targetILNS1_3genE0ELNS1_11target_archE4294967295ELNS1_3gpuE0ELNS1_3repE0EEENS1_30default_config_static_selectorELNS0_4arch9wavefront6targetE0EEEvS13_
    .private_segment_fixed_size: 0
    .sgpr_count:     0
    .sgpr_spill_count: 0
    .symbol:         _ZN7rocprim17ROCPRIM_400000_NS6detail17trampoline_kernelINS0_13select_configILj256ELj13ELNS0_17block_load_methodE3ELS4_3ELS4_3ELNS0_20block_scan_algorithmE0ELj4294967295EEENS1_25partition_config_selectorILNS1_17partition_subalgoE4EjNS0_10empty_typeEbEEZZNS1_14partition_implILS8_4ELb0ES6_15HIP_vector_typeIjLj2EENS0_17counting_iteratorIjlEEPS9_SG_NS0_5tupleIJPjSI_NS0_16reverse_iteratorISI_EEEEENSH_IJSG_SG_SG_EEES9_SI_JZNS1_25segmented_radix_sort_implINS0_14default_configELb0EPK6__halfPSP_PKlPlN2at6native12_GLOBAL__N_18offset_tEEE10hipError_tPvRmT1_PNSt15iterator_traitsIS13_E10value_typeET2_T3_PNS14_IS19_E10value_typeET4_jRbjT5_S1F_jjP12ihipStream_tbEUljE_ZNSN_ISO_Lb0ESR_SS_SU_SV_SZ_EES10_S11_S12_S13_S17_S18_S19_S1C_S1D_jS1E_jS1F_S1F_jjS1H_bEUljE0_EEES10_S11_S12_S19_S1D_S1F_T6_T7_T9_mT8_S1H_bDpT10_ENKUlT_T0_E_clISt17integral_constantIbLb1EES1V_EEDaS1Q_S1R_EUlS1Q_E_NS1_11comp_targetILNS1_3genE0ELNS1_11target_archE4294967295ELNS1_3gpuE0ELNS1_3repE0EEENS1_30default_config_static_selectorELNS0_4arch9wavefront6targetE0EEEvS13_.kd
    .uniform_work_group_size: 1
    .uses_dynamic_stack: false
    .vgpr_count:     0
    .vgpr_spill_count: 0
    .wavefront_size: 32
    .workgroup_processor_mode: 1
  - .args:
      - .offset:         0
        .size:           184
        .value_kind:     by_value
    .group_segment_fixed_size: 0
    .kernarg_segment_align: 8
    .kernarg_segment_size: 184
    .language:       OpenCL C
    .language_version:
      - 2
      - 0
    .max_flat_workgroup_size: 256
    .name:           _ZN7rocprim17ROCPRIM_400000_NS6detail17trampoline_kernelINS0_13select_configILj256ELj13ELNS0_17block_load_methodE3ELS4_3ELS4_3ELNS0_20block_scan_algorithmE0ELj4294967295EEENS1_25partition_config_selectorILNS1_17partition_subalgoE4EjNS0_10empty_typeEbEEZZNS1_14partition_implILS8_4ELb0ES6_15HIP_vector_typeIjLj2EENS0_17counting_iteratorIjlEEPS9_SG_NS0_5tupleIJPjSI_NS0_16reverse_iteratorISI_EEEEENSH_IJSG_SG_SG_EEES9_SI_JZNS1_25segmented_radix_sort_implINS0_14default_configELb0EPK6__halfPSP_PKlPlN2at6native12_GLOBAL__N_18offset_tEEE10hipError_tPvRmT1_PNSt15iterator_traitsIS13_E10value_typeET2_T3_PNS14_IS19_E10value_typeET4_jRbjT5_S1F_jjP12ihipStream_tbEUljE_ZNSN_ISO_Lb0ESR_SS_SU_SV_SZ_EES10_S11_S12_S13_S17_S18_S19_S1C_S1D_jS1E_jS1F_S1F_jjS1H_bEUljE0_EEES10_S11_S12_S19_S1D_S1F_T6_T7_T9_mT8_S1H_bDpT10_ENKUlT_T0_E_clISt17integral_constantIbLb1EES1V_EEDaS1Q_S1R_EUlS1Q_E_NS1_11comp_targetILNS1_3genE5ELNS1_11target_archE942ELNS1_3gpuE9ELNS1_3repE0EEENS1_30default_config_static_selectorELNS0_4arch9wavefront6targetE0EEEvS13_
    .private_segment_fixed_size: 0
    .sgpr_count:     0
    .sgpr_spill_count: 0
    .symbol:         _ZN7rocprim17ROCPRIM_400000_NS6detail17trampoline_kernelINS0_13select_configILj256ELj13ELNS0_17block_load_methodE3ELS4_3ELS4_3ELNS0_20block_scan_algorithmE0ELj4294967295EEENS1_25partition_config_selectorILNS1_17partition_subalgoE4EjNS0_10empty_typeEbEEZZNS1_14partition_implILS8_4ELb0ES6_15HIP_vector_typeIjLj2EENS0_17counting_iteratorIjlEEPS9_SG_NS0_5tupleIJPjSI_NS0_16reverse_iteratorISI_EEEEENSH_IJSG_SG_SG_EEES9_SI_JZNS1_25segmented_radix_sort_implINS0_14default_configELb0EPK6__halfPSP_PKlPlN2at6native12_GLOBAL__N_18offset_tEEE10hipError_tPvRmT1_PNSt15iterator_traitsIS13_E10value_typeET2_T3_PNS14_IS19_E10value_typeET4_jRbjT5_S1F_jjP12ihipStream_tbEUljE_ZNSN_ISO_Lb0ESR_SS_SU_SV_SZ_EES10_S11_S12_S13_S17_S18_S19_S1C_S1D_jS1E_jS1F_S1F_jjS1H_bEUljE0_EEES10_S11_S12_S19_S1D_S1F_T6_T7_T9_mT8_S1H_bDpT10_ENKUlT_T0_E_clISt17integral_constantIbLb1EES1V_EEDaS1Q_S1R_EUlS1Q_E_NS1_11comp_targetILNS1_3genE5ELNS1_11target_archE942ELNS1_3gpuE9ELNS1_3repE0EEENS1_30default_config_static_selectorELNS0_4arch9wavefront6targetE0EEEvS13_.kd
    .uniform_work_group_size: 1
    .uses_dynamic_stack: false
    .vgpr_count:     0
    .vgpr_spill_count: 0
    .wavefront_size: 32
    .workgroup_processor_mode: 1
  - .args:
      - .offset:         0
        .size:           184
        .value_kind:     by_value
    .group_segment_fixed_size: 0
    .kernarg_segment_align: 8
    .kernarg_segment_size: 184
    .language:       OpenCL C
    .language_version:
      - 2
      - 0
    .max_flat_workgroup_size: 256
    .name:           _ZN7rocprim17ROCPRIM_400000_NS6detail17trampoline_kernelINS0_13select_configILj256ELj13ELNS0_17block_load_methodE3ELS4_3ELS4_3ELNS0_20block_scan_algorithmE0ELj4294967295EEENS1_25partition_config_selectorILNS1_17partition_subalgoE4EjNS0_10empty_typeEbEEZZNS1_14partition_implILS8_4ELb0ES6_15HIP_vector_typeIjLj2EENS0_17counting_iteratorIjlEEPS9_SG_NS0_5tupleIJPjSI_NS0_16reverse_iteratorISI_EEEEENSH_IJSG_SG_SG_EEES9_SI_JZNS1_25segmented_radix_sort_implINS0_14default_configELb0EPK6__halfPSP_PKlPlN2at6native12_GLOBAL__N_18offset_tEEE10hipError_tPvRmT1_PNSt15iterator_traitsIS13_E10value_typeET2_T3_PNS14_IS19_E10value_typeET4_jRbjT5_S1F_jjP12ihipStream_tbEUljE_ZNSN_ISO_Lb0ESR_SS_SU_SV_SZ_EES10_S11_S12_S13_S17_S18_S19_S1C_S1D_jS1E_jS1F_S1F_jjS1H_bEUljE0_EEES10_S11_S12_S19_S1D_S1F_T6_T7_T9_mT8_S1H_bDpT10_ENKUlT_T0_E_clISt17integral_constantIbLb1EES1V_EEDaS1Q_S1R_EUlS1Q_E_NS1_11comp_targetILNS1_3genE4ELNS1_11target_archE910ELNS1_3gpuE8ELNS1_3repE0EEENS1_30default_config_static_selectorELNS0_4arch9wavefront6targetE0EEEvS13_
    .private_segment_fixed_size: 0
    .sgpr_count:     0
    .sgpr_spill_count: 0
    .symbol:         _ZN7rocprim17ROCPRIM_400000_NS6detail17trampoline_kernelINS0_13select_configILj256ELj13ELNS0_17block_load_methodE3ELS4_3ELS4_3ELNS0_20block_scan_algorithmE0ELj4294967295EEENS1_25partition_config_selectorILNS1_17partition_subalgoE4EjNS0_10empty_typeEbEEZZNS1_14partition_implILS8_4ELb0ES6_15HIP_vector_typeIjLj2EENS0_17counting_iteratorIjlEEPS9_SG_NS0_5tupleIJPjSI_NS0_16reverse_iteratorISI_EEEEENSH_IJSG_SG_SG_EEES9_SI_JZNS1_25segmented_radix_sort_implINS0_14default_configELb0EPK6__halfPSP_PKlPlN2at6native12_GLOBAL__N_18offset_tEEE10hipError_tPvRmT1_PNSt15iterator_traitsIS13_E10value_typeET2_T3_PNS14_IS19_E10value_typeET4_jRbjT5_S1F_jjP12ihipStream_tbEUljE_ZNSN_ISO_Lb0ESR_SS_SU_SV_SZ_EES10_S11_S12_S13_S17_S18_S19_S1C_S1D_jS1E_jS1F_S1F_jjS1H_bEUljE0_EEES10_S11_S12_S19_S1D_S1F_T6_T7_T9_mT8_S1H_bDpT10_ENKUlT_T0_E_clISt17integral_constantIbLb1EES1V_EEDaS1Q_S1R_EUlS1Q_E_NS1_11comp_targetILNS1_3genE4ELNS1_11target_archE910ELNS1_3gpuE8ELNS1_3repE0EEENS1_30default_config_static_selectorELNS0_4arch9wavefront6targetE0EEEvS13_.kd
    .uniform_work_group_size: 1
    .uses_dynamic_stack: false
    .vgpr_count:     0
    .vgpr_spill_count: 0
    .wavefront_size: 32
    .workgroup_processor_mode: 1
  - .args:
      - .offset:         0
        .size:           184
        .value_kind:     by_value
    .group_segment_fixed_size: 0
    .kernarg_segment_align: 8
    .kernarg_segment_size: 184
    .language:       OpenCL C
    .language_version:
      - 2
      - 0
    .max_flat_workgroup_size: 256
    .name:           _ZN7rocprim17ROCPRIM_400000_NS6detail17trampoline_kernelINS0_13select_configILj256ELj13ELNS0_17block_load_methodE3ELS4_3ELS4_3ELNS0_20block_scan_algorithmE0ELj4294967295EEENS1_25partition_config_selectorILNS1_17partition_subalgoE4EjNS0_10empty_typeEbEEZZNS1_14partition_implILS8_4ELb0ES6_15HIP_vector_typeIjLj2EENS0_17counting_iteratorIjlEEPS9_SG_NS0_5tupleIJPjSI_NS0_16reverse_iteratorISI_EEEEENSH_IJSG_SG_SG_EEES9_SI_JZNS1_25segmented_radix_sort_implINS0_14default_configELb0EPK6__halfPSP_PKlPlN2at6native12_GLOBAL__N_18offset_tEEE10hipError_tPvRmT1_PNSt15iterator_traitsIS13_E10value_typeET2_T3_PNS14_IS19_E10value_typeET4_jRbjT5_S1F_jjP12ihipStream_tbEUljE_ZNSN_ISO_Lb0ESR_SS_SU_SV_SZ_EES10_S11_S12_S13_S17_S18_S19_S1C_S1D_jS1E_jS1F_S1F_jjS1H_bEUljE0_EEES10_S11_S12_S19_S1D_S1F_T6_T7_T9_mT8_S1H_bDpT10_ENKUlT_T0_E_clISt17integral_constantIbLb1EES1V_EEDaS1Q_S1R_EUlS1Q_E_NS1_11comp_targetILNS1_3genE3ELNS1_11target_archE908ELNS1_3gpuE7ELNS1_3repE0EEENS1_30default_config_static_selectorELNS0_4arch9wavefront6targetE0EEEvS13_
    .private_segment_fixed_size: 0
    .sgpr_count:     0
    .sgpr_spill_count: 0
    .symbol:         _ZN7rocprim17ROCPRIM_400000_NS6detail17trampoline_kernelINS0_13select_configILj256ELj13ELNS0_17block_load_methodE3ELS4_3ELS4_3ELNS0_20block_scan_algorithmE0ELj4294967295EEENS1_25partition_config_selectorILNS1_17partition_subalgoE4EjNS0_10empty_typeEbEEZZNS1_14partition_implILS8_4ELb0ES6_15HIP_vector_typeIjLj2EENS0_17counting_iteratorIjlEEPS9_SG_NS0_5tupleIJPjSI_NS0_16reverse_iteratorISI_EEEEENSH_IJSG_SG_SG_EEES9_SI_JZNS1_25segmented_radix_sort_implINS0_14default_configELb0EPK6__halfPSP_PKlPlN2at6native12_GLOBAL__N_18offset_tEEE10hipError_tPvRmT1_PNSt15iterator_traitsIS13_E10value_typeET2_T3_PNS14_IS19_E10value_typeET4_jRbjT5_S1F_jjP12ihipStream_tbEUljE_ZNSN_ISO_Lb0ESR_SS_SU_SV_SZ_EES10_S11_S12_S13_S17_S18_S19_S1C_S1D_jS1E_jS1F_S1F_jjS1H_bEUljE0_EEES10_S11_S12_S19_S1D_S1F_T6_T7_T9_mT8_S1H_bDpT10_ENKUlT_T0_E_clISt17integral_constantIbLb1EES1V_EEDaS1Q_S1R_EUlS1Q_E_NS1_11comp_targetILNS1_3genE3ELNS1_11target_archE908ELNS1_3gpuE7ELNS1_3repE0EEENS1_30default_config_static_selectorELNS0_4arch9wavefront6targetE0EEEvS13_.kd
    .uniform_work_group_size: 1
    .uses_dynamic_stack: false
    .vgpr_count:     0
    .vgpr_spill_count: 0
    .wavefront_size: 32
    .workgroup_processor_mode: 1
  - .args:
      - .offset:         0
        .size:           184
        .value_kind:     by_value
    .group_segment_fixed_size: 0
    .kernarg_segment_align: 8
    .kernarg_segment_size: 184
    .language:       OpenCL C
    .language_version:
      - 2
      - 0
    .max_flat_workgroup_size: 256
    .name:           _ZN7rocprim17ROCPRIM_400000_NS6detail17trampoline_kernelINS0_13select_configILj256ELj13ELNS0_17block_load_methodE3ELS4_3ELS4_3ELNS0_20block_scan_algorithmE0ELj4294967295EEENS1_25partition_config_selectorILNS1_17partition_subalgoE4EjNS0_10empty_typeEbEEZZNS1_14partition_implILS8_4ELb0ES6_15HIP_vector_typeIjLj2EENS0_17counting_iteratorIjlEEPS9_SG_NS0_5tupleIJPjSI_NS0_16reverse_iteratorISI_EEEEENSH_IJSG_SG_SG_EEES9_SI_JZNS1_25segmented_radix_sort_implINS0_14default_configELb0EPK6__halfPSP_PKlPlN2at6native12_GLOBAL__N_18offset_tEEE10hipError_tPvRmT1_PNSt15iterator_traitsIS13_E10value_typeET2_T3_PNS14_IS19_E10value_typeET4_jRbjT5_S1F_jjP12ihipStream_tbEUljE_ZNSN_ISO_Lb0ESR_SS_SU_SV_SZ_EES10_S11_S12_S13_S17_S18_S19_S1C_S1D_jS1E_jS1F_S1F_jjS1H_bEUljE0_EEES10_S11_S12_S19_S1D_S1F_T6_T7_T9_mT8_S1H_bDpT10_ENKUlT_T0_E_clISt17integral_constantIbLb1EES1V_EEDaS1Q_S1R_EUlS1Q_E_NS1_11comp_targetILNS1_3genE2ELNS1_11target_archE906ELNS1_3gpuE6ELNS1_3repE0EEENS1_30default_config_static_selectorELNS0_4arch9wavefront6targetE0EEEvS13_
    .private_segment_fixed_size: 0
    .sgpr_count:     0
    .sgpr_spill_count: 0
    .symbol:         _ZN7rocprim17ROCPRIM_400000_NS6detail17trampoline_kernelINS0_13select_configILj256ELj13ELNS0_17block_load_methodE3ELS4_3ELS4_3ELNS0_20block_scan_algorithmE0ELj4294967295EEENS1_25partition_config_selectorILNS1_17partition_subalgoE4EjNS0_10empty_typeEbEEZZNS1_14partition_implILS8_4ELb0ES6_15HIP_vector_typeIjLj2EENS0_17counting_iteratorIjlEEPS9_SG_NS0_5tupleIJPjSI_NS0_16reverse_iteratorISI_EEEEENSH_IJSG_SG_SG_EEES9_SI_JZNS1_25segmented_radix_sort_implINS0_14default_configELb0EPK6__halfPSP_PKlPlN2at6native12_GLOBAL__N_18offset_tEEE10hipError_tPvRmT1_PNSt15iterator_traitsIS13_E10value_typeET2_T3_PNS14_IS19_E10value_typeET4_jRbjT5_S1F_jjP12ihipStream_tbEUljE_ZNSN_ISO_Lb0ESR_SS_SU_SV_SZ_EES10_S11_S12_S13_S17_S18_S19_S1C_S1D_jS1E_jS1F_S1F_jjS1H_bEUljE0_EEES10_S11_S12_S19_S1D_S1F_T6_T7_T9_mT8_S1H_bDpT10_ENKUlT_T0_E_clISt17integral_constantIbLb1EES1V_EEDaS1Q_S1R_EUlS1Q_E_NS1_11comp_targetILNS1_3genE2ELNS1_11target_archE906ELNS1_3gpuE6ELNS1_3repE0EEENS1_30default_config_static_selectorELNS0_4arch9wavefront6targetE0EEEvS13_.kd
    .uniform_work_group_size: 1
    .uses_dynamic_stack: false
    .vgpr_count:     0
    .vgpr_spill_count: 0
    .wavefront_size: 32
    .workgroup_processor_mode: 1
  - .args:
      - .offset:         0
        .size:           184
        .value_kind:     by_value
    .group_segment_fixed_size: 0
    .kernarg_segment_align: 8
    .kernarg_segment_size: 184
    .language:       OpenCL C
    .language_version:
      - 2
      - 0
    .max_flat_workgroup_size: 256
    .name:           _ZN7rocprim17ROCPRIM_400000_NS6detail17trampoline_kernelINS0_13select_configILj256ELj13ELNS0_17block_load_methodE3ELS4_3ELS4_3ELNS0_20block_scan_algorithmE0ELj4294967295EEENS1_25partition_config_selectorILNS1_17partition_subalgoE4EjNS0_10empty_typeEbEEZZNS1_14partition_implILS8_4ELb0ES6_15HIP_vector_typeIjLj2EENS0_17counting_iteratorIjlEEPS9_SG_NS0_5tupleIJPjSI_NS0_16reverse_iteratorISI_EEEEENSH_IJSG_SG_SG_EEES9_SI_JZNS1_25segmented_radix_sort_implINS0_14default_configELb0EPK6__halfPSP_PKlPlN2at6native12_GLOBAL__N_18offset_tEEE10hipError_tPvRmT1_PNSt15iterator_traitsIS13_E10value_typeET2_T3_PNS14_IS19_E10value_typeET4_jRbjT5_S1F_jjP12ihipStream_tbEUljE_ZNSN_ISO_Lb0ESR_SS_SU_SV_SZ_EES10_S11_S12_S13_S17_S18_S19_S1C_S1D_jS1E_jS1F_S1F_jjS1H_bEUljE0_EEES10_S11_S12_S19_S1D_S1F_T6_T7_T9_mT8_S1H_bDpT10_ENKUlT_T0_E_clISt17integral_constantIbLb1EES1V_EEDaS1Q_S1R_EUlS1Q_E_NS1_11comp_targetILNS1_3genE10ELNS1_11target_archE1200ELNS1_3gpuE4ELNS1_3repE0EEENS1_30default_config_static_selectorELNS0_4arch9wavefront6targetE0EEEvS13_
    .private_segment_fixed_size: 0
    .sgpr_count:     0
    .sgpr_spill_count: 0
    .symbol:         _ZN7rocprim17ROCPRIM_400000_NS6detail17trampoline_kernelINS0_13select_configILj256ELj13ELNS0_17block_load_methodE3ELS4_3ELS4_3ELNS0_20block_scan_algorithmE0ELj4294967295EEENS1_25partition_config_selectorILNS1_17partition_subalgoE4EjNS0_10empty_typeEbEEZZNS1_14partition_implILS8_4ELb0ES6_15HIP_vector_typeIjLj2EENS0_17counting_iteratorIjlEEPS9_SG_NS0_5tupleIJPjSI_NS0_16reverse_iteratorISI_EEEEENSH_IJSG_SG_SG_EEES9_SI_JZNS1_25segmented_radix_sort_implINS0_14default_configELb0EPK6__halfPSP_PKlPlN2at6native12_GLOBAL__N_18offset_tEEE10hipError_tPvRmT1_PNSt15iterator_traitsIS13_E10value_typeET2_T3_PNS14_IS19_E10value_typeET4_jRbjT5_S1F_jjP12ihipStream_tbEUljE_ZNSN_ISO_Lb0ESR_SS_SU_SV_SZ_EES10_S11_S12_S13_S17_S18_S19_S1C_S1D_jS1E_jS1F_S1F_jjS1H_bEUljE0_EEES10_S11_S12_S19_S1D_S1F_T6_T7_T9_mT8_S1H_bDpT10_ENKUlT_T0_E_clISt17integral_constantIbLb1EES1V_EEDaS1Q_S1R_EUlS1Q_E_NS1_11comp_targetILNS1_3genE10ELNS1_11target_archE1200ELNS1_3gpuE4ELNS1_3repE0EEENS1_30default_config_static_selectorELNS0_4arch9wavefront6targetE0EEEvS13_.kd
    .uniform_work_group_size: 1
    .uses_dynamic_stack: false
    .vgpr_count:     0
    .vgpr_spill_count: 0
    .wavefront_size: 32
    .workgroup_processor_mode: 1
  - .args:
      - .offset:         0
        .size:           184
        .value_kind:     by_value
    .group_segment_fixed_size: 0
    .kernarg_segment_align: 8
    .kernarg_segment_size: 184
    .language:       OpenCL C
    .language_version:
      - 2
      - 0
    .max_flat_workgroup_size: 256
    .name:           _ZN7rocprim17ROCPRIM_400000_NS6detail17trampoline_kernelINS0_13select_configILj256ELj13ELNS0_17block_load_methodE3ELS4_3ELS4_3ELNS0_20block_scan_algorithmE0ELj4294967295EEENS1_25partition_config_selectorILNS1_17partition_subalgoE4EjNS0_10empty_typeEbEEZZNS1_14partition_implILS8_4ELb0ES6_15HIP_vector_typeIjLj2EENS0_17counting_iteratorIjlEEPS9_SG_NS0_5tupleIJPjSI_NS0_16reverse_iteratorISI_EEEEENSH_IJSG_SG_SG_EEES9_SI_JZNS1_25segmented_radix_sort_implINS0_14default_configELb0EPK6__halfPSP_PKlPlN2at6native12_GLOBAL__N_18offset_tEEE10hipError_tPvRmT1_PNSt15iterator_traitsIS13_E10value_typeET2_T3_PNS14_IS19_E10value_typeET4_jRbjT5_S1F_jjP12ihipStream_tbEUljE_ZNSN_ISO_Lb0ESR_SS_SU_SV_SZ_EES10_S11_S12_S13_S17_S18_S19_S1C_S1D_jS1E_jS1F_S1F_jjS1H_bEUljE0_EEES10_S11_S12_S19_S1D_S1F_T6_T7_T9_mT8_S1H_bDpT10_ENKUlT_T0_E_clISt17integral_constantIbLb1EES1V_EEDaS1Q_S1R_EUlS1Q_E_NS1_11comp_targetILNS1_3genE9ELNS1_11target_archE1100ELNS1_3gpuE3ELNS1_3repE0EEENS1_30default_config_static_selectorELNS0_4arch9wavefront6targetE0EEEvS13_
    .private_segment_fixed_size: 0
    .sgpr_count:     0
    .sgpr_spill_count: 0
    .symbol:         _ZN7rocprim17ROCPRIM_400000_NS6detail17trampoline_kernelINS0_13select_configILj256ELj13ELNS0_17block_load_methodE3ELS4_3ELS4_3ELNS0_20block_scan_algorithmE0ELj4294967295EEENS1_25partition_config_selectorILNS1_17partition_subalgoE4EjNS0_10empty_typeEbEEZZNS1_14partition_implILS8_4ELb0ES6_15HIP_vector_typeIjLj2EENS0_17counting_iteratorIjlEEPS9_SG_NS0_5tupleIJPjSI_NS0_16reverse_iteratorISI_EEEEENSH_IJSG_SG_SG_EEES9_SI_JZNS1_25segmented_radix_sort_implINS0_14default_configELb0EPK6__halfPSP_PKlPlN2at6native12_GLOBAL__N_18offset_tEEE10hipError_tPvRmT1_PNSt15iterator_traitsIS13_E10value_typeET2_T3_PNS14_IS19_E10value_typeET4_jRbjT5_S1F_jjP12ihipStream_tbEUljE_ZNSN_ISO_Lb0ESR_SS_SU_SV_SZ_EES10_S11_S12_S13_S17_S18_S19_S1C_S1D_jS1E_jS1F_S1F_jjS1H_bEUljE0_EEES10_S11_S12_S19_S1D_S1F_T6_T7_T9_mT8_S1H_bDpT10_ENKUlT_T0_E_clISt17integral_constantIbLb1EES1V_EEDaS1Q_S1R_EUlS1Q_E_NS1_11comp_targetILNS1_3genE9ELNS1_11target_archE1100ELNS1_3gpuE3ELNS1_3repE0EEENS1_30default_config_static_selectorELNS0_4arch9wavefront6targetE0EEEvS13_.kd
    .uniform_work_group_size: 1
    .uses_dynamic_stack: false
    .vgpr_count:     0
    .vgpr_spill_count: 0
    .wavefront_size: 32
    .workgroup_processor_mode: 1
  - .args:
      - .offset:         0
        .size:           184
        .value_kind:     by_value
    .group_segment_fixed_size: 0
    .kernarg_segment_align: 8
    .kernarg_segment_size: 184
    .language:       OpenCL C
    .language_version:
      - 2
      - 0
    .max_flat_workgroup_size: 256
    .name:           _ZN7rocprim17ROCPRIM_400000_NS6detail17trampoline_kernelINS0_13select_configILj256ELj13ELNS0_17block_load_methodE3ELS4_3ELS4_3ELNS0_20block_scan_algorithmE0ELj4294967295EEENS1_25partition_config_selectorILNS1_17partition_subalgoE4EjNS0_10empty_typeEbEEZZNS1_14partition_implILS8_4ELb0ES6_15HIP_vector_typeIjLj2EENS0_17counting_iteratorIjlEEPS9_SG_NS0_5tupleIJPjSI_NS0_16reverse_iteratorISI_EEEEENSH_IJSG_SG_SG_EEES9_SI_JZNS1_25segmented_radix_sort_implINS0_14default_configELb0EPK6__halfPSP_PKlPlN2at6native12_GLOBAL__N_18offset_tEEE10hipError_tPvRmT1_PNSt15iterator_traitsIS13_E10value_typeET2_T3_PNS14_IS19_E10value_typeET4_jRbjT5_S1F_jjP12ihipStream_tbEUljE_ZNSN_ISO_Lb0ESR_SS_SU_SV_SZ_EES10_S11_S12_S13_S17_S18_S19_S1C_S1D_jS1E_jS1F_S1F_jjS1H_bEUljE0_EEES10_S11_S12_S19_S1D_S1F_T6_T7_T9_mT8_S1H_bDpT10_ENKUlT_T0_E_clISt17integral_constantIbLb1EES1V_EEDaS1Q_S1R_EUlS1Q_E_NS1_11comp_targetILNS1_3genE8ELNS1_11target_archE1030ELNS1_3gpuE2ELNS1_3repE0EEENS1_30default_config_static_selectorELNS0_4arch9wavefront6targetE0EEEvS13_
    .private_segment_fixed_size: 0
    .sgpr_count:     0
    .sgpr_spill_count: 0
    .symbol:         _ZN7rocprim17ROCPRIM_400000_NS6detail17trampoline_kernelINS0_13select_configILj256ELj13ELNS0_17block_load_methodE3ELS4_3ELS4_3ELNS0_20block_scan_algorithmE0ELj4294967295EEENS1_25partition_config_selectorILNS1_17partition_subalgoE4EjNS0_10empty_typeEbEEZZNS1_14partition_implILS8_4ELb0ES6_15HIP_vector_typeIjLj2EENS0_17counting_iteratorIjlEEPS9_SG_NS0_5tupleIJPjSI_NS0_16reverse_iteratorISI_EEEEENSH_IJSG_SG_SG_EEES9_SI_JZNS1_25segmented_radix_sort_implINS0_14default_configELb0EPK6__halfPSP_PKlPlN2at6native12_GLOBAL__N_18offset_tEEE10hipError_tPvRmT1_PNSt15iterator_traitsIS13_E10value_typeET2_T3_PNS14_IS19_E10value_typeET4_jRbjT5_S1F_jjP12ihipStream_tbEUljE_ZNSN_ISO_Lb0ESR_SS_SU_SV_SZ_EES10_S11_S12_S13_S17_S18_S19_S1C_S1D_jS1E_jS1F_S1F_jjS1H_bEUljE0_EEES10_S11_S12_S19_S1D_S1F_T6_T7_T9_mT8_S1H_bDpT10_ENKUlT_T0_E_clISt17integral_constantIbLb1EES1V_EEDaS1Q_S1R_EUlS1Q_E_NS1_11comp_targetILNS1_3genE8ELNS1_11target_archE1030ELNS1_3gpuE2ELNS1_3repE0EEENS1_30default_config_static_selectorELNS0_4arch9wavefront6targetE0EEEvS13_.kd
    .uniform_work_group_size: 1
    .uses_dynamic_stack: false
    .vgpr_count:     0
    .vgpr_spill_count: 0
    .wavefront_size: 32
    .workgroup_processor_mode: 1
  - .args:
      - .offset:         0
        .size:           176
        .value_kind:     by_value
    .group_segment_fixed_size: 0
    .kernarg_segment_align: 8
    .kernarg_segment_size: 176
    .language:       OpenCL C
    .language_version:
      - 2
      - 0
    .max_flat_workgroup_size: 256
    .name:           _ZN7rocprim17ROCPRIM_400000_NS6detail17trampoline_kernelINS0_13select_configILj256ELj13ELNS0_17block_load_methodE3ELS4_3ELS4_3ELNS0_20block_scan_algorithmE0ELj4294967295EEENS1_25partition_config_selectorILNS1_17partition_subalgoE4EjNS0_10empty_typeEbEEZZNS1_14partition_implILS8_4ELb0ES6_15HIP_vector_typeIjLj2EENS0_17counting_iteratorIjlEEPS9_SG_NS0_5tupleIJPjSI_NS0_16reverse_iteratorISI_EEEEENSH_IJSG_SG_SG_EEES9_SI_JZNS1_25segmented_radix_sort_implINS0_14default_configELb0EPK6__halfPSP_PKlPlN2at6native12_GLOBAL__N_18offset_tEEE10hipError_tPvRmT1_PNSt15iterator_traitsIS13_E10value_typeET2_T3_PNS14_IS19_E10value_typeET4_jRbjT5_S1F_jjP12ihipStream_tbEUljE_ZNSN_ISO_Lb0ESR_SS_SU_SV_SZ_EES10_S11_S12_S13_S17_S18_S19_S1C_S1D_jS1E_jS1F_S1F_jjS1H_bEUljE0_EEES10_S11_S12_S19_S1D_S1F_T6_T7_T9_mT8_S1H_bDpT10_ENKUlT_T0_E_clISt17integral_constantIbLb1EES1U_IbLb0EEEEDaS1Q_S1R_EUlS1Q_E_NS1_11comp_targetILNS1_3genE0ELNS1_11target_archE4294967295ELNS1_3gpuE0ELNS1_3repE0EEENS1_30default_config_static_selectorELNS0_4arch9wavefront6targetE0EEEvS13_
    .private_segment_fixed_size: 0
    .sgpr_count:     0
    .sgpr_spill_count: 0
    .symbol:         _ZN7rocprim17ROCPRIM_400000_NS6detail17trampoline_kernelINS0_13select_configILj256ELj13ELNS0_17block_load_methodE3ELS4_3ELS4_3ELNS0_20block_scan_algorithmE0ELj4294967295EEENS1_25partition_config_selectorILNS1_17partition_subalgoE4EjNS0_10empty_typeEbEEZZNS1_14partition_implILS8_4ELb0ES6_15HIP_vector_typeIjLj2EENS0_17counting_iteratorIjlEEPS9_SG_NS0_5tupleIJPjSI_NS0_16reverse_iteratorISI_EEEEENSH_IJSG_SG_SG_EEES9_SI_JZNS1_25segmented_radix_sort_implINS0_14default_configELb0EPK6__halfPSP_PKlPlN2at6native12_GLOBAL__N_18offset_tEEE10hipError_tPvRmT1_PNSt15iterator_traitsIS13_E10value_typeET2_T3_PNS14_IS19_E10value_typeET4_jRbjT5_S1F_jjP12ihipStream_tbEUljE_ZNSN_ISO_Lb0ESR_SS_SU_SV_SZ_EES10_S11_S12_S13_S17_S18_S19_S1C_S1D_jS1E_jS1F_S1F_jjS1H_bEUljE0_EEES10_S11_S12_S19_S1D_S1F_T6_T7_T9_mT8_S1H_bDpT10_ENKUlT_T0_E_clISt17integral_constantIbLb1EES1U_IbLb0EEEEDaS1Q_S1R_EUlS1Q_E_NS1_11comp_targetILNS1_3genE0ELNS1_11target_archE4294967295ELNS1_3gpuE0ELNS1_3repE0EEENS1_30default_config_static_selectorELNS0_4arch9wavefront6targetE0EEEvS13_.kd
    .uniform_work_group_size: 1
    .uses_dynamic_stack: false
    .vgpr_count:     0
    .vgpr_spill_count: 0
    .wavefront_size: 32
    .workgroup_processor_mode: 1
  - .args:
      - .offset:         0
        .size:           176
        .value_kind:     by_value
    .group_segment_fixed_size: 0
    .kernarg_segment_align: 8
    .kernarg_segment_size: 176
    .language:       OpenCL C
    .language_version:
      - 2
      - 0
    .max_flat_workgroup_size: 256
    .name:           _ZN7rocprim17ROCPRIM_400000_NS6detail17trampoline_kernelINS0_13select_configILj256ELj13ELNS0_17block_load_methodE3ELS4_3ELS4_3ELNS0_20block_scan_algorithmE0ELj4294967295EEENS1_25partition_config_selectorILNS1_17partition_subalgoE4EjNS0_10empty_typeEbEEZZNS1_14partition_implILS8_4ELb0ES6_15HIP_vector_typeIjLj2EENS0_17counting_iteratorIjlEEPS9_SG_NS0_5tupleIJPjSI_NS0_16reverse_iteratorISI_EEEEENSH_IJSG_SG_SG_EEES9_SI_JZNS1_25segmented_radix_sort_implINS0_14default_configELb0EPK6__halfPSP_PKlPlN2at6native12_GLOBAL__N_18offset_tEEE10hipError_tPvRmT1_PNSt15iterator_traitsIS13_E10value_typeET2_T3_PNS14_IS19_E10value_typeET4_jRbjT5_S1F_jjP12ihipStream_tbEUljE_ZNSN_ISO_Lb0ESR_SS_SU_SV_SZ_EES10_S11_S12_S13_S17_S18_S19_S1C_S1D_jS1E_jS1F_S1F_jjS1H_bEUljE0_EEES10_S11_S12_S19_S1D_S1F_T6_T7_T9_mT8_S1H_bDpT10_ENKUlT_T0_E_clISt17integral_constantIbLb1EES1U_IbLb0EEEEDaS1Q_S1R_EUlS1Q_E_NS1_11comp_targetILNS1_3genE5ELNS1_11target_archE942ELNS1_3gpuE9ELNS1_3repE0EEENS1_30default_config_static_selectorELNS0_4arch9wavefront6targetE0EEEvS13_
    .private_segment_fixed_size: 0
    .sgpr_count:     0
    .sgpr_spill_count: 0
    .symbol:         _ZN7rocprim17ROCPRIM_400000_NS6detail17trampoline_kernelINS0_13select_configILj256ELj13ELNS0_17block_load_methodE3ELS4_3ELS4_3ELNS0_20block_scan_algorithmE0ELj4294967295EEENS1_25partition_config_selectorILNS1_17partition_subalgoE4EjNS0_10empty_typeEbEEZZNS1_14partition_implILS8_4ELb0ES6_15HIP_vector_typeIjLj2EENS0_17counting_iteratorIjlEEPS9_SG_NS0_5tupleIJPjSI_NS0_16reverse_iteratorISI_EEEEENSH_IJSG_SG_SG_EEES9_SI_JZNS1_25segmented_radix_sort_implINS0_14default_configELb0EPK6__halfPSP_PKlPlN2at6native12_GLOBAL__N_18offset_tEEE10hipError_tPvRmT1_PNSt15iterator_traitsIS13_E10value_typeET2_T3_PNS14_IS19_E10value_typeET4_jRbjT5_S1F_jjP12ihipStream_tbEUljE_ZNSN_ISO_Lb0ESR_SS_SU_SV_SZ_EES10_S11_S12_S13_S17_S18_S19_S1C_S1D_jS1E_jS1F_S1F_jjS1H_bEUljE0_EEES10_S11_S12_S19_S1D_S1F_T6_T7_T9_mT8_S1H_bDpT10_ENKUlT_T0_E_clISt17integral_constantIbLb1EES1U_IbLb0EEEEDaS1Q_S1R_EUlS1Q_E_NS1_11comp_targetILNS1_3genE5ELNS1_11target_archE942ELNS1_3gpuE9ELNS1_3repE0EEENS1_30default_config_static_selectorELNS0_4arch9wavefront6targetE0EEEvS13_.kd
    .uniform_work_group_size: 1
    .uses_dynamic_stack: false
    .vgpr_count:     0
    .vgpr_spill_count: 0
    .wavefront_size: 32
    .workgroup_processor_mode: 1
  - .args:
      - .offset:         0
        .size:           176
        .value_kind:     by_value
    .group_segment_fixed_size: 0
    .kernarg_segment_align: 8
    .kernarg_segment_size: 176
    .language:       OpenCL C
    .language_version:
      - 2
      - 0
    .max_flat_workgroup_size: 256
    .name:           _ZN7rocprim17ROCPRIM_400000_NS6detail17trampoline_kernelINS0_13select_configILj256ELj13ELNS0_17block_load_methodE3ELS4_3ELS4_3ELNS0_20block_scan_algorithmE0ELj4294967295EEENS1_25partition_config_selectorILNS1_17partition_subalgoE4EjNS0_10empty_typeEbEEZZNS1_14partition_implILS8_4ELb0ES6_15HIP_vector_typeIjLj2EENS0_17counting_iteratorIjlEEPS9_SG_NS0_5tupleIJPjSI_NS0_16reverse_iteratorISI_EEEEENSH_IJSG_SG_SG_EEES9_SI_JZNS1_25segmented_radix_sort_implINS0_14default_configELb0EPK6__halfPSP_PKlPlN2at6native12_GLOBAL__N_18offset_tEEE10hipError_tPvRmT1_PNSt15iterator_traitsIS13_E10value_typeET2_T3_PNS14_IS19_E10value_typeET4_jRbjT5_S1F_jjP12ihipStream_tbEUljE_ZNSN_ISO_Lb0ESR_SS_SU_SV_SZ_EES10_S11_S12_S13_S17_S18_S19_S1C_S1D_jS1E_jS1F_S1F_jjS1H_bEUljE0_EEES10_S11_S12_S19_S1D_S1F_T6_T7_T9_mT8_S1H_bDpT10_ENKUlT_T0_E_clISt17integral_constantIbLb1EES1U_IbLb0EEEEDaS1Q_S1R_EUlS1Q_E_NS1_11comp_targetILNS1_3genE4ELNS1_11target_archE910ELNS1_3gpuE8ELNS1_3repE0EEENS1_30default_config_static_selectorELNS0_4arch9wavefront6targetE0EEEvS13_
    .private_segment_fixed_size: 0
    .sgpr_count:     0
    .sgpr_spill_count: 0
    .symbol:         _ZN7rocprim17ROCPRIM_400000_NS6detail17trampoline_kernelINS0_13select_configILj256ELj13ELNS0_17block_load_methodE3ELS4_3ELS4_3ELNS0_20block_scan_algorithmE0ELj4294967295EEENS1_25partition_config_selectorILNS1_17partition_subalgoE4EjNS0_10empty_typeEbEEZZNS1_14partition_implILS8_4ELb0ES6_15HIP_vector_typeIjLj2EENS0_17counting_iteratorIjlEEPS9_SG_NS0_5tupleIJPjSI_NS0_16reverse_iteratorISI_EEEEENSH_IJSG_SG_SG_EEES9_SI_JZNS1_25segmented_radix_sort_implINS0_14default_configELb0EPK6__halfPSP_PKlPlN2at6native12_GLOBAL__N_18offset_tEEE10hipError_tPvRmT1_PNSt15iterator_traitsIS13_E10value_typeET2_T3_PNS14_IS19_E10value_typeET4_jRbjT5_S1F_jjP12ihipStream_tbEUljE_ZNSN_ISO_Lb0ESR_SS_SU_SV_SZ_EES10_S11_S12_S13_S17_S18_S19_S1C_S1D_jS1E_jS1F_S1F_jjS1H_bEUljE0_EEES10_S11_S12_S19_S1D_S1F_T6_T7_T9_mT8_S1H_bDpT10_ENKUlT_T0_E_clISt17integral_constantIbLb1EES1U_IbLb0EEEEDaS1Q_S1R_EUlS1Q_E_NS1_11comp_targetILNS1_3genE4ELNS1_11target_archE910ELNS1_3gpuE8ELNS1_3repE0EEENS1_30default_config_static_selectorELNS0_4arch9wavefront6targetE0EEEvS13_.kd
    .uniform_work_group_size: 1
    .uses_dynamic_stack: false
    .vgpr_count:     0
    .vgpr_spill_count: 0
    .wavefront_size: 32
    .workgroup_processor_mode: 1
  - .args:
      - .offset:         0
        .size:           176
        .value_kind:     by_value
    .group_segment_fixed_size: 0
    .kernarg_segment_align: 8
    .kernarg_segment_size: 176
    .language:       OpenCL C
    .language_version:
      - 2
      - 0
    .max_flat_workgroup_size: 256
    .name:           _ZN7rocprim17ROCPRIM_400000_NS6detail17trampoline_kernelINS0_13select_configILj256ELj13ELNS0_17block_load_methodE3ELS4_3ELS4_3ELNS0_20block_scan_algorithmE0ELj4294967295EEENS1_25partition_config_selectorILNS1_17partition_subalgoE4EjNS0_10empty_typeEbEEZZNS1_14partition_implILS8_4ELb0ES6_15HIP_vector_typeIjLj2EENS0_17counting_iteratorIjlEEPS9_SG_NS0_5tupleIJPjSI_NS0_16reverse_iteratorISI_EEEEENSH_IJSG_SG_SG_EEES9_SI_JZNS1_25segmented_radix_sort_implINS0_14default_configELb0EPK6__halfPSP_PKlPlN2at6native12_GLOBAL__N_18offset_tEEE10hipError_tPvRmT1_PNSt15iterator_traitsIS13_E10value_typeET2_T3_PNS14_IS19_E10value_typeET4_jRbjT5_S1F_jjP12ihipStream_tbEUljE_ZNSN_ISO_Lb0ESR_SS_SU_SV_SZ_EES10_S11_S12_S13_S17_S18_S19_S1C_S1D_jS1E_jS1F_S1F_jjS1H_bEUljE0_EEES10_S11_S12_S19_S1D_S1F_T6_T7_T9_mT8_S1H_bDpT10_ENKUlT_T0_E_clISt17integral_constantIbLb1EES1U_IbLb0EEEEDaS1Q_S1R_EUlS1Q_E_NS1_11comp_targetILNS1_3genE3ELNS1_11target_archE908ELNS1_3gpuE7ELNS1_3repE0EEENS1_30default_config_static_selectorELNS0_4arch9wavefront6targetE0EEEvS13_
    .private_segment_fixed_size: 0
    .sgpr_count:     0
    .sgpr_spill_count: 0
    .symbol:         _ZN7rocprim17ROCPRIM_400000_NS6detail17trampoline_kernelINS0_13select_configILj256ELj13ELNS0_17block_load_methodE3ELS4_3ELS4_3ELNS0_20block_scan_algorithmE0ELj4294967295EEENS1_25partition_config_selectorILNS1_17partition_subalgoE4EjNS0_10empty_typeEbEEZZNS1_14partition_implILS8_4ELb0ES6_15HIP_vector_typeIjLj2EENS0_17counting_iteratorIjlEEPS9_SG_NS0_5tupleIJPjSI_NS0_16reverse_iteratorISI_EEEEENSH_IJSG_SG_SG_EEES9_SI_JZNS1_25segmented_radix_sort_implINS0_14default_configELb0EPK6__halfPSP_PKlPlN2at6native12_GLOBAL__N_18offset_tEEE10hipError_tPvRmT1_PNSt15iterator_traitsIS13_E10value_typeET2_T3_PNS14_IS19_E10value_typeET4_jRbjT5_S1F_jjP12ihipStream_tbEUljE_ZNSN_ISO_Lb0ESR_SS_SU_SV_SZ_EES10_S11_S12_S13_S17_S18_S19_S1C_S1D_jS1E_jS1F_S1F_jjS1H_bEUljE0_EEES10_S11_S12_S19_S1D_S1F_T6_T7_T9_mT8_S1H_bDpT10_ENKUlT_T0_E_clISt17integral_constantIbLb1EES1U_IbLb0EEEEDaS1Q_S1R_EUlS1Q_E_NS1_11comp_targetILNS1_3genE3ELNS1_11target_archE908ELNS1_3gpuE7ELNS1_3repE0EEENS1_30default_config_static_selectorELNS0_4arch9wavefront6targetE0EEEvS13_.kd
    .uniform_work_group_size: 1
    .uses_dynamic_stack: false
    .vgpr_count:     0
    .vgpr_spill_count: 0
    .wavefront_size: 32
    .workgroup_processor_mode: 1
  - .args:
      - .offset:         0
        .size:           176
        .value_kind:     by_value
    .group_segment_fixed_size: 0
    .kernarg_segment_align: 8
    .kernarg_segment_size: 176
    .language:       OpenCL C
    .language_version:
      - 2
      - 0
    .max_flat_workgroup_size: 256
    .name:           _ZN7rocprim17ROCPRIM_400000_NS6detail17trampoline_kernelINS0_13select_configILj256ELj13ELNS0_17block_load_methodE3ELS4_3ELS4_3ELNS0_20block_scan_algorithmE0ELj4294967295EEENS1_25partition_config_selectorILNS1_17partition_subalgoE4EjNS0_10empty_typeEbEEZZNS1_14partition_implILS8_4ELb0ES6_15HIP_vector_typeIjLj2EENS0_17counting_iteratorIjlEEPS9_SG_NS0_5tupleIJPjSI_NS0_16reverse_iteratorISI_EEEEENSH_IJSG_SG_SG_EEES9_SI_JZNS1_25segmented_radix_sort_implINS0_14default_configELb0EPK6__halfPSP_PKlPlN2at6native12_GLOBAL__N_18offset_tEEE10hipError_tPvRmT1_PNSt15iterator_traitsIS13_E10value_typeET2_T3_PNS14_IS19_E10value_typeET4_jRbjT5_S1F_jjP12ihipStream_tbEUljE_ZNSN_ISO_Lb0ESR_SS_SU_SV_SZ_EES10_S11_S12_S13_S17_S18_S19_S1C_S1D_jS1E_jS1F_S1F_jjS1H_bEUljE0_EEES10_S11_S12_S19_S1D_S1F_T6_T7_T9_mT8_S1H_bDpT10_ENKUlT_T0_E_clISt17integral_constantIbLb1EES1U_IbLb0EEEEDaS1Q_S1R_EUlS1Q_E_NS1_11comp_targetILNS1_3genE2ELNS1_11target_archE906ELNS1_3gpuE6ELNS1_3repE0EEENS1_30default_config_static_selectorELNS0_4arch9wavefront6targetE0EEEvS13_
    .private_segment_fixed_size: 0
    .sgpr_count:     0
    .sgpr_spill_count: 0
    .symbol:         _ZN7rocprim17ROCPRIM_400000_NS6detail17trampoline_kernelINS0_13select_configILj256ELj13ELNS0_17block_load_methodE3ELS4_3ELS4_3ELNS0_20block_scan_algorithmE0ELj4294967295EEENS1_25partition_config_selectorILNS1_17partition_subalgoE4EjNS0_10empty_typeEbEEZZNS1_14partition_implILS8_4ELb0ES6_15HIP_vector_typeIjLj2EENS0_17counting_iteratorIjlEEPS9_SG_NS0_5tupleIJPjSI_NS0_16reverse_iteratorISI_EEEEENSH_IJSG_SG_SG_EEES9_SI_JZNS1_25segmented_radix_sort_implINS0_14default_configELb0EPK6__halfPSP_PKlPlN2at6native12_GLOBAL__N_18offset_tEEE10hipError_tPvRmT1_PNSt15iterator_traitsIS13_E10value_typeET2_T3_PNS14_IS19_E10value_typeET4_jRbjT5_S1F_jjP12ihipStream_tbEUljE_ZNSN_ISO_Lb0ESR_SS_SU_SV_SZ_EES10_S11_S12_S13_S17_S18_S19_S1C_S1D_jS1E_jS1F_S1F_jjS1H_bEUljE0_EEES10_S11_S12_S19_S1D_S1F_T6_T7_T9_mT8_S1H_bDpT10_ENKUlT_T0_E_clISt17integral_constantIbLb1EES1U_IbLb0EEEEDaS1Q_S1R_EUlS1Q_E_NS1_11comp_targetILNS1_3genE2ELNS1_11target_archE906ELNS1_3gpuE6ELNS1_3repE0EEENS1_30default_config_static_selectorELNS0_4arch9wavefront6targetE0EEEvS13_.kd
    .uniform_work_group_size: 1
    .uses_dynamic_stack: false
    .vgpr_count:     0
    .vgpr_spill_count: 0
    .wavefront_size: 32
    .workgroup_processor_mode: 1
  - .args:
      - .offset:         0
        .size:           176
        .value_kind:     by_value
    .group_segment_fixed_size: 0
    .kernarg_segment_align: 8
    .kernarg_segment_size: 176
    .language:       OpenCL C
    .language_version:
      - 2
      - 0
    .max_flat_workgroup_size: 256
    .name:           _ZN7rocprim17ROCPRIM_400000_NS6detail17trampoline_kernelINS0_13select_configILj256ELj13ELNS0_17block_load_methodE3ELS4_3ELS4_3ELNS0_20block_scan_algorithmE0ELj4294967295EEENS1_25partition_config_selectorILNS1_17partition_subalgoE4EjNS0_10empty_typeEbEEZZNS1_14partition_implILS8_4ELb0ES6_15HIP_vector_typeIjLj2EENS0_17counting_iteratorIjlEEPS9_SG_NS0_5tupleIJPjSI_NS0_16reverse_iteratorISI_EEEEENSH_IJSG_SG_SG_EEES9_SI_JZNS1_25segmented_radix_sort_implINS0_14default_configELb0EPK6__halfPSP_PKlPlN2at6native12_GLOBAL__N_18offset_tEEE10hipError_tPvRmT1_PNSt15iterator_traitsIS13_E10value_typeET2_T3_PNS14_IS19_E10value_typeET4_jRbjT5_S1F_jjP12ihipStream_tbEUljE_ZNSN_ISO_Lb0ESR_SS_SU_SV_SZ_EES10_S11_S12_S13_S17_S18_S19_S1C_S1D_jS1E_jS1F_S1F_jjS1H_bEUljE0_EEES10_S11_S12_S19_S1D_S1F_T6_T7_T9_mT8_S1H_bDpT10_ENKUlT_T0_E_clISt17integral_constantIbLb1EES1U_IbLb0EEEEDaS1Q_S1R_EUlS1Q_E_NS1_11comp_targetILNS1_3genE10ELNS1_11target_archE1200ELNS1_3gpuE4ELNS1_3repE0EEENS1_30default_config_static_selectorELNS0_4arch9wavefront6targetE0EEEvS13_
    .private_segment_fixed_size: 0
    .sgpr_count:     0
    .sgpr_spill_count: 0
    .symbol:         _ZN7rocprim17ROCPRIM_400000_NS6detail17trampoline_kernelINS0_13select_configILj256ELj13ELNS0_17block_load_methodE3ELS4_3ELS4_3ELNS0_20block_scan_algorithmE0ELj4294967295EEENS1_25partition_config_selectorILNS1_17partition_subalgoE4EjNS0_10empty_typeEbEEZZNS1_14partition_implILS8_4ELb0ES6_15HIP_vector_typeIjLj2EENS0_17counting_iteratorIjlEEPS9_SG_NS0_5tupleIJPjSI_NS0_16reverse_iteratorISI_EEEEENSH_IJSG_SG_SG_EEES9_SI_JZNS1_25segmented_radix_sort_implINS0_14default_configELb0EPK6__halfPSP_PKlPlN2at6native12_GLOBAL__N_18offset_tEEE10hipError_tPvRmT1_PNSt15iterator_traitsIS13_E10value_typeET2_T3_PNS14_IS19_E10value_typeET4_jRbjT5_S1F_jjP12ihipStream_tbEUljE_ZNSN_ISO_Lb0ESR_SS_SU_SV_SZ_EES10_S11_S12_S13_S17_S18_S19_S1C_S1D_jS1E_jS1F_S1F_jjS1H_bEUljE0_EEES10_S11_S12_S19_S1D_S1F_T6_T7_T9_mT8_S1H_bDpT10_ENKUlT_T0_E_clISt17integral_constantIbLb1EES1U_IbLb0EEEEDaS1Q_S1R_EUlS1Q_E_NS1_11comp_targetILNS1_3genE10ELNS1_11target_archE1200ELNS1_3gpuE4ELNS1_3repE0EEENS1_30default_config_static_selectorELNS0_4arch9wavefront6targetE0EEEvS13_.kd
    .uniform_work_group_size: 1
    .uses_dynamic_stack: false
    .vgpr_count:     0
    .vgpr_spill_count: 0
    .wavefront_size: 32
    .workgroup_processor_mode: 1
  - .args:
      - .offset:         0
        .size:           176
        .value_kind:     by_value
    .group_segment_fixed_size: 0
    .kernarg_segment_align: 8
    .kernarg_segment_size: 176
    .language:       OpenCL C
    .language_version:
      - 2
      - 0
    .max_flat_workgroup_size: 256
    .name:           _ZN7rocprim17ROCPRIM_400000_NS6detail17trampoline_kernelINS0_13select_configILj256ELj13ELNS0_17block_load_methodE3ELS4_3ELS4_3ELNS0_20block_scan_algorithmE0ELj4294967295EEENS1_25partition_config_selectorILNS1_17partition_subalgoE4EjNS0_10empty_typeEbEEZZNS1_14partition_implILS8_4ELb0ES6_15HIP_vector_typeIjLj2EENS0_17counting_iteratorIjlEEPS9_SG_NS0_5tupleIJPjSI_NS0_16reverse_iteratorISI_EEEEENSH_IJSG_SG_SG_EEES9_SI_JZNS1_25segmented_radix_sort_implINS0_14default_configELb0EPK6__halfPSP_PKlPlN2at6native12_GLOBAL__N_18offset_tEEE10hipError_tPvRmT1_PNSt15iterator_traitsIS13_E10value_typeET2_T3_PNS14_IS19_E10value_typeET4_jRbjT5_S1F_jjP12ihipStream_tbEUljE_ZNSN_ISO_Lb0ESR_SS_SU_SV_SZ_EES10_S11_S12_S13_S17_S18_S19_S1C_S1D_jS1E_jS1F_S1F_jjS1H_bEUljE0_EEES10_S11_S12_S19_S1D_S1F_T6_T7_T9_mT8_S1H_bDpT10_ENKUlT_T0_E_clISt17integral_constantIbLb1EES1U_IbLb0EEEEDaS1Q_S1R_EUlS1Q_E_NS1_11comp_targetILNS1_3genE9ELNS1_11target_archE1100ELNS1_3gpuE3ELNS1_3repE0EEENS1_30default_config_static_selectorELNS0_4arch9wavefront6targetE0EEEvS13_
    .private_segment_fixed_size: 0
    .sgpr_count:     0
    .sgpr_spill_count: 0
    .symbol:         _ZN7rocprim17ROCPRIM_400000_NS6detail17trampoline_kernelINS0_13select_configILj256ELj13ELNS0_17block_load_methodE3ELS4_3ELS4_3ELNS0_20block_scan_algorithmE0ELj4294967295EEENS1_25partition_config_selectorILNS1_17partition_subalgoE4EjNS0_10empty_typeEbEEZZNS1_14partition_implILS8_4ELb0ES6_15HIP_vector_typeIjLj2EENS0_17counting_iteratorIjlEEPS9_SG_NS0_5tupleIJPjSI_NS0_16reverse_iteratorISI_EEEEENSH_IJSG_SG_SG_EEES9_SI_JZNS1_25segmented_radix_sort_implINS0_14default_configELb0EPK6__halfPSP_PKlPlN2at6native12_GLOBAL__N_18offset_tEEE10hipError_tPvRmT1_PNSt15iterator_traitsIS13_E10value_typeET2_T3_PNS14_IS19_E10value_typeET4_jRbjT5_S1F_jjP12ihipStream_tbEUljE_ZNSN_ISO_Lb0ESR_SS_SU_SV_SZ_EES10_S11_S12_S13_S17_S18_S19_S1C_S1D_jS1E_jS1F_S1F_jjS1H_bEUljE0_EEES10_S11_S12_S19_S1D_S1F_T6_T7_T9_mT8_S1H_bDpT10_ENKUlT_T0_E_clISt17integral_constantIbLb1EES1U_IbLb0EEEEDaS1Q_S1R_EUlS1Q_E_NS1_11comp_targetILNS1_3genE9ELNS1_11target_archE1100ELNS1_3gpuE3ELNS1_3repE0EEENS1_30default_config_static_selectorELNS0_4arch9wavefront6targetE0EEEvS13_.kd
    .uniform_work_group_size: 1
    .uses_dynamic_stack: false
    .vgpr_count:     0
    .vgpr_spill_count: 0
    .wavefront_size: 32
    .workgroup_processor_mode: 1
  - .args:
      - .offset:         0
        .size:           176
        .value_kind:     by_value
    .group_segment_fixed_size: 0
    .kernarg_segment_align: 8
    .kernarg_segment_size: 176
    .language:       OpenCL C
    .language_version:
      - 2
      - 0
    .max_flat_workgroup_size: 256
    .name:           _ZN7rocprim17ROCPRIM_400000_NS6detail17trampoline_kernelINS0_13select_configILj256ELj13ELNS0_17block_load_methodE3ELS4_3ELS4_3ELNS0_20block_scan_algorithmE0ELj4294967295EEENS1_25partition_config_selectorILNS1_17partition_subalgoE4EjNS0_10empty_typeEbEEZZNS1_14partition_implILS8_4ELb0ES6_15HIP_vector_typeIjLj2EENS0_17counting_iteratorIjlEEPS9_SG_NS0_5tupleIJPjSI_NS0_16reverse_iteratorISI_EEEEENSH_IJSG_SG_SG_EEES9_SI_JZNS1_25segmented_radix_sort_implINS0_14default_configELb0EPK6__halfPSP_PKlPlN2at6native12_GLOBAL__N_18offset_tEEE10hipError_tPvRmT1_PNSt15iterator_traitsIS13_E10value_typeET2_T3_PNS14_IS19_E10value_typeET4_jRbjT5_S1F_jjP12ihipStream_tbEUljE_ZNSN_ISO_Lb0ESR_SS_SU_SV_SZ_EES10_S11_S12_S13_S17_S18_S19_S1C_S1D_jS1E_jS1F_S1F_jjS1H_bEUljE0_EEES10_S11_S12_S19_S1D_S1F_T6_T7_T9_mT8_S1H_bDpT10_ENKUlT_T0_E_clISt17integral_constantIbLb1EES1U_IbLb0EEEEDaS1Q_S1R_EUlS1Q_E_NS1_11comp_targetILNS1_3genE8ELNS1_11target_archE1030ELNS1_3gpuE2ELNS1_3repE0EEENS1_30default_config_static_selectorELNS0_4arch9wavefront6targetE0EEEvS13_
    .private_segment_fixed_size: 0
    .sgpr_count:     0
    .sgpr_spill_count: 0
    .symbol:         _ZN7rocprim17ROCPRIM_400000_NS6detail17trampoline_kernelINS0_13select_configILj256ELj13ELNS0_17block_load_methodE3ELS4_3ELS4_3ELNS0_20block_scan_algorithmE0ELj4294967295EEENS1_25partition_config_selectorILNS1_17partition_subalgoE4EjNS0_10empty_typeEbEEZZNS1_14partition_implILS8_4ELb0ES6_15HIP_vector_typeIjLj2EENS0_17counting_iteratorIjlEEPS9_SG_NS0_5tupleIJPjSI_NS0_16reverse_iteratorISI_EEEEENSH_IJSG_SG_SG_EEES9_SI_JZNS1_25segmented_radix_sort_implINS0_14default_configELb0EPK6__halfPSP_PKlPlN2at6native12_GLOBAL__N_18offset_tEEE10hipError_tPvRmT1_PNSt15iterator_traitsIS13_E10value_typeET2_T3_PNS14_IS19_E10value_typeET4_jRbjT5_S1F_jjP12ihipStream_tbEUljE_ZNSN_ISO_Lb0ESR_SS_SU_SV_SZ_EES10_S11_S12_S13_S17_S18_S19_S1C_S1D_jS1E_jS1F_S1F_jjS1H_bEUljE0_EEES10_S11_S12_S19_S1D_S1F_T6_T7_T9_mT8_S1H_bDpT10_ENKUlT_T0_E_clISt17integral_constantIbLb1EES1U_IbLb0EEEEDaS1Q_S1R_EUlS1Q_E_NS1_11comp_targetILNS1_3genE8ELNS1_11target_archE1030ELNS1_3gpuE2ELNS1_3repE0EEENS1_30default_config_static_selectorELNS0_4arch9wavefront6targetE0EEEvS13_.kd
    .uniform_work_group_size: 1
    .uses_dynamic_stack: false
    .vgpr_count:     0
    .vgpr_spill_count: 0
    .wavefront_size: 32
    .workgroup_processor_mode: 1
  - .args:
      - .offset:         0
        .size:           184
        .value_kind:     by_value
    .group_segment_fixed_size: 0
    .kernarg_segment_align: 8
    .kernarg_segment_size: 184
    .language:       OpenCL C
    .language_version:
      - 2
      - 0
    .max_flat_workgroup_size: 256
    .name:           _ZN7rocprim17ROCPRIM_400000_NS6detail17trampoline_kernelINS0_13select_configILj256ELj13ELNS0_17block_load_methodE3ELS4_3ELS4_3ELNS0_20block_scan_algorithmE0ELj4294967295EEENS1_25partition_config_selectorILNS1_17partition_subalgoE4EjNS0_10empty_typeEbEEZZNS1_14partition_implILS8_4ELb0ES6_15HIP_vector_typeIjLj2EENS0_17counting_iteratorIjlEEPS9_SG_NS0_5tupleIJPjSI_NS0_16reverse_iteratorISI_EEEEENSH_IJSG_SG_SG_EEES9_SI_JZNS1_25segmented_radix_sort_implINS0_14default_configELb0EPK6__halfPSP_PKlPlN2at6native12_GLOBAL__N_18offset_tEEE10hipError_tPvRmT1_PNSt15iterator_traitsIS13_E10value_typeET2_T3_PNS14_IS19_E10value_typeET4_jRbjT5_S1F_jjP12ihipStream_tbEUljE_ZNSN_ISO_Lb0ESR_SS_SU_SV_SZ_EES10_S11_S12_S13_S17_S18_S19_S1C_S1D_jS1E_jS1F_S1F_jjS1H_bEUljE0_EEES10_S11_S12_S19_S1D_S1F_T6_T7_T9_mT8_S1H_bDpT10_ENKUlT_T0_E_clISt17integral_constantIbLb0EES1U_IbLb1EEEEDaS1Q_S1R_EUlS1Q_E_NS1_11comp_targetILNS1_3genE0ELNS1_11target_archE4294967295ELNS1_3gpuE0ELNS1_3repE0EEENS1_30default_config_static_selectorELNS0_4arch9wavefront6targetE0EEEvS13_
    .private_segment_fixed_size: 0
    .sgpr_count:     0
    .sgpr_spill_count: 0
    .symbol:         _ZN7rocprim17ROCPRIM_400000_NS6detail17trampoline_kernelINS0_13select_configILj256ELj13ELNS0_17block_load_methodE3ELS4_3ELS4_3ELNS0_20block_scan_algorithmE0ELj4294967295EEENS1_25partition_config_selectorILNS1_17partition_subalgoE4EjNS0_10empty_typeEbEEZZNS1_14partition_implILS8_4ELb0ES6_15HIP_vector_typeIjLj2EENS0_17counting_iteratorIjlEEPS9_SG_NS0_5tupleIJPjSI_NS0_16reverse_iteratorISI_EEEEENSH_IJSG_SG_SG_EEES9_SI_JZNS1_25segmented_radix_sort_implINS0_14default_configELb0EPK6__halfPSP_PKlPlN2at6native12_GLOBAL__N_18offset_tEEE10hipError_tPvRmT1_PNSt15iterator_traitsIS13_E10value_typeET2_T3_PNS14_IS19_E10value_typeET4_jRbjT5_S1F_jjP12ihipStream_tbEUljE_ZNSN_ISO_Lb0ESR_SS_SU_SV_SZ_EES10_S11_S12_S13_S17_S18_S19_S1C_S1D_jS1E_jS1F_S1F_jjS1H_bEUljE0_EEES10_S11_S12_S19_S1D_S1F_T6_T7_T9_mT8_S1H_bDpT10_ENKUlT_T0_E_clISt17integral_constantIbLb0EES1U_IbLb1EEEEDaS1Q_S1R_EUlS1Q_E_NS1_11comp_targetILNS1_3genE0ELNS1_11target_archE4294967295ELNS1_3gpuE0ELNS1_3repE0EEENS1_30default_config_static_selectorELNS0_4arch9wavefront6targetE0EEEvS13_.kd
    .uniform_work_group_size: 1
    .uses_dynamic_stack: false
    .vgpr_count:     0
    .vgpr_spill_count: 0
    .wavefront_size: 32
    .workgroup_processor_mode: 1
  - .args:
      - .offset:         0
        .size:           184
        .value_kind:     by_value
    .group_segment_fixed_size: 0
    .kernarg_segment_align: 8
    .kernarg_segment_size: 184
    .language:       OpenCL C
    .language_version:
      - 2
      - 0
    .max_flat_workgroup_size: 256
    .name:           _ZN7rocprim17ROCPRIM_400000_NS6detail17trampoline_kernelINS0_13select_configILj256ELj13ELNS0_17block_load_methodE3ELS4_3ELS4_3ELNS0_20block_scan_algorithmE0ELj4294967295EEENS1_25partition_config_selectorILNS1_17partition_subalgoE4EjNS0_10empty_typeEbEEZZNS1_14partition_implILS8_4ELb0ES6_15HIP_vector_typeIjLj2EENS0_17counting_iteratorIjlEEPS9_SG_NS0_5tupleIJPjSI_NS0_16reverse_iteratorISI_EEEEENSH_IJSG_SG_SG_EEES9_SI_JZNS1_25segmented_radix_sort_implINS0_14default_configELb0EPK6__halfPSP_PKlPlN2at6native12_GLOBAL__N_18offset_tEEE10hipError_tPvRmT1_PNSt15iterator_traitsIS13_E10value_typeET2_T3_PNS14_IS19_E10value_typeET4_jRbjT5_S1F_jjP12ihipStream_tbEUljE_ZNSN_ISO_Lb0ESR_SS_SU_SV_SZ_EES10_S11_S12_S13_S17_S18_S19_S1C_S1D_jS1E_jS1F_S1F_jjS1H_bEUljE0_EEES10_S11_S12_S19_S1D_S1F_T6_T7_T9_mT8_S1H_bDpT10_ENKUlT_T0_E_clISt17integral_constantIbLb0EES1U_IbLb1EEEEDaS1Q_S1R_EUlS1Q_E_NS1_11comp_targetILNS1_3genE5ELNS1_11target_archE942ELNS1_3gpuE9ELNS1_3repE0EEENS1_30default_config_static_selectorELNS0_4arch9wavefront6targetE0EEEvS13_
    .private_segment_fixed_size: 0
    .sgpr_count:     0
    .sgpr_spill_count: 0
    .symbol:         _ZN7rocprim17ROCPRIM_400000_NS6detail17trampoline_kernelINS0_13select_configILj256ELj13ELNS0_17block_load_methodE3ELS4_3ELS4_3ELNS0_20block_scan_algorithmE0ELj4294967295EEENS1_25partition_config_selectorILNS1_17partition_subalgoE4EjNS0_10empty_typeEbEEZZNS1_14partition_implILS8_4ELb0ES6_15HIP_vector_typeIjLj2EENS0_17counting_iteratorIjlEEPS9_SG_NS0_5tupleIJPjSI_NS0_16reverse_iteratorISI_EEEEENSH_IJSG_SG_SG_EEES9_SI_JZNS1_25segmented_radix_sort_implINS0_14default_configELb0EPK6__halfPSP_PKlPlN2at6native12_GLOBAL__N_18offset_tEEE10hipError_tPvRmT1_PNSt15iterator_traitsIS13_E10value_typeET2_T3_PNS14_IS19_E10value_typeET4_jRbjT5_S1F_jjP12ihipStream_tbEUljE_ZNSN_ISO_Lb0ESR_SS_SU_SV_SZ_EES10_S11_S12_S13_S17_S18_S19_S1C_S1D_jS1E_jS1F_S1F_jjS1H_bEUljE0_EEES10_S11_S12_S19_S1D_S1F_T6_T7_T9_mT8_S1H_bDpT10_ENKUlT_T0_E_clISt17integral_constantIbLb0EES1U_IbLb1EEEEDaS1Q_S1R_EUlS1Q_E_NS1_11comp_targetILNS1_3genE5ELNS1_11target_archE942ELNS1_3gpuE9ELNS1_3repE0EEENS1_30default_config_static_selectorELNS0_4arch9wavefront6targetE0EEEvS13_.kd
    .uniform_work_group_size: 1
    .uses_dynamic_stack: false
    .vgpr_count:     0
    .vgpr_spill_count: 0
    .wavefront_size: 32
    .workgroup_processor_mode: 1
  - .args:
      - .offset:         0
        .size:           184
        .value_kind:     by_value
    .group_segment_fixed_size: 0
    .kernarg_segment_align: 8
    .kernarg_segment_size: 184
    .language:       OpenCL C
    .language_version:
      - 2
      - 0
    .max_flat_workgroup_size: 256
    .name:           _ZN7rocprim17ROCPRIM_400000_NS6detail17trampoline_kernelINS0_13select_configILj256ELj13ELNS0_17block_load_methodE3ELS4_3ELS4_3ELNS0_20block_scan_algorithmE0ELj4294967295EEENS1_25partition_config_selectorILNS1_17partition_subalgoE4EjNS0_10empty_typeEbEEZZNS1_14partition_implILS8_4ELb0ES6_15HIP_vector_typeIjLj2EENS0_17counting_iteratorIjlEEPS9_SG_NS0_5tupleIJPjSI_NS0_16reverse_iteratorISI_EEEEENSH_IJSG_SG_SG_EEES9_SI_JZNS1_25segmented_radix_sort_implINS0_14default_configELb0EPK6__halfPSP_PKlPlN2at6native12_GLOBAL__N_18offset_tEEE10hipError_tPvRmT1_PNSt15iterator_traitsIS13_E10value_typeET2_T3_PNS14_IS19_E10value_typeET4_jRbjT5_S1F_jjP12ihipStream_tbEUljE_ZNSN_ISO_Lb0ESR_SS_SU_SV_SZ_EES10_S11_S12_S13_S17_S18_S19_S1C_S1D_jS1E_jS1F_S1F_jjS1H_bEUljE0_EEES10_S11_S12_S19_S1D_S1F_T6_T7_T9_mT8_S1H_bDpT10_ENKUlT_T0_E_clISt17integral_constantIbLb0EES1U_IbLb1EEEEDaS1Q_S1R_EUlS1Q_E_NS1_11comp_targetILNS1_3genE4ELNS1_11target_archE910ELNS1_3gpuE8ELNS1_3repE0EEENS1_30default_config_static_selectorELNS0_4arch9wavefront6targetE0EEEvS13_
    .private_segment_fixed_size: 0
    .sgpr_count:     0
    .sgpr_spill_count: 0
    .symbol:         _ZN7rocprim17ROCPRIM_400000_NS6detail17trampoline_kernelINS0_13select_configILj256ELj13ELNS0_17block_load_methodE3ELS4_3ELS4_3ELNS0_20block_scan_algorithmE0ELj4294967295EEENS1_25partition_config_selectorILNS1_17partition_subalgoE4EjNS0_10empty_typeEbEEZZNS1_14partition_implILS8_4ELb0ES6_15HIP_vector_typeIjLj2EENS0_17counting_iteratorIjlEEPS9_SG_NS0_5tupleIJPjSI_NS0_16reverse_iteratorISI_EEEEENSH_IJSG_SG_SG_EEES9_SI_JZNS1_25segmented_radix_sort_implINS0_14default_configELb0EPK6__halfPSP_PKlPlN2at6native12_GLOBAL__N_18offset_tEEE10hipError_tPvRmT1_PNSt15iterator_traitsIS13_E10value_typeET2_T3_PNS14_IS19_E10value_typeET4_jRbjT5_S1F_jjP12ihipStream_tbEUljE_ZNSN_ISO_Lb0ESR_SS_SU_SV_SZ_EES10_S11_S12_S13_S17_S18_S19_S1C_S1D_jS1E_jS1F_S1F_jjS1H_bEUljE0_EEES10_S11_S12_S19_S1D_S1F_T6_T7_T9_mT8_S1H_bDpT10_ENKUlT_T0_E_clISt17integral_constantIbLb0EES1U_IbLb1EEEEDaS1Q_S1R_EUlS1Q_E_NS1_11comp_targetILNS1_3genE4ELNS1_11target_archE910ELNS1_3gpuE8ELNS1_3repE0EEENS1_30default_config_static_selectorELNS0_4arch9wavefront6targetE0EEEvS13_.kd
    .uniform_work_group_size: 1
    .uses_dynamic_stack: false
    .vgpr_count:     0
    .vgpr_spill_count: 0
    .wavefront_size: 32
    .workgroup_processor_mode: 1
  - .args:
      - .offset:         0
        .size:           184
        .value_kind:     by_value
    .group_segment_fixed_size: 0
    .kernarg_segment_align: 8
    .kernarg_segment_size: 184
    .language:       OpenCL C
    .language_version:
      - 2
      - 0
    .max_flat_workgroup_size: 256
    .name:           _ZN7rocprim17ROCPRIM_400000_NS6detail17trampoline_kernelINS0_13select_configILj256ELj13ELNS0_17block_load_methodE3ELS4_3ELS4_3ELNS0_20block_scan_algorithmE0ELj4294967295EEENS1_25partition_config_selectorILNS1_17partition_subalgoE4EjNS0_10empty_typeEbEEZZNS1_14partition_implILS8_4ELb0ES6_15HIP_vector_typeIjLj2EENS0_17counting_iteratorIjlEEPS9_SG_NS0_5tupleIJPjSI_NS0_16reverse_iteratorISI_EEEEENSH_IJSG_SG_SG_EEES9_SI_JZNS1_25segmented_radix_sort_implINS0_14default_configELb0EPK6__halfPSP_PKlPlN2at6native12_GLOBAL__N_18offset_tEEE10hipError_tPvRmT1_PNSt15iterator_traitsIS13_E10value_typeET2_T3_PNS14_IS19_E10value_typeET4_jRbjT5_S1F_jjP12ihipStream_tbEUljE_ZNSN_ISO_Lb0ESR_SS_SU_SV_SZ_EES10_S11_S12_S13_S17_S18_S19_S1C_S1D_jS1E_jS1F_S1F_jjS1H_bEUljE0_EEES10_S11_S12_S19_S1D_S1F_T6_T7_T9_mT8_S1H_bDpT10_ENKUlT_T0_E_clISt17integral_constantIbLb0EES1U_IbLb1EEEEDaS1Q_S1R_EUlS1Q_E_NS1_11comp_targetILNS1_3genE3ELNS1_11target_archE908ELNS1_3gpuE7ELNS1_3repE0EEENS1_30default_config_static_selectorELNS0_4arch9wavefront6targetE0EEEvS13_
    .private_segment_fixed_size: 0
    .sgpr_count:     0
    .sgpr_spill_count: 0
    .symbol:         _ZN7rocprim17ROCPRIM_400000_NS6detail17trampoline_kernelINS0_13select_configILj256ELj13ELNS0_17block_load_methodE3ELS4_3ELS4_3ELNS0_20block_scan_algorithmE0ELj4294967295EEENS1_25partition_config_selectorILNS1_17partition_subalgoE4EjNS0_10empty_typeEbEEZZNS1_14partition_implILS8_4ELb0ES6_15HIP_vector_typeIjLj2EENS0_17counting_iteratorIjlEEPS9_SG_NS0_5tupleIJPjSI_NS0_16reverse_iteratorISI_EEEEENSH_IJSG_SG_SG_EEES9_SI_JZNS1_25segmented_radix_sort_implINS0_14default_configELb0EPK6__halfPSP_PKlPlN2at6native12_GLOBAL__N_18offset_tEEE10hipError_tPvRmT1_PNSt15iterator_traitsIS13_E10value_typeET2_T3_PNS14_IS19_E10value_typeET4_jRbjT5_S1F_jjP12ihipStream_tbEUljE_ZNSN_ISO_Lb0ESR_SS_SU_SV_SZ_EES10_S11_S12_S13_S17_S18_S19_S1C_S1D_jS1E_jS1F_S1F_jjS1H_bEUljE0_EEES10_S11_S12_S19_S1D_S1F_T6_T7_T9_mT8_S1H_bDpT10_ENKUlT_T0_E_clISt17integral_constantIbLb0EES1U_IbLb1EEEEDaS1Q_S1R_EUlS1Q_E_NS1_11comp_targetILNS1_3genE3ELNS1_11target_archE908ELNS1_3gpuE7ELNS1_3repE0EEENS1_30default_config_static_selectorELNS0_4arch9wavefront6targetE0EEEvS13_.kd
    .uniform_work_group_size: 1
    .uses_dynamic_stack: false
    .vgpr_count:     0
    .vgpr_spill_count: 0
    .wavefront_size: 32
    .workgroup_processor_mode: 1
  - .args:
      - .offset:         0
        .size:           184
        .value_kind:     by_value
    .group_segment_fixed_size: 0
    .kernarg_segment_align: 8
    .kernarg_segment_size: 184
    .language:       OpenCL C
    .language_version:
      - 2
      - 0
    .max_flat_workgroup_size: 256
    .name:           _ZN7rocprim17ROCPRIM_400000_NS6detail17trampoline_kernelINS0_13select_configILj256ELj13ELNS0_17block_load_methodE3ELS4_3ELS4_3ELNS0_20block_scan_algorithmE0ELj4294967295EEENS1_25partition_config_selectorILNS1_17partition_subalgoE4EjNS0_10empty_typeEbEEZZNS1_14partition_implILS8_4ELb0ES6_15HIP_vector_typeIjLj2EENS0_17counting_iteratorIjlEEPS9_SG_NS0_5tupleIJPjSI_NS0_16reverse_iteratorISI_EEEEENSH_IJSG_SG_SG_EEES9_SI_JZNS1_25segmented_radix_sort_implINS0_14default_configELb0EPK6__halfPSP_PKlPlN2at6native12_GLOBAL__N_18offset_tEEE10hipError_tPvRmT1_PNSt15iterator_traitsIS13_E10value_typeET2_T3_PNS14_IS19_E10value_typeET4_jRbjT5_S1F_jjP12ihipStream_tbEUljE_ZNSN_ISO_Lb0ESR_SS_SU_SV_SZ_EES10_S11_S12_S13_S17_S18_S19_S1C_S1D_jS1E_jS1F_S1F_jjS1H_bEUljE0_EEES10_S11_S12_S19_S1D_S1F_T6_T7_T9_mT8_S1H_bDpT10_ENKUlT_T0_E_clISt17integral_constantIbLb0EES1U_IbLb1EEEEDaS1Q_S1R_EUlS1Q_E_NS1_11comp_targetILNS1_3genE2ELNS1_11target_archE906ELNS1_3gpuE6ELNS1_3repE0EEENS1_30default_config_static_selectorELNS0_4arch9wavefront6targetE0EEEvS13_
    .private_segment_fixed_size: 0
    .sgpr_count:     0
    .sgpr_spill_count: 0
    .symbol:         _ZN7rocprim17ROCPRIM_400000_NS6detail17trampoline_kernelINS0_13select_configILj256ELj13ELNS0_17block_load_methodE3ELS4_3ELS4_3ELNS0_20block_scan_algorithmE0ELj4294967295EEENS1_25partition_config_selectorILNS1_17partition_subalgoE4EjNS0_10empty_typeEbEEZZNS1_14partition_implILS8_4ELb0ES6_15HIP_vector_typeIjLj2EENS0_17counting_iteratorIjlEEPS9_SG_NS0_5tupleIJPjSI_NS0_16reverse_iteratorISI_EEEEENSH_IJSG_SG_SG_EEES9_SI_JZNS1_25segmented_radix_sort_implINS0_14default_configELb0EPK6__halfPSP_PKlPlN2at6native12_GLOBAL__N_18offset_tEEE10hipError_tPvRmT1_PNSt15iterator_traitsIS13_E10value_typeET2_T3_PNS14_IS19_E10value_typeET4_jRbjT5_S1F_jjP12ihipStream_tbEUljE_ZNSN_ISO_Lb0ESR_SS_SU_SV_SZ_EES10_S11_S12_S13_S17_S18_S19_S1C_S1D_jS1E_jS1F_S1F_jjS1H_bEUljE0_EEES10_S11_S12_S19_S1D_S1F_T6_T7_T9_mT8_S1H_bDpT10_ENKUlT_T0_E_clISt17integral_constantIbLb0EES1U_IbLb1EEEEDaS1Q_S1R_EUlS1Q_E_NS1_11comp_targetILNS1_3genE2ELNS1_11target_archE906ELNS1_3gpuE6ELNS1_3repE0EEENS1_30default_config_static_selectorELNS0_4arch9wavefront6targetE0EEEvS13_.kd
    .uniform_work_group_size: 1
    .uses_dynamic_stack: false
    .vgpr_count:     0
    .vgpr_spill_count: 0
    .wavefront_size: 32
    .workgroup_processor_mode: 1
  - .args:
      - .offset:         0
        .size:           184
        .value_kind:     by_value
    .group_segment_fixed_size: 0
    .kernarg_segment_align: 8
    .kernarg_segment_size: 184
    .language:       OpenCL C
    .language_version:
      - 2
      - 0
    .max_flat_workgroup_size: 256
    .name:           _ZN7rocprim17ROCPRIM_400000_NS6detail17trampoline_kernelINS0_13select_configILj256ELj13ELNS0_17block_load_methodE3ELS4_3ELS4_3ELNS0_20block_scan_algorithmE0ELj4294967295EEENS1_25partition_config_selectorILNS1_17partition_subalgoE4EjNS0_10empty_typeEbEEZZNS1_14partition_implILS8_4ELb0ES6_15HIP_vector_typeIjLj2EENS0_17counting_iteratorIjlEEPS9_SG_NS0_5tupleIJPjSI_NS0_16reverse_iteratorISI_EEEEENSH_IJSG_SG_SG_EEES9_SI_JZNS1_25segmented_radix_sort_implINS0_14default_configELb0EPK6__halfPSP_PKlPlN2at6native12_GLOBAL__N_18offset_tEEE10hipError_tPvRmT1_PNSt15iterator_traitsIS13_E10value_typeET2_T3_PNS14_IS19_E10value_typeET4_jRbjT5_S1F_jjP12ihipStream_tbEUljE_ZNSN_ISO_Lb0ESR_SS_SU_SV_SZ_EES10_S11_S12_S13_S17_S18_S19_S1C_S1D_jS1E_jS1F_S1F_jjS1H_bEUljE0_EEES10_S11_S12_S19_S1D_S1F_T6_T7_T9_mT8_S1H_bDpT10_ENKUlT_T0_E_clISt17integral_constantIbLb0EES1U_IbLb1EEEEDaS1Q_S1R_EUlS1Q_E_NS1_11comp_targetILNS1_3genE10ELNS1_11target_archE1200ELNS1_3gpuE4ELNS1_3repE0EEENS1_30default_config_static_selectorELNS0_4arch9wavefront6targetE0EEEvS13_
    .private_segment_fixed_size: 0
    .sgpr_count:     0
    .sgpr_spill_count: 0
    .symbol:         _ZN7rocprim17ROCPRIM_400000_NS6detail17trampoline_kernelINS0_13select_configILj256ELj13ELNS0_17block_load_methodE3ELS4_3ELS4_3ELNS0_20block_scan_algorithmE0ELj4294967295EEENS1_25partition_config_selectorILNS1_17partition_subalgoE4EjNS0_10empty_typeEbEEZZNS1_14partition_implILS8_4ELb0ES6_15HIP_vector_typeIjLj2EENS0_17counting_iteratorIjlEEPS9_SG_NS0_5tupleIJPjSI_NS0_16reverse_iteratorISI_EEEEENSH_IJSG_SG_SG_EEES9_SI_JZNS1_25segmented_radix_sort_implINS0_14default_configELb0EPK6__halfPSP_PKlPlN2at6native12_GLOBAL__N_18offset_tEEE10hipError_tPvRmT1_PNSt15iterator_traitsIS13_E10value_typeET2_T3_PNS14_IS19_E10value_typeET4_jRbjT5_S1F_jjP12ihipStream_tbEUljE_ZNSN_ISO_Lb0ESR_SS_SU_SV_SZ_EES10_S11_S12_S13_S17_S18_S19_S1C_S1D_jS1E_jS1F_S1F_jjS1H_bEUljE0_EEES10_S11_S12_S19_S1D_S1F_T6_T7_T9_mT8_S1H_bDpT10_ENKUlT_T0_E_clISt17integral_constantIbLb0EES1U_IbLb1EEEEDaS1Q_S1R_EUlS1Q_E_NS1_11comp_targetILNS1_3genE10ELNS1_11target_archE1200ELNS1_3gpuE4ELNS1_3repE0EEENS1_30default_config_static_selectorELNS0_4arch9wavefront6targetE0EEEvS13_.kd
    .uniform_work_group_size: 1
    .uses_dynamic_stack: false
    .vgpr_count:     0
    .vgpr_spill_count: 0
    .wavefront_size: 32
    .workgroup_processor_mode: 1
  - .args:
      - .offset:         0
        .size:           184
        .value_kind:     by_value
    .group_segment_fixed_size: 0
    .kernarg_segment_align: 8
    .kernarg_segment_size: 184
    .language:       OpenCL C
    .language_version:
      - 2
      - 0
    .max_flat_workgroup_size: 256
    .name:           _ZN7rocprim17ROCPRIM_400000_NS6detail17trampoline_kernelINS0_13select_configILj256ELj13ELNS0_17block_load_methodE3ELS4_3ELS4_3ELNS0_20block_scan_algorithmE0ELj4294967295EEENS1_25partition_config_selectorILNS1_17partition_subalgoE4EjNS0_10empty_typeEbEEZZNS1_14partition_implILS8_4ELb0ES6_15HIP_vector_typeIjLj2EENS0_17counting_iteratorIjlEEPS9_SG_NS0_5tupleIJPjSI_NS0_16reverse_iteratorISI_EEEEENSH_IJSG_SG_SG_EEES9_SI_JZNS1_25segmented_radix_sort_implINS0_14default_configELb0EPK6__halfPSP_PKlPlN2at6native12_GLOBAL__N_18offset_tEEE10hipError_tPvRmT1_PNSt15iterator_traitsIS13_E10value_typeET2_T3_PNS14_IS19_E10value_typeET4_jRbjT5_S1F_jjP12ihipStream_tbEUljE_ZNSN_ISO_Lb0ESR_SS_SU_SV_SZ_EES10_S11_S12_S13_S17_S18_S19_S1C_S1D_jS1E_jS1F_S1F_jjS1H_bEUljE0_EEES10_S11_S12_S19_S1D_S1F_T6_T7_T9_mT8_S1H_bDpT10_ENKUlT_T0_E_clISt17integral_constantIbLb0EES1U_IbLb1EEEEDaS1Q_S1R_EUlS1Q_E_NS1_11comp_targetILNS1_3genE9ELNS1_11target_archE1100ELNS1_3gpuE3ELNS1_3repE0EEENS1_30default_config_static_selectorELNS0_4arch9wavefront6targetE0EEEvS13_
    .private_segment_fixed_size: 0
    .sgpr_count:     0
    .sgpr_spill_count: 0
    .symbol:         _ZN7rocprim17ROCPRIM_400000_NS6detail17trampoline_kernelINS0_13select_configILj256ELj13ELNS0_17block_load_methodE3ELS4_3ELS4_3ELNS0_20block_scan_algorithmE0ELj4294967295EEENS1_25partition_config_selectorILNS1_17partition_subalgoE4EjNS0_10empty_typeEbEEZZNS1_14partition_implILS8_4ELb0ES6_15HIP_vector_typeIjLj2EENS0_17counting_iteratorIjlEEPS9_SG_NS0_5tupleIJPjSI_NS0_16reverse_iteratorISI_EEEEENSH_IJSG_SG_SG_EEES9_SI_JZNS1_25segmented_radix_sort_implINS0_14default_configELb0EPK6__halfPSP_PKlPlN2at6native12_GLOBAL__N_18offset_tEEE10hipError_tPvRmT1_PNSt15iterator_traitsIS13_E10value_typeET2_T3_PNS14_IS19_E10value_typeET4_jRbjT5_S1F_jjP12ihipStream_tbEUljE_ZNSN_ISO_Lb0ESR_SS_SU_SV_SZ_EES10_S11_S12_S13_S17_S18_S19_S1C_S1D_jS1E_jS1F_S1F_jjS1H_bEUljE0_EEES10_S11_S12_S19_S1D_S1F_T6_T7_T9_mT8_S1H_bDpT10_ENKUlT_T0_E_clISt17integral_constantIbLb0EES1U_IbLb1EEEEDaS1Q_S1R_EUlS1Q_E_NS1_11comp_targetILNS1_3genE9ELNS1_11target_archE1100ELNS1_3gpuE3ELNS1_3repE0EEENS1_30default_config_static_selectorELNS0_4arch9wavefront6targetE0EEEvS13_.kd
    .uniform_work_group_size: 1
    .uses_dynamic_stack: false
    .vgpr_count:     0
    .vgpr_spill_count: 0
    .wavefront_size: 32
    .workgroup_processor_mode: 1
  - .args:
      - .offset:         0
        .size:           184
        .value_kind:     by_value
    .group_segment_fixed_size: 13328
    .kernarg_segment_align: 8
    .kernarg_segment_size: 184
    .language:       OpenCL C
    .language_version:
      - 2
      - 0
    .max_flat_workgroup_size: 256
    .name:           _ZN7rocprim17ROCPRIM_400000_NS6detail17trampoline_kernelINS0_13select_configILj256ELj13ELNS0_17block_load_methodE3ELS4_3ELS4_3ELNS0_20block_scan_algorithmE0ELj4294967295EEENS1_25partition_config_selectorILNS1_17partition_subalgoE4EjNS0_10empty_typeEbEEZZNS1_14partition_implILS8_4ELb0ES6_15HIP_vector_typeIjLj2EENS0_17counting_iteratorIjlEEPS9_SG_NS0_5tupleIJPjSI_NS0_16reverse_iteratorISI_EEEEENSH_IJSG_SG_SG_EEES9_SI_JZNS1_25segmented_radix_sort_implINS0_14default_configELb0EPK6__halfPSP_PKlPlN2at6native12_GLOBAL__N_18offset_tEEE10hipError_tPvRmT1_PNSt15iterator_traitsIS13_E10value_typeET2_T3_PNS14_IS19_E10value_typeET4_jRbjT5_S1F_jjP12ihipStream_tbEUljE_ZNSN_ISO_Lb0ESR_SS_SU_SV_SZ_EES10_S11_S12_S13_S17_S18_S19_S1C_S1D_jS1E_jS1F_S1F_jjS1H_bEUljE0_EEES10_S11_S12_S19_S1D_S1F_T6_T7_T9_mT8_S1H_bDpT10_ENKUlT_T0_E_clISt17integral_constantIbLb0EES1U_IbLb1EEEEDaS1Q_S1R_EUlS1Q_E_NS1_11comp_targetILNS1_3genE8ELNS1_11target_archE1030ELNS1_3gpuE2ELNS1_3repE0EEENS1_30default_config_static_selectorELNS0_4arch9wavefront6targetE0EEEvS13_
    .private_segment_fixed_size: 0
    .sgpr_count:     57
    .sgpr_spill_count: 0
    .symbol:         _ZN7rocprim17ROCPRIM_400000_NS6detail17trampoline_kernelINS0_13select_configILj256ELj13ELNS0_17block_load_methodE3ELS4_3ELS4_3ELNS0_20block_scan_algorithmE0ELj4294967295EEENS1_25partition_config_selectorILNS1_17partition_subalgoE4EjNS0_10empty_typeEbEEZZNS1_14partition_implILS8_4ELb0ES6_15HIP_vector_typeIjLj2EENS0_17counting_iteratorIjlEEPS9_SG_NS0_5tupleIJPjSI_NS0_16reverse_iteratorISI_EEEEENSH_IJSG_SG_SG_EEES9_SI_JZNS1_25segmented_radix_sort_implINS0_14default_configELb0EPK6__halfPSP_PKlPlN2at6native12_GLOBAL__N_18offset_tEEE10hipError_tPvRmT1_PNSt15iterator_traitsIS13_E10value_typeET2_T3_PNS14_IS19_E10value_typeET4_jRbjT5_S1F_jjP12ihipStream_tbEUljE_ZNSN_ISO_Lb0ESR_SS_SU_SV_SZ_EES10_S11_S12_S13_S17_S18_S19_S1C_S1D_jS1E_jS1F_S1F_jjS1H_bEUljE0_EEES10_S11_S12_S19_S1D_S1F_T6_T7_T9_mT8_S1H_bDpT10_ENKUlT_T0_E_clISt17integral_constantIbLb0EES1U_IbLb1EEEEDaS1Q_S1R_EUlS1Q_E_NS1_11comp_targetILNS1_3genE8ELNS1_11target_archE1030ELNS1_3gpuE2ELNS1_3repE0EEENS1_30default_config_static_selectorELNS0_4arch9wavefront6targetE0EEEvS13_.kd
    .uniform_work_group_size: 1
    .uses_dynamic_stack: false
    .vgpr_count:     87
    .vgpr_spill_count: 0
    .wavefront_size: 32
    .workgroup_processor_mode: 1
  - .args:
      - .offset:         0
        .size:           144
        .value_kind:     by_value
    .group_segment_fixed_size: 0
    .kernarg_segment_align: 8
    .kernarg_segment_size: 144
    .language:       OpenCL C
    .language_version:
      - 2
      - 0
    .max_flat_workgroup_size: 256
    .name:           _ZN7rocprim17ROCPRIM_400000_NS6detail17trampoline_kernelINS0_13select_configILj256ELj13ELNS0_17block_load_methodE3ELS4_3ELS4_3ELNS0_20block_scan_algorithmE0ELj4294967295EEENS1_25partition_config_selectorILNS1_17partition_subalgoE3EjNS0_10empty_typeEbEEZZNS1_14partition_implILS8_3ELb0ES6_jNS0_17counting_iteratorIjlEEPS9_SE_NS0_5tupleIJPjSE_EEENSF_IJSE_SE_EEES9_SG_JZNS1_25segmented_radix_sort_implINS0_14default_configELb0EPK6__halfPSL_PKlPlN2at6native12_GLOBAL__N_18offset_tEEE10hipError_tPvRmT1_PNSt15iterator_traitsISZ_E10value_typeET2_T3_PNS10_IS15_E10value_typeET4_jRbjT5_S1B_jjP12ihipStream_tbEUljE_EEESW_SX_SY_S15_S19_S1B_T6_T7_T9_mT8_S1D_bDpT10_ENKUlT_T0_E_clISt17integral_constantIbLb0EES1Q_EEDaS1L_S1M_EUlS1L_E_NS1_11comp_targetILNS1_3genE0ELNS1_11target_archE4294967295ELNS1_3gpuE0ELNS1_3repE0EEENS1_30default_config_static_selectorELNS0_4arch9wavefront6targetE0EEEvSZ_
    .private_segment_fixed_size: 0
    .sgpr_count:     0
    .sgpr_spill_count: 0
    .symbol:         _ZN7rocprim17ROCPRIM_400000_NS6detail17trampoline_kernelINS0_13select_configILj256ELj13ELNS0_17block_load_methodE3ELS4_3ELS4_3ELNS0_20block_scan_algorithmE0ELj4294967295EEENS1_25partition_config_selectorILNS1_17partition_subalgoE3EjNS0_10empty_typeEbEEZZNS1_14partition_implILS8_3ELb0ES6_jNS0_17counting_iteratorIjlEEPS9_SE_NS0_5tupleIJPjSE_EEENSF_IJSE_SE_EEES9_SG_JZNS1_25segmented_radix_sort_implINS0_14default_configELb0EPK6__halfPSL_PKlPlN2at6native12_GLOBAL__N_18offset_tEEE10hipError_tPvRmT1_PNSt15iterator_traitsISZ_E10value_typeET2_T3_PNS10_IS15_E10value_typeET4_jRbjT5_S1B_jjP12ihipStream_tbEUljE_EEESW_SX_SY_S15_S19_S1B_T6_T7_T9_mT8_S1D_bDpT10_ENKUlT_T0_E_clISt17integral_constantIbLb0EES1Q_EEDaS1L_S1M_EUlS1L_E_NS1_11comp_targetILNS1_3genE0ELNS1_11target_archE4294967295ELNS1_3gpuE0ELNS1_3repE0EEENS1_30default_config_static_selectorELNS0_4arch9wavefront6targetE0EEEvSZ_.kd
    .uniform_work_group_size: 1
    .uses_dynamic_stack: false
    .vgpr_count:     0
    .vgpr_spill_count: 0
    .wavefront_size: 32
    .workgroup_processor_mode: 1
  - .args:
      - .offset:         0
        .size:           144
        .value_kind:     by_value
    .group_segment_fixed_size: 0
    .kernarg_segment_align: 8
    .kernarg_segment_size: 144
    .language:       OpenCL C
    .language_version:
      - 2
      - 0
    .max_flat_workgroup_size: 256
    .name:           _ZN7rocprim17ROCPRIM_400000_NS6detail17trampoline_kernelINS0_13select_configILj256ELj13ELNS0_17block_load_methodE3ELS4_3ELS4_3ELNS0_20block_scan_algorithmE0ELj4294967295EEENS1_25partition_config_selectorILNS1_17partition_subalgoE3EjNS0_10empty_typeEbEEZZNS1_14partition_implILS8_3ELb0ES6_jNS0_17counting_iteratorIjlEEPS9_SE_NS0_5tupleIJPjSE_EEENSF_IJSE_SE_EEES9_SG_JZNS1_25segmented_radix_sort_implINS0_14default_configELb0EPK6__halfPSL_PKlPlN2at6native12_GLOBAL__N_18offset_tEEE10hipError_tPvRmT1_PNSt15iterator_traitsISZ_E10value_typeET2_T3_PNS10_IS15_E10value_typeET4_jRbjT5_S1B_jjP12ihipStream_tbEUljE_EEESW_SX_SY_S15_S19_S1B_T6_T7_T9_mT8_S1D_bDpT10_ENKUlT_T0_E_clISt17integral_constantIbLb0EES1Q_EEDaS1L_S1M_EUlS1L_E_NS1_11comp_targetILNS1_3genE5ELNS1_11target_archE942ELNS1_3gpuE9ELNS1_3repE0EEENS1_30default_config_static_selectorELNS0_4arch9wavefront6targetE0EEEvSZ_
    .private_segment_fixed_size: 0
    .sgpr_count:     0
    .sgpr_spill_count: 0
    .symbol:         _ZN7rocprim17ROCPRIM_400000_NS6detail17trampoline_kernelINS0_13select_configILj256ELj13ELNS0_17block_load_methodE3ELS4_3ELS4_3ELNS0_20block_scan_algorithmE0ELj4294967295EEENS1_25partition_config_selectorILNS1_17partition_subalgoE3EjNS0_10empty_typeEbEEZZNS1_14partition_implILS8_3ELb0ES6_jNS0_17counting_iteratorIjlEEPS9_SE_NS0_5tupleIJPjSE_EEENSF_IJSE_SE_EEES9_SG_JZNS1_25segmented_radix_sort_implINS0_14default_configELb0EPK6__halfPSL_PKlPlN2at6native12_GLOBAL__N_18offset_tEEE10hipError_tPvRmT1_PNSt15iterator_traitsISZ_E10value_typeET2_T3_PNS10_IS15_E10value_typeET4_jRbjT5_S1B_jjP12ihipStream_tbEUljE_EEESW_SX_SY_S15_S19_S1B_T6_T7_T9_mT8_S1D_bDpT10_ENKUlT_T0_E_clISt17integral_constantIbLb0EES1Q_EEDaS1L_S1M_EUlS1L_E_NS1_11comp_targetILNS1_3genE5ELNS1_11target_archE942ELNS1_3gpuE9ELNS1_3repE0EEENS1_30default_config_static_selectorELNS0_4arch9wavefront6targetE0EEEvSZ_.kd
    .uniform_work_group_size: 1
    .uses_dynamic_stack: false
    .vgpr_count:     0
    .vgpr_spill_count: 0
    .wavefront_size: 32
    .workgroup_processor_mode: 1
  - .args:
      - .offset:         0
        .size:           144
        .value_kind:     by_value
    .group_segment_fixed_size: 0
    .kernarg_segment_align: 8
    .kernarg_segment_size: 144
    .language:       OpenCL C
    .language_version:
      - 2
      - 0
    .max_flat_workgroup_size: 256
    .name:           _ZN7rocprim17ROCPRIM_400000_NS6detail17trampoline_kernelINS0_13select_configILj256ELj13ELNS0_17block_load_methodE3ELS4_3ELS4_3ELNS0_20block_scan_algorithmE0ELj4294967295EEENS1_25partition_config_selectorILNS1_17partition_subalgoE3EjNS0_10empty_typeEbEEZZNS1_14partition_implILS8_3ELb0ES6_jNS0_17counting_iteratorIjlEEPS9_SE_NS0_5tupleIJPjSE_EEENSF_IJSE_SE_EEES9_SG_JZNS1_25segmented_radix_sort_implINS0_14default_configELb0EPK6__halfPSL_PKlPlN2at6native12_GLOBAL__N_18offset_tEEE10hipError_tPvRmT1_PNSt15iterator_traitsISZ_E10value_typeET2_T3_PNS10_IS15_E10value_typeET4_jRbjT5_S1B_jjP12ihipStream_tbEUljE_EEESW_SX_SY_S15_S19_S1B_T6_T7_T9_mT8_S1D_bDpT10_ENKUlT_T0_E_clISt17integral_constantIbLb0EES1Q_EEDaS1L_S1M_EUlS1L_E_NS1_11comp_targetILNS1_3genE4ELNS1_11target_archE910ELNS1_3gpuE8ELNS1_3repE0EEENS1_30default_config_static_selectorELNS0_4arch9wavefront6targetE0EEEvSZ_
    .private_segment_fixed_size: 0
    .sgpr_count:     0
    .sgpr_spill_count: 0
    .symbol:         _ZN7rocprim17ROCPRIM_400000_NS6detail17trampoline_kernelINS0_13select_configILj256ELj13ELNS0_17block_load_methodE3ELS4_3ELS4_3ELNS0_20block_scan_algorithmE0ELj4294967295EEENS1_25partition_config_selectorILNS1_17partition_subalgoE3EjNS0_10empty_typeEbEEZZNS1_14partition_implILS8_3ELb0ES6_jNS0_17counting_iteratorIjlEEPS9_SE_NS0_5tupleIJPjSE_EEENSF_IJSE_SE_EEES9_SG_JZNS1_25segmented_radix_sort_implINS0_14default_configELb0EPK6__halfPSL_PKlPlN2at6native12_GLOBAL__N_18offset_tEEE10hipError_tPvRmT1_PNSt15iterator_traitsISZ_E10value_typeET2_T3_PNS10_IS15_E10value_typeET4_jRbjT5_S1B_jjP12ihipStream_tbEUljE_EEESW_SX_SY_S15_S19_S1B_T6_T7_T9_mT8_S1D_bDpT10_ENKUlT_T0_E_clISt17integral_constantIbLb0EES1Q_EEDaS1L_S1M_EUlS1L_E_NS1_11comp_targetILNS1_3genE4ELNS1_11target_archE910ELNS1_3gpuE8ELNS1_3repE0EEENS1_30default_config_static_selectorELNS0_4arch9wavefront6targetE0EEEvSZ_.kd
    .uniform_work_group_size: 1
    .uses_dynamic_stack: false
    .vgpr_count:     0
    .vgpr_spill_count: 0
    .wavefront_size: 32
    .workgroup_processor_mode: 1
  - .args:
      - .offset:         0
        .size:           144
        .value_kind:     by_value
    .group_segment_fixed_size: 0
    .kernarg_segment_align: 8
    .kernarg_segment_size: 144
    .language:       OpenCL C
    .language_version:
      - 2
      - 0
    .max_flat_workgroup_size: 256
    .name:           _ZN7rocprim17ROCPRIM_400000_NS6detail17trampoline_kernelINS0_13select_configILj256ELj13ELNS0_17block_load_methodE3ELS4_3ELS4_3ELNS0_20block_scan_algorithmE0ELj4294967295EEENS1_25partition_config_selectorILNS1_17partition_subalgoE3EjNS0_10empty_typeEbEEZZNS1_14partition_implILS8_3ELb0ES6_jNS0_17counting_iteratorIjlEEPS9_SE_NS0_5tupleIJPjSE_EEENSF_IJSE_SE_EEES9_SG_JZNS1_25segmented_radix_sort_implINS0_14default_configELb0EPK6__halfPSL_PKlPlN2at6native12_GLOBAL__N_18offset_tEEE10hipError_tPvRmT1_PNSt15iterator_traitsISZ_E10value_typeET2_T3_PNS10_IS15_E10value_typeET4_jRbjT5_S1B_jjP12ihipStream_tbEUljE_EEESW_SX_SY_S15_S19_S1B_T6_T7_T9_mT8_S1D_bDpT10_ENKUlT_T0_E_clISt17integral_constantIbLb0EES1Q_EEDaS1L_S1M_EUlS1L_E_NS1_11comp_targetILNS1_3genE3ELNS1_11target_archE908ELNS1_3gpuE7ELNS1_3repE0EEENS1_30default_config_static_selectorELNS0_4arch9wavefront6targetE0EEEvSZ_
    .private_segment_fixed_size: 0
    .sgpr_count:     0
    .sgpr_spill_count: 0
    .symbol:         _ZN7rocprim17ROCPRIM_400000_NS6detail17trampoline_kernelINS0_13select_configILj256ELj13ELNS0_17block_load_methodE3ELS4_3ELS4_3ELNS0_20block_scan_algorithmE0ELj4294967295EEENS1_25partition_config_selectorILNS1_17partition_subalgoE3EjNS0_10empty_typeEbEEZZNS1_14partition_implILS8_3ELb0ES6_jNS0_17counting_iteratorIjlEEPS9_SE_NS0_5tupleIJPjSE_EEENSF_IJSE_SE_EEES9_SG_JZNS1_25segmented_radix_sort_implINS0_14default_configELb0EPK6__halfPSL_PKlPlN2at6native12_GLOBAL__N_18offset_tEEE10hipError_tPvRmT1_PNSt15iterator_traitsISZ_E10value_typeET2_T3_PNS10_IS15_E10value_typeET4_jRbjT5_S1B_jjP12ihipStream_tbEUljE_EEESW_SX_SY_S15_S19_S1B_T6_T7_T9_mT8_S1D_bDpT10_ENKUlT_T0_E_clISt17integral_constantIbLb0EES1Q_EEDaS1L_S1M_EUlS1L_E_NS1_11comp_targetILNS1_3genE3ELNS1_11target_archE908ELNS1_3gpuE7ELNS1_3repE0EEENS1_30default_config_static_selectorELNS0_4arch9wavefront6targetE0EEEvSZ_.kd
    .uniform_work_group_size: 1
    .uses_dynamic_stack: false
    .vgpr_count:     0
    .vgpr_spill_count: 0
    .wavefront_size: 32
    .workgroup_processor_mode: 1
  - .args:
      - .offset:         0
        .size:           144
        .value_kind:     by_value
    .group_segment_fixed_size: 0
    .kernarg_segment_align: 8
    .kernarg_segment_size: 144
    .language:       OpenCL C
    .language_version:
      - 2
      - 0
    .max_flat_workgroup_size: 256
    .name:           _ZN7rocprim17ROCPRIM_400000_NS6detail17trampoline_kernelINS0_13select_configILj256ELj13ELNS0_17block_load_methodE3ELS4_3ELS4_3ELNS0_20block_scan_algorithmE0ELj4294967295EEENS1_25partition_config_selectorILNS1_17partition_subalgoE3EjNS0_10empty_typeEbEEZZNS1_14partition_implILS8_3ELb0ES6_jNS0_17counting_iteratorIjlEEPS9_SE_NS0_5tupleIJPjSE_EEENSF_IJSE_SE_EEES9_SG_JZNS1_25segmented_radix_sort_implINS0_14default_configELb0EPK6__halfPSL_PKlPlN2at6native12_GLOBAL__N_18offset_tEEE10hipError_tPvRmT1_PNSt15iterator_traitsISZ_E10value_typeET2_T3_PNS10_IS15_E10value_typeET4_jRbjT5_S1B_jjP12ihipStream_tbEUljE_EEESW_SX_SY_S15_S19_S1B_T6_T7_T9_mT8_S1D_bDpT10_ENKUlT_T0_E_clISt17integral_constantIbLb0EES1Q_EEDaS1L_S1M_EUlS1L_E_NS1_11comp_targetILNS1_3genE2ELNS1_11target_archE906ELNS1_3gpuE6ELNS1_3repE0EEENS1_30default_config_static_selectorELNS0_4arch9wavefront6targetE0EEEvSZ_
    .private_segment_fixed_size: 0
    .sgpr_count:     0
    .sgpr_spill_count: 0
    .symbol:         _ZN7rocprim17ROCPRIM_400000_NS6detail17trampoline_kernelINS0_13select_configILj256ELj13ELNS0_17block_load_methodE3ELS4_3ELS4_3ELNS0_20block_scan_algorithmE0ELj4294967295EEENS1_25partition_config_selectorILNS1_17partition_subalgoE3EjNS0_10empty_typeEbEEZZNS1_14partition_implILS8_3ELb0ES6_jNS0_17counting_iteratorIjlEEPS9_SE_NS0_5tupleIJPjSE_EEENSF_IJSE_SE_EEES9_SG_JZNS1_25segmented_radix_sort_implINS0_14default_configELb0EPK6__halfPSL_PKlPlN2at6native12_GLOBAL__N_18offset_tEEE10hipError_tPvRmT1_PNSt15iterator_traitsISZ_E10value_typeET2_T3_PNS10_IS15_E10value_typeET4_jRbjT5_S1B_jjP12ihipStream_tbEUljE_EEESW_SX_SY_S15_S19_S1B_T6_T7_T9_mT8_S1D_bDpT10_ENKUlT_T0_E_clISt17integral_constantIbLb0EES1Q_EEDaS1L_S1M_EUlS1L_E_NS1_11comp_targetILNS1_3genE2ELNS1_11target_archE906ELNS1_3gpuE6ELNS1_3repE0EEENS1_30default_config_static_selectorELNS0_4arch9wavefront6targetE0EEEvSZ_.kd
    .uniform_work_group_size: 1
    .uses_dynamic_stack: false
    .vgpr_count:     0
    .vgpr_spill_count: 0
    .wavefront_size: 32
    .workgroup_processor_mode: 1
  - .args:
      - .offset:         0
        .size:           144
        .value_kind:     by_value
    .group_segment_fixed_size: 0
    .kernarg_segment_align: 8
    .kernarg_segment_size: 144
    .language:       OpenCL C
    .language_version:
      - 2
      - 0
    .max_flat_workgroup_size: 256
    .name:           _ZN7rocprim17ROCPRIM_400000_NS6detail17trampoline_kernelINS0_13select_configILj256ELj13ELNS0_17block_load_methodE3ELS4_3ELS4_3ELNS0_20block_scan_algorithmE0ELj4294967295EEENS1_25partition_config_selectorILNS1_17partition_subalgoE3EjNS0_10empty_typeEbEEZZNS1_14partition_implILS8_3ELb0ES6_jNS0_17counting_iteratorIjlEEPS9_SE_NS0_5tupleIJPjSE_EEENSF_IJSE_SE_EEES9_SG_JZNS1_25segmented_radix_sort_implINS0_14default_configELb0EPK6__halfPSL_PKlPlN2at6native12_GLOBAL__N_18offset_tEEE10hipError_tPvRmT1_PNSt15iterator_traitsISZ_E10value_typeET2_T3_PNS10_IS15_E10value_typeET4_jRbjT5_S1B_jjP12ihipStream_tbEUljE_EEESW_SX_SY_S15_S19_S1B_T6_T7_T9_mT8_S1D_bDpT10_ENKUlT_T0_E_clISt17integral_constantIbLb0EES1Q_EEDaS1L_S1M_EUlS1L_E_NS1_11comp_targetILNS1_3genE10ELNS1_11target_archE1200ELNS1_3gpuE4ELNS1_3repE0EEENS1_30default_config_static_selectorELNS0_4arch9wavefront6targetE0EEEvSZ_
    .private_segment_fixed_size: 0
    .sgpr_count:     0
    .sgpr_spill_count: 0
    .symbol:         _ZN7rocprim17ROCPRIM_400000_NS6detail17trampoline_kernelINS0_13select_configILj256ELj13ELNS0_17block_load_methodE3ELS4_3ELS4_3ELNS0_20block_scan_algorithmE0ELj4294967295EEENS1_25partition_config_selectorILNS1_17partition_subalgoE3EjNS0_10empty_typeEbEEZZNS1_14partition_implILS8_3ELb0ES6_jNS0_17counting_iteratorIjlEEPS9_SE_NS0_5tupleIJPjSE_EEENSF_IJSE_SE_EEES9_SG_JZNS1_25segmented_radix_sort_implINS0_14default_configELb0EPK6__halfPSL_PKlPlN2at6native12_GLOBAL__N_18offset_tEEE10hipError_tPvRmT1_PNSt15iterator_traitsISZ_E10value_typeET2_T3_PNS10_IS15_E10value_typeET4_jRbjT5_S1B_jjP12ihipStream_tbEUljE_EEESW_SX_SY_S15_S19_S1B_T6_T7_T9_mT8_S1D_bDpT10_ENKUlT_T0_E_clISt17integral_constantIbLb0EES1Q_EEDaS1L_S1M_EUlS1L_E_NS1_11comp_targetILNS1_3genE10ELNS1_11target_archE1200ELNS1_3gpuE4ELNS1_3repE0EEENS1_30default_config_static_selectorELNS0_4arch9wavefront6targetE0EEEvSZ_.kd
    .uniform_work_group_size: 1
    .uses_dynamic_stack: false
    .vgpr_count:     0
    .vgpr_spill_count: 0
    .wavefront_size: 32
    .workgroup_processor_mode: 1
  - .args:
      - .offset:         0
        .size:           144
        .value_kind:     by_value
    .group_segment_fixed_size: 0
    .kernarg_segment_align: 8
    .kernarg_segment_size: 144
    .language:       OpenCL C
    .language_version:
      - 2
      - 0
    .max_flat_workgroup_size: 256
    .name:           _ZN7rocprim17ROCPRIM_400000_NS6detail17trampoline_kernelINS0_13select_configILj256ELj13ELNS0_17block_load_methodE3ELS4_3ELS4_3ELNS0_20block_scan_algorithmE0ELj4294967295EEENS1_25partition_config_selectorILNS1_17partition_subalgoE3EjNS0_10empty_typeEbEEZZNS1_14partition_implILS8_3ELb0ES6_jNS0_17counting_iteratorIjlEEPS9_SE_NS0_5tupleIJPjSE_EEENSF_IJSE_SE_EEES9_SG_JZNS1_25segmented_radix_sort_implINS0_14default_configELb0EPK6__halfPSL_PKlPlN2at6native12_GLOBAL__N_18offset_tEEE10hipError_tPvRmT1_PNSt15iterator_traitsISZ_E10value_typeET2_T3_PNS10_IS15_E10value_typeET4_jRbjT5_S1B_jjP12ihipStream_tbEUljE_EEESW_SX_SY_S15_S19_S1B_T6_T7_T9_mT8_S1D_bDpT10_ENKUlT_T0_E_clISt17integral_constantIbLb0EES1Q_EEDaS1L_S1M_EUlS1L_E_NS1_11comp_targetILNS1_3genE9ELNS1_11target_archE1100ELNS1_3gpuE3ELNS1_3repE0EEENS1_30default_config_static_selectorELNS0_4arch9wavefront6targetE0EEEvSZ_
    .private_segment_fixed_size: 0
    .sgpr_count:     0
    .sgpr_spill_count: 0
    .symbol:         _ZN7rocprim17ROCPRIM_400000_NS6detail17trampoline_kernelINS0_13select_configILj256ELj13ELNS0_17block_load_methodE3ELS4_3ELS4_3ELNS0_20block_scan_algorithmE0ELj4294967295EEENS1_25partition_config_selectorILNS1_17partition_subalgoE3EjNS0_10empty_typeEbEEZZNS1_14partition_implILS8_3ELb0ES6_jNS0_17counting_iteratorIjlEEPS9_SE_NS0_5tupleIJPjSE_EEENSF_IJSE_SE_EEES9_SG_JZNS1_25segmented_radix_sort_implINS0_14default_configELb0EPK6__halfPSL_PKlPlN2at6native12_GLOBAL__N_18offset_tEEE10hipError_tPvRmT1_PNSt15iterator_traitsISZ_E10value_typeET2_T3_PNS10_IS15_E10value_typeET4_jRbjT5_S1B_jjP12ihipStream_tbEUljE_EEESW_SX_SY_S15_S19_S1B_T6_T7_T9_mT8_S1D_bDpT10_ENKUlT_T0_E_clISt17integral_constantIbLb0EES1Q_EEDaS1L_S1M_EUlS1L_E_NS1_11comp_targetILNS1_3genE9ELNS1_11target_archE1100ELNS1_3gpuE3ELNS1_3repE0EEENS1_30default_config_static_selectorELNS0_4arch9wavefront6targetE0EEEvSZ_.kd
    .uniform_work_group_size: 1
    .uses_dynamic_stack: false
    .vgpr_count:     0
    .vgpr_spill_count: 0
    .wavefront_size: 32
    .workgroup_processor_mode: 1
  - .args:
      - .offset:         0
        .size:           144
        .value_kind:     by_value
    .group_segment_fixed_size: 13320
    .kernarg_segment_align: 8
    .kernarg_segment_size: 144
    .language:       OpenCL C
    .language_version:
      - 2
      - 0
    .max_flat_workgroup_size: 256
    .name:           _ZN7rocprim17ROCPRIM_400000_NS6detail17trampoline_kernelINS0_13select_configILj256ELj13ELNS0_17block_load_methodE3ELS4_3ELS4_3ELNS0_20block_scan_algorithmE0ELj4294967295EEENS1_25partition_config_selectorILNS1_17partition_subalgoE3EjNS0_10empty_typeEbEEZZNS1_14partition_implILS8_3ELb0ES6_jNS0_17counting_iteratorIjlEEPS9_SE_NS0_5tupleIJPjSE_EEENSF_IJSE_SE_EEES9_SG_JZNS1_25segmented_radix_sort_implINS0_14default_configELb0EPK6__halfPSL_PKlPlN2at6native12_GLOBAL__N_18offset_tEEE10hipError_tPvRmT1_PNSt15iterator_traitsISZ_E10value_typeET2_T3_PNS10_IS15_E10value_typeET4_jRbjT5_S1B_jjP12ihipStream_tbEUljE_EEESW_SX_SY_S15_S19_S1B_T6_T7_T9_mT8_S1D_bDpT10_ENKUlT_T0_E_clISt17integral_constantIbLb0EES1Q_EEDaS1L_S1M_EUlS1L_E_NS1_11comp_targetILNS1_3genE8ELNS1_11target_archE1030ELNS1_3gpuE2ELNS1_3repE0EEENS1_30default_config_static_selectorELNS0_4arch9wavefront6targetE0EEEvSZ_
    .private_segment_fixed_size: 0
    .sgpr_count:     29
    .sgpr_spill_count: 0
    .symbol:         _ZN7rocprim17ROCPRIM_400000_NS6detail17trampoline_kernelINS0_13select_configILj256ELj13ELNS0_17block_load_methodE3ELS4_3ELS4_3ELNS0_20block_scan_algorithmE0ELj4294967295EEENS1_25partition_config_selectorILNS1_17partition_subalgoE3EjNS0_10empty_typeEbEEZZNS1_14partition_implILS8_3ELb0ES6_jNS0_17counting_iteratorIjlEEPS9_SE_NS0_5tupleIJPjSE_EEENSF_IJSE_SE_EEES9_SG_JZNS1_25segmented_radix_sort_implINS0_14default_configELb0EPK6__halfPSL_PKlPlN2at6native12_GLOBAL__N_18offset_tEEE10hipError_tPvRmT1_PNSt15iterator_traitsISZ_E10value_typeET2_T3_PNS10_IS15_E10value_typeET4_jRbjT5_S1B_jjP12ihipStream_tbEUljE_EEESW_SX_SY_S15_S19_S1B_T6_T7_T9_mT8_S1D_bDpT10_ENKUlT_T0_E_clISt17integral_constantIbLb0EES1Q_EEDaS1L_S1M_EUlS1L_E_NS1_11comp_targetILNS1_3genE8ELNS1_11target_archE1030ELNS1_3gpuE2ELNS1_3repE0EEENS1_30default_config_static_selectorELNS0_4arch9wavefront6targetE0EEEvSZ_.kd
    .uniform_work_group_size: 1
    .uses_dynamic_stack: false
    .vgpr_count:     69
    .vgpr_spill_count: 0
    .wavefront_size: 32
    .workgroup_processor_mode: 1
  - .args:
      - .offset:         0
        .size:           152
        .value_kind:     by_value
    .group_segment_fixed_size: 0
    .kernarg_segment_align: 8
    .kernarg_segment_size: 152
    .language:       OpenCL C
    .language_version:
      - 2
      - 0
    .max_flat_workgroup_size: 256
    .name:           _ZN7rocprim17ROCPRIM_400000_NS6detail17trampoline_kernelINS0_13select_configILj256ELj13ELNS0_17block_load_methodE3ELS4_3ELS4_3ELNS0_20block_scan_algorithmE0ELj4294967295EEENS1_25partition_config_selectorILNS1_17partition_subalgoE3EjNS0_10empty_typeEbEEZZNS1_14partition_implILS8_3ELb0ES6_jNS0_17counting_iteratorIjlEEPS9_SE_NS0_5tupleIJPjSE_EEENSF_IJSE_SE_EEES9_SG_JZNS1_25segmented_radix_sort_implINS0_14default_configELb0EPK6__halfPSL_PKlPlN2at6native12_GLOBAL__N_18offset_tEEE10hipError_tPvRmT1_PNSt15iterator_traitsISZ_E10value_typeET2_T3_PNS10_IS15_E10value_typeET4_jRbjT5_S1B_jjP12ihipStream_tbEUljE_EEESW_SX_SY_S15_S19_S1B_T6_T7_T9_mT8_S1D_bDpT10_ENKUlT_T0_E_clISt17integral_constantIbLb1EES1Q_EEDaS1L_S1M_EUlS1L_E_NS1_11comp_targetILNS1_3genE0ELNS1_11target_archE4294967295ELNS1_3gpuE0ELNS1_3repE0EEENS1_30default_config_static_selectorELNS0_4arch9wavefront6targetE0EEEvSZ_
    .private_segment_fixed_size: 0
    .sgpr_count:     0
    .sgpr_spill_count: 0
    .symbol:         _ZN7rocprim17ROCPRIM_400000_NS6detail17trampoline_kernelINS0_13select_configILj256ELj13ELNS0_17block_load_methodE3ELS4_3ELS4_3ELNS0_20block_scan_algorithmE0ELj4294967295EEENS1_25partition_config_selectorILNS1_17partition_subalgoE3EjNS0_10empty_typeEbEEZZNS1_14partition_implILS8_3ELb0ES6_jNS0_17counting_iteratorIjlEEPS9_SE_NS0_5tupleIJPjSE_EEENSF_IJSE_SE_EEES9_SG_JZNS1_25segmented_radix_sort_implINS0_14default_configELb0EPK6__halfPSL_PKlPlN2at6native12_GLOBAL__N_18offset_tEEE10hipError_tPvRmT1_PNSt15iterator_traitsISZ_E10value_typeET2_T3_PNS10_IS15_E10value_typeET4_jRbjT5_S1B_jjP12ihipStream_tbEUljE_EEESW_SX_SY_S15_S19_S1B_T6_T7_T9_mT8_S1D_bDpT10_ENKUlT_T0_E_clISt17integral_constantIbLb1EES1Q_EEDaS1L_S1M_EUlS1L_E_NS1_11comp_targetILNS1_3genE0ELNS1_11target_archE4294967295ELNS1_3gpuE0ELNS1_3repE0EEENS1_30default_config_static_selectorELNS0_4arch9wavefront6targetE0EEEvSZ_.kd
    .uniform_work_group_size: 1
    .uses_dynamic_stack: false
    .vgpr_count:     0
    .vgpr_spill_count: 0
    .wavefront_size: 32
    .workgroup_processor_mode: 1
  - .args:
      - .offset:         0
        .size:           152
        .value_kind:     by_value
    .group_segment_fixed_size: 0
    .kernarg_segment_align: 8
    .kernarg_segment_size: 152
    .language:       OpenCL C
    .language_version:
      - 2
      - 0
    .max_flat_workgroup_size: 256
    .name:           _ZN7rocprim17ROCPRIM_400000_NS6detail17trampoline_kernelINS0_13select_configILj256ELj13ELNS0_17block_load_methodE3ELS4_3ELS4_3ELNS0_20block_scan_algorithmE0ELj4294967295EEENS1_25partition_config_selectorILNS1_17partition_subalgoE3EjNS0_10empty_typeEbEEZZNS1_14partition_implILS8_3ELb0ES6_jNS0_17counting_iteratorIjlEEPS9_SE_NS0_5tupleIJPjSE_EEENSF_IJSE_SE_EEES9_SG_JZNS1_25segmented_radix_sort_implINS0_14default_configELb0EPK6__halfPSL_PKlPlN2at6native12_GLOBAL__N_18offset_tEEE10hipError_tPvRmT1_PNSt15iterator_traitsISZ_E10value_typeET2_T3_PNS10_IS15_E10value_typeET4_jRbjT5_S1B_jjP12ihipStream_tbEUljE_EEESW_SX_SY_S15_S19_S1B_T6_T7_T9_mT8_S1D_bDpT10_ENKUlT_T0_E_clISt17integral_constantIbLb1EES1Q_EEDaS1L_S1M_EUlS1L_E_NS1_11comp_targetILNS1_3genE5ELNS1_11target_archE942ELNS1_3gpuE9ELNS1_3repE0EEENS1_30default_config_static_selectorELNS0_4arch9wavefront6targetE0EEEvSZ_
    .private_segment_fixed_size: 0
    .sgpr_count:     0
    .sgpr_spill_count: 0
    .symbol:         _ZN7rocprim17ROCPRIM_400000_NS6detail17trampoline_kernelINS0_13select_configILj256ELj13ELNS0_17block_load_methodE3ELS4_3ELS4_3ELNS0_20block_scan_algorithmE0ELj4294967295EEENS1_25partition_config_selectorILNS1_17partition_subalgoE3EjNS0_10empty_typeEbEEZZNS1_14partition_implILS8_3ELb0ES6_jNS0_17counting_iteratorIjlEEPS9_SE_NS0_5tupleIJPjSE_EEENSF_IJSE_SE_EEES9_SG_JZNS1_25segmented_radix_sort_implINS0_14default_configELb0EPK6__halfPSL_PKlPlN2at6native12_GLOBAL__N_18offset_tEEE10hipError_tPvRmT1_PNSt15iterator_traitsISZ_E10value_typeET2_T3_PNS10_IS15_E10value_typeET4_jRbjT5_S1B_jjP12ihipStream_tbEUljE_EEESW_SX_SY_S15_S19_S1B_T6_T7_T9_mT8_S1D_bDpT10_ENKUlT_T0_E_clISt17integral_constantIbLb1EES1Q_EEDaS1L_S1M_EUlS1L_E_NS1_11comp_targetILNS1_3genE5ELNS1_11target_archE942ELNS1_3gpuE9ELNS1_3repE0EEENS1_30default_config_static_selectorELNS0_4arch9wavefront6targetE0EEEvSZ_.kd
    .uniform_work_group_size: 1
    .uses_dynamic_stack: false
    .vgpr_count:     0
    .vgpr_spill_count: 0
    .wavefront_size: 32
    .workgroup_processor_mode: 1
  - .args:
      - .offset:         0
        .size:           152
        .value_kind:     by_value
    .group_segment_fixed_size: 0
    .kernarg_segment_align: 8
    .kernarg_segment_size: 152
    .language:       OpenCL C
    .language_version:
      - 2
      - 0
    .max_flat_workgroup_size: 256
    .name:           _ZN7rocprim17ROCPRIM_400000_NS6detail17trampoline_kernelINS0_13select_configILj256ELj13ELNS0_17block_load_methodE3ELS4_3ELS4_3ELNS0_20block_scan_algorithmE0ELj4294967295EEENS1_25partition_config_selectorILNS1_17partition_subalgoE3EjNS0_10empty_typeEbEEZZNS1_14partition_implILS8_3ELb0ES6_jNS0_17counting_iteratorIjlEEPS9_SE_NS0_5tupleIJPjSE_EEENSF_IJSE_SE_EEES9_SG_JZNS1_25segmented_radix_sort_implINS0_14default_configELb0EPK6__halfPSL_PKlPlN2at6native12_GLOBAL__N_18offset_tEEE10hipError_tPvRmT1_PNSt15iterator_traitsISZ_E10value_typeET2_T3_PNS10_IS15_E10value_typeET4_jRbjT5_S1B_jjP12ihipStream_tbEUljE_EEESW_SX_SY_S15_S19_S1B_T6_T7_T9_mT8_S1D_bDpT10_ENKUlT_T0_E_clISt17integral_constantIbLb1EES1Q_EEDaS1L_S1M_EUlS1L_E_NS1_11comp_targetILNS1_3genE4ELNS1_11target_archE910ELNS1_3gpuE8ELNS1_3repE0EEENS1_30default_config_static_selectorELNS0_4arch9wavefront6targetE0EEEvSZ_
    .private_segment_fixed_size: 0
    .sgpr_count:     0
    .sgpr_spill_count: 0
    .symbol:         _ZN7rocprim17ROCPRIM_400000_NS6detail17trampoline_kernelINS0_13select_configILj256ELj13ELNS0_17block_load_methodE3ELS4_3ELS4_3ELNS0_20block_scan_algorithmE0ELj4294967295EEENS1_25partition_config_selectorILNS1_17partition_subalgoE3EjNS0_10empty_typeEbEEZZNS1_14partition_implILS8_3ELb0ES6_jNS0_17counting_iteratorIjlEEPS9_SE_NS0_5tupleIJPjSE_EEENSF_IJSE_SE_EEES9_SG_JZNS1_25segmented_radix_sort_implINS0_14default_configELb0EPK6__halfPSL_PKlPlN2at6native12_GLOBAL__N_18offset_tEEE10hipError_tPvRmT1_PNSt15iterator_traitsISZ_E10value_typeET2_T3_PNS10_IS15_E10value_typeET4_jRbjT5_S1B_jjP12ihipStream_tbEUljE_EEESW_SX_SY_S15_S19_S1B_T6_T7_T9_mT8_S1D_bDpT10_ENKUlT_T0_E_clISt17integral_constantIbLb1EES1Q_EEDaS1L_S1M_EUlS1L_E_NS1_11comp_targetILNS1_3genE4ELNS1_11target_archE910ELNS1_3gpuE8ELNS1_3repE0EEENS1_30default_config_static_selectorELNS0_4arch9wavefront6targetE0EEEvSZ_.kd
    .uniform_work_group_size: 1
    .uses_dynamic_stack: false
    .vgpr_count:     0
    .vgpr_spill_count: 0
    .wavefront_size: 32
    .workgroup_processor_mode: 1
  - .args:
      - .offset:         0
        .size:           152
        .value_kind:     by_value
    .group_segment_fixed_size: 0
    .kernarg_segment_align: 8
    .kernarg_segment_size: 152
    .language:       OpenCL C
    .language_version:
      - 2
      - 0
    .max_flat_workgroup_size: 256
    .name:           _ZN7rocprim17ROCPRIM_400000_NS6detail17trampoline_kernelINS0_13select_configILj256ELj13ELNS0_17block_load_methodE3ELS4_3ELS4_3ELNS0_20block_scan_algorithmE0ELj4294967295EEENS1_25partition_config_selectorILNS1_17partition_subalgoE3EjNS0_10empty_typeEbEEZZNS1_14partition_implILS8_3ELb0ES6_jNS0_17counting_iteratorIjlEEPS9_SE_NS0_5tupleIJPjSE_EEENSF_IJSE_SE_EEES9_SG_JZNS1_25segmented_radix_sort_implINS0_14default_configELb0EPK6__halfPSL_PKlPlN2at6native12_GLOBAL__N_18offset_tEEE10hipError_tPvRmT1_PNSt15iterator_traitsISZ_E10value_typeET2_T3_PNS10_IS15_E10value_typeET4_jRbjT5_S1B_jjP12ihipStream_tbEUljE_EEESW_SX_SY_S15_S19_S1B_T6_T7_T9_mT8_S1D_bDpT10_ENKUlT_T0_E_clISt17integral_constantIbLb1EES1Q_EEDaS1L_S1M_EUlS1L_E_NS1_11comp_targetILNS1_3genE3ELNS1_11target_archE908ELNS1_3gpuE7ELNS1_3repE0EEENS1_30default_config_static_selectorELNS0_4arch9wavefront6targetE0EEEvSZ_
    .private_segment_fixed_size: 0
    .sgpr_count:     0
    .sgpr_spill_count: 0
    .symbol:         _ZN7rocprim17ROCPRIM_400000_NS6detail17trampoline_kernelINS0_13select_configILj256ELj13ELNS0_17block_load_methodE3ELS4_3ELS4_3ELNS0_20block_scan_algorithmE0ELj4294967295EEENS1_25partition_config_selectorILNS1_17partition_subalgoE3EjNS0_10empty_typeEbEEZZNS1_14partition_implILS8_3ELb0ES6_jNS0_17counting_iteratorIjlEEPS9_SE_NS0_5tupleIJPjSE_EEENSF_IJSE_SE_EEES9_SG_JZNS1_25segmented_radix_sort_implINS0_14default_configELb0EPK6__halfPSL_PKlPlN2at6native12_GLOBAL__N_18offset_tEEE10hipError_tPvRmT1_PNSt15iterator_traitsISZ_E10value_typeET2_T3_PNS10_IS15_E10value_typeET4_jRbjT5_S1B_jjP12ihipStream_tbEUljE_EEESW_SX_SY_S15_S19_S1B_T6_T7_T9_mT8_S1D_bDpT10_ENKUlT_T0_E_clISt17integral_constantIbLb1EES1Q_EEDaS1L_S1M_EUlS1L_E_NS1_11comp_targetILNS1_3genE3ELNS1_11target_archE908ELNS1_3gpuE7ELNS1_3repE0EEENS1_30default_config_static_selectorELNS0_4arch9wavefront6targetE0EEEvSZ_.kd
    .uniform_work_group_size: 1
    .uses_dynamic_stack: false
    .vgpr_count:     0
    .vgpr_spill_count: 0
    .wavefront_size: 32
    .workgroup_processor_mode: 1
  - .args:
      - .offset:         0
        .size:           152
        .value_kind:     by_value
    .group_segment_fixed_size: 0
    .kernarg_segment_align: 8
    .kernarg_segment_size: 152
    .language:       OpenCL C
    .language_version:
      - 2
      - 0
    .max_flat_workgroup_size: 256
    .name:           _ZN7rocprim17ROCPRIM_400000_NS6detail17trampoline_kernelINS0_13select_configILj256ELj13ELNS0_17block_load_methodE3ELS4_3ELS4_3ELNS0_20block_scan_algorithmE0ELj4294967295EEENS1_25partition_config_selectorILNS1_17partition_subalgoE3EjNS0_10empty_typeEbEEZZNS1_14partition_implILS8_3ELb0ES6_jNS0_17counting_iteratorIjlEEPS9_SE_NS0_5tupleIJPjSE_EEENSF_IJSE_SE_EEES9_SG_JZNS1_25segmented_radix_sort_implINS0_14default_configELb0EPK6__halfPSL_PKlPlN2at6native12_GLOBAL__N_18offset_tEEE10hipError_tPvRmT1_PNSt15iterator_traitsISZ_E10value_typeET2_T3_PNS10_IS15_E10value_typeET4_jRbjT5_S1B_jjP12ihipStream_tbEUljE_EEESW_SX_SY_S15_S19_S1B_T6_T7_T9_mT8_S1D_bDpT10_ENKUlT_T0_E_clISt17integral_constantIbLb1EES1Q_EEDaS1L_S1M_EUlS1L_E_NS1_11comp_targetILNS1_3genE2ELNS1_11target_archE906ELNS1_3gpuE6ELNS1_3repE0EEENS1_30default_config_static_selectorELNS0_4arch9wavefront6targetE0EEEvSZ_
    .private_segment_fixed_size: 0
    .sgpr_count:     0
    .sgpr_spill_count: 0
    .symbol:         _ZN7rocprim17ROCPRIM_400000_NS6detail17trampoline_kernelINS0_13select_configILj256ELj13ELNS0_17block_load_methodE3ELS4_3ELS4_3ELNS0_20block_scan_algorithmE0ELj4294967295EEENS1_25partition_config_selectorILNS1_17partition_subalgoE3EjNS0_10empty_typeEbEEZZNS1_14partition_implILS8_3ELb0ES6_jNS0_17counting_iteratorIjlEEPS9_SE_NS0_5tupleIJPjSE_EEENSF_IJSE_SE_EEES9_SG_JZNS1_25segmented_radix_sort_implINS0_14default_configELb0EPK6__halfPSL_PKlPlN2at6native12_GLOBAL__N_18offset_tEEE10hipError_tPvRmT1_PNSt15iterator_traitsISZ_E10value_typeET2_T3_PNS10_IS15_E10value_typeET4_jRbjT5_S1B_jjP12ihipStream_tbEUljE_EEESW_SX_SY_S15_S19_S1B_T6_T7_T9_mT8_S1D_bDpT10_ENKUlT_T0_E_clISt17integral_constantIbLb1EES1Q_EEDaS1L_S1M_EUlS1L_E_NS1_11comp_targetILNS1_3genE2ELNS1_11target_archE906ELNS1_3gpuE6ELNS1_3repE0EEENS1_30default_config_static_selectorELNS0_4arch9wavefront6targetE0EEEvSZ_.kd
    .uniform_work_group_size: 1
    .uses_dynamic_stack: false
    .vgpr_count:     0
    .vgpr_spill_count: 0
    .wavefront_size: 32
    .workgroup_processor_mode: 1
  - .args:
      - .offset:         0
        .size:           152
        .value_kind:     by_value
    .group_segment_fixed_size: 0
    .kernarg_segment_align: 8
    .kernarg_segment_size: 152
    .language:       OpenCL C
    .language_version:
      - 2
      - 0
    .max_flat_workgroup_size: 256
    .name:           _ZN7rocprim17ROCPRIM_400000_NS6detail17trampoline_kernelINS0_13select_configILj256ELj13ELNS0_17block_load_methodE3ELS4_3ELS4_3ELNS0_20block_scan_algorithmE0ELj4294967295EEENS1_25partition_config_selectorILNS1_17partition_subalgoE3EjNS0_10empty_typeEbEEZZNS1_14partition_implILS8_3ELb0ES6_jNS0_17counting_iteratorIjlEEPS9_SE_NS0_5tupleIJPjSE_EEENSF_IJSE_SE_EEES9_SG_JZNS1_25segmented_radix_sort_implINS0_14default_configELb0EPK6__halfPSL_PKlPlN2at6native12_GLOBAL__N_18offset_tEEE10hipError_tPvRmT1_PNSt15iterator_traitsISZ_E10value_typeET2_T3_PNS10_IS15_E10value_typeET4_jRbjT5_S1B_jjP12ihipStream_tbEUljE_EEESW_SX_SY_S15_S19_S1B_T6_T7_T9_mT8_S1D_bDpT10_ENKUlT_T0_E_clISt17integral_constantIbLb1EES1Q_EEDaS1L_S1M_EUlS1L_E_NS1_11comp_targetILNS1_3genE10ELNS1_11target_archE1200ELNS1_3gpuE4ELNS1_3repE0EEENS1_30default_config_static_selectorELNS0_4arch9wavefront6targetE0EEEvSZ_
    .private_segment_fixed_size: 0
    .sgpr_count:     0
    .sgpr_spill_count: 0
    .symbol:         _ZN7rocprim17ROCPRIM_400000_NS6detail17trampoline_kernelINS0_13select_configILj256ELj13ELNS0_17block_load_methodE3ELS4_3ELS4_3ELNS0_20block_scan_algorithmE0ELj4294967295EEENS1_25partition_config_selectorILNS1_17partition_subalgoE3EjNS0_10empty_typeEbEEZZNS1_14partition_implILS8_3ELb0ES6_jNS0_17counting_iteratorIjlEEPS9_SE_NS0_5tupleIJPjSE_EEENSF_IJSE_SE_EEES9_SG_JZNS1_25segmented_radix_sort_implINS0_14default_configELb0EPK6__halfPSL_PKlPlN2at6native12_GLOBAL__N_18offset_tEEE10hipError_tPvRmT1_PNSt15iterator_traitsISZ_E10value_typeET2_T3_PNS10_IS15_E10value_typeET4_jRbjT5_S1B_jjP12ihipStream_tbEUljE_EEESW_SX_SY_S15_S19_S1B_T6_T7_T9_mT8_S1D_bDpT10_ENKUlT_T0_E_clISt17integral_constantIbLb1EES1Q_EEDaS1L_S1M_EUlS1L_E_NS1_11comp_targetILNS1_3genE10ELNS1_11target_archE1200ELNS1_3gpuE4ELNS1_3repE0EEENS1_30default_config_static_selectorELNS0_4arch9wavefront6targetE0EEEvSZ_.kd
    .uniform_work_group_size: 1
    .uses_dynamic_stack: false
    .vgpr_count:     0
    .vgpr_spill_count: 0
    .wavefront_size: 32
    .workgroup_processor_mode: 1
  - .args:
      - .offset:         0
        .size:           152
        .value_kind:     by_value
    .group_segment_fixed_size: 0
    .kernarg_segment_align: 8
    .kernarg_segment_size: 152
    .language:       OpenCL C
    .language_version:
      - 2
      - 0
    .max_flat_workgroup_size: 256
    .name:           _ZN7rocprim17ROCPRIM_400000_NS6detail17trampoline_kernelINS0_13select_configILj256ELj13ELNS0_17block_load_methodE3ELS4_3ELS4_3ELNS0_20block_scan_algorithmE0ELj4294967295EEENS1_25partition_config_selectorILNS1_17partition_subalgoE3EjNS0_10empty_typeEbEEZZNS1_14partition_implILS8_3ELb0ES6_jNS0_17counting_iteratorIjlEEPS9_SE_NS0_5tupleIJPjSE_EEENSF_IJSE_SE_EEES9_SG_JZNS1_25segmented_radix_sort_implINS0_14default_configELb0EPK6__halfPSL_PKlPlN2at6native12_GLOBAL__N_18offset_tEEE10hipError_tPvRmT1_PNSt15iterator_traitsISZ_E10value_typeET2_T3_PNS10_IS15_E10value_typeET4_jRbjT5_S1B_jjP12ihipStream_tbEUljE_EEESW_SX_SY_S15_S19_S1B_T6_T7_T9_mT8_S1D_bDpT10_ENKUlT_T0_E_clISt17integral_constantIbLb1EES1Q_EEDaS1L_S1M_EUlS1L_E_NS1_11comp_targetILNS1_3genE9ELNS1_11target_archE1100ELNS1_3gpuE3ELNS1_3repE0EEENS1_30default_config_static_selectorELNS0_4arch9wavefront6targetE0EEEvSZ_
    .private_segment_fixed_size: 0
    .sgpr_count:     0
    .sgpr_spill_count: 0
    .symbol:         _ZN7rocprim17ROCPRIM_400000_NS6detail17trampoline_kernelINS0_13select_configILj256ELj13ELNS0_17block_load_methodE3ELS4_3ELS4_3ELNS0_20block_scan_algorithmE0ELj4294967295EEENS1_25partition_config_selectorILNS1_17partition_subalgoE3EjNS0_10empty_typeEbEEZZNS1_14partition_implILS8_3ELb0ES6_jNS0_17counting_iteratorIjlEEPS9_SE_NS0_5tupleIJPjSE_EEENSF_IJSE_SE_EEES9_SG_JZNS1_25segmented_radix_sort_implINS0_14default_configELb0EPK6__halfPSL_PKlPlN2at6native12_GLOBAL__N_18offset_tEEE10hipError_tPvRmT1_PNSt15iterator_traitsISZ_E10value_typeET2_T3_PNS10_IS15_E10value_typeET4_jRbjT5_S1B_jjP12ihipStream_tbEUljE_EEESW_SX_SY_S15_S19_S1B_T6_T7_T9_mT8_S1D_bDpT10_ENKUlT_T0_E_clISt17integral_constantIbLb1EES1Q_EEDaS1L_S1M_EUlS1L_E_NS1_11comp_targetILNS1_3genE9ELNS1_11target_archE1100ELNS1_3gpuE3ELNS1_3repE0EEENS1_30default_config_static_selectorELNS0_4arch9wavefront6targetE0EEEvSZ_.kd
    .uniform_work_group_size: 1
    .uses_dynamic_stack: false
    .vgpr_count:     0
    .vgpr_spill_count: 0
    .wavefront_size: 32
    .workgroup_processor_mode: 1
  - .args:
      - .offset:         0
        .size:           152
        .value_kind:     by_value
    .group_segment_fixed_size: 0
    .kernarg_segment_align: 8
    .kernarg_segment_size: 152
    .language:       OpenCL C
    .language_version:
      - 2
      - 0
    .max_flat_workgroup_size: 256
    .name:           _ZN7rocprim17ROCPRIM_400000_NS6detail17trampoline_kernelINS0_13select_configILj256ELj13ELNS0_17block_load_methodE3ELS4_3ELS4_3ELNS0_20block_scan_algorithmE0ELj4294967295EEENS1_25partition_config_selectorILNS1_17partition_subalgoE3EjNS0_10empty_typeEbEEZZNS1_14partition_implILS8_3ELb0ES6_jNS0_17counting_iteratorIjlEEPS9_SE_NS0_5tupleIJPjSE_EEENSF_IJSE_SE_EEES9_SG_JZNS1_25segmented_radix_sort_implINS0_14default_configELb0EPK6__halfPSL_PKlPlN2at6native12_GLOBAL__N_18offset_tEEE10hipError_tPvRmT1_PNSt15iterator_traitsISZ_E10value_typeET2_T3_PNS10_IS15_E10value_typeET4_jRbjT5_S1B_jjP12ihipStream_tbEUljE_EEESW_SX_SY_S15_S19_S1B_T6_T7_T9_mT8_S1D_bDpT10_ENKUlT_T0_E_clISt17integral_constantIbLb1EES1Q_EEDaS1L_S1M_EUlS1L_E_NS1_11comp_targetILNS1_3genE8ELNS1_11target_archE1030ELNS1_3gpuE2ELNS1_3repE0EEENS1_30default_config_static_selectorELNS0_4arch9wavefront6targetE0EEEvSZ_
    .private_segment_fixed_size: 0
    .sgpr_count:     0
    .sgpr_spill_count: 0
    .symbol:         _ZN7rocprim17ROCPRIM_400000_NS6detail17trampoline_kernelINS0_13select_configILj256ELj13ELNS0_17block_load_methodE3ELS4_3ELS4_3ELNS0_20block_scan_algorithmE0ELj4294967295EEENS1_25partition_config_selectorILNS1_17partition_subalgoE3EjNS0_10empty_typeEbEEZZNS1_14partition_implILS8_3ELb0ES6_jNS0_17counting_iteratorIjlEEPS9_SE_NS0_5tupleIJPjSE_EEENSF_IJSE_SE_EEES9_SG_JZNS1_25segmented_radix_sort_implINS0_14default_configELb0EPK6__halfPSL_PKlPlN2at6native12_GLOBAL__N_18offset_tEEE10hipError_tPvRmT1_PNSt15iterator_traitsISZ_E10value_typeET2_T3_PNS10_IS15_E10value_typeET4_jRbjT5_S1B_jjP12ihipStream_tbEUljE_EEESW_SX_SY_S15_S19_S1B_T6_T7_T9_mT8_S1D_bDpT10_ENKUlT_T0_E_clISt17integral_constantIbLb1EES1Q_EEDaS1L_S1M_EUlS1L_E_NS1_11comp_targetILNS1_3genE8ELNS1_11target_archE1030ELNS1_3gpuE2ELNS1_3repE0EEENS1_30default_config_static_selectorELNS0_4arch9wavefront6targetE0EEEvSZ_.kd
    .uniform_work_group_size: 1
    .uses_dynamic_stack: false
    .vgpr_count:     0
    .vgpr_spill_count: 0
    .wavefront_size: 32
    .workgroup_processor_mode: 1
  - .args:
      - .offset:         0
        .size:           144
        .value_kind:     by_value
    .group_segment_fixed_size: 0
    .kernarg_segment_align: 8
    .kernarg_segment_size: 144
    .language:       OpenCL C
    .language_version:
      - 2
      - 0
    .max_flat_workgroup_size: 256
    .name:           _ZN7rocprim17ROCPRIM_400000_NS6detail17trampoline_kernelINS0_13select_configILj256ELj13ELNS0_17block_load_methodE3ELS4_3ELS4_3ELNS0_20block_scan_algorithmE0ELj4294967295EEENS1_25partition_config_selectorILNS1_17partition_subalgoE3EjNS0_10empty_typeEbEEZZNS1_14partition_implILS8_3ELb0ES6_jNS0_17counting_iteratorIjlEEPS9_SE_NS0_5tupleIJPjSE_EEENSF_IJSE_SE_EEES9_SG_JZNS1_25segmented_radix_sort_implINS0_14default_configELb0EPK6__halfPSL_PKlPlN2at6native12_GLOBAL__N_18offset_tEEE10hipError_tPvRmT1_PNSt15iterator_traitsISZ_E10value_typeET2_T3_PNS10_IS15_E10value_typeET4_jRbjT5_S1B_jjP12ihipStream_tbEUljE_EEESW_SX_SY_S15_S19_S1B_T6_T7_T9_mT8_S1D_bDpT10_ENKUlT_T0_E_clISt17integral_constantIbLb1EES1P_IbLb0EEEEDaS1L_S1M_EUlS1L_E_NS1_11comp_targetILNS1_3genE0ELNS1_11target_archE4294967295ELNS1_3gpuE0ELNS1_3repE0EEENS1_30default_config_static_selectorELNS0_4arch9wavefront6targetE0EEEvSZ_
    .private_segment_fixed_size: 0
    .sgpr_count:     0
    .sgpr_spill_count: 0
    .symbol:         _ZN7rocprim17ROCPRIM_400000_NS6detail17trampoline_kernelINS0_13select_configILj256ELj13ELNS0_17block_load_methodE3ELS4_3ELS4_3ELNS0_20block_scan_algorithmE0ELj4294967295EEENS1_25partition_config_selectorILNS1_17partition_subalgoE3EjNS0_10empty_typeEbEEZZNS1_14partition_implILS8_3ELb0ES6_jNS0_17counting_iteratorIjlEEPS9_SE_NS0_5tupleIJPjSE_EEENSF_IJSE_SE_EEES9_SG_JZNS1_25segmented_radix_sort_implINS0_14default_configELb0EPK6__halfPSL_PKlPlN2at6native12_GLOBAL__N_18offset_tEEE10hipError_tPvRmT1_PNSt15iterator_traitsISZ_E10value_typeET2_T3_PNS10_IS15_E10value_typeET4_jRbjT5_S1B_jjP12ihipStream_tbEUljE_EEESW_SX_SY_S15_S19_S1B_T6_T7_T9_mT8_S1D_bDpT10_ENKUlT_T0_E_clISt17integral_constantIbLb1EES1P_IbLb0EEEEDaS1L_S1M_EUlS1L_E_NS1_11comp_targetILNS1_3genE0ELNS1_11target_archE4294967295ELNS1_3gpuE0ELNS1_3repE0EEENS1_30default_config_static_selectorELNS0_4arch9wavefront6targetE0EEEvSZ_.kd
    .uniform_work_group_size: 1
    .uses_dynamic_stack: false
    .vgpr_count:     0
    .vgpr_spill_count: 0
    .wavefront_size: 32
    .workgroup_processor_mode: 1
  - .args:
      - .offset:         0
        .size:           144
        .value_kind:     by_value
    .group_segment_fixed_size: 0
    .kernarg_segment_align: 8
    .kernarg_segment_size: 144
    .language:       OpenCL C
    .language_version:
      - 2
      - 0
    .max_flat_workgroup_size: 256
    .name:           _ZN7rocprim17ROCPRIM_400000_NS6detail17trampoline_kernelINS0_13select_configILj256ELj13ELNS0_17block_load_methodE3ELS4_3ELS4_3ELNS0_20block_scan_algorithmE0ELj4294967295EEENS1_25partition_config_selectorILNS1_17partition_subalgoE3EjNS0_10empty_typeEbEEZZNS1_14partition_implILS8_3ELb0ES6_jNS0_17counting_iteratorIjlEEPS9_SE_NS0_5tupleIJPjSE_EEENSF_IJSE_SE_EEES9_SG_JZNS1_25segmented_radix_sort_implINS0_14default_configELb0EPK6__halfPSL_PKlPlN2at6native12_GLOBAL__N_18offset_tEEE10hipError_tPvRmT1_PNSt15iterator_traitsISZ_E10value_typeET2_T3_PNS10_IS15_E10value_typeET4_jRbjT5_S1B_jjP12ihipStream_tbEUljE_EEESW_SX_SY_S15_S19_S1B_T6_T7_T9_mT8_S1D_bDpT10_ENKUlT_T0_E_clISt17integral_constantIbLb1EES1P_IbLb0EEEEDaS1L_S1M_EUlS1L_E_NS1_11comp_targetILNS1_3genE5ELNS1_11target_archE942ELNS1_3gpuE9ELNS1_3repE0EEENS1_30default_config_static_selectorELNS0_4arch9wavefront6targetE0EEEvSZ_
    .private_segment_fixed_size: 0
    .sgpr_count:     0
    .sgpr_spill_count: 0
    .symbol:         _ZN7rocprim17ROCPRIM_400000_NS6detail17trampoline_kernelINS0_13select_configILj256ELj13ELNS0_17block_load_methodE3ELS4_3ELS4_3ELNS0_20block_scan_algorithmE0ELj4294967295EEENS1_25partition_config_selectorILNS1_17partition_subalgoE3EjNS0_10empty_typeEbEEZZNS1_14partition_implILS8_3ELb0ES6_jNS0_17counting_iteratorIjlEEPS9_SE_NS0_5tupleIJPjSE_EEENSF_IJSE_SE_EEES9_SG_JZNS1_25segmented_radix_sort_implINS0_14default_configELb0EPK6__halfPSL_PKlPlN2at6native12_GLOBAL__N_18offset_tEEE10hipError_tPvRmT1_PNSt15iterator_traitsISZ_E10value_typeET2_T3_PNS10_IS15_E10value_typeET4_jRbjT5_S1B_jjP12ihipStream_tbEUljE_EEESW_SX_SY_S15_S19_S1B_T6_T7_T9_mT8_S1D_bDpT10_ENKUlT_T0_E_clISt17integral_constantIbLb1EES1P_IbLb0EEEEDaS1L_S1M_EUlS1L_E_NS1_11comp_targetILNS1_3genE5ELNS1_11target_archE942ELNS1_3gpuE9ELNS1_3repE0EEENS1_30default_config_static_selectorELNS0_4arch9wavefront6targetE0EEEvSZ_.kd
    .uniform_work_group_size: 1
    .uses_dynamic_stack: false
    .vgpr_count:     0
    .vgpr_spill_count: 0
    .wavefront_size: 32
    .workgroup_processor_mode: 1
  - .args:
      - .offset:         0
        .size:           144
        .value_kind:     by_value
    .group_segment_fixed_size: 0
    .kernarg_segment_align: 8
    .kernarg_segment_size: 144
    .language:       OpenCL C
    .language_version:
      - 2
      - 0
    .max_flat_workgroup_size: 256
    .name:           _ZN7rocprim17ROCPRIM_400000_NS6detail17trampoline_kernelINS0_13select_configILj256ELj13ELNS0_17block_load_methodE3ELS4_3ELS4_3ELNS0_20block_scan_algorithmE0ELj4294967295EEENS1_25partition_config_selectorILNS1_17partition_subalgoE3EjNS0_10empty_typeEbEEZZNS1_14partition_implILS8_3ELb0ES6_jNS0_17counting_iteratorIjlEEPS9_SE_NS0_5tupleIJPjSE_EEENSF_IJSE_SE_EEES9_SG_JZNS1_25segmented_radix_sort_implINS0_14default_configELb0EPK6__halfPSL_PKlPlN2at6native12_GLOBAL__N_18offset_tEEE10hipError_tPvRmT1_PNSt15iterator_traitsISZ_E10value_typeET2_T3_PNS10_IS15_E10value_typeET4_jRbjT5_S1B_jjP12ihipStream_tbEUljE_EEESW_SX_SY_S15_S19_S1B_T6_T7_T9_mT8_S1D_bDpT10_ENKUlT_T0_E_clISt17integral_constantIbLb1EES1P_IbLb0EEEEDaS1L_S1M_EUlS1L_E_NS1_11comp_targetILNS1_3genE4ELNS1_11target_archE910ELNS1_3gpuE8ELNS1_3repE0EEENS1_30default_config_static_selectorELNS0_4arch9wavefront6targetE0EEEvSZ_
    .private_segment_fixed_size: 0
    .sgpr_count:     0
    .sgpr_spill_count: 0
    .symbol:         _ZN7rocprim17ROCPRIM_400000_NS6detail17trampoline_kernelINS0_13select_configILj256ELj13ELNS0_17block_load_methodE3ELS4_3ELS4_3ELNS0_20block_scan_algorithmE0ELj4294967295EEENS1_25partition_config_selectorILNS1_17partition_subalgoE3EjNS0_10empty_typeEbEEZZNS1_14partition_implILS8_3ELb0ES6_jNS0_17counting_iteratorIjlEEPS9_SE_NS0_5tupleIJPjSE_EEENSF_IJSE_SE_EEES9_SG_JZNS1_25segmented_radix_sort_implINS0_14default_configELb0EPK6__halfPSL_PKlPlN2at6native12_GLOBAL__N_18offset_tEEE10hipError_tPvRmT1_PNSt15iterator_traitsISZ_E10value_typeET2_T3_PNS10_IS15_E10value_typeET4_jRbjT5_S1B_jjP12ihipStream_tbEUljE_EEESW_SX_SY_S15_S19_S1B_T6_T7_T9_mT8_S1D_bDpT10_ENKUlT_T0_E_clISt17integral_constantIbLb1EES1P_IbLb0EEEEDaS1L_S1M_EUlS1L_E_NS1_11comp_targetILNS1_3genE4ELNS1_11target_archE910ELNS1_3gpuE8ELNS1_3repE0EEENS1_30default_config_static_selectorELNS0_4arch9wavefront6targetE0EEEvSZ_.kd
    .uniform_work_group_size: 1
    .uses_dynamic_stack: false
    .vgpr_count:     0
    .vgpr_spill_count: 0
    .wavefront_size: 32
    .workgroup_processor_mode: 1
  - .args:
      - .offset:         0
        .size:           144
        .value_kind:     by_value
    .group_segment_fixed_size: 0
    .kernarg_segment_align: 8
    .kernarg_segment_size: 144
    .language:       OpenCL C
    .language_version:
      - 2
      - 0
    .max_flat_workgroup_size: 256
    .name:           _ZN7rocprim17ROCPRIM_400000_NS6detail17trampoline_kernelINS0_13select_configILj256ELj13ELNS0_17block_load_methodE3ELS4_3ELS4_3ELNS0_20block_scan_algorithmE0ELj4294967295EEENS1_25partition_config_selectorILNS1_17partition_subalgoE3EjNS0_10empty_typeEbEEZZNS1_14partition_implILS8_3ELb0ES6_jNS0_17counting_iteratorIjlEEPS9_SE_NS0_5tupleIJPjSE_EEENSF_IJSE_SE_EEES9_SG_JZNS1_25segmented_radix_sort_implINS0_14default_configELb0EPK6__halfPSL_PKlPlN2at6native12_GLOBAL__N_18offset_tEEE10hipError_tPvRmT1_PNSt15iterator_traitsISZ_E10value_typeET2_T3_PNS10_IS15_E10value_typeET4_jRbjT5_S1B_jjP12ihipStream_tbEUljE_EEESW_SX_SY_S15_S19_S1B_T6_T7_T9_mT8_S1D_bDpT10_ENKUlT_T0_E_clISt17integral_constantIbLb1EES1P_IbLb0EEEEDaS1L_S1M_EUlS1L_E_NS1_11comp_targetILNS1_3genE3ELNS1_11target_archE908ELNS1_3gpuE7ELNS1_3repE0EEENS1_30default_config_static_selectorELNS0_4arch9wavefront6targetE0EEEvSZ_
    .private_segment_fixed_size: 0
    .sgpr_count:     0
    .sgpr_spill_count: 0
    .symbol:         _ZN7rocprim17ROCPRIM_400000_NS6detail17trampoline_kernelINS0_13select_configILj256ELj13ELNS0_17block_load_methodE3ELS4_3ELS4_3ELNS0_20block_scan_algorithmE0ELj4294967295EEENS1_25partition_config_selectorILNS1_17partition_subalgoE3EjNS0_10empty_typeEbEEZZNS1_14partition_implILS8_3ELb0ES6_jNS0_17counting_iteratorIjlEEPS9_SE_NS0_5tupleIJPjSE_EEENSF_IJSE_SE_EEES9_SG_JZNS1_25segmented_radix_sort_implINS0_14default_configELb0EPK6__halfPSL_PKlPlN2at6native12_GLOBAL__N_18offset_tEEE10hipError_tPvRmT1_PNSt15iterator_traitsISZ_E10value_typeET2_T3_PNS10_IS15_E10value_typeET4_jRbjT5_S1B_jjP12ihipStream_tbEUljE_EEESW_SX_SY_S15_S19_S1B_T6_T7_T9_mT8_S1D_bDpT10_ENKUlT_T0_E_clISt17integral_constantIbLb1EES1P_IbLb0EEEEDaS1L_S1M_EUlS1L_E_NS1_11comp_targetILNS1_3genE3ELNS1_11target_archE908ELNS1_3gpuE7ELNS1_3repE0EEENS1_30default_config_static_selectorELNS0_4arch9wavefront6targetE0EEEvSZ_.kd
    .uniform_work_group_size: 1
    .uses_dynamic_stack: false
    .vgpr_count:     0
    .vgpr_spill_count: 0
    .wavefront_size: 32
    .workgroup_processor_mode: 1
  - .args:
      - .offset:         0
        .size:           144
        .value_kind:     by_value
    .group_segment_fixed_size: 0
    .kernarg_segment_align: 8
    .kernarg_segment_size: 144
    .language:       OpenCL C
    .language_version:
      - 2
      - 0
    .max_flat_workgroup_size: 256
    .name:           _ZN7rocprim17ROCPRIM_400000_NS6detail17trampoline_kernelINS0_13select_configILj256ELj13ELNS0_17block_load_methodE3ELS4_3ELS4_3ELNS0_20block_scan_algorithmE0ELj4294967295EEENS1_25partition_config_selectorILNS1_17partition_subalgoE3EjNS0_10empty_typeEbEEZZNS1_14partition_implILS8_3ELb0ES6_jNS0_17counting_iteratorIjlEEPS9_SE_NS0_5tupleIJPjSE_EEENSF_IJSE_SE_EEES9_SG_JZNS1_25segmented_radix_sort_implINS0_14default_configELb0EPK6__halfPSL_PKlPlN2at6native12_GLOBAL__N_18offset_tEEE10hipError_tPvRmT1_PNSt15iterator_traitsISZ_E10value_typeET2_T3_PNS10_IS15_E10value_typeET4_jRbjT5_S1B_jjP12ihipStream_tbEUljE_EEESW_SX_SY_S15_S19_S1B_T6_T7_T9_mT8_S1D_bDpT10_ENKUlT_T0_E_clISt17integral_constantIbLb1EES1P_IbLb0EEEEDaS1L_S1M_EUlS1L_E_NS1_11comp_targetILNS1_3genE2ELNS1_11target_archE906ELNS1_3gpuE6ELNS1_3repE0EEENS1_30default_config_static_selectorELNS0_4arch9wavefront6targetE0EEEvSZ_
    .private_segment_fixed_size: 0
    .sgpr_count:     0
    .sgpr_spill_count: 0
    .symbol:         _ZN7rocprim17ROCPRIM_400000_NS6detail17trampoline_kernelINS0_13select_configILj256ELj13ELNS0_17block_load_methodE3ELS4_3ELS4_3ELNS0_20block_scan_algorithmE0ELj4294967295EEENS1_25partition_config_selectorILNS1_17partition_subalgoE3EjNS0_10empty_typeEbEEZZNS1_14partition_implILS8_3ELb0ES6_jNS0_17counting_iteratorIjlEEPS9_SE_NS0_5tupleIJPjSE_EEENSF_IJSE_SE_EEES9_SG_JZNS1_25segmented_radix_sort_implINS0_14default_configELb0EPK6__halfPSL_PKlPlN2at6native12_GLOBAL__N_18offset_tEEE10hipError_tPvRmT1_PNSt15iterator_traitsISZ_E10value_typeET2_T3_PNS10_IS15_E10value_typeET4_jRbjT5_S1B_jjP12ihipStream_tbEUljE_EEESW_SX_SY_S15_S19_S1B_T6_T7_T9_mT8_S1D_bDpT10_ENKUlT_T0_E_clISt17integral_constantIbLb1EES1P_IbLb0EEEEDaS1L_S1M_EUlS1L_E_NS1_11comp_targetILNS1_3genE2ELNS1_11target_archE906ELNS1_3gpuE6ELNS1_3repE0EEENS1_30default_config_static_selectorELNS0_4arch9wavefront6targetE0EEEvSZ_.kd
    .uniform_work_group_size: 1
    .uses_dynamic_stack: false
    .vgpr_count:     0
    .vgpr_spill_count: 0
    .wavefront_size: 32
    .workgroup_processor_mode: 1
  - .args:
      - .offset:         0
        .size:           144
        .value_kind:     by_value
    .group_segment_fixed_size: 0
    .kernarg_segment_align: 8
    .kernarg_segment_size: 144
    .language:       OpenCL C
    .language_version:
      - 2
      - 0
    .max_flat_workgroup_size: 256
    .name:           _ZN7rocprim17ROCPRIM_400000_NS6detail17trampoline_kernelINS0_13select_configILj256ELj13ELNS0_17block_load_methodE3ELS4_3ELS4_3ELNS0_20block_scan_algorithmE0ELj4294967295EEENS1_25partition_config_selectorILNS1_17partition_subalgoE3EjNS0_10empty_typeEbEEZZNS1_14partition_implILS8_3ELb0ES6_jNS0_17counting_iteratorIjlEEPS9_SE_NS0_5tupleIJPjSE_EEENSF_IJSE_SE_EEES9_SG_JZNS1_25segmented_radix_sort_implINS0_14default_configELb0EPK6__halfPSL_PKlPlN2at6native12_GLOBAL__N_18offset_tEEE10hipError_tPvRmT1_PNSt15iterator_traitsISZ_E10value_typeET2_T3_PNS10_IS15_E10value_typeET4_jRbjT5_S1B_jjP12ihipStream_tbEUljE_EEESW_SX_SY_S15_S19_S1B_T6_T7_T9_mT8_S1D_bDpT10_ENKUlT_T0_E_clISt17integral_constantIbLb1EES1P_IbLb0EEEEDaS1L_S1M_EUlS1L_E_NS1_11comp_targetILNS1_3genE10ELNS1_11target_archE1200ELNS1_3gpuE4ELNS1_3repE0EEENS1_30default_config_static_selectorELNS0_4arch9wavefront6targetE0EEEvSZ_
    .private_segment_fixed_size: 0
    .sgpr_count:     0
    .sgpr_spill_count: 0
    .symbol:         _ZN7rocprim17ROCPRIM_400000_NS6detail17trampoline_kernelINS0_13select_configILj256ELj13ELNS0_17block_load_methodE3ELS4_3ELS4_3ELNS0_20block_scan_algorithmE0ELj4294967295EEENS1_25partition_config_selectorILNS1_17partition_subalgoE3EjNS0_10empty_typeEbEEZZNS1_14partition_implILS8_3ELb0ES6_jNS0_17counting_iteratorIjlEEPS9_SE_NS0_5tupleIJPjSE_EEENSF_IJSE_SE_EEES9_SG_JZNS1_25segmented_radix_sort_implINS0_14default_configELb0EPK6__halfPSL_PKlPlN2at6native12_GLOBAL__N_18offset_tEEE10hipError_tPvRmT1_PNSt15iterator_traitsISZ_E10value_typeET2_T3_PNS10_IS15_E10value_typeET4_jRbjT5_S1B_jjP12ihipStream_tbEUljE_EEESW_SX_SY_S15_S19_S1B_T6_T7_T9_mT8_S1D_bDpT10_ENKUlT_T0_E_clISt17integral_constantIbLb1EES1P_IbLb0EEEEDaS1L_S1M_EUlS1L_E_NS1_11comp_targetILNS1_3genE10ELNS1_11target_archE1200ELNS1_3gpuE4ELNS1_3repE0EEENS1_30default_config_static_selectorELNS0_4arch9wavefront6targetE0EEEvSZ_.kd
    .uniform_work_group_size: 1
    .uses_dynamic_stack: false
    .vgpr_count:     0
    .vgpr_spill_count: 0
    .wavefront_size: 32
    .workgroup_processor_mode: 1
  - .args:
      - .offset:         0
        .size:           144
        .value_kind:     by_value
    .group_segment_fixed_size: 0
    .kernarg_segment_align: 8
    .kernarg_segment_size: 144
    .language:       OpenCL C
    .language_version:
      - 2
      - 0
    .max_flat_workgroup_size: 256
    .name:           _ZN7rocprim17ROCPRIM_400000_NS6detail17trampoline_kernelINS0_13select_configILj256ELj13ELNS0_17block_load_methodE3ELS4_3ELS4_3ELNS0_20block_scan_algorithmE0ELj4294967295EEENS1_25partition_config_selectorILNS1_17partition_subalgoE3EjNS0_10empty_typeEbEEZZNS1_14partition_implILS8_3ELb0ES6_jNS0_17counting_iteratorIjlEEPS9_SE_NS0_5tupleIJPjSE_EEENSF_IJSE_SE_EEES9_SG_JZNS1_25segmented_radix_sort_implINS0_14default_configELb0EPK6__halfPSL_PKlPlN2at6native12_GLOBAL__N_18offset_tEEE10hipError_tPvRmT1_PNSt15iterator_traitsISZ_E10value_typeET2_T3_PNS10_IS15_E10value_typeET4_jRbjT5_S1B_jjP12ihipStream_tbEUljE_EEESW_SX_SY_S15_S19_S1B_T6_T7_T9_mT8_S1D_bDpT10_ENKUlT_T0_E_clISt17integral_constantIbLb1EES1P_IbLb0EEEEDaS1L_S1M_EUlS1L_E_NS1_11comp_targetILNS1_3genE9ELNS1_11target_archE1100ELNS1_3gpuE3ELNS1_3repE0EEENS1_30default_config_static_selectorELNS0_4arch9wavefront6targetE0EEEvSZ_
    .private_segment_fixed_size: 0
    .sgpr_count:     0
    .sgpr_spill_count: 0
    .symbol:         _ZN7rocprim17ROCPRIM_400000_NS6detail17trampoline_kernelINS0_13select_configILj256ELj13ELNS0_17block_load_methodE3ELS4_3ELS4_3ELNS0_20block_scan_algorithmE0ELj4294967295EEENS1_25partition_config_selectorILNS1_17partition_subalgoE3EjNS0_10empty_typeEbEEZZNS1_14partition_implILS8_3ELb0ES6_jNS0_17counting_iteratorIjlEEPS9_SE_NS0_5tupleIJPjSE_EEENSF_IJSE_SE_EEES9_SG_JZNS1_25segmented_radix_sort_implINS0_14default_configELb0EPK6__halfPSL_PKlPlN2at6native12_GLOBAL__N_18offset_tEEE10hipError_tPvRmT1_PNSt15iterator_traitsISZ_E10value_typeET2_T3_PNS10_IS15_E10value_typeET4_jRbjT5_S1B_jjP12ihipStream_tbEUljE_EEESW_SX_SY_S15_S19_S1B_T6_T7_T9_mT8_S1D_bDpT10_ENKUlT_T0_E_clISt17integral_constantIbLb1EES1P_IbLb0EEEEDaS1L_S1M_EUlS1L_E_NS1_11comp_targetILNS1_3genE9ELNS1_11target_archE1100ELNS1_3gpuE3ELNS1_3repE0EEENS1_30default_config_static_selectorELNS0_4arch9wavefront6targetE0EEEvSZ_.kd
    .uniform_work_group_size: 1
    .uses_dynamic_stack: false
    .vgpr_count:     0
    .vgpr_spill_count: 0
    .wavefront_size: 32
    .workgroup_processor_mode: 1
  - .args:
      - .offset:         0
        .size:           144
        .value_kind:     by_value
    .group_segment_fixed_size: 0
    .kernarg_segment_align: 8
    .kernarg_segment_size: 144
    .language:       OpenCL C
    .language_version:
      - 2
      - 0
    .max_flat_workgroup_size: 256
    .name:           _ZN7rocprim17ROCPRIM_400000_NS6detail17trampoline_kernelINS0_13select_configILj256ELj13ELNS0_17block_load_methodE3ELS4_3ELS4_3ELNS0_20block_scan_algorithmE0ELj4294967295EEENS1_25partition_config_selectorILNS1_17partition_subalgoE3EjNS0_10empty_typeEbEEZZNS1_14partition_implILS8_3ELb0ES6_jNS0_17counting_iteratorIjlEEPS9_SE_NS0_5tupleIJPjSE_EEENSF_IJSE_SE_EEES9_SG_JZNS1_25segmented_radix_sort_implINS0_14default_configELb0EPK6__halfPSL_PKlPlN2at6native12_GLOBAL__N_18offset_tEEE10hipError_tPvRmT1_PNSt15iterator_traitsISZ_E10value_typeET2_T3_PNS10_IS15_E10value_typeET4_jRbjT5_S1B_jjP12ihipStream_tbEUljE_EEESW_SX_SY_S15_S19_S1B_T6_T7_T9_mT8_S1D_bDpT10_ENKUlT_T0_E_clISt17integral_constantIbLb1EES1P_IbLb0EEEEDaS1L_S1M_EUlS1L_E_NS1_11comp_targetILNS1_3genE8ELNS1_11target_archE1030ELNS1_3gpuE2ELNS1_3repE0EEENS1_30default_config_static_selectorELNS0_4arch9wavefront6targetE0EEEvSZ_
    .private_segment_fixed_size: 0
    .sgpr_count:     0
    .sgpr_spill_count: 0
    .symbol:         _ZN7rocprim17ROCPRIM_400000_NS6detail17trampoline_kernelINS0_13select_configILj256ELj13ELNS0_17block_load_methodE3ELS4_3ELS4_3ELNS0_20block_scan_algorithmE0ELj4294967295EEENS1_25partition_config_selectorILNS1_17partition_subalgoE3EjNS0_10empty_typeEbEEZZNS1_14partition_implILS8_3ELb0ES6_jNS0_17counting_iteratorIjlEEPS9_SE_NS0_5tupleIJPjSE_EEENSF_IJSE_SE_EEES9_SG_JZNS1_25segmented_radix_sort_implINS0_14default_configELb0EPK6__halfPSL_PKlPlN2at6native12_GLOBAL__N_18offset_tEEE10hipError_tPvRmT1_PNSt15iterator_traitsISZ_E10value_typeET2_T3_PNS10_IS15_E10value_typeET4_jRbjT5_S1B_jjP12ihipStream_tbEUljE_EEESW_SX_SY_S15_S19_S1B_T6_T7_T9_mT8_S1D_bDpT10_ENKUlT_T0_E_clISt17integral_constantIbLb1EES1P_IbLb0EEEEDaS1L_S1M_EUlS1L_E_NS1_11comp_targetILNS1_3genE8ELNS1_11target_archE1030ELNS1_3gpuE2ELNS1_3repE0EEENS1_30default_config_static_selectorELNS0_4arch9wavefront6targetE0EEEvSZ_.kd
    .uniform_work_group_size: 1
    .uses_dynamic_stack: false
    .vgpr_count:     0
    .vgpr_spill_count: 0
    .wavefront_size: 32
    .workgroup_processor_mode: 1
  - .args:
      - .offset:         0
        .size:           152
        .value_kind:     by_value
    .group_segment_fixed_size: 0
    .kernarg_segment_align: 8
    .kernarg_segment_size: 152
    .language:       OpenCL C
    .language_version:
      - 2
      - 0
    .max_flat_workgroup_size: 256
    .name:           _ZN7rocprim17ROCPRIM_400000_NS6detail17trampoline_kernelINS0_13select_configILj256ELj13ELNS0_17block_load_methodE3ELS4_3ELS4_3ELNS0_20block_scan_algorithmE0ELj4294967295EEENS1_25partition_config_selectorILNS1_17partition_subalgoE3EjNS0_10empty_typeEbEEZZNS1_14partition_implILS8_3ELb0ES6_jNS0_17counting_iteratorIjlEEPS9_SE_NS0_5tupleIJPjSE_EEENSF_IJSE_SE_EEES9_SG_JZNS1_25segmented_radix_sort_implINS0_14default_configELb0EPK6__halfPSL_PKlPlN2at6native12_GLOBAL__N_18offset_tEEE10hipError_tPvRmT1_PNSt15iterator_traitsISZ_E10value_typeET2_T3_PNS10_IS15_E10value_typeET4_jRbjT5_S1B_jjP12ihipStream_tbEUljE_EEESW_SX_SY_S15_S19_S1B_T6_T7_T9_mT8_S1D_bDpT10_ENKUlT_T0_E_clISt17integral_constantIbLb0EES1P_IbLb1EEEEDaS1L_S1M_EUlS1L_E_NS1_11comp_targetILNS1_3genE0ELNS1_11target_archE4294967295ELNS1_3gpuE0ELNS1_3repE0EEENS1_30default_config_static_selectorELNS0_4arch9wavefront6targetE0EEEvSZ_
    .private_segment_fixed_size: 0
    .sgpr_count:     0
    .sgpr_spill_count: 0
    .symbol:         _ZN7rocprim17ROCPRIM_400000_NS6detail17trampoline_kernelINS0_13select_configILj256ELj13ELNS0_17block_load_methodE3ELS4_3ELS4_3ELNS0_20block_scan_algorithmE0ELj4294967295EEENS1_25partition_config_selectorILNS1_17partition_subalgoE3EjNS0_10empty_typeEbEEZZNS1_14partition_implILS8_3ELb0ES6_jNS0_17counting_iteratorIjlEEPS9_SE_NS0_5tupleIJPjSE_EEENSF_IJSE_SE_EEES9_SG_JZNS1_25segmented_radix_sort_implINS0_14default_configELb0EPK6__halfPSL_PKlPlN2at6native12_GLOBAL__N_18offset_tEEE10hipError_tPvRmT1_PNSt15iterator_traitsISZ_E10value_typeET2_T3_PNS10_IS15_E10value_typeET4_jRbjT5_S1B_jjP12ihipStream_tbEUljE_EEESW_SX_SY_S15_S19_S1B_T6_T7_T9_mT8_S1D_bDpT10_ENKUlT_T0_E_clISt17integral_constantIbLb0EES1P_IbLb1EEEEDaS1L_S1M_EUlS1L_E_NS1_11comp_targetILNS1_3genE0ELNS1_11target_archE4294967295ELNS1_3gpuE0ELNS1_3repE0EEENS1_30default_config_static_selectorELNS0_4arch9wavefront6targetE0EEEvSZ_.kd
    .uniform_work_group_size: 1
    .uses_dynamic_stack: false
    .vgpr_count:     0
    .vgpr_spill_count: 0
    .wavefront_size: 32
    .workgroup_processor_mode: 1
  - .args:
      - .offset:         0
        .size:           152
        .value_kind:     by_value
    .group_segment_fixed_size: 0
    .kernarg_segment_align: 8
    .kernarg_segment_size: 152
    .language:       OpenCL C
    .language_version:
      - 2
      - 0
    .max_flat_workgroup_size: 256
    .name:           _ZN7rocprim17ROCPRIM_400000_NS6detail17trampoline_kernelINS0_13select_configILj256ELj13ELNS0_17block_load_methodE3ELS4_3ELS4_3ELNS0_20block_scan_algorithmE0ELj4294967295EEENS1_25partition_config_selectorILNS1_17partition_subalgoE3EjNS0_10empty_typeEbEEZZNS1_14partition_implILS8_3ELb0ES6_jNS0_17counting_iteratorIjlEEPS9_SE_NS0_5tupleIJPjSE_EEENSF_IJSE_SE_EEES9_SG_JZNS1_25segmented_radix_sort_implINS0_14default_configELb0EPK6__halfPSL_PKlPlN2at6native12_GLOBAL__N_18offset_tEEE10hipError_tPvRmT1_PNSt15iterator_traitsISZ_E10value_typeET2_T3_PNS10_IS15_E10value_typeET4_jRbjT5_S1B_jjP12ihipStream_tbEUljE_EEESW_SX_SY_S15_S19_S1B_T6_T7_T9_mT8_S1D_bDpT10_ENKUlT_T0_E_clISt17integral_constantIbLb0EES1P_IbLb1EEEEDaS1L_S1M_EUlS1L_E_NS1_11comp_targetILNS1_3genE5ELNS1_11target_archE942ELNS1_3gpuE9ELNS1_3repE0EEENS1_30default_config_static_selectorELNS0_4arch9wavefront6targetE0EEEvSZ_
    .private_segment_fixed_size: 0
    .sgpr_count:     0
    .sgpr_spill_count: 0
    .symbol:         _ZN7rocprim17ROCPRIM_400000_NS6detail17trampoline_kernelINS0_13select_configILj256ELj13ELNS0_17block_load_methodE3ELS4_3ELS4_3ELNS0_20block_scan_algorithmE0ELj4294967295EEENS1_25partition_config_selectorILNS1_17partition_subalgoE3EjNS0_10empty_typeEbEEZZNS1_14partition_implILS8_3ELb0ES6_jNS0_17counting_iteratorIjlEEPS9_SE_NS0_5tupleIJPjSE_EEENSF_IJSE_SE_EEES9_SG_JZNS1_25segmented_radix_sort_implINS0_14default_configELb0EPK6__halfPSL_PKlPlN2at6native12_GLOBAL__N_18offset_tEEE10hipError_tPvRmT1_PNSt15iterator_traitsISZ_E10value_typeET2_T3_PNS10_IS15_E10value_typeET4_jRbjT5_S1B_jjP12ihipStream_tbEUljE_EEESW_SX_SY_S15_S19_S1B_T6_T7_T9_mT8_S1D_bDpT10_ENKUlT_T0_E_clISt17integral_constantIbLb0EES1P_IbLb1EEEEDaS1L_S1M_EUlS1L_E_NS1_11comp_targetILNS1_3genE5ELNS1_11target_archE942ELNS1_3gpuE9ELNS1_3repE0EEENS1_30default_config_static_selectorELNS0_4arch9wavefront6targetE0EEEvSZ_.kd
    .uniform_work_group_size: 1
    .uses_dynamic_stack: false
    .vgpr_count:     0
    .vgpr_spill_count: 0
    .wavefront_size: 32
    .workgroup_processor_mode: 1
  - .args:
      - .offset:         0
        .size:           152
        .value_kind:     by_value
    .group_segment_fixed_size: 0
    .kernarg_segment_align: 8
    .kernarg_segment_size: 152
    .language:       OpenCL C
    .language_version:
      - 2
      - 0
    .max_flat_workgroup_size: 256
    .name:           _ZN7rocprim17ROCPRIM_400000_NS6detail17trampoline_kernelINS0_13select_configILj256ELj13ELNS0_17block_load_methodE3ELS4_3ELS4_3ELNS0_20block_scan_algorithmE0ELj4294967295EEENS1_25partition_config_selectorILNS1_17partition_subalgoE3EjNS0_10empty_typeEbEEZZNS1_14partition_implILS8_3ELb0ES6_jNS0_17counting_iteratorIjlEEPS9_SE_NS0_5tupleIJPjSE_EEENSF_IJSE_SE_EEES9_SG_JZNS1_25segmented_radix_sort_implINS0_14default_configELb0EPK6__halfPSL_PKlPlN2at6native12_GLOBAL__N_18offset_tEEE10hipError_tPvRmT1_PNSt15iterator_traitsISZ_E10value_typeET2_T3_PNS10_IS15_E10value_typeET4_jRbjT5_S1B_jjP12ihipStream_tbEUljE_EEESW_SX_SY_S15_S19_S1B_T6_T7_T9_mT8_S1D_bDpT10_ENKUlT_T0_E_clISt17integral_constantIbLb0EES1P_IbLb1EEEEDaS1L_S1M_EUlS1L_E_NS1_11comp_targetILNS1_3genE4ELNS1_11target_archE910ELNS1_3gpuE8ELNS1_3repE0EEENS1_30default_config_static_selectorELNS0_4arch9wavefront6targetE0EEEvSZ_
    .private_segment_fixed_size: 0
    .sgpr_count:     0
    .sgpr_spill_count: 0
    .symbol:         _ZN7rocprim17ROCPRIM_400000_NS6detail17trampoline_kernelINS0_13select_configILj256ELj13ELNS0_17block_load_methodE3ELS4_3ELS4_3ELNS0_20block_scan_algorithmE0ELj4294967295EEENS1_25partition_config_selectorILNS1_17partition_subalgoE3EjNS0_10empty_typeEbEEZZNS1_14partition_implILS8_3ELb0ES6_jNS0_17counting_iteratorIjlEEPS9_SE_NS0_5tupleIJPjSE_EEENSF_IJSE_SE_EEES9_SG_JZNS1_25segmented_radix_sort_implINS0_14default_configELb0EPK6__halfPSL_PKlPlN2at6native12_GLOBAL__N_18offset_tEEE10hipError_tPvRmT1_PNSt15iterator_traitsISZ_E10value_typeET2_T3_PNS10_IS15_E10value_typeET4_jRbjT5_S1B_jjP12ihipStream_tbEUljE_EEESW_SX_SY_S15_S19_S1B_T6_T7_T9_mT8_S1D_bDpT10_ENKUlT_T0_E_clISt17integral_constantIbLb0EES1P_IbLb1EEEEDaS1L_S1M_EUlS1L_E_NS1_11comp_targetILNS1_3genE4ELNS1_11target_archE910ELNS1_3gpuE8ELNS1_3repE0EEENS1_30default_config_static_selectorELNS0_4arch9wavefront6targetE0EEEvSZ_.kd
    .uniform_work_group_size: 1
    .uses_dynamic_stack: false
    .vgpr_count:     0
    .vgpr_spill_count: 0
    .wavefront_size: 32
    .workgroup_processor_mode: 1
  - .args:
      - .offset:         0
        .size:           152
        .value_kind:     by_value
    .group_segment_fixed_size: 0
    .kernarg_segment_align: 8
    .kernarg_segment_size: 152
    .language:       OpenCL C
    .language_version:
      - 2
      - 0
    .max_flat_workgroup_size: 256
    .name:           _ZN7rocprim17ROCPRIM_400000_NS6detail17trampoline_kernelINS0_13select_configILj256ELj13ELNS0_17block_load_methodE3ELS4_3ELS4_3ELNS0_20block_scan_algorithmE0ELj4294967295EEENS1_25partition_config_selectorILNS1_17partition_subalgoE3EjNS0_10empty_typeEbEEZZNS1_14partition_implILS8_3ELb0ES6_jNS0_17counting_iteratorIjlEEPS9_SE_NS0_5tupleIJPjSE_EEENSF_IJSE_SE_EEES9_SG_JZNS1_25segmented_radix_sort_implINS0_14default_configELb0EPK6__halfPSL_PKlPlN2at6native12_GLOBAL__N_18offset_tEEE10hipError_tPvRmT1_PNSt15iterator_traitsISZ_E10value_typeET2_T3_PNS10_IS15_E10value_typeET4_jRbjT5_S1B_jjP12ihipStream_tbEUljE_EEESW_SX_SY_S15_S19_S1B_T6_T7_T9_mT8_S1D_bDpT10_ENKUlT_T0_E_clISt17integral_constantIbLb0EES1P_IbLb1EEEEDaS1L_S1M_EUlS1L_E_NS1_11comp_targetILNS1_3genE3ELNS1_11target_archE908ELNS1_3gpuE7ELNS1_3repE0EEENS1_30default_config_static_selectorELNS0_4arch9wavefront6targetE0EEEvSZ_
    .private_segment_fixed_size: 0
    .sgpr_count:     0
    .sgpr_spill_count: 0
    .symbol:         _ZN7rocprim17ROCPRIM_400000_NS6detail17trampoline_kernelINS0_13select_configILj256ELj13ELNS0_17block_load_methodE3ELS4_3ELS4_3ELNS0_20block_scan_algorithmE0ELj4294967295EEENS1_25partition_config_selectorILNS1_17partition_subalgoE3EjNS0_10empty_typeEbEEZZNS1_14partition_implILS8_3ELb0ES6_jNS0_17counting_iteratorIjlEEPS9_SE_NS0_5tupleIJPjSE_EEENSF_IJSE_SE_EEES9_SG_JZNS1_25segmented_radix_sort_implINS0_14default_configELb0EPK6__halfPSL_PKlPlN2at6native12_GLOBAL__N_18offset_tEEE10hipError_tPvRmT1_PNSt15iterator_traitsISZ_E10value_typeET2_T3_PNS10_IS15_E10value_typeET4_jRbjT5_S1B_jjP12ihipStream_tbEUljE_EEESW_SX_SY_S15_S19_S1B_T6_T7_T9_mT8_S1D_bDpT10_ENKUlT_T0_E_clISt17integral_constantIbLb0EES1P_IbLb1EEEEDaS1L_S1M_EUlS1L_E_NS1_11comp_targetILNS1_3genE3ELNS1_11target_archE908ELNS1_3gpuE7ELNS1_3repE0EEENS1_30default_config_static_selectorELNS0_4arch9wavefront6targetE0EEEvSZ_.kd
    .uniform_work_group_size: 1
    .uses_dynamic_stack: false
    .vgpr_count:     0
    .vgpr_spill_count: 0
    .wavefront_size: 32
    .workgroup_processor_mode: 1
  - .args:
      - .offset:         0
        .size:           152
        .value_kind:     by_value
    .group_segment_fixed_size: 0
    .kernarg_segment_align: 8
    .kernarg_segment_size: 152
    .language:       OpenCL C
    .language_version:
      - 2
      - 0
    .max_flat_workgroup_size: 256
    .name:           _ZN7rocprim17ROCPRIM_400000_NS6detail17trampoline_kernelINS0_13select_configILj256ELj13ELNS0_17block_load_methodE3ELS4_3ELS4_3ELNS0_20block_scan_algorithmE0ELj4294967295EEENS1_25partition_config_selectorILNS1_17partition_subalgoE3EjNS0_10empty_typeEbEEZZNS1_14partition_implILS8_3ELb0ES6_jNS0_17counting_iteratorIjlEEPS9_SE_NS0_5tupleIJPjSE_EEENSF_IJSE_SE_EEES9_SG_JZNS1_25segmented_radix_sort_implINS0_14default_configELb0EPK6__halfPSL_PKlPlN2at6native12_GLOBAL__N_18offset_tEEE10hipError_tPvRmT1_PNSt15iterator_traitsISZ_E10value_typeET2_T3_PNS10_IS15_E10value_typeET4_jRbjT5_S1B_jjP12ihipStream_tbEUljE_EEESW_SX_SY_S15_S19_S1B_T6_T7_T9_mT8_S1D_bDpT10_ENKUlT_T0_E_clISt17integral_constantIbLb0EES1P_IbLb1EEEEDaS1L_S1M_EUlS1L_E_NS1_11comp_targetILNS1_3genE2ELNS1_11target_archE906ELNS1_3gpuE6ELNS1_3repE0EEENS1_30default_config_static_selectorELNS0_4arch9wavefront6targetE0EEEvSZ_
    .private_segment_fixed_size: 0
    .sgpr_count:     0
    .sgpr_spill_count: 0
    .symbol:         _ZN7rocprim17ROCPRIM_400000_NS6detail17trampoline_kernelINS0_13select_configILj256ELj13ELNS0_17block_load_methodE3ELS4_3ELS4_3ELNS0_20block_scan_algorithmE0ELj4294967295EEENS1_25partition_config_selectorILNS1_17partition_subalgoE3EjNS0_10empty_typeEbEEZZNS1_14partition_implILS8_3ELb0ES6_jNS0_17counting_iteratorIjlEEPS9_SE_NS0_5tupleIJPjSE_EEENSF_IJSE_SE_EEES9_SG_JZNS1_25segmented_radix_sort_implINS0_14default_configELb0EPK6__halfPSL_PKlPlN2at6native12_GLOBAL__N_18offset_tEEE10hipError_tPvRmT1_PNSt15iterator_traitsISZ_E10value_typeET2_T3_PNS10_IS15_E10value_typeET4_jRbjT5_S1B_jjP12ihipStream_tbEUljE_EEESW_SX_SY_S15_S19_S1B_T6_T7_T9_mT8_S1D_bDpT10_ENKUlT_T0_E_clISt17integral_constantIbLb0EES1P_IbLb1EEEEDaS1L_S1M_EUlS1L_E_NS1_11comp_targetILNS1_3genE2ELNS1_11target_archE906ELNS1_3gpuE6ELNS1_3repE0EEENS1_30default_config_static_selectorELNS0_4arch9wavefront6targetE0EEEvSZ_.kd
    .uniform_work_group_size: 1
    .uses_dynamic_stack: false
    .vgpr_count:     0
    .vgpr_spill_count: 0
    .wavefront_size: 32
    .workgroup_processor_mode: 1
  - .args:
      - .offset:         0
        .size:           152
        .value_kind:     by_value
    .group_segment_fixed_size: 0
    .kernarg_segment_align: 8
    .kernarg_segment_size: 152
    .language:       OpenCL C
    .language_version:
      - 2
      - 0
    .max_flat_workgroup_size: 256
    .name:           _ZN7rocprim17ROCPRIM_400000_NS6detail17trampoline_kernelINS0_13select_configILj256ELj13ELNS0_17block_load_methodE3ELS4_3ELS4_3ELNS0_20block_scan_algorithmE0ELj4294967295EEENS1_25partition_config_selectorILNS1_17partition_subalgoE3EjNS0_10empty_typeEbEEZZNS1_14partition_implILS8_3ELb0ES6_jNS0_17counting_iteratorIjlEEPS9_SE_NS0_5tupleIJPjSE_EEENSF_IJSE_SE_EEES9_SG_JZNS1_25segmented_radix_sort_implINS0_14default_configELb0EPK6__halfPSL_PKlPlN2at6native12_GLOBAL__N_18offset_tEEE10hipError_tPvRmT1_PNSt15iterator_traitsISZ_E10value_typeET2_T3_PNS10_IS15_E10value_typeET4_jRbjT5_S1B_jjP12ihipStream_tbEUljE_EEESW_SX_SY_S15_S19_S1B_T6_T7_T9_mT8_S1D_bDpT10_ENKUlT_T0_E_clISt17integral_constantIbLb0EES1P_IbLb1EEEEDaS1L_S1M_EUlS1L_E_NS1_11comp_targetILNS1_3genE10ELNS1_11target_archE1200ELNS1_3gpuE4ELNS1_3repE0EEENS1_30default_config_static_selectorELNS0_4arch9wavefront6targetE0EEEvSZ_
    .private_segment_fixed_size: 0
    .sgpr_count:     0
    .sgpr_spill_count: 0
    .symbol:         _ZN7rocprim17ROCPRIM_400000_NS6detail17trampoline_kernelINS0_13select_configILj256ELj13ELNS0_17block_load_methodE3ELS4_3ELS4_3ELNS0_20block_scan_algorithmE0ELj4294967295EEENS1_25partition_config_selectorILNS1_17partition_subalgoE3EjNS0_10empty_typeEbEEZZNS1_14partition_implILS8_3ELb0ES6_jNS0_17counting_iteratorIjlEEPS9_SE_NS0_5tupleIJPjSE_EEENSF_IJSE_SE_EEES9_SG_JZNS1_25segmented_radix_sort_implINS0_14default_configELb0EPK6__halfPSL_PKlPlN2at6native12_GLOBAL__N_18offset_tEEE10hipError_tPvRmT1_PNSt15iterator_traitsISZ_E10value_typeET2_T3_PNS10_IS15_E10value_typeET4_jRbjT5_S1B_jjP12ihipStream_tbEUljE_EEESW_SX_SY_S15_S19_S1B_T6_T7_T9_mT8_S1D_bDpT10_ENKUlT_T0_E_clISt17integral_constantIbLb0EES1P_IbLb1EEEEDaS1L_S1M_EUlS1L_E_NS1_11comp_targetILNS1_3genE10ELNS1_11target_archE1200ELNS1_3gpuE4ELNS1_3repE0EEENS1_30default_config_static_selectorELNS0_4arch9wavefront6targetE0EEEvSZ_.kd
    .uniform_work_group_size: 1
    .uses_dynamic_stack: false
    .vgpr_count:     0
    .vgpr_spill_count: 0
    .wavefront_size: 32
    .workgroup_processor_mode: 1
  - .args:
      - .offset:         0
        .size:           152
        .value_kind:     by_value
    .group_segment_fixed_size: 0
    .kernarg_segment_align: 8
    .kernarg_segment_size: 152
    .language:       OpenCL C
    .language_version:
      - 2
      - 0
    .max_flat_workgroup_size: 256
    .name:           _ZN7rocprim17ROCPRIM_400000_NS6detail17trampoline_kernelINS0_13select_configILj256ELj13ELNS0_17block_load_methodE3ELS4_3ELS4_3ELNS0_20block_scan_algorithmE0ELj4294967295EEENS1_25partition_config_selectorILNS1_17partition_subalgoE3EjNS0_10empty_typeEbEEZZNS1_14partition_implILS8_3ELb0ES6_jNS0_17counting_iteratorIjlEEPS9_SE_NS0_5tupleIJPjSE_EEENSF_IJSE_SE_EEES9_SG_JZNS1_25segmented_radix_sort_implINS0_14default_configELb0EPK6__halfPSL_PKlPlN2at6native12_GLOBAL__N_18offset_tEEE10hipError_tPvRmT1_PNSt15iterator_traitsISZ_E10value_typeET2_T3_PNS10_IS15_E10value_typeET4_jRbjT5_S1B_jjP12ihipStream_tbEUljE_EEESW_SX_SY_S15_S19_S1B_T6_T7_T9_mT8_S1D_bDpT10_ENKUlT_T0_E_clISt17integral_constantIbLb0EES1P_IbLb1EEEEDaS1L_S1M_EUlS1L_E_NS1_11comp_targetILNS1_3genE9ELNS1_11target_archE1100ELNS1_3gpuE3ELNS1_3repE0EEENS1_30default_config_static_selectorELNS0_4arch9wavefront6targetE0EEEvSZ_
    .private_segment_fixed_size: 0
    .sgpr_count:     0
    .sgpr_spill_count: 0
    .symbol:         _ZN7rocprim17ROCPRIM_400000_NS6detail17trampoline_kernelINS0_13select_configILj256ELj13ELNS0_17block_load_methodE3ELS4_3ELS4_3ELNS0_20block_scan_algorithmE0ELj4294967295EEENS1_25partition_config_selectorILNS1_17partition_subalgoE3EjNS0_10empty_typeEbEEZZNS1_14partition_implILS8_3ELb0ES6_jNS0_17counting_iteratorIjlEEPS9_SE_NS0_5tupleIJPjSE_EEENSF_IJSE_SE_EEES9_SG_JZNS1_25segmented_radix_sort_implINS0_14default_configELb0EPK6__halfPSL_PKlPlN2at6native12_GLOBAL__N_18offset_tEEE10hipError_tPvRmT1_PNSt15iterator_traitsISZ_E10value_typeET2_T3_PNS10_IS15_E10value_typeET4_jRbjT5_S1B_jjP12ihipStream_tbEUljE_EEESW_SX_SY_S15_S19_S1B_T6_T7_T9_mT8_S1D_bDpT10_ENKUlT_T0_E_clISt17integral_constantIbLb0EES1P_IbLb1EEEEDaS1L_S1M_EUlS1L_E_NS1_11comp_targetILNS1_3genE9ELNS1_11target_archE1100ELNS1_3gpuE3ELNS1_3repE0EEENS1_30default_config_static_selectorELNS0_4arch9wavefront6targetE0EEEvSZ_.kd
    .uniform_work_group_size: 1
    .uses_dynamic_stack: false
    .vgpr_count:     0
    .vgpr_spill_count: 0
    .wavefront_size: 32
    .workgroup_processor_mode: 1
  - .args:
      - .offset:         0
        .size:           152
        .value_kind:     by_value
    .group_segment_fixed_size: 13320
    .kernarg_segment_align: 8
    .kernarg_segment_size: 152
    .language:       OpenCL C
    .language_version:
      - 2
      - 0
    .max_flat_workgroup_size: 256
    .name:           _ZN7rocprim17ROCPRIM_400000_NS6detail17trampoline_kernelINS0_13select_configILj256ELj13ELNS0_17block_load_methodE3ELS4_3ELS4_3ELNS0_20block_scan_algorithmE0ELj4294967295EEENS1_25partition_config_selectorILNS1_17partition_subalgoE3EjNS0_10empty_typeEbEEZZNS1_14partition_implILS8_3ELb0ES6_jNS0_17counting_iteratorIjlEEPS9_SE_NS0_5tupleIJPjSE_EEENSF_IJSE_SE_EEES9_SG_JZNS1_25segmented_radix_sort_implINS0_14default_configELb0EPK6__halfPSL_PKlPlN2at6native12_GLOBAL__N_18offset_tEEE10hipError_tPvRmT1_PNSt15iterator_traitsISZ_E10value_typeET2_T3_PNS10_IS15_E10value_typeET4_jRbjT5_S1B_jjP12ihipStream_tbEUljE_EEESW_SX_SY_S15_S19_S1B_T6_T7_T9_mT8_S1D_bDpT10_ENKUlT_T0_E_clISt17integral_constantIbLb0EES1P_IbLb1EEEEDaS1L_S1M_EUlS1L_E_NS1_11comp_targetILNS1_3genE8ELNS1_11target_archE1030ELNS1_3gpuE2ELNS1_3repE0EEENS1_30default_config_static_selectorELNS0_4arch9wavefront6targetE0EEEvSZ_
    .private_segment_fixed_size: 0
    .sgpr_count:     28
    .sgpr_spill_count: 0
    .symbol:         _ZN7rocprim17ROCPRIM_400000_NS6detail17trampoline_kernelINS0_13select_configILj256ELj13ELNS0_17block_load_methodE3ELS4_3ELS4_3ELNS0_20block_scan_algorithmE0ELj4294967295EEENS1_25partition_config_selectorILNS1_17partition_subalgoE3EjNS0_10empty_typeEbEEZZNS1_14partition_implILS8_3ELb0ES6_jNS0_17counting_iteratorIjlEEPS9_SE_NS0_5tupleIJPjSE_EEENSF_IJSE_SE_EEES9_SG_JZNS1_25segmented_radix_sort_implINS0_14default_configELb0EPK6__halfPSL_PKlPlN2at6native12_GLOBAL__N_18offset_tEEE10hipError_tPvRmT1_PNSt15iterator_traitsISZ_E10value_typeET2_T3_PNS10_IS15_E10value_typeET4_jRbjT5_S1B_jjP12ihipStream_tbEUljE_EEESW_SX_SY_S15_S19_S1B_T6_T7_T9_mT8_S1D_bDpT10_ENKUlT_T0_E_clISt17integral_constantIbLb0EES1P_IbLb1EEEEDaS1L_S1M_EUlS1L_E_NS1_11comp_targetILNS1_3genE8ELNS1_11target_archE1030ELNS1_3gpuE2ELNS1_3repE0EEENS1_30default_config_static_selectorELNS0_4arch9wavefront6targetE0EEEvSZ_.kd
    .uniform_work_group_size: 1
    .uses_dynamic_stack: false
    .vgpr_count:     71
    .vgpr_spill_count: 0
    .wavefront_size: 32
    .workgroup_processor_mode: 1
  - .args:
      - .offset:         0
        .size:           96
        .value_kind:     by_value
    .group_segment_fixed_size: 0
    .kernarg_segment_align: 8
    .kernarg_segment_size: 96
    .language:       OpenCL C
    .language_version:
      - 2
      - 0
    .max_flat_workgroup_size: 256
    .name:           _ZN7rocprim17ROCPRIM_400000_NS6detail17trampoline_kernelINS0_14default_configENS1_36segmented_radix_sort_config_selectorI6__halflEEZNS1_25segmented_radix_sort_implIS3_Lb0EPKS5_PS5_PKlPlN2at6native12_GLOBAL__N_18offset_tEEE10hipError_tPvRmT1_PNSt15iterator_traitsISL_E10value_typeET2_T3_PNSM_ISR_E10value_typeET4_jRbjT5_SX_jjP12ihipStream_tbEUlT_E_NS1_11comp_targetILNS1_3genE0ELNS1_11target_archE4294967295ELNS1_3gpuE0ELNS1_3repE0EEENS1_30default_config_static_selectorELNS0_4arch9wavefront6targetE0EEEvSL_
    .private_segment_fixed_size: 0
    .sgpr_count:     0
    .sgpr_spill_count: 0
    .symbol:         _ZN7rocprim17ROCPRIM_400000_NS6detail17trampoline_kernelINS0_14default_configENS1_36segmented_radix_sort_config_selectorI6__halflEEZNS1_25segmented_radix_sort_implIS3_Lb0EPKS5_PS5_PKlPlN2at6native12_GLOBAL__N_18offset_tEEE10hipError_tPvRmT1_PNSt15iterator_traitsISL_E10value_typeET2_T3_PNSM_ISR_E10value_typeET4_jRbjT5_SX_jjP12ihipStream_tbEUlT_E_NS1_11comp_targetILNS1_3genE0ELNS1_11target_archE4294967295ELNS1_3gpuE0ELNS1_3repE0EEENS1_30default_config_static_selectorELNS0_4arch9wavefront6targetE0EEEvSL_.kd
    .uniform_work_group_size: 1
    .uses_dynamic_stack: false
    .vgpr_count:     0
    .vgpr_spill_count: 0
    .wavefront_size: 32
    .workgroup_processor_mode: 1
  - .args:
      - .offset:         0
        .size:           96
        .value_kind:     by_value
    .group_segment_fixed_size: 0
    .kernarg_segment_align: 8
    .kernarg_segment_size: 96
    .language:       OpenCL C
    .language_version:
      - 2
      - 0
    .max_flat_workgroup_size: 256
    .name:           _ZN7rocprim17ROCPRIM_400000_NS6detail17trampoline_kernelINS0_14default_configENS1_36segmented_radix_sort_config_selectorI6__halflEEZNS1_25segmented_radix_sort_implIS3_Lb0EPKS5_PS5_PKlPlN2at6native12_GLOBAL__N_18offset_tEEE10hipError_tPvRmT1_PNSt15iterator_traitsISL_E10value_typeET2_T3_PNSM_ISR_E10value_typeET4_jRbjT5_SX_jjP12ihipStream_tbEUlT_E_NS1_11comp_targetILNS1_3genE5ELNS1_11target_archE942ELNS1_3gpuE9ELNS1_3repE0EEENS1_30default_config_static_selectorELNS0_4arch9wavefront6targetE0EEEvSL_
    .private_segment_fixed_size: 0
    .sgpr_count:     0
    .sgpr_spill_count: 0
    .symbol:         _ZN7rocprim17ROCPRIM_400000_NS6detail17trampoline_kernelINS0_14default_configENS1_36segmented_radix_sort_config_selectorI6__halflEEZNS1_25segmented_radix_sort_implIS3_Lb0EPKS5_PS5_PKlPlN2at6native12_GLOBAL__N_18offset_tEEE10hipError_tPvRmT1_PNSt15iterator_traitsISL_E10value_typeET2_T3_PNSM_ISR_E10value_typeET4_jRbjT5_SX_jjP12ihipStream_tbEUlT_E_NS1_11comp_targetILNS1_3genE5ELNS1_11target_archE942ELNS1_3gpuE9ELNS1_3repE0EEENS1_30default_config_static_selectorELNS0_4arch9wavefront6targetE0EEEvSL_.kd
    .uniform_work_group_size: 1
    .uses_dynamic_stack: false
    .vgpr_count:     0
    .vgpr_spill_count: 0
    .wavefront_size: 32
    .workgroup_processor_mode: 1
  - .args:
      - .offset:         0
        .size:           96
        .value_kind:     by_value
    .group_segment_fixed_size: 0
    .kernarg_segment_align: 8
    .kernarg_segment_size: 96
    .language:       OpenCL C
    .language_version:
      - 2
      - 0
    .max_flat_workgroup_size: 256
    .name:           _ZN7rocprim17ROCPRIM_400000_NS6detail17trampoline_kernelINS0_14default_configENS1_36segmented_radix_sort_config_selectorI6__halflEEZNS1_25segmented_radix_sort_implIS3_Lb0EPKS5_PS5_PKlPlN2at6native12_GLOBAL__N_18offset_tEEE10hipError_tPvRmT1_PNSt15iterator_traitsISL_E10value_typeET2_T3_PNSM_ISR_E10value_typeET4_jRbjT5_SX_jjP12ihipStream_tbEUlT_E_NS1_11comp_targetILNS1_3genE4ELNS1_11target_archE910ELNS1_3gpuE8ELNS1_3repE0EEENS1_30default_config_static_selectorELNS0_4arch9wavefront6targetE0EEEvSL_
    .private_segment_fixed_size: 0
    .sgpr_count:     0
    .sgpr_spill_count: 0
    .symbol:         _ZN7rocprim17ROCPRIM_400000_NS6detail17trampoline_kernelINS0_14default_configENS1_36segmented_radix_sort_config_selectorI6__halflEEZNS1_25segmented_radix_sort_implIS3_Lb0EPKS5_PS5_PKlPlN2at6native12_GLOBAL__N_18offset_tEEE10hipError_tPvRmT1_PNSt15iterator_traitsISL_E10value_typeET2_T3_PNSM_ISR_E10value_typeET4_jRbjT5_SX_jjP12ihipStream_tbEUlT_E_NS1_11comp_targetILNS1_3genE4ELNS1_11target_archE910ELNS1_3gpuE8ELNS1_3repE0EEENS1_30default_config_static_selectorELNS0_4arch9wavefront6targetE0EEEvSL_.kd
    .uniform_work_group_size: 1
    .uses_dynamic_stack: false
    .vgpr_count:     0
    .vgpr_spill_count: 0
    .wavefront_size: 32
    .workgroup_processor_mode: 1
  - .args:
      - .offset:         0
        .size:           96
        .value_kind:     by_value
    .group_segment_fixed_size: 0
    .kernarg_segment_align: 8
    .kernarg_segment_size: 96
    .language:       OpenCL C
    .language_version:
      - 2
      - 0
    .max_flat_workgroup_size: 256
    .name:           _ZN7rocprim17ROCPRIM_400000_NS6detail17trampoline_kernelINS0_14default_configENS1_36segmented_radix_sort_config_selectorI6__halflEEZNS1_25segmented_radix_sort_implIS3_Lb0EPKS5_PS5_PKlPlN2at6native12_GLOBAL__N_18offset_tEEE10hipError_tPvRmT1_PNSt15iterator_traitsISL_E10value_typeET2_T3_PNSM_ISR_E10value_typeET4_jRbjT5_SX_jjP12ihipStream_tbEUlT_E_NS1_11comp_targetILNS1_3genE3ELNS1_11target_archE908ELNS1_3gpuE7ELNS1_3repE0EEENS1_30default_config_static_selectorELNS0_4arch9wavefront6targetE0EEEvSL_
    .private_segment_fixed_size: 0
    .sgpr_count:     0
    .sgpr_spill_count: 0
    .symbol:         _ZN7rocprim17ROCPRIM_400000_NS6detail17trampoline_kernelINS0_14default_configENS1_36segmented_radix_sort_config_selectorI6__halflEEZNS1_25segmented_radix_sort_implIS3_Lb0EPKS5_PS5_PKlPlN2at6native12_GLOBAL__N_18offset_tEEE10hipError_tPvRmT1_PNSt15iterator_traitsISL_E10value_typeET2_T3_PNSM_ISR_E10value_typeET4_jRbjT5_SX_jjP12ihipStream_tbEUlT_E_NS1_11comp_targetILNS1_3genE3ELNS1_11target_archE908ELNS1_3gpuE7ELNS1_3repE0EEENS1_30default_config_static_selectorELNS0_4arch9wavefront6targetE0EEEvSL_.kd
    .uniform_work_group_size: 1
    .uses_dynamic_stack: false
    .vgpr_count:     0
    .vgpr_spill_count: 0
    .wavefront_size: 32
    .workgroup_processor_mode: 1
  - .args:
      - .offset:         0
        .size:           96
        .value_kind:     by_value
    .group_segment_fixed_size: 0
    .kernarg_segment_align: 8
    .kernarg_segment_size: 96
    .language:       OpenCL C
    .language_version:
      - 2
      - 0
    .max_flat_workgroup_size: 256
    .name:           _ZN7rocprim17ROCPRIM_400000_NS6detail17trampoline_kernelINS0_14default_configENS1_36segmented_radix_sort_config_selectorI6__halflEEZNS1_25segmented_radix_sort_implIS3_Lb0EPKS5_PS5_PKlPlN2at6native12_GLOBAL__N_18offset_tEEE10hipError_tPvRmT1_PNSt15iterator_traitsISL_E10value_typeET2_T3_PNSM_ISR_E10value_typeET4_jRbjT5_SX_jjP12ihipStream_tbEUlT_E_NS1_11comp_targetILNS1_3genE2ELNS1_11target_archE906ELNS1_3gpuE6ELNS1_3repE0EEENS1_30default_config_static_selectorELNS0_4arch9wavefront6targetE0EEEvSL_
    .private_segment_fixed_size: 0
    .sgpr_count:     0
    .sgpr_spill_count: 0
    .symbol:         _ZN7rocprim17ROCPRIM_400000_NS6detail17trampoline_kernelINS0_14default_configENS1_36segmented_radix_sort_config_selectorI6__halflEEZNS1_25segmented_radix_sort_implIS3_Lb0EPKS5_PS5_PKlPlN2at6native12_GLOBAL__N_18offset_tEEE10hipError_tPvRmT1_PNSt15iterator_traitsISL_E10value_typeET2_T3_PNSM_ISR_E10value_typeET4_jRbjT5_SX_jjP12ihipStream_tbEUlT_E_NS1_11comp_targetILNS1_3genE2ELNS1_11target_archE906ELNS1_3gpuE6ELNS1_3repE0EEENS1_30default_config_static_selectorELNS0_4arch9wavefront6targetE0EEEvSL_.kd
    .uniform_work_group_size: 1
    .uses_dynamic_stack: false
    .vgpr_count:     0
    .vgpr_spill_count: 0
    .wavefront_size: 32
    .workgroup_processor_mode: 1
  - .args:
      - .offset:         0
        .size:           96
        .value_kind:     by_value
    .group_segment_fixed_size: 0
    .kernarg_segment_align: 8
    .kernarg_segment_size: 96
    .language:       OpenCL C
    .language_version:
      - 2
      - 0
    .max_flat_workgroup_size: 256
    .name:           _ZN7rocprim17ROCPRIM_400000_NS6detail17trampoline_kernelINS0_14default_configENS1_36segmented_radix_sort_config_selectorI6__halflEEZNS1_25segmented_radix_sort_implIS3_Lb0EPKS5_PS5_PKlPlN2at6native12_GLOBAL__N_18offset_tEEE10hipError_tPvRmT1_PNSt15iterator_traitsISL_E10value_typeET2_T3_PNSM_ISR_E10value_typeET4_jRbjT5_SX_jjP12ihipStream_tbEUlT_E_NS1_11comp_targetILNS1_3genE10ELNS1_11target_archE1201ELNS1_3gpuE5ELNS1_3repE0EEENS1_30default_config_static_selectorELNS0_4arch9wavefront6targetE0EEEvSL_
    .private_segment_fixed_size: 0
    .sgpr_count:     0
    .sgpr_spill_count: 0
    .symbol:         _ZN7rocprim17ROCPRIM_400000_NS6detail17trampoline_kernelINS0_14default_configENS1_36segmented_radix_sort_config_selectorI6__halflEEZNS1_25segmented_radix_sort_implIS3_Lb0EPKS5_PS5_PKlPlN2at6native12_GLOBAL__N_18offset_tEEE10hipError_tPvRmT1_PNSt15iterator_traitsISL_E10value_typeET2_T3_PNSM_ISR_E10value_typeET4_jRbjT5_SX_jjP12ihipStream_tbEUlT_E_NS1_11comp_targetILNS1_3genE10ELNS1_11target_archE1201ELNS1_3gpuE5ELNS1_3repE0EEENS1_30default_config_static_selectorELNS0_4arch9wavefront6targetE0EEEvSL_.kd
    .uniform_work_group_size: 1
    .uses_dynamic_stack: false
    .vgpr_count:     0
    .vgpr_spill_count: 0
    .wavefront_size: 32
    .workgroup_processor_mode: 1
  - .args:
      - .offset:         0
        .size:           96
        .value_kind:     by_value
    .group_segment_fixed_size: 0
    .kernarg_segment_align: 8
    .kernarg_segment_size: 96
    .language:       OpenCL C
    .language_version:
      - 2
      - 0
    .max_flat_workgroup_size: 128
    .name:           _ZN7rocprim17ROCPRIM_400000_NS6detail17trampoline_kernelINS0_14default_configENS1_36segmented_radix_sort_config_selectorI6__halflEEZNS1_25segmented_radix_sort_implIS3_Lb0EPKS5_PS5_PKlPlN2at6native12_GLOBAL__N_18offset_tEEE10hipError_tPvRmT1_PNSt15iterator_traitsISL_E10value_typeET2_T3_PNSM_ISR_E10value_typeET4_jRbjT5_SX_jjP12ihipStream_tbEUlT_E_NS1_11comp_targetILNS1_3genE10ELNS1_11target_archE1200ELNS1_3gpuE4ELNS1_3repE0EEENS1_30default_config_static_selectorELNS0_4arch9wavefront6targetE0EEEvSL_
    .private_segment_fixed_size: 0
    .sgpr_count:     0
    .sgpr_spill_count: 0
    .symbol:         _ZN7rocprim17ROCPRIM_400000_NS6detail17trampoline_kernelINS0_14default_configENS1_36segmented_radix_sort_config_selectorI6__halflEEZNS1_25segmented_radix_sort_implIS3_Lb0EPKS5_PS5_PKlPlN2at6native12_GLOBAL__N_18offset_tEEE10hipError_tPvRmT1_PNSt15iterator_traitsISL_E10value_typeET2_T3_PNSM_ISR_E10value_typeET4_jRbjT5_SX_jjP12ihipStream_tbEUlT_E_NS1_11comp_targetILNS1_3genE10ELNS1_11target_archE1200ELNS1_3gpuE4ELNS1_3repE0EEENS1_30default_config_static_selectorELNS0_4arch9wavefront6targetE0EEEvSL_.kd
    .uniform_work_group_size: 1
    .uses_dynamic_stack: false
    .vgpr_count:     0
    .vgpr_spill_count: 0
    .wavefront_size: 32
    .workgroup_processor_mode: 1
  - .args:
      - .offset:         0
        .size:           96
        .value_kind:     by_value
    .group_segment_fixed_size: 0
    .kernarg_segment_align: 8
    .kernarg_segment_size: 96
    .language:       OpenCL C
    .language_version:
      - 2
      - 0
    .max_flat_workgroup_size: 256
    .name:           _ZN7rocprim17ROCPRIM_400000_NS6detail17trampoline_kernelINS0_14default_configENS1_36segmented_radix_sort_config_selectorI6__halflEEZNS1_25segmented_radix_sort_implIS3_Lb0EPKS5_PS5_PKlPlN2at6native12_GLOBAL__N_18offset_tEEE10hipError_tPvRmT1_PNSt15iterator_traitsISL_E10value_typeET2_T3_PNSM_ISR_E10value_typeET4_jRbjT5_SX_jjP12ihipStream_tbEUlT_E_NS1_11comp_targetILNS1_3genE9ELNS1_11target_archE1100ELNS1_3gpuE3ELNS1_3repE0EEENS1_30default_config_static_selectorELNS0_4arch9wavefront6targetE0EEEvSL_
    .private_segment_fixed_size: 0
    .sgpr_count:     0
    .sgpr_spill_count: 0
    .symbol:         _ZN7rocprim17ROCPRIM_400000_NS6detail17trampoline_kernelINS0_14default_configENS1_36segmented_radix_sort_config_selectorI6__halflEEZNS1_25segmented_radix_sort_implIS3_Lb0EPKS5_PS5_PKlPlN2at6native12_GLOBAL__N_18offset_tEEE10hipError_tPvRmT1_PNSt15iterator_traitsISL_E10value_typeET2_T3_PNSM_ISR_E10value_typeET4_jRbjT5_SX_jjP12ihipStream_tbEUlT_E_NS1_11comp_targetILNS1_3genE9ELNS1_11target_archE1100ELNS1_3gpuE3ELNS1_3repE0EEENS1_30default_config_static_selectorELNS0_4arch9wavefront6targetE0EEEvSL_.kd
    .uniform_work_group_size: 1
    .uses_dynamic_stack: false
    .vgpr_count:     0
    .vgpr_spill_count: 0
    .wavefront_size: 32
    .workgroup_processor_mode: 1
  - .args:
      - .offset:         0
        .size:           96
        .value_kind:     by_value
      - .offset:         96
        .size:           4
        .value_kind:     hidden_block_count_x
      - .offset:         100
        .size:           4
        .value_kind:     hidden_block_count_y
      - .offset:         104
        .size:           4
        .value_kind:     hidden_block_count_z
      - .offset:         108
        .size:           2
        .value_kind:     hidden_group_size_x
      - .offset:         110
        .size:           2
        .value_kind:     hidden_group_size_y
      - .offset:         112
        .size:           2
        .value_kind:     hidden_group_size_z
      - .offset:         114
        .size:           2
        .value_kind:     hidden_remainder_x
      - .offset:         116
        .size:           2
        .value_kind:     hidden_remainder_y
      - .offset:         118
        .size:           2
        .value_kind:     hidden_remainder_z
      - .offset:         136
        .size:           8
        .value_kind:     hidden_global_offset_x
      - .offset:         144
        .size:           8
        .value_kind:     hidden_global_offset_y
      - .offset:         152
        .size:           8
        .value_kind:     hidden_global_offset_z
      - .offset:         160
        .size:           2
        .value_kind:     hidden_grid_dims
    .group_segment_fixed_size: 17440
    .kernarg_segment_align: 8
    .kernarg_segment_size: 352
    .language:       OpenCL C
    .language_version:
      - 2
      - 0
    .max_flat_workgroup_size: 256
    .name:           _ZN7rocprim17ROCPRIM_400000_NS6detail17trampoline_kernelINS0_14default_configENS1_36segmented_radix_sort_config_selectorI6__halflEEZNS1_25segmented_radix_sort_implIS3_Lb0EPKS5_PS5_PKlPlN2at6native12_GLOBAL__N_18offset_tEEE10hipError_tPvRmT1_PNSt15iterator_traitsISL_E10value_typeET2_T3_PNSM_ISR_E10value_typeET4_jRbjT5_SX_jjP12ihipStream_tbEUlT_E_NS1_11comp_targetILNS1_3genE8ELNS1_11target_archE1030ELNS1_3gpuE2ELNS1_3repE0EEENS1_30default_config_static_selectorELNS0_4arch9wavefront6targetE0EEEvSL_
    .private_segment_fixed_size: 0
    .sgpr_count:     58
    .sgpr_spill_count: 0
    .symbol:         _ZN7rocprim17ROCPRIM_400000_NS6detail17trampoline_kernelINS0_14default_configENS1_36segmented_radix_sort_config_selectorI6__halflEEZNS1_25segmented_radix_sort_implIS3_Lb0EPKS5_PS5_PKlPlN2at6native12_GLOBAL__N_18offset_tEEE10hipError_tPvRmT1_PNSt15iterator_traitsISL_E10value_typeET2_T3_PNSM_ISR_E10value_typeET4_jRbjT5_SX_jjP12ihipStream_tbEUlT_E_NS1_11comp_targetILNS1_3genE8ELNS1_11target_archE1030ELNS1_3gpuE2ELNS1_3repE0EEENS1_30default_config_static_selectorELNS0_4arch9wavefront6targetE0EEEvSL_.kd
    .uniform_work_group_size: 1
    .uses_dynamic_stack: false
    .vgpr_count:     184
    .vgpr_spill_count: 0
    .wavefront_size: 32
    .workgroup_processor_mode: 1
  - .args:
      - .offset:         0
        .size:           88
        .value_kind:     by_value
    .group_segment_fixed_size: 0
    .kernarg_segment_align: 8
    .kernarg_segment_size: 88
    .language:       OpenCL C
    .language_version:
      - 2
      - 0
    .max_flat_workgroup_size: 256
    .name:           _ZN7rocprim17ROCPRIM_400000_NS6detail17trampoline_kernelINS0_14default_configENS1_36segmented_radix_sort_config_selectorI6__halflEEZNS1_25segmented_radix_sort_implIS3_Lb0EPKS5_PS5_PKlPlN2at6native12_GLOBAL__N_18offset_tEEE10hipError_tPvRmT1_PNSt15iterator_traitsISL_E10value_typeET2_T3_PNSM_ISR_E10value_typeET4_jRbjT5_SX_jjP12ihipStream_tbEUlT_E0_NS1_11comp_targetILNS1_3genE0ELNS1_11target_archE4294967295ELNS1_3gpuE0ELNS1_3repE0EEENS1_60segmented_radix_sort_warp_sort_medium_config_static_selectorELNS0_4arch9wavefront6targetE0EEEvSL_
    .private_segment_fixed_size: 0
    .sgpr_count:     0
    .sgpr_spill_count: 0
    .symbol:         _ZN7rocprim17ROCPRIM_400000_NS6detail17trampoline_kernelINS0_14default_configENS1_36segmented_radix_sort_config_selectorI6__halflEEZNS1_25segmented_radix_sort_implIS3_Lb0EPKS5_PS5_PKlPlN2at6native12_GLOBAL__N_18offset_tEEE10hipError_tPvRmT1_PNSt15iterator_traitsISL_E10value_typeET2_T3_PNSM_ISR_E10value_typeET4_jRbjT5_SX_jjP12ihipStream_tbEUlT_E0_NS1_11comp_targetILNS1_3genE0ELNS1_11target_archE4294967295ELNS1_3gpuE0ELNS1_3repE0EEENS1_60segmented_radix_sort_warp_sort_medium_config_static_selectorELNS0_4arch9wavefront6targetE0EEEvSL_.kd
    .uniform_work_group_size: 1
    .uses_dynamic_stack: false
    .vgpr_count:     0
    .vgpr_spill_count: 0
    .wavefront_size: 32
    .workgroup_processor_mode: 1
  - .args:
      - .offset:         0
        .size:           88
        .value_kind:     by_value
    .group_segment_fixed_size: 0
    .kernarg_segment_align: 8
    .kernarg_segment_size: 88
    .language:       OpenCL C
    .language_version:
      - 2
      - 0
    .max_flat_workgroup_size: 256
    .name:           _ZN7rocprim17ROCPRIM_400000_NS6detail17trampoline_kernelINS0_14default_configENS1_36segmented_radix_sort_config_selectorI6__halflEEZNS1_25segmented_radix_sort_implIS3_Lb0EPKS5_PS5_PKlPlN2at6native12_GLOBAL__N_18offset_tEEE10hipError_tPvRmT1_PNSt15iterator_traitsISL_E10value_typeET2_T3_PNSM_ISR_E10value_typeET4_jRbjT5_SX_jjP12ihipStream_tbEUlT_E0_NS1_11comp_targetILNS1_3genE5ELNS1_11target_archE942ELNS1_3gpuE9ELNS1_3repE0EEENS1_60segmented_radix_sort_warp_sort_medium_config_static_selectorELNS0_4arch9wavefront6targetE0EEEvSL_
    .private_segment_fixed_size: 0
    .sgpr_count:     0
    .sgpr_spill_count: 0
    .symbol:         _ZN7rocprim17ROCPRIM_400000_NS6detail17trampoline_kernelINS0_14default_configENS1_36segmented_radix_sort_config_selectorI6__halflEEZNS1_25segmented_radix_sort_implIS3_Lb0EPKS5_PS5_PKlPlN2at6native12_GLOBAL__N_18offset_tEEE10hipError_tPvRmT1_PNSt15iterator_traitsISL_E10value_typeET2_T3_PNSM_ISR_E10value_typeET4_jRbjT5_SX_jjP12ihipStream_tbEUlT_E0_NS1_11comp_targetILNS1_3genE5ELNS1_11target_archE942ELNS1_3gpuE9ELNS1_3repE0EEENS1_60segmented_radix_sort_warp_sort_medium_config_static_selectorELNS0_4arch9wavefront6targetE0EEEvSL_.kd
    .uniform_work_group_size: 1
    .uses_dynamic_stack: false
    .vgpr_count:     0
    .vgpr_spill_count: 0
    .wavefront_size: 32
    .workgroup_processor_mode: 1
  - .args:
      - .offset:         0
        .size:           88
        .value_kind:     by_value
    .group_segment_fixed_size: 0
    .kernarg_segment_align: 8
    .kernarg_segment_size: 88
    .language:       OpenCL C
    .language_version:
      - 2
      - 0
    .max_flat_workgroup_size: 256
    .name:           _ZN7rocprim17ROCPRIM_400000_NS6detail17trampoline_kernelINS0_14default_configENS1_36segmented_radix_sort_config_selectorI6__halflEEZNS1_25segmented_radix_sort_implIS3_Lb0EPKS5_PS5_PKlPlN2at6native12_GLOBAL__N_18offset_tEEE10hipError_tPvRmT1_PNSt15iterator_traitsISL_E10value_typeET2_T3_PNSM_ISR_E10value_typeET4_jRbjT5_SX_jjP12ihipStream_tbEUlT_E0_NS1_11comp_targetILNS1_3genE4ELNS1_11target_archE910ELNS1_3gpuE8ELNS1_3repE0EEENS1_60segmented_radix_sort_warp_sort_medium_config_static_selectorELNS0_4arch9wavefront6targetE0EEEvSL_
    .private_segment_fixed_size: 0
    .sgpr_count:     0
    .sgpr_spill_count: 0
    .symbol:         _ZN7rocprim17ROCPRIM_400000_NS6detail17trampoline_kernelINS0_14default_configENS1_36segmented_radix_sort_config_selectorI6__halflEEZNS1_25segmented_radix_sort_implIS3_Lb0EPKS5_PS5_PKlPlN2at6native12_GLOBAL__N_18offset_tEEE10hipError_tPvRmT1_PNSt15iterator_traitsISL_E10value_typeET2_T3_PNSM_ISR_E10value_typeET4_jRbjT5_SX_jjP12ihipStream_tbEUlT_E0_NS1_11comp_targetILNS1_3genE4ELNS1_11target_archE910ELNS1_3gpuE8ELNS1_3repE0EEENS1_60segmented_radix_sort_warp_sort_medium_config_static_selectorELNS0_4arch9wavefront6targetE0EEEvSL_.kd
    .uniform_work_group_size: 1
    .uses_dynamic_stack: false
    .vgpr_count:     0
    .vgpr_spill_count: 0
    .wavefront_size: 32
    .workgroup_processor_mode: 1
  - .args:
      - .offset:         0
        .size:           88
        .value_kind:     by_value
    .group_segment_fixed_size: 0
    .kernarg_segment_align: 8
    .kernarg_segment_size: 88
    .language:       OpenCL C
    .language_version:
      - 2
      - 0
    .max_flat_workgroup_size: 256
    .name:           _ZN7rocprim17ROCPRIM_400000_NS6detail17trampoline_kernelINS0_14default_configENS1_36segmented_radix_sort_config_selectorI6__halflEEZNS1_25segmented_radix_sort_implIS3_Lb0EPKS5_PS5_PKlPlN2at6native12_GLOBAL__N_18offset_tEEE10hipError_tPvRmT1_PNSt15iterator_traitsISL_E10value_typeET2_T3_PNSM_ISR_E10value_typeET4_jRbjT5_SX_jjP12ihipStream_tbEUlT_E0_NS1_11comp_targetILNS1_3genE3ELNS1_11target_archE908ELNS1_3gpuE7ELNS1_3repE0EEENS1_60segmented_radix_sort_warp_sort_medium_config_static_selectorELNS0_4arch9wavefront6targetE0EEEvSL_
    .private_segment_fixed_size: 0
    .sgpr_count:     0
    .sgpr_spill_count: 0
    .symbol:         _ZN7rocprim17ROCPRIM_400000_NS6detail17trampoline_kernelINS0_14default_configENS1_36segmented_radix_sort_config_selectorI6__halflEEZNS1_25segmented_radix_sort_implIS3_Lb0EPKS5_PS5_PKlPlN2at6native12_GLOBAL__N_18offset_tEEE10hipError_tPvRmT1_PNSt15iterator_traitsISL_E10value_typeET2_T3_PNSM_ISR_E10value_typeET4_jRbjT5_SX_jjP12ihipStream_tbEUlT_E0_NS1_11comp_targetILNS1_3genE3ELNS1_11target_archE908ELNS1_3gpuE7ELNS1_3repE0EEENS1_60segmented_radix_sort_warp_sort_medium_config_static_selectorELNS0_4arch9wavefront6targetE0EEEvSL_.kd
    .uniform_work_group_size: 1
    .uses_dynamic_stack: false
    .vgpr_count:     0
    .vgpr_spill_count: 0
    .wavefront_size: 32
    .workgroup_processor_mode: 1
  - .args:
      - .offset:         0
        .size:           88
        .value_kind:     by_value
    .group_segment_fixed_size: 0
    .kernarg_segment_align: 8
    .kernarg_segment_size: 88
    .language:       OpenCL C
    .language_version:
      - 2
      - 0
    .max_flat_workgroup_size: 256
    .name:           _ZN7rocprim17ROCPRIM_400000_NS6detail17trampoline_kernelINS0_14default_configENS1_36segmented_radix_sort_config_selectorI6__halflEEZNS1_25segmented_radix_sort_implIS3_Lb0EPKS5_PS5_PKlPlN2at6native12_GLOBAL__N_18offset_tEEE10hipError_tPvRmT1_PNSt15iterator_traitsISL_E10value_typeET2_T3_PNSM_ISR_E10value_typeET4_jRbjT5_SX_jjP12ihipStream_tbEUlT_E0_NS1_11comp_targetILNS1_3genE2ELNS1_11target_archE906ELNS1_3gpuE6ELNS1_3repE0EEENS1_60segmented_radix_sort_warp_sort_medium_config_static_selectorELNS0_4arch9wavefront6targetE0EEEvSL_
    .private_segment_fixed_size: 0
    .sgpr_count:     0
    .sgpr_spill_count: 0
    .symbol:         _ZN7rocprim17ROCPRIM_400000_NS6detail17trampoline_kernelINS0_14default_configENS1_36segmented_radix_sort_config_selectorI6__halflEEZNS1_25segmented_radix_sort_implIS3_Lb0EPKS5_PS5_PKlPlN2at6native12_GLOBAL__N_18offset_tEEE10hipError_tPvRmT1_PNSt15iterator_traitsISL_E10value_typeET2_T3_PNSM_ISR_E10value_typeET4_jRbjT5_SX_jjP12ihipStream_tbEUlT_E0_NS1_11comp_targetILNS1_3genE2ELNS1_11target_archE906ELNS1_3gpuE6ELNS1_3repE0EEENS1_60segmented_radix_sort_warp_sort_medium_config_static_selectorELNS0_4arch9wavefront6targetE0EEEvSL_.kd
    .uniform_work_group_size: 1
    .uses_dynamic_stack: false
    .vgpr_count:     0
    .vgpr_spill_count: 0
    .wavefront_size: 32
    .workgroup_processor_mode: 1
  - .args:
      - .offset:         0
        .size:           88
        .value_kind:     by_value
    .group_segment_fixed_size: 0
    .kernarg_segment_align: 8
    .kernarg_segment_size: 88
    .language:       OpenCL C
    .language_version:
      - 2
      - 0
    .max_flat_workgroup_size: 256
    .name:           _ZN7rocprim17ROCPRIM_400000_NS6detail17trampoline_kernelINS0_14default_configENS1_36segmented_radix_sort_config_selectorI6__halflEEZNS1_25segmented_radix_sort_implIS3_Lb0EPKS5_PS5_PKlPlN2at6native12_GLOBAL__N_18offset_tEEE10hipError_tPvRmT1_PNSt15iterator_traitsISL_E10value_typeET2_T3_PNSM_ISR_E10value_typeET4_jRbjT5_SX_jjP12ihipStream_tbEUlT_E0_NS1_11comp_targetILNS1_3genE10ELNS1_11target_archE1201ELNS1_3gpuE5ELNS1_3repE0EEENS1_60segmented_radix_sort_warp_sort_medium_config_static_selectorELNS0_4arch9wavefront6targetE0EEEvSL_
    .private_segment_fixed_size: 0
    .sgpr_count:     0
    .sgpr_spill_count: 0
    .symbol:         _ZN7rocprim17ROCPRIM_400000_NS6detail17trampoline_kernelINS0_14default_configENS1_36segmented_radix_sort_config_selectorI6__halflEEZNS1_25segmented_radix_sort_implIS3_Lb0EPKS5_PS5_PKlPlN2at6native12_GLOBAL__N_18offset_tEEE10hipError_tPvRmT1_PNSt15iterator_traitsISL_E10value_typeET2_T3_PNSM_ISR_E10value_typeET4_jRbjT5_SX_jjP12ihipStream_tbEUlT_E0_NS1_11comp_targetILNS1_3genE10ELNS1_11target_archE1201ELNS1_3gpuE5ELNS1_3repE0EEENS1_60segmented_radix_sort_warp_sort_medium_config_static_selectorELNS0_4arch9wavefront6targetE0EEEvSL_.kd
    .uniform_work_group_size: 1
    .uses_dynamic_stack: false
    .vgpr_count:     0
    .vgpr_spill_count: 0
    .wavefront_size: 32
    .workgroup_processor_mode: 1
  - .args:
      - .offset:         0
        .size:           88
        .value_kind:     by_value
    .group_segment_fixed_size: 0
    .kernarg_segment_align: 8
    .kernarg_segment_size: 88
    .language:       OpenCL C
    .language_version:
      - 2
      - 0
    .max_flat_workgroup_size: 256
    .name:           _ZN7rocprim17ROCPRIM_400000_NS6detail17trampoline_kernelINS0_14default_configENS1_36segmented_radix_sort_config_selectorI6__halflEEZNS1_25segmented_radix_sort_implIS3_Lb0EPKS5_PS5_PKlPlN2at6native12_GLOBAL__N_18offset_tEEE10hipError_tPvRmT1_PNSt15iterator_traitsISL_E10value_typeET2_T3_PNSM_ISR_E10value_typeET4_jRbjT5_SX_jjP12ihipStream_tbEUlT_E0_NS1_11comp_targetILNS1_3genE10ELNS1_11target_archE1200ELNS1_3gpuE4ELNS1_3repE0EEENS1_60segmented_radix_sort_warp_sort_medium_config_static_selectorELNS0_4arch9wavefront6targetE0EEEvSL_
    .private_segment_fixed_size: 0
    .sgpr_count:     0
    .sgpr_spill_count: 0
    .symbol:         _ZN7rocprim17ROCPRIM_400000_NS6detail17trampoline_kernelINS0_14default_configENS1_36segmented_radix_sort_config_selectorI6__halflEEZNS1_25segmented_radix_sort_implIS3_Lb0EPKS5_PS5_PKlPlN2at6native12_GLOBAL__N_18offset_tEEE10hipError_tPvRmT1_PNSt15iterator_traitsISL_E10value_typeET2_T3_PNSM_ISR_E10value_typeET4_jRbjT5_SX_jjP12ihipStream_tbEUlT_E0_NS1_11comp_targetILNS1_3genE10ELNS1_11target_archE1200ELNS1_3gpuE4ELNS1_3repE0EEENS1_60segmented_radix_sort_warp_sort_medium_config_static_selectorELNS0_4arch9wavefront6targetE0EEEvSL_.kd
    .uniform_work_group_size: 1
    .uses_dynamic_stack: false
    .vgpr_count:     0
    .vgpr_spill_count: 0
    .wavefront_size: 32
    .workgroup_processor_mode: 1
  - .args:
      - .offset:         0
        .size:           88
        .value_kind:     by_value
    .group_segment_fixed_size: 0
    .kernarg_segment_align: 8
    .kernarg_segment_size: 88
    .language:       OpenCL C
    .language_version:
      - 2
      - 0
    .max_flat_workgroup_size: 256
    .name:           _ZN7rocprim17ROCPRIM_400000_NS6detail17trampoline_kernelINS0_14default_configENS1_36segmented_radix_sort_config_selectorI6__halflEEZNS1_25segmented_radix_sort_implIS3_Lb0EPKS5_PS5_PKlPlN2at6native12_GLOBAL__N_18offset_tEEE10hipError_tPvRmT1_PNSt15iterator_traitsISL_E10value_typeET2_T3_PNSM_ISR_E10value_typeET4_jRbjT5_SX_jjP12ihipStream_tbEUlT_E0_NS1_11comp_targetILNS1_3genE9ELNS1_11target_archE1100ELNS1_3gpuE3ELNS1_3repE0EEENS1_60segmented_radix_sort_warp_sort_medium_config_static_selectorELNS0_4arch9wavefront6targetE0EEEvSL_
    .private_segment_fixed_size: 0
    .sgpr_count:     0
    .sgpr_spill_count: 0
    .symbol:         _ZN7rocprim17ROCPRIM_400000_NS6detail17trampoline_kernelINS0_14default_configENS1_36segmented_radix_sort_config_selectorI6__halflEEZNS1_25segmented_radix_sort_implIS3_Lb0EPKS5_PS5_PKlPlN2at6native12_GLOBAL__N_18offset_tEEE10hipError_tPvRmT1_PNSt15iterator_traitsISL_E10value_typeET2_T3_PNSM_ISR_E10value_typeET4_jRbjT5_SX_jjP12ihipStream_tbEUlT_E0_NS1_11comp_targetILNS1_3genE9ELNS1_11target_archE1100ELNS1_3gpuE3ELNS1_3repE0EEENS1_60segmented_radix_sort_warp_sort_medium_config_static_selectorELNS0_4arch9wavefront6targetE0EEEvSL_.kd
    .uniform_work_group_size: 1
    .uses_dynamic_stack: false
    .vgpr_count:     0
    .vgpr_spill_count: 0
    .wavefront_size: 32
    .workgroup_processor_mode: 1
  - .args:
      - .offset:         0
        .size:           88
        .value_kind:     by_value
      - .offset:         88
        .size:           4
        .value_kind:     hidden_block_count_x
      - .offset:         92
        .size:           4
        .value_kind:     hidden_block_count_y
      - .offset:         96
        .size:           4
        .value_kind:     hidden_block_count_z
      - .offset:         100
        .size:           2
        .value_kind:     hidden_group_size_x
      - .offset:         102
        .size:           2
        .value_kind:     hidden_group_size_y
      - .offset:         104
        .size:           2
        .value_kind:     hidden_group_size_z
      - .offset:         106
        .size:           2
        .value_kind:     hidden_remainder_x
      - .offset:         108
        .size:           2
        .value_kind:     hidden_remainder_y
      - .offset:         110
        .size:           2
        .value_kind:     hidden_remainder_z
      - .offset:         128
        .size:           8
        .value_kind:     hidden_global_offset_x
      - .offset:         136
        .size:           8
        .value_kind:     hidden_global_offset_y
      - .offset:         144
        .size:           8
        .value_kind:     hidden_global_offset_z
      - .offset:         152
        .size:           2
        .value_kind:     hidden_grid_dims
    .group_segment_fixed_size: 20480
    .kernarg_segment_align: 8
    .kernarg_segment_size: 344
    .language:       OpenCL C
    .language_version:
      - 2
      - 0
    .max_flat_workgroup_size: 256
    .name:           _ZN7rocprim17ROCPRIM_400000_NS6detail17trampoline_kernelINS0_14default_configENS1_36segmented_radix_sort_config_selectorI6__halflEEZNS1_25segmented_radix_sort_implIS3_Lb0EPKS5_PS5_PKlPlN2at6native12_GLOBAL__N_18offset_tEEE10hipError_tPvRmT1_PNSt15iterator_traitsISL_E10value_typeET2_T3_PNSM_ISR_E10value_typeET4_jRbjT5_SX_jjP12ihipStream_tbEUlT_E0_NS1_11comp_targetILNS1_3genE8ELNS1_11target_archE1030ELNS1_3gpuE2ELNS1_3repE0EEENS1_60segmented_radix_sort_warp_sort_medium_config_static_selectorELNS0_4arch9wavefront6targetE0EEEvSL_
    .private_segment_fixed_size: 0
    .sgpr_count:     46
    .sgpr_spill_count: 0
    .symbol:         _ZN7rocprim17ROCPRIM_400000_NS6detail17trampoline_kernelINS0_14default_configENS1_36segmented_radix_sort_config_selectorI6__halflEEZNS1_25segmented_radix_sort_implIS3_Lb0EPKS5_PS5_PKlPlN2at6native12_GLOBAL__N_18offset_tEEE10hipError_tPvRmT1_PNSt15iterator_traitsISL_E10value_typeET2_T3_PNSM_ISR_E10value_typeET4_jRbjT5_SX_jjP12ihipStream_tbEUlT_E0_NS1_11comp_targetILNS1_3genE8ELNS1_11target_archE1030ELNS1_3gpuE2ELNS1_3repE0EEENS1_60segmented_radix_sort_warp_sort_medium_config_static_selectorELNS0_4arch9wavefront6targetE0EEEvSL_.kd
    .uniform_work_group_size: 1
    .uses_dynamic_stack: false
    .vgpr_count:     70
    .vgpr_spill_count: 0
    .wavefront_size: 32
    .workgroup_processor_mode: 1
  - .args:
      - .offset:         0
        .size:           88
        .value_kind:     by_value
    .group_segment_fixed_size: 0
    .kernarg_segment_align: 8
    .kernarg_segment_size: 88
    .language:       OpenCL C
    .language_version:
      - 2
      - 0
    .max_flat_workgroup_size: 256
    .name:           _ZN7rocprim17ROCPRIM_400000_NS6detail17trampoline_kernelINS0_14default_configENS1_36segmented_radix_sort_config_selectorI6__halflEEZNS1_25segmented_radix_sort_implIS3_Lb0EPKS5_PS5_PKlPlN2at6native12_GLOBAL__N_18offset_tEEE10hipError_tPvRmT1_PNSt15iterator_traitsISL_E10value_typeET2_T3_PNSM_ISR_E10value_typeET4_jRbjT5_SX_jjP12ihipStream_tbEUlT_E1_NS1_11comp_targetILNS1_3genE0ELNS1_11target_archE4294967295ELNS1_3gpuE0ELNS1_3repE0EEENS1_59segmented_radix_sort_warp_sort_small_config_static_selectorELNS0_4arch9wavefront6targetE0EEEvSL_
    .private_segment_fixed_size: 0
    .sgpr_count:     0
    .sgpr_spill_count: 0
    .symbol:         _ZN7rocprim17ROCPRIM_400000_NS6detail17trampoline_kernelINS0_14default_configENS1_36segmented_radix_sort_config_selectorI6__halflEEZNS1_25segmented_radix_sort_implIS3_Lb0EPKS5_PS5_PKlPlN2at6native12_GLOBAL__N_18offset_tEEE10hipError_tPvRmT1_PNSt15iterator_traitsISL_E10value_typeET2_T3_PNSM_ISR_E10value_typeET4_jRbjT5_SX_jjP12ihipStream_tbEUlT_E1_NS1_11comp_targetILNS1_3genE0ELNS1_11target_archE4294967295ELNS1_3gpuE0ELNS1_3repE0EEENS1_59segmented_radix_sort_warp_sort_small_config_static_selectorELNS0_4arch9wavefront6targetE0EEEvSL_.kd
    .uniform_work_group_size: 1
    .uses_dynamic_stack: false
    .vgpr_count:     0
    .vgpr_spill_count: 0
    .wavefront_size: 32
    .workgroup_processor_mode: 1
  - .args:
      - .offset:         0
        .size:           88
        .value_kind:     by_value
    .group_segment_fixed_size: 0
    .kernarg_segment_align: 8
    .kernarg_segment_size: 88
    .language:       OpenCL C
    .language_version:
      - 2
      - 0
    .max_flat_workgroup_size: 256
    .name:           _ZN7rocprim17ROCPRIM_400000_NS6detail17trampoline_kernelINS0_14default_configENS1_36segmented_radix_sort_config_selectorI6__halflEEZNS1_25segmented_radix_sort_implIS3_Lb0EPKS5_PS5_PKlPlN2at6native12_GLOBAL__N_18offset_tEEE10hipError_tPvRmT1_PNSt15iterator_traitsISL_E10value_typeET2_T3_PNSM_ISR_E10value_typeET4_jRbjT5_SX_jjP12ihipStream_tbEUlT_E1_NS1_11comp_targetILNS1_3genE5ELNS1_11target_archE942ELNS1_3gpuE9ELNS1_3repE0EEENS1_59segmented_radix_sort_warp_sort_small_config_static_selectorELNS0_4arch9wavefront6targetE0EEEvSL_
    .private_segment_fixed_size: 0
    .sgpr_count:     0
    .sgpr_spill_count: 0
    .symbol:         _ZN7rocprim17ROCPRIM_400000_NS6detail17trampoline_kernelINS0_14default_configENS1_36segmented_radix_sort_config_selectorI6__halflEEZNS1_25segmented_radix_sort_implIS3_Lb0EPKS5_PS5_PKlPlN2at6native12_GLOBAL__N_18offset_tEEE10hipError_tPvRmT1_PNSt15iterator_traitsISL_E10value_typeET2_T3_PNSM_ISR_E10value_typeET4_jRbjT5_SX_jjP12ihipStream_tbEUlT_E1_NS1_11comp_targetILNS1_3genE5ELNS1_11target_archE942ELNS1_3gpuE9ELNS1_3repE0EEENS1_59segmented_radix_sort_warp_sort_small_config_static_selectorELNS0_4arch9wavefront6targetE0EEEvSL_.kd
    .uniform_work_group_size: 1
    .uses_dynamic_stack: false
    .vgpr_count:     0
    .vgpr_spill_count: 0
    .wavefront_size: 32
    .workgroup_processor_mode: 1
  - .args:
      - .offset:         0
        .size:           88
        .value_kind:     by_value
    .group_segment_fixed_size: 0
    .kernarg_segment_align: 8
    .kernarg_segment_size: 88
    .language:       OpenCL C
    .language_version:
      - 2
      - 0
    .max_flat_workgroup_size: 256
    .name:           _ZN7rocprim17ROCPRIM_400000_NS6detail17trampoline_kernelINS0_14default_configENS1_36segmented_radix_sort_config_selectorI6__halflEEZNS1_25segmented_radix_sort_implIS3_Lb0EPKS5_PS5_PKlPlN2at6native12_GLOBAL__N_18offset_tEEE10hipError_tPvRmT1_PNSt15iterator_traitsISL_E10value_typeET2_T3_PNSM_ISR_E10value_typeET4_jRbjT5_SX_jjP12ihipStream_tbEUlT_E1_NS1_11comp_targetILNS1_3genE4ELNS1_11target_archE910ELNS1_3gpuE8ELNS1_3repE0EEENS1_59segmented_radix_sort_warp_sort_small_config_static_selectorELNS0_4arch9wavefront6targetE0EEEvSL_
    .private_segment_fixed_size: 0
    .sgpr_count:     0
    .sgpr_spill_count: 0
    .symbol:         _ZN7rocprim17ROCPRIM_400000_NS6detail17trampoline_kernelINS0_14default_configENS1_36segmented_radix_sort_config_selectorI6__halflEEZNS1_25segmented_radix_sort_implIS3_Lb0EPKS5_PS5_PKlPlN2at6native12_GLOBAL__N_18offset_tEEE10hipError_tPvRmT1_PNSt15iterator_traitsISL_E10value_typeET2_T3_PNSM_ISR_E10value_typeET4_jRbjT5_SX_jjP12ihipStream_tbEUlT_E1_NS1_11comp_targetILNS1_3genE4ELNS1_11target_archE910ELNS1_3gpuE8ELNS1_3repE0EEENS1_59segmented_radix_sort_warp_sort_small_config_static_selectorELNS0_4arch9wavefront6targetE0EEEvSL_.kd
    .uniform_work_group_size: 1
    .uses_dynamic_stack: false
    .vgpr_count:     0
    .vgpr_spill_count: 0
    .wavefront_size: 32
    .workgroup_processor_mode: 1
  - .args:
      - .offset:         0
        .size:           88
        .value_kind:     by_value
    .group_segment_fixed_size: 0
    .kernarg_segment_align: 8
    .kernarg_segment_size: 88
    .language:       OpenCL C
    .language_version:
      - 2
      - 0
    .max_flat_workgroup_size: 256
    .name:           _ZN7rocprim17ROCPRIM_400000_NS6detail17trampoline_kernelINS0_14default_configENS1_36segmented_radix_sort_config_selectorI6__halflEEZNS1_25segmented_radix_sort_implIS3_Lb0EPKS5_PS5_PKlPlN2at6native12_GLOBAL__N_18offset_tEEE10hipError_tPvRmT1_PNSt15iterator_traitsISL_E10value_typeET2_T3_PNSM_ISR_E10value_typeET4_jRbjT5_SX_jjP12ihipStream_tbEUlT_E1_NS1_11comp_targetILNS1_3genE3ELNS1_11target_archE908ELNS1_3gpuE7ELNS1_3repE0EEENS1_59segmented_radix_sort_warp_sort_small_config_static_selectorELNS0_4arch9wavefront6targetE0EEEvSL_
    .private_segment_fixed_size: 0
    .sgpr_count:     0
    .sgpr_spill_count: 0
    .symbol:         _ZN7rocprim17ROCPRIM_400000_NS6detail17trampoline_kernelINS0_14default_configENS1_36segmented_radix_sort_config_selectorI6__halflEEZNS1_25segmented_radix_sort_implIS3_Lb0EPKS5_PS5_PKlPlN2at6native12_GLOBAL__N_18offset_tEEE10hipError_tPvRmT1_PNSt15iterator_traitsISL_E10value_typeET2_T3_PNSM_ISR_E10value_typeET4_jRbjT5_SX_jjP12ihipStream_tbEUlT_E1_NS1_11comp_targetILNS1_3genE3ELNS1_11target_archE908ELNS1_3gpuE7ELNS1_3repE0EEENS1_59segmented_radix_sort_warp_sort_small_config_static_selectorELNS0_4arch9wavefront6targetE0EEEvSL_.kd
    .uniform_work_group_size: 1
    .uses_dynamic_stack: false
    .vgpr_count:     0
    .vgpr_spill_count: 0
    .wavefront_size: 32
    .workgroup_processor_mode: 1
  - .args:
      - .offset:         0
        .size:           88
        .value_kind:     by_value
    .group_segment_fixed_size: 0
    .kernarg_segment_align: 8
    .kernarg_segment_size: 88
    .language:       OpenCL C
    .language_version:
      - 2
      - 0
    .max_flat_workgroup_size: 256
    .name:           _ZN7rocprim17ROCPRIM_400000_NS6detail17trampoline_kernelINS0_14default_configENS1_36segmented_radix_sort_config_selectorI6__halflEEZNS1_25segmented_radix_sort_implIS3_Lb0EPKS5_PS5_PKlPlN2at6native12_GLOBAL__N_18offset_tEEE10hipError_tPvRmT1_PNSt15iterator_traitsISL_E10value_typeET2_T3_PNSM_ISR_E10value_typeET4_jRbjT5_SX_jjP12ihipStream_tbEUlT_E1_NS1_11comp_targetILNS1_3genE2ELNS1_11target_archE906ELNS1_3gpuE6ELNS1_3repE0EEENS1_59segmented_radix_sort_warp_sort_small_config_static_selectorELNS0_4arch9wavefront6targetE0EEEvSL_
    .private_segment_fixed_size: 0
    .sgpr_count:     0
    .sgpr_spill_count: 0
    .symbol:         _ZN7rocprim17ROCPRIM_400000_NS6detail17trampoline_kernelINS0_14default_configENS1_36segmented_radix_sort_config_selectorI6__halflEEZNS1_25segmented_radix_sort_implIS3_Lb0EPKS5_PS5_PKlPlN2at6native12_GLOBAL__N_18offset_tEEE10hipError_tPvRmT1_PNSt15iterator_traitsISL_E10value_typeET2_T3_PNSM_ISR_E10value_typeET4_jRbjT5_SX_jjP12ihipStream_tbEUlT_E1_NS1_11comp_targetILNS1_3genE2ELNS1_11target_archE906ELNS1_3gpuE6ELNS1_3repE0EEENS1_59segmented_radix_sort_warp_sort_small_config_static_selectorELNS0_4arch9wavefront6targetE0EEEvSL_.kd
    .uniform_work_group_size: 1
    .uses_dynamic_stack: false
    .vgpr_count:     0
    .vgpr_spill_count: 0
    .wavefront_size: 32
    .workgroup_processor_mode: 1
  - .args:
      - .offset:         0
        .size:           88
        .value_kind:     by_value
    .group_segment_fixed_size: 0
    .kernarg_segment_align: 8
    .kernarg_segment_size: 88
    .language:       OpenCL C
    .language_version:
      - 2
      - 0
    .max_flat_workgroup_size: 256
    .name:           _ZN7rocprim17ROCPRIM_400000_NS6detail17trampoline_kernelINS0_14default_configENS1_36segmented_radix_sort_config_selectorI6__halflEEZNS1_25segmented_radix_sort_implIS3_Lb0EPKS5_PS5_PKlPlN2at6native12_GLOBAL__N_18offset_tEEE10hipError_tPvRmT1_PNSt15iterator_traitsISL_E10value_typeET2_T3_PNSM_ISR_E10value_typeET4_jRbjT5_SX_jjP12ihipStream_tbEUlT_E1_NS1_11comp_targetILNS1_3genE10ELNS1_11target_archE1201ELNS1_3gpuE5ELNS1_3repE0EEENS1_59segmented_radix_sort_warp_sort_small_config_static_selectorELNS0_4arch9wavefront6targetE0EEEvSL_
    .private_segment_fixed_size: 0
    .sgpr_count:     0
    .sgpr_spill_count: 0
    .symbol:         _ZN7rocprim17ROCPRIM_400000_NS6detail17trampoline_kernelINS0_14default_configENS1_36segmented_radix_sort_config_selectorI6__halflEEZNS1_25segmented_radix_sort_implIS3_Lb0EPKS5_PS5_PKlPlN2at6native12_GLOBAL__N_18offset_tEEE10hipError_tPvRmT1_PNSt15iterator_traitsISL_E10value_typeET2_T3_PNSM_ISR_E10value_typeET4_jRbjT5_SX_jjP12ihipStream_tbEUlT_E1_NS1_11comp_targetILNS1_3genE10ELNS1_11target_archE1201ELNS1_3gpuE5ELNS1_3repE0EEENS1_59segmented_radix_sort_warp_sort_small_config_static_selectorELNS0_4arch9wavefront6targetE0EEEvSL_.kd
    .uniform_work_group_size: 1
    .uses_dynamic_stack: false
    .vgpr_count:     0
    .vgpr_spill_count: 0
    .wavefront_size: 32
    .workgroup_processor_mode: 1
  - .args:
      - .offset:         0
        .size:           88
        .value_kind:     by_value
    .group_segment_fixed_size: 0
    .kernarg_segment_align: 8
    .kernarg_segment_size: 88
    .language:       OpenCL C
    .language_version:
      - 2
      - 0
    .max_flat_workgroup_size: 256
    .name:           _ZN7rocprim17ROCPRIM_400000_NS6detail17trampoline_kernelINS0_14default_configENS1_36segmented_radix_sort_config_selectorI6__halflEEZNS1_25segmented_radix_sort_implIS3_Lb0EPKS5_PS5_PKlPlN2at6native12_GLOBAL__N_18offset_tEEE10hipError_tPvRmT1_PNSt15iterator_traitsISL_E10value_typeET2_T3_PNSM_ISR_E10value_typeET4_jRbjT5_SX_jjP12ihipStream_tbEUlT_E1_NS1_11comp_targetILNS1_3genE10ELNS1_11target_archE1200ELNS1_3gpuE4ELNS1_3repE0EEENS1_59segmented_radix_sort_warp_sort_small_config_static_selectorELNS0_4arch9wavefront6targetE0EEEvSL_
    .private_segment_fixed_size: 0
    .sgpr_count:     0
    .sgpr_spill_count: 0
    .symbol:         _ZN7rocprim17ROCPRIM_400000_NS6detail17trampoline_kernelINS0_14default_configENS1_36segmented_radix_sort_config_selectorI6__halflEEZNS1_25segmented_radix_sort_implIS3_Lb0EPKS5_PS5_PKlPlN2at6native12_GLOBAL__N_18offset_tEEE10hipError_tPvRmT1_PNSt15iterator_traitsISL_E10value_typeET2_T3_PNSM_ISR_E10value_typeET4_jRbjT5_SX_jjP12ihipStream_tbEUlT_E1_NS1_11comp_targetILNS1_3genE10ELNS1_11target_archE1200ELNS1_3gpuE4ELNS1_3repE0EEENS1_59segmented_radix_sort_warp_sort_small_config_static_selectorELNS0_4arch9wavefront6targetE0EEEvSL_.kd
    .uniform_work_group_size: 1
    .uses_dynamic_stack: false
    .vgpr_count:     0
    .vgpr_spill_count: 0
    .wavefront_size: 32
    .workgroup_processor_mode: 1
  - .args:
      - .offset:         0
        .size:           88
        .value_kind:     by_value
    .group_segment_fixed_size: 0
    .kernarg_segment_align: 8
    .kernarg_segment_size: 88
    .language:       OpenCL C
    .language_version:
      - 2
      - 0
    .max_flat_workgroup_size: 256
    .name:           _ZN7rocprim17ROCPRIM_400000_NS6detail17trampoline_kernelINS0_14default_configENS1_36segmented_radix_sort_config_selectorI6__halflEEZNS1_25segmented_radix_sort_implIS3_Lb0EPKS5_PS5_PKlPlN2at6native12_GLOBAL__N_18offset_tEEE10hipError_tPvRmT1_PNSt15iterator_traitsISL_E10value_typeET2_T3_PNSM_ISR_E10value_typeET4_jRbjT5_SX_jjP12ihipStream_tbEUlT_E1_NS1_11comp_targetILNS1_3genE9ELNS1_11target_archE1100ELNS1_3gpuE3ELNS1_3repE0EEENS1_59segmented_radix_sort_warp_sort_small_config_static_selectorELNS0_4arch9wavefront6targetE0EEEvSL_
    .private_segment_fixed_size: 0
    .sgpr_count:     0
    .sgpr_spill_count: 0
    .symbol:         _ZN7rocprim17ROCPRIM_400000_NS6detail17trampoline_kernelINS0_14default_configENS1_36segmented_radix_sort_config_selectorI6__halflEEZNS1_25segmented_radix_sort_implIS3_Lb0EPKS5_PS5_PKlPlN2at6native12_GLOBAL__N_18offset_tEEE10hipError_tPvRmT1_PNSt15iterator_traitsISL_E10value_typeET2_T3_PNSM_ISR_E10value_typeET4_jRbjT5_SX_jjP12ihipStream_tbEUlT_E1_NS1_11comp_targetILNS1_3genE9ELNS1_11target_archE1100ELNS1_3gpuE3ELNS1_3repE0EEENS1_59segmented_radix_sort_warp_sort_small_config_static_selectorELNS0_4arch9wavefront6targetE0EEEvSL_.kd
    .uniform_work_group_size: 1
    .uses_dynamic_stack: false
    .vgpr_count:     0
    .vgpr_spill_count: 0
    .wavefront_size: 32
    .workgroup_processor_mode: 1
  - .args:
      - .offset:         0
        .size:           88
        .value_kind:     by_value
      - .offset:         88
        .size:           4
        .value_kind:     hidden_block_count_x
      - .offset:         92
        .size:           4
        .value_kind:     hidden_block_count_y
      - .offset:         96
        .size:           4
        .value_kind:     hidden_block_count_z
      - .offset:         100
        .size:           2
        .value_kind:     hidden_group_size_x
      - .offset:         102
        .size:           2
        .value_kind:     hidden_group_size_y
      - .offset:         104
        .size:           2
        .value_kind:     hidden_group_size_z
      - .offset:         106
        .size:           2
        .value_kind:     hidden_remainder_x
      - .offset:         108
        .size:           2
        .value_kind:     hidden_remainder_y
      - .offset:         110
        .size:           2
        .value_kind:     hidden_remainder_z
      - .offset:         128
        .size:           8
        .value_kind:     hidden_global_offset_x
      - .offset:         136
        .size:           8
        .value_kind:     hidden_global_offset_y
      - .offset:         144
        .size:           8
        .value_kind:     hidden_global_offset_z
      - .offset:         152
        .size:           2
        .value_kind:     hidden_grid_dims
    .group_segment_fixed_size: 10240
    .kernarg_segment_align: 8
    .kernarg_segment_size: 344
    .language:       OpenCL C
    .language_version:
      - 2
      - 0
    .max_flat_workgroup_size: 256
    .name:           _ZN7rocprim17ROCPRIM_400000_NS6detail17trampoline_kernelINS0_14default_configENS1_36segmented_radix_sort_config_selectorI6__halflEEZNS1_25segmented_radix_sort_implIS3_Lb0EPKS5_PS5_PKlPlN2at6native12_GLOBAL__N_18offset_tEEE10hipError_tPvRmT1_PNSt15iterator_traitsISL_E10value_typeET2_T3_PNSM_ISR_E10value_typeET4_jRbjT5_SX_jjP12ihipStream_tbEUlT_E1_NS1_11comp_targetILNS1_3genE8ELNS1_11target_archE1030ELNS1_3gpuE2ELNS1_3repE0EEENS1_59segmented_radix_sort_warp_sort_small_config_static_selectorELNS0_4arch9wavefront6targetE0EEEvSL_
    .private_segment_fixed_size: 0
    .sgpr_count:     35
    .sgpr_spill_count: 0
    .symbol:         _ZN7rocprim17ROCPRIM_400000_NS6detail17trampoline_kernelINS0_14default_configENS1_36segmented_radix_sort_config_selectorI6__halflEEZNS1_25segmented_radix_sort_implIS3_Lb0EPKS5_PS5_PKlPlN2at6native12_GLOBAL__N_18offset_tEEE10hipError_tPvRmT1_PNSt15iterator_traitsISL_E10value_typeET2_T3_PNSM_ISR_E10value_typeET4_jRbjT5_SX_jjP12ihipStream_tbEUlT_E1_NS1_11comp_targetILNS1_3genE8ELNS1_11target_archE1030ELNS1_3gpuE2ELNS1_3repE0EEENS1_59segmented_radix_sort_warp_sort_small_config_static_selectorELNS0_4arch9wavefront6targetE0EEEvSL_.kd
    .uniform_work_group_size: 1
    .uses_dynamic_stack: false
    .vgpr_count:     66
    .vgpr_spill_count: 0
    .wavefront_size: 32
    .workgroup_processor_mode: 1
  - .args:
      - .offset:         0
        .size:           80
        .value_kind:     by_value
    .group_segment_fixed_size: 0
    .kernarg_segment_align: 8
    .kernarg_segment_size: 80
    .language:       OpenCL C
    .language_version:
      - 2
      - 0
    .max_flat_workgroup_size: 256
    .name:           _ZN7rocprim17ROCPRIM_400000_NS6detail17trampoline_kernelINS0_14default_configENS1_36segmented_radix_sort_config_selectorI6__halflEEZNS1_25segmented_radix_sort_implIS3_Lb0EPKS5_PS5_PKlPlN2at6native12_GLOBAL__N_18offset_tEEE10hipError_tPvRmT1_PNSt15iterator_traitsISL_E10value_typeET2_T3_PNSM_ISR_E10value_typeET4_jRbjT5_SX_jjP12ihipStream_tbEUlT_E2_NS1_11comp_targetILNS1_3genE0ELNS1_11target_archE4294967295ELNS1_3gpuE0ELNS1_3repE0EEENS1_30default_config_static_selectorELNS0_4arch9wavefront6targetE0EEEvSL_
    .private_segment_fixed_size: 0
    .sgpr_count:     0
    .sgpr_spill_count: 0
    .symbol:         _ZN7rocprim17ROCPRIM_400000_NS6detail17trampoline_kernelINS0_14default_configENS1_36segmented_radix_sort_config_selectorI6__halflEEZNS1_25segmented_radix_sort_implIS3_Lb0EPKS5_PS5_PKlPlN2at6native12_GLOBAL__N_18offset_tEEE10hipError_tPvRmT1_PNSt15iterator_traitsISL_E10value_typeET2_T3_PNSM_ISR_E10value_typeET4_jRbjT5_SX_jjP12ihipStream_tbEUlT_E2_NS1_11comp_targetILNS1_3genE0ELNS1_11target_archE4294967295ELNS1_3gpuE0ELNS1_3repE0EEENS1_30default_config_static_selectorELNS0_4arch9wavefront6targetE0EEEvSL_.kd
    .uniform_work_group_size: 1
    .uses_dynamic_stack: false
    .vgpr_count:     0
    .vgpr_spill_count: 0
    .wavefront_size: 32
    .workgroup_processor_mode: 1
  - .args:
      - .offset:         0
        .size:           80
        .value_kind:     by_value
    .group_segment_fixed_size: 0
    .kernarg_segment_align: 8
    .kernarg_segment_size: 80
    .language:       OpenCL C
    .language_version:
      - 2
      - 0
    .max_flat_workgroup_size: 256
    .name:           _ZN7rocprim17ROCPRIM_400000_NS6detail17trampoline_kernelINS0_14default_configENS1_36segmented_radix_sort_config_selectorI6__halflEEZNS1_25segmented_radix_sort_implIS3_Lb0EPKS5_PS5_PKlPlN2at6native12_GLOBAL__N_18offset_tEEE10hipError_tPvRmT1_PNSt15iterator_traitsISL_E10value_typeET2_T3_PNSM_ISR_E10value_typeET4_jRbjT5_SX_jjP12ihipStream_tbEUlT_E2_NS1_11comp_targetILNS1_3genE5ELNS1_11target_archE942ELNS1_3gpuE9ELNS1_3repE0EEENS1_30default_config_static_selectorELNS0_4arch9wavefront6targetE0EEEvSL_
    .private_segment_fixed_size: 0
    .sgpr_count:     0
    .sgpr_spill_count: 0
    .symbol:         _ZN7rocprim17ROCPRIM_400000_NS6detail17trampoline_kernelINS0_14default_configENS1_36segmented_radix_sort_config_selectorI6__halflEEZNS1_25segmented_radix_sort_implIS3_Lb0EPKS5_PS5_PKlPlN2at6native12_GLOBAL__N_18offset_tEEE10hipError_tPvRmT1_PNSt15iterator_traitsISL_E10value_typeET2_T3_PNSM_ISR_E10value_typeET4_jRbjT5_SX_jjP12ihipStream_tbEUlT_E2_NS1_11comp_targetILNS1_3genE5ELNS1_11target_archE942ELNS1_3gpuE9ELNS1_3repE0EEENS1_30default_config_static_selectorELNS0_4arch9wavefront6targetE0EEEvSL_.kd
    .uniform_work_group_size: 1
    .uses_dynamic_stack: false
    .vgpr_count:     0
    .vgpr_spill_count: 0
    .wavefront_size: 32
    .workgroup_processor_mode: 1
  - .args:
      - .offset:         0
        .size:           80
        .value_kind:     by_value
    .group_segment_fixed_size: 0
    .kernarg_segment_align: 8
    .kernarg_segment_size: 80
    .language:       OpenCL C
    .language_version:
      - 2
      - 0
    .max_flat_workgroup_size: 256
    .name:           _ZN7rocprim17ROCPRIM_400000_NS6detail17trampoline_kernelINS0_14default_configENS1_36segmented_radix_sort_config_selectorI6__halflEEZNS1_25segmented_radix_sort_implIS3_Lb0EPKS5_PS5_PKlPlN2at6native12_GLOBAL__N_18offset_tEEE10hipError_tPvRmT1_PNSt15iterator_traitsISL_E10value_typeET2_T3_PNSM_ISR_E10value_typeET4_jRbjT5_SX_jjP12ihipStream_tbEUlT_E2_NS1_11comp_targetILNS1_3genE4ELNS1_11target_archE910ELNS1_3gpuE8ELNS1_3repE0EEENS1_30default_config_static_selectorELNS0_4arch9wavefront6targetE0EEEvSL_
    .private_segment_fixed_size: 0
    .sgpr_count:     0
    .sgpr_spill_count: 0
    .symbol:         _ZN7rocprim17ROCPRIM_400000_NS6detail17trampoline_kernelINS0_14default_configENS1_36segmented_radix_sort_config_selectorI6__halflEEZNS1_25segmented_radix_sort_implIS3_Lb0EPKS5_PS5_PKlPlN2at6native12_GLOBAL__N_18offset_tEEE10hipError_tPvRmT1_PNSt15iterator_traitsISL_E10value_typeET2_T3_PNSM_ISR_E10value_typeET4_jRbjT5_SX_jjP12ihipStream_tbEUlT_E2_NS1_11comp_targetILNS1_3genE4ELNS1_11target_archE910ELNS1_3gpuE8ELNS1_3repE0EEENS1_30default_config_static_selectorELNS0_4arch9wavefront6targetE0EEEvSL_.kd
    .uniform_work_group_size: 1
    .uses_dynamic_stack: false
    .vgpr_count:     0
    .vgpr_spill_count: 0
    .wavefront_size: 32
    .workgroup_processor_mode: 1
  - .args:
      - .offset:         0
        .size:           80
        .value_kind:     by_value
    .group_segment_fixed_size: 0
    .kernarg_segment_align: 8
    .kernarg_segment_size: 80
    .language:       OpenCL C
    .language_version:
      - 2
      - 0
    .max_flat_workgroup_size: 256
    .name:           _ZN7rocprim17ROCPRIM_400000_NS6detail17trampoline_kernelINS0_14default_configENS1_36segmented_radix_sort_config_selectorI6__halflEEZNS1_25segmented_radix_sort_implIS3_Lb0EPKS5_PS5_PKlPlN2at6native12_GLOBAL__N_18offset_tEEE10hipError_tPvRmT1_PNSt15iterator_traitsISL_E10value_typeET2_T3_PNSM_ISR_E10value_typeET4_jRbjT5_SX_jjP12ihipStream_tbEUlT_E2_NS1_11comp_targetILNS1_3genE3ELNS1_11target_archE908ELNS1_3gpuE7ELNS1_3repE0EEENS1_30default_config_static_selectorELNS0_4arch9wavefront6targetE0EEEvSL_
    .private_segment_fixed_size: 0
    .sgpr_count:     0
    .sgpr_spill_count: 0
    .symbol:         _ZN7rocprim17ROCPRIM_400000_NS6detail17trampoline_kernelINS0_14default_configENS1_36segmented_radix_sort_config_selectorI6__halflEEZNS1_25segmented_radix_sort_implIS3_Lb0EPKS5_PS5_PKlPlN2at6native12_GLOBAL__N_18offset_tEEE10hipError_tPvRmT1_PNSt15iterator_traitsISL_E10value_typeET2_T3_PNSM_ISR_E10value_typeET4_jRbjT5_SX_jjP12ihipStream_tbEUlT_E2_NS1_11comp_targetILNS1_3genE3ELNS1_11target_archE908ELNS1_3gpuE7ELNS1_3repE0EEENS1_30default_config_static_selectorELNS0_4arch9wavefront6targetE0EEEvSL_.kd
    .uniform_work_group_size: 1
    .uses_dynamic_stack: false
    .vgpr_count:     0
    .vgpr_spill_count: 0
    .wavefront_size: 32
    .workgroup_processor_mode: 1
  - .args:
      - .offset:         0
        .size:           80
        .value_kind:     by_value
    .group_segment_fixed_size: 0
    .kernarg_segment_align: 8
    .kernarg_segment_size: 80
    .language:       OpenCL C
    .language_version:
      - 2
      - 0
    .max_flat_workgroup_size: 256
    .name:           _ZN7rocprim17ROCPRIM_400000_NS6detail17trampoline_kernelINS0_14default_configENS1_36segmented_radix_sort_config_selectorI6__halflEEZNS1_25segmented_radix_sort_implIS3_Lb0EPKS5_PS5_PKlPlN2at6native12_GLOBAL__N_18offset_tEEE10hipError_tPvRmT1_PNSt15iterator_traitsISL_E10value_typeET2_T3_PNSM_ISR_E10value_typeET4_jRbjT5_SX_jjP12ihipStream_tbEUlT_E2_NS1_11comp_targetILNS1_3genE2ELNS1_11target_archE906ELNS1_3gpuE6ELNS1_3repE0EEENS1_30default_config_static_selectorELNS0_4arch9wavefront6targetE0EEEvSL_
    .private_segment_fixed_size: 0
    .sgpr_count:     0
    .sgpr_spill_count: 0
    .symbol:         _ZN7rocprim17ROCPRIM_400000_NS6detail17trampoline_kernelINS0_14default_configENS1_36segmented_radix_sort_config_selectorI6__halflEEZNS1_25segmented_radix_sort_implIS3_Lb0EPKS5_PS5_PKlPlN2at6native12_GLOBAL__N_18offset_tEEE10hipError_tPvRmT1_PNSt15iterator_traitsISL_E10value_typeET2_T3_PNSM_ISR_E10value_typeET4_jRbjT5_SX_jjP12ihipStream_tbEUlT_E2_NS1_11comp_targetILNS1_3genE2ELNS1_11target_archE906ELNS1_3gpuE6ELNS1_3repE0EEENS1_30default_config_static_selectorELNS0_4arch9wavefront6targetE0EEEvSL_.kd
    .uniform_work_group_size: 1
    .uses_dynamic_stack: false
    .vgpr_count:     0
    .vgpr_spill_count: 0
    .wavefront_size: 32
    .workgroup_processor_mode: 1
  - .args:
      - .offset:         0
        .size:           80
        .value_kind:     by_value
    .group_segment_fixed_size: 0
    .kernarg_segment_align: 8
    .kernarg_segment_size: 80
    .language:       OpenCL C
    .language_version:
      - 2
      - 0
    .max_flat_workgroup_size: 256
    .name:           _ZN7rocprim17ROCPRIM_400000_NS6detail17trampoline_kernelINS0_14default_configENS1_36segmented_radix_sort_config_selectorI6__halflEEZNS1_25segmented_radix_sort_implIS3_Lb0EPKS5_PS5_PKlPlN2at6native12_GLOBAL__N_18offset_tEEE10hipError_tPvRmT1_PNSt15iterator_traitsISL_E10value_typeET2_T3_PNSM_ISR_E10value_typeET4_jRbjT5_SX_jjP12ihipStream_tbEUlT_E2_NS1_11comp_targetILNS1_3genE10ELNS1_11target_archE1201ELNS1_3gpuE5ELNS1_3repE0EEENS1_30default_config_static_selectorELNS0_4arch9wavefront6targetE0EEEvSL_
    .private_segment_fixed_size: 0
    .sgpr_count:     0
    .sgpr_spill_count: 0
    .symbol:         _ZN7rocprim17ROCPRIM_400000_NS6detail17trampoline_kernelINS0_14default_configENS1_36segmented_radix_sort_config_selectorI6__halflEEZNS1_25segmented_radix_sort_implIS3_Lb0EPKS5_PS5_PKlPlN2at6native12_GLOBAL__N_18offset_tEEE10hipError_tPvRmT1_PNSt15iterator_traitsISL_E10value_typeET2_T3_PNSM_ISR_E10value_typeET4_jRbjT5_SX_jjP12ihipStream_tbEUlT_E2_NS1_11comp_targetILNS1_3genE10ELNS1_11target_archE1201ELNS1_3gpuE5ELNS1_3repE0EEENS1_30default_config_static_selectorELNS0_4arch9wavefront6targetE0EEEvSL_.kd
    .uniform_work_group_size: 1
    .uses_dynamic_stack: false
    .vgpr_count:     0
    .vgpr_spill_count: 0
    .wavefront_size: 32
    .workgroup_processor_mode: 1
  - .args:
      - .offset:         0
        .size:           80
        .value_kind:     by_value
    .group_segment_fixed_size: 0
    .kernarg_segment_align: 8
    .kernarg_segment_size: 80
    .language:       OpenCL C
    .language_version:
      - 2
      - 0
    .max_flat_workgroup_size: 128
    .name:           _ZN7rocprim17ROCPRIM_400000_NS6detail17trampoline_kernelINS0_14default_configENS1_36segmented_radix_sort_config_selectorI6__halflEEZNS1_25segmented_radix_sort_implIS3_Lb0EPKS5_PS5_PKlPlN2at6native12_GLOBAL__N_18offset_tEEE10hipError_tPvRmT1_PNSt15iterator_traitsISL_E10value_typeET2_T3_PNSM_ISR_E10value_typeET4_jRbjT5_SX_jjP12ihipStream_tbEUlT_E2_NS1_11comp_targetILNS1_3genE10ELNS1_11target_archE1200ELNS1_3gpuE4ELNS1_3repE0EEENS1_30default_config_static_selectorELNS0_4arch9wavefront6targetE0EEEvSL_
    .private_segment_fixed_size: 0
    .sgpr_count:     0
    .sgpr_spill_count: 0
    .symbol:         _ZN7rocprim17ROCPRIM_400000_NS6detail17trampoline_kernelINS0_14default_configENS1_36segmented_radix_sort_config_selectorI6__halflEEZNS1_25segmented_radix_sort_implIS3_Lb0EPKS5_PS5_PKlPlN2at6native12_GLOBAL__N_18offset_tEEE10hipError_tPvRmT1_PNSt15iterator_traitsISL_E10value_typeET2_T3_PNSM_ISR_E10value_typeET4_jRbjT5_SX_jjP12ihipStream_tbEUlT_E2_NS1_11comp_targetILNS1_3genE10ELNS1_11target_archE1200ELNS1_3gpuE4ELNS1_3repE0EEENS1_30default_config_static_selectorELNS0_4arch9wavefront6targetE0EEEvSL_.kd
    .uniform_work_group_size: 1
    .uses_dynamic_stack: false
    .vgpr_count:     0
    .vgpr_spill_count: 0
    .wavefront_size: 32
    .workgroup_processor_mode: 1
  - .args:
      - .offset:         0
        .size:           80
        .value_kind:     by_value
    .group_segment_fixed_size: 0
    .kernarg_segment_align: 8
    .kernarg_segment_size: 80
    .language:       OpenCL C
    .language_version:
      - 2
      - 0
    .max_flat_workgroup_size: 256
    .name:           _ZN7rocprim17ROCPRIM_400000_NS6detail17trampoline_kernelINS0_14default_configENS1_36segmented_radix_sort_config_selectorI6__halflEEZNS1_25segmented_radix_sort_implIS3_Lb0EPKS5_PS5_PKlPlN2at6native12_GLOBAL__N_18offset_tEEE10hipError_tPvRmT1_PNSt15iterator_traitsISL_E10value_typeET2_T3_PNSM_ISR_E10value_typeET4_jRbjT5_SX_jjP12ihipStream_tbEUlT_E2_NS1_11comp_targetILNS1_3genE9ELNS1_11target_archE1100ELNS1_3gpuE3ELNS1_3repE0EEENS1_30default_config_static_selectorELNS0_4arch9wavefront6targetE0EEEvSL_
    .private_segment_fixed_size: 0
    .sgpr_count:     0
    .sgpr_spill_count: 0
    .symbol:         _ZN7rocprim17ROCPRIM_400000_NS6detail17trampoline_kernelINS0_14default_configENS1_36segmented_radix_sort_config_selectorI6__halflEEZNS1_25segmented_radix_sort_implIS3_Lb0EPKS5_PS5_PKlPlN2at6native12_GLOBAL__N_18offset_tEEE10hipError_tPvRmT1_PNSt15iterator_traitsISL_E10value_typeET2_T3_PNSM_ISR_E10value_typeET4_jRbjT5_SX_jjP12ihipStream_tbEUlT_E2_NS1_11comp_targetILNS1_3genE9ELNS1_11target_archE1100ELNS1_3gpuE3ELNS1_3repE0EEENS1_30default_config_static_selectorELNS0_4arch9wavefront6targetE0EEEvSL_.kd
    .uniform_work_group_size: 1
    .uses_dynamic_stack: false
    .vgpr_count:     0
    .vgpr_spill_count: 0
    .wavefront_size: 32
    .workgroup_processor_mode: 1
  - .args:
      - .offset:         0
        .size:           80
        .value_kind:     by_value
      - .offset:         80
        .size:           4
        .value_kind:     hidden_block_count_x
      - .offset:         84
        .size:           4
        .value_kind:     hidden_block_count_y
      - .offset:         88
        .size:           4
        .value_kind:     hidden_block_count_z
      - .offset:         92
        .size:           2
        .value_kind:     hidden_group_size_x
      - .offset:         94
        .size:           2
        .value_kind:     hidden_group_size_y
      - .offset:         96
        .size:           2
        .value_kind:     hidden_group_size_z
      - .offset:         98
        .size:           2
        .value_kind:     hidden_remainder_x
      - .offset:         100
        .size:           2
        .value_kind:     hidden_remainder_y
      - .offset:         102
        .size:           2
        .value_kind:     hidden_remainder_z
      - .offset:         120
        .size:           8
        .value_kind:     hidden_global_offset_x
      - .offset:         128
        .size:           8
        .value_kind:     hidden_global_offset_y
      - .offset:         136
        .size:           8
        .value_kind:     hidden_global_offset_z
      - .offset:         144
        .size:           2
        .value_kind:     hidden_grid_dims
    .group_segment_fixed_size: 17440
    .kernarg_segment_align: 8
    .kernarg_segment_size: 336
    .language:       OpenCL C
    .language_version:
      - 2
      - 0
    .max_flat_workgroup_size: 256
    .name:           _ZN7rocprim17ROCPRIM_400000_NS6detail17trampoline_kernelINS0_14default_configENS1_36segmented_radix_sort_config_selectorI6__halflEEZNS1_25segmented_radix_sort_implIS3_Lb0EPKS5_PS5_PKlPlN2at6native12_GLOBAL__N_18offset_tEEE10hipError_tPvRmT1_PNSt15iterator_traitsISL_E10value_typeET2_T3_PNSM_ISR_E10value_typeET4_jRbjT5_SX_jjP12ihipStream_tbEUlT_E2_NS1_11comp_targetILNS1_3genE8ELNS1_11target_archE1030ELNS1_3gpuE2ELNS1_3repE0EEENS1_30default_config_static_selectorELNS0_4arch9wavefront6targetE0EEEvSL_
    .private_segment_fixed_size: 0
    .sgpr_count:     58
    .sgpr_spill_count: 0
    .symbol:         _ZN7rocprim17ROCPRIM_400000_NS6detail17trampoline_kernelINS0_14default_configENS1_36segmented_radix_sort_config_selectorI6__halflEEZNS1_25segmented_radix_sort_implIS3_Lb0EPKS5_PS5_PKlPlN2at6native12_GLOBAL__N_18offset_tEEE10hipError_tPvRmT1_PNSt15iterator_traitsISL_E10value_typeET2_T3_PNSM_ISR_E10value_typeET4_jRbjT5_SX_jjP12ihipStream_tbEUlT_E2_NS1_11comp_targetILNS1_3genE8ELNS1_11target_archE1030ELNS1_3gpuE2ELNS1_3repE0EEENS1_30default_config_static_selectorELNS0_4arch9wavefront6targetE0EEEvSL_.kd
    .uniform_work_group_size: 1
    .uses_dynamic_stack: false
    .vgpr_count:     184
    .vgpr_spill_count: 0
    .wavefront_size: 32
    .workgroup_processor_mode: 1
  - .args:
      - .address_space:  global
        .offset:         0
        .size:           8
        .value_kind:     global_buffer
      - .address_space:  global
        .offset:         8
        .size:           8
        .value_kind:     global_buffer
      - .address_space:  global
        .offset:         16
        .size:           8
        .value_kind:     global_buffer
      - .address_space:  global
        .offset:         24
        .size:           8
        .value_kind:     global_buffer
      - .offset:         32
        .size:           4
        .value_kind:     by_value
      - .offset:         36
        .size:           4
        .value_kind:     by_value
      - .offset:         40
        .size:           4
        .value_kind:     hidden_block_count_x
      - .offset:         44
        .size:           4
        .value_kind:     hidden_block_count_y
      - .offset:         48
        .size:           4
        .value_kind:     hidden_block_count_z
      - .offset:         52
        .size:           2
        .value_kind:     hidden_group_size_x
      - .offset:         54
        .size:           2
        .value_kind:     hidden_group_size_y
      - .offset:         56
        .size:           2
        .value_kind:     hidden_group_size_z
      - .offset:         58
        .size:           2
        .value_kind:     hidden_remainder_x
      - .offset:         60
        .size:           2
        .value_kind:     hidden_remainder_y
      - .offset:         62
        .size:           2
        .value_kind:     hidden_remainder_z
      - .offset:         80
        .size:           8
        .value_kind:     hidden_global_offset_x
      - .offset:         88
        .size:           8
        .value_kind:     hidden_global_offset_y
      - .offset:         96
        .size:           8
        .value_kind:     hidden_global_offset_z
      - .offset:         104
        .size:           2
        .value_kind:     hidden_grid_dims
    .group_segment_fixed_size: 0
    .kernarg_segment_align: 8
    .kernarg_segment_size: 296
    .language:       OpenCL C
    .language_version:
      - 2
      - 0
    .max_flat_workgroup_size: 1024
    .name:           _ZN2at6native12_GLOBAL__N_123sort_postprocess_kernelIN3c108BFloat16EEEvPKT_PS5_PlPK15HIP_vector_typeIiLj2EEii
    .private_segment_fixed_size: 0
    .sgpr_count:     18
    .sgpr_spill_count: 0
    .symbol:         _ZN2at6native12_GLOBAL__N_123sort_postprocess_kernelIN3c108BFloat16EEEvPKT_PS5_PlPK15HIP_vector_typeIiLj2EEii.kd
    .uniform_work_group_size: 1
    .uses_dynamic_stack: false
    .vgpr_count:     17
    .vgpr_spill_count: 0
    .wavefront_size: 32
    .workgroup_processor_mode: 1
  - .args:
      - .offset:         0
        .size:           176
        .value_kind:     by_value
    .group_segment_fixed_size: 0
    .kernarg_segment_align: 8
    .kernarg_segment_size: 176
    .language:       OpenCL C
    .language_version:
      - 2
      - 0
    .max_flat_workgroup_size: 256
    .name:           _ZN7rocprim17ROCPRIM_400000_NS6detail17trampoline_kernelINS0_13select_configILj256ELj13ELNS0_17block_load_methodE3ELS4_3ELS4_3ELNS0_20block_scan_algorithmE0ELj4294967295EEENS1_25partition_config_selectorILNS1_17partition_subalgoE4EjNS0_10empty_typeEbEEZZNS1_14partition_implILS8_4ELb0ES6_15HIP_vector_typeIjLj2EENS0_17counting_iteratorIjlEEPS9_SG_NS0_5tupleIJPjSI_NS0_16reverse_iteratorISI_EEEEENSH_IJSG_SG_SG_EEES9_SI_JZNS1_25segmented_radix_sort_implINS0_14default_configELb1EPK12hip_bfloat16PSP_PKlPlN2at6native12_GLOBAL__N_18offset_tEEE10hipError_tPvRmT1_PNSt15iterator_traitsIS13_E10value_typeET2_T3_PNS14_IS19_E10value_typeET4_jRbjT5_S1F_jjP12ihipStream_tbEUljE_ZNSN_ISO_Lb1ESR_SS_SU_SV_SZ_EES10_S11_S12_S13_S17_S18_S19_S1C_S1D_jS1E_jS1F_S1F_jjS1H_bEUljE0_EEES10_S11_S12_S19_S1D_S1F_T6_T7_T9_mT8_S1H_bDpT10_ENKUlT_T0_E_clISt17integral_constantIbLb0EES1V_EEDaS1Q_S1R_EUlS1Q_E_NS1_11comp_targetILNS1_3genE0ELNS1_11target_archE4294967295ELNS1_3gpuE0ELNS1_3repE0EEENS1_30default_config_static_selectorELNS0_4arch9wavefront6targetE0EEEvS13_
    .private_segment_fixed_size: 0
    .sgpr_count:     0
    .sgpr_spill_count: 0
    .symbol:         _ZN7rocprim17ROCPRIM_400000_NS6detail17trampoline_kernelINS0_13select_configILj256ELj13ELNS0_17block_load_methodE3ELS4_3ELS4_3ELNS0_20block_scan_algorithmE0ELj4294967295EEENS1_25partition_config_selectorILNS1_17partition_subalgoE4EjNS0_10empty_typeEbEEZZNS1_14partition_implILS8_4ELb0ES6_15HIP_vector_typeIjLj2EENS0_17counting_iteratorIjlEEPS9_SG_NS0_5tupleIJPjSI_NS0_16reverse_iteratorISI_EEEEENSH_IJSG_SG_SG_EEES9_SI_JZNS1_25segmented_radix_sort_implINS0_14default_configELb1EPK12hip_bfloat16PSP_PKlPlN2at6native12_GLOBAL__N_18offset_tEEE10hipError_tPvRmT1_PNSt15iterator_traitsIS13_E10value_typeET2_T3_PNS14_IS19_E10value_typeET4_jRbjT5_S1F_jjP12ihipStream_tbEUljE_ZNSN_ISO_Lb1ESR_SS_SU_SV_SZ_EES10_S11_S12_S13_S17_S18_S19_S1C_S1D_jS1E_jS1F_S1F_jjS1H_bEUljE0_EEES10_S11_S12_S19_S1D_S1F_T6_T7_T9_mT8_S1H_bDpT10_ENKUlT_T0_E_clISt17integral_constantIbLb0EES1V_EEDaS1Q_S1R_EUlS1Q_E_NS1_11comp_targetILNS1_3genE0ELNS1_11target_archE4294967295ELNS1_3gpuE0ELNS1_3repE0EEENS1_30default_config_static_selectorELNS0_4arch9wavefront6targetE0EEEvS13_.kd
    .uniform_work_group_size: 1
    .uses_dynamic_stack: false
    .vgpr_count:     0
    .vgpr_spill_count: 0
    .wavefront_size: 32
    .workgroup_processor_mode: 1
  - .args:
      - .offset:         0
        .size:           176
        .value_kind:     by_value
    .group_segment_fixed_size: 0
    .kernarg_segment_align: 8
    .kernarg_segment_size: 176
    .language:       OpenCL C
    .language_version:
      - 2
      - 0
    .max_flat_workgroup_size: 256
    .name:           _ZN7rocprim17ROCPRIM_400000_NS6detail17trampoline_kernelINS0_13select_configILj256ELj13ELNS0_17block_load_methodE3ELS4_3ELS4_3ELNS0_20block_scan_algorithmE0ELj4294967295EEENS1_25partition_config_selectorILNS1_17partition_subalgoE4EjNS0_10empty_typeEbEEZZNS1_14partition_implILS8_4ELb0ES6_15HIP_vector_typeIjLj2EENS0_17counting_iteratorIjlEEPS9_SG_NS0_5tupleIJPjSI_NS0_16reverse_iteratorISI_EEEEENSH_IJSG_SG_SG_EEES9_SI_JZNS1_25segmented_radix_sort_implINS0_14default_configELb1EPK12hip_bfloat16PSP_PKlPlN2at6native12_GLOBAL__N_18offset_tEEE10hipError_tPvRmT1_PNSt15iterator_traitsIS13_E10value_typeET2_T3_PNS14_IS19_E10value_typeET4_jRbjT5_S1F_jjP12ihipStream_tbEUljE_ZNSN_ISO_Lb1ESR_SS_SU_SV_SZ_EES10_S11_S12_S13_S17_S18_S19_S1C_S1D_jS1E_jS1F_S1F_jjS1H_bEUljE0_EEES10_S11_S12_S19_S1D_S1F_T6_T7_T9_mT8_S1H_bDpT10_ENKUlT_T0_E_clISt17integral_constantIbLb0EES1V_EEDaS1Q_S1R_EUlS1Q_E_NS1_11comp_targetILNS1_3genE5ELNS1_11target_archE942ELNS1_3gpuE9ELNS1_3repE0EEENS1_30default_config_static_selectorELNS0_4arch9wavefront6targetE0EEEvS13_
    .private_segment_fixed_size: 0
    .sgpr_count:     0
    .sgpr_spill_count: 0
    .symbol:         _ZN7rocprim17ROCPRIM_400000_NS6detail17trampoline_kernelINS0_13select_configILj256ELj13ELNS0_17block_load_methodE3ELS4_3ELS4_3ELNS0_20block_scan_algorithmE0ELj4294967295EEENS1_25partition_config_selectorILNS1_17partition_subalgoE4EjNS0_10empty_typeEbEEZZNS1_14partition_implILS8_4ELb0ES6_15HIP_vector_typeIjLj2EENS0_17counting_iteratorIjlEEPS9_SG_NS0_5tupleIJPjSI_NS0_16reverse_iteratorISI_EEEEENSH_IJSG_SG_SG_EEES9_SI_JZNS1_25segmented_radix_sort_implINS0_14default_configELb1EPK12hip_bfloat16PSP_PKlPlN2at6native12_GLOBAL__N_18offset_tEEE10hipError_tPvRmT1_PNSt15iterator_traitsIS13_E10value_typeET2_T3_PNS14_IS19_E10value_typeET4_jRbjT5_S1F_jjP12ihipStream_tbEUljE_ZNSN_ISO_Lb1ESR_SS_SU_SV_SZ_EES10_S11_S12_S13_S17_S18_S19_S1C_S1D_jS1E_jS1F_S1F_jjS1H_bEUljE0_EEES10_S11_S12_S19_S1D_S1F_T6_T7_T9_mT8_S1H_bDpT10_ENKUlT_T0_E_clISt17integral_constantIbLb0EES1V_EEDaS1Q_S1R_EUlS1Q_E_NS1_11comp_targetILNS1_3genE5ELNS1_11target_archE942ELNS1_3gpuE9ELNS1_3repE0EEENS1_30default_config_static_selectorELNS0_4arch9wavefront6targetE0EEEvS13_.kd
    .uniform_work_group_size: 1
    .uses_dynamic_stack: false
    .vgpr_count:     0
    .vgpr_spill_count: 0
    .wavefront_size: 32
    .workgroup_processor_mode: 1
  - .args:
      - .offset:         0
        .size:           176
        .value_kind:     by_value
    .group_segment_fixed_size: 0
    .kernarg_segment_align: 8
    .kernarg_segment_size: 176
    .language:       OpenCL C
    .language_version:
      - 2
      - 0
    .max_flat_workgroup_size: 256
    .name:           _ZN7rocprim17ROCPRIM_400000_NS6detail17trampoline_kernelINS0_13select_configILj256ELj13ELNS0_17block_load_methodE3ELS4_3ELS4_3ELNS0_20block_scan_algorithmE0ELj4294967295EEENS1_25partition_config_selectorILNS1_17partition_subalgoE4EjNS0_10empty_typeEbEEZZNS1_14partition_implILS8_4ELb0ES6_15HIP_vector_typeIjLj2EENS0_17counting_iteratorIjlEEPS9_SG_NS0_5tupleIJPjSI_NS0_16reverse_iteratorISI_EEEEENSH_IJSG_SG_SG_EEES9_SI_JZNS1_25segmented_radix_sort_implINS0_14default_configELb1EPK12hip_bfloat16PSP_PKlPlN2at6native12_GLOBAL__N_18offset_tEEE10hipError_tPvRmT1_PNSt15iterator_traitsIS13_E10value_typeET2_T3_PNS14_IS19_E10value_typeET4_jRbjT5_S1F_jjP12ihipStream_tbEUljE_ZNSN_ISO_Lb1ESR_SS_SU_SV_SZ_EES10_S11_S12_S13_S17_S18_S19_S1C_S1D_jS1E_jS1F_S1F_jjS1H_bEUljE0_EEES10_S11_S12_S19_S1D_S1F_T6_T7_T9_mT8_S1H_bDpT10_ENKUlT_T0_E_clISt17integral_constantIbLb0EES1V_EEDaS1Q_S1R_EUlS1Q_E_NS1_11comp_targetILNS1_3genE4ELNS1_11target_archE910ELNS1_3gpuE8ELNS1_3repE0EEENS1_30default_config_static_selectorELNS0_4arch9wavefront6targetE0EEEvS13_
    .private_segment_fixed_size: 0
    .sgpr_count:     0
    .sgpr_spill_count: 0
    .symbol:         _ZN7rocprim17ROCPRIM_400000_NS6detail17trampoline_kernelINS0_13select_configILj256ELj13ELNS0_17block_load_methodE3ELS4_3ELS4_3ELNS0_20block_scan_algorithmE0ELj4294967295EEENS1_25partition_config_selectorILNS1_17partition_subalgoE4EjNS0_10empty_typeEbEEZZNS1_14partition_implILS8_4ELb0ES6_15HIP_vector_typeIjLj2EENS0_17counting_iteratorIjlEEPS9_SG_NS0_5tupleIJPjSI_NS0_16reverse_iteratorISI_EEEEENSH_IJSG_SG_SG_EEES9_SI_JZNS1_25segmented_radix_sort_implINS0_14default_configELb1EPK12hip_bfloat16PSP_PKlPlN2at6native12_GLOBAL__N_18offset_tEEE10hipError_tPvRmT1_PNSt15iterator_traitsIS13_E10value_typeET2_T3_PNS14_IS19_E10value_typeET4_jRbjT5_S1F_jjP12ihipStream_tbEUljE_ZNSN_ISO_Lb1ESR_SS_SU_SV_SZ_EES10_S11_S12_S13_S17_S18_S19_S1C_S1D_jS1E_jS1F_S1F_jjS1H_bEUljE0_EEES10_S11_S12_S19_S1D_S1F_T6_T7_T9_mT8_S1H_bDpT10_ENKUlT_T0_E_clISt17integral_constantIbLb0EES1V_EEDaS1Q_S1R_EUlS1Q_E_NS1_11comp_targetILNS1_3genE4ELNS1_11target_archE910ELNS1_3gpuE8ELNS1_3repE0EEENS1_30default_config_static_selectorELNS0_4arch9wavefront6targetE0EEEvS13_.kd
    .uniform_work_group_size: 1
    .uses_dynamic_stack: false
    .vgpr_count:     0
    .vgpr_spill_count: 0
    .wavefront_size: 32
    .workgroup_processor_mode: 1
  - .args:
      - .offset:         0
        .size:           176
        .value_kind:     by_value
    .group_segment_fixed_size: 0
    .kernarg_segment_align: 8
    .kernarg_segment_size: 176
    .language:       OpenCL C
    .language_version:
      - 2
      - 0
    .max_flat_workgroup_size: 256
    .name:           _ZN7rocprim17ROCPRIM_400000_NS6detail17trampoline_kernelINS0_13select_configILj256ELj13ELNS0_17block_load_methodE3ELS4_3ELS4_3ELNS0_20block_scan_algorithmE0ELj4294967295EEENS1_25partition_config_selectorILNS1_17partition_subalgoE4EjNS0_10empty_typeEbEEZZNS1_14partition_implILS8_4ELb0ES6_15HIP_vector_typeIjLj2EENS0_17counting_iteratorIjlEEPS9_SG_NS0_5tupleIJPjSI_NS0_16reverse_iteratorISI_EEEEENSH_IJSG_SG_SG_EEES9_SI_JZNS1_25segmented_radix_sort_implINS0_14default_configELb1EPK12hip_bfloat16PSP_PKlPlN2at6native12_GLOBAL__N_18offset_tEEE10hipError_tPvRmT1_PNSt15iterator_traitsIS13_E10value_typeET2_T3_PNS14_IS19_E10value_typeET4_jRbjT5_S1F_jjP12ihipStream_tbEUljE_ZNSN_ISO_Lb1ESR_SS_SU_SV_SZ_EES10_S11_S12_S13_S17_S18_S19_S1C_S1D_jS1E_jS1F_S1F_jjS1H_bEUljE0_EEES10_S11_S12_S19_S1D_S1F_T6_T7_T9_mT8_S1H_bDpT10_ENKUlT_T0_E_clISt17integral_constantIbLb0EES1V_EEDaS1Q_S1R_EUlS1Q_E_NS1_11comp_targetILNS1_3genE3ELNS1_11target_archE908ELNS1_3gpuE7ELNS1_3repE0EEENS1_30default_config_static_selectorELNS0_4arch9wavefront6targetE0EEEvS13_
    .private_segment_fixed_size: 0
    .sgpr_count:     0
    .sgpr_spill_count: 0
    .symbol:         _ZN7rocprim17ROCPRIM_400000_NS6detail17trampoline_kernelINS0_13select_configILj256ELj13ELNS0_17block_load_methodE3ELS4_3ELS4_3ELNS0_20block_scan_algorithmE0ELj4294967295EEENS1_25partition_config_selectorILNS1_17partition_subalgoE4EjNS0_10empty_typeEbEEZZNS1_14partition_implILS8_4ELb0ES6_15HIP_vector_typeIjLj2EENS0_17counting_iteratorIjlEEPS9_SG_NS0_5tupleIJPjSI_NS0_16reverse_iteratorISI_EEEEENSH_IJSG_SG_SG_EEES9_SI_JZNS1_25segmented_radix_sort_implINS0_14default_configELb1EPK12hip_bfloat16PSP_PKlPlN2at6native12_GLOBAL__N_18offset_tEEE10hipError_tPvRmT1_PNSt15iterator_traitsIS13_E10value_typeET2_T3_PNS14_IS19_E10value_typeET4_jRbjT5_S1F_jjP12ihipStream_tbEUljE_ZNSN_ISO_Lb1ESR_SS_SU_SV_SZ_EES10_S11_S12_S13_S17_S18_S19_S1C_S1D_jS1E_jS1F_S1F_jjS1H_bEUljE0_EEES10_S11_S12_S19_S1D_S1F_T6_T7_T9_mT8_S1H_bDpT10_ENKUlT_T0_E_clISt17integral_constantIbLb0EES1V_EEDaS1Q_S1R_EUlS1Q_E_NS1_11comp_targetILNS1_3genE3ELNS1_11target_archE908ELNS1_3gpuE7ELNS1_3repE0EEENS1_30default_config_static_selectorELNS0_4arch9wavefront6targetE0EEEvS13_.kd
    .uniform_work_group_size: 1
    .uses_dynamic_stack: false
    .vgpr_count:     0
    .vgpr_spill_count: 0
    .wavefront_size: 32
    .workgroup_processor_mode: 1
  - .args:
      - .offset:         0
        .size:           176
        .value_kind:     by_value
    .group_segment_fixed_size: 0
    .kernarg_segment_align: 8
    .kernarg_segment_size: 176
    .language:       OpenCL C
    .language_version:
      - 2
      - 0
    .max_flat_workgroup_size: 256
    .name:           _ZN7rocprim17ROCPRIM_400000_NS6detail17trampoline_kernelINS0_13select_configILj256ELj13ELNS0_17block_load_methodE3ELS4_3ELS4_3ELNS0_20block_scan_algorithmE0ELj4294967295EEENS1_25partition_config_selectorILNS1_17partition_subalgoE4EjNS0_10empty_typeEbEEZZNS1_14partition_implILS8_4ELb0ES6_15HIP_vector_typeIjLj2EENS0_17counting_iteratorIjlEEPS9_SG_NS0_5tupleIJPjSI_NS0_16reverse_iteratorISI_EEEEENSH_IJSG_SG_SG_EEES9_SI_JZNS1_25segmented_radix_sort_implINS0_14default_configELb1EPK12hip_bfloat16PSP_PKlPlN2at6native12_GLOBAL__N_18offset_tEEE10hipError_tPvRmT1_PNSt15iterator_traitsIS13_E10value_typeET2_T3_PNS14_IS19_E10value_typeET4_jRbjT5_S1F_jjP12ihipStream_tbEUljE_ZNSN_ISO_Lb1ESR_SS_SU_SV_SZ_EES10_S11_S12_S13_S17_S18_S19_S1C_S1D_jS1E_jS1F_S1F_jjS1H_bEUljE0_EEES10_S11_S12_S19_S1D_S1F_T6_T7_T9_mT8_S1H_bDpT10_ENKUlT_T0_E_clISt17integral_constantIbLb0EES1V_EEDaS1Q_S1R_EUlS1Q_E_NS1_11comp_targetILNS1_3genE2ELNS1_11target_archE906ELNS1_3gpuE6ELNS1_3repE0EEENS1_30default_config_static_selectorELNS0_4arch9wavefront6targetE0EEEvS13_
    .private_segment_fixed_size: 0
    .sgpr_count:     0
    .sgpr_spill_count: 0
    .symbol:         _ZN7rocprim17ROCPRIM_400000_NS6detail17trampoline_kernelINS0_13select_configILj256ELj13ELNS0_17block_load_methodE3ELS4_3ELS4_3ELNS0_20block_scan_algorithmE0ELj4294967295EEENS1_25partition_config_selectorILNS1_17partition_subalgoE4EjNS0_10empty_typeEbEEZZNS1_14partition_implILS8_4ELb0ES6_15HIP_vector_typeIjLj2EENS0_17counting_iteratorIjlEEPS9_SG_NS0_5tupleIJPjSI_NS0_16reverse_iteratorISI_EEEEENSH_IJSG_SG_SG_EEES9_SI_JZNS1_25segmented_radix_sort_implINS0_14default_configELb1EPK12hip_bfloat16PSP_PKlPlN2at6native12_GLOBAL__N_18offset_tEEE10hipError_tPvRmT1_PNSt15iterator_traitsIS13_E10value_typeET2_T3_PNS14_IS19_E10value_typeET4_jRbjT5_S1F_jjP12ihipStream_tbEUljE_ZNSN_ISO_Lb1ESR_SS_SU_SV_SZ_EES10_S11_S12_S13_S17_S18_S19_S1C_S1D_jS1E_jS1F_S1F_jjS1H_bEUljE0_EEES10_S11_S12_S19_S1D_S1F_T6_T7_T9_mT8_S1H_bDpT10_ENKUlT_T0_E_clISt17integral_constantIbLb0EES1V_EEDaS1Q_S1R_EUlS1Q_E_NS1_11comp_targetILNS1_3genE2ELNS1_11target_archE906ELNS1_3gpuE6ELNS1_3repE0EEENS1_30default_config_static_selectorELNS0_4arch9wavefront6targetE0EEEvS13_.kd
    .uniform_work_group_size: 1
    .uses_dynamic_stack: false
    .vgpr_count:     0
    .vgpr_spill_count: 0
    .wavefront_size: 32
    .workgroup_processor_mode: 1
  - .args:
      - .offset:         0
        .size:           176
        .value_kind:     by_value
    .group_segment_fixed_size: 0
    .kernarg_segment_align: 8
    .kernarg_segment_size: 176
    .language:       OpenCL C
    .language_version:
      - 2
      - 0
    .max_flat_workgroup_size: 256
    .name:           _ZN7rocprim17ROCPRIM_400000_NS6detail17trampoline_kernelINS0_13select_configILj256ELj13ELNS0_17block_load_methodE3ELS4_3ELS4_3ELNS0_20block_scan_algorithmE0ELj4294967295EEENS1_25partition_config_selectorILNS1_17partition_subalgoE4EjNS0_10empty_typeEbEEZZNS1_14partition_implILS8_4ELb0ES6_15HIP_vector_typeIjLj2EENS0_17counting_iteratorIjlEEPS9_SG_NS0_5tupleIJPjSI_NS0_16reverse_iteratorISI_EEEEENSH_IJSG_SG_SG_EEES9_SI_JZNS1_25segmented_radix_sort_implINS0_14default_configELb1EPK12hip_bfloat16PSP_PKlPlN2at6native12_GLOBAL__N_18offset_tEEE10hipError_tPvRmT1_PNSt15iterator_traitsIS13_E10value_typeET2_T3_PNS14_IS19_E10value_typeET4_jRbjT5_S1F_jjP12ihipStream_tbEUljE_ZNSN_ISO_Lb1ESR_SS_SU_SV_SZ_EES10_S11_S12_S13_S17_S18_S19_S1C_S1D_jS1E_jS1F_S1F_jjS1H_bEUljE0_EEES10_S11_S12_S19_S1D_S1F_T6_T7_T9_mT8_S1H_bDpT10_ENKUlT_T0_E_clISt17integral_constantIbLb0EES1V_EEDaS1Q_S1R_EUlS1Q_E_NS1_11comp_targetILNS1_3genE10ELNS1_11target_archE1200ELNS1_3gpuE4ELNS1_3repE0EEENS1_30default_config_static_selectorELNS0_4arch9wavefront6targetE0EEEvS13_
    .private_segment_fixed_size: 0
    .sgpr_count:     0
    .sgpr_spill_count: 0
    .symbol:         _ZN7rocprim17ROCPRIM_400000_NS6detail17trampoline_kernelINS0_13select_configILj256ELj13ELNS0_17block_load_methodE3ELS4_3ELS4_3ELNS0_20block_scan_algorithmE0ELj4294967295EEENS1_25partition_config_selectorILNS1_17partition_subalgoE4EjNS0_10empty_typeEbEEZZNS1_14partition_implILS8_4ELb0ES6_15HIP_vector_typeIjLj2EENS0_17counting_iteratorIjlEEPS9_SG_NS0_5tupleIJPjSI_NS0_16reverse_iteratorISI_EEEEENSH_IJSG_SG_SG_EEES9_SI_JZNS1_25segmented_radix_sort_implINS0_14default_configELb1EPK12hip_bfloat16PSP_PKlPlN2at6native12_GLOBAL__N_18offset_tEEE10hipError_tPvRmT1_PNSt15iterator_traitsIS13_E10value_typeET2_T3_PNS14_IS19_E10value_typeET4_jRbjT5_S1F_jjP12ihipStream_tbEUljE_ZNSN_ISO_Lb1ESR_SS_SU_SV_SZ_EES10_S11_S12_S13_S17_S18_S19_S1C_S1D_jS1E_jS1F_S1F_jjS1H_bEUljE0_EEES10_S11_S12_S19_S1D_S1F_T6_T7_T9_mT8_S1H_bDpT10_ENKUlT_T0_E_clISt17integral_constantIbLb0EES1V_EEDaS1Q_S1R_EUlS1Q_E_NS1_11comp_targetILNS1_3genE10ELNS1_11target_archE1200ELNS1_3gpuE4ELNS1_3repE0EEENS1_30default_config_static_selectorELNS0_4arch9wavefront6targetE0EEEvS13_.kd
    .uniform_work_group_size: 1
    .uses_dynamic_stack: false
    .vgpr_count:     0
    .vgpr_spill_count: 0
    .wavefront_size: 32
    .workgroup_processor_mode: 1
  - .args:
      - .offset:         0
        .size:           176
        .value_kind:     by_value
    .group_segment_fixed_size: 0
    .kernarg_segment_align: 8
    .kernarg_segment_size: 176
    .language:       OpenCL C
    .language_version:
      - 2
      - 0
    .max_flat_workgroup_size: 256
    .name:           _ZN7rocprim17ROCPRIM_400000_NS6detail17trampoline_kernelINS0_13select_configILj256ELj13ELNS0_17block_load_methodE3ELS4_3ELS4_3ELNS0_20block_scan_algorithmE0ELj4294967295EEENS1_25partition_config_selectorILNS1_17partition_subalgoE4EjNS0_10empty_typeEbEEZZNS1_14partition_implILS8_4ELb0ES6_15HIP_vector_typeIjLj2EENS0_17counting_iteratorIjlEEPS9_SG_NS0_5tupleIJPjSI_NS0_16reverse_iteratorISI_EEEEENSH_IJSG_SG_SG_EEES9_SI_JZNS1_25segmented_radix_sort_implINS0_14default_configELb1EPK12hip_bfloat16PSP_PKlPlN2at6native12_GLOBAL__N_18offset_tEEE10hipError_tPvRmT1_PNSt15iterator_traitsIS13_E10value_typeET2_T3_PNS14_IS19_E10value_typeET4_jRbjT5_S1F_jjP12ihipStream_tbEUljE_ZNSN_ISO_Lb1ESR_SS_SU_SV_SZ_EES10_S11_S12_S13_S17_S18_S19_S1C_S1D_jS1E_jS1F_S1F_jjS1H_bEUljE0_EEES10_S11_S12_S19_S1D_S1F_T6_T7_T9_mT8_S1H_bDpT10_ENKUlT_T0_E_clISt17integral_constantIbLb0EES1V_EEDaS1Q_S1R_EUlS1Q_E_NS1_11comp_targetILNS1_3genE9ELNS1_11target_archE1100ELNS1_3gpuE3ELNS1_3repE0EEENS1_30default_config_static_selectorELNS0_4arch9wavefront6targetE0EEEvS13_
    .private_segment_fixed_size: 0
    .sgpr_count:     0
    .sgpr_spill_count: 0
    .symbol:         _ZN7rocprim17ROCPRIM_400000_NS6detail17trampoline_kernelINS0_13select_configILj256ELj13ELNS0_17block_load_methodE3ELS4_3ELS4_3ELNS0_20block_scan_algorithmE0ELj4294967295EEENS1_25partition_config_selectorILNS1_17partition_subalgoE4EjNS0_10empty_typeEbEEZZNS1_14partition_implILS8_4ELb0ES6_15HIP_vector_typeIjLj2EENS0_17counting_iteratorIjlEEPS9_SG_NS0_5tupleIJPjSI_NS0_16reverse_iteratorISI_EEEEENSH_IJSG_SG_SG_EEES9_SI_JZNS1_25segmented_radix_sort_implINS0_14default_configELb1EPK12hip_bfloat16PSP_PKlPlN2at6native12_GLOBAL__N_18offset_tEEE10hipError_tPvRmT1_PNSt15iterator_traitsIS13_E10value_typeET2_T3_PNS14_IS19_E10value_typeET4_jRbjT5_S1F_jjP12ihipStream_tbEUljE_ZNSN_ISO_Lb1ESR_SS_SU_SV_SZ_EES10_S11_S12_S13_S17_S18_S19_S1C_S1D_jS1E_jS1F_S1F_jjS1H_bEUljE0_EEES10_S11_S12_S19_S1D_S1F_T6_T7_T9_mT8_S1H_bDpT10_ENKUlT_T0_E_clISt17integral_constantIbLb0EES1V_EEDaS1Q_S1R_EUlS1Q_E_NS1_11comp_targetILNS1_3genE9ELNS1_11target_archE1100ELNS1_3gpuE3ELNS1_3repE0EEENS1_30default_config_static_selectorELNS0_4arch9wavefront6targetE0EEEvS13_.kd
    .uniform_work_group_size: 1
    .uses_dynamic_stack: false
    .vgpr_count:     0
    .vgpr_spill_count: 0
    .wavefront_size: 32
    .workgroup_processor_mode: 1
  - .args:
      - .offset:         0
        .size:           176
        .value_kind:     by_value
    .group_segment_fixed_size: 13328
    .kernarg_segment_align: 8
    .kernarg_segment_size: 176
    .language:       OpenCL C
    .language_version:
      - 2
      - 0
    .max_flat_workgroup_size: 256
    .name:           _ZN7rocprim17ROCPRIM_400000_NS6detail17trampoline_kernelINS0_13select_configILj256ELj13ELNS0_17block_load_methodE3ELS4_3ELS4_3ELNS0_20block_scan_algorithmE0ELj4294967295EEENS1_25partition_config_selectorILNS1_17partition_subalgoE4EjNS0_10empty_typeEbEEZZNS1_14partition_implILS8_4ELb0ES6_15HIP_vector_typeIjLj2EENS0_17counting_iteratorIjlEEPS9_SG_NS0_5tupleIJPjSI_NS0_16reverse_iteratorISI_EEEEENSH_IJSG_SG_SG_EEES9_SI_JZNS1_25segmented_radix_sort_implINS0_14default_configELb1EPK12hip_bfloat16PSP_PKlPlN2at6native12_GLOBAL__N_18offset_tEEE10hipError_tPvRmT1_PNSt15iterator_traitsIS13_E10value_typeET2_T3_PNS14_IS19_E10value_typeET4_jRbjT5_S1F_jjP12ihipStream_tbEUljE_ZNSN_ISO_Lb1ESR_SS_SU_SV_SZ_EES10_S11_S12_S13_S17_S18_S19_S1C_S1D_jS1E_jS1F_S1F_jjS1H_bEUljE0_EEES10_S11_S12_S19_S1D_S1F_T6_T7_T9_mT8_S1H_bDpT10_ENKUlT_T0_E_clISt17integral_constantIbLb0EES1V_EEDaS1Q_S1R_EUlS1Q_E_NS1_11comp_targetILNS1_3genE8ELNS1_11target_archE1030ELNS1_3gpuE2ELNS1_3repE0EEENS1_30default_config_static_selectorELNS0_4arch9wavefront6targetE0EEEvS13_
    .private_segment_fixed_size: 0
    .sgpr_count:     61
    .sgpr_spill_count: 0
    .symbol:         _ZN7rocprim17ROCPRIM_400000_NS6detail17trampoline_kernelINS0_13select_configILj256ELj13ELNS0_17block_load_methodE3ELS4_3ELS4_3ELNS0_20block_scan_algorithmE0ELj4294967295EEENS1_25partition_config_selectorILNS1_17partition_subalgoE4EjNS0_10empty_typeEbEEZZNS1_14partition_implILS8_4ELb0ES6_15HIP_vector_typeIjLj2EENS0_17counting_iteratorIjlEEPS9_SG_NS0_5tupleIJPjSI_NS0_16reverse_iteratorISI_EEEEENSH_IJSG_SG_SG_EEES9_SI_JZNS1_25segmented_radix_sort_implINS0_14default_configELb1EPK12hip_bfloat16PSP_PKlPlN2at6native12_GLOBAL__N_18offset_tEEE10hipError_tPvRmT1_PNSt15iterator_traitsIS13_E10value_typeET2_T3_PNS14_IS19_E10value_typeET4_jRbjT5_S1F_jjP12ihipStream_tbEUljE_ZNSN_ISO_Lb1ESR_SS_SU_SV_SZ_EES10_S11_S12_S13_S17_S18_S19_S1C_S1D_jS1E_jS1F_S1F_jjS1H_bEUljE0_EEES10_S11_S12_S19_S1D_S1F_T6_T7_T9_mT8_S1H_bDpT10_ENKUlT_T0_E_clISt17integral_constantIbLb0EES1V_EEDaS1Q_S1R_EUlS1Q_E_NS1_11comp_targetILNS1_3genE8ELNS1_11target_archE1030ELNS1_3gpuE2ELNS1_3repE0EEENS1_30default_config_static_selectorELNS0_4arch9wavefront6targetE0EEEvS13_.kd
    .uniform_work_group_size: 1
    .uses_dynamic_stack: false
    .vgpr_count:     82
    .vgpr_spill_count: 0
    .wavefront_size: 32
    .workgroup_processor_mode: 1
  - .args:
      - .offset:         0
        .size:           184
        .value_kind:     by_value
    .group_segment_fixed_size: 0
    .kernarg_segment_align: 8
    .kernarg_segment_size: 184
    .language:       OpenCL C
    .language_version:
      - 2
      - 0
    .max_flat_workgroup_size: 256
    .name:           _ZN7rocprim17ROCPRIM_400000_NS6detail17trampoline_kernelINS0_13select_configILj256ELj13ELNS0_17block_load_methodE3ELS4_3ELS4_3ELNS0_20block_scan_algorithmE0ELj4294967295EEENS1_25partition_config_selectorILNS1_17partition_subalgoE4EjNS0_10empty_typeEbEEZZNS1_14partition_implILS8_4ELb0ES6_15HIP_vector_typeIjLj2EENS0_17counting_iteratorIjlEEPS9_SG_NS0_5tupleIJPjSI_NS0_16reverse_iteratorISI_EEEEENSH_IJSG_SG_SG_EEES9_SI_JZNS1_25segmented_radix_sort_implINS0_14default_configELb1EPK12hip_bfloat16PSP_PKlPlN2at6native12_GLOBAL__N_18offset_tEEE10hipError_tPvRmT1_PNSt15iterator_traitsIS13_E10value_typeET2_T3_PNS14_IS19_E10value_typeET4_jRbjT5_S1F_jjP12ihipStream_tbEUljE_ZNSN_ISO_Lb1ESR_SS_SU_SV_SZ_EES10_S11_S12_S13_S17_S18_S19_S1C_S1D_jS1E_jS1F_S1F_jjS1H_bEUljE0_EEES10_S11_S12_S19_S1D_S1F_T6_T7_T9_mT8_S1H_bDpT10_ENKUlT_T0_E_clISt17integral_constantIbLb1EES1V_EEDaS1Q_S1R_EUlS1Q_E_NS1_11comp_targetILNS1_3genE0ELNS1_11target_archE4294967295ELNS1_3gpuE0ELNS1_3repE0EEENS1_30default_config_static_selectorELNS0_4arch9wavefront6targetE0EEEvS13_
    .private_segment_fixed_size: 0
    .sgpr_count:     0
    .sgpr_spill_count: 0
    .symbol:         _ZN7rocprim17ROCPRIM_400000_NS6detail17trampoline_kernelINS0_13select_configILj256ELj13ELNS0_17block_load_methodE3ELS4_3ELS4_3ELNS0_20block_scan_algorithmE0ELj4294967295EEENS1_25partition_config_selectorILNS1_17partition_subalgoE4EjNS0_10empty_typeEbEEZZNS1_14partition_implILS8_4ELb0ES6_15HIP_vector_typeIjLj2EENS0_17counting_iteratorIjlEEPS9_SG_NS0_5tupleIJPjSI_NS0_16reverse_iteratorISI_EEEEENSH_IJSG_SG_SG_EEES9_SI_JZNS1_25segmented_radix_sort_implINS0_14default_configELb1EPK12hip_bfloat16PSP_PKlPlN2at6native12_GLOBAL__N_18offset_tEEE10hipError_tPvRmT1_PNSt15iterator_traitsIS13_E10value_typeET2_T3_PNS14_IS19_E10value_typeET4_jRbjT5_S1F_jjP12ihipStream_tbEUljE_ZNSN_ISO_Lb1ESR_SS_SU_SV_SZ_EES10_S11_S12_S13_S17_S18_S19_S1C_S1D_jS1E_jS1F_S1F_jjS1H_bEUljE0_EEES10_S11_S12_S19_S1D_S1F_T6_T7_T9_mT8_S1H_bDpT10_ENKUlT_T0_E_clISt17integral_constantIbLb1EES1V_EEDaS1Q_S1R_EUlS1Q_E_NS1_11comp_targetILNS1_3genE0ELNS1_11target_archE4294967295ELNS1_3gpuE0ELNS1_3repE0EEENS1_30default_config_static_selectorELNS0_4arch9wavefront6targetE0EEEvS13_.kd
    .uniform_work_group_size: 1
    .uses_dynamic_stack: false
    .vgpr_count:     0
    .vgpr_spill_count: 0
    .wavefront_size: 32
    .workgroup_processor_mode: 1
  - .args:
      - .offset:         0
        .size:           184
        .value_kind:     by_value
    .group_segment_fixed_size: 0
    .kernarg_segment_align: 8
    .kernarg_segment_size: 184
    .language:       OpenCL C
    .language_version:
      - 2
      - 0
    .max_flat_workgroup_size: 256
    .name:           _ZN7rocprim17ROCPRIM_400000_NS6detail17trampoline_kernelINS0_13select_configILj256ELj13ELNS0_17block_load_methodE3ELS4_3ELS4_3ELNS0_20block_scan_algorithmE0ELj4294967295EEENS1_25partition_config_selectorILNS1_17partition_subalgoE4EjNS0_10empty_typeEbEEZZNS1_14partition_implILS8_4ELb0ES6_15HIP_vector_typeIjLj2EENS0_17counting_iteratorIjlEEPS9_SG_NS0_5tupleIJPjSI_NS0_16reverse_iteratorISI_EEEEENSH_IJSG_SG_SG_EEES9_SI_JZNS1_25segmented_radix_sort_implINS0_14default_configELb1EPK12hip_bfloat16PSP_PKlPlN2at6native12_GLOBAL__N_18offset_tEEE10hipError_tPvRmT1_PNSt15iterator_traitsIS13_E10value_typeET2_T3_PNS14_IS19_E10value_typeET4_jRbjT5_S1F_jjP12ihipStream_tbEUljE_ZNSN_ISO_Lb1ESR_SS_SU_SV_SZ_EES10_S11_S12_S13_S17_S18_S19_S1C_S1D_jS1E_jS1F_S1F_jjS1H_bEUljE0_EEES10_S11_S12_S19_S1D_S1F_T6_T7_T9_mT8_S1H_bDpT10_ENKUlT_T0_E_clISt17integral_constantIbLb1EES1V_EEDaS1Q_S1R_EUlS1Q_E_NS1_11comp_targetILNS1_3genE5ELNS1_11target_archE942ELNS1_3gpuE9ELNS1_3repE0EEENS1_30default_config_static_selectorELNS0_4arch9wavefront6targetE0EEEvS13_
    .private_segment_fixed_size: 0
    .sgpr_count:     0
    .sgpr_spill_count: 0
    .symbol:         _ZN7rocprim17ROCPRIM_400000_NS6detail17trampoline_kernelINS0_13select_configILj256ELj13ELNS0_17block_load_methodE3ELS4_3ELS4_3ELNS0_20block_scan_algorithmE0ELj4294967295EEENS1_25partition_config_selectorILNS1_17partition_subalgoE4EjNS0_10empty_typeEbEEZZNS1_14partition_implILS8_4ELb0ES6_15HIP_vector_typeIjLj2EENS0_17counting_iteratorIjlEEPS9_SG_NS0_5tupleIJPjSI_NS0_16reverse_iteratorISI_EEEEENSH_IJSG_SG_SG_EEES9_SI_JZNS1_25segmented_radix_sort_implINS0_14default_configELb1EPK12hip_bfloat16PSP_PKlPlN2at6native12_GLOBAL__N_18offset_tEEE10hipError_tPvRmT1_PNSt15iterator_traitsIS13_E10value_typeET2_T3_PNS14_IS19_E10value_typeET4_jRbjT5_S1F_jjP12ihipStream_tbEUljE_ZNSN_ISO_Lb1ESR_SS_SU_SV_SZ_EES10_S11_S12_S13_S17_S18_S19_S1C_S1D_jS1E_jS1F_S1F_jjS1H_bEUljE0_EEES10_S11_S12_S19_S1D_S1F_T6_T7_T9_mT8_S1H_bDpT10_ENKUlT_T0_E_clISt17integral_constantIbLb1EES1V_EEDaS1Q_S1R_EUlS1Q_E_NS1_11comp_targetILNS1_3genE5ELNS1_11target_archE942ELNS1_3gpuE9ELNS1_3repE0EEENS1_30default_config_static_selectorELNS0_4arch9wavefront6targetE0EEEvS13_.kd
    .uniform_work_group_size: 1
    .uses_dynamic_stack: false
    .vgpr_count:     0
    .vgpr_spill_count: 0
    .wavefront_size: 32
    .workgroup_processor_mode: 1
  - .args:
      - .offset:         0
        .size:           184
        .value_kind:     by_value
    .group_segment_fixed_size: 0
    .kernarg_segment_align: 8
    .kernarg_segment_size: 184
    .language:       OpenCL C
    .language_version:
      - 2
      - 0
    .max_flat_workgroup_size: 256
    .name:           _ZN7rocprim17ROCPRIM_400000_NS6detail17trampoline_kernelINS0_13select_configILj256ELj13ELNS0_17block_load_methodE3ELS4_3ELS4_3ELNS0_20block_scan_algorithmE0ELj4294967295EEENS1_25partition_config_selectorILNS1_17partition_subalgoE4EjNS0_10empty_typeEbEEZZNS1_14partition_implILS8_4ELb0ES6_15HIP_vector_typeIjLj2EENS0_17counting_iteratorIjlEEPS9_SG_NS0_5tupleIJPjSI_NS0_16reverse_iteratorISI_EEEEENSH_IJSG_SG_SG_EEES9_SI_JZNS1_25segmented_radix_sort_implINS0_14default_configELb1EPK12hip_bfloat16PSP_PKlPlN2at6native12_GLOBAL__N_18offset_tEEE10hipError_tPvRmT1_PNSt15iterator_traitsIS13_E10value_typeET2_T3_PNS14_IS19_E10value_typeET4_jRbjT5_S1F_jjP12ihipStream_tbEUljE_ZNSN_ISO_Lb1ESR_SS_SU_SV_SZ_EES10_S11_S12_S13_S17_S18_S19_S1C_S1D_jS1E_jS1F_S1F_jjS1H_bEUljE0_EEES10_S11_S12_S19_S1D_S1F_T6_T7_T9_mT8_S1H_bDpT10_ENKUlT_T0_E_clISt17integral_constantIbLb1EES1V_EEDaS1Q_S1R_EUlS1Q_E_NS1_11comp_targetILNS1_3genE4ELNS1_11target_archE910ELNS1_3gpuE8ELNS1_3repE0EEENS1_30default_config_static_selectorELNS0_4arch9wavefront6targetE0EEEvS13_
    .private_segment_fixed_size: 0
    .sgpr_count:     0
    .sgpr_spill_count: 0
    .symbol:         _ZN7rocprim17ROCPRIM_400000_NS6detail17trampoline_kernelINS0_13select_configILj256ELj13ELNS0_17block_load_methodE3ELS4_3ELS4_3ELNS0_20block_scan_algorithmE0ELj4294967295EEENS1_25partition_config_selectorILNS1_17partition_subalgoE4EjNS0_10empty_typeEbEEZZNS1_14partition_implILS8_4ELb0ES6_15HIP_vector_typeIjLj2EENS0_17counting_iteratorIjlEEPS9_SG_NS0_5tupleIJPjSI_NS0_16reverse_iteratorISI_EEEEENSH_IJSG_SG_SG_EEES9_SI_JZNS1_25segmented_radix_sort_implINS0_14default_configELb1EPK12hip_bfloat16PSP_PKlPlN2at6native12_GLOBAL__N_18offset_tEEE10hipError_tPvRmT1_PNSt15iterator_traitsIS13_E10value_typeET2_T3_PNS14_IS19_E10value_typeET4_jRbjT5_S1F_jjP12ihipStream_tbEUljE_ZNSN_ISO_Lb1ESR_SS_SU_SV_SZ_EES10_S11_S12_S13_S17_S18_S19_S1C_S1D_jS1E_jS1F_S1F_jjS1H_bEUljE0_EEES10_S11_S12_S19_S1D_S1F_T6_T7_T9_mT8_S1H_bDpT10_ENKUlT_T0_E_clISt17integral_constantIbLb1EES1V_EEDaS1Q_S1R_EUlS1Q_E_NS1_11comp_targetILNS1_3genE4ELNS1_11target_archE910ELNS1_3gpuE8ELNS1_3repE0EEENS1_30default_config_static_selectorELNS0_4arch9wavefront6targetE0EEEvS13_.kd
    .uniform_work_group_size: 1
    .uses_dynamic_stack: false
    .vgpr_count:     0
    .vgpr_spill_count: 0
    .wavefront_size: 32
    .workgroup_processor_mode: 1
  - .args:
      - .offset:         0
        .size:           184
        .value_kind:     by_value
    .group_segment_fixed_size: 0
    .kernarg_segment_align: 8
    .kernarg_segment_size: 184
    .language:       OpenCL C
    .language_version:
      - 2
      - 0
    .max_flat_workgroup_size: 256
    .name:           _ZN7rocprim17ROCPRIM_400000_NS6detail17trampoline_kernelINS0_13select_configILj256ELj13ELNS0_17block_load_methodE3ELS4_3ELS4_3ELNS0_20block_scan_algorithmE0ELj4294967295EEENS1_25partition_config_selectorILNS1_17partition_subalgoE4EjNS0_10empty_typeEbEEZZNS1_14partition_implILS8_4ELb0ES6_15HIP_vector_typeIjLj2EENS0_17counting_iteratorIjlEEPS9_SG_NS0_5tupleIJPjSI_NS0_16reverse_iteratorISI_EEEEENSH_IJSG_SG_SG_EEES9_SI_JZNS1_25segmented_radix_sort_implINS0_14default_configELb1EPK12hip_bfloat16PSP_PKlPlN2at6native12_GLOBAL__N_18offset_tEEE10hipError_tPvRmT1_PNSt15iterator_traitsIS13_E10value_typeET2_T3_PNS14_IS19_E10value_typeET4_jRbjT5_S1F_jjP12ihipStream_tbEUljE_ZNSN_ISO_Lb1ESR_SS_SU_SV_SZ_EES10_S11_S12_S13_S17_S18_S19_S1C_S1D_jS1E_jS1F_S1F_jjS1H_bEUljE0_EEES10_S11_S12_S19_S1D_S1F_T6_T7_T9_mT8_S1H_bDpT10_ENKUlT_T0_E_clISt17integral_constantIbLb1EES1V_EEDaS1Q_S1R_EUlS1Q_E_NS1_11comp_targetILNS1_3genE3ELNS1_11target_archE908ELNS1_3gpuE7ELNS1_3repE0EEENS1_30default_config_static_selectorELNS0_4arch9wavefront6targetE0EEEvS13_
    .private_segment_fixed_size: 0
    .sgpr_count:     0
    .sgpr_spill_count: 0
    .symbol:         _ZN7rocprim17ROCPRIM_400000_NS6detail17trampoline_kernelINS0_13select_configILj256ELj13ELNS0_17block_load_methodE3ELS4_3ELS4_3ELNS0_20block_scan_algorithmE0ELj4294967295EEENS1_25partition_config_selectorILNS1_17partition_subalgoE4EjNS0_10empty_typeEbEEZZNS1_14partition_implILS8_4ELb0ES6_15HIP_vector_typeIjLj2EENS0_17counting_iteratorIjlEEPS9_SG_NS0_5tupleIJPjSI_NS0_16reverse_iteratorISI_EEEEENSH_IJSG_SG_SG_EEES9_SI_JZNS1_25segmented_radix_sort_implINS0_14default_configELb1EPK12hip_bfloat16PSP_PKlPlN2at6native12_GLOBAL__N_18offset_tEEE10hipError_tPvRmT1_PNSt15iterator_traitsIS13_E10value_typeET2_T3_PNS14_IS19_E10value_typeET4_jRbjT5_S1F_jjP12ihipStream_tbEUljE_ZNSN_ISO_Lb1ESR_SS_SU_SV_SZ_EES10_S11_S12_S13_S17_S18_S19_S1C_S1D_jS1E_jS1F_S1F_jjS1H_bEUljE0_EEES10_S11_S12_S19_S1D_S1F_T6_T7_T9_mT8_S1H_bDpT10_ENKUlT_T0_E_clISt17integral_constantIbLb1EES1V_EEDaS1Q_S1R_EUlS1Q_E_NS1_11comp_targetILNS1_3genE3ELNS1_11target_archE908ELNS1_3gpuE7ELNS1_3repE0EEENS1_30default_config_static_selectorELNS0_4arch9wavefront6targetE0EEEvS13_.kd
    .uniform_work_group_size: 1
    .uses_dynamic_stack: false
    .vgpr_count:     0
    .vgpr_spill_count: 0
    .wavefront_size: 32
    .workgroup_processor_mode: 1
  - .args:
      - .offset:         0
        .size:           184
        .value_kind:     by_value
    .group_segment_fixed_size: 0
    .kernarg_segment_align: 8
    .kernarg_segment_size: 184
    .language:       OpenCL C
    .language_version:
      - 2
      - 0
    .max_flat_workgroup_size: 256
    .name:           _ZN7rocprim17ROCPRIM_400000_NS6detail17trampoline_kernelINS0_13select_configILj256ELj13ELNS0_17block_load_methodE3ELS4_3ELS4_3ELNS0_20block_scan_algorithmE0ELj4294967295EEENS1_25partition_config_selectorILNS1_17partition_subalgoE4EjNS0_10empty_typeEbEEZZNS1_14partition_implILS8_4ELb0ES6_15HIP_vector_typeIjLj2EENS0_17counting_iteratorIjlEEPS9_SG_NS0_5tupleIJPjSI_NS0_16reverse_iteratorISI_EEEEENSH_IJSG_SG_SG_EEES9_SI_JZNS1_25segmented_radix_sort_implINS0_14default_configELb1EPK12hip_bfloat16PSP_PKlPlN2at6native12_GLOBAL__N_18offset_tEEE10hipError_tPvRmT1_PNSt15iterator_traitsIS13_E10value_typeET2_T3_PNS14_IS19_E10value_typeET4_jRbjT5_S1F_jjP12ihipStream_tbEUljE_ZNSN_ISO_Lb1ESR_SS_SU_SV_SZ_EES10_S11_S12_S13_S17_S18_S19_S1C_S1D_jS1E_jS1F_S1F_jjS1H_bEUljE0_EEES10_S11_S12_S19_S1D_S1F_T6_T7_T9_mT8_S1H_bDpT10_ENKUlT_T0_E_clISt17integral_constantIbLb1EES1V_EEDaS1Q_S1R_EUlS1Q_E_NS1_11comp_targetILNS1_3genE2ELNS1_11target_archE906ELNS1_3gpuE6ELNS1_3repE0EEENS1_30default_config_static_selectorELNS0_4arch9wavefront6targetE0EEEvS13_
    .private_segment_fixed_size: 0
    .sgpr_count:     0
    .sgpr_spill_count: 0
    .symbol:         _ZN7rocprim17ROCPRIM_400000_NS6detail17trampoline_kernelINS0_13select_configILj256ELj13ELNS0_17block_load_methodE3ELS4_3ELS4_3ELNS0_20block_scan_algorithmE0ELj4294967295EEENS1_25partition_config_selectorILNS1_17partition_subalgoE4EjNS0_10empty_typeEbEEZZNS1_14partition_implILS8_4ELb0ES6_15HIP_vector_typeIjLj2EENS0_17counting_iteratorIjlEEPS9_SG_NS0_5tupleIJPjSI_NS0_16reverse_iteratorISI_EEEEENSH_IJSG_SG_SG_EEES9_SI_JZNS1_25segmented_radix_sort_implINS0_14default_configELb1EPK12hip_bfloat16PSP_PKlPlN2at6native12_GLOBAL__N_18offset_tEEE10hipError_tPvRmT1_PNSt15iterator_traitsIS13_E10value_typeET2_T3_PNS14_IS19_E10value_typeET4_jRbjT5_S1F_jjP12ihipStream_tbEUljE_ZNSN_ISO_Lb1ESR_SS_SU_SV_SZ_EES10_S11_S12_S13_S17_S18_S19_S1C_S1D_jS1E_jS1F_S1F_jjS1H_bEUljE0_EEES10_S11_S12_S19_S1D_S1F_T6_T7_T9_mT8_S1H_bDpT10_ENKUlT_T0_E_clISt17integral_constantIbLb1EES1V_EEDaS1Q_S1R_EUlS1Q_E_NS1_11comp_targetILNS1_3genE2ELNS1_11target_archE906ELNS1_3gpuE6ELNS1_3repE0EEENS1_30default_config_static_selectorELNS0_4arch9wavefront6targetE0EEEvS13_.kd
    .uniform_work_group_size: 1
    .uses_dynamic_stack: false
    .vgpr_count:     0
    .vgpr_spill_count: 0
    .wavefront_size: 32
    .workgroup_processor_mode: 1
  - .args:
      - .offset:         0
        .size:           184
        .value_kind:     by_value
    .group_segment_fixed_size: 0
    .kernarg_segment_align: 8
    .kernarg_segment_size: 184
    .language:       OpenCL C
    .language_version:
      - 2
      - 0
    .max_flat_workgroup_size: 256
    .name:           _ZN7rocprim17ROCPRIM_400000_NS6detail17trampoline_kernelINS0_13select_configILj256ELj13ELNS0_17block_load_methodE3ELS4_3ELS4_3ELNS0_20block_scan_algorithmE0ELj4294967295EEENS1_25partition_config_selectorILNS1_17partition_subalgoE4EjNS0_10empty_typeEbEEZZNS1_14partition_implILS8_4ELb0ES6_15HIP_vector_typeIjLj2EENS0_17counting_iteratorIjlEEPS9_SG_NS0_5tupleIJPjSI_NS0_16reverse_iteratorISI_EEEEENSH_IJSG_SG_SG_EEES9_SI_JZNS1_25segmented_radix_sort_implINS0_14default_configELb1EPK12hip_bfloat16PSP_PKlPlN2at6native12_GLOBAL__N_18offset_tEEE10hipError_tPvRmT1_PNSt15iterator_traitsIS13_E10value_typeET2_T3_PNS14_IS19_E10value_typeET4_jRbjT5_S1F_jjP12ihipStream_tbEUljE_ZNSN_ISO_Lb1ESR_SS_SU_SV_SZ_EES10_S11_S12_S13_S17_S18_S19_S1C_S1D_jS1E_jS1F_S1F_jjS1H_bEUljE0_EEES10_S11_S12_S19_S1D_S1F_T6_T7_T9_mT8_S1H_bDpT10_ENKUlT_T0_E_clISt17integral_constantIbLb1EES1V_EEDaS1Q_S1R_EUlS1Q_E_NS1_11comp_targetILNS1_3genE10ELNS1_11target_archE1200ELNS1_3gpuE4ELNS1_3repE0EEENS1_30default_config_static_selectorELNS0_4arch9wavefront6targetE0EEEvS13_
    .private_segment_fixed_size: 0
    .sgpr_count:     0
    .sgpr_spill_count: 0
    .symbol:         _ZN7rocprim17ROCPRIM_400000_NS6detail17trampoline_kernelINS0_13select_configILj256ELj13ELNS0_17block_load_methodE3ELS4_3ELS4_3ELNS0_20block_scan_algorithmE0ELj4294967295EEENS1_25partition_config_selectorILNS1_17partition_subalgoE4EjNS0_10empty_typeEbEEZZNS1_14partition_implILS8_4ELb0ES6_15HIP_vector_typeIjLj2EENS0_17counting_iteratorIjlEEPS9_SG_NS0_5tupleIJPjSI_NS0_16reverse_iteratorISI_EEEEENSH_IJSG_SG_SG_EEES9_SI_JZNS1_25segmented_radix_sort_implINS0_14default_configELb1EPK12hip_bfloat16PSP_PKlPlN2at6native12_GLOBAL__N_18offset_tEEE10hipError_tPvRmT1_PNSt15iterator_traitsIS13_E10value_typeET2_T3_PNS14_IS19_E10value_typeET4_jRbjT5_S1F_jjP12ihipStream_tbEUljE_ZNSN_ISO_Lb1ESR_SS_SU_SV_SZ_EES10_S11_S12_S13_S17_S18_S19_S1C_S1D_jS1E_jS1F_S1F_jjS1H_bEUljE0_EEES10_S11_S12_S19_S1D_S1F_T6_T7_T9_mT8_S1H_bDpT10_ENKUlT_T0_E_clISt17integral_constantIbLb1EES1V_EEDaS1Q_S1R_EUlS1Q_E_NS1_11comp_targetILNS1_3genE10ELNS1_11target_archE1200ELNS1_3gpuE4ELNS1_3repE0EEENS1_30default_config_static_selectorELNS0_4arch9wavefront6targetE0EEEvS13_.kd
    .uniform_work_group_size: 1
    .uses_dynamic_stack: false
    .vgpr_count:     0
    .vgpr_spill_count: 0
    .wavefront_size: 32
    .workgroup_processor_mode: 1
  - .args:
      - .offset:         0
        .size:           184
        .value_kind:     by_value
    .group_segment_fixed_size: 0
    .kernarg_segment_align: 8
    .kernarg_segment_size: 184
    .language:       OpenCL C
    .language_version:
      - 2
      - 0
    .max_flat_workgroup_size: 256
    .name:           _ZN7rocprim17ROCPRIM_400000_NS6detail17trampoline_kernelINS0_13select_configILj256ELj13ELNS0_17block_load_methodE3ELS4_3ELS4_3ELNS0_20block_scan_algorithmE0ELj4294967295EEENS1_25partition_config_selectorILNS1_17partition_subalgoE4EjNS0_10empty_typeEbEEZZNS1_14partition_implILS8_4ELb0ES6_15HIP_vector_typeIjLj2EENS0_17counting_iteratorIjlEEPS9_SG_NS0_5tupleIJPjSI_NS0_16reverse_iteratorISI_EEEEENSH_IJSG_SG_SG_EEES9_SI_JZNS1_25segmented_radix_sort_implINS0_14default_configELb1EPK12hip_bfloat16PSP_PKlPlN2at6native12_GLOBAL__N_18offset_tEEE10hipError_tPvRmT1_PNSt15iterator_traitsIS13_E10value_typeET2_T3_PNS14_IS19_E10value_typeET4_jRbjT5_S1F_jjP12ihipStream_tbEUljE_ZNSN_ISO_Lb1ESR_SS_SU_SV_SZ_EES10_S11_S12_S13_S17_S18_S19_S1C_S1D_jS1E_jS1F_S1F_jjS1H_bEUljE0_EEES10_S11_S12_S19_S1D_S1F_T6_T7_T9_mT8_S1H_bDpT10_ENKUlT_T0_E_clISt17integral_constantIbLb1EES1V_EEDaS1Q_S1R_EUlS1Q_E_NS1_11comp_targetILNS1_3genE9ELNS1_11target_archE1100ELNS1_3gpuE3ELNS1_3repE0EEENS1_30default_config_static_selectorELNS0_4arch9wavefront6targetE0EEEvS13_
    .private_segment_fixed_size: 0
    .sgpr_count:     0
    .sgpr_spill_count: 0
    .symbol:         _ZN7rocprim17ROCPRIM_400000_NS6detail17trampoline_kernelINS0_13select_configILj256ELj13ELNS0_17block_load_methodE3ELS4_3ELS4_3ELNS0_20block_scan_algorithmE0ELj4294967295EEENS1_25partition_config_selectorILNS1_17partition_subalgoE4EjNS0_10empty_typeEbEEZZNS1_14partition_implILS8_4ELb0ES6_15HIP_vector_typeIjLj2EENS0_17counting_iteratorIjlEEPS9_SG_NS0_5tupleIJPjSI_NS0_16reverse_iteratorISI_EEEEENSH_IJSG_SG_SG_EEES9_SI_JZNS1_25segmented_radix_sort_implINS0_14default_configELb1EPK12hip_bfloat16PSP_PKlPlN2at6native12_GLOBAL__N_18offset_tEEE10hipError_tPvRmT1_PNSt15iterator_traitsIS13_E10value_typeET2_T3_PNS14_IS19_E10value_typeET4_jRbjT5_S1F_jjP12ihipStream_tbEUljE_ZNSN_ISO_Lb1ESR_SS_SU_SV_SZ_EES10_S11_S12_S13_S17_S18_S19_S1C_S1D_jS1E_jS1F_S1F_jjS1H_bEUljE0_EEES10_S11_S12_S19_S1D_S1F_T6_T7_T9_mT8_S1H_bDpT10_ENKUlT_T0_E_clISt17integral_constantIbLb1EES1V_EEDaS1Q_S1R_EUlS1Q_E_NS1_11comp_targetILNS1_3genE9ELNS1_11target_archE1100ELNS1_3gpuE3ELNS1_3repE0EEENS1_30default_config_static_selectorELNS0_4arch9wavefront6targetE0EEEvS13_.kd
    .uniform_work_group_size: 1
    .uses_dynamic_stack: false
    .vgpr_count:     0
    .vgpr_spill_count: 0
    .wavefront_size: 32
    .workgroup_processor_mode: 1
  - .args:
      - .offset:         0
        .size:           184
        .value_kind:     by_value
    .group_segment_fixed_size: 0
    .kernarg_segment_align: 8
    .kernarg_segment_size: 184
    .language:       OpenCL C
    .language_version:
      - 2
      - 0
    .max_flat_workgroup_size: 256
    .name:           _ZN7rocprim17ROCPRIM_400000_NS6detail17trampoline_kernelINS0_13select_configILj256ELj13ELNS0_17block_load_methodE3ELS4_3ELS4_3ELNS0_20block_scan_algorithmE0ELj4294967295EEENS1_25partition_config_selectorILNS1_17partition_subalgoE4EjNS0_10empty_typeEbEEZZNS1_14partition_implILS8_4ELb0ES6_15HIP_vector_typeIjLj2EENS0_17counting_iteratorIjlEEPS9_SG_NS0_5tupleIJPjSI_NS0_16reverse_iteratorISI_EEEEENSH_IJSG_SG_SG_EEES9_SI_JZNS1_25segmented_radix_sort_implINS0_14default_configELb1EPK12hip_bfloat16PSP_PKlPlN2at6native12_GLOBAL__N_18offset_tEEE10hipError_tPvRmT1_PNSt15iterator_traitsIS13_E10value_typeET2_T3_PNS14_IS19_E10value_typeET4_jRbjT5_S1F_jjP12ihipStream_tbEUljE_ZNSN_ISO_Lb1ESR_SS_SU_SV_SZ_EES10_S11_S12_S13_S17_S18_S19_S1C_S1D_jS1E_jS1F_S1F_jjS1H_bEUljE0_EEES10_S11_S12_S19_S1D_S1F_T6_T7_T9_mT8_S1H_bDpT10_ENKUlT_T0_E_clISt17integral_constantIbLb1EES1V_EEDaS1Q_S1R_EUlS1Q_E_NS1_11comp_targetILNS1_3genE8ELNS1_11target_archE1030ELNS1_3gpuE2ELNS1_3repE0EEENS1_30default_config_static_selectorELNS0_4arch9wavefront6targetE0EEEvS13_
    .private_segment_fixed_size: 0
    .sgpr_count:     0
    .sgpr_spill_count: 0
    .symbol:         _ZN7rocprim17ROCPRIM_400000_NS6detail17trampoline_kernelINS0_13select_configILj256ELj13ELNS0_17block_load_methodE3ELS4_3ELS4_3ELNS0_20block_scan_algorithmE0ELj4294967295EEENS1_25partition_config_selectorILNS1_17partition_subalgoE4EjNS0_10empty_typeEbEEZZNS1_14partition_implILS8_4ELb0ES6_15HIP_vector_typeIjLj2EENS0_17counting_iteratorIjlEEPS9_SG_NS0_5tupleIJPjSI_NS0_16reverse_iteratorISI_EEEEENSH_IJSG_SG_SG_EEES9_SI_JZNS1_25segmented_radix_sort_implINS0_14default_configELb1EPK12hip_bfloat16PSP_PKlPlN2at6native12_GLOBAL__N_18offset_tEEE10hipError_tPvRmT1_PNSt15iterator_traitsIS13_E10value_typeET2_T3_PNS14_IS19_E10value_typeET4_jRbjT5_S1F_jjP12ihipStream_tbEUljE_ZNSN_ISO_Lb1ESR_SS_SU_SV_SZ_EES10_S11_S12_S13_S17_S18_S19_S1C_S1D_jS1E_jS1F_S1F_jjS1H_bEUljE0_EEES10_S11_S12_S19_S1D_S1F_T6_T7_T9_mT8_S1H_bDpT10_ENKUlT_T0_E_clISt17integral_constantIbLb1EES1V_EEDaS1Q_S1R_EUlS1Q_E_NS1_11comp_targetILNS1_3genE8ELNS1_11target_archE1030ELNS1_3gpuE2ELNS1_3repE0EEENS1_30default_config_static_selectorELNS0_4arch9wavefront6targetE0EEEvS13_.kd
    .uniform_work_group_size: 1
    .uses_dynamic_stack: false
    .vgpr_count:     0
    .vgpr_spill_count: 0
    .wavefront_size: 32
    .workgroup_processor_mode: 1
  - .args:
      - .offset:         0
        .size:           176
        .value_kind:     by_value
    .group_segment_fixed_size: 0
    .kernarg_segment_align: 8
    .kernarg_segment_size: 176
    .language:       OpenCL C
    .language_version:
      - 2
      - 0
    .max_flat_workgroup_size: 256
    .name:           _ZN7rocprim17ROCPRIM_400000_NS6detail17trampoline_kernelINS0_13select_configILj256ELj13ELNS0_17block_load_methodE3ELS4_3ELS4_3ELNS0_20block_scan_algorithmE0ELj4294967295EEENS1_25partition_config_selectorILNS1_17partition_subalgoE4EjNS0_10empty_typeEbEEZZNS1_14partition_implILS8_4ELb0ES6_15HIP_vector_typeIjLj2EENS0_17counting_iteratorIjlEEPS9_SG_NS0_5tupleIJPjSI_NS0_16reverse_iteratorISI_EEEEENSH_IJSG_SG_SG_EEES9_SI_JZNS1_25segmented_radix_sort_implINS0_14default_configELb1EPK12hip_bfloat16PSP_PKlPlN2at6native12_GLOBAL__N_18offset_tEEE10hipError_tPvRmT1_PNSt15iterator_traitsIS13_E10value_typeET2_T3_PNS14_IS19_E10value_typeET4_jRbjT5_S1F_jjP12ihipStream_tbEUljE_ZNSN_ISO_Lb1ESR_SS_SU_SV_SZ_EES10_S11_S12_S13_S17_S18_S19_S1C_S1D_jS1E_jS1F_S1F_jjS1H_bEUljE0_EEES10_S11_S12_S19_S1D_S1F_T6_T7_T9_mT8_S1H_bDpT10_ENKUlT_T0_E_clISt17integral_constantIbLb1EES1U_IbLb0EEEEDaS1Q_S1R_EUlS1Q_E_NS1_11comp_targetILNS1_3genE0ELNS1_11target_archE4294967295ELNS1_3gpuE0ELNS1_3repE0EEENS1_30default_config_static_selectorELNS0_4arch9wavefront6targetE0EEEvS13_
    .private_segment_fixed_size: 0
    .sgpr_count:     0
    .sgpr_spill_count: 0
    .symbol:         _ZN7rocprim17ROCPRIM_400000_NS6detail17trampoline_kernelINS0_13select_configILj256ELj13ELNS0_17block_load_methodE3ELS4_3ELS4_3ELNS0_20block_scan_algorithmE0ELj4294967295EEENS1_25partition_config_selectorILNS1_17partition_subalgoE4EjNS0_10empty_typeEbEEZZNS1_14partition_implILS8_4ELb0ES6_15HIP_vector_typeIjLj2EENS0_17counting_iteratorIjlEEPS9_SG_NS0_5tupleIJPjSI_NS0_16reverse_iteratorISI_EEEEENSH_IJSG_SG_SG_EEES9_SI_JZNS1_25segmented_radix_sort_implINS0_14default_configELb1EPK12hip_bfloat16PSP_PKlPlN2at6native12_GLOBAL__N_18offset_tEEE10hipError_tPvRmT1_PNSt15iterator_traitsIS13_E10value_typeET2_T3_PNS14_IS19_E10value_typeET4_jRbjT5_S1F_jjP12ihipStream_tbEUljE_ZNSN_ISO_Lb1ESR_SS_SU_SV_SZ_EES10_S11_S12_S13_S17_S18_S19_S1C_S1D_jS1E_jS1F_S1F_jjS1H_bEUljE0_EEES10_S11_S12_S19_S1D_S1F_T6_T7_T9_mT8_S1H_bDpT10_ENKUlT_T0_E_clISt17integral_constantIbLb1EES1U_IbLb0EEEEDaS1Q_S1R_EUlS1Q_E_NS1_11comp_targetILNS1_3genE0ELNS1_11target_archE4294967295ELNS1_3gpuE0ELNS1_3repE0EEENS1_30default_config_static_selectorELNS0_4arch9wavefront6targetE0EEEvS13_.kd
    .uniform_work_group_size: 1
    .uses_dynamic_stack: false
    .vgpr_count:     0
    .vgpr_spill_count: 0
    .wavefront_size: 32
    .workgroup_processor_mode: 1
  - .args:
      - .offset:         0
        .size:           176
        .value_kind:     by_value
    .group_segment_fixed_size: 0
    .kernarg_segment_align: 8
    .kernarg_segment_size: 176
    .language:       OpenCL C
    .language_version:
      - 2
      - 0
    .max_flat_workgroup_size: 256
    .name:           _ZN7rocprim17ROCPRIM_400000_NS6detail17trampoline_kernelINS0_13select_configILj256ELj13ELNS0_17block_load_methodE3ELS4_3ELS4_3ELNS0_20block_scan_algorithmE0ELj4294967295EEENS1_25partition_config_selectorILNS1_17partition_subalgoE4EjNS0_10empty_typeEbEEZZNS1_14partition_implILS8_4ELb0ES6_15HIP_vector_typeIjLj2EENS0_17counting_iteratorIjlEEPS9_SG_NS0_5tupleIJPjSI_NS0_16reverse_iteratorISI_EEEEENSH_IJSG_SG_SG_EEES9_SI_JZNS1_25segmented_radix_sort_implINS0_14default_configELb1EPK12hip_bfloat16PSP_PKlPlN2at6native12_GLOBAL__N_18offset_tEEE10hipError_tPvRmT1_PNSt15iterator_traitsIS13_E10value_typeET2_T3_PNS14_IS19_E10value_typeET4_jRbjT5_S1F_jjP12ihipStream_tbEUljE_ZNSN_ISO_Lb1ESR_SS_SU_SV_SZ_EES10_S11_S12_S13_S17_S18_S19_S1C_S1D_jS1E_jS1F_S1F_jjS1H_bEUljE0_EEES10_S11_S12_S19_S1D_S1F_T6_T7_T9_mT8_S1H_bDpT10_ENKUlT_T0_E_clISt17integral_constantIbLb1EES1U_IbLb0EEEEDaS1Q_S1R_EUlS1Q_E_NS1_11comp_targetILNS1_3genE5ELNS1_11target_archE942ELNS1_3gpuE9ELNS1_3repE0EEENS1_30default_config_static_selectorELNS0_4arch9wavefront6targetE0EEEvS13_
    .private_segment_fixed_size: 0
    .sgpr_count:     0
    .sgpr_spill_count: 0
    .symbol:         _ZN7rocprim17ROCPRIM_400000_NS6detail17trampoline_kernelINS0_13select_configILj256ELj13ELNS0_17block_load_methodE3ELS4_3ELS4_3ELNS0_20block_scan_algorithmE0ELj4294967295EEENS1_25partition_config_selectorILNS1_17partition_subalgoE4EjNS0_10empty_typeEbEEZZNS1_14partition_implILS8_4ELb0ES6_15HIP_vector_typeIjLj2EENS0_17counting_iteratorIjlEEPS9_SG_NS0_5tupleIJPjSI_NS0_16reverse_iteratorISI_EEEEENSH_IJSG_SG_SG_EEES9_SI_JZNS1_25segmented_radix_sort_implINS0_14default_configELb1EPK12hip_bfloat16PSP_PKlPlN2at6native12_GLOBAL__N_18offset_tEEE10hipError_tPvRmT1_PNSt15iterator_traitsIS13_E10value_typeET2_T3_PNS14_IS19_E10value_typeET4_jRbjT5_S1F_jjP12ihipStream_tbEUljE_ZNSN_ISO_Lb1ESR_SS_SU_SV_SZ_EES10_S11_S12_S13_S17_S18_S19_S1C_S1D_jS1E_jS1F_S1F_jjS1H_bEUljE0_EEES10_S11_S12_S19_S1D_S1F_T6_T7_T9_mT8_S1H_bDpT10_ENKUlT_T0_E_clISt17integral_constantIbLb1EES1U_IbLb0EEEEDaS1Q_S1R_EUlS1Q_E_NS1_11comp_targetILNS1_3genE5ELNS1_11target_archE942ELNS1_3gpuE9ELNS1_3repE0EEENS1_30default_config_static_selectorELNS0_4arch9wavefront6targetE0EEEvS13_.kd
    .uniform_work_group_size: 1
    .uses_dynamic_stack: false
    .vgpr_count:     0
    .vgpr_spill_count: 0
    .wavefront_size: 32
    .workgroup_processor_mode: 1
  - .args:
      - .offset:         0
        .size:           176
        .value_kind:     by_value
    .group_segment_fixed_size: 0
    .kernarg_segment_align: 8
    .kernarg_segment_size: 176
    .language:       OpenCL C
    .language_version:
      - 2
      - 0
    .max_flat_workgroup_size: 256
    .name:           _ZN7rocprim17ROCPRIM_400000_NS6detail17trampoline_kernelINS0_13select_configILj256ELj13ELNS0_17block_load_methodE3ELS4_3ELS4_3ELNS0_20block_scan_algorithmE0ELj4294967295EEENS1_25partition_config_selectorILNS1_17partition_subalgoE4EjNS0_10empty_typeEbEEZZNS1_14partition_implILS8_4ELb0ES6_15HIP_vector_typeIjLj2EENS0_17counting_iteratorIjlEEPS9_SG_NS0_5tupleIJPjSI_NS0_16reverse_iteratorISI_EEEEENSH_IJSG_SG_SG_EEES9_SI_JZNS1_25segmented_radix_sort_implINS0_14default_configELb1EPK12hip_bfloat16PSP_PKlPlN2at6native12_GLOBAL__N_18offset_tEEE10hipError_tPvRmT1_PNSt15iterator_traitsIS13_E10value_typeET2_T3_PNS14_IS19_E10value_typeET4_jRbjT5_S1F_jjP12ihipStream_tbEUljE_ZNSN_ISO_Lb1ESR_SS_SU_SV_SZ_EES10_S11_S12_S13_S17_S18_S19_S1C_S1D_jS1E_jS1F_S1F_jjS1H_bEUljE0_EEES10_S11_S12_S19_S1D_S1F_T6_T7_T9_mT8_S1H_bDpT10_ENKUlT_T0_E_clISt17integral_constantIbLb1EES1U_IbLb0EEEEDaS1Q_S1R_EUlS1Q_E_NS1_11comp_targetILNS1_3genE4ELNS1_11target_archE910ELNS1_3gpuE8ELNS1_3repE0EEENS1_30default_config_static_selectorELNS0_4arch9wavefront6targetE0EEEvS13_
    .private_segment_fixed_size: 0
    .sgpr_count:     0
    .sgpr_spill_count: 0
    .symbol:         _ZN7rocprim17ROCPRIM_400000_NS6detail17trampoline_kernelINS0_13select_configILj256ELj13ELNS0_17block_load_methodE3ELS4_3ELS4_3ELNS0_20block_scan_algorithmE0ELj4294967295EEENS1_25partition_config_selectorILNS1_17partition_subalgoE4EjNS0_10empty_typeEbEEZZNS1_14partition_implILS8_4ELb0ES6_15HIP_vector_typeIjLj2EENS0_17counting_iteratorIjlEEPS9_SG_NS0_5tupleIJPjSI_NS0_16reverse_iteratorISI_EEEEENSH_IJSG_SG_SG_EEES9_SI_JZNS1_25segmented_radix_sort_implINS0_14default_configELb1EPK12hip_bfloat16PSP_PKlPlN2at6native12_GLOBAL__N_18offset_tEEE10hipError_tPvRmT1_PNSt15iterator_traitsIS13_E10value_typeET2_T3_PNS14_IS19_E10value_typeET4_jRbjT5_S1F_jjP12ihipStream_tbEUljE_ZNSN_ISO_Lb1ESR_SS_SU_SV_SZ_EES10_S11_S12_S13_S17_S18_S19_S1C_S1D_jS1E_jS1F_S1F_jjS1H_bEUljE0_EEES10_S11_S12_S19_S1D_S1F_T6_T7_T9_mT8_S1H_bDpT10_ENKUlT_T0_E_clISt17integral_constantIbLb1EES1U_IbLb0EEEEDaS1Q_S1R_EUlS1Q_E_NS1_11comp_targetILNS1_3genE4ELNS1_11target_archE910ELNS1_3gpuE8ELNS1_3repE0EEENS1_30default_config_static_selectorELNS0_4arch9wavefront6targetE0EEEvS13_.kd
    .uniform_work_group_size: 1
    .uses_dynamic_stack: false
    .vgpr_count:     0
    .vgpr_spill_count: 0
    .wavefront_size: 32
    .workgroup_processor_mode: 1
  - .args:
      - .offset:         0
        .size:           176
        .value_kind:     by_value
    .group_segment_fixed_size: 0
    .kernarg_segment_align: 8
    .kernarg_segment_size: 176
    .language:       OpenCL C
    .language_version:
      - 2
      - 0
    .max_flat_workgroup_size: 256
    .name:           _ZN7rocprim17ROCPRIM_400000_NS6detail17trampoline_kernelINS0_13select_configILj256ELj13ELNS0_17block_load_methodE3ELS4_3ELS4_3ELNS0_20block_scan_algorithmE0ELj4294967295EEENS1_25partition_config_selectorILNS1_17partition_subalgoE4EjNS0_10empty_typeEbEEZZNS1_14partition_implILS8_4ELb0ES6_15HIP_vector_typeIjLj2EENS0_17counting_iteratorIjlEEPS9_SG_NS0_5tupleIJPjSI_NS0_16reverse_iteratorISI_EEEEENSH_IJSG_SG_SG_EEES9_SI_JZNS1_25segmented_radix_sort_implINS0_14default_configELb1EPK12hip_bfloat16PSP_PKlPlN2at6native12_GLOBAL__N_18offset_tEEE10hipError_tPvRmT1_PNSt15iterator_traitsIS13_E10value_typeET2_T3_PNS14_IS19_E10value_typeET4_jRbjT5_S1F_jjP12ihipStream_tbEUljE_ZNSN_ISO_Lb1ESR_SS_SU_SV_SZ_EES10_S11_S12_S13_S17_S18_S19_S1C_S1D_jS1E_jS1F_S1F_jjS1H_bEUljE0_EEES10_S11_S12_S19_S1D_S1F_T6_T7_T9_mT8_S1H_bDpT10_ENKUlT_T0_E_clISt17integral_constantIbLb1EES1U_IbLb0EEEEDaS1Q_S1R_EUlS1Q_E_NS1_11comp_targetILNS1_3genE3ELNS1_11target_archE908ELNS1_3gpuE7ELNS1_3repE0EEENS1_30default_config_static_selectorELNS0_4arch9wavefront6targetE0EEEvS13_
    .private_segment_fixed_size: 0
    .sgpr_count:     0
    .sgpr_spill_count: 0
    .symbol:         _ZN7rocprim17ROCPRIM_400000_NS6detail17trampoline_kernelINS0_13select_configILj256ELj13ELNS0_17block_load_methodE3ELS4_3ELS4_3ELNS0_20block_scan_algorithmE0ELj4294967295EEENS1_25partition_config_selectorILNS1_17partition_subalgoE4EjNS0_10empty_typeEbEEZZNS1_14partition_implILS8_4ELb0ES6_15HIP_vector_typeIjLj2EENS0_17counting_iteratorIjlEEPS9_SG_NS0_5tupleIJPjSI_NS0_16reverse_iteratorISI_EEEEENSH_IJSG_SG_SG_EEES9_SI_JZNS1_25segmented_radix_sort_implINS0_14default_configELb1EPK12hip_bfloat16PSP_PKlPlN2at6native12_GLOBAL__N_18offset_tEEE10hipError_tPvRmT1_PNSt15iterator_traitsIS13_E10value_typeET2_T3_PNS14_IS19_E10value_typeET4_jRbjT5_S1F_jjP12ihipStream_tbEUljE_ZNSN_ISO_Lb1ESR_SS_SU_SV_SZ_EES10_S11_S12_S13_S17_S18_S19_S1C_S1D_jS1E_jS1F_S1F_jjS1H_bEUljE0_EEES10_S11_S12_S19_S1D_S1F_T6_T7_T9_mT8_S1H_bDpT10_ENKUlT_T0_E_clISt17integral_constantIbLb1EES1U_IbLb0EEEEDaS1Q_S1R_EUlS1Q_E_NS1_11comp_targetILNS1_3genE3ELNS1_11target_archE908ELNS1_3gpuE7ELNS1_3repE0EEENS1_30default_config_static_selectorELNS0_4arch9wavefront6targetE0EEEvS13_.kd
    .uniform_work_group_size: 1
    .uses_dynamic_stack: false
    .vgpr_count:     0
    .vgpr_spill_count: 0
    .wavefront_size: 32
    .workgroup_processor_mode: 1
  - .args:
      - .offset:         0
        .size:           176
        .value_kind:     by_value
    .group_segment_fixed_size: 0
    .kernarg_segment_align: 8
    .kernarg_segment_size: 176
    .language:       OpenCL C
    .language_version:
      - 2
      - 0
    .max_flat_workgroup_size: 256
    .name:           _ZN7rocprim17ROCPRIM_400000_NS6detail17trampoline_kernelINS0_13select_configILj256ELj13ELNS0_17block_load_methodE3ELS4_3ELS4_3ELNS0_20block_scan_algorithmE0ELj4294967295EEENS1_25partition_config_selectorILNS1_17partition_subalgoE4EjNS0_10empty_typeEbEEZZNS1_14partition_implILS8_4ELb0ES6_15HIP_vector_typeIjLj2EENS0_17counting_iteratorIjlEEPS9_SG_NS0_5tupleIJPjSI_NS0_16reverse_iteratorISI_EEEEENSH_IJSG_SG_SG_EEES9_SI_JZNS1_25segmented_radix_sort_implINS0_14default_configELb1EPK12hip_bfloat16PSP_PKlPlN2at6native12_GLOBAL__N_18offset_tEEE10hipError_tPvRmT1_PNSt15iterator_traitsIS13_E10value_typeET2_T3_PNS14_IS19_E10value_typeET4_jRbjT5_S1F_jjP12ihipStream_tbEUljE_ZNSN_ISO_Lb1ESR_SS_SU_SV_SZ_EES10_S11_S12_S13_S17_S18_S19_S1C_S1D_jS1E_jS1F_S1F_jjS1H_bEUljE0_EEES10_S11_S12_S19_S1D_S1F_T6_T7_T9_mT8_S1H_bDpT10_ENKUlT_T0_E_clISt17integral_constantIbLb1EES1U_IbLb0EEEEDaS1Q_S1R_EUlS1Q_E_NS1_11comp_targetILNS1_3genE2ELNS1_11target_archE906ELNS1_3gpuE6ELNS1_3repE0EEENS1_30default_config_static_selectorELNS0_4arch9wavefront6targetE0EEEvS13_
    .private_segment_fixed_size: 0
    .sgpr_count:     0
    .sgpr_spill_count: 0
    .symbol:         _ZN7rocprim17ROCPRIM_400000_NS6detail17trampoline_kernelINS0_13select_configILj256ELj13ELNS0_17block_load_methodE3ELS4_3ELS4_3ELNS0_20block_scan_algorithmE0ELj4294967295EEENS1_25partition_config_selectorILNS1_17partition_subalgoE4EjNS0_10empty_typeEbEEZZNS1_14partition_implILS8_4ELb0ES6_15HIP_vector_typeIjLj2EENS0_17counting_iteratorIjlEEPS9_SG_NS0_5tupleIJPjSI_NS0_16reverse_iteratorISI_EEEEENSH_IJSG_SG_SG_EEES9_SI_JZNS1_25segmented_radix_sort_implINS0_14default_configELb1EPK12hip_bfloat16PSP_PKlPlN2at6native12_GLOBAL__N_18offset_tEEE10hipError_tPvRmT1_PNSt15iterator_traitsIS13_E10value_typeET2_T3_PNS14_IS19_E10value_typeET4_jRbjT5_S1F_jjP12ihipStream_tbEUljE_ZNSN_ISO_Lb1ESR_SS_SU_SV_SZ_EES10_S11_S12_S13_S17_S18_S19_S1C_S1D_jS1E_jS1F_S1F_jjS1H_bEUljE0_EEES10_S11_S12_S19_S1D_S1F_T6_T7_T9_mT8_S1H_bDpT10_ENKUlT_T0_E_clISt17integral_constantIbLb1EES1U_IbLb0EEEEDaS1Q_S1R_EUlS1Q_E_NS1_11comp_targetILNS1_3genE2ELNS1_11target_archE906ELNS1_3gpuE6ELNS1_3repE0EEENS1_30default_config_static_selectorELNS0_4arch9wavefront6targetE0EEEvS13_.kd
    .uniform_work_group_size: 1
    .uses_dynamic_stack: false
    .vgpr_count:     0
    .vgpr_spill_count: 0
    .wavefront_size: 32
    .workgroup_processor_mode: 1
  - .args:
      - .offset:         0
        .size:           176
        .value_kind:     by_value
    .group_segment_fixed_size: 0
    .kernarg_segment_align: 8
    .kernarg_segment_size: 176
    .language:       OpenCL C
    .language_version:
      - 2
      - 0
    .max_flat_workgroup_size: 256
    .name:           _ZN7rocprim17ROCPRIM_400000_NS6detail17trampoline_kernelINS0_13select_configILj256ELj13ELNS0_17block_load_methodE3ELS4_3ELS4_3ELNS0_20block_scan_algorithmE0ELj4294967295EEENS1_25partition_config_selectorILNS1_17partition_subalgoE4EjNS0_10empty_typeEbEEZZNS1_14partition_implILS8_4ELb0ES6_15HIP_vector_typeIjLj2EENS0_17counting_iteratorIjlEEPS9_SG_NS0_5tupleIJPjSI_NS0_16reverse_iteratorISI_EEEEENSH_IJSG_SG_SG_EEES9_SI_JZNS1_25segmented_radix_sort_implINS0_14default_configELb1EPK12hip_bfloat16PSP_PKlPlN2at6native12_GLOBAL__N_18offset_tEEE10hipError_tPvRmT1_PNSt15iterator_traitsIS13_E10value_typeET2_T3_PNS14_IS19_E10value_typeET4_jRbjT5_S1F_jjP12ihipStream_tbEUljE_ZNSN_ISO_Lb1ESR_SS_SU_SV_SZ_EES10_S11_S12_S13_S17_S18_S19_S1C_S1D_jS1E_jS1F_S1F_jjS1H_bEUljE0_EEES10_S11_S12_S19_S1D_S1F_T6_T7_T9_mT8_S1H_bDpT10_ENKUlT_T0_E_clISt17integral_constantIbLb1EES1U_IbLb0EEEEDaS1Q_S1R_EUlS1Q_E_NS1_11comp_targetILNS1_3genE10ELNS1_11target_archE1200ELNS1_3gpuE4ELNS1_3repE0EEENS1_30default_config_static_selectorELNS0_4arch9wavefront6targetE0EEEvS13_
    .private_segment_fixed_size: 0
    .sgpr_count:     0
    .sgpr_spill_count: 0
    .symbol:         _ZN7rocprim17ROCPRIM_400000_NS6detail17trampoline_kernelINS0_13select_configILj256ELj13ELNS0_17block_load_methodE3ELS4_3ELS4_3ELNS0_20block_scan_algorithmE0ELj4294967295EEENS1_25partition_config_selectorILNS1_17partition_subalgoE4EjNS0_10empty_typeEbEEZZNS1_14partition_implILS8_4ELb0ES6_15HIP_vector_typeIjLj2EENS0_17counting_iteratorIjlEEPS9_SG_NS0_5tupleIJPjSI_NS0_16reverse_iteratorISI_EEEEENSH_IJSG_SG_SG_EEES9_SI_JZNS1_25segmented_radix_sort_implINS0_14default_configELb1EPK12hip_bfloat16PSP_PKlPlN2at6native12_GLOBAL__N_18offset_tEEE10hipError_tPvRmT1_PNSt15iterator_traitsIS13_E10value_typeET2_T3_PNS14_IS19_E10value_typeET4_jRbjT5_S1F_jjP12ihipStream_tbEUljE_ZNSN_ISO_Lb1ESR_SS_SU_SV_SZ_EES10_S11_S12_S13_S17_S18_S19_S1C_S1D_jS1E_jS1F_S1F_jjS1H_bEUljE0_EEES10_S11_S12_S19_S1D_S1F_T6_T7_T9_mT8_S1H_bDpT10_ENKUlT_T0_E_clISt17integral_constantIbLb1EES1U_IbLb0EEEEDaS1Q_S1R_EUlS1Q_E_NS1_11comp_targetILNS1_3genE10ELNS1_11target_archE1200ELNS1_3gpuE4ELNS1_3repE0EEENS1_30default_config_static_selectorELNS0_4arch9wavefront6targetE0EEEvS13_.kd
    .uniform_work_group_size: 1
    .uses_dynamic_stack: false
    .vgpr_count:     0
    .vgpr_spill_count: 0
    .wavefront_size: 32
    .workgroup_processor_mode: 1
  - .args:
      - .offset:         0
        .size:           176
        .value_kind:     by_value
    .group_segment_fixed_size: 0
    .kernarg_segment_align: 8
    .kernarg_segment_size: 176
    .language:       OpenCL C
    .language_version:
      - 2
      - 0
    .max_flat_workgroup_size: 256
    .name:           _ZN7rocprim17ROCPRIM_400000_NS6detail17trampoline_kernelINS0_13select_configILj256ELj13ELNS0_17block_load_methodE3ELS4_3ELS4_3ELNS0_20block_scan_algorithmE0ELj4294967295EEENS1_25partition_config_selectorILNS1_17partition_subalgoE4EjNS0_10empty_typeEbEEZZNS1_14partition_implILS8_4ELb0ES6_15HIP_vector_typeIjLj2EENS0_17counting_iteratorIjlEEPS9_SG_NS0_5tupleIJPjSI_NS0_16reverse_iteratorISI_EEEEENSH_IJSG_SG_SG_EEES9_SI_JZNS1_25segmented_radix_sort_implINS0_14default_configELb1EPK12hip_bfloat16PSP_PKlPlN2at6native12_GLOBAL__N_18offset_tEEE10hipError_tPvRmT1_PNSt15iterator_traitsIS13_E10value_typeET2_T3_PNS14_IS19_E10value_typeET4_jRbjT5_S1F_jjP12ihipStream_tbEUljE_ZNSN_ISO_Lb1ESR_SS_SU_SV_SZ_EES10_S11_S12_S13_S17_S18_S19_S1C_S1D_jS1E_jS1F_S1F_jjS1H_bEUljE0_EEES10_S11_S12_S19_S1D_S1F_T6_T7_T9_mT8_S1H_bDpT10_ENKUlT_T0_E_clISt17integral_constantIbLb1EES1U_IbLb0EEEEDaS1Q_S1R_EUlS1Q_E_NS1_11comp_targetILNS1_3genE9ELNS1_11target_archE1100ELNS1_3gpuE3ELNS1_3repE0EEENS1_30default_config_static_selectorELNS0_4arch9wavefront6targetE0EEEvS13_
    .private_segment_fixed_size: 0
    .sgpr_count:     0
    .sgpr_spill_count: 0
    .symbol:         _ZN7rocprim17ROCPRIM_400000_NS6detail17trampoline_kernelINS0_13select_configILj256ELj13ELNS0_17block_load_methodE3ELS4_3ELS4_3ELNS0_20block_scan_algorithmE0ELj4294967295EEENS1_25partition_config_selectorILNS1_17partition_subalgoE4EjNS0_10empty_typeEbEEZZNS1_14partition_implILS8_4ELb0ES6_15HIP_vector_typeIjLj2EENS0_17counting_iteratorIjlEEPS9_SG_NS0_5tupleIJPjSI_NS0_16reverse_iteratorISI_EEEEENSH_IJSG_SG_SG_EEES9_SI_JZNS1_25segmented_radix_sort_implINS0_14default_configELb1EPK12hip_bfloat16PSP_PKlPlN2at6native12_GLOBAL__N_18offset_tEEE10hipError_tPvRmT1_PNSt15iterator_traitsIS13_E10value_typeET2_T3_PNS14_IS19_E10value_typeET4_jRbjT5_S1F_jjP12ihipStream_tbEUljE_ZNSN_ISO_Lb1ESR_SS_SU_SV_SZ_EES10_S11_S12_S13_S17_S18_S19_S1C_S1D_jS1E_jS1F_S1F_jjS1H_bEUljE0_EEES10_S11_S12_S19_S1D_S1F_T6_T7_T9_mT8_S1H_bDpT10_ENKUlT_T0_E_clISt17integral_constantIbLb1EES1U_IbLb0EEEEDaS1Q_S1R_EUlS1Q_E_NS1_11comp_targetILNS1_3genE9ELNS1_11target_archE1100ELNS1_3gpuE3ELNS1_3repE0EEENS1_30default_config_static_selectorELNS0_4arch9wavefront6targetE0EEEvS13_.kd
    .uniform_work_group_size: 1
    .uses_dynamic_stack: false
    .vgpr_count:     0
    .vgpr_spill_count: 0
    .wavefront_size: 32
    .workgroup_processor_mode: 1
  - .args:
      - .offset:         0
        .size:           176
        .value_kind:     by_value
    .group_segment_fixed_size: 0
    .kernarg_segment_align: 8
    .kernarg_segment_size: 176
    .language:       OpenCL C
    .language_version:
      - 2
      - 0
    .max_flat_workgroup_size: 256
    .name:           _ZN7rocprim17ROCPRIM_400000_NS6detail17trampoline_kernelINS0_13select_configILj256ELj13ELNS0_17block_load_methodE3ELS4_3ELS4_3ELNS0_20block_scan_algorithmE0ELj4294967295EEENS1_25partition_config_selectorILNS1_17partition_subalgoE4EjNS0_10empty_typeEbEEZZNS1_14partition_implILS8_4ELb0ES6_15HIP_vector_typeIjLj2EENS0_17counting_iteratorIjlEEPS9_SG_NS0_5tupleIJPjSI_NS0_16reverse_iteratorISI_EEEEENSH_IJSG_SG_SG_EEES9_SI_JZNS1_25segmented_radix_sort_implINS0_14default_configELb1EPK12hip_bfloat16PSP_PKlPlN2at6native12_GLOBAL__N_18offset_tEEE10hipError_tPvRmT1_PNSt15iterator_traitsIS13_E10value_typeET2_T3_PNS14_IS19_E10value_typeET4_jRbjT5_S1F_jjP12ihipStream_tbEUljE_ZNSN_ISO_Lb1ESR_SS_SU_SV_SZ_EES10_S11_S12_S13_S17_S18_S19_S1C_S1D_jS1E_jS1F_S1F_jjS1H_bEUljE0_EEES10_S11_S12_S19_S1D_S1F_T6_T7_T9_mT8_S1H_bDpT10_ENKUlT_T0_E_clISt17integral_constantIbLb1EES1U_IbLb0EEEEDaS1Q_S1R_EUlS1Q_E_NS1_11comp_targetILNS1_3genE8ELNS1_11target_archE1030ELNS1_3gpuE2ELNS1_3repE0EEENS1_30default_config_static_selectorELNS0_4arch9wavefront6targetE0EEEvS13_
    .private_segment_fixed_size: 0
    .sgpr_count:     0
    .sgpr_spill_count: 0
    .symbol:         _ZN7rocprim17ROCPRIM_400000_NS6detail17trampoline_kernelINS0_13select_configILj256ELj13ELNS0_17block_load_methodE3ELS4_3ELS4_3ELNS0_20block_scan_algorithmE0ELj4294967295EEENS1_25partition_config_selectorILNS1_17partition_subalgoE4EjNS0_10empty_typeEbEEZZNS1_14partition_implILS8_4ELb0ES6_15HIP_vector_typeIjLj2EENS0_17counting_iteratorIjlEEPS9_SG_NS0_5tupleIJPjSI_NS0_16reverse_iteratorISI_EEEEENSH_IJSG_SG_SG_EEES9_SI_JZNS1_25segmented_radix_sort_implINS0_14default_configELb1EPK12hip_bfloat16PSP_PKlPlN2at6native12_GLOBAL__N_18offset_tEEE10hipError_tPvRmT1_PNSt15iterator_traitsIS13_E10value_typeET2_T3_PNS14_IS19_E10value_typeET4_jRbjT5_S1F_jjP12ihipStream_tbEUljE_ZNSN_ISO_Lb1ESR_SS_SU_SV_SZ_EES10_S11_S12_S13_S17_S18_S19_S1C_S1D_jS1E_jS1F_S1F_jjS1H_bEUljE0_EEES10_S11_S12_S19_S1D_S1F_T6_T7_T9_mT8_S1H_bDpT10_ENKUlT_T0_E_clISt17integral_constantIbLb1EES1U_IbLb0EEEEDaS1Q_S1R_EUlS1Q_E_NS1_11comp_targetILNS1_3genE8ELNS1_11target_archE1030ELNS1_3gpuE2ELNS1_3repE0EEENS1_30default_config_static_selectorELNS0_4arch9wavefront6targetE0EEEvS13_.kd
    .uniform_work_group_size: 1
    .uses_dynamic_stack: false
    .vgpr_count:     0
    .vgpr_spill_count: 0
    .wavefront_size: 32
    .workgroup_processor_mode: 1
  - .args:
      - .offset:         0
        .size:           184
        .value_kind:     by_value
    .group_segment_fixed_size: 0
    .kernarg_segment_align: 8
    .kernarg_segment_size: 184
    .language:       OpenCL C
    .language_version:
      - 2
      - 0
    .max_flat_workgroup_size: 256
    .name:           _ZN7rocprim17ROCPRIM_400000_NS6detail17trampoline_kernelINS0_13select_configILj256ELj13ELNS0_17block_load_methodE3ELS4_3ELS4_3ELNS0_20block_scan_algorithmE0ELj4294967295EEENS1_25partition_config_selectorILNS1_17partition_subalgoE4EjNS0_10empty_typeEbEEZZNS1_14partition_implILS8_4ELb0ES6_15HIP_vector_typeIjLj2EENS0_17counting_iteratorIjlEEPS9_SG_NS0_5tupleIJPjSI_NS0_16reverse_iteratorISI_EEEEENSH_IJSG_SG_SG_EEES9_SI_JZNS1_25segmented_radix_sort_implINS0_14default_configELb1EPK12hip_bfloat16PSP_PKlPlN2at6native12_GLOBAL__N_18offset_tEEE10hipError_tPvRmT1_PNSt15iterator_traitsIS13_E10value_typeET2_T3_PNS14_IS19_E10value_typeET4_jRbjT5_S1F_jjP12ihipStream_tbEUljE_ZNSN_ISO_Lb1ESR_SS_SU_SV_SZ_EES10_S11_S12_S13_S17_S18_S19_S1C_S1D_jS1E_jS1F_S1F_jjS1H_bEUljE0_EEES10_S11_S12_S19_S1D_S1F_T6_T7_T9_mT8_S1H_bDpT10_ENKUlT_T0_E_clISt17integral_constantIbLb0EES1U_IbLb1EEEEDaS1Q_S1R_EUlS1Q_E_NS1_11comp_targetILNS1_3genE0ELNS1_11target_archE4294967295ELNS1_3gpuE0ELNS1_3repE0EEENS1_30default_config_static_selectorELNS0_4arch9wavefront6targetE0EEEvS13_
    .private_segment_fixed_size: 0
    .sgpr_count:     0
    .sgpr_spill_count: 0
    .symbol:         _ZN7rocprim17ROCPRIM_400000_NS6detail17trampoline_kernelINS0_13select_configILj256ELj13ELNS0_17block_load_methodE3ELS4_3ELS4_3ELNS0_20block_scan_algorithmE0ELj4294967295EEENS1_25partition_config_selectorILNS1_17partition_subalgoE4EjNS0_10empty_typeEbEEZZNS1_14partition_implILS8_4ELb0ES6_15HIP_vector_typeIjLj2EENS0_17counting_iteratorIjlEEPS9_SG_NS0_5tupleIJPjSI_NS0_16reverse_iteratorISI_EEEEENSH_IJSG_SG_SG_EEES9_SI_JZNS1_25segmented_radix_sort_implINS0_14default_configELb1EPK12hip_bfloat16PSP_PKlPlN2at6native12_GLOBAL__N_18offset_tEEE10hipError_tPvRmT1_PNSt15iterator_traitsIS13_E10value_typeET2_T3_PNS14_IS19_E10value_typeET4_jRbjT5_S1F_jjP12ihipStream_tbEUljE_ZNSN_ISO_Lb1ESR_SS_SU_SV_SZ_EES10_S11_S12_S13_S17_S18_S19_S1C_S1D_jS1E_jS1F_S1F_jjS1H_bEUljE0_EEES10_S11_S12_S19_S1D_S1F_T6_T7_T9_mT8_S1H_bDpT10_ENKUlT_T0_E_clISt17integral_constantIbLb0EES1U_IbLb1EEEEDaS1Q_S1R_EUlS1Q_E_NS1_11comp_targetILNS1_3genE0ELNS1_11target_archE4294967295ELNS1_3gpuE0ELNS1_3repE0EEENS1_30default_config_static_selectorELNS0_4arch9wavefront6targetE0EEEvS13_.kd
    .uniform_work_group_size: 1
    .uses_dynamic_stack: false
    .vgpr_count:     0
    .vgpr_spill_count: 0
    .wavefront_size: 32
    .workgroup_processor_mode: 1
  - .args:
      - .offset:         0
        .size:           184
        .value_kind:     by_value
    .group_segment_fixed_size: 0
    .kernarg_segment_align: 8
    .kernarg_segment_size: 184
    .language:       OpenCL C
    .language_version:
      - 2
      - 0
    .max_flat_workgroup_size: 256
    .name:           _ZN7rocprim17ROCPRIM_400000_NS6detail17trampoline_kernelINS0_13select_configILj256ELj13ELNS0_17block_load_methodE3ELS4_3ELS4_3ELNS0_20block_scan_algorithmE0ELj4294967295EEENS1_25partition_config_selectorILNS1_17partition_subalgoE4EjNS0_10empty_typeEbEEZZNS1_14partition_implILS8_4ELb0ES6_15HIP_vector_typeIjLj2EENS0_17counting_iteratorIjlEEPS9_SG_NS0_5tupleIJPjSI_NS0_16reverse_iteratorISI_EEEEENSH_IJSG_SG_SG_EEES9_SI_JZNS1_25segmented_radix_sort_implINS0_14default_configELb1EPK12hip_bfloat16PSP_PKlPlN2at6native12_GLOBAL__N_18offset_tEEE10hipError_tPvRmT1_PNSt15iterator_traitsIS13_E10value_typeET2_T3_PNS14_IS19_E10value_typeET4_jRbjT5_S1F_jjP12ihipStream_tbEUljE_ZNSN_ISO_Lb1ESR_SS_SU_SV_SZ_EES10_S11_S12_S13_S17_S18_S19_S1C_S1D_jS1E_jS1F_S1F_jjS1H_bEUljE0_EEES10_S11_S12_S19_S1D_S1F_T6_T7_T9_mT8_S1H_bDpT10_ENKUlT_T0_E_clISt17integral_constantIbLb0EES1U_IbLb1EEEEDaS1Q_S1R_EUlS1Q_E_NS1_11comp_targetILNS1_3genE5ELNS1_11target_archE942ELNS1_3gpuE9ELNS1_3repE0EEENS1_30default_config_static_selectorELNS0_4arch9wavefront6targetE0EEEvS13_
    .private_segment_fixed_size: 0
    .sgpr_count:     0
    .sgpr_spill_count: 0
    .symbol:         _ZN7rocprim17ROCPRIM_400000_NS6detail17trampoline_kernelINS0_13select_configILj256ELj13ELNS0_17block_load_methodE3ELS4_3ELS4_3ELNS0_20block_scan_algorithmE0ELj4294967295EEENS1_25partition_config_selectorILNS1_17partition_subalgoE4EjNS0_10empty_typeEbEEZZNS1_14partition_implILS8_4ELb0ES6_15HIP_vector_typeIjLj2EENS0_17counting_iteratorIjlEEPS9_SG_NS0_5tupleIJPjSI_NS0_16reverse_iteratorISI_EEEEENSH_IJSG_SG_SG_EEES9_SI_JZNS1_25segmented_radix_sort_implINS0_14default_configELb1EPK12hip_bfloat16PSP_PKlPlN2at6native12_GLOBAL__N_18offset_tEEE10hipError_tPvRmT1_PNSt15iterator_traitsIS13_E10value_typeET2_T3_PNS14_IS19_E10value_typeET4_jRbjT5_S1F_jjP12ihipStream_tbEUljE_ZNSN_ISO_Lb1ESR_SS_SU_SV_SZ_EES10_S11_S12_S13_S17_S18_S19_S1C_S1D_jS1E_jS1F_S1F_jjS1H_bEUljE0_EEES10_S11_S12_S19_S1D_S1F_T6_T7_T9_mT8_S1H_bDpT10_ENKUlT_T0_E_clISt17integral_constantIbLb0EES1U_IbLb1EEEEDaS1Q_S1R_EUlS1Q_E_NS1_11comp_targetILNS1_3genE5ELNS1_11target_archE942ELNS1_3gpuE9ELNS1_3repE0EEENS1_30default_config_static_selectorELNS0_4arch9wavefront6targetE0EEEvS13_.kd
    .uniform_work_group_size: 1
    .uses_dynamic_stack: false
    .vgpr_count:     0
    .vgpr_spill_count: 0
    .wavefront_size: 32
    .workgroup_processor_mode: 1
  - .args:
      - .offset:         0
        .size:           184
        .value_kind:     by_value
    .group_segment_fixed_size: 0
    .kernarg_segment_align: 8
    .kernarg_segment_size: 184
    .language:       OpenCL C
    .language_version:
      - 2
      - 0
    .max_flat_workgroup_size: 256
    .name:           _ZN7rocprim17ROCPRIM_400000_NS6detail17trampoline_kernelINS0_13select_configILj256ELj13ELNS0_17block_load_methodE3ELS4_3ELS4_3ELNS0_20block_scan_algorithmE0ELj4294967295EEENS1_25partition_config_selectorILNS1_17partition_subalgoE4EjNS0_10empty_typeEbEEZZNS1_14partition_implILS8_4ELb0ES6_15HIP_vector_typeIjLj2EENS0_17counting_iteratorIjlEEPS9_SG_NS0_5tupleIJPjSI_NS0_16reverse_iteratorISI_EEEEENSH_IJSG_SG_SG_EEES9_SI_JZNS1_25segmented_radix_sort_implINS0_14default_configELb1EPK12hip_bfloat16PSP_PKlPlN2at6native12_GLOBAL__N_18offset_tEEE10hipError_tPvRmT1_PNSt15iterator_traitsIS13_E10value_typeET2_T3_PNS14_IS19_E10value_typeET4_jRbjT5_S1F_jjP12ihipStream_tbEUljE_ZNSN_ISO_Lb1ESR_SS_SU_SV_SZ_EES10_S11_S12_S13_S17_S18_S19_S1C_S1D_jS1E_jS1F_S1F_jjS1H_bEUljE0_EEES10_S11_S12_S19_S1D_S1F_T6_T7_T9_mT8_S1H_bDpT10_ENKUlT_T0_E_clISt17integral_constantIbLb0EES1U_IbLb1EEEEDaS1Q_S1R_EUlS1Q_E_NS1_11comp_targetILNS1_3genE4ELNS1_11target_archE910ELNS1_3gpuE8ELNS1_3repE0EEENS1_30default_config_static_selectorELNS0_4arch9wavefront6targetE0EEEvS13_
    .private_segment_fixed_size: 0
    .sgpr_count:     0
    .sgpr_spill_count: 0
    .symbol:         _ZN7rocprim17ROCPRIM_400000_NS6detail17trampoline_kernelINS0_13select_configILj256ELj13ELNS0_17block_load_methodE3ELS4_3ELS4_3ELNS0_20block_scan_algorithmE0ELj4294967295EEENS1_25partition_config_selectorILNS1_17partition_subalgoE4EjNS0_10empty_typeEbEEZZNS1_14partition_implILS8_4ELb0ES6_15HIP_vector_typeIjLj2EENS0_17counting_iteratorIjlEEPS9_SG_NS0_5tupleIJPjSI_NS0_16reverse_iteratorISI_EEEEENSH_IJSG_SG_SG_EEES9_SI_JZNS1_25segmented_radix_sort_implINS0_14default_configELb1EPK12hip_bfloat16PSP_PKlPlN2at6native12_GLOBAL__N_18offset_tEEE10hipError_tPvRmT1_PNSt15iterator_traitsIS13_E10value_typeET2_T3_PNS14_IS19_E10value_typeET4_jRbjT5_S1F_jjP12ihipStream_tbEUljE_ZNSN_ISO_Lb1ESR_SS_SU_SV_SZ_EES10_S11_S12_S13_S17_S18_S19_S1C_S1D_jS1E_jS1F_S1F_jjS1H_bEUljE0_EEES10_S11_S12_S19_S1D_S1F_T6_T7_T9_mT8_S1H_bDpT10_ENKUlT_T0_E_clISt17integral_constantIbLb0EES1U_IbLb1EEEEDaS1Q_S1R_EUlS1Q_E_NS1_11comp_targetILNS1_3genE4ELNS1_11target_archE910ELNS1_3gpuE8ELNS1_3repE0EEENS1_30default_config_static_selectorELNS0_4arch9wavefront6targetE0EEEvS13_.kd
    .uniform_work_group_size: 1
    .uses_dynamic_stack: false
    .vgpr_count:     0
    .vgpr_spill_count: 0
    .wavefront_size: 32
    .workgroup_processor_mode: 1
  - .args:
      - .offset:         0
        .size:           184
        .value_kind:     by_value
    .group_segment_fixed_size: 0
    .kernarg_segment_align: 8
    .kernarg_segment_size: 184
    .language:       OpenCL C
    .language_version:
      - 2
      - 0
    .max_flat_workgroup_size: 256
    .name:           _ZN7rocprim17ROCPRIM_400000_NS6detail17trampoline_kernelINS0_13select_configILj256ELj13ELNS0_17block_load_methodE3ELS4_3ELS4_3ELNS0_20block_scan_algorithmE0ELj4294967295EEENS1_25partition_config_selectorILNS1_17partition_subalgoE4EjNS0_10empty_typeEbEEZZNS1_14partition_implILS8_4ELb0ES6_15HIP_vector_typeIjLj2EENS0_17counting_iteratorIjlEEPS9_SG_NS0_5tupleIJPjSI_NS0_16reverse_iteratorISI_EEEEENSH_IJSG_SG_SG_EEES9_SI_JZNS1_25segmented_radix_sort_implINS0_14default_configELb1EPK12hip_bfloat16PSP_PKlPlN2at6native12_GLOBAL__N_18offset_tEEE10hipError_tPvRmT1_PNSt15iterator_traitsIS13_E10value_typeET2_T3_PNS14_IS19_E10value_typeET4_jRbjT5_S1F_jjP12ihipStream_tbEUljE_ZNSN_ISO_Lb1ESR_SS_SU_SV_SZ_EES10_S11_S12_S13_S17_S18_S19_S1C_S1D_jS1E_jS1F_S1F_jjS1H_bEUljE0_EEES10_S11_S12_S19_S1D_S1F_T6_T7_T9_mT8_S1H_bDpT10_ENKUlT_T0_E_clISt17integral_constantIbLb0EES1U_IbLb1EEEEDaS1Q_S1R_EUlS1Q_E_NS1_11comp_targetILNS1_3genE3ELNS1_11target_archE908ELNS1_3gpuE7ELNS1_3repE0EEENS1_30default_config_static_selectorELNS0_4arch9wavefront6targetE0EEEvS13_
    .private_segment_fixed_size: 0
    .sgpr_count:     0
    .sgpr_spill_count: 0
    .symbol:         _ZN7rocprim17ROCPRIM_400000_NS6detail17trampoline_kernelINS0_13select_configILj256ELj13ELNS0_17block_load_methodE3ELS4_3ELS4_3ELNS0_20block_scan_algorithmE0ELj4294967295EEENS1_25partition_config_selectorILNS1_17partition_subalgoE4EjNS0_10empty_typeEbEEZZNS1_14partition_implILS8_4ELb0ES6_15HIP_vector_typeIjLj2EENS0_17counting_iteratorIjlEEPS9_SG_NS0_5tupleIJPjSI_NS0_16reverse_iteratorISI_EEEEENSH_IJSG_SG_SG_EEES9_SI_JZNS1_25segmented_radix_sort_implINS0_14default_configELb1EPK12hip_bfloat16PSP_PKlPlN2at6native12_GLOBAL__N_18offset_tEEE10hipError_tPvRmT1_PNSt15iterator_traitsIS13_E10value_typeET2_T3_PNS14_IS19_E10value_typeET4_jRbjT5_S1F_jjP12ihipStream_tbEUljE_ZNSN_ISO_Lb1ESR_SS_SU_SV_SZ_EES10_S11_S12_S13_S17_S18_S19_S1C_S1D_jS1E_jS1F_S1F_jjS1H_bEUljE0_EEES10_S11_S12_S19_S1D_S1F_T6_T7_T9_mT8_S1H_bDpT10_ENKUlT_T0_E_clISt17integral_constantIbLb0EES1U_IbLb1EEEEDaS1Q_S1R_EUlS1Q_E_NS1_11comp_targetILNS1_3genE3ELNS1_11target_archE908ELNS1_3gpuE7ELNS1_3repE0EEENS1_30default_config_static_selectorELNS0_4arch9wavefront6targetE0EEEvS13_.kd
    .uniform_work_group_size: 1
    .uses_dynamic_stack: false
    .vgpr_count:     0
    .vgpr_spill_count: 0
    .wavefront_size: 32
    .workgroup_processor_mode: 1
  - .args:
      - .offset:         0
        .size:           184
        .value_kind:     by_value
    .group_segment_fixed_size: 0
    .kernarg_segment_align: 8
    .kernarg_segment_size: 184
    .language:       OpenCL C
    .language_version:
      - 2
      - 0
    .max_flat_workgroup_size: 256
    .name:           _ZN7rocprim17ROCPRIM_400000_NS6detail17trampoline_kernelINS0_13select_configILj256ELj13ELNS0_17block_load_methodE3ELS4_3ELS4_3ELNS0_20block_scan_algorithmE0ELj4294967295EEENS1_25partition_config_selectorILNS1_17partition_subalgoE4EjNS0_10empty_typeEbEEZZNS1_14partition_implILS8_4ELb0ES6_15HIP_vector_typeIjLj2EENS0_17counting_iteratorIjlEEPS9_SG_NS0_5tupleIJPjSI_NS0_16reverse_iteratorISI_EEEEENSH_IJSG_SG_SG_EEES9_SI_JZNS1_25segmented_radix_sort_implINS0_14default_configELb1EPK12hip_bfloat16PSP_PKlPlN2at6native12_GLOBAL__N_18offset_tEEE10hipError_tPvRmT1_PNSt15iterator_traitsIS13_E10value_typeET2_T3_PNS14_IS19_E10value_typeET4_jRbjT5_S1F_jjP12ihipStream_tbEUljE_ZNSN_ISO_Lb1ESR_SS_SU_SV_SZ_EES10_S11_S12_S13_S17_S18_S19_S1C_S1D_jS1E_jS1F_S1F_jjS1H_bEUljE0_EEES10_S11_S12_S19_S1D_S1F_T6_T7_T9_mT8_S1H_bDpT10_ENKUlT_T0_E_clISt17integral_constantIbLb0EES1U_IbLb1EEEEDaS1Q_S1R_EUlS1Q_E_NS1_11comp_targetILNS1_3genE2ELNS1_11target_archE906ELNS1_3gpuE6ELNS1_3repE0EEENS1_30default_config_static_selectorELNS0_4arch9wavefront6targetE0EEEvS13_
    .private_segment_fixed_size: 0
    .sgpr_count:     0
    .sgpr_spill_count: 0
    .symbol:         _ZN7rocprim17ROCPRIM_400000_NS6detail17trampoline_kernelINS0_13select_configILj256ELj13ELNS0_17block_load_methodE3ELS4_3ELS4_3ELNS0_20block_scan_algorithmE0ELj4294967295EEENS1_25partition_config_selectorILNS1_17partition_subalgoE4EjNS0_10empty_typeEbEEZZNS1_14partition_implILS8_4ELb0ES6_15HIP_vector_typeIjLj2EENS0_17counting_iteratorIjlEEPS9_SG_NS0_5tupleIJPjSI_NS0_16reverse_iteratorISI_EEEEENSH_IJSG_SG_SG_EEES9_SI_JZNS1_25segmented_radix_sort_implINS0_14default_configELb1EPK12hip_bfloat16PSP_PKlPlN2at6native12_GLOBAL__N_18offset_tEEE10hipError_tPvRmT1_PNSt15iterator_traitsIS13_E10value_typeET2_T3_PNS14_IS19_E10value_typeET4_jRbjT5_S1F_jjP12ihipStream_tbEUljE_ZNSN_ISO_Lb1ESR_SS_SU_SV_SZ_EES10_S11_S12_S13_S17_S18_S19_S1C_S1D_jS1E_jS1F_S1F_jjS1H_bEUljE0_EEES10_S11_S12_S19_S1D_S1F_T6_T7_T9_mT8_S1H_bDpT10_ENKUlT_T0_E_clISt17integral_constantIbLb0EES1U_IbLb1EEEEDaS1Q_S1R_EUlS1Q_E_NS1_11comp_targetILNS1_3genE2ELNS1_11target_archE906ELNS1_3gpuE6ELNS1_3repE0EEENS1_30default_config_static_selectorELNS0_4arch9wavefront6targetE0EEEvS13_.kd
    .uniform_work_group_size: 1
    .uses_dynamic_stack: false
    .vgpr_count:     0
    .vgpr_spill_count: 0
    .wavefront_size: 32
    .workgroup_processor_mode: 1
  - .args:
      - .offset:         0
        .size:           184
        .value_kind:     by_value
    .group_segment_fixed_size: 0
    .kernarg_segment_align: 8
    .kernarg_segment_size: 184
    .language:       OpenCL C
    .language_version:
      - 2
      - 0
    .max_flat_workgroup_size: 256
    .name:           _ZN7rocprim17ROCPRIM_400000_NS6detail17trampoline_kernelINS0_13select_configILj256ELj13ELNS0_17block_load_methodE3ELS4_3ELS4_3ELNS0_20block_scan_algorithmE0ELj4294967295EEENS1_25partition_config_selectorILNS1_17partition_subalgoE4EjNS0_10empty_typeEbEEZZNS1_14partition_implILS8_4ELb0ES6_15HIP_vector_typeIjLj2EENS0_17counting_iteratorIjlEEPS9_SG_NS0_5tupleIJPjSI_NS0_16reverse_iteratorISI_EEEEENSH_IJSG_SG_SG_EEES9_SI_JZNS1_25segmented_radix_sort_implINS0_14default_configELb1EPK12hip_bfloat16PSP_PKlPlN2at6native12_GLOBAL__N_18offset_tEEE10hipError_tPvRmT1_PNSt15iterator_traitsIS13_E10value_typeET2_T3_PNS14_IS19_E10value_typeET4_jRbjT5_S1F_jjP12ihipStream_tbEUljE_ZNSN_ISO_Lb1ESR_SS_SU_SV_SZ_EES10_S11_S12_S13_S17_S18_S19_S1C_S1D_jS1E_jS1F_S1F_jjS1H_bEUljE0_EEES10_S11_S12_S19_S1D_S1F_T6_T7_T9_mT8_S1H_bDpT10_ENKUlT_T0_E_clISt17integral_constantIbLb0EES1U_IbLb1EEEEDaS1Q_S1R_EUlS1Q_E_NS1_11comp_targetILNS1_3genE10ELNS1_11target_archE1200ELNS1_3gpuE4ELNS1_3repE0EEENS1_30default_config_static_selectorELNS0_4arch9wavefront6targetE0EEEvS13_
    .private_segment_fixed_size: 0
    .sgpr_count:     0
    .sgpr_spill_count: 0
    .symbol:         _ZN7rocprim17ROCPRIM_400000_NS6detail17trampoline_kernelINS0_13select_configILj256ELj13ELNS0_17block_load_methodE3ELS4_3ELS4_3ELNS0_20block_scan_algorithmE0ELj4294967295EEENS1_25partition_config_selectorILNS1_17partition_subalgoE4EjNS0_10empty_typeEbEEZZNS1_14partition_implILS8_4ELb0ES6_15HIP_vector_typeIjLj2EENS0_17counting_iteratorIjlEEPS9_SG_NS0_5tupleIJPjSI_NS0_16reverse_iteratorISI_EEEEENSH_IJSG_SG_SG_EEES9_SI_JZNS1_25segmented_radix_sort_implINS0_14default_configELb1EPK12hip_bfloat16PSP_PKlPlN2at6native12_GLOBAL__N_18offset_tEEE10hipError_tPvRmT1_PNSt15iterator_traitsIS13_E10value_typeET2_T3_PNS14_IS19_E10value_typeET4_jRbjT5_S1F_jjP12ihipStream_tbEUljE_ZNSN_ISO_Lb1ESR_SS_SU_SV_SZ_EES10_S11_S12_S13_S17_S18_S19_S1C_S1D_jS1E_jS1F_S1F_jjS1H_bEUljE0_EEES10_S11_S12_S19_S1D_S1F_T6_T7_T9_mT8_S1H_bDpT10_ENKUlT_T0_E_clISt17integral_constantIbLb0EES1U_IbLb1EEEEDaS1Q_S1R_EUlS1Q_E_NS1_11comp_targetILNS1_3genE10ELNS1_11target_archE1200ELNS1_3gpuE4ELNS1_3repE0EEENS1_30default_config_static_selectorELNS0_4arch9wavefront6targetE0EEEvS13_.kd
    .uniform_work_group_size: 1
    .uses_dynamic_stack: false
    .vgpr_count:     0
    .vgpr_spill_count: 0
    .wavefront_size: 32
    .workgroup_processor_mode: 1
  - .args:
      - .offset:         0
        .size:           184
        .value_kind:     by_value
    .group_segment_fixed_size: 0
    .kernarg_segment_align: 8
    .kernarg_segment_size: 184
    .language:       OpenCL C
    .language_version:
      - 2
      - 0
    .max_flat_workgroup_size: 256
    .name:           _ZN7rocprim17ROCPRIM_400000_NS6detail17trampoline_kernelINS0_13select_configILj256ELj13ELNS0_17block_load_methodE3ELS4_3ELS4_3ELNS0_20block_scan_algorithmE0ELj4294967295EEENS1_25partition_config_selectorILNS1_17partition_subalgoE4EjNS0_10empty_typeEbEEZZNS1_14partition_implILS8_4ELb0ES6_15HIP_vector_typeIjLj2EENS0_17counting_iteratorIjlEEPS9_SG_NS0_5tupleIJPjSI_NS0_16reverse_iteratorISI_EEEEENSH_IJSG_SG_SG_EEES9_SI_JZNS1_25segmented_radix_sort_implINS0_14default_configELb1EPK12hip_bfloat16PSP_PKlPlN2at6native12_GLOBAL__N_18offset_tEEE10hipError_tPvRmT1_PNSt15iterator_traitsIS13_E10value_typeET2_T3_PNS14_IS19_E10value_typeET4_jRbjT5_S1F_jjP12ihipStream_tbEUljE_ZNSN_ISO_Lb1ESR_SS_SU_SV_SZ_EES10_S11_S12_S13_S17_S18_S19_S1C_S1D_jS1E_jS1F_S1F_jjS1H_bEUljE0_EEES10_S11_S12_S19_S1D_S1F_T6_T7_T9_mT8_S1H_bDpT10_ENKUlT_T0_E_clISt17integral_constantIbLb0EES1U_IbLb1EEEEDaS1Q_S1R_EUlS1Q_E_NS1_11comp_targetILNS1_3genE9ELNS1_11target_archE1100ELNS1_3gpuE3ELNS1_3repE0EEENS1_30default_config_static_selectorELNS0_4arch9wavefront6targetE0EEEvS13_
    .private_segment_fixed_size: 0
    .sgpr_count:     0
    .sgpr_spill_count: 0
    .symbol:         _ZN7rocprim17ROCPRIM_400000_NS6detail17trampoline_kernelINS0_13select_configILj256ELj13ELNS0_17block_load_methodE3ELS4_3ELS4_3ELNS0_20block_scan_algorithmE0ELj4294967295EEENS1_25partition_config_selectorILNS1_17partition_subalgoE4EjNS0_10empty_typeEbEEZZNS1_14partition_implILS8_4ELb0ES6_15HIP_vector_typeIjLj2EENS0_17counting_iteratorIjlEEPS9_SG_NS0_5tupleIJPjSI_NS0_16reverse_iteratorISI_EEEEENSH_IJSG_SG_SG_EEES9_SI_JZNS1_25segmented_radix_sort_implINS0_14default_configELb1EPK12hip_bfloat16PSP_PKlPlN2at6native12_GLOBAL__N_18offset_tEEE10hipError_tPvRmT1_PNSt15iterator_traitsIS13_E10value_typeET2_T3_PNS14_IS19_E10value_typeET4_jRbjT5_S1F_jjP12ihipStream_tbEUljE_ZNSN_ISO_Lb1ESR_SS_SU_SV_SZ_EES10_S11_S12_S13_S17_S18_S19_S1C_S1D_jS1E_jS1F_S1F_jjS1H_bEUljE0_EEES10_S11_S12_S19_S1D_S1F_T6_T7_T9_mT8_S1H_bDpT10_ENKUlT_T0_E_clISt17integral_constantIbLb0EES1U_IbLb1EEEEDaS1Q_S1R_EUlS1Q_E_NS1_11comp_targetILNS1_3genE9ELNS1_11target_archE1100ELNS1_3gpuE3ELNS1_3repE0EEENS1_30default_config_static_selectorELNS0_4arch9wavefront6targetE0EEEvS13_.kd
    .uniform_work_group_size: 1
    .uses_dynamic_stack: false
    .vgpr_count:     0
    .vgpr_spill_count: 0
    .wavefront_size: 32
    .workgroup_processor_mode: 1
  - .args:
      - .offset:         0
        .size:           184
        .value_kind:     by_value
    .group_segment_fixed_size: 13328
    .kernarg_segment_align: 8
    .kernarg_segment_size: 184
    .language:       OpenCL C
    .language_version:
      - 2
      - 0
    .max_flat_workgroup_size: 256
    .name:           _ZN7rocprim17ROCPRIM_400000_NS6detail17trampoline_kernelINS0_13select_configILj256ELj13ELNS0_17block_load_methodE3ELS4_3ELS4_3ELNS0_20block_scan_algorithmE0ELj4294967295EEENS1_25partition_config_selectorILNS1_17partition_subalgoE4EjNS0_10empty_typeEbEEZZNS1_14partition_implILS8_4ELb0ES6_15HIP_vector_typeIjLj2EENS0_17counting_iteratorIjlEEPS9_SG_NS0_5tupleIJPjSI_NS0_16reverse_iteratorISI_EEEEENSH_IJSG_SG_SG_EEES9_SI_JZNS1_25segmented_radix_sort_implINS0_14default_configELb1EPK12hip_bfloat16PSP_PKlPlN2at6native12_GLOBAL__N_18offset_tEEE10hipError_tPvRmT1_PNSt15iterator_traitsIS13_E10value_typeET2_T3_PNS14_IS19_E10value_typeET4_jRbjT5_S1F_jjP12ihipStream_tbEUljE_ZNSN_ISO_Lb1ESR_SS_SU_SV_SZ_EES10_S11_S12_S13_S17_S18_S19_S1C_S1D_jS1E_jS1F_S1F_jjS1H_bEUljE0_EEES10_S11_S12_S19_S1D_S1F_T6_T7_T9_mT8_S1H_bDpT10_ENKUlT_T0_E_clISt17integral_constantIbLb0EES1U_IbLb1EEEEDaS1Q_S1R_EUlS1Q_E_NS1_11comp_targetILNS1_3genE8ELNS1_11target_archE1030ELNS1_3gpuE2ELNS1_3repE0EEENS1_30default_config_static_selectorELNS0_4arch9wavefront6targetE0EEEvS13_
    .private_segment_fixed_size: 0
    .sgpr_count:     57
    .sgpr_spill_count: 0
    .symbol:         _ZN7rocprim17ROCPRIM_400000_NS6detail17trampoline_kernelINS0_13select_configILj256ELj13ELNS0_17block_load_methodE3ELS4_3ELS4_3ELNS0_20block_scan_algorithmE0ELj4294967295EEENS1_25partition_config_selectorILNS1_17partition_subalgoE4EjNS0_10empty_typeEbEEZZNS1_14partition_implILS8_4ELb0ES6_15HIP_vector_typeIjLj2EENS0_17counting_iteratorIjlEEPS9_SG_NS0_5tupleIJPjSI_NS0_16reverse_iteratorISI_EEEEENSH_IJSG_SG_SG_EEES9_SI_JZNS1_25segmented_radix_sort_implINS0_14default_configELb1EPK12hip_bfloat16PSP_PKlPlN2at6native12_GLOBAL__N_18offset_tEEE10hipError_tPvRmT1_PNSt15iterator_traitsIS13_E10value_typeET2_T3_PNS14_IS19_E10value_typeET4_jRbjT5_S1F_jjP12ihipStream_tbEUljE_ZNSN_ISO_Lb1ESR_SS_SU_SV_SZ_EES10_S11_S12_S13_S17_S18_S19_S1C_S1D_jS1E_jS1F_S1F_jjS1H_bEUljE0_EEES10_S11_S12_S19_S1D_S1F_T6_T7_T9_mT8_S1H_bDpT10_ENKUlT_T0_E_clISt17integral_constantIbLb0EES1U_IbLb1EEEEDaS1Q_S1R_EUlS1Q_E_NS1_11comp_targetILNS1_3genE8ELNS1_11target_archE1030ELNS1_3gpuE2ELNS1_3repE0EEENS1_30default_config_static_selectorELNS0_4arch9wavefront6targetE0EEEvS13_.kd
    .uniform_work_group_size: 1
    .uses_dynamic_stack: false
    .vgpr_count:     87
    .vgpr_spill_count: 0
    .wavefront_size: 32
    .workgroup_processor_mode: 1
  - .args:
      - .offset:         0
        .size:           144
        .value_kind:     by_value
    .group_segment_fixed_size: 0
    .kernarg_segment_align: 8
    .kernarg_segment_size: 144
    .language:       OpenCL C
    .language_version:
      - 2
      - 0
    .max_flat_workgroup_size: 256
    .name:           _ZN7rocprim17ROCPRIM_400000_NS6detail17trampoline_kernelINS0_13select_configILj256ELj13ELNS0_17block_load_methodE3ELS4_3ELS4_3ELNS0_20block_scan_algorithmE0ELj4294967295EEENS1_25partition_config_selectorILNS1_17partition_subalgoE3EjNS0_10empty_typeEbEEZZNS1_14partition_implILS8_3ELb0ES6_jNS0_17counting_iteratorIjlEEPS9_SE_NS0_5tupleIJPjSE_EEENSF_IJSE_SE_EEES9_SG_JZNS1_25segmented_radix_sort_implINS0_14default_configELb1EPK12hip_bfloat16PSL_PKlPlN2at6native12_GLOBAL__N_18offset_tEEE10hipError_tPvRmT1_PNSt15iterator_traitsISZ_E10value_typeET2_T3_PNS10_IS15_E10value_typeET4_jRbjT5_S1B_jjP12ihipStream_tbEUljE_EEESW_SX_SY_S15_S19_S1B_T6_T7_T9_mT8_S1D_bDpT10_ENKUlT_T0_E_clISt17integral_constantIbLb0EES1Q_EEDaS1L_S1M_EUlS1L_E_NS1_11comp_targetILNS1_3genE0ELNS1_11target_archE4294967295ELNS1_3gpuE0ELNS1_3repE0EEENS1_30default_config_static_selectorELNS0_4arch9wavefront6targetE0EEEvSZ_
    .private_segment_fixed_size: 0
    .sgpr_count:     0
    .sgpr_spill_count: 0
    .symbol:         _ZN7rocprim17ROCPRIM_400000_NS6detail17trampoline_kernelINS0_13select_configILj256ELj13ELNS0_17block_load_methodE3ELS4_3ELS4_3ELNS0_20block_scan_algorithmE0ELj4294967295EEENS1_25partition_config_selectorILNS1_17partition_subalgoE3EjNS0_10empty_typeEbEEZZNS1_14partition_implILS8_3ELb0ES6_jNS0_17counting_iteratorIjlEEPS9_SE_NS0_5tupleIJPjSE_EEENSF_IJSE_SE_EEES9_SG_JZNS1_25segmented_radix_sort_implINS0_14default_configELb1EPK12hip_bfloat16PSL_PKlPlN2at6native12_GLOBAL__N_18offset_tEEE10hipError_tPvRmT1_PNSt15iterator_traitsISZ_E10value_typeET2_T3_PNS10_IS15_E10value_typeET4_jRbjT5_S1B_jjP12ihipStream_tbEUljE_EEESW_SX_SY_S15_S19_S1B_T6_T7_T9_mT8_S1D_bDpT10_ENKUlT_T0_E_clISt17integral_constantIbLb0EES1Q_EEDaS1L_S1M_EUlS1L_E_NS1_11comp_targetILNS1_3genE0ELNS1_11target_archE4294967295ELNS1_3gpuE0ELNS1_3repE0EEENS1_30default_config_static_selectorELNS0_4arch9wavefront6targetE0EEEvSZ_.kd
    .uniform_work_group_size: 1
    .uses_dynamic_stack: false
    .vgpr_count:     0
    .vgpr_spill_count: 0
    .wavefront_size: 32
    .workgroup_processor_mode: 1
  - .args:
      - .offset:         0
        .size:           144
        .value_kind:     by_value
    .group_segment_fixed_size: 0
    .kernarg_segment_align: 8
    .kernarg_segment_size: 144
    .language:       OpenCL C
    .language_version:
      - 2
      - 0
    .max_flat_workgroup_size: 256
    .name:           _ZN7rocprim17ROCPRIM_400000_NS6detail17trampoline_kernelINS0_13select_configILj256ELj13ELNS0_17block_load_methodE3ELS4_3ELS4_3ELNS0_20block_scan_algorithmE0ELj4294967295EEENS1_25partition_config_selectorILNS1_17partition_subalgoE3EjNS0_10empty_typeEbEEZZNS1_14partition_implILS8_3ELb0ES6_jNS0_17counting_iteratorIjlEEPS9_SE_NS0_5tupleIJPjSE_EEENSF_IJSE_SE_EEES9_SG_JZNS1_25segmented_radix_sort_implINS0_14default_configELb1EPK12hip_bfloat16PSL_PKlPlN2at6native12_GLOBAL__N_18offset_tEEE10hipError_tPvRmT1_PNSt15iterator_traitsISZ_E10value_typeET2_T3_PNS10_IS15_E10value_typeET4_jRbjT5_S1B_jjP12ihipStream_tbEUljE_EEESW_SX_SY_S15_S19_S1B_T6_T7_T9_mT8_S1D_bDpT10_ENKUlT_T0_E_clISt17integral_constantIbLb0EES1Q_EEDaS1L_S1M_EUlS1L_E_NS1_11comp_targetILNS1_3genE5ELNS1_11target_archE942ELNS1_3gpuE9ELNS1_3repE0EEENS1_30default_config_static_selectorELNS0_4arch9wavefront6targetE0EEEvSZ_
    .private_segment_fixed_size: 0
    .sgpr_count:     0
    .sgpr_spill_count: 0
    .symbol:         _ZN7rocprim17ROCPRIM_400000_NS6detail17trampoline_kernelINS0_13select_configILj256ELj13ELNS0_17block_load_methodE3ELS4_3ELS4_3ELNS0_20block_scan_algorithmE0ELj4294967295EEENS1_25partition_config_selectorILNS1_17partition_subalgoE3EjNS0_10empty_typeEbEEZZNS1_14partition_implILS8_3ELb0ES6_jNS0_17counting_iteratorIjlEEPS9_SE_NS0_5tupleIJPjSE_EEENSF_IJSE_SE_EEES9_SG_JZNS1_25segmented_radix_sort_implINS0_14default_configELb1EPK12hip_bfloat16PSL_PKlPlN2at6native12_GLOBAL__N_18offset_tEEE10hipError_tPvRmT1_PNSt15iterator_traitsISZ_E10value_typeET2_T3_PNS10_IS15_E10value_typeET4_jRbjT5_S1B_jjP12ihipStream_tbEUljE_EEESW_SX_SY_S15_S19_S1B_T6_T7_T9_mT8_S1D_bDpT10_ENKUlT_T0_E_clISt17integral_constantIbLb0EES1Q_EEDaS1L_S1M_EUlS1L_E_NS1_11comp_targetILNS1_3genE5ELNS1_11target_archE942ELNS1_3gpuE9ELNS1_3repE0EEENS1_30default_config_static_selectorELNS0_4arch9wavefront6targetE0EEEvSZ_.kd
    .uniform_work_group_size: 1
    .uses_dynamic_stack: false
    .vgpr_count:     0
    .vgpr_spill_count: 0
    .wavefront_size: 32
    .workgroup_processor_mode: 1
  - .args:
      - .offset:         0
        .size:           144
        .value_kind:     by_value
    .group_segment_fixed_size: 0
    .kernarg_segment_align: 8
    .kernarg_segment_size: 144
    .language:       OpenCL C
    .language_version:
      - 2
      - 0
    .max_flat_workgroup_size: 256
    .name:           _ZN7rocprim17ROCPRIM_400000_NS6detail17trampoline_kernelINS0_13select_configILj256ELj13ELNS0_17block_load_methodE3ELS4_3ELS4_3ELNS0_20block_scan_algorithmE0ELj4294967295EEENS1_25partition_config_selectorILNS1_17partition_subalgoE3EjNS0_10empty_typeEbEEZZNS1_14partition_implILS8_3ELb0ES6_jNS0_17counting_iteratorIjlEEPS9_SE_NS0_5tupleIJPjSE_EEENSF_IJSE_SE_EEES9_SG_JZNS1_25segmented_radix_sort_implINS0_14default_configELb1EPK12hip_bfloat16PSL_PKlPlN2at6native12_GLOBAL__N_18offset_tEEE10hipError_tPvRmT1_PNSt15iterator_traitsISZ_E10value_typeET2_T3_PNS10_IS15_E10value_typeET4_jRbjT5_S1B_jjP12ihipStream_tbEUljE_EEESW_SX_SY_S15_S19_S1B_T6_T7_T9_mT8_S1D_bDpT10_ENKUlT_T0_E_clISt17integral_constantIbLb0EES1Q_EEDaS1L_S1M_EUlS1L_E_NS1_11comp_targetILNS1_3genE4ELNS1_11target_archE910ELNS1_3gpuE8ELNS1_3repE0EEENS1_30default_config_static_selectorELNS0_4arch9wavefront6targetE0EEEvSZ_
    .private_segment_fixed_size: 0
    .sgpr_count:     0
    .sgpr_spill_count: 0
    .symbol:         _ZN7rocprim17ROCPRIM_400000_NS6detail17trampoline_kernelINS0_13select_configILj256ELj13ELNS0_17block_load_methodE3ELS4_3ELS4_3ELNS0_20block_scan_algorithmE0ELj4294967295EEENS1_25partition_config_selectorILNS1_17partition_subalgoE3EjNS0_10empty_typeEbEEZZNS1_14partition_implILS8_3ELb0ES6_jNS0_17counting_iteratorIjlEEPS9_SE_NS0_5tupleIJPjSE_EEENSF_IJSE_SE_EEES9_SG_JZNS1_25segmented_radix_sort_implINS0_14default_configELb1EPK12hip_bfloat16PSL_PKlPlN2at6native12_GLOBAL__N_18offset_tEEE10hipError_tPvRmT1_PNSt15iterator_traitsISZ_E10value_typeET2_T3_PNS10_IS15_E10value_typeET4_jRbjT5_S1B_jjP12ihipStream_tbEUljE_EEESW_SX_SY_S15_S19_S1B_T6_T7_T9_mT8_S1D_bDpT10_ENKUlT_T0_E_clISt17integral_constantIbLb0EES1Q_EEDaS1L_S1M_EUlS1L_E_NS1_11comp_targetILNS1_3genE4ELNS1_11target_archE910ELNS1_3gpuE8ELNS1_3repE0EEENS1_30default_config_static_selectorELNS0_4arch9wavefront6targetE0EEEvSZ_.kd
    .uniform_work_group_size: 1
    .uses_dynamic_stack: false
    .vgpr_count:     0
    .vgpr_spill_count: 0
    .wavefront_size: 32
    .workgroup_processor_mode: 1
  - .args:
      - .offset:         0
        .size:           144
        .value_kind:     by_value
    .group_segment_fixed_size: 0
    .kernarg_segment_align: 8
    .kernarg_segment_size: 144
    .language:       OpenCL C
    .language_version:
      - 2
      - 0
    .max_flat_workgroup_size: 256
    .name:           _ZN7rocprim17ROCPRIM_400000_NS6detail17trampoline_kernelINS0_13select_configILj256ELj13ELNS0_17block_load_methodE3ELS4_3ELS4_3ELNS0_20block_scan_algorithmE0ELj4294967295EEENS1_25partition_config_selectorILNS1_17partition_subalgoE3EjNS0_10empty_typeEbEEZZNS1_14partition_implILS8_3ELb0ES6_jNS0_17counting_iteratorIjlEEPS9_SE_NS0_5tupleIJPjSE_EEENSF_IJSE_SE_EEES9_SG_JZNS1_25segmented_radix_sort_implINS0_14default_configELb1EPK12hip_bfloat16PSL_PKlPlN2at6native12_GLOBAL__N_18offset_tEEE10hipError_tPvRmT1_PNSt15iterator_traitsISZ_E10value_typeET2_T3_PNS10_IS15_E10value_typeET4_jRbjT5_S1B_jjP12ihipStream_tbEUljE_EEESW_SX_SY_S15_S19_S1B_T6_T7_T9_mT8_S1D_bDpT10_ENKUlT_T0_E_clISt17integral_constantIbLb0EES1Q_EEDaS1L_S1M_EUlS1L_E_NS1_11comp_targetILNS1_3genE3ELNS1_11target_archE908ELNS1_3gpuE7ELNS1_3repE0EEENS1_30default_config_static_selectorELNS0_4arch9wavefront6targetE0EEEvSZ_
    .private_segment_fixed_size: 0
    .sgpr_count:     0
    .sgpr_spill_count: 0
    .symbol:         _ZN7rocprim17ROCPRIM_400000_NS6detail17trampoline_kernelINS0_13select_configILj256ELj13ELNS0_17block_load_methodE3ELS4_3ELS4_3ELNS0_20block_scan_algorithmE0ELj4294967295EEENS1_25partition_config_selectorILNS1_17partition_subalgoE3EjNS0_10empty_typeEbEEZZNS1_14partition_implILS8_3ELb0ES6_jNS0_17counting_iteratorIjlEEPS9_SE_NS0_5tupleIJPjSE_EEENSF_IJSE_SE_EEES9_SG_JZNS1_25segmented_radix_sort_implINS0_14default_configELb1EPK12hip_bfloat16PSL_PKlPlN2at6native12_GLOBAL__N_18offset_tEEE10hipError_tPvRmT1_PNSt15iterator_traitsISZ_E10value_typeET2_T3_PNS10_IS15_E10value_typeET4_jRbjT5_S1B_jjP12ihipStream_tbEUljE_EEESW_SX_SY_S15_S19_S1B_T6_T7_T9_mT8_S1D_bDpT10_ENKUlT_T0_E_clISt17integral_constantIbLb0EES1Q_EEDaS1L_S1M_EUlS1L_E_NS1_11comp_targetILNS1_3genE3ELNS1_11target_archE908ELNS1_3gpuE7ELNS1_3repE0EEENS1_30default_config_static_selectorELNS0_4arch9wavefront6targetE0EEEvSZ_.kd
    .uniform_work_group_size: 1
    .uses_dynamic_stack: false
    .vgpr_count:     0
    .vgpr_spill_count: 0
    .wavefront_size: 32
    .workgroup_processor_mode: 1
  - .args:
      - .offset:         0
        .size:           144
        .value_kind:     by_value
    .group_segment_fixed_size: 0
    .kernarg_segment_align: 8
    .kernarg_segment_size: 144
    .language:       OpenCL C
    .language_version:
      - 2
      - 0
    .max_flat_workgroup_size: 256
    .name:           _ZN7rocprim17ROCPRIM_400000_NS6detail17trampoline_kernelINS0_13select_configILj256ELj13ELNS0_17block_load_methodE3ELS4_3ELS4_3ELNS0_20block_scan_algorithmE0ELj4294967295EEENS1_25partition_config_selectorILNS1_17partition_subalgoE3EjNS0_10empty_typeEbEEZZNS1_14partition_implILS8_3ELb0ES6_jNS0_17counting_iteratorIjlEEPS9_SE_NS0_5tupleIJPjSE_EEENSF_IJSE_SE_EEES9_SG_JZNS1_25segmented_radix_sort_implINS0_14default_configELb1EPK12hip_bfloat16PSL_PKlPlN2at6native12_GLOBAL__N_18offset_tEEE10hipError_tPvRmT1_PNSt15iterator_traitsISZ_E10value_typeET2_T3_PNS10_IS15_E10value_typeET4_jRbjT5_S1B_jjP12ihipStream_tbEUljE_EEESW_SX_SY_S15_S19_S1B_T6_T7_T9_mT8_S1D_bDpT10_ENKUlT_T0_E_clISt17integral_constantIbLb0EES1Q_EEDaS1L_S1M_EUlS1L_E_NS1_11comp_targetILNS1_3genE2ELNS1_11target_archE906ELNS1_3gpuE6ELNS1_3repE0EEENS1_30default_config_static_selectorELNS0_4arch9wavefront6targetE0EEEvSZ_
    .private_segment_fixed_size: 0
    .sgpr_count:     0
    .sgpr_spill_count: 0
    .symbol:         _ZN7rocprim17ROCPRIM_400000_NS6detail17trampoline_kernelINS0_13select_configILj256ELj13ELNS0_17block_load_methodE3ELS4_3ELS4_3ELNS0_20block_scan_algorithmE0ELj4294967295EEENS1_25partition_config_selectorILNS1_17partition_subalgoE3EjNS0_10empty_typeEbEEZZNS1_14partition_implILS8_3ELb0ES6_jNS0_17counting_iteratorIjlEEPS9_SE_NS0_5tupleIJPjSE_EEENSF_IJSE_SE_EEES9_SG_JZNS1_25segmented_radix_sort_implINS0_14default_configELb1EPK12hip_bfloat16PSL_PKlPlN2at6native12_GLOBAL__N_18offset_tEEE10hipError_tPvRmT1_PNSt15iterator_traitsISZ_E10value_typeET2_T3_PNS10_IS15_E10value_typeET4_jRbjT5_S1B_jjP12ihipStream_tbEUljE_EEESW_SX_SY_S15_S19_S1B_T6_T7_T9_mT8_S1D_bDpT10_ENKUlT_T0_E_clISt17integral_constantIbLb0EES1Q_EEDaS1L_S1M_EUlS1L_E_NS1_11comp_targetILNS1_3genE2ELNS1_11target_archE906ELNS1_3gpuE6ELNS1_3repE0EEENS1_30default_config_static_selectorELNS0_4arch9wavefront6targetE0EEEvSZ_.kd
    .uniform_work_group_size: 1
    .uses_dynamic_stack: false
    .vgpr_count:     0
    .vgpr_spill_count: 0
    .wavefront_size: 32
    .workgroup_processor_mode: 1
  - .args:
      - .offset:         0
        .size:           144
        .value_kind:     by_value
    .group_segment_fixed_size: 0
    .kernarg_segment_align: 8
    .kernarg_segment_size: 144
    .language:       OpenCL C
    .language_version:
      - 2
      - 0
    .max_flat_workgroup_size: 256
    .name:           _ZN7rocprim17ROCPRIM_400000_NS6detail17trampoline_kernelINS0_13select_configILj256ELj13ELNS0_17block_load_methodE3ELS4_3ELS4_3ELNS0_20block_scan_algorithmE0ELj4294967295EEENS1_25partition_config_selectorILNS1_17partition_subalgoE3EjNS0_10empty_typeEbEEZZNS1_14partition_implILS8_3ELb0ES6_jNS0_17counting_iteratorIjlEEPS9_SE_NS0_5tupleIJPjSE_EEENSF_IJSE_SE_EEES9_SG_JZNS1_25segmented_radix_sort_implINS0_14default_configELb1EPK12hip_bfloat16PSL_PKlPlN2at6native12_GLOBAL__N_18offset_tEEE10hipError_tPvRmT1_PNSt15iterator_traitsISZ_E10value_typeET2_T3_PNS10_IS15_E10value_typeET4_jRbjT5_S1B_jjP12ihipStream_tbEUljE_EEESW_SX_SY_S15_S19_S1B_T6_T7_T9_mT8_S1D_bDpT10_ENKUlT_T0_E_clISt17integral_constantIbLb0EES1Q_EEDaS1L_S1M_EUlS1L_E_NS1_11comp_targetILNS1_3genE10ELNS1_11target_archE1200ELNS1_3gpuE4ELNS1_3repE0EEENS1_30default_config_static_selectorELNS0_4arch9wavefront6targetE0EEEvSZ_
    .private_segment_fixed_size: 0
    .sgpr_count:     0
    .sgpr_spill_count: 0
    .symbol:         _ZN7rocprim17ROCPRIM_400000_NS6detail17trampoline_kernelINS0_13select_configILj256ELj13ELNS0_17block_load_methodE3ELS4_3ELS4_3ELNS0_20block_scan_algorithmE0ELj4294967295EEENS1_25partition_config_selectorILNS1_17partition_subalgoE3EjNS0_10empty_typeEbEEZZNS1_14partition_implILS8_3ELb0ES6_jNS0_17counting_iteratorIjlEEPS9_SE_NS0_5tupleIJPjSE_EEENSF_IJSE_SE_EEES9_SG_JZNS1_25segmented_radix_sort_implINS0_14default_configELb1EPK12hip_bfloat16PSL_PKlPlN2at6native12_GLOBAL__N_18offset_tEEE10hipError_tPvRmT1_PNSt15iterator_traitsISZ_E10value_typeET2_T3_PNS10_IS15_E10value_typeET4_jRbjT5_S1B_jjP12ihipStream_tbEUljE_EEESW_SX_SY_S15_S19_S1B_T6_T7_T9_mT8_S1D_bDpT10_ENKUlT_T0_E_clISt17integral_constantIbLb0EES1Q_EEDaS1L_S1M_EUlS1L_E_NS1_11comp_targetILNS1_3genE10ELNS1_11target_archE1200ELNS1_3gpuE4ELNS1_3repE0EEENS1_30default_config_static_selectorELNS0_4arch9wavefront6targetE0EEEvSZ_.kd
    .uniform_work_group_size: 1
    .uses_dynamic_stack: false
    .vgpr_count:     0
    .vgpr_spill_count: 0
    .wavefront_size: 32
    .workgroup_processor_mode: 1
  - .args:
      - .offset:         0
        .size:           144
        .value_kind:     by_value
    .group_segment_fixed_size: 0
    .kernarg_segment_align: 8
    .kernarg_segment_size: 144
    .language:       OpenCL C
    .language_version:
      - 2
      - 0
    .max_flat_workgroup_size: 256
    .name:           _ZN7rocprim17ROCPRIM_400000_NS6detail17trampoline_kernelINS0_13select_configILj256ELj13ELNS0_17block_load_methodE3ELS4_3ELS4_3ELNS0_20block_scan_algorithmE0ELj4294967295EEENS1_25partition_config_selectorILNS1_17partition_subalgoE3EjNS0_10empty_typeEbEEZZNS1_14partition_implILS8_3ELb0ES6_jNS0_17counting_iteratorIjlEEPS9_SE_NS0_5tupleIJPjSE_EEENSF_IJSE_SE_EEES9_SG_JZNS1_25segmented_radix_sort_implINS0_14default_configELb1EPK12hip_bfloat16PSL_PKlPlN2at6native12_GLOBAL__N_18offset_tEEE10hipError_tPvRmT1_PNSt15iterator_traitsISZ_E10value_typeET2_T3_PNS10_IS15_E10value_typeET4_jRbjT5_S1B_jjP12ihipStream_tbEUljE_EEESW_SX_SY_S15_S19_S1B_T6_T7_T9_mT8_S1D_bDpT10_ENKUlT_T0_E_clISt17integral_constantIbLb0EES1Q_EEDaS1L_S1M_EUlS1L_E_NS1_11comp_targetILNS1_3genE9ELNS1_11target_archE1100ELNS1_3gpuE3ELNS1_3repE0EEENS1_30default_config_static_selectorELNS0_4arch9wavefront6targetE0EEEvSZ_
    .private_segment_fixed_size: 0
    .sgpr_count:     0
    .sgpr_spill_count: 0
    .symbol:         _ZN7rocprim17ROCPRIM_400000_NS6detail17trampoline_kernelINS0_13select_configILj256ELj13ELNS0_17block_load_methodE3ELS4_3ELS4_3ELNS0_20block_scan_algorithmE0ELj4294967295EEENS1_25partition_config_selectorILNS1_17partition_subalgoE3EjNS0_10empty_typeEbEEZZNS1_14partition_implILS8_3ELb0ES6_jNS0_17counting_iteratorIjlEEPS9_SE_NS0_5tupleIJPjSE_EEENSF_IJSE_SE_EEES9_SG_JZNS1_25segmented_radix_sort_implINS0_14default_configELb1EPK12hip_bfloat16PSL_PKlPlN2at6native12_GLOBAL__N_18offset_tEEE10hipError_tPvRmT1_PNSt15iterator_traitsISZ_E10value_typeET2_T3_PNS10_IS15_E10value_typeET4_jRbjT5_S1B_jjP12ihipStream_tbEUljE_EEESW_SX_SY_S15_S19_S1B_T6_T7_T9_mT8_S1D_bDpT10_ENKUlT_T0_E_clISt17integral_constantIbLb0EES1Q_EEDaS1L_S1M_EUlS1L_E_NS1_11comp_targetILNS1_3genE9ELNS1_11target_archE1100ELNS1_3gpuE3ELNS1_3repE0EEENS1_30default_config_static_selectorELNS0_4arch9wavefront6targetE0EEEvSZ_.kd
    .uniform_work_group_size: 1
    .uses_dynamic_stack: false
    .vgpr_count:     0
    .vgpr_spill_count: 0
    .wavefront_size: 32
    .workgroup_processor_mode: 1
  - .args:
      - .offset:         0
        .size:           144
        .value_kind:     by_value
    .group_segment_fixed_size: 13320
    .kernarg_segment_align: 8
    .kernarg_segment_size: 144
    .language:       OpenCL C
    .language_version:
      - 2
      - 0
    .max_flat_workgroup_size: 256
    .name:           _ZN7rocprim17ROCPRIM_400000_NS6detail17trampoline_kernelINS0_13select_configILj256ELj13ELNS0_17block_load_methodE3ELS4_3ELS4_3ELNS0_20block_scan_algorithmE0ELj4294967295EEENS1_25partition_config_selectorILNS1_17partition_subalgoE3EjNS0_10empty_typeEbEEZZNS1_14partition_implILS8_3ELb0ES6_jNS0_17counting_iteratorIjlEEPS9_SE_NS0_5tupleIJPjSE_EEENSF_IJSE_SE_EEES9_SG_JZNS1_25segmented_radix_sort_implINS0_14default_configELb1EPK12hip_bfloat16PSL_PKlPlN2at6native12_GLOBAL__N_18offset_tEEE10hipError_tPvRmT1_PNSt15iterator_traitsISZ_E10value_typeET2_T3_PNS10_IS15_E10value_typeET4_jRbjT5_S1B_jjP12ihipStream_tbEUljE_EEESW_SX_SY_S15_S19_S1B_T6_T7_T9_mT8_S1D_bDpT10_ENKUlT_T0_E_clISt17integral_constantIbLb0EES1Q_EEDaS1L_S1M_EUlS1L_E_NS1_11comp_targetILNS1_3genE8ELNS1_11target_archE1030ELNS1_3gpuE2ELNS1_3repE0EEENS1_30default_config_static_selectorELNS0_4arch9wavefront6targetE0EEEvSZ_
    .private_segment_fixed_size: 0
    .sgpr_count:     29
    .sgpr_spill_count: 0
    .symbol:         _ZN7rocprim17ROCPRIM_400000_NS6detail17trampoline_kernelINS0_13select_configILj256ELj13ELNS0_17block_load_methodE3ELS4_3ELS4_3ELNS0_20block_scan_algorithmE0ELj4294967295EEENS1_25partition_config_selectorILNS1_17partition_subalgoE3EjNS0_10empty_typeEbEEZZNS1_14partition_implILS8_3ELb0ES6_jNS0_17counting_iteratorIjlEEPS9_SE_NS0_5tupleIJPjSE_EEENSF_IJSE_SE_EEES9_SG_JZNS1_25segmented_radix_sort_implINS0_14default_configELb1EPK12hip_bfloat16PSL_PKlPlN2at6native12_GLOBAL__N_18offset_tEEE10hipError_tPvRmT1_PNSt15iterator_traitsISZ_E10value_typeET2_T3_PNS10_IS15_E10value_typeET4_jRbjT5_S1B_jjP12ihipStream_tbEUljE_EEESW_SX_SY_S15_S19_S1B_T6_T7_T9_mT8_S1D_bDpT10_ENKUlT_T0_E_clISt17integral_constantIbLb0EES1Q_EEDaS1L_S1M_EUlS1L_E_NS1_11comp_targetILNS1_3genE8ELNS1_11target_archE1030ELNS1_3gpuE2ELNS1_3repE0EEENS1_30default_config_static_selectorELNS0_4arch9wavefront6targetE0EEEvSZ_.kd
    .uniform_work_group_size: 1
    .uses_dynamic_stack: false
    .vgpr_count:     69
    .vgpr_spill_count: 0
    .wavefront_size: 32
    .workgroup_processor_mode: 1
  - .args:
      - .offset:         0
        .size:           152
        .value_kind:     by_value
    .group_segment_fixed_size: 0
    .kernarg_segment_align: 8
    .kernarg_segment_size: 152
    .language:       OpenCL C
    .language_version:
      - 2
      - 0
    .max_flat_workgroup_size: 256
    .name:           _ZN7rocprim17ROCPRIM_400000_NS6detail17trampoline_kernelINS0_13select_configILj256ELj13ELNS0_17block_load_methodE3ELS4_3ELS4_3ELNS0_20block_scan_algorithmE0ELj4294967295EEENS1_25partition_config_selectorILNS1_17partition_subalgoE3EjNS0_10empty_typeEbEEZZNS1_14partition_implILS8_3ELb0ES6_jNS0_17counting_iteratorIjlEEPS9_SE_NS0_5tupleIJPjSE_EEENSF_IJSE_SE_EEES9_SG_JZNS1_25segmented_radix_sort_implINS0_14default_configELb1EPK12hip_bfloat16PSL_PKlPlN2at6native12_GLOBAL__N_18offset_tEEE10hipError_tPvRmT1_PNSt15iterator_traitsISZ_E10value_typeET2_T3_PNS10_IS15_E10value_typeET4_jRbjT5_S1B_jjP12ihipStream_tbEUljE_EEESW_SX_SY_S15_S19_S1B_T6_T7_T9_mT8_S1D_bDpT10_ENKUlT_T0_E_clISt17integral_constantIbLb1EES1Q_EEDaS1L_S1M_EUlS1L_E_NS1_11comp_targetILNS1_3genE0ELNS1_11target_archE4294967295ELNS1_3gpuE0ELNS1_3repE0EEENS1_30default_config_static_selectorELNS0_4arch9wavefront6targetE0EEEvSZ_
    .private_segment_fixed_size: 0
    .sgpr_count:     0
    .sgpr_spill_count: 0
    .symbol:         _ZN7rocprim17ROCPRIM_400000_NS6detail17trampoline_kernelINS0_13select_configILj256ELj13ELNS0_17block_load_methodE3ELS4_3ELS4_3ELNS0_20block_scan_algorithmE0ELj4294967295EEENS1_25partition_config_selectorILNS1_17partition_subalgoE3EjNS0_10empty_typeEbEEZZNS1_14partition_implILS8_3ELb0ES6_jNS0_17counting_iteratorIjlEEPS9_SE_NS0_5tupleIJPjSE_EEENSF_IJSE_SE_EEES9_SG_JZNS1_25segmented_radix_sort_implINS0_14default_configELb1EPK12hip_bfloat16PSL_PKlPlN2at6native12_GLOBAL__N_18offset_tEEE10hipError_tPvRmT1_PNSt15iterator_traitsISZ_E10value_typeET2_T3_PNS10_IS15_E10value_typeET4_jRbjT5_S1B_jjP12ihipStream_tbEUljE_EEESW_SX_SY_S15_S19_S1B_T6_T7_T9_mT8_S1D_bDpT10_ENKUlT_T0_E_clISt17integral_constantIbLb1EES1Q_EEDaS1L_S1M_EUlS1L_E_NS1_11comp_targetILNS1_3genE0ELNS1_11target_archE4294967295ELNS1_3gpuE0ELNS1_3repE0EEENS1_30default_config_static_selectorELNS0_4arch9wavefront6targetE0EEEvSZ_.kd
    .uniform_work_group_size: 1
    .uses_dynamic_stack: false
    .vgpr_count:     0
    .vgpr_spill_count: 0
    .wavefront_size: 32
    .workgroup_processor_mode: 1
  - .args:
      - .offset:         0
        .size:           152
        .value_kind:     by_value
    .group_segment_fixed_size: 0
    .kernarg_segment_align: 8
    .kernarg_segment_size: 152
    .language:       OpenCL C
    .language_version:
      - 2
      - 0
    .max_flat_workgroup_size: 256
    .name:           _ZN7rocprim17ROCPRIM_400000_NS6detail17trampoline_kernelINS0_13select_configILj256ELj13ELNS0_17block_load_methodE3ELS4_3ELS4_3ELNS0_20block_scan_algorithmE0ELj4294967295EEENS1_25partition_config_selectorILNS1_17partition_subalgoE3EjNS0_10empty_typeEbEEZZNS1_14partition_implILS8_3ELb0ES6_jNS0_17counting_iteratorIjlEEPS9_SE_NS0_5tupleIJPjSE_EEENSF_IJSE_SE_EEES9_SG_JZNS1_25segmented_radix_sort_implINS0_14default_configELb1EPK12hip_bfloat16PSL_PKlPlN2at6native12_GLOBAL__N_18offset_tEEE10hipError_tPvRmT1_PNSt15iterator_traitsISZ_E10value_typeET2_T3_PNS10_IS15_E10value_typeET4_jRbjT5_S1B_jjP12ihipStream_tbEUljE_EEESW_SX_SY_S15_S19_S1B_T6_T7_T9_mT8_S1D_bDpT10_ENKUlT_T0_E_clISt17integral_constantIbLb1EES1Q_EEDaS1L_S1M_EUlS1L_E_NS1_11comp_targetILNS1_3genE5ELNS1_11target_archE942ELNS1_3gpuE9ELNS1_3repE0EEENS1_30default_config_static_selectorELNS0_4arch9wavefront6targetE0EEEvSZ_
    .private_segment_fixed_size: 0
    .sgpr_count:     0
    .sgpr_spill_count: 0
    .symbol:         _ZN7rocprim17ROCPRIM_400000_NS6detail17trampoline_kernelINS0_13select_configILj256ELj13ELNS0_17block_load_methodE3ELS4_3ELS4_3ELNS0_20block_scan_algorithmE0ELj4294967295EEENS1_25partition_config_selectorILNS1_17partition_subalgoE3EjNS0_10empty_typeEbEEZZNS1_14partition_implILS8_3ELb0ES6_jNS0_17counting_iteratorIjlEEPS9_SE_NS0_5tupleIJPjSE_EEENSF_IJSE_SE_EEES9_SG_JZNS1_25segmented_radix_sort_implINS0_14default_configELb1EPK12hip_bfloat16PSL_PKlPlN2at6native12_GLOBAL__N_18offset_tEEE10hipError_tPvRmT1_PNSt15iterator_traitsISZ_E10value_typeET2_T3_PNS10_IS15_E10value_typeET4_jRbjT5_S1B_jjP12ihipStream_tbEUljE_EEESW_SX_SY_S15_S19_S1B_T6_T7_T9_mT8_S1D_bDpT10_ENKUlT_T0_E_clISt17integral_constantIbLb1EES1Q_EEDaS1L_S1M_EUlS1L_E_NS1_11comp_targetILNS1_3genE5ELNS1_11target_archE942ELNS1_3gpuE9ELNS1_3repE0EEENS1_30default_config_static_selectorELNS0_4arch9wavefront6targetE0EEEvSZ_.kd
    .uniform_work_group_size: 1
    .uses_dynamic_stack: false
    .vgpr_count:     0
    .vgpr_spill_count: 0
    .wavefront_size: 32
    .workgroup_processor_mode: 1
  - .args:
      - .offset:         0
        .size:           152
        .value_kind:     by_value
    .group_segment_fixed_size: 0
    .kernarg_segment_align: 8
    .kernarg_segment_size: 152
    .language:       OpenCL C
    .language_version:
      - 2
      - 0
    .max_flat_workgroup_size: 256
    .name:           _ZN7rocprim17ROCPRIM_400000_NS6detail17trampoline_kernelINS0_13select_configILj256ELj13ELNS0_17block_load_methodE3ELS4_3ELS4_3ELNS0_20block_scan_algorithmE0ELj4294967295EEENS1_25partition_config_selectorILNS1_17partition_subalgoE3EjNS0_10empty_typeEbEEZZNS1_14partition_implILS8_3ELb0ES6_jNS0_17counting_iteratorIjlEEPS9_SE_NS0_5tupleIJPjSE_EEENSF_IJSE_SE_EEES9_SG_JZNS1_25segmented_radix_sort_implINS0_14default_configELb1EPK12hip_bfloat16PSL_PKlPlN2at6native12_GLOBAL__N_18offset_tEEE10hipError_tPvRmT1_PNSt15iterator_traitsISZ_E10value_typeET2_T3_PNS10_IS15_E10value_typeET4_jRbjT5_S1B_jjP12ihipStream_tbEUljE_EEESW_SX_SY_S15_S19_S1B_T6_T7_T9_mT8_S1D_bDpT10_ENKUlT_T0_E_clISt17integral_constantIbLb1EES1Q_EEDaS1L_S1M_EUlS1L_E_NS1_11comp_targetILNS1_3genE4ELNS1_11target_archE910ELNS1_3gpuE8ELNS1_3repE0EEENS1_30default_config_static_selectorELNS0_4arch9wavefront6targetE0EEEvSZ_
    .private_segment_fixed_size: 0
    .sgpr_count:     0
    .sgpr_spill_count: 0
    .symbol:         _ZN7rocprim17ROCPRIM_400000_NS6detail17trampoline_kernelINS0_13select_configILj256ELj13ELNS0_17block_load_methodE3ELS4_3ELS4_3ELNS0_20block_scan_algorithmE0ELj4294967295EEENS1_25partition_config_selectorILNS1_17partition_subalgoE3EjNS0_10empty_typeEbEEZZNS1_14partition_implILS8_3ELb0ES6_jNS0_17counting_iteratorIjlEEPS9_SE_NS0_5tupleIJPjSE_EEENSF_IJSE_SE_EEES9_SG_JZNS1_25segmented_radix_sort_implINS0_14default_configELb1EPK12hip_bfloat16PSL_PKlPlN2at6native12_GLOBAL__N_18offset_tEEE10hipError_tPvRmT1_PNSt15iterator_traitsISZ_E10value_typeET2_T3_PNS10_IS15_E10value_typeET4_jRbjT5_S1B_jjP12ihipStream_tbEUljE_EEESW_SX_SY_S15_S19_S1B_T6_T7_T9_mT8_S1D_bDpT10_ENKUlT_T0_E_clISt17integral_constantIbLb1EES1Q_EEDaS1L_S1M_EUlS1L_E_NS1_11comp_targetILNS1_3genE4ELNS1_11target_archE910ELNS1_3gpuE8ELNS1_3repE0EEENS1_30default_config_static_selectorELNS0_4arch9wavefront6targetE0EEEvSZ_.kd
    .uniform_work_group_size: 1
    .uses_dynamic_stack: false
    .vgpr_count:     0
    .vgpr_spill_count: 0
    .wavefront_size: 32
    .workgroup_processor_mode: 1
  - .args:
      - .offset:         0
        .size:           152
        .value_kind:     by_value
    .group_segment_fixed_size: 0
    .kernarg_segment_align: 8
    .kernarg_segment_size: 152
    .language:       OpenCL C
    .language_version:
      - 2
      - 0
    .max_flat_workgroup_size: 256
    .name:           _ZN7rocprim17ROCPRIM_400000_NS6detail17trampoline_kernelINS0_13select_configILj256ELj13ELNS0_17block_load_methodE3ELS4_3ELS4_3ELNS0_20block_scan_algorithmE0ELj4294967295EEENS1_25partition_config_selectorILNS1_17partition_subalgoE3EjNS0_10empty_typeEbEEZZNS1_14partition_implILS8_3ELb0ES6_jNS0_17counting_iteratorIjlEEPS9_SE_NS0_5tupleIJPjSE_EEENSF_IJSE_SE_EEES9_SG_JZNS1_25segmented_radix_sort_implINS0_14default_configELb1EPK12hip_bfloat16PSL_PKlPlN2at6native12_GLOBAL__N_18offset_tEEE10hipError_tPvRmT1_PNSt15iterator_traitsISZ_E10value_typeET2_T3_PNS10_IS15_E10value_typeET4_jRbjT5_S1B_jjP12ihipStream_tbEUljE_EEESW_SX_SY_S15_S19_S1B_T6_T7_T9_mT8_S1D_bDpT10_ENKUlT_T0_E_clISt17integral_constantIbLb1EES1Q_EEDaS1L_S1M_EUlS1L_E_NS1_11comp_targetILNS1_3genE3ELNS1_11target_archE908ELNS1_3gpuE7ELNS1_3repE0EEENS1_30default_config_static_selectorELNS0_4arch9wavefront6targetE0EEEvSZ_
    .private_segment_fixed_size: 0
    .sgpr_count:     0
    .sgpr_spill_count: 0
    .symbol:         _ZN7rocprim17ROCPRIM_400000_NS6detail17trampoline_kernelINS0_13select_configILj256ELj13ELNS0_17block_load_methodE3ELS4_3ELS4_3ELNS0_20block_scan_algorithmE0ELj4294967295EEENS1_25partition_config_selectorILNS1_17partition_subalgoE3EjNS0_10empty_typeEbEEZZNS1_14partition_implILS8_3ELb0ES6_jNS0_17counting_iteratorIjlEEPS9_SE_NS0_5tupleIJPjSE_EEENSF_IJSE_SE_EEES9_SG_JZNS1_25segmented_radix_sort_implINS0_14default_configELb1EPK12hip_bfloat16PSL_PKlPlN2at6native12_GLOBAL__N_18offset_tEEE10hipError_tPvRmT1_PNSt15iterator_traitsISZ_E10value_typeET2_T3_PNS10_IS15_E10value_typeET4_jRbjT5_S1B_jjP12ihipStream_tbEUljE_EEESW_SX_SY_S15_S19_S1B_T6_T7_T9_mT8_S1D_bDpT10_ENKUlT_T0_E_clISt17integral_constantIbLb1EES1Q_EEDaS1L_S1M_EUlS1L_E_NS1_11comp_targetILNS1_3genE3ELNS1_11target_archE908ELNS1_3gpuE7ELNS1_3repE0EEENS1_30default_config_static_selectorELNS0_4arch9wavefront6targetE0EEEvSZ_.kd
    .uniform_work_group_size: 1
    .uses_dynamic_stack: false
    .vgpr_count:     0
    .vgpr_spill_count: 0
    .wavefront_size: 32
    .workgroup_processor_mode: 1
  - .args:
      - .offset:         0
        .size:           152
        .value_kind:     by_value
    .group_segment_fixed_size: 0
    .kernarg_segment_align: 8
    .kernarg_segment_size: 152
    .language:       OpenCL C
    .language_version:
      - 2
      - 0
    .max_flat_workgroup_size: 256
    .name:           _ZN7rocprim17ROCPRIM_400000_NS6detail17trampoline_kernelINS0_13select_configILj256ELj13ELNS0_17block_load_methodE3ELS4_3ELS4_3ELNS0_20block_scan_algorithmE0ELj4294967295EEENS1_25partition_config_selectorILNS1_17partition_subalgoE3EjNS0_10empty_typeEbEEZZNS1_14partition_implILS8_3ELb0ES6_jNS0_17counting_iteratorIjlEEPS9_SE_NS0_5tupleIJPjSE_EEENSF_IJSE_SE_EEES9_SG_JZNS1_25segmented_radix_sort_implINS0_14default_configELb1EPK12hip_bfloat16PSL_PKlPlN2at6native12_GLOBAL__N_18offset_tEEE10hipError_tPvRmT1_PNSt15iterator_traitsISZ_E10value_typeET2_T3_PNS10_IS15_E10value_typeET4_jRbjT5_S1B_jjP12ihipStream_tbEUljE_EEESW_SX_SY_S15_S19_S1B_T6_T7_T9_mT8_S1D_bDpT10_ENKUlT_T0_E_clISt17integral_constantIbLb1EES1Q_EEDaS1L_S1M_EUlS1L_E_NS1_11comp_targetILNS1_3genE2ELNS1_11target_archE906ELNS1_3gpuE6ELNS1_3repE0EEENS1_30default_config_static_selectorELNS0_4arch9wavefront6targetE0EEEvSZ_
    .private_segment_fixed_size: 0
    .sgpr_count:     0
    .sgpr_spill_count: 0
    .symbol:         _ZN7rocprim17ROCPRIM_400000_NS6detail17trampoline_kernelINS0_13select_configILj256ELj13ELNS0_17block_load_methodE3ELS4_3ELS4_3ELNS0_20block_scan_algorithmE0ELj4294967295EEENS1_25partition_config_selectorILNS1_17partition_subalgoE3EjNS0_10empty_typeEbEEZZNS1_14partition_implILS8_3ELb0ES6_jNS0_17counting_iteratorIjlEEPS9_SE_NS0_5tupleIJPjSE_EEENSF_IJSE_SE_EEES9_SG_JZNS1_25segmented_radix_sort_implINS0_14default_configELb1EPK12hip_bfloat16PSL_PKlPlN2at6native12_GLOBAL__N_18offset_tEEE10hipError_tPvRmT1_PNSt15iterator_traitsISZ_E10value_typeET2_T3_PNS10_IS15_E10value_typeET4_jRbjT5_S1B_jjP12ihipStream_tbEUljE_EEESW_SX_SY_S15_S19_S1B_T6_T7_T9_mT8_S1D_bDpT10_ENKUlT_T0_E_clISt17integral_constantIbLb1EES1Q_EEDaS1L_S1M_EUlS1L_E_NS1_11comp_targetILNS1_3genE2ELNS1_11target_archE906ELNS1_3gpuE6ELNS1_3repE0EEENS1_30default_config_static_selectorELNS0_4arch9wavefront6targetE0EEEvSZ_.kd
    .uniform_work_group_size: 1
    .uses_dynamic_stack: false
    .vgpr_count:     0
    .vgpr_spill_count: 0
    .wavefront_size: 32
    .workgroup_processor_mode: 1
  - .args:
      - .offset:         0
        .size:           152
        .value_kind:     by_value
    .group_segment_fixed_size: 0
    .kernarg_segment_align: 8
    .kernarg_segment_size: 152
    .language:       OpenCL C
    .language_version:
      - 2
      - 0
    .max_flat_workgroup_size: 256
    .name:           _ZN7rocprim17ROCPRIM_400000_NS6detail17trampoline_kernelINS0_13select_configILj256ELj13ELNS0_17block_load_methodE3ELS4_3ELS4_3ELNS0_20block_scan_algorithmE0ELj4294967295EEENS1_25partition_config_selectorILNS1_17partition_subalgoE3EjNS0_10empty_typeEbEEZZNS1_14partition_implILS8_3ELb0ES6_jNS0_17counting_iteratorIjlEEPS9_SE_NS0_5tupleIJPjSE_EEENSF_IJSE_SE_EEES9_SG_JZNS1_25segmented_radix_sort_implINS0_14default_configELb1EPK12hip_bfloat16PSL_PKlPlN2at6native12_GLOBAL__N_18offset_tEEE10hipError_tPvRmT1_PNSt15iterator_traitsISZ_E10value_typeET2_T3_PNS10_IS15_E10value_typeET4_jRbjT5_S1B_jjP12ihipStream_tbEUljE_EEESW_SX_SY_S15_S19_S1B_T6_T7_T9_mT8_S1D_bDpT10_ENKUlT_T0_E_clISt17integral_constantIbLb1EES1Q_EEDaS1L_S1M_EUlS1L_E_NS1_11comp_targetILNS1_3genE10ELNS1_11target_archE1200ELNS1_3gpuE4ELNS1_3repE0EEENS1_30default_config_static_selectorELNS0_4arch9wavefront6targetE0EEEvSZ_
    .private_segment_fixed_size: 0
    .sgpr_count:     0
    .sgpr_spill_count: 0
    .symbol:         _ZN7rocprim17ROCPRIM_400000_NS6detail17trampoline_kernelINS0_13select_configILj256ELj13ELNS0_17block_load_methodE3ELS4_3ELS4_3ELNS0_20block_scan_algorithmE0ELj4294967295EEENS1_25partition_config_selectorILNS1_17partition_subalgoE3EjNS0_10empty_typeEbEEZZNS1_14partition_implILS8_3ELb0ES6_jNS0_17counting_iteratorIjlEEPS9_SE_NS0_5tupleIJPjSE_EEENSF_IJSE_SE_EEES9_SG_JZNS1_25segmented_radix_sort_implINS0_14default_configELb1EPK12hip_bfloat16PSL_PKlPlN2at6native12_GLOBAL__N_18offset_tEEE10hipError_tPvRmT1_PNSt15iterator_traitsISZ_E10value_typeET2_T3_PNS10_IS15_E10value_typeET4_jRbjT5_S1B_jjP12ihipStream_tbEUljE_EEESW_SX_SY_S15_S19_S1B_T6_T7_T9_mT8_S1D_bDpT10_ENKUlT_T0_E_clISt17integral_constantIbLb1EES1Q_EEDaS1L_S1M_EUlS1L_E_NS1_11comp_targetILNS1_3genE10ELNS1_11target_archE1200ELNS1_3gpuE4ELNS1_3repE0EEENS1_30default_config_static_selectorELNS0_4arch9wavefront6targetE0EEEvSZ_.kd
    .uniform_work_group_size: 1
    .uses_dynamic_stack: false
    .vgpr_count:     0
    .vgpr_spill_count: 0
    .wavefront_size: 32
    .workgroup_processor_mode: 1
  - .args:
      - .offset:         0
        .size:           152
        .value_kind:     by_value
    .group_segment_fixed_size: 0
    .kernarg_segment_align: 8
    .kernarg_segment_size: 152
    .language:       OpenCL C
    .language_version:
      - 2
      - 0
    .max_flat_workgroup_size: 256
    .name:           _ZN7rocprim17ROCPRIM_400000_NS6detail17trampoline_kernelINS0_13select_configILj256ELj13ELNS0_17block_load_methodE3ELS4_3ELS4_3ELNS0_20block_scan_algorithmE0ELj4294967295EEENS1_25partition_config_selectorILNS1_17partition_subalgoE3EjNS0_10empty_typeEbEEZZNS1_14partition_implILS8_3ELb0ES6_jNS0_17counting_iteratorIjlEEPS9_SE_NS0_5tupleIJPjSE_EEENSF_IJSE_SE_EEES9_SG_JZNS1_25segmented_radix_sort_implINS0_14default_configELb1EPK12hip_bfloat16PSL_PKlPlN2at6native12_GLOBAL__N_18offset_tEEE10hipError_tPvRmT1_PNSt15iterator_traitsISZ_E10value_typeET2_T3_PNS10_IS15_E10value_typeET4_jRbjT5_S1B_jjP12ihipStream_tbEUljE_EEESW_SX_SY_S15_S19_S1B_T6_T7_T9_mT8_S1D_bDpT10_ENKUlT_T0_E_clISt17integral_constantIbLb1EES1Q_EEDaS1L_S1M_EUlS1L_E_NS1_11comp_targetILNS1_3genE9ELNS1_11target_archE1100ELNS1_3gpuE3ELNS1_3repE0EEENS1_30default_config_static_selectorELNS0_4arch9wavefront6targetE0EEEvSZ_
    .private_segment_fixed_size: 0
    .sgpr_count:     0
    .sgpr_spill_count: 0
    .symbol:         _ZN7rocprim17ROCPRIM_400000_NS6detail17trampoline_kernelINS0_13select_configILj256ELj13ELNS0_17block_load_methodE3ELS4_3ELS4_3ELNS0_20block_scan_algorithmE0ELj4294967295EEENS1_25partition_config_selectorILNS1_17partition_subalgoE3EjNS0_10empty_typeEbEEZZNS1_14partition_implILS8_3ELb0ES6_jNS0_17counting_iteratorIjlEEPS9_SE_NS0_5tupleIJPjSE_EEENSF_IJSE_SE_EEES9_SG_JZNS1_25segmented_radix_sort_implINS0_14default_configELb1EPK12hip_bfloat16PSL_PKlPlN2at6native12_GLOBAL__N_18offset_tEEE10hipError_tPvRmT1_PNSt15iterator_traitsISZ_E10value_typeET2_T3_PNS10_IS15_E10value_typeET4_jRbjT5_S1B_jjP12ihipStream_tbEUljE_EEESW_SX_SY_S15_S19_S1B_T6_T7_T9_mT8_S1D_bDpT10_ENKUlT_T0_E_clISt17integral_constantIbLb1EES1Q_EEDaS1L_S1M_EUlS1L_E_NS1_11comp_targetILNS1_3genE9ELNS1_11target_archE1100ELNS1_3gpuE3ELNS1_3repE0EEENS1_30default_config_static_selectorELNS0_4arch9wavefront6targetE0EEEvSZ_.kd
    .uniform_work_group_size: 1
    .uses_dynamic_stack: false
    .vgpr_count:     0
    .vgpr_spill_count: 0
    .wavefront_size: 32
    .workgroup_processor_mode: 1
  - .args:
      - .offset:         0
        .size:           152
        .value_kind:     by_value
    .group_segment_fixed_size: 0
    .kernarg_segment_align: 8
    .kernarg_segment_size: 152
    .language:       OpenCL C
    .language_version:
      - 2
      - 0
    .max_flat_workgroup_size: 256
    .name:           _ZN7rocprim17ROCPRIM_400000_NS6detail17trampoline_kernelINS0_13select_configILj256ELj13ELNS0_17block_load_methodE3ELS4_3ELS4_3ELNS0_20block_scan_algorithmE0ELj4294967295EEENS1_25partition_config_selectorILNS1_17partition_subalgoE3EjNS0_10empty_typeEbEEZZNS1_14partition_implILS8_3ELb0ES6_jNS0_17counting_iteratorIjlEEPS9_SE_NS0_5tupleIJPjSE_EEENSF_IJSE_SE_EEES9_SG_JZNS1_25segmented_radix_sort_implINS0_14default_configELb1EPK12hip_bfloat16PSL_PKlPlN2at6native12_GLOBAL__N_18offset_tEEE10hipError_tPvRmT1_PNSt15iterator_traitsISZ_E10value_typeET2_T3_PNS10_IS15_E10value_typeET4_jRbjT5_S1B_jjP12ihipStream_tbEUljE_EEESW_SX_SY_S15_S19_S1B_T6_T7_T9_mT8_S1D_bDpT10_ENKUlT_T0_E_clISt17integral_constantIbLb1EES1Q_EEDaS1L_S1M_EUlS1L_E_NS1_11comp_targetILNS1_3genE8ELNS1_11target_archE1030ELNS1_3gpuE2ELNS1_3repE0EEENS1_30default_config_static_selectorELNS0_4arch9wavefront6targetE0EEEvSZ_
    .private_segment_fixed_size: 0
    .sgpr_count:     0
    .sgpr_spill_count: 0
    .symbol:         _ZN7rocprim17ROCPRIM_400000_NS6detail17trampoline_kernelINS0_13select_configILj256ELj13ELNS0_17block_load_methodE3ELS4_3ELS4_3ELNS0_20block_scan_algorithmE0ELj4294967295EEENS1_25partition_config_selectorILNS1_17partition_subalgoE3EjNS0_10empty_typeEbEEZZNS1_14partition_implILS8_3ELb0ES6_jNS0_17counting_iteratorIjlEEPS9_SE_NS0_5tupleIJPjSE_EEENSF_IJSE_SE_EEES9_SG_JZNS1_25segmented_radix_sort_implINS0_14default_configELb1EPK12hip_bfloat16PSL_PKlPlN2at6native12_GLOBAL__N_18offset_tEEE10hipError_tPvRmT1_PNSt15iterator_traitsISZ_E10value_typeET2_T3_PNS10_IS15_E10value_typeET4_jRbjT5_S1B_jjP12ihipStream_tbEUljE_EEESW_SX_SY_S15_S19_S1B_T6_T7_T9_mT8_S1D_bDpT10_ENKUlT_T0_E_clISt17integral_constantIbLb1EES1Q_EEDaS1L_S1M_EUlS1L_E_NS1_11comp_targetILNS1_3genE8ELNS1_11target_archE1030ELNS1_3gpuE2ELNS1_3repE0EEENS1_30default_config_static_selectorELNS0_4arch9wavefront6targetE0EEEvSZ_.kd
    .uniform_work_group_size: 1
    .uses_dynamic_stack: false
    .vgpr_count:     0
    .vgpr_spill_count: 0
    .wavefront_size: 32
    .workgroup_processor_mode: 1
  - .args:
      - .offset:         0
        .size:           144
        .value_kind:     by_value
    .group_segment_fixed_size: 0
    .kernarg_segment_align: 8
    .kernarg_segment_size: 144
    .language:       OpenCL C
    .language_version:
      - 2
      - 0
    .max_flat_workgroup_size: 256
    .name:           _ZN7rocprim17ROCPRIM_400000_NS6detail17trampoline_kernelINS0_13select_configILj256ELj13ELNS0_17block_load_methodE3ELS4_3ELS4_3ELNS0_20block_scan_algorithmE0ELj4294967295EEENS1_25partition_config_selectorILNS1_17partition_subalgoE3EjNS0_10empty_typeEbEEZZNS1_14partition_implILS8_3ELb0ES6_jNS0_17counting_iteratorIjlEEPS9_SE_NS0_5tupleIJPjSE_EEENSF_IJSE_SE_EEES9_SG_JZNS1_25segmented_radix_sort_implINS0_14default_configELb1EPK12hip_bfloat16PSL_PKlPlN2at6native12_GLOBAL__N_18offset_tEEE10hipError_tPvRmT1_PNSt15iterator_traitsISZ_E10value_typeET2_T3_PNS10_IS15_E10value_typeET4_jRbjT5_S1B_jjP12ihipStream_tbEUljE_EEESW_SX_SY_S15_S19_S1B_T6_T7_T9_mT8_S1D_bDpT10_ENKUlT_T0_E_clISt17integral_constantIbLb1EES1P_IbLb0EEEEDaS1L_S1M_EUlS1L_E_NS1_11comp_targetILNS1_3genE0ELNS1_11target_archE4294967295ELNS1_3gpuE0ELNS1_3repE0EEENS1_30default_config_static_selectorELNS0_4arch9wavefront6targetE0EEEvSZ_
    .private_segment_fixed_size: 0
    .sgpr_count:     0
    .sgpr_spill_count: 0
    .symbol:         _ZN7rocprim17ROCPRIM_400000_NS6detail17trampoline_kernelINS0_13select_configILj256ELj13ELNS0_17block_load_methodE3ELS4_3ELS4_3ELNS0_20block_scan_algorithmE0ELj4294967295EEENS1_25partition_config_selectorILNS1_17partition_subalgoE3EjNS0_10empty_typeEbEEZZNS1_14partition_implILS8_3ELb0ES6_jNS0_17counting_iteratorIjlEEPS9_SE_NS0_5tupleIJPjSE_EEENSF_IJSE_SE_EEES9_SG_JZNS1_25segmented_radix_sort_implINS0_14default_configELb1EPK12hip_bfloat16PSL_PKlPlN2at6native12_GLOBAL__N_18offset_tEEE10hipError_tPvRmT1_PNSt15iterator_traitsISZ_E10value_typeET2_T3_PNS10_IS15_E10value_typeET4_jRbjT5_S1B_jjP12ihipStream_tbEUljE_EEESW_SX_SY_S15_S19_S1B_T6_T7_T9_mT8_S1D_bDpT10_ENKUlT_T0_E_clISt17integral_constantIbLb1EES1P_IbLb0EEEEDaS1L_S1M_EUlS1L_E_NS1_11comp_targetILNS1_3genE0ELNS1_11target_archE4294967295ELNS1_3gpuE0ELNS1_3repE0EEENS1_30default_config_static_selectorELNS0_4arch9wavefront6targetE0EEEvSZ_.kd
    .uniform_work_group_size: 1
    .uses_dynamic_stack: false
    .vgpr_count:     0
    .vgpr_spill_count: 0
    .wavefront_size: 32
    .workgroup_processor_mode: 1
  - .args:
      - .offset:         0
        .size:           144
        .value_kind:     by_value
    .group_segment_fixed_size: 0
    .kernarg_segment_align: 8
    .kernarg_segment_size: 144
    .language:       OpenCL C
    .language_version:
      - 2
      - 0
    .max_flat_workgroup_size: 256
    .name:           _ZN7rocprim17ROCPRIM_400000_NS6detail17trampoline_kernelINS0_13select_configILj256ELj13ELNS0_17block_load_methodE3ELS4_3ELS4_3ELNS0_20block_scan_algorithmE0ELj4294967295EEENS1_25partition_config_selectorILNS1_17partition_subalgoE3EjNS0_10empty_typeEbEEZZNS1_14partition_implILS8_3ELb0ES6_jNS0_17counting_iteratorIjlEEPS9_SE_NS0_5tupleIJPjSE_EEENSF_IJSE_SE_EEES9_SG_JZNS1_25segmented_radix_sort_implINS0_14default_configELb1EPK12hip_bfloat16PSL_PKlPlN2at6native12_GLOBAL__N_18offset_tEEE10hipError_tPvRmT1_PNSt15iterator_traitsISZ_E10value_typeET2_T3_PNS10_IS15_E10value_typeET4_jRbjT5_S1B_jjP12ihipStream_tbEUljE_EEESW_SX_SY_S15_S19_S1B_T6_T7_T9_mT8_S1D_bDpT10_ENKUlT_T0_E_clISt17integral_constantIbLb1EES1P_IbLb0EEEEDaS1L_S1M_EUlS1L_E_NS1_11comp_targetILNS1_3genE5ELNS1_11target_archE942ELNS1_3gpuE9ELNS1_3repE0EEENS1_30default_config_static_selectorELNS0_4arch9wavefront6targetE0EEEvSZ_
    .private_segment_fixed_size: 0
    .sgpr_count:     0
    .sgpr_spill_count: 0
    .symbol:         _ZN7rocprim17ROCPRIM_400000_NS6detail17trampoline_kernelINS0_13select_configILj256ELj13ELNS0_17block_load_methodE3ELS4_3ELS4_3ELNS0_20block_scan_algorithmE0ELj4294967295EEENS1_25partition_config_selectorILNS1_17partition_subalgoE3EjNS0_10empty_typeEbEEZZNS1_14partition_implILS8_3ELb0ES6_jNS0_17counting_iteratorIjlEEPS9_SE_NS0_5tupleIJPjSE_EEENSF_IJSE_SE_EEES9_SG_JZNS1_25segmented_radix_sort_implINS0_14default_configELb1EPK12hip_bfloat16PSL_PKlPlN2at6native12_GLOBAL__N_18offset_tEEE10hipError_tPvRmT1_PNSt15iterator_traitsISZ_E10value_typeET2_T3_PNS10_IS15_E10value_typeET4_jRbjT5_S1B_jjP12ihipStream_tbEUljE_EEESW_SX_SY_S15_S19_S1B_T6_T7_T9_mT8_S1D_bDpT10_ENKUlT_T0_E_clISt17integral_constantIbLb1EES1P_IbLb0EEEEDaS1L_S1M_EUlS1L_E_NS1_11comp_targetILNS1_3genE5ELNS1_11target_archE942ELNS1_3gpuE9ELNS1_3repE0EEENS1_30default_config_static_selectorELNS0_4arch9wavefront6targetE0EEEvSZ_.kd
    .uniform_work_group_size: 1
    .uses_dynamic_stack: false
    .vgpr_count:     0
    .vgpr_spill_count: 0
    .wavefront_size: 32
    .workgroup_processor_mode: 1
  - .args:
      - .offset:         0
        .size:           144
        .value_kind:     by_value
    .group_segment_fixed_size: 0
    .kernarg_segment_align: 8
    .kernarg_segment_size: 144
    .language:       OpenCL C
    .language_version:
      - 2
      - 0
    .max_flat_workgroup_size: 256
    .name:           _ZN7rocprim17ROCPRIM_400000_NS6detail17trampoline_kernelINS0_13select_configILj256ELj13ELNS0_17block_load_methodE3ELS4_3ELS4_3ELNS0_20block_scan_algorithmE0ELj4294967295EEENS1_25partition_config_selectorILNS1_17partition_subalgoE3EjNS0_10empty_typeEbEEZZNS1_14partition_implILS8_3ELb0ES6_jNS0_17counting_iteratorIjlEEPS9_SE_NS0_5tupleIJPjSE_EEENSF_IJSE_SE_EEES9_SG_JZNS1_25segmented_radix_sort_implINS0_14default_configELb1EPK12hip_bfloat16PSL_PKlPlN2at6native12_GLOBAL__N_18offset_tEEE10hipError_tPvRmT1_PNSt15iterator_traitsISZ_E10value_typeET2_T3_PNS10_IS15_E10value_typeET4_jRbjT5_S1B_jjP12ihipStream_tbEUljE_EEESW_SX_SY_S15_S19_S1B_T6_T7_T9_mT8_S1D_bDpT10_ENKUlT_T0_E_clISt17integral_constantIbLb1EES1P_IbLb0EEEEDaS1L_S1M_EUlS1L_E_NS1_11comp_targetILNS1_3genE4ELNS1_11target_archE910ELNS1_3gpuE8ELNS1_3repE0EEENS1_30default_config_static_selectorELNS0_4arch9wavefront6targetE0EEEvSZ_
    .private_segment_fixed_size: 0
    .sgpr_count:     0
    .sgpr_spill_count: 0
    .symbol:         _ZN7rocprim17ROCPRIM_400000_NS6detail17trampoline_kernelINS0_13select_configILj256ELj13ELNS0_17block_load_methodE3ELS4_3ELS4_3ELNS0_20block_scan_algorithmE0ELj4294967295EEENS1_25partition_config_selectorILNS1_17partition_subalgoE3EjNS0_10empty_typeEbEEZZNS1_14partition_implILS8_3ELb0ES6_jNS0_17counting_iteratorIjlEEPS9_SE_NS0_5tupleIJPjSE_EEENSF_IJSE_SE_EEES9_SG_JZNS1_25segmented_radix_sort_implINS0_14default_configELb1EPK12hip_bfloat16PSL_PKlPlN2at6native12_GLOBAL__N_18offset_tEEE10hipError_tPvRmT1_PNSt15iterator_traitsISZ_E10value_typeET2_T3_PNS10_IS15_E10value_typeET4_jRbjT5_S1B_jjP12ihipStream_tbEUljE_EEESW_SX_SY_S15_S19_S1B_T6_T7_T9_mT8_S1D_bDpT10_ENKUlT_T0_E_clISt17integral_constantIbLb1EES1P_IbLb0EEEEDaS1L_S1M_EUlS1L_E_NS1_11comp_targetILNS1_3genE4ELNS1_11target_archE910ELNS1_3gpuE8ELNS1_3repE0EEENS1_30default_config_static_selectorELNS0_4arch9wavefront6targetE0EEEvSZ_.kd
    .uniform_work_group_size: 1
    .uses_dynamic_stack: false
    .vgpr_count:     0
    .vgpr_spill_count: 0
    .wavefront_size: 32
    .workgroup_processor_mode: 1
  - .args:
      - .offset:         0
        .size:           144
        .value_kind:     by_value
    .group_segment_fixed_size: 0
    .kernarg_segment_align: 8
    .kernarg_segment_size: 144
    .language:       OpenCL C
    .language_version:
      - 2
      - 0
    .max_flat_workgroup_size: 256
    .name:           _ZN7rocprim17ROCPRIM_400000_NS6detail17trampoline_kernelINS0_13select_configILj256ELj13ELNS0_17block_load_methodE3ELS4_3ELS4_3ELNS0_20block_scan_algorithmE0ELj4294967295EEENS1_25partition_config_selectorILNS1_17partition_subalgoE3EjNS0_10empty_typeEbEEZZNS1_14partition_implILS8_3ELb0ES6_jNS0_17counting_iteratorIjlEEPS9_SE_NS0_5tupleIJPjSE_EEENSF_IJSE_SE_EEES9_SG_JZNS1_25segmented_radix_sort_implINS0_14default_configELb1EPK12hip_bfloat16PSL_PKlPlN2at6native12_GLOBAL__N_18offset_tEEE10hipError_tPvRmT1_PNSt15iterator_traitsISZ_E10value_typeET2_T3_PNS10_IS15_E10value_typeET4_jRbjT5_S1B_jjP12ihipStream_tbEUljE_EEESW_SX_SY_S15_S19_S1B_T6_T7_T9_mT8_S1D_bDpT10_ENKUlT_T0_E_clISt17integral_constantIbLb1EES1P_IbLb0EEEEDaS1L_S1M_EUlS1L_E_NS1_11comp_targetILNS1_3genE3ELNS1_11target_archE908ELNS1_3gpuE7ELNS1_3repE0EEENS1_30default_config_static_selectorELNS0_4arch9wavefront6targetE0EEEvSZ_
    .private_segment_fixed_size: 0
    .sgpr_count:     0
    .sgpr_spill_count: 0
    .symbol:         _ZN7rocprim17ROCPRIM_400000_NS6detail17trampoline_kernelINS0_13select_configILj256ELj13ELNS0_17block_load_methodE3ELS4_3ELS4_3ELNS0_20block_scan_algorithmE0ELj4294967295EEENS1_25partition_config_selectorILNS1_17partition_subalgoE3EjNS0_10empty_typeEbEEZZNS1_14partition_implILS8_3ELb0ES6_jNS0_17counting_iteratorIjlEEPS9_SE_NS0_5tupleIJPjSE_EEENSF_IJSE_SE_EEES9_SG_JZNS1_25segmented_radix_sort_implINS0_14default_configELb1EPK12hip_bfloat16PSL_PKlPlN2at6native12_GLOBAL__N_18offset_tEEE10hipError_tPvRmT1_PNSt15iterator_traitsISZ_E10value_typeET2_T3_PNS10_IS15_E10value_typeET4_jRbjT5_S1B_jjP12ihipStream_tbEUljE_EEESW_SX_SY_S15_S19_S1B_T6_T7_T9_mT8_S1D_bDpT10_ENKUlT_T0_E_clISt17integral_constantIbLb1EES1P_IbLb0EEEEDaS1L_S1M_EUlS1L_E_NS1_11comp_targetILNS1_3genE3ELNS1_11target_archE908ELNS1_3gpuE7ELNS1_3repE0EEENS1_30default_config_static_selectorELNS0_4arch9wavefront6targetE0EEEvSZ_.kd
    .uniform_work_group_size: 1
    .uses_dynamic_stack: false
    .vgpr_count:     0
    .vgpr_spill_count: 0
    .wavefront_size: 32
    .workgroup_processor_mode: 1
  - .args:
      - .offset:         0
        .size:           144
        .value_kind:     by_value
    .group_segment_fixed_size: 0
    .kernarg_segment_align: 8
    .kernarg_segment_size: 144
    .language:       OpenCL C
    .language_version:
      - 2
      - 0
    .max_flat_workgroup_size: 256
    .name:           _ZN7rocprim17ROCPRIM_400000_NS6detail17trampoline_kernelINS0_13select_configILj256ELj13ELNS0_17block_load_methodE3ELS4_3ELS4_3ELNS0_20block_scan_algorithmE0ELj4294967295EEENS1_25partition_config_selectorILNS1_17partition_subalgoE3EjNS0_10empty_typeEbEEZZNS1_14partition_implILS8_3ELb0ES6_jNS0_17counting_iteratorIjlEEPS9_SE_NS0_5tupleIJPjSE_EEENSF_IJSE_SE_EEES9_SG_JZNS1_25segmented_radix_sort_implINS0_14default_configELb1EPK12hip_bfloat16PSL_PKlPlN2at6native12_GLOBAL__N_18offset_tEEE10hipError_tPvRmT1_PNSt15iterator_traitsISZ_E10value_typeET2_T3_PNS10_IS15_E10value_typeET4_jRbjT5_S1B_jjP12ihipStream_tbEUljE_EEESW_SX_SY_S15_S19_S1B_T6_T7_T9_mT8_S1D_bDpT10_ENKUlT_T0_E_clISt17integral_constantIbLb1EES1P_IbLb0EEEEDaS1L_S1M_EUlS1L_E_NS1_11comp_targetILNS1_3genE2ELNS1_11target_archE906ELNS1_3gpuE6ELNS1_3repE0EEENS1_30default_config_static_selectorELNS0_4arch9wavefront6targetE0EEEvSZ_
    .private_segment_fixed_size: 0
    .sgpr_count:     0
    .sgpr_spill_count: 0
    .symbol:         _ZN7rocprim17ROCPRIM_400000_NS6detail17trampoline_kernelINS0_13select_configILj256ELj13ELNS0_17block_load_methodE3ELS4_3ELS4_3ELNS0_20block_scan_algorithmE0ELj4294967295EEENS1_25partition_config_selectorILNS1_17partition_subalgoE3EjNS0_10empty_typeEbEEZZNS1_14partition_implILS8_3ELb0ES6_jNS0_17counting_iteratorIjlEEPS9_SE_NS0_5tupleIJPjSE_EEENSF_IJSE_SE_EEES9_SG_JZNS1_25segmented_radix_sort_implINS0_14default_configELb1EPK12hip_bfloat16PSL_PKlPlN2at6native12_GLOBAL__N_18offset_tEEE10hipError_tPvRmT1_PNSt15iterator_traitsISZ_E10value_typeET2_T3_PNS10_IS15_E10value_typeET4_jRbjT5_S1B_jjP12ihipStream_tbEUljE_EEESW_SX_SY_S15_S19_S1B_T6_T7_T9_mT8_S1D_bDpT10_ENKUlT_T0_E_clISt17integral_constantIbLb1EES1P_IbLb0EEEEDaS1L_S1M_EUlS1L_E_NS1_11comp_targetILNS1_3genE2ELNS1_11target_archE906ELNS1_3gpuE6ELNS1_3repE0EEENS1_30default_config_static_selectorELNS0_4arch9wavefront6targetE0EEEvSZ_.kd
    .uniform_work_group_size: 1
    .uses_dynamic_stack: false
    .vgpr_count:     0
    .vgpr_spill_count: 0
    .wavefront_size: 32
    .workgroup_processor_mode: 1
  - .args:
      - .offset:         0
        .size:           144
        .value_kind:     by_value
    .group_segment_fixed_size: 0
    .kernarg_segment_align: 8
    .kernarg_segment_size: 144
    .language:       OpenCL C
    .language_version:
      - 2
      - 0
    .max_flat_workgroup_size: 256
    .name:           _ZN7rocprim17ROCPRIM_400000_NS6detail17trampoline_kernelINS0_13select_configILj256ELj13ELNS0_17block_load_methodE3ELS4_3ELS4_3ELNS0_20block_scan_algorithmE0ELj4294967295EEENS1_25partition_config_selectorILNS1_17partition_subalgoE3EjNS0_10empty_typeEbEEZZNS1_14partition_implILS8_3ELb0ES6_jNS0_17counting_iteratorIjlEEPS9_SE_NS0_5tupleIJPjSE_EEENSF_IJSE_SE_EEES9_SG_JZNS1_25segmented_radix_sort_implINS0_14default_configELb1EPK12hip_bfloat16PSL_PKlPlN2at6native12_GLOBAL__N_18offset_tEEE10hipError_tPvRmT1_PNSt15iterator_traitsISZ_E10value_typeET2_T3_PNS10_IS15_E10value_typeET4_jRbjT5_S1B_jjP12ihipStream_tbEUljE_EEESW_SX_SY_S15_S19_S1B_T6_T7_T9_mT8_S1D_bDpT10_ENKUlT_T0_E_clISt17integral_constantIbLb1EES1P_IbLb0EEEEDaS1L_S1M_EUlS1L_E_NS1_11comp_targetILNS1_3genE10ELNS1_11target_archE1200ELNS1_3gpuE4ELNS1_3repE0EEENS1_30default_config_static_selectorELNS0_4arch9wavefront6targetE0EEEvSZ_
    .private_segment_fixed_size: 0
    .sgpr_count:     0
    .sgpr_spill_count: 0
    .symbol:         _ZN7rocprim17ROCPRIM_400000_NS6detail17trampoline_kernelINS0_13select_configILj256ELj13ELNS0_17block_load_methodE3ELS4_3ELS4_3ELNS0_20block_scan_algorithmE0ELj4294967295EEENS1_25partition_config_selectorILNS1_17partition_subalgoE3EjNS0_10empty_typeEbEEZZNS1_14partition_implILS8_3ELb0ES6_jNS0_17counting_iteratorIjlEEPS9_SE_NS0_5tupleIJPjSE_EEENSF_IJSE_SE_EEES9_SG_JZNS1_25segmented_radix_sort_implINS0_14default_configELb1EPK12hip_bfloat16PSL_PKlPlN2at6native12_GLOBAL__N_18offset_tEEE10hipError_tPvRmT1_PNSt15iterator_traitsISZ_E10value_typeET2_T3_PNS10_IS15_E10value_typeET4_jRbjT5_S1B_jjP12ihipStream_tbEUljE_EEESW_SX_SY_S15_S19_S1B_T6_T7_T9_mT8_S1D_bDpT10_ENKUlT_T0_E_clISt17integral_constantIbLb1EES1P_IbLb0EEEEDaS1L_S1M_EUlS1L_E_NS1_11comp_targetILNS1_3genE10ELNS1_11target_archE1200ELNS1_3gpuE4ELNS1_3repE0EEENS1_30default_config_static_selectorELNS0_4arch9wavefront6targetE0EEEvSZ_.kd
    .uniform_work_group_size: 1
    .uses_dynamic_stack: false
    .vgpr_count:     0
    .vgpr_spill_count: 0
    .wavefront_size: 32
    .workgroup_processor_mode: 1
  - .args:
      - .offset:         0
        .size:           144
        .value_kind:     by_value
    .group_segment_fixed_size: 0
    .kernarg_segment_align: 8
    .kernarg_segment_size: 144
    .language:       OpenCL C
    .language_version:
      - 2
      - 0
    .max_flat_workgroup_size: 256
    .name:           _ZN7rocprim17ROCPRIM_400000_NS6detail17trampoline_kernelINS0_13select_configILj256ELj13ELNS0_17block_load_methodE3ELS4_3ELS4_3ELNS0_20block_scan_algorithmE0ELj4294967295EEENS1_25partition_config_selectorILNS1_17partition_subalgoE3EjNS0_10empty_typeEbEEZZNS1_14partition_implILS8_3ELb0ES6_jNS0_17counting_iteratorIjlEEPS9_SE_NS0_5tupleIJPjSE_EEENSF_IJSE_SE_EEES9_SG_JZNS1_25segmented_radix_sort_implINS0_14default_configELb1EPK12hip_bfloat16PSL_PKlPlN2at6native12_GLOBAL__N_18offset_tEEE10hipError_tPvRmT1_PNSt15iterator_traitsISZ_E10value_typeET2_T3_PNS10_IS15_E10value_typeET4_jRbjT5_S1B_jjP12ihipStream_tbEUljE_EEESW_SX_SY_S15_S19_S1B_T6_T7_T9_mT8_S1D_bDpT10_ENKUlT_T0_E_clISt17integral_constantIbLb1EES1P_IbLb0EEEEDaS1L_S1M_EUlS1L_E_NS1_11comp_targetILNS1_3genE9ELNS1_11target_archE1100ELNS1_3gpuE3ELNS1_3repE0EEENS1_30default_config_static_selectorELNS0_4arch9wavefront6targetE0EEEvSZ_
    .private_segment_fixed_size: 0
    .sgpr_count:     0
    .sgpr_spill_count: 0
    .symbol:         _ZN7rocprim17ROCPRIM_400000_NS6detail17trampoline_kernelINS0_13select_configILj256ELj13ELNS0_17block_load_methodE3ELS4_3ELS4_3ELNS0_20block_scan_algorithmE0ELj4294967295EEENS1_25partition_config_selectorILNS1_17partition_subalgoE3EjNS0_10empty_typeEbEEZZNS1_14partition_implILS8_3ELb0ES6_jNS0_17counting_iteratorIjlEEPS9_SE_NS0_5tupleIJPjSE_EEENSF_IJSE_SE_EEES9_SG_JZNS1_25segmented_radix_sort_implINS0_14default_configELb1EPK12hip_bfloat16PSL_PKlPlN2at6native12_GLOBAL__N_18offset_tEEE10hipError_tPvRmT1_PNSt15iterator_traitsISZ_E10value_typeET2_T3_PNS10_IS15_E10value_typeET4_jRbjT5_S1B_jjP12ihipStream_tbEUljE_EEESW_SX_SY_S15_S19_S1B_T6_T7_T9_mT8_S1D_bDpT10_ENKUlT_T0_E_clISt17integral_constantIbLb1EES1P_IbLb0EEEEDaS1L_S1M_EUlS1L_E_NS1_11comp_targetILNS1_3genE9ELNS1_11target_archE1100ELNS1_3gpuE3ELNS1_3repE0EEENS1_30default_config_static_selectorELNS0_4arch9wavefront6targetE0EEEvSZ_.kd
    .uniform_work_group_size: 1
    .uses_dynamic_stack: false
    .vgpr_count:     0
    .vgpr_spill_count: 0
    .wavefront_size: 32
    .workgroup_processor_mode: 1
  - .args:
      - .offset:         0
        .size:           144
        .value_kind:     by_value
    .group_segment_fixed_size: 0
    .kernarg_segment_align: 8
    .kernarg_segment_size: 144
    .language:       OpenCL C
    .language_version:
      - 2
      - 0
    .max_flat_workgroup_size: 256
    .name:           _ZN7rocprim17ROCPRIM_400000_NS6detail17trampoline_kernelINS0_13select_configILj256ELj13ELNS0_17block_load_methodE3ELS4_3ELS4_3ELNS0_20block_scan_algorithmE0ELj4294967295EEENS1_25partition_config_selectorILNS1_17partition_subalgoE3EjNS0_10empty_typeEbEEZZNS1_14partition_implILS8_3ELb0ES6_jNS0_17counting_iteratorIjlEEPS9_SE_NS0_5tupleIJPjSE_EEENSF_IJSE_SE_EEES9_SG_JZNS1_25segmented_radix_sort_implINS0_14default_configELb1EPK12hip_bfloat16PSL_PKlPlN2at6native12_GLOBAL__N_18offset_tEEE10hipError_tPvRmT1_PNSt15iterator_traitsISZ_E10value_typeET2_T3_PNS10_IS15_E10value_typeET4_jRbjT5_S1B_jjP12ihipStream_tbEUljE_EEESW_SX_SY_S15_S19_S1B_T6_T7_T9_mT8_S1D_bDpT10_ENKUlT_T0_E_clISt17integral_constantIbLb1EES1P_IbLb0EEEEDaS1L_S1M_EUlS1L_E_NS1_11comp_targetILNS1_3genE8ELNS1_11target_archE1030ELNS1_3gpuE2ELNS1_3repE0EEENS1_30default_config_static_selectorELNS0_4arch9wavefront6targetE0EEEvSZ_
    .private_segment_fixed_size: 0
    .sgpr_count:     0
    .sgpr_spill_count: 0
    .symbol:         _ZN7rocprim17ROCPRIM_400000_NS6detail17trampoline_kernelINS0_13select_configILj256ELj13ELNS0_17block_load_methodE3ELS4_3ELS4_3ELNS0_20block_scan_algorithmE0ELj4294967295EEENS1_25partition_config_selectorILNS1_17partition_subalgoE3EjNS0_10empty_typeEbEEZZNS1_14partition_implILS8_3ELb0ES6_jNS0_17counting_iteratorIjlEEPS9_SE_NS0_5tupleIJPjSE_EEENSF_IJSE_SE_EEES9_SG_JZNS1_25segmented_radix_sort_implINS0_14default_configELb1EPK12hip_bfloat16PSL_PKlPlN2at6native12_GLOBAL__N_18offset_tEEE10hipError_tPvRmT1_PNSt15iterator_traitsISZ_E10value_typeET2_T3_PNS10_IS15_E10value_typeET4_jRbjT5_S1B_jjP12ihipStream_tbEUljE_EEESW_SX_SY_S15_S19_S1B_T6_T7_T9_mT8_S1D_bDpT10_ENKUlT_T0_E_clISt17integral_constantIbLb1EES1P_IbLb0EEEEDaS1L_S1M_EUlS1L_E_NS1_11comp_targetILNS1_3genE8ELNS1_11target_archE1030ELNS1_3gpuE2ELNS1_3repE0EEENS1_30default_config_static_selectorELNS0_4arch9wavefront6targetE0EEEvSZ_.kd
    .uniform_work_group_size: 1
    .uses_dynamic_stack: false
    .vgpr_count:     0
    .vgpr_spill_count: 0
    .wavefront_size: 32
    .workgroup_processor_mode: 1
  - .args:
      - .offset:         0
        .size:           152
        .value_kind:     by_value
    .group_segment_fixed_size: 0
    .kernarg_segment_align: 8
    .kernarg_segment_size: 152
    .language:       OpenCL C
    .language_version:
      - 2
      - 0
    .max_flat_workgroup_size: 256
    .name:           _ZN7rocprim17ROCPRIM_400000_NS6detail17trampoline_kernelINS0_13select_configILj256ELj13ELNS0_17block_load_methodE3ELS4_3ELS4_3ELNS0_20block_scan_algorithmE0ELj4294967295EEENS1_25partition_config_selectorILNS1_17partition_subalgoE3EjNS0_10empty_typeEbEEZZNS1_14partition_implILS8_3ELb0ES6_jNS0_17counting_iteratorIjlEEPS9_SE_NS0_5tupleIJPjSE_EEENSF_IJSE_SE_EEES9_SG_JZNS1_25segmented_radix_sort_implINS0_14default_configELb1EPK12hip_bfloat16PSL_PKlPlN2at6native12_GLOBAL__N_18offset_tEEE10hipError_tPvRmT1_PNSt15iterator_traitsISZ_E10value_typeET2_T3_PNS10_IS15_E10value_typeET4_jRbjT5_S1B_jjP12ihipStream_tbEUljE_EEESW_SX_SY_S15_S19_S1B_T6_T7_T9_mT8_S1D_bDpT10_ENKUlT_T0_E_clISt17integral_constantIbLb0EES1P_IbLb1EEEEDaS1L_S1M_EUlS1L_E_NS1_11comp_targetILNS1_3genE0ELNS1_11target_archE4294967295ELNS1_3gpuE0ELNS1_3repE0EEENS1_30default_config_static_selectorELNS0_4arch9wavefront6targetE0EEEvSZ_
    .private_segment_fixed_size: 0
    .sgpr_count:     0
    .sgpr_spill_count: 0
    .symbol:         _ZN7rocprim17ROCPRIM_400000_NS6detail17trampoline_kernelINS0_13select_configILj256ELj13ELNS0_17block_load_methodE3ELS4_3ELS4_3ELNS0_20block_scan_algorithmE0ELj4294967295EEENS1_25partition_config_selectorILNS1_17partition_subalgoE3EjNS0_10empty_typeEbEEZZNS1_14partition_implILS8_3ELb0ES6_jNS0_17counting_iteratorIjlEEPS9_SE_NS0_5tupleIJPjSE_EEENSF_IJSE_SE_EEES9_SG_JZNS1_25segmented_radix_sort_implINS0_14default_configELb1EPK12hip_bfloat16PSL_PKlPlN2at6native12_GLOBAL__N_18offset_tEEE10hipError_tPvRmT1_PNSt15iterator_traitsISZ_E10value_typeET2_T3_PNS10_IS15_E10value_typeET4_jRbjT5_S1B_jjP12ihipStream_tbEUljE_EEESW_SX_SY_S15_S19_S1B_T6_T7_T9_mT8_S1D_bDpT10_ENKUlT_T0_E_clISt17integral_constantIbLb0EES1P_IbLb1EEEEDaS1L_S1M_EUlS1L_E_NS1_11comp_targetILNS1_3genE0ELNS1_11target_archE4294967295ELNS1_3gpuE0ELNS1_3repE0EEENS1_30default_config_static_selectorELNS0_4arch9wavefront6targetE0EEEvSZ_.kd
    .uniform_work_group_size: 1
    .uses_dynamic_stack: false
    .vgpr_count:     0
    .vgpr_spill_count: 0
    .wavefront_size: 32
    .workgroup_processor_mode: 1
  - .args:
      - .offset:         0
        .size:           152
        .value_kind:     by_value
    .group_segment_fixed_size: 0
    .kernarg_segment_align: 8
    .kernarg_segment_size: 152
    .language:       OpenCL C
    .language_version:
      - 2
      - 0
    .max_flat_workgroup_size: 256
    .name:           _ZN7rocprim17ROCPRIM_400000_NS6detail17trampoline_kernelINS0_13select_configILj256ELj13ELNS0_17block_load_methodE3ELS4_3ELS4_3ELNS0_20block_scan_algorithmE0ELj4294967295EEENS1_25partition_config_selectorILNS1_17partition_subalgoE3EjNS0_10empty_typeEbEEZZNS1_14partition_implILS8_3ELb0ES6_jNS0_17counting_iteratorIjlEEPS9_SE_NS0_5tupleIJPjSE_EEENSF_IJSE_SE_EEES9_SG_JZNS1_25segmented_radix_sort_implINS0_14default_configELb1EPK12hip_bfloat16PSL_PKlPlN2at6native12_GLOBAL__N_18offset_tEEE10hipError_tPvRmT1_PNSt15iterator_traitsISZ_E10value_typeET2_T3_PNS10_IS15_E10value_typeET4_jRbjT5_S1B_jjP12ihipStream_tbEUljE_EEESW_SX_SY_S15_S19_S1B_T6_T7_T9_mT8_S1D_bDpT10_ENKUlT_T0_E_clISt17integral_constantIbLb0EES1P_IbLb1EEEEDaS1L_S1M_EUlS1L_E_NS1_11comp_targetILNS1_3genE5ELNS1_11target_archE942ELNS1_3gpuE9ELNS1_3repE0EEENS1_30default_config_static_selectorELNS0_4arch9wavefront6targetE0EEEvSZ_
    .private_segment_fixed_size: 0
    .sgpr_count:     0
    .sgpr_spill_count: 0
    .symbol:         _ZN7rocprim17ROCPRIM_400000_NS6detail17trampoline_kernelINS0_13select_configILj256ELj13ELNS0_17block_load_methodE3ELS4_3ELS4_3ELNS0_20block_scan_algorithmE0ELj4294967295EEENS1_25partition_config_selectorILNS1_17partition_subalgoE3EjNS0_10empty_typeEbEEZZNS1_14partition_implILS8_3ELb0ES6_jNS0_17counting_iteratorIjlEEPS9_SE_NS0_5tupleIJPjSE_EEENSF_IJSE_SE_EEES9_SG_JZNS1_25segmented_radix_sort_implINS0_14default_configELb1EPK12hip_bfloat16PSL_PKlPlN2at6native12_GLOBAL__N_18offset_tEEE10hipError_tPvRmT1_PNSt15iterator_traitsISZ_E10value_typeET2_T3_PNS10_IS15_E10value_typeET4_jRbjT5_S1B_jjP12ihipStream_tbEUljE_EEESW_SX_SY_S15_S19_S1B_T6_T7_T9_mT8_S1D_bDpT10_ENKUlT_T0_E_clISt17integral_constantIbLb0EES1P_IbLb1EEEEDaS1L_S1M_EUlS1L_E_NS1_11comp_targetILNS1_3genE5ELNS1_11target_archE942ELNS1_3gpuE9ELNS1_3repE0EEENS1_30default_config_static_selectorELNS0_4arch9wavefront6targetE0EEEvSZ_.kd
    .uniform_work_group_size: 1
    .uses_dynamic_stack: false
    .vgpr_count:     0
    .vgpr_spill_count: 0
    .wavefront_size: 32
    .workgroup_processor_mode: 1
  - .args:
      - .offset:         0
        .size:           152
        .value_kind:     by_value
    .group_segment_fixed_size: 0
    .kernarg_segment_align: 8
    .kernarg_segment_size: 152
    .language:       OpenCL C
    .language_version:
      - 2
      - 0
    .max_flat_workgroup_size: 256
    .name:           _ZN7rocprim17ROCPRIM_400000_NS6detail17trampoline_kernelINS0_13select_configILj256ELj13ELNS0_17block_load_methodE3ELS4_3ELS4_3ELNS0_20block_scan_algorithmE0ELj4294967295EEENS1_25partition_config_selectorILNS1_17partition_subalgoE3EjNS0_10empty_typeEbEEZZNS1_14partition_implILS8_3ELb0ES6_jNS0_17counting_iteratorIjlEEPS9_SE_NS0_5tupleIJPjSE_EEENSF_IJSE_SE_EEES9_SG_JZNS1_25segmented_radix_sort_implINS0_14default_configELb1EPK12hip_bfloat16PSL_PKlPlN2at6native12_GLOBAL__N_18offset_tEEE10hipError_tPvRmT1_PNSt15iterator_traitsISZ_E10value_typeET2_T3_PNS10_IS15_E10value_typeET4_jRbjT5_S1B_jjP12ihipStream_tbEUljE_EEESW_SX_SY_S15_S19_S1B_T6_T7_T9_mT8_S1D_bDpT10_ENKUlT_T0_E_clISt17integral_constantIbLb0EES1P_IbLb1EEEEDaS1L_S1M_EUlS1L_E_NS1_11comp_targetILNS1_3genE4ELNS1_11target_archE910ELNS1_3gpuE8ELNS1_3repE0EEENS1_30default_config_static_selectorELNS0_4arch9wavefront6targetE0EEEvSZ_
    .private_segment_fixed_size: 0
    .sgpr_count:     0
    .sgpr_spill_count: 0
    .symbol:         _ZN7rocprim17ROCPRIM_400000_NS6detail17trampoline_kernelINS0_13select_configILj256ELj13ELNS0_17block_load_methodE3ELS4_3ELS4_3ELNS0_20block_scan_algorithmE0ELj4294967295EEENS1_25partition_config_selectorILNS1_17partition_subalgoE3EjNS0_10empty_typeEbEEZZNS1_14partition_implILS8_3ELb0ES6_jNS0_17counting_iteratorIjlEEPS9_SE_NS0_5tupleIJPjSE_EEENSF_IJSE_SE_EEES9_SG_JZNS1_25segmented_radix_sort_implINS0_14default_configELb1EPK12hip_bfloat16PSL_PKlPlN2at6native12_GLOBAL__N_18offset_tEEE10hipError_tPvRmT1_PNSt15iterator_traitsISZ_E10value_typeET2_T3_PNS10_IS15_E10value_typeET4_jRbjT5_S1B_jjP12ihipStream_tbEUljE_EEESW_SX_SY_S15_S19_S1B_T6_T7_T9_mT8_S1D_bDpT10_ENKUlT_T0_E_clISt17integral_constantIbLb0EES1P_IbLb1EEEEDaS1L_S1M_EUlS1L_E_NS1_11comp_targetILNS1_3genE4ELNS1_11target_archE910ELNS1_3gpuE8ELNS1_3repE0EEENS1_30default_config_static_selectorELNS0_4arch9wavefront6targetE0EEEvSZ_.kd
    .uniform_work_group_size: 1
    .uses_dynamic_stack: false
    .vgpr_count:     0
    .vgpr_spill_count: 0
    .wavefront_size: 32
    .workgroup_processor_mode: 1
  - .args:
      - .offset:         0
        .size:           152
        .value_kind:     by_value
    .group_segment_fixed_size: 0
    .kernarg_segment_align: 8
    .kernarg_segment_size: 152
    .language:       OpenCL C
    .language_version:
      - 2
      - 0
    .max_flat_workgroup_size: 256
    .name:           _ZN7rocprim17ROCPRIM_400000_NS6detail17trampoline_kernelINS0_13select_configILj256ELj13ELNS0_17block_load_methodE3ELS4_3ELS4_3ELNS0_20block_scan_algorithmE0ELj4294967295EEENS1_25partition_config_selectorILNS1_17partition_subalgoE3EjNS0_10empty_typeEbEEZZNS1_14partition_implILS8_3ELb0ES6_jNS0_17counting_iteratorIjlEEPS9_SE_NS0_5tupleIJPjSE_EEENSF_IJSE_SE_EEES9_SG_JZNS1_25segmented_radix_sort_implINS0_14default_configELb1EPK12hip_bfloat16PSL_PKlPlN2at6native12_GLOBAL__N_18offset_tEEE10hipError_tPvRmT1_PNSt15iterator_traitsISZ_E10value_typeET2_T3_PNS10_IS15_E10value_typeET4_jRbjT5_S1B_jjP12ihipStream_tbEUljE_EEESW_SX_SY_S15_S19_S1B_T6_T7_T9_mT8_S1D_bDpT10_ENKUlT_T0_E_clISt17integral_constantIbLb0EES1P_IbLb1EEEEDaS1L_S1M_EUlS1L_E_NS1_11comp_targetILNS1_3genE3ELNS1_11target_archE908ELNS1_3gpuE7ELNS1_3repE0EEENS1_30default_config_static_selectorELNS0_4arch9wavefront6targetE0EEEvSZ_
    .private_segment_fixed_size: 0
    .sgpr_count:     0
    .sgpr_spill_count: 0
    .symbol:         _ZN7rocprim17ROCPRIM_400000_NS6detail17trampoline_kernelINS0_13select_configILj256ELj13ELNS0_17block_load_methodE3ELS4_3ELS4_3ELNS0_20block_scan_algorithmE0ELj4294967295EEENS1_25partition_config_selectorILNS1_17partition_subalgoE3EjNS0_10empty_typeEbEEZZNS1_14partition_implILS8_3ELb0ES6_jNS0_17counting_iteratorIjlEEPS9_SE_NS0_5tupleIJPjSE_EEENSF_IJSE_SE_EEES9_SG_JZNS1_25segmented_radix_sort_implINS0_14default_configELb1EPK12hip_bfloat16PSL_PKlPlN2at6native12_GLOBAL__N_18offset_tEEE10hipError_tPvRmT1_PNSt15iterator_traitsISZ_E10value_typeET2_T3_PNS10_IS15_E10value_typeET4_jRbjT5_S1B_jjP12ihipStream_tbEUljE_EEESW_SX_SY_S15_S19_S1B_T6_T7_T9_mT8_S1D_bDpT10_ENKUlT_T0_E_clISt17integral_constantIbLb0EES1P_IbLb1EEEEDaS1L_S1M_EUlS1L_E_NS1_11comp_targetILNS1_3genE3ELNS1_11target_archE908ELNS1_3gpuE7ELNS1_3repE0EEENS1_30default_config_static_selectorELNS0_4arch9wavefront6targetE0EEEvSZ_.kd
    .uniform_work_group_size: 1
    .uses_dynamic_stack: false
    .vgpr_count:     0
    .vgpr_spill_count: 0
    .wavefront_size: 32
    .workgroup_processor_mode: 1
  - .args:
      - .offset:         0
        .size:           152
        .value_kind:     by_value
    .group_segment_fixed_size: 0
    .kernarg_segment_align: 8
    .kernarg_segment_size: 152
    .language:       OpenCL C
    .language_version:
      - 2
      - 0
    .max_flat_workgroup_size: 256
    .name:           _ZN7rocprim17ROCPRIM_400000_NS6detail17trampoline_kernelINS0_13select_configILj256ELj13ELNS0_17block_load_methodE3ELS4_3ELS4_3ELNS0_20block_scan_algorithmE0ELj4294967295EEENS1_25partition_config_selectorILNS1_17partition_subalgoE3EjNS0_10empty_typeEbEEZZNS1_14partition_implILS8_3ELb0ES6_jNS0_17counting_iteratorIjlEEPS9_SE_NS0_5tupleIJPjSE_EEENSF_IJSE_SE_EEES9_SG_JZNS1_25segmented_radix_sort_implINS0_14default_configELb1EPK12hip_bfloat16PSL_PKlPlN2at6native12_GLOBAL__N_18offset_tEEE10hipError_tPvRmT1_PNSt15iterator_traitsISZ_E10value_typeET2_T3_PNS10_IS15_E10value_typeET4_jRbjT5_S1B_jjP12ihipStream_tbEUljE_EEESW_SX_SY_S15_S19_S1B_T6_T7_T9_mT8_S1D_bDpT10_ENKUlT_T0_E_clISt17integral_constantIbLb0EES1P_IbLb1EEEEDaS1L_S1M_EUlS1L_E_NS1_11comp_targetILNS1_3genE2ELNS1_11target_archE906ELNS1_3gpuE6ELNS1_3repE0EEENS1_30default_config_static_selectorELNS0_4arch9wavefront6targetE0EEEvSZ_
    .private_segment_fixed_size: 0
    .sgpr_count:     0
    .sgpr_spill_count: 0
    .symbol:         _ZN7rocprim17ROCPRIM_400000_NS6detail17trampoline_kernelINS0_13select_configILj256ELj13ELNS0_17block_load_methodE3ELS4_3ELS4_3ELNS0_20block_scan_algorithmE0ELj4294967295EEENS1_25partition_config_selectorILNS1_17partition_subalgoE3EjNS0_10empty_typeEbEEZZNS1_14partition_implILS8_3ELb0ES6_jNS0_17counting_iteratorIjlEEPS9_SE_NS0_5tupleIJPjSE_EEENSF_IJSE_SE_EEES9_SG_JZNS1_25segmented_radix_sort_implINS0_14default_configELb1EPK12hip_bfloat16PSL_PKlPlN2at6native12_GLOBAL__N_18offset_tEEE10hipError_tPvRmT1_PNSt15iterator_traitsISZ_E10value_typeET2_T3_PNS10_IS15_E10value_typeET4_jRbjT5_S1B_jjP12ihipStream_tbEUljE_EEESW_SX_SY_S15_S19_S1B_T6_T7_T9_mT8_S1D_bDpT10_ENKUlT_T0_E_clISt17integral_constantIbLb0EES1P_IbLb1EEEEDaS1L_S1M_EUlS1L_E_NS1_11comp_targetILNS1_3genE2ELNS1_11target_archE906ELNS1_3gpuE6ELNS1_3repE0EEENS1_30default_config_static_selectorELNS0_4arch9wavefront6targetE0EEEvSZ_.kd
    .uniform_work_group_size: 1
    .uses_dynamic_stack: false
    .vgpr_count:     0
    .vgpr_spill_count: 0
    .wavefront_size: 32
    .workgroup_processor_mode: 1
  - .args:
      - .offset:         0
        .size:           152
        .value_kind:     by_value
    .group_segment_fixed_size: 0
    .kernarg_segment_align: 8
    .kernarg_segment_size: 152
    .language:       OpenCL C
    .language_version:
      - 2
      - 0
    .max_flat_workgroup_size: 256
    .name:           _ZN7rocprim17ROCPRIM_400000_NS6detail17trampoline_kernelINS0_13select_configILj256ELj13ELNS0_17block_load_methodE3ELS4_3ELS4_3ELNS0_20block_scan_algorithmE0ELj4294967295EEENS1_25partition_config_selectorILNS1_17partition_subalgoE3EjNS0_10empty_typeEbEEZZNS1_14partition_implILS8_3ELb0ES6_jNS0_17counting_iteratorIjlEEPS9_SE_NS0_5tupleIJPjSE_EEENSF_IJSE_SE_EEES9_SG_JZNS1_25segmented_radix_sort_implINS0_14default_configELb1EPK12hip_bfloat16PSL_PKlPlN2at6native12_GLOBAL__N_18offset_tEEE10hipError_tPvRmT1_PNSt15iterator_traitsISZ_E10value_typeET2_T3_PNS10_IS15_E10value_typeET4_jRbjT5_S1B_jjP12ihipStream_tbEUljE_EEESW_SX_SY_S15_S19_S1B_T6_T7_T9_mT8_S1D_bDpT10_ENKUlT_T0_E_clISt17integral_constantIbLb0EES1P_IbLb1EEEEDaS1L_S1M_EUlS1L_E_NS1_11comp_targetILNS1_3genE10ELNS1_11target_archE1200ELNS1_3gpuE4ELNS1_3repE0EEENS1_30default_config_static_selectorELNS0_4arch9wavefront6targetE0EEEvSZ_
    .private_segment_fixed_size: 0
    .sgpr_count:     0
    .sgpr_spill_count: 0
    .symbol:         _ZN7rocprim17ROCPRIM_400000_NS6detail17trampoline_kernelINS0_13select_configILj256ELj13ELNS0_17block_load_methodE3ELS4_3ELS4_3ELNS0_20block_scan_algorithmE0ELj4294967295EEENS1_25partition_config_selectorILNS1_17partition_subalgoE3EjNS0_10empty_typeEbEEZZNS1_14partition_implILS8_3ELb0ES6_jNS0_17counting_iteratorIjlEEPS9_SE_NS0_5tupleIJPjSE_EEENSF_IJSE_SE_EEES9_SG_JZNS1_25segmented_radix_sort_implINS0_14default_configELb1EPK12hip_bfloat16PSL_PKlPlN2at6native12_GLOBAL__N_18offset_tEEE10hipError_tPvRmT1_PNSt15iterator_traitsISZ_E10value_typeET2_T3_PNS10_IS15_E10value_typeET4_jRbjT5_S1B_jjP12ihipStream_tbEUljE_EEESW_SX_SY_S15_S19_S1B_T6_T7_T9_mT8_S1D_bDpT10_ENKUlT_T0_E_clISt17integral_constantIbLb0EES1P_IbLb1EEEEDaS1L_S1M_EUlS1L_E_NS1_11comp_targetILNS1_3genE10ELNS1_11target_archE1200ELNS1_3gpuE4ELNS1_3repE0EEENS1_30default_config_static_selectorELNS0_4arch9wavefront6targetE0EEEvSZ_.kd
    .uniform_work_group_size: 1
    .uses_dynamic_stack: false
    .vgpr_count:     0
    .vgpr_spill_count: 0
    .wavefront_size: 32
    .workgroup_processor_mode: 1
  - .args:
      - .offset:         0
        .size:           152
        .value_kind:     by_value
    .group_segment_fixed_size: 0
    .kernarg_segment_align: 8
    .kernarg_segment_size: 152
    .language:       OpenCL C
    .language_version:
      - 2
      - 0
    .max_flat_workgroup_size: 256
    .name:           _ZN7rocprim17ROCPRIM_400000_NS6detail17trampoline_kernelINS0_13select_configILj256ELj13ELNS0_17block_load_methodE3ELS4_3ELS4_3ELNS0_20block_scan_algorithmE0ELj4294967295EEENS1_25partition_config_selectorILNS1_17partition_subalgoE3EjNS0_10empty_typeEbEEZZNS1_14partition_implILS8_3ELb0ES6_jNS0_17counting_iteratorIjlEEPS9_SE_NS0_5tupleIJPjSE_EEENSF_IJSE_SE_EEES9_SG_JZNS1_25segmented_radix_sort_implINS0_14default_configELb1EPK12hip_bfloat16PSL_PKlPlN2at6native12_GLOBAL__N_18offset_tEEE10hipError_tPvRmT1_PNSt15iterator_traitsISZ_E10value_typeET2_T3_PNS10_IS15_E10value_typeET4_jRbjT5_S1B_jjP12ihipStream_tbEUljE_EEESW_SX_SY_S15_S19_S1B_T6_T7_T9_mT8_S1D_bDpT10_ENKUlT_T0_E_clISt17integral_constantIbLb0EES1P_IbLb1EEEEDaS1L_S1M_EUlS1L_E_NS1_11comp_targetILNS1_3genE9ELNS1_11target_archE1100ELNS1_3gpuE3ELNS1_3repE0EEENS1_30default_config_static_selectorELNS0_4arch9wavefront6targetE0EEEvSZ_
    .private_segment_fixed_size: 0
    .sgpr_count:     0
    .sgpr_spill_count: 0
    .symbol:         _ZN7rocprim17ROCPRIM_400000_NS6detail17trampoline_kernelINS0_13select_configILj256ELj13ELNS0_17block_load_methodE3ELS4_3ELS4_3ELNS0_20block_scan_algorithmE0ELj4294967295EEENS1_25partition_config_selectorILNS1_17partition_subalgoE3EjNS0_10empty_typeEbEEZZNS1_14partition_implILS8_3ELb0ES6_jNS0_17counting_iteratorIjlEEPS9_SE_NS0_5tupleIJPjSE_EEENSF_IJSE_SE_EEES9_SG_JZNS1_25segmented_radix_sort_implINS0_14default_configELb1EPK12hip_bfloat16PSL_PKlPlN2at6native12_GLOBAL__N_18offset_tEEE10hipError_tPvRmT1_PNSt15iterator_traitsISZ_E10value_typeET2_T3_PNS10_IS15_E10value_typeET4_jRbjT5_S1B_jjP12ihipStream_tbEUljE_EEESW_SX_SY_S15_S19_S1B_T6_T7_T9_mT8_S1D_bDpT10_ENKUlT_T0_E_clISt17integral_constantIbLb0EES1P_IbLb1EEEEDaS1L_S1M_EUlS1L_E_NS1_11comp_targetILNS1_3genE9ELNS1_11target_archE1100ELNS1_3gpuE3ELNS1_3repE0EEENS1_30default_config_static_selectorELNS0_4arch9wavefront6targetE0EEEvSZ_.kd
    .uniform_work_group_size: 1
    .uses_dynamic_stack: false
    .vgpr_count:     0
    .vgpr_spill_count: 0
    .wavefront_size: 32
    .workgroup_processor_mode: 1
  - .args:
      - .offset:         0
        .size:           152
        .value_kind:     by_value
    .group_segment_fixed_size: 13320
    .kernarg_segment_align: 8
    .kernarg_segment_size: 152
    .language:       OpenCL C
    .language_version:
      - 2
      - 0
    .max_flat_workgroup_size: 256
    .name:           _ZN7rocprim17ROCPRIM_400000_NS6detail17trampoline_kernelINS0_13select_configILj256ELj13ELNS0_17block_load_methodE3ELS4_3ELS4_3ELNS0_20block_scan_algorithmE0ELj4294967295EEENS1_25partition_config_selectorILNS1_17partition_subalgoE3EjNS0_10empty_typeEbEEZZNS1_14partition_implILS8_3ELb0ES6_jNS0_17counting_iteratorIjlEEPS9_SE_NS0_5tupleIJPjSE_EEENSF_IJSE_SE_EEES9_SG_JZNS1_25segmented_radix_sort_implINS0_14default_configELb1EPK12hip_bfloat16PSL_PKlPlN2at6native12_GLOBAL__N_18offset_tEEE10hipError_tPvRmT1_PNSt15iterator_traitsISZ_E10value_typeET2_T3_PNS10_IS15_E10value_typeET4_jRbjT5_S1B_jjP12ihipStream_tbEUljE_EEESW_SX_SY_S15_S19_S1B_T6_T7_T9_mT8_S1D_bDpT10_ENKUlT_T0_E_clISt17integral_constantIbLb0EES1P_IbLb1EEEEDaS1L_S1M_EUlS1L_E_NS1_11comp_targetILNS1_3genE8ELNS1_11target_archE1030ELNS1_3gpuE2ELNS1_3repE0EEENS1_30default_config_static_selectorELNS0_4arch9wavefront6targetE0EEEvSZ_
    .private_segment_fixed_size: 0
    .sgpr_count:     28
    .sgpr_spill_count: 0
    .symbol:         _ZN7rocprim17ROCPRIM_400000_NS6detail17trampoline_kernelINS0_13select_configILj256ELj13ELNS0_17block_load_methodE3ELS4_3ELS4_3ELNS0_20block_scan_algorithmE0ELj4294967295EEENS1_25partition_config_selectorILNS1_17partition_subalgoE3EjNS0_10empty_typeEbEEZZNS1_14partition_implILS8_3ELb0ES6_jNS0_17counting_iteratorIjlEEPS9_SE_NS0_5tupleIJPjSE_EEENSF_IJSE_SE_EEES9_SG_JZNS1_25segmented_radix_sort_implINS0_14default_configELb1EPK12hip_bfloat16PSL_PKlPlN2at6native12_GLOBAL__N_18offset_tEEE10hipError_tPvRmT1_PNSt15iterator_traitsISZ_E10value_typeET2_T3_PNS10_IS15_E10value_typeET4_jRbjT5_S1B_jjP12ihipStream_tbEUljE_EEESW_SX_SY_S15_S19_S1B_T6_T7_T9_mT8_S1D_bDpT10_ENKUlT_T0_E_clISt17integral_constantIbLb0EES1P_IbLb1EEEEDaS1L_S1M_EUlS1L_E_NS1_11comp_targetILNS1_3genE8ELNS1_11target_archE1030ELNS1_3gpuE2ELNS1_3repE0EEENS1_30default_config_static_selectorELNS0_4arch9wavefront6targetE0EEEvSZ_.kd
    .uniform_work_group_size: 1
    .uses_dynamic_stack: false
    .vgpr_count:     71
    .vgpr_spill_count: 0
    .wavefront_size: 32
    .workgroup_processor_mode: 1
  - .args:
      - .offset:         0
        .size:           96
        .value_kind:     by_value
    .group_segment_fixed_size: 0
    .kernarg_segment_align: 8
    .kernarg_segment_size: 96
    .language:       OpenCL C
    .language_version:
      - 2
      - 0
    .max_flat_workgroup_size: 256
    .name:           _ZN7rocprim17ROCPRIM_400000_NS6detail17trampoline_kernelINS0_14default_configENS1_36segmented_radix_sort_config_selectorI12hip_bfloat16lEEZNS1_25segmented_radix_sort_implIS3_Lb1EPKS5_PS5_PKlPlN2at6native12_GLOBAL__N_18offset_tEEE10hipError_tPvRmT1_PNSt15iterator_traitsISL_E10value_typeET2_T3_PNSM_ISR_E10value_typeET4_jRbjT5_SX_jjP12ihipStream_tbEUlT_E_NS1_11comp_targetILNS1_3genE0ELNS1_11target_archE4294967295ELNS1_3gpuE0ELNS1_3repE0EEENS1_30default_config_static_selectorELNS0_4arch9wavefront6targetE0EEEvSL_
    .private_segment_fixed_size: 0
    .sgpr_count:     0
    .sgpr_spill_count: 0
    .symbol:         _ZN7rocprim17ROCPRIM_400000_NS6detail17trampoline_kernelINS0_14default_configENS1_36segmented_radix_sort_config_selectorI12hip_bfloat16lEEZNS1_25segmented_radix_sort_implIS3_Lb1EPKS5_PS5_PKlPlN2at6native12_GLOBAL__N_18offset_tEEE10hipError_tPvRmT1_PNSt15iterator_traitsISL_E10value_typeET2_T3_PNSM_ISR_E10value_typeET4_jRbjT5_SX_jjP12ihipStream_tbEUlT_E_NS1_11comp_targetILNS1_3genE0ELNS1_11target_archE4294967295ELNS1_3gpuE0ELNS1_3repE0EEENS1_30default_config_static_selectorELNS0_4arch9wavefront6targetE0EEEvSL_.kd
    .uniform_work_group_size: 1
    .uses_dynamic_stack: false
    .vgpr_count:     0
    .vgpr_spill_count: 0
    .wavefront_size: 32
    .workgroup_processor_mode: 1
  - .args:
      - .offset:         0
        .size:           96
        .value_kind:     by_value
    .group_segment_fixed_size: 0
    .kernarg_segment_align: 8
    .kernarg_segment_size: 96
    .language:       OpenCL C
    .language_version:
      - 2
      - 0
    .max_flat_workgroup_size: 256
    .name:           _ZN7rocprim17ROCPRIM_400000_NS6detail17trampoline_kernelINS0_14default_configENS1_36segmented_radix_sort_config_selectorI12hip_bfloat16lEEZNS1_25segmented_radix_sort_implIS3_Lb1EPKS5_PS5_PKlPlN2at6native12_GLOBAL__N_18offset_tEEE10hipError_tPvRmT1_PNSt15iterator_traitsISL_E10value_typeET2_T3_PNSM_ISR_E10value_typeET4_jRbjT5_SX_jjP12ihipStream_tbEUlT_E_NS1_11comp_targetILNS1_3genE5ELNS1_11target_archE942ELNS1_3gpuE9ELNS1_3repE0EEENS1_30default_config_static_selectorELNS0_4arch9wavefront6targetE0EEEvSL_
    .private_segment_fixed_size: 0
    .sgpr_count:     0
    .sgpr_spill_count: 0
    .symbol:         _ZN7rocprim17ROCPRIM_400000_NS6detail17trampoline_kernelINS0_14default_configENS1_36segmented_radix_sort_config_selectorI12hip_bfloat16lEEZNS1_25segmented_radix_sort_implIS3_Lb1EPKS5_PS5_PKlPlN2at6native12_GLOBAL__N_18offset_tEEE10hipError_tPvRmT1_PNSt15iterator_traitsISL_E10value_typeET2_T3_PNSM_ISR_E10value_typeET4_jRbjT5_SX_jjP12ihipStream_tbEUlT_E_NS1_11comp_targetILNS1_3genE5ELNS1_11target_archE942ELNS1_3gpuE9ELNS1_3repE0EEENS1_30default_config_static_selectorELNS0_4arch9wavefront6targetE0EEEvSL_.kd
    .uniform_work_group_size: 1
    .uses_dynamic_stack: false
    .vgpr_count:     0
    .vgpr_spill_count: 0
    .wavefront_size: 32
    .workgroup_processor_mode: 1
  - .args:
      - .offset:         0
        .size:           96
        .value_kind:     by_value
    .group_segment_fixed_size: 0
    .kernarg_segment_align: 8
    .kernarg_segment_size: 96
    .language:       OpenCL C
    .language_version:
      - 2
      - 0
    .max_flat_workgroup_size: 256
    .name:           _ZN7rocprim17ROCPRIM_400000_NS6detail17trampoline_kernelINS0_14default_configENS1_36segmented_radix_sort_config_selectorI12hip_bfloat16lEEZNS1_25segmented_radix_sort_implIS3_Lb1EPKS5_PS5_PKlPlN2at6native12_GLOBAL__N_18offset_tEEE10hipError_tPvRmT1_PNSt15iterator_traitsISL_E10value_typeET2_T3_PNSM_ISR_E10value_typeET4_jRbjT5_SX_jjP12ihipStream_tbEUlT_E_NS1_11comp_targetILNS1_3genE4ELNS1_11target_archE910ELNS1_3gpuE8ELNS1_3repE0EEENS1_30default_config_static_selectorELNS0_4arch9wavefront6targetE0EEEvSL_
    .private_segment_fixed_size: 0
    .sgpr_count:     0
    .sgpr_spill_count: 0
    .symbol:         _ZN7rocprim17ROCPRIM_400000_NS6detail17trampoline_kernelINS0_14default_configENS1_36segmented_radix_sort_config_selectorI12hip_bfloat16lEEZNS1_25segmented_radix_sort_implIS3_Lb1EPKS5_PS5_PKlPlN2at6native12_GLOBAL__N_18offset_tEEE10hipError_tPvRmT1_PNSt15iterator_traitsISL_E10value_typeET2_T3_PNSM_ISR_E10value_typeET4_jRbjT5_SX_jjP12ihipStream_tbEUlT_E_NS1_11comp_targetILNS1_3genE4ELNS1_11target_archE910ELNS1_3gpuE8ELNS1_3repE0EEENS1_30default_config_static_selectorELNS0_4arch9wavefront6targetE0EEEvSL_.kd
    .uniform_work_group_size: 1
    .uses_dynamic_stack: false
    .vgpr_count:     0
    .vgpr_spill_count: 0
    .wavefront_size: 32
    .workgroup_processor_mode: 1
  - .args:
      - .offset:         0
        .size:           96
        .value_kind:     by_value
    .group_segment_fixed_size: 0
    .kernarg_segment_align: 8
    .kernarg_segment_size: 96
    .language:       OpenCL C
    .language_version:
      - 2
      - 0
    .max_flat_workgroup_size: 256
    .name:           _ZN7rocprim17ROCPRIM_400000_NS6detail17trampoline_kernelINS0_14default_configENS1_36segmented_radix_sort_config_selectorI12hip_bfloat16lEEZNS1_25segmented_radix_sort_implIS3_Lb1EPKS5_PS5_PKlPlN2at6native12_GLOBAL__N_18offset_tEEE10hipError_tPvRmT1_PNSt15iterator_traitsISL_E10value_typeET2_T3_PNSM_ISR_E10value_typeET4_jRbjT5_SX_jjP12ihipStream_tbEUlT_E_NS1_11comp_targetILNS1_3genE3ELNS1_11target_archE908ELNS1_3gpuE7ELNS1_3repE0EEENS1_30default_config_static_selectorELNS0_4arch9wavefront6targetE0EEEvSL_
    .private_segment_fixed_size: 0
    .sgpr_count:     0
    .sgpr_spill_count: 0
    .symbol:         _ZN7rocprim17ROCPRIM_400000_NS6detail17trampoline_kernelINS0_14default_configENS1_36segmented_radix_sort_config_selectorI12hip_bfloat16lEEZNS1_25segmented_radix_sort_implIS3_Lb1EPKS5_PS5_PKlPlN2at6native12_GLOBAL__N_18offset_tEEE10hipError_tPvRmT1_PNSt15iterator_traitsISL_E10value_typeET2_T3_PNSM_ISR_E10value_typeET4_jRbjT5_SX_jjP12ihipStream_tbEUlT_E_NS1_11comp_targetILNS1_3genE3ELNS1_11target_archE908ELNS1_3gpuE7ELNS1_3repE0EEENS1_30default_config_static_selectorELNS0_4arch9wavefront6targetE0EEEvSL_.kd
    .uniform_work_group_size: 1
    .uses_dynamic_stack: false
    .vgpr_count:     0
    .vgpr_spill_count: 0
    .wavefront_size: 32
    .workgroup_processor_mode: 1
  - .args:
      - .offset:         0
        .size:           96
        .value_kind:     by_value
    .group_segment_fixed_size: 0
    .kernarg_segment_align: 8
    .kernarg_segment_size: 96
    .language:       OpenCL C
    .language_version:
      - 2
      - 0
    .max_flat_workgroup_size: 256
    .name:           _ZN7rocprim17ROCPRIM_400000_NS6detail17trampoline_kernelINS0_14default_configENS1_36segmented_radix_sort_config_selectorI12hip_bfloat16lEEZNS1_25segmented_radix_sort_implIS3_Lb1EPKS5_PS5_PKlPlN2at6native12_GLOBAL__N_18offset_tEEE10hipError_tPvRmT1_PNSt15iterator_traitsISL_E10value_typeET2_T3_PNSM_ISR_E10value_typeET4_jRbjT5_SX_jjP12ihipStream_tbEUlT_E_NS1_11comp_targetILNS1_3genE2ELNS1_11target_archE906ELNS1_3gpuE6ELNS1_3repE0EEENS1_30default_config_static_selectorELNS0_4arch9wavefront6targetE0EEEvSL_
    .private_segment_fixed_size: 0
    .sgpr_count:     0
    .sgpr_spill_count: 0
    .symbol:         _ZN7rocprim17ROCPRIM_400000_NS6detail17trampoline_kernelINS0_14default_configENS1_36segmented_radix_sort_config_selectorI12hip_bfloat16lEEZNS1_25segmented_radix_sort_implIS3_Lb1EPKS5_PS5_PKlPlN2at6native12_GLOBAL__N_18offset_tEEE10hipError_tPvRmT1_PNSt15iterator_traitsISL_E10value_typeET2_T3_PNSM_ISR_E10value_typeET4_jRbjT5_SX_jjP12ihipStream_tbEUlT_E_NS1_11comp_targetILNS1_3genE2ELNS1_11target_archE906ELNS1_3gpuE6ELNS1_3repE0EEENS1_30default_config_static_selectorELNS0_4arch9wavefront6targetE0EEEvSL_.kd
    .uniform_work_group_size: 1
    .uses_dynamic_stack: false
    .vgpr_count:     0
    .vgpr_spill_count: 0
    .wavefront_size: 32
    .workgroup_processor_mode: 1
  - .args:
      - .offset:         0
        .size:           96
        .value_kind:     by_value
    .group_segment_fixed_size: 0
    .kernarg_segment_align: 8
    .kernarg_segment_size: 96
    .language:       OpenCL C
    .language_version:
      - 2
      - 0
    .max_flat_workgroup_size: 256
    .name:           _ZN7rocprim17ROCPRIM_400000_NS6detail17trampoline_kernelINS0_14default_configENS1_36segmented_radix_sort_config_selectorI12hip_bfloat16lEEZNS1_25segmented_radix_sort_implIS3_Lb1EPKS5_PS5_PKlPlN2at6native12_GLOBAL__N_18offset_tEEE10hipError_tPvRmT1_PNSt15iterator_traitsISL_E10value_typeET2_T3_PNSM_ISR_E10value_typeET4_jRbjT5_SX_jjP12ihipStream_tbEUlT_E_NS1_11comp_targetILNS1_3genE10ELNS1_11target_archE1201ELNS1_3gpuE5ELNS1_3repE0EEENS1_30default_config_static_selectorELNS0_4arch9wavefront6targetE0EEEvSL_
    .private_segment_fixed_size: 0
    .sgpr_count:     0
    .sgpr_spill_count: 0
    .symbol:         _ZN7rocprim17ROCPRIM_400000_NS6detail17trampoline_kernelINS0_14default_configENS1_36segmented_radix_sort_config_selectorI12hip_bfloat16lEEZNS1_25segmented_radix_sort_implIS3_Lb1EPKS5_PS5_PKlPlN2at6native12_GLOBAL__N_18offset_tEEE10hipError_tPvRmT1_PNSt15iterator_traitsISL_E10value_typeET2_T3_PNSM_ISR_E10value_typeET4_jRbjT5_SX_jjP12ihipStream_tbEUlT_E_NS1_11comp_targetILNS1_3genE10ELNS1_11target_archE1201ELNS1_3gpuE5ELNS1_3repE0EEENS1_30default_config_static_selectorELNS0_4arch9wavefront6targetE0EEEvSL_.kd
    .uniform_work_group_size: 1
    .uses_dynamic_stack: false
    .vgpr_count:     0
    .vgpr_spill_count: 0
    .wavefront_size: 32
    .workgroup_processor_mode: 1
  - .args:
      - .offset:         0
        .size:           96
        .value_kind:     by_value
    .group_segment_fixed_size: 0
    .kernarg_segment_align: 8
    .kernarg_segment_size: 96
    .language:       OpenCL C
    .language_version:
      - 2
      - 0
    .max_flat_workgroup_size: 128
    .name:           _ZN7rocprim17ROCPRIM_400000_NS6detail17trampoline_kernelINS0_14default_configENS1_36segmented_radix_sort_config_selectorI12hip_bfloat16lEEZNS1_25segmented_radix_sort_implIS3_Lb1EPKS5_PS5_PKlPlN2at6native12_GLOBAL__N_18offset_tEEE10hipError_tPvRmT1_PNSt15iterator_traitsISL_E10value_typeET2_T3_PNSM_ISR_E10value_typeET4_jRbjT5_SX_jjP12ihipStream_tbEUlT_E_NS1_11comp_targetILNS1_3genE10ELNS1_11target_archE1200ELNS1_3gpuE4ELNS1_3repE0EEENS1_30default_config_static_selectorELNS0_4arch9wavefront6targetE0EEEvSL_
    .private_segment_fixed_size: 0
    .sgpr_count:     0
    .sgpr_spill_count: 0
    .symbol:         _ZN7rocprim17ROCPRIM_400000_NS6detail17trampoline_kernelINS0_14default_configENS1_36segmented_radix_sort_config_selectorI12hip_bfloat16lEEZNS1_25segmented_radix_sort_implIS3_Lb1EPKS5_PS5_PKlPlN2at6native12_GLOBAL__N_18offset_tEEE10hipError_tPvRmT1_PNSt15iterator_traitsISL_E10value_typeET2_T3_PNSM_ISR_E10value_typeET4_jRbjT5_SX_jjP12ihipStream_tbEUlT_E_NS1_11comp_targetILNS1_3genE10ELNS1_11target_archE1200ELNS1_3gpuE4ELNS1_3repE0EEENS1_30default_config_static_selectorELNS0_4arch9wavefront6targetE0EEEvSL_.kd
    .uniform_work_group_size: 1
    .uses_dynamic_stack: false
    .vgpr_count:     0
    .vgpr_spill_count: 0
    .wavefront_size: 32
    .workgroup_processor_mode: 1
  - .args:
      - .offset:         0
        .size:           96
        .value_kind:     by_value
    .group_segment_fixed_size: 0
    .kernarg_segment_align: 8
    .kernarg_segment_size: 96
    .language:       OpenCL C
    .language_version:
      - 2
      - 0
    .max_flat_workgroup_size: 256
    .name:           _ZN7rocprim17ROCPRIM_400000_NS6detail17trampoline_kernelINS0_14default_configENS1_36segmented_radix_sort_config_selectorI12hip_bfloat16lEEZNS1_25segmented_radix_sort_implIS3_Lb1EPKS5_PS5_PKlPlN2at6native12_GLOBAL__N_18offset_tEEE10hipError_tPvRmT1_PNSt15iterator_traitsISL_E10value_typeET2_T3_PNSM_ISR_E10value_typeET4_jRbjT5_SX_jjP12ihipStream_tbEUlT_E_NS1_11comp_targetILNS1_3genE9ELNS1_11target_archE1100ELNS1_3gpuE3ELNS1_3repE0EEENS1_30default_config_static_selectorELNS0_4arch9wavefront6targetE0EEEvSL_
    .private_segment_fixed_size: 0
    .sgpr_count:     0
    .sgpr_spill_count: 0
    .symbol:         _ZN7rocprim17ROCPRIM_400000_NS6detail17trampoline_kernelINS0_14default_configENS1_36segmented_radix_sort_config_selectorI12hip_bfloat16lEEZNS1_25segmented_radix_sort_implIS3_Lb1EPKS5_PS5_PKlPlN2at6native12_GLOBAL__N_18offset_tEEE10hipError_tPvRmT1_PNSt15iterator_traitsISL_E10value_typeET2_T3_PNSM_ISR_E10value_typeET4_jRbjT5_SX_jjP12ihipStream_tbEUlT_E_NS1_11comp_targetILNS1_3genE9ELNS1_11target_archE1100ELNS1_3gpuE3ELNS1_3repE0EEENS1_30default_config_static_selectorELNS0_4arch9wavefront6targetE0EEEvSL_.kd
    .uniform_work_group_size: 1
    .uses_dynamic_stack: false
    .vgpr_count:     0
    .vgpr_spill_count: 0
    .wavefront_size: 32
    .workgroup_processor_mode: 1
  - .args:
      - .offset:         0
        .size:           96
        .value_kind:     by_value
      - .offset:         96
        .size:           4
        .value_kind:     hidden_block_count_x
      - .offset:         100
        .size:           4
        .value_kind:     hidden_block_count_y
      - .offset:         104
        .size:           4
        .value_kind:     hidden_block_count_z
      - .offset:         108
        .size:           2
        .value_kind:     hidden_group_size_x
      - .offset:         110
        .size:           2
        .value_kind:     hidden_group_size_y
      - .offset:         112
        .size:           2
        .value_kind:     hidden_group_size_z
      - .offset:         114
        .size:           2
        .value_kind:     hidden_remainder_x
      - .offset:         116
        .size:           2
        .value_kind:     hidden_remainder_y
      - .offset:         118
        .size:           2
        .value_kind:     hidden_remainder_z
      - .offset:         136
        .size:           8
        .value_kind:     hidden_global_offset_x
      - .offset:         144
        .size:           8
        .value_kind:     hidden_global_offset_y
      - .offset:         152
        .size:           8
        .value_kind:     hidden_global_offset_z
      - .offset:         160
        .size:           2
        .value_kind:     hidden_grid_dims
    .group_segment_fixed_size: 17440
    .kernarg_segment_align: 8
    .kernarg_segment_size: 352
    .language:       OpenCL C
    .language_version:
      - 2
      - 0
    .max_flat_workgroup_size: 256
    .name:           _ZN7rocprim17ROCPRIM_400000_NS6detail17trampoline_kernelINS0_14default_configENS1_36segmented_radix_sort_config_selectorI12hip_bfloat16lEEZNS1_25segmented_radix_sort_implIS3_Lb1EPKS5_PS5_PKlPlN2at6native12_GLOBAL__N_18offset_tEEE10hipError_tPvRmT1_PNSt15iterator_traitsISL_E10value_typeET2_T3_PNSM_ISR_E10value_typeET4_jRbjT5_SX_jjP12ihipStream_tbEUlT_E_NS1_11comp_targetILNS1_3genE8ELNS1_11target_archE1030ELNS1_3gpuE2ELNS1_3repE0EEENS1_30default_config_static_selectorELNS0_4arch9wavefront6targetE0EEEvSL_
    .private_segment_fixed_size: 0
    .sgpr_count:     58
    .sgpr_spill_count: 0
    .symbol:         _ZN7rocprim17ROCPRIM_400000_NS6detail17trampoline_kernelINS0_14default_configENS1_36segmented_radix_sort_config_selectorI12hip_bfloat16lEEZNS1_25segmented_radix_sort_implIS3_Lb1EPKS5_PS5_PKlPlN2at6native12_GLOBAL__N_18offset_tEEE10hipError_tPvRmT1_PNSt15iterator_traitsISL_E10value_typeET2_T3_PNSM_ISR_E10value_typeET4_jRbjT5_SX_jjP12ihipStream_tbEUlT_E_NS1_11comp_targetILNS1_3genE8ELNS1_11target_archE1030ELNS1_3gpuE2ELNS1_3repE0EEENS1_30default_config_static_selectorELNS0_4arch9wavefront6targetE0EEEvSL_.kd
    .uniform_work_group_size: 1
    .uses_dynamic_stack: false
    .vgpr_count:     184
    .vgpr_spill_count: 0
    .wavefront_size: 32
    .workgroup_processor_mode: 1
  - .args:
      - .offset:         0
        .size:           88
        .value_kind:     by_value
    .group_segment_fixed_size: 0
    .kernarg_segment_align: 8
    .kernarg_segment_size: 88
    .language:       OpenCL C
    .language_version:
      - 2
      - 0
    .max_flat_workgroup_size: 256
    .name:           _ZN7rocprim17ROCPRIM_400000_NS6detail17trampoline_kernelINS0_14default_configENS1_36segmented_radix_sort_config_selectorI12hip_bfloat16lEEZNS1_25segmented_radix_sort_implIS3_Lb1EPKS5_PS5_PKlPlN2at6native12_GLOBAL__N_18offset_tEEE10hipError_tPvRmT1_PNSt15iterator_traitsISL_E10value_typeET2_T3_PNSM_ISR_E10value_typeET4_jRbjT5_SX_jjP12ihipStream_tbEUlT_E0_NS1_11comp_targetILNS1_3genE0ELNS1_11target_archE4294967295ELNS1_3gpuE0ELNS1_3repE0EEENS1_60segmented_radix_sort_warp_sort_medium_config_static_selectorELNS0_4arch9wavefront6targetE0EEEvSL_
    .private_segment_fixed_size: 0
    .sgpr_count:     0
    .sgpr_spill_count: 0
    .symbol:         _ZN7rocprim17ROCPRIM_400000_NS6detail17trampoline_kernelINS0_14default_configENS1_36segmented_radix_sort_config_selectorI12hip_bfloat16lEEZNS1_25segmented_radix_sort_implIS3_Lb1EPKS5_PS5_PKlPlN2at6native12_GLOBAL__N_18offset_tEEE10hipError_tPvRmT1_PNSt15iterator_traitsISL_E10value_typeET2_T3_PNSM_ISR_E10value_typeET4_jRbjT5_SX_jjP12ihipStream_tbEUlT_E0_NS1_11comp_targetILNS1_3genE0ELNS1_11target_archE4294967295ELNS1_3gpuE0ELNS1_3repE0EEENS1_60segmented_radix_sort_warp_sort_medium_config_static_selectorELNS0_4arch9wavefront6targetE0EEEvSL_.kd
    .uniform_work_group_size: 1
    .uses_dynamic_stack: false
    .vgpr_count:     0
    .vgpr_spill_count: 0
    .wavefront_size: 32
    .workgroup_processor_mode: 1
  - .args:
      - .offset:         0
        .size:           88
        .value_kind:     by_value
    .group_segment_fixed_size: 0
    .kernarg_segment_align: 8
    .kernarg_segment_size: 88
    .language:       OpenCL C
    .language_version:
      - 2
      - 0
    .max_flat_workgroup_size: 256
    .name:           _ZN7rocprim17ROCPRIM_400000_NS6detail17trampoline_kernelINS0_14default_configENS1_36segmented_radix_sort_config_selectorI12hip_bfloat16lEEZNS1_25segmented_radix_sort_implIS3_Lb1EPKS5_PS5_PKlPlN2at6native12_GLOBAL__N_18offset_tEEE10hipError_tPvRmT1_PNSt15iterator_traitsISL_E10value_typeET2_T3_PNSM_ISR_E10value_typeET4_jRbjT5_SX_jjP12ihipStream_tbEUlT_E0_NS1_11comp_targetILNS1_3genE5ELNS1_11target_archE942ELNS1_3gpuE9ELNS1_3repE0EEENS1_60segmented_radix_sort_warp_sort_medium_config_static_selectorELNS0_4arch9wavefront6targetE0EEEvSL_
    .private_segment_fixed_size: 0
    .sgpr_count:     0
    .sgpr_spill_count: 0
    .symbol:         _ZN7rocprim17ROCPRIM_400000_NS6detail17trampoline_kernelINS0_14default_configENS1_36segmented_radix_sort_config_selectorI12hip_bfloat16lEEZNS1_25segmented_radix_sort_implIS3_Lb1EPKS5_PS5_PKlPlN2at6native12_GLOBAL__N_18offset_tEEE10hipError_tPvRmT1_PNSt15iterator_traitsISL_E10value_typeET2_T3_PNSM_ISR_E10value_typeET4_jRbjT5_SX_jjP12ihipStream_tbEUlT_E0_NS1_11comp_targetILNS1_3genE5ELNS1_11target_archE942ELNS1_3gpuE9ELNS1_3repE0EEENS1_60segmented_radix_sort_warp_sort_medium_config_static_selectorELNS0_4arch9wavefront6targetE0EEEvSL_.kd
    .uniform_work_group_size: 1
    .uses_dynamic_stack: false
    .vgpr_count:     0
    .vgpr_spill_count: 0
    .wavefront_size: 32
    .workgroup_processor_mode: 1
  - .args:
      - .offset:         0
        .size:           88
        .value_kind:     by_value
    .group_segment_fixed_size: 0
    .kernarg_segment_align: 8
    .kernarg_segment_size: 88
    .language:       OpenCL C
    .language_version:
      - 2
      - 0
    .max_flat_workgroup_size: 256
    .name:           _ZN7rocprim17ROCPRIM_400000_NS6detail17trampoline_kernelINS0_14default_configENS1_36segmented_radix_sort_config_selectorI12hip_bfloat16lEEZNS1_25segmented_radix_sort_implIS3_Lb1EPKS5_PS5_PKlPlN2at6native12_GLOBAL__N_18offset_tEEE10hipError_tPvRmT1_PNSt15iterator_traitsISL_E10value_typeET2_T3_PNSM_ISR_E10value_typeET4_jRbjT5_SX_jjP12ihipStream_tbEUlT_E0_NS1_11comp_targetILNS1_3genE4ELNS1_11target_archE910ELNS1_3gpuE8ELNS1_3repE0EEENS1_60segmented_radix_sort_warp_sort_medium_config_static_selectorELNS0_4arch9wavefront6targetE0EEEvSL_
    .private_segment_fixed_size: 0
    .sgpr_count:     0
    .sgpr_spill_count: 0
    .symbol:         _ZN7rocprim17ROCPRIM_400000_NS6detail17trampoline_kernelINS0_14default_configENS1_36segmented_radix_sort_config_selectorI12hip_bfloat16lEEZNS1_25segmented_radix_sort_implIS3_Lb1EPKS5_PS5_PKlPlN2at6native12_GLOBAL__N_18offset_tEEE10hipError_tPvRmT1_PNSt15iterator_traitsISL_E10value_typeET2_T3_PNSM_ISR_E10value_typeET4_jRbjT5_SX_jjP12ihipStream_tbEUlT_E0_NS1_11comp_targetILNS1_3genE4ELNS1_11target_archE910ELNS1_3gpuE8ELNS1_3repE0EEENS1_60segmented_radix_sort_warp_sort_medium_config_static_selectorELNS0_4arch9wavefront6targetE0EEEvSL_.kd
    .uniform_work_group_size: 1
    .uses_dynamic_stack: false
    .vgpr_count:     0
    .vgpr_spill_count: 0
    .wavefront_size: 32
    .workgroup_processor_mode: 1
  - .args:
      - .offset:         0
        .size:           88
        .value_kind:     by_value
    .group_segment_fixed_size: 0
    .kernarg_segment_align: 8
    .kernarg_segment_size: 88
    .language:       OpenCL C
    .language_version:
      - 2
      - 0
    .max_flat_workgroup_size: 256
    .name:           _ZN7rocprim17ROCPRIM_400000_NS6detail17trampoline_kernelINS0_14default_configENS1_36segmented_radix_sort_config_selectorI12hip_bfloat16lEEZNS1_25segmented_radix_sort_implIS3_Lb1EPKS5_PS5_PKlPlN2at6native12_GLOBAL__N_18offset_tEEE10hipError_tPvRmT1_PNSt15iterator_traitsISL_E10value_typeET2_T3_PNSM_ISR_E10value_typeET4_jRbjT5_SX_jjP12ihipStream_tbEUlT_E0_NS1_11comp_targetILNS1_3genE3ELNS1_11target_archE908ELNS1_3gpuE7ELNS1_3repE0EEENS1_60segmented_radix_sort_warp_sort_medium_config_static_selectorELNS0_4arch9wavefront6targetE0EEEvSL_
    .private_segment_fixed_size: 0
    .sgpr_count:     0
    .sgpr_spill_count: 0
    .symbol:         _ZN7rocprim17ROCPRIM_400000_NS6detail17trampoline_kernelINS0_14default_configENS1_36segmented_radix_sort_config_selectorI12hip_bfloat16lEEZNS1_25segmented_radix_sort_implIS3_Lb1EPKS5_PS5_PKlPlN2at6native12_GLOBAL__N_18offset_tEEE10hipError_tPvRmT1_PNSt15iterator_traitsISL_E10value_typeET2_T3_PNSM_ISR_E10value_typeET4_jRbjT5_SX_jjP12ihipStream_tbEUlT_E0_NS1_11comp_targetILNS1_3genE3ELNS1_11target_archE908ELNS1_3gpuE7ELNS1_3repE0EEENS1_60segmented_radix_sort_warp_sort_medium_config_static_selectorELNS0_4arch9wavefront6targetE0EEEvSL_.kd
    .uniform_work_group_size: 1
    .uses_dynamic_stack: false
    .vgpr_count:     0
    .vgpr_spill_count: 0
    .wavefront_size: 32
    .workgroup_processor_mode: 1
  - .args:
      - .offset:         0
        .size:           88
        .value_kind:     by_value
    .group_segment_fixed_size: 0
    .kernarg_segment_align: 8
    .kernarg_segment_size: 88
    .language:       OpenCL C
    .language_version:
      - 2
      - 0
    .max_flat_workgroup_size: 256
    .name:           _ZN7rocprim17ROCPRIM_400000_NS6detail17trampoline_kernelINS0_14default_configENS1_36segmented_radix_sort_config_selectorI12hip_bfloat16lEEZNS1_25segmented_radix_sort_implIS3_Lb1EPKS5_PS5_PKlPlN2at6native12_GLOBAL__N_18offset_tEEE10hipError_tPvRmT1_PNSt15iterator_traitsISL_E10value_typeET2_T3_PNSM_ISR_E10value_typeET4_jRbjT5_SX_jjP12ihipStream_tbEUlT_E0_NS1_11comp_targetILNS1_3genE2ELNS1_11target_archE906ELNS1_3gpuE6ELNS1_3repE0EEENS1_60segmented_radix_sort_warp_sort_medium_config_static_selectorELNS0_4arch9wavefront6targetE0EEEvSL_
    .private_segment_fixed_size: 0
    .sgpr_count:     0
    .sgpr_spill_count: 0
    .symbol:         _ZN7rocprim17ROCPRIM_400000_NS6detail17trampoline_kernelINS0_14default_configENS1_36segmented_radix_sort_config_selectorI12hip_bfloat16lEEZNS1_25segmented_radix_sort_implIS3_Lb1EPKS5_PS5_PKlPlN2at6native12_GLOBAL__N_18offset_tEEE10hipError_tPvRmT1_PNSt15iterator_traitsISL_E10value_typeET2_T3_PNSM_ISR_E10value_typeET4_jRbjT5_SX_jjP12ihipStream_tbEUlT_E0_NS1_11comp_targetILNS1_3genE2ELNS1_11target_archE906ELNS1_3gpuE6ELNS1_3repE0EEENS1_60segmented_radix_sort_warp_sort_medium_config_static_selectorELNS0_4arch9wavefront6targetE0EEEvSL_.kd
    .uniform_work_group_size: 1
    .uses_dynamic_stack: false
    .vgpr_count:     0
    .vgpr_spill_count: 0
    .wavefront_size: 32
    .workgroup_processor_mode: 1
  - .args:
      - .offset:         0
        .size:           88
        .value_kind:     by_value
    .group_segment_fixed_size: 0
    .kernarg_segment_align: 8
    .kernarg_segment_size: 88
    .language:       OpenCL C
    .language_version:
      - 2
      - 0
    .max_flat_workgroup_size: 256
    .name:           _ZN7rocprim17ROCPRIM_400000_NS6detail17trampoline_kernelINS0_14default_configENS1_36segmented_radix_sort_config_selectorI12hip_bfloat16lEEZNS1_25segmented_radix_sort_implIS3_Lb1EPKS5_PS5_PKlPlN2at6native12_GLOBAL__N_18offset_tEEE10hipError_tPvRmT1_PNSt15iterator_traitsISL_E10value_typeET2_T3_PNSM_ISR_E10value_typeET4_jRbjT5_SX_jjP12ihipStream_tbEUlT_E0_NS1_11comp_targetILNS1_3genE10ELNS1_11target_archE1201ELNS1_3gpuE5ELNS1_3repE0EEENS1_60segmented_radix_sort_warp_sort_medium_config_static_selectorELNS0_4arch9wavefront6targetE0EEEvSL_
    .private_segment_fixed_size: 0
    .sgpr_count:     0
    .sgpr_spill_count: 0
    .symbol:         _ZN7rocprim17ROCPRIM_400000_NS6detail17trampoline_kernelINS0_14default_configENS1_36segmented_radix_sort_config_selectorI12hip_bfloat16lEEZNS1_25segmented_radix_sort_implIS3_Lb1EPKS5_PS5_PKlPlN2at6native12_GLOBAL__N_18offset_tEEE10hipError_tPvRmT1_PNSt15iterator_traitsISL_E10value_typeET2_T3_PNSM_ISR_E10value_typeET4_jRbjT5_SX_jjP12ihipStream_tbEUlT_E0_NS1_11comp_targetILNS1_3genE10ELNS1_11target_archE1201ELNS1_3gpuE5ELNS1_3repE0EEENS1_60segmented_radix_sort_warp_sort_medium_config_static_selectorELNS0_4arch9wavefront6targetE0EEEvSL_.kd
    .uniform_work_group_size: 1
    .uses_dynamic_stack: false
    .vgpr_count:     0
    .vgpr_spill_count: 0
    .wavefront_size: 32
    .workgroup_processor_mode: 1
  - .args:
      - .offset:         0
        .size:           88
        .value_kind:     by_value
    .group_segment_fixed_size: 0
    .kernarg_segment_align: 8
    .kernarg_segment_size: 88
    .language:       OpenCL C
    .language_version:
      - 2
      - 0
    .max_flat_workgroup_size: 256
    .name:           _ZN7rocprim17ROCPRIM_400000_NS6detail17trampoline_kernelINS0_14default_configENS1_36segmented_radix_sort_config_selectorI12hip_bfloat16lEEZNS1_25segmented_radix_sort_implIS3_Lb1EPKS5_PS5_PKlPlN2at6native12_GLOBAL__N_18offset_tEEE10hipError_tPvRmT1_PNSt15iterator_traitsISL_E10value_typeET2_T3_PNSM_ISR_E10value_typeET4_jRbjT5_SX_jjP12ihipStream_tbEUlT_E0_NS1_11comp_targetILNS1_3genE10ELNS1_11target_archE1200ELNS1_3gpuE4ELNS1_3repE0EEENS1_60segmented_radix_sort_warp_sort_medium_config_static_selectorELNS0_4arch9wavefront6targetE0EEEvSL_
    .private_segment_fixed_size: 0
    .sgpr_count:     0
    .sgpr_spill_count: 0
    .symbol:         _ZN7rocprim17ROCPRIM_400000_NS6detail17trampoline_kernelINS0_14default_configENS1_36segmented_radix_sort_config_selectorI12hip_bfloat16lEEZNS1_25segmented_radix_sort_implIS3_Lb1EPKS5_PS5_PKlPlN2at6native12_GLOBAL__N_18offset_tEEE10hipError_tPvRmT1_PNSt15iterator_traitsISL_E10value_typeET2_T3_PNSM_ISR_E10value_typeET4_jRbjT5_SX_jjP12ihipStream_tbEUlT_E0_NS1_11comp_targetILNS1_3genE10ELNS1_11target_archE1200ELNS1_3gpuE4ELNS1_3repE0EEENS1_60segmented_radix_sort_warp_sort_medium_config_static_selectorELNS0_4arch9wavefront6targetE0EEEvSL_.kd
    .uniform_work_group_size: 1
    .uses_dynamic_stack: false
    .vgpr_count:     0
    .vgpr_spill_count: 0
    .wavefront_size: 32
    .workgroup_processor_mode: 1
  - .args:
      - .offset:         0
        .size:           88
        .value_kind:     by_value
    .group_segment_fixed_size: 0
    .kernarg_segment_align: 8
    .kernarg_segment_size: 88
    .language:       OpenCL C
    .language_version:
      - 2
      - 0
    .max_flat_workgroup_size: 256
    .name:           _ZN7rocprim17ROCPRIM_400000_NS6detail17trampoline_kernelINS0_14default_configENS1_36segmented_radix_sort_config_selectorI12hip_bfloat16lEEZNS1_25segmented_radix_sort_implIS3_Lb1EPKS5_PS5_PKlPlN2at6native12_GLOBAL__N_18offset_tEEE10hipError_tPvRmT1_PNSt15iterator_traitsISL_E10value_typeET2_T3_PNSM_ISR_E10value_typeET4_jRbjT5_SX_jjP12ihipStream_tbEUlT_E0_NS1_11comp_targetILNS1_3genE9ELNS1_11target_archE1100ELNS1_3gpuE3ELNS1_3repE0EEENS1_60segmented_radix_sort_warp_sort_medium_config_static_selectorELNS0_4arch9wavefront6targetE0EEEvSL_
    .private_segment_fixed_size: 0
    .sgpr_count:     0
    .sgpr_spill_count: 0
    .symbol:         _ZN7rocprim17ROCPRIM_400000_NS6detail17trampoline_kernelINS0_14default_configENS1_36segmented_radix_sort_config_selectorI12hip_bfloat16lEEZNS1_25segmented_radix_sort_implIS3_Lb1EPKS5_PS5_PKlPlN2at6native12_GLOBAL__N_18offset_tEEE10hipError_tPvRmT1_PNSt15iterator_traitsISL_E10value_typeET2_T3_PNSM_ISR_E10value_typeET4_jRbjT5_SX_jjP12ihipStream_tbEUlT_E0_NS1_11comp_targetILNS1_3genE9ELNS1_11target_archE1100ELNS1_3gpuE3ELNS1_3repE0EEENS1_60segmented_radix_sort_warp_sort_medium_config_static_selectorELNS0_4arch9wavefront6targetE0EEEvSL_.kd
    .uniform_work_group_size: 1
    .uses_dynamic_stack: false
    .vgpr_count:     0
    .vgpr_spill_count: 0
    .wavefront_size: 32
    .workgroup_processor_mode: 1
  - .args:
      - .offset:         0
        .size:           88
        .value_kind:     by_value
      - .offset:         88
        .size:           4
        .value_kind:     hidden_block_count_x
      - .offset:         92
        .size:           4
        .value_kind:     hidden_block_count_y
      - .offset:         96
        .size:           4
        .value_kind:     hidden_block_count_z
      - .offset:         100
        .size:           2
        .value_kind:     hidden_group_size_x
      - .offset:         102
        .size:           2
        .value_kind:     hidden_group_size_y
      - .offset:         104
        .size:           2
        .value_kind:     hidden_group_size_z
      - .offset:         106
        .size:           2
        .value_kind:     hidden_remainder_x
      - .offset:         108
        .size:           2
        .value_kind:     hidden_remainder_y
      - .offset:         110
        .size:           2
        .value_kind:     hidden_remainder_z
      - .offset:         128
        .size:           8
        .value_kind:     hidden_global_offset_x
      - .offset:         136
        .size:           8
        .value_kind:     hidden_global_offset_y
      - .offset:         144
        .size:           8
        .value_kind:     hidden_global_offset_z
      - .offset:         152
        .size:           2
        .value_kind:     hidden_grid_dims
    .group_segment_fixed_size: 20480
    .kernarg_segment_align: 8
    .kernarg_segment_size: 344
    .language:       OpenCL C
    .language_version:
      - 2
      - 0
    .max_flat_workgroup_size: 256
    .name:           _ZN7rocprim17ROCPRIM_400000_NS6detail17trampoline_kernelINS0_14default_configENS1_36segmented_radix_sort_config_selectorI12hip_bfloat16lEEZNS1_25segmented_radix_sort_implIS3_Lb1EPKS5_PS5_PKlPlN2at6native12_GLOBAL__N_18offset_tEEE10hipError_tPvRmT1_PNSt15iterator_traitsISL_E10value_typeET2_T3_PNSM_ISR_E10value_typeET4_jRbjT5_SX_jjP12ihipStream_tbEUlT_E0_NS1_11comp_targetILNS1_3genE8ELNS1_11target_archE1030ELNS1_3gpuE2ELNS1_3repE0EEENS1_60segmented_radix_sort_warp_sort_medium_config_static_selectorELNS0_4arch9wavefront6targetE0EEEvSL_
    .private_segment_fixed_size: 0
    .sgpr_count:     46
    .sgpr_spill_count: 0
    .symbol:         _ZN7rocprim17ROCPRIM_400000_NS6detail17trampoline_kernelINS0_14default_configENS1_36segmented_radix_sort_config_selectorI12hip_bfloat16lEEZNS1_25segmented_radix_sort_implIS3_Lb1EPKS5_PS5_PKlPlN2at6native12_GLOBAL__N_18offset_tEEE10hipError_tPvRmT1_PNSt15iterator_traitsISL_E10value_typeET2_T3_PNSM_ISR_E10value_typeET4_jRbjT5_SX_jjP12ihipStream_tbEUlT_E0_NS1_11comp_targetILNS1_3genE8ELNS1_11target_archE1030ELNS1_3gpuE2ELNS1_3repE0EEENS1_60segmented_radix_sort_warp_sort_medium_config_static_selectorELNS0_4arch9wavefront6targetE0EEEvSL_.kd
    .uniform_work_group_size: 1
    .uses_dynamic_stack: false
    .vgpr_count:     82
    .vgpr_spill_count: 0
    .wavefront_size: 32
    .workgroup_processor_mode: 1
  - .args:
      - .offset:         0
        .size:           88
        .value_kind:     by_value
    .group_segment_fixed_size: 0
    .kernarg_segment_align: 8
    .kernarg_segment_size: 88
    .language:       OpenCL C
    .language_version:
      - 2
      - 0
    .max_flat_workgroup_size: 256
    .name:           _ZN7rocprim17ROCPRIM_400000_NS6detail17trampoline_kernelINS0_14default_configENS1_36segmented_radix_sort_config_selectorI12hip_bfloat16lEEZNS1_25segmented_radix_sort_implIS3_Lb1EPKS5_PS5_PKlPlN2at6native12_GLOBAL__N_18offset_tEEE10hipError_tPvRmT1_PNSt15iterator_traitsISL_E10value_typeET2_T3_PNSM_ISR_E10value_typeET4_jRbjT5_SX_jjP12ihipStream_tbEUlT_E1_NS1_11comp_targetILNS1_3genE0ELNS1_11target_archE4294967295ELNS1_3gpuE0ELNS1_3repE0EEENS1_59segmented_radix_sort_warp_sort_small_config_static_selectorELNS0_4arch9wavefront6targetE0EEEvSL_
    .private_segment_fixed_size: 0
    .sgpr_count:     0
    .sgpr_spill_count: 0
    .symbol:         _ZN7rocprim17ROCPRIM_400000_NS6detail17trampoline_kernelINS0_14default_configENS1_36segmented_radix_sort_config_selectorI12hip_bfloat16lEEZNS1_25segmented_radix_sort_implIS3_Lb1EPKS5_PS5_PKlPlN2at6native12_GLOBAL__N_18offset_tEEE10hipError_tPvRmT1_PNSt15iterator_traitsISL_E10value_typeET2_T3_PNSM_ISR_E10value_typeET4_jRbjT5_SX_jjP12ihipStream_tbEUlT_E1_NS1_11comp_targetILNS1_3genE0ELNS1_11target_archE4294967295ELNS1_3gpuE0ELNS1_3repE0EEENS1_59segmented_radix_sort_warp_sort_small_config_static_selectorELNS0_4arch9wavefront6targetE0EEEvSL_.kd
    .uniform_work_group_size: 1
    .uses_dynamic_stack: false
    .vgpr_count:     0
    .vgpr_spill_count: 0
    .wavefront_size: 32
    .workgroup_processor_mode: 1
  - .args:
      - .offset:         0
        .size:           88
        .value_kind:     by_value
    .group_segment_fixed_size: 0
    .kernarg_segment_align: 8
    .kernarg_segment_size: 88
    .language:       OpenCL C
    .language_version:
      - 2
      - 0
    .max_flat_workgroup_size: 256
    .name:           _ZN7rocprim17ROCPRIM_400000_NS6detail17trampoline_kernelINS0_14default_configENS1_36segmented_radix_sort_config_selectorI12hip_bfloat16lEEZNS1_25segmented_radix_sort_implIS3_Lb1EPKS5_PS5_PKlPlN2at6native12_GLOBAL__N_18offset_tEEE10hipError_tPvRmT1_PNSt15iterator_traitsISL_E10value_typeET2_T3_PNSM_ISR_E10value_typeET4_jRbjT5_SX_jjP12ihipStream_tbEUlT_E1_NS1_11comp_targetILNS1_3genE5ELNS1_11target_archE942ELNS1_3gpuE9ELNS1_3repE0EEENS1_59segmented_radix_sort_warp_sort_small_config_static_selectorELNS0_4arch9wavefront6targetE0EEEvSL_
    .private_segment_fixed_size: 0
    .sgpr_count:     0
    .sgpr_spill_count: 0
    .symbol:         _ZN7rocprim17ROCPRIM_400000_NS6detail17trampoline_kernelINS0_14default_configENS1_36segmented_radix_sort_config_selectorI12hip_bfloat16lEEZNS1_25segmented_radix_sort_implIS3_Lb1EPKS5_PS5_PKlPlN2at6native12_GLOBAL__N_18offset_tEEE10hipError_tPvRmT1_PNSt15iterator_traitsISL_E10value_typeET2_T3_PNSM_ISR_E10value_typeET4_jRbjT5_SX_jjP12ihipStream_tbEUlT_E1_NS1_11comp_targetILNS1_3genE5ELNS1_11target_archE942ELNS1_3gpuE9ELNS1_3repE0EEENS1_59segmented_radix_sort_warp_sort_small_config_static_selectorELNS0_4arch9wavefront6targetE0EEEvSL_.kd
    .uniform_work_group_size: 1
    .uses_dynamic_stack: false
    .vgpr_count:     0
    .vgpr_spill_count: 0
    .wavefront_size: 32
    .workgroup_processor_mode: 1
  - .args:
      - .offset:         0
        .size:           88
        .value_kind:     by_value
    .group_segment_fixed_size: 0
    .kernarg_segment_align: 8
    .kernarg_segment_size: 88
    .language:       OpenCL C
    .language_version:
      - 2
      - 0
    .max_flat_workgroup_size: 256
    .name:           _ZN7rocprim17ROCPRIM_400000_NS6detail17trampoline_kernelINS0_14default_configENS1_36segmented_radix_sort_config_selectorI12hip_bfloat16lEEZNS1_25segmented_radix_sort_implIS3_Lb1EPKS5_PS5_PKlPlN2at6native12_GLOBAL__N_18offset_tEEE10hipError_tPvRmT1_PNSt15iterator_traitsISL_E10value_typeET2_T3_PNSM_ISR_E10value_typeET4_jRbjT5_SX_jjP12ihipStream_tbEUlT_E1_NS1_11comp_targetILNS1_3genE4ELNS1_11target_archE910ELNS1_3gpuE8ELNS1_3repE0EEENS1_59segmented_radix_sort_warp_sort_small_config_static_selectorELNS0_4arch9wavefront6targetE0EEEvSL_
    .private_segment_fixed_size: 0
    .sgpr_count:     0
    .sgpr_spill_count: 0
    .symbol:         _ZN7rocprim17ROCPRIM_400000_NS6detail17trampoline_kernelINS0_14default_configENS1_36segmented_radix_sort_config_selectorI12hip_bfloat16lEEZNS1_25segmented_radix_sort_implIS3_Lb1EPKS5_PS5_PKlPlN2at6native12_GLOBAL__N_18offset_tEEE10hipError_tPvRmT1_PNSt15iterator_traitsISL_E10value_typeET2_T3_PNSM_ISR_E10value_typeET4_jRbjT5_SX_jjP12ihipStream_tbEUlT_E1_NS1_11comp_targetILNS1_3genE4ELNS1_11target_archE910ELNS1_3gpuE8ELNS1_3repE0EEENS1_59segmented_radix_sort_warp_sort_small_config_static_selectorELNS0_4arch9wavefront6targetE0EEEvSL_.kd
    .uniform_work_group_size: 1
    .uses_dynamic_stack: false
    .vgpr_count:     0
    .vgpr_spill_count: 0
    .wavefront_size: 32
    .workgroup_processor_mode: 1
  - .args:
      - .offset:         0
        .size:           88
        .value_kind:     by_value
    .group_segment_fixed_size: 0
    .kernarg_segment_align: 8
    .kernarg_segment_size: 88
    .language:       OpenCL C
    .language_version:
      - 2
      - 0
    .max_flat_workgroup_size: 256
    .name:           _ZN7rocprim17ROCPRIM_400000_NS6detail17trampoline_kernelINS0_14default_configENS1_36segmented_radix_sort_config_selectorI12hip_bfloat16lEEZNS1_25segmented_radix_sort_implIS3_Lb1EPKS5_PS5_PKlPlN2at6native12_GLOBAL__N_18offset_tEEE10hipError_tPvRmT1_PNSt15iterator_traitsISL_E10value_typeET2_T3_PNSM_ISR_E10value_typeET4_jRbjT5_SX_jjP12ihipStream_tbEUlT_E1_NS1_11comp_targetILNS1_3genE3ELNS1_11target_archE908ELNS1_3gpuE7ELNS1_3repE0EEENS1_59segmented_radix_sort_warp_sort_small_config_static_selectorELNS0_4arch9wavefront6targetE0EEEvSL_
    .private_segment_fixed_size: 0
    .sgpr_count:     0
    .sgpr_spill_count: 0
    .symbol:         _ZN7rocprim17ROCPRIM_400000_NS6detail17trampoline_kernelINS0_14default_configENS1_36segmented_radix_sort_config_selectorI12hip_bfloat16lEEZNS1_25segmented_radix_sort_implIS3_Lb1EPKS5_PS5_PKlPlN2at6native12_GLOBAL__N_18offset_tEEE10hipError_tPvRmT1_PNSt15iterator_traitsISL_E10value_typeET2_T3_PNSM_ISR_E10value_typeET4_jRbjT5_SX_jjP12ihipStream_tbEUlT_E1_NS1_11comp_targetILNS1_3genE3ELNS1_11target_archE908ELNS1_3gpuE7ELNS1_3repE0EEENS1_59segmented_radix_sort_warp_sort_small_config_static_selectorELNS0_4arch9wavefront6targetE0EEEvSL_.kd
    .uniform_work_group_size: 1
    .uses_dynamic_stack: false
    .vgpr_count:     0
    .vgpr_spill_count: 0
    .wavefront_size: 32
    .workgroup_processor_mode: 1
  - .args:
      - .offset:         0
        .size:           88
        .value_kind:     by_value
    .group_segment_fixed_size: 0
    .kernarg_segment_align: 8
    .kernarg_segment_size: 88
    .language:       OpenCL C
    .language_version:
      - 2
      - 0
    .max_flat_workgroup_size: 256
    .name:           _ZN7rocprim17ROCPRIM_400000_NS6detail17trampoline_kernelINS0_14default_configENS1_36segmented_radix_sort_config_selectorI12hip_bfloat16lEEZNS1_25segmented_radix_sort_implIS3_Lb1EPKS5_PS5_PKlPlN2at6native12_GLOBAL__N_18offset_tEEE10hipError_tPvRmT1_PNSt15iterator_traitsISL_E10value_typeET2_T3_PNSM_ISR_E10value_typeET4_jRbjT5_SX_jjP12ihipStream_tbEUlT_E1_NS1_11comp_targetILNS1_3genE2ELNS1_11target_archE906ELNS1_3gpuE6ELNS1_3repE0EEENS1_59segmented_radix_sort_warp_sort_small_config_static_selectorELNS0_4arch9wavefront6targetE0EEEvSL_
    .private_segment_fixed_size: 0
    .sgpr_count:     0
    .sgpr_spill_count: 0
    .symbol:         _ZN7rocprim17ROCPRIM_400000_NS6detail17trampoline_kernelINS0_14default_configENS1_36segmented_radix_sort_config_selectorI12hip_bfloat16lEEZNS1_25segmented_radix_sort_implIS3_Lb1EPKS5_PS5_PKlPlN2at6native12_GLOBAL__N_18offset_tEEE10hipError_tPvRmT1_PNSt15iterator_traitsISL_E10value_typeET2_T3_PNSM_ISR_E10value_typeET4_jRbjT5_SX_jjP12ihipStream_tbEUlT_E1_NS1_11comp_targetILNS1_3genE2ELNS1_11target_archE906ELNS1_3gpuE6ELNS1_3repE0EEENS1_59segmented_radix_sort_warp_sort_small_config_static_selectorELNS0_4arch9wavefront6targetE0EEEvSL_.kd
    .uniform_work_group_size: 1
    .uses_dynamic_stack: false
    .vgpr_count:     0
    .vgpr_spill_count: 0
    .wavefront_size: 32
    .workgroup_processor_mode: 1
  - .args:
      - .offset:         0
        .size:           88
        .value_kind:     by_value
    .group_segment_fixed_size: 0
    .kernarg_segment_align: 8
    .kernarg_segment_size: 88
    .language:       OpenCL C
    .language_version:
      - 2
      - 0
    .max_flat_workgroup_size: 256
    .name:           _ZN7rocprim17ROCPRIM_400000_NS6detail17trampoline_kernelINS0_14default_configENS1_36segmented_radix_sort_config_selectorI12hip_bfloat16lEEZNS1_25segmented_radix_sort_implIS3_Lb1EPKS5_PS5_PKlPlN2at6native12_GLOBAL__N_18offset_tEEE10hipError_tPvRmT1_PNSt15iterator_traitsISL_E10value_typeET2_T3_PNSM_ISR_E10value_typeET4_jRbjT5_SX_jjP12ihipStream_tbEUlT_E1_NS1_11comp_targetILNS1_3genE10ELNS1_11target_archE1201ELNS1_3gpuE5ELNS1_3repE0EEENS1_59segmented_radix_sort_warp_sort_small_config_static_selectorELNS0_4arch9wavefront6targetE0EEEvSL_
    .private_segment_fixed_size: 0
    .sgpr_count:     0
    .sgpr_spill_count: 0
    .symbol:         _ZN7rocprim17ROCPRIM_400000_NS6detail17trampoline_kernelINS0_14default_configENS1_36segmented_radix_sort_config_selectorI12hip_bfloat16lEEZNS1_25segmented_radix_sort_implIS3_Lb1EPKS5_PS5_PKlPlN2at6native12_GLOBAL__N_18offset_tEEE10hipError_tPvRmT1_PNSt15iterator_traitsISL_E10value_typeET2_T3_PNSM_ISR_E10value_typeET4_jRbjT5_SX_jjP12ihipStream_tbEUlT_E1_NS1_11comp_targetILNS1_3genE10ELNS1_11target_archE1201ELNS1_3gpuE5ELNS1_3repE0EEENS1_59segmented_radix_sort_warp_sort_small_config_static_selectorELNS0_4arch9wavefront6targetE0EEEvSL_.kd
    .uniform_work_group_size: 1
    .uses_dynamic_stack: false
    .vgpr_count:     0
    .vgpr_spill_count: 0
    .wavefront_size: 32
    .workgroup_processor_mode: 1
  - .args:
      - .offset:         0
        .size:           88
        .value_kind:     by_value
    .group_segment_fixed_size: 0
    .kernarg_segment_align: 8
    .kernarg_segment_size: 88
    .language:       OpenCL C
    .language_version:
      - 2
      - 0
    .max_flat_workgroup_size: 256
    .name:           _ZN7rocprim17ROCPRIM_400000_NS6detail17trampoline_kernelINS0_14default_configENS1_36segmented_radix_sort_config_selectorI12hip_bfloat16lEEZNS1_25segmented_radix_sort_implIS3_Lb1EPKS5_PS5_PKlPlN2at6native12_GLOBAL__N_18offset_tEEE10hipError_tPvRmT1_PNSt15iterator_traitsISL_E10value_typeET2_T3_PNSM_ISR_E10value_typeET4_jRbjT5_SX_jjP12ihipStream_tbEUlT_E1_NS1_11comp_targetILNS1_3genE10ELNS1_11target_archE1200ELNS1_3gpuE4ELNS1_3repE0EEENS1_59segmented_radix_sort_warp_sort_small_config_static_selectorELNS0_4arch9wavefront6targetE0EEEvSL_
    .private_segment_fixed_size: 0
    .sgpr_count:     0
    .sgpr_spill_count: 0
    .symbol:         _ZN7rocprim17ROCPRIM_400000_NS6detail17trampoline_kernelINS0_14default_configENS1_36segmented_radix_sort_config_selectorI12hip_bfloat16lEEZNS1_25segmented_radix_sort_implIS3_Lb1EPKS5_PS5_PKlPlN2at6native12_GLOBAL__N_18offset_tEEE10hipError_tPvRmT1_PNSt15iterator_traitsISL_E10value_typeET2_T3_PNSM_ISR_E10value_typeET4_jRbjT5_SX_jjP12ihipStream_tbEUlT_E1_NS1_11comp_targetILNS1_3genE10ELNS1_11target_archE1200ELNS1_3gpuE4ELNS1_3repE0EEENS1_59segmented_radix_sort_warp_sort_small_config_static_selectorELNS0_4arch9wavefront6targetE0EEEvSL_.kd
    .uniform_work_group_size: 1
    .uses_dynamic_stack: false
    .vgpr_count:     0
    .vgpr_spill_count: 0
    .wavefront_size: 32
    .workgroup_processor_mode: 1
  - .args:
      - .offset:         0
        .size:           88
        .value_kind:     by_value
    .group_segment_fixed_size: 0
    .kernarg_segment_align: 8
    .kernarg_segment_size: 88
    .language:       OpenCL C
    .language_version:
      - 2
      - 0
    .max_flat_workgroup_size: 256
    .name:           _ZN7rocprim17ROCPRIM_400000_NS6detail17trampoline_kernelINS0_14default_configENS1_36segmented_radix_sort_config_selectorI12hip_bfloat16lEEZNS1_25segmented_radix_sort_implIS3_Lb1EPKS5_PS5_PKlPlN2at6native12_GLOBAL__N_18offset_tEEE10hipError_tPvRmT1_PNSt15iterator_traitsISL_E10value_typeET2_T3_PNSM_ISR_E10value_typeET4_jRbjT5_SX_jjP12ihipStream_tbEUlT_E1_NS1_11comp_targetILNS1_3genE9ELNS1_11target_archE1100ELNS1_3gpuE3ELNS1_3repE0EEENS1_59segmented_radix_sort_warp_sort_small_config_static_selectorELNS0_4arch9wavefront6targetE0EEEvSL_
    .private_segment_fixed_size: 0
    .sgpr_count:     0
    .sgpr_spill_count: 0
    .symbol:         _ZN7rocprim17ROCPRIM_400000_NS6detail17trampoline_kernelINS0_14default_configENS1_36segmented_radix_sort_config_selectorI12hip_bfloat16lEEZNS1_25segmented_radix_sort_implIS3_Lb1EPKS5_PS5_PKlPlN2at6native12_GLOBAL__N_18offset_tEEE10hipError_tPvRmT1_PNSt15iterator_traitsISL_E10value_typeET2_T3_PNSM_ISR_E10value_typeET4_jRbjT5_SX_jjP12ihipStream_tbEUlT_E1_NS1_11comp_targetILNS1_3genE9ELNS1_11target_archE1100ELNS1_3gpuE3ELNS1_3repE0EEENS1_59segmented_radix_sort_warp_sort_small_config_static_selectorELNS0_4arch9wavefront6targetE0EEEvSL_.kd
    .uniform_work_group_size: 1
    .uses_dynamic_stack: false
    .vgpr_count:     0
    .vgpr_spill_count: 0
    .wavefront_size: 32
    .workgroup_processor_mode: 1
  - .args:
      - .offset:         0
        .size:           88
        .value_kind:     by_value
      - .offset:         88
        .size:           4
        .value_kind:     hidden_block_count_x
      - .offset:         92
        .size:           4
        .value_kind:     hidden_block_count_y
      - .offset:         96
        .size:           4
        .value_kind:     hidden_block_count_z
      - .offset:         100
        .size:           2
        .value_kind:     hidden_group_size_x
      - .offset:         102
        .size:           2
        .value_kind:     hidden_group_size_y
      - .offset:         104
        .size:           2
        .value_kind:     hidden_group_size_z
      - .offset:         106
        .size:           2
        .value_kind:     hidden_remainder_x
      - .offset:         108
        .size:           2
        .value_kind:     hidden_remainder_y
      - .offset:         110
        .size:           2
        .value_kind:     hidden_remainder_z
      - .offset:         128
        .size:           8
        .value_kind:     hidden_global_offset_x
      - .offset:         136
        .size:           8
        .value_kind:     hidden_global_offset_y
      - .offset:         144
        .size:           8
        .value_kind:     hidden_global_offset_z
      - .offset:         152
        .size:           2
        .value_kind:     hidden_grid_dims
    .group_segment_fixed_size: 10240
    .kernarg_segment_align: 8
    .kernarg_segment_size: 344
    .language:       OpenCL C
    .language_version:
      - 2
      - 0
    .max_flat_workgroup_size: 256
    .name:           _ZN7rocprim17ROCPRIM_400000_NS6detail17trampoline_kernelINS0_14default_configENS1_36segmented_radix_sort_config_selectorI12hip_bfloat16lEEZNS1_25segmented_radix_sort_implIS3_Lb1EPKS5_PS5_PKlPlN2at6native12_GLOBAL__N_18offset_tEEE10hipError_tPvRmT1_PNSt15iterator_traitsISL_E10value_typeET2_T3_PNSM_ISR_E10value_typeET4_jRbjT5_SX_jjP12ihipStream_tbEUlT_E1_NS1_11comp_targetILNS1_3genE8ELNS1_11target_archE1030ELNS1_3gpuE2ELNS1_3repE0EEENS1_59segmented_radix_sort_warp_sort_small_config_static_selectorELNS0_4arch9wavefront6targetE0EEEvSL_
    .private_segment_fixed_size: 0
    .sgpr_count:     35
    .sgpr_spill_count: 0
    .symbol:         _ZN7rocprim17ROCPRIM_400000_NS6detail17trampoline_kernelINS0_14default_configENS1_36segmented_radix_sort_config_selectorI12hip_bfloat16lEEZNS1_25segmented_radix_sort_implIS3_Lb1EPKS5_PS5_PKlPlN2at6native12_GLOBAL__N_18offset_tEEE10hipError_tPvRmT1_PNSt15iterator_traitsISL_E10value_typeET2_T3_PNSM_ISR_E10value_typeET4_jRbjT5_SX_jjP12ihipStream_tbEUlT_E1_NS1_11comp_targetILNS1_3genE8ELNS1_11target_archE1030ELNS1_3gpuE2ELNS1_3repE0EEENS1_59segmented_radix_sort_warp_sort_small_config_static_selectorELNS0_4arch9wavefront6targetE0EEEvSL_.kd
    .uniform_work_group_size: 1
    .uses_dynamic_stack: false
    .vgpr_count:     65
    .vgpr_spill_count: 0
    .wavefront_size: 32
    .workgroup_processor_mode: 1
  - .args:
      - .offset:         0
        .size:           80
        .value_kind:     by_value
    .group_segment_fixed_size: 0
    .kernarg_segment_align: 8
    .kernarg_segment_size: 80
    .language:       OpenCL C
    .language_version:
      - 2
      - 0
    .max_flat_workgroup_size: 256
    .name:           _ZN7rocprim17ROCPRIM_400000_NS6detail17trampoline_kernelINS0_14default_configENS1_36segmented_radix_sort_config_selectorI12hip_bfloat16lEEZNS1_25segmented_radix_sort_implIS3_Lb1EPKS5_PS5_PKlPlN2at6native12_GLOBAL__N_18offset_tEEE10hipError_tPvRmT1_PNSt15iterator_traitsISL_E10value_typeET2_T3_PNSM_ISR_E10value_typeET4_jRbjT5_SX_jjP12ihipStream_tbEUlT_E2_NS1_11comp_targetILNS1_3genE0ELNS1_11target_archE4294967295ELNS1_3gpuE0ELNS1_3repE0EEENS1_30default_config_static_selectorELNS0_4arch9wavefront6targetE0EEEvSL_
    .private_segment_fixed_size: 0
    .sgpr_count:     0
    .sgpr_spill_count: 0
    .symbol:         _ZN7rocprim17ROCPRIM_400000_NS6detail17trampoline_kernelINS0_14default_configENS1_36segmented_radix_sort_config_selectorI12hip_bfloat16lEEZNS1_25segmented_radix_sort_implIS3_Lb1EPKS5_PS5_PKlPlN2at6native12_GLOBAL__N_18offset_tEEE10hipError_tPvRmT1_PNSt15iterator_traitsISL_E10value_typeET2_T3_PNSM_ISR_E10value_typeET4_jRbjT5_SX_jjP12ihipStream_tbEUlT_E2_NS1_11comp_targetILNS1_3genE0ELNS1_11target_archE4294967295ELNS1_3gpuE0ELNS1_3repE0EEENS1_30default_config_static_selectorELNS0_4arch9wavefront6targetE0EEEvSL_.kd
    .uniform_work_group_size: 1
    .uses_dynamic_stack: false
    .vgpr_count:     0
    .vgpr_spill_count: 0
    .wavefront_size: 32
    .workgroup_processor_mode: 1
  - .args:
      - .offset:         0
        .size:           80
        .value_kind:     by_value
    .group_segment_fixed_size: 0
    .kernarg_segment_align: 8
    .kernarg_segment_size: 80
    .language:       OpenCL C
    .language_version:
      - 2
      - 0
    .max_flat_workgroup_size: 256
    .name:           _ZN7rocprim17ROCPRIM_400000_NS6detail17trampoline_kernelINS0_14default_configENS1_36segmented_radix_sort_config_selectorI12hip_bfloat16lEEZNS1_25segmented_radix_sort_implIS3_Lb1EPKS5_PS5_PKlPlN2at6native12_GLOBAL__N_18offset_tEEE10hipError_tPvRmT1_PNSt15iterator_traitsISL_E10value_typeET2_T3_PNSM_ISR_E10value_typeET4_jRbjT5_SX_jjP12ihipStream_tbEUlT_E2_NS1_11comp_targetILNS1_3genE5ELNS1_11target_archE942ELNS1_3gpuE9ELNS1_3repE0EEENS1_30default_config_static_selectorELNS0_4arch9wavefront6targetE0EEEvSL_
    .private_segment_fixed_size: 0
    .sgpr_count:     0
    .sgpr_spill_count: 0
    .symbol:         _ZN7rocprim17ROCPRIM_400000_NS6detail17trampoline_kernelINS0_14default_configENS1_36segmented_radix_sort_config_selectorI12hip_bfloat16lEEZNS1_25segmented_radix_sort_implIS3_Lb1EPKS5_PS5_PKlPlN2at6native12_GLOBAL__N_18offset_tEEE10hipError_tPvRmT1_PNSt15iterator_traitsISL_E10value_typeET2_T3_PNSM_ISR_E10value_typeET4_jRbjT5_SX_jjP12ihipStream_tbEUlT_E2_NS1_11comp_targetILNS1_3genE5ELNS1_11target_archE942ELNS1_3gpuE9ELNS1_3repE0EEENS1_30default_config_static_selectorELNS0_4arch9wavefront6targetE0EEEvSL_.kd
    .uniform_work_group_size: 1
    .uses_dynamic_stack: false
    .vgpr_count:     0
    .vgpr_spill_count: 0
    .wavefront_size: 32
    .workgroup_processor_mode: 1
  - .args:
      - .offset:         0
        .size:           80
        .value_kind:     by_value
    .group_segment_fixed_size: 0
    .kernarg_segment_align: 8
    .kernarg_segment_size: 80
    .language:       OpenCL C
    .language_version:
      - 2
      - 0
    .max_flat_workgroup_size: 256
    .name:           _ZN7rocprim17ROCPRIM_400000_NS6detail17trampoline_kernelINS0_14default_configENS1_36segmented_radix_sort_config_selectorI12hip_bfloat16lEEZNS1_25segmented_radix_sort_implIS3_Lb1EPKS5_PS5_PKlPlN2at6native12_GLOBAL__N_18offset_tEEE10hipError_tPvRmT1_PNSt15iterator_traitsISL_E10value_typeET2_T3_PNSM_ISR_E10value_typeET4_jRbjT5_SX_jjP12ihipStream_tbEUlT_E2_NS1_11comp_targetILNS1_3genE4ELNS1_11target_archE910ELNS1_3gpuE8ELNS1_3repE0EEENS1_30default_config_static_selectorELNS0_4arch9wavefront6targetE0EEEvSL_
    .private_segment_fixed_size: 0
    .sgpr_count:     0
    .sgpr_spill_count: 0
    .symbol:         _ZN7rocprim17ROCPRIM_400000_NS6detail17trampoline_kernelINS0_14default_configENS1_36segmented_radix_sort_config_selectorI12hip_bfloat16lEEZNS1_25segmented_radix_sort_implIS3_Lb1EPKS5_PS5_PKlPlN2at6native12_GLOBAL__N_18offset_tEEE10hipError_tPvRmT1_PNSt15iterator_traitsISL_E10value_typeET2_T3_PNSM_ISR_E10value_typeET4_jRbjT5_SX_jjP12ihipStream_tbEUlT_E2_NS1_11comp_targetILNS1_3genE4ELNS1_11target_archE910ELNS1_3gpuE8ELNS1_3repE0EEENS1_30default_config_static_selectorELNS0_4arch9wavefront6targetE0EEEvSL_.kd
    .uniform_work_group_size: 1
    .uses_dynamic_stack: false
    .vgpr_count:     0
    .vgpr_spill_count: 0
    .wavefront_size: 32
    .workgroup_processor_mode: 1
  - .args:
      - .offset:         0
        .size:           80
        .value_kind:     by_value
    .group_segment_fixed_size: 0
    .kernarg_segment_align: 8
    .kernarg_segment_size: 80
    .language:       OpenCL C
    .language_version:
      - 2
      - 0
    .max_flat_workgroup_size: 256
    .name:           _ZN7rocprim17ROCPRIM_400000_NS6detail17trampoline_kernelINS0_14default_configENS1_36segmented_radix_sort_config_selectorI12hip_bfloat16lEEZNS1_25segmented_radix_sort_implIS3_Lb1EPKS5_PS5_PKlPlN2at6native12_GLOBAL__N_18offset_tEEE10hipError_tPvRmT1_PNSt15iterator_traitsISL_E10value_typeET2_T3_PNSM_ISR_E10value_typeET4_jRbjT5_SX_jjP12ihipStream_tbEUlT_E2_NS1_11comp_targetILNS1_3genE3ELNS1_11target_archE908ELNS1_3gpuE7ELNS1_3repE0EEENS1_30default_config_static_selectorELNS0_4arch9wavefront6targetE0EEEvSL_
    .private_segment_fixed_size: 0
    .sgpr_count:     0
    .sgpr_spill_count: 0
    .symbol:         _ZN7rocprim17ROCPRIM_400000_NS6detail17trampoline_kernelINS0_14default_configENS1_36segmented_radix_sort_config_selectorI12hip_bfloat16lEEZNS1_25segmented_radix_sort_implIS3_Lb1EPKS5_PS5_PKlPlN2at6native12_GLOBAL__N_18offset_tEEE10hipError_tPvRmT1_PNSt15iterator_traitsISL_E10value_typeET2_T3_PNSM_ISR_E10value_typeET4_jRbjT5_SX_jjP12ihipStream_tbEUlT_E2_NS1_11comp_targetILNS1_3genE3ELNS1_11target_archE908ELNS1_3gpuE7ELNS1_3repE0EEENS1_30default_config_static_selectorELNS0_4arch9wavefront6targetE0EEEvSL_.kd
    .uniform_work_group_size: 1
    .uses_dynamic_stack: false
    .vgpr_count:     0
    .vgpr_spill_count: 0
    .wavefront_size: 32
    .workgroup_processor_mode: 1
  - .args:
      - .offset:         0
        .size:           80
        .value_kind:     by_value
    .group_segment_fixed_size: 0
    .kernarg_segment_align: 8
    .kernarg_segment_size: 80
    .language:       OpenCL C
    .language_version:
      - 2
      - 0
    .max_flat_workgroup_size: 256
    .name:           _ZN7rocprim17ROCPRIM_400000_NS6detail17trampoline_kernelINS0_14default_configENS1_36segmented_radix_sort_config_selectorI12hip_bfloat16lEEZNS1_25segmented_radix_sort_implIS3_Lb1EPKS5_PS5_PKlPlN2at6native12_GLOBAL__N_18offset_tEEE10hipError_tPvRmT1_PNSt15iterator_traitsISL_E10value_typeET2_T3_PNSM_ISR_E10value_typeET4_jRbjT5_SX_jjP12ihipStream_tbEUlT_E2_NS1_11comp_targetILNS1_3genE2ELNS1_11target_archE906ELNS1_3gpuE6ELNS1_3repE0EEENS1_30default_config_static_selectorELNS0_4arch9wavefront6targetE0EEEvSL_
    .private_segment_fixed_size: 0
    .sgpr_count:     0
    .sgpr_spill_count: 0
    .symbol:         _ZN7rocprim17ROCPRIM_400000_NS6detail17trampoline_kernelINS0_14default_configENS1_36segmented_radix_sort_config_selectorI12hip_bfloat16lEEZNS1_25segmented_radix_sort_implIS3_Lb1EPKS5_PS5_PKlPlN2at6native12_GLOBAL__N_18offset_tEEE10hipError_tPvRmT1_PNSt15iterator_traitsISL_E10value_typeET2_T3_PNSM_ISR_E10value_typeET4_jRbjT5_SX_jjP12ihipStream_tbEUlT_E2_NS1_11comp_targetILNS1_3genE2ELNS1_11target_archE906ELNS1_3gpuE6ELNS1_3repE0EEENS1_30default_config_static_selectorELNS0_4arch9wavefront6targetE0EEEvSL_.kd
    .uniform_work_group_size: 1
    .uses_dynamic_stack: false
    .vgpr_count:     0
    .vgpr_spill_count: 0
    .wavefront_size: 32
    .workgroup_processor_mode: 1
  - .args:
      - .offset:         0
        .size:           80
        .value_kind:     by_value
    .group_segment_fixed_size: 0
    .kernarg_segment_align: 8
    .kernarg_segment_size: 80
    .language:       OpenCL C
    .language_version:
      - 2
      - 0
    .max_flat_workgroup_size: 256
    .name:           _ZN7rocprim17ROCPRIM_400000_NS6detail17trampoline_kernelINS0_14default_configENS1_36segmented_radix_sort_config_selectorI12hip_bfloat16lEEZNS1_25segmented_radix_sort_implIS3_Lb1EPKS5_PS5_PKlPlN2at6native12_GLOBAL__N_18offset_tEEE10hipError_tPvRmT1_PNSt15iterator_traitsISL_E10value_typeET2_T3_PNSM_ISR_E10value_typeET4_jRbjT5_SX_jjP12ihipStream_tbEUlT_E2_NS1_11comp_targetILNS1_3genE10ELNS1_11target_archE1201ELNS1_3gpuE5ELNS1_3repE0EEENS1_30default_config_static_selectorELNS0_4arch9wavefront6targetE0EEEvSL_
    .private_segment_fixed_size: 0
    .sgpr_count:     0
    .sgpr_spill_count: 0
    .symbol:         _ZN7rocprim17ROCPRIM_400000_NS6detail17trampoline_kernelINS0_14default_configENS1_36segmented_radix_sort_config_selectorI12hip_bfloat16lEEZNS1_25segmented_radix_sort_implIS3_Lb1EPKS5_PS5_PKlPlN2at6native12_GLOBAL__N_18offset_tEEE10hipError_tPvRmT1_PNSt15iterator_traitsISL_E10value_typeET2_T3_PNSM_ISR_E10value_typeET4_jRbjT5_SX_jjP12ihipStream_tbEUlT_E2_NS1_11comp_targetILNS1_3genE10ELNS1_11target_archE1201ELNS1_3gpuE5ELNS1_3repE0EEENS1_30default_config_static_selectorELNS0_4arch9wavefront6targetE0EEEvSL_.kd
    .uniform_work_group_size: 1
    .uses_dynamic_stack: false
    .vgpr_count:     0
    .vgpr_spill_count: 0
    .wavefront_size: 32
    .workgroup_processor_mode: 1
  - .args:
      - .offset:         0
        .size:           80
        .value_kind:     by_value
    .group_segment_fixed_size: 0
    .kernarg_segment_align: 8
    .kernarg_segment_size: 80
    .language:       OpenCL C
    .language_version:
      - 2
      - 0
    .max_flat_workgroup_size: 128
    .name:           _ZN7rocprim17ROCPRIM_400000_NS6detail17trampoline_kernelINS0_14default_configENS1_36segmented_radix_sort_config_selectorI12hip_bfloat16lEEZNS1_25segmented_radix_sort_implIS3_Lb1EPKS5_PS5_PKlPlN2at6native12_GLOBAL__N_18offset_tEEE10hipError_tPvRmT1_PNSt15iterator_traitsISL_E10value_typeET2_T3_PNSM_ISR_E10value_typeET4_jRbjT5_SX_jjP12ihipStream_tbEUlT_E2_NS1_11comp_targetILNS1_3genE10ELNS1_11target_archE1200ELNS1_3gpuE4ELNS1_3repE0EEENS1_30default_config_static_selectorELNS0_4arch9wavefront6targetE0EEEvSL_
    .private_segment_fixed_size: 0
    .sgpr_count:     0
    .sgpr_spill_count: 0
    .symbol:         _ZN7rocprim17ROCPRIM_400000_NS6detail17trampoline_kernelINS0_14default_configENS1_36segmented_radix_sort_config_selectorI12hip_bfloat16lEEZNS1_25segmented_radix_sort_implIS3_Lb1EPKS5_PS5_PKlPlN2at6native12_GLOBAL__N_18offset_tEEE10hipError_tPvRmT1_PNSt15iterator_traitsISL_E10value_typeET2_T3_PNSM_ISR_E10value_typeET4_jRbjT5_SX_jjP12ihipStream_tbEUlT_E2_NS1_11comp_targetILNS1_3genE10ELNS1_11target_archE1200ELNS1_3gpuE4ELNS1_3repE0EEENS1_30default_config_static_selectorELNS0_4arch9wavefront6targetE0EEEvSL_.kd
    .uniform_work_group_size: 1
    .uses_dynamic_stack: false
    .vgpr_count:     0
    .vgpr_spill_count: 0
    .wavefront_size: 32
    .workgroup_processor_mode: 1
  - .args:
      - .offset:         0
        .size:           80
        .value_kind:     by_value
    .group_segment_fixed_size: 0
    .kernarg_segment_align: 8
    .kernarg_segment_size: 80
    .language:       OpenCL C
    .language_version:
      - 2
      - 0
    .max_flat_workgroup_size: 256
    .name:           _ZN7rocprim17ROCPRIM_400000_NS6detail17trampoline_kernelINS0_14default_configENS1_36segmented_radix_sort_config_selectorI12hip_bfloat16lEEZNS1_25segmented_radix_sort_implIS3_Lb1EPKS5_PS5_PKlPlN2at6native12_GLOBAL__N_18offset_tEEE10hipError_tPvRmT1_PNSt15iterator_traitsISL_E10value_typeET2_T3_PNSM_ISR_E10value_typeET4_jRbjT5_SX_jjP12ihipStream_tbEUlT_E2_NS1_11comp_targetILNS1_3genE9ELNS1_11target_archE1100ELNS1_3gpuE3ELNS1_3repE0EEENS1_30default_config_static_selectorELNS0_4arch9wavefront6targetE0EEEvSL_
    .private_segment_fixed_size: 0
    .sgpr_count:     0
    .sgpr_spill_count: 0
    .symbol:         _ZN7rocprim17ROCPRIM_400000_NS6detail17trampoline_kernelINS0_14default_configENS1_36segmented_radix_sort_config_selectorI12hip_bfloat16lEEZNS1_25segmented_radix_sort_implIS3_Lb1EPKS5_PS5_PKlPlN2at6native12_GLOBAL__N_18offset_tEEE10hipError_tPvRmT1_PNSt15iterator_traitsISL_E10value_typeET2_T3_PNSM_ISR_E10value_typeET4_jRbjT5_SX_jjP12ihipStream_tbEUlT_E2_NS1_11comp_targetILNS1_3genE9ELNS1_11target_archE1100ELNS1_3gpuE3ELNS1_3repE0EEENS1_30default_config_static_selectorELNS0_4arch9wavefront6targetE0EEEvSL_.kd
    .uniform_work_group_size: 1
    .uses_dynamic_stack: false
    .vgpr_count:     0
    .vgpr_spill_count: 0
    .wavefront_size: 32
    .workgroup_processor_mode: 1
  - .args:
      - .offset:         0
        .size:           80
        .value_kind:     by_value
      - .offset:         80
        .size:           4
        .value_kind:     hidden_block_count_x
      - .offset:         84
        .size:           4
        .value_kind:     hidden_block_count_y
      - .offset:         88
        .size:           4
        .value_kind:     hidden_block_count_z
      - .offset:         92
        .size:           2
        .value_kind:     hidden_group_size_x
      - .offset:         94
        .size:           2
        .value_kind:     hidden_group_size_y
      - .offset:         96
        .size:           2
        .value_kind:     hidden_group_size_z
      - .offset:         98
        .size:           2
        .value_kind:     hidden_remainder_x
      - .offset:         100
        .size:           2
        .value_kind:     hidden_remainder_y
      - .offset:         102
        .size:           2
        .value_kind:     hidden_remainder_z
      - .offset:         120
        .size:           8
        .value_kind:     hidden_global_offset_x
      - .offset:         128
        .size:           8
        .value_kind:     hidden_global_offset_y
      - .offset:         136
        .size:           8
        .value_kind:     hidden_global_offset_z
      - .offset:         144
        .size:           2
        .value_kind:     hidden_grid_dims
    .group_segment_fixed_size: 17440
    .kernarg_segment_align: 8
    .kernarg_segment_size: 336
    .language:       OpenCL C
    .language_version:
      - 2
      - 0
    .max_flat_workgroup_size: 256
    .name:           _ZN7rocprim17ROCPRIM_400000_NS6detail17trampoline_kernelINS0_14default_configENS1_36segmented_radix_sort_config_selectorI12hip_bfloat16lEEZNS1_25segmented_radix_sort_implIS3_Lb1EPKS5_PS5_PKlPlN2at6native12_GLOBAL__N_18offset_tEEE10hipError_tPvRmT1_PNSt15iterator_traitsISL_E10value_typeET2_T3_PNSM_ISR_E10value_typeET4_jRbjT5_SX_jjP12ihipStream_tbEUlT_E2_NS1_11comp_targetILNS1_3genE8ELNS1_11target_archE1030ELNS1_3gpuE2ELNS1_3repE0EEENS1_30default_config_static_selectorELNS0_4arch9wavefront6targetE0EEEvSL_
    .private_segment_fixed_size: 0
    .sgpr_count:     58
    .sgpr_spill_count: 0
    .symbol:         _ZN7rocprim17ROCPRIM_400000_NS6detail17trampoline_kernelINS0_14default_configENS1_36segmented_radix_sort_config_selectorI12hip_bfloat16lEEZNS1_25segmented_radix_sort_implIS3_Lb1EPKS5_PS5_PKlPlN2at6native12_GLOBAL__N_18offset_tEEE10hipError_tPvRmT1_PNSt15iterator_traitsISL_E10value_typeET2_T3_PNSM_ISR_E10value_typeET4_jRbjT5_SX_jjP12ihipStream_tbEUlT_E2_NS1_11comp_targetILNS1_3genE8ELNS1_11target_archE1030ELNS1_3gpuE2ELNS1_3repE0EEENS1_30default_config_static_selectorELNS0_4arch9wavefront6targetE0EEEvSL_.kd
    .uniform_work_group_size: 1
    .uses_dynamic_stack: false
    .vgpr_count:     184
    .vgpr_spill_count: 0
    .wavefront_size: 32
    .workgroup_processor_mode: 1
  - .args:
      - .offset:         0
        .size:           176
        .value_kind:     by_value
    .group_segment_fixed_size: 0
    .kernarg_segment_align: 8
    .kernarg_segment_size: 176
    .language:       OpenCL C
    .language_version:
      - 2
      - 0
    .max_flat_workgroup_size: 256
    .name:           _ZN7rocprim17ROCPRIM_400000_NS6detail17trampoline_kernelINS0_13select_configILj256ELj13ELNS0_17block_load_methodE3ELS4_3ELS4_3ELNS0_20block_scan_algorithmE0ELj4294967295EEENS1_25partition_config_selectorILNS1_17partition_subalgoE4EjNS0_10empty_typeEbEEZZNS1_14partition_implILS8_4ELb0ES6_15HIP_vector_typeIjLj2EENS0_17counting_iteratorIjlEEPS9_SG_NS0_5tupleIJPjSI_NS0_16reverse_iteratorISI_EEEEENSH_IJSG_SG_SG_EEES9_SI_JZNS1_25segmented_radix_sort_implINS0_14default_configELb0EPK12hip_bfloat16PSP_PKlPlN2at6native12_GLOBAL__N_18offset_tEEE10hipError_tPvRmT1_PNSt15iterator_traitsIS13_E10value_typeET2_T3_PNS14_IS19_E10value_typeET4_jRbjT5_S1F_jjP12ihipStream_tbEUljE_ZNSN_ISO_Lb0ESR_SS_SU_SV_SZ_EES10_S11_S12_S13_S17_S18_S19_S1C_S1D_jS1E_jS1F_S1F_jjS1H_bEUljE0_EEES10_S11_S12_S19_S1D_S1F_T6_T7_T9_mT8_S1H_bDpT10_ENKUlT_T0_E_clISt17integral_constantIbLb0EES1V_EEDaS1Q_S1R_EUlS1Q_E_NS1_11comp_targetILNS1_3genE0ELNS1_11target_archE4294967295ELNS1_3gpuE0ELNS1_3repE0EEENS1_30default_config_static_selectorELNS0_4arch9wavefront6targetE0EEEvS13_
    .private_segment_fixed_size: 0
    .sgpr_count:     0
    .sgpr_spill_count: 0
    .symbol:         _ZN7rocprim17ROCPRIM_400000_NS6detail17trampoline_kernelINS0_13select_configILj256ELj13ELNS0_17block_load_methodE3ELS4_3ELS4_3ELNS0_20block_scan_algorithmE0ELj4294967295EEENS1_25partition_config_selectorILNS1_17partition_subalgoE4EjNS0_10empty_typeEbEEZZNS1_14partition_implILS8_4ELb0ES6_15HIP_vector_typeIjLj2EENS0_17counting_iteratorIjlEEPS9_SG_NS0_5tupleIJPjSI_NS0_16reverse_iteratorISI_EEEEENSH_IJSG_SG_SG_EEES9_SI_JZNS1_25segmented_radix_sort_implINS0_14default_configELb0EPK12hip_bfloat16PSP_PKlPlN2at6native12_GLOBAL__N_18offset_tEEE10hipError_tPvRmT1_PNSt15iterator_traitsIS13_E10value_typeET2_T3_PNS14_IS19_E10value_typeET4_jRbjT5_S1F_jjP12ihipStream_tbEUljE_ZNSN_ISO_Lb0ESR_SS_SU_SV_SZ_EES10_S11_S12_S13_S17_S18_S19_S1C_S1D_jS1E_jS1F_S1F_jjS1H_bEUljE0_EEES10_S11_S12_S19_S1D_S1F_T6_T7_T9_mT8_S1H_bDpT10_ENKUlT_T0_E_clISt17integral_constantIbLb0EES1V_EEDaS1Q_S1R_EUlS1Q_E_NS1_11comp_targetILNS1_3genE0ELNS1_11target_archE4294967295ELNS1_3gpuE0ELNS1_3repE0EEENS1_30default_config_static_selectorELNS0_4arch9wavefront6targetE0EEEvS13_.kd
    .uniform_work_group_size: 1
    .uses_dynamic_stack: false
    .vgpr_count:     0
    .vgpr_spill_count: 0
    .wavefront_size: 32
    .workgroup_processor_mode: 1
  - .args:
      - .offset:         0
        .size:           176
        .value_kind:     by_value
    .group_segment_fixed_size: 0
    .kernarg_segment_align: 8
    .kernarg_segment_size: 176
    .language:       OpenCL C
    .language_version:
      - 2
      - 0
    .max_flat_workgroup_size: 256
    .name:           _ZN7rocprim17ROCPRIM_400000_NS6detail17trampoline_kernelINS0_13select_configILj256ELj13ELNS0_17block_load_methodE3ELS4_3ELS4_3ELNS0_20block_scan_algorithmE0ELj4294967295EEENS1_25partition_config_selectorILNS1_17partition_subalgoE4EjNS0_10empty_typeEbEEZZNS1_14partition_implILS8_4ELb0ES6_15HIP_vector_typeIjLj2EENS0_17counting_iteratorIjlEEPS9_SG_NS0_5tupleIJPjSI_NS0_16reverse_iteratorISI_EEEEENSH_IJSG_SG_SG_EEES9_SI_JZNS1_25segmented_radix_sort_implINS0_14default_configELb0EPK12hip_bfloat16PSP_PKlPlN2at6native12_GLOBAL__N_18offset_tEEE10hipError_tPvRmT1_PNSt15iterator_traitsIS13_E10value_typeET2_T3_PNS14_IS19_E10value_typeET4_jRbjT5_S1F_jjP12ihipStream_tbEUljE_ZNSN_ISO_Lb0ESR_SS_SU_SV_SZ_EES10_S11_S12_S13_S17_S18_S19_S1C_S1D_jS1E_jS1F_S1F_jjS1H_bEUljE0_EEES10_S11_S12_S19_S1D_S1F_T6_T7_T9_mT8_S1H_bDpT10_ENKUlT_T0_E_clISt17integral_constantIbLb0EES1V_EEDaS1Q_S1R_EUlS1Q_E_NS1_11comp_targetILNS1_3genE5ELNS1_11target_archE942ELNS1_3gpuE9ELNS1_3repE0EEENS1_30default_config_static_selectorELNS0_4arch9wavefront6targetE0EEEvS13_
    .private_segment_fixed_size: 0
    .sgpr_count:     0
    .sgpr_spill_count: 0
    .symbol:         _ZN7rocprim17ROCPRIM_400000_NS6detail17trampoline_kernelINS0_13select_configILj256ELj13ELNS0_17block_load_methodE3ELS4_3ELS4_3ELNS0_20block_scan_algorithmE0ELj4294967295EEENS1_25partition_config_selectorILNS1_17partition_subalgoE4EjNS0_10empty_typeEbEEZZNS1_14partition_implILS8_4ELb0ES6_15HIP_vector_typeIjLj2EENS0_17counting_iteratorIjlEEPS9_SG_NS0_5tupleIJPjSI_NS0_16reverse_iteratorISI_EEEEENSH_IJSG_SG_SG_EEES9_SI_JZNS1_25segmented_radix_sort_implINS0_14default_configELb0EPK12hip_bfloat16PSP_PKlPlN2at6native12_GLOBAL__N_18offset_tEEE10hipError_tPvRmT1_PNSt15iterator_traitsIS13_E10value_typeET2_T3_PNS14_IS19_E10value_typeET4_jRbjT5_S1F_jjP12ihipStream_tbEUljE_ZNSN_ISO_Lb0ESR_SS_SU_SV_SZ_EES10_S11_S12_S13_S17_S18_S19_S1C_S1D_jS1E_jS1F_S1F_jjS1H_bEUljE0_EEES10_S11_S12_S19_S1D_S1F_T6_T7_T9_mT8_S1H_bDpT10_ENKUlT_T0_E_clISt17integral_constantIbLb0EES1V_EEDaS1Q_S1R_EUlS1Q_E_NS1_11comp_targetILNS1_3genE5ELNS1_11target_archE942ELNS1_3gpuE9ELNS1_3repE0EEENS1_30default_config_static_selectorELNS0_4arch9wavefront6targetE0EEEvS13_.kd
    .uniform_work_group_size: 1
    .uses_dynamic_stack: false
    .vgpr_count:     0
    .vgpr_spill_count: 0
    .wavefront_size: 32
    .workgroup_processor_mode: 1
  - .args:
      - .offset:         0
        .size:           176
        .value_kind:     by_value
    .group_segment_fixed_size: 0
    .kernarg_segment_align: 8
    .kernarg_segment_size: 176
    .language:       OpenCL C
    .language_version:
      - 2
      - 0
    .max_flat_workgroup_size: 256
    .name:           _ZN7rocprim17ROCPRIM_400000_NS6detail17trampoline_kernelINS0_13select_configILj256ELj13ELNS0_17block_load_methodE3ELS4_3ELS4_3ELNS0_20block_scan_algorithmE0ELj4294967295EEENS1_25partition_config_selectorILNS1_17partition_subalgoE4EjNS0_10empty_typeEbEEZZNS1_14partition_implILS8_4ELb0ES6_15HIP_vector_typeIjLj2EENS0_17counting_iteratorIjlEEPS9_SG_NS0_5tupleIJPjSI_NS0_16reverse_iteratorISI_EEEEENSH_IJSG_SG_SG_EEES9_SI_JZNS1_25segmented_radix_sort_implINS0_14default_configELb0EPK12hip_bfloat16PSP_PKlPlN2at6native12_GLOBAL__N_18offset_tEEE10hipError_tPvRmT1_PNSt15iterator_traitsIS13_E10value_typeET2_T3_PNS14_IS19_E10value_typeET4_jRbjT5_S1F_jjP12ihipStream_tbEUljE_ZNSN_ISO_Lb0ESR_SS_SU_SV_SZ_EES10_S11_S12_S13_S17_S18_S19_S1C_S1D_jS1E_jS1F_S1F_jjS1H_bEUljE0_EEES10_S11_S12_S19_S1D_S1F_T6_T7_T9_mT8_S1H_bDpT10_ENKUlT_T0_E_clISt17integral_constantIbLb0EES1V_EEDaS1Q_S1R_EUlS1Q_E_NS1_11comp_targetILNS1_3genE4ELNS1_11target_archE910ELNS1_3gpuE8ELNS1_3repE0EEENS1_30default_config_static_selectorELNS0_4arch9wavefront6targetE0EEEvS13_
    .private_segment_fixed_size: 0
    .sgpr_count:     0
    .sgpr_spill_count: 0
    .symbol:         _ZN7rocprim17ROCPRIM_400000_NS6detail17trampoline_kernelINS0_13select_configILj256ELj13ELNS0_17block_load_methodE3ELS4_3ELS4_3ELNS0_20block_scan_algorithmE0ELj4294967295EEENS1_25partition_config_selectorILNS1_17partition_subalgoE4EjNS0_10empty_typeEbEEZZNS1_14partition_implILS8_4ELb0ES6_15HIP_vector_typeIjLj2EENS0_17counting_iteratorIjlEEPS9_SG_NS0_5tupleIJPjSI_NS0_16reverse_iteratorISI_EEEEENSH_IJSG_SG_SG_EEES9_SI_JZNS1_25segmented_radix_sort_implINS0_14default_configELb0EPK12hip_bfloat16PSP_PKlPlN2at6native12_GLOBAL__N_18offset_tEEE10hipError_tPvRmT1_PNSt15iterator_traitsIS13_E10value_typeET2_T3_PNS14_IS19_E10value_typeET4_jRbjT5_S1F_jjP12ihipStream_tbEUljE_ZNSN_ISO_Lb0ESR_SS_SU_SV_SZ_EES10_S11_S12_S13_S17_S18_S19_S1C_S1D_jS1E_jS1F_S1F_jjS1H_bEUljE0_EEES10_S11_S12_S19_S1D_S1F_T6_T7_T9_mT8_S1H_bDpT10_ENKUlT_T0_E_clISt17integral_constantIbLb0EES1V_EEDaS1Q_S1R_EUlS1Q_E_NS1_11comp_targetILNS1_3genE4ELNS1_11target_archE910ELNS1_3gpuE8ELNS1_3repE0EEENS1_30default_config_static_selectorELNS0_4arch9wavefront6targetE0EEEvS13_.kd
    .uniform_work_group_size: 1
    .uses_dynamic_stack: false
    .vgpr_count:     0
    .vgpr_spill_count: 0
    .wavefront_size: 32
    .workgroup_processor_mode: 1
  - .args:
      - .offset:         0
        .size:           176
        .value_kind:     by_value
    .group_segment_fixed_size: 0
    .kernarg_segment_align: 8
    .kernarg_segment_size: 176
    .language:       OpenCL C
    .language_version:
      - 2
      - 0
    .max_flat_workgroup_size: 256
    .name:           _ZN7rocprim17ROCPRIM_400000_NS6detail17trampoline_kernelINS0_13select_configILj256ELj13ELNS0_17block_load_methodE3ELS4_3ELS4_3ELNS0_20block_scan_algorithmE0ELj4294967295EEENS1_25partition_config_selectorILNS1_17partition_subalgoE4EjNS0_10empty_typeEbEEZZNS1_14partition_implILS8_4ELb0ES6_15HIP_vector_typeIjLj2EENS0_17counting_iteratorIjlEEPS9_SG_NS0_5tupleIJPjSI_NS0_16reverse_iteratorISI_EEEEENSH_IJSG_SG_SG_EEES9_SI_JZNS1_25segmented_radix_sort_implINS0_14default_configELb0EPK12hip_bfloat16PSP_PKlPlN2at6native12_GLOBAL__N_18offset_tEEE10hipError_tPvRmT1_PNSt15iterator_traitsIS13_E10value_typeET2_T3_PNS14_IS19_E10value_typeET4_jRbjT5_S1F_jjP12ihipStream_tbEUljE_ZNSN_ISO_Lb0ESR_SS_SU_SV_SZ_EES10_S11_S12_S13_S17_S18_S19_S1C_S1D_jS1E_jS1F_S1F_jjS1H_bEUljE0_EEES10_S11_S12_S19_S1D_S1F_T6_T7_T9_mT8_S1H_bDpT10_ENKUlT_T0_E_clISt17integral_constantIbLb0EES1V_EEDaS1Q_S1R_EUlS1Q_E_NS1_11comp_targetILNS1_3genE3ELNS1_11target_archE908ELNS1_3gpuE7ELNS1_3repE0EEENS1_30default_config_static_selectorELNS0_4arch9wavefront6targetE0EEEvS13_
    .private_segment_fixed_size: 0
    .sgpr_count:     0
    .sgpr_spill_count: 0
    .symbol:         _ZN7rocprim17ROCPRIM_400000_NS6detail17trampoline_kernelINS0_13select_configILj256ELj13ELNS0_17block_load_methodE3ELS4_3ELS4_3ELNS0_20block_scan_algorithmE0ELj4294967295EEENS1_25partition_config_selectorILNS1_17partition_subalgoE4EjNS0_10empty_typeEbEEZZNS1_14partition_implILS8_4ELb0ES6_15HIP_vector_typeIjLj2EENS0_17counting_iteratorIjlEEPS9_SG_NS0_5tupleIJPjSI_NS0_16reverse_iteratorISI_EEEEENSH_IJSG_SG_SG_EEES9_SI_JZNS1_25segmented_radix_sort_implINS0_14default_configELb0EPK12hip_bfloat16PSP_PKlPlN2at6native12_GLOBAL__N_18offset_tEEE10hipError_tPvRmT1_PNSt15iterator_traitsIS13_E10value_typeET2_T3_PNS14_IS19_E10value_typeET4_jRbjT5_S1F_jjP12ihipStream_tbEUljE_ZNSN_ISO_Lb0ESR_SS_SU_SV_SZ_EES10_S11_S12_S13_S17_S18_S19_S1C_S1D_jS1E_jS1F_S1F_jjS1H_bEUljE0_EEES10_S11_S12_S19_S1D_S1F_T6_T7_T9_mT8_S1H_bDpT10_ENKUlT_T0_E_clISt17integral_constantIbLb0EES1V_EEDaS1Q_S1R_EUlS1Q_E_NS1_11comp_targetILNS1_3genE3ELNS1_11target_archE908ELNS1_3gpuE7ELNS1_3repE0EEENS1_30default_config_static_selectorELNS0_4arch9wavefront6targetE0EEEvS13_.kd
    .uniform_work_group_size: 1
    .uses_dynamic_stack: false
    .vgpr_count:     0
    .vgpr_spill_count: 0
    .wavefront_size: 32
    .workgroup_processor_mode: 1
  - .args:
      - .offset:         0
        .size:           176
        .value_kind:     by_value
    .group_segment_fixed_size: 0
    .kernarg_segment_align: 8
    .kernarg_segment_size: 176
    .language:       OpenCL C
    .language_version:
      - 2
      - 0
    .max_flat_workgroup_size: 256
    .name:           _ZN7rocprim17ROCPRIM_400000_NS6detail17trampoline_kernelINS0_13select_configILj256ELj13ELNS0_17block_load_methodE3ELS4_3ELS4_3ELNS0_20block_scan_algorithmE0ELj4294967295EEENS1_25partition_config_selectorILNS1_17partition_subalgoE4EjNS0_10empty_typeEbEEZZNS1_14partition_implILS8_4ELb0ES6_15HIP_vector_typeIjLj2EENS0_17counting_iteratorIjlEEPS9_SG_NS0_5tupleIJPjSI_NS0_16reverse_iteratorISI_EEEEENSH_IJSG_SG_SG_EEES9_SI_JZNS1_25segmented_radix_sort_implINS0_14default_configELb0EPK12hip_bfloat16PSP_PKlPlN2at6native12_GLOBAL__N_18offset_tEEE10hipError_tPvRmT1_PNSt15iterator_traitsIS13_E10value_typeET2_T3_PNS14_IS19_E10value_typeET4_jRbjT5_S1F_jjP12ihipStream_tbEUljE_ZNSN_ISO_Lb0ESR_SS_SU_SV_SZ_EES10_S11_S12_S13_S17_S18_S19_S1C_S1D_jS1E_jS1F_S1F_jjS1H_bEUljE0_EEES10_S11_S12_S19_S1D_S1F_T6_T7_T9_mT8_S1H_bDpT10_ENKUlT_T0_E_clISt17integral_constantIbLb0EES1V_EEDaS1Q_S1R_EUlS1Q_E_NS1_11comp_targetILNS1_3genE2ELNS1_11target_archE906ELNS1_3gpuE6ELNS1_3repE0EEENS1_30default_config_static_selectorELNS0_4arch9wavefront6targetE0EEEvS13_
    .private_segment_fixed_size: 0
    .sgpr_count:     0
    .sgpr_spill_count: 0
    .symbol:         _ZN7rocprim17ROCPRIM_400000_NS6detail17trampoline_kernelINS0_13select_configILj256ELj13ELNS0_17block_load_methodE3ELS4_3ELS4_3ELNS0_20block_scan_algorithmE0ELj4294967295EEENS1_25partition_config_selectorILNS1_17partition_subalgoE4EjNS0_10empty_typeEbEEZZNS1_14partition_implILS8_4ELb0ES6_15HIP_vector_typeIjLj2EENS0_17counting_iteratorIjlEEPS9_SG_NS0_5tupleIJPjSI_NS0_16reverse_iteratorISI_EEEEENSH_IJSG_SG_SG_EEES9_SI_JZNS1_25segmented_radix_sort_implINS0_14default_configELb0EPK12hip_bfloat16PSP_PKlPlN2at6native12_GLOBAL__N_18offset_tEEE10hipError_tPvRmT1_PNSt15iterator_traitsIS13_E10value_typeET2_T3_PNS14_IS19_E10value_typeET4_jRbjT5_S1F_jjP12ihipStream_tbEUljE_ZNSN_ISO_Lb0ESR_SS_SU_SV_SZ_EES10_S11_S12_S13_S17_S18_S19_S1C_S1D_jS1E_jS1F_S1F_jjS1H_bEUljE0_EEES10_S11_S12_S19_S1D_S1F_T6_T7_T9_mT8_S1H_bDpT10_ENKUlT_T0_E_clISt17integral_constantIbLb0EES1V_EEDaS1Q_S1R_EUlS1Q_E_NS1_11comp_targetILNS1_3genE2ELNS1_11target_archE906ELNS1_3gpuE6ELNS1_3repE0EEENS1_30default_config_static_selectorELNS0_4arch9wavefront6targetE0EEEvS13_.kd
    .uniform_work_group_size: 1
    .uses_dynamic_stack: false
    .vgpr_count:     0
    .vgpr_spill_count: 0
    .wavefront_size: 32
    .workgroup_processor_mode: 1
  - .args:
      - .offset:         0
        .size:           176
        .value_kind:     by_value
    .group_segment_fixed_size: 0
    .kernarg_segment_align: 8
    .kernarg_segment_size: 176
    .language:       OpenCL C
    .language_version:
      - 2
      - 0
    .max_flat_workgroup_size: 256
    .name:           _ZN7rocprim17ROCPRIM_400000_NS6detail17trampoline_kernelINS0_13select_configILj256ELj13ELNS0_17block_load_methodE3ELS4_3ELS4_3ELNS0_20block_scan_algorithmE0ELj4294967295EEENS1_25partition_config_selectorILNS1_17partition_subalgoE4EjNS0_10empty_typeEbEEZZNS1_14partition_implILS8_4ELb0ES6_15HIP_vector_typeIjLj2EENS0_17counting_iteratorIjlEEPS9_SG_NS0_5tupleIJPjSI_NS0_16reverse_iteratorISI_EEEEENSH_IJSG_SG_SG_EEES9_SI_JZNS1_25segmented_radix_sort_implINS0_14default_configELb0EPK12hip_bfloat16PSP_PKlPlN2at6native12_GLOBAL__N_18offset_tEEE10hipError_tPvRmT1_PNSt15iterator_traitsIS13_E10value_typeET2_T3_PNS14_IS19_E10value_typeET4_jRbjT5_S1F_jjP12ihipStream_tbEUljE_ZNSN_ISO_Lb0ESR_SS_SU_SV_SZ_EES10_S11_S12_S13_S17_S18_S19_S1C_S1D_jS1E_jS1F_S1F_jjS1H_bEUljE0_EEES10_S11_S12_S19_S1D_S1F_T6_T7_T9_mT8_S1H_bDpT10_ENKUlT_T0_E_clISt17integral_constantIbLb0EES1V_EEDaS1Q_S1R_EUlS1Q_E_NS1_11comp_targetILNS1_3genE10ELNS1_11target_archE1200ELNS1_3gpuE4ELNS1_3repE0EEENS1_30default_config_static_selectorELNS0_4arch9wavefront6targetE0EEEvS13_
    .private_segment_fixed_size: 0
    .sgpr_count:     0
    .sgpr_spill_count: 0
    .symbol:         _ZN7rocprim17ROCPRIM_400000_NS6detail17trampoline_kernelINS0_13select_configILj256ELj13ELNS0_17block_load_methodE3ELS4_3ELS4_3ELNS0_20block_scan_algorithmE0ELj4294967295EEENS1_25partition_config_selectorILNS1_17partition_subalgoE4EjNS0_10empty_typeEbEEZZNS1_14partition_implILS8_4ELb0ES6_15HIP_vector_typeIjLj2EENS0_17counting_iteratorIjlEEPS9_SG_NS0_5tupleIJPjSI_NS0_16reverse_iteratorISI_EEEEENSH_IJSG_SG_SG_EEES9_SI_JZNS1_25segmented_radix_sort_implINS0_14default_configELb0EPK12hip_bfloat16PSP_PKlPlN2at6native12_GLOBAL__N_18offset_tEEE10hipError_tPvRmT1_PNSt15iterator_traitsIS13_E10value_typeET2_T3_PNS14_IS19_E10value_typeET4_jRbjT5_S1F_jjP12ihipStream_tbEUljE_ZNSN_ISO_Lb0ESR_SS_SU_SV_SZ_EES10_S11_S12_S13_S17_S18_S19_S1C_S1D_jS1E_jS1F_S1F_jjS1H_bEUljE0_EEES10_S11_S12_S19_S1D_S1F_T6_T7_T9_mT8_S1H_bDpT10_ENKUlT_T0_E_clISt17integral_constantIbLb0EES1V_EEDaS1Q_S1R_EUlS1Q_E_NS1_11comp_targetILNS1_3genE10ELNS1_11target_archE1200ELNS1_3gpuE4ELNS1_3repE0EEENS1_30default_config_static_selectorELNS0_4arch9wavefront6targetE0EEEvS13_.kd
    .uniform_work_group_size: 1
    .uses_dynamic_stack: false
    .vgpr_count:     0
    .vgpr_spill_count: 0
    .wavefront_size: 32
    .workgroup_processor_mode: 1
  - .args:
      - .offset:         0
        .size:           176
        .value_kind:     by_value
    .group_segment_fixed_size: 0
    .kernarg_segment_align: 8
    .kernarg_segment_size: 176
    .language:       OpenCL C
    .language_version:
      - 2
      - 0
    .max_flat_workgroup_size: 256
    .name:           _ZN7rocprim17ROCPRIM_400000_NS6detail17trampoline_kernelINS0_13select_configILj256ELj13ELNS0_17block_load_methodE3ELS4_3ELS4_3ELNS0_20block_scan_algorithmE0ELj4294967295EEENS1_25partition_config_selectorILNS1_17partition_subalgoE4EjNS0_10empty_typeEbEEZZNS1_14partition_implILS8_4ELb0ES6_15HIP_vector_typeIjLj2EENS0_17counting_iteratorIjlEEPS9_SG_NS0_5tupleIJPjSI_NS0_16reverse_iteratorISI_EEEEENSH_IJSG_SG_SG_EEES9_SI_JZNS1_25segmented_radix_sort_implINS0_14default_configELb0EPK12hip_bfloat16PSP_PKlPlN2at6native12_GLOBAL__N_18offset_tEEE10hipError_tPvRmT1_PNSt15iterator_traitsIS13_E10value_typeET2_T3_PNS14_IS19_E10value_typeET4_jRbjT5_S1F_jjP12ihipStream_tbEUljE_ZNSN_ISO_Lb0ESR_SS_SU_SV_SZ_EES10_S11_S12_S13_S17_S18_S19_S1C_S1D_jS1E_jS1F_S1F_jjS1H_bEUljE0_EEES10_S11_S12_S19_S1D_S1F_T6_T7_T9_mT8_S1H_bDpT10_ENKUlT_T0_E_clISt17integral_constantIbLb0EES1V_EEDaS1Q_S1R_EUlS1Q_E_NS1_11comp_targetILNS1_3genE9ELNS1_11target_archE1100ELNS1_3gpuE3ELNS1_3repE0EEENS1_30default_config_static_selectorELNS0_4arch9wavefront6targetE0EEEvS13_
    .private_segment_fixed_size: 0
    .sgpr_count:     0
    .sgpr_spill_count: 0
    .symbol:         _ZN7rocprim17ROCPRIM_400000_NS6detail17trampoline_kernelINS0_13select_configILj256ELj13ELNS0_17block_load_methodE3ELS4_3ELS4_3ELNS0_20block_scan_algorithmE0ELj4294967295EEENS1_25partition_config_selectorILNS1_17partition_subalgoE4EjNS0_10empty_typeEbEEZZNS1_14partition_implILS8_4ELb0ES6_15HIP_vector_typeIjLj2EENS0_17counting_iteratorIjlEEPS9_SG_NS0_5tupleIJPjSI_NS0_16reverse_iteratorISI_EEEEENSH_IJSG_SG_SG_EEES9_SI_JZNS1_25segmented_radix_sort_implINS0_14default_configELb0EPK12hip_bfloat16PSP_PKlPlN2at6native12_GLOBAL__N_18offset_tEEE10hipError_tPvRmT1_PNSt15iterator_traitsIS13_E10value_typeET2_T3_PNS14_IS19_E10value_typeET4_jRbjT5_S1F_jjP12ihipStream_tbEUljE_ZNSN_ISO_Lb0ESR_SS_SU_SV_SZ_EES10_S11_S12_S13_S17_S18_S19_S1C_S1D_jS1E_jS1F_S1F_jjS1H_bEUljE0_EEES10_S11_S12_S19_S1D_S1F_T6_T7_T9_mT8_S1H_bDpT10_ENKUlT_T0_E_clISt17integral_constantIbLb0EES1V_EEDaS1Q_S1R_EUlS1Q_E_NS1_11comp_targetILNS1_3genE9ELNS1_11target_archE1100ELNS1_3gpuE3ELNS1_3repE0EEENS1_30default_config_static_selectorELNS0_4arch9wavefront6targetE0EEEvS13_.kd
    .uniform_work_group_size: 1
    .uses_dynamic_stack: false
    .vgpr_count:     0
    .vgpr_spill_count: 0
    .wavefront_size: 32
    .workgroup_processor_mode: 1
  - .args:
      - .offset:         0
        .size:           176
        .value_kind:     by_value
    .group_segment_fixed_size: 13328
    .kernarg_segment_align: 8
    .kernarg_segment_size: 176
    .language:       OpenCL C
    .language_version:
      - 2
      - 0
    .max_flat_workgroup_size: 256
    .name:           _ZN7rocprim17ROCPRIM_400000_NS6detail17trampoline_kernelINS0_13select_configILj256ELj13ELNS0_17block_load_methodE3ELS4_3ELS4_3ELNS0_20block_scan_algorithmE0ELj4294967295EEENS1_25partition_config_selectorILNS1_17partition_subalgoE4EjNS0_10empty_typeEbEEZZNS1_14partition_implILS8_4ELb0ES6_15HIP_vector_typeIjLj2EENS0_17counting_iteratorIjlEEPS9_SG_NS0_5tupleIJPjSI_NS0_16reverse_iteratorISI_EEEEENSH_IJSG_SG_SG_EEES9_SI_JZNS1_25segmented_radix_sort_implINS0_14default_configELb0EPK12hip_bfloat16PSP_PKlPlN2at6native12_GLOBAL__N_18offset_tEEE10hipError_tPvRmT1_PNSt15iterator_traitsIS13_E10value_typeET2_T3_PNS14_IS19_E10value_typeET4_jRbjT5_S1F_jjP12ihipStream_tbEUljE_ZNSN_ISO_Lb0ESR_SS_SU_SV_SZ_EES10_S11_S12_S13_S17_S18_S19_S1C_S1D_jS1E_jS1F_S1F_jjS1H_bEUljE0_EEES10_S11_S12_S19_S1D_S1F_T6_T7_T9_mT8_S1H_bDpT10_ENKUlT_T0_E_clISt17integral_constantIbLb0EES1V_EEDaS1Q_S1R_EUlS1Q_E_NS1_11comp_targetILNS1_3genE8ELNS1_11target_archE1030ELNS1_3gpuE2ELNS1_3repE0EEENS1_30default_config_static_selectorELNS0_4arch9wavefront6targetE0EEEvS13_
    .private_segment_fixed_size: 0
    .sgpr_count:     61
    .sgpr_spill_count: 0
    .symbol:         _ZN7rocprim17ROCPRIM_400000_NS6detail17trampoline_kernelINS0_13select_configILj256ELj13ELNS0_17block_load_methodE3ELS4_3ELS4_3ELNS0_20block_scan_algorithmE0ELj4294967295EEENS1_25partition_config_selectorILNS1_17partition_subalgoE4EjNS0_10empty_typeEbEEZZNS1_14partition_implILS8_4ELb0ES6_15HIP_vector_typeIjLj2EENS0_17counting_iteratorIjlEEPS9_SG_NS0_5tupleIJPjSI_NS0_16reverse_iteratorISI_EEEEENSH_IJSG_SG_SG_EEES9_SI_JZNS1_25segmented_radix_sort_implINS0_14default_configELb0EPK12hip_bfloat16PSP_PKlPlN2at6native12_GLOBAL__N_18offset_tEEE10hipError_tPvRmT1_PNSt15iterator_traitsIS13_E10value_typeET2_T3_PNS14_IS19_E10value_typeET4_jRbjT5_S1F_jjP12ihipStream_tbEUljE_ZNSN_ISO_Lb0ESR_SS_SU_SV_SZ_EES10_S11_S12_S13_S17_S18_S19_S1C_S1D_jS1E_jS1F_S1F_jjS1H_bEUljE0_EEES10_S11_S12_S19_S1D_S1F_T6_T7_T9_mT8_S1H_bDpT10_ENKUlT_T0_E_clISt17integral_constantIbLb0EES1V_EEDaS1Q_S1R_EUlS1Q_E_NS1_11comp_targetILNS1_3genE8ELNS1_11target_archE1030ELNS1_3gpuE2ELNS1_3repE0EEENS1_30default_config_static_selectorELNS0_4arch9wavefront6targetE0EEEvS13_.kd
    .uniform_work_group_size: 1
    .uses_dynamic_stack: false
    .vgpr_count:     82
    .vgpr_spill_count: 0
    .wavefront_size: 32
    .workgroup_processor_mode: 1
  - .args:
      - .offset:         0
        .size:           184
        .value_kind:     by_value
    .group_segment_fixed_size: 0
    .kernarg_segment_align: 8
    .kernarg_segment_size: 184
    .language:       OpenCL C
    .language_version:
      - 2
      - 0
    .max_flat_workgroup_size: 256
    .name:           _ZN7rocprim17ROCPRIM_400000_NS6detail17trampoline_kernelINS0_13select_configILj256ELj13ELNS0_17block_load_methodE3ELS4_3ELS4_3ELNS0_20block_scan_algorithmE0ELj4294967295EEENS1_25partition_config_selectorILNS1_17partition_subalgoE4EjNS0_10empty_typeEbEEZZNS1_14partition_implILS8_4ELb0ES6_15HIP_vector_typeIjLj2EENS0_17counting_iteratorIjlEEPS9_SG_NS0_5tupleIJPjSI_NS0_16reverse_iteratorISI_EEEEENSH_IJSG_SG_SG_EEES9_SI_JZNS1_25segmented_radix_sort_implINS0_14default_configELb0EPK12hip_bfloat16PSP_PKlPlN2at6native12_GLOBAL__N_18offset_tEEE10hipError_tPvRmT1_PNSt15iterator_traitsIS13_E10value_typeET2_T3_PNS14_IS19_E10value_typeET4_jRbjT5_S1F_jjP12ihipStream_tbEUljE_ZNSN_ISO_Lb0ESR_SS_SU_SV_SZ_EES10_S11_S12_S13_S17_S18_S19_S1C_S1D_jS1E_jS1F_S1F_jjS1H_bEUljE0_EEES10_S11_S12_S19_S1D_S1F_T6_T7_T9_mT8_S1H_bDpT10_ENKUlT_T0_E_clISt17integral_constantIbLb1EES1V_EEDaS1Q_S1R_EUlS1Q_E_NS1_11comp_targetILNS1_3genE0ELNS1_11target_archE4294967295ELNS1_3gpuE0ELNS1_3repE0EEENS1_30default_config_static_selectorELNS0_4arch9wavefront6targetE0EEEvS13_
    .private_segment_fixed_size: 0
    .sgpr_count:     0
    .sgpr_spill_count: 0
    .symbol:         _ZN7rocprim17ROCPRIM_400000_NS6detail17trampoline_kernelINS0_13select_configILj256ELj13ELNS0_17block_load_methodE3ELS4_3ELS4_3ELNS0_20block_scan_algorithmE0ELj4294967295EEENS1_25partition_config_selectorILNS1_17partition_subalgoE4EjNS0_10empty_typeEbEEZZNS1_14partition_implILS8_4ELb0ES6_15HIP_vector_typeIjLj2EENS0_17counting_iteratorIjlEEPS9_SG_NS0_5tupleIJPjSI_NS0_16reverse_iteratorISI_EEEEENSH_IJSG_SG_SG_EEES9_SI_JZNS1_25segmented_radix_sort_implINS0_14default_configELb0EPK12hip_bfloat16PSP_PKlPlN2at6native12_GLOBAL__N_18offset_tEEE10hipError_tPvRmT1_PNSt15iterator_traitsIS13_E10value_typeET2_T3_PNS14_IS19_E10value_typeET4_jRbjT5_S1F_jjP12ihipStream_tbEUljE_ZNSN_ISO_Lb0ESR_SS_SU_SV_SZ_EES10_S11_S12_S13_S17_S18_S19_S1C_S1D_jS1E_jS1F_S1F_jjS1H_bEUljE0_EEES10_S11_S12_S19_S1D_S1F_T6_T7_T9_mT8_S1H_bDpT10_ENKUlT_T0_E_clISt17integral_constantIbLb1EES1V_EEDaS1Q_S1R_EUlS1Q_E_NS1_11comp_targetILNS1_3genE0ELNS1_11target_archE4294967295ELNS1_3gpuE0ELNS1_3repE0EEENS1_30default_config_static_selectorELNS0_4arch9wavefront6targetE0EEEvS13_.kd
    .uniform_work_group_size: 1
    .uses_dynamic_stack: false
    .vgpr_count:     0
    .vgpr_spill_count: 0
    .wavefront_size: 32
    .workgroup_processor_mode: 1
  - .args:
      - .offset:         0
        .size:           184
        .value_kind:     by_value
    .group_segment_fixed_size: 0
    .kernarg_segment_align: 8
    .kernarg_segment_size: 184
    .language:       OpenCL C
    .language_version:
      - 2
      - 0
    .max_flat_workgroup_size: 256
    .name:           _ZN7rocprim17ROCPRIM_400000_NS6detail17trampoline_kernelINS0_13select_configILj256ELj13ELNS0_17block_load_methodE3ELS4_3ELS4_3ELNS0_20block_scan_algorithmE0ELj4294967295EEENS1_25partition_config_selectorILNS1_17partition_subalgoE4EjNS0_10empty_typeEbEEZZNS1_14partition_implILS8_4ELb0ES6_15HIP_vector_typeIjLj2EENS0_17counting_iteratorIjlEEPS9_SG_NS0_5tupleIJPjSI_NS0_16reverse_iteratorISI_EEEEENSH_IJSG_SG_SG_EEES9_SI_JZNS1_25segmented_radix_sort_implINS0_14default_configELb0EPK12hip_bfloat16PSP_PKlPlN2at6native12_GLOBAL__N_18offset_tEEE10hipError_tPvRmT1_PNSt15iterator_traitsIS13_E10value_typeET2_T3_PNS14_IS19_E10value_typeET4_jRbjT5_S1F_jjP12ihipStream_tbEUljE_ZNSN_ISO_Lb0ESR_SS_SU_SV_SZ_EES10_S11_S12_S13_S17_S18_S19_S1C_S1D_jS1E_jS1F_S1F_jjS1H_bEUljE0_EEES10_S11_S12_S19_S1D_S1F_T6_T7_T9_mT8_S1H_bDpT10_ENKUlT_T0_E_clISt17integral_constantIbLb1EES1V_EEDaS1Q_S1R_EUlS1Q_E_NS1_11comp_targetILNS1_3genE5ELNS1_11target_archE942ELNS1_3gpuE9ELNS1_3repE0EEENS1_30default_config_static_selectorELNS0_4arch9wavefront6targetE0EEEvS13_
    .private_segment_fixed_size: 0
    .sgpr_count:     0
    .sgpr_spill_count: 0
    .symbol:         _ZN7rocprim17ROCPRIM_400000_NS6detail17trampoline_kernelINS0_13select_configILj256ELj13ELNS0_17block_load_methodE3ELS4_3ELS4_3ELNS0_20block_scan_algorithmE0ELj4294967295EEENS1_25partition_config_selectorILNS1_17partition_subalgoE4EjNS0_10empty_typeEbEEZZNS1_14partition_implILS8_4ELb0ES6_15HIP_vector_typeIjLj2EENS0_17counting_iteratorIjlEEPS9_SG_NS0_5tupleIJPjSI_NS0_16reverse_iteratorISI_EEEEENSH_IJSG_SG_SG_EEES9_SI_JZNS1_25segmented_radix_sort_implINS0_14default_configELb0EPK12hip_bfloat16PSP_PKlPlN2at6native12_GLOBAL__N_18offset_tEEE10hipError_tPvRmT1_PNSt15iterator_traitsIS13_E10value_typeET2_T3_PNS14_IS19_E10value_typeET4_jRbjT5_S1F_jjP12ihipStream_tbEUljE_ZNSN_ISO_Lb0ESR_SS_SU_SV_SZ_EES10_S11_S12_S13_S17_S18_S19_S1C_S1D_jS1E_jS1F_S1F_jjS1H_bEUljE0_EEES10_S11_S12_S19_S1D_S1F_T6_T7_T9_mT8_S1H_bDpT10_ENKUlT_T0_E_clISt17integral_constantIbLb1EES1V_EEDaS1Q_S1R_EUlS1Q_E_NS1_11comp_targetILNS1_3genE5ELNS1_11target_archE942ELNS1_3gpuE9ELNS1_3repE0EEENS1_30default_config_static_selectorELNS0_4arch9wavefront6targetE0EEEvS13_.kd
    .uniform_work_group_size: 1
    .uses_dynamic_stack: false
    .vgpr_count:     0
    .vgpr_spill_count: 0
    .wavefront_size: 32
    .workgroup_processor_mode: 1
  - .args:
      - .offset:         0
        .size:           184
        .value_kind:     by_value
    .group_segment_fixed_size: 0
    .kernarg_segment_align: 8
    .kernarg_segment_size: 184
    .language:       OpenCL C
    .language_version:
      - 2
      - 0
    .max_flat_workgroup_size: 256
    .name:           _ZN7rocprim17ROCPRIM_400000_NS6detail17trampoline_kernelINS0_13select_configILj256ELj13ELNS0_17block_load_methodE3ELS4_3ELS4_3ELNS0_20block_scan_algorithmE0ELj4294967295EEENS1_25partition_config_selectorILNS1_17partition_subalgoE4EjNS0_10empty_typeEbEEZZNS1_14partition_implILS8_4ELb0ES6_15HIP_vector_typeIjLj2EENS0_17counting_iteratorIjlEEPS9_SG_NS0_5tupleIJPjSI_NS0_16reverse_iteratorISI_EEEEENSH_IJSG_SG_SG_EEES9_SI_JZNS1_25segmented_radix_sort_implINS0_14default_configELb0EPK12hip_bfloat16PSP_PKlPlN2at6native12_GLOBAL__N_18offset_tEEE10hipError_tPvRmT1_PNSt15iterator_traitsIS13_E10value_typeET2_T3_PNS14_IS19_E10value_typeET4_jRbjT5_S1F_jjP12ihipStream_tbEUljE_ZNSN_ISO_Lb0ESR_SS_SU_SV_SZ_EES10_S11_S12_S13_S17_S18_S19_S1C_S1D_jS1E_jS1F_S1F_jjS1H_bEUljE0_EEES10_S11_S12_S19_S1D_S1F_T6_T7_T9_mT8_S1H_bDpT10_ENKUlT_T0_E_clISt17integral_constantIbLb1EES1V_EEDaS1Q_S1R_EUlS1Q_E_NS1_11comp_targetILNS1_3genE4ELNS1_11target_archE910ELNS1_3gpuE8ELNS1_3repE0EEENS1_30default_config_static_selectorELNS0_4arch9wavefront6targetE0EEEvS13_
    .private_segment_fixed_size: 0
    .sgpr_count:     0
    .sgpr_spill_count: 0
    .symbol:         _ZN7rocprim17ROCPRIM_400000_NS6detail17trampoline_kernelINS0_13select_configILj256ELj13ELNS0_17block_load_methodE3ELS4_3ELS4_3ELNS0_20block_scan_algorithmE0ELj4294967295EEENS1_25partition_config_selectorILNS1_17partition_subalgoE4EjNS0_10empty_typeEbEEZZNS1_14partition_implILS8_4ELb0ES6_15HIP_vector_typeIjLj2EENS0_17counting_iteratorIjlEEPS9_SG_NS0_5tupleIJPjSI_NS0_16reverse_iteratorISI_EEEEENSH_IJSG_SG_SG_EEES9_SI_JZNS1_25segmented_radix_sort_implINS0_14default_configELb0EPK12hip_bfloat16PSP_PKlPlN2at6native12_GLOBAL__N_18offset_tEEE10hipError_tPvRmT1_PNSt15iterator_traitsIS13_E10value_typeET2_T3_PNS14_IS19_E10value_typeET4_jRbjT5_S1F_jjP12ihipStream_tbEUljE_ZNSN_ISO_Lb0ESR_SS_SU_SV_SZ_EES10_S11_S12_S13_S17_S18_S19_S1C_S1D_jS1E_jS1F_S1F_jjS1H_bEUljE0_EEES10_S11_S12_S19_S1D_S1F_T6_T7_T9_mT8_S1H_bDpT10_ENKUlT_T0_E_clISt17integral_constantIbLb1EES1V_EEDaS1Q_S1R_EUlS1Q_E_NS1_11comp_targetILNS1_3genE4ELNS1_11target_archE910ELNS1_3gpuE8ELNS1_3repE0EEENS1_30default_config_static_selectorELNS0_4arch9wavefront6targetE0EEEvS13_.kd
    .uniform_work_group_size: 1
    .uses_dynamic_stack: false
    .vgpr_count:     0
    .vgpr_spill_count: 0
    .wavefront_size: 32
    .workgroup_processor_mode: 1
  - .args:
      - .offset:         0
        .size:           184
        .value_kind:     by_value
    .group_segment_fixed_size: 0
    .kernarg_segment_align: 8
    .kernarg_segment_size: 184
    .language:       OpenCL C
    .language_version:
      - 2
      - 0
    .max_flat_workgroup_size: 256
    .name:           _ZN7rocprim17ROCPRIM_400000_NS6detail17trampoline_kernelINS0_13select_configILj256ELj13ELNS0_17block_load_methodE3ELS4_3ELS4_3ELNS0_20block_scan_algorithmE0ELj4294967295EEENS1_25partition_config_selectorILNS1_17partition_subalgoE4EjNS0_10empty_typeEbEEZZNS1_14partition_implILS8_4ELb0ES6_15HIP_vector_typeIjLj2EENS0_17counting_iteratorIjlEEPS9_SG_NS0_5tupleIJPjSI_NS0_16reverse_iteratorISI_EEEEENSH_IJSG_SG_SG_EEES9_SI_JZNS1_25segmented_radix_sort_implINS0_14default_configELb0EPK12hip_bfloat16PSP_PKlPlN2at6native12_GLOBAL__N_18offset_tEEE10hipError_tPvRmT1_PNSt15iterator_traitsIS13_E10value_typeET2_T3_PNS14_IS19_E10value_typeET4_jRbjT5_S1F_jjP12ihipStream_tbEUljE_ZNSN_ISO_Lb0ESR_SS_SU_SV_SZ_EES10_S11_S12_S13_S17_S18_S19_S1C_S1D_jS1E_jS1F_S1F_jjS1H_bEUljE0_EEES10_S11_S12_S19_S1D_S1F_T6_T7_T9_mT8_S1H_bDpT10_ENKUlT_T0_E_clISt17integral_constantIbLb1EES1V_EEDaS1Q_S1R_EUlS1Q_E_NS1_11comp_targetILNS1_3genE3ELNS1_11target_archE908ELNS1_3gpuE7ELNS1_3repE0EEENS1_30default_config_static_selectorELNS0_4arch9wavefront6targetE0EEEvS13_
    .private_segment_fixed_size: 0
    .sgpr_count:     0
    .sgpr_spill_count: 0
    .symbol:         _ZN7rocprim17ROCPRIM_400000_NS6detail17trampoline_kernelINS0_13select_configILj256ELj13ELNS0_17block_load_methodE3ELS4_3ELS4_3ELNS0_20block_scan_algorithmE0ELj4294967295EEENS1_25partition_config_selectorILNS1_17partition_subalgoE4EjNS0_10empty_typeEbEEZZNS1_14partition_implILS8_4ELb0ES6_15HIP_vector_typeIjLj2EENS0_17counting_iteratorIjlEEPS9_SG_NS0_5tupleIJPjSI_NS0_16reverse_iteratorISI_EEEEENSH_IJSG_SG_SG_EEES9_SI_JZNS1_25segmented_radix_sort_implINS0_14default_configELb0EPK12hip_bfloat16PSP_PKlPlN2at6native12_GLOBAL__N_18offset_tEEE10hipError_tPvRmT1_PNSt15iterator_traitsIS13_E10value_typeET2_T3_PNS14_IS19_E10value_typeET4_jRbjT5_S1F_jjP12ihipStream_tbEUljE_ZNSN_ISO_Lb0ESR_SS_SU_SV_SZ_EES10_S11_S12_S13_S17_S18_S19_S1C_S1D_jS1E_jS1F_S1F_jjS1H_bEUljE0_EEES10_S11_S12_S19_S1D_S1F_T6_T7_T9_mT8_S1H_bDpT10_ENKUlT_T0_E_clISt17integral_constantIbLb1EES1V_EEDaS1Q_S1R_EUlS1Q_E_NS1_11comp_targetILNS1_3genE3ELNS1_11target_archE908ELNS1_3gpuE7ELNS1_3repE0EEENS1_30default_config_static_selectorELNS0_4arch9wavefront6targetE0EEEvS13_.kd
    .uniform_work_group_size: 1
    .uses_dynamic_stack: false
    .vgpr_count:     0
    .vgpr_spill_count: 0
    .wavefront_size: 32
    .workgroup_processor_mode: 1
  - .args:
      - .offset:         0
        .size:           184
        .value_kind:     by_value
    .group_segment_fixed_size: 0
    .kernarg_segment_align: 8
    .kernarg_segment_size: 184
    .language:       OpenCL C
    .language_version:
      - 2
      - 0
    .max_flat_workgroup_size: 256
    .name:           _ZN7rocprim17ROCPRIM_400000_NS6detail17trampoline_kernelINS0_13select_configILj256ELj13ELNS0_17block_load_methodE3ELS4_3ELS4_3ELNS0_20block_scan_algorithmE0ELj4294967295EEENS1_25partition_config_selectorILNS1_17partition_subalgoE4EjNS0_10empty_typeEbEEZZNS1_14partition_implILS8_4ELb0ES6_15HIP_vector_typeIjLj2EENS0_17counting_iteratorIjlEEPS9_SG_NS0_5tupleIJPjSI_NS0_16reverse_iteratorISI_EEEEENSH_IJSG_SG_SG_EEES9_SI_JZNS1_25segmented_radix_sort_implINS0_14default_configELb0EPK12hip_bfloat16PSP_PKlPlN2at6native12_GLOBAL__N_18offset_tEEE10hipError_tPvRmT1_PNSt15iterator_traitsIS13_E10value_typeET2_T3_PNS14_IS19_E10value_typeET4_jRbjT5_S1F_jjP12ihipStream_tbEUljE_ZNSN_ISO_Lb0ESR_SS_SU_SV_SZ_EES10_S11_S12_S13_S17_S18_S19_S1C_S1D_jS1E_jS1F_S1F_jjS1H_bEUljE0_EEES10_S11_S12_S19_S1D_S1F_T6_T7_T9_mT8_S1H_bDpT10_ENKUlT_T0_E_clISt17integral_constantIbLb1EES1V_EEDaS1Q_S1R_EUlS1Q_E_NS1_11comp_targetILNS1_3genE2ELNS1_11target_archE906ELNS1_3gpuE6ELNS1_3repE0EEENS1_30default_config_static_selectorELNS0_4arch9wavefront6targetE0EEEvS13_
    .private_segment_fixed_size: 0
    .sgpr_count:     0
    .sgpr_spill_count: 0
    .symbol:         _ZN7rocprim17ROCPRIM_400000_NS6detail17trampoline_kernelINS0_13select_configILj256ELj13ELNS0_17block_load_methodE3ELS4_3ELS4_3ELNS0_20block_scan_algorithmE0ELj4294967295EEENS1_25partition_config_selectorILNS1_17partition_subalgoE4EjNS0_10empty_typeEbEEZZNS1_14partition_implILS8_4ELb0ES6_15HIP_vector_typeIjLj2EENS0_17counting_iteratorIjlEEPS9_SG_NS0_5tupleIJPjSI_NS0_16reverse_iteratorISI_EEEEENSH_IJSG_SG_SG_EEES9_SI_JZNS1_25segmented_radix_sort_implINS0_14default_configELb0EPK12hip_bfloat16PSP_PKlPlN2at6native12_GLOBAL__N_18offset_tEEE10hipError_tPvRmT1_PNSt15iterator_traitsIS13_E10value_typeET2_T3_PNS14_IS19_E10value_typeET4_jRbjT5_S1F_jjP12ihipStream_tbEUljE_ZNSN_ISO_Lb0ESR_SS_SU_SV_SZ_EES10_S11_S12_S13_S17_S18_S19_S1C_S1D_jS1E_jS1F_S1F_jjS1H_bEUljE0_EEES10_S11_S12_S19_S1D_S1F_T6_T7_T9_mT8_S1H_bDpT10_ENKUlT_T0_E_clISt17integral_constantIbLb1EES1V_EEDaS1Q_S1R_EUlS1Q_E_NS1_11comp_targetILNS1_3genE2ELNS1_11target_archE906ELNS1_3gpuE6ELNS1_3repE0EEENS1_30default_config_static_selectorELNS0_4arch9wavefront6targetE0EEEvS13_.kd
    .uniform_work_group_size: 1
    .uses_dynamic_stack: false
    .vgpr_count:     0
    .vgpr_spill_count: 0
    .wavefront_size: 32
    .workgroup_processor_mode: 1
  - .args:
      - .offset:         0
        .size:           184
        .value_kind:     by_value
    .group_segment_fixed_size: 0
    .kernarg_segment_align: 8
    .kernarg_segment_size: 184
    .language:       OpenCL C
    .language_version:
      - 2
      - 0
    .max_flat_workgroup_size: 256
    .name:           _ZN7rocprim17ROCPRIM_400000_NS6detail17trampoline_kernelINS0_13select_configILj256ELj13ELNS0_17block_load_methodE3ELS4_3ELS4_3ELNS0_20block_scan_algorithmE0ELj4294967295EEENS1_25partition_config_selectorILNS1_17partition_subalgoE4EjNS0_10empty_typeEbEEZZNS1_14partition_implILS8_4ELb0ES6_15HIP_vector_typeIjLj2EENS0_17counting_iteratorIjlEEPS9_SG_NS0_5tupleIJPjSI_NS0_16reverse_iteratorISI_EEEEENSH_IJSG_SG_SG_EEES9_SI_JZNS1_25segmented_radix_sort_implINS0_14default_configELb0EPK12hip_bfloat16PSP_PKlPlN2at6native12_GLOBAL__N_18offset_tEEE10hipError_tPvRmT1_PNSt15iterator_traitsIS13_E10value_typeET2_T3_PNS14_IS19_E10value_typeET4_jRbjT5_S1F_jjP12ihipStream_tbEUljE_ZNSN_ISO_Lb0ESR_SS_SU_SV_SZ_EES10_S11_S12_S13_S17_S18_S19_S1C_S1D_jS1E_jS1F_S1F_jjS1H_bEUljE0_EEES10_S11_S12_S19_S1D_S1F_T6_T7_T9_mT8_S1H_bDpT10_ENKUlT_T0_E_clISt17integral_constantIbLb1EES1V_EEDaS1Q_S1R_EUlS1Q_E_NS1_11comp_targetILNS1_3genE10ELNS1_11target_archE1200ELNS1_3gpuE4ELNS1_3repE0EEENS1_30default_config_static_selectorELNS0_4arch9wavefront6targetE0EEEvS13_
    .private_segment_fixed_size: 0
    .sgpr_count:     0
    .sgpr_spill_count: 0
    .symbol:         _ZN7rocprim17ROCPRIM_400000_NS6detail17trampoline_kernelINS0_13select_configILj256ELj13ELNS0_17block_load_methodE3ELS4_3ELS4_3ELNS0_20block_scan_algorithmE0ELj4294967295EEENS1_25partition_config_selectorILNS1_17partition_subalgoE4EjNS0_10empty_typeEbEEZZNS1_14partition_implILS8_4ELb0ES6_15HIP_vector_typeIjLj2EENS0_17counting_iteratorIjlEEPS9_SG_NS0_5tupleIJPjSI_NS0_16reverse_iteratorISI_EEEEENSH_IJSG_SG_SG_EEES9_SI_JZNS1_25segmented_radix_sort_implINS0_14default_configELb0EPK12hip_bfloat16PSP_PKlPlN2at6native12_GLOBAL__N_18offset_tEEE10hipError_tPvRmT1_PNSt15iterator_traitsIS13_E10value_typeET2_T3_PNS14_IS19_E10value_typeET4_jRbjT5_S1F_jjP12ihipStream_tbEUljE_ZNSN_ISO_Lb0ESR_SS_SU_SV_SZ_EES10_S11_S12_S13_S17_S18_S19_S1C_S1D_jS1E_jS1F_S1F_jjS1H_bEUljE0_EEES10_S11_S12_S19_S1D_S1F_T6_T7_T9_mT8_S1H_bDpT10_ENKUlT_T0_E_clISt17integral_constantIbLb1EES1V_EEDaS1Q_S1R_EUlS1Q_E_NS1_11comp_targetILNS1_3genE10ELNS1_11target_archE1200ELNS1_3gpuE4ELNS1_3repE0EEENS1_30default_config_static_selectorELNS0_4arch9wavefront6targetE0EEEvS13_.kd
    .uniform_work_group_size: 1
    .uses_dynamic_stack: false
    .vgpr_count:     0
    .vgpr_spill_count: 0
    .wavefront_size: 32
    .workgroup_processor_mode: 1
  - .args:
      - .offset:         0
        .size:           184
        .value_kind:     by_value
    .group_segment_fixed_size: 0
    .kernarg_segment_align: 8
    .kernarg_segment_size: 184
    .language:       OpenCL C
    .language_version:
      - 2
      - 0
    .max_flat_workgroup_size: 256
    .name:           _ZN7rocprim17ROCPRIM_400000_NS6detail17trampoline_kernelINS0_13select_configILj256ELj13ELNS0_17block_load_methodE3ELS4_3ELS4_3ELNS0_20block_scan_algorithmE0ELj4294967295EEENS1_25partition_config_selectorILNS1_17partition_subalgoE4EjNS0_10empty_typeEbEEZZNS1_14partition_implILS8_4ELb0ES6_15HIP_vector_typeIjLj2EENS0_17counting_iteratorIjlEEPS9_SG_NS0_5tupleIJPjSI_NS0_16reverse_iteratorISI_EEEEENSH_IJSG_SG_SG_EEES9_SI_JZNS1_25segmented_radix_sort_implINS0_14default_configELb0EPK12hip_bfloat16PSP_PKlPlN2at6native12_GLOBAL__N_18offset_tEEE10hipError_tPvRmT1_PNSt15iterator_traitsIS13_E10value_typeET2_T3_PNS14_IS19_E10value_typeET4_jRbjT5_S1F_jjP12ihipStream_tbEUljE_ZNSN_ISO_Lb0ESR_SS_SU_SV_SZ_EES10_S11_S12_S13_S17_S18_S19_S1C_S1D_jS1E_jS1F_S1F_jjS1H_bEUljE0_EEES10_S11_S12_S19_S1D_S1F_T6_T7_T9_mT8_S1H_bDpT10_ENKUlT_T0_E_clISt17integral_constantIbLb1EES1V_EEDaS1Q_S1R_EUlS1Q_E_NS1_11comp_targetILNS1_3genE9ELNS1_11target_archE1100ELNS1_3gpuE3ELNS1_3repE0EEENS1_30default_config_static_selectorELNS0_4arch9wavefront6targetE0EEEvS13_
    .private_segment_fixed_size: 0
    .sgpr_count:     0
    .sgpr_spill_count: 0
    .symbol:         _ZN7rocprim17ROCPRIM_400000_NS6detail17trampoline_kernelINS0_13select_configILj256ELj13ELNS0_17block_load_methodE3ELS4_3ELS4_3ELNS0_20block_scan_algorithmE0ELj4294967295EEENS1_25partition_config_selectorILNS1_17partition_subalgoE4EjNS0_10empty_typeEbEEZZNS1_14partition_implILS8_4ELb0ES6_15HIP_vector_typeIjLj2EENS0_17counting_iteratorIjlEEPS9_SG_NS0_5tupleIJPjSI_NS0_16reverse_iteratorISI_EEEEENSH_IJSG_SG_SG_EEES9_SI_JZNS1_25segmented_radix_sort_implINS0_14default_configELb0EPK12hip_bfloat16PSP_PKlPlN2at6native12_GLOBAL__N_18offset_tEEE10hipError_tPvRmT1_PNSt15iterator_traitsIS13_E10value_typeET2_T3_PNS14_IS19_E10value_typeET4_jRbjT5_S1F_jjP12ihipStream_tbEUljE_ZNSN_ISO_Lb0ESR_SS_SU_SV_SZ_EES10_S11_S12_S13_S17_S18_S19_S1C_S1D_jS1E_jS1F_S1F_jjS1H_bEUljE0_EEES10_S11_S12_S19_S1D_S1F_T6_T7_T9_mT8_S1H_bDpT10_ENKUlT_T0_E_clISt17integral_constantIbLb1EES1V_EEDaS1Q_S1R_EUlS1Q_E_NS1_11comp_targetILNS1_3genE9ELNS1_11target_archE1100ELNS1_3gpuE3ELNS1_3repE0EEENS1_30default_config_static_selectorELNS0_4arch9wavefront6targetE0EEEvS13_.kd
    .uniform_work_group_size: 1
    .uses_dynamic_stack: false
    .vgpr_count:     0
    .vgpr_spill_count: 0
    .wavefront_size: 32
    .workgroup_processor_mode: 1
  - .args:
      - .offset:         0
        .size:           184
        .value_kind:     by_value
    .group_segment_fixed_size: 0
    .kernarg_segment_align: 8
    .kernarg_segment_size: 184
    .language:       OpenCL C
    .language_version:
      - 2
      - 0
    .max_flat_workgroup_size: 256
    .name:           _ZN7rocprim17ROCPRIM_400000_NS6detail17trampoline_kernelINS0_13select_configILj256ELj13ELNS0_17block_load_methodE3ELS4_3ELS4_3ELNS0_20block_scan_algorithmE0ELj4294967295EEENS1_25partition_config_selectorILNS1_17partition_subalgoE4EjNS0_10empty_typeEbEEZZNS1_14partition_implILS8_4ELb0ES6_15HIP_vector_typeIjLj2EENS0_17counting_iteratorIjlEEPS9_SG_NS0_5tupleIJPjSI_NS0_16reverse_iteratorISI_EEEEENSH_IJSG_SG_SG_EEES9_SI_JZNS1_25segmented_radix_sort_implINS0_14default_configELb0EPK12hip_bfloat16PSP_PKlPlN2at6native12_GLOBAL__N_18offset_tEEE10hipError_tPvRmT1_PNSt15iterator_traitsIS13_E10value_typeET2_T3_PNS14_IS19_E10value_typeET4_jRbjT5_S1F_jjP12ihipStream_tbEUljE_ZNSN_ISO_Lb0ESR_SS_SU_SV_SZ_EES10_S11_S12_S13_S17_S18_S19_S1C_S1D_jS1E_jS1F_S1F_jjS1H_bEUljE0_EEES10_S11_S12_S19_S1D_S1F_T6_T7_T9_mT8_S1H_bDpT10_ENKUlT_T0_E_clISt17integral_constantIbLb1EES1V_EEDaS1Q_S1R_EUlS1Q_E_NS1_11comp_targetILNS1_3genE8ELNS1_11target_archE1030ELNS1_3gpuE2ELNS1_3repE0EEENS1_30default_config_static_selectorELNS0_4arch9wavefront6targetE0EEEvS13_
    .private_segment_fixed_size: 0
    .sgpr_count:     0
    .sgpr_spill_count: 0
    .symbol:         _ZN7rocprim17ROCPRIM_400000_NS6detail17trampoline_kernelINS0_13select_configILj256ELj13ELNS0_17block_load_methodE3ELS4_3ELS4_3ELNS0_20block_scan_algorithmE0ELj4294967295EEENS1_25partition_config_selectorILNS1_17partition_subalgoE4EjNS0_10empty_typeEbEEZZNS1_14partition_implILS8_4ELb0ES6_15HIP_vector_typeIjLj2EENS0_17counting_iteratorIjlEEPS9_SG_NS0_5tupleIJPjSI_NS0_16reverse_iteratorISI_EEEEENSH_IJSG_SG_SG_EEES9_SI_JZNS1_25segmented_radix_sort_implINS0_14default_configELb0EPK12hip_bfloat16PSP_PKlPlN2at6native12_GLOBAL__N_18offset_tEEE10hipError_tPvRmT1_PNSt15iterator_traitsIS13_E10value_typeET2_T3_PNS14_IS19_E10value_typeET4_jRbjT5_S1F_jjP12ihipStream_tbEUljE_ZNSN_ISO_Lb0ESR_SS_SU_SV_SZ_EES10_S11_S12_S13_S17_S18_S19_S1C_S1D_jS1E_jS1F_S1F_jjS1H_bEUljE0_EEES10_S11_S12_S19_S1D_S1F_T6_T7_T9_mT8_S1H_bDpT10_ENKUlT_T0_E_clISt17integral_constantIbLb1EES1V_EEDaS1Q_S1R_EUlS1Q_E_NS1_11comp_targetILNS1_3genE8ELNS1_11target_archE1030ELNS1_3gpuE2ELNS1_3repE0EEENS1_30default_config_static_selectorELNS0_4arch9wavefront6targetE0EEEvS13_.kd
    .uniform_work_group_size: 1
    .uses_dynamic_stack: false
    .vgpr_count:     0
    .vgpr_spill_count: 0
    .wavefront_size: 32
    .workgroup_processor_mode: 1
  - .args:
      - .offset:         0
        .size:           176
        .value_kind:     by_value
    .group_segment_fixed_size: 0
    .kernarg_segment_align: 8
    .kernarg_segment_size: 176
    .language:       OpenCL C
    .language_version:
      - 2
      - 0
    .max_flat_workgroup_size: 256
    .name:           _ZN7rocprim17ROCPRIM_400000_NS6detail17trampoline_kernelINS0_13select_configILj256ELj13ELNS0_17block_load_methodE3ELS4_3ELS4_3ELNS0_20block_scan_algorithmE0ELj4294967295EEENS1_25partition_config_selectorILNS1_17partition_subalgoE4EjNS0_10empty_typeEbEEZZNS1_14partition_implILS8_4ELb0ES6_15HIP_vector_typeIjLj2EENS0_17counting_iteratorIjlEEPS9_SG_NS0_5tupleIJPjSI_NS0_16reverse_iteratorISI_EEEEENSH_IJSG_SG_SG_EEES9_SI_JZNS1_25segmented_radix_sort_implINS0_14default_configELb0EPK12hip_bfloat16PSP_PKlPlN2at6native12_GLOBAL__N_18offset_tEEE10hipError_tPvRmT1_PNSt15iterator_traitsIS13_E10value_typeET2_T3_PNS14_IS19_E10value_typeET4_jRbjT5_S1F_jjP12ihipStream_tbEUljE_ZNSN_ISO_Lb0ESR_SS_SU_SV_SZ_EES10_S11_S12_S13_S17_S18_S19_S1C_S1D_jS1E_jS1F_S1F_jjS1H_bEUljE0_EEES10_S11_S12_S19_S1D_S1F_T6_T7_T9_mT8_S1H_bDpT10_ENKUlT_T0_E_clISt17integral_constantIbLb1EES1U_IbLb0EEEEDaS1Q_S1R_EUlS1Q_E_NS1_11comp_targetILNS1_3genE0ELNS1_11target_archE4294967295ELNS1_3gpuE0ELNS1_3repE0EEENS1_30default_config_static_selectorELNS0_4arch9wavefront6targetE0EEEvS13_
    .private_segment_fixed_size: 0
    .sgpr_count:     0
    .sgpr_spill_count: 0
    .symbol:         _ZN7rocprim17ROCPRIM_400000_NS6detail17trampoline_kernelINS0_13select_configILj256ELj13ELNS0_17block_load_methodE3ELS4_3ELS4_3ELNS0_20block_scan_algorithmE0ELj4294967295EEENS1_25partition_config_selectorILNS1_17partition_subalgoE4EjNS0_10empty_typeEbEEZZNS1_14partition_implILS8_4ELb0ES6_15HIP_vector_typeIjLj2EENS0_17counting_iteratorIjlEEPS9_SG_NS0_5tupleIJPjSI_NS0_16reverse_iteratorISI_EEEEENSH_IJSG_SG_SG_EEES9_SI_JZNS1_25segmented_radix_sort_implINS0_14default_configELb0EPK12hip_bfloat16PSP_PKlPlN2at6native12_GLOBAL__N_18offset_tEEE10hipError_tPvRmT1_PNSt15iterator_traitsIS13_E10value_typeET2_T3_PNS14_IS19_E10value_typeET4_jRbjT5_S1F_jjP12ihipStream_tbEUljE_ZNSN_ISO_Lb0ESR_SS_SU_SV_SZ_EES10_S11_S12_S13_S17_S18_S19_S1C_S1D_jS1E_jS1F_S1F_jjS1H_bEUljE0_EEES10_S11_S12_S19_S1D_S1F_T6_T7_T9_mT8_S1H_bDpT10_ENKUlT_T0_E_clISt17integral_constantIbLb1EES1U_IbLb0EEEEDaS1Q_S1R_EUlS1Q_E_NS1_11comp_targetILNS1_3genE0ELNS1_11target_archE4294967295ELNS1_3gpuE0ELNS1_3repE0EEENS1_30default_config_static_selectorELNS0_4arch9wavefront6targetE0EEEvS13_.kd
    .uniform_work_group_size: 1
    .uses_dynamic_stack: false
    .vgpr_count:     0
    .vgpr_spill_count: 0
    .wavefront_size: 32
    .workgroup_processor_mode: 1
  - .args:
      - .offset:         0
        .size:           176
        .value_kind:     by_value
    .group_segment_fixed_size: 0
    .kernarg_segment_align: 8
    .kernarg_segment_size: 176
    .language:       OpenCL C
    .language_version:
      - 2
      - 0
    .max_flat_workgroup_size: 256
    .name:           _ZN7rocprim17ROCPRIM_400000_NS6detail17trampoline_kernelINS0_13select_configILj256ELj13ELNS0_17block_load_methodE3ELS4_3ELS4_3ELNS0_20block_scan_algorithmE0ELj4294967295EEENS1_25partition_config_selectorILNS1_17partition_subalgoE4EjNS0_10empty_typeEbEEZZNS1_14partition_implILS8_4ELb0ES6_15HIP_vector_typeIjLj2EENS0_17counting_iteratorIjlEEPS9_SG_NS0_5tupleIJPjSI_NS0_16reverse_iteratorISI_EEEEENSH_IJSG_SG_SG_EEES9_SI_JZNS1_25segmented_radix_sort_implINS0_14default_configELb0EPK12hip_bfloat16PSP_PKlPlN2at6native12_GLOBAL__N_18offset_tEEE10hipError_tPvRmT1_PNSt15iterator_traitsIS13_E10value_typeET2_T3_PNS14_IS19_E10value_typeET4_jRbjT5_S1F_jjP12ihipStream_tbEUljE_ZNSN_ISO_Lb0ESR_SS_SU_SV_SZ_EES10_S11_S12_S13_S17_S18_S19_S1C_S1D_jS1E_jS1F_S1F_jjS1H_bEUljE0_EEES10_S11_S12_S19_S1D_S1F_T6_T7_T9_mT8_S1H_bDpT10_ENKUlT_T0_E_clISt17integral_constantIbLb1EES1U_IbLb0EEEEDaS1Q_S1R_EUlS1Q_E_NS1_11comp_targetILNS1_3genE5ELNS1_11target_archE942ELNS1_3gpuE9ELNS1_3repE0EEENS1_30default_config_static_selectorELNS0_4arch9wavefront6targetE0EEEvS13_
    .private_segment_fixed_size: 0
    .sgpr_count:     0
    .sgpr_spill_count: 0
    .symbol:         _ZN7rocprim17ROCPRIM_400000_NS6detail17trampoline_kernelINS0_13select_configILj256ELj13ELNS0_17block_load_methodE3ELS4_3ELS4_3ELNS0_20block_scan_algorithmE0ELj4294967295EEENS1_25partition_config_selectorILNS1_17partition_subalgoE4EjNS0_10empty_typeEbEEZZNS1_14partition_implILS8_4ELb0ES6_15HIP_vector_typeIjLj2EENS0_17counting_iteratorIjlEEPS9_SG_NS0_5tupleIJPjSI_NS0_16reverse_iteratorISI_EEEEENSH_IJSG_SG_SG_EEES9_SI_JZNS1_25segmented_radix_sort_implINS0_14default_configELb0EPK12hip_bfloat16PSP_PKlPlN2at6native12_GLOBAL__N_18offset_tEEE10hipError_tPvRmT1_PNSt15iterator_traitsIS13_E10value_typeET2_T3_PNS14_IS19_E10value_typeET4_jRbjT5_S1F_jjP12ihipStream_tbEUljE_ZNSN_ISO_Lb0ESR_SS_SU_SV_SZ_EES10_S11_S12_S13_S17_S18_S19_S1C_S1D_jS1E_jS1F_S1F_jjS1H_bEUljE0_EEES10_S11_S12_S19_S1D_S1F_T6_T7_T9_mT8_S1H_bDpT10_ENKUlT_T0_E_clISt17integral_constantIbLb1EES1U_IbLb0EEEEDaS1Q_S1R_EUlS1Q_E_NS1_11comp_targetILNS1_3genE5ELNS1_11target_archE942ELNS1_3gpuE9ELNS1_3repE0EEENS1_30default_config_static_selectorELNS0_4arch9wavefront6targetE0EEEvS13_.kd
    .uniform_work_group_size: 1
    .uses_dynamic_stack: false
    .vgpr_count:     0
    .vgpr_spill_count: 0
    .wavefront_size: 32
    .workgroup_processor_mode: 1
  - .args:
      - .offset:         0
        .size:           176
        .value_kind:     by_value
    .group_segment_fixed_size: 0
    .kernarg_segment_align: 8
    .kernarg_segment_size: 176
    .language:       OpenCL C
    .language_version:
      - 2
      - 0
    .max_flat_workgroup_size: 256
    .name:           _ZN7rocprim17ROCPRIM_400000_NS6detail17trampoline_kernelINS0_13select_configILj256ELj13ELNS0_17block_load_methodE3ELS4_3ELS4_3ELNS0_20block_scan_algorithmE0ELj4294967295EEENS1_25partition_config_selectorILNS1_17partition_subalgoE4EjNS0_10empty_typeEbEEZZNS1_14partition_implILS8_4ELb0ES6_15HIP_vector_typeIjLj2EENS0_17counting_iteratorIjlEEPS9_SG_NS0_5tupleIJPjSI_NS0_16reverse_iteratorISI_EEEEENSH_IJSG_SG_SG_EEES9_SI_JZNS1_25segmented_radix_sort_implINS0_14default_configELb0EPK12hip_bfloat16PSP_PKlPlN2at6native12_GLOBAL__N_18offset_tEEE10hipError_tPvRmT1_PNSt15iterator_traitsIS13_E10value_typeET2_T3_PNS14_IS19_E10value_typeET4_jRbjT5_S1F_jjP12ihipStream_tbEUljE_ZNSN_ISO_Lb0ESR_SS_SU_SV_SZ_EES10_S11_S12_S13_S17_S18_S19_S1C_S1D_jS1E_jS1F_S1F_jjS1H_bEUljE0_EEES10_S11_S12_S19_S1D_S1F_T6_T7_T9_mT8_S1H_bDpT10_ENKUlT_T0_E_clISt17integral_constantIbLb1EES1U_IbLb0EEEEDaS1Q_S1R_EUlS1Q_E_NS1_11comp_targetILNS1_3genE4ELNS1_11target_archE910ELNS1_3gpuE8ELNS1_3repE0EEENS1_30default_config_static_selectorELNS0_4arch9wavefront6targetE0EEEvS13_
    .private_segment_fixed_size: 0
    .sgpr_count:     0
    .sgpr_spill_count: 0
    .symbol:         _ZN7rocprim17ROCPRIM_400000_NS6detail17trampoline_kernelINS0_13select_configILj256ELj13ELNS0_17block_load_methodE3ELS4_3ELS4_3ELNS0_20block_scan_algorithmE0ELj4294967295EEENS1_25partition_config_selectorILNS1_17partition_subalgoE4EjNS0_10empty_typeEbEEZZNS1_14partition_implILS8_4ELb0ES6_15HIP_vector_typeIjLj2EENS0_17counting_iteratorIjlEEPS9_SG_NS0_5tupleIJPjSI_NS0_16reverse_iteratorISI_EEEEENSH_IJSG_SG_SG_EEES9_SI_JZNS1_25segmented_radix_sort_implINS0_14default_configELb0EPK12hip_bfloat16PSP_PKlPlN2at6native12_GLOBAL__N_18offset_tEEE10hipError_tPvRmT1_PNSt15iterator_traitsIS13_E10value_typeET2_T3_PNS14_IS19_E10value_typeET4_jRbjT5_S1F_jjP12ihipStream_tbEUljE_ZNSN_ISO_Lb0ESR_SS_SU_SV_SZ_EES10_S11_S12_S13_S17_S18_S19_S1C_S1D_jS1E_jS1F_S1F_jjS1H_bEUljE0_EEES10_S11_S12_S19_S1D_S1F_T6_T7_T9_mT8_S1H_bDpT10_ENKUlT_T0_E_clISt17integral_constantIbLb1EES1U_IbLb0EEEEDaS1Q_S1R_EUlS1Q_E_NS1_11comp_targetILNS1_3genE4ELNS1_11target_archE910ELNS1_3gpuE8ELNS1_3repE0EEENS1_30default_config_static_selectorELNS0_4arch9wavefront6targetE0EEEvS13_.kd
    .uniform_work_group_size: 1
    .uses_dynamic_stack: false
    .vgpr_count:     0
    .vgpr_spill_count: 0
    .wavefront_size: 32
    .workgroup_processor_mode: 1
  - .args:
      - .offset:         0
        .size:           176
        .value_kind:     by_value
    .group_segment_fixed_size: 0
    .kernarg_segment_align: 8
    .kernarg_segment_size: 176
    .language:       OpenCL C
    .language_version:
      - 2
      - 0
    .max_flat_workgroup_size: 256
    .name:           _ZN7rocprim17ROCPRIM_400000_NS6detail17trampoline_kernelINS0_13select_configILj256ELj13ELNS0_17block_load_methodE3ELS4_3ELS4_3ELNS0_20block_scan_algorithmE0ELj4294967295EEENS1_25partition_config_selectorILNS1_17partition_subalgoE4EjNS0_10empty_typeEbEEZZNS1_14partition_implILS8_4ELb0ES6_15HIP_vector_typeIjLj2EENS0_17counting_iteratorIjlEEPS9_SG_NS0_5tupleIJPjSI_NS0_16reverse_iteratorISI_EEEEENSH_IJSG_SG_SG_EEES9_SI_JZNS1_25segmented_radix_sort_implINS0_14default_configELb0EPK12hip_bfloat16PSP_PKlPlN2at6native12_GLOBAL__N_18offset_tEEE10hipError_tPvRmT1_PNSt15iterator_traitsIS13_E10value_typeET2_T3_PNS14_IS19_E10value_typeET4_jRbjT5_S1F_jjP12ihipStream_tbEUljE_ZNSN_ISO_Lb0ESR_SS_SU_SV_SZ_EES10_S11_S12_S13_S17_S18_S19_S1C_S1D_jS1E_jS1F_S1F_jjS1H_bEUljE0_EEES10_S11_S12_S19_S1D_S1F_T6_T7_T9_mT8_S1H_bDpT10_ENKUlT_T0_E_clISt17integral_constantIbLb1EES1U_IbLb0EEEEDaS1Q_S1R_EUlS1Q_E_NS1_11comp_targetILNS1_3genE3ELNS1_11target_archE908ELNS1_3gpuE7ELNS1_3repE0EEENS1_30default_config_static_selectorELNS0_4arch9wavefront6targetE0EEEvS13_
    .private_segment_fixed_size: 0
    .sgpr_count:     0
    .sgpr_spill_count: 0
    .symbol:         _ZN7rocprim17ROCPRIM_400000_NS6detail17trampoline_kernelINS0_13select_configILj256ELj13ELNS0_17block_load_methodE3ELS4_3ELS4_3ELNS0_20block_scan_algorithmE0ELj4294967295EEENS1_25partition_config_selectorILNS1_17partition_subalgoE4EjNS0_10empty_typeEbEEZZNS1_14partition_implILS8_4ELb0ES6_15HIP_vector_typeIjLj2EENS0_17counting_iteratorIjlEEPS9_SG_NS0_5tupleIJPjSI_NS0_16reverse_iteratorISI_EEEEENSH_IJSG_SG_SG_EEES9_SI_JZNS1_25segmented_radix_sort_implINS0_14default_configELb0EPK12hip_bfloat16PSP_PKlPlN2at6native12_GLOBAL__N_18offset_tEEE10hipError_tPvRmT1_PNSt15iterator_traitsIS13_E10value_typeET2_T3_PNS14_IS19_E10value_typeET4_jRbjT5_S1F_jjP12ihipStream_tbEUljE_ZNSN_ISO_Lb0ESR_SS_SU_SV_SZ_EES10_S11_S12_S13_S17_S18_S19_S1C_S1D_jS1E_jS1F_S1F_jjS1H_bEUljE0_EEES10_S11_S12_S19_S1D_S1F_T6_T7_T9_mT8_S1H_bDpT10_ENKUlT_T0_E_clISt17integral_constantIbLb1EES1U_IbLb0EEEEDaS1Q_S1R_EUlS1Q_E_NS1_11comp_targetILNS1_3genE3ELNS1_11target_archE908ELNS1_3gpuE7ELNS1_3repE0EEENS1_30default_config_static_selectorELNS0_4arch9wavefront6targetE0EEEvS13_.kd
    .uniform_work_group_size: 1
    .uses_dynamic_stack: false
    .vgpr_count:     0
    .vgpr_spill_count: 0
    .wavefront_size: 32
    .workgroup_processor_mode: 1
  - .args:
      - .offset:         0
        .size:           176
        .value_kind:     by_value
    .group_segment_fixed_size: 0
    .kernarg_segment_align: 8
    .kernarg_segment_size: 176
    .language:       OpenCL C
    .language_version:
      - 2
      - 0
    .max_flat_workgroup_size: 256
    .name:           _ZN7rocprim17ROCPRIM_400000_NS6detail17trampoline_kernelINS0_13select_configILj256ELj13ELNS0_17block_load_methodE3ELS4_3ELS4_3ELNS0_20block_scan_algorithmE0ELj4294967295EEENS1_25partition_config_selectorILNS1_17partition_subalgoE4EjNS0_10empty_typeEbEEZZNS1_14partition_implILS8_4ELb0ES6_15HIP_vector_typeIjLj2EENS0_17counting_iteratorIjlEEPS9_SG_NS0_5tupleIJPjSI_NS0_16reverse_iteratorISI_EEEEENSH_IJSG_SG_SG_EEES9_SI_JZNS1_25segmented_radix_sort_implINS0_14default_configELb0EPK12hip_bfloat16PSP_PKlPlN2at6native12_GLOBAL__N_18offset_tEEE10hipError_tPvRmT1_PNSt15iterator_traitsIS13_E10value_typeET2_T3_PNS14_IS19_E10value_typeET4_jRbjT5_S1F_jjP12ihipStream_tbEUljE_ZNSN_ISO_Lb0ESR_SS_SU_SV_SZ_EES10_S11_S12_S13_S17_S18_S19_S1C_S1D_jS1E_jS1F_S1F_jjS1H_bEUljE0_EEES10_S11_S12_S19_S1D_S1F_T6_T7_T9_mT8_S1H_bDpT10_ENKUlT_T0_E_clISt17integral_constantIbLb1EES1U_IbLb0EEEEDaS1Q_S1R_EUlS1Q_E_NS1_11comp_targetILNS1_3genE2ELNS1_11target_archE906ELNS1_3gpuE6ELNS1_3repE0EEENS1_30default_config_static_selectorELNS0_4arch9wavefront6targetE0EEEvS13_
    .private_segment_fixed_size: 0
    .sgpr_count:     0
    .sgpr_spill_count: 0
    .symbol:         _ZN7rocprim17ROCPRIM_400000_NS6detail17trampoline_kernelINS0_13select_configILj256ELj13ELNS0_17block_load_methodE3ELS4_3ELS4_3ELNS0_20block_scan_algorithmE0ELj4294967295EEENS1_25partition_config_selectorILNS1_17partition_subalgoE4EjNS0_10empty_typeEbEEZZNS1_14partition_implILS8_4ELb0ES6_15HIP_vector_typeIjLj2EENS0_17counting_iteratorIjlEEPS9_SG_NS0_5tupleIJPjSI_NS0_16reverse_iteratorISI_EEEEENSH_IJSG_SG_SG_EEES9_SI_JZNS1_25segmented_radix_sort_implINS0_14default_configELb0EPK12hip_bfloat16PSP_PKlPlN2at6native12_GLOBAL__N_18offset_tEEE10hipError_tPvRmT1_PNSt15iterator_traitsIS13_E10value_typeET2_T3_PNS14_IS19_E10value_typeET4_jRbjT5_S1F_jjP12ihipStream_tbEUljE_ZNSN_ISO_Lb0ESR_SS_SU_SV_SZ_EES10_S11_S12_S13_S17_S18_S19_S1C_S1D_jS1E_jS1F_S1F_jjS1H_bEUljE0_EEES10_S11_S12_S19_S1D_S1F_T6_T7_T9_mT8_S1H_bDpT10_ENKUlT_T0_E_clISt17integral_constantIbLb1EES1U_IbLb0EEEEDaS1Q_S1R_EUlS1Q_E_NS1_11comp_targetILNS1_3genE2ELNS1_11target_archE906ELNS1_3gpuE6ELNS1_3repE0EEENS1_30default_config_static_selectorELNS0_4arch9wavefront6targetE0EEEvS13_.kd
    .uniform_work_group_size: 1
    .uses_dynamic_stack: false
    .vgpr_count:     0
    .vgpr_spill_count: 0
    .wavefront_size: 32
    .workgroup_processor_mode: 1
  - .args:
      - .offset:         0
        .size:           176
        .value_kind:     by_value
    .group_segment_fixed_size: 0
    .kernarg_segment_align: 8
    .kernarg_segment_size: 176
    .language:       OpenCL C
    .language_version:
      - 2
      - 0
    .max_flat_workgroup_size: 256
    .name:           _ZN7rocprim17ROCPRIM_400000_NS6detail17trampoline_kernelINS0_13select_configILj256ELj13ELNS0_17block_load_methodE3ELS4_3ELS4_3ELNS0_20block_scan_algorithmE0ELj4294967295EEENS1_25partition_config_selectorILNS1_17partition_subalgoE4EjNS0_10empty_typeEbEEZZNS1_14partition_implILS8_4ELb0ES6_15HIP_vector_typeIjLj2EENS0_17counting_iteratorIjlEEPS9_SG_NS0_5tupleIJPjSI_NS0_16reverse_iteratorISI_EEEEENSH_IJSG_SG_SG_EEES9_SI_JZNS1_25segmented_radix_sort_implINS0_14default_configELb0EPK12hip_bfloat16PSP_PKlPlN2at6native12_GLOBAL__N_18offset_tEEE10hipError_tPvRmT1_PNSt15iterator_traitsIS13_E10value_typeET2_T3_PNS14_IS19_E10value_typeET4_jRbjT5_S1F_jjP12ihipStream_tbEUljE_ZNSN_ISO_Lb0ESR_SS_SU_SV_SZ_EES10_S11_S12_S13_S17_S18_S19_S1C_S1D_jS1E_jS1F_S1F_jjS1H_bEUljE0_EEES10_S11_S12_S19_S1D_S1F_T6_T7_T9_mT8_S1H_bDpT10_ENKUlT_T0_E_clISt17integral_constantIbLb1EES1U_IbLb0EEEEDaS1Q_S1R_EUlS1Q_E_NS1_11comp_targetILNS1_3genE10ELNS1_11target_archE1200ELNS1_3gpuE4ELNS1_3repE0EEENS1_30default_config_static_selectorELNS0_4arch9wavefront6targetE0EEEvS13_
    .private_segment_fixed_size: 0
    .sgpr_count:     0
    .sgpr_spill_count: 0
    .symbol:         _ZN7rocprim17ROCPRIM_400000_NS6detail17trampoline_kernelINS0_13select_configILj256ELj13ELNS0_17block_load_methodE3ELS4_3ELS4_3ELNS0_20block_scan_algorithmE0ELj4294967295EEENS1_25partition_config_selectorILNS1_17partition_subalgoE4EjNS0_10empty_typeEbEEZZNS1_14partition_implILS8_4ELb0ES6_15HIP_vector_typeIjLj2EENS0_17counting_iteratorIjlEEPS9_SG_NS0_5tupleIJPjSI_NS0_16reverse_iteratorISI_EEEEENSH_IJSG_SG_SG_EEES9_SI_JZNS1_25segmented_radix_sort_implINS0_14default_configELb0EPK12hip_bfloat16PSP_PKlPlN2at6native12_GLOBAL__N_18offset_tEEE10hipError_tPvRmT1_PNSt15iterator_traitsIS13_E10value_typeET2_T3_PNS14_IS19_E10value_typeET4_jRbjT5_S1F_jjP12ihipStream_tbEUljE_ZNSN_ISO_Lb0ESR_SS_SU_SV_SZ_EES10_S11_S12_S13_S17_S18_S19_S1C_S1D_jS1E_jS1F_S1F_jjS1H_bEUljE0_EEES10_S11_S12_S19_S1D_S1F_T6_T7_T9_mT8_S1H_bDpT10_ENKUlT_T0_E_clISt17integral_constantIbLb1EES1U_IbLb0EEEEDaS1Q_S1R_EUlS1Q_E_NS1_11comp_targetILNS1_3genE10ELNS1_11target_archE1200ELNS1_3gpuE4ELNS1_3repE0EEENS1_30default_config_static_selectorELNS0_4arch9wavefront6targetE0EEEvS13_.kd
    .uniform_work_group_size: 1
    .uses_dynamic_stack: false
    .vgpr_count:     0
    .vgpr_spill_count: 0
    .wavefront_size: 32
    .workgroup_processor_mode: 1
  - .args:
      - .offset:         0
        .size:           176
        .value_kind:     by_value
    .group_segment_fixed_size: 0
    .kernarg_segment_align: 8
    .kernarg_segment_size: 176
    .language:       OpenCL C
    .language_version:
      - 2
      - 0
    .max_flat_workgroup_size: 256
    .name:           _ZN7rocprim17ROCPRIM_400000_NS6detail17trampoline_kernelINS0_13select_configILj256ELj13ELNS0_17block_load_methodE3ELS4_3ELS4_3ELNS0_20block_scan_algorithmE0ELj4294967295EEENS1_25partition_config_selectorILNS1_17partition_subalgoE4EjNS0_10empty_typeEbEEZZNS1_14partition_implILS8_4ELb0ES6_15HIP_vector_typeIjLj2EENS0_17counting_iteratorIjlEEPS9_SG_NS0_5tupleIJPjSI_NS0_16reverse_iteratorISI_EEEEENSH_IJSG_SG_SG_EEES9_SI_JZNS1_25segmented_radix_sort_implINS0_14default_configELb0EPK12hip_bfloat16PSP_PKlPlN2at6native12_GLOBAL__N_18offset_tEEE10hipError_tPvRmT1_PNSt15iterator_traitsIS13_E10value_typeET2_T3_PNS14_IS19_E10value_typeET4_jRbjT5_S1F_jjP12ihipStream_tbEUljE_ZNSN_ISO_Lb0ESR_SS_SU_SV_SZ_EES10_S11_S12_S13_S17_S18_S19_S1C_S1D_jS1E_jS1F_S1F_jjS1H_bEUljE0_EEES10_S11_S12_S19_S1D_S1F_T6_T7_T9_mT8_S1H_bDpT10_ENKUlT_T0_E_clISt17integral_constantIbLb1EES1U_IbLb0EEEEDaS1Q_S1R_EUlS1Q_E_NS1_11comp_targetILNS1_3genE9ELNS1_11target_archE1100ELNS1_3gpuE3ELNS1_3repE0EEENS1_30default_config_static_selectorELNS0_4arch9wavefront6targetE0EEEvS13_
    .private_segment_fixed_size: 0
    .sgpr_count:     0
    .sgpr_spill_count: 0
    .symbol:         _ZN7rocprim17ROCPRIM_400000_NS6detail17trampoline_kernelINS0_13select_configILj256ELj13ELNS0_17block_load_methodE3ELS4_3ELS4_3ELNS0_20block_scan_algorithmE0ELj4294967295EEENS1_25partition_config_selectorILNS1_17partition_subalgoE4EjNS0_10empty_typeEbEEZZNS1_14partition_implILS8_4ELb0ES6_15HIP_vector_typeIjLj2EENS0_17counting_iteratorIjlEEPS9_SG_NS0_5tupleIJPjSI_NS0_16reverse_iteratorISI_EEEEENSH_IJSG_SG_SG_EEES9_SI_JZNS1_25segmented_radix_sort_implINS0_14default_configELb0EPK12hip_bfloat16PSP_PKlPlN2at6native12_GLOBAL__N_18offset_tEEE10hipError_tPvRmT1_PNSt15iterator_traitsIS13_E10value_typeET2_T3_PNS14_IS19_E10value_typeET4_jRbjT5_S1F_jjP12ihipStream_tbEUljE_ZNSN_ISO_Lb0ESR_SS_SU_SV_SZ_EES10_S11_S12_S13_S17_S18_S19_S1C_S1D_jS1E_jS1F_S1F_jjS1H_bEUljE0_EEES10_S11_S12_S19_S1D_S1F_T6_T7_T9_mT8_S1H_bDpT10_ENKUlT_T0_E_clISt17integral_constantIbLb1EES1U_IbLb0EEEEDaS1Q_S1R_EUlS1Q_E_NS1_11comp_targetILNS1_3genE9ELNS1_11target_archE1100ELNS1_3gpuE3ELNS1_3repE0EEENS1_30default_config_static_selectorELNS0_4arch9wavefront6targetE0EEEvS13_.kd
    .uniform_work_group_size: 1
    .uses_dynamic_stack: false
    .vgpr_count:     0
    .vgpr_spill_count: 0
    .wavefront_size: 32
    .workgroup_processor_mode: 1
  - .args:
      - .offset:         0
        .size:           176
        .value_kind:     by_value
    .group_segment_fixed_size: 0
    .kernarg_segment_align: 8
    .kernarg_segment_size: 176
    .language:       OpenCL C
    .language_version:
      - 2
      - 0
    .max_flat_workgroup_size: 256
    .name:           _ZN7rocprim17ROCPRIM_400000_NS6detail17trampoline_kernelINS0_13select_configILj256ELj13ELNS0_17block_load_methodE3ELS4_3ELS4_3ELNS0_20block_scan_algorithmE0ELj4294967295EEENS1_25partition_config_selectorILNS1_17partition_subalgoE4EjNS0_10empty_typeEbEEZZNS1_14partition_implILS8_4ELb0ES6_15HIP_vector_typeIjLj2EENS0_17counting_iteratorIjlEEPS9_SG_NS0_5tupleIJPjSI_NS0_16reverse_iteratorISI_EEEEENSH_IJSG_SG_SG_EEES9_SI_JZNS1_25segmented_radix_sort_implINS0_14default_configELb0EPK12hip_bfloat16PSP_PKlPlN2at6native12_GLOBAL__N_18offset_tEEE10hipError_tPvRmT1_PNSt15iterator_traitsIS13_E10value_typeET2_T3_PNS14_IS19_E10value_typeET4_jRbjT5_S1F_jjP12ihipStream_tbEUljE_ZNSN_ISO_Lb0ESR_SS_SU_SV_SZ_EES10_S11_S12_S13_S17_S18_S19_S1C_S1D_jS1E_jS1F_S1F_jjS1H_bEUljE0_EEES10_S11_S12_S19_S1D_S1F_T6_T7_T9_mT8_S1H_bDpT10_ENKUlT_T0_E_clISt17integral_constantIbLb1EES1U_IbLb0EEEEDaS1Q_S1R_EUlS1Q_E_NS1_11comp_targetILNS1_3genE8ELNS1_11target_archE1030ELNS1_3gpuE2ELNS1_3repE0EEENS1_30default_config_static_selectorELNS0_4arch9wavefront6targetE0EEEvS13_
    .private_segment_fixed_size: 0
    .sgpr_count:     0
    .sgpr_spill_count: 0
    .symbol:         _ZN7rocprim17ROCPRIM_400000_NS6detail17trampoline_kernelINS0_13select_configILj256ELj13ELNS0_17block_load_methodE3ELS4_3ELS4_3ELNS0_20block_scan_algorithmE0ELj4294967295EEENS1_25partition_config_selectorILNS1_17partition_subalgoE4EjNS0_10empty_typeEbEEZZNS1_14partition_implILS8_4ELb0ES6_15HIP_vector_typeIjLj2EENS0_17counting_iteratorIjlEEPS9_SG_NS0_5tupleIJPjSI_NS0_16reverse_iteratorISI_EEEEENSH_IJSG_SG_SG_EEES9_SI_JZNS1_25segmented_radix_sort_implINS0_14default_configELb0EPK12hip_bfloat16PSP_PKlPlN2at6native12_GLOBAL__N_18offset_tEEE10hipError_tPvRmT1_PNSt15iterator_traitsIS13_E10value_typeET2_T3_PNS14_IS19_E10value_typeET4_jRbjT5_S1F_jjP12ihipStream_tbEUljE_ZNSN_ISO_Lb0ESR_SS_SU_SV_SZ_EES10_S11_S12_S13_S17_S18_S19_S1C_S1D_jS1E_jS1F_S1F_jjS1H_bEUljE0_EEES10_S11_S12_S19_S1D_S1F_T6_T7_T9_mT8_S1H_bDpT10_ENKUlT_T0_E_clISt17integral_constantIbLb1EES1U_IbLb0EEEEDaS1Q_S1R_EUlS1Q_E_NS1_11comp_targetILNS1_3genE8ELNS1_11target_archE1030ELNS1_3gpuE2ELNS1_3repE0EEENS1_30default_config_static_selectorELNS0_4arch9wavefront6targetE0EEEvS13_.kd
    .uniform_work_group_size: 1
    .uses_dynamic_stack: false
    .vgpr_count:     0
    .vgpr_spill_count: 0
    .wavefront_size: 32
    .workgroup_processor_mode: 1
  - .args:
      - .offset:         0
        .size:           184
        .value_kind:     by_value
    .group_segment_fixed_size: 0
    .kernarg_segment_align: 8
    .kernarg_segment_size: 184
    .language:       OpenCL C
    .language_version:
      - 2
      - 0
    .max_flat_workgroup_size: 256
    .name:           _ZN7rocprim17ROCPRIM_400000_NS6detail17trampoline_kernelINS0_13select_configILj256ELj13ELNS0_17block_load_methodE3ELS4_3ELS4_3ELNS0_20block_scan_algorithmE0ELj4294967295EEENS1_25partition_config_selectorILNS1_17partition_subalgoE4EjNS0_10empty_typeEbEEZZNS1_14partition_implILS8_4ELb0ES6_15HIP_vector_typeIjLj2EENS0_17counting_iteratorIjlEEPS9_SG_NS0_5tupleIJPjSI_NS0_16reverse_iteratorISI_EEEEENSH_IJSG_SG_SG_EEES9_SI_JZNS1_25segmented_radix_sort_implINS0_14default_configELb0EPK12hip_bfloat16PSP_PKlPlN2at6native12_GLOBAL__N_18offset_tEEE10hipError_tPvRmT1_PNSt15iterator_traitsIS13_E10value_typeET2_T3_PNS14_IS19_E10value_typeET4_jRbjT5_S1F_jjP12ihipStream_tbEUljE_ZNSN_ISO_Lb0ESR_SS_SU_SV_SZ_EES10_S11_S12_S13_S17_S18_S19_S1C_S1D_jS1E_jS1F_S1F_jjS1H_bEUljE0_EEES10_S11_S12_S19_S1D_S1F_T6_T7_T9_mT8_S1H_bDpT10_ENKUlT_T0_E_clISt17integral_constantIbLb0EES1U_IbLb1EEEEDaS1Q_S1R_EUlS1Q_E_NS1_11comp_targetILNS1_3genE0ELNS1_11target_archE4294967295ELNS1_3gpuE0ELNS1_3repE0EEENS1_30default_config_static_selectorELNS0_4arch9wavefront6targetE0EEEvS13_
    .private_segment_fixed_size: 0
    .sgpr_count:     0
    .sgpr_spill_count: 0
    .symbol:         _ZN7rocprim17ROCPRIM_400000_NS6detail17trampoline_kernelINS0_13select_configILj256ELj13ELNS0_17block_load_methodE3ELS4_3ELS4_3ELNS0_20block_scan_algorithmE0ELj4294967295EEENS1_25partition_config_selectorILNS1_17partition_subalgoE4EjNS0_10empty_typeEbEEZZNS1_14partition_implILS8_4ELb0ES6_15HIP_vector_typeIjLj2EENS0_17counting_iteratorIjlEEPS9_SG_NS0_5tupleIJPjSI_NS0_16reverse_iteratorISI_EEEEENSH_IJSG_SG_SG_EEES9_SI_JZNS1_25segmented_radix_sort_implINS0_14default_configELb0EPK12hip_bfloat16PSP_PKlPlN2at6native12_GLOBAL__N_18offset_tEEE10hipError_tPvRmT1_PNSt15iterator_traitsIS13_E10value_typeET2_T3_PNS14_IS19_E10value_typeET4_jRbjT5_S1F_jjP12ihipStream_tbEUljE_ZNSN_ISO_Lb0ESR_SS_SU_SV_SZ_EES10_S11_S12_S13_S17_S18_S19_S1C_S1D_jS1E_jS1F_S1F_jjS1H_bEUljE0_EEES10_S11_S12_S19_S1D_S1F_T6_T7_T9_mT8_S1H_bDpT10_ENKUlT_T0_E_clISt17integral_constantIbLb0EES1U_IbLb1EEEEDaS1Q_S1R_EUlS1Q_E_NS1_11comp_targetILNS1_3genE0ELNS1_11target_archE4294967295ELNS1_3gpuE0ELNS1_3repE0EEENS1_30default_config_static_selectorELNS0_4arch9wavefront6targetE0EEEvS13_.kd
    .uniform_work_group_size: 1
    .uses_dynamic_stack: false
    .vgpr_count:     0
    .vgpr_spill_count: 0
    .wavefront_size: 32
    .workgroup_processor_mode: 1
  - .args:
      - .offset:         0
        .size:           184
        .value_kind:     by_value
    .group_segment_fixed_size: 0
    .kernarg_segment_align: 8
    .kernarg_segment_size: 184
    .language:       OpenCL C
    .language_version:
      - 2
      - 0
    .max_flat_workgroup_size: 256
    .name:           _ZN7rocprim17ROCPRIM_400000_NS6detail17trampoline_kernelINS0_13select_configILj256ELj13ELNS0_17block_load_methodE3ELS4_3ELS4_3ELNS0_20block_scan_algorithmE0ELj4294967295EEENS1_25partition_config_selectorILNS1_17partition_subalgoE4EjNS0_10empty_typeEbEEZZNS1_14partition_implILS8_4ELb0ES6_15HIP_vector_typeIjLj2EENS0_17counting_iteratorIjlEEPS9_SG_NS0_5tupleIJPjSI_NS0_16reverse_iteratorISI_EEEEENSH_IJSG_SG_SG_EEES9_SI_JZNS1_25segmented_radix_sort_implINS0_14default_configELb0EPK12hip_bfloat16PSP_PKlPlN2at6native12_GLOBAL__N_18offset_tEEE10hipError_tPvRmT1_PNSt15iterator_traitsIS13_E10value_typeET2_T3_PNS14_IS19_E10value_typeET4_jRbjT5_S1F_jjP12ihipStream_tbEUljE_ZNSN_ISO_Lb0ESR_SS_SU_SV_SZ_EES10_S11_S12_S13_S17_S18_S19_S1C_S1D_jS1E_jS1F_S1F_jjS1H_bEUljE0_EEES10_S11_S12_S19_S1D_S1F_T6_T7_T9_mT8_S1H_bDpT10_ENKUlT_T0_E_clISt17integral_constantIbLb0EES1U_IbLb1EEEEDaS1Q_S1R_EUlS1Q_E_NS1_11comp_targetILNS1_3genE5ELNS1_11target_archE942ELNS1_3gpuE9ELNS1_3repE0EEENS1_30default_config_static_selectorELNS0_4arch9wavefront6targetE0EEEvS13_
    .private_segment_fixed_size: 0
    .sgpr_count:     0
    .sgpr_spill_count: 0
    .symbol:         _ZN7rocprim17ROCPRIM_400000_NS6detail17trampoline_kernelINS0_13select_configILj256ELj13ELNS0_17block_load_methodE3ELS4_3ELS4_3ELNS0_20block_scan_algorithmE0ELj4294967295EEENS1_25partition_config_selectorILNS1_17partition_subalgoE4EjNS0_10empty_typeEbEEZZNS1_14partition_implILS8_4ELb0ES6_15HIP_vector_typeIjLj2EENS0_17counting_iteratorIjlEEPS9_SG_NS0_5tupleIJPjSI_NS0_16reverse_iteratorISI_EEEEENSH_IJSG_SG_SG_EEES9_SI_JZNS1_25segmented_radix_sort_implINS0_14default_configELb0EPK12hip_bfloat16PSP_PKlPlN2at6native12_GLOBAL__N_18offset_tEEE10hipError_tPvRmT1_PNSt15iterator_traitsIS13_E10value_typeET2_T3_PNS14_IS19_E10value_typeET4_jRbjT5_S1F_jjP12ihipStream_tbEUljE_ZNSN_ISO_Lb0ESR_SS_SU_SV_SZ_EES10_S11_S12_S13_S17_S18_S19_S1C_S1D_jS1E_jS1F_S1F_jjS1H_bEUljE0_EEES10_S11_S12_S19_S1D_S1F_T6_T7_T9_mT8_S1H_bDpT10_ENKUlT_T0_E_clISt17integral_constantIbLb0EES1U_IbLb1EEEEDaS1Q_S1R_EUlS1Q_E_NS1_11comp_targetILNS1_3genE5ELNS1_11target_archE942ELNS1_3gpuE9ELNS1_3repE0EEENS1_30default_config_static_selectorELNS0_4arch9wavefront6targetE0EEEvS13_.kd
    .uniform_work_group_size: 1
    .uses_dynamic_stack: false
    .vgpr_count:     0
    .vgpr_spill_count: 0
    .wavefront_size: 32
    .workgroup_processor_mode: 1
  - .args:
      - .offset:         0
        .size:           184
        .value_kind:     by_value
    .group_segment_fixed_size: 0
    .kernarg_segment_align: 8
    .kernarg_segment_size: 184
    .language:       OpenCL C
    .language_version:
      - 2
      - 0
    .max_flat_workgroup_size: 256
    .name:           _ZN7rocprim17ROCPRIM_400000_NS6detail17trampoline_kernelINS0_13select_configILj256ELj13ELNS0_17block_load_methodE3ELS4_3ELS4_3ELNS0_20block_scan_algorithmE0ELj4294967295EEENS1_25partition_config_selectorILNS1_17partition_subalgoE4EjNS0_10empty_typeEbEEZZNS1_14partition_implILS8_4ELb0ES6_15HIP_vector_typeIjLj2EENS0_17counting_iteratorIjlEEPS9_SG_NS0_5tupleIJPjSI_NS0_16reverse_iteratorISI_EEEEENSH_IJSG_SG_SG_EEES9_SI_JZNS1_25segmented_radix_sort_implINS0_14default_configELb0EPK12hip_bfloat16PSP_PKlPlN2at6native12_GLOBAL__N_18offset_tEEE10hipError_tPvRmT1_PNSt15iterator_traitsIS13_E10value_typeET2_T3_PNS14_IS19_E10value_typeET4_jRbjT5_S1F_jjP12ihipStream_tbEUljE_ZNSN_ISO_Lb0ESR_SS_SU_SV_SZ_EES10_S11_S12_S13_S17_S18_S19_S1C_S1D_jS1E_jS1F_S1F_jjS1H_bEUljE0_EEES10_S11_S12_S19_S1D_S1F_T6_T7_T9_mT8_S1H_bDpT10_ENKUlT_T0_E_clISt17integral_constantIbLb0EES1U_IbLb1EEEEDaS1Q_S1R_EUlS1Q_E_NS1_11comp_targetILNS1_3genE4ELNS1_11target_archE910ELNS1_3gpuE8ELNS1_3repE0EEENS1_30default_config_static_selectorELNS0_4arch9wavefront6targetE0EEEvS13_
    .private_segment_fixed_size: 0
    .sgpr_count:     0
    .sgpr_spill_count: 0
    .symbol:         _ZN7rocprim17ROCPRIM_400000_NS6detail17trampoline_kernelINS0_13select_configILj256ELj13ELNS0_17block_load_methodE3ELS4_3ELS4_3ELNS0_20block_scan_algorithmE0ELj4294967295EEENS1_25partition_config_selectorILNS1_17partition_subalgoE4EjNS0_10empty_typeEbEEZZNS1_14partition_implILS8_4ELb0ES6_15HIP_vector_typeIjLj2EENS0_17counting_iteratorIjlEEPS9_SG_NS0_5tupleIJPjSI_NS0_16reverse_iteratorISI_EEEEENSH_IJSG_SG_SG_EEES9_SI_JZNS1_25segmented_radix_sort_implINS0_14default_configELb0EPK12hip_bfloat16PSP_PKlPlN2at6native12_GLOBAL__N_18offset_tEEE10hipError_tPvRmT1_PNSt15iterator_traitsIS13_E10value_typeET2_T3_PNS14_IS19_E10value_typeET4_jRbjT5_S1F_jjP12ihipStream_tbEUljE_ZNSN_ISO_Lb0ESR_SS_SU_SV_SZ_EES10_S11_S12_S13_S17_S18_S19_S1C_S1D_jS1E_jS1F_S1F_jjS1H_bEUljE0_EEES10_S11_S12_S19_S1D_S1F_T6_T7_T9_mT8_S1H_bDpT10_ENKUlT_T0_E_clISt17integral_constantIbLb0EES1U_IbLb1EEEEDaS1Q_S1R_EUlS1Q_E_NS1_11comp_targetILNS1_3genE4ELNS1_11target_archE910ELNS1_3gpuE8ELNS1_3repE0EEENS1_30default_config_static_selectorELNS0_4arch9wavefront6targetE0EEEvS13_.kd
    .uniform_work_group_size: 1
    .uses_dynamic_stack: false
    .vgpr_count:     0
    .vgpr_spill_count: 0
    .wavefront_size: 32
    .workgroup_processor_mode: 1
  - .args:
      - .offset:         0
        .size:           184
        .value_kind:     by_value
    .group_segment_fixed_size: 0
    .kernarg_segment_align: 8
    .kernarg_segment_size: 184
    .language:       OpenCL C
    .language_version:
      - 2
      - 0
    .max_flat_workgroup_size: 256
    .name:           _ZN7rocprim17ROCPRIM_400000_NS6detail17trampoline_kernelINS0_13select_configILj256ELj13ELNS0_17block_load_methodE3ELS4_3ELS4_3ELNS0_20block_scan_algorithmE0ELj4294967295EEENS1_25partition_config_selectorILNS1_17partition_subalgoE4EjNS0_10empty_typeEbEEZZNS1_14partition_implILS8_4ELb0ES6_15HIP_vector_typeIjLj2EENS0_17counting_iteratorIjlEEPS9_SG_NS0_5tupleIJPjSI_NS0_16reverse_iteratorISI_EEEEENSH_IJSG_SG_SG_EEES9_SI_JZNS1_25segmented_radix_sort_implINS0_14default_configELb0EPK12hip_bfloat16PSP_PKlPlN2at6native12_GLOBAL__N_18offset_tEEE10hipError_tPvRmT1_PNSt15iterator_traitsIS13_E10value_typeET2_T3_PNS14_IS19_E10value_typeET4_jRbjT5_S1F_jjP12ihipStream_tbEUljE_ZNSN_ISO_Lb0ESR_SS_SU_SV_SZ_EES10_S11_S12_S13_S17_S18_S19_S1C_S1D_jS1E_jS1F_S1F_jjS1H_bEUljE0_EEES10_S11_S12_S19_S1D_S1F_T6_T7_T9_mT8_S1H_bDpT10_ENKUlT_T0_E_clISt17integral_constantIbLb0EES1U_IbLb1EEEEDaS1Q_S1R_EUlS1Q_E_NS1_11comp_targetILNS1_3genE3ELNS1_11target_archE908ELNS1_3gpuE7ELNS1_3repE0EEENS1_30default_config_static_selectorELNS0_4arch9wavefront6targetE0EEEvS13_
    .private_segment_fixed_size: 0
    .sgpr_count:     0
    .sgpr_spill_count: 0
    .symbol:         _ZN7rocprim17ROCPRIM_400000_NS6detail17trampoline_kernelINS0_13select_configILj256ELj13ELNS0_17block_load_methodE3ELS4_3ELS4_3ELNS0_20block_scan_algorithmE0ELj4294967295EEENS1_25partition_config_selectorILNS1_17partition_subalgoE4EjNS0_10empty_typeEbEEZZNS1_14partition_implILS8_4ELb0ES6_15HIP_vector_typeIjLj2EENS0_17counting_iteratorIjlEEPS9_SG_NS0_5tupleIJPjSI_NS0_16reverse_iteratorISI_EEEEENSH_IJSG_SG_SG_EEES9_SI_JZNS1_25segmented_radix_sort_implINS0_14default_configELb0EPK12hip_bfloat16PSP_PKlPlN2at6native12_GLOBAL__N_18offset_tEEE10hipError_tPvRmT1_PNSt15iterator_traitsIS13_E10value_typeET2_T3_PNS14_IS19_E10value_typeET4_jRbjT5_S1F_jjP12ihipStream_tbEUljE_ZNSN_ISO_Lb0ESR_SS_SU_SV_SZ_EES10_S11_S12_S13_S17_S18_S19_S1C_S1D_jS1E_jS1F_S1F_jjS1H_bEUljE0_EEES10_S11_S12_S19_S1D_S1F_T6_T7_T9_mT8_S1H_bDpT10_ENKUlT_T0_E_clISt17integral_constantIbLb0EES1U_IbLb1EEEEDaS1Q_S1R_EUlS1Q_E_NS1_11comp_targetILNS1_3genE3ELNS1_11target_archE908ELNS1_3gpuE7ELNS1_3repE0EEENS1_30default_config_static_selectorELNS0_4arch9wavefront6targetE0EEEvS13_.kd
    .uniform_work_group_size: 1
    .uses_dynamic_stack: false
    .vgpr_count:     0
    .vgpr_spill_count: 0
    .wavefront_size: 32
    .workgroup_processor_mode: 1
  - .args:
      - .offset:         0
        .size:           184
        .value_kind:     by_value
    .group_segment_fixed_size: 0
    .kernarg_segment_align: 8
    .kernarg_segment_size: 184
    .language:       OpenCL C
    .language_version:
      - 2
      - 0
    .max_flat_workgroup_size: 256
    .name:           _ZN7rocprim17ROCPRIM_400000_NS6detail17trampoline_kernelINS0_13select_configILj256ELj13ELNS0_17block_load_methodE3ELS4_3ELS4_3ELNS0_20block_scan_algorithmE0ELj4294967295EEENS1_25partition_config_selectorILNS1_17partition_subalgoE4EjNS0_10empty_typeEbEEZZNS1_14partition_implILS8_4ELb0ES6_15HIP_vector_typeIjLj2EENS0_17counting_iteratorIjlEEPS9_SG_NS0_5tupleIJPjSI_NS0_16reverse_iteratorISI_EEEEENSH_IJSG_SG_SG_EEES9_SI_JZNS1_25segmented_radix_sort_implINS0_14default_configELb0EPK12hip_bfloat16PSP_PKlPlN2at6native12_GLOBAL__N_18offset_tEEE10hipError_tPvRmT1_PNSt15iterator_traitsIS13_E10value_typeET2_T3_PNS14_IS19_E10value_typeET4_jRbjT5_S1F_jjP12ihipStream_tbEUljE_ZNSN_ISO_Lb0ESR_SS_SU_SV_SZ_EES10_S11_S12_S13_S17_S18_S19_S1C_S1D_jS1E_jS1F_S1F_jjS1H_bEUljE0_EEES10_S11_S12_S19_S1D_S1F_T6_T7_T9_mT8_S1H_bDpT10_ENKUlT_T0_E_clISt17integral_constantIbLb0EES1U_IbLb1EEEEDaS1Q_S1R_EUlS1Q_E_NS1_11comp_targetILNS1_3genE2ELNS1_11target_archE906ELNS1_3gpuE6ELNS1_3repE0EEENS1_30default_config_static_selectorELNS0_4arch9wavefront6targetE0EEEvS13_
    .private_segment_fixed_size: 0
    .sgpr_count:     0
    .sgpr_spill_count: 0
    .symbol:         _ZN7rocprim17ROCPRIM_400000_NS6detail17trampoline_kernelINS0_13select_configILj256ELj13ELNS0_17block_load_methodE3ELS4_3ELS4_3ELNS0_20block_scan_algorithmE0ELj4294967295EEENS1_25partition_config_selectorILNS1_17partition_subalgoE4EjNS0_10empty_typeEbEEZZNS1_14partition_implILS8_4ELb0ES6_15HIP_vector_typeIjLj2EENS0_17counting_iteratorIjlEEPS9_SG_NS0_5tupleIJPjSI_NS0_16reverse_iteratorISI_EEEEENSH_IJSG_SG_SG_EEES9_SI_JZNS1_25segmented_radix_sort_implINS0_14default_configELb0EPK12hip_bfloat16PSP_PKlPlN2at6native12_GLOBAL__N_18offset_tEEE10hipError_tPvRmT1_PNSt15iterator_traitsIS13_E10value_typeET2_T3_PNS14_IS19_E10value_typeET4_jRbjT5_S1F_jjP12ihipStream_tbEUljE_ZNSN_ISO_Lb0ESR_SS_SU_SV_SZ_EES10_S11_S12_S13_S17_S18_S19_S1C_S1D_jS1E_jS1F_S1F_jjS1H_bEUljE0_EEES10_S11_S12_S19_S1D_S1F_T6_T7_T9_mT8_S1H_bDpT10_ENKUlT_T0_E_clISt17integral_constantIbLb0EES1U_IbLb1EEEEDaS1Q_S1R_EUlS1Q_E_NS1_11comp_targetILNS1_3genE2ELNS1_11target_archE906ELNS1_3gpuE6ELNS1_3repE0EEENS1_30default_config_static_selectorELNS0_4arch9wavefront6targetE0EEEvS13_.kd
    .uniform_work_group_size: 1
    .uses_dynamic_stack: false
    .vgpr_count:     0
    .vgpr_spill_count: 0
    .wavefront_size: 32
    .workgroup_processor_mode: 1
  - .args:
      - .offset:         0
        .size:           184
        .value_kind:     by_value
    .group_segment_fixed_size: 0
    .kernarg_segment_align: 8
    .kernarg_segment_size: 184
    .language:       OpenCL C
    .language_version:
      - 2
      - 0
    .max_flat_workgroup_size: 256
    .name:           _ZN7rocprim17ROCPRIM_400000_NS6detail17trampoline_kernelINS0_13select_configILj256ELj13ELNS0_17block_load_methodE3ELS4_3ELS4_3ELNS0_20block_scan_algorithmE0ELj4294967295EEENS1_25partition_config_selectorILNS1_17partition_subalgoE4EjNS0_10empty_typeEbEEZZNS1_14partition_implILS8_4ELb0ES6_15HIP_vector_typeIjLj2EENS0_17counting_iteratorIjlEEPS9_SG_NS0_5tupleIJPjSI_NS0_16reverse_iteratorISI_EEEEENSH_IJSG_SG_SG_EEES9_SI_JZNS1_25segmented_radix_sort_implINS0_14default_configELb0EPK12hip_bfloat16PSP_PKlPlN2at6native12_GLOBAL__N_18offset_tEEE10hipError_tPvRmT1_PNSt15iterator_traitsIS13_E10value_typeET2_T3_PNS14_IS19_E10value_typeET4_jRbjT5_S1F_jjP12ihipStream_tbEUljE_ZNSN_ISO_Lb0ESR_SS_SU_SV_SZ_EES10_S11_S12_S13_S17_S18_S19_S1C_S1D_jS1E_jS1F_S1F_jjS1H_bEUljE0_EEES10_S11_S12_S19_S1D_S1F_T6_T7_T9_mT8_S1H_bDpT10_ENKUlT_T0_E_clISt17integral_constantIbLb0EES1U_IbLb1EEEEDaS1Q_S1R_EUlS1Q_E_NS1_11comp_targetILNS1_3genE10ELNS1_11target_archE1200ELNS1_3gpuE4ELNS1_3repE0EEENS1_30default_config_static_selectorELNS0_4arch9wavefront6targetE0EEEvS13_
    .private_segment_fixed_size: 0
    .sgpr_count:     0
    .sgpr_spill_count: 0
    .symbol:         _ZN7rocprim17ROCPRIM_400000_NS6detail17trampoline_kernelINS0_13select_configILj256ELj13ELNS0_17block_load_methodE3ELS4_3ELS4_3ELNS0_20block_scan_algorithmE0ELj4294967295EEENS1_25partition_config_selectorILNS1_17partition_subalgoE4EjNS0_10empty_typeEbEEZZNS1_14partition_implILS8_4ELb0ES6_15HIP_vector_typeIjLj2EENS0_17counting_iteratorIjlEEPS9_SG_NS0_5tupleIJPjSI_NS0_16reverse_iteratorISI_EEEEENSH_IJSG_SG_SG_EEES9_SI_JZNS1_25segmented_radix_sort_implINS0_14default_configELb0EPK12hip_bfloat16PSP_PKlPlN2at6native12_GLOBAL__N_18offset_tEEE10hipError_tPvRmT1_PNSt15iterator_traitsIS13_E10value_typeET2_T3_PNS14_IS19_E10value_typeET4_jRbjT5_S1F_jjP12ihipStream_tbEUljE_ZNSN_ISO_Lb0ESR_SS_SU_SV_SZ_EES10_S11_S12_S13_S17_S18_S19_S1C_S1D_jS1E_jS1F_S1F_jjS1H_bEUljE0_EEES10_S11_S12_S19_S1D_S1F_T6_T7_T9_mT8_S1H_bDpT10_ENKUlT_T0_E_clISt17integral_constantIbLb0EES1U_IbLb1EEEEDaS1Q_S1R_EUlS1Q_E_NS1_11comp_targetILNS1_3genE10ELNS1_11target_archE1200ELNS1_3gpuE4ELNS1_3repE0EEENS1_30default_config_static_selectorELNS0_4arch9wavefront6targetE0EEEvS13_.kd
    .uniform_work_group_size: 1
    .uses_dynamic_stack: false
    .vgpr_count:     0
    .vgpr_spill_count: 0
    .wavefront_size: 32
    .workgroup_processor_mode: 1
  - .args:
      - .offset:         0
        .size:           184
        .value_kind:     by_value
    .group_segment_fixed_size: 0
    .kernarg_segment_align: 8
    .kernarg_segment_size: 184
    .language:       OpenCL C
    .language_version:
      - 2
      - 0
    .max_flat_workgroup_size: 256
    .name:           _ZN7rocprim17ROCPRIM_400000_NS6detail17trampoline_kernelINS0_13select_configILj256ELj13ELNS0_17block_load_methodE3ELS4_3ELS4_3ELNS0_20block_scan_algorithmE0ELj4294967295EEENS1_25partition_config_selectorILNS1_17partition_subalgoE4EjNS0_10empty_typeEbEEZZNS1_14partition_implILS8_4ELb0ES6_15HIP_vector_typeIjLj2EENS0_17counting_iteratorIjlEEPS9_SG_NS0_5tupleIJPjSI_NS0_16reverse_iteratorISI_EEEEENSH_IJSG_SG_SG_EEES9_SI_JZNS1_25segmented_radix_sort_implINS0_14default_configELb0EPK12hip_bfloat16PSP_PKlPlN2at6native12_GLOBAL__N_18offset_tEEE10hipError_tPvRmT1_PNSt15iterator_traitsIS13_E10value_typeET2_T3_PNS14_IS19_E10value_typeET4_jRbjT5_S1F_jjP12ihipStream_tbEUljE_ZNSN_ISO_Lb0ESR_SS_SU_SV_SZ_EES10_S11_S12_S13_S17_S18_S19_S1C_S1D_jS1E_jS1F_S1F_jjS1H_bEUljE0_EEES10_S11_S12_S19_S1D_S1F_T6_T7_T9_mT8_S1H_bDpT10_ENKUlT_T0_E_clISt17integral_constantIbLb0EES1U_IbLb1EEEEDaS1Q_S1R_EUlS1Q_E_NS1_11comp_targetILNS1_3genE9ELNS1_11target_archE1100ELNS1_3gpuE3ELNS1_3repE0EEENS1_30default_config_static_selectorELNS0_4arch9wavefront6targetE0EEEvS13_
    .private_segment_fixed_size: 0
    .sgpr_count:     0
    .sgpr_spill_count: 0
    .symbol:         _ZN7rocprim17ROCPRIM_400000_NS6detail17trampoline_kernelINS0_13select_configILj256ELj13ELNS0_17block_load_methodE3ELS4_3ELS4_3ELNS0_20block_scan_algorithmE0ELj4294967295EEENS1_25partition_config_selectorILNS1_17partition_subalgoE4EjNS0_10empty_typeEbEEZZNS1_14partition_implILS8_4ELb0ES6_15HIP_vector_typeIjLj2EENS0_17counting_iteratorIjlEEPS9_SG_NS0_5tupleIJPjSI_NS0_16reverse_iteratorISI_EEEEENSH_IJSG_SG_SG_EEES9_SI_JZNS1_25segmented_radix_sort_implINS0_14default_configELb0EPK12hip_bfloat16PSP_PKlPlN2at6native12_GLOBAL__N_18offset_tEEE10hipError_tPvRmT1_PNSt15iterator_traitsIS13_E10value_typeET2_T3_PNS14_IS19_E10value_typeET4_jRbjT5_S1F_jjP12ihipStream_tbEUljE_ZNSN_ISO_Lb0ESR_SS_SU_SV_SZ_EES10_S11_S12_S13_S17_S18_S19_S1C_S1D_jS1E_jS1F_S1F_jjS1H_bEUljE0_EEES10_S11_S12_S19_S1D_S1F_T6_T7_T9_mT8_S1H_bDpT10_ENKUlT_T0_E_clISt17integral_constantIbLb0EES1U_IbLb1EEEEDaS1Q_S1R_EUlS1Q_E_NS1_11comp_targetILNS1_3genE9ELNS1_11target_archE1100ELNS1_3gpuE3ELNS1_3repE0EEENS1_30default_config_static_selectorELNS0_4arch9wavefront6targetE0EEEvS13_.kd
    .uniform_work_group_size: 1
    .uses_dynamic_stack: false
    .vgpr_count:     0
    .vgpr_spill_count: 0
    .wavefront_size: 32
    .workgroup_processor_mode: 1
  - .args:
      - .offset:         0
        .size:           184
        .value_kind:     by_value
    .group_segment_fixed_size: 13328
    .kernarg_segment_align: 8
    .kernarg_segment_size: 184
    .language:       OpenCL C
    .language_version:
      - 2
      - 0
    .max_flat_workgroup_size: 256
    .name:           _ZN7rocprim17ROCPRIM_400000_NS6detail17trampoline_kernelINS0_13select_configILj256ELj13ELNS0_17block_load_methodE3ELS4_3ELS4_3ELNS0_20block_scan_algorithmE0ELj4294967295EEENS1_25partition_config_selectorILNS1_17partition_subalgoE4EjNS0_10empty_typeEbEEZZNS1_14partition_implILS8_4ELb0ES6_15HIP_vector_typeIjLj2EENS0_17counting_iteratorIjlEEPS9_SG_NS0_5tupleIJPjSI_NS0_16reverse_iteratorISI_EEEEENSH_IJSG_SG_SG_EEES9_SI_JZNS1_25segmented_radix_sort_implINS0_14default_configELb0EPK12hip_bfloat16PSP_PKlPlN2at6native12_GLOBAL__N_18offset_tEEE10hipError_tPvRmT1_PNSt15iterator_traitsIS13_E10value_typeET2_T3_PNS14_IS19_E10value_typeET4_jRbjT5_S1F_jjP12ihipStream_tbEUljE_ZNSN_ISO_Lb0ESR_SS_SU_SV_SZ_EES10_S11_S12_S13_S17_S18_S19_S1C_S1D_jS1E_jS1F_S1F_jjS1H_bEUljE0_EEES10_S11_S12_S19_S1D_S1F_T6_T7_T9_mT8_S1H_bDpT10_ENKUlT_T0_E_clISt17integral_constantIbLb0EES1U_IbLb1EEEEDaS1Q_S1R_EUlS1Q_E_NS1_11comp_targetILNS1_3genE8ELNS1_11target_archE1030ELNS1_3gpuE2ELNS1_3repE0EEENS1_30default_config_static_selectorELNS0_4arch9wavefront6targetE0EEEvS13_
    .private_segment_fixed_size: 0
    .sgpr_count:     57
    .sgpr_spill_count: 0
    .symbol:         _ZN7rocprim17ROCPRIM_400000_NS6detail17trampoline_kernelINS0_13select_configILj256ELj13ELNS0_17block_load_methodE3ELS4_3ELS4_3ELNS0_20block_scan_algorithmE0ELj4294967295EEENS1_25partition_config_selectorILNS1_17partition_subalgoE4EjNS0_10empty_typeEbEEZZNS1_14partition_implILS8_4ELb0ES6_15HIP_vector_typeIjLj2EENS0_17counting_iteratorIjlEEPS9_SG_NS0_5tupleIJPjSI_NS0_16reverse_iteratorISI_EEEEENSH_IJSG_SG_SG_EEES9_SI_JZNS1_25segmented_radix_sort_implINS0_14default_configELb0EPK12hip_bfloat16PSP_PKlPlN2at6native12_GLOBAL__N_18offset_tEEE10hipError_tPvRmT1_PNSt15iterator_traitsIS13_E10value_typeET2_T3_PNS14_IS19_E10value_typeET4_jRbjT5_S1F_jjP12ihipStream_tbEUljE_ZNSN_ISO_Lb0ESR_SS_SU_SV_SZ_EES10_S11_S12_S13_S17_S18_S19_S1C_S1D_jS1E_jS1F_S1F_jjS1H_bEUljE0_EEES10_S11_S12_S19_S1D_S1F_T6_T7_T9_mT8_S1H_bDpT10_ENKUlT_T0_E_clISt17integral_constantIbLb0EES1U_IbLb1EEEEDaS1Q_S1R_EUlS1Q_E_NS1_11comp_targetILNS1_3genE8ELNS1_11target_archE1030ELNS1_3gpuE2ELNS1_3repE0EEENS1_30default_config_static_selectorELNS0_4arch9wavefront6targetE0EEEvS13_.kd
    .uniform_work_group_size: 1
    .uses_dynamic_stack: false
    .vgpr_count:     87
    .vgpr_spill_count: 0
    .wavefront_size: 32
    .workgroup_processor_mode: 1
  - .args:
      - .offset:         0
        .size:           144
        .value_kind:     by_value
    .group_segment_fixed_size: 0
    .kernarg_segment_align: 8
    .kernarg_segment_size: 144
    .language:       OpenCL C
    .language_version:
      - 2
      - 0
    .max_flat_workgroup_size: 256
    .name:           _ZN7rocprim17ROCPRIM_400000_NS6detail17trampoline_kernelINS0_13select_configILj256ELj13ELNS0_17block_load_methodE3ELS4_3ELS4_3ELNS0_20block_scan_algorithmE0ELj4294967295EEENS1_25partition_config_selectorILNS1_17partition_subalgoE3EjNS0_10empty_typeEbEEZZNS1_14partition_implILS8_3ELb0ES6_jNS0_17counting_iteratorIjlEEPS9_SE_NS0_5tupleIJPjSE_EEENSF_IJSE_SE_EEES9_SG_JZNS1_25segmented_radix_sort_implINS0_14default_configELb0EPK12hip_bfloat16PSL_PKlPlN2at6native12_GLOBAL__N_18offset_tEEE10hipError_tPvRmT1_PNSt15iterator_traitsISZ_E10value_typeET2_T3_PNS10_IS15_E10value_typeET4_jRbjT5_S1B_jjP12ihipStream_tbEUljE_EEESW_SX_SY_S15_S19_S1B_T6_T7_T9_mT8_S1D_bDpT10_ENKUlT_T0_E_clISt17integral_constantIbLb0EES1Q_EEDaS1L_S1M_EUlS1L_E_NS1_11comp_targetILNS1_3genE0ELNS1_11target_archE4294967295ELNS1_3gpuE0ELNS1_3repE0EEENS1_30default_config_static_selectorELNS0_4arch9wavefront6targetE0EEEvSZ_
    .private_segment_fixed_size: 0
    .sgpr_count:     0
    .sgpr_spill_count: 0
    .symbol:         _ZN7rocprim17ROCPRIM_400000_NS6detail17trampoline_kernelINS0_13select_configILj256ELj13ELNS0_17block_load_methodE3ELS4_3ELS4_3ELNS0_20block_scan_algorithmE0ELj4294967295EEENS1_25partition_config_selectorILNS1_17partition_subalgoE3EjNS0_10empty_typeEbEEZZNS1_14partition_implILS8_3ELb0ES6_jNS0_17counting_iteratorIjlEEPS9_SE_NS0_5tupleIJPjSE_EEENSF_IJSE_SE_EEES9_SG_JZNS1_25segmented_radix_sort_implINS0_14default_configELb0EPK12hip_bfloat16PSL_PKlPlN2at6native12_GLOBAL__N_18offset_tEEE10hipError_tPvRmT1_PNSt15iterator_traitsISZ_E10value_typeET2_T3_PNS10_IS15_E10value_typeET4_jRbjT5_S1B_jjP12ihipStream_tbEUljE_EEESW_SX_SY_S15_S19_S1B_T6_T7_T9_mT8_S1D_bDpT10_ENKUlT_T0_E_clISt17integral_constantIbLb0EES1Q_EEDaS1L_S1M_EUlS1L_E_NS1_11comp_targetILNS1_3genE0ELNS1_11target_archE4294967295ELNS1_3gpuE0ELNS1_3repE0EEENS1_30default_config_static_selectorELNS0_4arch9wavefront6targetE0EEEvSZ_.kd
    .uniform_work_group_size: 1
    .uses_dynamic_stack: false
    .vgpr_count:     0
    .vgpr_spill_count: 0
    .wavefront_size: 32
    .workgroup_processor_mode: 1
  - .args:
      - .offset:         0
        .size:           144
        .value_kind:     by_value
    .group_segment_fixed_size: 0
    .kernarg_segment_align: 8
    .kernarg_segment_size: 144
    .language:       OpenCL C
    .language_version:
      - 2
      - 0
    .max_flat_workgroup_size: 256
    .name:           _ZN7rocprim17ROCPRIM_400000_NS6detail17trampoline_kernelINS0_13select_configILj256ELj13ELNS0_17block_load_methodE3ELS4_3ELS4_3ELNS0_20block_scan_algorithmE0ELj4294967295EEENS1_25partition_config_selectorILNS1_17partition_subalgoE3EjNS0_10empty_typeEbEEZZNS1_14partition_implILS8_3ELb0ES6_jNS0_17counting_iteratorIjlEEPS9_SE_NS0_5tupleIJPjSE_EEENSF_IJSE_SE_EEES9_SG_JZNS1_25segmented_radix_sort_implINS0_14default_configELb0EPK12hip_bfloat16PSL_PKlPlN2at6native12_GLOBAL__N_18offset_tEEE10hipError_tPvRmT1_PNSt15iterator_traitsISZ_E10value_typeET2_T3_PNS10_IS15_E10value_typeET4_jRbjT5_S1B_jjP12ihipStream_tbEUljE_EEESW_SX_SY_S15_S19_S1B_T6_T7_T9_mT8_S1D_bDpT10_ENKUlT_T0_E_clISt17integral_constantIbLb0EES1Q_EEDaS1L_S1M_EUlS1L_E_NS1_11comp_targetILNS1_3genE5ELNS1_11target_archE942ELNS1_3gpuE9ELNS1_3repE0EEENS1_30default_config_static_selectorELNS0_4arch9wavefront6targetE0EEEvSZ_
    .private_segment_fixed_size: 0
    .sgpr_count:     0
    .sgpr_spill_count: 0
    .symbol:         _ZN7rocprim17ROCPRIM_400000_NS6detail17trampoline_kernelINS0_13select_configILj256ELj13ELNS0_17block_load_methodE3ELS4_3ELS4_3ELNS0_20block_scan_algorithmE0ELj4294967295EEENS1_25partition_config_selectorILNS1_17partition_subalgoE3EjNS0_10empty_typeEbEEZZNS1_14partition_implILS8_3ELb0ES6_jNS0_17counting_iteratorIjlEEPS9_SE_NS0_5tupleIJPjSE_EEENSF_IJSE_SE_EEES9_SG_JZNS1_25segmented_radix_sort_implINS0_14default_configELb0EPK12hip_bfloat16PSL_PKlPlN2at6native12_GLOBAL__N_18offset_tEEE10hipError_tPvRmT1_PNSt15iterator_traitsISZ_E10value_typeET2_T3_PNS10_IS15_E10value_typeET4_jRbjT5_S1B_jjP12ihipStream_tbEUljE_EEESW_SX_SY_S15_S19_S1B_T6_T7_T9_mT8_S1D_bDpT10_ENKUlT_T0_E_clISt17integral_constantIbLb0EES1Q_EEDaS1L_S1M_EUlS1L_E_NS1_11comp_targetILNS1_3genE5ELNS1_11target_archE942ELNS1_3gpuE9ELNS1_3repE0EEENS1_30default_config_static_selectorELNS0_4arch9wavefront6targetE0EEEvSZ_.kd
    .uniform_work_group_size: 1
    .uses_dynamic_stack: false
    .vgpr_count:     0
    .vgpr_spill_count: 0
    .wavefront_size: 32
    .workgroup_processor_mode: 1
  - .args:
      - .offset:         0
        .size:           144
        .value_kind:     by_value
    .group_segment_fixed_size: 0
    .kernarg_segment_align: 8
    .kernarg_segment_size: 144
    .language:       OpenCL C
    .language_version:
      - 2
      - 0
    .max_flat_workgroup_size: 256
    .name:           _ZN7rocprim17ROCPRIM_400000_NS6detail17trampoline_kernelINS0_13select_configILj256ELj13ELNS0_17block_load_methodE3ELS4_3ELS4_3ELNS0_20block_scan_algorithmE0ELj4294967295EEENS1_25partition_config_selectorILNS1_17partition_subalgoE3EjNS0_10empty_typeEbEEZZNS1_14partition_implILS8_3ELb0ES6_jNS0_17counting_iteratorIjlEEPS9_SE_NS0_5tupleIJPjSE_EEENSF_IJSE_SE_EEES9_SG_JZNS1_25segmented_radix_sort_implINS0_14default_configELb0EPK12hip_bfloat16PSL_PKlPlN2at6native12_GLOBAL__N_18offset_tEEE10hipError_tPvRmT1_PNSt15iterator_traitsISZ_E10value_typeET2_T3_PNS10_IS15_E10value_typeET4_jRbjT5_S1B_jjP12ihipStream_tbEUljE_EEESW_SX_SY_S15_S19_S1B_T6_T7_T9_mT8_S1D_bDpT10_ENKUlT_T0_E_clISt17integral_constantIbLb0EES1Q_EEDaS1L_S1M_EUlS1L_E_NS1_11comp_targetILNS1_3genE4ELNS1_11target_archE910ELNS1_3gpuE8ELNS1_3repE0EEENS1_30default_config_static_selectorELNS0_4arch9wavefront6targetE0EEEvSZ_
    .private_segment_fixed_size: 0
    .sgpr_count:     0
    .sgpr_spill_count: 0
    .symbol:         _ZN7rocprim17ROCPRIM_400000_NS6detail17trampoline_kernelINS0_13select_configILj256ELj13ELNS0_17block_load_methodE3ELS4_3ELS4_3ELNS0_20block_scan_algorithmE0ELj4294967295EEENS1_25partition_config_selectorILNS1_17partition_subalgoE3EjNS0_10empty_typeEbEEZZNS1_14partition_implILS8_3ELb0ES6_jNS0_17counting_iteratorIjlEEPS9_SE_NS0_5tupleIJPjSE_EEENSF_IJSE_SE_EEES9_SG_JZNS1_25segmented_radix_sort_implINS0_14default_configELb0EPK12hip_bfloat16PSL_PKlPlN2at6native12_GLOBAL__N_18offset_tEEE10hipError_tPvRmT1_PNSt15iterator_traitsISZ_E10value_typeET2_T3_PNS10_IS15_E10value_typeET4_jRbjT5_S1B_jjP12ihipStream_tbEUljE_EEESW_SX_SY_S15_S19_S1B_T6_T7_T9_mT8_S1D_bDpT10_ENKUlT_T0_E_clISt17integral_constantIbLb0EES1Q_EEDaS1L_S1M_EUlS1L_E_NS1_11comp_targetILNS1_3genE4ELNS1_11target_archE910ELNS1_3gpuE8ELNS1_3repE0EEENS1_30default_config_static_selectorELNS0_4arch9wavefront6targetE0EEEvSZ_.kd
    .uniform_work_group_size: 1
    .uses_dynamic_stack: false
    .vgpr_count:     0
    .vgpr_spill_count: 0
    .wavefront_size: 32
    .workgroup_processor_mode: 1
  - .args:
      - .offset:         0
        .size:           144
        .value_kind:     by_value
    .group_segment_fixed_size: 0
    .kernarg_segment_align: 8
    .kernarg_segment_size: 144
    .language:       OpenCL C
    .language_version:
      - 2
      - 0
    .max_flat_workgroup_size: 256
    .name:           _ZN7rocprim17ROCPRIM_400000_NS6detail17trampoline_kernelINS0_13select_configILj256ELj13ELNS0_17block_load_methodE3ELS4_3ELS4_3ELNS0_20block_scan_algorithmE0ELj4294967295EEENS1_25partition_config_selectorILNS1_17partition_subalgoE3EjNS0_10empty_typeEbEEZZNS1_14partition_implILS8_3ELb0ES6_jNS0_17counting_iteratorIjlEEPS9_SE_NS0_5tupleIJPjSE_EEENSF_IJSE_SE_EEES9_SG_JZNS1_25segmented_radix_sort_implINS0_14default_configELb0EPK12hip_bfloat16PSL_PKlPlN2at6native12_GLOBAL__N_18offset_tEEE10hipError_tPvRmT1_PNSt15iterator_traitsISZ_E10value_typeET2_T3_PNS10_IS15_E10value_typeET4_jRbjT5_S1B_jjP12ihipStream_tbEUljE_EEESW_SX_SY_S15_S19_S1B_T6_T7_T9_mT8_S1D_bDpT10_ENKUlT_T0_E_clISt17integral_constantIbLb0EES1Q_EEDaS1L_S1M_EUlS1L_E_NS1_11comp_targetILNS1_3genE3ELNS1_11target_archE908ELNS1_3gpuE7ELNS1_3repE0EEENS1_30default_config_static_selectorELNS0_4arch9wavefront6targetE0EEEvSZ_
    .private_segment_fixed_size: 0
    .sgpr_count:     0
    .sgpr_spill_count: 0
    .symbol:         _ZN7rocprim17ROCPRIM_400000_NS6detail17trampoline_kernelINS0_13select_configILj256ELj13ELNS0_17block_load_methodE3ELS4_3ELS4_3ELNS0_20block_scan_algorithmE0ELj4294967295EEENS1_25partition_config_selectorILNS1_17partition_subalgoE3EjNS0_10empty_typeEbEEZZNS1_14partition_implILS8_3ELb0ES6_jNS0_17counting_iteratorIjlEEPS9_SE_NS0_5tupleIJPjSE_EEENSF_IJSE_SE_EEES9_SG_JZNS1_25segmented_radix_sort_implINS0_14default_configELb0EPK12hip_bfloat16PSL_PKlPlN2at6native12_GLOBAL__N_18offset_tEEE10hipError_tPvRmT1_PNSt15iterator_traitsISZ_E10value_typeET2_T3_PNS10_IS15_E10value_typeET4_jRbjT5_S1B_jjP12ihipStream_tbEUljE_EEESW_SX_SY_S15_S19_S1B_T6_T7_T9_mT8_S1D_bDpT10_ENKUlT_T0_E_clISt17integral_constantIbLb0EES1Q_EEDaS1L_S1M_EUlS1L_E_NS1_11comp_targetILNS1_3genE3ELNS1_11target_archE908ELNS1_3gpuE7ELNS1_3repE0EEENS1_30default_config_static_selectorELNS0_4arch9wavefront6targetE0EEEvSZ_.kd
    .uniform_work_group_size: 1
    .uses_dynamic_stack: false
    .vgpr_count:     0
    .vgpr_spill_count: 0
    .wavefront_size: 32
    .workgroup_processor_mode: 1
  - .args:
      - .offset:         0
        .size:           144
        .value_kind:     by_value
    .group_segment_fixed_size: 0
    .kernarg_segment_align: 8
    .kernarg_segment_size: 144
    .language:       OpenCL C
    .language_version:
      - 2
      - 0
    .max_flat_workgroup_size: 256
    .name:           _ZN7rocprim17ROCPRIM_400000_NS6detail17trampoline_kernelINS0_13select_configILj256ELj13ELNS0_17block_load_methodE3ELS4_3ELS4_3ELNS0_20block_scan_algorithmE0ELj4294967295EEENS1_25partition_config_selectorILNS1_17partition_subalgoE3EjNS0_10empty_typeEbEEZZNS1_14partition_implILS8_3ELb0ES6_jNS0_17counting_iteratorIjlEEPS9_SE_NS0_5tupleIJPjSE_EEENSF_IJSE_SE_EEES9_SG_JZNS1_25segmented_radix_sort_implINS0_14default_configELb0EPK12hip_bfloat16PSL_PKlPlN2at6native12_GLOBAL__N_18offset_tEEE10hipError_tPvRmT1_PNSt15iterator_traitsISZ_E10value_typeET2_T3_PNS10_IS15_E10value_typeET4_jRbjT5_S1B_jjP12ihipStream_tbEUljE_EEESW_SX_SY_S15_S19_S1B_T6_T7_T9_mT8_S1D_bDpT10_ENKUlT_T0_E_clISt17integral_constantIbLb0EES1Q_EEDaS1L_S1M_EUlS1L_E_NS1_11comp_targetILNS1_3genE2ELNS1_11target_archE906ELNS1_3gpuE6ELNS1_3repE0EEENS1_30default_config_static_selectorELNS0_4arch9wavefront6targetE0EEEvSZ_
    .private_segment_fixed_size: 0
    .sgpr_count:     0
    .sgpr_spill_count: 0
    .symbol:         _ZN7rocprim17ROCPRIM_400000_NS6detail17trampoline_kernelINS0_13select_configILj256ELj13ELNS0_17block_load_methodE3ELS4_3ELS4_3ELNS0_20block_scan_algorithmE0ELj4294967295EEENS1_25partition_config_selectorILNS1_17partition_subalgoE3EjNS0_10empty_typeEbEEZZNS1_14partition_implILS8_3ELb0ES6_jNS0_17counting_iteratorIjlEEPS9_SE_NS0_5tupleIJPjSE_EEENSF_IJSE_SE_EEES9_SG_JZNS1_25segmented_radix_sort_implINS0_14default_configELb0EPK12hip_bfloat16PSL_PKlPlN2at6native12_GLOBAL__N_18offset_tEEE10hipError_tPvRmT1_PNSt15iterator_traitsISZ_E10value_typeET2_T3_PNS10_IS15_E10value_typeET4_jRbjT5_S1B_jjP12ihipStream_tbEUljE_EEESW_SX_SY_S15_S19_S1B_T6_T7_T9_mT8_S1D_bDpT10_ENKUlT_T0_E_clISt17integral_constantIbLb0EES1Q_EEDaS1L_S1M_EUlS1L_E_NS1_11comp_targetILNS1_3genE2ELNS1_11target_archE906ELNS1_3gpuE6ELNS1_3repE0EEENS1_30default_config_static_selectorELNS0_4arch9wavefront6targetE0EEEvSZ_.kd
    .uniform_work_group_size: 1
    .uses_dynamic_stack: false
    .vgpr_count:     0
    .vgpr_spill_count: 0
    .wavefront_size: 32
    .workgroup_processor_mode: 1
  - .args:
      - .offset:         0
        .size:           144
        .value_kind:     by_value
    .group_segment_fixed_size: 0
    .kernarg_segment_align: 8
    .kernarg_segment_size: 144
    .language:       OpenCL C
    .language_version:
      - 2
      - 0
    .max_flat_workgroup_size: 256
    .name:           _ZN7rocprim17ROCPRIM_400000_NS6detail17trampoline_kernelINS0_13select_configILj256ELj13ELNS0_17block_load_methodE3ELS4_3ELS4_3ELNS0_20block_scan_algorithmE0ELj4294967295EEENS1_25partition_config_selectorILNS1_17partition_subalgoE3EjNS0_10empty_typeEbEEZZNS1_14partition_implILS8_3ELb0ES6_jNS0_17counting_iteratorIjlEEPS9_SE_NS0_5tupleIJPjSE_EEENSF_IJSE_SE_EEES9_SG_JZNS1_25segmented_radix_sort_implINS0_14default_configELb0EPK12hip_bfloat16PSL_PKlPlN2at6native12_GLOBAL__N_18offset_tEEE10hipError_tPvRmT1_PNSt15iterator_traitsISZ_E10value_typeET2_T3_PNS10_IS15_E10value_typeET4_jRbjT5_S1B_jjP12ihipStream_tbEUljE_EEESW_SX_SY_S15_S19_S1B_T6_T7_T9_mT8_S1D_bDpT10_ENKUlT_T0_E_clISt17integral_constantIbLb0EES1Q_EEDaS1L_S1M_EUlS1L_E_NS1_11comp_targetILNS1_3genE10ELNS1_11target_archE1200ELNS1_3gpuE4ELNS1_3repE0EEENS1_30default_config_static_selectorELNS0_4arch9wavefront6targetE0EEEvSZ_
    .private_segment_fixed_size: 0
    .sgpr_count:     0
    .sgpr_spill_count: 0
    .symbol:         _ZN7rocprim17ROCPRIM_400000_NS6detail17trampoline_kernelINS0_13select_configILj256ELj13ELNS0_17block_load_methodE3ELS4_3ELS4_3ELNS0_20block_scan_algorithmE0ELj4294967295EEENS1_25partition_config_selectorILNS1_17partition_subalgoE3EjNS0_10empty_typeEbEEZZNS1_14partition_implILS8_3ELb0ES6_jNS0_17counting_iteratorIjlEEPS9_SE_NS0_5tupleIJPjSE_EEENSF_IJSE_SE_EEES9_SG_JZNS1_25segmented_radix_sort_implINS0_14default_configELb0EPK12hip_bfloat16PSL_PKlPlN2at6native12_GLOBAL__N_18offset_tEEE10hipError_tPvRmT1_PNSt15iterator_traitsISZ_E10value_typeET2_T3_PNS10_IS15_E10value_typeET4_jRbjT5_S1B_jjP12ihipStream_tbEUljE_EEESW_SX_SY_S15_S19_S1B_T6_T7_T9_mT8_S1D_bDpT10_ENKUlT_T0_E_clISt17integral_constantIbLb0EES1Q_EEDaS1L_S1M_EUlS1L_E_NS1_11comp_targetILNS1_3genE10ELNS1_11target_archE1200ELNS1_3gpuE4ELNS1_3repE0EEENS1_30default_config_static_selectorELNS0_4arch9wavefront6targetE0EEEvSZ_.kd
    .uniform_work_group_size: 1
    .uses_dynamic_stack: false
    .vgpr_count:     0
    .vgpr_spill_count: 0
    .wavefront_size: 32
    .workgroup_processor_mode: 1
  - .args:
      - .offset:         0
        .size:           144
        .value_kind:     by_value
    .group_segment_fixed_size: 0
    .kernarg_segment_align: 8
    .kernarg_segment_size: 144
    .language:       OpenCL C
    .language_version:
      - 2
      - 0
    .max_flat_workgroup_size: 256
    .name:           _ZN7rocprim17ROCPRIM_400000_NS6detail17trampoline_kernelINS0_13select_configILj256ELj13ELNS0_17block_load_methodE3ELS4_3ELS4_3ELNS0_20block_scan_algorithmE0ELj4294967295EEENS1_25partition_config_selectorILNS1_17partition_subalgoE3EjNS0_10empty_typeEbEEZZNS1_14partition_implILS8_3ELb0ES6_jNS0_17counting_iteratorIjlEEPS9_SE_NS0_5tupleIJPjSE_EEENSF_IJSE_SE_EEES9_SG_JZNS1_25segmented_radix_sort_implINS0_14default_configELb0EPK12hip_bfloat16PSL_PKlPlN2at6native12_GLOBAL__N_18offset_tEEE10hipError_tPvRmT1_PNSt15iterator_traitsISZ_E10value_typeET2_T3_PNS10_IS15_E10value_typeET4_jRbjT5_S1B_jjP12ihipStream_tbEUljE_EEESW_SX_SY_S15_S19_S1B_T6_T7_T9_mT8_S1D_bDpT10_ENKUlT_T0_E_clISt17integral_constantIbLb0EES1Q_EEDaS1L_S1M_EUlS1L_E_NS1_11comp_targetILNS1_3genE9ELNS1_11target_archE1100ELNS1_3gpuE3ELNS1_3repE0EEENS1_30default_config_static_selectorELNS0_4arch9wavefront6targetE0EEEvSZ_
    .private_segment_fixed_size: 0
    .sgpr_count:     0
    .sgpr_spill_count: 0
    .symbol:         _ZN7rocprim17ROCPRIM_400000_NS6detail17trampoline_kernelINS0_13select_configILj256ELj13ELNS0_17block_load_methodE3ELS4_3ELS4_3ELNS0_20block_scan_algorithmE0ELj4294967295EEENS1_25partition_config_selectorILNS1_17partition_subalgoE3EjNS0_10empty_typeEbEEZZNS1_14partition_implILS8_3ELb0ES6_jNS0_17counting_iteratorIjlEEPS9_SE_NS0_5tupleIJPjSE_EEENSF_IJSE_SE_EEES9_SG_JZNS1_25segmented_radix_sort_implINS0_14default_configELb0EPK12hip_bfloat16PSL_PKlPlN2at6native12_GLOBAL__N_18offset_tEEE10hipError_tPvRmT1_PNSt15iterator_traitsISZ_E10value_typeET2_T3_PNS10_IS15_E10value_typeET4_jRbjT5_S1B_jjP12ihipStream_tbEUljE_EEESW_SX_SY_S15_S19_S1B_T6_T7_T9_mT8_S1D_bDpT10_ENKUlT_T0_E_clISt17integral_constantIbLb0EES1Q_EEDaS1L_S1M_EUlS1L_E_NS1_11comp_targetILNS1_3genE9ELNS1_11target_archE1100ELNS1_3gpuE3ELNS1_3repE0EEENS1_30default_config_static_selectorELNS0_4arch9wavefront6targetE0EEEvSZ_.kd
    .uniform_work_group_size: 1
    .uses_dynamic_stack: false
    .vgpr_count:     0
    .vgpr_spill_count: 0
    .wavefront_size: 32
    .workgroup_processor_mode: 1
  - .args:
      - .offset:         0
        .size:           144
        .value_kind:     by_value
    .group_segment_fixed_size: 13320
    .kernarg_segment_align: 8
    .kernarg_segment_size: 144
    .language:       OpenCL C
    .language_version:
      - 2
      - 0
    .max_flat_workgroup_size: 256
    .name:           _ZN7rocprim17ROCPRIM_400000_NS6detail17trampoline_kernelINS0_13select_configILj256ELj13ELNS0_17block_load_methodE3ELS4_3ELS4_3ELNS0_20block_scan_algorithmE0ELj4294967295EEENS1_25partition_config_selectorILNS1_17partition_subalgoE3EjNS0_10empty_typeEbEEZZNS1_14partition_implILS8_3ELb0ES6_jNS0_17counting_iteratorIjlEEPS9_SE_NS0_5tupleIJPjSE_EEENSF_IJSE_SE_EEES9_SG_JZNS1_25segmented_radix_sort_implINS0_14default_configELb0EPK12hip_bfloat16PSL_PKlPlN2at6native12_GLOBAL__N_18offset_tEEE10hipError_tPvRmT1_PNSt15iterator_traitsISZ_E10value_typeET2_T3_PNS10_IS15_E10value_typeET4_jRbjT5_S1B_jjP12ihipStream_tbEUljE_EEESW_SX_SY_S15_S19_S1B_T6_T7_T9_mT8_S1D_bDpT10_ENKUlT_T0_E_clISt17integral_constantIbLb0EES1Q_EEDaS1L_S1M_EUlS1L_E_NS1_11comp_targetILNS1_3genE8ELNS1_11target_archE1030ELNS1_3gpuE2ELNS1_3repE0EEENS1_30default_config_static_selectorELNS0_4arch9wavefront6targetE0EEEvSZ_
    .private_segment_fixed_size: 0
    .sgpr_count:     29
    .sgpr_spill_count: 0
    .symbol:         _ZN7rocprim17ROCPRIM_400000_NS6detail17trampoline_kernelINS0_13select_configILj256ELj13ELNS0_17block_load_methodE3ELS4_3ELS4_3ELNS0_20block_scan_algorithmE0ELj4294967295EEENS1_25partition_config_selectorILNS1_17partition_subalgoE3EjNS0_10empty_typeEbEEZZNS1_14partition_implILS8_3ELb0ES6_jNS0_17counting_iteratorIjlEEPS9_SE_NS0_5tupleIJPjSE_EEENSF_IJSE_SE_EEES9_SG_JZNS1_25segmented_radix_sort_implINS0_14default_configELb0EPK12hip_bfloat16PSL_PKlPlN2at6native12_GLOBAL__N_18offset_tEEE10hipError_tPvRmT1_PNSt15iterator_traitsISZ_E10value_typeET2_T3_PNS10_IS15_E10value_typeET4_jRbjT5_S1B_jjP12ihipStream_tbEUljE_EEESW_SX_SY_S15_S19_S1B_T6_T7_T9_mT8_S1D_bDpT10_ENKUlT_T0_E_clISt17integral_constantIbLb0EES1Q_EEDaS1L_S1M_EUlS1L_E_NS1_11comp_targetILNS1_3genE8ELNS1_11target_archE1030ELNS1_3gpuE2ELNS1_3repE0EEENS1_30default_config_static_selectorELNS0_4arch9wavefront6targetE0EEEvSZ_.kd
    .uniform_work_group_size: 1
    .uses_dynamic_stack: false
    .vgpr_count:     69
    .vgpr_spill_count: 0
    .wavefront_size: 32
    .workgroup_processor_mode: 1
  - .args:
      - .offset:         0
        .size:           152
        .value_kind:     by_value
    .group_segment_fixed_size: 0
    .kernarg_segment_align: 8
    .kernarg_segment_size: 152
    .language:       OpenCL C
    .language_version:
      - 2
      - 0
    .max_flat_workgroup_size: 256
    .name:           _ZN7rocprim17ROCPRIM_400000_NS6detail17trampoline_kernelINS0_13select_configILj256ELj13ELNS0_17block_load_methodE3ELS4_3ELS4_3ELNS0_20block_scan_algorithmE0ELj4294967295EEENS1_25partition_config_selectorILNS1_17partition_subalgoE3EjNS0_10empty_typeEbEEZZNS1_14partition_implILS8_3ELb0ES6_jNS0_17counting_iteratorIjlEEPS9_SE_NS0_5tupleIJPjSE_EEENSF_IJSE_SE_EEES9_SG_JZNS1_25segmented_radix_sort_implINS0_14default_configELb0EPK12hip_bfloat16PSL_PKlPlN2at6native12_GLOBAL__N_18offset_tEEE10hipError_tPvRmT1_PNSt15iterator_traitsISZ_E10value_typeET2_T3_PNS10_IS15_E10value_typeET4_jRbjT5_S1B_jjP12ihipStream_tbEUljE_EEESW_SX_SY_S15_S19_S1B_T6_T7_T9_mT8_S1D_bDpT10_ENKUlT_T0_E_clISt17integral_constantIbLb1EES1Q_EEDaS1L_S1M_EUlS1L_E_NS1_11comp_targetILNS1_3genE0ELNS1_11target_archE4294967295ELNS1_3gpuE0ELNS1_3repE0EEENS1_30default_config_static_selectorELNS0_4arch9wavefront6targetE0EEEvSZ_
    .private_segment_fixed_size: 0
    .sgpr_count:     0
    .sgpr_spill_count: 0
    .symbol:         _ZN7rocprim17ROCPRIM_400000_NS6detail17trampoline_kernelINS0_13select_configILj256ELj13ELNS0_17block_load_methodE3ELS4_3ELS4_3ELNS0_20block_scan_algorithmE0ELj4294967295EEENS1_25partition_config_selectorILNS1_17partition_subalgoE3EjNS0_10empty_typeEbEEZZNS1_14partition_implILS8_3ELb0ES6_jNS0_17counting_iteratorIjlEEPS9_SE_NS0_5tupleIJPjSE_EEENSF_IJSE_SE_EEES9_SG_JZNS1_25segmented_radix_sort_implINS0_14default_configELb0EPK12hip_bfloat16PSL_PKlPlN2at6native12_GLOBAL__N_18offset_tEEE10hipError_tPvRmT1_PNSt15iterator_traitsISZ_E10value_typeET2_T3_PNS10_IS15_E10value_typeET4_jRbjT5_S1B_jjP12ihipStream_tbEUljE_EEESW_SX_SY_S15_S19_S1B_T6_T7_T9_mT8_S1D_bDpT10_ENKUlT_T0_E_clISt17integral_constantIbLb1EES1Q_EEDaS1L_S1M_EUlS1L_E_NS1_11comp_targetILNS1_3genE0ELNS1_11target_archE4294967295ELNS1_3gpuE0ELNS1_3repE0EEENS1_30default_config_static_selectorELNS0_4arch9wavefront6targetE0EEEvSZ_.kd
    .uniform_work_group_size: 1
    .uses_dynamic_stack: false
    .vgpr_count:     0
    .vgpr_spill_count: 0
    .wavefront_size: 32
    .workgroup_processor_mode: 1
  - .args:
      - .offset:         0
        .size:           152
        .value_kind:     by_value
    .group_segment_fixed_size: 0
    .kernarg_segment_align: 8
    .kernarg_segment_size: 152
    .language:       OpenCL C
    .language_version:
      - 2
      - 0
    .max_flat_workgroup_size: 256
    .name:           _ZN7rocprim17ROCPRIM_400000_NS6detail17trampoline_kernelINS0_13select_configILj256ELj13ELNS0_17block_load_methodE3ELS4_3ELS4_3ELNS0_20block_scan_algorithmE0ELj4294967295EEENS1_25partition_config_selectorILNS1_17partition_subalgoE3EjNS0_10empty_typeEbEEZZNS1_14partition_implILS8_3ELb0ES6_jNS0_17counting_iteratorIjlEEPS9_SE_NS0_5tupleIJPjSE_EEENSF_IJSE_SE_EEES9_SG_JZNS1_25segmented_radix_sort_implINS0_14default_configELb0EPK12hip_bfloat16PSL_PKlPlN2at6native12_GLOBAL__N_18offset_tEEE10hipError_tPvRmT1_PNSt15iterator_traitsISZ_E10value_typeET2_T3_PNS10_IS15_E10value_typeET4_jRbjT5_S1B_jjP12ihipStream_tbEUljE_EEESW_SX_SY_S15_S19_S1B_T6_T7_T9_mT8_S1D_bDpT10_ENKUlT_T0_E_clISt17integral_constantIbLb1EES1Q_EEDaS1L_S1M_EUlS1L_E_NS1_11comp_targetILNS1_3genE5ELNS1_11target_archE942ELNS1_3gpuE9ELNS1_3repE0EEENS1_30default_config_static_selectorELNS0_4arch9wavefront6targetE0EEEvSZ_
    .private_segment_fixed_size: 0
    .sgpr_count:     0
    .sgpr_spill_count: 0
    .symbol:         _ZN7rocprim17ROCPRIM_400000_NS6detail17trampoline_kernelINS0_13select_configILj256ELj13ELNS0_17block_load_methodE3ELS4_3ELS4_3ELNS0_20block_scan_algorithmE0ELj4294967295EEENS1_25partition_config_selectorILNS1_17partition_subalgoE3EjNS0_10empty_typeEbEEZZNS1_14partition_implILS8_3ELb0ES6_jNS0_17counting_iteratorIjlEEPS9_SE_NS0_5tupleIJPjSE_EEENSF_IJSE_SE_EEES9_SG_JZNS1_25segmented_radix_sort_implINS0_14default_configELb0EPK12hip_bfloat16PSL_PKlPlN2at6native12_GLOBAL__N_18offset_tEEE10hipError_tPvRmT1_PNSt15iterator_traitsISZ_E10value_typeET2_T3_PNS10_IS15_E10value_typeET4_jRbjT5_S1B_jjP12ihipStream_tbEUljE_EEESW_SX_SY_S15_S19_S1B_T6_T7_T9_mT8_S1D_bDpT10_ENKUlT_T0_E_clISt17integral_constantIbLb1EES1Q_EEDaS1L_S1M_EUlS1L_E_NS1_11comp_targetILNS1_3genE5ELNS1_11target_archE942ELNS1_3gpuE9ELNS1_3repE0EEENS1_30default_config_static_selectorELNS0_4arch9wavefront6targetE0EEEvSZ_.kd
    .uniform_work_group_size: 1
    .uses_dynamic_stack: false
    .vgpr_count:     0
    .vgpr_spill_count: 0
    .wavefront_size: 32
    .workgroup_processor_mode: 1
  - .args:
      - .offset:         0
        .size:           152
        .value_kind:     by_value
    .group_segment_fixed_size: 0
    .kernarg_segment_align: 8
    .kernarg_segment_size: 152
    .language:       OpenCL C
    .language_version:
      - 2
      - 0
    .max_flat_workgroup_size: 256
    .name:           _ZN7rocprim17ROCPRIM_400000_NS6detail17trampoline_kernelINS0_13select_configILj256ELj13ELNS0_17block_load_methodE3ELS4_3ELS4_3ELNS0_20block_scan_algorithmE0ELj4294967295EEENS1_25partition_config_selectorILNS1_17partition_subalgoE3EjNS0_10empty_typeEbEEZZNS1_14partition_implILS8_3ELb0ES6_jNS0_17counting_iteratorIjlEEPS9_SE_NS0_5tupleIJPjSE_EEENSF_IJSE_SE_EEES9_SG_JZNS1_25segmented_radix_sort_implINS0_14default_configELb0EPK12hip_bfloat16PSL_PKlPlN2at6native12_GLOBAL__N_18offset_tEEE10hipError_tPvRmT1_PNSt15iterator_traitsISZ_E10value_typeET2_T3_PNS10_IS15_E10value_typeET4_jRbjT5_S1B_jjP12ihipStream_tbEUljE_EEESW_SX_SY_S15_S19_S1B_T6_T7_T9_mT8_S1D_bDpT10_ENKUlT_T0_E_clISt17integral_constantIbLb1EES1Q_EEDaS1L_S1M_EUlS1L_E_NS1_11comp_targetILNS1_3genE4ELNS1_11target_archE910ELNS1_3gpuE8ELNS1_3repE0EEENS1_30default_config_static_selectorELNS0_4arch9wavefront6targetE0EEEvSZ_
    .private_segment_fixed_size: 0
    .sgpr_count:     0
    .sgpr_spill_count: 0
    .symbol:         _ZN7rocprim17ROCPRIM_400000_NS6detail17trampoline_kernelINS0_13select_configILj256ELj13ELNS0_17block_load_methodE3ELS4_3ELS4_3ELNS0_20block_scan_algorithmE0ELj4294967295EEENS1_25partition_config_selectorILNS1_17partition_subalgoE3EjNS0_10empty_typeEbEEZZNS1_14partition_implILS8_3ELb0ES6_jNS0_17counting_iteratorIjlEEPS9_SE_NS0_5tupleIJPjSE_EEENSF_IJSE_SE_EEES9_SG_JZNS1_25segmented_radix_sort_implINS0_14default_configELb0EPK12hip_bfloat16PSL_PKlPlN2at6native12_GLOBAL__N_18offset_tEEE10hipError_tPvRmT1_PNSt15iterator_traitsISZ_E10value_typeET2_T3_PNS10_IS15_E10value_typeET4_jRbjT5_S1B_jjP12ihipStream_tbEUljE_EEESW_SX_SY_S15_S19_S1B_T6_T7_T9_mT8_S1D_bDpT10_ENKUlT_T0_E_clISt17integral_constantIbLb1EES1Q_EEDaS1L_S1M_EUlS1L_E_NS1_11comp_targetILNS1_3genE4ELNS1_11target_archE910ELNS1_3gpuE8ELNS1_3repE0EEENS1_30default_config_static_selectorELNS0_4arch9wavefront6targetE0EEEvSZ_.kd
    .uniform_work_group_size: 1
    .uses_dynamic_stack: false
    .vgpr_count:     0
    .vgpr_spill_count: 0
    .wavefront_size: 32
    .workgroup_processor_mode: 1
  - .args:
      - .offset:         0
        .size:           152
        .value_kind:     by_value
    .group_segment_fixed_size: 0
    .kernarg_segment_align: 8
    .kernarg_segment_size: 152
    .language:       OpenCL C
    .language_version:
      - 2
      - 0
    .max_flat_workgroup_size: 256
    .name:           _ZN7rocprim17ROCPRIM_400000_NS6detail17trampoline_kernelINS0_13select_configILj256ELj13ELNS0_17block_load_methodE3ELS4_3ELS4_3ELNS0_20block_scan_algorithmE0ELj4294967295EEENS1_25partition_config_selectorILNS1_17partition_subalgoE3EjNS0_10empty_typeEbEEZZNS1_14partition_implILS8_3ELb0ES6_jNS0_17counting_iteratorIjlEEPS9_SE_NS0_5tupleIJPjSE_EEENSF_IJSE_SE_EEES9_SG_JZNS1_25segmented_radix_sort_implINS0_14default_configELb0EPK12hip_bfloat16PSL_PKlPlN2at6native12_GLOBAL__N_18offset_tEEE10hipError_tPvRmT1_PNSt15iterator_traitsISZ_E10value_typeET2_T3_PNS10_IS15_E10value_typeET4_jRbjT5_S1B_jjP12ihipStream_tbEUljE_EEESW_SX_SY_S15_S19_S1B_T6_T7_T9_mT8_S1D_bDpT10_ENKUlT_T0_E_clISt17integral_constantIbLb1EES1Q_EEDaS1L_S1M_EUlS1L_E_NS1_11comp_targetILNS1_3genE3ELNS1_11target_archE908ELNS1_3gpuE7ELNS1_3repE0EEENS1_30default_config_static_selectorELNS0_4arch9wavefront6targetE0EEEvSZ_
    .private_segment_fixed_size: 0
    .sgpr_count:     0
    .sgpr_spill_count: 0
    .symbol:         _ZN7rocprim17ROCPRIM_400000_NS6detail17trampoline_kernelINS0_13select_configILj256ELj13ELNS0_17block_load_methodE3ELS4_3ELS4_3ELNS0_20block_scan_algorithmE0ELj4294967295EEENS1_25partition_config_selectorILNS1_17partition_subalgoE3EjNS0_10empty_typeEbEEZZNS1_14partition_implILS8_3ELb0ES6_jNS0_17counting_iteratorIjlEEPS9_SE_NS0_5tupleIJPjSE_EEENSF_IJSE_SE_EEES9_SG_JZNS1_25segmented_radix_sort_implINS0_14default_configELb0EPK12hip_bfloat16PSL_PKlPlN2at6native12_GLOBAL__N_18offset_tEEE10hipError_tPvRmT1_PNSt15iterator_traitsISZ_E10value_typeET2_T3_PNS10_IS15_E10value_typeET4_jRbjT5_S1B_jjP12ihipStream_tbEUljE_EEESW_SX_SY_S15_S19_S1B_T6_T7_T9_mT8_S1D_bDpT10_ENKUlT_T0_E_clISt17integral_constantIbLb1EES1Q_EEDaS1L_S1M_EUlS1L_E_NS1_11comp_targetILNS1_3genE3ELNS1_11target_archE908ELNS1_3gpuE7ELNS1_3repE0EEENS1_30default_config_static_selectorELNS0_4arch9wavefront6targetE0EEEvSZ_.kd
    .uniform_work_group_size: 1
    .uses_dynamic_stack: false
    .vgpr_count:     0
    .vgpr_spill_count: 0
    .wavefront_size: 32
    .workgroup_processor_mode: 1
  - .args:
      - .offset:         0
        .size:           152
        .value_kind:     by_value
    .group_segment_fixed_size: 0
    .kernarg_segment_align: 8
    .kernarg_segment_size: 152
    .language:       OpenCL C
    .language_version:
      - 2
      - 0
    .max_flat_workgroup_size: 256
    .name:           _ZN7rocprim17ROCPRIM_400000_NS6detail17trampoline_kernelINS0_13select_configILj256ELj13ELNS0_17block_load_methodE3ELS4_3ELS4_3ELNS0_20block_scan_algorithmE0ELj4294967295EEENS1_25partition_config_selectorILNS1_17partition_subalgoE3EjNS0_10empty_typeEbEEZZNS1_14partition_implILS8_3ELb0ES6_jNS0_17counting_iteratorIjlEEPS9_SE_NS0_5tupleIJPjSE_EEENSF_IJSE_SE_EEES9_SG_JZNS1_25segmented_radix_sort_implINS0_14default_configELb0EPK12hip_bfloat16PSL_PKlPlN2at6native12_GLOBAL__N_18offset_tEEE10hipError_tPvRmT1_PNSt15iterator_traitsISZ_E10value_typeET2_T3_PNS10_IS15_E10value_typeET4_jRbjT5_S1B_jjP12ihipStream_tbEUljE_EEESW_SX_SY_S15_S19_S1B_T6_T7_T9_mT8_S1D_bDpT10_ENKUlT_T0_E_clISt17integral_constantIbLb1EES1Q_EEDaS1L_S1M_EUlS1L_E_NS1_11comp_targetILNS1_3genE2ELNS1_11target_archE906ELNS1_3gpuE6ELNS1_3repE0EEENS1_30default_config_static_selectorELNS0_4arch9wavefront6targetE0EEEvSZ_
    .private_segment_fixed_size: 0
    .sgpr_count:     0
    .sgpr_spill_count: 0
    .symbol:         _ZN7rocprim17ROCPRIM_400000_NS6detail17trampoline_kernelINS0_13select_configILj256ELj13ELNS0_17block_load_methodE3ELS4_3ELS4_3ELNS0_20block_scan_algorithmE0ELj4294967295EEENS1_25partition_config_selectorILNS1_17partition_subalgoE3EjNS0_10empty_typeEbEEZZNS1_14partition_implILS8_3ELb0ES6_jNS0_17counting_iteratorIjlEEPS9_SE_NS0_5tupleIJPjSE_EEENSF_IJSE_SE_EEES9_SG_JZNS1_25segmented_radix_sort_implINS0_14default_configELb0EPK12hip_bfloat16PSL_PKlPlN2at6native12_GLOBAL__N_18offset_tEEE10hipError_tPvRmT1_PNSt15iterator_traitsISZ_E10value_typeET2_T3_PNS10_IS15_E10value_typeET4_jRbjT5_S1B_jjP12ihipStream_tbEUljE_EEESW_SX_SY_S15_S19_S1B_T6_T7_T9_mT8_S1D_bDpT10_ENKUlT_T0_E_clISt17integral_constantIbLb1EES1Q_EEDaS1L_S1M_EUlS1L_E_NS1_11comp_targetILNS1_3genE2ELNS1_11target_archE906ELNS1_3gpuE6ELNS1_3repE0EEENS1_30default_config_static_selectorELNS0_4arch9wavefront6targetE0EEEvSZ_.kd
    .uniform_work_group_size: 1
    .uses_dynamic_stack: false
    .vgpr_count:     0
    .vgpr_spill_count: 0
    .wavefront_size: 32
    .workgroup_processor_mode: 1
  - .args:
      - .offset:         0
        .size:           152
        .value_kind:     by_value
    .group_segment_fixed_size: 0
    .kernarg_segment_align: 8
    .kernarg_segment_size: 152
    .language:       OpenCL C
    .language_version:
      - 2
      - 0
    .max_flat_workgroup_size: 256
    .name:           _ZN7rocprim17ROCPRIM_400000_NS6detail17trampoline_kernelINS0_13select_configILj256ELj13ELNS0_17block_load_methodE3ELS4_3ELS4_3ELNS0_20block_scan_algorithmE0ELj4294967295EEENS1_25partition_config_selectorILNS1_17partition_subalgoE3EjNS0_10empty_typeEbEEZZNS1_14partition_implILS8_3ELb0ES6_jNS0_17counting_iteratorIjlEEPS9_SE_NS0_5tupleIJPjSE_EEENSF_IJSE_SE_EEES9_SG_JZNS1_25segmented_radix_sort_implINS0_14default_configELb0EPK12hip_bfloat16PSL_PKlPlN2at6native12_GLOBAL__N_18offset_tEEE10hipError_tPvRmT1_PNSt15iterator_traitsISZ_E10value_typeET2_T3_PNS10_IS15_E10value_typeET4_jRbjT5_S1B_jjP12ihipStream_tbEUljE_EEESW_SX_SY_S15_S19_S1B_T6_T7_T9_mT8_S1D_bDpT10_ENKUlT_T0_E_clISt17integral_constantIbLb1EES1Q_EEDaS1L_S1M_EUlS1L_E_NS1_11comp_targetILNS1_3genE10ELNS1_11target_archE1200ELNS1_3gpuE4ELNS1_3repE0EEENS1_30default_config_static_selectorELNS0_4arch9wavefront6targetE0EEEvSZ_
    .private_segment_fixed_size: 0
    .sgpr_count:     0
    .sgpr_spill_count: 0
    .symbol:         _ZN7rocprim17ROCPRIM_400000_NS6detail17trampoline_kernelINS0_13select_configILj256ELj13ELNS0_17block_load_methodE3ELS4_3ELS4_3ELNS0_20block_scan_algorithmE0ELj4294967295EEENS1_25partition_config_selectorILNS1_17partition_subalgoE3EjNS0_10empty_typeEbEEZZNS1_14partition_implILS8_3ELb0ES6_jNS0_17counting_iteratorIjlEEPS9_SE_NS0_5tupleIJPjSE_EEENSF_IJSE_SE_EEES9_SG_JZNS1_25segmented_radix_sort_implINS0_14default_configELb0EPK12hip_bfloat16PSL_PKlPlN2at6native12_GLOBAL__N_18offset_tEEE10hipError_tPvRmT1_PNSt15iterator_traitsISZ_E10value_typeET2_T3_PNS10_IS15_E10value_typeET4_jRbjT5_S1B_jjP12ihipStream_tbEUljE_EEESW_SX_SY_S15_S19_S1B_T6_T7_T9_mT8_S1D_bDpT10_ENKUlT_T0_E_clISt17integral_constantIbLb1EES1Q_EEDaS1L_S1M_EUlS1L_E_NS1_11comp_targetILNS1_3genE10ELNS1_11target_archE1200ELNS1_3gpuE4ELNS1_3repE0EEENS1_30default_config_static_selectorELNS0_4arch9wavefront6targetE0EEEvSZ_.kd
    .uniform_work_group_size: 1
    .uses_dynamic_stack: false
    .vgpr_count:     0
    .vgpr_spill_count: 0
    .wavefront_size: 32
    .workgroup_processor_mode: 1
  - .args:
      - .offset:         0
        .size:           152
        .value_kind:     by_value
    .group_segment_fixed_size: 0
    .kernarg_segment_align: 8
    .kernarg_segment_size: 152
    .language:       OpenCL C
    .language_version:
      - 2
      - 0
    .max_flat_workgroup_size: 256
    .name:           _ZN7rocprim17ROCPRIM_400000_NS6detail17trampoline_kernelINS0_13select_configILj256ELj13ELNS0_17block_load_methodE3ELS4_3ELS4_3ELNS0_20block_scan_algorithmE0ELj4294967295EEENS1_25partition_config_selectorILNS1_17partition_subalgoE3EjNS0_10empty_typeEbEEZZNS1_14partition_implILS8_3ELb0ES6_jNS0_17counting_iteratorIjlEEPS9_SE_NS0_5tupleIJPjSE_EEENSF_IJSE_SE_EEES9_SG_JZNS1_25segmented_radix_sort_implINS0_14default_configELb0EPK12hip_bfloat16PSL_PKlPlN2at6native12_GLOBAL__N_18offset_tEEE10hipError_tPvRmT1_PNSt15iterator_traitsISZ_E10value_typeET2_T3_PNS10_IS15_E10value_typeET4_jRbjT5_S1B_jjP12ihipStream_tbEUljE_EEESW_SX_SY_S15_S19_S1B_T6_T7_T9_mT8_S1D_bDpT10_ENKUlT_T0_E_clISt17integral_constantIbLb1EES1Q_EEDaS1L_S1M_EUlS1L_E_NS1_11comp_targetILNS1_3genE9ELNS1_11target_archE1100ELNS1_3gpuE3ELNS1_3repE0EEENS1_30default_config_static_selectorELNS0_4arch9wavefront6targetE0EEEvSZ_
    .private_segment_fixed_size: 0
    .sgpr_count:     0
    .sgpr_spill_count: 0
    .symbol:         _ZN7rocprim17ROCPRIM_400000_NS6detail17trampoline_kernelINS0_13select_configILj256ELj13ELNS0_17block_load_methodE3ELS4_3ELS4_3ELNS0_20block_scan_algorithmE0ELj4294967295EEENS1_25partition_config_selectorILNS1_17partition_subalgoE3EjNS0_10empty_typeEbEEZZNS1_14partition_implILS8_3ELb0ES6_jNS0_17counting_iteratorIjlEEPS9_SE_NS0_5tupleIJPjSE_EEENSF_IJSE_SE_EEES9_SG_JZNS1_25segmented_radix_sort_implINS0_14default_configELb0EPK12hip_bfloat16PSL_PKlPlN2at6native12_GLOBAL__N_18offset_tEEE10hipError_tPvRmT1_PNSt15iterator_traitsISZ_E10value_typeET2_T3_PNS10_IS15_E10value_typeET4_jRbjT5_S1B_jjP12ihipStream_tbEUljE_EEESW_SX_SY_S15_S19_S1B_T6_T7_T9_mT8_S1D_bDpT10_ENKUlT_T0_E_clISt17integral_constantIbLb1EES1Q_EEDaS1L_S1M_EUlS1L_E_NS1_11comp_targetILNS1_3genE9ELNS1_11target_archE1100ELNS1_3gpuE3ELNS1_3repE0EEENS1_30default_config_static_selectorELNS0_4arch9wavefront6targetE0EEEvSZ_.kd
    .uniform_work_group_size: 1
    .uses_dynamic_stack: false
    .vgpr_count:     0
    .vgpr_spill_count: 0
    .wavefront_size: 32
    .workgroup_processor_mode: 1
  - .args:
      - .offset:         0
        .size:           152
        .value_kind:     by_value
    .group_segment_fixed_size: 0
    .kernarg_segment_align: 8
    .kernarg_segment_size: 152
    .language:       OpenCL C
    .language_version:
      - 2
      - 0
    .max_flat_workgroup_size: 256
    .name:           _ZN7rocprim17ROCPRIM_400000_NS6detail17trampoline_kernelINS0_13select_configILj256ELj13ELNS0_17block_load_methodE3ELS4_3ELS4_3ELNS0_20block_scan_algorithmE0ELj4294967295EEENS1_25partition_config_selectorILNS1_17partition_subalgoE3EjNS0_10empty_typeEbEEZZNS1_14partition_implILS8_3ELb0ES6_jNS0_17counting_iteratorIjlEEPS9_SE_NS0_5tupleIJPjSE_EEENSF_IJSE_SE_EEES9_SG_JZNS1_25segmented_radix_sort_implINS0_14default_configELb0EPK12hip_bfloat16PSL_PKlPlN2at6native12_GLOBAL__N_18offset_tEEE10hipError_tPvRmT1_PNSt15iterator_traitsISZ_E10value_typeET2_T3_PNS10_IS15_E10value_typeET4_jRbjT5_S1B_jjP12ihipStream_tbEUljE_EEESW_SX_SY_S15_S19_S1B_T6_T7_T9_mT8_S1D_bDpT10_ENKUlT_T0_E_clISt17integral_constantIbLb1EES1Q_EEDaS1L_S1M_EUlS1L_E_NS1_11comp_targetILNS1_3genE8ELNS1_11target_archE1030ELNS1_3gpuE2ELNS1_3repE0EEENS1_30default_config_static_selectorELNS0_4arch9wavefront6targetE0EEEvSZ_
    .private_segment_fixed_size: 0
    .sgpr_count:     0
    .sgpr_spill_count: 0
    .symbol:         _ZN7rocprim17ROCPRIM_400000_NS6detail17trampoline_kernelINS0_13select_configILj256ELj13ELNS0_17block_load_methodE3ELS4_3ELS4_3ELNS0_20block_scan_algorithmE0ELj4294967295EEENS1_25partition_config_selectorILNS1_17partition_subalgoE3EjNS0_10empty_typeEbEEZZNS1_14partition_implILS8_3ELb0ES6_jNS0_17counting_iteratorIjlEEPS9_SE_NS0_5tupleIJPjSE_EEENSF_IJSE_SE_EEES9_SG_JZNS1_25segmented_radix_sort_implINS0_14default_configELb0EPK12hip_bfloat16PSL_PKlPlN2at6native12_GLOBAL__N_18offset_tEEE10hipError_tPvRmT1_PNSt15iterator_traitsISZ_E10value_typeET2_T3_PNS10_IS15_E10value_typeET4_jRbjT5_S1B_jjP12ihipStream_tbEUljE_EEESW_SX_SY_S15_S19_S1B_T6_T7_T9_mT8_S1D_bDpT10_ENKUlT_T0_E_clISt17integral_constantIbLb1EES1Q_EEDaS1L_S1M_EUlS1L_E_NS1_11comp_targetILNS1_3genE8ELNS1_11target_archE1030ELNS1_3gpuE2ELNS1_3repE0EEENS1_30default_config_static_selectorELNS0_4arch9wavefront6targetE0EEEvSZ_.kd
    .uniform_work_group_size: 1
    .uses_dynamic_stack: false
    .vgpr_count:     0
    .vgpr_spill_count: 0
    .wavefront_size: 32
    .workgroup_processor_mode: 1
  - .args:
      - .offset:         0
        .size:           144
        .value_kind:     by_value
    .group_segment_fixed_size: 0
    .kernarg_segment_align: 8
    .kernarg_segment_size: 144
    .language:       OpenCL C
    .language_version:
      - 2
      - 0
    .max_flat_workgroup_size: 256
    .name:           _ZN7rocprim17ROCPRIM_400000_NS6detail17trampoline_kernelINS0_13select_configILj256ELj13ELNS0_17block_load_methodE3ELS4_3ELS4_3ELNS0_20block_scan_algorithmE0ELj4294967295EEENS1_25partition_config_selectorILNS1_17partition_subalgoE3EjNS0_10empty_typeEbEEZZNS1_14partition_implILS8_3ELb0ES6_jNS0_17counting_iteratorIjlEEPS9_SE_NS0_5tupleIJPjSE_EEENSF_IJSE_SE_EEES9_SG_JZNS1_25segmented_radix_sort_implINS0_14default_configELb0EPK12hip_bfloat16PSL_PKlPlN2at6native12_GLOBAL__N_18offset_tEEE10hipError_tPvRmT1_PNSt15iterator_traitsISZ_E10value_typeET2_T3_PNS10_IS15_E10value_typeET4_jRbjT5_S1B_jjP12ihipStream_tbEUljE_EEESW_SX_SY_S15_S19_S1B_T6_T7_T9_mT8_S1D_bDpT10_ENKUlT_T0_E_clISt17integral_constantIbLb1EES1P_IbLb0EEEEDaS1L_S1M_EUlS1L_E_NS1_11comp_targetILNS1_3genE0ELNS1_11target_archE4294967295ELNS1_3gpuE0ELNS1_3repE0EEENS1_30default_config_static_selectorELNS0_4arch9wavefront6targetE0EEEvSZ_
    .private_segment_fixed_size: 0
    .sgpr_count:     0
    .sgpr_spill_count: 0
    .symbol:         _ZN7rocprim17ROCPRIM_400000_NS6detail17trampoline_kernelINS0_13select_configILj256ELj13ELNS0_17block_load_methodE3ELS4_3ELS4_3ELNS0_20block_scan_algorithmE0ELj4294967295EEENS1_25partition_config_selectorILNS1_17partition_subalgoE3EjNS0_10empty_typeEbEEZZNS1_14partition_implILS8_3ELb0ES6_jNS0_17counting_iteratorIjlEEPS9_SE_NS0_5tupleIJPjSE_EEENSF_IJSE_SE_EEES9_SG_JZNS1_25segmented_radix_sort_implINS0_14default_configELb0EPK12hip_bfloat16PSL_PKlPlN2at6native12_GLOBAL__N_18offset_tEEE10hipError_tPvRmT1_PNSt15iterator_traitsISZ_E10value_typeET2_T3_PNS10_IS15_E10value_typeET4_jRbjT5_S1B_jjP12ihipStream_tbEUljE_EEESW_SX_SY_S15_S19_S1B_T6_T7_T9_mT8_S1D_bDpT10_ENKUlT_T0_E_clISt17integral_constantIbLb1EES1P_IbLb0EEEEDaS1L_S1M_EUlS1L_E_NS1_11comp_targetILNS1_3genE0ELNS1_11target_archE4294967295ELNS1_3gpuE0ELNS1_3repE0EEENS1_30default_config_static_selectorELNS0_4arch9wavefront6targetE0EEEvSZ_.kd
    .uniform_work_group_size: 1
    .uses_dynamic_stack: false
    .vgpr_count:     0
    .vgpr_spill_count: 0
    .wavefront_size: 32
    .workgroup_processor_mode: 1
  - .args:
      - .offset:         0
        .size:           144
        .value_kind:     by_value
    .group_segment_fixed_size: 0
    .kernarg_segment_align: 8
    .kernarg_segment_size: 144
    .language:       OpenCL C
    .language_version:
      - 2
      - 0
    .max_flat_workgroup_size: 256
    .name:           _ZN7rocprim17ROCPRIM_400000_NS6detail17trampoline_kernelINS0_13select_configILj256ELj13ELNS0_17block_load_methodE3ELS4_3ELS4_3ELNS0_20block_scan_algorithmE0ELj4294967295EEENS1_25partition_config_selectorILNS1_17partition_subalgoE3EjNS0_10empty_typeEbEEZZNS1_14partition_implILS8_3ELb0ES6_jNS0_17counting_iteratorIjlEEPS9_SE_NS0_5tupleIJPjSE_EEENSF_IJSE_SE_EEES9_SG_JZNS1_25segmented_radix_sort_implINS0_14default_configELb0EPK12hip_bfloat16PSL_PKlPlN2at6native12_GLOBAL__N_18offset_tEEE10hipError_tPvRmT1_PNSt15iterator_traitsISZ_E10value_typeET2_T3_PNS10_IS15_E10value_typeET4_jRbjT5_S1B_jjP12ihipStream_tbEUljE_EEESW_SX_SY_S15_S19_S1B_T6_T7_T9_mT8_S1D_bDpT10_ENKUlT_T0_E_clISt17integral_constantIbLb1EES1P_IbLb0EEEEDaS1L_S1M_EUlS1L_E_NS1_11comp_targetILNS1_3genE5ELNS1_11target_archE942ELNS1_3gpuE9ELNS1_3repE0EEENS1_30default_config_static_selectorELNS0_4arch9wavefront6targetE0EEEvSZ_
    .private_segment_fixed_size: 0
    .sgpr_count:     0
    .sgpr_spill_count: 0
    .symbol:         _ZN7rocprim17ROCPRIM_400000_NS6detail17trampoline_kernelINS0_13select_configILj256ELj13ELNS0_17block_load_methodE3ELS4_3ELS4_3ELNS0_20block_scan_algorithmE0ELj4294967295EEENS1_25partition_config_selectorILNS1_17partition_subalgoE3EjNS0_10empty_typeEbEEZZNS1_14partition_implILS8_3ELb0ES6_jNS0_17counting_iteratorIjlEEPS9_SE_NS0_5tupleIJPjSE_EEENSF_IJSE_SE_EEES9_SG_JZNS1_25segmented_radix_sort_implINS0_14default_configELb0EPK12hip_bfloat16PSL_PKlPlN2at6native12_GLOBAL__N_18offset_tEEE10hipError_tPvRmT1_PNSt15iterator_traitsISZ_E10value_typeET2_T3_PNS10_IS15_E10value_typeET4_jRbjT5_S1B_jjP12ihipStream_tbEUljE_EEESW_SX_SY_S15_S19_S1B_T6_T7_T9_mT8_S1D_bDpT10_ENKUlT_T0_E_clISt17integral_constantIbLb1EES1P_IbLb0EEEEDaS1L_S1M_EUlS1L_E_NS1_11comp_targetILNS1_3genE5ELNS1_11target_archE942ELNS1_3gpuE9ELNS1_3repE0EEENS1_30default_config_static_selectorELNS0_4arch9wavefront6targetE0EEEvSZ_.kd
    .uniform_work_group_size: 1
    .uses_dynamic_stack: false
    .vgpr_count:     0
    .vgpr_spill_count: 0
    .wavefront_size: 32
    .workgroup_processor_mode: 1
  - .args:
      - .offset:         0
        .size:           144
        .value_kind:     by_value
    .group_segment_fixed_size: 0
    .kernarg_segment_align: 8
    .kernarg_segment_size: 144
    .language:       OpenCL C
    .language_version:
      - 2
      - 0
    .max_flat_workgroup_size: 256
    .name:           _ZN7rocprim17ROCPRIM_400000_NS6detail17trampoline_kernelINS0_13select_configILj256ELj13ELNS0_17block_load_methodE3ELS4_3ELS4_3ELNS0_20block_scan_algorithmE0ELj4294967295EEENS1_25partition_config_selectorILNS1_17partition_subalgoE3EjNS0_10empty_typeEbEEZZNS1_14partition_implILS8_3ELb0ES6_jNS0_17counting_iteratorIjlEEPS9_SE_NS0_5tupleIJPjSE_EEENSF_IJSE_SE_EEES9_SG_JZNS1_25segmented_radix_sort_implINS0_14default_configELb0EPK12hip_bfloat16PSL_PKlPlN2at6native12_GLOBAL__N_18offset_tEEE10hipError_tPvRmT1_PNSt15iterator_traitsISZ_E10value_typeET2_T3_PNS10_IS15_E10value_typeET4_jRbjT5_S1B_jjP12ihipStream_tbEUljE_EEESW_SX_SY_S15_S19_S1B_T6_T7_T9_mT8_S1D_bDpT10_ENKUlT_T0_E_clISt17integral_constantIbLb1EES1P_IbLb0EEEEDaS1L_S1M_EUlS1L_E_NS1_11comp_targetILNS1_3genE4ELNS1_11target_archE910ELNS1_3gpuE8ELNS1_3repE0EEENS1_30default_config_static_selectorELNS0_4arch9wavefront6targetE0EEEvSZ_
    .private_segment_fixed_size: 0
    .sgpr_count:     0
    .sgpr_spill_count: 0
    .symbol:         _ZN7rocprim17ROCPRIM_400000_NS6detail17trampoline_kernelINS0_13select_configILj256ELj13ELNS0_17block_load_methodE3ELS4_3ELS4_3ELNS0_20block_scan_algorithmE0ELj4294967295EEENS1_25partition_config_selectorILNS1_17partition_subalgoE3EjNS0_10empty_typeEbEEZZNS1_14partition_implILS8_3ELb0ES6_jNS0_17counting_iteratorIjlEEPS9_SE_NS0_5tupleIJPjSE_EEENSF_IJSE_SE_EEES9_SG_JZNS1_25segmented_radix_sort_implINS0_14default_configELb0EPK12hip_bfloat16PSL_PKlPlN2at6native12_GLOBAL__N_18offset_tEEE10hipError_tPvRmT1_PNSt15iterator_traitsISZ_E10value_typeET2_T3_PNS10_IS15_E10value_typeET4_jRbjT5_S1B_jjP12ihipStream_tbEUljE_EEESW_SX_SY_S15_S19_S1B_T6_T7_T9_mT8_S1D_bDpT10_ENKUlT_T0_E_clISt17integral_constantIbLb1EES1P_IbLb0EEEEDaS1L_S1M_EUlS1L_E_NS1_11comp_targetILNS1_3genE4ELNS1_11target_archE910ELNS1_3gpuE8ELNS1_3repE0EEENS1_30default_config_static_selectorELNS0_4arch9wavefront6targetE0EEEvSZ_.kd
    .uniform_work_group_size: 1
    .uses_dynamic_stack: false
    .vgpr_count:     0
    .vgpr_spill_count: 0
    .wavefront_size: 32
    .workgroup_processor_mode: 1
  - .args:
      - .offset:         0
        .size:           144
        .value_kind:     by_value
    .group_segment_fixed_size: 0
    .kernarg_segment_align: 8
    .kernarg_segment_size: 144
    .language:       OpenCL C
    .language_version:
      - 2
      - 0
    .max_flat_workgroup_size: 256
    .name:           _ZN7rocprim17ROCPRIM_400000_NS6detail17trampoline_kernelINS0_13select_configILj256ELj13ELNS0_17block_load_methodE3ELS4_3ELS4_3ELNS0_20block_scan_algorithmE0ELj4294967295EEENS1_25partition_config_selectorILNS1_17partition_subalgoE3EjNS0_10empty_typeEbEEZZNS1_14partition_implILS8_3ELb0ES6_jNS0_17counting_iteratorIjlEEPS9_SE_NS0_5tupleIJPjSE_EEENSF_IJSE_SE_EEES9_SG_JZNS1_25segmented_radix_sort_implINS0_14default_configELb0EPK12hip_bfloat16PSL_PKlPlN2at6native12_GLOBAL__N_18offset_tEEE10hipError_tPvRmT1_PNSt15iterator_traitsISZ_E10value_typeET2_T3_PNS10_IS15_E10value_typeET4_jRbjT5_S1B_jjP12ihipStream_tbEUljE_EEESW_SX_SY_S15_S19_S1B_T6_T7_T9_mT8_S1D_bDpT10_ENKUlT_T0_E_clISt17integral_constantIbLb1EES1P_IbLb0EEEEDaS1L_S1M_EUlS1L_E_NS1_11comp_targetILNS1_3genE3ELNS1_11target_archE908ELNS1_3gpuE7ELNS1_3repE0EEENS1_30default_config_static_selectorELNS0_4arch9wavefront6targetE0EEEvSZ_
    .private_segment_fixed_size: 0
    .sgpr_count:     0
    .sgpr_spill_count: 0
    .symbol:         _ZN7rocprim17ROCPRIM_400000_NS6detail17trampoline_kernelINS0_13select_configILj256ELj13ELNS0_17block_load_methodE3ELS4_3ELS4_3ELNS0_20block_scan_algorithmE0ELj4294967295EEENS1_25partition_config_selectorILNS1_17partition_subalgoE3EjNS0_10empty_typeEbEEZZNS1_14partition_implILS8_3ELb0ES6_jNS0_17counting_iteratorIjlEEPS9_SE_NS0_5tupleIJPjSE_EEENSF_IJSE_SE_EEES9_SG_JZNS1_25segmented_radix_sort_implINS0_14default_configELb0EPK12hip_bfloat16PSL_PKlPlN2at6native12_GLOBAL__N_18offset_tEEE10hipError_tPvRmT1_PNSt15iterator_traitsISZ_E10value_typeET2_T3_PNS10_IS15_E10value_typeET4_jRbjT5_S1B_jjP12ihipStream_tbEUljE_EEESW_SX_SY_S15_S19_S1B_T6_T7_T9_mT8_S1D_bDpT10_ENKUlT_T0_E_clISt17integral_constantIbLb1EES1P_IbLb0EEEEDaS1L_S1M_EUlS1L_E_NS1_11comp_targetILNS1_3genE3ELNS1_11target_archE908ELNS1_3gpuE7ELNS1_3repE0EEENS1_30default_config_static_selectorELNS0_4arch9wavefront6targetE0EEEvSZ_.kd
    .uniform_work_group_size: 1
    .uses_dynamic_stack: false
    .vgpr_count:     0
    .vgpr_spill_count: 0
    .wavefront_size: 32
    .workgroup_processor_mode: 1
  - .args:
      - .offset:         0
        .size:           144
        .value_kind:     by_value
    .group_segment_fixed_size: 0
    .kernarg_segment_align: 8
    .kernarg_segment_size: 144
    .language:       OpenCL C
    .language_version:
      - 2
      - 0
    .max_flat_workgroup_size: 256
    .name:           _ZN7rocprim17ROCPRIM_400000_NS6detail17trampoline_kernelINS0_13select_configILj256ELj13ELNS0_17block_load_methodE3ELS4_3ELS4_3ELNS0_20block_scan_algorithmE0ELj4294967295EEENS1_25partition_config_selectorILNS1_17partition_subalgoE3EjNS0_10empty_typeEbEEZZNS1_14partition_implILS8_3ELb0ES6_jNS0_17counting_iteratorIjlEEPS9_SE_NS0_5tupleIJPjSE_EEENSF_IJSE_SE_EEES9_SG_JZNS1_25segmented_radix_sort_implINS0_14default_configELb0EPK12hip_bfloat16PSL_PKlPlN2at6native12_GLOBAL__N_18offset_tEEE10hipError_tPvRmT1_PNSt15iterator_traitsISZ_E10value_typeET2_T3_PNS10_IS15_E10value_typeET4_jRbjT5_S1B_jjP12ihipStream_tbEUljE_EEESW_SX_SY_S15_S19_S1B_T6_T7_T9_mT8_S1D_bDpT10_ENKUlT_T0_E_clISt17integral_constantIbLb1EES1P_IbLb0EEEEDaS1L_S1M_EUlS1L_E_NS1_11comp_targetILNS1_3genE2ELNS1_11target_archE906ELNS1_3gpuE6ELNS1_3repE0EEENS1_30default_config_static_selectorELNS0_4arch9wavefront6targetE0EEEvSZ_
    .private_segment_fixed_size: 0
    .sgpr_count:     0
    .sgpr_spill_count: 0
    .symbol:         _ZN7rocprim17ROCPRIM_400000_NS6detail17trampoline_kernelINS0_13select_configILj256ELj13ELNS0_17block_load_methodE3ELS4_3ELS4_3ELNS0_20block_scan_algorithmE0ELj4294967295EEENS1_25partition_config_selectorILNS1_17partition_subalgoE3EjNS0_10empty_typeEbEEZZNS1_14partition_implILS8_3ELb0ES6_jNS0_17counting_iteratorIjlEEPS9_SE_NS0_5tupleIJPjSE_EEENSF_IJSE_SE_EEES9_SG_JZNS1_25segmented_radix_sort_implINS0_14default_configELb0EPK12hip_bfloat16PSL_PKlPlN2at6native12_GLOBAL__N_18offset_tEEE10hipError_tPvRmT1_PNSt15iterator_traitsISZ_E10value_typeET2_T3_PNS10_IS15_E10value_typeET4_jRbjT5_S1B_jjP12ihipStream_tbEUljE_EEESW_SX_SY_S15_S19_S1B_T6_T7_T9_mT8_S1D_bDpT10_ENKUlT_T0_E_clISt17integral_constantIbLb1EES1P_IbLb0EEEEDaS1L_S1M_EUlS1L_E_NS1_11comp_targetILNS1_3genE2ELNS1_11target_archE906ELNS1_3gpuE6ELNS1_3repE0EEENS1_30default_config_static_selectorELNS0_4arch9wavefront6targetE0EEEvSZ_.kd
    .uniform_work_group_size: 1
    .uses_dynamic_stack: false
    .vgpr_count:     0
    .vgpr_spill_count: 0
    .wavefront_size: 32
    .workgroup_processor_mode: 1
  - .args:
      - .offset:         0
        .size:           144
        .value_kind:     by_value
    .group_segment_fixed_size: 0
    .kernarg_segment_align: 8
    .kernarg_segment_size: 144
    .language:       OpenCL C
    .language_version:
      - 2
      - 0
    .max_flat_workgroup_size: 256
    .name:           _ZN7rocprim17ROCPRIM_400000_NS6detail17trampoline_kernelINS0_13select_configILj256ELj13ELNS0_17block_load_methodE3ELS4_3ELS4_3ELNS0_20block_scan_algorithmE0ELj4294967295EEENS1_25partition_config_selectorILNS1_17partition_subalgoE3EjNS0_10empty_typeEbEEZZNS1_14partition_implILS8_3ELb0ES6_jNS0_17counting_iteratorIjlEEPS9_SE_NS0_5tupleIJPjSE_EEENSF_IJSE_SE_EEES9_SG_JZNS1_25segmented_radix_sort_implINS0_14default_configELb0EPK12hip_bfloat16PSL_PKlPlN2at6native12_GLOBAL__N_18offset_tEEE10hipError_tPvRmT1_PNSt15iterator_traitsISZ_E10value_typeET2_T3_PNS10_IS15_E10value_typeET4_jRbjT5_S1B_jjP12ihipStream_tbEUljE_EEESW_SX_SY_S15_S19_S1B_T6_T7_T9_mT8_S1D_bDpT10_ENKUlT_T0_E_clISt17integral_constantIbLb1EES1P_IbLb0EEEEDaS1L_S1M_EUlS1L_E_NS1_11comp_targetILNS1_3genE10ELNS1_11target_archE1200ELNS1_3gpuE4ELNS1_3repE0EEENS1_30default_config_static_selectorELNS0_4arch9wavefront6targetE0EEEvSZ_
    .private_segment_fixed_size: 0
    .sgpr_count:     0
    .sgpr_spill_count: 0
    .symbol:         _ZN7rocprim17ROCPRIM_400000_NS6detail17trampoline_kernelINS0_13select_configILj256ELj13ELNS0_17block_load_methodE3ELS4_3ELS4_3ELNS0_20block_scan_algorithmE0ELj4294967295EEENS1_25partition_config_selectorILNS1_17partition_subalgoE3EjNS0_10empty_typeEbEEZZNS1_14partition_implILS8_3ELb0ES6_jNS0_17counting_iteratorIjlEEPS9_SE_NS0_5tupleIJPjSE_EEENSF_IJSE_SE_EEES9_SG_JZNS1_25segmented_radix_sort_implINS0_14default_configELb0EPK12hip_bfloat16PSL_PKlPlN2at6native12_GLOBAL__N_18offset_tEEE10hipError_tPvRmT1_PNSt15iterator_traitsISZ_E10value_typeET2_T3_PNS10_IS15_E10value_typeET4_jRbjT5_S1B_jjP12ihipStream_tbEUljE_EEESW_SX_SY_S15_S19_S1B_T6_T7_T9_mT8_S1D_bDpT10_ENKUlT_T0_E_clISt17integral_constantIbLb1EES1P_IbLb0EEEEDaS1L_S1M_EUlS1L_E_NS1_11comp_targetILNS1_3genE10ELNS1_11target_archE1200ELNS1_3gpuE4ELNS1_3repE0EEENS1_30default_config_static_selectorELNS0_4arch9wavefront6targetE0EEEvSZ_.kd
    .uniform_work_group_size: 1
    .uses_dynamic_stack: false
    .vgpr_count:     0
    .vgpr_spill_count: 0
    .wavefront_size: 32
    .workgroup_processor_mode: 1
  - .args:
      - .offset:         0
        .size:           144
        .value_kind:     by_value
    .group_segment_fixed_size: 0
    .kernarg_segment_align: 8
    .kernarg_segment_size: 144
    .language:       OpenCL C
    .language_version:
      - 2
      - 0
    .max_flat_workgroup_size: 256
    .name:           _ZN7rocprim17ROCPRIM_400000_NS6detail17trampoline_kernelINS0_13select_configILj256ELj13ELNS0_17block_load_methodE3ELS4_3ELS4_3ELNS0_20block_scan_algorithmE0ELj4294967295EEENS1_25partition_config_selectorILNS1_17partition_subalgoE3EjNS0_10empty_typeEbEEZZNS1_14partition_implILS8_3ELb0ES6_jNS0_17counting_iteratorIjlEEPS9_SE_NS0_5tupleIJPjSE_EEENSF_IJSE_SE_EEES9_SG_JZNS1_25segmented_radix_sort_implINS0_14default_configELb0EPK12hip_bfloat16PSL_PKlPlN2at6native12_GLOBAL__N_18offset_tEEE10hipError_tPvRmT1_PNSt15iterator_traitsISZ_E10value_typeET2_T3_PNS10_IS15_E10value_typeET4_jRbjT5_S1B_jjP12ihipStream_tbEUljE_EEESW_SX_SY_S15_S19_S1B_T6_T7_T9_mT8_S1D_bDpT10_ENKUlT_T0_E_clISt17integral_constantIbLb1EES1P_IbLb0EEEEDaS1L_S1M_EUlS1L_E_NS1_11comp_targetILNS1_3genE9ELNS1_11target_archE1100ELNS1_3gpuE3ELNS1_3repE0EEENS1_30default_config_static_selectorELNS0_4arch9wavefront6targetE0EEEvSZ_
    .private_segment_fixed_size: 0
    .sgpr_count:     0
    .sgpr_spill_count: 0
    .symbol:         _ZN7rocprim17ROCPRIM_400000_NS6detail17trampoline_kernelINS0_13select_configILj256ELj13ELNS0_17block_load_methodE3ELS4_3ELS4_3ELNS0_20block_scan_algorithmE0ELj4294967295EEENS1_25partition_config_selectorILNS1_17partition_subalgoE3EjNS0_10empty_typeEbEEZZNS1_14partition_implILS8_3ELb0ES6_jNS0_17counting_iteratorIjlEEPS9_SE_NS0_5tupleIJPjSE_EEENSF_IJSE_SE_EEES9_SG_JZNS1_25segmented_radix_sort_implINS0_14default_configELb0EPK12hip_bfloat16PSL_PKlPlN2at6native12_GLOBAL__N_18offset_tEEE10hipError_tPvRmT1_PNSt15iterator_traitsISZ_E10value_typeET2_T3_PNS10_IS15_E10value_typeET4_jRbjT5_S1B_jjP12ihipStream_tbEUljE_EEESW_SX_SY_S15_S19_S1B_T6_T7_T9_mT8_S1D_bDpT10_ENKUlT_T0_E_clISt17integral_constantIbLb1EES1P_IbLb0EEEEDaS1L_S1M_EUlS1L_E_NS1_11comp_targetILNS1_3genE9ELNS1_11target_archE1100ELNS1_3gpuE3ELNS1_3repE0EEENS1_30default_config_static_selectorELNS0_4arch9wavefront6targetE0EEEvSZ_.kd
    .uniform_work_group_size: 1
    .uses_dynamic_stack: false
    .vgpr_count:     0
    .vgpr_spill_count: 0
    .wavefront_size: 32
    .workgroup_processor_mode: 1
  - .args:
      - .offset:         0
        .size:           144
        .value_kind:     by_value
    .group_segment_fixed_size: 0
    .kernarg_segment_align: 8
    .kernarg_segment_size: 144
    .language:       OpenCL C
    .language_version:
      - 2
      - 0
    .max_flat_workgroup_size: 256
    .name:           _ZN7rocprim17ROCPRIM_400000_NS6detail17trampoline_kernelINS0_13select_configILj256ELj13ELNS0_17block_load_methodE3ELS4_3ELS4_3ELNS0_20block_scan_algorithmE0ELj4294967295EEENS1_25partition_config_selectorILNS1_17partition_subalgoE3EjNS0_10empty_typeEbEEZZNS1_14partition_implILS8_3ELb0ES6_jNS0_17counting_iteratorIjlEEPS9_SE_NS0_5tupleIJPjSE_EEENSF_IJSE_SE_EEES9_SG_JZNS1_25segmented_radix_sort_implINS0_14default_configELb0EPK12hip_bfloat16PSL_PKlPlN2at6native12_GLOBAL__N_18offset_tEEE10hipError_tPvRmT1_PNSt15iterator_traitsISZ_E10value_typeET2_T3_PNS10_IS15_E10value_typeET4_jRbjT5_S1B_jjP12ihipStream_tbEUljE_EEESW_SX_SY_S15_S19_S1B_T6_T7_T9_mT8_S1D_bDpT10_ENKUlT_T0_E_clISt17integral_constantIbLb1EES1P_IbLb0EEEEDaS1L_S1M_EUlS1L_E_NS1_11comp_targetILNS1_3genE8ELNS1_11target_archE1030ELNS1_3gpuE2ELNS1_3repE0EEENS1_30default_config_static_selectorELNS0_4arch9wavefront6targetE0EEEvSZ_
    .private_segment_fixed_size: 0
    .sgpr_count:     0
    .sgpr_spill_count: 0
    .symbol:         _ZN7rocprim17ROCPRIM_400000_NS6detail17trampoline_kernelINS0_13select_configILj256ELj13ELNS0_17block_load_methodE3ELS4_3ELS4_3ELNS0_20block_scan_algorithmE0ELj4294967295EEENS1_25partition_config_selectorILNS1_17partition_subalgoE3EjNS0_10empty_typeEbEEZZNS1_14partition_implILS8_3ELb0ES6_jNS0_17counting_iteratorIjlEEPS9_SE_NS0_5tupleIJPjSE_EEENSF_IJSE_SE_EEES9_SG_JZNS1_25segmented_radix_sort_implINS0_14default_configELb0EPK12hip_bfloat16PSL_PKlPlN2at6native12_GLOBAL__N_18offset_tEEE10hipError_tPvRmT1_PNSt15iterator_traitsISZ_E10value_typeET2_T3_PNS10_IS15_E10value_typeET4_jRbjT5_S1B_jjP12ihipStream_tbEUljE_EEESW_SX_SY_S15_S19_S1B_T6_T7_T9_mT8_S1D_bDpT10_ENKUlT_T0_E_clISt17integral_constantIbLb1EES1P_IbLb0EEEEDaS1L_S1M_EUlS1L_E_NS1_11comp_targetILNS1_3genE8ELNS1_11target_archE1030ELNS1_3gpuE2ELNS1_3repE0EEENS1_30default_config_static_selectorELNS0_4arch9wavefront6targetE0EEEvSZ_.kd
    .uniform_work_group_size: 1
    .uses_dynamic_stack: false
    .vgpr_count:     0
    .vgpr_spill_count: 0
    .wavefront_size: 32
    .workgroup_processor_mode: 1
  - .args:
      - .offset:         0
        .size:           152
        .value_kind:     by_value
    .group_segment_fixed_size: 0
    .kernarg_segment_align: 8
    .kernarg_segment_size: 152
    .language:       OpenCL C
    .language_version:
      - 2
      - 0
    .max_flat_workgroup_size: 256
    .name:           _ZN7rocprim17ROCPRIM_400000_NS6detail17trampoline_kernelINS0_13select_configILj256ELj13ELNS0_17block_load_methodE3ELS4_3ELS4_3ELNS0_20block_scan_algorithmE0ELj4294967295EEENS1_25partition_config_selectorILNS1_17partition_subalgoE3EjNS0_10empty_typeEbEEZZNS1_14partition_implILS8_3ELb0ES6_jNS0_17counting_iteratorIjlEEPS9_SE_NS0_5tupleIJPjSE_EEENSF_IJSE_SE_EEES9_SG_JZNS1_25segmented_radix_sort_implINS0_14default_configELb0EPK12hip_bfloat16PSL_PKlPlN2at6native12_GLOBAL__N_18offset_tEEE10hipError_tPvRmT1_PNSt15iterator_traitsISZ_E10value_typeET2_T3_PNS10_IS15_E10value_typeET4_jRbjT5_S1B_jjP12ihipStream_tbEUljE_EEESW_SX_SY_S15_S19_S1B_T6_T7_T9_mT8_S1D_bDpT10_ENKUlT_T0_E_clISt17integral_constantIbLb0EES1P_IbLb1EEEEDaS1L_S1M_EUlS1L_E_NS1_11comp_targetILNS1_3genE0ELNS1_11target_archE4294967295ELNS1_3gpuE0ELNS1_3repE0EEENS1_30default_config_static_selectorELNS0_4arch9wavefront6targetE0EEEvSZ_
    .private_segment_fixed_size: 0
    .sgpr_count:     0
    .sgpr_spill_count: 0
    .symbol:         _ZN7rocprim17ROCPRIM_400000_NS6detail17trampoline_kernelINS0_13select_configILj256ELj13ELNS0_17block_load_methodE3ELS4_3ELS4_3ELNS0_20block_scan_algorithmE0ELj4294967295EEENS1_25partition_config_selectorILNS1_17partition_subalgoE3EjNS0_10empty_typeEbEEZZNS1_14partition_implILS8_3ELb0ES6_jNS0_17counting_iteratorIjlEEPS9_SE_NS0_5tupleIJPjSE_EEENSF_IJSE_SE_EEES9_SG_JZNS1_25segmented_radix_sort_implINS0_14default_configELb0EPK12hip_bfloat16PSL_PKlPlN2at6native12_GLOBAL__N_18offset_tEEE10hipError_tPvRmT1_PNSt15iterator_traitsISZ_E10value_typeET2_T3_PNS10_IS15_E10value_typeET4_jRbjT5_S1B_jjP12ihipStream_tbEUljE_EEESW_SX_SY_S15_S19_S1B_T6_T7_T9_mT8_S1D_bDpT10_ENKUlT_T0_E_clISt17integral_constantIbLb0EES1P_IbLb1EEEEDaS1L_S1M_EUlS1L_E_NS1_11comp_targetILNS1_3genE0ELNS1_11target_archE4294967295ELNS1_3gpuE0ELNS1_3repE0EEENS1_30default_config_static_selectorELNS0_4arch9wavefront6targetE0EEEvSZ_.kd
    .uniform_work_group_size: 1
    .uses_dynamic_stack: false
    .vgpr_count:     0
    .vgpr_spill_count: 0
    .wavefront_size: 32
    .workgroup_processor_mode: 1
  - .args:
      - .offset:         0
        .size:           152
        .value_kind:     by_value
    .group_segment_fixed_size: 0
    .kernarg_segment_align: 8
    .kernarg_segment_size: 152
    .language:       OpenCL C
    .language_version:
      - 2
      - 0
    .max_flat_workgroup_size: 256
    .name:           _ZN7rocprim17ROCPRIM_400000_NS6detail17trampoline_kernelINS0_13select_configILj256ELj13ELNS0_17block_load_methodE3ELS4_3ELS4_3ELNS0_20block_scan_algorithmE0ELj4294967295EEENS1_25partition_config_selectorILNS1_17partition_subalgoE3EjNS0_10empty_typeEbEEZZNS1_14partition_implILS8_3ELb0ES6_jNS0_17counting_iteratorIjlEEPS9_SE_NS0_5tupleIJPjSE_EEENSF_IJSE_SE_EEES9_SG_JZNS1_25segmented_radix_sort_implINS0_14default_configELb0EPK12hip_bfloat16PSL_PKlPlN2at6native12_GLOBAL__N_18offset_tEEE10hipError_tPvRmT1_PNSt15iterator_traitsISZ_E10value_typeET2_T3_PNS10_IS15_E10value_typeET4_jRbjT5_S1B_jjP12ihipStream_tbEUljE_EEESW_SX_SY_S15_S19_S1B_T6_T7_T9_mT8_S1D_bDpT10_ENKUlT_T0_E_clISt17integral_constantIbLb0EES1P_IbLb1EEEEDaS1L_S1M_EUlS1L_E_NS1_11comp_targetILNS1_3genE5ELNS1_11target_archE942ELNS1_3gpuE9ELNS1_3repE0EEENS1_30default_config_static_selectorELNS0_4arch9wavefront6targetE0EEEvSZ_
    .private_segment_fixed_size: 0
    .sgpr_count:     0
    .sgpr_spill_count: 0
    .symbol:         _ZN7rocprim17ROCPRIM_400000_NS6detail17trampoline_kernelINS0_13select_configILj256ELj13ELNS0_17block_load_methodE3ELS4_3ELS4_3ELNS0_20block_scan_algorithmE0ELj4294967295EEENS1_25partition_config_selectorILNS1_17partition_subalgoE3EjNS0_10empty_typeEbEEZZNS1_14partition_implILS8_3ELb0ES6_jNS0_17counting_iteratorIjlEEPS9_SE_NS0_5tupleIJPjSE_EEENSF_IJSE_SE_EEES9_SG_JZNS1_25segmented_radix_sort_implINS0_14default_configELb0EPK12hip_bfloat16PSL_PKlPlN2at6native12_GLOBAL__N_18offset_tEEE10hipError_tPvRmT1_PNSt15iterator_traitsISZ_E10value_typeET2_T3_PNS10_IS15_E10value_typeET4_jRbjT5_S1B_jjP12ihipStream_tbEUljE_EEESW_SX_SY_S15_S19_S1B_T6_T7_T9_mT8_S1D_bDpT10_ENKUlT_T0_E_clISt17integral_constantIbLb0EES1P_IbLb1EEEEDaS1L_S1M_EUlS1L_E_NS1_11comp_targetILNS1_3genE5ELNS1_11target_archE942ELNS1_3gpuE9ELNS1_3repE0EEENS1_30default_config_static_selectorELNS0_4arch9wavefront6targetE0EEEvSZ_.kd
    .uniform_work_group_size: 1
    .uses_dynamic_stack: false
    .vgpr_count:     0
    .vgpr_spill_count: 0
    .wavefront_size: 32
    .workgroup_processor_mode: 1
  - .args:
      - .offset:         0
        .size:           152
        .value_kind:     by_value
    .group_segment_fixed_size: 0
    .kernarg_segment_align: 8
    .kernarg_segment_size: 152
    .language:       OpenCL C
    .language_version:
      - 2
      - 0
    .max_flat_workgroup_size: 256
    .name:           _ZN7rocprim17ROCPRIM_400000_NS6detail17trampoline_kernelINS0_13select_configILj256ELj13ELNS0_17block_load_methodE3ELS4_3ELS4_3ELNS0_20block_scan_algorithmE0ELj4294967295EEENS1_25partition_config_selectorILNS1_17partition_subalgoE3EjNS0_10empty_typeEbEEZZNS1_14partition_implILS8_3ELb0ES6_jNS0_17counting_iteratorIjlEEPS9_SE_NS0_5tupleIJPjSE_EEENSF_IJSE_SE_EEES9_SG_JZNS1_25segmented_radix_sort_implINS0_14default_configELb0EPK12hip_bfloat16PSL_PKlPlN2at6native12_GLOBAL__N_18offset_tEEE10hipError_tPvRmT1_PNSt15iterator_traitsISZ_E10value_typeET2_T3_PNS10_IS15_E10value_typeET4_jRbjT5_S1B_jjP12ihipStream_tbEUljE_EEESW_SX_SY_S15_S19_S1B_T6_T7_T9_mT8_S1D_bDpT10_ENKUlT_T0_E_clISt17integral_constantIbLb0EES1P_IbLb1EEEEDaS1L_S1M_EUlS1L_E_NS1_11comp_targetILNS1_3genE4ELNS1_11target_archE910ELNS1_3gpuE8ELNS1_3repE0EEENS1_30default_config_static_selectorELNS0_4arch9wavefront6targetE0EEEvSZ_
    .private_segment_fixed_size: 0
    .sgpr_count:     0
    .sgpr_spill_count: 0
    .symbol:         _ZN7rocprim17ROCPRIM_400000_NS6detail17trampoline_kernelINS0_13select_configILj256ELj13ELNS0_17block_load_methodE3ELS4_3ELS4_3ELNS0_20block_scan_algorithmE0ELj4294967295EEENS1_25partition_config_selectorILNS1_17partition_subalgoE3EjNS0_10empty_typeEbEEZZNS1_14partition_implILS8_3ELb0ES6_jNS0_17counting_iteratorIjlEEPS9_SE_NS0_5tupleIJPjSE_EEENSF_IJSE_SE_EEES9_SG_JZNS1_25segmented_radix_sort_implINS0_14default_configELb0EPK12hip_bfloat16PSL_PKlPlN2at6native12_GLOBAL__N_18offset_tEEE10hipError_tPvRmT1_PNSt15iterator_traitsISZ_E10value_typeET2_T3_PNS10_IS15_E10value_typeET4_jRbjT5_S1B_jjP12ihipStream_tbEUljE_EEESW_SX_SY_S15_S19_S1B_T6_T7_T9_mT8_S1D_bDpT10_ENKUlT_T0_E_clISt17integral_constantIbLb0EES1P_IbLb1EEEEDaS1L_S1M_EUlS1L_E_NS1_11comp_targetILNS1_3genE4ELNS1_11target_archE910ELNS1_3gpuE8ELNS1_3repE0EEENS1_30default_config_static_selectorELNS0_4arch9wavefront6targetE0EEEvSZ_.kd
    .uniform_work_group_size: 1
    .uses_dynamic_stack: false
    .vgpr_count:     0
    .vgpr_spill_count: 0
    .wavefront_size: 32
    .workgroup_processor_mode: 1
  - .args:
      - .offset:         0
        .size:           152
        .value_kind:     by_value
    .group_segment_fixed_size: 0
    .kernarg_segment_align: 8
    .kernarg_segment_size: 152
    .language:       OpenCL C
    .language_version:
      - 2
      - 0
    .max_flat_workgroup_size: 256
    .name:           _ZN7rocprim17ROCPRIM_400000_NS6detail17trampoline_kernelINS0_13select_configILj256ELj13ELNS0_17block_load_methodE3ELS4_3ELS4_3ELNS0_20block_scan_algorithmE0ELj4294967295EEENS1_25partition_config_selectorILNS1_17partition_subalgoE3EjNS0_10empty_typeEbEEZZNS1_14partition_implILS8_3ELb0ES6_jNS0_17counting_iteratorIjlEEPS9_SE_NS0_5tupleIJPjSE_EEENSF_IJSE_SE_EEES9_SG_JZNS1_25segmented_radix_sort_implINS0_14default_configELb0EPK12hip_bfloat16PSL_PKlPlN2at6native12_GLOBAL__N_18offset_tEEE10hipError_tPvRmT1_PNSt15iterator_traitsISZ_E10value_typeET2_T3_PNS10_IS15_E10value_typeET4_jRbjT5_S1B_jjP12ihipStream_tbEUljE_EEESW_SX_SY_S15_S19_S1B_T6_T7_T9_mT8_S1D_bDpT10_ENKUlT_T0_E_clISt17integral_constantIbLb0EES1P_IbLb1EEEEDaS1L_S1M_EUlS1L_E_NS1_11comp_targetILNS1_3genE3ELNS1_11target_archE908ELNS1_3gpuE7ELNS1_3repE0EEENS1_30default_config_static_selectorELNS0_4arch9wavefront6targetE0EEEvSZ_
    .private_segment_fixed_size: 0
    .sgpr_count:     0
    .sgpr_spill_count: 0
    .symbol:         _ZN7rocprim17ROCPRIM_400000_NS6detail17trampoline_kernelINS0_13select_configILj256ELj13ELNS0_17block_load_methodE3ELS4_3ELS4_3ELNS0_20block_scan_algorithmE0ELj4294967295EEENS1_25partition_config_selectorILNS1_17partition_subalgoE3EjNS0_10empty_typeEbEEZZNS1_14partition_implILS8_3ELb0ES6_jNS0_17counting_iteratorIjlEEPS9_SE_NS0_5tupleIJPjSE_EEENSF_IJSE_SE_EEES9_SG_JZNS1_25segmented_radix_sort_implINS0_14default_configELb0EPK12hip_bfloat16PSL_PKlPlN2at6native12_GLOBAL__N_18offset_tEEE10hipError_tPvRmT1_PNSt15iterator_traitsISZ_E10value_typeET2_T3_PNS10_IS15_E10value_typeET4_jRbjT5_S1B_jjP12ihipStream_tbEUljE_EEESW_SX_SY_S15_S19_S1B_T6_T7_T9_mT8_S1D_bDpT10_ENKUlT_T0_E_clISt17integral_constantIbLb0EES1P_IbLb1EEEEDaS1L_S1M_EUlS1L_E_NS1_11comp_targetILNS1_3genE3ELNS1_11target_archE908ELNS1_3gpuE7ELNS1_3repE0EEENS1_30default_config_static_selectorELNS0_4arch9wavefront6targetE0EEEvSZ_.kd
    .uniform_work_group_size: 1
    .uses_dynamic_stack: false
    .vgpr_count:     0
    .vgpr_spill_count: 0
    .wavefront_size: 32
    .workgroup_processor_mode: 1
  - .args:
      - .offset:         0
        .size:           152
        .value_kind:     by_value
    .group_segment_fixed_size: 0
    .kernarg_segment_align: 8
    .kernarg_segment_size: 152
    .language:       OpenCL C
    .language_version:
      - 2
      - 0
    .max_flat_workgroup_size: 256
    .name:           _ZN7rocprim17ROCPRIM_400000_NS6detail17trampoline_kernelINS0_13select_configILj256ELj13ELNS0_17block_load_methodE3ELS4_3ELS4_3ELNS0_20block_scan_algorithmE0ELj4294967295EEENS1_25partition_config_selectorILNS1_17partition_subalgoE3EjNS0_10empty_typeEbEEZZNS1_14partition_implILS8_3ELb0ES6_jNS0_17counting_iteratorIjlEEPS9_SE_NS0_5tupleIJPjSE_EEENSF_IJSE_SE_EEES9_SG_JZNS1_25segmented_radix_sort_implINS0_14default_configELb0EPK12hip_bfloat16PSL_PKlPlN2at6native12_GLOBAL__N_18offset_tEEE10hipError_tPvRmT1_PNSt15iterator_traitsISZ_E10value_typeET2_T3_PNS10_IS15_E10value_typeET4_jRbjT5_S1B_jjP12ihipStream_tbEUljE_EEESW_SX_SY_S15_S19_S1B_T6_T7_T9_mT8_S1D_bDpT10_ENKUlT_T0_E_clISt17integral_constantIbLb0EES1P_IbLb1EEEEDaS1L_S1M_EUlS1L_E_NS1_11comp_targetILNS1_3genE2ELNS1_11target_archE906ELNS1_3gpuE6ELNS1_3repE0EEENS1_30default_config_static_selectorELNS0_4arch9wavefront6targetE0EEEvSZ_
    .private_segment_fixed_size: 0
    .sgpr_count:     0
    .sgpr_spill_count: 0
    .symbol:         _ZN7rocprim17ROCPRIM_400000_NS6detail17trampoline_kernelINS0_13select_configILj256ELj13ELNS0_17block_load_methodE3ELS4_3ELS4_3ELNS0_20block_scan_algorithmE0ELj4294967295EEENS1_25partition_config_selectorILNS1_17partition_subalgoE3EjNS0_10empty_typeEbEEZZNS1_14partition_implILS8_3ELb0ES6_jNS0_17counting_iteratorIjlEEPS9_SE_NS0_5tupleIJPjSE_EEENSF_IJSE_SE_EEES9_SG_JZNS1_25segmented_radix_sort_implINS0_14default_configELb0EPK12hip_bfloat16PSL_PKlPlN2at6native12_GLOBAL__N_18offset_tEEE10hipError_tPvRmT1_PNSt15iterator_traitsISZ_E10value_typeET2_T3_PNS10_IS15_E10value_typeET4_jRbjT5_S1B_jjP12ihipStream_tbEUljE_EEESW_SX_SY_S15_S19_S1B_T6_T7_T9_mT8_S1D_bDpT10_ENKUlT_T0_E_clISt17integral_constantIbLb0EES1P_IbLb1EEEEDaS1L_S1M_EUlS1L_E_NS1_11comp_targetILNS1_3genE2ELNS1_11target_archE906ELNS1_3gpuE6ELNS1_3repE0EEENS1_30default_config_static_selectorELNS0_4arch9wavefront6targetE0EEEvSZ_.kd
    .uniform_work_group_size: 1
    .uses_dynamic_stack: false
    .vgpr_count:     0
    .vgpr_spill_count: 0
    .wavefront_size: 32
    .workgroup_processor_mode: 1
  - .args:
      - .offset:         0
        .size:           152
        .value_kind:     by_value
    .group_segment_fixed_size: 0
    .kernarg_segment_align: 8
    .kernarg_segment_size: 152
    .language:       OpenCL C
    .language_version:
      - 2
      - 0
    .max_flat_workgroup_size: 256
    .name:           _ZN7rocprim17ROCPRIM_400000_NS6detail17trampoline_kernelINS0_13select_configILj256ELj13ELNS0_17block_load_methodE3ELS4_3ELS4_3ELNS0_20block_scan_algorithmE0ELj4294967295EEENS1_25partition_config_selectorILNS1_17partition_subalgoE3EjNS0_10empty_typeEbEEZZNS1_14partition_implILS8_3ELb0ES6_jNS0_17counting_iteratorIjlEEPS9_SE_NS0_5tupleIJPjSE_EEENSF_IJSE_SE_EEES9_SG_JZNS1_25segmented_radix_sort_implINS0_14default_configELb0EPK12hip_bfloat16PSL_PKlPlN2at6native12_GLOBAL__N_18offset_tEEE10hipError_tPvRmT1_PNSt15iterator_traitsISZ_E10value_typeET2_T3_PNS10_IS15_E10value_typeET4_jRbjT5_S1B_jjP12ihipStream_tbEUljE_EEESW_SX_SY_S15_S19_S1B_T6_T7_T9_mT8_S1D_bDpT10_ENKUlT_T0_E_clISt17integral_constantIbLb0EES1P_IbLb1EEEEDaS1L_S1M_EUlS1L_E_NS1_11comp_targetILNS1_3genE10ELNS1_11target_archE1200ELNS1_3gpuE4ELNS1_3repE0EEENS1_30default_config_static_selectorELNS0_4arch9wavefront6targetE0EEEvSZ_
    .private_segment_fixed_size: 0
    .sgpr_count:     0
    .sgpr_spill_count: 0
    .symbol:         _ZN7rocprim17ROCPRIM_400000_NS6detail17trampoline_kernelINS0_13select_configILj256ELj13ELNS0_17block_load_methodE3ELS4_3ELS4_3ELNS0_20block_scan_algorithmE0ELj4294967295EEENS1_25partition_config_selectorILNS1_17partition_subalgoE3EjNS0_10empty_typeEbEEZZNS1_14partition_implILS8_3ELb0ES6_jNS0_17counting_iteratorIjlEEPS9_SE_NS0_5tupleIJPjSE_EEENSF_IJSE_SE_EEES9_SG_JZNS1_25segmented_radix_sort_implINS0_14default_configELb0EPK12hip_bfloat16PSL_PKlPlN2at6native12_GLOBAL__N_18offset_tEEE10hipError_tPvRmT1_PNSt15iterator_traitsISZ_E10value_typeET2_T3_PNS10_IS15_E10value_typeET4_jRbjT5_S1B_jjP12ihipStream_tbEUljE_EEESW_SX_SY_S15_S19_S1B_T6_T7_T9_mT8_S1D_bDpT10_ENKUlT_T0_E_clISt17integral_constantIbLb0EES1P_IbLb1EEEEDaS1L_S1M_EUlS1L_E_NS1_11comp_targetILNS1_3genE10ELNS1_11target_archE1200ELNS1_3gpuE4ELNS1_3repE0EEENS1_30default_config_static_selectorELNS0_4arch9wavefront6targetE0EEEvSZ_.kd
    .uniform_work_group_size: 1
    .uses_dynamic_stack: false
    .vgpr_count:     0
    .vgpr_spill_count: 0
    .wavefront_size: 32
    .workgroup_processor_mode: 1
  - .args:
      - .offset:         0
        .size:           152
        .value_kind:     by_value
    .group_segment_fixed_size: 0
    .kernarg_segment_align: 8
    .kernarg_segment_size: 152
    .language:       OpenCL C
    .language_version:
      - 2
      - 0
    .max_flat_workgroup_size: 256
    .name:           _ZN7rocprim17ROCPRIM_400000_NS6detail17trampoline_kernelINS0_13select_configILj256ELj13ELNS0_17block_load_methodE3ELS4_3ELS4_3ELNS0_20block_scan_algorithmE0ELj4294967295EEENS1_25partition_config_selectorILNS1_17partition_subalgoE3EjNS0_10empty_typeEbEEZZNS1_14partition_implILS8_3ELb0ES6_jNS0_17counting_iteratorIjlEEPS9_SE_NS0_5tupleIJPjSE_EEENSF_IJSE_SE_EEES9_SG_JZNS1_25segmented_radix_sort_implINS0_14default_configELb0EPK12hip_bfloat16PSL_PKlPlN2at6native12_GLOBAL__N_18offset_tEEE10hipError_tPvRmT1_PNSt15iterator_traitsISZ_E10value_typeET2_T3_PNS10_IS15_E10value_typeET4_jRbjT5_S1B_jjP12ihipStream_tbEUljE_EEESW_SX_SY_S15_S19_S1B_T6_T7_T9_mT8_S1D_bDpT10_ENKUlT_T0_E_clISt17integral_constantIbLb0EES1P_IbLb1EEEEDaS1L_S1M_EUlS1L_E_NS1_11comp_targetILNS1_3genE9ELNS1_11target_archE1100ELNS1_3gpuE3ELNS1_3repE0EEENS1_30default_config_static_selectorELNS0_4arch9wavefront6targetE0EEEvSZ_
    .private_segment_fixed_size: 0
    .sgpr_count:     0
    .sgpr_spill_count: 0
    .symbol:         _ZN7rocprim17ROCPRIM_400000_NS6detail17trampoline_kernelINS0_13select_configILj256ELj13ELNS0_17block_load_methodE3ELS4_3ELS4_3ELNS0_20block_scan_algorithmE0ELj4294967295EEENS1_25partition_config_selectorILNS1_17partition_subalgoE3EjNS0_10empty_typeEbEEZZNS1_14partition_implILS8_3ELb0ES6_jNS0_17counting_iteratorIjlEEPS9_SE_NS0_5tupleIJPjSE_EEENSF_IJSE_SE_EEES9_SG_JZNS1_25segmented_radix_sort_implINS0_14default_configELb0EPK12hip_bfloat16PSL_PKlPlN2at6native12_GLOBAL__N_18offset_tEEE10hipError_tPvRmT1_PNSt15iterator_traitsISZ_E10value_typeET2_T3_PNS10_IS15_E10value_typeET4_jRbjT5_S1B_jjP12ihipStream_tbEUljE_EEESW_SX_SY_S15_S19_S1B_T6_T7_T9_mT8_S1D_bDpT10_ENKUlT_T0_E_clISt17integral_constantIbLb0EES1P_IbLb1EEEEDaS1L_S1M_EUlS1L_E_NS1_11comp_targetILNS1_3genE9ELNS1_11target_archE1100ELNS1_3gpuE3ELNS1_3repE0EEENS1_30default_config_static_selectorELNS0_4arch9wavefront6targetE0EEEvSZ_.kd
    .uniform_work_group_size: 1
    .uses_dynamic_stack: false
    .vgpr_count:     0
    .vgpr_spill_count: 0
    .wavefront_size: 32
    .workgroup_processor_mode: 1
  - .args:
      - .offset:         0
        .size:           152
        .value_kind:     by_value
    .group_segment_fixed_size: 13320
    .kernarg_segment_align: 8
    .kernarg_segment_size: 152
    .language:       OpenCL C
    .language_version:
      - 2
      - 0
    .max_flat_workgroup_size: 256
    .name:           _ZN7rocprim17ROCPRIM_400000_NS6detail17trampoline_kernelINS0_13select_configILj256ELj13ELNS0_17block_load_methodE3ELS4_3ELS4_3ELNS0_20block_scan_algorithmE0ELj4294967295EEENS1_25partition_config_selectorILNS1_17partition_subalgoE3EjNS0_10empty_typeEbEEZZNS1_14partition_implILS8_3ELb0ES6_jNS0_17counting_iteratorIjlEEPS9_SE_NS0_5tupleIJPjSE_EEENSF_IJSE_SE_EEES9_SG_JZNS1_25segmented_radix_sort_implINS0_14default_configELb0EPK12hip_bfloat16PSL_PKlPlN2at6native12_GLOBAL__N_18offset_tEEE10hipError_tPvRmT1_PNSt15iterator_traitsISZ_E10value_typeET2_T3_PNS10_IS15_E10value_typeET4_jRbjT5_S1B_jjP12ihipStream_tbEUljE_EEESW_SX_SY_S15_S19_S1B_T6_T7_T9_mT8_S1D_bDpT10_ENKUlT_T0_E_clISt17integral_constantIbLb0EES1P_IbLb1EEEEDaS1L_S1M_EUlS1L_E_NS1_11comp_targetILNS1_3genE8ELNS1_11target_archE1030ELNS1_3gpuE2ELNS1_3repE0EEENS1_30default_config_static_selectorELNS0_4arch9wavefront6targetE0EEEvSZ_
    .private_segment_fixed_size: 0
    .sgpr_count:     28
    .sgpr_spill_count: 0
    .symbol:         _ZN7rocprim17ROCPRIM_400000_NS6detail17trampoline_kernelINS0_13select_configILj256ELj13ELNS0_17block_load_methodE3ELS4_3ELS4_3ELNS0_20block_scan_algorithmE0ELj4294967295EEENS1_25partition_config_selectorILNS1_17partition_subalgoE3EjNS0_10empty_typeEbEEZZNS1_14partition_implILS8_3ELb0ES6_jNS0_17counting_iteratorIjlEEPS9_SE_NS0_5tupleIJPjSE_EEENSF_IJSE_SE_EEES9_SG_JZNS1_25segmented_radix_sort_implINS0_14default_configELb0EPK12hip_bfloat16PSL_PKlPlN2at6native12_GLOBAL__N_18offset_tEEE10hipError_tPvRmT1_PNSt15iterator_traitsISZ_E10value_typeET2_T3_PNS10_IS15_E10value_typeET4_jRbjT5_S1B_jjP12ihipStream_tbEUljE_EEESW_SX_SY_S15_S19_S1B_T6_T7_T9_mT8_S1D_bDpT10_ENKUlT_T0_E_clISt17integral_constantIbLb0EES1P_IbLb1EEEEDaS1L_S1M_EUlS1L_E_NS1_11comp_targetILNS1_3genE8ELNS1_11target_archE1030ELNS1_3gpuE2ELNS1_3repE0EEENS1_30default_config_static_selectorELNS0_4arch9wavefront6targetE0EEEvSZ_.kd
    .uniform_work_group_size: 1
    .uses_dynamic_stack: false
    .vgpr_count:     71
    .vgpr_spill_count: 0
    .wavefront_size: 32
    .workgroup_processor_mode: 1
  - .args:
      - .offset:         0
        .size:           96
        .value_kind:     by_value
    .group_segment_fixed_size: 0
    .kernarg_segment_align: 8
    .kernarg_segment_size: 96
    .language:       OpenCL C
    .language_version:
      - 2
      - 0
    .max_flat_workgroup_size: 256
    .name:           _ZN7rocprim17ROCPRIM_400000_NS6detail17trampoline_kernelINS0_14default_configENS1_36segmented_radix_sort_config_selectorI12hip_bfloat16lEEZNS1_25segmented_radix_sort_implIS3_Lb0EPKS5_PS5_PKlPlN2at6native12_GLOBAL__N_18offset_tEEE10hipError_tPvRmT1_PNSt15iterator_traitsISL_E10value_typeET2_T3_PNSM_ISR_E10value_typeET4_jRbjT5_SX_jjP12ihipStream_tbEUlT_E_NS1_11comp_targetILNS1_3genE0ELNS1_11target_archE4294967295ELNS1_3gpuE0ELNS1_3repE0EEENS1_30default_config_static_selectorELNS0_4arch9wavefront6targetE0EEEvSL_
    .private_segment_fixed_size: 0
    .sgpr_count:     0
    .sgpr_spill_count: 0
    .symbol:         _ZN7rocprim17ROCPRIM_400000_NS6detail17trampoline_kernelINS0_14default_configENS1_36segmented_radix_sort_config_selectorI12hip_bfloat16lEEZNS1_25segmented_radix_sort_implIS3_Lb0EPKS5_PS5_PKlPlN2at6native12_GLOBAL__N_18offset_tEEE10hipError_tPvRmT1_PNSt15iterator_traitsISL_E10value_typeET2_T3_PNSM_ISR_E10value_typeET4_jRbjT5_SX_jjP12ihipStream_tbEUlT_E_NS1_11comp_targetILNS1_3genE0ELNS1_11target_archE4294967295ELNS1_3gpuE0ELNS1_3repE0EEENS1_30default_config_static_selectorELNS0_4arch9wavefront6targetE0EEEvSL_.kd
    .uniform_work_group_size: 1
    .uses_dynamic_stack: false
    .vgpr_count:     0
    .vgpr_spill_count: 0
    .wavefront_size: 32
    .workgroup_processor_mode: 1
  - .args:
      - .offset:         0
        .size:           96
        .value_kind:     by_value
    .group_segment_fixed_size: 0
    .kernarg_segment_align: 8
    .kernarg_segment_size: 96
    .language:       OpenCL C
    .language_version:
      - 2
      - 0
    .max_flat_workgroup_size: 256
    .name:           _ZN7rocprim17ROCPRIM_400000_NS6detail17trampoline_kernelINS0_14default_configENS1_36segmented_radix_sort_config_selectorI12hip_bfloat16lEEZNS1_25segmented_radix_sort_implIS3_Lb0EPKS5_PS5_PKlPlN2at6native12_GLOBAL__N_18offset_tEEE10hipError_tPvRmT1_PNSt15iterator_traitsISL_E10value_typeET2_T3_PNSM_ISR_E10value_typeET4_jRbjT5_SX_jjP12ihipStream_tbEUlT_E_NS1_11comp_targetILNS1_3genE5ELNS1_11target_archE942ELNS1_3gpuE9ELNS1_3repE0EEENS1_30default_config_static_selectorELNS0_4arch9wavefront6targetE0EEEvSL_
    .private_segment_fixed_size: 0
    .sgpr_count:     0
    .sgpr_spill_count: 0
    .symbol:         _ZN7rocprim17ROCPRIM_400000_NS6detail17trampoline_kernelINS0_14default_configENS1_36segmented_radix_sort_config_selectorI12hip_bfloat16lEEZNS1_25segmented_radix_sort_implIS3_Lb0EPKS5_PS5_PKlPlN2at6native12_GLOBAL__N_18offset_tEEE10hipError_tPvRmT1_PNSt15iterator_traitsISL_E10value_typeET2_T3_PNSM_ISR_E10value_typeET4_jRbjT5_SX_jjP12ihipStream_tbEUlT_E_NS1_11comp_targetILNS1_3genE5ELNS1_11target_archE942ELNS1_3gpuE9ELNS1_3repE0EEENS1_30default_config_static_selectorELNS0_4arch9wavefront6targetE0EEEvSL_.kd
    .uniform_work_group_size: 1
    .uses_dynamic_stack: false
    .vgpr_count:     0
    .vgpr_spill_count: 0
    .wavefront_size: 32
    .workgroup_processor_mode: 1
  - .args:
      - .offset:         0
        .size:           96
        .value_kind:     by_value
    .group_segment_fixed_size: 0
    .kernarg_segment_align: 8
    .kernarg_segment_size: 96
    .language:       OpenCL C
    .language_version:
      - 2
      - 0
    .max_flat_workgroup_size: 256
    .name:           _ZN7rocprim17ROCPRIM_400000_NS6detail17trampoline_kernelINS0_14default_configENS1_36segmented_radix_sort_config_selectorI12hip_bfloat16lEEZNS1_25segmented_radix_sort_implIS3_Lb0EPKS5_PS5_PKlPlN2at6native12_GLOBAL__N_18offset_tEEE10hipError_tPvRmT1_PNSt15iterator_traitsISL_E10value_typeET2_T3_PNSM_ISR_E10value_typeET4_jRbjT5_SX_jjP12ihipStream_tbEUlT_E_NS1_11comp_targetILNS1_3genE4ELNS1_11target_archE910ELNS1_3gpuE8ELNS1_3repE0EEENS1_30default_config_static_selectorELNS0_4arch9wavefront6targetE0EEEvSL_
    .private_segment_fixed_size: 0
    .sgpr_count:     0
    .sgpr_spill_count: 0
    .symbol:         _ZN7rocprim17ROCPRIM_400000_NS6detail17trampoline_kernelINS0_14default_configENS1_36segmented_radix_sort_config_selectorI12hip_bfloat16lEEZNS1_25segmented_radix_sort_implIS3_Lb0EPKS5_PS5_PKlPlN2at6native12_GLOBAL__N_18offset_tEEE10hipError_tPvRmT1_PNSt15iterator_traitsISL_E10value_typeET2_T3_PNSM_ISR_E10value_typeET4_jRbjT5_SX_jjP12ihipStream_tbEUlT_E_NS1_11comp_targetILNS1_3genE4ELNS1_11target_archE910ELNS1_3gpuE8ELNS1_3repE0EEENS1_30default_config_static_selectorELNS0_4arch9wavefront6targetE0EEEvSL_.kd
    .uniform_work_group_size: 1
    .uses_dynamic_stack: false
    .vgpr_count:     0
    .vgpr_spill_count: 0
    .wavefront_size: 32
    .workgroup_processor_mode: 1
  - .args:
      - .offset:         0
        .size:           96
        .value_kind:     by_value
    .group_segment_fixed_size: 0
    .kernarg_segment_align: 8
    .kernarg_segment_size: 96
    .language:       OpenCL C
    .language_version:
      - 2
      - 0
    .max_flat_workgroup_size: 256
    .name:           _ZN7rocprim17ROCPRIM_400000_NS6detail17trampoline_kernelINS0_14default_configENS1_36segmented_radix_sort_config_selectorI12hip_bfloat16lEEZNS1_25segmented_radix_sort_implIS3_Lb0EPKS5_PS5_PKlPlN2at6native12_GLOBAL__N_18offset_tEEE10hipError_tPvRmT1_PNSt15iterator_traitsISL_E10value_typeET2_T3_PNSM_ISR_E10value_typeET4_jRbjT5_SX_jjP12ihipStream_tbEUlT_E_NS1_11comp_targetILNS1_3genE3ELNS1_11target_archE908ELNS1_3gpuE7ELNS1_3repE0EEENS1_30default_config_static_selectorELNS0_4arch9wavefront6targetE0EEEvSL_
    .private_segment_fixed_size: 0
    .sgpr_count:     0
    .sgpr_spill_count: 0
    .symbol:         _ZN7rocprim17ROCPRIM_400000_NS6detail17trampoline_kernelINS0_14default_configENS1_36segmented_radix_sort_config_selectorI12hip_bfloat16lEEZNS1_25segmented_radix_sort_implIS3_Lb0EPKS5_PS5_PKlPlN2at6native12_GLOBAL__N_18offset_tEEE10hipError_tPvRmT1_PNSt15iterator_traitsISL_E10value_typeET2_T3_PNSM_ISR_E10value_typeET4_jRbjT5_SX_jjP12ihipStream_tbEUlT_E_NS1_11comp_targetILNS1_3genE3ELNS1_11target_archE908ELNS1_3gpuE7ELNS1_3repE0EEENS1_30default_config_static_selectorELNS0_4arch9wavefront6targetE0EEEvSL_.kd
    .uniform_work_group_size: 1
    .uses_dynamic_stack: false
    .vgpr_count:     0
    .vgpr_spill_count: 0
    .wavefront_size: 32
    .workgroup_processor_mode: 1
  - .args:
      - .offset:         0
        .size:           96
        .value_kind:     by_value
    .group_segment_fixed_size: 0
    .kernarg_segment_align: 8
    .kernarg_segment_size: 96
    .language:       OpenCL C
    .language_version:
      - 2
      - 0
    .max_flat_workgroup_size: 256
    .name:           _ZN7rocprim17ROCPRIM_400000_NS6detail17trampoline_kernelINS0_14default_configENS1_36segmented_radix_sort_config_selectorI12hip_bfloat16lEEZNS1_25segmented_radix_sort_implIS3_Lb0EPKS5_PS5_PKlPlN2at6native12_GLOBAL__N_18offset_tEEE10hipError_tPvRmT1_PNSt15iterator_traitsISL_E10value_typeET2_T3_PNSM_ISR_E10value_typeET4_jRbjT5_SX_jjP12ihipStream_tbEUlT_E_NS1_11comp_targetILNS1_3genE2ELNS1_11target_archE906ELNS1_3gpuE6ELNS1_3repE0EEENS1_30default_config_static_selectorELNS0_4arch9wavefront6targetE0EEEvSL_
    .private_segment_fixed_size: 0
    .sgpr_count:     0
    .sgpr_spill_count: 0
    .symbol:         _ZN7rocprim17ROCPRIM_400000_NS6detail17trampoline_kernelINS0_14default_configENS1_36segmented_radix_sort_config_selectorI12hip_bfloat16lEEZNS1_25segmented_radix_sort_implIS3_Lb0EPKS5_PS5_PKlPlN2at6native12_GLOBAL__N_18offset_tEEE10hipError_tPvRmT1_PNSt15iterator_traitsISL_E10value_typeET2_T3_PNSM_ISR_E10value_typeET4_jRbjT5_SX_jjP12ihipStream_tbEUlT_E_NS1_11comp_targetILNS1_3genE2ELNS1_11target_archE906ELNS1_3gpuE6ELNS1_3repE0EEENS1_30default_config_static_selectorELNS0_4arch9wavefront6targetE0EEEvSL_.kd
    .uniform_work_group_size: 1
    .uses_dynamic_stack: false
    .vgpr_count:     0
    .vgpr_spill_count: 0
    .wavefront_size: 32
    .workgroup_processor_mode: 1
  - .args:
      - .offset:         0
        .size:           96
        .value_kind:     by_value
    .group_segment_fixed_size: 0
    .kernarg_segment_align: 8
    .kernarg_segment_size: 96
    .language:       OpenCL C
    .language_version:
      - 2
      - 0
    .max_flat_workgroup_size: 256
    .name:           _ZN7rocprim17ROCPRIM_400000_NS6detail17trampoline_kernelINS0_14default_configENS1_36segmented_radix_sort_config_selectorI12hip_bfloat16lEEZNS1_25segmented_radix_sort_implIS3_Lb0EPKS5_PS5_PKlPlN2at6native12_GLOBAL__N_18offset_tEEE10hipError_tPvRmT1_PNSt15iterator_traitsISL_E10value_typeET2_T3_PNSM_ISR_E10value_typeET4_jRbjT5_SX_jjP12ihipStream_tbEUlT_E_NS1_11comp_targetILNS1_3genE10ELNS1_11target_archE1201ELNS1_3gpuE5ELNS1_3repE0EEENS1_30default_config_static_selectorELNS0_4arch9wavefront6targetE0EEEvSL_
    .private_segment_fixed_size: 0
    .sgpr_count:     0
    .sgpr_spill_count: 0
    .symbol:         _ZN7rocprim17ROCPRIM_400000_NS6detail17trampoline_kernelINS0_14default_configENS1_36segmented_radix_sort_config_selectorI12hip_bfloat16lEEZNS1_25segmented_radix_sort_implIS3_Lb0EPKS5_PS5_PKlPlN2at6native12_GLOBAL__N_18offset_tEEE10hipError_tPvRmT1_PNSt15iterator_traitsISL_E10value_typeET2_T3_PNSM_ISR_E10value_typeET4_jRbjT5_SX_jjP12ihipStream_tbEUlT_E_NS1_11comp_targetILNS1_3genE10ELNS1_11target_archE1201ELNS1_3gpuE5ELNS1_3repE0EEENS1_30default_config_static_selectorELNS0_4arch9wavefront6targetE0EEEvSL_.kd
    .uniform_work_group_size: 1
    .uses_dynamic_stack: false
    .vgpr_count:     0
    .vgpr_spill_count: 0
    .wavefront_size: 32
    .workgroup_processor_mode: 1
  - .args:
      - .offset:         0
        .size:           96
        .value_kind:     by_value
    .group_segment_fixed_size: 0
    .kernarg_segment_align: 8
    .kernarg_segment_size: 96
    .language:       OpenCL C
    .language_version:
      - 2
      - 0
    .max_flat_workgroup_size: 128
    .name:           _ZN7rocprim17ROCPRIM_400000_NS6detail17trampoline_kernelINS0_14default_configENS1_36segmented_radix_sort_config_selectorI12hip_bfloat16lEEZNS1_25segmented_radix_sort_implIS3_Lb0EPKS5_PS5_PKlPlN2at6native12_GLOBAL__N_18offset_tEEE10hipError_tPvRmT1_PNSt15iterator_traitsISL_E10value_typeET2_T3_PNSM_ISR_E10value_typeET4_jRbjT5_SX_jjP12ihipStream_tbEUlT_E_NS1_11comp_targetILNS1_3genE10ELNS1_11target_archE1200ELNS1_3gpuE4ELNS1_3repE0EEENS1_30default_config_static_selectorELNS0_4arch9wavefront6targetE0EEEvSL_
    .private_segment_fixed_size: 0
    .sgpr_count:     0
    .sgpr_spill_count: 0
    .symbol:         _ZN7rocprim17ROCPRIM_400000_NS6detail17trampoline_kernelINS0_14default_configENS1_36segmented_radix_sort_config_selectorI12hip_bfloat16lEEZNS1_25segmented_radix_sort_implIS3_Lb0EPKS5_PS5_PKlPlN2at6native12_GLOBAL__N_18offset_tEEE10hipError_tPvRmT1_PNSt15iterator_traitsISL_E10value_typeET2_T3_PNSM_ISR_E10value_typeET4_jRbjT5_SX_jjP12ihipStream_tbEUlT_E_NS1_11comp_targetILNS1_3genE10ELNS1_11target_archE1200ELNS1_3gpuE4ELNS1_3repE0EEENS1_30default_config_static_selectorELNS0_4arch9wavefront6targetE0EEEvSL_.kd
    .uniform_work_group_size: 1
    .uses_dynamic_stack: false
    .vgpr_count:     0
    .vgpr_spill_count: 0
    .wavefront_size: 32
    .workgroup_processor_mode: 1
  - .args:
      - .offset:         0
        .size:           96
        .value_kind:     by_value
    .group_segment_fixed_size: 0
    .kernarg_segment_align: 8
    .kernarg_segment_size: 96
    .language:       OpenCL C
    .language_version:
      - 2
      - 0
    .max_flat_workgroup_size: 256
    .name:           _ZN7rocprim17ROCPRIM_400000_NS6detail17trampoline_kernelINS0_14default_configENS1_36segmented_radix_sort_config_selectorI12hip_bfloat16lEEZNS1_25segmented_radix_sort_implIS3_Lb0EPKS5_PS5_PKlPlN2at6native12_GLOBAL__N_18offset_tEEE10hipError_tPvRmT1_PNSt15iterator_traitsISL_E10value_typeET2_T3_PNSM_ISR_E10value_typeET4_jRbjT5_SX_jjP12ihipStream_tbEUlT_E_NS1_11comp_targetILNS1_3genE9ELNS1_11target_archE1100ELNS1_3gpuE3ELNS1_3repE0EEENS1_30default_config_static_selectorELNS0_4arch9wavefront6targetE0EEEvSL_
    .private_segment_fixed_size: 0
    .sgpr_count:     0
    .sgpr_spill_count: 0
    .symbol:         _ZN7rocprim17ROCPRIM_400000_NS6detail17trampoline_kernelINS0_14default_configENS1_36segmented_radix_sort_config_selectorI12hip_bfloat16lEEZNS1_25segmented_radix_sort_implIS3_Lb0EPKS5_PS5_PKlPlN2at6native12_GLOBAL__N_18offset_tEEE10hipError_tPvRmT1_PNSt15iterator_traitsISL_E10value_typeET2_T3_PNSM_ISR_E10value_typeET4_jRbjT5_SX_jjP12ihipStream_tbEUlT_E_NS1_11comp_targetILNS1_3genE9ELNS1_11target_archE1100ELNS1_3gpuE3ELNS1_3repE0EEENS1_30default_config_static_selectorELNS0_4arch9wavefront6targetE0EEEvSL_.kd
    .uniform_work_group_size: 1
    .uses_dynamic_stack: false
    .vgpr_count:     0
    .vgpr_spill_count: 0
    .wavefront_size: 32
    .workgroup_processor_mode: 1
  - .args:
      - .offset:         0
        .size:           96
        .value_kind:     by_value
      - .offset:         96
        .size:           4
        .value_kind:     hidden_block_count_x
      - .offset:         100
        .size:           4
        .value_kind:     hidden_block_count_y
      - .offset:         104
        .size:           4
        .value_kind:     hidden_block_count_z
      - .offset:         108
        .size:           2
        .value_kind:     hidden_group_size_x
      - .offset:         110
        .size:           2
        .value_kind:     hidden_group_size_y
      - .offset:         112
        .size:           2
        .value_kind:     hidden_group_size_z
      - .offset:         114
        .size:           2
        .value_kind:     hidden_remainder_x
      - .offset:         116
        .size:           2
        .value_kind:     hidden_remainder_y
      - .offset:         118
        .size:           2
        .value_kind:     hidden_remainder_z
      - .offset:         136
        .size:           8
        .value_kind:     hidden_global_offset_x
      - .offset:         144
        .size:           8
        .value_kind:     hidden_global_offset_y
      - .offset:         152
        .size:           8
        .value_kind:     hidden_global_offset_z
      - .offset:         160
        .size:           2
        .value_kind:     hidden_grid_dims
    .group_segment_fixed_size: 17440
    .kernarg_segment_align: 8
    .kernarg_segment_size: 352
    .language:       OpenCL C
    .language_version:
      - 2
      - 0
    .max_flat_workgroup_size: 256
    .name:           _ZN7rocprim17ROCPRIM_400000_NS6detail17trampoline_kernelINS0_14default_configENS1_36segmented_radix_sort_config_selectorI12hip_bfloat16lEEZNS1_25segmented_radix_sort_implIS3_Lb0EPKS5_PS5_PKlPlN2at6native12_GLOBAL__N_18offset_tEEE10hipError_tPvRmT1_PNSt15iterator_traitsISL_E10value_typeET2_T3_PNSM_ISR_E10value_typeET4_jRbjT5_SX_jjP12ihipStream_tbEUlT_E_NS1_11comp_targetILNS1_3genE8ELNS1_11target_archE1030ELNS1_3gpuE2ELNS1_3repE0EEENS1_30default_config_static_selectorELNS0_4arch9wavefront6targetE0EEEvSL_
    .private_segment_fixed_size: 0
    .sgpr_count:     58
    .sgpr_spill_count: 0
    .symbol:         _ZN7rocprim17ROCPRIM_400000_NS6detail17trampoline_kernelINS0_14default_configENS1_36segmented_radix_sort_config_selectorI12hip_bfloat16lEEZNS1_25segmented_radix_sort_implIS3_Lb0EPKS5_PS5_PKlPlN2at6native12_GLOBAL__N_18offset_tEEE10hipError_tPvRmT1_PNSt15iterator_traitsISL_E10value_typeET2_T3_PNSM_ISR_E10value_typeET4_jRbjT5_SX_jjP12ihipStream_tbEUlT_E_NS1_11comp_targetILNS1_3genE8ELNS1_11target_archE1030ELNS1_3gpuE2ELNS1_3repE0EEENS1_30default_config_static_selectorELNS0_4arch9wavefront6targetE0EEEvSL_.kd
    .uniform_work_group_size: 1
    .uses_dynamic_stack: false
    .vgpr_count:     184
    .vgpr_spill_count: 0
    .wavefront_size: 32
    .workgroup_processor_mode: 1
  - .args:
      - .offset:         0
        .size:           88
        .value_kind:     by_value
    .group_segment_fixed_size: 0
    .kernarg_segment_align: 8
    .kernarg_segment_size: 88
    .language:       OpenCL C
    .language_version:
      - 2
      - 0
    .max_flat_workgroup_size: 256
    .name:           _ZN7rocprim17ROCPRIM_400000_NS6detail17trampoline_kernelINS0_14default_configENS1_36segmented_radix_sort_config_selectorI12hip_bfloat16lEEZNS1_25segmented_radix_sort_implIS3_Lb0EPKS5_PS5_PKlPlN2at6native12_GLOBAL__N_18offset_tEEE10hipError_tPvRmT1_PNSt15iterator_traitsISL_E10value_typeET2_T3_PNSM_ISR_E10value_typeET4_jRbjT5_SX_jjP12ihipStream_tbEUlT_E0_NS1_11comp_targetILNS1_3genE0ELNS1_11target_archE4294967295ELNS1_3gpuE0ELNS1_3repE0EEENS1_60segmented_radix_sort_warp_sort_medium_config_static_selectorELNS0_4arch9wavefront6targetE0EEEvSL_
    .private_segment_fixed_size: 0
    .sgpr_count:     0
    .sgpr_spill_count: 0
    .symbol:         _ZN7rocprim17ROCPRIM_400000_NS6detail17trampoline_kernelINS0_14default_configENS1_36segmented_radix_sort_config_selectorI12hip_bfloat16lEEZNS1_25segmented_radix_sort_implIS3_Lb0EPKS5_PS5_PKlPlN2at6native12_GLOBAL__N_18offset_tEEE10hipError_tPvRmT1_PNSt15iterator_traitsISL_E10value_typeET2_T3_PNSM_ISR_E10value_typeET4_jRbjT5_SX_jjP12ihipStream_tbEUlT_E0_NS1_11comp_targetILNS1_3genE0ELNS1_11target_archE4294967295ELNS1_3gpuE0ELNS1_3repE0EEENS1_60segmented_radix_sort_warp_sort_medium_config_static_selectorELNS0_4arch9wavefront6targetE0EEEvSL_.kd
    .uniform_work_group_size: 1
    .uses_dynamic_stack: false
    .vgpr_count:     0
    .vgpr_spill_count: 0
    .wavefront_size: 32
    .workgroup_processor_mode: 1
  - .args:
      - .offset:         0
        .size:           88
        .value_kind:     by_value
    .group_segment_fixed_size: 0
    .kernarg_segment_align: 8
    .kernarg_segment_size: 88
    .language:       OpenCL C
    .language_version:
      - 2
      - 0
    .max_flat_workgroup_size: 256
    .name:           _ZN7rocprim17ROCPRIM_400000_NS6detail17trampoline_kernelINS0_14default_configENS1_36segmented_radix_sort_config_selectorI12hip_bfloat16lEEZNS1_25segmented_radix_sort_implIS3_Lb0EPKS5_PS5_PKlPlN2at6native12_GLOBAL__N_18offset_tEEE10hipError_tPvRmT1_PNSt15iterator_traitsISL_E10value_typeET2_T3_PNSM_ISR_E10value_typeET4_jRbjT5_SX_jjP12ihipStream_tbEUlT_E0_NS1_11comp_targetILNS1_3genE5ELNS1_11target_archE942ELNS1_3gpuE9ELNS1_3repE0EEENS1_60segmented_radix_sort_warp_sort_medium_config_static_selectorELNS0_4arch9wavefront6targetE0EEEvSL_
    .private_segment_fixed_size: 0
    .sgpr_count:     0
    .sgpr_spill_count: 0
    .symbol:         _ZN7rocprim17ROCPRIM_400000_NS6detail17trampoline_kernelINS0_14default_configENS1_36segmented_radix_sort_config_selectorI12hip_bfloat16lEEZNS1_25segmented_radix_sort_implIS3_Lb0EPKS5_PS5_PKlPlN2at6native12_GLOBAL__N_18offset_tEEE10hipError_tPvRmT1_PNSt15iterator_traitsISL_E10value_typeET2_T3_PNSM_ISR_E10value_typeET4_jRbjT5_SX_jjP12ihipStream_tbEUlT_E0_NS1_11comp_targetILNS1_3genE5ELNS1_11target_archE942ELNS1_3gpuE9ELNS1_3repE0EEENS1_60segmented_radix_sort_warp_sort_medium_config_static_selectorELNS0_4arch9wavefront6targetE0EEEvSL_.kd
    .uniform_work_group_size: 1
    .uses_dynamic_stack: false
    .vgpr_count:     0
    .vgpr_spill_count: 0
    .wavefront_size: 32
    .workgroup_processor_mode: 1
  - .args:
      - .offset:         0
        .size:           88
        .value_kind:     by_value
    .group_segment_fixed_size: 0
    .kernarg_segment_align: 8
    .kernarg_segment_size: 88
    .language:       OpenCL C
    .language_version:
      - 2
      - 0
    .max_flat_workgroup_size: 256
    .name:           _ZN7rocprim17ROCPRIM_400000_NS6detail17trampoline_kernelINS0_14default_configENS1_36segmented_radix_sort_config_selectorI12hip_bfloat16lEEZNS1_25segmented_radix_sort_implIS3_Lb0EPKS5_PS5_PKlPlN2at6native12_GLOBAL__N_18offset_tEEE10hipError_tPvRmT1_PNSt15iterator_traitsISL_E10value_typeET2_T3_PNSM_ISR_E10value_typeET4_jRbjT5_SX_jjP12ihipStream_tbEUlT_E0_NS1_11comp_targetILNS1_3genE4ELNS1_11target_archE910ELNS1_3gpuE8ELNS1_3repE0EEENS1_60segmented_radix_sort_warp_sort_medium_config_static_selectorELNS0_4arch9wavefront6targetE0EEEvSL_
    .private_segment_fixed_size: 0
    .sgpr_count:     0
    .sgpr_spill_count: 0
    .symbol:         _ZN7rocprim17ROCPRIM_400000_NS6detail17trampoline_kernelINS0_14default_configENS1_36segmented_radix_sort_config_selectorI12hip_bfloat16lEEZNS1_25segmented_radix_sort_implIS3_Lb0EPKS5_PS5_PKlPlN2at6native12_GLOBAL__N_18offset_tEEE10hipError_tPvRmT1_PNSt15iterator_traitsISL_E10value_typeET2_T3_PNSM_ISR_E10value_typeET4_jRbjT5_SX_jjP12ihipStream_tbEUlT_E0_NS1_11comp_targetILNS1_3genE4ELNS1_11target_archE910ELNS1_3gpuE8ELNS1_3repE0EEENS1_60segmented_radix_sort_warp_sort_medium_config_static_selectorELNS0_4arch9wavefront6targetE0EEEvSL_.kd
    .uniform_work_group_size: 1
    .uses_dynamic_stack: false
    .vgpr_count:     0
    .vgpr_spill_count: 0
    .wavefront_size: 32
    .workgroup_processor_mode: 1
  - .args:
      - .offset:         0
        .size:           88
        .value_kind:     by_value
    .group_segment_fixed_size: 0
    .kernarg_segment_align: 8
    .kernarg_segment_size: 88
    .language:       OpenCL C
    .language_version:
      - 2
      - 0
    .max_flat_workgroup_size: 256
    .name:           _ZN7rocprim17ROCPRIM_400000_NS6detail17trampoline_kernelINS0_14default_configENS1_36segmented_radix_sort_config_selectorI12hip_bfloat16lEEZNS1_25segmented_radix_sort_implIS3_Lb0EPKS5_PS5_PKlPlN2at6native12_GLOBAL__N_18offset_tEEE10hipError_tPvRmT1_PNSt15iterator_traitsISL_E10value_typeET2_T3_PNSM_ISR_E10value_typeET4_jRbjT5_SX_jjP12ihipStream_tbEUlT_E0_NS1_11comp_targetILNS1_3genE3ELNS1_11target_archE908ELNS1_3gpuE7ELNS1_3repE0EEENS1_60segmented_radix_sort_warp_sort_medium_config_static_selectorELNS0_4arch9wavefront6targetE0EEEvSL_
    .private_segment_fixed_size: 0
    .sgpr_count:     0
    .sgpr_spill_count: 0
    .symbol:         _ZN7rocprim17ROCPRIM_400000_NS6detail17trampoline_kernelINS0_14default_configENS1_36segmented_radix_sort_config_selectorI12hip_bfloat16lEEZNS1_25segmented_radix_sort_implIS3_Lb0EPKS5_PS5_PKlPlN2at6native12_GLOBAL__N_18offset_tEEE10hipError_tPvRmT1_PNSt15iterator_traitsISL_E10value_typeET2_T3_PNSM_ISR_E10value_typeET4_jRbjT5_SX_jjP12ihipStream_tbEUlT_E0_NS1_11comp_targetILNS1_3genE3ELNS1_11target_archE908ELNS1_3gpuE7ELNS1_3repE0EEENS1_60segmented_radix_sort_warp_sort_medium_config_static_selectorELNS0_4arch9wavefront6targetE0EEEvSL_.kd
    .uniform_work_group_size: 1
    .uses_dynamic_stack: false
    .vgpr_count:     0
    .vgpr_spill_count: 0
    .wavefront_size: 32
    .workgroup_processor_mode: 1
  - .args:
      - .offset:         0
        .size:           88
        .value_kind:     by_value
    .group_segment_fixed_size: 0
    .kernarg_segment_align: 8
    .kernarg_segment_size: 88
    .language:       OpenCL C
    .language_version:
      - 2
      - 0
    .max_flat_workgroup_size: 256
    .name:           _ZN7rocprim17ROCPRIM_400000_NS6detail17trampoline_kernelINS0_14default_configENS1_36segmented_radix_sort_config_selectorI12hip_bfloat16lEEZNS1_25segmented_radix_sort_implIS3_Lb0EPKS5_PS5_PKlPlN2at6native12_GLOBAL__N_18offset_tEEE10hipError_tPvRmT1_PNSt15iterator_traitsISL_E10value_typeET2_T3_PNSM_ISR_E10value_typeET4_jRbjT5_SX_jjP12ihipStream_tbEUlT_E0_NS1_11comp_targetILNS1_3genE2ELNS1_11target_archE906ELNS1_3gpuE6ELNS1_3repE0EEENS1_60segmented_radix_sort_warp_sort_medium_config_static_selectorELNS0_4arch9wavefront6targetE0EEEvSL_
    .private_segment_fixed_size: 0
    .sgpr_count:     0
    .sgpr_spill_count: 0
    .symbol:         _ZN7rocprim17ROCPRIM_400000_NS6detail17trampoline_kernelINS0_14default_configENS1_36segmented_radix_sort_config_selectorI12hip_bfloat16lEEZNS1_25segmented_radix_sort_implIS3_Lb0EPKS5_PS5_PKlPlN2at6native12_GLOBAL__N_18offset_tEEE10hipError_tPvRmT1_PNSt15iterator_traitsISL_E10value_typeET2_T3_PNSM_ISR_E10value_typeET4_jRbjT5_SX_jjP12ihipStream_tbEUlT_E0_NS1_11comp_targetILNS1_3genE2ELNS1_11target_archE906ELNS1_3gpuE6ELNS1_3repE0EEENS1_60segmented_radix_sort_warp_sort_medium_config_static_selectorELNS0_4arch9wavefront6targetE0EEEvSL_.kd
    .uniform_work_group_size: 1
    .uses_dynamic_stack: false
    .vgpr_count:     0
    .vgpr_spill_count: 0
    .wavefront_size: 32
    .workgroup_processor_mode: 1
  - .args:
      - .offset:         0
        .size:           88
        .value_kind:     by_value
    .group_segment_fixed_size: 0
    .kernarg_segment_align: 8
    .kernarg_segment_size: 88
    .language:       OpenCL C
    .language_version:
      - 2
      - 0
    .max_flat_workgroup_size: 256
    .name:           _ZN7rocprim17ROCPRIM_400000_NS6detail17trampoline_kernelINS0_14default_configENS1_36segmented_radix_sort_config_selectorI12hip_bfloat16lEEZNS1_25segmented_radix_sort_implIS3_Lb0EPKS5_PS5_PKlPlN2at6native12_GLOBAL__N_18offset_tEEE10hipError_tPvRmT1_PNSt15iterator_traitsISL_E10value_typeET2_T3_PNSM_ISR_E10value_typeET4_jRbjT5_SX_jjP12ihipStream_tbEUlT_E0_NS1_11comp_targetILNS1_3genE10ELNS1_11target_archE1201ELNS1_3gpuE5ELNS1_3repE0EEENS1_60segmented_radix_sort_warp_sort_medium_config_static_selectorELNS0_4arch9wavefront6targetE0EEEvSL_
    .private_segment_fixed_size: 0
    .sgpr_count:     0
    .sgpr_spill_count: 0
    .symbol:         _ZN7rocprim17ROCPRIM_400000_NS6detail17trampoline_kernelINS0_14default_configENS1_36segmented_radix_sort_config_selectorI12hip_bfloat16lEEZNS1_25segmented_radix_sort_implIS3_Lb0EPKS5_PS5_PKlPlN2at6native12_GLOBAL__N_18offset_tEEE10hipError_tPvRmT1_PNSt15iterator_traitsISL_E10value_typeET2_T3_PNSM_ISR_E10value_typeET4_jRbjT5_SX_jjP12ihipStream_tbEUlT_E0_NS1_11comp_targetILNS1_3genE10ELNS1_11target_archE1201ELNS1_3gpuE5ELNS1_3repE0EEENS1_60segmented_radix_sort_warp_sort_medium_config_static_selectorELNS0_4arch9wavefront6targetE0EEEvSL_.kd
    .uniform_work_group_size: 1
    .uses_dynamic_stack: false
    .vgpr_count:     0
    .vgpr_spill_count: 0
    .wavefront_size: 32
    .workgroup_processor_mode: 1
  - .args:
      - .offset:         0
        .size:           88
        .value_kind:     by_value
    .group_segment_fixed_size: 0
    .kernarg_segment_align: 8
    .kernarg_segment_size: 88
    .language:       OpenCL C
    .language_version:
      - 2
      - 0
    .max_flat_workgroup_size: 256
    .name:           _ZN7rocprim17ROCPRIM_400000_NS6detail17trampoline_kernelINS0_14default_configENS1_36segmented_radix_sort_config_selectorI12hip_bfloat16lEEZNS1_25segmented_radix_sort_implIS3_Lb0EPKS5_PS5_PKlPlN2at6native12_GLOBAL__N_18offset_tEEE10hipError_tPvRmT1_PNSt15iterator_traitsISL_E10value_typeET2_T3_PNSM_ISR_E10value_typeET4_jRbjT5_SX_jjP12ihipStream_tbEUlT_E0_NS1_11comp_targetILNS1_3genE10ELNS1_11target_archE1200ELNS1_3gpuE4ELNS1_3repE0EEENS1_60segmented_radix_sort_warp_sort_medium_config_static_selectorELNS0_4arch9wavefront6targetE0EEEvSL_
    .private_segment_fixed_size: 0
    .sgpr_count:     0
    .sgpr_spill_count: 0
    .symbol:         _ZN7rocprim17ROCPRIM_400000_NS6detail17trampoline_kernelINS0_14default_configENS1_36segmented_radix_sort_config_selectorI12hip_bfloat16lEEZNS1_25segmented_radix_sort_implIS3_Lb0EPKS5_PS5_PKlPlN2at6native12_GLOBAL__N_18offset_tEEE10hipError_tPvRmT1_PNSt15iterator_traitsISL_E10value_typeET2_T3_PNSM_ISR_E10value_typeET4_jRbjT5_SX_jjP12ihipStream_tbEUlT_E0_NS1_11comp_targetILNS1_3genE10ELNS1_11target_archE1200ELNS1_3gpuE4ELNS1_3repE0EEENS1_60segmented_radix_sort_warp_sort_medium_config_static_selectorELNS0_4arch9wavefront6targetE0EEEvSL_.kd
    .uniform_work_group_size: 1
    .uses_dynamic_stack: false
    .vgpr_count:     0
    .vgpr_spill_count: 0
    .wavefront_size: 32
    .workgroup_processor_mode: 1
  - .args:
      - .offset:         0
        .size:           88
        .value_kind:     by_value
    .group_segment_fixed_size: 0
    .kernarg_segment_align: 8
    .kernarg_segment_size: 88
    .language:       OpenCL C
    .language_version:
      - 2
      - 0
    .max_flat_workgroup_size: 256
    .name:           _ZN7rocprim17ROCPRIM_400000_NS6detail17trampoline_kernelINS0_14default_configENS1_36segmented_radix_sort_config_selectorI12hip_bfloat16lEEZNS1_25segmented_radix_sort_implIS3_Lb0EPKS5_PS5_PKlPlN2at6native12_GLOBAL__N_18offset_tEEE10hipError_tPvRmT1_PNSt15iterator_traitsISL_E10value_typeET2_T3_PNSM_ISR_E10value_typeET4_jRbjT5_SX_jjP12ihipStream_tbEUlT_E0_NS1_11comp_targetILNS1_3genE9ELNS1_11target_archE1100ELNS1_3gpuE3ELNS1_3repE0EEENS1_60segmented_radix_sort_warp_sort_medium_config_static_selectorELNS0_4arch9wavefront6targetE0EEEvSL_
    .private_segment_fixed_size: 0
    .sgpr_count:     0
    .sgpr_spill_count: 0
    .symbol:         _ZN7rocprim17ROCPRIM_400000_NS6detail17trampoline_kernelINS0_14default_configENS1_36segmented_radix_sort_config_selectorI12hip_bfloat16lEEZNS1_25segmented_radix_sort_implIS3_Lb0EPKS5_PS5_PKlPlN2at6native12_GLOBAL__N_18offset_tEEE10hipError_tPvRmT1_PNSt15iterator_traitsISL_E10value_typeET2_T3_PNSM_ISR_E10value_typeET4_jRbjT5_SX_jjP12ihipStream_tbEUlT_E0_NS1_11comp_targetILNS1_3genE9ELNS1_11target_archE1100ELNS1_3gpuE3ELNS1_3repE0EEENS1_60segmented_radix_sort_warp_sort_medium_config_static_selectorELNS0_4arch9wavefront6targetE0EEEvSL_.kd
    .uniform_work_group_size: 1
    .uses_dynamic_stack: false
    .vgpr_count:     0
    .vgpr_spill_count: 0
    .wavefront_size: 32
    .workgroup_processor_mode: 1
  - .args:
      - .offset:         0
        .size:           88
        .value_kind:     by_value
      - .offset:         88
        .size:           4
        .value_kind:     hidden_block_count_x
      - .offset:         92
        .size:           4
        .value_kind:     hidden_block_count_y
      - .offset:         96
        .size:           4
        .value_kind:     hidden_block_count_z
      - .offset:         100
        .size:           2
        .value_kind:     hidden_group_size_x
      - .offset:         102
        .size:           2
        .value_kind:     hidden_group_size_y
      - .offset:         104
        .size:           2
        .value_kind:     hidden_group_size_z
      - .offset:         106
        .size:           2
        .value_kind:     hidden_remainder_x
      - .offset:         108
        .size:           2
        .value_kind:     hidden_remainder_y
      - .offset:         110
        .size:           2
        .value_kind:     hidden_remainder_z
      - .offset:         128
        .size:           8
        .value_kind:     hidden_global_offset_x
      - .offset:         136
        .size:           8
        .value_kind:     hidden_global_offset_y
      - .offset:         144
        .size:           8
        .value_kind:     hidden_global_offset_z
      - .offset:         152
        .size:           2
        .value_kind:     hidden_grid_dims
    .group_segment_fixed_size: 20480
    .kernarg_segment_align: 8
    .kernarg_segment_size: 344
    .language:       OpenCL C
    .language_version:
      - 2
      - 0
    .max_flat_workgroup_size: 256
    .name:           _ZN7rocprim17ROCPRIM_400000_NS6detail17trampoline_kernelINS0_14default_configENS1_36segmented_radix_sort_config_selectorI12hip_bfloat16lEEZNS1_25segmented_radix_sort_implIS3_Lb0EPKS5_PS5_PKlPlN2at6native12_GLOBAL__N_18offset_tEEE10hipError_tPvRmT1_PNSt15iterator_traitsISL_E10value_typeET2_T3_PNSM_ISR_E10value_typeET4_jRbjT5_SX_jjP12ihipStream_tbEUlT_E0_NS1_11comp_targetILNS1_3genE8ELNS1_11target_archE1030ELNS1_3gpuE2ELNS1_3repE0EEENS1_60segmented_radix_sort_warp_sort_medium_config_static_selectorELNS0_4arch9wavefront6targetE0EEEvSL_
    .private_segment_fixed_size: 0
    .sgpr_count:     46
    .sgpr_spill_count: 0
    .symbol:         _ZN7rocprim17ROCPRIM_400000_NS6detail17trampoline_kernelINS0_14default_configENS1_36segmented_radix_sort_config_selectorI12hip_bfloat16lEEZNS1_25segmented_radix_sort_implIS3_Lb0EPKS5_PS5_PKlPlN2at6native12_GLOBAL__N_18offset_tEEE10hipError_tPvRmT1_PNSt15iterator_traitsISL_E10value_typeET2_T3_PNSM_ISR_E10value_typeET4_jRbjT5_SX_jjP12ihipStream_tbEUlT_E0_NS1_11comp_targetILNS1_3genE8ELNS1_11target_archE1030ELNS1_3gpuE2ELNS1_3repE0EEENS1_60segmented_radix_sort_warp_sort_medium_config_static_selectorELNS0_4arch9wavefront6targetE0EEEvSL_.kd
    .uniform_work_group_size: 1
    .uses_dynamic_stack: false
    .vgpr_count:     82
    .vgpr_spill_count: 0
    .wavefront_size: 32
    .workgroup_processor_mode: 1
  - .args:
      - .offset:         0
        .size:           88
        .value_kind:     by_value
    .group_segment_fixed_size: 0
    .kernarg_segment_align: 8
    .kernarg_segment_size: 88
    .language:       OpenCL C
    .language_version:
      - 2
      - 0
    .max_flat_workgroup_size: 256
    .name:           _ZN7rocprim17ROCPRIM_400000_NS6detail17trampoline_kernelINS0_14default_configENS1_36segmented_radix_sort_config_selectorI12hip_bfloat16lEEZNS1_25segmented_radix_sort_implIS3_Lb0EPKS5_PS5_PKlPlN2at6native12_GLOBAL__N_18offset_tEEE10hipError_tPvRmT1_PNSt15iterator_traitsISL_E10value_typeET2_T3_PNSM_ISR_E10value_typeET4_jRbjT5_SX_jjP12ihipStream_tbEUlT_E1_NS1_11comp_targetILNS1_3genE0ELNS1_11target_archE4294967295ELNS1_3gpuE0ELNS1_3repE0EEENS1_59segmented_radix_sort_warp_sort_small_config_static_selectorELNS0_4arch9wavefront6targetE0EEEvSL_
    .private_segment_fixed_size: 0
    .sgpr_count:     0
    .sgpr_spill_count: 0
    .symbol:         _ZN7rocprim17ROCPRIM_400000_NS6detail17trampoline_kernelINS0_14default_configENS1_36segmented_radix_sort_config_selectorI12hip_bfloat16lEEZNS1_25segmented_radix_sort_implIS3_Lb0EPKS5_PS5_PKlPlN2at6native12_GLOBAL__N_18offset_tEEE10hipError_tPvRmT1_PNSt15iterator_traitsISL_E10value_typeET2_T3_PNSM_ISR_E10value_typeET4_jRbjT5_SX_jjP12ihipStream_tbEUlT_E1_NS1_11comp_targetILNS1_3genE0ELNS1_11target_archE4294967295ELNS1_3gpuE0ELNS1_3repE0EEENS1_59segmented_radix_sort_warp_sort_small_config_static_selectorELNS0_4arch9wavefront6targetE0EEEvSL_.kd
    .uniform_work_group_size: 1
    .uses_dynamic_stack: false
    .vgpr_count:     0
    .vgpr_spill_count: 0
    .wavefront_size: 32
    .workgroup_processor_mode: 1
  - .args:
      - .offset:         0
        .size:           88
        .value_kind:     by_value
    .group_segment_fixed_size: 0
    .kernarg_segment_align: 8
    .kernarg_segment_size: 88
    .language:       OpenCL C
    .language_version:
      - 2
      - 0
    .max_flat_workgroup_size: 256
    .name:           _ZN7rocprim17ROCPRIM_400000_NS6detail17trampoline_kernelINS0_14default_configENS1_36segmented_radix_sort_config_selectorI12hip_bfloat16lEEZNS1_25segmented_radix_sort_implIS3_Lb0EPKS5_PS5_PKlPlN2at6native12_GLOBAL__N_18offset_tEEE10hipError_tPvRmT1_PNSt15iterator_traitsISL_E10value_typeET2_T3_PNSM_ISR_E10value_typeET4_jRbjT5_SX_jjP12ihipStream_tbEUlT_E1_NS1_11comp_targetILNS1_3genE5ELNS1_11target_archE942ELNS1_3gpuE9ELNS1_3repE0EEENS1_59segmented_radix_sort_warp_sort_small_config_static_selectorELNS0_4arch9wavefront6targetE0EEEvSL_
    .private_segment_fixed_size: 0
    .sgpr_count:     0
    .sgpr_spill_count: 0
    .symbol:         _ZN7rocprim17ROCPRIM_400000_NS6detail17trampoline_kernelINS0_14default_configENS1_36segmented_radix_sort_config_selectorI12hip_bfloat16lEEZNS1_25segmented_radix_sort_implIS3_Lb0EPKS5_PS5_PKlPlN2at6native12_GLOBAL__N_18offset_tEEE10hipError_tPvRmT1_PNSt15iterator_traitsISL_E10value_typeET2_T3_PNSM_ISR_E10value_typeET4_jRbjT5_SX_jjP12ihipStream_tbEUlT_E1_NS1_11comp_targetILNS1_3genE5ELNS1_11target_archE942ELNS1_3gpuE9ELNS1_3repE0EEENS1_59segmented_radix_sort_warp_sort_small_config_static_selectorELNS0_4arch9wavefront6targetE0EEEvSL_.kd
    .uniform_work_group_size: 1
    .uses_dynamic_stack: false
    .vgpr_count:     0
    .vgpr_spill_count: 0
    .wavefront_size: 32
    .workgroup_processor_mode: 1
  - .args:
      - .offset:         0
        .size:           88
        .value_kind:     by_value
    .group_segment_fixed_size: 0
    .kernarg_segment_align: 8
    .kernarg_segment_size: 88
    .language:       OpenCL C
    .language_version:
      - 2
      - 0
    .max_flat_workgroup_size: 256
    .name:           _ZN7rocprim17ROCPRIM_400000_NS6detail17trampoline_kernelINS0_14default_configENS1_36segmented_radix_sort_config_selectorI12hip_bfloat16lEEZNS1_25segmented_radix_sort_implIS3_Lb0EPKS5_PS5_PKlPlN2at6native12_GLOBAL__N_18offset_tEEE10hipError_tPvRmT1_PNSt15iterator_traitsISL_E10value_typeET2_T3_PNSM_ISR_E10value_typeET4_jRbjT5_SX_jjP12ihipStream_tbEUlT_E1_NS1_11comp_targetILNS1_3genE4ELNS1_11target_archE910ELNS1_3gpuE8ELNS1_3repE0EEENS1_59segmented_radix_sort_warp_sort_small_config_static_selectorELNS0_4arch9wavefront6targetE0EEEvSL_
    .private_segment_fixed_size: 0
    .sgpr_count:     0
    .sgpr_spill_count: 0
    .symbol:         _ZN7rocprim17ROCPRIM_400000_NS6detail17trampoline_kernelINS0_14default_configENS1_36segmented_radix_sort_config_selectorI12hip_bfloat16lEEZNS1_25segmented_radix_sort_implIS3_Lb0EPKS5_PS5_PKlPlN2at6native12_GLOBAL__N_18offset_tEEE10hipError_tPvRmT1_PNSt15iterator_traitsISL_E10value_typeET2_T3_PNSM_ISR_E10value_typeET4_jRbjT5_SX_jjP12ihipStream_tbEUlT_E1_NS1_11comp_targetILNS1_3genE4ELNS1_11target_archE910ELNS1_3gpuE8ELNS1_3repE0EEENS1_59segmented_radix_sort_warp_sort_small_config_static_selectorELNS0_4arch9wavefront6targetE0EEEvSL_.kd
    .uniform_work_group_size: 1
    .uses_dynamic_stack: false
    .vgpr_count:     0
    .vgpr_spill_count: 0
    .wavefront_size: 32
    .workgroup_processor_mode: 1
  - .args:
      - .offset:         0
        .size:           88
        .value_kind:     by_value
    .group_segment_fixed_size: 0
    .kernarg_segment_align: 8
    .kernarg_segment_size: 88
    .language:       OpenCL C
    .language_version:
      - 2
      - 0
    .max_flat_workgroup_size: 256
    .name:           _ZN7rocprim17ROCPRIM_400000_NS6detail17trampoline_kernelINS0_14default_configENS1_36segmented_radix_sort_config_selectorI12hip_bfloat16lEEZNS1_25segmented_radix_sort_implIS3_Lb0EPKS5_PS5_PKlPlN2at6native12_GLOBAL__N_18offset_tEEE10hipError_tPvRmT1_PNSt15iterator_traitsISL_E10value_typeET2_T3_PNSM_ISR_E10value_typeET4_jRbjT5_SX_jjP12ihipStream_tbEUlT_E1_NS1_11comp_targetILNS1_3genE3ELNS1_11target_archE908ELNS1_3gpuE7ELNS1_3repE0EEENS1_59segmented_radix_sort_warp_sort_small_config_static_selectorELNS0_4arch9wavefront6targetE0EEEvSL_
    .private_segment_fixed_size: 0
    .sgpr_count:     0
    .sgpr_spill_count: 0
    .symbol:         _ZN7rocprim17ROCPRIM_400000_NS6detail17trampoline_kernelINS0_14default_configENS1_36segmented_radix_sort_config_selectorI12hip_bfloat16lEEZNS1_25segmented_radix_sort_implIS3_Lb0EPKS5_PS5_PKlPlN2at6native12_GLOBAL__N_18offset_tEEE10hipError_tPvRmT1_PNSt15iterator_traitsISL_E10value_typeET2_T3_PNSM_ISR_E10value_typeET4_jRbjT5_SX_jjP12ihipStream_tbEUlT_E1_NS1_11comp_targetILNS1_3genE3ELNS1_11target_archE908ELNS1_3gpuE7ELNS1_3repE0EEENS1_59segmented_radix_sort_warp_sort_small_config_static_selectorELNS0_4arch9wavefront6targetE0EEEvSL_.kd
    .uniform_work_group_size: 1
    .uses_dynamic_stack: false
    .vgpr_count:     0
    .vgpr_spill_count: 0
    .wavefront_size: 32
    .workgroup_processor_mode: 1
  - .args:
      - .offset:         0
        .size:           88
        .value_kind:     by_value
    .group_segment_fixed_size: 0
    .kernarg_segment_align: 8
    .kernarg_segment_size: 88
    .language:       OpenCL C
    .language_version:
      - 2
      - 0
    .max_flat_workgroup_size: 256
    .name:           _ZN7rocprim17ROCPRIM_400000_NS6detail17trampoline_kernelINS0_14default_configENS1_36segmented_radix_sort_config_selectorI12hip_bfloat16lEEZNS1_25segmented_radix_sort_implIS3_Lb0EPKS5_PS5_PKlPlN2at6native12_GLOBAL__N_18offset_tEEE10hipError_tPvRmT1_PNSt15iterator_traitsISL_E10value_typeET2_T3_PNSM_ISR_E10value_typeET4_jRbjT5_SX_jjP12ihipStream_tbEUlT_E1_NS1_11comp_targetILNS1_3genE2ELNS1_11target_archE906ELNS1_3gpuE6ELNS1_3repE0EEENS1_59segmented_radix_sort_warp_sort_small_config_static_selectorELNS0_4arch9wavefront6targetE0EEEvSL_
    .private_segment_fixed_size: 0
    .sgpr_count:     0
    .sgpr_spill_count: 0
    .symbol:         _ZN7rocprim17ROCPRIM_400000_NS6detail17trampoline_kernelINS0_14default_configENS1_36segmented_radix_sort_config_selectorI12hip_bfloat16lEEZNS1_25segmented_radix_sort_implIS3_Lb0EPKS5_PS5_PKlPlN2at6native12_GLOBAL__N_18offset_tEEE10hipError_tPvRmT1_PNSt15iterator_traitsISL_E10value_typeET2_T3_PNSM_ISR_E10value_typeET4_jRbjT5_SX_jjP12ihipStream_tbEUlT_E1_NS1_11comp_targetILNS1_3genE2ELNS1_11target_archE906ELNS1_3gpuE6ELNS1_3repE0EEENS1_59segmented_radix_sort_warp_sort_small_config_static_selectorELNS0_4arch9wavefront6targetE0EEEvSL_.kd
    .uniform_work_group_size: 1
    .uses_dynamic_stack: false
    .vgpr_count:     0
    .vgpr_spill_count: 0
    .wavefront_size: 32
    .workgroup_processor_mode: 1
  - .args:
      - .offset:         0
        .size:           88
        .value_kind:     by_value
    .group_segment_fixed_size: 0
    .kernarg_segment_align: 8
    .kernarg_segment_size: 88
    .language:       OpenCL C
    .language_version:
      - 2
      - 0
    .max_flat_workgroup_size: 256
    .name:           _ZN7rocprim17ROCPRIM_400000_NS6detail17trampoline_kernelINS0_14default_configENS1_36segmented_radix_sort_config_selectorI12hip_bfloat16lEEZNS1_25segmented_radix_sort_implIS3_Lb0EPKS5_PS5_PKlPlN2at6native12_GLOBAL__N_18offset_tEEE10hipError_tPvRmT1_PNSt15iterator_traitsISL_E10value_typeET2_T3_PNSM_ISR_E10value_typeET4_jRbjT5_SX_jjP12ihipStream_tbEUlT_E1_NS1_11comp_targetILNS1_3genE10ELNS1_11target_archE1201ELNS1_3gpuE5ELNS1_3repE0EEENS1_59segmented_radix_sort_warp_sort_small_config_static_selectorELNS0_4arch9wavefront6targetE0EEEvSL_
    .private_segment_fixed_size: 0
    .sgpr_count:     0
    .sgpr_spill_count: 0
    .symbol:         _ZN7rocprim17ROCPRIM_400000_NS6detail17trampoline_kernelINS0_14default_configENS1_36segmented_radix_sort_config_selectorI12hip_bfloat16lEEZNS1_25segmented_radix_sort_implIS3_Lb0EPKS5_PS5_PKlPlN2at6native12_GLOBAL__N_18offset_tEEE10hipError_tPvRmT1_PNSt15iterator_traitsISL_E10value_typeET2_T3_PNSM_ISR_E10value_typeET4_jRbjT5_SX_jjP12ihipStream_tbEUlT_E1_NS1_11comp_targetILNS1_3genE10ELNS1_11target_archE1201ELNS1_3gpuE5ELNS1_3repE0EEENS1_59segmented_radix_sort_warp_sort_small_config_static_selectorELNS0_4arch9wavefront6targetE0EEEvSL_.kd
    .uniform_work_group_size: 1
    .uses_dynamic_stack: false
    .vgpr_count:     0
    .vgpr_spill_count: 0
    .wavefront_size: 32
    .workgroup_processor_mode: 1
  - .args:
      - .offset:         0
        .size:           88
        .value_kind:     by_value
    .group_segment_fixed_size: 0
    .kernarg_segment_align: 8
    .kernarg_segment_size: 88
    .language:       OpenCL C
    .language_version:
      - 2
      - 0
    .max_flat_workgroup_size: 256
    .name:           _ZN7rocprim17ROCPRIM_400000_NS6detail17trampoline_kernelINS0_14default_configENS1_36segmented_radix_sort_config_selectorI12hip_bfloat16lEEZNS1_25segmented_radix_sort_implIS3_Lb0EPKS5_PS5_PKlPlN2at6native12_GLOBAL__N_18offset_tEEE10hipError_tPvRmT1_PNSt15iterator_traitsISL_E10value_typeET2_T3_PNSM_ISR_E10value_typeET4_jRbjT5_SX_jjP12ihipStream_tbEUlT_E1_NS1_11comp_targetILNS1_3genE10ELNS1_11target_archE1200ELNS1_3gpuE4ELNS1_3repE0EEENS1_59segmented_radix_sort_warp_sort_small_config_static_selectorELNS0_4arch9wavefront6targetE0EEEvSL_
    .private_segment_fixed_size: 0
    .sgpr_count:     0
    .sgpr_spill_count: 0
    .symbol:         _ZN7rocprim17ROCPRIM_400000_NS6detail17trampoline_kernelINS0_14default_configENS1_36segmented_radix_sort_config_selectorI12hip_bfloat16lEEZNS1_25segmented_radix_sort_implIS3_Lb0EPKS5_PS5_PKlPlN2at6native12_GLOBAL__N_18offset_tEEE10hipError_tPvRmT1_PNSt15iterator_traitsISL_E10value_typeET2_T3_PNSM_ISR_E10value_typeET4_jRbjT5_SX_jjP12ihipStream_tbEUlT_E1_NS1_11comp_targetILNS1_3genE10ELNS1_11target_archE1200ELNS1_3gpuE4ELNS1_3repE0EEENS1_59segmented_radix_sort_warp_sort_small_config_static_selectorELNS0_4arch9wavefront6targetE0EEEvSL_.kd
    .uniform_work_group_size: 1
    .uses_dynamic_stack: false
    .vgpr_count:     0
    .vgpr_spill_count: 0
    .wavefront_size: 32
    .workgroup_processor_mode: 1
  - .args:
      - .offset:         0
        .size:           88
        .value_kind:     by_value
    .group_segment_fixed_size: 0
    .kernarg_segment_align: 8
    .kernarg_segment_size: 88
    .language:       OpenCL C
    .language_version:
      - 2
      - 0
    .max_flat_workgroup_size: 256
    .name:           _ZN7rocprim17ROCPRIM_400000_NS6detail17trampoline_kernelINS0_14default_configENS1_36segmented_radix_sort_config_selectorI12hip_bfloat16lEEZNS1_25segmented_radix_sort_implIS3_Lb0EPKS5_PS5_PKlPlN2at6native12_GLOBAL__N_18offset_tEEE10hipError_tPvRmT1_PNSt15iterator_traitsISL_E10value_typeET2_T3_PNSM_ISR_E10value_typeET4_jRbjT5_SX_jjP12ihipStream_tbEUlT_E1_NS1_11comp_targetILNS1_3genE9ELNS1_11target_archE1100ELNS1_3gpuE3ELNS1_3repE0EEENS1_59segmented_radix_sort_warp_sort_small_config_static_selectorELNS0_4arch9wavefront6targetE0EEEvSL_
    .private_segment_fixed_size: 0
    .sgpr_count:     0
    .sgpr_spill_count: 0
    .symbol:         _ZN7rocprim17ROCPRIM_400000_NS6detail17trampoline_kernelINS0_14default_configENS1_36segmented_radix_sort_config_selectorI12hip_bfloat16lEEZNS1_25segmented_radix_sort_implIS3_Lb0EPKS5_PS5_PKlPlN2at6native12_GLOBAL__N_18offset_tEEE10hipError_tPvRmT1_PNSt15iterator_traitsISL_E10value_typeET2_T3_PNSM_ISR_E10value_typeET4_jRbjT5_SX_jjP12ihipStream_tbEUlT_E1_NS1_11comp_targetILNS1_3genE9ELNS1_11target_archE1100ELNS1_3gpuE3ELNS1_3repE0EEENS1_59segmented_radix_sort_warp_sort_small_config_static_selectorELNS0_4arch9wavefront6targetE0EEEvSL_.kd
    .uniform_work_group_size: 1
    .uses_dynamic_stack: false
    .vgpr_count:     0
    .vgpr_spill_count: 0
    .wavefront_size: 32
    .workgroup_processor_mode: 1
  - .args:
      - .offset:         0
        .size:           88
        .value_kind:     by_value
      - .offset:         88
        .size:           4
        .value_kind:     hidden_block_count_x
      - .offset:         92
        .size:           4
        .value_kind:     hidden_block_count_y
      - .offset:         96
        .size:           4
        .value_kind:     hidden_block_count_z
      - .offset:         100
        .size:           2
        .value_kind:     hidden_group_size_x
      - .offset:         102
        .size:           2
        .value_kind:     hidden_group_size_y
      - .offset:         104
        .size:           2
        .value_kind:     hidden_group_size_z
      - .offset:         106
        .size:           2
        .value_kind:     hidden_remainder_x
      - .offset:         108
        .size:           2
        .value_kind:     hidden_remainder_y
      - .offset:         110
        .size:           2
        .value_kind:     hidden_remainder_z
      - .offset:         128
        .size:           8
        .value_kind:     hidden_global_offset_x
      - .offset:         136
        .size:           8
        .value_kind:     hidden_global_offset_y
      - .offset:         144
        .size:           8
        .value_kind:     hidden_global_offset_z
      - .offset:         152
        .size:           2
        .value_kind:     hidden_grid_dims
    .group_segment_fixed_size: 10240
    .kernarg_segment_align: 8
    .kernarg_segment_size: 344
    .language:       OpenCL C
    .language_version:
      - 2
      - 0
    .max_flat_workgroup_size: 256
    .name:           _ZN7rocprim17ROCPRIM_400000_NS6detail17trampoline_kernelINS0_14default_configENS1_36segmented_radix_sort_config_selectorI12hip_bfloat16lEEZNS1_25segmented_radix_sort_implIS3_Lb0EPKS5_PS5_PKlPlN2at6native12_GLOBAL__N_18offset_tEEE10hipError_tPvRmT1_PNSt15iterator_traitsISL_E10value_typeET2_T3_PNSM_ISR_E10value_typeET4_jRbjT5_SX_jjP12ihipStream_tbEUlT_E1_NS1_11comp_targetILNS1_3genE8ELNS1_11target_archE1030ELNS1_3gpuE2ELNS1_3repE0EEENS1_59segmented_radix_sort_warp_sort_small_config_static_selectorELNS0_4arch9wavefront6targetE0EEEvSL_
    .private_segment_fixed_size: 0
    .sgpr_count:     35
    .sgpr_spill_count: 0
    .symbol:         _ZN7rocprim17ROCPRIM_400000_NS6detail17trampoline_kernelINS0_14default_configENS1_36segmented_radix_sort_config_selectorI12hip_bfloat16lEEZNS1_25segmented_radix_sort_implIS3_Lb0EPKS5_PS5_PKlPlN2at6native12_GLOBAL__N_18offset_tEEE10hipError_tPvRmT1_PNSt15iterator_traitsISL_E10value_typeET2_T3_PNSM_ISR_E10value_typeET4_jRbjT5_SX_jjP12ihipStream_tbEUlT_E1_NS1_11comp_targetILNS1_3genE8ELNS1_11target_archE1030ELNS1_3gpuE2ELNS1_3repE0EEENS1_59segmented_radix_sort_warp_sort_small_config_static_selectorELNS0_4arch9wavefront6targetE0EEEvSL_.kd
    .uniform_work_group_size: 1
    .uses_dynamic_stack: false
    .vgpr_count:     65
    .vgpr_spill_count: 0
    .wavefront_size: 32
    .workgroup_processor_mode: 1
  - .args:
      - .offset:         0
        .size:           80
        .value_kind:     by_value
    .group_segment_fixed_size: 0
    .kernarg_segment_align: 8
    .kernarg_segment_size: 80
    .language:       OpenCL C
    .language_version:
      - 2
      - 0
    .max_flat_workgroup_size: 256
    .name:           _ZN7rocprim17ROCPRIM_400000_NS6detail17trampoline_kernelINS0_14default_configENS1_36segmented_radix_sort_config_selectorI12hip_bfloat16lEEZNS1_25segmented_radix_sort_implIS3_Lb0EPKS5_PS5_PKlPlN2at6native12_GLOBAL__N_18offset_tEEE10hipError_tPvRmT1_PNSt15iterator_traitsISL_E10value_typeET2_T3_PNSM_ISR_E10value_typeET4_jRbjT5_SX_jjP12ihipStream_tbEUlT_E2_NS1_11comp_targetILNS1_3genE0ELNS1_11target_archE4294967295ELNS1_3gpuE0ELNS1_3repE0EEENS1_30default_config_static_selectorELNS0_4arch9wavefront6targetE0EEEvSL_
    .private_segment_fixed_size: 0
    .sgpr_count:     0
    .sgpr_spill_count: 0
    .symbol:         _ZN7rocprim17ROCPRIM_400000_NS6detail17trampoline_kernelINS0_14default_configENS1_36segmented_radix_sort_config_selectorI12hip_bfloat16lEEZNS1_25segmented_radix_sort_implIS3_Lb0EPKS5_PS5_PKlPlN2at6native12_GLOBAL__N_18offset_tEEE10hipError_tPvRmT1_PNSt15iterator_traitsISL_E10value_typeET2_T3_PNSM_ISR_E10value_typeET4_jRbjT5_SX_jjP12ihipStream_tbEUlT_E2_NS1_11comp_targetILNS1_3genE0ELNS1_11target_archE4294967295ELNS1_3gpuE0ELNS1_3repE0EEENS1_30default_config_static_selectorELNS0_4arch9wavefront6targetE0EEEvSL_.kd
    .uniform_work_group_size: 1
    .uses_dynamic_stack: false
    .vgpr_count:     0
    .vgpr_spill_count: 0
    .wavefront_size: 32
    .workgroup_processor_mode: 1
  - .args:
      - .offset:         0
        .size:           80
        .value_kind:     by_value
    .group_segment_fixed_size: 0
    .kernarg_segment_align: 8
    .kernarg_segment_size: 80
    .language:       OpenCL C
    .language_version:
      - 2
      - 0
    .max_flat_workgroup_size: 256
    .name:           _ZN7rocprim17ROCPRIM_400000_NS6detail17trampoline_kernelINS0_14default_configENS1_36segmented_radix_sort_config_selectorI12hip_bfloat16lEEZNS1_25segmented_radix_sort_implIS3_Lb0EPKS5_PS5_PKlPlN2at6native12_GLOBAL__N_18offset_tEEE10hipError_tPvRmT1_PNSt15iterator_traitsISL_E10value_typeET2_T3_PNSM_ISR_E10value_typeET4_jRbjT5_SX_jjP12ihipStream_tbEUlT_E2_NS1_11comp_targetILNS1_3genE5ELNS1_11target_archE942ELNS1_3gpuE9ELNS1_3repE0EEENS1_30default_config_static_selectorELNS0_4arch9wavefront6targetE0EEEvSL_
    .private_segment_fixed_size: 0
    .sgpr_count:     0
    .sgpr_spill_count: 0
    .symbol:         _ZN7rocprim17ROCPRIM_400000_NS6detail17trampoline_kernelINS0_14default_configENS1_36segmented_radix_sort_config_selectorI12hip_bfloat16lEEZNS1_25segmented_radix_sort_implIS3_Lb0EPKS5_PS5_PKlPlN2at6native12_GLOBAL__N_18offset_tEEE10hipError_tPvRmT1_PNSt15iterator_traitsISL_E10value_typeET2_T3_PNSM_ISR_E10value_typeET4_jRbjT5_SX_jjP12ihipStream_tbEUlT_E2_NS1_11comp_targetILNS1_3genE5ELNS1_11target_archE942ELNS1_3gpuE9ELNS1_3repE0EEENS1_30default_config_static_selectorELNS0_4arch9wavefront6targetE0EEEvSL_.kd
    .uniform_work_group_size: 1
    .uses_dynamic_stack: false
    .vgpr_count:     0
    .vgpr_spill_count: 0
    .wavefront_size: 32
    .workgroup_processor_mode: 1
  - .args:
      - .offset:         0
        .size:           80
        .value_kind:     by_value
    .group_segment_fixed_size: 0
    .kernarg_segment_align: 8
    .kernarg_segment_size: 80
    .language:       OpenCL C
    .language_version:
      - 2
      - 0
    .max_flat_workgroup_size: 256
    .name:           _ZN7rocprim17ROCPRIM_400000_NS6detail17trampoline_kernelINS0_14default_configENS1_36segmented_radix_sort_config_selectorI12hip_bfloat16lEEZNS1_25segmented_radix_sort_implIS3_Lb0EPKS5_PS5_PKlPlN2at6native12_GLOBAL__N_18offset_tEEE10hipError_tPvRmT1_PNSt15iterator_traitsISL_E10value_typeET2_T3_PNSM_ISR_E10value_typeET4_jRbjT5_SX_jjP12ihipStream_tbEUlT_E2_NS1_11comp_targetILNS1_3genE4ELNS1_11target_archE910ELNS1_3gpuE8ELNS1_3repE0EEENS1_30default_config_static_selectorELNS0_4arch9wavefront6targetE0EEEvSL_
    .private_segment_fixed_size: 0
    .sgpr_count:     0
    .sgpr_spill_count: 0
    .symbol:         _ZN7rocprim17ROCPRIM_400000_NS6detail17trampoline_kernelINS0_14default_configENS1_36segmented_radix_sort_config_selectorI12hip_bfloat16lEEZNS1_25segmented_radix_sort_implIS3_Lb0EPKS5_PS5_PKlPlN2at6native12_GLOBAL__N_18offset_tEEE10hipError_tPvRmT1_PNSt15iterator_traitsISL_E10value_typeET2_T3_PNSM_ISR_E10value_typeET4_jRbjT5_SX_jjP12ihipStream_tbEUlT_E2_NS1_11comp_targetILNS1_3genE4ELNS1_11target_archE910ELNS1_3gpuE8ELNS1_3repE0EEENS1_30default_config_static_selectorELNS0_4arch9wavefront6targetE0EEEvSL_.kd
    .uniform_work_group_size: 1
    .uses_dynamic_stack: false
    .vgpr_count:     0
    .vgpr_spill_count: 0
    .wavefront_size: 32
    .workgroup_processor_mode: 1
  - .args:
      - .offset:         0
        .size:           80
        .value_kind:     by_value
    .group_segment_fixed_size: 0
    .kernarg_segment_align: 8
    .kernarg_segment_size: 80
    .language:       OpenCL C
    .language_version:
      - 2
      - 0
    .max_flat_workgroup_size: 256
    .name:           _ZN7rocprim17ROCPRIM_400000_NS6detail17trampoline_kernelINS0_14default_configENS1_36segmented_radix_sort_config_selectorI12hip_bfloat16lEEZNS1_25segmented_radix_sort_implIS3_Lb0EPKS5_PS5_PKlPlN2at6native12_GLOBAL__N_18offset_tEEE10hipError_tPvRmT1_PNSt15iterator_traitsISL_E10value_typeET2_T3_PNSM_ISR_E10value_typeET4_jRbjT5_SX_jjP12ihipStream_tbEUlT_E2_NS1_11comp_targetILNS1_3genE3ELNS1_11target_archE908ELNS1_3gpuE7ELNS1_3repE0EEENS1_30default_config_static_selectorELNS0_4arch9wavefront6targetE0EEEvSL_
    .private_segment_fixed_size: 0
    .sgpr_count:     0
    .sgpr_spill_count: 0
    .symbol:         _ZN7rocprim17ROCPRIM_400000_NS6detail17trampoline_kernelINS0_14default_configENS1_36segmented_radix_sort_config_selectorI12hip_bfloat16lEEZNS1_25segmented_radix_sort_implIS3_Lb0EPKS5_PS5_PKlPlN2at6native12_GLOBAL__N_18offset_tEEE10hipError_tPvRmT1_PNSt15iterator_traitsISL_E10value_typeET2_T3_PNSM_ISR_E10value_typeET4_jRbjT5_SX_jjP12ihipStream_tbEUlT_E2_NS1_11comp_targetILNS1_3genE3ELNS1_11target_archE908ELNS1_3gpuE7ELNS1_3repE0EEENS1_30default_config_static_selectorELNS0_4arch9wavefront6targetE0EEEvSL_.kd
    .uniform_work_group_size: 1
    .uses_dynamic_stack: false
    .vgpr_count:     0
    .vgpr_spill_count: 0
    .wavefront_size: 32
    .workgroup_processor_mode: 1
  - .args:
      - .offset:         0
        .size:           80
        .value_kind:     by_value
    .group_segment_fixed_size: 0
    .kernarg_segment_align: 8
    .kernarg_segment_size: 80
    .language:       OpenCL C
    .language_version:
      - 2
      - 0
    .max_flat_workgroup_size: 256
    .name:           _ZN7rocprim17ROCPRIM_400000_NS6detail17trampoline_kernelINS0_14default_configENS1_36segmented_radix_sort_config_selectorI12hip_bfloat16lEEZNS1_25segmented_radix_sort_implIS3_Lb0EPKS5_PS5_PKlPlN2at6native12_GLOBAL__N_18offset_tEEE10hipError_tPvRmT1_PNSt15iterator_traitsISL_E10value_typeET2_T3_PNSM_ISR_E10value_typeET4_jRbjT5_SX_jjP12ihipStream_tbEUlT_E2_NS1_11comp_targetILNS1_3genE2ELNS1_11target_archE906ELNS1_3gpuE6ELNS1_3repE0EEENS1_30default_config_static_selectorELNS0_4arch9wavefront6targetE0EEEvSL_
    .private_segment_fixed_size: 0
    .sgpr_count:     0
    .sgpr_spill_count: 0
    .symbol:         _ZN7rocprim17ROCPRIM_400000_NS6detail17trampoline_kernelINS0_14default_configENS1_36segmented_radix_sort_config_selectorI12hip_bfloat16lEEZNS1_25segmented_radix_sort_implIS3_Lb0EPKS5_PS5_PKlPlN2at6native12_GLOBAL__N_18offset_tEEE10hipError_tPvRmT1_PNSt15iterator_traitsISL_E10value_typeET2_T3_PNSM_ISR_E10value_typeET4_jRbjT5_SX_jjP12ihipStream_tbEUlT_E2_NS1_11comp_targetILNS1_3genE2ELNS1_11target_archE906ELNS1_3gpuE6ELNS1_3repE0EEENS1_30default_config_static_selectorELNS0_4arch9wavefront6targetE0EEEvSL_.kd
    .uniform_work_group_size: 1
    .uses_dynamic_stack: false
    .vgpr_count:     0
    .vgpr_spill_count: 0
    .wavefront_size: 32
    .workgroup_processor_mode: 1
  - .args:
      - .offset:         0
        .size:           80
        .value_kind:     by_value
    .group_segment_fixed_size: 0
    .kernarg_segment_align: 8
    .kernarg_segment_size: 80
    .language:       OpenCL C
    .language_version:
      - 2
      - 0
    .max_flat_workgroup_size: 256
    .name:           _ZN7rocprim17ROCPRIM_400000_NS6detail17trampoline_kernelINS0_14default_configENS1_36segmented_radix_sort_config_selectorI12hip_bfloat16lEEZNS1_25segmented_radix_sort_implIS3_Lb0EPKS5_PS5_PKlPlN2at6native12_GLOBAL__N_18offset_tEEE10hipError_tPvRmT1_PNSt15iterator_traitsISL_E10value_typeET2_T3_PNSM_ISR_E10value_typeET4_jRbjT5_SX_jjP12ihipStream_tbEUlT_E2_NS1_11comp_targetILNS1_3genE10ELNS1_11target_archE1201ELNS1_3gpuE5ELNS1_3repE0EEENS1_30default_config_static_selectorELNS0_4arch9wavefront6targetE0EEEvSL_
    .private_segment_fixed_size: 0
    .sgpr_count:     0
    .sgpr_spill_count: 0
    .symbol:         _ZN7rocprim17ROCPRIM_400000_NS6detail17trampoline_kernelINS0_14default_configENS1_36segmented_radix_sort_config_selectorI12hip_bfloat16lEEZNS1_25segmented_radix_sort_implIS3_Lb0EPKS5_PS5_PKlPlN2at6native12_GLOBAL__N_18offset_tEEE10hipError_tPvRmT1_PNSt15iterator_traitsISL_E10value_typeET2_T3_PNSM_ISR_E10value_typeET4_jRbjT5_SX_jjP12ihipStream_tbEUlT_E2_NS1_11comp_targetILNS1_3genE10ELNS1_11target_archE1201ELNS1_3gpuE5ELNS1_3repE0EEENS1_30default_config_static_selectorELNS0_4arch9wavefront6targetE0EEEvSL_.kd
    .uniform_work_group_size: 1
    .uses_dynamic_stack: false
    .vgpr_count:     0
    .vgpr_spill_count: 0
    .wavefront_size: 32
    .workgroup_processor_mode: 1
  - .args:
      - .offset:         0
        .size:           80
        .value_kind:     by_value
    .group_segment_fixed_size: 0
    .kernarg_segment_align: 8
    .kernarg_segment_size: 80
    .language:       OpenCL C
    .language_version:
      - 2
      - 0
    .max_flat_workgroup_size: 128
    .name:           _ZN7rocprim17ROCPRIM_400000_NS6detail17trampoline_kernelINS0_14default_configENS1_36segmented_radix_sort_config_selectorI12hip_bfloat16lEEZNS1_25segmented_radix_sort_implIS3_Lb0EPKS5_PS5_PKlPlN2at6native12_GLOBAL__N_18offset_tEEE10hipError_tPvRmT1_PNSt15iterator_traitsISL_E10value_typeET2_T3_PNSM_ISR_E10value_typeET4_jRbjT5_SX_jjP12ihipStream_tbEUlT_E2_NS1_11comp_targetILNS1_3genE10ELNS1_11target_archE1200ELNS1_3gpuE4ELNS1_3repE0EEENS1_30default_config_static_selectorELNS0_4arch9wavefront6targetE0EEEvSL_
    .private_segment_fixed_size: 0
    .sgpr_count:     0
    .sgpr_spill_count: 0
    .symbol:         _ZN7rocprim17ROCPRIM_400000_NS6detail17trampoline_kernelINS0_14default_configENS1_36segmented_radix_sort_config_selectorI12hip_bfloat16lEEZNS1_25segmented_radix_sort_implIS3_Lb0EPKS5_PS5_PKlPlN2at6native12_GLOBAL__N_18offset_tEEE10hipError_tPvRmT1_PNSt15iterator_traitsISL_E10value_typeET2_T3_PNSM_ISR_E10value_typeET4_jRbjT5_SX_jjP12ihipStream_tbEUlT_E2_NS1_11comp_targetILNS1_3genE10ELNS1_11target_archE1200ELNS1_3gpuE4ELNS1_3repE0EEENS1_30default_config_static_selectorELNS0_4arch9wavefront6targetE0EEEvSL_.kd
    .uniform_work_group_size: 1
    .uses_dynamic_stack: false
    .vgpr_count:     0
    .vgpr_spill_count: 0
    .wavefront_size: 32
    .workgroup_processor_mode: 1
  - .args:
      - .offset:         0
        .size:           80
        .value_kind:     by_value
    .group_segment_fixed_size: 0
    .kernarg_segment_align: 8
    .kernarg_segment_size: 80
    .language:       OpenCL C
    .language_version:
      - 2
      - 0
    .max_flat_workgroup_size: 256
    .name:           _ZN7rocprim17ROCPRIM_400000_NS6detail17trampoline_kernelINS0_14default_configENS1_36segmented_radix_sort_config_selectorI12hip_bfloat16lEEZNS1_25segmented_radix_sort_implIS3_Lb0EPKS5_PS5_PKlPlN2at6native12_GLOBAL__N_18offset_tEEE10hipError_tPvRmT1_PNSt15iterator_traitsISL_E10value_typeET2_T3_PNSM_ISR_E10value_typeET4_jRbjT5_SX_jjP12ihipStream_tbEUlT_E2_NS1_11comp_targetILNS1_3genE9ELNS1_11target_archE1100ELNS1_3gpuE3ELNS1_3repE0EEENS1_30default_config_static_selectorELNS0_4arch9wavefront6targetE0EEEvSL_
    .private_segment_fixed_size: 0
    .sgpr_count:     0
    .sgpr_spill_count: 0
    .symbol:         _ZN7rocprim17ROCPRIM_400000_NS6detail17trampoline_kernelINS0_14default_configENS1_36segmented_radix_sort_config_selectorI12hip_bfloat16lEEZNS1_25segmented_radix_sort_implIS3_Lb0EPKS5_PS5_PKlPlN2at6native12_GLOBAL__N_18offset_tEEE10hipError_tPvRmT1_PNSt15iterator_traitsISL_E10value_typeET2_T3_PNSM_ISR_E10value_typeET4_jRbjT5_SX_jjP12ihipStream_tbEUlT_E2_NS1_11comp_targetILNS1_3genE9ELNS1_11target_archE1100ELNS1_3gpuE3ELNS1_3repE0EEENS1_30default_config_static_selectorELNS0_4arch9wavefront6targetE0EEEvSL_.kd
    .uniform_work_group_size: 1
    .uses_dynamic_stack: false
    .vgpr_count:     0
    .vgpr_spill_count: 0
    .wavefront_size: 32
    .workgroup_processor_mode: 1
  - .args:
      - .offset:         0
        .size:           80
        .value_kind:     by_value
      - .offset:         80
        .size:           4
        .value_kind:     hidden_block_count_x
      - .offset:         84
        .size:           4
        .value_kind:     hidden_block_count_y
      - .offset:         88
        .size:           4
        .value_kind:     hidden_block_count_z
      - .offset:         92
        .size:           2
        .value_kind:     hidden_group_size_x
      - .offset:         94
        .size:           2
        .value_kind:     hidden_group_size_y
      - .offset:         96
        .size:           2
        .value_kind:     hidden_group_size_z
      - .offset:         98
        .size:           2
        .value_kind:     hidden_remainder_x
      - .offset:         100
        .size:           2
        .value_kind:     hidden_remainder_y
      - .offset:         102
        .size:           2
        .value_kind:     hidden_remainder_z
      - .offset:         120
        .size:           8
        .value_kind:     hidden_global_offset_x
      - .offset:         128
        .size:           8
        .value_kind:     hidden_global_offset_y
      - .offset:         136
        .size:           8
        .value_kind:     hidden_global_offset_z
      - .offset:         144
        .size:           2
        .value_kind:     hidden_grid_dims
    .group_segment_fixed_size: 17440
    .kernarg_segment_align: 8
    .kernarg_segment_size: 336
    .language:       OpenCL C
    .language_version:
      - 2
      - 0
    .max_flat_workgroup_size: 256
    .name:           _ZN7rocprim17ROCPRIM_400000_NS6detail17trampoline_kernelINS0_14default_configENS1_36segmented_radix_sort_config_selectorI12hip_bfloat16lEEZNS1_25segmented_radix_sort_implIS3_Lb0EPKS5_PS5_PKlPlN2at6native12_GLOBAL__N_18offset_tEEE10hipError_tPvRmT1_PNSt15iterator_traitsISL_E10value_typeET2_T3_PNSM_ISR_E10value_typeET4_jRbjT5_SX_jjP12ihipStream_tbEUlT_E2_NS1_11comp_targetILNS1_3genE8ELNS1_11target_archE1030ELNS1_3gpuE2ELNS1_3repE0EEENS1_30default_config_static_selectorELNS0_4arch9wavefront6targetE0EEEvSL_
    .private_segment_fixed_size: 0
    .sgpr_count:     58
    .sgpr_spill_count: 0
    .symbol:         _ZN7rocprim17ROCPRIM_400000_NS6detail17trampoline_kernelINS0_14default_configENS1_36segmented_radix_sort_config_selectorI12hip_bfloat16lEEZNS1_25segmented_radix_sort_implIS3_Lb0EPKS5_PS5_PKlPlN2at6native12_GLOBAL__N_18offset_tEEE10hipError_tPvRmT1_PNSt15iterator_traitsISL_E10value_typeET2_T3_PNSM_ISR_E10value_typeET4_jRbjT5_SX_jjP12ihipStream_tbEUlT_E2_NS1_11comp_targetILNS1_3genE8ELNS1_11target_archE1030ELNS1_3gpuE2ELNS1_3repE0EEENS1_30default_config_static_selectorELNS0_4arch9wavefront6targetE0EEEvSL_.kd
    .uniform_work_group_size: 1
    .uses_dynamic_stack: false
    .vgpr_count:     184
    .vgpr_spill_count: 0
    .wavefront_size: 32
    .workgroup_processor_mode: 1
amdhsa.target:   amdgcn-amd-amdhsa--gfx1030
amdhsa.version:
  - 1
  - 2
...

	.end_amdgpu_metadata
